;; amdgpu-corpus repo=pytorch/pytorch kind=compiled arch=gfx1201 opt=O3
	.amdgcn_target "amdgcn-amd-amdhsa--gfx1201"
	.amdhsa_code_object_version 6
	.section	.text._ZN2at6native12_GLOBAL__N_129fill_index_and_segment_kernelEP15HIP_vector_typeIiLj2EEiNS_4cuda6detail10IntDividerIjEE,"axG",@progbits,_ZN2at6native12_GLOBAL__N_129fill_index_and_segment_kernelEP15HIP_vector_typeIiLj2EEiNS_4cuda6detail10IntDividerIjEE,comdat
	.globl	_ZN2at6native12_GLOBAL__N_129fill_index_and_segment_kernelEP15HIP_vector_typeIiLj2EEiNS_4cuda6detail10IntDividerIjEE ; -- Begin function _ZN2at6native12_GLOBAL__N_129fill_index_and_segment_kernelEP15HIP_vector_typeIiLj2EEiNS_4cuda6detail10IntDividerIjEE
	.p2align	8
	.type	_ZN2at6native12_GLOBAL__N_129fill_index_and_segment_kernelEP15HIP_vector_typeIiLj2EEiNS_4cuda6detail10IntDividerIjEE,@function
_ZN2at6native12_GLOBAL__N_129fill_index_and_segment_kernelEP15HIP_vector_typeIiLj2EEiNS_4cuda6detail10IntDividerIjEE: ; @_ZN2at6native12_GLOBAL__N_129fill_index_and_segment_kernelEP15HIP_vector_typeIiLj2EEiNS_4cuda6detail10IntDividerIjEE
; %bb.0:
	s_clause 0x1
	s_load_b32 s4, s[0:1], 0x24
	s_load_b64 s[12:13], s[0:1], 0x8
	s_mov_b32 s3, 0
	s_mov_b32 s2, ttmp9
	s_mov_b32 s15, s3
	s_wait_kmcnt 0x0
	s_and_b32 s14, s4, 0xffff
	s_ashr_i32 s7, s12, 31
	s_mul_u64 s[4:5], s[14:15], s[2:3]
	s_mov_b32 s6, s12
	v_add_co_u32 v2, s2, s4, v0
	s_delay_alu instid0(VALU_DEP_1) | instskip(NEXT) | instid1(VALU_DEP_1)
	v_add_co_ci_u32_e64 v3, null, s5, 0, s2
	v_cmp_gt_i64_e32 vcc_lo, s[6:7], v[2:3]
	v_mov_b32_e32 v3, 0
	s_and_saveexec_b32 s2, vcc_lo
	s_cbranch_execz .LBB0_3
; %bb.1:
	s_add_nc_u64 s[8:9], s[0:1], 24
	s_mul_i32 s2, ttmp9, s14
	s_load_b32 s12, s[8:9], 0x0
	s_clause 0x1
	s_load_b64 s[8:9], s[0:1], 0x0
	s_load_b64 s[10:11], s[0:1], 0x10
	v_dual_mov_b32 v1, v3 :: v_dual_add_nc_u32 v4, s2, v0
	s_sub_co_i32 s13, 0, s13
	s_wait_kmcnt 0x0
	s_mul_i32 s12, s12, s14
	s_delay_alu instid0(SALU_CYCLE_1)
	s_mov_b32 s14, s12
.LBB0_2:                                ; =>This Inner Loop Header: Depth=1
	v_mul_hi_u32 v8, s10, v4
	v_add_nc_u32_e32 v5, s2, v0
	v_add_co_u32 v0, vcc_lo, v0, s12
	s_wait_alu 0xfffd
	v_add_co_ci_u32_e64 v3, null, 0, v3, vcc_lo
	v_ashrrev_i64 v[6:7], 29, v[1:2]
	v_add_nc_u32_e32 v4, s12, v4
	v_add_nc_u32_e32 v9, v5, v8
	v_add_co_u32 v8, vcc_lo, s4, v0
	s_delay_alu instid0(VALU_DEP_2) | instskip(SKIP_3) | instid1(VALU_DEP_3)
	v_lshrrev_b32_e32 v10, s11, v9
	s_wait_alu 0xfffd
	v_add_co_ci_u32_e64 v9, null, s5, v3, vcc_lo
	v_add_co_u32 v1, vcc_lo, v1, 0
	v_mad_co_u64_u32 v[11:12], null, s13, v10, v[5:6]
	s_delay_alu instid0(VALU_DEP_3)
	v_cmp_le_i64_e64 s1, s[6:7], v[8:9]
	v_add_co_u32 v5, s0, s8, v6
	s_wait_alu 0xf1ff
	v_add_co_ci_u32_e64 v6, null, s9, v7, s0
	s_wait_alu 0xfffd
	v_add_co_ci_u32_e64 v2, null, s14, v2, vcc_lo
	s_or_b32 s3, s1, s3
	global_store_b64 v[5:6], v[10:11], off
	s_wait_alu 0xfffe
	s_and_not1_b32 exec_lo, exec_lo, s3
	s_cbranch_execnz .LBB0_2
.LBB0_3:
	s_endpgm
	.section	.rodata,"a",@progbits
	.p2align	6, 0x0
	.amdhsa_kernel _ZN2at6native12_GLOBAL__N_129fill_index_and_segment_kernelEP15HIP_vector_typeIiLj2EEiNS_4cuda6detail10IntDividerIjEE
		.amdhsa_group_segment_fixed_size 0
		.amdhsa_private_segment_fixed_size 0
		.amdhsa_kernarg_size 280
		.amdhsa_user_sgpr_count 2
		.amdhsa_user_sgpr_dispatch_ptr 0
		.amdhsa_user_sgpr_queue_ptr 0
		.amdhsa_user_sgpr_kernarg_segment_ptr 1
		.amdhsa_user_sgpr_dispatch_id 0
		.amdhsa_user_sgpr_private_segment_size 0
		.amdhsa_wavefront_size32 1
		.amdhsa_uses_dynamic_stack 0
		.amdhsa_enable_private_segment 0
		.amdhsa_system_sgpr_workgroup_id_x 1
		.amdhsa_system_sgpr_workgroup_id_y 0
		.amdhsa_system_sgpr_workgroup_id_z 0
		.amdhsa_system_sgpr_workgroup_info 0
		.amdhsa_system_vgpr_workitem_id 0
		.amdhsa_next_free_vgpr 13
		.amdhsa_next_free_sgpr 16
		.amdhsa_reserve_vcc 1
		.amdhsa_float_round_mode_32 0
		.amdhsa_float_round_mode_16_64 0
		.amdhsa_float_denorm_mode_32 3
		.amdhsa_float_denorm_mode_16_64 3
		.amdhsa_fp16_overflow 0
		.amdhsa_workgroup_processor_mode 1
		.amdhsa_memory_ordered 1
		.amdhsa_forward_progress 1
		.amdhsa_inst_pref_size 3
		.amdhsa_round_robin_scheduling 0
		.amdhsa_exception_fp_ieee_invalid_op 0
		.amdhsa_exception_fp_denorm_src 0
		.amdhsa_exception_fp_ieee_div_zero 0
		.amdhsa_exception_fp_ieee_overflow 0
		.amdhsa_exception_fp_ieee_underflow 0
		.amdhsa_exception_fp_ieee_inexact 0
		.amdhsa_exception_int_div_zero 0
	.end_amdhsa_kernel
	.section	.text._ZN2at6native12_GLOBAL__N_129fill_index_and_segment_kernelEP15HIP_vector_typeIiLj2EEiNS_4cuda6detail10IntDividerIjEE,"axG",@progbits,_ZN2at6native12_GLOBAL__N_129fill_index_and_segment_kernelEP15HIP_vector_typeIiLj2EEiNS_4cuda6detail10IntDividerIjEE,comdat
.Lfunc_end0:
	.size	_ZN2at6native12_GLOBAL__N_129fill_index_and_segment_kernelEP15HIP_vector_typeIiLj2EEiNS_4cuda6detail10IntDividerIjEE, .Lfunc_end0-_ZN2at6native12_GLOBAL__N_129fill_index_and_segment_kernelEP15HIP_vector_typeIiLj2EEiNS_4cuda6detail10IntDividerIjEE
                                        ; -- End function
	.set _ZN2at6native12_GLOBAL__N_129fill_index_and_segment_kernelEP15HIP_vector_typeIiLj2EEiNS_4cuda6detail10IntDividerIjEE.num_vgpr, 13
	.set _ZN2at6native12_GLOBAL__N_129fill_index_and_segment_kernelEP15HIP_vector_typeIiLj2EEiNS_4cuda6detail10IntDividerIjEE.num_agpr, 0
	.set _ZN2at6native12_GLOBAL__N_129fill_index_and_segment_kernelEP15HIP_vector_typeIiLj2EEiNS_4cuda6detail10IntDividerIjEE.numbered_sgpr, 16
	.set _ZN2at6native12_GLOBAL__N_129fill_index_and_segment_kernelEP15HIP_vector_typeIiLj2EEiNS_4cuda6detail10IntDividerIjEE.num_named_barrier, 0
	.set _ZN2at6native12_GLOBAL__N_129fill_index_and_segment_kernelEP15HIP_vector_typeIiLj2EEiNS_4cuda6detail10IntDividerIjEE.private_seg_size, 0
	.set _ZN2at6native12_GLOBAL__N_129fill_index_and_segment_kernelEP15HIP_vector_typeIiLj2EEiNS_4cuda6detail10IntDividerIjEE.uses_vcc, 1
	.set _ZN2at6native12_GLOBAL__N_129fill_index_and_segment_kernelEP15HIP_vector_typeIiLj2EEiNS_4cuda6detail10IntDividerIjEE.uses_flat_scratch, 0
	.set _ZN2at6native12_GLOBAL__N_129fill_index_and_segment_kernelEP15HIP_vector_typeIiLj2EEiNS_4cuda6detail10IntDividerIjEE.has_dyn_sized_stack, 0
	.set _ZN2at6native12_GLOBAL__N_129fill_index_and_segment_kernelEP15HIP_vector_typeIiLj2EEiNS_4cuda6detail10IntDividerIjEE.has_recursion, 0
	.set _ZN2at6native12_GLOBAL__N_129fill_index_and_segment_kernelEP15HIP_vector_typeIiLj2EEiNS_4cuda6detail10IntDividerIjEE.has_indirect_call, 0
	.section	.AMDGPU.csdata,"",@progbits
; Kernel info:
; codeLenInByte = 324
; TotalNumSgprs: 18
; NumVgprs: 13
; ScratchSize: 0
; MemoryBound: 0
; FloatMode: 240
; IeeeMode: 1
; LDSByteSize: 0 bytes/workgroup (compile time only)
; SGPRBlocks: 0
; VGPRBlocks: 1
; NumSGPRsForWavesPerEU: 18
; NumVGPRsForWavesPerEU: 13
; Occupancy: 16
; WaveLimiterHint : 0
; COMPUTE_PGM_RSRC2:SCRATCH_EN: 0
; COMPUTE_PGM_RSRC2:USER_SGPR: 2
; COMPUTE_PGM_RSRC2:TRAP_HANDLER: 0
; COMPUTE_PGM_RSRC2:TGID_X_EN: 1
; COMPUTE_PGM_RSRC2:TGID_Y_EN: 0
; COMPUTE_PGM_RSRC2:TGID_Z_EN: 0
; COMPUTE_PGM_RSRC2:TIDIG_COMP_CNT: 0
	.section	.text._ZN2at6native12_GLOBAL__N_127fill_reverse_indices_kernelEPliNS_4cuda6detail10IntDividerIjEE,"axG",@progbits,_ZN2at6native12_GLOBAL__N_127fill_reverse_indices_kernelEPliNS_4cuda6detail10IntDividerIjEE,comdat
	.globl	_ZN2at6native12_GLOBAL__N_127fill_reverse_indices_kernelEPliNS_4cuda6detail10IntDividerIjEE ; -- Begin function _ZN2at6native12_GLOBAL__N_127fill_reverse_indices_kernelEPliNS_4cuda6detail10IntDividerIjEE
	.p2align	8
	.type	_ZN2at6native12_GLOBAL__N_127fill_reverse_indices_kernelEPliNS_4cuda6detail10IntDividerIjEE,@function
_ZN2at6native12_GLOBAL__N_127fill_reverse_indices_kernelEPliNS_4cuda6detail10IntDividerIjEE: ; @_ZN2at6native12_GLOBAL__N_127fill_reverse_indices_kernelEPliNS_4cuda6detail10IntDividerIjEE
; %bb.0:
	s_clause 0x1
	s_load_b32 s4, s[0:1], 0x24
	s_load_b64 s[12:13], s[0:1], 0x8
	s_mov_b32 s3, 0
	s_mov_b32 s2, ttmp9
	s_mov_b32 s15, s3
	v_mov_b32_e32 v1, 0
	s_wait_kmcnt 0x0
	s_and_b32 s14, s4, 0xffff
	s_ashr_i32 s7, s12, 31
	s_mul_u64 s[4:5], s[14:15], s[2:3]
	s_mov_b32 s6, s12
	v_add_co_u32 v3, s2, s4, v0
	s_delay_alu instid0(VALU_DEP_1)
	v_add_co_ci_u32_e64 v4, null, s5, 0, s2
	s_mov_b32 s2, exec_lo
	v_cmpx_gt_i64_e64 s[6:7], v[3:4]
	s_cbranch_execz .LBB1_3
; %bb.1:
	s_add_nc_u64 s[8:9], s[0:1], 24
	s_mul_i32 s2, ttmp9, s14
	s_load_b32 s12, s[8:9], 0x0
	s_clause 0x1
	s_load_b64 s[8:9], s[0:1], 0x0
	s_load_b64 s[10:11], s[0:1], 0x10
	v_dual_mov_b32 v5, v1 :: v_dual_add_nc_u32 v6, s2, v0
	v_mov_b32_e32 v2, v1
	v_mov_b32_e32 v4, v0
	s_sub_co_i32 s13, 0, s13
	s_wait_kmcnt 0x0
	s_mul_i32 s12, s12, s14
	s_delay_alu instid0(SALU_CYCLE_1)
	s_mov_b32 s14, s12
.LBB1_2:                                ; =>This Inner Loop Header: Depth=1
	v_mul_hi_u32 v10, s10, v6
	v_add_nc_u32_e32 v0, s2, v4
	v_add_co_u32 v4, vcc_lo, v4, s12
	s_wait_alu 0xfffd
	v_add_co_ci_u32_e64 v5, null, 0, v5, vcc_lo
	v_ashrrev_i64 v[7:8], 29, v[2:3]
	s_delay_alu instid0(VALU_DEP_3) | instskip(SKIP_4) | instid1(VALU_DEP_3)
	v_add_co_u32 v9, s0, s4, v4
	v_add_nc_u32_e32 v11, v0, v10
	s_wait_alu 0xf1ff
	v_add_co_ci_u32_e64 v10, null, s5, v5, s0
	v_add_co_u32 v2, vcc_lo, v2, 0
	v_lshrrev_b32_e32 v11, s11, v11
	s_delay_alu instid0(VALU_DEP_3) | instskip(SKIP_2) | instid1(VALU_DEP_4)
	v_cmp_le_i64_e64 s1, s[6:7], v[9:10]
	v_add_co_u32 v7, s0, s8, v7
	v_add_nc_u32_e32 v6, s12, v6
	v_mad_co_u64_u32 v[9:10], null, s13, v11, v[0:1]
	s_wait_alu 0xf1ff
	v_add_co_ci_u32_e64 v8, null, s9, v8, s0
	v_mov_b32_e32 v10, v1
	s_wait_alu 0xfffd
	v_add_co_ci_u32_e64 v3, null, s14, v3, vcc_lo
	s_or_b32 s3, s1, s3
	global_store_b64 v[7:8], v[9:10], off
	s_wait_alu 0xfffe
	s_and_not1_b32 exec_lo, exec_lo, s3
	s_cbranch_execnz .LBB1_2
.LBB1_3:
	s_endpgm
	.section	.rodata,"a",@progbits
	.p2align	6, 0x0
	.amdhsa_kernel _ZN2at6native12_GLOBAL__N_127fill_reverse_indices_kernelEPliNS_4cuda6detail10IntDividerIjEE
		.amdhsa_group_segment_fixed_size 0
		.amdhsa_private_segment_fixed_size 0
		.amdhsa_kernarg_size 280
		.amdhsa_user_sgpr_count 2
		.amdhsa_user_sgpr_dispatch_ptr 0
		.amdhsa_user_sgpr_queue_ptr 0
		.amdhsa_user_sgpr_kernarg_segment_ptr 1
		.amdhsa_user_sgpr_dispatch_id 0
		.amdhsa_user_sgpr_private_segment_size 0
		.amdhsa_wavefront_size32 1
		.amdhsa_uses_dynamic_stack 0
		.amdhsa_enable_private_segment 0
		.amdhsa_system_sgpr_workgroup_id_x 1
		.amdhsa_system_sgpr_workgroup_id_y 0
		.amdhsa_system_sgpr_workgroup_id_z 0
		.amdhsa_system_sgpr_workgroup_info 0
		.amdhsa_system_vgpr_workitem_id 0
		.amdhsa_next_free_vgpr 12
		.amdhsa_next_free_sgpr 16
		.amdhsa_reserve_vcc 1
		.amdhsa_float_round_mode_32 0
		.amdhsa_float_round_mode_16_64 0
		.amdhsa_float_denorm_mode_32 3
		.amdhsa_float_denorm_mode_16_64 3
		.amdhsa_fp16_overflow 0
		.amdhsa_workgroup_processor_mode 1
		.amdhsa_memory_ordered 1
		.amdhsa_forward_progress 1
		.amdhsa_inst_pref_size 3
		.amdhsa_round_robin_scheduling 0
		.amdhsa_exception_fp_ieee_invalid_op 0
		.amdhsa_exception_fp_denorm_src 0
		.amdhsa_exception_fp_ieee_div_zero 0
		.amdhsa_exception_fp_ieee_overflow 0
		.amdhsa_exception_fp_ieee_underflow 0
		.amdhsa_exception_fp_ieee_inexact 0
		.amdhsa_exception_int_div_zero 0
	.end_amdhsa_kernel
	.section	.text._ZN2at6native12_GLOBAL__N_127fill_reverse_indices_kernelEPliNS_4cuda6detail10IntDividerIjEE,"axG",@progbits,_ZN2at6native12_GLOBAL__N_127fill_reverse_indices_kernelEPliNS_4cuda6detail10IntDividerIjEE,comdat
.Lfunc_end1:
	.size	_ZN2at6native12_GLOBAL__N_127fill_reverse_indices_kernelEPliNS_4cuda6detail10IntDividerIjEE, .Lfunc_end1-_ZN2at6native12_GLOBAL__N_127fill_reverse_indices_kernelEPliNS_4cuda6detail10IntDividerIjEE
                                        ; -- End function
	.set _ZN2at6native12_GLOBAL__N_127fill_reverse_indices_kernelEPliNS_4cuda6detail10IntDividerIjEE.num_vgpr, 12
	.set _ZN2at6native12_GLOBAL__N_127fill_reverse_indices_kernelEPliNS_4cuda6detail10IntDividerIjEE.num_agpr, 0
	.set _ZN2at6native12_GLOBAL__N_127fill_reverse_indices_kernelEPliNS_4cuda6detail10IntDividerIjEE.numbered_sgpr, 16
	.set _ZN2at6native12_GLOBAL__N_127fill_reverse_indices_kernelEPliNS_4cuda6detail10IntDividerIjEE.num_named_barrier, 0
	.set _ZN2at6native12_GLOBAL__N_127fill_reverse_indices_kernelEPliNS_4cuda6detail10IntDividerIjEE.private_seg_size, 0
	.set _ZN2at6native12_GLOBAL__N_127fill_reverse_indices_kernelEPliNS_4cuda6detail10IntDividerIjEE.uses_vcc, 1
	.set _ZN2at6native12_GLOBAL__N_127fill_reverse_indices_kernelEPliNS_4cuda6detail10IntDividerIjEE.uses_flat_scratch, 0
	.set _ZN2at6native12_GLOBAL__N_127fill_reverse_indices_kernelEPliNS_4cuda6detail10IntDividerIjEE.has_dyn_sized_stack, 0
	.set _ZN2at6native12_GLOBAL__N_127fill_reverse_indices_kernelEPliNS_4cuda6detail10IntDividerIjEE.has_recursion, 0
	.set _ZN2at6native12_GLOBAL__N_127fill_reverse_indices_kernelEPliNS_4cuda6detail10IntDividerIjEE.has_indirect_call, 0
	.section	.AMDGPU.csdata,"",@progbits
; Kernel info:
; codeLenInByte = 340
; TotalNumSgprs: 18
; NumVgprs: 12
; ScratchSize: 0
; MemoryBound: 0
; FloatMode: 240
; IeeeMode: 1
; LDSByteSize: 0 bytes/workgroup (compile time only)
; SGPRBlocks: 0
; VGPRBlocks: 1
; NumSGPRsForWavesPerEU: 18
; NumVGPRsForWavesPerEU: 12
; Occupancy: 16
; WaveLimiterHint : 0
; COMPUTE_PGM_RSRC2:SCRATCH_EN: 0
; COMPUTE_PGM_RSRC2:USER_SGPR: 2
; COMPUTE_PGM_RSRC2:TRAP_HANDLER: 0
; COMPUTE_PGM_RSRC2:TGID_X_EN: 1
; COMPUTE_PGM_RSRC2:TGID_Y_EN: 0
; COMPUTE_PGM_RSRC2:TGID_Z_EN: 0
; COMPUTE_PGM_RSRC2:TIDIG_COMP_CNT: 0
	.section	.text._ZN2at6native12_GLOBAL__N_123sort_postprocess_kernelIhEEvPKT_PS3_PlPK15HIP_vector_typeIiLj2EEii,"axG",@progbits,_ZN2at6native12_GLOBAL__N_123sort_postprocess_kernelIhEEvPKT_PS3_PlPK15HIP_vector_typeIiLj2EEii,comdat
	.globl	_ZN2at6native12_GLOBAL__N_123sort_postprocess_kernelIhEEvPKT_PS3_PlPK15HIP_vector_typeIiLj2EEii ; -- Begin function _ZN2at6native12_GLOBAL__N_123sort_postprocess_kernelIhEEvPKT_PS3_PlPK15HIP_vector_typeIiLj2EEii
	.p2align	8
	.type	_ZN2at6native12_GLOBAL__N_123sort_postprocess_kernelIhEEvPKT_PS3_PlPK15HIP_vector_typeIiLj2EEii,@function
_ZN2at6native12_GLOBAL__N_123sort_postprocess_kernelIhEEvPKT_PS3_PlPK15HIP_vector_typeIiLj2EEii: ; @_ZN2at6native12_GLOBAL__N_123sort_postprocess_kernelIhEEvPKT_PS3_PlPK15HIP_vector_typeIiLj2EEii
; %bb.0:
	s_clause 0x1
	s_load_b32 s6, s[0:1], 0x34
	s_load_b64 s[4:5], s[0:1], 0x20
	s_mov_b32 s3, 0
	s_mov_b32 s2, ttmp9
	s_mov_b32 s17, s3
	s_wait_kmcnt 0x0
	s_and_b32 s16, s6, 0xffff
	s_mul_i32 s14, s5, s4
	s_mul_u64 s[12:13], s[16:17], s[2:3]
	s_ashr_i32 s15, s14, 31
	v_add_co_u32 v1, s2, s12, v0
	s_delay_alu instid0(VALU_DEP_1) | instskip(NEXT) | instid1(VALU_DEP_1)
	v_add_co_ci_u32_e64 v2, null, s13, 0, s2
	v_cmp_gt_i64_e32 vcc_lo, s[14:15], v[1:2]
	v_mov_b32_e32 v1, 0
	s_and_saveexec_b32 s2, vcc_lo
	s_cbranch_execz .LBB2_3
; %bb.1:
	s_abs_i32 s2, s5
	s_wait_alu 0xfffe
	s_cvt_f32_u32 s4, s2
	s_delay_alu instid0(SALU_CYCLE_3) | instskip(SKIP_4) | instid1(TRANS32_DEP_1)
	v_rcp_iflag_f32_e32 v2, s4
	s_add_nc_u64 s[4:5], s[0:1], 40
	s_load_b32 s17, s[4:5], 0x0
	s_load_b256 s[4:11], s[0:1], 0x0
	s_sub_co_i32 s1, 0, s2
	v_readfirstlane_b32 s0, v2
	s_mul_f32 s0, s0, 0x4f7ffffe
	s_delay_alu instid0(SALU_CYCLE_3) | instskip(NEXT) | instid1(SALU_CYCLE_3)
	s_cvt_u32_f32 s0, s0
	s_mul_i32 s1, s1, s0
	s_delay_alu instid0(SALU_CYCLE_1)
	s_mul_hi_u32 s18, s0, s1
	s_wait_kmcnt 0x0
	s_mul_i32 s1, s17, s16
	s_add_co_i32 s17, s0, s18
	s_mul_i32 s16, ttmp9, s16
.LBB2_2:                                ; =>This Inner Loop Header: Depth=1
	s_delay_alu instid0(SALU_CYCLE_1) | instskip(NEXT) | instid1(VALU_DEP_1)
	v_add_nc_u32_e32 v2, s16, v0
	v_sub_nc_u32_e32 v3, 0, v2
	s_delay_alu instid0(VALU_DEP_1) | instskip(NEXT) | instid1(VALU_DEP_1)
	v_max_i32_e32 v3, v2, v3
	v_mul_hi_u32 v4, v3, s17
	s_delay_alu instid0(VALU_DEP_1) | instskip(NEXT) | instid1(VALU_DEP_1)
	v_mul_lo_u32 v4, v4, s2
	v_sub_nc_u32_e32 v3, v3, v4
	s_delay_alu instid0(VALU_DEP_1) | instskip(SKIP_2) | instid1(VALU_DEP_2)
	v_subrev_nc_u32_e32 v4, s2, v3
	v_cmp_le_u32_e32 vcc_lo, s2, v3
	s_wait_alu 0xfffd
	v_cndmask_b32_e32 v3, v3, v4, vcc_lo
	s_delay_alu instid0(VALU_DEP_1) | instskip(SKIP_2) | instid1(VALU_DEP_2)
	v_subrev_nc_u32_e32 v5, s2, v3
	v_cmp_le_u32_e32 vcc_lo, s2, v3
	s_wait_alu 0xfffd
	v_cndmask_b32_e32 v3, v3, v5, vcc_lo
	v_ashrrev_i32_e32 v4, 31, v2
	s_delay_alu instid0(VALU_DEP_1) | instskip(NEXT) | instid1(VALU_DEP_3)
	v_add_nc_u32_e32 v2, v2, v4
	v_xor_b32_e32 v3, v3, v4
	s_delay_alu instid0(VALU_DEP_1) | instskip(SKIP_1) | instid1(VALU_DEP_2)
	v_sub_nc_u32_e32 v2, v2, v3
	v_sub_nc_u32_e32 v4, v3, v4
	v_ashrrev_i32_e32 v3, 31, v2
	s_delay_alu instid0(VALU_DEP_2) | instskip(NEXT) | instid1(VALU_DEP_2)
	v_ashrrev_i32_e32 v5, 31, v4
	v_lshlrev_b64_e32 v[6:7], 3, v[2:3]
	s_delay_alu instid0(VALU_DEP_2) | instskip(NEXT) | instid1(VALU_DEP_2)
	v_lshlrev_b64_e32 v[8:9], 3, v[4:5]
	v_add_co_u32 v10, vcc_lo, s10, v6
	s_wait_alu 0xfffd
	s_delay_alu instid0(VALU_DEP_3) | instskip(NEXT) | instid1(VALU_DEP_2)
	v_add_co_ci_u32_e64 v11, null, s11, v7, vcc_lo
	v_add_co_u32 v10, vcc_lo, v10, v8
	s_wait_alu 0xfffd
	s_delay_alu instid0(VALU_DEP_2)
	v_add_co_ci_u32_e64 v11, null, v11, v9, vcc_lo
	v_add_co_u32 v12, vcc_lo, s4, v2
	s_wait_alu 0xfffd
	v_add_co_ci_u32_e64 v13, null, s5, v3, vcc_lo
	global_load_b32 v10, v[10:11], off offset:4
	v_add_co_u32 v6, vcc_lo, s8, v6
	s_wait_alu 0xfffd
	v_add_co_ci_u32_e64 v7, null, s9, v7, vcc_lo
	s_delay_alu instid0(VALU_DEP_2) | instskip(SKIP_1) | instid1(VALU_DEP_2)
	v_add_co_u32 v6, vcc_lo, v6, v8
	s_wait_alu 0xfffd
	v_add_co_ci_u32_e64 v7, null, v7, v9, vcc_lo
	s_wait_loadcnt 0x0
	v_ashrrev_i32_e32 v11, 31, v10
	v_add_co_u32 v8, vcc_lo, v12, v10
	s_wait_alu 0xfffd
	s_delay_alu instid0(VALU_DEP_2)
	v_add_co_ci_u32_e64 v9, null, v13, v11, vcc_lo
	global_store_b64 v[6:7], v[10:11], off
	v_add_co_u32 v0, vcc_lo, v0, s1
	global_load_u8 v8, v[8:9], off
	s_wait_alu 0xfffd
	v_add_co_ci_u32_e64 v1, null, 0, v1, vcc_lo
	v_add_co_u32 v6, vcc_lo, s12, v0
	s_wait_alu 0xfffd
	s_delay_alu instid0(VALU_DEP_2) | instskip(SKIP_3) | instid1(VALU_DEP_3)
	v_add_co_ci_u32_e64 v7, null, s13, v1, vcc_lo
	v_add_co_u32 v2, vcc_lo, s6, v2
	s_wait_alu 0xfffd
	v_add_co_ci_u32_e64 v3, null, s7, v3, vcc_lo
	v_cmp_le_i64_e32 vcc_lo, s[14:15], v[6:7]
	s_delay_alu instid0(VALU_DEP_3) | instskip(SKIP_1) | instid1(VALU_DEP_3)
	v_add_co_u32 v2, s0, v2, v4
	s_wait_alu 0xf1ff
	v_add_co_ci_u32_e64 v3, null, v3, v5, s0
	s_or_b32 s3, vcc_lo, s3
	s_wait_loadcnt 0x0
	global_store_b8 v[2:3], v8, off
	s_wait_alu 0xfffe
	s_and_not1_b32 exec_lo, exec_lo, s3
	s_cbranch_execnz .LBB2_2
.LBB2_3:
	s_endpgm
	.section	.rodata,"a",@progbits
	.p2align	6, 0x0
	.amdhsa_kernel _ZN2at6native12_GLOBAL__N_123sort_postprocess_kernelIhEEvPKT_PS3_PlPK15HIP_vector_typeIiLj2EEii
		.amdhsa_group_segment_fixed_size 0
		.amdhsa_private_segment_fixed_size 0
		.amdhsa_kernarg_size 296
		.amdhsa_user_sgpr_count 2
		.amdhsa_user_sgpr_dispatch_ptr 0
		.amdhsa_user_sgpr_queue_ptr 0
		.amdhsa_user_sgpr_kernarg_segment_ptr 1
		.amdhsa_user_sgpr_dispatch_id 0
		.amdhsa_user_sgpr_private_segment_size 0
		.amdhsa_wavefront_size32 1
		.amdhsa_uses_dynamic_stack 0
		.amdhsa_enable_private_segment 0
		.amdhsa_system_sgpr_workgroup_id_x 1
		.amdhsa_system_sgpr_workgroup_id_y 0
		.amdhsa_system_sgpr_workgroup_id_z 0
		.amdhsa_system_sgpr_workgroup_info 0
		.amdhsa_system_vgpr_workitem_id 0
		.amdhsa_next_free_vgpr 14
		.amdhsa_next_free_sgpr 19
		.amdhsa_reserve_vcc 1
		.amdhsa_float_round_mode_32 0
		.amdhsa_float_round_mode_16_64 0
		.amdhsa_float_denorm_mode_32 3
		.amdhsa_float_denorm_mode_16_64 3
		.amdhsa_fp16_overflow 0
		.amdhsa_workgroup_processor_mode 1
		.amdhsa_memory_ordered 1
		.amdhsa_forward_progress 1
		.amdhsa_inst_pref_size 5
		.amdhsa_round_robin_scheduling 0
		.amdhsa_exception_fp_ieee_invalid_op 0
		.amdhsa_exception_fp_denorm_src 0
		.amdhsa_exception_fp_ieee_div_zero 0
		.amdhsa_exception_fp_ieee_overflow 0
		.amdhsa_exception_fp_ieee_underflow 0
		.amdhsa_exception_fp_ieee_inexact 0
		.amdhsa_exception_int_div_zero 0
	.end_amdhsa_kernel
	.section	.text._ZN2at6native12_GLOBAL__N_123sort_postprocess_kernelIhEEvPKT_PS3_PlPK15HIP_vector_typeIiLj2EEii,"axG",@progbits,_ZN2at6native12_GLOBAL__N_123sort_postprocess_kernelIhEEvPKT_PS3_PlPK15HIP_vector_typeIiLj2EEii,comdat
.Lfunc_end2:
	.size	_ZN2at6native12_GLOBAL__N_123sort_postprocess_kernelIhEEvPKT_PS3_PlPK15HIP_vector_typeIiLj2EEii, .Lfunc_end2-_ZN2at6native12_GLOBAL__N_123sort_postprocess_kernelIhEEvPKT_PS3_PlPK15HIP_vector_typeIiLj2EEii
                                        ; -- End function
	.set _ZN2at6native12_GLOBAL__N_123sort_postprocess_kernelIhEEvPKT_PS3_PlPK15HIP_vector_typeIiLj2EEii.num_vgpr, 14
	.set _ZN2at6native12_GLOBAL__N_123sort_postprocess_kernelIhEEvPKT_PS3_PlPK15HIP_vector_typeIiLj2EEii.num_agpr, 0
	.set _ZN2at6native12_GLOBAL__N_123sort_postprocess_kernelIhEEvPKT_PS3_PlPK15HIP_vector_typeIiLj2EEii.numbered_sgpr, 19
	.set _ZN2at6native12_GLOBAL__N_123sort_postprocess_kernelIhEEvPKT_PS3_PlPK15HIP_vector_typeIiLj2EEii.num_named_barrier, 0
	.set _ZN2at6native12_GLOBAL__N_123sort_postprocess_kernelIhEEvPKT_PS3_PlPK15HIP_vector_typeIiLj2EEii.private_seg_size, 0
	.set _ZN2at6native12_GLOBAL__N_123sort_postprocess_kernelIhEEvPKT_PS3_PlPK15HIP_vector_typeIiLj2EEii.uses_vcc, 1
	.set _ZN2at6native12_GLOBAL__N_123sort_postprocess_kernelIhEEvPKT_PS3_PlPK15HIP_vector_typeIiLj2EEii.uses_flat_scratch, 0
	.set _ZN2at6native12_GLOBAL__N_123sort_postprocess_kernelIhEEvPKT_PS3_PlPK15HIP_vector_typeIiLj2EEii.has_dyn_sized_stack, 0
	.set _ZN2at6native12_GLOBAL__N_123sort_postprocess_kernelIhEEvPKT_PS3_PlPK15HIP_vector_typeIiLj2EEii.has_recursion, 0
	.set _ZN2at6native12_GLOBAL__N_123sort_postprocess_kernelIhEEvPKT_PS3_PlPK15HIP_vector_typeIiLj2EEii.has_indirect_call, 0
	.section	.AMDGPU.csdata,"",@progbits
; Kernel info:
; codeLenInByte = 628
; TotalNumSgprs: 21
; NumVgprs: 14
; ScratchSize: 0
; MemoryBound: 0
; FloatMode: 240
; IeeeMode: 1
; LDSByteSize: 0 bytes/workgroup (compile time only)
; SGPRBlocks: 0
; VGPRBlocks: 1
; NumSGPRsForWavesPerEU: 21
; NumVGPRsForWavesPerEU: 14
; Occupancy: 16
; WaveLimiterHint : 1
; COMPUTE_PGM_RSRC2:SCRATCH_EN: 0
; COMPUTE_PGM_RSRC2:USER_SGPR: 2
; COMPUTE_PGM_RSRC2:TRAP_HANDLER: 0
; COMPUTE_PGM_RSRC2:TGID_X_EN: 1
; COMPUTE_PGM_RSRC2:TGID_Y_EN: 0
; COMPUTE_PGM_RSRC2:TGID_Z_EN: 0
; COMPUTE_PGM_RSRC2:TIDIG_COMP_CNT: 0
	.section	.text._ZN7rocprim17ROCPRIM_400000_NS6detail31init_lookback_scan_state_kernelINS1_19lookback_scan_stateI15HIP_vector_typeIjLj2EELb0ELb1EEENS1_16block_id_wrapperIjLb0EEEEEvT_jT0_jPNS9_10value_typeE,"axG",@progbits,_ZN7rocprim17ROCPRIM_400000_NS6detail31init_lookback_scan_state_kernelINS1_19lookback_scan_stateI15HIP_vector_typeIjLj2EELb0ELb1EEENS1_16block_id_wrapperIjLb0EEEEEvT_jT0_jPNS9_10value_typeE,comdat
	.protected	_ZN7rocprim17ROCPRIM_400000_NS6detail31init_lookback_scan_state_kernelINS1_19lookback_scan_stateI15HIP_vector_typeIjLj2EELb0ELb1EEENS1_16block_id_wrapperIjLb0EEEEEvT_jT0_jPNS9_10value_typeE ; -- Begin function _ZN7rocprim17ROCPRIM_400000_NS6detail31init_lookback_scan_state_kernelINS1_19lookback_scan_stateI15HIP_vector_typeIjLj2EELb0ELb1EEENS1_16block_id_wrapperIjLb0EEEEEvT_jT0_jPNS9_10value_typeE
	.globl	_ZN7rocprim17ROCPRIM_400000_NS6detail31init_lookback_scan_state_kernelINS1_19lookback_scan_stateI15HIP_vector_typeIjLj2EELb0ELb1EEENS1_16block_id_wrapperIjLb0EEEEEvT_jT0_jPNS9_10value_typeE
	.p2align	8
	.type	_ZN7rocprim17ROCPRIM_400000_NS6detail31init_lookback_scan_state_kernelINS1_19lookback_scan_stateI15HIP_vector_typeIjLj2EELb0ELb1EEENS1_16block_id_wrapperIjLb0EEEEEvT_jT0_jPNS9_10value_typeE,@function
_ZN7rocprim17ROCPRIM_400000_NS6detail31init_lookback_scan_state_kernelINS1_19lookback_scan_stateI15HIP_vector_typeIjLj2EELb0ELb1EEENS1_16block_id_wrapperIjLb0EEEEEvT_jT0_jPNS9_10value_typeE: ; @_ZN7rocprim17ROCPRIM_400000_NS6detail31init_lookback_scan_state_kernelINS1_19lookback_scan_stateI15HIP_vector_typeIjLj2EELb0ELb1EEENS1_16block_id_wrapperIjLb0EEEEEvT_jT0_jPNS9_10value_typeE
; %bb.0:
	s_clause 0x2
	s_load_b32 s7, s[0:1], 0x2c
	s_load_b64 s[2:3], s[0:1], 0x18
	s_load_b96 s[4:6], s[0:1], 0x0
	s_wait_kmcnt 0x0
	s_and_b32 s7, s7, 0xffff
	s_cmp_eq_u64 s[2:3], 0
	v_mad_co_u64_u32 v[0:1], null, ttmp9, s7, v[0:1]
	s_cbranch_scc1 .LBB3_8
; %bb.1:
	s_load_b32 s0, s[0:1], 0x10
	s_wait_kmcnt 0x0
	s_cmp_lt_u32 s0, s6
	s_cselect_b32 s1, s0, 0
	s_wait_alu 0xfffe
	v_cmp_eq_u32_e32 vcc_lo, s1, v0
	s_mov_b32 s1, 0
	s_and_saveexec_b32 s7, vcc_lo
	s_cbranch_execz .LBB3_7
; %bb.2:
	s_add_co_i32 s0, s0, 32
	s_mov_b32 s8, exec_lo
	s_wait_alu 0xfffe
	s_lshl_b64 s[0:1], s[0:1], 4
	v_mov_b32_e32 v5, 0
	s_wait_alu 0xfffe
	s_add_nc_u64 s[0:1], s[4:5], s[0:1]
	s_wait_alu 0xfffe
	v_dual_mov_b32 v2, s1 :: v_dual_mov_b32 v1, s0
	;;#ASMSTART
	global_load_b128 v[1:4], v[1:2] off scope:SCOPE_DEV	
s_wait_loadcnt 0x0
	;;#ASMEND
	v_and_b32_e32 v4, 0xff, v3
	s_delay_alu instid0(VALU_DEP_1)
	v_cmpx_eq_u64_e32 0, v[4:5]
	s_cbranch_execz .LBB3_6
; %bb.3:
	v_dual_mov_b32 v7, s1 :: v_dual_mov_b32 v6, s0
	s_mov_b32 s0, 0
.LBB3_4:                                ; =>This Inner Loop Header: Depth=1
	;;#ASMSTART
	global_load_b128 v[1:4], v[6:7] off scope:SCOPE_DEV	
s_wait_loadcnt 0x0
	;;#ASMEND
	v_and_b32_e32 v4, 0xff, v3
	s_delay_alu instid0(VALU_DEP_1)
	v_cmp_ne_u64_e32 vcc_lo, 0, v[4:5]
	s_wait_alu 0xfffe
	s_or_b32 s0, vcc_lo, s0
	s_wait_alu 0xfffe
	s_and_not1_b32 exec_lo, exec_lo, s0
	s_cbranch_execnz .LBB3_4
; %bb.5:
	s_or_b32 exec_lo, exec_lo, s0
.LBB3_6:
	s_delay_alu instid0(SALU_CYCLE_1)
	s_or_b32 exec_lo, exec_lo, s8
	v_mov_b32_e32 v3, 0
	global_store_b64 v3, v[1:2], s[2:3]
.LBB3_7:
	s_wait_alu 0xfffe
	s_or_b32 exec_lo, exec_lo, s7
.LBB3_8:
	s_delay_alu instid0(SALU_CYCLE_1)
	s_mov_b32 s0, exec_lo
	v_cmpx_gt_u32_e64 s6, v0
	s_cbranch_execz .LBB3_10
; %bb.9:
	v_dual_mov_b32 v2, 0 :: v_dual_add_nc_u32 v1, 32, v0
	s_delay_alu instid0(VALU_DEP_1) | instskip(SKIP_2) | instid1(VALU_DEP_3)
	v_lshlrev_b64_e32 v[4:5], 4, v[1:2]
	v_mov_b32_e32 v1, v2
	v_mov_b32_e32 v3, v2
	v_add_co_u32 v6, vcc_lo, s4, v4
	s_delay_alu instid0(VALU_DEP_1)
	v_add_co_ci_u32_e64 v7, null, s5, v5, vcc_lo
	v_mov_b32_e32 v4, v2
	global_store_b128 v[6:7], v[1:4], off
.LBB3_10:
	s_wait_alu 0xfffe
	s_or_b32 exec_lo, exec_lo, s0
	s_delay_alu instid0(SALU_CYCLE_1)
	s_mov_b32 s0, exec_lo
	v_cmpx_gt_u32_e32 32, v0
	s_cbranch_execz .LBB3_12
; %bb.11:
	v_dual_mov_b32 v1, 0 :: v_dual_mov_b32 v2, 0xff
	s_delay_alu instid0(VALU_DEP_1) | instskip(SKIP_1) | instid1(VALU_DEP_2)
	v_lshlrev_b64_e32 v[3:4], 4, v[0:1]
	v_mov_b32_e32 v0, v1
	v_add_co_u32 v5, vcc_lo, s4, v3
	s_wait_alu 0xfffd
	s_delay_alu instid0(VALU_DEP_3)
	v_add_co_ci_u32_e64 v6, null, s5, v4, vcc_lo
	v_mov_b32_e32 v3, v1
	global_store_b128 v[5:6], v[0:3], off
.LBB3_12:
	s_endpgm
	.section	.rodata,"a",@progbits
	.p2align	6, 0x0
	.amdhsa_kernel _ZN7rocprim17ROCPRIM_400000_NS6detail31init_lookback_scan_state_kernelINS1_19lookback_scan_stateI15HIP_vector_typeIjLj2EELb0ELb1EEENS1_16block_id_wrapperIjLb0EEEEEvT_jT0_jPNS9_10value_typeE
		.amdhsa_group_segment_fixed_size 0
		.amdhsa_private_segment_fixed_size 0
		.amdhsa_kernarg_size 288
		.amdhsa_user_sgpr_count 2
		.amdhsa_user_sgpr_dispatch_ptr 0
		.amdhsa_user_sgpr_queue_ptr 0
		.amdhsa_user_sgpr_kernarg_segment_ptr 1
		.amdhsa_user_sgpr_dispatch_id 0
		.amdhsa_user_sgpr_private_segment_size 0
		.amdhsa_wavefront_size32 1
		.amdhsa_uses_dynamic_stack 0
		.amdhsa_enable_private_segment 0
		.amdhsa_system_sgpr_workgroup_id_x 1
		.amdhsa_system_sgpr_workgroup_id_y 0
		.amdhsa_system_sgpr_workgroup_id_z 0
		.amdhsa_system_sgpr_workgroup_info 0
		.amdhsa_system_vgpr_workitem_id 0
		.amdhsa_next_free_vgpr 8
		.amdhsa_next_free_sgpr 9
		.amdhsa_reserve_vcc 1
		.amdhsa_float_round_mode_32 0
		.amdhsa_float_round_mode_16_64 0
		.amdhsa_float_denorm_mode_32 3
		.amdhsa_float_denorm_mode_16_64 3
		.amdhsa_fp16_overflow 0
		.amdhsa_workgroup_processor_mode 1
		.amdhsa_memory_ordered 1
		.amdhsa_forward_progress 1
		.amdhsa_inst_pref_size 4
		.amdhsa_round_robin_scheduling 0
		.amdhsa_exception_fp_ieee_invalid_op 0
		.amdhsa_exception_fp_denorm_src 0
		.amdhsa_exception_fp_ieee_div_zero 0
		.amdhsa_exception_fp_ieee_overflow 0
		.amdhsa_exception_fp_ieee_underflow 0
		.amdhsa_exception_fp_ieee_inexact 0
		.amdhsa_exception_int_div_zero 0
	.end_amdhsa_kernel
	.section	.text._ZN7rocprim17ROCPRIM_400000_NS6detail31init_lookback_scan_state_kernelINS1_19lookback_scan_stateI15HIP_vector_typeIjLj2EELb0ELb1EEENS1_16block_id_wrapperIjLb0EEEEEvT_jT0_jPNS9_10value_typeE,"axG",@progbits,_ZN7rocprim17ROCPRIM_400000_NS6detail31init_lookback_scan_state_kernelINS1_19lookback_scan_stateI15HIP_vector_typeIjLj2EELb0ELb1EEENS1_16block_id_wrapperIjLb0EEEEEvT_jT0_jPNS9_10value_typeE,comdat
.Lfunc_end3:
	.size	_ZN7rocprim17ROCPRIM_400000_NS6detail31init_lookback_scan_state_kernelINS1_19lookback_scan_stateI15HIP_vector_typeIjLj2EELb0ELb1EEENS1_16block_id_wrapperIjLb0EEEEEvT_jT0_jPNS9_10value_typeE, .Lfunc_end3-_ZN7rocprim17ROCPRIM_400000_NS6detail31init_lookback_scan_state_kernelINS1_19lookback_scan_stateI15HIP_vector_typeIjLj2EELb0ELb1EEENS1_16block_id_wrapperIjLb0EEEEEvT_jT0_jPNS9_10value_typeE
                                        ; -- End function
	.set _ZN7rocprim17ROCPRIM_400000_NS6detail31init_lookback_scan_state_kernelINS1_19lookback_scan_stateI15HIP_vector_typeIjLj2EELb0ELb1EEENS1_16block_id_wrapperIjLb0EEEEEvT_jT0_jPNS9_10value_typeE.num_vgpr, 8
	.set _ZN7rocprim17ROCPRIM_400000_NS6detail31init_lookback_scan_state_kernelINS1_19lookback_scan_stateI15HIP_vector_typeIjLj2EELb0ELb1EEENS1_16block_id_wrapperIjLb0EEEEEvT_jT0_jPNS9_10value_typeE.num_agpr, 0
	.set _ZN7rocprim17ROCPRIM_400000_NS6detail31init_lookback_scan_state_kernelINS1_19lookback_scan_stateI15HIP_vector_typeIjLj2EELb0ELb1EEENS1_16block_id_wrapperIjLb0EEEEEvT_jT0_jPNS9_10value_typeE.numbered_sgpr, 9
	.set _ZN7rocprim17ROCPRIM_400000_NS6detail31init_lookback_scan_state_kernelINS1_19lookback_scan_stateI15HIP_vector_typeIjLj2EELb0ELb1EEENS1_16block_id_wrapperIjLb0EEEEEvT_jT0_jPNS9_10value_typeE.num_named_barrier, 0
	.set _ZN7rocprim17ROCPRIM_400000_NS6detail31init_lookback_scan_state_kernelINS1_19lookback_scan_stateI15HIP_vector_typeIjLj2EELb0ELb1EEENS1_16block_id_wrapperIjLb0EEEEEvT_jT0_jPNS9_10value_typeE.private_seg_size, 0
	.set _ZN7rocprim17ROCPRIM_400000_NS6detail31init_lookback_scan_state_kernelINS1_19lookback_scan_stateI15HIP_vector_typeIjLj2EELb0ELb1EEENS1_16block_id_wrapperIjLb0EEEEEvT_jT0_jPNS9_10value_typeE.uses_vcc, 1
	.set _ZN7rocprim17ROCPRIM_400000_NS6detail31init_lookback_scan_state_kernelINS1_19lookback_scan_stateI15HIP_vector_typeIjLj2EELb0ELb1EEENS1_16block_id_wrapperIjLb0EEEEEvT_jT0_jPNS9_10value_typeE.uses_flat_scratch, 0
	.set _ZN7rocprim17ROCPRIM_400000_NS6detail31init_lookback_scan_state_kernelINS1_19lookback_scan_stateI15HIP_vector_typeIjLj2EELb0ELb1EEENS1_16block_id_wrapperIjLb0EEEEEvT_jT0_jPNS9_10value_typeE.has_dyn_sized_stack, 0
	.set _ZN7rocprim17ROCPRIM_400000_NS6detail31init_lookback_scan_state_kernelINS1_19lookback_scan_stateI15HIP_vector_typeIjLj2EELb0ELb1EEENS1_16block_id_wrapperIjLb0EEEEEvT_jT0_jPNS9_10value_typeE.has_recursion, 0
	.set _ZN7rocprim17ROCPRIM_400000_NS6detail31init_lookback_scan_state_kernelINS1_19lookback_scan_stateI15HIP_vector_typeIjLj2EELb0ELb1EEENS1_16block_id_wrapperIjLb0EEEEEvT_jT0_jPNS9_10value_typeE.has_indirect_call, 0
	.section	.AMDGPU.csdata,"",@progbits
; Kernel info:
; codeLenInByte = 412
; TotalNumSgprs: 11
; NumVgprs: 8
; ScratchSize: 0
; MemoryBound: 0
; FloatMode: 240
; IeeeMode: 1
; LDSByteSize: 0 bytes/workgroup (compile time only)
; SGPRBlocks: 0
; VGPRBlocks: 0
; NumSGPRsForWavesPerEU: 11
; NumVGPRsForWavesPerEU: 8
; Occupancy: 16
; WaveLimiterHint : 0
; COMPUTE_PGM_RSRC2:SCRATCH_EN: 0
; COMPUTE_PGM_RSRC2:USER_SGPR: 2
; COMPUTE_PGM_RSRC2:TRAP_HANDLER: 0
; COMPUTE_PGM_RSRC2:TGID_X_EN: 1
; COMPUTE_PGM_RSRC2:TGID_Y_EN: 0
; COMPUTE_PGM_RSRC2:TGID_Z_EN: 0
; COMPUTE_PGM_RSRC2:TIDIG_COMP_CNT: 0
	.section	.text._ZN7rocprim17ROCPRIM_400000_NS6detail17trampoline_kernelINS0_13select_configILj256ELj13ELNS0_17block_load_methodE3ELS4_3ELS4_3ELNS0_20block_scan_algorithmE0ELj4294967295EEENS1_25partition_config_selectorILNS1_17partition_subalgoE4EjNS0_10empty_typeEbEEZZNS1_14partition_implILS8_4ELb0ES6_15HIP_vector_typeIjLj2EENS0_17counting_iteratorIjlEEPS9_SG_NS0_5tupleIJPjSI_NS0_16reverse_iteratorISI_EEEEENSH_IJSG_SG_SG_EEES9_SI_JZNS1_25segmented_radix_sort_implINS0_14default_configELb1EPKhPhPKlPlN2at6native12_GLOBAL__N_18offset_tEEE10hipError_tPvRmT1_PNSt15iterator_traitsIS12_E10value_typeET2_T3_PNS13_IS18_E10value_typeET4_jRbjT5_S1E_jjP12ihipStream_tbEUljE_ZNSN_ISO_Lb1ESQ_SR_ST_SU_SY_EESZ_S10_S11_S12_S16_S17_S18_S1B_S1C_jS1D_jS1E_S1E_jjS1G_bEUljE0_EEESZ_S10_S11_S18_S1C_S1E_T6_T7_T9_mT8_S1G_bDpT10_ENKUlT_T0_E_clISt17integral_constantIbLb0EES1U_EEDaS1P_S1Q_EUlS1P_E_NS1_11comp_targetILNS1_3genE0ELNS1_11target_archE4294967295ELNS1_3gpuE0ELNS1_3repE0EEENS1_30default_config_static_selectorELNS0_4arch9wavefront6targetE0EEEvS12_,"axG",@progbits,_ZN7rocprim17ROCPRIM_400000_NS6detail17trampoline_kernelINS0_13select_configILj256ELj13ELNS0_17block_load_methodE3ELS4_3ELS4_3ELNS0_20block_scan_algorithmE0ELj4294967295EEENS1_25partition_config_selectorILNS1_17partition_subalgoE4EjNS0_10empty_typeEbEEZZNS1_14partition_implILS8_4ELb0ES6_15HIP_vector_typeIjLj2EENS0_17counting_iteratorIjlEEPS9_SG_NS0_5tupleIJPjSI_NS0_16reverse_iteratorISI_EEEEENSH_IJSG_SG_SG_EEES9_SI_JZNS1_25segmented_radix_sort_implINS0_14default_configELb1EPKhPhPKlPlN2at6native12_GLOBAL__N_18offset_tEEE10hipError_tPvRmT1_PNSt15iterator_traitsIS12_E10value_typeET2_T3_PNS13_IS18_E10value_typeET4_jRbjT5_S1E_jjP12ihipStream_tbEUljE_ZNSN_ISO_Lb1ESQ_SR_ST_SU_SY_EESZ_S10_S11_S12_S16_S17_S18_S1B_S1C_jS1D_jS1E_S1E_jjS1G_bEUljE0_EEESZ_S10_S11_S18_S1C_S1E_T6_T7_T9_mT8_S1G_bDpT10_ENKUlT_T0_E_clISt17integral_constantIbLb0EES1U_EEDaS1P_S1Q_EUlS1P_E_NS1_11comp_targetILNS1_3genE0ELNS1_11target_archE4294967295ELNS1_3gpuE0ELNS1_3repE0EEENS1_30default_config_static_selectorELNS0_4arch9wavefront6targetE0EEEvS12_,comdat
	.globl	_ZN7rocprim17ROCPRIM_400000_NS6detail17trampoline_kernelINS0_13select_configILj256ELj13ELNS0_17block_load_methodE3ELS4_3ELS4_3ELNS0_20block_scan_algorithmE0ELj4294967295EEENS1_25partition_config_selectorILNS1_17partition_subalgoE4EjNS0_10empty_typeEbEEZZNS1_14partition_implILS8_4ELb0ES6_15HIP_vector_typeIjLj2EENS0_17counting_iteratorIjlEEPS9_SG_NS0_5tupleIJPjSI_NS0_16reverse_iteratorISI_EEEEENSH_IJSG_SG_SG_EEES9_SI_JZNS1_25segmented_radix_sort_implINS0_14default_configELb1EPKhPhPKlPlN2at6native12_GLOBAL__N_18offset_tEEE10hipError_tPvRmT1_PNSt15iterator_traitsIS12_E10value_typeET2_T3_PNS13_IS18_E10value_typeET4_jRbjT5_S1E_jjP12ihipStream_tbEUljE_ZNSN_ISO_Lb1ESQ_SR_ST_SU_SY_EESZ_S10_S11_S12_S16_S17_S18_S1B_S1C_jS1D_jS1E_S1E_jjS1G_bEUljE0_EEESZ_S10_S11_S18_S1C_S1E_T6_T7_T9_mT8_S1G_bDpT10_ENKUlT_T0_E_clISt17integral_constantIbLb0EES1U_EEDaS1P_S1Q_EUlS1P_E_NS1_11comp_targetILNS1_3genE0ELNS1_11target_archE4294967295ELNS1_3gpuE0ELNS1_3repE0EEENS1_30default_config_static_selectorELNS0_4arch9wavefront6targetE0EEEvS12_ ; -- Begin function _ZN7rocprim17ROCPRIM_400000_NS6detail17trampoline_kernelINS0_13select_configILj256ELj13ELNS0_17block_load_methodE3ELS4_3ELS4_3ELNS0_20block_scan_algorithmE0ELj4294967295EEENS1_25partition_config_selectorILNS1_17partition_subalgoE4EjNS0_10empty_typeEbEEZZNS1_14partition_implILS8_4ELb0ES6_15HIP_vector_typeIjLj2EENS0_17counting_iteratorIjlEEPS9_SG_NS0_5tupleIJPjSI_NS0_16reverse_iteratorISI_EEEEENSH_IJSG_SG_SG_EEES9_SI_JZNS1_25segmented_radix_sort_implINS0_14default_configELb1EPKhPhPKlPlN2at6native12_GLOBAL__N_18offset_tEEE10hipError_tPvRmT1_PNSt15iterator_traitsIS12_E10value_typeET2_T3_PNS13_IS18_E10value_typeET4_jRbjT5_S1E_jjP12ihipStream_tbEUljE_ZNSN_ISO_Lb1ESQ_SR_ST_SU_SY_EESZ_S10_S11_S12_S16_S17_S18_S1B_S1C_jS1D_jS1E_S1E_jjS1G_bEUljE0_EEESZ_S10_S11_S18_S1C_S1E_T6_T7_T9_mT8_S1G_bDpT10_ENKUlT_T0_E_clISt17integral_constantIbLb0EES1U_EEDaS1P_S1Q_EUlS1P_E_NS1_11comp_targetILNS1_3genE0ELNS1_11target_archE4294967295ELNS1_3gpuE0ELNS1_3repE0EEENS1_30default_config_static_selectorELNS0_4arch9wavefront6targetE0EEEvS12_
	.p2align	8
	.type	_ZN7rocprim17ROCPRIM_400000_NS6detail17trampoline_kernelINS0_13select_configILj256ELj13ELNS0_17block_load_methodE3ELS4_3ELS4_3ELNS0_20block_scan_algorithmE0ELj4294967295EEENS1_25partition_config_selectorILNS1_17partition_subalgoE4EjNS0_10empty_typeEbEEZZNS1_14partition_implILS8_4ELb0ES6_15HIP_vector_typeIjLj2EENS0_17counting_iteratorIjlEEPS9_SG_NS0_5tupleIJPjSI_NS0_16reverse_iteratorISI_EEEEENSH_IJSG_SG_SG_EEES9_SI_JZNS1_25segmented_radix_sort_implINS0_14default_configELb1EPKhPhPKlPlN2at6native12_GLOBAL__N_18offset_tEEE10hipError_tPvRmT1_PNSt15iterator_traitsIS12_E10value_typeET2_T3_PNS13_IS18_E10value_typeET4_jRbjT5_S1E_jjP12ihipStream_tbEUljE_ZNSN_ISO_Lb1ESQ_SR_ST_SU_SY_EESZ_S10_S11_S12_S16_S17_S18_S1B_S1C_jS1D_jS1E_S1E_jjS1G_bEUljE0_EEESZ_S10_S11_S18_S1C_S1E_T6_T7_T9_mT8_S1G_bDpT10_ENKUlT_T0_E_clISt17integral_constantIbLb0EES1U_EEDaS1P_S1Q_EUlS1P_E_NS1_11comp_targetILNS1_3genE0ELNS1_11target_archE4294967295ELNS1_3gpuE0ELNS1_3repE0EEENS1_30default_config_static_selectorELNS0_4arch9wavefront6targetE0EEEvS12_,@function
_ZN7rocprim17ROCPRIM_400000_NS6detail17trampoline_kernelINS0_13select_configILj256ELj13ELNS0_17block_load_methodE3ELS4_3ELS4_3ELNS0_20block_scan_algorithmE0ELj4294967295EEENS1_25partition_config_selectorILNS1_17partition_subalgoE4EjNS0_10empty_typeEbEEZZNS1_14partition_implILS8_4ELb0ES6_15HIP_vector_typeIjLj2EENS0_17counting_iteratorIjlEEPS9_SG_NS0_5tupleIJPjSI_NS0_16reverse_iteratorISI_EEEEENSH_IJSG_SG_SG_EEES9_SI_JZNS1_25segmented_radix_sort_implINS0_14default_configELb1EPKhPhPKlPlN2at6native12_GLOBAL__N_18offset_tEEE10hipError_tPvRmT1_PNSt15iterator_traitsIS12_E10value_typeET2_T3_PNS13_IS18_E10value_typeET4_jRbjT5_S1E_jjP12ihipStream_tbEUljE_ZNSN_ISO_Lb1ESQ_SR_ST_SU_SY_EESZ_S10_S11_S12_S16_S17_S18_S1B_S1C_jS1D_jS1E_S1E_jjS1G_bEUljE0_EEESZ_S10_S11_S18_S1C_S1E_T6_T7_T9_mT8_S1G_bDpT10_ENKUlT_T0_E_clISt17integral_constantIbLb0EES1U_EEDaS1P_S1Q_EUlS1P_E_NS1_11comp_targetILNS1_3genE0ELNS1_11target_archE4294967295ELNS1_3gpuE0ELNS1_3repE0EEENS1_30default_config_static_selectorELNS0_4arch9wavefront6targetE0EEEvS12_: ; @_ZN7rocprim17ROCPRIM_400000_NS6detail17trampoline_kernelINS0_13select_configILj256ELj13ELNS0_17block_load_methodE3ELS4_3ELS4_3ELNS0_20block_scan_algorithmE0ELj4294967295EEENS1_25partition_config_selectorILNS1_17partition_subalgoE4EjNS0_10empty_typeEbEEZZNS1_14partition_implILS8_4ELb0ES6_15HIP_vector_typeIjLj2EENS0_17counting_iteratorIjlEEPS9_SG_NS0_5tupleIJPjSI_NS0_16reverse_iteratorISI_EEEEENSH_IJSG_SG_SG_EEES9_SI_JZNS1_25segmented_radix_sort_implINS0_14default_configELb1EPKhPhPKlPlN2at6native12_GLOBAL__N_18offset_tEEE10hipError_tPvRmT1_PNSt15iterator_traitsIS12_E10value_typeET2_T3_PNS13_IS18_E10value_typeET4_jRbjT5_S1E_jjP12ihipStream_tbEUljE_ZNSN_ISO_Lb1ESQ_SR_ST_SU_SY_EESZ_S10_S11_S12_S16_S17_S18_S1B_S1C_jS1D_jS1E_S1E_jjS1G_bEUljE0_EEESZ_S10_S11_S18_S1C_S1E_T6_T7_T9_mT8_S1G_bDpT10_ENKUlT_T0_E_clISt17integral_constantIbLb0EES1U_EEDaS1P_S1Q_EUlS1P_E_NS1_11comp_targetILNS1_3genE0ELNS1_11target_archE4294967295ELNS1_3gpuE0ELNS1_3repE0EEENS1_30default_config_static_selectorELNS0_4arch9wavefront6targetE0EEEvS12_
; %bb.0:
	.section	.rodata,"a",@progbits
	.p2align	6, 0x0
	.amdhsa_kernel _ZN7rocprim17ROCPRIM_400000_NS6detail17trampoline_kernelINS0_13select_configILj256ELj13ELNS0_17block_load_methodE3ELS4_3ELS4_3ELNS0_20block_scan_algorithmE0ELj4294967295EEENS1_25partition_config_selectorILNS1_17partition_subalgoE4EjNS0_10empty_typeEbEEZZNS1_14partition_implILS8_4ELb0ES6_15HIP_vector_typeIjLj2EENS0_17counting_iteratorIjlEEPS9_SG_NS0_5tupleIJPjSI_NS0_16reverse_iteratorISI_EEEEENSH_IJSG_SG_SG_EEES9_SI_JZNS1_25segmented_radix_sort_implINS0_14default_configELb1EPKhPhPKlPlN2at6native12_GLOBAL__N_18offset_tEEE10hipError_tPvRmT1_PNSt15iterator_traitsIS12_E10value_typeET2_T3_PNS13_IS18_E10value_typeET4_jRbjT5_S1E_jjP12ihipStream_tbEUljE_ZNSN_ISO_Lb1ESQ_SR_ST_SU_SY_EESZ_S10_S11_S12_S16_S17_S18_S1B_S1C_jS1D_jS1E_S1E_jjS1G_bEUljE0_EEESZ_S10_S11_S18_S1C_S1E_T6_T7_T9_mT8_S1G_bDpT10_ENKUlT_T0_E_clISt17integral_constantIbLb0EES1U_EEDaS1P_S1Q_EUlS1P_E_NS1_11comp_targetILNS1_3genE0ELNS1_11target_archE4294967295ELNS1_3gpuE0ELNS1_3repE0EEENS1_30default_config_static_selectorELNS0_4arch9wavefront6targetE0EEEvS12_
		.amdhsa_group_segment_fixed_size 0
		.amdhsa_private_segment_fixed_size 0
		.amdhsa_kernarg_size 176
		.amdhsa_user_sgpr_count 2
		.amdhsa_user_sgpr_dispatch_ptr 0
		.amdhsa_user_sgpr_queue_ptr 0
		.amdhsa_user_sgpr_kernarg_segment_ptr 1
		.amdhsa_user_sgpr_dispatch_id 0
		.amdhsa_user_sgpr_private_segment_size 0
		.amdhsa_wavefront_size32 1
		.amdhsa_uses_dynamic_stack 0
		.amdhsa_enable_private_segment 0
		.amdhsa_system_sgpr_workgroup_id_x 1
		.amdhsa_system_sgpr_workgroup_id_y 0
		.amdhsa_system_sgpr_workgroup_id_z 0
		.amdhsa_system_sgpr_workgroup_info 0
		.amdhsa_system_vgpr_workitem_id 0
		.amdhsa_next_free_vgpr 1
		.amdhsa_next_free_sgpr 1
		.amdhsa_reserve_vcc 0
		.amdhsa_float_round_mode_32 0
		.amdhsa_float_round_mode_16_64 0
		.amdhsa_float_denorm_mode_32 3
		.amdhsa_float_denorm_mode_16_64 3
		.amdhsa_fp16_overflow 0
		.amdhsa_workgroup_processor_mode 1
		.amdhsa_memory_ordered 1
		.amdhsa_forward_progress 1
		.amdhsa_inst_pref_size 0
		.amdhsa_round_robin_scheduling 0
		.amdhsa_exception_fp_ieee_invalid_op 0
		.amdhsa_exception_fp_denorm_src 0
		.amdhsa_exception_fp_ieee_div_zero 0
		.amdhsa_exception_fp_ieee_overflow 0
		.amdhsa_exception_fp_ieee_underflow 0
		.amdhsa_exception_fp_ieee_inexact 0
		.amdhsa_exception_int_div_zero 0
	.end_amdhsa_kernel
	.section	.text._ZN7rocprim17ROCPRIM_400000_NS6detail17trampoline_kernelINS0_13select_configILj256ELj13ELNS0_17block_load_methodE3ELS4_3ELS4_3ELNS0_20block_scan_algorithmE0ELj4294967295EEENS1_25partition_config_selectorILNS1_17partition_subalgoE4EjNS0_10empty_typeEbEEZZNS1_14partition_implILS8_4ELb0ES6_15HIP_vector_typeIjLj2EENS0_17counting_iteratorIjlEEPS9_SG_NS0_5tupleIJPjSI_NS0_16reverse_iteratorISI_EEEEENSH_IJSG_SG_SG_EEES9_SI_JZNS1_25segmented_radix_sort_implINS0_14default_configELb1EPKhPhPKlPlN2at6native12_GLOBAL__N_18offset_tEEE10hipError_tPvRmT1_PNSt15iterator_traitsIS12_E10value_typeET2_T3_PNS13_IS18_E10value_typeET4_jRbjT5_S1E_jjP12ihipStream_tbEUljE_ZNSN_ISO_Lb1ESQ_SR_ST_SU_SY_EESZ_S10_S11_S12_S16_S17_S18_S1B_S1C_jS1D_jS1E_S1E_jjS1G_bEUljE0_EEESZ_S10_S11_S18_S1C_S1E_T6_T7_T9_mT8_S1G_bDpT10_ENKUlT_T0_E_clISt17integral_constantIbLb0EES1U_EEDaS1P_S1Q_EUlS1P_E_NS1_11comp_targetILNS1_3genE0ELNS1_11target_archE4294967295ELNS1_3gpuE0ELNS1_3repE0EEENS1_30default_config_static_selectorELNS0_4arch9wavefront6targetE0EEEvS12_,"axG",@progbits,_ZN7rocprim17ROCPRIM_400000_NS6detail17trampoline_kernelINS0_13select_configILj256ELj13ELNS0_17block_load_methodE3ELS4_3ELS4_3ELNS0_20block_scan_algorithmE0ELj4294967295EEENS1_25partition_config_selectorILNS1_17partition_subalgoE4EjNS0_10empty_typeEbEEZZNS1_14partition_implILS8_4ELb0ES6_15HIP_vector_typeIjLj2EENS0_17counting_iteratorIjlEEPS9_SG_NS0_5tupleIJPjSI_NS0_16reverse_iteratorISI_EEEEENSH_IJSG_SG_SG_EEES9_SI_JZNS1_25segmented_radix_sort_implINS0_14default_configELb1EPKhPhPKlPlN2at6native12_GLOBAL__N_18offset_tEEE10hipError_tPvRmT1_PNSt15iterator_traitsIS12_E10value_typeET2_T3_PNS13_IS18_E10value_typeET4_jRbjT5_S1E_jjP12ihipStream_tbEUljE_ZNSN_ISO_Lb1ESQ_SR_ST_SU_SY_EESZ_S10_S11_S12_S16_S17_S18_S1B_S1C_jS1D_jS1E_S1E_jjS1G_bEUljE0_EEESZ_S10_S11_S18_S1C_S1E_T6_T7_T9_mT8_S1G_bDpT10_ENKUlT_T0_E_clISt17integral_constantIbLb0EES1U_EEDaS1P_S1Q_EUlS1P_E_NS1_11comp_targetILNS1_3genE0ELNS1_11target_archE4294967295ELNS1_3gpuE0ELNS1_3repE0EEENS1_30default_config_static_selectorELNS0_4arch9wavefront6targetE0EEEvS12_,comdat
.Lfunc_end4:
	.size	_ZN7rocprim17ROCPRIM_400000_NS6detail17trampoline_kernelINS0_13select_configILj256ELj13ELNS0_17block_load_methodE3ELS4_3ELS4_3ELNS0_20block_scan_algorithmE0ELj4294967295EEENS1_25partition_config_selectorILNS1_17partition_subalgoE4EjNS0_10empty_typeEbEEZZNS1_14partition_implILS8_4ELb0ES6_15HIP_vector_typeIjLj2EENS0_17counting_iteratorIjlEEPS9_SG_NS0_5tupleIJPjSI_NS0_16reverse_iteratorISI_EEEEENSH_IJSG_SG_SG_EEES9_SI_JZNS1_25segmented_radix_sort_implINS0_14default_configELb1EPKhPhPKlPlN2at6native12_GLOBAL__N_18offset_tEEE10hipError_tPvRmT1_PNSt15iterator_traitsIS12_E10value_typeET2_T3_PNS13_IS18_E10value_typeET4_jRbjT5_S1E_jjP12ihipStream_tbEUljE_ZNSN_ISO_Lb1ESQ_SR_ST_SU_SY_EESZ_S10_S11_S12_S16_S17_S18_S1B_S1C_jS1D_jS1E_S1E_jjS1G_bEUljE0_EEESZ_S10_S11_S18_S1C_S1E_T6_T7_T9_mT8_S1G_bDpT10_ENKUlT_T0_E_clISt17integral_constantIbLb0EES1U_EEDaS1P_S1Q_EUlS1P_E_NS1_11comp_targetILNS1_3genE0ELNS1_11target_archE4294967295ELNS1_3gpuE0ELNS1_3repE0EEENS1_30default_config_static_selectorELNS0_4arch9wavefront6targetE0EEEvS12_, .Lfunc_end4-_ZN7rocprim17ROCPRIM_400000_NS6detail17trampoline_kernelINS0_13select_configILj256ELj13ELNS0_17block_load_methodE3ELS4_3ELS4_3ELNS0_20block_scan_algorithmE0ELj4294967295EEENS1_25partition_config_selectorILNS1_17partition_subalgoE4EjNS0_10empty_typeEbEEZZNS1_14partition_implILS8_4ELb0ES6_15HIP_vector_typeIjLj2EENS0_17counting_iteratorIjlEEPS9_SG_NS0_5tupleIJPjSI_NS0_16reverse_iteratorISI_EEEEENSH_IJSG_SG_SG_EEES9_SI_JZNS1_25segmented_radix_sort_implINS0_14default_configELb1EPKhPhPKlPlN2at6native12_GLOBAL__N_18offset_tEEE10hipError_tPvRmT1_PNSt15iterator_traitsIS12_E10value_typeET2_T3_PNS13_IS18_E10value_typeET4_jRbjT5_S1E_jjP12ihipStream_tbEUljE_ZNSN_ISO_Lb1ESQ_SR_ST_SU_SY_EESZ_S10_S11_S12_S16_S17_S18_S1B_S1C_jS1D_jS1E_S1E_jjS1G_bEUljE0_EEESZ_S10_S11_S18_S1C_S1E_T6_T7_T9_mT8_S1G_bDpT10_ENKUlT_T0_E_clISt17integral_constantIbLb0EES1U_EEDaS1P_S1Q_EUlS1P_E_NS1_11comp_targetILNS1_3genE0ELNS1_11target_archE4294967295ELNS1_3gpuE0ELNS1_3repE0EEENS1_30default_config_static_selectorELNS0_4arch9wavefront6targetE0EEEvS12_
                                        ; -- End function
	.set _ZN7rocprim17ROCPRIM_400000_NS6detail17trampoline_kernelINS0_13select_configILj256ELj13ELNS0_17block_load_methodE3ELS4_3ELS4_3ELNS0_20block_scan_algorithmE0ELj4294967295EEENS1_25partition_config_selectorILNS1_17partition_subalgoE4EjNS0_10empty_typeEbEEZZNS1_14partition_implILS8_4ELb0ES6_15HIP_vector_typeIjLj2EENS0_17counting_iteratorIjlEEPS9_SG_NS0_5tupleIJPjSI_NS0_16reverse_iteratorISI_EEEEENSH_IJSG_SG_SG_EEES9_SI_JZNS1_25segmented_radix_sort_implINS0_14default_configELb1EPKhPhPKlPlN2at6native12_GLOBAL__N_18offset_tEEE10hipError_tPvRmT1_PNSt15iterator_traitsIS12_E10value_typeET2_T3_PNS13_IS18_E10value_typeET4_jRbjT5_S1E_jjP12ihipStream_tbEUljE_ZNSN_ISO_Lb1ESQ_SR_ST_SU_SY_EESZ_S10_S11_S12_S16_S17_S18_S1B_S1C_jS1D_jS1E_S1E_jjS1G_bEUljE0_EEESZ_S10_S11_S18_S1C_S1E_T6_T7_T9_mT8_S1G_bDpT10_ENKUlT_T0_E_clISt17integral_constantIbLb0EES1U_EEDaS1P_S1Q_EUlS1P_E_NS1_11comp_targetILNS1_3genE0ELNS1_11target_archE4294967295ELNS1_3gpuE0ELNS1_3repE0EEENS1_30default_config_static_selectorELNS0_4arch9wavefront6targetE0EEEvS12_.num_vgpr, 0
	.set _ZN7rocprim17ROCPRIM_400000_NS6detail17trampoline_kernelINS0_13select_configILj256ELj13ELNS0_17block_load_methodE3ELS4_3ELS4_3ELNS0_20block_scan_algorithmE0ELj4294967295EEENS1_25partition_config_selectorILNS1_17partition_subalgoE4EjNS0_10empty_typeEbEEZZNS1_14partition_implILS8_4ELb0ES6_15HIP_vector_typeIjLj2EENS0_17counting_iteratorIjlEEPS9_SG_NS0_5tupleIJPjSI_NS0_16reverse_iteratorISI_EEEEENSH_IJSG_SG_SG_EEES9_SI_JZNS1_25segmented_radix_sort_implINS0_14default_configELb1EPKhPhPKlPlN2at6native12_GLOBAL__N_18offset_tEEE10hipError_tPvRmT1_PNSt15iterator_traitsIS12_E10value_typeET2_T3_PNS13_IS18_E10value_typeET4_jRbjT5_S1E_jjP12ihipStream_tbEUljE_ZNSN_ISO_Lb1ESQ_SR_ST_SU_SY_EESZ_S10_S11_S12_S16_S17_S18_S1B_S1C_jS1D_jS1E_S1E_jjS1G_bEUljE0_EEESZ_S10_S11_S18_S1C_S1E_T6_T7_T9_mT8_S1G_bDpT10_ENKUlT_T0_E_clISt17integral_constantIbLb0EES1U_EEDaS1P_S1Q_EUlS1P_E_NS1_11comp_targetILNS1_3genE0ELNS1_11target_archE4294967295ELNS1_3gpuE0ELNS1_3repE0EEENS1_30default_config_static_selectorELNS0_4arch9wavefront6targetE0EEEvS12_.num_agpr, 0
	.set _ZN7rocprim17ROCPRIM_400000_NS6detail17trampoline_kernelINS0_13select_configILj256ELj13ELNS0_17block_load_methodE3ELS4_3ELS4_3ELNS0_20block_scan_algorithmE0ELj4294967295EEENS1_25partition_config_selectorILNS1_17partition_subalgoE4EjNS0_10empty_typeEbEEZZNS1_14partition_implILS8_4ELb0ES6_15HIP_vector_typeIjLj2EENS0_17counting_iteratorIjlEEPS9_SG_NS0_5tupleIJPjSI_NS0_16reverse_iteratorISI_EEEEENSH_IJSG_SG_SG_EEES9_SI_JZNS1_25segmented_radix_sort_implINS0_14default_configELb1EPKhPhPKlPlN2at6native12_GLOBAL__N_18offset_tEEE10hipError_tPvRmT1_PNSt15iterator_traitsIS12_E10value_typeET2_T3_PNS13_IS18_E10value_typeET4_jRbjT5_S1E_jjP12ihipStream_tbEUljE_ZNSN_ISO_Lb1ESQ_SR_ST_SU_SY_EESZ_S10_S11_S12_S16_S17_S18_S1B_S1C_jS1D_jS1E_S1E_jjS1G_bEUljE0_EEESZ_S10_S11_S18_S1C_S1E_T6_T7_T9_mT8_S1G_bDpT10_ENKUlT_T0_E_clISt17integral_constantIbLb0EES1U_EEDaS1P_S1Q_EUlS1P_E_NS1_11comp_targetILNS1_3genE0ELNS1_11target_archE4294967295ELNS1_3gpuE0ELNS1_3repE0EEENS1_30default_config_static_selectorELNS0_4arch9wavefront6targetE0EEEvS12_.numbered_sgpr, 0
	.set _ZN7rocprim17ROCPRIM_400000_NS6detail17trampoline_kernelINS0_13select_configILj256ELj13ELNS0_17block_load_methodE3ELS4_3ELS4_3ELNS0_20block_scan_algorithmE0ELj4294967295EEENS1_25partition_config_selectorILNS1_17partition_subalgoE4EjNS0_10empty_typeEbEEZZNS1_14partition_implILS8_4ELb0ES6_15HIP_vector_typeIjLj2EENS0_17counting_iteratorIjlEEPS9_SG_NS0_5tupleIJPjSI_NS0_16reverse_iteratorISI_EEEEENSH_IJSG_SG_SG_EEES9_SI_JZNS1_25segmented_radix_sort_implINS0_14default_configELb1EPKhPhPKlPlN2at6native12_GLOBAL__N_18offset_tEEE10hipError_tPvRmT1_PNSt15iterator_traitsIS12_E10value_typeET2_T3_PNS13_IS18_E10value_typeET4_jRbjT5_S1E_jjP12ihipStream_tbEUljE_ZNSN_ISO_Lb1ESQ_SR_ST_SU_SY_EESZ_S10_S11_S12_S16_S17_S18_S1B_S1C_jS1D_jS1E_S1E_jjS1G_bEUljE0_EEESZ_S10_S11_S18_S1C_S1E_T6_T7_T9_mT8_S1G_bDpT10_ENKUlT_T0_E_clISt17integral_constantIbLb0EES1U_EEDaS1P_S1Q_EUlS1P_E_NS1_11comp_targetILNS1_3genE0ELNS1_11target_archE4294967295ELNS1_3gpuE0ELNS1_3repE0EEENS1_30default_config_static_selectorELNS0_4arch9wavefront6targetE0EEEvS12_.num_named_barrier, 0
	.set _ZN7rocprim17ROCPRIM_400000_NS6detail17trampoline_kernelINS0_13select_configILj256ELj13ELNS0_17block_load_methodE3ELS4_3ELS4_3ELNS0_20block_scan_algorithmE0ELj4294967295EEENS1_25partition_config_selectorILNS1_17partition_subalgoE4EjNS0_10empty_typeEbEEZZNS1_14partition_implILS8_4ELb0ES6_15HIP_vector_typeIjLj2EENS0_17counting_iteratorIjlEEPS9_SG_NS0_5tupleIJPjSI_NS0_16reverse_iteratorISI_EEEEENSH_IJSG_SG_SG_EEES9_SI_JZNS1_25segmented_radix_sort_implINS0_14default_configELb1EPKhPhPKlPlN2at6native12_GLOBAL__N_18offset_tEEE10hipError_tPvRmT1_PNSt15iterator_traitsIS12_E10value_typeET2_T3_PNS13_IS18_E10value_typeET4_jRbjT5_S1E_jjP12ihipStream_tbEUljE_ZNSN_ISO_Lb1ESQ_SR_ST_SU_SY_EESZ_S10_S11_S12_S16_S17_S18_S1B_S1C_jS1D_jS1E_S1E_jjS1G_bEUljE0_EEESZ_S10_S11_S18_S1C_S1E_T6_T7_T9_mT8_S1G_bDpT10_ENKUlT_T0_E_clISt17integral_constantIbLb0EES1U_EEDaS1P_S1Q_EUlS1P_E_NS1_11comp_targetILNS1_3genE0ELNS1_11target_archE4294967295ELNS1_3gpuE0ELNS1_3repE0EEENS1_30default_config_static_selectorELNS0_4arch9wavefront6targetE0EEEvS12_.private_seg_size, 0
	.set _ZN7rocprim17ROCPRIM_400000_NS6detail17trampoline_kernelINS0_13select_configILj256ELj13ELNS0_17block_load_methodE3ELS4_3ELS4_3ELNS0_20block_scan_algorithmE0ELj4294967295EEENS1_25partition_config_selectorILNS1_17partition_subalgoE4EjNS0_10empty_typeEbEEZZNS1_14partition_implILS8_4ELb0ES6_15HIP_vector_typeIjLj2EENS0_17counting_iteratorIjlEEPS9_SG_NS0_5tupleIJPjSI_NS0_16reverse_iteratorISI_EEEEENSH_IJSG_SG_SG_EEES9_SI_JZNS1_25segmented_radix_sort_implINS0_14default_configELb1EPKhPhPKlPlN2at6native12_GLOBAL__N_18offset_tEEE10hipError_tPvRmT1_PNSt15iterator_traitsIS12_E10value_typeET2_T3_PNS13_IS18_E10value_typeET4_jRbjT5_S1E_jjP12ihipStream_tbEUljE_ZNSN_ISO_Lb1ESQ_SR_ST_SU_SY_EESZ_S10_S11_S12_S16_S17_S18_S1B_S1C_jS1D_jS1E_S1E_jjS1G_bEUljE0_EEESZ_S10_S11_S18_S1C_S1E_T6_T7_T9_mT8_S1G_bDpT10_ENKUlT_T0_E_clISt17integral_constantIbLb0EES1U_EEDaS1P_S1Q_EUlS1P_E_NS1_11comp_targetILNS1_3genE0ELNS1_11target_archE4294967295ELNS1_3gpuE0ELNS1_3repE0EEENS1_30default_config_static_selectorELNS0_4arch9wavefront6targetE0EEEvS12_.uses_vcc, 0
	.set _ZN7rocprim17ROCPRIM_400000_NS6detail17trampoline_kernelINS0_13select_configILj256ELj13ELNS0_17block_load_methodE3ELS4_3ELS4_3ELNS0_20block_scan_algorithmE0ELj4294967295EEENS1_25partition_config_selectorILNS1_17partition_subalgoE4EjNS0_10empty_typeEbEEZZNS1_14partition_implILS8_4ELb0ES6_15HIP_vector_typeIjLj2EENS0_17counting_iteratorIjlEEPS9_SG_NS0_5tupleIJPjSI_NS0_16reverse_iteratorISI_EEEEENSH_IJSG_SG_SG_EEES9_SI_JZNS1_25segmented_radix_sort_implINS0_14default_configELb1EPKhPhPKlPlN2at6native12_GLOBAL__N_18offset_tEEE10hipError_tPvRmT1_PNSt15iterator_traitsIS12_E10value_typeET2_T3_PNS13_IS18_E10value_typeET4_jRbjT5_S1E_jjP12ihipStream_tbEUljE_ZNSN_ISO_Lb1ESQ_SR_ST_SU_SY_EESZ_S10_S11_S12_S16_S17_S18_S1B_S1C_jS1D_jS1E_S1E_jjS1G_bEUljE0_EEESZ_S10_S11_S18_S1C_S1E_T6_T7_T9_mT8_S1G_bDpT10_ENKUlT_T0_E_clISt17integral_constantIbLb0EES1U_EEDaS1P_S1Q_EUlS1P_E_NS1_11comp_targetILNS1_3genE0ELNS1_11target_archE4294967295ELNS1_3gpuE0ELNS1_3repE0EEENS1_30default_config_static_selectorELNS0_4arch9wavefront6targetE0EEEvS12_.uses_flat_scratch, 0
	.set _ZN7rocprim17ROCPRIM_400000_NS6detail17trampoline_kernelINS0_13select_configILj256ELj13ELNS0_17block_load_methodE3ELS4_3ELS4_3ELNS0_20block_scan_algorithmE0ELj4294967295EEENS1_25partition_config_selectorILNS1_17partition_subalgoE4EjNS0_10empty_typeEbEEZZNS1_14partition_implILS8_4ELb0ES6_15HIP_vector_typeIjLj2EENS0_17counting_iteratorIjlEEPS9_SG_NS0_5tupleIJPjSI_NS0_16reverse_iteratorISI_EEEEENSH_IJSG_SG_SG_EEES9_SI_JZNS1_25segmented_radix_sort_implINS0_14default_configELb1EPKhPhPKlPlN2at6native12_GLOBAL__N_18offset_tEEE10hipError_tPvRmT1_PNSt15iterator_traitsIS12_E10value_typeET2_T3_PNS13_IS18_E10value_typeET4_jRbjT5_S1E_jjP12ihipStream_tbEUljE_ZNSN_ISO_Lb1ESQ_SR_ST_SU_SY_EESZ_S10_S11_S12_S16_S17_S18_S1B_S1C_jS1D_jS1E_S1E_jjS1G_bEUljE0_EEESZ_S10_S11_S18_S1C_S1E_T6_T7_T9_mT8_S1G_bDpT10_ENKUlT_T0_E_clISt17integral_constantIbLb0EES1U_EEDaS1P_S1Q_EUlS1P_E_NS1_11comp_targetILNS1_3genE0ELNS1_11target_archE4294967295ELNS1_3gpuE0ELNS1_3repE0EEENS1_30default_config_static_selectorELNS0_4arch9wavefront6targetE0EEEvS12_.has_dyn_sized_stack, 0
	.set _ZN7rocprim17ROCPRIM_400000_NS6detail17trampoline_kernelINS0_13select_configILj256ELj13ELNS0_17block_load_methodE3ELS4_3ELS4_3ELNS0_20block_scan_algorithmE0ELj4294967295EEENS1_25partition_config_selectorILNS1_17partition_subalgoE4EjNS0_10empty_typeEbEEZZNS1_14partition_implILS8_4ELb0ES6_15HIP_vector_typeIjLj2EENS0_17counting_iteratorIjlEEPS9_SG_NS0_5tupleIJPjSI_NS0_16reverse_iteratorISI_EEEEENSH_IJSG_SG_SG_EEES9_SI_JZNS1_25segmented_radix_sort_implINS0_14default_configELb1EPKhPhPKlPlN2at6native12_GLOBAL__N_18offset_tEEE10hipError_tPvRmT1_PNSt15iterator_traitsIS12_E10value_typeET2_T3_PNS13_IS18_E10value_typeET4_jRbjT5_S1E_jjP12ihipStream_tbEUljE_ZNSN_ISO_Lb1ESQ_SR_ST_SU_SY_EESZ_S10_S11_S12_S16_S17_S18_S1B_S1C_jS1D_jS1E_S1E_jjS1G_bEUljE0_EEESZ_S10_S11_S18_S1C_S1E_T6_T7_T9_mT8_S1G_bDpT10_ENKUlT_T0_E_clISt17integral_constantIbLb0EES1U_EEDaS1P_S1Q_EUlS1P_E_NS1_11comp_targetILNS1_3genE0ELNS1_11target_archE4294967295ELNS1_3gpuE0ELNS1_3repE0EEENS1_30default_config_static_selectorELNS0_4arch9wavefront6targetE0EEEvS12_.has_recursion, 0
	.set _ZN7rocprim17ROCPRIM_400000_NS6detail17trampoline_kernelINS0_13select_configILj256ELj13ELNS0_17block_load_methodE3ELS4_3ELS4_3ELNS0_20block_scan_algorithmE0ELj4294967295EEENS1_25partition_config_selectorILNS1_17partition_subalgoE4EjNS0_10empty_typeEbEEZZNS1_14partition_implILS8_4ELb0ES6_15HIP_vector_typeIjLj2EENS0_17counting_iteratorIjlEEPS9_SG_NS0_5tupleIJPjSI_NS0_16reverse_iteratorISI_EEEEENSH_IJSG_SG_SG_EEES9_SI_JZNS1_25segmented_radix_sort_implINS0_14default_configELb1EPKhPhPKlPlN2at6native12_GLOBAL__N_18offset_tEEE10hipError_tPvRmT1_PNSt15iterator_traitsIS12_E10value_typeET2_T3_PNS13_IS18_E10value_typeET4_jRbjT5_S1E_jjP12ihipStream_tbEUljE_ZNSN_ISO_Lb1ESQ_SR_ST_SU_SY_EESZ_S10_S11_S12_S16_S17_S18_S1B_S1C_jS1D_jS1E_S1E_jjS1G_bEUljE0_EEESZ_S10_S11_S18_S1C_S1E_T6_T7_T9_mT8_S1G_bDpT10_ENKUlT_T0_E_clISt17integral_constantIbLb0EES1U_EEDaS1P_S1Q_EUlS1P_E_NS1_11comp_targetILNS1_3genE0ELNS1_11target_archE4294967295ELNS1_3gpuE0ELNS1_3repE0EEENS1_30default_config_static_selectorELNS0_4arch9wavefront6targetE0EEEvS12_.has_indirect_call, 0
	.section	.AMDGPU.csdata,"",@progbits
; Kernel info:
; codeLenInByte = 0
; TotalNumSgprs: 0
; NumVgprs: 0
; ScratchSize: 0
; MemoryBound: 0
; FloatMode: 240
; IeeeMode: 1
; LDSByteSize: 0 bytes/workgroup (compile time only)
; SGPRBlocks: 0
; VGPRBlocks: 0
; NumSGPRsForWavesPerEU: 1
; NumVGPRsForWavesPerEU: 1
; Occupancy: 16
; WaveLimiterHint : 0
; COMPUTE_PGM_RSRC2:SCRATCH_EN: 0
; COMPUTE_PGM_RSRC2:USER_SGPR: 2
; COMPUTE_PGM_RSRC2:TRAP_HANDLER: 0
; COMPUTE_PGM_RSRC2:TGID_X_EN: 1
; COMPUTE_PGM_RSRC2:TGID_Y_EN: 0
; COMPUTE_PGM_RSRC2:TGID_Z_EN: 0
; COMPUTE_PGM_RSRC2:TIDIG_COMP_CNT: 0
	.section	.text._ZN7rocprim17ROCPRIM_400000_NS6detail17trampoline_kernelINS0_13select_configILj256ELj13ELNS0_17block_load_methodE3ELS4_3ELS4_3ELNS0_20block_scan_algorithmE0ELj4294967295EEENS1_25partition_config_selectorILNS1_17partition_subalgoE4EjNS0_10empty_typeEbEEZZNS1_14partition_implILS8_4ELb0ES6_15HIP_vector_typeIjLj2EENS0_17counting_iteratorIjlEEPS9_SG_NS0_5tupleIJPjSI_NS0_16reverse_iteratorISI_EEEEENSH_IJSG_SG_SG_EEES9_SI_JZNS1_25segmented_radix_sort_implINS0_14default_configELb1EPKhPhPKlPlN2at6native12_GLOBAL__N_18offset_tEEE10hipError_tPvRmT1_PNSt15iterator_traitsIS12_E10value_typeET2_T3_PNS13_IS18_E10value_typeET4_jRbjT5_S1E_jjP12ihipStream_tbEUljE_ZNSN_ISO_Lb1ESQ_SR_ST_SU_SY_EESZ_S10_S11_S12_S16_S17_S18_S1B_S1C_jS1D_jS1E_S1E_jjS1G_bEUljE0_EEESZ_S10_S11_S18_S1C_S1E_T6_T7_T9_mT8_S1G_bDpT10_ENKUlT_T0_E_clISt17integral_constantIbLb0EES1U_EEDaS1P_S1Q_EUlS1P_E_NS1_11comp_targetILNS1_3genE5ELNS1_11target_archE942ELNS1_3gpuE9ELNS1_3repE0EEENS1_30default_config_static_selectorELNS0_4arch9wavefront6targetE0EEEvS12_,"axG",@progbits,_ZN7rocprim17ROCPRIM_400000_NS6detail17trampoline_kernelINS0_13select_configILj256ELj13ELNS0_17block_load_methodE3ELS4_3ELS4_3ELNS0_20block_scan_algorithmE0ELj4294967295EEENS1_25partition_config_selectorILNS1_17partition_subalgoE4EjNS0_10empty_typeEbEEZZNS1_14partition_implILS8_4ELb0ES6_15HIP_vector_typeIjLj2EENS0_17counting_iteratorIjlEEPS9_SG_NS0_5tupleIJPjSI_NS0_16reverse_iteratorISI_EEEEENSH_IJSG_SG_SG_EEES9_SI_JZNS1_25segmented_radix_sort_implINS0_14default_configELb1EPKhPhPKlPlN2at6native12_GLOBAL__N_18offset_tEEE10hipError_tPvRmT1_PNSt15iterator_traitsIS12_E10value_typeET2_T3_PNS13_IS18_E10value_typeET4_jRbjT5_S1E_jjP12ihipStream_tbEUljE_ZNSN_ISO_Lb1ESQ_SR_ST_SU_SY_EESZ_S10_S11_S12_S16_S17_S18_S1B_S1C_jS1D_jS1E_S1E_jjS1G_bEUljE0_EEESZ_S10_S11_S18_S1C_S1E_T6_T7_T9_mT8_S1G_bDpT10_ENKUlT_T0_E_clISt17integral_constantIbLb0EES1U_EEDaS1P_S1Q_EUlS1P_E_NS1_11comp_targetILNS1_3genE5ELNS1_11target_archE942ELNS1_3gpuE9ELNS1_3repE0EEENS1_30default_config_static_selectorELNS0_4arch9wavefront6targetE0EEEvS12_,comdat
	.globl	_ZN7rocprim17ROCPRIM_400000_NS6detail17trampoline_kernelINS0_13select_configILj256ELj13ELNS0_17block_load_methodE3ELS4_3ELS4_3ELNS0_20block_scan_algorithmE0ELj4294967295EEENS1_25partition_config_selectorILNS1_17partition_subalgoE4EjNS0_10empty_typeEbEEZZNS1_14partition_implILS8_4ELb0ES6_15HIP_vector_typeIjLj2EENS0_17counting_iteratorIjlEEPS9_SG_NS0_5tupleIJPjSI_NS0_16reverse_iteratorISI_EEEEENSH_IJSG_SG_SG_EEES9_SI_JZNS1_25segmented_radix_sort_implINS0_14default_configELb1EPKhPhPKlPlN2at6native12_GLOBAL__N_18offset_tEEE10hipError_tPvRmT1_PNSt15iterator_traitsIS12_E10value_typeET2_T3_PNS13_IS18_E10value_typeET4_jRbjT5_S1E_jjP12ihipStream_tbEUljE_ZNSN_ISO_Lb1ESQ_SR_ST_SU_SY_EESZ_S10_S11_S12_S16_S17_S18_S1B_S1C_jS1D_jS1E_S1E_jjS1G_bEUljE0_EEESZ_S10_S11_S18_S1C_S1E_T6_T7_T9_mT8_S1G_bDpT10_ENKUlT_T0_E_clISt17integral_constantIbLb0EES1U_EEDaS1P_S1Q_EUlS1P_E_NS1_11comp_targetILNS1_3genE5ELNS1_11target_archE942ELNS1_3gpuE9ELNS1_3repE0EEENS1_30default_config_static_selectorELNS0_4arch9wavefront6targetE0EEEvS12_ ; -- Begin function _ZN7rocprim17ROCPRIM_400000_NS6detail17trampoline_kernelINS0_13select_configILj256ELj13ELNS0_17block_load_methodE3ELS4_3ELS4_3ELNS0_20block_scan_algorithmE0ELj4294967295EEENS1_25partition_config_selectorILNS1_17partition_subalgoE4EjNS0_10empty_typeEbEEZZNS1_14partition_implILS8_4ELb0ES6_15HIP_vector_typeIjLj2EENS0_17counting_iteratorIjlEEPS9_SG_NS0_5tupleIJPjSI_NS0_16reverse_iteratorISI_EEEEENSH_IJSG_SG_SG_EEES9_SI_JZNS1_25segmented_radix_sort_implINS0_14default_configELb1EPKhPhPKlPlN2at6native12_GLOBAL__N_18offset_tEEE10hipError_tPvRmT1_PNSt15iterator_traitsIS12_E10value_typeET2_T3_PNS13_IS18_E10value_typeET4_jRbjT5_S1E_jjP12ihipStream_tbEUljE_ZNSN_ISO_Lb1ESQ_SR_ST_SU_SY_EESZ_S10_S11_S12_S16_S17_S18_S1B_S1C_jS1D_jS1E_S1E_jjS1G_bEUljE0_EEESZ_S10_S11_S18_S1C_S1E_T6_T7_T9_mT8_S1G_bDpT10_ENKUlT_T0_E_clISt17integral_constantIbLb0EES1U_EEDaS1P_S1Q_EUlS1P_E_NS1_11comp_targetILNS1_3genE5ELNS1_11target_archE942ELNS1_3gpuE9ELNS1_3repE0EEENS1_30default_config_static_selectorELNS0_4arch9wavefront6targetE0EEEvS12_
	.p2align	8
	.type	_ZN7rocprim17ROCPRIM_400000_NS6detail17trampoline_kernelINS0_13select_configILj256ELj13ELNS0_17block_load_methodE3ELS4_3ELS4_3ELNS0_20block_scan_algorithmE0ELj4294967295EEENS1_25partition_config_selectorILNS1_17partition_subalgoE4EjNS0_10empty_typeEbEEZZNS1_14partition_implILS8_4ELb0ES6_15HIP_vector_typeIjLj2EENS0_17counting_iteratorIjlEEPS9_SG_NS0_5tupleIJPjSI_NS0_16reverse_iteratorISI_EEEEENSH_IJSG_SG_SG_EEES9_SI_JZNS1_25segmented_radix_sort_implINS0_14default_configELb1EPKhPhPKlPlN2at6native12_GLOBAL__N_18offset_tEEE10hipError_tPvRmT1_PNSt15iterator_traitsIS12_E10value_typeET2_T3_PNS13_IS18_E10value_typeET4_jRbjT5_S1E_jjP12ihipStream_tbEUljE_ZNSN_ISO_Lb1ESQ_SR_ST_SU_SY_EESZ_S10_S11_S12_S16_S17_S18_S1B_S1C_jS1D_jS1E_S1E_jjS1G_bEUljE0_EEESZ_S10_S11_S18_S1C_S1E_T6_T7_T9_mT8_S1G_bDpT10_ENKUlT_T0_E_clISt17integral_constantIbLb0EES1U_EEDaS1P_S1Q_EUlS1P_E_NS1_11comp_targetILNS1_3genE5ELNS1_11target_archE942ELNS1_3gpuE9ELNS1_3repE0EEENS1_30default_config_static_selectorELNS0_4arch9wavefront6targetE0EEEvS12_,@function
_ZN7rocprim17ROCPRIM_400000_NS6detail17trampoline_kernelINS0_13select_configILj256ELj13ELNS0_17block_load_methodE3ELS4_3ELS4_3ELNS0_20block_scan_algorithmE0ELj4294967295EEENS1_25partition_config_selectorILNS1_17partition_subalgoE4EjNS0_10empty_typeEbEEZZNS1_14partition_implILS8_4ELb0ES6_15HIP_vector_typeIjLj2EENS0_17counting_iteratorIjlEEPS9_SG_NS0_5tupleIJPjSI_NS0_16reverse_iteratorISI_EEEEENSH_IJSG_SG_SG_EEES9_SI_JZNS1_25segmented_radix_sort_implINS0_14default_configELb1EPKhPhPKlPlN2at6native12_GLOBAL__N_18offset_tEEE10hipError_tPvRmT1_PNSt15iterator_traitsIS12_E10value_typeET2_T3_PNS13_IS18_E10value_typeET4_jRbjT5_S1E_jjP12ihipStream_tbEUljE_ZNSN_ISO_Lb1ESQ_SR_ST_SU_SY_EESZ_S10_S11_S12_S16_S17_S18_S1B_S1C_jS1D_jS1E_S1E_jjS1G_bEUljE0_EEESZ_S10_S11_S18_S1C_S1E_T6_T7_T9_mT8_S1G_bDpT10_ENKUlT_T0_E_clISt17integral_constantIbLb0EES1U_EEDaS1P_S1Q_EUlS1P_E_NS1_11comp_targetILNS1_3genE5ELNS1_11target_archE942ELNS1_3gpuE9ELNS1_3repE0EEENS1_30default_config_static_selectorELNS0_4arch9wavefront6targetE0EEEvS12_: ; @_ZN7rocprim17ROCPRIM_400000_NS6detail17trampoline_kernelINS0_13select_configILj256ELj13ELNS0_17block_load_methodE3ELS4_3ELS4_3ELNS0_20block_scan_algorithmE0ELj4294967295EEENS1_25partition_config_selectorILNS1_17partition_subalgoE4EjNS0_10empty_typeEbEEZZNS1_14partition_implILS8_4ELb0ES6_15HIP_vector_typeIjLj2EENS0_17counting_iteratorIjlEEPS9_SG_NS0_5tupleIJPjSI_NS0_16reverse_iteratorISI_EEEEENSH_IJSG_SG_SG_EEES9_SI_JZNS1_25segmented_radix_sort_implINS0_14default_configELb1EPKhPhPKlPlN2at6native12_GLOBAL__N_18offset_tEEE10hipError_tPvRmT1_PNSt15iterator_traitsIS12_E10value_typeET2_T3_PNS13_IS18_E10value_typeET4_jRbjT5_S1E_jjP12ihipStream_tbEUljE_ZNSN_ISO_Lb1ESQ_SR_ST_SU_SY_EESZ_S10_S11_S12_S16_S17_S18_S1B_S1C_jS1D_jS1E_S1E_jjS1G_bEUljE0_EEESZ_S10_S11_S18_S1C_S1E_T6_T7_T9_mT8_S1G_bDpT10_ENKUlT_T0_E_clISt17integral_constantIbLb0EES1U_EEDaS1P_S1Q_EUlS1P_E_NS1_11comp_targetILNS1_3genE5ELNS1_11target_archE942ELNS1_3gpuE9ELNS1_3repE0EEENS1_30default_config_static_selectorELNS0_4arch9wavefront6targetE0EEEvS12_
; %bb.0:
	.section	.rodata,"a",@progbits
	.p2align	6, 0x0
	.amdhsa_kernel _ZN7rocprim17ROCPRIM_400000_NS6detail17trampoline_kernelINS0_13select_configILj256ELj13ELNS0_17block_load_methodE3ELS4_3ELS4_3ELNS0_20block_scan_algorithmE0ELj4294967295EEENS1_25partition_config_selectorILNS1_17partition_subalgoE4EjNS0_10empty_typeEbEEZZNS1_14partition_implILS8_4ELb0ES6_15HIP_vector_typeIjLj2EENS0_17counting_iteratorIjlEEPS9_SG_NS0_5tupleIJPjSI_NS0_16reverse_iteratorISI_EEEEENSH_IJSG_SG_SG_EEES9_SI_JZNS1_25segmented_radix_sort_implINS0_14default_configELb1EPKhPhPKlPlN2at6native12_GLOBAL__N_18offset_tEEE10hipError_tPvRmT1_PNSt15iterator_traitsIS12_E10value_typeET2_T3_PNS13_IS18_E10value_typeET4_jRbjT5_S1E_jjP12ihipStream_tbEUljE_ZNSN_ISO_Lb1ESQ_SR_ST_SU_SY_EESZ_S10_S11_S12_S16_S17_S18_S1B_S1C_jS1D_jS1E_S1E_jjS1G_bEUljE0_EEESZ_S10_S11_S18_S1C_S1E_T6_T7_T9_mT8_S1G_bDpT10_ENKUlT_T0_E_clISt17integral_constantIbLb0EES1U_EEDaS1P_S1Q_EUlS1P_E_NS1_11comp_targetILNS1_3genE5ELNS1_11target_archE942ELNS1_3gpuE9ELNS1_3repE0EEENS1_30default_config_static_selectorELNS0_4arch9wavefront6targetE0EEEvS12_
		.amdhsa_group_segment_fixed_size 0
		.amdhsa_private_segment_fixed_size 0
		.amdhsa_kernarg_size 176
		.amdhsa_user_sgpr_count 2
		.amdhsa_user_sgpr_dispatch_ptr 0
		.amdhsa_user_sgpr_queue_ptr 0
		.amdhsa_user_sgpr_kernarg_segment_ptr 1
		.amdhsa_user_sgpr_dispatch_id 0
		.amdhsa_user_sgpr_private_segment_size 0
		.amdhsa_wavefront_size32 1
		.amdhsa_uses_dynamic_stack 0
		.amdhsa_enable_private_segment 0
		.amdhsa_system_sgpr_workgroup_id_x 1
		.amdhsa_system_sgpr_workgroup_id_y 0
		.amdhsa_system_sgpr_workgroup_id_z 0
		.amdhsa_system_sgpr_workgroup_info 0
		.amdhsa_system_vgpr_workitem_id 0
		.amdhsa_next_free_vgpr 1
		.amdhsa_next_free_sgpr 1
		.amdhsa_reserve_vcc 0
		.amdhsa_float_round_mode_32 0
		.amdhsa_float_round_mode_16_64 0
		.amdhsa_float_denorm_mode_32 3
		.amdhsa_float_denorm_mode_16_64 3
		.amdhsa_fp16_overflow 0
		.amdhsa_workgroup_processor_mode 1
		.amdhsa_memory_ordered 1
		.amdhsa_forward_progress 1
		.amdhsa_inst_pref_size 0
		.amdhsa_round_robin_scheduling 0
		.amdhsa_exception_fp_ieee_invalid_op 0
		.amdhsa_exception_fp_denorm_src 0
		.amdhsa_exception_fp_ieee_div_zero 0
		.amdhsa_exception_fp_ieee_overflow 0
		.amdhsa_exception_fp_ieee_underflow 0
		.amdhsa_exception_fp_ieee_inexact 0
		.amdhsa_exception_int_div_zero 0
	.end_amdhsa_kernel
	.section	.text._ZN7rocprim17ROCPRIM_400000_NS6detail17trampoline_kernelINS0_13select_configILj256ELj13ELNS0_17block_load_methodE3ELS4_3ELS4_3ELNS0_20block_scan_algorithmE0ELj4294967295EEENS1_25partition_config_selectorILNS1_17partition_subalgoE4EjNS0_10empty_typeEbEEZZNS1_14partition_implILS8_4ELb0ES6_15HIP_vector_typeIjLj2EENS0_17counting_iteratorIjlEEPS9_SG_NS0_5tupleIJPjSI_NS0_16reverse_iteratorISI_EEEEENSH_IJSG_SG_SG_EEES9_SI_JZNS1_25segmented_radix_sort_implINS0_14default_configELb1EPKhPhPKlPlN2at6native12_GLOBAL__N_18offset_tEEE10hipError_tPvRmT1_PNSt15iterator_traitsIS12_E10value_typeET2_T3_PNS13_IS18_E10value_typeET4_jRbjT5_S1E_jjP12ihipStream_tbEUljE_ZNSN_ISO_Lb1ESQ_SR_ST_SU_SY_EESZ_S10_S11_S12_S16_S17_S18_S1B_S1C_jS1D_jS1E_S1E_jjS1G_bEUljE0_EEESZ_S10_S11_S18_S1C_S1E_T6_T7_T9_mT8_S1G_bDpT10_ENKUlT_T0_E_clISt17integral_constantIbLb0EES1U_EEDaS1P_S1Q_EUlS1P_E_NS1_11comp_targetILNS1_3genE5ELNS1_11target_archE942ELNS1_3gpuE9ELNS1_3repE0EEENS1_30default_config_static_selectorELNS0_4arch9wavefront6targetE0EEEvS12_,"axG",@progbits,_ZN7rocprim17ROCPRIM_400000_NS6detail17trampoline_kernelINS0_13select_configILj256ELj13ELNS0_17block_load_methodE3ELS4_3ELS4_3ELNS0_20block_scan_algorithmE0ELj4294967295EEENS1_25partition_config_selectorILNS1_17partition_subalgoE4EjNS0_10empty_typeEbEEZZNS1_14partition_implILS8_4ELb0ES6_15HIP_vector_typeIjLj2EENS0_17counting_iteratorIjlEEPS9_SG_NS0_5tupleIJPjSI_NS0_16reverse_iteratorISI_EEEEENSH_IJSG_SG_SG_EEES9_SI_JZNS1_25segmented_radix_sort_implINS0_14default_configELb1EPKhPhPKlPlN2at6native12_GLOBAL__N_18offset_tEEE10hipError_tPvRmT1_PNSt15iterator_traitsIS12_E10value_typeET2_T3_PNS13_IS18_E10value_typeET4_jRbjT5_S1E_jjP12ihipStream_tbEUljE_ZNSN_ISO_Lb1ESQ_SR_ST_SU_SY_EESZ_S10_S11_S12_S16_S17_S18_S1B_S1C_jS1D_jS1E_S1E_jjS1G_bEUljE0_EEESZ_S10_S11_S18_S1C_S1E_T6_T7_T9_mT8_S1G_bDpT10_ENKUlT_T0_E_clISt17integral_constantIbLb0EES1U_EEDaS1P_S1Q_EUlS1P_E_NS1_11comp_targetILNS1_3genE5ELNS1_11target_archE942ELNS1_3gpuE9ELNS1_3repE0EEENS1_30default_config_static_selectorELNS0_4arch9wavefront6targetE0EEEvS12_,comdat
.Lfunc_end5:
	.size	_ZN7rocprim17ROCPRIM_400000_NS6detail17trampoline_kernelINS0_13select_configILj256ELj13ELNS0_17block_load_methodE3ELS4_3ELS4_3ELNS0_20block_scan_algorithmE0ELj4294967295EEENS1_25partition_config_selectorILNS1_17partition_subalgoE4EjNS0_10empty_typeEbEEZZNS1_14partition_implILS8_4ELb0ES6_15HIP_vector_typeIjLj2EENS0_17counting_iteratorIjlEEPS9_SG_NS0_5tupleIJPjSI_NS0_16reverse_iteratorISI_EEEEENSH_IJSG_SG_SG_EEES9_SI_JZNS1_25segmented_radix_sort_implINS0_14default_configELb1EPKhPhPKlPlN2at6native12_GLOBAL__N_18offset_tEEE10hipError_tPvRmT1_PNSt15iterator_traitsIS12_E10value_typeET2_T3_PNS13_IS18_E10value_typeET4_jRbjT5_S1E_jjP12ihipStream_tbEUljE_ZNSN_ISO_Lb1ESQ_SR_ST_SU_SY_EESZ_S10_S11_S12_S16_S17_S18_S1B_S1C_jS1D_jS1E_S1E_jjS1G_bEUljE0_EEESZ_S10_S11_S18_S1C_S1E_T6_T7_T9_mT8_S1G_bDpT10_ENKUlT_T0_E_clISt17integral_constantIbLb0EES1U_EEDaS1P_S1Q_EUlS1P_E_NS1_11comp_targetILNS1_3genE5ELNS1_11target_archE942ELNS1_3gpuE9ELNS1_3repE0EEENS1_30default_config_static_selectorELNS0_4arch9wavefront6targetE0EEEvS12_, .Lfunc_end5-_ZN7rocprim17ROCPRIM_400000_NS6detail17trampoline_kernelINS0_13select_configILj256ELj13ELNS0_17block_load_methodE3ELS4_3ELS4_3ELNS0_20block_scan_algorithmE0ELj4294967295EEENS1_25partition_config_selectorILNS1_17partition_subalgoE4EjNS0_10empty_typeEbEEZZNS1_14partition_implILS8_4ELb0ES6_15HIP_vector_typeIjLj2EENS0_17counting_iteratorIjlEEPS9_SG_NS0_5tupleIJPjSI_NS0_16reverse_iteratorISI_EEEEENSH_IJSG_SG_SG_EEES9_SI_JZNS1_25segmented_radix_sort_implINS0_14default_configELb1EPKhPhPKlPlN2at6native12_GLOBAL__N_18offset_tEEE10hipError_tPvRmT1_PNSt15iterator_traitsIS12_E10value_typeET2_T3_PNS13_IS18_E10value_typeET4_jRbjT5_S1E_jjP12ihipStream_tbEUljE_ZNSN_ISO_Lb1ESQ_SR_ST_SU_SY_EESZ_S10_S11_S12_S16_S17_S18_S1B_S1C_jS1D_jS1E_S1E_jjS1G_bEUljE0_EEESZ_S10_S11_S18_S1C_S1E_T6_T7_T9_mT8_S1G_bDpT10_ENKUlT_T0_E_clISt17integral_constantIbLb0EES1U_EEDaS1P_S1Q_EUlS1P_E_NS1_11comp_targetILNS1_3genE5ELNS1_11target_archE942ELNS1_3gpuE9ELNS1_3repE0EEENS1_30default_config_static_selectorELNS0_4arch9wavefront6targetE0EEEvS12_
                                        ; -- End function
	.set _ZN7rocprim17ROCPRIM_400000_NS6detail17trampoline_kernelINS0_13select_configILj256ELj13ELNS0_17block_load_methodE3ELS4_3ELS4_3ELNS0_20block_scan_algorithmE0ELj4294967295EEENS1_25partition_config_selectorILNS1_17partition_subalgoE4EjNS0_10empty_typeEbEEZZNS1_14partition_implILS8_4ELb0ES6_15HIP_vector_typeIjLj2EENS0_17counting_iteratorIjlEEPS9_SG_NS0_5tupleIJPjSI_NS0_16reverse_iteratorISI_EEEEENSH_IJSG_SG_SG_EEES9_SI_JZNS1_25segmented_radix_sort_implINS0_14default_configELb1EPKhPhPKlPlN2at6native12_GLOBAL__N_18offset_tEEE10hipError_tPvRmT1_PNSt15iterator_traitsIS12_E10value_typeET2_T3_PNS13_IS18_E10value_typeET4_jRbjT5_S1E_jjP12ihipStream_tbEUljE_ZNSN_ISO_Lb1ESQ_SR_ST_SU_SY_EESZ_S10_S11_S12_S16_S17_S18_S1B_S1C_jS1D_jS1E_S1E_jjS1G_bEUljE0_EEESZ_S10_S11_S18_S1C_S1E_T6_T7_T9_mT8_S1G_bDpT10_ENKUlT_T0_E_clISt17integral_constantIbLb0EES1U_EEDaS1P_S1Q_EUlS1P_E_NS1_11comp_targetILNS1_3genE5ELNS1_11target_archE942ELNS1_3gpuE9ELNS1_3repE0EEENS1_30default_config_static_selectorELNS0_4arch9wavefront6targetE0EEEvS12_.num_vgpr, 0
	.set _ZN7rocprim17ROCPRIM_400000_NS6detail17trampoline_kernelINS0_13select_configILj256ELj13ELNS0_17block_load_methodE3ELS4_3ELS4_3ELNS0_20block_scan_algorithmE0ELj4294967295EEENS1_25partition_config_selectorILNS1_17partition_subalgoE4EjNS0_10empty_typeEbEEZZNS1_14partition_implILS8_4ELb0ES6_15HIP_vector_typeIjLj2EENS0_17counting_iteratorIjlEEPS9_SG_NS0_5tupleIJPjSI_NS0_16reverse_iteratorISI_EEEEENSH_IJSG_SG_SG_EEES9_SI_JZNS1_25segmented_radix_sort_implINS0_14default_configELb1EPKhPhPKlPlN2at6native12_GLOBAL__N_18offset_tEEE10hipError_tPvRmT1_PNSt15iterator_traitsIS12_E10value_typeET2_T3_PNS13_IS18_E10value_typeET4_jRbjT5_S1E_jjP12ihipStream_tbEUljE_ZNSN_ISO_Lb1ESQ_SR_ST_SU_SY_EESZ_S10_S11_S12_S16_S17_S18_S1B_S1C_jS1D_jS1E_S1E_jjS1G_bEUljE0_EEESZ_S10_S11_S18_S1C_S1E_T6_T7_T9_mT8_S1G_bDpT10_ENKUlT_T0_E_clISt17integral_constantIbLb0EES1U_EEDaS1P_S1Q_EUlS1P_E_NS1_11comp_targetILNS1_3genE5ELNS1_11target_archE942ELNS1_3gpuE9ELNS1_3repE0EEENS1_30default_config_static_selectorELNS0_4arch9wavefront6targetE0EEEvS12_.num_agpr, 0
	.set _ZN7rocprim17ROCPRIM_400000_NS6detail17trampoline_kernelINS0_13select_configILj256ELj13ELNS0_17block_load_methodE3ELS4_3ELS4_3ELNS0_20block_scan_algorithmE0ELj4294967295EEENS1_25partition_config_selectorILNS1_17partition_subalgoE4EjNS0_10empty_typeEbEEZZNS1_14partition_implILS8_4ELb0ES6_15HIP_vector_typeIjLj2EENS0_17counting_iteratorIjlEEPS9_SG_NS0_5tupleIJPjSI_NS0_16reverse_iteratorISI_EEEEENSH_IJSG_SG_SG_EEES9_SI_JZNS1_25segmented_radix_sort_implINS0_14default_configELb1EPKhPhPKlPlN2at6native12_GLOBAL__N_18offset_tEEE10hipError_tPvRmT1_PNSt15iterator_traitsIS12_E10value_typeET2_T3_PNS13_IS18_E10value_typeET4_jRbjT5_S1E_jjP12ihipStream_tbEUljE_ZNSN_ISO_Lb1ESQ_SR_ST_SU_SY_EESZ_S10_S11_S12_S16_S17_S18_S1B_S1C_jS1D_jS1E_S1E_jjS1G_bEUljE0_EEESZ_S10_S11_S18_S1C_S1E_T6_T7_T9_mT8_S1G_bDpT10_ENKUlT_T0_E_clISt17integral_constantIbLb0EES1U_EEDaS1P_S1Q_EUlS1P_E_NS1_11comp_targetILNS1_3genE5ELNS1_11target_archE942ELNS1_3gpuE9ELNS1_3repE0EEENS1_30default_config_static_selectorELNS0_4arch9wavefront6targetE0EEEvS12_.numbered_sgpr, 0
	.set _ZN7rocprim17ROCPRIM_400000_NS6detail17trampoline_kernelINS0_13select_configILj256ELj13ELNS0_17block_load_methodE3ELS4_3ELS4_3ELNS0_20block_scan_algorithmE0ELj4294967295EEENS1_25partition_config_selectorILNS1_17partition_subalgoE4EjNS0_10empty_typeEbEEZZNS1_14partition_implILS8_4ELb0ES6_15HIP_vector_typeIjLj2EENS0_17counting_iteratorIjlEEPS9_SG_NS0_5tupleIJPjSI_NS0_16reverse_iteratorISI_EEEEENSH_IJSG_SG_SG_EEES9_SI_JZNS1_25segmented_radix_sort_implINS0_14default_configELb1EPKhPhPKlPlN2at6native12_GLOBAL__N_18offset_tEEE10hipError_tPvRmT1_PNSt15iterator_traitsIS12_E10value_typeET2_T3_PNS13_IS18_E10value_typeET4_jRbjT5_S1E_jjP12ihipStream_tbEUljE_ZNSN_ISO_Lb1ESQ_SR_ST_SU_SY_EESZ_S10_S11_S12_S16_S17_S18_S1B_S1C_jS1D_jS1E_S1E_jjS1G_bEUljE0_EEESZ_S10_S11_S18_S1C_S1E_T6_T7_T9_mT8_S1G_bDpT10_ENKUlT_T0_E_clISt17integral_constantIbLb0EES1U_EEDaS1P_S1Q_EUlS1P_E_NS1_11comp_targetILNS1_3genE5ELNS1_11target_archE942ELNS1_3gpuE9ELNS1_3repE0EEENS1_30default_config_static_selectorELNS0_4arch9wavefront6targetE0EEEvS12_.num_named_barrier, 0
	.set _ZN7rocprim17ROCPRIM_400000_NS6detail17trampoline_kernelINS0_13select_configILj256ELj13ELNS0_17block_load_methodE3ELS4_3ELS4_3ELNS0_20block_scan_algorithmE0ELj4294967295EEENS1_25partition_config_selectorILNS1_17partition_subalgoE4EjNS0_10empty_typeEbEEZZNS1_14partition_implILS8_4ELb0ES6_15HIP_vector_typeIjLj2EENS0_17counting_iteratorIjlEEPS9_SG_NS0_5tupleIJPjSI_NS0_16reverse_iteratorISI_EEEEENSH_IJSG_SG_SG_EEES9_SI_JZNS1_25segmented_radix_sort_implINS0_14default_configELb1EPKhPhPKlPlN2at6native12_GLOBAL__N_18offset_tEEE10hipError_tPvRmT1_PNSt15iterator_traitsIS12_E10value_typeET2_T3_PNS13_IS18_E10value_typeET4_jRbjT5_S1E_jjP12ihipStream_tbEUljE_ZNSN_ISO_Lb1ESQ_SR_ST_SU_SY_EESZ_S10_S11_S12_S16_S17_S18_S1B_S1C_jS1D_jS1E_S1E_jjS1G_bEUljE0_EEESZ_S10_S11_S18_S1C_S1E_T6_T7_T9_mT8_S1G_bDpT10_ENKUlT_T0_E_clISt17integral_constantIbLb0EES1U_EEDaS1P_S1Q_EUlS1P_E_NS1_11comp_targetILNS1_3genE5ELNS1_11target_archE942ELNS1_3gpuE9ELNS1_3repE0EEENS1_30default_config_static_selectorELNS0_4arch9wavefront6targetE0EEEvS12_.private_seg_size, 0
	.set _ZN7rocprim17ROCPRIM_400000_NS6detail17trampoline_kernelINS0_13select_configILj256ELj13ELNS0_17block_load_methodE3ELS4_3ELS4_3ELNS0_20block_scan_algorithmE0ELj4294967295EEENS1_25partition_config_selectorILNS1_17partition_subalgoE4EjNS0_10empty_typeEbEEZZNS1_14partition_implILS8_4ELb0ES6_15HIP_vector_typeIjLj2EENS0_17counting_iteratorIjlEEPS9_SG_NS0_5tupleIJPjSI_NS0_16reverse_iteratorISI_EEEEENSH_IJSG_SG_SG_EEES9_SI_JZNS1_25segmented_radix_sort_implINS0_14default_configELb1EPKhPhPKlPlN2at6native12_GLOBAL__N_18offset_tEEE10hipError_tPvRmT1_PNSt15iterator_traitsIS12_E10value_typeET2_T3_PNS13_IS18_E10value_typeET4_jRbjT5_S1E_jjP12ihipStream_tbEUljE_ZNSN_ISO_Lb1ESQ_SR_ST_SU_SY_EESZ_S10_S11_S12_S16_S17_S18_S1B_S1C_jS1D_jS1E_S1E_jjS1G_bEUljE0_EEESZ_S10_S11_S18_S1C_S1E_T6_T7_T9_mT8_S1G_bDpT10_ENKUlT_T0_E_clISt17integral_constantIbLb0EES1U_EEDaS1P_S1Q_EUlS1P_E_NS1_11comp_targetILNS1_3genE5ELNS1_11target_archE942ELNS1_3gpuE9ELNS1_3repE0EEENS1_30default_config_static_selectorELNS0_4arch9wavefront6targetE0EEEvS12_.uses_vcc, 0
	.set _ZN7rocprim17ROCPRIM_400000_NS6detail17trampoline_kernelINS0_13select_configILj256ELj13ELNS0_17block_load_methodE3ELS4_3ELS4_3ELNS0_20block_scan_algorithmE0ELj4294967295EEENS1_25partition_config_selectorILNS1_17partition_subalgoE4EjNS0_10empty_typeEbEEZZNS1_14partition_implILS8_4ELb0ES6_15HIP_vector_typeIjLj2EENS0_17counting_iteratorIjlEEPS9_SG_NS0_5tupleIJPjSI_NS0_16reverse_iteratorISI_EEEEENSH_IJSG_SG_SG_EEES9_SI_JZNS1_25segmented_radix_sort_implINS0_14default_configELb1EPKhPhPKlPlN2at6native12_GLOBAL__N_18offset_tEEE10hipError_tPvRmT1_PNSt15iterator_traitsIS12_E10value_typeET2_T3_PNS13_IS18_E10value_typeET4_jRbjT5_S1E_jjP12ihipStream_tbEUljE_ZNSN_ISO_Lb1ESQ_SR_ST_SU_SY_EESZ_S10_S11_S12_S16_S17_S18_S1B_S1C_jS1D_jS1E_S1E_jjS1G_bEUljE0_EEESZ_S10_S11_S18_S1C_S1E_T6_T7_T9_mT8_S1G_bDpT10_ENKUlT_T0_E_clISt17integral_constantIbLb0EES1U_EEDaS1P_S1Q_EUlS1P_E_NS1_11comp_targetILNS1_3genE5ELNS1_11target_archE942ELNS1_3gpuE9ELNS1_3repE0EEENS1_30default_config_static_selectorELNS0_4arch9wavefront6targetE0EEEvS12_.uses_flat_scratch, 0
	.set _ZN7rocprim17ROCPRIM_400000_NS6detail17trampoline_kernelINS0_13select_configILj256ELj13ELNS0_17block_load_methodE3ELS4_3ELS4_3ELNS0_20block_scan_algorithmE0ELj4294967295EEENS1_25partition_config_selectorILNS1_17partition_subalgoE4EjNS0_10empty_typeEbEEZZNS1_14partition_implILS8_4ELb0ES6_15HIP_vector_typeIjLj2EENS0_17counting_iteratorIjlEEPS9_SG_NS0_5tupleIJPjSI_NS0_16reverse_iteratorISI_EEEEENSH_IJSG_SG_SG_EEES9_SI_JZNS1_25segmented_radix_sort_implINS0_14default_configELb1EPKhPhPKlPlN2at6native12_GLOBAL__N_18offset_tEEE10hipError_tPvRmT1_PNSt15iterator_traitsIS12_E10value_typeET2_T3_PNS13_IS18_E10value_typeET4_jRbjT5_S1E_jjP12ihipStream_tbEUljE_ZNSN_ISO_Lb1ESQ_SR_ST_SU_SY_EESZ_S10_S11_S12_S16_S17_S18_S1B_S1C_jS1D_jS1E_S1E_jjS1G_bEUljE0_EEESZ_S10_S11_S18_S1C_S1E_T6_T7_T9_mT8_S1G_bDpT10_ENKUlT_T0_E_clISt17integral_constantIbLb0EES1U_EEDaS1P_S1Q_EUlS1P_E_NS1_11comp_targetILNS1_3genE5ELNS1_11target_archE942ELNS1_3gpuE9ELNS1_3repE0EEENS1_30default_config_static_selectorELNS0_4arch9wavefront6targetE0EEEvS12_.has_dyn_sized_stack, 0
	.set _ZN7rocprim17ROCPRIM_400000_NS6detail17trampoline_kernelINS0_13select_configILj256ELj13ELNS0_17block_load_methodE3ELS4_3ELS4_3ELNS0_20block_scan_algorithmE0ELj4294967295EEENS1_25partition_config_selectorILNS1_17partition_subalgoE4EjNS0_10empty_typeEbEEZZNS1_14partition_implILS8_4ELb0ES6_15HIP_vector_typeIjLj2EENS0_17counting_iteratorIjlEEPS9_SG_NS0_5tupleIJPjSI_NS0_16reverse_iteratorISI_EEEEENSH_IJSG_SG_SG_EEES9_SI_JZNS1_25segmented_radix_sort_implINS0_14default_configELb1EPKhPhPKlPlN2at6native12_GLOBAL__N_18offset_tEEE10hipError_tPvRmT1_PNSt15iterator_traitsIS12_E10value_typeET2_T3_PNS13_IS18_E10value_typeET4_jRbjT5_S1E_jjP12ihipStream_tbEUljE_ZNSN_ISO_Lb1ESQ_SR_ST_SU_SY_EESZ_S10_S11_S12_S16_S17_S18_S1B_S1C_jS1D_jS1E_S1E_jjS1G_bEUljE0_EEESZ_S10_S11_S18_S1C_S1E_T6_T7_T9_mT8_S1G_bDpT10_ENKUlT_T0_E_clISt17integral_constantIbLb0EES1U_EEDaS1P_S1Q_EUlS1P_E_NS1_11comp_targetILNS1_3genE5ELNS1_11target_archE942ELNS1_3gpuE9ELNS1_3repE0EEENS1_30default_config_static_selectorELNS0_4arch9wavefront6targetE0EEEvS12_.has_recursion, 0
	.set _ZN7rocprim17ROCPRIM_400000_NS6detail17trampoline_kernelINS0_13select_configILj256ELj13ELNS0_17block_load_methodE3ELS4_3ELS4_3ELNS0_20block_scan_algorithmE0ELj4294967295EEENS1_25partition_config_selectorILNS1_17partition_subalgoE4EjNS0_10empty_typeEbEEZZNS1_14partition_implILS8_4ELb0ES6_15HIP_vector_typeIjLj2EENS0_17counting_iteratorIjlEEPS9_SG_NS0_5tupleIJPjSI_NS0_16reverse_iteratorISI_EEEEENSH_IJSG_SG_SG_EEES9_SI_JZNS1_25segmented_radix_sort_implINS0_14default_configELb1EPKhPhPKlPlN2at6native12_GLOBAL__N_18offset_tEEE10hipError_tPvRmT1_PNSt15iterator_traitsIS12_E10value_typeET2_T3_PNS13_IS18_E10value_typeET4_jRbjT5_S1E_jjP12ihipStream_tbEUljE_ZNSN_ISO_Lb1ESQ_SR_ST_SU_SY_EESZ_S10_S11_S12_S16_S17_S18_S1B_S1C_jS1D_jS1E_S1E_jjS1G_bEUljE0_EEESZ_S10_S11_S18_S1C_S1E_T6_T7_T9_mT8_S1G_bDpT10_ENKUlT_T0_E_clISt17integral_constantIbLb0EES1U_EEDaS1P_S1Q_EUlS1P_E_NS1_11comp_targetILNS1_3genE5ELNS1_11target_archE942ELNS1_3gpuE9ELNS1_3repE0EEENS1_30default_config_static_selectorELNS0_4arch9wavefront6targetE0EEEvS12_.has_indirect_call, 0
	.section	.AMDGPU.csdata,"",@progbits
; Kernel info:
; codeLenInByte = 0
; TotalNumSgprs: 0
; NumVgprs: 0
; ScratchSize: 0
; MemoryBound: 0
; FloatMode: 240
; IeeeMode: 1
; LDSByteSize: 0 bytes/workgroup (compile time only)
; SGPRBlocks: 0
; VGPRBlocks: 0
; NumSGPRsForWavesPerEU: 1
; NumVGPRsForWavesPerEU: 1
; Occupancy: 16
; WaveLimiterHint : 0
; COMPUTE_PGM_RSRC2:SCRATCH_EN: 0
; COMPUTE_PGM_RSRC2:USER_SGPR: 2
; COMPUTE_PGM_RSRC2:TRAP_HANDLER: 0
; COMPUTE_PGM_RSRC2:TGID_X_EN: 1
; COMPUTE_PGM_RSRC2:TGID_Y_EN: 0
; COMPUTE_PGM_RSRC2:TGID_Z_EN: 0
; COMPUTE_PGM_RSRC2:TIDIG_COMP_CNT: 0
	.section	.text._ZN7rocprim17ROCPRIM_400000_NS6detail17trampoline_kernelINS0_13select_configILj256ELj13ELNS0_17block_load_methodE3ELS4_3ELS4_3ELNS0_20block_scan_algorithmE0ELj4294967295EEENS1_25partition_config_selectorILNS1_17partition_subalgoE4EjNS0_10empty_typeEbEEZZNS1_14partition_implILS8_4ELb0ES6_15HIP_vector_typeIjLj2EENS0_17counting_iteratorIjlEEPS9_SG_NS0_5tupleIJPjSI_NS0_16reverse_iteratorISI_EEEEENSH_IJSG_SG_SG_EEES9_SI_JZNS1_25segmented_radix_sort_implINS0_14default_configELb1EPKhPhPKlPlN2at6native12_GLOBAL__N_18offset_tEEE10hipError_tPvRmT1_PNSt15iterator_traitsIS12_E10value_typeET2_T3_PNS13_IS18_E10value_typeET4_jRbjT5_S1E_jjP12ihipStream_tbEUljE_ZNSN_ISO_Lb1ESQ_SR_ST_SU_SY_EESZ_S10_S11_S12_S16_S17_S18_S1B_S1C_jS1D_jS1E_S1E_jjS1G_bEUljE0_EEESZ_S10_S11_S18_S1C_S1E_T6_T7_T9_mT8_S1G_bDpT10_ENKUlT_T0_E_clISt17integral_constantIbLb0EES1U_EEDaS1P_S1Q_EUlS1P_E_NS1_11comp_targetILNS1_3genE4ELNS1_11target_archE910ELNS1_3gpuE8ELNS1_3repE0EEENS1_30default_config_static_selectorELNS0_4arch9wavefront6targetE0EEEvS12_,"axG",@progbits,_ZN7rocprim17ROCPRIM_400000_NS6detail17trampoline_kernelINS0_13select_configILj256ELj13ELNS0_17block_load_methodE3ELS4_3ELS4_3ELNS0_20block_scan_algorithmE0ELj4294967295EEENS1_25partition_config_selectorILNS1_17partition_subalgoE4EjNS0_10empty_typeEbEEZZNS1_14partition_implILS8_4ELb0ES6_15HIP_vector_typeIjLj2EENS0_17counting_iteratorIjlEEPS9_SG_NS0_5tupleIJPjSI_NS0_16reverse_iteratorISI_EEEEENSH_IJSG_SG_SG_EEES9_SI_JZNS1_25segmented_radix_sort_implINS0_14default_configELb1EPKhPhPKlPlN2at6native12_GLOBAL__N_18offset_tEEE10hipError_tPvRmT1_PNSt15iterator_traitsIS12_E10value_typeET2_T3_PNS13_IS18_E10value_typeET4_jRbjT5_S1E_jjP12ihipStream_tbEUljE_ZNSN_ISO_Lb1ESQ_SR_ST_SU_SY_EESZ_S10_S11_S12_S16_S17_S18_S1B_S1C_jS1D_jS1E_S1E_jjS1G_bEUljE0_EEESZ_S10_S11_S18_S1C_S1E_T6_T7_T9_mT8_S1G_bDpT10_ENKUlT_T0_E_clISt17integral_constantIbLb0EES1U_EEDaS1P_S1Q_EUlS1P_E_NS1_11comp_targetILNS1_3genE4ELNS1_11target_archE910ELNS1_3gpuE8ELNS1_3repE0EEENS1_30default_config_static_selectorELNS0_4arch9wavefront6targetE0EEEvS12_,comdat
	.globl	_ZN7rocprim17ROCPRIM_400000_NS6detail17trampoline_kernelINS0_13select_configILj256ELj13ELNS0_17block_load_methodE3ELS4_3ELS4_3ELNS0_20block_scan_algorithmE0ELj4294967295EEENS1_25partition_config_selectorILNS1_17partition_subalgoE4EjNS0_10empty_typeEbEEZZNS1_14partition_implILS8_4ELb0ES6_15HIP_vector_typeIjLj2EENS0_17counting_iteratorIjlEEPS9_SG_NS0_5tupleIJPjSI_NS0_16reverse_iteratorISI_EEEEENSH_IJSG_SG_SG_EEES9_SI_JZNS1_25segmented_radix_sort_implINS0_14default_configELb1EPKhPhPKlPlN2at6native12_GLOBAL__N_18offset_tEEE10hipError_tPvRmT1_PNSt15iterator_traitsIS12_E10value_typeET2_T3_PNS13_IS18_E10value_typeET4_jRbjT5_S1E_jjP12ihipStream_tbEUljE_ZNSN_ISO_Lb1ESQ_SR_ST_SU_SY_EESZ_S10_S11_S12_S16_S17_S18_S1B_S1C_jS1D_jS1E_S1E_jjS1G_bEUljE0_EEESZ_S10_S11_S18_S1C_S1E_T6_T7_T9_mT8_S1G_bDpT10_ENKUlT_T0_E_clISt17integral_constantIbLb0EES1U_EEDaS1P_S1Q_EUlS1P_E_NS1_11comp_targetILNS1_3genE4ELNS1_11target_archE910ELNS1_3gpuE8ELNS1_3repE0EEENS1_30default_config_static_selectorELNS0_4arch9wavefront6targetE0EEEvS12_ ; -- Begin function _ZN7rocprim17ROCPRIM_400000_NS6detail17trampoline_kernelINS0_13select_configILj256ELj13ELNS0_17block_load_methodE3ELS4_3ELS4_3ELNS0_20block_scan_algorithmE0ELj4294967295EEENS1_25partition_config_selectorILNS1_17partition_subalgoE4EjNS0_10empty_typeEbEEZZNS1_14partition_implILS8_4ELb0ES6_15HIP_vector_typeIjLj2EENS0_17counting_iteratorIjlEEPS9_SG_NS0_5tupleIJPjSI_NS0_16reverse_iteratorISI_EEEEENSH_IJSG_SG_SG_EEES9_SI_JZNS1_25segmented_radix_sort_implINS0_14default_configELb1EPKhPhPKlPlN2at6native12_GLOBAL__N_18offset_tEEE10hipError_tPvRmT1_PNSt15iterator_traitsIS12_E10value_typeET2_T3_PNS13_IS18_E10value_typeET4_jRbjT5_S1E_jjP12ihipStream_tbEUljE_ZNSN_ISO_Lb1ESQ_SR_ST_SU_SY_EESZ_S10_S11_S12_S16_S17_S18_S1B_S1C_jS1D_jS1E_S1E_jjS1G_bEUljE0_EEESZ_S10_S11_S18_S1C_S1E_T6_T7_T9_mT8_S1G_bDpT10_ENKUlT_T0_E_clISt17integral_constantIbLb0EES1U_EEDaS1P_S1Q_EUlS1P_E_NS1_11comp_targetILNS1_3genE4ELNS1_11target_archE910ELNS1_3gpuE8ELNS1_3repE0EEENS1_30default_config_static_selectorELNS0_4arch9wavefront6targetE0EEEvS12_
	.p2align	8
	.type	_ZN7rocprim17ROCPRIM_400000_NS6detail17trampoline_kernelINS0_13select_configILj256ELj13ELNS0_17block_load_methodE3ELS4_3ELS4_3ELNS0_20block_scan_algorithmE0ELj4294967295EEENS1_25partition_config_selectorILNS1_17partition_subalgoE4EjNS0_10empty_typeEbEEZZNS1_14partition_implILS8_4ELb0ES6_15HIP_vector_typeIjLj2EENS0_17counting_iteratorIjlEEPS9_SG_NS0_5tupleIJPjSI_NS0_16reverse_iteratorISI_EEEEENSH_IJSG_SG_SG_EEES9_SI_JZNS1_25segmented_radix_sort_implINS0_14default_configELb1EPKhPhPKlPlN2at6native12_GLOBAL__N_18offset_tEEE10hipError_tPvRmT1_PNSt15iterator_traitsIS12_E10value_typeET2_T3_PNS13_IS18_E10value_typeET4_jRbjT5_S1E_jjP12ihipStream_tbEUljE_ZNSN_ISO_Lb1ESQ_SR_ST_SU_SY_EESZ_S10_S11_S12_S16_S17_S18_S1B_S1C_jS1D_jS1E_S1E_jjS1G_bEUljE0_EEESZ_S10_S11_S18_S1C_S1E_T6_T7_T9_mT8_S1G_bDpT10_ENKUlT_T0_E_clISt17integral_constantIbLb0EES1U_EEDaS1P_S1Q_EUlS1P_E_NS1_11comp_targetILNS1_3genE4ELNS1_11target_archE910ELNS1_3gpuE8ELNS1_3repE0EEENS1_30default_config_static_selectorELNS0_4arch9wavefront6targetE0EEEvS12_,@function
_ZN7rocprim17ROCPRIM_400000_NS6detail17trampoline_kernelINS0_13select_configILj256ELj13ELNS0_17block_load_methodE3ELS4_3ELS4_3ELNS0_20block_scan_algorithmE0ELj4294967295EEENS1_25partition_config_selectorILNS1_17partition_subalgoE4EjNS0_10empty_typeEbEEZZNS1_14partition_implILS8_4ELb0ES6_15HIP_vector_typeIjLj2EENS0_17counting_iteratorIjlEEPS9_SG_NS0_5tupleIJPjSI_NS0_16reverse_iteratorISI_EEEEENSH_IJSG_SG_SG_EEES9_SI_JZNS1_25segmented_radix_sort_implINS0_14default_configELb1EPKhPhPKlPlN2at6native12_GLOBAL__N_18offset_tEEE10hipError_tPvRmT1_PNSt15iterator_traitsIS12_E10value_typeET2_T3_PNS13_IS18_E10value_typeET4_jRbjT5_S1E_jjP12ihipStream_tbEUljE_ZNSN_ISO_Lb1ESQ_SR_ST_SU_SY_EESZ_S10_S11_S12_S16_S17_S18_S1B_S1C_jS1D_jS1E_S1E_jjS1G_bEUljE0_EEESZ_S10_S11_S18_S1C_S1E_T6_T7_T9_mT8_S1G_bDpT10_ENKUlT_T0_E_clISt17integral_constantIbLb0EES1U_EEDaS1P_S1Q_EUlS1P_E_NS1_11comp_targetILNS1_3genE4ELNS1_11target_archE910ELNS1_3gpuE8ELNS1_3repE0EEENS1_30default_config_static_selectorELNS0_4arch9wavefront6targetE0EEEvS12_: ; @_ZN7rocprim17ROCPRIM_400000_NS6detail17trampoline_kernelINS0_13select_configILj256ELj13ELNS0_17block_load_methodE3ELS4_3ELS4_3ELNS0_20block_scan_algorithmE0ELj4294967295EEENS1_25partition_config_selectorILNS1_17partition_subalgoE4EjNS0_10empty_typeEbEEZZNS1_14partition_implILS8_4ELb0ES6_15HIP_vector_typeIjLj2EENS0_17counting_iteratorIjlEEPS9_SG_NS0_5tupleIJPjSI_NS0_16reverse_iteratorISI_EEEEENSH_IJSG_SG_SG_EEES9_SI_JZNS1_25segmented_radix_sort_implINS0_14default_configELb1EPKhPhPKlPlN2at6native12_GLOBAL__N_18offset_tEEE10hipError_tPvRmT1_PNSt15iterator_traitsIS12_E10value_typeET2_T3_PNS13_IS18_E10value_typeET4_jRbjT5_S1E_jjP12ihipStream_tbEUljE_ZNSN_ISO_Lb1ESQ_SR_ST_SU_SY_EESZ_S10_S11_S12_S16_S17_S18_S1B_S1C_jS1D_jS1E_S1E_jjS1G_bEUljE0_EEESZ_S10_S11_S18_S1C_S1E_T6_T7_T9_mT8_S1G_bDpT10_ENKUlT_T0_E_clISt17integral_constantIbLb0EES1U_EEDaS1P_S1Q_EUlS1P_E_NS1_11comp_targetILNS1_3genE4ELNS1_11target_archE910ELNS1_3gpuE8ELNS1_3repE0EEENS1_30default_config_static_selectorELNS0_4arch9wavefront6targetE0EEEvS12_
; %bb.0:
	.section	.rodata,"a",@progbits
	.p2align	6, 0x0
	.amdhsa_kernel _ZN7rocprim17ROCPRIM_400000_NS6detail17trampoline_kernelINS0_13select_configILj256ELj13ELNS0_17block_load_methodE3ELS4_3ELS4_3ELNS0_20block_scan_algorithmE0ELj4294967295EEENS1_25partition_config_selectorILNS1_17partition_subalgoE4EjNS0_10empty_typeEbEEZZNS1_14partition_implILS8_4ELb0ES6_15HIP_vector_typeIjLj2EENS0_17counting_iteratorIjlEEPS9_SG_NS0_5tupleIJPjSI_NS0_16reverse_iteratorISI_EEEEENSH_IJSG_SG_SG_EEES9_SI_JZNS1_25segmented_radix_sort_implINS0_14default_configELb1EPKhPhPKlPlN2at6native12_GLOBAL__N_18offset_tEEE10hipError_tPvRmT1_PNSt15iterator_traitsIS12_E10value_typeET2_T3_PNS13_IS18_E10value_typeET4_jRbjT5_S1E_jjP12ihipStream_tbEUljE_ZNSN_ISO_Lb1ESQ_SR_ST_SU_SY_EESZ_S10_S11_S12_S16_S17_S18_S1B_S1C_jS1D_jS1E_S1E_jjS1G_bEUljE0_EEESZ_S10_S11_S18_S1C_S1E_T6_T7_T9_mT8_S1G_bDpT10_ENKUlT_T0_E_clISt17integral_constantIbLb0EES1U_EEDaS1P_S1Q_EUlS1P_E_NS1_11comp_targetILNS1_3genE4ELNS1_11target_archE910ELNS1_3gpuE8ELNS1_3repE0EEENS1_30default_config_static_selectorELNS0_4arch9wavefront6targetE0EEEvS12_
		.amdhsa_group_segment_fixed_size 0
		.amdhsa_private_segment_fixed_size 0
		.amdhsa_kernarg_size 176
		.amdhsa_user_sgpr_count 2
		.amdhsa_user_sgpr_dispatch_ptr 0
		.amdhsa_user_sgpr_queue_ptr 0
		.amdhsa_user_sgpr_kernarg_segment_ptr 1
		.amdhsa_user_sgpr_dispatch_id 0
		.amdhsa_user_sgpr_private_segment_size 0
		.amdhsa_wavefront_size32 1
		.amdhsa_uses_dynamic_stack 0
		.amdhsa_enable_private_segment 0
		.amdhsa_system_sgpr_workgroup_id_x 1
		.amdhsa_system_sgpr_workgroup_id_y 0
		.amdhsa_system_sgpr_workgroup_id_z 0
		.amdhsa_system_sgpr_workgroup_info 0
		.amdhsa_system_vgpr_workitem_id 0
		.amdhsa_next_free_vgpr 1
		.amdhsa_next_free_sgpr 1
		.amdhsa_reserve_vcc 0
		.amdhsa_float_round_mode_32 0
		.amdhsa_float_round_mode_16_64 0
		.amdhsa_float_denorm_mode_32 3
		.amdhsa_float_denorm_mode_16_64 3
		.amdhsa_fp16_overflow 0
		.amdhsa_workgroup_processor_mode 1
		.amdhsa_memory_ordered 1
		.amdhsa_forward_progress 1
		.amdhsa_inst_pref_size 0
		.amdhsa_round_robin_scheduling 0
		.amdhsa_exception_fp_ieee_invalid_op 0
		.amdhsa_exception_fp_denorm_src 0
		.amdhsa_exception_fp_ieee_div_zero 0
		.amdhsa_exception_fp_ieee_overflow 0
		.amdhsa_exception_fp_ieee_underflow 0
		.amdhsa_exception_fp_ieee_inexact 0
		.amdhsa_exception_int_div_zero 0
	.end_amdhsa_kernel
	.section	.text._ZN7rocprim17ROCPRIM_400000_NS6detail17trampoline_kernelINS0_13select_configILj256ELj13ELNS0_17block_load_methodE3ELS4_3ELS4_3ELNS0_20block_scan_algorithmE0ELj4294967295EEENS1_25partition_config_selectorILNS1_17partition_subalgoE4EjNS0_10empty_typeEbEEZZNS1_14partition_implILS8_4ELb0ES6_15HIP_vector_typeIjLj2EENS0_17counting_iteratorIjlEEPS9_SG_NS0_5tupleIJPjSI_NS0_16reverse_iteratorISI_EEEEENSH_IJSG_SG_SG_EEES9_SI_JZNS1_25segmented_radix_sort_implINS0_14default_configELb1EPKhPhPKlPlN2at6native12_GLOBAL__N_18offset_tEEE10hipError_tPvRmT1_PNSt15iterator_traitsIS12_E10value_typeET2_T3_PNS13_IS18_E10value_typeET4_jRbjT5_S1E_jjP12ihipStream_tbEUljE_ZNSN_ISO_Lb1ESQ_SR_ST_SU_SY_EESZ_S10_S11_S12_S16_S17_S18_S1B_S1C_jS1D_jS1E_S1E_jjS1G_bEUljE0_EEESZ_S10_S11_S18_S1C_S1E_T6_T7_T9_mT8_S1G_bDpT10_ENKUlT_T0_E_clISt17integral_constantIbLb0EES1U_EEDaS1P_S1Q_EUlS1P_E_NS1_11comp_targetILNS1_3genE4ELNS1_11target_archE910ELNS1_3gpuE8ELNS1_3repE0EEENS1_30default_config_static_selectorELNS0_4arch9wavefront6targetE0EEEvS12_,"axG",@progbits,_ZN7rocprim17ROCPRIM_400000_NS6detail17trampoline_kernelINS0_13select_configILj256ELj13ELNS0_17block_load_methodE3ELS4_3ELS4_3ELNS0_20block_scan_algorithmE0ELj4294967295EEENS1_25partition_config_selectorILNS1_17partition_subalgoE4EjNS0_10empty_typeEbEEZZNS1_14partition_implILS8_4ELb0ES6_15HIP_vector_typeIjLj2EENS0_17counting_iteratorIjlEEPS9_SG_NS0_5tupleIJPjSI_NS0_16reverse_iteratorISI_EEEEENSH_IJSG_SG_SG_EEES9_SI_JZNS1_25segmented_radix_sort_implINS0_14default_configELb1EPKhPhPKlPlN2at6native12_GLOBAL__N_18offset_tEEE10hipError_tPvRmT1_PNSt15iterator_traitsIS12_E10value_typeET2_T3_PNS13_IS18_E10value_typeET4_jRbjT5_S1E_jjP12ihipStream_tbEUljE_ZNSN_ISO_Lb1ESQ_SR_ST_SU_SY_EESZ_S10_S11_S12_S16_S17_S18_S1B_S1C_jS1D_jS1E_S1E_jjS1G_bEUljE0_EEESZ_S10_S11_S18_S1C_S1E_T6_T7_T9_mT8_S1G_bDpT10_ENKUlT_T0_E_clISt17integral_constantIbLb0EES1U_EEDaS1P_S1Q_EUlS1P_E_NS1_11comp_targetILNS1_3genE4ELNS1_11target_archE910ELNS1_3gpuE8ELNS1_3repE0EEENS1_30default_config_static_selectorELNS0_4arch9wavefront6targetE0EEEvS12_,comdat
.Lfunc_end6:
	.size	_ZN7rocprim17ROCPRIM_400000_NS6detail17trampoline_kernelINS0_13select_configILj256ELj13ELNS0_17block_load_methodE3ELS4_3ELS4_3ELNS0_20block_scan_algorithmE0ELj4294967295EEENS1_25partition_config_selectorILNS1_17partition_subalgoE4EjNS0_10empty_typeEbEEZZNS1_14partition_implILS8_4ELb0ES6_15HIP_vector_typeIjLj2EENS0_17counting_iteratorIjlEEPS9_SG_NS0_5tupleIJPjSI_NS0_16reverse_iteratorISI_EEEEENSH_IJSG_SG_SG_EEES9_SI_JZNS1_25segmented_radix_sort_implINS0_14default_configELb1EPKhPhPKlPlN2at6native12_GLOBAL__N_18offset_tEEE10hipError_tPvRmT1_PNSt15iterator_traitsIS12_E10value_typeET2_T3_PNS13_IS18_E10value_typeET4_jRbjT5_S1E_jjP12ihipStream_tbEUljE_ZNSN_ISO_Lb1ESQ_SR_ST_SU_SY_EESZ_S10_S11_S12_S16_S17_S18_S1B_S1C_jS1D_jS1E_S1E_jjS1G_bEUljE0_EEESZ_S10_S11_S18_S1C_S1E_T6_T7_T9_mT8_S1G_bDpT10_ENKUlT_T0_E_clISt17integral_constantIbLb0EES1U_EEDaS1P_S1Q_EUlS1P_E_NS1_11comp_targetILNS1_3genE4ELNS1_11target_archE910ELNS1_3gpuE8ELNS1_3repE0EEENS1_30default_config_static_selectorELNS0_4arch9wavefront6targetE0EEEvS12_, .Lfunc_end6-_ZN7rocprim17ROCPRIM_400000_NS6detail17trampoline_kernelINS0_13select_configILj256ELj13ELNS0_17block_load_methodE3ELS4_3ELS4_3ELNS0_20block_scan_algorithmE0ELj4294967295EEENS1_25partition_config_selectorILNS1_17partition_subalgoE4EjNS0_10empty_typeEbEEZZNS1_14partition_implILS8_4ELb0ES6_15HIP_vector_typeIjLj2EENS0_17counting_iteratorIjlEEPS9_SG_NS0_5tupleIJPjSI_NS0_16reverse_iteratorISI_EEEEENSH_IJSG_SG_SG_EEES9_SI_JZNS1_25segmented_radix_sort_implINS0_14default_configELb1EPKhPhPKlPlN2at6native12_GLOBAL__N_18offset_tEEE10hipError_tPvRmT1_PNSt15iterator_traitsIS12_E10value_typeET2_T3_PNS13_IS18_E10value_typeET4_jRbjT5_S1E_jjP12ihipStream_tbEUljE_ZNSN_ISO_Lb1ESQ_SR_ST_SU_SY_EESZ_S10_S11_S12_S16_S17_S18_S1B_S1C_jS1D_jS1E_S1E_jjS1G_bEUljE0_EEESZ_S10_S11_S18_S1C_S1E_T6_T7_T9_mT8_S1G_bDpT10_ENKUlT_T0_E_clISt17integral_constantIbLb0EES1U_EEDaS1P_S1Q_EUlS1P_E_NS1_11comp_targetILNS1_3genE4ELNS1_11target_archE910ELNS1_3gpuE8ELNS1_3repE0EEENS1_30default_config_static_selectorELNS0_4arch9wavefront6targetE0EEEvS12_
                                        ; -- End function
	.set _ZN7rocprim17ROCPRIM_400000_NS6detail17trampoline_kernelINS0_13select_configILj256ELj13ELNS0_17block_load_methodE3ELS4_3ELS4_3ELNS0_20block_scan_algorithmE0ELj4294967295EEENS1_25partition_config_selectorILNS1_17partition_subalgoE4EjNS0_10empty_typeEbEEZZNS1_14partition_implILS8_4ELb0ES6_15HIP_vector_typeIjLj2EENS0_17counting_iteratorIjlEEPS9_SG_NS0_5tupleIJPjSI_NS0_16reverse_iteratorISI_EEEEENSH_IJSG_SG_SG_EEES9_SI_JZNS1_25segmented_radix_sort_implINS0_14default_configELb1EPKhPhPKlPlN2at6native12_GLOBAL__N_18offset_tEEE10hipError_tPvRmT1_PNSt15iterator_traitsIS12_E10value_typeET2_T3_PNS13_IS18_E10value_typeET4_jRbjT5_S1E_jjP12ihipStream_tbEUljE_ZNSN_ISO_Lb1ESQ_SR_ST_SU_SY_EESZ_S10_S11_S12_S16_S17_S18_S1B_S1C_jS1D_jS1E_S1E_jjS1G_bEUljE0_EEESZ_S10_S11_S18_S1C_S1E_T6_T7_T9_mT8_S1G_bDpT10_ENKUlT_T0_E_clISt17integral_constantIbLb0EES1U_EEDaS1P_S1Q_EUlS1P_E_NS1_11comp_targetILNS1_3genE4ELNS1_11target_archE910ELNS1_3gpuE8ELNS1_3repE0EEENS1_30default_config_static_selectorELNS0_4arch9wavefront6targetE0EEEvS12_.num_vgpr, 0
	.set _ZN7rocprim17ROCPRIM_400000_NS6detail17trampoline_kernelINS0_13select_configILj256ELj13ELNS0_17block_load_methodE3ELS4_3ELS4_3ELNS0_20block_scan_algorithmE0ELj4294967295EEENS1_25partition_config_selectorILNS1_17partition_subalgoE4EjNS0_10empty_typeEbEEZZNS1_14partition_implILS8_4ELb0ES6_15HIP_vector_typeIjLj2EENS0_17counting_iteratorIjlEEPS9_SG_NS0_5tupleIJPjSI_NS0_16reverse_iteratorISI_EEEEENSH_IJSG_SG_SG_EEES9_SI_JZNS1_25segmented_radix_sort_implINS0_14default_configELb1EPKhPhPKlPlN2at6native12_GLOBAL__N_18offset_tEEE10hipError_tPvRmT1_PNSt15iterator_traitsIS12_E10value_typeET2_T3_PNS13_IS18_E10value_typeET4_jRbjT5_S1E_jjP12ihipStream_tbEUljE_ZNSN_ISO_Lb1ESQ_SR_ST_SU_SY_EESZ_S10_S11_S12_S16_S17_S18_S1B_S1C_jS1D_jS1E_S1E_jjS1G_bEUljE0_EEESZ_S10_S11_S18_S1C_S1E_T6_T7_T9_mT8_S1G_bDpT10_ENKUlT_T0_E_clISt17integral_constantIbLb0EES1U_EEDaS1P_S1Q_EUlS1P_E_NS1_11comp_targetILNS1_3genE4ELNS1_11target_archE910ELNS1_3gpuE8ELNS1_3repE0EEENS1_30default_config_static_selectorELNS0_4arch9wavefront6targetE0EEEvS12_.num_agpr, 0
	.set _ZN7rocprim17ROCPRIM_400000_NS6detail17trampoline_kernelINS0_13select_configILj256ELj13ELNS0_17block_load_methodE3ELS4_3ELS4_3ELNS0_20block_scan_algorithmE0ELj4294967295EEENS1_25partition_config_selectorILNS1_17partition_subalgoE4EjNS0_10empty_typeEbEEZZNS1_14partition_implILS8_4ELb0ES6_15HIP_vector_typeIjLj2EENS0_17counting_iteratorIjlEEPS9_SG_NS0_5tupleIJPjSI_NS0_16reverse_iteratorISI_EEEEENSH_IJSG_SG_SG_EEES9_SI_JZNS1_25segmented_radix_sort_implINS0_14default_configELb1EPKhPhPKlPlN2at6native12_GLOBAL__N_18offset_tEEE10hipError_tPvRmT1_PNSt15iterator_traitsIS12_E10value_typeET2_T3_PNS13_IS18_E10value_typeET4_jRbjT5_S1E_jjP12ihipStream_tbEUljE_ZNSN_ISO_Lb1ESQ_SR_ST_SU_SY_EESZ_S10_S11_S12_S16_S17_S18_S1B_S1C_jS1D_jS1E_S1E_jjS1G_bEUljE0_EEESZ_S10_S11_S18_S1C_S1E_T6_T7_T9_mT8_S1G_bDpT10_ENKUlT_T0_E_clISt17integral_constantIbLb0EES1U_EEDaS1P_S1Q_EUlS1P_E_NS1_11comp_targetILNS1_3genE4ELNS1_11target_archE910ELNS1_3gpuE8ELNS1_3repE0EEENS1_30default_config_static_selectorELNS0_4arch9wavefront6targetE0EEEvS12_.numbered_sgpr, 0
	.set _ZN7rocprim17ROCPRIM_400000_NS6detail17trampoline_kernelINS0_13select_configILj256ELj13ELNS0_17block_load_methodE3ELS4_3ELS4_3ELNS0_20block_scan_algorithmE0ELj4294967295EEENS1_25partition_config_selectorILNS1_17partition_subalgoE4EjNS0_10empty_typeEbEEZZNS1_14partition_implILS8_4ELb0ES6_15HIP_vector_typeIjLj2EENS0_17counting_iteratorIjlEEPS9_SG_NS0_5tupleIJPjSI_NS0_16reverse_iteratorISI_EEEEENSH_IJSG_SG_SG_EEES9_SI_JZNS1_25segmented_radix_sort_implINS0_14default_configELb1EPKhPhPKlPlN2at6native12_GLOBAL__N_18offset_tEEE10hipError_tPvRmT1_PNSt15iterator_traitsIS12_E10value_typeET2_T3_PNS13_IS18_E10value_typeET4_jRbjT5_S1E_jjP12ihipStream_tbEUljE_ZNSN_ISO_Lb1ESQ_SR_ST_SU_SY_EESZ_S10_S11_S12_S16_S17_S18_S1B_S1C_jS1D_jS1E_S1E_jjS1G_bEUljE0_EEESZ_S10_S11_S18_S1C_S1E_T6_T7_T9_mT8_S1G_bDpT10_ENKUlT_T0_E_clISt17integral_constantIbLb0EES1U_EEDaS1P_S1Q_EUlS1P_E_NS1_11comp_targetILNS1_3genE4ELNS1_11target_archE910ELNS1_3gpuE8ELNS1_3repE0EEENS1_30default_config_static_selectorELNS0_4arch9wavefront6targetE0EEEvS12_.num_named_barrier, 0
	.set _ZN7rocprim17ROCPRIM_400000_NS6detail17trampoline_kernelINS0_13select_configILj256ELj13ELNS0_17block_load_methodE3ELS4_3ELS4_3ELNS0_20block_scan_algorithmE0ELj4294967295EEENS1_25partition_config_selectorILNS1_17partition_subalgoE4EjNS0_10empty_typeEbEEZZNS1_14partition_implILS8_4ELb0ES6_15HIP_vector_typeIjLj2EENS0_17counting_iteratorIjlEEPS9_SG_NS0_5tupleIJPjSI_NS0_16reverse_iteratorISI_EEEEENSH_IJSG_SG_SG_EEES9_SI_JZNS1_25segmented_radix_sort_implINS0_14default_configELb1EPKhPhPKlPlN2at6native12_GLOBAL__N_18offset_tEEE10hipError_tPvRmT1_PNSt15iterator_traitsIS12_E10value_typeET2_T3_PNS13_IS18_E10value_typeET4_jRbjT5_S1E_jjP12ihipStream_tbEUljE_ZNSN_ISO_Lb1ESQ_SR_ST_SU_SY_EESZ_S10_S11_S12_S16_S17_S18_S1B_S1C_jS1D_jS1E_S1E_jjS1G_bEUljE0_EEESZ_S10_S11_S18_S1C_S1E_T6_T7_T9_mT8_S1G_bDpT10_ENKUlT_T0_E_clISt17integral_constantIbLb0EES1U_EEDaS1P_S1Q_EUlS1P_E_NS1_11comp_targetILNS1_3genE4ELNS1_11target_archE910ELNS1_3gpuE8ELNS1_3repE0EEENS1_30default_config_static_selectorELNS0_4arch9wavefront6targetE0EEEvS12_.private_seg_size, 0
	.set _ZN7rocprim17ROCPRIM_400000_NS6detail17trampoline_kernelINS0_13select_configILj256ELj13ELNS0_17block_load_methodE3ELS4_3ELS4_3ELNS0_20block_scan_algorithmE0ELj4294967295EEENS1_25partition_config_selectorILNS1_17partition_subalgoE4EjNS0_10empty_typeEbEEZZNS1_14partition_implILS8_4ELb0ES6_15HIP_vector_typeIjLj2EENS0_17counting_iteratorIjlEEPS9_SG_NS0_5tupleIJPjSI_NS0_16reverse_iteratorISI_EEEEENSH_IJSG_SG_SG_EEES9_SI_JZNS1_25segmented_radix_sort_implINS0_14default_configELb1EPKhPhPKlPlN2at6native12_GLOBAL__N_18offset_tEEE10hipError_tPvRmT1_PNSt15iterator_traitsIS12_E10value_typeET2_T3_PNS13_IS18_E10value_typeET4_jRbjT5_S1E_jjP12ihipStream_tbEUljE_ZNSN_ISO_Lb1ESQ_SR_ST_SU_SY_EESZ_S10_S11_S12_S16_S17_S18_S1B_S1C_jS1D_jS1E_S1E_jjS1G_bEUljE0_EEESZ_S10_S11_S18_S1C_S1E_T6_T7_T9_mT8_S1G_bDpT10_ENKUlT_T0_E_clISt17integral_constantIbLb0EES1U_EEDaS1P_S1Q_EUlS1P_E_NS1_11comp_targetILNS1_3genE4ELNS1_11target_archE910ELNS1_3gpuE8ELNS1_3repE0EEENS1_30default_config_static_selectorELNS0_4arch9wavefront6targetE0EEEvS12_.uses_vcc, 0
	.set _ZN7rocprim17ROCPRIM_400000_NS6detail17trampoline_kernelINS0_13select_configILj256ELj13ELNS0_17block_load_methodE3ELS4_3ELS4_3ELNS0_20block_scan_algorithmE0ELj4294967295EEENS1_25partition_config_selectorILNS1_17partition_subalgoE4EjNS0_10empty_typeEbEEZZNS1_14partition_implILS8_4ELb0ES6_15HIP_vector_typeIjLj2EENS0_17counting_iteratorIjlEEPS9_SG_NS0_5tupleIJPjSI_NS0_16reverse_iteratorISI_EEEEENSH_IJSG_SG_SG_EEES9_SI_JZNS1_25segmented_radix_sort_implINS0_14default_configELb1EPKhPhPKlPlN2at6native12_GLOBAL__N_18offset_tEEE10hipError_tPvRmT1_PNSt15iterator_traitsIS12_E10value_typeET2_T3_PNS13_IS18_E10value_typeET4_jRbjT5_S1E_jjP12ihipStream_tbEUljE_ZNSN_ISO_Lb1ESQ_SR_ST_SU_SY_EESZ_S10_S11_S12_S16_S17_S18_S1B_S1C_jS1D_jS1E_S1E_jjS1G_bEUljE0_EEESZ_S10_S11_S18_S1C_S1E_T6_T7_T9_mT8_S1G_bDpT10_ENKUlT_T0_E_clISt17integral_constantIbLb0EES1U_EEDaS1P_S1Q_EUlS1P_E_NS1_11comp_targetILNS1_3genE4ELNS1_11target_archE910ELNS1_3gpuE8ELNS1_3repE0EEENS1_30default_config_static_selectorELNS0_4arch9wavefront6targetE0EEEvS12_.uses_flat_scratch, 0
	.set _ZN7rocprim17ROCPRIM_400000_NS6detail17trampoline_kernelINS0_13select_configILj256ELj13ELNS0_17block_load_methodE3ELS4_3ELS4_3ELNS0_20block_scan_algorithmE0ELj4294967295EEENS1_25partition_config_selectorILNS1_17partition_subalgoE4EjNS0_10empty_typeEbEEZZNS1_14partition_implILS8_4ELb0ES6_15HIP_vector_typeIjLj2EENS0_17counting_iteratorIjlEEPS9_SG_NS0_5tupleIJPjSI_NS0_16reverse_iteratorISI_EEEEENSH_IJSG_SG_SG_EEES9_SI_JZNS1_25segmented_radix_sort_implINS0_14default_configELb1EPKhPhPKlPlN2at6native12_GLOBAL__N_18offset_tEEE10hipError_tPvRmT1_PNSt15iterator_traitsIS12_E10value_typeET2_T3_PNS13_IS18_E10value_typeET4_jRbjT5_S1E_jjP12ihipStream_tbEUljE_ZNSN_ISO_Lb1ESQ_SR_ST_SU_SY_EESZ_S10_S11_S12_S16_S17_S18_S1B_S1C_jS1D_jS1E_S1E_jjS1G_bEUljE0_EEESZ_S10_S11_S18_S1C_S1E_T6_T7_T9_mT8_S1G_bDpT10_ENKUlT_T0_E_clISt17integral_constantIbLb0EES1U_EEDaS1P_S1Q_EUlS1P_E_NS1_11comp_targetILNS1_3genE4ELNS1_11target_archE910ELNS1_3gpuE8ELNS1_3repE0EEENS1_30default_config_static_selectorELNS0_4arch9wavefront6targetE0EEEvS12_.has_dyn_sized_stack, 0
	.set _ZN7rocprim17ROCPRIM_400000_NS6detail17trampoline_kernelINS0_13select_configILj256ELj13ELNS0_17block_load_methodE3ELS4_3ELS4_3ELNS0_20block_scan_algorithmE0ELj4294967295EEENS1_25partition_config_selectorILNS1_17partition_subalgoE4EjNS0_10empty_typeEbEEZZNS1_14partition_implILS8_4ELb0ES6_15HIP_vector_typeIjLj2EENS0_17counting_iteratorIjlEEPS9_SG_NS0_5tupleIJPjSI_NS0_16reverse_iteratorISI_EEEEENSH_IJSG_SG_SG_EEES9_SI_JZNS1_25segmented_radix_sort_implINS0_14default_configELb1EPKhPhPKlPlN2at6native12_GLOBAL__N_18offset_tEEE10hipError_tPvRmT1_PNSt15iterator_traitsIS12_E10value_typeET2_T3_PNS13_IS18_E10value_typeET4_jRbjT5_S1E_jjP12ihipStream_tbEUljE_ZNSN_ISO_Lb1ESQ_SR_ST_SU_SY_EESZ_S10_S11_S12_S16_S17_S18_S1B_S1C_jS1D_jS1E_S1E_jjS1G_bEUljE0_EEESZ_S10_S11_S18_S1C_S1E_T6_T7_T9_mT8_S1G_bDpT10_ENKUlT_T0_E_clISt17integral_constantIbLb0EES1U_EEDaS1P_S1Q_EUlS1P_E_NS1_11comp_targetILNS1_3genE4ELNS1_11target_archE910ELNS1_3gpuE8ELNS1_3repE0EEENS1_30default_config_static_selectorELNS0_4arch9wavefront6targetE0EEEvS12_.has_recursion, 0
	.set _ZN7rocprim17ROCPRIM_400000_NS6detail17trampoline_kernelINS0_13select_configILj256ELj13ELNS0_17block_load_methodE3ELS4_3ELS4_3ELNS0_20block_scan_algorithmE0ELj4294967295EEENS1_25partition_config_selectorILNS1_17partition_subalgoE4EjNS0_10empty_typeEbEEZZNS1_14partition_implILS8_4ELb0ES6_15HIP_vector_typeIjLj2EENS0_17counting_iteratorIjlEEPS9_SG_NS0_5tupleIJPjSI_NS0_16reverse_iteratorISI_EEEEENSH_IJSG_SG_SG_EEES9_SI_JZNS1_25segmented_radix_sort_implINS0_14default_configELb1EPKhPhPKlPlN2at6native12_GLOBAL__N_18offset_tEEE10hipError_tPvRmT1_PNSt15iterator_traitsIS12_E10value_typeET2_T3_PNS13_IS18_E10value_typeET4_jRbjT5_S1E_jjP12ihipStream_tbEUljE_ZNSN_ISO_Lb1ESQ_SR_ST_SU_SY_EESZ_S10_S11_S12_S16_S17_S18_S1B_S1C_jS1D_jS1E_S1E_jjS1G_bEUljE0_EEESZ_S10_S11_S18_S1C_S1E_T6_T7_T9_mT8_S1G_bDpT10_ENKUlT_T0_E_clISt17integral_constantIbLb0EES1U_EEDaS1P_S1Q_EUlS1P_E_NS1_11comp_targetILNS1_3genE4ELNS1_11target_archE910ELNS1_3gpuE8ELNS1_3repE0EEENS1_30default_config_static_selectorELNS0_4arch9wavefront6targetE0EEEvS12_.has_indirect_call, 0
	.section	.AMDGPU.csdata,"",@progbits
; Kernel info:
; codeLenInByte = 0
; TotalNumSgprs: 0
; NumVgprs: 0
; ScratchSize: 0
; MemoryBound: 0
; FloatMode: 240
; IeeeMode: 1
; LDSByteSize: 0 bytes/workgroup (compile time only)
; SGPRBlocks: 0
; VGPRBlocks: 0
; NumSGPRsForWavesPerEU: 1
; NumVGPRsForWavesPerEU: 1
; Occupancy: 16
; WaveLimiterHint : 0
; COMPUTE_PGM_RSRC2:SCRATCH_EN: 0
; COMPUTE_PGM_RSRC2:USER_SGPR: 2
; COMPUTE_PGM_RSRC2:TRAP_HANDLER: 0
; COMPUTE_PGM_RSRC2:TGID_X_EN: 1
; COMPUTE_PGM_RSRC2:TGID_Y_EN: 0
; COMPUTE_PGM_RSRC2:TGID_Z_EN: 0
; COMPUTE_PGM_RSRC2:TIDIG_COMP_CNT: 0
	.section	.text._ZN7rocprim17ROCPRIM_400000_NS6detail17trampoline_kernelINS0_13select_configILj256ELj13ELNS0_17block_load_methodE3ELS4_3ELS4_3ELNS0_20block_scan_algorithmE0ELj4294967295EEENS1_25partition_config_selectorILNS1_17partition_subalgoE4EjNS0_10empty_typeEbEEZZNS1_14partition_implILS8_4ELb0ES6_15HIP_vector_typeIjLj2EENS0_17counting_iteratorIjlEEPS9_SG_NS0_5tupleIJPjSI_NS0_16reverse_iteratorISI_EEEEENSH_IJSG_SG_SG_EEES9_SI_JZNS1_25segmented_radix_sort_implINS0_14default_configELb1EPKhPhPKlPlN2at6native12_GLOBAL__N_18offset_tEEE10hipError_tPvRmT1_PNSt15iterator_traitsIS12_E10value_typeET2_T3_PNS13_IS18_E10value_typeET4_jRbjT5_S1E_jjP12ihipStream_tbEUljE_ZNSN_ISO_Lb1ESQ_SR_ST_SU_SY_EESZ_S10_S11_S12_S16_S17_S18_S1B_S1C_jS1D_jS1E_S1E_jjS1G_bEUljE0_EEESZ_S10_S11_S18_S1C_S1E_T6_T7_T9_mT8_S1G_bDpT10_ENKUlT_T0_E_clISt17integral_constantIbLb0EES1U_EEDaS1P_S1Q_EUlS1P_E_NS1_11comp_targetILNS1_3genE3ELNS1_11target_archE908ELNS1_3gpuE7ELNS1_3repE0EEENS1_30default_config_static_selectorELNS0_4arch9wavefront6targetE0EEEvS12_,"axG",@progbits,_ZN7rocprim17ROCPRIM_400000_NS6detail17trampoline_kernelINS0_13select_configILj256ELj13ELNS0_17block_load_methodE3ELS4_3ELS4_3ELNS0_20block_scan_algorithmE0ELj4294967295EEENS1_25partition_config_selectorILNS1_17partition_subalgoE4EjNS0_10empty_typeEbEEZZNS1_14partition_implILS8_4ELb0ES6_15HIP_vector_typeIjLj2EENS0_17counting_iteratorIjlEEPS9_SG_NS0_5tupleIJPjSI_NS0_16reverse_iteratorISI_EEEEENSH_IJSG_SG_SG_EEES9_SI_JZNS1_25segmented_radix_sort_implINS0_14default_configELb1EPKhPhPKlPlN2at6native12_GLOBAL__N_18offset_tEEE10hipError_tPvRmT1_PNSt15iterator_traitsIS12_E10value_typeET2_T3_PNS13_IS18_E10value_typeET4_jRbjT5_S1E_jjP12ihipStream_tbEUljE_ZNSN_ISO_Lb1ESQ_SR_ST_SU_SY_EESZ_S10_S11_S12_S16_S17_S18_S1B_S1C_jS1D_jS1E_S1E_jjS1G_bEUljE0_EEESZ_S10_S11_S18_S1C_S1E_T6_T7_T9_mT8_S1G_bDpT10_ENKUlT_T0_E_clISt17integral_constantIbLb0EES1U_EEDaS1P_S1Q_EUlS1P_E_NS1_11comp_targetILNS1_3genE3ELNS1_11target_archE908ELNS1_3gpuE7ELNS1_3repE0EEENS1_30default_config_static_selectorELNS0_4arch9wavefront6targetE0EEEvS12_,comdat
	.globl	_ZN7rocprim17ROCPRIM_400000_NS6detail17trampoline_kernelINS0_13select_configILj256ELj13ELNS0_17block_load_methodE3ELS4_3ELS4_3ELNS0_20block_scan_algorithmE0ELj4294967295EEENS1_25partition_config_selectorILNS1_17partition_subalgoE4EjNS0_10empty_typeEbEEZZNS1_14partition_implILS8_4ELb0ES6_15HIP_vector_typeIjLj2EENS0_17counting_iteratorIjlEEPS9_SG_NS0_5tupleIJPjSI_NS0_16reverse_iteratorISI_EEEEENSH_IJSG_SG_SG_EEES9_SI_JZNS1_25segmented_radix_sort_implINS0_14default_configELb1EPKhPhPKlPlN2at6native12_GLOBAL__N_18offset_tEEE10hipError_tPvRmT1_PNSt15iterator_traitsIS12_E10value_typeET2_T3_PNS13_IS18_E10value_typeET4_jRbjT5_S1E_jjP12ihipStream_tbEUljE_ZNSN_ISO_Lb1ESQ_SR_ST_SU_SY_EESZ_S10_S11_S12_S16_S17_S18_S1B_S1C_jS1D_jS1E_S1E_jjS1G_bEUljE0_EEESZ_S10_S11_S18_S1C_S1E_T6_T7_T9_mT8_S1G_bDpT10_ENKUlT_T0_E_clISt17integral_constantIbLb0EES1U_EEDaS1P_S1Q_EUlS1P_E_NS1_11comp_targetILNS1_3genE3ELNS1_11target_archE908ELNS1_3gpuE7ELNS1_3repE0EEENS1_30default_config_static_selectorELNS0_4arch9wavefront6targetE0EEEvS12_ ; -- Begin function _ZN7rocprim17ROCPRIM_400000_NS6detail17trampoline_kernelINS0_13select_configILj256ELj13ELNS0_17block_load_methodE3ELS4_3ELS4_3ELNS0_20block_scan_algorithmE0ELj4294967295EEENS1_25partition_config_selectorILNS1_17partition_subalgoE4EjNS0_10empty_typeEbEEZZNS1_14partition_implILS8_4ELb0ES6_15HIP_vector_typeIjLj2EENS0_17counting_iteratorIjlEEPS9_SG_NS0_5tupleIJPjSI_NS0_16reverse_iteratorISI_EEEEENSH_IJSG_SG_SG_EEES9_SI_JZNS1_25segmented_radix_sort_implINS0_14default_configELb1EPKhPhPKlPlN2at6native12_GLOBAL__N_18offset_tEEE10hipError_tPvRmT1_PNSt15iterator_traitsIS12_E10value_typeET2_T3_PNS13_IS18_E10value_typeET4_jRbjT5_S1E_jjP12ihipStream_tbEUljE_ZNSN_ISO_Lb1ESQ_SR_ST_SU_SY_EESZ_S10_S11_S12_S16_S17_S18_S1B_S1C_jS1D_jS1E_S1E_jjS1G_bEUljE0_EEESZ_S10_S11_S18_S1C_S1E_T6_T7_T9_mT8_S1G_bDpT10_ENKUlT_T0_E_clISt17integral_constantIbLb0EES1U_EEDaS1P_S1Q_EUlS1P_E_NS1_11comp_targetILNS1_3genE3ELNS1_11target_archE908ELNS1_3gpuE7ELNS1_3repE0EEENS1_30default_config_static_selectorELNS0_4arch9wavefront6targetE0EEEvS12_
	.p2align	8
	.type	_ZN7rocprim17ROCPRIM_400000_NS6detail17trampoline_kernelINS0_13select_configILj256ELj13ELNS0_17block_load_methodE3ELS4_3ELS4_3ELNS0_20block_scan_algorithmE0ELj4294967295EEENS1_25partition_config_selectorILNS1_17partition_subalgoE4EjNS0_10empty_typeEbEEZZNS1_14partition_implILS8_4ELb0ES6_15HIP_vector_typeIjLj2EENS0_17counting_iteratorIjlEEPS9_SG_NS0_5tupleIJPjSI_NS0_16reverse_iteratorISI_EEEEENSH_IJSG_SG_SG_EEES9_SI_JZNS1_25segmented_radix_sort_implINS0_14default_configELb1EPKhPhPKlPlN2at6native12_GLOBAL__N_18offset_tEEE10hipError_tPvRmT1_PNSt15iterator_traitsIS12_E10value_typeET2_T3_PNS13_IS18_E10value_typeET4_jRbjT5_S1E_jjP12ihipStream_tbEUljE_ZNSN_ISO_Lb1ESQ_SR_ST_SU_SY_EESZ_S10_S11_S12_S16_S17_S18_S1B_S1C_jS1D_jS1E_S1E_jjS1G_bEUljE0_EEESZ_S10_S11_S18_S1C_S1E_T6_T7_T9_mT8_S1G_bDpT10_ENKUlT_T0_E_clISt17integral_constantIbLb0EES1U_EEDaS1P_S1Q_EUlS1P_E_NS1_11comp_targetILNS1_3genE3ELNS1_11target_archE908ELNS1_3gpuE7ELNS1_3repE0EEENS1_30default_config_static_selectorELNS0_4arch9wavefront6targetE0EEEvS12_,@function
_ZN7rocprim17ROCPRIM_400000_NS6detail17trampoline_kernelINS0_13select_configILj256ELj13ELNS0_17block_load_methodE3ELS4_3ELS4_3ELNS0_20block_scan_algorithmE0ELj4294967295EEENS1_25partition_config_selectorILNS1_17partition_subalgoE4EjNS0_10empty_typeEbEEZZNS1_14partition_implILS8_4ELb0ES6_15HIP_vector_typeIjLj2EENS0_17counting_iteratorIjlEEPS9_SG_NS0_5tupleIJPjSI_NS0_16reverse_iteratorISI_EEEEENSH_IJSG_SG_SG_EEES9_SI_JZNS1_25segmented_radix_sort_implINS0_14default_configELb1EPKhPhPKlPlN2at6native12_GLOBAL__N_18offset_tEEE10hipError_tPvRmT1_PNSt15iterator_traitsIS12_E10value_typeET2_T3_PNS13_IS18_E10value_typeET4_jRbjT5_S1E_jjP12ihipStream_tbEUljE_ZNSN_ISO_Lb1ESQ_SR_ST_SU_SY_EESZ_S10_S11_S12_S16_S17_S18_S1B_S1C_jS1D_jS1E_S1E_jjS1G_bEUljE0_EEESZ_S10_S11_S18_S1C_S1E_T6_T7_T9_mT8_S1G_bDpT10_ENKUlT_T0_E_clISt17integral_constantIbLb0EES1U_EEDaS1P_S1Q_EUlS1P_E_NS1_11comp_targetILNS1_3genE3ELNS1_11target_archE908ELNS1_3gpuE7ELNS1_3repE0EEENS1_30default_config_static_selectorELNS0_4arch9wavefront6targetE0EEEvS12_: ; @_ZN7rocprim17ROCPRIM_400000_NS6detail17trampoline_kernelINS0_13select_configILj256ELj13ELNS0_17block_load_methodE3ELS4_3ELS4_3ELNS0_20block_scan_algorithmE0ELj4294967295EEENS1_25partition_config_selectorILNS1_17partition_subalgoE4EjNS0_10empty_typeEbEEZZNS1_14partition_implILS8_4ELb0ES6_15HIP_vector_typeIjLj2EENS0_17counting_iteratorIjlEEPS9_SG_NS0_5tupleIJPjSI_NS0_16reverse_iteratorISI_EEEEENSH_IJSG_SG_SG_EEES9_SI_JZNS1_25segmented_radix_sort_implINS0_14default_configELb1EPKhPhPKlPlN2at6native12_GLOBAL__N_18offset_tEEE10hipError_tPvRmT1_PNSt15iterator_traitsIS12_E10value_typeET2_T3_PNS13_IS18_E10value_typeET4_jRbjT5_S1E_jjP12ihipStream_tbEUljE_ZNSN_ISO_Lb1ESQ_SR_ST_SU_SY_EESZ_S10_S11_S12_S16_S17_S18_S1B_S1C_jS1D_jS1E_S1E_jjS1G_bEUljE0_EEESZ_S10_S11_S18_S1C_S1E_T6_T7_T9_mT8_S1G_bDpT10_ENKUlT_T0_E_clISt17integral_constantIbLb0EES1U_EEDaS1P_S1Q_EUlS1P_E_NS1_11comp_targetILNS1_3genE3ELNS1_11target_archE908ELNS1_3gpuE7ELNS1_3repE0EEENS1_30default_config_static_selectorELNS0_4arch9wavefront6targetE0EEEvS12_
; %bb.0:
	.section	.rodata,"a",@progbits
	.p2align	6, 0x0
	.amdhsa_kernel _ZN7rocprim17ROCPRIM_400000_NS6detail17trampoline_kernelINS0_13select_configILj256ELj13ELNS0_17block_load_methodE3ELS4_3ELS4_3ELNS0_20block_scan_algorithmE0ELj4294967295EEENS1_25partition_config_selectorILNS1_17partition_subalgoE4EjNS0_10empty_typeEbEEZZNS1_14partition_implILS8_4ELb0ES6_15HIP_vector_typeIjLj2EENS0_17counting_iteratorIjlEEPS9_SG_NS0_5tupleIJPjSI_NS0_16reverse_iteratorISI_EEEEENSH_IJSG_SG_SG_EEES9_SI_JZNS1_25segmented_radix_sort_implINS0_14default_configELb1EPKhPhPKlPlN2at6native12_GLOBAL__N_18offset_tEEE10hipError_tPvRmT1_PNSt15iterator_traitsIS12_E10value_typeET2_T3_PNS13_IS18_E10value_typeET4_jRbjT5_S1E_jjP12ihipStream_tbEUljE_ZNSN_ISO_Lb1ESQ_SR_ST_SU_SY_EESZ_S10_S11_S12_S16_S17_S18_S1B_S1C_jS1D_jS1E_S1E_jjS1G_bEUljE0_EEESZ_S10_S11_S18_S1C_S1E_T6_T7_T9_mT8_S1G_bDpT10_ENKUlT_T0_E_clISt17integral_constantIbLb0EES1U_EEDaS1P_S1Q_EUlS1P_E_NS1_11comp_targetILNS1_3genE3ELNS1_11target_archE908ELNS1_3gpuE7ELNS1_3repE0EEENS1_30default_config_static_selectorELNS0_4arch9wavefront6targetE0EEEvS12_
		.amdhsa_group_segment_fixed_size 0
		.amdhsa_private_segment_fixed_size 0
		.amdhsa_kernarg_size 176
		.amdhsa_user_sgpr_count 2
		.amdhsa_user_sgpr_dispatch_ptr 0
		.amdhsa_user_sgpr_queue_ptr 0
		.amdhsa_user_sgpr_kernarg_segment_ptr 1
		.amdhsa_user_sgpr_dispatch_id 0
		.amdhsa_user_sgpr_private_segment_size 0
		.amdhsa_wavefront_size32 1
		.amdhsa_uses_dynamic_stack 0
		.amdhsa_enable_private_segment 0
		.amdhsa_system_sgpr_workgroup_id_x 1
		.amdhsa_system_sgpr_workgroup_id_y 0
		.amdhsa_system_sgpr_workgroup_id_z 0
		.amdhsa_system_sgpr_workgroup_info 0
		.amdhsa_system_vgpr_workitem_id 0
		.amdhsa_next_free_vgpr 1
		.amdhsa_next_free_sgpr 1
		.amdhsa_reserve_vcc 0
		.amdhsa_float_round_mode_32 0
		.amdhsa_float_round_mode_16_64 0
		.amdhsa_float_denorm_mode_32 3
		.amdhsa_float_denorm_mode_16_64 3
		.amdhsa_fp16_overflow 0
		.amdhsa_workgroup_processor_mode 1
		.amdhsa_memory_ordered 1
		.amdhsa_forward_progress 1
		.amdhsa_inst_pref_size 0
		.amdhsa_round_robin_scheduling 0
		.amdhsa_exception_fp_ieee_invalid_op 0
		.amdhsa_exception_fp_denorm_src 0
		.amdhsa_exception_fp_ieee_div_zero 0
		.amdhsa_exception_fp_ieee_overflow 0
		.amdhsa_exception_fp_ieee_underflow 0
		.amdhsa_exception_fp_ieee_inexact 0
		.amdhsa_exception_int_div_zero 0
	.end_amdhsa_kernel
	.section	.text._ZN7rocprim17ROCPRIM_400000_NS6detail17trampoline_kernelINS0_13select_configILj256ELj13ELNS0_17block_load_methodE3ELS4_3ELS4_3ELNS0_20block_scan_algorithmE0ELj4294967295EEENS1_25partition_config_selectorILNS1_17partition_subalgoE4EjNS0_10empty_typeEbEEZZNS1_14partition_implILS8_4ELb0ES6_15HIP_vector_typeIjLj2EENS0_17counting_iteratorIjlEEPS9_SG_NS0_5tupleIJPjSI_NS0_16reverse_iteratorISI_EEEEENSH_IJSG_SG_SG_EEES9_SI_JZNS1_25segmented_radix_sort_implINS0_14default_configELb1EPKhPhPKlPlN2at6native12_GLOBAL__N_18offset_tEEE10hipError_tPvRmT1_PNSt15iterator_traitsIS12_E10value_typeET2_T3_PNS13_IS18_E10value_typeET4_jRbjT5_S1E_jjP12ihipStream_tbEUljE_ZNSN_ISO_Lb1ESQ_SR_ST_SU_SY_EESZ_S10_S11_S12_S16_S17_S18_S1B_S1C_jS1D_jS1E_S1E_jjS1G_bEUljE0_EEESZ_S10_S11_S18_S1C_S1E_T6_T7_T9_mT8_S1G_bDpT10_ENKUlT_T0_E_clISt17integral_constantIbLb0EES1U_EEDaS1P_S1Q_EUlS1P_E_NS1_11comp_targetILNS1_3genE3ELNS1_11target_archE908ELNS1_3gpuE7ELNS1_3repE0EEENS1_30default_config_static_selectorELNS0_4arch9wavefront6targetE0EEEvS12_,"axG",@progbits,_ZN7rocprim17ROCPRIM_400000_NS6detail17trampoline_kernelINS0_13select_configILj256ELj13ELNS0_17block_load_methodE3ELS4_3ELS4_3ELNS0_20block_scan_algorithmE0ELj4294967295EEENS1_25partition_config_selectorILNS1_17partition_subalgoE4EjNS0_10empty_typeEbEEZZNS1_14partition_implILS8_4ELb0ES6_15HIP_vector_typeIjLj2EENS0_17counting_iteratorIjlEEPS9_SG_NS0_5tupleIJPjSI_NS0_16reverse_iteratorISI_EEEEENSH_IJSG_SG_SG_EEES9_SI_JZNS1_25segmented_radix_sort_implINS0_14default_configELb1EPKhPhPKlPlN2at6native12_GLOBAL__N_18offset_tEEE10hipError_tPvRmT1_PNSt15iterator_traitsIS12_E10value_typeET2_T3_PNS13_IS18_E10value_typeET4_jRbjT5_S1E_jjP12ihipStream_tbEUljE_ZNSN_ISO_Lb1ESQ_SR_ST_SU_SY_EESZ_S10_S11_S12_S16_S17_S18_S1B_S1C_jS1D_jS1E_S1E_jjS1G_bEUljE0_EEESZ_S10_S11_S18_S1C_S1E_T6_T7_T9_mT8_S1G_bDpT10_ENKUlT_T0_E_clISt17integral_constantIbLb0EES1U_EEDaS1P_S1Q_EUlS1P_E_NS1_11comp_targetILNS1_3genE3ELNS1_11target_archE908ELNS1_3gpuE7ELNS1_3repE0EEENS1_30default_config_static_selectorELNS0_4arch9wavefront6targetE0EEEvS12_,comdat
.Lfunc_end7:
	.size	_ZN7rocprim17ROCPRIM_400000_NS6detail17trampoline_kernelINS0_13select_configILj256ELj13ELNS0_17block_load_methodE3ELS4_3ELS4_3ELNS0_20block_scan_algorithmE0ELj4294967295EEENS1_25partition_config_selectorILNS1_17partition_subalgoE4EjNS0_10empty_typeEbEEZZNS1_14partition_implILS8_4ELb0ES6_15HIP_vector_typeIjLj2EENS0_17counting_iteratorIjlEEPS9_SG_NS0_5tupleIJPjSI_NS0_16reverse_iteratorISI_EEEEENSH_IJSG_SG_SG_EEES9_SI_JZNS1_25segmented_radix_sort_implINS0_14default_configELb1EPKhPhPKlPlN2at6native12_GLOBAL__N_18offset_tEEE10hipError_tPvRmT1_PNSt15iterator_traitsIS12_E10value_typeET2_T3_PNS13_IS18_E10value_typeET4_jRbjT5_S1E_jjP12ihipStream_tbEUljE_ZNSN_ISO_Lb1ESQ_SR_ST_SU_SY_EESZ_S10_S11_S12_S16_S17_S18_S1B_S1C_jS1D_jS1E_S1E_jjS1G_bEUljE0_EEESZ_S10_S11_S18_S1C_S1E_T6_T7_T9_mT8_S1G_bDpT10_ENKUlT_T0_E_clISt17integral_constantIbLb0EES1U_EEDaS1P_S1Q_EUlS1P_E_NS1_11comp_targetILNS1_3genE3ELNS1_11target_archE908ELNS1_3gpuE7ELNS1_3repE0EEENS1_30default_config_static_selectorELNS0_4arch9wavefront6targetE0EEEvS12_, .Lfunc_end7-_ZN7rocprim17ROCPRIM_400000_NS6detail17trampoline_kernelINS0_13select_configILj256ELj13ELNS0_17block_load_methodE3ELS4_3ELS4_3ELNS0_20block_scan_algorithmE0ELj4294967295EEENS1_25partition_config_selectorILNS1_17partition_subalgoE4EjNS0_10empty_typeEbEEZZNS1_14partition_implILS8_4ELb0ES6_15HIP_vector_typeIjLj2EENS0_17counting_iteratorIjlEEPS9_SG_NS0_5tupleIJPjSI_NS0_16reverse_iteratorISI_EEEEENSH_IJSG_SG_SG_EEES9_SI_JZNS1_25segmented_radix_sort_implINS0_14default_configELb1EPKhPhPKlPlN2at6native12_GLOBAL__N_18offset_tEEE10hipError_tPvRmT1_PNSt15iterator_traitsIS12_E10value_typeET2_T3_PNS13_IS18_E10value_typeET4_jRbjT5_S1E_jjP12ihipStream_tbEUljE_ZNSN_ISO_Lb1ESQ_SR_ST_SU_SY_EESZ_S10_S11_S12_S16_S17_S18_S1B_S1C_jS1D_jS1E_S1E_jjS1G_bEUljE0_EEESZ_S10_S11_S18_S1C_S1E_T6_T7_T9_mT8_S1G_bDpT10_ENKUlT_T0_E_clISt17integral_constantIbLb0EES1U_EEDaS1P_S1Q_EUlS1P_E_NS1_11comp_targetILNS1_3genE3ELNS1_11target_archE908ELNS1_3gpuE7ELNS1_3repE0EEENS1_30default_config_static_selectorELNS0_4arch9wavefront6targetE0EEEvS12_
                                        ; -- End function
	.set _ZN7rocprim17ROCPRIM_400000_NS6detail17trampoline_kernelINS0_13select_configILj256ELj13ELNS0_17block_load_methodE3ELS4_3ELS4_3ELNS0_20block_scan_algorithmE0ELj4294967295EEENS1_25partition_config_selectorILNS1_17partition_subalgoE4EjNS0_10empty_typeEbEEZZNS1_14partition_implILS8_4ELb0ES6_15HIP_vector_typeIjLj2EENS0_17counting_iteratorIjlEEPS9_SG_NS0_5tupleIJPjSI_NS0_16reverse_iteratorISI_EEEEENSH_IJSG_SG_SG_EEES9_SI_JZNS1_25segmented_radix_sort_implINS0_14default_configELb1EPKhPhPKlPlN2at6native12_GLOBAL__N_18offset_tEEE10hipError_tPvRmT1_PNSt15iterator_traitsIS12_E10value_typeET2_T3_PNS13_IS18_E10value_typeET4_jRbjT5_S1E_jjP12ihipStream_tbEUljE_ZNSN_ISO_Lb1ESQ_SR_ST_SU_SY_EESZ_S10_S11_S12_S16_S17_S18_S1B_S1C_jS1D_jS1E_S1E_jjS1G_bEUljE0_EEESZ_S10_S11_S18_S1C_S1E_T6_T7_T9_mT8_S1G_bDpT10_ENKUlT_T0_E_clISt17integral_constantIbLb0EES1U_EEDaS1P_S1Q_EUlS1P_E_NS1_11comp_targetILNS1_3genE3ELNS1_11target_archE908ELNS1_3gpuE7ELNS1_3repE0EEENS1_30default_config_static_selectorELNS0_4arch9wavefront6targetE0EEEvS12_.num_vgpr, 0
	.set _ZN7rocprim17ROCPRIM_400000_NS6detail17trampoline_kernelINS0_13select_configILj256ELj13ELNS0_17block_load_methodE3ELS4_3ELS4_3ELNS0_20block_scan_algorithmE0ELj4294967295EEENS1_25partition_config_selectorILNS1_17partition_subalgoE4EjNS0_10empty_typeEbEEZZNS1_14partition_implILS8_4ELb0ES6_15HIP_vector_typeIjLj2EENS0_17counting_iteratorIjlEEPS9_SG_NS0_5tupleIJPjSI_NS0_16reverse_iteratorISI_EEEEENSH_IJSG_SG_SG_EEES9_SI_JZNS1_25segmented_radix_sort_implINS0_14default_configELb1EPKhPhPKlPlN2at6native12_GLOBAL__N_18offset_tEEE10hipError_tPvRmT1_PNSt15iterator_traitsIS12_E10value_typeET2_T3_PNS13_IS18_E10value_typeET4_jRbjT5_S1E_jjP12ihipStream_tbEUljE_ZNSN_ISO_Lb1ESQ_SR_ST_SU_SY_EESZ_S10_S11_S12_S16_S17_S18_S1B_S1C_jS1D_jS1E_S1E_jjS1G_bEUljE0_EEESZ_S10_S11_S18_S1C_S1E_T6_T7_T9_mT8_S1G_bDpT10_ENKUlT_T0_E_clISt17integral_constantIbLb0EES1U_EEDaS1P_S1Q_EUlS1P_E_NS1_11comp_targetILNS1_3genE3ELNS1_11target_archE908ELNS1_3gpuE7ELNS1_3repE0EEENS1_30default_config_static_selectorELNS0_4arch9wavefront6targetE0EEEvS12_.num_agpr, 0
	.set _ZN7rocprim17ROCPRIM_400000_NS6detail17trampoline_kernelINS0_13select_configILj256ELj13ELNS0_17block_load_methodE3ELS4_3ELS4_3ELNS0_20block_scan_algorithmE0ELj4294967295EEENS1_25partition_config_selectorILNS1_17partition_subalgoE4EjNS0_10empty_typeEbEEZZNS1_14partition_implILS8_4ELb0ES6_15HIP_vector_typeIjLj2EENS0_17counting_iteratorIjlEEPS9_SG_NS0_5tupleIJPjSI_NS0_16reverse_iteratorISI_EEEEENSH_IJSG_SG_SG_EEES9_SI_JZNS1_25segmented_radix_sort_implINS0_14default_configELb1EPKhPhPKlPlN2at6native12_GLOBAL__N_18offset_tEEE10hipError_tPvRmT1_PNSt15iterator_traitsIS12_E10value_typeET2_T3_PNS13_IS18_E10value_typeET4_jRbjT5_S1E_jjP12ihipStream_tbEUljE_ZNSN_ISO_Lb1ESQ_SR_ST_SU_SY_EESZ_S10_S11_S12_S16_S17_S18_S1B_S1C_jS1D_jS1E_S1E_jjS1G_bEUljE0_EEESZ_S10_S11_S18_S1C_S1E_T6_T7_T9_mT8_S1G_bDpT10_ENKUlT_T0_E_clISt17integral_constantIbLb0EES1U_EEDaS1P_S1Q_EUlS1P_E_NS1_11comp_targetILNS1_3genE3ELNS1_11target_archE908ELNS1_3gpuE7ELNS1_3repE0EEENS1_30default_config_static_selectorELNS0_4arch9wavefront6targetE0EEEvS12_.numbered_sgpr, 0
	.set _ZN7rocprim17ROCPRIM_400000_NS6detail17trampoline_kernelINS0_13select_configILj256ELj13ELNS0_17block_load_methodE3ELS4_3ELS4_3ELNS0_20block_scan_algorithmE0ELj4294967295EEENS1_25partition_config_selectorILNS1_17partition_subalgoE4EjNS0_10empty_typeEbEEZZNS1_14partition_implILS8_4ELb0ES6_15HIP_vector_typeIjLj2EENS0_17counting_iteratorIjlEEPS9_SG_NS0_5tupleIJPjSI_NS0_16reverse_iteratorISI_EEEEENSH_IJSG_SG_SG_EEES9_SI_JZNS1_25segmented_radix_sort_implINS0_14default_configELb1EPKhPhPKlPlN2at6native12_GLOBAL__N_18offset_tEEE10hipError_tPvRmT1_PNSt15iterator_traitsIS12_E10value_typeET2_T3_PNS13_IS18_E10value_typeET4_jRbjT5_S1E_jjP12ihipStream_tbEUljE_ZNSN_ISO_Lb1ESQ_SR_ST_SU_SY_EESZ_S10_S11_S12_S16_S17_S18_S1B_S1C_jS1D_jS1E_S1E_jjS1G_bEUljE0_EEESZ_S10_S11_S18_S1C_S1E_T6_T7_T9_mT8_S1G_bDpT10_ENKUlT_T0_E_clISt17integral_constantIbLb0EES1U_EEDaS1P_S1Q_EUlS1P_E_NS1_11comp_targetILNS1_3genE3ELNS1_11target_archE908ELNS1_3gpuE7ELNS1_3repE0EEENS1_30default_config_static_selectorELNS0_4arch9wavefront6targetE0EEEvS12_.num_named_barrier, 0
	.set _ZN7rocprim17ROCPRIM_400000_NS6detail17trampoline_kernelINS0_13select_configILj256ELj13ELNS0_17block_load_methodE3ELS4_3ELS4_3ELNS0_20block_scan_algorithmE0ELj4294967295EEENS1_25partition_config_selectorILNS1_17partition_subalgoE4EjNS0_10empty_typeEbEEZZNS1_14partition_implILS8_4ELb0ES6_15HIP_vector_typeIjLj2EENS0_17counting_iteratorIjlEEPS9_SG_NS0_5tupleIJPjSI_NS0_16reverse_iteratorISI_EEEEENSH_IJSG_SG_SG_EEES9_SI_JZNS1_25segmented_radix_sort_implINS0_14default_configELb1EPKhPhPKlPlN2at6native12_GLOBAL__N_18offset_tEEE10hipError_tPvRmT1_PNSt15iterator_traitsIS12_E10value_typeET2_T3_PNS13_IS18_E10value_typeET4_jRbjT5_S1E_jjP12ihipStream_tbEUljE_ZNSN_ISO_Lb1ESQ_SR_ST_SU_SY_EESZ_S10_S11_S12_S16_S17_S18_S1B_S1C_jS1D_jS1E_S1E_jjS1G_bEUljE0_EEESZ_S10_S11_S18_S1C_S1E_T6_T7_T9_mT8_S1G_bDpT10_ENKUlT_T0_E_clISt17integral_constantIbLb0EES1U_EEDaS1P_S1Q_EUlS1P_E_NS1_11comp_targetILNS1_3genE3ELNS1_11target_archE908ELNS1_3gpuE7ELNS1_3repE0EEENS1_30default_config_static_selectorELNS0_4arch9wavefront6targetE0EEEvS12_.private_seg_size, 0
	.set _ZN7rocprim17ROCPRIM_400000_NS6detail17trampoline_kernelINS0_13select_configILj256ELj13ELNS0_17block_load_methodE3ELS4_3ELS4_3ELNS0_20block_scan_algorithmE0ELj4294967295EEENS1_25partition_config_selectorILNS1_17partition_subalgoE4EjNS0_10empty_typeEbEEZZNS1_14partition_implILS8_4ELb0ES6_15HIP_vector_typeIjLj2EENS0_17counting_iteratorIjlEEPS9_SG_NS0_5tupleIJPjSI_NS0_16reverse_iteratorISI_EEEEENSH_IJSG_SG_SG_EEES9_SI_JZNS1_25segmented_radix_sort_implINS0_14default_configELb1EPKhPhPKlPlN2at6native12_GLOBAL__N_18offset_tEEE10hipError_tPvRmT1_PNSt15iterator_traitsIS12_E10value_typeET2_T3_PNS13_IS18_E10value_typeET4_jRbjT5_S1E_jjP12ihipStream_tbEUljE_ZNSN_ISO_Lb1ESQ_SR_ST_SU_SY_EESZ_S10_S11_S12_S16_S17_S18_S1B_S1C_jS1D_jS1E_S1E_jjS1G_bEUljE0_EEESZ_S10_S11_S18_S1C_S1E_T6_T7_T9_mT8_S1G_bDpT10_ENKUlT_T0_E_clISt17integral_constantIbLb0EES1U_EEDaS1P_S1Q_EUlS1P_E_NS1_11comp_targetILNS1_3genE3ELNS1_11target_archE908ELNS1_3gpuE7ELNS1_3repE0EEENS1_30default_config_static_selectorELNS0_4arch9wavefront6targetE0EEEvS12_.uses_vcc, 0
	.set _ZN7rocprim17ROCPRIM_400000_NS6detail17trampoline_kernelINS0_13select_configILj256ELj13ELNS0_17block_load_methodE3ELS4_3ELS4_3ELNS0_20block_scan_algorithmE0ELj4294967295EEENS1_25partition_config_selectorILNS1_17partition_subalgoE4EjNS0_10empty_typeEbEEZZNS1_14partition_implILS8_4ELb0ES6_15HIP_vector_typeIjLj2EENS0_17counting_iteratorIjlEEPS9_SG_NS0_5tupleIJPjSI_NS0_16reverse_iteratorISI_EEEEENSH_IJSG_SG_SG_EEES9_SI_JZNS1_25segmented_radix_sort_implINS0_14default_configELb1EPKhPhPKlPlN2at6native12_GLOBAL__N_18offset_tEEE10hipError_tPvRmT1_PNSt15iterator_traitsIS12_E10value_typeET2_T3_PNS13_IS18_E10value_typeET4_jRbjT5_S1E_jjP12ihipStream_tbEUljE_ZNSN_ISO_Lb1ESQ_SR_ST_SU_SY_EESZ_S10_S11_S12_S16_S17_S18_S1B_S1C_jS1D_jS1E_S1E_jjS1G_bEUljE0_EEESZ_S10_S11_S18_S1C_S1E_T6_T7_T9_mT8_S1G_bDpT10_ENKUlT_T0_E_clISt17integral_constantIbLb0EES1U_EEDaS1P_S1Q_EUlS1P_E_NS1_11comp_targetILNS1_3genE3ELNS1_11target_archE908ELNS1_3gpuE7ELNS1_3repE0EEENS1_30default_config_static_selectorELNS0_4arch9wavefront6targetE0EEEvS12_.uses_flat_scratch, 0
	.set _ZN7rocprim17ROCPRIM_400000_NS6detail17trampoline_kernelINS0_13select_configILj256ELj13ELNS0_17block_load_methodE3ELS4_3ELS4_3ELNS0_20block_scan_algorithmE0ELj4294967295EEENS1_25partition_config_selectorILNS1_17partition_subalgoE4EjNS0_10empty_typeEbEEZZNS1_14partition_implILS8_4ELb0ES6_15HIP_vector_typeIjLj2EENS0_17counting_iteratorIjlEEPS9_SG_NS0_5tupleIJPjSI_NS0_16reverse_iteratorISI_EEEEENSH_IJSG_SG_SG_EEES9_SI_JZNS1_25segmented_radix_sort_implINS0_14default_configELb1EPKhPhPKlPlN2at6native12_GLOBAL__N_18offset_tEEE10hipError_tPvRmT1_PNSt15iterator_traitsIS12_E10value_typeET2_T3_PNS13_IS18_E10value_typeET4_jRbjT5_S1E_jjP12ihipStream_tbEUljE_ZNSN_ISO_Lb1ESQ_SR_ST_SU_SY_EESZ_S10_S11_S12_S16_S17_S18_S1B_S1C_jS1D_jS1E_S1E_jjS1G_bEUljE0_EEESZ_S10_S11_S18_S1C_S1E_T6_T7_T9_mT8_S1G_bDpT10_ENKUlT_T0_E_clISt17integral_constantIbLb0EES1U_EEDaS1P_S1Q_EUlS1P_E_NS1_11comp_targetILNS1_3genE3ELNS1_11target_archE908ELNS1_3gpuE7ELNS1_3repE0EEENS1_30default_config_static_selectorELNS0_4arch9wavefront6targetE0EEEvS12_.has_dyn_sized_stack, 0
	.set _ZN7rocprim17ROCPRIM_400000_NS6detail17trampoline_kernelINS0_13select_configILj256ELj13ELNS0_17block_load_methodE3ELS4_3ELS4_3ELNS0_20block_scan_algorithmE0ELj4294967295EEENS1_25partition_config_selectorILNS1_17partition_subalgoE4EjNS0_10empty_typeEbEEZZNS1_14partition_implILS8_4ELb0ES6_15HIP_vector_typeIjLj2EENS0_17counting_iteratorIjlEEPS9_SG_NS0_5tupleIJPjSI_NS0_16reverse_iteratorISI_EEEEENSH_IJSG_SG_SG_EEES9_SI_JZNS1_25segmented_radix_sort_implINS0_14default_configELb1EPKhPhPKlPlN2at6native12_GLOBAL__N_18offset_tEEE10hipError_tPvRmT1_PNSt15iterator_traitsIS12_E10value_typeET2_T3_PNS13_IS18_E10value_typeET4_jRbjT5_S1E_jjP12ihipStream_tbEUljE_ZNSN_ISO_Lb1ESQ_SR_ST_SU_SY_EESZ_S10_S11_S12_S16_S17_S18_S1B_S1C_jS1D_jS1E_S1E_jjS1G_bEUljE0_EEESZ_S10_S11_S18_S1C_S1E_T6_T7_T9_mT8_S1G_bDpT10_ENKUlT_T0_E_clISt17integral_constantIbLb0EES1U_EEDaS1P_S1Q_EUlS1P_E_NS1_11comp_targetILNS1_3genE3ELNS1_11target_archE908ELNS1_3gpuE7ELNS1_3repE0EEENS1_30default_config_static_selectorELNS0_4arch9wavefront6targetE0EEEvS12_.has_recursion, 0
	.set _ZN7rocprim17ROCPRIM_400000_NS6detail17trampoline_kernelINS0_13select_configILj256ELj13ELNS0_17block_load_methodE3ELS4_3ELS4_3ELNS0_20block_scan_algorithmE0ELj4294967295EEENS1_25partition_config_selectorILNS1_17partition_subalgoE4EjNS0_10empty_typeEbEEZZNS1_14partition_implILS8_4ELb0ES6_15HIP_vector_typeIjLj2EENS0_17counting_iteratorIjlEEPS9_SG_NS0_5tupleIJPjSI_NS0_16reverse_iteratorISI_EEEEENSH_IJSG_SG_SG_EEES9_SI_JZNS1_25segmented_radix_sort_implINS0_14default_configELb1EPKhPhPKlPlN2at6native12_GLOBAL__N_18offset_tEEE10hipError_tPvRmT1_PNSt15iterator_traitsIS12_E10value_typeET2_T3_PNS13_IS18_E10value_typeET4_jRbjT5_S1E_jjP12ihipStream_tbEUljE_ZNSN_ISO_Lb1ESQ_SR_ST_SU_SY_EESZ_S10_S11_S12_S16_S17_S18_S1B_S1C_jS1D_jS1E_S1E_jjS1G_bEUljE0_EEESZ_S10_S11_S18_S1C_S1E_T6_T7_T9_mT8_S1G_bDpT10_ENKUlT_T0_E_clISt17integral_constantIbLb0EES1U_EEDaS1P_S1Q_EUlS1P_E_NS1_11comp_targetILNS1_3genE3ELNS1_11target_archE908ELNS1_3gpuE7ELNS1_3repE0EEENS1_30default_config_static_selectorELNS0_4arch9wavefront6targetE0EEEvS12_.has_indirect_call, 0
	.section	.AMDGPU.csdata,"",@progbits
; Kernel info:
; codeLenInByte = 0
; TotalNumSgprs: 0
; NumVgprs: 0
; ScratchSize: 0
; MemoryBound: 0
; FloatMode: 240
; IeeeMode: 1
; LDSByteSize: 0 bytes/workgroup (compile time only)
; SGPRBlocks: 0
; VGPRBlocks: 0
; NumSGPRsForWavesPerEU: 1
; NumVGPRsForWavesPerEU: 1
; Occupancy: 16
; WaveLimiterHint : 0
; COMPUTE_PGM_RSRC2:SCRATCH_EN: 0
; COMPUTE_PGM_RSRC2:USER_SGPR: 2
; COMPUTE_PGM_RSRC2:TRAP_HANDLER: 0
; COMPUTE_PGM_RSRC2:TGID_X_EN: 1
; COMPUTE_PGM_RSRC2:TGID_Y_EN: 0
; COMPUTE_PGM_RSRC2:TGID_Z_EN: 0
; COMPUTE_PGM_RSRC2:TIDIG_COMP_CNT: 0
	.section	.text._ZN7rocprim17ROCPRIM_400000_NS6detail17trampoline_kernelINS0_13select_configILj256ELj13ELNS0_17block_load_methodE3ELS4_3ELS4_3ELNS0_20block_scan_algorithmE0ELj4294967295EEENS1_25partition_config_selectorILNS1_17partition_subalgoE4EjNS0_10empty_typeEbEEZZNS1_14partition_implILS8_4ELb0ES6_15HIP_vector_typeIjLj2EENS0_17counting_iteratorIjlEEPS9_SG_NS0_5tupleIJPjSI_NS0_16reverse_iteratorISI_EEEEENSH_IJSG_SG_SG_EEES9_SI_JZNS1_25segmented_radix_sort_implINS0_14default_configELb1EPKhPhPKlPlN2at6native12_GLOBAL__N_18offset_tEEE10hipError_tPvRmT1_PNSt15iterator_traitsIS12_E10value_typeET2_T3_PNS13_IS18_E10value_typeET4_jRbjT5_S1E_jjP12ihipStream_tbEUljE_ZNSN_ISO_Lb1ESQ_SR_ST_SU_SY_EESZ_S10_S11_S12_S16_S17_S18_S1B_S1C_jS1D_jS1E_S1E_jjS1G_bEUljE0_EEESZ_S10_S11_S18_S1C_S1E_T6_T7_T9_mT8_S1G_bDpT10_ENKUlT_T0_E_clISt17integral_constantIbLb0EES1U_EEDaS1P_S1Q_EUlS1P_E_NS1_11comp_targetILNS1_3genE2ELNS1_11target_archE906ELNS1_3gpuE6ELNS1_3repE0EEENS1_30default_config_static_selectorELNS0_4arch9wavefront6targetE0EEEvS12_,"axG",@progbits,_ZN7rocprim17ROCPRIM_400000_NS6detail17trampoline_kernelINS0_13select_configILj256ELj13ELNS0_17block_load_methodE3ELS4_3ELS4_3ELNS0_20block_scan_algorithmE0ELj4294967295EEENS1_25partition_config_selectorILNS1_17partition_subalgoE4EjNS0_10empty_typeEbEEZZNS1_14partition_implILS8_4ELb0ES6_15HIP_vector_typeIjLj2EENS0_17counting_iteratorIjlEEPS9_SG_NS0_5tupleIJPjSI_NS0_16reverse_iteratorISI_EEEEENSH_IJSG_SG_SG_EEES9_SI_JZNS1_25segmented_radix_sort_implINS0_14default_configELb1EPKhPhPKlPlN2at6native12_GLOBAL__N_18offset_tEEE10hipError_tPvRmT1_PNSt15iterator_traitsIS12_E10value_typeET2_T3_PNS13_IS18_E10value_typeET4_jRbjT5_S1E_jjP12ihipStream_tbEUljE_ZNSN_ISO_Lb1ESQ_SR_ST_SU_SY_EESZ_S10_S11_S12_S16_S17_S18_S1B_S1C_jS1D_jS1E_S1E_jjS1G_bEUljE0_EEESZ_S10_S11_S18_S1C_S1E_T6_T7_T9_mT8_S1G_bDpT10_ENKUlT_T0_E_clISt17integral_constantIbLb0EES1U_EEDaS1P_S1Q_EUlS1P_E_NS1_11comp_targetILNS1_3genE2ELNS1_11target_archE906ELNS1_3gpuE6ELNS1_3repE0EEENS1_30default_config_static_selectorELNS0_4arch9wavefront6targetE0EEEvS12_,comdat
	.globl	_ZN7rocprim17ROCPRIM_400000_NS6detail17trampoline_kernelINS0_13select_configILj256ELj13ELNS0_17block_load_methodE3ELS4_3ELS4_3ELNS0_20block_scan_algorithmE0ELj4294967295EEENS1_25partition_config_selectorILNS1_17partition_subalgoE4EjNS0_10empty_typeEbEEZZNS1_14partition_implILS8_4ELb0ES6_15HIP_vector_typeIjLj2EENS0_17counting_iteratorIjlEEPS9_SG_NS0_5tupleIJPjSI_NS0_16reverse_iteratorISI_EEEEENSH_IJSG_SG_SG_EEES9_SI_JZNS1_25segmented_radix_sort_implINS0_14default_configELb1EPKhPhPKlPlN2at6native12_GLOBAL__N_18offset_tEEE10hipError_tPvRmT1_PNSt15iterator_traitsIS12_E10value_typeET2_T3_PNS13_IS18_E10value_typeET4_jRbjT5_S1E_jjP12ihipStream_tbEUljE_ZNSN_ISO_Lb1ESQ_SR_ST_SU_SY_EESZ_S10_S11_S12_S16_S17_S18_S1B_S1C_jS1D_jS1E_S1E_jjS1G_bEUljE0_EEESZ_S10_S11_S18_S1C_S1E_T6_T7_T9_mT8_S1G_bDpT10_ENKUlT_T0_E_clISt17integral_constantIbLb0EES1U_EEDaS1P_S1Q_EUlS1P_E_NS1_11comp_targetILNS1_3genE2ELNS1_11target_archE906ELNS1_3gpuE6ELNS1_3repE0EEENS1_30default_config_static_selectorELNS0_4arch9wavefront6targetE0EEEvS12_ ; -- Begin function _ZN7rocprim17ROCPRIM_400000_NS6detail17trampoline_kernelINS0_13select_configILj256ELj13ELNS0_17block_load_methodE3ELS4_3ELS4_3ELNS0_20block_scan_algorithmE0ELj4294967295EEENS1_25partition_config_selectorILNS1_17partition_subalgoE4EjNS0_10empty_typeEbEEZZNS1_14partition_implILS8_4ELb0ES6_15HIP_vector_typeIjLj2EENS0_17counting_iteratorIjlEEPS9_SG_NS0_5tupleIJPjSI_NS0_16reverse_iteratorISI_EEEEENSH_IJSG_SG_SG_EEES9_SI_JZNS1_25segmented_radix_sort_implINS0_14default_configELb1EPKhPhPKlPlN2at6native12_GLOBAL__N_18offset_tEEE10hipError_tPvRmT1_PNSt15iterator_traitsIS12_E10value_typeET2_T3_PNS13_IS18_E10value_typeET4_jRbjT5_S1E_jjP12ihipStream_tbEUljE_ZNSN_ISO_Lb1ESQ_SR_ST_SU_SY_EESZ_S10_S11_S12_S16_S17_S18_S1B_S1C_jS1D_jS1E_S1E_jjS1G_bEUljE0_EEESZ_S10_S11_S18_S1C_S1E_T6_T7_T9_mT8_S1G_bDpT10_ENKUlT_T0_E_clISt17integral_constantIbLb0EES1U_EEDaS1P_S1Q_EUlS1P_E_NS1_11comp_targetILNS1_3genE2ELNS1_11target_archE906ELNS1_3gpuE6ELNS1_3repE0EEENS1_30default_config_static_selectorELNS0_4arch9wavefront6targetE0EEEvS12_
	.p2align	8
	.type	_ZN7rocprim17ROCPRIM_400000_NS6detail17trampoline_kernelINS0_13select_configILj256ELj13ELNS0_17block_load_methodE3ELS4_3ELS4_3ELNS0_20block_scan_algorithmE0ELj4294967295EEENS1_25partition_config_selectorILNS1_17partition_subalgoE4EjNS0_10empty_typeEbEEZZNS1_14partition_implILS8_4ELb0ES6_15HIP_vector_typeIjLj2EENS0_17counting_iteratorIjlEEPS9_SG_NS0_5tupleIJPjSI_NS0_16reverse_iteratorISI_EEEEENSH_IJSG_SG_SG_EEES9_SI_JZNS1_25segmented_radix_sort_implINS0_14default_configELb1EPKhPhPKlPlN2at6native12_GLOBAL__N_18offset_tEEE10hipError_tPvRmT1_PNSt15iterator_traitsIS12_E10value_typeET2_T3_PNS13_IS18_E10value_typeET4_jRbjT5_S1E_jjP12ihipStream_tbEUljE_ZNSN_ISO_Lb1ESQ_SR_ST_SU_SY_EESZ_S10_S11_S12_S16_S17_S18_S1B_S1C_jS1D_jS1E_S1E_jjS1G_bEUljE0_EEESZ_S10_S11_S18_S1C_S1E_T6_T7_T9_mT8_S1G_bDpT10_ENKUlT_T0_E_clISt17integral_constantIbLb0EES1U_EEDaS1P_S1Q_EUlS1P_E_NS1_11comp_targetILNS1_3genE2ELNS1_11target_archE906ELNS1_3gpuE6ELNS1_3repE0EEENS1_30default_config_static_selectorELNS0_4arch9wavefront6targetE0EEEvS12_,@function
_ZN7rocprim17ROCPRIM_400000_NS6detail17trampoline_kernelINS0_13select_configILj256ELj13ELNS0_17block_load_methodE3ELS4_3ELS4_3ELNS0_20block_scan_algorithmE0ELj4294967295EEENS1_25partition_config_selectorILNS1_17partition_subalgoE4EjNS0_10empty_typeEbEEZZNS1_14partition_implILS8_4ELb0ES6_15HIP_vector_typeIjLj2EENS0_17counting_iteratorIjlEEPS9_SG_NS0_5tupleIJPjSI_NS0_16reverse_iteratorISI_EEEEENSH_IJSG_SG_SG_EEES9_SI_JZNS1_25segmented_radix_sort_implINS0_14default_configELb1EPKhPhPKlPlN2at6native12_GLOBAL__N_18offset_tEEE10hipError_tPvRmT1_PNSt15iterator_traitsIS12_E10value_typeET2_T3_PNS13_IS18_E10value_typeET4_jRbjT5_S1E_jjP12ihipStream_tbEUljE_ZNSN_ISO_Lb1ESQ_SR_ST_SU_SY_EESZ_S10_S11_S12_S16_S17_S18_S1B_S1C_jS1D_jS1E_S1E_jjS1G_bEUljE0_EEESZ_S10_S11_S18_S1C_S1E_T6_T7_T9_mT8_S1G_bDpT10_ENKUlT_T0_E_clISt17integral_constantIbLb0EES1U_EEDaS1P_S1Q_EUlS1P_E_NS1_11comp_targetILNS1_3genE2ELNS1_11target_archE906ELNS1_3gpuE6ELNS1_3repE0EEENS1_30default_config_static_selectorELNS0_4arch9wavefront6targetE0EEEvS12_: ; @_ZN7rocprim17ROCPRIM_400000_NS6detail17trampoline_kernelINS0_13select_configILj256ELj13ELNS0_17block_load_methodE3ELS4_3ELS4_3ELNS0_20block_scan_algorithmE0ELj4294967295EEENS1_25partition_config_selectorILNS1_17partition_subalgoE4EjNS0_10empty_typeEbEEZZNS1_14partition_implILS8_4ELb0ES6_15HIP_vector_typeIjLj2EENS0_17counting_iteratorIjlEEPS9_SG_NS0_5tupleIJPjSI_NS0_16reverse_iteratorISI_EEEEENSH_IJSG_SG_SG_EEES9_SI_JZNS1_25segmented_radix_sort_implINS0_14default_configELb1EPKhPhPKlPlN2at6native12_GLOBAL__N_18offset_tEEE10hipError_tPvRmT1_PNSt15iterator_traitsIS12_E10value_typeET2_T3_PNS13_IS18_E10value_typeET4_jRbjT5_S1E_jjP12ihipStream_tbEUljE_ZNSN_ISO_Lb1ESQ_SR_ST_SU_SY_EESZ_S10_S11_S12_S16_S17_S18_S1B_S1C_jS1D_jS1E_S1E_jjS1G_bEUljE0_EEESZ_S10_S11_S18_S1C_S1E_T6_T7_T9_mT8_S1G_bDpT10_ENKUlT_T0_E_clISt17integral_constantIbLb0EES1U_EEDaS1P_S1Q_EUlS1P_E_NS1_11comp_targetILNS1_3genE2ELNS1_11target_archE906ELNS1_3gpuE6ELNS1_3repE0EEENS1_30default_config_static_selectorELNS0_4arch9wavefront6targetE0EEEvS12_
; %bb.0:
	.section	.rodata,"a",@progbits
	.p2align	6, 0x0
	.amdhsa_kernel _ZN7rocprim17ROCPRIM_400000_NS6detail17trampoline_kernelINS0_13select_configILj256ELj13ELNS0_17block_load_methodE3ELS4_3ELS4_3ELNS0_20block_scan_algorithmE0ELj4294967295EEENS1_25partition_config_selectorILNS1_17partition_subalgoE4EjNS0_10empty_typeEbEEZZNS1_14partition_implILS8_4ELb0ES6_15HIP_vector_typeIjLj2EENS0_17counting_iteratorIjlEEPS9_SG_NS0_5tupleIJPjSI_NS0_16reverse_iteratorISI_EEEEENSH_IJSG_SG_SG_EEES9_SI_JZNS1_25segmented_radix_sort_implINS0_14default_configELb1EPKhPhPKlPlN2at6native12_GLOBAL__N_18offset_tEEE10hipError_tPvRmT1_PNSt15iterator_traitsIS12_E10value_typeET2_T3_PNS13_IS18_E10value_typeET4_jRbjT5_S1E_jjP12ihipStream_tbEUljE_ZNSN_ISO_Lb1ESQ_SR_ST_SU_SY_EESZ_S10_S11_S12_S16_S17_S18_S1B_S1C_jS1D_jS1E_S1E_jjS1G_bEUljE0_EEESZ_S10_S11_S18_S1C_S1E_T6_T7_T9_mT8_S1G_bDpT10_ENKUlT_T0_E_clISt17integral_constantIbLb0EES1U_EEDaS1P_S1Q_EUlS1P_E_NS1_11comp_targetILNS1_3genE2ELNS1_11target_archE906ELNS1_3gpuE6ELNS1_3repE0EEENS1_30default_config_static_selectorELNS0_4arch9wavefront6targetE0EEEvS12_
		.amdhsa_group_segment_fixed_size 0
		.amdhsa_private_segment_fixed_size 0
		.amdhsa_kernarg_size 176
		.amdhsa_user_sgpr_count 2
		.amdhsa_user_sgpr_dispatch_ptr 0
		.amdhsa_user_sgpr_queue_ptr 0
		.amdhsa_user_sgpr_kernarg_segment_ptr 1
		.amdhsa_user_sgpr_dispatch_id 0
		.amdhsa_user_sgpr_private_segment_size 0
		.amdhsa_wavefront_size32 1
		.amdhsa_uses_dynamic_stack 0
		.amdhsa_enable_private_segment 0
		.amdhsa_system_sgpr_workgroup_id_x 1
		.amdhsa_system_sgpr_workgroup_id_y 0
		.amdhsa_system_sgpr_workgroup_id_z 0
		.amdhsa_system_sgpr_workgroup_info 0
		.amdhsa_system_vgpr_workitem_id 0
		.amdhsa_next_free_vgpr 1
		.amdhsa_next_free_sgpr 1
		.amdhsa_reserve_vcc 0
		.amdhsa_float_round_mode_32 0
		.amdhsa_float_round_mode_16_64 0
		.amdhsa_float_denorm_mode_32 3
		.amdhsa_float_denorm_mode_16_64 3
		.amdhsa_fp16_overflow 0
		.amdhsa_workgroup_processor_mode 1
		.amdhsa_memory_ordered 1
		.amdhsa_forward_progress 1
		.amdhsa_inst_pref_size 0
		.amdhsa_round_robin_scheduling 0
		.amdhsa_exception_fp_ieee_invalid_op 0
		.amdhsa_exception_fp_denorm_src 0
		.amdhsa_exception_fp_ieee_div_zero 0
		.amdhsa_exception_fp_ieee_overflow 0
		.amdhsa_exception_fp_ieee_underflow 0
		.amdhsa_exception_fp_ieee_inexact 0
		.amdhsa_exception_int_div_zero 0
	.end_amdhsa_kernel
	.section	.text._ZN7rocprim17ROCPRIM_400000_NS6detail17trampoline_kernelINS0_13select_configILj256ELj13ELNS0_17block_load_methodE3ELS4_3ELS4_3ELNS0_20block_scan_algorithmE0ELj4294967295EEENS1_25partition_config_selectorILNS1_17partition_subalgoE4EjNS0_10empty_typeEbEEZZNS1_14partition_implILS8_4ELb0ES6_15HIP_vector_typeIjLj2EENS0_17counting_iteratorIjlEEPS9_SG_NS0_5tupleIJPjSI_NS0_16reverse_iteratorISI_EEEEENSH_IJSG_SG_SG_EEES9_SI_JZNS1_25segmented_radix_sort_implINS0_14default_configELb1EPKhPhPKlPlN2at6native12_GLOBAL__N_18offset_tEEE10hipError_tPvRmT1_PNSt15iterator_traitsIS12_E10value_typeET2_T3_PNS13_IS18_E10value_typeET4_jRbjT5_S1E_jjP12ihipStream_tbEUljE_ZNSN_ISO_Lb1ESQ_SR_ST_SU_SY_EESZ_S10_S11_S12_S16_S17_S18_S1B_S1C_jS1D_jS1E_S1E_jjS1G_bEUljE0_EEESZ_S10_S11_S18_S1C_S1E_T6_T7_T9_mT8_S1G_bDpT10_ENKUlT_T0_E_clISt17integral_constantIbLb0EES1U_EEDaS1P_S1Q_EUlS1P_E_NS1_11comp_targetILNS1_3genE2ELNS1_11target_archE906ELNS1_3gpuE6ELNS1_3repE0EEENS1_30default_config_static_selectorELNS0_4arch9wavefront6targetE0EEEvS12_,"axG",@progbits,_ZN7rocprim17ROCPRIM_400000_NS6detail17trampoline_kernelINS0_13select_configILj256ELj13ELNS0_17block_load_methodE3ELS4_3ELS4_3ELNS0_20block_scan_algorithmE0ELj4294967295EEENS1_25partition_config_selectorILNS1_17partition_subalgoE4EjNS0_10empty_typeEbEEZZNS1_14partition_implILS8_4ELb0ES6_15HIP_vector_typeIjLj2EENS0_17counting_iteratorIjlEEPS9_SG_NS0_5tupleIJPjSI_NS0_16reverse_iteratorISI_EEEEENSH_IJSG_SG_SG_EEES9_SI_JZNS1_25segmented_radix_sort_implINS0_14default_configELb1EPKhPhPKlPlN2at6native12_GLOBAL__N_18offset_tEEE10hipError_tPvRmT1_PNSt15iterator_traitsIS12_E10value_typeET2_T3_PNS13_IS18_E10value_typeET4_jRbjT5_S1E_jjP12ihipStream_tbEUljE_ZNSN_ISO_Lb1ESQ_SR_ST_SU_SY_EESZ_S10_S11_S12_S16_S17_S18_S1B_S1C_jS1D_jS1E_S1E_jjS1G_bEUljE0_EEESZ_S10_S11_S18_S1C_S1E_T6_T7_T9_mT8_S1G_bDpT10_ENKUlT_T0_E_clISt17integral_constantIbLb0EES1U_EEDaS1P_S1Q_EUlS1P_E_NS1_11comp_targetILNS1_3genE2ELNS1_11target_archE906ELNS1_3gpuE6ELNS1_3repE0EEENS1_30default_config_static_selectorELNS0_4arch9wavefront6targetE0EEEvS12_,comdat
.Lfunc_end8:
	.size	_ZN7rocprim17ROCPRIM_400000_NS6detail17trampoline_kernelINS0_13select_configILj256ELj13ELNS0_17block_load_methodE3ELS4_3ELS4_3ELNS0_20block_scan_algorithmE0ELj4294967295EEENS1_25partition_config_selectorILNS1_17partition_subalgoE4EjNS0_10empty_typeEbEEZZNS1_14partition_implILS8_4ELb0ES6_15HIP_vector_typeIjLj2EENS0_17counting_iteratorIjlEEPS9_SG_NS0_5tupleIJPjSI_NS0_16reverse_iteratorISI_EEEEENSH_IJSG_SG_SG_EEES9_SI_JZNS1_25segmented_radix_sort_implINS0_14default_configELb1EPKhPhPKlPlN2at6native12_GLOBAL__N_18offset_tEEE10hipError_tPvRmT1_PNSt15iterator_traitsIS12_E10value_typeET2_T3_PNS13_IS18_E10value_typeET4_jRbjT5_S1E_jjP12ihipStream_tbEUljE_ZNSN_ISO_Lb1ESQ_SR_ST_SU_SY_EESZ_S10_S11_S12_S16_S17_S18_S1B_S1C_jS1D_jS1E_S1E_jjS1G_bEUljE0_EEESZ_S10_S11_S18_S1C_S1E_T6_T7_T9_mT8_S1G_bDpT10_ENKUlT_T0_E_clISt17integral_constantIbLb0EES1U_EEDaS1P_S1Q_EUlS1P_E_NS1_11comp_targetILNS1_3genE2ELNS1_11target_archE906ELNS1_3gpuE6ELNS1_3repE0EEENS1_30default_config_static_selectorELNS0_4arch9wavefront6targetE0EEEvS12_, .Lfunc_end8-_ZN7rocprim17ROCPRIM_400000_NS6detail17trampoline_kernelINS0_13select_configILj256ELj13ELNS0_17block_load_methodE3ELS4_3ELS4_3ELNS0_20block_scan_algorithmE0ELj4294967295EEENS1_25partition_config_selectorILNS1_17partition_subalgoE4EjNS0_10empty_typeEbEEZZNS1_14partition_implILS8_4ELb0ES6_15HIP_vector_typeIjLj2EENS0_17counting_iteratorIjlEEPS9_SG_NS0_5tupleIJPjSI_NS0_16reverse_iteratorISI_EEEEENSH_IJSG_SG_SG_EEES9_SI_JZNS1_25segmented_radix_sort_implINS0_14default_configELb1EPKhPhPKlPlN2at6native12_GLOBAL__N_18offset_tEEE10hipError_tPvRmT1_PNSt15iterator_traitsIS12_E10value_typeET2_T3_PNS13_IS18_E10value_typeET4_jRbjT5_S1E_jjP12ihipStream_tbEUljE_ZNSN_ISO_Lb1ESQ_SR_ST_SU_SY_EESZ_S10_S11_S12_S16_S17_S18_S1B_S1C_jS1D_jS1E_S1E_jjS1G_bEUljE0_EEESZ_S10_S11_S18_S1C_S1E_T6_T7_T9_mT8_S1G_bDpT10_ENKUlT_T0_E_clISt17integral_constantIbLb0EES1U_EEDaS1P_S1Q_EUlS1P_E_NS1_11comp_targetILNS1_3genE2ELNS1_11target_archE906ELNS1_3gpuE6ELNS1_3repE0EEENS1_30default_config_static_selectorELNS0_4arch9wavefront6targetE0EEEvS12_
                                        ; -- End function
	.set _ZN7rocprim17ROCPRIM_400000_NS6detail17trampoline_kernelINS0_13select_configILj256ELj13ELNS0_17block_load_methodE3ELS4_3ELS4_3ELNS0_20block_scan_algorithmE0ELj4294967295EEENS1_25partition_config_selectorILNS1_17partition_subalgoE4EjNS0_10empty_typeEbEEZZNS1_14partition_implILS8_4ELb0ES6_15HIP_vector_typeIjLj2EENS0_17counting_iteratorIjlEEPS9_SG_NS0_5tupleIJPjSI_NS0_16reverse_iteratorISI_EEEEENSH_IJSG_SG_SG_EEES9_SI_JZNS1_25segmented_radix_sort_implINS0_14default_configELb1EPKhPhPKlPlN2at6native12_GLOBAL__N_18offset_tEEE10hipError_tPvRmT1_PNSt15iterator_traitsIS12_E10value_typeET2_T3_PNS13_IS18_E10value_typeET4_jRbjT5_S1E_jjP12ihipStream_tbEUljE_ZNSN_ISO_Lb1ESQ_SR_ST_SU_SY_EESZ_S10_S11_S12_S16_S17_S18_S1B_S1C_jS1D_jS1E_S1E_jjS1G_bEUljE0_EEESZ_S10_S11_S18_S1C_S1E_T6_T7_T9_mT8_S1G_bDpT10_ENKUlT_T0_E_clISt17integral_constantIbLb0EES1U_EEDaS1P_S1Q_EUlS1P_E_NS1_11comp_targetILNS1_3genE2ELNS1_11target_archE906ELNS1_3gpuE6ELNS1_3repE0EEENS1_30default_config_static_selectorELNS0_4arch9wavefront6targetE0EEEvS12_.num_vgpr, 0
	.set _ZN7rocprim17ROCPRIM_400000_NS6detail17trampoline_kernelINS0_13select_configILj256ELj13ELNS0_17block_load_methodE3ELS4_3ELS4_3ELNS0_20block_scan_algorithmE0ELj4294967295EEENS1_25partition_config_selectorILNS1_17partition_subalgoE4EjNS0_10empty_typeEbEEZZNS1_14partition_implILS8_4ELb0ES6_15HIP_vector_typeIjLj2EENS0_17counting_iteratorIjlEEPS9_SG_NS0_5tupleIJPjSI_NS0_16reverse_iteratorISI_EEEEENSH_IJSG_SG_SG_EEES9_SI_JZNS1_25segmented_radix_sort_implINS0_14default_configELb1EPKhPhPKlPlN2at6native12_GLOBAL__N_18offset_tEEE10hipError_tPvRmT1_PNSt15iterator_traitsIS12_E10value_typeET2_T3_PNS13_IS18_E10value_typeET4_jRbjT5_S1E_jjP12ihipStream_tbEUljE_ZNSN_ISO_Lb1ESQ_SR_ST_SU_SY_EESZ_S10_S11_S12_S16_S17_S18_S1B_S1C_jS1D_jS1E_S1E_jjS1G_bEUljE0_EEESZ_S10_S11_S18_S1C_S1E_T6_T7_T9_mT8_S1G_bDpT10_ENKUlT_T0_E_clISt17integral_constantIbLb0EES1U_EEDaS1P_S1Q_EUlS1P_E_NS1_11comp_targetILNS1_3genE2ELNS1_11target_archE906ELNS1_3gpuE6ELNS1_3repE0EEENS1_30default_config_static_selectorELNS0_4arch9wavefront6targetE0EEEvS12_.num_agpr, 0
	.set _ZN7rocprim17ROCPRIM_400000_NS6detail17trampoline_kernelINS0_13select_configILj256ELj13ELNS0_17block_load_methodE3ELS4_3ELS4_3ELNS0_20block_scan_algorithmE0ELj4294967295EEENS1_25partition_config_selectorILNS1_17partition_subalgoE4EjNS0_10empty_typeEbEEZZNS1_14partition_implILS8_4ELb0ES6_15HIP_vector_typeIjLj2EENS0_17counting_iteratorIjlEEPS9_SG_NS0_5tupleIJPjSI_NS0_16reverse_iteratorISI_EEEEENSH_IJSG_SG_SG_EEES9_SI_JZNS1_25segmented_radix_sort_implINS0_14default_configELb1EPKhPhPKlPlN2at6native12_GLOBAL__N_18offset_tEEE10hipError_tPvRmT1_PNSt15iterator_traitsIS12_E10value_typeET2_T3_PNS13_IS18_E10value_typeET4_jRbjT5_S1E_jjP12ihipStream_tbEUljE_ZNSN_ISO_Lb1ESQ_SR_ST_SU_SY_EESZ_S10_S11_S12_S16_S17_S18_S1B_S1C_jS1D_jS1E_S1E_jjS1G_bEUljE0_EEESZ_S10_S11_S18_S1C_S1E_T6_T7_T9_mT8_S1G_bDpT10_ENKUlT_T0_E_clISt17integral_constantIbLb0EES1U_EEDaS1P_S1Q_EUlS1P_E_NS1_11comp_targetILNS1_3genE2ELNS1_11target_archE906ELNS1_3gpuE6ELNS1_3repE0EEENS1_30default_config_static_selectorELNS0_4arch9wavefront6targetE0EEEvS12_.numbered_sgpr, 0
	.set _ZN7rocprim17ROCPRIM_400000_NS6detail17trampoline_kernelINS0_13select_configILj256ELj13ELNS0_17block_load_methodE3ELS4_3ELS4_3ELNS0_20block_scan_algorithmE0ELj4294967295EEENS1_25partition_config_selectorILNS1_17partition_subalgoE4EjNS0_10empty_typeEbEEZZNS1_14partition_implILS8_4ELb0ES6_15HIP_vector_typeIjLj2EENS0_17counting_iteratorIjlEEPS9_SG_NS0_5tupleIJPjSI_NS0_16reverse_iteratorISI_EEEEENSH_IJSG_SG_SG_EEES9_SI_JZNS1_25segmented_radix_sort_implINS0_14default_configELb1EPKhPhPKlPlN2at6native12_GLOBAL__N_18offset_tEEE10hipError_tPvRmT1_PNSt15iterator_traitsIS12_E10value_typeET2_T3_PNS13_IS18_E10value_typeET4_jRbjT5_S1E_jjP12ihipStream_tbEUljE_ZNSN_ISO_Lb1ESQ_SR_ST_SU_SY_EESZ_S10_S11_S12_S16_S17_S18_S1B_S1C_jS1D_jS1E_S1E_jjS1G_bEUljE0_EEESZ_S10_S11_S18_S1C_S1E_T6_T7_T9_mT8_S1G_bDpT10_ENKUlT_T0_E_clISt17integral_constantIbLb0EES1U_EEDaS1P_S1Q_EUlS1P_E_NS1_11comp_targetILNS1_3genE2ELNS1_11target_archE906ELNS1_3gpuE6ELNS1_3repE0EEENS1_30default_config_static_selectorELNS0_4arch9wavefront6targetE0EEEvS12_.num_named_barrier, 0
	.set _ZN7rocprim17ROCPRIM_400000_NS6detail17trampoline_kernelINS0_13select_configILj256ELj13ELNS0_17block_load_methodE3ELS4_3ELS4_3ELNS0_20block_scan_algorithmE0ELj4294967295EEENS1_25partition_config_selectorILNS1_17partition_subalgoE4EjNS0_10empty_typeEbEEZZNS1_14partition_implILS8_4ELb0ES6_15HIP_vector_typeIjLj2EENS0_17counting_iteratorIjlEEPS9_SG_NS0_5tupleIJPjSI_NS0_16reverse_iteratorISI_EEEEENSH_IJSG_SG_SG_EEES9_SI_JZNS1_25segmented_radix_sort_implINS0_14default_configELb1EPKhPhPKlPlN2at6native12_GLOBAL__N_18offset_tEEE10hipError_tPvRmT1_PNSt15iterator_traitsIS12_E10value_typeET2_T3_PNS13_IS18_E10value_typeET4_jRbjT5_S1E_jjP12ihipStream_tbEUljE_ZNSN_ISO_Lb1ESQ_SR_ST_SU_SY_EESZ_S10_S11_S12_S16_S17_S18_S1B_S1C_jS1D_jS1E_S1E_jjS1G_bEUljE0_EEESZ_S10_S11_S18_S1C_S1E_T6_T7_T9_mT8_S1G_bDpT10_ENKUlT_T0_E_clISt17integral_constantIbLb0EES1U_EEDaS1P_S1Q_EUlS1P_E_NS1_11comp_targetILNS1_3genE2ELNS1_11target_archE906ELNS1_3gpuE6ELNS1_3repE0EEENS1_30default_config_static_selectorELNS0_4arch9wavefront6targetE0EEEvS12_.private_seg_size, 0
	.set _ZN7rocprim17ROCPRIM_400000_NS6detail17trampoline_kernelINS0_13select_configILj256ELj13ELNS0_17block_load_methodE3ELS4_3ELS4_3ELNS0_20block_scan_algorithmE0ELj4294967295EEENS1_25partition_config_selectorILNS1_17partition_subalgoE4EjNS0_10empty_typeEbEEZZNS1_14partition_implILS8_4ELb0ES6_15HIP_vector_typeIjLj2EENS0_17counting_iteratorIjlEEPS9_SG_NS0_5tupleIJPjSI_NS0_16reverse_iteratorISI_EEEEENSH_IJSG_SG_SG_EEES9_SI_JZNS1_25segmented_radix_sort_implINS0_14default_configELb1EPKhPhPKlPlN2at6native12_GLOBAL__N_18offset_tEEE10hipError_tPvRmT1_PNSt15iterator_traitsIS12_E10value_typeET2_T3_PNS13_IS18_E10value_typeET4_jRbjT5_S1E_jjP12ihipStream_tbEUljE_ZNSN_ISO_Lb1ESQ_SR_ST_SU_SY_EESZ_S10_S11_S12_S16_S17_S18_S1B_S1C_jS1D_jS1E_S1E_jjS1G_bEUljE0_EEESZ_S10_S11_S18_S1C_S1E_T6_T7_T9_mT8_S1G_bDpT10_ENKUlT_T0_E_clISt17integral_constantIbLb0EES1U_EEDaS1P_S1Q_EUlS1P_E_NS1_11comp_targetILNS1_3genE2ELNS1_11target_archE906ELNS1_3gpuE6ELNS1_3repE0EEENS1_30default_config_static_selectorELNS0_4arch9wavefront6targetE0EEEvS12_.uses_vcc, 0
	.set _ZN7rocprim17ROCPRIM_400000_NS6detail17trampoline_kernelINS0_13select_configILj256ELj13ELNS0_17block_load_methodE3ELS4_3ELS4_3ELNS0_20block_scan_algorithmE0ELj4294967295EEENS1_25partition_config_selectorILNS1_17partition_subalgoE4EjNS0_10empty_typeEbEEZZNS1_14partition_implILS8_4ELb0ES6_15HIP_vector_typeIjLj2EENS0_17counting_iteratorIjlEEPS9_SG_NS0_5tupleIJPjSI_NS0_16reverse_iteratorISI_EEEEENSH_IJSG_SG_SG_EEES9_SI_JZNS1_25segmented_radix_sort_implINS0_14default_configELb1EPKhPhPKlPlN2at6native12_GLOBAL__N_18offset_tEEE10hipError_tPvRmT1_PNSt15iterator_traitsIS12_E10value_typeET2_T3_PNS13_IS18_E10value_typeET4_jRbjT5_S1E_jjP12ihipStream_tbEUljE_ZNSN_ISO_Lb1ESQ_SR_ST_SU_SY_EESZ_S10_S11_S12_S16_S17_S18_S1B_S1C_jS1D_jS1E_S1E_jjS1G_bEUljE0_EEESZ_S10_S11_S18_S1C_S1E_T6_T7_T9_mT8_S1G_bDpT10_ENKUlT_T0_E_clISt17integral_constantIbLb0EES1U_EEDaS1P_S1Q_EUlS1P_E_NS1_11comp_targetILNS1_3genE2ELNS1_11target_archE906ELNS1_3gpuE6ELNS1_3repE0EEENS1_30default_config_static_selectorELNS0_4arch9wavefront6targetE0EEEvS12_.uses_flat_scratch, 0
	.set _ZN7rocprim17ROCPRIM_400000_NS6detail17trampoline_kernelINS0_13select_configILj256ELj13ELNS0_17block_load_methodE3ELS4_3ELS4_3ELNS0_20block_scan_algorithmE0ELj4294967295EEENS1_25partition_config_selectorILNS1_17partition_subalgoE4EjNS0_10empty_typeEbEEZZNS1_14partition_implILS8_4ELb0ES6_15HIP_vector_typeIjLj2EENS0_17counting_iteratorIjlEEPS9_SG_NS0_5tupleIJPjSI_NS0_16reverse_iteratorISI_EEEEENSH_IJSG_SG_SG_EEES9_SI_JZNS1_25segmented_radix_sort_implINS0_14default_configELb1EPKhPhPKlPlN2at6native12_GLOBAL__N_18offset_tEEE10hipError_tPvRmT1_PNSt15iterator_traitsIS12_E10value_typeET2_T3_PNS13_IS18_E10value_typeET4_jRbjT5_S1E_jjP12ihipStream_tbEUljE_ZNSN_ISO_Lb1ESQ_SR_ST_SU_SY_EESZ_S10_S11_S12_S16_S17_S18_S1B_S1C_jS1D_jS1E_S1E_jjS1G_bEUljE0_EEESZ_S10_S11_S18_S1C_S1E_T6_T7_T9_mT8_S1G_bDpT10_ENKUlT_T0_E_clISt17integral_constantIbLb0EES1U_EEDaS1P_S1Q_EUlS1P_E_NS1_11comp_targetILNS1_3genE2ELNS1_11target_archE906ELNS1_3gpuE6ELNS1_3repE0EEENS1_30default_config_static_selectorELNS0_4arch9wavefront6targetE0EEEvS12_.has_dyn_sized_stack, 0
	.set _ZN7rocprim17ROCPRIM_400000_NS6detail17trampoline_kernelINS0_13select_configILj256ELj13ELNS0_17block_load_methodE3ELS4_3ELS4_3ELNS0_20block_scan_algorithmE0ELj4294967295EEENS1_25partition_config_selectorILNS1_17partition_subalgoE4EjNS0_10empty_typeEbEEZZNS1_14partition_implILS8_4ELb0ES6_15HIP_vector_typeIjLj2EENS0_17counting_iteratorIjlEEPS9_SG_NS0_5tupleIJPjSI_NS0_16reverse_iteratorISI_EEEEENSH_IJSG_SG_SG_EEES9_SI_JZNS1_25segmented_radix_sort_implINS0_14default_configELb1EPKhPhPKlPlN2at6native12_GLOBAL__N_18offset_tEEE10hipError_tPvRmT1_PNSt15iterator_traitsIS12_E10value_typeET2_T3_PNS13_IS18_E10value_typeET4_jRbjT5_S1E_jjP12ihipStream_tbEUljE_ZNSN_ISO_Lb1ESQ_SR_ST_SU_SY_EESZ_S10_S11_S12_S16_S17_S18_S1B_S1C_jS1D_jS1E_S1E_jjS1G_bEUljE0_EEESZ_S10_S11_S18_S1C_S1E_T6_T7_T9_mT8_S1G_bDpT10_ENKUlT_T0_E_clISt17integral_constantIbLb0EES1U_EEDaS1P_S1Q_EUlS1P_E_NS1_11comp_targetILNS1_3genE2ELNS1_11target_archE906ELNS1_3gpuE6ELNS1_3repE0EEENS1_30default_config_static_selectorELNS0_4arch9wavefront6targetE0EEEvS12_.has_recursion, 0
	.set _ZN7rocprim17ROCPRIM_400000_NS6detail17trampoline_kernelINS0_13select_configILj256ELj13ELNS0_17block_load_methodE3ELS4_3ELS4_3ELNS0_20block_scan_algorithmE0ELj4294967295EEENS1_25partition_config_selectorILNS1_17partition_subalgoE4EjNS0_10empty_typeEbEEZZNS1_14partition_implILS8_4ELb0ES6_15HIP_vector_typeIjLj2EENS0_17counting_iteratorIjlEEPS9_SG_NS0_5tupleIJPjSI_NS0_16reverse_iteratorISI_EEEEENSH_IJSG_SG_SG_EEES9_SI_JZNS1_25segmented_radix_sort_implINS0_14default_configELb1EPKhPhPKlPlN2at6native12_GLOBAL__N_18offset_tEEE10hipError_tPvRmT1_PNSt15iterator_traitsIS12_E10value_typeET2_T3_PNS13_IS18_E10value_typeET4_jRbjT5_S1E_jjP12ihipStream_tbEUljE_ZNSN_ISO_Lb1ESQ_SR_ST_SU_SY_EESZ_S10_S11_S12_S16_S17_S18_S1B_S1C_jS1D_jS1E_S1E_jjS1G_bEUljE0_EEESZ_S10_S11_S18_S1C_S1E_T6_T7_T9_mT8_S1G_bDpT10_ENKUlT_T0_E_clISt17integral_constantIbLb0EES1U_EEDaS1P_S1Q_EUlS1P_E_NS1_11comp_targetILNS1_3genE2ELNS1_11target_archE906ELNS1_3gpuE6ELNS1_3repE0EEENS1_30default_config_static_selectorELNS0_4arch9wavefront6targetE0EEEvS12_.has_indirect_call, 0
	.section	.AMDGPU.csdata,"",@progbits
; Kernel info:
; codeLenInByte = 0
; TotalNumSgprs: 0
; NumVgprs: 0
; ScratchSize: 0
; MemoryBound: 0
; FloatMode: 240
; IeeeMode: 1
; LDSByteSize: 0 bytes/workgroup (compile time only)
; SGPRBlocks: 0
; VGPRBlocks: 0
; NumSGPRsForWavesPerEU: 1
; NumVGPRsForWavesPerEU: 1
; Occupancy: 16
; WaveLimiterHint : 0
; COMPUTE_PGM_RSRC2:SCRATCH_EN: 0
; COMPUTE_PGM_RSRC2:USER_SGPR: 2
; COMPUTE_PGM_RSRC2:TRAP_HANDLER: 0
; COMPUTE_PGM_RSRC2:TGID_X_EN: 1
; COMPUTE_PGM_RSRC2:TGID_Y_EN: 0
; COMPUTE_PGM_RSRC2:TGID_Z_EN: 0
; COMPUTE_PGM_RSRC2:TIDIG_COMP_CNT: 0
	.section	.text._ZN7rocprim17ROCPRIM_400000_NS6detail17trampoline_kernelINS0_13select_configILj256ELj13ELNS0_17block_load_methodE3ELS4_3ELS4_3ELNS0_20block_scan_algorithmE0ELj4294967295EEENS1_25partition_config_selectorILNS1_17partition_subalgoE4EjNS0_10empty_typeEbEEZZNS1_14partition_implILS8_4ELb0ES6_15HIP_vector_typeIjLj2EENS0_17counting_iteratorIjlEEPS9_SG_NS0_5tupleIJPjSI_NS0_16reverse_iteratorISI_EEEEENSH_IJSG_SG_SG_EEES9_SI_JZNS1_25segmented_radix_sort_implINS0_14default_configELb1EPKhPhPKlPlN2at6native12_GLOBAL__N_18offset_tEEE10hipError_tPvRmT1_PNSt15iterator_traitsIS12_E10value_typeET2_T3_PNS13_IS18_E10value_typeET4_jRbjT5_S1E_jjP12ihipStream_tbEUljE_ZNSN_ISO_Lb1ESQ_SR_ST_SU_SY_EESZ_S10_S11_S12_S16_S17_S18_S1B_S1C_jS1D_jS1E_S1E_jjS1G_bEUljE0_EEESZ_S10_S11_S18_S1C_S1E_T6_T7_T9_mT8_S1G_bDpT10_ENKUlT_T0_E_clISt17integral_constantIbLb0EES1U_EEDaS1P_S1Q_EUlS1P_E_NS1_11comp_targetILNS1_3genE10ELNS1_11target_archE1200ELNS1_3gpuE4ELNS1_3repE0EEENS1_30default_config_static_selectorELNS0_4arch9wavefront6targetE0EEEvS12_,"axG",@progbits,_ZN7rocprim17ROCPRIM_400000_NS6detail17trampoline_kernelINS0_13select_configILj256ELj13ELNS0_17block_load_methodE3ELS4_3ELS4_3ELNS0_20block_scan_algorithmE0ELj4294967295EEENS1_25partition_config_selectorILNS1_17partition_subalgoE4EjNS0_10empty_typeEbEEZZNS1_14partition_implILS8_4ELb0ES6_15HIP_vector_typeIjLj2EENS0_17counting_iteratorIjlEEPS9_SG_NS0_5tupleIJPjSI_NS0_16reverse_iteratorISI_EEEEENSH_IJSG_SG_SG_EEES9_SI_JZNS1_25segmented_radix_sort_implINS0_14default_configELb1EPKhPhPKlPlN2at6native12_GLOBAL__N_18offset_tEEE10hipError_tPvRmT1_PNSt15iterator_traitsIS12_E10value_typeET2_T3_PNS13_IS18_E10value_typeET4_jRbjT5_S1E_jjP12ihipStream_tbEUljE_ZNSN_ISO_Lb1ESQ_SR_ST_SU_SY_EESZ_S10_S11_S12_S16_S17_S18_S1B_S1C_jS1D_jS1E_S1E_jjS1G_bEUljE0_EEESZ_S10_S11_S18_S1C_S1E_T6_T7_T9_mT8_S1G_bDpT10_ENKUlT_T0_E_clISt17integral_constantIbLb0EES1U_EEDaS1P_S1Q_EUlS1P_E_NS1_11comp_targetILNS1_3genE10ELNS1_11target_archE1200ELNS1_3gpuE4ELNS1_3repE0EEENS1_30default_config_static_selectorELNS0_4arch9wavefront6targetE0EEEvS12_,comdat
	.globl	_ZN7rocprim17ROCPRIM_400000_NS6detail17trampoline_kernelINS0_13select_configILj256ELj13ELNS0_17block_load_methodE3ELS4_3ELS4_3ELNS0_20block_scan_algorithmE0ELj4294967295EEENS1_25partition_config_selectorILNS1_17partition_subalgoE4EjNS0_10empty_typeEbEEZZNS1_14partition_implILS8_4ELb0ES6_15HIP_vector_typeIjLj2EENS0_17counting_iteratorIjlEEPS9_SG_NS0_5tupleIJPjSI_NS0_16reverse_iteratorISI_EEEEENSH_IJSG_SG_SG_EEES9_SI_JZNS1_25segmented_radix_sort_implINS0_14default_configELb1EPKhPhPKlPlN2at6native12_GLOBAL__N_18offset_tEEE10hipError_tPvRmT1_PNSt15iterator_traitsIS12_E10value_typeET2_T3_PNS13_IS18_E10value_typeET4_jRbjT5_S1E_jjP12ihipStream_tbEUljE_ZNSN_ISO_Lb1ESQ_SR_ST_SU_SY_EESZ_S10_S11_S12_S16_S17_S18_S1B_S1C_jS1D_jS1E_S1E_jjS1G_bEUljE0_EEESZ_S10_S11_S18_S1C_S1E_T6_T7_T9_mT8_S1G_bDpT10_ENKUlT_T0_E_clISt17integral_constantIbLb0EES1U_EEDaS1P_S1Q_EUlS1P_E_NS1_11comp_targetILNS1_3genE10ELNS1_11target_archE1200ELNS1_3gpuE4ELNS1_3repE0EEENS1_30default_config_static_selectorELNS0_4arch9wavefront6targetE0EEEvS12_ ; -- Begin function _ZN7rocprim17ROCPRIM_400000_NS6detail17trampoline_kernelINS0_13select_configILj256ELj13ELNS0_17block_load_methodE3ELS4_3ELS4_3ELNS0_20block_scan_algorithmE0ELj4294967295EEENS1_25partition_config_selectorILNS1_17partition_subalgoE4EjNS0_10empty_typeEbEEZZNS1_14partition_implILS8_4ELb0ES6_15HIP_vector_typeIjLj2EENS0_17counting_iteratorIjlEEPS9_SG_NS0_5tupleIJPjSI_NS0_16reverse_iteratorISI_EEEEENSH_IJSG_SG_SG_EEES9_SI_JZNS1_25segmented_radix_sort_implINS0_14default_configELb1EPKhPhPKlPlN2at6native12_GLOBAL__N_18offset_tEEE10hipError_tPvRmT1_PNSt15iterator_traitsIS12_E10value_typeET2_T3_PNS13_IS18_E10value_typeET4_jRbjT5_S1E_jjP12ihipStream_tbEUljE_ZNSN_ISO_Lb1ESQ_SR_ST_SU_SY_EESZ_S10_S11_S12_S16_S17_S18_S1B_S1C_jS1D_jS1E_S1E_jjS1G_bEUljE0_EEESZ_S10_S11_S18_S1C_S1E_T6_T7_T9_mT8_S1G_bDpT10_ENKUlT_T0_E_clISt17integral_constantIbLb0EES1U_EEDaS1P_S1Q_EUlS1P_E_NS1_11comp_targetILNS1_3genE10ELNS1_11target_archE1200ELNS1_3gpuE4ELNS1_3repE0EEENS1_30default_config_static_selectorELNS0_4arch9wavefront6targetE0EEEvS12_
	.p2align	8
	.type	_ZN7rocprim17ROCPRIM_400000_NS6detail17trampoline_kernelINS0_13select_configILj256ELj13ELNS0_17block_load_methodE3ELS4_3ELS4_3ELNS0_20block_scan_algorithmE0ELj4294967295EEENS1_25partition_config_selectorILNS1_17partition_subalgoE4EjNS0_10empty_typeEbEEZZNS1_14partition_implILS8_4ELb0ES6_15HIP_vector_typeIjLj2EENS0_17counting_iteratorIjlEEPS9_SG_NS0_5tupleIJPjSI_NS0_16reverse_iteratorISI_EEEEENSH_IJSG_SG_SG_EEES9_SI_JZNS1_25segmented_radix_sort_implINS0_14default_configELb1EPKhPhPKlPlN2at6native12_GLOBAL__N_18offset_tEEE10hipError_tPvRmT1_PNSt15iterator_traitsIS12_E10value_typeET2_T3_PNS13_IS18_E10value_typeET4_jRbjT5_S1E_jjP12ihipStream_tbEUljE_ZNSN_ISO_Lb1ESQ_SR_ST_SU_SY_EESZ_S10_S11_S12_S16_S17_S18_S1B_S1C_jS1D_jS1E_S1E_jjS1G_bEUljE0_EEESZ_S10_S11_S18_S1C_S1E_T6_T7_T9_mT8_S1G_bDpT10_ENKUlT_T0_E_clISt17integral_constantIbLb0EES1U_EEDaS1P_S1Q_EUlS1P_E_NS1_11comp_targetILNS1_3genE10ELNS1_11target_archE1200ELNS1_3gpuE4ELNS1_3repE0EEENS1_30default_config_static_selectorELNS0_4arch9wavefront6targetE0EEEvS12_,@function
_ZN7rocprim17ROCPRIM_400000_NS6detail17trampoline_kernelINS0_13select_configILj256ELj13ELNS0_17block_load_methodE3ELS4_3ELS4_3ELNS0_20block_scan_algorithmE0ELj4294967295EEENS1_25partition_config_selectorILNS1_17partition_subalgoE4EjNS0_10empty_typeEbEEZZNS1_14partition_implILS8_4ELb0ES6_15HIP_vector_typeIjLj2EENS0_17counting_iteratorIjlEEPS9_SG_NS0_5tupleIJPjSI_NS0_16reverse_iteratorISI_EEEEENSH_IJSG_SG_SG_EEES9_SI_JZNS1_25segmented_radix_sort_implINS0_14default_configELb1EPKhPhPKlPlN2at6native12_GLOBAL__N_18offset_tEEE10hipError_tPvRmT1_PNSt15iterator_traitsIS12_E10value_typeET2_T3_PNS13_IS18_E10value_typeET4_jRbjT5_S1E_jjP12ihipStream_tbEUljE_ZNSN_ISO_Lb1ESQ_SR_ST_SU_SY_EESZ_S10_S11_S12_S16_S17_S18_S1B_S1C_jS1D_jS1E_S1E_jjS1G_bEUljE0_EEESZ_S10_S11_S18_S1C_S1E_T6_T7_T9_mT8_S1G_bDpT10_ENKUlT_T0_E_clISt17integral_constantIbLb0EES1U_EEDaS1P_S1Q_EUlS1P_E_NS1_11comp_targetILNS1_3genE10ELNS1_11target_archE1200ELNS1_3gpuE4ELNS1_3repE0EEENS1_30default_config_static_selectorELNS0_4arch9wavefront6targetE0EEEvS12_: ; @_ZN7rocprim17ROCPRIM_400000_NS6detail17trampoline_kernelINS0_13select_configILj256ELj13ELNS0_17block_load_methodE3ELS4_3ELS4_3ELNS0_20block_scan_algorithmE0ELj4294967295EEENS1_25partition_config_selectorILNS1_17partition_subalgoE4EjNS0_10empty_typeEbEEZZNS1_14partition_implILS8_4ELb0ES6_15HIP_vector_typeIjLj2EENS0_17counting_iteratorIjlEEPS9_SG_NS0_5tupleIJPjSI_NS0_16reverse_iteratorISI_EEEEENSH_IJSG_SG_SG_EEES9_SI_JZNS1_25segmented_radix_sort_implINS0_14default_configELb1EPKhPhPKlPlN2at6native12_GLOBAL__N_18offset_tEEE10hipError_tPvRmT1_PNSt15iterator_traitsIS12_E10value_typeET2_T3_PNS13_IS18_E10value_typeET4_jRbjT5_S1E_jjP12ihipStream_tbEUljE_ZNSN_ISO_Lb1ESQ_SR_ST_SU_SY_EESZ_S10_S11_S12_S16_S17_S18_S1B_S1C_jS1D_jS1E_S1E_jjS1G_bEUljE0_EEESZ_S10_S11_S18_S1C_S1E_T6_T7_T9_mT8_S1G_bDpT10_ENKUlT_T0_E_clISt17integral_constantIbLb0EES1U_EEDaS1P_S1Q_EUlS1P_E_NS1_11comp_targetILNS1_3genE10ELNS1_11target_archE1200ELNS1_3gpuE4ELNS1_3repE0EEENS1_30default_config_static_selectorELNS0_4arch9wavefront6targetE0EEEvS12_
; %bb.0:
	s_clause 0x6
	s_load_b32 s6, s[0:1], 0x80
	s_load_b128 s[24:27], s[0:1], 0x58
	s_load_b64 s[34:35], s[0:1], 0x10
	s_load_b64 s[2:3], s[0:1], 0x68
	s_load_b32 s7, s[0:1], 0x8
	s_load_b64 s[42:43], s[0:1], 0xa8
	s_load_b256 s[16:23], s[0:1], 0x88
	s_mov_b32 s5, 0
	s_mul_i32 s40, ttmp9, 0xd00
	s_wait_kmcnt 0x0
	s_mul_i32 s4, s6, 0xd00
	s_load_b128 s[28:31], s[26:27], 0x0
	s_add_co_i32 s8, s4, s34
	s_add_co_i32 s6, s6, -1
	s_sub_co_i32 s33, s2, s8
	s_add_nc_u64 s[4:5], s[34:35], s[4:5]
	s_addk_co_i32 s33, 0xd00
	s_cmp_eq_u32 ttmp9, s6
	v_cmp_gt_u64_e64 s2, s[2:3], s[4:5]
	s_cselect_b32 s15, -1, 0
	s_cmp_lg_u32 ttmp9, s6
	s_mov_b32 s5, -1
	s_cselect_b32 s3, -1, 0
	s_add_co_i32 s4, s7, s40
	s_wait_alu 0xfffe
	s_or_b32 s3, s3, s2
	s_add_co_i32 s4, s4, s34
	s_wait_alu 0xfffe
	s_and_b32 vcc_lo, exec_lo, s3
	v_add_nc_u32_e32 v1, s4, v0
	s_cbranch_vccz .LBB9_2
; %bb.1:
	s_delay_alu instid0(VALU_DEP_1)
	v_add_nc_u32_e32 v2, 0x100, v1
	v_lshlrev_b32_e32 v10, 2, v0
	v_add_nc_u32_e32 v3, 0x200, v1
	v_add_nc_u32_e32 v4, 0x300, v1
	;; [unrolled: 1-line block ×11, first 2 shown]
	ds_store_2addr_stride64_b32 v10, v1, v2 offset1:4
	ds_store_2addr_stride64_b32 v10, v3, v4 offset0:8 offset1:12
	ds_store_2addr_stride64_b32 v10, v5, v6 offset0:16 offset1:20
	;; [unrolled: 1-line block ×5, first 2 shown]
	ds_store_b32 v10, v14 offset:12288
	s_wait_dscnt 0x0
	s_barrier_signal -1
	s_mov_b32 s5, 0
	s_barrier_wait -1
.LBB9_2:
	v_cmp_gt_u32_e64 s2, s33, v0
	v_or_b32_e32 v38, 0x100, v0
	v_or_b32_e32 v37, 0x200, v0
	;; [unrolled: 1-line block ×12, first 2 shown]
	s_wait_alu 0xfffe
	s_and_not1_b32 vcc_lo, exec_lo, s5
	s_cbranch_vccnz .LBB9_4
; %bb.3:
	v_cmp_gt_u32_e32 vcc_lo, s33, v38
	v_add_nc_u32_e32 v3, s4, v37
	v_add_nc_u32_e32 v2, s4, v38
	v_cndmask_b32_e64 v1, 0, v1, s2
	v_lshlrev_b32_e32 v14, 2, v0
	s_delay_alu instid0(VALU_DEP_3)
	v_cndmask_b32_e32 v2, 0, v2, vcc_lo
	v_cmp_gt_u32_e32 vcc_lo, s33, v37
	s_wait_alu 0xfffd
	v_cndmask_b32_e32 v3, 0, v3, vcc_lo
	v_cmp_gt_u32_e32 vcc_lo, s33, v36
	v_add_nc_u32_e32 v5, s4, v35
	v_add_nc_u32_e32 v4, s4, v36
	s_wait_alu 0xfffd
	s_delay_alu instid0(VALU_DEP_1)
	v_cndmask_b32_e32 v4, 0, v4, vcc_lo
	v_cmp_gt_u32_e32 vcc_lo, s33, v35
	s_wait_alu 0xfffd
	v_cndmask_b32_e32 v5, 0, v5, vcc_lo
	v_cmp_gt_u32_e32 vcc_lo, s33, v34
	v_add_nc_u32_e32 v7, s4, v33
	v_add_nc_u32_e32 v6, s4, v34
	s_wait_alu 0xfffd
	s_delay_alu instid0(VALU_DEP_1)
	;; [unrolled: 9-line block ×5, first 2 shown]
	v_cndmask_b32_e32 v12, 0, v12, vcc_lo
	v_cmp_gt_u32_e32 vcc_lo, s33, v27
	s_wait_alu 0xfffd
	v_cndmask_b32_e32 v13, 0, v13, vcc_lo
	ds_store_2addr_stride64_b32 v14, v1, v2 offset1:4
	ds_store_2addr_stride64_b32 v14, v3, v4 offset0:8 offset1:12
	ds_store_2addr_stride64_b32 v14, v5, v6 offset0:16 offset1:20
	;; [unrolled: 1-line block ×5, first 2 shown]
	ds_store_b32 v14, v13 offset:12288
	s_wait_dscnt 0x0
	s_barrier_signal -1
	s_barrier_wait -1
.LBB9_4:
	v_mul_u32_u24_e32 v41, 13, v0
	s_clause 0x1
	s_load_b128 s[36:39], s[0:1], 0x28
	s_load_b64 s[26:27], s[0:1], 0x38
	global_inv scope:SCOPE_SE
	v_cndmask_b32_e64 v39, 0, 1, s3
	s_and_not1_b32 vcc_lo, exec_lo, s3
	v_lshlrev_b32_e32 v1, 2, v41
	ds_load_2addr_b32 v[19:20], v1 offset1:1
	ds_load_2addr_b32 v[17:18], v1 offset0:2 offset1:3
	ds_load_2addr_b32 v[15:16], v1 offset0:4 offset1:5
	;; [unrolled: 1-line block ×5, first 2 shown]
	ds_load_b32 v40, v1 offset:48
	s_wait_loadcnt_dscnt 0x0
	s_barrier_signal -1
	s_barrier_wait -1
	global_inv scope:SCOPE_SE
	s_wait_alu 0xfffe
	s_cbranch_vccnz .LBB9_32
; %bb.5:
	v_add_nc_u32_e32 v1, s17, v19
	v_add_nc_u32_e32 v2, s19, v19
	s_mov_b32 s44, 0
	s_mov_b32 s41, 0
	s_mov_b32 s3, exec_lo
	v_mul_lo_u32 v1, v1, s16
	v_mul_lo_u32 v2, v2, s18
	s_delay_alu instid0(VALU_DEP_1) | instskip(NEXT) | instid1(VALU_DEP_1)
	v_sub_nc_u32_e32 v1, v1, v2
	v_cmp_lt_u32_e32 vcc_lo, s20, v1
	v_cmpx_ge_u32_e64 s20, v1
	s_cbranch_execz .LBB9_7
; %bb.6:
	v_add_nc_u32_e32 v1, s22, v19
	v_add_nc_u32_e32 v2, s42, v19
	s_delay_alu instid0(VALU_DEP_2) | instskip(NEXT) | instid1(VALU_DEP_2)
	v_mul_lo_u32 v1, v1, s21
	v_mul_lo_u32 v2, v2, s23
	s_delay_alu instid0(VALU_DEP_1) | instskip(NEXT) | instid1(VALU_DEP_1)
	v_sub_nc_u32_e32 v1, v1, v2
	v_cmp_lt_u32_e64 s2, s43, v1
	s_and_b32 s41, s2, exec_lo
.LBB9_7:
	s_wait_alu 0xfffe
	s_or_b32 exec_lo, exec_lo, s3
	v_add_nc_u32_e32 v1, s17, v20
	v_add_nc_u32_e32 v2, s19, v20
	s_mov_b32 s4, exec_lo
	s_delay_alu instid0(VALU_DEP_2) | instskip(NEXT) | instid1(VALU_DEP_2)
	v_mul_lo_u32 v1, v1, s16
	v_mul_lo_u32 v2, v2, s18
	s_delay_alu instid0(VALU_DEP_1) | instskip(NEXT) | instid1(VALU_DEP_1)
	v_sub_nc_u32_e32 v1, v1, v2
	v_cmp_lt_u32_e64 s2, s20, v1
	v_cmpx_ge_u32_e64 s20, v1
	s_cbranch_execz .LBB9_9
; %bb.8:
	v_add_nc_u32_e32 v1, s22, v20
	v_add_nc_u32_e32 v2, s42, v20
	s_delay_alu instid0(VALU_DEP_2) | instskip(NEXT) | instid1(VALU_DEP_2)
	v_mul_lo_u32 v1, v1, s21
	v_mul_lo_u32 v2, v2, s23
	s_delay_alu instid0(VALU_DEP_1) | instskip(NEXT) | instid1(VALU_DEP_1)
	v_sub_nc_u32_e32 v1, v1, v2
	v_cmp_lt_u32_e64 s3, s43, v1
	s_and_b32 s44, s3, exec_lo
.LBB9_9:
	s_wait_alu 0xfffe
	s_or_b32 exec_lo, exec_lo, s4
	v_add_nc_u32_e32 v1, s17, v17
	v_add_nc_u32_e32 v2, s19, v17
	s_mov_b32 s46, 0
	s_mov_b32 s45, 0
	s_mov_b32 s5, exec_lo
	v_mul_lo_u32 v1, v1, s16
	v_mul_lo_u32 v2, v2, s18
	s_delay_alu instid0(VALU_DEP_1) | instskip(NEXT) | instid1(VALU_DEP_1)
	v_sub_nc_u32_e32 v1, v1, v2
	v_cmp_lt_u32_e64 s3, s20, v1
	v_cmpx_ge_u32_e64 s20, v1
	s_cbranch_execz .LBB9_11
; %bb.10:
	v_add_nc_u32_e32 v1, s22, v17
	v_add_nc_u32_e32 v2, s42, v17
	s_delay_alu instid0(VALU_DEP_2) | instskip(NEXT) | instid1(VALU_DEP_2)
	v_mul_lo_u32 v1, v1, s21
	v_mul_lo_u32 v2, v2, s23
	s_delay_alu instid0(VALU_DEP_1) | instskip(NEXT) | instid1(VALU_DEP_1)
	v_sub_nc_u32_e32 v1, v1, v2
	v_cmp_lt_u32_e64 s4, s43, v1
	s_and_b32 s45, s4, exec_lo
.LBB9_11:
	s_wait_alu 0xfffe
	s_or_b32 exec_lo, exec_lo, s5
	v_add_nc_u32_e32 v1, s17, v18
	v_add_nc_u32_e32 v2, s19, v18
	s_mov_b32 s6, exec_lo
	s_delay_alu instid0(VALU_DEP_2) | instskip(NEXT) | instid1(VALU_DEP_2)
	v_mul_lo_u32 v1, v1, s16
	v_mul_lo_u32 v2, v2, s18
	s_delay_alu instid0(VALU_DEP_1) | instskip(NEXT) | instid1(VALU_DEP_1)
	v_sub_nc_u32_e32 v1, v1, v2
	v_cmp_lt_u32_e64 s4, s20, v1
	v_cmpx_ge_u32_e64 s20, v1
	s_cbranch_execz .LBB9_13
; %bb.12:
	v_add_nc_u32_e32 v1, s22, v18
	v_add_nc_u32_e32 v2, s42, v18
	s_delay_alu instid0(VALU_DEP_2) | instskip(NEXT) | instid1(VALU_DEP_2)
	v_mul_lo_u32 v1, v1, s21
	v_mul_lo_u32 v2, v2, s23
	s_delay_alu instid0(VALU_DEP_1) | instskip(NEXT) | instid1(VALU_DEP_1)
	v_sub_nc_u32_e32 v1, v1, v2
	v_cmp_lt_u32_e64 s5, s43, v1
	s_and_b32 s46, s5, exec_lo
.LBB9_13:
	s_or_b32 exec_lo, exec_lo, s6
	v_add_nc_u32_e32 v1, s17, v15
	v_add_nc_u32_e32 v2, s19, v15
	s_mov_b32 s48, 0
	s_mov_b32 s47, 0
	s_mov_b32 s7, exec_lo
	v_mul_lo_u32 v1, v1, s16
	v_mul_lo_u32 v2, v2, s18
	s_delay_alu instid0(VALU_DEP_1) | instskip(NEXT) | instid1(VALU_DEP_1)
	v_sub_nc_u32_e32 v1, v1, v2
	v_cmp_lt_u32_e64 s5, s20, v1
	v_cmpx_ge_u32_e64 s20, v1
	s_cbranch_execz .LBB9_15
; %bb.14:
	v_add_nc_u32_e32 v1, s22, v15
	v_add_nc_u32_e32 v2, s42, v15
	s_delay_alu instid0(VALU_DEP_2) | instskip(NEXT) | instid1(VALU_DEP_2)
	v_mul_lo_u32 v1, v1, s21
	v_mul_lo_u32 v2, v2, s23
	s_delay_alu instid0(VALU_DEP_1) | instskip(NEXT) | instid1(VALU_DEP_1)
	v_sub_nc_u32_e32 v1, v1, v2
	v_cmp_lt_u32_e64 s6, s43, v1
	s_and_b32 s47, s6, exec_lo
.LBB9_15:
	s_or_b32 exec_lo, exec_lo, s7
	v_add_nc_u32_e32 v1, s17, v16
	v_add_nc_u32_e32 v2, s19, v16
	s_mov_b32 s8, exec_lo
	s_delay_alu instid0(VALU_DEP_2) | instskip(NEXT) | instid1(VALU_DEP_2)
	v_mul_lo_u32 v1, v1, s16
	v_mul_lo_u32 v2, v2, s18
	s_delay_alu instid0(VALU_DEP_1) | instskip(NEXT) | instid1(VALU_DEP_1)
	v_sub_nc_u32_e32 v1, v1, v2
	v_cmp_lt_u32_e64 s6, s20, v1
	v_cmpx_ge_u32_e64 s20, v1
	s_cbranch_execz .LBB9_17
; %bb.16:
	v_add_nc_u32_e32 v1, s22, v16
	v_add_nc_u32_e32 v2, s42, v16
	s_delay_alu instid0(VALU_DEP_2) | instskip(NEXT) | instid1(VALU_DEP_2)
	v_mul_lo_u32 v1, v1, s21
	v_mul_lo_u32 v2, v2, s23
	s_delay_alu instid0(VALU_DEP_1) | instskip(NEXT) | instid1(VALU_DEP_1)
	v_sub_nc_u32_e32 v1, v1, v2
	v_cmp_lt_u32_e64 s7, s43, v1
	s_and_b32 s48, s7, exec_lo
.LBB9_17:
	s_or_b32 exec_lo, exec_lo, s8
	v_add_nc_u32_e32 v1, s17, v13
	v_add_nc_u32_e32 v2, s19, v13
	s_mov_b32 s50, 0
	s_mov_b32 s49, 0
	s_mov_b32 s9, exec_lo
	v_mul_lo_u32 v1, v1, s16
	v_mul_lo_u32 v2, v2, s18
	s_delay_alu instid0(VALU_DEP_1) | instskip(NEXT) | instid1(VALU_DEP_1)
	v_sub_nc_u32_e32 v1, v1, v2
	v_cmp_lt_u32_e64 s7, s20, v1
	v_cmpx_ge_u32_e64 s20, v1
	s_cbranch_execz .LBB9_19
; %bb.18:
	v_add_nc_u32_e32 v1, s22, v13
	v_add_nc_u32_e32 v2, s42, v13
	s_delay_alu instid0(VALU_DEP_2) | instskip(NEXT) | instid1(VALU_DEP_2)
	v_mul_lo_u32 v1, v1, s21
	v_mul_lo_u32 v2, v2, s23
	s_delay_alu instid0(VALU_DEP_1) | instskip(NEXT) | instid1(VALU_DEP_1)
	v_sub_nc_u32_e32 v1, v1, v2
	v_cmp_lt_u32_e64 s8, s43, v1
	s_and_b32 s49, s8, exec_lo
.LBB9_19:
	;; [unrolled: 47-line block ×5, first 2 shown]
	s_or_b32 exec_lo, exec_lo, s57
	v_cndmask_b32_e64 v2, 0, 1, s2
	s_wait_alu 0xf1ff
	v_cndmask_b32_e64 v4, 0, 1, s4
	s_wait_alu 0xfffd
	v_cndmask_b32_e64 v1, 0, 1, vcc_lo
	v_cndmask_b32_e64 v3, 0, 1, s3
	v_cndmask_b32_e64 v6, 0, 1, s6
	v_lshlrev_b16 v2, 8, v2
	v_lshlrev_b16 v4, 8, v4
	v_cndmask_b32_e64 v8, 0, 1, s8
	v_cndmask_b32_e64 v22, 0, 1, s10
	;; [unrolled: 1-line block ×3, first 2 shown]
	v_or_b32_e32 v1, v1, v2
	v_or_b32_e32 v2, v3, v4
	v_cndmask_b32_e64 v51, 0, 1, s41
	v_cndmask_b32_e64 v5, 0, 1, s5
	;; [unrolled: 1-line block ×3, first 2 shown]
	v_and_b32_e32 v1, 0xffff, v1
	v_lshlrev_b32_e32 v2, 16, v2
	v_cndmask_b32_e64 v21, 0, 1, s9
	v_cndmask_b32_e64 v23, 0, 1, s11
	;; [unrolled: 1-line block ×8, first 2 shown]
	v_or_b32_e32 v42, v1, v2
	v_lshlrev_b16 v1, 8, v6
	v_lshlrev_b16 v2, 8, v8
	;; [unrolled: 1-line block ×5, first 2 shown]
	v_cndmask_b32_e64 v26, 0, 1, s53
	v_cndmask_b32_e64 v44, 0, 1, s50
	;; [unrolled: 1-line block ×5, first 2 shown]
	v_or_b32_e32 v1, v5, v1
	v_or_b32_e32 v2, v7, v2
	;; [unrolled: 1-line block ×5, first 2 shown]
	v_lshlrev_b16 v4, 8, v4
	v_lshlrev_b16 v8, 8, v49
	v_lshlrev_b16 v21, 8, v46
	v_lshlrev_b16 v22, 8, v43
	v_lshlrev_b16 v23, 8, v24
	v_or_b32_e32 v4, v50, v4
	v_or_b32_e32 v3, v3, v8
	v_or_b32_e32 v8, v47, v21
	v_or_b32_e32 v21, v44, v22
	v_or_b32_e32 v22, v26, v23
	v_and_b32_e32 v1, 0xffff, v1
	v_lshlrev_b32_e32 v2, 16, v2
	v_and_b32_e32 v5, 0xffff, v5
	v_lshlrev_b32_e32 v6, 16, v6
	;; [unrolled: 2-line block ×5, first 2 shown]
	v_cndmask_b32_e64 v45, 0, 1, s54
	v_cndmask_b32_e64 v48, 0, 1, s56
	v_or_b32_e32 v44, v1, v2
	v_or_b32_e32 v47, v5, v6
	;; [unrolled: 1-line block ×5, first 2 shown]
	s_load_b64 s[4:5], s[0:1], 0x78
	s_and_b32 vcc_lo, exec_lo, s51
	s_wait_alu 0xfffe
	s_cbranch_vccnz .LBB9_33
	s_branch .LBB9_110
.LBB9_32:
                                        ; implicit-def: $vgpr48
                                        ; implicit-def: $vgpr45
                                        ; implicit-def: $vgpr46
                                        ; implicit-def: $vgpr43
                                        ; implicit-def: $vgpr49
                                        ; implicit-def: $vgpr47
                                        ; implicit-def: $vgpr44
                                        ; implicit-def: $vgpr42
	s_load_b64 s[4:5], s[0:1], 0x78
	s_cbranch_execz .LBB9_110
.LBB9_33:
	v_dual_mov_b32 v2, 0 :: v_dual_mov_b32 v1, 0
	s_mov_b32 s1, exec_lo
	v_cmpx_gt_u32_e64 s33, v41
	s_cbranch_execz .LBB9_37
; %bb.34:
	v_add_nc_u32_e32 v1, s17, v19
	v_add_nc_u32_e32 v2, s19, v19
	s_mov_b32 s3, 0
	s_mov_b32 s2, exec_lo
	s_delay_alu instid0(VALU_DEP_2) | instskip(NEXT) | instid1(VALU_DEP_2)
	v_mul_lo_u32 v1, v1, s16
	v_mul_lo_u32 v2, v2, s18
	s_delay_alu instid0(VALU_DEP_1) | instskip(NEXT) | instid1(VALU_DEP_1)
	v_sub_nc_u32_e32 v1, v1, v2
	v_cmp_lt_u32_e32 vcc_lo, s20, v1
	v_cmpx_ge_u32_e64 s20, v1
	s_cbranch_execz .LBB9_36
; %bb.35:
	v_add_nc_u32_e32 v1, s22, v19
	v_add_nc_u32_e32 v2, s42, v19
	s_delay_alu instid0(VALU_DEP_2) | instskip(NEXT) | instid1(VALU_DEP_2)
	v_mul_lo_u32 v1, v1, s21
	v_mul_lo_u32 v2, v2, s23
	s_delay_alu instid0(VALU_DEP_1) | instskip(NEXT) | instid1(VALU_DEP_1)
	v_sub_nc_u32_e32 v1, v1, v2
	v_cmp_lt_u32_e64 s0, s43, v1
	s_and_b32 s3, s0, exec_lo
.LBB9_36:
	s_wait_alu 0xfffe
	s_or_b32 exec_lo, exec_lo, s2
	v_cndmask_b32_e64 v2, 0, 1, s3
	s_wait_alu 0xfffd
	v_cndmask_b32_e64 v1, 0, 1, vcc_lo
.LBB9_37:
	s_or_b32 exec_lo, exec_lo, s1
	s_delay_alu instid0(VALU_DEP_2) | instskip(SKIP_1) | instid1(VALU_DEP_3)
	v_lshlrev_b16 v2, 8, v2
	v_add_nc_u32_e32 v3, 1, v41
	v_and_b32_e32 v6, 0xff, v1
	v_lshlrev_b16 v1, 8, 0
                                        ; implicit-def: $vgpr5
                                        ; implicit-def: $vgpr8
                                        ; implicit-def: $vgpr4
	s_delay_alu instid0(VALU_DEP_4) | instskip(NEXT) | instid1(VALU_DEP_4)
	v_and_b32_e32 v2, 0xffff, v2
	v_cmp_le_u32_e32 vcc_lo, s33, v3
                                        ; implicit-def: $vgpr3
	s_delay_alu instid0(VALU_DEP_2) | instskip(SKIP_2) | instid1(SALU_CYCLE_1)
	v_lshrrev_b32_e32 v21, 8, v2
	v_and_b32_e32 v7, 0xff, v2
                                        ; implicit-def: $vgpr2
	s_and_saveexec_b32 s0, vcc_lo
	s_xor_b32 s0, exec_lo, s0
	s_cbranch_execz .LBB9_39
; %bb.38:
	v_lshlrev_b16 v2, 8, v21
	v_and_b32_e32 v4, 0xffff, v1
                                        ; implicit-def: $vgpr21
	v_mov_b32_e32 v5, 0
	s_delay_alu instid0(VALU_DEP_3) | instskip(SKIP_1) | instid1(VALU_DEP_2)
	v_or_b32_e32 v3, v7, v2
	v_mov_b32_e32 v2, 0
                                        ; implicit-def: $vgpr7
	v_and_b32_e32 v8, 0xffff, v3
	v_and_b32_e32 v3, 0xffff, v1
                                        ; implicit-def: $vgpr1
.LBB9_39:
	s_and_not1_saveexec_b32 s1, s0
	s_cbranch_execz .LBB9_43
; %bb.40:
	v_add_nc_u32_e32 v2, s17, v20
	v_add_nc_u32_e32 v3, s19, v20
	s_mov_b32 s2, 0
	s_mov_b32 s3, exec_lo
	s_delay_alu instid0(VALU_DEP_2) | instskip(NEXT) | instid1(VALU_DEP_2)
	v_mul_lo_u32 v2, v2, s16
	v_mul_lo_u32 v3, v3, s18
	s_delay_alu instid0(VALU_DEP_1) | instskip(NEXT) | instid1(VALU_DEP_1)
	v_sub_nc_u32_e32 v2, v2, v3
	v_cmp_lt_u32_e32 vcc_lo, s20, v2
	v_cmpx_ge_u32_e64 s20, v2
	s_cbranch_execz .LBB9_42
; %bb.41:
	v_add_nc_u32_e32 v2, s22, v20
	v_add_nc_u32_e32 v3, s42, v20
	s_delay_alu instid0(VALU_DEP_2) | instskip(NEXT) | instid1(VALU_DEP_2)
	v_mul_lo_u32 v2, v2, s21
	v_mul_lo_u32 v3, v3, s23
	s_delay_alu instid0(VALU_DEP_1) | instskip(NEXT) | instid1(VALU_DEP_1)
	v_sub_nc_u32_e32 v2, v2, v3
	v_cmp_lt_u32_e64 s0, s43, v2
	s_and_b32 s2, s0, exec_lo
.LBB9_42:
	s_wait_alu 0xfffe
	s_or_b32 exec_lo, exec_lo, s3
	s_wait_alu 0xfffd
	v_cndmask_b32_e64 v2, 0, 1, vcc_lo
	v_lshlrev_b16 v3, 8, v21
	v_dual_mov_b32 v5, 0 :: v_dual_and_b32 v4, 0xffff, v1
	s_delay_alu instid0(VALU_DEP_3) | instskip(NEXT) | instid1(VALU_DEP_3)
	v_lshlrev_b16 v2, 8, v2
	v_or_b32_e32 v3, v7, v3
	v_cndmask_b32_e64 v7, 0, 1, s2
	s_delay_alu instid0(VALU_DEP_3) | instskip(NEXT) | instid1(VALU_DEP_3)
	v_or_b32_e32 v6, v6, v2
	v_dual_mov_b32 v2, 0 :: v_dual_and_b32 v3, 0xffff, v3
	s_delay_alu instid0(VALU_DEP_2) | instskip(NEXT) | instid1(VALU_DEP_2)
	v_and_b32_e32 v6, 0xffff, v6
	v_lshl_or_b32 v8, v7, 16, v3
	v_and_b32_e32 v3, 0xffff, v1
.LBB9_43:
	s_or_b32 exec_lo, exec_lo, s1
	v_add_nc_u32_e32 v1, 2, v41
	v_and_b32_e32 v21, 0xff, v6
	v_lshrrev_b32_e32 v22, 8, v6
                                        ; implicit-def: $vgpr7
	s_delay_alu instid0(VALU_DEP_3) | instskip(SKIP_1) | instid1(SALU_CYCLE_1)
	v_cmp_le_u32_e32 vcc_lo, s33, v1
                                        ; implicit-def: $vgpr1
	s_and_saveexec_b32 s0, vcc_lo
	s_xor_b32 s0, exec_lo, s0
	s_cbranch_execz .LBB9_45
; %bb.44:
	v_lshlrev_b16 v1, 8, v22
	v_perm_b32 v4, v4, v4, 0x3060504
                                        ; implicit-def: $vgpr22
	s_delay_alu instid0(VALU_DEP_2) | instskip(SKIP_1) | instid1(VALU_DEP_2)
	v_or_b32_e32 v1, v21, v1
	v_and_b32_e32 v21, 0xff0000, v8
	v_and_b32_e32 v1, 0xffff, v1
	s_delay_alu instid0(VALU_DEP_1) | instskip(NEXT) | instid1(VALU_DEP_3)
	v_and_or_b32 v7, 0xff000000, v6, v1
	v_perm_b32 v1, v8, v21, 0x3020504
                                        ; implicit-def: $vgpr21
                                        ; implicit-def: $vgpr6
                                        ; implicit-def: $vgpr8
.LBB9_45:
	s_and_not1_saveexec_b32 s1, s0
	s_cbranch_execz .LBB9_49
; %bb.46:
	v_add_nc_u32_e32 v1, s17, v17
	v_add_nc_u32_e32 v7, s19, v17
	s_mov_b32 s2, 0
	s_mov_b32 s3, exec_lo
	s_delay_alu instid0(VALU_DEP_2) | instskip(NEXT) | instid1(VALU_DEP_2)
	v_mul_lo_u32 v1, v1, s16
	v_mul_lo_u32 v7, v7, s18
	s_delay_alu instid0(VALU_DEP_1) | instskip(NEXT) | instid1(VALU_DEP_1)
	v_sub_nc_u32_e32 v1, v1, v7
	v_cmp_lt_u32_e32 vcc_lo, s20, v1
	v_cmpx_ge_u32_e64 s20, v1
	s_cbranch_execz .LBB9_48
; %bb.47:
	v_add_nc_u32_e32 v1, s22, v17
	v_add_nc_u32_e32 v7, s42, v17
	s_delay_alu instid0(VALU_DEP_2) | instskip(NEXT) | instid1(VALU_DEP_2)
	v_mul_lo_u32 v1, v1, s21
	v_mul_lo_u32 v7, v7, s23
	s_delay_alu instid0(VALU_DEP_1) | instskip(NEXT) | instid1(VALU_DEP_1)
	v_sub_nc_u32_e32 v1, v1, v7
	v_cmp_lt_u32_e64 s0, s43, v1
	s_and_b32 s2, s0, exec_lo
.LBB9_48:
	s_wait_alu 0xfffe
	s_or_b32 exec_lo, exec_lo, s3
	v_lshrrev_b32_e32 v6, 24, v6
	v_cndmask_b32_e64 v7, 0, 1, s2
	v_lshrrev_b32_e32 v23, 8, v8
	v_lshrrev_b32_e32 v24, 16, v8
	s_wait_alu 0xfffd
	v_cndmask_b32_e64 v1, 0, 1, vcc_lo
	v_lshlrev_b16 v22, 8, v22
	v_lshlrev_b16 v6, 8, v6
	v_and_b32_e32 v8, 0xff, v8
	v_lshlrev_b16 v23, 8, v23
	v_lshlrev_b16 v7, 8, v7
	v_and_b32_e32 v24, 0xff, v24
	v_or_b32_e32 v21, v21, v22
	v_or_b32_e32 v1, v1, v6
	;; [unrolled: 1-line block ×3, first 2 shown]
	s_delay_alu instid0(VALU_DEP_4) | instskip(NEXT) | instid1(VALU_DEP_4)
	v_or_b32_e32 v7, v24, v7
	v_and_b32_e32 v8, 0xffff, v21
	s_delay_alu instid0(VALU_DEP_4) | instskip(NEXT) | instid1(VALU_DEP_4)
	v_lshlrev_b32_e32 v1, 16, v1
	v_and_b32_e32 v6, 0xffff, v6
	s_delay_alu instid0(VALU_DEP_4) | instskip(NEXT) | instid1(VALU_DEP_3)
	v_lshlrev_b32_e32 v21, 16, v7
	v_or_b32_e32 v7, v8, v1
	s_delay_alu instid0(VALU_DEP_2)
	v_or_b32_e32 v1, v6, v21
.LBB9_49:
	s_or_b32 exec_lo, exec_lo, s1
	v_add_nc_u32_e32 v6, 3, v41
	v_lshrrev_b32_e32 v8, 24, v5
	v_lshrrev_b32_e32 v21, 16, v5
	;; [unrolled: 1-line block ×3, first 2 shown]
                                        ; implicit-def: $vgpr42
	s_delay_alu instid0(VALU_DEP_4) | instskip(SKIP_1) | instid1(SALU_CYCLE_1)
	v_cmp_le_u32_e32 vcc_lo, s33, v6
                                        ; implicit-def: $vgpr6
	s_and_saveexec_b32 s0, vcc_lo
	s_xor_b32 s0, exec_lo, s0
	s_cbranch_execz .LBB9_51
; %bb.50:
	v_lshlrev_b16 v6, 8, v8
	v_and_b32_e32 v8, 0xff, v21
	v_lshlrev_b16 v5, 8, v5
	v_perm_b32 v4, v4, v4, 0x3060504
	v_perm_b32 v3, v3, v3, 0x3060504
                                        ; implicit-def: $vgpr21
	s_delay_alu instid0(VALU_DEP_4) | instskip(SKIP_2) | instid1(VALU_DEP_3)
	v_or_b32_e32 v6, v8, v6
	v_and_b32_e32 v8, 0xff0000, v7
	v_and_b32_e32 v5, 0xffff, v5
	v_lshlrev_b32_e32 v6, 16, v6
	s_delay_alu instid0(VALU_DEP_3) | instskip(NEXT) | instid1(VALU_DEP_2)
	v_perm_b32 v42, v7, v8, 0x3020504
                                        ; implicit-def: $vgpr7
                                        ; implicit-def: $vgpr8
	v_or_b32_e32 v6, v5, v6
                                        ; implicit-def: $vgpr5
.LBB9_51:
	s_and_not1_saveexec_b32 s1, s0
	s_cbranch_execz .LBB9_55
; %bb.52:
	v_add_nc_u32_e32 v6, s17, v18
	v_add_nc_u32_e32 v22, s19, v18
	s_mov_b32 s2, 0
	s_mov_b32 s3, exec_lo
	s_delay_alu instid0(VALU_DEP_2) | instskip(NEXT) | instid1(VALU_DEP_2)
	v_mul_lo_u32 v6, v6, s16
	v_mul_lo_u32 v22, v22, s18
	s_delay_alu instid0(VALU_DEP_1) | instskip(NEXT) | instid1(VALU_DEP_1)
	v_sub_nc_u32_e32 v6, v6, v22
	v_cmp_lt_u32_e32 vcc_lo, s20, v6
	v_cmpx_ge_u32_e64 s20, v6
	s_cbranch_execz .LBB9_54
; %bb.53:
	v_add_nc_u32_e32 v6, s22, v18
	v_add_nc_u32_e32 v22, s42, v18
	s_delay_alu instid0(VALU_DEP_2) | instskip(NEXT) | instid1(VALU_DEP_2)
	v_mul_lo_u32 v6, v6, s21
	v_mul_lo_u32 v22, v22, s23
	s_delay_alu instid0(VALU_DEP_1) | instskip(NEXT) | instid1(VALU_DEP_1)
	v_sub_nc_u32_e32 v6, v6, v22
	v_cmp_lt_u32_e64 s0, s43, v6
	s_and_b32 s2, s0, exec_lo
.LBB9_54:
	s_wait_alu 0xfffe
	s_or_b32 exec_lo, exec_lo, s3
	v_lshrrev_b32_e32 v6, 8, v7
	s_wait_alu 0xfffd
	v_cndmask_b32_e64 v22, 0, 1, vcc_lo
	v_lshrrev_b32_e32 v23, 16, v7
	v_cndmask_b32_e64 v24, 0, 1, s2
	v_and_b32_e32 v7, 0xff, v7
	v_lshlrev_b16 v6, 8, v6
	v_lshlrev_b16 v22, 8, v22
	v_and_b32_e32 v23, 0xff, v23
	v_lshlrev_b16 v8, 8, v8
	v_and_b32_e32 v21, 0xff, v21
	v_lshlrev_b16 v5, 8, v5
	v_or_b32_e32 v6, v7, v6
	v_or_b32_e32 v7, v23, v22
	s_delay_alu instid0(VALU_DEP_4) | instskip(NEXT) | instid1(VALU_DEP_4)
	v_or_b32_e32 v8, v21, v8
	v_or_b32_e32 v5, v24, v5
	s_delay_alu instid0(VALU_DEP_4) | instskip(NEXT) | instid1(VALU_DEP_4)
	v_and_b32_e32 v6, 0xffff, v6
	v_lshlrev_b32_e32 v7, 16, v7
	s_delay_alu instid0(VALU_DEP_4) | instskip(NEXT) | instid1(VALU_DEP_4)
	v_lshlrev_b32_e32 v8, 16, v8
	v_and_b32_e32 v5, 0xffff, v5
	s_delay_alu instid0(VALU_DEP_3) | instskip(NEXT) | instid1(VALU_DEP_2)
	v_or_b32_e32 v42, v6, v7
	v_or_b32_e32 v6, v5, v8
.LBB9_55:
	s_or_b32 exec_lo, exec_lo, s1
	v_add_nc_u32_e32 v5, 4, v41
	v_lshrrev_b32_e32 v21, 8, v4
	v_lshrrev_b32_e32 v22, 16, v4
	;; [unrolled: 1-line block ×4, first 2 shown]
	v_cmp_le_u32_e32 vcc_lo, s33, v5
	v_lshrrev_b32_e32 v8, 16, v6
                                        ; implicit-def: $vgpr4
                                        ; implicit-def: $vgpr5
	s_and_saveexec_b32 s0, vcc_lo
	s_delay_alu instid0(SALU_CYCLE_1)
	s_xor_b32 s0, exec_lo, s0
	s_cbranch_execz .LBB9_57
; %bb.56:
	v_lshlrev_b16 v4, 8, v23
	v_and_b32_e32 v5, 0xff, v22
	v_lshlrev_b16 v21, 8, v21
	v_lshlrev_b16 v7, 8, v7
	v_and_b32_e32 v8, 0xff, v8
	v_perm_b32 v3, v3, v3, 0x3060504
	v_or_b32_e32 v4, v5, v4
	v_and_b32_e32 v5, 0xffff, v21
                                        ; implicit-def: $vgpr21
                                        ; implicit-def: $vgpr22
                                        ; implicit-def: $vgpr23
	s_delay_alu instid0(VALU_DEP_4) | instskip(NEXT) | instid1(VALU_DEP_3)
	v_or_b32_e32 v7, v8, v7
	v_lshlrev_b32_e32 v8, 16, v4
	s_delay_alu instid0(VALU_DEP_2) | instskip(NEXT) | instid1(VALU_DEP_2)
	v_perm_b32 v4, v7, v6, 0x5040c00
                                        ; implicit-def: $vgpr6
                                        ; implicit-def: $vgpr7
	v_or_b32_e32 v5, v5, v8
                                        ; implicit-def: $vgpr8
.LBB9_57:
	s_and_not1_saveexec_b32 s1, s0
	s_cbranch_execz .LBB9_61
; %bb.58:
	v_add_nc_u32_e32 v4, s17, v15
	v_add_nc_u32_e32 v5, s19, v15
	s_mov_b32 s2, 0
	s_mov_b32 s3, exec_lo
	s_delay_alu instid0(VALU_DEP_2) | instskip(NEXT) | instid1(VALU_DEP_2)
	v_mul_lo_u32 v4, v4, s16
	v_mul_lo_u32 v5, v5, s18
	s_delay_alu instid0(VALU_DEP_1) | instskip(NEXT) | instid1(VALU_DEP_1)
	v_sub_nc_u32_e32 v4, v4, v5
	v_cmp_lt_u32_e32 vcc_lo, s20, v4
	v_cmpx_ge_u32_e64 s20, v4
	s_cbranch_execz .LBB9_60
; %bb.59:
	v_add_nc_u32_e32 v4, s22, v15
	v_add_nc_u32_e32 v5, s42, v15
	s_delay_alu instid0(VALU_DEP_2) | instskip(NEXT) | instid1(VALU_DEP_2)
	v_mul_lo_u32 v4, v4, s21
	v_mul_lo_u32 v5, v5, s23
	s_delay_alu instid0(VALU_DEP_1) | instskip(NEXT) | instid1(VALU_DEP_1)
	v_sub_nc_u32_e32 v4, v4, v5
	v_cmp_lt_u32_e64 s0, s43, v4
	s_and_b32 s2, s0, exec_lo
.LBB9_60:
	s_wait_alu 0xfffe
	s_or_b32 exec_lo, exec_lo, s3
	v_cndmask_b32_e64 v4, 0, 1, s2
	s_wait_alu 0xfffd
	v_cndmask_b32_e64 v5, 0, 1, vcc_lo
	v_lshlrev_b16 v23, 8, v23
	v_and_b32_e32 v22, 0xff, v22
	v_lshlrev_b16 v21, 8, v21
	v_lshlrev_b16 v4, 8, v4
	v_and_b32_e32 v6, 0xff, v6
	v_lshlrev_b16 v7, 8, v7
	v_and_b32_e32 v8, 0xff, v8
	v_or_b32_e32 v22, v22, v23
	v_or_b32_e32 v5, v5, v21
	;; [unrolled: 1-line block ×3, first 2 shown]
	s_delay_alu instid0(VALU_DEP_4) | instskip(NEXT) | instid1(VALU_DEP_4)
	v_or_b32_e32 v6, v8, v7
	v_lshlrev_b32_e32 v7, 16, v22
	s_delay_alu instid0(VALU_DEP_4) | instskip(NEXT) | instid1(VALU_DEP_4)
	v_and_b32_e32 v5, 0xffff, v5
	v_and_b32_e32 v4, 0xffff, v4
	s_delay_alu instid0(VALU_DEP_4) | instskip(NEXT) | instid1(VALU_DEP_3)
	v_lshlrev_b32_e32 v6, 16, v6
	v_or_b32_e32 v5, v5, v7
	s_delay_alu instid0(VALU_DEP_2)
	v_or_b32_e32 v4, v4, v6
.LBB9_61:
	s_or_b32 exec_lo, exec_lo, s1
	v_add_nc_u32_e32 v6, 5, v41
	s_delay_alu instid0(VALU_DEP_2)
	v_lshrrev_b32_e32 v21, 16, v5
	v_lshrrev_b32_e32 v23, 24, v5
	v_and_b32_e32 v8, 0xff, v4
	v_lshrrev_b32_e32 v22, 8, v4
	v_cmp_le_u32_e32 vcc_lo, s33, v6
                                        ; implicit-def: $vgpr6
                                        ; implicit-def: $vgpr7
	s_and_saveexec_b32 s0, vcc_lo
	s_delay_alu instid0(SALU_CYCLE_1)
	s_xor_b32 s0, exec_lo, s0
	s_cbranch_execz .LBB9_63
; %bb.62:
	v_lshlrev_b16 v6, 8, v22
	v_lshlrev_b16 v7, 8, v23
	v_and_b32_e32 v21, 0xff, v21
	v_perm_b32 v3, v3, v3, 0x3060504
                                        ; implicit-def: $vgpr23
                                        ; implicit-def: $vgpr22
	s_delay_alu instid0(VALU_DEP_4) | instskip(NEXT) | instid1(VALU_DEP_3)
	v_or_b32_e32 v6, v8, v6
                                        ; implicit-def: $vgpr8
	v_or_b32_e32 v7, v21, v7
                                        ; implicit-def: $vgpr21
	s_delay_alu instid0(VALU_DEP_2) | instskip(NEXT) | instid1(VALU_DEP_2)
	v_and_b32_e32 v6, 0xffff, v6
	v_perm_b32 v7, v7, v5, 0x5040c00
                                        ; implicit-def: $vgpr5
	s_delay_alu instid0(VALU_DEP_2)
	v_and_or_b32 v6, 0xff000000, v4, v6
                                        ; implicit-def: $vgpr4
.LBB9_63:
	s_and_not1_saveexec_b32 s1, s0
	s_cbranch_execz .LBB9_67
; %bb.64:
	v_add_nc_u32_e32 v6, s17, v16
	v_add_nc_u32_e32 v7, s19, v16
	s_mov_b32 s2, 0
	s_mov_b32 s3, exec_lo
	s_delay_alu instid0(VALU_DEP_2) | instskip(NEXT) | instid1(VALU_DEP_2)
	v_mul_lo_u32 v6, v6, s16
	v_mul_lo_u32 v7, v7, s18
	s_delay_alu instid0(VALU_DEP_1) | instskip(NEXT) | instid1(VALU_DEP_1)
	v_sub_nc_u32_e32 v6, v6, v7
	v_cmp_lt_u32_e32 vcc_lo, s20, v6
	v_cmpx_ge_u32_e64 s20, v6
	s_cbranch_execz .LBB9_66
; %bb.65:
	v_add_nc_u32_e32 v6, s22, v16
	v_add_nc_u32_e32 v7, s42, v16
	s_delay_alu instid0(VALU_DEP_2) | instskip(NEXT) | instid1(VALU_DEP_2)
	v_mul_lo_u32 v6, v6, s21
	v_mul_lo_u32 v7, v7, s23
	s_delay_alu instid0(VALU_DEP_1) | instskip(NEXT) | instid1(VALU_DEP_1)
	v_sub_nc_u32_e32 v6, v6, v7
	v_cmp_lt_u32_e64 s0, s43, v6
	s_and_b32 s2, s0, exec_lo
.LBB9_66:
	s_wait_alu 0xfffe
	s_or_b32 exec_lo, exec_lo, s3
	s_wait_alu 0xfffd
	v_cndmask_b32_e64 v6, 0, 1, vcc_lo
	v_lshrrev_b32_e32 v4, 24, v4
	v_cndmask_b32_e64 v7, 0, 1, s2
	v_lshlrev_b16 v23, 8, v23
	v_and_b32_e32 v21, 0xff, v21
	v_lshlrev_b16 v6, 8, v6
	v_lshlrev_b16 v22, 8, v22
	v_and_b32_e32 v5, 0xff, v5
	v_lshlrev_b16 v4, 8, v4
	v_or_b32_e32 v21, v21, v23
	s_delay_alu instid0(VALU_DEP_4) | instskip(NEXT) | instid1(VALU_DEP_4)
	v_or_b32_e32 v8, v8, v22
	v_or_b32_e32 v5, v5, v6
	s_delay_alu instid0(VALU_DEP_4) | instskip(NEXT) | instid1(VALU_DEP_4)
	v_or_b32_e32 v4, v7, v4
	v_lshlrev_b32_e32 v6, 16, v21
	s_delay_alu instid0(VALU_DEP_4) | instskip(NEXT) | instid1(VALU_DEP_4)
	v_and_b32_e32 v8, 0xffff, v8
	v_and_b32_e32 v5, 0xffff, v5
	s_delay_alu instid0(VALU_DEP_4) | instskip(NEXT) | instid1(VALU_DEP_2)
	v_lshlrev_b32_e32 v4, 16, v4
	v_or_b32_e32 v7, v5, v6
	s_delay_alu instid0(VALU_DEP_2)
	v_or_b32_e32 v6, v8, v4
.LBB9_67:
	s_or_b32 exec_lo, exec_lo, s1
	v_add_nc_u32_e32 v4, 6, v41
	s_delay_alu instid0(VALU_DEP_3) | instskip(NEXT) | instid1(VALU_DEP_2)
	v_lshrrev_b32_e32 v8, 8, v7
                                        ; implicit-def: $vgpr43
                                        ; implicit-def: $vgpr5
	v_cmp_le_u32_e32 vcc_lo, s33, v4
	v_and_b32_e32 v4, 0xff, v7
	s_and_saveexec_b32 s0, vcc_lo
	s_delay_alu instid0(SALU_CYCLE_1)
	s_xor_b32 s0, exec_lo, s0
	s_cbranch_execz .LBB9_69
; %bb.68:
	v_lshlrev_b16 v5, 8, v8
	v_perm_b32 v3, v3, v3, 0x3060504
                                        ; implicit-def: $vgpr8
	s_delay_alu instid0(VALU_DEP_2) | instskip(SKIP_1) | instid1(VALU_DEP_2)
	v_or_b32_e32 v4, v4, v5
	v_and_b32_e32 v5, 0xff0000, v6
	v_and_b32_e32 v4, 0xffff, v4
	s_delay_alu instid0(VALU_DEP_2) | instskip(NEXT) | instid1(VALU_DEP_2)
	v_perm_b32 v43, v6, v5, 0x3020504
                                        ; implicit-def: $vgpr6
	v_and_or_b32 v5, 0xff000000, v7, v4
                                        ; implicit-def: $vgpr4
                                        ; implicit-def: $vgpr7
.LBB9_69:
	s_and_not1_saveexec_b32 s1, s0
	s_cbranch_execz .LBB9_73
; %bb.70:
	v_add_nc_u32_e32 v5, s17, v13
	v_add_nc_u32_e32 v21, s19, v13
	s_mov_b32 s2, 0
	s_mov_b32 s3, exec_lo
	s_delay_alu instid0(VALU_DEP_2) | instskip(NEXT) | instid1(VALU_DEP_2)
	v_mul_lo_u32 v5, v5, s16
	v_mul_lo_u32 v21, v21, s18
	s_delay_alu instid0(VALU_DEP_1) | instskip(NEXT) | instid1(VALU_DEP_1)
	v_sub_nc_u32_e32 v5, v5, v21
	v_cmp_lt_u32_e32 vcc_lo, s20, v5
	v_cmpx_ge_u32_e64 s20, v5
	s_cbranch_execz .LBB9_72
; %bb.71:
	v_add_nc_u32_e32 v5, s22, v13
	v_add_nc_u32_e32 v21, s42, v13
	s_delay_alu instid0(VALU_DEP_2) | instskip(NEXT) | instid1(VALU_DEP_2)
	v_mul_lo_u32 v5, v5, s21
	v_mul_lo_u32 v21, v21, s23
	s_delay_alu instid0(VALU_DEP_1) | instskip(NEXT) | instid1(VALU_DEP_1)
	v_sub_nc_u32_e32 v5, v5, v21
	v_cmp_lt_u32_e64 s0, s43, v5
	s_and_b32 s2, s0, exec_lo
.LBB9_72:
	s_wait_alu 0xfffe
	s_or_b32 exec_lo, exec_lo, s3
	v_lshrrev_b32_e32 v7, 24, v7
	v_cndmask_b32_e64 v21, 0, 1, s2
	v_lshrrev_b32_e32 v22, 8, v6
	v_lshrrev_b32_e32 v23, 16, v6
	s_wait_alu 0xfffd
	v_cndmask_b32_e64 v5, 0, 1, vcc_lo
	v_lshlrev_b16 v8, 8, v8
	v_lshlrev_b16 v7, 8, v7
	v_and_b32_e32 v6, 0xff, v6
	v_lshlrev_b16 v22, 8, v22
	v_lshlrev_b16 v21, 8, v21
	v_and_b32_e32 v23, 0xff, v23
	v_or_b32_e32 v4, v4, v8
	v_or_b32_e32 v5, v5, v7
	;; [unrolled: 1-line block ×3, first 2 shown]
	s_delay_alu instid0(VALU_DEP_4) | instskip(NEXT) | instid1(VALU_DEP_4)
	v_or_b32_e32 v7, v23, v21
	v_and_b32_e32 v4, 0xffff, v4
	s_delay_alu instid0(VALU_DEP_4) | instskip(NEXT) | instid1(VALU_DEP_4)
	v_lshlrev_b32_e32 v5, 16, v5
	v_and_b32_e32 v6, 0xffff, v6
	s_delay_alu instid0(VALU_DEP_4) | instskip(NEXT) | instid1(VALU_DEP_3)
	v_lshlrev_b32_e32 v7, 16, v7
	v_or_b32_e32 v5, v4, v5
	s_delay_alu instid0(VALU_DEP_2)
	v_or_b32_e32 v43, v6, v7
.LBB9_73:
	s_or_b32 exec_lo, exec_lo, s1
	v_add_nc_u32_e32 v4, 7, v41
	v_lshrrev_b32_e32 v6, 8, v3
	v_lshrrev_b32_e32 v7, 16, v3
	;; [unrolled: 1-line block ×3, first 2 shown]
                                        ; implicit-def: $vgpr44
	s_delay_alu instid0(VALU_DEP_4) | instskip(SKIP_1) | instid1(SALU_CYCLE_1)
	v_cmp_le_u32_e32 vcc_lo, s33, v4
                                        ; implicit-def: $vgpr4
	s_and_saveexec_b32 s0, vcc_lo
	s_xor_b32 s0, exec_lo, s0
	s_cbranch_execz .LBB9_75
; %bb.74:
	v_lshlrev_b16 v3, 8, v3
	v_and_b32_e32 v4, 0xff, v7
                                        ; implicit-def: $vgpr7
	s_delay_alu instid0(VALU_DEP_1) | instskip(SKIP_2) | instid1(VALU_DEP_3)
	v_or_b32_e32 v3, v4, v3
	v_lshlrev_b16 v4, 8, v6
	v_and_b32_e32 v6, 0xff0000, v5
	v_lshlrev_b32_e32 v3, 16, v3
	s_delay_alu instid0(VALU_DEP_3) | instskip(NEXT) | instid1(VALU_DEP_3)
	v_and_b32_e32 v4, 0xffff, v4
	v_perm_b32 v44, v5, v6, 0x3020504
                                        ; implicit-def: $vgpr5
                                        ; implicit-def: $vgpr6
	s_delay_alu instid0(VALU_DEP_2)
	v_or_b32_e32 v4, v4, v3
                                        ; implicit-def: $vgpr3
.LBB9_75:
	s_and_not1_saveexec_b32 s1, s0
	s_cbranch_execz .LBB9_79
; %bb.76:
	v_add_nc_u32_e32 v4, s17, v14
	v_add_nc_u32_e32 v8, s19, v14
	s_mov_b32 s2, 0
	s_mov_b32 s3, exec_lo
	s_delay_alu instid0(VALU_DEP_2) | instskip(NEXT) | instid1(VALU_DEP_2)
	v_mul_lo_u32 v4, v4, s16
	v_mul_lo_u32 v8, v8, s18
	s_delay_alu instid0(VALU_DEP_1) | instskip(NEXT) | instid1(VALU_DEP_1)
	v_sub_nc_u32_e32 v4, v4, v8
	v_cmp_lt_u32_e32 vcc_lo, s20, v4
	v_cmpx_ge_u32_e64 s20, v4
	s_cbranch_execz .LBB9_78
; %bb.77:
	v_add_nc_u32_e32 v4, s22, v14
	v_add_nc_u32_e32 v8, s42, v14
	s_delay_alu instid0(VALU_DEP_2) | instskip(NEXT) | instid1(VALU_DEP_2)
	v_mul_lo_u32 v4, v4, s21
	v_mul_lo_u32 v8, v8, s23
	s_delay_alu instid0(VALU_DEP_1) | instskip(NEXT) | instid1(VALU_DEP_1)
	v_sub_nc_u32_e32 v4, v4, v8
	v_cmp_lt_u32_e64 s0, s43, v4
	s_and_b32 s2, s0, exec_lo
.LBB9_78:
	s_wait_alu 0xfffe
	s_or_b32 exec_lo, exec_lo, s3
	v_lshrrev_b32_e32 v4, 8, v5
	s_wait_alu 0xfffd
	v_cndmask_b32_e64 v8, 0, 1, vcc_lo
	v_lshrrev_b32_e32 v21, 16, v5
	v_cndmask_b32_e64 v22, 0, 1, s2
	v_and_b32_e32 v5, 0xff, v5
	v_lshlrev_b16 v4, 8, v4
	v_lshlrev_b16 v8, 8, v8
	v_and_b32_e32 v21, 0xff, v21
	v_lshlrev_b16 v3, 8, v3
	v_and_b32_e32 v7, 0xff, v7
	v_lshlrev_b16 v6, 8, v6
	v_or_b32_e32 v4, v5, v4
	v_or_b32_e32 v5, v21, v8
	s_delay_alu instid0(VALU_DEP_4) | instskip(NEXT) | instid1(VALU_DEP_4)
	v_or_b32_e32 v3, v7, v3
	v_or_b32_e32 v6, v22, v6
	s_delay_alu instid0(VALU_DEP_4) | instskip(NEXT) | instid1(VALU_DEP_4)
	v_and_b32_e32 v4, 0xffff, v4
	v_lshlrev_b32_e32 v5, 16, v5
	s_delay_alu instid0(VALU_DEP_4) | instskip(NEXT) | instid1(VALU_DEP_4)
	v_lshlrev_b32_e32 v3, 16, v3
	v_and_b32_e32 v6, 0xffff, v6
	s_delay_alu instid0(VALU_DEP_3) | instskip(NEXT) | instid1(VALU_DEP_2)
	v_or_b32_e32 v44, v4, v5
	v_or_b32_e32 v4, v6, v3
.LBB9_79:
	s_or_b32 exec_lo, exec_lo, s1
	v_add_nc_u32_e32 v3, 8, v41
	s_delay_alu instid0(VALU_DEP_2)
	v_lshrrev_b32_e32 v5, 16, v4
	v_lshrrev_b32_e32 v6, 24, v4
	;; [unrolled: 1-line block ×4, first 2 shown]
	v_cmp_le_u32_e32 vcc_lo, s33, v3
	v_lshrrev_b32_e32 v7, 8, v2
                                        ; implicit-def: $vgpr2
                                        ; implicit-def: $vgpr3
	s_and_saveexec_b32 s0, vcc_lo
	s_delay_alu instid0(SALU_CYCLE_1)
	s_xor_b32 s0, exec_lo, s0
	s_cbranch_execz .LBB9_81
; %bb.80:
	v_lshlrev_b16 v2, 8, v8
	v_and_b32_e32 v3, 0xff, v21
	v_lshlrev_b16 v7, 8, v7
	v_lshlrev_b16 v6, 8, v6
	v_perm_b32 v1, v1, v1, 0x3060504
                                        ; implicit-def: $vgpr8
                                        ; implicit-def: $vgpr21
	s_delay_alu instid0(VALU_DEP_4) | instskip(SKIP_2) | instid1(VALU_DEP_3)
	v_or_b32_e32 v2, v3, v2
	v_and_b32_e32 v3, 0xff, v5
	v_and_b32_e32 v5, 0xffff, v7
                                        ; implicit-def: $vgpr7
	v_lshlrev_b32_e32 v2, 16, v2
	s_delay_alu instid0(VALU_DEP_3) | instskip(NEXT) | instid1(VALU_DEP_2)
	v_or_b32_e32 v6, v3, v6
	v_or_b32_e32 v3, v5, v2
	s_delay_alu instid0(VALU_DEP_2)
	v_perm_b32 v2, v6, v4, 0x5040c00
                                        ; implicit-def: $vgpr4
                                        ; implicit-def: $vgpr5
                                        ; implicit-def: $vgpr6
.LBB9_81:
	s_and_not1_saveexec_b32 s1, s0
	s_cbranch_execz .LBB9_85
; %bb.82:
	v_add_nc_u32_e32 v2, s17, v11
	v_add_nc_u32_e32 v3, s19, v11
	s_mov_b32 s2, 0
	s_mov_b32 s3, exec_lo
	s_delay_alu instid0(VALU_DEP_2) | instskip(NEXT) | instid1(VALU_DEP_2)
	v_mul_lo_u32 v2, v2, s16
	v_mul_lo_u32 v3, v3, s18
	s_delay_alu instid0(VALU_DEP_1) | instskip(NEXT) | instid1(VALU_DEP_1)
	v_sub_nc_u32_e32 v2, v2, v3
	v_cmp_lt_u32_e32 vcc_lo, s20, v2
	v_cmpx_ge_u32_e64 s20, v2
	s_cbranch_execz .LBB9_84
; %bb.83:
	v_add_nc_u32_e32 v2, s22, v11
	v_add_nc_u32_e32 v3, s42, v11
	s_delay_alu instid0(VALU_DEP_2) | instskip(NEXT) | instid1(VALU_DEP_2)
	v_mul_lo_u32 v2, v2, s21
	v_mul_lo_u32 v3, v3, s23
	s_delay_alu instid0(VALU_DEP_1) | instskip(NEXT) | instid1(VALU_DEP_1)
	v_sub_nc_u32_e32 v2, v2, v3
	v_cmp_lt_u32_e64 s0, s43, v2
	s_and_b32 s2, s0, exec_lo
.LBB9_84:
	s_wait_alu 0xfffe
	s_or_b32 exec_lo, exec_lo, s3
	v_cndmask_b32_e64 v2, 0, 1, s2
	s_wait_alu 0xfffd
	v_cndmask_b32_e64 v3, 0, 1, vcc_lo
	v_lshlrev_b16 v8, 8, v8
	v_and_b32_e32 v21, 0xff, v21
	v_lshlrev_b16 v7, 8, v7
	v_lshlrev_b16 v2, 8, v2
	v_and_b32_e32 v4, 0xff, v4
	v_lshlrev_b16 v6, 8, v6
	v_and_b32_e32 v5, 0xff, v5
	v_or_b32_e32 v8, v21, v8
	v_or_b32_e32 v3, v3, v7
	;; [unrolled: 1-line block ×3, first 2 shown]
	s_delay_alu instid0(VALU_DEP_4) | instskip(NEXT) | instid1(VALU_DEP_4)
	v_or_b32_e32 v4, v5, v6
	v_lshlrev_b32_e32 v5, 16, v8
	s_delay_alu instid0(VALU_DEP_4) | instskip(NEXT) | instid1(VALU_DEP_4)
	v_and_b32_e32 v3, 0xffff, v3
	v_and_b32_e32 v2, 0xffff, v2
	s_delay_alu instid0(VALU_DEP_4) | instskip(NEXT) | instid1(VALU_DEP_3)
	v_lshlrev_b32_e32 v4, 16, v4
	v_or_b32_e32 v3, v3, v5
	s_delay_alu instid0(VALU_DEP_2)
	v_or_b32_e32 v2, v2, v4
.LBB9_85:
	s_or_b32 exec_lo, exec_lo, s1
	v_add_nc_u32_e32 v4, 9, v41
	s_delay_alu instid0(VALU_DEP_2)
	v_lshrrev_b32_e32 v6, 8, v2
	v_lshrrev_b32_e32 v21, 24, v3
	;; [unrolled: 1-line block ×3, first 2 shown]
	v_and_b32_e32 v7, 0xff, v2
	v_cmp_le_u32_e32 vcc_lo, s33, v4
                                        ; implicit-def: $vgpr4
                                        ; implicit-def: $vgpr5
	s_and_saveexec_b32 s0, vcc_lo
	s_delay_alu instid0(SALU_CYCLE_1)
	s_xor_b32 s0, exec_lo, s0
	s_cbranch_execz .LBB9_87
; %bb.86:
	v_lshlrev_b16 v4, 8, v6
	v_lshlrev_b16 v5, 8, v21
	v_and_b32_e32 v6, 0xff, v8
	v_perm_b32 v1, v1, v1, 0x3060504
                                        ; implicit-def: $vgpr21
                                        ; implicit-def: $vgpr8
	s_delay_alu instid0(VALU_DEP_4) | instskip(NEXT) | instid1(VALU_DEP_3)
	v_or_b32_e32 v4, v7, v4
                                        ; implicit-def: $vgpr7
	v_or_b32_e32 v5, v6, v5
                                        ; implicit-def: $vgpr6
	s_delay_alu instid0(VALU_DEP_2) | instskip(NEXT) | instid1(VALU_DEP_2)
	v_and_b32_e32 v4, 0xffff, v4
	v_perm_b32 v5, v5, v3, 0x5040c00
                                        ; implicit-def: $vgpr3
	s_delay_alu instid0(VALU_DEP_2)
	v_and_or_b32 v4, 0xff000000, v2, v4
                                        ; implicit-def: $vgpr2
.LBB9_87:
	s_and_not1_saveexec_b32 s1, s0
	s_cbranch_execz .LBB9_91
; %bb.88:
	v_add_nc_u32_e32 v4, s17, v12
	v_add_nc_u32_e32 v5, s19, v12
	s_mov_b32 s2, 0
	s_mov_b32 s3, exec_lo
	s_delay_alu instid0(VALU_DEP_2) | instskip(NEXT) | instid1(VALU_DEP_2)
	v_mul_lo_u32 v4, v4, s16
	v_mul_lo_u32 v5, v5, s18
	s_delay_alu instid0(VALU_DEP_1) | instskip(NEXT) | instid1(VALU_DEP_1)
	v_sub_nc_u32_e32 v4, v4, v5
	v_cmp_lt_u32_e32 vcc_lo, s20, v4
	v_cmpx_ge_u32_e64 s20, v4
	s_cbranch_execz .LBB9_90
; %bb.89:
	v_add_nc_u32_e32 v4, s22, v12
	v_add_nc_u32_e32 v5, s42, v12
	s_delay_alu instid0(VALU_DEP_2) | instskip(NEXT) | instid1(VALU_DEP_2)
	v_mul_lo_u32 v4, v4, s21
	v_mul_lo_u32 v5, v5, s23
	s_delay_alu instid0(VALU_DEP_1) | instskip(NEXT) | instid1(VALU_DEP_1)
	v_sub_nc_u32_e32 v4, v4, v5
	v_cmp_lt_u32_e64 s0, s43, v4
	s_and_b32 s2, s0, exec_lo
.LBB9_90:
	s_wait_alu 0xfffe
	s_or_b32 exec_lo, exec_lo, s3
	s_wait_alu 0xfffd
	v_cndmask_b32_e64 v4, 0, 1, vcc_lo
	v_lshrrev_b32_e32 v2, 24, v2
	v_cndmask_b32_e64 v5, 0, 1, s2
	v_lshlrev_b16 v21, 8, v21
	v_and_b32_e32 v8, 0xff, v8
	v_lshlrev_b16 v4, 8, v4
	v_lshlrev_b16 v6, 8, v6
	v_and_b32_e32 v3, 0xff, v3
	v_lshlrev_b16 v2, 8, v2
	v_or_b32_e32 v8, v8, v21
	s_delay_alu instid0(VALU_DEP_4) | instskip(NEXT) | instid1(VALU_DEP_4)
	v_or_b32_e32 v6, v7, v6
	v_or_b32_e32 v3, v3, v4
	s_delay_alu instid0(VALU_DEP_4) | instskip(NEXT) | instid1(VALU_DEP_4)
	v_or_b32_e32 v2, v5, v2
	v_lshlrev_b32_e32 v4, 16, v8
	s_delay_alu instid0(VALU_DEP_4) | instskip(NEXT) | instid1(VALU_DEP_4)
	v_and_b32_e32 v6, 0xffff, v6
	v_and_b32_e32 v3, 0xffff, v3
	s_delay_alu instid0(VALU_DEP_4) | instskip(NEXT) | instid1(VALU_DEP_2)
	v_lshlrev_b32_e32 v2, 16, v2
	v_or_b32_e32 v5, v3, v4
	s_delay_alu instid0(VALU_DEP_2)
	v_or_b32_e32 v4, v6, v2
.LBB9_91:
	s_or_b32 exec_lo, exec_lo, s1
	v_add_nc_u32_e32 v2, 10, v41
	s_delay_alu instid0(VALU_DEP_3) | instskip(SKIP_1) | instid1(VALU_DEP_3)
	v_and_b32_e32 v3, 0xff, v5
	v_lshrrev_b32_e32 v6, 8, v5
                                        ; implicit-def: $vgpr46
	v_cmp_le_u32_e32 vcc_lo, s33, v2
                                        ; implicit-def: $vgpr2
	s_and_saveexec_b32 s0, vcc_lo
	s_delay_alu instid0(SALU_CYCLE_1)
	s_xor_b32 s0, exec_lo, s0
	s_cbranch_execz .LBB9_93
; %bb.92:
	v_lshlrev_b16 v2, 8, v6
	v_perm_b32 v1, v1, v1, 0x3060504
                                        ; implicit-def: $vgpr6
	s_delay_alu instid0(VALU_DEP_2) | instskip(SKIP_1) | instid1(VALU_DEP_2)
	v_or_b32_e32 v2, v3, v2
	v_and_b32_e32 v3, 0xff0000, v4
	v_and_b32_e32 v2, 0xffff, v2
	s_delay_alu instid0(VALU_DEP_2) | instskip(NEXT) | instid1(VALU_DEP_2)
	v_perm_b32 v46, v4, v3, 0x3020504
                                        ; implicit-def: $vgpr3
                                        ; implicit-def: $vgpr4
	v_and_or_b32 v2, 0xff000000, v5, v2
                                        ; implicit-def: $vgpr5
.LBB9_93:
	s_and_not1_saveexec_b32 s1, s0
	s_cbranch_execz .LBB9_97
; %bb.94:
	v_add_nc_u32_e32 v2, s17, v9
	v_add_nc_u32_e32 v7, s19, v9
	s_mov_b32 s2, 0
	s_mov_b32 s3, exec_lo
	s_delay_alu instid0(VALU_DEP_2) | instskip(NEXT) | instid1(VALU_DEP_2)
	v_mul_lo_u32 v2, v2, s16
	v_mul_lo_u32 v7, v7, s18
	s_delay_alu instid0(VALU_DEP_1) | instskip(NEXT) | instid1(VALU_DEP_1)
	v_sub_nc_u32_e32 v2, v2, v7
	v_cmp_lt_u32_e32 vcc_lo, s20, v2
	v_cmpx_ge_u32_e64 s20, v2
	s_cbranch_execz .LBB9_96
; %bb.95:
	v_add_nc_u32_e32 v2, s22, v9
	v_add_nc_u32_e32 v7, s42, v9
	s_delay_alu instid0(VALU_DEP_2) | instskip(NEXT) | instid1(VALU_DEP_2)
	v_mul_lo_u32 v2, v2, s21
	v_mul_lo_u32 v7, v7, s23
	s_delay_alu instid0(VALU_DEP_1) | instskip(NEXT) | instid1(VALU_DEP_1)
	v_sub_nc_u32_e32 v2, v2, v7
	v_cmp_lt_u32_e64 s0, s43, v2
	s_and_b32 s2, s0, exec_lo
.LBB9_96:
	s_wait_alu 0xfffe
	s_or_b32 exec_lo, exec_lo, s3
	v_lshrrev_b32_e32 v5, 24, v5
	v_cndmask_b32_e64 v7, 0, 1, s2
	v_lshrrev_b32_e32 v8, 8, v4
	v_lshrrev_b32_e32 v21, 16, v4
	s_wait_alu 0xfffd
	v_cndmask_b32_e64 v2, 0, 1, vcc_lo
	v_lshlrev_b16 v6, 8, v6
	v_lshlrev_b16 v5, 8, v5
	v_and_b32_e32 v4, 0xff, v4
	v_lshlrev_b16 v8, 8, v8
	v_lshlrev_b16 v7, 8, v7
	v_and_b32_e32 v21, 0xff, v21
	v_or_b32_e32 v3, v3, v6
	v_or_b32_e32 v2, v2, v5
	;; [unrolled: 1-line block ×3, first 2 shown]
	s_delay_alu instid0(VALU_DEP_4) | instskip(NEXT) | instid1(VALU_DEP_4)
	v_or_b32_e32 v5, v21, v7
	v_and_b32_e32 v3, 0xffff, v3
	s_delay_alu instid0(VALU_DEP_4) | instskip(NEXT) | instid1(VALU_DEP_4)
	v_lshlrev_b32_e32 v2, 16, v2
	v_and_b32_e32 v4, 0xffff, v4
	s_delay_alu instid0(VALU_DEP_4) | instskip(NEXT) | instid1(VALU_DEP_3)
	v_lshlrev_b32_e32 v5, 16, v5
	v_or_b32_e32 v2, v3, v2
	s_delay_alu instid0(VALU_DEP_2)
	v_or_b32_e32 v46, v4, v5
.LBB9_97:
	s_or_b32 exec_lo, exec_lo, s1
	v_add_nc_u32_e32 v3, 11, v41
	v_mov_b32_e32 v45, 0
	s_mov_b32 s0, exec_lo
                                        ; implicit-def: $vgpr47
	s_delay_alu instid0(VALU_DEP_2)
	v_cmpx_le_u32_e64 s33, v3
	s_xor_b32 s0, exec_lo, s0
; %bb.98:
	v_and_b32_e32 v3, 0xff0000, v2
	v_perm_b32 v1, v1, v1, 0x3060504
	s_delay_alu instid0(VALU_DEP_2)
	v_perm_b32 v47, v2, v3, 0x3020504
                                        ; implicit-def: $vgpr2
; %bb.99:
	s_and_not1_saveexec_b32 s1, s0
	s_cbranch_execz .LBB9_103
; %bb.100:
	v_add_nc_u32_e32 v3, s17, v10
	v_add_nc_u32_e32 v4, s19, v10
	s_mov_b32 s2, 0
	s_mov_b32 s3, exec_lo
	s_delay_alu instid0(VALU_DEP_2) | instskip(NEXT) | instid1(VALU_DEP_2)
	v_mul_lo_u32 v3, v3, s16
	v_mul_lo_u32 v4, v4, s18
	s_delay_alu instid0(VALU_DEP_1) | instskip(NEXT) | instid1(VALU_DEP_1)
	v_sub_nc_u32_e32 v3, v3, v4
	v_cmp_lt_u32_e32 vcc_lo, s20, v3
	v_cmpx_ge_u32_e64 s20, v3
	s_cbranch_execz .LBB9_102
; %bb.101:
	v_add_nc_u32_e32 v3, s22, v10
	v_add_nc_u32_e32 v4, s42, v10
	s_delay_alu instid0(VALU_DEP_2) | instskip(NEXT) | instid1(VALU_DEP_2)
	v_mul_lo_u32 v3, v3, s21
	v_mul_lo_u32 v4, v4, s23
	s_delay_alu instid0(VALU_DEP_1) | instskip(NEXT) | instid1(VALU_DEP_1)
	v_sub_nc_u32_e32 v3, v3, v4
	v_cmp_lt_u32_e64 s0, s43, v3
	s_and_b32 s2, s0, exec_lo
.LBB9_102:
	s_wait_alu 0xfffe
	s_or_b32 exec_lo, exec_lo, s3
	v_lshrrev_b32_e32 v3, 8, v2
	s_wait_alu 0xfffd
	v_cndmask_b32_e64 v4, 0, 1, vcc_lo
	v_lshrrev_b32_e32 v5, 16, v2
	v_and_b32_e32 v2, 0xff, v2
	v_cndmask_b32_e64 v45, 0, 1, s2
	v_lshlrev_b16 v3, 8, v3
	v_lshlrev_b16 v4, 8, v4
	v_and_b32_e32 v5, 0xff, v5
	s_delay_alu instid0(VALU_DEP_3) | instskip(NEXT) | instid1(VALU_DEP_2)
	v_or_b32_e32 v2, v2, v3
	v_or_b32_e32 v3, v5, v4
	s_delay_alu instid0(VALU_DEP_2) | instskip(NEXT) | instid1(VALU_DEP_2)
	v_and_b32_e32 v2, 0xffff, v2
	v_lshlrev_b32_e32 v3, 16, v3
	s_delay_alu instid0(VALU_DEP_1)
	v_or_b32_e32 v47, v2, v3
.LBB9_103:
	s_or_b32 exec_lo, exec_lo, s1
	v_add_nc_u32_e32 v4, 12, v41
	v_lshrrev_b32_e32 v2, 8, v1
	v_lshrrev_b32_e32 v3, 16, v1
	;; [unrolled: 1-line block ×3, first 2 shown]
	s_mov_b32 s0, exec_lo
                                        ; implicit-def: $vgpr49
	v_cmpx_le_u32_e64 s33, v4
	s_xor_b32 s0, exec_lo, s0
	s_cbranch_execz .LBB9_105
; %bb.104:
	v_lshlrev_b16 v1, 8, v1
	v_and_b32_e32 v3, 0xff, v3
	v_lshlrev_b16 v2, 8, v2
	s_delay_alu instid0(VALU_DEP_2) | instskip(NEXT) | instid1(VALU_DEP_2)
	v_or_b32_e32 v1, v3, v1
	v_and_b32_e32 v2, 0xffff, v2
                                        ; implicit-def: $vgpr3
	s_delay_alu instid0(VALU_DEP_2) | instskip(NEXT) | instid1(VALU_DEP_1)
	v_lshlrev_b32_e32 v1, 16, v1
	v_or_b32_e32 v49, v2, v1
                                        ; implicit-def: $vgpr1
                                        ; implicit-def: $vgpr2
.LBB9_105:
	s_or_saveexec_b32 s1, s0
	v_mov_b32_e32 v48, 0
	s_xor_b32 exec_lo, exec_lo, s1
	s_cbranch_execz .LBB9_109
; %bb.106:
	v_add_nc_u32_e32 v4, s17, v40
	v_add_nc_u32_e32 v5, s19, v40
	s_mov_b32 s2, 0
	s_mov_b32 s3, exec_lo
	s_delay_alu instid0(VALU_DEP_2) | instskip(NEXT) | instid1(VALU_DEP_2)
	v_mul_lo_u32 v4, v4, s16
	v_mul_lo_u32 v5, v5, s18
	s_delay_alu instid0(VALU_DEP_1) | instskip(NEXT) | instid1(VALU_DEP_1)
	v_sub_nc_u32_e32 v4, v4, v5
	v_cmp_lt_u32_e32 vcc_lo, s20, v4
	v_cmpx_ge_u32_e64 s20, v4
	s_cbranch_execz .LBB9_108
; %bb.107:
	v_add_nc_u32_e32 v4, s22, v40
	v_add_nc_u32_e32 v5, s42, v40
	s_delay_alu instid0(VALU_DEP_2) | instskip(NEXT) | instid1(VALU_DEP_2)
	v_mul_lo_u32 v4, v4, s21
	v_mul_lo_u32 v5, v5, s23
	s_delay_alu instid0(VALU_DEP_1) | instskip(NEXT) | instid1(VALU_DEP_1)
	v_sub_nc_u32_e32 v4, v4, v5
	v_cmp_lt_u32_e64 s0, s43, v4
	s_and_b32 s2, s0, exec_lo
.LBB9_108:
	s_wait_alu 0xfffe
	s_or_b32 exec_lo, exec_lo, s3
	s_wait_alu 0xfffd
	v_cndmask_b32_e64 v4, 0, 1, vcc_lo
	v_lshlrev_b16 v1, 8, v1
	v_and_b32_e32 v3, 0xff, v3
	v_lshlrev_b16 v2, 8, v2
	v_cndmask_b32_e64 v48, 0, 1, s2
	s_delay_alu instid0(VALU_DEP_3) | instskip(NEXT) | instid1(VALU_DEP_3)
	v_or_b32_e32 v1, v3, v1
	v_or_b32_e32 v2, v4, v2
	s_delay_alu instid0(VALU_DEP_2) | instskip(NEXT) | instid1(VALU_DEP_2)
	v_lshlrev_b32_e32 v1, 16, v1
	v_and_b32_e32 v2, 0xffff, v2
	s_delay_alu instid0(VALU_DEP_1)
	v_or_b32_e32 v49, v2, v1
.LBB9_109:
	s_or_b32 exec_lo, exec_lo, s1
.LBB9_110:
	v_and_b32_e32 v72, 0xff, v42
	s_delay_alu instid0(VALU_DEP_2)
	v_bfe_u32 v73, v49, 8, 8
	v_bfe_u32 v70, v42, 8, 8
	;; [unrolled: 1-line block ×4, first 2 shown]
	v_lshrrev_b32_e32 v55, 24, v49
	v_lshrrev_b32_e32 v54, 24, v42
	v_and_b32_e32 v68, 0xff, v43
	v_and_b32_e32 v66, 0xff, v44
	v_bfe_u32 v67, v43, 8, 8
	v_add3_u32 v1, v70, v72, v69
	v_add3_u32 v2, v71, v73, v55
	v_bfe_u32 v64, v44, 8, 8
	v_bfe_u32 v65, v43, 16, 8
	;; [unrolled: 1-line block ×3, first 2 shown]
	v_lshrrev_b32_e32 v53, 24, v43
	v_add3_u32 v1, v1, v54, v66
	v_add3_u32 v2, v2, v68, v67
	v_lshrrev_b32_e32 v52, 24, v44
	v_and_b32_e32 v63, 0xff, v46
	v_and_b32_e32 v61, 0xff, v47
	v_bfe_u32 v62, v46, 8, 8
	v_add3_u32 v1, v1, v64, v59
	v_add3_u32 v2, v2, v65, v53
	v_bfe_u32 v58, v47, 8, 8
	v_bfe_u32 v60, v46, 16, 8
	;; [unrolled: 1-line block ×3, first 2 shown]
	v_lshrrev_b32_e32 v51, 24, v46
	v_add3_u32 v1, v1, v52, v61
	v_add3_u32 v2, v2, v63, v62
	v_mbcnt_lo_u32_b32 v74, -1, 0
	v_lshrrev_b32_e32 v50, 24, v47
	v_and_b32_e32 v57, 0xff, v45
	v_and_b32_e32 v3, 0xff, v49
	;; [unrolled: 1-line block ×3, first 2 shown]
	v_add3_u32 v1, v1, v58, v56
	v_add3_u32 v2, v2, v60, v51
	v_and_b32_e32 v76, 15, v74
	v_and_b32_e32 v78, 16, v74
	v_lshrrev_b32_e32 v75, 5, v0
	v_add3_u32 v79, v1, v50, v3
	v_add3_u32 v80, v2, v57, v4
	v_cmp_eq_u32_e64 s1, 0, v76
	v_cmp_lt_u32_e64 s0, 1, v76
	v_cmp_lt_u32_e64 s2, 3, v76
	v_or_b32_e32 v77, 31, v0
	s_cmp_lg_u32 ttmp9, 0
	s_mov_b32 s3, -1
	v_cmp_lt_u32_e32 vcc_lo, 7, v76
	s_cbranch_scc0 .LBB9_131
; %bb.111:
	v_mov_b32_dpp v2, v79 row_shr:1 row_mask:0xf bank_mask:0xf
	v_mov_b32_dpp v1, v80 row_shr:1 row_mask:0xf bank_mask:0xf
	s_mov_b32 s3, exec_lo
	s_delay_alu instid0(VALU_DEP_2) | instskip(NEXT) | instid1(VALU_DEP_2)
	v_add_nc_u32_e32 v2, v2, v79
	v_add_nc_u32_e32 v1, v1, v80
	s_delay_alu instid0(VALU_DEP_2) | instskip(NEXT) | instid1(VALU_DEP_2)
	v_cndmask_b32_e64 v2, v2, v79, s1
	v_cndmask_b32_e64 v1, v1, v80, s1
	s_delay_alu instid0(VALU_DEP_2) | instskip(NEXT) | instid1(VALU_DEP_2)
	v_mov_b32_dpp v4, v2 row_shr:2 row_mask:0xf bank_mask:0xf
	v_mov_b32_dpp v3, v1 row_shr:2 row_mask:0xf bank_mask:0xf
	s_delay_alu instid0(VALU_DEP_2) | instskip(NEXT) | instid1(VALU_DEP_1)
	v_add_nc_u32_e32 v4, v2, v4
	v_cndmask_b32_e64 v2, v2, v4, s0
	s_delay_alu instid0(VALU_DEP_1) | instskip(NEXT) | instid1(VALU_DEP_1)
	v_mov_b32_dpp v4, v2 row_shr:4 row_mask:0xf bank_mask:0xf
	v_add_nc_u32_e32 v4, v2, v4
	s_wait_alu 0xf1ff
	s_delay_alu instid0(VALU_DEP_1) | instskip(NEXT) | instid1(VALU_DEP_1)
	v_cndmask_b32_e64 v2, v2, v4, s2
	v_mov_b32_dpp v4, v2 row_shr:8 row_mask:0xf bank_mask:0xf
	s_delay_alu instid0(VALU_DEP_1) | instskip(SKIP_1) | instid1(VALU_DEP_1)
	v_add_nc_u32_e32 v4, v2, v4
	s_wait_alu 0xfffd
	v_dual_cndmask_b32 v2, v2, v4 :: v_dual_add_nc_u32 v3, v1, v3
	s_delay_alu instid0(VALU_DEP_1) | instskip(SKIP_2) | instid1(VALU_DEP_1)
	v_cndmask_b32_e64 v1, v1, v3, s0
	ds_swizzle_b32 v4, v2 offset:swizzle(BROADCAST,32,15)
	v_mov_b32_dpp v3, v1 row_shr:4 row_mask:0xf bank_mask:0xf
	v_add_nc_u32_e32 v3, v1, v3
	s_delay_alu instid0(VALU_DEP_1) | instskip(NEXT) | instid1(VALU_DEP_1)
	v_cndmask_b32_e64 v1, v1, v3, s2
	v_mov_b32_dpp v3, v1 row_shr:8 row_mask:0xf bank_mask:0xf
	s_wait_dscnt 0x0
	v_add_nc_u32_e32 v4, v2, v4
	s_delay_alu instid0(VALU_DEP_2) | instskip(NEXT) | instid1(VALU_DEP_1)
	v_add_nc_u32_e32 v3, v1, v3
	v_cndmask_b32_e32 v1, v1, v3, vcc_lo
	v_cmp_eq_u32_e32 vcc_lo, 0, v78
	ds_swizzle_b32 v3, v1 offset:swizzle(BROADCAST,32,15)
	s_wait_dscnt 0x0
	v_add_nc_u32_e32 v3, v1, v3
	v_cmpx_eq_u32_e64 v0, v77
; %bb.112:
	s_wait_alu 0xfffd
	s_delay_alu instid0(VALU_DEP_2)
	v_dual_cndmask_b32 v6, v3, v1 :: v_dual_lshlrev_b32 v7, 3, v75
	v_cndmask_b32_e32 v5, v4, v2, vcc_lo
	ds_store_b64 v7, v[5:6]
; %bb.113:
	s_wait_alu 0xfffe
	s_or_b32 exec_lo, exec_lo, s3
	s_delay_alu instid0(SALU_CYCLE_1)
	s_mov_b32 s3, exec_lo
	s_wait_loadcnt_dscnt 0x0
	s_barrier_signal -1
	s_barrier_wait -1
	global_inv scope:SCOPE_SE
	v_cmpx_gt_u32_e32 8, v0
	s_cbranch_execz .LBB9_115
; %bb.114:
	v_lshlrev_b32_e32 v7, 3, v0
	v_and_b32_e32 v22, 7, v74
	ds_load_b64 v[5:6], v7
	v_cmp_eq_u32_e64 s2, 0, v22
	s_wait_dscnt 0x0
	v_mov_b32_dpp v8, v5 row_shr:1 row_mask:0xf bank_mask:0xf
	v_mov_b32_dpp v21, v6 row_shr:1 row_mask:0xf bank_mask:0xf
	s_delay_alu instid0(VALU_DEP_2) | instskip(NEXT) | instid1(VALU_DEP_2)
	v_add_nc_u32_e32 v8, v8, v5
	v_add_nc_u32_e32 v21, v21, v6
	s_wait_alu 0xf1ff
	s_delay_alu instid0(VALU_DEP_2) | instskip(NEXT) | instid1(VALU_DEP_2)
	v_cndmask_b32_e64 v5, v8, v5, s2
	v_cndmask_b32_e64 v6, v21, v6, s2
	v_cmp_lt_u32_e64 s2, 1, v22
	s_delay_alu instid0(VALU_DEP_3) | instskip(NEXT) | instid1(VALU_DEP_3)
	v_mov_b32_dpp v8, v5 row_shr:2 row_mask:0xf bank_mask:0xf
	v_mov_b32_dpp v21, v6 row_shr:2 row_mask:0xf bank_mask:0xf
	s_delay_alu instid0(VALU_DEP_2) | instskip(NEXT) | instid1(VALU_DEP_2)
	v_add_nc_u32_e32 v8, v5, v8
	v_add_nc_u32_e32 v21, v6, v21
	s_wait_alu 0xf1ff
	s_delay_alu instid0(VALU_DEP_2) | instskip(NEXT) | instid1(VALU_DEP_2)
	v_cndmask_b32_e64 v5, v5, v8, s2
	v_cndmask_b32_e64 v6, v6, v21, s2
	v_cmp_lt_u32_e64 s2, 3, v22
	s_delay_alu instid0(VALU_DEP_3) | instskip(NEXT) | instid1(VALU_DEP_3)
	v_mov_b32_dpp v8, v5 row_shr:4 row_mask:0xf bank_mask:0xf
	v_mov_b32_dpp v21, v6 row_shr:4 row_mask:0xf bank_mask:0xf
	s_wait_alu 0xf1ff
	s_delay_alu instid0(VALU_DEP_2) | instskip(NEXT) | instid1(VALU_DEP_2)
	v_cndmask_b32_e64 v8, 0, v8, s2
	v_cndmask_b32_e64 v21, 0, v21, s2
	s_delay_alu instid0(VALU_DEP_2) | instskip(NEXT) | instid1(VALU_DEP_2)
	v_add_nc_u32_e32 v5, v8, v5
	v_add_nc_u32_e32 v6, v21, v6
	ds_store_b64 v7, v[5:6]
.LBB9_115:
	s_wait_alu 0xfffe
	s_or_b32 exec_lo, exec_lo, s3
	v_dual_cndmask_b32 v1, v3, v1 :: v_dual_cndmask_b32 v2, v4, v2
	s_mov_b32 s3, exec_lo
	v_cmp_gt_u32_e32 vcc_lo, 32, v0
	s_wait_loadcnt_dscnt 0x0
	s_barrier_signal -1
	s_barrier_wait -1
	global_inv scope:SCOPE_SE
                                        ; implicit-def: $vgpr21
	v_cmpx_lt_u32_e32 31, v0
	s_cbranch_execz .LBB9_117
; %bb.116:
	v_lshl_add_u32 v3, v75, 3, -8
	ds_load_b64 v[21:22], v3
	s_wait_dscnt 0x0
	v_add_nc_u32_e32 v1, v22, v1
	v_add_nc_u32_e32 v2, v21, v2
.LBB9_117:
	s_wait_alu 0xfffe
	s_or_b32 exec_lo, exec_lo, s3
	v_sub_co_u32 v3, s2, v74, 1
	s_delay_alu instid0(VALU_DEP_1) | instskip(SKIP_1) | instid1(VALU_DEP_1)
	v_cmp_gt_i32_e64 s3, 0, v3
	s_wait_alu 0xf1ff
	v_cndmask_b32_e64 v3, v3, v74, s3
	s_delay_alu instid0(VALU_DEP_1)
	v_lshlrev_b32_e32 v3, 2, v3
	ds_bpermute_b32 v81, v3, v2
	ds_bpermute_b32 v82, v3, v1
	s_and_saveexec_b32 s3, vcc_lo
	s_cbranch_execz .LBB9_136
; %bb.118:
	v_mov_b32_e32 v4, 0
	ds_load_b64 v[1:2], v4 offset:56
	s_and_saveexec_b32 s6, s2
	s_cbranch_execz .LBB9_120
; %bb.119:
	s_add_co_i32 s8, ttmp9, 32
	s_mov_b32 s9, 0
	s_wait_alu 0xfffe
	s_lshl_b64 s[8:9], s[8:9], 4
	s_wait_kmcnt 0x0
	s_wait_alu 0xfffe
	s_add_nc_u64 s[8:9], s[4:5], s[8:9]
	v_mov_b32_e32 v3, 1
	s_wait_alu 0xfffe
	v_dual_mov_b32 v5, s8 :: v_dual_mov_b32 v6, s9
	s_wait_dscnt 0x0
	;;#ASMSTART
	global_store_b128 v[5:6], v[1:4] off scope:SCOPE_DEV	
s_wait_storecnt 0x0
	;;#ASMEND
.LBB9_120:
	s_wait_alu 0xfffe
	s_or_b32 exec_lo, exec_lo, s6
	v_xad_u32 v23, v74, -1, ttmp9
	s_mov_b32 s7, 0
	s_mov_b32 s6, exec_lo
	s_delay_alu instid0(VALU_DEP_1) | instskip(NEXT) | instid1(VALU_DEP_1)
	v_add_nc_u32_e32 v3, 32, v23
	v_lshlrev_b64_e32 v[3:4], 4, v[3:4]
	s_wait_kmcnt 0x0
	s_delay_alu instid0(VALU_DEP_1) | instskip(SKIP_1) | instid1(VALU_DEP_2)
	v_add_co_u32 v3, vcc_lo, s4, v3
	s_wait_alu 0xfffd
	v_add_co_ci_u32_e64 v4, null, s5, v4, vcc_lo
	;;#ASMSTART
	global_load_b128 v[5:8], v[3:4] off scope:SCOPE_DEV	
s_wait_loadcnt 0x0
	;;#ASMEND
	v_and_b32_e32 v8, 0xff, v7
	s_delay_alu instid0(VALU_DEP_1)
	v_cmpx_eq_u16_e32 0, v8
	s_cbranch_execz .LBB9_123
.LBB9_121:                              ; =>This Inner Loop Header: Depth=1
	;;#ASMSTART
	global_load_b128 v[5:8], v[3:4] off scope:SCOPE_DEV	
s_wait_loadcnt 0x0
	;;#ASMEND
	v_and_b32_e32 v8, 0xff, v7
	s_delay_alu instid0(VALU_DEP_1)
	v_cmp_ne_u16_e32 vcc_lo, 0, v8
	s_wait_alu 0xfffe
	s_or_b32 s7, vcc_lo, s7
	s_wait_alu 0xfffe
	s_and_not1_b32 exec_lo, exec_lo, s7
	s_cbranch_execnz .LBB9_121
; %bb.122:
	s_or_b32 exec_lo, exec_lo, s7
.LBB9_123:
	s_wait_alu 0xfffe
	s_or_b32 exec_lo, exec_lo, s6
	v_cmp_ne_u32_e32 vcc_lo, 31, v74
	v_lshlrev_b32_e64 v84, v74, -1
	v_add_nc_u32_e32 v86, 2, v74
	v_add_nc_u32_e32 v88, 4, v74
	;; [unrolled: 1-line block ×3, first 2 shown]
	s_wait_alu 0xfffd
	v_add_co_ci_u32_e64 v3, null, 0, v74, vcc_lo
	v_lshl_or_b32 v91, v74, 2, 64
	v_add_nc_u32_e32 v92, 16, v74
	s_delay_alu instid0(VALU_DEP_3)
	v_lshlrev_b32_e32 v83, 2, v3
	v_and_b32_e32 v3, 0xff, v7
	ds_bpermute_b32 v4, v83, v6
	v_cmp_eq_u16_e32 vcc_lo, 2, v3
	s_wait_alu 0xfffd
	v_and_b32_e32 v8, vcc_lo, v84
	v_cmp_gt_u32_e32 vcc_lo, 30, v74
	s_delay_alu instid0(VALU_DEP_2) | instskip(SKIP_2) | instid1(VALU_DEP_2)
	v_or_b32_e32 v8, 0x80000000, v8
	s_wait_alu 0xfffd
	v_cndmask_b32_e64 v24, 0, 2, vcc_lo
	v_ctz_i32_b32_e32 v8, v8
	s_delay_alu instid0(VALU_DEP_2) | instskip(SKIP_2) | instid1(VALU_DEP_3)
	v_add_lshl_u32 v85, v24, v74, 2
	s_wait_dscnt 0x0
	v_add_nc_u32_e32 v4, v4, v6
	v_cmp_lt_u32_e32 vcc_lo, v74, v8
	s_wait_alu 0xfffd
	s_delay_alu instid0(VALU_DEP_2) | instskip(SKIP_3) | instid1(VALU_DEP_1)
	v_cndmask_b32_e32 v4, v6, v4, vcc_lo
	ds_bpermute_b32 v3, v83, v5
	s_wait_dscnt 0x0
	v_add_nc_u32_e32 v3, v3, v5
	v_cndmask_b32_e32 v3, v5, v3, vcc_lo
	ds_bpermute_b32 v5, v85, v4
	v_cmp_gt_u32_e32 vcc_lo, 28, v74
	ds_bpermute_b32 v6, v85, v3
	s_wait_alu 0xfffd
	v_cndmask_b32_e64 v24, 0, 4, vcc_lo
	v_cmp_gt_u32_e32 vcc_lo, v86, v8
	s_delay_alu instid0(VALU_DEP_2)
	v_add_lshl_u32 v87, v24, v74, 2
	s_wait_dscnt 0x1
	v_add_nc_u32_e32 v5, v4, v5
	s_wait_dscnt 0x0
	v_add_nc_u32_e32 v6, v3, v6
	s_wait_alu 0xfffd
	s_delay_alu instid0(VALU_DEP_1)
	v_dual_cndmask_b32 v4, v5, v4 :: v_dual_cndmask_b32 v3, v6, v3
	ds_bpermute_b32 v5, v87, v4
	v_cmp_gt_u32_e32 vcc_lo, 24, v74
	ds_bpermute_b32 v6, v87, v3
	s_wait_alu 0xfffd
	v_cndmask_b32_e64 v24, 0, 8, vcc_lo
	v_cmp_gt_u32_e32 vcc_lo, v88, v8
	s_delay_alu instid0(VALU_DEP_2)
	v_add_lshl_u32 v89, v24, v74, 2
	s_wait_dscnt 0x1
	v_dual_mov_b32 v24, 0 :: v_dual_add_nc_u32 v5, v4, v5
	s_wait_dscnt 0x0
	v_add_nc_u32_e32 v6, v3, v6
	s_wait_alu 0xfffd
	s_delay_alu instid0(VALU_DEP_1)
	v_dual_cndmask_b32 v4, v5, v4 :: v_dual_cndmask_b32 v3, v6, v3
	ds_bpermute_b32 v5, v89, v4
	v_cmp_gt_u32_e32 vcc_lo, v90, v8
	ds_bpermute_b32 v6, v89, v3
	s_wait_dscnt 0x1
	v_add_nc_u32_e32 v5, v4, v5
	s_wait_dscnt 0x0
	v_add_nc_u32_e32 v6, v3, v6
	s_wait_alu 0xfffd
	s_delay_alu instid0(VALU_DEP_1)
	v_dual_cndmask_b32 v4, v5, v4 :: v_dual_cndmask_b32 v3, v6, v3
	ds_bpermute_b32 v6, v91, v4
	v_cmp_le_u32_e32 vcc_lo, v92, v8
	ds_bpermute_b32 v5, v91, v3
	s_wait_dscnt 0x0
	s_wait_alu 0xfffd
	v_dual_cndmask_b32 v6, 0, v6 :: v_dual_cndmask_b32 v5, 0, v5
	s_delay_alu instid0(VALU_DEP_1) | instskip(NEXT) | instid1(VALU_DEP_2)
	v_add_nc_u32_e32 v6, v6, v4
	v_add_nc_u32_e32 v5, v5, v3
	s_branch .LBB9_127
.LBB9_124:                              ;   in Loop: Header=BB9_127 Depth=1
	s_or_b32 exec_lo, exec_lo, s7
.LBB9_125:                              ;   in Loop: Header=BB9_127 Depth=1
	s_wait_alu 0xfffe
	s_or_b32 exec_lo, exec_lo, s6
	ds_bpermute_b32 v8, v83, v5
	ds_bpermute_b32 v25, v83, v6
	v_subrev_nc_u32_e32 v23, 32, v23
	s_mov_b32 s6, 0
	s_wait_dscnt 0x1
	v_add_nc_u32_e32 v8, v8, v5
	v_and_b32_e32 v26, 0xff, v7
	s_wait_dscnt 0x0
	v_add_nc_u32_e32 v25, v25, v6
	s_delay_alu instid0(VALU_DEP_2) | instskip(SKIP_2) | instid1(VALU_DEP_1)
	v_cmp_eq_u16_e32 vcc_lo, 2, v26
	s_wait_alu 0xfffd
	v_and_or_b32 v26, vcc_lo, v84, 0x80000000
	v_ctz_i32_b32_e32 v26, v26
	s_delay_alu instid0(VALU_DEP_1)
	v_cmp_lt_u32_e32 vcc_lo, v74, v26
	s_wait_alu 0xfffd
	v_dual_cndmask_b32 v6, v6, v25 :: v_dual_cndmask_b32 v5, v5, v8
	v_cmp_gt_u32_e32 vcc_lo, v86, v26
	ds_bpermute_b32 v25, v85, v6
	ds_bpermute_b32 v8, v85, v5
	s_wait_dscnt 0x1
	v_add_nc_u32_e32 v25, v6, v25
	s_wait_dscnt 0x0
	v_add_nc_u32_e32 v8, v5, v8
	s_wait_alu 0xfffd
	s_delay_alu instid0(VALU_DEP_1)
	v_dual_cndmask_b32 v6, v25, v6 :: v_dual_cndmask_b32 v5, v8, v5
	v_cmp_gt_u32_e32 vcc_lo, v88, v26
	ds_bpermute_b32 v25, v87, v6
	ds_bpermute_b32 v8, v87, v5
	s_wait_dscnt 0x1
	v_add_nc_u32_e32 v25, v6, v25
	s_wait_dscnt 0x0
	v_add_nc_u32_e32 v8, v5, v8
	s_wait_alu 0xfffd
	s_delay_alu instid0(VALU_DEP_1)
	;; [unrolled: 10-line block ×3, first 2 shown]
	v_dual_cndmask_b32 v6, v25, v6 :: v_dual_cndmask_b32 v5, v8, v5
	v_cmp_le_u32_e32 vcc_lo, v92, v26
	ds_bpermute_b32 v25, v91, v6
	ds_bpermute_b32 v8, v91, v5
	s_wait_dscnt 0x0
	s_wait_alu 0xfffd
	v_dual_cndmask_b32 v25, 0, v25 :: v_dual_cndmask_b32 v8, 0, v8
	s_delay_alu instid0(VALU_DEP_1) | instskip(NEXT) | instid1(VALU_DEP_2)
	v_add3_u32 v6, v6, v4, v25
	v_add3_u32 v5, v5, v3, v8
.LBB9_126:                              ;   in Loop: Header=BB9_127 Depth=1
	s_wait_alu 0xfffe
	s_and_b32 vcc_lo, exec_lo, s6
	s_wait_alu 0xfffe
	s_cbranch_vccnz .LBB9_132
.LBB9_127:                              ; =>This Loop Header: Depth=1
                                        ;     Child Loop BB9_130 Depth 2
	v_and_b32_e32 v3, 0xff, v7
	s_mov_b32 s6, -1
                                        ; implicit-def: $vgpr7
	s_delay_alu instid0(VALU_DEP_1)
	v_cmp_ne_u16_e32 vcc_lo, 2, v3
	v_dual_mov_b32 v3, v5 :: v_dual_mov_b32 v4, v6
                                        ; implicit-def: $vgpr5_vgpr6
	s_cmp_lg_u32 vcc_lo, exec_lo
	s_cbranch_scc1 .LBB9_126
; %bb.128:                              ;   in Loop: Header=BB9_127 Depth=1
	v_lshlrev_b64_e32 v[5:6], 4, v[23:24]
	s_mov_b32 s6, exec_lo
	s_delay_alu instid0(VALU_DEP_1) | instskip(SKIP_1) | instid1(VALU_DEP_2)
	v_add_co_u32 v25, vcc_lo, s4, v5
	s_wait_alu 0xfffd
	v_add_co_ci_u32_e64 v26, null, s5, v6, vcc_lo
	;;#ASMSTART
	global_load_b128 v[5:8], v[25:26] off scope:SCOPE_DEV	
s_wait_loadcnt 0x0
	;;#ASMEND
	v_and_b32_e32 v8, 0xff, v7
	s_delay_alu instid0(VALU_DEP_1)
	v_cmpx_eq_u16_e32 0, v8
	s_cbranch_execz .LBB9_125
; %bb.129:                              ;   in Loop: Header=BB9_127 Depth=1
	s_mov_b32 s7, 0
.LBB9_130:                              ;   Parent Loop BB9_127 Depth=1
                                        ; =>  This Inner Loop Header: Depth=2
	;;#ASMSTART
	global_load_b128 v[5:8], v[25:26] off scope:SCOPE_DEV	
s_wait_loadcnt 0x0
	;;#ASMEND
	v_and_b32_e32 v8, 0xff, v7
	s_delay_alu instid0(VALU_DEP_1)
	v_cmp_ne_u16_e32 vcc_lo, 0, v8
	s_wait_alu 0xfffe
	s_or_b32 s7, vcc_lo, s7
	s_wait_alu 0xfffe
	s_and_not1_b32 exec_lo, exec_lo, s7
	s_cbranch_execnz .LBB9_130
	s_branch .LBB9_124
.LBB9_131:
                                        ; implicit-def: $vgpr81
                                        ; implicit-def: $vgpr3
                                        ; implicit-def: $vgpr82
	s_wait_alu 0xfffe
	s_and_b32 vcc_lo, exec_lo, s3
	s_wait_alu 0xfffe
	s_cbranch_vccnz .LBB9_137
	s_branch .LBB9_146
.LBB9_132:
	s_and_saveexec_b32 s6, s2
	s_cbranch_execnz .LBB9_374
; %bb.133:
	s_wait_alu 0xfffe
	s_or_b32 exec_lo, exec_lo, s6
	s_and_saveexec_b32 s6, s2
	s_cbranch_execnz .LBB9_375
.LBB9_134:
	s_wait_alu 0xfffe
	s_or_b32 exec_lo, exec_lo, s6
	v_cmp_eq_u32_e32 vcc_lo, 0, v0
	s_and_b32 exec_lo, exec_lo, vcc_lo
.LBB9_135:
	v_mov_b32_e32 v1, 0
	ds_store_b64 v1, v[3:4] offset:56
.LBB9_136:
	s_wait_alu 0xfffe
	s_or_b32 exec_lo, exec_lo, s3
	s_wait_dscnt 0x0
	v_cndmask_b32_e64 v8, v82, v22, s2
	v_mov_b32_e32 v1, 0
	s_wait_loadcnt 0x0
	s_barrier_signal -1
	s_barrier_wait -1
	global_inv scope:SCOPE_SE
	ds_load_b64 v[5:6], v1 offset:56
	s_wait_loadcnt_dscnt 0x0
	s_barrier_signal -1
	s_barrier_wait -1
	global_inv scope:SCOPE_SE
	v_cndmask_b32_e64 v7, v81, v21, s2
	v_cmp_eq_u32_e32 vcc_lo, 0, v0
	v_add_nc_u32_e32 v8, v6, v8
	ds_load_b128 v[1:4], v1 offset:13312
	v_add_nc_u32_e32 v7, v5, v7
	s_wait_alu 0xfffd
	s_delay_alu instid0(VALU_DEP_1)
	v_dual_cndmask_b32 v81, v8, v6 :: v_dual_cndmask_b32 v82, v7, v5
	s_branch .LBB9_146
.LBB9_137:
	s_wait_dscnt 0x0
	v_mov_b32_dpp v2, v80 row_shr:1 row_mask:0xf bank_mask:0xf
	v_cmp_lt_u32_e32 vcc_lo, 3, v76
	v_mov_b32_dpp v1, v79 row_shr:1 row_mask:0xf bank_mask:0xf
	s_delay_alu instid0(VALU_DEP_3) | instskip(NEXT) | instid1(VALU_DEP_1)
	v_add_nc_u32_e32 v2, v2, v80
	v_cndmask_b32_e64 v2, v2, v80, s1
	s_delay_alu instid0(VALU_DEP_1) | instskip(NEXT) | instid1(VALU_DEP_1)
	v_mov_b32_dpp v4, v2 row_shr:2 row_mask:0xf bank_mask:0xf
	v_add_nc_u32_e32 v4, v2, v4
	s_delay_alu instid0(VALU_DEP_1) | instskip(NEXT) | instid1(VALU_DEP_1)
	v_cndmask_b32_e64 v2, v2, v4, s0
	v_mov_b32_dpp v4, v2 row_shr:4 row_mask:0xf bank_mask:0xf
	s_delay_alu instid0(VALU_DEP_1) | instskip(SKIP_1) | instid1(VALU_DEP_1)
	v_add_nc_u32_e32 v4, v2, v4
	s_wait_alu 0xfffd
	v_dual_cndmask_b32 v2, v2, v4 :: v_dual_add_nc_u32 v1, v1, v79
	s_delay_alu instid0(VALU_DEP_1) | instskip(SKIP_1) | instid1(VALU_DEP_2)
	v_cndmask_b32_e64 v1, v1, v79, s1
	s_mov_b32 s1, exec_lo
	v_mov_b32_dpp v4, v2 row_shr:8 row_mask:0xf bank_mask:0xf
	s_delay_alu instid0(VALU_DEP_2) | instskip(NEXT) | instid1(VALU_DEP_1)
	v_mov_b32_dpp v3, v1 row_shr:2 row_mask:0xf bank_mask:0xf
	v_add_nc_u32_e32 v3, v1, v3
	s_delay_alu instid0(VALU_DEP_1) | instskip(NEXT) | instid1(VALU_DEP_1)
	v_cndmask_b32_e64 v1, v1, v3, s0
	v_mov_b32_dpp v3, v1 row_shr:4 row_mask:0xf bank_mask:0xf
	s_delay_alu instid0(VALU_DEP_1) | instskip(NEXT) | instid1(VALU_DEP_1)
	v_add_nc_u32_e32 v3, v1, v3
	v_cndmask_b32_e32 v3, v1, v3, vcc_lo
	v_cmp_lt_u32_e32 vcc_lo, 7, v76
	s_delay_alu instid0(VALU_DEP_2) | instskip(NEXT) | instid1(VALU_DEP_1)
	v_mov_b32_dpp v1, v3 row_shr:8 row_mask:0xf bank_mask:0xf
	v_add_nc_u32_e32 v5, v3, v1
	v_add_nc_u32_e32 v1, v2, v4
	s_wait_alu 0xfffd
	s_delay_alu instid0(VALU_DEP_1) | instskip(NEXT) | instid1(VALU_DEP_3)
	v_cndmask_b32_e32 v1, v2, v1, vcc_lo
	v_cndmask_b32_e32 v2, v3, v5, vcc_lo
	v_cmp_eq_u32_e32 vcc_lo, 0, v78
	ds_swizzle_b32 v3, v1 offset:swizzle(BROADCAST,32,15)
	ds_swizzle_b32 v4, v2 offset:swizzle(BROADCAST,32,15)
	s_wait_dscnt 0x1
	v_add_nc_u32_e32 v3, v1, v3
	s_wait_dscnt 0x0
	v_add_nc_u32_e32 v4, v2, v4
	v_cmpx_eq_u32_e64 v0, v77
; %bb.138:
	s_wait_alu 0xfffd
	s_delay_alu instid0(VALU_DEP_2)
	v_dual_cndmask_b32 v5, v4, v2 :: v_dual_cndmask_b32 v6, v3, v1
	v_lshlrev_b32_e32 v7, 3, v75
	ds_store_b64 v7, v[5:6]
; %bb.139:
	s_wait_alu 0xfffe
	s_or_b32 exec_lo, exec_lo, s1
	s_delay_alu instid0(SALU_CYCLE_1)
	s_mov_b32 s1, exec_lo
	s_wait_loadcnt_dscnt 0x0
	s_barrier_signal -1
	s_barrier_wait -1
	global_inv scope:SCOPE_SE
	v_cmpx_gt_u32_e32 8, v0
	s_cbranch_execz .LBB9_141
; %bb.140:
	v_lshlrev_b32_e32 v7, 3, v0
	v_and_b32_e32 v22, 7, v74
	ds_load_b64 v[5:6], v7
	v_cmp_eq_u32_e64 s0, 0, v22
	s_wait_dscnt 0x0
	v_mov_b32_dpp v8, v5 row_shr:1 row_mask:0xf bank_mask:0xf
	v_mov_b32_dpp v21, v6 row_shr:1 row_mask:0xf bank_mask:0xf
	s_delay_alu instid0(VALU_DEP_2) | instskip(NEXT) | instid1(VALU_DEP_2)
	v_add_nc_u32_e32 v8, v8, v5
	v_add_nc_u32_e32 v21, v21, v6
	s_wait_alu 0xf1ff
	s_delay_alu instid0(VALU_DEP_2) | instskip(NEXT) | instid1(VALU_DEP_2)
	v_cndmask_b32_e64 v5, v8, v5, s0
	v_cndmask_b32_e64 v6, v21, v6, s0
	v_cmp_lt_u32_e64 s0, 1, v22
	s_delay_alu instid0(VALU_DEP_3) | instskip(NEXT) | instid1(VALU_DEP_3)
	v_mov_b32_dpp v8, v5 row_shr:2 row_mask:0xf bank_mask:0xf
	v_mov_b32_dpp v21, v6 row_shr:2 row_mask:0xf bank_mask:0xf
	s_delay_alu instid0(VALU_DEP_2) | instskip(NEXT) | instid1(VALU_DEP_2)
	v_add_nc_u32_e32 v8, v5, v8
	v_add_nc_u32_e32 v21, v6, v21
	s_wait_alu 0xf1ff
	s_delay_alu instid0(VALU_DEP_2) | instskip(NEXT) | instid1(VALU_DEP_2)
	v_cndmask_b32_e64 v5, v5, v8, s0
	v_cndmask_b32_e64 v6, v6, v21, s0
	v_cmp_lt_u32_e64 s0, 3, v22
	s_delay_alu instid0(VALU_DEP_3) | instskip(NEXT) | instid1(VALU_DEP_3)
	v_mov_b32_dpp v8, v5 row_shr:4 row_mask:0xf bank_mask:0xf
	v_mov_b32_dpp v21, v6 row_shr:4 row_mask:0xf bank_mask:0xf
	s_wait_alu 0xf1ff
	s_delay_alu instid0(VALU_DEP_2) | instskip(NEXT) | instid1(VALU_DEP_2)
	v_cndmask_b32_e64 v8, 0, v8, s0
	v_cndmask_b32_e64 v21, 0, v21, s0
	s_delay_alu instid0(VALU_DEP_2) | instskip(NEXT) | instid1(VALU_DEP_2)
	v_add_nc_u32_e32 v5, v8, v5
	v_add_nc_u32_e32 v6, v21, v6
	ds_store_b64 v7, v[5:6]
.LBB9_141:
	s_wait_alu 0xfffe
	s_or_b32 exec_lo, exec_lo, s1
	v_dual_mov_b32 v7, 0 :: v_dual_mov_b32 v6, 0
	v_mov_b32_e32 v5, 0
	s_mov_b32 s1, exec_lo
	s_wait_loadcnt_dscnt 0x0
	s_barrier_signal -1
	s_barrier_wait -1
	global_inv scope:SCOPE_SE
	v_cmpx_lt_u32_e32 31, v0
; %bb.142:
	v_lshl_add_u32 v5, v75, 3, -8
	ds_load_b64 v[5:6], v5
; %bb.143:
	s_wait_alu 0xfffe
	s_or_b32 exec_lo, exec_lo, s1
	v_sub_co_u32 v8, s0, v74, 1
	v_dual_cndmask_b32 v2, v4, v2 :: v_dual_cndmask_b32 v1, v3, v1
	v_cmp_eq_u32_e32 vcc_lo, 0, v0
	s_delay_alu instid0(VALU_DEP_3) | instskip(SKIP_1) | instid1(VALU_DEP_3)
	v_cmp_gt_i32_e64 s1, 0, v8
	s_wait_dscnt 0x0
	v_add_nc_u32_e32 v2, v5, v2
	v_add_nc_u32_e32 v1, v6, v1
	s_wait_alu 0xf1ff
	v_cndmask_b32_e64 v4, v8, v74, s1
	s_delay_alu instid0(VALU_DEP_1)
	v_lshlrev_b32_e32 v3, 2, v4
	ds_bpermute_b32 v8, v3, v2
	ds_bpermute_b32 v21, v3, v1
	ds_load_b64 v[1:2], v7 offset:56
	s_and_saveexec_b32 s1, vcc_lo
	s_cbranch_execz .LBB9_145
; %bb.144:
	s_wait_kmcnt 0x0
	s_add_nc_u64 s[2:3], s[4:5], 0x200
	v_dual_mov_b32 v3, 2 :: v_dual_mov_b32 v4, 0
	s_wait_alu 0xfffe
	v_dual_mov_b32 v23, s3 :: v_dual_mov_b32 v22, s2
	s_wait_dscnt 0x0
	;;#ASMSTART
	global_store_b128 v[22:23], v[1:4] off scope:SCOPE_DEV	
s_wait_storecnt 0x0
	;;#ASMEND
.LBB9_145:
	s_wait_alu 0xfffe
	s_or_b32 exec_lo, exec_lo, s1
	s_wait_dscnt 0x1
	v_cndmask_b32_e64 v3, v21, v6, s0
	v_cndmask_b32_e64 v5, v8, v5, s0
	v_mov_b32_e32 v4, 0
	s_wait_loadcnt_dscnt 0x0
	s_barrier_signal -1
	v_cndmask_b32_e64 v81, v3, 0, vcc_lo
	v_cndmask_b32_e64 v82, v5, 0, vcc_lo
	v_mov_b32_e32 v3, 0
	s_barrier_wait -1
	global_inv scope:SCOPE_SE
.LBB9_146:
	v_lshrrev_b32_e32 v77, 8, v49
	s_delay_alu instid0(VALU_DEP_2)
	v_add_nc_u32_e32 v73, v81, v73
	s_wait_dscnt 0x0
	v_sub_nc_u32_e32 v81, v81, v4
	v_lshlrev_b32_e32 v84, 1, v1
	v_lshrrev_b32_e32 v75, 16, v49
	v_and_b32_e32 v77, 1, v77
	v_add_nc_u32_e32 v71, v73, v71
	v_add_nc_u32_e32 v81, v81, v1
	v_add3_u32 v87, v84, v2, v41
	v_and_b32_e32 v75, 1, v75
	v_cmp_eq_u32_e32 vcc_lo, 1, v77
	v_add_nc_u32_e32 v72, v82, v72
	v_sub_nc_u32_e32 v82, v82, v3
	v_sub_nc_u32_e32 v73, v73, v4
	v_lshrrev_b32_e32 v76, 8, v42
	v_lshrrev_b32_e32 v74, 16, v42
	v_and_b32_e32 v42, 1, v42
	v_add_nc_u32_e32 v41, v82, v81
	v_add_nc_u32_e32 v73, v73, v1
	v_and_b32_e32 v76, 1, v76
	s_wait_kmcnt 0x0
	v_add_co_u32 v5, s0, s28, v3
	v_sub_nc_u32_e32 v41, v87, v41
	s_wait_alu 0xf1ff
	v_add_co_ci_u32_e64 v6, null, s29, 0, s0
	v_sub_co_u32 v80, s0, s30, v1
	s_wait_alu 0xfffd
	v_cndmask_b32_e32 v41, v41, v81, vcc_lo
	v_cmp_eq_u32_e32 vcc_lo, 1, v75
	v_add_nc_u32_e32 v78, v71, v55
	v_sub_nc_u32_e32 v71, v71, v4
	s_wait_alu 0xf1ff
	v_sub_co_ci_u32_e64 v83, null, s31, 0, s0
	v_and_b32_e32 v55, 1, v55
	v_and_b32_e32 v74, 1, v74
	v_add_nc_u32_e32 v71, v71, v1
	v_add_nc_u32_e32 v70, v72, v70
	v_sub_nc_u32_e32 v72, v72, v3
	v_lshrrev_b32_e32 v26, 8, v43
	v_lshrrev_b32_e32 v25, 16, v43
	v_and_b32_e32 v43, 1, v43
	v_lshrrev_b32_e32 v23, 16, v44
	v_add_nc_u32_e32 v88, v73, v72
	v_and_b32_e32 v26, 1, v26
	v_lshrrev_b32_e32 v24, 8, v44
	v_and_b32_e32 v44, 1, v44
	v_lshrrev_b32_e32 v8, 16, v46
	v_sub_nc_u32_e32 v88, v87, v88
	v_lshrrev_b32_e32 v22, 8, v46
	v_and_b32_e32 v24, 1, v24
	v_lshrrev_b32_e32 v21, 8, v47
	v_and_b32_e32 v8, 1, v8
	v_add_nc_u32_e32 v88, 1, v88
	v_and_b32_e32 v22, 1, v22
	v_lshrrev_b32_e32 v7, 16, v47
	s_mov_b32 s41, 0
	s_wait_alu 0xfffd
	v_cndmask_b32_e32 v73, v88, v73, vcc_lo
	v_cmp_eq_u32_e32 vcc_lo, 1, v42
	v_add_nc_u32_e32 v68, v78, v68
	v_and_b32_e32 v7, 1, v7
	s_wait_alu 0xfffd
	v_cndmask_b32_e32 v81, v41, v82, vcc_lo
	v_cmp_eq_u32_e32 vcc_lo, 1, v76
	v_add_nc_u32_e32 v69, v70, v69
	v_sub_nc_u32_e32 v70, v70, v3
	v_sub_nc_u32_e32 v76, v78, v4
	s_wait_alu 0xfffd
	v_dual_cndmask_b32 v72, v73, v72 :: v_dual_add_nc_u32 v67, v68, v67
	v_add_co_u32 v41, vcc_lo, v80, v4
	v_add_nc_u32_e32 v75, v71, v70
	s_wait_alu 0xfffd
	v_add_co_ci_u32_e64 v42, null, 0, v83, vcc_lo
	v_cmp_eq_u32_e32 vcc_lo, 1, v55
	v_add_nc_u32_e32 v79, v69, v54
	v_sub_nc_u32_e32 v73, v87, v75
	v_sub_nc_u32_e32 v69, v69, v3
	;; [unrolled: 1-line block ×3, first 2 shown]
	v_lshlrev_b32_e32 v75, 2, v81
	v_lshlrev_b32_e32 v72, 2, v72
	v_add_nc_u32_e32 v73, 2, v73
	ds_store_b32 v75, v19
	ds_store_b32 v72, v20
	s_wait_alu 0xfffd
	v_dual_cndmask_b32 v55, v73, v71 :: v_dual_add_nc_u32 v68, v68, v1
	v_add_nc_u32_e32 v71, v76, v1
	v_cmp_eq_u32_e32 vcc_lo, 1, v74
	v_and_b32_e32 v54, 1, v54
	s_delay_alu instid0(VALU_DEP_3) | instskip(SKIP_4) | instid1(VALU_DEP_3)
	v_add_nc_u32_e32 v73, v69, v71
	s_wait_alu 0xfffd
	v_cndmask_b32_e32 v55, v55, v70, vcc_lo
	v_sub_nc_u32_e32 v70, v79, v3
	v_cmp_eq_u32_e32 vcc_lo, 1, v43
	v_lshlrev_b32_e32 v19, 2, v55
	s_delay_alu instid0(VALU_DEP_3)
	v_add_nc_u32_e32 v20, v70, v68
	v_sub_nc_u32_e32 v55, v87, v73
	ds_store_b32 v19, v17
	v_sub_nc_u32_e32 v20, v87, v20
	v_add_nc_u32_e32 v55, 3, v55
	v_and_b32_e32 v19, 1, v25
	s_wait_alu 0xfffd
	s_delay_alu instid0(VALU_DEP_2) | instskip(SKIP_2) | instid1(VALU_DEP_2)
	v_dual_cndmask_b32 v43, v55, v71 :: v_dual_add_nc_u32 v20, 4, v20
	v_cmp_eq_u32_e32 vcc_lo, 1, v26
	s_wait_alu 0xfffd
	v_cndmask_b32_e32 v20, v20, v68, vcc_lo
	v_cmp_eq_u32_e32 vcc_lo, 1, v54
	s_wait_alu 0xfffd
	v_cndmask_b32_e32 v26, v43, v69, vcc_lo
	v_cmp_eq_u32_e32 vcc_lo, 1, v44
	v_add_nc_u32_e32 v65, v67, v65
	v_sub_nc_u32_e32 v67, v67, v4
	s_delay_alu instid0(VALU_DEP_4)
	v_lshlrev_b32_e32 v17, 2, v26
	s_wait_alu 0xfffd
	v_cndmask_b32_e32 v20, v20, v70, vcc_lo
	v_cmp_eq_u32_e32 vcc_lo, 1, v19
	v_add_nc_u32_e32 v67, v67, v1
	v_add_nc_u32_e32 v66, v79, v66
	;; [unrolled: 1-line block ×3, first 2 shown]
	v_sub_nc_u32_e32 v26, v65, v4
	v_lshlrev_b32_e32 v20, 2, v20
	ds_store_b32 v17, v18
	ds_store_b32 v20, v15
	v_add_nc_u32_e32 v64, v66, v64
	v_sub_nc_u32_e32 v66, v66, v3
	v_add_nc_u32_e32 v26, v26, v1
	v_add_nc_u32_e32 v63, v85, v63
	v_and_b32_e32 v20, 1, v53
	s_delay_alu instid0(VALU_DEP_4) | instskip(NEXT) | instid1(VALU_DEP_1)
	v_add_nc_u32_e32 v55, v66, v67
	v_sub_nc_u32_e32 v43, v87, v55
	s_delay_alu instid0(VALU_DEP_1) | instskip(SKIP_2) | instid1(VALU_DEP_2)
	v_add_nc_u32_e32 v25, 5, v43
	v_sub_nc_u32_e32 v43, v85, v4
	s_wait_alu 0xfffd
	v_cndmask_b32_e32 v19, v25, v67, vcc_lo
	v_cmp_eq_u32_e32 vcc_lo, 1, v24
	s_delay_alu instid0(VALU_DEP_3) | instskip(SKIP_1) | instid1(VALU_DEP_3)
	v_add_nc_u32_e32 v43, v43, v1
	s_wait_alu 0xfffd
	v_cndmask_b32_e32 v19, v19, v66, vcc_lo
	v_add_nc_u32_e32 v59, v64, v59
	v_sub_nc_u32_e32 v25, v64, v3
	v_cmp_eq_u32_e32 vcc_lo, 1, v20
	v_and_b32_e32 v20, 1, v52
	v_lshlrev_b32_e32 v15, 2, v19
	v_sub_nc_u32_e32 v24, v59, v3
	v_add_nc_u32_e32 v44, v25, v26
	v_add_nc_u32_e32 v86, v59, v52
	v_and_b32_e32 v19, 1, v23
	v_sub_nc_u32_e32 v23, v63, v4
	v_add_nc_u32_e32 v17, v24, v43
	v_sub_nc_u32_e32 v18, v87, v44
	v_and_b32_e32 v44, 1, v46
	v_sub_nc_u32_e32 v46, v86, v3
	v_add_nc_u32_e32 v23, v23, v1
	v_sub_nc_u32_e32 v17, v87, v17
	v_add_nc_u32_e32 v18, 6, v18
	v_add_nc_u32_e32 v61, v86, v61
	s_wait_alu 0xfffd
	s_delay_alu instid0(VALU_DEP_2)
	v_dual_cndmask_b32 v18, v18, v26 :: v_dual_add_nc_u32 v17, 7, v17
	v_cmp_eq_u32_e32 vcc_lo, 1, v44
	v_add_nc_u32_e32 v26, v46, v23
	v_add_nc_u32_e32 v58, v61, v58
	s_wait_alu 0xfffd
	v_cndmask_b32_e32 v17, v17, v43, vcc_lo
	v_cmp_eq_u32_e32 vcc_lo, 1, v19
	v_sub_nc_u32_e32 v19, v87, v26
	s_wait_alu 0xfffd
	v_cndmask_b32_e32 v18, v18, v25, vcc_lo
	v_cmp_eq_u32_e32 vcc_lo, 1, v20
	v_add_nc_u32_e32 v62, v63, v62
	v_add_nc_u32_e32 v19, 8, v19
	v_sub_nc_u32_e32 v25, v61, v3
	s_wait_alu 0xfffd
	v_dual_cndmask_b32 v17, v17, v24 :: v_dual_lshlrev_b32 v18, 2, v18
	v_sub_nc_u32_e32 v20, v62, v4
	v_and_b32_e32 v24, 1, v47
	v_cmp_eq_u32_e32 vcc_lo, 1, v22
	s_delay_alu instid0(VALU_DEP_4) | instskip(NEXT) | instid1(VALU_DEP_4)
	v_lshlrev_b32_e32 v17, 2, v17
	v_add_nc_u32_e32 v20, v20, v1
	ds_store_b32 v15, v16
	ds_store_b32 v18, v13
	;; [unrolled: 1-line block ×3, first 2 shown]
	s_wait_alu 0xfffd
	v_cndmask_b32_e32 v19, v19, v23, vcc_lo
	v_cmp_eq_u32_e32 vcc_lo, 1, v24
	v_add_nc_u32_e32 v60, v62, v60
	v_add_nc_u32_e32 v22, v25, v20
	v_sub_nc_u32_e32 v17, v58, v3
	v_and_b32_e32 v15, 1, v21
	s_wait_alu 0xfffd
	v_cndmask_b32_e32 v19, v19, v46, vcc_lo
	v_sub_nc_u32_e32 v16, v60, v4
	v_sub_nc_u32_e32 v13, v87, v22
	v_cmp_eq_u32_e32 vcc_lo, 1, v8
	v_add_nc_u32_e32 v89, v60, v51
	v_lshlrev_b32_e32 v14, 2, v19
	v_add_nc_u32_e32 v16, v16, v1
	v_add_nc_u32_e32 v13, 9, v13
	s_delay_alu instid0(VALU_DEP_4)
	v_sub_nc_u32_e32 v18, v89, v4
	ds_store_b32 v14, v11
	v_add_nc_u32_e32 v19, v17, v16
	s_wait_alu 0xfffd
	v_cndmask_b32_e32 v8, v13, v20, vcc_lo
	v_cmp_eq_u32_e32 vcc_lo, 1, v15
	v_and_b32_e32 v15, 1, v51
	v_and_b32_e32 v20, 1, v45
	v_sub_nc_u32_e32 v14, v87, v19
	v_add_nc_u32_e32 v18, v18, v1
	s_wait_alu 0xfffd
	v_cndmask_b32_e32 v8, v8, v25, vcc_lo
	v_cmp_eq_u32_e32 vcc_lo, 1, v15
	v_add_nc_u32_e32 v57, v89, v57
	v_add_nc_u32_e32 v14, 10, v14
	v_and_b32_e32 v15, 1, v50
	v_lshlrev_b32_e32 v8, 2, v8
	s_delay_alu instid0(VALU_DEP_4)
	v_sub_nc_u32_e32 v19, v57, v4
	s_wait_alu 0xfffd
	v_cndmask_b32_e32 v14, v14, v16, vcc_lo
	v_cmp_eq_u32_e32 vcc_lo, 1, v20
	v_add_nc_u32_e32 v56, v58, v56
	v_add_nc_u32_e32 v19, v19, v1
	s_delay_alu instid0(VALU_DEP_2) | instskip(NEXT) | instid1(VALU_DEP_1)
	v_sub_nc_u32_e32 v13, v56, v3
	v_add_nc_u32_e32 v11, v13, v18
	s_delay_alu instid0(VALU_DEP_1) | instskip(NEXT) | instid1(VALU_DEP_1)
	v_sub_nc_u32_e32 v11, v87, v11
	v_add_nc_u32_e32 v11, 11, v11
	s_wait_alu 0xfffd
	s_delay_alu instid0(VALU_DEP_1) | instskip(SKIP_2) | instid1(VALU_DEP_2)
	v_cndmask_b32_e32 v11, v11, v18, vcc_lo
	v_add_nc_u32_e32 v77, v56, v50
	v_cmp_eq_u32_e32 vcc_lo, 1, v7
	v_sub_nc_u32_e32 v3, v77, v3
	s_wait_alu 0xfffd
	v_cndmask_b32_e32 v7, v14, v17, vcc_lo
	v_cmp_eq_u32_e32 vcc_lo, 1, v15
	v_and_b32_e32 v15, 1, v49
	v_add_nc_u32_e32 v16, v3, v19
	s_delay_alu instid0(VALU_DEP_4) | instskip(SKIP_4) | instid1(VALU_DEP_3)
	v_lshlrev_b32_e32 v7, 2, v7
	s_wait_alu 0xfffd
	v_cndmask_b32_e32 v11, v11, v13, vcc_lo
	v_and_b32_e32 v13, 1, v48
	v_sub_nc_u32_e32 v14, v87, v16
	v_lshlrev_b32_e32 v11, 2, v11
	s_delay_alu instid0(VALU_DEP_3)
	v_cmp_eq_u32_e32 vcc_lo, 1, v13
	ds_store_b32 v8, v12
	ds_store_b32 v7, v9
	;; [unrolled: 1-line block ×3, first 2 shown]
	v_add_nc_u32_e32 v14, 12, v14
	v_add_co_u32 v7, s0, v2, v84
	s_wait_alu 0xf1ff
	v_add_co_ci_u32_e64 v8, null, 0, 0, s0
	s_wait_alu 0xfffd
	v_cndmask_b32_e32 v13, v14, v19, vcc_lo
	v_cmp_eq_u32_e32 vcc_lo, 1, v15
	s_wait_alu 0xfffe
	s_add_nc_u64 s[0:1], s[34:35], s[40:41]
	v_lshlrev_b64_e32 v[9:10], 2, v[5:6]
	v_add_nc_u32_e32 v12, v1, v2
	s_wait_alu 0xfffd
	v_cndmask_b32_e32 v3, v13, v3, vcc_lo
	v_add_co_u32 v7, vcc_lo, v7, v41
	s_wait_alu 0xfffd
	v_add_co_ci_u32_e64 v8, null, v8, v42, vcc_lo
	s_delay_alu instid0(VALU_DEP_3)
	v_lshlrev_b32_e32 v3, 2, v3
	ds_store_b32 v3, v40
	v_add_co_u32 v3, vcc_lo, v7, v5
	s_wait_alu 0xfffd
	v_add_co_ci_u32_e64 v7, null, v8, v6, vcc_lo
	s_wait_loadcnt_dscnt 0x0
	s_wait_alu 0xfffe
	v_sub_co_u32 v3, vcc_lo, s0, v3
	s_wait_alu 0xfffd
	v_sub_co_ci_u32_e64 v11, null, s1, v7, vcc_lo
	v_lshlrev_b64_e32 v[7:8], 2, v[41:42]
	v_add_co_u32 v9, s0, s36, v9
	s_wait_alu 0xf1ff
	v_add_co_ci_u32_e64 v10, null, s37, v10, s0
	s_mov_b32 s0, -1
	v_add_co_u32 v7, vcc_lo, s38, v7
	s_wait_alu 0xfffd
	v_add_co_ci_u32_e64 v8, null, s39, v8, vcc_lo
	v_cmp_ne_u32_e32 vcc_lo, 1, v39
	s_barrier_signal -1
	s_barrier_wait -1
	global_inv scope:SCOPE_SE
	s_cbranch_vccz .LBB9_150
; %bb.147:
	s_wait_alu 0xfffe
	s_and_b32 vcc_lo, exec_lo, s0
	s_wait_alu 0xfffe
	s_cbranch_vccnz .LBB9_255
.LBB9_148:
	v_cmp_eq_u32_e32 vcc_lo, 0, v0
	s_and_b32 s0, vcc_lo, s15
	s_wait_alu 0xfffe
	s_and_saveexec_b32 s1, s0
	s_cbranch_execnz .LBB9_373
.LBB9_149:
	s_endpgm
.LBB9_150:
	s_mov_b32 s0, exec_lo
	v_cmpx_ge_u32_e64 v0, v1
	s_wait_alu 0xfffe
	s_xor_b32 s0, exec_lo, s0
	s_cbranch_execz .LBB9_156
; %bb.151:
	s_mov_b32 s1, exec_lo
	v_cmpx_ge_u32_e64 v0, v12
	s_wait_alu 0xfffe
	s_xor_b32 s1, exec_lo, s1
	s_cbranch_execz .LBB9_153
; %bb.152:
	v_lshlrev_b32_e32 v13, 2, v0
	ds_load_b32 v15, v13
	v_add_co_u32 v13, vcc_lo, v3, v0
	s_wait_alu 0xfffd
	v_add_co_ci_u32_e64 v14, null, 0, v11, vcc_lo
	s_delay_alu instid0(VALU_DEP_1) | instskip(NEXT) | instid1(VALU_DEP_1)
	v_lshlrev_b64_e32 v[13:14], 2, v[13:14]
	v_sub_co_u32 v13, vcc_lo, s26, v13
	s_wait_alu 0xfffd
	s_delay_alu instid0(VALU_DEP_2)
	v_sub_co_ci_u32_e64 v14, null, s27, v14, vcc_lo
	s_wait_dscnt 0x0
	global_store_b32 v[13:14], v15, off offset:-4
.LBB9_153:
	s_wait_alu 0xfffe
	s_and_not1_saveexec_b32 s1, s1
	s_cbranch_execz .LBB9_155
; %bb.154:
	v_lshlrev_b32_e32 v13, 2, v0
	v_readfirstlane_b32 s2, v7
	v_readfirstlane_b32 s3, v8
	ds_load_b32 v14, v13
	s_wait_dscnt 0x0
	global_store_b32 v13, v14, s[2:3]
.LBB9_155:
	s_wait_alu 0xfffe
	s_or_b32 exec_lo, exec_lo, s1
.LBB9_156:
	s_wait_alu 0xfffe
	s_and_not1_saveexec_b32 s0, s0
	s_cbranch_execz .LBB9_158
; %bb.157:
	v_lshlrev_b32_e32 v13, 2, v0
	v_readfirstlane_b32 s2, v9
	v_readfirstlane_b32 s3, v10
	ds_load_b32 v14, v13
	s_wait_dscnt 0x0
	global_store_b32 v13, v14, s[2:3]
.LBB9_158:
	s_wait_alu 0xfffe
	s_or_b32 exec_lo, exec_lo, s0
	s_delay_alu instid0(SALU_CYCLE_1)
	s_mov_b32 s0, exec_lo
	v_cmpx_ge_u32_e64 v38, v1
	s_wait_alu 0xfffe
	s_xor_b32 s0, exec_lo, s0
	s_cbranch_execz .LBB9_164
; %bb.159:
	s_mov_b32 s1, exec_lo
	v_cmpx_ge_u32_e64 v38, v12
	s_wait_alu 0xfffe
	s_xor_b32 s1, exec_lo, s1
	s_cbranch_execz .LBB9_161
; %bb.160:
	v_lshlrev_b32_e32 v13, 2, v0
	ds_load_b32 v15, v13 offset:1024
	v_add_co_u32 v13, vcc_lo, v3, v0
	s_wait_alu 0xfffd
	v_add_co_ci_u32_e64 v14, null, 0, v11, vcc_lo
	s_delay_alu instid0(VALU_DEP_1) | instskip(NEXT) | instid1(VALU_DEP_1)
	v_lshlrev_b64_e32 v[13:14], 2, v[13:14]
	v_sub_co_u32 v13, vcc_lo, s26, v13
	s_wait_alu 0xfffd
	s_delay_alu instid0(VALU_DEP_2)
	v_sub_co_ci_u32_e64 v14, null, s27, v14, vcc_lo
	s_wait_dscnt 0x0
	global_store_b32 v[13:14], v15, off offset:-1028
.LBB9_161:
	s_wait_alu 0xfffe
	s_and_not1_saveexec_b32 s1, s1
	s_cbranch_execz .LBB9_163
; %bb.162:
	v_lshlrev_b32_e32 v13, 2, v0
	v_readfirstlane_b32 s2, v7
	v_readfirstlane_b32 s3, v8
	ds_load_b32 v14, v13 offset:1024
	s_wait_dscnt 0x0
	global_store_b32 v13, v14, s[2:3] offset:1024
.LBB9_163:
	s_wait_alu 0xfffe
	s_or_b32 exec_lo, exec_lo, s1
.LBB9_164:
	s_wait_alu 0xfffe
	s_and_not1_saveexec_b32 s0, s0
	s_cbranch_execz .LBB9_166
; %bb.165:
	v_lshlrev_b32_e32 v13, 2, v0
	v_readfirstlane_b32 s2, v9
	v_readfirstlane_b32 s3, v10
	ds_load_b32 v14, v13 offset:1024
	s_wait_dscnt 0x0
	global_store_b32 v13, v14, s[2:3] offset:1024
.LBB9_166:
	s_wait_alu 0xfffe
	s_or_b32 exec_lo, exec_lo, s0
	s_delay_alu instid0(SALU_CYCLE_1)
	s_mov_b32 s0, exec_lo
	v_cmpx_ge_u32_e64 v37, v1
	s_wait_alu 0xfffe
	s_xor_b32 s0, exec_lo, s0
	s_cbranch_execz .LBB9_172
; %bb.167:
	s_mov_b32 s1, exec_lo
	v_cmpx_ge_u32_e64 v37, v12
	s_wait_alu 0xfffe
	s_xor_b32 s1, exec_lo, s1
	s_cbranch_execz .LBB9_169
; %bb.168:
	v_lshlrev_b32_e32 v13, 2, v0
	ds_load_b32 v15, v13 offset:2048
	v_add_co_u32 v13, vcc_lo, v3, v0
	s_wait_alu 0xfffd
	v_add_co_ci_u32_e64 v14, null, 0, v11, vcc_lo
	s_delay_alu instid0(VALU_DEP_1) | instskip(NEXT) | instid1(VALU_DEP_1)
	v_lshlrev_b64_e32 v[13:14], 2, v[13:14]
	v_sub_co_u32 v13, vcc_lo, s26, v13
	s_wait_alu 0xfffd
	s_delay_alu instid0(VALU_DEP_2)
	v_sub_co_ci_u32_e64 v14, null, s27, v14, vcc_lo
	s_wait_dscnt 0x0
	global_store_b32 v[13:14], v15, off offset:-2052
.LBB9_169:
	s_wait_alu 0xfffe
	s_and_not1_saveexec_b32 s1, s1
	s_cbranch_execz .LBB9_171
; %bb.170:
	v_lshlrev_b32_e32 v13, 2, v0
	v_readfirstlane_b32 s2, v7
	v_readfirstlane_b32 s3, v8
	ds_load_b32 v14, v13 offset:2048
	s_wait_dscnt 0x0
	global_store_b32 v13, v14, s[2:3] offset:2048
.LBB9_171:
	s_wait_alu 0xfffe
	s_or_b32 exec_lo, exec_lo, s1
.LBB9_172:
	s_wait_alu 0xfffe
	s_and_not1_saveexec_b32 s0, s0
	s_cbranch_execz .LBB9_174
; %bb.173:
	v_lshlrev_b32_e32 v13, 2, v0
	v_readfirstlane_b32 s2, v9
	v_readfirstlane_b32 s3, v10
	ds_load_b32 v14, v13 offset:2048
	s_wait_dscnt 0x0
	global_store_b32 v13, v14, s[2:3] offset:2048
.LBB9_174:
	s_wait_alu 0xfffe
	s_or_b32 exec_lo, exec_lo, s0
	s_delay_alu instid0(SALU_CYCLE_1)
	s_mov_b32 s0, exec_lo
	v_cmpx_ge_u32_e64 v36, v1
	s_wait_alu 0xfffe
	s_xor_b32 s0, exec_lo, s0
	s_cbranch_execz .LBB9_180
; %bb.175:
	s_mov_b32 s1, exec_lo
	v_cmpx_ge_u32_e64 v36, v12
	s_wait_alu 0xfffe
	s_xor_b32 s1, exec_lo, s1
	s_cbranch_execz .LBB9_177
; %bb.176:
	v_lshlrev_b32_e32 v13, 2, v0
	ds_load_b32 v15, v13 offset:3072
	v_add_co_u32 v13, vcc_lo, v3, v0
	s_wait_alu 0xfffd
	v_add_co_ci_u32_e64 v14, null, 0, v11, vcc_lo
	s_delay_alu instid0(VALU_DEP_1) | instskip(NEXT) | instid1(VALU_DEP_1)
	v_lshlrev_b64_e32 v[13:14], 2, v[13:14]
	v_sub_co_u32 v13, vcc_lo, s26, v13
	s_wait_alu 0xfffd
	s_delay_alu instid0(VALU_DEP_2)
	v_sub_co_ci_u32_e64 v14, null, s27, v14, vcc_lo
	s_wait_dscnt 0x0
	global_store_b32 v[13:14], v15, off offset:-3076
.LBB9_177:
	s_wait_alu 0xfffe
	s_and_not1_saveexec_b32 s1, s1
	s_cbranch_execz .LBB9_179
; %bb.178:
	v_lshlrev_b32_e32 v13, 2, v0
	v_readfirstlane_b32 s2, v7
	v_readfirstlane_b32 s3, v8
	ds_load_b32 v14, v13 offset:3072
	s_wait_dscnt 0x0
	global_store_b32 v13, v14, s[2:3] offset:3072
.LBB9_179:
	s_wait_alu 0xfffe
	s_or_b32 exec_lo, exec_lo, s1
.LBB9_180:
	s_wait_alu 0xfffe
	s_and_not1_saveexec_b32 s0, s0
	s_cbranch_execz .LBB9_182
; %bb.181:
	v_lshlrev_b32_e32 v13, 2, v0
	v_readfirstlane_b32 s2, v9
	v_readfirstlane_b32 s3, v10
	ds_load_b32 v14, v13 offset:3072
	s_wait_dscnt 0x0
	global_store_b32 v13, v14, s[2:3] offset:3072
.LBB9_182:
	s_wait_alu 0xfffe
	s_or_b32 exec_lo, exec_lo, s0
	s_delay_alu instid0(SALU_CYCLE_1)
	s_mov_b32 s0, exec_lo
	v_cmpx_ge_u32_e64 v35, v1
	s_wait_alu 0xfffe
	s_xor_b32 s0, exec_lo, s0
	s_cbranch_execz .LBB9_188
; %bb.183:
	s_mov_b32 s1, exec_lo
	v_cmpx_ge_u32_e64 v35, v12
	s_wait_alu 0xfffe
	s_xor_b32 s1, exec_lo, s1
	s_cbranch_execz .LBB9_185
; %bb.184:
	v_lshlrev_b32_e32 v13, 2, v0
	ds_load_b32 v15, v13 offset:4096
	v_add_co_u32 v13, vcc_lo, v3, v0
	s_wait_alu 0xfffd
	v_add_co_ci_u32_e64 v14, null, 0, v11, vcc_lo
	s_delay_alu instid0(VALU_DEP_1) | instskip(NEXT) | instid1(VALU_DEP_1)
	v_lshlrev_b64_e32 v[13:14], 2, v[13:14]
	v_sub_co_u32 v13, vcc_lo, s26, v13
	s_wait_alu 0xfffd
	s_delay_alu instid0(VALU_DEP_2)
	v_sub_co_ci_u32_e64 v14, null, s27, v14, vcc_lo
	s_wait_dscnt 0x0
	global_store_b32 v[13:14], v15, off offset:-4100
.LBB9_185:
	s_wait_alu 0xfffe
	s_and_not1_saveexec_b32 s1, s1
	s_cbranch_execz .LBB9_187
; %bb.186:
	v_lshlrev_b32_e32 v13, 2, v0
	v_readfirstlane_b32 s2, v7
	v_readfirstlane_b32 s3, v8
	ds_load_b32 v14, v13 offset:4096
	s_wait_dscnt 0x0
	global_store_b32 v13, v14, s[2:3] offset:4096
.LBB9_187:
	s_wait_alu 0xfffe
	s_or_b32 exec_lo, exec_lo, s1
.LBB9_188:
	s_wait_alu 0xfffe
	s_and_not1_saveexec_b32 s0, s0
	s_cbranch_execz .LBB9_190
; %bb.189:
	v_lshlrev_b32_e32 v13, 2, v0
	v_readfirstlane_b32 s2, v9
	v_readfirstlane_b32 s3, v10
	ds_load_b32 v14, v13 offset:4096
	s_wait_dscnt 0x0
	global_store_b32 v13, v14, s[2:3] offset:4096
.LBB9_190:
	s_wait_alu 0xfffe
	s_or_b32 exec_lo, exec_lo, s0
	s_delay_alu instid0(SALU_CYCLE_1)
	s_mov_b32 s0, exec_lo
	v_cmpx_ge_u32_e64 v34, v1
	s_wait_alu 0xfffe
	s_xor_b32 s0, exec_lo, s0
	s_cbranch_execz .LBB9_196
; %bb.191:
	s_mov_b32 s1, exec_lo
	v_cmpx_ge_u32_e64 v34, v12
	s_wait_alu 0xfffe
	s_xor_b32 s1, exec_lo, s1
	s_cbranch_execz .LBB9_193
; %bb.192:
	v_lshlrev_b32_e32 v13, 2, v0
	ds_load_b32 v15, v13 offset:5120
	v_add_co_u32 v13, vcc_lo, v3, v0
	s_wait_alu 0xfffd
	v_add_co_ci_u32_e64 v14, null, 0, v11, vcc_lo
	s_delay_alu instid0(VALU_DEP_1) | instskip(NEXT) | instid1(VALU_DEP_1)
	v_lshlrev_b64_e32 v[13:14], 2, v[13:14]
	v_sub_co_u32 v13, vcc_lo, s26, v13
	s_wait_alu 0xfffd
	s_delay_alu instid0(VALU_DEP_2)
	v_sub_co_ci_u32_e64 v14, null, s27, v14, vcc_lo
	s_wait_dscnt 0x0
	global_store_b32 v[13:14], v15, off offset:-5124
.LBB9_193:
	s_wait_alu 0xfffe
	s_and_not1_saveexec_b32 s1, s1
	s_cbranch_execz .LBB9_195
; %bb.194:
	v_lshlrev_b32_e32 v13, 2, v0
	v_readfirstlane_b32 s2, v7
	v_readfirstlane_b32 s3, v8
	ds_load_b32 v14, v13 offset:5120
	s_wait_dscnt 0x0
	global_store_b32 v13, v14, s[2:3] offset:5120
.LBB9_195:
	s_wait_alu 0xfffe
	s_or_b32 exec_lo, exec_lo, s1
.LBB9_196:
	s_wait_alu 0xfffe
	s_and_not1_saveexec_b32 s0, s0
	s_cbranch_execz .LBB9_198
; %bb.197:
	v_lshlrev_b32_e32 v13, 2, v0
	v_readfirstlane_b32 s2, v9
	v_readfirstlane_b32 s3, v10
	ds_load_b32 v14, v13 offset:5120
	s_wait_dscnt 0x0
	global_store_b32 v13, v14, s[2:3] offset:5120
.LBB9_198:
	s_wait_alu 0xfffe
	s_or_b32 exec_lo, exec_lo, s0
	s_delay_alu instid0(SALU_CYCLE_1)
	s_mov_b32 s0, exec_lo
	v_cmpx_ge_u32_e64 v33, v1
	s_wait_alu 0xfffe
	s_xor_b32 s0, exec_lo, s0
	s_cbranch_execz .LBB9_204
; %bb.199:
	s_mov_b32 s1, exec_lo
	v_cmpx_ge_u32_e64 v33, v12
	s_wait_alu 0xfffe
	s_xor_b32 s1, exec_lo, s1
	s_cbranch_execz .LBB9_201
; %bb.200:
	v_lshlrev_b32_e32 v13, 2, v0
	ds_load_b32 v15, v13 offset:6144
	v_add_co_u32 v13, vcc_lo, v3, v0
	s_wait_alu 0xfffd
	v_add_co_ci_u32_e64 v14, null, 0, v11, vcc_lo
	s_delay_alu instid0(VALU_DEP_1) | instskip(NEXT) | instid1(VALU_DEP_1)
	v_lshlrev_b64_e32 v[13:14], 2, v[13:14]
	v_sub_co_u32 v13, vcc_lo, s26, v13
	s_wait_alu 0xfffd
	s_delay_alu instid0(VALU_DEP_2)
	v_sub_co_ci_u32_e64 v14, null, s27, v14, vcc_lo
	s_wait_dscnt 0x0
	global_store_b32 v[13:14], v15, off offset:-6148
.LBB9_201:
	s_wait_alu 0xfffe
	s_and_not1_saveexec_b32 s1, s1
	s_cbranch_execz .LBB9_203
; %bb.202:
	v_lshlrev_b32_e32 v13, 2, v0
	v_readfirstlane_b32 s2, v7
	v_readfirstlane_b32 s3, v8
	ds_load_b32 v14, v13 offset:6144
	s_wait_dscnt 0x0
	global_store_b32 v13, v14, s[2:3] offset:6144
.LBB9_203:
	s_wait_alu 0xfffe
	s_or_b32 exec_lo, exec_lo, s1
.LBB9_204:
	s_wait_alu 0xfffe
	s_and_not1_saveexec_b32 s0, s0
	s_cbranch_execz .LBB9_206
; %bb.205:
	v_lshlrev_b32_e32 v13, 2, v0
	v_readfirstlane_b32 s2, v9
	v_readfirstlane_b32 s3, v10
	ds_load_b32 v14, v13 offset:6144
	s_wait_dscnt 0x0
	global_store_b32 v13, v14, s[2:3] offset:6144
.LBB9_206:
	s_wait_alu 0xfffe
	s_or_b32 exec_lo, exec_lo, s0
	s_delay_alu instid0(SALU_CYCLE_1)
	s_mov_b32 s0, exec_lo
	v_cmpx_ge_u32_e64 v32, v1
	s_wait_alu 0xfffe
	s_xor_b32 s0, exec_lo, s0
	s_cbranch_execz .LBB9_212
; %bb.207:
	s_mov_b32 s1, exec_lo
	v_cmpx_ge_u32_e64 v32, v12
	s_wait_alu 0xfffe
	s_xor_b32 s1, exec_lo, s1
	s_cbranch_execz .LBB9_209
; %bb.208:
	v_lshlrev_b32_e32 v13, 2, v0
	ds_load_b32 v15, v13 offset:7168
	v_add_co_u32 v13, vcc_lo, v3, v0
	s_wait_alu 0xfffd
	v_add_co_ci_u32_e64 v14, null, 0, v11, vcc_lo
	s_delay_alu instid0(VALU_DEP_1) | instskip(NEXT) | instid1(VALU_DEP_1)
	v_lshlrev_b64_e32 v[13:14], 2, v[13:14]
	v_sub_co_u32 v13, vcc_lo, s26, v13
	s_wait_alu 0xfffd
	s_delay_alu instid0(VALU_DEP_2)
	v_sub_co_ci_u32_e64 v14, null, s27, v14, vcc_lo
	s_wait_dscnt 0x0
	global_store_b32 v[13:14], v15, off offset:-7172
.LBB9_209:
	s_wait_alu 0xfffe
	s_and_not1_saveexec_b32 s1, s1
	s_cbranch_execz .LBB9_211
; %bb.210:
	v_lshlrev_b32_e32 v13, 2, v0
	v_readfirstlane_b32 s2, v7
	v_readfirstlane_b32 s3, v8
	ds_load_b32 v14, v13 offset:7168
	s_wait_dscnt 0x0
	global_store_b32 v13, v14, s[2:3] offset:7168
.LBB9_211:
	s_wait_alu 0xfffe
	s_or_b32 exec_lo, exec_lo, s1
.LBB9_212:
	s_wait_alu 0xfffe
	s_and_not1_saveexec_b32 s0, s0
	s_cbranch_execz .LBB9_214
; %bb.213:
	v_lshlrev_b32_e32 v13, 2, v0
	v_readfirstlane_b32 s2, v9
	v_readfirstlane_b32 s3, v10
	ds_load_b32 v14, v13 offset:7168
	s_wait_dscnt 0x0
	global_store_b32 v13, v14, s[2:3] offset:7168
.LBB9_214:
	s_wait_alu 0xfffe
	s_or_b32 exec_lo, exec_lo, s0
	s_delay_alu instid0(SALU_CYCLE_1)
	s_mov_b32 s0, exec_lo
	v_cmpx_ge_u32_e64 v31, v1
	s_wait_alu 0xfffe
	s_xor_b32 s0, exec_lo, s0
	s_cbranch_execz .LBB9_220
; %bb.215:
	s_mov_b32 s1, exec_lo
	v_cmpx_ge_u32_e64 v31, v12
	s_wait_alu 0xfffe
	s_xor_b32 s1, exec_lo, s1
	s_cbranch_execz .LBB9_217
; %bb.216:
	v_lshlrev_b32_e32 v13, 2, v0
	ds_load_b32 v15, v13 offset:8192
	v_add_co_u32 v13, vcc_lo, v3, v0
	s_wait_alu 0xfffd
	v_add_co_ci_u32_e64 v14, null, 0, v11, vcc_lo
	s_delay_alu instid0(VALU_DEP_1) | instskip(NEXT) | instid1(VALU_DEP_1)
	v_lshlrev_b64_e32 v[13:14], 2, v[13:14]
	v_sub_co_u32 v13, vcc_lo, s26, v13
	s_wait_alu 0xfffd
	s_delay_alu instid0(VALU_DEP_2)
	v_sub_co_ci_u32_e64 v14, null, s27, v14, vcc_lo
	s_wait_dscnt 0x0
	global_store_b32 v[13:14], v15, off offset:-8196
.LBB9_217:
	s_wait_alu 0xfffe
	s_and_not1_saveexec_b32 s1, s1
	s_cbranch_execz .LBB9_219
; %bb.218:
	v_lshlrev_b32_e32 v13, 2, v0
	v_readfirstlane_b32 s2, v7
	v_readfirstlane_b32 s3, v8
	ds_load_b32 v14, v13 offset:8192
	s_wait_dscnt 0x0
	global_store_b32 v13, v14, s[2:3] offset:8192
.LBB9_219:
	s_wait_alu 0xfffe
	s_or_b32 exec_lo, exec_lo, s1
.LBB9_220:
	s_wait_alu 0xfffe
	s_and_not1_saveexec_b32 s0, s0
	s_cbranch_execz .LBB9_222
; %bb.221:
	v_lshlrev_b32_e32 v13, 2, v0
	v_readfirstlane_b32 s2, v9
	v_readfirstlane_b32 s3, v10
	ds_load_b32 v14, v13 offset:8192
	s_wait_dscnt 0x0
	global_store_b32 v13, v14, s[2:3] offset:8192
.LBB9_222:
	s_wait_alu 0xfffe
	s_or_b32 exec_lo, exec_lo, s0
	s_delay_alu instid0(SALU_CYCLE_1)
	s_mov_b32 s0, exec_lo
	v_cmpx_ge_u32_e64 v30, v1
	s_wait_alu 0xfffe
	s_xor_b32 s0, exec_lo, s0
	s_cbranch_execz .LBB9_228
; %bb.223:
	s_mov_b32 s1, exec_lo
	v_cmpx_ge_u32_e64 v30, v12
	s_wait_alu 0xfffe
	s_xor_b32 s1, exec_lo, s1
	s_cbranch_execz .LBB9_225
; %bb.224:
	v_lshlrev_b32_e32 v13, 2, v0
	ds_load_b32 v15, v13 offset:9216
	v_add_co_u32 v13, vcc_lo, v3, v0
	s_wait_alu 0xfffd
	v_add_co_ci_u32_e64 v14, null, 0, v11, vcc_lo
	s_delay_alu instid0(VALU_DEP_1) | instskip(NEXT) | instid1(VALU_DEP_1)
	v_lshlrev_b64_e32 v[13:14], 2, v[13:14]
	v_sub_co_u32 v13, vcc_lo, s26, v13
	s_wait_alu 0xfffd
	s_delay_alu instid0(VALU_DEP_2)
	v_sub_co_ci_u32_e64 v14, null, s27, v14, vcc_lo
	s_wait_dscnt 0x0
	global_store_b32 v[13:14], v15, off offset:-9220
.LBB9_225:
	s_wait_alu 0xfffe
	s_and_not1_saveexec_b32 s1, s1
	s_cbranch_execz .LBB9_227
; %bb.226:
	v_lshlrev_b32_e32 v13, 2, v0
	v_readfirstlane_b32 s2, v7
	v_readfirstlane_b32 s3, v8
	ds_load_b32 v14, v13 offset:9216
	s_wait_dscnt 0x0
	global_store_b32 v13, v14, s[2:3] offset:9216
.LBB9_227:
	s_wait_alu 0xfffe
	s_or_b32 exec_lo, exec_lo, s1
.LBB9_228:
	s_wait_alu 0xfffe
	s_and_not1_saveexec_b32 s0, s0
	s_cbranch_execz .LBB9_230
; %bb.229:
	v_lshlrev_b32_e32 v13, 2, v0
	v_readfirstlane_b32 s2, v9
	v_readfirstlane_b32 s3, v10
	ds_load_b32 v14, v13 offset:9216
	s_wait_dscnt 0x0
	global_store_b32 v13, v14, s[2:3] offset:9216
.LBB9_230:
	s_wait_alu 0xfffe
	s_or_b32 exec_lo, exec_lo, s0
	s_delay_alu instid0(SALU_CYCLE_1)
	s_mov_b32 s0, exec_lo
	v_cmpx_ge_u32_e64 v29, v1
	s_wait_alu 0xfffe
	s_xor_b32 s0, exec_lo, s0
	s_cbranch_execz .LBB9_236
; %bb.231:
	s_mov_b32 s1, exec_lo
	v_cmpx_ge_u32_e64 v29, v12
	s_wait_alu 0xfffe
	s_xor_b32 s1, exec_lo, s1
	s_cbranch_execz .LBB9_233
; %bb.232:
	v_lshlrev_b32_e32 v13, 2, v0
	ds_load_b32 v15, v13 offset:10240
	v_add_co_u32 v13, vcc_lo, v3, v0
	s_wait_alu 0xfffd
	v_add_co_ci_u32_e64 v14, null, 0, v11, vcc_lo
	s_delay_alu instid0(VALU_DEP_1) | instskip(NEXT) | instid1(VALU_DEP_1)
	v_lshlrev_b64_e32 v[13:14], 2, v[13:14]
	v_sub_co_u32 v13, vcc_lo, s26, v13
	s_wait_alu 0xfffd
	s_delay_alu instid0(VALU_DEP_2)
	v_sub_co_ci_u32_e64 v14, null, s27, v14, vcc_lo
	s_wait_dscnt 0x0
	global_store_b32 v[13:14], v15, off offset:-10244
.LBB9_233:
	s_wait_alu 0xfffe
	s_and_not1_saveexec_b32 s1, s1
	s_cbranch_execz .LBB9_235
; %bb.234:
	v_lshlrev_b32_e32 v13, 2, v0
	v_readfirstlane_b32 s2, v7
	v_readfirstlane_b32 s3, v8
	ds_load_b32 v14, v13 offset:10240
	s_wait_dscnt 0x0
	global_store_b32 v13, v14, s[2:3] offset:10240
.LBB9_235:
	s_wait_alu 0xfffe
	s_or_b32 exec_lo, exec_lo, s1
.LBB9_236:
	s_wait_alu 0xfffe
	s_and_not1_saveexec_b32 s0, s0
	s_cbranch_execz .LBB9_238
; %bb.237:
	v_lshlrev_b32_e32 v13, 2, v0
	v_readfirstlane_b32 s2, v9
	v_readfirstlane_b32 s3, v10
	ds_load_b32 v14, v13 offset:10240
	s_wait_dscnt 0x0
	global_store_b32 v13, v14, s[2:3] offset:10240
.LBB9_238:
	s_wait_alu 0xfffe
	s_or_b32 exec_lo, exec_lo, s0
	s_delay_alu instid0(SALU_CYCLE_1)
	s_mov_b32 s0, exec_lo
	v_cmpx_ge_u32_e64 v28, v1
	s_wait_alu 0xfffe
	s_xor_b32 s0, exec_lo, s0
	s_cbranch_execz .LBB9_244
; %bb.239:
	s_mov_b32 s1, exec_lo
	v_cmpx_ge_u32_e64 v28, v12
	s_wait_alu 0xfffe
	s_xor_b32 s1, exec_lo, s1
	s_cbranch_execz .LBB9_241
; %bb.240:
	v_lshlrev_b32_e32 v13, 2, v0
	ds_load_b32 v15, v13 offset:11264
	v_add_co_u32 v13, vcc_lo, v3, v0
	s_wait_alu 0xfffd
	v_add_co_ci_u32_e64 v14, null, 0, v11, vcc_lo
	s_delay_alu instid0(VALU_DEP_1) | instskip(NEXT) | instid1(VALU_DEP_1)
	v_lshlrev_b64_e32 v[13:14], 2, v[13:14]
	v_sub_co_u32 v13, vcc_lo, s26, v13
	s_wait_alu 0xfffd
	s_delay_alu instid0(VALU_DEP_2)
	v_sub_co_ci_u32_e64 v14, null, s27, v14, vcc_lo
	s_wait_dscnt 0x0
	global_store_b32 v[13:14], v15, off offset:-11268
.LBB9_241:
	s_wait_alu 0xfffe
	s_and_not1_saveexec_b32 s1, s1
	s_cbranch_execz .LBB9_243
; %bb.242:
	v_lshlrev_b32_e32 v13, 2, v0
	v_readfirstlane_b32 s2, v7
	v_readfirstlane_b32 s3, v8
	ds_load_b32 v14, v13 offset:11264
	s_wait_dscnt 0x0
	global_store_b32 v13, v14, s[2:3] offset:11264
.LBB9_243:
	s_wait_alu 0xfffe
	s_or_b32 exec_lo, exec_lo, s1
.LBB9_244:
	s_wait_alu 0xfffe
	s_and_not1_saveexec_b32 s0, s0
	s_cbranch_execz .LBB9_246
; %bb.245:
	v_lshlrev_b32_e32 v13, 2, v0
	v_readfirstlane_b32 s2, v9
	v_readfirstlane_b32 s3, v10
	ds_load_b32 v14, v13 offset:11264
	s_wait_dscnt 0x0
	global_store_b32 v13, v14, s[2:3] offset:11264
.LBB9_246:
	s_wait_alu 0xfffe
	s_or_b32 exec_lo, exec_lo, s0
	s_delay_alu instid0(SALU_CYCLE_1)
	s_mov_b32 s0, exec_lo
	v_cmpx_ge_u32_e64 v27, v1
	s_wait_alu 0xfffe
	s_xor_b32 s0, exec_lo, s0
	s_cbranch_execz .LBB9_252
; %bb.247:
	s_mov_b32 s1, exec_lo
	v_cmpx_ge_u32_e64 v27, v12
	s_wait_alu 0xfffe
	s_xor_b32 s1, exec_lo, s1
	s_cbranch_execz .LBB9_249
; %bb.248:
	v_lshlrev_b32_e32 v13, 2, v0
	ds_load_b32 v15, v13 offset:12288
	v_add_co_u32 v13, vcc_lo, v3, v0
	s_wait_alu 0xfffd
	v_add_co_ci_u32_e64 v14, null, 0, v11, vcc_lo
	s_delay_alu instid0(VALU_DEP_1) | instskip(NEXT) | instid1(VALU_DEP_1)
	v_lshlrev_b64_e32 v[13:14], 2, v[13:14]
	v_sub_co_u32 v13, vcc_lo, s26, v13
	s_wait_alu 0xfffd
	s_delay_alu instid0(VALU_DEP_2)
	v_sub_co_ci_u32_e64 v14, null, s27, v14, vcc_lo
	s_wait_dscnt 0x0
	global_store_b32 v[13:14], v15, off offset:-12292
.LBB9_249:
	s_wait_alu 0xfffe
	s_and_not1_saveexec_b32 s1, s1
	s_cbranch_execz .LBB9_251
; %bb.250:
	v_lshlrev_b32_e32 v13, 2, v0
	v_readfirstlane_b32 s2, v7
	v_readfirstlane_b32 s3, v8
	ds_load_b32 v14, v13 offset:12288
	s_wait_dscnt 0x0
	global_store_b32 v13, v14, s[2:3] offset:12288
.LBB9_251:
	s_wait_alu 0xfffe
	s_or_b32 exec_lo, exec_lo, s1
.LBB9_252:
	s_wait_alu 0xfffe
	s_and_not1_saveexec_b32 s0, s0
	s_cbranch_execz .LBB9_254
; %bb.253:
	v_lshlrev_b32_e32 v13, 2, v0
	v_readfirstlane_b32 s2, v9
	v_readfirstlane_b32 s3, v10
	ds_load_b32 v14, v13 offset:12288
	s_wait_dscnt 0x0
	global_store_b32 v13, v14, s[2:3] offset:12288
.LBB9_254:
	s_wait_alu 0xfffe
	s_or_b32 exec_lo, exec_lo, s0
	s_branch .LBB9_148
.LBB9_255:
	s_mov_b32 s0, exec_lo
	v_cmpx_gt_u32_e64 s33, v0
	s_cbranch_execz .LBB9_264
; %bb.256:
	s_mov_b32 s1, exec_lo
	v_cmpx_ge_u32_e64 v0, v1
	s_wait_alu 0xfffe
	s_xor_b32 s1, exec_lo, s1
	s_cbranch_execz .LBB9_262
; %bb.257:
	s_mov_b32 s2, exec_lo
	v_cmpx_ge_u32_e64 v0, v12
	s_wait_alu 0xfffe
	s_xor_b32 s2, exec_lo, s2
	s_cbranch_execz .LBB9_259
; %bb.258:
	v_lshlrev_b32_e32 v13, 2, v0
	ds_load_b32 v15, v13
	v_add_co_u32 v13, vcc_lo, v3, v0
	s_wait_alu 0xfffd
	v_add_co_ci_u32_e64 v14, null, 0, v11, vcc_lo
	s_delay_alu instid0(VALU_DEP_1) | instskip(NEXT) | instid1(VALU_DEP_1)
	v_lshlrev_b64_e32 v[13:14], 2, v[13:14]
	v_sub_co_u32 v13, vcc_lo, s26, v13
	s_wait_alu 0xfffd
	s_delay_alu instid0(VALU_DEP_2)
	v_sub_co_ci_u32_e64 v14, null, s27, v14, vcc_lo
	s_wait_dscnt 0x0
	global_store_b32 v[13:14], v15, off offset:-4
.LBB9_259:
	s_wait_alu 0xfffe
	s_and_not1_saveexec_b32 s2, s2
	s_cbranch_execz .LBB9_261
; %bb.260:
	v_lshlrev_b32_e32 v13, 2, v0
	v_readfirstlane_b32 s4, v7
	v_readfirstlane_b32 s5, v8
	ds_load_b32 v14, v13
	s_wait_dscnt 0x0
	global_store_b32 v13, v14, s[4:5]
.LBB9_261:
	s_wait_alu 0xfffe
	s_or_b32 exec_lo, exec_lo, s2
.LBB9_262:
	s_wait_alu 0xfffe
	s_and_not1_saveexec_b32 s1, s1
	s_cbranch_execz .LBB9_264
; %bb.263:
	v_lshlrev_b32_e32 v13, 2, v0
	v_readfirstlane_b32 s2, v9
	v_readfirstlane_b32 s3, v10
	ds_load_b32 v14, v13
	s_wait_dscnt 0x0
	global_store_b32 v13, v14, s[2:3]
.LBB9_264:
	s_wait_alu 0xfffe
	s_or_b32 exec_lo, exec_lo, s0
	s_delay_alu instid0(SALU_CYCLE_1)
	s_mov_b32 s0, exec_lo
	v_cmpx_gt_u32_e64 s33, v38
	s_cbranch_execz .LBB9_273
; %bb.265:
	s_mov_b32 s1, exec_lo
	v_cmpx_ge_u32_e64 v38, v1
	s_wait_alu 0xfffe
	s_xor_b32 s1, exec_lo, s1
	s_cbranch_execz .LBB9_271
; %bb.266:
	s_mov_b32 s2, exec_lo
	v_cmpx_ge_u32_e64 v38, v12
	s_wait_alu 0xfffe
	s_xor_b32 s2, exec_lo, s2
	s_cbranch_execz .LBB9_268
; %bb.267:
	v_lshlrev_b32_e32 v13, 2, v0
	ds_load_b32 v15, v13 offset:1024
	v_add_co_u32 v13, vcc_lo, v3, v0
	s_wait_alu 0xfffd
	v_add_co_ci_u32_e64 v14, null, 0, v11, vcc_lo
	s_delay_alu instid0(VALU_DEP_1) | instskip(NEXT) | instid1(VALU_DEP_1)
	v_lshlrev_b64_e32 v[13:14], 2, v[13:14]
	v_sub_co_u32 v13, vcc_lo, s26, v13
	s_wait_alu 0xfffd
	s_delay_alu instid0(VALU_DEP_2)
	v_sub_co_ci_u32_e64 v14, null, s27, v14, vcc_lo
	s_wait_dscnt 0x0
	global_store_b32 v[13:14], v15, off offset:-1028
.LBB9_268:
	s_wait_alu 0xfffe
	s_and_not1_saveexec_b32 s2, s2
	s_cbranch_execz .LBB9_270
; %bb.269:
	v_lshlrev_b32_e32 v13, 2, v0
	v_readfirstlane_b32 s4, v7
	v_readfirstlane_b32 s5, v8
	ds_load_b32 v14, v13 offset:1024
	s_wait_dscnt 0x0
	global_store_b32 v13, v14, s[4:5] offset:1024
.LBB9_270:
	s_wait_alu 0xfffe
	s_or_b32 exec_lo, exec_lo, s2
.LBB9_271:
	s_wait_alu 0xfffe
	s_and_not1_saveexec_b32 s1, s1
	s_cbranch_execz .LBB9_273
; %bb.272:
	v_lshlrev_b32_e32 v13, 2, v0
	v_readfirstlane_b32 s2, v9
	v_readfirstlane_b32 s3, v10
	ds_load_b32 v14, v13 offset:1024
	s_wait_dscnt 0x0
	global_store_b32 v13, v14, s[2:3] offset:1024
.LBB9_273:
	s_wait_alu 0xfffe
	s_or_b32 exec_lo, exec_lo, s0
	s_delay_alu instid0(SALU_CYCLE_1)
	s_mov_b32 s0, exec_lo
	v_cmpx_gt_u32_e64 s33, v37
	s_cbranch_execz .LBB9_282
; %bb.274:
	s_mov_b32 s1, exec_lo
	v_cmpx_ge_u32_e64 v37, v1
	s_wait_alu 0xfffe
	s_xor_b32 s1, exec_lo, s1
	s_cbranch_execz .LBB9_280
; %bb.275:
	s_mov_b32 s2, exec_lo
	v_cmpx_ge_u32_e64 v37, v12
	s_wait_alu 0xfffe
	s_xor_b32 s2, exec_lo, s2
	s_cbranch_execz .LBB9_277
; %bb.276:
	v_lshlrev_b32_e32 v13, 2, v0
	ds_load_b32 v15, v13 offset:2048
	v_add_co_u32 v13, vcc_lo, v3, v0
	s_wait_alu 0xfffd
	v_add_co_ci_u32_e64 v14, null, 0, v11, vcc_lo
	s_delay_alu instid0(VALU_DEP_1) | instskip(NEXT) | instid1(VALU_DEP_1)
	v_lshlrev_b64_e32 v[13:14], 2, v[13:14]
	v_sub_co_u32 v13, vcc_lo, s26, v13
	s_wait_alu 0xfffd
	s_delay_alu instid0(VALU_DEP_2)
	v_sub_co_ci_u32_e64 v14, null, s27, v14, vcc_lo
	s_wait_dscnt 0x0
	global_store_b32 v[13:14], v15, off offset:-2052
.LBB9_277:
	s_wait_alu 0xfffe
	s_and_not1_saveexec_b32 s2, s2
	s_cbranch_execz .LBB9_279
; %bb.278:
	v_lshlrev_b32_e32 v13, 2, v0
	v_readfirstlane_b32 s4, v7
	v_readfirstlane_b32 s5, v8
	ds_load_b32 v14, v13 offset:2048
	s_wait_dscnt 0x0
	global_store_b32 v13, v14, s[4:5] offset:2048
.LBB9_279:
	s_wait_alu 0xfffe
	s_or_b32 exec_lo, exec_lo, s2
.LBB9_280:
	s_wait_alu 0xfffe
	s_and_not1_saveexec_b32 s1, s1
	s_cbranch_execz .LBB9_282
; %bb.281:
	v_lshlrev_b32_e32 v13, 2, v0
	v_readfirstlane_b32 s2, v9
	v_readfirstlane_b32 s3, v10
	ds_load_b32 v14, v13 offset:2048
	s_wait_dscnt 0x0
	global_store_b32 v13, v14, s[2:3] offset:2048
.LBB9_282:
	s_wait_alu 0xfffe
	s_or_b32 exec_lo, exec_lo, s0
	s_delay_alu instid0(SALU_CYCLE_1)
	s_mov_b32 s0, exec_lo
	v_cmpx_gt_u32_e64 s33, v36
	s_cbranch_execz .LBB9_291
; %bb.283:
	s_mov_b32 s1, exec_lo
	v_cmpx_ge_u32_e64 v36, v1
	s_wait_alu 0xfffe
	s_xor_b32 s1, exec_lo, s1
	s_cbranch_execz .LBB9_289
; %bb.284:
	s_mov_b32 s2, exec_lo
	v_cmpx_ge_u32_e64 v36, v12
	s_wait_alu 0xfffe
	s_xor_b32 s2, exec_lo, s2
	s_cbranch_execz .LBB9_286
; %bb.285:
	v_lshlrev_b32_e32 v13, 2, v0
	ds_load_b32 v15, v13 offset:3072
	v_add_co_u32 v13, vcc_lo, v3, v0
	s_wait_alu 0xfffd
	v_add_co_ci_u32_e64 v14, null, 0, v11, vcc_lo
	s_delay_alu instid0(VALU_DEP_1) | instskip(NEXT) | instid1(VALU_DEP_1)
	v_lshlrev_b64_e32 v[13:14], 2, v[13:14]
	v_sub_co_u32 v13, vcc_lo, s26, v13
	s_wait_alu 0xfffd
	s_delay_alu instid0(VALU_DEP_2)
	v_sub_co_ci_u32_e64 v14, null, s27, v14, vcc_lo
	s_wait_dscnt 0x0
	global_store_b32 v[13:14], v15, off offset:-3076
.LBB9_286:
	s_wait_alu 0xfffe
	s_and_not1_saveexec_b32 s2, s2
	s_cbranch_execz .LBB9_288
; %bb.287:
	v_lshlrev_b32_e32 v13, 2, v0
	v_readfirstlane_b32 s4, v7
	v_readfirstlane_b32 s5, v8
	ds_load_b32 v14, v13 offset:3072
	s_wait_dscnt 0x0
	global_store_b32 v13, v14, s[4:5] offset:3072
.LBB9_288:
	s_wait_alu 0xfffe
	s_or_b32 exec_lo, exec_lo, s2
.LBB9_289:
	s_wait_alu 0xfffe
	s_and_not1_saveexec_b32 s1, s1
	s_cbranch_execz .LBB9_291
; %bb.290:
	v_lshlrev_b32_e32 v13, 2, v0
	v_readfirstlane_b32 s2, v9
	v_readfirstlane_b32 s3, v10
	ds_load_b32 v14, v13 offset:3072
	s_wait_dscnt 0x0
	global_store_b32 v13, v14, s[2:3] offset:3072
.LBB9_291:
	s_wait_alu 0xfffe
	s_or_b32 exec_lo, exec_lo, s0
	s_delay_alu instid0(SALU_CYCLE_1)
	s_mov_b32 s0, exec_lo
	v_cmpx_gt_u32_e64 s33, v35
	s_cbranch_execz .LBB9_300
; %bb.292:
	s_mov_b32 s1, exec_lo
	v_cmpx_ge_u32_e64 v35, v1
	s_wait_alu 0xfffe
	s_xor_b32 s1, exec_lo, s1
	s_cbranch_execz .LBB9_298
; %bb.293:
	s_mov_b32 s2, exec_lo
	v_cmpx_ge_u32_e64 v35, v12
	s_wait_alu 0xfffe
	s_xor_b32 s2, exec_lo, s2
	s_cbranch_execz .LBB9_295
; %bb.294:
	v_lshlrev_b32_e32 v13, 2, v0
	ds_load_b32 v15, v13 offset:4096
	v_add_co_u32 v13, vcc_lo, v3, v0
	s_wait_alu 0xfffd
	v_add_co_ci_u32_e64 v14, null, 0, v11, vcc_lo
	s_delay_alu instid0(VALU_DEP_1) | instskip(NEXT) | instid1(VALU_DEP_1)
	v_lshlrev_b64_e32 v[13:14], 2, v[13:14]
	v_sub_co_u32 v13, vcc_lo, s26, v13
	s_wait_alu 0xfffd
	s_delay_alu instid0(VALU_DEP_2)
	v_sub_co_ci_u32_e64 v14, null, s27, v14, vcc_lo
	s_wait_dscnt 0x0
	global_store_b32 v[13:14], v15, off offset:-4100
.LBB9_295:
	s_wait_alu 0xfffe
	s_and_not1_saveexec_b32 s2, s2
	s_cbranch_execz .LBB9_297
; %bb.296:
	v_lshlrev_b32_e32 v13, 2, v0
	v_readfirstlane_b32 s4, v7
	v_readfirstlane_b32 s5, v8
	ds_load_b32 v14, v13 offset:4096
	s_wait_dscnt 0x0
	global_store_b32 v13, v14, s[4:5] offset:4096
.LBB9_297:
	s_wait_alu 0xfffe
	s_or_b32 exec_lo, exec_lo, s2
.LBB9_298:
	s_wait_alu 0xfffe
	s_and_not1_saveexec_b32 s1, s1
	s_cbranch_execz .LBB9_300
; %bb.299:
	v_lshlrev_b32_e32 v13, 2, v0
	v_readfirstlane_b32 s2, v9
	v_readfirstlane_b32 s3, v10
	ds_load_b32 v14, v13 offset:4096
	s_wait_dscnt 0x0
	global_store_b32 v13, v14, s[2:3] offset:4096
.LBB9_300:
	s_wait_alu 0xfffe
	s_or_b32 exec_lo, exec_lo, s0
	s_delay_alu instid0(SALU_CYCLE_1)
	s_mov_b32 s0, exec_lo
	v_cmpx_gt_u32_e64 s33, v34
	s_cbranch_execz .LBB9_309
; %bb.301:
	s_mov_b32 s1, exec_lo
	v_cmpx_ge_u32_e64 v34, v1
	s_wait_alu 0xfffe
	s_xor_b32 s1, exec_lo, s1
	s_cbranch_execz .LBB9_307
; %bb.302:
	s_mov_b32 s2, exec_lo
	v_cmpx_ge_u32_e64 v34, v12
	s_wait_alu 0xfffe
	s_xor_b32 s2, exec_lo, s2
	s_cbranch_execz .LBB9_304
; %bb.303:
	v_lshlrev_b32_e32 v13, 2, v0
	ds_load_b32 v15, v13 offset:5120
	v_add_co_u32 v13, vcc_lo, v3, v0
	s_wait_alu 0xfffd
	v_add_co_ci_u32_e64 v14, null, 0, v11, vcc_lo
	s_delay_alu instid0(VALU_DEP_1) | instskip(NEXT) | instid1(VALU_DEP_1)
	v_lshlrev_b64_e32 v[13:14], 2, v[13:14]
	v_sub_co_u32 v13, vcc_lo, s26, v13
	s_wait_alu 0xfffd
	s_delay_alu instid0(VALU_DEP_2)
	v_sub_co_ci_u32_e64 v14, null, s27, v14, vcc_lo
	s_wait_dscnt 0x0
	global_store_b32 v[13:14], v15, off offset:-5124
.LBB9_304:
	s_wait_alu 0xfffe
	s_and_not1_saveexec_b32 s2, s2
	s_cbranch_execz .LBB9_306
; %bb.305:
	v_lshlrev_b32_e32 v13, 2, v0
	v_readfirstlane_b32 s4, v7
	v_readfirstlane_b32 s5, v8
	ds_load_b32 v14, v13 offset:5120
	s_wait_dscnt 0x0
	global_store_b32 v13, v14, s[4:5] offset:5120
.LBB9_306:
	s_wait_alu 0xfffe
	s_or_b32 exec_lo, exec_lo, s2
.LBB9_307:
	s_wait_alu 0xfffe
	s_and_not1_saveexec_b32 s1, s1
	s_cbranch_execz .LBB9_309
; %bb.308:
	v_lshlrev_b32_e32 v13, 2, v0
	v_readfirstlane_b32 s2, v9
	v_readfirstlane_b32 s3, v10
	ds_load_b32 v14, v13 offset:5120
	s_wait_dscnt 0x0
	global_store_b32 v13, v14, s[2:3] offset:5120
.LBB9_309:
	s_wait_alu 0xfffe
	s_or_b32 exec_lo, exec_lo, s0
	s_delay_alu instid0(SALU_CYCLE_1)
	s_mov_b32 s0, exec_lo
	v_cmpx_gt_u32_e64 s33, v33
	s_cbranch_execz .LBB9_318
; %bb.310:
	s_mov_b32 s1, exec_lo
	v_cmpx_ge_u32_e64 v33, v1
	s_wait_alu 0xfffe
	s_xor_b32 s1, exec_lo, s1
	s_cbranch_execz .LBB9_316
; %bb.311:
	s_mov_b32 s2, exec_lo
	v_cmpx_ge_u32_e64 v33, v12
	s_wait_alu 0xfffe
	s_xor_b32 s2, exec_lo, s2
	s_cbranch_execz .LBB9_313
; %bb.312:
	v_lshlrev_b32_e32 v13, 2, v0
	ds_load_b32 v15, v13 offset:6144
	v_add_co_u32 v13, vcc_lo, v3, v0
	s_wait_alu 0xfffd
	v_add_co_ci_u32_e64 v14, null, 0, v11, vcc_lo
	s_delay_alu instid0(VALU_DEP_1) | instskip(NEXT) | instid1(VALU_DEP_1)
	v_lshlrev_b64_e32 v[13:14], 2, v[13:14]
	v_sub_co_u32 v13, vcc_lo, s26, v13
	s_wait_alu 0xfffd
	s_delay_alu instid0(VALU_DEP_2)
	v_sub_co_ci_u32_e64 v14, null, s27, v14, vcc_lo
	s_wait_dscnt 0x0
	global_store_b32 v[13:14], v15, off offset:-6148
.LBB9_313:
	s_wait_alu 0xfffe
	s_and_not1_saveexec_b32 s2, s2
	s_cbranch_execz .LBB9_315
; %bb.314:
	v_lshlrev_b32_e32 v13, 2, v0
	v_readfirstlane_b32 s4, v7
	v_readfirstlane_b32 s5, v8
	ds_load_b32 v14, v13 offset:6144
	s_wait_dscnt 0x0
	global_store_b32 v13, v14, s[4:5] offset:6144
.LBB9_315:
	s_wait_alu 0xfffe
	s_or_b32 exec_lo, exec_lo, s2
.LBB9_316:
	s_wait_alu 0xfffe
	s_and_not1_saveexec_b32 s1, s1
	s_cbranch_execz .LBB9_318
; %bb.317:
	v_lshlrev_b32_e32 v13, 2, v0
	v_readfirstlane_b32 s2, v9
	v_readfirstlane_b32 s3, v10
	ds_load_b32 v14, v13 offset:6144
	s_wait_dscnt 0x0
	global_store_b32 v13, v14, s[2:3] offset:6144
.LBB9_318:
	s_wait_alu 0xfffe
	s_or_b32 exec_lo, exec_lo, s0
	s_delay_alu instid0(SALU_CYCLE_1)
	s_mov_b32 s0, exec_lo
	v_cmpx_gt_u32_e64 s33, v32
	s_cbranch_execz .LBB9_327
; %bb.319:
	s_mov_b32 s1, exec_lo
	v_cmpx_ge_u32_e64 v32, v1
	s_wait_alu 0xfffe
	s_xor_b32 s1, exec_lo, s1
	s_cbranch_execz .LBB9_325
; %bb.320:
	s_mov_b32 s2, exec_lo
	v_cmpx_ge_u32_e64 v32, v12
	s_wait_alu 0xfffe
	s_xor_b32 s2, exec_lo, s2
	s_cbranch_execz .LBB9_322
; %bb.321:
	v_lshlrev_b32_e32 v13, 2, v0
	ds_load_b32 v15, v13 offset:7168
	v_add_co_u32 v13, vcc_lo, v3, v0
	s_wait_alu 0xfffd
	v_add_co_ci_u32_e64 v14, null, 0, v11, vcc_lo
	s_delay_alu instid0(VALU_DEP_1) | instskip(NEXT) | instid1(VALU_DEP_1)
	v_lshlrev_b64_e32 v[13:14], 2, v[13:14]
	v_sub_co_u32 v13, vcc_lo, s26, v13
	s_wait_alu 0xfffd
	s_delay_alu instid0(VALU_DEP_2)
	v_sub_co_ci_u32_e64 v14, null, s27, v14, vcc_lo
	s_wait_dscnt 0x0
	global_store_b32 v[13:14], v15, off offset:-7172
.LBB9_322:
	s_wait_alu 0xfffe
	s_and_not1_saveexec_b32 s2, s2
	s_cbranch_execz .LBB9_324
; %bb.323:
	v_lshlrev_b32_e32 v13, 2, v0
	v_readfirstlane_b32 s4, v7
	v_readfirstlane_b32 s5, v8
	ds_load_b32 v14, v13 offset:7168
	s_wait_dscnt 0x0
	global_store_b32 v13, v14, s[4:5] offset:7168
.LBB9_324:
	s_wait_alu 0xfffe
	s_or_b32 exec_lo, exec_lo, s2
.LBB9_325:
	s_wait_alu 0xfffe
	s_and_not1_saveexec_b32 s1, s1
	s_cbranch_execz .LBB9_327
; %bb.326:
	v_lshlrev_b32_e32 v13, 2, v0
	v_readfirstlane_b32 s2, v9
	v_readfirstlane_b32 s3, v10
	ds_load_b32 v14, v13 offset:7168
	s_wait_dscnt 0x0
	global_store_b32 v13, v14, s[2:3] offset:7168
.LBB9_327:
	s_wait_alu 0xfffe
	s_or_b32 exec_lo, exec_lo, s0
	s_delay_alu instid0(SALU_CYCLE_1)
	s_mov_b32 s0, exec_lo
	v_cmpx_gt_u32_e64 s33, v31
	s_cbranch_execz .LBB9_336
; %bb.328:
	s_mov_b32 s1, exec_lo
	v_cmpx_ge_u32_e64 v31, v1
	s_wait_alu 0xfffe
	s_xor_b32 s1, exec_lo, s1
	s_cbranch_execz .LBB9_334
; %bb.329:
	s_mov_b32 s2, exec_lo
	v_cmpx_ge_u32_e64 v31, v12
	s_wait_alu 0xfffe
	s_xor_b32 s2, exec_lo, s2
	s_cbranch_execz .LBB9_331
; %bb.330:
	v_lshlrev_b32_e32 v13, 2, v0
	ds_load_b32 v15, v13 offset:8192
	v_add_co_u32 v13, vcc_lo, v3, v0
	s_wait_alu 0xfffd
	v_add_co_ci_u32_e64 v14, null, 0, v11, vcc_lo
	s_delay_alu instid0(VALU_DEP_1) | instskip(NEXT) | instid1(VALU_DEP_1)
	v_lshlrev_b64_e32 v[13:14], 2, v[13:14]
	v_sub_co_u32 v13, vcc_lo, s26, v13
	s_wait_alu 0xfffd
	s_delay_alu instid0(VALU_DEP_2)
	v_sub_co_ci_u32_e64 v14, null, s27, v14, vcc_lo
	s_wait_dscnt 0x0
	global_store_b32 v[13:14], v15, off offset:-8196
.LBB9_331:
	s_wait_alu 0xfffe
	s_and_not1_saveexec_b32 s2, s2
	s_cbranch_execz .LBB9_333
; %bb.332:
	v_lshlrev_b32_e32 v13, 2, v0
	v_readfirstlane_b32 s4, v7
	v_readfirstlane_b32 s5, v8
	ds_load_b32 v14, v13 offset:8192
	s_wait_dscnt 0x0
	global_store_b32 v13, v14, s[4:5] offset:8192
.LBB9_333:
	s_wait_alu 0xfffe
	s_or_b32 exec_lo, exec_lo, s2
.LBB9_334:
	s_wait_alu 0xfffe
	s_and_not1_saveexec_b32 s1, s1
	s_cbranch_execz .LBB9_336
; %bb.335:
	v_lshlrev_b32_e32 v13, 2, v0
	v_readfirstlane_b32 s2, v9
	v_readfirstlane_b32 s3, v10
	ds_load_b32 v14, v13 offset:8192
	s_wait_dscnt 0x0
	global_store_b32 v13, v14, s[2:3] offset:8192
.LBB9_336:
	s_wait_alu 0xfffe
	s_or_b32 exec_lo, exec_lo, s0
	s_delay_alu instid0(SALU_CYCLE_1)
	s_mov_b32 s0, exec_lo
	v_cmpx_gt_u32_e64 s33, v30
	s_cbranch_execz .LBB9_345
; %bb.337:
	s_mov_b32 s1, exec_lo
	v_cmpx_ge_u32_e64 v30, v1
	s_wait_alu 0xfffe
	s_xor_b32 s1, exec_lo, s1
	s_cbranch_execz .LBB9_343
; %bb.338:
	s_mov_b32 s2, exec_lo
	v_cmpx_ge_u32_e64 v30, v12
	s_wait_alu 0xfffe
	s_xor_b32 s2, exec_lo, s2
	s_cbranch_execz .LBB9_340
; %bb.339:
	v_lshlrev_b32_e32 v13, 2, v0
	ds_load_b32 v15, v13 offset:9216
	v_add_co_u32 v13, vcc_lo, v3, v0
	s_wait_alu 0xfffd
	v_add_co_ci_u32_e64 v14, null, 0, v11, vcc_lo
	s_delay_alu instid0(VALU_DEP_1) | instskip(NEXT) | instid1(VALU_DEP_1)
	v_lshlrev_b64_e32 v[13:14], 2, v[13:14]
	v_sub_co_u32 v13, vcc_lo, s26, v13
	s_wait_alu 0xfffd
	s_delay_alu instid0(VALU_DEP_2)
	v_sub_co_ci_u32_e64 v14, null, s27, v14, vcc_lo
	s_wait_dscnt 0x0
	global_store_b32 v[13:14], v15, off offset:-9220
.LBB9_340:
	s_wait_alu 0xfffe
	s_and_not1_saveexec_b32 s2, s2
	s_cbranch_execz .LBB9_342
; %bb.341:
	v_lshlrev_b32_e32 v13, 2, v0
	v_readfirstlane_b32 s4, v7
	v_readfirstlane_b32 s5, v8
	ds_load_b32 v14, v13 offset:9216
	s_wait_dscnt 0x0
	global_store_b32 v13, v14, s[4:5] offset:9216
.LBB9_342:
	s_wait_alu 0xfffe
	s_or_b32 exec_lo, exec_lo, s2
.LBB9_343:
	s_wait_alu 0xfffe
	s_and_not1_saveexec_b32 s1, s1
	s_cbranch_execz .LBB9_345
; %bb.344:
	v_lshlrev_b32_e32 v13, 2, v0
	v_readfirstlane_b32 s2, v9
	v_readfirstlane_b32 s3, v10
	ds_load_b32 v14, v13 offset:9216
	s_wait_dscnt 0x0
	global_store_b32 v13, v14, s[2:3] offset:9216
.LBB9_345:
	s_wait_alu 0xfffe
	s_or_b32 exec_lo, exec_lo, s0
	s_delay_alu instid0(SALU_CYCLE_1)
	s_mov_b32 s0, exec_lo
	v_cmpx_gt_u32_e64 s33, v29
	s_cbranch_execz .LBB9_354
; %bb.346:
	s_mov_b32 s1, exec_lo
	v_cmpx_ge_u32_e64 v29, v1
	s_wait_alu 0xfffe
	s_xor_b32 s1, exec_lo, s1
	s_cbranch_execz .LBB9_352
; %bb.347:
	s_mov_b32 s2, exec_lo
	v_cmpx_ge_u32_e64 v29, v12
	s_wait_alu 0xfffe
	s_xor_b32 s2, exec_lo, s2
	s_cbranch_execz .LBB9_349
; %bb.348:
	v_lshlrev_b32_e32 v13, 2, v0
	ds_load_b32 v15, v13 offset:10240
	v_add_co_u32 v13, vcc_lo, v3, v0
	s_wait_alu 0xfffd
	v_add_co_ci_u32_e64 v14, null, 0, v11, vcc_lo
	s_delay_alu instid0(VALU_DEP_1) | instskip(NEXT) | instid1(VALU_DEP_1)
	v_lshlrev_b64_e32 v[13:14], 2, v[13:14]
	v_sub_co_u32 v13, vcc_lo, s26, v13
	s_wait_alu 0xfffd
	s_delay_alu instid0(VALU_DEP_2)
	v_sub_co_ci_u32_e64 v14, null, s27, v14, vcc_lo
	s_wait_dscnt 0x0
	global_store_b32 v[13:14], v15, off offset:-10244
.LBB9_349:
	s_wait_alu 0xfffe
	s_and_not1_saveexec_b32 s2, s2
	s_cbranch_execz .LBB9_351
; %bb.350:
	v_lshlrev_b32_e32 v13, 2, v0
	v_readfirstlane_b32 s4, v7
	v_readfirstlane_b32 s5, v8
	ds_load_b32 v14, v13 offset:10240
	s_wait_dscnt 0x0
	global_store_b32 v13, v14, s[4:5] offset:10240
.LBB9_351:
	s_wait_alu 0xfffe
	s_or_b32 exec_lo, exec_lo, s2
.LBB9_352:
	s_wait_alu 0xfffe
	s_and_not1_saveexec_b32 s1, s1
	s_cbranch_execz .LBB9_354
; %bb.353:
	v_lshlrev_b32_e32 v13, 2, v0
	v_readfirstlane_b32 s2, v9
	v_readfirstlane_b32 s3, v10
	ds_load_b32 v14, v13 offset:10240
	s_wait_dscnt 0x0
	global_store_b32 v13, v14, s[2:3] offset:10240
.LBB9_354:
	s_wait_alu 0xfffe
	s_or_b32 exec_lo, exec_lo, s0
	s_delay_alu instid0(SALU_CYCLE_1)
	s_mov_b32 s0, exec_lo
	v_cmpx_gt_u32_e64 s33, v28
	s_cbranch_execz .LBB9_363
; %bb.355:
	s_mov_b32 s1, exec_lo
	v_cmpx_ge_u32_e64 v28, v1
	s_wait_alu 0xfffe
	s_xor_b32 s1, exec_lo, s1
	s_cbranch_execz .LBB9_361
; %bb.356:
	s_mov_b32 s2, exec_lo
	v_cmpx_ge_u32_e64 v28, v12
	s_wait_alu 0xfffe
	s_xor_b32 s2, exec_lo, s2
	s_cbranch_execz .LBB9_358
; %bb.357:
	v_lshlrev_b32_e32 v13, 2, v0
	ds_load_b32 v15, v13 offset:11264
	v_add_co_u32 v13, vcc_lo, v3, v0
	s_wait_alu 0xfffd
	v_add_co_ci_u32_e64 v14, null, 0, v11, vcc_lo
	s_delay_alu instid0(VALU_DEP_1) | instskip(NEXT) | instid1(VALU_DEP_1)
	v_lshlrev_b64_e32 v[13:14], 2, v[13:14]
	v_sub_co_u32 v13, vcc_lo, s26, v13
	s_wait_alu 0xfffd
	s_delay_alu instid0(VALU_DEP_2)
	v_sub_co_ci_u32_e64 v14, null, s27, v14, vcc_lo
	s_wait_dscnt 0x0
	global_store_b32 v[13:14], v15, off offset:-11268
.LBB9_358:
	s_wait_alu 0xfffe
	s_and_not1_saveexec_b32 s2, s2
	s_cbranch_execz .LBB9_360
; %bb.359:
	v_lshlrev_b32_e32 v13, 2, v0
	v_readfirstlane_b32 s4, v7
	v_readfirstlane_b32 s5, v8
	ds_load_b32 v14, v13 offset:11264
	s_wait_dscnt 0x0
	global_store_b32 v13, v14, s[4:5] offset:11264
.LBB9_360:
	s_wait_alu 0xfffe
	s_or_b32 exec_lo, exec_lo, s2
.LBB9_361:
	s_wait_alu 0xfffe
	s_and_not1_saveexec_b32 s1, s1
	s_cbranch_execz .LBB9_363
; %bb.362:
	v_lshlrev_b32_e32 v13, 2, v0
	v_readfirstlane_b32 s2, v9
	v_readfirstlane_b32 s3, v10
	ds_load_b32 v14, v13 offset:11264
	s_wait_dscnt 0x0
	global_store_b32 v13, v14, s[2:3] offset:11264
.LBB9_363:
	s_wait_alu 0xfffe
	s_or_b32 exec_lo, exec_lo, s0
	s_delay_alu instid0(SALU_CYCLE_1)
	s_mov_b32 s0, exec_lo
	v_cmpx_gt_u32_e64 s33, v27
	s_cbranch_execz .LBB9_372
; %bb.364:
	s_mov_b32 s1, exec_lo
	v_cmpx_ge_u32_e64 v27, v1
	s_wait_alu 0xfffe
	s_xor_b32 s1, exec_lo, s1
	s_cbranch_execz .LBB9_370
; %bb.365:
	s_mov_b32 s2, exec_lo
	v_cmpx_ge_u32_e64 v27, v12
	s_wait_alu 0xfffe
	s_xor_b32 s2, exec_lo, s2
	s_cbranch_execz .LBB9_367
; %bb.366:
	v_lshlrev_b32_e32 v7, 2, v0
	ds_load_b32 v9, v7 offset:12288
	v_add_co_u32 v7, vcc_lo, v3, v0
	s_wait_alu 0xfffd
	v_add_co_ci_u32_e64 v8, null, 0, v11, vcc_lo
	s_delay_alu instid0(VALU_DEP_1) | instskip(NEXT) | instid1(VALU_DEP_1)
	v_lshlrev_b64_e32 v[7:8], 2, v[7:8]
	v_sub_co_u32 v7, vcc_lo, s26, v7
	s_wait_alu 0xfffd
	s_delay_alu instid0(VALU_DEP_2)
	v_sub_co_ci_u32_e64 v8, null, s27, v8, vcc_lo
	s_wait_dscnt 0x0
	global_store_b32 v[7:8], v9, off offset:-12292
                                        ; implicit-def: $vgpr7_vgpr8
.LBB9_367:
	s_wait_alu 0xfffe
	s_and_not1_saveexec_b32 s2, s2
	s_cbranch_execz .LBB9_369
; %bb.368:
	v_lshlrev_b32_e32 v3, 2, v0
	v_readfirstlane_b32 s4, v7
	v_readfirstlane_b32 s5, v8
	ds_load_b32 v9, v3 offset:12288
	s_wait_dscnt 0x0
	global_store_b32 v3, v9, s[4:5] offset:12288
.LBB9_369:
	s_wait_alu 0xfffe
	s_or_b32 exec_lo, exec_lo, s2
                                        ; implicit-def: $vgpr9_vgpr10
.LBB9_370:
	s_wait_alu 0xfffe
	s_and_not1_saveexec_b32 s1, s1
	s_cbranch_execz .LBB9_372
; %bb.371:
	v_lshlrev_b32_e32 v3, 2, v0
	v_readfirstlane_b32 s2, v9
	v_readfirstlane_b32 s3, v10
	ds_load_b32 v7, v3 offset:12288
	s_wait_dscnt 0x0
	global_store_b32 v3, v7, s[2:3] offset:12288
.LBB9_372:
	s_wait_alu 0xfffe
	s_or_b32 exec_lo, exec_lo, s0
	v_cmp_eq_u32_e32 vcc_lo, 0, v0
	s_and_b32 s0, vcc_lo, s15
	s_wait_alu 0xfffe
	s_and_saveexec_b32 s1, s0
	s_cbranch_execz .LBB9_149
.LBB9_373:
	v_add_co_u32 v0, s0, s30, v2
	s_wait_alu 0xf1ff
	v_add_co_ci_u32_e64 v3, null, s31, 0, s0
	v_mov_b32_e32 v7, 0
	s_delay_alu instid0(VALU_DEP_3) | instskip(SKIP_1) | instid1(VALU_DEP_3)
	v_add_co_u32 v2, vcc_lo, v0, v4
	s_wait_alu 0xfffd
	v_add_co_ci_u32_e64 v3, null, 0, v3, vcc_lo
	v_add_co_u32 v0, vcc_lo, v5, v1
	s_wait_alu 0xfffd
	v_add_co_ci_u32_e64 v1, null, 0, v6, vcc_lo
	global_store_b128 v7, v[0:3], s[24:25]
	s_endpgm
.LBB9_374:
	s_add_co_i32 s8, ttmp9, 32
	s_mov_b32 s9, 0
	v_dual_mov_b32 v7, 2 :: v_dual_add_nc_u32 v6, v4, v2
	s_wait_alu 0xfffe
	s_lshl_b64 s[8:9], s[8:9], 4
	v_dual_mov_b32 v8, 0 :: v_dual_add_nc_u32 v5, v3, v1
	s_wait_alu 0xfffe
	s_add_nc_u64 s[8:9], s[4:5], s[8:9]
	s_wait_alu 0xfffe
	v_dual_mov_b32 v24, s9 :: v_dual_mov_b32 v23, s8
	;;#ASMSTART
	global_store_b128 v[23:24], v[5:8] off scope:SCOPE_DEV	
s_wait_storecnt 0x0
	;;#ASMEND
	s_or_b32 exec_lo, exec_lo, s6
	s_and_saveexec_b32 s6, s2
	s_cbranch_execz .LBB9_134
.LBB9_375:
	v_mov_b32_e32 v5, 0
	ds_store_b128 v5, v[1:4] offset:13312
	s_wait_alu 0xfffe
	s_or_b32 exec_lo, exec_lo, s6
	v_cmp_eq_u32_e32 vcc_lo, 0, v0
	s_and_b32 exec_lo, exec_lo, vcc_lo
	s_cbranch_execnz .LBB9_135
	s_branch .LBB9_136
	.section	.rodata,"a",@progbits
	.p2align	6, 0x0
	.amdhsa_kernel _ZN7rocprim17ROCPRIM_400000_NS6detail17trampoline_kernelINS0_13select_configILj256ELj13ELNS0_17block_load_methodE3ELS4_3ELS4_3ELNS0_20block_scan_algorithmE0ELj4294967295EEENS1_25partition_config_selectorILNS1_17partition_subalgoE4EjNS0_10empty_typeEbEEZZNS1_14partition_implILS8_4ELb0ES6_15HIP_vector_typeIjLj2EENS0_17counting_iteratorIjlEEPS9_SG_NS0_5tupleIJPjSI_NS0_16reverse_iteratorISI_EEEEENSH_IJSG_SG_SG_EEES9_SI_JZNS1_25segmented_radix_sort_implINS0_14default_configELb1EPKhPhPKlPlN2at6native12_GLOBAL__N_18offset_tEEE10hipError_tPvRmT1_PNSt15iterator_traitsIS12_E10value_typeET2_T3_PNS13_IS18_E10value_typeET4_jRbjT5_S1E_jjP12ihipStream_tbEUljE_ZNSN_ISO_Lb1ESQ_SR_ST_SU_SY_EESZ_S10_S11_S12_S16_S17_S18_S1B_S1C_jS1D_jS1E_S1E_jjS1G_bEUljE0_EEESZ_S10_S11_S18_S1C_S1E_T6_T7_T9_mT8_S1G_bDpT10_ENKUlT_T0_E_clISt17integral_constantIbLb0EES1U_EEDaS1P_S1Q_EUlS1P_E_NS1_11comp_targetILNS1_3genE10ELNS1_11target_archE1200ELNS1_3gpuE4ELNS1_3repE0EEENS1_30default_config_static_selectorELNS0_4arch9wavefront6targetE0EEEvS12_
		.amdhsa_group_segment_fixed_size 13328
		.amdhsa_private_segment_fixed_size 0
		.amdhsa_kernarg_size 176
		.amdhsa_user_sgpr_count 2
		.amdhsa_user_sgpr_dispatch_ptr 0
		.amdhsa_user_sgpr_queue_ptr 0
		.amdhsa_user_sgpr_kernarg_segment_ptr 1
		.amdhsa_user_sgpr_dispatch_id 0
		.amdhsa_user_sgpr_private_segment_size 0
		.amdhsa_wavefront_size32 1
		.amdhsa_uses_dynamic_stack 0
		.amdhsa_enable_private_segment 0
		.amdhsa_system_sgpr_workgroup_id_x 1
		.amdhsa_system_sgpr_workgroup_id_y 0
		.amdhsa_system_sgpr_workgroup_id_z 0
		.amdhsa_system_sgpr_workgroup_info 0
		.amdhsa_system_vgpr_workitem_id 0
		.amdhsa_next_free_vgpr 93
		.amdhsa_next_free_sgpr 58
		.amdhsa_reserve_vcc 1
		.amdhsa_float_round_mode_32 0
		.amdhsa_float_round_mode_16_64 0
		.amdhsa_float_denorm_mode_32 3
		.amdhsa_float_denorm_mode_16_64 3
		.amdhsa_fp16_overflow 0
		.amdhsa_workgroup_processor_mode 1
		.amdhsa_memory_ordered 1
		.amdhsa_forward_progress 1
		.amdhsa_inst_pref_size 148
		.amdhsa_round_robin_scheduling 0
		.amdhsa_exception_fp_ieee_invalid_op 0
		.amdhsa_exception_fp_denorm_src 0
		.amdhsa_exception_fp_ieee_div_zero 0
		.amdhsa_exception_fp_ieee_overflow 0
		.amdhsa_exception_fp_ieee_underflow 0
		.amdhsa_exception_fp_ieee_inexact 0
		.amdhsa_exception_int_div_zero 0
	.end_amdhsa_kernel
	.section	.text._ZN7rocprim17ROCPRIM_400000_NS6detail17trampoline_kernelINS0_13select_configILj256ELj13ELNS0_17block_load_methodE3ELS4_3ELS4_3ELNS0_20block_scan_algorithmE0ELj4294967295EEENS1_25partition_config_selectorILNS1_17partition_subalgoE4EjNS0_10empty_typeEbEEZZNS1_14partition_implILS8_4ELb0ES6_15HIP_vector_typeIjLj2EENS0_17counting_iteratorIjlEEPS9_SG_NS0_5tupleIJPjSI_NS0_16reverse_iteratorISI_EEEEENSH_IJSG_SG_SG_EEES9_SI_JZNS1_25segmented_radix_sort_implINS0_14default_configELb1EPKhPhPKlPlN2at6native12_GLOBAL__N_18offset_tEEE10hipError_tPvRmT1_PNSt15iterator_traitsIS12_E10value_typeET2_T3_PNS13_IS18_E10value_typeET4_jRbjT5_S1E_jjP12ihipStream_tbEUljE_ZNSN_ISO_Lb1ESQ_SR_ST_SU_SY_EESZ_S10_S11_S12_S16_S17_S18_S1B_S1C_jS1D_jS1E_S1E_jjS1G_bEUljE0_EEESZ_S10_S11_S18_S1C_S1E_T6_T7_T9_mT8_S1G_bDpT10_ENKUlT_T0_E_clISt17integral_constantIbLb0EES1U_EEDaS1P_S1Q_EUlS1P_E_NS1_11comp_targetILNS1_3genE10ELNS1_11target_archE1200ELNS1_3gpuE4ELNS1_3repE0EEENS1_30default_config_static_selectorELNS0_4arch9wavefront6targetE0EEEvS12_,"axG",@progbits,_ZN7rocprim17ROCPRIM_400000_NS6detail17trampoline_kernelINS0_13select_configILj256ELj13ELNS0_17block_load_methodE3ELS4_3ELS4_3ELNS0_20block_scan_algorithmE0ELj4294967295EEENS1_25partition_config_selectorILNS1_17partition_subalgoE4EjNS0_10empty_typeEbEEZZNS1_14partition_implILS8_4ELb0ES6_15HIP_vector_typeIjLj2EENS0_17counting_iteratorIjlEEPS9_SG_NS0_5tupleIJPjSI_NS0_16reverse_iteratorISI_EEEEENSH_IJSG_SG_SG_EEES9_SI_JZNS1_25segmented_radix_sort_implINS0_14default_configELb1EPKhPhPKlPlN2at6native12_GLOBAL__N_18offset_tEEE10hipError_tPvRmT1_PNSt15iterator_traitsIS12_E10value_typeET2_T3_PNS13_IS18_E10value_typeET4_jRbjT5_S1E_jjP12ihipStream_tbEUljE_ZNSN_ISO_Lb1ESQ_SR_ST_SU_SY_EESZ_S10_S11_S12_S16_S17_S18_S1B_S1C_jS1D_jS1E_S1E_jjS1G_bEUljE0_EEESZ_S10_S11_S18_S1C_S1E_T6_T7_T9_mT8_S1G_bDpT10_ENKUlT_T0_E_clISt17integral_constantIbLb0EES1U_EEDaS1P_S1Q_EUlS1P_E_NS1_11comp_targetILNS1_3genE10ELNS1_11target_archE1200ELNS1_3gpuE4ELNS1_3repE0EEENS1_30default_config_static_selectorELNS0_4arch9wavefront6targetE0EEEvS12_,comdat
.Lfunc_end9:
	.size	_ZN7rocprim17ROCPRIM_400000_NS6detail17trampoline_kernelINS0_13select_configILj256ELj13ELNS0_17block_load_methodE3ELS4_3ELS4_3ELNS0_20block_scan_algorithmE0ELj4294967295EEENS1_25partition_config_selectorILNS1_17partition_subalgoE4EjNS0_10empty_typeEbEEZZNS1_14partition_implILS8_4ELb0ES6_15HIP_vector_typeIjLj2EENS0_17counting_iteratorIjlEEPS9_SG_NS0_5tupleIJPjSI_NS0_16reverse_iteratorISI_EEEEENSH_IJSG_SG_SG_EEES9_SI_JZNS1_25segmented_radix_sort_implINS0_14default_configELb1EPKhPhPKlPlN2at6native12_GLOBAL__N_18offset_tEEE10hipError_tPvRmT1_PNSt15iterator_traitsIS12_E10value_typeET2_T3_PNS13_IS18_E10value_typeET4_jRbjT5_S1E_jjP12ihipStream_tbEUljE_ZNSN_ISO_Lb1ESQ_SR_ST_SU_SY_EESZ_S10_S11_S12_S16_S17_S18_S1B_S1C_jS1D_jS1E_S1E_jjS1G_bEUljE0_EEESZ_S10_S11_S18_S1C_S1E_T6_T7_T9_mT8_S1G_bDpT10_ENKUlT_T0_E_clISt17integral_constantIbLb0EES1U_EEDaS1P_S1Q_EUlS1P_E_NS1_11comp_targetILNS1_3genE10ELNS1_11target_archE1200ELNS1_3gpuE4ELNS1_3repE0EEENS1_30default_config_static_selectorELNS0_4arch9wavefront6targetE0EEEvS12_, .Lfunc_end9-_ZN7rocprim17ROCPRIM_400000_NS6detail17trampoline_kernelINS0_13select_configILj256ELj13ELNS0_17block_load_methodE3ELS4_3ELS4_3ELNS0_20block_scan_algorithmE0ELj4294967295EEENS1_25partition_config_selectorILNS1_17partition_subalgoE4EjNS0_10empty_typeEbEEZZNS1_14partition_implILS8_4ELb0ES6_15HIP_vector_typeIjLj2EENS0_17counting_iteratorIjlEEPS9_SG_NS0_5tupleIJPjSI_NS0_16reverse_iteratorISI_EEEEENSH_IJSG_SG_SG_EEES9_SI_JZNS1_25segmented_radix_sort_implINS0_14default_configELb1EPKhPhPKlPlN2at6native12_GLOBAL__N_18offset_tEEE10hipError_tPvRmT1_PNSt15iterator_traitsIS12_E10value_typeET2_T3_PNS13_IS18_E10value_typeET4_jRbjT5_S1E_jjP12ihipStream_tbEUljE_ZNSN_ISO_Lb1ESQ_SR_ST_SU_SY_EESZ_S10_S11_S12_S16_S17_S18_S1B_S1C_jS1D_jS1E_S1E_jjS1G_bEUljE0_EEESZ_S10_S11_S18_S1C_S1E_T6_T7_T9_mT8_S1G_bDpT10_ENKUlT_T0_E_clISt17integral_constantIbLb0EES1U_EEDaS1P_S1Q_EUlS1P_E_NS1_11comp_targetILNS1_3genE10ELNS1_11target_archE1200ELNS1_3gpuE4ELNS1_3repE0EEENS1_30default_config_static_selectorELNS0_4arch9wavefront6targetE0EEEvS12_
                                        ; -- End function
	.set _ZN7rocprim17ROCPRIM_400000_NS6detail17trampoline_kernelINS0_13select_configILj256ELj13ELNS0_17block_load_methodE3ELS4_3ELS4_3ELNS0_20block_scan_algorithmE0ELj4294967295EEENS1_25partition_config_selectorILNS1_17partition_subalgoE4EjNS0_10empty_typeEbEEZZNS1_14partition_implILS8_4ELb0ES6_15HIP_vector_typeIjLj2EENS0_17counting_iteratorIjlEEPS9_SG_NS0_5tupleIJPjSI_NS0_16reverse_iteratorISI_EEEEENSH_IJSG_SG_SG_EEES9_SI_JZNS1_25segmented_radix_sort_implINS0_14default_configELb1EPKhPhPKlPlN2at6native12_GLOBAL__N_18offset_tEEE10hipError_tPvRmT1_PNSt15iterator_traitsIS12_E10value_typeET2_T3_PNS13_IS18_E10value_typeET4_jRbjT5_S1E_jjP12ihipStream_tbEUljE_ZNSN_ISO_Lb1ESQ_SR_ST_SU_SY_EESZ_S10_S11_S12_S16_S17_S18_S1B_S1C_jS1D_jS1E_S1E_jjS1G_bEUljE0_EEESZ_S10_S11_S18_S1C_S1E_T6_T7_T9_mT8_S1G_bDpT10_ENKUlT_T0_E_clISt17integral_constantIbLb0EES1U_EEDaS1P_S1Q_EUlS1P_E_NS1_11comp_targetILNS1_3genE10ELNS1_11target_archE1200ELNS1_3gpuE4ELNS1_3repE0EEENS1_30default_config_static_selectorELNS0_4arch9wavefront6targetE0EEEvS12_.num_vgpr, 93
	.set _ZN7rocprim17ROCPRIM_400000_NS6detail17trampoline_kernelINS0_13select_configILj256ELj13ELNS0_17block_load_methodE3ELS4_3ELS4_3ELNS0_20block_scan_algorithmE0ELj4294967295EEENS1_25partition_config_selectorILNS1_17partition_subalgoE4EjNS0_10empty_typeEbEEZZNS1_14partition_implILS8_4ELb0ES6_15HIP_vector_typeIjLj2EENS0_17counting_iteratorIjlEEPS9_SG_NS0_5tupleIJPjSI_NS0_16reverse_iteratorISI_EEEEENSH_IJSG_SG_SG_EEES9_SI_JZNS1_25segmented_radix_sort_implINS0_14default_configELb1EPKhPhPKlPlN2at6native12_GLOBAL__N_18offset_tEEE10hipError_tPvRmT1_PNSt15iterator_traitsIS12_E10value_typeET2_T3_PNS13_IS18_E10value_typeET4_jRbjT5_S1E_jjP12ihipStream_tbEUljE_ZNSN_ISO_Lb1ESQ_SR_ST_SU_SY_EESZ_S10_S11_S12_S16_S17_S18_S1B_S1C_jS1D_jS1E_S1E_jjS1G_bEUljE0_EEESZ_S10_S11_S18_S1C_S1E_T6_T7_T9_mT8_S1G_bDpT10_ENKUlT_T0_E_clISt17integral_constantIbLb0EES1U_EEDaS1P_S1Q_EUlS1P_E_NS1_11comp_targetILNS1_3genE10ELNS1_11target_archE1200ELNS1_3gpuE4ELNS1_3repE0EEENS1_30default_config_static_selectorELNS0_4arch9wavefront6targetE0EEEvS12_.num_agpr, 0
	.set _ZN7rocprim17ROCPRIM_400000_NS6detail17trampoline_kernelINS0_13select_configILj256ELj13ELNS0_17block_load_methodE3ELS4_3ELS4_3ELNS0_20block_scan_algorithmE0ELj4294967295EEENS1_25partition_config_selectorILNS1_17partition_subalgoE4EjNS0_10empty_typeEbEEZZNS1_14partition_implILS8_4ELb0ES6_15HIP_vector_typeIjLj2EENS0_17counting_iteratorIjlEEPS9_SG_NS0_5tupleIJPjSI_NS0_16reverse_iteratorISI_EEEEENSH_IJSG_SG_SG_EEES9_SI_JZNS1_25segmented_radix_sort_implINS0_14default_configELb1EPKhPhPKlPlN2at6native12_GLOBAL__N_18offset_tEEE10hipError_tPvRmT1_PNSt15iterator_traitsIS12_E10value_typeET2_T3_PNS13_IS18_E10value_typeET4_jRbjT5_S1E_jjP12ihipStream_tbEUljE_ZNSN_ISO_Lb1ESQ_SR_ST_SU_SY_EESZ_S10_S11_S12_S16_S17_S18_S1B_S1C_jS1D_jS1E_S1E_jjS1G_bEUljE0_EEESZ_S10_S11_S18_S1C_S1E_T6_T7_T9_mT8_S1G_bDpT10_ENKUlT_T0_E_clISt17integral_constantIbLb0EES1U_EEDaS1P_S1Q_EUlS1P_E_NS1_11comp_targetILNS1_3genE10ELNS1_11target_archE1200ELNS1_3gpuE4ELNS1_3repE0EEENS1_30default_config_static_selectorELNS0_4arch9wavefront6targetE0EEEvS12_.numbered_sgpr, 58
	.set _ZN7rocprim17ROCPRIM_400000_NS6detail17trampoline_kernelINS0_13select_configILj256ELj13ELNS0_17block_load_methodE3ELS4_3ELS4_3ELNS0_20block_scan_algorithmE0ELj4294967295EEENS1_25partition_config_selectorILNS1_17partition_subalgoE4EjNS0_10empty_typeEbEEZZNS1_14partition_implILS8_4ELb0ES6_15HIP_vector_typeIjLj2EENS0_17counting_iteratorIjlEEPS9_SG_NS0_5tupleIJPjSI_NS0_16reverse_iteratorISI_EEEEENSH_IJSG_SG_SG_EEES9_SI_JZNS1_25segmented_radix_sort_implINS0_14default_configELb1EPKhPhPKlPlN2at6native12_GLOBAL__N_18offset_tEEE10hipError_tPvRmT1_PNSt15iterator_traitsIS12_E10value_typeET2_T3_PNS13_IS18_E10value_typeET4_jRbjT5_S1E_jjP12ihipStream_tbEUljE_ZNSN_ISO_Lb1ESQ_SR_ST_SU_SY_EESZ_S10_S11_S12_S16_S17_S18_S1B_S1C_jS1D_jS1E_S1E_jjS1G_bEUljE0_EEESZ_S10_S11_S18_S1C_S1E_T6_T7_T9_mT8_S1G_bDpT10_ENKUlT_T0_E_clISt17integral_constantIbLb0EES1U_EEDaS1P_S1Q_EUlS1P_E_NS1_11comp_targetILNS1_3genE10ELNS1_11target_archE1200ELNS1_3gpuE4ELNS1_3repE0EEENS1_30default_config_static_selectorELNS0_4arch9wavefront6targetE0EEEvS12_.num_named_barrier, 0
	.set _ZN7rocprim17ROCPRIM_400000_NS6detail17trampoline_kernelINS0_13select_configILj256ELj13ELNS0_17block_load_methodE3ELS4_3ELS4_3ELNS0_20block_scan_algorithmE0ELj4294967295EEENS1_25partition_config_selectorILNS1_17partition_subalgoE4EjNS0_10empty_typeEbEEZZNS1_14partition_implILS8_4ELb0ES6_15HIP_vector_typeIjLj2EENS0_17counting_iteratorIjlEEPS9_SG_NS0_5tupleIJPjSI_NS0_16reverse_iteratorISI_EEEEENSH_IJSG_SG_SG_EEES9_SI_JZNS1_25segmented_radix_sort_implINS0_14default_configELb1EPKhPhPKlPlN2at6native12_GLOBAL__N_18offset_tEEE10hipError_tPvRmT1_PNSt15iterator_traitsIS12_E10value_typeET2_T3_PNS13_IS18_E10value_typeET4_jRbjT5_S1E_jjP12ihipStream_tbEUljE_ZNSN_ISO_Lb1ESQ_SR_ST_SU_SY_EESZ_S10_S11_S12_S16_S17_S18_S1B_S1C_jS1D_jS1E_S1E_jjS1G_bEUljE0_EEESZ_S10_S11_S18_S1C_S1E_T6_T7_T9_mT8_S1G_bDpT10_ENKUlT_T0_E_clISt17integral_constantIbLb0EES1U_EEDaS1P_S1Q_EUlS1P_E_NS1_11comp_targetILNS1_3genE10ELNS1_11target_archE1200ELNS1_3gpuE4ELNS1_3repE0EEENS1_30default_config_static_selectorELNS0_4arch9wavefront6targetE0EEEvS12_.private_seg_size, 0
	.set _ZN7rocprim17ROCPRIM_400000_NS6detail17trampoline_kernelINS0_13select_configILj256ELj13ELNS0_17block_load_methodE3ELS4_3ELS4_3ELNS0_20block_scan_algorithmE0ELj4294967295EEENS1_25partition_config_selectorILNS1_17partition_subalgoE4EjNS0_10empty_typeEbEEZZNS1_14partition_implILS8_4ELb0ES6_15HIP_vector_typeIjLj2EENS0_17counting_iteratorIjlEEPS9_SG_NS0_5tupleIJPjSI_NS0_16reverse_iteratorISI_EEEEENSH_IJSG_SG_SG_EEES9_SI_JZNS1_25segmented_radix_sort_implINS0_14default_configELb1EPKhPhPKlPlN2at6native12_GLOBAL__N_18offset_tEEE10hipError_tPvRmT1_PNSt15iterator_traitsIS12_E10value_typeET2_T3_PNS13_IS18_E10value_typeET4_jRbjT5_S1E_jjP12ihipStream_tbEUljE_ZNSN_ISO_Lb1ESQ_SR_ST_SU_SY_EESZ_S10_S11_S12_S16_S17_S18_S1B_S1C_jS1D_jS1E_S1E_jjS1G_bEUljE0_EEESZ_S10_S11_S18_S1C_S1E_T6_T7_T9_mT8_S1G_bDpT10_ENKUlT_T0_E_clISt17integral_constantIbLb0EES1U_EEDaS1P_S1Q_EUlS1P_E_NS1_11comp_targetILNS1_3genE10ELNS1_11target_archE1200ELNS1_3gpuE4ELNS1_3repE0EEENS1_30default_config_static_selectorELNS0_4arch9wavefront6targetE0EEEvS12_.uses_vcc, 1
	.set _ZN7rocprim17ROCPRIM_400000_NS6detail17trampoline_kernelINS0_13select_configILj256ELj13ELNS0_17block_load_methodE3ELS4_3ELS4_3ELNS0_20block_scan_algorithmE0ELj4294967295EEENS1_25partition_config_selectorILNS1_17partition_subalgoE4EjNS0_10empty_typeEbEEZZNS1_14partition_implILS8_4ELb0ES6_15HIP_vector_typeIjLj2EENS0_17counting_iteratorIjlEEPS9_SG_NS0_5tupleIJPjSI_NS0_16reverse_iteratorISI_EEEEENSH_IJSG_SG_SG_EEES9_SI_JZNS1_25segmented_radix_sort_implINS0_14default_configELb1EPKhPhPKlPlN2at6native12_GLOBAL__N_18offset_tEEE10hipError_tPvRmT1_PNSt15iterator_traitsIS12_E10value_typeET2_T3_PNS13_IS18_E10value_typeET4_jRbjT5_S1E_jjP12ihipStream_tbEUljE_ZNSN_ISO_Lb1ESQ_SR_ST_SU_SY_EESZ_S10_S11_S12_S16_S17_S18_S1B_S1C_jS1D_jS1E_S1E_jjS1G_bEUljE0_EEESZ_S10_S11_S18_S1C_S1E_T6_T7_T9_mT8_S1G_bDpT10_ENKUlT_T0_E_clISt17integral_constantIbLb0EES1U_EEDaS1P_S1Q_EUlS1P_E_NS1_11comp_targetILNS1_3genE10ELNS1_11target_archE1200ELNS1_3gpuE4ELNS1_3repE0EEENS1_30default_config_static_selectorELNS0_4arch9wavefront6targetE0EEEvS12_.uses_flat_scratch, 0
	.set _ZN7rocprim17ROCPRIM_400000_NS6detail17trampoline_kernelINS0_13select_configILj256ELj13ELNS0_17block_load_methodE3ELS4_3ELS4_3ELNS0_20block_scan_algorithmE0ELj4294967295EEENS1_25partition_config_selectorILNS1_17partition_subalgoE4EjNS0_10empty_typeEbEEZZNS1_14partition_implILS8_4ELb0ES6_15HIP_vector_typeIjLj2EENS0_17counting_iteratorIjlEEPS9_SG_NS0_5tupleIJPjSI_NS0_16reverse_iteratorISI_EEEEENSH_IJSG_SG_SG_EEES9_SI_JZNS1_25segmented_radix_sort_implINS0_14default_configELb1EPKhPhPKlPlN2at6native12_GLOBAL__N_18offset_tEEE10hipError_tPvRmT1_PNSt15iterator_traitsIS12_E10value_typeET2_T3_PNS13_IS18_E10value_typeET4_jRbjT5_S1E_jjP12ihipStream_tbEUljE_ZNSN_ISO_Lb1ESQ_SR_ST_SU_SY_EESZ_S10_S11_S12_S16_S17_S18_S1B_S1C_jS1D_jS1E_S1E_jjS1G_bEUljE0_EEESZ_S10_S11_S18_S1C_S1E_T6_T7_T9_mT8_S1G_bDpT10_ENKUlT_T0_E_clISt17integral_constantIbLb0EES1U_EEDaS1P_S1Q_EUlS1P_E_NS1_11comp_targetILNS1_3genE10ELNS1_11target_archE1200ELNS1_3gpuE4ELNS1_3repE0EEENS1_30default_config_static_selectorELNS0_4arch9wavefront6targetE0EEEvS12_.has_dyn_sized_stack, 0
	.set _ZN7rocprim17ROCPRIM_400000_NS6detail17trampoline_kernelINS0_13select_configILj256ELj13ELNS0_17block_load_methodE3ELS4_3ELS4_3ELNS0_20block_scan_algorithmE0ELj4294967295EEENS1_25partition_config_selectorILNS1_17partition_subalgoE4EjNS0_10empty_typeEbEEZZNS1_14partition_implILS8_4ELb0ES6_15HIP_vector_typeIjLj2EENS0_17counting_iteratorIjlEEPS9_SG_NS0_5tupleIJPjSI_NS0_16reverse_iteratorISI_EEEEENSH_IJSG_SG_SG_EEES9_SI_JZNS1_25segmented_radix_sort_implINS0_14default_configELb1EPKhPhPKlPlN2at6native12_GLOBAL__N_18offset_tEEE10hipError_tPvRmT1_PNSt15iterator_traitsIS12_E10value_typeET2_T3_PNS13_IS18_E10value_typeET4_jRbjT5_S1E_jjP12ihipStream_tbEUljE_ZNSN_ISO_Lb1ESQ_SR_ST_SU_SY_EESZ_S10_S11_S12_S16_S17_S18_S1B_S1C_jS1D_jS1E_S1E_jjS1G_bEUljE0_EEESZ_S10_S11_S18_S1C_S1E_T6_T7_T9_mT8_S1G_bDpT10_ENKUlT_T0_E_clISt17integral_constantIbLb0EES1U_EEDaS1P_S1Q_EUlS1P_E_NS1_11comp_targetILNS1_3genE10ELNS1_11target_archE1200ELNS1_3gpuE4ELNS1_3repE0EEENS1_30default_config_static_selectorELNS0_4arch9wavefront6targetE0EEEvS12_.has_recursion, 0
	.set _ZN7rocprim17ROCPRIM_400000_NS6detail17trampoline_kernelINS0_13select_configILj256ELj13ELNS0_17block_load_methodE3ELS4_3ELS4_3ELNS0_20block_scan_algorithmE0ELj4294967295EEENS1_25partition_config_selectorILNS1_17partition_subalgoE4EjNS0_10empty_typeEbEEZZNS1_14partition_implILS8_4ELb0ES6_15HIP_vector_typeIjLj2EENS0_17counting_iteratorIjlEEPS9_SG_NS0_5tupleIJPjSI_NS0_16reverse_iteratorISI_EEEEENSH_IJSG_SG_SG_EEES9_SI_JZNS1_25segmented_radix_sort_implINS0_14default_configELb1EPKhPhPKlPlN2at6native12_GLOBAL__N_18offset_tEEE10hipError_tPvRmT1_PNSt15iterator_traitsIS12_E10value_typeET2_T3_PNS13_IS18_E10value_typeET4_jRbjT5_S1E_jjP12ihipStream_tbEUljE_ZNSN_ISO_Lb1ESQ_SR_ST_SU_SY_EESZ_S10_S11_S12_S16_S17_S18_S1B_S1C_jS1D_jS1E_S1E_jjS1G_bEUljE0_EEESZ_S10_S11_S18_S1C_S1E_T6_T7_T9_mT8_S1G_bDpT10_ENKUlT_T0_E_clISt17integral_constantIbLb0EES1U_EEDaS1P_S1Q_EUlS1P_E_NS1_11comp_targetILNS1_3genE10ELNS1_11target_archE1200ELNS1_3gpuE4ELNS1_3repE0EEENS1_30default_config_static_selectorELNS0_4arch9wavefront6targetE0EEEvS12_.has_indirect_call, 0
	.section	.AMDGPU.csdata,"",@progbits
; Kernel info:
; codeLenInByte = 18900
; TotalNumSgprs: 60
; NumVgprs: 93
; ScratchSize: 0
; MemoryBound: 0
; FloatMode: 240
; IeeeMode: 1
; LDSByteSize: 13328 bytes/workgroup (compile time only)
; SGPRBlocks: 0
; VGPRBlocks: 11
; NumSGPRsForWavesPerEU: 60
; NumVGPRsForWavesPerEU: 93
; Occupancy: 16
; WaveLimiterHint : 1
; COMPUTE_PGM_RSRC2:SCRATCH_EN: 0
; COMPUTE_PGM_RSRC2:USER_SGPR: 2
; COMPUTE_PGM_RSRC2:TRAP_HANDLER: 0
; COMPUTE_PGM_RSRC2:TGID_X_EN: 1
; COMPUTE_PGM_RSRC2:TGID_Y_EN: 0
; COMPUTE_PGM_RSRC2:TGID_Z_EN: 0
; COMPUTE_PGM_RSRC2:TIDIG_COMP_CNT: 0
	.section	.text._ZN7rocprim17ROCPRIM_400000_NS6detail17trampoline_kernelINS0_13select_configILj256ELj13ELNS0_17block_load_methodE3ELS4_3ELS4_3ELNS0_20block_scan_algorithmE0ELj4294967295EEENS1_25partition_config_selectorILNS1_17partition_subalgoE4EjNS0_10empty_typeEbEEZZNS1_14partition_implILS8_4ELb0ES6_15HIP_vector_typeIjLj2EENS0_17counting_iteratorIjlEEPS9_SG_NS0_5tupleIJPjSI_NS0_16reverse_iteratorISI_EEEEENSH_IJSG_SG_SG_EEES9_SI_JZNS1_25segmented_radix_sort_implINS0_14default_configELb1EPKhPhPKlPlN2at6native12_GLOBAL__N_18offset_tEEE10hipError_tPvRmT1_PNSt15iterator_traitsIS12_E10value_typeET2_T3_PNS13_IS18_E10value_typeET4_jRbjT5_S1E_jjP12ihipStream_tbEUljE_ZNSN_ISO_Lb1ESQ_SR_ST_SU_SY_EESZ_S10_S11_S12_S16_S17_S18_S1B_S1C_jS1D_jS1E_S1E_jjS1G_bEUljE0_EEESZ_S10_S11_S18_S1C_S1E_T6_T7_T9_mT8_S1G_bDpT10_ENKUlT_T0_E_clISt17integral_constantIbLb0EES1U_EEDaS1P_S1Q_EUlS1P_E_NS1_11comp_targetILNS1_3genE9ELNS1_11target_archE1100ELNS1_3gpuE3ELNS1_3repE0EEENS1_30default_config_static_selectorELNS0_4arch9wavefront6targetE0EEEvS12_,"axG",@progbits,_ZN7rocprim17ROCPRIM_400000_NS6detail17trampoline_kernelINS0_13select_configILj256ELj13ELNS0_17block_load_methodE3ELS4_3ELS4_3ELNS0_20block_scan_algorithmE0ELj4294967295EEENS1_25partition_config_selectorILNS1_17partition_subalgoE4EjNS0_10empty_typeEbEEZZNS1_14partition_implILS8_4ELb0ES6_15HIP_vector_typeIjLj2EENS0_17counting_iteratorIjlEEPS9_SG_NS0_5tupleIJPjSI_NS0_16reverse_iteratorISI_EEEEENSH_IJSG_SG_SG_EEES9_SI_JZNS1_25segmented_radix_sort_implINS0_14default_configELb1EPKhPhPKlPlN2at6native12_GLOBAL__N_18offset_tEEE10hipError_tPvRmT1_PNSt15iterator_traitsIS12_E10value_typeET2_T3_PNS13_IS18_E10value_typeET4_jRbjT5_S1E_jjP12ihipStream_tbEUljE_ZNSN_ISO_Lb1ESQ_SR_ST_SU_SY_EESZ_S10_S11_S12_S16_S17_S18_S1B_S1C_jS1D_jS1E_S1E_jjS1G_bEUljE0_EEESZ_S10_S11_S18_S1C_S1E_T6_T7_T9_mT8_S1G_bDpT10_ENKUlT_T0_E_clISt17integral_constantIbLb0EES1U_EEDaS1P_S1Q_EUlS1P_E_NS1_11comp_targetILNS1_3genE9ELNS1_11target_archE1100ELNS1_3gpuE3ELNS1_3repE0EEENS1_30default_config_static_selectorELNS0_4arch9wavefront6targetE0EEEvS12_,comdat
	.globl	_ZN7rocprim17ROCPRIM_400000_NS6detail17trampoline_kernelINS0_13select_configILj256ELj13ELNS0_17block_load_methodE3ELS4_3ELS4_3ELNS0_20block_scan_algorithmE0ELj4294967295EEENS1_25partition_config_selectorILNS1_17partition_subalgoE4EjNS0_10empty_typeEbEEZZNS1_14partition_implILS8_4ELb0ES6_15HIP_vector_typeIjLj2EENS0_17counting_iteratorIjlEEPS9_SG_NS0_5tupleIJPjSI_NS0_16reverse_iteratorISI_EEEEENSH_IJSG_SG_SG_EEES9_SI_JZNS1_25segmented_radix_sort_implINS0_14default_configELb1EPKhPhPKlPlN2at6native12_GLOBAL__N_18offset_tEEE10hipError_tPvRmT1_PNSt15iterator_traitsIS12_E10value_typeET2_T3_PNS13_IS18_E10value_typeET4_jRbjT5_S1E_jjP12ihipStream_tbEUljE_ZNSN_ISO_Lb1ESQ_SR_ST_SU_SY_EESZ_S10_S11_S12_S16_S17_S18_S1B_S1C_jS1D_jS1E_S1E_jjS1G_bEUljE0_EEESZ_S10_S11_S18_S1C_S1E_T6_T7_T9_mT8_S1G_bDpT10_ENKUlT_T0_E_clISt17integral_constantIbLb0EES1U_EEDaS1P_S1Q_EUlS1P_E_NS1_11comp_targetILNS1_3genE9ELNS1_11target_archE1100ELNS1_3gpuE3ELNS1_3repE0EEENS1_30default_config_static_selectorELNS0_4arch9wavefront6targetE0EEEvS12_ ; -- Begin function _ZN7rocprim17ROCPRIM_400000_NS6detail17trampoline_kernelINS0_13select_configILj256ELj13ELNS0_17block_load_methodE3ELS4_3ELS4_3ELNS0_20block_scan_algorithmE0ELj4294967295EEENS1_25partition_config_selectorILNS1_17partition_subalgoE4EjNS0_10empty_typeEbEEZZNS1_14partition_implILS8_4ELb0ES6_15HIP_vector_typeIjLj2EENS0_17counting_iteratorIjlEEPS9_SG_NS0_5tupleIJPjSI_NS0_16reverse_iteratorISI_EEEEENSH_IJSG_SG_SG_EEES9_SI_JZNS1_25segmented_radix_sort_implINS0_14default_configELb1EPKhPhPKlPlN2at6native12_GLOBAL__N_18offset_tEEE10hipError_tPvRmT1_PNSt15iterator_traitsIS12_E10value_typeET2_T3_PNS13_IS18_E10value_typeET4_jRbjT5_S1E_jjP12ihipStream_tbEUljE_ZNSN_ISO_Lb1ESQ_SR_ST_SU_SY_EESZ_S10_S11_S12_S16_S17_S18_S1B_S1C_jS1D_jS1E_S1E_jjS1G_bEUljE0_EEESZ_S10_S11_S18_S1C_S1E_T6_T7_T9_mT8_S1G_bDpT10_ENKUlT_T0_E_clISt17integral_constantIbLb0EES1U_EEDaS1P_S1Q_EUlS1P_E_NS1_11comp_targetILNS1_3genE9ELNS1_11target_archE1100ELNS1_3gpuE3ELNS1_3repE0EEENS1_30default_config_static_selectorELNS0_4arch9wavefront6targetE0EEEvS12_
	.p2align	8
	.type	_ZN7rocprim17ROCPRIM_400000_NS6detail17trampoline_kernelINS0_13select_configILj256ELj13ELNS0_17block_load_methodE3ELS4_3ELS4_3ELNS0_20block_scan_algorithmE0ELj4294967295EEENS1_25partition_config_selectorILNS1_17partition_subalgoE4EjNS0_10empty_typeEbEEZZNS1_14partition_implILS8_4ELb0ES6_15HIP_vector_typeIjLj2EENS0_17counting_iteratorIjlEEPS9_SG_NS0_5tupleIJPjSI_NS0_16reverse_iteratorISI_EEEEENSH_IJSG_SG_SG_EEES9_SI_JZNS1_25segmented_radix_sort_implINS0_14default_configELb1EPKhPhPKlPlN2at6native12_GLOBAL__N_18offset_tEEE10hipError_tPvRmT1_PNSt15iterator_traitsIS12_E10value_typeET2_T3_PNS13_IS18_E10value_typeET4_jRbjT5_S1E_jjP12ihipStream_tbEUljE_ZNSN_ISO_Lb1ESQ_SR_ST_SU_SY_EESZ_S10_S11_S12_S16_S17_S18_S1B_S1C_jS1D_jS1E_S1E_jjS1G_bEUljE0_EEESZ_S10_S11_S18_S1C_S1E_T6_T7_T9_mT8_S1G_bDpT10_ENKUlT_T0_E_clISt17integral_constantIbLb0EES1U_EEDaS1P_S1Q_EUlS1P_E_NS1_11comp_targetILNS1_3genE9ELNS1_11target_archE1100ELNS1_3gpuE3ELNS1_3repE0EEENS1_30default_config_static_selectorELNS0_4arch9wavefront6targetE0EEEvS12_,@function
_ZN7rocprim17ROCPRIM_400000_NS6detail17trampoline_kernelINS0_13select_configILj256ELj13ELNS0_17block_load_methodE3ELS4_3ELS4_3ELNS0_20block_scan_algorithmE0ELj4294967295EEENS1_25partition_config_selectorILNS1_17partition_subalgoE4EjNS0_10empty_typeEbEEZZNS1_14partition_implILS8_4ELb0ES6_15HIP_vector_typeIjLj2EENS0_17counting_iteratorIjlEEPS9_SG_NS0_5tupleIJPjSI_NS0_16reverse_iteratorISI_EEEEENSH_IJSG_SG_SG_EEES9_SI_JZNS1_25segmented_radix_sort_implINS0_14default_configELb1EPKhPhPKlPlN2at6native12_GLOBAL__N_18offset_tEEE10hipError_tPvRmT1_PNSt15iterator_traitsIS12_E10value_typeET2_T3_PNS13_IS18_E10value_typeET4_jRbjT5_S1E_jjP12ihipStream_tbEUljE_ZNSN_ISO_Lb1ESQ_SR_ST_SU_SY_EESZ_S10_S11_S12_S16_S17_S18_S1B_S1C_jS1D_jS1E_S1E_jjS1G_bEUljE0_EEESZ_S10_S11_S18_S1C_S1E_T6_T7_T9_mT8_S1G_bDpT10_ENKUlT_T0_E_clISt17integral_constantIbLb0EES1U_EEDaS1P_S1Q_EUlS1P_E_NS1_11comp_targetILNS1_3genE9ELNS1_11target_archE1100ELNS1_3gpuE3ELNS1_3repE0EEENS1_30default_config_static_selectorELNS0_4arch9wavefront6targetE0EEEvS12_: ; @_ZN7rocprim17ROCPRIM_400000_NS6detail17trampoline_kernelINS0_13select_configILj256ELj13ELNS0_17block_load_methodE3ELS4_3ELS4_3ELNS0_20block_scan_algorithmE0ELj4294967295EEENS1_25partition_config_selectorILNS1_17partition_subalgoE4EjNS0_10empty_typeEbEEZZNS1_14partition_implILS8_4ELb0ES6_15HIP_vector_typeIjLj2EENS0_17counting_iteratorIjlEEPS9_SG_NS0_5tupleIJPjSI_NS0_16reverse_iteratorISI_EEEEENSH_IJSG_SG_SG_EEES9_SI_JZNS1_25segmented_radix_sort_implINS0_14default_configELb1EPKhPhPKlPlN2at6native12_GLOBAL__N_18offset_tEEE10hipError_tPvRmT1_PNSt15iterator_traitsIS12_E10value_typeET2_T3_PNS13_IS18_E10value_typeET4_jRbjT5_S1E_jjP12ihipStream_tbEUljE_ZNSN_ISO_Lb1ESQ_SR_ST_SU_SY_EESZ_S10_S11_S12_S16_S17_S18_S1B_S1C_jS1D_jS1E_S1E_jjS1G_bEUljE0_EEESZ_S10_S11_S18_S1C_S1E_T6_T7_T9_mT8_S1G_bDpT10_ENKUlT_T0_E_clISt17integral_constantIbLb0EES1U_EEDaS1P_S1Q_EUlS1P_E_NS1_11comp_targetILNS1_3genE9ELNS1_11target_archE1100ELNS1_3gpuE3ELNS1_3repE0EEENS1_30default_config_static_selectorELNS0_4arch9wavefront6targetE0EEEvS12_
; %bb.0:
	.section	.rodata,"a",@progbits
	.p2align	6, 0x0
	.amdhsa_kernel _ZN7rocprim17ROCPRIM_400000_NS6detail17trampoline_kernelINS0_13select_configILj256ELj13ELNS0_17block_load_methodE3ELS4_3ELS4_3ELNS0_20block_scan_algorithmE0ELj4294967295EEENS1_25partition_config_selectorILNS1_17partition_subalgoE4EjNS0_10empty_typeEbEEZZNS1_14partition_implILS8_4ELb0ES6_15HIP_vector_typeIjLj2EENS0_17counting_iteratorIjlEEPS9_SG_NS0_5tupleIJPjSI_NS0_16reverse_iteratorISI_EEEEENSH_IJSG_SG_SG_EEES9_SI_JZNS1_25segmented_radix_sort_implINS0_14default_configELb1EPKhPhPKlPlN2at6native12_GLOBAL__N_18offset_tEEE10hipError_tPvRmT1_PNSt15iterator_traitsIS12_E10value_typeET2_T3_PNS13_IS18_E10value_typeET4_jRbjT5_S1E_jjP12ihipStream_tbEUljE_ZNSN_ISO_Lb1ESQ_SR_ST_SU_SY_EESZ_S10_S11_S12_S16_S17_S18_S1B_S1C_jS1D_jS1E_S1E_jjS1G_bEUljE0_EEESZ_S10_S11_S18_S1C_S1E_T6_T7_T9_mT8_S1G_bDpT10_ENKUlT_T0_E_clISt17integral_constantIbLb0EES1U_EEDaS1P_S1Q_EUlS1P_E_NS1_11comp_targetILNS1_3genE9ELNS1_11target_archE1100ELNS1_3gpuE3ELNS1_3repE0EEENS1_30default_config_static_selectorELNS0_4arch9wavefront6targetE0EEEvS12_
		.amdhsa_group_segment_fixed_size 0
		.amdhsa_private_segment_fixed_size 0
		.amdhsa_kernarg_size 176
		.amdhsa_user_sgpr_count 2
		.amdhsa_user_sgpr_dispatch_ptr 0
		.amdhsa_user_sgpr_queue_ptr 0
		.amdhsa_user_sgpr_kernarg_segment_ptr 1
		.amdhsa_user_sgpr_dispatch_id 0
		.amdhsa_user_sgpr_private_segment_size 0
		.amdhsa_wavefront_size32 1
		.amdhsa_uses_dynamic_stack 0
		.amdhsa_enable_private_segment 0
		.amdhsa_system_sgpr_workgroup_id_x 1
		.amdhsa_system_sgpr_workgroup_id_y 0
		.amdhsa_system_sgpr_workgroup_id_z 0
		.amdhsa_system_sgpr_workgroup_info 0
		.amdhsa_system_vgpr_workitem_id 0
		.amdhsa_next_free_vgpr 1
		.amdhsa_next_free_sgpr 1
		.amdhsa_reserve_vcc 0
		.amdhsa_float_round_mode_32 0
		.amdhsa_float_round_mode_16_64 0
		.amdhsa_float_denorm_mode_32 3
		.amdhsa_float_denorm_mode_16_64 3
		.amdhsa_fp16_overflow 0
		.amdhsa_workgroup_processor_mode 1
		.amdhsa_memory_ordered 1
		.amdhsa_forward_progress 1
		.amdhsa_inst_pref_size 0
		.amdhsa_round_robin_scheduling 0
		.amdhsa_exception_fp_ieee_invalid_op 0
		.amdhsa_exception_fp_denorm_src 0
		.amdhsa_exception_fp_ieee_div_zero 0
		.amdhsa_exception_fp_ieee_overflow 0
		.amdhsa_exception_fp_ieee_underflow 0
		.amdhsa_exception_fp_ieee_inexact 0
		.amdhsa_exception_int_div_zero 0
	.end_amdhsa_kernel
	.section	.text._ZN7rocprim17ROCPRIM_400000_NS6detail17trampoline_kernelINS0_13select_configILj256ELj13ELNS0_17block_load_methodE3ELS4_3ELS4_3ELNS0_20block_scan_algorithmE0ELj4294967295EEENS1_25partition_config_selectorILNS1_17partition_subalgoE4EjNS0_10empty_typeEbEEZZNS1_14partition_implILS8_4ELb0ES6_15HIP_vector_typeIjLj2EENS0_17counting_iteratorIjlEEPS9_SG_NS0_5tupleIJPjSI_NS0_16reverse_iteratorISI_EEEEENSH_IJSG_SG_SG_EEES9_SI_JZNS1_25segmented_radix_sort_implINS0_14default_configELb1EPKhPhPKlPlN2at6native12_GLOBAL__N_18offset_tEEE10hipError_tPvRmT1_PNSt15iterator_traitsIS12_E10value_typeET2_T3_PNS13_IS18_E10value_typeET4_jRbjT5_S1E_jjP12ihipStream_tbEUljE_ZNSN_ISO_Lb1ESQ_SR_ST_SU_SY_EESZ_S10_S11_S12_S16_S17_S18_S1B_S1C_jS1D_jS1E_S1E_jjS1G_bEUljE0_EEESZ_S10_S11_S18_S1C_S1E_T6_T7_T9_mT8_S1G_bDpT10_ENKUlT_T0_E_clISt17integral_constantIbLb0EES1U_EEDaS1P_S1Q_EUlS1P_E_NS1_11comp_targetILNS1_3genE9ELNS1_11target_archE1100ELNS1_3gpuE3ELNS1_3repE0EEENS1_30default_config_static_selectorELNS0_4arch9wavefront6targetE0EEEvS12_,"axG",@progbits,_ZN7rocprim17ROCPRIM_400000_NS6detail17trampoline_kernelINS0_13select_configILj256ELj13ELNS0_17block_load_methodE3ELS4_3ELS4_3ELNS0_20block_scan_algorithmE0ELj4294967295EEENS1_25partition_config_selectorILNS1_17partition_subalgoE4EjNS0_10empty_typeEbEEZZNS1_14partition_implILS8_4ELb0ES6_15HIP_vector_typeIjLj2EENS0_17counting_iteratorIjlEEPS9_SG_NS0_5tupleIJPjSI_NS0_16reverse_iteratorISI_EEEEENSH_IJSG_SG_SG_EEES9_SI_JZNS1_25segmented_radix_sort_implINS0_14default_configELb1EPKhPhPKlPlN2at6native12_GLOBAL__N_18offset_tEEE10hipError_tPvRmT1_PNSt15iterator_traitsIS12_E10value_typeET2_T3_PNS13_IS18_E10value_typeET4_jRbjT5_S1E_jjP12ihipStream_tbEUljE_ZNSN_ISO_Lb1ESQ_SR_ST_SU_SY_EESZ_S10_S11_S12_S16_S17_S18_S1B_S1C_jS1D_jS1E_S1E_jjS1G_bEUljE0_EEESZ_S10_S11_S18_S1C_S1E_T6_T7_T9_mT8_S1G_bDpT10_ENKUlT_T0_E_clISt17integral_constantIbLb0EES1U_EEDaS1P_S1Q_EUlS1P_E_NS1_11comp_targetILNS1_3genE9ELNS1_11target_archE1100ELNS1_3gpuE3ELNS1_3repE0EEENS1_30default_config_static_selectorELNS0_4arch9wavefront6targetE0EEEvS12_,comdat
.Lfunc_end10:
	.size	_ZN7rocprim17ROCPRIM_400000_NS6detail17trampoline_kernelINS0_13select_configILj256ELj13ELNS0_17block_load_methodE3ELS4_3ELS4_3ELNS0_20block_scan_algorithmE0ELj4294967295EEENS1_25partition_config_selectorILNS1_17partition_subalgoE4EjNS0_10empty_typeEbEEZZNS1_14partition_implILS8_4ELb0ES6_15HIP_vector_typeIjLj2EENS0_17counting_iteratorIjlEEPS9_SG_NS0_5tupleIJPjSI_NS0_16reverse_iteratorISI_EEEEENSH_IJSG_SG_SG_EEES9_SI_JZNS1_25segmented_radix_sort_implINS0_14default_configELb1EPKhPhPKlPlN2at6native12_GLOBAL__N_18offset_tEEE10hipError_tPvRmT1_PNSt15iterator_traitsIS12_E10value_typeET2_T3_PNS13_IS18_E10value_typeET4_jRbjT5_S1E_jjP12ihipStream_tbEUljE_ZNSN_ISO_Lb1ESQ_SR_ST_SU_SY_EESZ_S10_S11_S12_S16_S17_S18_S1B_S1C_jS1D_jS1E_S1E_jjS1G_bEUljE0_EEESZ_S10_S11_S18_S1C_S1E_T6_T7_T9_mT8_S1G_bDpT10_ENKUlT_T0_E_clISt17integral_constantIbLb0EES1U_EEDaS1P_S1Q_EUlS1P_E_NS1_11comp_targetILNS1_3genE9ELNS1_11target_archE1100ELNS1_3gpuE3ELNS1_3repE0EEENS1_30default_config_static_selectorELNS0_4arch9wavefront6targetE0EEEvS12_, .Lfunc_end10-_ZN7rocprim17ROCPRIM_400000_NS6detail17trampoline_kernelINS0_13select_configILj256ELj13ELNS0_17block_load_methodE3ELS4_3ELS4_3ELNS0_20block_scan_algorithmE0ELj4294967295EEENS1_25partition_config_selectorILNS1_17partition_subalgoE4EjNS0_10empty_typeEbEEZZNS1_14partition_implILS8_4ELb0ES6_15HIP_vector_typeIjLj2EENS0_17counting_iteratorIjlEEPS9_SG_NS0_5tupleIJPjSI_NS0_16reverse_iteratorISI_EEEEENSH_IJSG_SG_SG_EEES9_SI_JZNS1_25segmented_radix_sort_implINS0_14default_configELb1EPKhPhPKlPlN2at6native12_GLOBAL__N_18offset_tEEE10hipError_tPvRmT1_PNSt15iterator_traitsIS12_E10value_typeET2_T3_PNS13_IS18_E10value_typeET4_jRbjT5_S1E_jjP12ihipStream_tbEUljE_ZNSN_ISO_Lb1ESQ_SR_ST_SU_SY_EESZ_S10_S11_S12_S16_S17_S18_S1B_S1C_jS1D_jS1E_S1E_jjS1G_bEUljE0_EEESZ_S10_S11_S18_S1C_S1E_T6_T7_T9_mT8_S1G_bDpT10_ENKUlT_T0_E_clISt17integral_constantIbLb0EES1U_EEDaS1P_S1Q_EUlS1P_E_NS1_11comp_targetILNS1_3genE9ELNS1_11target_archE1100ELNS1_3gpuE3ELNS1_3repE0EEENS1_30default_config_static_selectorELNS0_4arch9wavefront6targetE0EEEvS12_
                                        ; -- End function
	.set _ZN7rocprim17ROCPRIM_400000_NS6detail17trampoline_kernelINS0_13select_configILj256ELj13ELNS0_17block_load_methodE3ELS4_3ELS4_3ELNS0_20block_scan_algorithmE0ELj4294967295EEENS1_25partition_config_selectorILNS1_17partition_subalgoE4EjNS0_10empty_typeEbEEZZNS1_14partition_implILS8_4ELb0ES6_15HIP_vector_typeIjLj2EENS0_17counting_iteratorIjlEEPS9_SG_NS0_5tupleIJPjSI_NS0_16reverse_iteratorISI_EEEEENSH_IJSG_SG_SG_EEES9_SI_JZNS1_25segmented_radix_sort_implINS0_14default_configELb1EPKhPhPKlPlN2at6native12_GLOBAL__N_18offset_tEEE10hipError_tPvRmT1_PNSt15iterator_traitsIS12_E10value_typeET2_T3_PNS13_IS18_E10value_typeET4_jRbjT5_S1E_jjP12ihipStream_tbEUljE_ZNSN_ISO_Lb1ESQ_SR_ST_SU_SY_EESZ_S10_S11_S12_S16_S17_S18_S1B_S1C_jS1D_jS1E_S1E_jjS1G_bEUljE0_EEESZ_S10_S11_S18_S1C_S1E_T6_T7_T9_mT8_S1G_bDpT10_ENKUlT_T0_E_clISt17integral_constantIbLb0EES1U_EEDaS1P_S1Q_EUlS1P_E_NS1_11comp_targetILNS1_3genE9ELNS1_11target_archE1100ELNS1_3gpuE3ELNS1_3repE0EEENS1_30default_config_static_selectorELNS0_4arch9wavefront6targetE0EEEvS12_.num_vgpr, 0
	.set _ZN7rocprim17ROCPRIM_400000_NS6detail17trampoline_kernelINS0_13select_configILj256ELj13ELNS0_17block_load_methodE3ELS4_3ELS4_3ELNS0_20block_scan_algorithmE0ELj4294967295EEENS1_25partition_config_selectorILNS1_17partition_subalgoE4EjNS0_10empty_typeEbEEZZNS1_14partition_implILS8_4ELb0ES6_15HIP_vector_typeIjLj2EENS0_17counting_iteratorIjlEEPS9_SG_NS0_5tupleIJPjSI_NS0_16reverse_iteratorISI_EEEEENSH_IJSG_SG_SG_EEES9_SI_JZNS1_25segmented_radix_sort_implINS0_14default_configELb1EPKhPhPKlPlN2at6native12_GLOBAL__N_18offset_tEEE10hipError_tPvRmT1_PNSt15iterator_traitsIS12_E10value_typeET2_T3_PNS13_IS18_E10value_typeET4_jRbjT5_S1E_jjP12ihipStream_tbEUljE_ZNSN_ISO_Lb1ESQ_SR_ST_SU_SY_EESZ_S10_S11_S12_S16_S17_S18_S1B_S1C_jS1D_jS1E_S1E_jjS1G_bEUljE0_EEESZ_S10_S11_S18_S1C_S1E_T6_T7_T9_mT8_S1G_bDpT10_ENKUlT_T0_E_clISt17integral_constantIbLb0EES1U_EEDaS1P_S1Q_EUlS1P_E_NS1_11comp_targetILNS1_3genE9ELNS1_11target_archE1100ELNS1_3gpuE3ELNS1_3repE0EEENS1_30default_config_static_selectorELNS0_4arch9wavefront6targetE0EEEvS12_.num_agpr, 0
	.set _ZN7rocprim17ROCPRIM_400000_NS6detail17trampoline_kernelINS0_13select_configILj256ELj13ELNS0_17block_load_methodE3ELS4_3ELS4_3ELNS0_20block_scan_algorithmE0ELj4294967295EEENS1_25partition_config_selectorILNS1_17partition_subalgoE4EjNS0_10empty_typeEbEEZZNS1_14partition_implILS8_4ELb0ES6_15HIP_vector_typeIjLj2EENS0_17counting_iteratorIjlEEPS9_SG_NS0_5tupleIJPjSI_NS0_16reverse_iteratorISI_EEEEENSH_IJSG_SG_SG_EEES9_SI_JZNS1_25segmented_radix_sort_implINS0_14default_configELb1EPKhPhPKlPlN2at6native12_GLOBAL__N_18offset_tEEE10hipError_tPvRmT1_PNSt15iterator_traitsIS12_E10value_typeET2_T3_PNS13_IS18_E10value_typeET4_jRbjT5_S1E_jjP12ihipStream_tbEUljE_ZNSN_ISO_Lb1ESQ_SR_ST_SU_SY_EESZ_S10_S11_S12_S16_S17_S18_S1B_S1C_jS1D_jS1E_S1E_jjS1G_bEUljE0_EEESZ_S10_S11_S18_S1C_S1E_T6_T7_T9_mT8_S1G_bDpT10_ENKUlT_T0_E_clISt17integral_constantIbLb0EES1U_EEDaS1P_S1Q_EUlS1P_E_NS1_11comp_targetILNS1_3genE9ELNS1_11target_archE1100ELNS1_3gpuE3ELNS1_3repE0EEENS1_30default_config_static_selectorELNS0_4arch9wavefront6targetE0EEEvS12_.numbered_sgpr, 0
	.set _ZN7rocprim17ROCPRIM_400000_NS6detail17trampoline_kernelINS0_13select_configILj256ELj13ELNS0_17block_load_methodE3ELS4_3ELS4_3ELNS0_20block_scan_algorithmE0ELj4294967295EEENS1_25partition_config_selectorILNS1_17partition_subalgoE4EjNS0_10empty_typeEbEEZZNS1_14partition_implILS8_4ELb0ES6_15HIP_vector_typeIjLj2EENS0_17counting_iteratorIjlEEPS9_SG_NS0_5tupleIJPjSI_NS0_16reverse_iteratorISI_EEEEENSH_IJSG_SG_SG_EEES9_SI_JZNS1_25segmented_radix_sort_implINS0_14default_configELb1EPKhPhPKlPlN2at6native12_GLOBAL__N_18offset_tEEE10hipError_tPvRmT1_PNSt15iterator_traitsIS12_E10value_typeET2_T3_PNS13_IS18_E10value_typeET4_jRbjT5_S1E_jjP12ihipStream_tbEUljE_ZNSN_ISO_Lb1ESQ_SR_ST_SU_SY_EESZ_S10_S11_S12_S16_S17_S18_S1B_S1C_jS1D_jS1E_S1E_jjS1G_bEUljE0_EEESZ_S10_S11_S18_S1C_S1E_T6_T7_T9_mT8_S1G_bDpT10_ENKUlT_T0_E_clISt17integral_constantIbLb0EES1U_EEDaS1P_S1Q_EUlS1P_E_NS1_11comp_targetILNS1_3genE9ELNS1_11target_archE1100ELNS1_3gpuE3ELNS1_3repE0EEENS1_30default_config_static_selectorELNS0_4arch9wavefront6targetE0EEEvS12_.num_named_barrier, 0
	.set _ZN7rocprim17ROCPRIM_400000_NS6detail17trampoline_kernelINS0_13select_configILj256ELj13ELNS0_17block_load_methodE3ELS4_3ELS4_3ELNS0_20block_scan_algorithmE0ELj4294967295EEENS1_25partition_config_selectorILNS1_17partition_subalgoE4EjNS0_10empty_typeEbEEZZNS1_14partition_implILS8_4ELb0ES6_15HIP_vector_typeIjLj2EENS0_17counting_iteratorIjlEEPS9_SG_NS0_5tupleIJPjSI_NS0_16reverse_iteratorISI_EEEEENSH_IJSG_SG_SG_EEES9_SI_JZNS1_25segmented_radix_sort_implINS0_14default_configELb1EPKhPhPKlPlN2at6native12_GLOBAL__N_18offset_tEEE10hipError_tPvRmT1_PNSt15iterator_traitsIS12_E10value_typeET2_T3_PNS13_IS18_E10value_typeET4_jRbjT5_S1E_jjP12ihipStream_tbEUljE_ZNSN_ISO_Lb1ESQ_SR_ST_SU_SY_EESZ_S10_S11_S12_S16_S17_S18_S1B_S1C_jS1D_jS1E_S1E_jjS1G_bEUljE0_EEESZ_S10_S11_S18_S1C_S1E_T6_T7_T9_mT8_S1G_bDpT10_ENKUlT_T0_E_clISt17integral_constantIbLb0EES1U_EEDaS1P_S1Q_EUlS1P_E_NS1_11comp_targetILNS1_3genE9ELNS1_11target_archE1100ELNS1_3gpuE3ELNS1_3repE0EEENS1_30default_config_static_selectorELNS0_4arch9wavefront6targetE0EEEvS12_.private_seg_size, 0
	.set _ZN7rocprim17ROCPRIM_400000_NS6detail17trampoline_kernelINS0_13select_configILj256ELj13ELNS0_17block_load_methodE3ELS4_3ELS4_3ELNS0_20block_scan_algorithmE0ELj4294967295EEENS1_25partition_config_selectorILNS1_17partition_subalgoE4EjNS0_10empty_typeEbEEZZNS1_14partition_implILS8_4ELb0ES6_15HIP_vector_typeIjLj2EENS0_17counting_iteratorIjlEEPS9_SG_NS0_5tupleIJPjSI_NS0_16reverse_iteratorISI_EEEEENSH_IJSG_SG_SG_EEES9_SI_JZNS1_25segmented_radix_sort_implINS0_14default_configELb1EPKhPhPKlPlN2at6native12_GLOBAL__N_18offset_tEEE10hipError_tPvRmT1_PNSt15iterator_traitsIS12_E10value_typeET2_T3_PNS13_IS18_E10value_typeET4_jRbjT5_S1E_jjP12ihipStream_tbEUljE_ZNSN_ISO_Lb1ESQ_SR_ST_SU_SY_EESZ_S10_S11_S12_S16_S17_S18_S1B_S1C_jS1D_jS1E_S1E_jjS1G_bEUljE0_EEESZ_S10_S11_S18_S1C_S1E_T6_T7_T9_mT8_S1G_bDpT10_ENKUlT_T0_E_clISt17integral_constantIbLb0EES1U_EEDaS1P_S1Q_EUlS1P_E_NS1_11comp_targetILNS1_3genE9ELNS1_11target_archE1100ELNS1_3gpuE3ELNS1_3repE0EEENS1_30default_config_static_selectorELNS0_4arch9wavefront6targetE0EEEvS12_.uses_vcc, 0
	.set _ZN7rocprim17ROCPRIM_400000_NS6detail17trampoline_kernelINS0_13select_configILj256ELj13ELNS0_17block_load_methodE3ELS4_3ELS4_3ELNS0_20block_scan_algorithmE0ELj4294967295EEENS1_25partition_config_selectorILNS1_17partition_subalgoE4EjNS0_10empty_typeEbEEZZNS1_14partition_implILS8_4ELb0ES6_15HIP_vector_typeIjLj2EENS0_17counting_iteratorIjlEEPS9_SG_NS0_5tupleIJPjSI_NS0_16reverse_iteratorISI_EEEEENSH_IJSG_SG_SG_EEES9_SI_JZNS1_25segmented_radix_sort_implINS0_14default_configELb1EPKhPhPKlPlN2at6native12_GLOBAL__N_18offset_tEEE10hipError_tPvRmT1_PNSt15iterator_traitsIS12_E10value_typeET2_T3_PNS13_IS18_E10value_typeET4_jRbjT5_S1E_jjP12ihipStream_tbEUljE_ZNSN_ISO_Lb1ESQ_SR_ST_SU_SY_EESZ_S10_S11_S12_S16_S17_S18_S1B_S1C_jS1D_jS1E_S1E_jjS1G_bEUljE0_EEESZ_S10_S11_S18_S1C_S1E_T6_T7_T9_mT8_S1G_bDpT10_ENKUlT_T0_E_clISt17integral_constantIbLb0EES1U_EEDaS1P_S1Q_EUlS1P_E_NS1_11comp_targetILNS1_3genE9ELNS1_11target_archE1100ELNS1_3gpuE3ELNS1_3repE0EEENS1_30default_config_static_selectorELNS0_4arch9wavefront6targetE0EEEvS12_.uses_flat_scratch, 0
	.set _ZN7rocprim17ROCPRIM_400000_NS6detail17trampoline_kernelINS0_13select_configILj256ELj13ELNS0_17block_load_methodE3ELS4_3ELS4_3ELNS0_20block_scan_algorithmE0ELj4294967295EEENS1_25partition_config_selectorILNS1_17partition_subalgoE4EjNS0_10empty_typeEbEEZZNS1_14partition_implILS8_4ELb0ES6_15HIP_vector_typeIjLj2EENS0_17counting_iteratorIjlEEPS9_SG_NS0_5tupleIJPjSI_NS0_16reverse_iteratorISI_EEEEENSH_IJSG_SG_SG_EEES9_SI_JZNS1_25segmented_radix_sort_implINS0_14default_configELb1EPKhPhPKlPlN2at6native12_GLOBAL__N_18offset_tEEE10hipError_tPvRmT1_PNSt15iterator_traitsIS12_E10value_typeET2_T3_PNS13_IS18_E10value_typeET4_jRbjT5_S1E_jjP12ihipStream_tbEUljE_ZNSN_ISO_Lb1ESQ_SR_ST_SU_SY_EESZ_S10_S11_S12_S16_S17_S18_S1B_S1C_jS1D_jS1E_S1E_jjS1G_bEUljE0_EEESZ_S10_S11_S18_S1C_S1E_T6_T7_T9_mT8_S1G_bDpT10_ENKUlT_T0_E_clISt17integral_constantIbLb0EES1U_EEDaS1P_S1Q_EUlS1P_E_NS1_11comp_targetILNS1_3genE9ELNS1_11target_archE1100ELNS1_3gpuE3ELNS1_3repE0EEENS1_30default_config_static_selectorELNS0_4arch9wavefront6targetE0EEEvS12_.has_dyn_sized_stack, 0
	.set _ZN7rocprim17ROCPRIM_400000_NS6detail17trampoline_kernelINS0_13select_configILj256ELj13ELNS0_17block_load_methodE3ELS4_3ELS4_3ELNS0_20block_scan_algorithmE0ELj4294967295EEENS1_25partition_config_selectorILNS1_17partition_subalgoE4EjNS0_10empty_typeEbEEZZNS1_14partition_implILS8_4ELb0ES6_15HIP_vector_typeIjLj2EENS0_17counting_iteratorIjlEEPS9_SG_NS0_5tupleIJPjSI_NS0_16reverse_iteratorISI_EEEEENSH_IJSG_SG_SG_EEES9_SI_JZNS1_25segmented_radix_sort_implINS0_14default_configELb1EPKhPhPKlPlN2at6native12_GLOBAL__N_18offset_tEEE10hipError_tPvRmT1_PNSt15iterator_traitsIS12_E10value_typeET2_T3_PNS13_IS18_E10value_typeET4_jRbjT5_S1E_jjP12ihipStream_tbEUljE_ZNSN_ISO_Lb1ESQ_SR_ST_SU_SY_EESZ_S10_S11_S12_S16_S17_S18_S1B_S1C_jS1D_jS1E_S1E_jjS1G_bEUljE0_EEESZ_S10_S11_S18_S1C_S1E_T6_T7_T9_mT8_S1G_bDpT10_ENKUlT_T0_E_clISt17integral_constantIbLb0EES1U_EEDaS1P_S1Q_EUlS1P_E_NS1_11comp_targetILNS1_3genE9ELNS1_11target_archE1100ELNS1_3gpuE3ELNS1_3repE0EEENS1_30default_config_static_selectorELNS0_4arch9wavefront6targetE0EEEvS12_.has_recursion, 0
	.set _ZN7rocprim17ROCPRIM_400000_NS6detail17trampoline_kernelINS0_13select_configILj256ELj13ELNS0_17block_load_methodE3ELS4_3ELS4_3ELNS0_20block_scan_algorithmE0ELj4294967295EEENS1_25partition_config_selectorILNS1_17partition_subalgoE4EjNS0_10empty_typeEbEEZZNS1_14partition_implILS8_4ELb0ES6_15HIP_vector_typeIjLj2EENS0_17counting_iteratorIjlEEPS9_SG_NS0_5tupleIJPjSI_NS0_16reverse_iteratorISI_EEEEENSH_IJSG_SG_SG_EEES9_SI_JZNS1_25segmented_radix_sort_implINS0_14default_configELb1EPKhPhPKlPlN2at6native12_GLOBAL__N_18offset_tEEE10hipError_tPvRmT1_PNSt15iterator_traitsIS12_E10value_typeET2_T3_PNS13_IS18_E10value_typeET4_jRbjT5_S1E_jjP12ihipStream_tbEUljE_ZNSN_ISO_Lb1ESQ_SR_ST_SU_SY_EESZ_S10_S11_S12_S16_S17_S18_S1B_S1C_jS1D_jS1E_S1E_jjS1G_bEUljE0_EEESZ_S10_S11_S18_S1C_S1E_T6_T7_T9_mT8_S1G_bDpT10_ENKUlT_T0_E_clISt17integral_constantIbLb0EES1U_EEDaS1P_S1Q_EUlS1P_E_NS1_11comp_targetILNS1_3genE9ELNS1_11target_archE1100ELNS1_3gpuE3ELNS1_3repE0EEENS1_30default_config_static_selectorELNS0_4arch9wavefront6targetE0EEEvS12_.has_indirect_call, 0
	.section	.AMDGPU.csdata,"",@progbits
; Kernel info:
; codeLenInByte = 0
; TotalNumSgprs: 0
; NumVgprs: 0
; ScratchSize: 0
; MemoryBound: 0
; FloatMode: 240
; IeeeMode: 1
; LDSByteSize: 0 bytes/workgroup (compile time only)
; SGPRBlocks: 0
; VGPRBlocks: 0
; NumSGPRsForWavesPerEU: 1
; NumVGPRsForWavesPerEU: 1
; Occupancy: 16
; WaveLimiterHint : 0
; COMPUTE_PGM_RSRC2:SCRATCH_EN: 0
; COMPUTE_PGM_RSRC2:USER_SGPR: 2
; COMPUTE_PGM_RSRC2:TRAP_HANDLER: 0
; COMPUTE_PGM_RSRC2:TGID_X_EN: 1
; COMPUTE_PGM_RSRC2:TGID_Y_EN: 0
; COMPUTE_PGM_RSRC2:TGID_Z_EN: 0
; COMPUTE_PGM_RSRC2:TIDIG_COMP_CNT: 0
	.section	.text._ZN7rocprim17ROCPRIM_400000_NS6detail17trampoline_kernelINS0_13select_configILj256ELj13ELNS0_17block_load_methodE3ELS4_3ELS4_3ELNS0_20block_scan_algorithmE0ELj4294967295EEENS1_25partition_config_selectorILNS1_17partition_subalgoE4EjNS0_10empty_typeEbEEZZNS1_14partition_implILS8_4ELb0ES6_15HIP_vector_typeIjLj2EENS0_17counting_iteratorIjlEEPS9_SG_NS0_5tupleIJPjSI_NS0_16reverse_iteratorISI_EEEEENSH_IJSG_SG_SG_EEES9_SI_JZNS1_25segmented_radix_sort_implINS0_14default_configELb1EPKhPhPKlPlN2at6native12_GLOBAL__N_18offset_tEEE10hipError_tPvRmT1_PNSt15iterator_traitsIS12_E10value_typeET2_T3_PNS13_IS18_E10value_typeET4_jRbjT5_S1E_jjP12ihipStream_tbEUljE_ZNSN_ISO_Lb1ESQ_SR_ST_SU_SY_EESZ_S10_S11_S12_S16_S17_S18_S1B_S1C_jS1D_jS1E_S1E_jjS1G_bEUljE0_EEESZ_S10_S11_S18_S1C_S1E_T6_T7_T9_mT8_S1G_bDpT10_ENKUlT_T0_E_clISt17integral_constantIbLb0EES1U_EEDaS1P_S1Q_EUlS1P_E_NS1_11comp_targetILNS1_3genE8ELNS1_11target_archE1030ELNS1_3gpuE2ELNS1_3repE0EEENS1_30default_config_static_selectorELNS0_4arch9wavefront6targetE0EEEvS12_,"axG",@progbits,_ZN7rocprim17ROCPRIM_400000_NS6detail17trampoline_kernelINS0_13select_configILj256ELj13ELNS0_17block_load_methodE3ELS4_3ELS4_3ELNS0_20block_scan_algorithmE0ELj4294967295EEENS1_25partition_config_selectorILNS1_17partition_subalgoE4EjNS0_10empty_typeEbEEZZNS1_14partition_implILS8_4ELb0ES6_15HIP_vector_typeIjLj2EENS0_17counting_iteratorIjlEEPS9_SG_NS0_5tupleIJPjSI_NS0_16reverse_iteratorISI_EEEEENSH_IJSG_SG_SG_EEES9_SI_JZNS1_25segmented_radix_sort_implINS0_14default_configELb1EPKhPhPKlPlN2at6native12_GLOBAL__N_18offset_tEEE10hipError_tPvRmT1_PNSt15iterator_traitsIS12_E10value_typeET2_T3_PNS13_IS18_E10value_typeET4_jRbjT5_S1E_jjP12ihipStream_tbEUljE_ZNSN_ISO_Lb1ESQ_SR_ST_SU_SY_EESZ_S10_S11_S12_S16_S17_S18_S1B_S1C_jS1D_jS1E_S1E_jjS1G_bEUljE0_EEESZ_S10_S11_S18_S1C_S1E_T6_T7_T9_mT8_S1G_bDpT10_ENKUlT_T0_E_clISt17integral_constantIbLb0EES1U_EEDaS1P_S1Q_EUlS1P_E_NS1_11comp_targetILNS1_3genE8ELNS1_11target_archE1030ELNS1_3gpuE2ELNS1_3repE0EEENS1_30default_config_static_selectorELNS0_4arch9wavefront6targetE0EEEvS12_,comdat
	.globl	_ZN7rocprim17ROCPRIM_400000_NS6detail17trampoline_kernelINS0_13select_configILj256ELj13ELNS0_17block_load_methodE3ELS4_3ELS4_3ELNS0_20block_scan_algorithmE0ELj4294967295EEENS1_25partition_config_selectorILNS1_17partition_subalgoE4EjNS0_10empty_typeEbEEZZNS1_14partition_implILS8_4ELb0ES6_15HIP_vector_typeIjLj2EENS0_17counting_iteratorIjlEEPS9_SG_NS0_5tupleIJPjSI_NS0_16reverse_iteratorISI_EEEEENSH_IJSG_SG_SG_EEES9_SI_JZNS1_25segmented_radix_sort_implINS0_14default_configELb1EPKhPhPKlPlN2at6native12_GLOBAL__N_18offset_tEEE10hipError_tPvRmT1_PNSt15iterator_traitsIS12_E10value_typeET2_T3_PNS13_IS18_E10value_typeET4_jRbjT5_S1E_jjP12ihipStream_tbEUljE_ZNSN_ISO_Lb1ESQ_SR_ST_SU_SY_EESZ_S10_S11_S12_S16_S17_S18_S1B_S1C_jS1D_jS1E_S1E_jjS1G_bEUljE0_EEESZ_S10_S11_S18_S1C_S1E_T6_T7_T9_mT8_S1G_bDpT10_ENKUlT_T0_E_clISt17integral_constantIbLb0EES1U_EEDaS1P_S1Q_EUlS1P_E_NS1_11comp_targetILNS1_3genE8ELNS1_11target_archE1030ELNS1_3gpuE2ELNS1_3repE0EEENS1_30default_config_static_selectorELNS0_4arch9wavefront6targetE0EEEvS12_ ; -- Begin function _ZN7rocprim17ROCPRIM_400000_NS6detail17trampoline_kernelINS0_13select_configILj256ELj13ELNS0_17block_load_methodE3ELS4_3ELS4_3ELNS0_20block_scan_algorithmE0ELj4294967295EEENS1_25partition_config_selectorILNS1_17partition_subalgoE4EjNS0_10empty_typeEbEEZZNS1_14partition_implILS8_4ELb0ES6_15HIP_vector_typeIjLj2EENS0_17counting_iteratorIjlEEPS9_SG_NS0_5tupleIJPjSI_NS0_16reverse_iteratorISI_EEEEENSH_IJSG_SG_SG_EEES9_SI_JZNS1_25segmented_radix_sort_implINS0_14default_configELb1EPKhPhPKlPlN2at6native12_GLOBAL__N_18offset_tEEE10hipError_tPvRmT1_PNSt15iterator_traitsIS12_E10value_typeET2_T3_PNS13_IS18_E10value_typeET4_jRbjT5_S1E_jjP12ihipStream_tbEUljE_ZNSN_ISO_Lb1ESQ_SR_ST_SU_SY_EESZ_S10_S11_S12_S16_S17_S18_S1B_S1C_jS1D_jS1E_S1E_jjS1G_bEUljE0_EEESZ_S10_S11_S18_S1C_S1E_T6_T7_T9_mT8_S1G_bDpT10_ENKUlT_T0_E_clISt17integral_constantIbLb0EES1U_EEDaS1P_S1Q_EUlS1P_E_NS1_11comp_targetILNS1_3genE8ELNS1_11target_archE1030ELNS1_3gpuE2ELNS1_3repE0EEENS1_30default_config_static_selectorELNS0_4arch9wavefront6targetE0EEEvS12_
	.p2align	8
	.type	_ZN7rocprim17ROCPRIM_400000_NS6detail17trampoline_kernelINS0_13select_configILj256ELj13ELNS0_17block_load_methodE3ELS4_3ELS4_3ELNS0_20block_scan_algorithmE0ELj4294967295EEENS1_25partition_config_selectorILNS1_17partition_subalgoE4EjNS0_10empty_typeEbEEZZNS1_14partition_implILS8_4ELb0ES6_15HIP_vector_typeIjLj2EENS0_17counting_iteratorIjlEEPS9_SG_NS0_5tupleIJPjSI_NS0_16reverse_iteratorISI_EEEEENSH_IJSG_SG_SG_EEES9_SI_JZNS1_25segmented_radix_sort_implINS0_14default_configELb1EPKhPhPKlPlN2at6native12_GLOBAL__N_18offset_tEEE10hipError_tPvRmT1_PNSt15iterator_traitsIS12_E10value_typeET2_T3_PNS13_IS18_E10value_typeET4_jRbjT5_S1E_jjP12ihipStream_tbEUljE_ZNSN_ISO_Lb1ESQ_SR_ST_SU_SY_EESZ_S10_S11_S12_S16_S17_S18_S1B_S1C_jS1D_jS1E_S1E_jjS1G_bEUljE0_EEESZ_S10_S11_S18_S1C_S1E_T6_T7_T9_mT8_S1G_bDpT10_ENKUlT_T0_E_clISt17integral_constantIbLb0EES1U_EEDaS1P_S1Q_EUlS1P_E_NS1_11comp_targetILNS1_3genE8ELNS1_11target_archE1030ELNS1_3gpuE2ELNS1_3repE0EEENS1_30default_config_static_selectorELNS0_4arch9wavefront6targetE0EEEvS12_,@function
_ZN7rocprim17ROCPRIM_400000_NS6detail17trampoline_kernelINS0_13select_configILj256ELj13ELNS0_17block_load_methodE3ELS4_3ELS4_3ELNS0_20block_scan_algorithmE0ELj4294967295EEENS1_25partition_config_selectorILNS1_17partition_subalgoE4EjNS0_10empty_typeEbEEZZNS1_14partition_implILS8_4ELb0ES6_15HIP_vector_typeIjLj2EENS0_17counting_iteratorIjlEEPS9_SG_NS0_5tupleIJPjSI_NS0_16reverse_iteratorISI_EEEEENSH_IJSG_SG_SG_EEES9_SI_JZNS1_25segmented_radix_sort_implINS0_14default_configELb1EPKhPhPKlPlN2at6native12_GLOBAL__N_18offset_tEEE10hipError_tPvRmT1_PNSt15iterator_traitsIS12_E10value_typeET2_T3_PNS13_IS18_E10value_typeET4_jRbjT5_S1E_jjP12ihipStream_tbEUljE_ZNSN_ISO_Lb1ESQ_SR_ST_SU_SY_EESZ_S10_S11_S12_S16_S17_S18_S1B_S1C_jS1D_jS1E_S1E_jjS1G_bEUljE0_EEESZ_S10_S11_S18_S1C_S1E_T6_T7_T9_mT8_S1G_bDpT10_ENKUlT_T0_E_clISt17integral_constantIbLb0EES1U_EEDaS1P_S1Q_EUlS1P_E_NS1_11comp_targetILNS1_3genE8ELNS1_11target_archE1030ELNS1_3gpuE2ELNS1_3repE0EEENS1_30default_config_static_selectorELNS0_4arch9wavefront6targetE0EEEvS12_: ; @_ZN7rocprim17ROCPRIM_400000_NS6detail17trampoline_kernelINS0_13select_configILj256ELj13ELNS0_17block_load_methodE3ELS4_3ELS4_3ELNS0_20block_scan_algorithmE0ELj4294967295EEENS1_25partition_config_selectorILNS1_17partition_subalgoE4EjNS0_10empty_typeEbEEZZNS1_14partition_implILS8_4ELb0ES6_15HIP_vector_typeIjLj2EENS0_17counting_iteratorIjlEEPS9_SG_NS0_5tupleIJPjSI_NS0_16reverse_iteratorISI_EEEEENSH_IJSG_SG_SG_EEES9_SI_JZNS1_25segmented_radix_sort_implINS0_14default_configELb1EPKhPhPKlPlN2at6native12_GLOBAL__N_18offset_tEEE10hipError_tPvRmT1_PNSt15iterator_traitsIS12_E10value_typeET2_T3_PNS13_IS18_E10value_typeET4_jRbjT5_S1E_jjP12ihipStream_tbEUljE_ZNSN_ISO_Lb1ESQ_SR_ST_SU_SY_EESZ_S10_S11_S12_S16_S17_S18_S1B_S1C_jS1D_jS1E_S1E_jjS1G_bEUljE0_EEESZ_S10_S11_S18_S1C_S1E_T6_T7_T9_mT8_S1G_bDpT10_ENKUlT_T0_E_clISt17integral_constantIbLb0EES1U_EEDaS1P_S1Q_EUlS1P_E_NS1_11comp_targetILNS1_3genE8ELNS1_11target_archE1030ELNS1_3gpuE2ELNS1_3repE0EEENS1_30default_config_static_selectorELNS0_4arch9wavefront6targetE0EEEvS12_
; %bb.0:
	.section	.rodata,"a",@progbits
	.p2align	6, 0x0
	.amdhsa_kernel _ZN7rocprim17ROCPRIM_400000_NS6detail17trampoline_kernelINS0_13select_configILj256ELj13ELNS0_17block_load_methodE3ELS4_3ELS4_3ELNS0_20block_scan_algorithmE0ELj4294967295EEENS1_25partition_config_selectorILNS1_17partition_subalgoE4EjNS0_10empty_typeEbEEZZNS1_14partition_implILS8_4ELb0ES6_15HIP_vector_typeIjLj2EENS0_17counting_iteratorIjlEEPS9_SG_NS0_5tupleIJPjSI_NS0_16reverse_iteratorISI_EEEEENSH_IJSG_SG_SG_EEES9_SI_JZNS1_25segmented_radix_sort_implINS0_14default_configELb1EPKhPhPKlPlN2at6native12_GLOBAL__N_18offset_tEEE10hipError_tPvRmT1_PNSt15iterator_traitsIS12_E10value_typeET2_T3_PNS13_IS18_E10value_typeET4_jRbjT5_S1E_jjP12ihipStream_tbEUljE_ZNSN_ISO_Lb1ESQ_SR_ST_SU_SY_EESZ_S10_S11_S12_S16_S17_S18_S1B_S1C_jS1D_jS1E_S1E_jjS1G_bEUljE0_EEESZ_S10_S11_S18_S1C_S1E_T6_T7_T9_mT8_S1G_bDpT10_ENKUlT_T0_E_clISt17integral_constantIbLb0EES1U_EEDaS1P_S1Q_EUlS1P_E_NS1_11comp_targetILNS1_3genE8ELNS1_11target_archE1030ELNS1_3gpuE2ELNS1_3repE0EEENS1_30default_config_static_selectorELNS0_4arch9wavefront6targetE0EEEvS12_
		.amdhsa_group_segment_fixed_size 0
		.amdhsa_private_segment_fixed_size 0
		.amdhsa_kernarg_size 176
		.amdhsa_user_sgpr_count 2
		.amdhsa_user_sgpr_dispatch_ptr 0
		.amdhsa_user_sgpr_queue_ptr 0
		.amdhsa_user_sgpr_kernarg_segment_ptr 1
		.amdhsa_user_sgpr_dispatch_id 0
		.amdhsa_user_sgpr_private_segment_size 0
		.amdhsa_wavefront_size32 1
		.amdhsa_uses_dynamic_stack 0
		.amdhsa_enable_private_segment 0
		.amdhsa_system_sgpr_workgroup_id_x 1
		.amdhsa_system_sgpr_workgroup_id_y 0
		.amdhsa_system_sgpr_workgroup_id_z 0
		.amdhsa_system_sgpr_workgroup_info 0
		.amdhsa_system_vgpr_workitem_id 0
		.amdhsa_next_free_vgpr 1
		.amdhsa_next_free_sgpr 1
		.amdhsa_reserve_vcc 0
		.amdhsa_float_round_mode_32 0
		.amdhsa_float_round_mode_16_64 0
		.amdhsa_float_denorm_mode_32 3
		.amdhsa_float_denorm_mode_16_64 3
		.amdhsa_fp16_overflow 0
		.amdhsa_workgroup_processor_mode 1
		.amdhsa_memory_ordered 1
		.amdhsa_forward_progress 1
		.amdhsa_inst_pref_size 0
		.amdhsa_round_robin_scheduling 0
		.amdhsa_exception_fp_ieee_invalid_op 0
		.amdhsa_exception_fp_denorm_src 0
		.amdhsa_exception_fp_ieee_div_zero 0
		.amdhsa_exception_fp_ieee_overflow 0
		.amdhsa_exception_fp_ieee_underflow 0
		.amdhsa_exception_fp_ieee_inexact 0
		.amdhsa_exception_int_div_zero 0
	.end_amdhsa_kernel
	.section	.text._ZN7rocprim17ROCPRIM_400000_NS6detail17trampoline_kernelINS0_13select_configILj256ELj13ELNS0_17block_load_methodE3ELS4_3ELS4_3ELNS0_20block_scan_algorithmE0ELj4294967295EEENS1_25partition_config_selectorILNS1_17partition_subalgoE4EjNS0_10empty_typeEbEEZZNS1_14partition_implILS8_4ELb0ES6_15HIP_vector_typeIjLj2EENS0_17counting_iteratorIjlEEPS9_SG_NS0_5tupleIJPjSI_NS0_16reverse_iteratorISI_EEEEENSH_IJSG_SG_SG_EEES9_SI_JZNS1_25segmented_radix_sort_implINS0_14default_configELb1EPKhPhPKlPlN2at6native12_GLOBAL__N_18offset_tEEE10hipError_tPvRmT1_PNSt15iterator_traitsIS12_E10value_typeET2_T3_PNS13_IS18_E10value_typeET4_jRbjT5_S1E_jjP12ihipStream_tbEUljE_ZNSN_ISO_Lb1ESQ_SR_ST_SU_SY_EESZ_S10_S11_S12_S16_S17_S18_S1B_S1C_jS1D_jS1E_S1E_jjS1G_bEUljE0_EEESZ_S10_S11_S18_S1C_S1E_T6_T7_T9_mT8_S1G_bDpT10_ENKUlT_T0_E_clISt17integral_constantIbLb0EES1U_EEDaS1P_S1Q_EUlS1P_E_NS1_11comp_targetILNS1_3genE8ELNS1_11target_archE1030ELNS1_3gpuE2ELNS1_3repE0EEENS1_30default_config_static_selectorELNS0_4arch9wavefront6targetE0EEEvS12_,"axG",@progbits,_ZN7rocprim17ROCPRIM_400000_NS6detail17trampoline_kernelINS0_13select_configILj256ELj13ELNS0_17block_load_methodE3ELS4_3ELS4_3ELNS0_20block_scan_algorithmE0ELj4294967295EEENS1_25partition_config_selectorILNS1_17partition_subalgoE4EjNS0_10empty_typeEbEEZZNS1_14partition_implILS8_4ELb0ES6_15HIP_vector_typeIjLj2EENS0_17counting_iteratorIjlEEPS9_SG_NS0_5tupleIJPjSI_NS0_16reverse_iteratorISI_EEEEENSH_IJSG_SG_SG_EEES9_SI_JZNS1_25segmented_radix_sort_implINS0_14default_configELb1EPKhPhPKlPlN2at6native12_GLOBAL__N_18offset_tEEE10hipError_tPvRmT1_PNSt15iterator_traitsIS12_E10value_typeET2_T3_PNS13_IS18_E10value_typeET4_jRbjT5_S1E_jjP12ihipStream_tbEUljE_ZNSN_ISO_Lb1ESQ_SR_ST_SU_SY_EESZ_S10_S11_S12_S16_S17_S18_S1B_S1C_jS1D_jS1E_S1E_jjS1G_bEUljE0_EEESZ_S10_S11_S18_S1C_S1E_T6_T7_T9_mT8_S1G_bDpT10_ENKUlT_T0_E_clISt17integral_constantIbLb0EES1U_EEDaS1P_S1Q_EUlS1P_E_NS1_11comp_targetILNS1_3genE8ELNS1_11target_archE1030ELNS1_3gpuE2ELNS1_3repE0EEENS1_30default_config_static_selectorELNS0_4arch9wavefront6targetE0EEEvS12_,comdat
.Lfunc_end11:
	.size	_ZN7rocprim17ROCPRIM_400000_NS6detail17trampoline_kernelINS0_13select_configILj256ELj13ELNS0_17block_load_methodE3ELS4_3ELS4_3ELNS0_20block_scan_algorithmE0ELj4294967295EEENS1_25partition_config_selectorILNS1_17partition_subalgoE4EjNS0_10empty_typeEbEEZZNS1_14partition_implILS8_4ELb0ES6_15HIP_vector_typeIjLj2EENS0_17counting_iteratorIjlEEPS9_SG_NS0_5tupleIJPjSI_NS0_16reverse_iteratorISI_EEEEENSH_IJSG_SG_SG_EEES9_SI_JZNS1_25segmented_radix_sort_implINS0_14default_configELb1EPKhPhPKlPlN2at6native12_GLOBAL__N_18offset_tEEE10hipError_tPvRmT1_PNSt15iterator_traitsIS12_E10value_typeET2_T3_PNS13_IS18_E10value_typeET4_jRbjT5_S1E_jjP12ihipStream_tbEUljE_ZNSN_ISO_Lb1ESQ_SR_ST_SU_SY_EESZ_S10_S11_S12_S16_S17_S18_S1B_S1C_jS1D_jS1E_S1E_jjS1G_bEUljE0_EEESZ_S10_S11_S18_S1C_S1E_T6_T7_T9_mT8_S1G_bDpT10_ENKUlT_T0_E_clISt17integral_constantIbLb0EES1U_EEDaS1P_S1Q_EUlS1P_E_NS1_11comp_targetILNS1_3genE8ELNS1_11target_archE1030ELNS1_3gpuE2ELNS1_3repE0EEENS1_30default_config_static_selectorELNS0_4arch9wavefront6targetE0EEEvS12_, .Lfunc_end11-_ZN7rocprim17ROCPRIM_400000_NS6detail17trampoline_kernelINS0_13select_configILj256ELj13ELNS0_17block_load_methodE3ELS4_3ELS4_3ELNS0_20block_scan_algorithmE0ELj4294967295EEENS1_25partition_config_selectorILNS1_17partition_subalgoE4EjNS0_10empty_typeEbEEZZNS1_14partition_implILS8_4ELb0ES6_15HIP_vector_typeIjLj2EENS0_17counting_iteratorIjlEEPS9_SG_NS0_5tupleIJPjSI_NS0_16reverse_iteratorISI_EEEEENSH_IJSG_SG_SG_EEES9_SI_JZNS1_25segmented_radix_sort_implINS0_14default_configELb1EPKhPhPKlPlN2at6native12_GLOBAL__N_18offset_tEEE10hipError_tPvRmT1_PNSt15iterator_traitsIS12_E10value_typeET2_T3_PNS13_IS18_E10value_typeET4_jRbjT5_S1E_jjP12ihipStream_tbEUljE_ZNSN_ISO_Lb1ESQ_SR_ST_SU_SY_EESZ_S10_S11_S12_S16_S17_S18_S1B_S1C_jS1D_jS1E_S1E_jjS1G_bEUljE0_EEESZ_S10_S11_S18_S1C_S1E_T6_T7_T9_mT8_S1G_bDpT10_ENKUlT_T0_E_clISt17integral_constantIbLb0EES1U_EEDaS1P_S1Q_EUlS1P_E_NS1_11comp_targetILNS1_3genE8ELNS1_11target_archE1030ELNS1_3gpuE2ELNS1_3repE0EEENS1_30default_config_static_selectorELNS0_4arch9wavefront6targetE0EEEvS12_
                                        ; -- End function
	.set _ZN7rocprim17ROCPRIM_400000_NS6detail17trampoline_kernelINS0_13select_configILj256ELj13ELNS0_17block_load_methodE3ELS4_3ELS4_3ELNS0_20block_scan_algorithmE0ELj4294967295EEENS1_25partition_config_selectorILNS1_17partition_subalgoE4EjNS0_10empty_typeEbEEZZNS1_14partition_implILS8_4ELb0ES6_15HIP_vector_typeIjLj2EENS0_17counting_iteratorIjlEEPS9_SG_NS0_5tupleIJPjSI_NS0_16reverse_iteratorISI_EEEEENSH_IJSG_SG_SG_EEES9_SI_JZNS1_25segmented_radix_sort_implINS0_14default_configELb1EPKhPhPKlPlN2at6native12_GLOBAL__N_18offset_tEEE10hipError_tPvRmT1_PNSt15iterator_traitsIS12_E10value_typeET2_T3_PNS13_IS18_E10value_typeET4_jRbjT5_S1E_jjP12ihipStream_tbEUljE_ZNSN_ISO_Lb1ESQ_SR_ST_SU_SY_EESZ_S10_S11_S12_S16_S17_S18_S1B_S1C_jS1D_jS1E_S1E_jjS1G_bEUljE0_EEESZ_S10_S11_S18_S1C_S1E_T6_T7_T9_mT8_S1G_bDpT10_ENKUlT_T0_E_clISt17integral_constantIbLb0EES1U_EEDaS1P_S1Q_EUlS1P_E_NS1_11comp_targetILNS1_3genE8ELNS1_11target_archE1030ELNS1_3gpuE2ELNS1_3repE0EEENS1_30default_config_static_selectorELNS0_4arch9wavefront6targetE0EEEvS12_.num_vgpr, 0
	.set _ZN7rocprim17ROCPRIM_400000_NS6detail17trampoline_kernelINS0_13select_configILj256ELj13ELNS0_17block_load_methodE3ELS4_3ELS4_3ELNS0_20block_scan_algorithmE0ELj4294967295EEENS1_25partition_config_selectorILNS1_17partition_subalgoE4EjNS0_10empty_typeEbEEZZNS1_14partition_implILS8_4ELb0ES6_15HIP_vector_typeIjLj2EENS0_17counting_iteratorIjlEEPS9_SG_NS0_5tupleIJPjSI_NS0_16reverse_iteratorISI_EEEEENSH_IJSG_SG_SG_EEES9_SI_JZNS1_25segmented_radix_sort_implINS0_14default_configELb1EPKhPhPKlPlN2at6native12_GLOBAL__N_18offset_tEEE10hipError_tPvRmT1_PNSt15iterator_traitsIS12_E10value_typeET2_T3_PNS13_IS18_E10value_typeET4_jRbjT5_S1E_jjP12ihipStream_tbEUljE_ZNSN_ISO_Lb1ESQ_SR_ST_SU_SY_EESZ_S10_S11_S12_S16_S17_S18_S1B_S1C_jS1D_jS1E_S1E_jjS1G_bEUljE0_EEESZ_S10_S11_S18_S1C_S1E_T6_T7_T9_mT8_S1G_bDpT10_ENKUlT_T0_E_clISt17integral_constantIbLb0EES1U_EEDaS1P_S1Q_EUlS1P_E_NS1_11comp_targetILNS1_3genE8ELNS1_11target_archE1030ELNS1_3gpuE2ELNS1_3repE0EEENS1_30default_config_static_selectorELNS0_4arch9wavefront6targetE0EEEvS12_.num_agpr, 0
	.set _ZN7rocprim17ROCPRIM_400000_NS6detail17trampoline_kernelINS0_13select_configILj256ELj13ELNS0_17block_load_methodE3ELS4_3ELS4_3ELNS0_20block_scan_algorithmE0ELj4294967295EEENS1_25partition_config_selectorILNS1_17partition_subalgoE4EjNS0_10empty_typeEbEEZZNS1_14partition_implILS8_4ELb0ES6_15HIP_vector_typeIjLj2EENS0_17counting_iteratorIjlEEPS9_SG_NS0_5tupleIJPjSI_NS0_16reverse_iteratorISI_EEEEENSH_IJSG_SG_SG_EEES9_SI_JZNS1_25segmented_radix_sort_implINS0_14default_configELb1EPKhPhPKlPlN2at6native12_GLOBAL__N_18offset_tEEE10hipError_tPvRmT1_PNSt15iterator_traitsIS12_E10value_typeET2_T3_PNS13_IS18_E10value_typeET4_jRbjT5_S1E_jjP12ihipStream_tbEUljE_ZNSN_ISO_Lb1ESQ_SR_ST_SU_SY_EESZ_S10_S11_S12_S16_S17_S18_S1B_S1C_jS1D_jS1E_S1E_jjS1G_bEUljE0_EEESZ_S10_S11_S18_S1C_S1E_T6_T7_T9_mT8_S1G_bDpT10_ENKUlT_T0_E_clISt17integral_constantIbLb0EES1U_EEDaS1P_S1Q_EUlS1P_E_NS1_11comp_targetILNS1_3genE8ELNS1_11target_archE1030ELNS1_3gpuE2ELNS1_3repE0EEENS1_30default_config_static_selectorELNS0_4arch9wavefront6targetE0EEEvS12_.numbered_sgpr, 0
	.set _ZN7rocprim17ROCPRIM_400000_NS6detail17trampoline_kernelINS0_13select_configILj256ELj13ELNS0_17block_load_methodE3ELS4_3ELS4_3ELNS0_20block_scan_algorithmE0ELj4294967295EEENS1_25partition_config_selectorILNS1_17partition_subalgoE4EjNS0_10empty_typeEbEEZZNS1_14partition_implILS8_4ELb0ES6_15HIP_vector_typeIjLj2EENS0_17counting_iteratorIjlEEPS9_SG_NS0_5tupleIJPjSI_NS0_16reverse_iteratorISI_EEEEENSH_IJSG_SG_SG_EEES9_SI_JZNS1_25segmented_radix_sort_implINS0_14default_configELb1EPKhPhPKlPlN2at6native12_GLOBAL__N_18offset_tEEE10hipError_tPvRmT1_PNSt15iterator_traitsIS12_E10value_typeET2_T3_PNS13_IS18_E10value_typeET4_jRbjT5_S1E_jjP12ihipStream_tbEUljE_ZNSN_ISO_Lb1ESQ_SR_ST_SU_SY_EESZ_S10_S11_S12_S16_S17_S18_S1B_S1C_jS1D_jS1E_S1E_jjS1G_bEUljE0_EEESZ_S10_S11_S18_S1C_S1E_T6_T7_T9_mT8_S1G_bDpT10_ENKUlT_T0_E_clISt17integral_constantIbLb0EES1U_EEDaS1P_S1Q_EUlS1P_E_NS1_11comp_targetILNS1_3genE8ELNS1_11target_archE1030ELNS1_3gpuE2ELNS1_3repE0EEENS1_30default_config_static_selectorELNS0_4arch9wavefront6targetE0EEEvS12_.num_named_barrier, 0
	.set _ZN7rocprim17ROCPRIM_400000_NS6detail17trampoline_kernelINS0_13select_configILj256ELj13ELNS0_17block_load_methodE3ELS4_3ELS4_3ELNS0_20block_scan_algorithmE0ELj4294967295EEENS1_25partition_config_selectorILNS1_17partition_subalgoE4EjNS0_10empty_typeEbEEZZNS1_14partition_implILS8_4ELb0ES6_15HIP_vector_typeIjLj2EENS0_17counting_iteratorIjlEEPS9_SG_NS0_5tupleIJPjSI_NS0_16reverse_iteratorISI_EEEEENSH_IJSG_SG_SG_EEES9_SI_JZNS1_25segmented_radix_sort_implINS0_14default_configELb1EPKhPhPKlPlN2at6native12_GLOBAL__N_18offset_tEEE10hipError_tPvRmT1_PNSt15iterator_traitsIS12_E10value_typeET2_T3_PNS13_IS18_E10value_typeET4_jRbjT5_S1E_jjP12ihipStream_tbEUljE_ZNSN_ISO_Lb1ESQ_SR_ST_SU_SY_EESZ_S10_S11_S12_S16_S17_S18_S1B_S1C_jS1D_jS1E_S1E_jjS1G_bEUljE0_EEESZ_S10_S11_S18_S1C_S1E_T6_T7_T9_mT8_S1G_bDpT10_ENKUlT_T0_E_clISt17integral_constantIbLb0EES1U_EEDaS1P_S1Q_EUlS1P_E_NS1_11comp_targetILNS1_3genE8ELNS1_11target_archE1030ELNS1_3gpuE2ELNS1_3repE0EEENS1_30default_config_static_selectorELNS0_4arch9wavefront6targetE0EEEvS12_.private_seg_size, 0
	.set _ZN7rocprim17ROCPRIM_400000_NS6detail17trampoline_kernelINS0_13select_configILj256ELj13ELNS0_17block_load_methodE3ELS4_3ELS4_3ELNS0_20block_scan_algorithmE0ELj4294967295EEENS1_25partition_config_selectorILNS1_17partition_subalgoE4EjNS0_10empty_typeEbEEZZNS1_14partition_implILS8_4ELb0ES6_15HIP_vector_typeIjLj2EENS0_17counting_iteratorIjlEEPS9_SG_NS0_5tupleIJPjSI_NS0_16reverse_iteratorISI_EEEEENSH_IJSG_SG_SG_EEES9_SI_JZNS1_25segmented_radix_sort_implINS0_14default_configELb1EPKhPhPKlPlN2at6native12_GLOBAL__N_18offset_tEEE10hipError_tPvRmT1_PNSt15iterator_traitsIS12_E10value_typeET2_T3_PNS13_IS18_E10value_typeET4_jRbjT5_S1E_jjP12ihipStream_tbEUljE_ZNSN_ISO_Lb1ESQ_SR_ST_SU_SY_EESZ_S10_S11_S12_S16_S17_S18_S1B_S1C_jS1D_jS1E_S1E_jjS1G_bEUljE0_EEESZ_S10_S11_S18_S1C_S1E_T6_T7_T9_mT8_S1G_bDpT10_ENKUlT_T0_E_clISt17integral_constantIbLb0EES1U_EEDaS1P_S1Q_EUlS1P_E_NS1_11comp_targetILNS1_3genE8ELNS1_11target_archE1030ELNS1_3gpuE2ELNS1_3repE0EEENS1_30default_config_static_selectorELNS0_4arch9wavefront6targetE0EEEvS12_.uses_vcc, 0
	.set _ZN7rocprim17ROCPRIM_400000_NS6detail17trampoline_kernelINS0_13select_configILj256ELj13ELNS0_17block_load_methodE3ELS4_3ELS4_3ELNS0_20block_scan_algorithmE0ELj4294967295EEENS1_25partition_config_selectorILNS1_17partition_subalgoE4EjNS0_10empty_typeEbEEZZNS1_14partition_implILS8_4ELb0ES6_15HIP_vector_typeIjLj2EENS0_17counting_iteratorIjlEEPS9_SG_NS0_5tupleIJPjSI_NS0_16reverse_iteratorISI_EEEEENSH_IJSG_SG_SG_EEES9_SI_JZNS1_25segmented_radix_sort_implINS0_14default_configELb1EPKhPhPKlPlN2at6native12_GLOBAL__N_18offset_tEEE10hipError_tPvRmT1_PNSt15iterator_traitsIS12_E10value_typeET2_T3_PNS13_IS18_E10value_typeET4_jRbjT5_S1E_jjP12ihipStream_tbEUljE_ZNSN_ISO_Lb1ESQ_SR_ST_SU_SY_EESZ_S10_S11_S12_S16_S17_S18_S1B_S1C_jS1D_jS1E_S1E_jjS1G_bEUljE0_EEESZ_S10_S11_S18_S1C_S1E_T6_T7_T9_mT8_S1G_bDpT10_ENKUlT_T0_E_clISt17integral_constantIbLb0EES1U_EEDaS1P_S1Q_EUlS1P_E_NS1_11comp_targetILNS1_3genE8ELNS1_11target_archE1030ELNS1_3gpuE2ELNS1_3repE0EEENS1_30default_config_static_selectorELNS0_4arch9wavefront6targetE0EEEvS12_.uses_flat_scratch, 0
	.set _ZN7rocprim17ROCPRIM_400000_NS6detail17trampoline_kernelINS0_13select_configILj256ELj13ELNS0_17block_load_methodE3ELS4_3ELS4_3ELNS0_20block_scan_algorithmE0ELj4294967295EEENS1_25partition_config_selectorILNS1_17partition_subalgoE4EjNS0_10empty_typeEbEEZZNS1_14partition_implILS8_4ELb0ES6_15HIP_vector_typeIjLj2EENS0_17counting_iteratorIjlEEPS9_SG_NS0_5tupleIJPjSI_NS0_16reverse_iteratorISI_EEEEENSH_IJSG_SG_SG_EEES9_SI_JZNS1_25segmented_radix_sort_implINS0_14default_configELb1EPKhPhPKlPlN2at6native12_GLOBAL__N_18offset_tEEE10hipError_tPvRmT1_PNSt15iterator_traitsIS12_E10value_typeET2_T3_PNS13_IS18_E10value_typeET4_jRbjT5_S1E_jjP12ihipStream_tbEUljE_ZNSN_ISO_Lb1ESQ_SR_ST_SU_SY_EESZ_S10_S11_S12_S16_S17_S18_S1B_S1C_jS1D_jS1E_S1E_jjS1G_bEUljE0_EEESZ_S10_S11_S18_S1C_S1E_T6_T7_T9_mT8_S1G_bDpT10_ENKUlT_T0_E_clISt17integral_constantIbLb0EES1U_EEDaS1P_S1Q_EUlS1P_E_NS1_11comp_targetILNS1_3genE8ELNS1_11target_archE1030ELNS1_3gpuE2ELNS1_3repE0EEENS1_30default_config_static_selectorELNS0_4arch9wavefront6targetE0EEEvS12_.has_dyn_sized_stack, 0
	.set _ZN7rocprim17ROCPRIM_400000_NS6detail17trampoline_kernelINS0_13select_configILj256ELj13ELNS0_17block_load_methodE3ELS4_3ELS4_3ELNS0_20block_scan_algorithmE0ELj4294967295EEENS1_25partition_config_selectorILNS1_17partition_subalgoE4EjNS0_10empty_typeEbEEZZNS1_14partition_implILS8_4ELb0ES6_15HIP_vector_typeIjLj2EENS0_17counting_iteratorIjlEEPS9_SG_NS0_5tupleIJPjSI_NS0_16reverse_iteratorISI_EEEEENSH_IJSG_SG_SG_EEES9_SI_JZNS1_25segmented_radix_sort_implINS0_14default_configELb1EPKhPhPKlPlN2at6native12_GLOBAL__N_18offset_tEEE10hipError_tPvRmT1_PNSt15iterator_traitsIS12_E10value_typeET2_T3_PNS13_IS18_E10value_typeET4_jRbjT5_S1E_jjP12ihipStream_tbEUljE_ZNSN_ISO_Lb1ESQ_SR_ST_SU_SY_EESZ_S10_S11_S12_S16_S17_S18_S1B_S1C_jS1D_jS1E_S1E_jjS1G_bEUljE0_EEESZ_S10_S11_S18_S1C_S1E_T6_T7_T9_mT8_S1G_bDpT10_ENKUlT_T0_E_clISt17integral_constantIbLb0EES1U_EEDaS1P_S1Q_EUlS1P_E_NS1_11comp_targetILNS1_3genE8ELNS1_11target_archE1030ELNS1_3gpuE2ELNS1_3repE0EEENS1_30default_config_static_selectorELNS0_4arch9wavefront6targetE0EEEvS12_.has_recursion, 0
	.set _ZN7rocprim17ROCPRIM_400000_NS6detail17trampoline_kernelINS0_13select_configILj256ELj13ELNS0_17block_load_methodE3ELS4_3ELS4_3ELNS0_20block_scan_algorithmE0ELj4294967295EEENS1_25partition_config_selectorILNS1_17partition_subalgoE4EjNS0_10empty_typeEbEEZZNS1_14partition_implILS8_4ELb0ES6_15HIP_vector_typeIjLj2EENS0_17counting_iteratorIjlEEPS9_SG_NS0_5tupleIJPjSI_NS0_16reverse_iteratorISI_EEEEENSH_IJSG_SG_SG_EEES9_SI_JZNS1_25segmented_radix_sort_implINS0_14default_configELb1EPKhPhPKlPlN2at6native12_GLOBAL__N_18offset_tEEE10hipError_tPvRmT1_PNSt15iterator_traitsIS12_E10value_typeET2_T3_PNS13_IS18_E10value_typeET4_jRbjT5_S1E_jjP12ihipStream_tbEUljE_ZNSN_ISO_Lb1ESQ_SR_ST_SU_SY_EESZ_S10_S11_S12_S16_S17_S18_S1B_S1C_jS1D_jS1E_S1E_jjS1G_bEUljE0_EEESZ_S10_S11_S18_S1C_S1E_T6_T7_T9_mT8_S1G_bDpT10_ENKUlT_T0_E_clISt17integral_constantIbLb0EES1U_EEDaS1P_S1Q_EUlS1P_E_NS1_11comp_targetILNS1_3genE8ELNS1_11target_archE1030ELNS1_3gpuE2ELNS1_3repE0EEENS1_30default_config_static_selectorELNS0_4arch9wavefront6targetE0EEEvS12_.has_indirect_call, 0
	.section	.AMDGPU.csdata,"",@progbits
; Kernel info:
; codeLenInByte = 0
; TotalNumSgprs: 0
; NumVgprs: 0
; ScratchSize: 0
; MemoryBound: 0
; FloatMode: 240
; IeeeMode: 1
; LDSByteSize: 0 bytes/workgroup (compile time only)
; SGPRBlocks: 0
; VGPRBlocks: 0
; NumSGPRsForWavesPerEU: 1
; NumVGPRsForWavesPerEU: 1
; Occupancy: 16
; WaveLimiterHint : 0
; COMPUTE_PGM_RSRC2:SCRATCH_EN: 0
; COMPUTE_PGM_RSRC2:USER_SGPR: 2
; COMPUTE_PGM_RSRC2:TRAP_HANDLER: 0
; COMPUTE_PGM_RSRC2:TGID_X_EN: 1
; COMPUTE_PGM_RSRC2:TGID_Y_EN: 0
; COMPUTE_PGM_RSRC2:TGID_Z_EN: 0
; COMPUTE_PGM_RSRC2:TIDIG_COMP_CNT: 0
	.section	.text._ZN7rocprim17ROCPRIM_400000_NS6detail17trampoline_kernelINS0_14default_configENS1_25transform_config_selectorImLb1EEEZNS1_14transform_implILb1ES3_S5_PmPjNS0_8identityIvEEEE10hipError_tT2_T3_mT4_P12ihipStream_tbEUlT_E_NS1_11comp_targetILNS1_3genE0ELNS1_11target_archE4294967295ELNS1_3gpuE0ELNS1_3repE0EEENS1_30default_config_static_selectorELNS0_4arch9wavefront6targetE0EEEvT1_,"axG",@progbits,_ZN7rocprim17ROCPRIM_400000_NS6detail17trampoline_kernelINS0_14default_configENS1_25transform_config_selectorImLb1EEEZNS1_14transform_implILb1ES3_S5_PmPjNS0_8identityIvEEEE10hipError_tT2_T3_mT4_P12ihipStream_tbEUlT_E_NS1_11comp_targetILNS1_3genE0ELNS1_11target_archE4294967295ELNS1_3gpuE0ELNS1_3repE0EEENS1_30default_config_static_selectorELNS0_4arch9wavefront6targetE0EEEvT1_,comdat
	.protected	_ZN7rocprim17ROCPRIM_400000_NS6detail17trampoline_kernelINS0_14default_configENS1_25transform_config_selectorImLb1EEEZNS1_14transform_implILb1ES3_S5_PmPjNS0_8identityIvEEEE10hipError_tT2_T3_mT4_P12ihipStream_tbEUlT_E_NS1_11comp_targetILNS1_3genE0ELNS1_11target_archE4294967295ELNS1_3gpuE0ELNS1_3repE0EEENS1_30default_config_static_selectorELNS0_4arch9wavefront6targetE0EEEvT1_ ; -- Begin function _ZN7rocprim17ROCPRIM_400000_NS6detail17trampoline_kernelINS0_14default_configENS1_25transform_config_selectorImLb1EEEZNS1_14transform_implILb1ES3_S5_PmPjNS0_8identityIvEEEE10hipError_tT2_T3_mT4_P12ihipStream_tbEUlT_E_NS1_11comp_targetILNS1_3genE0ELNS1_11target_archE4294967295ELNS1_3gpuE0ELNS1_3repE0EEENS1_30default_config_static_selectorELNS0_4arch9wavefront6targetE0EEEvT1_
	.globl	_ZN7rocprim17ROCPRIM_400000_NS6detail17trampoline_kernelINS0_14default_configENS1_25transform_config_selectorImLb1EEEZNS1_14transform_implILb1ES3_S5_PmPjNS0_8identityIvEEEE10hipError_tT2_T3_mT4_P12ihipStream_tbEUlT_E_NS1_11comp_targetILNS1_3genE0ELNS1_11target_archE4294967295ELNS1_3gpuE0ELNS1_3repE0EEENS1_30default_config_static_selectorELNS0_4arch9wavefront6targetE0EEEvT1_
	.p2align	8
	.type	_ZN7rocprim17ROCPRIM_400000_NS6detail17trampoline_kernelINS0_14default_configENS1_25transform_config_selectorImLb1EEEZNS1_14transform_implILb1ES3_S5_PmPjNS0_8identityIvEEEE10hipError_tT2_T3_mT4_P12ihipStream_tbEUlT_E_NS1_11comp_targetILNS1_3genE0ELNS1_11target_archE4294967295ELNS1_3gpuE0ELNS1_3repE0EEENS1_30default_config_static_selectorELNS0_4arch9wavefront6targetE0EEEvT1_,@function
_ZN7rocprim17ROCPRIM_400000_NS6detail17trampoline_kernelINS0_14default_configENS1_25transform_config_selectorImLb1EEEZNS1_14transform_implILb1ES3_S5_PmPjNS0_8identityIvEEEE10hipError_tT2_T3_mT4_P12ihipStream_tbEUlT_E_NS1_11comp_targetILNS1_3genE0ELNS1_11target_archE4294967295ELNS1_3gpuE0ELNS1_3repE0EEENS1_30default_config_static_selectorELNS0_4arch9wavefront6targetE0EEEvT1_: ; @_ZN7rocprim17ROCPRIM_400000_NS6detail17trampoline_kernelINS0_14default_configENS1_25transform_config_selectorImLb1EEEZNS1_14transform_implILb1ES3_S5_PmPjNS0_8identityIvEEEE10hipError_tT2_T3_mT4_P12ihipStream_tbEUlT_E_NS1_11comp_targetILNS1_3genE0ELNS1_11target_archE4294967295ELNS1_3gpuE0ELNS1_3repE0EEENS1_30default_config_static_selectorELNS0_4arch9wavefront6targetE0EEEvT1_
; %bb.0:
	.section	.rodata,"a",@progbits
	.p2align	6, 0x0
	.amdhsa_kernel _ZN7rocprim17ROCPRIM_400000_NS6detail17trampoline_kernelINS0_14default_configENS1_25transform_config_selectorImLb1EEEZNS1_14transform_implILb1ES3_S5_PmPjNS0_8identityIvEEEE10hipError_tT2_T3_mT4_P12ihipStream_tbEUlT_E_NS1_11comp_targetILNS1_3genE0ELNS1_11target_archE4294967295ELNS1_3gpuE0ELNS1_3repE0EEENS1_30default_config_static_selectorELNS0_4arch9wavefront6targetE0EEEvT1_
		.amdhsa_group_segment_fixed_size 0
		.amdhsa_private_segment_fixed_size 0
		.amdhsa_kernarg_size 40
		.amdhsa_user_sgpr_count 2
		.amdhsa_user_sgpr_dispatch_ptr 0
		.amdhsa_user_sgpr_queue_ptr 0
		.amdhsa_user_sgpr_kernarg_segment_ptr 1
		.amdhsa_user_sgpr_dispatch_id 0
		.amdhsa_user_sgpr_private_segment_size 0
		.amdhsa_wavefront_size32 1
		.amdhsa_uses_dynamic_stack 0
		.amdhsa_enable_private_segment 0
		.amdhsa_system_sgpr_workgroup_id_x 1
		.amdhsa_system_sgpr_workgroup_id_y 0
		.amdhsa_system_sgpr_workgroup_id_z 0
		.amdhsa_system_sgpr_workgroup_info 0
		.amdhsa_system_vgpr_workitem_id 0
		.amdhsa_next_free_vgpr 1
		.amdhsa_next_free_sgpr 1
		.amdhsa_reserve_vcc 0
		.amdhsa_float_round_mode_32 0
		.amdhsa_float_round_mode_16_64 0
		.amdhsa_float_denorm_mode_32 3
		.amdhsa_float_denorm_mode_16_64 3
		.amdhsa_fp16_overflow 0
		.amdhsa_workgroup_processor_mode 1
		.amdhsa_memory_ordered 1
		.amdhsa_forward_progress 1
		.amdhsa_inst_pref_size 0
		.amdhsa_round_robin_scheduling 0
		.amdhsa_exception_fp_ieee_invalid_op 0
		.amdhsa_exception_fp_denorm_src 0
		.amdhsa_exception_fp_ieee_div_zero 0
		.amdhsa_exception_fp_ieee_overflow 0
		.amdhsa_exception_fp_ieee_underflow 0
		.amdhsa_exception_fp_ieee_inexact 0
		.amdhsa_exception_int_div_zero 0
	.end_amdhsa_kernel
	.section	.text._ZN7rocprim17ROCPRIM_400000_NS6detail17trampoline_kernelINS0_14default_configENS1_25transform_config_selectorImLb1EEEZNS1_14transform_implILb1ES3_S5_PmPjNS0_8identityIvEEEE10hipError_tT2_T3_mT4_P12ihipStream_tbEUlT_E_NS1_11comp_targetILNS1_3genE0ELNS1_11target_archE4294967295ELNS1_3gpuE0ELNS1_3repE0EEENS1_30default_config_static_selectorELNS0_4arch9wavefront6targetE0EEEvT1_,"axG",@progbits,_ZN7rocprim17ROCPRIM_400000_NS6detail17trampoline_kernelINS0_14default_configENS1_25transform_config_selectorImLb1EEEZNS1_14transform_implILb1ES3_S5_PmPjNS0_8identityIvEEEE10hipError_tT2_T3_mT4_P12ihipStream_tbEUlT_E_NS1_11comp_targetILNS1_3genE0ELNS1_11target_archE4294967295ELNS1_3gpuE0ELNS1_3repE0EEENS1_30default_config_static_selectorELNS0_4arch9wavefront6targetE0EEEvT1_,comdat
.Lfunc_end12:
	.size	_ZN7rocprim17ROCPRIM_400000_NS6detail17trampoline_kernelINS0_14default_configENS1_25transform_config_selectorImLb1EEEZNS1_14transform_implILb1ES3_S5_PmPjNS0_8identityIvEEEE10hipError_tT2_T3_mT4_P12ihipStream_tbEUlT_E_NS1_11comp_targetILNS1_3genE0ELNS1_11target_archE4294967295ELNS1_3gpuE0ELNS1_3repE0EEENS1_30default_config_static_selectorELNS0_4arch9wavefront6targetE0EEEvT1_, .Lfunc_end12-_ZN7rocprim17ROCPRIM_400000_NS6detail17trampoline_kernelINS0_14default_configENS1_25transform_config_selectorImLb1EEEZNS1_14transform_implILb1ES3_S5_PmPjNS0_8identityIvEEEE10hipError_tT2_T3_mT4_P12ihipStream_tbEUlT_E_NS1_11comp_targetILNS1_3genE0ELNS1_11target_archE4294967295ELNS1_3gpuE0ELNS1_3repE0EEENS1_30default_config_static_selectorELNS0_4arch9wavefront6targetE0EEEvT1_
                                        ; -- End function
	.set _ZN7rocprim17ROCPRIM_400000_NS6detail17trampoline_kernelINS0_14default_configENS1_25transform_config_selectorImLb1EEEZNS1_14transform_implILb1ES3_S5_PmPjNS0_8identityIvEEEE10hipError_tT2_T3_mT4_P12ihipStream_tbEUlT_E_NS1_11comp_targetILNS1_3genE0ELNS1_11target_archE4294967295ELNS1_3gpuE0ELNS1_3repE0EEENS1_30default_config_static_selectorELNS0_4arch9wavefront6targetE0EEEvT1_.num_vgpr, 0
	.set _ZN7rocprim17ROCPRIM_400000_NS6detail17trampoline_kernelINS0_14default_configENS1_25transform_config_selectorImLb1EEEZNS1_14transform_implILb1ES3_S5_PmPjNS0_8identityIvEEEE10hipError_tT2_T3_mT4_P12ihipStream_tbEUlT_E_NS1_11comp_targetILNS1_3genE0ELNS1_11target_archE4294967295ELNS1_3gpuE0ELNS1_3repE0EEENS1_30default_config_static_selectorELNS0_4arch9wavefront6targetE0EEEvT1_.num_agpr, 0
	.set _ZN7rocprim17ROCPRIM_400000_NS6detail17trampoline_kernelINS0_14default_configENS1_25transform_config_selectorImLb1EEEZNS1_14transform_implILb1ES3_S5_PmPjNS0_8identityIvEEEE10hipError_tT2_T3_mT4_P12ihipStream_tbEUlT_E_NS1_11comp_targetILNS1_3genE0ELNS1_11target_archE4294967295ELNS1_3gpuE0ELNS1_3repE0EEENS1_30default_config_static_selectorELNS0_4arch9wavefront6targetE0EEEvT1_.numbered_sgpr, 0
	.set _ZN7rocprim17ROCPRIM_400000_NS6detail17trampoline_kernelINS0_14default_configENS1_25transform_config_selectorImLb1EEEZNS1_14transform_implILb1ES3_S5_PmPjNS0_8identityIvEEEE10hipError_tT2_T3_mT4_P12ihipStream_tbEUlT_E_NS1_11comp_targetILNS1_3genE0ELNS1_11target_archE4294967295ELNS1_3gpuE0ELNS1_3repE0EEENS1_30default_config_static_selectorELNS0_4arch9wavefront6targetE0EEEvT1_.num_named_barrier, 0
	.set _ZN7rocprim17ROCPRIM_400000_NS6detail17trampoline_kernelINS0_14default_configENS1_25transform_config_selectorImLb1EEEZNS1_14transform_implILb1ES3_S5_PmPjNS0_8identityIvEEEE10hipError_tT2_T3_mT4_P12ihipStream_tbEUlT_E_NS1_11comp_targetILNS1_3genE0ELNS1_11target_archE4294967295ELNS1_3gpuE0ELNS1_3repE0EEENS1_30default_config_static_selectorELNS0_4arch9wavefront6targetE0EEEvT1_.private_seg_size, 0
	.set _ZN7rocprim17ROCPRIM_400000_NS6detail17trampoline_kernelINS0_14default_configENS1_25transform_config_selectorImLb1EEEZNS1_14transform_implILb1ES3_S5_PmPjNS0_8identityIvEEEE10hipError_tT2_T3_mT4_P12ihipStream_tbEUlT_E_NS1_11comp_targetILNS1_3genE0ELNS1_11target_archE4294967295ELNS1_3gpuE0ELNS1_3repE0EEENS1_30default_config_static_selectorELNS0_4arch9wavefront6targetE0EEEvT1_.uses_vcc, 0
	.set _ZN7rocprim17ROCPRIM_400000_NS6detail17trampoline_kernelINS0_14default_configENS1_25transform_config_selectorImLb1EEEZNS1_14transform_implILb1ES3_S5_PmPjNS0_8identityIvEEEE10hipError_tT2_T3_mT4_P12ihipStream_tbEUlT_E_NS1_11comp_targetILNS1_3genE0ELNS1_11target_archE4294967295ELNS1_3gpuE0ELNS1_3repE0EEENS1_30default_config_static_selectorELNS0_4arch9wavefront6targetE0EEEvT1_.uses_flat_scratch, 0
	.set _ZN7rocprim17ROCPRIM_400000_NS6detail17trampoline_kernelINS0_14default_configENS1_25transform_config_selectorImLb1EEEZNS1_14transform_implILb1ES3_S5_PmPjNS0_8identityIvEEEE10hipError_tT2_T3_mT4_P12ihipStream_tbEUlT_E_NS1_11comp_targetILNS1_3genE0ELNS1_11target_archE4294967295ELNS1_3gpuE0ELNS1_3repE0EEENS1_30default_config_static_selectorELNS0_4arch9wavefront6targetE0EEEvT1_.has_dyn_sized_stack, 0
	.set _ZN7rocprim17ROCPRIM_400000_NS6detail17trampoline_kernelINS0_14default_configENS1_25transform_config_selectorImLb1EEEZNS1_14transform_implILb1ES3_S5_PmPjNS0_8identityIvEEEE10hipError_tT2_T3_mT4_P12ihipStream_tbEUlT_E_NS1_11comp_targetILNS1_3genE0ELNS1_11target_archE4294967295ELNS1_3gpuE0ELNS1_3repE0EEENS1_30default_config_static_selectorELNS0_4arch9wavefront6targetE0EEEvT1_.has_recursion, 0
	.set _ZN7rocprim17ROCPRIM_400000_NS6detail17trampoline_kernelINS0_14default_configENS1_25transform_config_selectorImLb1EEEZNS1_14transform_implILb1ES3_S5_PmPjNS0_8identityIvEEEE10hipError_tT2_T3_mT4_P12ihipStream_tbEUlT_E_NS1_11comp_targetILNS1_3genE0ELNS1_11target_archE4294967295ELNS1_3gpuE0ELNS1_3repE0EEENS1_30default_config_static_selectorELNS0_4arch9wavefront6targetE0EEEvT1_.has_indirect_call, 0
	.section	.AMDGPU.csdata,"",@progbits
; Kernel info:
; codeLenInByte = 0
; TotalNumSgprs: 0
; NumVgprs: 0
; ScratchSize: 0
; MemoryBound: 0
; FloatMode: 240
; IeeeMode: 1
; LDSByteSize: 0 bytes/workgroup (compile time only)
; SGPRBlocks: 0
; VGPRBlocks: 0
; NumSGPRsForWavesPerEU: 1
; NumVGPRsForWavesPerEU: 1
; Occupancy: 16
; WaveLimiterHint : 0
; COMPUTE_PGM_RSRC2:SCRATCH_EN: 0
; COMPUTE_PGM_RSRC2:USER_SGPR: 2
; COMPUTE_PGM_RSRC2:TRAP_HANDLER: 0
; COMPUTE_PGM_RSRC2:TGID_X_EN: 1
; COMPUTE_PGM_RSRC2:TGID_Y_EN: 0
; COMPUTE_PGM_RSRC2:TGID_Z_EN: 0
; COMPUTE_PGM_RSRC2:TIDIG_COMP_CNT: 0
	.section	.text._ZN7rocprim17ROCPRIM_400000_NS6detail17trampoline_kernelINS0_14default_configENS1_25transform_config_selectorImLb1EEEZNS1_14transform_implILb1ES3_S5_PmPjNS0_8identityIvEEEE10hipError_tT2_T3_mT4_P12ihipStream_tbEUlT_E_NS1_11comp_targetILNS1_3genE10ELNS1_11target_archE1201ELNS1_3gpuE5ELNS1_3repE0EEENS1_30default_config_static_selectorELNS0_4arch9wavefront6targetE0EEEvT1_,"axG",@progbits,_ZN7rocprim17ROCPRIM_400000_NS6detail17trampoline_kernelINS0_14default_configENS1_25transform_config_selectorImLb1EEEZNS1_14transform_implILb1ES3_S5_PmPjNS0_8identityIvEEEE10hipError_tT2_T3_mT4_P12ihipStream_tbEUlT_E_NS1_11comp_targetILNS1_3genE10ELNS1_11target_archE1201ELNS1_3gpuE5ELNS1_3repE0EEENS1_30default_config_static_selectorELNS0_4arch9wavefront6targetE0EEEvT1_,comdat
	.protected	_ZN7rocprim17ROCPRIM_400000_NS6detail17trampoline_kernelINS0_14default_configENS1_25transform_config_selectorImLb1EEEZNS1_14transform_implILb1ES3_S5_PmPjNS0_8identityIvEEEE10hipError_tT2_T3_mT4_P12ihipStream_tbEUlT_E_NS1_11comp_targetILNS1_3genE10ELNS1_11target_archE1201ELNS1_3gpuE5ELNS1_3repE0EEENS1_30default_config_static_selectorELNS0_4arch9wavefront6targetE0EEEvT1_ ; -- Begin function _ZN7rocprim17ROCPRIM_400000_NS6detail17trampoline_kernelINS0_14default_configENS1_25transform_config_selectorImLb1EEEZNS1_14transform_implILb1ES3_S5_PmPjNS0_8identityIvEEEE10hipError_tT2_T3_mT4_P12ihipStream_tbEUlT_E_NS1_11comp_targetILNS1_3genE10ELNS1_11target_archE1201ELNS1_3gpuE5ELNS1_3repE0EEENS1_30default_config_static_selectorELNS0_4arch9wavefront6targetE0EEEvT1_
	.globl	_ZN7rocprim17ROCPRIM_400000_NS6detail17trampoline_kernelINS0_14default_configENS1_25transform_config_selectorImLb1EEEZNS1_14transform_implILb1ES3_S5_PmPjNS0_8identityIvEEEE10hipError_tT2_T3_mT4_P12ihipStream_tbEUlT_E_NS1_11comp_targetILNS1_3genE10ELNS1_11target_archE1201ELNS1_3gpuE5ELNS1_3repE0EEENS1_30default_config_static_selectorELNS0_4arch9wavefront6targetE0EEEvT1_
	.p2align	8
	.type	_ZN7rocprim17ROCPRIM_400000_NS6detail17trampoline_kernelINS0_14default_configENS1_25transform_config_selectorImLb1EEEZNS1_14transform_implILb1ES3_S5_PmPjNS0_8identityIvEEEE10hipError_tT2_T3_mT4_P12ihipStream_tbEUlT_E_NS1_11comp_targetILNS1_3genE10ELNS1_11target_archE1201ELNS1_3gpuE5ELNS1_3repE0EEENS1_30default_config_static_selectorELNS0_4arch9wavefront6targetE0EEEvT1_,@function
_ZN7rocprim17ROCPRIM_400000_NS6detail17trampoline_kernelINS0_14default_configENS1_25transform_config_selectorImLb1EEEZNS1_14transform_implILb1ES3_S5_PmPjNS0_8identityIvEEEE10hipError_tT2_T3_mT4_P12ihipStream_tbEUlT_E_NS1_11comp_targetILNS1_3genE10ELNS1_11target_archE1201ELNS1_3gpuE5ELNS1_3repE0EEENS1_30default_config_static_selectorELNS0_4arch9wavefront6targetE0EEEvT1_: ; @_ZN7rocprim17ROCPRIM_400000_NS6detail17trampoline_kernelINS0_14default_configENS1_25transform_config_selectorImLb1EEEZNS1_14transform_implILb1ES3_S5_PmPjNS0_8identityIvEEEE10hipError_tT2_T3_mT4_P12ihipStream_tbEUlT_E_NS1_11comp_targetILNS1_3genE10ELNS1_11target_archE1201ELNS1_3gpuE5ELNS1_3repE0EEENS1_30default_config_static_selectorELNS0_4arch9wavefront6targetE0EEEvT1_
; %bb.0:
	s_clause 0x1
	s_load_b256 s[4:11], s[0:1], 0x0
	s_load_b32 s1, s[0:1], 0x28
	s_lshl_b32 s2, ttmp9, 11
	s_mov_b32 s3, 0
	s_mov_b32 s0, -1
	s_wait_kmcnt 0x0
	s_lshl_b64 s[12:13], s[6:7], 3
	s_lshl_b64 s[6:7], s[6:7], 2
	s_add_co_i32 s1, s1, -1
	s_add_nc_u64 s[12:13], s[4:5], s[12:13]
	s_add_nc_u64 s[4:5], s[10:11], s[6:7]
	s_lshl_b64 s[6:7], s[2:3], 3
	s_cmp_lg_u32 ttmp9, s1
	s_add_nc_u64 s[6:7], s[12:13], s[6:7]
	s_cbranch_scc0 .LBB13_2
; %bb.1:
	v_lshlrev_b32_e32 v1, 4, v0
	s_lshl_b64 s[0:1], s[2:3], 2
	s_delay_alu instid0(SALU_CYCLE_1)
	s_add_nc_u64 s[10:11], s[4:5], s[0:1]
	s_mov_b32 s0, s3
	global_load_b96 v[1:3], v1, s[6:7] th:TH_LOAD_NT
	s_wait_loadcnt 0x0
	v_dual_mov_b32 v2, v3 :: v_dual_lshlrev_b32 v3, 3, v0
	global_store_b64 v3, v[1:2], s[10:11]
.LBB13_2:
	s_and_not1_b32 vcc_lo, exec_lo, s0
	s_cbranch_vccnz .LBB13_11
; %bb.3:
	v_mov_b32_e32 v1, 0
	s_sub_co_i32 s1, s8, s2
	s_delay_alu instid0(SALU_CYCLE_1) | instskip(NEXT) | instid1(VALU_DEP_2)
	v_cmp_gt_u32_e32 vcc_lo, s1, v0
	v_mov_b32_e32 v3, v1
	s_and_saveexec_b32 s0, vcc_lo
	s_cbranch_execz .LBB13_5
; %bb.4:
	v_lshlrev_b32_e32 v2, 3, v0
	v_mov_b32_e32 v4, v1
	global_load_b64 v[2:3], v2, s[6:7]
	s_wait_loadcnt 0x0
	v_mov_b32_e32 v1, v2
	v_mov_b32_e32 v2, v3
	;; [unrolled: 1-line block ×4, first 2 shown]
.LBB13_5:
	s_wait_alu 0xfffe
	s_or_b32 exec_lo, exec_lo, s0
	v_or_b32_e32 v2, 0x400, v0
	s_delay_alu instid0(VALU_DEP_1) | instskip(SKIP_2) | instid1(SALU_CYCLE_1)
	v_cmp_gt_u32_e64 s0, s1, v2
	v_cmp_le_u32_e64 s1, s1, v2
	s_and_saveexec_b32 s8, s1
	s_xor_b32 s1, exec_lo, s8
	s_wait_alu 0xfffe
	s_and_not1_saveexec_b32 s1, s1
	s_cbranch_execz .LBB13_7
; %bb.6:
	v_lshlrev_b32_e32 v2, 3, v0
	global_load_b64 v[3:4], v2, s[6:7] offset:8192
.LBB13_7:
	s_wait_alu 0xfffe
	s_or_b32 exec_lo, exec_lo, s1
	v_lshlrev_b32_e32 v0, 2, v0
	s_lshl_b64 s[2:3], s[2:3], 2
	s_wait_loadcnt 0x0
	v_cndmask_b32_e32 v4, 0, v1, vcc_lo
	s_add_nc_u64 s[2:3], s[4:5], s[2:3]
	v_cndmask_b32_e64 v2, 0, v3, s0
	v_add_co_u32 v0, s1, s2, v0
	s_wait_alu 0xf1ff
	v_add_co_ci_u32_e64 v1, null, s3, 0, s1
	s_and_saveexec_b32 s1, vcc_lo
	s_cbranch_execz .LBB13_9
; %bb.8:
	global_store_b32 v[0:1], v4, off
.LBB13_9:
	s_wait_alu 0xfffe
	s_or_b32 exec_lo, exec_lo, s1
	s_and_saveexec_b32 s1, s0
	s_cbranch_execz .LBB13_11
; %bb.10:
	global_store_b32 v[0:1], v2, off offset:4096
.LBB13_11:
	s_endpgm
	.section	.rodata,"a",@progbits
	.p2align	6, 0x0
	.amdhsa_kernel _ZN7rocprim17ROCPRIM_400000_NS6detail17trampoline_kernelINS0_14default_configENS1_25transform_config_selectorImLb1EEEZNS1_14transform_implILb1ES3_S5_PmPjNS0_8identityIvEEEE10hipError_tT2_T3_mT4_P12ihipStream_tbEUlT_E_NS1_11comp_targetILNS1_3genE10ELNS1_11target_archE1201ELNS1_3gpuE5ELNS1_3repE0EEENS1_30default_config_static_selectorELNS0_4arch9wavefront6targetE0EEEvT1_
		.amdhsa_group_segment_fixed_size 0
		.amdhsa_private_segment_fixed_size 0
		.amdhsa_kernarg_size 296
		.amdhsa_user_sgpr_count 2
		.amdhsa_user_sgpr_dispatch_ptr 0
		.amdhsa_user_sgpr_queue_ptr 0
		.amdhsa_user_sgpr_kernarg_segment_ptr 1
		.amdhsa_user_sgpr_dispatch_id 0
		.amdhsa_user_sgpr_private_segment_size 0
		.amdhsa_wavefront_size32 1
		.amdhsa_uses_dynamic_stack 0
		.amdhsa_enable_private_segment 0
		.amdhsa_system_sgpr_workgroup_id_x 1
		.amdhsa_system_sgpr_workgroup_id_y 0
		.amdhsa_system_sgpr_workgroup_id_z 0
		.amdhsa_system_sgpr_workgroup_info 0
		.amdhsa_system_vgpr_workitem_id 0
		.amdhsa_next_free_vgpr 6
		.amdhsa_next_free_sgpr 14
		.amdhsa_reserve_vcc 1
		.amdhsa_float_round_mode_32 0
		.amdhsa_float_round_mode_16_64 0
		.amdhsa_float_denorm_mode_32 3
		.amdhsa_float_denorm_mode_16_64 3
		.amdhsa_fp16_overflow 0
		.amdhsa_workgroup_processor_mode 1
		.amdhsa_memory_ordered 1
		.amdhsa_forward_progress 1
		.amdhsa_inst_pref_size 3
		.amdhsa_round_robin_scheduling 0
		.amdhsa_exception_fp_ieee_invalid_op 0
		.amdhsa_exception_fp_denorm_src 0
		.amdhsa_exception_fp_ieee_div_zero 0
		.amdhsa_exception_fp_ieee_overflow 0
		.amdhsa_exception_fp_ieee_underflow 0
		.amdhsa_exception_fp_ieee_inexact 0
		.amdhsa_exception_int_div_zero 0
	.end_amdhsa_kernel
	.section	.text._ZN7rocprim17ROCPRIM_400000_NS6detail17trampoline_kernelINS0_14default_configENS1_25transform_config_selectorImLb1EEEZNS1_14transform_implILb1ES3_S5_PmPjNS0_8identityIvEEEE10hipError_tT2_T3_mT4_P12ihipStream_tbEUlT_E_NS1_11comp_targetILNS1_3genE10ELNS1_11target_archE1201ELNS1_3gpuE5ELNS1_3repE0EEENS1_30default_config_static_selectorELNS0_4arch9wavefront6targetE0EEEvT1_,"axG",@progbits,_ZN7rocprim17ROCPRIM_400000_NS6detail17trampoline_kernelINS0_14default_configENS1_25transform_config_selectorImLb1EEEZNS1_14transform_implILb1ES3_S5_PmPjNS0_8identityIvEEEE10hipError_tT2_T3_mT4_P12ihipStream_tbEUlT_E_NS1_11comp_targetILNS1_3genE10ELNS1_11target_archE1201ELNS1_3gpuE5ELNS1_3repE0EEENS1_30default_config_static_selectorELNS0_4arch9wavefront6targetE0EEEvT1_,comdat
.Lfunc_end13:
	.size	_ZN7rocprim17ROCPRIM_400000_NS6detail17trampoline_kernelINS0_14default_configENS1_25transform_config_selectorImLb1EEEZNS1_14transform_implILb1ES3_S5_PmPjNS0_8identityIvEEEE10hipError_tT2_T3_mT4_P12ihipStream_tbEUlT_E_NS1_11comp_targetILNS1_3genE10ELNS1_11target_archE1201ELNS1_3gpuE5ELNS1_3repE0EEENS1_30default_config_static_selectorELNS0_4arch9wavefront6targetE0EEEvT1_, .Lfunc_end13-_ZN7rocprim17ROCPRIM_400000_NS6detail17trampoline_kernelINS0_14default_configENS1_25transform_config_selectorImLb1EEEZNS1_14transform_implILb1ES3_S5_PmPjNS0_8identityIvEEEE10hipError_tT2_T3_mT4_P12ihipStream_tbEUlT_E_NS1_11comp_targetILNS1_3genE10ELNS1_11target_archE1201ELNS1_3gpuE5ELNS1_3repE0EEENS1_30default_config_static_selectorELNS0_4arch9wavefront6targetE0EEEvT1_
                                        ; -- End function
	.set _ZN7rocprim17ROCPRIM_400000_NS6detail17trampoline_kernelINS0_14default_configENS1_25transform_config_selectorImLb1EEEZNS1_14transform_implILb1ES3_S5_PmPjNS0_8identityIvEEEE10hipError_tT2_T3_mT4_P12ihipStream_tbEUlT_E_NS1_11comp_targetILNS1_3genE10ELNS1_11target_archE1201ELNS1_3gpuE5ELNS1_3repE0EEENS1_30default_config_static_selectorELNS0_4arch9wavefront6targetE0EEEvT1_.num_vgpr, 6
	.set _ZN7rocprim17ROCPRIM_400000_NS6detail17trampoline_kernelINS0_14default_configENS1_25transform_config_selectorImLb1EEEZNS1_14transform_implILb1ES3_S5_PmPjNS0_8identityIvEEEE10hipError_tT2_T3_mT4_P12ihipStream_tbEUlT_E_NS1_11comp_targetILNS1_3genE10ELNS1_11target_archE1201ELNS1_3gpuE5ELNS1_3repE0EEENS1_30default_config_static_selectorELNS0_4arch9wavefront6targetE0EEEvT1_.num_agpr, 0
	.set _ZN7rocprim17ROCPRIM_400000_NS6detail17trampoline_kernelINS0_14default_configENS1_25transform_config_selectorImLb1EEEZNS1_14transform_implILb1ES3_S5_PmPjNS0_8identityIvEEEE10hipError_tT2_T3_mT4_P12ihipStream_tbEUlT_E_NS1_11comp_targetILNS1_3genE10ELNS1_11target_archE1201ELNS1_3gpuE5ELNS1_3repE0EEENS1_30default_config_static_selectorELNS0_4arch9wavefront6targetE0EEEvT1_.numbered_sgpr, 14
	.set _ZN7rocprim17ROCPRIM_400000_NS6detail17trampoline_kernelINS0_14default_configENS1_25transform_config_selectorImLb1EEEZNS1_14transform_implILb1ES3_S5_PmPjNS0_8identityIvEEEE10hipError_tT2_T3_mT4_P12ihipStream_tbEUlT_E_NS1_11comp_targetILNS1_3genE10ELNS1_11target_archE1201ELNS1_3gpuE5ELNS1_3repE0EEENS1_30default_config_static_selectorELNS0_4arch9wavefront6targetE0EEEvT1_.num_named_barrier, 0
	.set _ZN7rocprim17ROCPRIM_400000_NS6detail17trampoline_kernelINS0_14default_configENS1_25transform_config_selectorImLb1EEEZNS1_14transform_implILb1ES3_S5_PmPjNS0_8identityIvEEEE10hipError_tT2_T3_mT4_P12ihipStream_tbEUlT_E_NS1_11comp_targetILNS1_3genE10ELNS1_11target_archE1201ELNS1_3gpuE5ELNS1_3repE0EEENS1_30default_config_static_selectorELNS0_4arch9wavefront6targetE0EEEvT1_.private_seg_size, 0
	.set _ZN7rocprim17ROCPRIM_400000_NS6detail17trampoline_kernelINS0_14default_configENS1_25transform_config_selectorImLb1EEEZNS1_14transform_implILb1ES3_S5_PmPjNS0_8identityIvEEEE10hipError_tT2_T3_mT4_P12ihipStream_tbEUlT_E_NS1_11comp_targetILNS1_3genE10ELNS1_11target_archE1201ELNS1_3gpuE5ELNS1_3repE0EEENS1_30default_config_static_selectorELNS0_4arch9wavefront6targetE0EEEvT1_.uses_vcc, 1
	.set _ZN7rocprim17ROCPRIM_400000_NS6detail17trampoline_kernelINS0_14default_configENS1_25transform_config_selectorImLb1EEEZNS1_14transform_implILb1ES3_S5_PmPjNS0_8identityIvEEEE10hipError_tT2_T3_mT4_P12ihipStream_tbEUlT_E_NS1_11comp_targetILNS1_3genE10ELNS1_11target_archE1201ELNS1_3gpuE5ELNS1_3repE0EEENS1_30default_config_static_selectorELNS0_4arch9wavefront6targetE0EEEvT1_.uses_flat_scratch, 0
	.set _ZN7rocprim17ROCPRIM_400000_NS6detail17trampoline_kernelINS0_14default_configENS1_25transform_config_selectorImLb1EEEZNS1_14transform_implILb1ES3_S5_PmPjNS0_8identityIvEEEE10hipError_tT2_T3_mT4_P12ihipStream_tbEUlT_E_NS1_11comp_targetILNS1_3genE10ELNS1_11target_archE1201ELNS1_3gpuE5ELNS1_3repE0EEENS1_30default_config_static_selectorELNS0_4arch9wavefront6targetE0EEEvT1_.has_dyn_sized_stack, 0
	.set _ZN7rocprim17ROCPRIM_400000_NS6detail17trampoline_kernelINS0_14default_configENS1_25transform_config_selectorImLb1EEEZNS1_14transform_implILb1ES3_S5_PmPjNS0_8identityIvEEEE10hipError_tT2_T3_mT4_P12ihipStream_tbEUlT_E_NS1_11comp_targetILNS1_3genE10ELNS1_11target_archE1201ELNS1_3gpuE5ELNS1_3repE0EEENS1_30default_config_static_selectorELNS0_4arch9wavefront6targetE0EEEvT1_.has_recursion, 0
	.set _ZN7rocprim17ROCPRIM_400000_NS6detail17trampoline_kernelINS0_14default_configENS1_25transform_config_selectorImLb1EEEZNS1_14transform_implILb1ES3_S5_PmPjNS0_8identityIvEEEE10hipError_tT2_T3_mT4_P12ihipStream_tbEUlT_E_NS1_11comp_targetILNS1_3genE10ELNS1_11target_archE1201ELNS1_3gpuE5ELNS1_3repE0EEENS1_30default_config_static_selectorELNS0_4arch9wavefront6targetE0EEEvT1_.has_indirect_call, 0
	.section	.AMDGPU.csdata,"",@progbits
; Kernel info:
; codeLenInByte = 384
; TotalNumSgprs: 16
; NumVgprs: 6
; ScratchSize: 0
; MemoryBound: 0
; FloatMode: 240
; IeeeMode: 1
; LDSByteSize: 0 bytes/workgroup (compile time only)
; SGPRBlocks: 0
; VGPRBlocks: 0
; NumSGPRsForWavesPerEU: 16
; NumVGPRsForWavesPerEU: 6
; Occupancy: 16
; WaveLimiterHint : 0
; COMPUTE_PGM_RSRC2:SCRATCH_EN: 0
; COMPUTE_PGM_RSRC2:USER_SGPR: 2
; COMPUTE_PGM_RSRC2:TRAP_HANDLER: 0
; COMPUTE_PGM_RSRC2:TGID_X_EN: 1
; COMPUTE_PGM_RSRC2:TGID_Y_EN: 0
; COMPUTE_PGM_RSRC2:TGID_Z_EN: 0
; COMPUTE_PGM_RSRC2:TIDIG_COMP_CNT: 0
	.section	.text._ZN7rocprim17ROCPRIM_400000_NS6detail17trampoline_kernelINS0_14default_configENS1_25transform_config_selectorImLb1EEEZNS1_14transform_implILb1ES3_S5_PmPjNS0_8identityIvEEEE10hipError_tT2_T3_mT4_P12ihipStream_tbEUlT_E_NS1_11comp_targetILNS1_3genE5ELNS1_11target_archE942ELNS1_3gpuE9ELNS1_3repE0EEENS1_30default_config_static_selectorELNS0_4arch9wavefront6targetE0EEEvT1_,"axG",@progbits,_ZN7rocprim17ROCPRIM_400000_NS6detail17trampoline_kernelINS0_14default_configENS1_25transform_config_selectorImLb1EEEZNS1_14transform_implILb1ES3_S5_PmPjNS0_8identityIvEEEE10hipError_tT2_T3_mT4_P12ihipStream_tbEUlT_E_NS1_11comp_targetILNS1_3genE5ELNS1_11target_archE942ELNS1_3gpuE9ELNS1_3repE0EEENS1_30default_config_static_selectorELNS0_4arch9wavefront6targetE0EEEvT1_,comdat
	.protected	_ZN7rocprim17ROCPRIM_400000_NS6detail17trampoline_kernelINS0_14default_configENS1_25transform_config_selectorImLb1EEEZNS1_14transform_implILb1ES3_S5_PmPjNS0_8identityIvEEEE10hipError_tT2_T3_mT4_P12ihipStream_tbEUlT_E_NS1_11comp_targetILNS1_3genE5ELNS1_11target_archE942ELNS1_3gpuE9ELNS1_3repE0EEENS1_30default_config_static_selectorELNS0_4arch9wavefront6targetE0EEEvT1_ ; -- Begin function _ZN7rocprim17ROCPRIM_400000_NS6detail17trampoline_kernelINS0_14default_configENS1_25transform_config_selectorImLb1EEEZNS1_14transform_implILb1ES3_S5_PmPjNS0_8identityIvEEEE10hipError_tT2_T3_mT4_P12ihipStream_tbEUlT_E_NS1_11comp_targetILNS1_3genE5ELNS1_11target_archE942ELNS1_3gpuE9ELNS1_3repE0EEENS1_30default_config_static_selectorELNS0_4arch9wavefront6targetE0EEEvT1_
	.globl	_ZN7rocprim17ROCPRIM_400000_NS6detail17trampoline_kernelINS0_14default_configENS1_25transform_config_selectorImLb1EEEZNS1_14transform_implILb1ES3_S5_PmPjNS0_8identityIvEEEE10hipError_tT2_T3_mT4_P12ihipStream_tbEUlT_E_NS1_11comp_targetILNS1_3genE5ELNS1_11target_archE942ELNS1_3gpuE9ELNS1_3repE0EEENS1_30default_config_static_selectorELNS0_4arch9wavefront6targetE0EEEvT1_
	.p2align	8
	.type	_ZN7rocprim17ROCPRIM_400000_NS6detail17trampoline_kernelINS0_14default_configENS1_25transform_config_selectorImLb1EEEZNS1_14transform_implILb1ES3_S5_PmPjNS0_8identityIvEEEE10hipError_tT2_T3_mT4_P12ihipStream_tbEUlT_E_NS1_11comp_targetILNS1_3genE5ELNS1_11target_archE942ELNS1_3gpuE9ELNS1_3repE0EEENS1_30default_config_static_selectorELNS0_4arch9wavefront6targetE0EEEvT1_,@function
_ZN7rocprim17ROCPRIM_400000_NS6detail17trampoline_kernelINS0_14default_configENS1_25transform_config_selectorImLb1EEEZNS1_14transform_implILb1ES3_S5_PmPjNS0_8identityIvEEEE10hipError_tT2_T3_mT4_P12ihipStream_tbEUlT_E_NS1_11comp_targetILNS1_3genE5ELNS1_11target_archE942ELNS1_3gpuE9ELNS1_3repE0EEENS1_30default_config_static_selectorELNS0_4arch9wavefront6targetE0EEEvT1_: ; @_ZN7rocprim17ROCPRIM_400000_NS6detail17trampoline_kernelINS0_14default_configENS1_25transform_config_selectorImLb1EEEZNS1_14transform_implILb1ES3_S5_PmPjNS0_8identityIvEEEE10hipError_tT2_T3_mT4_P12ihipStream_tbEUlT_E_NS1_11comp_targetILNS1_3genE5ELNS1_11target_archE942ELNS1_3gpuE9ELNS1_3repE0EEENS1_30default_config_static_selectorELNS0_4arch9wavefront6targetE0EEEvT1_
; %bb.0:
	.section	.rodata,"a",@progbits
	.p2align	6, 0x0
	.amdhsa_kernel _ZN7rocprim17ROCPRIM_400000_NS6detail17trampoline_kernelINS0_14default_configENS1_25transform_config_selectorImLb1EEEZNS1_14transform_implILb1ES3_S5_PmPjNS0_8identityIvEEEE10hipError_tT2_T3_mT4_P12ihipStream_tbEUlT_E_NS1_11comp_targetILNS1_3genE5ELNS1_11target_archE942ELNS1_3gpuE9ELNS1_3repE0EEENS1_30default_config_static_selectorELNS0_4arch9wavefront6targetE0EEEvT1_
		.amdhsa_group_segment_fixed_size 0
		.amdhsa_private_segment_fixed_size 0
		.amdhsa_kernarg_size 40
		.amdhsa_user_sgpr_count 2
		.amdhsa_user_sgpr_dispatch_ptr 0
		.amdhsa_user_sgpr_queue_ptr 0
		.amdhsa_user_sgpr_kernarg_segment_ptr 1
		.amdhsa_user_sgpr_dispatch_id 0
		.amdhsa_user_sgpr_private_segment_size 0
		.amdhsa_wavefront_size32 1
		.amdhsa_uses_dynamic_stack 0
		.amdhsa_enable_private_segment 0
		.amdhsa_system_sgpr_workgroup_id_x 1
		.amdhsa_system_sgpr_workgroup_id_y 0
		.amdhsa_system_sgpr_workgroup_id_z 0
		.amdhsa_system_sgpr_workgroup_info 0
		.amdhsa_system_vgpr_workitem_id 0
		.amdhsa_next_free_vgpr 1
		.amdhsa_next_free_sgpr 1
		.amdhsa_reserve_vcc 0
		.amdhsa_float_round_mode_32 0
		.amdhsa_float_round_mode_16_64 0
		.amdhsa_float_denorm_mode_32 3
		.amdhsa_float_denorm_mode_16_64 3
		.amdhsa_fp16_overflow 0
		.amdhsa_workgroup_processor_mode 1
		.amdhsa_memory_ordered 1
		.amdhsa_forward_progress 1
		.amdhsa_inst_pref_size 0
		.amdhsa_round_robin_scheduling 0
		.amdhsa_exception_fp_ieee_invalid_op 0
		.amdhsa_exception_fp_denorm_src 0
		.amdhsa_exception_fp_ieee_div_zero 0
		.amdhsa_exception_fp_ieee_overflow 0
		.amdhsa_exception_fp_ieee_underflow 0
		.amdhsa_exception_fp_ieee_inexact 0
		.amdhsa_exception_int_div_zero 0
	.end_amdhsa_kernel
	.section	.text._ZN7rocprim17ROCPRIM_400000_NS6detail17trampoline_kernelINS0_14default_configENS1_25transform_config_selectorImLb1EEEZNS1_14transform_implILb1ES3_S5_PmPjNS0_8identityIvEEEE10hipError_tT2_T3_mT4_P12ihipStream_tbEUlT_E_NS1_11comp_targetILNS1_3genE5ELNS1_11target_archE942ELNS1_3gpuE9ELNS1_3repE0EEENS1_30default_config_static_selectorELNS0_4arch9wavefront6targetE0EEEvT1_,"axG",@progbits,_ZN7rocprim17ROCPRIM_400000_NS6detail17trampoline_kernelINS0_14default_configENS1_25transform_config_selectorImLb1EEEZNS1_14transform_implILb1ES3_S5_PmPjNS0_8identityIvEEEE10hipError_tT2_T3_mT4_P12ihipStream_tbEUlT_E_NS1_11comp_targetILNS1_3genE5ELNS1_11target_archE942ELNS1_3gpuE9ELNS1_3repE0EEENS1_30default_config_static_selectorELNS0_4arch9wavefront6targetE0EEEvT1_,comdat
.Lfunc_end14:
	.size	_ZN7rocprim17ROCPRIM_400000_NS6detail17trampoline_kernelINS0_14default_configENS1_25transform_config_selectorImLb1EEEZNS1_14transform_implILb1ES3_S5_PmPjNS0_8identityIvEEEE10hipError_tT2_T3_mT4_P12ihipStream_tbEUlT_E_NS1_11comp_targetILNS1_3genE5ELNS1_11target_archE942ELNS1_3gpuE9ELNS1_3repE0EEENS1_30default_config_static_selectorELNS0_4arch9wavefront6targetE0EEEvT1_, .Lfunc_end14-_ZN7rocprim17ROCPRIM_400000_NS6detail17trampoline_kernelINS0_14default_configENS1_25transform_config_selectorImLb1EEEZNS1_14transform_implILb1ES3_S5_PmPjNS0_8identityIvEEEE10hipError_tT2_T3_mT4_P12ihipStream_tbEUlT_E_NS1_11comp_targetILNS1_3genE5ELNS1_11target_archE942ELNS1_3gpuE9ELNS1_3repE0EEENS1_30default_config_static_selectorELNS0_4arch9wavefront6targetE0EEEvT1_
                                        ; -- End function
	.set _ZN7rocprim17ROCPRIM_400000_NS6detail17trampoline_kernelINS0_14default_configENS1_25transform_config_selectorImLb1EEEZNS1_14transform_implILb1ES3_S5_PmPjNS0_8identityIvEEEE10hipError_tT2_T3_mT4_P12ihipStream_tbEUlT_E_NS1_11comp_targetILNS1_3genE5ELNS1_11target_archE942ELNS1_3gpuE9ELNS1_3repE0EEENS1_30default_config_static_selectorELNS0_4arch9wavefront6targetE0EEEvT1_.num_vgpr, 0
	.set _ZN7rocprim17ROCPRIM_400000_NS6detail17trampoline_kernelINS0_14default_configENS1_25transform_config_selectorImLb1EEEZNS1_14transform_implILb1ES3_S5_PmPjNS0_8identityIvEEEE10hipError_tT2_T3_mT4_P12ihipStream_tbEUlT_E_NS1_11comp_targetILNS1_3genE5ELNS1_11target_archE942ELNS1_3gpuE9ELNS1_3repE0EEENS1_30default_config_static_selectorELNS0_4arch9wavefront6targetE0EEEvT1_.num_agpr, 0
	.set _ZN7rocprim17ROCPRIM_400000_NS6detail17trampoline_kernelINS0_14default_configENS1_25transform_config_selectorImLb1EEEZNS1_14transform_implILb1ES3_S5_PmPjNS0_8identityIvEEEE10hipError_tT2_T3_mT4_P12ihipStream_tbEUlT_E_NS1_11comp_targetILNS1_3genE5ELNS1_11target_archE942ELNS1_3gpuE9ELNS1_3repE0EEENS1_30default_config_static_selectorELNS0_4arch9wavefront6targetE0EEEvT1_.numbered_sgpr, 0
	.set _ZN7rocprim17ROCPRIM_400000_NS6detail17trampoline_kernelINS0_14default_configENS1_25transform_config_selectorImLb1EEEZNS1_14transform_implILb1ES3_S5_PmPjNS0_8identityIvEEEE10hipError_tT2_T3_mT4_P12ihipStream_tbEUlT_E_NS1_11comp_targetILNS1_3genE5ELNS1_11target_archE942ELNS1_3gpuE9ELNS1_3repE0EEENS1_30default_config_static_selectorELNS0_4arch9wavefront6targetE0EEEvT1_.num_named_barrier, 0
	.set _ZN7rocprim17ROCPRIM_400000_NS6detail17trampoline_kernelINS0_14default_configENS1_25transform_config_selectorImLb1EEEZNS1_14transform_implILb1ES3_S5_PmPjNS0_8identityIvEEEE10hipError_tT2_T3_mT4_P12ihipStream_tbEUlT_E_NS1_11comp_targetILNS1_3genE5ELNS1_11target_archE942ELNS1_3gpuE9ELNS1_3repE0EEENS1_30default_config_static_selectorELNS0_4arch9wavefront6targetE0EEEvT1_.private_seg_size, 0
	.set _ZN7rocprim17ROCPRIM_400000_NS6detail17trampoline_kernelINS0_14default_configENS1_25transform_config_selectorImLb1EEEZNS1_14transform_implILb1ES3_S5_PmPjNS0_8identityIvEEEE10hipError_tT2_T3_mT4_P12ihipStream_tbEUlT_E_NS1_11comp_targetILNS1_3genE5ELNS1_11target_archE942ELNS1_3gpuE9ELNS1_3repE0EEENS1_30default_config_static_selectorELNS0_4arch9wavefront6targetE0EEEvT1_.uses_vcc, 0
	.set _ZN7rocprim17ROCPRIM_400000_NS6detail17trampoline_kernelINS0_14default_configENS1_25transform_config_selectorImLb1EEEZNS1_14transform_implILb1ES3_S5_PmPjNS0_8identityIvEEEE10hipError_tT2_T3_mT4_P12ihipStream_tbEUlT_E_NS1_11comp_targetILNS1_3genE5ELNS1_11target_archE942ELNS1_3gpuE9ELNS1_3repE0EEENS1_30default_config_static_selectorELNS0_4arch9wavefront6targetE0EEEvT1_.uses_flat_scratch, 0
	.set _ZN7rocprim17ROCPRIM_400000_NS6detail17trampoline_kernelINS0_14default_configENS1_25transform_config_selectorImLb1EEEZNS1_14transform_implILb1ES3_S5_PmPjNS0_8identityIvEEEE10hipError_tT2_T3_mT4_P12ihipStream_tbEUlT_E_NS1_11comp_targetILNS1_3genE5ELNS1_11target_archE942ELNS1_3gpuE9ELNS1_3repE0EEENS1_30default_config_static_selectorELNS0_4arch9wavefront6targetE0EEEvT1_.has_dyn_sized_stack, 0
	.set _ZN7rocprim17ROCPRIM_400000_NS6detail17trampoline_kernelINS0_14default_configENS1_25transform_config_selectorImLb1EEEZNS1_14transform_implILb1ES3_S5_PmPjNS0_8identityIvEEEE10hipError_tT2_T3_mT4_P12ihipStream_tbEUlT_E_NS1_11comp_targetILNS1_3genE5ELNS1_11target_archE942ELNS1_3gpuE9ELNS1_3repE0EEENS1_30default_config_static_selectorELNS0_4arch9wavefront6targetE0EEEvT1_.has_recursion, 0
	.set _ZN7rocprim17ROCPRIM_400000_NS6detail17trampoline_kernelINS0_14default_configENS1_25transform_config_selectorImLb1EEEZNS1_14transform_implILb1ES3_S5_PmPjNS0_8identityIvEEEE10hipError_tT2_T3_mT4_P12ihipStream_tbEUlT_E_NS1_11comp_targetILNS1_3genE5ELNS1_11target_archE942ELNS1_3gpuE9ELNS1_3repE0EEENS1_30default_config_static_selectorELNS0_4arch9wavefront6targetE0EEEvT1_.has_indirect_call, 0
	.section	.AMDGPU.csdata,"",@progbits
; Kernel info:
; codeLenInByte = 0
; TotalNumSgprs: 0
; NumVgprs: 0
; ScratchSize: 0
; MemoryBound: 0
; FloatMode: 240
; IeeeMode: 1
; LDSByteSize: 0 bytes/workgroup (compile time only)
; SGPRBlocks: 0
; VGPRBlocks: 0
; NumSGPRsForWavesPerEU: 1
; NumVGPRsForWavesPerEU: 1
; Occupancy: 16
; WaveLimiterHint : 0
; COMPUTE_PGM_RSRC2:SCRATCH_EN: 0
; COMPUTE_PGM_RSRC2:USER_SGPR: 2
; COMPUTE_PGM_RSRC2:TRAP_HANDLER: 0
; COMPUTE_PGM_RSRC2:TGID_X_EN: 1
; COMPUTE_PGM_RSRC2:TGID_Y_EN: 0
; COMPUTE_PGM_RSRC2:TGID_Z_EN: 0
; COMPUTE_PGM_RSRC2:TIDIG_COMP_CNT: 0
	.section	.text._ZN7rocprim17ROCPRIM_400000_NS6detail17trampoline_kernelINS0_14default_configENS1_25transform_config_selectorImLb1EEEZNS1_14transform_implILb1ES3_S5_PmPjNS0_8identityIvEEEE10hipError_tT2_T3_mT4_P12ihipStream_tbEUlT_E_NS1_11comp_targetILNS1_3genE4ELNS1_11target_archE910ELNS1_3gpuE8ELNS1_3repE0EEENS1_30default_config_static_selectorELNS0_4arch9wavefront6targetE0EEEvT1_,"axG",@progbits,_ZN7rocprim17ROCPRIM_400000_NS6detail17trampoline_kernelINS0_14default_configENS1_25transform_config_selectorImLb1EEEZNS1_14transform_implILb1ES3_S5_PmPjNS0_8identityIvEEEE10hipError_tT2_T3_mT4_P12ihipStream_tbEUlT_E_NS1_11comp_targetILNS1_3genE4ELNS1_11target_archE910ELNS1_3gpuE8ELNS1_3repE0EEENS1_30default_config_static_selectorELNS0_4arch9wavefront6targetE0EEEvT1_,comdat
	.protected	_ZN7rocprim17ROCPRIM_400000_NS6detail17trampoline_kernelINS0_14default_configENS1_25transform_config_selectorImLb1EEEZNS1_14transform_implILb1ES3_S5_PmPjNS0_8identityIvEEEE10hipError_tT2_T3_mT4_P12ihipStream_tbEUlT_E_NS1_11comp_targetILNS1_3genE4ELNS1_11target_archE910ELNS1_3gpuE8ELNS1_3repE0EEENS1_30default_config_static_selectorELNS0_4arch9wavefront6targetE0EEEvT1_ ; -- Begin function _ZN7rocprim17ROCPRIM_400000_NS6detail17trampoline_kernelINS0_14default_configENS1_25transform_config_selectorImLb1EEEZNS1_14transform_implILb1ES3_S5_PmPjNS0_8identityIvEEEE10hipError_tT2_T3_mT4_P12ihipStream_tbEUlT_E_NS1_11comp_targetILNS1_3genE4ELNS1_11target_archE910ELNS1_3gpuE8ELNS1_3repE0EEENS1_30default_config_static_selectorELNS0_4arch9wavefront6targetE0EEEvT1_
	.globl	_ZN7rocprim17ROCPRIM_400000_NS6detail17trampoline_kernelINS0_14default_configENS1_25transform_config_selectorImLb1EEEZNS1_14transform_implILb1ES3_S5_PmPjNS0_8identityIvEEEE10hipError_tT2_T3_mT4_P12ihipStream_tbEUlT_E_NS1_11comp_targetILNS1_3genE4ELNS1_11target_archE910ELNS1_3gpuE8ELNS1_3repE0EEENS1_30default_config_static_selectorELNS0_4arch9wavefront6targetE0EEEvT1_
	.p2align	8
	.type	_ZN7rocprim17ROCPRIM_400000_NS6detail17trampoline_kernelINS0_14default_configENS1_25transform_config_selectorImLb1EEEZNS1_14transform_implILb1ES3_S5_PmPjNS0_8identityIvEEEE10hipError_tT2_T3_mT4_P12ihipStream_tbEUlT_E_NS1_11comp_targetILNS1_3genE4ELNS1_11target_archE910ELNS1_3gpuE8ELNS1_3repE0EEENS1_30default_config_static_selectorELNS0_4arch9wavefront6targetE0EEEvT1_,@function
_ZN7rocprim17ROCPRIM_400000_NS6detail17trampoline_kernelINS0_14default_configENS1_25transform_config_selectorImLb1EEEZNS1_14transform_implILb1ES3_S5_PmPjNS0_8identityIvEEEE10hipError_tT2_T3_mT4_P12ihipStream_tbEUlT_E_NS1_11comp_targetILNS1_3genE4ELNS1_11target_archE910ELNS1_3gpuE8ELNS1_3repE0EEENS1_30default_config_static_selectorELNS0_4arch9wavefront6targetE0EEEvT1_: ; @_ZN7rocprim17ROCPRIM_400000_NS6detail17trampoline_kernelINS0_14default_configENS1_25transform_config_selectorImLb1EEEZNS1_14transform_implILb1ES3_S5_PmPjNS0_8identityIvEEEE10hipError_tT2_T3_mT4_P12ihipStream_tbEUlT_E_NS1_11comp_targetILNS1_3genE4ELNS1_11target_archE910ELNS1_3gpuE8ELNS1_3repE0EEENS1_30default_config_static_selectorELNS0_4arch9wavefront6targetE0EEEvT1_
; %bb.0:
	.section	.rodata,"a",@progbits
	.p2align	6, 0x0
	.amdhsa_kernel _ZN7rocprim17ROCPRIM_400000_NS6detail17trampoline_kernelINS0_14default_configENS1_25transform_config_selectorImLb1EEEZNS1_14transform_implILb1ES3_S5_PmPjNS0_8identityIvEEEE10hipError_tT2_T3_mT4_P12ihipStream_tbEUlT_E_NS1_11comp_targetILNS1_3genE4ELNS1_11target_archE910ELNS1_3gpuE8ELNS1_3repE0EEENS1_30default_config_static_selectorELNS0_4arch9wavefront6targetE0EEEvT1_
		.amdhsa_group_segment_fixed_size 0
		.amdhsa_private_segment_fixed_size 0
		.amdhsa_kernarg_size 40
		.amdhsa_user_sgpr_count 2
		.amdhsa_user_sgpr_dispatch_ptr 0
		.amdhsa_user_sgpr_queue_ptr 0
		.amdhsa_user_sgpr_kernarg_segment_ptr 1
		.amdhsa_user_sgpr_dispatch_id 0
		.amdhsa_user_sgpr_private_segment_size 0
		.amdhsa_wavefront_size32 1
		.amdhsa_uses_dynamic_stack 0
		.amdhsa_enable_private_segment 0
		.amdhsa_system_sgpr_workgroup_id_x 1
		.amdhsa_system_sgpr_workgroup_id_y 0
		.amdhsa_system_sgpr_workgroup_id_z 0
		.amdhsa_system_sgpr_workgroup_info 0
		.amdhsa_system_vgpr_workitem_id 0
		.amdhsa_next_free_vgpr 1
		.amdhsa_next_free_sgpr 1
		.amdhsa_reserve_vcc 0
		.amdhsa_float_round_mode_32 0
		.amdhsa_float_round_mode_16_64 0
		.amdhsa_float_denorm_mode_32 3
		.amdhsa_float_denorm_mode_16_64 3
		.amdhsa_fp16_overflow 0
		.amdhsa_workgroup_processor_mode 1
		.amdhsa_memory_ordered 1
		.amdhsa_forward_progress 1
		.amdhsa_inst_pref_size 0
		.amdhsa_round_robin_scheduling 0
		.amdhsa_exception_fp_ieee_invalid_op 0
		.amdhsa_exception_fp_denorm_src 0
		.amdhsa_exception_fp_ieee_div_zero 0
		.amdhsa_exception_fp_ieee_overflow 0
		.amdhsa_exception_fp_ieee_underflow 0
		.amdhsa_exception_fp_ieee_inexact 0
		.amdhsa_exception_int_div_zero 0
	.end_amdhsa_kernel
	.section	.text._ZN7rocprim17ROCPRIM_400000_NS6detail17trampoline_kernelINS0_14default_configENS1_25transform_config_selectorImLb1EEEZNS1_14transform_implILb1ES3_S5_PmPjNS0_8identityIvEEEE10hipError_tT2_T3_mT4_P12ihipStream_tbEUlT_E_NS1_11comp_targetILNS1_3genE4ELNS1_11target_archE910ELNS1_3gpuE8ELNS1_3repE0EEENS1_30default_config_static_selectorELNS0_4arch9wavefront6targetE0EEEvT1_,"axG",@progbits,_ZN7rocprim17ROCPRIM_400000_NS6detail17trampoline_kernelINS0_14default_configENS1_25transform_config_selectorImLb1EEEZNS1_14transform_implILb1ES3_S5_PmPjNS0_8identityIvEEEE10hipError_tT2_T3_mT4_P12ihipStream_tbEUlT_E_NS1_11comp_targetILNS1_3genE4ELNS1_11target_archE910ELNS1_3gpuE8ELNS1_3repE0EEENS1_30default_config_static_selectorELNS0_4arch9wavefront6targetE0EEEvT1_,comdat
.Lfunc_end15:
	.size	_ZN7rocprim17ROCPRIM_400000_NS6detail17trampoline_kernelINS0_14default_configENS1_25transform_config_selectorImLb1EEEZNS1_14transform_implILb1ES3_S5_PmPjNS0_8identityIvEEEE10hipError_tT2_T3_mT4_P12ihipStream_tbEUlT_E_NS1_11comp_targetILNS1_3genE4ELNS1_11target_archE910ELNS1_3gpuE8ELNS1_3repE0EEENS1_30default_config_static_selectorELNS0_4arch9wavefront6targetE0EEEvT1_, .Lfunc_end15-_ZN7rocprim17ROCPRIM_400000_NS6detail17trampoline_kernelINS0_14default_configENS1_25transform_config_selectorImLb1EEEZNS1_14transform_implILb1ES3_S5_PmPjNS0_8identityIvEEEE10hipError_tT2_T3_mT4_P12ihipStream_tbEUlT_E_NS1_11comp_targetILNS1_3genE4ELNS1_11target_archE910ELNS1_3gpuE8ELNS1_3repE0EEENS1_30default_config_static_selectorELNS0_4arch9wavefront6targetE0EEEvT1_
                                        ; -- End function
	.set _ZN7rocprim17ROCPRIM_400000_NS6detail17trampoline_kernelINS0_14default_configENS1_25transform_config_selectorImLb1EEEZNS1_14transform_implILb1ES3_S5_PmPjNS0_8identityIvEEEE10hipError_tT2_T3_mT4_P12ihipStream_tbEUlT_E_NS1_11comp_targetILNS1_3genE4ELNS1_11target_archE910ELNS1_3gpuE8ELNS1_3repE0EEENS1_30default_config_static_selectorELNS0_4arch9wavefront6targetE0EEEvT1_.num_vgpr, 0
	.set _ZN7rocprim17ROCPRIM_400000_NS6detail17trampoline_kernelINS0_14default_configENS1_25transform_config_selectorImLb1EEEZNS1_14transform_implILb1ES3_S5_PmPjNS0_8identityIvEEEE10hipError_tT2_T3_mT4_P12ihipStream_tbEUlT_E_NS1_11comp_targetILNS1_3genE4ELNS1_11target_archE910ELNS1_3gpuE8ELNS1_3repE0EEENS1_30default_config_static_selectorELNS0_4arch9wavefront6targetE0EEEvT1_.num_agpr, 0
	.set _ZN7rocprim17ROCPRIM_400000_NS6detail17trampoline_kernelINS0_14default_configENS1_25transform_config_selectorImLb1EEEZNS1_14transform_implILb1ES3_S5_PmPjNS0_8identityIvEEEE10hipError_tT2_T3_mT4_P12ihipStream_tbEUlT_E_NS1_11comp_targetILNS1_3genE4ELNS1_11target_archE910ELNS1_3gpuE8ELNS1_3repE0EEENS1_30default_config_static_selectorELNS0_4arch9wavefront6targetE0EEEvT1_.numbered_sgpr, 0
	.set _ZN7rocprim17ROCPRIM_400000_NS6detail17trampoline_kernelINS0_14default_configENS1_25transform_config_selectorImLb1EEEZNS1_14transform_implILb1ES3_S5_PmPjNS0_8identityIvEEEE10hipError_tT2_T3_mT4_P12ihipStream_tbEUlT_E_NS1_11comp_targetILNS1_3genE4ELNS1_11target_archE910ELNS1_3gpuE8ELNS1_3repE0EEENS1_30default_config_static_selectorELNS0_4arch9wavefront6targetE0EEEvT1_.num_named_barrier, 0
	.set _ZN7rocprim17ROCPRIM_400000_NS6detail17trampoline_kernelINS0_14default_configENS1_25transform_config_selectorImLb1EEEZNS1_14transform_implILb1ES3_S5_PmPjNS0_8identityIvEEEE10hipError_tT2_T3_mT4_P12ihipStream_tbEUlT_E_NS1_11comp_targetILNS1_3genE4ELNS1_11target_archE910ELNS1_3gpuE8ELNS1_3repE0EEENS1_30default_config_static_selectorELNS0_4arch9wavefront6targetE0EEEvT1_.private_seg_size, 0
	.set _ZN7rocprim17ROCPRIM_400000_NS6detail17trampoline_kernelINS0_14default_configENS1_25transform_config_selectorImLb1EEEZNS1_14transform_implILb1ES3_S5_PmPjNS0_8identityIvEEEE10hipError_tT2_T3_mT4_P12ihipStream_tbEUlT_E_NS1_11comp_targetILNS1_3genE4ELNS1_11target_archE910ELNS1_3gpuE8ELNS1_3repE0EEENS1_30default_config_static_selectorELNS0_4arch9wavefront6targetE0EEEvT1_.uses_vcc, 0
	.set _ZN7rocprim17ROCPRIM_400000_NS6detail17trampoline_kernelINS0_14default_configENS1_25transform_config_selectorImLb1EEEZNS1_14transform_implILb1ES3_S5_PmPjNS0_8identityIvEEEE10hipError_tT2_T3_mT4_P12ihipStream_tbEUlT_E_NS1_11comp_targetILNS1_3genE4ELNS1_11target_archE910ELNS1_3gpuE8ELNS1_3repE0EEENS1_30default_config_static_selectorELNS0_4arch9wavefront6targetE0EEEvT1_.uses_flat_scratch, 0
	.set _ZN7rocprim17ROCPRIM_400000_NS6detail17trampoline_kernelINS0_14default_configENS1_25transform_config_selectorImLb1EEEZNS1_14transform_implILb1ES3_S5_PmPjNS0_8identityIvEEEE10hipError_tT2_T3_mT4_P12ihipStream_tbEUlT_E_NS1_11comp_targetILNS1_3genE4ELNS1_11target_archE910ELNS1_3gpuE8ELNS1_3repE0EEENS1_30default_config_static_selectorELNS0_4arch9wavefront6targetE0EEEvT1_.has_dyn_sized_stack, 0
	.set _ZN7rocprim17ROCPRIM_400000_NS6detail17trampoline_kernelINS0_14default_configENS1_25transform_config_selectorImLb1EEEZNS1_14transform_implILb1ES3_S5_PmPjNS0_8identityIvEEEE10hipError_tT2_T3_mT4_P12ihipStream_tbEUlT_E_NS1_11comp_targetILNS1_3genE4ELNS1_11target_archE910ELNS1_3gpuE8ELNS1_3repE0EEENS1_30default_config_static_selectorELNS0_4arch9wavefront6targetE0EEEvT1_.has_recursion, 0
	.set _ZN7rocprim17ROCPRIM_400000_NS6detail17trampoline_kernelINS0_14default_configENS1_25transform_config_selectorImLb1EEEZNS1_14transform_implILb1ES3_S5_PmPjNS0_8identityIvEEEE10hipError_tT2_T3_mT4_P12ihipStream_tbEUlT_E_NS1_11comp_targetILNS1_3genE4ELNS1_11target_archE910ELNS1_3gpuE8ELNS1_3repE0EEENS1_30default_config_static_selectorELNS0_4arch9wavefront6targetE0EEEvT1_.has_indirect_call, 0
	.section	.AMDGPU.csdata,"",@progbits
; Kernel info:
; codeLenInByte = 0
; TotalNumSgprs: 0
; NumVgprs: 0
; ScratchSize: 0
; MemoryBound: 0
; FloatMode: 240
; IeeeMode: 1
; LDSByteSize: 0 bytes/workgroup (compile time only)
; SGPRBlocks: 0
; VGPRBlocks: 0
; NumSGPRsForWavesPerEU: 1
; NumVGPRsForWavesPerEU: 1
; Occupancy: 16
; WaveLimiterHint : 0
; COMPUTE_PGM_RSRC2:SCRATCH_EN: 0
; COMPUTE_PGM_RSRC2:USER_SGPR: 2
; COMPUTE_PGM_RSRC2:TRAP_HANDLER: 0
; COMPUTE_PGM_RSRC2:TGID_X_EN: 1
; COMPUTE_PGM_RSRC2:TGID_Y_EN: 0
; COMPUTE_PGM_RSRC2:TGID_Z_EN: 0
; COMPUTE_PGM_RSRC2:TIDIG_COMP_CNT: 0
	.section	.text._ZN7rocprim17ROCPRIM_400000_NS6detail17trampoline_kernelINS0_14default_configENS1_25transform_config_selectorImLb1EEEZNS1_14transform_implILb1ES3_S5_PmPjNS0_8identityIvEEEE10hipError_tT2_T3_mT4_P12ihipStream_tbEUlT_E_NS1_11comp_targetILNS1_3genE3ELNS1_11target_archE908ELNS1_3gpuE7ELNS1_3repE0EEENS1_30default_config_static_selectorELNS0_4arch9wavefront6targetE0EEEvT1_,"axG",@progbits,_ZN7rocprim17ROCPRIM_400000_NS6detail17trampoline_kernelINS0_14default_configENS1_25transform_config_selectorImLb1EEEZNS1_14transform_implILb1ES3_S5_PmPjNS0_8identityIvEEEE10hipError_tT2_T3_mT4_P12ihipStream_tbEUlT_E_NS1_11comp_targetILNS1_3genE3ELNS1_11target_archE908ELNS1_3gpuE7ELNS1_3repE0EEENS1_30default_config_static_selectorELNS0_4arch9wavefront6targetE0EEEvT1_,comdat
	.protected	_ZN7rocprim17ROCPRIM_400000_NS6detail17trampoline_kernelINS0_14default_configENS1_25transform_config_selectorImLb1EEEZNS1_14transform_implILb1ES3_S5_PmPjNS0_8identityIvEEEE10hipError_tT2_T3_mT4_P12ihipStream_tbEUlT_E_NS1_11comp_targetILNS1_3genE3ELNS1_11target_archE908ELNS1_3gpuE7ELNS1_3repE0EEENS1_30default_config_static_selectorELNS0_4arch9wavefront6targetE0EEEvT1_ ; -- Begin function _ZN7rocprim17ROCPRIM_400000_NS6detail17trampoline_kernelINS0_14default_configENS1_25transform_config_selectorImLb1EEEZNS1_14transform_implILb1ES3_S5_PmPjNS0_8identityIvEEEE10hipError_tT2_T3_mT4_P12ihipStream_tbEUlT_E_NS1_11comp_targetILNS1_3genE3ELNS1_11target_archE908ELNS1_3gpuE7ELNS1_3repE0EEENS1_30default_config_static_selectorELNS0_4arch9wavefront6targetE0EEEvT1_
	.globl	_ZN7rocprim17ROCPRIM_400000_NS6detail17trampoline_kernelINS0_14default_configENS1_25transform_config_selectorImLb1EEEZNS1_14transform_implILb1ES3_S5_PmPjNS0_8identityIvEEEE10hipError_tT2_T3_mT4_P12ihipStream_tbEUlT_E_NS1_11comp_targetILNS1_3genE3ELNS1_11target_archE908ELNS1_3gpuE7ELNS1_3repE0EEENS1_30default_config_static_selectorELNS0_4arch9wavefront6targetE0EEEvT1_
	.p2align	8
	.type	_ZN7rocprim17ROCPRIM_400000_NS6detail17trampoline_kernelINS0_14default_configENS1_25transform_config_selectorImLb1EEEZNS1_14transform_implILb1ES3_S5_PmPjNS0_8identityIvEEEE10hipError_tT2_T3_mT4_P12ihipStream_tbEUlT_E_NS1_11comp_targetILNS1_3genE3ELNS1_11target_archE908ELNS1_3gpuE7ELNS1_3repE0EEENS1_30default_config_static_selectorELNS0_4arch9wavefront6targetE0EEEvT1_,@function
_ZN7rocprim17ROCPRIM_400000_NS6detail17trampoline_kernelINS0_14default_configENS1_25transform_config_selectorImLb1EEEZNS1_14transform_implILb1ES3_S5_PmPjNS0_8identityIvEEEE10hipError_tT2_T3_mT4_P12ihipStream_tbEUlT_E_NS1_11comp_targetILNS1_3genE3ELNS1_11target_archE908ELNS1_3gpuE7ELNS1_3repE0EEENS1_30default_config_static_selectorELNS0_4arch9wavefront6targetE0EEEvT1_: ; @_ZN7rocprim17ROCPRIM_400000_NS6detail17trampoline_kernelINS0_14default_configENS1_25transform_config_selectorImLb1EEEZNS1_14transform_implILb1ES3_S5_PmPjNS0_8identityIvEEEE10hipError_tT2_T3_mT4_P12ihipStream_tbEUlT_E_NS1_11comp_targetILNS1_3genE3ELNS1_11target_archE908ELNS1_3gpuE7ELNS1_3repE0EEENS1_30default_config_static_selectorELNS0_4arch9wavefront6targetE0EEEvT1_
; %bb.0:
	.section	.rodata,"a",@progbits
	.p2align	6, 0x0
	.amdhsa_kernel _ZN7rocprim17ROCPRIM_400000_NS6detail17trampoline_kernelINS0_14default_configENS1_25transform_config_selectorImLb1EEEZNS1_14transform_implILb1ES3_S5_PmPjNS0_8identityIvEEEE10hipError_tT2_T3_mT4_P12ihipStream_tbEUlT_E_NS1_11comp_targetILNS1_3genE3ELNS1_11target_archE908ELNS1_3gpuE7ELNS1_3repE0EEENS1_30default_config_static_selectorELNS0_4arch9wavefront6targetE0EEEvT1_
		.amdhsa_group_segment_fixed_size 0
		.amdhsa_private_segment_fixed_size 0
		.amdhsa_kernarg_size 40
		.amdhsa_user_sgpr_count 2
		.amdhsa_user_sgpr_dispatch_ptr 0
		.amdhsa_user_sgpr_queue_ptr 0
		.amdhsa_user_sgpr_kernarg_segment_ptr 1
		.amdhsa_user_sgpr_dispatch_id 0
		.amdhsa_user_sgpr_private_segment_size 0
		.amdhsa_wavefront_size32 1
		.amdhsa_uses_dynamic_stack 0
		.amdhsa_enable_private_segment 0
		.amdhsa_system_sgpr_workgroup_id_x 1
		.amdhsa_system_sgpr_workgroup_id_y 0
		.amdhsa_system_sgpr_workgroup_id_z 0
		.amdhsa_system_sgpr_workgroup_info 0
		.amdhsa_system_vgpr_workitem_id 0
		.amdhsa_next_free_vgpr 1
		.amdhsa_next_free_sgpr 1
		.amdhsa_reserve_vcc 0
		.amdhsa_float_round_mode_32 0
		.amdhsa_float_round_mode_16_64 0
		.amdhsa_float_denorm_mode_32 3
		.amdhsa_float_denorm_mode_16_64 3
		.amdhsa_fp16_overflow 0
		.amdhsa_workgroup_processor_mode 1
		.amdhsa_memory_ordered 1
		.amdhsa_forward_progress 1
		.amdhsa_inst_pref_size 0
		.amdhsa_round_robin_scheduling 0
		.amdhsa_exception_fp_ieee_invalid_op 0
		.amdhsa_exception_fp_denorm_src 0
		.amdhsa_exception_fp_ieee_div_zero 0
		.amdhsa_exception_fp_ieee_overflow 0
		.amdhsa_exception_fp_ieee_underflow 0
		.amdhsa_exception_fp_ieee_inexact 0
		.amdhsa_exception_int_div_zero 0
	.end_amdhsa_kernel
	.section	.text._ZN7rocprim17ROCPRIM_400000_NS6detail17trampoline_kernelINS0_14default_configENS1_25transform_config_selectorImLb1EEEZNS1_14transform_implILb1ES3_S5_PmPjNS0_8identityIvEEEE10hipError_tT2_T3_mT4_P12ihipStream_tbEUlT_E_NS1_11comp_targetILNS1_3genE3ELNS1_11target_archE908ELNS1_3gpuE7ELNS1_3repE0EEENS1_30default_config_static_selectorELNS0_4arch9wavefront6targetE0EEEvT1_,"axG",@progbits,_ZN7rocprim17ROCPRIM_400000_NS6detail17trampoline_kernelINS0_14default_configENS1_25transform_config_selectorImLb1EEEZNS1_14transform_implILb1ES3_S5_PmPjNS0_8identityIvEEEE10hipError_tT2_T3_mT4_P12ihipStream_tbEUlT_E_NS1_11comp_targetILNS1_3genE3ELNS1_11target_archE908ELNS1_3gpuE7ELNS1_3repE0EEENS1_30default_config_static_selectorELNS0_4arch9wavefront6targetE0EEEvT1_,comdat
.Lfunc_end16:
	.size	_ZN7rocprim17ROCPRIM_400000_NS6detail17trampoline_kernelINS0_14default_configENS1_25transform_config_selectorImLb1EEEZNS1_14transform_implILb1ES3_S5_PmPjNS0_8identityIvEEEE10hipError_tT2_T3_mT4_P12ihipStream_tbEUlT_E_NS1_11comp_targetILNS1_3genE3ELNS1_11target_archE908ELNS1_3gpuE7ELNS1_3repE0EEENS1_30default_config_static_selectorELNS0_4arch9wavefront6targetE0EEEvT1_, .Lfunc_end16-_ZN7rocprim17ROCPRIM_400000_NS6detail17trampoline_kernelINS0_14default_configENS1_25transform_config_selectorImLb1EEEZNS1_14transform_implILb1ES3_S5_PmPjNS0_8identityIvEEEE10hipError_tT2_T3_mT4_P12ihipStream_tbEUlT_E_NS1_11comp_targetILNS1_3genE3ELNS1_11target_archE908ELNS1_3gpuE7ELNS1_3repE0EEENS1_30default_config_static_selectorELNS0_4arch9wavefront6targetE0EEEvT1_
                                        ; -- End function
	.set _ZN7rocprim17ROCPRIM_400000_NS6detail17trampoline_kernelINS0_14default_configENS1_25transform_config_selectorImLb1EEEZNS1_14transform_implILb1ES3_S5_PmPjNS0_8identityIvEEEE10hipError_tT2_T3_mT4_P12ihipStream_tbEUlT_E_NS1_11comp_targetILNS1_3genE3ELNS1_11target_archE908ELNS1_3gpuE7ELNS1_3repE0EEENS1_30default_config_static_selectorELNS0_4arch9wavefront6targetE0EEEvT1_.num_vgpr, 0
	.set _ZN7rocprim17ROCPRIM_400000_NS6detail17trampoline_kernelINS0_14default_configENS1_25transform_config_selectorImLb1EEEZNS1_14transform_implILb1ES3_S5_PmPjNS0_8identityIvEEEE10hipError_tT2_T3_mT4_P12ihipStream_tbEUlT_E_NS1_11comp_targetILNS1_3genE3ELNS1_11target_archE908ELNS1_3gpuE7ELNS1_3repE0EEENS1_30default_config_static_selectorELNS0_4arch9wavefront6targetE0EEEvT1_.num_agpr, 0
	.set _ZN7rocprim17ROCPRIM_400000_NS6detail17trampoline_kernelINS0_14default_configENS1_25transform_config_selectorImLb1EEEZNS1_14transform_implILb1ES3_S5_PmPjNS0_8identityIvEEEE10hipError_tT2_T3_mT4_P12ihipStream_tbEUlT_E_NS1_11comp_targetILNS1_3genE3ELNS1_11target_archE908ELNS1_3gpuE7ELNS1_3repE0EEENS1_30default_config_static_selectorELNS0_4arch9wavefront6targetE0EEEvT1_.numbered_sgpr, 0
	.set _ZN7rocprim17ROCPRIM_400000_NS6detail17trampoline_kernelINS0_14default_configENS1_25transform_config_selectorImLb1EEEZNS1_14transform_implILb1ES3_S5_PmPjNS0_8identityIvEEEE10hipError_tT2_T3_mT4_P12ihipStream_tbEUlT_E_NS1_11comp_targetILNS1_3genE3ELNS1_11target_archE908ELNS1_3gpuE7ELNS1_3repE0EEENS1_30default_config_static_selectorELNS0_4arch9wavefront6targetE0EEEvT1_.num_named_barrier, 0
	.set _ZN7rocprim17ROCPRIM_400000_NS6detail17trampoline_kernelINS0_14default_configENS1_25transform_config_selectorImLb1EEEZNS1_14transform_implILb1ES3_S5_PmPjNS0_8identityIvEEEE10hipError_tT2_T3_mT4_P12ihipStream_tbEUlT_E_NS1_11comp_targetILNS1_3genE3ELNS1_11target_archE908ELNS1_3gpuE7ELNS1_3repE0EEENS1_30default_config_static_selectorELNS0_4arch9wavefront6targetE0EEEvT1_.private_seg_size, 0
	.set _ZN7rocprim17ROCPRIM_400000_NS6detail17trampoline_kernelINS0_14default_configENS1_25transform_config_selectorImLb1EEEZNS1_14transform_implILb1ES3_S5_PmPjNS0_8identityIvEEEE10hipError_tT2_T3_mT4_P12ihipStream_tbEUlT_E_NS1_11comp_targetILNS1_3genE3ELNS1_11target_archE908ELNS1_3gpuE7ELNS1_3repE0EEENS1_30default_config_static_selectorELNS0_4arch9wavefront6targetE0EEEvT1_.uses_vcc, 0
	.set _ZN7rocprim17ROCPRIM_400000_NS6detail17trampoline_kernelINS0_14default_configENS1_25transform_config_selectorImLb1EEEZNS1_14transform_implILb1ES3_S5_PmPjNS0_8identityIvEEEE10hipError_tT2_T3_mT4_P12ihipStream_tbEUlT_E_NS1_11comp_targetILNS1_3genE3ELNS1_11target_archE908ELNS1_3gpuE7ELNS1_3repE0EEENS1_30default_config_static_selectorELNS0_4arch9wavefront6targetE0EEEvT1_.uses_flat_scratch, 0
	.set _ZN7rocprim17ROCPRIM_400000_NS6detail17trampoline_kernelINS0_14default_configENS1_25transform_config_selectorImLb1EEEZNS1_14transform_implILb1ES3_S5_PmPjNS0_8identityIvEEEE10hipError_tT2_T3_mT4_P12ihipStream_tbEUlT_E_NS1_11comp_targetILNS1_3genE3ELNS1_11target_archE908ELNS1_3gpuE7ELNS1_3repE0EEENS1_30default_config_static_selectorELNS0_4arch9wavefront6targetE0EEEvT1_.has_dyn_sized_stack, 0
	.set _ZN7rocprim17ROCPRIM_400000_NS6detail17trampoline_kernelINS0_14default_configENS1_25transform_config_selectorImLb1EEEZNS1_14transform_implILb1ES3_S5_PmPjNS0_8identityIvEEEE10hipError_tT2_T3_mT4_P12ihipStream_tbEUlT_E_NS1_11comp_targetILNS1_3genE3ELNS1_11target_archE908ELNS1_3gpuE7ELNS1_3repE0EEENS1_30default_config_static_selectorELNS0_4arch9wavefront6targetE0EEEvT1_.has_recursion, 0
	.set _ZN7rocprim17ROCPRIM_400000_NS6detail17trampoline_kernelINS0_14default_configENS1_25transform_config_selectorImLb1EEEZNS1_14transform_implILb1ES3_S5_PmPjNS0_8identityIvEEEE10hipError_tT2_T3_mT4_P12ihipStream_tbEUlT_E_NS1_11comp_targetILNS1_3genE3ELNS1_11target_archE908ELNS1_3gpuE7ELNS1_3repE0EEENS1_30default_config_static_selectorELNS0_4arch9wavefront6targetE0EEEvT1_.has_indirect_call, 0
	.section	.AMDGPU.csdata,"",@progbits
; Kernel info:
; codeLenInByte = 0
; TotalNumSgprs: 0
; NumVgprs: 0
; ScratchSize: 0
; MemoryBound: 0
; FloatMode: 240
; IeeeMode: 1
; LDSByteSize: 0 bytes/workgroup (compile time only)
; SGPRBlocks: 0
; VGPRBlocks: 0
; NumSGPRsForWavesPerEU: 1
; NumVGPRsForWavesPerEU: 1
; Occupancy: 16
; WaveLimiterHint : 0
; COMPUTE_PGM_RSRC2:SCRATCH_EN: 0
; COMPUTE_PGM_RSRC2:USER_SGPR: 2
; COMPUTE_PGM_RSRC2:TRAP_HANDLER: 0
; COMPUTE_PGM_RSRC2:TGID_X_EN: 1
; COMPUTE_PGM_RSRC2:TGID_Y_EN: 0
; COMPUTE_PGM_RSRC2:TGID_Z_EN: 0
; COMPUTE_PGM_RSRC2:TIDIG_COMP_CNT: 0
	.section	.text._ZN7rocprim17ROCPRIM_400000_NS6detail17trampoline_kernelINS0_14default_configENS1_25transform_config_selectorImLb1EEEZNS1_14transform_implILb1ES3_S5_PmPjNS0_8identityIvEEEE10hipError_tT2_T3_mT4_P12ihipStream_tbEUlT_E_NS1_11comp_targetILNS1_3genE2ELNS1_11target_archE906ELNS1_3gpuE6ELNS1_3repE0EEENS1_30default_config_static_selectorELNS0_4arch9wavefront6targetE0EEEvT1_,"axG",@progbits,_ZN7rocprim17ROCPRIM_400000_NS6detail17trampoline_kernelINS0_14default_configENS1_25transform_config_selectorImLb1EEEZNS1_14transform_implILb1ES3_S5_PmPjNS0_8identityIvEEEE10hipError_tT2_T3_mT4_P12ihipStream_tbEUlT_E_NS1_11comp_targetILNS1_3genE2ELNS1_11target_archE906ELNS1_3gpuE6ELNS1_3repE0EEENS1_30default_config_static_selectorELNS0_4arch9wavefront6targetE0EEEvT1_,comdat
	.protected	_ZN7rocprim17ROCPRIM_400000_NS6detail17trampoline_kernelINS0_14default_configENS1_25transform_config_selectorImLb1EEEZNS1_14transform_implILb1ES3_S5_PmPjNS0_8identityIvEEEE10hipError_tT2_T3_mT4_P12ihipStream_tbEUlT_E_NS1_11comp_targetILNS1_3genE2ELNS1_11target_archE906ELNS1_3gpuE6ELNS1_3repE0EEENS1_30default_config_static_selectorELNS0_4arch9wavefront6targetE0EEEvT1_ ; -- Begin function _ZN7rocprim17ROCPRIM_400000_NS6detail17trampoline_kernelINS0_14default_configENS1_25transform_config_selectorImLb1EEEZNS1_14transform_implILb1ES3_S5_PmPjNS0_8identityIvEEEE10hipError_tT2_T3_mT4_P12ihipStream_tbEUlT_E_NS1_11comp_targetILNS1_3genE2ELNS1_11target_archE906ELNS1_3gpuE6ELNS1_3repE0EEENS1_30default_config_static_selectorELNS0_4arch9wavefront6targetE0EEEvT1_
	.globl	_ZN7rocprim17ROCPRIM_400000_NS6detail17trampoline_kernelINS0_14default_configENS1_25transform_config_selectorImLb1EEEZNS1_14transform_implILb1ES3_S5_PmPjNS0_8identityIvEEEE10hipError_tT2_T3_mT4_P12ihipStream_tbEUlT_E_NS1_11comp_targetILNS1_3genE2ELNS1_11target_archE906ELNS1_3gpuE6ELNS1_3repE0EEENS1_30default_config_static_selectorELNS0_4arch9wavefront6targetE0EEEvT1_
	.p2align	8
	.type	_ZN7rocprim17ROCPRIM_400000_NS6detail17trampoline_kernelINS0_14default_configENS1_25transform_config_selectorImLb1EEEZNS1_14transform_implILb1ES3_S5_PmPjNS0_8identityIvEEEE10hipError_tT2_T3_mT4_P12ihipStream_tbEUlT_E_NS1_11comp_targetILNS1_3genE2ELNS1_11target_archE906ELNS1_3gpuE6ELNS1_3repE0EEENS1_30default_config_static_selectorELNS0_4arch9wavefront6targetE0EEEvT1_,@function
_ZN7rocprim17ROCPRIM_400000_NS6detail17trampoline_kernelINS0_14default_configENS1_25transform_config_selectorImLb1EEEZNS1_14transform_implILb1ES3_S5_PmPjNS0_8identityIvEEEE10hipError_tT2_T3_mT4_P12ihipStream_tbEUlT_E_NS1_11comp_targetILNS1_3genE2ELNS1_11target_archE906ELNS1_3gpuE6ELNS1_3repE0EEENS1_30default_config_static_selectorELNS0_4arch9wavefront6targetE0EEEvT1_: ; @_ZN7rocprim17ROCPRIM_400000_NS6detail17trampoline_kernelINS0_14default_configENS1_25transform_config_selectorImLb1EEEZNS1_14transform_implILb1ES3_S5_PmPjNS0_8identityIvEEEE10hipError_tT2_T3_mT4_P12ihipStream_tbEUlT_E_NS1_11comp_targetILNS1_3genE2ELNS1_11target_archE906ELNS1_3gpuE6ELNS1_3repE0EEENS1_30default_config_static_selectorELNS0_4arch9wavefront6targetE0EEEvT1_
; %bb.0:
	.section	.rodata,"a",@progbits
	.p2align	6, 0x0
	.amdhsa_kernel _ZN7rocprim17ROCPRIM_400000_NS6detail17trampoline_kernelINS0_14default_configENS1_25transform_config_selectorImLb1EEEZNS1_14transform_implILb1ES3_S5_PmPjNS0_8identityIvEEEE10hipError_tT2_T3_mT4_P12ihipStream_tbEUlT_E_NS1_11comp_targetILNS1_3genE2ELNS1_11target_archE906ELNS1_3gpuE6ELNS1_3repE0EEENS1_30default_config_static_selectorELNS0_4arch9wavefront6targetE0EEEvT1_
		.amdhsa_group_segment_fixed_size 0
		.amdhsa_private_segment_fixed_size 0
		.amdhsa_kernarg_size 40
		.amdhsa_user_sgpr_count 2
		.amdhsa_user_sgpr_dispatch_ptr 0
		.amdhsa_user_sgpr_queue_ptr 0
		.amdhsa_user_sgpr_kernarg_segment_ptr 1
		.amdhsa_user_sgpr_dispatch_id 0
		.amdhsa_user_sgpr_private_segment_size 0
		.amdhsa_wavefront_size32 1
		.amdhsa_uses_dynamic_stack 0
		.amdhsa_enable_private_segment 0
		.amdhsa_system_sgpr_workgroup_id_x 1
		.amdhsa_system_sgpr_workgroup_id_y 0
		.amdhsa_system_sgpr_workgroup_id_z 0
		.amdhsa_system_sgpr_workgroup_info 0
		.amdhsa_system_vgpr_workitem_id 0
		.amdhsa_next_free_vgpr 1
		.amdhsa_next_free_sgpr 1
		.amdhsa_reserve_vcc 0
		.amdhsa_float_round_mode_32 0
		.amdhsa_float_round_mode_16_64 0
		.amdhsa_float_denorm_mode_32 3
		.amdhsa_float_denorm_mode_16_64 3
		.amdhsa_fp16_overflow 0
		.amdhsa_workgroup_processor_mode 1
		.amdhsa_memory_ordered 1
		.amdhsa_forward_progress 1
		.amdhsa_inst_pref_size 0
		.amdhsa_round_robin_scheduling 0
		.amdhsa_exception_fp_ieee_invalid_op 0
		.amdhsa_exception_fp_denorm_src 0
		.amdhsa_exception_fp_ieee_div_zero 0
		.amdhsa_exception_fp_ieee_overflow 0
		.amdhsa_exception_fp_ieee_underflow 0
		.amdhsa_exception_fp_ieee_inexact 0
		.amdhsa_exception_int_div_zero 0
	.end_amdhsa_kernel
	.section	.text._ZN7rocprim17ROCPRIM_400000_NS6detail17trampoline_kernelINS0_14default_configENS1_25transform_config_selectorImLb1EEEZNS1_14transform_implILb1ES3_S5_PmPjNS0_8identityIvEEEE10hipError_tT2_T3_mT4_P12ihipStream_tbEUlT_E_NS1_11comp_targetILNS1_3genE2ELNS1_11target_archE906ELNS1_3gpuE6ELNS1_3repE0EEENS1_30default_config_static_selectorELNS0_4arch9wavefront6targetE0EEEvT1_,"axG",@progbits,_ZN7rocprim17ROCPRIM_400000_NS6detail17trampoline_kernelINS0_14default_configENS1_25transform_config_selectorImLb1EEEZNS1_14transform_implILb1ES3_S5_PmPjNS0_8identityIvEEEE10hipError_tT2_T3_mT4_P12ihipStream_tbEUlT_E_NS1_11comp_targetILNS1_3genE2ELNS1_11target_archE906ELNS1_3gpuE6ELNS1_3repE0EEENS1_30default_config_static_selectorELNS0_4arch9wavefront6targetE0EEEvT1_,comdat
.Lfunc_end17:
	.size	_ZN7rocprim17ROCPRIM_400000_NS6detail17trampoline_kernelINS0_14default_configENS1_25transform_config_selectorImLb1EEEZNS1_14transform_implILb1ES3_S5_PmPjNS0_8identityIvEEEE10hipError_tT2_T3_mT4_P12ihipStream_tbEUlT_E_NS1_11comp_targetILNS1_3genE2ELNS1_11target_archE906ELNS1_3gpuE6ELNS1_3repE0EEENS1_30default_config_static_selectorELNS0_4arch9wavefront6targetE0EEEvT1_, .Lfunc_end17-_ZN7rocprim17ROCPRIM_400000_NS6detail17trampoline_kernelINS0_14default_configENS1_25transform_config_selectorImLb1EEEZNS1_14transform_implILb1ES3_S5_PmPjNS0_8identityIvEEEE10hipError_tT2_T3_mT4_P12ihipStream_tbEUlT_E_NS1_11comp_targetILNS1_3genE2ELNS1_11target_archE906ELNS1_3gpuE6ELNS1_3repE0EEENS1_30default_config_static_selectorELNS0_4arch9wavefront6targetE0EEEvT1_
                                        ; -- End function
	.set _ZN7rocprim17ROCPRIM_400000_NS6detail17trampoline_kernelINS0_14default_configENS1_25transform_config_selectorImLb1EEEZNS1_14transform_implILb1ES3_S5_PmPjNS0_8identityIvEEEE10hipError_tT2_T3_mT4_P12ihipStream_tbEUlT_E_NS1_11comp_targetILNS1_3genE2ELNS1_11target_archE906ELNS1_3gpuE6ELNS1_3repE0EEENS1_30default_config_static_selectorELNS0_4arch9wavefront6targetE0EEEvT1_.num_vgpr, 0
	.set _ZN7rocprim17ROCPRIM_400000_NS6detail17trampoline_kernelINS0_14default_configENS1_25transform_config_selectorImLb1EEEZNS1_14transform_implILb1ES3_S5_PmPjNS0_8identityIvEEEE10hipError_tT2_T3_mT4_P12ihipStream_tbEUlT_E_NS1_11comp_targetILNS1_3genE2ELNS1_11target_archE906ELNS1_3gpuE6ELNS1_3repE0EEENS1_30default_config_static_selectorELNS0_4arch9wavefront6targetE0EEEvT1_.num_agpr, 0
	.set _ZN7rocprim17ROCPRIM_400000_NS6detail17trampoline_kernelINS0_14default_configENS1_25transform_config_selectorImLb1EEEZNS1_14transform_implILb1ES3_S5_PmPjNS0_8identityIvEEEE10hipError_tT2_T3_mT4_P12ihipStream_tbEUlT_E_NS1_11comp_targetILNS1_3genE2ELNS1_11target_archE906ELNS1_3gpuE6ELNS1_3repE0EEENS1_30default_config_static_selectorELNS0_4arch9wavefront6targetE0EEEvT1_.numbered_sgpr, 0
	.set _ZN7rocprim17ROCPRIM_400000_NS6detail17trampoline_kernelINS0_14default_configENS1_25transform_config_selectorImLb1EEEZNS1_14transform_implILb1ES3_S5_PmPjNS0_8identityIvEEEE10hipError_tT2_T3_mT4_P12ihipStream_tbEUlT_E_NS1_11comp_targetILNS1_3genE2ELNS1_11target_archE906ELNS1_3gpuE6ELNS1_3repE0EEENS1_30default_config_static_selectorELNS0_4arch9wavefront6targetE0EEEvT1_.num_named_barrier, 0
	.set _ZN7rocprim17ROCPRIM_400000_NS6detail17trampoline_kernelINS0_14default_configENS1_25transform_config_selectorImLb1EEEZNS1_14transform_implILb1ES3_S5_PmPjNS0_8identityIvEEEE10hipError_tT2_T3_mT4_P12ihipStream_tbEUlT_E_NS1_11comp_targetILNS1_3genE2ELNS1_11target_archE906ELNS1_3gpuE6ELNS1_3repE0EEENS1_30default_config_static_selectorELNS0_4arch9wavefront6targetE0EEEvT1_.private_seg_size, 0
	.set _ZN7rocprim17ROCPRIM_400000_NS6detail17trampoline_kernelINS0_14default_configENS1_25transform_config_selectorImLb1EEEZNS1_14transform_implILb1ES3_S5_PmPjNS0_8identityIvEEEE10hipError_tT2_T3_mT4_P12ihipStream_tbEUlT_E_NS1_11comp_targetILNS1_3genE2ELNS1_11target_archE906ELNS1_3gpuE6ELNS1_3repE0EEENS1_30default_config_static_selectorELNS0_4arch9wavefront6targetE0EEEvT1_.uses_vcc, 0
	.set _ZN7rocprim17ROCPRIM_400000_NS6detail17trampoline_kernelINS0_14default_configENS1_25transform_config_selectorImLb1EEEZNS1_14transform_implILb1ES3_S5_PmPjNS0_8identityIvEEEE10hipError_tT2_T3_mT4_P12ihipStream_tbEUlT_E_NS1_11comp_targetILNS1_3genE2ELNS1_11target_archE906ELNS1_3gpuE6ELNS1_3repE0EEENS1_30default_config_static_selectorELNS0_4arch9wavefront6targetE0EEEvT1_.uses_flat_scratch, 0
	.set _ZN7rocprim17ROCPRIM_400000_NS6detail17trampoline_kernelINS0_14default_configENS1_25transform_config_selectorImLb1EEEZNS1_14transform_implILb1ES3_S5_PmPjNS0_8identityIvEEEE10hipError_tT2_T3_mT4_P12ihipStream_tbEUlT_E_NS1_11comp_targetILNS1_3genE2ELNS1_11target_archE906ELNS1_3gpuE6ELNS1_3repE0EEENS1_30default_config_static_selectorELNS0_4arch9wavefront6targetE0EEEvT1_.has_dyn_sized_stack, 0
	.set _ZN7rocprim17ROCPRIM_400000_NS6detail17trampoline_kernelINS0_14default_configENS1_25transform_config_selectorImLb1EEEZNS1_14transform_implILb1ES3_S5_PmPjNS0_8identityIvEEEE10hipError_tT2_T3_mT4_P12ihipStream_tbEUlT_E_NS1_11comp_targetILNS1_3genE2ELNS1_11target_archE906ELNS1_3gpuE6ELNS1_3repE0EEENS1_30default_config_static_selectorELNS0_4arch9wavefront6targetE0EEEvT1_.has_recursion, 0
	.set _ZN7rocprim17ROCPRIM_400000_NS6detail17trampoline_kernelINS0_14default_configENS1_25transform_config_selectorImLb1EEEZNS1_14transform_implILb1ES3_S5_PmPjNS0_8identityIvEEEE10hipError_tT2_T3_mT4_P12ihipStream_tbEUlT_E_NS1_11comp_targetILNS1_3genE2ELNS1_11target_archE906ELNS1_3gpuE6ELNS1_3repE0EEENS1_30default_config_static_selectorELNS0_4arch9wavefront6targetE0EEEvT1_.has_indirect_call, 0
	.section	.AMDGPU.csdata,"",@progbits
; Kernel info:
; codeLenInByte = 0
; TotalNumSgprs: 0
; NumVgprs: 0
; ScratchSize: 0
; MemoryBound: 0
; FloatMode: 240
; IeeeMode: 1
; LDSByteSize: 0 bytes/workgroup (compile time only)
; SGPRBlocks: 0
; VGPRBlocks: 0
; NumSGPRsForWavesPerEU: 1
; NumVGPRsForWavesPerEU: 1
; Occupancy: 16
; WaveLimiterHint : 0
; COMPUTE_PGM_RSRC2:SCRATCH_EN: 0
; COMPUTE_PGM_RSRC2:USER_SGPR: 2
; COMPUTE_PGM_RSRC2:TRAP_HANDLER: 0
; COMPUTE_PGM_RSRC2:TGID_X_EN: 1
; COMPUTE_PGM_RSRC2:TGID_Y_EN: 0
; COMPUTE_PGM_RSRC2:TGID_Z_EN: 0
; COMPUTE_PGM_RSRC2:TIDIG_COMP_CNT: 0
	.section	.text._ZN7rocprim17ROCPRIM_400000_NS6detail17trampoline_kernelINS0_14default_configENS1_25transform_config_selectorImLb1EEEZNS1_14transform_implILb1ES3_S5_PmPjNS0_8identityIvEEEE10hipError_tT2_T3_mT4_P12ihipStream_tbEUlT_E_NS1_11comp_targetILNS1_3genE9ELNS1_11target_archE1100ELNS1_3gpuE3ELNS1_3repE0EEENS1_30default_config_static_selectorELNS0_4arch9wavefront6targetE0EEEvT1_,"axG",@progbits,_ZN7rocprim17ROCPRIM_400000_NS6detail17trampoline_kernelINS0_14default_configENS1_25transform_config_selectorImLb1EEEZNS1_14transform_implILb1ES3_S5_PmPjNS0_8identityIvEEEE10hipError_tT2_T3_mT4_P12ihipStream_tbEUlT_E_NS1_11comp_targetILNS1_3genE9ELNS1_11target_archE1100ELNS1_3gpuE3ELNS1_3repE0EEENS1_30default_config_static_selectorELNS0_4arch9wavefront6targetE0EEEvT1_,comdat
	.protected	_ZN7rocprim17ROCPRIM_400000_NS6detail17trampoline_kernelINS0_14default_configENS1_25transform_config_selectorImLb1EEEZNS1_14transform_implILb1ES3_S5_PmPjNS0_8identityIvEEEE10hipError_tT2_T3_mT4_P12ihipStream_tbEUlT_E_NS1_11comp_targetILNS1_3genE9ELNS1_11target_archE1100ELNS1_3gpuE3ELNS1_3repE0EEENS1_30default_config_static_selectorELNS0_4arch9wavefront6targetE0EEEvT1_ ; -- Begin function _ZN7rocprim17ROCPRIM_400000_NS6detail17trampoline_kernelINS0_14default_configENS1_25transform_config_selectorImLb1EEEZNS1_14transform_implILb1ES3_S5_PmPjNS0_8identityIvEEEE10hipError_tT2_T3_mT4_P12ihipStream_tbEUlT_E_NS1_11comp_targetILNS1_3genE9ELNS1_11target_archE1100ELNS1_3gpuE3ELNS1_3repE0EEENS1_30default_config_static_selectorELNS0_4arch9wavefront6targetE0EEEvT1_
	.globl	_ZN7rocprim17ROCPRIM_400000_NS6detail17trampoline_kernelINS0_14default_configENS1_25transform_config_selectorImLb1EEEZNS1_14transform_implILb1ES3_S5_PmPjNS0_8identityIvEEEE10hipError_tT2_T3_mT4_P12ihipStream_tbEUlT_E_NS1_11comp_targetILNS1_3genE9ELNS1_11target_archE1100ELNS1_3gpuE3ELNS1_3repE0EEENS1_30default_config_static_selectorELNS0_4arch9wavefront6targetE0EEEvT1_
	.p2align	8
	.type	_ZN7rocprim17ROCPRIM_400000_NS6detail17trampoline_kernelINS0_14default_configENS1_25transform_config_selectorImLb1EEEZNS1_14transform_implILb1ES3_S5_PmPjNS0_8identityIvEEEE10hipError_tT2_T3_mT4_P12ihipStream_tbEUlT_E_NS1_11comp_targetILNS1_3genE9ELNS1_11target_archE1100ELNS1_3gpuE3ELNS1_3repE0EEENS1_30default_config_static_selectorELNS0_4arch9wavefront6targetE0EEEvT1_,@function
_ZN7rocprim17ROCPRIM_400000_NS6detail17trampoline_kernelINS0_14default_configENS1_25transform_config_selectorImLb1EEEZNS1_14transform_implILb1ES3_S5_PmPjNS0_8identityIvEEEE10hipError_tT2_T3_mT4_P12ihipStream_tbEUlT_E_NS1_11comp_targetILNS1_3genE9ELNS1_11target_archE1100ELNS1_3gpuE3ELNS1_3repE0EEENS1_30default_config_static_selectorELNS0_4arch9wavefront6targetE0EEEvT1_: ; @_ZN7rocprim17ROCPRIM_400000_NS6detail17trampoline_kernelINS0_14default_configENS1_25transform_config_selectorImLb1EEEZNS1_14transform_implILb1ES3_S5_PmPjNS0_8identityIvEEEE10hipError_tT2_T3_mT4_P12ihipStream_tbEUlT_E_NS1_11comp_targetILNS1_3genE9ELNS1_11target_archE1100ELNS1_3gpuE3ELNS1_3repE0EEENS1_30default_config_static_selectorELNS0_4arch9wavefront6targetE0EEEvT1_
; %bb.0:
	.section	.rodata,"a",@progbits
	.p2align	6, 0x0
	.amdhsa_kernel _ZN7rocprim17ROCPRIM_400000_NS6detail17trampoline_kernelINS0_14default_configENS1_25transform_config_selectorImLb1EEEZNS1_14transform_implILb1ES3_S5_PmPjNS0_8identityIvEEEE10hipError_tT2_T3_mT4_P12ihipStream_tbEUlT_E_NS1_11comp_targetILNS1_3genE9ELNS1_11target_archE1100ELNS1_3gpuE3ELNS1_3repE0EEENS1_30default_config_static_selectorELNS0_4arch9wavefront6targetE0EEEvT1_
		.amdhsa_group_segment_fixed_size 0
		.amdhsa_private_segment_fixed_size 0
		.amdhsa_kernarg_size 40
		.amdhsa_user_sgpr_count 2
		.amdhsa_user_sgpr_dispatch_ptr 0
		.amdhsa_user_sgpr_queue_ptr 0
		.amdhsa_user_sgpr_kernarg_segment_ptr 1
		.amdhsa_user_sgpr_dispatch_id 0
		.amdhsa_user_sgpr_private_segment_size 0
		.amdhsa_wavefront_size32 1
		.amdhsa_uses_dynamic_stack 0
		.amdhsa_enable_private_segment 0
		.amdhsa_system_sgpr_workgroup_id_x 1
		.amdhsa_system_sgpr_workgroup_id_y 0
		.amdhsa_system_sgpr_workgroup_id_z 0
		.amdhsa_system_sgpr_workgroup_info 0
		.amdhsa_system_vgpr_workitem_id 0
		.amdhsa_next_free_vgpr 1
		.amdhsa_next_free_sgpr 1
		.amdhsa_reserve_vcc 0
		.amdhsa_float_round_mode_32 0
		.amdhsa_float_round_mode_16_64 0
		.amdhsa_float_denorm_mode_32 3
		.amdhsa_float_denorm_mode_16_64 3
		.amdhsa_fp16_overflow 0
		.amdhsa_workgroup_processor_mode 1
		.amdhsa_memory_ordered 1
		.amdhsa_forward_progress 1
		.amdhsa_inst_pref_size 0
		.amdhsa_round_robin_scheduling 0
		.amdhsa_exception_fp_ieee_invalid_op 0
		.amdhsa_exception_fp_denorm_src 0
		.amdhsa_exception_fp_ieee_div_zero 0
		.amdhsa_exception_fp_ieee_overflow 0
		.amdhsa_exception_fp_ieee_underflow 0
		.amdhsa_exception_fp_ieee_inexact 0
		.amdhsa_exception_int_div_zero 0
	.end_amdhsa_kernel
	.section	.text._ZN7rocprim17ROCPRIM_400000_NS6detail17trampoline_kernelINS0_14default_configENS1_25transform_config_selectorImLb1EEEZNS1_14transform_implILb1ES3_S5_PmPjNS0_8identityIvEEEE10hipError_tT2_T3_mT4_P12ihipStream_tbEUlT_E_NS1_11comp_targetILNS1_3genE9ELNS1_11target_archE1100ELNS1_3gpuE3ELNS1_3repE0EEENS1_30default_config_static_selectorELNS0_4arch9wavefront6targetE0EEEvT1_,"axG",@progbits,_ZN7rocprim17ROCPRIM_400000_NS6detail17trampoline_kernelINS0_14default_configENS1_25transform_config_selectorImLb1EEEZNS1_14transform_implILb1ES3_S5_PmPjNS0_8identityIvEEEE10hipError_tT2_T3_mT4_P12ihipStream_tbEUlT_E_NS1_11comp_targetILNS1_3genE9ELNS1_11target_archE1100ELNS1_3gpuE3ELNS1_3repE0EEENS1_30default_config_static_selectorELNS0_4arch9wavefront6targetE0EEEvT1_,comdat
.Lfunc_end18:
	.size	_ZN7rocprim17ROCPRIM_400000_NS6detail17trampoline_kernelINS0_14default_configENS1_25transform_config_selectorImLb1EEEZNS1_14transform_implILb1ES3_S5_PmPjNS0_8identityIvEEEE10hipError_tT2_T3_mT4_P12ihipStream_tbEUlT_E_NS1_11comp_targetILNS1_3genE9ELNS1_11target_archE1100ELNS1_3gpuE3ELNS1_3repE0EEENS1_30default_config_static_selectorELNS0_4arch9wavefront6targetE0EEEvT1_, .Lfunc_end18-_ZN7rocprim17ROCPRIM_400000_NS6detail17trampoline_kernelINS0_14default_configENS1_25transform_config_selectorImLb1EEEZNS1_14transform_implILb1ES3_S5_PmPjNS0_8identityIvEEEE10hipError_tT2_T3_mT4_P12ihipStream_tbEUlT_E_NS1_11comp_targetILNS1_3genE9ELNS1_11target_archE1100ELNS1_3gpuE3ELNS1_3repE0EEENS1_30default_config_static_selectorELNS0_4arch9wavefront6targetE0EEEvT1_
                                        ; -- End function
	.set _ZN7rocprim17ROCPRIM_400000_NS6detail17trampoline_kernelINS0_14default_configENS1_25transform_config_selectorImLb1EEEZNS1_14transform_implILb1ES3_S5_PmPjNS0_8identityIvEEEE10hipError_tT2_T3_mT4_P12ihipStream_tbEUlT_E_NS1_11comp_targetILNS1_3genE9ELNS1_11target_archE1100ELNS1_3gpuE3ELNS1_3repE0EEENS1_30default_config_static_selectorELNS0_4arch9wavefront6targetE0EEEvT1_.num_vgpr, 0
	.set _ZN7rocprim17ROCPRIM_400000_NS6detail17trampoline_kernelINS0_14default_configENS1_25transform_config_selectorImLb1EEEZNS1_14transform_implILb1ES3_S5_PmPjNS0_8identityIvEEEE10hipError_tT2_T3_mT4_P12ihipStream_tbEUlT_E_NS1_11comp_targetILNS1_3genE9ELNS1_11target_archE1100ELNS1_3gpuE3ELNS1_3repE0EEENS1_30default_config_static_selectorELNS0_4arch9wavefront6targetE0EEEvT1_.num_agpr, 0
	.set _ZN7rocprim17ROCPRIM_400000_NS6detail17trampoline_kernelINS0_14default_configENS1_25transform_config_selectorImLb1EEEZNS1_14transform_implILb1ES3_S5_PmPjNS0_8identityIvEEEE10hipError_tT2_T3_mT4_P12ihipStream_tbEUlT_E_NS1_11comp_targetILNS1_3genE9ELNS1_11target_archE1100ELNS1_3gpuE3ELNS1_3repE0EEENS1_30default_config_static_selectorELNS0_4arch9wavefront6targetE0EEEvT1_.numbered_sgpr, 0
	.set _ZN7rocprim17ROCPRIM_400000_NS6detail17trampoline_kernelINS0_14default_configENS1_25transform_config_selectorImLb1EEEZNS1_14transform_implILb1ES3_S5_PmPjNS0_8identityIvEEEE10hipError_tT2_T3_mT4_P12ihipStream_tbEUlT_E_NS1_11comp_targetILNS1_3genE9ELNS1_11target_archE1100ELNS1_3gpuE3ELNS1_3repE0EEENS1_30default_config_static_selectorELNS0_4arch9wavefront6targetE0EEEvT1_.num_named_barrier, 0
	.set _ZN7rocprim17ROCPRIM_400000_NS6detail17trampoline_kernelINS0_14default_configENS1_25transform_config_selectorImLb1EEEZNS1_14transform_implILb1ES3_S5_PmPjNS0_8identityIvEEEE10hipError_tT2_T3_mT4_P12ihipStream_tbEUlT_E_NS1_11comp_targetILNS1_3genE9ELNS1_11target_archE1100ELNS1_3gpuE3ELNS1_3repE0EEENS1_30default_config_static_selectorELNS0_4arch9wavefront6targetE0EEEvT1_.private_seg_size, 0
	.set _ZN7rocprim17ROCPRIM_400000_NS6detail17trampoline_kernelINS0_14default_configENS1_25transform_config_selectorImLb1EEEZNS1_14transform_implILb1ES3_S5_PmPjNS0_8identityIvEEEE10hipError_tT2_T3_mT4_P12ihipStream_tbEUlT_E_NS1_11comp_targetILNS1_3genE9ELNS1_11target_archE1100ELNS1_3gpuE3ELNS1_3repE0EEENS1_30default_config_static_selectorELNS0_4arch9wavefront6targetE0EEEvT1_.uses_vcc, 0
	.set _ZN7rocprim17ROCPRIM_400000_NS6detail17trampoline_kernelINS0_14default_configENS1_25transform_config_selectorImLb1EEEZNS1_14transform_implILb1ES3_S5_PmPjNS0_8identityIvEEEE10hipError_tT2_T3_mT4_P12ihipStream_tbEUlT_E_NS1_11comp_targetILNS1_3genE9ELNS1_11target_archE1100ELNS1_3gpuE3ELNS1_3repE0EEENS1_30default_config_static_selectorELNS0_4arch9wavefront6targetE0EEEvT1_.uses_flat_scratch, 0
	.set _ZN7rocprim17ROCPRIM_400000_NS6detail17trampoline_kernelINS0_14default_configENS1_25transform_config_selectorImLb1EEEZNS1_14transform_implILb1ES3_S5_PmPjNS0_8identityIvEEEE10hipError_tT2_T3_mT4_P12ihipStream_tbEUlT_E_NS1_11comp_targetILNS1_3genE9ELNS1_11target_archE1100ELNS1_3gpuE3ELNS1_3repE0EEENS1_30default_config_static_selectorELNS0_4arch9wavefront6targetE0EEEvT1_.has_dyn_sized_stack, 0
	.set _ZN7rocprim17ROCPRIM_400000_NS6detail17trampoline_kernelINS0_14default_configENS1_25transform_config_selectorImLb1EEEZNS1_14transform_implILb1ES3_S5_PmPjNS0_8identityIvEEEE10hipError_tT2_T3_mT4_P12ihipStream_tbEUlT_E_NS1_11comp_targetILNS1_3genE9ELNS1_11target_archE1100ELNS1_3gpuE3ELNS1_3repE0EEENS1_30default_config_static_selectorELNS0_4arch9wavefront6targetE0EEEvT1_.has_recursion, 0
	.set _ZN7rocprim17ROCPRIM_400000_NS6detail17trampoline_kernelINS0_14default_configENS1_25transform_config_selectorImLb1EEEZNS1_14transform_implILb1ES3_S5_PmPjNS0_8identityIvEEEE10hipError_tT2_T3_mT4_P12ihipStream_tbEUlT_E_NS1_11comp_targetILNS1_3genE9ELNS1_11target_archE1100ELNS1_3gpuE3ELNS1_3repE0EEENS1_30default_config_static_selectorELNS0_4arch9wavefront6targetE0EEEvT1_.has_indirect_call, 0
	.section	.AMDGPU.csdata,"",@progbits
; Kernel info:
; codeLenInByte = 0
; TotalNumSgprs: 0
; NumVgprs: 0
; ScratchSize: 0
; MemoryBound: 0
; FloatMode: 240
; IeeeMode: 1
; LDSByteSize: 0 bytes/workgroup (compile time only)
; SGPRBlocks: 0
; VGPRBlocks: 0
; NumSGPRsForWavesPerEU: 1
; NumVGPRsForWavesPerEU: 1
; Occupancy: 16
; WaveLimiterHint : 0
; COMPUTE_PGM_RSRC2:SCRATCH_EN: 0
; COMPUTE_PGM_RSRC2:USER_SGPR: 2
; COMPUTE_PGM_RSRC2:TRAP_HANDLER: 0
; COMPUTE_PGM_RSRC2:TGID_X_EN: 1
; COMPUTE_PGM_RSRC2:TGID_Y_EN: 0
; COMPUTE_PGM_RSRC2:TGID_Z_EN: 0
; COMPUTE_PGM_RSRC2:TIDIG_COMP_CNT: 0
	.section	.text._ZN7rocprim17ROCPRIM_400000_NS6detail17trampoline_kernelINS0_14default_configENS1_25transform_config_selectorImLb1EEEZNS1_14transform_implILb1ES3_S5_PmPjNS0_8identityIvEEEE10hipError_tT2_T3_mT4_P12ihipStream_tbEUlT_E_NS1_11comp_targetILNS1_3genE8ELNS1_11target_archE1030ELNS1_3gpuE2ELNS1_3repE0EEENS1_30default_config_static_selectorELNS0_4arch9wavefront6targetE0EEEvT1_,"axG",@progbits,_ZN7rocprim17ROCPRIM_400000_NS6detail17trampoline_kernelINS0_14default_configENS1_25transform_config_selectorImLb1EEEZNS1_14transform_implILb1ES3_S5_PmPjNS0_8identityIvEEEE10hipError_tT2_T3_mT4_P12ihipStream_tbEUlT_E_NS1_11comp_targetILNS1_3genE8ELNS1_11target_archE1030ELNS1_3gpuE2ELNS1_3repE0EEENS1_30default_config_static_selectorELNS0_4arch9wavefront6targetE0EEEvT1_,comdat
	.protected	_ZN7rocprim17ROCPRIM_400000_NS6detail17trampoline_kernelINS0_14default_configENS1_25transform_config_selectorImLb1EEEZNS1_14transform_implILb1ES3_S5_PmPjNS0_8identityIvEEEE10hipError_tT2_T3_mT4_P12ihipStream_tbEUlT_E_NS1_11comp_targetILNS1_3genE8ELNS1_11target_archE1030ELNS1_3gpuE2ELNS1_3repE0EEENS1_30default_config_static_selectorELNS0_4arch9wavefront6targetE0EEEvT1_ ; -- Begin function _ZN7rocprim17ROCPRIM_400000_NS6detail17trampoline_kernelINS0_14default_configENS1_25transform_config_selectorImLb1EEEZNS1_14transform_implILb1ES3_S5_PmPjNS0_8identityIvEEEE10hipError_tT2_T3_mT4_P12ihipStream_tbEUlT_E_NS1_11comp_targetILNS1_3genE8ELNS1_11target_archE1030ELNS1_3gpuE2ELNS1_3repE0EEENS1_30default_config_static_selectorELNS0_4arch9wavefront6targetE0EEEvT1_
	.globl	_ZN7rocprim17ROCPRIM_400000_NS6detail17trampoline_kernelINS0_14default_configENS1_25transform_config_selectorImLb1EEEZNS1_14transform_implILb1ES3_S5_PmPjNS0_8identityIvEEEE10hipError_tT2_T3_mT4_P12ihipStream_tbEUlT_E_NS1_11comp_targetILNS1_3genE8ELNS1_11target_archE1030ELNS1_3gpuE2ELNS1_3repE0EEENS1_30default_config_static_selectorELNS0_4arch9wavefront6targetE0EEEvT1_
	.p2align	8
	.type	_ZN7rocprim17ROCPRIM_400000_NS6detail17trampoline_kernelINS0_14default_configENS1_25transform_config_selectorImLb1EEEZNS1_14transform_implILb1ES3_S5_PmPjNS0_8identityIvEEEE10hipError_tT2_T3_mT4_P12ihipStream_tbEUlT_E_NS1_11comp_targetILNS1_3genE8ELNS1_11target_archE1030ELNS1_3gpuE2ELNS1_3repE0EEENS1_30default_config_static_selectorELNS0_4arch9wavefront6targetE0EEEvT1_,@function
_ZN7rocprim17ROCPRIM_400000_NS6detail17trampoline_kernelINS0_14default_configENS1_25transform_config_selectorImLb1EEEZNS1_14transform_implILb1ES3_S5_PmPjNS0_8identityIvEEEE10hipError_tT2_T3_mT4_P12ihipStream_tbEUlT_E_NS1_11comp_targetILNS1_3genE8ELNS1_11target_archE1030ELNS1_3gpuE2ELNS1_3repE0EEENS1_30default_config_static_selectorELNS0_4arch9wavefront6targetE0EEEvT1_: ; @_ZN7rocprim17ROCPRIM_400000_NS6detail17trampoline_kernelINS0_14default_configENS1_25transform_config_selectorImLb1EEEZNS1_14transform_implILb1ES3_S5_PmPjNS0_8identityIvEEEE10hipError_tT2_T3_mT4_P12ihipStream_tbEUlT_E_NS1_11comp_targetILNS1_3genE8ELNS1_11target_archE1030ELNS1_3gpuE2ELNS1_3repE0EEENS1_30default_config_static_selectorELNS0_4arch9wavefront6targetE0EEEvT1_
; %bb.0:
	.section	.rodata,"a",@progbits
	.p2align	6, 0x0
	.amdhsa_kernel _ZN7rocprim17ROCPRIM_400000_NS6detail17trampoline_kernelINS0_14default_configENS1_25transform_config_selectorImLb1EEEZNS1_14transform_implILb1ES3_S5_PmPjNS0_8identityIvEEEE10hipError_tT2_T3_mT4_P12ihipStream_tbEUlT_E_NS1_11comp_targetILNS1_3genE8ELNS1_11target_archE1030ELNS1_3gpuE2ELNS1_3repE0EEENS1_30default_config_static_selectorELNS0_4arch9wavefront6targetE0EEEvT1_
		.amdhsa_group_segment_fixed_size 0
		.amdhsa_private_segment_fixed_size 0
		.amdhsa_kernarg_size 40
		.amdhsa_user_sgpr_count 2
		.amdhsa_user_sgpr_dispatch_ptr 0
		.amdhsa_user_sgpr_queue_ptr 0
		.amdhsa_user_sgpr_kernarg_segment_ptr 1
		.amdhsa_user_sgpr_dispatch_id 0
		.amdhsa_user_sgpr_private_segment_size 0
		.amdhsa_wavefront_size32 1
		.amdhsa_uses_dynamic_stack 0
		.amdhsa_enable_private_segment 0
		.amdhsa_system_sgpr_workgroup_id_x 1
		.amdhsa_system_sgpr_workgroup_id_y 0
		.amdhsa_system_sgpr_workgroup_id_z 0
		.amdhsa_system_sgpr_workgroup_info 0
		.amdhsa_system_vgpr_workitem_id 0
		.amdhsa_next_free_vgpr 1
		.amdhsa_next_free_sgpr 1
		.amdhsa_reserve_vcc 0
		.amdhsa_float_round_mode_32 0
		.amdhsa_float_round_mode_16_64 0
		.amdhsa_float_denorm_mode_32 3
		.amdhsa_float_denorm_mode_16_64 3
		.amdhsa_fp16_overflow 0
		.amdhsa_workgroup_processor_mode 1
		.amdhsa_memory_ordered 1
		.amdhsa_forward_progress 1
		.amdhsa_inst_pref_size 0
		.amdhsa_round_robin_scheduling 0
		.amdhsa_exception_fp_ieee_invalid_op 0
		.amdhsa_exception_fp_denorm_src 0
		.amdhsa_exception_fp_ieee_div_zero 0
		.amdhsa_exception_fp_ieee_overflow 0
		.amdhsa_exception_fp_ieee_underflow 0
		.amdhsa_exception_fp_ieee_inexact 0
		.amdhsa_exception_int_div_zero 0
	.end_amdhsa_kernel
	.section	.text._ZN7rocprim17ROCPRIM_400000_NS6detail17trampoline_kernelINS0_14default_configENS1_25transform_config_selectorImLb1EEEZNS1_14transform_implILb1ES3_S5_PmPjNS0_8identityIvEEEE10hipError_tT2_T3_mT4_P12ihipStream_tbEUlT_E_NS1_11comp_targetILNS1_3genE8ELNS1_11target_archE1030ELNS1_3gpuE2ELNS1_3repE0EEENS1_30default_config_static_selectorELNS0_4arch9wavefront6targetE0EEEvT1_,"axG",@progbits,_ZN7rocprim17ROCPRIM_400000_NS6detail17trampoline_kernelINS0_14default_configENS1_25transform_config_selectorImLb1EEEZNS1_14transform_implILb1ES3_S5_PmPjNS0_8identityIvEEEE10hipError_tT2_T3_mT4_P12ihipStream_tbEUlT_E_NS1_11comp_targetILNS1_3genE8ELNS1_11target_archE1030ELNS1_3gpuE2ELNS1_3repE0EEENS1_30default_config_static_selectorELNS0_4arch9wavefront6targetE0EEEvT1_,comdat
.Lfunc_end19:
	.size	_ZN7rocprim17ROCPRIM_400000_NS6detail17trampoline_kernelINS0_14default_configENS1_25transform_config_selectorImLb1EEEZNS1_14transform_implILb1ES3_S5_PmPjNS0_8identityIvEEEE10hipError_tT2_T3_mT4_P12ihipStream_tbEUlT_E_NS1_11comp_targetILNS1_3genE8ELNS1_11target_archE1030ELNS1_3gpuE2ELNS1_3repE0EEENS1_30default_config_static_selectorELNS0_4arch9wavefront6targetE0EEEvT1_, .Lfunc_end19-_ZN7rocprim17ROCPRIM_400000_NS6detail17trampoline_kernelINS0_14default_configENS1_25transform_config_selectorImLb1EEEZNS1_14transform_implILb1ES3_S5_PmPjNS0_8identityIvEEEE10hipError_tT2_T3_mT4_P12ihipStream_tbEUlT_E_NS1_11comp_targetILNS1_3genE8ELNS1_11target_archE1030ELNS1_3gpuE2ELNS1_3repE0EEENS1_30default_config_static_selectorELNS0_4arch9wavefront6targetE0EEEvT1_
                                        ; -- End function
	.set _ZN7rocprim17ROCPRIM_400000_NS6detail17trampoline_kernelINS0_14default_configENS1_25transform_config_selectorImLb1EEEZNS1_14transform_implILb1ES3_S5_PmPjNS0_8identityIvEEEE10hipError_tT2_T3_mT4_P12ihipStream_tbEUlT_E_NS1_11comp_targetILNS1_3genE8ELNS1_11target_archE1030ELNS1_3gpuE2ELNS1_3repE0EEENS1_30default_config_static_selectorELNS0_4arch9wavefront6targetE0EEEvT1_.num_vgpr, 0
	.set _ZN7rocprim17ROCPRIM_400000_NS6detail17trampoline_kernelINS0_14default_configENS1_25transform_config_selectorImLb1EEEZNS1_14transform_implILb1ES3_S5_PmPjNS0_8identityIvEEEE10hipError_tT2_T3_mT4_P12ihipStream_tbEUlT_E_NS1_11comp_targetILNS1_3genE8ELNS1_11target_archE1030ELNS1_3gpuE2ELNS1_3repE0EEENS1_30default_config_static_selectorELNS0_4arch9wavefront6targetE0EEEvT1_.num_agpr, 0
	.set _ZN7rocprim17ROCPRIM_400000_NS6detail17trampoline_kernelINS0_14default_configENS1_25transform_config_selectorImLb1EEEZNS1_14transform_implILb1ES3_S5_PmPjNS0_8identityIvEEEE10hipError_tT2_T3_mT4_P12ihipStream_tbEUlT_E_NS1_11comp_targetILNS1_3genE8ELNS1_11target_archE1030ELNS1_3gpuE2ELNS1_3repE0EEENS1_30default_config_static_selectorELNS0_4arch9wavefront6targetE0EEEvT1_.numbered_sgpr, 0
	.set _ZN7rocprim17ROCPRIM_400000_NS6detail17trampoline_kernelINS0_14default_configENS1_25transform_config_selectorImLb1EEEZNS1_14transform_implILb1ES3_S5_PmPjNS0_8identityIvEEEE10hipError_tT2_T3_mT4_P12ihipStream_tbEUlT_E_NS1_11comp_targetILNS1_3genE8ELNS1_11target_archE1030ELNS1_3gpuE2ELNS1_3repE0EEENS1_30default_config_static_selectorELNS0_4arch9wavefront6targetE0EEEvT1_.num_named_barrier, 0
	.set _ZN7rocprim17ROCPRIM_400000_NS6detail17trampoline_kernelINS0_14default_configENS1_25transform_config_selectorImLb1EEEZNS1_14transform_implILb1ES3_S5_PmPjNS0_8identityIvEEEE10hipError_tT2_T3_mT4_P12ihipStream_tbEUlT_E_NS1_11comp_targetILNS1_3genE8ELNS1_11target_archE1030ELNS1_3gpuE2ELNS1_3repE0EEENS1_30default_config_static_selectorELNS0_4arch9wavefront6targetE0EEEvT1_.private_seg_size, 0
	.set _ZN7rocprim17ROCPRIM_400000_NS6detail17trampoline_kernelINS0_14default_configENS1_25transform_config_selectorImLb1EEEZNS1_14transform_implILb1ES3_S5_PmPjNS0_8identityIvEEEE10hipError_tT2_T3_mT4_P12ihipStream_tbEUlT_E_NS1_11comp_targetILNS1_3genE8ELNS1_11target_archE1030ELNS1_3gpuE2ELNS1_3repE0EEENS1_30default_config_static_selectorELNS0_4arch9wavefront6targetE0EEEvT1_.uses_vcc, 0
	.set _ZN7rocprim17ROCPRIM_400000_NS6detail17trampoline_kernelINS0_14default_configENS1_25transform_config_selectorImLb1EEEZNS1_14transform_implILb1ES3_S5_PmPjNS0_8identityIvEEEE10hipError_tT2_T3_mT4_P12ihipStream_tbEUlT_E_NS1_11comp_targetILNS1_3genE8ELNS1_11target_archE1030ELNS1_3gpuE2ELNS1_3repE0EEENS1_30default_config_static_selectorELNS0_4arch9wavefront6targetE0EEEvT1_.uses_flat_scratch, 0
	.set _ZN7rocprim17ROCPRIM_400000_NS6detail17trampoline_kernelINS0_14default_configENS1_25transform_config_selectorImLb1EEEZNS1_14transform_implILb1ES3_S5_PmPjNS0_8identityIvEEEE10hipError_tT2_T3_mT4_P12ihipStream_tbEUlT_E_NS1_11comp_targetILNS1_3genE8ELNS1_11target_archE1030ELNS1_3gpuE2ELNS1_3repE0EEENS1_30default_config_static_selectorELNS0_4arch9wavefront6targetE0EEEvT1_.has_dyn_sized_stack, 0
	.set _ZN7rocprim17ROCPRIM_400000_NS6detail17trampoline_kernelINS0_14default_configENS1_25transform_config_selectorImLb1EEEZNS1_14transform_implILb1ES3_S5_PmPjNS0_8identityIvEEEE10hipError_tT2_T3_mT4_P12ihipStream_tbEUlT_E_NS1_11comp_targetILNS1_3genE8ELNS1_11target_archE1030ELNS1_3gpuE2ELNS1_3repE0EEENS1_30default_config_static_selectorELNS0_4arch9wavefront6targetE0EEEvT1_.has_recursion, 0
	.set _ZN7rocprim17ROCPRIM_400000_NS6detail17trampoline_kernelINS0_14default_configENS1_25transform_config_selectorImLb1EEEZNS1_14transform_implILb1ES3_S5_PmPjNS0_8identityIvEEEE10hipError_tT2_T3_mT4_P12ihipStream_tbEUlT_E_NS1_11comp_targetILNS1_3genE8ELNS1_11target_archE1030ELNS1_3gpuE2ELNS1_3repE0EEENS1_30default_config_static_selectorELNS0_4arch9wavefront6targetE0EEEvT1_.has_indirect_call, 0
	.section	.AMDGPU.csdata,"",@progbits
; Kernel info:
; codeLenInByte = 0
; TotalNumSgprs: 0
; NumVgprs: 0
; ScratchSize: 0
; MemoryBound: 0
; FloatMode: 240
; IeeeMode: 1
; LDSByteSize: 0 bytes/workgroup (compile time only)
; SGPRBlocks: 0
; VGPRBlocks: 0
; NumSGPRsForWavesPerEU: 1
; NumVGPRsForWavesPerEU: 1
; Occupancy: 16
; WaveLimiterHint : 0
; COMPUTE_PGM_RSRC2:SCRATCH_EN: 0
; COMPUTE_PGM_RSRC2:USER_SGPR: 2
; COMPUTE_PGM_RSRC2:TRAP_HANDLER: 0
; COMPUTE_PGM_RSRC2:TGID_X_EN: 1
; COMPUTE_PGM_RSRC2:TGID_Y_EN: 0
; COMPUTE_PGM_RSRC2:TGID_Z_EN: 0
; COMPUTE_PGM_RSRC2:TIDIG_COMP_CNT: 0
	.section	.text._ZN7rocprim17ROCPRIM_400000_NS6detail31init_lookback_scan_state_kernelINS1_19lookback_scan_stateI15HIP_vector_typeIjLj2EELb1ELb1EEENS1_16block_id_wrapperIjLb1EEEEEvT_jT0_jPNS9_10value_typeE,"axG",@progbits,_ZN7rocprim17ROCPRIM_400000_NS6detail31init_lookback_scan_state_kernelINS1_19lookback_scan_stateI15HIP_vector_typeIjLj2EELb1ELb1EEENS1_16block_id_wrapperIjLb1EEEEEvT_jT0_jPNS9_10value_typeE,comdat
	.protected	_ZN7rocprim17ROCPRIM_400000_NS6detail31init_lookback_scan_state_kernelINS1_19lookback_scan_stateI15HIP_vector_typeIjLj2EELb1ELb1EEENS1_16block_id_wrapperIjLb1EEEEEvT_jT0_jPNS9_10value_typeE ; -- Begin function _ZN7rocprim17ROCPRIM_400000_NS6detail31init_lookback_scan_state_kernelINS1_19lookback_scan_stateI15HIP_vector_typeIjLj2EELb1ELb1EEENS1_16block_id_wrapperIjLb1EEEEEvT_jT0_jPNS9_10value_typeE
	.globl	_ZN7rocprim17ROCPRIM_400000_NS6detail31init_lookback_scan_state_kernelINS1_19lookback_scan_stateI15HIP_vector_typeIjLj2EELb1ELb1EEENS1_16block_id_wrapperIjLb1EEEEEvT_jT0_jPNS9_10value_typeE
	.p2align	8
	.type	_ZN7rocprim17ROCPRIM_400000_NS6detail31init_lookback_scan_state_kernelINS1_19lookback_scan_stateI15HIP_vector_typeIjLj2EELb1ELb1EEENS1_16block_id_wrapperIjLb1EEEEEvT_jT0_jPNS9_10value_typeE,@function
_ZN7rocprim17ROCPRIM_400000_NS6detail31init_lookback_scan_state_kernelINS1_19lookback_scan_stateI15HIP_vector_typeIjLj2EELb1ELb1EEENS1_16block_id_wrapperIjLb1EEEEEvT_jT0_jPNS9_10value_typeE: ; @_ZN7rocprim17ROCPRIM_400000_NS6detail31init_lookback_scan_state_kernelINS1_19lookback_scan_stateI15HIP_vector_typeIjLj2EELb1ELb1EEENS1_16block_id_wrapperIjLb1EEEEEvT_jT0_jPNS9_10value_typeE
; %bb.0:
	s_clause 0x2
	s_load_b32 s7, s[0:1], 0x34
	s_load_b64 s[2:3], s[0:1], 0x20
	s_load_b96 s[4:6], s[0:1], 0x0
	s_wait_kmcnt 0x0
	s_and_b32 s7, s7, 0xffff
	s_cmp_eq_u64 s[2:3], 0
	v_mad_co_u64_u32 v[0:1], null, ttmp9, s7, v[0:1]
	s_cbranch_scc1 .LBB20_10
; %bb.1:
	s_load_b32 s8, s[0:1], 0x18
	s_mov_b32 s9, 0
	s_wait_kmcnt 0x0
	s_cmp_lt_u32 s8, s6
	s_cselect_b32 s7, s8, 0
	s_wait_alu 0xfffe
	v_cmp_eq_u32_e32 vcc_lo, s7, v0
	s_and_saveexec_b32 s7, vcc_lo
	s_cbranch_execz .LBB20_9
; %bb.2:
	s_add_co_i32 s8, s8, 32
	s_mov_b32 s10, exec_lo
	s_lshl_b64 s[8:9], s[8:9], 4
	v_mov_b32_e32 v5, 0
	s_add_nc_u64 s[8:9], s[4:5], s[8:9]
	s_delay_alu instid0(SALU_CYCLE_1) | instskip(SKIP_2) | instid1(VALU_DEP_1)
	v_dual_mov_b32 v1, s8 :: v_dual_mov_b32 v2, s9
	;;#ASMSTART
	global_load_b128 v[1:4], v[1:2] off scope:SCOPE_DEV	
s_wait_loadcnt 0x0
	;;#ASMEND
	v_and_b32_e32 v4, 0xff, v3
	v_cmpx_eq_u64_e32 0, v[4:5]
	s_cbranch_execz .LBB20_8
; %bb.3:
	v_dual_mov_b32 v6, s8 :: v_dual_mov_b32 v7, s9
	s_mov_b32 s9, 1
	s_mov_b32 s8, 0
.LBB20_4:                               ; =>This Loop Header: Depth=1
                                        ;     Child Loop BB20_5 Depth 2
	s_wait_alu 0xfffe
	s_mov_b32 s11, s9
.LBB20_5:                               ;   Parent Loop BB20_4 Depth=1
                                        ; =>  This Inner Loop Header: Depth=2
	s_delay_alu instid0(SALU_CYCLE_1)
	s_add_co_i32 s11, s11, -1
	s_sleep 1
	s_cmp_eq_u32 s11, 0
	s_cbranch_scc0 .LBB20_5
; %bb.6:                                ;   in Loop: Header=BB20_4 Depth=1
	;;#ASMSTART
	global_load_b128 v[1:4], v[6:7] off scope:SCOPE_DEV	
s_wait_loadcnt 0x0
	;;#ASMEND
	v_and_b32_e32 v4, 0xff, v3
	s_cmp_lt_u32 s9, 32
	s_cselect_b32 s11, -1, 0
	s_delay_alu instid0(SALU_CYCLE_1) | instskip(NEXT) | instid1(VALU_DEP_1)
	s_cmp_lg_u32 s11, 0
	v_cmp_ne_u64_e32 vcc_lo, 0, v[4:5]
	s_add_co_ci_u32 s9, s9, 0
	s_or_b32 s8, vcc_lo, s8
	s_wait_alu 0xfffe
	s_and_not1_b32 exec_lo, exec_lo, s8
	s_cbranch_execnz .LBB20_4
; %bb.7:
	s_or_b32 exec_lo, exec_lo, s8
.LBB20_8:
	s_delay_alu instid0(SALU_CYCLE_1)
	s_or_b32 exec_lo, exec_lo, s10
	v_mov_b32_e32 v3, 0
	global_store_b64 v3, v[1:2], s[2:3]
.LBB20_9:
	s_wait_alu 0xfffe
	s_or_b32 exec_lo, exec_lo, s7
.LBB20_10:
	s_delay_alu instid0(SALU_CYCLE_1)
	s_mov_b32 s2, exec_lo
	v_cmpx_eq_u32_e32 0, v0
	s_cbranch_execz .LBB20_12
; %bb.11:
	s_load_b64 s[0:1], s[0:1], 0x10
	v_mov_b32_e32 v1, 0
	s_wait_kmcnt 0x0
	global_store_b32 v1, v1, s[0:1]
.LBB20_12:
	s_or_b32 exec_lo, exec_lo, s2
	s_delay_alu instid0(SALU_CYCLE_1)
	s_mov_b32 s0, exec_lo
	v_cmpx_gt_u32_e64 s6, v0
	s_cbranch_execz .LBB20_14
; %bb.13:
	v_dual_mov_b32 v2, 0 :: v_dual_add_nc_u32 v1, 32, v0
	s_delay_alu instid0(VALU_DEP_1) | instskip(SKIP_2) | instid1(VALU_DEP_3)
	v_lshlrev_b64_e32 v[4:5], 4, v[1:2]
	v_mov_b32_e32 v1, v2
	v_mov_b32_e32 v3, v2
	v_add_co_u32 v6, vcc_lo, s4, v4
	s_delay_alu instid0(VALU_DEP_1)
	v_add_co_ci_u32_e64 v7, null, s5, v5, vcc_lo
	v_mov_b32_e32 v4, v2
	global_store_b128 v[6:7], v[1:4], off
.LBB20_14:
	s_wait_alu 0xfffe
	s_or_b32 exec_lo, exec_lo, s0
	s_delay_alu instid0(SALU_CYCLE_1)
	s_mov_b32 s0, exec_lo
	v_cmpx_gt_u32_e32 32, v0
	s_cbranch_execz .LBB20_16
; %bb.15:
	v_dual_mov_b32 v1, 0 :: v_dual_mov_b32 v2, 0xff
	s_delay_alu instid0(VALU_DEP_1) | instskip(SKIP_1) | instid1(VALU_DEP_2)
	v_lshlrev_b64_e32 v[3:4], 4, v[0:1]
	v_mov_b32_e32 v0, v1
	v_add_co_u32 v5, vcc_lo, s4, v3
	s_wait_alu 0xfffd
	s_delay_alu instid0(VALU_DEP_3)
	v_add_co_ci_u32_e64 v6, null, s5, v4, vcc_lo
	v_mov_b32_e32 v3, v1
	global_store_b128 v[5:6], v[0:3], off
.LBB20_16:
	s_endpgm
	.section	.rodata,"a",@progbits
	.p2align	6, 0x0
	.amdhsa_kernel _ZN7rocprim17ROCPRIM_400000_NS6detail31init_lookback_scan_state_kernelINS1_19lookback_scan_stateI15HIP_vector_typeIjLj2EELb1ELb1EEENS1_16block_id_wrapperIjLb1EEEEEvT_jT0_jPNS9_10value_typeE
		.amdhsa_group_segment_fixed_size 0
		.amdhsa_private_segment_fixed_size 0
		.amdhsa_kernarg_size 296
		.amdhsa_user_sgpr_count 2
		.amdhsa_user_sgpr_dispatch_ptr 0
		.amdhsa_user_sgpr_queue_ptr 0
		.amdhsa_user_sgpr_kernarg_segment_ptr 1
		.amdhsa_user_sgpr_dispatch_id 0
		.amdhsa_user_sgpr_private_segment_size 0
		.amdhsa_wavefront_size32 1
		.amdhsa_uses_dynamic_stack 0
		.amdhsa_enable_private_segment 0
		.amdhsa_system_sgpr_workgroup_id_x 1
		.amdhsa_system_sgpr_workgroup_id_y 0
		.amdhsa_system_sgpr_workgroup_id_z 0
		.amdhsa_system_sgpr_workgroup_info 0
		.amdhsa_system_vgpr_workitem_id 0
		.amdhsa_next_free_vgpr 8
		.amdhsa_next_free_sgpr 12
		.amdhsa_reserve_vcc 1
		.amdhsa_float_round_mode_32 0
		.amdhsa_float_round_mode_16_64 0
		.amdhsa_float_denorm_mode_32 3
		.amdhsa_float_denorm_mode_16_64 3
		.amdhsa_fp16_overflow 0
		.amdhsa_workgroup_processor_mode 1
		.amdhsa_memory_ordered 1
		.amdhsa_forward_progress 1
		.amdhsa_inst_pref_size 4
		.amdhsa_round_robin_scheduling 0
		.amdhsa_exception_fp_ieee_invalid_op 0
		.amdhsa_exception_fp_denorm_src 0
		.amdhsa_exception_fp_ieee_div_zero 0
		.amdhsa_exception_fp_ieee_overflow 0
		.amdhsa_exception_fp_ieee_underflow 0
		.amdhsa_exception_fp_ieee_inexact 0
		.amdhsa_exception_int_div_zero 0
	.end_amdhsa_kernel
	.section	.text._ZN7rocprim17ROCPRIM_400000_NS6detail31init_lookback_scan_state_kernelINS1_19lookback_scan_stateI15HIP_vector_typeIjLj2EELb1ELb1EEENS1_16block_id_wrapperIjLb1EEEEEvT_jT0_jPNS9_10value_typeE,"axG",@progbits,_ZN7rocprim17ROCPRIM_400000_NS6detail31init_lookback_scan_state_kernelINS1_19lookback_scan_stateI15HIP_vector_typeIjLj2EELb1ELb1EEENS1_16block_id_wrapperIjLb1EEEEEvT_jT0_jPNS9_10value_typeE,comdat
.Lfunc_end20:
	.size	_ZN7rocprim17ROCPRIM_400000_NS6detail31init_lookback_scan_state_kernelINS1_19lookback_scan_stateI15HIP_vector_typeIjLj2EELb1ELb1EEENS1_16block_id_wrapperIjLb1EEEEEvT_jT0_jPNS9_10value_typeE, .Lfunc_end20-_ZN7rocprim17ROCPRIM_400000_NS6detail31init_lookback_scan_state_kernelINS1_19lookback_scan_stateI15HIP_vector_typeIjLj2EELb1ELb1EEENS1_16block_id_wrapperIjLb1EEEEEvT_jT0_jPNS9_10value_typeE
                                        ; -- End function
	.set _ZN7rocprim17ROCPRIM_400000_NS6detail31init_lookback_scan_state_kernelINS1_19lookback_scan_stateI15HIP_vector_typeIjLj2EELb1ELb1EEENS1_16block_id_wrapperIjLb1EEEEEvT_jT0_jPNS9_10value_typeE.num_vgpr, 8
	.set _ZN7rocprim17ROCPRIM_400000_NS6detail31init_lookback_scan_state_kernelINS1_19lookback_scan_stateI15HIP_vector_typeIjLj2EELb1ELb1EEENS1_16block_id_wrapperIjLb1EEEEEvT_jT0_jPNS9_10value_typeE.num_agpr, 0
	.set _ZN7rocprim17ROCPRIM_400000_NS6detail31init_lookback_scan_state_kernelINS1_19lookback_scan_stateI15HIP_vector_typeIjLj2EELb1ELb1EEENS1_16block_id_wrapperIjLb1EEEEEvT_jT0_jPNS9_10value_typeE.numbered_sgpr, 12
	.set _ZN7rocprim17ROCPRIM_400000_NS6detail31init_lookback_scan_state_kernelINS1_19lookback_scan_stateI15HIP_vector_typeIjLj2EELb1ELb1EEENS1_16block_id_wrapperIjLb1EEEEEvT_jT0_jPNS9_10value_typeE.num_named_barrier, 0
	.set _ZN7rocprim17ROCPRIM_400000_NS6detail31init_lookback_scan_state_kernelINS1_19lookback_scan_stateI15HIP_vector_typeIjLj2EELb1ELb1EEENS1_16block_id_wrapperIjLb1EEEEEvT_jT0_jPNS9_10value_typeE.private_seg_size, 0
	.set _ZN7rocprim17ROCPRIM_400000_NS6detail31init_lookback_scan_state_kernelINS1_19lookback_scan_stateI15HIP_vector_typeIjLj2EELb1ELb1EEENS1_16block_id_wrapperIjLb1EEEEEvT_jT0_jPNS9_10value_typeE.uses_vcc, 1
	.set _ZN7rocprim17ROCPRIM_400000_NS6detail31init_lookback_scan_state_kernelINS1_19lookback_scan_stateI15HIP_vector_typeIjLj2EELb1ELb1EEENS1_16block_id_wrapperIjLb1EEEEEvT_jT0_jPNS9_10value_typeE.uses_flat_scratch, 0
	.set _ZN7rocprim17ROCPRIM_400000_NS6detail31init_lookback_scan_state_kernelINS1_19lookback_scan_stateI15HIP_vector_typeIjLj2EELb1ELb1EEENS1_16block_id_wrapperIjLb1EEEEEvT_jT0_jPNS9_10value_typeE.has_dyn_sized_stack, 0
	.set _ZN7rocprim17ROCPRIM_400000_NS6detail31init_lookback_scan_state_kernelINS1_19lookback_scan_stateI15HIP_vector_typeIjLj2EELb1ELb1EEENS1_16block_id_wrapperIjLb1EEEEEvT_jT0_jPNS9_10value_typeE.has_recursion, 0
	.set _ZN7rocprim17ROCPRIM_400000_NS6detail31init_lookback_scan_state_kernelINS1_19lookback_scan_stateI15HIP_vector_typeIjLj2EELb1ELb1EEENS1_16block_id_wrapperIjLb1EEEEEvT_jT0_jPNS9_10value_typeE.has_indirect_call, 0
	.section	.AMDGPU.csdata,"",@progbits
; Kernel info:
; codeLenInByte = 492
; TotalNumSgprs: 14
; NumVgprs: 8
; ScratchSize: 0
; MemoryBound: 0
; FloatMode: 240
; IeeeMode: 1
; LDSByteSize: 0 bytes/workgroup (compile time only)
; SGPRBlocks: 0
; VGPRBlocks: 0
; NumSGPRsForWavesPerEU: 14
; NumVGPRsForWavesPerEU: 8
; Occupancy: 16
; WaveLimiterHint : 0
; COMPUTE_PGM_RSRC2:SCRATCH_EN: 0
; COMPUTE_PGM_RSRC2:USER_SGPR: 2
; COMPUTE_PGM_RSRC2:TRAP_HANDLER: 0
; COMPUTE_PGM_RSRC2:TGID_X_EN: 1
; COMPUTE_PGM_RSRC2:TGID_Y_EN: 0
; COMPUTE_PGM_RSRC2:TGID_Z_EN: 0
; COMPUTE_PGM_RSRC2:TIDIG_COMP_CNT: 0
	.section	.text._ZN7rocprim17ROCPRIM_400000_NS6detail17trampoline_kernelINS0_13select_configILj256ELj13ELNS0_17block_load_methodE3ELS4_3ELS4_3ELNS0_20block_scan_algorithmE0ELj4294967295EEENS1_25partition_config_selectorILNS1_17partition_subalgoE4EjNS0_10empty_typeEbEEZZNS1_14partition_implILS8_4ELb0ES6_15HIP_vector_typeIjLj2EENS0_17counting_iteratorIjlEEPS9_SG_NS0_5tupleIJPjSI_NS0_16reverse_iteratorISI_EEEEENSH_IJSG_SG_SG_EEES9_SI_JZNS1_25segmented_radix_sort_implINS0_14default_configELb1EPKhPhPKlPlN2at6native12_GLOBAL__N_18offset_tEEE10hipError_tPvRmT1_PNSt15iterator_traitsIS12_E10value_typeET2_T3_PNS13_IS18_E10value_typeET4_jRbjT5_S1E_jjP12ihipStream_tbEUljE_ZNSN_ISO_Lb1ESQ_SR_ST_SU_SY_EESZ_S10_S11_S12_S16_S17_S18_S1B_S1C_jS1D_jS1E_S1E_jjS1G_bEUljE0_EEESZ_S10_S11_S18_S1C_S1E_T6_T7_T9_mT8_S1G_bDpT10_ENKUlT_T0_E_clISt17integral_constantIbLb1EES1U_EEDaS1P_S1Q_EUlS1P_E_NS1_11comp_targetILNS1_3genE0ELNS1_11target_archE4294967295ELNS1_3gpuE0ELNS1_3repE0EEENS1_30default_config_static_selectorELNS0_4arch9wavefront6targetE0EEEvS12_,"axG",@progbits,_ZN7rocprim17ROCPRIM_400000_NS6detail17trampoline_kernelINS0_13select_configILj256ELj13ELNS0_17block_load_methodE3ELS4_3ELS4_3ELNS0_20block_scan_algorithmE0ELj4294967295EEENS1_25partition_config_selectorILNS1_17partition_subalgoE4EjNS0_10empty_typeEbEEZZNS1_14partition_implILS8_4ELb0ES6_15HIP_vector_typeIjLj2EENS0_17counting_iteratorIjlEEPS9_SG_NS0_5tupleIJPjSI_NS0_16reverse_iteratorISI_EEEEENSH_IJSG_SG_SG_EEES9_SI_JZNS1_25segmented_radix_sort_implINS0_14default_configELb1EPKhPhPKlPlN2at6native12_GLOBAL__N_18offset_tEEE10hipError_tPvRmT1_PNSt15iterator_traitsIS12_E10value_typeET2_T3_PNS13_IS18_E10value_typeET4_jRbjT5_S1E_jjP12ihipStream_tbEUljE_ZNSN_ISO_Lb1ESQ_SR_ST_SU_SY_EESZ_S10_S11_S12_S16_S17_S18_S1B_S1C_jS1D_jS1E_S1E_jjS1G_bEUljE0_EEESZ_S10_S11_S18_S1C_S1E_T6_T7_T9_mT8_S1G_bDpT10_ENKUlT_T0_E_clISt17integral_constantIbLb1EES1U_EEDaS1P_S1Q_EUlS1P_E_NS1_11comp_targetILNS1_3genE0ELNS1_11target_archE4294967295ELNS1_3gpuE0ELNS1_3repE0EEENS1_30default_config_static_selectorELNS0_4arch9wavefront6targetE0EEEvS12_,comdat
	.globl	_ZN7rocprim17ROCPRIM_400000_NS6detail17trampoline_kernelINS0_13select_configILj256ELj13ELNS0_17block_load_methodE3ELS4_3ELS4_3ELNS0_20block_scan_algorithmE0ELj4294967295EEENS1_25partition_config_selectorILNS1_17partition_subalgoE4EjNS0_10empty_typeEbEEZZNS1_14partition_implILS8_4ELb0ES6_15HIP_vector_typeIjLj2EENS0_17counting_iteratorIjlEEPS9_SG_NS0_5tupleIJPjSI_NS0_16reverse_iteratorISI_EEEEENSH_IJSG_SG_SG_EEES9_SI_JZNS1_25segmented_radix_sort_implINS0_14default_configELb1EPKhPhPKlPlN2at6native12_GLOBAL__N_18offset_tEEE10hipError_tPvRmT1_PNSt15iterator_traitsIS12_E10value_typeET2_T3_PNS13_IS18_E10value_typeET4_jRbjT5_S1E_jjP12ihipStream_tbEUljE_ZNSN_ISO_Lb1ESQ_SR_ST_SU_SY_EESZ_S10_S11_S12_S16_S17_S18_S1B_S1C_jS1D_jS1E_S1E_jjS1G_bEUljE0_EEESZ_S10_S11_S18_S1C_S1E_T6_T7_T9_mT8_S1G_bDpT10_ENKUlT_T0_E_clISt17integral_constantIbLb1EES1U_EEDaS1P_S1Q_EUlS1P_E_NS1_11comp_targetILNS1_3genE0ELNS1_11target_archE4294967295ELNS1_3gpuE0ELNS1_3repE0EEENS1_30default_config_static_selectorELNS0_4arch9wavefront6targetE0EEEvS12_ ; -- Begin function _ZN7rocprim17ROCPRIM_400000_NS6detail17trampoline_kernelINS0_13select_configILj256ELj13ELNS0_17block_load_methodE3ELS4_3ELS4_3ELNS0_20block_scan_algorithmE0ELj4294967295EEENS1_25partition_config_selectorILNS1_17partition_subalgoE4EjNS0_10empty_typeEbEEZZNS1_14partition_implILS8_4ELb0ES6_15HIP_vector_typeIjLj2EENS0_17counting_iteratorIjlEEPS9_SG_NS0_5tupleIJPjSI_NS0_16reverse_iteratorISI_EEEEENSH_IJSG_SG_SG_EEES9_SI_JZNS1_25segmented_radix_sort_implINS0_14default_configELb1EPKhPhPKlPlN2at6native12_GLOBAL__N_18offset_tEEE10hipError_tPvRmT1_PNSt15iterator_traitsIS12_E10value_typeET2_T3_PNS13_IS18_E10value_typeET4_jRbjT5_S1E_jjP12ihipStream_tbEUljE_ZNSN_ISO_Lb1ESQ_SR_ST_SU_SY_EESZ_S10_S11_S12_S16_S17_S18_S1B_S1C_jS1D_jS1E_S1E_jjS1G_bEUljE0_EEESZ_S10_S11_S18_S1C_S1E_T6_T7_T9_mT8_S1G_bDpT10_ENKUlT_T0_E_clISt17integral_constantIbLb1EES1U_EEDaS1P_S1Q_EUlS1P_E_NS1_11comp_targetILNS1_3genE0ELNS1_11target_archE4294967295ELNS1_3gpuE0ELNS1_3repE0EEENS1_30default_config_static_selectorELNS0_4arch9wavefront6targetE0EEEvS12_
	.p2align	8
	.type	_ZN7rocprim17ROCPRIM_400000_NS6detail17trampoline_kernelINS0_13select_configILj256ELj13ELNS0_17block_load_methodE3ELS4_3ELS4_3ELNS0_20block_scan_algorithmE0ELj4294967295EEENS1_25partition_config_selectorILNS1_17partition_subalgoE4EjNS0_10empty_typeEbEEZZNS1_14partition_implILS8_4ELb0ES6_15HIP_vector_typeIjLj2EENS0_17counting_iteratorIjlEEPS9_SG_NS0_5tupleIJPjSI_NS0_16reverse_iteratorISI_EEEEENSH_IJSG_SG_SG_EEES9_SI_JZNS1_25segmented_radix_sort_implINS0_14default_configELb1EPKhPhPKlPlN2at6native12_GLOBAL__N_18offset_tEEE10hipError_tPvRmT1_PNSt15iterator_traitsIS12_E10value_typeET2_T3_PNS13_IS18_E10value_typeET4_jRbjT5_S1E_jjP12ihipStream_tbEUljE_ZNSN_ISO_Lb1ESQ_SR_ST_SU_SY_EESZ_S10_S11_S12_S16_S17_S18_S1B_S1C_jS1D_jS1E_S1E_jjS1G_bEUljE0_EEESZ_S10_S11_S18_S1C_S1E_T6_T7_T9_mT8_S1G_bDpT10_ENKUlT_T0_E_clISt17integral_constantIbLb1EES1U_EEDaS1P_S1Q_EUlS1P_E_NS1_11comp_targetILNS1_3genE0ELNS1_11target_archE4294967295ELNS1_3gpuE0ELNS1_3repE0EEENS1_30default_config_static_selectorELNS0_4arch9wavefront6targetE0EEEvS12_,@function
_ZN7rocprim17ROCPRIM_400000_NS6detail17trampoline_kernelINS0_13select_configILj256ELj13ELNS0_17block_load_methodE3ELS4_3ELS4_3ELNS0_20block_scan_algorithmE0ELj4294967295EEENS1_25partition_config_selectorILNS1_17partition_subalgoE4EjNS0_10empty_typeEbEEZZNS1_14partition_implILS8_4ELb0ES6_15HIP_vector_typeIjLj2EENS0_17counting_iteratorIjlEEPS9_SG_NS0_5tupleIJPjSI_NS0_16reverse_iteratorISI_EEEEENSH_IJSG_SG_SG_EEES9_SI_JZNS1_25segmented_radix_sort_implINS0_14default_configELb1EPKhPhPKlPlN2at6native12_GLOBAL__N_18offset_tEEE10hipError_tPvRmT1_PNSt15iterator_traitsIS12_E10value_typeET2_T3_PNS13_IS18_E10value_typeET4_jRbjT5_S1E_jjP12ihipStream_tbEUljE_ZNSN_ISO_Lb1ESQ_SR_ST_SU_SY_EESZ_S10_S11_S12_S16_S17_S18_S1B_S1C_jS1D_jS1E_S1E_jjS1G_bEUljE0_EEESZ_S10_S11_S18_S1C_S1E_T6_T7_T9_mT8_S1G_bDpT10_ENKUlT_T0_E_clISt17integral_constantIbLb1EES1U_EEDaS1P_S1Q_EUlS1P_E_NS1_11comp_targetILNS1_3genE0ELNS1_11target_archE4294967295ELNS1_3gpuE0ELNS1_3repE0EEENS1_30default_config_static_selectorELNS0_4arch9wavefront6targetE0EEEvS12_: ; @_ZN7rocprim17ROCPRIM_400000_NS6detail17trampoline_kernelINS0_13select_configILj256ELj13ELNS0_17block_load_methodE3ELS4_3ELS4_3ELNS0_20block_scan_algorithmE0ELj4294967295EEENS1_25partition_config_selectorILNS1_17partition_subalgoE4EjNS0_10empty_typeEbEEZZNS1_14partition_implILS8_4ELb0ES6_15HIP_vector_typeIjLj2EENS0_17counting_iteratorIjlEEPS9_SG_NS0_5tupleIJPjSI_NS0_16reverse_iteratorISI_EEEEENSH_IJSG_SG_SG_EEES9_SI_JZNS1_25segmented_radix_sort_implINS0_14default_configELb1EPKhPhPKlPlN2at6native12_GLOBAL__N_18offset_tEEE10hipError_tPvRmT1_PNSt15iterator_traitsIS12_E10value_typeET2_T3_PNS13_IS18_E10value_typeET4_jRbjT5_S1E_jjP12ihipStream_tbEUljE_ZNSN_ISO_Lb1ESQ_SR_ST_SU_SY_EESZ_S10_S11_S12_S16_S17_S18_S1B_S1C_jS1D_jS1E_S1E_jjS1G_bEUljE0_EEESZ_S10_S11_S18_S1C_S1E_T6_T7_T9_mT8_S1G_bDpT10_ENKUlT_T0_E_clISt17integral_constantIbLb1EES1U_EEDaS1P_S1Q_EUlS1P_E_NS1_11comp_targetILNS1_3genE0ELNS1_11target_archE4294967295ELNS1_3gpuE0ELNS1_3repE0EEENS1_30default_config_static_selectorELNS0_4arch9wavefront6targetE0EEEvS12_
; %bb.0:
	.section	.rodata,"a",@progbits
	.p2align	6, 0x0
	.amdhsa_kernel _ZN7rocprim17ROCPRIM_400000_NS6detail17trampoline_kernelINS0_13select_configILj256ELj13ELNS0_17block_load_methodE3ELS4_3ELS4_3ELNS0_20block_scan_algorithmE0ELj4294967295EEENS1_25partition_config_selectorILNS1_17partition_subalgoE4EjNS0_10empty_typeEbEEZZNS1_14partition_implILS8_4ELb0ES6_15HIP_vector_typeIjLj2EENS0_17counting_iteratorIjlEEPS9_SG_NS0_5tupleIJPjSI_NS0_16reverse_iteratorISI_EEEEENSH_IJSG_SG_SG_EEES9_SI_JZNS1_25segmented_radix_sort_implINS0_14default_configELb1EPKhPhPKlPlN2at6native12_GLOBAL__N_18offset_tEEE10hipError_tPvRmT1_PNSt15iterator_traitsIS12_E10value_typeET2_T3_PNS13_IS18_E10value_typeET4_jRbjT5_S1E_jjP12ihipStream_tbEUljE_ZNSN_ISO_Lb1ESQ_SR_ST_SU_SY_EESZ_S10_S11_S12_S16_S17_S18_S1B_S1C_jS1D_jS1E_S1E_jjS1G_bEUljE0_EEESZ_S10_S11_S18_S1C_S1E_T6_T7_T9_mT8_S1G_bDpT10_ENKUlT_T0_E_clISt17integral_constantIbLb1EES1U_EEDaS1P_S1Q_EUlS1P_E_NS1_11comp_targetILNS1_3genE0ELNS1_11target_archE4294967295ELNS1_3gpuE0ELNS1_3repE0EEENS1_30default_config_static_selectorELNS0_4arch9wavefront6targetE0EEEvS12_
		.amdhsa_group_segment_fixed_size 0
		.amdhsa_private_segment_fixed_size 0
		.amdhsa_kernarg_size 184
		.amdhsa_user_sgpr_count 2
		.amdhsa_user_sgpr_dispatch_ptr 0
		.amdhsa_user_sgpr_queue_ptr 0
		.amdhsa_user_sgpr_kernarg_segment_ptr 1
		.amdhsa_user_sgpr_dispatch_id 0
		.amdhsa_user_sgpr_private_segment_size 0
		.amdhsa_wavefront_size32 1
		.amdhsa_uses_dynamic_stack 0
		.amdhsa_enable_private_segment 0
		.amdhsa_system_sgpr_workgroup_id_x 1
		.amdhsa_system_sgpr_workgroup_id_y 0
		.amdhsa_system_sgpr_workgroup_id_z 0
		.amdhsa_system_sgpr_workgroup_info 0
		.amdhsa_system_vgpr_workitem_id 0
		.amdhsa_next_free_vgpr 1
		.amdhsa_next_free_sgpr 1
		.amdhsa_reserve_vcc 0
		.amdhsa_float_round_mode_32 0
		.amdhsa_float_round_mode_16_64 0
		.amdhsa_float_denorm_mode_32 3
		.amdhsa_float_denorm_mode_16_64 3
		.amdhsa_fp16_overflow 0
		.amdhsa_workgroup_processor_mode 1
		.amdhsa_memory_ordered 1
		.amdhsa_forward_progress 1
		.amdhsa_inst_pref_size 0
		.amdhsa_round_robin_scheduling 0
		.amdhsa_exception_fp_ieee_invalid_op 0
		.amdhsa_exception_fp_denorm_src 0
		.amdhsa_exception_fp_ieee_div_zero 0
		.amdhsa_exception_fp_ieee_overflow 0
		.amdhsa_exception_fp_ieee_underflow 0
		.amdhsa_exception_fp_ieee_inexact 0
		.amdhsa_exception_int_div_zero 0
	.end_amdhsa_kernel
	.section	.text._ZN7rocprim17ROCPRIM_400000_NS6detail17trampoline_kernelINS0_13select_configILj256ELj13ELNS0_17block_load_methodE3ELS4_3ELS4_3ELNS0_20block_scan_algorithmE0ELj4294967295EEENS1_25partition_config_selectorILNS1_17partition_subalgoE4EjNS0_10empty_typeEbEEZZNS1_14partition_implILS8_4ELb0ES6_15HIP_vector_typeIjLj2EENS0_17counting_iteratorIjlEEPS9_SG_NS0_5tupleIJPjSI_NS0_16reverse_iteratorISI_EEEEENSH_IJSG_SG_SG_EEES9_SI_JZNS1_25segmented_radix_sort_implINS0_14default_configELb1EPKhPhPKlPlN2at6native12_GLOBAL__N_18offset_tEEE10hipError_tPvRmT1_PNSt15iterator_traitsIS12_E10value_typeET2_T3_PNS13_IS18_E10value_typeET4_jRbjT5_S1E_jjP12ihipStream_tbEUljE_ZNSN_ISO_Lb1ESQ_SR_ST_SU_SY_EESZ_S10_S11_S12_S16_S17_S18_S1B_S1C_jS1D_jS1E_S1E_jjS1G_bEUljE0_EEESZ_S10_S11_S18_S1C_S1E_T6_T7_T9_mT8_S1G_bDpT10_ENKUlT_T0_E_clISt17integral_constantIbLb1EES1U_EEDaS1P_S1Q_EUlS1P_E_NS1_11comp_targetILNS1_3genE0ELNS1_11target_archE4294967295ELNS1_3gpuE0ELNS1_3repE0EEENS1_30default_config_static_selectorELNS0_4arch9wavefront6targetE0EEEvS12_,"axG",@progbits,_ZN7rocprim17ROCPRIM_400000_NS6detail17trampoline_kernelINS0_13select_configILj256ELj13ELNS0_17block_load_methodE3ELS4_3ELS4_3ELNS0_20block_scan_algorithmE0ELj4294967295EEENS1_25partition_config_selectorILNS1_17partition_subalgoE4EjNS0_10empty_typeEbEEZZNS1_14partition_implILS8_4ELb0ES6_15HIP_vector_typeIjLj2EENS0_17counting_iteratorIjlEEPS9_SG_NS0_5tupleIJPjSI_NS0_16reverse_iteratorISI_EEEEENSH_IJSG_SG_SG_EEES9_SI_JZNS1_25segmented_radix_sort_implINS0_14default_configELb1EPKhPhPKlPlN2at6native12_GLOBAL__N_18offset_tEEE10hipError_tPvRmT1_PNSt15iterator_traitsIS12_E10value_typeET2_T3_PNS13_IS18_E10value_typeET4_jRbjT5_S1E_jjP12ihipStream_tbEUljE_ZNSN_ISO_Lb1ESQ_SR_ST_SU_SY_EESZ_S10_S11_S12_S16_S17_S18_S1B_S1C_jS1D_jS1E_S1E_jjS1G_bEUljE0_EEESZ_S10_S11_S18_S1C_S1E_T6_T7_T9_mT8_S1G_bDpT10_ENKUlT_T0_E_clISt17integral_constantIbLb1EES1U_EEDaS1P_S1Q_EUlS1P_E_NS1_11comp_targetILNS1_3genE0ELNS1_11target_archE4294967295ELNS1_3gpuE0ELNS1_3repE0EEENS1_30default_config_static_selectorELNS0_4arch9wavefront6targetE0EEEvS12_,comdat
.Lfunc_end21:
	.size	_ZN7rocprim17ROCPRIM_400000_NS6detail17trampoline_kernelINS0_13select_configILj256ELj13ELNS0_17block_load_methodE3ELS4_3ELS4_3ELNS0_20block_scan_algorithmE0ELj4294967295EEENS1_25partition_config_selectorILNS1_17partition_subalgoE4EjNS0_10empty_typeEbEEZZNS1_14partition_implILS8_4ELb0ES6_15HIP_vector_typeIjLj2EENS0_17counting_iteratorIjlEEPS9_SG_NS0_5tupleIJPjSI_NS0_16reverse_iteratorISI_EEEEENSH_IJSG_SG_SG_EEES9_SI_JZNS1_25segmented_radix_sort_implINS0_14default_configELb1EPKhPhPKlPlN2at6native12_GLOBAL__N_18offset_tEEE10hipError_tPvRmT1_PNSt15iterator_traitsIS12_E10value_typeET2_T3_PNS13_IS18_E10value_typeET4_jRbjT5_S1E_jjP12ihipStream_tbEUljE_ZNSN_ISO_Lb1ESQ_SR_ST_SU_SY_EESZ_S10_S11_S12_S16_S17_S18_S1B_S1C_jS1D_jS1E_S1E_jjS1G_bEUljE0_EEESZ_S10_S11_S18_S1C_S1E_T6_T7_T9_mT8_S1G_bDpT10_ENKUlT_T0_E_clISt17integral_constantIbLb1EES1U_EEDaS1P_S1Q_EUlS1P_E_NS1_11comp_targetILNS1_3genE0ELNS1_11target_archE4294967295ELNS1_3gpuE0ELNS1_3repE0EEENS1_30default_config_static_selectorELNS0_4arch9wavefront6targetE0EEEvS12_, .Lfunc_end21-_ZN7rocprim17ROCPRIM_400000_NS6detail17trampoline_kernelINS0_13select_configILj256ELj13ELNS0_17block_load_methodE3ELS4_3ELS4_3ELNS0_20block_scan_algorithmE0ELj4294967295EEENS1_25partition_config_selectorILNS1_17partition_subalgoE4EjNS0_10empty_typeEbEEZZNS1_14partition_implILS8_4ELb0ES6_15HIP_vector_typeIjLj2EENS0_17counting_iteratorIjlEEPS9_SG_NS0_5tupleIJPjSI_NS0_16reverse_iteratorISI_EEEEENSH_IJSG_SG_SG_EEES9_SI_JZNS1_25segmented_radix_sort_implINS0_14default_configELb1EPKhPhPKlPlN2at6native12_GLOBAL__N_18offset_tEEE10hipError_tPvRmT1_PNSt15iterator_traitsIS12_E10value_typeET2_T3_PNS13_IS18_E10value_typeET4_jRbjT5_S1E_jjP12ihipStream_tbEUljE_ZNSN_ISO_Lb1ESQ_SR_ST_SU_SY_EESZ_S10_S11_S12_S16_S17_S18_S1B_S1C_jS1D_jS1E_S1E_jjS1G_bEUljE0_EEESZ_S10_S11_S18_S1C_S1E_T6_T7_T9_mT8_S1G_bDpT10_ENKUlT_T0_E_clISt17integral_constantIbLb1EES1U_EEDaS1P_S1Q_EUlS1P_E_NS1_11comp_targetILNS1_3genE0ELNS1_11target_archE4294967295ELNS1_3gpuE0ELNS1_3repE0EEENS1_30default_config_static_selectorELNS0_4arch9wavefront6targetE0EEEvS12_
                                        ; -- End function
	.set _ZN7rocprim17ROCPRIM_400000_NS6detail17trampoline_kernelINS0_13select_configILj256ELj13ELNS0_17block_load_methodE3ELS4_3ELS4_3ELNS0_20block_scan_algorithmE0ELj4294967295EEENS1_25partition_config_selectorILNS1_17partition_subalgoE4EjNS0_10empty_typeEbEEZZNS1_14partition_implILS8_4ELb0ES6_15HIP_vector_typeIjLj2EENS0_17counting_iteratorIjlEEPS9_SG_NS0_5tupleIJPjSI_NS0_16reverse_iteratorISI_EEEEENSH_IJSG_SG_SG_EEES9_SI_JZNS1_25segmented_radix_sort_implINS0_14default_configELb1EPKhPhPKlPlN2at6native12_GLOBAL__N_18offset_tEEE10hipError_tPvRmT1_PNSt15iterator_traitsIS12_E10value_typeET2_T3_PNS13_IS18_E10value_typeET4_jRbjT5_S1E_jjP12ihipStream_tbEUljE_ZNSN_ISO_Lb1ESQ_SR_ST_SU_SY_EESZ_S10_S11_S12_S16_S17_S18_S1B_S1C_jS1D_jS1E_S1E_jjS1G_bEUljE0_EEESZ_S10_S11_S18_S1C_S1E_T6_T7_T9_mT8_S1G_bDpT10_ENKUlT_T0_E_clISt17integral_constantIbLb1EES1U_EEDaS1P_S1Q_EUlS1P_E_NS1_11comp_targetILNS1_3genE0ELNS1_11target_archE4294967295ELNS1_3gpuE0ELNS1_3repE0EEENS1_30default_config_static_selectorELNS0_4arch9wavefront6targetE0EEEvS12_.num_vgpr, 0
	.set _ZN7rocprim17ROCPRIM_400000_NS6detail17trampoline_kernelINS0_13select_configILj256ELj13ELNS0_17block_load_methodE3ELS4_3ELS4_3ELNS0_20block_scan_algorithmE0ELj4294967295EEENS1_25partition_config_selectorILNS1_17partition_subalgoE4EjNS0_10empty_typeEbEEZZNS1_14partition_implILS8_4ELb0ES6_15HIP_vector_typeIjLj2EENS0_17counting_iteratorIjlEEPS9_SG_NS0_5tupleIJPjSI_NS0_16reverse_iteratorISI_EEEEENSH_IJSG_SG_SG_EEES9_SI_JZNS1_25segmented_radix_sort_implINS0_14default_configELb1EPKhPhPKlPlN2at6native12_GLOBAL__N_18offset_tEEE10hipError_tPvRmT1_PNSt15iterator_traitsIS12_E10value_typeET2_T3_PNS13_IS18_E10value_typeET4_jRbjT5_S1E_jjP12ihipStream_tbEUljE_ZNSN_ISO_Lb1ESQ_SR_ST_SU_SY_EESZ_S10_S11_S12_S16_S17_S18_S1B_S1C_jS1D_jS1E_S1E_jjS1G_bEUljE0_EEESZ_S10_S11_S18_S1C_S1E_T6_T7_T9_mT8_S1G_bDpT10_ENKUlT_T0_E_clISt17integral_constantIbLb1EES1U_EEDaS1P_S1Q_EUlS1P_E_NS1_11comp_targetILNS1_3genE0ELNS1_11target_archE4294967295ELNS1_3gpuE0ELNS1_3repE0EEENS1_30default_config_static_selectorELNS0_4arch9wavefront6targetE0EEEvS12_.num_agpr, 0
	.set _ZN7rocprim17ROCPRIM_400000_NS6detail17trampoline_kernelINS0_13select_configILj256ELj13ELNS0_17block_load_methodE3ELS4_3ELS4_3ELNS0_20block_scan_algorithmE0ELj4294967295EEENS1_25partition_config_selectorILNS1_17partition_subalgoE4EjNS0_10empty_typeEbEEZZNS1_14partition_implILS8_4ELb0ES6_15HIP_vector_typeIjLj2EENS0_17counting_iteratorIjlEEPS9_SG_NS0_5tupleIJPjSI_NS0_16reverse_iteratorISI_EEEEENSH_IJSG_SG_SG_EEES9_SI_JZNS1_25segmented_radix_sort_implINS0_14default_configELb1EPKhPhPKlPlN2at6native12_GLOBAL__N_18offset_tEEE10hipError_tPvRmT1_PNSt15iterator_traitsIS12_E10value_typeET2_T3_PNS13_IS18_E10value_typeET4_jRbjT5_S1E_jjP12ihipStream_tbEUljE_ZNSN_ISO_Lb1ESQ_SR_ST_SU_SY_EESZ_S10_S11_S12_S16_S17_S18_S1B_S1C_jS1D_jS1E_S1E_jjS1G_bEUljE0_EEESZ_S10_S11_S18_S1C_S1E_T6_T7_T9_mT8_S1G_bDpT10_ENKUlT_T0_E_clISt17integral_constantIbLb1EES1U_EEDaS1P_S1Q_EUlS1P_E_NS1_11comp_targetILNS1_3genE0ELNS1_11target_archE4294967295ELNS1_3gpuE0ELNS1_3repE0EEENS1_30default_config_static_selectorELNS0_4arch9wavefront6targetE0EEEvS12_.numbered_sgpr, 0
	.set _ZN7rocprim17ROCPRIM_400000_NS6detail17trampoline_kernelINS0_13select_configILj256ELj13ELNS0_17block_load_methodE3ELS4_3ELS4_3ELNS0_20block_scan_algorithmE0ELj4294967295EEENS1_25partition_config_selectorILNS1_17partition_subalgoE4EjNS0_10empty_typeEbEEZZNS1_14partition_implILS8_4ELb0ES6_15HIP_vector_typeIjLj2EENS0_17counting_iteratorIjlEEPS9_SG_NS0_5tupleIJPjSI_NS0_16reverse_iteratorISI_EEEEENSH_IJSG_SG_SG_EEES9_SI_JZNS1_25segmented_radix_sort_implINS0_14default_configELb1EPKhPhPKlPlN2at6native12_GLOBAL__N_18offset_tEEE10hipError_tPvRmT1_PNSt15iterator_traitsIS12_E10value_typeET2_T3_PNS13_IS18_E10value_typeET4_jRbjT5_S1E_jjP12ihipStream_tbEUljE_ZNSN_ISO_Lb1ESQ_SR_ST_SU_SY_EESZ_S10_S11_S12_S16_S17_S18_S1B_S1C_jS1D_jS1E_S1E_jjS1G_bEUljE0_EEESZ_S10_S11_S18_S1C_S1E_T6_T7_T9_mT8_S1G_bDpT10_ENKUlT_T0_E_clISt17integral_constantIbLb1EES1U_EEDaS1P_S1Q_EUlS1P_E_NS1_11comp_targetILNS1_3genE0ELNS1_11target_archE4294967295ELNS1_3gpuE0ELNS1_3repE0EEENS1_30default_config_static_selectorELNS0_4arch9wavefront6targetE0EEEvS12_.num_named_barrier, 0
	.set _ZN7rocprim17ROCPRIM_400000_NS6detail17trampoline_kernelINS0_13select_configILj256ELj13ELNS0_17block_load_methodE3ELS4_3ELS4_3ELNS0_20block_scan_algorithmE0ELj4294967295EEENS1_25partition_config_selectorILNS1_17partition_subalgoE4EjNS0_10empty_typeEbEEZZNS1_14partition_implILS8_4ELb0ES6_15HIP_vector_typeIjLj2EENS0_17counting_iteratorIjlEEPS9_SG_NS0_5tupleIJPjSI_NS0_16reverse_iteratorISI_EEEEENSH_IJSG_SG_SG_EEES9_SI_JZNS1_25segmented_radix_sort_implINS0_14default_configELb1EPKhPhPKlPlN2at6native12_GLOBAL__N_18offset_tEEE10hipError_tPvRmT1_PNSt15iterator_traitsIS12_E10value_typeET2_T3_PNS13_IS18_E10value_typeET4_jRbjT5_S1E_jjP12ihipStream_tbEUljE_ZNSN_ISO_Lb1ESQ_SR_ST_SU_SY_EESZ_S10_S11_S12_S16_S17_S18_S1B_S1C_jS1D_jS1E_S1E_jjS1G_bEUljE0_EEESZ_S10_S11_S18_S1C_S1E_T6_T7_T9_mT8_S1G_bDpT10_ENKUlT_T0_E_clISt17integral_constantIbLb1EES1U_EEDaS1P_S1Q_EUlS1P_E_NS1_11comp_targetILNS1_3genE0ELNS1_11target_archE4294967295ELNS1_3gpuE0ELNS1_3repE0EEENS1_30default_config_static_selectorELNS0_4arch9wavefront6targetE0EEEvS12_.private_seg_size, 0
	.set _ZN7rocprim17ROCPRIM_400000_NS6detail17trampoline_kernelINS0_13select_configILj256ELj13ELNS0_17block_load_methodE3ELS4_3ELS4_3ELNS0_20block_scan_algorithmE0ELj4294967295EEENS1_25partition_config_selectorILNS1_17partition_subalgoE4EjNS0_10empty_typeEbEEZZNS1_14partition_implILS8_4ELb0ES6_15HIP_vector_typeIjLj2EENS0_17counting_iteratorIjlEEPS9_SG_NS0_5tupleIJPjSI_NS0_16reverse_iteratorISI_EEEEENSH_IJSG_SG_SG_EEES9_SI_JZNS1_25segmented_radix_sort_implINS0_14default_configELb1EPKhPhPKlPlN2at6native12_GLOBAL__N_18offset_tEEE10hipError_tPvRmT1_PNSt15iterator_traitsIS12_E10value_typeET2_T3_PNS13_IS18_E10value_typeET4_jRbjT5_S1E_jjP12ihipStream_tbEUljE_ZNSN_ISO_Lb1ESQ_SR_ST_SU_SY_EESZ_S10_S11_S12_S16_S17_S18_S1B_S1C_jS1D_jS1E_S1E_jjS1G_bEUljE0_EEESZ_S10_S11_S18_S1C_S1E_T6_T7_T9_mT8_S1G_bDpT10_ENKUlT_T0_E_clISt17integral_constantIbLb1EES1U_EEDaS1P_S1Q_EUlS1P_E_NS1_11comp_targetILNS1_3genE0ELNS1_11target_archE4294967295ELNS1_3gpuE0ELNS1_3repE0EEENS1_30default_config_static_selectorELNS0_4arch9wavefront6targetE0EEEvS12_.uses_vcc, 0
	.set _ZN7rocprim17ROCPRIM_400000_NS6detail17trampoline_kernelINS0_13select_configILj256ELj13ELNS0_17block_load_methodE3ELS4_3ELS4_3ELNS0_20block_scan_algorithmE0ELj4294967295EEENS1_25partition_config_selectorILNS1_17partition_subalgoE4EjNS0_10empty_typeEbEEZZNS1_14partition_implILS8_4ELb0ES6_15HIP_vector_typeIjLj2EENS0_17counting_iteratorIjlEEPS9_SG_NS0_5tupleIJPjSI_NS0_16reverse_iteratorISI_EEEEENSH_IJSG_SG_SG_EEES9_SI_JZNS1_25segmented_radix_sort_implINS0_14default_configELb1EPKhPhPKlPlN2at6native12_GLOBAL__N_18offset_tEEE10hipError_tPvRmT1_PNSt15iterator_traitsIS12_E10value_typeET2_T3_PNS13_IS18_E10value_typeET4_jRbjT5_S1E_jjP12ihipStream_tbEUljE_ZNSN_ISO_Lb1ESQ_SR_ST_SU_SY_EESZ_S10_S11_S12_S16_S17_S18_S1B_S1C_jS1D_jS1E_S1E_jjS1G_bEUljE0_EEESZ_S10_S11_S18_S1C_S1E_T6_T7_T9_mT8_S1G_bDpT10_ENKUlT_T0_E_clISt17integral_constantIbLb1EES1U_EEDaS1P_S1Q_EUlS1P_E_NS1_11comp_targetILNS1_3genE0ELNS1_11target_archE4294967295ELNS1_3gpuE0ELNS1_3repE0EEENS1_30default_config_static_selectorELNS0_4arch9wavefront6targetE0EEEvS12_.uses_flat_scratch, 0
	.set _ZN7rocprim17ROCPRIM_400000_NS6detail17trampoline_kernelINS0_13select_configILj256ELj13ELNS0_17block_load_methodE3ELS4_3ELS4_3ELNS0_20block_scan_algorithmE0ELj4294967295EEENS1_25partition_config_selectorILNS1_17partition_subalgoE4EjNS0_10empty_typeEbEEZZNS1_14partition_implILS8_4ELb0ES6_15HIP_vector_typeIjLj2EENS0_17counting_iteratorIjlEEPS9_SG_NS0_5tupleIJPjSI_NS0_16reverse_iteratorISI_EEEEENSH_IJSG_SG_SG_EEES9_SI_JZNS1_25segmented_radix_sort_implINS0_14default_configELb1EPKhPhPKlPlN2at6native12_GLOBAL__N_18offset_tEEE10hipError_tPvRmT1_PNSt15iterator_traitsIS12_E10value_typeET2_T3_PNS13_IS18_E10value_typeET4_jRbjT5_S1E_jjP12ihipStream_tbEUljE_ZNSN_ISO_Lb1ESQ_SR_ST_SU_SY_EESZ_S10_S11_S12_S16_S17_S18_S1B_S1C_jS1D_jS1E_S1E_jjS1G_bEUljE0_EEESZ_S10_S11_S18_S1C_S1E_T6_T7_T9_mT8_S1G_bDpT10_ENKUlT_T0_E_clISt17integral_constantIbLb1EES1U_EEDaS1P_S1Q_EUlS1P_E_NS1_11comp_targetILNS1_3genE0ELNS1_11target_archE4294967295ELNS1_3gpuE0ELNS1_3repE0EEENS1_30default_config_static_selectorELNS0_4arch9wavefront6targetE0EEEvS12_.has_dyn_sized_stack, 0
	.set _ZN7rocprim17ROCPRIM_400000_NS6detail17trampoline_kernelINS0_13select_configILj256ELj13ELNS0_17block_load_methodE3ELS4_3ELS4_3ELNS0_20block_scan_algorithmE0ELj4294967295EEENS1_25partition_config_selectorILNS1_17partition_subalgoE4EjNS0_10empty_typeEbEEZZNS1_14partition_implILS8_4ELb0ES6_15HIP_vector_typeIjLj2EENS0_17counting_iteratorIjlEEPS9_SG_NS0_5tupleIJPjSI_NS0_16reverse_iteratorISI_EEEEENSH_IJSG_SG_SG_EEES9_SI_JZNS1_25segmented_radix_sort_implINS0_14default_configELb1EPKhPhPKlPlN2at6native12_GLOBAL__N_18offset_tEEE10hipError_tPvRmT1_PNSt15iterator_traitsIS12_E10value_typeET2_T3_PNS13_IS18_E10value_typeET4_jRbjT5_S1E_jjP12ihipStream_tbEUljE_ZNSN_ISO_Lb1ESQ_SR_ST_SU_SY_EESZ_S10_S11_S12_S16_S17_S18_S1B_S1C_jS1D_jS1E_S1E_jjS1G_bEUljE0_EEESZ_S10_S11_S18_S1C_S1E_T6_T7_T9_mT8_S1G_bDpT10_ENKUlT_T0_E_clISt17integral_constantIbLb1EES1U_EEDaS1P_S1Q_EUlS1P_E_NS1_11comp_targetILNS1_3genE0ELNS1_11target_archE4294967295ELNS1_3gpuE0ELNS1_3repE0EEENS1_30default_config_static_selectorELNS0_4arch9wavefront6targetE0EEEvS12_.has_recursion, 0
	.set _ZN7rocprim17ROCPRIM_400000_NS6detail17trampoline_kernelINS0_13select_configILj256ELj13ELNS0_17block_load_methodE3ELS4_3ELS4_3ELNS0_20block_scan_algorithmE0ELj4294967295EEENS1_25partition_config_selectorILNS1_17partition_subalgoE4EjNS0_10empty_typeEbEEZZNS1_14partition_implILS8_4ELb0ES6_15HIP_vector_typeIjLj2EENS0_17counting_iteratorIjlEEPS9_SG_NS0_5tupleIJPjSI_NS0_16reverse_iteratorISI_EEEEENSH_IJSG_SG_SG_EEES9_SI_JZNS1_25segmented_radix_sort_implINS0_14default_configELb1EPKhPhPKlPlN2at6native12_GLOBAL__N_18offset_tEEE10hipError_tPvRmT1_PNSt15iterator_traitsIS12_E10value_typeET2_T3_PNS13_IS18_E10value_typeET4_jRbjT5_S1E_jjP12ihipStream_tbEUljE_ZNSN_ISO_Lb1ESQ_SR_ST_SU_SY_EESZ_S10_S11_S12_S16_S17_S18_S1B_S1C_jS1D_jS1E_S1E_jjS1G_bEUljE0_EEESZ_S10_S11_S18_S1C_S1E_T6_T7_T9_mT8_S1G_bDpT10_ENKUlT_T0_E_clISt17integral_constantIbLb1EES1U_EEDaS1P_S1Q_EUlS1P_E_NS1_11comp_targetILNS1_3genE0ELNS1_11target_archE4294967295ELNS1_3gpuE0ELNS1_3repE0EEENS1_30default_config_static_selectorELNS0_4arch9wavefront6targetE0EEEvS12_.has_indirect_call, 0
	.section	.AMDGPU.csdata,"",@progbits
; Kernel info:
; codeLenInByte = 0
; TotalNumSgprs: 0
; NumVgprs: 0
; ScratchSize: 0
; MemoryBound: 0
; FloatMode: 240
; IeeeMode: 1
; LDSByteSize: 0 bytes/workgroup (compile time only)
; SGPRBlocks: 0
; VGPRBlocks: 0
; NumSGPRsForWavesPerEU: 1
; NumVGPRsForWavesPerEU: 1
; Occupancy: 16
; WaveLimiterHint : 0
; COMPUTE_PGM_RSRC2:SCRATCH_EN: 0
; COMPUTE_PGM_RSRC2:USER_SGPR: 2
; COMPUTE_PGM_RSRC2:TRAP_HANDLER: 0
; COMPUTE_PGM_RSRC2:TGID_X_EN: 1
; COMPUTE_PGM_RSRC2:TGID_Y_EN: 0
; COMPUTE_PGM_RSRC2:TGID_Z_EN: 0
; COMPUTE_PGM_RSRC2:TIDIG_COMP_CNT: 0
	.section	.text._ZN7rocprim17ROCPRIM_400000_NS6detail17trampoline_kernelINS0_13select_configILj256ELj13ELNS0_17block_load_methodE3ELS4_3ELS4_3ELNS0_20block_scan_algorithmE0ELj4294967295EEENS1_25partition_config_selectorILNS1_17partition_subalgoE4EjNS0_10empty_typeEbEEZZNS1_14partition_implILS8_4ELb0ES6_15HIP_vector_typeIjLj2EENS0_17counting_iteratorIjlEEPS9_SG_NS0_5tupleIJPjSI_NS0_16reverse_iteratorISI_EEEEENSH_IJSG_SG_SG_EEES9_SI_JZNS1_25segmented_radix_sort_implINS0_14default_configELb1EPKhPhPKlPlN2at6native12_GLOBAL__N_18offset_tEEE10hipError_tPvRmT1_PNSt15iterator_traitsIS12_E10value_typeET2_T3_PNS13_IS18_E10value_typeET4_jRbjT5_S1E_jjP12ihipStream_tbEUljE_ZNSN_ISO_Lb1ESQ_SR_ST_SU_SY_EESZ_S10_S11_S12_S16_S17_S18_S1B_S1C_jS1D_jS1E_S1E_jjS1G_bEUljE0_EEESZ_S10_S11_S18_S1C_S1E_T6_T7_T9_mT8_S1G_bDpT10_ENKUlT_T0_E_clISt17integral_constantIbLb1EES1U_EEDaS1P_S1Q_EUlS1P_E_NS1_11comp_targetILNS1_3genE5ELNS1_11target_archE942ELNS1_3gpuE9ELNS1_3repE0EEENS1_30default_config_static_selectorELNS0_4arch9wavefront6targetE0EEEvS12_,"axG",@progbits,_ZN7rocprim17ROCPRIM_400000_NS6detail17trampoline_kernelINS0_13select_configILj256ELj13ELNS0_17block_load_methodE3ELS4_3ELS4_3ELNS0_20block_scan_algorithmE0ELj4294967295EEENS1_25partition_config_selectorILNS1_17partition_subalgoE4EjNS0_10empty_typeEbEEZZNS1_14partition_implILS8_4ELb0ES6_15HIP_vector_typeIjLj2EENS0_17counting_iteratorIjlEEPS9_SG_NS0_5tupleIJPjSI_NS0_16reverse_iteratorISI_EEEEENSH_IJSG_SG_SG_EEES9_SI_JZNS1_25segmented_radix_sort_implINS0_14default_configELb1EPKhPhPKlPlN2at6native12_GLOBAL__N_18offset_tEEE10hipError_tPvRmT1_PNSt15iterator_traitsIS12_E10value_typeET2_T3_PNS13_IS18_E10value_typeET4_jRbjT5_S1E_jjP12ihipStream_tbEUljE_ZNSN_ISO_Lb1ESQ_SR_ST_SU_SY_EESZ_S10_S11_S12_S16_S17_S18_S1B_S1C_jS1D_jS1E_S1E_jjS1G_bEUljE0_EEESZ_S10_S11_S18_S1C_S1E_T6_T7_T9_mT8_S1G_bDpT10_ENKUlT_T0_E_clISt17integral_constantIbLb1EES1U_EEDaS1P_S1Q_EUlS1P_E_NS1_11comp_targetILNS1_3genE5ELNS1_11target_archE942ELNS1_3gpuE9ELNS1_3repE0EEENS1_30default_config_static_selectorELNS0_4arch9wavefront6targetE0EEEvS12_,comdat
	.globl	_ZN7rocprim17ROCPRIM_400000_NS6detail17trampoline_kernelINS0_13select_configILj256ELj13ELNS0_17block_load_methodE3ELS4_3ELS4_3ELNS0_20block_scan_algorithmE0ELj4294967295EEENS1_25partition_config_selectorILNS1_17partition_subalgoE4EjNS0_10empty_typeEbEEZZNS1_14partition_implILS8_4ELb0ES6_15HIP_vector_typeIjLj2EENS0_17counting_iteratorIjlEEPS9_SG_NS0_5tupleIJPjSI_NS0_16reverse_iteratorISI_EEEEENSH_IJSG_SG_SG_EEES9_SI_JZNS1_25segmented_radix_sort_implINS0_14default_configELb1EPKhPhPKlPlN2at6native12_GLOBAL__N_18offset_tEEE10hipError_tPvRmT1_PNSt15iterator_traitsIS12_E10value_typeET2_T3_PNS13_IS18_E10value_typeET4_jRbjT5_S1E_jjP12ihipStream_tbEUljE_ZNSN_ISO_Lb1ESQ_SR_ST_SU_SY_EESZ_S10_S11_S12_S16_S17_S18_S1B_S1C_jS1D_jS1E_S1E_jjS1G_bEUljE0_EEESZ_S10_S11_S18_S1C_S1E_T6_T7_T9_mT8_S1G_bDpT10_ENKUlT_T0_E_clISt17integral_constantIbLb1EES1U_EEDaS1P_S1Q_EUlS1P_E_NS1_11comp_targetILNS1_3genE5ELNS1_11target_archE942ELNS1_3gpuE9ELNS1_3repE0EEENS1_30default_config_static_selectorELNS0_4arch9wavefront6targetE0EEEvS12_ ; -- Begin function _ZN7rocprim17ROCPRIM_400000_NS6detail17trampoline_kernelINS0_13select_configILj256ELj13ELNS0_17block_load_methodE3ELS4_3ELS4_3ELNS0_20block_scan_algorithmE0ELj4294967295EEENS1_25partition_config_selectorILNS1_17partition_subalgoE4EjNS0_10empty_typeEbEEZZNS1_14partition_implILS8_4ELb0ES6_15HIP_vector_typeIjLj2EENS0_17counting_iteratorIjlEEPS9_SG_NS0_5tupleIJPjSI_NS0_16reverse_iteratorISI_EEEEENSH_IJSG_SG_SG_EEES9_SI_JZNS1_25segmented_radix_sort_implINS0_14default_configELb1EPKhPhPKlPlN2at6native12_GLOBAL__N_18offset_tEEE10hipError_tPvRmT1_PNSt15iterator_traitsIS12_E10value_typeET2_T3_PNS13_IS18_E10value_typeET4_jRbjT5_S1E_jjP12ihipStream_tbEUljE_ZNSN_ISO_Lb1ESQ_SR_ST_SU_SY_EESZ_S10_S11_S12_S16_S17_S18_S1B_S1C_jS1D_jS1E_S1E_jjS1G_bEUljE0_EEESZ_S10_S11_S18_S1C_S1E_T6_T7_T9_mT8_S1G_bDpT10_ENKUlT_T0_E_clISt17integral_constantIbLb1EES1U_EEDaS1P_S1Q_EUlS1P_E_NS1_11comp_targetILNS1_3genE5ELNS1_11target_archE942ELNS1_3gpuE9ELNS1_3repE0EEENS1_30default_config_static_selectorELNS0_4arch9wavefront6targetE0EEEvS12_
	.p2align	8
	.type	_ZN7rocprim17ROCPRIM_400000_NS6detail17trampoline_kernelINS0_13select_configILj256ELj13ELNS0_17block_load_methodE3ELS4_3ELS4_3ELNS0_20block_scan_algorithmE0ELj4294967295EEENS1_25partition_config_selectorILNS1_17partition_subalgoE4EjNS0_10empty_typeEbEEZZNS1_14partition_implILS8_4ELb0ES6_15HIP_vector_typeIjLj2EENS0_17counting_iteratorIjlEEPS9_SG_NS0_5tupleIJPjSI_NS0_16reverse_iteratorISI_EEEEENSH_IJSG_SG_SG_EEES9_SI_JZNS1_25segmented_radix_sort_implINS0_14default_configELb1EPKhPhPKlPlN2at6native12_GLOBAL__N_18offset_tEEE10hipError_tPvRmT1_PNSt15iterator_traitsIS12_E10value_typeET2_T3_PNS13_IS18_E10value_typeET4_jRbjT5_S1E_jjP12ihipStream_tbEUljE_ZNSN_ISO_Lb1ESQ_SR_ST_SU_SY_EESZ_S10_S11_S12_S16_S17_S18_S1B_S1C_jS1D_jS1E_S1E_jjS1G_bEUljE0_EEESZ_S10_S11_S18_S1C_S1E_T6_T7_T9_mT8_S1G_bDpT10_ENKUlT_T0_E_clISt17integral_constantIbLb1EES1U_EEDaS1P_S1Q_EUlS1P_E_NS1_11comp_targetILNS1_3genE5ELNS1_11target_archE942ELNS1_3gpuE9ELNS1_3repE0EEENS1_30default_config_static_selectorELNS0_4arch9wavefront6targetE0EEEvS12_,@function
_ZN7rocprim17ROCPRIM_400000_NS6detail17trampoline_kernelINS0_13select_configILj256ELj13ELNS0_17block_load_methodE3ELS4_3ELS4_3ELNS0_20block_scan_algorithmE0ELj4294967295EEENS1_25partition_config_selectorILNS1_17partition_subalgoE4EjNS0_10empty_typeEbEEZZNS1_14partition_implILS8_4ELb0ES6_15HIP_vector_typeIjLj2EENS0_17counting_iteratorIjlEEPS9_SG_NS0_5tupleIJPjSI_NS0_16reverse_iteratorISI_EEEEENSH_IJSG_SG_SG_EEES9_SI_JZNS1_25segmented_radix_sort_implINS0_14default_configELb1EPKhPhPKlPlN2at6native12_GLOBAL__N_18offset_tEEE10hipError_tPvRmT1_PNSt15iterator_traitsIS12_E10value_typeET2_T3_PNS13_IS18_E10value_typeET4_jRbjT5_S1E_jjP12ihipStream_tbEUljE_ZNSN_ISO_Lb1ESQ_SR_ST_SU_SY_EESZ_S10_S11_S12_S16_S17_S18_S1B_S1C_jS1D_jS1E_S1E_jjS1G_bEUljE0_EEESZ_S10_S11_S18_S1C_S1E_T6_T7_T9_mT8_S1G_bDpT10_ENKUlT_T0_E_clISt17integral_constantIbLb1EES1U_EEDaS1P_S1Q_EUlS1P_E_NS1_11comp_targetILNS1_3genE5ELNS1_11target_archE942ELNS1_3gpuE9ELNS1_3repE0EEENS1_30default_config_static_selectorELNS0_4arch9wavefront6targetE0EEEvS12_: ; @_ZN7rocprim17ROCPRIM_400000_NS6detail17trampoline_kernelINS0_13select_configILj256ELj13ELNS0_17block_load_methodE3ELS4_3ELS4_3ELNS0_20block_scan_algorithmE0ELj4294967295EEENS1_25partition_config_selectorILNS1_17partition_subalgoE4EjNS0_10empty_typeEbEEZZNS1_14partition_implILS8_4ELb0ES6_15HIP_vector_typeIjLj2EENS0_17counting_iteratorIjlEEPS9_SG_NS0_5tupleIJPjSI_NS0_16reverse_iteratorISI_EEEEENSH_IJSG_SG_SG_EEES9_SI_JZNS1_25segmented_radix_sort_implINS0_14default_configELb1EPKhPhPKlPlN2at6native12_GLOBAL__N_18offset_tEEE10hipError_tPvRmT1_PNSt15iterator_traitsIS12_E10value_typeET2_T3_PNS13_IS18_E10value_typeET4_jRbjT5_S1E_jjP12ihipStream_tbEUljE_ZNSN_ISO_Lb1ESQ_SR_ST_SU_SY_EESZ_S10_S11_S12_S16_S17_S18_S1B_S1C_jS1D_jS1E_S1E_jjS1G_bEUljE0_EEESZ_S10_S11_S18_S1C_S1E_T6_T7_T9_mT8_S1G_bDpT10_ENKUlT_T0_E_clISt17integral_constantIbLb1EES1U_EEDaS1P_S1Q_EUlS1P_E_NS1_11comp_targetILNS1_3genE5ELNS1_11target_archE942ELNS1_3gpuE9ELNS1_3repE0EEENS1_30default_config_static_selectorELNS0_4arch9wavefront6targetE0EEEvS12_
; %bb.0:
	.section	.rodata,"a",@progbits
	.p2align	6, 0x0
	.amdhsa_kernel _ZN7rocprim17ROCPRIM_400000_NS6detail17trampoline_kernelINS0_13select_configILj256ELj13ELNS0_17block_load_methodE3ELS4_3ELS4_3ELNS0_20block_scan_algorithmE0ELj4294967295EEENS1_25partition_config_selectorILNS1_17partition_subalgoE4EjNS0_10empty_typeEbEEZZNS1_14partition_implILS8_4ELb0ES6_15HIP_vector_typeIjLj2EENS0_17counting_iteratorIjlEEPS9_SG_NS0_5tupleIJPjSI_NS0_16reverse_iteratorISI_EEEEENSH_IJSG_SG_SG_EEES9_SI_JZNS1_25segmented_radix_sort_implINS0_14default_configELb1EPKhPhPKlPlN2at6native12_GLOBAL__N_18offset_tEEE10hipError_tPvRmT1_PNSt15iterator_traitsIS12_E10value_typeET2_T3_PNS13_IS18_E10value_typeET4_jRbjT5_S1E_jjP12ihipStream_tbEUljE_ZNSN_ISO_Lb1ESQ_SR_ST_SU_SY_EESZ_S10_S11_S12_S16_S17_S18_S1B_S1C_jS1D_jS1E_S1E_jjS1G_bEUljE0_EEESZ_S10_S11_S18_S1C_S1E_T6_T7_T9_mT8_S1G_bDpT10_ENKUlT_T0_E_clISt17integral_constantIbLb1EES1U_EEDaS1P_S1Q_EUlS1P_E_NS1_11comp_targetILNS1_3genE5ELNS1_11target_archE942ELNS1_3gpuE9ELNS1_3repE0EEENS1_30default_config_static_selectorELNS0_4arch9wavefront6targetE0EEEvS12_
		.amdhsa_group_segment_fixed_size 0
		.amdhsa_private_segment_fixed_size 0
		.amdhsa_kernarg_size 184
		.amdhsa_user_sgpr_count 2
		.amdhsa_user_sgpr_dispatch_ptr 0
		.amdhsa_user_sgpr_queue_ptr 0
		.amdhsa_user_sgpr_kernarg_segment_ptr 1
		.amdhsa_user_sgpr_dispatch_id 0
		.amdhsa_user_sgpr_private_segment_size 0
		.amdhsa_wavefront_size32 1
		.amdhsa_uses_dynamic_stack 0
		.amdhsa_enable_private_segment 0
		.amdhsa_system_sgpr_workgroup_id_x 1
		.amdhsa_system_sgpr_workgroup_id_y 0
		.amdhsa_system_sgpr_workgroup_id_z 0
		.amdhsa_system_sgpr_workgroup_info 0
		.amdhsa_system_vgpr_workitem_id 0
		.amdhsa_next_free_vgpr 1
		.amdhsa_next_free_sgpr 1
		.amdhsa_reserve_vcc 0
		.amdhsa_float_round_mode_32 0
		.amdhsa_float_round_mode_16_64 0
		.amdhsa_float_denorm_mode_32 3
		.amdhsa_float_denorm_mode_16_64 3
		.amdhsa_fp16_overflow 0
		.amdhsa_workgroup_processor_mode 1
		.amdhsa_memory_ordered 1
		.amdhsa_forward_progress 1
		.amdhsa_inst_pref_size 0
		.amdhsa_round_robin_scheduling 0
		.amdhsa_exception_fp_ieee_invalid_op 0
		.amdhsa_exception_fp_denorm_src 0
		.amdhsa_exception_fp_ieee_div_zero 0
		.amdhsa_exception_fp_ieee_overflow 0
		.amdhsa_exception_fp_ieee_underflow 0
		.amdhsa_exception_fp_ieee_inexact 0
		.amdhsa_exception_int_div_zero 0
	.end_amdhsa_kernel
	.section	.text._ZN7rocprim17ROCPRIM_400000_NS6detail17trampoline_kernelINS0_13select_configILj256ELj13ELNS0_17block_load_methodE3ELS4_3ELS4_3ELNS0_20block_scan_algorithmE0ELj4294967295EEENS1_25partition_config_selectorILNS1_17partition_subalgoE4EjNS0_10empty_typeEbEEZZNS1_14partition_implILS8_4ELb0ES6_15HIP_vector_typeIjLj2EENS0_17counting_iteratorIjlEEPS9_SG_NS0_5tupleIJPjSI_NS0_16reverse_iteratorISI_EEEEENSH_IJSG_SG_SG_EEES9_SI_JZNS1_25segmented_radix_sort_implINS0_14default_configELb1EPKhPhPKlPlN2at6native12_GLOBAL__N_18offset_tEEE10hipError_tPvRmT1_PNSt15iterator_traitsIS12_E10value_typeET2_T3_PNS13_IS18_E10value_typeET4_jRbjT5_S1E_jjP12ihipStream_tbEUljE_ZNSN_ISO_Lb1ESQ_SR_ST_SU_SY_EESZ_S10_S11_S12_S16_S17_S18_S1B_S1C_jS1D_jS1E_S1E_jjS1G_bEUljE0_EEESZ_S10_S11_S18_S1C_S1E_T6_T7_T9_mT8_S1G_bDpT10_ENKUlT_T0_E_clISt17integral_constantIbLb1EES1U_EEDaS1P_S1Q_EUlS1P_E_NS1_11comp_targetILNS1_3genE5ELNS1_11target_archE942ELNS1_3gpuE9ELNS1_3repE0EEENS1_30default_config_static_selectorELNS0_4arch9wavefront6targetE0EEEvS12_,"axG",@progbits,_ZN7rocprim17ROCPRIM_400000_NS6detail17trampoline_kernelINS0_13select_configILj256ELj13ELNS0_17block_load_methodE3ELS4_3ELS4_3ELNS0_20block_scan_algorithmE0ELj4294967295EEENS1_25partition_config_selectorILNS1_17partition_subalgoE4EjNS0_10empty_typeEbEEZZNS1_14partition_implILS8_4ELb0ES6_15HIP_vector_typeIjLj2EENS0_17counting_iteratorIjlEEPS9_SG_NS0_5tupleIJPjSI_NS0_16reverse_iteratorISI_EEEEENSH_IJSG_SG_SG_EEES9_SI_JZNS1_25segmented_radix_sort_implINS0_14default_configELb1EPKhPhPKlPlN2at6native12_GLOBAL__N_18offset_tEEE10hipError_tPvRmT1_PNSt15iterator_traitsIS12_E10value_typeET2_T3_PNS13_IS18_E10value_typeET4_jRbjT5_S1E_jjP12ihipStream_tbEUljE_ZNSN_ISO_Lb1ESQ_SR_ST_SU_SY_EESZ_S10_S11_S12_S16_S17_S18_S1B_S1C_jS1D_jS1E_S1E_jjS1G_bEUljE0_EEESZ_S10_S11_S18_S1C_S1E_T6_T7_T9_mT8_S1G_bDpT10_ENKUlT_T0_E_clISt17integral_constantIbLb1EES1U_EEDaS1P_S1Q_EUlS1P_E_NS1_11comp_targetILNS1_3genE5ELNS1_11target_archE942ELNS1_3gpuE9ELNS1_3repE0EEENS1_30default_config_static_selectorELNS0_4arch9wavefront6targetE0EEEvS12_,comdat
.Lfunc_end22:
	.size	_ZN7rocprim17ROCPRIM_400000_NS6detail17trampoline_kernelINS0_13select_configILj256ELj13ELNS0_17block_load_methodE3ELS4_3ELS4_3ELNS0_20block_scan_algorithmE0ELj4294967295EEENS1_25partition_config_selectorILNS1_17partition_subalgoE4EjNS0_10empty_typeEbEEZZNS1_14partition_implILS8_4ELb0ES6_15HIP_vector_typeIjLj2EENS0_17counting_iteratorIjlEEPS9_SG_NS0_5tupleIJPjSI_NS0_16reverse_iteratorISI_EEEEENSH_IJSG_SG_SG_EEES9_SI_JZNS1_25segmented_radix_sort_implINS0_14default_configELb1EPKhPhPKlPlN2at6native12_GLOBAL__N_18offset_tEEE10hipError_tPvRmT1_PNSt15iterator_traitsIS12_E10value_typeET2_T3_PNS13_IS18_E10value_typeET4_jRbjT5_S1E_jjP12ihipStream_tbEUljE_ZNSN_ISO_Lb1ESQ_SR_ST_SU_SY_EESZ_S10_S11_S12_S16_S17_S18_S1B_S1C_jS1D_jS1E_S1E_jjS1G_bEUljE0_EEESZ_S10_S11_S18_S1C_S1E_T6_T7_T9_mT8_S1G_bDpT10_ENKUlT_T0_E_clISt17integral_constantIbLb1EES1U_EEDaS1P_S1Q_EUlS1P_E_NS1_11comp_targetILNS1_3genE5ELNS1_11target_archE942ELNS1_3gpuE9ELNS1_3repE0EEENS1_30default_config_static_selectorELNS0_4arch9wavefront6targetE0EEEvS12_, .Lfunc_end22-_ZN7rocprim17ROCPRIM_400000_NS6detail17trampoline_kernelINS0_13select_configILj256ELj13ELNS0_17block_load_methodE3ELS4_3ELS4_3ELNS0_20block_scan_algorithmE0ELj4294967295EEENS1_25partition_config_selectorILNS1_17partition_subalgoE4EjNS0_10empty_typeEbEEZZNS1_14partition_implILS8_4ELb0ES6_15HIP_vector_typeIjLj2EENS0_17counting_iteratorIjlEEPS9_SG_NS0_5tupleIJPjSI_NS0_16reverse_iteratorISI_EEEEENSH_IJSG_SG_SG_EEES9_SI_JZNS1_25segmented_radix_sort_implINS0_14default_configELb1EPKhPhPKlPlN2at6native12_GLOBAL__N_18offset_tEEE10hipError_tPvRmT1_PNSt15iterator_traitsIS12_E10value_typeET2_T3_PNS13_IS18_E10value_typeET4_jRbjT5_S1E_jjP12ihipStream_tbEUljE_ZNSN_ISO_Lb1ESQ_SR_ST_SU_SY_EESZ_S10_S11_S12_S16_S17_S18_S1B_S1C_jS1D_jS1E_S1E_jjS1G_bEUljE0_EEESZ_S10_S11_S18_S1C_S1E_T6_T7_T9_mT8_S1G_bDpT10_ENKUlT_T0_E_clISt17integral_constantIbLb1EES1U_EEDaS1P_S1Q_EUlS1P_E_NS1_11comp_targetILNS1_3genE5ELNS1_11target_archE942ELNS1_3gpuE9ELNS1_3repE0EEENS1_30default_config_static_selectorELNS0_4arch9wavefront6targetE0EEEvS12_
                                        ; -- End function
	.set _ZN7rocprim17ROCPRIM_400000_NS6detail17trampoline_kernelINS0_13select_configILj256ELj13ELNS0_17block_load_methodE3ELS4_3ELS4_3ELNS0_20block_scan_algorithmE0ELj4294967295EEENS1_25partition_config_selectorILNS1_17partition_subalgoE4EjNS0_10empty_typeEbEEZZNS1_14partition_implILS8_4ELb0ES6_15HIP_vector_typeIjLj2EENS0_17counting_iteratorIjlEEPS9_SG_NS0_5tupleIJPjSI_NS0_16reverse_iteratorISI_EEEEENSH_IJSG_SG_SG_EEES9_SI_JZNS1_25segmented_radix_sort_implINS0_14default_configELb1EPKhPhPKlPlN2at6native12_GLOBAL__N_18offset_tEEE10hipError_tPvRmT1_PNSt15iterator_traitsIS12_E10value_typeET2_T3_PNS13_IS18_E10value_typeET4_jRbjT5_S1E_jjP12ihipStream_tbEUljE_ZNSN_ISO_Lb1ESQ_SR_ST_SU_SY_EESZ_S10_S11_S12_S16_S17_S18_S1B_S1C_jS1D_jS1E_S1E_jjS1G_bEUljE0_EEESZ_S10_S11_S18_S1C_S1E_T6_T7_T9_mT8_S1G_bDpT10_ENKUlT_T0_E_clISt17integral_constantIbLb1EES1U_EEDaS1P_S1Q_EUlS1P_E_NS1_11comp_targetILNS1_3genE5ELNS1_11target_archE942ELNS1_3gpuE9ELNS1_3repE0EEENS1_30default_config_static_selectorELNS0_4arch9wavefront6targetE0EEEvS12_.num_vgpr, 0
	.set _ZN7rocprim17ROCPRIM_400000_NS6detail17trampoline_kernelINS0_13select_configILj256ELj13ELNS0_17block_load_methodE3ELS4_3ELS4_3ELNS0_20block_scan_algorithmE0ELj4294967295EEENS1_25partition_config_selectorILNS1_17partition_subalgoE4EjNS0_10empty_typeEbEEZZNS1_14partition_implILS8_4ELb0ES6_15HIP_vector_typeIjLj2EENS0_17counting_iteratorIjlEEPS9_SG_NS0_5tupleIJPjSI_NS0_16reverse_iteratorISI_EEEEENSH_IJSG_SG_SG_EEES9_SI_JZNS1_25segmented_radix_sort_implINS0_14default_configELb1EPKhPhPKlPlN2at6native12_GLOBAL__N_18offset_tEEE10hipError_tPvRmT1_PNSt15iterator_traitsIS12_E10value_typeET2_T3_PNS13_IS18_E10value_typeET4_jRbjT5_S1E_jjP12ihipStream_tbEUljE_ZNSN_ISO_Lb1ESQ_SR_ST_SU_SY_EESZ_S10_S11_S12_S16_S17_S18_S1B_S1C_jS1D_jS1E_S1E_jjS1G_bEUljE0_EEESZ_S10_S11_S18_S1C_S1E_T6_T7_T9_mT8_S1G_bDpT10_ENKUlT_T0_E_clISt17integral_constantIbLb1EES1U_EEDaS1P_S1Q_EUlS1P_E_NS1_11comp_targetILNS1_3genE5ELNS1_11target_archE942ELNS1_3gpuE9ELNS1_3repE0EEENS1_30default_config_static_selectorELNS0_4arch9wavefront6targetE0EEEvS12_.num_agpr, 0
	.set _ZN7rocprim17ROCPRIM_400000_NS6detail17trampoline_kernelINS0_13select_configILj256ELj13ELNS0_17block_load_methodE3ELS4_3ELS4_3ELNS0_20block_scan_algorithmE0ELj4294967295EEENS1_25partition_config_selectorILNS1_17partition_subalgoE4EjNS0_10empty_typeEbEEZZNS1_14partition_implILS8_4ELb0ES6_15HIP_vector_typeIjLj2EENS0_17counting_iteratorIjlEEPS9_SG_NS0_5tupleIJPjSI_NS0_16reverse_iteratorISI_EEEEENSH_IJSG_SG_SG_EEES9_SI_JZNS1_25segmented_radix_sort_implINS0_14default_configELb1EPKhPhPKlPlN2at6native12_GLOBAL__N_18offset_tEEE10hipError_tPvRmT1_PNSt15iterator_traitsIS12_E10value_typeET2_T3_PNS13_IS18_E10value_typeET4_jRbjT5_S1E_jjP12ihipStream_tbEUljE_ZNSN_ISO_Lb1ESQ_SR_ST_SU_SY_EESZ_S10_S11_S12_S16_S17_S18_S1B_S1C_jS1D_jS1E_S1E_jjS1G_bEUljE0_EEESZ_S10_S11_S18_S1C_S1E_T6_T7_T9_mT8_S1G_bDpT10_ENKUlT_T0_E_clISt17integral_constantIbLb1EES1U_EEDaS1P_S1Q_EUlS1P_E_NS1_11comp_targetILNS1_3genE5ELNS1_11target_archE942ELNS1_3gpuE9ELNS1_3repE0EEENS1_30default_config_static_selectorELNS0_4arch9wavefront6targetE0EEEvS12_.numbered_sgpr, 0
	.set _ZN7rocprim17ROCPRIM_400000_NS6detail17trampoline_kernelINS0_13select_configILj256ELj13ELNS0_17block_load_methodE3ELS4_3ELS4_3ELNS0_20block_scan_algorithmE0ELj4294967295EEENS1_25partition_config_selectorILNS1_17partition_subalgoE4EjNS0_10empty_typeEbEEZZNS1_14partition_implILS8_4ELb0ES6_15HIP_vector_typeIjLj2EENS0_17counting_iteratorIjlEEPS9_SG_NS0_5tupleIJPjSI_NS0_16reverse_iteratorISI_EEEEENSH_IJSG_SG_SG_EEES9_SI_JZNS1_25segmented_radix_sort_implINS0_14default_configELb1EPKhPhPKlPlN2at6native12_GLOBAL__N_18offset_tEEE10hipError_tPvRmT1_PNSt15iterator_traitsIS12_E10value_typeET2_T3_PNS13_IS18_E10value_typeET4_jRbjT5_S1E_jjP12ihipStream_tbEUljE_ZNSN_ISO_Lb1ESQ_SR_ST_SU_SY_EESZ_S10_S11_S12_S16_S17_S18_S1B_S1C_jS1D_jS1E_S1E_jjS1G_bEUljE0_EEESZ_S10_S11_S18_S1C_S1E_T6_T7_T9_mT8_S1G_bDpT10_ENKUlT_T0_E_clISt17integral_constantIbLb1EES1U_EEDaS1P_S1Q_EUlS1P_E_NS1_11comp_targetILNS1_3genE5ELNS1_11target_archE942ELNS1_3gpuE9ELNS1_3repE0EEENS1_30default_config_static_selectorELNS0_4arch9wavefront6targetE0EEEvS12_.num_named_barrier, 0
	.set _ZN7rocprim17ROCPRIM_400000_NS6detail17trampoline_kernelINS0_13select_configILj256ELj13ELNS0_17block_load_methodE3ELS4_3ELS4_3ELNS0_20block_scan_algorithmE0ELj4294967295EEENS1_25partition_config_selectorILNS1_17partition_subalgoE4EjNS0_10empty_typeEbEEZZNS1_14partition_implILS8_4ELb0ES6_15HIP_vector_typeIjLj2EENS0_17counting_iteratorIjlEEPS9_SG_NS0_5tupleIJPjSI_NS0_16reverse_iteratorISI_EEEEENSH_IJSG_SG_SG_EEES9_SI_JZNS1_25segmented_radix_sort_implINS0_14default_configELb1EPKhPhPKlPlN2at6native12_GLOBAL__N_18offset_tEEE10hipError_tPvRmT1_PNSt15iterator_traitsIS12_E10value_typeET2_T3_PNS13_IS18_E10value_typeET4_jRbjT5_S1E_jjP12ihipStream_tbEUljE_ZNSN_ISO_Lb1ESQ_SR_ST_SU_SY_EESZ_S10_S11_S12_S16_S17_S18_S1B_S1C_jS1D_jS1E_S1E_jjS1G_bEUljE0_EEESZ_S10_S11_S18_S1C_S1E_T6_T7_T9_mT8_S1G_bDpT10_ENKUlT_T0_E_clISt17integral_constantIbLb1EES1U_EEDaS1P_S1Q_EUlS1P_E_NS1_11comp_targetILNS1_3genE5ELNS1_11target_archE942ELNS1_3gpuE9ELNS1_3repE0EEENS1_30default_config_static_selectorELNS0_4arch9wavefront6targetE0EEEvS12_.private_seg_size, 0
	.set _ZN7rocprim17ROCPRIM_400000_NS6detail17trampoline_kernelINS0_13select_configILj256ELj13ELNS0_17block_load_methodE3ELS4_3ELS4_3ELNS0_20block_scan_algorithmE0ELj4294967295EEENS1_25partition_config_selectorILNS1_17partition_subalgoE4EjNS0_10empty_typeEbEEZZNS1_14partition_implILS8_4ELb0ES6_15HIP_vector_typeIjLj2EENS0_17counting_iteratorIjlEEPS9_SG_NS0_5tupleIJPjSI_NS0_16reverse_iteratorISI_EEEEENSH_IJSG_SG_SG_EEES9_SI_JZNS1_25segmented_radix_sort_implINS0_14default_configELb1EPKhPhPKlPlN2at6native12_GLOBAL__N_18offset_tEEE10hipError_tPvRmT1_PNSt15iterator_traitsIS12_E10value_typeET2_T3_PNS13_IS18_E10value_typeET4_jRbjT5_S1E_jjP12ihipStream_tbEUljE_ZNSN_ISO_Lb1ESQ_SR_ST_SU_SY_EESZ_S10_S11_S12_S16_S17_S18_S1B_S1C_jS1D_jS1E_S1E_jjS1G_bEUljE0_EEESZ_S10_S11_S18_S1C_S1E_T6_T7_T9_mT8_S1G_bDpT10_ENKUlT_T0_E_clISt17integral_constantIbLb1EES1U_EEDaS1P_S1Q_EUlS1P_E_NS1_11comp_targetILNS1_3genE5ELNS1_11target_archE942ELNS1_3gpuE9ELNS1_3repE0EEENS1_30default_config_static_selectorELNS0_4arch9wavefront6targetE0EEEvS12_.uses_vcc, 0
	.set _ZN7rocprim17ROCPRIM_400000_NS6detail17trampoline_kernelINS0_13select_configILj256ELj13ELNS0_17block_load_methodE3ELS4_3ELS4_3ELNS0_20block_scan_algorithmE0ELj4294967295EEENS1_25partition_config_selectorILNS1_17partition_subalgoE4EjNS0_10empty_typeEbEEZZNS1_14partition_implILS8_4ELb0ES6_15HIP_vector_typeIjLj2EENS0_17counting_iteratorIjlEEPS9_SG_NS0_5tupleIJPjSI_NS0_16reverse_iteratorISI_EEEEENSH_IJSG_SG_SG_EEES9_SI_JZNS1_25segmented_radix_sort_implINS0_14default_configELb1EPKhPhPKlPlN2at6native12_GLOBAL__N_18offset_tEEE10hipError_tPvRmT1_PNSt15iterator_traitsIS12_E10value_typeET2_T3_PNS13_IS18_E10value_typeET4_jRbjT5_S1E_jjP12ihipStream_tbEUljE_ZNSN_ISO_Lb1ESQ_SR_ST_SU_SY_EESZ_S10_S11_S12_S16_S17_S18_S1B_S1C_jS1D_jS1E_S1E_jjS1G_bEUljE0_EEESZ_S10_S11_S18_S1C_S1E_T6_T7_T9_mT8_S1G_bDpT10_ENKUlT_T0_E_clISt17integral_constantIbLb1EES1U_EEDaS1P_S1Q_EUlS1P_E_NS1_11comp_targetILNS1_3genE5ELNS1_11target_archE942ELNS1_3gpuE9ELNS1_3repE0EEENS1_30default_config_static_selectorELNS0_4arch9wavefront6targetE0EEEvS12_.uses_flat_scratch, 0
	.set _ZN7rocprim17ROCPRIM_400000_NS6detail17trampoline_kernelINS0_13select_configILj256ELj13ELNS0_17block_load_methodE3ELS4_3ELS4_3ELNS0_20block_scan_algorithmE0ELj4294967295EEENS1_25partition_config_selectorILNS1_17partition_subalgoE4EjNS0_10empty_typeEbEEZZNS1_14partition_implILS8_4ELb0ES6_15HIP_vector_typeIjLj2EENS0_17counting_iteratorIjlEEPS9_SG_NS0_5tupleIJPjSI_NS0_16reverse_iteratorISI_EEEEENSH_IJSG_SG_SG_EEES9_SI_JZNS1_25segmented_radix_sort_implINS0_14default_configELb1EPKhPhPKlPlN2at6native12_GLOBAL__N_18offset_tEEE10hipError_tPvRmT1_PNSt15iterator_traitsIS12_E10value_typeET2_T3_PNS13_IS18_E10value_typeET4_jRbjT5_S1E_jjP12ihipStream_tbEUljE_ZNSN_ISO_Lb1ESQ_SR_ST_SU_SY_EESZ_S10_S11_S12_S16_S17_S18_S1B_S1C_jS1D_jS1E_S1E_jjS1G_bEUljE0_EEESZ_S10_S11_S18_S1C_S1E_T6_T7_T9_mT8_S1G_bDpT10_ENKUlT_T0_E_clISt17integral_constantIbLb1EES1U_EEDaS1P_S1Q_EUlS1P_E_NS1_11comp_targetILNS1_3genE5ELNS1_11target_archE942ELNS1_3gpuE9ELNS1_3repE0EEENS1_30default_config_static_selectorELNS0_4arch9wavefront6targetE0EEEvS12_.has_dyn_sized_stack, 0
	.set _ZN7rocprim17ROCPRIM_400000_NS6detail17trampoline_kernelINS0_13select_configILj256ELj13ELNS0_17block_load_methodE3ELS4_3ELS4_3ELNS0_20block_scan_algorithmE0ELj4294967295EEENS1_25partition_config_selectorILNS1_17partition_subalgoE4EjNS0_10empty_typeEbEEZZNS1_14partition_implILS8_4ELb0ES6_15HIP_vector_typeIjLj2EENS0_17counting_iteratorIjlEEPS9_SG_NS0_5tupleIJPjSI_NS0_16reverse_iteratorISI_EEEEENSH_IJSG_SG_SG_EEES9_SI_JZNS1_25segmented_radix_sort_implINS0_14default_configELb1EPKhPhPKlPlN2at6native12_GLOBAL__N_18offset_tEEE10hipError_tPvRmT1_PNSt15iterator_traitsIS12_E10value_typeET2_T3_PNS13_IS18_E10value_typeET4_jRbjT5_S1E_jjP12ihipStream_tbEUljE_ZNSN_ISO_Lb1ESQ_SR_ST_SU_SY_EESZ_S10_S11_S12_S16_S17_S18_S1B_S1C_jS1D_jS1E_S1E_jjS1G_bEUljE0_EEESZ_S10_S11_S18_S1C_S1E_T6_T7_T9_mT8_S1G_bDpT10_ENKUlT_T0_E_clISt17integral_constantIbLb1EES1U_EEDaS1P_S1Q_EUlS1P_E_NS1_11comp_targetILNS1_3genE5ELNS1_11target_archE942ELNS1_3gpuE9ELNS1_3repE0EEENS1_30default_config_static_selectorELNS0_4arch9wavefront6targetE0EEEvS12_.has_recursion, 0
	.set _ZN7rocprim17ROCPRIM_400000_NS6detail17trampoline_kernelINS0_13select_configILj256ELj13ELNS0_17block_load_methodE3ELS4_3ELS4_3ELNS0_20block_scan_algorithmE0ELj4294967295EEENS1_25partition_config_selectorILNS1_17partition_subalgoE4EjNS0_10empty_typeEbEEZZNS1_14partition_implILS8_4ELb0ES6_15HIP_vector_typeIjLj2EENS0_17counting_iteratorIjlEEPS9_SG_NS0_5tupleIJPjSI_NS0_16reverse_iteratorISI_EEEEENSH_IJSG_SG_SG_EEES9_SI_JZNS1_25segmented_radix_sort_implINS0_14default_configELb1EPKhPhPKlPlN2at6native12_GLOBAL__N_18offset_tEEE10hipError_tPvRmT1_PNSt15iterator_traitsIS12_E10value_typeET2_T3_PNS13_IS18_E10value_typeET4_jRbjT5_S1E_jjP12ihipStream_tbEUljE_ZNSN_ISO_Lb1ESQ_SR_ST_SU_SY_EESZ_S10_S11_S12_S16_S17_S18_S1B_S1C_jS1D_jS1E_S1E_jjS1G_bEUljE0_EEESZ_S10_S11_S18_S1C_S1E_T6_T7_T9_mT8_S1G_bDpT10_ENKUlT_T0_E_clISt17integral_constantIbLb1EES1U_EEDaS1P_S1Q_EUlS1P_E_NS1_11comp_targetILNS1_3genE5ELNS1_11target_archE942ELNS1_3gpuE9ELNS1_3repE0EEENS1_30default_config_static_selectorELNS0_4arch9wavefront6targetE0EEEvS12_.has_indirect_call, 0
	.section	.AMDGPU.csdata,"",@progbits
; Kernel info:
; codeLenInByte = 0
; TotalNumSgprs: 0
; NumVgprs: 0
; ScratchSize: 0
; MemoryBound: 0
; FloatMode: 240
; IeeeMode: 1
; LDSByteSize: 0 bytes/workgroup (compile time only)
; SGPRBlocks: 0
; VGPRBlocks: 0
; NumSGPRsForWavesPerEU: 1
; NumVGPRsForWavesPerEU: 1
; Occupancy: 16
; WaveLimiterHint : 0
; COMPUTE_PGM_RSRC2:SCRATCH_EN: 0
; COMPUTE_PGM_RSRC2:USER_SGPR: 2
; COMPUTE_PGM_RSRC2:TRAP_HANDLER: 0
; COMPUTE_PGM_RSRC2:TGID_X_EN: 1
; COMPUTE_PGM_RSRC2:TGID_Y_EN: 0
; COMPUTE_PGM_RSRC2:TGID_Z_EN: 0
; COMPUTE_PGM_RSRC2:TIDIG_COMP_CNT: 0
	.section	.text._ZN7rocprim17ROCPRIM_400000_NS6detail17trampoline_kernelINS0_13select_configILj256ELj13ELNS0_17block_load_methodE3ELS4_3ELS4_3ELNS0_20block_scan_algorithmE0ELj4294967295EEENS1_25partition_config_selectorILNS1_17partition_subalgoE4EjNS0_10empty_typeEbEEZZNS1_14partition_implILS8_4ELb0ES6_15HIP_vector_typeIjLj2EENS0_17counting_iteratorIjlEEPS9_SG_NS0_5tupleIJPjSI_NS0_16reverse_iteratorISI_EEEEENSH_IJSG_SG_SG_EEES9_SI_JZNS1_25segmented_radix_sort_implINS0_14default_configELb1EPKhPhPKlPlN2at6native12_GLOBAL__N_18offset_tEEE10hipError_tPvRmT1_PNSt15iterator_traitsIS12_E10value_typeET2_T3_PNS13_IS18_E10value_typeET4_jRbjT5_S1E_jjP12ihipStream_tbEUljE_ZNSN_ISO_Lb1ESQ_SR_ST_SU_SY_EESZ_S10_S11_S12_S16_S17_S18_S1B_S1C_jS1D_jS1E_S1E_jjS1G_bEUljE0_EEESZ_S10_S11_S18_S1C_S1E_T6_T7_T9_mT8_S1G_bDpT10_ENKUlT_T0_E_clISt17integral_constantIbLb1EES1U_EEDaS1P_S1Q_EUlS1P_E_NS1_11comp_targetILNS1_3genE4ELNS1_11target_archE910ELNS1_3gpuE8ELNS1_3repE0EEENS1_30default_config_static_selectorELNS0_4arch9wavefront6targetE0EEEvS12_,"axG",@progbits,_ZN7rocprim17ROCPRIM_400000_NS6detail17trampoline_kernelINS0_13select_configILj256ELj13ELNS0_17block_load_methodE3ELS4_3ELS4_3ELNS0_20block_scan_algorithmE0ELj4294967295EEENS1_25partition_config_selectorILNS1_17partition_subalgoE4EjNS0_10empty_typeEbEEZZNS1_14partition_implILS8_4ELb0ES6_15HIP_vector_typeIjLj2EENS0_17counting_iteratorIjlEEPS9_SG_NS0_5tupleIJPjSI_NS0_16reverse_iteratorISI_EEEEENSH_IJSG_SG_SG_EEES9_SI_JZNS1_25segmented_radix_sort_implINS0_14default_configELb1EPKhPhPKlPlN2at6native12_GLOBAL__N_18offset_tEEE10hipError_tPvRmT1_PNSt15iterator_traitsIS12_E10value_typeET2_T3_PNS13_IS18_E10value_typeET4_jRbjT5_S1E_jjP12ihipStream_tbEUljE_ZNSN_ISO_Lb1ESQ_SR_ST_SU_SY_EESZ_S10_S11_S12_S16_S17_S18_S1B_S1C_jS1D_jS1E_S1E_jjS1G_bEUljE0_EEESZ_S10_S11_S18_S1C_S1E_T6_T7_T9_mT8_S1G_bDpT10_ENKUlT_T0_E_clISt17integral_constantIbLb1EES1U_EEDaS1P_S1Q_EUlS1P_E_NS1_11comp_targetILNS1_3genE4ELNS1_11target_archE910ELNS1_3gpuE8ELNS1_3repE0EEENS1_30default_config_static_selectorELNS0_4arch9wavefront6targetE0EEEvS12_,comdat
	.globl	_ZN7rocprim17ROCPRIM_400000_NS6detail17trampoline_kernelINS0_13select_configILj256ELj13ELNS0_17block_load_methodE3ELS4_3ELS4_3ELNS0_20block_scan_algorithmE0ELj4294967295EEENS1_25partition_config_selectorILNS1_17partition_subalgoE4EjNS0_10empty_typeEbEEZZNS1_14partition_implILS8_4ELb0ES6_15HIP_vector_typeIjLj2EENS0_17counting_iteratorIjlEEPS9_SG_NS0_5tupleIJPjSI_NS0_16reverse_iteratorISI_EEEEENSH_IJSG_SG_SG_EEES9_SI_JZNS1_25segmented_radix_sort_implINS0_14default_configELb1EPKhPhPKlPlN2at6native12_GLOBAL__N_18offset_tEEE10hipError_tPvRmT1_PNSt15iterator_traitsIS12_E10value_typeET2_T3_PNS13_IS18_E10value_typeET4_jRbjT5_S1E_jjP12ihipStream_tbEUljE_ZNSN_ISO_Lb1ESQ_SR_ST_SU_SY_EESZ_S10_S11_S12_S16_S17_S18_S1B_S1C_jS1D_jS1E_S1E_jjS1G_bEUljE0_EEESZ_S10_S11_S18_S1C_S1E_T6_T7_T9_mT8_S1G_bDpT10_ENKUlT_T0_E_clISt17integral_constantIbLb1EES1U_EEDaS1P_S1Q_EUlS1P_E_NS1_11comp_targetILNS1_3genE4ELNS1_11target_archE910ELNS1_3gpuE8ELNS1_3repE0EEENS1_30default_config_static_selectorELNS0_4arch9wavefront6targetE0EEEvS12_ ; -- Begin function _ZN7rocprim17ROCPRIM_400000_NS6detail17trampoline_kernelINS0_13select_configILj256ELj13ELNS0_17block_load_methodE3ELS4_3ELS4_3ELNS0_20block_scan_algorithmE0ELj4294967295EEENS1_25partition_config_selectorILNS1_17partition_subalgoE4EjNS0_10empty_typeEbEEZZNS1_14partition_implILS8_4ELb0ES6_15HIP_vector_typeIjLj2EENS0_17counting_iteratorIjlEEPS9_SG_NS0_5tupleIJPjSI_NS0_16reverse_iteratorISI_EEEEENSH_IJSG_SG_SG_EEES9_SI_JZNS1_25segmented_radix_sort_implINS0_14default_configELb1EPKhPhPKlPlN2at6native12_GLOBAL__N_18offset_tEEE10hipError_tPvRmT1_PNSt15iterator_traitsIS12_E10value_typeET2_T3_PNS13_IS18_E10value_typeET4_jRbjT5_S1E_jjP12ihipStream_tbEUljE_ZNSN_ISO_Lb1ESQ_SR_ST_SU_SY_EESZ_S10_S11_S12_S16_S17_S18_S1B_S1C_jS1D_jS1E_S1E_jjS1G_bEUljE0_EEESZ_S10_S11_S18_S1C_S1E_T6_T7_T9_mT8_S1G_bDpT10_ENKUlT_T0_E_clISt17integral_constantIbLb1EES1U_EEDaS1P_S1Q_EUlS1P_E_NS1_11comp_targetILNS1_3genE4ELNS1_11target_archE910ELNS1_3gpuE8ELNS1_3repE0EEENS1_30default_config_static_selectorELNS0_4arch9wavefront6targetE0EEEvS12_
	.p2align	8
	.type	_ZN7rocprim17ROCPRIM_400000_NS6detail17trampoline_kernelINS0_13select_configILj256ELj13ELNS0_17block_load_methodE3ELS4_3ELS4_3ELNS0_20block_scan_algorithmE0ELj4294967295EEENS1_25partition_config_selectorILNS1_17partition_subalgoE4EjNS0_10empty_typeEbEEZZNS1_14partition_implILS8_4ELb0ES6_15HIP_vector_typeIjLj2EENS0_17counting_iteratorIjlEEPS9_SG_NS0_5tupleIJPjSI_NS0_16reverse_iteratorISI_EEEEENSH_IJSG_SG_SG_EEES9_SI_JZNS1_25segmented_radix_sort_implINS0_14default_configELb1EPKhPhPKlPlN2at6native12_GLOBAL__N_18offset_tEEE10hipError_tPvRmT1_PNSt15iterator_traitsIS12_E10value_typeET2_T3_PNS13_IS18_E10value_typeET4_jRbjT5_S1E_jjP12ihipStream_tbEUljE_ZNSN_ISO_Lb1ESQ_SR_ST_SU_SY_EESZ_S10_S11_S12_S16_S17_S18_S1B_S1C_jS1D_jS1E_S1E_jjS1G_bEUljE0_EEESZ_S10_S11_S18_S1C_S1E_T6_T7_T9_mT8_S1G_bDpT10_ENKUlT_T0_E_clISt17integral_constantIbLb1EES1U_EEDaS1P_S1Q_EUlS1P_E_NS1_11comp_targetILNS1_3genE4ELNS1_11target_archE910ELNS1_3gpuE8ELNS1_3repE0EEENS1_30default_config_static_selectorELNS0_4arch9wavefront6targetE0EEEvS12_,@function
_ZN7rocprim17ROCPRIM_400000_NS6detail17trampoline_kernelINS0_13select_configILj256ELj13ELNS0_17block_load_methodE3ELS4_3ELS4_3ELNS0_20block_scan_algorithmE0ELj4294967295EEENS1_25partition_config_selectorILNS1_17partition_subalgoE4EjNS0_10empty_typeEbEEZZNS1_14partition_implILS8_4ELb0ES6_15HIP_vector_typeIjLj2EENS0_17counting_iteratorIjlEEPS9_SG_NS0_5tupleIJPjSI_NS0_16reverse_iteratorISI_EEEEENSH_IJSG_SG_SG_EEES9_SI_JZNS1_25segmented_radix_sort_implINS0_14default_configELb1EPKhPhPKlPlN2at6native12_GLOBAL__N_18offset_tEEE10hipError_tPvRmT1_PNSt15iterator_traitsIS12_E10value_typeET2_T3_PNS13_IS18_E10value_typeET4_jRbjT5_S1E_jjP12ihipStream_tbEUljE_ZNSN_ISO_Lb1ESQ_SR_ST_SU_SY_EESZ_S10_S11_S12_S16_S17_S18_S1B_S1C_jS1D_jS1E_S1E_jjS1G_bEUljE0_EEESZ_S10_S11_S18_S1C_S1E_T6_T7_T9_mT8_S1G_bDpT10_ENKUlT_T0_E_clISt17integral_constantIbLb1EES1U_EEDaS1P_S1Q_EUlS1P_E_NS1_11comp_targetILNS1_3genE4ELNS1_11target_archE910ELNS1_3gpuE8ELNS1_3repE0EEENS1_30default_config_static_selectorELNS0_4arch9wavefront6targetE0EEEvS12_: ; @_ZN7rocprim17ROCPRIM_400000_NS6detail17trampoline_kernelINS0_13select_configILj256ELj13ELNS0_17block_load_methodE3ELS4_3ELS4_3ELNS0_20block_scan_algorithmE0ELj4294967295EEENS1_25partition_config_selectorILNS1_17partition_subalgoE4EjNS0_10empty_typeEbEEZZNS1_14partition_implILS8_4ELb0ES6_15HIP_vector_typeIjLj2EENS0_17counting_iteratorIjlEEPS9_SG_NS0_5tupleIJPjSI_NS0_16reverse_iteratorISI_EEEEENSH_IJSG_SG_SG_EEES9_SI_JZNS1_25segmented_radix_sort_implINS0_14default_configELb1EPKhPhPKlPlN2at6native12_GLOBAL__N_18offset_tEEE10hipError_tPvRmT1_PNSt15iterator_traitsIS12_E10value_typeET2_T3_PNS13_IS18_E10value_typeET4_jRbjT5_S1E_jjP12ihipStream_tbEUljE_ZNSN_ISO_Lb1ESQ_SR_ST_SU_SY_EESZ_S10_S11_S12_S16_S17_S18_S1B_S1C_jS1D_jS1E_S1E_jjS1G_bEUljE0_EEESZ_S10_S11_S18_S1C_S1E_T6_T7_T9_mT8_S1G_bDpT10_ENKUlT_T0_E_clISt17integral_constantIbLb1EES1U_EEDaS1P_S1Q_EUlS1P_E_NS1_11comp_targetILNS1_3genE4ELNS1_11target_archE910ELNS1_3gpuE8ELNS1_3repE0EEENS1_30default_config_static_selectorELNS0_4arch9wavefront6targetE0EEEvS12_
; %bb.0:
	.section	.rodata,"a",@progbits
	.p2align	6, 0x0
	.amdhsa_kernel _ZN7rocprim17ROCPRIM_400000_NS6detail17trampoline_kernelINS0_13select_configILj256ELj13ELNS0_17block_load_methodE3ELS4_3ELS4_3ELNS0_20block_scan_algorithmE0ELj4294967295EEENS1_25partition_config_selectorILNS1_17partition_subalgoE4EjNS0_10empty_typeEbEEZZNS1_14partition_implILS8_4ELb0ES6_15HIP_vector_typeIjLj2EENS0_17counting_iteratorIjlEEPS9_SG_NS0_5tupleIJPjSI_NS0_16reverse_iteratorISI_EEEEENSH_IJSG_SG_SG_EEES9_SI_JZNS1_25segmented_radix_sort_implINS0_14default_configELb1EPKhPhPKlPlN2at6native12_GLOBAL__N_18offset_tEEE10hipError_tPvRmT1_PNSt15iterator_traitsIS12_E10value_typeET2_T3_PNS13_IS18_E10value_typeET4_jRbjT5_S1E_jjP12ihipStream_tbEUljE_ZNSN_ISO_Lb1ESQ_SR_ST_SU_SY_EESZ_S10_S11_S12_S16_S17_S18_S1B_S1C_jS1D_jS1E_S1E_jjS1G_bEUljE0_EEESZ_S10_S11_S18_S1C_S1E_T6_T7_T9_mT8_S1G_bDpT10_ENKUlT_T0_E_clISt17integral_constantIbLb1EES1U_EEDaS1P_S1Q_EUlS1P_E_NS1_11comp_targetILNS1_3genE4ELNS1_11target_archE910ELNS1_3gpuE8ELNS1_3repE0EEENS1_30default_config_static_selectorELNS0_4arch9wavefront6targetE0EEEvS12_
		.amdhsa_group_segment_fixed_size 0
		.amdhsa_private_segment_fixed_size 0
		.amdhsa_kernarg_size 184
		.amdhsa_user_sgpr_count 2
		.amdhsa_user_sgpr_dispatch_ptr 0
		.amdhsa_user_sgpr_queue_ptr 0
		.amdhsa_user_sgpr_kernarg_segment_ptr 1
		.amdhsa_user_sgpr_dispatch_id 0
		.amdhsa_user_sgpr_private_segment_size 0
		.amdhsa_wavefront_size32 1
		.amdhsa_uses_dynamic_stack 0
		.amdhsa_enable_private_segment 0
		.amdhsa_system_sgpr_workgroup_id_x 1
		.amdhsa_system_sgpr_workgroup_id_y 0
		.amdhsa_system_sgpr_workgroup_id_z 0
		.amdhsa_system_sgpr_workgroup_info 0
		.amdhsa_system_vgpr_workitem_id 0
		.amdhsa_next_free_vgpr 1
		.amdhsa_next_free_sgpr 1
		.amdhsa_reserve_vcc 0
		.amdhsa_float_round_mode_32 0
		.amdhsa_float_round_mode_16_64 0
		.amdhsa_float_denorm_mode_32 3
		.amdhsa_float_denorm_mode_16_64 3
		.amdhsa_fp16_overflow 0
		.amdhsa_workgroup_processor_mode 1
		.amdhsa_memory_ordered 1
		.amdhsa_forward_progress 1
		.amdhsa_inst_pref_size 0
		.amdhsa_round_robin_scheduling 0
		.amdhsa_exception_fp_ieee_invalid_op 0
		.amdhsa_exception_fp_denorm_src 0
		.amdhsa_exception_fp_ieee_div_zero 0
		.amdhsa_exception_fp_ieee_overflow 0
		.amdhsa_exception_fp_ieee_underflow 0
		.amdhsa_exception_fp_ieee_inexact 0
		.amdhsa_exception_int_div_zero 0
	.end_amdhsa_kernel
	.section	.text._ZN7rocprim17ROCPRIM_400000_NS6detail17trampoline_kernelINS0_13select_configILj256ELj13ELNS0_17block_load_methodE3ELS4_3ELS4_3ELNS0_20block_scan_algorithmE0ELj4294967295EEENS1_25partition_config_selectorILNS1_17partition_subalgoE4EjNS0_10empty_typeEbEEZZNS1_14partition_implILS8_4ELb0ES6_15HIP_vector_typeIjLj2EENS0_17counting_iteratorIjlEEPS9_SG_NS0_5tupleIJPjSI_NS0_16reverse_iteratorISI_EEEEENSH_IJSG_SG_SG_EEES9_SI_JZNS1_25segmented_radix_sort_implINS0_14default_configELb1EPKhPhPKlPlN2at6native12_GLOBAL__N_18offset_tEEE10hipError_tPvRmT1_PNSt15iterator_traitsIS12_E10value_typeET2_T3_PNS13_IS18_E10value_typeET4_jRbjT5_S1E_jjP12ihipStream_tbEUljE_ZNSN_ISO_Lb1ESQ_SR_ST_SU_SY_EESZ_S10_S11_S12_S16_S17_S18_S1B_S1C_jS1D_jS1E_S1E_jjS1G_bEUljE0_EEESZ_S10_S11_S18_S1C_S1E_T6_T7_T9_mT8_S1G_bDpT10_ENKUlT_T0_E_clISt17integral_constantIbLb1EES1U_EEDaS1P_S1Q_EUlS1P_E_NS1_11comp_targetILNS1_3genE4ELNS1_11target_archE910ELNS1_3gpuE8ELNS1_3repE0EEENS1_30default_config_static_selectorELNS0_4arch9wavefront6targetE0EEEvS12_,"axG",@progbits,_ZN7rocprim17ROCPRIM_400000_NS6detail17trampoline_kernelINS0_13select_configILj256ELj13ELNS0_17block_load_methodE3ELS4_3ELS4_3ELNS0_20block_scan_algorithmE0ELj4294967295EEENS1_25partition_config_selectorILNS1_17partition_subalgoE4EjNS0_10empty_typeEbEEZZNS1_14partition_implILS8_4ELb0ES6_15HIP_vector_typeIjLj2EENS0_17counting_iteratorIjlEEPS9_SG_NS0_5tupleIJPjSI_NS0_16reverse_iteratorISI_EEEEENSH_IJSG_SG_SG_EEES9_SI_JZNS1_25segmented_radix_sort_implINS0_14default_configELb1EPKhPhPKlPlN2at6native12_GLOBAL__N_18offset_tEEE10hipError_tPvRmT1_PNSt15iterator_traitsIS12_E10value_typeET2_T3_PNS13_IS18_E10value_typeET4_jRbjT5_S1E_jjP12ihipStream_tbEUljE_ZNSN_ISO_Lb1ESQ_SR_ST_SU_SY_EESZ_S10_S11_S12_S16_S17_S18_S1B_S1C_jS1D_jS1E_S1E_jjS1G_bEUljE0_EEESZ_S10_S11_S18_S1C_S1E_T6_T7_T9_mT8_S1G_bDpT10_ENKUlT_T0_E_clISt17integral_constantIbLb1EES1U_EEDaS1P_S1Q_EUlS1P_E_NS1_11comp_targetILNS1_3genE4ELNS1_11target_archE910ELNS1_3gpuE8ELNS1_3repE0EEENS1_30default_config_static_selectorELNS0_4arch9wavefront6targetE0EEEvS12_,comdat
.Lfunc_end23:
	.size	_ZN7rocprim17ROCPRIM_400000_NS6detail17trampoline_kernelINS0_13select_configILj256ELj13ELNS0_17block_load_methodE3ELS4_3ELS4_3ELNS0_20block_scan_algorithmE0ELj4294967295EEENS1_25partition_config_selectorILNS1_17partition_subalgoE4EjNS0_10empty_typeEbEEZZNS1_14partition_implILS8_4ELb0ES6_15HIP_vector_typeIjLj2EENS0_17counting_iteratorIjlEEPS9_SG_NS0_5tupleIJPjSI_NS0_16reverse_iteratorISI_EEEEENSH_IJSG_SG_SG_EEES9_SI_JZNS1_25segmented_radix_sort_implINS0_14default_configELb1EPKhPhPKlPlN2at6native12_GLOBAL__N_18offset_tEEE10hipError_tPvRmT1_PNSt15iterator_traitsIS12_E10value_typeET2_T3_PNS13_IS18_E10value_typeET4_jRbjT5_S1E_jjP12ihipStream_tbEUljE_ZNSN_ISO_Lb1ESQ_SR_ST_SU_SY_EESZ_S10_S11_S12_S16_S17_S18_S1B_S1C_jS1D_jS1E_S1E_jjS1G_bEUljE0_EEESZ_S10_S11_S18_S1C_S1E_T6_T7_T9_mT8_S1G_bDpT10_ENKUlT_T0_E_clISt17integral_constantIbLb1EES1U_EEDaS1P_S1Q_EUlS1P_E_NS1_11comp_targetILNS1_3genE4ELNS1_11target_archE910ELNS1_3gpuE8ELNS1_3repE0EEENS1_30default_config_static_selectorELNS0_4arch9wavefront6targetE0EEEvS12_, .Lfunc_end23-_ZN7rocprim17ROCPRIM_400000_NS6detail17trampoline_kernelINS0_13select_configILj256ELj13ELNS0_17block_load_methodE3ELS4_3ELS4_3ELNS0_20block_scan_algorithmE0ELj4294967295EEENS1_25partition_config_selectorILNS1_17partition_subalgoE4EjNS0_10empty_typeEbEEZZNS1_14partition_implILS8_4ELb0ES6_15HIP_vector_typeIjLj2EENS0_17counting_iteratorIjlEEPS9_SG_NS0_5tupleIJPjSI_NS0_16reverse_iteratorISI_EEEEENSH_IJSG_SG_SG_EEES9_SI_JZNS1_25segmented_radix_sort_implINS0_14default_configELb1EPKhPhPKlPlN2at6native12_GLOBAL__N_18offset_tEEE10hipError_tPvRmT1_PNSt15iterator_traitsIS12_E10value_typeET2_T3_PNS13_IS18_E10value_typeET4_jRbjT5_S1E_jjP12ihipStream_tbEUljE_ZNSN_ISO_Lb1ESQ_SR_ST_SU_SY_EESZ_S10_S11_S12_S16_S17_S18_S1B_S1C_jS1D_jS1E_S1E_jjS1G_bEUljE0_EEESZ_S10_S11_S18_S1C_S1E_T6_T7_T9_mT8_S1G_bDpT10_ENKUlT_T0_E_clISt17integral_constantIbLb1EES1U_EEDaS1P_S1Q_EUlS1P_E_NS1_11comp_targetILNS1_3genE4ELNS1_11target_archE910ELNS1_3gpuE8ELNS1_3repE0EEENS1_30default_config_static_selectorELNS0_4arch9wavefront6targetE0EEEvS12_
                                        ; -- End function
	.set _ZN7rocprim17ROCPRIM_400000_NS6detail17trampoline_kernelINS0_13select_configILj256ELj13ELNS0_17block_load_methodE3ELS4_3ELS4_3ELNS0_20block_scan_algorithmE0ELj4294967295EEENS1_25partition_config_selectorILNS1_17partition_subalgoE4EjNS0_10empty_typeEbEEZZNS1_14partition_implILS8_4ELb0ES6_15HIP_vector_typeIjLj2EENS0_17counting_iteratorIjlEEPS9_SG_NS0_5tupleIJPjSI_NS0_16reverse_iteratorISI_EEEEENSH_IJSG_SG_SG_EEES9_SI_JZNS1_25segmented_radix_sort_implINS0_14default_configELb1EPKhPhPKlPlN2at6native12_GLOBAL__N_18offset_tEEE10hipError_tPvRmT1_PNSt15iterator_traitsIS12_E10value_typeET2_T3_PNS13_IS18_E10value_typeET4_jRbjT5_S1E_jjP12ihipStream_tbEUljE_ZNSN_ISO_Lb1ESQ_SR_ST_SU_SY_EESZ_S10_S11_S12_S16_S17_S18_S1B_S1C_jS1D_jS1E_S1E_jjS1G_bEUljE0_EEESZ_S10_S11_S18_S1C_S1E_T6_T7_T9_mT8_S1G_bDpT10_ENKUlT_T0_E_clISt17integral_constantIbLb1EES1U_EEDaS1P_S1Q_EUlS1P_E_NS1_11comp_targetILNS1_3genE4ELNS1_11target_archE910ELNS1_3gpuE8ELNS1_3repE0EEENS1_30default_config_static_selectorELNS0_4arch9wavefront6targetE0EEEvS12_.num_vgpr, 0
	.set _ZN7rocprim17ROCPRIM_400000_NS6detail17trampoline_kernelINS0_13select_configILj256ELj13ELNS0_17block_load_methodE3ELS4_3ELS4_3ELNS0_20block_scan_algorithmE0ELj4294967295EEENS1_25partition_config_selectorILNS1_17partition_subalgoE4EjNS0_10empty_typeEbEEZZNS1_14partition_implILS8_4ELb0ES6_15HIP_vector_typeIjLj2EENS0_17counting_iteratorIjlEEPS9_SG_NS0_5tupleIJPjSI_NS0_16reverse_iteratorISI_EEEEENSH_IJSG_SG_SG_EEES9_SI_JZNS1_25segmented_radix_sort_implINS0_14default_configELb1EPKhPhPKlPlN2at6native12_GLOBAL__N_18offset_tEEE10hipError_tPvRmT1_PNSt15iterator_traitsIS12_E10value_typeET2_T3_PNS13_IS18_E10value_typeET4_jRbjT5_S1E_jjP12ihipStream_tbEUljE_ZNSN_ISO_Lb1ESQ_SR_ST_SU_SY_EESZ_S10_S11_S12_S16_S17_S18_S1B_S1C_jS1D_jS1E_S1E_jjS1G_bEUljE0_EEESZ_S10_S11_S18_S1C_S1E_T6_T7_T9_mT8_S1G_bDpT10_ENKUlT_T0_E_clISt17integral_constantIbLb1EES1U_EEDaS1P_S1Q_EUlS1P_E_NS1_11comp_targetILNS1_3genE4ELNS1_11target_archE910ELNS1_3gpuE8ELNS1_3repE0EEENS1_30default_config_static_selectorELNS0_4arch9wavefront6targetE0EEEvS12_.num_agpr, 0
	.set _ZN7rocprim17ROCPRIM_400000_NS6detail17trampoline_kernelINS0_13select_configILj256ELj13ELNS0_17block_load_methodE3ELS4_3ELS4_3ELNS0_20block_scan_algorithmE0ELj4294967295EEENS1_25partition_config_selectorILNS1_17partition_subalgoE4EjNS0_10empty_typeEbEEZZNS1_14partition_implILS8_4ELb0ES6_15HIP_vector_typeIjLj2EENS0_17counting_iteratorIjlEEPS9_SG_NS0_5tupleIJPjSI_NS0_16reverse_iteratorISI_EEEEENSH_IJSG_SG_SG_EEES9_SI_JZNS1_25segmented_radix_sort_implINS0_14default_configELb1EPKhPhPKlPlN2at6native12_GLOBAL__N_18offset_tEEE10hipError_tPvRmT1_PNSt15iterator_traitsIS12_E10value_typeET2_T3_PNS13_IS18_E10value_typeET4_jRbjT5_S1E_jjP12ihipStream_tbEUljE_ZNSN_ISO_Lb1ESQ_SR_ST_SU_SY_EESZ_S10_S11_S12_S16_S17_S18_S1B_S1C_jS1D_jS1E_S1E_jjS1G_bEUljE0_EEESZ_S10_S11_S18_S1C_S1E_T6_T7_T9_mT8_S1G_bDpT10_ENKUlT_T0_E_clISt17integral_constantIbLb1EES1U_EEDaS1P_S1Q_EUlS1P_E_NS1_11comp_targetILNS1_3genE4ELNS1_11target_archE910ELNS1_3gpuE8ELNS1_3repE0EEENS1_30default_config_static_selectorELNS0_4arch9wavefront6targetE0EEEvS12_.numbered_sgpr, 0
	.set _ZN7rocprim17ROCPRIM_400000_NS6detail17trampoline_kernelINS0_13select_configILj256ELj13ELNS0_17block_load_methodE3ELS4_3ELS4_3ELNS0_20block_scan_algorithmE0ELj4294967295EEENS1_25partition_config_selectorILNS1_17partition_subalgoE4EjNS0_10empty_typeEbEEZZNS1_14partition_implILS8_4ELb0ES6_15HIP_vector_typeIjLj2EENS0_17counting_iteratorIjlEEPS9_SG_NS0_5tupleIJPjSI_NS0_16reverse_iteratorISI_EEEEENSH_IJSG_SG_SG_EEES9_SI_JZNS1_25segmented_radix_sort_implINS0_14default_configELb1EPKhPhPKlPlN2at6native12_GLOBAL__N_18offset_tEEE10hipError_tPvRmT1_PNSt15iterator_traitsIS12_E10value_typeET2_T3_PNS13_IS18_E10value_typeET4_jRbjT5_S1E_jjP12ihipStream_tbEUljE_ZNSN_ISO_Lb1ESQ_SR_ST_SU_SY_EESZ_S10_S11_S12_S16_S17_S18_S1B_S1C_jS1D_jS1E_S1E_jjS1G_bEUljE0_EEESZ_S10_S11_S18_S1C_S1E_T6_T7_T9_mT8_S1G_bDpT10_ENKUlT_T0_E_clISt17integral_constantIbLb1EES1U_EEDaS1P_S1Q_EUlS1P_E_NS1_11comp_targetILNS1_3genE4ELNS1_11target_archE910ELNS1_3gpuE8ELNS1_3repE0EEENS1_30default_config_static_selectorELNS0_4arch9wavefront6targetE0EEEvS12_.num_named_barrier, 0
	.set _ZN7rocprim17ROCPRIM_400000_NS6detail17trampoline_kernelINS0_13select_configILj256ELj13ELNS0_17block_load_methodE3ELS4_3ELS4_3ELNS0_20block_scan_algorithmE0ELj4294967295EEENS1_25partition_config_selectorILNS1_17partition_subalgoE4EjNS0_10empty_typeEbEEZZNS1_14partition_implILS8_4ELb0ES6_15HIP_vector_typeIjLj2EENS0_17counting_iteratorIjlEEPS9_SG_NS0_5tupleIJPjSI_NS0_16reverse_iteratorISI_EEEEENSH_IJSG_SG_SG_EEES9_SI_JZNS1_25segmented_radix_sort_implINS0_14default_configELb1EPKhPhPKlPlN2at6native12_GLOBAL__N_18offset_tEEE10hipError_tPvRmT1_PNSt15iterator_traitsIS12_E10value_typeET2_T3_PNS13_IS18_E10value_typeET4_jRbjT5_S1E_jjP12ihipStream_tbEUljE_ZNSN_ISO_Lb1ESQ_SR_ST_SU_SY_EESZ_S10_S11_S12_S16_S17_S18_S1B_S1C_jS1D_jS1E_S1E_jjS1G_bEUljE0_EEESZ_S10_S11_S18_S1C_S1E_T6_T7_T9_mT8_S1G_bDpT10_ENKUlT_T0_E_clISt17integral_constantIbLb1EES1U_EEDaS1P_S1Q_EUlS1P_E_NS1_11comp_targetILNS1_3genE4ELNS1_11target_archE910ELNS1_3gpuE8ELNS1_3repE0EEENS1_30default_config_static_selectorELNS0_4arch9wavefront6targetE0EEEvS12_.private_seg_size, 0
	.set _ZN7rocprim17ROCPRIM_400000_NS6detail17trampoline_kernelINS0_13select_configILj256ELj13ELNS0_17block_load_methodE3ELS4_3ELS4_3ELNS0_20block_scan_algorithmE0ELj4294967295EEENS1_25partition_config_selectorILNS1_17partition_subalgoE4EjNS0_10empty_typeEbEEZZNS1_14partition_implILS8_4ELb0ES6_15HIP_vector_typeIjLj2EENS0_17counting_iteratorIjlEEPS9_SG_NS0_5tupleIJPjSI_NS0_16reverse_iteratorISI_EEEEENSH_IJSG_SG_SG_EEES9_SI_JZNS1_25segmented_radix_sort_implINS0_14default_configELb1EPKhPhPKlPlN2at6native12_GLOBAL__N_18offset_tEEE10hipError_tPvRmT1_PNSt15iterator_traitsIS12_E10value_typeET2_T3_PNS13_IS18_E10value_typeET4_jRbjT5_S1E_jjP12ihipStream_tbEUljE_ZNSN_ISO_Lb1ESQ_SR_ST_SU_SY_EESZ_S10_S11_S12_S16_S17_S18_S1B_S1C_jS1D_jS1E_S1E_jjS1G_bEUljE0_EEESZ_S10_S11_S18_S1C_S1E_T6_T7_T9_mT8_S1G_bDpT10_ENKUlT_T0_E_clISt17integral_constantIbLb1EES1U_EEDaS1P_S1Q_EUlS1P_E_NS1_11comp_targetILNS1_3genE4ELNS1_11target_archE910ELNS1_3gpuE8ELNS1_3repE0EEENS1_30default_config_static_selectorELNS0_4arch9wavefront6targetE0EEEvS12_.uses_vcc, 0
	.set _ZN7rocprim17ROCPRIM_400000_NS6detail17trampoline_kernelINS0_13select_configILj256ELj13ELNS0_17block_load_methodE3ELS4_3ELS4_3ELNS0_20block_scan_algorithmE0ELj4294967295EEENS1_25partition_config_selectorILNS1_17partition_subalgoE4EjNS0_10empty_typeEbEEZZNS1_14partition_implILS8_4ELb0ES6_15HIP_vector_typeIjLj2EENS0_17counting_iteratorIjlEEPS9_SG_NS0_5tupleIJPjSI_NS0_16reverse_iteratorISI_EEEEENSH_IJSG_SG_SG_EEES9_SI_JZNS1_25segmented_radix_sort_implINS0_14default_configELb1EPKhPhPKlPlN2at6native12_GLOBAL__N_18offset_tEEE10hipError_tPvRmT1_PNSt15iterator_traitsIS12_E10value_typeET2_T3_PNS13_IS18_E10value_typeET4_jRbjT5_S1E_jjP12ihipStream_tbEUljE_ZNSN_ISO_Lb1ESQ_SR_ST_SU_SY_EESZ_S10_S11_S12_S16_S17_S18_S1B_S1C_jS1D_jS1E_S1E_jjS1G_bEUljE0_EEESZ_S10_S11_S18_S1C_S1E_T6_T7_T9_mT8_S1G_bDpT10_ENKUlT_T0_E_clISt17integral_constantIbLb1EES1U_EEDaS1P_S1Q_EUlS1P_E_NS1_11comp_targetILNS1_3genE4ELNS1_11target_archE910ELNS1_3gpuE8ELNS1_3repE0EEENS1_30default_config_static_selectorELNS0_4arch9wavefront6targetE0EEEvS12_.uses_flat_scratch, 0
	.set _ZN7rocprim17ROCPRIM_400000_NS6detail17trampoline_kernelINS0_13select_configILj256ELj13ELNS0_17block_load_methodE3ELS4_3ELS4_3ELNS0_20block_scan_algorithmE0ELj4294967295EEENS1_25partition_config_selectorILNS1_17partition_subalgoE4EjNS0_10empty_typeEbEEZZNS1_14partition_implILS8_4ELb0ES6_15HIP_vector_typeIjLj2EENS0_17counting_iteratorIjlEEPS9_SG_NS0_5tupleIJPjSI_NS0_16reverse_iteratorISI_EEEEENSH_IJSG_SG_SG_EEES9_SI_JZNS1_25segmented_radix_sort_implINS0_14default_configELb1EPKhPhPKlPlN2at6native12_GLOBAL__N_18offset_tEEE10hipError_tPvRmT1_PNSt15iterator_traitsIS12_E10value_typeET2_T3_PNS13_IS18_E10value_typeET4_jRbjT5_S1E_jjP12ihipStream_tbEUljE_ZNSN_ISO_Lb1ESQ_SR_ST_SU_SY_EESZ_S10_S11_S12_S16_S17_S18_S1B_S1C_jS1D_jS1E_S1E_jjS1G_bEUljE0_EEESZ_S10_S11_S18_S1C_S1E_T6_T7_T9_mT8_S1G_bDpT10_ENKUlT_T0_E_clISt17integral_constantIbLb1EES1U_EEDaS1P_S1Q_EUlS1P_E_NS1_11comp_targetILNS1_3genE4ELNS1_11target_archE910ELNS1_3gpuE8ELNS1_3repE0EEENS1_30default_config_static_selectorELNS0_4arch9wavefront6targetE0EEEvS12_.has_dyn_sized_stack, 0
	.set _ZN7rocprim17ROCPRIM_400000_NS6detail17trampoline_kernelINS0_13select_configILj256ELj13ELNS0_17block_load_methodE3ELS4_3ELS4_3ELNS0_20block_scan_algorithmE0ELj4294967295EEENS1_25partition_config_selectorILNS1_17partition_subalgoE4EjNS0_10empty_typeEbEEZZNS1_14partition_implILS8_4ELb0ES6_15HIP_vector_typeIjLj2EENS0_17counting_iteratorIjlEEPS9_SG_NS0_5tupleIJPjSI_NS0_16reverse_iteratorISI_EEEEENSH_IJSG_SG_SG_EEES9_SI_JZNS1_25segmented_radix_sort_implINS0_14default_configELb1EPKhPhPKlPlN2at6native12_GLOBAL__N_18offset_tEEE10hipError_tPvRmT1_PNSt15iterator_traitsIS12_E10value_typeET2_T3_PNS13_IS18_E10value_typeET4_jRbjT5_S1E_jjP12ihipStream_tbEUljE_ZNSN_ISO_Lb1ESQ_SR_ST_SU_SY_EESZ_S10_S11_S12_S16_S17_S18_S1B_S1C_jS1D_jS1E_S1E_jjS1G_bEUljE0_EEESZ_S10_S11_S18_S1C_S1E_T6_T7_T9_mT8_S1G_bDpT10_ENKUlT_T0_E_clISt17integral_constantIbLb1EES1U_EEDaS1P_S1Q_EUlS1P_E_NS1_11comp_targetILNS1_3genE4ELNS1_11target_archE910ELNS1_3gpuE8ELNS1_3repE0EEENS1_30default_config_static_selectorELNS0_4arch9wavefront6targetE0EEEvS12_.has_recursion, 0
	.set _ZN7rocprim17ROCPRIM_400000_NS6detail17trampoline_kernelINS0_13select_configILj256ELj13ELNS0_17block_load_methodE3ELS4_3ELS4_3ELNS0_20block_scan_algorithmE0ELj4294967295EEENS1_25partition_config_selectorILNS1_17partition_subalgoE4EjNS0_10empty_typeEbEEZZNS1_14partition_implILS8_4ELb0ES6_15HIP_vector_typeIjLj2EENS0_17counting_iteratorIjlEEPS9_SG_NS0_5tupleIJPjSI_NS0_16reverse_iteratorISI_EEEEENSH_IJSG_SG_SG_EEES9_SI_JZNS1_25segmented_radix_sort_implINS0_14default_configELb1EPKhPhPKlPlN2at6native12_GLOBAL__N_18offset_tEEE10hipError_tPvRmT1_PNSt15iterator_traitsIS12_E10value_typeET2_T3_PNS13_IS18_E10value_typeET4_jRbjT5_S1E_jjP12ihipStream_tbEUljE_ZNSN_ISO_Lb1ESQ_SR_ST_SU_SY_EESZ_S10_S11_S12_S16_S17_S18_S1B_S1C_jS1D_jS1E_S1E_jjS1G_bEUljE0_EEESZ_S10_S11_S18_S1C_S1E_T6_T7_T9_mT8_S1G_bDpT10_ENKUlT_T0_E_clISt17integral_constantIbLb1EES1U_EEDaS1P_S1Q_EUlS1P_E_NS1_11comp_targetILNS1_3genE4ELNS1_11target_archE910ELNS1_3gpuE8ELNS1_3repE0EEENS1_30default_config_static_selectorELNS0_4arch9wavefront6targetE0EEEvS12_.has_indirect_call, 0
	.section	.AMDGPU.csdata,"",@progbits
; Kernel info:
; codeLenInByte = 0
; TotalNumSgprs: 0
; NumVgprs: 0
; ScratchSize: 0
; MemoryBound: 0
; FloatMode: 240
; IeeeMode: 1
; LDSByteSize: 0 bytes/workgroup (compile time only)
; SGPRBlocks: 0
; VGPRBlocks: 0
; NumSGPRsForWavesPerEU: 1
; NumVGPRsForWavesPerEU: 1
; Occupancy: 16
; WaveLimiterHint : 0
; COMPUTE_PGM_RSRC2:SCRATCH_EN: 0
; COMPUTE_PGM_RSRC2:USER_SGPR: 2
; COMPUTE_PGM_RSRC2:TRAP_HANDLER: 0
; COMPUTE_PGM_RSRC2:TGID_X_EN: 1
; COMPUTE_PGM_RSRC2:TGID_Y_EN: 0
; COMPUTE_PGM_RSRC2:TGID_Z_EN: 0
; COMPUTE_PGM_RSRC2:TIDIG_COMP_CNT: 0
	.section	.text._ZN7rocprim17ROCPRIM_400000_NS6detail17trampoline_kernelINS0_13select_configILj256ELj13ELNS0_17block_load_methodE3ELS4_3ELS4_3ELNS0_20block_scan_algorithmE0ELj4294967295EEENS1_25partition_config_selectorILNS1_17partition_subalgoE4EjNS0_10empty_typeEbEEZZNS1_14partition_implILS8_4ELb0ES6_15HIP_vector_typeIjLj2EENS0_17counting_iteratorIjlEEPS9_SG_NS0_5tupleIJPjSI_NS0_16reverse_iteratorISI_EEEEENSH_IJSG_SG_SG_EEES9_SI_JZNS1_25segmented_radix_sort_implINS0_14default_configELb1EPKhPhPKlPlN2at6native12_GLOBAL__N_18offset_tEEE10hipError_tPvRmT1_PNSt15iterator_traitsIS12_E10value_typeET2_T3_PNS13_IS18_E10value_typeET4_jRbjT5_S1E_jjP12ihipStream_tbEUljE_ZNSN_ISO_Lb1ESQ_SR_ST_SU_SY_EESZ_S10_S11_S12_S16_S17_S18_S1B_S1C_jS1D_jS1E_S1E_jjS1G_bEUljE0_EEESZ_S10_S11_S18_S1C_S1E_T6_T7_T9_mT8_S1G_bDpT10_ENKUlT_T0_E_clISt17integral_constantIbLb1EES1U_EEDaS1P_S1Q_EUlS1P_E_NS1_11comp_targetILNS1_3genE3ELNS1_11target_archE908ELNS1_3gpuE7ELNS1_3repE0EEENS1_30default_config_static_selectorELNS0_4arch9wavefront6targetE0EEEvS12_,"axG",@progbits,_ZN7rocprim17ROCPRIM_400000_NS6detail17trampoline_kernelINS0_13select_configILj256ELj13ELNS0_17block_load_methodE3ELS4_3ELS4_3ELNS0_20block_scan_algorithmE0ELj4294967295EEENS1_25partition_config_selectorILNS1_17partition_subalgoE4EjNS0_10empty_typeEbEEZZNS1_14partition_implILS8_4ELb0ES6_15HIP_vector_typeIjLj2EENS0_17counting_iteratorIjlEEPS9_SG_NS0_5tupleIJPjSI_NS0_16reverse_iteratorISI_EEEEENSH_IJSG_SG_SG_EEES9_SI_JZNS1_25segmented_radix_sort_implINS0_14default_configELb1EPKhPhPKlPlN2at6native12_GLOBAL__N_18offset_tEEE10hipError_tPvRmT1_PNSt15iterator_traitsIS12_E10value_typeET2_T3_PNS13_IS18_E10value_typeET4_jRbjT5_S1E_jjP12ihipStream_tbEUljE_ZNSN_ISO_Lb1ESQ_SR_ST_SU_SY_EESZ_S10_S11_S12_S16_S17_S18_S1B_S1C_jS1D_jS1E_S1E_jjS1G_bEUljE0_EEESZ_S10_S11_S18_S1C_S1E_T6_T7_T9_mT8_S1G_bDpT10_ENKUlT_T0_E_clISt17integral_constantIbLb1EES1U_EEDaS1P_S1Q_EUlS1P_E_NS1_11comp_targetILNS1_3genE3ELNS1_11target_archE908ELNS1_3gpuE7ELNS1_3repE0EEENS1_30default_config_static_selectorELNS0_4arch9wavefront6targetE0EEEvS12_,comdat
	.globl	_ZN7rocprim17ROCPRIM_400000_NS6detail17trampoline_kernelINS0_13select_configILj256ELj13ELNS0_17block_load_methodE3ELS4_3ELS4_3ELNS0_20block_scan_algorithmE0ELj4294967295EEENS1_25partition_config_selectorILNS1_17partition_subalgoE4EjNS0_10empty_typeEbEEZZNS1_14partition_implILS8_4ELb0ES6_15HIP_vector_typeIjLj2EENS0_17counting_iteratorIjlEEPS9_SG_NS0_5tupleIJPjSI_NS0_16reverse_iteratorISI_EEEEENSH_IJSG_SG_SG_EEES9_SI_JZNS1_25segmented_radix_sort_implINS0_14default_configELb1EPKhPhPKlPlN2at6native12_GLOBAL__N_18offset_tEEE10hipError_tPvRmT1_PNSt15iterator_traitsIS12_E10value_typeET2_T3_PNS13_IS18_E10value_typeET4_jRbjT5_S1E_jjP12ihipStream_tbEUljE_ZNSN_ISO_Lb1ESQ_SR_ST_SU_SY_EESZ_S10_S11_S12_S16_S17_S18_S1B_S1C_jS1D_jS1E_S1E_jjS1G_bEUljE0_EEESZ_S10_S11_S18_S1C_S1E_T6_T7_T9_mT8_S1G_bDpT10_ENKUlT_T0_E_clISt17integral_constantIbLb1EES1U_EEDaS1P_S1Q_EUlS1P_E_NS1_11comp_targetILNS1_3genE3ELNS1_11target_archE908ELNS1_3gpuE7ELNS1_3repE0EEENS1_30default_config_static_selectorELNS0_4arch9wavefront6targetE0EEEvS12_ ; -- Begin function _ZN7rocprim17ROCPRIM_400000_NS6detail17trampoline_kernelINS0_13select_configILj256ELj13ELNS0_17block_load_methodE3ELS4_3ELS4_3ELNS0_20block_scan_algorithmE0ELj4294967295EEENS1_25partition_config_selectorILNS1_17partition_subalgoE4EjNS0_10empty_typeEbEEZZNS1_14partition_implILS8_4ELb0ES6_15HIP_vector_typeIjLj2EENS0_17counting_iteratorIjlEEPS9_SG_NS0_5tupleIJPjSI_NS0_16reverse_iteratorISI_EEEEENSH_IJSG_SG_SG_EEES9_SI_JZNS1_25segmented_radix_sort_implINS0_14default_configELb1EPKhPhPKlPlN2at6native12_GLOBAL__N_18offset_tEEE10hipError_tPvRmT1_PNSt15iterator_traitsIS12_E10value_typeET2_T3_PNS13_IS18_E10value_typeET4_jRbjT5_S1E_jjP12ihipStream_tbEUljE_ZNSN_ISO_Lb1ESQ_SR_ST_SU_SY_EESZ_S10_S11_S12_S16_S17_S18_S1B_S1C_jS1D_jS1E_S1E_jjS1G_bEUljE0_EEESZ_S10_S11_S18_S1C_S1E_T6_T7_T9_mT8_S1G_bDpT10_ENKUlT_T0_E_clISt17integral_constantIbLb1EES1U_EEDaS1P_S1Q_EUlS1P_E_NS1_11comp_targetILNS1_3genE3ELNS1_11target_archE908ELNS1_3gpuE7ELNS1_3repE0EEENS1_30default_config_static_selectorELNS0_4arch9wavefront6targetE0EEEvS12_
	.p2align	8
	.type	_ZN7rocprim17ROCPRIM_400000_NS6detail17trampoline_kernelINS0_13select_configILj256ELj13ELNS0_17block_load_methodE3ELS4_3ELS4_3ELNS0_20block_scan_algorithmE0ELj4294967295EEENS1_25partition_config_selectorILNS1_17partition_subalgoE4EjNS0_10empty_typeEbEEZZNS1_14partition_implILS8_4ELb0ES6_15HIP_vector_typeIjLj2EENS0_17counting_iteratorIjlEEPS9_SG_NS0_5tupleIJPjSI_NS0_16reverse_iteratorISI_EEEEENSH_IJSG_SG_SG_EEES9_SI_JZNS1_25segmented_radix_sort_implINS0_14default_configELb1EPKhPhPKlPlN2at6native12_GLOBAL__N_18offset_tEEE10hipError_tPvRmT1_PNSt15iterator_traitsIS12_E10value_typeET2_T3_PNS13_IS18_E10value_typeET4_jRbjT5_S1E_jjP12ihipStream_tbEUljE_ZNSN_ISO_Lb1ESQ_SR_ST_SU_SY_EESZ_S10_S11_S12_S16_S17_S18_S1B_S1C_jS1D_jS1E_S1E_jjS1G_bEUljE0_EEESZ_S10_S11_S18_S1C_S1E_T6_T7_T9_mT8_S1G_bDpT10_ENKUlT_T0_E_clISt17integral_constantIbLb1EES1U_EEDaS1P_S1Q_EUlS1P_E_NS1_11comp_targetILNS1_3genE3ELNS1_11target_archE908ELNS1_3gpuE7ELNS1_3repE0EEENS1_30default_config_static_selectorELNS0_4arch9wavefront6targetE0EEEvS12_,@function
_ZN7rocprim17ROCPRIM_400000_NS6detail17trampoline_kernelINS0_13select_configILj256ELj13ELNS0_17block_load_methodE3ELS4_3ELS4_3ELNS0_20block_scan_algorithmE0ELj4294967295EEENS1_25partition_config_selectorILNS1_17partition_subalgoE4EjNS0_10empty_typeEbEEZZNS1_14partition_implILS8_4ELb0ES6_15HIP_vector_typeIjLj2EENS0_17counting_iteratorIjlEEPS9_SG_NS0_5tupleIJPjSI_NS0_16reverse_iteratorISI_EEEEENSH_IJSG_SG_SG_EEES9_SI_JZNS1_25segmented_radix_sort_implINS0_14default_configELb1EPKhPhPKlPlN2at6native12_GLOBAL__N_18offset_tEEE10hipError_tPvRmT1_PNSt15iterator_traitsIS12_E10value_typeET2_T3_PNS13_IS18_E10value_typeET4_jRbjT5_S1E_jjP12ihipStream_tbEUljE_ZNSN_ISO_Lb1ESQ_SR_ST_SU_SY_EESZ_S10_S11_S12_S16_S17_S18_S1B_S1C_jS1D_jS1E_S1E_jjS1G_bEUljE0_EEESZ_S10_S11_S18_S1C_S1E_T6_T7_T9_mT8_S1G_bDpT10_ENKUlT_T0_E_clISt17integral_constantIbLb1EES1U_EEDaS1P_S1Q_EUlS1P_E_NS1_11comp_targetILNS1_3genE3ELNS1_11target_archE908ELNS1_3gpuE7ELNS1_3repE0EEENS1_30default_config_static_selectorELNS0_4arch9wavefront6targetE0EEEvS12_: ; @_ZN7rocprim17ROCPRIM_400000_NS6detail17trampoline_kernelINS0_13select_configILj256ELj13ELNS0_17block_load_methodE3ELS4_3ELS4_3ELNS0_20block_scan_algorithmE0ELj4294967295EEENS1_25partition_config_selectorILNS1_17partition_subalgoE4EjNS0_10empty_typeEbEEZZNS1_14partition_implILS8_4ELb0ES6_15HIP_vector_typeIjLj2EENS0_17counting_iteratorIjlEEPS9_SG_NS0_5tupleIJPjSI_NS0_16reverse_iteratorISI_EEEEENSH_IJSG_SG_SG_EEES9_SI_JZNS1_25segmented_radix_sort_implINS0_14default_configELb1EPKhPhPKlPlN2at6native12_GLOBAL__N_18offset_tEEE10hipError_tPvRmT1_PNSt15iterator_traitsIS12_E10value_typeET2_T3_PNS13_IS18_E10value_typeET4_jRbjT5_S1E_jjP12ihipStream_tbEUljE_ZNSN_ISO_Lb1ESQ_SR_ST_SU_SY_EESZ_S10_S11_S12_S16_S17_S18_S1B_S1C_jS1D_jS1E_S1E_jjS1G_bEUljE0_EEESZ_S10_S11_S18_S1C_S1E_T6_T7_T9_mT8_S1G_bDpT10_ENKUlT_T0_E_clISt17integral_constantIbLb1EES1U_EEDaS1P_S1Q_EUlS1P_E_NS1_11comp_targetILNS1_3genE3ELNS1_11target_archE908ELNS1_3gpuE7ELNS1_3repE0EEENS1_30default_config_static_selectorELNS0_4arch9wavefront6targetE0EEEvS12_
; %bb.0:
	.section	.rodata,"a",@progbits
	.p2align	6, 0x0
	.amdhsa_kernel _ZN7rocprim17ROCPRIM_400000_NS6detail17trampoline_kernelINS0_13select_configILj256ELj13ELNS0_17block_load_methodE3ELS4_3ELS4_3ELNS0_20block_scan_algorithmE0ELj4294967295EEENS1_25partition_config_selectorILNS1_17partition_subalgoE4EjNS0_10empty_typeEbEEZZNS1_14partition_implILS8_4ELb0ES6_15HIP_vector_typeIjLj2EENS0_17counting_iteratorIjlEEPS9_SG_NS0_5tupleIJPjSI_NS0_16reverse_iteratorISI_EEEEENSH_IJSG_SG_SG_EEES9_SI_JZNS1_25segmented_radix_sort_implINS0_14default_configELb1EPKhPhPKlPlN2at6native12_GLOBAL__N_18offset_tEEE10hipError_tPvRmT1_PNSt15iterator_traitsIS12_E10value_typeET2_T3_PNS13_IS18_E10value_typeET4_jRbjT5_S1E_jjP12ihipStream_tbEUljE_ZNSN_ISO_Lb1ESQ_SR_ST_SU_SY_EESZ_S10_S11_S12_S16_S17_S18_S1B_S1C_jS1D_jS1E_S1E_jjS1G_bEUljE0_EEESZ_S10_S11_S18_S1C_S1E_T6_T7_T9_mT8_S1G_bDpT10_ENKUlT_T0_E_clISt17integral_constantIbLb1EES1U_EEDaS1P_S1Q_EUlS1P_E_NS1_11comp_targetILNS1_3genE3ELNS1_11target_archE908ELNS1_3gpuE7ELNS1_3repE0EEENS1_30default_config_static_selectorELNS0_4arch9wavefront6targetE0EEEvS12_
		.amdhsa_group_segment_fixed_size 0
		.amdhsa_private_segment_fixed_size 0
		.amdhsa_kernarg_size 184
		.amdhsa_user_sgpr_count 2
		.amdhsa_user_sgpr_dispatch_ptr 0
		.amdhsa_user_sgpr_queue_ptr 0
		.amdhsa_user_sgpr_kernarg_segment_ptr 1
		.amdhsa_user_sgpr_dispatch_id 0
		.amdhsa_user_sgpr_private_segment_size 0
		.amdhsa_wavefront_size32 1
		.amdhsa_uses_dynamic_stack 0
		.amdhsa_enable_private_segment 0
		.amdhsa_system_sgpr_workgroup_id_x 1
		.amdhsa_system_sgpr_workgroup_id_y 0
		.amdhsa_system_sgpr_workgroup_id_z 0
		.amdhsa_system_sgpr_workgroup_info 0
		.amdhsa_system_vgpr_workitem_id 0
		.amdhsa_next_free_vgpr 1
		.amdhsa_next_free_sgpr 1
		.amdhsa_reserve_vcc 0
		.amdhsa_float_round_mode_32 0
		.amdhsa_float_round_mode_16_64 0
		.amdhsa_float_denorm_mode_32 3
		.amdhsa_float_denorm_mode_16_64 3
		.amdhsa_fp16_overflow 0
		.amdhsa_workgroup_processor_mode 1
		.amdhsa_memory_ordered 1
		.amdhsa_forward_progress 1
		.amdhsa_inst_pref_size 0
		.amdhsa_round_robin_scheduling 0
		.amdhsa_exception_fp_ieee_invalid_op 0
		.amdhsa_exception_fp_denorm_src 0
		.amdhsa_exception_fp_ieee_div_zero 0
		.amdhsa_exception_fp_ieee_overflow 0
		.amdhsa_exception_fp_ieee_underflow 0
		.amdhsa_exception_fp_ieee_inexact 0
		.amdhsa_exception_int_div_zero 0
	.end_amdhsa_kernel
	.section	.text._ZN7rocprim17ROCPRIM_400000_NS6detail17trampoline_kernelINS0_13select_configILj256ELj13ELNS0_17block_load_methodE3ELS4_3ELS4_3ELNS0_20block_scan_algorithmE0ELj4294967295EEENS1_25partition_config_selectorILNS1_17partition_subalgoE4EjNS0_10empty_typeEbEEZZNS1_14partition_implILS8_4ELb0ES6_15HIP_vector_typeIjLj2EENS0_17counting_iteratorIjlEEPS9_SG_NS0_5tupleIJPjSI_NS0_16reverse_iteratorISI_EEEEENSH_IJSG_SG_SG_EEES9_SI_JZNS1_25segmented_radix_sort_implINS0_14default_configELb1EPKhPhPKlPlN2at6native12_GLOBAL__N_18offset_tEEE10hipError_tPvRmT1_PNSt15iterator_traitsIS12_E10value_typeET2_T3_PNS13_IS18_E10value_typeET4_jRbjT5_S1E_jjP12ihipStream_tbEUljE_ZNSN_ISO_Lb1ESQ_SR_ST_SU_SY_EESZ_S10_S11_S12_S16_S17_S18_S1B_S1C_jS1D_jS1E_S1E_jjS1G_bEUljE0_EEESZ_S10_S11_S18_S1C_S1E_T6_T7_T9_mT8_S1G_bDpT10_ENKUlT_T0_E_clISt17integral_constantIbLb1EES1U_EEDaS1P_S1Q_EUlS1P_E_NS1_11comp_targetILNS1_3genE3ELNS1_11target_archE908ELNS1_3gpuE7ELNS1_3repE0EEENS1_30default_config_static_selectorELNS0_4arch9wavefront6targetE0EEEvS12_,"axG",@progbits,_ZN7rocprim17ROCPRIM_400000_NS6detail17trampoline_kernelINS0_13select_configILj256ELj13ELNS0_17block_load_methodE3ELS4_3ELS4_3ELNS0_20block_scan_algorithmE0ELj4294967295EEENS1_25partition_config_selectorILNS1_17partition_subalgoE4EjNS0_10empty_typeEbEEZZNS1_14partition_implILS8_4ELb0ES6_15HIP_vector_typeIjLj2EENS0_17counting_iteratorIjlEEPS9_SG_NS0_5tupleIJPjSI_NS0_16reverse_iteratorISI_EEEEENSH_IJSG_SG_SG_EEES9_SI_JZNS1_25segmented_radix_sort_implINS0_14default_configELb1EPKhPhPKlPlN2at6native12_GLOBAL__N_18offset_tEEE10hipError_tPvRmT1_PNSt15iterator_traitsIS12_E10value_typeET2_T3_PNS13_IS18_E10value_typeET4_jRbjT5_S1E_jjP12ihipStream_tbEUljE_ZNSN_ISO_Lb1ESQ_SR_ST_SU_SY_EESZ_S10_S11_S12_S16_S17_S18_S1B_S1C_jS1D_jS1E_S1E_jjS1G_bEUljE0_EEESZ_S10_S11_S18_S1C_S1E_T6_T7_T9_mT8_S1G_bDpT10_ENKUlT_T0_E_clISt17integral_constantIbLb1EES1U_EEDaS1P_S1Q_EUlS1P_E_NS1_11comp_targetILNS1_3genE3ELNS1_11target_archE908ELNS1_3gpuE7ELNS1_3repE0EEENS1_30default_config_static_selectorELNS0_4arch9wavefront6targetE0EEEvS12_,comdat
.Lfunc_end24:
	.size	_ZN7rocprim17ROCPRIM_400000_NS6detail17trampoline_kernelINS0_13select_configILj256ELj13ELNS0_17block_load_methodE3ELS4_3ELS4_3ELNS0_20block_scan_algorithmE0ELj4294967295EEENS1_25partition_config_selectorILNS1_17partition_subalgoE4EjNS0_10empty_typeEbEEZZNS1_14partition_implILS8_4ELb0ES6_15HIP_vector_typeIjLj2EENS0_17counting_iteratorIjlEEPS9_SG_NS0_5tupleIJPjSI_NS0_16reverse_iteratorISI_EEEEENSH_IJSG_SG_SG_EEES9_SI_JZNS1_25segmented_radix_sort_implINS0_14default_configELb1EPKhPhPKlPlN2at6native12_GLOBAL__N_18offset_tEEE10hipError_tPvRmT1_PNSt15iterator_traitsIS12_E10value_typeET2_T3_PNS13_IS18_E10value_typeET4_jRbjT5_S1E_jjP12ihipStream_tbEUljE_ZNSN_ISO_Lb1ESQ_SR_ST_SU_SY_EESZ_S10_S11_S12_S16_S17_S18_S1B_S1C_jS1D_jS1E_S1E_jjS1G_bEUljE0_EEESZ_S10_S11_S18_S1C_S1E_T6_T7_T9_mT8_S1G_bDpT10_ENKUlT_T0_E_clISt17integral_constantIbLb1EES1U_EEDaS1P_S1Q_EUlS1P_E_NS1_11comp_targetILNS1_3genE3ELNS1_11target_archE908ELNS1_3gpuE7ELNS1_3repE0EEENS1_30default_config_static_selectorELNS0_4arch9wavefront6targetE0EEEvS12_, .Lfunc_end24-_ZN7rocprim17ROCPRIM_400000_NS6detail17trampoline_kernelINS0_13select_configILj256ELj13ELNS0_17block_load_methodE3ELS4_3ELS4_3ELNS0_20block_scan_algorithmE0ELj4294967295EEENS1_25partition_config_selectorILNS1_17partition_subalgoE4EjNS0_10empty_typeEbEEZZNS1_14partition_implILS8_4ELb0ES6_15HIP_vector_typeIjLj2EENS0_17counting_iteratorIjlEEPS9_SG_NS0_5tupleIJPjSI_NS0_16reverse_iteratorISI_EEEEENSH_IJSG_SG_SG_EEES9_SI_JZNS1_25segmented_radix_sort_implINS0_14default_configELb1EPKhPhPKlPlN2at6native12_GLOBAL__N_18offset_tEEE10hipError_tPvRmT1_PNSt15iterator_traitsIS12_E10value_typeET2_T3_PNS13_IS18_E10value_typeET4_jRbjT5_S1E_jjP12ihipStream_tbEUljE_ZNSN_ISO_Lb1ESQ_SR_ST_SU_SY_EESZ_S10_S11_S12_S16_S17_S18_S1B_S1C_jS1D_jS1E_S1E_jjS1G_bEUljE0_EEESZ_S10_S11_S18_S1C_S1E_T6_T7_T9_mT8_S1G_bDpT10_ENKUlT_T0_E_clISt17integral_constantIbLb1EES1U_EEDaS1P_S1Q_EUlS1P_E_NS1_11comp_targetILNS1_3genE3ELNS1_11target_archE908ELNS1_3gpuE7ELNS1_3repE0EEENS1_30default_config_static_selectorELNS0_4arch9wavefront6targetE0EEEvS12_
                                        ; -- End function
	.set _ZN7rocprim17ROCPRIM_400000_NS6detail17trampoline_kernelINS0_13select_configILj256ELj13ELNS0_17block_load_methodE3ELS4_3ELS4_3ELNS0_20block_scan_algorithmE0ELj4294967295EEENS1_25partition_config_selectorILNS1_17partition_subalgoE4EjNS0_10empty_typeEbEEZZNS1_14partition_implILS8_4ELb0ES6_15HIP_vector_typeIjLj2EENS0_17counting_iteratorIjlEEPS9_SG_NS0_5tupleIJPjSI_NS0_16reverse_iteratorISI_EEEEENSH_IJSG_SG_SG_EEES9_SI_JZNS1_25segmented_radix_sort_implINS0_14default_configELb1EPKhPhPKlPlN2at6native12_GLOBAL__N_18offset_tEEE10hipError_tPvRmT1_PNSt15iterator_traitsIS12_E10value_typeET2_T3_PNS13_IS18_E10value_typeET4_jRbjT5_S1E_jjP12ihipStream_tbEUljE_ZNSN_ISO_Lb1ESQ_SR_ST_SU_SY_EESZ_S10_S11_S12_S16_S17_S18_S1B_S1C_jS1D_jS1E_S1E_jjS1G_bEUljE0_EEESZ_S10_S11_S18_S1C_S1E_T6_T7_T9_mT8_S1G_bDpT10_ENKUlT_T0_E_clISt17integral_constantIbLb1EES1U_EEDaS1P_S1Q_EUlS1P_E_NS1_11comp_targetILNS1_3genE3ELNS1_11target_archE908ELNS1_3gpuE7ELNS1_3repE0EEENS1_30default_config_static_selectorELNS0_4arch9wavefront6targetE0EEEvS12_.num_vgpr, 0
	.set _ZN7rocprim17ROCPRIM_400000_NS6detail17trampoline_kernelINS0_13select_configILj256ELj13ELNS0_17block_load_methodE3ELS4_3ELS4_3ELNS0_20block_scan_algorithmE0ELj4294967295EEENS1_25partition_config_selectorILNS1_17partition_subalgoE4EjNS0_10empty_typeEbEEZZNS1_14partition_implILS8_4ELb0ES6_15HIP_vector_typeIjLj2EENS0_17counting_iteratorIjlEEPS9_SG_NS0_5tupleIJPjSI_NS0_16reverse_iteratorISI_EEEEENSH_IJSG_SG_SG_EEES9_SI_JZNS1_25segmented_radix_sort_implINS0_14default_configELb1EPKhPhPKlPlN2at6native12_GLOBAL__N_18offset_tEEE10hipError_tPvRmT1_PNSt15iterator_traitsIS12_E10value_typeET2_T3_PNS13_IS18_E10value_typeET4_jRbjT5_S1E_jjP12ihipStream_tbEUljE_ZNSN_ISO_Lb1ESQ_SR_ST_SU_SY_EESZ_S10_S11_S12_S16_S17_S18_S1B_S1C_jS1D_jS1E_S1E_jjS1G_bEUljE0_EEESZ_S10_S11_S18_S1C_S1E_T6_T7_T9_mT8_S1G_bDpT10_ENKUlT_T0_E_clISt17integral_constantIbLb1EES1U_EEDaS1P_S1Q_EUlS1P_E_NS1_11comp_targetILNS1_3genE3ELNS1_11target_archE908ELNS1_3gpuE7ELNS1_3repE0EEENS1_30default_config_static_selectorELNS0_4arch9wavefront6targetE0EEEvS12_.num_agpr, 0
	.set _ZN7rocprim17ROCPRIM_400000_NS6detail17trampoline_kernelINS0_13select_configILj256ELj13ELNS0_17block_load_methodE3ELS4_3ELS4_3ELNS0_20block_scan_algorithmE0ELj4294967295EEENS1_25partition_config_selectorILNS1_17partition_subalgoE4EjNS0_10empty_typeEbEEZZNS1_14partition_implILS8_4ELb0ES6_15HIP_vector_typeIjLj2EENS0_17counting_iteratorIjlEEPS9_SG_NS0_5tupleIJPjSI_NS0_16reverse_iteratorISI_EEEEENSH_IJSG_SG_SG_EEES9_SI_JZNS1_25segmented_radix_sort_implINS0_14default_configELb1EPKhPhPKlPlN2at6native12_GLOBAL__N_18offset_tEEE10hipError_tPvRmT1_PNSt15iterator_traitsIS12_E10value_typeET2_T3_PNS13_IS18_E10value_typeET4_jRbjT5_S1E_jjP12ihipStream_tbEUljE_ZNSN_ISO_Lb1ESQ_SR_ST_SU_SY_EESZ_S10_S11_S12_S16_S17_S18_S1B_S1C_jS1D_jS1E_S1E_jjS1G_bEUljE0_EEESZ_S10_S11_S18_S1C_S1E_T6_T7_T9_mT8_S1G_bDpT10_ENKUlT_T0_E_clISt17integral_constantIbLb1EES1U_EEDaS1P_S1Q_EUlS1P_E_NS1_11comp_targetILNS1_3genE3ELNS1_11target_archE908ELNS1_3gpuE7ELNS1_3repE0EEENS1_30default_config_static_selectorELNS0_4arch9wavefront6targetE0EEEvS12_.numbered_sgpr, 0
	.set _ZN7rocprim17ROCPRIM_400000_NS6detail17trampoline_kernelINS0_13select_configILj256ELj13ELNS0_17block_load_methodE3ELS4_3ELS4_3ELNS0_20block_scan_algorithmE0ELj4294967295EEENS1_25partition_config_selectorILNS1_17partition_subalgoE4EjNS0_10empty_typeEbEEZZNS1_14partition_implILS8_4ELb0ES6_15HIP_vector_typeIjLj2EENS0_17counting_iteratorIjlEEPS9_SG_NS0_5tupleIJPjSI_NS0_16reverse_iteratorISI_EEEEENSH_IJSG_SG_SG_EEES9_SI_JZNS1_25segmented_radix_sort_implINS0_14default_configELb1EPKhPhPKlPlN2at6native12_GLOBAL__N_18offset_tEEE10hipError_tPvRmT1_PNSt15iterator_traitsIS12_E10value_typeET2_T3_PNS13_IS18_E10value_typeET4_jRbjT5_S1E_jjP12ihipStream_tbEUljE_ZNSN_ISO_Lb1ESQ_SR_ST_SU_SY_EESZ_S10_S11_S12_S16_S17_S18_S1B_S1C_jS1D_jS1E_S1E_jjS1G_bEUljE0_EEESZ_S10_S11_S18_S1C_S1E_T6_T7_T9_mT8_S1G_bDpT10_ENKUlT_T0_E_clISt17integral_constantIbLb1EES1U_EEDaS1P_S1Q_EUlS1P_E_NS1_11comp_targetILNS1_3genE3ELNS1_11target_archE908ELNS1_3gpuE7ELNS1_3repE0EEENS1_30default_config_static_selectorELNS0_4arch9wavefront6targetE0EEEvS12_.num_named_barrier, 0
	.set _ZN7rocprim17ROCPRIM_400000_NS6detail17trampoline_kernelINS0_13select_configILj256ELj13ELNS0_17block_load_methodE3ELS4_3ELS4_3ELNS0_20block_scan_algorithmE0ELj4294967295EEENS1_25partition_config_selectorILNS1_17partition_subalgoE4EjNS0_10empty_typeEbEEZZNS1_14partition_implILS8_4ELb0ES6_15HIP_vector_typeIjLj2EENS0_17counting_iteratorIjlEEPS9_SG_NS0_5tupleIJPjSI_NS0_16reverse_iteratorISI_EEEEENSH_IJSG_SG_SG_EEES9_SI_JZNS1_25segmented_radix_sort_implINS0_14default_configELb1EPKhPhPKlPlN2at6native12_GLOBAL__N_18offset_tEEE10hipError_tPvRmT1_PNSt15iterator_traitsIS12_E10value_typeET2_T3_PNS13_IS18_E10value_typeET4_jRbjT5_S1E_jjP12ihipStream_tbEUljE_ZNSN_ISO_Lb1ESQ_SR_ST_SU_SY_EESZ_S10_S11_S12_S16_S17_S18_S1B_S1C_jS1D_jS1E_S1E_jjS1G_bEUljE0_EEESZ_S10_S11_S18_S1C_S1E_T6_T7_T9_mT8_S1G_bDpT10_ENKUlT_T0_E_clISt17integral_constantIbLb1EES1U_EEDaS1P_S1Q_EUlS1P_E_NS1_11comp_targetILNS1_3genE3ELNS1_11target_archE908ELNS1_3gpuE7ELNS1_3repE0EEENS1_30default_config_static_selectorELNS0_4arch9wavefront6targetE0EEEvS12_.private_seg_size, 0
	.set _ZN7rocprim17ROCPRIM_400000_NS6detail17trampoline_kernelINS0_13select_configILj256ELj13ELNS0_17block_load_methodE3ELS4_3ELS4_3ELNS0_20block_scan_algorithmE0ELj4294967295EEENS1_25partition_config_selectorILNS1_17partition_subalgoE4EjNS0_10empty_typeEbEEZZNS1_14partition_implILS8_4ELb0ES6_15HIP_vector_typeIjLj2EENS0_17counting_iteratorIjlEEPS9_SG_NS0_5tupleIJPjSI_NS0_16reverse_iteratorISI_EEEEENSH_IJSG_SG_SG_EEES9_SI_JZNS1_25segmented_radix_sort_implINS0_14default_configELb1EPKhPhPKlPlN2at6native12_GLOBAL__N_18offset_tEEE10hipError_tPvRmT1_PNSt15iterator_traitsIS12_E10value_typeET2_T3_PNS13_IS18_E10value_typeET4_jRbjT5_S1E_jjP12ihipStream_tbEUljE_ZNSN_ISO_Lb1ESQ_SR_ST_SU_SY_EESZ_S10_S11_S12_S16_S17_S18_S1B_S1C_jS1D_jS1E_S1E_jjS1G_bEUljE0_EEESZ_S10_S11_S18_S1C_S1E_T6_T7_T9_mT8_S1G_bDpT10_ENKUlT_T0_E_clISt17integral_constantIbLb1EES1U_EEDaS1P_S1Q_EUlS1P_E_NS1_11comp_targetILNS1_3genE3ELNS1_11target_archE908ELNS1_3gpuE7ELNS1_3repE0EEENS1_30default_config_static_selectorELNS0_4arch9wavefront6targetE0EEEvS12_.uses_vcc, 0
	.set _ZN7rocprim17ROCPRIM_400000_NS6detail17trampoline_kernelINS0_13select_configILj256ELj13ELNS0_17block_load_methodE3ELS4_3ELS4_3ELNS0_20block_scan_algorithmE0ELj4294967295EEENS1_25partition_config_selectorILNS1_17partition_subalgoE4EjNS0_10empty_typeEbEEZZNS1_14partition_implILS8_4ELb0ES6_15HIP_vector_typeIjLj2EENS0_17counting_iteratorIjlEEPS9_SG_NS0_5tupleIJPjSI_NS0_16reverse_iteratorISI_EEEEENSH_IJSG_SG_SG_EEES9_SI_JZNS1_25segmented_radix_sort_implINS0_14default_configELb1EPKhPhPKlPlN2at6native12_GLOBAL__N_18offset_tEEE10hipError_tPvRmT1_PNSt15iterator_traitsIS12_E10value_typeET2_T3_PNS13_IS18_E10value_typeET4_jRbjT5_S1E_jjP12ihipStream_tbEUljE_ZNSN_ISO_Lb1ESQ_SR_ST_SU_SY_EESZ_S10_S11_S12_S16_S17_S18_S1B_S1C_jS1D_jS1E_S1E_jjS1G_bEUljE0_EEESZ_S10_S11_S18_S1C_S1E_T6_T7_T9_mT8_S1G_bDpT10_ENKUlT_T0_E_clISt17integral_constantIbLb1EES1U_EEDaS1P_S1Q_EUlS1P_E_NS1_11comp_targetILNS1_3genE3ELNS1_11target_archE908ELNS1_3gpuE7ELNS1_3repE0EEENS1_30default_config_static_selectorELNS0_4arch9wavefront6targetE0EEEvS12_.uses_flat_scratch, 0
	.set _ZN7rocprim17ROCPRIM_400000_NS6detail17trampoline_kernelINS0_13select_configILj256ELj13ELNS0_17block_load_methodE3ELS4_3ELS4_3ELNS0_20block_scan_algorithmE0ELj4294967295EEENS1_25partition_config_selectorILNS1_17partition_subalgoE4EjNS0_10empty_typeEbEEZZNS1_14partition_implILS8_4ELb0ES6_15HIP_vector_typeIjLj2EENS0_17counting_iteratorIjlEEPS9_SG_NS0_5tupleIJPjSI_NS0_16reverse_iteratorISI_EEEEENSH_IJSG_SG_SG_EEES9_SI_JZNS1_25segmented_radix_sort_implINS0_14default_configELb1EPKhPhPKlPlN2at6native12_GLOBAL__N_18offset_tEEE10hipError_tPvRmT1_PNSt15iterator_traitsIS12_E10value_typeET2_T3_PNS13_IS18_E10value_typeET4_jRbjT5_S1E_jjP12ihipStream_tbEUljE_ZNSN_ISO_Lb1ESQ_SR_ST_SU_SY_EESZ_S10_S11_S12_S16_S17_S18_S1B_S1C_jS1D_jS1E_S1E_jjS1G_bEUljE0_EEESZ_S10_S11_S18_S1C_S1E_T6_T7_T9_mT8_S1G_bDpT10_ENKUlT_T0_E_clISt17integral_constantIbLb1EES1U_EEDaS1P_S1Q_EUlS1P_E_NS1_11comp_targetILNS1_3genE3ELNS1_11target_archE908ELNS1_3gpuE7ELNS1_3repE0EEENS1_30default_config_static_selectorELNS0_4arch9wavefront6targetE0EEEvS12_.has_dyn_sized_stack, 0
	.set _ZN7rocprim17ROCPRIM_400000_NS6detail17trampoline_kernelINS0_13select_configILj256ELj13ELNS0_17block_load_methodE3ELS4_3ELS4_3ELNS0_20block_scan_algorithmE0ELj4294967295EEENS1_25partition_config_selectorILNS1_17partition_subalgoE4EjNS0_10empty_typeEbEEZZNS1_14partition_implILS8_4ELb0ES6_15HIP_vector_typeIjLj2EENS0_17counting_iteratorIjlEEPS9_SG_NS0_5tupleIJPjSI_NS0_16reverse_iteratorISI_EEEEENSH_IJSG_SG_SG_EEES9_SI_JZNS1_25segmented_radix_sort_implINS0_14default_configELb1EPKhPhPKlPlN2at6native12_GLOBAL__N_18offset_tEEE10hipError_tPvRmT1_PNSt15iterator_traitsIS12_E10value_typeET2_T3_PNS13_IS18_E10value_typeET4_jRbjT5_S1E_jjP12ihipStream_tbEUljE_ZNSN_ISO_Lb1ESQ_SR_ST_SU_SY_EESZ_S10_S11_S12_S16_S17_S18_S1B_S1C_jS1D_jS1E_S1E_jjS1G_bEUljE0_EEESZ_S10_S11_S18_S1C_S1E_T6_T7_T9_mT8_S1G_bDpT10_ENKUlT_T0_E_clISt17integral_constantIbLb1EES1U_EEDaS1P_S1Q_EUlS1P_E_NS1_11comp_targetILNS1_3genE3ELNS1_11target_archE908ELNS1_3gpuE7ELNS1_3repE0EEENS1_30default_config_static_selectorELNS0_4arch9wavefront6targetE0EEEvS12_.has_recursion, 0
	.set _ZN7rocprim17ROCPRIM_400000_NS6detail17trampoline_kernelINS0_13select_configILj256ELj13ELNS0_17block_load_methodE3ELS4_3ELS4_3ELNS0_20block_scan_algorithmE0ELj4294967295EEENS1_25partition_config_selectorILNS1_17partition_subalgoE4EjNS0_10empty_typeEbEEZZNS1_14partition_implILS8_4ELb0ES6_15HIP_vector_typeIjLj2EENS0_17counting_iteratorIjlEEPS9_SG_NS0_5tupleIJPjSI_NS0_16reverse_iteratorISI_EEEEENSH_IJSG_SG_SG_EEES9_SI_JZNS1_25segmented_radix_sort_implINS0_14default_configELb1EPKhPhPKlPlN2at6native12_GLOBAL__N_18offset_tEEE10hipError_tPvRmT1_PNSt15iterator_traitsIS12_E10value_typeET2_T3_PNS13_IS18_E10value_typeET4_jRbjT5_S1E_jjP12ihipStream_tbEUljE_ZNSN_ISO_Lb1ESQ_SR_ST_SU_SY_EESZ_S10_S11_S12_S16_S17_S18_S1B_S1C_jS1D_jS1E_S1E_jjS1G_bEUljE0_EEESZ_S10_S11_S18_S1C_S1E_T6_T7_T9_mT8_S1G_bDpT10_ENKUlT_T0_E_clISt17integral_constantIbLb1EES1U_EEDaS1P_S1Q_EUlS1P_E_NS1_11comp_targetILNS1_3genE3ELNS1_11target_archE908ELNS1_3gpuE7ELNS1_3repE0EEENS1_30default_config_static_selectorELNS0_4arch9wavefront6targetE0EEEvS12_.has_indirect_call, 0
	.section	.AMDGPU.csdata,"",@progbits
; Kernel info:
; codeLenInByte = 0
; TotalNumSgprs: 0
; NumVgprs: 0
; ScratchSize: 0
; MemoryBound: 0
; FloatMode: 240
; IeeeMode: 1
; LDSByteSize: 0 bytes/workgroup (compile time only)
; SGPRBlocks: 0
; VGPRBlocks: 0
; NumSGPRsForWavesPerEU: 1
; NumVGPRsForWavesPerEU: 1
; Occupancy: 16
; WaveLimiterHint : 0
; COMPUTE_PGM_RSRC2:SCRATCH_EN: 0
; COMPUTE_PGM_RSRC2:USER_SGPR: 2
; COMPUTE_PGM_RSRC2:TRAP_HANDLER: 0
; COMPUTE_PGM_RSRC2:TGID_X_EN: 1
; COMPUTE_PGM_RSRC2:TGID_Y_EN: 0
; COMPUTE_PGM_RSRC2:TGID_Z_EN: 0
; COMPUTE_PGM_RSRC2:TIDIG_COMP_CNT: 0
	.section	.text._ZN7rocprim17ROCPRIM_400000_NS6detail17trampoline_kernelINS0_13select_configILj256ELj13ELNS0_17block_load_methodE3ELS4_3ELS4_3ELNS0_20block_scan_algorithmE0ELj4294967295EEENS1_25partition_config_selectorILNS1_17partition_subalgoE4EjNS0_10empty_typeEbEEZZNS1_14partition_implILS8_4ELb0ES6_15HIP_vector_typeIjLj2EENS0_17counting_iteratorIjlEEPS9_SG_NS0_5tupleIJPjSI_NS0_16reverse_iteratorISI_EEEEENSH_IJSG_SG_SG_EEES9_SI_JZNS1_25segmented_radix_sort_implINS0_14default_configELb1EPKhPhPKlPlN2at6native12_GLOBAL__N_18offset_tEEE10hipError_tPvRmT1_PNSt15iterator_traitsIS12_E10value_typeET2_T3_PNS13_IS18_E10value_typeET4_jRbjT5_S1E_jjP12ihipStream_tbEUljE_ZNSN_ISO_Lb1ESQ_SR_ST_SU_SY_EESZ_S10_S11_S12_S16_S17_S18_S1B_S1C_jS1D_jS1E_S1E_jjS1G_bEUljE0_EEESZ_S10_S11_S18_S1C_S1E_T6_T7_T9_mT8_S1G_bDpT10_ENKUlT_T0_E_clISt17integral_constantIbLb1EES1U_EEDaS1P_S1Q_EUlS1P_E_NS1_11comp_targetILNS1_3genE2ELNS1_11target_archE906ELNS1_3gpuE6ELNS1_3repE0EEENS1_30default_config_static_selectorELNS0_4arch9wavefront6targetE0EEEvS12_,"axG",@progbits,_ZN7rocprim17ROCPRIM_400000_NS6detail17trampoline_kernelINS0_13select_configILj256ELj13ELNS0_17block_load_methodE3ELS4_3ELS4_3ELNS0_20block_scan_algorithmE0ELj4294967295EEENS1_25partition_config_selectorILNS1_17partition_subalgoE4EjNS0_10empty_typeEbEEZZNS1_14partition_implILS8_4ELb0ES6_15HIP_vector_typeIjLj2EENS0_17counting_iteratorIjlEEPS9_SG_NS0_5tupleIJPjSI_NS0_16reverse_iteratorISI_EEEEENSH_IJSG_SG_SG_EEES9_SI_JZNS1_25segmented_radix_sort_implINS0_14default_configELb1EPKhPhPKlPlN2at6native12_GLOBAL__N_18offset_tEEE10hipError_tPvRmT1_PNSt15iterator_traitsIS12_E10value_typeET2_T3_PNS13_IS18_E10value_typeET4_jRbjT5_S1E_jjP12ihipStream_tbEUljE_ZNSN_ISO_Lb1ESQ_SR_ST_SU_SY_EESZ_S10_S11_S12_S16_S17_S18_S1B_S1C_jS1D_jS1E_S1E_jjS1G_bEUljE0_EEESZ_S10_S11_S18_S1C_S1E_T6_T7_T9_mT8_S1G_bDpT10_ENKUlT_T0_E_clISt17integral_constantIbLb1EES1U_EEDaS1P_S1Q_EUlS1P_E_NS1_11comp_targetILNS1_3genE2ELNS1_11target_archE906ELNS1_3gpuE6ELNS1_3repE0EEENS1_30default_config_static_selectorELNS0_4arch9wavefront6targetE0EEEvS12_,comdat
	.globl	_ZN7rocprim17ROCPRIM_400000_NS6detail17trampoline_kernelINS0_13select_configILj256ELj13ELNS0_17block_load_methodE3ELS4_3ELS4_3ELNS0_20block_scan_algorithmE0ELj4294967295EEENS1_25partition_config_selectorILNS1_17partition_subalgoE4EjNS0_10empty_typeEbEEZZNS1_14partition_implILS8_4ELb0ES6_15HIP_vector_typeIjLj2EENS0_17counting_iteratorIjlEEPS9_SG_NS0_5tupleIJPjSI_NS0_16reverse_iteratorISI_EEEEENSH_IJSG_SG_SG_EEES9_SI_JZNS1_25segmented_radix_sort_implINS0_14default_configELb1EPKhPhPKlPlN2at6native12_GLOBAL__N_18offset_tEEE10hipError_tPvRmT1_PNSt15iterator_traitsIS12_E10value_typeET2_T3_PNS13_IS18_E10value_typeET4_jRbjT5_S1E_jjP12ihipStream_tbEUljE_ZNSN_ISO_Lb1ESQ_SR_ST_SU_SY_EESZ_S10_S11_S12_S16_S17_S18_S1B_S1C_jS1D_jS1E_S1E_jjS1G_bEUljE0_EEESZ_S10_S11_S18_S1C_S1E_T6_T7_T9_mT8_S1G_bDpT10_ENKUlT_T0_E_clISt17integral_constantIbLb1EES1U_EEDaS1P_S1Q_EUlS1P_E_NS1_11comp_targetILNS1_3genE2ELNS1_11target_archE906ELNS1_3gpuE6ELNS1_3repE0EEENS1_30default_config_static_selectorELNS0_4arch9wavefront6targetE0EEEvS12_ ; -- Begin function _ZN7rocprim17ROCPRIM_400000_NS6detail17trampoline_kernelINS0_13select_configILj256ELj13ELNS0_17block_load_methodE3ELS4_3ELS4_3ELNS0_20block_scan_algorithmE0ELj4294967295EEENS1_25partition_config_selectorILNS1_17partition_subalgoE4EjNS0_10empty_typeEbEEZZNS1_14partition_implILS8_4ELb0ES6_15HIP_vector_typeIjLj2EENS0_17counting_iteratorIjlEEPS9_SG_NS0_5tupleIJPjSI_NS0_16reverse_iteratorISI_EEEEENSH_IJSG_SG_SG_EEES9_SI_JZNS1_25segmented_radix_sort_implINS0_14default_configELb1EPKhPhPKlPlN2at6native12_GLOBAL__N_18offset_tEEE10hipError_tPvRmT1_PNSt15iterator_traitsIS12_E10value_typeET2_T3_PNS13_IS18_E10value_typeET4_jRbjT5_S1E_jjP12ihipStream_tbEUljE_ZNSN_ISO_Lb1ESQ_SR_ST_SU_SY_EESZ_S10_S11_S12_S16_S17_S18_S1B_S1C_jS1D_jS1E_S1E_jjS1G_bEUljE0_EEESZ_S10_S11_S18_S1C_S1E_T6_T7_T9_mT8_S1G_bDpT10_ENKUlT_T0_E_clISt17integral_constantIbLb1EES1U_EEDaS1P_S1Q_EUlS1P_E_NS1_11comp_targetILNS1_3genE2ELNS1_11target_archE906ELNS1_3gpuE6ELNS1_3repE0EEENS1_30default_config_static_selectorELNS0_4arch9wavefront6targetE0EEEvS12_
	.p2align	8
	.type	_ZN7rocprim17ROCPRIM_400000_NS6detail17trampoline_kernelINS0_13select_configILj256ELj13ELNS0_17block_load_methodE3ELS4_3ELS4_3ELNS0_20block_scan_algorithmE0ELj4294967295EEENS1_25partition_config_selectorILNS1_17partition_subalgoE4EjNS0_10empty_typeEbEEZZNS1_14partition_implILS8_4ELb0ES6_15HIP_vector_typeIjLj2EENS0_17counting_iteratorIjlEEPS9_SG_NS0_5tupleIJPjSI_NS0_16reverse_iteratorISI_EEEEENSH_IJSG_SG_SG_EEES9_SI_JZNS1_25segmented_radix_sort_implINS0_14default_configELb1EPKhPhPKlPlN2at6native12_GLOBAL__N_18offset_tEEE10hipError_tPvRmT1_PNSt15iterator_traitsIS12_E10value_typeET2_T3_PNS13_IS18_E10value_typeET4_jRbjT5_S1E_jjP12ihipStream_tbEUljE_ZNSN_ISO_Lb1ESQ_SR_ST_SU_SY_EESZ_S10_S11_S12_S16_S17_S18_S1B_S1C_jS1D_jS1E_S1E_jjS1G_bEUljE0_EEESZ_S10_S11_S18_S1C_S1E_T6_T7_T9_mT8_S1G_bDpT10_ENKUlT_T0_E_clISt17integral_constantIbLb1EES1U_EEDaS1P_S1Q_EUlS1P_E_NS1_11comp_targetILNS1_3genE2ELNS1_11target_archE906ELNS1_3gpuE6ELNS1_3repE0EEENS1_30default_config_static_selectorELNS0_4arch9wavefront6targetE0EEEvS12_,@function
_ZN7rocprim17ROCPRIM_400000_NS6detail17trampoline_kernelINS0_13select_configILj256ELj13ELNS0_17block_load_methodE3ELS4_3ELS4_3ELNS0_20block_scan_algorithmE0ELj4294967295EEENS1_25partition_config_selectorILNS1_17partition_subalgoE4EjNS0_10empty_typeEbEEZZNS1_14partition_implILS8_4ELb0ES6_15HIP_vector_typeIjLj2EENS0_17counting_iteratorIjlEEPS9_SG_NS0_5tupleIJPjSI_NS0_16reverse_iteratorISI_EEEEENSH_IJSG_SG_SG_EEES9_SI_JZNS1_25segmented_radix_sort_implINS0_14default_configELb1EPKhPhPKlPlN2at6native12_GLOBAL__N_18offset_tEEE10hipError_tPvRmT1_PNSt15iterator_traitsIS12_E10value_typeET2_T3_PNS13_IS18_E10value_typeET4_jRbjT5_S1E_jjP12ihipStream_tbEUljE_ZNSN_ISO_Lb1ESQ_SR_ST_SU_SY_EESZ_S10_S11_S12_S16_S17_S18_S1B_S1C_jS1D_jS1E_S1E_jjS1G_bEUljE0_EEESZ_S10_S11_S18_S1C_S1E_T6_T7_T9_mT8_S1G_bDpT10_ENKUlT_T0_E_clISt17integral_constantIbLb1EES1U_EEDaS1P_S1Q_EUlS1P_E_NS1_11comp_targetILNS1_3genE2ELNS1_11target_archE906ELNS1_3gpuE6ELNS1_3repE0EEENS1_30default_config_static_selectorELNS0_4arch9wavefront6targetE0EEEvS12_: ; @_ZN7rocprim17ROCPRIM_400000_NS6detail17trampoline_kernelINS0_13select_configILj256ELj13ELNS0_17block_load_methodE3ELS4_3ELS4_3ELNS0_20block_scan_algorithmE0ELj4294967295EEENS1_25partition_config_selectorILNS1_17partition_subalgoE4EjNS0_10empty_typeEbEEZZNS1_14partition_implILS8_4ELb0ES6_15HIP_vector_typeIjLj2EENS0_17counting_iteratorIjlEEPS9_SG_NS0_5tupleIJPjSI_NS0_16reverse_iteratorISI_EEEEENSH_IJSG_SG_SG_EEES9_SI_JZNS1_25segmented_radix_sort_implINS0_14default_configELb1EPKhPhPKlPlN2at6native12_GLOBAL__N_18offset_tEEE10hipError_tPvRmT1_PNSt15iterator_traitsIS12_E10value_typeET2_T3_PNS13_IS18_E10value_typeET4_jRbjT5_S1E_jjP12ihipStream_tbEUljE_ZNSN_ISO_Lb1ESQ_SR_ST_SU_SY_EESZ_S10_S11_S12_S16_S17_S18_S1B_S1C_jS1D_jS1E_S1E_jjS1G_bEUljE0_EEESZ_S10_S11_S18_S1C_S1E_T6_T7_T9_mT8_S1G_bDpT10_ENKUlT_T0_E_clISt17integral_constantIbLb1EES1U_EEDaS1P_S1Q_EUlS1P_E_NS1_11comp_targetILNS1_3genE2ELNS1_11target_archE906ELNS1_3gpuE6ELNS1_3repE0EEENS1_30default_config_static_selectorELNS0_4arch9wavefront6targetE0EEEvS12_
; %bb.0:
	.section	.rodata,"a",@progbits
	.p2align	6, 0x0
	.amdhsa_kernel _ZN7rocprim17ROCPRIM_400000_NS6detail17trampoline_kernelINS0_13select_configILj256ELj13ELNS0_17block_load_methodE3ELS4_3ELS4_3ELNS0_20block_scan_algorithmE0ELj4294967295EEENS1_25partition_config_selectorILNS1_17partition_subalgoE4EjNS0_10empty_typeEbEEZZNS1_14partition_implILS8_4ELb0ES6_15HIP_vector_typeIjLj2EENS0_17counting_iteratorIjlEEPS9_SG_NS0_5tupleIJPjSI_NS0_16reverse_iteratorISI_EEEEENSH_IJSG_SG_SG_EEES9_SI_JZNS1_25segmented_radix_sort_implINS0_14default_configELb1EPKhPhPKlPlN2at6native12_GLOBAL__N_18offset_tEEE10hipError_tPvRmT1_PNSt15iterator_traitsIS12_E10value_typeET2_T3_PNS13_IS18_E10value_typeET4_jRbjT5_S1E_jjP12ihipStream_tbEUljE_ZNSN_ISO_Lb1ESQ_SR_ST_SU_SY_EESZ_S10_S11_S12_S16_S17_S18_S1B_S1C_jS1D_jS1E_S1E_jjS1G_bEUljE0_EEESZ_S10_S11_S18_S1C_S1E_T6_T7_T9_mT8_S1G_bDpT10_ENKUlT_T0_E_clISt17integral_constantIbLb1EES1U_EEDaS1P_S1Q_EUlS1P_E_NS1_11comp_targetILNS1_3genE2ELNS1_11target_archE906ELNS1_3gpuE6ELNS1_3repE0EEENS1_30default_config_static_selectorELNS0_4arch9wavefront6targetE0EEEvS12_
		.amdhsa_group_segment_fixed_size 0
		.amdhsa_private_segment_fixed_size 0
		.amdhsa_kernarg_size 184
		.amdhsa_user_sgpr_count 2
		.amdhsa_user_sgpr_dispatch_ptr 0
		.amdhsa_user_sgpr_queue_ptr 0
		.amdhsa_user_sgpr_kernarg_segment_ptr 1
		.amdhsa_user_sgpr_dispatch_id 0
		.amdhsa_user_sgpr_private_segment_size 0
		.amdhsa_wavefront_size32 1
		.amdhsa_uses_dynamic_stack 0
		.amdhsa_enable_private_segment 0
		.amdhsa_system_sgpr_workgroup_id_x 1
		.amdhsa_system_sgpr_workgroup_id_y 0
		.amdhsa_system_sgpr_workgroup_id_z 0
		.amdhsa_system_sgpr_workgroup_info 0
		.amdhsa_system_vgpr_workitem_id 0
		.amdhsa_next_free_vgpr 1
		.amdhsa_next_free_sgpr 1
		.amdhsa_reserve_vcc 0
		.amdhsa_float_round_mode_32 0
		.amdhsa_float_round_mode_16_64 0
		.amdhsa_float_denorm_mode_32 3
		.amdhsa_float_denorm_mode_16_64 3
		.amdhsa_fp16_overflow 0
		.amdhsa_workgroup_processor_mode 1
		.amdhsa_memory_ordered 1
		.amdhsa_forward_progress 1
		.amdhsa_inst_pref_size 0
		.amdhsa_round_robin_scheduling 0
		.amdhsa_exception_fp_ieee_invalid_op 0
		.amdhsa_exception_fp_denorm_src 0
		.amdhsa_exception_fp_ieee_div_zero 0
		.amdhsa_exception_fp_ieee_overflow 0
		.amdhsa_exception_fp_ieee_underflow 0
		.amdhsa_exception_fp_ieee_inexact 0
		.amdhsa_exception_int_div_zero 0
	.end_amdhsa_kernel
	.section	.text._ZN7rocprim17ROCPRIM_400000_NS6detail17trampoline_kernelINS0_13select_configILj256ELj13ELNS0_17block_load_methodE3ELS4_3ELS4_3ELNS0_20block_scan_algorithmE0ELj4294967295EEENS1_25partition_config_selectorILNS1_17partition_subalgoE4EjNS0_10empty_typeEbEEZZNS1_14partition_implILS8_4ELb0ES6_15HIP_vector_typeIjLj2EENS0_17counting_iteratorIjlEEPS9_SG_NS0_5tupleIJPjSI_NS0_16reverse_iteratorISI_EEEEENSH_IJSG_SG_SG_EEES9_SI_JZNS1_25segmented_radix_sort_implINS0_14default_configELb1EPKhPhPKlPlN2at6native12_GLOBAL__N_18offset_tEEE10hipError_tPvRmT1_PNSt15iterator_traitsIS12_E10value_typeET2_T3_PNS13_IS18_E10value_typeET4_jRbjT5_S1E_jjP12ihipStream_tbEUljE_ZNSN_ISO_Lb1ESQ_SR_ST_SU_SY_EESZ_S10_S11_S12_S16_S17_S18_S1B_S1C_jS1D_jS1E_S1E_jjS1G_bEUljE0_EEESZ_S10_S11_S18_S1C_S1E_T6_T7_T9_mT8_S1G_bDpT10_ENKUlT_T0_E_clISt17integral_constantIbLb1EES1U_EEDaS1P_S1Q_EUlS1P_E_NS1_11comp_targetILNS1_3genE2ELNS1_11target_archE906ELNS1_3gpuE6ELNS1_3repE0EEENS1_30default_config_static_selectorELNS0_4arch9wavefront6targetE0EEEvS12_,"axG",@progbits,_ZN7rocprim17ROCPRIM_400000_NS6detail17trampoline_kernelINS0_13select_configILj256ELj13ELNS0_17block_load_methodE3ELS4_3ELS4_3ELNS0_20block_scan_algorithmE0ELj4294967295EEENS1_25partition_config_selectorILNS1_17partition_subalgoE4EjNS0_10empty_typeEbEEZZNS1_14partition_implILS8_4ELb0ES6_15HIP_vector_typeIjLj2EENS0_17counting_iteratorIjlEEPS9_SG_NS0_5tupleIJPjSI_NS0_16reverse_iteratorISI_EEEEENSH_IJSG_SG_SG_EEES9_SI_JZNS1_25segmented_radix_sort_implINS0_14default_configELb1EPKhPhPKlPlN2at6native12_GLOBAL__N_18offset_tEEE10hipError_tPvRmT1_PNSt15iterator_traitsIS12_E10value_typeET2_T3_PNS13_IS18_E10value_typeET4_jRbjT5_S1E_jjP12ihipStream_tbEUljE_ZNSN_ISO_Lb1ESQ_SR_ST_SU_SY_EESZ_S10_S11_S12_S16_S17_S18_S1B_S1C_jS1D_jS1E_S1E_jjS1G_bEUljE0_EEESZ_S10_S11_S18_S1C_S1E_T6_T7_T9_mT8_S1G_bDpT10_ENKUlT_T0_E_clISt17integral_constantIbLb1EES1U_EEDaS1P_S1Q_EUlS1P_E_NS1_11comp_targetILNS1_3genE2ELNS1_11target_archE906ELNS1_3gpuE6ELNS1_3repE0EEENS1_30default_config_static_selectorELNS0_4arch9wavefront6targetE0EEEvS12_,comdat
.Lfunc_end25:
	.size	_ZN7rocprim17ROCPRIM_400000_NS6detail17trampoline_kernelINS0_13select_configILj256ELj13ELNS0_17block_load_methodE3ELS4_3ELS4_3ELNS0_20block_scan_algorithmE0ELj4294967295EEENS1_25partition_config_selectorILNS1_17partition_subalgoE4EjNS0_10empty_typeEbEEZZNS1_14partition_implILS8_4ELb0ES6_15HIP_vector_typeIjLj2EENS0_17counting_iteratorIjlEEPS9_SG_NS0_5tupleIJPjSI_NS0_16reverse_iteratorISI_EEEEENSH_IJSG_SG_SG_EEES9_SI_JZNS1_25segmented_radix_sort_implINS0_14default_configELb1EPKhPhPKlPlN2at6native12_GLOBAL__N_18offset_tEEE10hipError_tPvRmT1_PNSt15iterator_traitsIS12_E10value_typeET2_T3_PNS13_IS18_E10value_typeET4_jRbjT5_S1E_jjP12ihipStream_tbEUljE_ZNSN_ISO_Lb1ESQ_SR_ST_SU_SY_EESZ_S10_S11_S12_S16_S17_S18_S1B_S1C_jS1D_jS1E_S1E_jjS1G_bEUljE0_EEESZ_S10_S11_S18_S1C_S1E_T6_T7_T9_mT8_S1G_bDpT10_ENKUlT_T0_E_clISt17integral_constantIbLb1EES1U_EEDaS1P_S1Q_EUlS1P_E_NS1_11comp_targetILNS1_3genE2ELNS1_11target_archE906ELNS1_3gpuE6ELNS1_3repE0EEENS1_30default_config_static_selectorELNS0_4arch9wavefront6targetE0EEEvS12_, .Lfunc_end25-_ZN7rocprim17ROCPRIM_400000_NS6detail17trampoline_kernelINS0_13select_configILj256ELj13ELNS0_17block_load_methodE3ELS4_3ELS4_3ELNS0_20block_scan_algorithmE0ELj4294967295EEENS1_25partition_config_selectorILNS1_17partition_subalgoE4EjNS0_10empty_typeEbEEZZNS1_14partition_implILS8_4ELb0ES6_15HIP_vector_typeIjLj2EENS0_17counting_iteratorIjlEEPS9_SG_NS0_5tupleIJPjSI_NS0_16reverse_iteratorISI_EEEEENSH_IJSG_SG_SG_EEES9_SI_JZNS1_25segmented_radix_sort_implINS0_14default_configELb1EPKhPhPKlPlN2at6native12_GLOBAL__N_18offset_tEEE10hipError_tPvRmT1_PNSt15iterator_traitsIS12_E10value_typeET2_T3_PNS13_IS18_E10value_typeET4_jRbjT5_S1E_jjP12ihipStream_tbEUljE_ZNSN_ISO_Lb1ESQ_SR_ST_SU_SY_EESZ_S10_S11_S12_S16_S17_S18_S1B_S1C_jS1D_jS1E_S1E_jjS1G_bEUljE0_EEESZ_S10_S11_S18_S1C_S1E_T6_T7_T9_mT8_S1G_bDpT10_ENKUlT_T0_E_clISt17integral_constantIbLb1EES1U_EEDaS1P_S1Q_EUlS1P_E_NS1_11comp_targetILNS1_3genE2ELNS1_11target_archE906ELNS1_3gpuE6ELNS1_3repE0EEENS1_30default_config_static_selectorELNS0_4arch9wavefront6targetE0EEEvS12_
                                        ; -- End function
	.set _ZN7rocprim17ROCPRIM_400000_NS6detail17trampoline_kernelINS0_13select_configILj256ELj13ELNS0_17block_load_methodE3ELS4_3ELS4_3ELNS0_20block_scan_algorithmE0ELj4294967295EEENS1_25partition_config_selectorILNS1_17partition_subalgoE4EjNS0_10empty_typeEbEEZZNS1_14partition_implILS8_4ELb0ES6_15HIP_vector_typeIjLj2EENS0_17counting_iteratorIjlEEPS9_SG_NS0_5tupleIJPjSI_NS0_16reverse_iteratorISI_EEEEENSH_IJSG_SG_SG_EEES9_SI_JZNS1_25segmented_radix_sort_implINS0_14default_configELb1EPKhPhPKlPlN2at6native12_GLOBAL__N_18offset_tEEE10hipError_tPvRmT1_PNSt15iterator_traitsIS12_E10value_typeET2_T3_PNS13_IS18_E10value_typeET4_jRbjT5_S1E_jjP12ihipStream_tbEUljE_ZNSN_ISO_Lb1ESQ_SR_ST_SU_SY_EESZ_S10_S11_S12_S16_S17_S18_S1B_S1C_jS1D_jS1E_S1E_jjS1G_bEUljE0_EEESZ_S10_S11_S18_S1C_S1E_T6_T7_T9_mT8_S1G_bDpT10_ENKUlT_T0_E_clISt17integral_constantIbLb1EES1U_EEDaS1P_S1Q_EUlS1P_E_NS1_11comp_targetILNS1_3genE2ELNS1_11target_archE906ELNS1_3gpuE6ELNS1_3repE0EEENS1_30default_config_static_selectorELNS0_4arch9wavefront6targetE0EEEvS12_.num_vgpr, 0
	.set _ZN7rocprim17ROCPRIM_400000_NS6detail17trampoline_kernelINS0_13select_configILj256ELj13ELNS0_17block_load_methodE3ELS4_3ELS4_3ELNS0_20block_scan_algorithmE0ELj4294967295EEENS1_25partition_config_selectorILNS1_17partition_subalgoE4EjNS0_10empty_typeEbEEZZNS1_14partition_implILS8_4ELb0ES6_15HIP_vector_typeIjLj2EENS0_17counting_iteratorIjlEEPS9_SG_NS0_5tupleIJPjSI_NS0_16reverse_iteratorISI_EEEEENSH_IJSG_SG_SG_EEES9_SI_JZNS1_25segmented_radix_sort_implINS0_14default_configELb1EPKhPhPKlPlN2at6native12_GLOBAL__N_18offset_tEEE10hipError_tPvRmT1_PNSt15iterator_traitsIS12_E10value_typeET2_T3_PNS13_IS18_E10value_typeET4_jRbjT5_S1E_jjP12ihipStream_tbEUljE_ZNSN_ISO_Lb1ESQ_SR_ST_SU_SY_EESZ_S10_S11_S12_S16_S17_S18_S1B_S1C_jS1D_jS1E_S1E_jjS1G_bEUljE0_EEESZ_S10_S11_S18_S1C_S1E_T6_T7_T9_mT8_S1G_bDpT10_ENKUlT_T0_E_clISt17integral_constantIbLb1EES1U_EEDaS1P_S1Q_EUlS1P_E_NS1_11comp_targetILNS1_3genE2ELNS1_11target_archE906ELNS1_3gpuE6ELNS1_3repE0EEENS1_30default_config_static_selectorELNS0_4arch9wavefront6targetE0EEEvS12_.num_agpr, 0
	.set _ZN7rocprim17ROCPRIM_400000_NS6detail17trampoline_kernelINS0_13select_configILj256ELj13ELNS0_17block_load_methodE3ELS4_3ELS4_3ELNS0_20block_scan_algorithmE0ELj4294967295EEENS1_25partition_config_selectorILNS1_17partition_subalgoE4EjNS0_10empty_typeEbEEZZNS1_14partition_implILS8_4ELb0ES6_15HIP_vector_typeIjLj2EENS0_17counting_iteratorIjlEEPS9_SG_NS0_5tupleIJPjSI_NS0_16reverse_iteratorISI_EEEEENSH_IJSG_SG_SG_EEES9_SI_JZNS1_25segmented_radix_sort_implINS0_14default_configELb1EPKhPhPKlPlN2at6native12_GLOBAL__N_18offset_tEEE10hipError_tPvRmT1_PNSt15iterator_traitsIS12_E10value_typeET2_T3_PNS13_IS18_E10value_typeET4_jRbjT5_S1E_jjP12ihipStream_tbEUljE_ZNSN_ISO_Lb1ESQ_SR_ST_SU_SY_EESZ_S10_S11_S12_S16_S17_S18_S1B_S1C_jS1D_jS1E_S1E_jjS1G_bEUljE0_EEESZ_S10_S11_S18_S1C_S1E_T6_T7_T9_mT8_S1G_bDpT10_ENKUlT_T0_E_clISt17integral_constantIbLb1EES1U_EEDaS1P_S1Q_EUlS1P_E_NS1_11comp_targetILNS1_3genE2ELNS1_11target_archE906ELNS1_3gpuE6ELNS1_3repE0EEENS1_30default_config_static_selectorELNS0_4arch9wavefront6targetE0EEEvS12_.numbered_sgpr, 0
	.set _ZN7rocprim17ROCPRIM_400000_NS6detail17trampoline_kernelINS0_13select_configILj256ELj13ELNS0_17block_load_methodE3ELS4_3ELS4_3ELNS0_20block_scan_algorithmE0ELj4294967295EEENS1_25partition_config_selectorILNS1_17partition_subalgoE4EjNS0_10empty_typeEbEEZZNS1_14partition_implILS8_4ELb0ES6_15HIP_vector_typeIjLj2EENS0_17counting_iteratorIjlEEPS9_SG_NS0_5tupleIJPjSI_NS0_16reverse_iteratorISI_EEEEENSH_IJSG_SG_SG_EEES9_SI_JZNS1_25segmented_radix_sort_implINS0_14default_configELb1EPKhPhPKlPlN2at6native12_GLOBAL__N_18offset_tEEE10hipError_tPvRmT1_PNSt15iterator_traitsIS12_E10value_typeET2_T3_PNS13_IS18_E10value_typeET4_jRbjT5_S1E_jjP12ihipStream_tbEUljE_ZNSN_ISO_Lb1ESQ_SR_ST_SU_SY_EESZ_S10_S11_S12_S16_S17_S18_S1B_S1C_jS1D_jS1E_S1E_jjS1G_bEUljE0_EEESZ_S10_S11_S18_S1C_S1E_T6_T7_T9_mT8_S1G_bDpT10_ENKUlT_T0_E_clISt17integral_constantIbLb1EES1U_EEDaS1P_S1Q_EUlS1P_E_NS1_11comp_targetILNS1_3genE2ELNS1_11target_archE906ELNS1_3gpuE6ELNS1_3repE0EEENS1_30default_config_static_selectorELNS0_4arch9wavefront6targetE0EEEvS12_.num_named_barrier, 0
	.set _ZN7rocprim17ROCPRIM_400000_NS6detail17trampoline_kernelINS0_13select_configILj256ELj13ELNS0_17block_load_methodE3ELS4_3ELS4_3ELNS0_20block_scan_algorithmE0ELj4294967295EEENS1_25partition_config_selectorILNS1_17partition_subalgoE4EjNS0_10empty_typeEbEEZZNS1_14partition_implILS8_4ELb0ES6_15HIP_vector_typeIjLj2EENS0_17counting_iteratorIjlEEPS9_SG_NS0_5tupleIJPjSI_NS0_16reverse_iteratorISI_EEEEENSH_IJSG_SG_SG_EEES9_SI_JZNS1_25segmented_radix_sort_implINS0_14default_configELb1EPKhPhPKlPlN2at6native12_GLOBAL__N_18offset_tEEE10hipError_tPvRmT1_PNSt15iterator_traitsIS12_E10value_typeET2_T3_PNS13_IS18_E10value_typeET4_jRbjT5_S1E_jjP12ihipStream_tbEUljE_ZNSN_ISO_Lb1ESQ_SR_ST_SU_SY_EESZ_S10_S11_S12_S16_S17_S18_S1B_S1C_jS1D_jS1E_S1E_jjS1G_bEUljE0_EEESZ_S10_S11_S18_S1C_S1E_T6_T7_T9_mT8_S1G_bDpT10_ENKUlT_T0_E_clISt17integral_constantIbLb1EES1U_EEDaS1P_S1Q_EUlS1P_E_NS1_11comp_targetILNS1_3genE2ELNS1_11target_archE906ELNS1_3gpuE6ELNS1_3repE0EEENS1_30default_config_static_selectorELNS0_4arch9wavefront6targetE0EEEvS12_.private_seg_size, 0
	.set _ZN7rocprim17ROCPRIM_400000_NS6detail17trampoline_kernelINS0_13select_configILj256ELj13ELNS0_17block_load_methodE3ELS4_3ELS4_3ELNS0_20block_scan_algorithmE0ELj4294967295EEENS1_25partition_config_selectorILNS1_17partition_subalgoE4EjNS0_10empty_typeEbEEZZNS1_14partition_implILS8_4ELb0ES6_15HIP_vector_typeIjLj2EENS0_17counting_iteratorIjlEEPS9_SG_NS0_5tupleIJPjSI_NS0_16reverse_iteratorISI_EEEEENSH_IJSG_SG_SG_EEES9_SI_JZNS1_25segmented_radix_sort_implINS0_14default_configELb1EPKhPhPKlPlN2at6native12_GLOBAL__N_18offset_tEEE10hipError_tPvRmT1_PNSt15iterator_traitsIS12_E10value_typeET2_T3_PNS13_IS18_E10value_typeET4_jRbjT5_S1E_jjP12ihipStream_tbEUljE_ZNSN_ISO_Lb1ESQ_SR_ST_SU_SY_EESZ_S10_S11_S12_S16_S17_S18_S1B_S1C_jS1D_jS1E_S1E_jjS1G_bEUljE0_EEESZ_S10_S11_S18_S1C_S1E_T6_T7_T9_mT8_S1G_bDpT10_ENKUlT_T0_E_clISt17integral_constantIbLb1EES1U_EEDaS1P_S1Q_EUlS1P_E_NS1_11comp_targetILNS1_3genE2ELNS1_11target_archE906ELNS1_3gpuE6ELNS1_3repE0EEENS1_30default_config_static_selectorELNS0_4arch9wavefront6targetE0EEEvS12_.uses_vcc, 0
	.set _ZN7rocprim17ROCPRIM_400000_NS6detail17trampoline_kernelINS0_13select_configILj256ELj13ELNS0_17block_load_methodE3ELS4_3ELS4_3ELNS0_20block_scan_algorithmE0ELj4294967295EEENS1_25partition_config_selectorILNS1_17partition_subalgoE4EjNS0_10empty_typeEbEEZZNS1_14partition_implILS8_4ELb0ES6_15HIP_vector_typeIjLj2EENS0_17counting_iteratorIjlEEPS9_SG_NS0_5tupleIJPjSI_NS0_16reverse_iteratorISI_EEEEENSH_IJSG_SG_SG_EEES9_SI_JZNS1_25segmented_radix_sort_implINS0_14default_configELb1EPKhPhPKlPlN2at6native12_GLOBAL__N_18offset_tEEE10hipError_tPvRmT1_PNSt15iterator_traitsIS12_E10value_typeET2_T3_PNS13_IS18_E10value_typeET4_jRbjT5_S1E_jjP12ihipStream_tbEUljE_ZNSN_ISO_Lb1ESQ_SR_ST_SU_SY_EESZ_S10_S11_S12_S16_S17_S18_S1B_S1C_jS1D_jS1E_S1E_jjS1G_bEUljE0_EEESZ_S10_S11_S18_S1C_S1E_T6_T7_T9_mT8_S1G_bDpT10_ENKUlT_T0_E_clISt17integral_constantIbLb1EES1U_EEDaS1P_S1Q_EUlS1P_E_NS1_11comp_targetILNS1_3genE2ELNS1_11target_archE906ELNS1_3gpuE6ELNS1_3repE0EEENS1_30default_config_static_selectorELNS0_4arch9wavefront6targetE0EEEvS12_.uses_flat_scratch, 0
	.set _ZN7rocprim17ROCPRIM_400000_NS6detail17trampoline_kernelINS0_13select_configILj256ELj13ELNS0_17block_load_methodE3ELS4_3ELS4_3ELNS0_20block_scan_algorithmE0ELj4294967295EEENS1_25partition_config_selectorILNS1_17partition_subalgoE4EjNS0_10empty_typeEbEEZZNS1_14partition_implILS8_4ELb0ES6_15HIP_vector_typeIjLj2EENS0_17counting_iteratorIjlEEPS9_SG_NS0_5tupleIJPjSI_NS0_16reverse_iteratorISI_EEEEENSH_IJSG_SG_SG_EEES9_SI_JZNS1_25segmented_radix_sort_implINS0_14default_configELb1EPKhPhPKlPlN2at6native12_GLOBAL__N_18offset_tEEE10hipError_tPvRmT1_PNSt15iterator_traitsIS12_E10value_typeET2_T3_PNS13_IS18_E10value_typeET4_jRbjT5_S1E_jjP12ihipStream_tbEUljE_ZNSN_ISO_Lb1ESQ_SR_ST_SU_SY_EESZ_S10_S11_S12_S16_S17_S18_S1B_S1C_jS1D_jS1E_S1E_jjS1G_bEUljE0_EEESZ_S10_S11_S18_S1C_S1E_T6_T7_T9_mT8_S1G_bDpT10_ENKUlT_T0_E_clISt17integral_constantIbLb1EES1U_EEDaS1P_S1Q_EUlS1P_E_NS1_11comp_targetILNS1_3genE2ELNS1_11target_archE906ELNS1_3gpuE6ELNS1_3repE0EEENS1_30default_config_static_selectorELNS0_4arch9wavefront6targetE0EEEvS12_.has_dyn_sized_stack, 0
	.set _ZN7rocprim17ROCPRIM_400000_NS6detail17trampoline_kernelINS0_13select_configILj256ELj13ELNS0_17block_load_methodE3ELS4_3ELS4_3ELNS0_20block_scan_algorithmE0ELj4294967295EEENS1_25partition_config_selectorILNS1_17partition_subalgoE4EjNS0_10empty_typeEbEEZZNS1_14partition_implILS8_4ELb0ES6_15HIP_vector_typeIjLj2EENS0_17counting_iteratorIjlEEPS9_SG_NS0_5tupleIJPjSI_NS0_16reverse_iteratorISI_EEEEENSH_IJSG_SG_SG_EEES9_SI_JZNS1_25segmented_radix_sort_implINS0_14default_configELb1EPKhPhPKlPlN2at6native12_GLOBAL__N_18offset_tEEE10hipError_tPvRmT1_PNSt15iterator_traitsIS12_E10value_typeET2_T3_PNS13_IS18_E10value_typeET4_jRbjT5_S1E_jjP12ihipStream_tbEUljE_ZNSN_ISO_Lb1ESQ_SR_ST_SU_SY_EESZ_S10_S11_S12_S16_S17_S18_S1B_S1C_jS1D_jS1E_S1E_jjS1G_bEUljE0_EEESZ_S10_S11_S18_S1C_S1E_T6_T7_T9_mT8_S1G_bDpT10_ENKUlT_T0_E_clISt17integral_constantIbLb1EES1U_EEDaS1P_S1Q_EUlS1P_E_NS1_11comp_targetILNS1_3genE2ELNS1_11target_archE906ELNS1_3gpuE6ELNS1_3repE0EEENS1_30default_config_static_selectorELNS0_4arch9wavefront6targetE0EEEvS12_.has_recursion, 0
	.set _ZN7rocprim17ROCPRIM_400000_NS6detail17trampoline_kernelINS0_13select_configILj256ELj13ELNS0_17block_load_methodE3ELS4_3ELS4_3ELNS0_20block_scan_algorithmE0ELj4294967295EEENS1_25partition_config_selectorILNS1_17partition_subalgoE4EjNS0_10empty_typeEbEEZZNS1_14partition_implILS8_4ELb0ES6_15HIP_vector_typeIjLj2EENS0_17counting_iteratorIjlEEPS9_SG_NS0_5tupleIJPjSI_NS0_16reverse_iteratorISI_EEEEENSH_IJSG_SG_SG_EEES9_SI_JZNS1_25segmented_radix_sort_implINS0_14default_configELb1EPKhPhPKlPlN2at6native12_GLOBAL__N_18offset_tEEE10hipError_tPvRmT1_PNSt15iterator_traitsIS12_E10value_typeET2_T3_PNS13_IS18_E10value_typeET4_jRbjT5_S1E_jjP12ihipStream_tbEUljE_ZNSN_ISO_Lb1ESQ_SR_ST_SU_SY_EESZ_S10_S11_S12_S16_S17_S18_S1B_S1C_jS1D_jS1E_S1E_jjS1G_bEUljE0_EEESZ_S10_S11_S18_S1C_S1E_T6_T7_T9_mT8_S1G_bDpT10_ENKUlT_T0_E_clISt17integral_constantIbLb1EES1U_EEDaS1P_S1Q_EUlS1P_E_NS1_11comp_targetILNS1_3genE2ELNS1_11target_archE906ELNS1_3gpuE6ELNS1_3repE0EEENS1_30default_config_static_selectorELNS0_4arch9wavefront6targetE0EEEvS12_.has_indirect_call, 0
	.section	.AMDGPU.csdata,"",@progbits
; Kernel info:
; codeLenInByte = 0
; TotalNumSgprs: 0
; NumVgprs: 0
; ScratchSize: 0
; MemoryBound: 0
; FloatMode: 240
; IeeeMode: 1
; LDSByteSize: 0 bytes/workgroup (compile time only)
; SGPRBlocks: 0
; VGPRBlocks: 0
; NumSGPRsForWavesPerEU: 1
; NumVGPRsForWavesPerEU: 1
; Occupancy: 16
; WaveLimiterHint : 0
; COMPUTE_PGM_RSRC2:SCRATCH_EN: 0
; COMPUTE_PGM_RSRC2:USER_SGPR: 2
; COMPUTE_PGM_RSRC2:TRAP_HANDLER: 0
; COMPUTE_PGM_RSRC2:TGID_X_EN: 1
; COMPUTE_PGM_RSRC2:TGID_Y_EN: 0
; COMPUTE_PGM_RSRC2:TGID_Z_EN: 0
; COMPUTE_PGM_RSRC2:TIDIG_COMP_CNT: 0
	.section	.text._ZN7rocprim17ROCPRIM_400000_NS6detail17trampoline_kernelINS0_13select_configILj256ELj13ELNS0_17block_load_methodE3ELS4_3ELS4_3ELNS0_20block_scan_algorithmE0ELj4294967295EEENS1_25partition_config_selectorILNS1_17partition_subalgoE4EjNS0_10empty_typeEbEEZZNS1_14partition_implILS8_4ELb0ES6_15HIP_vector_typeIjLj2EENS0_17counting_iteratorIjlEEPS9_SG_NS0_5tupleIJPjSI_NS0_16reverse_iteratorISI_EEEEENSH_IJSG_SG_SG_EEES9_SI_JZNS1_25segmented_radix_sort_implINS0_14default_configELb1EPKhPhPKlPlN2at6native12_GLOBAL__N_18offset_tEEE10hipError_tPvRmT1_PNSt15iterator_traitsIS12_E10value_typeET2_T3_PNS13_IS18_E10value_typeET4_jRbjT5_S1E_jjP12ihipStream_tbEUljE_ZNSN_ISO_Lb1ESQ_SR_ST_SU_SY_EESZ_S10_S11_S12_S16_S17_S18_S1B_S1C_jS1D_jS1E_S1E_jjS1G_bEUljE0_EEESZ_S10_S11_S18_S1C_S1E_T6_T7_T9_mT8_S1G_bDpT10_ENKUlT_T0_E_clISt17integral_constantIbLb1EES1U_EEDaS1P_S1Q_EUlS1P_E_NS1_11comp_targetILNS1_3genE10ELNS1_11target_archE1200ELNS1_3gpuE4ELNS1_3repE0EEENS1_30default_config_static_selectorELNS0_4arch9wavefront6targetE0EEEvS12_,"axG",@progbits,_ZN7rocprim17ROCPRIM_400000_NS6detail17trampoline_kernelINS0_13select_configILj256ELj13ELNS0_17block_load_methodE3ELS4_3ELS4_3ELNS0_20block_scan_algorithmE0ELj4294967295EEENS1_25partition_config_selectorILNS1_17partition_subalgoE4EjNS0_10empty_typeEbEEZZNS1_14partition_implILS8_4ELb0ES6_15HIP_vector_typeIjLj2EENS0_17counting_iteratorIjlEEPS9_SG_NS0_5tupleIJPjSI_NS0_16reverse_iteratorISI_EEEEENSH_IJSG_SG_SG_EEES9_SI_JZNS1_25segmented_radix_sort_implINS0_14default_configELb1EPKhPhPKlPlN2at6native12_GLOBAL__N_18offset_tEEE10hipError_tPvRmT1_PNSt15iterator_traitsIS12_E10value_typeET2_T3_PNS13_IS18_E10value_typeET4_jRbjT5_S1E_jjP12ihipStream_tbEUljE_ZNSN_ISO_Lb1ESQ_SR_ST_SU_SY_EESZ_S10_S11_S12_S16_S17_S18_S1B_S1C_jS1D_jS1E_S1E_jjS1G_bEUljE0_EEESZ_S10_S11_S18_S1C_S1E_T6_T7_T9_mT8_S1G_bDpT10_ENKUlT_T0_E_clISt17integral_constantIbLb1EES1U_EEDaS1P_S1Q_EUlS1P_E_NS1_11comp_targetILNS1_3genE10ELNS1_11target_archE1200ELNS1_3gpuE4ELNS1_3repE0EEENS1_30default_config_static_selectorELNS0_4arch9wavefront6targetE0EEEvS12_,comdat
	.globl	_ZN7rocprim17ROCPRIM_400000_NS6detail17trampoline_kernelINS0_13select_configILj256ELj13ELNS0_17block_load_methodE3ELS4_3ELS4_3ELNS0_20block_scan_algorithmE0ELj4294967295EEENS1_25partition_config_selectorILNS1_17partition_subalgoE4EjNS0_10empty_typeEbEEZZNS1_14partition_implILS8_4ELb0ES6_15HIP_vector_typeIjLj2EENS0_17counting_iteratorIjlEEPS9_SG_NS0_5tupleIJPjSI_NS0_16reverse_iteratorISI_EEEEENSH_IJSG_SG_SG_EEES9_SI_JZNS1_25segmented_radix_sort_implINS0_14default_configELb1EPKhPhPKlPlN2at6native12_GLOBAL__N_18offset_tEEE10hipError_tPvRmT1_PNSt15iterator_traitsIS12_E10value_typeET2_T3_PNS13_IS18_E10value_typeET4_jRbjT5_S1E_jjP12ihipStream_tbEUljE_ZNSN_ISO_Lb1ESQ_SR_ST_SU_SY_EESZ_S10_S11_S12_S16_S17_S18_S1B_S1C_jS1D_jS1E_S1E_jjS1G_bEUljE0_EEESZ_S10_S11_S18_S1C_S1E_T6_T7_T9_mT8_S1G_bDpT10_ENKUlT_T0_E_clISt17integral_constantIbLb1EES1U_EEDaS1P_S1Q_EUlS1P_E_NS1_11comp_targetILNS1_3genE10ELNS1_11target_archE1200ELNS1_3gpuE4ELNS1_3repE0EEENS1_30default_config_static_selectorELNS0_4arch9wavefront6targetE0EEEvS12_ ; -- Begin function _ZN7rocprim17ROCPRIM_400000_NS6detail17trampoline_kernelINS0_13select_configILj256ELj13ELNS0_17block_load_methodE3ELS4_3ELS4_3ELNS0_20block_scan_algorithmE0ELj4294967295EEENS1_25partition_config_selectorILNS1_17partition_subalgoE4EjNS0_10empty_typeEbEEZZNS1_14partition_implILS8_4ELb0ES6_15HIP_vector_typeIjLj2EENS0_17counting_iteratorIjlEEPS9_SG_NS0_5tupleIJPjSI_NS0_16reverse_iteratorISI_EEEEENSH_IJSG_SG_SG_EEES9_SI_JZNS1_25segmented_radix_sort_implINS0_14default_configELb1EPKhPhPKlPlN2at6native12_GLOBAL__N_18offset_tEEE10hipError_tPvRmT1_PNSt15iterator_traitsIS12_E10value_typeET2_T3_PNS13_IS18_E10value_typeET4_jRbjT5_S1E_jjP12ihipStream_tbEUljE_ZNSN_ISO_Lb1ESQ_SR_ST_SU_SY_EESZ_S10_S11_S12_S16_S17_S18_S1B_S1C_jS1D_jS1E_S1E_jjS1G_bEUljE0_EEESZ_S10_S11_S18_S1C_S1E_T6_T7_T9_mT8_S1G_bDpT10_ENKUlT_T0_E_clISt17integral_constantIbLb1EES1U_EEDaS1P_S1Q_EUlS1P_E_NS1_11comp_targetILNS1_3genE10ELNS1_11target_archE1200ELNS1_3gpuE4ELNS1_3repE0EEENS1_30default_config_static_selectorELNS0_4arch9wavefront6targetE0EEEvS12_
	.p2align	8
	.type	_ZN7rocprim17ROCPRIM_400000_NS6detail17trampoline_kernelINS0_13select_configILj256ELj13ELNS0_17block_load_methodE3ELS4_3ELS4_3ELNS0_20block_scan_algorithmE0ELj4294967295EEENS1_25partition_config_selectorILNS1_17partition_subalgoE4EjNS0_10empty_typeEbEEZZNS1_14partition_implILS8_4ELb0ES6_15HIP_vector_typeIjLj2EENS0_17counting_iteratorIjlEEPS9_SG_NS0_5tupleIJPjSI_NS0_16reverse_iteratorISI_EEEEENSH_IJSG_SG_SG_EEES9_SI_JZNS1_25segmented_radix_sort_implINS0_14default_configELb1EPKhPhPKlPlN2at6native12_GLOBAL__N_18offset_tEEE10hipError_tPvRmT1_PNSt15iterator_traitsIS12_E10value_typeET2_T3_PNS13_IS18_E10value_typeET4_jRbjT5_S1E_jjP12ihipStream_tbEUljE_ZNSN_ISO_Lb1ESQ_SR_ST_SU_SY_EESZ_S10_S11_S12_S16_S17_S18_S1B_S1C_jS1D_jS1E_S1E_jjS1G_bEUljE0_EEESZ_S10_S11_S18_S1C_S1E_T6_T7_T9_mT8_S1G_bDpT10_ENKUlT_T0_E_clISt17integral_constantIbLb1EES1U_EEDaS1P_S1Q_EUlS1P_E_NS1_11comp_targetILNS1_3genE10ELNS1_11target_archE1200ELNS1_3gpuE4ELNS1_3repE0EEENS1_30default_config_static_selectorELNS0_4arch9wavefront6targetE0EEEvS12_,@function
_ZN7rocprim17ROCPRIM_400000_NS6detail17trampoline_kernelINS0_13select_configILj256ELj13ELNS0_17block_load_methodE3ELS4_3ELS4_3ELNS0_20block_scan_algorithmE0ELj4294967295EEENS1_25partition_config_selectorILNS1_17partition_subalgoE4EjNS0_10empty_typeEbEEZZNS1_14partition_implILS8_4ELb0ES6_15HIP_vector_typeIjLj2EENS0_17counting_iteratorIjlEEPS9_SG_NS0_5tupleIJPjSI_NS0_16reverse_iteratorISI_EEEEENSH_IJSG_SG_SG_EEES9_SI_JZNS1_25segmented_radix_sort_implINS0_14default_configELb1EPKhPhPKlPlN2at6native12_GLOBAL__N_18offset_tEEE10hipError_tPvRmT1_PNSt15iterator_traitsIS12_E10value_typeET2_T3_PNS13_IS18_E10value_typeET4_jRbjT5_S1E_jjP12ihipStream_tbEUljE_ZNSN_ISO_Lb1ESQ_SR_ST_SU_SY_EESZ_S10_S11_S12_S16_S17_S18_S1B_S1C_jS1D_jS1E_S1E_jjS1G_bEUljE0_EEESZ_S10_S11_S18_S1C_S1E_T6_T7_T9_mT8_S1G_bDpT10_ENKUlT_T0_E_clISt17integral_constantIbLb1EES1U_EEDaS1P_S1Q_EUlS1P_E_NS1_11comp_targetILNS1_3genE10ELNS1_11target_archE1200ELNS1_3gpuE4ELNS1_3repE0EEENS1_30default_config_static_selectorELNS0_4arch9wavefront6targetE0EEEvS12_: ; @_ZN7rocprim17ROCPRIM_400000_NS6detail17trampoline_kernelINS0_13select_configILj256ELj13ELNS0_17block_load_methodE3ELS4_3ELS4_3ELNS0_20block_scan_algorithmE0ELj4294967295EEENS1_25partition_config_selectorILNS1_17partition_subalgoE4EjNS0_10empty_typeEbEEZZNS1_14partition_implILS8_4ELb0ES6_15HIP_vector_typeIjLj2EENS0_17counting_iteratorIjlEEPS9_SG_NS0_5tupleIJPjSI_NS0_16reverse_iteratorISI_EEEEENSH_IJSG_SG_SG_EEES9_SI_JZNS1_25segmented_radix_sort_implINS0_14default_configELb1EPKhPhPKlPlN2at6native12_GLOBAL__N_18offset_tEEE10hipError_tPvRmT1_PNSt15iterator_traitsIS12_E10value_typeET2_T3_PNS13_IS18_E10value_typeET4_jRbjT5_S1E_jjP12ihipStream_tbEUljE_ZNSN_ISO_Lb1ESQ_SR_ST_SU_SY_EESZ_S10_S11_S12_S16_S17_S18_S1B_S1C_jS1D_jS1E_S1E_jjS1G_bEUljE0_EEESZ_S10_S11_S18_S1C_S1E_T6_T7_T9_mT8_S1G_bDpT10_ENKUlT_T0_E_clISt17integral_constantIbLb1EES1U_EEDaS1P_S1Q_EUlS1P_E_NS1_11comp_targetILNS1_3genE10ELNS1_11target_archE1200ELNS1_3gpuE4ELNS1_3repE0EEENS1_30default_config_static_selectorELNS0_4arch9wavefront6targetE0EEEvS12_
; %bb.0:
	s_endpgm
	.section	.rodata,"a",@progbits
	.p2align	6, 0x0
	.amdhsa_kernel _ZN7rocprim17ROCPRIM_400000_NS6detail17trampoline_kernelINS0_13select_configILj256ELj13ELNS0_17block_load_methodE3ELS4_3ELS4_3ELNS0_20block_scan_algorithmE0ELj4294967295EEENS1_25partition_config_selectorILNS1_17partition_subalgoE4EjNS0_10empty_typeEbEEZZNS1_14partition_implILS8_4ELb0ES6_15HIP_vector_typeIjLj2EENS0_17counting_iteratorIjlEEPS9_SG_NS0_5tupleIJPjSI_NS0_16reverse_iteratorISI_EEEEENSH_IJSG_SG_SG_EEES9_SI_JZNS1_25segmented_radix_sort_implINS0_14default_configELb1EPKhPhPKlPlN2at6native12_GLOBAL__N_18offset_tEEE10hipError_tPvRmT1_PNSt15iterator_traitsIS12_E10value_typeET2_T3_PNS13_IS18_E10value_typeET4_jRbjT5_S1E_jjP12ihipStream_tbEUljE_ZNSN_ISO_Lb1ESQ_SR_ST_SU_SY_EESZ_S10_S11_S12_S16_S17_S18_S1B_S1C_jS1D_jS1E_S1E_jjS1G_bEUljE0_EEESZ_S10_S11_S18_S1C_S1E_T6_T7_T9_mT8_S1G_bDpT10_ENKUlT_T0_E_clISt17integral_constantIbLb1EES1U_EEDaS1P_S1Q_EUlS1P_E_NS1_11comp_targetILNS1_3genE10ELNS1_11target_archE1200ELNS1_3gpuE4ELNS1_3repE0EEENS1_30default_config_static_selectorELNS0_4arch9wavefront6targetE0EEEvS12_
		.amdhsa_group_segment_fixed_size 0
		.amdhsa_private_segment_fixed_size 0
		.amdhsa_kernarg_size 184
		.amdhsa_user_sgpr_count 2
		.amdhsa_user_sgpr_dispatch_ptr 0
		.amdhsa_user_sgpr_queue_ptr 0
		.amdhsa_user_sgpr_kernarg_segment_ptr 1
		.amdhsa_user_sgpr_dispatch_id 0
		.amdhsa_user_sgpr_private_segment_size 0
		.amdhsa_wavefront_size32 1
		.amdhsa_uses_dynamic_stack 0
		.amdhsa_enable_private_segment 0
		.amdhsa_system_sgpr_workgroup_id_x 1
		.amdhsa_system_sgpr_workgroup_id_y 0
		.amdhsa_system_sgpr_workgroup_id_z 0
		.amdhsa_system_sgpr_workgroup_info 0
		.amdhsa_system_vgpr_workitem_id 0
		.amdhsa_next_free_vgpr 1
		.amdhsa_next_free_sgpr 1
		.amdhsa_reserve_vcc 0
		.amdhsa_float_round_mode_32 0
		.amdhsa_float_round_mode_16_64 0
		.amdhsa_float_denorm_mode_32 3
		.amdhsa_float_denorm_mode_16_64 3
		.amdhsa_fp16_overflow 0
		.amdhsa_workgroup_processor_mode 1
		.amdhsa_memory_ordered 1
		.amdhsa_forward_progress 1
		.amdhsa_inst_pref_size 1
		.amdhsa_round_robin_scheduling 0
		.amdhsa_exception_fp_ieee_invalid_op 0
		.amdhsa_exception_fp_denorm_src 0
		.amdhsa_exception_fp_ieee_div_zero 0
		.amdhsa_exception_fp_ieee_overflow 0
		.amdhsa_exception_fp_ieee_underflow 0
		.amdhsa_exception_fp_ieee_inexact 0
		.amdhsa_exception_int_div_zero 0
	.end_amdhsa_kernel
	.section	.text._ZN7rocprim17ROCPRIM_400000_NS6detail17trampoline_kernelINS0_13select_configILj256ELj13ELNS0_17block_load_methodE3ELS4_3ELS4_3ELNS0_20block_scan_algorithmE0ELj4294967295EEENS1_25partition_config_selectorILNS1_17partition_subalgoE4EjNS0_10empty_typeEbEEZZNS1_14partition_implILS8_4ELb0ES6_15HIP_vector_typeIjLj2EENS0_17counting_iteratorIjlEEPS9_SG_NS0_5tupleIJPjSI_NS0_16reverse_iteratorISI_EEEEENSH_IJSG_SG_SG_EEES9_SI_JZNS1_25segmented_radix_sort_implINS0_14default_configELb1EPKhPhPKlPlN2at6native12_GLOBAL__N_18offset_tEEE10hipError_tPvRmT1_PNSt15iterator_traitsIS12_E10value_typeET2_T3_PNS13_IS18_E10value_typeET4_jRbjT5_S1E_jjP12ihipStream_tbEUljE_ZNSN_ISO_Lb1ESQ_SR_ST_SU_SY_EESZ_S10_S11_S12_S16_S17_S18_S1B_S1C_jS1D_jS1E_S1E_jjS1G_bEUljE0_EEESZ_S10_S11_S18_S1C_S1E_T6_T7_T9_mT8_S1G_bDpT10_ENKUlT_T0_E_clISt17integral_constantIbLb1EES1U_EEDaS1P_S1Q_EUlS1P_E_NS1_11comp_targetILNS1_3genE10ELNS1_11target_archE1200ELNS1_3gpuE4ELNS1_3repE0EEENS1_30default_config_static_selectorELNS0_4arch9wavefront6targetE0EEEvS12_,"axG",@progbits,_ZN7rocprim17ROCPRIM_400000_NS6detail17trampoline_kernelINS0_13select_configILj256ELj13ELNS0_17block_load_methodE3ELS4_3ELS4_3ELNS0_20block_scan_algorithmE0ELj4294967295EEENS1_25partition_config_selectorILNS1_17partition_subalgoE4EjNS0_10empty_typeEbEEZZNS1_14partition_implILS8_4ELb0ES6_15HIP_vector_typeIjLj2EENS0_17counting_iteratorIjlEEPS9_SG_NS0_5tupleIJPjSI_NS0_16reverse_iteratorISI_EEEEENSH_IJSG_SG_SG_EEES9_SI_JZNS1_25segmented_radix_sort_implINS0_14default_configELb1EPKhPhPKlPlN2at6native12_GLOBAL__N_18offset_tEEE10hipError_tPvRmT1_PNSt15iterator_traitsIS12_E10value_typeET2_T3_PNS13_IS18_E10value_typeET4_jRbjT5_S1E_jjP12ihipStream_tbEUljE_ZNSN_ISO_Lb1ESQ_SR_ST_SU_SY_EESZ_S10_S11_S12_S16_S17_S18_S1B_S1C_jS1D_jS1E_S1E_jjS1G_bEUljE0_EEESZ_S10_S11_S18_S1C_S1E_T6_T7_T9_mT8_S1G_bDpT10_ENKUlT_T0_E_clISt17integral_constantIbLb1EES1U_EEDaS1P_S1Q_EUlS1P_E_NS1_11comp_targetILNS1_3genE10ELNS1_11target_archE1200ELNS1_3gpuE4ELNS1_3repE0EEENS1_30default_config_static_selectorELNS0_4arch9wavefront6targetE0EEEvS12_,comdat
.Lfunc_end26:
	.size	_ZN7rocprim17ROCPRIM_400000_NS6detail17trampoline_kernelINS0_13select_configILj256ELj13ELNS0_17block_load_methodE3ELS4_3ELS4_3ELNS0_20block_scan_algorithmE0ELj4294967295EEENS1_25partition_config_selectorILNS1_17partition_subalgoE4EjNS0_10empty_typeEbEEZZNS1_14partition_implILS8_4ELb0ES6_15HIP_vector_typeIjLj2EENS0_17counting_iteratorIjlEEPS9_SG_NS0_5tupleIJPjSI_NS0_16reverse_iteratorISI_EEEEENSH_IJSG_SG_SG_EEES9_SI_JZNS1_25segmented_radix_sort_implINS0_14default_configELb1EPKhPhPKlPlN2at6native12_GLOBAL__N_18offset_tEEE10hipError_tPvRmT1_PNSt15iterator_traitsIS12_E10value_typeET2_T3_PNS13_IS18_E10value_typeET4_jRbjT5_S1E_jjP12ihipStream_tbEUljE_ZNSN_ISO_Lb1ESQ_SR_ST_SU_SY_EESZ_S10_S11_S12_S16_S17_S18_S1B_S1C_jS1D_jS1E_S1E_jjS1G_bEUljE0_EEESZ_S10_S11_S18_S1C_S1E_T6_T7_T9_mT8_S1G_bDpT10_ENKUlT_T0_E_clISt17integral_constantIbLb1EES1U_EEDaS1P_S1Q_EUlS1P_E_NS1_11comp_targetILNS1_3genE10ELNS1_11target_archE1200ELNS1_3gpuE4ELNS1_3repE0EEENS1_30default_config_static_selectorELNS0_4arch9wavefront6targetE0EEEvS12_, .Lfunc_end26-_ZN7rocprim17ROCPRIM_400000_NS6detail17trampoline_kernelINS0_13select_configILj256ELj13ELNS0_17block_load_methodE3ELS4_3ELS4_3ELNS0_20block_scan_algorithmE0ELj4294967295EEENS1_25partition_config_selectorILNS1_17partition_subalgoE4EjNS0_10empty_typeEbEEZZNS1_14partition_implILS8_4ELb0ES6_15HIP_vector_typeIjLj2EENS0_17counting_iteratorIjlEEPS9_SG_NS0_5tupleIJPjSI_NS0_16reverse_iteratorISI_EEEEENSH_IJSG_SG_SG_EEES9_SI_JZNS1_25segmented_radix_sort_implINS0_14default_configELb1EPKhPhPKlPlN2at6native12_GLOBAL__N_18offset_tEEE10hipError_tPvRmT1_PNSt15iterator_traitsIS12_E10value_typeET2_T3_PNS13_IS18_E10value_typeET4_jRbjT5_S1E_jjP12ihipStream_tbEUljE_ZNSN_ISO_Lb1ESQ_SR_ST_SU_SY_EESZ_S10_S11_S12_S16_S17_S18_S1B_S1C_jS1D_jS1E_S1E_jjS1G_bEUljE0_EEESZ_S10_S11_S18_S1C_S1E_T6_T7_T9_mT8_S1G_bDpT10_ENKUlT_T0_E_clISt17integral_constantIbLb1EES1U_EEDaS1P_S1Q_EUlS1P_E_NS1_11comp_targetILNS1_3genE10ELNS1_11target_archE1200ELNS1_3gpuE4ELNS1_3repE0EEENS1_30default_config_static_selectorELNS0_4arch9wavefront6targetE0EEEvS12_
                                        ; -- End function
	.set _ZN7rocprim17ROCPRIM_400000_NS6detail17trampoline_kernelINS0_13select_configILj256ELj13ELNS0_17block_load_methodE3ELS4_3ELS4_3ELNS0_20block_scan_algorithmE0ELj4294967295EEENS1_25partition_config_selectorILNS1_17partition_subalgoE4EjNS0_10empty_typeEbEEZZNS1_14partition_implILS8_4ELb0ES6_15HIP_vector_typeIjLj2EENS0_17counting_iteratorIjlEEPS9_SG_NS0_5tupleIJPjSI_NS0_16reverse_iteratorISI_EEEEENSH_IJSG_SG_SG_EEES9_SI_JZNS1_25segmented_radix_sort_implINS0_14default_configELb1EPKhPhPKlPlN2at6native12_GLOBAL__N_18offset_tEEE10hipError_tPvRmT1_PNSt15iterator_traitsIS12_E10value_typeET2_T3_PNS13_IS18_E10value_typeET4_jRbjT5_S1E_jjP12ihipStream_tbEUljE_ZNSN_ISO_Lb1ESQ_SR_ST_SU_SY_EESZ_S10_S11_S12_S16_S17_S18_S1B_S1C_jS1D_jS1E_S1E_jjS1G_bEUljE0_EEESZ_S10_S11_S18_S1C_S1E_T6_T7_T9_mT8_S1G_bDpT10_ENKUlT_T0_E_clISt17integral_constantIbLb1EES1U_EEDaS1P_S1Q_EUlS1P_E_NS1_11comp_targetILNS1_3genE10ELNS1_11target_archE1200ELNS1_3gpuE4ELNS1_3repE0EEENS1_30default_config_static_selectorELNS0_4arch9wavefront6targetE0EEEvS12_.num_vgpr, 0
	.set _ZN7rocprim17ROCPRIM_400000_NS6detail17trampoline_kernelINS0_13select_configILj256ELj13ELNS0_17block_load_methodE3ELS4_3ELS4_3ELNS0_20block_scan_algorithmE0ELj4294967295EEENS1_25partition_config_selectorILNS1_17partition_subalgoE4EjNS0_10empty_typeEbEEZZNS1_14partition_implILS8_4ELb0ES6_15HIP_vector_typeIjLj2EENS0_17counting_iteratorIjlEEPS9_SG_NS0_5tupleIJPjSI_NS0_16reverse_iteratorISI_EEEEENSH_IJSG_SG_SG_EEES9_SI_JZNS1_25segmented_radix_sort_implINS0_14default_configELb1EPKhPhPKlPlN2at6native12_GLOBAL__N_18offset_tEEE10hipError_tPvRmT1_PNSt15iterator_traitsIS12_E10value_typeET2_T3_PNS13_IS18_E10value_typeET4_jRbjT5_S1E_jjP12ihipStream_tbEUljE_ZNSN_ISO_Lb1ESQ_SR_ST_SU_SY_EESZ_S10_S11_S12_S16_S17_S18_S1B_S1C_jS1D_jS1E_S1E_jjS1G_bEUljE0_EEESZ_S10_S11_S18_S1C_S1E_T6_T7_T9_mT8_S1G_bDpT10_ENKUlT_T0_E_clISt17integral_constantIbLb1EES1U_EEDaS1P_S1Q_EUlS1P_E_NS1_11comp_targetILNS1_3genE10ELNS1_11target_archE1200ELNS1_3gpuE4ELNS1_3repE0EEENS1_30default_config_static_selectorELNS0_4arch9wavefront6targetE0EEEvS12_.num_agpr, 0
	.set _ZN7rocprim17ROCPRIM_400000_NS6detail17trampoline_kernelINS0_13select_configILj256ELj13ELNS0_17block_load_methodE3ELS4_3ELS4_3ELNS0_20block_scan_algorithmE0ELj4294967295EEENS1_25partition_config_selectorILNS1_17partition_subalgoE4EjNS0_10empty_typeEbEEZZNS1_14partition_implILS8_4ELb0ES6_15HIP_vector_typeIjLj2EENS0_17counting_iteratorIjlEEPS9_SG_NS0_5tupleIJPjSI_NS0_16reverse_iteratorISI_EEEEENSH_IJSG_SG_SG_EEES9_SI_JZNS1_25segmented_radix_sort_implINS0_14default_configELb1EPKhPhPKlPlN2at6native12_GLOBAL__N_18offset_tEEE10hipError_tPvRmT1_PNSt15iterator_traitsIS12_E10value_typeET2_T3_PNS13_IS18_E10value_typeET4_jRbjT5_S1E_jjP12ihipStream_tbEUljE_ZNSN_ISO_Lb1ESQ_SR_ST_SU_SY_EESZ_S10_S11_S12_S16_S17_S18_S1B_S1C_jS1D_jS1E_S1E_jjS1G_bEUljE0_EEESZ_S10_S11_S18_S1C_S1E_T6_T7_T9_mT8_S1G_bDpT10_ENKUlT_T0_E_clISt17integral_constantIbLb1EES1U_EEDaS1P_S1Q_EUlS1P_E_NS1_11comp_targetILNS1_3genE10ELNS1_11target_archE1200ELNS1_3gpuE4ELNS1_3repE0EEENS1_30default_config_static_selectorELNS0_4arch9wavefront6targetE0EEEvS12_.numbered_sgpr, 0
	.set _ZN7rocprim17ROCPRIM_400000_NS6detail17trampoline_kernelINS0_13select_configILj256ELj13ELNS0_17block_load_methodE3ELS4_3ELS4_3ELNS0_20block_scan_algorithmE0ELj4294967295EEENS1_25partition_config_selectorILNS1_17partition_subalgoE4EjNS0_10empty_typeEbEEZZNS1_14partition_implILS8_4ELb0ES6_15HIP_vector_typeIjLj2EENS0_17counting_iteratorIjlEEPS9_SG_NS0_5tupleIJPjSI_NS0_16reverse_iteratorISI_EEEEENSH_IJSG_SG_SG_EEES9_SI_JZNS1_25segmented_radix_sort_implINS0_14default_configELb1EPKhPhPKlPlN2at6native12_GLOBAL__N_18offset_tEEE10hipError_tPvRmT1_PNSt15iterator_traitsIS12_E10value_typeET2_T3_PNS13_IS18_E10value_typeET4_jRbjT5_S1E_jjP12ihipStream_tbEUljE_ZNSN_ISO_Lb1ESQ_SR_ST_SU_SY_EESZ_S10_S11_S12_S16_S17_S18_S1B_S1C_jS1D_jS1E_S1E_jjS1G_bEUljE0_EEESZ_S10_S11_S18_S1C_S1E_T6_T7_T9_mT8_S1G_bDpT10_ENKUlT_T0_E_clISt17integral_constantIbLb1EES1U_EEDaS1P_S1Q_EUlS1P_E_NS1_11comp_targetILNS1_3genE10ELNS1_11target_archE1200ELNS1_3gpuE4ELNS1_3repE0EEENS1_30default_config_static_selectorELNS0_4arch9wavefront6targetE0EEEvS12_.num_named_barrier, 0
	.set _ZN7rocprim17ROCPRIM_400000_NS6detail17trampoline_kernelINS0_13select_configILj256ELj13ELNS0_17block_load_methodE3ELS4_3ELS4_3ELNS0_20block_scan_algorithmE0ELj4294967295EEENS1_25partition_config_selectorILNS1_17partition_subalgoE4EjNS0_10empty_typeEbEEZZNS1_14partition_implILS8_4ELb0ES6_15HIP_vector_typeIjLj2EENS0_17counting_iteratorIjlEEPS9_SG_NS0_5tupleIJPjSI_NS0_16reverse_iteratorISI_EEEEENSH_IJSG_SG_SG_EEES9_SI_JZNS1_25segmented_radix_sort_implINS0_14default_configELb1EPKhPhPKlPlN2at6native12_GLOBAL__N_18offset_tEEE10hipError_tPvRmT1_PNSt15iterator_traitsIS12_E10value_typeET2_T3_PNS13_IS18_E10value_typeET4_jRbjT5_S1E_jjP12ihipStream_tbEUljE_ZNSN_ISO_Lb1ESQ_SR_ST_SU_SY_EESZ_S10_S11_S12_S16_S17_S18_S1B_S1C_jS1D_jS1E_S1E_jjS1G_bEUljE0_EEESZ_S10_S11_S18_S1C_S1E_T6_T7_T9_mT8_S1G_bDpT10_ENKUlT_T0_E_clISt17integral_constantIbLb1EES1U_EEDaS1P_S1Q_EUlS1P_E_NS1_11comp_targetILNS1_3genE10ELNS1_11target_archE1200ELNS1_3gpuE4ELNS1_3repE0EEENS1_30default_config_static_selectorELNS0_4arch9wavefront6targetE0EEEvS12_.private_seg_size, 0
	.set _ZN7rocprim17ROCPRIM_400000_NS6detail17trampoline_kernelINS0_13select_configILj256ELj13ELNS0_17block_load_methodE3ELS4_3ELS4_3ELNS0_20block_scan_algorithmE0ELj4294967295EEENS1_25partition_config_selectorILNS1_17partition_subalgoE4EjNS0_10empty_typeEbEEZZNS1_14partition_implILS8_4ELb0ES6_15HIP_vector_typeIjLj2EENS0_17counting_iteratorIjlEEPS9_SG_NS0_5tupleIJPjSI_NS0_16reverse_iteratorISI_EEEEENSH_IJSG_SG_SG_EEES9_SI_JZNS1_25segmented_radix_sort_implINS0_14default_configELb1EPKhPhPKlPlN2at6native12_GLOBAL__N_18offset_tEEE10hipError_tPvRmT1_PNSt15iterator_traitsIS12_E10value_typeET2_T3_PNS13_IS18_E10value_typeET4_jRbjT5_S1E_jjP12ihipStream_tbEUljE_ZNSN_ISO_Lb1ESQ_SR_ST_SU_SY_EESZ_S10_S11_S12_S16_S17_S18_S1B_S1C_jS1D_jS1E_S1E_jjS1G_bEUljE0_EEESZ_S10_S11_S18_S1C_S1E_T6_T7_T9_mT8_S1G_bDpT10_ENKUlT_T0_E_clISt17integral_constantIbLb1EES1U_EEDaS1P_S1Q_EUlS1P_E_NS1_11comp_targetILNS1_3genE10ELNS1_11target_archE1200ELNS1_3gpuE4ELNS1_3repE0EEENS1_30default_config_static_selectorELNS0_4arch9wavefront6targetE0EEEvS12_.uses_vcc, 0
	.set _ZN7rocprim17ROCPRIM_400000_NS6detail17trampoline_kernelINS0_13select_configILj256ELj13ELNS0_17block_load_methodE3ELS4_3ELS4_3ELNS0_20block_scan_algorithmE0ELj4294967295EEENS1_25partition_config_selectorILNS1_17partition_subalgoE4EjNS0_10empty_typeEbEEZZNS1_14partition_implILS8_4ELb0ES6_15HIP_vector_typeIjLj2EENS0_17counting_iteratorIjlEEPS9_SG_NS0_5tupleIJPjSI_NS0_16reverse_iteratorISI_EEEEENSH_IJSG_SG_SG_EEES9_SI_JZNS1_25segmented_radix_sort_implINS0_14default_configELb1EPKhPhPKlPlN2at6native12_GLOBAL__N_18offset_tEEE10hipError_tPvRmT1_PNSt15iterator_traitsIS12_E10value_typeET2_T3_PNS13_IS18_E10value_typeET4_jRbjT5_S1E_jjP12ihipStream_tbEUljE_ZNSN_ISO_Lb1ESQ_SR_ST_SU_SY_EESZ_S10_S11_S12_S16_S17_S18_S1B_S1C_jS1D_jS1E_S1E_jjS1G_bEUljE0_EEESZ_S10_S11_S18_S1C_S1E_T6_T7_T9_mT8_S1G_bDpT10_ENKUlT_T0_E_clISt17integral_constantIbLb1EES1U_EEDaS1P_S1Q_EUlS1P_E_NS1_11comp_targetILNS1_3genE10ELNS1_11target_archE1200ELNS1_3gpuE4ELNS1_3repE0EEENS1_30default_config_static_selectorELNS0_4arch9wavefront6targetE0EEEvS12_.uses_flat_scratch, 0
	.set _ZN7rocprim17ROCPRIM_400000_NS6detail17trampoline_kernelINS0_13select_configILj256ELj13ELNS0_17block_load_methodE3ELS4_3ELS4_3ELNS0_20block_scan_algorithmE0ELj4294967295EEENS1_25partition_config_selectorILNS1_17partition_subalgoE4EjNS0_10empty_typeEbEEZZNS1_14partition_implILS8_4ELb0ES6_15HIP_vector_typeIjLj2EENS0_17counting_iteratorIjlEEPS9_SG_NS0_5tupleIJPjSI_NS0_16reverse_iteratorISI_EEEEENSH_IJSG_SG_SG_EEES9_SI_JZNS1_25segmented_radix_sort_implINS0_14default_configELb1EPKhPhPKlPlN2at6native12_GLOBAL__N_18offset_tEEE10hipError_tPvRmT1_PNSt15iterator_traitsIS12_E10value_typeET2_T3_PNS13_IS18_E10value_typeET4_jRbjT5_S1E_jjP12ihipStream_tbEUljE_ZNSN_ISO_Lb1ESQ_SR_ST_SU_SY_EESZ_S10_S11_S12_S16_S17_S18_S1B_S1C_jS1D_jS1E_S1E_jjS1G_bEUljE0_EEESZ_S10_S11_S18_S1C_S1E_T6_T7_T9_mT8_S1G_bDpT10_ENKUlT_T0_E_clISt17integral_constantIbLb1EES1U_EEDaS1P_S1Q_EUlS1P_E_NS1_11comp_targetILNS1_3genE10ELNS1_11target_archE1200ELNS1_3gpuE4ELNS1_3repE0EEENS1_30default_config_static_selectorELNS0_4arch9wavefront6targetE0EEEvS12_.has_dyn_sized_stack, 0
	.set _ZN7rocprim17ROCPRIM_400000_NS6detail17trampoline_kernelINS0_13select_configILj256ELj13ELNS0_17block_load_methodE3ELS4_3ELS4_3ELNS0_20block_scan_algorithmE0ELj4294967295EEENS1_25partition_config_selectorILNS1_17partition_subalgoE4EjNS0_10empty_typeEbEEZZNS1_14partition_implILS8_4ELb0ES6_15HIP_vector_typeIjLj2EENS0_17counting_iteratorIjlEEPS9_SG_NS0_5tupleIJPjSI_NS0_16reverse_iteratorISI_EEEEENSH_IJSG_SG_SG_EEES9_SI_JZNS1_25segmented_radix_sort_implINS0_14default_configELb1EPKhPhPKlPlN2at6native12_GLOBAL__N_18offset_tEEE10hipError_tPvRmT1_PNSt15iterator_traitsIS12_E10value_typeET2_T3_PNS13_IS18_E10value_typeET4_jRbjT5_S1E_jjP12ihipStream_tbEUljE_ZNSN_ISO_Lb1ESQ_SR_ST_SU_SY_EESZ_S10_S11_S12_S16_S17_S18_S1B_S1C_jS1D_jS1E_S1E_jjS1G_bEUljE0_EEESZ_S10_S11_S18_S1C_S1E_T6_T7_T9_mT8_S1G_bDpT10_ENKUlT_T0_E_clISt17integral_constantIbLb1EES1U_EEDaS1P_S1Q_EUlS1P_E_NS1_11comp_targetILNS1_3genE10ELNS1_11target_archE1200ELNS1_3gpuE4ELNS1_3repE0EEENS1_30default_config_static_selectorELNS0_4arch9wavefront6targetE0EEEvS12_.has_recursion, 0
	.set _ZN7rocprim17ROCPRIM_400000_NS6detail17trampoline_kernelINS0_13select_configILj256ELj13ELNS0_17block_load_methodE3ELS4_3ELS4_3ELNS0_20block_scan_algorithmE0ELj4294967295EEENS1_25partition_config_selectorILNS1_17partition_subalgoE4EjNS0_10empty_typeEbEEZZNS1_14partition_implILS8_4ELb0ES6_15HIP_vector_typeIjLj2EENS0_17counting_iteratorIjlEEPS9_SG_NS0_5tupleIJPjSI_NS0_16reverse_iteratorISI_EEEEENSH_IJSG_SG_SG_EEES9_SI_JZNS1_25segmented_radix_sort_implINS0_14default_configELb1EPKhPhPKlPlN2at6native12_GLOBAL__N_18offset_tEEE10hipError_tPvRmT1_PNSt15iterator_traitsIS12_E10value_typeET2_T3_PNS13_IS18_E10value_typeET4_jRbjT5_S1E_jjP12ihipStream_tbEUljE_ZNSN_ISO_Lb1ESQ_SR_ST_SU_SY_EESZ_S10_S11_S12_S16_S17_S18_S1B_S1C_jS1D_jS1E_S1E_jjS1G_bEUljE0_EEESZ_S10_S11_S18_S1C_S1E_T6_T7_T9_mT8_S1G_bDpT10_ENKUlT_T0_E_clISt17integral_constantIbLb1EES1U_EEDaS1P_S1Q_EUlS1P_E_NS1_11comp_targetILNS1_3genE10ELNS1_11target_archE1200ELNS1_3gpuE4ELNS1_3repE0EEENS1_30default_config_static_selectorELNS0_4arch9wavefront6targetE0EEEvS12_.has_indirect_call, 0
	.section	.AMDGPU.csdata,"",@progbits
; Kernel info:
; codeLenInByte = 4
; TotalNumSgprs: 0
; NumVgprs: 0
; ScratchSize: 0
; MemoryBound: 0
; FloatMode: 240
; IeeeMode: 1
; LDSByteSize: 0 bytes/workgroup (compile time only)
; SGPRBlocks: 0
; VGPRBlocks: 0
; NumSGPRsForWavesPerEU: 1
; NumVGPRsForWavesPerEU: 1
; Occupancy: 16
; WaveLimiterHint : 0
; COMPUTE_PGM_RSRC2:SCRATCH_EN: 0
; COMPUTE_PGM_RSRC2:USER_SGPR: 2
; COMPUTE_PGM_RSRC2:TRAP_HANDLER: 0
; COMPUTE_PGM_RSRC2:TGID_X_EN: 1
; COMPUTE_PGM_RSRC2:TGID_Y_EN: 0
; COMPUTE_PGM_RSRC2:TGID_Z_EN: 0
; COMPUTE_PGM_RSRC2:TIDIG_COMP_CNT: 0
	.section	.text._ZN7rocprim17ROCPRIM_400000_NS6detail17trampoline_kernelINS0_13select_configILj256ELj13ELNS0_17block_load_methodE3ELS4_3ELS4_3ELNS0_20block_scan_algorithmE0ELj4294967295EEENS1_25partition_config_selectorILNS1_17partition_subalgoE4EjNS0_10empty_typeEbEEZZNS1_14partition_implILS8_4ELb0ES6_15HIP_vector_typeIjLj2EENS0_17counting_iteratorIjlEEPS9_SG_NS0_5tupleIJPjSI_NS0_16reverse_iteratorISI_EEEEENSH_IJSG_SG_SG_EEES9_SI_JZNS1_25segmented_radix_sort_implINS0_14default_configELb1EPKhPhPKlPlN2at6native12_GLOBAL__N_18offset_tEEE10hipError_tPvRmT1_PNSt15iterator_traitsIS12_E10value_typeET2_T3_PNS13_IS18_E10value_typeET4_jRbjT5_S1E_jjP12ihipStream_tbEUljE_ZNSN_ISO_Lb1ESQ_SR_ST_SU_SY_EESZ_S10_S11_S12_S16_S17_S18_S1B_S1C_jS1D_jS1E_S1E_jjS1G_bEUljE0_EEESZ_S10_S11_S18_S1C_S1E_T6_T7_T9_mT8_S1G_bDpT10_ENKUlT_T0_E_clISt17integral_constantIbLb1EES1U_EEDaS1P_S1Q_EUlS1P_E_NS1_11comp_targetILNS1_3genE9ELNS1_11target_archE1100ELNS1_3gpuE3ELNS1_3repE0EEENS1_30default_config_static_selectorELNS0_4arch9wavefront6targetE0EEEvS12_,"axG",@progbits,_ZN7rocprim17ROCPRIM_400000_NS6detail17trampoline_kernelINS0_13select_configILj256ELj13ELNS0_17block_load_methodE3ELS4_3ELS4_3ELNS0_20block_scan_algorithmE0ELj4294967295EEENS1_25partition_config_selectorILNS1_17partition_subalgoE4EjNS0_10empty_typeEbEEZZNS1_14partition_implILS8_4ELb0ES6_15HIP_vector_typeIjLj2EENS0_17counting_iteratorIjlEEPS9_SG_NS0_5tupleIJPjSI_NS0_16reverse_iteratorISI_EEEEENSH_IJSG_SG_SG_EEES9_SI_JZNS1_25segmented_radix_sort_implINS0_14default_configELb1EPKhPhPKlPlN2at6native12_GLOBAL__N_18offset_tEEE10hipError_tPvRmT1_PNSt15iterator_traitsIS12_E10value_typeET2_T3_PNS13_IS18_E10value_typeET4_jRbjT5_S1E_jjP12ihipStream_tbEUljE_ZNSN_ISO_Lb1ESQ_SR_ST_SU_SY_EESZ_S10_S11_S12_S16_S17_S18_S1B_S1C_jS1D_jS1E_S1E_jjS1G_bEUljE0_EEESZ_S10_S11_S18_S1C_S1E_T6_T7_T9_mT8_S1G_bDpT10_ENKUlT_T0_E_clISt17integral_constantIbLb1EES1U_EEDaS1P_S1Q_EUlS1P_E_NS1_11comp_targetILNS1_3genE9ELNS1_11target_archE1100ELNS1_3gpuE3ELNS1_3repE0EEENS1_30default_config_static_selectorELNS0_4arch9wavefront6targetE0EEEvS12_,comdat
	.globl	_ZN7rocprim17ROCPRIM_400000_NS6detail17trampoline_kernelINS0_13select_configILj256ELj13ELNS0_17block_load_methodE3ELS4_3ELS4_3ELNS0_20block_scan_algorithmE0ELj4294967295EEENS1_25partition_config_selectorILNS1_17partition_subalgoE4EjNS0_10empty_typeEbEEZZNS1_14partition_implILS8_4ELb0ES6_15HIP_vector_typeIjLj2EENS0_17counting_iteratorIjlEEPS9_SG_NS0_5tupleIJPjSI_NS0_16reverse_iteratorISI_EEEEENSH_IJSG_SG_SG_EEES9_SI_JZNS1_25segmented_radix_sort_implINS0_14default_configELb1EPKhPhPKlPlN2at6native12_GLOBAL__N_18offset_tEEE10hipError_tPvRmT1_PNSt15iterator_traitsIS12_E10value_typeET2_T3_PNS13_IS18_E10value_typeET4_jRbjT5_S1E_jjP12ihipStream_tbEUljE_ZNSN_ISO_Lb1ESQ_SR_ST_SU_SY_EESZ_S10_S11_S12_S16_S17_S18_S1B_S1C_jS1D_jS1E_S1E_jjS1G_bEUljE0_EEESZ_S10_S11_S18_S1C_S1E_T6_T7_T9_mT8_S1G_bDpT10_ENKUlT_T0_E_clISt17integral_constantIbLb1EES1U_EEDaS1P_S1Q_EUlS1P_E_NS1_11comp_targetILNS1_3genE9ELNS1_11target_archE1100ELNS1_3gpuE3ELNS1_3repE0EEENS1_30default_config_static_selectorELNS0_4arch9wavefront6targetE0EEEvS12_ ; -- Begin function _ZN7rocprim17ROCPRIM_400000_NS6detail17trampoline_kernelINS0_13select_configILj256ELj13ELNS0_17block_load_methodE3ELS4_3ELS4_3ELNS0_20block_scan_algorithmE0ELj4294967295EEENS1_25partition_config_selectorILNS1_17partition_subalgoE4EjNS0_10empty_typeEbEEZZNS1_14partition_implILS8_4ELb0ES6_15HIP_vector_typeIjLj2EENS0_17counting_iteratorIjlEEPS9_SG_NS0_5tupleIJPjSI_NS0_16reverse_iteratorISI_EEEEENSH_IJSG_SG_SG_EEES9_SI_JZNS1_25segmented_radix_sort_implINS0_14default_configELb1EPKhPhPKlPlN2at6native12_GLOBAL__N_18offset_tEEE10hipError_tPvRmT1_PNSt15iterator_traitsIS12_E10value_typeET2_T3_PNS13_IS18_E10value_typeET4_jRbjT5_S1E_jjP12ihipStream_tbEUljE_ZNSN_ISO_Lb1ESQ_SR_ST_SU_SY_EESZ_S10_S11_S12_S16_S17_S18_S1B_S1C_jS1D_jS1E_S1E_jjS1G_bEUljE0_EEESZ_S10_S11_S18_S1C_S1E_T6_T7_T9_mT8_S1G_bDpT10_ENKUlT_T0_E_clISt17integral_constantIbLb1EES1U_EEDaS1P_S1Q_EUlS1P_E_NS1_11comp_targetILNS1_3genE9ELNS1_11target_archE1100ELNS1_3gpuE3ELNS1_3repE0EEENS1_30default_config_static_selectorELNS0_4arch9wavefront6targetE0EEEvS12_
	.p2align	8
	.type	_ZN7rocprim17ROCPRIM_400000_NS6detail17trampoline_kernelINS0_13select_configILj256ELj13ELNS0_17block_load_methodE3ELS4_3ELS4_3ELNS0_20block_scan_algorithmE0ELj4294967295EEENS1_25partition_config_selectorILNS1_17partition_subalgoE4EjNS0_10empty_typeEbEEZZNS1_14partition_implILS8_4ELb0ES6_15HIP_vector_typeIjLj2EENS0_17counting_iteratorIjlEEPS9_SG_NS0_5tupleIJPjSI_NS0_16reverse_iteratorISI_EEEEENSH_IJSG_SG_SG_EEES9_SI_JZNS1_25segmented_radix_sort_implINS0_14default_configELb1EPKhPhPKlPlN2at6native12_GLOBAL__N_18offset_tEEE10hipError_tPvRmT1_PNSt15iterator_traitsIS12_E10value_typeET2_T3_PNS13_IS18_E10value_typeET4_jRbjT5_S1E_jjP12ihipStream_tbEUljE_ZNSN_ISO_Lb1ESQ_SR_ST_SU_SY_EESZ_S10_S11_S12_S16_S17_S18_S1B_S1C_jS1D_jS1E_S1E_jjS1G_bEUljE0_EEESZ_S10_S11_S18_S1C_S1E_T6_T7_T9_mT8_S1G_bDpT10_ENKUlT_T0_E_clISt17integral_constantIbLb1EES1U_EEDaS1P_S1Q_EUlS1P_E_NS1_11comp_targetILNS1_3genE9ELNS1_11target_archE1100ELNS1_3gpuE3ELNS1_3repE0EEENS1_30default_config_static_selectorELNS0_4arch9wavefront6targetE0EEEvS12_,@function
_ZN7rocprim17ROCPRIM_400000_NS6detail17trampoline_kernelINS0_13select_configILj256ELj13ELNS0_17block_load_methodE3ELS4_3ELS4_3ELNS0_20block_scan_algorithmE0ELj4294967295EEENS1_25partition_config_selectorILNS1_17partition_subalgoE4EjNS0_10empty_typeEbEEZZNS1_14partition_implILS8_4ELb0ES6_15HIP_vector_typeIjLj2EENS0_17counting_iteratorIjlEEPS9_SG_NS0_5tupleIJPjSI_NS0_16reverse_iteratorISI_EEEEENSH_IJSG_SG_SG_EEES9_SI_JZNS1_25segmented_radix_sort_implINS0_14default_configELb1EPKhPhPKlPlN2at6native12_GLOBAL__N_18offset_tEEE10hipError_tPvRmT1_PNSt15iterator_traitsIS12_E10value_typeET2_T3_PNS13_IS18_E10value_typeET4_jRbjT5_S1E_jjP12ihipStream_tbEUljE_ZNSN_ISO_Lb1ESQ_SR_ST_SU_SY_EESZ_S10_S11_S12_S16_S17_S18_S1B_S1C_jS1D_jS1E_S1E_jjS1G_bEUljE0_EEESZ_S10_S11_S18_S1C_S1E_T6_T7_T9_mT8_S1G_bDpT10_ENKUlT_T0_E_clISt17integral_constantIbLb1EES1U_EEDaS1P_S1Q_EUlS1P_E_NS1_11comp_targetILNS1_3genE9ELNS1_11target_archE1100ELNS1_3gpuE3ELNS1_3repE0EEENS1_30default_config_static_selectorELNS0_4arch9wavefront6targetE0EEEvS12_: ; @_ZN7rocprim17ROCPRIM_400000_NS6detail17trampoline_kernelINS0_13select_configILj256ELj13ELNS0_17block_load_methodE3ELS4_3ELS4_3ELNS0_20block_scan_algorithmE0ELj4294967295EEENS1_25partition_config_selectorILNS1_17partition_subalgoE4EjNS0_10empty_typeEbEEZZNS1_14partition_implILS8_4ELb0ES6_15HIP_vector_typeIjLj2EENS0_17counting_iteratorIjlEEPS9_SG_NS0_5tupleIJPjSI_NS0_16reverse_iteratorISI_EEEEENSH_IJSG_SG_SG_EEES9_SI_JZNS1_25segmented_radix_sort_implINS0_14default_configELb1EPKhPhPKlPlN2at6native12_GLOBAL__N_18offset_tEEE10hipError_tPvRmT1_PNSt15iterator_traitsIS12_E10value_typeET2_T3_PNS13_IS18_E10value_typeET4_jRbjT5_S1E_jjP12ihipStream_tbEUljE_ZNSN_ISO_Lb1ESQ_SR_ST_SU_SY_EESZ_S10_S11_S12_S16_S17_S18_S1B_S1C_jS1D_jS1E_S1E_jjS1G_bEUljE0_EEESZ_S10_S11_S18_S1C_S1E_T6_T7_T9_mT8_S1G_bDpT10_ENKUlT_T0_E_clISt17integral_constantIbLb1EES1U_EEDaS1P_S1Q_EUlS1P_E_NS1_11comp_targetILNS1_3genE9ELNS1_11target_archE1100ELNS1_3gpuE3ELNS1_3repE0EEENS1_30default_config_static_selectorELNS0_4arch9wavefront6targetE0EEEvS12_
; %bb.0:
	.section	.rodata,"a",@progbits
	.p2align	6, 0x0
	.amdhsa_kernel _ZN7rocprim17ROCPRIM_400000_NS6detail17trampoline_kernelINS0_13select_configILj256ELj13ELNS0_17block_load_methodE3ELS4_3ELS4_3ELNS0_20block_scan_algorithmE0ELj4294967295EEENS1_25partition_config_selectorILNS1_17partition_subalgoE4EjNS0_10empty_typeEbEEZZNS1_14partition_implILS8_4ELb0ES6_15HIP_vector_typeIjLj2EENS0_17counting_iteratorIjlEEPS9_SG_NS0_5tupleIJPjSI_NS0_16reverse_iteratorISI_EEEEENSH_IJSG_SG_SG_EEES9_SI_JZNS1_25segmented_radix_sort_implINS0_14default_configELb1EPKhPhPKlPlN2at6native12_GLOBAL__N_18offset_tEEE10hipError_tPvRmT1_PNSt15iterator_traitsIS12_E10value_typeET2_T3_PNS13_IS18_E10value_typeET4_jRbjT5_S1E_jjP12ihipStream_tbEUljE_ZNSN_ISO_Lb1ESQ_SR_ST_SU_SY_EESZ_S10_S11_S12_S16_S17_S18_S1B_S1C_jS1D_jS1E_S1E_jjS1G_bEUljE0_EEESZ_S10_S11_S18_S1C_S1E_T6_T7_T9_mT8_S1G_bDpT10_ENKUlT_T0_E_clISt17integral_constantIbLb1EES1U_EEDaS1P_S1Q_EUlS1P_E_NS1_11comp_targetILNS1_3genE9ELNS1_11target_archE1100ELNS1_3gpuE3ELNS1_3repE0EEENS1_30default_config_static_selectorELNS0_4arch9wavefront6targetE0EEEvS12_
		.amdhsa_group_segment_fixed_size 0
		.amdhsa_private_segment_fixed_size 0
		.amdhsa_kernarg_size 184
		.amdhsa_user_sgpr_count 2
		.amdhsa_user_sgpr_dispatch_ptr 0
		.amdhsa_user_sgpr_queue_ptr 0
		.amdhsa_user_sgpr_kernarg_segment_ptr 1
		.amdhsa_user_sgpr_dispatch_id 0
		.amdhsa_user_sgpr_private_segment_size 0
		.amdhsa_wavefront_size32 1
		.amdhsa_uses_dynamic_stack 0
		.amdhsa_enable_private_segment 0
		.amdhsa_system_sgpr_workgroup_id_x 1
		.amdhsa_system_sgpr_workgroup_id_y 0
		.amdhsa_system_sgpr_workgroup_id_z 0
		.amdhsa_system_sgpr_workgroup_info 0
		.amdhsa_system_vgpr_workitem_id 0
		.amdhsa_next_free_vgpr 1
		.amdhsa_next_free_sgpr 1
		.amdhsa_reserve_vcc 0
		.amdhsa_float_round_mode_32 0
		.amdhsa_float_round_mode_16_64 0
		.amdhsa_float_denorm_mode_32 3
		.amdhsa_float_denorm_mode_16_64 3
		.amdhsa_fp16_overflow 0
		.amdhsa_workgroup_processor_mode 1
		.amdhsa_memory_ordered 1
		.amdhsa_forward_progress 1
		.amdhsa_inst_pref_size 0
		.amdhsa_round_robin_scheduling 0
		.amdhsa_exception_fp_ieee_invalid_op 0
		.amdhsa_exception_fp_denorm_src 0
		.amdhsa_exception_fp_ieee_div_zero 0
		.amdhsa_exception_fp_ieee_overflow 0
		.amdhsa_exception_fp_ieee_underflow 0
		.amdhsa_exception_fp_ieee_inexact 0
		.amdhsa_exception_int_div_zero 0
	.end_amdhsa_kernel
	.section	.text._ZN7rocprim17ROCPRIM_400000_NS6detail17trampoline_kernelINS0_13select_configILj256ELj13ELNS0_17block_load_methodE3ELS4_3ELS4_3ELNS0_20block_scan_algorithmE0ELj4294967295EEENS1_25partition_config_selectorILNS1_17partition_subalgoE4EjNS0_10empty_typeEbEEZZNS1_14partition_implILS8_4ELb0ES6_15HIP_vector_typeIjLj2EENS0_17counting_iteratorIjlEEPS9_SG_NS0_5tupleIJPjSI_NS0_16reverse_iteratorISI_EEEEENSH_IJSG_SG_SG_EEES9_SI_JZNS1_25segmented_radix_sort_implINS0_14default_configELb1EPKhPhPKlPlN2at6native12_GLOBAL__N_18offset_tEEE10hipError_tPvRmT1_PNSt15iterator_traitsIS12_E10value_typeET2_T3_PNS13_IS18_E10value_typeET4_jRbjT5_S1E_jjP12ihipStream_tbEUljE_ZNSN_ISO_Lb1ESQ_SR_ST_SU_SY_EESZ_S10_S11_S12_S16_S17_S18_S1B_S1C_jS1D_jS1E_S1E_jjS1G_bEUljE0_EEESZ_S10_S11_S18_S1C_S1E_T6_T7_T9_mT8_S1G_bDpT10_ENKUlT_T0_E_clISt17integral_constantIbLb1EES1U_EEDaS1P_S1Q_EUlS1P_E_NS1_11comp_targetILNS1_3genE9ELNS1_11target_archE1100ELNS1_3gpuE3ELNS1_3repE0EEENS1_30default_config_static_selectorELNS0_4arch9wavefront6targetE0EEEvS12_,"axG",@progbits,_ZN7rocprim17ROCPRIM_400000_NS6detail17trampoline_kernelINS0_13select_configILj256ELj13ELNS0_17block_load_methodE3ELS4_3ELS4_3ELNS0_20block_scan_algorithmE0ELj4294967295EEENS1_25partition_config_selectorILNS1_17partition_subalgoE4EjNS0_10empty_typeEbEEZZNS1_14partition_implILS8_4ELb0ES6_15HIP_vector_typeIjLj2EENS0_17counting_iteratorIjlEEPS9_SG_NS0_5tupleIJPjSI_NS0_16reverse_iteratorISI_EEEEENSH_IJSG_SG_SG_EEES9_SI_JZNS1_25segmented_radix_sort_implINS0_14default_configELb1EPKhPhPKlPlN2at6native12_GLOBAL__N_18offset_tEEE10hipError_tPvRmT1_PNSt15iterator_traitsIS12_E10value_typeET2_T3_PNS13_IS18_E10value_typeET4_jRbjT5_S1E_jjP12ihipStream_tbEUljE_ZNSN_ISO_Lb1ESQ_SR_ST_SU_SY_EESZ_S10_S11_S12_S16_S17_S18_S1B_S1C_jS1D_jS1E_S1E_jjS1G_bEUljE0_EEESZ_S10_S11_S18_S1C_S1E_T6_T7_T9_mT8_S1G_bDpT10_ENKUlT_T0_E_clISt17integral_constantIbLb1EES1U_EEDaS1P_S1Q_EUlS1P_E_NS1_11comp_targetILNS1_3genE9ELNS1_11target_archE1100ELNS1_3gpuE3ELNS1_3repE0EEENS1_30default_config_static_selectorELNS0_4arch9wavefront6targetE0EEEvS12_,comdat
.Lfunc_end27:
	.size	_ZN7rocprim17ROCPRIM_400000_NS6detail17trampoline_kernelINS0_13select_configILj256ELj13ELNS0_17block_load_methodE3ELS4_3ELS4_3ELNS0_20block_scan_algorithmE0ELj4294967295EEENS1_25partition_config_selectorILNS1_17partition_subalgoE4EjNS0_10empty_typeEbEEZZNS1_14partition_implILS8_4ELb0ES6_15HIP_vector_typeIjLj2EENS0_17counting_iteratorIjlEEPS9_SG_NS0_5tupleIJPjSI_NS0_16reverse_iteratorISI_EEEEENSH_IJSG_SG_SG_EEES9_SI_JZNS1_25segmented_radix_sort_implINS0_14default_configELb1EPKhPhPKlPlN2at6native12_GLOBAL__N_18offset_tEEE10hipError_tPvRmT1_PNSt15iterator_traitsIS12_E10value_typeET2_T3_PNS13_IS18_E10value_typeET4_jRbjT5_S1E_jjP12ihipStream_tbEUljE_ZNSN_ISO_Lb1ESQ_SR_ST_SU_SY_EESZ_S10_S11_S12_S16_S17_S18_S1B_S1C_jS1D_jS1E_S1E_jjS1G_bEUljE0_EEESZ_S10_S11_S18_S1C_S1E_T6_T7_T9_mT8_S1G_bDpT10_ENKUlT_T0_E_clISt17integral_constantIbLb1EES1U_EEDaS1P_S1Q_EUlS1P_E_NS1_11comp_targetILNS1_3genE9ELNS1_11target_archE1100ELNS1_3gpuE3ELNS1_3repE0EEENS1_30default_config_static_selectorELNS0_4arch9wavefront6targetE0EEEvS12_, .Lfunc_end27-_ZN7rocprim17ROCPRIM_400000_NS6detail17trampoline_kernelINS0_13select_configILj256ELj13ELNS0_17block_load_methodE3ELS4_3ELS4_3ELNS0_20block_scan_algorithmE0ELj4294967295EEENS1_25partition_config_selectorILNS1_17partition_subalgoE4EjNS0_10empty_typeEbEEZZNS1_14partition_implILS8_4ELb0ES6_15HIP_vector_typeIjLj2EENS0_17counting_iteratorIjlEEPS9_SG_NS0_5tupleIJPjSI_NS0_16reverse_iteratorISI_EEEEENSH_IJSG_SG_SG_EEES9_SI_JZNS1_25segmented_radix_sort_implINS0_14default_configELb1EPKhPhPKlPlN2at6native12_GLOBAL__N_18offset_tEEE10hipError_tPvRmT1_PNSt15iterator_traitsIS12_E10value_typeET2_T3_PNS13_IS18_E10value_typeET4_jRbjT5_S1E_jjP12ihipStream_tbEUljE_ZNSN_ISO_Lb1ESQ_SR_ST_SU_SY_EESZ_S10_S11_S12_S16_S17_S18_S1B_S1C_jS1D_jS1E_S1E_jjS1G_bEUljE0_EEESZ_S10_S11_S18_S1C_S1E_T6_T7_T9_mT8_S1G_bDpT10_ENKUlT_T0_E_clISt17integral_constantIbLb1EES1U_EEDaS1P_S1Q_EUlS1P_E_NS1_11comp_targetILNS1_3genE9ELNS1_11target_archE1100ELNS1_3gpuE3ELNS1_3repE0EEENS1_30default_config_static_selectorELNS0_4arch9wavefront6targetE0EEEvS12_
                                        ; -- End function
	.set _ZN7rocprim17ROCPRIM_400000_NS6detail17trampoline_kernelINS0_13select_configILj256ELj13ELNS0_17block_load_methodE3ELS4_3ELS4_3ELNS0_20block_scan_algorithmE0ELj4294967295EEENS1_25partition_config_selectorILNS1_17partition_subalgoE4EjNS0_10empty_typeEbEEZZNS1_14partition_implILS8_4ELb0ES6_15HIP_vector_typeIjLj2EENS0_17counting_iteratorIjlEEPS9_SG_NS0_5tupleIJPjSI_NS0_16reverse_iteratorISI_EEEEENSH_IJSG_SG_SG_EEES9_SI_JZNS1_25segmented_radix_sort_implINS0_14default_configELb1EPKhPhPKlPlN2at6native12_GLOBAL__N_18offset_tEEE10hipError_tPvRmT1_PNSt15iterator_traitsIS12_E10value_typeET2_T3_PNS13_IS18_E10value_typeET4_jRbjT5_S1E_jjP12ihipStream_tbEUljE_ZNSN_ISO_Lb1ESQ_SR_ST_SU_SY_EESZ_S10_S11_S12_S16_S17_S18_S1B_S1C_jS1D_jS1E_S1E_jjS1G_bEUljE0_EEESZ_S10_S11_S18_S1C_S1E_T6_T7_T9_mT8_S1G_bDpT10_ENKUlT_T0_E_clISt17integral_constantIbLb1EES1U_EEDaS1P_S1Q_EUlS1P_E_NS1_11comp_targetILNS1_3genE9ELNS1_11target_archE1100ELNS1_3gpuE3ELNS1_3repE0EEENS1_30default_config_static_selectorELNS0_4arch9wavefront6targetE0EEEvS12_.num_vgpr, 0
	.set _ZN7rocprim17ROCPRIM_400000_NS6detail17trampoline_kernelINS0_13select_configILj256ELj13ELNS0_17block_load_methodE3ELS4_3ELS4_3ELNS0_20block_scan_algorithmE0ELj4294967295EEENS1_25partition_config_selectorILNS1_17partition_subalgoE4EjNS0_10empty_typeEbEEZZNS1_14partition_implILS8_4ELb0ES6_15HIP_vector_typeIjLj2EENS0_17counting_iteratorIjlEEPS9_SG_NS0_5tupleIJPjSI_NS0_16reverse_iteratorISI_EEEEENSH_IJSG_SG_SG_EEES9_SI_JZNS1_25segmented_radix_sort_implINS0_14default_configELb1EPKhPhPKlPlN2at6native12_GLOBAL__N_18offset_tEEE10hipError_tPvRmT1_PNSt15iterator_traitsIS12_E10value_typeET2_T3_PNS13_IS18_E10value_typeET4_jRbjT5_S1E_jjP12ihipStream_tbEUljE_ZNSN_ISO_Lb1ESQ_SR_ST_SU_SY_EESZ_S10_S11_S12_S16_S17_S18_S1B_S1C_jS1D_jS1E_S1E_jjS1G_bEUljE0_EEESZ_S10_S11_S18_S1C_S1E_T6_T7_T9_mT8_S1G_bDpT10_ENKUlT_T0_E_clISt17integral_constantIbLb1EES1U_EEDaS1P_S1Q_EUlS1P_E_NS1_11comp_targetILNS1_3genE9ELNS1_11target_archE1100ELNS1_3gpuE3ELNS1_3repE0EEENS1_30default_config_static_selectorELNS0_4arch9wavefront6targetE0EEEvS12_.num_agpr, 0
	.set _ZN7rocprim17ROCPRIM_400000_NS6detail17trampoline_kernelINS0_13select_configILj256ELj13ELNS0_17block_load_methodE3ELS4_3ELS4_3ELNS0_20block_scan_algorithmE0ELj4294967295EEENS1_25partition_config_selectorILNS1_17partition_subalgoE4EjNS0_10empty_typeEbEEZZNS1_14partition_implILS8_4ELb0ES6_15HIP_vector_typeIjLj2EENS0_17counting_iteratorIjlEEPS9_SG_NS0_5tupleIJPjSI_NS0_16reverse_iteratorISI_EEEEENSH_IJSG_SG_SG_EEES9_SI_JZNS1_25segmented_radix_sort_implINS0_14default_configELb1EPKhPhPKlPlN2at6native12_GLOBAL__N_18offset_tEEE10hipError_tPvRmT1_PNSt15iterator_traitsIS12_E10value_typeET2_T3_PNS13_IS18_E10value_typeET4_jRbjT5_S1E_jjP12ihipStream_tbEUljE_ZNSN_ISO_Lb1ESQ_SR_ST_SU_SY_EESZ_S10_S11_S12_S16_S17_S18_S1B_S1C_jS1D_jS1E_S1E_jjS1G_bEUljE0_EEESZ_S10_S11_S18_S1C_S1E_T6_T7_T9_mT8_S1G_bDpT10_ENKUlT_T0_E_clISt17integral_constantIbLb1EES1U_EEDaS1P_S1Q_EUlS1P_E_NS1_11comp_targetILNS1_3genE9ELNS1_11target_archE1100ELNS1_3gpuE3ELNS1_3repE0EEENS1_30default_config_static_selectorELNS0_4arch9wavefront6targetE0EEEvS12_.numbered_sgpr, 0
	.set _ZN7rocprim17ROCPRIM_400000_NS6detail17trampoline_kernelINS0_13select_configILj256ELj13ELNS0_17block_load_methodE3ELS4_3ELS4_3ELNS0_20block_scan_algorithmE0ELj4294967295EEENS1_25partition_config_selectorILNS1_17partition_subalgoE4EjNS0_10empty_typeEbEEZZNS1_14partition_implILS8_4ELb0ES6_15HIP_vector_typeIjLj2EENS0_17counting_iteratorIjlEEPS9_SG_NS0_5tupleIJPjSI_NS0_16reverse_iteratorISI_EEEEENSH_IJSG_SG_SG_EEES9_SI_JZNS1_25segmented_radix_sort_implINS0_14default_configELb1EPKhPhPKlPlN2at6native12_GLOBAL__N_18offset_tEEE10hipError_tPvRmT1_PNSt15iterator_traitsIS12_E10value_typeET2_T3_PNS13_IS18_E10value_typeET4_jRbjT5_S1E_jjP12ihipStream_tbEUljE_ZNSN_ISO_Lb1ESQ_SR_ST_SU_SY_EESZ_S10_S11_S12_S16_S17_S18_S1B_S1C_jS1D_jS1E_S1E_jjS1G_bEUljE0_EEESZ_S10_S11_S18_S1C_S1E_T6_T7_T9_mT8_S1G_bDpT10_ENKUlT_T0_E_clISt17integral_constantIbLb1EES1U_EEDaS1P_S1Q_EUlS1P_E_NS1_11comp_targetILNS1_3genE9ELNS1_11target_archE1100ELNS1_3gpuE3ELNS1_3repE0EEENS1_30default_config_static_selectorELNS0_4arch9wavefront6targetE0EEEvS12_.num_named_barrier, 0
	.set _ZN7rocprim17ROCPRIM_400000_NS6detail17trampoline_kernelINS0_13select_configILj256ELj13ELNS0_17block_load_methodE3ELS4_3ELS4_3ELNS0_20block_scan_algorithmE0ELj4294967295EEENS1_25partition_config_selectorILNS1_17partition_subalgoE4EjNS0_10empty_typeEbEEZZNS1_14partition_implILS8_4ELb0ES6_15HIP_vector_typeIjLj2EENS0_17counting_iteratorIjlEEPS9_SG_NS0_5tupleIJPjSI_NS0_16reverse_iteratorISI_EEEEENSH_IJSG_SG_SG_EEES9_SI_JZNS1_25segmented_radix_sort_implINS0_14default_configELb1EPKhPhPKlPlN2at6native12_GLOBAL__N_18offset_tEEE10hipError_tPvRmT1_PNSt15iterator_traitsIS12_E10value_typeET2_T3_PNS13_IS18_E10value_typeET4_jRbjT5_S1E_jjP12ihipStream_tbEUljE_ZNSN_ISO_Lb1ESQ_SR_ST_SU_SY_EESZ_S10_S11_S12_S16_S17_S18_S1B_S1C_jS1D_jS1E_S1E_jjS1G_bEUljE0_EEESZ_S10_S11_S18_S1C_S1E_T6_T7_T9_mT8_S1G_bDpT10_ENKUlT_T0_E_clISt17integral_constantIbLb1EES1U_EEDaS1P_S1Q_EUlS1P_E_NS1_11comp_targetILNS1_3genE9ELNS1_11target_archE1100ELNS1_3gpuE3ELNS1_3repE0EEENS1_30default_config_static_selectorELNS0_4arch9wavefront6targetE0EEEvS12_.private_seg_size, 0
	.set _ZN7rocprim17ROCPRIM_400000_NS6detail17trampoline_kernelINS0_13select_configILj256ELj13ELNS0_17block_load_methodE3ELS4_3ELS4_3ELNS0_20block_scan_algorithmE0ELj4294967295EEENS1_25partition_config_selectorILNS1_17partition_subalgoE4EjNS0_10empty_typeEbEEZZNS1_14partition_implILS8_4ELb0ES6_15HIP_vector_typeIjLj2EENS0_17counting_iteratorIjlEEPS9_SG_NS0_5tupleIJPjSI_NS0_16reverse_iteratorISI_EEEEENSH_IJSG_SG_SG_EEES9_SI_JZNS1_25segmented_radix_sort_implINS0_14default_configELb1EPKhPhPKlPlN2at6native12_GLOBAL__N_18offset_tEEE10hipError_tPvRmT1_PNSt15iterator_traitsIS12_E10value_typeET2_T3_PNS13_IS18_E10value_typeET4_jRbjT5_S1E_jjP12ihipStream_tbEUljE_ZNSN_ISO_Lb1ESQ_SR_ST_SU_SY_EESZ_S10_S11_S12_S16_S17_S18_S1B_S1C_jS1D_jS1E_S1E_jjS1G_bEUljE0_EEESZ_S10_S11_S18_S1C_S1E_T6_T7_T9_mT8_S1G_bDpT10_ENKUlT_T0_E_clISt17integral_constantIbLb1EES1U_EEDaS1P_S1Q_EUlS1P_E_NS1_11comp_targetILNS1_3genE9ELNS1_11target_archE1100ELNS1_3gpuE3ELNS1_3repE0EEENS1_30default_config_static_selectorELNS0_4arch9wavefront6targetE0EEEvS12_.uses_vcc, 0
	.set _ZN7rocprim17ROCPRIM_400000_NS6detail17trampoline_kernelINS0_13select_configILj256ELj13ELNS0_17block_load_methodE3ELS4_3ELS4_3ELNS0_20block_scan_algorithmE0ELj4294967295EEENS1_25partition_config_selectorILNS1_17partition_subalgoE4EjNS0_10empty_typeEbEEZZNS1_14partition_implILS8_4ELb0ES6_15HIP_vector_typeIjLj2EENS0_17counting_iteratorIjlEEPS9_SG_NS0_5tupleIJPjSI_NS0_16reverse_iteratorISI_EEEEENSH_IJSG_SG_SG_EEES9_SI_JZNS1_25segmented_radix_sort_implINS0_14default_configELb1EPKhPhPKlPlN2at6native12_GLOBAL__N_18offset_tEEE10hipError_tPvRmT1_PNSt15iterator_traitsIS12_E10value_typeET2_T3_PNS13_IS18_E10value_typeET4_jRbjT5_S1E_jjP12ihipStream_tbEUljE_ZNSN_ISO_Lb1ESQ_SR_ST_SU_SY_EESZ_S10_S11_S12_S16_S17_S18_S1B_S1C_jS1D_jS1E_S1E_jjS1G_bEUljE0_EEESZ_S10_S11_S18_S1C_S1E_T6_T7_T9_mT8_S1G_bDpT10_ENKUlT_T0_E_clISt17integral_constantIbLb1EES1U_EEDaS1P_S1Q_EUlS1P_E_NS1_11comp_targetILNS1_3genE9ELNS1_11target_archE1100ELNS1_3gpuE3ELNS1_3repE0EEENS1_30default_config_static_selectorELNS0_4arch9wavefront6targetE0EEEvS12_.uses_flat_scratch, 0
	.set _ZN7rocprim17ROCPRIM_400000_NS6detail17trampoline_kernelINS0_13select_configILj256ELj13ELNS0_17block_load_methodE3ELS4_3ELS4_3ELNS0_20block_scan_algorithmE0ELj4294967295EEENS1_25partition_config_selectorILNS1_17partition_subalgoE4EjNS0_10empty_typeEbEEZZNS1_14partition_implILS8_4ELb0ES6_15HIP_vector_typeIjLj2EENS0_17counting_iteratorIjlEEPS9_SG_NS0_5tupleIJPjSI_NS0_16reverse_iteratorISI_EEEEENSH_IJSG_SG_SG_EEES9_SI_JZNS1_25segmented_radix_sort_implINS0_14default_configELb1EPKhPhPKlPlN2at6native12_GLOBAL__N_18offset_tEEE10hipError_tPvRmT1_PNSt15iterator_traitsIS12_E10value_typeET2_T3_PNS13_IS18_E10value_typeET4_jRbjT5_S1E_jjP12ihipStream_tbEUljE_ZNSN_ISO_Lb1ESQ_SR_ST_SU_SY_EESZ_S10_S11_S12_S16_S17_S18_S1B_S1C_jS1D_jS1E_S1E_jjS1G_bEUljE0_EEESZ_S10_S11_S18_S1C_S1E_T6_T7_T9_mT8_S1G_bDpT10_ENKUlT_T0_E_clISt17integral_constantIbLb1EES1U_EEDaS1P_S1Q_EUlS1P_E_NS1_11comp_targetILNS1_3genE9ELNS1_11target_archE1100ELNS1_3gpuE3ELNS1_3repE0EEENS1_30default_config_static_selectorELNS0_4arch9wavefront6targetE0EEEvS12_.has_dyn_sized_stack, 0
	.set _ZN7rocprim17ROCPRIM_400000_NS6detail17trampoline_kernelINS0_13select_configILj256ELj13ELNS0_17block_load_methodE3ELS4_3ELS4_3ELNS0_20block_scan_algorithmE0ELj4294967295EEENS1_25partition_config_selectorILNS1_17partition_subalgoE4EjNS0_10empty_typeEbEEZZNS1_14partition_implILS8_4ELb0ES6_15HIP_vector_typeIjLj2EENS0_17counting_iteratorIjlEEPS9_SG_NS0_5tupleIJPjSI_NS0_16reverse_iteratorISI_EEEEENSH_IJSG_SG_SG_EEES9_SI_JZNS1_25segmented_radix_sort_implINS0_14default_configELb1EPKhPhPKlPlN2at6native12_GLOBAL__N_18offset_tEEE10hipError_tPvRmT1_PNSt15iterator_traitsIS12_E10value_typeET2_T3_PNS13_IS18_E10value_typeET4_jRbjT5_S1E_jjP12ihipStream_tbEUljE_ZNSN_ISO_Lb1ESQ_SR_ST_SU_SY_EESZ_S10_S11_S12_S16_S17_S18_S1B_S1C_jS1D_jS1E_S1E_jjS1G_bEUljE0_EEESZ_S10_S11_S18_S1C_S1E_T6_T7_T9_mT8_S1G_bDpT10_ENKUlT_T0_E_clISt17integral_constantIbLb1EES1U_EEDaS1P_S1Q_EUlS1P_E_NS1_11comp_targetILNS1_3genE9ELNS1_11target_archE1100ELNS1_3gpuE3ELNS1_3repE0EEENS1_30default_config_static_selectorELNS0_4arch9wavefront6targetE0EEEvS12_.has_recursion, 0
	.set _ZN7rocprim17ROCPRIM_400000_NS6detail17trampoline_kernelINS0_13select_configILj256ELj13ELNS0_17block_load_methodE3ELS4_3ELS4_3ELNS0_20block_scan_algorithmE0ELj4294967295EEENS1_25partition_config_selectorILNS1_17partition_subalgoE4EjNS0_10empty_typeEbEEZZNS1_14partition_implILS8_4ELb0ES6_15HIP_vector_typeIjLj2EENS0_17counting_iteratorIjlEEPS9_SG_NS0_5tupleIJPjSI_NS0_16reverse_iteratorISI_EEEEENSH_IJSG_SG_SG_EEES9_SI_JZNS1_25segmented_radix_sort_implINS0_14default_configELb1EPKhPhPKlPlN2at6native12_GLOBAL__N_18offset_tEEE10hipError_tPvRmT1_PNSt15iterator_traitsIS12_E10value_typeET2_T3_PNS13_IS18_E10value_typeET4_jRbjT5_S1E_jjP12ihipStream_tbEUljE_ZNSN_ISO_Lb1ESQ_SR_ST_SU_SY_EESZ_S10_S11_S12_S16_S17_S18_S1B_S1C_jS1D_jS1E_S1E_jjS1G_bEUljE0_EEESZ_S10_S11_S18_S1C_S1E_T6_T7_T9_mT8_S1G_bDpT10_ENKUlT_T0_E_clISt17integral_constantIbLb1EES1U_EEDaS1P_S1Q_EUlS1P_E_NS1_11comp_targetILNS1_3genE9ELNS1_11target_archE1100ELNS1_3gpuE3ELNS1_3repE0EEENS1_30default_config_static_selectorELNS0_4arch9wavefront6targetE0EEEvS12_.has_indirect_call, 0
	.section	.AMDGPU.csdata,"",@progbits
; Kernel info:
; codeLenInByte = 0
; TotalNumSgprs: 0
; NumVgprs: 0
; ScratchSize: 0
; MemoryBound: 0
; FloatMode: 240
; IeeeMode: 1
; LDSByteSize: 0 bytes/workgroup (compile time only)
; SGPRBlocks: 0
; VGPRBlocks: 0
; NumSGPRsForWavesPerEU: 1
; NumVGPRsForWavesPerEU: 1
; Occupancy: 16
; WaveLimiterHint : 0
; COMPUTE_PGM_RSRC2:SCRATCH_EN: 0
; COMPUTE_PGM_RSRC2:USER_SGPR: 2
; COMPUTE_PGM_RSRC2:TRAP_HANDLER: 0
; COMPUTE_PGM_RSRC2:TGID_X_EN: 1
; COMPUTE_PGM_RSRC2:TGID_Y_EN: 0
; COMPUTE_PGM_RSRC2:TGID_Z_EN: 0
; COMPUTE_PGM_RSRC2:TIDIG_COMP_CNT: 0
	.section	.text._ZN7rocprim17ROCPRIM_400000_NS6detail17trampoline_kernelINS0_13select_configILj256ELj13ELNS0_17block_load_methodE3ELS4_3ELS4_3ELNS0_20block_scan_algorithmE0ELj4294967295EEENS1_25partition_config_selectorILNS1_17partition_subalgoE4EjNS0_10empty_typeEbEEZZNS1_14partition_implILS8_4ELb0ES6_15HIP_vector_typeIjLj2EENS0_17counting_iteratorIjlEEPS9_SG_NS0_5tupleIJPjSI_NS0_16reverse_iteratorISI_EEEEENSH_IJSG_SG_SG_EEES9_SI_JZNS1_25segmented_radix_sort_implINS0_14default_configELb1EPKhPhPKlPlN2at6native12_GLOBAL__N_18offset_tEEE10hipError_tPvRmT1_PNSt15iterator_traitsIS12_E10value_typeET2_T3_PNS13_IS18_E10value_typeET4_jRbjT5_S1E_jjP12ihipStream_tbEUljE_ZNSN_ISO_Lb1ESQ_SR_ST_SU_SY_EESZ_S10_S11_S12_S16_S17_S18_S1B_S1C_jS1D_jS1E_S1E_jjS1G_bEUljE0_EEESZ_S10_S11_S18_S1C_S1E_T6_T7_T9_mT8_S1G_bDpT10_ENKUlT_T0_E_clISt17integral_constantIbLb1EES1U_EEDaS1P_S1Q_EUlS1P_E_NS1_11comp_targetILNS1_3genE8ELNS1_11target_archE1030ELNS1_3gpuE2ELNS1_3repE0EEENS1_30default_config_static_selectorELNS0_4arch9wavefront6targetE0EEEvS12_,"axG",@progbits,_ZN7rocprim17ROCPRIM_400000_NS6detail17trampoline_kernelINS0_13select_configILj256ELj13ELNS0_17block_load_methodE3ELS4_3ELS4_3ELNS0_20block_scan_algorithmE0ELj4294967295EEENS1_25partition_config_selectorILNS1_17partition_subalgoE4EjNS0_10empty_typeEbEEZZNS1_14partition_implILS8_4ELb0ES6_15HIP_vector_typeIjLj2EENS0_17counting_iteratorIjlEEPS9_SG_NS0_5tupleIJPjSI_NS0_16reverse_iteratorISI_EEEEENSH_IJSG_SG_SG_EEES9_SI_JZNS1_25segmented_radix_sort_implINS0_14default_configELb1EPKhPhPKlPlN2at6native12_GLOBAL__N_18offset_tEEE10hipError_tPvRmT1_PNSt15iterator_traitsIS12_E10value_typeET2_T3_PNS13_IS18_E10value_typeET4_jRbjT5_S1E_jjP12ihipStream_tbEUljE_ZNSN_ISO_Lb1ESQ_SR_ST_SU_SY_EESZ_S10_S11_S12_S16_S17_S18_S1B_S1C_jS1D_jS1E_S1E_jjS1G_bEUljE0_EEESZ_S10_S11_S18_S1C_S1E_T6_T7_T9_mT8_S1G_bDpT10_ENKUlT_T0_E_clISt17integral_constantIbLb1EES1U_EEDaS1P_S1Q_EUlS1P_E_NS1_11comp_targetILNS1_3genE8ELNS1_11target_archE1030ELNS1_3gpuE2ELNS1_3repE0EEENS1_30default_config_static_selectorELNS0_4arch9wavefront6targetE0EEEvS12_,comdat
	.globl	_ZN7rocprim17ROCPRIM_400000_NS6detail17trampoline_kernelINS0_13select_configILj256ELj13ELNS0_17block_load_methodE3ELS4_3ELS4_3ELNS0_20block_scan_algorithmE0ELj4294967295EEENS1_25partition_config_selectorILNS1_17partition_subalgoE4EjNS0_10empty_typeEbEEZZNS1_14partition_implILS8_4ELb0ES6_15HIP_vector_typeIjLj2EENS0_17counting_iteratorIjlEEPS9_SG_NS0_5tupleIJPjSI_NS0_16reverse_iteratorISI_EEEEENSH_IJSG_SG_SG_EEES9_SI_JZNS1_25segmented_radix_sort_implINS0_14default_configELb1EPKhPhPKlPlN2at6native12_GLOBAL__N_18offset_tEEE10hipError_tPvRmT1_PNSt15iterator_traitsIS12_E10value_typeET2_T3_PNS13_IS18_E10value_typeET4_jRbjT5_S1E_jjP12ihipStream_tbEUljE_ZNSN_ISO_Lb1ESQ_SR_ST_SU_SY_EESZ_S10_S11_S12_S16_S17_S18_S1B_S1C_jS1D_jS1E_S1E_jjS1G_bEUljE0_EEESZ_S10_S11_S18_S1C_S1E_T6_T7_T9_mT8_S1G_bDpT10_ENKUlT_T0_E_clISt17integral_constantIbLb1EES1U_EEDaS1P_S1Q_EUlS1P_E_NS1_11comp_targetILNS1_3genE8ELNS1_11target_archE1030ELNS1_3gpuE2ELNS1_3repE0EEENS1_30default_config_static_selectorELNS0_4arch9wavefront6targetE0EEEvS12_ ; -- Begin function _ZN7rocprim17ROCPRIM_400000_NS6detail17trampoline_kernelINS0_13select_configILj256ELj13ELNS0_17block_load_methodE3ELS4_3ELS4_3ELNS0_20block_scan_algorithmE0ELj4294967295EEENS1_25partition_config_selectorILNS1_17partition_subalgoE4EjNS0_10empty_typeEbEEZZNS1_14partition_implILS8_4ELb0ES6_15HIP_vector_typeIjLj2EENS0_17counting_iteratorIjlEEPS9_SG_NS0_5tupleIJPjSI_NS0_16reverse_iteratorISI_EEEEENSH_IJSG_SG_SG_EEES9_SI_JZNS1_25segmented_radix_sort_implINS0_14default_configELb1EPKhPhPKlPlN2at6native12_GLOBAL__N_18offset_tEEE10hipError_tPvRmT1_PNSt15iterator_traitsIS12_E10value_typeET2_T3_PNS13_IS18_E10value_typeET4_jRbjT5_S1E_jjP12ihipStream_tbEUljE_ZNSN_ISO_Lb1ESQ_SR_ST_SU_SY_EESZ_S10_S11_S12_S16_S17_S18_S1B_S1C_jS1D_jS1E_S1E_jjS1G_bEUljE0_EEESZ_S10_S11_S18_S1C_S1E_T6_T7_T9_mT8_S1G_bDpT10_ENKUlT_T0_E_clISt17integral_constantIbLb1EES1U_EEDaS1P_S1Q_EUlS1P_E_NS1_11comp_targetILNS1_3genE8ELNS1_11target_archE1030ELNS1_3gpuE2ELNS1_3repE0EEENS1_30default_config_static_selectorELNS0_4arch9wavefront6targetE0EEEvS12_
	.p2align	8
	.type	_ZN7rocprim17ROCPRIM_400000_NS6detail17trampoline_kernelINS0_13select_configILj256ELj13ELNS0_17block_load_methodE3ELS4_3ELS4_3ELNS0_20block_scan_algorithmE0ELj4294967295EEENS1_25partition_config_selectorILNS1_17partition_subalgoE4EjNS0_10empty_typeEbEEZZNS1_14partition_implILS8_4ELb0ES6_15HIP_vector_typeIjLj2EENS0_17counting_iteratorIjlEEPS9_SG_NS0_5tupleIJPjSI_NS0_16reverse_iteratorISI_EEEEENSH_IJSG_SG_SG_EEES9_SI_JZNS1_25segmented_radix_sort_implINS0_14default_configELb1EPKhPhPKlPlN2at6native12_GLOBAL__N_18offset_tEEE10hipError_tPvRmT1_PNSt15iterator_traitsIS12_E10value_typeET2_T3_PNS13_IS18_E10value_typeET4_jRbjT5_S1E_jjP12ihipStream_tbEUljE_ZNSN_ISO_Lb1ESQ_SR_ST_SU_SY_EESZ_S10_S11_S12_S16_S17_S18_S1B_S1C_jS1D_jS1E_S1E_jjS1G_bEUljE0_EEESZ_S10_S11_S18_S1C_S1E_T6_T7_T9_mT8_S1G_bDpT10_ENKUlT_T0_E_clISt17integral_constantIbLb1EES1U_EEDaS1P_S1Q_EUlS1P_E_NS1_11comp_targetILNS1_3genE8ELNS1_11target_archE1030ELNS1_3gpuE2ELNS1_3repE0EEENS1_30default_config_static_selectorELNS0_4arch9wavefront6targetE0EEEvS12_,@function
_ZN7rocprim17ROCPRIM_400000_NS6detail17trampoline_kernelINS0_13select_configILj256ELj13ELNS0_17block_load_methodE3ELS4_3ELS4_3ELNS0_20block_scan_algorithmE0ELj4294967295EEENS1_25partition_config_selectorILNS1_17partition_subalgoE4EjNS0_10empty_typeEbEEZZNS1_14partition_implILS8_4ELb0ES6_15HIP_vector_typeIjLj2EENS0_17counting_iteratorIjlEEPS9_SG_NS0_5tupleIJPjSI_NS0_16reverse_iteratorISI_EEEEENSH_IJSG_SG_SG_EEES9_SI_JZNS1_25segmented_radix_sort_implINS0_14default_configELb1EPKhPhPKlPlN2at6native12_GLOBAL__N_18offset_tEEE10hipError_tPvRmT1_PNSt15iterator_traitsIS12_E10value_typeET2_T3_PNS13_IS18_E10value_typeET4_jRbjT5_S1E_jjP12ihipStream_tbEUljE_ZNSN_ISO_Lb1ESQ_SR_ST_SU_SY_EESZ_S10_S11_S12_S16_S17_S18_S1B_S1C_jS1D_jS1E_S1E_jjS1G_bEUljE0_EEESZ_S10_S11_S18_S1C_S1E_T6_T7_T9_mT8_S1G_bDpT10_ENKUlT_T0_E_clISt17integral_constantIbLb1EES1U_EEDaS1P_S1Q_EUlS1P_E_NS1_11comp_targetILNS1_3genE8ELNS1_11target_archE1030ELNS1_3gpuE2ELNS1_3repE0EEENS1_30default_config_static_selectorELNS0_4arch9wavefront6targetE0EEEvS12_: ; @_ZN7rocprim17ROCPRIM_400000_NS6detail17trampoline_kernelINS0_13select_configILj256ELj13ELNS0_17block_load_methodE3ELS4_3ELS4_3ELNS0_20block_scan_algorithmE0ELj4294967295EEENS1_25partition_config_selectorILNS1_17partition_subalgoE4EjNS0_10empty_typeEbEEZZNS1_14partition_implILS8_4ELb0ES6_15HIP_vector_typeIjLj2EENS0_17counting_iteratorIjlEEPS9_SG_NS0_5tupleIJPjSI_NS0_16reverse_iteratorISI_EEEEENSH_IJSG_SG_SG_EEES9_SI_JZNS1_25segmented_radix_sort_implINS0_14default_configELb1EPKhPhPKlPlN2at6native12_GLOBAL__N_18offset_tEEE10hipError_tPvRmT1_PNSt15iterator_traitsIS12_E10value_typeET2_T3_PNS13_IS18_E10value_typeET4_jRbjT5_S1E_jjP12ihipStream_tbEUljE_ZNSN_ISO_Lb1ESQ_SR_ST_SU_SY_EESZ_S10_S11_S12_S16_S17_S18_S1B_S1C_jS1D_jS1E_S1E_jjS1G_bEUljE0_EEESZ_S10_S11_S18_S1C_S1E_T6_T7_T9_mT8_S1G_bDpT10_ENKUlT_T0_E_clISt17integral_constantIbLb1EES1U_EEDaS1P_S1Q_EUlS1P_E_NS1_11comp_targetILNS1_3genE8ELNS1_11target_archE1030ELNS1_3gpuE2ELNS1_3repE0EEENS1_30default_config_static_selectorELNS0_4arch9wavefront6targetE0EEEvS12_
; %bb.0:
	.section	.rodata,"a",@progbits
	.p2align	6, 0x0
	.amdhsa_kernel _ZN7rocprim17ROCPRIM_400000_NS6detail17trampoline_kernelINS0_13select_configILj256ELj13ELNS0_17block_load_methodE3ELS4_3ELS4_3ELNS0_20block_scan_algorithmE0ELj4294967295EEENS1_25partition_config_selectorILNS1_17partition_subalgoE4EjNS0_10empty_typeEbEEZZNS1_14partition_implILS8_4ELb0ES6_15HIP_vector_typeIjLj2EENS0_17counting_iteratorIjlEEPS9_SG_NS0_5tupleIJPjSI_NS0_16reverse_iteratorISI_EEEEENSH_IJSG_SG_SG_EEES9_SI_JZNS1_25segmented_radix_sort_implINS0_14default_configELb1EPKhPhPKlPlN2at6native12_GLOBAL__N_18offset_tEEE10hipError_tPvRmT1_PNSt15iterator_traitsIS12_E10value_typeET2_T3_PNS13_IS18_E10value_typeET4_jRbjT5_S1E_jjP12ihipStream_tbEUljE_ZNSN_ISO_Lb1ESQ_SR_ST_SU_SY_EESZ_S10_S11_S12_S16_S17_S18_S1B_S1C_jS1D_jS1E_S1E_jjS1G_bEUljE0_EEESZ_S10_S11_S18_S1C_S1E_T6_T7_T9_mT8_S1G_bDpT10_ENKUlT_T0_E_clISt17integral_constantIbLb1EES1U_EEDaS1P_S1Q_EUlS1P_E_NS1_11comp_targetILNS1_3genE8ELNS1_11target_archE1030ELNS1_3gpuE2ELNS1_3repE0EEENS1_30default_config_static_selectorELNS0_4arch9wavefront6targetE0EEEvS12_
		.amdhsa_group_segment_fixed_size 0
		.amdhsa_private_segment_fixed_size 0
		.amdhsa_kernarg_size 184
		.amdhsa_user_sgpr_count 2
		.amdhsa_user_sgpr_dispatch_ptr 0
		.amdhsa_user_sgpr_queue_ptr 0
		.amdhsa_user_sgpr_kernarg_segment_ptr 1
		.amdhsa_user_sgpr_dispatch_id 0
		.amdhsa_user_sgpr_private_segment_size 0
		.amdhsa_wavefront_size32 1
		.amdhsa_uses_dynamic_stack 0
		.amdhsa_enable_private_segment 0
		.amdhsa_system_sgpr_workgroup_id_x 1
		.amdhsa_system_sgpr_workgroup_id_y 0
		.amdhsa_system_sgpr_workgroup_id_z 0
		.amdhsa_system_sgpr_workgroup_info 0
		.amdhsa_system_vgpr_workitem_id 0
		.amdhsa_next_free_vgpr 1
		.amdhsa_next_free_sgpr 1
		.amdhsa_reserve_vcc 0
		.amdhsa_float_round_mode_32 0
		.amdhsa_float_round_mode_16_64 0
		.amdhsa_float_denorm_mode_32 3
		.amdhsa_float_denorm_mode_16_64 3
		.amdhsa_fp16_overflow 0
		.amdhsa_workgroup_processor_mode 1
		.amdhsa_memory_ordered 1
		.amdhsa_forward_progress 1
		.amdhsa_inst_pref_size 0
		.amdhsa_round_robin_scheduling 0
		.amdhsa_exception_fp_ieee_invalid_op 0
		.amdhsa_exception_fp_denorm_src 0
		.amdhsa_exception_fp_ieee_div_zero 0
		.amdhsa_exception_fp_ieee_overflow 0
		.amdhsa_exception_fp_ieee_underflow 0
		.amdhsa_exception_fp_ieee_inexact 0
		.amdhsa_exception_int_div_zero 0
	.end_amdhsa_kernel
	.section	.text._ZN7rocprim17ROCPRIM_400000_NS6detail17trampoline_kernelINS0_13select_configILj256ELj13ELNS0_17block_load_methodE3ELS4_3ELS4_3ELNS0_20block_scan_algorithmE0ELj4294967295EEENS1_25partition_config_selectorILNS1_17partition_subalgoE4EjNS0_10empty_typeEbEEZZNS1_14partition_implILS8_4ELb0ES6_15HIP_vector_typeIjLj2EENS0_17counting_iteratorIjlEEPS9_SG_NS0_5tupleIJPjSI_NS0_16reverse_iteratorISI_EEEEENSH_IJSG_SG_SG_EEES9_SI_JZNS1_25segmented_radix_sort_implINS0_14default_configELb1EPKhPhPKlPlN2at6native12_GLOBAL__N_18offset_tEEE10hipError_tPvRmT1_PNSt15iterator_traitsIS12_E10value_typeET2_T3_PNS13_IS18_E10value_typeET4_jRbjT5_S1E_jjP12ihipStream_tbEUljE_ZNSN_ISO_Lb1ESQ_SR_ST_SU_SY_EESZ_S10_S11_S12_S16_S17_S18_S1B_S1C_jS1D_jS1E_S1E_jjS1G_bEUljE0_EEESZ_S10_S11_S18_S1C_S1E_T6_T7_T9_mT8_S1G_bDpT10_ENKUlT_T0_E_clISt17integral_constantIbLb1EES1U_EEDaS1P_S1Q_EUlS1P_E_NS1_11comp_targetILNS1_3genE8ELNS1_11target_archE1030ELNS1_3gpuE2ELNS1_3repE0EEENS1_30default_config_static_selectorELNS0_4arch9wavefront6targetE0EEEvS12_,"axG",@progbits,_ZN7rocprim17ROCPRIM_400000_NS6detail17trampoline_kernelINS0_13select_configILj256ELj13ELNS0_17block_load_methodE3ELS4_3ELS4_3ELNS0_20block_scan_algorithmE0ELj4294967295EEENS1_25partition_config_selectorILNS1_17partition_subalgoE4EjNS0_10empty_typeEbEEZZNS1_14partition_implILS8_4ELb0ES6_15HIP_vector_typeIjLj2EENS0_17counting_iteratorIjlEEPS9_SG_NS0_5tupleIJPjSI_NS0_16reverse_iteratorISI_EEEEENSH_IJSG_SG_SG_EEES9_SI_JZNS1_25segmented_radix_sort_implINS0_14default_configELb1EPKhPhPKlPlN2at6native12_GLOBAL__N_18offset_tEEE10hipError_tPvRmT1_PNSt15iterator_traitsIS12_E10value_typeET2_T3_PNS13_IS18_E10value_typeET4_jRbjT5_S1E_jjP12ihipStream_tbEUljE_ZNSN_ISO_Lb1ESQ_SR_ST_SU_SY_EESZ_S10_S11_S12_S16_S17_S18_S1B_S1C_jS1D_jS1E_S1E_jjS1G_bEUljE0_EEESZ_S10_S11_S18_S1C_S1E_T6_T7_T9_mT8_S1G_bDpT10_ENKUlT_T0_E_clISt17integral_constantIbLb1EES1U_EEDaS1P_S1Q_EUlS1P_E_NS1_11comp_targetILNS1_3genE8ELNS1_11target_archE1030ELNS1_3gpuE2ELNS1_3repE0EEENS1_30default_config_static_selectorELNS0_4arch9wavefront6targetE0EEEvS12_,comdat
.Lfunc_end28:
	.size	_ZN7rocprim17ROCPRIM_400000_NS6detail17trampoline_kernelINS0_13select_configILj256ELj13ELNS0_17block_load_methodE3ELS4_3ELS4_3ELNS0_20block_scan_algorithmE0ELj4294967295EEENS1_25partition_config_selectorILNS1_17partition_subalgoE4EjNS0_10empty_typeEbEEZZNS1_14partition_implILS8_4ELb0ES6_15HIP_vector_typeIjLj2EENS0_17counting_iteratorIjlEEPS9_SG_NS0_5tupleIJPjSI_NS0_16reverse_iteratorISI_EEEEENSH_IJSG_SG_SG_EEES9_SI_JZNS1_25segmented_radix_sort_implINS0_14default_configELb1EPKhPhPKlPlN2at6native12_GLOBAL__N_18offset_tEEE10hipError_tPvRmT1_PNSt15iterator_traitsIS12_E10value_typeET2_T3_PNS13_IS18_E10value_typeET4_jRbjT5_S1E_jjP12ihipStream_tbEUljE_ZNSN_ISO_Lb1ESQ_SR_ST_SU_SY_EESZ_S10_S11_S12_S16_S17_S18_S1B_S1C_jS1D_jS1E_S1E_jjS1G_bEUljE0_EEESZ_S10_S11_S18_S1C_S1E_T6_T7_T9_mT8_S1G_bDpT10_ENKUlT_T0_E_clISt17integral_constantIbLb1EES1U_EEDaS1P_S1Q_EUlS1P_E_NS1_11comp_targetILNS1_3genE8ELNS1_11target_archE1030ELNS1_3gpuE2ELNS1_3repE0EEENS1_30default_config_static_selectorELNS0_4arch9wavefront6targetE0EEEvS12_, .Lfunc_end28-_ZN7rocprim17ROCPRIM_400000_NS6detail17trampoline_kernelINS0_13select_configILj256ELj13ELNS0_17block_load_methodE3ELS4_3ELS4_3ELNS0_20block_scan_algorithmE0ELj4294967295EEENS1_25partition_config_selectorILNS1_17partition_subalgoE4EjNS0_10empty_typeEbEEZZNS1_14partition_implILS8_4ELb0ES6_15HIP_vector_typeIjLj2EENS0_17counting_iteratorIjlEEPS9_SG_NS0_5tupleIJPjSI_NS0_16reverse_iteratorISI_EEEEENSH_IJSG_SG_SG_EEES9_SI_JZNS1_25segmented_radix_sort_implINS0_14default_configELb1EPKhPhPKlPlN2at6native12_GLOBAL__N_18offset_tEEE10hipError_tPvRmT1_PNSt15iterator_traitsIS12_E10value_typeET2_T3_PNS13_IS18_E10value_typeET4_jRbjT5_S1E_jjP12ihipStream_tbEUljE_ZNSN_ISO_Lb1ESQ_SR_ST_SU_SY_EESZ_S10_S11_S12_S16_S17_S18_S1B_S1C_jS1D_jS1E_S1E_jjS1G_bEUljE0_EEESZ_S10_S11_S18_S1C_S1E_T6_T7_T9_mT8_S1G_bDpT10_ENKUlT_T0_E_clISt17integral_constantIbLb1EES1U_EEDaS1P_S1Q_EUlS1P_E_NS1_11comp_targetILNS1_3genE8ELNS1_11target_archE1030ELNS1_3gpuE2ELNS1_3repE0EEENS1_30default_config_static_selectorELNS0_4arch9wavefront6targetE0EEEvS12_
                                        ; -- End function
	.set _ZN7rocprim17ROCPRIM_400000_NS6detail17trampoline_kernelINS0_13select_configILj256ELj13ELNS0_17block_load_methodE3ELS4_3ELS4_3ELNS0_20block_scan_algorithmE0ELj4294967295EEENS1_25partition_config_selectorILNS1_17partition_subalgoE4EjNS0_10empty_typeEbEEZZNS1_14partition_implILS8_4ELb0ES6_15HIP_vector_typeIjLj2EENS0_17counting_iteratorIjlEEPS9_SG_NS0_5tupleIJPjSI_NS0_16reverse_iteratorISI_EEEEENSH_IJSG_SG_SG_EEES9_SI_JZNS1_25segmented_radix_sort_implINS0_14default_configELb1EPKhPhPKlPlN2at6native12_GLOBAL__N_18offset_tEEE10hipError_tPvRmT1_PNSt15iterator_traitsIS12_E10value_typeET2_T3_PNS13_IS18_E10value_typeET4_jRbjT5_S1E_jjP12ihipStream_tbEUljE_ZNSN_ISO_Lb1ESQ_SR_ST_SU_SY_EESZ_S10_S11_S12_S16_S17_S18_S1B_S1C_jS1D_jS1E_S1E_jjS1G_bEUljE0_EEESZ_S10_S11_S18_S1C_S1E_T6_T7_T9_mT8_S1G_bDpT10_ENKUlT_T0_E_clISt17integral_constantIbLb1EES1U_EEDaS1P_S1Q_EUlS1P_E_NS1_11comp_targetILNS1_3genE8ELNS1_11target_archE1030ELNS1_3gpuE2ELNS1_3repE0EEENS1_30default_config_static_selectorELNS0_4arch9wavefront6targetE0EEEvS12_.num_vgpr, 0
	.set _ZN7rocprim17ROCPRIM_400000_NS6detail17trampoline_kernelINS0_13select_configILj256ELj13ELNS0_17block_load_methodE3ELS4_3ELS4_3ELNS0_20block_scan_algorithmE0ELj4294967295EEENS1_25partition_config_selectorILNS1_17partition_subalgoE4EjNS0_10empty_typeEbEEZZNS1_14partition_implILS8_4ELb0ES6_15HIP_vector_typeIjLj2EENS0_17counting_iteratorIjlEEPS9_SG_NS0_5tupleIJPjSI_NS0_16reverse_iteratorISI_EEEEENSH_IJSG_SG_SG_EEES9_SI_JZNS1_25segmented_radix_sort_implINS0_14default_configELb1EPKhPhPKlPlN2at6native12_GLOBAL__N_18offset_tEEE10hipError_tPvRmT1_PNSt15iterator_traitsIS12_E10value_typeET2_T3_PNS13_IS18_E10value_typeET4_jRbjT5_S1E_jjP12ihipStream_tbEUljE_ZNSN_ISO_Lb1ESQ_SR_ST_SU_SY_EESZ_S10_S11_S12_S16_S17_S18_S1B_S1C_jS1D_jS1E_S1E_jjS1G_bEUljE0_EEESZ_S10_S11_S18_S1C_S1E_T6_T7_T9_mT8_S1G_bDpT10_ENKUlT_T0_E_clISt17integral_constantIbLb1EES1U_EEDaS1P_S1Q_EUlS1P_E_NS1_11comp_targetILNS1_3genE8ELNS1_11target_archE1030ELNS1_3gpuE2ELNS1_3repE0EEENS1_30default_config_static_selectorELNS0_4arch9wavefront6targetE0EEEvS12_.num_agpr, 0
	.set _ZN7rocprim17ROCPRIM_400000_NS6detail17trampoline_kernelINS0_13select_configILj256ELj13ELNS0_17block_load_methodE3ELS4_3ELS4_3ELNS0_20block_scan_algorithmE0ELj4294967295EEENS1_25partition_config_selectorILNS1_17partition_subalgoE4EjNS0_10empty_typeEbEEZZNS1_14partition_implILS8_4ELb0ES6_15HIP_vector_typeIjLj2EENS0_17counting_iteratorIjlEEPS9_SG_NS0_5tupleIJPjSI_NS0_16reverse_iteratorISI_EEEEENSH_IJSG_SG_SG_EEES9_SI_JZNS1_25segmented_radix_sort_implINS0_14default_configELb1EPKhPhPKlPlN2at6native12_GLOBAL__N_18offset_tEEE10hipError_tPvRmT1_PNSt15iterator_traitsIS12_E10value_typeET2_T3_PNS13_IS18_E10value_typeET4_jRbjT5_S1E_jjP12ihipStream_tbEUljE_ZNSN_ISO_Lb1ESQ_SR_ST_SU_SY_EESZ_S10_S11_S12_S16_S17_S18_S1B_S1C_jS1D_jS1E_S1E_jjS1G_bEUljE0_EEESZ_S10_S11_S18_S1C_S1E_T6_T7_T9_mT8_S1G_bDpT10_ENKUlT_T0_E_clISt17integral_constantIbLb1EES1U_EEDaS1P_S1Q_EUlS1P_E_NS1_11comp_targetILNS1_3genE8ELNS1_11target_archE1030ELNS1_3gpuE2ELNS1_3repE0EEENS1_30default_config_static_selectorELNS0_4arch9wavefront6targetE0EEEvS12_.numbered_sgpr, 0
	.set _ZN7rocprim17ROCPRIM_400000_NS6detail17trampoline_kernelINS0_13select_configILj256ELj13ELNS0_17block_load_methodE3ELS4_3ELS4_3ELNS0_20block_scan_algorithmE0ELj4294967295EEENS1_25partition_config_selectorILNS1_17partition_subalgoE4EjNS0_10empty_typeEbEEZZNS1_14partition_implILS8_4ELb0ES6_15HIP_vector_typeIjLj2EENS0_17counting_iteratorIjlEEPS9_SG_NS0_5tupleIJPjSI_NS0_16reverse_iteratorISI_EEEEENSH_IJSG_SG_SG_EEES9_SI_JZNS1_25segmented_radix_sort_implINS0_14default_configELb1EPKhPhPKlPlN2at6native12_GLOBAL__N_18offset_tEEE10hipError_tPvRmT1_PNSt15iterator_traitsIS12_E10value_typeET2_T3_PNS13_IS18_E10value_typeET4_jRbjT5_S1E_jjP12ihipStream_tbEUljE_ZNSN_ISO_Lb1ESQ_SR_ST_SU_SY_EESZ_S10_S11_S12_S16_S17_S18_S1B_S1C_jS1D_jS1E_S1E_jjS1G_bEUljE0_EEESZ_S10_S11_S18_S1C_S1E_T6_T7_T9_mT8_S1G_bDpT10_ENKUlT_T0_E_clISt17integral_constantIbLb1EES1U_EEDaS1P_S1Q_EUlS1P_E_NS1_11comp_targetILNS1_3genE8ELNS1_11target_archE1030ELNS1_3gpuE2ELNS1_3repE0EEENS1_30default_config_static_selectorELNS0_4arch9wavefront6targetE0EEEvS12_.num_named_barrier, 0
	.set _ZN7rocprim17ROCPRIM_400000_NS6detail17trampoline_kernelINS0_13select_configILj256ELj13ELNS0_17block_load_methodE3ELS4_3ELS4_3ELNS0_20block_scan_algorithmE0ELj4294967295EEENS1_25partition_config_selectorILNS1_17partition_subalgoE4EjNS0_10empty_typeEbEEZZNS1_14partition_implILS8_4ELb0ES6_15HIP_vector_typeIjLj2EENS0_17counting_iteratorIjlEEPS9_SG_NS0_5tupleIJPjSI_NS0_16reverse_iteratorISI_EEEEENSH_IJSG_SG_SG_EEES9_SI_JZNS1_25segmented_radix_sort_implINS0_14default_configELb1EPKhPhPKlPlN2at6native12_GLOBAL__N_18offset_tEEE10hipError_tPvRmT1_PNSt15iterator_traitsIS12_E10value_typeET2_T3_PNS13_IS18_E10value_typeET4_jRbjT5_S1E_jjP12ihipStream_tbEUljE_ZNSN_ISO_Lb1ESQ_SR_ST_SU_SY_EESZ_S10_S11_S12_S16_S17_S18_S1B_S1C_jS1D_jS1E_S1E_jjS1G_bEUljE0_EEESZ_S10_S11_S18_S1C_S1E_T6_T7_T9_mT8_S1G_bDpT10_ENKUlT_T0_E_clISt17integral_constantIbLb1EES1U_EEDaS1P_S1Q_EUlS1P_E_NS1_11comp_targetILNS1_3genE8ELNS1_11target_archE1030ELNS1_3gpuE2ELNS1_3repE0EEENS1_30default_config_static_selectorELNS0_4arch9wavefront6targetE0EEEvS12_.private_seg_size, 0
	.set _ZN7rocprim17ROCPRIM_400000_NS6detail17trampoline_kernelINS0_13select_configILj256ELj13ELNS0_17block_load_methodE3ELS4_3ELS4_3ELNS0_20block_scan_algorithmE0ELj4294967295EEENS1_25partition_config_selectorILNS1_17partition_subalgoE4EjNS0_10empty_typeEbEEZZNS1_14partition_implILS8_4ELb0ES6_15HIP_vector_typeIjLj2EENS0_17counting_iteratorIjlEEPS9_SG_NS0_5tupleIJPjSI_NS0_16reverse_iteratorISI_EEEEENSH_IJSG_SG_SG_EEES9_SI_JZNS1_25segmented_radix_sort_implINS0_14default_configELb1EPKhPhPKlPlN2at6native12_GLOBAL__N_18offset_tEEE10hipError_tPvRmT1_PNSt15iterator_traitsIS12_E10value_typeET2_T3_PNS13_IS18_E10value_typeET4_jRbjT5_S1E_jjP12ihipStream_tbEUljE_ZNSN_ISO_Lb1ESQ_SR_ST_SU_SY_EESZ_S10_S11_S12_S16_S17_S18_S1B_S1C_jS1D_jS1E_S1E_jjS1G_bEUljE0_EEESZ_S10_S11_S18_S1C_S1E_T6_T7_T9_mT8_S1G_bDpT10_ENKUlT_T0_E_clISt17integral_constantIbLb1EES1U_EEDaS1P_S1Q_EUlS1P_E_NS1_11comp_targetILNS1_3genE8ELNS1_11target_archE1030ELNS1_3gpuE2ELNS1_3repE0EEENS1_30default_config_static_selectorELNS0_4arch9wavefront6targetE0EEEvS12_.uses_vcc, 0
	.set _ZN7rocprim17ROCPRIM_400000_NS6detail17trampoline_kernelINS0_13select_configILj256ELj13ELNS0_17block_load_methodE3ELS4_3ELS4_3ELNS0_20block_scan_algorithmE0ELj4294967295EEENS1_25partition_config_selectorILNS1_17partition_subalgoE4EjNS0_10empty_typeEbEEZZNS1_14partition_implILS8_4ELb0ES6_15HIP_vector_typeIjLj2EENS0_17counting_iteratorIjlEEPS9_SG_NS0_5tupleIJPjSI_NS0_16reverse_iteratorISI_EEEEENSH_IJSG_SG_SG_EEES9_SI_JZNS1_25segmented_radix_sort_implINS0_14default_configELb1EPKhPhPKlPlN2at6native12_GLOBAL__N_18offset_tEEE10hipError_tPvRmT1_PNSt15iterator_traitsIS12_E10value_typeET2_T3_PNS13_IS18_E10value_typeET4_jRbjT5_S1E_jjP12ihipStream_tbEUljE_ZNSN_ISO_Lb1ESQ_SR_ST_SU_SY_EESZ_S10_S11_S12_S16_S17_S18_S1B_S1C_jS1D_jS1E_S1E_jjS1G_bEUljE0_EEESZ_S10_S11_S18_S1C_S1E_T6_T7_T9_mT8_S1G_bDpT10_ENKUlT_T0_E_clISt17integral_constantIbLb1EES1U_EEDaS1P_S1Q_EUlS1P_E_NS1_11comp_targetILNS1_3genE8ELNS1_11target_archE1030ELNS1_3gpuE2ELNS1_3repE0EEENS1_30default_config_static_selectorELNS0_4arch9wavefront6targetE0EEEvS12_.uses_flat_scratch, 0
	.set _ZN7rocprim17ROCPRIM_400000_NS6detail17trampoline_kernelINS0_13select_configILj256ELj13ELNS0_17block_load_methodE3ELS4_3ELS4_3ELNS0_20block_scan_algorithmE0ELj4294967295EEENS1_25partition_config_selectorILNS1_17partition_subalgoE4EjNS0_10empty_typeEbEEZZNS1_14partition_implILS8_4ELb0ES6_15HIP_vector_typeIjLj2EENS0_17counting_iteratorIjlEEPS9_SG_NS0_5tupleIJPjSI_NS0_16reverse_iteratorISI_EEEEENSH_IJSG_SG_SG_EEES9_SI_JZNS1_25segmented_radix_sort_implINS0_14default_configELb1EPKhPhPKlPlN2at6native12_GLOBAL__N_18offset_tEEE10hipError_tPvRmT1_PNSt15iterator_traitsIS12_E10value_typeET2_T3_PNS13_IS18_E10value_typeET4_jRbjT5_S1E_jjP12ihipStream_tbEUljE_ZNSN_ISO_Lb1ESQ_SR_ST_SU_SY_EESZ_S10_S11_S12_S16_S17_S18_S1B_S1C_jS1D_jS1E_S1E_jjS1G_bEUljE0_EEESZ_S10_S11_S18_S1C_S1E_T6_T7_T9_mT8_S1G_bDpT10_ENKUlT_T0_E_clISt17integral_constantIbLb1EES1U_EEDaS1P_S1Q_EUlS1P_E_NS1_11comp_targetILNS1_3genE8ELNS1_11target_archE1030ELNS1_3gpuE2ELNS1_3repE0EEENS1_30default_config_static_selectorELNS0_4arch9wavefront6targetE0EEEvS12_.has_dyn_sized_stack, 0
	.set _ZN7rocprim17ROCPRIM_400000_NS6detail17trampoline_kernelINS0_13select_configILj256ELj13ELNS0_17block_load_methodE3ELS4_3ELS4_3ELNS0_20block_scan_algorithmE0ELj4294967295EEENS1_25partition_config_selectorILNS1_17partition_subalgoE4EjNS0_10empty_typeEbEEZZNS1_14partition_implILS8_4ELb0ES6_15HIP_vector_typeIjLj2EENS0_17counting_iteratorIjlEEPS9_SG_NS0_5tupleIJPjSI_NS0_16reverse_iteratorISI_EEEEENSH_IJSG_SG_SG_EEES9_SI_JZNS1_25segmented_radix_sort_implINS0_14default_configELb1EPKhPhPKlPlN2at6native12_GLOBAL__N_18offset_tEEE10hipError_tPvRmT1_PNSt15iterator_traitsIS12_E10value_typeET2_T3_PNS13_IS18_E10value_typeET4_jRbjT5_S1E_jjP12ihipStream_tbEUljE_ZNSN_ISO_Lb1ESQ_SR_ST_SU_SY_EESZ_S10_S11_S12_S16_S17_S18_S1B_S1C_jS1D_jS1E_S1E_jjS1G_bEUljE0_EEESZ_S10_S11_S18_S1C_S1E_T6_T7_T9_mT8_S1G_bDpT10_ENKUlT_T0_E_clISt17integral_constantIbLb1EES1U_EEDaS1P_S1Q_EUlS1P_E_NS1_11comp_targetILNS1_3genE8ELNS1_11target_archE1030ELNS1_3gpuE2ELNS1_3repE0EEENS1_30default_config_static_selectorELNS0_4arch9wavefront6targetE0EEEvS12_.has_recursion, 0
	.set _ZN7rocprim17ROCPRIM_400000_NS6detail17trampoline_kernelINS0_13select_configILj256ELj13ELNS0_17block_load_methodE3ELS4_3ELS4_3ELNS0_20block_scan_algorithmE0ELj4294967295EEENS1_25partition_config_selectorILNS1_17partition_subalgoE4EjNS0_10empty_typeEbEEZZNS1_14partition_implILS8_4ELb0ES6_15HIP_vector_typeIjLj2EENS0_17counting_iteratorIjlEEPS9_SG_NS0_5tupleIJPjSI_NS0_16reverse_iteratorISI_EEEEENSH_IJSG_SG_SG_EEES9_SI_JZNS1_25segmented_radix_sort_implINS0_14default_configELb1EPKhPhPKlPlN2at6native12_GLOBAL__N_18offset_tEEE10hipError_tPvRmT1_PNSt15iterator_traitsIS12_E10value_typeET2_T3_PNS13_IS18_E10value_typeET4_jRbjT5_S1E_jjP12ihipStream_tbEUljE_ZNSN_ISO_Lb1ESQ_SR_ST_SU_SY_EESZ_S10_S11_S12_S16_S17_S18_S1B_S1C_jS1D_jS1E_S1E_jjS1G_bEUljE0_EEESZ_S10_S11_S18_S1C_S1E_T6_T7_T9_mT8_S1G_bDpT10_ENKUlT_T0_E_clISt17integral_constantIbLb1EES1U_EEDaS1P_S1Q_EUlS1P_E_NS1_11comp_targetILNS1_3genE8ELNS1_11target_archE1030ELNS1_3gpuE2ELNS1_3repE0EEENS1_30default_config_static_selectorELNS0_4arch9wavefront6targetE0EEEvS12_.has_indirect_call, 0
	.section	.AMDGPU.csdata,"",@progbits
; Kernel info:
; codeLenInByte = 0
; TotalNumSgprs: 0
; NumVgprs: 0
; ScratchSize: 0
; MemoryBound: 0
; FloatMode: 240
; IeeeMode: 1
; LDSByteSize: 0 bytes/workgroup (compile time only)
; SGPRBlocks: 0
; VGPRBlocks: 0
; NumSGPRsForWavesPerEU: 1
; NumVGPRsForWavesPerEU: 1
; Occupancy: 16
; WaveLimiterHint : 0
; COMPUTE_PGM_RSRC2:SCRATCH_EN: 0
; COMPUTE_PGM_RSRC2:USER_SGPR: 2
; COMPUTE_PGM_RSRC2:TRAP_HANDLER: 0
; COMPUTE_PGM_RSRC2:TGID_X_EN: 1
; COMPUTE_PGM_RSRC2:TGID_Y_EN: 0
; COMPUTE_PGM_RSRC2:TGID_Z_EN: 0
; COMPUTE_PGM_RSRC2:TIDIG_COMP_CNT: 0
	.section	.text._ZN7rocprim17ROCPRIM_400000_NS6detail31init_lookback_scan_state_kernelINS1_19lookback_scan_stateI15HIP_vector_typeIjLj2EELb1ELb1EEENS1_16block_id_wrapperIjLb0EEEEEvT_jT0_jPNS9_10value_typeE,"axG",@progbits,_ZN7rocprim17ROCPRIM_400000_NS6detail31init_lookback_scan_state_kernelINS1_19lookback_scan_stateI15HIP_vector_typeIjLj2EELb1ELb1EEENS1_16block_id_wrapperIjLb0EEEEEvT_jT0_jPNS9_10value_typeE,comdat
	.protected	_ZN7rocprim17ROCPRIM_400000_NS6detail31init_lookback_scan_state_kernelINS1_19lookback_scan_stateI15HIP_vector_typeIjLj2EELb1ELb1EEENS1_16block_id_wrapperIjLb0EEEEEvT_jT0_jPNS9_10value_typeE ; -- Begin function _ZN7rocprim17ROCPRIM_400000_NS6detail31init_lookback_scan_state_kernelINS1_19lookback_scan_stateI15HIP_vector_typeIjLj2EELb1ELb1EEENS1_16block_id_wrapperIjLb0EEEEEvT_jT0_jPNS9_10value_typeE
	.globl	_ZN7rocprim17ROCPRIM_400000_NS6detail31init_lookback_scan_state_kernelINS1_19lookback_scan_stateI15HIP_vector_typeIjLj2EELb1ELb1EEENS1_16block_id_wrapperIjLb0EEEEEvT_jT0_jPNS9_10value_typeE
	.p2align	8
	.type	_ZN7rocprim17ROCPRIM_400000_NS6detail31init_lookback_scan_state_kernelINS1_19lookback_scan_stateI15HIP_vector_typeIjLj2EELb1ELb1EEENS1_16block_id_wrapperIjLb0EEEEEvT_jT0_jPNS9_10value_typeE,@function
_ZN7rocprim17ROCPRIM_400000_NS6detail31init_lookback_scan_state_kernelINS1_19lookback_scan_stateI15HIP_vector_typeIjLj2EELb1ELb1EEENS1_16block_id_wrapperIjLb0EEEEEvT_jT0_jPNS9_10value_typeE: ; @_ZN7rocprim17ROCPRIM_400000_NS6detail31init_lookback_scan_state_kernelINS1_19lookback_scan_stateI15HIP_vector_typeIjLj2EELb1ELb1EEENS1_16block_id_wrapperIjLb0EEEEEvT_jT0_jPNS9_10value_typeE
; %bb.0:
	s_clause 0x2
	s_load_b32 s7, s[0:1], 0x2c
	s_load_b64 s[2:3], s[0:1], 0x18
	s_load_b96 s[4:6], s[0:1], 0x0
	s_wait_kmcnt 0x0
	s_and_b32 s7, s7, 0xffff
	s_cmp_eq_u64 s[2:3], 0
	v_mad_co_u64_u32 v[0:1], null, ttmp9, s7, v[0:1]
	s_cbranch_scc1 .LBB29_10
; %bb.1:
	s_load_b32 s0, s[0:1], 0x10
	s_wait_kmcnt 0x0
	s_cmp_lt_u32 s0, s6
	s_cselect_b32 s1, s0, 0
	s_wait_alu 0xfffe
	v_cmp_eq_u32_e32 vcc_lo, s1, v0
	s_mov_b32 s1, 0
	s_and_saveexec_b32 s7, vcc_lo
	s_cbranch_execz .LBB29_9
; %bb.2:
	s_add_co_i32 s0, s0, 32
	s_mov_b32 s8, exec_lo
	s_wait_alu 0xfffe
	s_lshl_b64 s[0:1], s[0:1], 4
	v_mov_b32_e32 v5, 0
	s_wait_alu 0xfffe
	s_add_nc_u64 s[0:1], s[4:5], s[0:1]
	s_wait_alu 0xfffe
	v_dual_mov_b32 v2, s1 :: v_dual_mov_b32 v1, s0
	;;#ASMSTART
	global_load_b128 v[1:4], v[1:2] off scope:SCOPE_DEV	
s_wait_loadcnt 0x0
	;;#ASMEND
	v_and_b32_e32 v4, 0xff, v3
	s_delay_alu instid0(VALU_DEP_1)
	v_cmpx_eq_u64_e32 0, v[4:5]
	s_cbranch_execz .LBB29_8
; %bb.3:
	v_dual_mov_b32 v7, s1 :: v_dual_mov_b32 v6, s0
	s_mov_b32 s1, 1
	s_mov_b32 s0, 0
.LBB29_4:                               ; =>This Loop Header: Depth=1
                                        ;     Child Loop BB29_5 Depth 2
	s_wait_alu 0xfffe
	s_mov_b32 s9, s1
.LBB29_5:                               ;   Parent Loop BB29_4 Depth=1
                                        ; =>  This Inner Loop Header: Depth=2
	s_delay_alu instid0(SALU_CYCLE_1)
	s_add_co_i32 s9, s9, -1
	s_sleep 1
	s_cmp_eq_u32 s9, 0
	s_cbranch_scc0 .LBB29_5
; %bb.6:                                ;   in Loop: Header=BB29_4 Depth=1
	;;#ASMSTART
	global_load_b128 v[1:4], v[6:7] off scope:SCOPE_DEV	
s_wait_loadcnt 0x0
	;;#ASMEND
	v_and_b32_e32 v4, 0xff, v3
	s_cmp_lt_u32 s1, 32
	s_cselect_b32 s9, -1, 0
	s_delay_alu instid0(SALU_CYCLE_1) | instskip(NEXT) | instid1(VALU_DEP_1)
	s_cmp_lg_u32 s9, 0
	v_cmp_ne_u64_e32 vcc_lo, 0, v[4:5]
	s_add_co_ci_u32 s1, s1, 0
	s_or_b32 s0, vcc_lo, s0
	s_wait_alu 0xfffe
	s_and_not1_b32 exec_lo, exec_lo, s0
	s_cbranch_execnz .LBB29_4
; %bb.7:
	s_or_b32 exec_lo, exec_lo, s0
.LBB29_8:
	s_delay_alu instid0(SALU_CYCLE_1)
	s_or_b32 exec_lo, exec_lo, s8
	v_mov_b32_e32 v3, 0
	global_store_b64 v3, v[1:2], s[2:3]
.LBB29_9:
	s_wait_alu 0xfffe
	s_or_b32 exec_lo, exec_lo, s7
.LBB29_10:
	s_delay_alu instid0(SALU_CYCLE_1)
	s_mov_b32 s0, exec_lo
	v_cmpx_gt_u32_e64 s6, v0
	s_cbranch_execz .LBB29_12
; %bb.11:
	v_dual_mov_b32 v2, 0 :: v_dual_add_nc_u32 v1, 32, v0
	s_delay_alu instid0(VALU_DEP_1) | instskip(SKIP_2) | instid1(VALU_DEP_3)
	v_lshlrev_b64_e32 v[4:5], 4, v[1:2]
	v_mov_b32_e32 v1, v2
	v_mov_b32_e32 v3, v2
	v_add_co_u32 v6, vcc_lo, s4, v4
	s_delay_alu instid0(VALU_DEP_1)
	v_add_co_ci_u32_e64 v7, null, s5, v5, vcc_lo
	v_mov_b32_e32 v4, v2
	global_store_b128 v[6:7], v[1:4], off
.LBB29_12:
	s_wait_alu 0xfffe
	s_or_b32 exec_lo, exec_lo, s0
	s_delay_alu instid0(SALU_CYCLE_1)
	s_mov_b32 s0, exec_lo
	v_cmpx_gt_u32_e32 32, v0
	s_cbranch_execz .LBB29_14
; %bb.13:
	v_dual_mov_b32 v1, 0 :: v_dual_mov_b32 v2, 0xff
	s_delay_alu instid0(VALU_DEP_1) | instskip(SKIP_1) | instid1(VALU_DEP_2)
	v_lshlrev_b64_e32 v[3:4], 4, v[0:1]
	v_mov_b32_e32 v0, v1
	v_add_co_u32 v5, vcc_lo, s4, v3
	s_wait_alu 0xfffd
	s_delay_alu instid0(VALU_DEP_3)
	v_add_co_ci_u32_e64 v6, null, s5, v4, vcc_lo
	v_mov_b32_e32 v3, v1
	global_store_b128 v[5:6], v[0:3], off
.LBB29_14:
	s_endpgm
	.section	.rodata,"a",@progbits
	.p2align	6, 0x0
	.amdhsa_kernel _ZN7rocprim17ROCPRIM_400000_NS6detail31init_lookback_scan_state_kernelINS1_19lookback_scan_stateI15HIP_vector_typeIjLj2EELb1ELb1EEENS1_16block_id_wrapperIjLb0EEEEEvT_jT0_jPNS9_10value_typeE
		.amdhsa_group_segment_fixed_size 0
		.amdhsa_private_segment_fixed_size 0
		.amdhsa_kernarg_size 288
		.amdhsa_user_sgpr_count 2
		.amdhsa_user_sgpr_dispatch_ptr 0
		.amdhsa_user_sgpr_queue_ptr 0
		.amdhsa_user_sgpr_kernarg_segment_ptr 1
		.amdhsa_user_sgpr_dispatch_id 0
		.amdhsa_user_sgpr_private_segment_size 0
		.amdhsa_wavefront_size32 1
		.amdhsa_uses_dynamic_stack 0
		.amdhsa_enable_private_segment 0
		.amdhsa_system_sgpr_workgroup_id_x 1
		.amdhsa_system_sgpr_workgroup_id_y 0
		.amdhsa_system_sgpr_workgroup_id_z 0
		.amdhsa_system_sgpr_workgroup_info 0
		.amdhsa_system_vgpr_workitem_id 0
		.amdhsa_next_free_vgpr 8
		.amdhsa_next_free_sgpr 10
		.amdhsa_reserve_vcc 1
		.amdhsa_float_round_mode_32 0
		.amdhsa_float_round_mode_16_64 0
		.amdhsa_float_denorm_mode_32 3
		.amdhsa_float_denorm_mode_16_64 3
		.amdhsa_fp16_overflow 0
		.amdhsa_workgroup_processor_mode 1
		.amdhsa_memory_ordered 1
		.amdhsa_forward_progress 1
		.amdhsa_inst_pref_size 4
		.amdhsa_round_robin_scheduling 0
		.amdhsa_exception_fp_ieee_invalid_op 0
		.amdhsa_exception_fp_denorm_src 0
		.amdhsa_exception_fp_ieee_div_zero 0
		.amdhsa_exception_fp_ieee_overflow 0
		.amdhsa_exception_fp_ieee_underflow 0
		.amdhsa_exception_fp_ieee_inexact 0
		.amdhsa_exception_int_div_zero 0
	.end_amdhsa_kernel
	.section	.text._ZN7rocprim17ROCPRIM_400000_NS6detail31init_lookback_scan_state_kernelINS1_19lookback_scan_stateI15HIP_vector_typeIjLj2EELb1ELb1EEENS1_16block_id_wrapperIjLb0EEEEEvT_jT0_jPNS9_10value_typeE,"axG",@progbits,_ZN7rocprim17ROCPRIM_400000_NS6detail31init_lookback_scan_state_kernelINS1_19lookback_scan_stateI15HIP_vector_typeIjLj2EELb1ELb1EEENS1_16block_id_wrapperIjLb0EEEEEvT_jT0_jPNS9_10value_typeE,comdat
.Lfunc_end29:
	.size	_ZN7rocprim17ROCPRIM_400000_NS6detail31init_lookback_scan_state_kernelINS1_19lookback_scan_stateI15HIP_vector_typeIjLj2EELb1ELb1EEENS1_16block_id_wrapperIjLb0EEEEEvT_jT0_jPNS9_10value_typeE, .Lfunc_end29-_ZN7rocprim17ROCPRIM_400000_NS6detail31init_lookback_scan_state_kernelINS1_19lookback_scan_stateI15HIP_vector_typeIjLj2EELb1ELb1EEENS1_16block_id_wrapperIjLb0EEEEEvT_jT0_jPNS9_10value_typeE
                                        ; -- End function
	.set _ZN7rocprim17ROCPRIM_400000_NS6detail31init_lookback_scan_state_kernelINS1_19lookback_scan_stateI15HIP_vector_typeIjLj2EELb1ELb1EEENS1_16block_id_wrapperIjLb0EEEEEvT_jT0_jPNS9_10value_typeE.num_vgpr, 8
	.set _ZN7rocprim17ROCPRIM_400000_NS6detail31init_lookback_scan_state_kernelINS1_19lookback_scan_stateI15HIP_vector_typeIjLj2EELb1ELb1EEENS1_16block_id_wrapperIjLb0EEEEEvT_jT0_jPNS9_10value_typeE.num_agpr, 0
	.set _ZN7rocprim17ROCPRIM_400000_NS6detail31init_lookback_scan_state_kernelINS1_19lookback_scan_stateI15HIP_vector_typeIjLj2EELb1ELb1EEENS1_16block_id_wrapperIjLb0EEEEEvT_jT0_jPNS9_10value_typeE.numbered_sgpr, 10
	.set _ZN7rocprim17ROCPRIM_400000_NS6detail31init_lookback_scan_state_kernelINS1_19lookback_scan_stateI15HIP_vector_typeIjLj2EELb1ELb1EEENS1_16block_id_wrapperIjLb0EEEEEvT_jT0_jPNS9_10value_typeE.num_named_barrier, 0
	.set _ZN7rocprim17ROCPRIM_400000_NS6detail31init_lookback_scan_state_kernelINS1_19lookback_scan_stateI15HIP_vector_typeIjLj2EELb1ELb1EEENS1_16block_id_wrapperIjLb0EEEEEvT_jT0_jPNS9_10value_typeE.private_seg_size, 0
	.set _ZN7rocprim17ROCPRIM_400000_NS6detail31init_lookback_scan_state_kernelINS1_19lookback_scan_stateI15HIP_vector_typeIjLj2EELb1ELb1EEENS1_16block_id_wrapperIjLb0EEEEEvT_jT0_jPNS9_10value_typeE.uses_vcc, 1
	.set _ZN7rocprim17ROCPRIM_400000_NS6detail31init_lookback_scan_state_kernelINS1_19lookback_scan_stateI15HIP_vector_typeIjLj2EELb1ELb1EEENS1_16block_id_wrapperIjLb0EEEEEvT_jT0_jPNS9_10value_typeE.uses_flat_scratch, 0
	.set _ZN7rocprim17ROCPRIM_400000_NS6detail31init_lookback_scan_state_kernelINS1_19lookback_scan_stateI15HIP_vector_typeIjLj2EELb1ELb1EEENS1_16block_id_wrapperIjLb0EEEEEvT_jT0_jPNS9_10value_typeE.has_dyn_sized_stack, 0
	.set _ZN7rocprim17ROCPRIM_400000_NS6detail31init_lookback_scan_state_kernelINS1_19lookback_scan_stateI15HIP_vector_typeIjLj2EELb1ELb1EEENS1_16block_id_wrapperIjLb0EEEEEvT_jT0_jPNS9_10value_typeE.has_recursion, 0
	.set _ZN7rocprim17ROCPRIM_400000_NS6detail31init_lookback_scan_state_kernelINS1_19lookback_scan_stateI15HIP_vector_typeIjLj2EELb1ELb1EEENS1_16block_id_wrapperIjLb0EEEEEvT_jT0_jPNS9_10value_typeE.has_indirect_call, 0
	.section	.AMDGPU.csdata,"",@progbits
; Kernel info:
; codeLenInByte = 456
; TotalNumSgprs: 12
; NumVgprs: 8
; ScratchSize: 0
; MemoryBound: 0
; FloatMode: 240
; IeeeMode: 1
; LDSByteSize: 0 bytes/workgroup (compile time only)
; SGPRBlocks: 0
; VGPRBlocks: 0
; NumSGPRsForWavesPerEU: 12
; NumVGPRsForWavesPerEU: 8
; Occupancy: 16
; WaveLimiterHint : 0
; COMPUTE_PGM_RSRC2:SCRATCH_EN: 0
; COMPUTE_PGM_RSRC2:USER_SGPR: 2
; COMPUTE_PGM_RSRC2:TRAP_HANDLER: 0
; COMPUTE_PGM_RSRC2:TGID_X_EN: 1
; COMPUTE_PGM_RSRC2:TGID_Y_EN: 0
; COMPUTE_PGM_RSRC2:TGID_Z_EN: 0
; COMPUTE_PGM_RSRC2:TIDIG_COMP_CNT: 0
	.section	.text._ZN7rocprim17ROCPRIM_400000_NS6detail17trampoline_kernelINS0_13select_configILj256ELj13ELNS0_17block_load_methodE3ELS4_3ELS4_3ELNS0_20block_scan_algorithmE0ELj4294967295EEENS1_25partition_config_selectorILNS1_17partition_subalgoE4EjNS0_10empty_typeEbEEZZNS1_14partition_implILS8_4ELb0ES6_15HIP_vector_typeIjLj2EENS0_17counting_iteratorIjlEEPS9_SG_NS0_5tupleIJPjSI_NS0_16reverse_iteratorISI_EEEEENSH_IJSG_SG_SG_EEES9_SI_JZNS1_25segmented_radix_sort_implINS0_14default_configELb1EPKhPhPKlPlN2at6native12_GLOBAL__N_18offset_tEEE10hipError_tPvRmT1_PNSt15iterator_traitsIS12_E10value_typeET2_T3_PNS13_IS18_E10value_typeET4_jRbjT5_S1E_jjP12ihipStream_tbEUljE_ZNSN_ISO_Lb1ESQ_SR_ST_SU_SY_EESZ_S10_S11_S12_S16_S17_S18_S1B_S1C_jS1D_jS1E_S1E_jjS1G_bEUljE0_EEESZ_S10_S11_S18_S1C_S1E_T6_T7_T9_mT8_S1G_bDpT10_ENKUlT_T0_E_clISt17integral_constantIbLb1EES1T_IbLb0EEEEDaS1P_S1Q_EUlS1P_E_NS1_11comp_targetILNS1_3genE0ELNS1_11target_archE4294967295ELNS1_3gpuE0ELNS1_3repE0EEENS1_30default_config_static_selectorELNS0_4arch9wavefront6targetE0EEEvS12_,"axG",@progbits,_ZN7rocprim17ROCPRIM_400000_NS6detail17trampoline_kernelINS0_13select_configILj256ELj13ELNS0_17block_load_methodE3ELS4_3ELS4_3ELNS0_20block_scan_algorithmE0ELj4294967295EEENS1_25partition_config_selectorILNS1_17partition_subalgoE4EjNS0_10empty_typeEbEEZZNS1_14partition_implILS8_4ELb0ES6_15HIP_vector_typeIjLj2EENS0_17counting_iteratorIjlEEPS9_SG_NS0_5tupleIJPjSI_NS0_16reverse_iteratorISI_EEEEENSH_IJSG_SG_SG_EEES9_SI_JZNS1_25segmented_radix_sort_implINS0_14default_configELb1EPKhPhPKlPlN2at6native12_GLOBAL__N_18offset_tEEE10hipError_tPvRmT1_PNSt15iterator_traitsIS12_E10value_typeET2_T3_PNS13_IS18_E10value_typeET4_jRbjT5_S1E_jjP12ihipStream_tbEUljE_ZNSN_ISO_Lb1ESQ_SR_ST_SU_SY_EESZ_S10_S11_S12_S16_S17_S18_S1B_S1C_jS1D_jS1E_S1E_jjS1G_bEUljE0_EEESZ_S10_S11_S18_S1C_S1E_T6_T7_T9_mT8_S1G_bDpT10_ENKUlT_T0_E_clISt17integral_constantIbLb1EES1T_IbLb0EEEEDaS1P_S1Q_EUlS1P_E_NS1_11comp_targetILNS1_3genE0ELNS1_11target_archE4294967295ELNS1_3gpuE0ELNS1_3repE0EEENS1_30default_config_static_selectorELNS0_4arch9wavefront6targetE0EEEvS12_,comdat
	.globl	_ZN7rocprim17ROCPRIM_400000_NS6detail17trampoline_kernelINS0_13select_configILj256ELj13ELNS0_17block_load_methodE3ELS4_3ELS4_3ELNS0_20block_scan_algorithmE0ELj4294967295EEENS1_25partition_config_selectorILNS1_17partition_subalgoE4EjNS0_10empty_typeEbEEZZNS1_14partition_implILS8_4ELb0ES6_15HIP_vector_typeIjLj2EENS0_17counting_iteratorIjlEEPS9_SG_NS0_5tupleIJPjSI_NS0_16reverse_iteratorISI_EEEEENSH_IJSG_SG_SG_EEES9_SI_JZNS1_25segmented_radix_sort_implINS0_14default_configELb1EPKhPhPKlPlN2at6native12_GLOBAL__N_18offset_tEEE10hipError_tPvRmT1_PNSt15iterator_traitsIS12_E10value_typeET2_T3_PNS13_IS18_E10value_typeET4_jRbjT5_S1E_jjP12ihipStream_tbEUljE_ZNSN_ISO_Lb1ESQ_SR_ST_SU_SY_EESZ_S10_S11_S12_S16_S17_S18_S1B_S1C_jS1D_jS1E_S1E_jjS1G_bEUljE0_EEESZ_S10_S11_S18_S1C_S1E_T6_T7_T9_mT8_S1G_bDpT10_ENKUlT_T0_E_clISt17integral_constantIbLb1EES1T_IbLb0EEEEDaS1P_S1Q_EUlS1P_E_NS1_11comp_targetILNS1_3genE0ELNS1_11target_archE4294967295ELNS1_3gpuE0ELNS1_3repE0EEENS1_30default_config_static_selectorELNS0_4arch9wavefront6targetE0EEEvS12_ ; -- Begin function _ZN7rocprim17ROCPRIM_400000_NS6detail17trampoline_kernelINS0_13select_configILj256ELj13ELNS0_17block_load_methodE3ELS4_3ELS4_3ELNS0_20block_scan_algorithmE0ELj4294967295EEENS1_25partition_config_selectorILNS1_17partition_subalgoE4EjNS0_10empty_typeEbEEZZNS1_14partition_implILS8_4ELb0ES6_15HIP_vector_typeIjLj2EENS0_17counting_iteratorIjlEEPS9_SG_NS0_5tupleIJPjSI_NS0_16reverse_iteratorISI_EEEEENSH_IJSG_SG_SG_EEES9_SI_JZNS1_25segmented_radix_sort_implINS0_14default_configELb1EPKhPhPKlPlN2at6native12_GLOBAL__N_18offset_tEEE10hipError_tPvRmT1_PNSt15iterator_traitsIS12_E10value_typeET2_T3_PNS13_IS18_E10value_typeET4_jRbjT5_S1E_jjP12ihipStream_tbEUljE_ZNSN_ISO_Lb1ESQ_SR_ST_SU_SY_EESZ_S10_S11_S12_S16_S17_S18_S1B_S1C_jS1D_jS1E_S1E_jjS1G_bEUljE0_EEESZ_S10_S11_S18_S1C_S1E_T6_T7_T9_mT8_S1G_bDpT10_ENKUlT_T0_E_clISt17integral_constantIbLb1EES1T_IbLb0EEEEDaS1P_S1Q_EUlS1P_E_NS1_11comp_targetILNS1_3genE0ELNS1_11target_archE4294967295ELNS1_3gpuE0ELNS1_3repE0EEENS1_30default_config_static_selectorELNS0_4arch9wavefront6targetE0EEEvS12_
	.p2align	8
	.type	_ZN7rocprim17ROCPRIM_400000_NS6detail17trampoline_kernelINS0_13select_configILj256ELj13ELNS0_17block_load_methodE3ELS4_3ELS4_3ELNS0_20block_scan_algorithmE0ELj4294967295EEENS1_25partition_config_selectorILNS1_17partition_subalgoE4EjNS0_10empty_typeEbEEZZNS1_14partition_implILS8_4ELb0ES6_15HIP_vector_typeIjLj2EENS0_17counting_iteratorIjlEEPS9_SG_NS0_5tupleIJPjSI_NS0_16reverse_iteratorISI_EEEEENSH_IJSG_SG_SG_EEES9_SI_JZNS1_25segmented_radix_sort_implINS0_14default_configELb1EPKhPhPKlPlN2at6native12_GLOBAL__N_18offset_tEEE10hipError_tPvRmT1_PNSt15iterator_traitsIS12_E10value_typeET2_T3_PNS13_IS18_E10value_typeET4_jRbjT5_S1E_jjP12ihipStream_tbEUljE_ZNSN_ISO_Lb1ESQ_SR_ST_SU_SY_EESZ_S10_S11_S12_S16_S17_S18_S1B_S1C_jS1D_jS1E_S1E_jjS1G_bEUljE0_EEESZ_S10_S11_S18_S1C_S1E_T6_T7_T9_mT8_S1G_bDpT10_ENKUlT_T0_E_clISt17integral_constantIbLb1EES1T_IbLb0EEEEDaS1P_S1Q_EUlS1P_E_NS1_11comp_targetILNS1_3genE0ELNS1_11target_archE4294967295ELNS1_3gpuE0ELNS1_3repE0EEENS1_30default_config_static_selectorELNS0_4arch9wavefront6targetE0EEEvS12_,@function
_ZN7rocprim17ROCPRIM_400000_NS6detail17trampoline_kernelINS0_13select_configILj256ELj13ELNS0_17block_load_methodE3ELS4_3ELS4_3ELNS0_20block_scan_algorithmE0ELj4294967295EEENS1_25partition_config_selectorILNS1_17partition_subalgoE4EjNS0_10empty_typeEbEEZZNS1_14partition_implILS8_4ELb0ES6_15HIP_vector_typeIjLj2EENS0_17counting_iteratorIjlEEPS9_SG_NS0_5tupleIJPjSI_NS0_16reverse_iteratorISI_EEEEENSH_IJSG_SG_SG_EEES9_SI_JZNS1_25segmented_radix_sort_implINS0_14default_configELb1EPKhPhPKlPlN2at6native12_GLOBAL__N_18offset_tEEE10hipError_tPvRmT1_PNSt15iterator_traitsIS12_E10value_typeET2_T3_PNS13_IS18_E10value_typeET4_jRbjT5_S1E_jjP12ihipStream_tbEUljE_ZNSN_ISO_Lb1ESQ_SR_ST_SU_SY_EESZ_S10_S11_S12_S16_S17_S18_S1B_S1C_jS1D_jS1E_S1E_jjS1G_bEUljE0_EEESZ_S10_S11_S18_S1C_S1E_T6_T7_T9_mT8_S1G_bDpT10_ENKUlT_T0_E_clISt17integral_constantIbLb1EES1T_IbLb0EEEEDaS1P_S1Q_EUlS1P_E_NS1_11comp_targetILNS1_3genE0ELNS1_11target_archE4294967295ELNS1_3gpuE0ELNS1_3repE0EEENS1_30default_config_static_selectorELNS0_4arch9wavefront6targetE0EEEvS12_: ; @_ZN7rocprim17ROCPRIM_400000_NS6detail17trampoline_kernelINS0_13select_configILj256ELj13ELNS0_17block_load_methodE3ELS4_3ELS4_3ELNS0_20block_scan_algorithmE0ELj4294967295EEENS1_25partition_config_selectorILNS1_17partition_subalgoE4EjNS0_10empty_typeEbEEZZNS1_14partition_implILS8_4ELb0ES6_15HIP_vector_typeIjLj2EENS0_17counting_iteratorIjlEEPS9_SG_NS0_5tupleIJPjSI_NS0_16reverse_iteratorISI_EEEEENSH_IJSG_SG_SG_EEES9_SI_JZNS1_25segmented_radix_sort_implINS0_14default_configELb1EPKhPhPKlPlN2at6native12_GLOBAL__N_18offset_tEEE10hipError_tPvRmT1_PNSt15iterator_traitsIS12_E10value_typeET2_T3_PNS13_IS18_E10value_typeET4_jRbjT5_S1E_jjP12ihipStream_tbEUljE_ZNSN_ISO_Lb1ESQ_SR_ST_SU_SY_EESZ_S10_S11_S12_S16_S17_S18_S1B_S1C_jS1D_jS1E_S1E_jjS1G_bEUljE0_EEESZ_S10_S11_S18_S1C_S1E_T6_T7_T9_mT8_S1G_bDpT10_ENKUlT_T0_E_clISt17integral_constantIbLb1EES1T_IbLb0EEEEDaS1P_S1Q_EUlS1P_E_NS1_11comp_targetILNS1_3genE0ELNS1_11target_archE4294967295ELNS1_3gpuE0ELNS1_3repE0EEENS1_30default_config_static_selectorELNS0_4arch9wavefront6targetE0EEEvS12_
; %bb.0:
	.section	.rodata,"a",@progbits
	.p2align	6, 0x0
	.amdhsa_kernel _ZN7rocprim17ROCPRIM_400000_NS6detail17trampoline_kernelINS0_13select_configILj256ELj13ELNS0_17block_load_methodE3ELS4_3ELS4_3ELNS0_20block_scan_algorithmE0ELj4294967295EEENS1_25partition_config_selectorILNS1_17partition_subalgoE4EjNS0_10empty_typeEbEEZZNS1_14partition_implILS8_4ELb0ES6_15HIP_vector_typeIjLj2EENS0_17counting_iteratorIjlEEPS9_SG_NS0_5tupleIJPjSI_NS0_16reverse_iteratorISI_EEEEENSH_IJSG_SG_SG_EEES9_SI_JZNS1_25segmented_radix_sort_implINS0_14default_configELb1EPKhPhPKlPlN2at6native12_GLOBAL__N_18offset_tEEE10hipError_tPvRmT1_PNSt15iterator_traitsIS12_E10value_typeET2_T3_PNS13_IS18_E10value_typeET4_jRbjT5_S1E_jjP12ihipStream_tbEUljE_ZNSN_ISO_Lb1ESQ_SR_ST_SU_SY_EESZ_S10_S11_S12_S16_S17_S18_S1B_S1C_jS1D_jS1E_S1E_jjS1G_bEUljE0_EEESZ_S10_S11_S18_S1C_S1E_T6_T7_T9_mT8_S1G_bDpT10_ENKUlT_T0_E_clISt17integral_constantIbLb1EES1T_IbLb0EEEEDaS1P_S1Q_EUlS1P_E_NS1_11comp_targetILNS1_3genE0ELNS1_11target_archE4294967295ELNS1_3gpuE0ELNS1_3repE0EEENS1_30default_config_static_selectorELNS0_4arch9wavefront6targetE0EEEvS12_
		.amdhsa_group_segment_fixed_size 0
		.amdhsa_private_segment_fixed_size 0
		.amdhsa_kernarg_size 176
		.amdhsa_user_sgpr_count 2
		.amdhsa_user_sgpr_dispatch_ptr 0
		.amdhsa_user_sgpr_queue_ptr 0
		.amdhsa_user_sgpr_kernarg_segment_ptr 1
		.amdhsa_user_sgpr_dispatch_id 0
		.amdhsa_user_sgpr_private_segment_size 0
		.amdhsa_wavefront_size32 1
		.amdhsa_uses_dynamic_stack 0
		.amdhsa_enable_private_segment 0
		.amdhsa_system_sgpr_workgroup_id_x 1
		.amdhsa_system_sgpr_workgroup_id_y 0
		.amdhsa_system_sgpr_workgroup_id_z 0
		.amdhsa_system_sgpr_workgroup_info 0
		.amdhsa_system_vgpr_workitem_id 0
		.amdhsa_next_free_vgpr 1
		.amdhsa_next_free_sgpr 1
		.amdhsa_reserve_vcc 0
		.amdhsa_float_round_mode_32 0
		.amdhsa_float_round_mode_16_64 0
		.amdhsa_float_denorm_mode_32 3
		.amdhsa_float_denorm_mode_16_64 3
		.amdhsa_fp16_overflow 0
		.amdhsa_workgroup_processor_mode 1
		.amdhsa_memory_ordered 1
		.amdhsa_forward_progress 1
		.amdhsa_inst_pref_size 0
		.amdhsa_round_robin_scheduling 0
		.amdhsa_exception_fp_ieee_invalid_op 0
		.amdhsa_exception_fp_denorm_src 0
		.amdhsa_exception_fp_ieee_div_zero 0
		.amdhsa_exception_fp_ieee_overflow 0
		.amdhsa_exception_fp_ieee_underflow 0
		.amdhsa_exception_fp_ieee_inexact 0
		.amdhsa_exception_int_div_zero 0
	.end_amdhsa_kernel
	.section	.text._ZN7rocprim17ROCPRIM_400000_NS6detail17trampoline_kernelINS0_13select_configILj256ELj13ELNS0_17block_load_methodE3ELS4_3ELS4_3ELNS0_20block_scan_algorithmE0ELj4294967295EEENS1_25partition_config_selectorILNS1_17partition_subalgoE4EjNS0_10empty_typeEbEEZZNS1_14partition_implILS8_4ELb0ES6_15HIP_vector_typeIjLj2EENS0_17counting_iteratorIjlEEPS9_SG_NS0_5tupleIJPjSI_NS0_16reverse_iteratorISI_EEEEENSH_IJSG_SG_SG_EEES9_SI_JZNS1_25segmented_radix_sort_implINS0_14default_configELb1EPKhPhPKlPlN2at6native12_GLOBAL__N_18offset_tEEE10hipError_tPvRmT1_PNSt15iterator_traitsIS12_E10value_typeET2_T3_PNS13_IS18_E10value_typeET4_jRbjT5_S1E_jjP12ihipStream_tbEUljE_ZNSN_ISO_Lb1ESQ_SR_ST_SU_SY_EESZ_S10_S11_S12_S16_S17_S18_S1B_S1C_jS1D_jS1E_S1E_jjS1G_bEUljE0_EEESZ_S10_S11_S18_S1C_S1E_T6_T7_T9_mT8_S1G_bDpT10_ENKUlT_T0_E_clISt17integral_constantIbLb1EES1T_IbLb0EEEEDaS1P_S1Q_EUlS1P_E_NS1_11comp_targetILNS1_3genE0ELNS1_11target_archE4294967295ELNS1_3gpuE0ELNS1_3repE0EEENS1_30default_config_static_selectorELNS0_4arch9wavefront6targetE0EEEvS12_,"axG",@progbits,_ZN7rocprim17ROCPRIM_400000_NS6detail17trampoline_kernelINS0_13select_configILj256ELj13ELNS0_17block_load_methodE3ELS4_3ELS4_3ELNS0_20block_scan_algorithmE0ELj4294967295EEENS1_25partition_config_selectorILNS1_17partition_subalgoE4EjNS0_10empty_typeEbEEZZNS1_14partition_implILS8_4ELb0ES6_15HIP_vector_typeIjLj2EENS0_17counting_iteratorIjlEEPS9_SG_NS0_5tupleIJPjSI_NS0_16reverse_iteratorISI_EEEEENSH_IJSG_SG_SG_EEES9_SI_JZNS1_25segmented_radix_sort_implINS0_14default_configELb1EPKhPhPKlPlN2at6native12_GLOBAL__N_18offset_tEEE10hipError_tPvRmT1_PNSt15iterator_traitsIS12_E10value_typeET2_T3_PNS13_IS18_E10value_typeET4_jRbjT5_S1E_jjP12ihipStream_tbEUljE_ZNSN_ISO_Lb1ESQ_SR_ST_SU_SY_EESZ_S10_S11_S12_S16_S17_S18_S1B_S1C_jS1D_jS1E_S1E_jjS1G_bEUljE0_EEESZ_S10_S11_S18_S1C_S1E_T6_T7_T9_mT8_S1G_bDpT10_ENKUlT_T0_E_clISt17integral_constantIbLb1EES1T_IbLb0EEEEDaS1P_S1Q_EUlS1P_E_NS1_11comp_targetILNS1_3genE0ELNS1_11target_archE4294967295ELNS1_3gpuE0ELNS1_3repE0EEENS1_30default_config_static_selectorELNS0_4arch9wavefront6targetE0EEEvS12_,comdat
.Lfunc_end30:
	.size	_ZN7rocprim17ROCPRIM_400000_NS6detail17trampoline_kernelINS0_13select_configILj256ELj13ELNS0_17block_load_methodE3ELS4_3ELS4_3ELNS0_20block_scan_algorithmE0ELj4294967295EEENS1_25partition_config_selectorILNS1_17partition_subalgoE4EjNS0_10empty_typeEbEEZZNS1_14partition_implILS8_4ELb0ES6_15HIP_vector_typeIjLj2EENS0_17counting_iteratorIjlEEPS9_SG_NS0_5tupleIJPjSI_NS0_16reverse_iteratorISI_EEEEENSH_IJSG_SG_SG_EEES9_SI_JZNS1_25segmented_radix_sort_implINS0_14default_configELb1EPKhPhPKlPlN2at6native12_GLOBAL__N_18offset_tEEE10hipError_tPvRmT1_PNSt15iterator_traitsIS12_E10value_typeET2_T3_PNS13_IS18_E10value_typeET4_jRbjT5_S1E_jjP12ihipStream_tbEUljE_ZNSN_ISO_Lb1ESQ_SR_ST_SU_SY_EESZ_S10_S11_S12_S16_S17_S18_S1B_S1C_jS1D_jS1E_S1E_jjS1G_bEUljE0_EEESZ_S10_S11_S18_S1C_S1E_T6_T7_T9_mT8_S1G_bDpT10_ENKUlT_T0_E_clISt17integral_constantIbLb1EES1T_IbLb0EEEEDaS1P_S1Q_EUlS1P_E_NS1_11comp_targetILNS1_3genE0ELNS1_11target_archE4294967295ELNS1_3gpuE0ELNS1_3repE0EEENS1_30default_config_static_selectorELNS0_4arch9wavefront6targetE0EEEvS12_, .Lfunc_end30-_ZN7rocprim17ROCPRIM_400000_NS6detail17trampoline_kernelINS0_13select_configILj256ELj13ELNS0_17block_load_methodE3ELS4_3ELS4_3ELNS0_20block_scan_algorithmE0ELj4294967295EEENS1_25partition_config_selectorILNS1_17partition_subalgoE4EjNS0_10empty_typeEbEEZZNS1_14partition_implILS8_4ELb0ES6_15HIP_vector_typeIjLj2EENS0_17counting_iteratorIjlEEPS9_SG_NS0_5tupleIJPjSI_NS0_16reverse_iteratorISI_EEEEENSH_IJSG_SG_SG_EEES9_SI_JZNS1_25segmented_radix_sort_implINS0_14default_configELb1EPKhPhPKlPlN2at6native12_GLOBAL__N_18offset_tEEE10hipError_tPvRmT1_PNSt15iterator_traitsIS12_E10value_typeET2_T3_PNS13_IS18_E10value_typeET4_jRbjT5_S1E_jjP12ihipStream_tbEUljE_ZNSN_ISO_Lb1ESQ_SR_ST_SU_SY_EESZ_S10_S11_S12_S16_S17_S18_S1B_S1C_jS1D_jS1E_S1E_jjS1G_bEUljE0_EEESZ_S10_S11_S18_S1C_S1E_T6_T7_T9_mT8_S1G_bDpT10_ENKUlT_T0_E_clISt17integral_constantIbLb1EES1T_IbLb0EEEEDaS1P_S1Q_EUlS1P_E_NS1_11comp_targetILNS1_3genE0ELNS1_11target_archE4294967295ELNS1_3gpuE0ELNS1_3repE0EEENS1_30default_config_static_selectorELNS0_4arch9wavefront6targetE0EEEvS12_
                                        ; -- End function
	.set _ZN7rocprim17ROCPRIM_400000_NS6detail17trampoline_kernelINS0_13select_configILj256ELj13ELNS0_17block_load_methodE3ELS4_3ELS4_3ELNS0_20block_scan_algorithmE0ELj4294967295EEENS1_25partition_config_selectorILNS1_17partition_subalgoE4EjNS0_10empty_typeEbEEZZNS1_14partition_implILS8_4ELb0ES6_15HIP_vector_typeIjLj2EENS0_17counting_iteratorIjlEEPS9_SG_NS0_5tupleIJPjSI_NS0_16reverse_iteratorISI_EEEEENSH_IJSG_SG_SG_EEES9_SI_JZNS1_25segmented_radix_sort_implINS0_14default_configELb1EPKhPhPKlPlN2at6native12_GLOBAL__N_18offset_tEEE10hipError_tPvRmT1_PNSt15iterator_traitsIS12_E10value_typeET2_T3_PNS13_IS18_E10value_typeET4_jRbjT5_S1E_jjP12ihipStream_tbEUljE_ZNSN_ISO_Lb1ESQ_SR_ST_SU_SY_EESZ_S10_S11_S12_S16_S17_S18_S1B_S1C_jS1D_jS1E_S1E_jjS1G_bEUljE0_EEESZ_S10_S11_S18_S1C_S1E_T6_T7_T9_mT8_S1G_bDpT10_ENKUlT_T0_E_clISt17integral_constantIbLb1EES1T_IbLb0EEEEDaS1P_S1Q_EUlS1P_E_NS1_11comp_targetILNS1_3genE0ELNS1_11target_archE4294967295ELNS1_3gpuE0ELNS1_3repE0EEENS1_30default_config_static_selectorELNS0_4arch9wavefront6targetE0EEEvS12_.num_vgpr, 0
	.set _ZN7rocprim17ROCPRIM_400000_NS6detail17trampoline_kernelINS0_13select_configILj256ELj13ELNS0_17block_load_methodE3ELS4_3ELS4_3ELNS0_20block_scan_algorithmE0ELj4294967295EEENS1_25partition_config_selectorILNS1_17partition_subalgoE4EjNS0_10empty_typeEbEEZZNS1_14partition_implILS8_4ELb0ES6_15HIP_vector_typeIjLj2EENS0_17counting_iteratorIjlEEPS9_SG_NS0_5tupleIJPjSI_NS0_16reverse_iteratorISI_EEEEENSH_IJSG_SG_SG_EEES9_SI_JZNS1_25segmented_radix_sort_implINS0_14default_configELb1EPKhPhPKlPlN2at6native12_GLOBAL__N_18offset_tEEE10hipError_tPvRmT1_PNSt15iterator_traitsIS12_E10value_typeET2_T3_PNS13_IS18_E10value_typeET4_jRbjT5_S1E_jjP12ihipStream_tbEUljE_ZNSN_ISO_Lb1ESQ_SR_ST_SU_SY_EESZ_S10_S11_S12_S16_S17_S18_S1B_S1C_jS1D_jS1E_S1E_jjS1G_bEUljE0_EEESZ_S10_S11_S18_S1C_S1E_T6_T7_T9_mT8_S1G_bDpT10_ENKUlT_T0_E_clISt17integral_constantIbLb1EES1T_IbLb0EEEEDaS1P_S1Q_EUlS1P_E_NS1_11comp_targetILNS1_3genE0ELNS1_11target_archE4294967295ELNS1_3gpuE0ELNS1_3repE0EEENS1_30default_config_static_selectorELNS0_4arch9wavefront6targetE0EEEvS12_.num_agpr, 0
	.set _ZN7rocprim17ROCPRIM_400000_NS6detail17trampoline_kernelINS0_13select_configILj256ELj13ELNS0_17block_load_methodE3ELS4_3ELS4_3ELNS0_20block_scan_algorithmE0ELj4294967295EEENS1_25partition_config_selectorILNS1_17partition_subalgoE4EjNS0_10empty_typeEbEEZZNS1_14partition_implILS8_4ELb0ES6_15HIP_vector_typeIjLj2EENS0_17counting_iteratorIjlEEPS9_SG_NS0_5tupleIJPjSI_NS0_16reverse_iteratorISI_EEEEENSH_IJSG_SG_SG_EEES9_SI_JZNS1_25segmented_radix_sort_implINS0_14default_configELb1EPKhPhPKlPlN2at6native12_GLOBAL__N_18offset_tEEE10hipError_tPvRmT1_PNSt15iterator_traitsIS12_E10value_typeET2_T3_PNS13_IS18_E10value_typeET4_jRbjT5_S1E_jjP12ihipStream_tbEUljE_ZNSN_ISO_Lb1ESQ_SR_ST_SU_SY_EESZ_S10_S11_S12_S16_S17_S18_S1B_S1C_jS1D_jS1E_S1E_jjS1G_bEUljE0_EEESZ_S10_S11_S18_S1C_S1E_T6_T7_T9_mT8_S1G_bDpT10_ENKUlT_T0_E_clISt17integral_constantIbLb1EES1T_IbLb0EEEEDaS1P_S1Q_EUlS1P_E_NS1_11comp_targetILNS1_3genE0ELNS1_11target_archE4294967295ELNS1_3gpuE0ELNS1_3repE0EEENS1_30default_config_static_selectorELNS0_4arch9wavefront6targetE0EEEvS12_.numbered_sgpr, 0
	.set _ZN7rocprim17ROCPRIM_400000_NS6detail17trampoline_kernelINS0_13select_configILj256ELj13ELNS0_17block_load_methodE3ELS4_3ELS4_3ELNS0_20block_scan_algorithmE0ELj4294967295EEENS1_25partition_config_selectorILNS1_17partition_subalgoE4EjNS0_10empty_typeEbEEZZNS1_14partition_implILS8_4ELb0ES6_15HIP_vector_typeIjLj2EENS0_17counting_iteratorIjlEEPS9_SG_NS0_5tupleIJPjSI_NS0_16reverse_iteratorISI_EEEEENSH_IJSG_SG_SG_EEES9_SI_JZNS1_25segmented_radix_sort_implINS0_14default_configELb1EPKhPhPKlPlN2at6native12_GLOBAL__N_18offset_tEEE10hipError_tPvRmT1_PNSt15iterator_traitsIS12_E10value_typeET2_T3_PNS13_IS18_E10value_typeET4_jRbjT5_S1E_jjP12ihipStream_tbEUljE_ZNSN_ISO_Lb1ESQ_SR_ST_SU_SY_EESZ_S10_S11_S12_S16_S17_S18_S1B_S1C_jS1D_jS1E_S1E_jjS1G_bEUljE0_EEESZ_S10_S11_S18_S1C_S1E_T6_T7_T9_mT8_S1G_bDpT10_ENKUlT_T0_E_clISt17integral_constantIbLb1EES1T_IbLb0EEEEDaS1P_S1Q_EUlS1P_E_NS1_11comp_targetILNS1_3genE0ELNS1_11target_archE4294967295ELNS1_3gpuE0ELNS1_3repE0EEENS1_30default_config_static_selectorELNS0_4arch9wavefront6targetE0EEEvS12_.num_named_barrier, 0
	.set _ZN7rocprim17ROCPRIM_400000_NS6detail17trampoline_kernelINS0_13select_configILj256ELj13ELNS0_17block_load_methodE3ELS4_3ELS4_3ELNS0_20block_scan_algorithmE0ELj4294967295EEENS1_25partition_config_selectorILNS1_17partition_subalgoE4EjNS0_10empty_typeEbEEZZNS1_14partition_implILS8_4ELb0ES6_15HIP_vector_typeIjLj2EENS0_17counting_iteratorIjlEEPS9_SG_NS0_5tupleIJPjSI_NS0_16reverse_iteratorISI_EEEEENSH_IJSG_SG_SG_EEES9_SI_JZNS1_25segmented_radix_sort_implINS0_14default_configELb1EPKhPhPKlPlN2at6native12_GLOBAL__N_18offset_tEEE10hipError_tPvRmT1_PNSt15iterator_traitsIS12_E10value_typeET2_T3_PNS13_IS18_E10value_typeET4_jRbjT5_S1E_jjP12ihipStream_tbEUljE_ZNSN_ISO_Lb1ESQ_SR_ST_SU_SY_EESZ_S10_S11_S12_S16_S17_S18_S1B_S1C_jS1D_jS1E_S1E_jjS1G_bEUljE0_EEESZ_S10_S11_S18_S1C_S1E_T6_T7_T9_mT8_S1G_bDpT10_ENKUlT_T0_E_clISt17integral_constantIbLb1EES1T_IbLb0EEEEDaS1P_S1Q_EUlS1P_E_NS1_11comp_targetILNS1_3genE0ELNS1_11target_archE4294967295ELNS1_3gpuE0ELNS1_3repE0EEENS1_30default_config_static_selectorELNS0_4arch9wavefront6targetE0EEEvS12_.private_seg_size, 0
	.set _ZN7rocprim17ROCPRIM_400000_NS6detail17trampoline_kernelINS0_13select_configILj256ELj13ELNS0_17block_load_methodE3ELS4_3ELS4_3ELNS0_20block_scan_algorithmE0ELj4294967295EEENS1_25partition_config_selectorILNS1_17partition_subalgoE4EjNS0_10empty_typeEbEEZZNS1_14partition_implILS8_4ELb0ES6_15HIP_vector_typeIjLj2EENS0_17counting_iteratorIjlEEPS9_SG_NS0_5tupleIJPjSI_NS0_16reverse_iteratorISI_EEEEENSH_IJSG_SG_SG_EEES9_SI_JZNS1_25segmented_radix_sort_implINS0_14default_configELb1EPKhPhPKlPlN2at6native12_GLOBAL__N_18offset_tEEE10hipError_tPvRmT1_PNSt15iterator_traitsIS12_E10value_typeET2_T3_PNS13_IS18_E10value_typeET4_jRbjT5_S1E_jjP12ihipStream_tbEUljE_ZNSN_ISO_Lb1ESQ_SR_ST_SU_SY_EESZ_S10_S11_S12_S16_S17_S18_S1B_S1C_jS1D_jS1E_S1E_jjS1G_bEUljE0_EEESZ_S10_S11_S18_S1C_S1E_T6_T7_T9_mT8_S1G_bDpT10_ENKUlT_T0_E_clISt17integral_constantIbLb1EES1T_IbLb0EEEEDaS1P_S1Q_EUlS1P_E_NS1_11comp_targetILNS1_3genE0ELNS1_11target_archE4294967295ELNS1_3gpuE0ELNS1_3repE0EEENS1_30default_config_static_selectorELNS0_4arch9wavefront6targetE0EEEvS12_.uses_vcc, 0
	.set _ZN7rocprim17ROCPRIM_400000_NS6detail17trampoline_kernelINS0_13select_configILj256ELj13ELNS0_17block_load_methodE3ELS4_3ELS4_3ELNS0_20block_scan_algorithmE0ELj4294967295EEENS1_25partition_config_selectorILNS1_17partition_subalgoE4EjNS0_10empty_typeEbEEZZNS1_14partition_implILS8_4ELb0ES6_15HIP_vector_typeIjLj2EENS0_17counting_iteratorIjlEEPS9_SG_NS0_5tupleIJPjSI_NS0_16reverse_iteratorISI_EEEEENSH_IJSG_SG_SG_EEES9_SI_JZNS1_25segmented_radix_sort_implINS0_14default_configELb1EPKhPhPKlPlN2at6native12_GLOBAL__N_18offset_tEEE10hipError_tPvRmT1_PNSt15iterator_traitsIS12_E10value_typeET2_T3_PNS13_IS18_E10value_typeET4_jRbjT5_S1E_jjP12ihipStream_tbEUljE_ZNSN_ISO_Lb1ESQ_SR_ST_SU_SY_EESZ_S10_S11_S12_S16_S17_S18_S1B_S1C_jS1D_jS1E_S1E_jjS1G_bEUljE0_EEESZ_S10_S11_S18_S1C_S1E_T6_T7_T9_mT8_S1G_bDpT10_ENKUlT_T0_E_clISt17integral_constantIbLb1EES1T_IbLb0EEEEDaS1P_S1Q_EUlS1P_E_NS1_11comp_targetILNS1_3genE0ELNS1_11target_archE4294967295ELNS1_3gpuE0ELNS1_3repE0EEENS1_30default_config_static_selectorELNS0_4arch9wavefront6targetE0EEEvS12_.uses_flat_scratch, 0
	.set _ZN7rocprim17ROCPRIM_400000_NS6detail17trampoline_kernelINS0_13select_configILj256ELj13ELNS0_17block_load_methodE3ELS4_3ELS4_3ELNS0_20block_scan_algorithmE0ELj4294967295EEENS1_25partition_config_selectorILNS1_17partition_subalgoE4EjNS0_10empty_typeEbEEZZNS1_14partition_implILS8_4ELb0ES6_15HIP_vector_typeIjLj2EENS0_17counting_iteratorIjlEEPS9_SG_NS0_5tupleIJPjSI_NS0_16reverse_iteratorISI_EEEEENSH_IJSG_SG_SG_EEES9_SI_JZNS1_25segmented_radix_sort_implINS0_14default_configELb1EPKhPhPKlPlN2at6native12_GLOBAL__N_18offset_tEEE10hipError_tPvRmT1_PNSt15iterator_traitsIS12_E10value_typeET2_T3_PNS13_IS18_E10value_typeET4_jRbjT5_S1E_jjP12ihipStream_tbEUljE_ZNSN_ISO_Lb1ESQ_SR_ST_SU_SY_EESZ_S10_S11_S12_S16_S17_S18_S1B_S1C_jS1D_jS1E_S1E_jjS1G_bEUljE0_EEESZ_S10_S11_S18_S1C_S1E_T6_T7_T9_mT8_S1G_bDpT10_ENKUlT_T0_E_clISt17integral_constantIbLb1EES1T_IbLb0EEEEDaS1P_S1Q_EUlS1P_E_NS1_11comp_targetILNS1_3genE0ELNS1_11target_archE4294967295ELNS1_3gpuE0ELNS1_3repE0EEENS1_30default_config_static_selectorELNS0_4arch9wavefront6targetE0EEEvS12_.has_dyn_sized_stack, 0
	.set _ZN7rocprim17ROCPRIM_400000_NS6detail17trampoline_kernelINS0_13select_configILj256ELj13ELNS0_17block_load_methodE3ELS4_3ELS4_3ELNS0_20block_scan_algorithmE0ELj4294967295EEENS1_25partition_config_selectorILNS1_17partition_subalgoE4EjNS0_10empty_typeEbEEZZNS1_14partition_implILS8_4ELb0ES6_15HIP_vector_typeIjLj2EENS0_17counting_iteratorIjlEEPS9_SG_NS0_5tupleIJPjSI_NS0_16reverse_iteratorISI_EEEEENSH_IJSG_SG_SG_EEES9_SI_JZNS1_25segmented_radix_sort_implINS0_14default_configELb1EPKhPhPKlPlN2at6native12_GLOBAL__N_18offset_tEEE10hipError_tPvRmT1_PNSt15iterator_traitsIS12_E10value_typeET2_T3_PNS13_IS18_E10value_typeET4_jRbjT5_S1E_jjP12ihipStream_tbEUljE_ZNSN_ISO_Lb1ESQ_SR_ST_SU_SY_EESZ_S10_S11_S12_S16_S17_S18_S1B_S1C_jS1D_jS1E_S1E_jjS1G_bEUljE0_EEESZ_S10_S11_S18_S1C_S1E_T6_T7_T9_mT8_S1G_bDpT10_ENKUlT_T0_E_clISt17integral_constantIbLb1EES1T_IbLb0EEEEDaS1P_S1Q_EUlS1P_E_NS1_11comp_targetILNS1_3genE0ELNS1_11target_archE4294967295ELNS1_3gpuE0ELNS1_3repE0EEENS1_30default_config_static_selectorELNS0_4arch9wavefront6targetE0EEEvS12_.has_recursion, 0
	.set _ZN7rocprim17ROCPRIM_400000_NS6detail17trampoline_kernelINS0_13select_configILj256ELj13ELNS0_17block_load_methodE3ELS4_3ELS4_3ELNS0_20block_scan_algorithmE0ELj4294967295EEENS1_25partition_config_selectorILNS1_17partition_subalgoE4EjNS0_10empty_typeEbEEZZNS1_14partition_implILS8_4ELb0ES6_15HIP_vector_typeIjLj2EENS0_17counting_iteratorIjlEEPS9_SG_NS0_5tupleIJPjSI_NS0_16reverse_iteratorISI_EEEEENSH_IJSG_SG_SG_EEES9_SI_JZNS1_25segmented_radix_sort_implINS0_14default_configELb1EPKhPhPKlPlN2at6native12_GLOBAL__N_18offset_tEEE10hipError_tPvRmT1_PNSt15iterator_traitsIS12_E10value_typeET2_T3_PNS13_IS18_E10value_typeET4_jRbjT5_S1E_jjP12ihipStream_tbEUljE_ZNSN_ISO_Lb1ESQ_SR_ST_SU_SY_EESZ_S10_S11_S12_S16_S17_S18_S1B_S1C_jS1D_jS1E_S1E_jjS1G_bEUljE0_EEESZ_S10_S11_S18_S1C_S1E_T6_T7_T9_mT8_S1G_bDpT10_ENKUlT_T0_E_clISt17integral_constantIbLb1EES1T_IbLb0EEEEDaS1P_S1Q_EUlS1P_E_NS1_11comp_targetILNS1_3genE0ELNS1_11target_archE4294967295ELNS1_3gpuE0ELNS1_3repE0EEENS1_30default_config_static_selectorELNS0_4arch9wavefront6targetE0EEEvS12_.has_indirect_call, 0
	.section	.AMDGPU.csdata,"",@progbits
; Kernel info:
; codeLenInByte = 0
; TotalNumSgprs: 0
; NumVgprs: 0
; ScratchSize: 0
; MemoryBound: 0
; FloatMode: 240
; IeeeMode: 1
; LDSByteSize: 0 bytes/workgroup (compile time only)
; SGPRBlocks: 0
; VGPRBlocks: 0
; NumSGPRsForWavesPerEU: 1
; NumVGPRsForWavesPerEU: 1
; Occupancy: 16
; WaveLimiterHint : 0
; COMPUTE_PGM_RSRC2:SCRATCH_EN: 0
; COMPUTE_PGM_RSRC2:USER_SGPR: 2
; COMPUTE_PGM_RSRC2:TRAP_HANDLER: 0
; COMPUTE_PGM_RSRC2:TGID_X_EN: 1
; COMPUTE_PGM_RSRC2:TGID_Y_EN: 0
; COMPUTE_PGM_RSRC2:TGID_Z_EN: 0
; COMPUTE_PGM_RSRC2:TIDIG_COMP_CNT: 0
	.section	.text._ZN7rocprim17ROCPRIM_400000_NS6detail17trampoline_kernelINS0_13select_configILj256ELj13ELNS0_17block_load_methodE3ELS4_3ELS4_3ELNS0_20block_scan_algorithmE0ELj4294967295EEENS1_25partition_config_selectorILNS1_17partition_subalgoE4EjNS0_10empty_typeEbEEZZNS1_14partition_implILS8_4ELb0ES6_15HIP_vector_typeIjLj2EENS0_17counting_iteratorIjlEEPS9_SG_NS0_5tupleIJPjSI_NS0_16reverse_iteratorISI_EEEEENSH_IJSG_SG_SG_EEES9_SI_JZNS1_25segmented_radix_sort_implINS0_14default_configELb1EPKhPhPKlPlN2at6native12_GLOBAL__N_18offset_tEEE10hipError_tPvRmT1_PNSt15iterator_traitsIS12_E10value_typeET2_T3_PNS13_IS18_E10value_typeET4_jRbjT5_S1E_jjP12ihipStream_tbEUljE_ZNSN_ISO_Lb1ESQ_SR_ST_SU_SY_EESZ_S10_S11_S12_S16_S17_S18_S1B_S1C_jS1D_jS1E_S1E_jjS1G_bEUljE0_EEESZ_S10_S11_S18_S1C_S1E_T6_T7_T9_mT8_S1G_bDpT10_ENKUlT_T0_E_clISt17integral_constantIbLb1EES1T_IbLb0EEEEDaS1P_S1Q_EUlS1P_E_NS1_11comp_targetILNS1_3genE5ELNS1_11target_archE942ELNS1_3gpuE9ELNS1_3repE0EEENS1_30default_config_static_selectorELNS0_4arch9wavefront6targetE0EEEvS12_,"axG",@progbits,_ZN7rocprim17ROCPRIM_400000_NS6detail17trampoline_kernelINS0_13select_configILj256ELj13ELNS0_17block_load_methodE3ELS4_3ELS4_3ELNS0_20block_scan_algorithmE0ELj4294967295EEENS1_25partition_config_selectorILNS1_17partition_subalgoE4EjNS0_10empty_typeEbEEZZNS1_14partition_implILS8_4ELb0ES6_15HIP_vector_typeIjLj2EENS0_17counting_iteratorIjlEEPS9_SG_NS0_5tupleIJPjSI_NS0_16reverse_iteratorISI_EEEEENSH_IJSG_SG_SG_EEES9_SI_JZNS1_25segmented_radix_sort_implINS0_14default_configELb1EPKhPhPKlPlN2at6native12_GLOBAL__N_18offset_tEEE10hipError_tPvRmT1_PNSt15iterator_traitsIS12_E10value_typeET2_T3_PNS13_IS18_E10value_typeET4_jRbjT5_S1E_jjP12ihipStream_tbEUljE_ZNSN_ISO_Lb1ESQ_SR_ST_SU_SY_EESZ_S10_S11_S12_S16_S17_S18_S1B_S1C_jS1D_jS1E_S1E_jjS1G_bEUljE0_EEESZ_S10_S11_S18_S1C_S1E_T6_T7_T9_mT8_S1G_bDpT10_ENKUlT_T0_E_clISt17integral_constantIbLb1EES1T_IbLb0EEEEDaS1P_S1Q_EUlS1P_E_NS1_11comp_targetILNS1_3genE5ELNS1_11target_archE942ELNS1_3gpuE9ELNS1_3repE0EEENS1_30default_config_static_selectorELNS0_4arch9wavefront6targetE0EEEvS12_,comdat
	.globl	_ZN7rocprim17ROCPRIM_400000_NS6detail17trampoline_kernelINS0_13select_configILj256ELj13ELNS0_17block_load_methodE3ELS4_3ELS4_3ELNS0_20block_scan_algorithmE0ELj4294967295EEENS1_25partition_config_selectorILNS1_17partition_subalgoE4EjNS0_10empty_typeEbEEZZNS1_14partition_implILS8_4ELb0ES6_15HIP_vector_typeIjLj2EENS0_17counting_iteratorIjlEEPS9_SG_NS0_5tupleIJPjSI_NS0_16reverse_iteratorISI_EEEEENSH_IJSG_SG_SG_EEES9_SI_JZNS1_25segmented_radix_sort_implINS0_14default_configELb1EPKhPhPKlPlN2at6native12_GLOBAL__N_18offset_tEEE10hipError_tPvRmT1_PNSt15iterator_traitsIS12_E10value_typeET2_T3_PNS13_IS18_E10value_typeET4_jRbjT5_S1E_jjP12ihipStream_tbEUljE_ZNSN_ISO_Lb1ESQ_SR_ST_SU_SY_EESZ_S10_S11_S12_S16_S17_S18_S1B_S1C_jS1D_jS1E_S1E_jjS1G_bEUljE0_EEESZ_S10_S11_S18_S1C_S1E_T6_T7_T9_mT8_S1G_bDpT10_ENKUlT_T0_E_clISt17integral_constantIbLb1EES1T_IbLb0EEEEDaS1P_S1Q_EUlS1P_E_NS1_11comp_targetILNS1_3genE5ELNS1_11target_archE942ELNS1_3gpuE9ELNS1_3repE0EEENS1_30default_config_static_selectorELNS0_4arch9wavefront6targetE0EEEvS12_ ; -- Begin function _ZN7rocprim17ROCPRIM_400000_NS6detail17trampoline_kernelINS0_13select_configILj256ELj13ELNS0_17block_load_methodE3ELS4_3ELS4_3ELNS0_20block_scan_algorithmE0ELj4294967295EEENS1_25partition_config_selectorILNS1_17partition_subalgoE4EjNS0_10empty_typeEbEEZZNS1_14partition_implILS8_4ELb0ES6_15HIP_vector_typeIjLj2EENS0_17counting_iteratorIjlEEPS9_SG_NS0_5tupleIJPjSI_NS0_16reverse_iteratorISI_EEEEENSH_IJSG_SG_SG_EEES9_SI_JZNS1_25segmented_radix_sort_implINS0_14default_configELb1EPKhPhPKlPlN2at6native12_GLOBAL__N_18offset_tEEE10hipError_tPvRmT1_PNSt15iterator_traitsIS12_E10value_typeET2_T3_PNS13_IS18_E10value_typeET4_jRbjT5_S1E_jjP12ihipStream_tbEUljE_ZNSN_ISO_Lb1ESQ_SR_ST_SU_SY_EESZ_S10_S11_S12_S16_S17_S18_S1B_S1C_jS1D_jS1E_S1E_jjS1G_bEUljE0_EEESZ_S10_S11_S18_S1C_S1E_T6_T7_T9_mT8_S1G_bDpT10_ENKUlT_T0_E_clISt17integral_constantIbLb1EES1T_IbLb0EEEEDaS1P_S1Q_EUlS1P_E_NS1_11comp_targetILNS1_3genE5ELNS1_11target_archE942ELNS1_3gpuE9ELNS1_3repE0EEENS1_30default_config_static_selectorELNS0_4arch9wavefront6targetE0EEEvS12_
	.p2align	8
	.type	_ZN7rocprim17ROCPRIM_400000_NS6detail17trampoline_kernelINS0_13select_configILj256ELj13ELNS0_17block_load_methodE3ELS4_3ELS4_3ELNS0_20block_scan_algorithmE0ELj4294967295EEENS1_25partition_config_selectorILNS1_17partition_subalgoE4EjNS0_10empty_typeEbEEZZNS1_14partition_implILS8_4ELb0ES6_15HIP_vector_typeIjLj2EENS0_17counting_iteratorIjlEEPS9_SG_NS0_5tupleIJPjSI_NS0_16reverse_iteratorISI_EEEEENSH_IJSG_SG_SG_EEES9_SI_JZNS1_25segmented_radix_sort_implINS0_14default_configELb1EPKhPhPKlPlN2at6native12_GLOBAL__N_18offset_tEEE10hipError_tPvRmT1_PNSt15iterator_traitsIS12_E10value_typeET2_T3_PNS13_IS18_E10value_typeET4_jRbjT5_S1E_jjP12ihipStream_tbEUljE_ZNSN_ISO_Lb1ESQ_SR_ST_SU_SY_EESZ_S10_S11_S12_S16_S17_S18_S1B_S1C_jS1D_jS1E_S1E_jjS1G_bEUljE0_EEESZ_S10_S11_S18_S1C_S1E_T6_T7_T9_mT8_S1G_bDpT10_ENKUlT_T0_E_clISt17integral_constantIbLb1EES1T_IbLb0EEEEDaS1P_S1Q_EUlS1P_E_NS1_11comp_targetILNS1_3genE5ELNS1_11target_archE942ELNS1_3gpuE9ELNS1_3repE0EEENS1_30default_config_static_selectorELNS0_4arch9wavefront6targetE0EEEvS12_,@function
_ZN7rocprim17ROCPRIM_400000_NS6detail17trampoline_kernelINS0_13select_configILj256ELj13ELNS0_17block_load_methodE3ELS4_3ELS4_3ELNS0_20block_scan_algorithmE0ELj4294967295EEENS1_25partition_config_selectorILNS1_17partition_subalgoE4EjNS0_10empty_typeEbEEZZNS1_14partition_implILS8_4ELb0ES6_15HIP_vector_typeIjLj2EENS0_17counting_iteratorIjlEEPS9_SG_NS0_5tupleIJPjSI_NS0_16reverse_iteratorISI_EEEEENSH_IJSG_SG_SG_EEES9_SI_JZNS1_25segmented_radix_sort_implINS0_14default_configELb1EPKhPhPKlPlN2at6native12_GLOBAL__N_18offset_tEEE10hipError_tPvRmT1_PNSt15iterator_traitsIS12_E10value_typeET2_T3_PNS13_IS18_E10value_typeET4_jRbjT5_S1E_jjP12ihipStream_tbEUljE_ZNSN_ISO_Lb1ESQ_SR_ST_SU_SY_EESZ_S10_S11_S12_S16_S17_S18_S1B_S1C_jS1D_jS1E_S1E_jjS1G_bEUljE0_EEESZ_S10_S11_S18_S1C_S1E_T6_T7_T9_mT8_S1G_bDpT10_ENKUlT_T0_E_clISt17integral_constantIbLb1EES1T_IbLb0EEEEDaS1P_S1Q_EUlS1P_E_NS1_11comp_targetILNS1_3genE5ELNS1_11target_archE942ELNS1_3gpuE9ELNS1_3repE0EEENS1_30default_config_static_selectorELNS0_4arch9wavefront6targetE0EEEvS12_: ; @_ZN7rocprim17ROCPRIM_400000_NS6detail17trampoline_kernelINS0_13select_configILj256ELj13ELNS0_17block_load_methodE3ELS4_3ELS4_3ELNS0_20block_scan_algorithmE0ELj4294967295EEENS1_25partition_config_selectorILNS1_17partition_subalgoE4EjNS0_10empty_typeEbEEZZNS1_14partition_implILS8_4ELb0ES6_15HIP_vector_typeIjLj2EENS0_17counting_iteratorIjlEEPS9_SG_NS0_5tupleIJPjSI_NS0_16reverse_iteratorISI_EEEEENSH_IJSG_SG_SG_EEES9_SI_JZNS1_25segmented_radix_sort_implINS0_14default_configELb1EPKhPhPKlPlN2at6native12_GLOBAL__N_18offset_tEEE10hipError_tPvRmT1_PNSt15iterator_traitsIS12_E10value_typeET2_T3_PNS13_IS18_E10value_typeET4_jRbjT5_S1E_jjP12ihipStream_tbEUljE_ZNSN_ISO_Lb1ESQ_SR_ST_SU_SY_EESZ_S10_S11_S12_S16_S17_S18_S1B_S1C_jS1D_jS1E_S1E_jjS1G_bEUljE0_EEESZ_S10_S11_S18_S1C_S1E_T6_T7_T9_mT8_S1G_bDpT10_ENKUlT_T0_E_clISt17integral_constantIbLb1EES1T_IbLb0EEEEDaS1P_S1Q_EUlS1P_E_NS1_11comp_targetILNS1_3genE5ELNS1_11target_archE942ELNS1_3gpuE9ELNS1_3repE0EEENS1_30default_config_static_selectorELNS0_4arch9wavefront6targetE0EEEvS12_
; %bb.0:
	.section	.rodata,"a",@progbits
	.p2align	6, 0x0
	.amdhsa_kernel _ZN7rocprim17ROCPRIM_400000_NS6detail17trampoline_kernelINS0_13select_configILj256ELj13ELNS0_17block_load_methodE3ELS4_3ELS4_3ELNS0_20block_scan_algorithmE0ELj4294967295EEENS1_25partition_config_selectorILNS1_17partition_subalgoE4EjNS0_10empty_typeEbEEZZNS1_14partition_implILS8_4ELb0ES6_15HIP_vector_typeIjLj2EENS0_17counting_iteratorIjlEEPS9_SG_NS0_5tupleIJPjSI_NS0_16reverse_iteratorISI_EEEEENSH_IJSG_SG_SG_EEES9_SI_JZNS1_25segmented_radix_sort_implINS0_14default_configELb1EPKhPhPKlPlN2at6native12_GLOBAL__N_18offset_tEEE10hipError_tPvRmT1_PNSt15iterator_traitsIS12_E10value_typeET2_T3_PNS13_IS18_E10value_typeET4_jRbjT5_S1E_jjP12ihipStream_tbEUljE_ZNSN_ISO_Lb1ESQ_SR_ST_SU_SY_EESZ_S10_S11_S12_S16_S17_S18_S1B_S1C_jS1D_jS1E_S1E_jjS1G_bEUljE0_EEESZ_S10_S11_S18_S1C_S1E_T6_T7_T9_mT8_S1G_bDpT10_ENKUlT_T0_E_clISt17integral_constantIbLb1EES1T_IbLb0EEEEDaS1P_S1Q_EUlS1P_E_NS1_11comp_targetILNS1_3genE5ELNS1_11target_archE942ELNS1_3gpuE9ELNS1_3repE0EEENS1_30default_config_static_selectorELNS0_4arch9wavefront6targetE0EEEvS12_
		.amdhsa_group_segment_fixed_size 0
		.amdhsa_private_segment_fixed_size 0
		.amdhsa_kernarg_size 176
		.amdhsa_user_sgpr_count 2
		.amdhsa_user_sgpr_dispatch_ptr 0
		.amdhsa_user_sgpr_queue_ptr 0
		.amdhsa_user_sgpr_kernarg_segment_ptr 1
		.amdhsa_user_sgpr_dispatch_id 0
		.amdhsa_user_sgpr_private_segment_size 0
		.amdhsa_wavefront_size32 1
		.amdhsa_uses_dynamic_stack 0
		.amdhsa_enable_private_segment 0
		.amdhsa_system_sgpr_workgroup_id_x 1
		.amdhsa_system_sgpr_workgroup_id_y 0
		.amdhsa_system_sgpr_workgroup_id_z 0
		.amdhsa_system_sgpr_workgroup_info 0
		.amdhsa_system_vgpr_workitem_id 0
		.amdhsa_next_free_vgpr 1
		.amdhsa_next_free_sgpr 1
		.amdhsa_reserve_vcc 0
		.amdhsa_float_round_mode_32 0
		.amdhsa_float_round_mode_16_64 0
		.amdhsa_float_denorm_mode_32 3
		.amdhsa_float_denorm_mode_16_64 3
		.amdhsa_fp16_overflow 0
		.amdhsa_workgroup_processor_mode 1
		.amdhsa_memory_ordered 1
		.amdhsa_forward_progress 1
		.amdhsa_inst_pref_size 0
		.amdhsa_round_robin_scheduling 0
		.amdhsa_exception_fp_ieee_invalid_op 0
		.amdhsa_exception_fp_denorm_src 0
		.amdhsa_exception_fp_ieee_div_zero 0
		.amdhsa_exception_fp_ieee_overflow 0
		.amdhsa_exception_fp_ieee_underflow 0
		.amdhsa_exception_fp_ieee_inexact 0
		.amdhsa_exception_int_div_zero 0
	.end_amdhsa_kernel
	.section	.text._ZN7rocprim17ROCPRIM_400000_NS6detail17trampoline_kernelINS0_13select_configILj256ELj13ELNS0_17block_load_methodE3ELS4_3ELS4_3ELNS0_20block_scan_algorithmE0ELj4294967295EEENS1_25partition_config_selectorILNS1_17partition_subalgoE4EjNS0_10empty_typeEbEEZZNS1_14partition_implILS8_4ELb0ES6_15HIP_vector_typeIjLj2EENS0_17counting_iteratorIjlEEPS9_SG_NS0_5tupleIJPjSI_NS0_16reverse_iteratorISI_EEEEENSH_IJSG_SG_SG_EEES9_SI_JZNS1_25segmented_radix_sort_implINS0_14default_configELb1EPKhPhPKlPlN2at6native12_GLOBAL__N_18offset_tEEE10hipError_tPvRmT1_PNSt15iterator_traitsIS12_E10value_typeET2_T3_PNS13_IS18_E10value_typeET4_jRbjT5_S1E_jjP12ihipStream_tbEUljE_ZNSN_ISO_Lb1ESQ_SR_ST_SU_SY_EESZ_S10_S11_S12_S16_S17_S18_S1B_S1C_jS1D_jS1E_S1E_jjS1G_bEUljE0_EEESZ_S10_S11_S18_S1C_S1E_T6_T7_T9_mT8_S1G_bDpT10_ENKUlT_T0_E_clISt17integral_constantIbLb1EES1T_IbLb0EEEEDaS1P_S1Q_EUlS1P_E_NS1_11comp_targetILNS1_3genE5ELNS1_11target_archE942ELNS1_3gpuE9ELNS1_3repE0EEENS1_30default_config_static_selectorELNS0_4arch9wavefront6targetE0EEEvS12_,"axG",@progbits,_ZN7rocprim17ROCPRIM_400000_NS6detail17trampoline_kernelINS0_13select_configILj256ELj13ELNS0_17block_load_methodE3ELS4_3ELS4_3ELNS0_20block_scan_algorithmE0ELj4294967295EEENS1_25partition_config_selectorILNS1_17partition_subalgoE4EjNS0_10empty_typeEbEEZZNS1_14partition_implILS8_4ELb0ES6_15HIP_vector_typeIjLj2EENS0_17counting_iteratorIjlEEPS9_SG_NS0_5tupleIJPjSI_NS0_16reverse_iteratorISI_EEEEENSH_IJSG_SG_SG_EEES9_SI_JZNS1_25segmented_radix_sort_implINS0_14default_configELb1EPKhPhPKlPlN2at6native12_GLOBAL__N_18offset_tEEE10hipError_tPvRmT1_PNSt15iterator_traitsIS12_E10value_typeET2_T3_PNS13_IS18_E10value_typeET4_jRbjT5_S1E_jjP12ihipStream_tbEUljE_ZNSN_ISO_Lb1ESQ_SR_ST_SU_SY_EESZ_S10_S11_S12_S16_S17_S18_S1B_S1C_jS1D_jS1E_S1E_jjS1G_bEUljE0_EEESZ_S10_S11_S18_S1C_S1E_T6_T7_T9_mT8_S1G_bDpT10_ENKUlT_T0_E_clISt17integral_constantIbLb1EES1T_IbLb0EEEEDaS1P_S1Q_EUlS1P_E_NS1_11comp_targetILNS1_3genE5ELNS1_11target_archE942ELNS1_3gpuE9ELNS1_3repE0EEENS1_30default_config_static_selectorELNS0_4arch9wavefront6targetE0EEEvS12_,comdat
.Lfunc_end31:
	.size	_ZN7rocprim17ROCPRIM_400000_NS6detail17trampoline_kernelINS0_13select_configILj256ELj13ELNS0_17block_load_methodE3ELS4_3ELS4_3ELNS0_20block_scan_algorithmE0ELj4294967295EEENS1_25partition_config_selectorILNS1_17partition_subalgoE4EjNS0_10empty_typeEbEEZZNS1_14partition_implILS8_4ELb0ES6_15HIP_vector_typeIjLj2EENS0_17counting_iteratorIjlEEPS9_SG_NS0_5tupleIJPjSI_NS0_16reverse_iteratorISI_EEEEENSH_IJSG_SG_SG_EEES9_SI_JZNS1_25segmented_radix_sort_implINS0_14default_configELb1EPKhPhPKlPlN2at6native12_GLOBAL__N_18offset_tEEE10hipError_tPvRmT1_PNSt15iterator_traitsIS12_E10value_typeET2_T3_PNS13_IS18_E10value_typeET4_jRbjT5_S1E_jjP12ihipStream_tbEUljE_ZNSN_ISO_Lb1ESQ_SR_ST_SU_SY_EESZ_S10_S11_S12_S16_S17_S18_S1B_S1C_jS1D_jS1E_S1E_jjS1G_bEUljE0_EEESZ_S10_S11_S18_S1C_S1E_T6_T7_T9_mT8_S1G_bDpT10_ENKUlT_T0_E_clISt17integral_constantIbLb1EES1T_IbLb0EEEEDaS1P_S1Q_EUlS1P_E_NS1_11comp_targetILNS1_3genE5ELNS1_11target_archE942ELNS1_3gpuE9ELNS1_3repE0EEENS1_30default_config_static_selectorELNS0_4arch9wavefront6targetE0EEEvS12_, .Lfunc_end31-_ZN7rocprim17ROCPRIM_400000_NS6detail17trampoline_kernelINS0_13select_configILj256ELj13ELNS0_17block_load_methodE3ELS4_3ELS4_3ELNS0_20block_scan_algorithmE0ELj4294967295EEENS1_25partition_config_selectorILNS1_17partition_subalgoE4EjNS0_10empty_typeEbEEZZNS1_14partition_implILS8_4ELb0ES6_15HIP_vector_typeIjLj2EENS0_17counting_iteratorIjlEEPS9_SG_NS0_5tupleIJPjSI_NS0_16reverse_iteratorISI_EEEEENSH_IJSG_SG_SG_EEES9_SI_JZNS1_25segmented_radix_sort_implINS0_14default_configELb1EPKhPhPKlPlN2at6native12_GLOBAL__N_18offset_tEEE10hipError_tPvRmT1_PNSt15iterator_traitsIS12_E10value_typeET2_T3_PNS13_IS18_E10value_typeET4_jRbjT5_S1E_jjP12ihipStream_tbEUljE_ZNSN_ISO_Lb1ESQ_SR_ST_SU_SY_EESZ_S10_S11_S12_S16_S17_S18_S1B_S1C_jS1D_jS1E_S1E_jjS1G_bEUljE0_EEESZ_S10_S11_S18_S1C_S1E_T6_T7_T9_mT8_S1G_bDpT10_ENKUlT_T0_E_clISt17integral_constantIbLb1EES1T_IbLb0EEEEDaS1P_S1Q_EUlS1P_E_NS1_11comp_targetILNS1_3genE5ELNS1_11target_archE942ELNS1_3gpuE9ELNS1_3repE0EEENS1_30default_config_static_selectorELNS0_4arch9wavefront6targetE0EEEvS12_
                                        ; -- End function
	.set _ZN7rocprim17ROCPRIM_400000_NS6detail17trampoline_kernelINS0_13select_configILj256ELj13ELNS0_17block_load_methodE3ELS4_3ELS4_3ELNS0_20block_scan_algorithmE0ELj4294967295EEENS1_25partition_config_selectorILNS1_17partition_subalgoE4EjNS0_10empty_typeEbEEZZNS1_14partition_implILS8_4ELb0ES6_15HIP_vector_typeIjLj2EENS0_17counting_iteratorIjlEEPS9_SG_NS0_5tupleIJPjSI_NS0_16reverse_iteratorISI_EEEEENSH_IJSG_SG_SG_EEES9_SI_JZNS1_25segmented_radix_sort_implINS0_14default_configELb1EPKhPhPKlPlN2at6native12_GLOBAL__N_18offset_tEEE10hipError_tPvRmT1_PNSt15iterator_traitsIS12_E10value_typeET2_T3_PNS13_IS18_E10value_typeET4_jRbjT5_S1E_jjP12ihipStream_tbEUljE_ZNSN_ISO_Lb1ESQ_SR_ST_SU_SY_EESZ_S10_S11_S12_S16_S17_S18_S1B_S1C_jS1D_jS1E_S1E_jjS1G_bEUljE0_EEESZ_S10_S11_S18_S1C_S1E_T6_T7_T9_mT8_S1G_bDpT10_ENKUlT_T0_E_clISt17integral_constantIbLb1EES1T_IbLb0EEEEDaS1P_S1Q_EUlS1P_E_NS1_11comp_targetILNS1_3genE5ELNS1_11target_archE942ELNS1_3gpuE9ELNS1_3repE0EEENS1_30default_config_static_selectorELNS0_4arch9wavefront6targetE0EEEvS12_.num_vgpr, 0
	.set _ZN7rocprim17ROCPRIM_400000_NS6detail17trampoline_kernelINS0_13select_configILj256ELj13ELNS0_17block_load_methodE3ELS4_3ELS4_3ELNS0_20block_scan_algorithmE0ELj4294967295EEENS1_25partition_config_selectorILNS1_17partition_subalgoE4EjNS0_10empty_typeEbEEZZNS1_14partition_implILS8_4ELb0ES6_15HIP_vector_typeIjLj2EENS0_17counting_iteratorIjlEEPS9_SG_NS0_5tupleIJPjSI_NS0_16reverse_iteratorISI_EEEEENSH_IJSG_SG_SG_EEES9_SI_JZNS1_25segmented_radix_sort_implINS0_14default_configELb1EPKhPhPKlPlN2at6native12_GLOBAL__N_18offset_tEEE10hipError_tPvRmT1_PNSt15iterator_traitsIS12_E10value_typeET2_T3_PNS13_IS18_E10value_typeET4_jRbjT5_S1E_jjP12ihipStream_tbEUljE_ZNSN_ISO_Lb1ESQ_SR_ST_SU_SY_EESZ_S10_S11_S12_S16_S17_S18_S1B_S1C_jS1D_jS1E_S1E_jjS1G_bEUljE0_EEESZ_S10_S11_S18_S1C_S1E_T6_T7_T9_mT8_S1G_bDpT10_ENKUlT_T0_E_clISt17integral_constantIbLb1EES1T_IbLb0EEEEDaS1P_S1Q_EUlS1P_E_NS1_11comp_targetILNS1_3genE5ELNS1_11target_archE942ELNS1_3gpuE9ELNS1_3repE0EEENS1_30default_config_static_selectorELNS0_4arch9wavefront6targetE0EEEvS12_.num_agpr, 0
	.set _ZN7rocprim17ROCPRIM_400000_NS6detail17trampoline_kernelINS0_13select_configILj256ELj13ELNS0_17block_load_methodE3ELS4_3ELS4_3ELNS0_20block_scan_algorithmE0ELj4294967295EEENS1_25partition_config_selectorILNS1_17partition_subalgoE4EjNS0_10empty_typeEbEEZZNS1_14partition_implILS8_4ELb0ES6_15HIP_vector_typeIjLj2EENS0_17counting_iteratorIjlEEPS9_SG_NS0_5tupleIJPjSI_NS0_16reverse_iteratorISI_EEEEENSH_IJSG_SG_SG_EEES9_SI_JZNS1_25segmented_radix_sort_implINS0_14default_configELb1EPKhPhPKlPlN2at6native12_GLOBAL__N_18offset_tEEE10hipError_tPvRmT1_PNSt15iterator_traitsIS12_E10value_typeET2_T3_PNS13_IS18_E10value_typeET4_jRbjT5_S1E_jjP12ihipStream_tbEUljE_ZNSN_ISO_Lb1ESQ_SR_ST_SU_SY_EESZ_S10_S11_S12_S16_S17_S18_S1B_S1C_jS1D_jS1E_S1E_jjS1G_bEUljE0_EEESZ_S10_S11_S18_S1C_S1E_T6_T7_T9_mT8_S1G_bDpT10_ENKUlT_T0_E_clISt17integral_constantIbLb1EES1T_IbLb0EEEEDaS1P_S1Q_EUlS1P_E_NS1_11comp_targetILNS1_3genE5ELNS1_11target_archE942ELNS1_3gpuE9ELNS1_3repE0EEENS1_30default_config_static_selectorELNS0_4arch9wavefront6targetE0EEEvS12_.numbered_sgpr, 0
	.set _ZN7rocprim17ROCPRIM_400000_NS6detail17trampoline_kernelINS0_13select_configILj256ELj13ELNS0_17block_load_methodE3ELS4_3ELS4_3ELNS0_20block_scan_algorithmE0ELj4294967295EEENS1_25partition_config_selectorILNS1_17partition_subalgoE4EjNS0_10empty_typeEbEEZZNS1_14partition_implILS8_4ELb0ES6_15HIP_vector_typeIjLj2EENS0_17counting_iteratorIjlEEPS9_SG_NS0_5tupleIJPjSI_NS0_16reverse_iteratorISI_EEEEENSH_IJSG_SG_SG_EEES9_SI_JZNS1_25segmented_radix_sort_implINS0_14default_configELb1EPKhPhPKlPlN2at6native12_GLOBAL__N_18offset_tEEE10hipError_tPvRmT1_PNSt15iterator_traitsIS12_E10value_typeET2_T3_PNS13_IS18_E10value_typeET4_jRbjT5_S1E_jjP12ihipStream_tbEUljE_ZNSN_ISO_Lb1ESQ_SR_ST_SU_SY_EESZ_S10_S11_S12_S16_S17_S18_S1B_S1C_jS1D_jS1E_S1E_jjS1G_bEUljE0_EEESZ_S10_S11_S18_S1C_S1E_T6_T7_T9_mT8_S1G_bDpT10_ENKUlT_T0_E_clISt17integral_constantIbLb1EES1T_IbLb0EEEEDaS1P_S1Q_EUlS1P_E_NS1_11comp_targetILNS1_3genE5ELNS1_11target_archE942ELNS1_3gpuE9ELNS1_3repE0EEENS1_30default_config_static_selectorELNS0_4arch9wavefront6targetE0EEEvS12_.num_named_barrier, 0
	.set _ZN7rocprim17ROCPRIM_400000_NS6detail17trampoline_kernelINS0_13select_configILj256ELj13ELNS0_17block_load_methodE3ELS4_3ELS4_3ELNS0_20block_scan_algorithmE0ELj4294967295EEENS1_25partition_config_selectorILNS1_17partition_subalgoE4EjNS0_10empty_typeEbEEZZNS1_14partition_implILS8_4ELb0ES6_15HIP_vector_typeIjLj2EENS0_17counting_iteratorIjlEEPS9_SG_NS0_5tupleIJPjSI_NS0_16reverse_iteratorISI_EEEEENSH_IJSG_SG_SG_EEES9_SI_JZNS1_25segmented_radix_sort_implINS0_14default_configELb1EPKhPhPKlPlN2at6native12_GLOBAL__N_18offset_tEEE10hipError_tPvRmT1_PNSt15iterator_traitsIS12_E10value_typeET2_T3_PNS13_IS18_E10value_typeET4_jRbjT5_S1E_jjP12ihipStream_tbEUljE_ZNSN_ISO_Lb1ESQ_SR_ST_SU_SY_EESZ_S10_S11_S12_S16_S17_S18_S1B_S1C_jS1D_jS1E_S1E_jjS1G_bEUljE0_EEESZ_S10_S11_S18_S1C_S1E_T6_T7_T9_mT8_S1G_bDpT10_ENKUlT_T0_E_clISt17integral_constantIbLb1EES1T_IbLb0EEEEDaS1P_S1Q_EUlS1P_E_NS1_11comp_targetILNS1_3genE5ELNS1_11target_archE942ELNS1_3gpuE9ELNS1_3repE0EEENS1_30default_config_static_selectorELNS0_4arch9wavefront6targetE0EEEvS12_.private_seg_size, 0
	.set _ZN7rocprim17ROCPRIM_400000_NS6detail17trampoline_kernelINS0_13select_configILj256ELj13ELNS0_17block_load_methodE3ELS4_3ELS4_3ELNS0_20block_scan_algorithmE0ELj4294967295EEENS1_25partition_config_selectorILNS1_17partition_subalgoE4EjNS0_10empty_typeEbEEZZNS1_14partition_implILS8_4ELb0ES6_15HIP_vector_typeIjLj2EENS0_17counting_iteratorIjlEEPS9_SG_NS0_5tupleIJPjSI_NS0_16reverse_iteratorISI_EEEEENSH_IJSG_SG_SG_EEES9_SI_JZNS1_25segmented_radix_sort_implINS0_14default_configELb1EPKhPhPKlPlN2at6native12_GLOBAL__N_18offset_tEEE10hipError_tPvRmT1_PNSt15iterator_traitsIS12_E10value_typeET2_T3_PNS13_IS18_E10value_typeET4_jRbjT5_S1E_jjP12ihipStream_tbEUljE_ZNSN_ISO_Lb1ESQ_SR_ST_SU_SY_EESZ_S10_S11_S12_S16_S17_S18_S1B_S1C_jS1D_jS1E_S1E_jjS1G_bEUljE0_EEESZ_S10_S11_S18_S1C_S1E_T6_T7_T9_mT8_S1G_bDpT10_ENKUlT_T0_E_clISt17integral_constantIbLb1EES1T_IbLb0EEEEDaS1P_S1Q_EUlS1P_E_NS1_11comp_targetILNS1_3genE5ELNS1_11target_archE942ELNS1_3gpuE9ELNS1_3repE0EEENS1_30default_config_static_selectorELNS0_4arch9wavefront6targetE0EEEvS12_.uses_vcc, 0
	.set _ZN7rocprim17ROCPRIM_400000_NS6detail17trampoline_kernelINS0_13select_configILj256ELj13ELNS0_17block_load_methodE3ELS4_3ELS4_3ELNS0_20block_scan_algorithmE0ELj4294967295EEENS1_25partition_config_selectorILNS1_17partition_subalgoE4EjNS0_10empty_typeEbEEZZNS1_14partition_implILS8_4ELb0ES6_15HIP_vector_typeIjLj2EENS0_17counting_iteratorIjlEEPS9_SG_NS0_5tupleIJPjSI_NS0_16reverse_iteratorISI_EEEEENSH_IJSG_SG_SG_EEES9_SI_JZNS1_25segmented_radix_sort_implINS0_14default_configELb1EPKhPhPKlPlN2at6native12_GLOBAL__N_18offset_tEEE10hipError_tPvRmT1_PNSt15iterator_traitsIS12_E10value_typeET2_T3_PNS13_IS18_E10value_typeET4_jRbjT5_S1E_jjP12ihipStream_tbEUljE_ZNSN_ISO_Lb1ESQ_SR_ST_SU_SY_EESZ_S10_S11_S12_S16_S17_S18_S1B_S1C_jS1D_jS1E_S1E_jjS1G_bEUljE0_EEESZ_S10_S11_S18_S1C_S1E_T6_T7_T9_mT8_S1G_bDpT10_ENKUlT_T0_E_clISt17integral_constantIbLb1EES1T_IbLb0EEEEDaS1P_S1Q_EUlS1P_E_NS1_11comp_targetILNS1_3genE5ELNS1_11target_archE942ELNS1_3gpuE9ELNS1_3repE0EEENS1_30default_config_static_selectorELNS0_4arch9wavefront6targetE0EEEvS12_.uses_flat_scratch, 0
	.set _ZN7rocprim17ROCPRIM_400000_NS6detail17trampoline_kernelINS0_13select_configILj256ELj13ELNS0_17block_load_methodE3ELS4_3ELS4_3ELNS0_20block_scan_algorithmE0ELj4294967295EEENS1_25partition_config_selectorILNS1_17partition_subalgoE4EjNS0_10empty_typeEbEEZZNS1_14partition_implILS8_4ELb0ES6_15HIP_vector_typeIjLj2EENS0_17counting_iteratorIjlEEPS9_SG_NS0_5tupleIJPjSI_NS0_16reverse_iteratorISI_EEEEENSH_IJSG_SG_SG_EEES9_SI_JZNS1_25segmented_radix_sort_implINS0_14default_configELb1EPKhPhPKlPlN2at6native12_GLOBAL__N_18offset_tEEE10hipError_tPvRmT1_PNSt15iterator_traitsIS12_E10value_typeET2_T3_PNS13_IS18_E10value_typeET4_jRbjT5_S1E_jjP12ihipStream_tbEUljE_ZNSN_ISO_Lb1ESQ_SR_ST_SU_SY_EESZ_S10_S11_S12_S16_S17_S18_S1B_S1C_jS1D_jS1E_S1E_jjS1G_bEUljE0_EEESZ_S10_S11_S18_S1C_S1E_T6_T7_T9_mT8_S1G_bDpT10_ENKUlT_T0_E_clISt17integral_constantIbLb1EES1T_IbLb0EEEEDaS1P_S1Q_EUlS1P_E_NS1_11comp_targetILNS1_3genE5ELNS1_11target_archE942ELNS1_3gpuE9ELNS1_3repE0EEENS1_30default_config_static_selectorELNS0_4arch9wavefront6targetE0EEEvS12_.has_dyn_sized_stack, 0
	.set _ZN7rocprim17ROCPRIM_400000_NS6detail17trampoline_kernelINS0_13select_configILj256ELj13ELNS0_17block_load_methodE3ELS4_3ELS4_3ELNS0_20block_scan_algorithmE0ELj4294967295EEENS1_25partition_config_selectorILNS1_17partition_subalgoE4EjNS0_10empty_typeEbEEZZNS1_14partition_implILS8_4ELb0ES6_15HIP_vector_typeIjLj2EENS0_17counting_iteratorIjlEEPS9_SG_NS0_5tupleIJPjSI_NS0_16reverse_iteratorISI_EEEEENSH_IJSG_SG_SG_EEES9_SI_JZNS1_25segmented_radix_sort_implINS0_14default_configELb1EPKhPhPKlPlN2at6native12_GLOBAL__N_18offset_tEEE10hipError_tPvRmT1_PNSt15iterator_traitsIS12_E10value_typeET2_T3_PNS13_IS18_E10value_typeET4_jRbjT5_S1E_jjP12ihipStream_tbEUljE_ZNSN_ISO_Lb1ESQ_SR_ST_SU_SY_EESZ_S10_S11_S12_S16_S17_S18_S1B_S1C_jS1D_jS1E_S1E_jjS1G_bEUljE0_EEESZ_S10_S11_S18_S1C_S1E_T6_T7_T9_mT8_S1G_bDpT10_ENKUlT_T0_E_clISt17integral_constantIbLb1EES1T_IbLb0EEEEDaS1P_S1Q_EUlS1P_E_NS1_11comp_targetILNS1_3genE5ELNS1_11target_archE942ELNS1_3gpuE9ELNS1_3repE0EEENS1_30default_config_static_selectorELNS0_4arch9wavefront6targetE0EEEvS12_.has_recursion, 0
	.set _ZN7rocprim17ROCPRIM_400000_NS6detail17trampoline_kernelINS0_13select_configILj256ELj13ELNS0_17block_load_methodE3ELS4_3ELS4_3ELNS0_20block_scan_algorithmE0ELj4294967295EEENS1_25partition_config_selectorILNS1_17partition_subalgoE4EjNS0_10empty_typeEbEEZZNS1_14partition_implILS8_4ELb0ES6_15HIP_vector_typeIjLj2EENS0_17counting_iteratorIjlEEPS9_SG_NS0_5tupleIJPjSI_NS0_16reverse_iteratorISI_EEEEENSH_IJSG_SG_SG_EEES9_SI_JZNS1_25segmented_radix_sort_implINS0_14default_configELb1EPKhPhPKlPlN2at6native12_GLOBAL__N_18offset_tEEE10hipError_tPvRmT1_PNSt15iterator_traitsIS12_E10value_typeET2_T3_PNS13_IS18_E10value_typeET4_jRbjT5_S1E_jjP12ihipStream_tbEUljE_ZNSN_ISO_Lb1ESQ_SR_ST_SU_SY_EESZ_S10_S11_S12_S16_S17_S18_S1B_S1C_jS1D_jS1E_S1E_jjS1G_bEUljE0_EEESZ_S10_S11_S18_S1C_S1E_T6_T7_T9_mT8_S1G_bDpT10_ENKUlT_T0_E_clISt17integral_constantIbLb1EES1T_IbLb0EEEEDaS1P_S1Q_EUlS1P_E_NS1_11comp_targetILNS1_3genE5ELNS1_11target_archE942ELNS1_3gpuE9ELNS1_3repE0EEENS1_30default_config_static_selectorELNS0_4arch9wavefront6targetE0EEEvS12_.has_indirect_call, 0
	.section	.AMDGPU.csdata,"",@progbits
; Kernel info:
; codeLenInByte = 0
; TotalNumSgprs: 0
; NumVgprs: 0
; ScratchSize: 0
; MemoryBound: 0
; FloatMode: 240
; IeeeMode: 1
; LDSByteSize: 0 bytes/workgroup (compile time only)
; SGPRBlocks: 0
; VGPRBlocks: 0
; NumSGPRsForWavesPerEU: 1
; NumVGPRsForWavesPerEU: 1
; Occupancy: 16
; WaveLimiterHint : 0
; COMPUTE_PGM_RSRC2:SCRATCH_EN: 0
; COMPUTE_PGM_RSRC2:USER_SGPR: 2
; COMPUTE_PGM_RSRC2:TRAP_HANDLER: 0
; COMPUTE_PGM_RSRC2:TGID_X_EN: 1
; COMPUTE_PGM_RSRC2:TGID_Y_EN: 0
; COMPUTE_PGM_RSRC2:TGID_Z_EN: 0
; COMPUTE_PGM_RSRC2:TIDIG_COMP_CNT: 0
	.section	.text._ZN7rocprim17ROCPRIM_400000_NS6detail17trampoline_kernelINS0_13select_configILj256ELj13ELNS0_17block_load_methodE3ELS4_3ELS4_3ELNS0_20block_scan_algorithmE0ELj4294967295EEENS1_25partition_config_selectorILNS1_17partition_subalgoE4EjNS0_10empty_typeEbEEZZNS1_14partition_implILS8_4ELb0ES6_15HIP_vector_typeIjLj2EENS0_17counting_iteratorIjlEEPS9_SG_NS0_5tupleIJPjSI_NS0_16reverse_iteratorISI_EEEEENSH_IJSG_SG_SG_EEES9_SI_JZNS1_25segmented_radix_sort_implINS0_14default_configELb1EPKhPhPKlPlN2at6native12_GLOBAL__N_18offset_tEEE10hipError_tPvRmT1_PNSt15iterator_traitsIS12_E10value_typeET2_T3_PNS13_IS18_E10value_typeET4_jRbjT5_S1E_jjP12ihipStream_tbEUljE_ZNSN_ISO_Lb1ESQ_SR_ST_SU_SY_EESZ_S10_S11_S12_S16_S17_S18_S1B_S1C_jS1D_jS1E_S1E_jjS1G_bEUljE0_EEESZ_S10_S11_S18_S1C_S1E_T6_T7_T9_mT8_S1G_bDpT10_ENKUlT_T0_E_clISt17integral_constantIbLb1EES1T_IbLb0EEEEDaS1P_S1Q_EUlS1P_E_NS1_11comp_targetILNS1_3genE4ELNS1_11target_archE910ELNS1_3gpuE8ELNS1_3repE0EEENS1_30default_config_static_selectorELNS0_4arch9wavefront6targetE0EEEvS12_,"axG",@progbits,_ZN7rocprim17ROCPRIM_400000_NS6detail17trampoline_kernelINS0_13select_configILj256ELj13ELNS0_17block_load_methodE3ELS4_3ELS4_3ELNS0_20block_scan_algorithmE0ELj4294967295EEENS1_25partition_config_selectorILNS1_17partition_subalgoE4EjNS0_10empty_typeEbEEZZNS1_14partition_implILS8_4ELb0ES6_15HIP_vector_typeIjLj2EENS0_17counting_iteratorIjlEEPS9_SG_NS0_5tupleIJPjSI_NS0_16reverse_iteratorISI_EEEEENSH_IJSG_SG_SG_EEES9_SI_JZNS1_25segmented_radix_sort_implINS0_14default_configELb1EPKhPhPKlPlN2at6native12_GLOBAL__N_18offset_tEEE10hipError_tPvRmT1_PNSt15iterator_traitsIS12_E10value_typeET2_T3_PNS13_IS18_E10value_typeET4_jRbjT5_S1E_jjP12ihipStream_tbEUljE_ZNSN_ISO_Lb1ESQ_SR_ST_SU_SY_EESZ_S10_S11_S12_S16_S17_S18_S1B_S1C_jS1D_jS1E_S1E_jjS1G_bEUljE0_EEESZ_S10_S11_S18_S1C_S1E_T6_T7_T9_mT8_S1G_bDpT10_ENKUlT_T0_E_clISt17integral_constantIbLb1EES1T_IbLb0EEEEDaS1P_S1Q_EUlS1P_E_NS1_11comp_targetILNS1_3genE4ELNS1_11target_archE910ELNS1_3gpuE8ELNS1_3repE0EEENS1_30default_config_static_selectorELNS0_4arch9wavefront6targetE0EEEvS12_,comdat
	.globl	_ZN7rocprim17ROCPRIM_400000_NS6detail17trampoline_kernelINS0_13select_configILj256ELj13ELNS0_17block_load_methodE3ELS4_3ELS4_3ELNS0_20block_scan_algorithmE0ELj4294967295EEENS1_25partition_config_selectorILNS1_17partition_subalgoE4EjNS0_10empty_typeEbEEZZNS1_14partition_implILS8_4ELb0ES6_15HIP_vector_typeIjLj2EENS0_17counting_iteratorIjlEEPS9_SG_NS0_5tupleIJPjSI_NS0_16reverse_iteratorISI_EEEEENSH_IJSG_SG_SG_EEES9_SI_JZNS1_25segmented_radix_sort_implINS0_14default_configELb1EPKhPhPKlPlN2at6native12_GLOBAL__N_18offset_tEEE10hipError_tPvRmT1_PNSt15iterator_traitsIS12_E10value_typeET2_T3_PNS13_IS18_E10value_typeET4_jRbjT5_S1E_jjP12ihipStream_tbEUljE_ZNSN_ISO_Lb1ESQ_SR_ST_SU_SY_EESZ_S10_S11_S12_S16_S17_S18_S1B_S1C_jS1D_jS1E_S1E_jjS1G_bEUljE0_EEESZ_S10_S11_S18_S1C_S1E_T6_T7_T9_mT8_S1G_bDpT10_ENKUlT_T0_E_clISt17integral_constantIbLb1EES1T_IbLb0EEEEDaS1P_S1Q_EUlS1P_E_NS1_11comp_targetILNS1_3genE4ELNS1_11target_archE910ELNS1_3gpuE8ELNS1_3repE0EEENS1_30default_config_static_selectorELNS0_4arch9wavefront6targetE0EEEvS12_ ; -- Begin function _ZN7rocprim17ROCPRIM_400000_NS6detail17trampoline_kernelINS0_13select_configILj256ELj13ELNS0_17block_load_methodE3ELS4_3ELS4_3ELNS0_20block_scan_algorithmE0ELj4294967295EEENS1_25partition_config_selectorILNS1_17partition_subalgoE4EjNS0_10empty_typeEbEEZZNS1_14partition_implILS8_4ELb0ES6_15HIP_vector_typeIjLj2EENS0_17counting_iteratorIjlEEPS9_SG_NS0_5tupleIJPjSI_NS0_16reverse_iteratorISI_EEEEENSH_IJSG_SG_SG_EEES9_SI_JZNS1_25segmented_radix_sort_implINS0_14default_configELb1EPKhPhPKlPlN2at6native12_GLOBAL__N_18offset_tEEE10hipError_tPvRmT1_PNSt15iterator_traitsIS12_E10value_typeET2_T3_PNS13_IS18_E10value_typeET4_jRbjT5_S1E_jjP12ihipStream_tbEUljE_ZNSN_ISO_Lb1ESQ_SR_ST_SU_SY_EESZ_S10_S11_S12_S16_S17_S18_S1B_S1C_jS1D_jS1E_S1E_jjS1G_bEUljE0_EEESZ_S10_S11_S18_S1C_S1E_T6_T7_T9_mT8_S1G_bDpT10_ENKUlT_T0_E_clISt17integral_constantIbLb1EES1T_IbLb0EEEEDaS1P_S1Q_EUlS1P_E_NS1_11comp_targetILNS1_3genE4ELNS1_11target_archE910ELNS1_3gpuE8ELNS1_3repE0EEENS1_30default_config_static_selectorELNS0_4arch9wavefront6targetE0EEEvS12_
	.p2align	8
	.type	_ZN7rocprim17ROCPRIM_400000_NS6detail17trampoline_kernelINS0_13select_configILj256ELj13ELNS0_17block_load_methodE3ELS4_3ELS4_3ELNS0_20block_scan_algorithmE0ELj4294967295EEENS1_25partition_config_selectorILNS1_17partition_subalgoE4EjNS0_10empty_typeEbEEZZNS1_14partition_implILS8_4ELb0ES6_15HIP_vector_typeIjLj2EENS0_17counting_iteratorIjlEEPS9_SG_NS0_5tupleIJPjSI_NS0_16reverse_iteratorISI_EEEEENSH_IJSG_SG_SG_EEES9_SI_JZNS1_25segmented_radix_sort_implINS0_14default_configELb1EPKhPhPKlPlN2at6native12_GLOBAL__N_18offset_tEEE10hipError_tPvRmT1_PNSt15iterator_traitsIS12_E10value_typeET2_T3_PNS13_IS18_E10value_typeET4_jRbjT5_S1E_jjP12ihipStream_tbEUljE_ZNSN_ISO_Lb1ESQ_SR_ST_SU_SY_EESZ_S10_S11_S12_S16_S17_S18_S1B_S1C_jS1D_jS1E_S1E_jjS1G_bEUljE0_EEESZ_S10_S11_S18_S1C_S1E_T6_T7_T9_mT8_S1G_bDpT10_ENKUlT_T0_E_clISt17integral_constantIbLb1EES1T_IbLb0EEEEDaS1P_S1Q_EUlS1P_E_NS1_11comp_targetILNS1_3genE4ELNS1_11target_archE910ELNS1_3gpuE8ELNS1_3repE0EEENS1_30default_config_static_selectorELNS0_4arch9wavefront6targetE0EEEvS12_,@function
_ZN7rocprim17ROCPRIM_400000_NS6detail17trampoline_kernelINS0_13select_configILj256ELj13ELNS0_17block_load_methodE3ELS4_3ELS4_3ELNS0_20block_scan_algorithmE0ELj4294967295EEENS1_25partition_config_selectorILNS1_17partition_subalgoE4EjNS0_10empty_typeEbEEZZNS1_14partition_implILS8_4ELb0ES6_15HIP_vector_typeIjLj2EENS0_17counting_iteratorIjlEEPS9_SG_NS0_5tupleIJPjSI_NS0_16reverse_iteratorISI_EEEEENSH_IJSG_SG_SG_EEES9_SI_JZNS1_25segmented_radix_sort_implINS0_14default_configELb1EPKhPhPKlPlN2at6native12_GLOBAL__N_18offset_tEEE10hipError_tPvRmT1_PNSt15iterator_traitsIS12_E10value_typeET2_T3_PNS13_IS18_E10value_typeET4_jRbjT5_S1E_jjP12ihipStream_tbEUljE_ZNSN_ISO_Lb1ESQ_SR_ST_SU_SY_EESZ_S10_S11_S12_S16_S17_S18_S1B_S1C_jS1D_jS1E_S1E_jjS1G_bEUljE0_EEESZ_S10_S11_S18_S1C_S1E_T6_T7_T9_mT8_S1G_bDpT10_ENKUlT_T0_E_clISt17integral_constantIbLb1EES1T_IbLb0EEEEDaS1P_S1Q_EUlS1P_E_NS1_11comp_targetILNS1_3genE4ELNS1_11target_archE910ELNS1_3gpuE8ELNS1_3repE0EEENS1_30default_config_static_selectorELNS0_4arch9wavefront6targetE0EEEvS12_: ; @_ZN7rocprim17ROCPRIM_400000_NS6detail17trampoline_kernelINS0_13select_configILj256ELj13ELNS0_17block_load_methodE3ELS4_3ELS4_3ELNS0_20block_scan_algorithmE0ELj4294967295EEENS1_25partition_config_selectorILNS1_17partition_subalgoE4EjNS0_10empty_typeEbEEZZNS1_14partition_implILS8_4ELb0ES6_15HIP_vector_typeIjLj2EENS0_17counting_iteratorIjlEEPS9_SG_NS0_5tupleIJPjSI_NS0_16reverse_iteratorISI_EEEEENSH_IJSG_SG_SG_EEES9_SI_JZNS1_25segmented_radix_sort_implINS0_14default_configELb1EPKhPhPKlPlN2at6native12_GLOBAL__N_18offset_tEEE10hipError_tPvRmT1_PNSt15iterator_traitsIS12_E10value_typeET2_T3_PNS13_IS18_E10value_typeET4_jRbjT5_S1E_jjP12ihipStream_tbEUljE_ZNSN_ISO_Lb1ESQ_SR_ST_SU_SY_EESZ_S10_S11_S12_S16_S17_S18_S1B_S1C_jS1D_jS1E_S1E_jjS1G_bEUljE0_EEESZ_S10_S11_S18_S1C_S1E_T6_T7_T9_mT8_S1G_bDpT10_ENKUlT_T0_E_clISt17integral_constantIbLb1EES1T_IbLb0EEEEDaS1P_S1Q_EUlS1P_E_NS1_11comp_targetILNS1_3genE4ELNS1_11target_archE910ELNS1_3gpuE8ELNS1_3repE0EEENS1_30default_config_static_selectorELNS0_4arch9wavefront6targetE0EEEvS12_
; %bb.0:
	.section	.rodata,"a",@progbits
	.p2align	6, 0x0
	.amdhsa_kernel _ZN7rocprim17ROCPRIM_400000_NS6detail17trampoline_kernelINS0_13select_configILj256ELj13ELNS0_17block_load_methodE3ELS4_3ELS4_3ELNS0_20block_scan_algorithmE0ELj4294967295EEENS1_25partition_config_selectorILNS1_17partition_subalgoE4EjNS0_10empty_typeEbEEZZNS1_14partition_implILS8_4ELb0ES6_15HIP_vector_typeIjLj2EENS0_17counting_iteratorIjlEEPS9_SG_NS0_5tupleIJPjSI_NS0_16reverse_iteratorISI_EEEEENSH_IJSG_SG_SG_EEES9_SI_JZNS1_25segmented_radix_sort_implINS0_14default_configELb1EPKhPhPKlPlN2at6native12_GLOBAL__N_18offset_tEEE10hipError_tPvRmT1_PNSt15iterator_traitsIS12_E10value_typeET2_T3_PNS13_IS18_E10value_typeET4_jRbjT5_S1E_jjP12ihipStream_tbEUljE_ZNSN_ISO_Lb1ESQ_SR_ST_SU_SY_EESZ_S10_S11_S12_S16_S17_S18_S1B_S1C_jS1D_jS1E_S1E_jjS1G_bEUljE0_EEESZ_S10_S11_S18_S1C_S1E_T6_T7_T9_mT8_S1G_bDpT10_ENKUlT_T0_E_clISt17integral_constantIbLb1EES1T_IbLb0EEEEDaS1P_S1Q_EUlS1P_E_NS1_11comp_targetILNS1_3genE4ELNS1_11target_archE910ELNS1_3gpuE8ELNS1_3repE0EEENS1_30default_config_static_selectorELNS0_4arch9wavefront6targetE0EEEvS12_
		.amdhsa_group_segment_fixed_size 0
		.amdhsa_private_segment_fixed_size 0
		.amdhsa_kernarg_size 176
		.amdhsa_user_sgpr_count 2
		.amdhsa_user_sgpr_dispatch_ptr 0
		.amdhsa_user_sgpr_queue_ptr 0
		.amdhsa_user_sgpr_kernarg_segment_ptr 1
		.amdhsa_user_sgpr_dispatch_id 0
		.amdhsa_user_sgpr_private_segment_size 0
		.amdhsa_wavefront_size32 1
		.amdhsa_uses_dynamic_stack 0
		.amdhsa_enable_private_segment 0
		.amdhsa_system_sgpr_workgroup_id_x 1
		.amdhsa_system_sgpr_workgroup_id_y 0
		.amdhsa_system_sgpr_workgroup_id_z 0
		.amdhsa_system_sgpr_workgroup_info 0
		.amdhsa_system_vgpr_workitem_id 0
		.amdhsa_next_free_vgpr 1
		.amdhsa_next_free_sgpr 1
		.amdhsa_reserve_vcc 0
		.amdhsa_float_round_mode_32 0
		.amdhsa_float_round_mode_16_64 0
		.amdhsa_float_denorm_mode_32 3
		.amdhsa_float_denorm_mode_16_64 3
		.amdhsa_fp16_overflow 0
		.amdhsa_workgroup_processor_mode 1
		.amdhsa_memory_ordered 1
		.amdhsa_forward_progress 1
		.amdhsa_inst_pref_size 0
		.amdhsa_round_robin_scheduling 0
		.amdhsa_exception_fp_ieee_invalid_op 0
		.amdhsa_exception_fp_denorm_src 0
		.amdhsa_exception_fp_ieee_div_zero 0
		.amdhsa_exception_fp_ieee_overflow 0
		.amdhsa_exception_fp_ieee_underflow 0
		.amdhsa_exception_fp_ieee_inexact 0
		.amdhsa_exception_int_div_zero 0
	.end_amdhsa_kernel
	.section	.text._ZN7rocprim17ROCPRIM_400000_NS6detail17trampoline_kernelINS0_13select_configILj256ELj13ELNS0_17block_load_methodE3ELS4_3ELS4_3ELNS0_20block_scan_algorithmE0ELj4294967295EEENS1_25partition_config_selectorILNS1_17partition_subalgoE4EjNS0_10empty_typeEbEEZZNS1_14partition_implILS8_4ELb0ES6_15HIP_vector_typeIjLj2EENS0_17counting_iteratorIjlEEPS9_SG_NS0_5tupleIJPjSI_NS0_16reverse_iteratorISI_EEEEENSH_IJSG_SG_SG_EEES9_SI_JZNS1_25segmented_radix_sort_implINS0_14default_configELb1EPKhPhPKlPlN2at6native12_GLOBAL__N_18offset_tEEE10hipError_tPvRmT1_PNSt15iterator_traitsIS12_E10value_typeET2_T3_PNS13_IS18_E10value_typeET4_jRbjT5_S1E_jjP12ihipStream_tbEUljE_ZNSN_ISO_Lb1ESQ_SR_ST_SU_SY_EESZ_S10_S11_S12_S16_S17_S18_S1B_S1C_jS1D_jS1E_S1E_jjS1G_bEUljE0_EEESZ_S10_S11_S18_S1C_S1E_T6_T7_T9_mT8_S1G_bDpT10_ENKUlT_T0_E_clISt17integral_constantIbLb1EES1T_IbLb0EEEEDaS1P_S1Q_EUlS1P_E_NS1_11comp_targetILNS1_3genE4ELNS1_11target_archE910ELNS1_3gpuE8ELNS1_3repE0EEENS1_30default_config_static_selectorELNS0_4arch9wavefront6targetE0EEEvS12_,"axG",@progbits,_ZN7rocprim17ROCPRIM_400000_NS6detail17trampoline_kernelINS0_13select_configILj256ELj13ELNS0_17block_load_methodE3ELS4_3ELS4_3ELNS0_20block_scan_algorithmE0ELj4294967295EEENS1_25partition_config_selectorILNS1_17partition_subalgoE4EjNS0_10empty_typeEbEEZZNS1_14partition_implILS8_4ELb0ES6_15HIP_vector_typeIjLj2EENS0_17counting_iteratorIjlEEPS9_SG_NS0_5tupleIJPjSI_NS0_16reverse_iteratorISI_EEEEENSH_IJSG_SG_SG_EEES9_SI_JZNS1_25segmented_radix_sort_implINS0_14default_configELb1EPKhPhPKlPlN2at6native12_GLOBAL__N_18offset_tEEE10hipError_tPvRmT1_PNSt15iterator_traitsIS12_E10value_typeET2_T3_PNS13_IS18_E10value_typeET4_jRbjT5_S1E_jjP12ihipStream_tbEUljE_ZNSN_ISO_Lb1ESQ_SR_ST_SU_SY_EESZ_S10_S11_S12_S16_S17_S18_S1B_S1C_jS1D_jS1E_S1E_jjS1G_bEUljE0_EEESZ_S10_S11_S18_S1C_S1E_T6_T7_T9_mT8_S1G_bDpT10_ENKUlT_T0_E_clISt17integral_constantIbLb1EES1T_IbLb0EEEEDaS1P_S1Q_EUlS1P_E_NS1_11comp_targetILNS1_3genE4ELNS1_11target_archE910ELNS1_3gpuE8ELNS1_3repE0EEENS1_30default_config_static_selectorELNS0_4arch9wavefront6targetE0EEEvS12_,comdat
.Lfunc_end32:
	.size	_ZN7rocprim17ROCPRIM_400000_NS6detail17trampoline_kernelINS0_13select_configILj256ELj13ELNS0_17block_load_methodE3ELS4_3ELS4_3ELNS0_20block_scan_algorithmE0ELj4294967295EEENS1_25partition_config_selectorILNS1_17partition_subalgoE4EjNS0_10empty_typeEbEEZZNS1_14partition_implILS8_4ELb0ES6_15HIP_vector_typeIjLj2EENS0_17counting_iteratorIjlEEPS9_SG_NS0_5tupleIJPjSI_NS0_16reverse_iteratorISI_EEEEENSH_IJSG_SG_SG_EEES9_SI_JZNS1_25segmented_radix_sort_implINS0_14default_configELb1EPKhPhPKlPlN2at6native12_GLOBAL__N_18offset_tEEE10hipError_tPvRmT1_PNSt15iterator_traitsIS12_E10value_typeET2_T3_PNS13_IS18_E10value_typeET4_jRbjT5_S1E_jjP12ihipStream_tbEUljE_ZNSN_ISO_Lb1ESQ_SR_ST_SU_SY_EESZ_S10_S11_S12_S16_S17_S18_S1B_S1C_jS1D_jS1E_S1E_jjS1G_bEUljE0_EEESZ_S10_S11_S18_S1C_S1E_T6_T7_T9_mT8_S1G_bDpT10_ENKUlT_T0_E_clISt17integral_constantIbLb1EES1T_IbLb0EEEEDaS1P_S1Q_EUlS1P_E_NS1_11comp_targetILNS1_3genE4ELNS1_11target_archE910ELNS1_3gpuE8ELNS1_3repE0EEENS1_30default_config_static_selectorELNS0_4arch9wavefront6targetE0EEEvS12_, .Lfunc_end32-_ZN7rocprim17ROCPRIM_400000_NS6detail17trampoline_kernelINS0_13select_configILj256ELj13ELNS0_17block_load_methodE3ELS4_3ELS4_3ELNS0_20block_scan_algorithmE0ELj4294967295EEENS1_25partition_config_selectorILNS1_17partition_subalgoE4EjNS0_10empty_typeEbEEZZNS1_14partition_implILS8_4ELb0ES6_15HIP_vector_typeIjLj2EENS0_17counting_iteratorIjlEEPS9_SG_NS0_5tupleIJPjSI_NS0_16reverse_iteratorISI_EEEEENSH_IJSG_SG_SG_EEES9_SI_JZNS1_25segmented_radix_sort_implINS0_14default_configELb1EPKhPhPKlPlN2at6native12_GLOBAL__N_18offset_tEEE10hipError_tPvRmT1_PNSt15iterator_traitsIS12_E10value_typeET2_T3_PNS13_IS18_E10value_typeET4_jRbjT5_S1E_jjP12ihipStream_tbEUljE_ZNSN_ISO_Lb1ESQ_SR_ST_SU_SY_EESZ_S10_S11_S12_S16_S17_S18_S1B_S1C_jS1D_jS1E_S1E_jjS1G_bEUljE0_EEESZ_S10_S11_S18_S1C_S1E_T6_T7_T9_mT8_S1G_bDpT10_ENKUlT_T0_E_clISt17integral_constantIbLb1EES1T_IbLb0EEEEDaS1P_S1Q_EUlS1P_E_NS1_11comp_targetILNS1_3genE4ELNS1_11target_archE910ELNS1_3gpuE8ELNS1_3repE0EEENS1_30default_config_static_selectorELNS0_4arch9wavefront6targetE0EEEvS12_
                                        ; -- End function
	.set _ZN7rocprim17ROCPRIM_400000_NS6detail17trampoline_kernelINS0_13select_configILj256ELj13ELNS0_17block_load_methodE3ELS4_3ELS4_3ELNS0_20block_scan_algorithmE0ELj4294967295EEENS1_25partition_config_selectorILNS1_17partition_subalgoE4EjNS0_10empty_typeEbEEZZNS1_14partition_implILS8_4ELb0ES6_15HIP_vector_typeIjLj2EENS0_17counting_iteratorIjlEEPS9_SG_NS0_5tupleIJPjSI_NS0_16reverse_iteratorISI_EEEEENSH_IJSG_SG_SG_EEES9_SI_JZNS1_25segmented_radix_sort_implINS0_14default_configELb1EPKhPhPKlPlN2at6native12_GLOBAL__N_18offset_tEEE10hipError_tPvRmT1_PNSt15iterator_traitsIS12_E10value_typeET2_T3_PNS13_IS18_E10value_typeET4_jRbjT5_S1E_jjP12ihipStream_tbEUljE_ZNSN_ISO_Lb1ESQ_SR_ST_SU_SY_EESZ_S10_S11_S12_S16_S17_S18_S1B_S1C_jS1D_jS1E_S1E_jjS1G_bEUljE0_EEESZ_S10_S11_S18_S1C_S1E_T6_T7_T9_mT8_S1G_bDpT10_ENKUlT_T0_E_clISt17integral_constantIbLb1EES1T_IbLb0EEEEDaS1P_S1Q_EUlS1P_E_NS1_11comp_targetILNS1_3genE4ELNS1_11target_archE910ELNS1_3gpuE8ELNS1_3repE0EEENS1_30default_config_static_selectorELNS0_4arch9wavefront6targetE0EEEvS12_.num_vgpr, 0
	.set _ZN7rocprim17ROCPRIM_400000_NS6detail17trampoline_kernelINS0_13select_configILj256ELj13ELNS0_17block_load_methodE3ELS4_3ELS4_3ELNS0_20block_scan_algorithmE0ELj4294967295EEENS1_25partition_config_selectorILNS1_17partition_subalgoE4EjNS0_10empty_typeEbEEZZNS1_14partition_implILS8_4ELb0ES6_15HIP_vector_typeIjLj2EENS0_17counting_iteratorIjlEEPS9_SG_NS0_5tupleIJPjSI_NS0_16reverse_iteratorISI_EEEEENSH_IJSG_SG_SG_EEES9_SI_JZNS1_25segmented_radix_sort_implINS0_14default_configELb1EPKhPhPKlPlN2at6native12_GLOBAL__N_18offset_tEEE10hipError_tPvRmT1_PNSt15iterator_traitsIS12_E10value_typeET2_T3_PNS13_IS18_E10value_typeET4_jRbjT5_S1E_jjP12ihipStream_tbEUljE_ZNSN_ISO_Lb1ESQ_SR_ST_SU_SY_EESZ_S10_S11_S12_S16_S17_S18_S1B_S1C_jS1D_jS1E_S1E_jjS1G_bEUljE0_EEESZ_S10_S11_S18_S1C_S1E_T6_T7_T9_mT8_S1G_bDpT10_ENKUlT_T0_E_clISt17integral_constantIbLb1EES1T_IbLb0EEEEDaS1P_S1Q_EUlS1P_E_NS1_11comp_targetILNS1_3genE4ELNS1_11target_archE910ELNS1_3gpuE8ELNS1_3repE0EEENS1_30default_config_static_selectorELNS0_4arch9wavefront6targetE0EEEvS12_.num_agpr, 0
	.set _ZN7rocprim17ROCPRIM_400000_NS6detail17trampoline_kernelINS0_13select_configILj256ELj13ELNS0_17block_load_methodE3ELS4_3ELS4_3ELNS0_20block_scan_algorithmE0ELj4294967295EEENS1_25partition_config_selectorILNS1_17partition_subalgoE4EjNS0_10empty_typeEbEEZZNS1_14partition_implILS8_4ELb0ES6_15HIP_vector_typeIjLj2EENS0_17counting_iteratorIjlEEPS9_SG_NS0_5tupleIJPjSI_NS0_16reverse_iteratorISI_EEEEENSH_IJSG_SG_SG_EEES9_SI_JZNS1_25segmented_radix_sort_implINS0_14default_configELb1EPKhPhPKlPlN2at6native12_GLOBAL__N_18offset_tEEE10hipError_tPvRmT1_PNSt15iterator_traitsIS12_E10value_typeET2_T3_PNS13_IS18_E10value_typeET4_jRbjT5_S1E_jjP12ihipStream_tbEUljE_ZNSN_ISO_Lb1ESQ_SR_ST_SU_SY_EESZ_S10_S11_S12_S16_S17_S18_S1B_S1C_jS1D_jS1E_S1E_jjS1G_bEUljE0_EEESZ_S10_S11_S18_S1C_S1E_T6_T7_T9_mT8_S1G_bDpT10_ENKUlT_T0_E_clISt17integral_constantIbLb1EES1T_IbLb0EEEEDaS1P_S1Q_EUlS1P_E_NS1_11comp_targetILNS1_3genE4ELNS1_11target_archE910ELNS1_3gpuE8ELNS1_3repE0EEENS1_30default_config_static_selectorELNS0_4arch9wavefront6targetE0EEEvS12_.numbered_sgpr, 0
	.set _ZN7rocprim17ROCPRIM_400000_NS6detail17trampoline_kernelINS0_13select_configILj256ELj13ELNS0_17block_load_methodE3ELS4_3ELS4_3ELNS0_20block_scan_algorithmE0ELj4294967295EEENS1_25partition_config_selectorILNS1_17partition_subalgoE4EjNS0_10empty_typeEbEEZZNS1_14partition_implILS8_4ELb0ES6_15HIP_vector_typeIjLj2EENS0_17counting_iteratorIjlEEPS9_SG_NS0_5tupleIJPjSI_NS0_16reverse_iteratorISI_EEEEENSH_IJSG_SG_SG_EEES9_SI_JZNS1_25segmented_radix_sort_implINS0_14default_configELb1EPKhPhPKlPlN2at6native12_GLOBAL__N_18offset_tEEE10hipError_tPvRmT1_PNSt15iterator_traitsIS12_E10value_typeET2_T3_PNS13_IS18_E10value_typeET4_jRbjT5_S1E_jjP12ihipStream_tbEUljE_ZNSN_ISO_Lb1ESQ_SR_ST_SU_SY_EESZ_S10_S11_S12_S16_S17_S18_S1B_S1C_jS1D_jS1E_S1E_jjS1G_bEUljE0_EEESZ_S10_S11_S18_S1C_S1E_T6_T7_T9_mT8_S1G_bDpT10_ENKUlT_T0_E_clISt17integral_constantIbLb1EES1T_IbLb0EEEEDaS1P_S1Q_EUlS1P_E_NS1_11comp_targetILNS1_3genE4ELNS1_11target_archE910ELNS1_3gpuE8ELNS1_3repE0EEENS1_30default_config_static_selectorELNS0_4arch9wavefront6targetE0EEEvS12_.num_named_barrier, 0
	.set _ZN7rocprim17ROCPRIM_400000_NS6detail17trampoline_kernelINS0_13select_configILj256ELj13ELNS0_17block_load_methodE3ELS4_3ELS4_3ELNS0_20block_scan_algorithmE0ELj4294967295EEENS1_25partition_config_selectorILNS1_17partition_subalgoE4EjNS0_10empty_typeEbEEZZNS1_14partition_implILS8_4ELb0ES6_15HIP_vector_typeIjLj2EENS0_17counting_iteratorIjlEEPS9_SG_NS0_5tupleIJPjSI_NS0_16reverse_iteratorISI_EEEEENSH_IJSG_SG_SG_EEES9_SI_JZNS1_25segmented_radix_sort_implINS0_14default_configELb1EPKhPhPKlPlN2at6native12_GLOBAL__N_18offset_tEEE10hipError_tPvRmT1_PNSt15iterator_traitsIS12_E10value_typeET2_T3_PNS13_IS18_E10value_typeET4_jRbjT5_S1E_jjP12ihipStream_tbEUljE_ZNSN_ISO_Lb1ESQ_SR_ST_SU_SY_EESZ_S10_S11_S12_S16_S17_S18_S1B_S1C_jS1D_jS1E_S1E_jjS1G_bEUljE0_EEESZ_S10_S11_S18_S1C_S1E_T6_T7_T9_mT8_S1G_bDpT10_ENKUlT_T0_E_clISt17integral_constantIbLb1EES1T_IbLb0EEEEDaS1P_S1Q_EUlS1P_E_NS1_11comp_targetILNS1_3genE4ELNS1_11target_archE910ELNS1_3gpuE8ELNS1_3repE0EEENS1_30default_config_static_selectorELNS0_4arch9wavefront6targetE0EEEvS12_.private_seg_size, 0
	.set _ZN7rocprim17ROCPRIM_400000_NS6detail17trampoline_kernelINS0_13select_configILj256ELj13ELNS0_17block_load_methodE3ELS4_3ELS4_3ELNS0_20block_scan_algorithmE0ELj4294967295EEENS1_25partition_config_selectorILNS1_17partition_subalgoE4EjNS0_10empty_typeEbEEZZNS1_14partition_implILS8_4ELb0ES6_15HIP_vector_typeIjLj2EENS0_17counting_iteratorIjlEEPS9_SG_NS0_5tupleIJPjSI_NS0_16reverse_iteratorISI_EEEEENSH_IJSG_SG_SG_EEES9_SI_JZNS1_25segmented_radix_sort_implINS0_14default_configELb1EPKhPhPKlPlN2at6native12_GLOBAL__N_18offset_tEEE10hipError_tPvRmT1_PNSt15iterator_traitsIS12_E10value_typeET2_T3_PNS13_IS18_E10value_typeET4_jRbjT5_S1E_jjP12ihipStream_tbEUljE_ZNSN_ISO_Lb1ESQ_SR_ST_SU_SY_EESZ_S10_S11_S12_S16_S17_S18_S1B_S1C_jS1D_jS1E_S1E_jjS1G_bEUljE0_EEESZ_S10_S11_S18_S1C_S1E_T6_T7_T9_mT8_S1G_bDpT10_ENKUlT_T0_E_clISt17integral_constantIbLb1EES1T_IbLb0EEEEDaS1P_S1Q_EUlS1P_E_NS1_11comp_targetILNS1_3genE4ELNS1_11target_archE910ELNS1_3gpuE8ELNS1_3repE0EEENS1_30default_config_static_selectorELNS0_4arch9wavefront6targetE0EEEvS12_.uses_vcc, 0
	.set _ZN7rocprim17ROCPRIM_400000_NS6detail17trampoline_kernelINS0_13select_configILj256ELj13ELNS0_17block_load_methodE3ELS4_3ELS4_3ELNS0_20block_scan_algorithmE0ELj4294967295EEENS1_25partition_config_selectorILNS1_17partition_subalgoE4EjNS0_10empty_typeEbEEZZNS1_14partition_implILS8_4ELb0ES6_15HIP_vector_typeIjLj2EENS0_17counting_iteratorIjlEEPS9_SG_NS0_5tupleIJPjSI_NS0_16reverse_iteratorISI_EEEEENSH_IJSG_SG_SG_EEES9_SI_JZNS1_25segmented_radix_sort_implINS0_14default_configELb1EPKhPhPKlPlN2at6native12_GLOBAL__N_18offset_tEEE10hipError_tPvRmT1_PNSt15iterator_traitsIS12_E10value_typeET2_T3_PNS13_IS18_E10value_typeET4_jRbjT5_S1E_jjP12ihipStream_tbEUljE_ZNSN_ISO_Lb1ESQ_SR_ST_SU_SY_EESZ_S10_S11_S12_S16_S17_S18_S1B_S1C_jS1D_jS1E_S1E_jjS1G_bEUljE0_EEESZ_S10_S11_S18_S1C_S1E_T6_T7_T9_mT8_S1G_bDpT10_ENKUlT_T0_E_clISt17integral_constantIbLb1EES1T_IbLb0EEEEDaS1P_S1Q_EUlS1P_E_NS1_11comp_targetILNS1_3genE4ELNS1_11target_archE910ELNS1_3gpuE8ELNS1_3repE0EEENS1_30default_config_static_selectorELNS0_4arch9wavefront6targetE0EEEvS12_.uses_flat_scratch, 0
	.set _ZN7rocprim17ROCPRIM_400000_NS6detail17trampoline_kernelINS0_13select_configILj256ELj13ELNS0_17block_load_methodE3ELS4_3ELS4_3ELNS0_20block_scan_algorithmE0ELj4294967295EEENS1_25partition_config_selectorILNS1_17partition_subalgoE4EjNS0_10empty_typeEbEEZZNS1_14partition_implILS8_4ELb0ES6_15HIP_vector_typeIjLj2EENS0_17counting_iteratorIjlEEPS9_SG_NS0_5tupleIJPjSI_NS0_16reverse_iteratorISI_EEEEENSH_IJSG_SG_SG_EEES9_SI_JZNS1_25segmented_radix_sort_implINS0_14default_configELb1EPKhPhPKlPlN2at6native12_GLOBAL__N_18offset_tEEE10hipError_tPvRmT1_PNSt15iterator_traitsIS12_E10value_typeET2_T3_PNS13_IS18_E10value_typeET4_jRbjT5_S1E_jjP12ihipStream_tbEUljE_ZNSN_ISO_Lb1ESQ_SR_ST_SU_SY_EESZ_S10_S11_S12_S16_S17_S18_S1B_S1C_jS1D_jS1E_S1E_jjS1G_bEUljE0_EEESZ_S10_S11_S18_S1C_S1E_T6_T7_T9_mT8_S1G_bDpT10_ENKUlT_T0_E_clISt17integral_constantIbLb1EES1T_IbLb0EEEEDaS1P_S1Q_EUlS1P_E_NS1_11comp_targetILNS1_3genE4ELNS1_11target_archE910ELNS1_3gpuE8ELNS1_3repE0EEENS1_30default_config_static_selectorELNS0_4arch9wavefront6targetE0EEEvS12_.has_dyn_sized_stack, 0
	.set _ZN7rocprim17ROCPRIM_400000_NS6detail17trampoline_kernelINS0_13select_configILj256ELj13ELNS0_17block_load_methodE3ELS4_3ELS4_3ELNS0_20block_scan_algorithmE0ELj4294967295EEENS1_25partition_config_selectorILNS1_17partition_subalgoE4EjNS0_10empty_typeEbEEZZNS1_14partition_implILS8_4ELb0ES6_15HIP_vector_typeIjLj2EENS0_17counting_iteratorIjlEEPS9_SG_NS0_5tupleIJPjSI_NS0_16reverse_iteratorISI_EEEEENSH_IJSG_SG_SG_EEES9_SI_JZNS1_25segmented_radix_sort_implINS0_14default_configELb1EPKhPhPKlPlN2at6native12_GLOBAL__N_18offset_tEEE10hipError_tPvRmT1_PNSt15iterator_traitsIS12_E10value_typeET2_T3_PNS13_IS18_E10value_typeET4_jRbjT5_S1E_jjP12ihipStream_tbEUljE_ZNSN_ISO_Lb1ESQ_SR_ST_SU_SY_EESZ_S10_S11_S12_S16_S17_S18_S1B_S1C_jS1D_jS1E_S1E_jjS1G_bEUljE0_EEESZ_S10_S11_S18_S1C_S1E_T6_T7_T9_mT8_S1G_bDpT10_ENKUlT_T0_E_clISt17integral_constantIbLb1EES1T_IbLb0EEEEDaS1P_S1Q_EUlS1P_E_NS1_11comp_targetILNS1_3genE4ELNS1_11target_archE910ELNS1_3gpuE8ELNS1_3repE0EEENS1_30default_config_static_selectorELNS0_4arch9wavefront6targetE0EEEvS12_.has_recursion, 0
	.set _ZN7rocprim17ROCPRIM_400000_NS6detail17trampoline_kernelINS0_13select_configILj256ELj13ELNS0_17block_load_methodE3ELS4_3ELS4_3ELNS0_20block_scan_algorithmE0ELj4294967295EEENS1_25partition_config_selectorILNS1_17partition_subalgoE4EjNS0_10empty_typeEbEEZZNS1_14partition_implILS8_4ELb0ES6_15HIP_vector_typeIjLj2EENS0_17counting_iteratorIjlEEPS9_SG_NS0_5tupleIJPjSI_NS0_16reverse_iteratorISI_EEEEENSH_IJSG_SG_SG_EEES9_SI_JZNS1_25segmented_radix_sort_implINS0_14default_configELb1EPKhPhPKlPlN2at6native12_GLOBAL__N_18offset_tEEE10hipError_tPvRmT1_PNSt15iterator_traitsIS12_E10value_typeET2_T3_PNS13_IS18_E10value_typeET4_jRbjT5_S1E_jjP12ihipStream_tbEUljE_ZNSN_ISO_Lb1ESQ_SR_ST_SU_SY_EESZ_S10_S11_S12_S16_S17_S18_S1B_S1C_jS1D_jS1E_S1E_jjS1G_bEUljE0_EEESZ_S10_S11_S18_S1C_S1E_T6_T7_T9_mT8_S1G_bDpT10_ENKUlT_T0_E_clISt17integral_constantIbLb1EES1T_IbLb0EEEEDaS1P_S1Q_EUlS1P_E_NS1_11comp_targetILNS1_3genE4ELNS1_11target_archE910ELNS1_3gpuE8ELNS1_3repE0EEENS1_30default_config_static_selectorELNS0_4arch9wavefront6targetE0EEEvS12_.has_indirect_call, 0
	.section	.AMDGPU.csdata,"",@progbits
; Kernel info:
; codeLenInByte = 0
; TotalNumSgprs: 0
; NumVgprs: 0
; ScratchSize: 0
; MemoryBound: 0
; FloatMode: 240
; IeeeMode: 1
; LDSByteSize: 0 bytes/workgroup (compile time only)
; SGPRBlocks: 0
; VGPRBlocks: 0
; NumSGPRsForWavesPerEU: 1
; NumVGPRsForWavesPerEU: 1
; Occupancy: 16
; WaveLimiterHint : 0
; COMPUTE_PGM_RSRC2:SCRATCH_EN: 0
; COMPUTE_PGM_RSRC2:USER_SGPR: 2
; COMPUTE_PGM_RSRC2:TRAP_HANDLER: 0
; COMPUTE_PGM_RSRC2:TGID_X_EN: 1
; COMPUTE_PGM_RSRC2:TGID_Y_EN: 0
; COMPUTE_PGM_RSRC2:TGID_Z_EN: 0
; COMPUTE_PGM_RSRC2:TIDIG_COMP_CNT: 0
	.section	.text._ZN7rocprim17ROCPRIM_400000_NS6detail17trampoline_kernelINS0_13select_configILj256ELj13ELNS0_17block_load_methodE3ELS4_3ELS4_3ELNS0_20block_scan_algorithmE0ELj4294967295EEENS1_25partition_config_selectorILNS1_17partition_subalgoE4EjNS0_10empty_typeEbEEZZNS1_14partition_implILS8_4ELb0ES6_15HIP_vector_typeIjLj2EENS0_17counting_iteratorIjlEEPS9_SG_NS0_5tupleIJPjSI_NS0_16reverse_iteratorISI_EEEEENSH_IJSG_SG_SG_EEES9_SI_JZNS1_25segmented_radix_sort_implINS0_14default_configELb1EPKhPhPKlPlN2at6native12_GLOBAL__N_18offset_tEEE10hipError_tPvRmT1_PNSt15iterator_traitsIS12_E10value_typeET2_T3_PNS13_IS18_E10value_typeET4_jRbjT5_S1E_jjP12ihipStream_tbEUljE_ZNSN_ISO_Lb1ESQ_SR_ST_SU_SY_EESZ_S10_S11_S12_S16_S17_S18_S1B_S1C_jS1D_jS1E_S1E_jjS1G_bEUljE0_EEESZ_S10_S11_S18_S1C_S1E_T6_T7_T9_mT8_S1G_bDpT10_ENKUlT_T0_E_clISt17integral_constantIbLb1EES1T_IbLb0EEEEDaS1P_S1Q_EUlS1P_E_NS1_11comp_targetILNS1_3genE3ELNS1_11target_archE908ELNS1_3gpuE7ELNS1_3repE0EEENS1_30default_config_static_selectorELNS0_4arch9wavefront6targetE0EEEvS12_,"axG",@progbits,_ZN7rocprim17ROCPRIM_400000_NS6detail17trampoline_kernelINS0_13select_configILj256ELj13ELNS0_17block_load_methodE3ELS4_3ELS4_3ELNS0_20block_scan_algorithmE0ELj4294967295EEENS1_25partition_config_selectorILNS1_17partition_subalgoE4EjNS0_10empty_typeEbEEZZNS1_14partition_implILS8_4ELb0ES6_15HIP_vector_typeIjLj2EENS0_17counting_iteratorIjlEEPS9_SG_NS0_5tupleIJPjSI_NS0_16reverse_iteratorISI_EEEEENSH_IJSG_SG_SG_EEES9_SI_JZNS1_25segmented_radix_sort_implINS0_14default_configELb1EPKhPhPKlPlN2at6native12_GLOBAL__N_18offset_tEEE10hipError_tPvRmT1_PNSt15iterator_traitsIS12_E10value_typeET2_T3_PNS13_IS18_E10value_typeET4_jRbjT5_S1E_jjP12ihipStream_tbEUljE_ZNSN_ISO_Lb1ESQ_SR_ST_SU_SY_EESZ_S10_S11_S12_S16_S17_S18_S1B_S1C_jS1D_jS1E_S1E_jjS1G_bEUljE0_EEESZ_S10_S11_S18_S1C_S1E_T6_T7_T9_mT8_S1G_bDpT10_ENKUlT_T0_E_clISt17integral_constantIbLb1EES1T_IbLb0EEEEDaS1P_S1Q_EUlS1P_E_NS1_11comp_targetILNS1_3genE3ELNS1_11target_archE908ELNS1_3gpuE7ELNS1_3repE0EEENS1_30default_config_static_selectorELNS0_4arch9wavefront6targetE0EEEvS12_,comdat
	.globl	_ZN7rocprim17ROCPRIM_400000_NS6detail17trampoline_kernelINS0_13select_configILj256ELj13ELNS0_17block_load_methodE3ELS4_3ELS4_3ELNS0_20block_scan_algorithmE0ELj4294967295EEENS1_25partition_config_selectorILNS1_17partition_subalgoE4EjNS0_10empty_typeEbEEZZNS1_14partition_implILS8_4ELb0ES6_15HIP_vector_typeIjLj2EENS0_17counting_iteratorIjlEEPS9_SG_NS0_5tupleIJPjSI_NS0_16reverse_iteratorISI_EEEEENSH_IJSG_SG_SG_EEES9_SI_JZNS1_25segmented_radix_sort_implINS0_14default_configELb1EPKhPhPKlPlN2at6native12_GLOBAL__N_18offset_tEEE10hipError_tPvRmT1_PNSt15iterator_traitsIS12_E10value_typeET2_T3_PNS13_IS18_E10value_typeET4_jRbjT5_S1E_jjP12ihipStream_tbEUljE_ZNSN_ISO_Lb1ESQ_SR_ST_SU_SY_EESZ_S10_S11_S12_S16_S17_S18_S1B_S1C_jS1D_jS1E_S1E_jjS1G_bEUljE0_EEESZ_S10_S11_S18_S1C_S1E_T6_T7_T9_mT8_S1G_bDpT10_ENKUlT_T0_E_clISt17integral_constantIbLb1EES1T_IbLb0EEEEDaS1P_S1Q_EUlS1P_E_NS1_11comp_targetILNS1_3genE3ELNS1_11target_archE908ELNS1_3gpuE7ELNS1_3repE0EEENS1_30default_config_static_selectorELNS0_4arch9wavefront6targetE0EEEvS12_ ; -- Begin function _ZN7rocprim17ROCPRIM_400000_NS6detail17trampoline_kernelINS0_13select_configILj256ELj13ELNS0_17block_load_methodE3ELS4_3ELS4_3ELNS0_20block_scan_algorithmE0ELj4294967295EEENS1_25partition_config_selectorILNS1_17partition_subalgoE4EjNS0_10empty_typeEbEEZZNS1_14partition_implILS8_4ELb0ES6_15HIP_vector_typeIjLj2EENS0_17counting_iteratorIjlEEPS9_SG_NS0_5tupleIJPjSI_NS0_16reverse_iteratorISI_EEEEENSH_IJSG_SG_SG_EEES9_SI_JZNS1_25segmented_radix_sort_implINS0_14default_configELb1EPKhPhPKlPlN2at6native12_GLOBAL__N_18offset_tEEE10hipError_tPvRmT1_PNSt15iterator_traitsIS12_E10value_typeET2_T3_PNS13_IS18_E10value_typeET4_jRbjT5_S1E_jjP12ihipStream_tbEUljE_ZNSN_ISO_Lb1ESQ_SR_ST_SU_SY_EESZ_S10_S11_S12_S16_S17_S18_S1B_S1C_jS1D_jS1E_S1E_jjS1G_bEUljE0_EEESZ_S10_S11_S18_S1C_S1E_T6_T7_T9_mT8_S1G_bDpT10_ENKUlT_T0_E_clISt17integral_constantIbLb1EES1T_IbLb0EEEEDaS1P_S1Q_EUlS1P_E_NS1_11comp_targetILNS1_3genE3ELNS1_11target_archE908ELNS1_3gpuE7ELNS1_3repE0EEENS1_30default_config_static_selectorELNS0_4arch9wavefront6targetE0EEEvS12_
	.p2align	8
	.type	_ZN7rocprim17ROCPRIM_400000_NS6detail17trampoline_kernelINS0_13select_configILj256ELj13ELNS0_17block_load_methodE3ELS4_3ELS4_3ELNS0_20block_scan_algorithmE0ELj4294967295EEENS1_25partition_config_selectorILNS1_17partition_subalgoE4EjNS0_10empty_typeEbEEZZNS1_14partition_implILS8_4ELb0ES6_15HIP_vector_typeIjLj2EENS0_17counting_iteratorIjlEEPS9_SG_NS0_5tupleIJPjSI_NS0_16reverse_iteratorISI_EEEEENSH_IJSG_SG_SG_EEES9_SI_JZNS1_25segmented_radix_sort_implINS0_14default_configELb1EPKhPhPKlPlN2at6native12_GLOBAL__N_18offset_tEEE10hipError_tPvRmT1_PNSt15iterator_traitsIS12_E10value_typeET2_T3_PNS13_IS18_E10value_typeET4_jRbjT5_S1E_jjP12ihipStream_tbEUljE_ZNSN_ISO_Lb1ESQ_SR_ST_SU_SY_EESZ_S10_S11_S12_S16_S17_S18_S1B_S1C_jS1D_jS1E_S1E_jjS1G_bEUljE0_EEESZ_S10_S11_S18_S1C_S1E_T6_T7_T9_mT8_S1G_bDpT10_ENKUlT_T0_E_clISt17integral_constantIbLb1EES1T_IbLb0EEEEDaS1P_S1Q_EUlS1P_E_NS1_11comp_targetILNS1_3genE3ELNS1_11target_archE908ELNS1_3gpuE7ELNS1_3repE0EEENS1_30default_config_static_selectorELNS0_4arch9wavefront6targetE0EEEvS12_,@function
_ZN7rocprim17ROCPRIM_400000_NS6detail17trampoline_kernelINS0_13select_configILj256ELj13ELNS0_17block_load_methodE3ELS4_3ELS4_3ELNS0_20block_scan_algorithmE0ELj4294967295EEENS1_25partition_config_selectorILNS1_17partition_subalgoE4EjNS0_10empty_typeEbEEZZNS1_14partition_implILS8_4ELb0ES6_15HIP_vector_typeIjLj2EENS0_17counting_iteratorIjlEEPS9_SG_NS0_5tupleIJPjSI_NS0_16reverse_iteratorISI_EEEEENSH_IJSG_SG_SG_EEES9_SI_JZNS1_25segmented_radix_sort_implINS0_14default_configELb1EPKhPhPKlPlN2at6native12_GLOBAL__N_18offset_tEEE10hipError_tPvRmT1_PNSt15iterator_traitsIS12_E10value_typeET2_T3_PNS13_IS18_E10value_typeET4_jRbjT5_S1E_jjP12ihipStream_tbEUljE_ZNSN_ISO_Lb1ESQ_SR_ST_SU_SY_EESZ_S10_S11_S12_S16_S17_S18_S1B_S1C_jS1D_jS1E_S1E_jjS1G_bEUljE0_EEESZ_S10_S11_S18_S1C_S1E_T6_T7_T9_mT8_S1G_bDpT10_ENKUlT_T0_E_clISt17integral_constantIbLb1EES1T_IbLb0EEEEDaS1P_S1Q_EUlS1P_E_NS1_11comp_targetILNS1_3genE3ELNS1_11target_archE908ELNS1_3gpuE7ELNS1_3repE0EEENS1_30default_config_static_selectorELNS0_4arch9wavefront6targetE0EEEvS12_: ; @_ZN7rocprim17ROCPRIM_400000_NS6detail17trampoline_kernelINS0_13select_configILj256ELj13ELNS0_17block_load_methodE3ELS4_3ELS4_3ELNS0_20block_scan_algorithmE0ELj4294967295EEENS1_25partition_config_selectorILNS1_17partition_subalgoE4EjNS0_10empty_typeEbEEZZNS1_14partition_implILS8_4ELb0ES6_15HIP_vector_typeIjLj2EENS0_17counting_iteratorIjlEEPS9_SG_NS0_5tupleIJPjSI_NS0_16reverse_iteratorISI_EEEEENSH_IJSG_SG_SG_EEES9_SI_JZNS1_25segmented_radix_sort_implINS0_14default_configELb1EPKhPhPKlPlN2at6native12_GLOBAL__N_18offset_tEEE10hipError_tPvRmT1_PNSt15iterator_traitsIS12_E10value_typeET2_T3_PNS13_IS18_E10value_typeET4_jRbjT5_S1E_jjP12ihipStream_tbEUljE_ZNSN_ISO_Lb1ESQ_SR_ST_SU_SY_EESZ_S10_S11_S12_S16_S17_S18_S1B_S1C_jS1D_jS1E_S1E_jjS1G_bEUljE0_EEESZ_S10_S11_S18_S1C_S1E_T6_T7_T9_mT8_S1G_bDpT10_ENKUlT_T0_E_clISt17integral_constantIbLb1EES1T_IbLb0EEEEDaS1P_S1Q_EUlS1P_E_NS1_11comp_targetILNS1_3genE3ELNS1_11target_archE908ELNS1_3gpuE7ELNS1_3repE0EEENS1_30default_config_static_selectorELNS0_4arch9wavefront6targetE0EEEvS12_
; %bb.0:
	.section	.rodata,"a",@progbits
	.p2align	6, 0x0
	.amdhsa_kernel _ZN7rocprim17ROCPRIM_400000_NS6detail17trampoline_kernelINS0_13select_configILj256ELj13ELNS0_17block_load_methodE3ELS4_3ELS4_3ELNS0_20block_scan_algorithmE0ELj4294967295EEENS1_25partition_config_selectorILNS1_17partition_subalgoE4EjNS0_10empty_typeEbEEZZNS1_14partition_implILS8_4ELb0ES6_15HIP_vector_typeIjLj2EENS0_17counting_iteratorIjlEEPS9_SG_NS0_5tupleIJPjSI_NS0_16reverse_iteratorISI_EEEEENSH_IJSG_SG_SG_EEES9_SI_JZNS1_25segmented_radix_sort_implINS0_14default_configELb1EPKhPhPKlPlN2at6native12_GLOBAL__N_18offset_tEEE10hipError_tPvRmT1_PNSt15iterator_traitsIS12_E10value_typeET2_T3_PNS13_IS18_E10value_typeET4_jRbjT5_S1E_jjP12ihipStream_tbEUljE_ZNSN_ISO_Lb1ESQ_SR_ST_SU_SY_EESZ_S10_S11_S12_S16_S17_S18_S1B_S1C_jS1D_jS1E_S1E_jjS1G_bEUljE0_EEESZ_S10_S11_S18_S1C_S1E_T6_T7_T9_mT8_S1G_bDpT10_ENKUlT_T0_E_clISt17integral_constantIbLb1EES1T_IbLb0EEEEDaS1P_S1Q_EUlS1P_E_NS1_11comp_targetILNS1_3genE3ELNS1_11target_archE908ELNS1_3gpuE7ELNS1_3repE0EEENS1_30default_config_static_selectorELNS0_4arch9wavefront6targetE0EEEvS12_
		.amdhsa_group_segment_fixed_size 0
		.amdhsa_private_segment_fixed_size 0
		.amdhsa_kernarg_size 176
		.amdhsa_user_sgpr_count 2
		.amdhsa_user_sgpr_dispatch_ptr 0
		.amdhsa_user_sgpr_queue_ptr 0
		.amdhsa_user_sgpr_kernarg_segment_ptr 1
		.amdhsa_user_sgpr_dispatch_id 0
		.amdhsa_user_sgpr_private_segment_size 0
		.amdhsa_wavefront_size32 1
		.amdhsa_uses_dynamic_stack 0
		.amdhsa_enable_private_segment 0
		.amdhsa_system_sgpr_workgroup_id_x 1
		.amdhsa_system_sgpr_workgroup_id_y 0
		.amdhsa_system_sgpr_workgroup_id_z 0
		.amdhsa_system_sgpr_workgroup_info 0
		.amdhsa_system_vgpr_workitem_id 0
		.amdhsa_next_free_vgpr 1
		.amdhsa_next_free_sgpr 1
		.amdhsa_reserve_vcc 0
		.amdhsa_float_round_mode_32 0
		.amdhsa_float_round_mode_16_64 0
		.amdhsa_float_denorm_mode_32 3
		.amdhsa_float_denorm_mode_16_64 3
		.amdhsa_fp16_overflow 0
		.amdhsa_workgroup_processor_mode 1
		.amdhsa_memory_ordered 1
		.amdhsa_forward_progress 1
		.amdhsa_inst_pref_size 0
		.amdhsa_round_robin_scheduling 0
		.amdhsa_exception_fp_ieee_invalid_op 0
		.amdhsa_exception_fp_denorm_src 0
		.amdhsa_exception_fp_ieee_div_zero 0
		.amdhsa_exception_fp_ieee_overflow 0
		.amdhsa_exception_fp_ieee_underflow 0
		.amdhsa_exception_fp_ieee_inexact 0
		.amdhsa_exception_int_div_zero 0
	.end_amdhsa_kernel
	.section	.text._ZN7rocprim17ROCPRIM_400000_NS6detail17trampoline_kernelINS0_13select_configILj256ELj13ELNS0_17block_load_methodE3ELS4_3ELS4_3ELNS0_20block_scan_algorithmE0ELj4294967295EEENS1_25partition_config_selectorILNS1_17partition_subalgoE4EjNS0_10empty_typeEbEEZZNS1_14partition_implILS8_4ELb0ES6_15HIP_vector_typeIjLj2EENS0_17counting_iteratorIjlEEPS9_SG_NS0_5tupleIJPjSI_NS0_16reverse_iteratorISI_EEEEENSH_IJSG_SG_SG_EEES9_SI_JZNS1_25segmented_radix_sort_implINS0_14default_configELb1EPKhPhPKlPlN2at6native12_GLOBAL__N_18offset_tEEE10hipError_tPvRmT1_PNSt15iterator_traitsIS12_E10value_typeET2_T3_PNS13_IS18_E10value_typeET4_jRbjT5_S1E_jjP12ihipStream_tbEUljE_ZNSN_ISO_Lb1ESQ_SR_ST_SU_SY_EESZ_S10_S11_S12_S16_S17_S18_S1B_S1C_jS1D_jS1E_S1E_jjS1G_bEUljE0_EEESZ_S10_S11_S18_S1C_S1E_T6_T7_T9_mT8_S1G_bDpT10_ENKUlT_T0_E_clISt17integral_constantIbLb1EES1T_IbLb0EEEEDaS1P_S1Q_EUlS1P_E_NS1_11comp_targetILNS1_3genE3ELNS1_11target_archE908ELNS1_3gpuE7ELNS1_3repE0EEENS1_30default_config_static_selectorELNS0_4arch9wavefront6targetE0EEEvS12_,"axG",@progbits,_ZN7rocprim17ROCPRIM_400000_NS6detail17trampoline_kernelINS0_13select_configILj256ELj13ELNS0_17block_load_methodE3ELS4_3ELS4_3ELNS0_20block_scan_algorithmE0ELj4294967295EEENS1_25partition_config_selectorILNS1_17partition_subalgoE4EjNS0_10empty_typeEbEEZZNS1_14partition_implILS8_4ELb0ES6_15HIP_vector_typeIjLj2EENS0_17counting_iteratorIjlEEPS9_SG_NS0_5tupleIJPjSI_NS0_16reverse_iteratorISI_EEEEENSH_IJSG_SG_SG_EEES9_SI_JZNS1_25segmented_radix_sort_implINS0_14default_configELb1EPKhPhPKlPlN2at6native12_GLOBAL__N_18offset_tEEE10hipError_tPvRmT1_PNSt15iterator_traitsIS12_E10value_typeET2_T3_PNS13_IS18_E10value_typeET4_jRbjT5_S1E_jjP12ihipStream_tbEUljE_ZNSN_ISO_Lb1ESQ_SR_ST_SU_SY_EESZ_S10_S11_S12_S16_S17_S18_S1B_S1C_jS1D_jS1E_S1E_jjS1G_bEUljE0_EEESZ_S10_S11_S18_S1C_S1E_T6_T7_T9_mT8_S1G_bDpT10_ENKUlT_T0_E_clISt17integral_constantIbLb1EES1T_IbLb0EEEEDaS1P_S1Q_EUlS1P_E_NS1_11comp_targetILNS1_3genE3ELNS1_11target_archE908ELNS1_3gpuE7ELNS1_3repE0EEENS1_30default_config_static_selectorELNS0_4arch9wavefront6targetE0EEEvS12_,comdat
.Lfunc_end33:
	.size	_ZN7rocprim17ROCPRIM_400000_NS6detail17trampoline_kernelINS0_13select_configILj256ELj13ELNS0_17block_load_methodE3ELS4_3ELS4_3ELNS0_20block_scan_algorithmE0ELj4294967295EEENS1_25partition_config_selectorILNS1_17partition_subalgoE4EjNS0_10empty_typeEbEEZZNS1_14partition_implILS8_4ELb0ES6_15HIP_vector_typeIjLj2EENS0_17counting_iteratorIjlEEPS9_SG_NS0_5tupleIJPjSI_NS0_16reverse_iteratorISI_EEEEENSH_IJSG_SG_SG_EEES9_SI_JZNS1_25segmented_radix_sort_implINS0_14default_configELb1EPKhPhPKlPlN2at6native12_GLOBAL__N_18offset_tEEE10hipError_tPvRmT1_PNSt15iterator_traitsIS12_E10value_typeET2_T3_PNS13_IS18_E10value_typeET4_jRbjT5_S1E_jjP12ihipStream_tbEUljE_ZNSN_ISO_Lb1ESQ_SR_ST_SU_SY_EESZ_S10_S11_S12_S16_S17_S18_S1B_S1C_jS1D_jS1E_S1E_jjS1G_bEUljE0_EEESZ_S10_S11_S18_S1C_S1E_T6_T7_T9_mT8_S1G_bDpT10_ENKUlT_T0_E_clISt17integral_constantIbLb1EES1T_IbLb0EEEEDaS1P_S1Q_EUlS1P_E_NS1_11comp_targetILNS1_3genE3ELNS1_11target_archE908ELNS1_3gpuE7ELNS1_3repE0EEENS1_30default_config_static_selectorELNS0_4arch9wavefront6targetE0EEEvS12_, .Lfunc_end33-_ZN7rocprim17ROCPRIM_400000_NS6detail17trampoline_kernelINS0_13select_configILj256ELj13ELNS0_17block_load_methodE3ELS4_3ELS4_3ELNS0_20block_scan_algorithmE0ELj4294967295EEENS1_25partition_config_selectorILNS1_17partition_subalgoE4EjNS0_10empty_typeEbEEZZNS1_14partition_implILS8_4ELb0ES6_15HIP_vector_typeIjLj2EENS0_17counting_iteratorIjlEEPS9_SG_NS0_5tupleIJPjSI_NS0_16reverse_iteratorISI_EEEEENSH_IJSG_SG_SG_EEES9_SI_JZNS1_25segmented_radix_sort_implINS0_14default_configELb1EPKhPhPKlPlN2at6native12_GLOBAL__N_18offset_tEEE10hipError_tPvRmT1_PNSt15iterator_traitsIS12_E10value_typeET2_T3_PNS13_IS18_E10value_typeET4_jRbjT5_S1E_jjP12ihipStream_tbEUljE_ZNSN_ISO_Lb1ESQ_SR_ST_SU_SY_EESZ_S10_S11_S12_S16_S17_S18_S1B_S1C_jS1D_jS1E_S1E_jjS1G_bEUljE0_EEESZ_S10_S11_S18_S1C_S1E_T6_T7_T9_mT8_S1G_bDpT10_ENKUlT_T0_E_clISt17integral_constantIbLb1EES1T_IbLb0EEEEDaS1P_S1Q_EUlS1P_E_NS1_11comp_targetILNS1_3genE3ELNS1_11target_archE908ELNS1_3gpuE7ELNS1_3repE0EEENS1_30default_config_static_selectorELNS0_4arch9wavefront6targetE0EEEvS12_
                                        ; -- End function
	.set _ZN7rocprim17ROCPRIM_400000_NS6detail17trampoline_kernelINS0_13select_configILj256ELj13ELNS0_17block_load_methodE3ELS4_3ELS4_3ELNS0_20block_scan_algorithmE0ELj4294967295EEENS1_25partition_config_selectorILNS1_17partition_subalgoE4EjNS0_10empty_typeEbEEZZNS1_14partition_implILS8_4ELb0ES6_15HIP_vector_typeIjLj2EENS0_17counting_iteratorIjlEEPS9_SG_NS0_5tupleIJPjSI_NS0_16reverse_iteratorISI_EEEEENSH_IJSG_SG_SG_EEES9_SI_JZNS1_25segmented_radix_sort_implINS0_14default_configELb1EPKhPhPKlPlN2at6native12_GLOBAL__N_18offset_tEEE10hipError_tPvRmT1_PNSt15iterator_traitsIS12_E10value_typeET2_T3_PNS13_IS18_E10value_typeET4_jRbjT5_S1E_jjP12ihipStream_tbEUljE_ZNSN_ISO_Lb1ESQ_SR_ST_SU_SY_EESZ_S10_S11_S12_S16_S17_S18_S1B_S1C_jS1D_jS1E_S1E_jjS1G_bEUljE0_EEESZ_S10_S11_S18_S1C_S1E_T6_T7_T9_mT8_S1G_bDpT10_ENKUlT_T0_E_clISt17integral_constantIbLb1EES1T_IbLb0EEEEDaS1P_S1Q_EUlS1P_E_NS1_11comp_targetILNS1_3genE3ELNS1_11target_archE908ELNS1_3gpuE7ELNS1_3repE0EEENS1_30default_config_static_selectorELNS0_4arch9wavefront6targetE0EEEvS12_.num_vgpr, 0
	.set _ZN7rocprim17ROCPRIM_400000_NS6detail17trampoline_kernelINS0_13select_configILj256ELj13ELNS0_17block_load_methodE3ELS4_3ELS4_3ELNS0_20block_scan_algorithmE0ELj4294967295EEENS1_25partition_config_selectorILNS1_17partition_subalgoE4EjNS0_10empty_typeEbEEZZNS1_14partition_implILS8_4ELb0ES6_15HIP_vector_typeIjLj2EENS0_17counting_iteratorIjlEEPS9_SG_NS0_5tupleIJPjSI_NS0_16reverse_iteratorISI_EEEEENSH_IJSG_SG_SG_EEES9_SI_JZNS1_25segmented_radix_sort_implINS0_14default_configELb1EPKhPhPKlPlN2at6native12_GLOBAL__N_18offset_tEEE10hipError_tPvRmT1_PNSt15iterator_traitsIS12_E10value_typeET2_T3_PNS13_IS18_E10value_typeET4_jRbjT5_S1E_jjP12ihipStream_tbEUljE_ZNSN_ISO_Lb1ESQ_SR_ST_SU_SY_EESZ_S10_S11_S12_S16_S17_S18_S1B_S1C_jS1D_jS1E_S1E_jjS1G_bEUljE0_EEESZ_S10_S11_S18_S1C_S1E_T6_T7_T9_mT8_S1G_bDpT10_ENKUlT_T0_E_clISt17integral_constantIbLb1EES1T_IbLb0EEEEDaS1P_S1Q_EUlS1P_E_NS1_11comp_targetILNS1_3genE3ELNS1_11target_archE908ELNS1_3gpuE7ELNS1_3repE0EEENS1_30default_config_static_selectorELNS0_4arch9wavefront6targetE0EEEvS12_.num_agpr, 0
	.set _ZN7rocprim17ROCPRIM_400000_NS6detail17trampoline_kernelINS0_13select_configILj256ELj13ELNS0_17block_load_methodE3ELS4_3ELS4_3ELNS0_20block_scan_algorithmE0ELj4294967295EEENS1_25partition_config_selectorILNS1_17partition_subalgoE4EjNS0_10empty_typeEbEEZZNS1_14partition_implILS8_4ELb0ES6_15HIP_vector_typeIjLj2EENS0_17counting_iteratorIjlEEPS9_SG_NS0_5tupleIJPjSI_NS0_16reverse_iteratorISI_EEEEENSH_IJSG_SG_SG_EEES9_SI_JZNS1_25segmented_radix_sort_implINS0_14default_configELb1EPKhPhPKlPlN2at6native12_GLOBAL__N_18offset_tEEE10hipError_tPvRmT1_PNSt15iterator_traitsIS12_E10value_typeET2_T3_PNS13_IS18_E10value_typeET4_jRbjT5_S1E_jjP12ihipStream_tbEUljE_ZNSN_ISO_Lb1ESQ_SR_ST_SU_SY_EESZ_S10_S11_S12_S16_S17_S18_S1B_S1C_jS1D_jS1E_S1E_jjS1G_bEUljE0_EEESZ_S10_S11_S18_S1C_S1E_T6_T7_T9_mT8_S1G_bDpT10_ENKUlT_T0_E_clISt17integral_constantIbLb1EES1T_IbLb0EEEEDaS1P_S1Q_EUlS1P_E_NS1_11comp_targetILNS1_3genE3ELNS1_11target_archE908ELNS1_3gpuE7ELNS1_3repE0EEENS1_30default_config_static_selectorELNS0_4arch9wavefront6targetE0EEEvS12_.numbered_sgpr, 0
	.set _ZN7rocprim17ROCPRIM_400000_NS6detail17trampoline_kernelINS0_13select_configILj256ELj13ELNS0_17block_load_methodE3ELS4_3ELS4_3ELNS0_20block_scan_algorithmE0ELj4294967295EEENS1_25partition_config_selectorILNS1_17partition_subalgoE4EjNS0_10empty_typeEbEEZZNS1_14partition_implILS8_4ELb0ES6_15HIP_vector_typeIjLj2EENS0_17counting_iteratorIjlEEPS9_SG_NS0_5tupleIJPjSI_NS0_16reverse_iteratorISI_EEEEENSH_IJSG_SG_SG_EEES9_SI_JZNS1_25segmented_radix_sort_implINS0_14default_configELb1EPKhPhPKlPlN2at6native12_GLOBAL__N_18offset_tEEE10hipError_tPvRmT1_PNSt15iterator_traitsIS12_E10value_typeET2_T3_PNS13_IS18_E10value_typeET4_jRbjT5_S1E_jjP12ihipStream_tbEUljE_ZNSN_ISO_Lb1ESQ_SR_ST_SU_SY_EESZ_S10_S11_S12_S16_S17_S18_S1B_S1C_jS1D_jS1E_S1E_jjS1G_bEUljE0_EEESZ_S10_S11_S18_S1C_S1E_T6_T7_T9_mT8_S1G_bDpT10_ENKUlT_T0_E_clISt17integral_constantIbLb1EES1T_IbLb0EEEEDaS1P_S1Q_EUlS1P_E_NS1_11comp_targetILNS1_3genE3ELNS1_11target_archE908ELNS1_3gpuE7ELNS1_3repE0EEENS1_30default_config_static_selectorELNS0_4arch9wavefront6targetE0EEEvS12_.num_named_barrier, 0
	.set _ZN7rocprim17ROCPRIM_400000_NS6detail17trampoline_kernelINS0_13select_configILj256ELj13ELNS0_17block_load_methodE3ELS4_3ELS4_3ELNS0_20block_scan_algorithmE0ELj4294967295EEENS1_25partition_config_selectorILNS1_17partition_subalgoE4EjNS0_10empty_typeEbEEZZNS1_14partition_implILS8_4ELb0ES6_15HIP_vector_typeIjLj2EENS0_17counting_iteratorIjlEEPS9_SG_NS0_5tupleIJPjSI_NS0_16reverse_iteratorISI_EEEEENSH_IJSG_SG_SG_EEES9_SI_JZNS1_25segmented_radix_sort_implINS0_14default_configELb1EPKhPhPKlPlN2at6native12_GLOBAL__N_18offset_tEEE10hipError_tPvRmT1_PNSt15iterator_traitsIS12_E10value_typeET2_T3_PNS13_IS18_E10value_typeET4_jRbjT5_S1E_jjP12ihipStream_tbEUljE_ZNSN_ISO_Lb1ESQ_SR_ST_SU_SY_EESZ_S10_S11_S12_S16_S17_S18_S1B_S1C_jS1D_jS1E_S1E_jjS1G_bEUljE0_EEESZ_S10_S11_S18_S1C_S1E_T6_T7_T9_mT8_S1G_bDpT10_ENKUlT_T0_E_clISt17integral_constantIbLb1EES1T_IbLb0EEEEDaS1P_S1Q_EUlS1P_E_NS1_11comp_targetILNS1_3genE3ELNS1_11target_archE908ELNS1_3gpuE7ELNS1_3repE0EEENS1_30default_config_static_selectorELNS0_4arch9wavefront6targetE0EEEvS12_.private_seg_size, 0
	.set _ZN7rocprim17ROCPRIM_400000_NS6detail17trampoline_kernelINS0_13select_configILj256ELj13ELNS0_17block_load_methodE3ELS4_3ELS4_3ELNS0_20block_scan_algorithmE0ELj4294967295EEENS1_25partition_config_selectorILNS1_17partition_subalgoE4EjNS0_10empty_typeEbEEZZNS1_14partition_implILS8_4ELb0ES6_15HIP_vector_typeIjLj2EENS0_17counting_iteratorIjlEEPS9_SG_NS0_5tupleIJPjSI_NS0_16reverse_iteratorISI_EEEEENSH_IJSG_SG_SG_EEES9_SI_JZNS1_25segmented_radix_sort_implINS0_14default_configELb1EPKhPhPKlPlN2at6native12_GLOBAL__N_18offset_tEEE10hipError_tPvRmT1_PNSt15iterator_traitsIS12_E10value_typeET2_T3_PNS13_IS18_E10value_typeET4_jRbjT5_S1E_jjP12ihipStream_tbEUljE_ZNSN_ISO_Lb1ESQ_SR_ST_SU_SY_EESZ_S10_S11_S12_S16_S17_S18_S1B_S1C_jS1D_jS1E_S1E_jjS1G_bEUljE0_EEESZ_S10_S11_S18_S1C_S1E_T6_T7_T9_mT8_S1G_bDpT10_ENKUlT_T0_E_clISt17integral_constantIbLb1EES1T_IbLb0EEEEDaS1P_S1Q_EUlS1P_E_NS1_11comp_targetILNS1_3genE3ELNS1_11target_archE908ELNS1_3gpuE7ELNS1_3repE0EEENS1_30default_config_static_selectorELNS0_4arch9wavefront6targetE0EEEvS12_.uses_vcc, 0
	.set _ZN7rocprim17ROCPRIM_400000_NS6detail17trampoline_kernelINS0_13select_configILj256ELj13ELNS0_17block_load_methodE3ELS4_3ELS4_3ELNS0_20block_scan_algorithmE0ELj4294967295EEENS1_25partition_config_selectorILNS1_17partition_subalgoE4EjNS0_10empty_typeEbEEZZNS1_14partition_implILS8_4ELb0ES6_15HIP_vector_typeIjLj2EENS0_17counting_iteratorIjlEEPS9_SG_NS0_5tupleIJPjSI_NS0_16reverse_iteratorISI_EEEEENSH_IJSG_SG_SG_EEES9_SI_JZNS1_25segmented_radix_sort_implINS0_14default_configELb1EPKhPhPKlPlN2at6native12_GLOBAL__N_18offset_tEEE10hipError_tPvRmT1_PNSt15iterator_traitsIS12_E10value_typeET2_T3_PNS13_IS18_E10value_typeET4_jRbjT5_S1E_jjP12ihipStream_tbEUljE_ZNSN_ISO_Lb1ESQ_SR_ST_SU_SY_EESZ_S10_S11_S12_S16_S17_S18_S1B_S1C_jS1D_jS1E_S1E_jjS1G_bEUljE0_EEESZ_S10_S11_S18_S1C_S1E_T6_T7_T9_mT8_S1G_bDpT10_ENKUlT_T0_E_clISt17integral_constantIbLb1EES1T_IbLb0EEEEDaS1P_S1Q_EUlS1P_E_NS1_11comp_targetILNS1_3genE3ELNS1_11target_archE908ELNS1_3gpuE7ELNS1_3repE0EEENS1_30default_config_static_selectorELNS0_4arch9wavefront6targetE0EEEvS12_.uses_flat_scratch, 0
	.set _ZN7rocprim17ROCPRIM_400000_NS6detail17trampoline_kernelINS0_13select_configILj256ELj13ELNS0_17block_load_methodE3ELS4_3ELS4_3ELNS0_20block_scan_algorithmE0ELj4294967295EEENS1_25partition_config_selectorILNS1_17partition_subalgoE4EjNS0_10empty_typeEbEEZZNS1_14partition_implILS8_4ELb0ES6_15HIP_vector_typeIjLj2EENS0_17counting_iteratorIjlEEPS9_SG_NS0_5tupleIJPjSI_NS0_16reverse_iteratorISI_EEEEENSH_IJSG_SG_SG_EEES9_SI_JZNS1_25segmented_radix_sort_implINS0_14default_configELb1EPKhPhPKlPlN2at6native12_GLOBAL__N_18offset_tEEE10hipError_tPvRmT1_PNSt15iterator_traitsIS12_E10value_typeET2_T3_PNS13_IS18_E10value_typeET4_jRbjT5_S1E_jjP12ihipStream_tbEUljE_ZNSN_ISO_Lb1ESQ_SR_ST_SU_SY_EESZ_S10_S11_S12_S16_S17_S18_S1B_S1C_jS1D_jS1E_S1E_jjS1G_bEUljE0_EEESZ_S10_S11_S18_S1C_S1E_T6_T7_T9_mT8_S1G_bDpT10_ENKUlT_T0_E_clISt17integral_constantIbLb1EES1T_IbLb0EEEEDaS1P_S1Q_EUlS1P_E_NS1_11comp_targetILNS1_3genE3ELNS1_11target_archE908ELNS1_3gpuE7ELNS1_3repE0EEENS1_30default_config_static_selectorELNS0_4arch9wavefront6targetE0EEEvS12_.has_dyn_sized_stack, 0
	.set _ZN7rocprim17ROCPRIM_400000_NS6detail17trampoline_kernelINS0_13select_configILj256ELj13ELNS0_17block_load_methodE3ELS4_3ELS4_3ELNS0_20block_scan_algorithmE0ELj4294967295EEENS1_25partition_config_selectorILNS1_17partition_subalgoE4EjNS0_10empty_typeEbEEZZNS1_14partition_implILS8_4ELb0ES6_15HIP_vector_typeIjLj2EENS0_17counting_iteratorIjlEEPS9_SG_NS0_5tupleIJPjSI_NS0_16reverse_iteratorISI_EEEEENSH_IJSG_SG_SG_EEES9_SI_JZNS1_25segmented_radix_sort_implINS0_14default_configELb1EPKhPhPKlPlN2at6native12_GLOBAL__N_18offset_tEEE10hipError_tPvRmT1_PNSt15iterator_traitsIS12_E10value_typeET2_T3_PNS13_IS18_E10value_typeET4_jRbjT5_S1E_jjP12ihipStream_tbEUljE_ZNSN_ISO_Lb1ESQ_SR_ST_SU_SY_EESZ_S10_S11_S12_S16_S17_S18_S1B_S1C_jS1D_jS1E_S1E_jjS1G_bEUljE0_EEESZ_S10_S11_S18_S1C_S1E_T6_T7_T9_mT8_S1G_bDpT10_ENKUlT_T0_E_clISt17integral_constantIbLb1EES1T_IbLb0EEEEDaS1P_S1Q_EUlS1P_E_NS1_11comp_targetILNS1_3genE3ELNS1_11target_archE908ELNS1_3gpuE7ELNS1_3repE0EEENS1_30default_config_static_selectorELNS0_4arch9wavefront6targetE0EEEvS12_.has_recursion, 0
	.set _ZN7rocprim17ROCPRIM_400000_NS6detail17trampoline_kernelINS0_13select_configILj256ELj13ELNS0_17block_load_methodE3ELS4_3ELS4_3ELNS0_20block_scan_algorithmE0ELj4294967295EEENS1_25partition_config_selectorILNS1_17partition_subalgoE4EjNS0_10empty_typeEbEEZZNS1_14partition_implILS8_4ELb0ES6_15HIP_vector_typeIjLj2EENS0_17counting_iteratorIjlEEPS9_SG_NS0_5tupleIJPjSI_NS0_16reverse_iteratorISI_EEEEENSH_IJSG_SG_SG_EEES9_SI_JZNS1_25segmented_radix_sort_implINS0_14default_configELb1EPKhPhPKlPlN2at6native12_GLOBAL__N_18offset_tEEE10hipError_tPvRmT1_PNSt15iterator_traitsIS12_E10value_typeET2_T3_PNS13_IS18_E10value_typeET4_jRbjT5_S1E_jjP12ihipStream_tbEUljE_ZNSN_ISO_Lb1ESQ_SR_ST_SU_SY_EESZ_S10_S11_S12_S16_S17_S18_S1B_S1C_jS1D_jS1E_S1E_jjS1G_bEUljE0_EEESZ_S10_S11_S18_S1C_S1E_T6_T7_T9_mT8_S1G_bDpT10_ENKUlT_T0_E_clISt17integral_constantIbLb1EES1T_IbLb0EEEEDaS1P_S1Q_EUlS1P_E_NS1_11comp_targetILNS1_3genE3ELNS1_11target_archE908ELNS1_3gpuE7ELNS1_3repE0EEENS1_30default_config_static_selectorELNS0_4arch9wavefront6targetE0EEEvS12_.has_indirect_call, 0
	.section	.AMDGPU.csdata,"",@progbits
; Kernel info:
; codeLenInByte = 0
; TotalNumSgprs: 0
; NumVgprs: 0
; ScratchSize: 0
; MemoryBound: 0
; FloatMode: 240
; IeeeMode: 1
; LDSByteSize: 0 bytes/workgroup (compile time only)
; SGPRBlocks: 0
; VGPRBlocks: 0
; NumSGPRsForWavesPerEU: 1
; NumVGPRsForWavesPerEU: 1
; Occupancy: 16
; WaveLimiterHint : 0
; COMPUTE_PGM_RSRC2:SCRATCH_EN: 0
; COMPUTE_PGM_RSRC2:USER_SGPR: 2
; COMPUTE_PGM_RSRC2:TRAP_HANDLER: 0
; COMPUTE_PGM_RSRC2:TGID_X_EN: 1
; COMPUTE_PGM_RSRC2:TGID_Y_EN: 0
; COMPUTE_PGM_RSRC2:TGID_Z_EN: 0
; COMPUTE_PGM_RSRC2:TIDIG_COMP_CNT: 0
	.section	.text._ZN7rocprim17ROCPRIM_400000_NS6detail17trampoline_kernelINS0_13select_configILj256ELj13ELNS0_17block_load_methodE3ELS4_3ELS4_3ELNS0_20block_scan_algorithmE0ELj4294967295EEENS1_25partition_config_selectorILNS1_17partition_subalgoE4EjNS0_10empty_typeEbEEZZNS1_14partition_implILS8_4ELb0ES6_15HIP_vector_typeIjLj2EENS0_17counting_iteratorIjlEEPS9_SG_NS0_5tupleIJPjSI_NS0_16reverse_iteratorISI_EEEEENSH_IJSG_SG_SG_EEES9_SI_JZNS1_25segmented_radix_sort_implINS0_14default_configELb1EPKhPhPKlPlN2at6native12_GLOBAL__N_18offset_tEEE10hipError_tPvRmT1_PNSt15iterator_traitsIS12_E10value_typeET2_T3_PNS13_IS18_E10value_typeET4_jRbjT5_S1E_jjP12ihipStream_tbEUljE_ZNSN_ISO_Lb1ESQ_SR_ST_SU_SY_EESZ_S10_S11_S12_S16_S17_S18_S1B_S1C_jS1D_jS1E_S1E_jjS1G_bEUljE0_EEESZ_S10_S11_S18_S1C_S1E_T6_T7_T9_mT8_S1G_bDpT10_ENKUlT_T0_E_clISt17integral_constantIbLb1EES1T_IbLb0EEEEDaS1P_S1Q_EUlS1P_E_NS1_11comp_targetILNS1_3genE2ELNS1_11target_archE906ELNS1_3gpuE6ELNS1_3repE0EEENS1_30default_config_static_selectorELNS0_4arch9wavefront6targetE0EEEvS12_,"axG",@progbits,_ZN7rocprim17ROCPRIM_400000_NS6detail17trampoline_kernelINS0_13select_configILj256ELj13ELNS0_17block_load_methodE3ELS4_3ELS4_3ELNS0_20block_scan_algorithmE0ELj4294967295EEENS1_25partition_config_selectorILNS1_17partition_subalgoE4EjNS0_10empty_typeEbEEZZNS1_14partition_implILS8_4ELb0ES6_15HIP_vector_typeIjLj2EENS0_17counting_iteratorIjlEEPS9_SG_NS0_5tupleIJPjSI_NS0_16reverse_iteratorISI_EEEEENSH_IJSG_SG_SG_EEES9_SI_JZNS1_25segmented_radix_sort_implINS0_14default_configELb1EPKhPhPKlPlN2at6native12_GLOBAL__N_18offset_tEEE10hipError_tPvRmT1_PNSt15iterator_traitsIS12_E10value_typeET2_T3_PNS13_IS18_E10value_typeET4_jRbjT5_S1E_jjP12ihipStream_tbEUljE_ZNSN_ISO_Lb1ESQ_SR_ST_SU_SY_EESZ_S10_S11_S12_S16_S17_S18_S1B_S1C_jS1D_jS1E_S1E_jjS1G_bEUljE0_EEESZ_S10_S11_S18_S1C_S1E_T6_T7_T9_mT8_S1G_bDpT10_ENKUlT_T0_E_clISt17integral_constantIbLb1EES1T_IbLb0EEEEDaS1P_S1Q_EUlS1P_E_NS1_11comp_targetILNS1_3genE2ELNS1_11target_archE906ELNS1_3gpuE6ELNS1_3repE0EEENS1_30default_config_static_selectorELNS0_4arch9wavefront6targetE0EEEvS12_,comdat
	.globl	_ZN7rocprim17ROCPRIM_400000_NS6detail17trampoline_kernelINS0_13select_configILj256ELj13ELNS0_17block_load_methodE3ELS4_3ELS4_3ELNS0_20block_scan_algorithmE0ELj4294967295EEENS1_25partition_config_selectorILNS1_17partition_subalgoE4EjNS0_10empty_typeEbEEZZNS1_14partition_implILS8_4ELb0ES6_15HIP_vector_typeIjLj2EENS0_17counting_iteratorIjlEEPS9_SG_NS0_5tupleIJPjSI_NS0_16reverse_iteratorISI_EEEEENSH_IJSG_SG_SG_EEES9_SI_JZNS1_25segmented_radix_sort_implINS0_14default_configELb1EPKhPhPKlPlN2at6native12_GLOBAL__N_18offset_tEEE10hipError_tPvRmT1_PNSt15iterator_traitsIS12_E10value_typeET2_T3_PNS13_IS18_E10value_typeET4_jRbjT5_S1E_jjP12ihipStream_tbEUljE_ZNSN_ISO_Lb1ESQ_SR_ST_SU_SY_EESZ_S10_S11_S12_S16_S17_S18_S1B_S1C_jS1D_jS1E_S1E_jjS1G_bEUljE0_EEESZ_S10_S11_S18_S1C_S1E_T6_T7_T9_mT8_S1G_bDpT10_ENKUlT_T0_E_clISt17integral_constantIbLb1EES1T_IbLb0EEEEDaS1P_S1Q_EUlS1P_E_NS1_11comp_targetILNS1_3genE2ELNS1_11target_archE906ELNS1_3gpuE6ELNS1_3repE0EEENS1_30default_config_static_selectorELNS0_4arch9wavefront6targetE0EEEvS12_ ; -- Begin function _ZN7rocprim17ROCPRIM_400000_NS6detail17trampoline_kernelINS0_13select_configILj256ELj13ELNS0_17block_load_methodE3ELS4_3ELS4_3ELNS0_20block_scan_algorithmE0ELj4294967295EEENS1_25partition_config_selectorILNS1_17partition_subalgoE4EjNS0_10empty_typeEbEEZZNS1_14partition_implILS8_4ELb0ES6_15HIP_vector_typeIjLj2EENS0_17counting_iteratorIjlEEPS9_SG_NS0_5tupleIJPjSI_NS0_16reverse_iteratorISI_EEEEENSH_IJSG_SG_SG_EEES9_SI_JZNS1_25segmented_radix_sort_implINS0_14default_configELb1EPKhPhPKlPlN2at6native12_GLOBAL__N_18offset_tEEE10hipError_tPvRmT1_PNSt15iterator_traitsIS12_E10value_typeET2_T3_PNS13_IS18_E10value_typeET4_jRbjT5_S1E_jjP12ihipStream_tbEUljE_ZNSN_ISO_Lb1ESQ_SR_ST_SU_SY_EESZ_S10_S11_S12_S16_S17_S18_S1B_S1C_jS1D_jS1E_S1E_jjS1G_bEUljE0_EEESZ_S10_S11_S18_S1C_S1E_T6_T7_T9_mT8_S1G_bDpT10_ENKUlT_T0_E_clISt17integral_constantIbLb1EES1T_IbLb0EEEEDaS1P_S1Q_EUlS1P_E_NS1_11comp_targetILNS1_3genE2ELNS1_11target_archE906ELNS1_3gpuE6ELNS1_3repE0EEENS1_30default_config_static_selectorELNS0_4arch9wavefront6targetE0EEEvS12_
	.p2align	8
	.type	_ZN7rocprim17ROCPRIM_400000_NS6detail17trampoline_kernelINS0_13select_configILj256ELj13ELNS0_17block_load_methodE3ELS4_3ELS4_3ELNS0_20block_scan_algorithmE0ELj4294967295EEENS1_25partition_config_selectorILNS1_17partition_subalgoE4EjNS0_10empty_typeEbEEZZNS1_14partition_implILS8_4ELb0ES6_15HIP_vector_typeIjLj2EENS0_17counting_iteratorIjlEEPS9_SG_NS0_5tupleIJPjSI_NS0_16reverse_iteratorISI_EEEEENSH_IJSG_SG_SG_EEES9_SI_JZNS1_25segmented_radix_sort_implINS0_14default_configELb1EPKhPhPKlPlN2at6native12_GLOBAL__N_18offset_tEEE10hipError_tPvRmT1_PNSt15iterator_traitsIS12_E10value_typeET2_T3_PNS13_IS18_E10value_typeET4_jRbjT5_S1E_jjP12ihipStream_tbEUljE_ZNSN_ISO_Lb1ESQ_SR_ST_SU_SY_EESZ_S10_S11_S12_S16_S17_S18_S1B_S1C_jS1D_jS1E_S1E_jjS1G_bEUljE0_EEESZ_S10_S11_S18_S1C_S1E_T6_T7_T9_mT8_S1G_bDpT10_ENKUlT_T0_E_clISt17integral_constantIbLb1EES1T_IbLb0EEEEDaS1P_S1Q_EUlS1P_E_NS1_11comp_targetILNS1_3genE2ELNS1_11target_archE906ELNS1_3gpuE6ELNS1_3repE0EEENS1_30default_config_static_selectorELNS0_4arch9wavefront6targetE0EEEvS12_,@function
_ZN7rocprim17ROCPRIM_400000_NS6detail17trampoline_kernelINS0_13select_configILj256ELj13ELNS0_17block_load_methodE3ELS4_3ELS4_3ELNS0_20block_scan_algorithmE0ELj4294967295EEENS1_25partition_config_selectorILNS1_17partition_subalgoE4EjNS0_10empty_typeEbEEZZNS1_14partition_implILS8_4ELb0ES6_15HIP_vector_typeIjLj2EENS0_17counting_iteratorIjlEEPS9_SG_NS0_5tupleIJPjSI_NS0_16reverse_iteratorISI_EEEEENSH_IJSG_SG_SG_EEES9_SI_JZNS1_25segmented_radix_sort_implINS0_14default_configELb1EPKhPhPKlPlN2at6native12_GLOBAL__N_18offset_tEEE10hipError_tPvRmT1_PNSt15iterator_traitsIS12_E10value_typeET2_T3_PNS13_IS18_E10value_typeET4_jRbjT5_S1E_jjP12ihipStream_tbEUljE_ZNSN_ISO_Lb1ESQ_SR_ST_SU_SY_EESZ_S10_S11_S12_S16_S17_S18_S1B_S1C_jS1D_jS1E_S1E_jjS1G_bEUljE0_EEESZ_S10_S11_S18_S1C_S1E_T6_T7_T9_mT8_S1G_bDpT10_ENKUlT_T0_E_clISt17integral_constantIbLb1EES1T_IbLb0EEEEDaS1P_S1Q_EUlS1P_E_NS1_11comp_targetILNS1_3genE2ELNS1_11target_archE906ELNS1_3gpuE6ELNS1_3repE0EEENS1_30default_config_static_selectorELNS0_4arch9wavefront6targetE0EEEvS12_: ; @_ZN7rocprim17ROCPRIM_400000_NS6detail17trampoline_kernelINS0_13select_configILj256ELj13ELNS0_17block_load_methodE3ELS4_3ELS4_3ELNS0_20block_scan_algorithmE0ELj4294967295EEENS1_25partition_config_selectorILNS1_17partition_subalgoE4EjNS0_10empty_typeEbEEZZNS1_14partition_implILS8_4ELb0ES6_15HIP_vector_typeIjLj2EENS0_17counting_iteratorIjlEEPS9_SG_NS0_5tupleIJPjSI_NS0_16reverse_iteratorISI_EEEEENSH_IJSG_SG_SG_EEES9_SI_JZNS1_25segmented_radix_sort_implINS0_14default_configELb1EPKhPhPKlPlN2at6native12_GLOBAL__N_18offset_tEEE10hipError_tPvRmT1_PNSt15iterator_traitsIS12_E10value_typeET2_T3_PNS13_IS18_E10value_typeET4_jRbjT5_S1E_jjP12ihipStream_tbEUljE_ZNSN_ISO_Lb1ESQ_SR_ST_SU_SY_EESZ_S10_S11_S12_S16_S17_S18_S1B_S1C_jS1D_jS1E_S1E_jjS1G_bEUljE0_EEESZ_S10_S11_S18_S1C_S1E_T6_T7_T9_mT8_S1G_bDpT10_ENKUlT_T0_E_clISt17integral_constantIbLb1EES1T_IbLb0EEEEDaS1P_S1Q_EUlS1P_E_NS1_11comp_targetILNS1_3genE2ELNS1_11target_archE906ELNS1_3gpuE6ELNS1_3repE0EEENS1_30default_config_static_selectorELNS0_4arch9wavefront6targetE0EEEvS12_
; %bb.0:
	.section	.rodata,"a",@progbits
	.p2align	6, 0x0
	.amdhsa_kernel _ZN7rocprim17ROCPRIM_400000_NS6detail17trampoline_kernelINS0_13select_configILj256ELj13ELNS0_17block_load_methodE3ELS4_3ELS4_3ELNS0_20block_scan_algorithmE0ELj4294967295EEENS1_25partition_config_selectorILNS1_17partition_subalgoE4EjNS0_10empty_typeEbEEZZNS1_14partition_implILS8_4ELb0ES6_15HIP_vector_typeIjLj2EENS0_17counting_iteratorIjlEEPS9_SG_NS0_5tupleIJPjSI_NS0_16reverse_iteratorISI_EEEEENSH_IJSG_SG_SG_EEES9_SI_JZNS1_25segmented_radix_sort_implINS0_14default_configELb1EPKhPhPKlPlN2at6native12_GLOBAL__N_18offset_tEEE10hipError_tPvRmT1_PNSt15iterator_traitsIS12_E10value_typeET2_T3_PNS13_IS18_E10value_typeET4_jRbjT5_S1E_jjP12ihipStream_tbEUljE_ZNSN_ISO_Lb1ESQ_SR_ST_SU_SY_EESZ_S10_S11_S12_S16_S17_S18_S1B_S1C_jS1D_jS1E_S1E_jjS1G_bEUljE0_EEESZ_S10_S11_S18_S1C_S1E_T6_T7_T9_mT8_S1G_bDpT10_ENKUlT_T0_E_clISt17integral_constantIbLb1EES1T_IbLb0EEEEDaS1P_S1Q_EUlS1P_E_NS1_11comp_targetILNS1_3genE2ELNS1_11target_archE906ELNS1_3gpuE6ELNS1_3repE0EEENS1_30default_config_static_selectorELNS0_4arch9wavefront6targetE0EEEvS12_
		.amdhsa_group_segment_fixed_size 0
		.amdhsa_private_segment_fixed_size 0
		.amdhsa_kernarg_size 176
		.amdhsa_user_sgpr_count 2
		.amdhsa_user_sgpr_dispatch_ptr 0
		.amdhsa_user_sgpr_queue_ptr 0
		.amdhsa_user_sgpr_kernarg_segment_ptr 1
		.amdhsa_user_sgpr_dispatch_id 0
		.amdhsa_user_sgpr_private_segment_size 0
		.amdhsa_wavefront_size32 1
		.amdhsa_uses_dynamic_stack 0
		.amdhsa_enable_private_segment 0
		.amdhsa_system_sgpr_workgroup_id_x 1
		.amdhsa_system_sgpr_workgroup_id_y 0
		.amdhsa_system_sgpr_workgroup_id_z 0
		.amdhsa_system_sgpr_workgroup_info 0
		.amdhsa_system_vgpr_workitem_id 0
		.amdhsa_next_free_vgpr 1
		.amdhsa_next_free_sgpr 1
		.amdhsa_reserve_vcc 0
		.amdhsa_float_round_mode_32 0
		.amdhsa_float_round_mode_16_64 0
		.amdhsa_float_denorm_mode_32 3
		.amdhsa_float_denorm_mode_16_64 3
		.amdhsa_fp16_overflow 0
		.amdhsa_workgroup_processor_mode 1
		.amdhsa_memory_ordered 1
		.amdhsa_forward_progress 1
		.amdhsa_inst_pref_size 0
		.amdhsa_round_robin_scheduling 0
		.amdhsa_exception_fp_ieee_invalid_op 0
		.amdhsa_exception_fp_denorm_src 0
		.amdhsa_exception_fp_ieee_div_zero 0
		.amdhsa_exception_fp_ieee_overflow 0
		.amdhsa_exception_fp_ieee_underflow 0
		.amdhsa_exception_fp_ieee_inexact 0
		.amdhsa_exception_int_div_zero 0
	.end_amdhsa_kernel
	.section	.text._ZN7rocprim17ROCPRIM_400000_NS6detail17trampoline_kernelINS0_13select_configILj256ELj13ELNS0_17block_load_methodE3ELS4_3ELS4_3ELNS0_20block_scan_algorithmE0ELj4294967295EEENS1_25partition_config_selectorILNS1_17partition_subalgoE4EjNS0_10empty_typeEbEEZZNS1_14partition_implILS8_4ELb0ES6_15HIP_vector_typeIjLj2EENS0_17counting_iteratorIjlEEPS9_SG_NS0_5tupleIJPjSI_NS0_16reverse_iteratorISI_EEEEENSH_IJSG_SG_SG_EEES9_SI_JZNS1_25segmented_radix_sort_implINS0_14default_configELb1EPKhPhPKlPlN2at6native12_GLOBAL__N_18offset_tEEE10hipError_tPvRmT1_PNSt15iterator_traitsIS12_E10value_typeET2_T3_PNS13_IS18_E10value_typeET4_jRbjT5_S1E_jjP12ihipStream_tbEUljE_ZNSN_ISO_Lb1ESQ_SR_ST_SU_SY_EESZ_S10_S11_S12_S16_S17_S18_S1B_S1C_jS1D_jS1E_S1E_jjS1G_bEUljE0_EEESZ_S10_S11_S18_S1C_S1E_T6_T7_T9_mT8_S1G_bDpT10_ENKUlT_T0_E_clISt17integral_constantIbLb1EES1T_IbLb0EEEEDaS1P_S1Q_EUlS1P_E_NS1_11comp_targetILNS1_3genE2ELNS1_11target_archE906ELNS1_3gpuE6ELNS1_3repE0EEENS1_30default_config_static_selectorELNS0_4arch9wavefront6targetE0EEEvS12_,"axG",@progbits,_ZN7rocprim17ROCPRIM_400000_NS6detail17trampoline_kernelINS0_13select_configILj256ELj13ELNS0_17block_load_methodE3ELS4_3ELS4_3ELNS0_20block_scan_algorithmE0ELj4294967295EEENS1_25partition_config_selectorILNS1_17partition_subalgoE4EjNS0_10empty_typeEbEEZZNS1_14partition_implILS8_4ELb0ES6_15HIP_vector_typeIjLj2EENS0_17counting_iteratorIjlEEPS9_SG_NS0_5tupleIJPjSI_NS0_16reverse_iteratorISI_EEEEENSH_IJSG_SG_SG_EEES9_SI_JZNS1_25segmented_radix_sort_implINS0_14default_configELb1EPKhPhPKlPlN2at6native12_GLOBAL__N_18offset_tEEE10hipError_tPvRmT1_PNSt15iterator_traitsIS12_E10value_typeET2_T3_PNS13_IS18_E10value_typeET4_jRbjT5_S1E_jjP12ihipStream_tbEUljE_ZNSN_ISO_Lb1ESQ_SR_ST_SU_SY_EESZ_S10_S11_S12_S16_S17_S18_S1B_S1C_jS1D_jS1E_S1E_jjS1G_bEUljE0_EEESZ_S10_S11_S18_S1C_S1E_T6_T7_T9_mT8_S1G_bDpT10_ENKUlT_T0_E_clISt17integral_constantIbLb1EES1T_IbLb0EEEEDaS1P_S1Q_EUlS1P_E_NS1_11comp_targetILNS1_3genE2ELNS1_11target_archE906ELNS1_3gpuE6ELNS1_3repE0EEENS1_30default_config_static_selectorELNS0_4arch9wavefront6targetE0EEEvS12_,comdat
.Lfunc_end34:
	.size	_ZN7rocprim17ROCPRIM_400000_NS6detail17trampoline_kernelINS0_13select_configILj256ELj13ELNS0_17block_load_methodE3ELS4_3ELS4_3ELNS0_20block_scan_algorithmE0ELj4294967295EEENS1_25partition_config_selectorILNS1_17partition_subalgoE4EjNS0_10empty_typeEbEEZZNS1_14partition_implILS8_4ELb0ES6_15HIP_vector_typeIjLj2EENS0_17counting_iteratorIjlEEPS9_SG_NS0_5tupleIJPjSI_NS0_16reverse_iteratorISI_EEEEENSH_IJSG_SG_SG_EEES9_SI_JZNS1_25segmented_radix_sort_implINS0_14default_configELb1EPKhPhPKlPlN2at6native12_GLOBAL__N_18offset_tEEE10hipError_tPvRmT1_PNSt15iterator_traitsIS12_E10value_typeET2_T3_PNS13_IS18_E10value_typeET4_jRbjT5_S1E_jjP12ihipStream_tbEUljE_ZNSN_ISO_Lb1ESQ_SR_ST_SU_SY_EESZ_S10_S11_S12_S16_S17_S18_S1B_S1C_jS1D_jS1E_S1E_jjS1G_bEUljE0_EEESZ_S10_S11_S18_S1C_S1E_T6_T7_T9_mT8_S1G_bDpT10_ENKUlT_T0_E_clISt17integral_constantIbLb1EES1T_IbLb0EEEEDaS1P_S1Q_EUlS1P_E_NS1_11comp_targetILNS1_3genE2ELNS1_11target_archE906ELNS1_3gpuE6ELNS1_3repE0EEENS1_30default_config_static_selectorELNS0_4arch9wavefront6targetE0EEEvS12_, .Lfunc_end34-_ZN7rocprim17ROCPRIM_400000_NS6detail17trampoline_kernelINS0_13select_configILj256ELj13ELNS0_17block_load_methodE3ELS4_3ELS4_3ELNS0_20block_scan_algorithmE0ELj4294967295EEENS1_25partition_config_selectorILNS1_17partition_subalgoE4EjNS0_10empty_typeEbEEZZNS1_14partition_implILS8_4ELb0ES6_15HIP_vector_typeIjLj2EENS0_17counting_iteratorIjlEEPS9_SG_NS0_5tupleIJPjSI_NS0_16reverse_iteratorISI_EEEEENSH_IJSG_SG_SG_EEES9_SI_JZNS1_25segmented_radix_sort_implINS0_14default_configELb1EPKhPhPKlPlN2at6native12_GLOBAL__N_18offset_tEEE10hipError_tPvRmT1_PNSt15iterator_traitsIS12_E10value_typeET2_T3_PNS13_IS18_E10value_typeET4_jRbjT5_S1E_jjP12ihipStream_tbEUljE_ZNSN_ISO_Lb1ESQ_SR_ST_SU_SY_EESZ_S10_S11_S12_S16_S17_S18_S1B_S1C_jS1D_jS1E_S1E_jjS1G_bEUljE0_EEESZ_S10_S11_S18_S1C_S1E_T6_T7_T9_mT8_S1G_bDpT10_ENKUlT_T0_E_clISt17integral_constantIbLb1EES1T_IbLb0EEEEDaS1P_S1Q_EUlS1P_E_NS1_11comp_targetILNS1_3genE2ELNS1_11target_archE906ELNS1_3gpuE6ELNS1_3repE0EEENS1_30default_config_static_selectorELNS0_4arch9wavefront6targetE0EEEvS12_
                                        ; -- End function
	.set _ZN7rocprim17ROCPRIM_400000_NS6detail17trampoline_kernelINS0_13select_configILj256ELj13ELNS0_17block_load_methodE3ELS4_3ELS4_3ELNS0_20block_scan_algorithmE0ELj4294967295EEENS1_25partition_config_selectorILNS1_17partition_subalgoE4EjNS0_10empty_typeEbEEZZNS1_14partition_implILS8_4ELb0ES6_15HIP_vector_typeIjLj2EENS0_17counting_iteratorIjlEEPS9_SG_NS0_5tupleIJPjSI_NS0_16reverse_iteratorISI_EEEEENSH_IJSG_SG_SG_EEES9_SI_JZNS1_25segmented_radix_sort_implINS0_14default_configELb1EPKhPhPKlPlN2at6native12_GLOBAL__N_18offset_tEEE10hipError_tPvRmT1_PNSt15iterator_traitsIS12_E10value_typeET2_T3_PNS13_IS18_E10value_typeET4_jRbjT5_S1E_jjP12ihipStream_tbEUljE_ZNSN_ISO_Lb1ESQ_SR_ST_SU_SY_EESZ_S10_S11_S12_S16_S17_S18_S1B_S1C_jS1D_jS1E_S1E_jjS1G_bEUljE0_EEESZ_S10_S11_S18_S1C_S1E_T6_T7_T9_mT8_S1G_bDpT10_ENKUlT_T0_E_clISt17integral_constantIbLb1EES1T_IbLb0EEEEDaS1P_S1Q_EUlS1P_E_NS1_11comp_targetILNS1_3genE2ELNS1_11target_archE906ELNS1_3gpuE6ELNS1_3repE0EEENS1_30default_config_static_selectorELNS0_4arch9wavefront6targetE0EEEvS12_.num_vgpr, 0
	.set _ZN7rocprim17ROCPRIM_400000_NS6detail17trampoline_kernelINS0_13select_configILj256ELj13ELNS0_17block_load_methodE3ELS4_3ELS4_3ELNS0_20block_scan_algorithmE0ELj4294967295EEENS1_25partition_config_selectorILNS1_17partition_subalgoE4EjNS0_10empty_typeEbEEZZNS1_14partition_implILS8_4ELb0ES6_15HIP_vector_typeIjLj2EENS0_17counting_iteratorIjlEEPS9_SG_NS0_5tupleIJPjSI_NS0_16reverse_iteratorISI_EEEEENSH_IJSG_SG_SG_EEES9_SI_JZNS1_25segmented_radix_sort_implINS0_14default_configELb1EPKhPhPKlPlN2at6native12_GLOBAL__N_18offset_tEEE10hipError_tPvRmT1_PNSt15iterator_traitsIS12_E10value_typeET2_T3_PNS13_IS18_E10value_typeET4_jRbjT5_S1E_jjP12ihipStream_tbEUljE_ZNSN_ISO_Lb1ESQ_SR_ST_SU_SY_EESZ_S10_S11_S12_S16_S17_S18_S1B_S1C_jS1D_jS1E_S1E_jjS1G_bEUljE0_EEESZ_S10_S11_S18_S1C_S1E_T6_T7_T9_mT8_S1G_bDpT10_ENKUlT_T0_E_clISt17integral_constantIbLb1EES1T_IbLb0EEEEDaS1P_S1Q_EUlS1P_E_NS1_11comp_targetILNS1_3genE2ELNS1_11target_archE906ELNS1_3gpuE6ELNS1_3repE0EEENS1_30default_config_static_selectorELNS0_4arch9wavefront6targetE0EEEvS12_.num_agpr, 0
	.set _ZN7rocprim17ROCPRIM_400000_NS6detail17trampoline_kernelINS0_13select_configILj256ELj13ELNS0_17block_load_methodE3ELS4_3ELS4_3ELNS0_20block_scan_algorithmE0ELj4294967295EEENS1_25partition_config_selectorILNS1_17partition_subalgoE4EjNS0_10empty_typeEbEEZZNS1_14partition_implILS8_4ELb0ES6_15HIP_vector_typeIjLj2EENS0_17counting_iteratorIjlEEPS9_SG_NS0_5tupleIJPjSI_NS0_16reverse_iteratorISI_EEEEENSH_IJSG_SG_SG_EEES9_SI_JZNS1_25segmented_radix_sort_implINS0_14default_configELb1EPKhPhPKlPlN2at6native12_GLOBAL__N_18offset_tEEE10hipError_tPvRmT1_PNSt15iterator_traitsIS12_E10value_typeET2_T3_PNS13_IS18_E10value_typeET4_jRbjT5_S1E_jjP12ihipStream_tbEUljE_ZNSN_ISO_Lb1ESQ_SR_ST_SU_SY_EESZ_S10_S11_S12_S16_S17_S18_S1B_S1C_jS1D_jS1E_S1E_jjS1G_bEUljE0_EEESZ_S10_S11_S18_S1C_S1E_T6_T7_T9_mT8_S1G_bDpT10_ENKUlT_T0_E_clISt17integral_constantIbLb1EES1T_IbLb0EEEEDaS1P_S1Q_EUlS1P_E_NS1_11comp_targetILNS1_3genE2ELNS1_11target_archE906ELNS1_3gpuE6ELNS1_3repE0EEENS1_30default_config_static_selectorELNS0_4arch9wavefront6targetE0EEEvS12_.numbered_sgpr, 0
	.set _ZN7rocprim17ROCPRIM_400000_NS6detail17trampoline_kernelINS0_13select_configILj256ELj13ELNS0_17block_load_methodE3ELS4_3ELS4_3ELNS0_20block_scan_algorithmE0ELj4294967295EEENS1_25partition_config_selectorILNS1_17partition_subalgoE4EjNS0_10empty_typeEbEEZZNS1_14partition_implILS8_4ELb0ES6_15HIP_vector_typeIjLj2EENS0_17counting_iteratorIjlEEPS9_SG_NS0_5tupleIJPjSI_NS0_16reverse_iteratorISI_EEEEENSH_IJSG_SG_SG_EEES9_SI_JZNS1_25segmented_radix_sort_implINS0_14default_configELb1EPKhPhPKlPlN2at6native12_GLOBAL__N_18offset_tEEE10hipError_tPvRmT1_PNSt15iterator_traitsIS12_E10value_typeET2_T3_PNS13_IS18_E10value_typeET4_jRbjT5_S1E_jjP12ihipStream_tbEUljE_ZNSN_ISO_Lb1ESQ_SR_ST_SU_SY_EESZ_S10_S11_S12_S16_S17_S18_S1B_S1C_jS1D_jS1E_S1E_jjS1G_bEUljE0_EEESZ_S10_S11_S18_S1C_S1E_T6_T7_T9_mT8_S1G_bDpT10_ENKUlT_T0_E_clISt17integral_constantIbLb1EES1T_IbLb0EEEEDaS1P_S1Q_EUlS1P_E_NS1_11comp_targetILNS1_3genE2ELNS1_11target_archE906ELNS1_3gpuE6ELNS1_3repE0EEENS1_30default_config_static_selectorELNS0_4arch9wavefront6targetE0EEEvS12_.num_named_barrier, 0
	.set _ZN7rocprim17ROCPRIM_400000_NS6detail17trampoline_kernelINS0_13select_configILj256ELj13ELNS0_17block_load_methodE3ELS4_3ELS4_3ELNS0_20block_scan_algorithmE0ELj4294967295EEENS1_25partition_config_selectorILNS1_17partition_subalgoE4EjNS0_10empty_typeEbEEZZNS1_14partition_implILS8_4ELb0ES6_15HIP_vector_typeIjLj2EENS0_17counting_iteratorIjlEEPS9_SG_NS0_5tupleIJPjSI_NS0_16reverse_iteratorISI_EEEEENSH_IJSG_SG_SG_EEES9_SI_JZNS1_25segmented_radix_sort_implINS0_14default_configELb1EPKhPhPKlPlN2at6native12_GLOBAL__N_18offset_tEEE10hipError_tPvRmT1_PNSt15iterator_traitsIS12_E10value_typeET2_T3_PNS13_IS18_E10value_typeET4_jRbjT5_S1E_jjP12ihipStream_tbEUljE_ZNSN_ISO_Lb1ESQ_SR_ST_SU_SY_EESZ_S10_S11_S12_S16_S17_S18_S1B_S1C_jS1D_jS1E_S1E_jjS1G_bEUljE0_EEESZ_S10_S11_S18_S1C_S1E_T6_T7_T9_mT8_S1G_bDpT10_ENKUlT_T0_E_clISt17integral_constantIbLb1EES1T_IbLb0EEEEDaS1P_S1Q_EUlS1P_E_NS1_11comp_targetILNS1_3genE2ELNS1_11target_archE906ELNS1_3gpuE6ELNS1_3repE0EEENS1_30default_config_static_selectorELNS0_4arch9wavefront6targetE0EEEvS12_.private_seg_size, 0
	.set _ZN7rocprim17ROCPRIM_400000_NS6detail17trampoline_kernelINS0_13select_configILj256ELj13ELNS0_17block_load_methodE3ELS4_3ELS4_3ELNS0_20block_scan_algorithmE0ELj4294967295EEENS1_25partition_config_selectorILNS1_17partition_subalgoE4EjNS0_10empty_typeEbEEZZNS1_14partition_implILS8_4ELb0ES6_15HIP_vector_typeIjLj2EENS0_17counting_iteratorIjlEEPS9_SG_NS0_5tupleIJPjSI_NS0_16reverse_iteratorISI_EEEEENSH_IJSG_SG_SG_EEES9_SI_JZNS1_25segmented_radix_sort_implINS0_14default_configELb1EPKhPhPKlPlN2at6native12_GLOBAL__N_18offset_tEEE10hipError_tPvRmT1_PNSt15iterator_traitsIS12_E10value_typeET2_T3_PNS13_IS18_E10value_typeET4_jRbjT5_S1E_jjP12ihipStream_tbEUljE_ZNSN_ISO_Lb1ESQ_SR_ST_SU_SY_EESZ_S10_S11_S12_S16_S17_S18_S1B_S1C_jS1D_jS1E_S1E_jjS1G_bEUljE0_EEESZ_S10_S11_S18_S1C_S1E_T6_T7_T9_mT8_S1G_bDpT10_ENKUlT_T0_E_clISt17integral_constantIbLb1EES1T_IbLb0EEEEDaS1P_S1Q_EUlS1P_E_NS1_11comp_targetILNS1_3genE2ELNS1_11target_archE906ELNS1_3gpuE6ELNS1_3repE0EEENS1_30default_config_static_selectorELNS0_4arch9wavefront6targetE0EEEvS12_.uses_vcc, 0
	.set _ZN7rocprim17ROCPRIM_400000_NS6detail17trampoline_kernelINS0_13select_configILj256ELj13ELNS0_17block_load_methodE3ELS4_3ELS4_3ELNS0_20block_scan_algorithmE0ELj4294967295EEENS1_25partition_config_selectorILNS1_17partition_subalgoE4EjNS0_10empty_typeEbEEZZNS1_14partition_implILS8_4ELb0ES6_15HIP_vector_typeIjLj2EENS0_17counting_iteratorIjlEEPS9_SG_NS0_5tupleIJPjSI_NS0_16reverse_iteratorISI_EEEEENSH_IJSG_SG_SG_EEES9_SI_JZNS1_25segmented_radix_sort_implINS0_14default_configELb1EPKhPhPKlPlN2at6native12_GLOBAL__N_18offset_tEEE10hipError_tPvRmT1_PNSt15iterator_traitsIS12_E10value_typeET2_T3_PNS13_IS18_E10value_typeET4_jRbjT5_S1E_jjP12ihipStream_tbEUljE_ZNSN_ISO_Lb1ESQ_SR_ST_SU_SY_EESZ_S10_S11_S12_S16_S17_S18_S1B_S1C_jS1D_jS1E_S1E_jjS1G_bEUljE0_EEESZ_S10_S11_S18_S1C_S1E_T6_T7_T9_mT8_S1G_bDpT10_ENKUlT_T0_E_clISt17integral_constantIbLb1EES1T_IbLb0EEEEDaS1P_S1Q_EUlS1P_E_NS1_11comp_targetILNS1_3genE2ELNS1_11target_archE906ELNS1_3gpuE6ELNS1_3repE0EEENS1_30default_config_static_selectorELNS0_4arch9wavefront6targetE0EEEvS12_.uses_flat_scratch, 0
	.set _ZN7rocprim17ROCPRIM_400000_NS6detail17trampoline_kernelINS0_13select_configILj256ELj13ELNS0_17block_load_methodE3ELS4_3ELS4_3ELNS0_20block_scan_algorithmE0ELj4294967295EEENS1_25partition_config_selectorILNS1_17partition_subalgoE4EjNS0_10empty_typeEbEEZZNS1_14partition_implILS8_4ELb0ES6_15HIP_vector_typeIjLj2EENS0_17counting_iteratorIjlEEPS9_SG_NS0_5tupleIJPjSI_NS0_16reverse_iteratorISI_EEEEENSH_IJSG_SG_SG_EEES9_SI_JZNS1_25segmented_radix_sort_implINS0_14default_configELb1EPKhPhPKlPlN2at6native12_GLOBAL__N_18offset_tEEE10hipError_tPvRmT1_PNSt15iterator_traitsIS12_E10value_typeET2_T3_PNS13_IS18_E10value_typeET4_jRbjT5_S1E_jjP12ihipStream_tbEUljE_ZNSN_ISO_Lb1ESQ_SR_ST_SU_SY_EESZ_S10_S11_S12_S16_S17_S18_S1B_S1C_jS1D_jS1E_S1E_jjS1G_bEUljE0_EEESZ_S10_S11_S18_S1C_S1E_T6_T7_T9_mT8_S1G_bDpT10_ENKUlT_T0_E_clISt17integral_constantIbLb1EES1T_IbLb0EEEEDaS1P_S1Q_EUlS1P_E_NS1_11comp_targetILNS1_3genE2ELNS1_11target_archE906ELNS1_3gpuE6ELNS1_3repE0EEENS1_30default_config_static_selectorELNS0_4arch9wavefront6targetE0EEEvS12_.has_dyn_sized_stack, 0
	.set _ZN7rocprim17ROCPRIM_400000_NS6detail17trampoline_kernelINS0_13select_configILj256ELj13ELNS0_17block_load_methodE3ELS4_3ELS4_3ELNS0_20block_scan_algorithmE0ELj4294967295EEENS1_25partition_config_selectorILNS1_17partition_subalgoE4EjNS0_10empty_typeEbEEZZNS1_14partition_implILS8_4ELb0ES6_15HIP_vector_typeIjLj2EENS0_17counting_iteratorIjlEEPS9_SG_NS0_5tupleIJPjSI_NS0_16reverse_iteratorISI_EEEEENSH_IJSG_SG_SG_EEES9_SI_JZNS1_25segmented_radix_sort_implINS0_14default_configELb1EPKhPhPKlPlN2at6native12_GLOBAL__N_18offset_tEEE10hipError_tPvRmT1_PNSt15iterator_traitsIS12_E10value_typeET2_T3_PNS13_IS18_E10value_typeET4_jRbjT5_S1E_jjP12ihipStream_tbEUljE_ZNSN_ISO_Lb1ESQ_SR_ST_SU_SY_EESZ_S10_S11_S12_S16_S17_S18_S1B_S1C_jS1D_jS1E_S1E_jjS1G_bEUljE0_EEESZ_S10_S11_S18_S1C_S1E_T6_T7_T9_mT8_S1G_bDpT10_ENKUlT_T0_E_clISt17integral_constantIbLb1EES1T_IbLb0EEEEDaS1P_S1Q_EUlS1P_E_NS1_11comp_targetILNS1_3genE2ELNS1_11target_archE906ELNS1_3gpuE6ELNS1_3repE0EEENS1_30default_config_static_selectorELNS0_4arch9wavefront6targetE0EEEvS12_.has_recursion, 0
	.set _ZN7rocprim17ROCPRIM_400000_NS6detail17trampoline_kernelINS0_13select_configILj256ELj13ELNS0_17block_load_methodE3ELS4_3ELS4_3ELNS0_20block_scan_algorithmE0ELj4294967295EEENS1_25partition_config_selectorILNS1_17partition_subalgoE4EjNS0_10empty_typeEbEEZZNS1_14partition_implILS8_4ELb0ES6_15HIP_vector_typeIjLj2EENS0_17counting_iteratorIjlEEPS9_SG_NS0_5tupleIJPjSI_NS0_16reverse_iteratorISI_EEEEENSH_IJSG_SG_SG_EEES9_SI_JZNS1_25segmented_radix_sort_implINS0_14default_configELb1EPKhPhPKlPlN2at6native12_GLOBAL__N_18offset_tEEE10hipError_tPvRmT1_PNSt15iterator_traitsIS12_E10value_typeET2_T3_PNS13_IS18_E10value_typeET4_jRbjT5_S1E_jjP12ihipStream_tbEUljE_ZNSN_ISO_Lb1ESQ_SR_ST_SU_SY_EESZ_S10_S11_S12_S16_S17_S18_S1B_S1C_jS1D_jS1E_S1E_jjS1G_bEUljE0_EEESZ_S10_S11_S18_S1C_S1E_T6_T7_T9_mT8_S1G_bDpT10_ENKUlT_T0_E_clISt17integral_constantIbLb1EES1T_IbLb0EEEEDaS1P_S1Q_EUlS1P_E_NS1_11comp_targetILNS1_3genE2ELNS1_11target_archE906ELNS1_3gpuE6ELNS1_3repE0EEENS1_30default_config_static_selectorELNS0_4arch9wavefront6targetE0EEEvS12_.has_indirect_call, 0
	.section	.AMDGPU.csdata,"",@progbits
; Kernel info:
; codeLenInByte = 0
; TotalNumSgprs: 0
; NumVgprs: 0
; ScratchSize: 0
; MemoryBound: 0
; FloatMode: 240
; IeeeMode: 1
; LDSByteSize: 0 bytes/workgroup (compile time only)
; SGPRBlocks: 0
; VGPRBlocks: 0
; NumSGPRsForWavesPerEU: 1
; NumVGPRsForWavesPerEU: 1
; Occupancy: 16
; WaveLimiterHint : 0
; COMPUTE_PGM_RSRC2:SCRATCH_EN: 0
; COMPUTE_PGM_RSRC2:USER_SGPR: 2
; COMPUTE_PGM_RSRC2:TRAP_HANDLER: 0
; COMPUTE_PGM_RSRC2:TGID_X_EN: 1
; COMPUTE_PGM_RSRC2:TGID_Y_EN: 0
; COMPUTE_PGM_RSRC2:TGID_Z_EN: 0
; COMPUTE_PGM_RSRC2:TIDIG_COMP_CNT: 0
	.section	.text._ZN7rocprim17ROCPRIM_400000_NS6detail17trampoline_kernelINS0_13select_configILj256ELj13ELNS0_17block_load_methodE3ELS4_3ELS4_3ELNS0_20block_scan_algorithmE0ELj4294967295EEENS1_25partition_config_selectorILNS1_17partition_subalgoE4EjNS0_10empty_typeEbEEZZNS1_14partition_implILS8_4ELb0ES6_15HIP_vector_typeIjLj2EENS0_17counting_iteratorIjlEEPS9_SG_NS0_5tupleIJPjSI_NS0_16reverse_iteratorISI_EEEEENSH_IJSG_SG_SG_EEES9_SI_JZNS1_25segmented_radix_sort_implINS0_14default_configELb1EPKhPhPKlPlN2at6native12_GLOBAL__N_18offset_tEEE10hipError_tPvRmT1_PNSt15iterator_traitsIS12_E10value_typeET2_T3_PNS13_IS18_E10value_typeET4_jRbjT5_S1E_jjP12ihipStream_tbEUljE_ZNSN_ISO_Lb1ESQ_SR_ST_SU_SY_EESZ_S10_S11_S12_S16_S17_S18_S1B_S1C_jS1D_jS1E_S1E_jjS1G_bEUljE0_EEESZ_S10_S11_S18_S1C_S1E_T6_T7_T9_mT8_S1G_bDpT10_ENKUlT_T0_E_clISt17integral_constantIbLb1EES1T_IbLb0EEEEDaS1P_S1Q_EUlS1P_E_NS1_11comp_targetILNS1_3genE10ELNS1_11target_archE1200ELNS1_3gpuE4ELNS1_3repE0EEENS1_30default_config_static_selectorELNS0_4arch9wavefront6targetE0EEEvS12_,"axG",@progbits,_ZN7rocprim17ROCPRIM_400000_NS6detail17trampoline_kernelINS0_13select_configILj256ELj13ELNS0_17block_load_methodE3ELS4_3ELS4_3ELNS0_20block_scan_algorithmE0ELj4294967295EEENS1_25partition_config_selectorILNS1_17partition_subalgoE4EjNS0_10empty_typeEbEEZZNS1_14partition_implILS8_4ELb0ES6_15HIP_vector_typeIjLj2EENS0_17counting_iteratorIjlEEPS9_SG_NS0_5tupleIJPjSI_NS0_16reverse_iteratorISI_EEEEENSH_IJSG_SG_SG_EEES9_SI_JZNS1_25segmented_radix_sort_implINS0_14default_configELb1EPKhPhPKlPlN2at6native12_GLOBAL__N_18offset_tEEE10hipError_tPvRmT1_PNSt15iterator_traitsIS12_E10value_typeET2_T3_PNS13_IS18_E10value_typeET4_jRbjT5_S1E_jjP12ihipStream_tbEUljE_ZNSN_ISO_Lb1ESQ_SR_ST_SU_SY_EESZ_S10_S11_S12_S16_S17_S18_S1B_S1C_jS1D_jS1E_S1E_jjS1G_bEUljE0_EEESZ_S10_S11_S18_S1C_S1E_T6_T7_T9_mT8_S1G_bDpT10_ENKUlT_T0_E_clISt17integral_constantIbLb1EES1T_IbLb0EEEEDaS1P_S1Q_EUlS1P_E_NS1_11comp_targetILNS1_3genE10ELNS1_11target_archE1200ELNS1_3gpuE4ELNS1_3repE0EEENS1_30default_config_static_selectorELNS0_4arch9wavefront6targetE0EEEvS12_,comdat
	.globl	_ZN7rocprim17ROCPRIM_400000_NS6detail17trampoline_kernelINS0_13select_configILj256ELj13ELNS0_17block_load_methodE3ELS4_3ELS4_3ELNS0_20block_scan_algorithmE0ELj4294967295EEENS1_25partition_config_selectorILNS1_17partition_subalgoE4EjNS0_10empty_typeEbEEZZNS1_14partition_implILS8_4ELb0ES6_15HIP_vector_typeIjLj2EENS0_17counting_iteratorIjlEEPS9_SG_NS0_5tupleIJPjSI_NS0_16reverse_iteratorISI_EEEEENSH_IJSG_SG_SG_EEES9_SI_JZNS1_25segmented_radix_sort_implINS0_14default_configELb1EPKhPhPKlPlN2at6native12_GLOBAL__N_18offset_tEEE10hipError_tPvRmT1_PNSt15iterator_traitsIS12_E10value_typeET2_T3_PNS13_IS18_E10value_typeET4_jRbjT5_S1E_jjP12ihipStream_tbEUljE_ZNSN_ISO_Lb1ESQ_SR_ST_SU_SY_EESZ_S10_S11_S12_S16_S17_S18_S1B_S1C_jS1D_jS1E_S1E_jjS1G_bEUljE0_EEESZ_S10_S11_S18_S1C_S1E_T6_T7_T9_mT8_S1G_bDpT10_ENKUlT_T0_E_clISt17integral_constantIbLb1EES1T_IbLb0EEEEDaS1P_S1Q_EUlS1P_E_NS1_11comp_targetILNS1_3genE10ELNS1_11target_archE1200ELNS1_3gpuE4ELNS1_3repE0EEENS1_30default_config_static_selectorELNS0_4arch9wavefront6targetE0EEEvS12_ ; -- Begin function _ZN7rocprim17ROCPRIM_400000_NS6detail17trampoline_kernelINS0_13select_configILj256ELj13ELNS0_17block_load_methodE3ELS4_3ELS4_3ELNS0_20block_scan_algorithmE0ELj4294967295EEENS1_25partition_config_selectorILNS1_17partition_subalgoE4EjNS0_10empty_typeEbEEZZNS1_14partition_implILS8_4ELb0ES6_15HIP_vector_typeIjLj2EENS0_17counting_iteratorIjlEEPS9_SG_NS0_5tupleIJPjSI_NS0_16reverse_iteratorISI_EEEEENSH_IJSG_SG_SG_EEES9_SI_JZNS1_25segmented_radix_sort_implINS0_14default_configELb1EPKhPhPKlPlN2at6native12_GLOBAL__N_18offset_tEEE10hipError_tPvRmT1_PNSt15iterator_traitsIS12_E10value_typeET2_T3_PNS13_IS18_E10value_typeET4_jRbjT5_S1E_jjP12ihipStream_tbEUljE_ZNSN_ISO_Lb1ESQ_SR_ST_SU_SY_EESZ_S10_S11_S12_S16_S17_S18_S1B_S1C_jS1D_jS1E_S1E_jjS1G_bEUljE0_EEESZ_S10_S11_S18_S1C_S1E_T6_T7_T9_mT8_S1G_bDpT10_ENKUlT_T0_E_clISt17integral_constantIbLb1EES1T_IbLb0EEEEDaS1P_S1Q_EUlS1P_E_NS1_11comp_targetILNS1_3genE10ELNS1_11target_archE1200ELNS1_3gpuE4ELNS1_3repE0EEENS1_30default_config_static_selectorELNS0_4arch9wavefront6targetE0EEEvS12_
	.p2align	8
	.type	_ZN7rocprim17ROCPRIM_400000_NS6detail17trampoline_kernelINS0_13select_configILj256ELj13ELNS0_17block_load_methodE3ELS4_3ELS4_3ELNS0_20block_scan_algorithmE0ELj4294967295EEENS1_25partition_config_selectorILNS1_17partition_subalgoE4EjNS0_10empty_typeEbEEZZNS1_14partition_implILS8_4ELb0ES6_15HIP_vector_typeIjLj2EENS0_17counting_iteratorIjlEEPS9_SG_NS0_5tupleIJPjSI_NS0_16reverse_iteratorISI_EEEEENSH_IJSG_SG_SG_EEES9_SI_JZNS1_25segmented_radix_sort_implINS0_14default_configELb1EPKhPhPKlPlN2at6native12_GLOBAL__N_18offset_tEEE10hipError_tPvRmT1_PNSt15iterator_traitsIS12_E10value_typeET2_T3_PNS13_IS18_E10value_typeET4_jRbjT5_S1E_jjP12ihipStream_tbEUljE_ZNSN_ISO_Lb1ESQ_SR_ST_SU_SY_EESZ_S10_S11_S12_S16_S17_S18_S1B_S1C_jS1D_jS1E_S1E_jjS1G_bEUljE0_EEESZ_S10_S11_S18_S1C_S1E_T6_T7_T9_mT8_S1G_bDpT10_ENKUlT_T0_E_clISt17integral_constantIbLb1EES1T_IbLb0EEEEDaS1P_S1Q_EUlS1P_E_NS1_11comp_targetILNS1_3genE10ELNS1_11target_archE1200ELNS1_3gpuE4ELNS1_3repE0EEENS1_30default_config_static_selectorELNS0_4arch9wavefront6targetE0EEEvS12_,@function
_ZN7rocprim17ROCPRIM_400000_NS6detail17trampoline_kernelINS0_13select_configILj256ELj13ELNS0_17block_load_methodE3ELS4_3ELS4_3ELNS0_20block_scan_algorithmE0ELj4294967295EEENS1_25partition_config_selectorILNS1_17partition_subalgoE4EjNS0_10empty_typeEbEEZZNS1_14partition_implILS8_4ELb0ES6_15HIP_vector_typeIjLj2EENS0_17counting_iteratorIjlEEPS9_SG_NS0_5tupleIJPjSI_NS0_16reverse_iteratorISI_EEEEENSH_IJSG_SG_SG_EEES9_SI_JZNS1_25segmented_radix_sort_implINS0_14default_configELb1EPKhPhPKlPlN2at6native12_GLOBAL__N_18offset_tEEE10hipError_tPvRmT1_PNSt15iterator_traitsIS12_E10value_typeET2_T3_PNS13_IS18_E10value_typeET4_jRbjT5_S1E_jjP12ihipStream_tbEUljE_ZNSN_ISO_Lb1ESQ_SR_ST_SU_SY_EESZ_S10_S11_S12_S16_S17_S18_S1B_S1C_jS1D_jS1E_S1E_jjS1G_bEUljE0_EEESZ_S10_S11_S18_S1C_S1E_T6_T7_T9_mT8_S1G_bDpT10_ENKUlT_T0_E_clISt17integral_constantIbLb1EES1T_IbLb0EEEEDaS1P_S1Q_EUlS1P_E_NS1_11comp_targetILNS1_3genE10ELNS1_11target_archE1200ELNS1_3gpuE4ELNS1_3repE0EEENS1_30default_config_static_selectorELNS0_4arch9wavefront6targetE0EEEvS12_: ; @_ZN7rocprim17ROCPRIM_400000_NS6detail17trampoline_kernelINS0_13select_configILj256ELj13ELNS0_17block_load_methodE3ELS4_3ELS4_3ELNS0_20block_scan_algorithmE0ELj4294967295EEENS1_25partition_config_selectorILNS1_17partition_subalgoE4EjNS0_10empty_typeEbEEZZNS1_14partition_implILS8_4ELb0ES6_15HIP_vector_typeIjLj2EENS0_17counting_iteratorIjlEEPS9_SG_NS0_5tupleIJPjSI_NS0_16reverse_iteratorISI_EEEEENSH_IJSG_SG_SG_EEES9_SI_JZNS1_25segmented_radix_sort_implINS0_14default_configELb1EPKhPhPKlPlN2at6native12_GLOBAL__N_18offset_tEEE10hipError_tPvRmT1_PNSt15iterator_traitsIS12_E10value_typeET2_T3_PNS13_IS18_E10value_typeET4_jRbjT5_S1E_jjP12ihipStream_tbEUljE_ZNSN_ISO_Lb1ESQ_SR_ST_SU_SY_EESZ_S10_S11_S12_S16_S17_S18_S1B_S1C_jS1D_jS1E_S1E_jjS1G_bEUljE0_EEESZ_S10_S11_S18_S1C_S1E_T6_T7_T9_mT8_S1G_bDpT10_ENKUlT_T0_E_clISt17integral_constantIbLb1EES1T_IbLb0EEEEDaS1P_S1Q_EUlS1P_E_NS1_11comp_targetILNS1_3genE10ELNS1_11target_archE1200ELNS1_3gpuE4ELNS1_3repE0EEENS1_30default_config_static_selectorELNS0_4arch9wavefront6targetE0EEEvS12_
; %bb.0:
	s_endpgm
	.section	.rodata,"a",@progbits
	.p2align	6, 0x0
	.amdhsa_kernel _ZN7rocprim17ROCPRIM_400000_NS6detail17trampoline_kernelINS0_13select_configILj256ELj13ELNS0_17block_load_methodE3ELS4_3ELS4_3ELNS0_20block_scan_algorithmE0ELj4294967295EEENS1_25partition_config_selectorILNS1_17partition_subalgoE4EjNS0_10empty_typeEbEEZZNS1_14partition_implILS8_4ELb0ES6_15HIP_vector_typeIjLj2EENS0_17counting_iteratorIjlEEPS9_SG_NS0_5tupleIJPjSI_NS0_16reverse_iteratorISI_EEEEENSH_IJSG_SG_SG_EEES9_SI_JZNS1_25segmented_radix_sort_implINS0_14default_configELb1EPKhPhPKlPlN2at6native12_GLOBAL__N_18offset_tEEE10hipError_tPvRmT1_PNSt15iterator_traitsIS12_E10value_typeET2_T3_PNS13_IS18_E10value_typeET4_jRbjT5_S1E_jjP12ihipStream_tbEUljE_ZNSN_ISO_Lb1ESQ_SR_ST_SU_SY_EESZ_S10_S11_S12_S16_S17_S18_S1B_S1C_jS1D_jS1E_S1E_jjS1G_bEUljE0_EEESZ_S10_S11_S18_S1C_S1E_T6_T7_T9_mT8_S1G_bDpT10_ENKUlT_T0_E_clISt17integral_constantIbLb1EES1T_IbLb0EEEEDaS1P_S1Q_EUlS1P_E_NS1_11comp_targetILNS1_3genE10ELNS1_11target_archE1200ELNS1_3gpuE4ELNS1_3repE0EEENS1_30default_config_static_selectorELNS0_4arch9wavefront6targetE0EEEvS12_
		.amdhsa_group_segment_fixed_size 0
		.amdhsa_private_segment_fixed_size 0
		.amdhsa_kernarg_size 176
		.amdhsa_user_sgpr_count 2
		.amdhsa_user_sgpr_dispatch_ptr 0
		.amdhsa_user_sgpr_queue_ptr 0
		.amdhsa_user_sgpr_kernarg_segment_ptr 1
		.amdhsa_user_sgpr_dispatch_id 0
		.amdhsa_user_sgpr_private_segment_size 0
		.amdhsa_wavefront_size32 1
		.amdhsa_uses_dynamic_stack 0
		.amdhsa_enable_private_segment 0
		.amdhsa_system_sgpr_workgroup_id_x 1
		.amdhsa_system_sgpr_workgroup_id_y 0
		.amdhsa_system_sgpr_workgroup_id_z 0
		.amdhsa_system_sgpr_workgroup_info 0
		.amdhsa_system_vgpr_workitem_id 0
		.amdhsa_next_free_vgpr 1
		.amdhsa_next_free_sgpr 1
		.amdhsa_reserve_vcc 0
		.amdhsa_float_round_mode_32 0
		.amdhsa_float_round_mode_16_64 0
		.amdhsa_float_denorm_mode_32 3
		.amdhsa_float_denorm_mode_16_64 3
		.amdhsa_fp16_overflow 0
		.amdhsa_workgroup_processor_mode 1
		.amdhsa_memory_ordered 1
		.amdhsa_forward_progress 1
		.amdhsa_inst_pref_size 1
		.amdhsa_round_robin_scheduling 0
		.amdhsa_exception_fp_ieee_invalid_op 0
		.amdhsa_exception_fp_denorm_src 0
		.amdhsa_exception_fp_ieee_div_zero 0
		.amdhsa_exception_fp_ieee_overflow 0
		.amdhsa_exception_fp_ieee_underflow 0
		.amdhsa_exception_fp_ieee_inexact 0
		.amdhsa_exception_int_div_zero 0
	.end_amdhsa_kernel
	.section	.text._ZN7rocprim17ROCPRIM_400000_NS6detail17trampoline_kernelINS0_13select_configILj256ELj13ELNS0_17block_load_methodE3ELS4_3ELS4_3ELNS0_20block_scan_algorithmE0ELj4294967295EEENS1_25partition_config_selectorILNS1_17partition_subalgoE4EjNS0_10empty_typeEbEEZZNS1_14partition_implILS8_4ELb0ES6_15HIP_vector_typeIjLj2EENS0_17counting_iteratorIjlEEPS9_SG_NS0_5tupleIJPjSI_NS0_16reverse_iteratorISI_EEEEENSH_IJSG_SG_SG_EEES9_SI_JZNS1_25segmented_radix_sort_implINS0_14default_configELb1EPKhPhPKlPlN2at6native12_GLOBAL__N_18offset_tEEE10hipError_tPvRmT1_PNSt15iterator_traitsIS12_E10value_typeET2_T3_PNS13_IS18_E10value_typeET4_jRbjT5_S1E_jjP12ihipStream_tbEUljE_ZNSN_ISO_Lb1ESQ_SR_ST_SU_SY_EESZ_S10_S11_S12_S16_S17_S18_S1B_S1C_jS1D_jS1E_S1E_jjS1G_bEUljE0_EEESZ_S10_S11_S18_S1C_S1E_T6_T7_T9_mT8_S1G_bDpT10_ENKUlT_T0_E_clISt17integral_constantIbLb1EES1T_IbLb0EEEEDaS1P_S1Q_EUlS1P_E_NS1_11comp_targetILNS1_3genE10ELNS1_11target_archE1200ELNS1_3gpuE4ELNS1_3repE0EEENS1_30default_config_static_selectorELNS0_4arch9wavefront6targetE0EEEvS12_,"axG",@progbits,_ZN7rocprim17ROCPRIM_400000_NS6detail17trampoline_kernelINS0_13select_configILj256ELj13ELNS0_17block_load_methodE3ELS4_3ELS4_3ELNS0_20block_scan_algorithmE0ELj4294967295EEENS1_25partition_config_selectorILNS1_17partition_subalgoE4EjNS0_10empty_typeEbEEZZNS1_14partition_implILS8_4ELb0ES6_15HIP_vector_typeIjLj2EENS0_17counting_iteratorIjlEEPS9_SG_NS0_5tupleIJPjSI_NS0_16reverse_iteratorISI_EEEEENSH_IJSG_SG_SG_EEES9_SI_JZNS1_25segmented_radix_sort_implINS0_14default_configELb1EPKhPhPKlPlN2at6native12_GLOBAL__N_18offset_tEEE10hipError_tPvRmT1_PNSt15iterator_traitsIS12_E10value_typeET2_T3_PNS13_IS18_E10value_typeET4_jRbjT5_S1E_jjP12ihipStream_tbEUljE_ZNSN_ISO_Lb1ESQ_SR_ST_SU_SY_EESZ_S10_S11_S12_S16_S17_S18_S1B_S1C_jS1D_jS1E_S1E_jjS1G_bEUljE0_EEESZ_S10_S11_S18_S1C_S1E_T6_T7_T9_mT8_S1G_bDpT10_ENKUlT_T0_E_clISt17integral_constantIbLb1EES1T_IbLb0EEEEDaS1P_S1Q_EUlS1P_E_NS1_11comp_targetILNS1_3genE10ELNS1_11target_archE1200ELNS1_3gpuE4ELNS1_3repE0EEENS1_30default_config_static_selectorELNS0_4arch9wavefront6targetE0EEEvS12_,comdat
.Lfunc_end35:
	.size	_ZN7rocprim17ROCPRIM_400000_NS6detail17trampoline_kernelINS0_13select_configILj256ELj13ELNS0_17block_load_methodE3ELS4_3ELS4_3ELNS0_20block_scan_algorithmE0ELj4294967295EEENS1_25partition_config_selectorILNS1_17partition_subalgoE4EjNS0_10empty_typeEbEEZZNS1_14partition_implILS8_4ELb0ES6_15HIP_vector_typeIjLj2EENS0_17counting_iteratorIjlEEPS9_SG_NS0_5tupleIJPjSI_NS0_16reverse_iteratorISI_EEEEENSH_IJSG_SG_SG_EEES9_SI_JZNS1_25segmented_radix_sort_implINS0_14default_configELb1EPKhPhPKlPlN2at6native12_GLOBAL__N_18offset_tEEE10hipError_tPvRmT1_PNSt15iterator_traitsIS12_E10value_typeET2_T3_PNS13_IS18_E10value_typeET4_jRbjT5_S1E_jjP12ihipStream_tbEUljE_ZNSN_ISO_Lb1ESQ_SR_ST_SU_SY_EESZ_S10_S11_S12_S16_S17_S18_S1B_S1C_jS1D_jS1E_S1E_jjS1G_bEUljE0_EEESZ_S10_S11_S18_S1C_S1E_T6_T7_T9_mT8_S1G_bDpT10_ENKUlT_T0_E_clISt17integral_constantIbLb1EES1T_IbLb0EEEEDaS1P_S1Q_EUlS1P_E_NS1_11comp_targetILNS1_3genE10ELNS1_11target_archE1200ELNS1_3gpuE4ELNS1_3repE0EEENS1_30default_config_static_selectorELNS0_4arch9wavefront6targetE0EEEvS12_, .Lfunc_end35-_ZN7rocprim17ROCPRIM_400000_NS6detail17trampoline_kernelINS0_13select_configILj256ELj13ELNS0_17block_load_methodE3ELS4_3ELS4_3ELNS0_20block_scan_algorithmE0ELj4294967295EEENS1_25partition_config_selectorILNS1_17partition_subalgoE4EjNS0_10empty_typeEbEEZZNS1_14partition_implILS8_4ELb0ES6_15HIP_vector_typeIjLj2EENS0_17counting_iteratorIjlEEPS9_SG_NS0_5tupleIJPjSI_NS0_16reverse_iteratorISI_EEEEENSH_IJSG_SG_SG_EEES9_SI_JZNS1_25segmented_radix_sort_implINS0_14default_configELb1EPKhPhPKlPlN2at6native12_GLOBAL__N_18offset_tEEE10hipError_tPvRmT1_PNSt15iterator_traitsIS12_E10value_typeET2_T3_PNS13_IS18_E10value_typeET4_jRbjT5_S1E_jjP12ihipStream_tbEUljE_ZNSN_ISO_Lb1ESQ_SR_ST_SU_SY_EESZ_S10_S11_S12_S16_S17_S18_S1B_S1C_jS1D_jS1E_S1E_jjS1G_bEUljE0_EEESZ_S10_S11_S18_S1C_S1E_T6_T7_T9_mT8_S1G_bDpT10_ENKUlT_T0_E_clISt17integral_constantIbLb1EES1T_IbLb0EEEEDaS1P_S1Q_EUlS1P_E_NS1_11comp_targetILNS1_3genE10ELNS1_11target_archE1200ELNS1_3gpuE4ELNS1_3repE0EEENS1_30default_config_static_selectorELNS0_4arch9wavefront6targetE0EEEvS12_
                                        ; -- End function
	.set _ZN7rocprim17ROCPRIM_400000_NS6detail17trampoline_kernelINS0_13select_configILj256ELj13ELNS0_17block_load_methodE3ELS4_3ELS4_3ELNS0_20block_scan_algorithmE0ELj4294967295EEENS1_25partition_config_selectorILNS1_17partition_subalgoE4EjNS0_10empty_typeEbEEZZNS1_14partition_implILS8_4ELb0ES6_15HIP_vector_typeIjLj2EENS0_17counting_iteratorIjlEEPS9_SG_NS0_5tupleIJPjSI_NS0_16reverse_iteratorISI_EEEEENSH_IJSG_SG_SG_EEES9_SI_JZNS1_25segmented_radix_sort_implINS0_14default_configELb1EPKhPhPKlPlN2at6native12_GLOBAL__N_18offset_tEEE10hipError_tPvRmT1_PNSt15iterator_traitsIS12_E10value_typeET2_T3_PNS13_IS18_E10value_typeET4_jRbjT5_S1E_jjP12ihipStream_tbEUljE_ZNSN_ISO_Lb1ESQ_SR_ST_SU_SY_EESZ_S10_S11_S12_S16_S17_S18_S1B_S1C_jS1D_jS1E_S1E_jjS1G_bEUljE0_EEESZ_S10_S11_S18_S1C_S1E_T6_T7_T9_mT8_S1G_bDpT10_ENKUlT_T0_E_clISt17integral_constantIbLb1EES1T_IbLb0EEEEDaS1P_S1Q_EUlS1P_E_NS1_11comp_targetILNS1_3genE10ELNS1_11target_archE1200ELNS1_3gpuE4ELNS1_3repE0EEENS1_30default_config_static_selectorELNS0_4arch9wavefront6targetE0EEEvS12_.num_vgpr, 0
	.set _ZN7rocprim17ROCPRIM_400000_NS6detail17trampoline_kernelINS0_13select_configILj256ELj13ELNS0_17block_load_methodE3ELS4_3ELS4_3ELNS0_20block_scan_algorithmE0ELj4294967295EEENS1_25partition_config_selectorILNS1_17partition_subalgoE4EjNS0_10empty_typeEbEEZZNS1_14partition_implILS8_4ELb0ES6_15HIP_vector_typeIjLj2EENS0_17counting_iteratorIjlEEPS9_SG_NS0_5tupleIJPjSI_NS0_16reverse_iteratorISI_EEEEENSH_IJSG_SG_SG_EEES9_SI_JZNS1_25segmented_radix_sort_implINS0_14default_configELb1EPKhPhPKlPlN2at6native12_GLOBAL__N_18offset_tEEE10hipError_tPvRmT1_PNSt15iterator_traitsIS12_E10value_typeET2_T3_PNS13_IS18_E10value_typeET4_jRbjT5_S1E_jjP12ihipStream_tbEUljE_ZNSN_ISO_Lb1ESQ_SR_ST_SU_SY_EESZ_S10_S11_S12_S16_S17_S18_S1B_S1C_jS1D_jS1E_S1E_jjS1G_bEUljE0_EEESZ_S10_S11_S18_S1C_S1E_T6_T7_T9_mT8_S1G_bDpT10_ENKUlT_T0_E_clISt17integral_constantIbLb1EES1T_IbLb0EEEEDaS1P_S1Q_EUlS1P_E_NS1_11comp_targetILNS1_3genE10ELNS1_11target_archE1200ELNS1_3gpuE4ELNS1_3repE0EEENS1_30default_config_static_selectorELNS0_4arch9wavefront6targetE0EEEvS12_.num_agpr, 0
	.set _ZN7rocprim17ROCPRIM_400000_NS6detail17trampoline_kernelINS0_13select_configILj256ELj13ELNS0_17block_load_methodE3ELS4_3ELS4_3ELNS0_20block_scan_algorithmE0ELj4294967295EEENS1_25partition_config_selectorILNS1_17partition_subalgoE4EjNS0_10empty_typeEbEEZZNS1_14partition_implILS8_4ELb0ES6_15HIP_vector_typeIjLj2EENS0_17counting_iteratorIjlEEPS9_SG_NS0_5tupleIJPjSI_NS0_16reverse_iteratorISI_EEEEENSH_IJSG_SG_SG_EEES9_SI_JZNS1_25segmented_radix_sort_implINS0_14default_configELb1EPKhPhPKlPlN2at6native12_GLOBAL__N_18offset_tEEE10hipError_tPvRmT1_PNSt15iterator_traitsIS12_E10value_typeET2_T3_PNS13_IS18_E10value_typeET4_jRbjT5_S1E_jjP12ihipStream_tbEUljE_ZNSN_ISO_Lb1ESQ_SR_ST_SU_SY_EESZ_S10_S11_S12_S16_S17_S18_S1B_S1C_jS1D_jS1E_S1E_jjS1G_bEUljE0_EEESZ_S10_S11_S18_S1C_S1E_T6_T7_T9_mT8_S1G_bDpT10_ENKUlT_T0_E_clISt17integral_constantIbLb1EES1T_IbLb0EEEEDaS1P_S1Q_EUlS1P_E_NS1_11comp_targetILNS1_3genE10ELNS1_11target_archE1200ELNS1_3gpuE4ELNS1_3repE0EEENS1_30default_config_static_selectorELNS0_4arch9wavefront6targetE0EEEvS12_.numbered_sgpr, 0
	.set _ZN7rocprim17ROCPRIM_400000_NS6detail17trampoline_kernelINS0_13select_configILj256ELj13ELNS0_17block_load_methodE3ELS4_3ELS4_3ELNS0_20block_scan_algorithmE0ELj4294967295EEENS1_25partition_config_selectorILNS1_17partition_subalgoE4EjNS0_10empty_typeEbEEZZNS1_14partition_implILS8_4ELb0ES6_15HIP_vector_typeIjLj2EENS0_17counting_iteratorIjlEEPS9_SG_NS0_5tupleIJPjSI_NS0_16reverse_iteratorISI_EEEEENSH_IJSG_SG_SG_EEES9_SI_JZNS1_25segmented_radix_sort_implINS0_14default_configELb1EPKhPhPKlPlN2at6native12_GLOBAL__N_18offset_tEEE10hipError_tPvRmT1_PNSt15iterator_traitsIS12_E10value_typeET2_T3_PNS13_IS18_E10value_typeET4_jRbjT5_S1E_jjP12ihipStream_tbEUljE_ZNSN_ISO_Lb1ESQ_SR_ST_SU_SY_EESZ_S10_S11_S12_S16_S17_S18_S1B_S1C_jS1D_jS1E_S1E_jjS1G_bEUljE0_EEESZ_S10_S11_S18_S1C_S1E_T6_T7_T9_mT8_S1G_bDpT10_ENKUlT_T0_E_clISt17integral_constantIbLb1EES1T_IbLb0EEEEDaS1P_S1Q_EUlS1P_E_NS1_11comp_targetILNS1_3genE10ELNS1_11target_archE1200ELNS1_3gpuE4ELNS1_3repE0EEENS1_30default_config_static_selectorELNS0_4arch9wavefront6targetE0EEEvS12_.num_named_barrier, 0
	.set _ZN7rocprim17ROCPRIM_400000_NS6detail17trampoline_kernelINS0_13select_configILj256ELj13ELNS0_17block_load_methodE3ELS4_3ELS4_3ELNS0_20block_scan_algorithmE0ELj4294967295EEENS1_25partition_config_selectorILNS1_17partition_subalgoE4EjNS0_10empty_typeEbEEZZNS1_14partition_implILS8_4ELb0ES6_15HIP_vector_typeIjLj2EENS0_17counting_iteratorIjlEEPS9_SG_NS0_5tupleIJPjSI_NS0_16reverse_iteratorISI_EEEEENSH_IJSG_SG_SG_EEES9_SI_JZNS1_25segmented_radix_sort_implINS0_14default_configELb1EPKhPhPKlPlN2at6native12_GLOBAL__N_18offset_tEEE10hipError_tPvRmT1_PNSt15iterator_traitsIS12_E10value_typeET2_T3_PNS13_IS18_E10value_typeET4_jRbjT5_S1E_jjP12ihipStream_tbEUljE_ZNSN_ISO_Lb1ESQ_SR_ST_SU_SY_EESZ_S10_S11_S12_S16_S17_S18_S1B_S1C_jS1D_jS1E_S1E_jjS1G_bEUljE0_EEESZ_S10_S11_S18_S1C_S1E_T6_T7_T9_mT8_S1G_bDpT10_ENKUlT_T0_E_clISt17integral_constantIbLb1EES1T_IbLb0EEEEDaS1P_S1Q_EUlS1P_E_NS1_11comp_targetILNS1_3genE10ELNS1_11target_archE1200ELNS1_3gpuE4ELNS1_3repE0EEENS1_30default_config_static_selectorELNS0_4arch9wavefront6targetE0EEEvS12_.private_seg_size, 0
	.set _ZN7rocprim17ROCPRIM_400000_NS6detail17trampoline_kernelINS0_13select_configILj256ELj13ELNS0_17block_load_methodE3ELS4_3ELS4_3ELNS0_20block_scan_algorithmE0ELj4294967295EEENS1_25partition_config_selectorILNS1_17partition_subalgoE4EjNS0_10empty_typeEbEEZZNS1_14partition_implILS8_4ELb0ES6_15HIP_vector_typeIjLj2EENS0_17counting_iteratorIjlEEPS9_SG_NS0_5tupleIJPjSI_NS0_16reverse_iteratorISI_EEEEENSH_IJSG_SG_SG_EEES9_SI_JZNS1_25segmented_radix_sort_implINS0_14default_configELb1EPKhPhPKlPlN2at6native12_GLOBAL__N_18offset_tEEE10hipError_tPvRmT1_PNSt15iterator_traitsIS12_E10value_typeET2_T3_PNS13_IS18_E10value_typeET4_jRbjT5_S1E_jjP12ihipStream_tbEUljE_ZNSN_ISO_Lb1ESQ_SR_ST_SU_SY_EESZ_S10_S11_S12_S16_S17_S18_S1B_S1C_jS1D_jS1E_S1E_jjS1G_bEUljE0_EEESZ_S10_S11_S18_S1C_S1E_T6_T7_T9_mT8_S1G_bDpT10_ENKUlT_T0_E_clISt17integral_constantIbLb1EES1T_IbLb0EEEEDaS1P_S1Q_EUlS1P_E_NS1_11comp_targetILNS1_3genE10ELNS1_11target_archE1200ELNS1_3gpuE4ELNS1_3repE0EEENS1_30default_config_static_selectorELNS0_4arch9wavefront6targetE0EEEvS12_.uses_vcc, 0
	.set _ZN7rocprim17ROCPRIM_400000_NS6detail17trampoline_kernelINS0_13select_configILj256ELj13ELNS0_17block_load_methodE3ELS4_3ELS4_3ELNS0_20block_scan_algorithmE0ELj4294967295EEENS1_25partition_config_selectorILNS1_17partition_subalgoE4EjNS0_10empty_typeEbEEZZNS1_14partition_implILS8_4ELb0ES6_15HIP_vector_typeIjLj2EENS0_17counting_iteratorIjlEEPS9_SG_NS0_5tupleIJPjSI_NS0_16reverse_iteratorISI_EEEEENSH_IJSG_SG_SG_EEES9_SI_JZNS1_25segmented_radix_sort_implINS0_14default_configELb1EPKhPhPKlPlN2at6native12_GLOBAL__N_18offset_tEEE10hipError_tPvRmT1_PNSt15iterator_traitsIS12_E10value_typeET2_T3_PNS13_IS18_E10value_typeET4_jRbjT5_S1E_jjP12ihipStream_tbEUljE_ZNSN_ISO_Lb1ESQ_SR_ST_SU_SY_EESZ_S10_S11_S12_S16_S17_S18_S1B_S1C_jS1D_jS1E_S1E_jjS1G_bEUljE0_EEESZ_S10_S11_S18_S1C_S1E_T6_T7_T9_mT8_S1G_bDpT10_ENKUlT_T0_E_clISt17integral_constantIbLb1EES1T_IbLb0EEEEDaS1P_S1Q_EUlS1P_E_NS1_11comp_targetILNS1_3genE10ELNS1_11target_archE1200ELNS1_3gpuE4ELNS1_3repE0EEENS1_30default_config_static_selectorELNS0_4arch9wavefront6targetE0EEEvS12_.uses_flat_scratch, 0
	.set _ZN7rocprim17ROCPRIM_400000_NS6detail17trampoline_kernelINS0_13select_configILj256ELj13ELNS0_17block_load_methodE3ELS4_3ELS4_3ELNS0_20block_scan_algorithmE0ELj4294967295EEENS1_25partition_config_selectorILNS1_17partition_subalgoE4EjNS0_10empty_typeEbEEZZNS1_14partition_implILS8_4ELb0ES6_15HIP_vector_typeIjLj2EENS0_17counting_iteratorIjlEEPS9_SG_NS0_5tupleIJPjSI_NS0_16reverse_iteratorISI_EEEEENSH_IJSG_SG_SG_EEES9_SI_JZNS1_25segmented_radix_sort_implINS0_14default_configELb1EPKhPhPKlPlN2at6native12_GLOBAL__N_18offset_tEEE10hipError_tPvRmT1_PNSt15iterator_traitsIS12_E10value_typeET2_T3_PNS13_IS18_E10value_typeET4_jRbjT5_S1E_jjP12ihipStream_tbEUljE_ZNSN_ISO_Lb1ESQ_SR_ST_SU_SY_EESZ_S10_S11_S12_S16_S17_S18_S1B_S1C_jS1D_jS1E_S1E_jjS1G_bEUljE0_EEESZ_S10_S11_S18_S1C_S1E_T6_T7_T9_mT8_S1G_bDpT10_ENKUlT_T0_E_clISt17integral_constantIbLb1EES1T_IbLb0EEEEDaS1P_S1Q_EUlS1P_E_NS1_11comp_targetILNS1_3genE10ELNS1_11target_archE1200ELNS1_3gpuE4ELNS1_3repE0EEENS1_30default_config_static_selectorELNS0_4arch9wavefront6targetE0EEEvS12_.has_dyn_sized_stack, 0
	.set _ZN7rocprim17ROCPRIM_400000_NS6detail17trampoline_kernelINS0_13select_configILj256ELj13ELNS0_17block_load_methodE3ELS4_3ELS4_3ELNS0_20block_scan_algorithmE0ELj4294967295EEENS1_25partition_config_selectorILNS1_17partition_subalgoE4EjNS0_10empty_typeEbEEZZNS1_14partition_implILS8_4ELb0ES6_15HIP_vector_typeIjLj2EENS0_17counting_iteratorIjlEEPS9_SG_NS0_5tupleIJPjSI_NS0_16reverse_iteratorISI_EEEEENSH_IJSG_SG_SG_EEES9_SI_JZNS1_25segmented_radix_sort_implINS0_14default_configELb1EPKhPhPKlPlN2at6native12_GLOBAL__N_18offset_tEEE10hipError_tPvRmT1_PNSt15iterator_traitsIS12_E10value_typeET2_T3_PNS13_IS18_E10value_typeET4_jRbjT5_S1E_jjP12ihipStream_tbEUljE_ZNSN_ISO_Lb1ESQ_SR_ST_SU_SY_EESZ_S10_S11_S12_S16_S17_S18_S1B_S1C_jS1D_jS1E_S1E_jjS1G_bEUljE0_EEESZ_S10_S11_S18_S1C_S1E_T6_T7_T9_mT8_S1G_bDpT10_ENKUlT_T0_E_clISt17integral_constantIbLb1EES1T_IbLb0EEEEDaS1P_S1Q_EUlS1P_E_NS1_11comp_targetILNS1_3genE10ELNS1_11target_archE1200ELNS1_3gpuE4ELNS1_3repE0EEENS1_30default_config_static_selectorELNS0_4arch9wavefront6targetE0EEEvS12_.has_recursion, 0
	.set _ZN7rocprim17ROCPRIM_400000_NS6detail17trampoline_kernelINS0_13select_configILj256ELj13ELNS0_17block_load_methodE3ELS4_3ELS4_3ELNS0_20block_scan_algorithmE0ELj4294967295EEENS1_25partition_config_selectorILNS1_17partition_subalgoE4EjNS0_10empty_typeEbEEZZNS1_14partition_implILS8_4ELb0ES6_15HIP_vector_typeIjLj2EENS0_17counting_iteratorIjlEEPS9_SG_NS0_5tupleIJPjSI_NS0_16reverse_iteratorISI_EEEEENSH_IJSG_SG_SG_EEES9_SI_JZNS1_25segmented_radix_sort_implINS0_14default_configELb1EPKhPhPKlPlN2at6native12_GLOBAL__N_18offset_tEEE10hipError_tPvRmT1_PNSt15iterator_traitsIS12_E10value_typeET2_T3_PNS13_IS18_E10value_typeET4_jRbjT5_S1E_jjP12ihipStream_tbEUljE_ZNSN_ISO_Lb1ESQ_SR_ST_SU_SY_EESZ_S10_S11_S12_S16_S17_S18_S1B_S1C_jS1D_jS1E_S1E_jjS1G_bEUljE0_EEESZ_S10_S11_S18_S1C_S1E_T6_T7_T9_mT8_S1G_bDpT10_ENKUlT_T0_E_clISt17integral_constantIbLb1EES1T_IbLb0EEEEDaS1P_S1Q_EUlS1P_E_NS1_11comp_targetILNS1_3genE10ELNS1_11target_archE1200ELNS1_3gpuE4ELNS1_3repE0EEENS1_30default_config_static_selectorELNS0_4arch9wavefront6targetE0EEEvS12_.has_indirect_call, 0
	.section	.AMDGPU.csdata,"",@progbits
; Kernel info:
; codeLenInByte = 4
; TotalNumSgprs: 0
; NumVgprs: 0
; ScratchSize: 0
; MemoryBound: 0
; FloatMode: 240
; IeeeMode: 1
; LDSByteSize: 0 bytes/workgroup (compile time only)
; SGPRBlocks: 0
; VGPRBlocks: 0
; NumSGPRsForWavesPerEU: 1
; NumVGPRsForWavesPerEU: 1
; Occupancy: 16
; WaveLimiterHint : 0
; COMPUTE_PGM_RSRC2:SCRATCH_EN: 0
; COMPUTE_PGM_RSRC2:USER_SGPR: 2
; COMPUTE_PGM_RSRC2:TRAP_HANDLER: 0
; COMPUTE_PGM_RSRC2:TGID_X_EN: 1
; COMPUTE_PGM_RSRC2:TGID_Y_EN: 0
; COMPUTE_PGM_RSRC2:TGID_Z_EN: 0
; COMPUTE_PGM_RSRC2:TIDIG_COMP_CNT: 0
	.section	.text._ZN7rocprim17ROCPRIM_400000_NS6detail17trampoline_kernelINS0_13select_configILj256ELj13ELNS0_17block_load_methodE3ELS4_3ELS4_3ELNS0_20block_scan_algorithmE0ELj4294967295EEENS1_25partition_config_selectorILNS1_17partition_subalgoE4EjNS0_10empty_typeEbEEZZNS1_14partition_implILS8_4ELb0ES6_15HIP_vector_typeIjLj2EENS0_17counting_iteratorIjlEEPS9_SG_NS0_5tupleIJPjSI_NS0_16reverse_iteratorISI_EEEEENSH_IJSG_SG_SG_EEES9_SI_JZNS1_25segmented_radix_sort_implINS0_14default_configELb1EPKhPhPKlPlN2at6native12_GLOBAL__N_18offset_tEEE10hipError_tPvRmT1_PNSt15iterator_traitsIS12_E10value_typeET2_T3_PNS13_IS18_E10value_typeET4_jRbjT5_S1E_jjP12ihipStream_tbEUljE_ZNSN_ISO_Lb1ESQ_SR_ST_SU_SY_EESZ_S10_S11_S12_S16_S17_S18_S1B_S1C_jS1D_jS1E_S1E_jjS1G_bEUljE0_EEESZ_S10_S11_S18_S1C_S1E_T6_T7_T9_mT8_S1G_bDpT10_ENKUlT_T0_E_clISt17integral_constantIbLb1EES1T_IbLb0EEEEDaS1P_S1Q_EUlS1P_E_NS1_11comp_targetILNS1_3genE9ELNS1_11target_archE1100ELNS1_3gpuE3ELNS1_3repE0EEENS1_30default_config_static_selectorELNS0_4arch9wavefront6targetE0EEEvS12_,"axG",@progbits,_ZN7rocprim17ROCPRIM_400000_NS6detail17trampoline_kernelINS0_13select_configILj256ELj13ELNS0_17block_load_methodE3ELS4_3ELS4_3ELNS0_20block_scan_algorithmE0ELj4294967295EEENS1_25partition_config_selectorILNS1_17partition_subalgoE4EjNS0_10empty_typeEbEEZZNS1_14partition_implILS8_4ELb0ES6_15HIP_vector_typeIjLj2EENS0_17counting_iteratorIjlEEPS9_SG_NS0_5tupleIJPjSI_NS0_16reverse_iteratorISI_EEEEENSH_IJSG_SG_SG_EEES9_SI_JZNS1_25segmented_radix_sort_implINS0_14default_configELb1EPKhPhPKlPlN2at6native12_GLOBAL__N_18offset_tEEE10hipError_tPvRmT1_PNSt15iterator_traitsIS12_E10value_typeET2_T3_PNS13_IS18_E10value_typeET4_jRbjT5_S1E_jjP12ihipStream_tbEUljE_ZNSN_ISO_Lb1ESQ_SR_ST_SU_SY_EESZ_S10_S11_S12_S16_S17_S18_S1B_S1C_jS1D_jS1E_S1E_jjS1G_bEUljE0_EEESZ_S10_S11_S18_S1C_S1E_T6_T7_T9_mT8_S1G_bDpT10_ENKUlT_T0_E_clISt17integral_constantIbLb1EES1T_IbLb0EEEEDaS1P_S1Q_EUlS1P_E_NS1_11comp_targetILNS1_3genE9ELNS1_11target_archE1100ELNS1_3gpuE3ELNS1_3repE0EEENS1_30default_config_static_selectorELNS0_4arch9wavefront6targetE0EEEvS12_,comdat
	.globl	_ZN7rocprim17ROCPRIM_400000_NS6detail17trampoline_kernelINS0_13select_configILj256ELj13ELNS0_17block_load_methodE3ELS4_3ELS4_3ELNS0_20block_scan_algorithmE0ELj4294967295EEENS1_25partition_config_selectorILNS1_17partition_subalgoE4EjNS0_10empty_typeEbEEZZNS1_14partition_implILS8_4ELb0ES6_15HIP_vector_typeIjLj2EENS0_17counting_iteratorIjlEEPS9_SG_NS0_5tupleIJPjSI_NS0_16reverse_iteratorISI_EEEEENSH_IJSG_SG_SG_EEES9_SI_JZNS1_25segmented_radix_sort_implINS0_14default_configELb1EPKhPhPKlPlN2at6native12_GLOBAL__N_18offset_tEEE10hipError_tPvRmT1_PNSt15iterator_traitsIS12_E10value_typeET2_T3_PNS13_IS18_E10value_typeET4_jRbjT5_S1E_jjP12ihipStream_tbEUljE_ZNSN_ISO_Lb1ESQ_SR_ST_SU_SY_EESZ_S10_S11_S12_S16_S17_S18_S1B_S1C_jS1D_jS1E_S1E_jjS1G_bEUljE0_EEESZ_S10_S11_S18_S1C_S1E_T6_T7_T9_mT8_S1G_bDpT10_ENKUlT_T0_E_clISt17integral_constantIbLb1EES1T_IbLb0EEEEDaS1P_S1Q_EUlS1P_E_NS1_11comp_targetILNS1_3genE9ELNS1_11target_archE1100ELNS1_3gpuE3ELNS1_3repE0EEENS1_30default_config_static_selectorELNS0_4arch9wavefront6targetE0EEEvS12_ ; -- Begin function _ZN7rocprim17ROCPRIM_400000_NS6detail17trampoline_kernelINS0_13select_configILj256ELj13ELNS0_17block_load_methodE3ELS4_3ELS4_3ELNS0_20block_scan_algorithmE0ELj4294967295EEENS1_25partition_config_selectorILNS1_17partition_subalgoE4EjNS0_10empty_typeEbEEZZNS1_14partition_implILS8_4ELb0ES6_15HIP_vector_typeIjLj2EENS0_17counting_iteratorIjlEEPS9_SG_NS0_5tupleIJPjSI_NS0_16reverse_iteratorISI_EEEEENSH_IJSG_SG_SG_EEES9_SI_JZNS1_25segmented_radix_sort_implINS0_14default_configELb1EPKhPhPKlPlN2at6native12_GLOBAL__N_18offset_tEEE10hipError_tPvRmT1_PNSt15iterator_traitsIS12_E10value_typeET2_T3_PNS13_IS18_E10value_typeET4_jRbjT5_S1E_jjP12ihipStream_tbEUljE_ZNSN_ISO_Lb1ESQ_SR_ST_SU_SY_EESZ_S10_S11_S12_S16_S17_S18_S1B_S1C_jS1D_jS1E_S1E_jjS1G_bEUljE0_EEESZ_S10_S11_S18_S1C_S1E_T6_T7_T9_mT8_S1G_bDpT10_ENKUlT_T0_E_clISt17integral_constantIbLb1EES1T_IbLb0EEEEDaS1P_S1Q_EUlS1P_E_NS1_11comp_targetILNS1_3genE9ELNS1_11target_archE1100ELNS1_3gpuE3ELNS1_3repE0EEENS1_30default_config_static_selectorELNS0_4arch9wavefront6targetE0EEEvS12_
	.p2align	8
	.type	_ZN7rocprim17ROCPRIM_400000_NS6detail17trampoline_kernelINS0_13select_configILj256ELj13ELNS0_17block_load_methodE3ELS4_3ELS4_3ELNS0_20block_scan_algorithmE0ELj4294967295EEENS1_25partition_config_selectorILNS1_17partition_subalgoE4EjNS0_10empty_typeEbEEZZNS1_14partition_implILS8_4ELb0ES6_15HIP_vector_typeIjLj2EENS0_17counting_iteratorIjlEEPS9_SG_NS0_5tupleIJPjSI_NS0_16reverse_iteratorISI_EEEEENSH_IJSG_SG_SG_EEES9_SI_JZNS1_25segmented_radix_sort_implINS0_14default_configELb1EPKhPhPKlPlN2at6native12_GLOBAL__N_18offset_tEEE10hipError_tPvRmT1_PNSt15iterator_traitsIS12_E10value_typeET2_T3_PNS13_IS18_E10value_typeET4_jRbjT5_S1E_jjP12ihipStream_tbEUljE_ZNSN_ISO_Lb1ESQ_SR_ST_SU_SY_EESZ_S10_S11_S12_S16_S17_S18_S1B_S1C_jS1D_jS1E_S1E_jjS1G_bEUljE0_EEESZ_S10_S11_S18_S1C_S1E_T6_T7_T9_mT8_S1G_bDpT10_ENKUlT_T0_E_clISt17integral_constantIbLb1EES1T_IbLb0EEEEDaS1P_S1Q_EUlS1P_E_NS1_11comp_targetILNS1_3genE9ELNS1_11target_archE1100ELNS1_3gpuE3ELNS1_3repE0EEENS1_30default_config_static_selectorELNS0_4arch9wavefront6targetE0EEEvS12_,@function
_ZN7rocprim17ROCPRIM_400000_NS6detail17trampoline_kernelINS0_13select_configILj256ELj13ELNS0_17block_load_methodE3ELS4_3ELS4_3ELNS0_20block_scan_algorithmE0ELj4294967295EEENS1_25partition_config_selectorILNS1_17partition_subalgoE4EjNS0_10empty_typeEbEEZZNS1_14partition_implILS8_4ELb0ES6_15HIP_vector_typeIjLj2EENS0_17counting_iteratorIjlEEPS9_SG_NS0_5tupleIJPjSI_NS0_16reverse_iteratorISI_EEEEENSH_IJSG_SG_SG_EEES9_SI_JZNS1_25segmented_radix_sort_implINS0_14default_configELb1EPKhPhPKlPlN2at6native12_GLOBAL__N_18offset_tEEE10hipError_tPvRmT1_PNSt15iterator_traitsIS12_E10value_typeET2_T3_PNS13_IS18_E10value_typeET4_jRbjT5_S1E_jjP12ihipStream_tbEUljE_ZNSN_ISO_Lb1ESQ_SR_ST_SU_SY_EESZ_S10_S11_S12_S16_S17_S18_S1B_S1C_jS1D_jS1E_S1E_jjS1G_bEUljE0_EEESZ_S10_S11_S18_S1C_S1E_T6_T7_T9_mT8_S1G_bDpT10_ENKUlT_T0_E_clISt17integral_constantIbLb1EES1T_IbLb0EEEEDaS1P_S1Q_EUlS1P_E_NS1_11comp_targetILNS1_3genE9ELNS1_11target_archE1100ELNS1_3gpuE3ELNS1_3repE0EEENS1_30default_config_static_selectorELNS0_4arch9wavefront6targetE0EEEvS12_: ; @_ZN7rocprim17ROCPRIM_400000_NS6detail17trampoline_kernelINS0_13select_configILj256ELj13ELNS0_17block_load_methodE3ELS4_3ELS4_3ELNS0_20block_scan_algorithmE0ELj4294967295EEENS1_25partition_config_selectorILNS1_17partition_subalgoE4EjNS0_10empty_typeEbEEZZNS1_14partition_implILS8_4ELb0ES6_15HIP_vector_typeIjLj2EENS0_17counting_iteratorIjlEEPS9_SG_NS0_5tupleIJPjSI_NS0_16reverse_iteratorISI_EEEEENSH_IJSG_SG_SG_EEES9_SI_JZNS1_25segmented_radix_sort_implINS0_14default_configELb1EPKhPhPKlPlN2at6native12_GLOBAL__N_18offset_tEEE10hipError_tPvRmT1_PNSt15iterator_traitsIS12_E10value_typeET2_T3_PNS13_IS18_E10value_typeET4_jRbjT5_S1E_jjP12ihipStream_tbEUljE_ZNSN_ISO_Lb1ESQ_SR_ST_SU_SY_EESZ_S10_S11_S12_S16_S17_S18_S1B_S1C_jS1D_jS1E_S1E_jjS1G_bEUljE0_EEESZ_S10_S11_S18_S1C_S1E_T6_T7_T9_mT8_S1G_bDpT10_ENKUlT_T0_E_clISt17integral_constantIbLb1EES1T_IbLb0EEEEDaS1P_S1Q_EUlS1P_E_NS1_11comp_targetILNS1_3genE9ELNS1_11target_archE1100ELNS1_3gpuE3ELNS1_3repE0EEENS1_30default_config_static_selectorELNS0_4arch9wavefront6targetE0EEEvS12_
; %bb.0:
	.section	.rodata,"a",@progbits
	.p2align	6, 0x0
	.amdhsa_kernel _ZN7rocprim17ROCPRIM_400000_NS6detail17trampoline_kernelINS0_13select_configILj256ELj13ELNS0_17block_load_methodE3ELS4_3ELS4_3ELNS0_20block_scan_algorithmE0ELj4294967295EEENS1_25partition_config_selectorILNS1_17partition_subalgoE4EjNS0_10empty_typeEbEEZZNS1_14partition_implILS8_4ELb0ES6_15HIP_vector_typeIjLj2EENS0_17counting_iteratorIjlEEPS9_SG_NS0_5tupleIJPjSI_NS0_16reverse_iteratorISI_EEEEENSH_IJSG_SG_SG_EEES9_SI_JZNS1_25segmented_radix_sort_implINS0_14default_configELb1EPKhPhPKlPlN2at6native12_GLOBAL__N_18offset_tEEE10hipError_tPvRmT1_PNSt15iterator_traitsIS12_E10value_typeET2_T3_PNS13_IS18_E10value_typeET4_jRbjT5_S1E_jjP12ihipStream_tbEUljE_ZNSN_ISO_Lb1ESQ_SR_ST_SU_SY_EESZ_S10_S11_S12_S16_S17_S18_S1B_S1C_jS1D_jS1E_S1E_jjS1G_bEUljE0_EEESZ_S10_S11_S18_S1C_S1E_T6_T7_T9_mT8_S1G_bDpT10_ENKUlT_T0_E_clISt17integral_constantIbLb1EES1T_IbLb0EEEEDaS1P_S1Q_EUlS1P_E_NS1_11comp_targetILNS1_3genE9ELNS1_11target_archE1100ELNS1_3gpuE3ELNS1_3repE0EEENS1_30default_config_static_selectorELNS0_4arch9wavefront6targetE0EEEvS12_
		.amdhsa_group_segment_fixed_size 0
		.amdhsa_private_segment_fixed_size 0
		.amdhsa_kernarg_size 176
		.amdhsa_user_sgpr_count 2
		.amdhsa_user_sgpr_dispatch_ptr 0
		.amdhsa_user_sgpr_queue_ptr 0
		.amdhsa_user_sgpr_kernarg_segment_ptr 1
		.amdhsa_user_sgpr_dispatch_id 0
		.amdhsa_user_sgpr_private_segment_size 0
		.amdhsa_wavefront_size32 1
		.amdhsa_uses_dynamic_stack 0
		.amdhsa_enable_private_segment 0
		.amdhsa_system_sgpr_workgroup_id_x 1
		.amdhsa_system_sgpr_workgroup_id_y 0
		.amdhsa_system_sgpr_workgroup_id_z 0
		.amdhsa_system_sgpr_workgroup_info 0
		.amdhsa_system_vgpr_workitem_id 0
		.amdhsa_next_free_vgpr 1
		.amdhsa_next_free_sgpr 1
		.amdhsa_reserve_vcc 0
		.amdhsa_float_round_mode_32 0
		.amdhsa_float_round_mode_16_64 0
		.amdhsa_float_denorm_mode_32 3
		.amdhsa_float_denorm_mode_16_64 3
		.amdhsa_fp16_overflow 0
		.amdhsa_workgroup_processor_mode 1
		.amdhsa_memory_ordered 1
		.amdhsa_forward_progress 1
		.amdhsa_inst_pref_size 0
		.amdhsa_round_robin_scheduling 0
		.amdhsa_exception_fp_ieee_invalid_op 0
		.amdhsa_exception_fp_denorm_src 0
		.amdhsa_exception_fp_ieee_div_zero 0
		.amdhsa_exception_fp_ieee_overflow 0
		.amdhsa_exception_fp_ieee_underflow 0
		.amdhsa_exception_fp_ieee_inexact 0
		.amdhsa_exception_int_div_zero 0
	.end_amdhsa_kernel
	.section	.text._ZN7rocprim17ROCPRIM_400000_NS6detail17trampoline_kernelINS0_13select_configILj256ELj13ELNS0_17block_load_methodE3ELS4_3ELS4_3ELNS0_20block_scan_algorithmE0ELj4294967295EEENS1_25partition_config_selectorILNS1_17partition_subalgoE4EjNS0_10empty_typeEbEEZZNS1_14partition_implILS8_4ELb0ES6_15HIP_vector_typeIjLj2EENS0_17counting_iteratorIjlEEPS9_SG_NS0_5tupleIJPjSI_NS0_16reverse_iteratorISI_EEEEENSH_IJSG_SG_SG_EEES9_SI_JZNS1_25segmented_radix_sort_implINS0_14default_configELb1EPKhPhPKlPlN2at6native12_GLOBAL__N_18offset_tEEE10hipError_tPvRmT1_PNSt15iterator_traitsIS12_E10value_typeET2_T3_PNS13_IS18_E10value_typeET4_jRbjT5_S1E_jjP12ihipStream_tbEUljE_ZNSN_ISO_Lb1ESQ_SR_ST_SU_SY_EESZ_S10_S11_S12_S16_S17_S18_S1B_S1C_jS1D_jS1E_S1E_jjS1G_bEUljE0_EEESZ_S10_S11_S18_S1C_S1E_T6_T7_T9_mT8_S1G_bDpT10_ENKUlT_T0_E_clISt17integral_constantIbLb1EES1T_IbLb0EEEEDaS1P_S1Q_EUlS1P_E_NS1_11comp_targetILNS1_3genE9ELNS1_11target_archE1100ELNS1_3gpuE3ELNS1_3repE0EEENS1_30default_config_static_selectorELNS0_4arch9wavefront6targetE0EEEvS12_,"axG",@progbits,_ZN7rocprim17ROCPRIM_400000_NS6detail17trampoline_kernelINS0_13select_configILj256ELj13ELNS0_17block_load_methodE3ELS4_3ELS4_3ELNS0_20block_scan_algorithmE0ELj4294967295EEENS1_25partition_config_selectorILNS1_17partition_subalgoE4EjNS0_10empty_typeEbEEZZNS1_14partition_implILS8_4ELb0ES6_15HIP_vector_typeIjLj2EENS0_17counting_iteratorIjlEEPS9_SG_NS0_5tupleIJPjSI_NS0_16reverse_iteratorISI_EEEEENSH_IJSG_SG_SG_EEES9_SI_JZNS1_25segmented_radix_sort_implINS0_14default_configELb1EPKhPhPKlPlN2at6native12_GLOBAL__N_18offset_tEEE10hipError_tPvRmT1_PNSt15iterator_traitsIS12_E10value_typeET2_T3_PNS13_IS18_E10value_typeET4_jRbjT5_S1E_jjP12ihipStream_tbEUljE_ZNSN_ISO_Lb1ESQ_SR_ST_SU_SY_EESZ_S10_S11_S12_S16_S17_S18_S1B_S1C_jS1D_jS1E_S1E_jjS1G_bEUljE0_EEESZ_S10_S11_S18_S1C_S1E_T6_T7_T9_mT8_S1G_bDpT10_ENKUlT_T0_E_clISt17integral_constantIbLb1EES1T_IbLb0EEEEDaS1P_S1Q_EUlS1P_E_NS1_11comp_targetILNS1_3genE9ELNS1_11target_archE1100ELNS1_3gpuE3ELNS1_3repE0EEENS1_30default_config_static_selectorELNS0_4arch9wavefront6targetE0EEEvS12_,comdat
.Lfunc_end36:
	.size	_ZN7rocprim17ROCPRIM_400000_NS6detail17trampoline_kernelINS0_13select_configILj256ELj13ELNS0_17block_load_methodE3ELS4_3ELS4_3ELNS0_20block_scan_algorithmE0ELj4294967295EEENS1_25partition_config_selectorILNS1_17partition_subalgoE4EjNS0_10empty_typeEbEEZZNS1_14partition_implILS8_4ELb0ES6_15HIP_vector_typeIjLj2EENS0_17counting_iteratorIjlEEPS9_SG_NS0_5tupleIJPjSI_NS0_16reverse_iteratorISI_EEEEENSH_IJSG_SG_SG_EEES9_SI_JZNS1_25segmented_radix_sort_implINS0_14default_configELb1EPKhPhPKlPlN2at6native12_GLOBAL__N_18offset_tEEE10hipError_tPvRmT1_PNSt15iterator_traitsIS12_E10value_typeET2_T3_PNS13_IS18_E10value_typeET4_jRbjT5_S1E_jjP12ihipStream_tbEUljE_ZNSN_ISO_Lb1ESQ_SR_ST_SU_SY_EESZ_S10_S11_S12_S16_S17_S18_S1B_S1C_jS1D_jS1E_S1E_jjS1G_bEUljE0_EEESZ_S10_S11_S18_S1C_S1E_T6_T7_T9_mT8_S1G_bDpT10_ENKUlT_T0_E_clISt17integral_constantIbLb1EES1T_IbLb0EEEEDaS1P_S1Q_EUlS1P_E_NS1_11comp_targetILNS1_3genE9ELNS1_11target_archE1100ELNS1_3gpuE3ELNS1_3repE0EEENS1_30default_config_static_selectorELNS0_4arch9wavefront6targetE0EEEvS12_, .Lfunc_end36-_ZN7rocprim17ROCPRIM_400000_NS6detail17trampoline_kernelINS0_13select_configILj256ELj13ELNS0_17block_load_methodE3ELS4_3ELS4_3ELNS0_20block_scan_algorithmE0ELj4294967295EEENS1_25partition_config_selectorILNS1_17partition_subalgoE4EjNS0_10empty_typeEbEEZZNS1_14partition_implILS8_4ELb0ES6_15HIP_vector_typeIjLj2EENS0_17counting_iteratorIjlEEPS9_SG_NS0_5tupleIJPjSI_NS0_16reverse_iteratorISI_EEEEENSH_IJSG_SG_SG_EEES9_SI_JZNS1_25segmented_radix_sort_implINS0_14default_configELb1EPKhPhPKlPlN2at6native12_GLOBAL__N_18offset_tEEE10hipError_tPvRmT1_PNSt15iterator_traitsIS12_E10value_typeET2_T3_PNS13_IS18_E10value_typeET4_jRbjT5_S1E_jjP12ihipStream_tbEUljE_ZNSN_ISO_Lb1ESQ_SR_ST_SU_SY_EESZ_S10_S11_S12_S16_S17_S18_S1B_S1C_jS1D_jS1E_S1E_jjS1G_bEUljE0_EEESZ_S10_S11_S18_S1C_S1E_T6_T7_T9_mT8_S1G_bDpT10_ENKUlT_T0_E_clISt17integral_constantIbLb1EES1T_IbLb0EEEEDaS1P_S1Q_EUlS1P_E_NS1_11comp_targetILNS1_3genE9ELNS1_11target_archE1100ELNS1_3gpuE3ELNS1_3repE0EEENS1_30default_config_static_selectorELNS0_4arch9wavefront6targetE0EEEvS12_
                                        ; -- End function
	.set _ZN7rocprim17ROCPRIM_400000_NS6detail17trampoline_kernelINS0_13select_configILj256ELj13ELNS0_17block_load_methodE3ELS4_3ELS4_3ELNS0_20block_scan_algorithmE0ELj4294967295EEENS1_25partition_config_selectorILNS1_17partition_subalgoE4EjNS0_10empty_typeEbEEZZNS1_14partition_implILS8_4ELb0ES6_15HIP_vector_typeIjLj2EENS0_17counting_iteratorIjlEEPS9_SG_NS0_5tupleIJPjSI_NS0_16reverse_iteratorISI_EEEEENSH_IJSG_SG_SG_EEES9_SI_JZNS1_25segmented_radix_sort_implINS0_14default_configELb1EPKhPhPKlPlN2at6native12_GLOBAL__N_18offset_tEEE10hipError_tPvRmT1_PNSt15iterator_traitsIS12_E10value_typeET2_T3_PNS13_IS18_E10value_typeET4_jRbjT5_S1E_jjP12ihipStream_tbEUljE_ZNSN_ISO_Lb1ESQ_SR_ST_SU_SY_EESZ_S10_S11_S12_S16_S17_S18_S1B_S1C_jS1D_jS1E_S1E_jjS1G_bEUljE0_EEESZ_S10_S11_S18_S1C_S1E_T6_T7_T9_mT8_S1G_bDpT10_ENKUlT_T0_E_clISt17integral_constantIbLb1EES1T_IbLb0EEEEDaS1P_S1Q_EUlS1P_E_NS1_11comp_targetILNS1_3genE9ELNS1_11target_archE1100ELNS1_3gpuE3ELNS1_3repE0EEENS1_30default_config_static_selectorELNS0_4arch9wavefront6targetE0EEEvS12_.num_vgpr, 0
	.set _ZN7rocprim17ROCPRIM_400000_NS6detail17trampoline_kernelINS0_13select_configILj256ELj13ELNS0_17block_load_methodE3ELS4_3ELS4_3ELNS0_20block_scan_algorithmE0ELj4294967295EEENS1_25partition_config_selectorILNS1_17partition_subalgoE4EjNS0_10empty_typeEbEEZZNS1_14partition_implILS8_4ELb0ES6_15HIP_vector_typeIjLj2EENS0_17counting_iteratorIjlEEPS9_SG_NS0_5tupleIJPjSI_NS0_16reverse_iteratorISI_EEEEENSH_IJSG_SG_SG_EEES9_SI_JZNS1_25segmented_radix_sort_implINS0_14default_configELb1EPKhPhPKlPlN2at6native12_GLOBAL__N_18offset_tEEE10hipError_tPvRmT1_PNSt15iterator_traitsIS12_E10value_typeET2_T3_PNS13_IS18_E10value_typeET4_jRbjT5_S1E_jjP12ihipStream_tbEUljE_ZNSN_ISO_Lb1ESQ_SR_ST_SU_SY_EESZ_S10_S11_S12_S16_S17_S18_S1B_S1C_jS1D_jS1E_S1E_jjS1G_bEUljE0_EEESZ_S10_S11_S18_S1C_S1E_T6_T7_T9_mT8_S1G_bDpT10_ENKUlT_T0_E_clISt17integral_constantIbLb1EES1T_IbLb0EEEEDaS1P_S1Q_EUlS1P_E_NS1_11comp_targetILNS1_3genE9ELNS1_11target_archE1100ELNS1_3gpuE3ELNS1_3repE0EEENS1_30default_config_static_selectorELNS0_4arch9wavefront6targetE0EEEvS12_.num_agpr, 0
	.set _ZN7rocprim17ROCPRIM_400000_NS6detail17trampoline_kernelINS0_13select_configILj256ELj13ELNS0_17block_load_methodE3ELS4_3ELS4_3ELNS0_20block_scan_algorithmE0ELj4294967295EEENS1_25partition_config_selectorILNS1_17partition_subalgoE4EjNS0_10empty_typeEbEEZZNS1_14partition_implILS8_4ELb0ES6_15HIP_vector_typeIjLj2EENS0_17counting_iteratorIjlEEPS9_SG_NS0_5tupleIJPjSI_NS0_16reverse_iteratorISI_EEEEENSH_IJSG_SG_SG_EEES9_SI_JZNS1_25segmented_radix_sort_implINS0_14default_configELb1EPKhPhPKlPlN2at6native12_GLOBAL__N_18offset_tEEE10hipError_tPvRmT1_PNSt15iterator_traitsIS12_E10value_typeET2_T3_PNS13_IS18_E10value_typeET4_jRbjT5_S1E_jjP12ihipStream_tbEUljE_ZNSN_ISO_Lb1ESQ_SR_ST_SU_SY_EESZ_S10_S11_S12_S16_S17_S18_S1B_S1C_jS1D_jS1E_S1E_jjS1G_bEUljE0_EEESZ_S10_S11_S18_S1C_S1E_T6_T7_T9_mT8_S1G_bDpT10_ENKUlT_T0_E_clISt17integral_constantIbLb1EES1T_IbLb0EEEEDaS1P_S1Q_EUlS1P_E_NS1_11comp_targetILNS1_3genE9ELNS1_11target_archE1100ELNS1_3gpuE3ELNS1_3repE0EEENS1_30default_config_static_selectorELNS0_4arch9wavefront6targetE0EEEvS12_.numbered_sgpr, 0
	.set _ZN7rocprim17ROCPRIM_400000_NS6detail17trampoline_kernelINS0_13select_configILj256ELj13ELNS0_17block_load_methodE3ELS4_3ELS4_3ELNS0_20block_scan_algorithmE0ELj4294967295EEENS1_25partition_config_selectorILNS1_17partition_subalgoE4EjNS0_10empty_typeEbEEZZNS1_14partition_implILS8_4ELb0ES6_15HIP_vector_typeIjLj2EENS0_17counting_iteratorIjlEEPS9_SG_NS0_5tupleIJPjSI_NS0_16reverse_iteratorISI_EEEEENSH_IJSG_SG_SG_EEES9_SI_JZNS1_25segmented_radix_sort_implINS0_14default_configELb1EPKhPhPKlPlN2at6native12_GLOBAL__N_18offset_tEEE10hipError_tPvRmT1_PNSt15iterator_traitsIS12_E10value_typeET2_T3_PNS13_IS18_E10value_typeET4_jRbjT5_S1E_jjP12ihipStream_tbEUljE_ZNSN_ISO_Lb1ESQ_SR_ST_SU_SY_EESZ_S10_S11_S12_S16_S17_S18_S1B_S1C_jS1D_jS1E_S1E_jjS1G_bEUljE0_EEESZ_S10_S11_S18_S1C_S1E_T6_T7_T9_mT8_S1G_bDpT10_ENKUlT_T0_E_clISt17integral_constantIbLb1EES1T_IbLb0EEEEDaS1P_S1Q_EUlS1P_E_NS1_11comp_targetILNS1_3genE9ELNS1_11target_archE1100ELNS1_3gpuE3ELNS1_3repE0EEENS1_30default_config_static_selectorELNS0_4arch9wavefront6targetE0EEEvS12_.num_named_barrier, 0
	.set _ZN7rocprim17ROCPRIM_400000_NS6detail17trampoline_kernelINS0_13select_configILj256ELj13ELNS0_17block_load_methodE3ELS4_3ELS4_3ELNS0_20block_scan_algorithmE0ELj4294967295EEENS1_25partition_config_selectorILNS1_17partition_subalgoE4EjNS0_10empty_typeEbEEZZNS1_14partition_implILS8_4ELb0ES6_15HIP_vector_typeIjLj2EENS0_17counting_iteratorIjlEEPS9_SG_NS0_5tupleIJPjSI_NS0_16reverse_iteratorISI_EEEEENSH_IJSG_SG_SG_EEES9_SI_JZNS1_25segmented_radix_sort_implINS0_14default_configELb1EPKhPhPKlPlN2at6native12_GLOBAL__N_18offset_tEEE10hipError_tPvRmT1_PNSt15iterator_traitsIS12_E10value_typeET2_T3_PNS13_IS18_E10value_typeET4_jRbjT5_S1E_jjP12ihipStream_tbEUljE_ZNSN_ISO_Lb1ESQ_SR_ST_SU_SY_EESZ_S10_S11_S12_S16_S17_S18_S1B_S1C_jS1D_jS1E_S1E_jjS1G_bEUljE0_EEESZ_S10_S11_S18_S1C_S1E_T6_T7_T9_mT8_S1G_bDpT10_ENKUlT_T0_E_clISt17integral_constantIbLb1EES1T_IbLb0EEEEDaS1P_S1Q_EUlS1P_E_NS1_11comp_targetILNS1_3genE9ELNS1_11target_archE1100ELNS1_3gpuE3ELNS1_3repE0EEENS1_30default_config_static_selectorELNS0_4arch9wavefront6targetE0EEEvS12_.private_seg_size, 0
	.set _ZN7rocprim17ROCPRIM_400000_NS6detail17trampoline_kernelINS0_13select_configILj256ELj13ELNS0_17block_load_methodE3ELS4_3ELS4_3ELNS0_20block_scan_algorithmE0ELj4294967295EEENS1_25partition_config_selectorILNS1_17partition_subalgoE4EjNS0_10empty_typeEbEEZZNS1_14partition_implILS8_4ELb0ES6_15HIP_vector_typeIjLj2EENS0_17counting_iteratorIjlEEPS9_SG_NS0_5tupleIJPjSI_NS0_16reverse_iteratorISI_EEEEENSH_IJSG_SG_SG_EEES9_SI_JZNS1_25segmented_radix_sort_implINS0_14default_configELb1EPKhPhPKlPlN2at6native12_GLOBAL__N_18offset_tEEE10hipError_tPvRmT1_PNSt15iterator_traitsIS12_E10value_typeET2_T3_PNS13_IS18_E10value_typeET4_jRbjT5_S1E_jjP12ihipStream_tbEUljE_ZNSN_ISO_Lb1ESQ_SR_ST_SU_SY_EESZ_S10_S11_S12_S16_S17_S18_S1B_S1C_jS1D_jS1E_S1E_jjS1G_bEUljE0_EEESZ_S10_S11_S18_S1C_S1E_T6_T7_T9_mT8_S1G_bDpT10_ENKUlT_T0_E_clISt17integral_constantIbLb1EES1T_IbLb0EEEEDaS1P_S1Q_EUlS1P_E_NS1_11comp_targetILNS1_3genE9ELNS1_11target_archE1100ELNS1_3gpuE3ELNS1_3repE0EEENS1_30default_config_static_selectorELNS0_4arch9wavefront6targetE0EEEvS12_.uses_vcc, 0
	.set _ZN7rocprim17ROCPRIM_400000_NS6detail17trampoline_kernelINS0_13select_configILj256ELj13ELNS0_17block_load_methodE3ELS4_3ELS4_3ELNS0_20block_scan_algorithmE0ELj4294967295EEENS1_25partition_config_selectorILNS1_17partition_subalgoE4EjNS0_10empty_typeEbEEZZNS1_14partition_implILS8_4ELb0ES6_15HIP_vector_typeIjLj2EENS0_17counting_iteratorIjlEEPS9_SG_NS0_5tupleIJPjSI_NS0_16reverse_iteratorISI_EEEEENSH_IJSG_SG_SG_EEES9_SI_JZNS1_25segmented_radix_sort_implINS0_14default_configELb1EPKhPhPKlPlN2at6native12_GLOBAL__N_18offset_tEEE10hipError_tPvRmT1_PNSt15iterator_traitsIS12_E10value_typeET2_T3_PNS13_IS18_E10value_typeET4_jRbjT5_S1E_jjP12ihipStream_tbEUljE_ZNSN_ISO_Lb1ESQ_SR_ST_SU_SY_EESZ_S10_S11_S12_S16_S17_S18_S1B_S1C_jS1D_jS1E_S1E_jjS1G_bEUljE0_EEESZ_S10_S11_S18_S1C_S1E_T6_T7_T9_mT8_S1G_bDpT10_ENKUlT_T0_E_clISt17integral_constantIbLb1EES1T_IbLb0EEEEDaS1P_S1Q_EUlS1P_E_NS1_11comp_targetILNS1_3genE9ELNS1_11target_archE1100ELNS1_3gpuE3ELNS1_3repE0EEENS1_30default_config_static_selectorELNS0_4arch9wavefront6targetE0EEEvS12_.uses_flat_scratch, 0
	.set _ZN7rocprim17ROCPRIM_400000_NS6detail17trampoline_kernelINS0_13select_configILj256ELj13ELNS0_17block_load_methodE3ELS4_3ELS4_3ELNS0_20block_scan_algorithmE0ELj4294967295EEENS1_25partition_config_selectorILNS1_17partition_subalgoE4EjNS0_10empty_typeEbEEZZNS1_14partition_implILS8_4ELb0ES6_15HIP_vector_typeIjLj2EENS0_17counting_iteratorIjlEEPS9_SG_NS0_5tupleIJPjSI_NS0_16reverse_iteratorISI_EEEEENSH_IJSG_SG_SG_EEES9_SI_JZNS1_25segmented_radix_sort_implINS0_14default_configELb1EPKhPhPKlPlN2at6native12_GLOBAL__N_18offset_tEEE10hipError_tPvRmT1_PNSt15iterator_traitsIS12_E10value_typeET2_T3_PNS13_IS18_E10value_typeET4_jRbjT5_S1E_jjP12ihipStream_tbEUljE_ZNSN_ISO_Lb1ESQ_SR_ST_SU_SY_EESZ_S10_S11_S12_S16_S17_S18_S1B_S1C_jS1D_jS1E_S1E_jjS1G_bEUljE0_EEESZ_S10_S11_S18_S1C_S1E_T6_T7_T9_mT8_S1G_bDpT10_ENKUlT_T0_E_clISt17integral_constantIbLb1EES1T_IbLb0EEEEDaS1P_S1Q_EUlS1P_E_NS1_11comp_targetILNS1_3genE9ELNS1_11target_archE1100ELNS1_3gpuE3ELNS1_3repE0EEENS1_30default_config_static_selectorELNS0_4arch9wavefront6targetE0EEEvS12_.has_dyn_sized_stack, 0
	.set _ZN7rocprim17ROCPRIM_400000_NS6detail17trampoline_kernelINS0_13select_configILj256ELj13ELNS0_17block_load_methodE3ELS4_3ELS4_3ELNS0_20block_scan_algorithmE0ELj4294967295EEENS1_25partition_config_selectorILNS1_17partition_subalgoE4EjNS0_10empty_typeEbEEZZNS1_14partition_implILS8_4ELb0ES6_15HIP_vector_typeIjLj2EENS0_17counting_iteratorIjlEEPS9_SG_NS0_5tupleIJPjSI_NS0_16reverse_iteratorISI_EEEEENSH_IJSG_SG_SG_EEES9_SI_JZNS1_25segmented_radix_sort_implINS0_14default_configELb1EPKhPhPKlPlN2at6native12_GLOBAL__N_18offset_tEEE10hipError_tPvRmT1_PNSt15iterator_traitsIS12_E10value_typeET2_T3_PNS13_IS18_E10value_typeET4_jRbjT5_S1E_jjP12ihipStream_tbEUljE_ZNSN_ISO_Lb1ESQ_SR_ST_SU_SY_EESZ_S10_S11_S12_S16_S17_S18_S1B_S1C_jS1D_jS1E_S1E_jjS1G_bEUljE0_EEESZ_S10_S11_S18_S1C_S1E_T6_T7_T9_mT8_S1G_bDpT10_ENKUlT_T0_E_clISt17integral_constantIbLb1EES1T_IbLb0EEEEDaS1P_S1Q_EUlS1P_E_NS1_11comp_targetILNS1_3genE9ELNS1_11target_archE1100ELNS1_3gpuE3ELNS1_3repE0EEENS1_30default_config_static_selectorELNS0_4arch9wavefront6targetE0EEEvS12_.has_recursion, 0
	.set _ZN7rocprim17ROCPRIM_400000_NS6detail17trampoline_kernelINS0_13select_configILj256ELj13ELNS0_17block_load_methodE3ELS4_3ELS4_3ELNS0_20block_scan_algorithmE0ELj4294967295EEENS1_25partition_config_selectorILNS1_17partition_subalgoE4EjNS0_10empty_typeEbEEZZNS1_14partition_implILS8_4ELb0ES6_15HIP_vector_typeIjLj2EENS0_17counting_iteratorIjlEEPS9_SG_NS0_5tupleIJPjSI_NS0_16reverse_iteratorISI_EEEEENSH_IJSG_SG_SG_EEES9_SI_JZNS1_25segmented_radix_sort_implINS0_14default_configELb1EPKhPhPKlPlN2at6native12_GLOBAL__N_18offset_tEEE10hipError_tPvRmT1_PNSt15iterator_traitsIS12_E10value_typeET2_T3_PNS13_IS18_E10value_typeET4_jRbjT5_S1E_jjP12ihipStream_tbEUljE_ZNSN_ISO_Lb1ESQ_SR_ST_SU_SY_EESZ_S10_S11_S12_S16_S17_S18_S1B_S1C_jS1D_jS1E_S1E_jjS1G_bEUljE0_EEESZ_S10_S11_S18_S1C_S1E_T6_T7_T9_mT8_S1G_bDpT10_ENKUlT_T0_E_clISt17integral_constantIbLb1EES1T_IbLb0EEEEDaS1P_S1Q_EUlS1P_E_NS1_11comp_targetILNS1_3genE9ELNS1_11target_archE1100ELNS1_3gpuE3ELNS1_3repE0EEENS1_30default_config_static_selectorELNS0_4arch9wavefront6targetE0EEEvS12_.has_indirect_call, 0
	.section	.AMDGPU.csdata,"",@progbits
; Kernel info:
; codeLenInByte = 0
; TotalNumSgprs: 0
; NumVgprs: 0
; ScratchSize: 0
; MemoryBound: 0
; FloatMode: 240
; IeeeMode: 1
; LDSByteSize: 0 bytes/workgroup (compile time only)
; SGPRBlocks: 0
; VGPRBlocks: 0
; NumSGPRsForWavesPerEU: 1
; NumVGPRsForWavesPerEU: 1
; Occupancy: 16
; WaveLimiterHint : 0
; COMPUTE_PGM_RSRC2:SCRATCH_EN: 0
; COMPUTE_PGM_RSRC2:USER_SGPR: 2
; COMPUTE_PGM_RSRC2:TRAP_HANDLER: 0
; COMPUTE_PGM_RSRC2:TGID_X_EN: 1
; COMPUTE_PGM_RSRC2:TGID_Y_EN: 0
; COMPUTE_PGM_RSRC2:TGID_Z_EN: 0
; COMPUTE_PGM_RSRC2:TIDIG_COMP_CNT: 0
	.section	.text._ZN7rocprim17ROCPRIM_400000_NS6detail17trampoline_kernelINS0_13select_configILj256ELj13ELNS0_17block_load_methodE3ELS4_3ELS4_3ELNS0_20block_scan_algorithmE0ELj4294967295EEENS1_25partition_config_selectorILNS1_17partition_subalgoE4EjNS0_10empty_typeEbEEZZNS1_14partition_implILS8_4ELb0ES6_15HIP_vector_typeIjLj2EENS0_17counting_iteratorIjlEEPS9_SG_NS0_5tupleIJPjSI_NS0_16reverse_iteratorISI_EEEEENSH_IJSG_SG_SG_EEES9_SI_JZNS1_25segmented_radix_sort_implINS0_14default_configELb1EPKhPhPKlPlN2at6native12_GLOBAL__N_18offset_tEEE10hipError_tPvRmT1_PNSt15iterator_traitsIS12_E10value_typeET2_T3_PNS13_IS18_E10value_typeET4_jRbjT5_S1E_jjP12ihipStream_tbEUljE_ZNSN_ISO_Lb1ESQ_SR_ST_SU_SY_EESZ_S10_S11_S12_S16_S17_S18_S1B_S1C_jS1D_jS1E_S1E_jjS1G_bEUljE0_EEESZ_S10_S11_S18_S1C_S1E_T6_T7_T9_mT8_S1G_bDpT10_ENKUlT_T0_E_clISt17integral_constantIbLb1EES1T_IbLb0EEEEDaS1P_S1Q_EUlS1P_E_NS1_11comp_targetILNS1_3genE8ELNS1_11target_archE1030ELNS1_3gpuE2ELNS1_3repE0EEENS1_30default_config_static_selectorELNS0_4arch9wavefront6targetE0EEEvS12_,"axG",@progbits,_ZN7rocprim17ROCPRIM_400000_NS6detail17trampoline_kernelINS0_13select_configILj256ELj13ELNS0_17block_load_methodE3ELS4_3ELS4_3ELNS0_20block_scan_algorithmE0ELj4294967295EEENS1_25partition_config_selectorILNS1_17partition_subalgoE4EjNS0_10empty_typeEbEEZZNS1_14partition_implILS8_4ELb0ES6_15HIP_vector_typeIjLj2EENS0_17counting_iteratorIjlEEPS9_SG_NS0_5tupleIJPjSI_NS0_16reverse_iteratorISI_EEEEENSH_IJSG_SG_SG_EEES9_SI_JZNS1_25segmented_radix_sort_implINS0_14default_configELb1EPKhPhPKlPlN2at6native12_GLOBAL__N_18offset_tEEE10hipError_tPvRmT1_PNSt15iterator_traitsIS12_E10value_typeET2_T3_PNS13_IS18_E10value_typeET4_jRbjT5_S1E_jjP12ihipStream_tbEUljE_ZNSN_ISO_Lb1ESQ_SR_ST_SU_SY_EESZ_S10_S11_S12_S16_S17_S18_S1B_S1C_jS1D_jS1E_S1E_jjS1G_bEUljE0_EEESZ_S10_S11_S18_S1C_S1E_T6_T7_T9_mT8_S1G_bDpT10_ENKUlT_T0_E_clISt17integral_constantIbLb1EES1T_IbLb0EEEEDaS1P_S1Q_EUlS1P_E_NS1_11comp_targetILNS1_3genE8ELNS1_11target_archE1030ELNS1_3gpuE2ELNS1_3repE0EEENS1_30default_config_static_selectorELNS0_4arch9wavefront6targetE0EEEvS12_,comdat
	.globl	_ZN7rocprim17ROCPRIM_400000_NS6detail17trampoline_kernelINS0_13select_configILj256ELj13ELNS0_17block_load_methodE3ELS4_3ELS4_3ELNS0_20block_scan_algorithmE0ELj4294967295EEENS1_25partition_config_selectorILNS1_17partition_subalgoE4EjNS0_10empty_typeEbEEZZNS1_14partition_implILS8_4ELb0ES6_15HIP_vector_typeIjLj2EENS0_17counting_iteratorIjlEEPS9_SG_NS0_5tupleIJPjSI_NS0_16reverse_iteratorISI_EEEEENSH_IJSG_SG_SG_EEES9_SI_JZNS1_25segmented_radix_sort_implINS0_14default_configELb1EPKhPhPKlPlN2at6native12_GLOBAL__N_18offset_tEEE10hipError_tPvRmT1_PNSt15iterator_traitsIS12_E10value_typeET2_T3_PNS13_IS18_E10value_typeET4_jRbjT5_S1E_jjP12ihipStream_tbEUljE_ZNSN_ISO_Lb1ESQ_SR_ST_SU_SY_EESZ_S10_S11_S12_S16_S17_S18_S1B_S1C_jS1D_jS1E_S1E_jjS1G_bEUljE0_EEESZ_S10_S11_S18_S1C_S1E_T6_T7_T9_mT8_S1G_bDpT10_ENKUlT_T0_E_clISt17integral_constantIbLb1EES1T_IbLb0EEEEDaS1P_S1Q_EUlS1P_E_NS1_11comp_targetILNS1_3genE8ELNS1_11target_archE1030ELNS1_3gpuE2ELNS1_3repE0EEENS1_30default_config_static_selectorELNS0_4arch9wavefront6targetE0EEEvS12_ ; -- Begin function _ZN7rocprim17ROCPRIM_400000_NS6detail17trampoline_kernelINS0_13select_configILj256ELj13ELNS0_17block_load_methodE3ELS4_3ELS4_3ELNS0_20block_scan_algorithmE0ELj4294967295EEENS1_25partition_config_selectorILNS1_17partition_subalgoE4EjNS0_10empty_typeEbEEZZNS1_14partition_implILS8_4ELb0ES6_15HIP_vector_typeIjLj2EENS0_17counting_iteratorIjlEEPS9_SG_NS0_5tupleIJPjSI_NS0_16reverse_iteratorISI_EEEEENSH_IJSG_SG_SG_EEES9_SI_JZNS1_25segmented_radix_sort_implINS0_14default_configELb1EPKhPhPKlPlN2at6native12_GLOBAL__N_18offset_tEEE10hipError_tPvRmT1_PNSt15iterator_traitsIS12_E10value_typeET2_T3_PNS13_IS18_E10value_typeET4_jRbjT5_S1E_jjP12ihipStream_tbEUljE_ZNSN_ISO_Lb1ESQ_SR_ST_SU_SY_EESZ_S10_S11_S12_S16_S17_S18_S1B_S1C_jS1D_jS1E_S1E_jjS1G_bEUljE0_EEESZ_S10_S11_S18_S1C_S1E_T6_T7_T9_mT8_S1G_bDpT10_ENKUlT_T0_E_clISt17integral_constantIbLb1EES1T_IbLb0EEEEDaS1P_S1Q_EUlS1P_E_NS1_11comp_targetILNS1_3genE8ELNS1_11target_archE1030ELNS1_3gpuE2ELNS1_3repE0EEENS1_30default_config_static_selectorELNS0_4arch9wavefront6targetE0EEEvS12_
	.p2align	8
	.type	_ZN7rocprim17ROCPRIM_400000_NS6detail17trampoline_kernelINS0_13select_configILj256ELj13ELNS0_17block_load_methodE3ELS4_3ELS4_3ELNS0_20block_scan_algorithmE0ELj4294967295EEENS1_25partition_config_selectorILNS1_17partition_subalgoE4EjNS0_10empty_typeEbEEZZNS1_14partition_implILS8_4ELb0ES6_15HIP_vector_typeIjLj2EENS0_17counting_iteratorIjlEEPS9_SG_NS0_5tupleIJPjSI_NS0_16reverse_iteratorISI_EEEEENSH_IJSG_SG_SG_EEES9_SI_JZNS1_25segmented_radix_sort_implINS0_14default_configELb1EPKhPhPKlPlN2at6native12_GLOBAL__N_18offset_tEEE10hipError_tPvRmT1_PNSt15iterator_traitsIS12_E10value_typeET2_T3_PNS13_IS18_E10value_typeET4_jRbjT5_S1E_jjP12ihipStream_tbEUljE_ZNSN_ISO_Lb1ESQ_SR_ST_SU_SY_EESZ_S10_S11_S12_S16_S17_S18_S1B_S1C_jS1D_jS1E_S1E_jjS1G_bEUljE0_EEESZ_S10_S11_S18_S1C_S1E_T6_T7_T9_mT8_S1G_bDpT10_ENKUlT_T0_E_clISt17integral_constantIbLb1EES1T_IbLb0EEEEDaS1P_S1Q_EUlS1P_E_NS1_11comp_targetILNS1_3genE8ELNS1_11target_archE1030ELNS1_3gpuE2ELNS1_3repE0EEENS1_30default_config_static_selectorELNS0_4arch9wavefront6targetE0EEEvS12_,@function
_ZN7rocprim17ROCPRIM_400000_NS6detail17trampoline_kernelINS0_13select_configILj256ELj13ELNS0_17block_load_methodE3ELS4_3ELS4_3ELNS0_20block_scan_algorithmE0ELj4294967295EEENS1_25partition_config_selectorILNS1_17partition_subalgoE4EjNS0_10empty_typeEbEEZZNS1_14partition_implILS8_4ELb0ES6_15HIP_vector_typeIjLj2EENS0_17counting_iteratorIjlEEPS9_SG_NS0_5tupleIJPjSI_NS0_16reverse_iteratorISI_EEEEENSH_IJSG_SG_SG_EEES9_SI_JZNS1_25segmented_radix_sort_implINS0_14default_configELb1EPKhPhPKlPlN2at6native12_GLOBAL__N_18offset_tEEE10hipError_tPvRmT1_PNSt15iterator_traitsIS12_E10value_typeET2_T3_PNS13_IS18_E10value_typeET4_jRbjT5_S1E_jjP12ihipStream_tbEUljE_ZNSN_ISO_Lb1ESQ_SR_ST_SU_SY_EESZ_S10_S11_S12_S16_S17_S18_S1B_S1C_jS1D_jS1E_S1E_jjS1G_bEUljE0_EEESZ_S10_S11_S18_S1C_S1E_T6_T7_T9_mT8_S1G_bDpT10_ENKUlT_T0_E_clISt17integral_constantIbLb1EES1T_IbLb0EEEEDaS1P_S1Q_EUlS1P_E_NS1_11comp_targetILNS1_3genE8ELNS1_11target_archE1030ELNS1_3gpuE2ELNS1_3repE0EEENS1_30default_config_static_selectorELNS0_4arch9wavefront6targetE0EEEvS12_: ; @_ZN7rocprim17ROCPRIM_400000_NS6detail17trampoline_kernelINS0_13select_configILj256ELj13ELNS0_17block_load_methodE3ELS4_3ELS4_3ELNS0_20block_scan_algorithmE0ELj4294967295EEENS1_25partition_config_selectorILNS1_17partition_subalgoE4EjNS0_10empty_typeEbEEZZNS1_14partition_implILS8_4ELb0ES6_15HIP_vector_typeIjLj2EENS0_17counting_iteratorIjlEEPS9_SG_NS0_5tupleIJPjSI_NS0_16reverse_iteratorISI_EEEEENSH_IJSG_SG_SG_EEES9_SI_JZNS1_25segmented_radix_sort_implINS0_14default_configELb1EPKhPhPKlPlN2at6native12_GLOBAL__N_18offset_tEEE10hipError_tPvRmT1_PNSt15iterator_traitsIS12_E10value_typeET2_T3_PNS13_IS18_E10value_typeET4_jRbjT5_S1E_jjP12ihipStream_tbEUljE_ZNSN_ISO_Lb1ESQ_SR_ST_SU_SY_EESZ_S10_S11_S12_S16_S17_S18_S1B_S1C_jS1D_jS1E_S1E_jjS1G_bEUljE0_EEESZ_S10_S11_S18_S1C_S1E_T6_T7_T9_mT8_S1G_bDpT10_ENKUlT_T0_E_clISt17integral_constantIbLb1EES1T_IbLb0EEEEDaS1P_S1Q_EUlS1P_E_NS1_11comp_targetILNS1_3genE8ELNS1_11target_archE1030ELNS1_3gpuE2ELNS1_3repE0EEENS1_30default_config_static_selectorELNS0_4arch9wavefront6targetE0EEEvS12_
; %bb.0:
	.section	.rodata,"a",@progbits
	.p2align	6, 0x0
	.amdhsa_kernel _ZN7rocprim17ROCPRIM_400000_NS6detail17trampoline_kernelINS0_13select_configILj256ELj13ELNS0_17block_load_methodE3ELS4_3ELS4_3ELNS0_20block_scan_algorithmE0ELj4294967295EEENS1_25partition_config_selectorILNS1_17partition_subalgoE4EjNS0_10empty_typeEbEEZZNS1_14partition_implILS8_4ELb0ES6_15HIP_vector_typeIjLj2EENS0_17counting_iteratorIjlEEPS9_SG_NS0_5tupleIJPjSI_NS0_16reverse_iteratorISI_EEEEENSH_IJSG_SG_SG_EEES9_SI_JZNS1_25segmented_radix_sort_implINS0_14default_configELb1EPKhPhPKlPlN2at6native12_GLOBAL__N_18offset_tEEE10hipError_tPvRmT1_PNSt15iterator_traitsIS12_E10value_typeET2_T3_PNS13_IS18_E10value_typeET4_jRbjT5_S1E_jjP12ihipStream_tbEUljE_ZNSN_ISO_Lb1ESQ_SR_ST_SU_SY_EESZ_S10_S11_S12_S16_S17_S18_S1B_S1C_jS1D_jS1E_S1E_jjS1G_bEUljE0_EEESZ_S10_S11_S18_S1C_S1E_T6_T7_T9_mT8_S1G_bDpT10_ENKUlT_T0_E_clISt17integral_constantIbLb1EES1T_IbLb0EEEEDaS1P_S1Q_EUlS1P_E_NS1_11comp_targetILNS1_3genE8ELNS1_11target_archE1030ELNS1_3gpuE2ELNS1_3repE0EEENS1_30default_config_static_selectorELNS0_4arch9wavefront6targetE0EEEvS12_
		.amdhsa_group_segment_fixed_size 0
		.amdhsa_private_segment_fixed_size 0
		.amdhsa_kernarg_size 176
		.amdhsa_user_sgpr_count 2
		.amdhsa_user_sgpr_dispatch_ptr 0
		.amdhsa_user_sgpr_queue_ptr 0
		.amdhsa_user_sgpr_kernarg_segment_ptr 1
		.amdhsa_user_sgpr_dispatch_id 0
		.amdhsa_user_sgpr_private_segment_size 0
		.amdhsa_wavefront_size32 1
		.amdhsa_uses_dynamic_stack 0
		.amdhsa_enable_private_segment 0
		.amdhsa_system_sgpr_workgroup_id_x 1
		.amdhsa_system_sgpr_workgroup_id_y 0
		.amdhsa_system_sgpr_workgroup_id_z 0
		.amdhsa_system_sgpr_workgroup_info 0
		.amdhsa_system_vgpr_workitem_id 0
		.amdhsa_next_free_vgpr 1
		.amdhsa_next_free_sgpr 1
		.amdhsa_reserve_vcc 0
		.amdhsa_float_round_mode_32 0
		.amdhsa_float_round_mode_16_64 0
		.amdhsa_float_denorm_mode_32 3
		.amdhsa_float_denorm_mode_16_64 3
		.amdhsa_fp16_overflow 0
		.amdhsa_workgroup_processor_mode 1
		.amdhsa_memory_ordered 1
		.amdhsa_forward_progress 1
		.amdhsa_inst_pref_size 0
		.amdhsa_round_robin_scheduling 0
		.amdhsa_exception_fp_ieee_invalid_op 0
		.amdhsa_exception_fp_denorm_src 0
		.amdhsa_exception_fp_ieee_div_zero 0
		.amdhsa_exception_fp_ieee_overflow 0
		.amdhsa_exception_fp_ieee_underflow 0
		.amdhsa_exception_fp_ieee_inexact 0
		.amdhsa_exception_int_div_zero 0
	.end_amdhsa_kernel
	.section	.text._ZN7rocprim17ROCPRIM_400000_NS6detail17trampoline_kernelINS0_13select_configILj256ELj13ELNS0_17block_load_methodE3ELS4_3ELS4_3ELNS0_20block_scan_algorithmE0ELj4294967295EEENS1_25partition_config_selectorILNS1_17partition_subalgoE4EjNS0_10empty_typeEbEEZZNS1_14partition_implILS8_4ELb0ES6_15HIP_vector_typeIjLj2EENS0_17counting_iteratorIjlEEPS9_SG_NS0_5tupleIJPjSI_NS0_16reverse_iteratorISI_EEEEENSH_IJSG_SG_SG_EEES9_SI_JZNS1_25segmented_radix_sort_implINS0_14default_configELb1EPKhPhPKlPlN2at6native12_GLOBAL__N_18offset_tEEE10hipError_tPvRmT1_PNSt15iterator_traitsIS12_E10value_typeET2_T3_PNS13_IS18_E10value_typeET4_jRbjT5_S1E_jjP12ihipStream_tbEUljE_ZNSN_ISO_Lb1ESQ_SR_ST_SU_SY_EESZ_S10_S11_S12_S16_S17_S18_S1B_S1C_jS1D_jS1E_S1E_jjS1G_bEUljE0_EEESZ_S10_S11_S18_S1C_S1E_T6_T7_T9_mT8_S1G_bDpT10_ENKUlT_T0_E_clISt17integral_constantIbLb1EES1T_IbLb0EEEEDaS1P_S1Q_EUlS1P_E_NS1_11comp_targetILNS1_3genE8ELNS1_11target_archE1030ELNS1_3gpuE2ELNS1_3repE0EEENS1_30default_config_static_selectorELNS0_4arch9wavefront6targetE0EEEvS12_,"axG",@progbits,_ZN7rocprim17ROCPRIM_400000_NS6detail17trampoline_kernelINS0_13select_configILj256ELj13ELNS0_17block_load_methodE3ELS4_3ELS4_3ELNS0_20block_scan_algorithmE0ELj4294967295EEENS1_25partition_config_selectorILNS1_17partition_subalgoE4EjNS0_10empty_typeEbEEZZNS1_14partition_implILS8_4ELb0ES6_15HIP_vector_typeIjLj2EENS0_17counting_iteratorIjlEEPS9_SG_NS0_5tupleIJPjSI_NS0_16reverse_iteratorISI_EEEEENSH_IJSG_SG_SG_EEES9_SI_JZNS1_25segmented_radix_sort_implINS0_14default_configELb1EPKhPhPKlPlN2at6native12_GLOBAL__N_18offset_tEEE10hipError_tPvRmT1_PNSt15iterator_traitsIS12_E10value_typeET2_T3_PNS13_IS18_E10value_typeET4_jRbjT5_S1E_jjP12ihipStream_tbEUljE_ZNSN_ISO_Lb1ESQ_SR_ST_SU_SY_EESZ_S10_S11_S12_S16_S17_S18_S1B_S1C_jS1D_jS1E_S1E_jjS1G_bEUljE0_EEESZ_S10_S11_S18_S1C_S1E_T6_T7_T9_mT8_S1G_bDpT10_ENKUlT_T0_E_clISt17integral_constantIbLb1EES1T_IbLb0EEEEDaS1P_S1Q_EUlS1P_E_NS1_11comp_targetILNS1_3genE8ELNS1_11target_archE1030ELNS1_3gpuE2ELNS1_3repE0EEENS1_30default_config_static_selectorELNS0_4arch9wavefront6targetE0EEEvS12_,comdat
.Lfunc_end37:
	.size	_ZN7rocprim17ROCPRIM_400000_NS6detail17trampoline_kernelINS0_13select_configILj256ELj13ELNS0_17block_load_methodE3ELS4_3ELS4_3ELNS0_20block_scan_algorithmE0ELj4294967295EEENS1_25partition_config_selectorILNS1_17partition_subalgoE4EjNS0_10empty_typeEbEEZZNS1_14partition_implILS8_4ELb0ES6_15HIP_vector_typeIjLj2EENS0_17counting_iteratorIjlEEPS9_SG_NS0_5tupleIJPjSI_NS0_16reverse_iteratorISI_EEEEENSH_IJSG_SG_SG_EEES9_SI_JZNS1_25segmented_radix_sort_implINS0_14default_configELb1EPKhPhPKlPlN2at6native12_GLOBAL__N_18offset_tEEE10hipError_tPvRmT1_PNSt15iterator_traitsIS12_E10value_typeET2_T3_PNS13_IS18_E10value_typeET4_jRbjT5_S1E_jjP12ihipStream_tbEUljE_ZNSN_ISO_Lb1ESQ_SR_ST_SU_SY_EESZ_S10_S11_S12_S16_S17_S18_S1B_S1C_jS1D_jS1E_S1E_jjS1G_bEUljE0_EEESZ_S10_S11_S18_S1C_S1E_T6_T7_T9_mT8_S1G_bDpT10_ENKUlT_T0_E_clISt17integral_constantIbLb1EES1T_IbLb0EEEEDaS1P_S1Q_EUlS1P_E_NS1_11comp_targetILNS1_3genE8ELNS1_11target_archE1030ELNS1_3gpuE2ELNS1_3repE0EEENS1_30default_config_static_selectorELNS0_4arch9wavefront6targetE0EEEvS12_, .Lfunc_end37-_ZN7rocprim17ROCPRIM_400000_NS6detail17trampoline_kernelINS0_13select_configILj256ELj13ELNS0_17block_load_methodE3ELS4_3ELS4_3ELNS0_20block_scan_algorithmE0ELj4294967295EEENS1_25partition_config_selectorILNS1_17partition_subalgoE4EjNS0_10empty_typeEbEEZZNS1_14partition_implILS8_4ELb0ES6_15HIP_vector_typeIjLj2EENS0_17counting_iteratorIjlEEPS9_SG_NS0_5tupleIJPjSI_NS0_16reverse_iteratorISI_EEEEENSH_IJSG_SG_SG_EEES9_SI_JZNS1_25segmented_radix_sort_implINS0_14default_configELb1EPKhPhPKlPlN2at6native12_GLOBAL__N_18offset_tEEE10hipError_tPvRmT1_PNSt15iterator_traitsIS12_E10value_typeET2_T3_PNS13_IS18_E10value_typeET4_jRbjT5_S1E_jjP12ihipStream_tbEUljE_ZNSN_ISO_Lb1ESQ_SR_ST_SU_SY_EESZ_S10_S11_S12_S16_S17_S18_S1B_S1C_jS1D_jS1E_S1E_jjS1G_bEUljE0_EEESZ_S10_S11_S18_S1C_S1E_T6_T7_T9_mT8_S1G_bDpT10_ENKUlT_T0_E_clISt17integral_constantIbLb1EES1T_IbLb0EEEEDaS1P_S1Q_EUlS1P_E_NS1_11comp_targetILNS1_3genE8ELNS1_11target_archE1030ELNS1_3gpuE2ELNS1_3repE0EEENS1_30default_config_static_selectorELNS0_4arch9wavefront6targetE0EEEvS12_
                                        ; -- End function
	.set _ZN7rocprim17ROCPRIM_400000_NS6detail17trampoline_kernelINS0_13select_configILj256ELj13ELNS0_17block_load_methodE3ELS4_3ELS4_3ELNS0_20block_scan_algorithmE0ELj4294967295EEENS1_25partition_config_selectorILNS1_17partition_subalgoE4EjNS0_10empty_typeEbEEZZNS1_14partition_implILS8_4ELb0ES6_15HIP_vector_typeIjLj2EENS0_17counting_iteratorIjlEEPS9_SG_NS0_5tupleIJPjSI_NS0_16reverse_iteratorISI_EEEEENSH_IJSG_SG_SG_EEES9_SI_JZNS1_25segmented_radix_sort_implINS0_14default_configELb1EPKhPhPKlPlN2at6native12_GLOBAL__N_18offset_tEEE10hipError_tPvRmT1_PNSt15iterator_traitsIS12_E10value_typeET2_T3_PNS13_IS18_E10value_typeET4_jRbjT5_S1E_jjP12ihipStream_tbEUljE_ZNSN_ISO_Lb1ESQ_SR_ST_SU_SY_EESZ_S10_S11_S12_S16_S17_S18_S1B_S1C_jS1D_jS1E_S1E_jjS1G_bEUljE0_EEESZ_S10_S11_S18_S1C_S1E_T6_T7_T9_mT8_S1G_bDpT10_ENKUlT_T0_E_clISt17integral_constantIbLb1EES1T_IbLb0EEEEDaS1P_S1Q_EUlS1P_E_NS1_11comp_targetILNS1_3genE8ELNS1_11target_archE1030ELNS1_3gpuE2ELNS1_3repE0EEENS1_30default_config_static_selectorELNS0_4arch9wavefront6targetE0EEEvS12_.num_vgpr, 0
	.set _ZN7rocprim17ROCPRIM_400000_NS6detail17trampoline_kernelINS0_13select_configILj256ELj13ELNS0_17block_load_methodE3ELS4_3ELS4_3ELNS0_20block_scan_algorithmE0ELj4294967295EEENS1_25partition_config_selectorILNS1_17partition_subalgoE4EjNS0_10empty_typeEbEEZZNS1_14partition_implILS8_4ELb0ES6_15HIP_vector_typeIjLj2EENS0_17counting_iteratorIjlEEPS9_SG_NS0_5tupleIJPjSI_NS0_16reverse_iteratorISI_EEEEENSH_IJSG_SG_SG_EEES9_SI_JZNS1_25segmented_radix_sort_implINS0_14default_configELb1EPKhPhPKlPlN2at6native12_GLOBAL__N_18offset_tEEE10hipError_tPvRmT1_PNSt15iterator_traitsIS12_E10value_typeET2_T3_PNS13_IS18_E10value_typeET4_jRbjT5_S1E_jjP12ihipStream_tbEUljE_ZNSN_ISO_Lb1ESQ_SR_ST_SU_SY_EESZ_S10_S11_S12_S16_S17_S18_S1B_S1C_jS1D_jS1E_S1E_jjS1G_bEUljE0_EEESZ_S10_S11_S18_S1C_S1E_T6_T7_T9_mT8_S1G_bDpT10_ENKUlT_T0_E_clISt17integral_constantIbLb1EES1T_IbLb0EEEEDaS1P_S1Q_EUlS1P_E_NS1_11comp_targetILNS1_3genE8ELNS1_11target_archE1030ELNS1_3gpuE2ELNS1_3repE0EEENS1_30default_config_static_selectorELNS0_4arch9wavefront6targetE0EEEvS12_.num_agpr, 0
	.set _ZN7rocprim17ROCPRIM_400000_NS6detail17trampoline_kernelINS0_13select_configILj256ELj13ELNS0_17block_load_methodE3ELS4_3ELS4_3ELNS0_20block_scan_algorithmE0ELj4294967295EEENS1_25partition_config_selectorILNS1_17partition_subalgoE4EjNS0_10empty_typeEbEEZZNS1_14partition_implILS8_4ELb0ES6_15HIP_vector_typeIjLj2EENS0_17counting_iteratorIjlEEPS9_SG_NS0_5tupleIJPjSI_NS0_16reverse_iteratorISI_EEEEENSH_IJSG_SG_SG_EEES9_SI_JZNS1_25segmented_radix_sort_implINS0_14default_configELb1EPKhPhPKlPlN2at6native12_GLOBAL__N_18offset_tEEE10hipError_tPvRmT1_PNSt15iterator_traitsIS12_E10value_typeET2_T3_PNS13_IS18_E10value_typeET4_jRbjT5_S1E_jjP12ihipStream_tbEUljE_ZNSN_ISO_Lb1ESQ_SR_ST_SU_SY_EESZ_S10_S11_S12_S16_S17_S18_S1B_S1C_jS1D_jS1E_S1E_jjS1G_bEUljE0_EEESZ_S10_S11_S18_S1C_S1E_T6_T7_T9_mT8_S1G_bDpT10_ENKUlT_T0_E_clISt17integral_constantIbLb1EES1T_IbLb0EEEEDaS1P_S1Q_EUlS1P_E_NS1_11comp_targetILNS1_3genE8ELNS1_11target_archE1030ELNS1_3gpuE2ELNS1_3repE0EEENS1_30default_config_static_selectorELNS0_4arch9wavefront6targetE0EEEvS12_.numbered_sgpr, 0
	.set _ZN7rocprim17ROCPRIM_400000_NS6detail17trampoline_kernelINS0_13select_configILj256ELj13ELNS0_17block_load_methodE3ELS4_3ELS4_3ELNS0_20block_scan_algorithmE0ELj4294967295EEENS1_25partition_config_selectorILNS1_17partition_subalgoE4EjNS0_10empty_typeEbEEZZNS1_14partition_implILS8_4ELb0ES6_15HIP_vector_typeIjLj2EENS0_17counting_iteratorIjlEEPS9_SG_NS0_5tupleIJPjSI_NS0_16reverse_iteratorISI_EEEEENSH_IJSG_SG_SG_EEES9_SI_JZNS1_25segmented_radix_sort_implINS0_14default_configELb1EPKhPhPKlPlN2at6native12_GLOBAL__N_18offset_tEEE10hipError_tPvRmT1_PNSt15iterator_traitsIS12_E10value_typeET2_T3_PNS13_IS18_E10value_typeET4_jRbjT5_S1E_jjP12ihipStream_tbEUljE_ZNSN_ISO_Lb1ESQ_SR_ST_SU_SY_EESZ_S10_S11_S12_S16_S17_S18_S1B_S1C_jS1D_jS1E_S1E_jjS1G_bEUljE0_EEESZ_S10_S11_S18_S1C_S1E_T6_T7_T9_mT8_S1G_bDpT10_ENKUlT_T0_E_clISt17integral_constantIbLb1EES1T_IbLb0EEEEDaS1P_S1Q_EUlS1P_E_NS1_11comp_targetILNS1_3genE8ELNS1_11target_archE1030ELNS1_3gpuE2ELNS1_3repE0EEENS1_30default_config_static_selectorELNS0_4arch9wavefront6targetE0EEEvS12_.num_named_barrier, 0
	.set _ZN7rocprim17ROCPRIM_400000_NS6detail17trampoline_kernelINS0_13select_configILj256ELj13ELNS0_17block_load_methodE3ELS4_3ELS4_3ELNS0_20block_scan_algorithmE0ELj4294967295EEENS1_25partition_config_selectorILNS1_17partition_subalgoE4EjNS0_10empty_typeEbEEZZNS1_14partition_implILS8_4ELb0ES6_15HIP_vector_typeIjLj2EENS0_17counting_iteratorIjlEEPS9_SG_NS0_5tupleIJPjSI_NS0_16reverse_iteratorISI_EEEEENSH_IJSG_SG_SG_EEES9_SI_JZNS1_25segmented_radix_sort_implINS0_14default_configELb1EPKhPhPKlPlN2at6native12_GLOBAL__N_18offset_tEEE10hipError_tPvRmT1_PNSt15iterator_traitsIS12_E10value_typeET2_T3_PNS13_IS18_E10value_typeET4_jRbjT5_S1E_jjP12ihipStream_tbEUljE_ZNSN_ISO_Lb1ESQ_SR_ST_SU_SY_EESZ_S10_S11_S12_S16_S17_S18_S1B_S1C_jS1D_jS1E_S1E_jjS1G_bEUljE0_EEESZ_S10_S11_S18_S1C_S1E_T6_T7_T9_mT8_S1G_bDpT10_ENKUlT_T0_E_clISt17integral_constantIbLb1EES1T_IbLb0EEEEDaS1P_S1Q_EUlS1P_E_NS1_11comp_targetILNS1_3genE8ELNS1_11target_archE1030ELNS1_3gpuE2ELNS1_3repE0EEENS1_30default_config_static_selectorELNS0_4arch9wavefront6targetE0EEEvS12_.private_seg_size, 0
	.set _ZN7rocprim17ROCPRIM_400000_NS6detail17trampoline_kernelINS0_13select_configILj256ELj13ELNS0_17block_load_methodE3ELS4_3ELS4_3ELNS0_20block_scan_algorithmE0ELj4294967295EEENS1_25partition_config_selectorILNS1_17partition_subalgoE4EjNS0_10empty_typeEbEEZZNS1_14partition_implILS8_4ELb0ES6_15HIP_vector_typeIjLj2EENS0_17counting_iteratorIjlEEPS9_SG_NS0_5tupleIJPjSI_NS0_16reverse_iteratorISI_EEEEENSH_IJSG_SG_SG_EEES9_SI_JZNS1_25segmented_radix_sort_implINS0_14default_configELb1EPKhPhPKlPlN2at6native12_GLOBAL__N_18offset_tEEE10hipError_tPvRmT1_PNSt15iterator_traitsIS12_E10value_typeET2_T3_PNS13_IS18_E10value_typeET4_jRbjT5_S1E_jjP12ihipStream_tbEUljE_ZNSN_ISO_Lb1ESQ_SR_ST_SU_SY_EESZ_S10_S11_S12_S16_S17_S18_S1B_S1C_jS1D_jS1E_S1E_jjS1G_bEUljE0_EEESZ_S10_S11_S18_S1C_S1E_T6_T7_T9_mT8_S1G_bDpT10_ENKUlT_T0_E_clISt17integral_constantIbLb1EES1T_IbLb0EEEEDaS1P_S1Q_EUlS1P_E_NS1_11comp_targetILNS1_3genE8ELNS1_11target_archE1030ELNS1_3gpuE2ELNS1_3repE0EEENS1_30default_config_static_selectorELNS0_4arch9wavefront6targetE0EEEvS12_.uses_vcc, 0
	.set _ZN7rocprim17ROCPRIM_400000_NS6detail17trampoline_kernelINS0_13select_configILj256ELj13ELNS0_17block_load_methodE3ELS4_3ELS4_3ELNS0_20block_scan_algorithmE0ELj4294967295EEENS1_25partition_config_selectorILNS1_17partition_subalgoE4EjNS0_10empty_typeEbEEZZNS1_14partition_implILS8_4ELb0ES6_15HIP_vector_typeIjLj2EENS0_17counting_iteratorIjlEEPS9_SG_NS0_5tupleIJPjSI_NS0_16reverse_iteratorISI_EEEEENSH_IJSG_SG_SG_EEES9_SI_JZNS1_25segmented_radix_sort_implINS0_14default_configELb1EPKhPhPKlPlN2at6native12_GLOBAL__N_18offset_tEEE10hipError_tPvRmT1_PNSt15iterator_traitsIS12_E10value_typeET2_T3_PNS13_IS18_E10value_typeET4_jRbjT5_S1E_jjP12ihipStream_tbEUljE_ZNSN_ISO_Lb1ESQ_SR_ST_SU_SY_EESZ_S10_S11_S12_S16_S17_S18_S1B_S1C_jS1D_jS1E_S1E_jjS1G_bEUljE0_EEESZ_S10_S11_S18_S1C_S1E_T6_T7_T9_mT8_S1G_bDpT10_ENKUlT_T0_E_clISt17integral_constantIbLb1EES1T_IbLb0EEEEDaS1P_S1Q_EUlS1P_E_NS1_11comp_targetILNS1_3genE8ELNS1_11target_archE1030ELNS1_3gpuE2ELNS1_3repE0EEENS1_30default_config_static_selectorELNS0_4arch9wavefront6targetE0EEEvS12_.uses_flat_scratch, 0
	.set _ZN7rocprim17ROCPRIM_400000_NS6detail17trampoline_kernelINS0_13select_configILj256ELj13ELNS0_17block_load_methodE3ELS4_3ELS4_3ELNS0_20block_scan_algorithmE0ELj4294967295EEENS1_25partition_config_selectorILNS1_17partition_subalgoE4EjNS0_10empty_typeEbEEZZNS1_14partition_implILS8_4ELb0ES6_15HIP_vector_typeIjLj2EENS0_17counting_iteratorIjlEEPS9_SG_NS0_5tupleIJPjSI_NS0_16reverse_iteratorISI_EEEEENSH_IJSG_SG_SG_EEES9_SI_JZNS1_25segmented_radix_sort_implINS0_14default_configELb1EPKhPhPKlPlN2at6native12_GLOBAL__N_18offset_tEEE10hipError_tPvRmT1_PNSt15iterator_traitsIS12_E10value_typeET2_T3_PNS13_IS18_E10value_typeET4_jRbjT5_S1E_jjP12ihipStream_tbEUljE_ZNSN_ISO_Lb1ESQ_SR_ST_SU_SY_EESZ_S10_S11_S12_S16_S17_S18_S1B_S1C_jS1D_jS1E_S1E_jjS1G_bEUljE0_EEESZ_S10_S11_S18_S1C_S1E_T6_T7_T9_mT8_S1G_bDpT10_ENKUlT_T0_E_clISt17integral_constantIbLb1EES1T_IbLb0EEEEDaS1P_S1Q_EUlS1P_E_NS1_11comp_targetILNS1_3genE8ELNS1_11target_archE1030ELNS1_3gpuE2ELNS1_3repE0EEENS1_30default_config_static_selectorELNS0_4arch9wavefront6targetE0EEEvS12_.has_dyn_sized_stack, 0
	.set _ZN7rocprim17ROCPRIM_400000_NS6detail17trampoline_kernelINS0_13select_configILj256ELj13ELNS0_17block_load_methodE3ELS4_3ELS4_3ELNS0_20block_scan_algorithmE0ELj4294967295EEENS1_25partition_config_selectorILNS1_17partition_subalgoE4EjNS0_10empty_typeEbEEZZNS1_14partition_implILS8_4ELb0ES6_15HIP_vector_typeIjLj2EENS0_17counting_iteratorIjlEEPS9_SG_NS0_5tupleIJPjSI_NS0_16reverse_iteratorISI_EEEEENSH_IJSG_SG_SG_EEES9_SI_JZNS1_25segmented_radix_sort_implINS0_14default_configELb1EPKhPhPKlPlN2at6native12_GLOBAL__N_18offset_tEEE10hipError_tPvRmT1_PNSt15iterator_traitsIS12_E10value_typeET2_T3_PNS13_IS18_E10value_typeET4_jRbjT5_S1E_jjP12ihipStream_tbEUljE_ZNSN_ISO_Lb1ESQ_SR_ST_SU_SY_EESZ_S10_S11_S12_S16_S17_S18_S1B_S1C_jS1D_jS1E_S1E_jjS1G_bEUljE0_EEESZ_S10_S11_S18_S1C_S1E_T6_T7_T9_mT8_S1G_bDpT10_ENKUlT_T0_E_clISt17integral_constantIbLb1EES1T_IbLb0EEEEDaS1P_S1Q_EUlS1P_E_NS1_11comp_targetILNS1_3genE8ELNS1_11target_archE1030ELNS1_3gpuE2ELNS1_3repE0EEENS1_30default_config_static_selectorELNS0_4arch9wavefront6targetE0EEEvS12_.has_recursion, 0
	.set _ZN7rocprim17ROCPRIM_400000_NS6detail17trampoline_kernelINS0_13select_configILj256ELj13ELNS0_17block_load_methodE3ELS4_3ELS4_3ELNS0_20block_scan_algorithmE0ELj4294967295EEENS1_25partition_config_selectorILNS1_17partition_subalgoE4EjNS0_10empty_typeEbEEZZNS1_14partition_implILS8_4ELb0ES6_15HIP_vector_typeIjLj2EENS0_17counting_iteratorIjlEEPS9_SG_NS0_5tupleIJPjSI_NS0_16reverse_iteratorISI_EEEEENSH_IJSG_SG_SG_EEES9_SI_JZNS1_25segmented_radix_sort_implINS0_14default_configELb1EPKhPhPKlPlN2at6native12_GLOBAL__N_18offset_tEEE10hipError_tPvRmT1_PNSt15iterator_traitsIS12_E10value_typeET2_T3_PNS13_IS18_E10value_typeET4_jRbjT5_S1E_jjP12ihipStream_tbEUljE_ZNSN_ISO_Lb1ESQ_SR_ST_SU_SY_EESZ_S10_S11_S12_S16_S17_S18_S1B_S1C_jS1D_jS1E_S1E_jjS1G_bEUljE0_EEESZ_S10_S11_S18_S1C_S1E_T6_T7_T9_mT8_S1G_bDpT10_ENKUlT_T0_E_clISt17integral_constantIbLb1EES1T_IbLb0EEEEDaS1P_S1Q_EUlS1P_E_NS1_11comp_targetILNS1_3genE8ELNS1_11target_archE1030ELNS1_3gpuE2ELNS1_3repE0EEENS1_30default_config_static_selectorELNS0_4arch9wavefront6targetE0EEEvS12_.has_indirect_call, 0
	.section	.AMDGPU.csdata,"",@progbits
; Kernel info:
; codeLenInByte = 0
; TotalNumSgprs: 0
; NumVgprs: 0
; ScratchSize: 0
; MemoryBound: 0
; FloatMode: 240
; IeeeMode: 1
; LDSByteSize: 0 bytes/workgroup (compile time only)
; SGPRBlocks: 0
; VGPRBlocks: 0
; NumSGPRsForWavesPerEU: 1
; NumVGPRsForWavesPerEU: 1
; Occupancy: 16
; WaveLimiterHint : 0
; COMPUTE_PGM_RSRC2:SCRATCH_EN: 0
; COMPUTE_PGM_RSRC2:USER_SGPR: 2
; COMPUTE_PGM_RSRC2:TRAP_HANDLER: 0
; COMPUTE_PGM_RSRC2:TGID_X_EN: 1
; COMPUTE_PGM_RSRC2:TGID_Y_EN: 0
; COMPUTE_PGM_RSRC2:TGID_Z_EN: 0
; COMPUTE_PGM_RSRC2:TIDIG_COMP_CNT: 0
	.section	.text._ZN7rocprim17ROCPRIM_400000_NS6detail31init_lookback_scan_state_kernelINS1_19lookback_scan_stateI15HIP_vector_typeIjLj2EELb0ELb1EEENS1_16block_id_wrapperIjLb1EEEEEvT_jT0_jPNS9_10value_typeE,"axG",@progbits,_ZN7rocprim17ROCPRIM_400000_NS6detail31init_lookback_scan_state_kernelINS1_19lookback_scan_stateI15HIP_vector_typeIjLj2EELb0ELb1EEENS1_16block_id_wrapperIjLb1EEEEEvT_jT0_jPNS9_10value_typeE,comdat
	.protected	_ZN7rocprim17ROCPRIM_400000_NS6detail31init_lookback_scan_state_kernelINS1_19lookback_scan_stateI15HIP_vector_typeIjLj2EELb0ELb1EEENS1_16block_id_wrapperIjLb1EEEEEvT_jT0_jPNS9_10value_typeE ; -- Begin function _ZN7rocprim17ROCPRIM_400000_NS6detail31init_lookback_scan_state_kernelINS1_19lookback_scan_stateI15HIP_vector_typeIjLj2EELb0ELb1EEENS1_16block_id_wrapperIjLb1EEEEEvT_jT0_jPNS9_10value_typeE
	.globl	_ZN7rocprim17ROCPRIM_400000_NS6detail31init_lookback_scan_state_kernelINS1_19lookback_scan_stateI15HIP_vector_typeIjLj2EELb0ELb1EEENS1_16block_id_wrapperIjLb1EEEEEvT_jT0_jPNS9_10value_typeE
	.p2align	8
	.type	_ZN7rocprim17ROCPRIM_400000_NS6detail31init_lookback_scan_state_kernelINS1_19lookback_scan_stateI15HIP_vector_typeIjLj2EELb0ELb1EEENS1_16block_id_wrapperIjLb1EEEEEvT_jT0_jPNS9_10value_typeE,@function
_ZN7rocprim17ROCPRIM_400000_NS6detail31init_lookback_scan_state_kernelINS1_19lookback_scan_stateI15HIP_vector_typeIjLj2EELb0ELb1EEENS1_16block_id_wrapperIjLb1EEEEEvT_jT0_jPNS9_10value_typeE: ; @_ZN7rocprim17ROCPRIM_400000_NS6detail31init_lookback_scan_state_kernelINS1_19lookback_scan_stateI15HIP_vector_typeIjLj2EELb0ELb1EEENS1_16block_id_wrapperIjLb1EEEEEvT_jT0_jPNS9_10value_typeE
; %bb.0:
	s_clause 0x2
	s_load_b32 s7, s[0:1], 0x34
	s_load_b64 s[2:3], s[0:1], 0x20
	s_load_b96 s[4:6], s[0:1], 0x0
	s_wait_kmcnt 0x0
	s_and_b32 s7, s7, 0xffff
	s_cmp_eq_u64 s[2:3], 0
	v_mad_co_u64_u32 v[0:1], null, ttmp9, s7, v[0:1]
	s_cbranch_scc1 .LBB38_8
; %bb.1:
	s_load_b32 s8, s[0:1], 0x18
	s_mov_b32 s9, 0
	s_wait_kmcnt 0x0
	s_cmp_lt_u32 s8, s6
	s_cselect_b32 s7, s8, 0
	s_wait_alu 0xfffe
	v_cmp_eq_u32_e32 vcc_lo, s7, v0
	s_and_saveexec_b32 s7, vcc_lo
	s_cbranch_execz .LBB38_7
; %bb.2:
	s_add_co_i32 s8, s8, 32
	s_mov_b32 s10, exec_lo
	s_lshl_b64 s[8:9], s[8:9], 4
	v_mov_b32_e32 v5, 0
	s_add_nc_u64 s[8:9], s[4:5], s[8:9]
	s_delay_alu instid0(SALU_CYCLE_1) | instskip(SKIP_2) | instid1(VALU_DEP_1)
	v_dual_mov_b32 v1, s8 :: v_dual_mov_b32 v2, s9
	;;#ASMSTART
	global_load_b128 v[1:4], v[1:2] off scope:SCOPE_DEV	
s_wait_loadcnt 0x0
	;;#ASMEND
	v_and_b32_e32 v4, 0xff, v3
	v_cmpx_eq_u64_e32 0, v[4:5]
	s_cbranch_execz .LBB38_6
; %bb.3:
	v_dual_mov_b32 v6, s8 :: v_dual_mov_b32 v7, s9
	s_mov_b32 s8, 0
.LBB38_4:                               ; =>This Inner Loop Header: Depth=1
	;;#ASMSTART
	global_load_b128 v[1:4], v[6:7] off scope:SCOPE_DEV	
s_wait_loadcnt 0x0
	;;#ASMEND
	v_and_b32_e32 v4, 0xff, v3
	s_delay_alu instid0(VALU_DEP_1)
	v_cmp_ne_u64_e32 vcc_lo, 0, v[4:5]
	s_wait_alu 0xfffe
	s_or_b32 s8, vcc_lo, s8
	s_wait_alu 0xfffe
	s_and_not1_b32 exec_lo, exec_lo, s8
	s_cbranch_execnz .LBB38_4
; %bb.5:
	s_or_b32 exec_lo, exec_lo, s8
.LBB38_6:
	s_delay_alu instid0(SALU_CYCLE_1)
	s_or_b32 exec_lo, exec_lo, s10
	v_mov_b32_e32 v3, 0
	global_store_b64 v3, v[1:2], s[2:3]
.LBB38_7:
	s_wait_alu 0xfffe
	s_or_b32 exec_lo, exec_lo, s7
.LBB38_8:
	s_delay_alu instid0(SALU_CYCLE_1)
	s_mov_b32 s2, exec_lo
	v_cmpx_eq_u32_e32 0, v0
	s_cbranch_execz .LBB38_10
; %bb.9:
	s_load_b64 s[0:1], s[0:1], 0x10
	v_mov_b32_e32 v1, 0
	s_wait_kmcnt 0x0
	global_store_b32 v1, v1, s[0:1]
.LBB38_10:
	s_or_b32 exec_lo, exec_lo, s2
	s_delay_alu instid0(SALU_CYCLE_1)
	s_mov_b32 s0, exec_lo
	v_cmpx_gt_u32_e64 s6, v0
	s_cbranch_execz .LBB38_12
; %bb.11:
	v_dual_mov_b32 v2, 0 :: v_dual_add_nc_u32 v1, 32, v0
	s_delay_alu instid0(VALU_DEP_1) | instskip(SKIP_2) | instid1(VALU_DEP_3)
	v_lshlrev_b64_e32 v[4:5], 4, v[1:2]
	v_mov_b32_e32 v1, v2
	v_mov_b32_e32 v3, v2
	v_add_co_u32 v6, vcc_lo, s4, v4
	s_delay_alu instid0(VALU_DEP_1)
	v_add_co_ci_u32_e64 v7, null, s5, v5, vcc_lo
	v_mov_b32_e32 v4, v2
	global_store_b128 v[6:7], v[1:4], off
.LBB38_12:
	s_wait_alu 0xfffe
	s_or_b32 exec_lo, exec_lo, s0
	s_delay_alu instid0(SALU_CYCLE_1)
	s_mov_b32 s0, exec_lo
	v_cmpx_gt_u32_e32 32, v0
	s_cbranch_execz .LBB38_14
; %bb.13:
	v_dual_mov_b32 v1, 0 :: v_dual_mov_b32 v2, 0xff
	s_delay_alu instid0(VALU_DEP_1) | instskip(SKIP_1) | instid1(VALU_DEP_2)
	v_lshlrev_b64_e32 v[3:4], 4, v[0:1]
	v_mov_b32_e32 v0, v1
	v_add_co_u32 v5, vcc_lo, s4, v3
	s_wait_alu 0xfffd
	s_delay_alu instid0(VALU_DEP_3)
	v_add_co_ci_u32_e64 v6, null, s5, v4, vcc_lo
	v_mov_b32_e32 v3, v1
	global_store_b128 v[5:6], v[0:3], off
.LBB38_14:
	s_endpgm
	.section	.rodata,"a",@progbits
	.p2align	6, 0x0
	.amdhsa_kernel _ZN7rocprim17ROCPRIM_400000_NS6detail31init_lookback_scan_state_kernelINS1_19lookback_scan_stateI15HIP_vector_typeIjLj2EELb0ELb1EEENS1_16block_id_wrapperIjLb1EEEEEvT_jT0_jPNS9_10value_typeE
		.amdhsa_group_segment_fixed_size 0
		.amdhsa_private_segment_fixed_size 0
		.amdhsa_kernarg_size 296
		.amdhsa_user_sgpr_count 2
		.amdhsa_user_sgpr_dispatch_ptr 0
		.amdhsa_user_sgpr_queue_ptr 0
		.amdhsa_user_sgpr_kernarg_segment_ptr 1
		.amdhsa_user_sgpr_dispatch_id 0
		.amdhsa_user_sgpr_private_segment_size 0
		.amdhsa_wavefront_size32 1
		.amdhsa_uses_dynamic_stack 0
		.amdhsa_enable_private_segment 0
		.amdhsa_system_sgpr_workgroup_id_x 1
		.amdhsa_system_sgpr_workgroup_id_y 0
		.amdhsa_system_sgpr_workgroup_id_z 0
		.amdhsa_system_sgpr_workgroup_info 0
		.amdhsa_system_vgpr_workitem_id 0
		.amdhsa_next_free_vgpr 8
		.amdhsa_next_free_sgpr 11
		.amdhsa_reserve_vcc 1
		.amdhsa_float_round_mode_32 0
		.amdhsa_float_round_mode_16_64 0
		.amdhsa_float_denorm_mode_32 3
		.amdhsa_float_denorm_mode_16_64 3
		.amdhsa_fp16_overflow 0
		.amdhsa_workgroup_processor_mode 1
		.amdhsa_memory_ordered 1
		.amdhsa_forward_progress 1
		.amdhsa_inst_pref_size 4
		.amdhsa_round_robin_scheduling 0
		.amdhsa_exception_fp_ieee_invalid_op 0
		.amdhsa_exception_fp_denorm_src 0
		.amdhsa_exception_fp_ieee_div_zero 0
		.amdhsa_exception_fp_ieee_overflow 0
		.amdhsa_exception_fp_ieee_underflow 0
		.amdhsa_exception_fp_ieee_inexact 0
		.amdhsa_exception_int_div_zero 0
	.end_amdhsa_kernel
	.section	.text._ZN7rocprim17ROCPRIM_400000_NS6detail31init_lookback_scan_state_kernelINS1_19lookback_scan_stateI15HIP_vector_typeIjLj2EELb0ELb1EEENS1_16block_id_wrapperIjLb1EEEEEvT_jT0_jPNS9_10value_typeE,"axG",@progbits,_ZN7rocprim17ROCPRIM_400000_NS6detail31init_lookback_scan_state_kernelINS1_19lookback_scan_stateI15HIP_vector_typeIjLj2EELb0ELb1EEENS1_16block_id_wrapperIjLb1EEEEEvT_jT0_jPNS9_10value_typeE,comdat
.Lfunc_end38:
	.size	_ZN7rocprim17ROCPRIM_400000_NS6detail31init_lookback_scan_state_kernelINS1_19lookback_scan_stateI15HIP_vector_typeIjLj2EELb0ELb1EEENS1_16block_id_wrapperIjLb1EEEEEvT_jT0_jPNS9_10value_typeE, .Lfunc_end38-_ZN7rocprim17ROCPRIM_400000_NS6detail31init_lookback_scan_state_kernelINS1_19lookback_scan_stateI15HIP_vector_typeIjLj2EELb0ELb1EEENS1_16block_id_wrapperIjLb1EEEEEvT_jT0_jPNS9_10value_typeE
                                        ; -- End function
	.set _ZN7rocprim17ROCPRIM_400000_NS6detail31init_lookback_scan_state_kernelINS1_19lookback_scan_stateI15HIP_vector_typeIjLj2EELb0ELb1EEENS1_16block_id_wrapperIjLb1EEEEEvT_jT0_jPNS9_10value_typeE.num_vgpr, 8
	.set _ZN7rocprim17ROCPRIM_400000_NS6detail31init_lookback_scan_state_kernelINS1_19lookback_scan_stateI15HIP_vector_typeIjLj2EELb0ELb1EEENS1_16block_id_wrapperIjLb1EEEEEvT_jT0_jPNS9_10value_typeE.num_agpr, 0
	.set _ZN7rocprim17ROCPRIM_400000_NS6detail31init_lookback_scan_state_kernelINS1_19lookback_scan_stateI15HIP_vector_typeIjLj2EELb0ELb1EEENS1_16block_id_wrapperIjLb1EEEEEvT_jT0_jPNS9_10value_typeE.numbered_sgpr, 11
	.set _ZN7rocprim17ROCPRIM_400000_NS6detail31init_lookback_scan_state_kernelINS1_19lookback_scan_stateI15HIP_vector_typeIjLj2EELb0ELb1EEENS1_16block_id_wrapperIjLb1EEEEEvT_jT0_jPNS9_10value_typeE.num_named_barrier, 0
	.set _ZN7rocprim17ROCPRIM_400000_NS6detail31init_lookback_scan_state_kernelINS1_19lookback_scan_stateI15HIP_vector_typeIjLj2EELb0ELb1EEENS1_16block_id_wrapperIjLb1EEEEEvT_jT0_jPNS9_10value_typeE.private_seg_size, 0
	.set _ZN7rocprim17ROCPRIM_400000_NS6detail31init_lookback_scan_state_kernelINS1_19lookback_scan_stateI15HIP_vector_typeIjLj2EELb0ELb1EEENS1_16block_id_wrapperIjLb1EEEEEvT_jT0_jPNS9_10value_typeE.uses_vcc, 1
	.set _ZN7rocprim17ROCPRIM_400000_NS6detail31init_lookback_scan_state_kernelINS1_19lookback_scan_stateI15HIP_vector_typeIjLj2EELb0ELb1EEENS1_16block_id_wrapperIjLb1EEEEEvT_jT0_jPNS9_10value_typeE.uses_flat_scratch, 0
	.set _ZN7rocprim17ROCPRIM_400000_NS6detail31init_lookback_scan_state_kernelINS1_19lookback_scan_stateI15HIP_vector_typeIjLj2EELb0ELb1EEENS1_16block_id_wrapperIjLb1EEEEEvT_jT0_jPNS9_10value_typeE.has_dyn_sized_stack, 0
	.set _ZN7rocprim17ROCPRIM_400000_NS6detail31init_lookback_scan_state_kernelINS1_19lookback_scan_stateI15HIP_vector_typeIjLj2EELb0ELb1EEENS1_16block_id_wrapperIjLb1EEEEEvT_jT0_jPNS9_10value_typeE.has_recursion, 0
	.set _ZN7rocprim17ROCPRIM_400000_NS6detail31init_lookback_scan_state_kernelINS1_19lookback_scan_stateI15HIP_vector_typeIjLj2EELb0ELb1EEENS1_16block_id_wrapperIjLb1EEEEEvT_jT0_jPNS9_10value_typeE.has_indirect_call, 0
	.section	.AMDGPU.csdata,"",@progbits
; Kernel info:
; codeLenInByte = 448
; TotalNumSgprs: 13
; NumVgprs: 8
; ScratchSize: 0
; MemoryBound: 0
; FloatMode: 240
; IeeeMode: 1
; LDSByteSize: 0 bytes/workgroup (compile time only)
; SGPRBlocks: 0
; VGPRBlocks: 0
; NumSGPRsForWavesPerEU: 13
; NumVGPRsForWavesPerEU: 8
; Occupancy: 16
; WaveLimiterHint : 0
; COMPUTE_PGM_RSRC2:SCRATCH_EN: 0
; COMPUTE_PGM_RSRC2:USER_SGPR: 2
; COMPUTE_PGM_RSRC2:TRAP_HANDLER: 0
; COMPUTE_PGM_RSRC2:TGID_X_EN: 1
; COMPUTE_PGM_RSRC2:TGID_Y_EN: 0
; COMPUTE_PGM_RSRC2:TGID_Z_EN: 0
; COMPUTE_PGM_RSRC2:TIDIG_COMP_CNT: 0
	.section	.text._ZN7rocprim17ROCPRIM_400000_NS6detail17trampoline_kernelINS0_13select_configILj256ELj13ELNS0_17block_load_methodE3ELS4_3ELS4_3ELNS0_20block_scan_algorithmE0ELj4294967295EEENS1_25partition_config_selectorILNS1_17partition_subalgoE4EjNS0_10empty_typeEbEEZZNS1_14partition_implILS8_4ELb0ES6_15HIP_vector_typeIjLj2EENS0_17counting_iteratorIjlEEPS9_SG_NS0_5tupleIJPjSI_NS0_16reverse_iteratorISI_EEEEENSH_IJSG_SG_SG_EEES9_SI_JZNS1_25segmented_radix_sort_implINS0_14default_configELb1EPKhPhPKlPlN2at6native12_GLOBAL__N_18offset_tEEE10hipError_tPvRmT1_PNSt15iterator_traitsIS12_E10value_typeET2_T3_PNS13_IS18_E10value_typeET4_jRbjT5_S1E_jjP12ihipStream_tbEUljE_ZNSN_ISO_Lb1ESQ_SR_ST_SU_SY_EESZ_S10_S11_S12_S16_S17_S18_S1B_S1C_jS1D_jS1E_S1E_jjS1G_bEUljE0_EEESZ_S10_S11_S18_S1C_S1E_T6_T7_T9_mT8_S1G_bDpT10_ENKUlT_T0_E_clISt17integral_constantIbLb0EES1T_IbLb1EEEEDaS1P_S1Q_EUlS1P_E_NS1_11comp_targetILNS1_3genE0ELNS1_11target_archE4294967295ELNS1_3gpuE0ELNS1_3repE0EEENS1_30default_config_static_selectorELNS0_4arch9wavefront6targetE0EEEvS12_,"axG",@progbits,_ZN7rocprim17ROCPRIM_400000_NS6detail17trampoline_kernelINS0_13select_configILj256ELj13ELNS0_17block_load_methodE3ELS4_3ELS4_3ELNS0_20block_scan_algorithmE0ELj4294967295EEENS1_25partition_config_selectorILNS1_17partition_subalgoE4EjNS0_10empty_typeEbEEZZNS1_14partition_implILS8_4ELb0ES6_15HIP_vector_typeIjLj2EENS0_17counting_iteratorIjlEEPS9_SG_NS0_5tupleIJPjSI_NS0_16reverse_iteratorISI_EEEEENSH_IJSG_SG_SG_EEES9_SI_JZNS1_25segmented_radix_sort_implINS0_14default_configELb1EPKhPhPKlPlN2at6native12_GLOBAL__N_18offset_tEEE10hipError_tPvRmT1_PNSt15iterator_traitsIS12_E10value_typeET2_T3_PNS13_IS18_E10value_typeET4_jRbjT5_S1E_jjP12ihipStream_tbEUljE_ZNSN_ISO_Lb1ESQ_SR_ST_SU_SY_EESZ_S10_S11_S12_S16_S17_S18_S1B_S1C_jS1D_jS1E_S1E_jjS1G_bEUljE0_EEESZ_S10_S11_S18_S1C_S1E_T6_T7_T9_mT8_S1G_bDpT10_ENKUlT_T0_E_clISt17integral_constantIbLb0EES1T_IbLb1EEEEDaS1P_S1Q_EUlS1P_E_NS1_11comp_targetILNS1_3genE0ELNS1_11target_archE4294967295ELNS1_3gpuE0ELNS1_3repE0EEENS1_30default_config_static_selectorELNS0_4arch9wavefront6targetE0EEEvS12_,comdat
	.globl	_ZN7rocprim17ROCPRIM_400000_NS6detail17trampoline_kernelINS0_13select_configILj256ELj13ELNS0_17block_load_methodE3ELS4_3ELS4_3ELNS0_20block_scan_algorithmE0ELj4294967295EEENS1_25partition_config_selectorILNS1_17partition_subalgoE4EjNS0_10empty_typeEbEEZZNS1_14partition_implILS8_4ELb0ES6_15HIP_vector_typeIjLj2EENS0_17counting_iteratorIjlEEPS9_SG_NS0_5tupleIJPjSI_NS0_16reverse_iteratorISI_EEEEENSH_IJSG_SG_SG_EEES9_SI_JZNS1_25segmented_radix_sort_implINS0_14default_configELb1EPKhPhPKlPlN2at6native12_GLOBAL__N_18offset_tEEE10hipError_tPvRmT1_PNSt15iterator_traitsIS12_E10value_typeET2_T3_PNS13_IS18_E10value_typeET4_jRbjT5_S1E_jjP12ihipStream_tbEUljE_ZNSN_ISO_Lb1ESQ_SR_ST_SU_SY_EESZ_S10_S11_S12_S16_S17_S18_S1B_S1C_jS1D_jS1E_S1E_jjS1G_bEUljE0_EEESZ_S10_S11_S18_S1C_S1E_T6_T7_T9_mT8_S1G_bDpT10_ENKUlT_T0_E_clISt17integral_constantIbLb0EES1T_IbLb1EEEEDaS1P_S1Q_EUlS1P_E_NS1_11comp_targetILNS1_3genE0ELNS1_11target_archE4294967295ELNS1_3gpuE0ELNS1_3repE0EEENS1_30default_config_static_selectorELNS0_4arch9wavefront6targetE0EEEvS12_ ; -- Begin function _ZN7rocprim17ROCPRIM_400000_NS6detail17trampoline_kernelINS0_13select_configILj256ELj13ELNS0_17block_load_methodE3ELS4_3ELS4_3ELNS0_20block_scan_algorithmE0ELj4294967295EEENS1_25partition_config_selectorILNS1_17partition_subalgoE4EjNS0_10empty_typeEbEEZZNS1_14partition_implILS8_4ELb0ES6_15HIP_vector_typeIjLj2EENS0_17counting_iteratorIjlEEPS9_SG_NS0_5tupleIJPjSI_NS0_16reverse_iteratorISI_EEEEENSH_IJSG_SG_SG_EEES9_SI_JZNS1_25segmented_radix_sort_implINS0_14default_configELb1EPKhPhPKlPlN2at6native12_GLOBAL__N_18offset_tEEE10hipError_tPvRmT1_PNSt15iterator_traitsIS12_E10value_typeET2_T3_PNS13_IS18_E10value_typeET4_jRbjT5_S1E_jjP12ihipStream_tbEUljE_ZNSN_ISO_Lb1ESQ_SR_ST_SU_SY_EESZ_S10_S11_S12_S16_S17_S18_S1B_S1C_jS1D_jS1E_S1E_jjS1G_bEUljE0_EEESZ_S10_S11_S18_S1C_S1E_T6_T7_T9_mT8_S1G_bDpT10_ENKUlT_T0_E_clISt17integral_constantIbLb0EES1T_IbLb1EEEEDaS1P_S1Q_EUlS1P_E_NS1_11comp_targetILNS1_3genE0ELNS1_11target_archE4294967295ELNS1_3gpuE0ELNS1_3repE0EEENS1_30default_config_static_selectorELNS0_4arch9wavefront6targetE0EEEvS12_
	.p2align	8
	.type	_ZN7rocprim17ROCPRIM_400000_NS6detail17trampoline_kernelINS0_13select_configILj256ELj13ELNS0_17block_load_methodE3ELS4_3ELS4_3ELNS0_20block_scan_algorithmE0ELj4294967295EEENS1_25partition_config_selectorILNS1_17partition_subalgoE4EjNS0_10empty_typeEbEEZZNS1_14partition_implILS8_4ELb0ES6_15HIP_vector_typeIjLj2EENS0_17counting_iteratorIjlEEPS9_SG_NS0_5tupleIJPjSI_NS0_16reverse_iteratorISI_EEEEENSH_IJSG_SG_SG_EEES9_SI_JZNS1_25segmented_radix_sort_implINS0_14default_configELb1EPKhPhPKlPlN2at6native12_GLOBAL__N_18offset_tEEE10hipError_tPvRmT1_PNSt15iterator_traitsIS12_E10value_typeET2_T3_PNS13_IS18_E10value_typeET4_jRbjT5_S1E_jjP12ihipStream_tbEUljE_ZNSN_ISO_Lb1ESQ_SR_ST_SU_SY_EESZ_S10_S11_S12_S16_S17_S18_S1B_S1C_jS1D_jS1E_S1E_jjS1G_bEUljE0_EEESZ_S10_S11_S18_S1C_S1E_T6_T7_T9_mT8_S1G_bDpT10_ENKUlT_T0_E_clISt17integral_constantIbLb0EES1T_IbLb1EEEEDaS1P_S1Q_EUlS1P_E_NS1_11comp_targetILNS1_3genE0ELNS1_11target_archE4294967295ELNS1_3gpuE0ELNS1_3repE0EEENS1_30default_config_static_selectorELNS0_4arch9wavefront6targetE0EEEvS12_,@function
_ZN7rocprim17ROCPRIM_400000_NS6detail17trampoline_kernelINS0_13select_configILj256ELj13ELNS0_17block_load_methodE3ELS4_3ELS4_3ELNS0_20block_scan_algorithmE0ELj4294967295EEENS1_25partition_config_selectorILNS1_17partition_subalgoE4EjNS0_10empty_typeEbEEZZNS1_14partition_implILS8_4ELb0ES6_15HIP_vector_typeIjLj2EENS0_17counting_iteratorIjlEEPS9_SG_NS0_5tupleIJPjSI_NS0_16reverse_iteratorISI_EEEEENSH_IJSG_SG_SG_EEES9_SI_JZNS1_25segmented_radix_sort_implINS0_14default_configELb1EPKhPhPKlPlN2at6native12_GLOBAL__N_18offset_tEEE10hipError_tPvRmT1_PNSt15iterator_traitsIS12_E10value_typeET2_T3_PNS13_IS18_E10value_typeET4_jRbjT5_S1E_jjP12ihipStream_tbEUljE_ZNSN_ISO_Lb1ESQ_SR_ST_SU_SY_EESZ_S10_S11_S12_S16_S17_S18_S1B_S1C_jS1D_jS1E_S1E_jjS1G_bEUljE0_EEESZ_S10_S11_S18_S1C_S1E_T6_T7_T9_mT8_S1G_bDpT10_ENKUlT_T0_E_clISt17integral_constantIbLb0EES1T_IbLb1EEEEDaS1P_S1Q_EUlS1P_E_NS1_11comp_targetILNS1_3genE0ELNS1_11target_archE4294967295ELNS1_3gpuE0ELNS1_3repE0EEENS1_30default_config_static_selectorELNS0_4arch9wavefront6targetE0EEEvS12_: ; @_ZN7rocprim17ROCPRIM_400000_NS6detail17trampoline_kernelINS0_13select_configILj256ELj13ELNS0_17block_load_methodE3ELS4_3ELS4_3ELNS0_20block_scan_algorithmE0ELj4294967295EEENS1_25partition_config_selectorILNS1_17partition_subalgoE4EjNS0_10empty_typeEbEEZZNS1_14partition_implILS8_4ELb0ES6_15HIP_vector_typeIjLj2EENS0_17counting_iteratorIjlEEPS9_SG_NS0_5tupleIJPjSI_NS0_16reverse_iteratorISI_EEEEENSH_IJSG_SG_SG_EEES9_SI_JZNS1_25segmented_radix_sort_implINS0_14default_configELb1EPKhPhPKlPlN2at6native12_GLOBAL__N_18offset_tEEE10hipError_tPvRmT1_PNSt15iterator_traitsIS12_E10value_typeET2_T3_PNS13_IS18_E10value_typeET4_jRbjT5_S1E_jjP12ihipStream_tbEUljE_ZNSN_ISO_Lb1ESQ_SR_ST_SU_SY_EESZ_S10_S11_S12_S16_S17_S18_S1B_S1C_jS1D_jS1E_S1E_jjS1G_bEUljE0_EEESZ_S10_S11_S18_S1C_S1E_T6_T7_T9_mT8_S1G_bDpT10_ENKUlT_T0_E_clISt17integral_constantIbLb0EES1T_IbLb1EEEEDaS1P_S1Q_EUlS1P_E_NS1_11comp_targetILNS1_3genE0ELNS1_11target_archE4294967295ELNS1_3gpuE0ELNS1_3repE0EEENS1_30default_config_static_selectorELNS0_4arch9wavefront6targetE0EEEvS12_
; %bb.0:
	.section	.rodata,"a",@progbits
	.p2align	6, 0x0
	.amdhsa_kernel _ZN7rocprim17ROCPRIM_400000_NS6detail17trampoline_kernelINS0_13select_configILj256ELj13ELNS0_17block_load_methodE3ELS4_3ELS4_3ELNS0_20block_scan_algorithmE0ELj4294967295EEENS1_25partition_config_selectorILNS1_17partition_subalgoE4EjNS0_10empty_typeEbEEZZNS1_14partition_implILS8_4ELb0ES6_15HIP_vector_typeIjLj2EENS0_17counting_iteratorIjlEEPS9_SG_NS0_5tupleIJPjSI_NS0_16reverse_iteratorISI_EEEEENSH_IJSG_SG_SG_EEES9_SI_JZNS1_25segmented_radix_sort_implINS0_14default_configELb1EPKhPhPKlPlN2at6native12_GLOBAL__N_18offset_tEEE10hipError_tPvRmT1_PNSt15iterator_traitsIS12_E10value_typeET2_T3_PNS13_IS18_E10value_typeET4_jRbjT5_S1E_jjP12ihipStream_tbEUljE_ZNSN_ISO_Lb1ESQ_SR_ST_SU_SY_EESZ_S10_S11_S12_S16_S17_S18_S1B_S1C_jS1D_jS1E_S1E_jjS1G_bEUljE0_EEESZ_S10_S11_S18_S1C_S1E_T6_T7_T9_mT8_S1G_bDpT10_ENKUlT_T0_E_clISt17integral_constantIbLb0EES1T_IbLb1EEEEDaS1P_S1Q_EUlS1P_E_NS1_11comp_targetILNS1_3genE0ELNS1_11target_archE4294967295ELNS1_3gpuE0ELNS1_3repE0EEENS1_30default_config_static_selectorELNS0_4arch9wavefront6targetE0EEEvS12_
		.amdhsa_group_segment_fixed_size 0
		.amdhsa_private_segment_fixed_size 0
		.amdhsa_kernarg_size 184
		.amdhsa_user_sgpr_count 2
		.amdhsa_user_sgpr_dispatch_ptr 0
		.amdhsa_user_sgpr_queue_ptr 0
		.amdhsa_user_sgpr_kernarg_segment_ptr 1
		.amdhsa_user_sgpr_dispatch_id 0
		.amdhsa_user_sgpr_private_segment_size 0
		.amdhsa_wavefront_size32 1
		.amdhsa_uses_dynamic_stack 0
		.amdhsa_enable_private_segment 0
		.amdhsa_system_sgpr_workgroup_id_x 1
		.amdhsa_system_sgpr_workgroup_id_y 0
		.amdhsa_system_sgpr_workgroup_id_z 0
		.amdhsa_system_sgpr_workgroup_info 0
		.amdhsa_system_vgpr_workitem_id 0
		.amdhsa_next_free_vgpr 1
		.amdhsa_next_free_sgpr 1
		.amdhsa_reserve_vcc 0
		.amdhsa_float_round_mode_32 0
		.amdhsa_float_round_mode_16_64 0
		.amdhsa_float_denorm_mode_32 3
		.amdhsa_float_denorm_mode_16_64 3
		.amdhsa_fp16_overflow 0
		.amdhsa_workgroup_processor_mode 1
		.amdhsa_memory_ordered 1
		.amdhsa_forward_progress 1
		.amdhsa_inst_pref_size 0
		.amdhsa_round_robin_scheduling 0
		.amdhsa_exception_fp_ieee_invalid_op 0
		.amdhsa_exception_fp_denorm_src 0
		.amdhsa_exception_fp_ieee_div_zero 0
		.amdhsa_exception_fp_ieee_overflow 0
		.amdhsa_exception_fp_ieee_underflow 0
		.amdhsa_exception_fp_ieee_inexact 0
		.amdhsa_exception_int_div_zero 0
	.end_amdhsa_kernel
	.section	.text._ZN7rocprim17ROCPRIM_400000_NS6detail17trampoline_kernelINS0_13select_configILj256ELj13ELNS0_17block_load_methodE3ELS4_3ELS4_3ELNS0_20block_scan_algorithmE0ELj4294967295EEENS1_25partition_config_selectorILNS1_17partition_subalgoE4EjNS0_10empty_typeEbEEZZNS1_14partition_implILS8_4ELb0ES6_15HIP_vector_typeIjLj2EENS0_17counting_iteratorIjlEEPS9_SG_NS0_5tupleIJPjSI_NS0_16reverse_iteratorISI_EEEEENSH_IJSG_SG_SG_EEES9_SI_JZNS1_25segmented_radix_sort_implINS0_14default_configELb1EPKhPhPKlPlN2at6native12_GLOBAL__N_18offset_tEEE10hipError_tPvRmT1_PNSt15iterator_traitsIS12_E10value_typeET2_T3_PNS13_IS18_E10value_typeET4_jRbjT5_S1E_jjP12ihipStream_tbEUljE_ZNSN_ISO_Lb1ESQ_SR_ST_SU_SY_EESZ_S10_S11_S12_S16_S17_S18_S1B_S1C_jS1D_jS1E_S1E_jjS1G_bEUljE0_EEESZ_S10_S11_S18_S1C_S1E_T6_T7_T9_mT8_S1G_bDpT10_ENKUlT_T0_E_clISt17integral_constantIbLb0EES1T_IbLb1EEEEDaS1P_S1Q_EUlS1P_E_NS1_11comp_targetILNS1_3genE0ELNS1_11target_archE4294967295ELNS1_3gpuE0ELNS1_3repE0EEENS1_30default_config_static_selectorELNS0_4arch9wavefront6targetE0EEEvS12_,"axG",@progbits,_ZN7rocprim17ROCPRIM_400000_NS6detail17trampoline_kernelINS0_13select_configILj256ELj13ELNS0_17block_load_methodE3ELS4_3ELS4_3ELNS0_20block_scan_algorithmE0ELj4294967295EEENS1_25partition_config_selectorILNS1_17partition_subalgoE4EjNS0_10empty_typeEbEEZZNS1_14partition_implILS8_4ELb0ES6_15HIP_vector_typeIjLj2EENS0_17counting_iteratorIjlEEPS9_SG_NS0_5tupleIJPjSI_NS0_16reverse_iteratorISI_EEEEENSH_IJSG_SG_SG_EEES9_SI_JZNS1_25segmented_radix_sort_implINS0_14default_configELb1EPKhPhPKlPlN2at6native12_GLOBAL__N_18offset_tEEE10hipError_tPvRmT1_PNSt15iterator_traitsIS12_E10value_typeET2_T3_PNS13_IS18_E10value_typeET4_jRbjT5_S1E_jjP12ihipStream_tbEUljE_ZNSN_ISO_Lb1ESQ_SR_ST_SU_SY_EESZ_S10_S11_S12_S16_S17_S18_S1B_S1C_jS1D_jS1E_S1E_jjS1G_bEUljE0_EEESZ_S10_S11_S18_S1C_S1E_T6_T7_T9_mT8_S1G_bDpT10_ENKUlT_T0_E_clISt17integral_constantIbLb0EES1T_IbLb1EEEEDaS1P_S1Q_EUlS1P_E_NS1_11comp_targetILNS1_3genE0ELNS1_11target_archE4294967295ELNS1_3gpuE0ELNS1_3repE0EEENS1_30default_config_static_selectorELNS0_4arch9wavefront6targetE0EEEvS12_,comdat
.Lfunc_end39:
	.size	_ZN7rocprim17ROCPRIM_400000_NS6detail17trampoline_kernelINS0_13select_configILj256ELj13ELNS0_17block_load_methodE3ELS4_3ELS4_3ELNS0_20block_scan_algorithmE0ELj4294967295EEENS1_25partition_config_selectorILNS1_17partition_subalgoE4EjNS0_10empty_typeEbEEZZNS1_14partition_implILS8_4ELb0ES6_15HIP_vector_typeIjLj2EENS0_17counting_iteratorIjlEEPS9_SG_NS0_5tupleIJPjSI_NS0_16reverse_iteratorISI_EEEEENSH_IJSG_SG_SG_EEES9_SI_JZNS1_25segmented_radix_sort_implINS0_14default_configELb1EPKhPhPKlPlN2at6native12_GLOBAL__N_18offset_tEEE10hipError_tPvRmT1_PNSt15iterator_traitsIS12_E10value_typeET2_T3_PNS13_IS18_E10value_typeET4_jRbjT5_S1E_jjP12ihipStream_tbEUljE_ZNSN_ISO_Lb1ESQ_SR_ST_SU_SY_EESZ_S10_S11_S12_S16_S17_S18_S1B_S1C_jS1D_jS1E_S1E_jjS1G_bEUljE0_EEESZ_S10_S11_S18_S1C_S1E_T6_T7_T9_mT8_S1G_bDpT10_ENKUlT_T0_E_clISt17integral_constantIbLb0EES1T_IbLb1EEEEDaS1P_S1Q_EUlS1P_E_NS1_11comp_targetILNS1_3genE0ELNS1_11target_archE4294967295ELNS1_3gpuE0ELNS1_3repE0EEENS1_30default_config_static_selectorELNS0_4arch9wavefront6targetE0EEEvS12_, .Lfunc_end39-_ZN7rocprim17ROCPRIM_400000_NS6detail17trampoline_kernelINS0_13select_configILj256ELj13ELNS0_17block_load_methodE3ELS4_3ELS4_3ELNS0_20block_scan_algorithmE0ELj4294967295EEENS1_25partition_config_selectorILNS1_17partition_subalgoE4EjNS0_10empty_typeEbEEZZNS1_14partition_implILS8_4ELb0ES6_15HIP_vector_typeIjLj2EENS0_17counting_iteratorIjlEEPS9_SG_NS0_5tupleIJPjSI_NS0_16reverse_iteratorISI_EEEEENSH_IJSG_SG_SG_EEES9_SI_JZNS1_25segmented_radix_sort_implINS0_14default_configELb1EPKhPhPKlPlN2at6native12_GLOBAL__N_18offset_tEEE10hipError_tPvRmT1_PNSt15iterator_traitsIS12_E10value_typeET2_T3_PNS13_IS18_E10value_typeET4_jRbjT5_S1E_jjP12ihipStream_tbEUljE_ZNSN_ISO_Lb1ESQ_SR_ST_SU_SY_EESZ_S10_S11_S12_S16_S17_S18_S1B_S1C_jS1D_jS1E_S1E_jjS1G_bEUljE0_EEESZ_S10_S11_S18_S1C_S1E_T6_T7_T9_mT8_S1G_bDpT10_ENKUlT_T0_E_clISt17integral_constantIbLb0EES1T_IbLb1EEEEDaS1P_S1Q_EUlS1P_E_NS1_11comp_targetILNS1_3genE0ELNS1_11target_archE4294967295ELNS1_3gpuE0ELNS1_3repE0EEENS1_30default_config_static_selectorELNS0_4arch9wavefront6targetE0EEEvS12_
                                        ; -- End function
	.set _ZN7rocprim17ROCPRIM_400000_NS6detail17trampoline_kernelINS0_13select_configILj256ELj13ELNS0_17block_load_methodE3ELS4_3ELS4_3ELNS0_20block_scan_algorithmE0ELj4294967295EEENS1_25partition_config_selectorILNS1_17partition_subalgoE4EjNS0_10empty_typeEbEEZZNS1_14partition_implILS8_4ELb0ES6_15HIP_vector_typeIjLj2EENS0_17counting_iteratorIjlEEPS9_SG_NS0_5tupleIJPjSI_NS0_16reverse_iteratorISI_EEEEENSH_IJSG_SG_SG_EEES9_SI_JZNS1_25segmented_radix_sort_implINS0_14default_configELb1EPKhPhPKlPlN2at6native12_GLOBAL__N_18offset_tEEE10hipError_tPvRmT1_PNSt15iterator_traitsIS12_E10value_typeET2_T3_PNS13_IS18_E10value_typeET4_jRbjT5_S1E_jjP12ihipStream_tbEUljE_ZNSN_ISO_Lb1ESQ_SR_ST_SU_SY_EESZ_S10_S11_S12_S16_S17_S18_S1B_S1C_jS1D_jS1E_S1E_jjS1G_bEUljE0_EEESZ_S10_S11_S18_S1C_S1E_T6_T7_T9_mT8_S1G_bDpT10_ENKUlT_T0_E_clISt17integral_constantIbLb0EES1T_IbLb1EEEEDaS1P_S1Q_EUlS1P_E_NS1_11comp_targetILNS1_3genE0ELNS1_11target_archE4294967295ELNS1_3gpuE0ELNS1_3repE0EEENS1_30default_config_static_selectorELNS0_4arch9wavefront6targetE0EEEvS12_.num_vgpr, 0
	.set _ZN7rocprim17ROCPRIM_400000_NS6detail17trampoline_kernelINS0_13select_configILj256ELj13ELNS0_17block_load_methodE3ELS4_3ELS4_3ELNS0_20block_scan_algorithmE0ELj4294967295EEENS1_25partition_config_selectorILNS1_17partition_subalgoE4EjNS0_10empty_typeEbEEZZNS1_14partition_implILS8_4ELb0ES6_15HIP_vector_typeIjLj2EENS0_17counting_iteratorIjlEEPS9_SG_NS0_5tupleIJPjSI_NS0_16reverse_iteratorISI_EEEEENSH_IJSG_SG_SG_EEES9_SI_JZNS1_25segmented_radix_sort_implINS0_14default_configELb1EPKhPhPKlPlN2at6native12_GLOBAL__N_18offset_tEEE10hipError_tPvRmT1_PNSt15iterator_traitsIS12_E10value_typeET2_T3_PNS13_IS18_E10value_typeET4_jRbjT5_S1E_jjP12ihipStream_tbEUljE_ZNSN_ISO_Lb1ESQ_SR_ST_SU_SY_EESZ_S10_S11_S12_S16_S17_S18_S1B_S1C_jS1D_jS1E_S1E_jjS1G_bEUljE0_EEESZ_S10_S11_S18_S1C_S1E_T6_T7_T9_mT8_S1G_bDpT10_ENKUlT_T0_E_clISt17integral_constantIbLb0EES1T_IbLb1EEEEDaS1P_S1Q_EUlS1P_E_NS1_11comp_targetILNS1_3genE0ELNS1_11target_archE4294967295ELNS1_3gpuE0ELNS1_3repE0EEENS1_30default_config_static_selectorELNS0_4arch9wavefront6targetE0EEEvS12_.num_agpr, 0
	.set _ZN7rocprim17ROCPRIM_400000_NS6detail17trampoline_kernelINS0_13select_configILj256ELj13ELNS0_17block_load_methodE3ELS4_3ELS4_3ELNS0_20block_scan_algorithmE0ELj4294967295EEENS1_25partition_config_selectorILNS1_17partition_subalgoE4EjNS0_10empty_typeEbEEZZNS1_14partition_implILS8_4ELb0ES6_15HIP_vector_typeIjLj2EENS0_17counting_iteratorIjlEEPS9_SG_NS0_5tupleIJPjSI_NS0_16reverse_iteratorISI_EEEEENSH_IJSG_SG_SG_EEES9_SI_JZNS1_25segmented_radix_sort_implINS0_14default_configELb1EPKhPhPKlPlN2at6native12_GLOBAL__N_18offset_tEEE10hipError_tPvRmT1_PNSt15iterator_traitsIS12_E10value_typeET2_T3_PNS13_IS18_E10value_typeET4_jRbjT5_S1E_jjP12ihipStream_tbEUljE_ZNSN_ISO_Lb1ESQ_SR_ST_SU_SY_EESZ_S10_S11_S12_S16_S17_S18_S1B_S1C_jS1D_jS1E_S1E_jjS1G_bEUljE0_EEESZ_S10_S11_S18_S1C_S1E_T6_T7_T9_mT8_S1G_bDpT10_ENKUlT_T0_E_clISt17integral_constantIbLb0EES1T_IbLb1EEEEDaS1P_S1Q_EUlS1P_E_NS1_11comp_targetILNS1_3genE0ELNS1_11target_archE4294967295ELNS1_3gpuE0ELNS1_3repE0EEENS1_30default_config_static_selectorELNS0_4arch9wavefront6targetE0EEEvS12_.numbered_sgpr, 0
	.set _ZN7rocprim17ROCPRIM_400000_NS6detail17trampoline_kernelINS0_13select_configILj256ELj13ELNS0_17block_load_methodE3ELS4_3ELS4_3ELNS0_20block_scan_algorithmE0ELj4294967295EEENS1_25partition_config_selectorILNS1_17partition_subalgoE4EjNS0_10empty_typeEbEEZZNS1_14partition_implILS8_4ELb0ES6_15HIP_vector_typeIjLj2EENS0_17counting_iteratorIjlEEPS9_SG_NS0_5tupleIJPjSI_NS0_16reverse_iteratorISI_EEEEENSH_IJSG_SG_SG_EEES9_SI_JZNS1_25segmented_radix_sort_implINS0_14default_configELb1EPKhPhPKlPlN2at6native12_GLOBAL__N_18offset_tEEE10hipError_tPvRmT1_PNSt15iterator_traitsIS12_E10value_typeET2_T3_PNS13_IS18_E10value_typeET4_jRbjT5_S1E_jjP12ihipStream_tbEUljE_ZNSN_ISO_Lb1ESQ_SR_ST_SU_SY_EESZ_S10_S11_S12_S16_S17_S18_S1B_S1C_jS1D_jS1E_S1E_jjS1G_bEUljE0_EEESZ_S10_S11_S18_S1C_S1E_T6_T7_T9_mT8_S1G_bDpT10_ENKUlT_T0_E_clISt17integral_constantIbLb0EES1T_IbLb1EEEEDaS1P_S1Q_EUlS1P_E_NS1_11comp_targetILNS1_3genE0ELNS1_11target_archE4294967295ELNS1_3gpuE0ELNS1_3repE0EEENS1_30default_config_static_selectorELNS0_4arch9wavefront6targetE0EEEvS12_.num_named_barrier, 0
	.set _ZN7rocprim17ROCPRIM_400000_NS6detail17trampoline_kernelINS0_13select_configILj256ELj13ELNS0_17block_load_methodE3ELS4_3ELS4_3ELNS0_20block_scan_algorithmE0ELj4294967295EEENS1_25partition_config_selectorILNS1_17partition_subalgoE4EjNS0_10empty_typeEbEEZZNS1_14partition_implILS8_4ELb0ES6_15HIP_vector_typeIjLj2EENS0_17counting_iteratorIjlEEPS9_SG_NS0_5tupleIJPjSI_NS0_16reverse_iteratorISI_EEEEENSH_IJSG_SG_SG_EEES9_SI_JZNS1_25segmented_radix_sort_implINS0_14default_configELb1EPKhPhPKlPlN2at6native12_GLOBAL__N_18offset_tEEE10hipError_tPvRmT1_PNSt15iterator_traitsIS12_E10value_typeET2_T3_PNS13_IS18_E10value_typeET4_jRbjT5_S1E_jjP12ihipStream_tbEUljE_ZNSN_ISO_Lb1ESQ_SR_ST_SU_SY_EESZ_S10_S11_S12_S16_S17_S18_S1B_S1C_jS1D_jS1E_S1E_jjS1G_bEUljE0_EEESZ_S10_S11_S18_S1C_S1E_T6_T7_T9_mT8_S1G_bDpT10_ENKUlT_T0_E_clISt17integral_constantIbLb0EES1T_IbLb1EEEEDaS1P_S1Q_EUlS1P_E_NS1_11comp_targetILNS1_3genE0ELNS1_11target_archE4294967295ELNS1_3gpuE0ELNS1_3repE0EEENS1_30default_config_static_selectorELNS0_4arch9wavefront6targetE0EEEvS12_.private_seg_size, 0
	.set _ZN7rocprim17ROCPRIM_400000_NS6detail17trampoline_kernelINS0_13select_configILj256ELj13ELNS0_17block_load_methodE3ELS4_3ELS4_3ELNS0_20block_scan_algorithmE0ELj4294967295EEENS1_25partition_config_selectorILNS1_17partition_subalgoE4EjNS0_10empty_typeEbEEZZNS1_14partition_implILS8_4ELb0ES6_15HIP_vector_typeIjLj2EENS0_17counting_iteratorIjlEEPS9_SG_NS0_5tupleIJPjSI_NS0_16reverse_iteratorISI_EEEEENSH_IJSG_SG_SG_EEES9_SI_JZNS1_25segmented_radix_sort_implINS0_14default_configELb1EPKhPhPKlPlN2at6native12_GLOBAL__N_18offset_tEEE10hipError_tPvRmT1_PNSt15iterator_traitsIS12_E10value_typeET2_T3_PNS13_IS18_E10value_typeET4_jRbjT5_S1E_jjP12ihipStream_tbEUljE_ZNSN_ISO_Lb1ESQ_SR_ST_SU_SY_EESZ_S10_S11_S12_S16_S17_S18_S1B_S1C_jS1D_jS1E_S1E_jjS1G_bEUljE0_EEESZ_S10_S11_S18_S1C_S1E_T6_T7_T9_mT8_S1G_bDpT10_ENKUlT_T0_E_clISt17integral_constantIbLb0EES1T_IbLb1EEEEDaS1P_S1Q_EUlS1P_E_NS1_11comp_targetILNS1_3genE0ELNS1_11target_archE4294967295ELNS1_3gpuE0ELNS1_3repE0EEENS1_30default_config_static_selectorELNS0_4arch9wavefront6targetE0EEEvS12_.uses_vcc, 0
	.set _ZN7rocprim17ROCPRIM_400000_NS6detail17trampoline_kernelINS0_13select_configILj256ELj13ELNS0_17block_load_methodE3ELS4_3ELS4_3ELNS0_20block_scan_algorithmE0ELj4294967295EEENS1_25partition_config_selectorILNS1_17partition_subalgoE4EjNS0_10empty_typeEbEEZZNS1_14partition_implILS8_4ELb0ES6_15HIP_vector_typeIjLj2EENS0_17counting_iteratorIjlEEPS9_SG_NS0_5tupleIJPjSI_NS0_16reverse_iteratorISI_EEEEENSH_IJSG_SG_SG_EEES9_SI_JZNS1_25segmented_radix_sort_implINS0_14default_configELb1EPKhPhPKlPlN2at6native12_GLOBAL__N_18offset_tEEE10hipError_tPvRmT1_PNSt15iterator_traitsIS12_E10value_typeET2_T3_PNS13_IS18_E10value_typeET4_jRbjT5_S1E_jjP12ihipStream_tbEUljE_ZNSN_ISO_Lb1ESQ_SR_ST_SU_SY_EESZ_S10_S11_S12_S16_S17_S18_S1B_S1C_jS1D_jS1E_S1E_jjS1G_bEUljE0_EEESZ_S10_S11_S18_S1C_S1E_T6_T7_T9_mT8_S1G_bDpT10_ENKUlT_T0_E_clISt17integral_constantIbLb0EES1T_IbLb1EEEEDaS1P_S1Q_EUlS1P_E_NS1_11comp_targetILNS1_3genE0ELNS1_11target_archE4294967295ELNS1_3gpuE0ELNS1_3repE0EEENS1_30default_config_static_selectorELNS0_4arch9wavefront6targetE0EEEvS12_.uses_flat_scratch, 0
	.set _ZN7rocprim17ROCPRIM_400000_NS6detail17trampoline_kernelINS0_13select_configILj256ELj13ELNS0_17block_load_methodE3ELS4_3ELS4_3ELNS0_20block_scan_algorithmE0ELj4294967295EEENS1_25partition_config_selectorILNS1_17partition_subalgoE4EjNS0_10empty_typeEbEEZZNS1_14partition_implILS8_4ELb0ES6_15HIP_vector_typeIjLj2EENS0_17counting_iteratorIjlEEPS9_SG_NS0_5tupleIJPjSI_NS0_16reverse_iteratorISI_EEEEENSH_IJSG_SG_SG_EEES9_SI_JZNS1_25segmented_radix_sort_implINS0_14default_configELb1EPKhPhPKlPlN2at6native12_GLOBAL__N_18offset_tEEE10hipError_tPvRmT1_PNSt15iterator_traitsIS12_E10value_typeET2_T3_PNS13_IS18_E10value_typeET4_jRbjT5_S1E_jjP12ihipStream_tbEUljE_ZNSN_ISO_Lb1ESQ_SR_ST_SU_SY_EESZ_S10_S11_S12_S16_S17_S18_S1B_S1C_jS1D_jS1E_S1E_jjS1G_bEUljE0_EEESZ_S10_S11_S18_S1C_S1E_T6_T7_T9_mT8_S1G_bDpT10_ENKUlT_T0_E_clISt17integral_constantIbLb0EES1T_IbLb1EEEEDaS1P_S1Q_EUlS1P_E_NS1_11comp_targetILNS1_3genE0ELNS1_11target_archE4294967295ELNS1_3gpuE0ELNS1_3repE0EEENS1_30default_config_static_selectorELNS0_4arch9wavefront6targetE0EEEvS12_.has_dyn_sized_stack, 0
	.set _ZN7rocprim17ROCPRIM_400000_NS6detail17trampoline_kernelINS0_13select_configILj256ELj13ELNS0_17block_load_methodE3ELS4_3ELS4_3ELNS0_20block_scan_algorithmE0ELj4294967295EEENS1_25partition_config_selectorILNS1_17partition_subalgoE4EjNS0_10empty_typeEbEEZZNS1_14partition_implILS8_4ELb0ES6_15HIP_vector_typeIjLj2EENS0_17counting_iteratorIjlEEPS9_SG_NS0_5tupleIJPjSI_NS0_16reverse_iteratorISI_EEEEENSH_IJSG_SG_SG_EEES9_SI_JZNS1_25segmented_radix_sort_implINS0_14default_configELb1EPKhPhPKlPlN2at6native12_GLOBAL__N_18offset_tEEE10hipError_tPvRmT1_PNSt15iterator_traitsIS12_E10value_typeET2_T3_PNS13_IS18_E10value_typeET4_jRbjT5_S1E_jjP12ihipStream_tbEUljE_ZNSN_ISO_Lb1ESQ_SR_ST_SU_SY_EESZ_S10_S11_S12_S16_S17_S18_S1B_S1C_jS1D_jS1E_S1E_jjS1G_bEUljE0_EEESZ_S10_S11_S18_S1C_S1E_T6_T7_T9_mT8_S1G_bDpT10_ENKUlT_T0_E_clISt17integral_constantIbLb0EES1T_IbLb1EEEEDaS1P_S1Q_EUlS1P_E_NS1_11comp_targetILNS1_3genE0ELNS1_11target_archE4294967295ELNS1_3gpuE0ELNS1_3repE0EEENS1_30default_config_static_selectorELNS0_4arch9wavefront6targetE0EEEvS12_.has_recursion, 0
	.set _ZN7rocprim17ROCPRIM_400000_NS6detail17trampoline_kernelINS0_13select_configILj256ELj13ELNS0_17block_load_methodE3ELS4_3ELS4_3ELNS0_20block_scan_algorithmE0ELj4294967295EEENS1_25partition_config_selectorILNS1_17partition_subalgoE4EjNS0_10empty_typeEbEEZZNS1_14partition_implILS8_4ELb0ES6_15HIP_vector_typeIjLj2EENS0_17counting_iteratorIjlEEPS9_SG_NS0_5tupleIJPjSI_NS0_16reverse_iteratorISI_EEEEENSH_IJSG_SG_SG_EEES9_SI_JZNS1_25segmented_radix_sort_implINS0_14default_configELb1EPKhPhPKlPlN2at6native12_GLOBAL__N_18offset_tEEE10hipError_tPvRmT1_PNSt15iterator_traitsIS12_E10value_typeET2_T3_PNS13_IS18_E10value_typeET4_jRbjT5_S1E_jjP12ihipStream_tbEUljE_ZNSN_ISO_Lb1ESQ_SR_ST_SU_SY_EESZ_S10_S11_S12_S16_S17_S18_S1B_S1C_jS1D_jS1E_S1E_jjS1G_bEUljE0_EEESZ_S10_S11_S18_S1C_S1E_T6_T7_T9_mT8_S1G_bDpT10_ENKUlT_T0_E_clISt17integral_constantIbLb0EES1T_IbLb1EEEEDaS1P_S1Q_EUlS1P_E_NS1_11comp_targetILNS1_3genE0ELNS1_11target_archE4294967295ELNS1_3gpuE0ELNS1_3repE0EEENS1_30default_config_static_selectorELNS0_4arch9wavefront6targetE0EEEvS12_.has_indirect_call, 0
	.section	.AMDGPU.csdata,"",@progbits
; Kernel info:
; codeLenInByte = 0
; TotalNumSgprs: 0
; NumVgprs: 0
; ScratchSize: 0
; MemoryBound: 0
; FloatMode: 240
; IeeeMode: 1
; LDSByteSize: 0 bytes/workgroup (compile time only)
; SGPRBlocks: 0
; VGPRBlocks: 0
; NumSGPRsForWavesPerEU: 1
; NumVGPRsForWavesPerEU: 1
; Occupancy: 16
; WaveLimiterHint : 0
; COMPUTE_PGM_RSRC2:SCRATCH_EN: 0
; COMPUTE_PGM_RSRC2:USER_SGPR: 2
; COMPUTE_PGM_RSRC2:TRAP_HANDLER: 0
; COMPUTE_PGM_RSRC2:TGID_X_EN: 1
; COMPUTE_PGM_RSRC2:TGID_Y_EN: 0
; COMPUTE_PGM_RSRC2:TGID_Z_EN: 0
; COMPUTE_PGM_RSRC2:TIDIG_COMP_CNT: 0
	.section	.text._ZN7rocprim17ROCPRIM_400000_NS6detail17trampoline_kernelINS0_13select_configILj256ELj13ELNS0_17block_load_methodE3ELS4_3ELS4_3ELNS0_20block_scan_algorithmE0ELj4294967295EEENS1_25partition_config_selectorILNS1_17partition_subalgoE4EjNS0_10empty_typeEbEEZZNS1_14partition_implILS8_4ELb0ES6_15HIP_vector_typeIjLj2EENS0_17counting_iteratorIjlEEPS9_SG_NS0_5tupleIJPjSI_NS0_16reverse_iteratorISI_EEEEENSH_IJSG_SG_SG_EEES9_SI_JZNS1_25segmented_radix_sort_implINS0_14default_configELb1EPKhPhPKlPlN2at6native12_GLOBAL__N_18offset_tEEE10hipError_tPvRmT1_PNSt15iterator_traitsIS12_E10value_typeET2_T3_PNS13_IS18_E10value_typeET4_jRbjT5_S1E_jjP12ihipStream_tbEUljE_ZNSN_ISO_Lb1ESQ_SR_ST_SU_SY_EESZ_S10_S11_S12_S16_S17_S18_S1B_S1C_jS1D_jS1E_S1E_jjS1G_bEUljE0_EEESZ_S10_S11_S18_S1C_S1E_T6_T7_T9_mT8_S1G_bDpT10_ENKUlT_T0_E_clISt17integral_constantIbLb0EES1T_IbLb1EEEEDaS1P_S1Q_EUlS1P_E_NS1_11comp_targetILNS1_3genE5ELNS1_11target_archE942ELNS1_3gpuE9ELNS1_3repE0EEENS1_30default_config_static_selectorELNS0_4arch9wavefront6targetE0EEEvS12_,"axG",@progbits,_ZN7rocprim17ROCPRIM_400000_NS6detail17trampoline_kernelINS0_13select_configILj256ELj13ELNS0_17block_load_methodE3ELS4_3ELS4_3ELNS0_20block_scan_algorithmE0ELj4294967295EEENS1_25partition_config_selectorILNS1_17partition_subalgoE4EjNS0_10empty_typeEbEEZZNS1_14partition_implILS8_4ELb0ES6_15HIP_vector_typeIjLj2EENS0_17counting_iteratorIjlEEPS9_SG_NS0_5tupleIJPjSI_NS0_16reverse_iteratorISI_EEEEENSH_IJSG_SG_SG_EEES9_SI_JZNS1_25segmented_radix_sort_implINS0_14default_configELb1EPKhPhPKlPlN2at6native12_GLOBAL__N_18offset_tEEE10hipError_tPvRmT1_PNSt15iterator_traitsIS12_E10value_typeET2_T3_PNS13_IS18_E10value_typeET4_jRbjT5_S1E_jjP12ihipStream_tbEUljE_ZNSN_ISO_Lb1ESQ_SR_ST_SU_SY_EESZ_S10_S11_S12_S16_S17_S18_S1B_S1C_jS1D_jS1E_S1E_jjS1G_bEUljE0_EEESZ_S10_S11_S18_S1C_S1E_T6_T7_T9_mT8_S1G_bDpT10_ENKUlT_T0_E_clISt17integral_constantIbLb0EES1T_IbLb1EEEEDaS1P_S1Q_EUlS1P_E_NS1_11comp_targetILNS1_3genE5ELNS1_11target_archE942ELNS1_3gpuE9ELNS1_3repE0EEENS1_30default_config_static_selectorELNS0_4arch9wavefront6targetE0EEEvS12_,comdat
	.globl	_ZN7rocprim17ROCPRIM_400000_NS6detail17trampoline_kernelINS0_13select_configILj256ELj13ELNS0_17block_load_methodE3ELS4_3ELS4_3ELNS0_20block_scan_algorithmE0ELj4294967295EEENS1_25partition_config_selectorILNS1_17partition_subalgoE4EjNS0_10empty_typeEbEEZZNS1_14partition_implILS8_4ELb0ES6_15HIP_vector_typeIjLj2EENS0_17counting_iteratorIjlEEPS9_SG_NS0_5tupleIJPjSI_NS0_16reverse_iteratorISI_EEEEENSH_IJSG_SG_SG_EEES9_SI_JZNS1_25segmented_radix_sort_implINS0_14default_configELb1EPKhPhPKlPlN2at6native12_GLOBAL__N_18offset_tEEE10hipError_tPvRmT1_PNSt15iterator_traitsIS12_E10value_typeET2_T3_PNS13_IS18_E10value_typeET4_jRbjT5_S1E_jjP12ihipStream_tbEUljE_ZNSN_ISO_Lb1ESQ_SR_ST_SU_SY_EESZ_S10_S11_S12_S16_S17_S18_S1B_S1C_jS1D_jS1E_S1E_jjS1G_bEUljE0_EEESZ_S10_S11_S18_S1C_S1E_T6_T7_T9_mT8_S1G_bDpT10_ENKUlT_T0_E_clISt17integral_constantIbLb0EES1T_IbLb1EEEEDaS1P_S1Q_EUlS1P_E_NS1_11comp_targetILNS1_3genE5ELNS1_11target_archE942ELNS1_3gpuE9ELNS1_3repE0EEENS1_30default_config_static_selectorELNS0_4arch9wavefront6targetE0EEEvS12_ ; -- Begin function _ZN7rocprim17ROCPRIM_400000_NS6detail17trampoline_kernelINS0_13select_configILj256ELj13ELNS0_17block_load_methodE3ELS4_3ELS4_3ELNS0_20block_scan_algorithmE0ELj4294967295EEENS1_25partition_config_selectorILNS1_17partition_subalgoE4EjNS0_10empty_typeEbEEZZNS1_14partition_implILS8_4ELb0ES6_15HIP_vector_typeIjLj2EENS0_17counting_iteratorIjlEEPS9_SG_NS0_5tupleIJPjSI_NS0_16reverse_iteratorISI_EEEEENSH_IJSG_SG_SG_EEES9_SI_JZNS1_25segmented_radix_sort_implINS0_14default_configELb1EPKhPhPKlPlN2at6native12_GLOBAL__N_18offset_tEEE10hipError_tPvRmT1_PNSt15iterator_traitsIS12_E10value_typeET2_T3_PNS13_IS18_E10value_typeET4_jRbjT5_S1E_jjP12ihipStream_tbEUljE_ZNSN_ISO_Lb1ESQ_SR_ST_SU_SY_EESZ_S10_S11_S12_S16_S17_S18_S1B_S1C_jS1D_jS1E_S1E_jjS1G_bEUljE0_EEESZ_S10_S11_S18_S1C_S1E_T6_T7_T9_mT8_S1G_bDpT10_ENKUlT_T0_E_clISt17integral_constantIbLb0EES1T_IbLb1EEEEDaS1P_S1Q_EUlS1P_E_NS1_11comp_targetILNS1_3genE5ELNS1_11target_archE942ELNS1_3gpuE9ELNS1_3repE0EEENS1_30default_config_static_selectorELNS0_4arch9wavefront6targetE0EEEvS12_
	.p2align	8
	.type	_ZN7rocprim17ROCPRIM_400000_NS6detail17trampoline_kernelINS0_13select_configILj256ELj13ELNS0_17block_load_methodE3ELS4_3ELS4_3ELNS0_20block_scan_algorithmE0ELj4294967295EEENS1_25partition_config_selectorILNS1_17partition_subalgoE4EjNS0_10empty_typeEbEEZZNS1_14partition_implILS8_4ELb0ES6_15HIP_vector_typeIjLj2EENS0_17counting_iteratorIjlEEPS9_SG_NS0_5tupleIJPjSI_NS0_16reverse_iteratorISI_EEEEENSH_IJSG_SG_SG_EEES9_SI_JZNS1_25segmented_radix_sort_implINS0_14default_configELb1EPKhPhPKlPlN2at6native12_GLOBAL__N_18offset_tEEE10hipError_tPvRmT1_PNSt15iterator_traitsIS12_E10value_typeET2_T3_PNS13_IS18_E10value_typeET4_jRbjT5_S1E_jjP12ihipStream_tbEUljE_ZNSN_ISO_Lb1ESQ_SR_ST_SU_SY_EESZ_S10_S11_S12_S16_S17_S18_S1B_S1C_jS1D_jS1E_S1E_jjS1G_bEUljE0_EEESZ_S10_S11_S18_S1C_S1E_T6_T7_T9_mT8_S1G_bDpT10_ENKUlT_T0_E_clISt17integral_constantIbLb0EES1T_IbLb1EEEEDaS1P_S1Q_EUlS1P_E_NS1_11comp_targetILNS1_3genE5ELNS1_11target_archE942ELNS1_3gpuE9ELNS1_3repE0EEENS1_30default_config_static_selectorELNS0_4arch9wavefront6targetE0EEEvS12_,@function
_ZN7rocprim17ROCPRIM_400000_NS6detail17trampoline_kernelINS0_13select_configILj256ELj13ELNS0_17block_load_methodE3ELS4_3ELS4_3ELNS0_20block_scan_algorithmE0ELj4294967295EEENS1_25partition_config_selectorILNS1_17partition_subalgoE4EjNS0_10empty_typeEbEEZZNS1_14partition_implILS8_4ELb0ES6_15HIP_vector_typeIjLj2EENS0_17counting_iteratorIjlEEPS9_SG_NS0_5tupleIJPjSI_NS0_16reverse_iteratorISI_EEEEENSH_IJSG_SG_SG_EEES9_SI_JZNS1_25segmented_radix_sort_implINS0_14default_configELb1EPKhPhPKlPlN2at6native12_GLOBAL__N_18offset_tEEE10hipError_tPvRmT1_PNSt15iterator_traitsIS12_E10value_typeET2_T3_PNS13_IS18_E10value_typeET4_jRbjT5_S1E_jjP12ihipStream_tbEUljE_ZNSN_ISO_Lb1ESQ_SR_ST_SU_SY_EESZ_S10_S11_S12_S16_S17_S18_S1B_S1C_jS1D_jS1E_S1E_jjS1G_bEUljE0_EEESZ_S10_S11_S18_S1C_S1E_T6_T7_T9_mT8_S1G_bDpT10_ENKUlT_T0_E_clISt17integral_constantIbLb0EES1T_IbLb1EEEEDaS1P_S1Q_EUlS1P_E_NS1_11comp_targetILNS1_3genE5ELNS1_11target_archE942ELNS1_3gpuE9ELNS1_3repE0EEENS1_30default_config_static_selectorELNS0_4arch9wavefront6targetE0EEEvS12_: ; @_ZN7rocprim17ROCPRIM_400000_NS6detail17trampoline_kernelINS0_13select_configILj256ELj13ELNS0_17block_load_methodE3ELS4_3ELS4_3ELNS0_20block_scan_algorithmE0ELj4294967295EEENS1_25partition_config_selectorILNS1_17partition_subalgoE4EjNS0_10empty_typeEbEEZZNS1_14partition_implILS8_4ELb0ES6_15HIP_vector_typeIjLj2EENS0_17counting_iteratorIjlEEPS9_SG_NS0_5tupleIJPjSI_NS0_16reverse_iteratorISI_EEEEENSH_IJSG_SG_SG_EEES9_SI_JZNS1_25segmented_radix_sort_implINS0_14default_configELb1EPKhPhPKlPlN2at6native12_GLOBAL__N_18offset_tEEE10hipError_tPvRmT1_PNSt15iterator_traitsIS12_E10value_typeET2_T3_PNS13_IS18_E10value_typeET4_jRbjT5_S1E_jjP12ihipStream_tbEUljE_ZNSN_ISO_Lb1ESQ_SR_ST_SU_SY_EESZ_S10_S11_S12_S16_S17_S18_S1B_S1C_jS1D_jS1E_S1E_jjS1G_bEUljE0_EEESZ_S10_S11_S18_S1C_S1E_T6_T7_T9_mT8_S1G_bDpT10_ENKUlT_T0_E_clISt17integral_constantIbLb0EES1T_IbLb1EEEEDaS1P_S1Q_EUlS1P_E_NS1_11comp_targetILNS1_3genE5ELNS1_11target_archE942ELNS1_3gpuE9ELNS1_3repE0EEENS1_30default_config_static_selectorELNS0_4arch9wavefront6targetE0EEEvS12_
; %bb.0:
	.section	.rodata,"a",@progbits
	.p2align	6, 0x0
	.amdhsa_kernel _ZN7rocprim17ROCPRIM_400000_NS6detail17trampoline_kernelINS0_13select_configILj256ELj13ELNS0_17block_load_methodE3ELS4_3ELS4_3ELNS0_20block_scan_algorithmE0ELj4294967295EEENS1_25partition_config_selectorILNS1_17partition_subalgoE4EjNS0_10empty_typeEbEEZZNS1_14partition_implILS8_4ELb0ES6_15HIP_vector_typeIjLj2EENS0_17counting_iteratorIjlEEPS9_SG_NS0_5tupleIJPjSI_NS0_16reverse_iteratorISI_EEEEENSH_IJSG_SG_SG_EEES9_SI_JZNS1_25segmented_radix_sort_implINS0_14default_configELb1EPKhPhPKlPlN2at6native12_GLOBAL__N_18offset_tEEE10hipError_tPvRmT1_PNSt15iterator_traitsIS12_E10value_typeET2_T3_PNS13_IS18_E10value_typeET4_jRbjT5_S1E_jjP12ihipStream_tbEUljE_ZNSN_ISO_Lb1ESQ_SR_ST_SU_SY_EESZ_S10_S11_S12_S16_S17_S18_S1B_S1C_jS1D_jS1E_S1E_jjS1G_bEUljE0_EEESZ_S10_S11_S18_S1C_S1E_T6_T7_T9_mT8_S1G_bDpT10_ENKUlT_T0_E_clISt17integral_constantIbLb0EES1T_IbLb1EEEEDaS1P_S1Q_EUlS1P_E_NS1_11comp_targetILNS1_3genE5ELNS1_11target_archE942ELNS1_3gpuE9ELNS1_3repE0EEENS1_30default_config_static_selectorELNS0_4arch9wavefront6targetE0EEEvS12_
		.amdhsa_group_segment_fixed_size 0
		.amdhsa_private_segment_fixed_size 0
		.amdhsa_kernarg_size 184
		.amdhsa_user_sgpr_count 2
		.amdhsa_user_sgpr_dispatch_ptr 0
		.amdhsa_user_sgpr_queue_ptr 0
		.amdhsa_user_sgpr_kernarg_segment_ptr 1
		.amdhsa_user_sgpr_dispatch_id 0
		.amdhsa_user_sgpr_private_segment_size 0
		.amdhsa_wavefront_size32 1
		.amdhsa_uses_dynamic_stack 0
		.amdhsa_enable_private_segment 0
		.amdhsa_system_sgpr_workgroup_id_x 1
		.amdhsa_system_sgpr_workgroup_id_y 0
		.amdhsa_system_sgpr_workgroup_id_z 0
		.amdhsa_system_sgpr_workgroup_info 0
		.amdhsa_system_vgpr_workitem_id 0
		.amdhsa_next_free_vgpr 1
		.amdhsa_next_free_sgpr 1
		.amdhsa_reserve_vcc 0
		.amdhsa_float_round_mode_32 0
		.amdhsa_float_round_mode_16_64 0
		.amdhsa_float_denorm_mode_32 3
		.amdhsa_float_denorm_mode_16_64 3
		.amdhsa_fp16_overflow 0
		.amdhsa_workgroup_processor_mode 1
		.amdhsa_memory_ordered 1
		.amdhsa_forward_progress 1
		.amdhsa_inst_pref_size 0
		.amdhsa_round_robin_scheduling 0
		.amdhsa_exception_fp_ieee_invalid_op 0
		.amdhsa_exception_fp_denorm_src 0
		.amdhsa_exception_fp_ieee_div_zero 0
		.amdhsa_exception_fp_ieee_overflow 0
		.amdhsa_exception_fp_ieee_underflow 0
		.amdhsa_exception_fp_ieee_inexact 0
		.amdhsa_exception_int_div_zero 0
	.end_amdhsa_kernel
	.section	.text._ZN7rocprim17ROCPRIM_400000_NS6detail17trampoline_kernelINS0_13select_configILj256ELj13ELNS0_17block_load_methodE3ELS4_3ELS4_3ELNS0_20block_scan_algorithmE0ELj4294967295EEENS1_25partition_config_selectorILNS1_17partition_subalgoE4EjNS0_10empty_typeEbEEZZNS1_14partition_implILS8_4ELb0ES6_15HIP_vector_typeIjLj2EENS0_17counting_iteratorIjlEEPS9_SG_NS0_5tupleIJPjSI_NS0_16reverse_iteratorISI_EEEEENSH_IJSG_SG_SG_EEES9_SI_JZNS1_25segmented_radix_sort_implINS0_14default_configELb1EPKhPhPKlPlN2at6native12_GLOBAL__N_18offset_tEEE10hipError_tPvRmT1_PNSt15iterator_traitsIS12_E10value_typeET2_T3_PNS13_IS18_E10value_typeET4_jRbjT5_S1E_jjP12ihipStream_tbEUljE_ZNSN_ISO_Lb1ESQ_SR_ST_SU_SY_EESZ_S10_S11_S12_S16_S17_S18_S1B_S1C_jS1D_jS1E_S1E_jjS1G_bEUljE0_EEESZ_S10_S11_S18_S1C_S1E_T6_T7_T9_mT8_S1G_bDpT10_ENKUlT_T0_E_clISt17integral_constantIbLb0EES1T_IbLb1EEEEDaS1P_S1Q_EUlS1P_E_NS1_11comp_targetILNS1_3genE5ELNS1_11target_archE942ELNS1_3gpuE9ELNS1_3repE0EEENS1_30default_config_static_selectorELNS0_4arch9wavefront6targetE0EEEvS12_,"axG",@progbits,_ZN7rocprim17ROCPRIM_400000_NS6detail17trampoline_kernelINS0_13select_configILj256ELj13ELNS0_17block_load_methodE3ELS4_3ELS4_3ELNS0_20block_scan_algorithmE0ELj4294967295EEENS1_25partition_config_selectorILNS1_17partition_subalgoE4EjNS0_10empty_typeEbEEZZNS1_14partition_implILS8_4ELb0ES6_15HIP_vector_typeIjLj2EENS0_17counting_iteratorIjlEEPS9_SG_NS0_5tupleIJPjSI_NS0_16reverse_iteratorISI_EEEEENSH_IJSG_SG_SG_EEES9_SI_JZNS1_25segmented_radix_sort_implINS0_14default_configELb1EPKhPhPKlPlN2at6native12_GLOBAL__N_18offset_tEEE10hipError_tPvRmT1_PNSt15iterator_traitsIS12_E10value_typeET2_T3_PNS13_IS18_E10value_typeET4_jRbjT5_S1E_jjP12ihipStream_tbEUljE_ZNSN_ISO_Lb1ESQ_SR_ST_SU_SY_EESZ_S10_S11_S12_S16_S17_S18_S1B_S1C_jS1D_jS1E_S1E_jjS1G_bEUljE0_EEESZ_S10_S11_S18_S1C_S1E_T6_T7_T9_mT8_S1G_bDpT10_ENKUlT_T0_E_clISt17integral_constantIbLb0EES1T_IbLb1EEEEDaS1P_S1Q_EUlS1P_E_NS1_11comp_targetILNS1_3genE5ELNS1_11target_archE942ELNS1_3gpuE9ELNS1_3repE0EEENS1_30default_config_static_selectorELNS0_4arch9wavefront6targetE0EEEvS12_,comdat
.Lfunc_end40:
	.size	_ZN7rocprim17ROCPRIM_400000_NS6detail17trampoline_kernelINS0_13select_configILj256ELj13ELNS0_17block_load_methodE3ELS4_3ELS4_3ELNS0_20block_scan_algorithmE0ELj4294967295EEENS1_25partition_config_selectorILNS1_17partition_subalgoE4EjNS0_10empty_typeEbEEZZNS1_14partition_implILS8_4ELb0ES6_15HIP_vector_typeIjLj2EENS0_17counting_iteratorIjlEEPS9_SG_NS0_5tupleIJPjSI_NS0_16reverse_iteratorISI_EEEEENSH_IJSG_SG_SG_EEES9_SI_JZNS1_25segmented_radix_sort_implINS0_14default_configELb1EPKhPhPKlPlN2at6native12_GLOBAL__N_18offset_tEEE10hipError_tPvRmT1_PNSt15iterator_traitsIS12_E10value_typeET2_T3_PNS13_IS18_E10value_typeET4_jRbjT5_S1E_jjP12ihipStream_tbEUljE_ZNSN_ISO_Lb1ESQ_SR_ST_SU_SY_EESZ_S10_S11_S12_S16_S17_S18_S1B_S1C_jS1D_jS1E_S1E_jjS1G_bEUljE0_EEESZ_S10_S11_S18_S1C_S1E_T6_T7_T9_mT8_S1G_bDpT10_ENKUlT_T0_E_clISt17integral_constantIbLb0EES1T_IbLb1EEEEDaS1P_S1Q_EUlS1P_E_NS1_11comp_targetILNS1_3genE5ELNS1_11target_archE942ELNS1_3gpuE9ELNS1_3repE0EEENS1_30default_config_static_selectorELNS0_4arch9wavefront6targetE0EEEvS12_, .Lfunc_end40-_ZN7rocprim17ROCPRIM_400000_NS6detail17trampoline_kernelINS0_13select_configILj256ELj13ELNS0_17block_load_methodE3ELS4_3ELS4_3ELNS0_20block_scan_algorithmE0ELj4294967295EEENS1_25partition_config_selectorILNS1_17partition_subalgoE4EjNS0_10empty_typeEbEEZZNS1_14partition_implILS8_4ELb0ES6_15HIP_vector_typeIjLj2EENS0_17counting_iteratorIjlEEPS9_SG_NS0_5tupleIJPjSI_NS0_16reverse_iteratorISI_EEEEENSH_IJSG_SG_SG_EEES9_SI_JZNS1_25segmented_radix_sort_implINS0_14default_configELb1EPKhPhPKlPlN2at6native12_GLOBAL__N_18offset_tEEE10hipError_tPvRmT1_PNSt15iterator_traitsIS12_E10value_typeET2_T3_PNS13_IS18_E10value_typeET4_jRbjT5_S1E_jjP12ihipStream_tbEUljE_ZNSN_ISO_Lb1ESQ_SR_ST_SU_SY_EESZ_S10_S11_S12_S16_S17_S18_S1B_S1C_jS1D_jS1E_S1E_jjS1G_bEUljE0_EEESZ_S10_S11_S18_S1C_S1E_T6_T7_T9_mT8_S1G_bDpT10_ENKUlT_T0_E_clISt17integral_constantIbLb0EES1T_IbLb1EEEEDaS1P_S1Q_EUlS1P_E_NS1_11comp_targetILNS1_3genE5ELNS1_11target_archE942ELNS1_3gpuE9ELNS1_3repE0EEENS1_30default_config_static_selectorELNS0_4arch9wavefront6targetE0EEEvS12_
                                        ; -- End function
	.set _ZN7rocprim17ROCPRIM_400000_NS6detail17trampoline_kernelINS0_13select_configILj256ELj13ELNS0_17block_load_methodE3ELS4_3ELS4_3ELNS0_20block_scan_algorithmE0ELj4294967295EEENS1_25partition_config_selectorILNS1_17partition_subalgoE4EjNS0_10empty_typeEbEEZZNS1_14partition_implILS8_4ELb0ES6_15HIP_vector_typeIjLj2EENS0_17counting_iteratorIjlEEPS9_SG_NS0_5tupleIJPjSI_NS0_16reverse_iteratorISI_EEEEENSH_IJSG_SG_SG_EEES9_SI_JZNS1_25segmented_radix_sort_implINS0_14default_configELb1EPKhPhPKlPlN2at6native12_GLOBAL__N_18offset_tEEE10hipError_tPvRmT1_PNSt15iterator_traitsIS12_E10value_typeET2_T3_PNS13_IS18_E10value_typeET4_jRbjT5_S1E_jjP12ihipStream_tbEUljE_ZNSN_ISO_Lb1ESQ_SR_ST_SU_SY_EESZ_S10_S11_S12_S16_S17_S18_S1B_S1C_jS1D_jS1E_S1E_jjS1G_bEUljE0_EEESZ_S10_S11_S18_S1C_S1E_T6_T7_T9_mT8_S1G_bDpT10_ENKUlT_T0_E_clISt17integral_constantIbLb0EES1T_IbLb1EEEEDaS1P_S1Q_EUlS1P_E_NS1_11comp_targetILNS1_3genE5ELNS1_11target_archE942ELNS1_3gpuE9ELNS1_3repE0EEENS1_30default_config_static_selectorELNS0_4arch9wavefront6targetE0EEEvS12_.num_vgpr, 0
	.set _ZN7rocprim17ROCPRIM_400000_NS6detail17trampoline_kernelINS0_13select_configILj256ELj13ELNS0_17block_load_methodE3ELS4_3ELS4_3ELNS0_20block_scan_algorithmE0ELj4294967295EEENS1_25partition_config_selectorILNS1_17partition_subalgoE4EjNS0_10empty_typeEbEEZZNS1_14partition_implILS8_4ELb0ES6_15HIP_vector_typeIjLj2EENS0_17counting_iteratorIjlEEPS9_SG_NS0_5tupleIJPjSI_NS0_16reverse_iteratorISI_EEEEENSH_IJSG_SG_SG_EEES9_SI_JZNS1_25segmented_radix_sort_implINS0_14default_configELb1EPKhPhPKlPlN2at6native12_GLOBAL__N_18offset_tEEE10hipError_tPvRmT1_PNSt15iterator_traitsIS12_E10value_typeET2_T3_PNS13_IS18_E10value_typeET4_jRbjT5_S1E_jjP12ihipStream_tbEUljE_ZNSN_ISO_Lb1ESQ_SR_ST_SU_SY_EESZ_S10_S11_S12_S16_S17_S18_S1B_S1C_jS1D_jS1E_S1E_jjS1G_bEUljE0_EEESZ_S10_S11_S18_S1C_S1E_T6_T7_T9_mT8_S1G_bDpT10_ENKUlT_T0_E_clISt17integral_constantIbLb0EES1T_IbLb1EEEEDaS1P_S1Q_EUlS1P_E_NS1_11comp_targetILNS1_3genE5ELNS1_11target_archE942ELNS1_3gpuE9ELNS1_3repE0EEENS1_30default_config_static_selectorELNS0_4arch9wavefront6targetE0EEEvS12_.num_agpr, 0
	.set _ZN7rocprim17ROCPRIM_400000_NS6detail17trampoline_kernelINS0_13select_configILj256ELj13ELNS0_17block_load_methodE3ELS4_3ELS4_3ELNS0_20block_scan_algorithmE0ELj4294967295EEENS1_25partition_config_selectorILNS1_17partition_subalgoE4EjNS0_10empty_typeEbEEZZNS1_14partition_implILS8_4ELb0ES6_15HIP_vector_typeIjLj2EENS0_17counting_iteratorIjlEEPS9_SG_NS0_5tupleIJPjSI_NS0_16reverse_iteratorISI_EEEEENSH_IJSG_SG_SG_EEES9_SI_JZNS1_25segmented_radix_sort_implINS0_14default_configELb1EPKhPhPKlPlN2at6native12_GLOBAL__N_18offset_tEEE10hipError_tPvRmT1_PNSt15iterator_traitsIS12_E10value_typeET2_T3_PNS13_IS18_E10value_typeET4_jRbjT5_S1E_jjP12ihipStream_tbEUljE_ZNSN_ISO_Lb1ESQ_SR_ST_SU_SY_EESZ_S10_S11_S12_S16_S17_S18_S1B_S1C_jS1D_jS1E_S1E_jjS1G_bEUljE0_EEESZ_S10_S11_S18_S1C_S1E_T6_T7_T9_mT8_S1G_bDpT10_ENKUlT_T0_E_clISt17integral_constantIbLb0EES1T_IbLb1EEEEDaS1P_S1Q_EUlS1P_E_NS1_11comp_targetILNS1_3genE5ELNS1_11target_archE942ELNS1_3gpuE9ELNS1_3repE0EEENS1_30default_config_static_selectorELNS0_4arch9wavefront6targetE0EEEvS12_.numbered_sgpr, 0
	.set _ZN7rocprim17ROCPRIM_400000_NS6detail17trampoline_kernelINS0_13select_configILj256ELj13ELNS0_17block_load_methodE3ELS4_3ELS4_3ELNS0_20block_scan_algorithmE0ELj4294967295EEENS1_25partition_config_selectorILNS1_17partition_subalgoE4EjNS0_10empty_typeEbEEZZNS1_14partition_implILS8_4ELb0ES6_15HIP_vector_typeIjLj2EENS0_17counting_iteratorIjlEEPS9_SG_NS0_5tupleIJPjSI_NS0_16reverse_iteratorISI_EEEEENSH_IJSG_SG_SG_EEES9_SI_JZNS1_25segmented_radix_sort_implINS0_14default_configELb1EPKhPhPKlPlN2at6native12_GLOBAL__N_18offset_tEEE10hipError_tPvRmT1_PNSt15iterator_traitsIS12_E10value_typeET2_T3_PNS13_IS18_E10value_typeET4_jRbjT5_S1E_jjP12ihipStream_tbEUljE_ZNSN_ISO_Lb1ESQ_SR_ST_SU_SY_EESZ_S10_S11_S12_S16_S17_S18_S1B_S1C_jS1D_jS1E_S1E_jjS1G_bEUljE0_EEESZ_S10_S11_S18_S1C_S1E_T6_T7_T9_mT8_S1G_bDpT10_ENKUlT_T0_E_clISt17integral_constantIbLb0EES1T_IbLb1EEEEDaS1P_S1Q_EUlS1P_E_NS1_11comp_targetILNS1_3genE5ELNS1_11target_archE942ELNS1_3gpuE9ELNS1_3repE0EEENS1_30default_config_static_selectorELNS0_4arch9wavefront6targetE0EEEvS12_.num_named_barrier, 0
	.set _ZN7rocprim17ROCPRIM_400000_NS6detail17trampoline_kernelINS0_13select_configILj256ELj13ELNS0_17block_load_methodE3ELS4_3ELS4_3ELNS0_20block_scan_algorithmE0ELj4294967295EEENS1_25partition_config_selectorILNS1_17partition_subalgoE4EjNS0_10empty_typeEbEEZZNS1_14partition_implILS8_4ELb0ES6_15HIP_vector_typeIjLj2EENS0_17counting_iteratorIjlEEPS9_SG_NS0_5tupleIJPjSI_NS0_16reverse_iteratorISI_EEEEENSH_IJSG_SG_SG_EEES9_SI_JZNS1_25segmented_radix_sort_implINS0_14default_configELb1EPKhPhPKlPlN2at6native12_GLOBAL__N_18offset_tEEE10hipError_tPvRmT1_PNSt15iterator_traitsIS12_E10value_typeET2_T3_PNS13_IS18_E10value_typeET4_jRbjT5_S1E_jjP12ihipStream_tbEUljE_ZNSN_ISO_Lb1ESQ_SR_ST_SU_SY_EESZ_S10_S11_S12_S16_S17_S18_S1B_S1C_jS1D_jS1E_S1E_jjS1G_bEUljE0_EEESZ_S10_S11_S18_S1C_S1E_T6_T7_T9_mT8_S1G_bDpT10_ENKUlT_T0_E_clISt17integral_constantIbLb0EES1T_IbLb1EEEEDaS1P_S1Q_EUlS1P_E_NS1_11comp_targetILNS1_3genE5ELNS1_11target_archE942ELNS1_3gpuE9ELNS1_3repE0EEENS1_30default_config_static_selectorELNS0_4arch9wavefront6targetE0EEEvS12_.private_seg_size, 0
	.set _ZN7rocprim17ROCPRIM_400000_NS6detail17trampoline_kernelINS0_13select_configILj256ELj13ELNS0_17block_load_methodE3ELS4_3ELS4_3ELNS0_20block_scan_algorithmE0ELj4294967295EEENS1_25partition_config_selectorILNS1_17partition_subalgoE4EjNS0_10empty_typeEbEEZZNS1_14partition_implILS8_4ELb0ES6_15HIP_vector_typeIjLj2EENS0_17counting_iteratorIjlEEPS9_SG_NS0_5tupleIJPjSI_NS0_16reverse_iteratorISI_EEEEENSH_IJSG_SG_SG_EEES9_SI_JZNS1_25segmented_radix_sort_implINS0_14default_configELb1EPKhPhPKlPlN2at6native12_GLOBAL__N_18offset_tEEE10hipError_tPvRmT1_PNSt15iterator_traitsIS12_E10value_typeET2_T3_PNS13_IS18_E10value_typeET4_jRbjT5_S1E_jjP12ihipStream_tbEUljE_ZNSN_ISO_Lb1ESQ_SR_ST_SU_SY_EESZ_S10_S11_S12_S16_S17_S18_S1B_S1C_jS1D_jS1E_S1E_jjS1G_bEUljE0_EEESZ_S10_S11_S18_S1C_S1E_T6_T7_T9_mT8_S1G_bDpT10_ENKUlT_T0_E_clISt17integral_constantIbLb0EES1T_IbLb1EEEEDaS1P_S1Q_EUlS1P_E_NS1_11comp_targetILNS1_3genE5ELNS1_11target_archE942ELNS1_3gpuE9ELNS1_3repE0EEENS1_30default_config_static_selectorELNS0_4arch9wavefront6targetE0EEEvS12_.uses_vcc, 0
	.set _ZN7rocprim17ROCPRIM_400000_NS6detail17trampoline_kernelINS0_13select_configILj256ELj13ELNS0_17block_load_methodE3ELS4_3ELS4_3ELNS0_20block_scan_algorithmE0ELj4294967295EEENS1_25partition_config_selectorILNS1_17partition_subalgoE4EjNS0_10empty_typeEbEEZZNS1_14partition_implILS8_4ELb0ES6_15HIP_vector_typeIjLj2EENS0_17counting_iteratorIjlEEPS9_SG_NS0_5tupleIJPjSI_NS0_16reverse_iteratorISI_EEEEENSH_IJSG_SG_SG_EEES9_SI_JZNS1_25segmented_radix_sort_implINS0_14default_configELb1EPKhPhPKlPlN2at6native12_GLOBAL__N_18offset_tEEE10hipError_tPvRmT1_PNSt15iterator_traitsIS12_E10value_typeET2_T3_PNS13_IS18_E10value_typeET4_jRbjT5_S1E_jjP12ihipStream_tbEUljE_ZNSN_ISO_Lb1ESQ_SR_ST_SU_SY_EESZ_S10_S11_S12_S16_S17_S18_S1B_S1C_jS1D_jS1E_S1E_jjS1G_bEUljE0_EEESZ_S10_S11_S18_S1C_S1E_T6_T7_T9_mT8_S1G_bDpT10_ENKUlT_T0_E_clISt17integral_constantIbLb0EES1T_IbLb1EEEEDaS1P_S1Q_EUlS1P_E_NS1_11comp_targetILNS1_3genE5ELNS1_11target_archE942ELNS1_3gpuE9ELNS1_3repE0EEENS1_30default_config_static_selectorELNS0_4arch9wavefront6targetE0EEEvS12_.uses_flat_scratch, 0
	.set _ZN7rocprim17ROCPRIM_400000_NS6detail17trampoline_kernelINS0_13select_configILj256ELj13ELNS0_17block_load_methodE3ELS4_3ELS4_3ELNS0_20block_scan_algorithmE0ELj4294967295EEENS1_25partition_config_selectorILNS1_17partition_subalgoE4EjNS0_10empty_typeEbEEZZNS1_14partition_implILS8_4ELb0ES6_15HIP_vector_typeIjLj2EENS0_17counting_iteratorIjlEEPS9_SG_NS0_5tupleIJPjSI_NS0_16reverse_iteratorISI_EEEEENSH_IJSG_SG_SG_EEES9_SI_JZNS1_25segmented_radix_sort_implINS0_14default_configELb1EPKhPhPKlPlN2at6native12_GLOBAL__N_18offset_tEEE10hipError_tPvRmT1_PNSt15iterator_traitsIS12_E10value_typeET2_T3_PNS13_IS18_E10value_typeET4_jRbjT5_S1E_jjP12ihipStream_tbEUljE_ZNSN_ISO_Lb1ESQ_SR_ST_SU_SY_EESZ_S10_S11_S12_S16_S17_S18_S1B_S1C_jS1D_jS1E_S1E_jjS1G_bEUljE0_EEESZ_S10_S11_S18_S1C_S1E_T6_T7_T9_mT8_S1G_bDpT10_ENKUlT_T0_E_clISt17integral_constantIbLb0EES1T_IbLb1EEEEDaS1P_S1Q_EUlS1P_E_NS1_11comp_targetILNS1_3genE5ELNS1_11target_archE942ELNS1_3gpuE9ELNS1_3repE0EEENS1_30default_config_static_selectorELNS0_4arch9wavefront6targetE0EEEvS12_.has_dyn_sized_stack, 0
	.set _ZN7rocprim17ROCPRIM_400000_NS6detail17trampoline_kernelINS0_13select_configILj256ELj13ELNS0_17block_load_methodE3ELS4_3ELS4_3ELNS0_20block_scan_algorithmE0ELj4294967295EEENS1_25partition_config_selectorILNS1_17partition_subalgoE4EjNS0_10empty_typeEbEEZZNS1_14partition_implILS8_4ELb0ES6_15HIP_vector_typeIjLj2EENS0_17counting_iteratorIjlEEPS9_SG_NS0_5tupleIJPjSI_NS0_16reverse_iteratorISI_EEEEENSH_IJSG_SG_SG_EEES9_SI_JZNS1_25segmented_radix_sort_implINS0_14default_configELb1EPKhPhPKlPlN2at6native12_GLOBAL__N_18offset_tEEE10hipError_tPvRmT1_PNSt15iterator_traitsIS12_E10value_typeET2_T3_PNS13_IS18_E10value_typeET4_jRbjT5_S1E_jjP12ihipStream_tbEUljE_ZNSN_ISO_Lb1ESQ_SR_ST_SU_SY_EESZ_S10_S11_S12_S16_S17_S18_S1B_S1C_jS1D_jS1E_S1E_jjS1G_bEUljE0_EEESZ_S10_S11_S18_S1C_S1E_T6_T7_T9_mT8_S1G_bDpT10_ENKUlT_T0_E_clISt17integral_constantIbLb0EES1T_IbLb1EEEEDaS1P_S1Q_EUlS1P_E_NS1_11comp_targetILNS1_3genE5ELNS1_11target_archE942ELNS1_3gpuE9ELNS1_3repE0EEENS1_30default_config_static_selectorELNS0_4arch9wavefront6targetE0EEEvS12_.has_recursion, 0
	.set _ZN7rocprim17ROCPRIM_400000_NS6detail17trampoline_kernelINS0_13select_configILj256ELj13ELNS0_17block_load_methodE3ELS4_3ELS4_3ELNS0_20block_scan_algorithmE0ELj4294967295EEENS1_25partition_config_selectorILNS1_17partition_subalgoE4EjNS0_10empty_typeEbEEZZNS1_14partition_implILS8_4ELb0ES6_15HIP_vector_typeIjLj2EENS0_17counting_iteratorIjlEEPS9_SG_NS0_5tupleIJPjSI_NS0_16reverse_iteratorISI_EEEEENSH_IJSG_SG_SG_EEES9_SI_JZNS1_25segmented_radix_sort_implINS0_14default_configELb1EPKhPhPKlPlN2at6native12_GLOBAL__N_18offset_tEEE10hipError_tPvRmT1_PNSt15iterator_traitsIS12_E10value_typeET2_T3_PNS13_IS18_E10value_typeET4_jRbjT5_S1E_jjP12ihipStream_tbEUljE_ZNSN_ISO_Lb1ESQ_SR_ST_SU_SY_EESZ_S10_S11_S12_S16_S17_S18_S1B_S1C_jS1D_jS1E_S1E_jjS1G_bEUljE0_EEESZ_S10_S11_S18_S1C_S1E_T6_T7_T9_mT8_S1G_bDpT10_ENKUlT_T0_E_clISt17integral_constantIbLb0EES1T_IbLb1EEEEDaS1P_S1Q_EUlS1P_E_NS1_11comp_targetILNS1_3genE5ELNS1_11target_archE942ELNS1_3gpuE9ELNS1_3repE0EEENS1_30default_config_static_selectorELNS0_4arch9wavefront6targetE0EEEvS12_.has_indirect_call, 0
	.section	.AMDGPU.csdata,"",@progbits
; Kernel info:
; codeLenInByte = 0
; TotalNumSgprs: 0
; NumVgprs: 0
; ScratchSize: 0
; MemoryBound: 0
; FloatMode: 240
; IeeeMode: 1
; LDSByteSize: 0 bytes/workgroup (compile time only)
; SGPRBlocks: 0
; VGPRBlocks: 0
; NumSGPRsForWavesPerEU: 1
; NumVGPRsForWavesPerEU: 1
; Occupancy: 16
; WaveLimiterHint : 0
; COMPUTE_PGM_RSRC2:SCRATCH_EN: 0
; COMPUTE_PGM_RSRC2:USER_SGPR: 2
; COMPUTE_PGM_RSRC2:TRAP_HANDLER: 0
; COMPUTE_PGM_RSRC2:TGID_X_EN: 1
; COMPUTE_PGM_RSRC2:TGID_Y_EN: 0
; COMPUTE_PGM_RSRC2:TGID_Z_EN: 0
; COMPUTE_PGM_RSRC2:TIDIG_COMP_CNT: 0
	.section	.text._ZN7rocprim17ROCPRIM_400000_NS6detail17trampoline_kernelINS0_13select_configILj256ELj13ELNS0_17block_load_methodE3ELS4_3ELS4_3ELNS0_20block_scan_algorithmE0ELj4294967295EEENS1_25partition_config_selectorILNS1_17partition_subalgoE4EjNS0_10empty_typeEbEEZZNS1_14partition_implILS8_4ELb0ES6_15HIP_vector_typeIjLj2EENS0_17counting_iteratorIjlEEPS9_SG_NS0_5tupleIJPjSI_NS0_16reverse_iteratorISI_EEEEENSH_IJSG_SG_SG_EEES9_SI_JZNS1_25segmented_radix_sort_implINS0_14default_configELb1EPKhPhPKlPlN2at6native12_GLOBAL__N_18offset_tEEE10hipError_tPvRmT1_PNSt15iterator_traitsIS12_E10value_typeET2_T3_PNS13_IS18_E10value_typeET4_jRbjT5_S1E_jjP12ihipStream_tbEUljE_ZNSN_ISO_Lb1ESQ_SR_ST_SU_SY_EESZ_S10_S11_S12_S16_S17_S18_S1B_S1C_jS1D_jS1E_S1E_jjS1G_bEUljE0_EEESZ_S10_S11_S18_S1C_S1E_T6_T7_T9_mT8_S1G_bDpT10_ENKUlT_T0_E_clISt17integral_constantIbLb0EES1T_IbLb1EEEEDaS1P_S1Q_EUlS1P_E_NS1_11comp_targetILNS1_3genE4ELNS1_11target_archE910ELNS1_3gpuE8ELNS1_3repE0EEENS1_30default_config_static_selectorELNS0_4arch9wavefront6targetE0EEEvS12_,"axG",@progbits,_ZN7rocprim17ROCPRIM_400000_NS6detail17trampoline_kernelINS0_13select_configILj256ELj13ELNS0_17block_load_methodE3ELS4_3ELS4_3ELNS0_20block_scan_algorithmE0ELj4294967295EEENS1_25partition_config_selectorILNS1_17partition_subalgoE4EjNS0_10empty_typeEbEEZZNS1_14partition_implILS8_4ELb0ES6_15HIP_vector_typeIjLj2EENS0_17counting_iteratorIjlEEPS9_SG_NS0_5tupleIJPjSI_NS0_16reverse_iteratorISI_EEEEENSH_IJSG_SG_SG_EEES9_SI_JZNS1_25segmented_radix_sort_implINS0_14default_configELb1EPKhPhPKlPlN2at6native12_GLOBAL__N_18offset_tEEE10hipError_tPvRmT1_PNSt15iterator_traitsIS12_E10value_typeET2_T3_PNS13_IS18_E10value_typeET4_jRbjT5_S1E_jjP12ihipStream_tbEUljE_ZNSN_ISO_Lb1ESQ_SR_ST_SU_SY_EESZ_S10_S11_S12_S16_S17_S18_S1B_S1C_jS1D_jS1E_S1E_jjS1G_bEUljE0_EEESZ_S10_S11_S18_S1C_S1E_T6_T7_T9_mT8_S1G_bDpT10_ENKUlT_T0_E_clISt17integral_constantIbLb0EES1T_IbLb1EEEEDaS1P_S1Q_EUlS1P_E_NS1_11comp_targetILNS1_3genE4ELNS1_11target_archE910ELNS1_3gpuE8ELNS1_3repE0EEENS1_30default_config_static_selectorELNS0_4arch9wavefront6targetE0EEEvS12_,comdat
	.globl	_ZN7rocprim17ROCPRIM_400000_NS6detail17trampoline_kernelINS0_13select_configILj256ELj13ELNS0_17block_load_methodE3ELS4_3ELS4_3ELNS0_20block_scan_algorithmE0ELj4294967295EEENS1_25partition_config_selectorILNS1_17partition_subalgoE4EjNS0_10empty_typeEbEEZZNS1_14partition_implILS8_4ELb0ES6_15HIP_vector_typeIjLj2EENS0_17counting_iteratorIjlEEPS9_SG_NS0_5tupleIJPjSI_NS0_16reverse_iteratorISI_EEEEENSH_IJSG_SG_SG_EEES9_SI_JZNS1_25segmented_radix_sort_implINS0_14default_configELb1EPKhPhPKlPlN2at6native12_GLOBAL__N_18offset_tEEE10hipError_tPvRmT1_PNSt15iterator_traitsIS12_E10value_typeET2_T3_PNS13_IS18_E10value_typeET4_jRbjT5_S1E_jjP12ihipStream_tbEUljE_ZNSN_ISO_Lb1ESQ_SR_ST_SU_SY_EESZ_S10_S11_S12_S16_S17_S18_S1B_S1C_jS1D_jS1E_S1E_jjS1G_bEUljE0_EEESZ_S10_S11_S18_S1C_S1E_T6_T7_T9_mT8_S1G_bDpT10_ENKUlT_T0_E_clISt17integral_constantIbLb0EES1T_IbLb1EEEEDaS1P_S1Q_EUlS1P_E_NS1_11comp_targetILNS1_3genE4ELNS1_11target_archE910ELNS1_3gpuE8ELNS1_3repE0EEENS1_30default_config_static_selectorELNS0_4arch9wavefront6targetE0EEEvS12_ ; -- Begin function _ZN7rocprim17ROCPRIM_400000_NS6detail17trampoline_kernelINS0_13select_configILj256ELj13ELNS0_17block_load_methodE3ELS4_3ELS4_3ELNS0_20block_scan_algorithmE0ELj4294967295EEENS1_25partition_config_selectorILNS1_17partition_subalgoE4EjNS0_10empty_typeEbEEZZNS1_14partition_implILS8_4ELb0ES6_15HIP_vector_typeIjLj2EENS0_17counting_iteratorIjlEEPS9_SG_NS0_5tupleIJPjSI_NS0_16reverse_iteratorISI_EEEEENSH_IJSG_SG_SG_EEES9_SI_JZNS1_25segmented_radix_sort_implINS0_14default_configELb1EPKhPhPKlPlN2at6native12_GLOBAL__N_18offset_tEEE10hipError_tPvRmT1_PNSt15iterator_traitsIS12_E10value_typeET2_T3_PNS13_IS18_E10value_typeET4_jRbjT5_S1E_jjP12ihipStream_tbEUljE_ZNSN_ISO_Lb1ESQ_SR_ST_SU_SY_EESZ_S10_S11_S12_S16_S17_S18_S1B_S1C_jS1D_jS1E_S1E_jjS1G_bEUljE0_EEESZ_S10_S11_S18_S1C_S1E_T6_T7_T9_mT8_S1G_bDpT10_ENKUlT_T0_E_clISt17integral_constantIbLb0EES1T_IbLb1EEEEDaS1P_S1Q_EUlS1P_E_NS1_11comp_targetILNS1_3genE4ELNS1_11target_archE910ELNS1_3gpuE8ELNS1_3repE0EEENS1_30default_config_static_selectorELNS0_4arch9wavefront6targetE0EEEvS12_
	.p2align	8
	.type	_ZN7rocprim17ROCPRIM_400000_NS6detail17trampoline_kernelINS0_13select_configILj256ELj13ELNS0_17block_load_methodE3ELS4_3ELS4_3ELNS0_20block_scan_algorithmE0ELj4294967295EEENS1_25partition_config_selectorILNS1_17partition_subalgoE4EjNS0_10empty_typeEbEEZZNS1_14partition_implILS8_4ELb0ES6_15HIP_vector_typeIjLj2EENS0_17counting_iteratorIjlEEPS9_SG_NS0_5tupleIJPjSI_NS0_16reverse_iteratorISI_EEEEENSH_IJSG_SG_SG_EEES9_SI_JZNS1_25segmented_radix_sort_implINS0_14default_configELb1EPKhPhPKlPlN2at6native12_GLOBAL__N_18offset_tEEE10hipError_tPvRmT1_PNSt15iterator_traitsIS12_E10value_typeET2_T3_PNS13_IS18_E10value_typeET4_jRbjT5_S1E_jjP12ihipStream_tbEUljE_ZNSN_ISO_Lb1ESQ_SR_ST_SU_SY_EESZ_S10_S11_S12_S16_S17_S18_S1B_S1C_jS1D_jS1E_S1E_jjS1G_bEUljE0_EEESZ_S10_S11_S18_S1C_S1E_T6_T7_T9_mT8_S1G_bDpT10_ENKUlT_T0_E_clISt17integral_constantIbLb0EES1T_IbLb1EEEEDaS1P_S1Q_EUlS1P_E_NS1_11comp_targetILNS1_3genE4ELNS1_11target_archE910ELNS1_3gpuE8ELNS1_3repE0EEENS1_30default_config_static_selectorELNS0_4arch9wavefront6targetE0EEEvS12_,@function
_ZN7rocprim17ROCPRIM_400000_NS6detail17trampoline_kernelINS0_13select_configILj256ELj13ELNS0_17block_load_methodE3ELS4_3ELS4_3ELNS0_20block_scan_algorithmE0ELj4294967295EEENS1_25partition_config_selectorILNS1_17partition_subalgoE4EjNS0_10empty_typeEbEEZZNS1_14partition_implILS8_4ELb0ES6_15HIP_vector_typeIjLj2EENS0_17counting_iteratorIjlEEPS9_SG_NS0_5tupleIJPjSI_NS0_16reverse_iteratorISI_EEEEENSH_IJSG_SG_SG_EEES9_SI_JZNS1_25segmented_radix_sort_implINS0_14default_configELb1EPKhPhPKlPlN2at6native12_GLOBAL__N_18offset_tEEE10hipError_tPvRmT1_PNSt15iterator_traitsIS12_E10value_typeET2_T3_PNS13_IS18_E10value_typeET4_jRbjT5_S1E_jjP12ihipStream_tbEUljE_ZNSN_ISO_Lb1ESQ_SR_ST_SU_SY_EESZ_S10_S11_S12_S16_S17_S18_S1B_S1C_jS1D_jS1E_S1E_jjS1G_bEUljE0_EEESZ_S10_S11_S18_S1C_S1E_T6_T7_T9_mT8_S1G_bDpT10_ENKUlT_T0_E_clISt17integral_constantIbLb0EES1T_IbLb1EEEEDaS1P_S1Q_EUlS1P_E_NS1_11comp_targetILNS1_3genE4ELNS1_11target_archE910ELNS1_3gpuE8ELNS1_3repE0EEENS1_30default_config_static_selectorELNS0_4arch9wavefront6targetE0EEEvS12_: ; @_ZN7rocprim17ROCPRIM_400000_NS6detail17trampoline_kernelINS0_13select_configILj256ELj13ELNS0_17block_load_methodE3ELS4_3ELS4_3ELNS0_20block_scan_algorithmE0ELj4294967295EEENS1_25partition_config_selectorILNS1_17partition_subalgoE4EjNS0_10empty_typeEbEEZZNS1_14partition_implILS8_4ELb0ES6_15HIP_vector_typeIjLj2EENS0_17counting_iteratorIjlEEPS9_SG_NS0_5tupleIJPjSI_NS0_16reverse_iteratorISI_EEEEENSH_IJSG_SG_SG_EEES9_SI_JZNS1_25segmented_radix_sort_implINS0_14default_configELb1EPKhPhPKlPlN2at6native12_GLOBAL__N_18offset_tEEE10hipError_tPvRmT1_PNSt15iterator_traitsIS12_E10value_typeET2_T3_PNS13_IS18_E10value_typeET4_jRbjT5_S1E_jjP12ihipStream_tbEUljE_ZNSN_ISO_Lb1ESQ_SR_ST_SU_SY_EESZ_S10_S11_S12_S16_S17_S18_S1B_S1C_jS1D_jS1E_S1E_jjS1G_bEUljE0_EEESZ_S10_S11_S18_S1C_S1E_T6_T7_T9_mT8_S1G_bDpT10_ENKUlT_T0_E_clISt17integral_constantIbLb0EES1T_IbLb1EEEEDaS1P_S1Q_EUlS1P_E_NS1_11comp_targetILNS1_3genE4ELNS1_11target_archE910ELNS1_3gpuE8ELNS1_3repE0EEENS1_30default_config_static_selectorELNS0_4arch9wavefront6targetE0EEEvS12_
; %bb.0:
	.section	.rodata,"a",@progbits
	.p2align	6, 0x0
	.amdhsa_kernel _ZN7rocprim17ROCPRIM_400000_NS6detail17trampoline_kernelINS0_13select_configILj256ELj13ELNS0_17block_load_methodE3ELS4_3ELS4_3ELNS0_20block_scan_algorithmE0ELj4294967295EEENS1_25partition_config_selectorILNS1_17partition_subalgoE4EjNS0_10empty_typeEbEEZZNS1_14partition_implILS8_4ELb0ES6_15HIP_vector_typeIjLj2EENS0_17counting_iteratorIjlEEPS9_SG_NS0_5tupleIJPjSI_NS0_16reverse_iteratorISI_EEEEENSH_IJSG_SG_SG_EEES9_SI_JZNS1_25segmented_radix_sort_implINS0_14default_configELb1EPKhPhPKlPlN2at6native12_GLOBAL__N_18offset_tEEE10hipError_tPvRmT1_PNSt15iterator_traitsIS12_E10value_typeET2_T3_PNS13_IS18_E10value_typeET4_jRbjT5_S1E_jjP12ihipStream_tbEUljE_ZNSN_ISO_Lb1ESQ_SR_ST_SU_SY_EESZ_S10_S11_S12_S16_S17_S18_S1B_S1C_jS1D_jS1E_S1E_jjS1G_bEUljE0_EEESZ_S10_S11_S18_S1C_S1E_T6_T7_T9_mT8_S1G_bDpT10_ENKUlT_T0_E_clISt17integral_constantIbLb0EES1T_IbLb1EEEEDaS1P_S1Q_EUlS1P_E_NS1_11comp_targetILNS1_3genE4ELNS1_11target_archE910ELNS1_3gpuE8ELNS1_3repE0EEENS1_30default_config_static_selectorELNS0_4arch9wavefront6targetE0EEEvS12_
		.amdhsa_group_segment_fixed_size 0
		.amdhsa_private_segment_fixed_size 0
		.amdhsa_kernarg_size 184
		.amdhsa_user_sgpr_count 2
		.amdhsa_user_sgpr_dispatch_ptr 0
		.amdhsa_user_sgpr_queue_ptr 0
		.amdhsa_user_sgpr_kernarg_segment_ptr 1
		.amdhsa_user_sgpr_dispatch_id 0
		.amdhsa_user_sgpr_private_segment_size 0
		.amdhsa_wavefront_size32 1
		.amdhsa_uses_dynamic_stack 0
		.amdhsa_enable_private_segment 0
		.amdhsa_system_sgpr_workgroup_id_x 1
		.amdhsa_system_sgpr_workgroup_id_y 0
		.amdhsa_system_sgpr_workgroup_id_z 0
		.amdhsa_system_sgpr_workgroup_info 0
		.amdhsa_system_vgpr_workitem_id 0
		.amdhsa_next_free_vgpr 1
		.amdhsa_next_free_sgpr 1
		.amdhsa_reserve_vcc 0
		.amdhsa_float_round_mode_32 0
		.amdhsa_float_round_mode_16_64 0
		.amdhsa_float_denorm_mode_32 3
		.amdhsa_float_denorm_mode_16_64 3
		.amdhsa_fp16_overflow 0
		.amdhsa_workgroup_processor_mode 1
		.amdhsa_memory_ordered 1
		.amdhsa_forward_progress 1
		.amdhsa_inst_pref_size 0
		.amdhsa_round_robin_scheduling 0
		.amdhsa_exception_fp_ieee_invalid_op 0
		.amdhsa_exception_fp_denorm_src 0
		.amdhsa_exception_fp_ieee_div_zero 0
		.amdhsa_exception_fp_ieee_overflow 0
		.amdhsa_exception_fp_ieee_underflow 0
		.amdhsa_exception_fp_ieee_inexact 0
		.amdhsa_exception_int_div_zero 0
	.end_amdhsa_kernel
	.section	.text._ZN7rocprim17ROCPRIM_400000_NS6detail17trampoline_kernelINS0_13select_configILj256ELj13ELNS0_17block_load_methodE3ELS4_3ELS4_3ELNS0_20block_scan_algorithmE0ELj4294967295EEENS1_25partition_config_selectorILNS1_17partition_subalgoE4EjNS0_10empty_typeEbEEZZNS1_14partition_implILS8_4ELb0ES6_15HIP_vector_typeIjLj2EENS0_17counting_iteratorIjlEEPS9_SG_NS0_5tupleIJPjSI_NS0_16reverse_iteratorISI_EEEEENSH_IJSG_SG_SG_EEES9_SI_JZNS1_25segmented_radix_sort_implINS0_14default_configELb1EPKhPhPKlPlN2at6native12_GLOBAL__N_18offset_tEEE10hipError_tPvRmT1_PNSt15iterator_traitsIS12_E10value_typeET2_T3_PNS13_IS18_E10value_typeET4_jRbjT5_S1E_jjP12ihipStream_tbEUljE_ZNSN_ISO_Lb1ESQ_SR_ST_SU_SY_EESZ_S10_S11_S12_S16_S17_S18_S1B_S1C_jS1D_jS1E_S1E_jjS1G_bEUljE0_EEESZ_S10_S11_S18_S1C_S1E_T6_T7_T9_mT8_S1G_bDpT10_ENKUlT_T0_E_clISt17integral_constantIbLb0EES1T_IbLb1EEEEDaS1P_S1Q_EUlS1P_E_NS1_11comp_targetILNS1_3genE4ELNS1_11target_archE910ELNS1_3gpuE8ELNS1_3repE0EEENS1_30default_config_static_selectorELNS0_4arch9wavefront6targetE0EEEvS12_,"axG",@progbits,_ZN7rocprim17ROCPRIM_400000_NS6detail17trampoline_kernelINS0_13select_configILj256ELj13ELNS0_17block_load_methodE3ELS4_3ELS4_3ELNS0_20block_scan_algorithmE0ELj4294967295EEENS1_25partition_config_selectorILNS1_17partition_subalgoE4EjNS0_10empty_typeEbEEZZNS1_14partition_implILS8_4ELb0ES6_15HIP_vector_typeIjLj2EENS0_17counting_iteratorIjlEEPS9_SG_NS0_5tupleIJPjSI_NS0_16reverse_iteratorISI_EEEEENSH_IJSG_SG_SG_EEES9_SI_JZNS1_25segmented_radix_sort_implINS0_14default_configELb1EPKhPhPKlPlN2at6native12_GLOBAL__N_18offset_tEEE10hipError_tPvRmT1_PNSt15iterator_traitsIS12_E10value_typeET2_T3_PNS13_IS18_E10value_typeET4_jRbjT5_S1E_jjP12ihipStream_tbEUljE_ZNSN_ISO_Lb1ESQ_SR_ST_SU_SY_EESZ_S10_S11_S12_S16_S17_S18_S1B_S1C_jS1D_jS1E_S1E_jjS1G_bEUljE0_EEESZ_S10_S11_S18_S1C_S1E_T6_T7_T9_mT8_S1G_bDpT10_ENKUlT_T0_E_clISt17integral_constantIbLb0EES1T_IbLb1EEEEDaS1P_S1Q_EUlS1P_E_NS1_11comp_targetILNS1_3genE4ELNS1_11target_archE910ELNS1_3gpuE8ELNS1_3repE0EEENS1_30default_config_static_selectorELNS0_4arch9wavefront6targetE0EEEvS12_,comdat
.Lfunc_end41:
	.size	_ZN7rocprim17ROCPRIM_400000_NS6detail17trampoline_kernelINS0_13select_configILj256ELj13ELNS0_17block_load_methodE3ELS4_3ELS4_3ELNS0_20block_scan_algorithmE0ELj4294967295EEENS1_25partition_config_selectorILNS1_17partition_subalgoE4EjNS0_10empty_typeEbEEZZNS1_14partition_implILS8_4ELb0ES6_15HIP_vector_typeIjLj2EENS0_17counting_iteratorIjlEEPS9_SG_NS0_5tupleIJPjSI_NS0_16reverse_iteratorISI_EEEEENSH_IJSG_SG_SG_EEES9_SI_JZNS1_25segmented_radix_sort_implINS0_14default_configELb1EPKhPhPKlPlN2at6native12_GLOBAL__N_18offset_tEEE10hipError_tPvRmT1_PNSt15iterator_traitsIS12_E10value_typeET2_T3_PNS13_IS18_E10value_typeET4_jRbjT5_S1E_jjP12ihipStream_tbEUljE_ZNSN_ISO_Lb1ESQ_SR_ST_SU_SY_EESZ_S10_S11_S12_S16_S17_S18_S1B_S1C_jS1D_jS1E_S1E_jjS1G_bEUljE0_EEESZ_S10_S11_S18_S1C_S1E_T6_T7_T9_mT8_S1G_bDpT10_ENKUlT_T0_E_clISt17integral_constantIbLb0EES1T_IbLb1EEEEDaS1P_S1Q_EUlS1P_E_NS1_11comp_targetILNS1_3genE4ELNS1_11target_archE910ELNS1_3gpuE8ELNS1_3repE0EEENS1_30default_config_static_selectorELNS0_4arch9wavefront6targetE0EEEvS12_, .Lfunc_end41-_ZN7rocprim17ROCPRIM_400000_NS6detail17trampoline_kernelINS0_13select_configILj256ELj13ELNS0_17block_load_methodE3ELS4_3ELS4_3ELNS0_20block_scan_algorithmE0ELj4294967295EEENS1_25partition_config_selectorILNS1_17partition_subalgoE4EjNS0_10empty_typeEbEEZZNS1_14partition_implILS8_4ELb0ES6_15HIP_vector_typeIjLj2EENS0_17counting_iteratorIjlEEPS9_SG_NS0_5tupleIJPjSI_NS0_16reverse_iteratorISI_EEEEENSH_IJSG_SG_SG_EEES9_SI_JZNS1_25segmented_radix_sort_implINS0_14default_configELb1EPKhPhPKlPlN2at6native12_GLOBAL__N_18offset_tEEE10hipError_tPvRmT1_PNSt15iterator_traitsIS12_E10value_typeET2_T3_PNS13_IS18_E10value_typeET4_jRbjT5_S1E_jjP12ihipStream_tbEUljE_ZNSN_ISO_Lb1ESQ_SR_ST_SU_SY_EESZ_S10_S11_S12_S16_S17_S18_S1B_S1C_jS1D_jS1E_S1E_jjS1G_bEUljE0_EEESZ_S10_S11_S18_S1C_S1E_T6_T7_T9_mT8_S1G_bDpT10_ENKUlT_T0_E_clISt17integral_constantIbLb0EES1T_IbLb1EEEEDaS1P_S1Q_EUlS1P_E_NS1_11comp_targetILNS1_3genE4ELNS1_11target_archE910ELNS1_3gpuE8ELNS1_3repE0EEENS1_30default_config_static_selectorELNS0_4arch9wavefront6targetE0EEEvS12_
                                        ; -- End function
	.set _ZN7rocprim17ROCPRIM_400000_NS6detail17trampoline_kernelINS0_13select_configILj256ELj13ELNS0_17block_load_methodE3ELS4_3ELS4_3ELNS0_20block_scan_algorithmE0ELj4294967295EEENS1_25partition_config_selectorILNS1_17partition_subalgoE4EjNS0_10empty_typeEbEEZZNS1_14partition_implILS8_4ELb0ES6_15HIP_vector_typeIjLj2EENS0_17counting_iteratorIjlEEPS9_SG_NS0_5tupleIJPjSI_NS0_16reverse_iteratorISI_EEEEENSH_IJSG_SG_SG_EEES9_SI_JZNS1_25segmented_radix_sort_implINS0_14default_configELb1EPKhPhPKlPlN2at6native12_GLOBAL__N_18offset_tEEE10hipError_tPvRmT1_PNSt15iterator_traitsIS12_E10value_typeET2_T3_PNS13_IS18_E10value_typeET4_jRbjT5_S1E_jjP12ihipStream_tbEUljE_ZNSN_ISO_Lb1ESQ_SR_ST_SU_SY_EESZ_S10_S11_S12_S16_S17_S18_S1B_S1C_jS1D_jS1E_S1E_jjS1G_bEUljE0_EEESZ_S10_S11_S18_S1C_S1E_T6_T7_T9_mT8_S1G_bDpT10_ENKUlT_T0_E_clISt17integral_constantIbLb0EES1T_IbLb1EEEEDaS1P_S1Q_EUlS1P_E_NS1_11comp_targetILNS1_3genE4ELNS1_11target_archE910ELNS1_3gpuE8ELNS1_3repE0EEENS1_30default_config_static_selectorELNS0_4arch9wavefront6targetE0EEEvS12_.num_vgpr, 0
	.set _ZN7rocprim17ROCPRIM_400000_NS6detail17trampoline_kernelINS0_13select_configILj256ELj13ELNS0_17block_load_methodE3ELS4_3ELS4_3ELNS0_20block_scan_algorithmE0ELj4294967295EEENS1_25partition_config_selectorILNS1_17partition_subalgoE4EjNS0_10empty_typeEbEEZZNS1_14partition_implILS8_4ELb0ES6_15HIP_vector_typeIjLj2EENS0_17counting_iteratorIjlEEPS9_SG_NS0_5tupleIJPjSI_NS0_16reverse_iteratorISI_EEEEENSH_IJSG_SG_SG_EEES9_SI_JZNS1_25segmented_radix_sort_implINS0_14default_configELb1EPKhPhPKlPlN2at6native12_GLOBAL__N_18offset_tEEE10hipError_tPvRmT1_PNSt15iterator_traitsIS12_E10value_typeET2_T3_PNS13_IS18_E10value_typeET4_jRbjT5_S1E_jjP12ihipStream_tbEUljE_ZNSN_ISO_Lb1ESQ_SR_ST_SU_SY_EESZ_S10_S11_S12_S16_S17_S18_S1B_S1C_jS1D_jS1E_S1E_jjS1G_bEUljE0_EEESZ_S10_S11_S18_S1C_S1E_T6_T7_T9_mT8_S1G_bDpT10_ENKUlT_T0_E_clISt17integral_constantIbLb0EES1T_IbLb1EEEEDaS1P_S1Q_EUlS1P_E_NS1_11comp_targetILNS1_3genE4ELNS1_11target_archE910ELNS1_3gpuE8ELNS1_3repE0EEENS1_30default_config_static_selectorELNS0_4arch9wavefront6targetE0EEEvS12_.num_agpr, 0
	.set _ZN7rocprim17ROCPRIM_400000_NS6detail17trampoline_kernelINS0_13select_configILj256ELj13ELNS0_17block_load_methodE3ELS4_3ELS4_3ELNS0_20block_scan_algorithmE0ELj4294967295EEENS1_25partition_config_selectorILNS1_17partition_subalgoE4EjNS0_10empty_typeEbEEZZNS1_14partition_implILS8_4ELb0ES6_15HIP_vector_typeIjLj2EENS0_17counting_iteratorIjlEEPS9_SG_NS0_5tupleIJPjSI_NS0_16reverse_iteratorISI_EEEEENSH_IJSG_SG_SG_EEES9_SI_JZNS1_25segmented_radix_sort_implINS0_14default_configELb1EPKhPhPKlPlN2at6native12_GLOBAL__N_18offset_tEEE10hipError_tPvRmT1_PNSt15iterator_traitsIS12_E10value_typeET2_T3_PNS13_IS18_E10value_typeET4_jRbjT5_S1E_jjP12ihipStream_tbEUljE_ZNSN_ISO_Lb1ESQ_SR_ST_SU_SY_EESZ_S10_S11_S12_S16_S17_S18_S1B_S1C_jS1D_jS1E_S1E_jjS1G_bEUljE0_EEESZ_S10_S11_S18_S1C_S1E_T6_T7_T9_mT8_S1G_bDpT10_ENKUlT_T0_E_clISt17integral_constantIbLb0EES1T_IbLb1EEEEDaS1P_S1Q_EUlS1P_E_NS1_11comp_targetILNS1_3genE4ELNS1_11target_archE910ELNS1_3gpuE8ELNS1_3repE0EEENS1_30default_config_static_selectorELNS0_4arch9wavefront6targetE0EEEvS12_.numbered_sgpr, 0
	.set _ZN7rocprim17ROCPRIM_400000_NS6detail17trampoline_kernelINS0_13select_configILj256ELj13ELNS0_17block_load_methodE3ELS4_3ELS4_3ELNS0_20block_scan_algorithmE0ELj4294967295EEENS1_25partition_config_selectorILNS1_17partition_subalgoE4EjNS0_10empty_typeEbEEZZNS1_14partition_implILS8_4ELb0ES6_15HIP_vector_typeIjLj2EENS0_17counting_iteratorIjlEEPS9_SG_NS0_5tupleIJPjSI_NS0_16reverse_iteratorISI_EEEEENSH_IJSG_SG_SG_EEES9_SI_JZNS1_25segmented_radix_sort_implINS0_14default_configELb1EPKhPhPKlPlN2at6native12_GLOBAL__N_18offset_tEEE10hipError_tPvRmT1_PNSt15iterator_traitsIS12_E10value_typeET2_T3_PNS13_IS18_E10value_typeET4_jRbjT5_S1E_jjP12ihipStream_tbEUljE_ZNSN_ISO_Lb1ESQ_SR_ST_SU_SY_EESZ_S10_S11_S12_S16_S17_S18_S1B_S1C_jS1D_jS1E_S1E_jjS1G_bEUljE0_EEESZ_S10_S11_S18_S1C_S1E_T6_T7_T9_mT8_S1G_bDpT10_ENKUlT_T0_E_clISt17integral_constantIbLb0EES1T_IbLb1EEEEDaS1P_S1Q_EUlS1P_E_NS1_11comp_targetILNS1_3genE4ELNS1_11target_archE910ELNS1_3gpuE8ELNS1_3repE0EEENS1_30default_config_static_selectorELNS0_4arch9wavefront6targetE0EEEvS12_.num_named_barrier, 0
	.set _ZN7rocprim17ROCPRIM_400000_NS6detail17trampoline_kernelINS0_13select_configILj256ELj13ELNS0_17block_load_methodE3ELS4_3ELS4_3ELNS0_20block_scan_algorithmE0ELj4294967295EEENS1_25partition_config_selectorILNS1_17partition_subalgoE4EjNS0_10empty_typeEbEEZZNS1_14partition_implILS8_4ELb0ES6_15HIP_vector_typeIjLj2EENS0_17counting_iteratorIjlEEPS9_SG_NS0_5tupleIJPjSI_NS0_16reverse_iteratorISI_EEEEENSH_IJSG_SG_SG_EEES9_SI_JZNS1_25segmented_radix_sort_implINS0_14default_configELb1EPKhPhPKlPlN2at6native12_GLOBAL__N_18offset_tEEE10hipError_tPvRmT1_PNSt15iterator_traitsIS12_E10value_typeET2_T3_PNS13_IS18_E10value_typeET4_jRbjT5_S1E_jjP12ihipStream_tbEUljE_ZNSN_ISO_Lb1ESQ_SR_ST_SU_SY_EESZ_S10_S11_S12_S16_S17_S18_S1B_S1C_jS1D_jS1E_S1E_jjS1G_bEUljE0_EEESZ_S10_S11_S18_S1C_S1E_T6_T7_T9_mT8_S1G_bDpT10_ENKUlT_T0_E_clISt17integral_constantIbLb0EES1T_IbLb1EEEEDaS1P_S1Q_EUlS1P_E_NS1_11comp_targetILNS1_3genE4ELNS1_11target_archE910ELNS1_3gpuE8ELNS1_3repE0EEENS1_30default_config_static_selectorELNS0_4arch9wavefront6targetE0EEEvS12_.private_seg_size, 0
	.set _ZN7rocprim17ROCPRIM_400000_NS6detail17trampoline_kernelINS0_13select_configILj256ELj13ELNS0_17block_load_methodE3ELS4_3ELS4_3ELNS0_20block_scan_algorithmE0ELj4294967295EEENS1_25partition_config_selectorILNS1_17partition_subalgoE4EjNS0_10empty_typeEbEEZZNS1_14partition_implILS8_4ELb0ES6_15HIP_vector_typeIjLj2EENS0_17counting_iteratorIjlEEPS9_SG_NS0_5tupleIJPjSI_NS0_16reverse_iteratorISI_EEEEENSH_IJSG_SG_SG_EEES9_SI_JZNS1_25segmented_radix_sort_implINS0_14default_configELb1EPKhPhPKlPlN2at6native12_GLOBAL__N_18offset_tEEE10hipError_tPvRmT1_PNSt15iterator_traitsIS12_E10value_typeET2_T3_PNS13_IS18_E10value_typeET4_jRbjT5_S1E_jjP12ihipStream_tbEUljE_ZNSN_ISO_Lb1ESQ_SR_ST_SU_SY_EESZ_S10_S11_S12_S16_S17_S18_S1B_S1C_jS1D_jS1E_S1E_jjS1G_bEUljE0_EEESZ_S10_S11_S18_S1C_S1E_T6_T7_T9_mT8_S1G_bDpT10_ENKUlT_T0_E_clISt17integral_constantIbLb0EES1T_IbLb1EEEEDaS1P_S1Q_EUlS1P_E_NS1_11comp_targetILNS1_3genE4ELNS1_11target_archE910ELNS1_3gpuE8ELNS1_3repE0EEENS1_30default_config_static_selectorELNS0_4arch9wavefront6targetE0EEEvS12_.uses_vcc, 0
	.set _ZN7rocprim17ROCPRIM_400000_NS6detail17trampoline_kernelINS0_13select_configILj256ELj13ELNS0_17block_load_methodE3ELS4_3ELS4_3ELNS0_20block_scan_algorithmE0ELj4294967295EEENS1_25partition_config_selectorILNS1_17partition_subalgoE4EjNS0_10empty_typeEbEEZZNS1_14partition_implILS8_4ELb0ES6_15HIP_vector_typeIjLj2EENS0_17counting_iteratorIjlEEPS9_SG_NS0_5tupleIJPjSI_NS0_16reverse_iteratorISI_EEEEENSH_IJSG_SG_SG_EEES9_SI_JZNS1_25segmented_radix_sort_implINS0_14default_configELb1EPKhPhPKlPlN2at6native12_GLOBAL__N_18offset_tEEE10hipError_tPvRmT1_PNSt15iterator_traitsIS12_E10value_typeET2_T3_PNS13_IS18_E10value_typeET4_jRbjT5_S1E_jjP12ihipStream_tbEUljE_ZNSN_ISO_Lb1ESQ_SR_ST_SU_SY_EESZ_S10_S11_S12_S16_S17_S18_S1B_S1C_jS1D_jS1E_S1E_jjS1G_bEUljE0_EEESZ_S10_S11_S18_S1C_S1E_T6_T7_T9_mT8_S1G_bDpT10_ENKUlT_T0_E_clISt17integral_constantIbLb0EES1T_IbLb1EEEEDaS1P_S1Q_EUlS1P_E_NS1_11comp_targetILNS1_3genE4ELNS1_11target_archE910ELNS1_3gpuE8ELNS1_3repE0EEENS1_30default_config_static_selectorELNS0_4arch9wavefront6targetE0EEEvS12_.uses_flat_scratch, 0
	.set _ZN7rocprim17ROCPRIM_400000_NS6detail17trampoline_kernelINS0_13select_configILj256ELj13ELNS0_17block_load_methodE3ELS4_3ELS4_3ELNS0_20block_scan_algorithmE0ELj4294967295EEENS1_25partition_config_selectorILNS1_17partition_subalgoE4EjNS0_10empty_typeEbEEZZNS1_14partition_implILS8_4ELb0ES6_15HIP_vector_typeIjLj2EENS0_17counting_iteratorIjlEEPS9_SG_NS0_5tupleIJPjSI_NS0_16reverse_iteratorISI_EEEEENSH_IJSG_SG_SG_EEES9_SI_JZNS1_25segmented_radix_sort_implINS0_14default_configELb1EPKhPhPKlPlN2at6native12_GLOBAL__N_18offset_tEEE10hipError_tPvRmT1_PNSt15iterator_traitsIS12_E10value_typeET2_T3_PNS13_IS18_E10value_typeET4_jRbjT5_S1E_jjP12ihipStream_tbEUljE_ZNSN_ISO_Lb1ESQ_SR_ST_SU_SY_EESZ_S10_S11_S12_S16_S17_S18_S1B_S1C_jS1D_jS1E_S1E_jjS1G_bEUljE0_EEESZ_S10_S11_S18_S1C_S1E_T6_T7_T9_mT8_S1G_bDpT10_ENKUlT_T0_E_clISt17integral_constantIbLb0EES1T_IbLb1EEEEDaS1P_S1Q_EUlS1P_E_NS1_11comp_targetILNS1_3genE4ELNS1_11target_archE910ELNS1_3gpuE8ELNS1_3repE0EEENS1_30default_config_static_selectorELNS0_4arch9wavefront6targetE0EEEvS12_.has_dyn_sized_stack, 0
	.set _ZN7rocprim17ROCPRIM_400000_NS6detail17trampoline_kernelINS0_13select_configILj256ELj13ELNS0_17block_load_methodE3ELS4_3ELS4_3ELNS0_20block_scan_algorithmE0ELj4294967295EEENS1_25partition_config_selectorILNS1_17partition_subalgoE4EjNS0_10empty_typeEbEEZZNS1_14partition_implILS8_4ELb0ES6_15HIP_vector_typeIjLj2EENS0_17counting_iteratorIjlEEPS9_SG_NS0_5tupleIJPjSI_NS0_16reverse_iteratorISI_EEEEENSH_IJSG_SG_SG_EEES9_SI_JZNS1_25segmented_radix_sort_implINS0_14default_configELb1EPKhPhPKlPlN2at6native12_GLOBAL__N_18offset_tEEE10hipError_tPvRmT1_PNSt15iterator_traitsIS12_E10value_typeET2_T3_PNS13_IS18_E10value_typeET4_jRbjT5_S1E_jjP12ihipStream_tbEUljE_ZNSN_ISO_Lb1ESQ_SR_ST_SU_SY_EESZ_S10_S11_S12_S16_S17_S18_S1B_S1C_jS1D_jS1E_S1E_jjS1G_bEUljE0_EEESZ_S10_S11_S18_S1C_S1E_T6_T7_T9_mT8_S1G_bDpT10_ENKUlT_T0_E_clISt17integral_constantIbLb0EES1T_IbLb1EEEEDaS1P_S1Q_EUlS1P_E_NS1_11comp_targetILNS1_3genE4ELNS1_11target_archE910ELNS1_3gpuE8ELNS1_3repE0EEENS1_30default_config_static_selectorELNS0_4arch9wavefront6targetE0EEEvS12_.has_recursion, 0
	.set _ZN7rocprim17ROCPRIM_400000_NS6detail17trampoline_kernelINS0_13select_configILj256ELj13ELNS0_17block_load_methodE3ELS4_3ELS4_3ELNS0_20block_scan_algorithmE0ELj4294967295EEENS1_25partition_config_selectorILNS1_17partition_subalgoE4EjNS0_10empty_typeEbEEZZNS1_14partition_implILS8_4ELb0ES6_15HIP_vector_typeIjLj2EENS0_17counting_iteratorIjlEEPS9_SG_NS0_5tupleIJPjSI_NS0_16reverse_iteratorISI_EEEEENSH_IJSG_SG_SG_EEES9_SI_JZNS1_25segmented_radix_sort_implINS0_14default_configELb1EPKhPhPKlPlN2at6native12_GLOBAL__N_18offset_tEEE10hipError_tPvRmT1_PNSt15iterator_traitsIS12_E10value_typeET2_T3_PNS13_IS18_E10value_typeET4_jRbjT5_S1E_jjP12ihipStream_tbEUljE_ZNSN_ISO_Lb1ESQ_SR_ST_SU_SY_EESZ_S10_S11_S12_S16_S17_S18_S1B_S1C_jS1D_jS1E_S1E_jjS1G_bEUljE0_EEESZ_S10_S11_S18_S1C_S1E_T6_T7_T9_mT8_S1G_bDpT10_ENKUlT_T0_E_clISt17integral_constantIbLb0EES1T_IbLb1EEEEDaS1P_S1Q_EUlS1P_E_NS1_11comp_targetILNS1_3genE4ELNS1_11target_archE910ELNS1_3gpuE8ELNS1_3repE0EEENS1_30default_config_static_selectorELNS0_4arch9wavefront6targetE0EEEvS12_.has_indirect_call, 0
	.section	.AMDGPU.csdata,"",@progbits
; Kernel info:
; codeLenInByte = 0
; TotalNumSgprs: 0
; NumVgprs: 0
; ScratchSize: 0
; MemoryBound: 0
; FloatMode: 240
; IeeeMode: 1
; LDSByteSize: 0 bytes/workgroup (compile time only)
; SGPRBlocks: 0
; VGPRBlocks: 0
; NumSGPRsForWavesPerEU: 1
; NumVGPRsForWavesPerEU: 1
; Occupancy: 16
; WaveLimiterHint : 0
; COMPUTE_PGM_RSRC2:SCRATCH_EN: 0
; COMPUTE_PGM_RSRC2:USER_SGPR: 2
; COMPUTE_PGM_RSRC2:TRAP_HANDLER: 0
; COMPUTE_PGM_RSRC2:TGID_X_EN: 1
; COMPUTE_PGM_RSRC2:TGID_Y_EN: 0
; COMPUTE_PGM_RSRC2:TGID_Z_EN: 0
; COMPUTE_PGM_RSRC2:TIDIG_COMP_CNT: 0
	.section	.text._ZN7rocprim17ROCPRIM_400000_NS6detail17trampoline_kernelINS0_13select_configILj256ELj13ELNS0_17block_load_methodE3ELS4_3ELS4_3ELNS0_20block_scan_algorithmE0ELj4294967295EEENS1_25partition_config_selectorILNS1_17partition_subalgoE4EjNS0_10empty_typeEbEEZZNS1_14partition_implILS8_4ELb0ES6_15HIP_vector_typeIjLj2EENS0_17counting_iteratorIjlEEPS9_SG_NS0_5tupleIJPjSI_NS0_16reverse_iteratorISI_EEEEENSH_IJSG_SG_SG_EEES9_SI_JZNS1_25segmented_radix_sort_implINS0_14default_configELb1EPKhPhPKlPlN2at6native12_GLOBAL__N_18offset_tEEE10hipError_tPvRmT1_PNSt15iterator_traitsIS12_E10value_typeET2_T3_PNS13_IS18_E10value_typeET4_jRbjT5_S1E_jjP12ihipStream_tbEUljE_ZNSN_ISO_Lb1ESQ_SR_ST_SU_SY_EESZ_S10_S11_S12_S16_S17_S18_S1B_S1C_jS1D_jS1E_S1E_jjS1G_bEUljE0_EEESZ_S10_S11_S18_S1C_S1E_T6_T7_T9_mT8_S1G_bDpT10_ENKUlT_T0_E_clISt17integral_constantIbLb0EES1T_IbLb1EEEEDaS1P_S1Q_EUlS1P_E_NS1_11comp_targetILNS1_3genE3ELNS1_11target_archE908ELNS1_3gpuE7ELNS1_3repE0EEENS1_30default_config_static_selectorELNS0_4arch9wavefront6targetE0EEEvS12_,"axG",@progbits,_ZN7rocprim17ROCPRIM_400000_NS6detail17trampoline_kernelINS0_13select_configILj256ELj13ELNS0_17block_load_methodE3ELS4_3ELS4_3ELNS0_20block_scan_algorithmE0ELj4294967295EEENS1_25partition_config_selectorILNS1_17partition_subalgoE4EjNS0_10empty_typeEbEEZZNS1_14partition_implILS8_4ELb0ES6_15HIP_vector_typeIjLj2EENS0_17counting_iteratorIjlEEPS9_SG_NS0_5tupleIJPjSI_NS0_16reverse_iteratorISI_EEEEENSH_IJSG_SG_SG_EEES9_SI_JZNS1_25segmented_radix_sort_implINS0_14default_configELb1EPKhPhPKlPlN2at6native12_GLOBAL__N_18offset_tEEE10hipError_tPvRmT1_PNSt15iterator_traitsIS12_E10value_typeET2_T3_PNS13_IS18_E10value_typeET4_jRbjT5_S1E_jjP12ihipStream_tbEUljE_ZNSN_ISO_Lb1ESQ_SR_ST_SU_SY_EESZ_S10_S11_S12_S16_S17_S18_S1B_S1C_jS1D_jS1E_S1E_jjS1G_bEUljE0_EEESZ_S10_S11_S18_S1C_S1E_T6_T7_T9_mT8_S1G_bDpT10_ENKUlT_T0_E_clISt17integral_constantIbLb0EES1T_IbLb1EEEEDaS1P_S1Q_EUlS1P_E_NS1_11comp_targetILNS1_3genE3ELNS1_11target_archE908ELNS1_3gpuE7ELNS1_3repE0EEENS1_30default_config_static_selectorELNS0_4arch9wavefront6targetE0EEEvS12_,comdat
	.globl	_ZN7rocprim17ROCPRIM_400000_NS6detail17trampoline_kernelINS0_13select_configILj256ELj13ELNS0_17block_load_methodE3ELS4_3ELS4_3ELNS0_20block_scan_algorithmE0ELj4294967295EEENS1_25partition_config_selectorILNS1_17partition_subalgoE4EjNS0_10empty_typeEbEEZZNS1_14partition_implILS8_4ELb0ES6_15HIP_vector_typeIjLj2EENS0_17counting_iteratorIjlEEPS9_SG_NS0_5tupleIJPjSI_NS0_16reverse_iteratorISI_EEEEENSH_IJSG_SG_SG_EEES9_SI_JZNS1_25segmented_radix_sort_implINS0_14default_configELb1EPKhPhPKlPlN2at6native12_GLOBAL__N_18offset_tEEE10hipError_tPvRmT1_PNSt15iterator_traitsIS12_E10value_typeET2_T3_PNS13_IS18_E10value_typeET4_jRbjT5_S1E_jjP12ihipStream_tbEUljE_ZNSN_ISO_Lb1ESQ_SR_ST_SU_SY_EESZ_S10_S11_S12_S16_S17_S18_S1B_S1C_jS1D_jS1E_S1E_jjS1G_bEUljE0_EEESZ_S10_S11_S18_S1C_S1E_T6_T7_T9_mT8_S1G_bDpT10_ENKUlT_T0_E_clISt17integral_constantIbLb0EES1T_IbLb1EEEEDaS1P_S1Q_EUlS1P_E_NS1_11comp_targetILNS1_3genE3ELNS1_11target_archE908ELNS1_3gpuE7ELNS1_3repE0EEENS1_30default_config_static_selectorELNS0_4arch9wavefront6targetE0EEEvS12_ ; -- Begin function _ZN7rocprim17ROCPRIM_400000_NS6detail17trampoline_kernelINS0_13select_configILj256ELj13ELNS0_17block_load_methodE3ELS4_3ELS4_3ELNS0_20block_scan_algorithmE0ELj4294967295EEENS1_25partition_config_selectorILNS1_17partition_subalgoE4EjNS0_10empty_typeEbEEZZNS1_14partition_implILS8_4ELb0ES6_15HIP_vector_typeIjLj2EENS0_17counting_iteratorIjlEEPS9_SG_NS0_5tupleIJPjSI_NS0_16reverse_iteratorISI_EEEEENSH_IJSG_SG_SG_EEES9_SI_JZNS1_25segmented_radix_sort_implINS0_14default_configELb1EPKhPhPKlPlN2at6native12_GLOBAL__N_18offset_tEEE10hipError_tPvRmT1_PNSt15iterator_traitsIS12_E10value_typeET2_T3_PNS13_IS18_E10value_typeET4_jRbjT5_S1E_jjP12ihipStream_tbEUljE_ZNSN_ISO_Lb1ESQ_SR_ST_SU_SY_EESZ_S10_S11_S12_S16_S17_S18_S1B_S1C_jS1D_jS1E_S1E_jjS1G_bEUljE0_EEESZ_S10_S11_S18_S1C_S1E_T6_T7_T9_mT8_S1G_bDpT10_ENKUlT_T0_E_clISt17integral_constantIbLb0EES1T_IbLb1EEEEDaS1P_S1Q_EUlS1P_E_NS1_11comp_targetILNS1_3genE3ELNS1_11target_archE908ELNS1_3gpuE7ELNS1_3repE0EEENS1_30default_config_static_selectorELNS0_4arch9wavefront6targetE0EEEvS12_
	.p2align	8
	.type	_ZN7rocprim17ROCPRIM_400000_NS6detail17trampoline_kernelINS0_13select_configILj256ELj13ELNS0_17block_load_methodE3ELS4_3ELS4_3ELNS0_20block_scan_algorithmE0ELj4294967295EEENS1_25partition_config_selectorILNS1_17partition_subalgoE4EjNS0_10empty_typeEbEEZZNS1_14partition_implILS8_4ELb0ES6_15HIP_vector_typeIjLj2EENS0_17counting_iteratorIjlEEPS9_SG_NS0_5tupleIJPjSI_NS0_16reverse_iteratorISI_EEEEENSH_IJSG_SG_SG_EEES9_SI_JZNS1_25segmented_radix_sort_implINS0_14default_configELb1EPKhPhPKlPlN2at6native12_GLOBAL__N_18offset_tEEE10hipError_tPvRmT1_PNSt15iterator_traitsIS12_E10value_typeET2_T3_PNS13_IS18_E10value_typeET4_jRbjT5_S1E_jjP12ihipStream_tbEUljE_ZNSN_ISO_Lb1ESQ_SR_ST_SU_SY_EESZ_S10_S11_S12_S16_S17_S18_S1B_S1C_jS1D_jS1E_S1E_jjS1G_bEUljE0_EEESZ_S10_S11_S18_S1C_S1E_T6_T7_T9_mT8_S1G_bDpT10_ENKUlT_T0_E_clISt17integral_constantIbLb0EES1T_IbLb1EEEEDaS1P_S1Q_EUlS1P_E_NS1_11comp_targetILNS1_3genE3ELNS1_11target_archE908ELNS1_3gpuE7ELNS1_3repE0EEENS1_30default_config_static_selectorELNS0_4arch9wavefront6targetE0EEEvS12_,@function
_ZN7rocprim17ROCPRIM_400000_NS6detail17trampoline_kernelINS0_13select_configILj256ELj13ELNS0_17block_load_methodE3ELS4_3ELS4_3ELNS0_20block_scan_algorithmE0ELj4294967295EEENS1_25partition_config_selectorILNS1_17partition_subalgoE4EjNS0_10empty_typeEbEEZZNS1_14partition_implILS8_4ELb0ES6_15HIP_vector_typeIjLj2EENS0_17counting_iteratorIjlEEPS9_SG_NS0_5tupleIJPjSI_NS0_16reverse_iteratorISI_EEEEENSH_IJSG_SG_SG_EEES9_SI_JZNS1_25segmented_radix_sort_implINS0_14default_configELb1EPKhPhPKlPlN2at6native12_GLOBAL__N_18offset_tEEE10hipError_tPvRmT1_PNSt15iterator_traitsIS12_E10value_typeET2_T3_PNS13_IS18_E10value_typeET4_jRbjT5_S1E_jjP12ihipStream_tbEUljE_ZNSN_ISO_Lb1ESQ_SR_ST_SU_SY_EESZ_S10_S11_S12_S16_S17_S18_S1B_S1C_jS1D_jS1E_S1E_jjS1G_bEUljE0_EEESZ_S10_S11_S18_S1C_S1E_T6_T7_T9_mT8_S1G_bDpT10_ENKUlT_T0_E_clISt17integral_constantIbLb0EES1T_IbLb1EEEEDaS1P_S1Q_EUlS1P_E_NS1_11comp_targetILNS1_3genE3ELNS1_11target_archE908ELNS1_3gpuE7ELNS1_3repE0EEENS1_30default_config_static_selectorELNS0_4arch9wavefront6targetE0EEEvS12_: ; @_ZN7rocprim17ROCPRIM_400000_NS6detail17trampoline_kernelINS0_13select_configILj256ELj13ELNS0_17block_load_methodE3ELS4_3ELS4_3ELNS0_20block_scan_algorithmE0ELj4294967295EEENS1_25partition_config_selectorILNS1_17partition_subalgoE4EjNS0_10empty_typeEbEEZZNS1_14partition_implILS8_4ELb0ES6_15HIP_vector_typeIjLj2EENS0_17counting_iteratorIjlEEPS9_SG_NS0_5tupleIJPjSI_NS0_16reverse_iteratorISI_EEEEENSH_IJSG_SG_SG_EEES9_SI_JZNS1_25segmented_radix_sort_implINS0_14default_configELb1EPKhPhPKlPlN2at6native12_GLOBAL__N_18offset_tEEE10hipError_tPvRmT1_PNSt15iterator_traitsIS12_E10value_typeET2_T3_PNS13_IS18_E10value_typeET4_jRbjT5_S1E_jjP12ihipStream_tbEUljE_ZNSN_ISO_Lb1ESQ_SR_ST_SU_SY_EESZ_S10_S11_S12_S16_S17_S18_S1B_S1C_jS1D_jS1E_S1E_jjS1G_bEUljE0_EEESZ_S10_S11_S18_S1C_S1E_T6_T7_T9_mT8_S1G_bDpT10_ENKUlT_T0_E_clISt17integral_constantIbLb0EES1T_IbLb1EEEEDaS1P_S1Q_EUlS1P_E_NS1_11comp_targetILNS1_3genE3ELNS1_11target_archE908ELNS1_3gpuE7ELNS1_3repE0EEENS1_30default_config_static_selectorELNS0_4arch9wavefront6targetE0EEEvS12_
; %bb.0:
	.section	.rodata,"a",@progbits
	.p2align	6, 0x0
	.amdhsa_kernel _ZN7rocprim17ROCPRIM_400000_NS6detail17trampoline_kernelINS0_13select_configILj256ELj13ELNS0_17block_load_methodE3ELS4_3ELS4_3ELNS0_20block_scan_algorithmE0ELj4294967295EEENS1_25partition_config_selectorILNS1_17partition_subalgoE4EjNS0_10empty_typeEbEEZZNS1_14partition_implILS8_4ELb0ES6_15HIP_vector_typeIjLj2EENS0_17counting_iteratorIjlEEPS9_SG_NS0_5tupleIJPjSI_NS0_16reverse_iteratorISI_EEEEENSH_IJSG_SG_SG_EEES9_SI_JZNS1_25segmented_radix_sort_implINS0_14default_configELb1EPKhPhPKlPlN2at6native12_GLOBAL__N_18offset_tEEE10hipError_tPvRmT1_PNSt15iterator_traitsIS12_E10value_typeET2_T3_PNS13_IS18_E10value_typeET4_jRbjT5_S1E_jjP12ihipStream_tbEUljE_ZNSN_ISO_Lb1ESQ_SR_ST_SU_SY_EESZ_S10_S11_S12_S16_S17_S18_S1B_S1C_jS1D_jS1E_S1E_jjS1G_bEUljE0_EEESZ_S10_S11_S18_S1C_S1E_T6_T7_T9_mT8_S1G_bDpT10_ENKUlT_T0_E_clISt17integral_constantIbLb0EES1T_IbLb1EEEEDaS1P_S1Q_EUlS1P_E_NS1_11comp_targetILNS1_3genE3ELNS1_11target_archE908ELNS1_3gpuE7ELNS1_3repE0EEENS1_30default_config_static_selectorELNS0_4arch9wavefront6targetE0EEEvS12_
		.amdhsa_group_segment_fixed_size 0
		.amdhsa_private_segment_fixed_size 0
		.amdhsa_kernarg_size 184
		.amdhsa_user_sgpr_count 2
		.amdhsa_user_sgpr_dispatch_ptr 0
		.amdhsa_user_sgpr_queue_ptr 0
		.amdhsa_user_sgpr_kernarg_segment_ptr 1
		.amdhsa_user_sgpr_dispatch_id 0
		.amdhsa_user_sgpr_private_segment_size 0
		.amdhsa_wavefront_size32 1
		.amdhsa_uses_dynamic_stack 0
		.amdhsa_enable_private_segment 0
		.amdhsa_system_sgpr_workgroup_id_x 1
		.amdhsa_system_sgpr_workgroup_id_y 0
		.amdhsa_system_sgpr_workgroup_id_z 0
		.amdhsa_system_sgpr_workgroup_info 0
		.amdhsa_system_vgpr_workitem_id 0
		.amdhsa_next_free_vgpr 1
		.amdhsa_next_free_sgpr 1
		.amdhsa_reserve_vcc 0
		.amdhsa_float_round_mode_32 0
		.amdhsa_float_round_mode_16_64 0
		.amdhsa_float_denorm_mode_32 3
		.amdhsa_float_denorm_mode_16_64 3
		.amdhsa_fp16_overflow 0
		.amdhsa_workgroup_processor_mode 1
		.amdhsa_memory_ordered 1
		.amdhsa_forward_progress 1
		.amdhsa_inst_pref_size 0
		.amdhsa_round_robin_scheduling 0
		.amdhsa_exception_fp_ieee_invalid_op 0
		.amdhsa_exception_fp_denorm_src 0
		.amdhsa_exception_fp_ieee_div_zero 0
		.amdhsa_exception_fp_ieee_overflow 0
		.amdhsa_exception_fp_ieee_underflow 0
		.amdhsa_exception_fp_ieee_inexact 0
		.amdhsa_exception_int_div_zero 0
	.end_amdhsa_kernel
	.section	.text._ZN7rocprim17ROCPRIM_400000_NS6detail17trampoline_kernelINS0_13select_configILj256ELj13ELNS0_17block_load_methodE3ELS4_3ELS4_3ELNS0_20block_scan_algorithmE0ELj4294967295EEENS1_25partition_config_selectorILNS1_17partition_subalgoE4EjNS0_10empty_typeEbEEZZNS1_14partition_implILS8_4ELb0ES6_15HIP_vector_typeIjLj2EENS0_17counting_iteratorIjlEEPS9_SG_NS0_5tupleIJPjSI_NS0_16reverse_iteratorISI_EEEEENSH_IJSG_SG_SG_EEES9_SI_JZNS1_25segmented_radix_sort_implINS0_14default_configELb1EPKhPhPKlPlN2at6native12_GLOBAL__N_18offset_tEEE10hipError_tPvRmT1_PNSt15iterator_traitsIS12_E10value_typeET2_T3_PNS13_IS18_E10value_typeET4_jRbjT5_S1E_jjP12ihipStream_tbEUljE_ZNSN_ISO_Lb1ESQ_SR_ST_SU_SY_EESZ_S10_S11_S12_S16_S17_S18_S1B_S1C_jS1D_jS1E_S1E_jjS1G_bEUljE0_EEESZ_S10_S11_S18_S1C_S1E_T6_T7_T9_mT8_S1G_bDpT10_ENKUlT_T0_E_clISt17integral_constantIbLb0EES1T_IbLb1EEEEDaS1P_S1Q_EUlS1P_E_NS1_11comp_targetILNS1_3genE3ELNS1_11target_archE908ELNS1_3gpuE7ELNS1_3repE0EEENS1_30default_config_static_selectorELNS0_4arch9wavefront6targetE0EEEvS12_,"axG",@progbits,_ZN7rocprim17ROCPRIM_400000_NS6detail17trampoline_kernelINS0_13select_configILj256ELj13ELNS0_17block_load_methodE3ELS4_3ELS4_3ELNS0_20block_scan_algorithmE0ELj4294967295EEENS1_25partition_config_selectorILNS1_17partition_subalgoE4EjNS0_10empty_typeEbEEZZNS1_14partition_implILS8_4ELb0ES6_15HIP_vector_typeIjLj2EENS0_17counting_iteratorIjlEEPS9_SG_NS0_5tupleIJPjSI_NS0_16reverse_iteratorISI_EEEEENSH_IJSG_SG_SG_EEES9_SI_JZNS1_25segmented_radix_sort_implINS0_14default_configELb1EPKhPhPKlPlN2at6native12_GLOBAL__N_18offset_tEEE10hipError_tPvRmT1_PNSt15iterator_traitsIS12_E10value_typeET2_T3_PNS13_IS18_E10value_typeET4_jRbjT5_S1E_jjP12ihipStream_tbEUljE_ZNSN_ISO_Lb1ESQ_SR_ST_SU_SY_EESZ_S10_S11_S12_S16_S17_S18_S1B_S1C_jS1D_jS1E_S1E_jjS1G_bEUljE0_EEESZ_S10_S11_S18_S1C_S1E_T6_T7_T9_mT8_S1G_bDpT10_ENKUlT_T0_E_clISt17integral_constantIbLb0EES1T_IbLb1EEEEDaS1P_S1Q_EUlS1P_E_NS1_11comp_targetILNS1_3genE3ELNS1_11target_archE908ELNS1_3gpuE7ELNS1_3repE0EEENS1_30default_config_static_selectorELNS0_4arch9wavefront6targetE0EEEvS12_,comdat
.Lfunc_end42:
	.size	_ZN7rocprim17ROCPRIM_400000_NS6detail17trampoline_kernelINS0_13select_configILj256ELj13ELNS0_17block_load_methodE3ELS4_3ELS4_3ELNS0_20block_scan_algorithmE0ELj4294967295EEENS1_25partition_config_selectorILNS1_17partition_subalgoE4EjNS0_10empty_typeEbEEZZNS1_14partition_implILS8_4ELb0ES6_15HIP_vector_typeIjLj2EENS0_17counting_iteratorIjlEEPS9_SG_NS0_5tupleIJPjSI_NS0_16reverse_iteratorISI_EEEEENSH_IJSG_SG_SG_EEES9_SI_JZNS1_25segmented_radix_sort_implINS0_14default_configELb1EPKhPhPKlPlN2at6native12_GLOBAL__N_18offset_tEEE10hipError_tPvRmT1_PNSt15iterator_traitsIS12_E10value_typeET2_T3_PNS13_IS18_E10value_typeET4_jRbjT5_S1E_jjP12ihipStream_tbEUljE_ZNSN_ISO_Lb1ESQ_SR_ST_SU_SY_EESZ_S10_S11_S12_S16_S17_S18_S1B_S1C_jS1D_jS1E_S1E_jjS1G_bEUljE0_EEESZ_S10_S11_S18_S1C_S1E_T6_T7_T9_mT8_S1G_bDpT10_ENKUlT_T0_E_clISt17integral_constantIbLb0EES1T_IbLb1EEEEDaS1P_S1Q_EUlS1P_E_NS1_11comp_targetILNS1_3genE3ELNS1_11target_archE908ELNS1_3gpuE7ELNS1_3repE0EEENS1_30default_config_static_selectorELNS0_4arch9wavefront6targetE0EEEvS12_, .Lfunc_end42-_ZN7rocprim17ROCPRIM_400000_NS6detail17trampoline_kernelINS0_13select_configILj256ELj13ELNS0_17block_load_methodE3ELS4_3ELS4_3ELNS0_20block_scan_algorithmE0ELj4294967295EEENS1_25partition_config_selectorILNS1_17partition_subalgoE4EjNS0_10empty_typeEbEEZZNS1_14partition_implILS8_4ELb0ES6_15HIP_vector_typeIjLj2EENS0_17counting_iteratorIjlEEPS9_SG_NS0_5tupleIJPjSI_NS0_16reverse_iteratorISI_EEEEENSH_IJSG_SG_SG_EEES9_SI_JZNS1_25segmented_radix_sort_implINS0_14default_configELb1EPKhPhPKlPlN2at6native12_GLOBAL__N_18offset_tEEE10hipError_tPvRmT1_PNSt15iterator_traitsIS12_E10value_typeET2_T3_PNS13_IS18_E10value_typeET4_jRbjT5_S1E_jjP12ihipStream_tbEUljE_ZNSN_ISO_Lb1ESQ_SR_ST_SU_SY_EESZ_S10_S11_S12_S16_S17_S18_S1B_S1C_jS1D_jS1E_S1E_jjS1G_bEUljE0_EEESZ_S10_S11_S18_S1C_S1E_T6_T7_T9_mT8_S1G_bDpT10_ENKUlT_T0_E_clISt17integral_constantIbLb0EES1T_IbLb1EEEEDaS1P_S1Q_EUlS1P_E_NS1_11comp_targetILNS1_3genE3ELNS1_11target_archE908ELNS1_3gpuE7ELNS1_3repE0EEENS1_30default_config_static_selectorELNS0_4arch9wavefront6targetE0EEEvS12_
                                        ; -- End function
	.set _ZN7rocprim17ROCPRIM_400000_NS6detail17trampoline_kernelINS0_13select_configILj256ELj13ELNS0_17block_load_methodE3ELS4_3ELS4_3ELNS0_20block_scan_algorithmE0ELj4294967295EEENS1_25partition_config_selectorILNS1_17partition_subalgoE4EjNS0_10empty_typeEbEEZZNS1_14partition_implILS8_4ELb0ES6_15HIP_vector_typeIjLj2EENS0_17counting_iteratorIjlEEPS9_SG_NS0_5tupleIJPjSI_NS0_16reverse_iteratorISI_EEEEENSH_IJSG_SG_SG_EEES9_SI_JZNS1_25segmented_radix_sort_implINS0_14default_configELb1EPKhPhPKlPlN2at6native12_GLOBAL__N_18offset_tEEE10hipError_tPvRmT1_PNSt15iterator_traitsIS12_E10value_typeET2_T3_PNS13_IS18_E10value_typeET4_jRbjT5_S1E_jjP12ihipStream_tbEUljE_ZNSN_ISO_Lb1ESQ_SR_ST_SU_SY_EESZ_S10_S11_S12_S16_S17_S18_S1B_S1C_jS1D_jS1E_S1E_jjS1G_bEUljE0_EEESZ_S10_S11_S18_S1C_S1E_T6_T7_T9_mT8_S1G_bDpT10_ENKUlT_T0_E_clISt17integral_constantIbLb0EES1T_IbLb1EEEEDaS1P_S1Q_EUlS1P_E_NS1_11comp_targetILNS1_3genE3ELNS1_11target_archE908ELNS1_3gpuE7ELNS1_3repE0EEENS1_30default_config_static_selectorELNS0_4arch9wavefront6targetE0EEEvS12_.num_vgpr, 0
	.set _ZN7rocprim17ROCPRIM_400000_NS6detail17trampoline_kernelINS0_13select_configILj256ELj13ELNS0_17block_load_methodE3ELS4_3ELS4_3ELNS0_20block_scan_algorithmE0ELj4294967295EEENS1_25partition_config_selectorILNS1_17partition_subalgoE4EjNS0_10empty_typeEbEEZZNS1_14partition_implILS8_4ELb0ES6_15HIP_vector_typeIjLj2EENS0_17counting_iteratorIjlEEPS9_SG_NS0_5tupleIJPjSI_NS0_16reverse_iteratorISI_EEEEENSH_IJSG_SG_SG_EEES9_SI_JZNS1_25segmented_radix_sort_implINS0_14default_configELb1EPKhPhPKlPlN2at6native12_GLOBAL__N_18offset_tEEE10hipError_tPvRmT1_PNSt15iterator_traitsIS12_E10value_typeET2_T3_PNS13_IS18_E10value_typeET4_jRbjT5_S1E_jjP12ihipStream_tbEUljE_ZNSN_ISO_Lb1ESQ_SR_ST_SU_SY_EESZ_S10_S11_S12_S16_S17_S18_S1B_S1C_jS1D_jS1E_S1E_jjS1G_bEUljE0_EEESZ_S10_S11_S18_S1C_S1E_T6_T7_T9_mT8_S1G_bDpT10_ENKUlT_T0_E_clISt17integral_constantIbLb0EES1T_IbLb1EEEEDaS1P_S1Q_EUlS1P_E_NS1_11comp_targetILNS1_3genE3ELNS1_11target_archE908ELNS1_3gpuE7ELNS1_3repE0EEENS1_30default_config_static_selectorELNS0_4arch9wavefront6targetE0EEEvS12_.num_agpr, 0
	.set _ZN7rocprim17ROCPRIM_400000_NS6detail17trampoline_kernelINS0_13select_configILj256ELj13ELNS0_17block_load_methodE3ELS4_3ELS4_3ELNS0_20block_scan_algorithmE0ELj4294967295EEENS1_25partition_config_selectorILNS1_17partition_subalgoE4EjNS0_10empty_typeEbEEZZNS1_14partition_implILS8_4ELb0ES6_15HIP_vector_typeIjLj2EENS0_17counting_iteratorIjlEEPS9_SG_NS0_5tupleIJPjSI_NS0_16reverse_iteratorISI_EEEEENSH_IJSG_SG_SG_EEES9_SI_JZNS1_25segmented_radix_sort_implINS0_14default_configELb1EPKhPhPKlPlN2at6native12_GLOBAL__N_18offset_tEEE10hipError_tPvRmT1_PNSt15iterator_traitsIS12_E10value_typeET2_T3_PNS13_IS18_E10value_typeET4_jRbjT5_S1E_jjP12ihipStream_tbEUljE_ZNSN_ISO_Lb1ESQ_SR_ST_SU_SY_EESZ_S10_S11_S12_S16_S17_S18_S1B_S1C_jS1D_jS1E_S1E_jjS1G_bEUljE0_EEESZ_S10_S11_S18_S1C_S1E_T6_T7_T9_mT8_S1G_bDpT10_ENKUlT_T0_E_clISt17integral_constantIbLb0EES1T_IbLb1EEEEDaS1P_S1Q_EUlS1P_E_NS1_11comp_targetILNS1_3genE3ELNS1_11target_archE908ELNS1_3gpuE7ELNS1_3repE0EEENS1_30default_config_static_selectorELNS0_4arch9wavefront6targetE0EEEvS12_.numbered_sgpr, 0
	.set _ZN7rocprim17ROCPRIM_400000_NS6detail17trampoline_kernelINS0_13select_configILj256ELj13ELNS0_17block_load_methodE3ELS4_3ELS4_3ELNS0_20block_scan_algorithmE0ELj4294967295EEENS1_25partition_config_selectorILNS1_17partition_subalgoE4EjNS0_10empty_typeEbEEZZNS1_14partition_implILS8_4ELb0ES6_15HIP_vector_typeIjLj2EENS0_17counting_iteratorIjlEEPS9_SG_NS0_5tupleIJPjSI_NS0_16reverse_iteratorISI_EEEEENSH_IJSG_SG_SG_EEES9_SI_JZNS1_25segmented_radix_sort_implINS0_14default_configELb1EPKhPhPKlPlN2at6native12_GLOBAL__N_18offset_tEEE10hipError_tPvRmT1_PNSt15iterator_traitsIS12_E10value_typeET2_T3_PNS13_IS18_E10value_typeET4_jRbjT5_S1E_jjP12ihipStream_tbEUljE_ZNSN_ISO_Lb1ESQ_SR_ST_SU_SY_EESZ_S10_S11_S12_S16_S17_S18_S1B_S1C_jS1D_jS1E_S1E_jjS1G_bEUljE0_EEESZ_S10_S11_S18_S1C_S1E_T6_T7_T9_mT8_S1G_bDpT10_ENKUlT_T0_E_clISt17integral_constantIbLb0EES1T_IbLb1EEEEDaS1P_S1Q_EUlS1P_E_NS1_11comp_targetILNS1_3genE3ELNS1_11target_archE908ELNS1_3gpuE7ELNS1_3repE0EEENS1_30default_config_static_selectorELNS0_4arch9wavefront6targetE0EEEvS12_.num_named_barrier, 0
	.set _ZN7rocprim17ROCPRIM_400000_NS6detail17trampoline_kernelINS0_13select_configILj256ELj13ELNS0_17block_load_methodE3ELS4_3ELS4_3ELNS0_20block_scan_algorithmE0ELj4294967295EEENS1_25partition_config_selectorILNS1_17partition_subalgoE4EjNS0_10empty_typeEbEEZZNS1_14partition_implILS8_4ELb0ES6_15HIP_vector_typeIjLj2EENS0_17counting_iteratorIjlEEPS9_SG_NS0_5tupleIJPjSI_NS0_16reverse_iteratorISI_EEEEENSH_IJSG_SG_SG_EEES9_SI_JZNS1_25segmented_radix_sort_implINS0_14default_configELb1EPKhPhPKlPlN2at6native12_GLOBAL__N_18offset_tEEE10hipError_tPvRmT1_PNSt15iterator_traitsIS12_E10value_typeET2_T3_PNS13_IS18_E10value_typeET4_jRbjT5_S1E_jjP12ihipStream_tbEUljE_ZNSN_ISO_Lb1ESQ_SR_ST_SU_SY_EESZ_S10_S11_S12_S16_S17_S18_S1B_S1C_jS1D_jS1E_S1E_jjS1G_bEUljE0_EEESZ_S10_S11_S18_S1C_S1E_T6_T7_T9_mT8_S1G_bDpT10_ENKUlT_T0_E_clISt17integral_constantIbLb0EES1T_IbLb1EEEEDaS1P_S1Q_EUlS1P_E_NS1_11comp_targetILNS1_3genE3ELNS1_11target_archE908ELNS1_3gpuE7ELNS1_3repE0EEENS1_30default_config_static_selectorELNS0_4arch9wavefront6targetE0EEEvS12_.private_seg_size, 0
	.set _ZN7rocprim17ROCPRIM_400000_NS6detail17trampoline_kernelINS0_13select_configILj256ELj13ELNS0_17block_load_methodE3ELS4_3ELS4_3ELNS0_20block_scan_algorithmE0ELj4294967295EEENS1_25partition_config_selectorILNS1_17partition_subalgoE4EjNS0_10empty_typeEbEEZZNS1_14partition_implILS8_4ELb0ES6_15HIP_vector_typeIjLj2EENS0_17counting_iteratorIjlEEPS9_SG_NS0_5tupleIJPjSI_NS0_16reverse_iteratorISI_EEEEENSH_IJSG_SG_SG_EEES9_SI_JZNS1_25segmented_radix_sort_implINS0_14default_configELb1EPKhPhPKlPlN2at6native12_GLOBAL__N_18offset_tEEE10hipError_tPvRmT1_PNSt15iterator_traitsIS12_E10value_typeET2_T3_PNS13_IS18_E10value_typeET4_jRbjT5_S1E_jjP12ihipStream_tbEUljE_ZNSN_ISO_Lb1ESQ_SR_ST_SU_SY_EESZ_S10_S11_S12_S16_S17_S18_S1B_S1C_jS1D_jS1E_S1E_jjS1G_bEUljE0_EEESZ_S10_S11_S18_S1C_S1E_T6_T7_T9_mT8_S1G_bDpT10_ENKUlT_T0_E_clISt17integral_constantIbLb0EES1T_IbLb1EEEEDaS1P_S1Q_EUlS1P_E_NS1_11comp_targetILNS1_3genE3ELNS1_11target_archE908ELNS1_3gpuE7ELNS1_3repE0EEENS1_30default_config_static_selectorELNS0_4arch9wavefront6targetE0EEEvS12_.uses_vcc, 0
	.set _ZN7rocprim17ROCPRIM_400000_NS6detail17trampoline_kernelINS0_13select_configILj256ELj13ELNS0_17block_load_methodE3ELS4_3ELS4_3ELNS0_20block_scan_algorithmE0ELj4294967295EEENS1_25partition_config_selectorILNS1_17partition_subalgoE4EjNS0_10empty_typeEbEEZZNS1_14partition_implILS8_4ELb0ES6_15HIP_vector_typeIjLj2EENS0_17counting_iteratorIjlEEPS9_SG_NS0_5tupleIJPjSI_NS0_16reverse_iteratorISI_EEEEENSH_IJSG_SG_SG_EEES9_SI_JZNS1_25segmented_radix_sort_implINS0_14default_configELb1EPKhPhPKlPlN2at6native12_GLOBAL__N_18offset_tEEE10hipError_tPvRmT1_PNSt15iterator_traitsIS12_E10value_typeET2_T3_PNS13_IS18_E10value_typeET4_jRbjT5_S1E_jjP12ihipStream_tbEUljE_ZNSN_ISO_Lb1ESQ_SR_ST_SU_SY_EESZ_S10_S11_S12_S16_S17_S18_S1B_S1C_jS1D_jS1E_S1E_jjS1G_bEUljE0_EEESZ_S10_S11_S18_S1C_S1E_T6_T7_T9_mT8_S1G_bDpT10_ENKUlT_T0_E_clISt17integral_constantIbLb0EES1T_IbLb1EEEEDaS1P_S1Q_EUlS1P_E_NS1_11comp_targetILNS1_3genE3ELNS1_11target_archE908ELNS1_3gpuE7ELNS1_3repE0EEENS1_30default_config_static_selectorELNS0_4arch9wavefront6targetE0EEEvS12_.uses_flat_scratch, 0
	.set _ZN7rocprim17ROCPRIM_400000_NS6detail17trampoline_kernelINS0_13select_configILj256ELj13ELNS0_17block_load_methodE3ELS4_3ELS4_3ELNS0_20block_scan_algorithmE0ELj4294967295EEENS1_25partition_config_selectorILNS1_17partition_subalgoE4EjNS0_10empty_typeEbEEZZNS1_14partition_implILS8_4ELb0ES6_15HIP_vector_typeIjLj2EENS0_17counting_iteratorIjlEEPS9_SG_NS0_5tupleIJPjSI_NS0_16reverse_iteratorISI_EEEEENSH_IJSG_SG_SG_EEES9_SI_JZNS1_25segmented_radix_sort_implINS0_14default_configELb1EPKhPhPKlPlN2at6native12_GLOBAL__N_18offset_tEEE10hipError_tPvRmT1_PNSt15iterator_traitsIS12_E10value_typeET2_T3_PNS13_IS18_E10value_typeET4_jRbjT5_S1E_jjP12ihipStream_tbEUljE_ZNSN_ISO_Lb1ESQ_SR_ST_SU_SY_EESZ_S10_S11_S12_S16_S17_S18_S1B_S1C_jS1D_jS1E_S1E_jjS1G_bEUljE0_EEESZ_S10_S11_S18_S1C_S1E_T6_T7_T9_mT8_S1G_bDpT10_ENKUlT_T0_E_clISt17integral_constantIbLb0EES1T_IbLb1EEEEDaS1P_S1Q_EUlS1P_E_NS1_11comp_targetILNS1_3genE3ELNS1_11target_archE908ELNS1_3gpuE7ELNS1_3repE0EEENS1_30default_config_static_selectorELNS0_4arch9wavefront6targetE0EEEvS12_.has_dyn_sized_stack, 0
	.set _ZN7rocprim17ROCPRIM_400000_NS6detail17trampoline_kernelINS0_13select_configILj256ELj13ELNS0_17block_load_methodE3ELS4_3ELS4_3ELNS0_20block_scan_algorithmE0ELj4294967295EEENS1_25partition_config_selectorILNS1_17partition_subalgoE4EjNS0_10empty_typeEbEEZZNS1_14partition_implILS8_4ELb0ES6_15HIP_vector_typeIjLj2EENS0_17counting_iteratorIjlEEPS9_SG_NS0_5tupleIJPjSI_NS0_16reverse_iteratorISI_EEEEENSH_IJSG_SG_SG_EEES9_SI_JZNS1_25segmented_radix_sort_implINS0_14default_configELb1EPKhPhPKlPlN2at6native12_GLOBAL__N_18offset_tEEE10hipError_tPvRmT1_PNSt15iterator_traitsIS12_E10value_typeET2_T3_PNS13_IS18_E10value_typeET4_jRbjT5_S1E_jjP12ihipStream_tbEUljE_ZNSN_ISO_Lb1ESQ_SR_ST_SU_SY_EESZ_S10_S11_S12_S16_S17_S18_S1B_S1C_jS1D_jS1E_S1E_jjS1G_bEUljE0_EEESZ_S10_S11_S18_S1C_S1E_T6_T7_T9_mT8_S1G_bDpT10_ENKUlT_T0_E_clISt17integral_constantIbLb0EES1T_IbLb1EEEEDaS1P_S1Q_EUlS1P_E_NS1_11comp_targetILNS1_3genE3ELNS1_11target_archE908ELNS1_3gpuE7ELNS1_3repE0EEENS1_30default_config_static_selectorELNS0_4arch9wavefront6targetE0EEEvS12_.has_recursion, 0
	.set _ZN7rocprim17ROCPRIM_400000_NS6detail17trampoline_kernelINS0_13select_configILj256ELj13ELNS0_17block_load_methodE3ELS4_3ELS4_3ELNS0_20block_scan_algorithmE0ELj4294967295EEENS1_25partition_config_selectorILNS1_17partition_subalgoE4EjNS0_10empty_typeEbEEZZNS1_14partition_implILS8_4ELb0ES6_15HIP_vector_typeIjLj2EENS0_17counting_iteratorIjlEEPS9_SG_NS0_5tupleIJPjSI_NS0_16reverse_iteratorISI_EEEEENSH_IJSG_SG_SG_EEES9_SI_JZNS1_25segmented_radix_sort_implINS0_14default_configELb1EPKhPhPKlPlN2at6native12_GLOBAL__N_18offset_tEEE10hipError_tPvRmT1_PNSt15iterator_traitsIS12_E10value_typeET2_T3_PNS13_IS18_E10value_typeET4_jRbjT5_S1E_jjP12ihipStream_tbEUljE_ZNSN_ISO_Lb1ESQ_SR_ST_SU_SY_EESZ_S10_S11_S12_S16_S17_S18_S1B_S1C_jS1D_jS1E_S1E_jjS1G_bEUljE0_EEESZ_S10_S11_S18_S1C_S1E_T6_T7_T9_mT8_S1G_bDpT10_ENKUlT_T0_E_clISt17integral_constantIbLb0EES1T_IbLb1EEEEDaS1P_S1Q_EUlS1P_E_NS1_11comp_targetILNS1_3genE3ELNS1_11target_archE908ELNS1_3gpuE7ELNS1_3repE0EEENS1_30default_config_static_selectorELNS0_4arch9wavefront6targetE0EEEvS12_.has_indirect_call, 0
	.section	.AMDGPU.csdata,"",@progbits
; Kernel info:
; codeLenInByte = 0
; TotalNumSgprs: 0
; NumVgprs: 0
; ScratchSize: 0
; MemoryBound: 0
; FloatMode: 240
; IeeeMode: 1
; LDSByteSize: 0 bytes/workgroup (compile time only)
; SGPRBlocks: 0
; VGPRBlocks: 0
; NumSGPRsForWavesPerEU: 1
; NumVGPRsForWavesPerEU: 1
; Occupancy: 16
; WaveLimiterHint : 0
; COMPUTE_PGM_RSRC2:SCRATCH_EN: 0
; COMPUTE_PGM_RSRC2:USER_SGPR: 2
; COMPUTE_PGM_RSRC2:TRAP_HANDLER: 0
; COMPUTE_PGM_RSRC2:TGID_X_EN: 1
; COMPUTE_PGM_RSRC2:TGID_Y_EN: 0
; COMPUTE_PGM_RSRC2:TGID_Z_EN: 0
; COMPUTE_PGM_RSRC2:TIDIG_COMP_CNT: 0
	.section	.text._ZN7rocprim17ROCPRIM_400000_NS6detail17trampoline_kernelINS0_13select_configILj256ELj13ELNS0_17block_load_methodE3ELS4_3ELS4_3ELNS0_20block_scan_algorithmE0ELj4294967295EEENS1_25partition_config_selectorILNS1_17partition_subalgoE4EjNS0_10empty_typeEbEEZZNS1_14partition_implILS8_4ELb0ES6_15HIP_vector_typeIjLj2EENS0_17counting_iteratorIjlEEPS9_SG_NS0_5tupleIJPjSI_NS0_16reverse_iteratorISI_EEEEENSH_IJSG_SG_SG_EEES9_SI_JZNS1_25segmented_radix_sort_implINS0_14default_configELb1EPKhPhPKlPlN2at6native12_GLOBAL__N_18offset_tEEE10hipError_tPvRmT1_PNSt15iterator_traitsIS12_E10value_typeET2_T3_PNS13_IS18_E10value_typeET4_jRbjT5_S1E_jjP12ihipStream_tbEUljE_ZNSN_ISO_Lb1ESQ_SR_ST_SU_SY_EESZ_S10_S11_S12_S16_S17_S18_S1B_S1C_jS1D_jS1E_S1E_jjS1G_bEUljE0_EEESZ_S10_S11_S18_S1C_S1E_T6_T7_T9_mT8_S1G_bDpT10_ENKUlT_T0_E_clISt17integral_constantIbLb0EES1T_IbLb1EEEEDaS1P_S1Q_EUlS1P_E_NS1_11comp_targetILNS1_3genE2ELNS1_11target_archE906ELNS1_3gpuE6ELNS1_3repE0EEENS1_30default_config_static_selectorELNS0_4arch9wavefront6targetE0EEEvS12_,"axG",@progbits,_ZN7rocprim17ROCPRIM_400000_NS6detail17trampoline_kernelINS0_13select_configILj256ELj13ELNS0_17block_load_methodE3ELS4_3ELS4_3ELNS0_20block_scan_algorithmE0ELj4294967295EEENS1_25partition_config_selectorILNS1_17partition_subalgoE4EjNS0_10empty_typeEbEEZZNS1_14partition_implILS8_4ELb0ES6_15HIP_vector_typeIjLj2EENS0_17counting_iteratorIjlEEPS9_SG_NS0_5tupleIJPjSI_NS0_16reverse_iteratorISI_EEEEENSH_IJSG_SG_SG_EEES9_SI_JZNS1_25segmented_radix_sort_implINS0_14default_configELb1EPKhPhPKlPlN2at6native12_GLOBAL__N_18offset_tEEE10hipError_tPvRmT1_PNSt15iterator_traitsIS12_E10value_typeET2_T3_PNS13_IS18_E10value_typeET4_jRbjT5_S1E_jjP12ihipStream_tbEUljE_ZNSN_ISO_Lb1ESQ_SR_ST_SU_SY_EESZ_S10_S11_S12_S16_S17_S18_S1B_S1C_jS1D_jS1E_S1E_jjS1G_bEUljE0_EEESZ_S10_S11_S18_S1C_S1E_T6_T7_T9_mT8_S1G_bDpT10_ENKUlT_T0_E_clISt17integral_constantIbLb0EES1T_IbLb1EEEEDaS1P_S1Q_EUlS1P_E_NS1_11comp_targetILNS1_3genE2ELNS1_11target_archE906ELNS1_3gpuE6ELNS1_3repE0EEENS1_30default_config_static_selectorELNS0_4arch9wavefront6targetE0EEEvS12_,comdat
	.globl	_ZN7rocprim17ROCPRIM_400000_NS6detail17trampoline_kernelINS0_13select_configILj256ELj13ELNS0_17block_load_methodE3ELS4_3ELS4_3ELNS0_20block_scan_algorithmE0ELj4294967295EEENS1_25partition_config_selectorILNS1_17partition_subalgoE4EjNS0_10empty_typeEbEEZZNS1_14partition_implILS8_4ELb0ES6_15HIP_vector_typeIjLj2EENS0_17counting_iteratorIjlEEPS9_SG_NS0_5tupleIJPjSI_NS0_16reverse_iteratorISI_EEEEENSH_IJSG_SG_SG_EEES9_SI_JZNS1_25segmented_radix_sort_implINS0_14default_configELb1EPKhPhPKlPlN2at6native12_GLOBAL__N_18offset_tEEE10hipError_tPvRmT1_PNSt15iterator_traitsIS12_E10value_typeET2_T3_PNS13_IS18_E10value_typeET4_jRbjT5_S1E_jjP12ihipStream_tbEUljE_ZNSN_ISO_Lb1ESQ_SR_ST_SU_SY_EESZ_S10_S11_S12_S16_S17_S18_S1B_S1C_jS1D_jS1E_S1E_jjS1G_bEUljE0_EEESZ_S10_S11_S18_S1C_S1E_T6_T7_T9_mT8_S1G_bDpT10_ENKUlT_T0_E_clISt17integral_constantIbLb0EES1T_IbLb1EEEEDaS1P_S1Q_EUlS1P_E_NS1_11comp_targetILNS1_3genE2ELNS1_11target_archE906ELNS1_3gpuE6ELNS1_3repE0EEENS1_30default_config_static_selectorELNS0_4arch9wavefront6targetE0EEEvS12_ ; -- Begin function _ZN7rocprim17ROCPRIM_400000_NS6detail17trampoline_kernelINS0_13select_configILj256ELj13ELNS0_17block_load_methodE3ELS4_3ELS4_3ELNS0_20block_scan_algorithmE0ELj4294967295EEENS1_25partition_config_selectorILNS1_17partition_subalgoE4EjNS0_10empty_typeEbEEZZNS1_14partition_implILS8_4ELb0ES6_15HIP_vector_typeIjLj2EENS0_17counting_iteratorIjlEEPS9_SG_NS0_5tupleIJPjSI_NS0_16reverse_iteratorISI_EEEEENSH_IJSG_SG_SG_EEES9_SI_JZNS1_25segmented_radix_sort_implINS0_14default_configELb1EPKhPhPKlPlN2at6native12_GLOBAL__N_18offset_tEEE10hipError_tPvRmT1_PNSt15iterator_traitsIS12_E10value_typeET2_T3_PNS13_IS18_E10value_typeET4_jRbjT5_S1E_jjP12ihipStream_tbEUljE_ZNSN_ISO_Lb1ESQ_SR_ST_SU_SY_EESZ_S10_S11_S12_S16_S17_S18_S1B_S1C_jS1D_jS1E_S1E_jjS1G_bEUljE0_EEESZ_S10_S11_S18_S1C_S1E_T6_T7_T9_mT8_S1G_bDpT10_ENKUlT_T0_E_clISt17integral_constantIbLb0EES1T_IbLb1EEEEDaS1P_S1Q_EUlS1P_E_NS1_11comp_targetILNS1_3genE2ELNS1_11target_archE906ELNS1_3gpuE6ELNS1_3repE0EEENS1_30default_config_static_selectorELNS0_4arch9wavefront6targetE0EEEvS12_
	.p2align	8
	.type	_ZN7rocprim17ROCPRIM_400000_NS6detail17trampoline_kernelINS0_13select_configILj256ELj13ELNS0_17block_load_methodE3ELS4_3ELS4_3ELNS0_20block_scan_algorithmE0ELj4294967295EEENS1_25partition_config_selectorILNS1_17partition_subalgoE4EjNS0_10empty_typeEbEEZZNS1_14partition_implILS8_4ELb0ES6_15HIP_vector_typeIjLj2EENS0_17counting_iteratorIjlEEPS9_SG_NS0_5tupleIJPjSI_NS0_16reverse_iteratorISI_EEEEENSH_IJSG_SG_SG_EEES9_SI_JZNS1_25segmented_radix_sort_implINS0_14default_configELb1EPKhPhPKlPlN2at6native12_GLOBAL__N_18offset_tEEE10hipError_tPvRmT1_PNSt15iterator_traitsIS12_E10value_typeET2_T3_PNS13_IS18_E10value_typeET4_jRbjT5_S1E_jjP12ihipStream_tbEUljE_ZNSN_ISO_Lb1ESQ_SR_ST_SU_SY_EESZ_S10_S11_S12_S16_S17_S18_S1B_S1C_jS1D_jS1E_S1E_jjS1G_bEUljE0_EEESZ_S10_S11_S18_S1C_S1E_T6_T7_T9_mT8_S1G_bDpT10_ENKUlT_T0_E_clISt17integral_constantIbLb0EES1T_IbLb1EEEEDaS1P_S1Q_EUlS1P_E_NS1_11comp_targetILNS1_3genE2ELNS1_11target_archE906ELNS1_3gpuE6ELNS1_3repE0EEENS1_30default_config_static_selectorELNS0_4arch9wavefront6targetE0EEEvS12_,@function
_ZN7rocprim17ROCPRIM_400000_NS6detail17trampoline_kernelINS0_13select_configILj256ELj13ELNS0_17block_load_methodE3ELS4_3ELS4_3ELNS0_20block_scan_algorithmE0ELj4294967295EEENS1_25partition_config_selectorILNS1_17partition_subalgoE4EjNS0_10empty_typeEbEEZZNS1_14partition_implILS8_4ELb0ES6_15HIP_vector_typeIjLj2EENS0_17counting_iteratorIjlEEPS9_SG_NS0_5tupleIJPjSI_NS0_16reverse_iteratorISI_EEEEENSH_IJSG_SG_SG_EEES9_SI_JZNS1_25segmented_radix_sort_implINS0_14default_configELb1EPKhPhPKlPlN2at6native12_GLOBAL__N_18offset_tEEE10hipError_tPvRmT1_PNSt15iterator_traitsIS12_E10value_typeET2_T3_PNS13_IS18_E10value_typeET4_jRbjT5_S1E_jjP12ihipStream_tbEUljE_ZNSN_ISO_Lb1ESQ_SR_ST_SU_SY_EESZ_S10_S11_S12_S16_S17_S18_S1B_S1C_jS1D_jS1E_S1E_jjS1G_bEUljE0_EEESZ_S10_S11_S18_S1C_S1E_T6_T7_T9_mT8_S1G_bDpT10_ENKUlT_T0_E_clISt17integral_constantIbLb0EES1T_IbLb1EEEEDaS1P_S1Q_EUlS1P_E_NS1_11comp_targetILNS1_3genE2ELNS1_11target_archE906ELNS1_3gpuE6ELNS1_3repE0EEENS1_30default_config_static_selectorELNS0_4arch9wavefront6targetE0EEEvS12_: ; @_ZN7rocprim17ROCPRIM_400000_NS6detail17trampoline_kernelINS0_13select_configILj256ELj13ELNS0_17block_load_methodE3ELS4_3ELS4_3ELNS0_20block_scan_algorithmE0ELj4294967295EEENS1_25partition_config_selectorILNS1_17partition_subalgoE4EjNS0_10empty_typeEbEEZZNS1_14partition_implILS8_4ELb0ES6_15HIP_vector_typeIjLj2EENS0_17counting_iteratorIjlEEPS9_SG_NS0_5tupleIJPjSI_NS0_16reverse_iteratorISI_EEEEENSH_IJSG_SG_SG_EEES9_SI_JZNS1_25segmented_radix_sort_implINS0_14default_configELb1EPKhPhPKlPlN2at6native12_GLOBAL__N_18offset_tEEE10hipError_tPvRmT1_PNSt15iterator_traitsIS12_E10value_typeET2_T3_PNS13_IS18_E10value_typeET4_jRbjT5_S1E_jjP12ihipStream_tbEUljE_ZNSN_ISO_Lb1ESQ_SR_ST_SU_SY_EESZ_S10_S11_S12_S16_S17_S18_S1B_S1C_jS1D_jS1E_S1E_jjS1G_bEUljE0_EEESZ_S10_S11_S18_S1C_S1E_T6_T7_T9_mT8_S1G_bDpT10_ENKUlT_T0_E_clISt17integral_constantIbLb0EES1T_IbLb1EEEEDaS1P_S1Q_EUlS1P_E_NS1_11comp_targetILNS1_3genE2ELNS1_11target_archE906ELNS1_3gpuE6ELNS1_3repE0EEENS1_30default_config_static_selectorELNS0_4arch9wavefront6targetE0EEEvS12_
; %bb.0:
	.section	.rodata,"a",@progbits
	.p2align	6, 0x0
	.amdhsa_kernel _ZN7rocprim17ROCPRIM_400000_NS6detail17trampoline_kernelINS0_13select_configILj256ELj13ELNS0_17block_load_methodE3ELS4_3ELS4_3ELNS0_20block_scan_algorithmE0ELj4294967295EEENS1_25partition_config_selectorILNS1_17partition_subalgoE4EjNS0_10empty_typeEbEEZZNS1_14partition_implILS8_4ELb0ES6_15HIP_vector_typeIjLj2EENS0_17counting_iteratorIjlEEPS9_SG_NS0_5tupleIJPjSI_NS0_16reverse_iteratorISI_EEEEENSH_IJSG_SG_SG_EEES9_SI_JZNS1_25segmented_radix_sort_implINS0_14default_configELb1EPKhPhPKlPlN2at6native12_GLOBAL__N_18offset_tEEE10hipError_tPvRmT1_PNSt15iterator_traitsIS12_E10value_typeET2_T3_PNS13_IS18_E10value_typeET4_jRbjT5_S1E_jjP12ihipStream_tbEUljE_ZNSN_ISO_Lb1ESQ_SR_ST_SU_SY_EESZ_S10_S11_S12_S16_S17_S18_S1B_S1C_jS1D_jS1E_S1E_jjS1G_bEUljE0_EEESZ_S10_S11_S18_S1C_S1E_T6_T7_T9_mT8_S1G_bDpT10_ENKUlT_T0_E_clISt17integral_constantIbLb0EES1T_IbLb1EEEEDaS1P_S1Q_EUlS1P_E_NS1_11comp_targetILNS1_3genE2ELNS1_11target_archE906ELNS1_3gpuE6ELNS1_3repE0EEENS1_30default_config_static_selectorELNS0_4arch9wavefront6targetE0EEEvS12_
		.amdhsa_group_segment_fixed_size 0
		.amdhsa_private_segment_fixed_size 0
		.amdhsa_kernarg_size 184
		.amdhsa_user_sgpr_count 2
		.amdhsa_user_sgpr_dispatch_ptr 0
		.amdhsa_user_sgpr_queue_ptr 0
		.amdhsa_user_sgpr_kernarg_segment_ptr 1
		.amdhsa_user_sgpr_dispatch_id 0
		.amdhsa_user_sgpr_private_segment_size 0
		.amdhsa_wavefront_size32 1
		.amdhsa_uses_dynamic_stack 0
		.amdhsa_enable_private_segment 0
		.amdhsa_system_sgpr_workgroup_id_x 1
		.amdhsa_system_sgpr_workgroup_id_y 0
		.amdhsa_system_sgpr_workgroup_id_z 0
		.amdhsa_system_sgpr_workgroup_info 0
		.amdhsa_system_vgpr_workitem_id 0
		.amdhsa_next_free_vgpr 1
		.amdhsa_next_free_sgpr 1
		.amdhsa_reserve_vcc 0
		.amdhsa_float_round_mode_32 0
		.amdhsa_float_round_mode_16_64 0
		.amdhsa_float_denorm_mode_32 3
		.amdhsa_float_denorm_mode_16_64 3
		.amdhsa_fp16_overflow 0
		.amdhsa_workgroup_processor_mode 1
		.amdhsa_memory_ordered 1
		.amdhsa_forward_progress 1
		.amdhsa_inst_pref_size 0
		.amdhsa_round_robin_scheduling 0
		.amdhsa_exception_fp_ieee_invalid_op 0
		.amdhsa_exception_fp_denorm_src 0
		.amdhsa_exception_fp_ieee_div_zero 0
		.amdhsa_exception_fp_ieee_overflow 0
		.amdhsa_exception_fp_ieee_underflow 0
		.amdhsa_exception_fp_ieee_inexact 0
		.amdhsa_exception_int_div_zero 0
	.end_amdhsa_kernel
	.section	.text._ZN7rocprim17ROCPRIM_400000_NS6detail17trampoline_kernelINS0_13select_configILj256ELj13ELNS0_17block_load_methodE3ELS4_3ELS4_3ELNS0_20block_scan_algorithmE0ELj4294967295EEENS1_25partition_config_selectorILNS1_17partition_subalgoE4EjNS0_10empty_typeEbEEZZNS1_14partition_implILS8_4ELb0ES6_15HIP_vector_typeIjLj2EENS0_17counting_iteratorIjlEEPS9_SG_NS0_5tupleIJPjSI_NS0_16reverse_iteratorISI_EEEEENSH_IJSG_SG_SG_EEES9_SI_JZNS1_25segmented_radix_sort_implINS0_14default_configELb1EPKhPhPKlPlN2at6native12_GLOBAL__N_18offset_tEEE10hipError_tPvRmT1_PNSt15iterator_traitsIS12_E10value_typeET2_T3_PNS13_IS18_E10value_typeET4_jRbjT5_S1E_jjP12ihipStream_tbEUljE_ZNSN_ISO_Lb1ESQ_SR_ST_SU_SY_EESZ_S10_S11_S12_S16_S17_S18_S1B_S1C_jS1D_jS1E_S1E_jjS1G_bEUljE0_EEESZ_S10_S11_S18_S1C_S1E_T6_T7_T9_mT8_S1G_bDpT10_ENKUlT_T0_E_clISt17integral_constantIbLb0EES1T_IbLb1EEEEDaS1P_S1Q_EUlS1P_E_NS1_11comp_targetILNS1_3genE2ELNS1_11target_archE906ELNS1_3gpuE6ELNS1_3repE0EEENS1_30default_config_static_selectorELNS0_4arch9wavefront6targetE0EEEvS12_,"axG",@progbits,_ZN7rocprim17ROCPRIM_400000_NS6detail17trampoline_kernelINS0_13select_configILj256ELj13ELNS0_17block_load_methodE3ELS4_3ELS4_3ELNS0_20block_scan_algorithmE0ELj4294967295EEENS1_25partition_config_selectorILNS1_17partition_subalgoE4EjNS0_10empty_typeEbEEZZNS1_14partition_implILS8_4ELb0ES6_15HIP_vector_typeIjLj2EENS0_17counting_iteratorIjlEEPS9_SG_NS0_5tupleIJPjSI_NS0_16reverse_iteratorISI_EEEEENSH_IJSG_SG_SG_EEES9_SI_JZNS1_25segmented_radix_sort_implINS0_14default_configELb1EPKhPhPKlPlN2at6native12_GLOBAL__N_18offset_tEEE10hipError_tPvRmT1_PNSt15iterator_traitsIS12_E10value_typeET2_T3_PNS13_IS18_E10value_typeET4_jRbjT5_S1E_jjP12ihipStream_tbEUljE_ZNSN_ISO_Lb1ESQ_SR_ST_SU_SY_EESZ_S10_S11_S12_S16_S17_S18_S1B_S1C_jS1D_jS1E_S1E_jjS1G_bEUljE0_EEESZ_S10_S11_S18_S1C_S1E_T6_T7_T9_mT8_S1G_bDpT10_ENKUlT_T0_E_clISt17integral_constantIbLb0EES1T_IbLb1EEEEDaS1P_S1Q_EUlS1P_E_NS1_11comp_targetILNS1_3genE2ELNS1_11target_archE906ELNS1_3gpuE6ELNS1_3repE0EEENS1_30default_config_static_selectorELNS0_4arch9wavefront6targetE0EEEvS12_,comdat
.Lfunc_end43:
	.size	_ZN7rocprim17ROCPRIM_400000_NS6detail17trampoline_kernelINS0_13select_configILj256ELj13ELNS0_17block_load_methodE3ELS4_3ELS4_3ELNS0_20block_scan_algorithmE0ELj4294967295EEENS1_25partition_config_selectorILNS1_17partition_subalgoE4EjNS0_10empty_typeEbEEZZNS1_14partition_implILS8_4ELb0ES6_15HIP_vector_typeIjLj2EENS0_17counting_iteratorIjlEEPS9_SG_NS0_5tupleIJPjSI_NS0_16reverse_iteratorISI_EEEEENSH_IJSG_SG_SG_EEES9_SI_JZNS1_25segmented_radix_sort_implINS0_14default_configELb1EPKhPhPKlPlN2at6native12_GLOBAL__N_18offset_tEEE10hipError_tPvRmT1_PNSt15iterator_traitsIS12_E10value_typeET2_T3_PNS13_IS18_E10value_typeET4_jRbjT5_S1E_jjP12ihipStream_tbEUljE_ZNSN_ISO_Lb1ESQ_SR_ST_SU_SY_EESZ_S10_S11_S12_S16_S17_S18_S1B_S1C_jS1D_jS1E_S1E_jjS1G_bEUljE0_EEESZ_S10_S11_S18_S1C_S1E_T6_T7_T9_mT8_S1G_bDpT10_ENKUlT_T0_E_clISt17integral_constantIbLb0EES1T_IbLb1EEEEDaS1P_S1Q_EUlS1P_E_NS1_11comp_targetILNS1_3genE2ELNS1_11target_archE906ELNS1_3gpuE6ELNS1_3repE0EEENS1_30default_config_static_selectorELNS0_4arch9wavefront6targetE0EEEvS12_, .Lfunc_end43-_ZN7rocprim17ROCPRIM_400000_NS6detail17trampoline_kernelINS0_13select_configILj256ELj13ELNS0_17block_load_methodE3ELS4_3ELS4_3ELNS0_20block_scan_algorithmE0ELj4294967295EEENS1_25partition_config_selectorILNS1_17partition_subalgoE4EjNS0_10empty_typeEbEEZZNS1_14partition_implILS8_4ELb0ES6_15HIP_vector_typeIjLj2EENS0_17counting_iteratorIjlEEPS9_SG_NS0_5tupleIJPjSI_NS0_16reverse_iteratorISI_EEEEENSH_IJSG_SG_SG_EEES9_SI_JZNS1_25segmented_radix_sort_implINS0_14default_configELb1EPKhPhPKlPlN2at6native12_GLOBAL__N_18offset_tEEE10hipError_tPvRmT1_PNSt15iterator_traitsIS12_E10value_typeET2_T3_PNS13_IS18_E10value_typeET4_jRbjT5_S1E_jjP12ihipStream_tbEUljE_ZNSN_ISO_Lb1ESQ_SR_ST_SU_SY_EESZ_S10_S11_S12_S16_S17_S18_S1B_S1C_jS1D_jS1E_S1E_jjS1G_bEUljE0_EEESZ_S10_S11_S18_S1C_S1E_T6_T7_T9_mT8_S1G_bDpT10_ENKUlT_T0_E_clISt17integral_constantIbLb0EES1T_IbLb1EEEEDaS1P_S1Q_EUlS1P_E_NS1_11comp_targetILNS1_3genE2ELNS1_11target_archE906ELNS1_3gpuE6ELNS1_3repE0EEENS1_30default_config_static_selectorELNS0_4arch9wavefront6targetE0EEEvS12_
                                        ; -- End function
	.set _ZN7rocprim17ROCPRIM_400000_NS6detail17trampoline_kernelINS0_13select_configILj256ELj13ELNS0_17block_load_methodE3ELS4_3ELS4_3ELNS0_20block_scan_algorithmE0ELj4294967295EEENS1_25partition_config_selectorILNS1_17partition_subalgoE4EjNS0_10empty_typeEbEEZZNS1_14partition_implILS8_4ELb0ES6_15HIP_vector_typeIjLj2EENS0_17counting_iteratorIjlEEPS9_SG_NS0_5tupleIJPjSI_NS0_16reverse_iteratorISI_EEEEENSH_IJSG_SG_SG_EEES9_SI_JZNS1_25segmented_radix_sort_implINS0_14default_configELb1EPKhPhPKlPlN2at6native12_GLOBAL__N_18offset_tEEE10hipError_tPvRmT1_PNSt15iterator_traitsIS12_E10value_typeET2_T3_PNS13_IS18_E10value_typeET4_jRbjT5_S1E_jjP12ihipStream_tbEUljE_ZNSN_ISO_Lb1ESQ_SR_ST_SU_SY_EESZ_S10_S11_S12_S16_S17_S18_S1B_S1C_jS1D_jS1E_S1E_jjS1G_bEUljE0_EEESZ_S10_S11_S18_S1C_S1E_T6_T7_T9_mT8_S1G_bDpT10_ENKUlT_T0_E_clISt17integral_constantIbLb0EES1T_IbLb1EEEEDaS1P_S1Q_EUlS1P_E_NS1_11comp_targetILNS1_3genE2ELNS1_11target_archE906ELNS1_3gpuE6ELNS1_3repE0EEENS1_30default_config_static_selectorELNS0_4arch9wavefront6targetE0EEEvS12_.num_vgpr, 0
	.set _ZN7rocprim17ROCPRIM_400000_NS6detail17trampoline_kernelINS0_13select_configILj256ELj13ELNS0_17block_load_methodE3ELS4_3ELS4_3ELNS0_20block_scan_algorithmE0ELj4294967295EEENS1_25partition_config_selectorILNS1_17partition_subalgoE4EjNS0_10empty_typeEbEEZZNS1_14partition_implILS8_4ELb0ES6_15HIP_vector_typeIjLj2EENS0_17counting_iteratorIjlEEPS9_SG_NS0_5tupleIJPjSI_NS0_16reverse_iteratorISI_EEEEENSH_IJSG_SG_SG_EEES9_SI_JZNS1_25segmented_radix_sort_implINS0_14default_configELb1EPKhPhPKlPlN2at6native12_GLOBAL__N_18offset_tEEE10hipError_tPvRmT1_PNSt15iterator_traitsIS12_E10value_typeET2_T3_PNS13_IS18_E10value_typeET4_jRbjT5_S1E_jjP12ihipStream_tbEUljE_ZNSN_ISO_Lb1ESQ_SR_ST_SU_SY_EESZ_S10_S11_S12_S16_S17_S18_S1B_S1C_jS1D_jS1E_S1E_jjS1G_bEUljE0_EEESZ_S10_S11_S18_S1C_S1E_T6_T7_T9_mT8_S1G_bDpT10_ENKUlT_T0_E_clISt17integral_constantIbLb0EES1T_IbLb1EEEEDaS1P_S1Q_EUlS1P_E_NS1_11comp_targetILNS1_3genE2ELNS1_11target_archE906ELNS1_3gpuE6ELNS1_3repE0EEENS1_30default_config_static_selectorELNS0_4arch9wavefront6targetE0EEEvS12_.num_agpr, 0
	.set _ZN7rocprim17ROCPRIM_400000_NS6detail17trampoline_kernelINS0_13select_configILj256ELj13ELNS0_17block_load_methodE3ELS4_3ELS4_3ELNS0_20block_scan_algorithmE0ELj4294967295EEENS1_25partition_config_selectorILNS1_17partition_subalgoE4EjNS0_10empty_typeEbEEZZNS1_14partition_implILS8_4ELb0ES6_15HIP_vector_typeIjLj2EENS0_17counting_iteratorIjlEEPS9_SG_NS0_5tupleIJPjSI_NS0_16reverse_iteratorISI_EEEEENSH_IJSG_SG_SG_EEES9_SI_JZNS1_25segmented_radix_sort_implINS0_14default_configELb1EPKhPhPKlPlN2at6native12_GLOBAL__N_18offset_tEEE10hipError_tPvRmT1_PNSt15iterator_traitsIS12_E10value_typeET2_T3_PNS13_IS18_E10value_typeET4_jRbjT5_S1E_jjP12ihipStream_tbEUljE_ZNSN_ISO_Lb1ESQ_SR_ST_SU_SY_EESZ_S10_S11_S12_S16_S17_S18_S1B_S1C_jS1D_jS1E_S1E_jjS1G_bEUljE0_EEESZ_S10_S11_S18_S1C_S1E_T6_T7_T9_mT8_S1G_bDpT10_ENKUlT_T0_E_clISt17integral_constantIbLb0EES1T_IbLb1EEEEDaS1P_S1Q_EUlS1P_E_NS1_11comp_targetILNS1_3genE2ELNS1_11target_archE906ELNS1_3gpuE6ELNS1_3repE0EEENS1_30default_config_static_selectorELNS0_4arch9wavefront6targetE0EEEvS12_.numbered_sgpr, 0
	.set _ZN7rocprim17ROCPRIM_400000_NS6detail17trampoline_kernelINS0_13select_configILj256ELj13ELNS0_17block_load_methodE3ELS4_3ELS4_3ELNS0_20block_scan_algorithmE0ELj4294967295EEENS1_25partition_config_selectorILNS1_17partition_subalgoE4EjNS0_10empty_typeEbEEZZNS1_14partition_implILS8_4ELb0ES6_15HIP_vector_typeIjLj2EENS0_17counting_iteratorIjlEEPS9_SG_NS0_5tupleIJPjSI_NS0_16reverse_iteratorISI_EEEEENSH_IJSG_SG_SG_EEES9_SI_JZNS1_25segmented_radix_sort_implINS0_14default_configELb1EPKhPhPKlPlN2at6native12_GLOBAL__N_18offset_tEEE10hipError_tPvRmT1_PNSt15iterator_traitsIS12_E10value_typeET2_T3_PNS13_IS18_E10value_typeET4_jRbjT5_S1E_jjP12ihipStream_tbEUljE_ZNSN_ISO_Lb1ESQ_SR_ST_SU_SY_EESZ_S10_S11_S12_S16_S17_S18_S1B_S1C_jS1D_jS1E_S1E_jjS1G_bEUljE0_EEESZ_S10_S11_S18_S1C_S1E_T6_T7_T9_mT8_S1G_bDpT10_ENKUlT_T0_E_clISt17integral_constantIbLb0EES1T_IbLb1EEEEDaS1P_S1Q_EUlS1P_E_NS1_11comp_targetILNS1_3genE2ELNS1_11target_archE906ELNS1_3gpuE6ELNS1_3repE0EEENS1_30default_config_static_selectorELNS0_4arch9wavefront6targetE0EEEvS12_.num_named_barrier, 0
	.set _ZN7rocprim17ROCPRIM_400000_NS6detail17trampoline_kernelINS0_13select_configILj256ELj13ELNS0_17block_load_methodE3ELS4_3ELS4_3ELNS0_20block_scan_algorithmE0ELj4294967295EEENS1_25partition_config_selectorILNS1_17partition_subalgoE4EjNS0_10empty_typeEbEEZZNS1_14partition_implILS8_4ELb0ES6_15HIP_vector_typeIjLj2EENS0_17counting_iteratorIjlEEPS9_SG_NS0_5tupleIJPjSI_NS0_16reverse_iteratorISI_EEEEENSH_IJSG_SG_SG_EEES9_SI_JZNS1_25segmented_radix_sort_implINS0_14default_configELb1EPKhPhPKlPlN2at6native12_GLOBAL__N_18offset_tEEE10hipError_tPvRmT1_PNSt15iterator_traitsIS12_E10value_typeET2_T3_PNS13_IS18_E10value_typeET4_jRbjT5_S1E_jjP12ihipStream_tbEUljE_ZNSN_ISO_Lb1ESQ_SR_ST_SU_SY_EESZ_S10_S11_S12_S16_S17_S18_S1B_S1C_jS1D_jS1E_S1E_jjS1G_bEUljE0_EEESZ_S10_S11_S18_S1C_S1E_T6_T7_T9_mT8_S1G_bDpT10_ENKUlT_T0_E_clISt17integral_constantIbLb0EES1T_IbLb1EEEEDaS1P_S1Q_EUlS1P_E_NS1_11comp_targetILNS1_3genE2ELNS1_11target_archE906ELNS1_3gpuE6ELNS1_3repE0EEENS1_30default_config_static_selectorELNS0_4arch9wavefront6targetE0EEEvS12_.private_seg_size, 0
	.set _ZN7rocprim17ROCPRIM_400000_NS6detail17trampoline_kernelINS0_13select_configILj256ELj13ELNS0_17block_load_methodE3ELS4_3ELS4_3ELNS0_20block_scan_algorithmE0ELj4294967295EEENS1_25partition_config_selectorILNS1_17partition_subalgoE4EjNS0_10empty_typeEbEEZZNS1_14partition_implILS8_4ELb0ES6_15HIP_vector_typeIjLj2EENS0_17counting_iteratorIjlEEPS9_SG_NS0_5tupleIJPjSI_NS0_16reverse_iteratorISI_EEEEENSH_IJSG_SG_SG_EEES9_SI_JZNS1_25segmented_radix_sort_implINS0_14default_configELb1EPKhPhPKlPlN2at6native12_GLOBAL__N_18offset_tEEE10hipError_tPvRmT1_PNSt15iterator_traitsIS12_E10value_typeET2_T3_PNS13_IS18_E10value_typeET4_jRbjT5_S1E_jjP12ihipStream_tbEUljE_ZNSN_ISO_Lb1ESQ_SR_ST_SU_SY_EESZ_S10_S11_S12_S16_S17_S18_S1B_S1C_jS1D_jS1E_S1E_jjS1G_bEUljE0_EEESZ_S10_S11_S18_S1C_S1E_T6_T7_T9_mT8_S1G_bDpT10_ENKUlT_T0_E_clISt17integral_constantIbLb0EES1T_IbLb1EEEEDaS1P_S1Q_EUlS1P_E_NS1_11comp_targetILNS1_3genE2ELNS1_11target_archE906ELNS1_3gpuE6ELNS1_3repE0EEENS1_30default_config_static_selectorELNS0_4arch9wavefront6targetE0EEEvS12_.uses_vcc, 0
	.set _ZN7rocprim17ROCPRIM_400000_NS6detail17trampoline_kernelINS0_13select_configILj256ELj13ELNS0_17block_load_methodE3ELS4_3ELS4_3ELNS0_20block_scan_algorithmE0ELj4294967295EEENS1_25partition_config_selectorILNS1_17partition_subalgoE4EjNS0_10empty_typeEbEEZZNS1_14partition_implILS8_4ELb0ES6_15HIP_vector_typeIjLj2EENS0_17counting_iteratorIjlEEPS9_SG_NS0_5tupleIJPjSI_NS0_16reverse_iteratorISI_EEEEENSH_IJSG_SG_SG_EEES9_SI_JZNS1_25segmented_radix_sort_implINS0_14default_configELb1EPKhPhPKlPlN2at6native12_GLOBAL__N_18offset_tEEE10hipError_tPvRmT1_PNSt15iterator_traitsIS12_E10value_typeET2_T3_PNS13_IS18_E10value_typeET4_jRbjT5_S1E_jjP12ihipStream_tbEUljE_ZNSN_ISO_Lb1ESQ_SR_ST_SU_SY_EESZ_S10_S11_S12_S16_S17_S18_S1B_S1C_jS1D_jS1E_S1E_jjS1G_bEUljE0_EEESZ_S10_S11_S18_S1C_S1E_T6_T7_T9_mT8_S1G_bDpT10_ENKUlT_T0_E_clISt17integral_constantIbLb0EES1T_IbLb1EEEEDaS1P_S1Q_EUlS1P_E_NS1_11comp_targetILNS1_3genE2ELNS1_11target_archE906ELNS1_3gpuE6ELNS1_3repE0EEENS1_30default_config_static_selectorELNS0_4arch9wavefront6targetE0EEEvS12_.uses_flat_scratch, 0
	.set _ZN7rocprim17ROCPRIM_400000_NS6detail17trampoline_kernelINS0_13select_configILj256ELj13ELNS0_17block_load_methodE3ELS4_3ELS4_3ELNS0_20block_scan_algorithmE0ELj4294967295EEENS1_25partition_config_selectorILNS1_17partition_subalgoE4EjNS0_10empty_typeEbEEZZNS1_14partition_implILS8_4ELb0ES6_15HIP_vector_typeIjLj2EENS0_17counting_iteratorIjlEEPS9_SG_NS0_5tupleIJPjSI_NS0_16reverse_iteratorISI_EEEEENSH_IJSG_SG_SG_EEES9_SI_JZNS1_25segmented_radix_sort_implINS0_14default_configELb1EPKhPhPKlPlN2at6native12_GLOBAL__N_18offset_tEEE10hipError_tPvRmT1_PNSt15iterator_traitsIS12_E10value_typeET2_T3_PNS13_IS18_E10value_typeET4_jRbjT5_S1E_jjP12ihipStream_tbEUljE_ZNSN_ISO_Lb1ESQ_SR_ST_SU_SY_EESZ_S10_S11_S12_S16_S17_S18_S1B_S1C_jS1D_jS1E_S1E_jjS1G_bEUljE0_EEESZ_S10_S11_S18_S1C_S1E_T6_T7_T9_mT8_S1G_bDpT10_ENKUlT_T0_E_clISt17integral_constantIbLb0EES1T_IbLb1EEEEDaS1P_S1Q_EUlS1P_E_NS1_11comp_targetILNS1_3genE2ELNS1_11target_archE906ELNS1_3gpuE6ELNS1_3repE0EEENS1_30default_config_static_selectorELNS0_4arch9wavefront6targetE0EEEvS12_.has_dyn_sized_stack, 0
	.set _ZN7rocprim17ROCPRIM_400000_NS6detail17trampoline_kernelINS0_13select_configILj256ELj13ELNS0_17block_load_methodE3ELS4_3ELS4_3ELNS0_20block_scan_algorithmE0ELj4294967295EEENS1_25partition_config_selectorILNS1_17partition_subalgoE4EjNS0_10empty_typeEbEEZZNS1_14partition_implILS8_4ELb0ES6_15HIP_vector_typeIjLj2EENS0_17counting_iteratorIjlEEPS9_SG_NS0_5tupleIJPjSI_NS0_16reverse_iteratorISI_EEEEENSH_IJSG_SG_SG_EEES9_SI_JZNS1_25segmented_radix_sort_implINS0_14default_configELb1EPKhPhPKlPlN2at6native12_GLOBAL__N_18offset_tEEE10hipError_tPvRmT1_PNSt15iterator_traitsIS12_E10value_typeET2_T3_PNS13_IS18_E10value_typeET4_jRbjT5_S1E_jjP12ihipStream_tbEUljE_ZNSN_ISO_Lb1ESQ_SR_ST_SU_SY_EESZ_S10_S11_S12_S16_S17_S18_S1B_S1C_jS1D_jS1E_S1E_jjS1G_bEUljE0_EEESZ_S10_S11_S18_S1C_S1E_T6_T7_T9_mT8_S1G_bDpT10_ENKUlT_T0_E_clISt17integral_constantIbLb0EES1T_IbLb1EEEEDaS1P_S1Q_EUlS1P_E_NS1_11comp_targetILNS1_3genE2ELNS1_11target_archE906ELNS1_3gpuE6ELNS1_3repE0EEENS1_30default_config_static_selectorELNS0_4arch9wavefront6targetE0EEEvS12_.has_recursion, 0
	.set _ZN7rocprim17ROCPRIM_400000_NS6detail17trampoline_kernelINS0_13select_configILj256ELj13ELNS0_17block_load_methodE3ELS4_3ELS4_3ELNS0_20block_scan_algorithmE0ELj4294967295EEENS1_25partition_config_selectorILNS1_17partition_subalgoE4EjNS0_10empty_typeEbEEZZNS1_14partition_implILS8_4ELb0ES6_15HIP_vector_typeIjLj2EENS0_17counting_iteratorIjlEEPS9_SG_NS0_5tupleIJPjSI_NS0_16reverse_iteratorISI_EEEEENSH_IJSG_SG_SG_EEES9_SI_JZNS1_25segmented_radix_sort_implINS0_14default_configELb1EPKhPhPKlPlN2at6native12_GLOBAL__N_18offset_tEEE10hipError_tPvRmT1_PNSt15iterator_traitsIS12_E10value_typeET2_T3_PNS13_IS18_E10value_typeET4_jRbjT5_S1E_jjP12ihipStream_tbEUljE_ZNSN_ISO_Lb1ESQ_SR_ST_SU_SY_EESZ_S10_S11_S12_S16_S17_S18_S1B_S1C_jS1D_jS1E_S1E_jjS1G_bEUljE0_EEESZ_S10_S11_S18_S1C_S1E_T6_T7_T9_mT8_S1G_bDpT10_ENKUlT_T0_E_clISt17integral_constantIbLb0EES1T_IbLb1EEEEDaS1P_S1Q_EUlS1P_E_NS1_11comp_targetILNS1_3genE2ELNS1_11target_archE906ELNS1_3gpuE6ELNS1_3repE0EEENS1_30default_config_static_selectorELNS0_4arch9wavefront6targetE0EEEvS12_.has_indirect_call, 0
	.section	.AMDGPU.csdata,"",@progbits
; Kernel info:
; codeLenInByte = 0
; TotalNumSgprs: 0
; NumVgprs: 0
; ScratchSize: 0
; MemoryBound: 0
; FloatMode: 240
; IeeeMode: 1
; LDSByteSize: 0 bytes/workgroup (compile time only)
; SGPRBlocks: 0
; VGPRBlocks: 0
; NumSGPRsForWavesPerEU: 1
; NumVGPRsForWavesPerEU: 1
; Occupancy: 16
; WaveLimiterHint : 0
; COMPUTE_PGM_RSRC2:SCRATCH_EN: 0
; COMPUTE_PGM_RSRC2:USER_SGPR: 2
; COMPUTE_PGM_RSRC2:TRAP_HANDLER: 0
; COMPUTE_PGM_RSRC2:TGID_X_EN: 1
; COMPUTE_PGM_RSRC2:TGID_Y_EN: 0
; COMPUTE_PGM_RSRC2:TGID_Z_EN: 0
; COMPUTE_PGM_RSRC2:TIDIG_COMP_CNT: 0
	.section	.text._ZN7rocprim17ROCPRIM_400000_NS6detail17trampoline_kernelINS0_13select_configILj256ELj13ELNS0_17block_load_methodE3ELS4_3ELS4_3ELNS0_20block_scan_algorithmE0ELj4294967295EEENS1_25partition_config_selectorILNS1_17partition_subalgoE4EjNS0_10empty_typeEbEEZZNS1_14partition_implILS8_4ELb0ES6_15HIP_vector_typeIjLj2EENS0_17counting_iteratorIjlEEPS9_SG_NS0_5tupleIJPjSI_NS0_16reverse_iteratorISI_EEEEENSH_IJSG_SG_SG_EEES9_SI_JZNS1_25segmented_radix_sort_implINS0_14default_configELb1EPKhPhPKlPlN2at6native12_GLOBAL__N_18offset_tEEE10hipError_tPvRmT1_PNSt15iterator_traitsIS12_E10value_typeET2_T3_PNS13_IS18_E10value_typeET4_jRbjT5_S1E_jjP12ihipStream_tbEUljE_ZNSN_ISO_Lb1ESQ_SR_ST_SU_SY_EESZ_S10_S11_S12_S16_S17_S18_S1B_S1C_jS1D_jS1E_S1E_jjS1G_bEUljE0_EEESZ_S10_S11_S18_S1C_S1E_T6_T7_T9_mT8_S1G_bDpT10_ENKUlT_T0_E_clISt17integral_constantIbLb0EES1T_IbLb1EEEEDaS1P_S1Q_EUlS1P_E_NS1_11comp_targetILNS1_3genE10ELNS1_11target_archE1200ELNS1_3gpuE4ELNS1_3repE0EEENS1_30default_config_static_selectorELNS0_4arch9wavefront6targetE0EEEvS12_,"axG",@progbits,_ZN7rocprim17ROCPRIM_400000_NS6detail17trampoline_kernelINS0_13select_configILj256ELj13ELNS0_17block_load_methodE3ELS4_3ELS4_3ELNS0_20block_scan_algorithmE0ELj4294967295EEENS1_25partition_config_selectorILNS1_17partition_subalgoE4EjNS0_10empty_typeEbEEZZNS1_14partition_implILS8_4ELb0ES6_15HIP_vector_typeIjLj2EENS0_17counting_iteratorIjlEEPS9_SG_NS0_5tupleIJPjSI_NS0_16reverse_iteratorISI_EEEEENSH_IJSG_SG_SG_EEES9_SI_JZNS1_25segmented_radix_sort_implINS0_14default_configELb1EPKhPhPKlPlN2at6native12_GLOBAL__N_18offset_tEEE10hipError_tPvRmT1_PNSt15iterator_traitsIS12_E10value_typeET2_T3_PNS13_IS18_E10value_typeET4_jRbjT5_S1E_jjP12ihipStream_tbEUljE_ZNSN_ISO_Lb1ESQ_SR_ST_SU_SY_EESZ_S10_S11_S12_S16_S17_S18_S1B_S1C_jS1D_jS1E_S1E_jjS1G_bEUljE0_EEESZ_S10_S11_S18_S1C_S1E_T6_T7_T9_mT8_S1G_bDpT10_ENKUlT_T0_E_clISt17integral_constantIbLb0EES1T_IbLb1EEEEDaS1P_S1Q_EUlS1P_E_NS1_11comp_targetILNS1_3genE10ELNS1_11target_archE1200ELNS1_3gpuE4ELNS1_3repE0EEENS1_30default_config_static_selectorELNS0_4arch9wavefront6targetE0EEEvS12_,comdat
	.globl	_ZN7rocprim17ROCPRIM_400000_NS6detail17trampoline_kernelINS0_13select_configILj256ELj13ELNS0_17block_load_methodE3ELS4_3ELS4_3ELNS0_20block_scan_algorithmE0ELj4294967295EEENS1_25partition_config_selectorILNS1_17partition_subalgoE4EjNS0_10empty_typeEbEEZZNS1_14partition_implILS8_4ELb0ES6_15HIP_vector_typeIjLj2EENS0_17counting_iteratorIjlEEPS9_SG_NS0_5tupleIJPjSI_NS0_16reverse_iteratorISI_EEEEENSH_IJSG_SG_SG_EEES9_SI_JZNS1_25segmented_radix_sort_implINS0_14default_configELb1EPKhPhPKlPlN2at6native12_GLOBAL__N_18offset_tEEE10hipError_tPvRmT1_PNSt15iterator_traitsIS12_E10value_typeET2_T3_PNS13_IS18_E10value_typeET4_jRbjT5_S1E_jjP12ihipStream_tbEUljE_ZNSN_ISO_Lb1ESQ_SR_ST_SU_SY_EESZ_S10_S11_S12_S16_S17_S18_S1B_S1C_jS1D_jS1E_S1E_jjS1G_bEUljE0_EEESZ_S10_S11_S18_S1C_S1E_T6_T7_T9_mT8_S1G_bDpT10_ENKUlT_T0_E_clISt17integral_constantIbLb0EES1T_IbLb1EEEEDaS1P_S1Q_EUlS1P_E_NS1_11comp_targetILNS1_3genE10ELNS1_11target_archE1200ELNS1_3gpuE4ELNS1_3repE0EEENS1_30default_config_static_selectorELNS0_4arch9wavefront6targetE0EEEvS12_ ; -- Begin function _ZN7rocprim17ROCPRIM_400000_NS6detail17trampoline_kernelINS0_13select_configILj256ELj13ELNS0_17block_load_methodE3ELS4_3ELS4_3ELNS0_20block_scan_algorithmE0ELj4294967295EEENS1_25partition_config_selectorILNS1_17partition_subalgoE4EjNS0_10empty_typeEbEEZZNS1_14partition_implILS8_4ELb0ES6_15HIP_vector_typeIjLj2EENS0_17counting_iteratorIjlEEPS9_SG_NS0_5tupleIJPjSI_NS0_16reverse_iteratorISI_EEEEENSH_IJSG_SG_SG_EEES9_SI_JZNS1_25segmented_radix_sort_implINS0_14default_configELb1EPKhPhPKlPlN2at6native12_GLOBAL__N_18offset_tEEE10hipError_tPvRmT1_PNSt15iterator_traitsIS12_E10value_typeET2_T3_PNS13_IS18_E10value_typeET4_jRbjT5_S1E_jjP12ihipStream_tbEUljE_ZNSN_ISO_Lb1ESQ_SR_ST_SU_SY_EESZ_S10_S11_S12_S16_S17_S18_S1B_S1C_jS1D_jS1E_S1E_jjS1G_bEUljE0_EEESZ_S10_S11_S18_S1C_S1E_T6_T7_T9_mT8_S1G_bDpT10_ENKUlT_T0_E_clISt17integral_constantIbLb0EES1T_IbLb1EEEEDaS1P_S1Q_EUlS1P_E_NS1_11comp_targetILNS1_3genE10ELNS1_11target_archE1200ELNS1_3gpuE4ELNS1_3repE0EEENS1_30default_config_static_selectorELNS0_4arch9wavefront6targetE0EEEvS12_
	.p2align	8
	.type	_ZN7rocprim17ROCPRIM_400000_NS6detail17trampoline_kernelINS0_13select_configILj256ELj13ELNS0_17block_load_methodE3ELS4_3ELS4_3ELNS0_20block_scan_algorithmE0ELj4294967295EEENS1_25partition_config_selectorILNS1_17partition_subalgoE4EjNS0_10empty_typeEbEEZZNS1_14partition_implILS8_4ELb0ES6_15HIP_vector_typeIjLj2EENS0_17counting_iteratorIjlEEPS9_SG_NS0_5tupleIJPjSI_NS0_16reverse_iteratorISI_EEEEENSH_IJSG_SG_SG_EEES9_SI_JZNS1_25segmented_radix_sort_implINS0_14default_configELb1EPKhPhPKlPlN2at6native12_GLOBAL__N_18offset_tEEE10hipError_tPvRmT1_PNSt15iterator_traitsIS12_E10value_typeET2_T3_PNS13_IS18_E10value_typeET4_jRbjT5_S1E_jjP12ihipStream_tbEUljE_ZNSN_ISO_Lb1ESQ_SR_ST_SU_SY_EESZ_S10_S11_S12_S16_S17_S18_S1B_S1C_jS1D_jS1E_S1E_jjS1G_bEUljE0_EEESZ_S10_S11_S18_S1C_S1E_T6_T7_T9_mT8_S1G_bDpT10_ENKUlT_T0_E_clISt17integral_constantIbLb0EES1T_IbLb1EEEEDaS1P_S1Q_EUlS1P_E_NS1_11comp_targetILNS1_3genE10ELNS1_11target_archE1200ELNS1_3gpuE4ELNS1_3repE0EEENS1_30default_config_static_selectorELNS0_4arch9wavefront6targetE0EEEvS12_,@function
_ZN7rocprim17ROCPRIM_400000_NS6detail17trampoline_kernelINS0_13select_configILj256ELj13ELNS0_17block_load_methodE3ELS4_3ELS4_3ELNS0_20block_scan_algorithmE0ELj4294967295EEENS1_25partition_config_selectorILNS1_17partition_subalgoE4EjNS0_10empty_typeEbEEZZNS1_14partition_implILS8_4ELb0ES6_15HIP_vector_typeIjLj2EENS0_17counting_iteratorIjlEEPS9_SG_NS0_5tupleIJPjSI_NS0_16reverse_iteratorISI_EEEEENSH_IJSG_SG_SG_EEES9_SI_JZNS1_25segmented_radix_sort_implINS0_14default_configELb1EPKhPhPKlPlN2at6native12_GLOBAL__N_18offset_tEEE10hipError_tPvRmT1_PNSt15iterator_traitsIS12_E10value_typeET2_T3_PNS13_IS18_E10value_typeET4_jRbjT5_S1E_jjP12ihipStream_tbEUljE_ZNSN_ISO_Lb1ESQ_SR_ST_SU_SY_EESZ_S10_S11_S12_S16_S17_S18_S1B_S1C_jS1D_jS1E_S1E_jjS1G_bEUljE0_EEESZ_S10_S11_S18_S1C_S1E_T6_T7_T9_mT8_S1G_bDpT10_ENKUlT_T0_E_clISt17integral_constantIbLb0EES1T_IbLb1EEEEDaS1P_S1Q_EUlS1P_E_NS1_11comp_targetILNS1_3genE10ELNS1_11target_archE1200ELNS1_3gpuE4ELNS1_3repE0EEENS1_30default_config_static_selectorELNS0_4arch9wavefront6targetE0EEEvS12_: ; @_ZN7rocprim17ROCPRIM_400000_NS6detail17trampoline_kernelINS0_13select_configILj256ELj13ELNS0_17block_load_methodE3ELS4_3ELS4_3ELNS0_20block_scan_algorithmE0ELj4294967295EEENS1_25partition_config_selectorILNS1_17partition_subalgoE4EjNS0_10empty_typeEbEEZZNS1_14partition_implILS8_4ELb0ES6_15HIP_vector_typeIjLj2EENS0_17counting_iteratorIjlEEPS9_SG_NS0_5tupleIJPjSI_NS0_16reverse_iteratorISI_EEEEENSH_IJSG_SG_SG_EEES9_SI_JZNS1_25segmented_radix_sort_implINS0_14default_configELb1EPKhPhPKlPlN2at6native12_GLOBAL__N_18offset_tEEE10hipError_tPvRmT1_PNSt15iterator_traitsIS12_E10value_typeET2_T3_PNS13_IS18_E10value_typeET4_jRbjT5_S1E_jjP12ihipStream_tbEUljE_ZNSN_ISO_Lb1ESQ_SR_ST_SU_SY_EESZ_S10_S11_S12_S16_S17_S18_S1B_S1C_jS1D_jS1E_S1E_jjS1G_bEUljE0_EEESZ_S10_S11_S18_S1C_S1E_T6_T7_T9_mT8_S1G_bDpT10_ENKUlT_T0_E_clISt17integral_constantIbLb0EES1T_IbLb1EEEEDaS1P_S1Q_EUlS1P_E_NS1_11comp_targetILNS1_3genE10ELNS1_11target_archE1200ELNS1_3gpuE4ELNS1_3repE0EEENS1_30default_config_static_selectorELNS0_4arch9wavefront6targetE0EEEvS12_
; %bb.0:
	s_clause 0x7
	s_load_b64 s[34:35], s[0:1], 0x10
	s_load_b128 s[28:31], s[0:1], 0x28
	s_load_b64 s[14:15], s[0:1], 0x38
	s_load_b128 s[24:27], s[0:1], 0x58
	s_load_b64 s[4:5], s[0:1], 0x68
	s_load_b64 s[36:37], s[0:1], 0x78
	s_load_b64 s[38:39], s[0:1], 0xb0
	s_load_b256 s[16:23], s[0:1], 0x90
	v_cmp_eq_u32_e64 s2, 0, v0
	s_and_saveexec_b32 s3, s2
	s_cbranch_execz .LBB44_4
; %bb.1:
	s_mov_b32 s7, exec_lo
	s_mov_b32 s6, exec_lo
	v_mbcnt_lo_u32_b32 v1, s7, 0
                                        ; implicit-def: $vgpr2
	s_delay_alu instid0(VALU_DEP_1)
	v_cmpx_eq_u32_e32 0, v1
	s_cbranch_execz .LBB44_3
; %bb.2:
	s_load_b64 s[8:9], s[0:1], 0x88
	s_bcnt1_i32_b32 s7, s7
	s_wait_alu 0xfffe
	v_dual_mov_b32 v2, 0 :: v_dual_mov_b32 v3, s7
	s_wait_kmcnt 0x0
	global_atomic_add_u32 v2, v2, v3, s[8:9] th:TH_ATOMIC_RETURN scope:SCOPE_DEV
.LBB44_3:
	s_or_b32 exec_lo, exec_lo, s6
	s_wait_loadcnt 0x0
	v_readfirstlane_b32 s6, v2
	s_wait_alu 0xf1ff
	s_delay_alu instid0(VALU_DEP_1)
	v_dual_mov_b32 v2, 0 :: v_dual_add_nc_u32 v1, s6, v1
	ds_store_b32 v2, v1
.LBB44_4:
	s_or_b32 exec_lo, exec_lo, s3
	v_mov_b32_e32 v1, 0
	s_clause 0x1
	s_load_b32 s3, s[0:1], 0x8
	s_load_b32 s0, s[0:1], 0x80
	s_wait_dscnt 0x0
	s_barrier_signal -1
	s_barrier_wait -1
	global_inv scope:SCOPE_SE
	ds_load_b32 v5, v1
	s_wait_loadcnt_dscnt 0x0
	s_barrier_signal -1
	s_barrier_wait -1
	global_inv scope:SCOPE_SE
	s_wait_kmcnt 0x0
	global_load_b128 v[1:4], v1, s[26:27]
	s_mov_b32 s1, 0
	s_add_co_i32 s3, s3, s34
	s_add_co_i32 s6, s0, -1
	s_mulk_i32 s0, 0xd00
	s_delay_alu instid0(SALU_CYCLE_1)
	s_add_co_i32 s7, s0, s34
	s_add_nc_u64 s[0:1], s[34:35], s[0:1]
	v_readfirstlane_b32 s33, v5
	v_cmp_gt_u64_e64 s0, s[4:5], s[0:1]
	s_wait_alu 0xfffe
	s_sub_co_i32 s27, s4, s7
	v_cmp_ne_u32_e32 vcc_lo, s6, v5
	v_mul_lo_u32 v43, 0xd00, v5
	s_addk_co_i32 s27, 0xd00
	s_cmp_eq_u32 s33, s6
	s_mov_b32 s4, -1
	s_cselect_b32 s26, -1, 0
	s_or_b32 s1, s0, vcc_lo
	s_wait_alu 0xfffe
	s_and_b32 vcc_lo, exec_lo, s1
	s_cbranch_vccz .LBB44_6
; %bb.5:
	v_add3_u32 v5, v43, s3, v0
	v_lshlrev_b32_e32 v14, 2, v0
	s_mov_b32 s4, 0
	s_delay_alu instid0(VALU_DEP_2)
	v_add_nc_u32_e32 v6, 0x100, v5
	v_add_nc_u32_e32 v7, 0x200, v5
	;; [unrolled: 1-line block ×12, first 2 shown]
	ds_store_2addr_stride64_b32 v14, v5, v6 offset1:4
	ds_store_2addr_stride64_b32 v14, v7, v8 offset0:8 offset1:12
	ds_store_2addr_stride64_b32 v14, v9, v10 offset0:16 offset1:20
	;; [unrolled: 1-line block ×5, first 2 shown]
	ds_store_b32 v14, v18 offset:12288
	s_wait_loadcnt_dscnt 0x0
	s_barrier_signal -1
	s_barrier_wait -1
.LBB44_6:
	v_cmp_gt_u32_e64 s0, s27, v0
	v_or_b32_e32 v42, 0x100, v0
	v_or_b32_e32 v41, 0x200, v0
	;; [unrolled: 1-line block ×12, first 2 shown]
	s_wait_alu 0xfffe
	s_and_not1_b32 vcc_lo, exec_lo, s4
	s_cbranch_vccnz .LBB44_8
; %bb.7:
	v_add_nc_u32_e32 v5, s3, v43
	v_cmp_gt_u32_e32 vcc_lo, s27, v42
	s_delay_alu instid0(VALU_DEP_2) | instskip(NEXT) | instid1(VALU_DEP_1)
	v_add_nc_u32_e32 v7, v5, v42
	v_dual_cndmask_b32 v7, 0, v7 :: v_dual_add_nc_u32 v8, v5, v41
	v_cmp_gt_u32_e32 vcc_lo, s27, v41
	s_wait_alu 0xfffd
	s_delay_alu instid0(VALU_DEP_2)
	v_cndmask_b32_e32 v8, 0, v8, vcc_lo
	v_cmp_gt_u32_e32 vcc_lo, s27, v40
	v_add_nc_u32_e32 v17, v5, v32
	v_add_nc_u32_e32 v14, v5, v35
	;; [unrolled: 1-line block ×9, first 2 shown]
	s_wait_alu 0xfffd
	v_cndmask_b32_e32 v9, 0, v9, vcc_lo
	v_cmp_gt_u32_e32 vcc_lo, s27, v39
	v_cndmask_b32_e64 v6, 0, v6, s0
	s_wait_alu 0xfffd
	v_cndmask_b32_e32 v10, 0, v10, vcc_lo
	v_cmp_gt_u32_e32 vcc_lo, s27, v38
	v_add_nc_u32_e32 v12, v5, v37
	v_add_nc_u32_e32 v5, v5, v31
	s_wait_alu 0xfffd
	v_cndmask_b32_e32 v11, 0, v11, vcc_lo
	v_cmp_gt_u32_e32 vcc_lo, s27, v37
	s_wait_alu 0xfffd
	v_cndmask_b32_e32 v12, 0, v12, vcc_lo
	v_cmp_gt_u32_e32 vcc_lo, s27, v36
	;; [unrolled: 3-line block ×7, first 2 shown]
	s_wait_alu 0xfffd
	v_dual_cndmask_b32 v5, 0, v5 :: v_dual_lshlrev_b32 v18, 2, v0
	ds_store_2addr_stride64_b32 v18, v6, v7 offset1:4
	ds_store_2addr_stride64_b32 v18, v8, v9 offset0:8 offset1:12
	ds_store_2addr_stride64_b32 v18, v10, v11 offset0:16 offset1:20
	;; [unrolled: 1-line block ×5, first 2 shown]
	ds_store_b32 v18, v5 offset:12288
	s_wait_loadcnt_dscnt 0x0
	s_barrier_signal -1
	s_barrier_wait -1
.LBB44_8:
	v_mul_u32_u24_e32 v46, 13, v0
	s_wait_loadcnt 0x0
	global_inv scope:SCOPE_SE
	v_cndmask_b32_e64 v44, 0, 1, s1
	s_and_not1_b32 vcc_lo, exec_lo, s1
	v_lshlrev_b32_e32 v5, 2, v46
	ds_load_2addr_b32 v[23:24], v5 offset1:1
	ds_load_2addr_b32 v[21:22], v5 offset0:2 offset1:3
	ds_load_2addr_b32 v[19:20], v5 offset0:4 offset1:5
	;; [unrolled: 1-line block ×5, first 2 shown]
	ds_load_b32 v45, v5 offset:48
	s_wait_loadcnt_dscnt 0x0
	s_barrier_signal -1
	s_barrier_wait -1
	global_inv scope:SCOPE_SE
	s_wait_alu 0xfffe
	s_cbranch_vccnz .LBB44_36
; %bb.9:
	v_add_nc_u32_e32 v5, s17, v23
	v_add_nc_u32_e32 v6, s19, v23
	s_mov_b32 s41, 0
	s_mov_b32 s40, 0
	s_mov_b32 s1, exec_lo
	v_mul_lo_u32 v5, v5, s16
	v_mul_lo_u32 v6, v6, s18
	s_delay_alu instid0(VALU_DEP_1) | instskip(NEXT) | instid1(VALU_DEP_1)
	v_sub_nc_u32_e32 v5, v5, v6
	v_cmp_lt_u32_e32 vcc_lo, s20, v5
	v_cmpx_ge_u32_e64 s20, v5
	s_cbranch_execz .LBB44_11
; %bb.10:
	v_add_nc_u32_e32 v5, s22, v23
	v_add_nc_u32_e32 v6, s38, v23
	s_delay_alu instid0(VALU_DEP_2) | instskip(NEXT) | instid1(VALU_DEP_2)
	v_mul_lo_u32 v5, v5, s21
	v_mul_lo_u32 v6, v6, s23
	s_delay_alu instid0(VALU_DEP_1) | instskip(NEXT) | instid1(VALU_DEP_1)
	v_sub_nc_u32_e32 v5, v5, v6
	v_cmp_lt_u32_e64 s0, s39, v5
	s_and_b32 s40, s0, exec_lo
.LBB44_11:
	s_wait_alu 0xfffe
	s_or_b32 exec_lo, exec_lo, s1
	v_add_nc_u32_e32 v5, s17, v24
	v_add_nc_u32_e32 v6, s19, v24
	s_mov_b32 s3, exec_lo
	s_delay_alu instid0(VALU_DEP_2) | instskip(NEXT) | instid1(VALU_DEP_2)
	v_mul_lo_u32 v5, v5, s16
	v_mul_lo_u32 v6, v6, s18
	s_delay_alu instid0(VALU_DEP_1) | instskip(NEXT) | instid1(VALU_DEP_1)
	v_sub_nc_u32_e32 v5, v5, v6
	v_cmp_lt_u32_e64 s0, s20, v5
	v_cmpx_ge_u32_e64 s20, v5
	s_cbranch_execz .LBB44_13
; %bb.12:
	v_add_nc_u32_e32 v5, s22, v24
	v_add_nc_u32_e32 v6, s38, v24
	s_delay_alu instid0(VALU_DEP_2) | instskip(NEXT) | instid1(VALU_DEP_2)
	v_mul_lo_u32 v5, v5, s21
	v_mul_lo_u32 v6, v6, s23
	s_delay_alu instid0(VALU_DEP_1) | instskip(NEXT) | instid1(VALU_DEP_1)
	v_sub_nc_u32_e32 v5, v5, v6
	v_cmp_lt_u32_e64 s1, s39, v5
	s_and_b32 s41, s1, exec_lo
.LBB44_13:
	s_wait_alu 0xfffe
	s_or_b32 exec_lo, exec_lo, s3
	v_add_nc_u32_e32 v5, s17, v21
	v_add_nc_u32_e32 v6, s19, v21
	s_mov_b32 s43, 0
	s_mov_b32 s42, 0
	s_mov_b32 s4, exec_lo
	v_mul_lo_u32 v5, v5, s16
	v_mul_lo_u32 v6, v6, s18
	s_delay_alu instid0(VALU_DEP_1) | instskip(NEXT) | instid1(VALU_DEP_1)
	v_sub_nc_u32_e32 v5, v5, v6
	v_cmp_lt_u32_e64 s1, s20, v5
	v_cmpx_ge_u32_e64 s20, v5
	s_cbranch_execz .LBB44_15
; %bb.14:
	v_add_nc_u32_e32 v5, s22, v21
	v_add_nc_u32_e32 v6, s38, v21
	s_delay_alu instid0(VALU_DEP_2) | instskip(NEXT) | instid1(VALU_DEP_2)
	v_mul_lo_u32 v5, v5, s21
	v_mul_lo_u32 v6, v6, s23
	s_delay_alu instid0(VALU_DEP_1) | instskip(NEXT) | instid1(VALU_DEP_1)
	v_sub_nc_u32_e32 v5, v5, v6
	v_cmp_lt_u32_e64 s3, s39, v5
	s_and_b32 s42, s3, exec_lo
.LBB44_15:
	s_wait_alu 0xfffe
	s_or_b32 exec_lo, exec_lo, s4
	v_add_nc_u32_e32 v5, s17, v22
	v_add_nc_u32_e32 v6, s19, v22
	s_mov_b32 s5, exec_lo
	s_delay_alu instid0(VALU_DEP_2) | instskip(NEXT) | instid1(VALU_DEP_2)
	v_mul_lo_u32 v5, v5, s16
	v_mul_lo_u32 v6, v6, s18
	s_delay_alu instid0(VALU_DEP_1) | instskip(NEXT) | instid1(VALU_DEP_1)
	v_sub_nc_u32_e32 v5, v5, v6
	v_cmp_lt_u32_e64 s3, s20, v5
	v_cmpx_ge_u32_e64 s20, v5
	s_cbranch_execz .LBB44_17
; %bb.16:
	v_add_nc_u32_e32 v5, s22, v22
	v_add_nc_u32_e32 v6, s38, v22
	s_delay_alu instid0(VALU_DEP_2) | instskip(NEXT) | instid1(VALU_DEP_2)
	v_mul_lo_u32 v5, v5, s21
	v_mul_lo_u32 v6, v6, s23
	s_delay_alu instid0(VALU_DEP_1) | instskip(NEXT) | instid1(VALU_DEP_1)
	v_sub_nc_u32_e32 v5, v5, v6
	v_cmp_lt_u32_e64 s4, s39, v5
	s_and_b32 s43, s4, exec_lo
.LBB44_17:
	s_wait_alu 0xfffe
	s_or_b32 exec_lo, exec_lo, s5
	v_add_nc_u32_e32 v5, s17, v19
	v_add_nc_u32_e32 v6, s19, v19
	s_mov_b32 s45, 0
	s_mov_b32 s44, 0
	s_mov_b32 s6, exec_lo
	v_mul_lo_u32 v5, v5, s16
	v_mul_lo_u32 v6, v6, s18
	s_delay_alu instid0(VALU_DEP_1) | instskip(NEXT) | instid1(VALU_DEP_1)
	v_sub_nc_u32_e32 v5, v5, v6
	v_cmp_lt_u32_e64 s4, s20, v5
	;; [unrolled: 49-line block ×3, first 2 shown]
	v_cmpx_ge_u32_e64 s20, v5
	s_cbranch_execz .LBB44_23
; %bb.22:
	v_add_nc_u32_e32 v5, s22, v17
	v_add_nc_u32_e32 v6, s38, v17
	s_delay_alu instid0(VALU_DEP_2) | instskip(NEXT) | instid1(VALU_DEP_2)
	v_mul_lo_u32 v5, v5, s21
	v_mul_lo_u32 v6, v6, s23
	s_delay_alu instid0(VALU_DEP_1) | instskip(NEXT) | instid1(VALU_DEP_1)
	v_sub_nc_u32_e32 v5, v5, v6
	v_cmp_lt_u32_e64 s7, s39, v5
	s_and_b32 s46, s7, exec_lo
.LBB44_23:
	s_or_b32 exec_lo, exec_lo, s8
	v_add_nc_u32_e32 v5, s17, v18
	v_add_nc_u32_e32 v6, s19, v18
	s_mov_b32 s9, exec_lo
	s_delay_alu instid0(VALU_DEP_2) | instskip(NEXT) | instid1(VALU_DEP_2)
	v_mul_lo_u32 v5, v5, s16
	v_mul_lo_u32 v6, v6, s18
	s_delay_alu instid0(VALU_DEP_1) | instskip(NEXT) | instid1(VALU_DEP_1)
	v_sub_nc_u32_e32 v5, v5, v6
	v_cmp_lt_u32_e64 s7, s20, v5
	v_cmpx_ge_u32_e64 s20, v5
	s_cbranch_execz .LBB44_25
; %bb.24:
	v_add_nc_u32_e32 v5, s22, v18
	v_add_nc_u32_e32 v6, s38, v18
	s_delay_alu instid0(VALU_DEP_2) | instskip(NEXT) | instid1(VALU_DEP_2)
	v_mul_lo_u32 v5, v5, s21
	v_mul_lo_u32 v6, v6, s23
	s_delay_alu instid0(VALU_DEP_1) | instskip(NEXT) | instid1(VALU_DEP_1)
	v_sub_nc_u32_e32 v5, v5, v6
	v_cmp_lt_u32_e64 s8, s39, v5
	s_and_b32 s47, s8, exec_lo
.LBB44_25:
	s_or_b32 exec_lo, exec_lo, s9
	v_add_nc_u32_e32 v5, s17, v15
	v_add_nc_u32_e32 v6, s19, v15
	s_mov_b32 s50, 0
	s_mov_b32 s49, 0
	s_mov_b32 s10, exec_lo
	v_mul_lo_u32 v5, v5, s16
	v_mul_lo_u32 v6, v6, s18
	s_delay_alu instid0(VALU_DEP_1) | instskip(NEXT) | instid1(VALU_DEP_1)
	v_sub_nc_u32_e32 v5, v5, v6
	v_cmp_lt_u32_e64 s8, s20, v5
	v_cmpx_ge_u32_e64 s20, v5
	s_cbranch_execz .LBB44_27
; %bb.26:
	v_add_nc_u32_e32 v5, s22, v15
	v_add_nc_u32_e32 v6, s38, v15
	s_delay_alu instid0(VALU_DEP_2) | instskip(NEXT) | instid1(VALU_DEP_2)
	v_mul_lo_u32 v5, v5, s21
	v_mul_lo_u32 v6, v6, s23
	s_delay_alu instid0(VALU_DEP_1) | instskip(NEXT) | instid1(VALU_DEP_1)
	v_sub_nc_u32_e32 v5, v5, v6
	v_cmp_lt_u32_e64 s9, s39, v5
	s_and_b32 s49, s9, exec_lo
.LBB44_27:
	s_or_b32 exec_lo, exec_lo, s10
	v_add_nc_u32_e32 v5, s17, v16
	v_add_nc_u32_e32 v6, s19, v16
	s_mov_b32 s11, exec_lo
	s_delay_alu instid0(VALU_DEP_2) | instskip(NEXT) | instid1(VALU_DEP_2)
	v_mul_lo_u32 v5, v5, s16
	v_mul_lo_u32 v6, v6, s18
	s_delay_alu instid0(VALU_DEP_1) | instskip(NEXT) | instid1(VALU_DEP_1)
	v_sub_nc_u32_e32 v5, v5, v6
	v_cmp_lt_u32_e64 s9, s20, v5
	v_cmpx_ge_u32_e64 s20, v5
	s_cbranch_execz .LBB44_29
; %bb.28:
	v_add_nc_u32_e32 v5, s22, v16
	v_add_nc_u32_e32 v6, s38, v16
	s_delay_alu instid0(VALU_DEP_2) | instskip(NEXT) | instid1(VALU_DEP_2)
	v_mul_lo_u32 v5, v5, s21
	v_mul_lo_u32 v6, v6, s23
	s_delay_alu instid0(VALU_DEP_1) | instskip(NEXT) | instid1(VALU_DEP_1)
	v_sub_nc_u32_e32 v5, v5, v6
	v_cmp_lt_u32_e64 s10, s39, v5
	s_and_b32 s50, s10, exec_lo
.LBB44_29:
	s_or_b32 exec_lo, exec_lo, s11
	v_add_nc_u32_e32 v5, s17, v13
	v_add_nc_u32_e32 v6, s19, v13
	s_mov_b32 s51, 0
	s_mov_b32 s52, 0
	s_mov_b32 s12, exec_lo
	v_mul_lo_u32 v5, v5, s16
	v_mul_lo_u32 v6, v6, s18
	s_delay_alu instid0(VALU_DEP_1) | instskip(NEXT) | instid1(VALU_DEP_1)
	v_sub_nc_u32_e32 v5, v5, v6
	v_cmp_lt_u32_e64 s10, s20, v5
	;; [unrolled: 47-line block ×3, first 2 shown]
	v_cmpx_ge_u32_e64 s20, v5
	s_cbranch_execz .LBB44_35
; %bb.34:
	v_add_nc_u32_e32 v5, s22, v45
	v_add_nc_u32_e32 v6, s38, v45
	s_delay_alu instid0(VALU_DEP_2) | instskip(NEXT) | instid1(VALU_DEP_2)
	v_mul_lo_u32 v5, v5, s21
	v_mul_lo_u32 v6, v6, s23
	s_delay_alu instid0(VALU_DEP_1) | instskip(NEXT) | instid1(VALU_DEP_1)
	v_sub_nc_u32_e32 v5, v5, v6
	v_cmp_lt_u32_e64 s13, s39, v5
	s_and_b32 s53, s13, exec_lo
.LBB44_35:
	s_or_b32 exec_lo, exec_lo, s54
	v_cndmask_b32_e64 v6, 0, 1, s0
	v_cndmask_b32_e64 v8, 0, 1, s3
	s_wait_alu 0xfffd
	v_cndmask_b32_e64 v5, 0, 1, vcc_lo
	v_cndmask_b32_e64 v7, 0, 1, s1
	v_cndmask_b32_e64 v10, 0, 1, s5
	v_lshlrev_b16 v6, 8, v6
	v_lshlrev_b16 v8, 8, v8
	s_wait_alu 0xf1ff
	v_cndmask_b32_e64 v12, 0, 1, s7
	v_cndmask_b32_e64 v26, 0, 1, s9
	;; [unrolled: 1-line block ×3, first 2 shown]
	v_or_b32_e32 v5, v5, v6
	v_or_b32_e32 v6, v7, v8
	v_cndmask_b32_e64 v56, 0, 1, s40
	v_cndmask_b32_e64 v9, 0, 1, s4
	;; [unrolled: 1-line block ×3, first 2 shown]
	v_and_b32_e32 v5, 0xffff, v5
	v_lshlrev_b32_e32 v6, 16, v6
	v_cndmask_b32_e64 v25, 0, 1, s8
	v_cndmask_b32_e64 v27, 0, 1, s10
	;; [unrolled: 1-line block ×8, first 2 shown]
	v_or_b32_e32 v47, v5, v6
	v_lshlrev_b16 v5, 8, v10
	v_lshlrev_b16 v6, 8, v12
	;; [unrolled: 1-line block ×5, first 2 shown]
	v_cndmask_b32_e64 v30, 0, 1, s50
	v_cndmask_b32_e64 v49, 0, 1, s47
	;; [unrolled: 1-line block ×5, first 2 shown]
	v_or_b32_e32 v5, v9, v5
	v_or_b32_e32 v6, v11, v6
	;; [unrolled: 1-line block ×5, first 2 shown]
	v_lshlrev_b16 v8, 8, v8
	v_lshlrev_b16 v12, 8, v54
	;; [unrolled: 1-line block ×5, first 2 shown]
	v_or_b32_e32 v8, v55, v8
	v_or_b32_e32 v7, v7, v12
	;; [unrolled: 1-line block ×5, first 2 shown]
	v_and_b32_e32 v5, 0xffff, v5
	v_lshlrev_b32_e32 v6, 16, v6
	v_and_b32_e32 v9, 0xffff, v9
	v_lshlrev_b32_e32 v10, 16, v10
	;; [unrolled: 2-line block ×5, first 2 shown]
	v_cndmask_b32_e64 v50, 0, 1, s51
	v_cndmask_b32_e64 v53, 0, 1, s53
	v_or_b32_e32 v49, v5, v6
	v_or_b32_e32 v52, v9, v10
	;; [unrolled: 1-line block ×5, first 2 shown]
	s_and_b32 vcc_lo, exec_lo, s48
	s_wait_alu 0xfffe
	s_cbranch_vccnz .LBB44_37
	s_branch .LBB44_114
.LBB44_36:
                                        ; implicit-def: $vgpr53
                                        ; implicit-def: $vgpr50
                                        ; implicit-def: $vgpr51
                                        ; implicit-def: $vgpr48
                                        ; implicit-def: $vgpr54
                                        ; implicit-def: $vgpr52
                                        ; implicit-def: $vgpr49
                                        ; implicit-def: $vgpr47
	s_cbranch_execz .LBB44_114
.LBB44_37:
	v_dual_mov_b32 v6, 0 :: v_dual_mov_b32 v5, 0
	s_mov_b32 s1, exec_lo
	v_cmpx_gt_u32_e64 s27, v46
	s_cbranch_execz .LBB44_41
; %bb.38:
	v_add_nc_u32_e32 v5, s17, v23
	v_add_nc_u32_e32 v6, s19, v23
	s_mov_b32 s4, 0
	s_mov_b32 s3, exec_lo
	s_delay_alu instid0(VALU_DEP_2) | instskip(NEXT) | instid1(VALU_DEP_2)
	v_mul_lo_u32 v5, v5, s16
	v_mul_lo_u32 v6, v6, s18
	s_delay_alu instid0(VALU_DEP_1) | instskip(NEXT) | instid1(VALU_DEP_1)
	v_sub_nc_u32_e32 v5, v5, v6
	v_cmp_lt_u32_e32 vcc_lo, s20, v5
	v_cmpx_ge_u32_e64 s20, v5
	s_cbranch_execz .LBB44_40
; %bb.39:
	v_add_nc_u32_e32 v5, s22, v23
	v_add_nc_u32_e32 v6, s38, v23
	s_delay_alu instid0(VALU_DEP_2) | instskip(NEXT) | instid1(VALU_DEP_2)
	v_mul_lo_u32 v5, v5, s21
	v_mul_lo_u32 v6, v6, s23
	s_delay_alu instid0(VALU_DEP_1) | instskip(NEXT) | instid1(VALU_DEP_1)
	v_sub_nc_u32_e32 v5, v5, v6
	v_cmp_lt_u32_e64 s0, s39, v5
	s_and_b32 s4, s0, exec_lo
.LBB44_40:
	s_wait_alu 0xfffe
	s_or_b32 exec_lo, exec_lo, s3
	v_cndmask_b32_e64 v6, 0, 1, s4
	s_wait_alu 0xfffd
	v_cndmask_b32_e64 v5, 0, 1, vcc_lo
.LBB44_41:
	s_wait_alu 0xfffe
	s_or_b32 exec_lo, exec_lo, s1
	v_lshlrev_b16 v6, 8, v6
	v_add_nc_u32_e32 v7, 1, v46
	v_and_b32_e32 v10, 0xff, v5
	v_lshlrev_b16 v5, 8, 0
                                        ; implicit-def: $vgpr9
                                        ; implicit-def: $vgpr12
                                        ; implicit-def: $vgpr8
	s_delay_alu instid0(VALU_DEP_4) | instskip(NEXT) | instid1(VALU_DEP_4)
	v_and_b32_e32 v6, 0xffff, v6
	v_cmp_le_u32_e32 vcc_lo, s27, v7
                                        ; implicit-def: $vgpr7
	s_delay_alu instid0(VALU_DEP_2)
	v_lshrrev_b32_e32 v25, 8, v6
	v_and_b32_e32 v11, 0xff, v6
                                        ; implicit-def: $vgpr6
	s_and_saveexec_b32 s0, vcc_lo
	s_wait_alu 0xfffe
	s_xor_b32 s0, exec_lo, s0
	s_cbranch_execz .LBB44_43
; %bb.42:
	v_lshlrev_b16 v6, 8, v25
	v_and_b32_e32 v8, 0xffff, v5
                                        ; implicit-def: $vgpr25
	v_mov_b32_e32 v9, 0
	s_delay_alu instid0(VALU_DEP_3) | instskip(SKIP_1) | instid1(VALU_DEP_2)
	v_or_b32_e32 v7, v11, v6
	v_mov_b32_e32 v6, 0
                                        ; implicit-def: $vgpr11
	v_and_b32_e32 v12, 0xffff, v7
	v_and_b32_e32 v7, 0xffff, v5
                                        ; implicit-def: $vgpr5
.LBB44_43:
	s_wait_alu 0xfffe
	s_and_not1_saveexec_b32 s1, s0
	s_cbranch_execz .LBB44_47
; %bb.44:
	v_add_nc_u32_e32 v6, s17, v24
	v_add_nc_u32_e32 v7, s19, v24
	s_mov_b32 s3, 0
	s_mov_b32 s4, exec_lo
	s_delay_alu instid0(VALU_DEP_2) | instskip(NEXT) | instid1(VALU_DEP_2)
	v_mul_lo_u32 v6, v6, s16
	v_mul_lo_u32 v7, v7, s18
	s_delay_alu instid0(VALU_DEP_1) | instskip(NEXT) | instid1(VALU_DEP_1)
	v_sub_nc_u32_e32 v6, v6, v7
	v_cmp_lt_u32_e32 vcc_lo, s20, v6
	v_cmpx_ge_u32_e64 s20, v6
	s_cbranch_execz .LBB44_46
; %bb.45:
	v_add_nc_u32_e32 v6, s22, v24
	v_add_nc_u32_e32 v7, s38, v24
	s_delay_alu instid0(VALU_DEP_2) | instskip(NEXT) | instid1(VALU_DEP_2)
	v_mul_lo_u32 v6, v6, s21
	v_mul_lo_u32 v7, v7, s23
	s_delay_alu instid0(VALU_DEP_1) | instskip(NEXT) | instid1(VALU_DEP_1)
	v_sub_nc_u32_e32 v6, v6, v7
	v_cmp_lt_u32_e64 s0, s39, v6
	s_and_b32 s3, s0, exec_lo
.LBB44_46:
	s_wait_alu 0xfffe
	s_or_b32 exec_lo, exec_lo, s4
	s_wait_alu 0xfffd
	v_cndmask_b32_e64 v6, 0, 1, vcc_lo
	v_lshlrev_b16 v7, 8, v25
	v_dual_mov_b32 v9, 0 :: v_dual_and_b32 v8, 0xffff, v5
	s_delay_alu instid0(VALU_DEP_3) | instskip(NEXT) | instid1(VALU_DEP_3)
	v_lshlrev_b16 v6, 8, v6
	v_or_b32_e32 v7, v11, v7
	v_cndmask_b32_e64 v11, 0, 1, s3
	s_delay_alu instid0(VALU_DEP_3) | instskip(NEXT) | instid1(VALU_DEP_3)
	v_or_b32_e32 v10, v10, v6
	v_dual_mov_b32 v6, 0 :: v_dual_and_b32 v7, 0xffff, v7
	s_delay_alu instid0(VALU_DEP_2) | instskip(NEXT) | instid1(VALU_DEP_2)
	v_and_b32_e32 v10, 0xffff, v10
	v_lshl_or_b32 v12, v11, 16, v7
	v_and_b32_e32 v7, 0xffff, v5
.LBB44_47:
	s_wait_alu 0xfffe
	s_or_b32 exec_lo, exec_lo, s1
	v_add_nc_u32_e32 v5, 2, v46
	v_and_b32_e32 v25, 0xff, v10
	v_lshrrev_b32_e32 v26, 8, v10
                                        ; implicit-def: $vgpr11
	s_delay_alu instid0(VALU_DEP_3)
	v_cmp_le_u32_e32 vcc_lo, s27, v5
                                        ; implicit-def: $vgpr5
	s_and_saveexec_b32 s0, vcc_lo
	s_wait_alu 0xfffe
	s_xor_b32 s0, exec_lo, s0
	s_cbranch_execz .LBB44_49
; %bb.48:
	v_lshlrev_b16 v5, 8, v26
	v_perm_b32 v8, v8, v8, 0x3060504
                                        ; implicit-def: $vgpr26
	s_delay_alu instid0(VALU_DEP_2) | instskip(SKIP_1) | instid1(VALU_DEP_2)
	v_or_b32_e32 v5, v25, v5
	v_and_b32_e32 v25, 0xff0000, v12
	v_and_b32_e32 v5, 0xffff, v5
	s_delay_alu instid0(VALU_DEP_1) | instskip(NEXT) | instid1(VALU_DEP_3)
	v_and_or_b32 v11, 0xff000000, v10, v5
	v_perm_b32 v5, v12, v25, 0x3020504
                                        ; implicit-def: $vgpr25
                                        ; implicit-def: $vgpr10
                                        ; implicit-def: $vgpr12
.LBB44_49:
	s_wait_alu 0xfffe
	s_and_not1_saveexec_b32 s1, s0
	s_cbranch_execz .LBB44_53
; %bb.50:
	v_add_nc_u32_e32 v5, s17, v21
	v_add_nc_u32_e32 v11, s19, v21
	s_mov_b32 s3, 0
	s_mov_b32 s4, exec_lo
	s_delay_alu instid0(VALU_DEP_2) | instskip(NEXT) | instid1(VALU_DEP_2)
	v_mul_lo_u32 v5, v5, s16
	v_mul_lo_u32 v11, v11, s18
	s_delay_alu instid0(VALU_DEP_1) | instskip(NEXT) | instid1(VALU_DEP_1)
	v_sub_nc_u32_e32 v5, v5, v11
	v_cmp_lt_u32_e32 vcc_lo, s20, v5
	v_cmpx_ge_u32_e64 s20, v5
	s_cbranch_execz .LBB44_52
; %bb.51:
	v_add_nc_u32_e32 v5, s22, v21
	v_add_nc_u32_e32 v11, s38, v21
	s_delay_alu instid0(VALU_DEP_2) | instskip(NEXT) | instid1(VALU_DEP_2)
	v_mul_lo_u32 v5, v5, s21
	v_mul_lo_u32 v11, v11, s23
	s_delay_alu instid0(VALU_DEP_1) | instskip(NEXT) | instid1(VALU_DEP_1)
	v_sub_nc_u32_e32 v5, v5, v11
	v_cmp_lt_u32_e64 s0, s39, v5
	s_and_b32 s3, s0, exec_lo
.LBB44_52:
	s_wait_alu 0xfffe
	s_or_b32 exec_lo, exec_lo, s4
	v_lshrrev_b32_e32 v10, 24, v10
	v_cndmask_b32_e64 v11, 0, 1, s3
	v_lshrrev_b32_e32 v27, 8, v12
	v_lshrrev_b32_e32 v28, 16, v12
	s_wait_alu 0xfffd
	v_cndmask_b32_e64 v5, 0, 1, vcc_lo
	v_lshlrev_b16 v26, 8, v26
	v_lshlrev_b16 v10, 8, v10
	v_and_b32_e32 v12, 0xff, v12
	v_lshlrev_b16 v27, 8, v27
	v_lshlrev_b16 v11, 8, v11
	v_and_b32_e32 v28, 0xff, v28
	v_or_b32_e32 v25, v25, v26
	v_or_b32_e32 v5, v5, v10
	;; [unrolled: 1-line block ×3, first 2 shown]
	s_delay_alu instid0(VALU_DEP_4) | instskip(NEXT) | instid1(VALU_DEP_4)
	v_or_b32_e32 v11, v28, v11
	v_and_b32_e32 v12, 0xffff, v25
	s_delay_alu instid0(VALU_DEP_4) | instskip(NEXT) | instid1(VALU_DEP_4)
	v_lshlrev_b32_e32 v5, 16, v5
	v_and_b32_e32 v10, 0xffff, v10
	s_delay_alu instid0(VALU_DEP_4) | instskip(NEXT) | instid1(VALU_DEP_3)
	v_lshlrev_b32_e32 v25, 16, v11
	v_or_b32_e32 v11, v12, v5
	s_delay_alu instid0(VALU_DEP_2)
	v_or_b32_e32 v5, v10, v25
.LBB44_53:
	s_wait_alu 0xfffe
	s_or_b32 exec_lo, exec_lo, s1
	v_add_nc_u32_e32 v10, 3, v46
	v_lshrrev_b32_e32 v12, 24, v9
	v_lshrrev_b32_e32 v25, 16, v9
	;; [unrolled: 1-line block ×3, first 2 shown]
                                        ; implicit-def: $vgpr47
	s_delay_alu instid0(VALU_DEP_4)
	v_cmp_le_u32_e32 vcc_lo, s27, v10
                                        ; implicit-def: $vgpr10
	s_and_saveexec_b32 s0, vcc_lo
	s_wait_alu 0xfffe
	s_xor_b32 s0, exec_lo, s0
	s_cbranch_execz .LBB44_55
; %bb.54:
	v_lshlrev_b16 v10, 8, v12
	v_and_b32_e32 v12, 0xff, v25
	v_lshlrev_b16 v9, 8, v9
	v_perm_b32 v8, v8, v8, 0x3060504
	v_perm_b32 v7, v7, v7, 0x3060504
                                        ; implicit-def: $vgpr25
	s_delay_alu instid0(VALU_DEP_4) | instskip(SKIP_2) | instid1(VALU_DEP_3)
	v_or_b32_e32 v10, v12, v10
	v_and_b32_e32 v12, 0xff0000, v11
	v_and_b32_e32 v9, 0xffff, v9
	v_lshlrev_b32_e32 v10, 16, v10
	s_delay_alu instid0(VALU_DEP_3) | instskip(NEXT) | instid1(VALU_DEP_2)
	v_perm_b32 v47, v11, v12, 0x3020504
                                        ; implicit-def: $vgpr11
                                        ; implicit-def: $vgpr12
	v_or_b32_e32 v10, v9, v10
                                        ; implicit-def: $vgpr9
.LBB44_55:
	s_wait_alu 0xfffe
	s_and_not1_saveexec_b32 s1, s0
	s_cbranch_execz .LBB44_59
; %bb.56:
	v_add_nc_u32_e32 v10, s17, v22
	v_add_nc_u32_e32 v26, s19, v22
	s_mov_b32 s3, 0
	s_mov_b32 s4, exec_lo
	s_delay_alu instid0(VALU_DEP_2) | instskip(NEXT) | instid1(VALU_DEP_2)
	v_mul_lo_u32 v10, v10, s16
	v_mul_lo_u32 v26, v26, s18
	s_delay_alu instid0(VALU_DEP_1) | instskip(NEXT) | instid1(VALU_DEP_1)
	v_sub_nc_u32_e32 v10, v10, v26
	v_cmp_lt_u32_e32 vcc_lo, s20, v10
	v_cmpx_ge_u32_e64 s20, v10
	s_cbranch_execz .LBB44_58
; %bb.57:
	v_add_nc_u32_e32 v10, s22, v22
	v_add_nc_u32_e32 v26, s38, v22
	s_delay_alu instid0(VALU_DEP_2) | instskip(NEXT) | instid1(VALU_DEP_2)
	v_mul_lo_u32 v10, v10, s21
	v_mul_lo_u32 v26, v26, s23
	s_delay_alu instid0(VALU_DEP_1) | instskip(NEXT) | instid1(VALU_DEP_1)
	v_sub_nc_u32_e32 v10, v10, v26
	v_cmp_lt_u32_e64 s0, s39, v10
	s_and_b32 s3, s0, exec_lo
.LBB44_58:
	s_wait_alu 0xfffe
	s_or_b32 exec_lo, exec_lo, s4
	v_lshrrev_b32_e32 v10, 8, v11
	s_wait_alu 0xfffd
	v_cndmask_b32_e64 v26, 0, 1, vcc_lo
	v_lshrrev_b32_e32 v27, 16, v11
	v_cndmask_b32_e64 v28, 0, 1, s3
	v_and_b32_e32 v11, 0xff, v11
	v_lshlrev_b16 v10, 8, v10
	v_lshlrev_b16 v26, 8, v26
	v_and_b32_e32 v27, 0xff, v27
	v_lshlrev_b16 v12, 8, v12
	v_and_b32_e32 v25, 0xff, v25
	v_lshlrev_b16 v9, 8, v9
	v_or_b32_e32 v10, v11, v10
	v_or_b32_e32 v11, v27, v26
	s_delay_alu instid0(VALU_DEP_4) | instskip(NEXT) | instid1(VALU_DEP_4)
	v_or_b32_e32 v12, v25, v12
	v_or_b32_e32 v9, v28, v9
	s_delay_alu instid0(VALU_DEP_4) | instskip(NEXT) | instid1(VALU_DEP_4)
	v_and_b32_e32 v10, 0xffff, v10
	v_lshlrev_b32_e32 v11, 16, v11
	s_delay_alu instid0(VALU_DEP_4) | instskip(NEXT) | instid1(VALU_DEP_4)
	v_lshlrev_b32_e32 v12, 16, v12
	v_and_b32_e32 v9, 0xffff, v9
	s_delay_alu instid0(VALU_DEP_3) | instskip(NEXT) | instid1(VALU_DEP_2)
	v_or_b32_e32 v47, v10, v11
	v_or_b32_e32 v10, v9, v12
.LBB44_59:
	s_wait_alu 0xfffe
	s_or_b32 exec_lo, exec_lo, s1
	v_add_nc_u32_e32 v9, 4, v46
	v_lshrrev_b32_e32 v25, 8, v8
	v_lshrrev_b32_e32 v26, 16, v8
	;; [unrolled: 1-line block ×4, first 2 shown]
	v_cmp_le_u32_e32 vcc_lo, s27, v9
	v_lshrrev_b32_e32 v12, 16, v10
                                        ; implicit-def: $vgpr8
                                        ; implicit-def: $vgpr9
	s_and_saveexec_b32 s0, vcc_lo
	s_wait_alu 0xfffe
	s_xor_b32 s0, exec_lo, s0
	s_cbranch_execz .LBB44_61
; %bb.60:
	v_lshlrev_b16 v8, 8, v27
	v_and_b32_e32 v9, 0xff, v26
	v_lshlrev_b16 v25, 8, v25
	v_lshlrev_b16 v11, 8, v11
	v_and_b32_e32 v12, 0xff, v12
	v_perm_b32 v7, v7, v7, 0x3060504
	v_or_b32_e32 v8, v9, v8
	v_and_b32_e32 v9, 0xffff, v25
                                        ; implicit-def: $vgpr25
                                        ; implicit-def: $vgpr26
                                        ; implicit-def: $vgpr27
	s_delay_alu instid0(VALU_DEP_4) | instskip(NEXT) | instid1(VALU_DEP_3)
	v_or_b32_e32 v11, v12, v11
	v_lshlrev_b32_e32 v12, 16, v8
	s_delay_alu instid0(VALU_DEP_2) | instskip(NEXT) | instid1(VALU_DEP_2)
	v_perm_b32 v8, v11, v10, 0x5040c00
                                        ; implicit-def: $vgpr10
                                        ; implicit-def: $vgpr11
	v_or_b32_e32 v9, v9, v12
                                        ; implicit-def: $vgpr12
.LBB44_61:
	s_wait_alu 0xfffe
	s_and_not1_saveexec_b32 s1, s0
	s_cbranch_execz .LBB44_65
; %bb.62:
	v_add_nc_u32_e32 v8, s17, v19
	v_add_nc_u32_e32 v9, s19, v19
	s_mov_b32 s3, 0
	s_mov_b32 s4, exec_lo
	s_delay_alu instid0(VALU_DEP_2) | instskip(NEXT) | instid1(VALU_DEP_2)
	v_mul_lo_u32 v8, v8, s16
	v_mul_lo_u32 v9, v9, s18
	s_delay_alu instid0(VALU_DEP_1) | instskip(NEXT) | instid1(VALU_DEP_1)
	v_sub_nc_u32_e32 v8, v8, v9
	v_cmp_lt_u32_e32 vcc_lo, s20, v8
	v_cmpx_ge_u32_e64 s20, v8
	s_cbranch_execz .LBB44_64
; %bb.63:
	v_add_nc_u32_e32 v8, s22, v19
	v_add_nc_u32_e32 v9, s38, v19
	s_delay_alu instid0(VALU_DEP_2) | instskip(NEXT) | instid1(VALU_DEP_2)
	v_mul_lo_u32 v8, v8, s21
	v_mul_lo_u32 v9, v9, s23
	s_delay_alu instid0(VALU_DEP_1) | instskip(NEXT) | instid1(VALU_DEP_1)
	v_sub_nc_u32_e32 v8, v8, v9
	v_cmp_lt_u32_e64 s0, s39, v8
	s_and_b32 s3, s0, exec_lo
.LBB44_64:
	s_wait_alu 0xfffe
	s_or_b32 exec_lo, exec_lo, s4
	v_cndmask_b32_e64 v8, 0, 1, s3
	s_wait_alu 0xfffd
	v_cndmask_b32_e64 v9, 0, 1, vcc_lo
	v_lshlrev_b16 v27, 8, v27
	v_and_b32_e32 v26, 0xff, v26
	v_lshlrev_b16 v25, 8, v25
	v_lshlrev_b16 v8, 8, v8
	v_and_b32_e32 v10, 0xff, v10
	v_lshlrev_b16 v11, 8, v11
	v_and_b32_e32 v12, 0xff, v12
	v_or_b32_e32 v26, v26, v27
	v_or_b32_e32 v9, v9, v25
	;; [unrolled: 1-line block ×3, first 2 shown]
	s_delay_alu instid0(VALU_DEP_4) | instskip(NEXT) | instid1(VALU_DEP_4)
	v_or_b32_e32 v10, v12, v11
	v_lshlrev_b32_e32 v11, 16, v26
	s_delay_alu instid0(VALU_DEP_4) | instskip(NEXT) | instid1(VALU_DEP_4)
	v_and_b32_e32 v9, 0xffff, v9
	v_and_b32_e32 v8, 0xffff, v8
	s_delay_alu instid0(VALU_DEP_4) | instskip(NEXT) | instid1(VALU_DEP_3)
	v_lshlrev_b32_e32 v10, 16, v10
	v_or_b32_e32 v9, v9, v11
	s_delay_alu instid0(VALU_DEP_2)
	v_or_b32_e32 v8, v8, v10
.LBB44_65:
	s_wait_alu 0xfffe
	s_or_b32 exec_lo, exec_lo, s1
	v_add_nc_u32_e32 v10, 5, v46
	v_lshrrev_b32_e32 v25, 16, v9
	v_lshrrev_b32_e32 v27, 24, v9
	v_and_b32_e32 v12, 0xff, v8
	v_lshrrev_b32_e32 v26, 8, v8
	v_cmp_le_u32_e32 vcc_lo, s27, v10
                                        ; implicit-def: $vgpr10
                                        ; implicit-def: $vgpr11
	s_and_saveexec_b32 s0, vcc_lo
	s_wait_alu 0xfffe
	s_xor_b32 s0, exec_lo, s0
	s_cbranch_execz .LBB44_67
; %bb.66:
	v_lshlrev_b16 v10, 8, v26
	v_lshlrev_b16 v11, 8, v27
	v_and_b32_e32 v25, 0xff, v25
	v_perm_b32 v7, v7, v7, 0x3060504
                                        ; implicit-def: $vgpr27
                                        ; implicit-def: $vgpr26
	s_delay_alu instid0(VALU_DEP_4) | instskip(NEXT) | instid1(VALU_DEP_3)
	v_or_b32_e32 v10, v12, v10
                                        ; implicit-def: $vgpr12
	v_or_b32_e32 v11, v25, v11
                                        ; implicit-def: $vgpr25
	s_delay_alu instid0(VALU_DEP_2) | instskip(NEXT) | instid1(VALU_DEP_2)
	v_and_b32_e32 v10, 0xffff, v10
	v_perm_b32 v11, v11, v9, 0x5040c00
                                        ; implicit-def: $vgpr9
	s_delay_alu instid0(VALU_DEP_2)
	v_and_or_b32 v10, 0xff000000, v8, v10
                                        ; implicit-def: $vgpr8
.LBB44_67:
	s_wait_alu 0xfffe
	s_and_not1_saveexec_b32 s1, s0
	s_cbranch_execz .LBB44_71
; %bb.68:
	v_add_nc_u32_e32 v10, s17, v20
	v_add_nc_u32_e32 v11, s19, v20
	s_mov_b32 s3, 0
	s_mov_b32 s4, exec_lo
	s_delay_alu instid0(VALU_DEP_2) | instskip(NEXT) | instid1(VALU_DEP_2)
	v_mul_lo_u32 v10, v10, s16
	v_mul_lo_u32 v11, v11, s18
	s_delay_alu instid0(VALU_DEP_1) | instskip(NEXT) | instid1(VALU_DEP_1)
	v_sub_nc_u32_e32 v10, v10, v11
	v_cmp_lt_u32_e32 vcc_lo, s20, v10
	v_cmpx_ge_u32_e64 s20, v10
	s_cbranch_execz .LBB44_70
; %bb.69:
	v_add_nc_u32_e32 v10, s22, v20
	v_add_nc_u32_e32 v11, s38, v20
	s_delay_alu instid0(VALU_DEP_2) | instskip(NEXT) | instid1(VALU_DEP_2)
	v_mul_lo_u32 v10, v10, s21
	v_mul_lo_u32 v11, v11, s23
	s_delay_alu instid0(VALU_DEP_1) | instskip(NEXT) | instid1(VALU_DEP_1)
	v_sub_nc_u32_e32 v10, v10, v11
	v_cmp_lt_u32_e64 s0, s39, v10
	s_and_b32 s3, s0, exec_lo
.LBB44_70:
	s_wait_alu 0xfffe
	s_or_b32 exec_lo, exec_lo, s4
	s_wait_alu 0xfffd
	v_cndmask_b32_e64 v10, 0, 1, vcc_lo
	v_lshrrev_b32_e32 v8, 24, v8
	v_cndmask_b32_e64 v11, 0, 1, s3
	v_lshlrev_b16 v27, 8, v27
	v_and_b32_e32 v25, 0xff, v25
	v_lshlrev_b16 v10, 8, v10
	v_lshlrev_b16 v26, 8, v26
	v_and_b32_e32 v9, 0xff, v9
	v_lshlrev_b16 v8, 8, v8
	v_or_b32_e32 v25, v25, v27
	s_delay_alu instid0(VALU_DEP_4) | instskip(NEXT) | instid1(VALU_DEP_4)
	v_or_b32_e32 v12, v12, v26
	v_or_b32_e32 v9, v9, v10
	s_delay_alu instid0(VALU_DEP_4) | instskip(NEXT) | instid1(VALU_DEP_4)
	v_or_b32_e32 v8, v11, v8
	v_lshlrev_b32_e32 v10, 16, v25
	s_delay_alu instid0(VALU_DEP_4) | instskip(NEXT) | instid1(VALU_DEP_4)
	v_and_b32_e32 v12, 0xffff, v12
	v_and_b32_e32 v9, 0xffff, v9
	s_delay_alu instid0(VALU_DEP_4) | instskip(NEXT) | instid1(VALU_DEP_2)
	v_lshlrev_b32_e32 v8, 16, v8
	v_or_b32_e32 v11, v9, v10
	s_delay_alu instid0(VALU_DEP_2)
	v_or_b32_e32 v10, v12, v8
.LBB44_71:
	s_wait_alu 0xfffe
	s_or_b32 exec_lo, exec_lo, s1
	v_add_nc_u32_e32 v8, 6, v46
	v_lshrrev_b32_e32 v12, 8, v11
                                        ; implicit-def: $vgpr48
                                        ; implicit-def: $vgpr9
	s_delay_alu instid0(VALU_DEP_2)
	v_cmp_le_u32_e32 vcc_lo, s27, v8
	v_and_b32_e32 v8, 0xff, v11
	s_and_saveexec_b32 s0, vcc_lo
	s_wait_alu 0xfffe
	s_xor_b32 s0, exec_lo, s0
	s_cbranch_execz .LBB44_73
; %bb.72:
	v_lshlrev_b16 v9, 8, v12
	v_perm_b32 v7, v7, v7, 0x3060504
                                        ; implicit-def: $vgpr12
	s_delay_alu instid0(VALU_DEP_2) | instskip(SKIP_1) | instid1(VALU_DEP_2)
	v_or_b32_e32 v8, v8, v9
	v_and_b32_e32 v9, 0xff0000, v10
	v_and_b32_e32 v8, 0xffff, v8
	s_delay_alu instid0(VALU_DEP_2) | instskip(NEXT) | instid1(VALU_DEP_2)
	v_perm_b32 v48, v10, v9, 0x3020504
                                        ; implicit-def: $vgpr10
	v_and_or_b32 v9, 0xff000000, v11, v8
                                        ; implicit-def: $vgpr8
                                        ; implicit-def: $vgpr11
.LBB44_73:
	s_wait_alu 0xfffe
	s_and_not1_saveexec_b32 s1, s0
	s_cbranch_execz .LBB44_77
; %bb.74:
	v_add_nc_u32_e32 v9, s17, v17
	v_add_nc_u32_e32 v25, s19, v17
	s_mov_b32 s3, 0
	s_mov_b32 s4, exec_lo
	s_delay_alu instid0(VALU_DEP_2) | instskip(NEXT) | instid1(VALU_DEP_2)
	v_mul_lo_u32 v9, v9, s16
	v_mul_lo_u32 v25, v25, s18
	s_delay_alu instid0(VALU_DEP_1) | instskip(NEXT) | instid1(VALU_DEP_1)
	v_sub_nc_u32_e32 v9, v9, v25
	v_cmp_lt_u32_e32 vcc_lo, s20, v9
	v_cmpx_ge_u32_e64 s20, v9
	s_cbranch_execz .LBB44_76
; %bb.75:
	v_add_nc_u32_e32 v9, s22, v17
	v_add_nc_u32_e32 v25, s38, v17
	s_delay_alu instid0(VALU_DEP_2) | instskip(NEXT) | instid1(VALU_DEP_2)
	v_mul_lo_u32 v9, v9, s21
	v_mul_lo_u32 v25, v25, s23
	s_delay_alu instid0(VALU_DEP_1) | instskip(NEXT) | instid1(VALU_DEP_1)
	v_sub_nc_u32_e32 v9, v9, v25
	v_cmp_lt_u32_e64 s0, s39, v9
	s_and_b32 s3, s0, exec_lo
.LBB44_76:
	s_wait_alu 0xfffe
	s_or_b32 exec_lo, exec_lo, s4
	v_lshrrev_b32_e32 v11, 24, v11
	v_cndmask_b32_e64 v25, 0, 1, s3
	v_lshrrev_b32_e32 v26, 8, v10
	v_lshrrev_b32_e32 v27, 16, v10
	s_wait_alu 0xfffd
	v_cndmask_b32_e64 v9, 0, 1, vcc_lo
	v_lshlrev_b16 v12, 8, v12
	v_lshlrev_b16 v11, 8, v11
	v_and_b32_e32 v10, 0xff, v10
	v_lshlrev_b16 v26, 8, v26
	v_lshlrev_b16 v25, 8, v25
	v_and_b32_e32 v27, 0xff, v27
	v_or_b32_e32 v8, v8, v12
	v_or_b32_e32 v9, v9, v11
	;; [unrolled: 1-line block ×3, first 2 shown]
	s_delay_alu instid0(VALU_DEP_4) | instskip(NEXT) | instid1(VALU_DEP_4)
	v_or_b32_e32 v11, v27, v25
	v_and_b32_e32 v8, 0xffff, v8
	s_delay_alu instid0(VALU_DEP_4) | instskip(NEXT) | instid1(VALU_DEP_4)
	v_lshlrev_b32_e32 v9, 16, v9
	v_and_b32_e32 v10, 0xffff, v10
	s_delay_alu instid0(VALU_DEP_4) | instskip(NEXT) | instid1(VALU_DEP_3)
	v_lshlrev_b32_e32 v11, 16, v11
	v_or_b32_e32 v9, v8, v9
	s_delay_alu instid0(VALU_DEP_2)
	v_or_b32_e32 v48, v10, v11
.LBB44_77:
	s_wait_alu 0xfffe
	s_or_b32 exec_lo, exec_lo, s1
	v_add_nc_u32_e32 v8, 7, v46
	v_lshrrev_b32_e32 v10, 8, v7
	v_lshrrev_b32_e32 v11, 16, v7
	;; [unrolled: 1-line block ×3, first 2 shown]
                                        ; implicit-def: $vgpr49
	s_delay_alu instid0(VALU_DEP_4)
	v_cmp_le_u32_e32 vcc_lo, s27, v8
                                        ; implicit-def: $vgpr8
	s_and_saveexec_b32 s0, vcc_lo
	s_wait_alu 0xfffe
	s_xor_b32 s0, exec_lo, s0
	s_cbranch_execz .LBB44_79
; %bb.78:
	v_lshlrev_b16 v7, 8, v7
	v_and_b32_e32 v8, 0xff, v11
                                        ; implicit-def: $vgpr11
	s_delay_alu instid0(VALU_DEP_1) | instskip(SKIP_2) | instid1(VALU_DEP_3)
	v_or_b32_e32 v7, v8, v7
	v_lshlrev_b16 v8, 8, v10
	v_and_b32_e32 v10, 0xff0000, v9
	v_lshlrev_b32_e32 v7, 16, v7
	s_delay_alu instid0(VALU_DEP_3) | instskip(NEXT) | instid1(VALU_DEP_3)
	v_and_b32_e32 v8, 0xffff, v8
	v_perm_b32 v49, v9, v10, 0x3020504
                                        ; implicit-def: $vgpr9
                                        ; implicit-def: $vgpr10
	s_delay_alu instid0(VALU_DEP_2)
	v_or_b32_e32 v8, v8, v7
                                        ; implicit-def: $vgpr7
.LBB44_79:
	s_wait_alu 0xfffe
	s_and_not1_saveexec_b32 s1, s0
	s_cbranch_execz .LBB44_83
; %bb.80:
	v_add_nc_u32_e32 v8, s17, v18
	v_add_nc_u32_e32 v12, s19, v18
	s_mov_b32 s3, 0
	s_mov_b32 s4, exec_lo
	s_delay_alu instid0(VALU_DEP_2) | instskip(NEXT) | instid1(VALU_DEP_2)
	v_mul_lo_u32 v8, v8, s16
	v_mul_lo_u32 v12, v12, s18
	s_delay_alu instid0(VALU_DEP_1) | instskip(NEXT) | instid1(VALU_DEP_1)
	v_sub_nc_u32_e32 v8, v8, v12
	v_cmp_lt_u32_e32 vcc_lo, s20, v8
	v_cmpx_ge_u32_e64 s20, v8
	s_cbranch_execz .LBB44_82
; %bb.81:
	v_add_nc_u32_e32 v8, s22, v18
	v_add_nc_u32_e32 v12, s38, v18
	s_delay_alu instid0(VALU_DEP_2) | instskip(NEXT) | instid1(VALU_DEP_2)
	v_mul_lo_u32 v8, v8, s21
	v_mul_lo_u32 v12, v12, s23
	s_delay_alu instid0(VALU_DEP_1) | instskip(NEXT) | instid1(VALU_DEP_1)
	v_sub_nc_u32_e32 v8, v8, v12
	v_cmp_lt_u32_e64 s0, s39, v8
	s_and_b32 s3, s0, exec_lo
.LBB44_82:
	s_wait_alu 0xfffe
	s_or_b32 exec_lo, exec_lo, s4
	v_lshrrev_b32_e32 v8, 8, v9
	s_wait_alu 0xfffd
	v_cndmask_b32_e64 v12, 0, 1, vcc_lo
	v_lshrrev_b32_e32 v25, 16, v9
	v_cndmask_b32_e64 v26, 0, 1, s3
	v_and_b32_e32 v9, 0xff, v9
	v_lshlrev_b16 v8, 8, v8
	v_lshlrev_b16 v12, 8, v12
	v_and_b32_e32 v25, 0xff, v25
	v_lshlrev_b16 v7, 8, v7
	v_and_b32_e32 v11, 0xff, v11
	v_lshlrev_b16 v10, 8, v10
	v_or_b32_e32 v8, v9, v8
	v_or_b32_e32 v9, v25, v12
	s_delay_alu instid0(VALU_DEP_4) | instskip(NEXT) | instid1(VALU_DEP_4)
	v_or_b32_e32 v7, v11, v7
	v_or_b32_e32 v10, v26, v10
	s_delay_alu instid0(VALU_DEP_4) | instskip(NEXT) | instid1(VALU_DEP_4)
	v_and_b32_e32 v8, 0xffff, v8
	v_lshlrev_b32_e32 v9, 16, v9
	s_delay_alu instid0(VALU_DEP_4) | instskip(NEXT) | instid1(VALU_DEP_4)
	v_lshlrev_b32_e32 v7, 16, v7
	v_and_b32_e32 v10, 0xffff, v10
	s_delay_alu instid0(VALU_DEP_3) | instskip(NEXT) | instid1(VALU_DEP_2)
	v_or_b32_e32 v49, v8, v9
	v_or_b32_e32 v8, v10, v7
.LBB44_83:
	s_wait_alu 0xfffe
	s_or_b32 exec_lo, exec_lo, s1
	v_add_nc_u32_e32 v7, 8, v46
	s_delay_alu instid0(VALU_DEP_2)
	v_lshrrev_b32_e32 v9, 16, v8
	v_lshrrev_b32_e32 v10, 24, v8
	;; [unrolled: 1-line block ×4, first 2 shown]
	v_cmp_le_u32_e32 vcc_lo, s27, v7
	v_lshrrev_b32_e32 v11, 8, v6
                                        ; implicit-def: $vgpr6
                                        ; implicit-def: $vgpr7
	s_and_saveexec_b32 s0, vcc_lo
	s_wait_alu 0xfffe
	s_xor_b32 s0, exec_lo, s0
	s_cbranch_execz .LBB44_85
; %bb.84:
	v_lshlrev_b16 v6, 8, v12
	v_and_b32_e32 v7, 0xff, v25
	v_lshlrev_b16 v11, 8, v11
	v_lshlrev_b16 v10, 8, v10
	v_perm_b32 v5, v5, v5, 0x3060504
                                        ; implicit-def: $vgpr12
                                        ; implicit-def: $vgpr25
	s_delay_alu instid0(VALU_DEP_4) | instskip(SKIP_2) | instid1(VALU_DEP_3)
	v_or_b32_e32 v6, v7, v6
	v_and_b32_e32 v7, 0xff, v9
	v_and_b32_e32 v9, 0xffff, v11
                                        ; implicit-def: $vgpr11
	v_lshlrev_b32_e32 v6, 16, v6
	s_delay_alu instid0(VALU_DEP_3) | instskip(NEXT) | instid1(VALU_DEP_2)
	v_or_b32_e32 v10, v7, v10
	v_or_b32_e32 v7, v9, v6
	s_delay_alu instid0(VALU_DEP_2)
	v_perm_b32 v6, v10, v8, 0x5040c00
                                        ; implicit-def: $vgpr8
                                        ; implicit-def: $vgpr9
                                        ; implicit-def: $vgpr10
.LBB44_85:
	s_wait_alu 0xfffe
	s_and_not1_saveexec_b32 s1, s0
	s_cbranch_execz .LBB44_89
; %bb.86:
	v_add_nc_u32_e32 v6, s17, v15
	v_add_nc_u32_e32 v7, s19, v15
	s_mov_b32 s3, 0
	s_mov_b32 s4, exec_lo
	s_delay_alu instid0(VALU_DEP_2) | instskip(NEXT) | instid1(VALU_DEP_2)
	v_mul_lo_u32 v6, v6, s16
	v_mul_lo_u32 v7, v7, s18
	s_delay_alu instid0(VALU_DEP_1) | instskip(NEXT) | instid1(VALU_DEP_1)
	v_sub_nc_u32_e32 v6, v6, v7
	v_cmp_lt_u32_e32 vcc_lo, s20, v6
	v_cmpx_ge_u32_e64 s20, v6
	s_cbranch_execz .LBB44_88
; %bb.87:
	v_add_nc_u32_e32 v6, s22, v15
	v_add_nc_u32_e32 v7, s38, v15
	s_delay_alu instid0(VALU_DEP_2) | instskip(NEXT) | instid1(VALU_DEP_2)
	v_mul_lo_u32 v6, v6, s21
	v_mul_lo_u32 v7, v7, s23
	s_delay_alu instid0(VALU_DEP_1) | instskip(NEXT) | instid1(VALU_DEP_1)
	v_sub_nc_u32_e32 v6, v6, v7
	v_cmp_lt_u32_e64 s0, s39, v6
	s_and_b32 s3, s0, exec_lo
.LBB44_88:
	s_wait_alu 0xfffe
	s_or_b32 exec_lo, exec_lo, s4
	v_cndmask_b32_e64 v6, 0, 1, s3
	s_wait_alu 0xfffd
	v_cndmask_b32_e64 v7, 0, 1, vcc_lo
	v_lshlrev_b16 v12, 8, v12
	v_and_b32_e32 v25, 0xff, v25
	v_lshlrev_b16 v11, 8, v11
	v_lshlrev_b16 v6, 8, v6
	v_and_b32_e32 v8, 0xff, v8
	v_lshlrev_b16 v10, 8, v10
	v_and_b32_e32 v9, 0xff, v9
	v_or_b32_e32 v12, v25, v12
	v_or_b32_e32 v7, v7, v11
	;; [unrolled: 1-line block ×3, first 2 shown]
	s_delay_alu instid0(VALU_DEP_4) | instskip(NEXT) | instid1(VALU_DEP_4)
	v_or_b32_e32 v8, v9, v10
	v_lshlrev_b32_e32 v9, 16, v12
	s_delay_alu instid0(VALU_DEP_4) | instskip(NEXT) | instid1(VALU_DEP_4)
	v_and_b32_e32 v7, 0xffff, v7
	v_and_b32_e32 v6, 0xffff, v6
	s_delay_alu instid0(VALU_DEP_4) | instskip(NEXT) | instid1(VALU_DEP_3)
	v_lshlrev_b32_e32 v8, 16, v8
	v_or_b32_e32 v7, v7, v9
	s_delay_alu instid0(VALU_DEP_2)
	v_or_b32_e32 v6, v6, v8
.LBB44_89:
	s_wait_alu 0xfffe
	s_or_b32 exec_lo, exec_lo, s1
	v_add_nc_u32_e32 v8, 9, v46
	s_delay_alu instid0(VALU_DEP_2)
	v_lshrrev_b32_e32 v10, 8, v6
	v_lshrrev_b32_e32 v25, 24, v7
	v_lshrrev_b32_e32 v12, 16, v7
	v_and_b32_e32 v11, 0xff, v6
	v_cmp_le_u32_e32 vcc_lo, s27, v8
                                        ; implicit-def: $vgpr8
                                        ; implicit-def: $vgpr9
	s_and_saveexec_b32 s0, vcc_lo
	s_wait_alu 0xfffe
	s_xor_b32 s0, exec_lo, s0
	s_cbranch_execz .LBB44_91
; %bb.90:
	v_lshlrev_b16 v8, 8, v10
	v_lshlrev_b16 v9, 8, v25
	v_and_b32_e32 v10, 0xff, v12
	v_perm_b32 v5, v5, v5, 0x3060504
                                        ; implicit-def: $vgpr25
                                        ; implicit-def: $vgpr12
	s_delay_alu instid0(VALU_DEP_4) | instskip(NEXT) | instid1(VALU_DEP_3)
	v_or_b32_e32 v8, v11, v8
                                        ; implicit-def: $vgpr11
	v_or_b32_e32 v9, v10, v9
                                        ; implicit-def: $vgpr10
	s_delay_alu instid0(VALU_DEP_2) | instskip(NEXT) | instid1(VALU_DEP_2)
	v_and_b32_e32 v8, 0xffff, v8
	v_perm_b32 v9, v9, v7, 0x5040c00
                                        ; implicit-def: $vgpr7
	s_delay_alu instid0(VALU_DEP_2)
	v_and_or_b32 v8, 0xff000000, v6, v8
                                        ; implicit-def: $vgpr6
.LBB44_91:
	s_wait_alu 0xfffe
	s_and_not1_saveexec_b32 s1, s0
	s_cbranch_execz .LBB44_95
; %bb.92:
	v_add_nc_u32_e32 v8, s17, v16
	v_add_nc_u32_e32 v9, s19, v16
	s_mov_b32 s3, 0
	s_mov_b32 s4, exec_lo
	s_delay_alu instid0(VALU_DEP_2) | instskip(NEXT) | instid1(VALU_DEP_2)
	v_mul_lo_u32 v8, v8, s16
	v_mul_lo_u32 v9, v9, s18
	s_delay_alu instid0(VALU_DEP_1) | instskip(NEXT) | instid1(VALU_DEP_1)
	v_sub_nc_u32_e32 v8, v8, v9
	v_cmp_lt_u32_e32 vcc_lo, s20, v8
	v_cmpx_ge_u32_e64 s20, v8
	s_cbranch_execz .LBB44_94
; %bb.93:
	v_add_nc_u32_e32 v8, s22, v16
	v_add_nc_u32_e32 v9, s38, v16
	s_delay_alu instid0(VALU_DEP_2) | instskip(NEXT) | instid1(VALU_DEP_2)
	v_mul_lo_u32 v8, v8, s21
	v_mul_lo_u32 v9, v9, s23
	s_delay_alu instid0(VALU_DEP_1) | instskip(NEXT) | instid1(VALU_DEP_1)
	v_sub_nc_u32_e32 v8, v8, v9
	v_cmp_lt_u32_e64 s0, s39, v8
	s_and_b32 s3, s0, exec_lo
.LBB44_94:
	s_wait_alu 0xfffe
	s_or_b32 exec_lo, exec_lo, s4
	s_wait_alu 0xfffd
	v_cndmask_b32_e64 v8, 0, 1, vcc_lo
	v_lshrrev_b32_e32 v6, 24, v6
	v_cndmask_b32_e64 v9, 0, 1, s3
	v_lshlrev_b16 v25, 8, v25
	v_and_b32_e32 v12, 0xff, v12
	v_lshlrev_b16 v8, 8, v8
	v_lshlrev_b16 v10, 8, v10
	v_and_b32_e32 v7, 0xff, v7
	v_lshlrev_b16 v6, 8, v6
	v_or_b32_e32 v12, v12, v25
	s_delay_alu instid0(VALU_DEP_4) | instskip(NEXT) | instid1(VALU_DEP_4)
	v_or_b32_e32 v10, v11, v10
	v_or_b32_e32 v7, v7, v8
	s_delay_alu instid0(VALU_DEP_4) | instskip(NEXT) | instid1(VALU_DEP_4)
	v_or_b32_e32 v6, v9, v6
	v_lshlrev_b32_e32 v8, 16, v12
	s_delay_alu instid0(VALU_DEP_4) | instskip(NEXT) | instid1(VALU_DEP_4)
	v_and_b32_e32 v10, 0xffff, v10
	v_and_b32_e32 v7, 0xffff, v7
	s_delay_alu instid0(VALU_DEP_4) | instskip(NEXT) | instid1(VALU_DEP_2)
	v_lshlrev_b32_e32 v6, 16, v6
	v_or_b32_e32 v9, v7, v8
	s_delay_alu instid0(VALU_DEP_2)
	v_or_b32_e32 v8, v10, v6
.LBB44_95:
	s_wait_alu 0xfffe
	s_or_b32 exec_lo, exec_lo, s1
	v_add_nc_u32_e32 v6, 10, v46
	v_and_b32_e32 v7, 0xff, v9
	v_lshrrev_b32_e32 v10, 8, v9
                                        ; implicit-def: $vgpr51
	s_delay_alu instid0(VALU_DEP_3)
	v_cmp_le_u32_e32 vcc_lo, s27, v6
                                        ; implicit-def: $vgpr6
	s_and_saveexec_b32 s0, vcc_lo
	s_wait_alu 0xfffe
	s_xor_b32 s0, exec_lo, s0
	s_cbranch_execz .LBB44_97
; %bb.96:
	v_lshlrev_b16 v6, 8, v10
	v_perm_b32 v5, v5, v5, 0x3060504
                                        ; implicit-def: $vgpr10
	s_delay_alu instid0(VALU_DEP_2) | instskip(SKIP_1) | instid1(VALU_DEP_2)
	v_or_b32_e32 v6, v7, v6
	v_and_b32_e32 v7, 0xff0000, v8
	v_and_b32_e32 v6, 0xffff, v6
	s_delay_alu instid0(VALU_DEP_2) | instskip(NEXT) | instid1(VALU_DEP_2)
	v_perm_b32 v51, v8, v7, 0x3020504
                                        ; implicit-def: $vgpr7
                                        ; implicit-def: $vgpr8
	v_and_or_b32 v6, 0xff000000, v9, v6
                                        ; implicit-def: $vgpr9
.LBB44_97:
	s_wait_alu 0xfffe
	s_and_not1_saveexec_b32 s1, s0
	s_cbranch_execz .LBB44_101
; %bb.98:
	v_add_nc_u32_e32 v6, s17, v13
	v_add_nc_u32_e32 v11, s19, v13
	s_mov_b32 s3, 0
	s_mov_b32 s4, exec_lo
	s_delay_alu instid0(VALU_DEP_2) | instskip(NEXT) | instid1(VALU_DEP_2)
	v_mul_lo_u32 v6, v6, s16
	v_mul_lo_u32 v11, v11, s18
	s_delay_alu instid0(VALU_DEP_1) | instskip(NEXT) | instid1(VALU_DEP_1)
	v_sub_nc_u32_e32 v6, v6, v11
	v_cmp_lt_u32_e32 vcc_lo, s20, v6
	v_cmpx_ge_u32_e64 s20, v6
	s_cbranch_execz .LBB44_100
; %bb.99:
	v_add_nc_u32_e32 v6, s22, v13
	v_add_nc_u32_e32 v11, s38, v13
	s_delay_alu instid0(VALU_DEP_2) | instskip(NEXT) | instid1(VALU_DEP_2)
	v_mul_lo_u32 v6, v6, s21
	v_mul_lo_u32 v11, v11, s23
	s_delay_alu instid0(VALU_DEP_1) | instskip(NEXT) | instid1(VALU_DEP_1)
	v_sub_nc_u32_e32 v6, v6, v11
	v_cmp_lt_u32_e64 s0, s39, v6
	s_and_b32 s3, s0, exec_lo
.LBB44_100:
	s_wait_alu 0xfffe
	s_or_b32 exec_lo, exec_lo, s4
	v_lshrrev_b32_e32 v9, 24, v9
	v_cndmask_b32_e64 v11, 0, 1, s3
	v_lshrrev_b32_e32 v12, 8, v8
	v_lshrrev_b32_e32 v25, 16, v8
	s_wait_alu 0xfffd
	v_cndmask_b32_e64 v6, 0, 1, vcc_lo
	v_lshlrev_b16 v10, 8, v10
	v_lshlrev_b16 v9, 8, v9
	v_and_b32_e32 v8, 0xff, v8
	v_lshlrev_b16 v12, 8, v12
	v_lshlrev_b16 v11, 8, v11
	v_and_b32_e32 v25, 0xff, v25
	v_or_b32_e32 v7, v7, v10
	v_or_b32_e32 v6, v6, v9
	;; [unrolled: 1-line block ×3, first 2 shown]
	s_delay_alu instid0(VALU_DEP_4) | instskip(NEXT) | instid1(VALU_DEP_4)
	v_or_b32_e32 v9, v25, v11
	v_and_b32_e32 v7, 0xffff, v7
	s_delay_alu instid0(VALU_DEP_4) | instskip(NEXT) | instid1(VALU_DEP_4)
	v_lshlrev_b32_e32 v6, 16, v6
	v_and_b32_e32 v8, 0xffff, v8
	s_delay_alu instid0(VALU_DEP_4) | instskip(NEXT) | instid1(VALU_DEP_3)
	v_lshlrev_b32_e32 v9, 16, v9
	v_or_b32_e32 v6, v7, v6
	s_delay_alu instid0(VALU_DEP_2)
	v_or_b32_e32 v51, v8, v9
.LBB44_101:
	s_wait_alu 0xfffe
	s_or_b32 exec_lo, exec_lo, s1
	v_dual_mov_b32 v50, 0 :: v_dual_add_nc_u32 v7, 11, v46
	s_mov_b32 s0, exec_lo
                                        ; implicit-def: $vgpr52
	s_delay_alu instid0(VALU_DEP_1)
	v_cmpx_le_u32_e64 s27, v7
	s_wait_alu 0xfffe
	s_xor_b32 s0, exec_lo, s0
; %bb.102:
	v_and_b32_e32 v7, 0xff0000, v6
	v_perm_b32 v5, v5, v5, 0x3060504
	s_delay_alu instid0(VALU_DEP_2)
	v_perm_b32 v52, v6, v7, 0x3020504
                                        ; implicit-def: $vgpr6
; %bb.103:
	s_wait_alu 0xfffe
	s_and_not1_saveexec_b32 s1, s0
	s_cbranch_execz .LBB44_107
; %bb.104:
	v_add_nc_u32_e32 v7, s17, v14
	v_add_nc_u32_e32 v8, s19, v14
	s_mov_b32 s3, 0
	s_mov_b32 s4, exec_lo
	s_delay_alu instid0(VALU_DEP_2) | instskip(NEXT) | instid1(VALU_DEP_2)
	v_mul_lo_u32 v7, v7, s16
	v_mul_lo_u32 v8, v8, s18
	s_delay_alu instid0(VALU_DEP_1) | instskip(NEXT) | instid1(VALU_DEP_1)
	v_sub_nc_u32_e32 v7, v7, v8
	v_cmp_lt_u32_e32 vcc_lo, s20, v7
	v_cmpx_ge_u32_e64 s20, v7
	s_cbranch_execz .LBB44_106
; %bb.105:
	v_add_nc_u32_e32 v7, s22, v14
	v_add_nc_u32_e32 v8, s38, v14
	s_delay_alu instid0(VALU_DEP_2) | instskip(NEXT) | instid1(VALU_DEP_2)
	v_mul_lo_u32 v7, v7, s21
	v_mul_lo_u32 v8, v8, s23
	s_delay_alu instid0(VALU_DEP_1) | instskip(NEXT) | instid1(VALU_DEP_1)
	v_sub_nc_u32_e32 v7, v7, v8
	v_cmp_lt_u32_e64 s0, s39, v7
	s_and_b32 s3, s0, exec_lo
.LBB44_106:
	s_wait_alu 0xfffe
	s_or_b32 exec_lo, exec_lo, s4
	v_lshrrev_b32_e32 v7, 8, v6
	s_wait_alu 0xfffd
	v_cndmask_b32_e64 v8, 0, 1, vcc_lo
	v_lshrrev_b32_e32 v9, 16, v6
	v_and_b32_e32 v6, 0xff, v6
	v_cndmask_b32_e64 v50, 0, 1, s3
	v_lshlrev_b16 v7, 8, v7
	v_lshlrev_b16 v8, 8, v8
	v_and_b32_e32 v9, 0xff, v9
	s_delay_alu instid0(VALU_DEP_3) | instskip(NEXT) | instid1(VALU_DEP_2)
	v_or_b32_e32 v6, v6, v7
	v_or_b32_e32 v7, v9, v8
	s_delay_alu instid0(VALU_DEP_2) | instskip(NEXT) | instid1(VALU_DEP_2)
	v_and_b32_e32 v6, 0xffff, v6
	v_lshlrev_b32_e32 v7, 16, v7
	s_delay_alu instid0(VALU_DEP_1)
	v_or_b32_e32 v52, v6, v7
.LBB44_107:
	s_wait_alu 0xfffe
	s_or_b32 exec_lo, exec_lo, s1
	v_add_nc_u32_e32 v8, 12, v46
	v_lshrrev_b32_e32 v6, 8, v5
	v_lshrrev_b32_e32 v7, 16, v5
	;; [unrolled: 1-line block ×3, first 2 shown]
	s_mov_b32 s0, exec_lo
                                        ; implicit-def: $vgpr54
	v_cmpx_le_u32_e64 s27, v8
	s_wait_alu 0xfffe
	s_xor_b32 s0, exec_lo, s0
	s_cbranch_execz .LBB44_109
; %bb.108:
	v_lshlrev_b16 v5, 8, v5
	v_and_b32_e32 v7, 0xff, v7
	v_lshlrev_b16 v6, 8, v6
	s_delay_alu instid0(VALU_DEP_2) | instskip(NEXT) | instid1(VALU_DEP_2)
	v_or_b32_e32 v5, v7, v5
	v_and_b32_e32 v6, 0xffff, v6
                                        ; implicit-def: $vgpr7
	s_delay_alu instid0(VALU_DEP_2) | instskip(NEXT) | instid1(VALU_DEP_1)
	v_lshlrev_b32_e32 v5, 16, v5
	v_or_b32_e32 v54, v6, v5
                                        ; implicit-def: $vgpr5
                                        ; implicit-def: $vgpr6
.LBB44_109:
	s_wait_alu 0xfffe
	s_or_saveexec_b32 s1, s0
	v_mov_b32_e32 v53, 0
	s_wait_alu 0xfffe
	s_xor_b32 exec_lo, exec_lo, s1
	s_cbranch_execz .LBB44_113
; %bb.110:
	v_add_nc_u32_e32 v8, s17, v45
	v_add_nc_u32_e32 v9, s19, v45
	s_mov_b32 s3, 0
	s_mov_b32 s4, exec_lo
	s_delay_alu instid0(VALU_DEP_2) | instskip(NEXT) | instid1(VALU_DEP_2)
	v_mul_lo_u32 v8, v8, s16
	v_mul_lo_u32 v9, v9, s18
	s_delay_alu instid0(VALU_DEP_1) | instskip(NEXT) | instid1(VALU_DEP_1)
	v_sub_nc_u32_e32 v8, v8, v9
	v_cmp_lt_u32_e32 vcc_lo, s20, v8
	v_cmpx_ge_u32_e64 s20, v8
	s_cbranch_execz .LBB44_112
; %bb.111:
	v_add_nc_u32_e32 v8, s22, v45
	v_add_nc_u32_e32 v9, s38, v45
	s_delay_alu instid0(VALU_DEP_2) | instskip(NEXT) | instid1(VALU_DEP_2)
	v_mul_lo_u32 v8, v8, s21
	v_mul_lo_u32 v9, v9, s23
	s_delay_alu instid0(VALU_DEP_1) | instskip(NEXT) | instid1(VALU_DEP_1)
	v_sub_nc_u32_e32 v8, v8, v9
	v_cmp_lt_u32_e64 s0, s39, v8
	s_and_b32 s3, s0, exec_lo
.LBB44_112:
	s_wait_alu 0xfffe
	s_or_b32 exec_lo, exec_lo, s4
	s_wait_alu 0xfffd
	v_cndmask_b32_e64 v8, 0, 1, vcc_lo
	v_lshlrev_b16 v5, 8, v5
	v_and_b32_e32 v7, 0xff, v7
	v_lshlrev_b16 v6, 8, v6
	v_cndmask_b32_e64 v53, 0, 1, s3
	s_delay_alu instid0(VALU_DEP_3) | instskip(NEXT) | instid1(VALU_DEP_3)
	v_or_b32_e32 v5, v7, v5
	v_or_b32_e32 v6, v8, v6
	s_delay_alu instid0(VALU_DEP_2) | instskip(NEXT) | instid1(VALU_DEP_2)
	v_lshlrev_b32_e32 v5, 16, v5
	v_and_b32_e32 v6, 0xffff, v6
	s_delay_alu instid0(VALU_DEP_1)
	v_or_b32_e32 v54, v6, v5
.LBB44_113:
	s_or_b32 exec_lo, exec_lo, s1
.LBB44_114:
	v_and_b32_e32 v77, 0xff, v47
	s_delay_alu instid0(VALU_DEP_2)
	v_bfe_u32 v78, v54, 8, 8
	v_bfe_u32 v74, v47, 8, 8
	;; [unrolled: 1-line block ×4, first 2 shown]
	v_lshrrev_b32_e32 v60, 24, v54
	v_lshrrev_b32_e32 v59, 24, v47
	v_and_b32_e32 v73, 0xff, v48
	v_and_b32_e32 v71, 0xff, v49
	v_bfe_u32 v72, v48, 8, 8
	v_add3_u32 v5, v74, v77, v76
	v_add3_u32 v6, v75, v78, v60
	v_bfe_u32 v69, v49, 8, 8
	v_bfe_u32 v70, v48, 16, 8
	;; [unrolled: 1-line block ×3, first 2 shown]
	v_lshrrev_b32_e32 v58, 24, v48
	v_add3_u32 v5, v5, v59, v71
	v_add3_u32 v6, v6, v73, v72
	v_lshrrev_b32_e32 v57, 24, v49
	v_and_b32_e32 v68, 0xff, v51
	v_and_b32_e32 v66, 0xff, v52
	v_bfe_u32 v67, v51, 8, 8
	v_add3_u32 v5, v5, v69, v65
	v_add3_u32 v6, v6, v70, v58
	v_bfe_u32 v63, v52, 8, 8
	v_bfe_u32 v64, v51, 16, 8
	;; [unrolled: 1-line block ×3, first 2 shown]
	v_lshrrev_b32_e32 v56, 24, v51
	v_add3_u32 v5, v5, v57, v66
	v_add3_u32 v6, v6, v68, v67
	v_mbcnt_lo_u32_b32 v79, -1, 0
	v_lshrrev_b32_e32 v55, 24, v52
	v_and_b32_e32 v61, 0xff, v50
	v_and_b32_e32 v7, 0xff, v54
	;; [unrolled: 1-line block ×3, first 2 shown]
	v_add3_u32 v5, v5, v63, v62
	v_add3_u32 v6, v6, v64, v56
	v_and_b32_e32 v81, 15, v79
	v_and_b32_e32 v83, 16, v79
	v_lshrrev_b32_e32 v80, 5, v0
	v_add3_u32 v84, v5, v55, v7
	v_add3_u32 v85, v6, v61, v8
	v_cmp_eq_u32_e64 s1, 0, v81
	v_cmp_lt_u32_e64 s0, 1, v81
	v_cmp_lt_u32_e64 s3, 3, v81
	v_or_b32_e32 v82, 31, v0
	s_cmp_lg_u32 s33, 0
	s_mov_b32 s4, -1
	v_cmp_lt_u32_e32 vcc_lo, 7, v81
	s_cbranch_scc0 .LBB44_135
; %bb.115:
	v_mov_b32_dpp v6, v84 row_shr:1 row_mask:0xf bank_mask:0xf
	v_mov_b32_dpp v5, v85 row_shr:1 row_mask:0xf bank_mask:0xf
	s_mov_b32 s4, exec_lo
	s_delay_alu instid0(VALU_DEP_2) | instskip(SKIP_1) | instid1(VALU_DEP_1)
	v_add_nc_u32_e32 v6, v6, v84
	s_wait_alu 0xf1ff
	v_cndmask_b32_e64 v6, v6, v84, s1
	s_delay_alu instid0(VALU_DEP_1) | instskip(NEXT) | instid1(VALU_DEP_1)
	v_mov_b32_dpp v8, v6 row_shr:2 row_mask:0xf bank_mask:0xf
	v_add_nc_u32_e32 v8, v6, v8
	s_delay_alu instid0(VALU_DEP_1) | instskip(NEXT) | instid1(VALU_DEP_1)
	v_cndmask_b32_e64 v6, v6, v8, s0
	v_mov_b32_dpp v8, v6 row_shr:4 row_mask:0xf bank_mask:0xf
	s_delay_alu instid0(VALU_DEP_1) | instskip(NEXT) | instid1(VALU_DEP_1)
	v_add_nc_u32_e32 v8, v6, v8
	v_cndmask_b32_e64 v6, v6, v8, s3
	s_delay_alu instid0(VALU_DEP_1) | instskip(NEXT) | instid1(VALU_DEP_1)
	v_mov_b32_dpp v8, v6 row_shr:8 row_mask:0xf bank_mask:0xf
	v_add_nc_u32_e32 v8, v6, v8
	s_wait_alu 0xfffd
	s_delay_alu instid0(VALU_DEP_1) | instskip(NEXT) | instid1(VALU_DEP_1)
	v_dual_cndmask_b32 v6, v6, v8 :: v_dual_add_nc_u32 v5, v5, v85
	v_cndmask_b32_e64 v5, v5, v85, s1
	ds_swizzle_b32 v8, v6 offset:swizzle(BROADCAST,32,15)
	v_mov_b32_dpp v7, v5 row_shr:2 row_mask:0xf bank_mask:0xf
	s_delay_alu instid0(VALU_DEP_1) | instskip(NEXT) | instid1(VALU_DEP_1)
	v_add_nc_u32_e32 v7, v5, v7
	v_cndmask_b32_e64 v5, v5, v7, s0
	s_delay_alu instid0(VALU_DEP_1) | instskip(SKIP_2) | instid1(VALU_DEP_2)
	v_mov_b32_dpp v7, v5 row_shr:4 row_mask:0xf bank_mask:0xf
	s_wait_dscnt 0x0
	v_add_nc_u32_e32 v8, v6, v8
	v_add_nc_u32_e32 v7, v5, v7
	s_delay_alu instid0(VALU_DEP_1) | instskip(NEXT) | instid1(VALU_DEP_1)
	v_cndmask_b32_e64 v5, v5, v7, s3
	v_mov_b32_dpp v7, v5 row_shr:8 row_mask:0xf bank_mask:0xf
	s_delay_alu instid0(VALU_DEP_1) | instskip(NEXT) | instid1(VALU_DEP_1)
	v_add_nc_u32_e32 v7, v5, v7
	v_cndmask_b32_e32 v5, v5, v7, vcc_lo
	v_cmp_eq_u32_e32 vcc_lo, 0, v83
	ds_swizzle_b32 v7, v5 offset:swizzle(BROADCAST,32,15)
	s_wait_dscnt 0x0
	v_add_nc_u32_e32 v7, v5, v7
	v_cmpx_eq_u32_e64 v0, v82
; %bb.116:
	s_wait_alu 0xfffd
	s_delay_alu instid0(VALU_DEP_2)
	v_dual_cndmask_b32 v10, v7, v5 :: v_dual_lshlrev_b32 v11, 3, v80
	v_cndmask_b32_e32 v9, v8, v6, vcc_lo
	ds_store_b64 v11, v[9:10]
; %bb.117:
	s_wait_alu 0xfffe
	s_or_b32 exec_lo, exec_lo, s4
	s_delay_alu instid0(SALU_CYCLE_1)
	s_mov_b32 s4, exec_lo
	s_wait_loadcnt_dscnt 0x0
	s_barrier_signal -1
	s_barrier_wait -1
	global_inv scope:SCOPE_SE
	v_cmpx_gt_u32_e32 8, v0
	s_cbranch_execz .LBB44_119
; %bb.118:
	v_lshlrev_b32_e32 v11, 3, v0
	v_and_b32_e32 v26, 7, v79
	ds_load_b64 v[9:10], v11
	v_cmp_eq_u32_e64 s3, 0, v26
	s_wait_dscnt 0x0
	v_mov_b32_dpp v12, v9 row_shr:1 row_mask:0xf bank_mask:0xf
	v_mov_b32_dpp v25, v10 row_shr:1 row_mask:0xf bank_mask:0xf
	s_delay_alu instid0(VALU_DEP_2) | instskip(NEXT) | instid1(VALU_DEP_2)
	v_add_nc_u32_e32 v12, v12, v9
	v_add_nc_u32_e32 v25, v25, v10
	s_wait_alu 0xf1ff
	s_delay_alu instid0(VALU_DEP_2) | instskip(NEXT) | instid1(VALU_DEP_2)
	v_cndmask_b32_e64 v9, v12, v9, s3
	v_cndmask_b32_e64 v10, v25, v10, s3
	v_cmp_lt_u32_e64 s3, 1, v26
	s_delay_alu instid0(VALU_DEP_3) | instskip(NEXT) | instid1(VALU_DEP_3)
	v_mov_b32_dpp v12, v9 row_shr:2 row_mask:0xf bank_mask:0xf
	v_mov_b32_dpp v25, v10 row_shr:2 row_mask:0xf bank_mask:0xf
	s_delay_alu instid0(VALU_DEP_2) | instskip(NEXT) | instid1(VALU_DEP_2)
	v_add_nc_u32_e32 v12, v9, v12
	v_add_nc_u32_e32 v25, v10, v25
	s_wait_alu 0xf1ff
	s_delay_alu instid0(VALU_DEP_2) | instskip(NEXT) | instid1(VALU_DEP_2)
	v_cndmask_b32_e64 v9, v9, v12, s3
	v_cndmask_b32_e64 v10, v10, v25, s3
	v_cmp_lt_u32_e64 s3, 3, v26
	s_delay_alu instid0(VALU_DEP_3) | instskip(NEXT) | instid1(VALU_DEP_3)
	v_mov_b32_dpp v12, v9 row_shr:4 row_mask:0xf bank_mask:0xf
	v_mov_b32_dpp v25, v10 row_shr:4 row_mask:0xf bank_mask:0xf
	s_wait_alu 0xf1ff
	s_delay_alu instid0(VALU_DEP_2) | instskip(NEXT) | instid1(VALU_DEP_2)
	v_cndmask_b32_e64 v12, 0, v12, s3
	v_cndmask_b32_e64 v25, 0, v25, s3
	s_delay_alu instid0(VALU_DEP_2) | instskip(NEXT) | instid1(VALU_DEP_2)
	v_add_nc_u32_e32 v9, v12, v9
	v_add_nc_u32_e32 v10, v25, v10
	ds_store_b64 v11, v[9:10]
.LBB44_119:
	s_wait_alu 0xfffe
	s_or_b32 exec_lo, exec_lo, s4
	v_dual_cndmask_b32 v5, v7, v5 :: v_dual_cndmask_b32 v6, v8, v6
	s_mov_b32 s4, exec_lo
	v_cmp_gt_u32_e32 vcc_lo, 32, v0
	s_wait_loadcnt_dscnt 0x0
	s_barrier_signal -1
	s_barrier_wait -1
	global_inv scope:SCOPE_SE
                                        ; implicit-def: $vgpr25
	v_cmpx_lt_u32_e32 31, v0
	s_cbranch_execz .LBB44_121
; %bb.120:
	v_lshl_add_u32 v7, v80, 3, -8
	ds_load_b64 v[25:26], v7
	s_wait_dscnt 0x0
	v_add_nc_u32_e32 v5, v26, v5
	v_add_nc_u32_e32 v6, v25, v6
.LBB44_121:
	s_wait_alu 0xfffe
	s_or_b32 exec_lo, exec_lo, s4
	v_sub_co_u32 v7, s3, v79, 1
	s_delay_alu instid0(VALU_DEP_1) | instskip(SKIP_1) | instid1(VALU_DEP_1)
	v_cmp_gt_i32_e64 s4, 0, v7
	s_wait_alu 0xf1ff
	v_cndmask_b32_e64 v7, v7, v79, s4
	s_delay_alu instid0(VALU_DEP_1)
	v_lshlrev_b32_e32 v7, 2, v7
	ds_bpermute_b32 v86, v7, v6
	ds_bpermute_b32 v87, v7, v5
	s_and_saveexec_b32 s4, vcc_lo
	s_cbranch_execz .LBB44_140
; %bb.122:
	v_mov_b32_e32 v8, 0
	ds_load_b64 v[5:6], v8 offset:56
	s_and_saveexec_b32 s5, s3
	s_cbranch_execz .LBB44_124
; %bb.123:
	s_add_co_i32 s6, s33, 32
	s_mov_b32 s7, 0
	s_wait_alu 0xfffe
	s_lshl_b64 s[6:7], s[6:7], 4
	s_wait_alu 0xfffe
	s_add_nc_u64 s[6:7], s[36:37], s[6:7]
	s_wait_alu 0xfffe
	v_dual_mov_b32 v7, 1 :: v_dual_mov_b32 v10, s7
	v_mov_b32_e32 v9, s6
	s_wait_dscnt 0x0
	;;#ASMSTART
	global_store_b128 v[9:10], v[5:8] off scope:SCOPE_DEV	
s_wait_storecnt 0x0
	;;#ASMEND
.LBB44_124:
	s_wait_alu 0xfffe
	s_or_b32 exec_lo, exec_lo, s5
	v_xad_u32 v27, v79, -1, s33
	s_mov_b32 s6, 0
	s_mov_b32 s5, exec_lo
	s_delay_alu instid0(VALU_DEP_1) | instskip(NEXT) | instid1(VALU_DEP_1)
	v_add_nc_u32_e32 v7, 32, v27
	v_lshlrev_b64_e32 v[7:8], 4, v[7:8]
	s_delay_alu instid0(VALU_DEP_1) | instskip(SKIP_1) | instid1(VALU_DEP_2)
	v_add_co_u32 v7, vcc_lo, s36, v7
	s_wait_alu 0xfffd
	v_add_co_ci_u32_e64 v8, null, s37, v8, vcc_lo
	;;#ASMSTART
	global_load_b128 v[9:12], v[7:8] off scope:SCOPE_DEV	
s_wait_loadcnt 0x0
	;;#ASMEND
	v_and_b32_e32 v12, 0xff, v11
	s_delay_alu instid0(VALU_DEP_1)
	v_cmpx_eq_u16_e32 0, v12
	s_cbranch_execz .LBB44_127
.LBB44_125:                             ; =>This Inner Loop Header: Depth=1
	;;#ASMSTART
	global_load_b128 v[9:12], v[7:8] off scope:SCOPE_DEV	
s_wait_loadcnt 0x0
	;;#ASMEND
	v_and_b32_e32 v12, 0xff, v11
	s_delay_alu instid0(VALU_DEP_1)
	v_cmp_ne_u16_e32 vcc_lo, 0, v12
	s_wait_alu 0xfffe
	s_or_b32 s6, vcc_lo, s6
	s_wait_alu 0xfffe
	s_and_not1_b32 exec_lo, exec_lo, s6
	s_cbranch_execnz .LBB44_125
; %bb.126:
	s_or_b32 exec_lo, exec_lo, s6
.LBB44_127:
	s_wait_alu 0xfffe
	s_or_b32 exec_lo, exec_lo, s5
	v_cmp_ne_u32_e32 vcc_lo, 31, v79
	v_lshlrev_b32_e64 v89, v79, -1
	v_add_nc_u32_e32 v91, 2, v79
	v_add_nc_u32_e32 v93, 4, v79
	;; [unrolled: 1-line block ×3, first 2 shown]
	s_wait_alu 0xfffd
	v_add_co_ci_u32_e64 v7, null, 0, v79, vcc_lo
	v_lshl_or_b32 v96, v79, 2, 64
	v_add_nc_u32_e32 v97, 16, v79
	s_delay_alu instid0(VALU_DEP_3) | instskip(SKIP_4) | instid1(VALU_DEP_1)
	v_lshlrev_b32_e32 v88, 2, v7
	ds_bpermute_b32 v8, v88, v10
	s_wait_dscnt 0x0
	v_add_nc_u32_e32 v8, v8, v10
	v_and_b32_e32 v7, 0xff, v11
	v_cmp_eq_u16_e32 vcc_lo, 2, v7
	ds_bpermute_b32 v7, v88, v9
	s_wait_dscnt 0x0
	v_add_nc_u32_e32 v7, v7, v9
	s_wait_alu 0xfffd
	v_and_b32_e32 v12, vcc_lo, v89
	v_cmp_gt_u32_e32 vcc_lo, 30, v79
	s_delay_alu instid0(VALU_DEP_2) | instskip(SKIP_2) | instid1(VALU_DEP_2)
	v_or_b32_e32 v12, 0x80000000, v12
	s_wait_alu 0xfffd
	v_cndmask_b32_e64 v28, 0, 2, vcc_lo
	v_ctz_i32_b32_e32 v12, v12
	s_delay_alu instid0(VALU_DEP_2) | instskip(NEXT) | instid1(VALU_DEP_2)
	v_add_lshl_u32 v90, v28, v79, 2
	v_cmp_lt_u32_e32 vcc_lo, v79, v12
	s_wait_alu 0xfffd
	v_dual_cndmask_b32 v8, v10, v8 :: v_dual_cndmask_b32 v7, v9, v7
	v_cmp_gt_u32_e32 vcc_lo, 28, v79
	ds_bpermute_b32 v9, v90, v8
	ds_bpermute_b32 v10, v90, v7
	s_wait_alu 0xfffd
	v_cndmask_b32_e64 v28, 0, 4, vcc_lo
	v_cmp_gt_u32_e32 vcc_lo, v91, v12
	s_delay_alu instid0(VALU_DEP_2)
	v_add_lshl_u32 v92, v28, v79, 2
	s_wait_dscnt 0x1
	v_add_nc_u32_e32 v9, v8, v9
	s_wait_dscnt 0x0
	v_add_nc_u32_e32 v10, v7, v10
	s_wait_alu 0xfffd
	s_delay_alu instid0(VALU_DEP_1)
	v_dual_cndmask_b32 v8, v9, v8 :: v_dual_cndmask_b32 v7, v10, v7
	v_cmp_gt_u32_e32 vcc_lo, 24, v79
	ds_bpermute_b32 v9, v92, v8
	ds_bpermute_b32 v10, v92, v7
	s_wait_alu 0xfffd
	v_cndmask_b32_e64 v28, 0, 8, vcc_lo
	v_cmp_gt_u32_e32 vcc_lo, v93, v12
	s_delay_alu instid0(VALU_DEP_2)
	v_add_lshl_u32 v94, v28, v79, 2
	s_wait_dscnt 0x1
	v_dual_mov_b32 v28, 0 :: v_dual_add_nc_u32 v9, v8, v9
	s_wait_dscnt 0x0
	v_add_nc_u32_e32 v10, v7, v10
	s_wait_alu 0xfffd
	s_delay_alu instid0(VALU_DEP_1)
	v_dual_cndmask_b32 v8, v9, v8 :: v_dual_cndmask_b32 v7, v10, v7
	v_cmp_gt_u32_e32 vcc_lo, v95, v12
	ds_bpermute_b32 v9, v94, v8
	ds_bpermute_b32 v10, v94, v7
	s_wait_dscnt 0x1
	v_add_nc_u32_e32 v9, v8, v9
	s_wait_dscnt 0x0
	v_add_nc_u32_e32 v10, v7, v10
	s_wait_alu 0xfffd
	s_delay_alu instid0(VALU_DEP_1)
	v_dual_cndmask_b32 v8, v9, v8 :: v_dual_cndmask_b32 v7, v10, v7
	v_cmp_le_u32_e32 vcc_lo, v97, v12
	ds_bpermute_b32 v10, v96, v8
	ds_bpermute_b32 v9, v96, v7
	s_wait_dscnt 0x0
	s_wait_alu 0xfffd
	v_dual_cndmask_b32 v10, 0, v10 :: v_dual_cndmask_b32 v9, 0, v9
	s_delay_alu instid0(VALU_DEP_1) | instskip(NEXT) | instid1(VALU_DEP_2)
	v_add_nc_u32_e32 v10, v10, v8
	v_add_nc_u32_e32 v9, v9, v7
	s_branch .LBB44_131
.LBB44_128:                             ;   in Loop: Header=BB44_131 Depth=1
	s_or_b32 exec_lo, exec_lo, s6
.LBB44_129:                             ;   in Loop: Header=BB44_131 Depth=1
	s_wait_alu 0xfffe
	s_or_b32 exec_lo, exec_lo, s5
	ds_bpermute_b32 v12, v88, v9
	ds_bpermute_b32 v29, v88, v10
	v_subrev_nc_u32_e32 v27, 32, v27
	s_mov_b32 s5, 0
	s_wait_dscnt 0x1
	v_add_nc_u32_e32 v12, v12, v9
	v_and_b32_e32 v30, 0xff, v11
	s_wait_dscnt 0x0
	v_add_nc_u32_e32 v29, v29, v10
	s_delay_alu instid0(VALU_DEP_2) | instskip(SKIP_2) | instid1(VALU_DEP_1)
	v_cmp_eq_u16_e32 vcc_lo, 2, v30
	s_wait_alu 0xfffd
	v_and_or_b32 v30, vcc_lo, v89, 0x80000000
	v_ctz_i32_b32_e32 v30, v30
	s_delay_alu instid0(VALU_DEP_1)
	v_cmp_lt_u32_e32 vcc_lo, v79, v30
	s_wait_alu 0xfffd
	v_dual_cndmask_b32 v10, v10, v29 :: v_dual_cndmask_b32 v9, v9, v12
	v_cmp_gt_u32_e32 vcc_lo, v91, v30
	ds_bpermute_b32 v29, v90, v10
	ds_bpermute_b32 v12, v90, v9
	s_wait_dscnt 0x1
	v_add_nc_u32_e32 v29, v10, v29
	s_wait_dscnt 0x0
	v_add_nc_u32_e32 v12, v9, v12
	s_wait_alu 0xfffd
	s_delay_alu instid0(VALU_DEP_1)
	v_dual_cndmask_b32 v10, v29, v10 :: v_dual_cndmask_b32 v9, v12, v9
	v_cmp_gt_u32_e32 vcc_lo, v93, v30
	ds_bpermute_b32 v29, v92, v10
	ds_bpermute_b32 v12, v92, v9
	s_wait_dscnt 0x1
	v_add_nc_u32_e32 v29, v10, v29
	s_wait_dscnt 0x0
	v_add_nc_u32_e32 v12, v9, v12
	s_wait_alu 0xfffd
	s_delay_alu instid0(VALU_DEP_1)
	;; [unrolled: 10-line block ×3, first 2 shown]
	v_dual_cndmask_b32 v10, v29, v10 :: v_dual_cndmask_b32 v9, v12, v9
	v_cmp_le_u32_e32 vcc_lo, v97, v30
	ds_bpermute_b32 v29, v96, v10
	ds_bpermute_b32 v12, v96, v9
	s_wait_dscnt 0x0
	s_wait_alu 0xfffd
	v_dual_cndmask_b32 v29, 0, v29 :: v_dual_cndmask_b32 v12, 0, v12
	s_delay_alu instid0(VALU_DEP_1) | instskip(NEXT) | instid1(VALU_DEP_2)
	v_add3_u32 v10, v10, v8, v29
	v_add3_u32 v9, v9, v7, v12
.LBB44_130:                             ;   in Loop: Header=BB44_131 Depth=1
	s_wait_alu 0xfffe
	s_and_b32 vcc_lo, exec_lo, s5
	s_wait_alu 0xfffe
	s_cbranch_vccnz .LBB44_136
.LBB44_131:                             ; =>This Loop Header: Depth=1
                                        ;     Child Loop BB44_134 Depth 2
	v_and_b32_e32 v7, 0xff, v11
	s_mov_b32 s5, -1
                                        ; implicit-def: $vgpr11
	s_delay_alu instid0(VALU_DEP_1)
	v_cmp_ne_u16_e32 vcc_lo, 2, v7
	v_dual_mov_b32 v7, v9 :: v_dual_mov_b32 v8, v10
                                        ; implicit-def: $vgpr9_vgpr10
	s_cmp_lg_u32 vcc_lo, exec_lo
	s_cbranch_scc1 .LBB44_130
; %bb.132:                              ;   in Loop: Header=BB44_131 Depth=1
	v_lshlrev_b64_e32 v[9:10], 4, v[27:28]
	s_mov_b32 s5, exec_lo
	s_delay_alu instid0(VALU_DEP_1) | instskip(SKIP_1) | instid1(VALU_DEP_2)
	v_add_co_u32 v29, vcc_lo, s36, v9
	s_wait_alu 0xfffd
	v_add_co_ci_u32_e64 v30, null, s37, v10, vcc_lo
	;;#ASMSTART
	global_load_b128 v[9:12], v[29:30] off scope:SCOPE_DEV	
s_wait_loadcnt 0x0
	;;#ASMEND
	v_and_b32_e32 v12, 0xff, v11
	s_delay_alu instid0(VALU_DEP_1)
	v_cmpx_eq_u16_e32 0, v12
	s_cbranch_execz .LBB44_129
; %bb.133:                              ;   in Loop: Header=BB44_131 Depth=1
	s_mov_b32 s6, 0
.LBB44_134:                             ;   Parent Loop BB44_131 Depth=1
                                        ; =>  This Inner Loop Header: Depth=2
	;;#ASMSTART
	global_load_b128 v[9:12], v[29:30] off scope:SCOPE_DEV	
s_wait_loadcnt 0x0
	;;#ASMEND
	v_and_b32_e32 v12, 0xff, v11
	s_delay_alu instid0(VALU_DEP_1)
	v_cmp_ne_u16_e32 vcc_lo, 0, v12
	s_wait_alu 0xfffe
	s_or_b32 s6, vcc_lo, s6
	s_wait_alu 0xfffe
	s_and_not1_b32 exec_lo, exec_lo, s6
	s_cbranch_execnz .LBB44_134
	s_branch .LBB44_128
.LBB44_135:
                                        ; implicit-def: $vgpr29
                                        ; implicit-def: $vgpr7
                                        ; implicit-def: $vgpr86
	s_wait_alu 0xfffe
	s_and_b32 vcc_lo, exec_lo, s4
	s_wait_alu 0xfffe
	s_cbranch_vccnz .LBB44_141
	s_branch .LBB44_150
.LBB44_136:
	s_and_saveexec_b32 s5, s3
	s_cbranch_execnz .LBB44_378
; %bb.137:
	s_wait_alu 0xfffe
	s_or_b32 exec_lo, exec_lo, s5
	s_and_saveexec_b32 s5, s3
	s_cbranch_execnz .LBB44_379
.LBB44_138:
	s_wait_alu 0xfffe
	s_or_b32 exec_lo, exec_lo, s5
	s_delay_alu instid0(SALU_CYCLE_1)
	s_and_b32 exec_lo, exec_lo, s2
.LBB44_139:
	v_mov_b32_e32 v5, 0
	ds_store_b64 v5, v[7:8] offset:56
.LBB44_140:
	s_wait_alu 0xfffe
	s_or_b32 exec_lo, exec_lo, s4
	s_wait_dscnt 0x1
	v_cndmask_b32_e64 v12, v86, v25, s3
	v_mov_b32_e32 v5, 0
	s_wait_loadcnt_dscnt 0x0
	s_barrier_signal -1
	s_barrier_wait -1
	global_inv scope:SCOPE_SE
	ds_load_b64 v[9:10], v5 offset:56
	s_wait_loadcnt_dscnt 0x0
	s_barrier_signal -1
	s_barrier_wait -1
	global_inv scope:SCOPE_SE
	v_cndmask_b32_e64 v11, v87, v26, s3
	v_add_nc_u32_e32 v12, v9, v12
	ds_load_b128 v[5:8], v5 offset:13312
	v_add_nc_u32_e32 v11, v10, v11
	v_cndmask_b32_e64 v86, v12, v9, s2
	s_delay_alu instid0(VALU_DEP_2)
	v_cndmask_b32_e64 v29, v11, v10, s2
	s_branch .LBB44_150
.LBB44_141:
	s_wait_dscnt 0x0
	v_mov_b32_dpp v5, v84 row_shr:1 row_mask:0xf bank_mask:0xf
	v_cmp_lt_u32_e32 vcc_lo, 3, v81
	v_mov_b32_dpp v6, v85 row_shr:1 row_mask:0xf bank_mask:0xf
	s_delay_alu instid0(VALU_DEP_3) | instskip(NEXT) | instid1(VALU_DEP_1)
	v_add_nc_u32_e32 v5, v5, v84
	v_cndmask_b32_e64 v5, v5, v84, s1
	s_delay_alu instid0(VALU_DEP_1) | instskip(NEXT) | instid1(VALU_DEP_1)
	v_mov_b32_dpp v7, v5 row_shr:2 row_mask:0xf bank_mask:0xf
	v_add_nc_u32_e32 v7, v5, v7
	s_delay_alu instid0(VALU_DEP_1) | instskip(NEXT) | instid1(VALU_DEP_1)
	v_cndmask_b32_e64 v5, v5, v7, s0
	v_mov_b32_dpp v7, v5 row_shr:4 row_mask:0xf bank_mask:0xf
	s_delay_alu instid0(VALU_DEP_1) | instskip(SKIP_1) | instid1(VALU_DEP_1)
	v_add_nc_u32_e32 v7, v5, v7
	s_wait_alu 0xfffd
	v_dual_cndmask_b32 v7, v5, v7 :: v_dual_add_nc_u32 v6, v6, v85
	s_delay_alu instid0(VALU_DEP_1) | instskip(SKIP_1) | instid1(VALU_DEP_2)
	v_cndmask_b32_e64 v6, v6, v85, s1
	s_mov_b32 s1, exec_lo
	v_mov_b32_dpp v5, v7 row_shr:8 row_mask:0xf bank_mask:0xf
	s_delay_alu instid0(VALU_DEP_2) | instskip(NEXT) | instid1(VALU_DEP_2)
	v_mov_b32_dpp v8, v6 row_shr:2 row_mask:0xf bank_mask:0xf
	v_add_nc_u32_e32 v9, v7, v5
	s_delay_alu instid0(VALU_DEP_2) | instskip(NEXT) | instid1(VALU_DEP_1)
	v_add_nc_u32_e32 v8, v6, v8
	v_cndmask_b32_e64 v6, v6, v8, s0
	s_delay_alu instid0(VALU_DEP_1) | instskip(NEXT) | instid1(VALU_DEP_1)
	v_mov_b32_dpp v8, v6 row_shr:4 row_mask:0xf bank_mask:0xf
	v_add_nc_u32_e32 v8, v6, v8
	s_delay_alu instid0(VALU_DEP_1) | instskip(SKIP_1) | instid1(VALU_DEP_2)
	v_cndmask_b32_e32 v6, v6, v8, vcc_lo
	v_cmp_lt_u32_e32 vcc_lo, 7, v81
	v_mov_b32_dpp v8, v6 row_shr:8 row_mask:0xf bank_mask:0xf
	s_delay_alu instid0(VALU_DEP_1) | instskip(SKIP_1) | instid1(VALU_DEP_1)
	v_add_nc_u32_e32 v5, v6, v8
	s_wait_alu 0xfffd
	v_cndmask_b32_e32 v5, v6, v5, vcc_lo
	v_cndmask_b32_e32 v6, v7, v9, vcc_lo
	v_cmp_eq_u32_e32 vcc_lo, 0, v83
	ds_swizzle_b32 v7, v5 offset:swizzle(BROADCAST,32,15)
	ds_swizzle_b32 v8, v6 offset:swizzle(BROADCAST,32,15)
	s_wait_dscnt 0x1
	v_add_nc_u32_e32 v7, v5, v7
	s_wait_dscnt 0x0
	v_add_nc_u32_e32 v8, v6, v8
	v_cmpx_eq_u32_e64 v0, v82
; %bb.142:
	s_wait_alu 0xfffd
	s_delay_alu instid0(VALU_DEP_2)
	v_dual_cndmask_b32 v9, v8, v6 :: v_dual_cndmask_b32 v10, v7, v5
	v_lshlrev_b32_e32 v11, 3, v80
	ds_store_b64 v11, v[9:10]
; %bb.143:
	s_wait_alu 0xfffe
	s_or_b32 exec_lo, exec_lo, s1
	s_delay_alu instid0(SALU_CYCLE_1)
	s_mov_b32 s1, exec_lo
	s_wait_loadcnt_dscnt 0x0
	s_barrier_signal -1
	s_barrier_wait -1
	global_inv scope:SCOPE_SE
	v_cmpx_gt_u32_e32 8, v0
	s_cbranch_execz .LBB44_145
; %bb.144:
	v_lshlrev_b32_e32 v11, 3, v0
	v_and_b32_e32 v26, 7, v79
	ds_load_b64 v[9:10], v11
	v_cmp_eq_u32_e64 s0, 0, v26
	s_wait_dscnt 0x0
	v_mov_b32_dpp v12, v9 row_shr:1 row_mask:0xf bank_mask:0xf
	v_mov_b32_dpp v25, v10 row_shr:1 row_mask:0xf bank_mask:0xf
	s_delay_alu instid0(VALU_DEP_2) | instskip(NEXT) | instid1(VALU_DEP_2)
	v_add_nc_u32_e32 v12, v12, v9
	v_add_nc_u32_e32 v25, v25, v10
	s_wait_alu 0xf1ff
	s_delay_alu instid0(VALU_DEP_2) | instskip(NEXT) | instid1(VALU_DEP_2)
	v_cndmask_b32_e64 v9, v12, v9, s0
	v_cndmask_b32_e64 v10, v25, v10, s0
	v_cmp_lt_u32_e64 s0, 1, v26
	s_delay_alu instid0(VALU_DEP_3) | instskip(NEXT) | instid1(VALU_DEP_3)
	v_mov_b32_dpp v12, v9 row_shr:2 row_mask:0xf bank_mask:0xf
	v_mov_b32_dpp v25, v10 row_shr:2 row_mask:0xf bank_mask:0xf
	s_delay_alu instid0(VALU_DEP_2) | instskip(NEXT) | instid1(VALU_DEP_2)
	v_add_nc_u32_e32 v12, v9, v12
	v_add_nc_u32_e32 v25, v10, v25
	s_wait_alu 0xf1ff
	s_delay_alu instid0(VALU_DEP_2) | instskip(NEXT) | instid1(VALU_DEP_2)
	v_cndmask_b32_e64 v9, v9, v12, s0
	v_cndmask_b32_e64 v10, v10, v25, s0
	v_cmp_lt_u32_e64 s0, 3, v26
	s_delay_alu instid0(VALU_DEP_3) | instskip(NEXT) | instid1(VALU_DEP_3)
	v_mov_b32_dpp v12, v9 row_shr:4 row_mask:0xf bank_mask:0xf
	v_mov_b32_dpp v25, v10 row_shr:4 row_mask:0xf bank_mask:0xf
	s_wait_alu 0xf1ff
	s_delay_alu instid0(VALU_DEP_2) | instskip(NEXT) | instid1(VALU_DEP_2)
	v_cndmask_b32_e64 v12, 0, v12, s0
	v_cndmask_b32_e64 v25, 0, v25, s0
	s_delay_alu instid0(VALU_DEP_2) | instskip(NEXT) | instid1(VALU_DEP_2)
	v_add_nc_u32_e32 v9, v12, v9
	v_add_nc_u32_e32 v10, v25, v10
	ds_store_b64 v11, v[9:10]
.LBB44_145:
	s_wait_alu 0xfffe
	s_or_b32 exec_lo, exec_lo, s1
	v_dual_mov_b32 v11, 0 :: v_dual_mov_b32 v10, 0
	v_mov_b32_e32 v9, 0
	s_mov_b32 s1, exec_lo
	s_wait_loadcnt_dscnt 0x0
	s_barrier_signal -1
	s_barrier_wait -1
	global_inv scope:SCOPE_SE
	v_cmpx_lt_u32_e32 31, v0
; %bb.146:
	v_lshl_add_u32 v9, v80, 3, -8
	ds_load_b64 v[9:10], v9
; %bb.147:
	s_wait_alu 0xfffe
	s_or_b32 exec_lo, exec_lo, s1
	v_sub_co_u32 v12, s0, v79, 1
	v_dual_cndmask_b32 v6, v8, v6 :: v_dual_cndmask_b32 v5, v7, v5
	s_delay_alu instid0(VALU_DEP_2) | instskip(SKIP_1) | instid1(VALU_DEP_2)
	v_cmp_gt_i32_e64 s1, 0, v12
	s_wait_dscnt 0x0
	v_add_nc_u32_e32 v6, v9, v6
	s_delay_alu instid0(VALU_DEP_3) | instskip(SKIP_2) | instid1(VALU_DEP_1)
	v_add_nc_u32_e32 v5, v10, v5
	s_wait_alu 0xf1ff
	v_cndmask_b32_e64 v8, v12, v79, s1
	v_lshlrev_b32_e32 v7, 2, v8
	ds_bpermute_b32 v12, v7, v6
	ds_bpermute_b32 v25, v7, v5
	ds_load_b64 v[5:6], v11 offset:56
	s_and_saveexec_b32 s1, s2
	s_cbranch_execz .LBB44_149
; %bb.148:
	s_add_nc_u64 s[4:5], s[36:37], 0x200
	v_dual_mov_b32 v7, 2 :: v_dual_mov_b32 v8, 0
	s_wait_alu 0xfffe
	v_dual_mov_b32 v27, s5 :: v_dual_mov_b32 v26, s4
	s_wait_dscnt 0x0
	;;#ASMSTART
	global_store_b128 v[26:27], v[5:8] off scope:SCOPE_DEV	
s_wait_storecnt 0x0
	;;#ASMEND
.LBB44_149:
	s_wait_alu 0xfffe
	s_or_b32 exec_lo, exec_lo, s1
	s_wait_dscnt 0x1
	v_cndmask_b32_e64 v7, v25, v10, s0
	v_cndmask_b32_e64 v9, v12, v9, s0
	v_mov_b32_e32 v8, 0
	s_wait_loadcnt_dscnt 0x0
	s_barrier_signal -1
	v_cndmask_b32_e64 v29, v7, 0, s2
	v_cndmask_b32_e64 v86, v9, 0, s2
	v_mov_b32_e32 v7, 0
	s_barrier_wait -1
	global_inv scope:SCOPE_SE
.LBB44_150:
	v_lshrrev_b32_e32 v81, 8, v54
	s_wait_dscnt 0x0
	v_add_co_u32 v1, vcc_lo, v1, v7
	s_wait_alu 0xfffd
	v_add_co_ci_u32_e64 v2, null, 0, v2, vcc_lo
	v_and_b32_e32 v81, 1, v81
	v_sub_co_u32 v84, vcc_lo, v3, v5
	s_wait_alu 0xfffd
	v_subrev_co_ci_u32_e64 v85, null, 0, v4, vcc_lo
	s_delay_alu instid0(VALU_DEP_3)
	v_cmp_eq_u32_e32 vcc_lo, 1, v81
	v_add_nc_u32_e32 v78, v29, v78
	v_sub_nc_u32_e32 v29, v29, v8
	v_lshlrev_b32_e32 v87, 1, v5
	v_lshrrev_b32_e32 v79, 16, v54
	v_lshrrev_b32_e32 v80, 8, v47
	v_add_nc_u32_e32 v75, v78, v75
	v_sub_nc_u32_e32 v78, v78, v8
	v_add_nc_u32_e32 v29, v29, v5
	v_add3_u32 v90, v87, v6, v46
	v_and_b32_e32 v79, 1, v79
	v_lshrrev_b32_e32 v30, 16, v47
	v_add_nc_u32_e32 v78, v78, v5
	v_add_nc_u32_e32 v77, v86, v77
	v_sub_nc_u32_e32 v86, v86, v7
	v_and_b32_e32 v47, 1, v47
	v_and_b32_e32 v80, 1, v80
	;; [unrolled: 1-line block ×3, first 2 shown]
	v_add_nc_u32_e32 v74, v77, v74
	v_sub_nc_u32_e32 v77, v77, v7
	v_add_nc_u32_e32 v46, v86, v29
	v_lshrrev_b32_e32 v28, 8, v48
	v_lshrrev_b32_e32 v27, 16, v48
	v_and_b32_e32 v48, 1, v48
	v_add_nc_u32_e32 v91, v78, v77
	v_sub_nc_u32_e32 v46, v90, v46
	v_and_b32_e32 v28, 1, v28
	v_lshrrev_b32_e32 v25, 16, v49
	v_lshrrev_b32_e32 v26, 8, v49
	v_sub_nc_u32_e32 v91, v90, v91
	s_wait_alu 0xfffd
	v_cndmask_b32_e32 v29, v46, v29, vcc_lo
	v_cmp_eq_u32_e32 vcc_lo, 1, v79
	v_lshrrev_b32_e32 v12, 8, v51
	v_and_b32_e32 v26, 1, v26
	v_add_nc_u32_e32 v91, 1, v91
	v_lshrrev_b32_e32 v10, 16, v51
	v_lshrrev_b32_e32 v11, 8, v52
	v_and_b32_e32 v12, 1, v12
	v_lshrrev_b32_e32 v9, 16, v52
	s_wait_alu 0xfffd
	v_cndmask_b32_e32 v46, v91, v78, vcc_lo
	v_cmp_eq_u32_e32 vcc_lo, 1, v47
	v_add_nc_u32_e32 v82, v75, v60
	v_sub_nc_u32_e32 v75, v75, v8
	v_and_b32_e32 v60, 1, v60
	v_and_b32_e32 v10, 1, v10
	s_wait_alu 0xfffd
	v_cndmask_b32_e32 v29, v29, v86, vcc_lo
	v_cmp_eq_u32_e32 vcc_lo, 1, v80
	v_add_nc_u32_e32 v75, v75, v5
	v_sub_nc_u32_e32 v80, v82, v8
	v_and_b32_e32 v11, 1, v11
	v_lshlrev_b32_e32 v29, 2, v29
	s_wait_alu 0xfffd
	v_cndmask_b32_e32 v77, v46, v77, vcc_lo
	v_add_nc_u32_e32 v76, v74, v76
	v_sub_nc_u32_e32 v74, v74, v7
	v_add_co_u32 v46, vcc_lo, v84, v8
	s_wait_alu 0xfffd
	v_add_co_ci_u32_e64 v47, null, 0, v85, vcc_lo
	s_delay_alu instid0(VALU_DEP_3)
	v_add_nc_u32_e32 v79, v75, v74
	v_cmp_eq_u32_e32 vcc_lo, 1, v60
	v_add_nc_u32_e32 v83, v76, v59
	v_lshlrev_b32_e32 v77, 2, v77
	ds_store_b32 v29, v23
	ds_store_b32 v77, v24
	v_sub_nc_u32_e32 v79, v90, v79
	v_and_b32_e32 v9, 1, v9
	s_delay_alu instid0(VALU_DEP_2) | instskip(SKIP_1) | instid1(VALU_DEP_1)
	v_add_nc_u32_e32 v79, 2, v79
	s_wait_alu 0xfffd
	v_dual_cndmask_b32 v60, v79, v75 :: v_dual_add_nc_u32 v73, v82, v73
	s_delay_alu instid0(VALU_DEP_1)
	v_add_nc_u32_e32 v72, v73, v72
	v_sub_nc_u32_e32 v75, v76, v7
	v_sub_nc_u32_e32 v73, v73, v8
	v_add_nc_u32_e32 v76, v80, v5
	v_cmp_eq_u32_e32 vcc_lo, 1, v30
	s_wait_alu 0xfffd
	s_delay_alu instid0(VALU_DEP_3)
	v_dual_cndmask_b32 v30, v60, v74 :: v_dual_add_nc_u32 v73, v73, v5
	v_sub_nc_u32_e32 v60, v83, v7
	v_add_nc_u32_e32 v74, v75, v76
	v_cmp_eq_u32_e32 vcc_lo, 1, v48
	v_and_b32_e32 v48, 1, v49
	v_lshlrev_b32_e32 v23, 2, v30
	v_add_nc_u32_e32 v24, v60, v73
	v_sub_nc_u32_e32 v29, v90, v74
	v_and_b32_e32 v30, 1, v59
	v_sub_nc_u32_e32 v59, v72, v8
	ds_store_b32 v23, v21
	v_sub_nc_u32_e32 v24, v90, v24
	v_add_nc_u32_e32 v29, 3, v29
	v_and_b32_e32 v23, 1, v27
	v_add_nc_u32_e32 v59, v59, v5
	s_delay_alu instid0(VALU_DEP_4)
	v_add_nc_u32_e32 v24, 4, v24
	s_wait_alu 0xfffd
	v_cndmask_b32_e32 v29, v29, v76, vcc_lo
	v_cmp_eq_u32_e32 vcc_lo, 1, v28
	s_wait_alu 0xfffd
	v_dual_cndmask_b32 v24, v24, v73 :: v_dual_add_nc_u32 v71, v83, v71
	s_delay_alu instid0(VALU_DEP_1) | instskip(SKIP_2) | instid1(VALU_DEP_3)
	v_add_nc_u32_e32 v69, v71, v69
	v_sub_nc_u32_e32 v71, v71, v7
	v_cmp_eq_u32_e32 vcc_lo, 1, v30
	v_add_nc_u32_e32 v65, v69, v65
	s_delay_alu instid0(VALU_DEP_3)
	v_add_nc_u32_e32 v49, v71, v59
	s_wait_alu 0xfffd
	v_cndmask_b32_e32 v28, v29, v75, vcc_lo
	v_cmp_eq_u32_e32 vcc_lo, 1, v48
	v_add_nc_u32_e32 v89, v65, v57
	v_sub_nc_u32_e32 v29, v90, v49
	s_delay_alu instid0(VALU_DEP_4)
	v_lshlrev_b32_e32 v21, 2, v28
	s_wait_alu 0xfffd
	v_cndmask_b32_e32 v24, v24, v60, vcc_lo
	v_cmp_eq_u32_e32 vcc_lo, 1, v23
	v_sub_nc_u32_e32 v48, v89, v7
	v_add_nc_u32_e32 v27, 5, v29
	v_add_nc_u32_e32 v66, v89, v66
	v_lshlrev_b32_e32 v24, 2, v24
	ds_store_b32 v21, v22
	ds_store_b32 v24, v19
	s_wait_alu 0xfffd
	v_cndmask_b32_e32 v23, v27, v59, vcc_lo
	v_cmp_eq_u32_e32 vcc_lo, 1, v26
	v_sub_nc_u32_e32 v27, v69, v7
	v_sub_nc_u32_e32 v26, v65, v7
	v_and_b32_e32 v24, 1, v58
	v_add_nc_u32_e32 v63, v66, v63
	s_wait_alu 0xfffd
	v_dual_cndmask_b32 v23, v23, v71 :: v_dual_add_nc_u32 v70, v72, v70
	s_delay_alu instid0(VALU_DEP_3) | instskip(SKIP_1) | instid1(VALU_DEP_3)
	v_cmp_eq_u32_e32 vcc_lo, 1, v24
	v_and_b32_e32 v24, 1, v57
	v_lshlrev_b32_e32 v19, 2, v23
	s_delay_alu instid0(VALU_DEP_4) | instskip(SKIP_3) | instid1(VALU_DEP_4)
	v_add_nc_u32_e32 v88, v70, v58
	v_sub_nc_u32_e32 v28, v70, v8
	v_and_b32_e32 v23, 1, v25
	v_add_nc_u32_e32 v62, v63, v62
	v_sub_nc_u32_e32 v29, v88, v8
	s_delay_alu instid0(VALU_DEP_4) | instskip(SKIP_1) | instid1(VALU_DEP_4)
	v_add_nc_u32_e32 v28, v28, v5
	v_add_nc_u32_e32 v68, v88, v68
	v_add_nc_u32_e32 v78, v62, v55
	s_delay_alu instid0(VALU_DEP_4) | instskip(NEXT) | instid1(VALU_DEP_4)
	v_add_nc_u32_e32 v29, v29, v5
	v_add_nc_u32_e32 v30, v27, v28
	s_delay_alu instid0(VALU_DEP_4) | instskip(SKIP_1) | instid1(VALU_DEP_4)
	v_sub_nc_u32_e32 v25, v68, v8
	v_add_nc_u32_e32 v67, v68, v67
	v_add_nc_u32_e32 v21, v26, v29
	s_delay_alu instid0(VALU_DEP_4)
	v_sub_nc_u32_e32 v22, v90, v30
	v_and_b32_e32 v30, 1, v51
	v_add_nc_u32_e32 v25, v25, v5
	v_add_nc_u32_e32 v64, v67, v64
	v_sub_nc_u32_e32 v21, v90, v21
	v_add_nc_u32_e32 v22, 6, v22
	s_delay_alu instid0(VALU_DEP_3) | instskip(SKIP_1) | instid1(VALU_DEP_2)
	v_add_nc_u32_e32 v92, v64, v56
	s_wait_alu 0xfffd
	v_dual_cndmask_b32 v22, v22, v28 :: v_dual_add_nc_u32 v21, 7, v21
	v_cmp_eq_u32_e32 vcc_lo, 1, v30
	v_add_nc_u32_e32 v28, v48, v25
	v_add_nc_u32_e32 v61, v92, v61
	s_wait_alu 0xfffd
	v_cndmask_b32_e32 v21, v21, v29, vcc_lo
	v_cmp_eq_u32_e32 vcc_lo, 1, v23
	v_sub_nc_u32_e32 v23, v90, v28
	s_wait_alu 0xfffd
	v_cndmask_b32_e32 v22, v22, v27, vcc_lo
	v_cmp_eq_u32_e32 vcc_lo, 1, v24
	v_sub_nc_u32_e32 v24, v67, v8
	v_add_nc_u32_e32 v23, 8, v23
	v_sub_nc_u32_e32 v27, v66, v7
	v_lshlrev_b32_e32 v22, 2, v22
	s_wait_alu 0xfffd
	v_dual_cndmask_b32 v21, v21, v26 :: v_dual_add_nc_u32 v24, v24, v5
	v_cmp_eq_u32_e32 vcc_lo, 1, v12
	v_and_b32_e32 v26, 1, v52
	s_delay_alu instid0(VALU_DEP_3)
	v_lshlrev_b32_e32 v21, 2, v21
	ds_store_b32 v19, v20
	ds_store_b32 v22, v17
	;; [unrolled: 1-line block ×3, first 2 shown]
	s_wait_alu 0xfffd
	v_cndmask_b32_e32 v12, v23, v25, vcc_lo
	v_add_nc_u32_e32 v23, v27, v24
	v_cmp_eq_u32_e32 vcc_lo, 1, v26
	v_sub_nc_u32_e32 v18, v64, v8
	v_sub_nc_u32_e32 v19, v63, v7
	v_sub_nc_u32_e32 v20, v92, v8
	v_sub_nc_u32_e32 v17, v90, v23
	s_wait_alu 0xfffd
	v_cndmask_b32_e32 v12, v12, v48, vcc_lo
	v_add_nc_u32_e32 v18, v18, v5
	v_cmp_eq_u32_e32 vcc_lo, 1, v10
	v_add_nc_u32_e32 v20, v20, v5
	v_add_nc_u32_e32 v17, 9, v17
	v_lshlrev_b32_e32 v12, 2, v12
	v_add_nc_u32_e32 v21, v19, v18
	v_and_b32_e32 v22, 1, v50
	s_wait_alu 0xfffd
	v_cndmask_b32_e32 v10, v17, v24, vcc_lo
	v_sub_nc_u32_e32 v17, v62, v7
	ds_store_b32 v12, v15
	v_cmp_eq_u32_e32 vcc_lo, 1, v11
	v_sub_nc_u32_e32 v12, v90, v21
	v_and_b32_e32 v15, 1, v56
	v_add_nc_u32_e32 v11, v17, v20
	v_sub_nc_u32_e32 v21, v61, v8
	s_wait_alu 0xfffd
	v_cndmask_b32_e32 v10, v10, v27, vcc_lo
	v_add_nc_u32_e32 v12, 10, v12
	v_cmp_eq_u32_e32 vcc_lo, 1, v15
	v_sub_nc_u32_e32 v11, v90, v11
	v_sub_nc_u32_e32 v7, v78, v7
	v_add_nc_u32_e32 v21, v21, v5
	s_wait_alu 0xfffd
	v_dual_cndmask_b32 v12, v12, v18 :: v_dual_and_b32 v15, 1, v55
	v_add_nc_u32_e32 v11, 11, v11
	v_cmp_eq_u32_e32 vcc_lo, 1, v22
	v_add_nc_u32_e32 v18, v7, v21
	s_wait_alu 0xfffd
	s_delay_alu instid0(VALU_DEP_3)
	v_dual_cndmask_b32 v11, v11, v20 :: v_dual_lshlrev_b32 v10, 2, v10
	v_cmp_eq_u32_e32 vcc_lo, 1, v9
	s_wait_alu 0xfffd
	v_cndmask_b32_e32 v9, v12, v19, vcc_lo
	v_cmp_eq_u32_e32 vcc_lo, 1, v15
	v_sub_nc_u32_e32 v12, v90, v18
	v_and_b32_e32 v15, 1, v53
	s_delay_alu instid0(VALU_DEP_4) | instskip(SKIP_1) | instid1(VALU_DEP_3)
	v_lshlrev_b32_e32 v9, 2, v9
	s_wait_alu 0xfffd
	v_dual_cndmask_b32 v11, v11, v17 :: v_dual_add_nc_u32 v12, 12, v12
	v_and_b32_e32 v17, 1, v54
	v_cmp_eq_u32_e32 vcc_lo, 1, v15
	s_delay_alu instid0(VALU_DEP_3)
	v_lshlrev_b32_e32 v11, 2, v11
	ds_store_b32 v10, v16
	ds_store_b32 v9, v13
	;; [unrolled: 1-line block ×3, first 2 shown]
	s_wait_alu 0xfffd
	v_cndmask_b32_e32 v12, v12, v21, vcc_lo
	v_cmp_eq_u32_e32 vcc_lo, 1, v17
	v_add_co_u32 v9, s0, v6, v87
	s_wait_alu 0xf1ff
	v_add_co_ci_u32_e64 v10, null, 0, 0, s0
	s_wait_alu 0xfffd
	v_cndmask_b32_e32 v7, v12, v7, vcc_lo
	v_add_co_u32 v9, vcc_lo, v9, v46
	s_wait_alu 0xfffd
	v_add_co_ci_u32_e64 v10, null, v10, v47, vcc_lo
	s_delay_alu instid0(VALU_DEP_3)
	v_lshlrev_b32_e32 v7, 2, v7
	v_add_co_u32 v11, s0, s34, v43
	v_add_co_u32 v9, vcc_lo, v9, v1
	s_wait_alu 0xf1ff
	v_add_co_ci_u32_e64 v12, null, s35, 0, s0
	s_wait_alu 0xfffd
	v_add_co_ci_u32_e64 v10, null, v10, v2, vcc_lo
	ds_store_b32 v7, v45
	v_sub_co_u32 v7, vcc_lo, v11, v9
	s_wait_alu 0xfffd
	v_sub_co_ci_u32_e64 v13, null, v12, v10, vcc_lo
	v_lshlrev_b64_e32 v[9:10], 2, v[46:47]
	v_lshlrev_b64_e32 v[11:12], 2, v[1:2]
	v_add_nc_u32_e32 v14, v5, v6
	s_wait_loadcnt_dscnt 0x0
	s_barrier_signal -1
	s_barrier_wait -1
	v_add_co_u32 v9, vcc_lo, s30, v9
	s_wait_alu 0xfffd
	v_add_co_ci_u32_e64 v10, null, s31, v10, vcc_lo
	v_cmp_ne_u32_e32 vcc_lo, 1, v44
	v_add_co_u32 v11, s0, s28, v11
	s_wait_alu 0xf1ff
	v_add_co_ci_u32_e64 v12, null, s29, v12, s0
	s_mov_b32 s0, -1
	global_inv scope:SCOPE_SE
	s_cbranch_vccz .LBB44_154
; %bb.151:
	s_wait_alu 0xfffe
	s_and_b32 vcc_lo, exec_lo, s0
	s_wait_alu 0xfffe
	s_cbranch_vccnz .LBB44_259
.LBB44_152:
	s_and_b32 s0, s2, s26
	s_wait_alu 0xfffe
	s_and_saveexec_b32 s1, s0
	s_cbranch_execnz .LBB44_377
.LBB44_153:
	s_nop 0
	s_sendmsg sendmsg(MSG_DEALLOC_VGPRS)
	s_endpgm
.LBB44_154:
	s_mov_b32 s0, exec_lo
	v_cmpx_ge_u32_e64 v0, v5
	s_wait_alu 0xfffe
	s_xor_b32 s0, exec_lo, s0
	s_cbranch_execz .LBB44_160
; %bb.155:
	s_mov_b32 s1, exec_lo
	v_cmpx_ge_u32_e64 v0, v14
	s_wait_alu 0xfffe
	s_xor_b32 s1, exec_lo, s1
	s_cbranch_execz .LBB44_157
; %bb.156:
	v_lshlrev_b32_e32 v15, 2, v0
	ds_load_b32 v17, v15
	v_add_co_u32 v15, vcc_lo, v7, v0
	s_wait_alu 0xfffd
	v_add_co_ci_u32_e64 v16, null, 0, v13, vcc_lo
	s_delay_alu instid0(VALU_DEP_1) | instskip(NEXT) | instid1(VALU_DEP_1)
	v_lshlrev_b64_e32 v[15:16], 2, v[15:16]
	v_sub_co_u32 v15, vcc_lo, s14, v15
	s_wait_alu 0xfffd
	s_delay_alu instid0(VALU_DEP_2)
	v_sub_co_ci_u32_e64 v16, null, s15, v16, vcc_lo
	s_wait_dscnt 0x0
	global_store_b32 v[15:16], v17, off offset:-4
.LBB44_157:
	s_wait_alu 0xfffe
	s_and_not1_saveexec_b32 s1, s1
	s_cbranch_execz .LBB44_159
; %bb.158:
	v_lshlrev_b32_e32 v15, 2, v0
	v_readfirstlane_b32 s4, v9
	v_readfirstlane_b32 s5, v10
	ds_load_b32 v16, v15
	s_wait_dscnt 0x0
	global_store_b32 v15, v16, s[4:5]
.LBB44_159:
	s_wait_alu 0xfffe
	s_or_b32 exec_lo, exec_lo, s1
.LBB44_160:
	s_wait_alu 0xfffe
	s_and_not1_saveexec_b32 s0, s0
	s_cbranch_execz .LBB44_162
; %bb.161:
	v_lshlrev_b32_e32 v15, 2, v0
	v_readfirstlane_b32 s4, v11
	v_readfirstlane_b32 s5, v12
	ds_load_b32 v16, v15
	s_wait_dscnt 0x0
	global_store_b32 v15, v16, s[4:5]
.LBB44_162:
	s_wait_alu 0xfffe
	s_or_b32 exec_lo, exec_lo, s0
	s_delay_alu instid0(SALU_CYCLE_1)
	s_mov_b32 s0, exec_lo
	v_cmpx_ge_u32_e64 v42, v5
	s_wait_alu 0xfffe
	s_xor_b32 s0, exec_lo, s0
	s_cbranch_execz .LBB44_168
; %bb.163:
	s_mov_b32 s1, exec_lo
	v_cmpx_ge_u32_e64 v42, v14
	s_wait_alu 0xfffe
	s_xor_b32 s1, exec_lo, s1
	s_cbranch_execz .LBB44_165
; %bb.164:
	v_lshlrev_b32_e32 v15, 2, v0
	ds_load_b32 v17, v15 offset:1024
	v_add_co_u32 v15, vcc_lo, v7, v0
	s_wait_alu 0xfffd
	v_add_co_ci_u32_e64 v16, null, 0, v13, vcc_lo
	s_delay_alu instid0(VALU_DEP_1) | instskip(NEXT) | instid1(VALU_DEP_1)
	v_lshlrev_b64_e32 v[15:16], 2, v[15:16]
	v_sub_co_u32 v15, vcc_lo, s14, v15
	s_wait_alu 0xfffd
	s_delay_alu instid0(VALU_DEP_2)
	v_sub_co_ci_u32_e64 v16, null, s15, v16, vcc_lo
	s_wait_dscnt 0x0
	global_store_b32 v[15:16], v17, off offset:-1028
.LBB44_165:
	s_wait_alu 0xfffe
	s_and_not1_saveexec_b32 s1, s1
	s_cbranch_execz .LBB44_167
; %bb.166:
	v_lshlrev_b32_e32 v15, 2, v0
	v_readfirstlane_b32 s4, v9
	v_readfirstlane_b32 s5, v10
	ds_load_b32 v16, v15 offset:1024
	s_wait_dscnt 0x0
	global_store_b32 v15, v16, s[4:5] offset:1024
.LBB44_167:
	s_wait_alu 0xfffe
	s_or_b32 exec_lo, exec_lo, s1
.LBB44_168:
	s_wait_alu 0xfffe
	s_and_not1_saveexec_b32 s0, s0
	s_cbranch_execz .LBB44_170
; %bb.169:
	v_lshlrev_b32_e32 v15, 2, v0
	v_readfirstlane_b32 s4, v11
	v_readfirstlane_b32 s5, v12
	ds_load_b32 v16, v15 offset:1024
	s_wait_dscnt 0x0
	global_store_b32 v15, v16, s[4:5] offset:1024
.LBB44_170:
	s_wait_alu 0xfffe
	s_or_b32 exec_lo, exec_lo, s0
	s_delay_alu instid0(SALU_CYCLE_1)
	s_mov_b32 s0, exec_lo
	v_cmpx_ge_u32_e64 v41, v5
	s_wait_alu 0xfffe
	s_xor_b32 s0, exec_lo, s0
	s_cbranch_execz .LBB44_176
; %bb.171:
	s_mov_b32 s1, exec_lo
	v_cmpx_ge_u32_e64 v41, v14
	s_wait_alu 0xfffe
	s_xor_b32 s1, exec_lo, s1
	s_cbranch_execz .LBB44_173
; %bb.172:
	v_lshlrev_b32_e32 v15, 2, v0
	ds_load_b32 v17, v15 offset:2048
	v_add_co_u32 v15, vcc_lo, v7, v0
	s_wait_alu 0xfffd
	v_add_co_ci_u32_e64 v16, null, 0, v13, vcc_lo
	s_delay_alu instid0(VALU_DEP_1) | instskip(NEXT) | instid1(VALU_DEP_1)
	v_lshlrev_b64_e32 v[15:16], 2, v[15:16]
	v_sub_co_u32 v15, vcc_lo, s14, v15
	s_wait_alu 0xfffd
	s_delay_alu instid0(VALU_DEP_2)
	v_sub_co_ci_u32_e64 v16, null, s15, v16, vcc_lo
	s_wait_dscnt 0x0
	global_store_b32 v[15:16], v17, off offset:-2052
.LBB44_173:
	s_wait_alu 0xfffe
	s_and_not1_saveexec_b32 s1, s1
	s_cbranch_execz .LBB44_175
; %bb.174:
	v_lshlrev_b32_e32 v15, 2, v0
	v_readfirstlane_b32 s4, v9
	v_readfirstlane_b32 s5, v10
	ds_load_b32 v16, v15 offset:2048
	s_wait_dscnt 0x0
	global_store_b32 v15, v16, s[4:5] offset:2048
.LBB44_175:
	s_wait_alu 0xfffe
	s_or_b32 exec_lo, exec_lo, s1
.LBB44_176:
	s_wait_alu 0xfffe
	s_and_not1_saveexec_b32 s0, s0
	s_cbranch_execz .LBB44_178
; %bb.177:
	v_lshlrev_b32_e32 v15, 2, v0
	v_readfirstlane_b32 s4, v11
	v_readfirstlane_b32 s5, v12
	ds_load_b32 v16, v15 offset:2048
	s_wait_dscnt 0x0
	global_store_b32 v15, v16, s[4:5] offset:2048
.LBB44_178:
	;; [unrolled: 54-line block ×12, first 2 shown]
	s_wait_alu 0xfffe
	s_or_b32 exec_lo, exec_lo, s0
	s_branch .LBB44_152
.LBB44_259:
	s_mov_b32 s0, exec_lo
	v_cmpx_gt_u32_e64 s27, v0
	s_cbranch_execz .LBB44_268
; %bb.260:
	s_mov_b32 s1, exec_lo
	v_cmpx_ge_u32_e64 v0, v5
	s_wait_alu 0xfffe
	s_xor_b32 s1, exec_lo, s1
	s_cbranch_execz .LBB44_266
; %bb.261:
	s_mov_b32 s3, exec_lo
	v_cmpx_ge_u32_e64 v0, v14
	s_wait_alu 0xfffe
	s_xor_b32 s3, exec_lo, s3
	s_cbranch_execz .LBB44_263
; %bb.262:
	v_lshlrev_b32_e32 v15, 2, v0
	ds_load_b32 v17, v15
	v_add_co_u32 v15, vcc_lo, v7, v0
	s_wait_alu 0xfffd
	v_add_co_ci_u32_e64 v16, null, 0, v13, vcc_lo
	s_delay_alu instid0(VALU_DEP_1) | instskip(NEXT) | instid1(VALU_DEP_1)
	v_lshlrev_b64_e32 v[15:16], 2, v[15:16]
	v_sub_co_u32 v15, vcc_lo, s14, v15
	s_wait_alu 0xfffd
	s_delay_alu instid0(VALU_DEP_2)
	v_sub_co_ci_u32_e64 v16, null, s15, v16, vcc_lo
	s_wait_dscnt 0x0
	global_store_b32 v[15:16], v17, off offset:-4
.LBB44_263:
	s_wait_alu 0xfffe
	s_and_not1_saveexec_b32 s3, s3
	s_cbranch_execz .LBB44_265
; %bb.264:
	v_lshlrev_b32_e32 v15, 2, v0
	v_readfirstlane_b32 s4, v9
	v_readfirstlane_b32 s5, v10
	ds_load_b32 v16, v15
	s_wait_dscnt 0x0
	global_store_b32 v15, v16, s[4:5]
.LBB44_265:
	s_wait_alu 0xfffe
	s_or_b32 exec_lo, exec_lo, s3
.LBB44_266:
	s_wait_alu 0xfffe
	s_and_not1_saveexec_b32 s1, s1
	s_cbranch_execz .LBB44_268
; %bb.267:
	v_lshlrev_b32_e32 v15, 2, v0
	v_readfirstlane_b32 s4, v11
	v_readfirstlane_b32 s5, v12
	ds_load_b32 v16, v15
	s_wait_dscnt 0x0
	global_store_b32 v15, v16, s[4:5]
.LBB44_268:
	s_wait_alu 0xfffe
	s_or_b32 exec_lo, exec_lo, s0
	s_delay_alu instid0(SALU_CYCLE_1)
	s_mov_b32 s0, exec_lo
	v_cmpx_gt_u32_e64 s27, v42
	s_cbranch_execz .LBB44_277
; %bb.269:
	s_mov_b32 s1, exec_lo
	v_cmpx_ge_u32_e64 v42, v5
	s_wait_alu 0xfffe
	s_xor_b32 s1, exec_lo, s1
	s_cbranch_execz .LBB44_275
; %bb.270:
	s_mov_b32 s3, exec_lo
	v_cmpx_ge_u32_e64 v42, v14
	s_wait_alu 0xfffe
	s_xor_b32 s3, exec_lo, s3
	s_cbranch_execz .LBB44_272
; %bb.271:
	v_lshlrev_b32_e32 v15, 2, v0
	ds_load_b32 v17, v15 offset:1024
	v_add_co_u32 v15, vcc_lo, v7, v0
	s_wait_alu 0xfffd
	v_add_co_ci_u32_e64 v16, null, 0, v13, vcc_lo
	s_delay_alu instid0(VALU_DEP_1) | instskip(NEXT) | instid1(VALU_DEP_1)
	v_lshlrev_b64_e32 v[15:16], 2, v[15:16]
	v_sub_co_u32 v15, vcc_lo, s14, v15
	s_wait_alu 0xfffd
	s_delay_alu instid0(VALU_DEP_2)
	v_sub_co_ci_u32_e64 v16, null, s15, v16, vcc_lo
	s_wait_dscnt 0x0
	global_store_b32 v[15:16], v17, off offset:-1028
.LBB44_272:
	s_wait_alu 0xfffe
	s_and_not1_saveexec_b32 s3, s3
	s_cbranch_execz .LBB44_274
; %bb.273:
	v_lshlrev_b32_e32 v15, 2, v0
	v_readfirstlane_b32 s4, v9
	v_readfirstlane_b32 s5, v10
	ds_load_b32 v16, v15 offset:1024
	s_wait_dscnt 0x0
	global_store_b32 v15, v16, s[4:5] offset:1024
.LBB44_274:
	s_wait_alu 0xfffe
	s_or_b32 exec_lo, exec_lo, s3
.LBB44_275:
	s_wait_alu 0xfffe
	s_and_not1_saveexec_b32 s1, s1
	s_cbranch_execz .LBB44_277
; %bb.276:
	v_lshlrev_b32_e32 v15, 2, v0
	v_readfirstlane_b32 s4, v11
	v_readfirstlane_b32 s5, v12
	ds_load_b32 v16, v15 offset:1024
	s_wait_dscnt 0x0
	global_store_b32 v15, v16, s[4:5] offset:1024
.LBB44_277:
	s_wait_alu 0xfffe
	s_or_b32 exec_lo, exec_lo, s0
	s_delay_alu instid0(SALU_CYCLE_1)
	s_mov_b32 s0, exec_lo
	v_cmpx_gt_u32_e64 s27, v41
	s_cbranch_execz .LBB44_286
; %bb.278:
	s_mov_b32 s1, exec_lo
	v_cmpx_ge_u32_e64 v41, v5
	s_wait_alu 0xfffe
	s_xor_b32 s1, exec_lo, s1
	s_cbranch_execz .LBB44_284
; %bb.279:
	s_mov_b32 s3, exec_lo
	v_cmpx_ge_u32_e64 v41, v14
	s_wait_alu 0xfffe
	s_xor_b32 s3, exec_lo, s3
	s_cbranch_execz .LBB44_281
; %bb.280:
	v_lshlrev_b32_e32 v15, 2, v0
	ds_load_b32 v17, v15 offset:2048
	v_add_co_u32 v15, vcc_lo, v7, v0
	s_wait_alu 0xfffd
	v_add_co_ci_u32_e64 v16, null, 0, v13, vcc_lo
	s_delay_alu instid0(VALU_DEP_1) | instskip(NEXT) | instid1(VALU_DEP_1)
	v_lshlrev_b64_e32 v[15:16], 2, v[15:16]
	v_sub_co_u32 v15, vcc_lo, s14, v15
	s_wait_alu 0xfffd
	s_delay_alu instid0(VALU_DEP_2)
	v_sub_co_ci_u32_e64 v16, null, s15, v16, vcc_lo
	s_wait_dscnt 0x0
	global_store_b32 v[15:16], v17, off offset:-2052
.LBB44_281:
	s_wait_alu 0xfffe
	s_and_not1_saveexec_b32 s3, s3
	s_cbranch_execz .LBB44_283
; %bb.282:
	v_lshlrev_b32_e32 v15, 2, v0
	v_readfirstlane_b32 s4, v9
	v_readfirstlane_b32 s5, v10
	ds_load_b32 v16, v15 offset:2048
	s_wait_dscnt 0x0
	global_store_b32 v15, v16, s[4:5] offset:2048
.LBB44_283:
	s_wait_alu 0xfffe
	s_or_b32 exec_lo, exec_lo, s3
.LBB44_284:
	s_wait_alu 0xfffe
	s_and_not1_saveexec_b32 s1, s1
	s_cbranch_execz .LBB44_286
; %bb.285:
	v_lshlrev_b32_e32 v15, 2, v0
	v_readfirstlane_b32 s4, v11
	v_readfirstlane_b32 s5, v12
	ds_load_b32 v16, v15 offset:2048
	s_wait_dscnt 0x0
	global_store_b32 v15, v16, s[4:5] offset:2048
.LBB44_286:
	s_wait_alu 0xfffe
	s_or_b32 exec_lo, exec_lo, s0
	s_delay_alu instid0(SALU_CYCLE_1)
	s_mov_b32 s0, exec_lo
	v_cmpx_gt_u32_e64 s27, v40
	s_cbranch_execz .LBB44_295
; %bb.287:
	s_mov_b32 s1, exec_lo
	v_cmpx_ge_u32_e64 v40, v5
	s_wait_alu 0xfffe
	s_xor_b32 s1, exec_lo, s1
	s_cbranch_execz .LBB44_293
; %bb.288:
	s_mov_b32 s3, exec_lo
	v_cmpx_ge_u32_e64 v40, v14
	s_wait_alu 0xfffe
	s_xor_b32 s3, exec_lo, s3
	s_cbranch_execz .LBB44_290
; %bb.289:
	v_lshlrev_b32_e32 v15, 2, v0
	ds_load_b32 v17, v15 offset:3072
	v_add_co_u32 v15, vcc_lo, v7, v0
	s_wait_alu 0xfffd
	v_add_co_ci_u32_e64 v16, null, 0, v13, vcc_lo
	s_delay_alu instid0(VALU_DEP_1) | instskip(NEXT) | instid1(VALU_DEP_1)
	v_lshlrev_b64_e32 v[15:16], 2, v[15:16]
	v_sub_co_u32 v15, vcc_lo, s14, v15
	s_wait_alu 0xfffd
	s_delay_alu instid0(VALU_DEP_2)
	v_sub_co_ci_u32_e64 v16, null, s15, v16, vcc_lo
	s_wait_dscnt 0x0
	global_store_b32 v[15:16], v17, off offset:-3076
.LBB44_290:
	s_wait_alu 0xfffe
	s_and_not1_saveexec_b32 s3, s3
	s_cbranch_execz .LBB44_292
; %bb.291:
	v_lshlrev_b32_e32 v15, 2, v0
	v_readfirstlane_b32 s4, v9
	v_readfirstlane_b32 s5, v10
	ds_load_b32 v16, v15 offset:3072
	s_wait_dscnt 0x0
	global_store_b32 v15, v16, s[4:5] offset:3072
.LBB44_292:
	s_wait_alu 0xfffe
	s_or_b32 exec_lo, exec_lo, s3
.LBB44_293:
	s_wait_alu 0xfffe
	s_and_not1_saveexec_b32 s1, s1
	s_cbranch_execz .LBB44_295
; %bb.294:
	v_lshlrev_b32_e32 v15, 2, v0
	v_readfirstlane_b32 s4, v11
	v_readfirstlane_b32 s5, v12
	ds_load_b32 v16, v15 offset:3072
	s_wait_dscnt 0x0
	global_store_b32 v15, v16, s[4:5] offset:3072
.LBB44_295:
	s_wait_alu 0xfffe
	s_or_b32 exec_lo, exec_lo, s0
	s_delay_alu instid0(SALU_CYCLE_1)
	s_mov_b32 s0, exec_lo
	v_cmpx_gt_u32_e64 s27, v39
	s_cbranch_execz .LBB44_304
; %bb.296:
	s_mov_b32 s1, exec_lo
	v_cmpx_ge_u32_e64 v39, v5
	s_wait_alu 0xfffe
	s_xor_b32 s1, exec_lo, s1
	s_cbranch_execz .LBB44_302
; %bb.297:
	s_mov_b32 s3, exec_lo
	v_cmpx_ge_u32_e64 v39, v14
	s_wait_alu 0xfffe
	s_xor_b32 s3, exec_lo, s3
	s_cbranch_execz .LBB44_299
; %bb.298:
	v_lshlrev_b32_e32 v15, 2, v0
	ds_load_b32 v17, v15 offset:4096
	v_add_co_u32 v15, vcc_lo, v7, v0
	s_wait_alu 0xfffd
	v_add_co_ci_u32_e64 v16, null, 0, v13, vcc_lo
	s_delay_alu instid0(VALU_DEP_1) | instskip(NEXT) | instid1(VALU_DEP_1)
	v_lshlrev_b64_e32 v[15:16], 2, v[15:16]
	v_sub_co_u32 v15, vcc_lo, s14, v15
	s_wait_alu 0xfffd
	s_delay_alu instid0(VALU_DEP_2)
	v_sub_co_ci_u32_e64 v16, null, s15, v16, vcc_lo
	s_wait_dscnt 0x0
	global_store_b32 v[15:16], v17, off offset:-4100
.LBB44_299:
	s_wait_alu 0xfffe
	s_and_not1_saveexec_b32 s3, s3
	s_cbranch_execz .LBB44_301
; %bb.300:
	v_lshlrev_b32_e32 v15, 2, v0
	v_readfirstlane_b32 s4, v9
	v_readfirstlane_b32 s5, v10
	ds_load_b32 v16, v15 offset:4096
	s_wait_dscnt 0x0
	global_store_b32 v15, v16, s[4:5] offset:4096
.LBB44_301:
	s_wait_alu 0xfffe
	s_or_b32 exec_lo, exec_lo, s3
.LBB44_302:
	s_wait_alu 0xfffe
	s_and_not1_saveexec_b32 s1, s1
	s_cbranch_execz .LBB44_304
; %bb.303:
	v_lshlrev_b32_e32 v15, 2, v0
	v_readfirstlane_b32 s4, v11
	v_readfirstlane_b32 s5, v12
	ds_load_b32 v16, v15 offset:4096
	s_wait_dscnt 0x0
	global_store_b32 v15, v16, s[4:5] offset:4096
.LBB44_304:
	s_wait_alu 0xfffe
	s_or_b32 exec_lo, exec_lo, s0
	s_delay_alu instid0(SALU_CYCLE_1)
	s_mov_b32 s0, exec_lo
	v_cmpx_gt_u32_e64 s27, v38
	s_cbranch_execz .LBB44_313
; %bb.305:
	s_mov_b32 s1, exec_lo
	v_cmpx_ge_u32_e64 v38, v5
	s_wait_alu 0xfffe
	s_xor_b32 s1, exec_lo, s1
	s_cbranch_execz .LBB44_311
; %bb.306:
	s_mov_b32 s3, exec_lo
	v_cmpx_ge_u32_e64 v38, v14
	s_wait_alu 0xfffe
	s_xor_b32 s3, exec_lo, s3
	s_cbranch_execz .LBB44_308
; %bb.307:
	v_lshlrev_b32_e32 v15, 2, v0
	ds_load_b32 v17, v15 offset:5120
	v_add_co_u32 v15, vcc_lo, v7, v0
	s_wait_alu 0xfffd
	v_add_co_ci_u32_e64 v16, null, 0, v13, vcc_lo
	s_delay_alu instid0(VALU_DEP_1) | instskip(NEXT) | instid1(VALU_DEP_1)
	v_lshlrev_b64_e32 v[15:16], 2, v[15:16]
	v_sub_co_u32 v15, vcc_lo, s14, v15
	s_wait_alu 0xfffd
	s_delay_alu instid0(VALU_DEP_2)
	v_sub_co_ci_u32_e64 v16, null, s15, v16, vcc_lo
	s_wait_dscnt 0x0
	global_store_b32 v[15:16], v17, off offset:-5124
.LBB44_308:
	s_wait_alu 0xfffe
	s_and_not1_saveexec_b32 s3, s3
	s_cbranch_execz .LBB44_310
; %bb.309:
	v_lshlrev_b32_e32 v15, 2, v0
	v_readfirstlane_b32 s4, v9
	v_readfirstlane_b32 s5, v10
	ds_load_b32 v16, v15 offset:5120
	s_wait_dscnt 0x0
	global_store_b32 v15, v16, s[4:5] offset:5120
.LBB44_310:
	s_wait_alu 0xfffe
	s_or_b32 exec_lo, exec_lo, s3
.LBB44_311:
	s_wait_alu 0xfffe
	s_and_not1_saveexec_b32 s1, s1
	s_cbranch_execz .LBB44_313
; %bb.312:
	v_lshlrev_b32_e32 v15, 2, v0
	v_readfirstlane_b32 s4, v11
	v_readfirstlane_b32 s5, v12
	ds_load_b32 v16, v15 offset:5120
	s_wait_dscnt 0x0
	global_store_b32 v15, v16, s[4:5] offset:5120
.LBB44_313:
	s_wait_alu 0xfffe
	s_or_b32 exec_lo, exec_lo, s0
	s_delay_alu instid0(SALU_CYCLE_1)
	s_mov_b32 s0, exec_lo
	v_cmpx_gt_u32_e64 s27, v37
	s_cbranch_execz .LBB44_322
; %bb.314:
	s_mov_b32 s1, exec_lo
	v_cmpx_ge_u32_e64 v37, v5
	s_wait_alu 0xfffe
	s_xor_b32 s1, exec_lo, s1
	s_cbranch_execz .LBB44_320
; %bb.315:
	s_mov_b32 s3, exec_lo
	v_cmpx_ge_u32_e64 v37, v14
	s_wait_alu 0xfffe
	s_xor_b32 s3, exec_lo, s3
	s_cbranch_execz .LBB44_317
; %bb.316:
	v_lshlrev_b32_e32 v15, 2, v0
	ds_load_b32 v17, v15 offset:6144
	v_add_co_u32 v15, vcc_lo, v7, v0
	s_wait_alu 0xfffd
	v_add_co_ci_u32_e64 v16, null, 0, v13, vcc_lo
	s_delay_alu instid0(VALU_DEP_1) | instskip(NEXT) | instid1(VALU_DEP_1)
	v_lshlrev_b64_e32 v[15:16], 2, v[15:16]
	v_sub_co_u32 v15, vcc_lo, s14, v15
	s_wait_alu 0xfffd
	s_delay_alu instid0(VALU_DEP_2)
	v_sub_co_ci_u32_e64 v16, null, s15, v16, vcc_lo
	s_wait_dscnt 0x0
	global_store_b32 v[15:16], v17, off offset:-6148
.LBB44_317:
	s_wait_alu 0xfffe
	s_and_not1_saveexec_b32 s3, s3
	s_cbranch_execz .LBB44_319
; %bb.318:
	v_lshlrev_b32_e32 v15, 2, v0
	v_readfirstlane_b32 s4, v9
	v_readfirstlane_b32 s5, v10
	ds_load_b32 v16, v15 offset:6144
	s_wait_dscnt 0x0
	global_store_b32 v15, v16, s[4:5] offset:6144
.LBB44_319:
	s_wait_alu 0xfffe
	s_or_b32 exec_lo, exec_lo, s3
.LBB44_320:
	s_wait_alu 0xfffe
	s_and_not1_saveexec_b32 s1, s1
	s_cbranch_execz .LBB44_322
; %bb.321:
	v_lshlrev_b32_e32 v15, 2, v0
	v_readfirstlane_b32 s4, v11
	v_readfirstlane_b32 s5, v12
	ds_load_b32 v16, v15 offset:6144
	s_wait_dscnt 0x0
	global_store_b32 v15, v16, s[4:5] offset:6144
.LBB44_322:
	s_wait_alu 0xfffe
	s_or_b32 exec_lo, exec_lo, s0
	s_delay_alu instid0(SALU_CYCLE_1)
	s_mov_b32 s0, exec_lo
	v_cmpx_gt_u32_e64 s27, v36
	s_cbranch_execz .LBB44_331
; %bb.323:
	s_mov_b32 s1, exec_lo
	v_cmpx_ge_u32_e64 v36, v5
	s_wait_alu 0xfffe
	s_xor_b32 s1, exec_lo, s1
	s_cbranch_execz .LBB44_329
; %bb.324:
	s_mov_b32 s3, exec_lo
	v_cmpx_ge_u32_e64 v36, v14
	s_wait_alu 0xfffe
	s_xor_b32 s3, exec_lo, s3
	s_cbranch_execz .LBB44_326
; %bb.325:
	v_lshlrev_b32_e32 v15, 2, v0
	ds_load_b32 v17, v15 offset:7168
	v_add_co_u32 v15, vcc_lo, v7, v0
	s_wait_alu 0xfffd
	v_add_co_ci_u32_e64 v16, null, 0, v13, vcc_lo
	s_delay_alu instid0(VALU_DEP_1) | instskip(NEXT) | instid1(VALU_DEP_1)
	v_lshlrev_b64_e32 v[15:16], 2, v[15:16]
	v_sub_co_u32 v15, vcc_lo, s14, v15
	s_wait_alu 0xfffd
	s_delay_alu instid0(VALU_DEP_2)
	v_sub_co_ci_u32_e64 v16, null, s15, v16, vcc_lo
	s_wait_dscnt 0x0
	global_store_b32 v[15:16], v17, off offset:-7172
.LBB44_326:
	s_wait_alu 0xfffe
	s_and_not1_saveexec_b32 s3, s3
	s_cbranch_execz .LBB44_328
; %bb.327:
	v_lshlrev_b32_e32 v15, 2, v0
	v_readfirstlane_b32 s4, v9
	v_readfirstlane_b32 s5, v10
	ds_load_b32 v16, v15 offset:7168
	s_wait_dscnt 0x0
	global_store_b32 v15, v16, s[4:5] offset:7168
.LBB44_328:
	s_wait_alu 0xfffe
	s_or_b32 exec_lo, exec_lo, s3
.LBB44_329:
	s_wait_alu 0xfffe
	s_and_not1_saveexec_b32 s1, s1
	s_cbranch_execz .LBB44_331
; %bb.330:
	v_lshlrev_b32_e32 v15, 2, v0
	v_readfirstlane_b32 s4, v11
	v_readfirstlane_b32 s5, v12
	ds_load_b32 v16, v15 offset:7168
	s_wait_dscnt 0x0
	global_store_b32 v15, v16, s[4:5] offset:7168
.LBB44_331:
	s_wait_alu 0xfffe
	s_or_b32 exec_lo, exec_lo, s0
	s_delay_alu instid0(SALU_CYCLE_1)
	s_mov_b32 s0, exec_lo
	v_cmpx_gt_u32_e64 s27, v35
	s_cbranch_execz .LBB44_340
; %bb.332:
	s_mov_b32 s1, exec_lo
	v_cmpx_ge_u32_e64 v35, v5
	s_wait_alu 0xfffe
	s_xor_b32 s1, exec_lo, s1
	s_cbranch_execz .LBB44_338
; %bb.333:
	s_mov_b32 s3, exec_lo
	v_cmpx_ge_u32_e64 v35, v14
	s_wait_alu 0xfffe
	s_xor_b32 s3, exec_lo, s3
	s_cbranch_execz .LBB44_335
; %bb.334:
	v_lshlrev_b32_e32 v15, 2, v0
	ds_load_b32 v17, v15 offset:8192
	v_add_co_u32 v15, vcc_lo, v7, v0
	s_wait_alu 0xfffd
	v_add_co_ci_u32_e64 v16, null, 0, v13, vcc_lo
	s_delay_alu instid0(VALU_DEP_1) | instskip(NEXT) | instid1(VALU_DEP_1)
	v_lshlrev_b64_e32 v[15:16], 2, v[15:16]
	v_sub_co_u32 v15, vcc_lo, s14, v15
	s_wait_alu 0xfffd
	s_delay_alu instid0(VALU_DEP_2)
	v_sub_co_ci_u32_e64 v16, null, s15, v16, vcc_lo
	s_wait_dscnt 0x0
	global_store_b32 v[15:16], v17, off offset:-8196
.LBB44_335:
	s_wait_alu 0xfffe
	s_and_not1_saveexec_b32 s3, s3
	s_cbranch_execz .LBB44_337
; %bb.336:
	v_lshlrev_b32_e32 v15, 2, v0
	v_readfirstlane_b32 s4, v9
	v_readfirstlane_b32 s5, v10
	ds_load_b32 v16, v15 offset:8192
	s_wait_dscnt 0x0
	global_store_b32 v15, v16, s[4:5] offset:8192
.LBB44_337:
	s_wait_alu 0xfffe
	s_or_b32 exec_lo, exec_lo, s3
.LBB44_338:
	s_wait_alu 0xfffe
	s_and_not1_saveexec_b32 s1, s1
	s_cbranch_execz .LBB44_340
; %bb.339:
	v_lshlrev_b32_e32 v15, 2, v0
	v_readfirstlane_b32 s4, v11
	v_readfirstlane_b32 s5, v12
	ds_load_b32 v16, v15 offset:8192
	s_wait_dscnt 0x0
	global_store_b32 v15, v16, s[4:5] offset:8192
.LBB44_340:
	s_wait_alu 0xfffe
	s_or_b32 exec_lo, exec_lo, s0
	s_delay_alu instid0(SALU_CYCLE_1)
	s_mov_b32 s0, exec_lo
	v_cmpx_gt_u32_e64 s27, v34
	s_cbranch_execz .LBB44_349
; %bb.341:
	s_mov_b32 s1, exec_lo
	v_cmpx_ge_u32_e64 v34, v5
	s_wait_alu 0xfffe
	s_xor_b32 s1, exec_lo, s1
	s_cbranch_execz .LBB44_347
; %bb.342:
	s_mov_b32 s3, exec_lo
	v_cmpx_ge_u32_e64 v34, v14
	s_wait_alu 0xfffe
	s_xor_b32 s3, exec_lo, s3
	s_cbranch_execz .LBB44_344
; %bb.343:
	v_lshlrev_b32_e32 v15, 2, v0
	ds_load_b32 v17, v15 offset:9216
	v_add_co_u32 v15, vcc_lo, v7, v0
	s_wait_alu 0xfffd
	v_add_co_ci_u32_e64 v16, null, 0, v13, vcc_lo
	s_delay_alu instid0(VALU_DEP_1) | instskip(NEXT) | instid1(VALU_DEP_1)
	v_lshlrev_b64_e32 v[15:16], 2, v[15:16]
	v_sub_co_u32 v15, vcc_lo, s14, v15
	s_wait_alu 0xfffd
	s_delay_alu instid0(VALU_DEP_2)
	v_sub_co_ci_u32_e64 v16, null, s15, v16, vcc_lo
	s_wait_dscnt 0x0
	global_store_b32 v[15:16], v17, off offset:-9220
.LBB44_344:
	s_wait_alu 0xfffe
	s_and_not1_saveexec_b32 s3, s3
	s_cbranch_execz .LBB44_346
; %bb.345:
	v_lshlrev_b32_e32 v15, 2, v0
	v_readfirstlane_b32 s4, v9
	v_readfirstlane_b32 s5, v10
	ds_load_b32 v16, v15 offset:9216
	s_wait_dscnt 0x0
	global_store_b32 v15, v16, s[4:5] offset:9216
.LBB44_346:
	s_wait_alu 0xfffe
	s_or_b32 exec_lo, exec_lo, s3
.LBB44_347:
	s_wait_alu 0xfffe
	s_and_not1_saveexec_b32 s1, s1
	s_cbranch_execz .LBB44_349
; %bb.348:
	v_lshlrev_b32_e32 v15, 2, v0
	v_readfirstlane_b32 s4, v11
	v_readfirstlane_b32 s5, v12
	ds_load_b32 v16, v15 offset:9216
	s_wait_dscnt 0x0
	global_store_b32 v15, v16, s[4:5] offset:9216
.LBB44_349:
	s_wait_alu 0xfffe
	s_or_b32 exec_lo, exec_lo, s0
	s_delay_alu instid0(SALU_CYCLE_1)
	s_mov_b32 s0, exec_lo
	v_cmpx_gt_u32_e64 s27, v33
	s_cbranch_execz .LBB44_358
; %bb.350:
	s_mov_b32 s1, exec_lo
	v_cmpx_ge_u32_e64 v33, v5
	s_wait_alu 0xfffe
	s_xor_b32 s1, exec_lo, s1
	s_cbranch_execz .LBB44_356
; %bb.351:
	s_mov_b32 s3, exec_lo
	v_cmpx_ge_u32_e64 v33, v14
	s_wait_alu 0xfffe
	s_xor_b32 s3, exec_lo, s3
	s_cbranch_execz .LBB44_353
; %bb.352:
	v_lshlrev_b32_e32 v15, 2, v0
	ds_load_b32 v17, v15 offset:10240
	v_add_co_u32 v15, vcc_lo, v7, v0
	s_wait_alu 0xfffd
	v_add_co_ci_u32_e64 v16, null, 0, v13, vcc_lo
	s_delay_alu instid0(VALU_DEP_1) | instskip(NEXT) | instid1(VALU_DEP_1)
	v_lshlrev_b64_e32 v[15:16], 2, v[15:16]
	v_sub_co_u32 v15, vcc_lo, s14, v15
	s_wait_alu 0xfffd
	s_delay_alu instid0(VALU_DEP_2)
	v_sub_co_ci_u32_e64 v16, null, s15, v16, vcc_lo
	s_wait_dscnt 0x0
	global_store_b32 v[15:16], v17, off offset:-10244
.LBB44_353:
	s_wait_alu 0xfffe
	s_and_not1_saveexec_b32 s3, s3
	s_cbranch_execz .LBB44_355
; %bb.354:
	v_lshlrev_b32_e32 v15, 2, v0
	v_readfirstlane_b32 s4, v9
	v_readfirstlane_b32 s5, v10
	ds_load_b32 v16, v15 offset:10240
	s_wait_dscnt 0x0
	global_store_b32 v15, v16, s[4:5] offset:10240
.LBB44_355:
	s_wait_alu 0xfffe
	s_or_b32 exec_lo, exec_lo, s3
.LBB44_356:
	s_wait_alu 0xfffe
	s_and_not1_saveexec_b32 s1, s1
	s_cbranch_execz .LBB44_358
; %bb.357:
	v_lshlrev_b32_e32 v15, 2, v0
	v_readfirstlane_b32 s4, v11
	v_readfirstlane_b32 s5, v12
	ds_load_b32 v16, v15 offset:10240
	s_wait_dscnt 0x0
	global_store_b32 v15, v16, s[4:5] offset:10240
.LBB44_358:
	s_wait_alu 0xfffe
	s_or_b32 exec_lo, exec_lo, s0
	s_delay_alu instid0(SALU_CYCLE_1)
	s_mov_b32 s0, exec_lo
	v_cmpx_gt_u32_e64 s27, v32
	s_cbranch_execz .LBB44_367
; %bb.359:
	s_mov_b32 s1, exec_lo
	v_cmpx_ge_u32_e64 v32, v5
	s_wait_alu 0xfffe
	s_xor_b32 s1, exec_lo, s1
	s_cbranch_execz .LBB44_365
; %bb.360:
	s_mov_b32 s3, exec_lo
	v_cmpx_ge_u32_e64 v32, v14
	s_wait_alu 0xfffe
	s_xor_b32 s3, exec_lo, s3
	s_cbranch_execz .LBB44_362
; %bb.361:
	v_lshlrev_b32_e32 v15, 2, v0
	ds_load_b32 v17, v15 offset:11264
	v_add_co_u32 v15, vcc_lo, v7, v0
	s_wait_alu 0xfffd
	v_add_co_ci_u32_e64 v16, null, 0, v13, vcc_lo
	s_delay_alu instid0(VALU_DEP_1) | instskip(NEXT) | instid1(VALU_DEP_1)
	v_lshlrev_b64_e32 v[15:16], 2, v[15:16]
	v_sub_co_u32 v15, vcc_lo, s14, v15
	s_wait_alu 0xfffd
	s_delay_alu instid0(VALU_DEP_2)
	v_sub_co_ci_u32_e64 v16, null, s15, v16, vcc_lo
	s_wait_dscnt 0x0
	global_store_b32 v[15:16], v17, off offset:-11268
.LBB44_362:
	s_wait_alu 0xfffe
	s_and_not1_saveexec_b32 s3, s3
	s_cbranch_execz .LBB44_364
; %bb.363:
	v_lshlrev_b32_e32 v15, 2, v0
	v_readfirstlane_b32 s4, v9
	v_readfirstlane_b32 s5, v10
	ds_load_b32 v16, v15 offset:11264
	s_wait_dscnt 0x0
	global_store_b32 v15, v16, s[4:5] offset:11264
.LBB44_364:
	s_wait_alu 0xfffe
	s_or_b32 exec_lo, exec_lo, s3
.LBB44_365:
	s_wait_alu 0xfffe
	s_and_not1_saveexec_b32 s1, s1
	s_cbranch_execz .LBB44_367
; %bb.366:
	v_lshlrev_b32_e32 v15, 2, v0
	v_readfirstlane_b32 s4, v11
	v_readfirstlane_b32 s5, v12
	ds_load_b32 v16, v15 offset:11264
	s_wait_dscnt 0x0
	global_store_b32 v15, v16, s[4:5] offset:11264
.LBB44_367:
	s_wait_alu 0xfffe
	s_or_b32 exec_lo, exec_lo, s0
	s_delay_alu instid0(SALU_CYCLE_1)
	s_mov_b32 s0, exec_lo
	v_cmpx_gt_u32_e64 s27, v31
	s_cbranch_execz .LBB44_376
; %bb.368:
	s_mov_b32 s1, exec_lo
	v_cmpx_ge_u32_e64 v31, v5
	s_wait_alu 0xfffe
	s_xor_b32 s1, exec_lo, s1
	s_cbranch_execz .LBB44_374
; %bb.369:
	s_mov_b32 s3, exec_lo
	v_cmpx_ge_u32_e64 v31, v14
	s_wait_alu 0xfffe
	s_xor_b32 s3, exec_lo, s3
	s_cbranch_execz .LBB44_371
; %bb.370:
	v_lshlrev_b32_e32 v9, 2, v0
	ds_load_b32 v11, v9 offset:12288
	v_add_co_u32 v9, vcc_lo, v7, v0
	s_wait_alu 0xfffd
	v_add_co_ci_u32_e64 v10, null, 0, v13, vcc_lo
                                        ; implicit-def: $vgpr0
	s_delay_alu instid0(VALU_DEP_1) | instskip(NEXT) | instid1(VALU_DEP_1)
	v_lshlrev_b64_e32 v[9:10], 2, v[9:10]
	v_sub_co_u32 v9, vcc_lo, s14, v9
	s_wait_alu 0xfffd
	s_delay_alu instid0(VALU_DEP_2)
	v_sub_co_ci_u32_e64 v10, null, s15, v10, vcc_lo
	s_wait_dscnt 0x0
	global_store_b32 v[9:10], v11, off offset:-12292
                                        ; implicit-def: $vgpr9_vgpr10
.LBB44_371:
	s_wait_alu 0xfffe
	s_and_not1_saveexec_b32 s3, s3
	s_cbranch_execz .LBB44_373
; %bb.372:
	v_lshlrev_b32_e32 v0, 2, v0
	v_readfirstlane_b32 s4, v9
	v_readfirstlane_b32 s5, v10
	ds_load_b32 v7, v0 offset:12288
	s_wait_dscnt 0x0
	global_store_b32 v0, v7, s[4:5] offset:12288
.LBB44_373:
	s_wait_alu 0xfffe
	s_or_b32 exec_lo, exec_lo, s3
                                        ; implicit-def: $vgpr0
                                        ; implicit-def: $vgpr11_vgpr12
.LBB44_374:
	s_wait_alu 0xfffe
	s_and_not1_saveexec_b32 s1, s1
	s_cbranch_execz .LBB44_376
; %bb.375:
	v_lshlrev_b32_e32 v0, 2, v0
	v_readfirstlane_b32 s4, v11
	v_readfirstlane_b32 s5, v12
	ds_load_b32 v7, v0 offset:12288
	s_wait_dscnt 0x0
	global_store_b32 v0, v7, s[4:5] offset:12288
.LBB44_376:
	s_wait_alu 0xfffe
	s_or_b32 exec_lo, exec_lo, s0
	s_and_b32 s0, s2, s26
	s_wait_alu 0xfffe
	s_and_saveexec_b32 s1, s0
	s_cbranch_execz .LBB44_153
.LBB44_377:
	v_add_co_u32 v0, vcc_lo, v3, v6
	s_wait_alu 0xfffd
	v_add_co_ci_u32_e64 v4, null, 0, v4, vcc_lo
	v_mov_b32_e32 v6, 0
	s_delay_alu instid0(VALU_DEP_3) | instskip(SKIP_1) | instid1(VALU_DEP_3)
	v_add_co_u32 v3, vcc_lo, v0, v8
	s_wait_alu 0xfffd
	v_add_co_ci_u32_e64 v4, null, 0, v4, vcc_lo
	v_add_co_u32 v1, vcc_lo, v1, v5
	s_wait_alu 0xfffd
	v_add_co_ci_u32_e64 v2, null, 0, v2, vcc_lo
	global_store_b128 v6, v[1:4], s[24:25]
	s_nop 0
	s_sendmsg sendmsg(MSG_DEALLOC_VGPRS)
	s_endpgm
.LBB44_378:
	s_add_co_i32 s6, s33, 32
	s_mov_b32 s7, 0
	v_dual_mov_b32 v11, 2 :: v_dual_add_nc_u32 v10, v8, v6
	s_wait_alu 0xfffe
	s_lshl_b64 s[6:7], s[6:7], 4
	v_dual_mov_b32 v12, 0 :: v_dual_add_nc_u32 v9, v7, v5
	s_wait_alu 0xfffe
	s_add_nc_u64 s[6:7], s[36:37], s[6:7]
	s_wait_alu 0xfffe
	v_dual_mov_b32 v28, s7 :: v_dual_mov_b32 v27, s6
	;;#ASMSTART
	global_store_b128 v[27:28], v[9:12] off scope:SCOPE_DEV	
s_wait_storecnt 0x0
	;;#ASMEND
	s_or_b32 exec_lo, exec_lo, s5
	s_and_saveexec_b32 s5, s3
	s_cbranch_execz .LBB44_138
.LBB44_379:
	v_mov_b32_e32 v9, 0
	ds_store_b128 v9, v[5:8] offset:13312
	s_wait_alu 0xfffe
	s_or_b32 exec_lo, exec_lo, s5
	s_delay_alu instid0(SALU_CYCLE_1)
	s_and_b32 exec_lo, exec_lo, s2
	s_cbranch_execnz .LBB44_139
	s_branch .LBB44_140
	.section	.rodata,"a",@progbits
	.p2align	6, 0x0
	.amdhsa_kernel _ZN7rocprim17ROCPRIM_400000_NS6detail17trampoline_kernelINS0_13select_configILj256ELj13ELNS0_17block_load_methodE3ELS4_3ELS4_3ELNS0_20block_scan_algorithmE0ELj4294967295EEENS1_25partition_config_selectorILNS1_17partition_subalgoE4EjNS0_10empty_typeEbEEZZNS1_14partition_implILS8_4ELb0ES6_15HIP_vector_typeIjLj2EENS0_17counting_iteratorIjlEEPS9_SG_NS0_5tupleIJPjSI_NS0_16reverse_iteratorISI_EEEEENSH_IJSG_SG_SG_EEES9_SI_JZNS1_25segmented_radix_sort_implINS0_14default_configELb1EPKhPhPKlPlN2at6native12_GLOBAL__N_18offset_tEEE10hipError_tPvRmT1_PNSt15iterator_traitsIS12_E10value_typeET2_T3_PNS13_IS18_E10value_typeET4_jRbjT5_S1E_jjP12ihipStream_tbEUljE_ZNSN_ISO_Lb1ESQ_SR_ST_SU_SY_EESZ_S10_S11_S12_S16_S17_S18_S1B_S1C_jS1D_jS1E_S1E_jjS1G_bEUljE0_EEESZ_S10_S11_S18_S1C_S1E_T6_T7_T9_mT8_S1G_bDpT10_ENKUlT_T0_E_clISt17integral_constantIbLb0EES1T_IbLb1EEEEDaS1P_S1Q_EUlS1P_E_NS1_11comp_targetILNS1_3genE10ELNS1_11target_archE1200ELNS1_3gpuE4ELNS1_3repE0EEENS1_30default_config_static_selectorELNS0_4arch9wavefront6targetE0EEEvS12_
		.amdhsa_group_segment_fixed_size 13328
		.amdhsa_private_segment_fixed_size 0
		.amdhsa_kernarg_size 184
		.amdhsa_user_sgpr_count 2
		.amdhsa_user_sgpr_dispatch_ptr 0
		.amdhsa_user_sgpr_queue_ptr 0
		.amdhsa_user_sgpr_kernarg_segment_ptr 1
		.amdhsa_user_sgpr_dispatch_id 0
		.amdhsa_user_sgpr_private_segment_size 0
		.amdhsa_wavefront_size32 1
		.amdhsa_uses_dynamic_stack 0
		.amdhsa_enable_private_segment 0
		.amdhsa_system_sgpr_workgroup_id_x 1
		.amdhsa_system_sgpr_workgroup_id_y 0
		.amdhsa_system_sgpr_workgroup_id_z 0
		.amdhsa_system_sgpr_workgroup_info 0
		.amdhsa_system_vgpr_workitem_id 0
		.amdhsa_next_free_vgpr 98
		.amdhsa_next_free_sgpr 55
		.amdhsa_reserve_vcc 1
		.amdhsa_float_round_mode_32 0
		.amdhsa_float_round_mode_16_64 0
		.amdhsa_float_denorm_mode_32 3
		.amdhsa_float_denorm_mode_16_64 3
		.amdhsa_fp16_overflow 0
		.amdhsa_workgroup_processor_mode 1
		.amdhsa_memory_ordered 1
		.amdhsa_forward_progress 1
		.amdhsa_inst_pref_size 151
		.amdhsa_round_robin_scheduling 0
		.amdhsa_exception_fp_ieee_invalid_op 0
		.amdhsa_exception_fp_denorm_src 0
		.amdhsa_exception_fp_ieee_div_zero 0
		.amdhsa_exception_fp_ieee_overflow 0
		.amdhsa_exception_fp_ieee_underflow 0
		.amdhsa_exception_fp_ieee_inexact 0
		.amdhsa_exception_int_div_zero 0
	.end_amdhsa_kernel
	.section	.text._ZN7rocprim17ROCPRIM_400000_NS6detail17trampoline_kernelINS0_13select_configILj256ELj13ELNS0_17block_load_methodE3ELS4_3ELS4_3ELNS0_20block_scan_algorithmE0ELj4294967295EEENS1_25partition_config_selectorILNS1_17partition_subalgoE4EjNS0_10empty_typeEbEEZZNS1_14partition_implILS8_4ELb0ES6_15HIP_vector_typeIjLj2EENS0_17counting_iteratorIjlEEPS9_SG_NS0_5tupleIJPjSI_NS0_16reverse_iteratorISI_EEEEENSH_IJSG_SG_SG_EEES9_SI_JZNS1_25segmented_radix_sort_implINS0_14default_configELb1EPKhPhPKlPlN2at6native12_GLOBAL__N_18offset_tEEE10hipError_tPvRmT1_PNSt15iterator_traitsIS12_E10value_typeET2_T3_PNS13_IS18_E10value_typeET4_jRbjT5_S1E_jjP12ihipStream_tbEUljE_ZNSN_ISO_Lb1ESQ_SR_ST_SU_SY_EESZ_S10_S11_S12_S16_S17_S18_S1B_S1C_jS1D_jS1E_S1E_jjS1G_bEUljE0_EEESZ_S10_S11_S18_S1C_S1E_T6_T7_T9_mT8_S1G_bDpT10_ENKUlT_T0_E_clISt17integral_constantIbLb0EES1T_IbLb1EEEEDaS1P_S1Q_EUlS1P_E_NS1_11comp_targetILNS1_3genE10ELNS1_11target_archE1200ELNS1_3gpuE4ELNS1_3repE0EEENS1_30default_config_static_selectorELNS0_4arch9wavefront6targetE0EEEvS12_,"axG",@progbits,_ZN7rocprim17ROCPRIM_400000_NS6detail17trampoline_kernelINS0_13select_configILj256ELj13ELNS0_17block_load_methodE3ELS4_3ELS4_3ELNS0_20block_scan_algorithmE0ELj4294967295EEENS1_25partition_config_selectorILNS1_17partition_subalgoE4EjNS0_10empty_typeEbEEZZNS1_14partition_implILS8_4ELb0ES6_15HIP_vector_typeIjLj2EENS0_17counting_iteratorIjlEEPS9_SG_NS0_5tupleIJPjSI_NS0_16reverse_iteratorISI_EEEEENSH_IJSG_SG_SG_EEES9_SI_JZNS1_25segmented_radix_sort_implINS0_14default_configELb1EPKhPhPKlPlN2at6native12_GLOBAL__N_18offset_tEEE10hipError_tPvRmT1_PNSt15iterator_traitsIS12_E10value_typeET2_T3_PNS13_IS18_E10value_typeET4_jRbjT5_S1E_jjP12ihipStream_tbEUljE_ZNSN_ISO_Lb1ESQ_SR_ST_SU_SY_EESZ_S10_S11_S12_S16_S17_S18_S1B_S1C_jS1D_jS1E_S1E_jjS1G_bEUljE0_EEESZ_S10_S11_S18_S1C_S1E_T6_T7_T9_mT8_S1G_bDpT10_ENKUlT_T0_E_clISt17integral_constantIbLb0EES1T_IbLb1EEEEDaS1P_S1Q_EUlS1P_E_NS1_11comp_targetILNS1_3genE10ELNS1_11target_archE1200ELNS1_3gpuE4ELNS1_3repE0EEENS1_30default_config_static_selectorELNS0_4arch9wavefront6targetE0EEEvS12_,comdat
.Lfunc_end44:
	.size	_ZN7rocprim17ROCPRIM_400000_NS6detail17trampoline_kernelINS0_13select_configILj256ELj13ELNS0_17block_load_methodE3ELS4_3ELS4_3ELNS0_20block_scan_algorithmE0ELj4294967295EEENS1_25partition_config_selectorILNS1_17partition_subalgoE4EjNS0_10empty_typeEbEEZZNS1_14partition_implILS8_4ELb0ES6_15HIP_vector_typeIjLj2EENS0_17counting_iteratorIjlEEPS9_SG_NS0_5tupleIJPjSI_NS0_16reverse_iteratorISI_EEEEENSH_IJSG_SG_SG_EEES9_SI_JZNS1_25segmented_radix_sort_implINS0_14default_configELb1EPKhPhPKlPlN2at6native12_GLOBAL__N_18offset_tEEE10hipError_tPvRmT1_PNSt15iterator_traitsIS12_E10value_typeET2_T3_PNS13_IS18_E10value_typeET4_jRbjT5_S1E_jjP12ihipStream_tbEUljE_ZNSN_ISO_Lb1ESQ_SR_ST_SU_SY_EESZ_S10_S11_S12_S16_S17_S18_S1B_S1C_jS1D_jS1E_S1E_jjS1G_bEUljE0_EEESZ_S10_S11_S18_S1C_S1E_T6_T7_T9_mT8_S1G_bDpT10_ENKUlT_T0_E_clISt17integral_constantIbLb0EES1T_IbLb1EEEEDaS1P_S1Q_EUlS1P_E_NS1_11comp_targetILNS1_3genE10ELNS1_11target_archE1200ELNS1_3gpuE4ELNS1_3repE0EEENS1_30default_config_static_selectorELNS0_4arch9wavefront6targetE0EEEvS12_, .Lfunc_end44-_ZN7rocprim17ROCPRIM_400000_NS6detail17trampoline_kernelINS0_13select_configILj256ELj13ELNS0_17block_load_methodE3ELS4_3ELS4_3ELNS0_20block_scan_algorithmE0ELj4294967295EEENS1_25partition_config_selectorILNS1_17partition_subalgoE4EjNS0_10empty_typeEbEEZZNS1_14partition_implILS8_4ELb0ES6_15HIP_vector_typeIjLj2EENS0_17counting_iteratorIjlEEPS9_SG_NS0_5tupleIJPjSI_NS0_16reverse_iteratorISI_EEEEENSH_IJSG_SG_SG_EEES9_SI_JZNS1_25segmented_radix_sort_implINS0_14default_configELb1EPKhPhPKlPlN2at6native12_GLOBAL__N_18offset_tEEE10hipError_tPvRmT1_PNSt15iterator_traitsIS12_E10value_typeET2_T3_PNS13_IS18_E10value_typeET4_jRbjT5_S1E_jjP12ihipStream_tbEUljE_ZNSN_ISO_Lb1ESQ_SR_ST_SU_SY_EESZ_S10_S11_S12_S16_S17_S18_S1B_S1C_jS1D_jS1E_S1E_jjS1G_bEUljE0_EEESZ_S10_S11_S18_S1C_S1E_T6_T7_T9_mT8_S1G_bDpT10_ENKUlT_T0_E_clISt17integral_constantIbLb0EES1T_IbLb1EEEEDaS1P_S1Q_EUlS1P_E_NS1_11comp_targetILNS1_3genE10ELNS1_11target_archE1200ELNS1_3gpuE4ELNS1_3repE0EEENS1_30default_config_static_selectorELNS0_4arch9wavefront6targetE0EEEvS12_
                                        ; -- End function
	.set _ZN7rocprim17ROCPRIM_400000_NS6detail17trampoline_kernelINS0_13select_configILj256ELj13ELNS0_17block_load_methodE3ELS4_3ELS4_3ELNS0_20block_scan_algorithmE0ELj4294967295EEENS1_25partition_config_selectorILNS1_17partition_subalgoE4EjNS0_10empty_typeEbEEZZNS1_14partition_implILS8_4ELb0ES6_15HIP_vector_typeIjLj2EENS0_17counting_iteratorIjlEEPS9_SG_NS0_5tupleIJPjSI_NS0_16reverse_iteratorISI_EEEEENSH_IJSG_SG_SG_EEES9_SI_JZNS1_25segmented_radix_sort_implINS0_14default_configELb1EPKhPhPKlPlN2at6native12_GLOBAL__N_18offset_tEEE10hipError_tPvRmT1_PNSt15iterator_traitsIS12_E10value_typeET2_T3_PNS13_IS18_E10value_typeET4_jRbjT5_S1E_jjP12ihipStream_tbEUljE_ZNSN_ISO_Lb1ESQ_SR_ST_SU_SY_EESZ_S10_S11_S12_S16_S17_S18_S1B_S1C_jS1D_jS1E_S1E_jjS1G_bEUljE0_EEESZ_S10_S11_S18_S1C_S1E_T6_T7_T9_mT8_S1G_bDpT10_ENKUlT_T0_E_clISt17integral_constantIbLb0EES1T_IbLb1EEEEDaS1P_S1Q_EUlS1P_E_NS1_11comp_targetILNS1_3genE10ELNS1_11target_archE1200ELNS1_3gpuE4ELNS1_3repE0EEENS1_30default_config_static_selectorELNS0_4arch9wavefront6targetE0EEEvS12_.num_vgpr, 98
	.set _ZN7rocprim17ROCPRIM_400000_NS6detail17trampoline_kernelINS0_13select_configILj256ELj13ELNS0_17block_load_methodE3ELS4_3ELS4_3ELNS0_20block_scan_algorithmE0ELj4294967295EEENS1_25partition_config_selectorILNS1_17partition_subalgoE4EjNS0_10empty_typeEbEEZZNS1_14partition_implILS8_4ELb0ES6_15HIP_vector_typeIjLj2EENS0_17counting_iteratorIjlEEPS9_SG_NS0_5tupleIJPjSI_NS0_16reverse_iteratorISI_EEEEENSH_IJSG_SG_SG_EEES9_SI_JZNS1_25segmented_radix_sort_implINS0_14default_configELb1EPKhPhPKlPlN2at6native12_GLOBAL__N_18offset_tEEE10hipError_tPvRmT1_PNSt15iterator_traitsIS12_E10value_typeET2_T3_PNS13_IS18_E10value_typeET4_jRbjT5_S1E_jjP12ihipStream_tbEUljE_ZNSN_ISO_Lb1ESQ_SR_ST_SU_SY_EESZ_S10_S11_S12_S16_S17_S18_S1B_S1C_jS1D_jS1E_S1E_jjS1G_bEUljE0_EEESZ_S10_S11_S18_S1C_S1E_T6_T7_T9_mT8_S1G_bDpT10_ENKUlT_T0_E_clISt17integral_constantIbLb0EES1T_IbLb1EEEEDaS1P_S1Q_EUlS1P_E_NS1_11comp_targetILNS1_3genE10ELNS1_11target_archE1200ELNS1_3gpuE4ELNS1_3repE0EEENS1_30default_config_static_selectorELNS0_4arch9wavefront6targetE0EEEvS12_.num_agpr, 0
	.set _ZN7rocprim17ROCPRIM_400000_NS6detail17trampoline_kernelINS0_13select_configILj256ELj13ELNS0_17block_load_methodE3ELS4_3ELS4_3ELNS0_20block_scan_algorithmE0ELj4294967295EEENS1_25partition_config_selectorILNS1_17partition_subalgoE4EjNS0_10empty_typeEbEEZZNS1_14partition_implILS8_4ELb0ES6_15HIP_vector_typeIjLj2EENS0_17counting_iteratorIjlEEPS9_SG_NS0_5tupleIJPjSI_NS0_16reverse_iteratorISI_EEEEENSH_IJSG_SG_SG_EEES9_SI_JZNS1_25segmented_radix_sort_implINS0_14default_configELb1EPKhPhPKlPlN2at6native12_GLOBAL__N_18offset_tEEE10hipError_tPvRmT1_PNSt15iterator_traitsIS12_E10value_typeET2_T3_PNS13_IS18_E10value_typeET4_jRbjT5_S1E_jjP12ihipStream_tbEUljE_ZNSN_ISO_Lb1ESQ_SR_ST_SU_SY_EESZ_S10_S11_S12_S16_S17_S18_S1B_S1C_jS1D_jS1E_S1E_jjS1G_bEUljE0_EEESZ_S10_S11_S18_S1C_S1E_T6_T7_T9_mT8_S1G_bDpT10_ENKUlT_T0_E_clISt17integral_constantIbLb0EES1T_IbLb1EEEEDaS1P_S1Q_EUlS1P_E_NS1_11comp_targetILNS1_3genE10ELNS1_11target_archE1200ELNS1_3gpuE4ELNS1_3repE0EEENS1_30default_config_static_selectorELNS0_4arch9wavefront6targetE0EEEvS12_.numbered_sgpr, 55
	.set _ZN7rocprim17ROCPRIM_400000_NS6detail17trampoline_kernelINS0_13select_configILj256ELj13ELNS0_17block_load_methodE3ELS4_3ELS4_3ELNS0_20block_scan_algorithmE0ELj4294967295EEENS1_25partition_config_selectorILNS1_17partition_subalgoE4EjNS0_10empty_typeEbEEZZNS1_14partition_implILS8_4ELb0ES6_15HIP_vector_typeIjLj2EENS0_17counting_iteratorIjlEEPS9_SG_NS0_5tupleIJPjSI_NS0_16reverse_iteratorISI_EEEEENSH_IJSG_SG_SG_EEES9_SI_JZNS1_25segmented_radix_sort_implINS0_14default_configELb1EPKhPhPKlPlN2at6native12_GLOBAL__N_18offset_tEEE10hipError_tPvRmT1_PNSt15iterator_traitsIS12_E10value_typeET2_T3_PNS13_IS18_E10value_typeET4_jRbjT5_S1E_jjP12ihipStream_tbEUljE_ZNSN_ISO_Lb1ESQ_SR_ST_SU_SY_EESZ_S10_S11_S12_S16_S17_S18_S1B_S1C_jS1D_jS1E_S1E_jjS1G_bEUljE0_EEESZ_S10_S11_S18_S1C_S1E_T6_T7_T9_mT8_S1G_bDpT10_ENKUlT_T0_E_clISt17integral_constantIbLb0EES1T_IbLb1EEEEDaS1P_S1Q_EUlS1P_E_NS1_11comp_targetILNS1_3genE10ELNS1_11target_archE1200ELNS1_3gpuE4ELNS1_3repE0EEENS1_30default_config_static_selectorELNS0_4arch9wavefront6targetE0EEEvS12_.num_named_barrier, 0
	.set _ZN7rocprim17ROCPRIM_400000_NS6detail17trampoline_kernelINS0_13select_configILj256ELj13ELNS0_17block_load_methodE3ELS4_3ELS4_3ELNS0_20block_scan_algorithmE0ELj4294967295EEENS1_25partition_config_selectorILNS1_17partition_subalgoE4EjNS0_10empty_typeEbEEZZNS1_14partition_implILS8_4ELb0ES6_15HIP_vector_typeIjLj2EENS0_17counting_iteratorIjlEEPS9_SG_NS0_5tupleIJPjSI_NS0_16reverse_iteratorISI_EEEEENSH_IJSG_SG_SG_EEES9_SI_JZNS1_25segmented_radix_sort_implINS0_14default_configELb1EPKhPhPKlPlN2at6native12_GLOBAL__N_18offset_tEEE10hipError_tPvRmT1_PNSt15iterator_traitsIS12_E10value_typeET2_T3_PNS13_IS18_E10value_typeET4_jRbjT5_S1E_jjP12ihipStream_tbEUljE_ZNSN_ISO_Lb1ESQ_SR_ST_SU_SY_EESZ_S10_S11_S12_S16_S17_S18_S1B_S1C_jS1D_jS1E_S1E_jjS1G_bEUljE0_EEESZ_S10_S11_S18_S1C_S1E_T6_T7_T9_mT8_S1G_bDpT10_ENKUlT_T0_E_clISt17integral_constantIbLb0EES1T_IbLb1EEEEDaS1P_S1Q_EUlS1P_E_NS1_11comp_targetILNS1_3genE10ELNS1_11target_archE1200ELNS1_3gpuE4ELNS1_3repE0EEENS1_30default_config_static_selectorELNS0_4arch9wavefront6targetE0EEEvS12_.private_seg_size, 0
	.set _ZN7rocprim17ROCPRIM_400000_NS6detail17trampoline_kernelINS0_13select_configILj256ELj13ELNS0_17block_load_methodE3ELS4_3ELS4_3ELNS0_20block_scan_algorithmE0ELj4294967295EEENS1_25partition_config_selectorILNS1_17partition_subalgoE4EjNS0_10empty_typeEbEEZZNS1_14partition_implILS8_4ELb0ES6_15HIP_vector_typeIjLj2EENS0_17counting_iteratorIjlEEPS9_SG_NS0_5tupleIJPjSI_NS0_16reverse_iteratorISI_EEEEENSH_IJSG_SG_SG_EEES9_SI_JZNS1_25segmented_radix_sort_implINS0_14default_configELb1EPKhPhPKlPlN2at6native12_GLOBAL__N_18offset_tEEE10hipError_tPvRmT1_PNSt15iterator_traitsIS12_E10value_typeET2_T3_PNS13_IS18_E10value_typeET4_jRbjT5_S1E_jjP12ihipStream_tbEUljE_ZNSN_ISO_Lb1ESQ_SR_ST_SU_SY_EESZ_S10_S11_S12_S16_S17_S18_S1B_S1C_jS1D_jS1E_S1E_jjS1G_bEUljE0_EEESZ_S10_S11_S18_S1C_S1E_T6_T7_T9_mT8_S1G_bDpT10_ENKUlT_T0_E_clISt17integral_constantIbLb0EES1T_IbLb1EEEEDaS1P_S1Q_EUlS1P_E_NS1_11comp_targetILNS1_3genE10ELNS1_11target_archE1200ELNS1_3gpuE4ELNS1_3repE0EEENS1_30default_config_static_selectorELNS0_4arch9wavefront6targetE0EEEvS12_.uses_vcc, 1
	.set _ZN7rocprim17ROCPRIM_400000_NS6detail17trampoline_kernelINS0_13select_configILj256ELj13ELNS0_17block_load_methodE3ELS4_3ELS4_3ELNS0_20block_scan_algorithmE0ELj4294967295EEENS1_25partition_config_selectorILNS1_17partition_subalgoE4EjNS0_10empty_typeEbEEZZNS1_14partition_implILS8_4ELb0ES6_15HIP_vector_typeIjLj2EENS0_17counting_iteratorIjlEEPS9_SG_NS0_5tupleIJPjSI_NS0_16reverse_iteratorISI_EEEEENSH_IJSG_SG_SG_EEES9_SI_JZNS1_25segmented_radix_sort_implINS0_14default_configELb1EPKhPhPKlPlN2at6native12_GLOBAL__N_18offset_tEEE10hipError_tPvRmT1_PNSt15iterator_traitsIS12_E10value_typeET2_T3_PNS13_IS18_E10value_typeET4_jRbjT5_S1E_jjP12ihipStream_tbEUljE_ZNSN_ISO_Lb1ESQ_SR_ST_SU_SY_EESZ_S10_S11_S12_S16_S17_S18_S1B_S1C_jS1D_jS1E_S1E_jjS1G_bEUljE0_EEESZ_S10_S11_S18_S1C_S1E_T6_T7_T9_mT8_S1G_bDpT10_ENKUlT_T0_E_clISt17integral_constantIbLb0EES1T_IbLb1EEEEDaS1P_S1Q_EUlS1P_E_NS1_11comp_targetILNS1_3genE10ELNS1_11target_archE1200ELNS1_3gpuE4ELNS1_3repE0EEENS1_30default_config_static_selectorELNS0_4arch9wavefront6targetE0EEEvS12_.uses_flat_scratch, 0
	.set _ZN7rocprim17ROCPRIM_400000_NS6detail17trampoline_kernelINS0_13select_configILj256ELj13ELNS0_17block_load_methodE3ELS4_3ELS4_3ELNS0_20block_scan_algorithmE0ELj4294967295EEENS1_25partition_config_selectorILNS1_17partition_subalgoE4EjNS0_10empty_typeEbEEZZNS1_14partition_implILS8_4ELb0ES6_15HIP_vector_typeIjLj2EENS0_17counting_iteratorIjlEEPS9_SG_NS0_5tupleIJPjSI_NS0_16reverse_iteratorISI_EEEEENSH_IJSG_SG_SG_EEES9_SI_JZNS1_25segmented_radix_sort_implINS0_14default_configELb1EPKhPhPKlPlN2at6native12_GLOBAL__N_18offset_tEEE10hipError_tPvRmT1_PNSt15iterator_traitsIS12_E10value_typeET2_T3_PNS13_IS18_E10value_typeET4_jRbjT5_S1E_jjP12ihipStream_tbEUljE_ZNSN_ISO_Lb1ESQ_SR_ST_SU_SY_EESZ_S10_S11_S12_S16_S17_S18_S1B_S1C_jS1D_jS1E_S1E_jjS1G_bEUljE0_EEESZ_S10_S11_S18_S1C_S1E_T6_T7_T9_mT8_S1G_bDpT10_ENKUlT_T0_E_clISt17integral_constantIbLb0EES1T_IbLb1EEEEDaS1P_S1Q_EUlS1P_E_NS1_11comp_targetILNS1_3genE10ELNS1_11target_archE1200ELNS1_3gpuE4ELNS1_3repE0EEENS1_30default_config_static_selectorELNS0_4arch9wavefront6targetE0EEEvS12_.has_dyn_sized_stack, 0
	.set _ZN7rocprim17ROCPRIM_400000_NS6detail17trampoline_kernelINS0_13select_configILj256ELj13ELNS0_17block_load_methodE3ELS4_3ELS4_3ELNS0_20block_scan_algorithmE0ELj4294967295EEENS1_25partition_config_selectorILNS1_17partition_subalgoE4EjNS0_10empty_typeEbEEZZNS1_14partition_implILS8_4ELb0ES6_15HIP_vector_typeIjLj2EENS0_17counting_iteratorIjlEEPS9_SG_NS0_5tupleIJPjSI_NS0_16reverse_iteratorISI_EEEEENSH_IJSG_SG_SG_EEES9_SI_JZNS1_25segmented_radix_sort_implINS0_14default_configELb1EPKhPhPKlPlN2at6native12_GLOBAL__N_18offset_tEEE10hipError_tPvRmT1_PNSt15iterator_traitsIS12_E10value_typeET2_T3_PNS13_IS18_E10value_typeET4_jRbjT5_S1E_jjP12ihipStream_tbEUljE_ZNSN_ISO_Lb1ESQ_SR_ST_SU_SY_EESZ_S10_S11_S12_S16_S17_S18_S1B_S1C_jS1D_jS1E_S1E_jjS1G_bEUljE0_EEESZ_S10_S11_S18_S1C_S1E_T6_T7_T9_mT8_S1G_bDpT10_ENKUlT_T0_E_clISt17integral_constantIbLb0EES1T_IbLb1EEEEDaS1P_S1Q_EUlS1P_E_NS1_11comp_targetILNS1_3genE10ELNS1_11target_archE1200ELNS1_3gpuE4ELNS1_3repE0EEENS1_30default_config_static_selectorELNS0_4arch9wavefront6targetE0EEEvS12_.has_recursion, 0
	.set _ZN7rocprim17ROCPRIM_400000_NS6detail17trampoline_kernelINS0_13select_configILj256ELj13ELNS0_17block_load_methodE3ELS4_3ELS4_3ELNS0_20block_scan_algorithmE0ELj4294967295EEENS1_25partition_config_selectorILNS1_17partition_subalgoE4EjNS0_10empty_typeEbEEZZNS1_14partition_implILS8_4ELb0ES6_15HIP_vector_typeIjLj2EENS0_17counting_iteratorIjlEEPS9_SG_NS0_5tupleIJPjSI_NS0_16reverse_iteratorISI_EEEEENSH_IJSG_SG_SG_EEES9_SI_JZNS1_25segmented_radix_sort_implINS0_14default_configELb1EPKhPhPKlPlN2at6native12_GLOBAL__N_18offset_tEEE10hipError_tPvRmT1_PNSt15iterator_traitsIS12_E10value_typeET2_T3_PNS13_IS18_E10value_typeET4_jRbjT5_S1E_jjP12ihipStream_tbEUljE_ZNSN_ISO_Lb1ESQ_SR_ST_SU_SY_EESZ_S10_S11_S12_S16_S17_S18_S1B_S1C_jS1D_jS1E_S1E_jjS1G_bEUljE0_EEESZ_S10_S11_S18_S1C_S1E_T6_T7_T9_mT8_S1G_bDpT10_ENKUlT_T0_E_clISt17integral_constantIbLb0EES1T_IbLb1EEEEDaS1P_S1Q_EUlS1P_E_NS1_11comp_targetILNS1_3genE10ELNS1_11target_archE1200ELNS1_3gpuE4ELNS1_3repE0EEENS1_30default_config_static_selectorELNS0_4arch9wavefront6targetE0EEEvS12_.has_indirect_call, 0
	.section	.AMDGPU.csdata,"",@progbits
; Kernel info:
; codeLenInByte = 19208
; TotalNumSgprs: 57
; NumVgprs: 98
; ScratchSize: 0
; MemoryBound: 0
; FloatMode: 240
; IeeeMode: 1
; LDSByteSize: 13328 bytes/workgroup (compile time only)
; SGPRBlocks: 0
; VGPRBlocks: 12
; NumSGPRsForWavesPerEU: 57
; NumVGPRsForWavesPerEU: 98
; Occupancy: 12
; WaveLimiterHint : 1
; COMPUTE_PGM_RSRC2:SCRATCH_EN: 0
; COMPUTE_PGM_RSRC2:USER_SGPR: 2
; COMPUTE_PGM_RSRC2:TRAP_HANDLER: 0
; COMPUTE_PGM_RSRC2:TGID_X_EN: 1
; COMPUTE_PGM_RSRC2:TGID_Y_EN: 0
; COMPUTE_PGM_RSRC2:TGID_Z_EN: 0
; COMPUTE_PGM_RSRC2:TIDIG_COMP_CNT: 0
	.section	.text._ZN7rocprim17ROCPRIM_400000_NS6detail17trampoline_kernelINS0_13select_configILj256ELj13ELNS0_17block_load_methodE3ELS4_3ELS4_3ELNS0_20block_scan_algorithmE0ELj4294967295EEENS1_25partition_config_selectorILNS1_17partition_subalgoE4EjNS0_10empty_typeEbEEZZNS1_14partition_implILS8_4ELb0ES6_15HIP_vector_typeIjLj2EENS0_17counting_iteratorIjlEEPS9_SG_NS0_5tupleIJPjSI_NS0_16reverse_iteratorISI_EEEEENSH_IJSG_SG_SG_EEES9_SI_JZNS1_25segmented_radix_sort_implINS0_14default_configELb1EPKhPhPKlPlN2at6native12_GLOBAL__N_18offset_tEEE10hipError_tPvRmT1_PNSt15iterator_traitsIS12_E10value_typeET2_T3_PNS13_IS18_E10value_typeET4_jRbjT5_S1E_jjP12ihipStream_tbEUljE_ZNSN_ISO_Lb1ESQ_SR_ST_SU_SY_EESZ_S10_S11_S12_S16_S17_S18_S1B_S1C_jS1D_jS1E_S1E_jjS1G_bEUljE0_EEESZ_S10_S11_S18_S1C_S1E_T6_T7_T9_mT8_S1G_bDpT10_ENKUlT_T0_E_clISt17integral_constantIbLb0EES1T_IbLb1EEEEDaS1P_S1Q_EUlS1P_E_NS1_11comp_targetILNS1_3genE9ELNS1_11target_archE1100ELNS1_3gpuE3ELNS1_3repE0EEENS1_30default_config_static_selectorELNS0_4arch9wavefront6targetE0EEEvS12_,"axG",@progbits,_ZN7rocprim17ROCPRIM_400000_NS6detail17trampoline_kernelINS0_13select_configILj256ELj13ELNS0_17block_load_methodE3ELS4_3ELS4_3ELNS0_20block_scan_algorithmE0ELj4294967295EEENS1_25partition_config_selectorILNS1_17partition_subalgoE4EjNS0_10empty_typeEbEEZZNS1_14partition_implILS8_4ELb0ES6_15HIP_vector_typeIjLj2EENS0_17counting_iteratorIjlEEPS9_SG_NS0_5tupleIJPjSI_NS0_16reverse_iteratorISI_EEEEENSH_IJSG_SG_SG_EEES9_SI_JZNS1_25segmented_radix_sort_implINS0_14default_configELb1EPKhPhPKlPlN2at6native12_GLOBAL__N_18offset_tEEE10hipError_tPvRmT1_PNSt15iterator_traitsIS12_E10value_typeET2_T3_PNS13_IS18_E10value_typeET4_jRbjT5_S1E_jjP12ihipStream_tbEUljE_ZNSN_ISO_Lb1ESQ_SR_ST_SU_SY_EESZ_S10_S11_S12_S16_S17_S18_S1B_S1C_jS1D_jS1E_S1E_jjS1G_bEUljE0_EEESZ_S10_S11_S18_S1C_S1E_T6_T7_T9_mT8_S1G_bDpT10_ENKUlT_T0_E_clISt17integral_constantIbLb0EES1T_IbLb1EEEEDaS1P_S1Q_EUlS1P_E_NS1_11comp_targetILNS1_3genE9ELNS1_11target_archE1100ELNS1_3gpuE3ELNS1_3repE0EEENS1_30default_config_static_selectorELNS0_4arch9wavefront6targetE0EEEvS12_,comdat
	.globl	_ZN7rocprim17ROCPRIM_400000_NS6detail17trampoline_kernelINS0_13select_configILj256ELj13ELNS0_17block_load_methodE3ELS4_3ELS4_3ELNS0_20block_scan_algorithmE0ELj4294967295EEENS1_25partition_config_selectorILNS1_17partition_subalgoE4EjNS0_10empty_typeEbEEZZNS1_14partition_implILS8_4ELb0ES6_15HIP_vector_typeIjLj2EENS0_17counting_iteratorIjlEEPS9_SG_NS0_5tupleIJPjSI_NS0_16reverse_iteratorISI_EEEEENSH_IJSG_SG_SG_EEES9_SI_JZNS1_25segmented_radix_sort_implINS0_14default_configELb1EPKhPhPKlPlN2at6native12_GLOBAL__N_18offset_tEEE10hipError_tPvRmT1_PNSt15iterator_traitsIS12_E10value_typeET2_T3_PNS13_IS18_E10value_typeET4_jRbjT5_S1E_jjP12ihipStream_tbEUljE_ZNSN_ISO_Lb1ESQ_SR_ST_SU_SY_EESZ_S10_S11_S12_S16_S17_S18_S1B_S1C_jS1D_jS1E_S1E_jjS1G_bEUljE0_EEESZ_S10_S11_S18_S1C_S1E_T6_T7_T9_mT8_S1G_bDpT10_ENKUlT_T0_E_clISt17integral_constantIbLb0EES1T_IbLb1EEEEDaS1P_S1Q_EUlS1P_E_NS1_11comp_targetILNS1_3genE9ELNS1_11target_archE1100ELNS1_3gpuE3ELNS1_3repE0EEENS1_30default_config_static_selectorELNS0_4arch9wavefront6targetE0EEEvS12_ ; -- Begin function _ZN7rocprim17ROCPRIM_400000_NS6detail17trampoline_kernelINS0_13select_configILj256ELj13ELNS0_17block_load_methodE3ELS4_3ELS4_3ELNS0_20block_scan_algorithmE0ELj4294967295EEENS1_25partition_config_selectorILNS1_17partition_subalgoE4EjNS0_10empty_typeEbEEZZNS1_14partition_implILS8_4ELb0ES6_15HIP_vector_typeIjLj2EENS0_17counting_iteratorIjlEEPS9_SG_NS0_5tupleIJPjSI_NS0_16reverse_iteratorISI_EEEEENSH_IJSG_SG_SG_EEES9_SI_JZNS1_25segmented_radix_sort_implINS0_14default_configELb1EPKhPhPKlPlN2at6native12_GLOBAL__N_18offset_tEEE10hipError_tPvRmT1_PNSt15iterator_traitsIS12_E10value_typeET2_T3_PNS13_IS18_E10value_typeET4_jRbjT5_S1E_jjP12ihipStream_tbEUljE_ZNSN_ISO_Lb1ESQ_SR_ST_SU_SY_EESZ_S10_S11_S12_S16_S17_S18_S1B_S1C_jS1D_jS1E_S1E_jjS1G_bEUljE0_EEESZ_S10_S11_S18_S1C_S1E_T6_T7_T9_mT8_S1G_bDpT10_ENKUlT_T0_E_clISt17integral_constantIbLb0EES1T_IbLb1EEEEDaS1P_S1Q_EUlS1P_E_NS1_11comp_targetILNS1_3genE9ELNS1_11target_archE1100ELNS1_3gpuE3ELNS1_3repE0EEENS1_30default_config_static_selectorELNS0_4arch9wavefront6targetE0EEEvS12_
	.p2align	8
	.type	_ZN7rocprim17ROCPRIM_400000_NS6detail17trampoline_kernelINS0_13select_configILj256ELj13ELNS0_17block_load_methodE3ELS4_3ELS4_3ELNS0_20block_scan_algorithmE0ELj4294967295EEENS1_25partition_config_selectorILNS1_17partition_subalgoE4EjNS0_10empty_typeEbEEZZNS1_14partition_implILS8_4ELb0ES6_15HIP_vector_typeIjLj2EENS0_17counting_iteratorIjlEEPS9_SG_NS0_5tupleIJPjSI_NS0_16reverse_iteratorISI_EEEEENSH_IJSG_SG_SG_EEES9_SI_JZNS1_25segmented_radix_sort_implINS0_14default_configELb1EPKhPhPKlPlN2at6native12_GLOBAL__N_18offset_tEEE10hipError_tPvRmT1_PNSt15iterator_traitsIS12_E10value_typeET2_T3_PNS13_IS18_E10value_typeET4_jRbjT5_S1E_jjP12ihipStream_tbEUljE_ZNSN_ISO_Lb1ESQ_SR_ST_SU_SY_EESZ_S10_S11_S12_S16_S17_S18_S1B_S1C_jS1D_jS1E_S1E_jjS1G_bEUljE0_EEESZ_S10_S11_S18_S1C_S1E_T6_T7_T9_mT8_S1G_bDpT10_ENKUlT_T0_E_clISt17integral_constantIbLb0EES1T_IbLb1EEEEDaS1P_S1Q_EUlS1P_E_NS1_11comp_targetILNS1_3genE9ELNS1_11target_archE1100ELNS1_3gpuE3ELNS1_3repE0EEENS1_30default_config_static_selectorELNS0_4arch9wavefront6targetE0EEEvS12_,@function
_ZN7rocprim17ROCPRIM_400000_NS6detail17trampoline_kernelINS0_13select_configILj256ELj13ELNS0_17block_load_methodE3ELS4_3ELS4_3ELNS0_20block_scan_algorithmE0ELj4294967295EEENS1_25partition_config_selectorILNS1_17partition_subalgoE4EjNS0_10empty_typeEbEEZZNS1_14partition_implILS8_4ELb0ES6_15HIP_vector_typeIjLj2EENS0_17counting_iteratorIjlEEPS9_SG_NS0_5tupleIJPjSI_NS0_16reverse_iteratorISI_EEEEENSH_IJSG_SG_SG_EEES9_SI_JZNS1_25segmented_radix_sort_implINS0_14default_configELb1EPKhPhPKlPlN2at6native12_GLOBAL__N_18offset_tEEE10hipError_tPvRmT1_PNSt15iterator_traitsIS12_E10value_typeET2_T3_PNS13_IS18_E10value_typeET4_jRbjT5_S1E_jjP12ihipStream_tbEUljE_ZNSN_ISO_Lb1ESQ_SR_ST_SU_SY_EESZ_S10_S11_S12_S16_S17_S18_S1B_S1C_jS1D_jS1E_S1E_jjS1G_bEUljE0_EEESZ_S10_S11_S18_S1C_S1E_T6_T7_T9_mT8_S1G_bDpT10_ENKUlT_T0_E_clISt17integral_constantIbLb0EES1T_IbLb1EEEEDaS1P_S1Q_EUlS1P_E_NS1_11comp_targetILNS1_3genE9ELNS1_11target_archE1100ELNS1_3gpuE3ELNS1_3repE0EEENS1_30default_config_static_selectorELNS0_4arch9wavefront6targetE0EEEvS12_: ; @_ZN7rocprim17ROCPRIM_400000_NS6detail17trampoline_kernelINS0_13select_configILj256ELj13ELNS0_17block_load_methodE3ELS4_3ELS4_3ELNS0_20block_scan_algorithmE0ELj4294967295EEENS1_25partition_config_selectorILNS1_17partition_subalgoE4EjNS0_10empty_typeEbEEZZNS1_14partition_implILS8_4ELb0ES6_15HIP_vector_typeIjLj2EENS0_17counting_iteratorIjlEEPS9_SG_NS0_5tupleIJPjSI_NS0_16reverse_iteratorISI_EEEEENSH_IJSG_SG_SG_EEES9_SI_JZNS1_25segmented_radix_sort_implINS0_14default_configELb1EPKhPhPKlPlN2at6native12_GLOBAL__N_18offset_tEEE10hipError_tPvRmT1_PNSt15iterator_traitsIS12_E10value_typeET2_T3_PNS13_IS18_E10value_typeET4_jRbjT5_S1E_jjP12ihipStream_tbEUljE_ZNSN_ISO_Lb1ESQ_SR_ST_SU_SY_EESZ_S10_S11_S12_S16_S17_S18_S1B_S1C_jS1D_jS1E_S1E_jjS1G_bEUljE0_EEESZ_S10_S11_S18_S1C_S1E_T6_T7_T9_mT8_S1G_bDpT10_ENKUlT_T0_E_clISt17integral_constantIbLb0EES1T_IbLb1EEEEDaS1P_S1Q_EUlS1P_E_NS1_11comp_targetILNS1_3genE9ELNS1_11target_archE1100ELNS1_3gpuE3ELNS1_3repE0EEENS1_30default_config_static_selectorELNS0_4arch9wavefront6targetE0EEEvS12_
; %bb.0:
	.section	.rodata,"a",@progbits
	.p2align	6, 0x0
	.amdhsa_kernel _ZN7rocprim17ROCPRIM_400000_NS6detail17trampoline_kernelINS0_13select_configILj256ELj13ELNS0_17block_load_methodE3ELS4_3ELS4_3ELNS0_20block_scan_algorithmE0ELj4294967295EEENS1_25partition_config_selectorILNS1_17partition_subalgoE4EjNS0_10empty_typeEbEEZZNS1_14partition_implILS8_4ELb0ES6_15HIP_vector_typeIjLj2EENS0_17counting_iteratorIjlEEPS9_SG_NS0_5tupleIJPjSI_NS0_16reverse_iteratorISI_EEEEENSH_IJSG_SG_SG_EEES9_SI_JZNS1_25segmented_radix_sort_implINS0_14default_configELb1EPKhPhPKlPlN2at6native12_GLOBAL__N_18offset_tEEE10hipError_tPvRmT1_PNSt15iterator_traitsIS12_E10value_typeET2_T3_PNS13_IS18_E10value_typeET4_jRbjT5_S1E_jjP12ihipStream_tbEUljE_ZNSN_ISO_Lb1ESQ_SR_ST_SU_SY_EESZ_S10_S11_S12_S16_S17_S18_S1B_S1C_jS1D_jS1E_S1E_jjS1G_bEUljE0_EEESZ_S10_S11_S18_S1C_S1E_T6_T7_T9_mT8_S1G_bDpT10_ENKUlT_T0_E_clISt17integral_constantIbLb0EES1T_IbLb1EEEEDaS1P_S1Q_EUlS1P_E_NS1_11comp_targetILNS1_3genE9ELNS1_11target_archE1100ELNS1_3gpuE3ELNS1_3repE0EEENS1_30default_config_static_selectorELNS0_4arch9wavefront6targetE0EEEvS12_
		.amdhsa_group_segment_fixed_size 0
		.amdhsa_private_segment_fixed_size 0
		.amdhsa_kernarg_size 184
		.amdhsa_user_sgpr_count 2
		.amdhsa_user_sgpr_dispatch_ptr 0
		.amdhsa_user_sgpr_queue_ptr 0
		.amdhsa_user_sgpr_kernarg_segment_ptr 1
		.amdhsa_user_sgpr_dispatch_id 0
		.amdhsa_user_sgpr_private_segment_size 0
		.amdhsa_wavefront_size32 1
		.amdhsa_uses_dynamic_stack 0
		.amdhsa_enable_private_segment 0
		.amdhsa_system_sgpr_workgroup_id_x 1
		.amdhsa_system_sgpr_workgroup_id_y 0
		.amdhsa_system_sgpr_workgroup_id_z 0
		.amdhsa_system_sgpr_workgroup_info 0
		.amdhsa_system_vgpr_workitem_id 0
		.amdhsa_next_free_vgpr 1
		.amdhsa_next_free_sgpr 1
		.amdhsa_reserve_vcc 0
		.amdhsa_float_round_mode_32 0
		.amdhsa_float_round_mode_16_64 0
		.amdhsa_float_denorm_mode_32 3
		.amdhsa_float_denorm_mode_16_64 3
		.amdhsa_fp16_overflow 0
		.amdhsa_workgroup_processor_mode 1
		.amdhsa_memory_ordered 1
		.amdhsa_forward_progress 1
		.amdhsa_inst_pref_size 0
		.amdhsa_round_robin_scheduling 0
		.amdhsa_exception_fp_ieee_invalid_op 0
		.amdhsa_exception_fp_denorm_src 0
		.amdhsa_exception_fp_ieee_div_zero 0
		.amdhsa_exception_fp_ieee_overflow 0
		.amdhsa_exception_fp_ieee_underflow 0
		.amdhsa_exception_fp_ieee_inexact 0
		.amdhsa_exception_int_div_zero 0
	.end_amdhsa_kernel
	.section	.text._ZN7rocprim17ROCPRIM_400000_NS6detail17trampoline_kernelINS0_13select_configILj256ELj13ELNS0_17block_load_methodE3ELS4_3ELS4_3ELNS0_20block_scan_algorithmE0ELj4294967295EEENS1_25partition_config_selectorILNS1_17partition_subalgoE4EjNS0_10empty_typeEbEEZZNS1_14partition_implILS8_4ELb0ES6_15HIP_vector_typeIjLj2EENS0_17counting_iteratorIjlEEPS9_SG_NS0_5tupleIJPjSI_NS0_16reverse_iteratorISI_EEEEENSH_IJSG_SG_SG_EEES9_SI_JZNS1_25segmented_radix_sort_implINS0_14default_configELb1EPKhPhPKlPlN2at6native12_GLOBAL__N_18offset_tEEE10hipError_tPvRmT1_PNSt15iterator_traitsIS12_E10value_typeET2_T3_PNS13_IS18_E10value_typeET4_jRbjT5_S1E_jjP12ihipStream_tbEUljE_ZNSN_ISO_Lb1ESQ_SR_ST_SU_SY_EESZ_S10_S11_S12_S16_S17_S18_S1B_S1C_jS1D_jS1E_S1E_jjS1G_bEUljE0_EEESZ_S10_S11_S18_S1C_S1E_T6_T7_T9_mT8_S1G_bDpT10_ENKUlT_T0_E_clISt17integral_constantIbLb0EES1T_IbLb1EEEEDaS1P_S1Q_EUlS1P_E_NS1_11comp_targetILNS1_3genE9ELNS1_11target_archE1100ELNS1_3gpuE3ELNS1_3repE0EEENS1_30default_config_static_selectorELNS0_4arch9wavefront6targetE0EEEvS12_,"axG",@progbits,_ZN7rocprim17ROCPRIM_400000_NS6detail17trampoline_kernelINS0_13select_configILj256ELj13ELNS0_17block_load_methodE3ELS4_3ELS4_3ELNS0_20block_scan_algorithmE0ELj4294967295EEENS1_25partition_config_selectorILNS1_17partition_subalgoE4EjNS0_10empty_typeEbEEZZNS1_14partition_implILS8_4ELb0ES6_15HIP_vector_typeIjLj2EENS0_17counting_iteratorIjlEEPS9_SG_NS0_5tupleIJPjSI_NS0_16reverse_iteratorISI_EEEEENSH_IJSG_SG_SG_EEES9_SI_JZNS1_25segmented_radix_sort_implINS0_14default_configELb1EPKhPhPKlPlN2at6native12_GLOBAL__N_18offset_tEEE10hipError_tPvRmT1_PNSt15iterator_traitsIS12_E10value_typeET2_T3_PNS13_IS18_E10value_typeET4_jRbjT5_S1E_jjP12ihipStream_tbEUljE_ZNSN_ISO_Lb1ESQ_SR_ST_SU_SY_EESZ_S10_S11_S12_S16_S17_S18_S1B_S1C_jS1D_jS1E_S1E_jjS1G_bEUljE0_EEESZ_S10_S11_S18_S1C_S1E_T6_T7_T9_mT8_S1G_bDpT10_ENKUlT_T0_E_clISt17integral_constantIbLb0EES1T_IbLb1EEEEDaS1P_S1Q_EUlS1P_E_NS1_11comp_targetILNS1_3genE9ELNS1_11target_archE1100ELNS1_3gpuE3ELNS1_3repE0EEENS1_30default_config_static_selectorELNS0_4arch9wavefront6targetE0EEEvS12_,comdat
.Lfunc_end45:
	.size	_ZN7rocprim17ROCPRIM_400000_NS6detail17trampoline_kernelINS0_13select_configILj256ELj13ELNS0_17block_load_methodE3ELS4_3ELS4_3ELNS0_20block_scan_algorithmE0ELj4294967295EEENS1_25partition_config_selectorILNS1_17partition_subalgoE4EjNS0_10empty_typeEbEEZZNS1_14partition_implILS8_4ELb0ES6_15HIP_vector_typeIjLj2EENS0_17counting_iteratorIjlEEPS9_SG_NS0_5tupleIJPjSI_NS0_16reverse_iteratorISI_EEEEENSH_IJSG_SG_SG_EEES9_SI_JZNS1_25segmented_radix_sort_implINS0_14default_configELb1EPKhPhPKlPlN2at6native12_GLOBAL__N_18offset_tEEE10hipError_tPvRmT1_PNSt15iterator_traitsIS12_E10value_typeET2_T3_PNS13_IS18_E10value_typeET4_jRbjT5_S1E_jjP12ihipStream_tbEUljE_ZNSN_ISO_Lb1ESQ_SR_ST_SU_SY_EESZ_S10_S11_S12_S16_S17_S18_S1B_S1C_jS1D_jS1E_S1E_jjS1G_bEUljE0_EEESZ_S10_S11_S18_S1C_S1E_T6_T7_T9_mT8_S1G_bDpT10_ENKUlT_T0_E_clISt17integral_constantIbLb0EES1T_IbLb1EEEEDaS1P_S1Q_EUlS1P_E_NS1_11comp_targetILNS1_3genE9ELNS1_11target_archE1100ELNS1_3gpuE3ELNS1_3repE0EEENS1_30default_config_static_selectorELNS0_4arch9wavefront6targetE0EEEvS12_, .Lfunc_end45-_ZN7rocprim17ROCPRIM_400000_NS6detail17trampoline_kernelINS0_13select_configILj256ELj13ELNS0_17block_load_methodE3ELS4_3ELS4_3ELNS0_20block_scan_algorithmE0ELj4294967295EEENS1_25partition_config_selectorILNS1_17partition_subalgoE4EjNS0_10empty_typeEbEEZZNS1_14partition_implILS8_4ELb0ES6_15HIP_vector_typeIjLj2EENS0_17counting_iteratorIjlEEPS9_SG_NS0_5tupleIJPjSI_NS0_16reverse_iteratorISI_EEEEENSH_IJSG_SG_SG_EEES9_SI_JZNS1_25segmented_radix_sort_implINS0_14default_configELb1EPKhPhPKlPlN2at6native12_GLOBAL__N_18offset_tEEE10hipError_tPvRmT1_PNSt15iterator_traitsIS12_E10value_typeET2_T3_PNS13_IS18_E10value_typeET4_jRbjT5_S1E_jjP12ihipStream_tbEUljE_ZNSN_ISO_Lb1ESQ_SR_ST_SU_SY_EESZ_S10_S11_S12_S16_S17_S18_S1B_S1C_jS1D_jS1E_S1E_jjS1G_bEUljE0_EEESZ_S10_S11_S18_S1C_S1E_T6_T7_T9_mT8_S1G_bDpT10_ENKUlT_T0_E_clISt17integral_constantIbLb0EES1T_IbLb1EEEEDaS1P_S1Q_EUlS1P_E_NS1_11comp_targetILNS1_3genE9ELNS1_11target_archE1100ELNS1_3gpuE3ELNS1_3repE0EEENS1_30default_config_static_selectorELNS0_4arch9wavefront6targetE0EEEvS12_
                                        ; -- End function
	.set _ZN7rocprim17ROCPRIM_400000_NS6detail17trampoline_kernelINS0_13select_configILj256ELj13ELNS0_17block_load_methodE3ELS4_3ELS4_3ELNS0_20block_scan_algorithmE0ELj4294967295EEENS1_25partition_config_selectorILNS1_17partition_subalgoE4EjNS0_10empty_typeEbEEZZNS1_14partition_implILS8_4ELb0ES6_15HIP_vector_typeIjLj2EENS0_17counting_iteratorIjlEEPS9_SG_NS0_5tupleIJPjSI_NS0_16reverse_iteratorISI_EEEEENSH_IJSG_SG_SG_EEES9_SI_JZNS1_25segmented_radix_sort_implINS0_14default_configELb1EPKhPhPKlPlN2at6native12_GLOBAL__N_18offset_tEEE10hipError_tPvRmT1_PNSt15iterator_traitsIS12_E10value_typeET2_T3_PNS13_IS18_E10value_typeET4_jRbjT5_S1E_jjP12ihipStream_tbEUljE_ZNSN_ISO_Lb1ESQ_SR_ST_SU_SY_EESZ_S10_S11_S12_S16_S17_S18_S1B_S1C_jS1D_jS1E_S1E_jjS1G_bEUljE0_EEESZ_S10_S11_S18_S1C_S1E_T6_T7_T9_mT8_S1G_bDpT10_ENKUlT_T0_E_clISt17integral_constantIbLb0EES1T_IbLb1EEEEDaS1P_S1Q_EUlS1P_E_NS1_11comp_targetILNS1_3genE9ELNS1_11target_archE1100ELNS1_3gpuE3ELNS1_3repE0EEENS1_30default_config_static_selectorELNS0_4arch9wavefront6targetE0EEEvS12_.num_vgpr, 0
	.set _ZN7rocprim17ROCPRIM_400000_NS6detail17trampoline_kernelINS0_13select_configILj256ELj13ELNS0_17block_load_methodE3ELS4_3ELS4_3ELNS0_20block_scan_algorithmE0ELj4294967295EEENS1_25partition_config_selectorILNS1_17partition_subalgoE4EjNS0_10empty_typeEbEEZZNS1_14partition_implILS8_4ELb0ES6_15HIP_vector_typeIjLj2EENS0_17counting_iteratorIjlEEPS9_SG_NS0_5tupleIJPjSI_NS0_16reverse_iteratorISI_EEEEENSH_IJSG_SG_SG_EEES9_SI_JZNS1_25segmented_radix_sort_implINS0_14default_configELb1EPKhPhPKlPlN2at6native12_GLOBAL__N_18offset_tEEE10hipError_tPvRmT1_PNSt15iterator_traitsIS12_E10value_typeET2_T3_PNS13_IS18_E10value_typeET4_jRbjT5_S1E_jjP12ihipStream_tbEUljE_ZNSN_ISO_Lb1ESQ_SR_ST_SU_SY_EESZ_S10_S11_S12_S16_S17_S18_S1B_S1C_jS1D_jS1E_S1E_jjS1G_bEUljE0_EEESZ_S10_S11_S18_S1C_S1E_T6_T7_T9_mT8_S1G_bDpT10_ENKUlT_T0_E_clISt17integral_constantIbLb0EES1T_IbLb1EEEEDaS1P_S1Q_EUlS1P_E_NS1_11comp_targetILNS1_3genE9ELNS1_11target_archE1100ELNS1_3gpuE3ELNS1_3repE0EEENS1_30default_config_static_selectorELNS0_4arch9wavefront6targetE0EEEvS12_.num_agpr, 0
	.set _ZN7rocprim17ROCPRIM_400000_NS6detail17trampoline_kernelINS0_13select_configILj256ELj13ELNS0_17block_load_methodE3ELS4_3ELS4_3ELNS0_20block_scan_algorithmE0ELj4294967295EEENS1_25partition_config_selectorILNS1_17partition_subalgoE4EjNS0_10empty_typeEbEEZZNS1_14partition_implILS8_4ELb0ES6_15HIP_vector_typeIjLj2EENS0_17counting_iteratorIjlEEPS9_SG_NS0_5tupleIJPjSI_NS0_16reverse_iteratorISI_EEEEENSH_IJSG_SG_SG_EEES9_SI_JZNS1_25segmented_radix_sort_implINS0_14default_configELb1EPKhPhPKlPlN2at6native12_GLOBAL__N_18offset_tEEE10hipError_tPvRmT1_PNSt15iterator_traitsIS12_E10value_typeET2_T3_PNS13_IS18_E10value_typeET4_jRbjT5_S1E_jjP12ihipStream_tbEUljE_ZNSN_ISO_Lb1ESQ_SR_ST_SU_SY_EESZ_S10_S11_S12_S16_S17_S18_S1B_S1C_jS1D_jS1E_S1E_jjS1G_bEUljE0_EEESZ_S10_S11_S18_S1C_S1E_T6_T7_T9_mT8_S1G_bDpT10_ENKUlT_T0_E_clISt17integral_constantIbLb0EES1T_IbLb1EEEEDaS1P_S1Q_EUlS1P_E_NS1_11comp_targetILNS1_3genE9ELNS1_11target_archE1100ELNS1_3gpuE3ELNS1_3repE0EEENS1_30default_config_static_selectorELNS0_4arch9wavefront6targetE0EEEvS12_.numbered_sgpr, 0
	.set _ZN7rocprim17ROCPRIM_400000_NS6detail17trampoline_kernelINS0_13select_configILj256ELj13ELNS0_17block_load_methodE3ELS4_3ELS4_3ELNS0_20block_scan_algorithmE0ELj4294967295EEENS1_25partition_config_selectorILNS1_17partition_subalgoE4EjNS0_10empty_typeEbEEZZNS1_14partition_implILS8_4ELb0ES6_15HIP_vector_typeIjLj2EENS0_17counting_iteratorIjlEEPS9_SG_NS0_5tupleIJPjSI_NS0_16reverse_iteratorISI_EEEEENSH_IJSG_SG_SG_EEES9_SI_JZNS1_25segmented_radix_sort_implINS0_14default_configELb1EPKhPhPKlPlN2at6native12_GLOBAL__N_18offset_tEEE10hipError_tPvRmT1_PNSt15iterator_traitsIS12_E10value_typeET2_T3_PNS13_IS18_E10value_typeET4_jRbjT5_S1E_jjP12ihipStream_tbEUljE_ZNSN_ISO_Lb1ESQ_SR_ST_SU_SY_EESZ_S10_S11_S12_S16_S17_S18_S1B_S1C_jS1D_jS1E_S1E_jjS1G_bEUljE0_EEESZ_S10_S11_S18_S1C_S1E_T6_T7_T9_mT8_S1G_bDpT10_ENKUlT_T0_E_clISt17integral_constantIbLb0EES1T_IbLb1EEEEDaS1P_S1Q_EUlS1P_E_NS1_11comp_targetILNS1_3genE9ELNS1_11target_archE1100ELNS1_3gpuE3ELNS1_3repE0EEENS1_30default_config_static_selectorELNS0_4arch9wavefront6targetE0EEEvS12_.num_named_barrier, 0
	.set _ZN7rocprim17ROCPRIM_400000_NS6detail17trampoline_kernelINS0_13select_configILj256ELj13ELNS0_17block_load_methodE3ELS4_3ELS4_3ELNS0_20block_scan_algorithmE0ELj4294967295EEENS1_25partition_config_selectorILNS1_17partition_subalgoE4EjNS0_10empty_typeEbEEZZNS1_14partition_implILS8_4ELb0ES6_15HIP_vector_typeIjLj2EENS0_17counting_iteratorIjlEEPS9_SG_NS0_5tupleIJPjSI_NS0_16reverse_iteratorISI_EEEEENSH_IJSG_SG_SG_EEES9_SI_JZNS1_25segmented_radix_sort_implINS0_14default_configELb1EPKhPhPKlPlN2at6native12_GLOBAL__N_18offset_tEEE10hipError_tPvRmT1_PNSt15iterator_traitsIS12_E10value_typeET2_T3_PNS13_IS18_E10value_typeET4_jRbjT5_S1E_jjP12ihipStream_tbEUljE_ZNSN_ISO_Lb1ESQ_SR_ST_SU_SY_EESZ_S10_S11_S12_S16_S17_S18_S1B_S1C_jS1D_jS1E_S1E_jjS1G_bEUljE0_EEESZ_S10_S11_S18_S1C_S1E_T6_T7_T9_mT8_S1G_bDpT10_ENKUlT_T0_E_clISt17integral_constantIbLb0EES1T_IbLb1EEEEDaS1P_S1Q_EUlS1P_E_NS1_11comp_targetILNS1_3genE9ELNS1_11target_archE1100ELNS1_3gpuE3ELNS1_3repE0EEENS1_30default_config_static_selectorELNS0_4arch9wavefront6targetE0EEEvS12_.private_seg_size, 0
	.set _ZN7rocprim17ROCPRIM_400000_NS6detail17trampoline_kernelINS0_13select_configILj256ELj13ELNS0_17block_load_methodE3ELS4_3ELS4_3ELNS0_20block_scan_algorithmE0ELj4294967295EEENS1_25partition_config_selectorILNS1_17partition_subalgoE4EjNS0_10empty_typeEbEEZZNS1_14partition_implILS8_4ELb0ES6_15HIP_vector_typeIjLj2EENS0_17counting_iteratorIjlEEPS9_SG_NS0_5tupleIJPjSI_NS0_16reverse_iteratorISI_EEEEENSH_IJSG_SG_SG_EEES9_SI_JZNS1_25segmented_radix_sort_implINS0_14default_configELb1EPKhPhPKlPlN2at6native12_GLOBAL__N_18offset_tEEE10hipError_tPvRmT1_PNSt15iterator_traitsIS12_E10value_typeET2_T3_PNS13_IS18_E10value_typeET4_jRbjT5_S1E_jjP12ihipStream_tbEUljE_ZNSN_ISO_Lb1ESQ_SR_ST_SU_SY_EESZ_S10_S11_S12_S16_S17_S18_S1B_S1C_jS1D_jS1E_S1E_jjS1G_bEUljE0_EEESZ_S10_S11_S18_S1C_S1E_T6_T7_T9_mT8_S1G_bDpT10_ENKUlT_T0_E_clISt17integral_constantIbLb0EES1T_IbLb1EEEEDaS1P_S1Q_EUlS1P_E_NS1_11comp_targetILNS1_3genE9ELNS1_11target_archE1100ELNS1_3gpuE3ELNS1_3repE0EEENS1_30default_config_static_selectorELNS0_4arch9wavefront6targetE0EEEvS12_.uses_vcc, 0
	.set _ZN7rocprim17ROCPRIM_400000_NS6detail17trampoline_kernelINS0_13select_configILj256ELj13ELNS0_17block_load_methodE3ELS4_3ELS4_3ELNS0_20block_scan_algorithmE0ELj4294967295EEENS1_25partition_config_selectorILNS1_17partition_subalgoE4EjNS0_10empty_typeEbEEZZNS1_14partition_implILS8_4ELb0ES6_15HIP_vector_typeIjLj2EENS0_17counting_iteratorIjlEEPS9_SG_NS0_5tupleIJPjSI_NS0_16reverse_iteratorISI_EEEEENSH_IJSG_SG_SG_EEES9_SI_JZNS1_25segmented_radix_sort_implINS0_14default_configELb1EPKhPhPKlPlN2at6native12_GLOBAL__N_18offset_tEEE10hipError_tPvRmT1_PNSt15iterator_traitsIS12_E10value_typeET2_T3_PNS13_IS18_E10value_typeET4_jRbjT5_S1E_jjP12ihipStream_tbEUljE_ZNSN_ISO_Lb1ESQ_SR_ST_SU_SY_EESZ_S10_S11_S12_S16_S17_S18_S1B_S1C_jS1D_jS1E_S1E_jjS1G_bEUljE0_EEESZ_S10_S11_S18_S1C_S1E_T6_T7_T9_mT8_S1G_bDpT10_ENKUlT_T0_E_clISt17integral_constantIbLb0EES1T_IbLb1EEEEDaS1P_S1Q_EUlS1P_E_NS1_11comp_targetILNS1_3genE9ELNS1_11target_archE1100ELNS1_3gpuE3ELNS1_3repE0EEENS1_30default_config_static_selectorELNS0_4arch9wavefront6targetE0EEEvS12_.uses_flat_scratch, 0
	.set _ZN7rocprim17ROCPRIM_400000_NS6detail17trampoline_kernelINS0_13select_configILj256ELj13ELNS0_17block_load_methodE3ELS4_3ELS4_3ELNS0_20block_scan_algorithmE0ELj4294967295EEENS1_25partition_config_selectorILNS1_17partition_subalgoE4EjNS0_10empty_typeEbEEZZNS1_14partition_implILS8_4ELb0ES6_15HIP_vector_typeIjLj2EENS0_17counting_iteratorIjlEEPS9_SG_NS0_5tupleIJPjSI_NS0_16reverse_iteratorISI_EEEEENSH_IJSG_SG_SG_EEES9_SI_JZNS1_25segmented_radix_sort_implINS0_14default_configELb1EPKhPhPKlPlN2at6native12_GLOBAL__N_18offset_tEEE10hipError_tPvRmT1_PNSt15iterator_traitsIS12_E10value_typeET2_T3_PNS13_IS18_E10value_typeET4_jRbjT5_S1E_jjP12ihipStream_tbEUljE_ZNSN_ISO_Lb1ESQ_SR_ST_SU_SY_EESZ_S10_S11_S12_S16_S17_S18_S1B_S1C_jS1D_jS1E_S1E_jjS1G_bEUljE0_EEESZ_S10_S11_S18_S1C_S1E_T6_T7_T9_mT8_S1G_bDpT10_ENKUlT_T0_E_clISt17integral_constantIbLb0EES1T_IbLb1EEEEDaS1P_S1Q_EUlS1P_E_NS1_11comp_targetILNS1_3genE9ELNS1_11target_archE1100ELNS1_3gpuE3ELNS1_3repE0EEENS1_30default_config_static_selectorELNS0_4arch9wavefront6targetE0EEEvS12_.has_dyn_sized_stack, 0
	.set _ZN7rocprim17ROCPRIM_400000_NS6detail17trampoline_kernelINS0_13select_configILj256ELj13ELNS0_17block_load_methodE3ELS4_3ELS4_3ELNS0_20block_scan_algorithmE0ELj4294967295EEENS1_25partition_config_selectorILNS1_17partition_subalgoE4EjNS0_10empty_typeEbEEZZNS1_14partition_implILS8_4ELb0ES6_15HIP_vector_typeIjLj2EENS0_17counting_iteratorIjlEEPS9_SG_NS0_5tupleIJPjSI_NS0_16reverse_iteratorISI_EEEEENSH_IJSG_SG_SG_EEES9_SI_JZNS1_25segmented_radix_sort_implINS0_14default_configELb1EPKhPhPKlPlN2at6native12_GLOBAL__N_18offset_tEEE10hipError_tPvRmT1_PNSt15iterator_traitsIS12_E10value_typeET2_T3_PNS13_IS18_E10value_typeET4_jRbjT5_S1E_jjP12ihipStream_tbEUljE_ZNSN_ISO_Lb1ESQ_SR_ST_SU_SY_EESZ_S10_S11_S12_S16_S17_S18_S1B_S1C_jS1D_jS1E_S1E_jjS1G_bEUljE0_EEESZ_S10_S11_S18_S1C_S1E_T6_T7_T9_mT8_S1G_bDpT10_ENKUlT_T0_E_clISt17integral_constantIbLb0EES1T_IbLb1EEEEDaS1P_S1Q_EUlS1P_E_NS1_11comp_targetILNS1_3genE9ELNS1_11target_archE1100ELNS1_3gpuE3ELNS1_3repE0EEENS1_30default_config_static_selectorELNS0_4arch9wavefront6targetE0EEEvS12_.has_recursion, 0
	.set _ZN7rocprim17ROCPRIM_400000_NS6detail17trampoline_kernelINS0_13select_configILj256ELj13ELNS0_17block_load_methodE3ELS4_3ELS4_3ELNS0_20block_scan_algorithmE0ELj4294967295EEENS1_25partition_config_selectorILNS1_17partition_subalgoE4EjNS0_10empty_typeEbEEZZNS1_14partition_implILS8_4ELb0ES6_15HIP_vector_typeIjLj2EENS0_17counting_iteratorIjlEEPS9_SG_NS0_5tupleIJPjSI_NS0_16reverse_iteratorISI_EEEEENSH_IJSG_SG_SG_EEES9_SI_JZNS1_25segmented_radix_sort_implINS0_14default_configELb1EPKhPhPKlPlN2at6native12_GLOBAL__N_18offset_tEEE10hipError_tPvRmT1_PNSt15iterator_traitsIS12_E10value_typeET2_T3_PNS13_IS18_E10value_typeET4_jRbjT5_S1E_jjP12ihipStream_tbEUljE_ZNSN_ISO_Lb1ESQ_SR_ST_SU_SY_EESZ_S10_S11_S12_S16_S17_S18_S1B_S1C_jS1D_jS1E_S1E_jjS1G_bEUljE0_EEESZ_S10_S11_S18_S1C_S1E_T6_T7_T9_mT8_S1G_bDpT10_ENKUlT_T0_E_clISt17integral_constantIbLb0EES1T_IbLb1EEEEDaS1P_S1Q_EUlS1P_E_NS1_11comp_targetILNS1_3genE9ELNS1_11target_archE1100ELNS1_3gpuE3ELNS1_3repE0EEENS1_30default_config_static_selectorELNS0_4arch9wavefront6targetE0EEEvS12_.has_indirect_call, 0
	.section	.AMDGPU.csdata,"",@progbits
; Kernel info:
; codeLenInByte = 0
; TotalNumSgprs: 0
; NumVgprs: 0
; ScratchSize: 0
; MemoryBound: 0
; FloatMode: 240
; IeeeMode: 1
; LDSByteSize: 0 bytes/workgroup (compile time only)
; SGPRBlocks: 0
; VGPRBlocks: 0
; NumSGPRsForWavesPerEU: 1
; NumVGPRsForWavesPerEU: 1
; Occupancy: 16
; WaveLimiterHint : 0
; COMPUTE_PGM_RSRC2:SCRATCH_EN: 0
; COMPUTE_PGM_RSRC2:USER_SGPR: 2
; COMPUTE_PGM_RSRC2:TRAP_HANDLER: 0
; COMPUTE_PGM_RSRC2:TGID_X_EN: 1
; COMPUTE_PGM_RSRC2:TGID_Y_EN: 0
; COMPUTE_PGM_RSRC2:TGID_Z_EN: 0
; COMPUTE_PGM_RSRC2:TIDIG_COMP_CNT: 0
	.section	.text._ZN7rocprim17ROCPRIM_400000_NS6detail17trampoline_kernelINS0_13select_configILj256ELj13ELNS0_17block_load_methodE3ELS4_3ELS4_3ELNS0_20block_scan_algorithmE0ELj4294967295EEENS1_25partition_config_selectorILNS1_17partition_subalgoE4EjNS0_10empty_typeEbEEZZNS1_14partition_implILS8_4ELb0ES6_15HIP_vector_typeIjLj2EENS0_17counting_iteratorIjlEEPS9_SG_NS0_5tupleIJPjSI_NS0_16reverse_iteratorISI_EEEEENSH_IJSG_SG_SG_EEES9_SI_JZNS1_25segmented_radix_sort_implINS0_14default_configELb1EPKhPhPKlPlN2at6native12_GLOBAL__N_18offset_tEEE10hipError_tPvRmT1_PNSt15iterator_traitsIS12_E10value_typeET2_T3_PNS13_IS18_E10value_typeET4_jRbjT5_S1E_jjP12ihipStream_tbEUljE_ZNSN_ISO_Lb1ESQ_SR_ST_SU_SY_EESZ_S10_S11_S12_S16_S17_S18_S1B_S1C_jS1D_jS1E_S1E_jjS1G_bEUljE0_EEESZ_S10_S11_S18_S1C_S1E_T6_T7_T9_mT8_S1G_bDpT10_ENKUlT_T0_E_clISt17integral_constantIbLb0EES1T_IbLb1EEEEDaS1P_S1Q_EUlS1P_E_NS1_11comp_targetILNS1_3genE8ELNS1_11target_archE1030ELNS1_3gpuE2ELNS1_3repE0EEENS1_30default_config_static_selectorELNS0_4arch9wavefront6targetE0EEEvS12_,"axG",@progbits,_ZN7rocprim17ROCPRIM_400000_NS6detail17trampoline_kernelINS0_13select_configILj256ELj13ELNS0_17block_load_methodE3ELS4_3ELS4_3ELNS0_20block_scan_algorithmE0ELj4294967295EEENS1_25partition_config_selectorILNS1_17partition_subalgoE4EjNS0_10empty_typeEbEEZZNS1_14partition_implILS8_4ELb0ES6_15HIP_vector_typeIjLj2EENS0_17counting_iteratorIjlEEPS9_SG_NS0_5tupleIJPjSI_NS0_16reverse_iteratorISI_EEEEENSH_IJSG_SG_SG_EEES9_SI_JZNS1_25segmented_radix_sort_implINS0_14default_configELb1EPKhPhPKlPlN2at6native12_GLOBAL__N_18offset_tEEE10hipError_tPvRmT1_PNSt15iterator_traitsIS12_E10value_typeET2_T3_PNS13_IS18_E10value_typeET4_jRbjT5_S1E_jjP12ihipStream_tbEUljE_ZNSN_ISO_Lb1ESQ_SR_ST_SU_SY_EESZ_S10_S11_S12_S16_S17_S18_S1B_S1C_jS1D_jS1E_S1E_jjS1G_bEUljE0_EEESZ_S10_S11_S18_S1C_S1E_T6_T7_T9_mT8_S1G_bDpT10_ENKUlT_T0_E_clISt17integral_constantIbLb0EES1T_IbLb1EEEEDaS1P_S1Q_EUlS1P_E_NS1_11comp_targetILNS1_3genE8ELNS1_11target_archE1030ELNS1_3gpuE2ELNS1_3repE0EEENS1_30default_config_static_selectorELNS0_4arch9wavefront6targetE0EEEvS12_,comdat
	.globl	_ZN7rocprim17ROCPRIM_400000_NS6detail17trampoline_kernelINS0_13select_configILj256ELj13ELNS0_17block_load_methodE3ELS4_3ELS4_3ELNS0_20block_scan_algorithmE0ELj4294967295EEENS1_25partition_config_selectorILNS1_17partition_subalgoE4EjNS0_10empty_typeEbEEZZNS1_14partition_implILS8_4ELb0ES6_15HIP_vector_typeIjLj2EENS0_17counting_iteratorIjlEEPS9_SG_NS0_5tupleIJPjSI_NS0_16reverse_iteratorISI_EEEEENSH_IJSG_SG_SG_EEES9_SI_JZNS1_25segmented_radix_sort_implINS0_14default_configELb1EPKhPhPKlPlN2at6native12_GLOBAL__N_18offset_tEEE10hipError_tPvRmT1_PNSt15iterator_traitsIS12_E10value_typeET2_T3_PNS13_IS18_E10value_typeET4_jRbjT5_S1E_jjP12ihipStream_tbEUljE_ZNSN_ISO_Lb1ESQ_SR_ST_SU_SY_EESZ_S10_S11_S12_S16_S17_S18_S1B_S1C_jS1D_jS1E_S1E_jjS1G_bEUljE0_EEESZ_S10_S11_S18_S1C_S1E_T6_T7_T9_mT8_S1G_bDpT10_ENKUlT_T0_E_clISt17integral_constantIbLb0EES1T_IbLb1EEEEDaS1P_S1Q_EUlS1P_E_NS1_11comp_targetILNS1_3genE8ELNS1_11target_archE1030ELNS1_3gpuE2ELNS1_3repE0EEENS1_30default_config_static_selectorELNS0_4arch9wavefront6targetE0EEEvS12_ ; -- Begin function _ZN7rocprim17ROCPRIM_400000_NS6detail17trampoline_kernelINS0_13select_configILj256ELj13ELNS0_17block_load_methodE3ELS4_3ELS4_3ELNS0_20block_scan_algorithmE0ELj4294967295EEENS1_25partition_config_selectorILNS1_17partition_subalgoE4EjNS0_10empty_typeEbEEZZNS1_14partition_implILS8_4ELb0ES6_15HIP_vector_typeIjLj2EENS0_17counting_iteratorIjlEEPS9_SG_NS0_5tupleIJPjSI_NS0_16reverse_iteratorISI_EEEEENSH_IJSG_SG_SG_EEES9_SI_JZNS1_25segmented_radix_sort_implINS0_14default_configELb1EPKhPhPKlPlN2at6native12_GLOBAL__N_18offset_tEEE10hipError_tPvRmT1_PNSt15iterator_traitsIS12_E10value_typeET2_T3_PNS13_IS18_E10value_typeET4_jRbjT5_S1E_jjP12ihipStream_tbEUljE_ZNSN_ISO_Lb1ESQ_SR_ST_SU_SY_EESZ_S10_S11_S12_S16_S17_S18_S1B_S1C_jS1D_jS1E_S1E_jjS1G_bEUljE0_EEESZ_S10_S11_S18_S1C_S1E_T6_T7_T9_mT8_S1G_bDpT10_ENKUlT_T0_E_clISt17integral_constantIbLb0EES1T_IbLb1EEEEDaS1P_S1Q_EUlS1P_E_NS1_11comp_targetILNS1_3genE8ELNS1_11target_archE1030ELNS1_3gpuE2ELNS1_3repE0EEENS1_30default_config_static_selectorELNS0_4arch9wavefront6targetE0EEEvS12_
	.p2align	8
	.type	_ZN7rocprim17ROCPRIM_400000_NS6detail17trampoline_kernelINS0_13select_configILj256ELj13ELNS0_17block_load_methodE3ELS4_3ELS4_3ELNS0_20block_scan_algorithmE0ELj4294967295EEENS1_25partition_config_selectorILNS1_17partition_subalgoE4EjNS0_10empty_typeEbEEZZNS1_14partition_implILS8_4ELb0ES6_15HIP_vector_typeIjLj2EENS0_17counting_iteratorIjlEEPS9_SG_NS0_5tupleIJPjSI_NS0_16reverse_iteratorISI_EEEEENSH_IJSG_SG_SG_EEES9_SI_JZNS1_25segmented_radix_sort_implINS0_14default_configELb1EPKhPhPKlPlN2at6native12_GLOBAL__N_18offset_tEEE10hipError_tPvRmT1_PNSt15iterator_traitsIS12_E10value_typeET2_T3_PNS13_IS18_E10value_typeET4_jRbjT5_S1E_jjP12ihipStream_tbEUljE_ZNSN_ISO_Lb1ESQ_SR_ST_SU_SY_EESZ_S10_S11_S12_S16_S17_S18_S1B_S1C_jS1D_jS1E_S1E_jjS1G_bEUljE0_EEESZ_S10_S11_S18_S1C_S1E_T6_T7_T9_mT8_S1G_bDpT10_ENKUlT_T0_E_clISt17integral_constantIbLb0EES1T_IbLb1EEEEDaS1P_S1Q_EUlS1P_E_NS1_11comp_targetILNS1_3genE8ELNS1_11target_archE1030ELNS1_3gpuE2ELNS1_3repE0EEENS1_30default_config_static_selectorELNS0_4arch9wavefront6targetE0EEEvS12_,@function
_ZN7rocprim17ROCPRIM_400000_NS6detail17trampoline_kernelINS0_13select_configILj256ELj13ELNS0_17block_load_methodE3ELS4_3ELS4_3ELNS0_20block_scan_algorithmE0ELj4294967295EEENS1_25partition_config_selectorILNS1_17partition_subalgoE4EjNS0_10empty_typeEbEEZZNS1_14partition_implILS8_4ELb0ES6_15HIP_vector_typeIjLj2EENS0_17counting_iteratorIjlEEPS9_SG_NS0_5tupleIJPjSI_NS0_16reverse_iteratorISI_EEEEENSH_IJSG_SG_SG_EEES9_SI_JZNS1_25segmented_radix_sort_implINS0_14default_configELb1EPKhPhPKlPlN2at6native12_GLOBAL__N_18offset_tEEE10hipError_tPvRmT1_PNSt15iterator_traitsIS12_E10value_typeET2_T3_PNS13_IS18_E10value_typeET4_jRbjT5_S1E_jjP12ihipStream_tbEUljE_ZNSN_ISO_Lb1ESQ_SR_ST_SU_SY_EESZ_S10_S11_S12_S16_S17_S18_S1B_S1C_jS1D_jS1E_S1E_jjS1G_bEUljE0_EEESZ_S10_S11_S18_S1C_S1E_T6_T7_T9_mT8_S1G_bDpT10_ENKUlT_T0_E_clISt17integral_constantIbLb0EES1T_IbLb1EEEEDaS1P_S1Q_EUlS1P_E_NS1_11comp_targetILNS1_3genE8ELNS1_11target_archE1030ELNS1_3gpuE2ELNS1_3repE0EEENS1_30default_config_static_selectorELNS0_4arch9wavefront6targetE0EEEvS12_: ; @_ZN7rocprim17ROCPRIM_400000_NS6detail17trampoline_kernelINS0_13select_configILj256ELj13ELNS0_17block_load_methodE3ELS4_3ELS4_3ELNS0_20block_scan_algorithmE0ELj4294967295EEENS1_25partition_config_selectorILNS1_17partition_subalgoE4EjNS0_10empty_typeEbEEZZNS1_14partition_implILS8_4ELb0ES6_15HIP_vector_typeIjLj2EENS0_17counting_iteratorIjlEEPS9_SG_NS0_5tupleIJPjSI_NS0_16reverse_iteratorISI_EEEEENSH_IJSG_SG_SG_EEES9_SI_JZNS1_25segmented_radix_sort_implINS0_14default_configELb1EPKhPhPKlPlN2at6native12_GLOBAL__N_18offset_tEEE10hipError_tPvRmT1_PNSt15iterator_traitsIS12_E10value_typeET2_T3_PNS13_IS18_E10value_typeET4_jRbjT5_S1E_jjP12ihipStream_tbEUljE_ZNSN_ISO_Lb1ESQ_SR_ST_SU_SY_EESZ_S10_S11_S12_S16_S17_S18_S1B_S1C_jS1D_jS1E_S1E_jjS1G_bEUljE0_EEESZ_S10_S11_S18_S1C_S1E_T6_T7_T9_mT8_S1G_bDpT10_ENKUlT_T0_E_clISt17integral_constantIbLb0EES1T_IbLb1EEEEDaS1P_S1Q_EUlS1P_E_NS1_11comp_targetILNS1_3genE8ELNS1_11target_archE1030ELNS1_3gpuE2ELNS1_3repE0EEENS1_30default_config_static_selectorELNS0_4arch9wavefront6targetE0EEEvS12_
; %bb.0:
	.section	.rodata,"a",@progbits
	.p2align	6, 0x0
	.amdhsa_kernel _ZN7rocprim17ROCPRIM_400000_NS6detail17trampoline_kernelINS0_13select_configILj256ELj13ELNS0_17block_load_methodE3ELS4_3ELS4_3ELNS0_20block_scan_algorithmE0ELj4294967295EEENS1_25partition_config_selectorILNS1_17partition_subalgoE4EjNS0_10empty_typeEbEEZZNS1_14partition_implILS8_4ELb0ES6_15HIP_vector_typeIjLj2EENS0_17counting_iteratorIjlEEPS9_SG_NS0_5tupleIJPjSI_NS0_16reverse_iteratorISI_EEEEENSH_IJSG_SG_SG_EEES9_SI_JZNS1_25segmented_radix_sort_implINS0_14default_configELb1EPKhPhPKlPlN2at6native12_GLOBAL__N_18offset_tEEE10hipError_tPvRmT1_PNSt15iterator_traitsIS12_E10value_typeET2_T3_PNS13_IS18_E10value_typeET4_jRbjT5_S1E_jjP12ihipStream_tbEUljE_ZNSN_ISO_Lb1ESQ_SR_ST_SU_SY_EESZ_S10_S11_S12_S16_S17_S18_S1B_S1C_jS1D_jS1E_S1E_jjS1G_bEUljE0_EEESZ_S10_S11_S18_S1C_S1E_T6_T7_T9_mT8_S1G_bDpT10_ENKUlT_T0_E_clISt17integral_constantIbLb0EES1T_IbLb1EEEEDaS1P_S1Q_EUlS1P_E_NS1_11comp_targetILNS1_3genE8ELNS1_11target_archE1030ELNS1_3gpuE2ELNS1_3repE0EEENS1_30default_config_static_selectorELNS0_4arch9wavefront6targetE0EEEvS12_
		.amdhsa_group_segment_fixed_size 0
		.amdhsa_private_segment_fixed_size 0
		.amdhsa_kernarg_size 184
		.amdhsa_user_sgpr_count 2
		.amdhsa_user_sgpr_dispatch_ptr 0
		.amdhsa_user_sgpr_queue_ptr 0
		.amdhsa_user_sgpr_kernarg_segment_ptr 1
		.amdhsa_user_sgpr_dispatch_id 0
		.amdhsa_user_sgpr_private_segment_size 0
		.amdhsa_wavefront_size32 1
		.amdhsa_uses_dynamic_stack 0
		.amdhsa_enable_private_segment 0
		.amdhsa_system_sgpr_workgroup_id_x 1
		.amdhsa_system_sgpr_workgroup_id_y 0
		.amdhsa_system_sgpr_workgroup_id_z 0
		.amdhsa_system_sgpr_workgroup_info 0
		.amdhsa_system_vgpr_workitem_id 0
		.amdhsa_next_free_vgpr 1
		.amdhsa_next_free_sgpr 1
		.amdhsa_reserve_vcc 0
		.amdhsa_float_round_mode_32 0
		.amdhsa_float_round_mode_16_64 0
		.amdhsa_float_denorm_mode_32 3
		.amdhsa_float_denorm_mode_16_64 3
		.amdhsa_fp16_overflow 0
		.amdhsa_workgroup_processor_mode 1
		.amdhsa_memory_ordered 1
		.amdhsa_forward_progress 1
		.amdhsa_inst_pref_size 0
		.amdhsa_round_robin_scheduling 0
		.amdhsa_exception_fp_ieee_invalid_op 0
		.amdhsa_exception_fp_denorm_src 0
		.amdhsa_exception_fp_ieee_div_zero 0
		.amdhsa_exception_fp_ieee_overflow 0
		.amdhsa_exception_fp_ieee_underflow 0
		.amdhsa_exception_fp_ieee_inexact 0
		.amdhsa_exception_int_div_zero 0
	.end_amdhsa_kernel
	.section	.text._ZN7rocprim17ROCPRIM_400000_NS6detail17trampoline_kernelINS0_13select_configILj256ELj13ELNS0_17block_load_methodE3ELS4_3ELS4_3ELNS0_20block_scan_algorithmE0ELj4294967295EEENS1_25partition_config_selectorILNS1_17partition_subalgoE4EjNS0_10empty_typeEbEEZZNS1_14partition_implILS8_4ELb0ES6_15HIP_vector_typeIjLj2EENS0_17counting_iteratorIjlEEPS9_SG_NS0_5tupleIJPjSI_NS0_16reverse_iteratorISI_EEEEENSH_IJSG_SG_SG_EEES9_SI_JZNS1_25segmented_radix_sort_implINS0_14default_configELb1EPKhPhPKlPlN2at6native12_GLOBAL__N_18offset_tEEE10hipError_tPvRmT1_PNSt15iterator_traitsIS12_E10value_typeET2_T3_PNS13_IS18_E10value_typeET4_jRbjT5_S1E_jjP12ihipStream_tbEUljE_ZNSN_ISO_Lb1ESQ_SR_ST_SU_SY_EESZ_S10_S11_S12_S16_S17_S18_S1B_S1C_jS1D_jS1E_S1E_jjS1G_bEUljE0_EEESZ_S10_S11_S18_S1C_S1E_T6_T7_T9_mT8_S1G_bDpT10_ENKUlT_T0_E_clISt17integral_constantIbLb0EES1T_IbLb1EEEEDaS1P_S1Q_EUlS1P_E_NS1_11comp_targetILNS1_3genE8ELNS1_11target_archE1030ELNS1_3gpuE2ELNS1_3repE0EEENS1_30default_config_static_selectorELNS0_4arch9wavefront6targetE0EEEvS12_,"axG",@progbits,_ZN7rocprim17ROCPRIM_400000_NS6detail17trampoline_kernelINS0_13select_configILj256ELj13ELNS0_17block_load_methodE3ELS4_3ELS4_3ELNS0_20block_scan_algorithmE0ELj4294967295EEENS1_25partition_config_selectorILNS1_17partition_subalgoE4EjNS0_10empty_typeEbEEZZNS1_14partition_implILS8_4ELb0ES6_15HIP_vector_typeIjLj2EENS0_17counting_iteratorIjlEEPS9_SG_NS0_5tupleIJPjSI_NS0_16reverse_iteratorISI_EEEEENSH_IJSG_SG_SG_EEES9_SI_JZNS1_25segmented_radix_sort_implINS0_14default_configELb1EPKhPhPKlPlN2at6native12_GLOBAL__N_18offset_tEEE10hipError_tPvRmT1_PNSt15iterator_traitsIS12_E10value_typeET2_T3_PNS13_IS18_E10value_typeET4_jRbjT5_S1E_jjP12ihipStream_tbEUljE_ZNSN_ISO_Lb1ESQ_SR_ST_SU_SY_EESZ_S10_S11_S12_S16_S17_S18_S1B_S1C_jS1D_jS1E_S1E_jjS1G_bEUljE0_EEESZ_S10_S11_S18_S1C_S1E_T6_T7_T9_mT8_S1G_bDpT10_ENKUlT_T0_E_clISt17integral_constantIbLb0EES1T_IbLb1EEEEDaS1P_S1Q_EUlS1P_E_NS1_11comp_targetILNS1_3genE8ELNS1_11target_archE1030ELNS1_3gpuE2ELNS1_3repE0EEENS1_30default_config_static_selectorELNS0_4arch9wavefront6targetE0EEEvS12_,comdat
.Lfunc_end46:
	.size	_ZN7rocprim17ROCPRIM_400000_NS6detail17trampoline_kernelINS0_13select_configILj256ELj13ELNS0_17block_load_methodE3ELS4_3ELS4_3ELNS0_20block_scan_algorithmE0ELj4294967295EEENS1_25partition_config_selectorILNS1_17partition_subalgoE4EjNS0_10empty_typeEbEEZZNS1_14partition_implILS8_4ELb0ES6_15HIP_vector_typeIjLj2EENS0_17counting_iteratorIjlEEPS9_SG_NS0_5tupleIJPjSI_NS0_16reverse_iteratorISI_EEEEENSH_IJSG_SG_SG_EEES9_SI_JZNS1_25segmented_radix_sort_implINS0_14default_configELb1EPKhPhPKlPlN2at6native12_GLOBAL__N_18offset_tEEE10hipError_tPvRmT1_PNSt15iterator_traitsIS12_E10value_typeET2_T3_PNS13_IS18_E10value_typeET4_jRbjT5_S1E_jjP12ihipStream_tbEUljE_ZNSN_ISO_Lb1ESQ_SR_ST_SU_SY_EESZ_S10_S11_S12_S16_S17_S18_S1B_S1C_jS1D_jS1E_S1E_jjS1G_bEUljE0_EEESZ_S10_S11_S18_S1C_S1E_T6_T7_T9_mT8_S1G_bDpT10_ENKUlT_T0_E_clISt17integral_constantIbLb0EES1T_IbLb1EEEEDaS1P_S1Q_EUlS1P_E_NS1_11comp_targetILNS1_3genE8ELNS1_11target_archE1030ELNS1_3gpuE2ELNS1_3repE0EEENS1_30default_config_static_selectorELNS0_4arch9wavefront6targetE0EEEvS12_, .Lfunc_end46-_ZN7rocprim17ROCPRIM_400000_NS6detail17trampoline_kernelINS0_13select_configILj256ELj13ELNS0_17block_load_methodE3ELS4_3ELS4_3ELNS0_20block_scan_algorithmE0ELj4294967295EEENS1_25partition_config_selectorILNS1_17partition_subalgoE4EjNS0_10empty_typeEbEEZZNS1_14partition_implILS8_4ELb0ES6_15HIP_vector_typeIjLj2EENS0_17counting_iteratorIjlEEPS9_SG_NS0_5tupleIJPjSI_NS0_16reverse_iteratorISI_EEEEENSH_IJSG_SG_SG_EEES9_SI_JZNS1_25segmented_radix_sort_implINS0_14default_configELb1EPKhPhPKlPlN2at6native12_GLOBAL__N_18offset_tEEE10hipError_tPvRmT1_PNSt15iterator_traitsIS12_E10value_typeET2_T3_PNS13_IS18_E10value_typeET4_jRbjT5_S1E_jjP12ihipStream_tbEUljE_ZNSN_ISO_Lb1ESQ_SR_ST_SU_SY_EESZ_S10_S11_S12_S16_S17_S18_S1B_S1C_jS1D_jS1E_S1E_jjS1G_bEUljE0_EEESZ_S10_S11_S18_S1C_S1E_T6_T7_T9_mT8_S1G_bDpT10_ENKUlT_T0_E_clISt17integral_constantIbLb0EES1T_IbLb1EEEEDaS1P_S1Q_EUlS1P_E_NS1_11comp_targetILNS1_3genE8ELNS1_11target_archE1030ELNS1_3gpuE2ELNS1_3repE0EEENS1_30default_config_static_selectorELNS0_4arch9wavefront6targetE0EEEvS12_
                                        ; -- End function
	.set _ZN7rocprim17ROCPRIM_400000_NS6detail17trampoline_kernelINS0_13select_configILj256ELj13ELNS0_17block_load_methodE3ELS4_3ELS4_3ELNS0_20block_scan_algorithmE0ELj4294967295EEENS1_25partition_config_selectorILNS1_17partition_subalgoE4EjNS0_10empty_typeEbEEZZNS1_14partition_implILS8_4ELb0ES6_15HIP_vector_typeIjLj2EENS0_17counting_iteratorIjlEEPS9_SG_NS0_5tupleIJPjSI_NS0_16reverse_iteratorISI_EEEEENSH_IJSG_SG_SG_EEES9_SI_JZNS1_25segmented_radix_sort_implINS0_14default_configELb1EPKhPhPKlPlN2at6native12_GLOBAL__N_18offset_tEEE10hipError_tPvRmT1_PNSt15iterator_traitsIS12_E10value_typeET2_T3_PNS13_IS18_E10value_typeET4_jRbjT5_S1E_jjP12ihipStream_tbEUljE_ZNSN_ISO_Lb1ESQ_SR_ST_SU_SY_EESZ_S10_S11_S12_S16_S17_S18_S1B_S1C_jS1D_jS1E_S1E_jjS1G_bEUljE0_EEESZ_S10_S11_S18_S1C_S1E_T6_T7_T9_mT8_S1G_bDpT10_ENKUlT_T0_E_clISt17integral_constantIbLb0EES1T_IbLb1EEEEDaS1P_S1Q_EUlS1P_E_NS1_11comp_targetILNS1_3genE8ELNS1_11target_archE1030ELNS1_3gpuE2ELNS1_3repE0EEENS1_30default_config_static_selectorELNS0_4arch9wavefront6targetE0EEEvS12_.num_vgpr, 0
	.set _ZN7rocprim17ROCPRIM_400000_NS6detail17trampoline_kernelINS0_13select_configILj256ELj13ELNS0_17block_load_methodE3ELS4_3ELS4_3ELNS0_20block_scan_algorithmE0ELj4294967295EEENS1_25partition_config_selectorILNS1_17partition_subalgoE4EjNS0_10empty_typeEbEEZZNS1_14partition_implILS8_4ELb0ES6_15HIP_vector_typeIjLj2EENS0_17counting_iteratorIjlEEPS9_SG_NS0_5tupleIJPjSI_NS0_16reverse_iteratorISI_EEEEENSH_IJSG_SG_SG_EEES9_SI_JZNS1_25segmented_radix_sort_implINS0_14default_configELb1EPKhPhPKlPlN2at6native12_GLOBAL__N_18offset_tEEE10hipError_tPvRmT1_PNSt15iterator_traitsIS12_E10value_typeET2_T3_PNS13_IS18_E10value_typeET4_jRbjT5_S1E_jjP12ihipStream_tbEUljE_ZNSN_ISO_Lb1ESQ_SR_ST_SU_SY_EESZ_S10_S11_S12_S16_S17_S18_S1B_S1C_jS1D_jS1E_S1E_jjS1G_bEUljE0_EEESZ_S10_S11_S18_S1C_S1E_T6_T7_T9_mT8_S1G_bDpT10_ENKUlT_T0_E_clISt17integral_constantIbLb0EES1T_IbLb1EEEEDaS1P_S1Q_EUlS1P_E_NS1_11comp_targetILNS1_3genE8ELNS1_11target_archE1030ELNS1_3gpuE2ELNS1_3repE0EEENS1_30default_config_static_selectorELNS0_4arch9wavefront6targetE0EEEvS12_.num_agpr, 0
	.set _ZN7rocprim17ROCPRIM_400000_NS6detail17trampoline_kernelINS0_13select_configILj256ELj13ELNS0_17block_load_methodE3ELS4_3ELS4_3ELNS0_20block_scan_algorithmE0ELj4294967295EEENS1_25partition_config_selectorILNS1_17partition_subalgoE4EjNS0_10empty_typeEbEEZZNS1_14partition_implILS8_4ELb0ES6_15HIP_vector_typeIjLj2EENS0_17counting_iteratorIjlEEPS9_SG_NS0_5tupleIJPjSI_NS0_16reverse_iteratorISI_EEEEENSH_IJSG_SG_SG_EEES9_SI_JZNS1_25segmented_radix_sort_implINS0_14default_configELb1EPKhPhPKlPlN2at6native12_GLOBAL__N_18offset_tEEE10hipError_tPvRmT1_PNSt15iterator_traitsIS12_E10value_typeET2_T3_PNS13_IS18_E10value_typeET4_jRbjT5_S1E_jjP12ihipStream_tbEUljE_ZNSN_ISO_Lb1ESQ_SR_ST_SU_SY_EESZ_S10_S11_S12_S16_S17_S18_S1B_S1C_jS1D_jS1E_S1E_jjS1G_bEUljE0_EEESZ_S10_S11_S18_S1C_S1E_T6_T7_T9_mT8_S1G_bDpT10_ENKUlT_T0_E_clISt17integral_constantIbLb0EES1T_IbLb1EEEEDaS1P_S1Q_EUlS1P_E_NS1_11comp_targetILNS1_3genE8ELNS1_11target_archE1030ELNS1_3gpuE2ELNS1_3repE0EEENS1_30default_config_static_selectorELNS0_4arch9wavefront6targetE0EEEvS12_.numbered_sgpr, 0
	.set _ZN7rocprim17ROCPRIM_400000_NS6detail17trampoline_kernelINS0_13select_configILj256ELj13ELNS0_17block_load_methodE3ELS4_3ELS4_3ELNS0_20block_scan_algorithmE0ELj4294967295EEENS1_25partition_config_selectorILNS1_17partition_subalgoE4EjNS0_10empty_typeEbEEZZNS1_14partition_implILS8_4ELb0ES6_15HIP_vector_typeIjLj2EENS0_17counting_iteratorIjlEEPS9_SG_NS0_5tupleIJPjSI_NS0_16reverse_iteratorISI_EEEEENSH_IJSG_SG_SG_EEES9_SI_JZNS1_25segmented_radix_sort_implINS0_14default_configELb1EPKhPhPKlPlN2at6native12_GLOBAL__N_18offset_tEEE10hipError_tPvRmT1_PNSt15iterator_traitsIS12_E10value_typeET2_T3_PNS13_IS18_E10value_typeET4_jRbjT5_S1E_jjP12ihipStream_tbEUljE_ZNSN_ISO_Lb1ESQ_SR_ST_SU_SY_EESZ_S10_S11_S12_S16_S17_S18_S1B_S1C_jS1D_jS1E_S1E_jjS1G_bEUljE0_EEESZ_S10_S11_S18_S1C_S1E_T6_T7_T9_mT8_S1G_bDpT10_ENKUlT_T0_E_clISt17integral_constantIbLb0EES1T_IbLb1EEEEDaS1P_S1Q_EUlS1P_E_NS1_11comp_targetILNS1_3genE8ELNS1_11target_archE1030ELNS1_3gpuE2ELNS1_3repE0EEENS1_30default_config_static_selectorELNS0_4arch9wavefront6targetE0EEEvS12_.num_named_barrier, 0
	.set _ZN7rocprim17ROCPRIM_400000_NS6detail17trampoline_kernelINS0_13select_configILj256ELj13ELNS0_17block_load_methodE3ELS4_3ELS4_3ELNS0_20block_scan_algorithmE0ELj4294967295EEENS1_25partition_config_selectorILNS1_17partition_subalgoE4EjNS0_10empty_typeEbEEZZNS1_14partition_implILS8_4ELb0ES6_15HIP_vector_typeIjLj2EENS0_17counting_iteratorIjlEEPS9_SG_NS0_5tupleIJPjSI_NS0_16reverse_iteratorISI_EEEEENSH_IJSG_SG_SG_EEES9_SI_JZNS1_25segmented_radix_sort_implINS0_14default_configELb1EPKhPhPKlPlN2at6native12_GLOBAL__N_18offset_tEEE10hipError_tPvRmT1_PNSt15iterator_traitsIS12_E10value_typeET2_T3_PNS13_IS18_E10value_typeET4_jRbjT5_S1E_jjP12ihipStream_tbEUljE_ZNSN_ISO_Lb1ESQ_SR_ST_SU_SY_EESZ_S10_S11_S12_S16_S17_S18_S1B_S1C_jS1D_jS1E_S1E_jjS1G_bEUljE0_EEESZ_S10_S11_S18_S1C_S1E_T6_T7_T9_mT8_S1G_bDpT10_ENKUlT_T0_E_clISt17integral_constantIbLb0EES1T_IbLb1EEEEDaS1P_S1Q_EUlS1P_E_NS1_11comp_targetILNS1_3genE8ELNS1_11target_archE1030ELNS1_3gpuE2ELNS1_3repE0EEENS1_30default_config_static_selectorELNS0_4arch9wavefront6targetE0EEEvS12_.private_seg_size, 0
	.set _ZN7rocprim17ROCPRIM_400000_NS6detail17trampoline_kernelINS0_13select_configILj256ELj13ELNS0_17block_load_methodE3ELS4_3ELS4_3ELNS0_20block_scan_algorithmE0ELj4294967295EEENS1_25partition_config_selectorILNS1_17partition_subalgoE4EjNS0_10empty_typeEbEEZZNS1_14partition_implILS8_4ELb0ES6_15HIP_vector_typeIjLj2EENS0_17counting_iteratorIjlEEPS9_SG_NS0_5tupleIJPjSI_NS0_16reverse_iteratorISI_EEEEENSH_IJSG_SG_SG_EEES9_SI_JZNS1_25segmented_radix_sort_implINS0_14default_configELb1EPKhPhPKlPlN2at6native12_GLOBAL__N_18offset_tEEE10hipError_tPvRmT1_PNSt15iterator_traitsIS12_E10value_typeET2_T3_PNS13_IS18_E10value_typeET4_jRbjT5_S1E_jjP12ihipStream_tbEUljE_ZNSN_ISO_Lb1ESQ_SR_ST_SU_SY_EESZ_S10_S11_S12_S16_S17_S18_S1B_S1C_jS1D_jS1E_S1E_jjS1G_bEUljE0_EEESZ_S10_S11_S18_S1C_S1E_T6_T7_T9_mT8_S1G_bDpT10_ENKUlT_T0_E_clISt17integral_constantIbLb0EES1T_IbLb1EEEEDaS1P_S1Q_EUlS1P_E_NS1_11comp_targetILNS1_3genE8ELNS1_11target_archE1030ELNS1_3gpuE2ELNS1_3repE0EEENS1_30default_config_static_selectorELNS0_4arch9wavefront6targetE0EEEvS12_.uses_vcc, 0
	.set _ZN7rocprim17ROCPRIM_400000_NS6detail17trampoline_kernelINS0_13select_configILj256ELj13ELNS0_17block_load_methodE3ELS4_3ELS4_3ELNS0_20block_scan_algorithmE0ELj4294967295EEENS1_25partition_config_selectorILNS1_17partition_subalgoE4EjNS0_10empty_typeEbEEZZNS1_14partition_implILS8_4ELb0ES6_15HIP_vector_typeIjLj2EENS0_17counting_iteratorIjlEEPS9_SG_NS0_5tupleIJPjSI_NS0_16reverse_iteratorISI_EEEEENSH_IJSG_SG_SG_EEES9_SI_JZNS1_25segmented_radix_sort_implINS0_14default_configELb1EPKhPhPKlPlN2at6native12_GLOBAL__N_18offset_tEEE10hipError_tPvRmT1_PNSt15iterator_traitsIS12_E10value_typeET2_T3_PNS13_IS18_E10value_typeET4_jRbjT5_S1E_jjP12ihipStream_tbEUljE_ZNSN_ISO_Lb1ESQ_SR_ST_SU_SY_EESZ_S10_S11_S12_S16_S17_S18_S1B_S1C_jS1D_jS1E_S1E_jjS1G_bEUljE0_EEESZ_S10_S11_S18_S1C_S1E_T6_T7_T9_mT8_S1G_bDpT10_ENKUlT_T0_E_clISt17integral_constantIbLb0EES1T_IbLb1EEEEDaS1P_S1Q_EUlS1P_E_NS1_11comp_targetILNS1_3genE8ELNS1_11target_archE1030ELNS1_3gpuE2ELNS1_3repE0EEENS1_30default_config_static_selectorELNS0_4arch9wavefront6targetE0EEEvS12_.uses_flat_scratch, 0
	.set _ZN7rocprim17ROCPRIM_400000_NS6detail17trampoline_kernelINS0_13select_configILj256ELj13ELNS0_17block_load_methodE3ELS4_3ELS4_3ELNS0_20block_scan_algorithmE0ELj4294967295EEENS1_25partition_config_selectorILNS1_17partition_subalgoE4EjNS0_10empty_typeEbEEZZNS1_14partition_implILS8_4ELb0ES6_15HIP_vector_typeIjLj2EENS0_17counting_iteratorIjlEEPS9_SG_NS0_5tupleIJPjSI_NS0_16reverse_iteratorISI_EEEEENSH_IJSG_SG_SG_EEES9_SI_JZNS1_25segmented_radix_sort_implINS0_14default_configELb1EPKhPhPKlPlN2at6native12_GLOBAL__N_18offset_tEEE10hipError_tPvRmT1_PNSt15iterator_traitsIS12_E10value_typeET2_T3_PNS13_IS18_E10value_typeET4_jRbjT5_S1E_jjP12ihipStream_tbEUljE_ZNSN_ISO_Lb1ESQ_SR_ST_SU_SY_EESZ_S10_S11_S12_S16_S17_S18_S1B_S1C_jS1D_jS1E_S1E_jjS1G_bEUljE0_EEESZ_S10_S11_S18_S1C_S1E_T6_T7_T9_mT8_S1G_bDpT10_ENKUlT_T0_E_clISt17integral_constantIbLb0EES1T_IbLb1EEEEDaS1P_S1Q_EUlS1P_E_NS1_11comp_targetILNS1_3genE8ELNS1_11target_archE1030ELNS1_3gpuE2ELNS1_3repE0EEENS1_30default_config_static_selectorELNS0_4arch9wavefront6targetE0EEEvS12_.has_dyn_sized_stack, 0
	.set _ZN7rocprim17ROCPRIM_400000_NS6detail17trampoline_kernelINS0_13select_configILj256ELj13ELNS0_17block_load_methodE3ELS4_3ELS4_3ELNS0_20block_scan_algorithmE0ELj4294967295EEENS1_25partition_config_selectorILNS1_17partition_subalgoE4EjNS0_10empty_typeEbEEZZNS1_14partition_implILS8_4ELb0ES6_15HIP_vector_typeIjLj2EENS0_17counting_iteratorIjlEEPS9_SG_NS0_5tupleIJPjSI_NS0_16reverse_iteratorISI_EEEEENSH_IJSG_SG_SG_EEES9_SI_JZNS1_25segmented_radix_sort_implINS0_14default_configELb1EPKhPhPKlPlN2at6native12_GLOBAL__N_18offset_tEEE10hipError_tPvRmT1_PNSt15iterator_traitsIS12_E10value_typeET2_T3_PNS13_IS18_E10value_typeET4_jRbjT5_S1E_jjP12ihipStream_tbEUljE_ZNSN_ISO_Lb1ESQ_SR_ST_SU_SY_EESZ_S10_S11_S12_S16_S17_S18_S1B_S1C_jS1D_jS1E_S1E_jjS1G_bEUljE0_EEESZ_S10_S11_S18_S1C_S1E_T6_T7_T9_mT8_S1G_bDpT10_ENKUlT_T0_E_clISt17integral_constantIbLb0EES1T_IbLb1EEEEDaS1P_S1Q_EUlS1P_E_NS1_11comp_targetILNS1_3genE8ELNS1_11target_archE1030ELNS1_3gpuE2ELNS1_3repE0EEENS1_30default_config_static_selectorELNS0_4arch9wavefront6targetE0EEEvS12_.has_recursion, 0
	.set _ZN7rocprim17ROCPRIM_400000_NS6detail17trampoline_kernelINS0_13select_configILj256ELj13ELNS0_17block_load_methodE3ELS4_3ELS4_3ELNS0_20block_scan_algorithmE0ELj4294967295EEENS1_25partition_config_selectorILNS1_17partition_subalgoE4EjNS0_10empty_typeEbEEZZNS1_14partition_implILS8_4ELb0ES6_15HIP_vector_typeIjLj2EENS0_17counting_iteratorIjlEEPS9_SG_NS0_5tupleIJPjSI_NS0_16reverse_iteratorISI_EEEEENSH_IJSG_SG_SG_EEES9_SI_JZNS1_25segmented_radix_sort_implINS0_14default_configELb1EPKhPhPKlPlN2at6native12_GLOBAL__N_18offset_tEEE10hipError_tPvRmT1_PNSt15iterator_traitsIS12_E10value_typeET2_T3_PNS13_IS18_E10value_typeET4_jRbjT5_S1E_jjP12ihipStream_tbEUljE_ZNSN_ISO_Lb1ESQ_SR_ST_SU_SY_EESZ_S10_S11_S12_S16_S17_S18_S1B_S1C_jS1D_jS1E_S1E_jjS1G_bEUljE0_EEESZ_S10_S11_S18_S1C_S1E_T6_T7_T9_mT8_S1G_bDpT10_ENKUlT_T0_E_clISt17integral_constantIbLb0EES1T_IbLb1EEEEDaS1P_S1Q_EUlS1P_E_NS1_11comp_targetILNS1_3genE8ELNS1_11target_archE1030ELNS1_3gpuE2ELNS1_3repE0EEENS1_30default_config_static_selectorELNS0_4arch9wavefront6targetE0EEEvS12_.has_indirect_call, 0
	.section	.AMDGPU.csdata,"",@progbits
; Kernel info:
; codeLenInByte = 0
; TotalNumSgprs: 0
; NumVgprs: 0
; ScratchSize: 0
; MemoryBound: 0
; FloatMode: 240
; IeeeMode: 1
; LDSByteSize: 0 bytes/workgroup (compile time only)
; SGPRBlocks: 0
; VGPRBlocks: 0
; NumSGPRsForWavesPerEU: 1
; NumVGPRsForWavesPerEU: 1
; Occupancy: 16
; WaveLimiterHint : 0
; COMPUTE_PGM_RSRC2:SCRATCH_EN: 0
; COMPUTE_PGM_RSRC2:USER_SGPR: 2
; COMPUTE_PGM_RSRC2:TRAP_HANDLER: 0
; COMPUTE_PGM_RSRC2:TGID_X_EN: 1
; COMPUTE_PGM_RSRC2:TGID_Y_EN: 0
; COMPUTE_PGM_RSRC2:TGID_Z_EN: 0
; COMPUTE_PGM_RSRC2:TIDIG_COMP_CNT: 0
	.section	.text._ZN7rocprim17ROCPRIM_400000_NS6detail31init_lookback_scan_state_kernelINS1_19lookback_scan_stateIjLb0ELb1EEENS1_16block_id_wrapperIjLb0EEEEEvT_jT0_jPNS7_10value_typeE,"axG",@progbits,_ZN7rocprim17ROCPRIM_400000_NS6detail31init_lookback_scan_state_kernelINS1_19lookback_scan_stateIjLb0ELb1EEENS1_16block_id_wrapperIjLb0EEEEEvT_jT0_jPNS7_10value_typeE,comdat
	.protected	_ZN7rocprim17ROCPRIM_400000_NS6detail31init_lookback_scan_state_kernelINS1_19lookback_scan_stateIjLb0ELb1EEENS1_16block_id_wrapperIjLb0EEEEEvT_jT0_jPNS7_10value_typeE ; -- Begin function _ZN7rocprim17ROCPRIM_400000_NS6detail31init_lookback_scan_state_kernelINS1_19lookback_scan_stateIjLb0ELb1EEENS1_16block_id_wrapperIjLb0EEEEEvT_jT0_jPNS7_10value_typeE
	.globl	_ZN7rocprim17ROCPRIM_400000_NS6detail31init_lookback_scan_state_kernelINS1_19lookback_scan_stateIjLb0ELb1EEENS1_16block_id_wrapperIjLb0EEEEEvT_jT0_jPNS7_10value_typeE
	.p2align	8
	.type	_ZN7rocprim17ROCPRIM_400000_NS6detail31init_lookback_scan_state_kernelINS1_19lookback_scan_stateIjLb0ELb1EEENS1_16block_id_wrapperIjLb0EEEEEvT_jT0_jPNS7_10value_typeE,@function
_ZN7rocprim17ROCPRIM_400000_NS6detail31init_lookback_scan_state_kernelINS1_19lookback_scan_stateIjLb0ELb1EEENS1_16block_id_wrapperIjLb0EEEEEvT_jT0_jPNS7_10value_typeE: ; @_ZN7rocprim17ROCPRIM_400000_NS6detail31init_lookback_scan_state_kernelINS1_19lookback_scan_stateIjLb0ELb1EEENS1_16block_id_wrapperIjLb0EEEEEvT_jT0_jPNS7_10value_typeE
; %bb.0:
	s_clause 0x2
	s_load_b32 s7, s[0:1], 0x2c
	s_load_b64 s[2:3], s[0:1], 0x18
	s_load_b96 s[4:6], s[0:1], 0x0
	s_wait_kmcnt 0x0
	s_and_b32 s7, s7, 0xffff
	s_cmp_eq_u64 s[2:3], 0
	v_mad_co_u64_u32 v[0:1], null, ttmp9, s7, v[0:1]
	s_cbranch_scc1 .LBB47_6
; %bb.1:
	s_load_b32 s0, s[0:1], 0x10
	s_wait_kmcnt 0x0
	s_cmp_lt_u32 s0, s6
	s_cselect_b32 s1, s0, 0
	s_wait_alu 0xfffe
	v_cmp_eq_u32_e32 vcc_lo, s1, v0
	s_mov_b32 s1, 0
	s_and_saveexec_b32 s7, vcc_lo
	s_cbranch_execz .LBB47_5
; %bb.2:
	s_add_co_i32 s0, s0, 32
	v_mov_b32_e32 v3, 0
	s_wait_alu 0xfffe
	s_lshl_b64 s[0:1], s[0:1], 3
	s_wait_alu 0xfffe
	s_add_nc_u64 s[0:1], s[4:5], s[0:1]
	global_load_b64 v[1:2], v3, s[0:1] scope:SCOPE_DEV
	s_wait_loadcnt 0x0
	v_and_b32_e32 v4, 0xff, v2
	s_delay_alu instid0(VALU_DEP_1)
	v_cmp_ne_u64_e32 vcc_lo, 0, v[3:4]
	s_cbranch_vccnz .LBB47_4
.LBB47_3:                               ; =>This Inner Loop Header: Depth=1
	global_load_b64 v[1:2], v3, s[0:1] scope:SCOPE_DEV
	s_wait_loadcnt 0x0
	v_and_b32_e32 v4, 0xff, v2
	s_delay_alu instid0(VALU_DEP_1)
	v_cmp_eq_u64_e32 vcc_lo, 0, v[3:4]
	s_cbranch_vccnz .LBB47_3
.LBB47_4:
	v_mov_b32_e32 v2, 0
	global_store_b32 v2, v1, s[2:3]
.LBB47_5:
	s_wait_alu 0xfffe
	s_or_b32 exec_lo, exec_lo, s7
.LBB47_6:
	s_delay_alu instid0(SALU_CYCLE_1)
	s_mov_b32 s0, exec_lo
	v_cmpx_gt_u32_e64 s6, v0
	s_cbranch_execz .LBB47_8
; %bb.7:
	v_dual_mov_b32 v2, 0 :: v_dual_add_nc_u32 v1, 32, v0
	s_delay_alu instid0(VALU_DEP_1) | instskip(SKIP_1) | instid1(VALU_DEP_2)
	v_lshlrev_b64_e32 v[3:4], 3, v[1:2]
	v_mov_b32_e32 v1, v2
	v_add_co_u32 v3, vcc_lo, s4, v3
	s_delay_alu instid0(VALU_DEP_1)
	v_add_co_ci_u32_e64 v4, null, s5, v4, vcc_lo
	global_store_b64 v[3:4], v[1:2], off
.LBB47_8:
	s_wait_alu 0xfffe
	s_or_b32 exec_lo, exec_lo, s0
	s_delay_alu instid0(SALU_CYCLE_1)
	s_mov_b32 s0, exec_lo
	v_cmpx_gt_u32_e32 32, v0
	s_cbranch_execz .LBB47_10
; %bb.9:
	v_dual_mov_b32 v1, 0 :: v_dual_mov_b32 v4, 0xff
	s_delay_alu instid0(VALU_DEP_1) | instskip(NEXT) | instid1(VALU_DEP_1)
	v_lshlrev_b64_e32 v[2:3], 3, v[0:1]
	v_add_co_u32 v5, vcc_lo, s4, v2
	s_wait_alu 0xfffd
	s_delay_alu instid0(VALU_DEP_2)
	v_add_co_ci_u32_e64 v6, null, s5, v3, vcc_lo
	v_mov_b32_e32 v3, v1
	global_store_b64 v[5:6], v[3:4], off
.LBB47_10:
	s_endpgm
	.section	.rodata,"a",@progbits
	.p2align	6, 0x0
	.amdhsa_kernel _ZN7rocprim17ROCPRIM_400000_NS6detail31init_lookback_scan_state_kernelINS1_19lookback_scan_stateIjLb0ELb1EEENS1_16block_id_wrapperIjLb0EEEEEvT_jT0_jPNS7_10value_typeE
		.amdhsa_group_segment_fixed_size 0
		.amdhsa_private_segment_fixed_size 0
		.amdhsa_kernarg_size 288
		.amdhsa_user_sgpr_count 2
		.amdhsa_user_sgpr_dispatch_ptr 0
		.amdhsa_user_sgpr_queue_ptr 0
		.amdhsa_user_sgpr_kernarg_segment_ptr 1
		.amdhsa_user_sgpr_dispatch_id 0
		.amdhsa_user_sgpr_private_segment_size 0
		.amdhsa_wavefront_size32 1
		.amdhsa_uses_dynamic_stack 0
		.amdhsa_enable_private_segment 0
		.amdhsa_system_sgpr_workgroup_id_x 1
		.amdhsa_system_sgpr_workgroup_id_y 0
		.amdhsa_system_sgpr_workgroup_id_z 0
		.amdhsa_system_sgpr_workgroup_info 0
		.amdhsa_system_vgpr_workitem_id 0
		.amdhsa_next_free_vgpr 7
		.amdhsa_next_free_sgpr 8
		.amdhsa_reserve_vcc 1
		.amdhsa_float_round_mode_32 0
		.amdhsa_float_round_mode_16_64 0
		.amdhsa_float_denorm_mode_32 3
		.amdhsa_float_denorm_mode_16_64 3
		.amdhsa_fp16_overflow 0
		.amdhsa_workgroup_processor_mode 1
		.amdhsa_memory_ordered 1
		.amdhsa_forward_progress 1
		.amdhsa_inst_pref_size 3
		.amdhsa_round_robin_scheduling 0
		.amdhsa_exception_fp_ieee_invalid_op 0
		.amdhsa_exception_fp_denorm_src 0
		.amdhsa_exception_fp_ieee_div_zero 0
		.amdhsa_exception_fp_ieee_overflow 0
		.amdhsa_exception_fp_ieee_underflow 0
		.amdhsa_exception_fp_ieee_inexact 0
		.amdhsa_exception_int_div_zero 0
	.end_amdhsa_kernel
	.section	.text._ZN7rocprim17ROCPRIM_400000_NS6detail31init_lookback_scan_state_kernelINS1_19lookback_scan_stateIjLb0ELb1EEENS1_16block_id_wrapperIjLb0EEEEEvT_jT0_jPNS7_10value_typeE,"axG",@progbits,_ZN7rocprim17ROCPRIM_400000_NS6detail31init_lookback_scan_state_kernelINS1_19lookback_scan_stateIjLb0ELb1EEENS1_16block_id_wrapperIjLb0EEEEEvT_jT0_jPNS7_10value_typeE,comdat
.Lfunc_end47:
	.size	_ZN7rocprim17ROCPRIM_400000_NS6detail31init_lookback_scan_state_kernelINS1_19lookback_scan_stateIjLb0ELb1EEENS1_16block_id_wrapperIjLb0EEEEEvT_jT0_jPNS7_10value_typeE, .Lfunc_end47-_ZN7rocprim17ROCPRIM_400000_NS6detail31init_lookback_scan_state_kernelINS1_19lookback_scan_stateIjLb0ELb1EEENS1_16block_id_wrapperIjLb0EEEEEvT_jT0_jPNS7_10value_typeE
                                        ; -- End function
	.set _ZN7rocprim17ROCPRIM_400000_NS6detail31init_lookback_scan_state_kernelINS1_19lookback_scan_stateIjLb0ELb1EEENS1_16block_id_wrapperIjLb0EEEEEvT_jT0_jPNS7_10value_typeE.num_vgpr, 7
	.set _ZN7rocprim17ROCPRIM_400000_NS6detail31init_lookback_scan_state_kernelINS1_19lookback_scan_stateIjLb0ELb1EEENS1_16block_id_wrapperIjLb0EEEEEvT_jT0_jPNS7_10value_typeE.num_agpr, 0
	.set _ZN7rocprim17ROCPRIM_400000_NS6detail31init_lookback_scan_state_kernelINS1_19lookback_scan_stateIjLb0ELb1EEENS1_16block_id_wrapperIjLb0EEEEEvT_jT0_jPNS7_10value_typeE.numbered_sgpr, 8
	.set _ZN7rocprim17ROCPRIM_400000_NS6detail31init_lookback_scan_state_kernelINS1_19lookback_scan_stateIjLb0ELb1EEENS1_16block_id_wrapperIjLb0EEEEEvT_jT0_jPNS7_10value_typeE.num_named_barrier, 0
	.set _ZN7rocprim17ROCPRIM_400000_NS6detail31init_lookback_scan_state_kernelINS1_19lookback_scan_stateIjLb0ELb1EEENS1_16block_id_wrapperIjLb0EEEEEvT_jT0_jPNS7_10value_typeE.private_seg_size, 0
	.set _ZN7rocprim17ROCPRIM_400000_NS6detail31init_lookback_scan_state_kernelINS1_19lookback_scan_stateIjLb0ELb1EEENS1_16block_id_wrapperIjLb0EEEEEvT_jT0_jPNS7_10value_typeE.uses_vcc, 1
	.set _ZN7rocprim17ROCPRIM_400000_NS6detail31init_lookback_scan_state_kernelINS1_19lookback_scan_stateIjLb0ELb1EEENS1_16block_id_wrapperIjLb0EEEEEvT_jT0_jPNS7_10value_typeE.uses_flat_scratch, 0
	.set _ZN7rocprim17ROCPRIM_400000_NS6detail31init_lookback_scan_state_kernelINS1_19lookback_scan_stateIjLb0ELb1EEENS1_16block_id_wrapperIjLb0EEEEEvT_jT0_jPNS7_10value_typeE.has_dyn_sized_stack, 0
	.set _ZN7rocprim17ROCPRIM_400000_NS6detail31init_lookback_scan_state_kernelINS1_19lookback_scan_stateIjLb0ELb1EEENS1_16block_id_wrapperIjLb0EEEEEvT_jT0_jPNS7_10value_typeE.has_recursion, 0
	.set _ZN7rocprim17ROCPRIM_400000_NS6detail31init_lookback_scan_state_kernelINS1_19lookback_scan_stateIjLb0ELb1EEENS1_16block_id_wrapperIjLb0EEEEEvT_jT0_jPNS7_10value_typeE.has_indirect_call, 0
	.section	.AMDGPU.csdata,"",@progbits
; Kernel info:
; codeLenInByte = 376
; TotalNumSgprs: 10
; NumVgprs: 7
; ScratchSize: 0
; MemoryBound: 0
; FloatMode: 240
; IeeeMode: 1
; LDSByteSize: 0 bytes/workgroup (compile time only)
; SGPRBlocks: 0
; VGPRBlocks: 0
; NumSGPRsForWavesPerEU: 10
; NumVGPRsForWavesPerEU: 7
; Occupancy: 16
; WaveLimiterHint : 0
; COMPUTE_PGM_RSRC2:SCRATCH_EN: 0
; COMPUTE_PGM_RSRC2:USER_SGPR: 2
; COMPUTE_PGM_RSRC2:TRAP_HANDLER: 0
; COMPUTE_PGM_RSRC2:TGID_X_EN: 1
; COMPUTE_PGM_RSRC2:TGID_Y_EN: 0
; COMPUTE_PGM_RSRC2:TGID_Z_EN: 0
; COMPUTE_PGM_RSRC2:TIDIG_COMP_CNT: 0
	.section	.text._ZN7rocprim17ROCPRIM_400000_NS6detail17trampoline_kernelINS0_13select_configILj256ELj13ELNS0_17block_load_methodE3ELS4_3ELS4_3ELNS0_20block_scan_algorithmE0ELj4294967295EEENS1_25partition_config_selectorILNS1_17partition_subalgoE3EjNS0_10empty_typeEbEEZZNS1_14partition_implILS8_3ELb0ES6_jNS0_17counting_iteratorIjlEEPS9_SE_NS0_5tupleIJPjSE_EEENSF_IJSE_SE_EEES9_SG_JZNS1_25segmented_radix_sort_implINS0_14default_configELb1EPKhPhPKlPlN2at6native12_GLOBAL__N_18offset_tEEE10hipError_tPvRmT1_PNSt15iterator_traitsISY_E10value_typeET2_T3_PNSZ_IS14_E10value_typeET4_jRbjT5_S1A_jjP12ihipStream_tbEUljE_EEESV_SW_SX_S14_S18_S1A_T6_T7_T9_mT8_S1C_bDpT10_ENKUlT_T0_E_clISt17integral_constantIbLb0EES1P_EEDaS1K_S1L_EUlS1K_E_NS1_11comp_targetILNS1_3genE0ELNS1_11target_archE4294967295ELNS1_3gpuE0ELNS1_3repE0EEENS1_30default_config_static_selectorELNS0_4arch9wavefront6targetE0EEEvSY_,"axG",@progbits,_ZN7rocprim17ROCPRIM_400000_NS6detail17trampoline_kernelINS0_13select_configILj256ELj13ELNS0_17block_load_methodE3ELS4_3ELS4_3ELNS0_20block_scan_algorithmE0ELj4294967295EEENS1_25partition_config_selectorILNS1_17partition_subalgoE3EjNS0_10empty_typeEbEEZZNS1_14partition_implILS8_3ELb0ES6_jNS0_17counting_iteratorIjlEEPS9_SE_NS0_5tupleIJPjSE_EEENSF_IJSE_SE_EEES9_SG_JZNS1_25segmented_radix_sort_implINS0_14default_configELb1EPKhPhPKlPlN2at6native12_GLOBAL__N_18offset_tEEE10hipError_tPvRmT1_PNSt15iterator_traitsISY_E10value_typeET2_T3_PNSZ_IS14_E10value_typeET4_jRbjT5_S1A_jjP12ihipStream_tbEUljE_EEESV_SW_SX_S14_S18_S1A_T6_T7_T9_mT8_S1C_bDpT10_ENKUlT_T0_E_clISt17integral_constantIbLb0EES1P_EEDaS1K_S1L_EUlS1K_E_NS1_11comp_targetILNS1_3genE0ELNS1_11target_archE4294967295ELNS1_3gpuE0ELNS1_3repE0EEENS1_30default_config_static_selectorELNS0_4arch9wavefront6targetE0EEEvSY_,comdat
	.globl	_ZN7rocprim17ROCPRIM_400000_NS6detail17trampoline_kernelINS0_13select_configILj256ELj13ELNS0_17block_load_methodE3ELS4_3ELS4_3ELNS0_20block_scan_algorithmE0ELj4294967295EEENS1_25partition_config_selectorILNS1_17partition_subalgoE3EjNS0_10empty_typeEbEEZZNS1_14partition_implILS8_3ELb0ES6_jNS0_17counting_iteratorIjlEEPS9_SE_NS0_5tupleIJPjSE_EEENSF_IJSE_SE_EEES9_SG_JZNS1_25segmented_radix_sort_implINS0_14default_configELb1EPKhPhPKlPlN2at6native12_GLOBAL__N_18offset_tEEE10hipError_tPvRmT1_PNSt15iterator_traitsISY_E10value_typeET2_T3_PNSZ_IS14_E10value_typeET4_jRbjT5_S1A_jjP12ihipStream_tbEUljE_EEESV_SW_SX_S14_S18_S1A_T6_T7_T9_mT8_S1C_bDpT10_ENKUlT_T0_E_clISt17integral_constantIbLb0EES1P_EEDaS1K_S1L_EUlS1K_E_NS1_11comp_targetILNS1_3genE0ELNS1_11target_archE4294967295ELNS1_3gpuE0ELNS1_3repE0EEENS1_30default_config_static_selectorELNS0_4arch9wavefront6targetE0EEEvSY_ ; -- Begin function _ZN7rocprim17ROCPRIM_400000_NS6detail17trampoline_kernelINS0_13select_configILj256ELj13ELNS0_17block_load_methodE3ELS4_3ELS4_3ELNS0_20block_scan_algorithmE0ELj4294967295EEENS1_25partition_config_selectorILNS1_17partition_subalgoE3EjNS0_10empty_typeEbEEZZNS1_14partition_implILS8_3ELb0ES6_jNS0_17counting_iteratorIjlEEPS9_SE_NS0_5tupleIJPjSE_EEENSF_IJSE_SE_EEES9_SG_JZNS1_25segmented_radix_sort_implINS0_14default_configELb1EPKhPhPKlPlN2at6native12_GLOBAL__N_18offset_tEEE10hipError_tPvRmT1_PNSt15iterator_traitsISY_E10value_typeET2_T3_PNSZ_IS14_E10value_typeET4_jRbjT5_S1A_jjP12ihipStream_tbEUljE_EEESV_SW_SX_S14_S18_S1A_T6_T7_T9_mT8_S1C_bDpT10_ENKUlT_T0_E_clISt17integral_constantIbLb0EES1P_EEDaS1K_S1L_EUlS1K_E_NS1_11comp_targetILNS1_3genE0ELNS1_11target_archE4294967295ELNS1_3gpuE0ELNS1_3repE0EEENS1_30default_config_static_selectorELNS0_4arch9wavefront6targetE0EEEvSY_
	.p2align	8
	.type	_ZN7rocprim17ROCPRIM_400000_NS6detail17trampoline_kernelINS0_13select_configILj256ELj13ELNS0_17block_load_methodE3ELS4_3ELS4_3ELNS0_20block_scan_algorithmE0ELj4294967295EEENS1_25partition_config_selectorILNS1_17partition_subalgoE3EjNS0_10empty_typeEbEEZZNS1_14partition_implILS8_3ELb0ES6_jNS0_17counting_iteratorIjlEEPS9_SE_NS0_5tupleIJPjSE_EEENSF_IJSE_SE_EEES9_SG_JZNS1_25segmented_radix_sort_implINS0_14default_configELb1EPKhPhPKlPlN2at6native12_GLOBAL__N_18offset_tEEE10hipError_tPvRmT1_PNSt15iterator_traitsISY_E10value_typeET2_T3_PNSZ_IS14_E10value_typeET4_jRbjT5_S1A_jjP12ihipStream_tbEUljE_EEESV_SW_SX_S14_S18_S1A_T6_T7_T9_mT8_S1C_bDpT10_ENKUlT_T0_E_clISt17integral_constantIbLb0EES1P_EEDaS1K_S1L_EUlS1K_E_NS1_11comp_targetILNS1_3genE0ELNS1_11target_archE4294967295ELNS1_3gpuE0ELNS1_3repE0EEENS1_30default_config_static_selectorELNS0_4arch9wavefront6targetE0EEEvSY_,@function
_ZN7rocprim17ROCPRIM_400000_NS6detail17trampoline_kernelINS0_13select_configILj256ELj13ELNS0_17block_load_methodE3ELS4_3ELS4_3ELNS0_20block_scan_algorithmE0ELj4294967295EEENS1_25partition_config_selectorILNS1_17partition_subalgoE3EjNS0_10empty_typeEbEEZZNS1_14partition_implILS8_3ELb0ES6_jNS0_17counting_iteratorIjlEEPS9_SE_NS0_5tupleIJPjSE_EEENSF_IJSE_SE_EEES9_SG_JZNS1_25segmented_radix_sort_implINS0_14default_configELb1EPKhPhPKlPlN2at6native12_GLOBAL__N_18offset_tEEE10hipError_tPvRmT1_PNSt15iterator_traitsISY_E10value_typeET2_T3_PNSZ_IS14_E10value_typeET4_jRbjT5_S1A_jjP12ihipStream_tbEUljE_EEESV_SW_SX_S14_S18_S1A_T6_T7_T9_mT8_S1C_bDpT10_ENKUlT_T0_E_clISt17integral_constantIbLb0EES1P_EEDaS1K_S1L_EUlS1K_E_NS1_11comp_targetILNS1_3genE0ELNS1_11target_archE4294967295ELNS1_3gpuE0ELNS1_3repE0EEENS1_30default_config_static_selectorELNS0_4arch9wavefront6targetE0EEEvSY_: ; @_ZN7rocprim17ROCPRIM_400000_NS6detail17trampoline_kernelINS0_13select_configILj256ELj13ELNS0_17block_load_methodE3ELS4_3ELS4_3ELNS0_20block_scan_algorithmE0ELj4294967295EEENS1_25partition_config_selectorILNS1_17partition_subalgoE3EjNS0_10empty_typeEbEEZZNS1_14partition_implILS8_3ELb0ES6_jNS0_17counting_iteratorIjlEEPS9_SE_NS0_5tupleIJPjSE_EEENSF_IJSE_SE_EEES9_SG_JZNS1_25segmented_radix_sort_implINS0_14default_configELb1EPKhPhPKlPlN2at6native12_GLOBAL__N_18offset_tEEE10hipError_tPvRmT1_PNSt15iterator_traitsISY_E10value_typeET2_T3_PNSZ_IS14_E10value_typeET4_jRbjT5_S1A_jjP12ihipStream_tbEUljE_EEESV_SW_SX_S14_S18_S1A_T6_T7_T9_mT8_S1C_bDpT10_ENKUlT_T0_E_clISt17integral_constantIbLb0EES1P_EEDaS1K_S1L_EUlS1K_E_NS1_11comp_targetILNS1_3genE0ELNS1_11target_archE4294967295ELNS1_3gpuE0ELNS1_3repE0EEENS1_30default_config_static_selectorELNS0_4arch9wavefront6targetE0EEEvSY_
; %bb.0:
	.section	.rodata,"a",@progbits
	.p2align	6, 0x0
	.amdhsa_kernel _ZN7rocprim17ROCPRIM_400000_NS6detail17trampoline_kernelINS0_13select_configILj256ELj13ELNS0_17block_load_methodE3ELS4_3ELS4_3ELNS0_20block_scan_algorithmE0ELj4294967295EEENS1_25partition_config_selectorILNS1_17partition_subalgoE3EjNS0_10empty_typeEbEEZZNS1_14partition_implILS8_3ELb0ES6_jNS0_17counting_iteratorIjlEEPS9_SE_NS0_5tupleIJPjSE_EEENSF_IJSE_SE_EEES9_SG_JZNS1_25segmented_radix_sort_implINS0_14default_configELb1EPKhPhPKlPlN2at6native12_GLOBAL__N_18offset_tEEE10hipError_tPvRmT1_PNSt15iterator_traitsISY_E10value_typeET2_T3_PNSZ_IS14_E10value_typeET4_jRbjT5_S1A_jjP12ihipStream_tbEUljE_EEESV_SW_SX_S14_S18_S1A_T6_T7_T9_mT8_S1C_bDpT10_ENKUlT_T0_E_clISt17integral_constantIbLb0EES1P_EEDaS1K_S1L_EUlS1K_E_NS1_11comp_targetILNS1_3genE0ELNS1_11target_archE4294967295ELNS1_3gpuE0ELNS1_3repE0EEENS1_30default_config_static_selectorELNS0_4arch9wavefront6targetE0EEEvSY_
		.amdhsa_group_segment_fixed_size 0
		.amdhsa_private_segment_fixed_size 0
		.amdhsa_kernarg_size 144
		.amdhsa_user_sgpr_count 2
		.amdhsa_user_sgpr_dispatch_ptr 0
		.amdhsa_user_sgpr_queue_ptr 0
		.amdhsa_user_sgpr_kernarg_segment_ptr 1
		.amdhsa_user_sgpr_dispatch_id 0
		.amdhsa_user_sgpr_private_segment_size 0
		.amdhsa_wavefront_size32 1
		.amdhsa_uses_dynamic_stack 0
		.amdhsa_enable_private_segment 0
		.amdhsa_system_sgpr_workgroup_id_x 1
		.amdhsa_system_sgpr_workgroup_id_y 0
		.amdhsa_system_sgpr_workgroup_id_z 0
		.amdhsa_system_sgpr_workgroup_info 0
		.amdhsa_system_vgpr_workitem_id 0
		.amdhsa_next_free_vgpr 1
		.amdhsa_next_free_sgpr 1
		.amdhsa_reserve_vcc 0
		.amdhsa_float_round_mode_32 0
		.amdhsa_float_round_mode_16_64 0
		.amdhsa_float_denorm_mode_32 3
		.amdhsa_float_denorm_mode_16_64 3
		.amdhsa_fp16_overflow 0
		.amdhsa_workgroup_processor_mode 1
		.amdhsa_memory_ordered 1
		.amdhsa_forward_progress 1
		.amdhsa_inst_pref_size 0
		.amdhsa_round_robin_scheduling 0
		.amdhsa_exception_fp_ieee_invalid_op 0
		.amdhsa_exception_fp_denorm_src 0
		.amdhsa_exception_fp_ieee_div_zero 0
		.amdhsa_exception_fp_ieee_overflow 0
		.amdhsa_exception_fp_ieee_underflow 0
		.amdhsa_exception_fp_ieee_inexact 0
		.amdhsa_exception_int_div_zero 0
	.end_amdhsa_kernel
	.section	.text._ZN7rocprim17ROCPRIM_400000_NS6detail17trampoline_kernelINS0_13select_configILj256ELj13ELNS0_17block_load_methodE3ELS4_3ELS4_3ELNS0_20block_scan_algorithmE0ELj4294967295EEENS1_25partition_config_selectorILNS1_17partition_subalgoE3EjNS0_10empty_typeEbEEZZNS1_14partition_implILS8_3ELb0ES6_jNS0_17counting_iteratorIjlEEPS9_SE_NS0_5tupleIJPjSE_EEENSF_IJSE_SE_EEES9_SG_JZNS1_25segmented_radix_sort_implINS0_14default_configELb1EPKhPhPKlPlN2at6native12_GLOBAL__N_18offset_tEEE10hipError_tPvRmT1_PNSt15iterator_traitsISY_E10value_typeET2_T3_PNSZ_IS14_E10value_typeET4_jRbjT5_S1A_jjP12ihipStream_tbEUljE_EEESV_SW_SX_S14_S18_S1A_T6_T7_T9_mT8_S1C_bDpT10_ENKUlT_T0_E_clISt17integral_constantIbLb0EES1P_EEDaS1K_S1L_EUlS1K_E_NS1_11comp_targetILNS1_3genE0ELNS1_11target_archE4294967295ELNS1_3gpuE0ELNS1_3repE0EEENS1_30default_config_static_selectorELNS0_4arch9wavefront6targetE0EEEvSY_,"axG",@progbits,_ZN7rocprim17ROCPRIM_400000_NS6detail17trampoline_kernelINS0_13select_configILj256ELj13ELNS0_17block_load_methodE3ELS4_3ELS4_3ELNS0_20block_scan_algorithmE0ELj4294967295EEENS1_25partition_config_selectorILNS1_17partition_subalgoE3EjNS0_10empty_typeEbEEZZNS1_14partition_implILS8_3ELb0ES6_jNS0_17counting_iteratorIjlEEPS9_SE_NS0_5tupleIJPjSE_EEENSF_IJSE_SE_EEES9_SG_JZNS1_25segmented_radix_sort_implINS0_14default_configELb1EPKhPhPKlPlN2at6native12_GLOBAL__N_18offset_tEEE10hipError_tPvRmT1_PNSt15iterator_traitsISY_E10value_typeET2_T3_PNSZ_IS14_E10value_typeET4_jRbjT5_S1A_jjP12ihipStream_tbEUljE_EEESV_SW_SX_S14_S18_S1A_T6_T7_T9_mT8_S1C_bDpT10_ENKUlT_T0_E_clISt17integral_constantIbLb0EES1P_EEDaS1K_S1L_EUlS1K_E_NS1_11comp_targetILNS1_3genE0ELNS1_11target_archE4294967295ELNS1_3gpuE0ELNS1_3repE0EEENS1_30default_config_static_selectorELNS0_4arch9wavefront6targetE0EEEvSY_,comdat
.Lfunc_end48:
	.size	_ZN7rocprim17ROCPRIM_400000_NS6detail17trampoline_kernelINS0_13select_configILj256ELj13ELNS0_17block_load_methodE3ELS4_3ELS4_3ELNS0_20block_scan_algorithmE0ELj4294967295EEENS1_25partition_config_selectorILNS1_17partition_subalgoE3EjNS0_10empty_typeEbEEZZNS1_14partition_implILS8_3ELb0ES6_jNS0_17counting_iteratorIjlEEPS9_SE_NS0_5tupleIJPjSE_EEENSF_IJSE_SE_EEES9_SG_JZNS1_25segmented_radix_sort_implINS0_14default_configELb1EPKhPhPKlPlN2at6native12_GLOBAL__N_18offset_tEEE10hipError_tPvRmT1_PNSt15iterator_traitsISY_E10value_typeET2_T3_PNSZ_IS14_E10value_typeET4_jRbjT5_S1A_jjP12ihipStream_tbEUljE_EEESV_SW_SX_S14_S18_S1A_T6_T7_T9_mT8_S1C_bDpT10_ENKUlT_T0_E_clISt17integral_constantIbLb0EES1P_EEDaS1K_S1L_EUlS1K_E_NS1_11comp_targetILNS1_3genE0ELNS1_11target_archE4294967295ELNS1_3gpuE0ELNS1_3repE0EEENS1_30default_config_static_selectorELNS0_4arch9wavefront6targetE0EEEvSY_, .Lfunc_end48-_ZN7rocprim17ROCPRIM_400000_NS6detail17trampoline_kernelINS0_13select_configILj256ELj13ELNS0_17block_load_methodE3ELS4_3ELS4_3ELNS0_20block_scan_algorithmE0ELj4294967295EEENS1_25partition_config_selectorILNS1_17partition_subalgoE3EjNS0_10empty_typeEbEEZZNS1_14partition_implILS8_3ELb0ES6_jNS0_17counting_iteratorIjlEEPS9_SE_NS0_5tupleIJPjSE_EEENSF_IJSE_SE_EEES9_SG_JZNS1_25segmented_radix_sort_implINS0_14default_configELb1EPKhPhPKlPlN2at6native12_GLOBAL__N_18offset_tEEE10hipError_tPvRmT1_PNSt15iterator_traitsISY_E10value_typeET2_T3_PNSZ_IS14_E10value_typeET4_jRbjT5_S1A_jjP12ihipStream_tbEUljE_EEESV_SW_SX_S14_S18_S1A_T6_T7_T9_mT8_S1C_bDpT10_ENKUlT_T0_E_clISt17integral_constantIbLb0EES1P_EEDaS1K_S1L_EUlS1K_E_NS1_11comp_targetILNS1_3genE0ELNS1_11target_archE4294967295ELNS1_3gpuE0ELNS1_3repE0EEENS1_30default_config_static_selectorELNS0_4arch9wavefront6targetE0EEEvSY_
                                        ; -- End function
	.set _ZN7rocprim17ROCPRIM_400000_NS6detail17trampoline_kernelINS0_13select_configILj256ELj13ELNS0_17block_load_methodE3ELS4_3ELS4_3ELNS0_20block_scan_algorithmE0ELj4294967295EEENS1_25partition_config_selectorILNS1_17partition_subalgoE3EjNS0_10empty_typeEbEEZZNS1_14partition_implILS8_3ELb0ES6_jNS0_17counting_iteratorIjlEEPS9_SE_NS0_5tupleIJPjSE_EEENSF_IJSE_SE_EEES9_SG_JZNS1_25segmented_radix_sort_implINS0_14default_configELb1EPKhPhPKlPlN2at6native12_GLOBAL__N_18offset_tEEE10hipError_tPvRmT1_PNSt15iterator_traitsISY_E10value_typeET2_T3_PNSZ_IS14_E10value_typeET4_jRbjT5_S1A_jjP12ihipStream_tbEUljE_EEESV_SW_SX_S14_S18_S1A_T6_T7_T9_mT8_S1C_bDpT10_ENKUlT_T0_E_clISt17integral_constantIbLb0EES1P_EEDaS1K_S1L_EUlS1K_E_NS1_11comp_targetILNS1_3genE0ELNS1_11target_archE4294967295ELNS1_3gpuE0ELNS1_3repE0EEENS1_30default_config_static_selectorELNS0_4arch9wavefront6targetE0EEEvSY_.num_vgpr, 0
	.set _ZN7rocprim17ROCPRIM_400000_NS6detail17trampoline_kernelINS0_13select_configILj256ELj13ELNS0_17block_load_methodE3ELS4_3ELS4_3ELNS0_20block_scan_algorithmE0ELj4294967295EEENS1_25partition_config_selectorILNS1_17partition_subalgoE3EjNS0_10empty_typeEbEEZZNS1_14partition_implILS8_3ELb0ES6_jNS0_17counting_iteratorIjlEEPS9_SE_NS0_5tupleIJPjSE_EEENSF_IJSE_SE_EEES9_SG_JZNS1_25segmented_radix_sort_implINS0_14default_configELb1EPKhPhPKlPlN2at6native12_GLOBAL__N_18offset_tEEE10hipError_tPvRmT1_PNSt15iterator_traitsISY_E10value_typeET2_T3_PNSZ_IS14_E10value_typeET4_jRbjT5_S1A_jjP12ihipStream_tbEUljE_EEESV_SW_SX_S14_S18_S1A_T6_T7_T9_mT8_S1C_bDpT10_ENKUlT_T0_E_clISt17integral_constantIbLb0EES1P_EEDaS1K_S1L_EUlS1K_E_NS1_11comp_targetILNS1_3genE0ELNS1_11target_archE4294967295ELNS1_3gpuE0ELNS1_3repE0EEENS1_30default_config_static_selectorELNS0_4arch9wavefront6targetE0EEEvSY_.num_agpr, 0
	.set _ZN7rocprim17ROCPRIM_400000_NS6detail17trampoline_kernelINS0_13select_configILj256ELj13ELNS0_17block_load_methodE3ELS4_3ELS4_3ELNS0_20block_scan_algorithmE0ELj4294967295EEENS1_25partition_config_selectorILNS1_17partition_subalgoE3EjNS0_10empty_typeEbEEZZNS1_14partition_implILS8_3ELb0ES6_jNS0_17counting_iteratorIjlEEPS9_SE_NS0_5tupleIJPjSE_EEENSF_IJSE_SE_EEES9_SG_JZNS1_25segmented_radix_sort_implINS0_14default_configELb1EPKhPhPKlPlN2at6native12_GLOBAL__N_18offset_tEEE10hipError_tPvRmT1_PNSt15iterator_traitsISY_E10value_typeET2_T3_PNSZ_IS14_E10value_typeET4_jRbjT5_S1A_jjP12ihipStream_tbEUljE_EEESV_SW_SX_S14_S18_S1A_T6_T7_T9_mT8_S1C_bDpT10_ENKUlT_T0_E_clISt17integral_constantIbLb0EES1P_EEDaS1K_S1L_EUlS1K_E_NS1_11comp_targetILNS1_3genE0ELNS1_11target_archE4294967295ELNS1_3gpuE0ELNS1_3repE0EEENS1_30default_config_static_selectorELNS0_4arch9wavefront6targetE0EEEvSY_.numbered_sgpr, 0
	.set _ZN7rocprim17ROCPRIM_400000_NS6detail17trampoline_kernelINS0_13select_configILj256ELj13ELNS0_17block_load_methodE3ELS4_3ELS4_3ELNS0_20block_scan_algorithmE0ELj4294967295EEENS1_25partition_config_selectorILNS1_17partition_subalgoE3EjNS0_10empty_typeEbEEZZNS1_14partition_implILS8_3ELb0ES6_jNS0_17counting_iteratorIjlEEPS9_SE_NS0_5tupleIJPjSE_EEENSF_IJSE_SE_EEES9_SG_JZNS1_25segmented_radix_sort_implINS0_14default_configELb1EPKhPhPKlPlN2at6native12_GLOBAL__N_18offset_tEEE10hipError_tPvRmT1_PNSt15iterator_traitsISY_E10value_typeET2_T3_PNSZ_IS14_E10value_typeET4_jRbjT5_S1A_jjP12ihipStream_tbEUljE_EEESV_SW_SX_S14_S18_S1A_T6_T7_T9_mT8_S1C_bDpT10_ENKUlT_T0_E_clISt17integral_constantIbLb0EES1P_EEDaS1K_S1L_EUlS1K_E_NS1_11comp_targetILNS1_3genE0ELNS1_11target_archE4294967295ELNS1_3gpuE0ELNS1_3repE0EEENS1_30default_config_static_selectorELNS0_4arch9wavefront6targetE0EEEvSY_.num_named_barrier, 0
	.set _ZN7rocprim17ROCPRIM_400000_NS6detail17trampoline_kernelINS0_13select_configILj256ELj13ELNS0_17block_load_methodE3ELS4_3ELS4_3ELNS0_20block_scan_algorithmE0ELj4294967295EEENS1_25partition_config_selectorILNS1_17partition_subalgoE3EjNS0_10empty_typeEbEEZZNS1_14partition_implILS8_3ELb0ES6_jNS0_17counting_iteratorIjlEEPS9_SE_NS0_5tupleIJPjSE_EEENSF_IJSE_SE_EEES9_SG_JZNS1_25segmented_radix_sort_implINS0_14default_configELb1EPKhPhPKlPlN2at6native12_GLOBAL__N_18offset_tEEE10hipError_tPvRmT1_PNSt15iterator_traitsISY_E10value_typeET2_T3_PNSZ_IS14_E10value_typeET4_jRbjT5_S1A_jjP12ihipStream_tbEUljE_EEESV_SW_SX_S14_S18_S1A_T6_T7_T9_mT8_S1C_bDpT10_ENKUlT_T0_E_clISt17integral_constantIbLb0EES1P_EEDaS1K_S1L_EUlS1K_E_NS1_11comp_targetILNS1_3genE0ELNS1_11target_archE4294967295ELNS1_3gpuE0ELNS1_3repE0EEENS1_30default_config_static_selectorELNS0_4arch9wavefront6targetE0EEEvSY_.private_seg_size, 0
	.set _ZN7rocprim17ROCPRIM_400000_NS6detail17trampoline_kernelINS0_13select_configILj256ELj13ELNS0_17block_load_methodE3ELS4_3ELS4_3ELNS0_20block_scan_algorithmE0ELj4294967295EEENS1_25partition_config_selectorILNS1_17partition_subalgoE3EjNS0_10empty_typeEbEEZZNS1_14partition_implILS8_3ELb0ES6_jNS0_17counting_iteratorIjlEEPS9_SE_NS0_5tupleIJPjSE_EEENSF_IJSE_SE_EEES9_SG_JZNS1_25segmented_radix_sort_implINS0_14default_configELb1EPKhPhPKlPlN2at6native12_GLOBAL__N_18offset_tEEE10hipError_tPvRmT1_PNSt15iterator_traitsISY_E10value_typeET2_T3_PNSZ_IS14_E10value_typeET4_jRbjT5_S1A_jjP12ihipStream_tbEUljE_EEESV_SW_SX_S14_S18_S1A_T6_T7_T9_mT8_S1C_bDpT10_ENKUlT_T0_E_clISt17integral_constantIbLb0EES1P_EEDaS1K_S1L_EUlS1K_E_NS1_11comp_targetILNS1_3genE0ELNS1_11target_archE4294967295ELNS1_3gpuE0ELNS1_3repE0EEENS1_30default_config_static_selectorELNS0_4arch9wavefront6targetE0EEEvSY_.uses_vcc, 0
	.set _ZN7rocprim17ROCPRIM_400000_NS6detail17trampoline_kernelINS0_13select_configILj256ELj13ELNS0_17block_load_methodE3ELS4_3ELS4_3ELNS0_20block_scan_algorithmE0ELj4294967295EEENS1_25partition_config_selectorILNS1_17partition_subalgoE3EjNS0_10empty_typeEbEEZZNS1_14partition_implILS8_3ELb0ES6_jNS0_17counting_iteratorIjlEEPS9_SE_NS0_5tupleIJPjSE_EEENSF_IJSE_SE_EEES9_SG_JZNS1_25segmented_radix_sort_implINS0_14default_configELb1EPKhPhPKlPlN2at6native12_GLOBAL__N_18offset_tEEE10hipError_tPvRmT1_PNSt15iterator_traitsISY_E10value_typeET2_T3_PNSZ_IS14_E10value_typeET4_jRbjT5_S1A_jjP12ihipStream_tbEUljE_EEESV_SW_SX_S14_S18_S1A_T6_T7_T9_mT8_S1C_bDpT10_ENKUlT_T0_E_clISt17integral_constantIbLb0EES1P_EEDaS1K_S1L_EUlS1K_E_NS1_11comp_targetILNS1_3genE0ELNS1_11target_archE4294967295ELNS1_3gpuE0ELNS1_3repE0EEENS1_30default_config_static_selectorELNS0_4arch9wavefront6targetE0EEEvSY_.uses_flat_scratch, 0
	.set _ZN7rocprim17ROCPRIM_400000_NS6detail17trampoline_kernelINS0_13select_configILj256ELj13ELNS0_17block_load_methodE3ELS4_3ELS4_3ELNS0_20block_scan_algorithmE0ELj4294967295EEENS1_25partition_config_selectorILNS1_17partition_subalgoE3EjNS0_10empty_typeEbEEZZNS1_14partition_implILS8_3ELb0ES6_jNS0_17counting_iteratorIjlEEPS9_SE_NS0_5tupleIJPjSE_EEENSF_IJSE_SE_EEES9_SG_JZNS1_25segmented_radix_sort_implINS0_14default_configELb1EPKhPhPKlPlN2at6native12_GLOBAL__N_18offset_tEEE10hipError_tPvRmT1_PNSt15iterator_traitsISY_E10value_typeET2_T3_PNSZ_IS14_E10value_typeET4_jRbjT5_S1A_jjP12ihipStream_tbEUljE_EEESV_SW_SX_S14_S18_S1A_T6_T7_T9_mT8_S1C_bDpT10_ENKUlT_T0_E_clISt17integral_constantIbLb0EES1P_EEDaS1K_S1L_EUlS1K_E_NS1_11comp_targetILNS1_3genE0ELNS1_11target_archE4294967295ELNS1_3gpuE0ELNS1_3repE0EEENS1_30default_config_static_selectorELNS0_4arch9wavefront6targetE0EEEvSY_.has_dyn_sized_stack, 0
	.set _ZN7rocprim17ROCPRIM_400000_NS6detail17trampoline_kernelINS0_13select_configILj256ELj13ELNS0_17block_load_methodE3ELS4_3ELS4_3ELNS0_20block_scan_algorithmE0ELj4294967295EEENS1_25partition_config_selectorILNS1_17partition_subalgoE3EjNS0_10empty_typeEbEEZZNS1_14partition_implILS8_3ELb0ES6_jNS0_17counting_iteratorIjlEEPS9_SE_NS0_5tupleIJPjSE_EEENSF_IJSE_SE_EEES9_SG_JZNS1_25segmented_radix_sort_implINS0_14default_configELb1EPKhPhPKlPlN2at6native12_GLOBAL__N_18offset_tEEE10hipError_tPvRmT1_PNSt15iterator_traitsISY_E10value_typeET2_T3_PNSZ_IS14_E10value_typeET4_jRbjT5_S1A_jjP12ihipStream_tbEUljE_EEESV_SW_SX_S14_S18_S1A_T6_T7_T9_mT8_S1C_bDpT10_ENKUlT_T0_E_clISt17integral_constantIbLb0EES1P_EEDaS1K_S1L_EUlS1K_E_NS1_11comp_targetILNS1_3genE0ELNS1_11target_archE4294967295ELNS1_3gpuE0ELNS1_3repE0EEENS1_30default_config_static_selectorELNS0_4arch9wavefront6targetE0EEEvSY_.has_recursion, 0
	.set _ZN7rocprim17ROCPRIM_400000_NS6detail17trampoline_kernelINS0_13select_configILj256ELj13ELNS0_17block_load_methodE3ELS4_3ELS4_3ELNS0_20block_scan_algorithmE0ELj4294967295EEENS1_25partition_config_selectorILNS1_17partition_subalgoE3EjNS0_10empty_typeEbEEZZNS1_14partition_implILS8_3ELb0ES6_jNS0_17counting_iteratorIjlEEPS9_SE_NS0_5tupleIJPjSE_EEENSF_IJSE_SE_EEES9_SG_JZNS1_25segmented_radix_sort_implINS0_14default_configELb1EPKhPhPKlPlN2at6native12_GLOBAL__N_18offset_tEEE10hipError_tPvRmT1_PNSt15iterator_traitsISY_E10value_typeET2_T3_PNSZ_IS14_E10value_typeET4_jRbjT5_S1A_jjP12ihipStream_tbEUljE_EEESV_SW_SX_S14_S18_S1A_T6_T7_T9_mT8_S1C_bDpT10_ENKUlT_T0_E_clISt17integral_constantIbLb0EES1P_EEDaS1K_S1L_EUlS1K_E_NS1_11comp_targetILNS1_3genE0ELNS1_11target_archE4294967295ELNS1_3gpuE0ELNS1_3repE0EEENS1_30default_config_static_selectorELNS0_4arch9wavefront6targetE0EEEvSY_.has_indirect_call, 0
	.section	.AMDGPU.csdata,"",@progbits
; Kernel info:
; codeLenInByte = 0
; TotalNumSgprs: 0
; NumVgprs: 0
; ScratchSize: 0
; MemoryBound: 0
; FloatMode: 240
; IeeeMode: 1
; LDSByteSize: 0 bytes/workgroup (compile time only)
; SGPRBlocks: 0
; VGPRBlocks: 0
; NumSGPRsForWavesPerEU: 1
; NumVGPRsForWavesPerEU: 1
; Occupancy: 16
; WaveLimiterHint : 0
; COMPUTE_PGM_RSRC2:SCRATCH_EN: 0
; COMPUTE_PGM_RSRC2:USER_SGPR: 2
; COMPUTE_PGM_RSRC2:TRAP_HANDLER: 0
; COMPUTE_PGM_RSRC2:TGID_X_EN: 1
; COMPUTE_PGM_RSRC2:TGID_Y_EN: 0
; COMPUTE_PGM_RSRC2:TGID_Z_EN: 0
; COMPUTE_PGM_RSRC2:TIDIG_COMP_CNT: 0
	.section	.text._ZN7rocprim17ROCPRIM_400000_NS6detail17trampoline_kernelINS0_13select_configILj256ELj13ELNS0_17block_load_methodE3ELS4_3ELS4_3ELNS0_20block_scan_algorithmE0ELj4294967295EEENS1_25partition_config_selectorILNS1_17partition_subalgoE3EjNS0_10empty_typeEbEEZZNS1_14partition_implILS8_3ELb0ES6_jNS0_17counting_iteratorIjlEEPS9_SE_NS0_5tupleIJPjSE_EEENSF_IJSE_SE_EEES9_SG_JZNS1_25segmented_radix_sort_implINS0_14default_configELb1EPKhPhPKlPlN2at6native12_GLOBAL__N_18offset_tEEE10hipError_tPvRmT1_PNSt15iterator_traitsISY_E10value_typeET2_T3_PNSZ_IS14_E10value_typeET4_jRbjT5_S1A_jjP12ihipStream_tbEUljE_EEESV_SW_SX_S14_S18_S1A_T6_T7_T9_mT8_S1C_bDpT10_ENKUlT_T0_E_clISt17integral_constantIbLb0EES1P_EEDaS1K_S1L_EUlS1K_E_NS1_11comp_targetILNS1_3genE5ELNS1_11target_archE942ELNS1_3gpuE9ELNS1_3repE0EEENS1_30default_config_static_selectorELNS0_4arch9wavefront6targetE0EEEvSY_,"axG",@progbits,_ZN7rocprim17ROCPRIM_400000_NS6detail17trampoline_kernelINS0_13select_configILj256ELj13ELNS0_17block_load_methodE3ELS4_3ELS4_3ELNS0_20block_scan_algorithmE0ELj4294967295EEENS1_25partition_config_selectorILNS1_17partition_subalgoE3EjNS0_10empty_typeEbEEZZNS1_14partition_implILS8_3ELb0ES6_jNS0_17counting_iteratorIjlEEPS9_SE_NS0_5tupleIJPjSE_EEENSF_IJSE_SE_EEES9_SG_JZNS1_25segmented_radix_sort_implINS0_14default_configELb1EPKhPhPKlPlN2at6native12_GLOBAL__N_18offset_tEEE10hipError_tPvRmT1_PNSt15iterator_traitsISY_E10value_typeET2_T3_PNSZ_IS14_E10value_typeET4_jRbjT5_S1A_jjP12ihipStream_tbEUljE_EEESV_SW_SX_S14_S18_S1A_T6_T7_T9_mT8_S1C_bDpT10_ENKUlT_T0_E_clISt17integral_constantIbLb0EES1P_EEDaS1K_S1L_EUlS1K_E_NS1_11comp_targetILNS1_3genE5ELNS1_11target_archE942ELNS1_3gpuE9ELNS1_3repE0EEENS1_30default_config_static_selectorELNS0_4arch9wavefront6targetE0EEEvSY_,comdat
	.globl	_ZN7rocprim17ROCPRIM_400000_NS6detail17trampoline_kernelINS0_13select_configILj256ELj13ELNS0_17block_load_methodE3ELS4_3ELS4_3ELNS0_20block_scan_algorithmE0ELj4294967295EEENS1_25partition_config_selectorILNS1_17partition_subalgoE3EjNS0_10empty_typeEbEEZZNS1_14partition_implILS8_3ELb0ES6_jNS0_17counting_iteratorIjlEEPS9_SE_NS0_5tupleIJPjSE_EEENSF_IJSE_SE_EEES9_SG_JZNS1_25segmented_radix_sort_implINS0_14default_configELb1EPKhPhPKlPlN2at6native12_GLOBAL__N_18offset_tEEE10hipError_tPvRmT1_PNSt15iterator_traitsISY_E10value_typeET2_T3_PNSZ_IS14_E10value_typeET4_jRbjT5_S1A_jjP12ihipStream_tbEUljE_EEESV_SW_SX_S14_S18_S1A_T6_T7_T9_mT8_S1C_bDpT10_ENKUlT_T0_E_clISt17integral_constantIbLb0EES1P_EEDaS1K_S1L_EUlS1K_E_NS1_11comp_targetILNS1_3genE5ELNS1_11target_archE942ELNS1_3gpuE9ELNS1_3repE0EEENS1_30default_config_static_selectorELNS0_4arch9wavefront6targetE0EEEvSY_ ; -- Begin function _ZN7rocprim17ROCPRIM_400000_NS6detail17trampoline_kernelINS0_13select_configILj256ELj13ELNS0_17block_load_methodE3ELS4_3ELS4_3ELNS0_20block_scan_algorithmE0ELj4294967295EEENS1_25partition_config_selectorILNS1_17partition_subalgoE3EjNS0_10empty_typeEbEEZZNS1_14partition_implILS8_3ELb0ES6_jNS0_17counting_iteratorIjlEEPS9_SE_NS0_5tupleIJPjSE_EEENSF_IJSE_SE_EEES9_SG_JZNS1_25segmented_radix_sort_implINS0_14default_configELb1EPKhPhPKlPlN2at6native12_GLOBAL__N_18offset_tEEE10hipError_tPvRmT1_PNSt15iterator_traitsISY_E10value_typeET2_T3_PNSZ_IS14_E10value_typeET4_jRbjT5_S1A_jjP12ihipStream_tbEUljE_EEESV_SW_SX_S14_S18_S1A_T6_T7_T9_mT8_S1C_bDpT10_ENKUlT_T0_E_clISt17integral_constantIbLb0EES1P_EEDaS1K_S1L_EUlS1K_E_NS1_11comp_targetILNS1_3genE5ELNS1_11target_archE942ELNS1_3gpuE9ELNS1_3repE0EEENS1_30default_config_static_selectorELNS0_4arch9wavefront6targetE0EEEvSY_
	.p2align	8
	.type	_ZN7rocprim17ROCPRIM_400000_NS6detail17trampoline_kernelINS0_13select_configILj256ELj13ELNS0_17block_load_methodE3ELS4_3ELS4_3ELNS0_20block_scan_algorithmE0ELj4294967295EEENS1_25partition_config_selectorILNS1_17partition_subalgoE3EjNS0_10empty_typeEbEEZZNS1_14partition_implILS8_3ELb0ES6_jNS0_17counting_iteratorIjlEEPS9_SE_NS0_5tupleIJPjSE_EEENSF_IJSE_SE_EEES9_SG_JZNS1_25segmented_radix_sort_implINS0_14default_configELb1EPKhPhPKlPlN2at6native12_GLOBAL__N_18offset_tEEE10hipError_tPvRmT1_PNSt15iterator_traitsISY_E10value_typeET2_T3_PNSZ_IS14_E10value_typeET4_jRbjT5_S1A_jjP12ihipStream_tbEUljE_EEESV_SW_SX_S14_S18_S1A_T6_T7_T9_mT8_S1C_bDpT10_ENKUlT_T0_E_clISt17integral_constantIbLb0EES1P_EEDaS1K_S1L_EUlS1K_E_NS1_11comp_targetILNS1_3genE5ELNS1_11target_archE942ELNS1_3gpuE9ELNS1_3repE0EEENS1_30default_config_static_selectorELNS0_4arch9wavefront6targetE0EEEvSY_,@function
_ZN7rocprim17ROCPRIM_400000_NS6detail17trampoline_kernelINS0_13select_configILj256ELj13ELNS0_17block_load_methodE3ELS4_3ELS4_3ELNS0_20block_scan_algorithmE0ELj4294967295EEENS1_25partition_config_selectorILNS1_17partition_subalgoE3EjNS0_10empty_typeEbEEZZNS1_14partition_implILS8_3ELb0ES6_jNS0_17counting_iteratorIjlEEPS9_SE_NS0_5tupleIJPjSE_EEENSF_IJSE_SE_EEES9_SG_JZNS1_25segmented_radix_sort_implINS0_14default_configELb1EPKhPhPKlPlN2at6native12_GLOBAL__N_18offset_tEEE10hipError_tPvRmT1_PNSt15iterator_traitsISY_E10value_typeET2_T3_PNSZ_IS14_E10value_typeET4_jRbjT5_S1A_jjP12ihipStream_tbEUljE_EEESV_SW_SX_S14_S18_S1A_T6_T7_T9_mT8_S1C_bDpT10_ENKUlT_T0_E_clISt17integral_constantIbLb0EES1P_EEDaS1K_S1L_EUlS1K_E_NS1_11comp_targetILNS1_3genE5ELNS1_11target_archE942ELNS1_3gpuE9ELNS1_3repE0EEENS1_30default_config_static_selectorELNS0_4arch9wavefront6targetE0EEEvSY_: ; @_ZN7rocprim17ROCPRIM_400000_NS6detail17trampoline_kernelINS0_13select_configILj256ELj13ELNS0_17block_load_methodE3ELS4_3ELS4_3ELNS0_20block_scan_algorithmE0ELj4294967295EEENS1_25partition_config_selectorILNS1_17partition_subalgoE3EjNS0_10empty_typeEbEEZZNS1_14partition_implILS8_3ELb0ES6_jNS0_17counting_iteratorIjlEEPS9_SE_NS0_5tupleIJPjSE_EEENSF_IJSE_SE_EEES9_SG_JZNS1_25segmented_radix_sort_implINS0_14default_configELb1EPKhPhPKlPlN2at6native12_GLOBAL__N_18offset_tEEE10hipError_tPvRmT1_PNSt15iterator_traitsISY_E10value_typeET2_T3_PNSZ_IS14_E10value_typeET4_jRbjT5_S1A_jjP12ihipStream_tbEUljE_EEESV_SW_SX_S14_S18_S1A_T6_T7_T9_mT8_S1C_bDpT10_ENKUlT_T0_E_clISt17integral_constantIbLb0EES1P_EEDaS1K_S1L_EUlS1K_E_NS1_11comp_targetILNS1_3genE5ELNS1_11target_archE942ELNS1_3gpuE9ELNS1_3repE0EEENS1_30default_config_static_selectorELNS0_4arch9wavefront6targetE0EEEvSY_
; %bb.0:
	.section	.rodata,"a",@progbits
	.p2align	6, 0x0
	.amdhsa_kernel _ZN7rocprim17ROCPRIM_400000_NS6detail17trampoline_kernelINS0_13select_configILj256ELj13ELNS0_17block_load_methodE3ELS4_3ELS4_3ELNS0_20block_scan_algorithmE0ELj4294967295EEENS1_25partition_config_selectorILNS1_17partition_subalgoE3EjNS0_10empty_typeEbEEZZNS1_14partition_implILS8_3ELb0ES6_jNS0_17counting_iteratorIjlEEPS9_SE_NS0_5tupleIJPjSE_EEENSF_IJSE_SE_EEES9_SG_JZNS1_25segmented_radix_sort_implINS0_14default_configELb1EPKhPhPKlPlN2at6native12_GLOBAL__N_18offset_tEEE10hipError_tPvRmT1_PNSt15iterator_traitsISY_E10value_typeET2_T3_PNSZ_IS14_E10value_typeET4_jRbjT5_S1A_jjP12ihipStream_tbEUljE_EEESV_SW_SX_S14_S18_S1A_T6_T7_T9_mT8_S1C_bDpT10_ENKUlT_T0_E_clISt17integral_constantIbLb0EES1P_EEDaS1K_S1L_EUlS1K_E_NS1_11comp_targetILNS1_3genE5ELNS1_11target_archE942ELNS1_3gpuE9ELNS1_3repE0EEENS1_30default_config_static_selectorELNS0_4arch9wavefront6targetE0EEEvSY_
		.amdhsa_group_segment_fixed_size 0
		.amdhsa_private_segment_fixed_size 0
		.amdhsa_kernarg_size 144
		.amdhsa_user_sgpr_count 2
		.amdhsa_user_sgpr_dispatch_ptr 0
		.amdhsa_user_sgpr_queue_ptr 0
		.amdhsa_user_sgpr_kernarg_segment_ptr 1
		.amdhsa_user_sgpr_dispatch_id 0
		.amdhsa_user_sgpr_private_segment_size 0
		.amdhsa_wavefront_size32 1
		.amdhsa_uses_dynamic_stack 0
		.amdhsa_enable_private_segment 0
		.amdhsa_system_sgpr_workgroup_id_x 1
		.amdhsa_system_sgpr_workgroup_id_y 0
		.amdhsa_system_sgpr_workgroup_id_z 0
		.amdhsa_system_sgpr_workgroup_info 0
		.amdhsa_system_vgpr_workitem_id 0
		.amdhsa_next_free_vgpr 1
		.amdhsa_next_free_sgpr 1
		.amdhsa_reserve_vcc 0
		.amdhsa_float_round_mode_32 0
		.amdhsa_float_round_mode_16_64 0
		.amdhsa_float_denorm_mode_32 3
		.amdhsa_float_denorm_mode_16_64 3
		.amdhsa_fp16_overflow 0
		.amdhsa_workgroup_processor_mode 1
		.amdhsa_memory_ordered 1
		.amdhsa_forward_progress 1
		.amdhsa_inst_pref_size 0
		.amdhsa_round_robin_scheduling 0
		.amdhsa_exception_fp_ieee_invalid_op 0
		.amdhsa_exception_fp_denorm_src 0
		.amdhsa_exception_fp_ieee_div_zero 0
		.amdhsa_exception_fp_ieee_overflow 0
		.amdhsa_exception_fp_ieee_underflow 0
		.amdhsa_exception_fp_ieee_inexact 0
		.amdhsa_exception_int_div_zero 0
	.end_amdhsa_kernel
	.section	.text._ZN7rocprim17ROCPRIM_400000_NS6detail17trampoline_kernelINS0_13select_configILj256ELj13ELNS0_17block_load_methodE3ELS4_3ELS4_3ELNS0_20block_scan_algorithmE0ELj4294967295EEENS1_25partition_config_selectorILNS1_17partition_subalgoE3EjNS0_10empty_typeEbEEZZNS1_14partition_implILS8_3ELb0ES6_jNS0_17counting_iteratorIjlEEPS9_SE_NS0_5tupleIJPjSE_EEENSF_IJSE_SE_EEES9_SG_JZNS1_25segmented_radix_sort_implINS0_14default_configELb1EPKhPhPKlPlN2at6native12_GLOBAL__N_18offset_tEEE10hipError_tPvRmT1_PNSt15iterator_traitsISY_E10value_typeET2_T3_PNSZ_IS14_E10value_typeET4_jRbjT5_S1A_jjP12ihipStream_tbEUljE_EEESV_SW_SX_S14_S18_S1A_T6_T7_T9_mT8_S1C_bDpT10_ENKUlT_T0_E_clISt17integral_constantIbLb0EES1P_EEDaS1K_S1L_EUlS1K_E_NS1_11comp_targetILNS1_3genE5ELNS1_11target_archE942ELNS1_3gpuE9ELNS1_3repE0EEENS1_30default_config_static_selectorELNS0_4arch9wavefront6targetE0EEEvSY_,"axG",@progbits,_ZN7rocprim17ROCPRIM_400000_NS6detail17trampoline_kernelINS0_13select_configILj256ELj13ELNS0_17block_load_methodE3ELS4_3ELS4_3ELNS0_20block_scan_algorithmE0ELj4294967295EEENS1_25partition_config_selectorILNS1_17partition_subalgoE3EjNS0_10empty_typeEbEEZZNS1_14partition_implILS8_3ELb0ES6_jNS0_17counting_iteratorIjlEEPS9_SE_NS0_5tupleIJPjSE_EEENSF_IJSE_SE_EEES9_SG_JZNS1_25segmented_radix_sort_implINS0_14default_configELb1EPKhPhPKlPlN2at6native12_GLOBAL__N_18offset_tEEE10hipError_tPvRmT1_PNSt15iterator_traitsISY_E10value_typeET2_T3_PNSZ_IS14_E10value_typeET4_jRbjT5_S1A_jjP12ihipStream_tbEUljE_EEESV_SW_SX_S14_S18_S1A_T6_T7_T9_mT8_S1C_bDpT10_ENKUlT_T0_E_clISt17integral_constantIbLb0EES1P_EEDaS1K_S1L_EUlS1K_E_NS1_11comp_targetILNS1_3genE5ELNS1_11target_archE942ELNS1_3gpuE9ELNS1_3repE0EEENS1_30default_config_static_selectorELNS0_4arch9wavefront6targetE0EEEvSY_,comdat
.Lfunc_end49:
	.size	_ZN7rocprim17ROCPRIM_400000_NS6detail17trampoline_kernelINS0_13select_configILj256ELj13ELNS0_17block_load_methodE3ELS4_3ELS4_3ELNS0_20block_scan_algorithmE0ELj4294967295EEENS1_25partition_config_selectorILNS1_17partition_subalgoE3EjNS0_10empty_typeEbEEZZNS1_14partition_implILS8_3ELb0ES6_jNS0_17counting_iteratorIjlEEPS9_SE_NS0_5tupleIJPjSE_EEENSF_IJSE_SE_EEES9_SG_JZNS1_25segmented_radix_sort_implINS0_14default_configELb1EPKhPhPKlPlN2at6native12_GLOBAL__N_18offset_tEEE10hipError_tPvRmT1_PNSt15iterator_traitsISY_E10value_typeET2_T3_PNSZ_IS14_E10value_typeET4_jRbjT5_S1A_jjP12ihipStream_tbEUljE_EEESV_SW_SX_S14_S18_S1A_T6_T7_T9_mT8_S1C_bDpT10_ENKUlT_T0_E_clISt17integral_constantIbLb0EES1P_EEDaS1K_S1L_EUlS1K_E_NS1_11comp_targetILNS1_3genE5ELNS1_11target_archE942ELNS1_3gpuE9ELNS1_3repE0EEENS1_30default_config_static_selectorELNS0_4arch9wavefront6targetE0EEEvSY_, .Lfunc_end49-_ZN7rocprim17ROCPRIM_400000_NS6detail17trampoline_kernelINS0_13select_configILj256ELj13ELNS0_17block_load_methodE3ELS4_3ELS4_3ELNS0_20block_scan_algorithmE0ELj4294967295EEENS1_25partition_config_selectorILNS1_17partition_subalgoE3EjNS0_10empty_typeEbEEZZNS1_14partition_implILS8_3ELb0ES6_jNS0_17counting_iteratorIjlEEPS9_SE_NS0_5tupleIJPjSE_EEENSF_IJSE_SE_EEES9_SG_JZNS1_25segmented_radix_sort_implINS0_14default_configELb1EPKhPhPKlPlN2at6native12_GLOBAL__N_18offset_tEEE10hipError_tPvRmT1_PNSt15iterator_traitsISY_E10value_typeET2_T3_PNSZ_IS14_E10value_typeET4_jRbjT5_S1A_jjP12ihipStream_tbEUljE_EEESV_SW_SX_S14_S18_S1A_T6_T7_T9_mT8_S1C_bDpT10_ENKUlT_T0_E_clISt17integral_constantIbLb0EES1P_EEDaS1K_S1L_EUlS1K_E_NS1_11comp_targetILNS1_3genE5ELNS1_11target_archE942ELNS1_3gpuE9ELNS1_3repE0EEENS1_30default_config_static_selectorELNS0_4arch9wavefront6targetE0EEEvSY_
                                        ; -- End function
	.set _ZN7rocprim17ROCPRIM_400000_NS6detail17trampoline_kernelINS0_13select_configILj256ELj13ELNS0_17block_load_methodE3ELS4_3ELS4_3ELNS0_20block_scan_algorithmE0ELj4294967295EEENS1_25partition_config_selectorILNS1_17partition_subalgoE3EjNS0_10empty_typeEbEEZZNS1_14partition_implILS8_3ELb0ES6_jNS0_17counting_iteratorIjlEEPS9_SE_NS0_5tupleIJPjSE_EEENSF_IJSE_SE_EEES9_SG_JZNS1_25segmented_radix_sort_implINS0_14default_configELb1EPKhPhPKlPlN2at6native12_GLOBAL__N_18offset_tEEE10hipError_tPvRmT1_PNSt15iterator_traitsISY_E10value_typeET2_T3_PNSZ_IS14_E10value_typeET4_jRbjT5_S1A_jjP12ihipStream_tbEUljE_EEESV_SW_SX_S14_S18_S1A_T6_T7_T9_mT8_S1C_bDpT10_ENKUlT_T0_E_clISt17integral_constantIbLb0EES1P_EEDaS1K_S1L_EUlS1K_E_NS1_11comp_targetILNS1_3genE5ELNS1_11target_archE942ELNS1_3gpuE9ELNS1_3repE0EEENS1_30default_config_static_selectorELNS0_4arch9wavefront6targetE0EEEvSY_.num_vgpr, 0
	.set _ZN7rocprim17ROCPRIM_400000_NS6detail17trampoline_kernelINS0_13select_configILj256ELj13ELNS0_17block_load_methodE3ELS4_3ELS4_3ELNS0_20block_scan_algorithmE0ELj4294967295EEENS1_25partition_config_selectorILNS1_17partition_subalgoE3EjNS0_10empty_typeEbEEZZNS1_14partition_implILS8_3ELb0ES6_jNS0_17counting_iteratorIjlEEPS9_SE_NS0_5tupleIJPjSE_EEENSF_IJSE_SE_EEES9_SG_JZNS1_25segmented_radix_sort_implINS0_14default_configELb1EPKhPhPKlPlN2at6native12_GLOBAL__N_18offset_tEEE10hipError_tPvRmT1_PNSt15iterator_traitsISY_E10value_typeET2_T3_PNSZ_IS14_E10value_typeET4_jRbjT5_S1A_jjP12ihipStream_tbEUljE_EEESV_SW_SX_S14_S18_S1A_T6_T7_T9_mT8_S1C_bDpT10_ENKUlT_T0_E_clISt17integral_constantIbLb0EES1P_EEDaS1K_S1L_EUlS1K_E_NS1_11comp_targetILNS1_3genE5ELNS1_11target_archE942ELNS1_3gpuE9ELNS1_3repE0EEENS1_30default_config_static_selectorELNS0_4arch9wavefront6targetE0EEEvSY_.num_agpr, 0
	.set _ZN7rocprim17ROCPRIM_400000_NS6detail17trampoline_kernelINS0_13select_configILj256ELj13ELNS0_17block_load_methodE3ELS4_3ELS4_3ELNS0_20block_scan_algorithmE0ELj4294967295EEENS1_25partition_config_selectorILNS1_17partition_subalgoE3EjNS0_10empty_typeEbEEZZNS1_14partition_implILS8_3ELb0ES6_jNS0_17counting_iteratorIjlEEPS9_SE_NS0_5tupleIJPjSE_EEENSF_IJSE_SE_EEES9_SG_JZNS1_25segmented_radix_sort_implINS0_14default_configELb1EPKhPhPKlPlN2at6native12_GLOBAL__N_18offset_tEEE10hipError_tPvRmT1_PNSt15iterator_traitsISY_E10value_typeET2_T3_PNSZ_IS14_E10value_typeET4_jRbjT5_S1A_jjP12ihipStream_tbEUljE_EEESV_SW_SX_S14_S18_S1A_T6_T7_T9_mT8_S1C_bDpT10_ENKUlT_T0_E_clISt17integral_constantIbLb0EES1P_EEDaS1K_S1L_EUlS1K_E_NS1_11comp_targetILNS1_3genE5ELNS1_11target_archE942ELNS1_3gpuE9ELNS1_3repE0EEENS1_30default_config_static_selectorELNS0_4arch9wavefront6targetE0EEEvSY_.numbered_sgpr, 0
	.set _ZN7rocprim17ROCPRIM_400000_NS6detail17trampoline_kernelINS0_13select_configILj256ELj13ELNS0_17block_load_methodE3ELS4_3ELS4_3ELNS0_20block_scan_algorithmE0ELj4294967295EEENS1_25partition_config_selectorILNS1_17partition_subalgoE3EjNS0_10empty_typeEbEEZZNS1_14partition_implILS8_3ELb0ES6_jNS0_17counting_iteratorIjlEEPS9_SE_NS0_5tupleIJPjSE_EEENSF_IJSE_SE_EEES9_SG_JZNS1_25segmented_radix_sort_implINS0_14default_configELb1EPKhPhPKlPlN2at6native12_GLOBAL__N_18offset_tEEE10hipError_tPvRmT1_PNSt15iterator_traitsISY_E10value_typeET2_T3_PNSZ_IS14_E10value_typeET4_jRbjT5_S1A_jjP12ihipStream_tbEUljE_EEESV_SW_SX_S14_S18_S1A_T6_T7_T9_mT8_S1C_bDpT10_ENKUlT_T0_E_clISt17integral_constantIbLb0EES1P_EEDaS1K_S1L_EUlS1K_E_NS1_11comp_targetILNS1_3genE5ELNS1_11target_archE942ELNS1_3gpuE9ELNS1_3repE0EEENS1_30default_config_static_selectorELNS0_4arch9wavefront6targetE0EEEvSY_.num_named_barrier, 0
	.set _ZN7rocprim17ROCPRIM_400000_NS6detail17trampoline_kernelINS0_13select_configILj256ELj13ELNS0_17block_load_methodE3ELS4_3ELS4_3ELNS0_20block_scan_algorithmE0ELj4294967295EEENS1_25partition_config_selectorILNS1_17partition_subalgoE3EjNS0_10empty_typeEbEEZZNS1_14partition_implILS8_3ELb0ES6_jNS0_17counting_iteratorIjlEEPS9_SE_NS0_5tupleIJPjSE_EEENSF_IJSE_SE_EEES9_SG_JZNS1_25segmented_radix_sort_implINS0_14default_configELb1EPKhPhPKlPlN2at6native12_GLOBAL__N_18offset_tEEE10hipError_tPvRmT1_PNSt15iterator_traitsISY_E10value_typeET2_T3_PNSZ_IS14_E10value_typeET4_jRbjT5_S1A_jjP12ihipStream_tbEUljE_EEESV_SW_SX_S14_S18_S1A_T6_T7_T9_mT8_S1C_bDpT10_ENKUlT_T0_E_clISt17integral_constantIbLb0EES1P_EEDaS1K_S1L_EUlS1K_E_NS1_11comp_targetILNS1_3genE5ELNS1_11target_archE942ELNS1_3gpuE9ELNS1_3repE0EEENS1_30default_config_static_selectorELNS0_4arch9wavefront6targetE0EEEvSY_.private_seg_size, 0
	.set _ZN7rocprim17ROCPRIM_400000_NS6detail17trampoline_kernelINS0_13select_configILj256ELj13ELNS0_17block_load_methodE3ELS4_3ELS4_3ELNS0_20block_scan_algorithmE0ELj4294967295EEENS1_25partition_config_selectorILNS1_17partition_subalgoE3EjNS0_10empty_typeEbEEZZNS1_14partition_implILS8_3ELb0ES6_jNS0_17counting_iteratorIjlEEPS9_SE_NS0_5tupleIJPjSE_EEENSF_IJSE_SE_EEES9_SG_JZNS1_25segmented_radix_sort_implINS0_14default_configELb1EPKhPhPKlPlN2at6native12_GLOBAL__N_18offset_tEEE10hipError_tPvRmT1_PNSt15iterator_traitsISY_E10value_typeET2_T3_PNSZ_IS14_E10value_typeET4_jRbjT5_S1A_jjP12ihipStream_tbEUljE_EEESV_SW_SX_S14_S18_S1A_T6_T7_T9_mT8_S1C_bDpT10_ENKUlT_T0_E_clISt17integral_constantIbLb0EES1P_EEDaS1K_S1L_EUlS1K_E_NS1_11comp_targetILNS1_3genE5ELNS1_11target_archE942ELNS1_3gpuE9ELNS1_3repE0EEENS1_30default_config_static_selectorELNS0_4arch9wavefront6targetE0EEEvSY_.uses_vcc, 0
	.set _ZN7rocprim17ROCPRIM_400000_NS6detail17trampoline_kernelINS0_13select_configILj256ELj13ELNS0_17block_load_methodE3ELS4_3ELS4_3ELNS0_20block_scan_algorithmE0ELj4294967295EEENS1_25partition_config_selectorILNS1_17partition_subalgoE3EjNS0_10empty_typeEbEEZZNS1_14partition_implILS8_3ELb0ES6_jNS0_17counting_iteratorIjlEEPS9_SE_NS0_5tupleIJPjSE_EEENSF_IJSE_SE_EEES9_SG_JZNS1_25segmented_radix_sort_implINS0_14default_configELb1EPKhPhPKlPlN2at6native12_GLOBAL__N_18offset_tEEE10hipError_tPvRmT1_PNSt15iterator_traitsISY_E10value_typeET2_T3_PNSZ_IS14_E10value_typeET4_jRbjT5_S1A_jjP12ihipStream_tbEUljE_EEESV_SW_SX_S14_S18_S1A_T6_T7_T9_mT8_S1C_bDpT10_ENKUlT_T0_E_clISt17integral_constantIbLb0EES1P_EEDaS1K_S1L_EUlS1K_E_NS1_11comp_targetILNS1_3genE5ELNS1_11target_archE942ELNS1_3gpuE9ELNS1_3repE0EEENS1_30default_config_static_selectorELNS0_4arch9wavefront6targetE0EEEvSY_.uses_flat_scratch, 0
	.set _ZN7rocprim17ROCPRIM_400000_NS6detail17trampoline_kernelINS0_13select_configILj256ELj13ELNS0_17block_load_methodE3ELS4_3ELS4_3ELNS0_20block_scan_algorithmE0ELj4294967295EEENS1_25partition_config_selectorILNS1_17partition_subalgoE3EjNS0_10empty_typeEbEEZZNS1_14partition_implILS8_3ELb0ES6_jNS0_17counting_iteratorIjlEEPS9_SE_NS0_5tupleIJPjSE_EEENSF_IJSE_SE_EEES9_SG_JZNS1_25segmented_radix_sort_implINS0_14default_configELb1EPKhPhPKlPlN2at6native12_GLOBAL__N_18offset_tEEE10hipError_tPvRmT1_PNSt15iterator_traitsISY_E10value_typeET2_T3_PNSZ_IS14_E10value_typeET4_jRbjT5_S1A_jjP12ihipStream_tbEUljE_EEESV_SW_SX_S14_S18_S1A_T6_T7_T9_mT8_S1C_bDpT10_ENKUlT_T0_E_clISt17integral_constantIbLb0EES1P_EEDaS1K_S1L_EUlS1K_E_NS1_11comp_targetILNS1_3genE5ELNS1_11target_archE942ELNS1_3gpuE9ELNS1_3repE0EEENS1_30default_config_static_selectorELNS0_4arch9wavefront6targetE0EEEvSY_.has_dyn_sized_stack, 0
	.set _ZN7rocprim17ROCPRIM_400000_NS6detail17trampoline_kernelINS0_13select_configILj256ELj13ELNS0_17block_load_methodE3ELS4_3ELS4_3ELNS0_20block_scan_algorithmE0ELj4294967295EEENS1_25partition_config_selectorILNS1_17partition_subalgoE3EjNS0_10empty_typeEbEEZZNS1_14partition_implILS8_3ELb0ES6_jNS0_17counting_iteratorIjlEEPS9_SE_NS0_5tupleIJPjSE_EEENSF_IJSE_SE_EEES9_SG_JZNS1_25segmented_radix_sort_implINS0_14default_configELb1EPKhPhPKlPlN2at6native12_GLOBAL__N_18offset_tEEE10hipError_tPvRmT1_PNSt15iterator_traitsISY_E10value_typeET2_T3_PNSZ_IS14_E10value_typeET4_jRbjT5_S1A_jjP12ihipStream_tbEUljE_EEESV_SW_SX_S14_S18_S1A_T6_T7_T9_mT8_S1C_bDpT10_ENKUlT_T0_E_clISt17integral_constantIbLb0EES1P_EEDaS1K_S1L_EUlS1K_E_NS1_11comp_targetILNS1_3genE5ELNS1_11target_archE942ELNS1_3gpuE9ELNS1_3repE0EEENS1_30default_config_static_selectorELNS0_4arch9wavefront6targetE0EEEvSY_.has_recursion, 0
	.set _ZN7rocprim17ROCPRIM_400000_NS6detail17trampoline_kernelINS0_13select_configILj256ELj13ELNS0_17block_load_methodE3ELS4_3ELS4_3ELNS0_20block_scan_algorithmE0ELj4294967295EEENS1_25partition_config_selectorILNS1_17partition_subalgoE3EjNS0_10empty_typeEbEEZZNS1_14partition_implILS8_3ELb0ES6_jNS0_17counting_iteratorIjlEEPS9_SE_NS0_5tupleIJPjSE_EEENSF_IJSE_SE_EEES9_SG_JZNS1_25segmented_radix_sort_implINS0_14default_configELb1EPKhPhPKlPlN2at6native12_GLOBAL__N_18offset_tEEE10hipError_tPvRmT1_PNSt15iterator_traitsISY_E10value_typeET2_T3_PNSZ_IS14_E10value_typeET4_jRbjT5_S1A_jjP12ihipStream_tbEUljE_EEESV_SW_SX_S14_S18_S1A_T6_T7_T9_mT8_S1C_bDpT10_ENKUlT_T0_E_clISt17integral_constantIbLb0EES1P_EEDaS1K_S1L_EUlS1K_E_NS1_11comp_targetILNS1_3genE5ELNS1_11target_archE942ELNS1_3gpuE9ELNS1_3repE0EEENS1_30default_config_static_selectorELNS0_4arch9wavefront6targetE0EEEvSY_.has_indirect_call, 0
	.section	.AMDGPU.csdata,"",@progbits
; Kernel info:
; codeLenInByte = 0
; TotalNumSgprs: 0
; NumVgprs: 0
; ScratchSize: 0
; MemoryBound: 0
; FloatMode: 240
; IeeeMode: 1
; LDSByteSize: 0 bytes/workgroup (compile time only)
; SGPRBlocks: 0
; VGPRBlocks: 0
; NumSGPRsForWavesPerEU: 1
; NumVGPRsForWavesPerEU: 1
; Occupancy: 16
; WaveLimiterHint : 0
; COMPUTE_PGM_RSRC2:SCRATCH_EN: 0
; COMPUTE_PGM_RSRC2:USER_SGPR: 2
; COMPUTE_PGM_RSRC2:TRAP_HANDLER: 0
; COMPUTE_PGM_RSRC2:TGID_X_EN: 1
; COMPUTE_PGM_RSRC2:TGID_Y_EN: 0
; COMPUTE_PGM_RSRC2:TGID_Z_EN: 0
; COMPUTE_PGM_RSRC2:TIDIG_COMP_CNT: 0
	.section	.text._ZN7rocprim17ROCPRIM_400000_NS6detail17trampoline_kernelINS0_13select_configILj256ELj13ELNS0_17block_load_methodE3ELS4_3ELS4_3ELNS0_20block_scan_algorithmE0ELj4294967295EEENS1_25partition_config_selectorILNS1_17partition_subalgoE3EjNS0_10empty_typeEbEEZZNS1_14partition_implILS8_3ELb0ES6_jNS0_17counting_iteratorIjlEEPS9_SE_NS0_5tupleIJPjSE_EEENSF_IJSE_SE_EEES9_SG_JZNS1_25segmented_radix_sort_implINS0_14default_configELb1EPKhPhPKlPlN2at6native12_GLOBAL__N_18offset_tEEE10hipError_tPvRmT1_PNSt15iterator_traitsISY_E10value_typeET2_T3_PNSZ_IS14_E10value_typeET4_jRbjT5_S1A_jjP12ihipStream_tbEUljE_EEESV_SW_SX_S14_S18_S1A_T6_T7_T9_mT8_S1C_bDpT10_ENKUlT_T0_E_clISt17integral_constantIbLb0EES1P_EEDaS1K_S1L_EUlS1K_E_NS1_11comp_targetILNS1_3genE4ELNS1_11target_archE910ELNS1_3gpuE8ELNS1_3repE0EEENS1_30default_config_static_selectorELNS0_4arch9wavefront6targetE0EEEvSY_,"axG",@progbits,_ZN7rocprim17ROCPRIM_400000_NS6detail17trampoline_kernelINS0_13select_configILj256ELj13ELNS0_17block_load_methodE3ELS4_3ELS4_3ELNS0_20block_scan_algorithmE0ELj4294967295EEENS1_25partition_config_selectorILNS1_17partition_subalgoE3EjNS0_10empty_typeEbEEZZNS1_14partition_implILS8_3ELb0ES6_jNS0_17counting_iteratorIjlEEPS9_SE_NS0_5tupleIJPjSE_EEENSF_IJSE_SE_EEES9_SG_JZNS1_25segmented_radix_sort_implINS0_14default_configELb1EPKhPhPKlPlN2at6native12_GLOBAL__N_18offset_tEEE10hipError_tPvRmT1_PNSt15iterator_traitsISY_E10value_typeET2_T3_PNSZ_IS14_E10value_typeET4_jRbjT5_S1A_jjP12ihipStream_tbEUljE_EEESV_SW_SX_S14_S18_S1A_T6_T7_T9_mT8_S1C_bDpT10_ENKUlT_T0_E_clISt17integral_constantIbLb0EES1P_EEDaS1K_S1L_EUlS1K_E_NS1_11comp_targetILNS1_3genE4ELNS1_11target_archE910ELNS1_3gpuE8ELNS1_3repE0EEENS1_30default_config_static_selectorELNS0_4arch9wavefront6targetE0EEEvSY_,comdat
	.globl	_ZN7rocprim17ROCPRIM_400000_NS6detail17trampoline_kernelINS0_13select_configILj256ELj13ELNS0_17block_load_methodE3ELS4_3ELS4_3ELNS0_20block_scan_algorithmE0ELj4294967295EEENS1_25partition_config_selectorILNS1_17partition_subalgoE3EjNS0_10empty_typeEbEEZZNS1_14partition_implILS8_3ELb0ES6_jNS0_17counting_iteratorIjlEEPS9_SE_NS0_5tupleIJPjSE_EEENSF_IJSE_SE_EEES9_SG_JZNS1_25segmented_radix_sort_implINS0_14default_configELb1EPKhPhPKlPlN2at6native12_GLOBAL__N_18offset_tEEE10hipError_tPvRmT1_PNSt15iterator_traitsISY_E10value_typeET2_T3_PNSZ_IS14_E10value_typeET4_jRbjT5_S1A_jjP12ihipStream_tbEUljE_EEESV_SW_SX_S14_S18_S1A_T6_T7_T9_mT8_S1C_bDpT10_ENKUlT_T0_E_clISt17integral_constantIbLb0EES1P_EEDaS1K_S1L_EUlS1K_E_NS1_11comp_targetILNS1_3genE4ELNS1_11target_archE910ELNS1_3gpuE8ELNS1_3repE0EEENS1_30default_config_static_selectorELNS0_4arch9wavefront6targetE0EEEvSY_ ; -- Begin function _ZN7rocprim17ROCPRIM_400000_NS6detail17trampoline_kernelINS0_13select_configILj256ELj13ELNS0_17block_load_methodE3ELS4_3ELS4_3ELNS0_20block_scan_algorithmE0ELj4294967295EEENS1_25partition_config_selectorILNS1_17partition_subalgoE3EjNS0_10empty_typeEbEEZZNS1_14partition_implILS8_3ELb0ES6_jNS0_17counting_iteratorIjlEEPS9_SE_NS0_5tupleIJPjSE_EEENSF_IJSE_SE_EEES9_SG_JZNS1_25segmented_radix_sort_implINS0_14default_configELb1EPKhPhPKlPlN2at6native12_GLOBAL__N_18offset_tEEE10hipError_tPvRmT1_PNSt15iterator_traitsISY_E10value_typeET2_T3_PNSZ_IS14_E10value_typeET4_jRbjT5_S1A_jjP12ihipStream_tbEUljE_EEESV_SW_SX_S14_S18_S1A_T6_T7_T9_mT8_S1C_bDpT10_ENKUlT_T0_E_clISt17integral_constantIbLb0EES1P_EEDaS1K_S1L_EUlS1K_E_NS1_11comp_targetILNS1_3genE4ELNS1_11target_archE910ELNS1_3gpuE8ELNS1_3repE0EEENS1_30default_config_static_selectorELNS0_4arch9wavefront6targetE0EEEvSY_
	.p2align	8
	.type	_ZN7rocprim17ROCPRIM_400000_NS6detail17trampoline_kernelINS0_13select_configILj256ELj13ELNS0_17block_load_methodE3ELS4_3ELS4_3ELNS0_20block_scan_algorithmE0ELj4294967295EEENS1_25partition_config_selectorILNS1_17partition_subalgoE3EjNS0_10empty_typeEbEEZZNS1_14partition_implILS8_3ELb0ES6_jNS0_17counting_iteratorIjlEEPS9_SE_NS0_5tupleIJPjSE_EEENSF_IJSE_SE_EEES9_SG_JZNS1_25segmented_radix_sort_implINS0_14default_configELb1EPKhPhPKlPlN2at6native12_GLOBAL__N_18offset_tEEE10hipError_tPvRmT1_PNSt15iterator_traitsISY_E10value_typeET2_T3_PNSZ_IS14_E10value_typeET4_jRbjT5_S1A_jjP12ihipStream_tbEUljE_EEESV_SW_SX_S14_S18_S1A_T6_T7_T9_mT8_S1C_bDpT10_ENKUlT_T0_E_clISt17integral_constantIbLb0EES1P_EEDaS1K_S1L_EUlS1K_E_NS1_11comp_targetILNS1_3genE4ELNS1_11target_archE910ELNS1_3gpuE8ELNS1_3repE0EEENS1_30default_config_static_selectorELNS0_4arch9wavefront6targetE0EEEvSY_,@function
_ZN7rocprim17ROCPRIM_400000_NS6detail17trampoline_kernelINS0_13select_configILj256ELj13ELNS0_17block_load_methodE3ELS4_3ELS4_3ELNS0_20block_scan_algorithmE0ELj4294967295EEENS1_25partition_config_selectorILNS1_17partition_subalgoE3EjNS0_10empty_typeEbEEZZNS1_14partition_implILS8_3ELb0ES6_jNS0_17counting_iteratorIjlEEPS9_SE_NS0_5tupleIJPjSE_EEENSF_IJSE_SE_EEES9_SG_JZNS1_25segmented_radix_sort_implINS0_14default_configELb1EPKhPhPKlPlN2at6native12_GLOBAL__N_18offset_tEEE10hipError_tPvRmT1_PNSt15iterator_traitsISY_E10value_typeET2_T3_PNSZ_IS14_E10value_typeET4_jRbjT5_S1A_jjP12ihipStream_tbEUljE_EEESV_SW_SX_S14_S18_S1A_T6_T7_T9_mT8_S1C_bDpT10_ENKUlT_T0_E_clISt17integral_constantIbLb0EES1P_EEDaS1K_S1L_EUlS1K_E_NS1_11comp_targetILNS1_3genE4ELNS1_11target_archE910ELNS1_3gpuE8ELNS1_3repE0EEENS1_30default_config_static_selectorELNS0_4arch9wavefront6targetE0EEEvSY_: ; @_ZN7rocprim17ROCPRIM_400000_NS6detail17trampoline_kernelINS0_13select_configILj256ELj13ELNS0_17block_load_methodE3ELS4_3ELS4_3ELNS0_20block_scan_algorithmE0ELj4294967295EEENS1_25partition_config_selectorILNS1_17partition_subalgoE3EjNS0_10empty_typeEbEEZZNS1_14partition_implILS8_3ELb0ES6_jNS0_17counting_iteratorIjlEEPS9_SE_NS0_5tupleIJPjSE_EEENSF_IJSE_SE_EEES9_SG_JZNS1_25segmented_radix_sort_implINS0_14default_configELb1EPKhPhPKlPlN2at6native12_GLOBAL__N_18offset_tEEE10hipError_tPvRmT1_PNSt15iterator_traitsISY_E10value_typeET2_T3_PNSZ_IS14_E10value_typeET4_jRbjT5_S1A_jjP12ihipStream_tbEUljE_EEESV_SW_SX_S14_S18_S1A_T6_T7_T9_mT8_S1C_bDpT10_ENKUlT_T0_E_clISt17integral_constantIbLb0EES1P_EEDaS1K_S1L_EUlS1K_E_NS1_11comp_targetILNS1_3genE4ELNS1_11target_archE910ELNS1_3gpuE8ELNS1_3repE0EEENS1_30default_config_static_selectorELNS0_4arch9wavefront6targetE0EEEvSY_
; %bb.0:
	.section	.rodata,"a",@progbits
	.p2align	6, 0x0
	.amdhsa_kernel _ZN7rocprim17ROCPRIM_400000_NS6detail17trampoline_kernelINS0_13select_configILj256ELj13ELNS0_17block_load_methodE3ELS4_3ELS4_3ELNS0_20block_scan_algorithmE0ELj4294967295EEENS1_25partition_config_selectorILNS1_17partition_subalgoE3EjNS0_10empty_typeEbEEZZNS1_14partition_implILS8_3ELb0ES6_jNS0_17counting_iteratorIjlEEPS9_SE_NS0_5tupleIJPjSE_EEENSF_IJSE_SE_EEES9_SG_JZNS1_25segmented_radix_sort_implINS0_14default_configELb1EPKhPhPKlPlN2at6native12_GLOBAL__N_18offset_tEEE10hipError_tPvRmT1_PNSt15iterator_traitsISY_E10value_typeET2_T3_PNSZ_IS14_E10value_typeET4_jRbjT5_S1A_jjP12ihipStream_tbEUljE_EEESV_SW_SX_S14_S18_S1A_T6_T7_T9_mT8_S1C_bDpT10_ENKUlT_T0_E_clISt17integral_constantIbLb0EES1P_EEDaS1K_S1L_EUlS1K_E_NS1_11comp_targetILNS1_3genE4ELNS1_11target_archE910ELNS1_3gpuE8ELNS1_3repE0EEENS1_30default_config_static_selectorELNS0_4arch9wavefront6targetE0EEEvSY_
		.amdhsa_group_segment_fixed_size 0
		.amdhsa_private_segment_fixed_size 0
		.amdhsa_kernarg_size 144
		.amdhsa_user_sgpr_count 2
		.amdhsa_user_sgpr_dispatch_ptr 0
		.amdhsa_user_sgpr_queue_ptr 0
		.amdhsa_user_sgpr_kernarg_segment_ptr 1
		.amdhsa_user_sgpr_dispatch_id 0
		.amdhsa_user_sgpr_private_segment_size 0
		.amdhsa_wavefront_size32 1
		.amdhsa_uses_dynamic_stack 0
		.amdhsa_enable_private_segment 0
		.amdhsa_system_sgpr_workgroup_id_x 1
		.amdhsa_system_sgpr_workgroup_id_y 0
		.amdhsa_system_sgpr_workgroup_id_z 0
		.amdhsa_system_sgpr_workgroup_info 0
		.amdhsa_system_vgpr_workitem_id 0
		.amdhsa_next_free_vgpr 1
		.amdhsa_next_free_sgpr 1
		.amdhsa_reserve_vcc 0
		.amdhsa_float_round_mode_32 0
		.amdhsa_float_round_mode_16_64 0
		.amdhsa_float_denorm_mode_32 3
		.amdhsa_float_denorm_mode_16_64 3
		.amdhsa_fp16_overflow 0
		.amdhsa_workgroup_processor_mode 1
		.amdhsa_memory_ordered 1
		.amdhsa_forward_progress 1
		.amdhsa_inst_pref_size 0
		.amdhsa_round_robin_scheduling 0
		.amdhsa_exception_fp_ieee_invalid_op 0
		.amdhsa_exception_fp_denorm_src 0
		.amdhsa_exception_fp_ieee_div_zero 0
		.amdhsa_exception_fp_ieee_overflow 0
		.amdhsa_exception_fp_ieee_underflow 0
		.amdhsa_exception_fp_ieee_inexact 0
		.amdhsa_exception_int_div_zero 0
	.end_amdhsa_kernel
	.section	.text._ZN7rocprim17ROCPRIM_400000_NS6detail17trampoline_kernelINS0_13select_configILj256ELj13ELNS0_17block_load_methodE3ELS4_3ELS4_3ELNS0_20block_scan_algorithmE0ELj4294967295EEENS1_25partition_config_selectorILNS1_17partition_subalgoE3EjNS0_10empty_typeEbEEZZNS1_14partition_implILS8_3ELb0ES6_jNS0_17counting_iteratorIjlEEPS9_SE_NS0_5tupleIJPjSE_EEENSF_IJSE_SE_EEES9_SG_JZNS1_25segmented_radix_sort_implINS0_14default_configELb1EPKhPhPKlPlN2at6native12_GLOBAL__N_18offset_tEEE10hipError_tPvRmT1_PNSt15iterator_traitsISY_E10value_typeET2_T3_PNSZ_IS14_E10value_typeET4_jRbjT5_S1A_jjP12ihipStream_tbEUljE_EEESV_SW_SX_S14_S18_S1A_T6_T7_T9_mT8_S1C_bDpT10_ENKUlT_T0_E_clISt17integral_constantIbLb0EES1P_EEDaS1K_S1L_EUlS1K_E_NS1_11comp_targetILNS1_3genE4ELNS1_11target_archE910ELNS1_3gpuE8ELNS1_3repE0EEENS1_30default_config_static_selectorELNS0_4arch9wavefront6targetE0EEEvSY_,"axG",@progbits,_ZN7rocprim17ROCPRIM_400000_NS6detail17trampoline_kernelINS0_13select_configILj256ELj13ELNS0_17block_load_methodE3ELS4_3ELS4_3ELNS0_20block_scan_algorithmE0ELj4294967295EEENS1_25partition_config_selectorILNS1_17partition_subalgoE3EjNS0_10empty_typeEbEEZZNS1_14partition_implILS8_3ELb0ES6_jNS0_17counting_iteratorIjlEEPS9_SE_NS0_5tupleIJPjSE_EEENSF_IJSE_SE_EEES9_SG_JZNS1_25segmented_radix_sort_implINS0_14default_configELb1EPKhPhPKlPlN2at6native12_GLOBAL__N_18offset_tEEE10hipError_tPvRmT1_PNSt15iterator_traitsISY_E10value_typeET2_T3_PNSZ_IS14_E10value_typeET4_jRbjT5_S1A_jjP12ihipStream_tbEUljE_EEESV_SW_SX_S14_S18_S1A_T6_T7_T9_mT8_S1C_bDpT10_ENKUlT_T0_E_clISt17integral_constantIbLb0EES1P_EEDaS1K_S1L_EUlS1K_E_NS1_11comp_targetILNS1_3genE4ELNS1_11target_archE910ELNS1_3gpuE8ELNS1_3repE0EEENS1_30default_config_static_selectorELNS0_4arch9wavefront6targetE0EEEvSY_,comdat
.Lfunc_end50:
	.size	_ZN7rocprim17ROCPRIM_400000_NS6detail17trampoline_kernelINS0_13select_configILj256ELj13ELNS0_17block_load_methodE3ELS4_3ELS4_3ELNS0_20block_scan_algorithmE0ELj4294967295EEENS1_25partition_config_selectorILNS1_17partition_subalgoE3EjNS0_10empty_typeEbEEZZNS1_14partition_implILS8_3ELb0ES6_jNS0_17counting_iteratorIjlEEPS9_SE_NS0_5tupleIJPjSE_EEENSF_IJSE_SE_EEES9_SG_JZNS1_25segmented_radix_sort_implINS0_14default_configELb1EPKhPhPKlPlN2at6native12_GLOBAL__N_18offset_tEEE10hipError_tPvRmT1_PNSt15iterator_traitsISY_E10value_typeET2_T3_PNSZ_IS14_E10value_typeET4_jRbjT5_S1A_jjP12ihipStream_tbEUljE_EEESV_SW_SX_S14_S18_S1A_T6_T7_T9_mT8_S1C_bDpT10_ENKUlT_T0_E_clISt17integral_constantIbLb0EES1P_EEDaS1K_S1L_EUlS1K_E_NS1_11comp_targetILNS1_3genE4ELNS1_11target_archE910ELNS1_3gpuE8ELNS1_3repE0EEENS1_30default_config_static_selectorELNS0_4arch9wavefront6targetE0EEEvSY_, .Lfunc_end50-_ZN7rocprim17ROCPRIM_400000_NS6detail17trampoline_kernelINS0_13select_configILj256ELj13ELNS0_17block_load_methodE3ELS4_3ELS4_3ELNS0_20block_scan_algorithmE0ELj4294967295EEENS1_25partition_config_selectorILNS1_17partition_subalgoE3EjNS0_10empty_typeEbEEZZNS1_14partition_implILS8_3ELb0ES6_jNS0_17counting_iteratorIjlEEPS9_SE_NS0_5tupleIJPjSE_EEENSF_IJSE_SE_EEES9_SG_JZNS1_25segmented_radix_sort_implINS0_14default_configELb1EPKhPhPKlPlN2at6native12_GLOBAL__N_18offset_tEEE10hipError_tPvRmT1_PNSt15iterator_traitsISY_E10value_typeET2_T3_PNSZ_IS14_E10value_typeET4_jRbjT5_S1A_jjP12ihipStream_tbEUljE_EEESV_SW_SX_S14_S18_S1A_T6_T7_T9_mT8_S1C_bDpT10_ENKUlT_T0_E_clISt17integral_constantIbLb0EES1P_EEDaS1K_S1L_EUlS1K_E_NS1_11comp_targetILNS1_3genE4ELNS1_11target_archE910ELNS1_3gpuE8ELNS1_3repE0EEENS1_30default_config_static_selectorELNS0_4arch9wavefront6targetE0EEEvSY_
                                        ; -- End function
	.set _ZN7rocprim17ROCPRIM_400000_NS6detail17trampoline_kernelINS0_13select_configILj256ELj13ELNS0_17block_load_methodE3ELS4_3ELS4_3ELNS0_20block_scan_algorithmE0ELj4294967295EEENS1_25partition_config_selectorILNS1_17partition_subalgoE3EjNS0_10empty_typeEbEEZZNS1_14partition_implILS8_3ELb0ES6_jNS0_17counting_iteratorIjlEEPS9_SE_NS0_5tupleIJPjSE_EEENSF_IJSE_SE_EEES9_SG_JZNS1_25segmented_radix_sort_implINS0_14default_configELb1EPKhPhPKlPlN2at6native12_GLOBAL__N_18offset_tEEE10hipError_tPvRmT1_PNSt15iterator_traitsISY_E10value_typeET2_T3_PNSZ_IS14_E10value_typeET4_jRbjT5_S1A_jjP12ihipStream_tbEUljE_EEESV_SW_SX_S14_S18_S1A_T6_T7_T9_mT8_S1C_bDpT10_ENKUlT_T0_E_clISt17integral_constantIbLb0EES1P_EEDaS1K_S1L_EUlS1K_E_NS1_11comp_targetILNS1_3genE4ELNS1_11target_archE910ELNS1_3gpuE8ELNS1_3repE0EEENS1_30default_config_static_selectorELNS0_4arch9wavefront6targetE0EEEvSY_.num_vgpr, 0
	.set _ZN7rocprim17ROCPRIM_400000_NS6detail17trampoline_kernelINS0_13select_configILj256ELj13ELNS0_17block_load_methodE3ELS4_3ELS4_3ELNS0_20block_scan_algorithmE0ELj4294967295EEENS1_25partition_config_selectorILNS1_17partition_subalgoE3EjNS0_10empty_typeEbEEZZNS1_14partition_implILS8_3ELb0ES6_jNS0_17counting_iteratorIjlEEPS9_SE_NS0_5tupleIJPjSE_EEENSF_IJSE_SE_EEES9_SG_JZNS1_25segmented_radix_sort_implINS0_14default_configELb1EPKhPhPKlPlN2at6native12_GLOBAL__N_18offset_tEEE10hipError_tPvRmT1_PNSt15iterator_traitsISY_E10value_typeET2_T3_PNSZ_IS14_E10value_typeET4_jRbjT5_S1A_jjP12ihipStream_tbEUljE_EEESV_SW_SX_S14_S18_S1A_T6_T7_T9_mT8_S1C_bDpT10_ENKUlT_T0_E_clISt17integral_constantIbLb0EES1P_EEDaS1K_S1L_EUlS1K_E_NS1_11comp_targetILNS1_3genE4ELNS1_11target_archE910ELNS1_3gpuE8ELNS1_3repE0EEENS1_30default_config_static_selectorELNS0_4arch9wavefront6targetE0EEEvSY_.num_agpr, 0
	.set _ZN7rocprim17ROCPRIM_400000_NS6detail17trampoline_kernelINS0_13select_configILj256ELj13ELNS0_17block_load_methodE3ELS4_3ELS4_3ELNS0_20block_scan_algorithmE0ELj4294967295EEENS1_25partition_config_selectorILNS1_17partition_subalgoE3EjNS0_10empty_typeEbEEZZNS1_14partition_implILS8_3ELb0ES6_jNS0_17counting_iteratorIjlEEPS9_SE_NS0_5tupleIJPjSE_EEENSF_IJSE_SE_EEES9_SG_JZNS1_25segmented_radix_sort_implINS0_14default_configELb1EPKhPhPKlPlN2at6native12_GLOBAL__N_18offset_tEEE10hipError_tPvRmT1_PNSt15iterator_traitsISY_E10value_typeET2_T3_PNSZ_IS14_E10value_typeET4_jRbjT5_S1A_jjP12ihipStream_tbEUljE_EEESV_SW_SX_S14_S18_S1A_T6_T7_T9_mT8_S1C_bDpT10_ENKUlT_T0_E_clISt17integral_constantIbLb0EES1P_EEDaS1K_S1L_EUlS1K_E_NS1_11comp_targetILNS1_3genE4ELNS1_11target_archE910ELNS1_3gpuE8ELNS1_3repE0EEENS1_30default_config_static_selectorELNS0_4arch9wavefront6targetE0EEEvSY_.numbered_sgpr, 0
	.set _ZN7rocprim17ROCPRIM_400000_NS6detail17trampoline_kernelINS0_13select_configILj256ELj13ELNS0_17block_load_methodE3ELS4_3ELS4_3ELNS0_20block_scan_algorithmE0ELj4294967295EEENS1_25partition_config_selectorILNS1_17partition_subalgoE3EjNS0_10empty_typeEbEEZZNS1_14partition_implILS8_3ELb0ES6_jNS0_17counting_iteratorIjlEEPS9_SE_NS0_5tupleIJPjSE_EEENSF_IJSE_SE_EEES9_SG_JZNS1_25segmented_radix_sort_implINS0_14default_configELb1EPKhPhPKlPlN2at6native12_GLOBAL__N_18offset_tEEE10hipError_tPvRmT1_PNSt15iterator_traitsISY_E10value_typeET2_T3_PNSZ_IS14_E10value_typeET4_jRbjT5_S1A_jjP12ihipStream_tbEUljE_EEESV_SW_SX_S14_S18_S1A_T6_T7_T9_mT8_S1C_bDpT10_ENKUlT_T0_E_clISt17integral_constantIbLb0EES1P_EEDaS1K_S1L_EUlS1K_E_NS1_11comp_targetILNS1_3genE4ELNS1_11target_archE910ELNS1_3gpuE8ELNS1_3repE0EEENS1_30default_config_static_selectorELNS0_4arch9wavefront6targetE0EEEvSY_.num_named_barrier, 0
	.set _ZN7rocprim17ROCPRIM_400000_NS6detail17trampoline_kernelINS0_13select_configILj256ELj13ELNS0_17block_load_methodE3ELS4_3ELS4_3ELNS0_20block_scan_algorithmE0ELj4294967295EEENS1_25partition_config_selectorILNS1_17partition_subalgoE3EjNS0_10empty_typeEbEEZZNS1_14partition_implILS8_3ELb0ES6_jNS0_17counting_iteratorIjlEEPS9_SE_NS0_5tupleIJPjSE_EEENSF_IJSE_SE_EEES9_SG_JZNS1_25segmented_radix_sort_implINS0_14default_configELb1EPKhPhPKlPlN2at6native12_GLOBAL__N_18offset_tEEE10hipError_tPvRmT1_PNSt15iterator_traitsISY_E10value_typeET2_T3_PNSZ_IS14_E10value_typeET4_jRbjT5_S1A_jjP12ihipStream_tbEUljE_EEESV_SW_SX_S14_S18_S1A_T6_T7_T9_mT8_S1C_bDpT10_ENKUlT_T0_E_clISt17integral_constantIbLb0EES1P_EEDaS1K_S1L_EUlS1K_E_NS1_11comp_targetILNS1_3genE4ELNS1_11target_archE910ELNS1_3gpuE8ELNS1_3repE0EEENS1_30default_config_static_selectorELNS0_4arch9wavefront6targetE0EEEvSY_.private_seg_size, 0
	.set _ZN7rocprim17ROCPRIM_400000_NS6detail17trampoline_kernelINS0_13select_configILj256ELj13ELNS0_17block_load_methodE3ELS4_3ELS4_3ELNS0_20block_scan_algorithmE0ELj4294967295EEENS1_25partition_config_selectorILNS1_17partition_subalgoE3EjNS0_10empty_typeEbEEZZNS1_14partition_implILS8_3ELb0ES6_jNS0_17counting_iteratorIjlEEPS9_SE_NS0_5tupleIJPjSE_EEENSF_IJSE_SE_EEES9_SG_JZNS1_25segmented_radix_sort_implINS0_14default_configELb1EPKhPhPKlPlN2at6native12_GLOBAL__N_18offset_tEEE10hipError_tPvRmT1_PNSt15iterator_traitsISY_E10value_typeET2_T3_PNSZ_IS14_E10value_typeET4_jRbjT5_S1A_jjP12ihipStream_tbEUljE_EEESV_SW_SX_S14_S18_S1A_T6_T7_T9_mT8_S1C_bDpT10_ENKUlT_T0_E_clISt17integral_constantIbLb0EES1P_EEDaS1K_S1L_EUlS1K_E_NS1_11comp_targetILNS1_3genE4ELNS1_11target_archE910ELNS1_3gpuE8ELNS1_3repE0EEENS1_30default_config_static_selectorELNS0_4arch9wavefront6targetE0EEEvSY_.uses_vcc, 0
	.set _ZN7rocprim17ROCPRIM_400000_NS6detail17trampoline_kernelINS0_13select_configILj256ELj13ELNS0_17block_load_methodE3ELS4_3ELS4_3ELNS0_20block_scan_algorithmE0ELj4294967295EEENS1_25partition_config_selectorILNS1_17partition_subalgoE3EjNS0_10empty_typeEbEEZZNS1_14partition_implILS8_3ELb0ES6_jNS0_17counting_iteratorIjlEEPS9_SE_NS0_5tupleIJPjSE_EEENSF_IJSE_SE_EEES9_SG_JZNS1_25segmented_radix_sort_implINS0_14default_configELb1EPKhPhPKlPlN2at6native12_GLOBAL__N_18offset_tEEE10hipError_tPvRmT1_PNSt15iterator_traitsISY_E10value_typeET2_T3_PNSZ_IS14_E10value_typeET4_jRbjT5_S1A_jjP12ihipStream_tbEUljE_EEESV_SW_SX_S14_S18_S1A_T6_T7_T9_mT8_S1C_bDpT10_ENKUlT_T0_E_clISt17integral_constantIbLb0EES1P_EEDaS1K_S1L_EUlS1K_E_NS1_11comp_targetILNS1_3genE4ELNS1_11target_archE910ELNS1_3gpuE8ELNS1_3repE0EEENS1_30default_config_static_selectorELNS0_4arch9wavefront6targetE0EEEvSY_.uses_flat_scratch, 0
	.set _ZN7rocprim17ROCPRIM_400000_NS6detail17trampoline_kernelINS0_13select_configILj256ELj13ELNS0_17block_load_methodE3ELS4_3ELS4_3ELNS0_20block_scan_algorithmE0ELj4294967295EEENS1_25partition_config_selectorILNS1_17partition_subalgoE3EjNS0_10empty_typeEbEEZZNS1_14partition_implILS8_3ELb0ES6_jNS0_17counting_iteratorIjlEEPS9_SE_NS0_5tupleIJPjSE_EEENSF_IJSE_SE_EEES9_SG_JZNS1_25segmented_radix_sort_implINS0_14default_configELb1EPKhPhPKlPlN2at6native12_GLOBAL__N_18offset_tEEE10hipError_tPvRmT1_PNSt15iterator_traitsISY_E10value_typeET2_T3_PNSZ_IS14_E10value_typeET4_jRbjT5_S1A_jjP12ihipStream_tbEUljE_EEESV_SW_SX_S14_S18_S1A_T6_T7_T9_mT8_S1C_bDpT10_ENKUlT_T0_E_clISt17integral_constantIbLb0EES1P_EEDaS1K_S1L_EUlS1K_E_NS1_11comp_targetILNS1_3genE4ELNS1_11target_archE910ELNS1_3gpuE8ELNS1_3repE0EEENS1_30default_config_static_selectorELNS0_4arch9wavefront6targetE0EEEvSY_.has_dyn_sized_stack, 0
	.set _ZN7rocprim17ROCPRIM_400000_NS6detail17trampoline_kernelINS0_13select_configILj256ELj13ELNS0_17block_load_methodE3ELS4_3ELS4_3ELNS0_20block_scan_algorithmE0ELj4294967295EEENS1_25partition_config_selectorILNS1_17partition_subalgoE3EjNS0_10empty_typeEbEEZZNS1_14partition_implILS8_3ELb0ES6_jNS0_17counting_iteratorIjlEEPS9_SE_NS0_5tupleIJPjSE_EEENSF_IJSE_SE_EEES9_SG_JZNS1_25segmented_radix_sort_implINS0_14default_configELb1EPKhPhPKlPlN2at6native12_GLOBAL__N_18offset_tEEE10hipError_tPvRmT1_PNSt15iterator_traitsISY_E10value_typeET2_T3_PNSZ_IS14_E10value_typeET4_jRbjT5_S1A_jjP12ihipStream_tbEUljE_EEESV_SW_SX_S14_S18_S1A_T6_T7_T9_mT8_S1C_bDpT10_ENKUlT_T0_E_clISt17integral_constantIbLb0EES1P_EEDaS1K_S1L_EUlS1K_E_NS1_11comp_targetILNS1_3genE4ELNS1_11target_archE910ELNS1_3gpuE8ELNS1_3repE0EEENS1_30default_config_static_selectorELNS0_4arch9wavefront6targetE0EEEvSY_.has_recursion, 0
	.set _ZN7rocprim17ROCPRIM_400000_NS6detail17trampoline_kernelINS0_13select_configILj256ELj13ELNS0_17block_load_methodE3ELS4_3ELS4_3ELNS0_20block_scan_algorithmE0ELj4294967295EEENS1_25partition_config_selectorILNS1_17partition_subalgoE3EjNS0_10empty_typeEbEEZZNS1_14partition_implILS8_3ELb0ES6_jNS0_17counting_iteratorIjlEEPS9_SE_NS0_5tupleIJPjSE_EEENSF_IJSE_SE_EEES9_SG_JZNS1_25segmented_radix_sort_implINS0_14default_configELb1EPKhPhPKlPlN2at6native12_GLOBAL__N_18offset_tEEE10hipError_tPvRmT1_PNSt15iterator_traitsISY_E10value_typeET2_T3_PNSZ_IS14_E10value_typeET4_jRbjT5_S1A_jjP12ihipStream_tbEUljE_EEESV_SW_SX_S14_S18_S1A_T6_T7_T9_mT8_S1C_bDpT10_ENKUlT_T0_E_clISt17integral_constantIbLb0EES1P_EEDaS1K_S1L_EUlS1K_E_NS1_11comp_targetILNS1_3genE4ELNS1_11target_archE910ELNS1_3gpuE8ELNS1_3repE0EEENS1_30default_config_static_selectorELNS0_4arch9wavefront6targetE0EEEvSY_.has_indirect_call, 0
	.section	.AMDGPU.csdata,"",@progbits
; Kernel info:
; codeLenInByte = 0
; TotalNumSgprs: 0
; NumVgprs: 0
; ScratchSize: 0
; MemoryBound: 0
; FloatMode: 240
; IeeeMode: 1
; LDSByteSize: 0 bytes/workgroup (compile time only)
; SGPRBlocks: 0
; VGPRBlocks: 0
; NumSGPRsForWavesPerEU: 1
; NumVGPRsForWavesPerEU: 1
; Occupancy: 16
; WaveLimiterHint : 0
; COMPUTE_PGM_RSRC2:SCRATCH_EN: 0
; COMPUTE_PGM_RSRC2:USER_SGPR: 2
; COMPUTE_PGM_RSRC2:TRAP_HANDLER: 0
; COMPUTE_PGM_RSRC2:TGID_X_EN: 1
; COMPUTE_PGM_RSRC2:TGID_Y_EN: 0
; COMPUTE_PGM_RSRC2:TGID_Z_EN: 0
; COMPUTE_PGM_RSRC2:TIDIG_COMP_CNT: 0
	.section	.text._ZN7rocprim17ROCPRIM_400000_NS6detail17trampoline_kernelINS0_13select_configILj256ELj13ELNS0_17block_load_methodE3ELS4_3ELS4_3ELNS0_20block_scan_algorithmE0ELj4294967295EEENS1_25partition_config_selectorILNS1_17partition_subalgoE3EjNS0_10empty_typeEbEEZZNS1_14partition_implILS8_3ELb0ES6_jNS0_17counting_iteratorIjlEEPS9_SE_NS0_5tupleIJPjSE_EEENSF_IJSE_SE_EEES9_SG_JZNS1_25segmented_radix_sort_implINS0_14default_configELb1EPKhPhPKlPlN2at6native12_GLOBAL__N_18offset_tEEE10hipError_tPvRmT1_PNSt15iterator_traitsISY_E10value_typeET2_T3_PNSZ_IS14_E10value_typeET4_jRbjT5_S1A_jjP12ihipStream_tbEUljE_EEESV_SW_SX_S14_S18_S1A_T6_T7_T9_mT8_S1C_bDpT10_ENKUlT_T0_E_clISt17integral_constantIbLb0EES1P_EEDaS1K_S1L_EUlS1K_E_NS1_11comp_targetILNS1_3genE3ELNS1_11target_archE908ELNS1_3gpuE7ELNS1_3repE0EEENS1_30default_config_static_selectorELNS0_4arch9wavefront6targetE0EEEvSY_,"axG",@progbits,_ZN7rocprim17ROCPRIM_400000_NS6detail17trampoline_kernelINS0_13select_configILj256ELj13ELNS0_17block_load_methodE3ELS4_3ELS4_3ELNS0_20block_scan_algorithmE0ELj4294967295EEENS1_25partition_config_selectorILNS1_17partition_subalgoE3EjNS0_10empty_typeEbEEZZNS1_14partition_implILS8_3ELb0ES6_jNS0_17counting_iteratorIjlEEPS9_SE_NS0_5tupleIJPjSE_EEENSF_IJSE_SE_EEES9_SG_JZNS1_25segmented_radix_sort_implINS0_14default_configELb1EPKhPhPKlPlN2at6native12_GLOBAL__N_18offset_tEEE10hipError_tPvRmT1_PNSt15iterator_traitsISY_E10value_typeET2_T3_PNSZ_IS14_E10value_typeET4_jRbjT5_S1A_jjP12ihipStream_tbEUljE_EEESV_SW_SX_S14_S18_S1A_T6_T7_T9_mT8_S1C_bDpT10_ENKUlT_T0_E_clISt17integral_constantIbLb0EES1P_EEDaS1K_S1L_EUlS1K_E_NS1_11comp_targetILNS1_3genE3ELNS1_11target_archE908ELNS1_3gpuE7ELNS1_3repE0EEENS1_30default_config_static_selectorELNS0_4arch9wavefront6targetE0EEEvSY_,comdat
	.globl	_ZN7rocprim17ROCPRIM_400000_NS6detail17trampoline_kernelINS0_13select_configILj256ELj13ELNS0_17block_load_methodE3ELS4_3ELS4_3ELNS0_20block_scan_algorithmE0ELj4294967295EEENS1_25partition_config_selectorILNS1_17partition_subalgoE3EjNS0_10empty_typeEbEEZZNS1_14partition_implILS8_3ELb0ES6_jNS0_17counting_iteratorIjlEEPS9_SE_NS0_5tupleIJPjSE_EEENSF_IJSE_SE_EEES9_SG_JZNS1_25segmented_radix_sort_implINS0_14default_configELb1EPKhPhPKlPlN2at6native12_GLOBAL__N_18offset_tEEE10hipError_tPvRmT1_PNSt15iterator_traitsISY_E10value_typeET2_T3_PNSZ_IS14_E10value_typeET4_jRbjT5_S1A_jjP12ihipStream_tbEUljE_EEESV_SW_SX_S14_S18_S1A_T6_T7_T9_mT8_S1C_bDpT10_ENKUlT_T0_E_clISt17integral_constantIbLb0EES1P_EEDaS1K_S1L_EUlS1K_E_NS1_11comp_targetILNS1_3genE3ELNS1_11target_archE908ELNS1_3gpuE7ELNS1_3repE0EEENS1_30default_config_static_selectorELNS0_4arch9wavefront6targetE0EEEvSY_ ; -- Begin function _ZN7rocprim17ROCPRIM_400000_NS6detail17trampoline_kernelINS0_13select_configILj256ELj13ELNS0_17block_load_methodE3ELS4_3ELS4_3ELNS0_20block_scan_algorithmE0ELj4294967295EEENS1_25partition_config_selectorILNS1_17partition_subalgoE3EjNS0_10empty_typeEbEEZZNS1_14partition_implILS8_3ELb0ES6_jNS0_17counting_iteratorIjlEEPS9_SE_NS0_5tupleIJPjSE_EEENSF_IJSE_SE_EEES9_SG_JZNS1_25segmented_radix_sort_implINS0_14default_configELb1EPKhPhPKlPlN2at6native12_GLOBAL__N_18offset_tEEE10hipError_tPvRmT1_PNSt15iterator_traitsISY_E10value_typeET2_T3_PNSZ_IS14_E10value_typeET4_jRbjT5_S1A_jjP12ihipStream_tbEUljE_EEESV_SW_SX_S14_S18_S1A_T6_T7_T9_mT8_S1C_bDpT10_ENKUlT_T0_E_clISt17integral_constantIbLb0EES1P_EEDaS1K_S1L_EUlS1K_E_NS1_11comp_targetILNS1_3genE3ELNS1_11target_archE908ELNS1_3gpuE7ELNS1_3repE0EEENS1_30default_config_static_selectorELNS0_4arch9wavefront6targetE0EEEvSY_
	.p2align	8
	.type	_ZN7rocprim17ROCPRIM_400000_NS6detail17trampoline_kernelINS0_13select_configILj256ELj13ELNS0_17block_load_methodE3ELS4_3ELS4_3ELNS0_20block_scan_algorithmE0ELj4294967295EEENS1_25partition_config_selectorILNS1_17partition_subalgoE3EjNS0_10empty_typeEbEEZZNS1_14partition_implILS8_3ELb0ES6_jNS0_17counting_iteratorIjlEEPS9_SE_NS0_5tupleIJPjSE_EEENSF_IJSE_SE_EEES9_SG_JZNS1_25segmented_radix_sort_implINS0_14default_configELb1EPKhPhPKlPlN2at6native12_GLOBAL__N_18offset_tEEE10hipError_tPvRmT1_PNSt15iterator_traitsISY_E10value_typeET2_T3_PNSZ_IS14_E10value_typeET4_jRbjT5_S1A_jjP12ihipStream_tbEUljE_EEESV_SW_SX_S14_S18_S1A_T6_T7_T9_mT8_S1C_bDpT10_ENKUlT_T0_E_clISt17integral_constantIbLb0EES1P_EEDaS1K_S1L_EUlS1K_E_NS1_11comp_targetILNS1_3genE3ELNS1_11target_archE908ELNS1_3gpuE7ELNS1_3repE0EEENS1_30default_config_static_selectorELNS0_4arch9wavefront6targetE0EEEvSY_,@function
_ZN7rocprim17ROCPRIM_400000_NS6detail17trampoline_kernelINS0_13select_configILj256ELj13ELNS0_17block_load_methodE3ELS4_3ELS4_3ELNS0_20block_scan_algorithmE0ELj4294967295EEENS1_25partition_config_selectorILNS1_17partition_subalgoE3EjNS0_10empty_typeEbEEZZNS1_14partition_implILS8_3ELb0ES6_jNS0_17counting_iteratorIjlEEPS9_SE_NS0_5tupleIJPjSE_EEENSF_IJSE_SE_EEES9_SG_JZNS1_25segmented_radix_sort_implINS0_14default_configELb1EPKhPhPKlPlN2at6native12_GLOBAL__N_18offset_tEEE10hipError_tPvRmT1_PNSt15iterator_traitsISY_E10value_typeET2_T3_PNSZ_IS14_E10value_typeET4_jRbjT5_S1A_jjP12ihipStream_tbEUljE_EEESV_SW_SX_S14_S18_S1A_T6_T7_T9_mT8_S1C_bDpT10_ENKUlT_T0_E_clISt17integral_constantIbLb0EES1P_EEDaS1K_S1L_EUlS1K_E_NS1_11comp_targetILNS1_3genE3ELNS1_11target_archE908ELNS1_3gpuE7ELNS1_3repE0EEENS1_30default_config_static_selectorELNS0_4arch9wavefront6targetE0EEEvSY_: ; @_ZN7rocprim17ROCPRIM_400000_NS6detail17trampoline_kernelINS0_13select_configILj256ELj13ELNS0_17block_load_methodE3ELS4_3ELS4_3ELNS0_20block_scan_algorithmE0ELj4294967295EEENS1_25partition_config_selectorILNS1_17partition_subalgoE3EjNS0_10empty_typeEbEEZZNS1_14partition_implILS8_3ELb0ES6_jNS0_17counting_iteratorIjlEEPS9_SE_NS0_5tupleIJPjSE_EEENSF_IJSE_SE_EEES9_SG_JZNS1_25segmented_radix_sort_implINS0_14default_configELb1EPKhPhPKlPlN2at6native12_GLOBAL__N_18offset_tEEE10hipError_tPvRmT1_PNSt15iterator_traitsISY_E10value_typeET2_T3_PNSZ_IS14_E10value_typeET4_jRbjT5_S1A_jjP12ihipStream_tbEUljE_EEESV_SW_SX_S14_S18_S1A_T6_T7_T9_mT8_S1C_bDpT10_ENKUlT_T0_E_clISt17integral_constantIbLb0EES1P_EEDaS1K_S1L_EUlS1K_E_NS1_11comp_targetILNS1_3genE3ELNS1_11target_archE908ELNS1_3gpuE7ELNS1_3repE0EEENS1_30default_config_static_selectorELNS0_4arch9wavefront6targetE0EEEvSY_
; %bb.0:
	.section	.rodata,"a",@progbits
	.p2align	6, 0x0
	.amdhsa_kernel _ZN7rocprim17ROCPRIM_400000_NS6detail17trampoline_kernelINS0_13select_configILj256ELj13ELNS0_17block_load_methodE3ELS4_3ELS4_3ELNS0_20block_scan_algorithmE0ELj4294967295EEENS1_25partition_config_selectorILNS1_17partition_subalgoE3EjNS0_10empty_typeEbEEZZNS1_14partition_implILS8_3ELb0ES6_jNS0_17counting_iteratorIjlEEPS9_SE_NS0_5tupleIJPjSE_EEENSF_IJSE_SE_EEES9_SG_JZNS1_25segmented_radix_sort_implINS0_14default_configELb1EPKhPhPKlPlN2at6native12_GLOBAL__N_18offset_tEEE10hipError_tPvRmT1_PNSt15iterator_traitsISY_E10value_typeET2_T3_PNSZ_IS14_E10value_typeET4_jRbjT5_S1A_jjP12ihipStream_tbEUljE_EEESV_SW_SX_S14_S18_S1A_T6_T7_T9_mT8_S1C_bDpT10_ENKUlT_T0_E_clISt17integral_constantIbLb0EES1P_EEDaS1K_S1L_EUlS1K_E_NS1_11comp_targetILNS1_3genE3ELNS1_11target_archE908ELNS1_3gpuE7ELNS1_3repE0EEENS1_30default_config_static_selectorELNS0_4arch9wavefront6targetE0EEEvSY_
		.amdhsa_group_segment_fixed_size 0
		.amdhsa_private_segment_fixed_size 0
		.amdhsa_kernarg_size 144
		.amdhsa_user_sgpr_count 2
		.amdhsa_user_sgpr_dispatch_ptr 0
		.amdhsa_user_sgpr_queue_ptr 0
		.amdhsa_user_sgpr_kernarg_segment_ptr 1
		.amdhsa_user_sgpr_dispatch_id 0
		.amdhsa_user_sgpr_private_segment_size 0
		.amdhsa_wavefront_size32 1
		.amdhsa_uses_dynamic_stack 0
		.amdhsa_enable_private_segment 0
		.amdhsa_system_sgpr_workgroup_id_x 1
		.amdhsa_system_sgpr_workgroup_id_y 0
		.amdhsa_system_sgpr_workgroup_id_z 0
		.amdhsa_system_sgpr_workgroup_info 0
		.amdhsa_system_vgpr_workitem_id 0
		.amdhsa_next_free_vgpr 1
		.amdhsa_next_free_sgpr 1
		.amdhsa_reserve_vcc 0
		.amdhsa_float_round_mode_32 0
		.amdhsa_float_round_mode_16_64 0
		.amdhsa_float_denorm_mode_32 3
		.amdhsa_float_denorm_mode_16_64 3
		.amdhsa_fp16_overflow 0
		.amdhsa_workgroup_processor_mode 1
		.amdhsa_memory_ordered 1
		.amdhsa_forward_progress 1
		.amdhsa_inst_pref_size 0
		.amdhsa_round_robin_scheduling 0
		.amdhsa_exception_fp_ieee_invalid_op 0
		.amdhsa_exception_fp_denorm_src 0
		.amdhsa_exception_fp_ieee_div_zero 0
		.amdhsa_exception_fp_ieee_overflow 0
		.amdhsa_exception_fp_ieee_underflow 0
		.amdhsa_exception_fp_ieee_inexact 0
		.amdhsa_exception_int_div_zero 0
	.end_amdhsa_kernel
	.section	.text._ZN7rocprim17ROCPRIM_400000_NS6detail17trampoline_kernelINS0_13select_configILj256ELj13ELNS0_17block_load_methodE3ELS4_3ELS4_3ELNS0_20block_scan_algorithmE0ELj4294967295EEENS1_25partition_config_selectorILNS1_17partition_subalgoE3EjNS0_10empty_typeEbEEZZNS1_14partition_implILS8_3ELb0ES6_jNS0_17counting_iteratorIjlEEPS9_SE_NS0_5tupleIJPjSE_EEENSF_IJSE_SE_EEES9_SG_JZNS1_25segmented_radix_sort_implINS0_14default_configELb1EPKhPhPKlPlN2at6native12_GLOBAL__N_18offset_tEEE10hipError_tPvRmT1_PNSt15iterator_traitsISY_E10value_typeET2_T3_PNSZ_IS14_E10value_typeET4_jRbjT5_S1A_jjP12ihipStream_tbEUljE_EEESV_SW_SX_S14_S18_S1A_T6_T7_T9_mT8_S1C_bDpT10_ENKUlT_T0_E_clISt17integral_constantIbLb0EES1P_EEDaS1K_S1L_EUlS1K_E_NS1_11comp_targetILNS1_3genE3ELNS1_11target_archE908ELNS1_3gpuE7ELNS1_3repE0EEENS1_30default_config_static_selectorELNS0_4arch9wavefront6targetE0EEEvSY_,"axG",@progbits,_ZN7rocprim17ROCPRIM_400000_NS6detail17trampoline_kernelINS0_13select_configILj256ELj13ELNS0_17block_load_methodE3ELS4_3ELS4_3ELNS0_20block_scan_algorithmE0ELj4294967295EEENS1_25partition_config_selectorILNS1_17partition_subalgoE3EjNS0_10empty_typeEbEEZZNS1_14partition_implILS8_3ELb0ES6_jNS0_17counting_iteratorIjlEEPS9_SE_NS0_5tupleIJPjSE_EEENSF_IJSE_SE_EEES9_SG_JZNS1_25segmented_radix_sort_implINS0_14default_configELb1EPKhPhPKlPlN2at6native12_GLOBAL__N_18offset_tEEE10hipError_tPvRmT1_PNSt15iterator_traitsISY_E10value_typeET2_T3_PNSZ_IS14_E10value_typeET4_jRbjT5_S1A_jjP12ihipStream_tbEUljE_EEESV_SW_SX_S14_S18_S1A_T6_T7_T9_mT8_S1C_bDpT10_ENKUlT_T0_E_clISt17integral_constantIbLb0EES1P_EEDaS1K_S1L_EUlS1K_E_NS1_11comp_targetILNS1_3genE3ELNS1_11target_archE908ELNS1_3gpuE7ELNS1_3repE0EEENS1_30default_config_static_selectorELNS0_4arch9wavefront6targetE0EEEvSY_,comdat
.Lfunc_end51:
	.size	_ZN7rocprim17ROCPRIM_400000_NS6detail17trampoline_kernelINS0_13select_configILj256ELj13ELNS0_17block_load_methodE3ELS4_3ELS4_3ELNS0_20block_scan_algorithmE0ELj4294967295EEENS1_25partition_config_selectorILNS1_17partition_subalgoE3EjNS0_10empty_typeEbEEZZNS1_14partition_implILS8_3ELb0ES6_jNS0_17counting_iteratorIjlEEPS9_SE_NS0_5tupleIJPjSE_EEENSF_IJSE_SE_EEES9_SG_JZNS1_25segmented_radix_sort_implINS0_14default_configELb1EPKhPhPKlPlN2at6native12_GLOBAL__N_18offset_tEEE10hipError_tPvRmT1_PNSt15iterator_traitsISY_E10value_typeET2_T3_PNSZ_IS14_E10value_typeET4_jRbjT5_S1A_jjP12ihipStream_tbEUljE_EEESV_SW_SX_S14_S18_S1A_T6_T7_T9_mT8_S1C_bDpT10_ENKUlT_T0_E_clISt17integral_constantIbLb0EES1P_EEDaS1K_S1L_EUlS1K_E_NS1_11comp_targetILNS1_3genE3ELNS1_11target_archE908ELNS1_3gpuE7ELNS1_3repE0EEENS1_30default_config_static_selectorELNS0_4arch9wavefront6targetE0EEEvSY_, .Lfunc_end51-_ZN7rocprim17ROCPRIM_400000_NS6detail17trampoline_kernelINS0_13select_configILj256ELj13ELNS0_17block_load_methodE3ELS4_3ELS4_3ELNS0_20block_scan_algorithmE0ELj4294967295EEENS1_25partition_config_selectorILNS1_17partition_subalgoE3EjNS0_10empty_typeEbEEZZNS1_14partition_implILS8_3ELb0ES6_jNS0_17counting_iteratorIjlEEPS9_SE_NS0_5tupleIJPjSE_EEENSF_IJSE_SE_EEES9_SG_JZNS1_25segmented_radix_sort_implINS0_14default_configELb1EPKhPhPKlPlN2at6native12_GLOBAL__N_18offset_tEEE10hipError_tPvRmT1_PNSt15iterator_traitsISY_E10value_typeET2_T3_PNSZ_IS14_E10value_typeET4_jRbjT5_S1A_jjP12ihipStream_tbEUljE_EEESV_SW_SX_S14_S18_S1A_T6_T7_T9_mT8_S1C_bDpT10_ENKUlT_T0_E_clISt17integral_constantIbLb0EES1P_EEDaS1K_S1L_EUlS1K_E_NS1_11comp_targetILNS1_3genE3ELNS1_11target_archE908ELNS1_3gpuE7ELNS1_3repE0EEENS1_30default_config_static_selectorELNS0_4arch9wavefront6targetE0EEEvSY_
                                        ; -- End function
	.set _ZN7rocprim17ROCPRIM_400000_NS6detail17trampoline_kernelINS0_13select_configILj256ELj13ELNS0_17block_load_methodE3ELS4_3ELS4_3ELNS0_20block_scan_algorithmE0ELj4294967295EEENS1_25partition_config_selectorILNS1_17partition_subalgoE3EjNS0_10empty_typeEbEEZZNS1_14partition_implILS8_3ELb0ES6_jNS0_17counting_iteratorIjlEEPS9_SE_NS0_5tupleIJPjSE_EEENSF_IJSE_SE_EEES9_SG_JZNS1_25segmented_radix_sort_implINS0_14default_configELb1EPKhPhPKlPlN2at6native12_GLOBAL__N_18offset_tEEE10hipError_tPvRmT1_PNSt15iterator_traitsISY_E10value_typeET2_T3_PNSZ_IS14_E10value_typeET4_jRbjT5_S1A_jjP12ihipStream_tbEUljE_EEESV_SW_SX_S14_S18_S1A_T6_T7_T9_mT8_S1C_bDpT10_ENKUlT_T0_E_clISt17integral_constantIbLb0EES1P_EEDaS1K_S1L_EUlS1K_E_NS1_11comp_targetILNS1_3genE3ELNS1_11target_archE908ELNS1_3gpuE7ELNS1_3repE0EEENS1_30default_config_static_selectorELNS0_4arch9wavefront6targetE0EEEvSY_.num_vgpr, 0
	.set _ZN7rocprim17ROCPRIM_400000_NS6detail17trampoline_kernelINS0_13select_configILj256ELj13ELNS0_17block_load_methodE3ELS4_3ELS4_3ELNS0_20block_scan_algorithmE0ELj4294967295EEENS1_25partition_config_selectorILNS1_17partition_subalgoE3EjNS0_10empty_typeEbEEZZNS1_14partition_implILS8_3ELb0ES6_jNS0_17counting_iteratorIjlEEPS9_SE_NS0_5tupleIJPjSE_EEENSF_IJSE_SE_EEES9_SG_JZNS1_25segmented_radix_sort_implINS0_14default_configELb1EPKhPhPKlPlN2at6native12_GLOBAL__N_18offset_tEEE10hipError_tPvRmT1_PNSt15iterator_traitsISY_E10value_typeET2_T3_PNSZ_IS14_E10value_typeET4_jRbjT5_S1A_jjP12ihipStream_tbEUljE_EEESV_SW_SX_S14_S18_S1A_T6_T7_T9_mT8_S1C_bDpT10_ENKUlT_T0_E_clISt17integral_constantIbLb0EES1P_EEDaS1K_S1L_EUlS1K_E_NS1_11comp_targetILNS1_3genE3ELNS1_11target_archE908ELNS1_3gpuE7ELNS1_3repE0EEENS1_30default_config_static_selectorELNS0_4arch9wavefront6targetE0EEEvSY_.num_agpr, 0
	.set _ZN7rocprim17ROCPRIM_400000_NS6detail17trampoline_kernelINS0_13select_configILj256ELj13ELNS0_17block_load_methodE3ELS4_3ELS4_3ELNS0_20block_scan_algorithmE0ELj4294967295EEENS1_25partition_config_selectorILNS1_17partition_subalgoE3EjNS0_10empty_typeEbEEZZNS1_14partition_implILS8_3ELb0ES6_jNS0_17counting_iteratorIjlEEPS9_SE_NS0_5tupleIJPjSE_EEENSF_IJSE_SE_EEES9_SG_JZNS1_25segmented_radix_sort_implINS0_14default_configELb1EPKhPhPKlPlN2at6native12_GLOBAL__N_18offset_tEEE10hipError_tPvRmT1_PNSt15iterator_traitsISY_E10value_typeET2_T3_PNSZ_IS14_E10value_typeET4_jRbjT5_S1A_jjP12ihipStream_tbEUljE_EEESV_SW_SX_S14_S18_S1A_T6_T7_T9_mT8_S1C_bDpT10_ENKUlT_T0_E_clISt17integral_constantIbLb0EES1P_EEDaS1K_S1L_EUlS1K_E_NS1_11comp_targetILNS1_3genE3ELNS1_11target_archE908ELNS1_3gpuE7ELNS1_3repE0EEENS1_30default_config_static_selectorELNS0_4arch9wavefront6targetE0EEEvSY_.numbered_sgpr, 0
	.set _ZN7rocprim17ROCPRIM_400000_NS6detail17trampoline_kernelINS0_13select_configILj256ELj13ELNS0_17block_load_methodE3ELS4_3ELS4_3ELNS0_20block_scan_algorithmE0ELj4294967295EEENS1_25partition_config_selectorILNS1_17partition_subalgoE3EjNS0_10empty_typeEbEEZZNS1_14partition_implILS8_3ELb0ES6_jNS0_17counting_iteratorIjlEEPS9_SE_NS0_5tupleIJPjSE_EEENSF_IJSE_SE_EEES9_SG_JZNS1_25segmented_radix_sort_implINS0_14default_configELb1EPKhPhPKlPlN2at6native12_GLOBAL__N_18offset_tEEE10hipError_tPvRmT1_PNSt15iterator_traitsISY_E10value_typeET2_T3_PNSZ_IS14_E10value_typeET4_jRbjT5_S1A_jjP12ihipStream_tbEUljE_EEESV_SW_SX_S14_S18_S1A_T6_T7_T9_mT8_S1C_bDpT10_ENKUlT_T0_E_clISt17integral_constantIbLb0EES1P_EEDaS1K_S1L_EUlS1K_E_NS1_11comp_targetILNS1_3genE3ELNS1_11target_archE908ELNS1_3gpuE7ELNS1_3repE0EEENS1_30default_config_static_selectorELNS0_4arch9wavefront6targetE0EEEvSY_.num_named_barrier, 0
	.set _ZN7rocprim17ROCPRIM_400000_NS6detail17trampoline_kernelINS0_13select_configILj256ELj13ELNS0_17block_load_methodE3ELS4_3ELS4_3ELNS0_20block_scan_algorithmE0ELj4294967295EEENS1_25partition_config_selectorILNS1_17partition_subalgoE3EjNS0_10empty_typeEbEEZZNS1_14partition_implILS8_3ELb0ES6_jNS0_17counting_iteratorIjlEEPS9_SE_NS0_5tupleIJPjSE_EEENSF_IJSE_SE_EEES9_SG_JZNS1_25segmented_radix_sort_implINS0_14default_configELb1EPKhPhPKlPlN2at6native12_GLOBAL__N_18offset_tEEE10hipError_tPvRmT1_PNSt15iterator_traitsISY_E10value_typeET2_T3_PNSZ_IS14_E10value_typeET4_jRbjT5_S1A_jjP12ihipStream_tbEUljE_EEESV_SW_SX_S14_S18_S1A_T6_T7_T9_mT8_S1C_bDpT10_ENKUlT_T0_E_clISt17integral_constantIbLb0EES1P_EEDaS1K_S1L_EUlS1K_E_NS1_11comp_targetILNS1_3genE3ELNS1_11target_archE908ELNS1_3gpuE7ELNS1_3repE0EEENS1_30default_config_static_selectorELNS0_4arch9wavefront6targetE0EEEvSY_.private_seg_size, 0
	.set _ZN7rocprim17ROCPRIM_400000_NS6detail17trampoline_kernelINS0_13select_configILj256ELj13ELNS0_17block_load_methodE3ELS4_3ELS4_3ELNS0_20block_scan_algorithmE0ELj4294967295EEENS1_25partition_config_selectorILNS1_17partition_subalgoE3EjNS0_10empty_typeEbEEZZNS1_14partition_implILS8_3ELb0ES6_jNS0_17counting_iteratorIjlEEPS9_SE_NS0_5tupleIJPjSE_EEENSF_IJSE_SE_EEES9_SG_JZNS1_25segmented_radix_sort_implINS0_14default_configELb1EPKhPhPKlPlN2at6native12_GLOBAL__N_18offset_tEEE10hipError_tPvRmT1_PNSt15iterator_traitsISY_E10value_typeET2_T3_PNSZ_IS14_E10value_typeET4_jRbjT5_S1A_jjP12ihipStream_tbEUljE_EEESV_SW_SX_S14_S18_S1A_T6_T7_T9_mT8_S1C_bDpT10_ENKUlT_T0_E_clISt17integral_constantIbLb0EES1P_EEDaS1K_S1L_EUlS1K_E_NS1_11comp_targetILNS1_3genE3ELNS1_11target_archE908ELNS1_3gpuE7ELNS1_3repE0EEENS1_30default_config_static_selectorELNS0_4arch9wavefront6targetE0EEEvSY_.uses_vcc, 0
	.set _ZN7rocprim17ROCPRIM_400000_NS6detail17trampoline_kernelINS0_13select_configILj256ELj13ELNS0_17block_load_methodE3ELS4_3ELS4_3ELNS0_20block_scan_algorithmE0ELj4294967295EEENS1_25partition_config_selectorILNS1_17partition_subalgoE3EjNS0_10empty_typeEbEEZZNS1_14partition_implILS8_3ELb0ES6_jNS0_17counting_iteratorIjlEEPS9_SE_NS0_5tupleIJPjSE_EEENSF_IJSE_SE_EEES9_SG_JZNS1_25segmented_radix_sort_implINS0_14default_configELb1EPKhPhPKlPlN2at6native12_GLOBAL__N_18offset_tEEE10hipError_tPvRmT1_PNSt15iterator_traitsISY_E10value_typeET2_T3_PNSZ_IS14_E10value_typeET4_jRbjT5_S1A_jjP12ihipStream_tbEUljE_EEESV_SW_SX_S14_S18_S1A_T6_T7_T9_mT8_S1C_bDpT10_ENKUlT_T0_E_clISt17integral_constantIbLb0EES1P_EEDaS1K_S1L_EUlS1K_E_NS1_11comp_targetILNS1_3genE3ELNS1_11target_archE908ELNS1_3gpuE7ELNS1_3repE0EEENS1_30default_config_static_selectorELNS0_4arch9wavefront6targetE0EEEvSY_.uses_flat_scratch, 0
	.set _ZN7rocprim17ROCPRIM_400000_NS6detail17trampoline_kernelINS0_13select_configILj256ELj13ELNS0_17block_load_methodE3ELS4_3ELS4_3ELNS0_20block_scan_algorithmE0ELj4294967295EEENS1_25partition_config_selectorILNS1_17partition_subalgoE3EjNS0_10empty_typeEbEEZZNS1_14partition_implILS8_3ELb0ES6_jNS0_17counting_iteratorIjlEEPS9_SE_NS0_5tupleIJPjSE_EEENSF_IJSE_SE_EEES9_SG_JZNS1_25segmented_radix_sort_implINS0_14default_configELb1EPKhPhPKlPlN2at6native12_GLOBAL__N_18offset_tEEE10hipError_tPvRmT1_PNSt15iterator_traitsISY_E10value_typeET2_T3_PNSZ_IS14_E10value_typeET4_jRbjT5_S1A_jjP12ihipStream_tbEUljE_EEESV_SW_SX_S14_S18_S1A_T6_T7_T9_mT8_S1C_bDpT10_ENKUlT_T0_E_clISt17integral_constantIbLb0EES1P_EEDaS1K_S1L_EUlS1K_E_NS1_11comp_targetILNS1_3genE3ELNS1_11target_archE908ELNS1_3gpuE7ELNS1_3repE0EEENS1_30default_config_static_selectorELNS0_4arch9wavefront6targetE0EEEvSY_.has_dyn_sized_stack, 0
	.set _ZN7rocprim17ROCPRIM_400000_NS6detail17trampoline_kernelINS0_13select_configILj256ELj13ELNS0_17block_load_methodE3ELS4_3ELS4_3ELNS0_20block_scan_algorithmE0ELj4294967295EEENS1_25partition_config_selectorILNS1_17partition_subalgoE3EjNS0_10empty_typeEbEEZZNS1_14partition_implILS8_3ELb0ES6_jNS0_17counting_iteratorIjlEEPS9_SE_NS0_5tupleIJPjSE_EEENSF_IJSE_SE_EEES9_SG_JZNS1_25segmented_radix_sort_implINS0_14default_configELb1EPKhPhPKlPlN2at6native12_GLOBAL__N_18offset_tEEE10hipError_tPvRmT1_PNSt15iterator_traitsISY_E10value_typeET2_T3_PNSZ_IS14_E10value_typeET4_jRbjT5_S1A_jjP12ihipStream_tbEUljE_EEESV_SW_SX_S14_S18_S1A_T6_T7_T9_mT8_S1C_bDpT10_ENKUlT_T0_E_clISt17integral_constantIbLb0EES1P_EEDaS1K_S1L_EUlS1K_E_NS1_11comp_targetILNS1_3genE3ELNS1_11target_archE908ELNS1_3gpuE7ELNS1_3repE0EEENS1_30default_config_static_selectorELNS0_4arch9wavefront6targetE0EEEvSY_.has_recursion, 0
	.set _ZN7rocprim17ROCPRIM_400000_NS6detail17trampoline_kernelINS0_13select_configILj256ELj13ELNS0_17block_load_methodE3ELS4_3ELS4_3ELNS0_20block_scan_algorithmE0ELj4294967295EEENS1_25partition_config_selectorILNS1_17partition_subalgoE3EjNS0_10empty_typeEbEEZZNS1_14partition_implILS8_3ELb0ES6_jNS0_17counting_iteratorIjlEEPS9_SE_NS0_5tupleIJPjSE_EEENSF_IJSE_SE_EEES9_SG_JZNS1_25segmented_radix_sort_implINS0_14default_configELb1EPKhPhPKlPlN2at6native12_GLOBAL__N_18offset_tEEE10hipError_tPvRmT1_PNSt15iterator_traitsISY_E10value_typeET2_T3_PNSZ_IS14_E10value_typeET4_jRbjT5_S1A_jjP12ihipStream_tbEUljE_EEESV_SW_SX_S14_S18_S1A_T6_T7_T9_mT8_S1C_bDpT10_ENKUlT_T0_E_clISt17integral_constantIbLb0EES1P_EEDaS1K_S1L_EUlS1K_E_NS1_11comp_targetILNS1_3genE3ELNS1_11target_archE908ELNS1_3gpuE7ELNS1_3repE0EEENS1_30default_config_static_selectorELNS0_4arch9wavefront6targetE0EEEvSY_.has_indirect_call, 0
	.section	.AMDGPU.csdata,"",@progbits
; Kernel info:
; codeLenInByte = 0
; TotalNumSgprs: 0
; NumVgprs: 0
; ScratchSize: 0
; MemoryBound: 0
; FloatMode: 240
; IeeeMode: 1
; LDSByteSize: 0 bytes/workgroup (compile time only)
; SGPRBlocks: 0
; VGPRBlocks: 0
; NumSGPRsForWavesPerEU: 1
; NumVGPRsForWavesPerEU: 1
; Occupancy: 16
; WaveLimiterHint : 0
; COMPUTE_PGM_RSRC2:SCRATCH_EN: 0
; COMPUTE_PGM_RSRC2:USER_SGPR: 2
; COMPUTE_PGM_RSRC2:TRAP_HANDLER: 0
; COMPUTE_PGM_RSRC2:TGID_X_EN: 1
; COMPUTE_PGM_RSRC2:TGID_Y_EN: 0
; COMPUTE_PGM_RSRC2:TGID_Z_EN: 0
; COMPUTE_PGM_RSRC2:TIDIG_COMP_CNT: 0
	.section	.text._ZN7rocprim17ROCPRIM_400000_NS6detail17trampoline_kernelINS0_13select_configILj256ELj13ELNS0_17block_load_methodE3ELS4_3ELS4_3ELNS0_20block_scan_algorithmE0ELj4294967295EEENS1_25partition_config_selectorILNS1_17partition_subalgoE3EjNS0_10empty_typeEbEEZZNS1_14partition_implILS8_3ELb0ES6_jNS0_17counting_iteratorIjlEEPS9_SE_NS0_5tupleIJPjSE_EEENSF_IJSE_SE_EEES9_SG_JZNS1_25segmented_radix_sort_implINS0_14default_configELb1EPKhPhPKlPlN2at6native12_GLOBAL__N_18offset_tEEE10hipError_tPvRmT1_PNSt15iterator_traitsISY_E10value_typeET2_T3_PNSZ_IS14_E10value_typeET4_jRbjT5_S1A_jjP12ihipStream_tbEUljE_EEESV_SW_SX_S14_S18_S1A_T6_T7_T9_mT8_S1C_bDpT10_ENKUlT_T0_E_clISt17integral_constantIbLb0EES1P_EEDaS1K_S1L_EUlS1K_E_NS1_11comp_targetILNS1_3genE2ELNS1_11target_archE906ELNS1_3gpuE6ELNS1_3repE0EEENS1_30default_config_static_selectorELNS0_4arch9wavefront6targetE0EEEvSY_,"axG",@progbits,_ZN7rocprim17ROCPRIM_400000_NS6detail17trampoline_kernelINS0_13select_configILj256ELj13ELNS0_17block_load_methodE3ELS4_3ELS4_3ELNS0_20block_scan_algorithmE0ELj4294967295EEENS1_25partition_config_selectorILNS1_17partition_subalgoE3EjNS0_10empty_typeEbEEZZNS1_14partition_implILS8_3ELb0ES6_jNS0_17counting_iteratorIjlEEPS9_SE_NS0_5tupleIJPjSE_EEENSF_IJSE_SE_EEES9_SG_JZNS1_25segmented_radix_sort_implINS0_14default_configELb1EPKhPhPKlPlN2at6native12_GLOBAL__N_18offset_tEEE10hipError_tPvRmT1_PNSt15iterator_traitsISY_E10value_typeET2_T3_PNSZ_IS14_E10value_typeET4_jRbjT5_S1A_jjP12ihipStream_tbEUljE_EEESV_SW_SX_S14_S18_S1A_T6_T7_T9_mT8_S1C_bDpT10_ENKUlT_T0_E_clISt17integral_constantIbLb0EES1P_EEDaS1K_S1L_EUlS1K_E_NS1_11comp_targetILNS1_3genE2ELNS1_11target_archE906ELNS1_3gpuE6ELNS1_3repE0EEENS1_30default_config_static_selectorELNS0_4arch9wavefront6targetE0EEEvSY_,comdat
	.globl	_ZN7rocprim17ROCPRIM_400000_NS6detail17trampoline_kernelINS0_13select_configILj256ELj13ELNS0_17block_load_methodE3ELS4_3ELS4_3ELNS0_20block_scan_algorithmE0ELj4294967295EEENS1_25partition_config_selectorILNS1_17partition_subalgoE3EjNS0_10empty_typeEbEEZZNS1_14partition_implILS8_3ELb0ES6_jNS0_17counting_iteratorIjlEEPS9_SE_NS0_5tupleIJPjSE_EEENSF_IJSE_SE_EEES9_SG_JZNS1_25segmented_radix_sort_implINS0_14default_configELb1EPKhPhPKlPlN2at6native12_GLOBAL__N_18offset_tEEE10hipError_tPvRmT1_PNSt15iterator_traitsISY_E10value_typeET2_T3_PNSZ_IS14_E10value_typeET4_jRbjT5_S1A_jjP12ihipStream_tbEUljE_EEESV_SW_SX_S14_S18_S1A_T6_T7_T9_mT8_S1C_bDpT10_ENKUlT_T0_E_clISt17integral_constantIbLb0EES1P_EEDaS1K_S1L_EUlS1K_E_NS1_11comp_targetILNS1_3genE2ELNS1_11target_archE906ELNS1_3gpuE6ELNS1_3repE0EEENS1_30default_config_static_selectorELNS0_4arch9wavefront6targetE0EEEvSY_ ; -- Begin function _ZN7rocprim17ROCPRIM_400000_NS6detail17trampoline_kernelINS0_13select_configILj256ELj13ELNS0_17block_load_methodE3ELS4_3ELS4_3ELNS0_20block_scan_algorithmE0ELj4294967295EEENS1_25partition_config_selectorILNS1_17partition_subalgoE3EjNS0_10empty_typeEbEEZZNS1_14partition_implILS8_3ELb0ES6_jNS0_17counting_iteratorIjlEEPS9_SE_NS0_5tupleIJPjSE_EEENSF_IJSE_SE_EEES9_SG_JZNS1_25segmented_radix_sort_implINS0_14default_configELb1EPKhPhPKlPlN2at6native12_GLOBAL__N_18offset_tEEE10hipError_tPvRmT1_PNSt15iterator_traitsISY_E10value_typeET2_T3_PNSZ_IS14_E10value_typeET4_jRbjT5_S1A_jjP12ihipStream_tbEUljE_EEESV_SW_SX_S14_S18_S1A_T6_T7_T9_mT8_S1C_bDpT10_ENKUlT_T0_E_clISt17integral_constantIbLb0EES1P_EEDaS1K_S1L_EUlS1K_E_NS1_11comp_targetILNS1_3genE2ELNS1_11target_archE906ELNS1_3gpuE6ELNS1_3repE0EEENS1_30default_config_static_selectorELNS0_4arch9wavefront6targetE0EEEvSY_
	.p2align	8
	.type	_ZN7rocprim17ROCPRIM_400000_NS6detail17trampoline_kernelINS0_13select_configILj256ELj13ELNS0_17block_load_methodE3ELS4_3ELS4_3ELNS0_20block_scan_algorithmE0ELj4294967295EEENS1_25partition_config_selectorILNS1_17partition_subalgoE3EjNS0_10empty_typeEbEEZZNS1_14partition_implILS8_3ELb0ES6_jNS0_17counting_iteratorIjlEEPS9_SE_NS0_5tupleIJPjSE_EEENSF_IJSE_SE_EEES9_SG_JZNS1_25segmented_radix_sort_implINS0_14default_configELb1EPKhPhPKlPlN2at6native12_GLOBAL__N_18offset_tEEE10hipError_tPvRmT1_PNSt15iterator_traitsISY_E10value_typeET2_T3_PNSZ_IS14_E10value_typeET4_jRbjT5_S1A_jjP12ihipStream_tbEUljE_EEESV_SW_SX_S14_S18_S1A_T6_T7_T9_mT8_S1C_bDpT10_ENKUlT_T0_E_clISt17integral_constantIbLb0EES1P_EEDaS1K_S1L_EUlS1K_E_NS1_11comp_targetILNS1_3genE2ELNS1_11target_archE906ELNS1_3gpuE6ELNS1_3repE0EEENS1_30default_config_static_selectorELNS0_4arch9wavefront6targetE0EEEvSY_,@function
_ZN7rocprim17ROCPRIM_400000_NS6detail17trampoline_kernelINS0_13select_configILj256ELj13ELNS0_17block_load_methodE3ELS4_3ELS4_3ELNS0_20block_scan_algorithmE0ELj4294967295EEENS1_25partition_config_selectorILNS1_17partition_subalgoE3EjNS0_10empty_typeEbEEZZNS1_14partition_implILS8_3ELb0ES6_jNS0_17counting_iteratorIjlEEPS9_SE_NS0_5tupleIJPjSE_EEENSF_IJSE_SE_EEES9_SG_JZNS1_25segmented_radix_sort_implINS0_14default_configELb1EPKhPhPKlPlN2at6native12_GLOBAL__N_18offset_tEEE10hipError_tPvRmT1_PNSt15iterator_traitsISY_E10value_typeET2_T3_PNSZ_IS14_E10value_typeET4_jRbjT5_S1A_jjP12ihipStream_tbEUljE_EEESV_SW_SX_S14_S18_S1A_T6_T7_T9_mT8_S1C_bDpT10_ENKUlT_T0_E_clISt17integral_constantIbLb0EES1P_EEDaS1K_S1L_EUlS1K_E_NS1_11comp_targetILNS1_3genE2ELNS1_11target_archE906ELNS1_3gpuE6ELNS1_3repE0EEENS1_30default_config_static_selectorELNS0_4arch9wavefront6targetE0EEEvSY_: ; @_ZN7rocprim17ROCPRIM_400000_NS6detail17trampoline_kernelINS0_13select_configILj256ELj13ELNS0_17block_load_methodE3ELS4_3ELS4_3ELNS0_20block_scan_algorithmE0ELj4294967295EEENS1_25partition_config_selectorILNS1_17partition_subalgoE3EjNS0_10empty_typeEbEEZZNS1_14partition_implILS8_3ELb0ES6_jNS0_17counting_iteratorIjlEEPS9_SE_NS0_5tupleIJPjSE_EEENSF_IJSE_SE_EEES9_SG_JZNS1_25segmented_radix_sort_implINS0_14default_configELb1EPKhPhPKlPlN2at6native12_GLOBAL__N_18offset_tEEE10hipError_tPvRmT1_PNSt15iterator_traitsISY_E10value_typeET2_T3_PNSZ_IS14_E10value_typeET4_jRbjT5_S1A_jjP12ihipStream_tbEUljE_EEESV_SW_SX_S14_S18_S1A_T6_T7_T9_mT8_S1C_bDpT10_ENKUlT_T0_E_clISt17integral_constantIbLb0EES1P_EEDaS1K_S1L_EUlS1K_E_NS1_11comp_targetILNS1_3genE2ELNS1_11target_archE906ELNS1_3gpuE6ELNS1_3repE0EEENS1_30default_config_static_selectorELNS0_4arch9wavefront6targetE0EEEvSY_
; %bb.0:
	.section	.rodata,"a",@progbits
	.p2align	6, 0x0
	.amdhsa_kernel _ZN7rocprim17ROCPRIM_400000_NS6detail17trampoline_kernelINS0_13select_configILj256ELj13ELNS0_17block_load_methodE3ELS4_3ELS4_3ELNS0_20block_scan_algorithmE0ELj4294967295EEENS1_25partition_config_selectorILNS1_17partition_subalgoE3EjNS0_10empty_typeEbEEZZNS1_14partition_implILS8_3ELb0ES6_jNS0_17counting_iteratorIjlEEPS9_SE_NS0_5tupleIJPjSE_EEENSF_IJSE_SE_EEES9_SG_JZNS1_25segmented_radix_sort_implINS0_14default_configELb1EPKhPhPKlPlN2at6native12_GLOBAL__N_18offset_tEEE10hipError_tPvRmT1_PNSt15iterator_traitsISY_E10value_typeET2_T3_PNSZ_IS14_E10value_typeET4_jRbjT5_S1A_jjP12ihipStream_tbEUljE_EEESV_SW_SX_S14_S18_S1A_T6_T7_T9_mT8_S1C_bDpT10_ENKUlT_T0_E_clISt17integral_constantIbLb0EES1P_EEDaS1K_S1L_EUlS1K_E_NS1_11comp_targetILNS1_3genE2ELNS1_11target_archE906ELNS1_3gpuE6ELNS1_3repE0EEENS1_30default_config_static_selectorELNS0_4arch9wavefront6targetE0EEEvSY_
		.amdhsa_group_segment_fixed_size 0
		.amdhsa_private_segment_fixed_size 0
		.amdhsa_kernarg_size 144
		.amdhsa_user_sgpr_count 2
		.amdhsa_user_sgpr_dispatch_ptr 0
		.amdhsa_user_sgpr_queue_ptr 0
		.amdhsa_user_sgpr_kernarg_segment_ptr 1
		.amdhsa_user_sgpr_dispatch_id 0
		.amdhsa_user_sgpr_private_segment_size 0
		.amdhsa_wavefront_size32 1
		.amdhsa_uses_dynamic_stack 0
		.amdhsa_enable_private_segment 0
		.amdhsa_system_sgpr_workgroup_id_x 1
		.amdhsa_system_sgpr_workgroup_id_y 0
		.amdhsa_system_sgpr_workgroup_id_z 0
		.amdhsa_system_sgpr_workgroup_info 0
		.amdhsa_system_vgpr_workitem_id 0
		.amdhsa_next_free_vgpr 1
		.amdhsa_next_free_sgpr 1
		.amdhsa_reserve_vcc 0
		.amdhsa_float_round_mode_32 0
		.amdhsa_float_round_mode_16_64 0
		.amdhsa_float_denorm_mode_32 3
		.amdhsa_float_denorm_mode_16_64 3
		.amdhsa_fp16_overflow 0
		.amdhsa_workgroup_processor_mode 1
		.amdhsa_memory_ordered 1
		.amdhsa_forward_progress 1
		.amdhsa_inst_pref_size 0
		.amdhsa_round_robin_scheduling 0
		.amdhsa_exception_fp_ieee_invalid_op 0
		.amdhsa_exception_fp_denorm_src 0
		.amdhsa_exception_fp_ieee_div_zero 0
		.amdhsa_exception_fp_ieee_overflow 0
		.amdhsa_exception_fp_ieee_underflow 0
		.amdhsa_exception_fp_ieee_inexact 0
		.amdhsa_exception_int_div_zero 0
	.end_amdhsa_kernel
	.section	.text._ZN7rocprim17ROCPRIM_400000_NS6detail17trampoline_kernelINS0_13select_configILj256ELj13ELNS0_17block_load_methodE3ELS4_3ELS4_3ELNS0_20block_scan_algorithmE0ELj4294967295EEENS1_25partition_config_selectorILNS1_17partition_subalgoE3EjNS0_10empty_typeEbEEZZNS1_14partition_implILS8_3ELb0ES6_jNS0_17counting_iteratorIjlEEPS9_SE_NS0_5tupleIJPjSE_EEENSF_IJSE_SE_EEES9_SG_JZNS1_25segmented_radix_sort_implINS0_14default_configELb1EPKhPhPKlPlN2at6native12_GLOBAL__N_18offset_tEEE10hipError_tPvRmT1_PNSt15iterator_traitsISY_E10value_typeET2_T3_PNSZ_IS14_E10value_typeET4_jRbjT5_S1A_jjP12ihipStream_tbEUljE_EEESV_SW_SX_S14_S18_S1A_T6_T7_T9_mT8_S1C_bDpT10_ENKUlT_T0_E_clISt17integral_constantIbLb0EES1P_EEDaS1K_S1L_EUlS1K_E_NS1_11comp_targetILNS1_3genE2ELNS1_11target_archE906ELNS1_3gpuE6ELNS1_3repE0EEENS1_30default_config_static_selectorELNS0_4arch9wavefront6targetE0EEEvSY_,"axG",@progbits,_ZN7rocprim17ROCPRIM_400000_NS6detail17trampoline_kernelINS0_13select_configILj256ELj13ELNS0_17block_load_methodE3ELS4_3ELS4_3ELNS0_20block_scan_algorithmE0ELj4294967295EEENS1_25partition_config_selectorILNS1_17partition_subalgoE3EjNS0_10empty_typeEbEEZZNS1_14partition_implILS8_3ELb0ES6_jNS0_17counting_iteratorIjlEEPS9_SE_NS0_5tupleIJPjSE_EEENSF_IJSE_SE_EEES9_SG_JZNS1_25segmented_radix_sort_implINS0_14default_configELb1EPKhPhPKlPlN2at6native12_GLOBAL__N_18offset_tEEE10hipError_tPvRmT1_PNSt15iterator_traitsISY_E10value_typeET2_T3_PNSZ_IS14_E10value_typeET4_jRbjT5_S1A_jjP12ihipStream_tbEUljE_EEESV_SW_SX_S14_S18_S1A_T6_T7_T9_mT8_S1C_bDpT10_ENKUlT_T0_E_clISt17integral_constantIbLb0EES1P_EEDaS1K_S1L_EUlS1K_E_NS1_11comp_targetILNS1_3genE2ELNS1_11target_archE906ELNS1_3gpuE6ELNS1_3repE0EEENS1_30default_config_static_selectorELNS0_4arch9wavefront6targetE0EEEvSY_,comdat
.Lfunc_end52:
	.size	_ZN7rocprim17ROCPRIM_400000_NS6detail17trampoline_kernelINS0_13select_configILj256ELj13ELNS0_17block_load_methodE3ELS4_3ELS4_3ELNS0_20block_scan_algorithmE0ELj4294967295EEENS1_25partition_config_selectorILNS1_17partition_subalgoE3EjNS0_10empty_typeEbEEZZNS1_14partition_implILS8_3ELb0ES6_jNS0_17counting_iteratorIjlEEPS9_SE_NS0_5tupleIJPjSE_EEENSF_IJSE_SE_EEES9_SG_JZNS1_25segmented_radix_sort_implINS0_14default_configELb1EPKhPhPKlPlN2at6native12_GLOBAL__N_18offset_tEEE10hipError_tPvRmT1_PNSt15iterator_traitsISY_E10value_typeET2_T3_PNSZ_IS14_E10value_typeET4_jRbjT5_S1A_jjP12ihipStream_tbEUljE_EEESV_SW_SX_S14_S18_S1A_T6_T7_T9_mT8_S1C_bDpT10_ENKUlT_T0_E_clISt17integral_constantIbLb0EES1P_EEDaS1K_S1L_EUlS1K_E_NS1_11comp_targetILNS1_3genE2ELNS1_11target_archE906ELNS1_3gpuE6ELNS1_3repE0EEENS1_30default_config_static_selectorELNS0_4arch9wavefront6targetE0EEEvSY_, .Lfunc_end52-_ZN7rocprim17ROCPRIM_400000_NS6detail17trampoline_kernelINS0_13select_configILj256ELj13ELNS0_17block_load_methodE3ELS4_3ELS4_3ELNS0_20block_scan_algorithmE0ELj4294967295EEENS1_25partition_config_selectorILNS1_17partition_subalgoE3EjNS0_10empty_typeEbEEZZNS1_14partition_implILS8_3ELb0ES6_jNS0_17counting_iteratorIjlEEPS9_SE_NS0_5tupleIJPjSE_EEENSF_IJSE_SE_EEES9_SG_JZNS1_25segmented_radix_sort_implINS0_14default_configELb1EPKhPhPKlPlN2at6native12_GLOBAL__N_18offset_tEEE10hipError_tPvRmT1_PNSt15iterator_traitsISY_E10value_typeET2_T3_PNSZ_IS14_E10value_typeET4_jRbjT5_S1A_jjP12ihipStream_tbEUljE_EEESV_SW_SX_S14_S18_S1A_T6_T7_T9_mT8_S1C_bDpT10_ENKUlT_T0_E_clISt17integral_constantIbLb0EES1P_EEDaS1K_S1L_EUlS1K_E_NS1_11comp_targetILNS1_3genE2ELNS1_11target_archE906ELNS1_3gpuE6ELNS1_3repE0EEENS1_30default_config_static_selectorELNS0_4arch9wavefront6targetE0EEEvSY_
                                        ; -- End function
	.set _ZN7rocprim17ROCPRIM_400000_NS6detail17trampoline_kernelINS0_13select_configILj256ELj13ELNS0_17block_load_methodE3ELS4_3ELS4_3ELNS0_20block_scan_algorithmE0ELj4294967295EEENS1_25partition_config_selectorILNS1_17partition_subalgoE3EjNS0_10empty_typeEbEEZZNS1_14partition_implILS8_3ELb0ES6_jNS0_17counting_iteratorIjlEEPS9_SE_NS0_5tupleIJPjSE_EEENSF_IJSE_SE_EEES9_SG_JZNS1_25segmented_radix_sort_implINS0_14default_configELb1EPKhPhPKlPlN2at6native12_GLOBAL__N_18offset_tEEE10hipError_tPvRmT1_PNSt15iterator_traitsISY_E10value_typeET2_T3_PNSZ_IS14_E10value_typeET4_jRbjT5_S1A_jjP12ihipStream_tbEUljE_EEESV_SW_SX_S14_S18_S1A_T6_T7_T9_mT8_S1C_bDpT10_ENKUlT_T0_E_clISt17integral_constantIbLb0EES1P_EEDaS1K_S1L_EUlS1K_E_NS1_11comp_targetILNS1_3genE2ELNS1_11target_archE906ELNS1_3gpuE6ELNS1_3repE0EEENS1_30default_config_static_selectorELNS0_4arch9wavefront6targetE0EEEvSY_.num_vgpr, 0
	.set _ZN7rocprim17ROCPRIM_400000_NS6detail17trampoline_kernelINS0_13select_configILj256ELj13ELNS0_17block_load_methodE3ELS4_3ELS4_3ELNS0_20block_scan_algorithmE0ELj4294967295EEENS1_25partition_config_selectorILNS1_17partition_subalgoE3EjNS0_10empty_typeEbEEZZNS1_14partition_implILS8_3ELb0ES6_jNS0_17counting_iteratorIjlEEPS9_SE_NS0_5tupleIJPjSE_EEENSF_IJSE_SE_EEES9_SG_JZNS1_25segmented_radix_sort_implINS0_14default_configELb1EPKhPhPKlPlN2at6native12_GLOBAL__N_18offset_tEEE10hipError_tPvRmT1_PNSt15iterator_traitsISY_E10value_typeET2_T3_PNSZ_IS14_E10value_typeET4_jRbjT5_S1A_jjP12ihipStream_tbEUljE_EEESV_SW_SX_S14_S18_S1A_T6_T7_T9_mT8_S1C_bDpT10_ENKUlT_T0_E_clISt17integral_constantIbLb0EES1P_EEDaS1K_S1L_EUlS1K_E_NS1_11comp_targetILNS1_3genE2ELNS1_11target_archE906ELNS1_3gpuE6ELNS1_3repE0EEENS1_30default_config_static_selectorELNS0_4arch9wavefront6targetE0EEEvSY_.num_agpr, 0
	.set _ZN7rocprim17ROCPRIM_400000_NS6detail17trampoline_kernelINS0_13select_configILj256ELj13ELNS0_17block_load_methodE3ELS4_3ELS4_3ELNS0_20block_scan_algorithmE0ELj4294967295EEENS1_25partition_config_selectorILNS1_17partition_subalgoE3EjNS0_10empty_typeEbEEZZNS1_14partition_implILS8_3ELb0ES6_jNS0_17counting_iteratorIjlEEPS9_SE_NS0_5tupleIJPjSE_EEENSF_IJSE_SE_EEES9_SG_JZNS1_25segmented_radix_sort_implINS0_14default_configELb1EPKhPhPKlPlN2at6native12_GLOBAL__N_18offset_tEEE10hipError_tPvRmT1_PNSt15iterator_traitsISY_E10value_typeET2_T3_PNSZ_IS14_E10value_typeET4_jRbjT5_S1A_jjP12ihipStream_tbEUljE_EEESV_SW_SX_S14_S18_S1A_T6_T7_T9_mT8_S1C_bDpT10_ENKUlT_T0_E_clISt17integral_constantIbLb0EES1P_EEDaS1K_S1L_EUlS1K_E_NS1_11comp_targetILNS1_3genE2ELNS1_11target_archE906ELNS1_3gpuE6ELNS1_3repE0EEENS1_30default_config_static_selectorELNS0_4arch9wavefront6targetE0EEEvSY_.numbered_sgpr, 0
	.set _ZN7rocprim17ROCPRIM_400000_NS6detail17trampoline_kernelINS0_13select_configILj256ELj13ELNS0_17block_load_methodE3ELS4_3ELS4_3ELNS0_20block_scan_algorithmE0ELj4294967295EEENS1_25partition_config_selectorILNS1_17partition_subalgoE3EjNS0_10empty_typeEbEEZZNS1_14partition_implILS8_3ELb0ES6_jNS0_17counting_iteratorIjlEEPS9_SE_NS0_5tupleIJPjSE_EEENSF_IJSE_SE_EEES9_SG_JZNS1_25segmented_radix_sort_implINS0_14default_configELb1EPKhPhPKlPlN2at6native12_GLOBAL__N_18offset_tEEE10hipError_tPvRmT1_PNSt15iterator_traitsISY_E10value_typeET2_T3_PNSZ_IS14_E10value_typeET4_jRbjT5_S1A_jjP12ihipStream_tbEUljE_EEESV_SW_SX_S14_S18_S1A_T6_T7_T9_mT8_S1C_bDpT10_ENKUlT_T0_E_clISt17integral_constantIbLb0EES1P_EEDaS1K_S1L_EUlS1K_E_NS1_11comp_targetILNS1_3genE2ELNS1_11target_archE906ELNS1_3gpuE6ELNS1_3repE0EEENS1_30default_config_static_selectorELNS0_4arch9wavefront6targetE0EEEvSY_.num_named_barrier, 0
	.set _ZN7rocprim17ROCPRIM_400000_NS6detail17trampoline_kernelINS0_13select_configILj256ELj13ELNS0_17block_load_methodE3ELS4_3ELS4_3ELNS0_20block_scan_algorithmE0ELj4294967295EEENS1_25partition_config_selectorILNS1_17partition_subalgoE3EjNS0_10empty_typeEbEEZZNS1_14partition_implILS8_3ELb0ES6_jNS0_17counting_iteratorIjlEEPS9_SE_NS0_5tupleIJPjSE_EEENSF_IJSE_SE_EEES9_SG_JZNS1_25segmented_radix_sort_implINS0_14default_configELb1EPKhPhPKlPlN2at6native12_GLOBAL__N_18offset_tEEE10hipError_tPvRmT1_PNSt15iterator_traitsISY_E10value_typeET2_T3_PNSZ_IS14_E10value_typeET4_jRbjT5_S1A_jjP12ihipStream_tbEUljE_EEESV_SW_SX_S14_S18_S1A_T6_T7_T9_mT8_S1C_bDpT10_ENKUlT_T0_E_clISt17integral_constantIbLb0EES1P_EEDaS1K_S1L_EUlS1K_E_NS1_11comp_targetILNS1_3genE2ELNS1_11target_archE906ELNS1_3gpuE6ELNS1_3repE0EEENS1_30default_config_static_selectorELNS0_4arch9wavefront6targetE0EEEvSY_.private_seg_size, 0
	.set _ZN7rocprim17ROCPRIM_400000_NS6detail17trampoline_kernelINS0_13select_configILj256ELj13ELNS0_17block_load_methodE3ELS4_3ELS4_3ELNS0_20block_scan_algorithmE0ELj4294967295EEENS1_25partition_config_selectorILNS1_17partition_subalgoE3EjNS0_10empty_typeEbEEZZNS1_14partition_implILS8_3ELb0ES6_jNS0_17counting_iteratorIjlEEPS9_SE_NS0_5tupleIJPjSE_EEENSF_IJSE_SE_EEES9_SG_JZNS1_25segmented_radix_sort_implINS0_14default_configELb1EPKhPhPKlPlN2at6native12_GLOBAL__N_18offset_tEEE10hipError_tPvRmT1_PNSt15iterator_traitsISY_E10value_typeET2_T3_PNSZ_IS14_E10value_typeET4_jRbjT5_S1A_jjP12ihipStream_tbEUljE_EEESV_SW_SX_S14_S18_S1A_T6_T7_T9_mT8_S1C_bDpT10_ENKUlT_T0_E_clISt17integral_constantIbLb0EES1P_EEDaS1K_S1L_EUlS1K_E_NS1_11comp_targetILNS1_3genE2ELNS1_11target_archE906ELNS1_3gpuE6ELNS1_3repE0EEENS1_30default_config_static_selectorELNS0_4arch9wavefront6targetE0EEEvSY_.uses_vcc, 0
	.set _ZN7rocprim17ROCPRIM_400000_NS6detail17trampoline_kernelINS0_13select_configILj256ELj13ELNS0_17block_load_methodE3ELS4_3ELS4_3ELNS0_20block_scan_algorithmE0ELj4294967295EEENS1_25partition_config_selectorILNS1_17partition_subalgoE3EjNS0_10empty_typeEbEEZZNS1_14partition_implILS8_3ELb0ES6_jNS0_17counting_iteratorIjlEEPS9_SE_NS0_5tupleIJPjSE_EEENSF_IJSE_SE_EEES9_SG_JZNS1_25segmented_radix_sort_implINS0_14default_configELb1EPKhPhPKlPlN2at6native12_GLOBAL__N_18offset_tEEE10hipError_tPvRmT1_PNSt15iterator_traitsISY_E10value_typeET2_T3_PNSZ_IS14_E10value_typeET4_jRbjT5_S1A_jjP12ihipStream_tbEUljE_EEESV_SW_SX_S14_S18_S1A_T6_T7_T9_mT8_S1C_bDpT10_ENKUlT_T0_E_clISt17integral_constantIbLb0EES1P_EEDaS1K_S1L_EUlS1K_E_NS1_11comp_targetILNS1_3genE2ELNS1_11target_archE906ELNS1_3gpuE6ELNS1_3repE0EEENS1_30default_config_static_selectorELNS0_4arch9wavefront6targetE0EEEvSY_.uses_flat_scratch, 0
	.set _ZN7rocprim17ROCPRIM_400000_NS6detail17trampoline_kernelINS0_13select_configILj256ELj13ELNS0_17block_load_methodE3ELS4_3ELS4_3ELNS0_20block_scan_algorithmE0ELj4294967295EEENS1_25partition_config_selectorILNS1_17partition_subalgoE3EjNS0_10empty_typeEbEEZZNS1_14partition_implILS8_3ELb0ES6_jNS0_17counting_iteratorIjlEEPS9_SE_NS0_5tupleIJPjSE_EEENSF_IJSE_SE_EEES9_SG_JZNS1_25segmented_radix_sort_implINS0_14default_configELb1EPKhPhPKlPlN2at6native12_GLOBAL__N_18offset_tEEE10hipError_tPvRmT1_PNSt15iterator_traitsISY_E10value_typeET2_T3_PNSZ_IS14_E10value_typeET4_jRbjT5_S1A_jjP12ihipStream_tbEUljE_EEESV_SW_SX_S14_S18_S1A_T6_T7_T9_mT8_S1C_bDpT10_ENKUlT_T0_E_clISt17integral_constantIbLb0EES1P_EEDaS1K_S1L_EUlS1K_E_NS1_11comp_targetILNS1_3genE2ELNS1_11target_archE906ELNS1_3gpuE6ELNS1_3repE0EEENS1_30default_config_static_selectorELNS0_4arch9wavefront6targetE0EEEvSY_.has_dyn_sized_stack, 0
	.set _ZN7rocprim17ROCPRIM_400000_NS6detail17trampoline_kernelINS0_13select_configILj256ELj13ELNS0_17block_load_methodE3ELS4_3ELS4_3ELNS0_20block_scan_algorithmE0ELj4294967295EEENS1_25partition_config_selectorILNS1_17partition_subalgoE3EjNS0_10empty_typeEbEEZZNS1_14partition_implILS8_3ELb0ES6_jNS0_17counting_iteratorIjlEEPS9_SE_NS0_5tupleIJPjSE_EEENSF_IJSE_SE_EEES9_SG_JZNS1_25segmented_radix_sort_implINS0_14default_configELb1EPKhPhPKlPlN2at6native12_GLOBAL__N_18offset_tEEE10hipError_tPvRmT1_PNSt15iterator_traitsISY_E10value_typeET2_T3_PNSZ_IS14_E10value_typeET4_jRbjT5_S1A_jjP12ihipStream_tbEUljE_EEESV_SW_SX_S14_S18_S1A_T6_T7_T9_mT8_S1C_bDpT10_ENKUlT_T0_E_clISt17integral_constantIbLb0EES1P_EEDaS1K_S1L_EUlS1K_E_NS1_11comp_targetILNS1_3genE2ELNS1_11target_archE906ELNS1_3gpuE6ELNS1_3repE0EEENS1_30default_config_static_selectorELNS0_4arch9wavefront6targetE0EEEvSY_.has_recursion, 0
	.set _ZN7rocprim17ROCPRIM_400000_NS6detail17trampoline_kernelINS0_13select_configILj256ELj13ELNS0_17block_load_methodE3ELS4_3ELS4_3ELNS0_20block_scan_algorithmE0ELj4294967295EEENS1_25partition_config_selectorILNS1_17partition_subalgoE3EjNS0_10empty_typeEbEEZZNS1_14partition_implILS8_3ELb0ES6_jNS0_17counting_iteratorIjlEEPS9_SE_NS0_5tupleIJPjSE_EEENSF_IJSE_SE_EEES9_SG_JZNS1_25segmented_radix_sort_implINS0_14default_configELb1EPKhPhPKlPlN2at6native12_GLOBAL__N_18offset_tEEE10hipError_tPvRmT1_PNSt15iterator_traitsISY_E10value_typeET2_T3_PNSZ_IS14_E10value_typeET4_jRbjT5_S1A_jjP12ihipStream_tbEUljE_EEESV_SW_SX_S14_S18_S1A_T6_T7_T9_mT8_S1C_bDpT10_ENKUlT_T0_E_clISt17integral_constantIbLb0EES1P_EEDaS1K_S1L_EUlS1K_E_NS1_11comp_targetILNS1_3genE2ELNS1_11target_archE906ELNS1_3gpuE6ELNS1_3repE0EEENS1_30default_config_static_selectorELNS0_4arch9wavefront6targetE0EEEvSY_.has_indirect_call, 0
	.section	.AMDGPU.csdata,"",@progbits
; Kernel info:
; codeLenInByte = 0
; TotalNumSgprs: 0
; NumVgprs: 0
; ScratchSize: 0
; MemoryBound: 0
; FloatMode: 240
; IeeeMode: 1
; LDSByteSize: 0 bytes/workgroup (compile time only)
; SGPRBlocks: 0
; VGPRBlocks: 0
; NumSGPRsForWavesPerEU: 1
; NumVGPRsForWavesPerEU: 1
; Occupancy: 16
; WaveLimiterHint : 0
; COMPUTE_PGM_RSRC2:SCRATCH_EN: 0
; COMPUTE_PGM_RSRC2:USER_SGPR: 2
; COMPUTE_PGM_RSRC2:TRAP_HANDLER: 0
; COMPUTE_PGM_RSRC2:TGID_X_EN: 1
; COMPUTE_PGM_RSRC2:TGID_Y_EN: 0
; COMPUTE_PGM_RSRC2:TGID_Z_EN: 0
; COMPUTE_PGM_RSRC2:TIDIG_COMP_CNT: 0
	.section	.text._ZN7rocprim17ROCPRIM_400000_NS6detail17trampoline_kernelINS0_13select_configILj256ELj13ELNS0_17block_load_methodE3ELS4_3ELS4_3ELNS0_20block_scan_algorithmE0ELj4294967295EEENS1_25partition_config_selectorILNS1_17partition_subalgoE3EjNS0_10empty_typeEbEEZZNS1_14partition_implILS8_3ELb0ES6_jNS0_17counting_iteratorIjlEEPS9_SE_NS0_5tupleIJPjSE_EEENSF_IJSE_SE_EEES9_SG_JZNS1_25segmented_radix_sort_implINS0_14default_configELb1EPKhPhPKlPlN2at6native12_GLOBAL__N_18offset_tEEE10hipError_tPvRmT1_PNSt15iterator_traitsISY_E10value_typeET2_T3_PNSZ_IS14_E10value_typeET4_jRbjT5_S1A_jjP12ihipStream_tbEUljE_EEESV_SW_SX_S14_S18_S1A_T6_T7_T9_mT8_S1C_bDpT10_ENKUlT_T0_E_clISt17integral_constantIbLb0EES1P_EEDaS1K_S1L_EUlS1K_E_NS1_11comp_targetILNS1_3genE10ELNS1_11target_archE1200ELNS1_3gpuE4ELNS1_3repE0EEENS1_30default_config_static_selectorELNS0_4arch9wavefront6targetE0EEEvSY_,"axG",@progbits,_ZN7rocprim17ROCPRIM_400000_NS6detail17trampoline_kernelINS0_13select_configILj256ELj13ELNS0_17block_load_methodE3ELS4_3ELS4_3ELNS0_20block_scan_algorithmE0ELj4294967295EEENS1_25partition_config_selectorILNS1_17partition_subalgoE3EjNS0_10empty_typeEbEEZZNS1_14partition_implILS8_3ELb0ES6_jNS0_17counting_iteratorIjlEEPS9_SE_NS0_5tupleIJPjSE_EEENSF_IJSE_SE_EEES9_SG_JZNS1_25segmented_radix_sort_implINS0_14default_configELb1EPKhPhPKlPlN2at6native12_GLOBAL__N_18offset_tEEE10hipError_tPvRmT1_PNSt15iterator_traitsISY_E10value_typeET2_T3_PNSZ_IS14_E10value_typeET4_jRbjT5_S1A_jjP12ihipStream_tbEUljE_EEESV_SW_SX_S14_S18_S1A_T6_T7_T9_mT8_S1C_bDpT10_ENKUlT_T0_E_clISt17integral_constantIbLb0EES1P_EEDaS1K_S1L_EUlS1K_E_NS1_11comp_targetILNS1_3genE10ELNS1_11target_archE1200ELNS1_3gpuE4ELNS1_3repE0EEENS1_30default_config_static_selectorELNS0_4arch9wavefront6targetE0EEEvSY_,comdat
	.globl	_ZN7rocprim17ROCPRIM_400000_NS6detail17trampoline_kernelINS0_13select_configILj256ELj13ELNS0_17block_load_methodE3ELS4_3ELS4_3ELNS0_20block_scan_algorithmE0ELj4294967295EEENS1_25partition_config_selectorILNS1_17partition_subalgoE3EjNS0_10empty_typeEbEEZZNS1_14partition_implILS8_3ELb0ES6_jNS0_17counting_iteratorIjlEEPS9_SE_NS0_5tupleIJPjSE_EEENSF_IJSE_SE_EEES9_SG_JZNS1_25segmented_radix_sort_implINS0_14default_configELb1EPKhPhPKlPlN2at6native12_GLOBAL__N_18offset_tEEE10hipError_tPvRmT1_PNSt15iterator_traitsISY_E10value_typeET2_T3_PNSZ_IS14_E10value_typeET4_jRbjT5_S1A_jjP12ihipStream_tbEUljE_EEESV_SW_SX_S14_S18_S1A_T6_T7_T9_mT8_S1C_bDpT10_ENKUlT_T0_E_clISt17integral_constantIbLb0EES1P_EEDaS1K_S1L_EUlS1K_E_NS1_11comp_targetILNS1_3genE10ELNS1_11target_archE1200ELNS1_3gpuE4ELNS1_3repE0EEENS1_30default_config_static_selectorELNS0_4arch9wavefront6targetE0EEEvSY_ ; -- Begin function _ZN7rocprim17ROCPRIM_400000_NS6detail17trampoline_kernelINS0_13select_configILj256ELj13ELNS0_17block_load_methodE3ELS4_3ELS4_3ELNS0_20block_scan_algorithmE0ELj4294967295EEENS1_25partition_config_selectorILNS1_17partition_subalgoE3EjNS0_10empty_typeEbEEZZNS1_14partition_implILS8_3ELb0ES6_jNS0_17counting_iteratorIjlEEPS9_SE_NS0_5tupleIJPjSE_EEENSF_IJSE_SE_EEES9_SG_JZNS1_25segmented_radix_sort_implINS0_14default_configELb1EPKhPhPKlPlN2at6native12_GLOBAL__N_18offset_tEEE10hipError_tPvRmT1_PNSt15iterator_traitsISY_E10value_typeET2_T3_PNSZ_IS14_E10value_typeET4_jRbjT5_S1A_jjP12ihipStream_tbEUljE_EEESV_SW_SX_S14_S18_S1A_T6_T7_T9_mT8_S1C_bDpT10_ENKUlT_T0_E_clISt17integral_constantIbLb0EES1P_EEDaS1K_S1L_EUlS1K_E_NS1_11comp_targetILNS1_3genE10ELNS1_11target_archE1200ELNS1_3gpuE4ELNS1_3repE0EEENS1_30default_config_static_selectorELNS0_4arch9wavefront6targetE0EEEvSY_
	.p2align	8
	.type	_ZN7rocprim17ROCPRIM_400000_NS6detail17trampoline_kernelINS0_13select_configILj256ELj13ELNS0_17block_load_methodE3ELS4_3ELS4_3ELNS0_20block_scan_algorithmE0ELj4294967295EEENS1_25partition_config_selectorILNS1_17partition_subalgoE3EjNS0_10empty_typeEbEEZZNS1_14partition_implILS8_3ELb0ES6_jNS0_17counting_iteratorIjlEEPS9_SE_NS0_5tupleIJPjSE_EEENSF_IJSE_SE_EEES9_SG_JZNS1_25segmented_radix_sort_implINS0_14default_configELb1EPKhPhPKlPlN2at6native12_GLOBAL__N_18offset_tEEE10hipError_tPvRmT1_PNSt15iterator_traitsISY_E10value_typeET2_T3_PNSZ_IS14_E10value_typeET4_jRbjT5_S1A_jjP12ihipStream_tbEUljE_EEESV_SW_SX_S14_S18_S1A_T6_T7_T9_mT8_S1C_bDpT10_ENKUlT_T0_E_clISt17integral_constantIbLb0EES1P_EEDaS1K_S1L_EUlS1K_E_NS1_11comp_targetILNS1_3genE10ELNS1_11target_archE1200ELNS1_3gpuE4ELNS1_3repE0EEENS1_30default_config_static_selectorELNS0_4arch9wavefront6targetE0EEEvSY_,@function
_ZN7rocprim17ROCPRIM_400000_NS6detail17trampoline_kernelINS0_13select_configILj256ELj13ELNS0_17block_load_methodE3ELS4_3ELS4_3ELNS0_20block_scan_algorithmE0ELj4294967295EEENS1_25partition_config_selectorILNS1_17partition_subalgoE3EjNS0_10empty_typeEbEEZZNS1_14partition_implILS8_3ELb0ES6_jNS0_17counting_iteratorIjlEEPS9_SE_NS0_5tupleIJPjSE_EEENSF_IJSE_SE_EEES9_SG_JZNS1_25segmented_radix_sort_implINS0_14default_configELb1EPKhPhPKlPlN2at6native12_GLOBAL__N_18offset_tEEE10hipError_tPvRmT1_PNSt15iterator_traitsISY_E10value_typeET2_T3_PNSZ_IS14_E10value_typeET4_jRbjT5_S1A_jjP12ihipStream_tbEUljE_EEESV_SW_SX_S14_S18_S1A_T6_T7_T9_mT8_S1C_bDpT10_ENKUlT_T0_E_clISt17integral_constantIbLb0EES1P_EEDaS1K_S1L_EUlS1K_E_NS1_11comp_targetILNS1_3genE10ELNS1_11target_archE1200ELNS1_3gpuE4ELNS1_3repE0EEENS1_30default_config_static_selectorELNS0_4arch9wavefront6targetE0EEEvSY_: ; @_ZN7rocprim17ROCPRIM_400000_NS6detail17trampoline_kernelINS0_13select_configILj256ELj13ELNS0_17block_load_methodE3ELS4_3ELS4_3ELNS0_20block_scan_algorithmE0ELj4294967295EEENS1_25partition_config_selectorILNS1_17partition_subalgoE3EjNS0_10empty_typeEbEEZZNS1_14partition_implILS8_3ELb0ES6_jNS0_17counting_iteratorIjlEEPS9_SE_NS0_5tupleIJPjSE_EEENSF_IJSE_SE_EEES9_SG_JZNS1_25segmented_radix_sort_implINS0_14default_configELb1EPKhPhPKlPlN2at6native12_GLOBAL__N_18offset_tEEE10hipError_tPvRmT1_PNSt15iterator_traitsISY_E10value_typeET2_T3_PNSZ_IS14_E10value_typeET4_jRbjT5_S1A_jjP12ihipStream_tbEUljE_EEESV_SW_SX_S14_S18_S1A_T6_T7_T9_mT8_S1C_bDpT10_ENKUlT_T0_E_clISt17integral_constantIbLb0EES1P_EEDaS1K_S1L_EUlS1K_E_NS1_11comp_targetILNS1_3genE10ELNS1_11target_archE1200ELNS1_3gpuE4ELNS1_3repE0EEENS1_30default_config_static_selectorELNS0_4arch9wavefront6targetE0EEEvSY_
; %bb.0:
	s_clause 0x6
	s_load_b32 s2, s[0:1], 0x70
	s_load_b128 s[8:11], s[0:1], 0x48
	s_load_b64 s[12:13], s[0:1], 0x10
	s_load_b64 s[14:15], s[0:1], 0x58
	s_load_b32 s20, s[0:1], 0x8
	s_load_b32 s3, s[0:1], 0x88
	s_load_b128 s[4:7], s[0:1], 0x78
	s_mov_b32 s17, 0
	v_lshlrev_b32_e32 v42, 2, v0
	s_wait_kmcnt 0x0
	s_mul_i32 s16, s2, 0xd00
	s_load_b64 s[18:19], s[10:11], 0x0
	s_add_co_i32 s10, s16, s12
	s_add_co_i32 s2, s2, -1
	s_sub_co_i32 s23, s14, s10
	s_add_nc_u64 s[10:11], s[12:13], s[16:17]
	s_addk_co_i32 s23, 0xd00
	s_cmp_eq_u32 ttmp9, s2
	s_mul_i32 s16, ttmp9, 0xd00
	s_cselect_b32 s22, -1, 0
	s_cmp_lg_u32 ttmp9, s2
	v_cmp_gt_u64_e64 s10, s[14:15], s[10:11]
	s_cselect_b32 s2, -1, 0
	s_add_co_i32 s11, s20, s16
	s_mov_b32 s17, -1
	s_wait_alu 0xfffe
	s_add_co_i32 s11, s11, s12
	s_wait_alu 0xfffe
	v_add_nc_u32_e32 v1, s11, v0
	s_or_b32 s10, s2, s10
	s_wait_alu 0xfffe
	s_and_b32 vcc_lo, exec_lo, s10
	s_cbranch_vccz .LBB53_2
; %bb.1:
	v_add_nc_u32_e32 v2, 0x100, v1
	v_add_nc_u32_e32 v3, 0x200, v1
	;; [unrolled: 1-line block ×12, first 2 shown]
	ds_store_2addr_stride64_b32 v42, v1, v2 offset1:4
	ds_store_2addr_stride64_b32 v42, v3, v4 offset0:8 offset1:12
	ds_store_2addr_stride64_b32 v42, v5, v6 offset0:16 offset1:20
	;; [unrolled: 1-line block ×5, first 2 shown]
	ds_store_b32 v42, v13 offset:12288
	s_wait_dscnt 0x0
	s_barrier_signal -1
	s_mov_b32 s17, 0
	s_barrier_wait -1
.LBB53_2:
	v_cmp_gt_u32_e64 s2, s23, v0
	v_or_b32_e32 v41, 0x100, v0
	v_or_b32_e32 v40, 0x200, v0
	;; [unrolled: 1-line block ×12, first 2 shown]
	s_and_not1_b32 vcc_lo, exec_lo, s17
	s_cbranch_vccnz .LBB53_4
; %bb.3:
	v_cmp_gt_u32_e32 vcc_lo, s23, v41
	v_add_nc_u32_e32 v3, s11, v40
	v_add_nc_u32_e32 v2, s11, v41
	v_cndmask_b32_e64 v1, 0, v1, s2
	s_delay_alu instid0(VALU_DEP_2)
	v_cndmask_b32_e32 v2, 0, v2, vcc_lo
	v_cmp_gt_u32_e32 vcc_lo, s23, v40
	s_wait_alu 0xfffd
	v_cndmask_b32_e32 v3, 0, v3, vcc_lo
	v_cmp_gt_u32_e32 vcc_lo, s23, v39
	v_add_nc_u32_e32 v5, s11, v38
	v_add_nc_u32_e32 v4, s11, v39
	s_wait_alu 0xfffd
	s_delay_alu instid0(VALU_DEP_1)
	v_cndmask_b32_e32 v4, 0, v4, vcc_lo
	v_cmp_gt_u32_e32 vcc_lo, s23, v38
	s_wait_alu 0xfffd
	v_cndmask_b32_e32 v5, 0, v5, vcc_lo
	v_cmp_gt_u32_e32 vcc_lo, s23, v37
	v_add_nc_u32_e32 v7, s11, v36
	v_add_nc_u32_e32 v6, s11, v37
	s_wait_alu 0xfffd
	s_delay_alu instid0(VALU_DEP_1)
	;; [unrolled: 9-line block ×5, first 2 shown]
	v_cndmask_b32_e32 v12, 0, v12, vcc_lo
	v_cmp_gt_u32_e32 vcc_lo, s23, v30
	s_wait_alu 0xfffd
	v_cndmask_b32_e32 v13, 0, v13, vcc_lo
	ds_store_2addr_stride64_b32 v42, v1, v2 offset1:4
	ds_store_2addr_stride64_b32 v42, v3, v4 offset0:8 offset1:12
	ds_store_2addr_stride64_b32 v42, v5, v6 offset0:16 offset1:20
	;; [unrolled: 1-line block ×5, first 2 shown]
	ds_store_b32 v42, v13 offset:12288
	s_wait_dscnt 0x0
	s_barrier_signal -1
	s_barrier_wait -1
.LBB53_4:
	v_mul_u32_u24_e32 v45, 13, v0
	global_inv scope:SCOPE_SE
	v_cndmask_b32_e64 v43, 0, 1, s10
	s_and_not1_b32 vcc_lo, exec_lo, s10
	v_lshlrev_b32_e32 v1, 2, v45
	ds_load_2addr_b32 v[26:27], v1 offset0:2 offset1:3
	ds_load_2addr_b32 v[22:23], v1 offset0:6 offset1:7
	ds_load_2addr_b32 v[24:25], v1 offset0:4 offset1:5
	ds_load_2addr_b32 v[28:29], v1 offset1:1
	ds_load_2addr_b32 v[18:19], v1 offset0:10 offset1:11
	ds_load_b32 v44, v1 offset:48
	ds_load_2addr_b32 v[20:21], v1 offset0:8 offset1:9
	s_wait_loadcnt_dscnt 0x0
	s_barrier_signal -1
	s_barrier_wait -1
	global_inv scope:SCOPE_SE
	s_wait_alu 0xfffe
	s_cbranch_vccnz .LBB53_6
; %bb.5:
	v_add_nc_u32_e32 v1, s5, v27
	v_add_nc_u32_e32 v2, s7, v27
	;; [unrolled: 1-line block ×5, first 2 shown]
	v_mul_lo_u32 v1, v1, s4
	v_mul_lo_u32 v2, v2, s6
	v_add_nc_u32_e32 v8, s7, v26
	v_add_nc_u32_e32 v3, s5, v29
	;; [unrolled: 1-line block ×3, first 2 shown]
	v_mul_lo_u32 v5, v5, s4
	v_mul_lo_u32 v4, v4, s4
	v_add_nc_u32_e32 v9, s5, v24
	v_mul_lo_u32 v3, v3, s4
	v_sub_nc_u32_e32 v1, v1, v2
	v_mul_lo_u32 v2, v7, s6
	v_mul_lo_u32 v7, v8, s6
	;; [unrolled: 1-line block ×3, first 2 shown]
	v_add_nc_u32_e32 v8, s5, v25
	v_add_nc_u32_e32 v10, s7, v24
	v_mul_lo_u32 v9, v9, s4
	v_cmp_lt_u32_e32 vcc_lo, s3, v1
	v_add_nc_u32_e32 v14, s7, v19
	v_sub_nc_u32_e32 v2, v4, v2
	v_sub_nc_u32_e32 v4, v5, v7
	v_add_nc_u32_e32 v5, s7, v25
	v_sub_nc_u32_e32 v3, v3, v6
	v_add_nc_u32_e32 v6, s5, v23
	v_add_nc_u32_e32 v7, s7, v23
	v_mul_lo_u32 v8, v8, s4
	v_mul_lo_u32 v5, v5, s6
	;; [unrolled: 1-line block ×5, first 2 shown]
	s_wait_alu 0xfffd
	v_cndmask_b32_e64 v1, 0, 1, vcc_lo
	v_cmp_lt_u32_e32 vcc_lo, s3, v3
	v_mul_lo_u32 v14, v14, s6
	v_add_nc_u32_e32 v15, s7, v21
	v_sub_nc_u32_e32 v5, v8, v5
	v_add_nc_u32_e32 v8, s7, v22
	s_wait_alu 0xfffd
	v_cndmask_b32_e64 v3, 0, 1, vcc_lo
	v_sub_nc_u32_e32 v6, v6, v7
	v_mul_lo_u32 v15, v15, s6
	v_cmp_lt_u32_e32 vcc_lo, s3, v5
	v_mul_lo_u32 v7, v8, s6
	v_sub_nc_u32_e32 v8, v9, v10
	v_add_nc_u32_e32 v9, s5, v19
	v_add_nc_u32_e32 v10, s5, v21
	s_wait_alu 0xfffd
	v_cndmask_b32_e64 v5, 0, 1, vcc_lo
	v_cmp_lt_u32_e32 vcc_lo, s3, v6
	v_add_nc_u32_e32 v11, s5, v22
	v_mul_lo_u32 v9, v9, s4
	v_mul_lo_u32 v10, v10, s4
	v_add_nc_u32_e32 v12, s5, v20
	s_wait_alu 0xfffd
	v_cndmask_b32_e64 v6, 0, 1, vcc_lo
	v_mul_lo_u32 v11, v11, s4
	v_add_nc_u32_e32 v16, s7, v20
	v_lshlrev_b16 v3, 8, v3
	v_add_nc_u32_e32 v13, s5, v18
	v_sub_nc_u32_e32 v9, v9, v14
	v_sub_nc_u32_e32 v10, v10, v15
	v_add_nc_u32_e32 v17, s7, v18
	v_mul_lo_u32 v12, v12, s4
	v_mul_lo_u32 v16, v16, s6
	v_cmp_lt_u32_e32 vcc_lo, s3, v9
	v_sub_nc_u32_e32 v7, v11, v7
	v_lshrrev_b32_e32 v3, 8, v3
	v_mul_lo_u32 v11, v13, s4
	v_mul_lo_u32 v13, v17, s6
	s_wait_alu 0xfffd
	v_cndmask_b32_e64 v9, 0, 1, vcc_lo
	v_cmp_lt_u32_e32 vcc_lo, s3, v2
	v_sub_nc_u32_e32 v12, v12, v16
	v_lshlrev_b16 v3, 8, v3
	v_lshlrev_b16 v1, 8, v1
	v_lshlrev_b16 v5, 8, v5
	s_wait_alu 0xfffd
	v_cndmask_b32_e64 v2, 0, 1, vcc_lo
	v_cmp_lt_u32_e32 vcc_lo, s3, v10
	v_sub_nc_u32_e32 v11, v11, v13
	v_add_nc_u32_e32 v14, s5, v44
	v_add_nc_u32_e32 v15, s7, v44
	v_or_b32_e32 v2, v2, v3
	s_wait_alu 0xfffd
	v_cndmask_b32_e64 v10, 0, 1, vcc_lo
	v_cmp_lt_u32_e32 vcc_lo, s3, v4
	v_lshlrev_b16 v3, 8, v9
	v_lshrrev_b32_e32 v5, 8, v5
	v_lshrrev_b32_e32 v1, 8, v1
	v_lshlrev_b16 v9, 8, v10
	s_wait_alu 0xfffd
	v_cndmask_b32_e64 v4, 0, 1, vcc_lo
	v_cmp_lt_u32_e32 vcc_lo, s3, v8
	v_lshrrev_b32_e32 v3, 8, v3
	v_mul_lo_u32 v14, v14, s4
	v_lshrrev_b32_e32 v9, 8, v9
	v_mul_lo_u32 v15, v15, s6
	s_wait_alu 0xfffd
	v_cndmask_b32_e64 v8, 0, 1, vcc_lo
	v_cmp_lt_u32_e32 vcc_lo, s3, v7
	v_lshlrev_b16 v6, 8, v6
	v_lshlrev_b16 v1, 8, v1
	;; [unrolled: 1-line block ×4, first 2 shown]
	s_wait_alu 0xfffd
	v_cndmask_b32_e64 v7, 0, 1, vcc_lo
	v_cmp_lt_u32_e32 vcc_lo, s3, v12
	v_lshlrev_b16 v3, 8, v3
	v_sub_nc_u32_e32 v10, v14, v15
	v_or_b32_e32 v1, v4, v1
	v_or_b32_e32 v4, v8, v5
	s_wait_alu 0xfffd
	v_cndmask_b32_e64 v12, 0, 1, vcc_lo
	v_cmp_lt_u32_e32 vcc_lo, s3, v11
	v_or_b32_e32 v5, v7, v6
	v_and_b32_e32 v2, 0xffff, v2
	v_lshlrev_b32_e32 v1, 16, v1
	v_or_b32_e32 v6, v12, v9
	s_wait_alu 0xfffd
	v_cndmask_b32_e64 v11, 0, 1, vcc_lo
	v_and_b32_e32 v4, 0xffff, v4
	v_lshlrev_b32_e32 v5, 16, v5
	v_cmp_lt_u32_e32 vcc_lo, s3, v10
	v_and_b32_e32 v6, 0xffff, v6
	v_or_b32_e32 v3, v11, v3
	v_or_b32_e32 v51, v2, v1
	;; [unrolled: 1-line block ×3, first 2 shown]
	s_wait_alu 0xfffd
	v_cndmask_b32_e64 v46, 0, 1, vcc_lo
	v_lshlrev_b32_e32 v3, 16, v3
	s_delay_alu instid0(VALU_DEP_1)
	v_or_b32_e32 v47, v6, v3
	s_clause 0x1
	s_load_b64 s[10:11], s[0:1], 0x28
	s_load_b64 s[20:21], s[0:1], 0x68
	s_cbranch_execz .LBB53_7
	s_branch .LBB53_34
.LBB53_6:
                                        ; implicit-def: $vgpr46
                                        ; implicit-def: $vgpr47
                                        ; implicit-def: $vgpr49
                                        ; implicit-def: $vgpr51
	s_clause 0x1
	s_load_b64 s[10:11], s[0:1], 0x28
	s_load_b64 s[20:21], s[0:1], 0x68
.LBB53_7:
	v_dual_mov_b32 v2, 0 :: v_dual_mov_b32 v1, 0
	s_mov_b32 s0, exec_lo
	v_cmpx_gt_u32_e64 s23, v45
	s_cbranch_execz .LBB53_9
; %bb.8:
	v_add_nc_u32_e32 v1, s5, v28
	v_add_nc_u32_e32 v3, s7, v28
	s_delay_alu instid0(VALU_DEP_2) | instskip(NEXT) | instid1(VALU_DEP_2)
	v_mul_lo_u32 v1, v1, s4
	v_mul_lo_u32 v3, v3, s6
	s_delay_alu instid0(VALU_DEP_1) | instskip(NEXT) | instid1(VALU_DEP_1)
	v_sub_nc_u32_e32 v1, v1, v3
	v_cmp_lt_u32_e32 vcc_lo, s3, v1
	s_wait_alu 0xfffd
	v_cndmask_b32_e64 v1, 0, 1, vcc_lo
.LBB53_9:
	s_or_b32 exec_lo, exec_lo, s0
	v_add_nc_u32_e32 v3, 1, v45
	s_mov_b32 s0, exec_lo
	s_delay_alu instid0(VALU_DEP_1)
	v_cmpx_gt_u32_e64 s23, v3
	s_cbranch_execz .LBB53_11
; %bb.10:
	v_add_nc_u32_e32 v2, s5, v29
	v_add_nc_u32_e32 v3, s7, v29
	s_delay_alu instid0(VALU_DEP_2) | instskip(NEXT) | instid1(VALU_DEP_2)
	v_mul_lo_u32 v2, v2, s4
	v_mul_lo_u32 v3, v3, s6
	s_delay_alu instid0(VALU_DEP_1) | instskip(NEXT) | instid1(VALU_DEP_1)
	v_sub_nc_u32_e32 v2, v2, v3
	v_cmp_lt_u32_e32 vcc_lo, s3, v2
	s_wait_alu 0xfffd
	v_cndmask_b32_e64 v2, 0, 1, vcc_lo
.LBB53_11:
	s_or_b32 exec_lo, exec_lo, s0
	v_dual_mov_b32 v4, 0 :: v_dual_add_nc_u32 v3, 2, v45
	s_delay_alu instid0(VALU_DEP_1)
	v_cmp_gt_u32_e32 vcc_lo, s23, v3
	v_mov_b32_e32 v3, 0
	s_and_saveexec_b32 s0, vcc_lo
	s_cbranch_execz .LBB53_13
; %bb.12:
	v_add_nc_u32_e32 v3, s5, v26
	v_add_nc_u32_e32 v5, s7, v26
	s_delay_alu instid0(VALU_DEP_2) | instskip(NEXT) | instid1(VALU_DEP_2)
	v_mul_lo_u32 v3, v3, s4
	v_mul_lo_u32 v5, v5, s6
	s_delay_alu instid0(VALU_DEP_1) | instskip(NEXT) | instid1(VALU_DEP_1)
	v_sub_nc_u32_e32 v3, v3, v5
	v_cmp_lt_u32_e32 vcc_lo, s3, v3
	s_wait_alu 0xfffd
	v_cndmask_b32_e64 v3, 0, 1, vcc_lo
.LBB53_13:
	s_or_b32 exec_lo, exec_lo, s0
	v_add_nc_u32_e32 v5, 3, v45
	s_mov_b32 s0, exec_lo
	s_delay_alu instid0(VALU_DEP_1)
	v_cmpx_gt_u32_e64 s23, v5
	s_cbranch_execz .LBB53_15
; %bb.14:
	v_add_nc_u32_e32 v4, s5, v27
	v_add_nc_u32_e32 v5, s7, v27
	s_delay_alu instid0(VALU_DEP_2) | instskip(NEXT) | instid1(VALU_DEP_2)
	v_mul_lo_u32 v4, v4, s4
	v_mul_lo_u32 v5, v5, s6
	s_delay_alu instid0(VALU_DEP_1) | instskip(NEXT) | instid1(VALU_DEP_1)
	v_sub_nc_u32_e32 v4, v4, v5
	v_cmp_lt_u32_e32 vcc_lo, s3, v4
	s_wait_alu 0xfffd
	v_cndmask_b32_e64 v4, 0, 1, vcc_lo
.LBB53_15:
	s_or_b32 exec_lo, exec_lo, s0
	v_dual_mov_b32 v6, 0 :: v_dual_add_nc_u32 v5, 4, v45
	s_delay_alu instid0(VALU_DEP_1)
	v_cmp_gt_u32_e32 vcc_lo, s23, v5
	v_mov_b32_e32 v5, 0
	s_and_saveexec_b32 s0, vcc_lo
	;; [unrolled: 37-line block ×5, first 2 shown]
	s_cbranch_execz .LBB53_29
; %bb.28:
	v_add_nc_u32_e32 v11, s5, v18
	v_add_nc_u32_e32 v13, s7, v18
	s_delay_alu instid0(VALU_DEP_2) | instskip(NEXT) | instid1(VALU_DEP_2)
	v_mul_lo_u32 v11, v11, s4
	v_mul_lo_u32 v13, v13, s6
	s_delay_alu instid0(VALU_DEP_1) | instskip(NEXT) | instid1(VALU_DEP_1)
	v_sub_nc_u32_e32 v11, v11, v13
	v_cmp_lt_u32_e32 vcc_lo, s3, v11
	s_wait_alu 0xfffd
	v_cndmask_b32_e64 v11, 0, 1, vcc_lo
.LBB53_29:
	s_or_b32 exec_lo, exec_lo, s0
	v_add_nc_u32_e32 v13, 11, v45
	s_mov_b32 s0, exec_lo
	s_delay_alu instid0(VALU_DEP_1)
	v_cmpx_gt_u32_e64 s23, v13
	s_cbranch_execz .LBB53_31
; %bb.30:
	v_add_nc_u32_e32 v12, s5, v19
	v_add_nc_u32_e32 v13, s7, v19
	s_delay_alu instid0(VALU_DEP_2) | instskip(NEXT) | instid1(VALU_DEP_2)
	v_mul_lo_u32 v12, v12, s4
	v_mul_lo_u32 v13, v13, s6
	s_delay_alu instid0(VALU_DEP_1) | instskip(NEXT) | instid1(VALU_DEP_1)
	v_sub_nc_u32_e32 v12, v12, v13
	v_cmp_lt_u32_e32 vcc_lo, s3, v12
	s_wait_alu 0xfffd
	v_cndmask_b32_e64 v12, 0, 1, vcc_lo
.LBB53_31:
	s_or_b32 exec_lo, exec_lo, s0
	v_dual_mov_b32 v46, 0 :: v_dual_add_nc_u32 v13, 12, v45
	s_mov_b32 s0, exec_lo
	s_delay_alu instid0(VALU_DEP_1)
	v_cmpx_gt_u32_e64 s23, v13
	s_cbranch_execz .LBB53_33
; %bb.32:
	v_add_nc_u32_e32 v13, s5, v44
	v_add_nc_u32_e32 v14, s7, v44
	s_delay_alu instid0(VALU_DEP_2) | instskip(NEXT) | instid1(VALU_DEP_2)
	v_mul_lo_u32 v13, v13, s4
	v_mul_lo_u32 v14, v14, s6
	s_delay_alu instid0(VALU_DEP_1) | instskip(NEXT) | instid1(VALU_DEP_1)
	v_sub_nc_u32_e32 v13, v13, v14
	v_cmp_lt_u32_e32 vcc_lo, s3, v13
	s_wait_alu 0xfffd
	v_cndmask_b32_e64 v46, 0, 1, vcc_lo
.LBB53_33:
	s_or_b32 exec_lo, exec_lo, s0
	v_lshlrev_b16 v2, 8, v2
	v_lshlrev_b16 v4, 8, v4
	;; [unrolled: 1-line block ×5, first 2 shown]
	v_or_b32_e32 v1, v1, v2
	v_lshlrev_b16 v2, 8, v12
	v_or_b32_e32 v3, v3, v4
	v_or_b32_e32 v4, v5, v6
	;; [unrolled: 1-line block ×5, first 2 shown]
	v_and_b32_e32 v1, 0xffff, v1
	v_lshlrev_b32_e32 v3, 16, v3
	v_and_b32_e32 v4, 0xffff, v4
	v_lshlrev_b32_e32 v5, 16, v5
	;; [unrolled: 2-line block ×3, first 2 shown]
	v_or_b32_e32 v51, v1, v3
	s_delay_alu instid0(VALU_DEP_4) | instskip(NEXT) | instid1(VALU_DEP_3)
	v_or_b32_e32 v49, v4, v5
	v_or_b32_e32 v47, v6, v2
.LBB53_34:
	s_delay_alu instid0(VALU_DEP_3)
	v_and_b32_e32 v53, 0xff, v51
	v_bfe_u32 v54, v51, 8, 8
	v_bfe_u32 v55, v51, 16, 8
	v_lshrrev_b32_e32 v52, 24, v51
	v_and_b32_e32 v56, 0xff, v49
	v_bfe_u32 v57, v49, 8, 8
	v_bfe_u32 v58, v49, 16, 8
	v_add3_u32 v1, v54, v53, v55
	v_lshrrev_b32_e32 v50, 24, v49
	v_and_b32_e32 v59, 0xff, v47
	v_bfe_u32 v60, v47, 8, 8
	v_mbcnt_lo_u32_b32 v62, -1, 0
	v_add3_u32 v1, v1, v52, v56
	v_bfe_u32 v61, v47, 16, 8
	v_lshrrev_b32_e32 v48, 24, v47
	v_and_b32_e32 v2, 0xff, v46
	v_and_b32_e32 v3, 15, v62
	v_add3_u32 v1, v1, v57, v58
	v_or_b32_e32 v4, 31, v0
	v_and_b32_e32 v5, 16, v62
	v_lshrrev_b32_e32 v63, 5, v0
	v_cmp_eq_u32_e64 s5, 0, v3
	v_add3_u32 v1, v1, v50, v59
	v_cmp_lt_u32_e64 s4, 1, v3
	v_cmp_lt_u32_e64 s3, 3, v3
	;; [unrolled: 1-line block ×3, first 2 shown]
	v_cmp_eq_u32_e64 s1, 0, v5
	v_add3_u32 v1, v1, v60, v61
	v_cmp_eq_u32_e64 s0, v0, v4
	s_cmp_lg_u32 ttmp9, 0
	s_mov_b32 s6, -1
	v_add3_u32 v64, v1, v48, v2
	s_cbranch_scc0 .LBB53_55
; %bb.35:
	s_delay_alu instid0(VALU_DEP_1) | instskip(SKIP_1) | instid1(VALU_DEP_1)
	v_mov_b32_dpp v1, v64 row_shr:1 row_mask:0xf bank_mask:0xf
	s_wait_alu 0xf1ff
	v_cndmask_b32_e64 v1, v1, 0, s5
	s_delay_alu instid0(VALU_DEP_1) | instskip(NEXT) | instid1(VALU_DEP_1)
	v_add_nc_u32_e32 v1, v1, v64
	v_mov_b32_dpp v2, v1 row_shr:2 row_mask:0xf bank_mask:0xf
	s_delay_alu instid0(VALU_DEP_1) | instskip(NEXT) | instid1(VALU_DEP_1)
	v_cndmask_b32_e64 v2, 0, v2, s4
	v_add_nc_u32_e32 v1, v1, v2
	s_delay_alu instid0(VALU_DEP_1) | instskip(NEXT) | instid1(VALU_DEP_1)
	v_mov_b32_dpp v2, v1 row_shr:4 row_mask:0xf bank_mask:0xf
	v_cndmask_b32_e64 v2, 0, v2, s3
	s_delay_alu instid0(VALU_DEP_1) | instskip(NEXT) | instid1(VALU_DEP_1)
	v_add_nc_u32_e32 v1, v1, v2
	v_mov_b32_dpp v2, v1 row_shr:8 row_mask:0xf bank_mask:0xf
	s_delay_alu instid0(VALU_DEP_1) | instskip(NEXT) | instid1(VALU_DEP_1)
	v_cndmask_b32_e64 v2, 0, v2, s2
	v_add_nc_u32_e32 v1, v1, v2
	ds_swizzle_b32 v2, v1 offset:swizzle(BROADCAST,32,15)
	s_wait_dscnt 0x0
	v_cndmask_b32_e64 v2, v2, 0, s1
	s_delay_alu instid0(VALU_DEP_1)
	v_add_nc_u32_e32 v1, v1, v2
	s_and_saveexec_b32 s6, s0
; %bb.36:
	v_lshlrev_b32_e32 v2, 2, v63
	ds_store_b32 v2, v1
; %bb.37:
	s_wait_alu 0xfffe
	s_or_b32 exec_lo, exec_lo, s6
	s_delay_alu instid0(SALU_CYCLE_1)
	s_mov_b32 s6, exec_lo
	s_wait_loadcnt_dscnt 0x0
	s_barrier_signal -1
	s_barrier_wait -1
	global_inv scope:SCOPE_SE
	v_cmpx_gt_u32_e32 8, v0
	s_cbranch_execz .LBB53_39
; %bb.38:
	ds_load_b32 v2, v42
	s_wait_dscnt 0x0
	v_mov_b32_dpp v4, v2 row_shr:1 row_mask:0xf bank_mask:0xf
	v_and_b32_e32 v3, 7, v62
	s_delay_alu instid0(VALU_DEP_1) | instskip(SKIP_1) | instid1(VALU_DEP_3)
	v_cmp_ne_u32_e32 vcc_lo, 0, v3
	s_wait_alu 0xfffd
	v_cndmask_b32_e32 v4, 0, v4, vcc_lo
	v_cmp_lt_u32_e32 vcc_lo, 1, v3
	s_delay_alu instid0(VALU_DEP_2) | instskip(NEXT) | instid1(VALU_DEP_1)
	v_add_nc_u32_e32 v2, v4, v2
	v_mov_b32_dpp v4, v2 row_shr:2 row_mask:0xf bank_mask:0xf
	s_wait_alu 0xfffd
	s_delay_alu instid0(VALU_DEP_1) | instskip(SKIP_1) | instid1(VALU_DEP_2)
	v_cndmask_b32_e32 v4, 0, v4, vcc_lo
	v_cmp_lt_u32_e32 vcc_lo, 3, v3
	v_add_nc_u32_e32 v2, v2, v4
	s_delay_alu instid0(VALU_DEP_1) | instskip(SKIP_1) | instid1(VALU_DEP_1)
	v_mov_b32_dpp v4, v2 row_shr:4 row_mask:0xf bank_mask:0xf
	s_wait_alu 0xfffd
	v_cndmask_b32_e32 v3, 0, v4, vcc_lo
	s_delay_alu instid0(VALU_DEP_1)
	v_add_nc_u32_e32 v2, v2, v3
	ds_store_b32 v42, v2
.LBB53_39:
	s_wait_alu 0xfffe
	s_or_b32 exec_lo, exec_lo, s6
	s_delay_alu instid0(SALU_CYCLE_1)
	s_mov_b32 s7, exec_lo
	v_cmp_gt_u32_e32 vcc_lo, 32, v0
	s_wait_loadcnt_dscnt 0x0
	s_barrier_signal -1
	s_barrier_wait -1
	global_inv scope:SCOPE_SE
                                        ; implicit-def: $vgpr9
	v_cmpx_lt_u32_e32 31, v0
	s_cbranch_execz .LBB53_41
; %bb.40:
	v_lshl_add_u32 v2, v63, 2, -4
	ds_load_b32 v9, v2
	s_wait_dscnt 0x0
	v_add_nc_u32_e32 v1, v9, v1
.LBB53_41:
	s_wait_alu 0xfffe
	s_or_b32 exec_lo, exec_lo, s7
	v_sub_co_u32 v2, s6, v62, 1
	s_delay_alu instid0(VALU_DEP_1) | instskip(SKIP_1) | instid1(VALU_DEP_1)
	v_cmp_gt_i32_e64 s7, 0, v2
	s_wait_alu 0xf1ff
	v_cndmask_b32_e64 v2, v2, v62, s7
	s_delay_alu instid0(VALU_DEP_1)
	v_lshlrev_b32_e32 v2, 2, v2
	ds_bpermute_b32 v10, v2, v1
	s_and_saveexec_b32 s7, vcc_lo
	s_cbranch_execz .LBB53_60
; %bb.42:
	v_mov_b32_e32 v5, 0
	ds_load_b32 v1, v5 offset:28
	s_and_saveexec_b32 s17, s6
	s_cbranch_execz .LBB53_44
; %bb.43:
	s_add_co_i32 s24, ttmp9, 32
	s_mov_b32 s25, 0
	v_mov_b32_e32 v2, 1
	s_lshl_b64 s[24:25], s[24:25], 3
	s_wait_kmcnt 0x0
	s_add_nc_u64 s[24:25], s[20:21], s[24:25]
	s_wait_dscnt 0x0
	global_store_b64 v5, v[1:2], s[24:25] scope:SCOPE_DEV
.LBB53_44:
	s_or_b32 exec_lo, exec_lo, s17
	v_xad_u32 v3, v62, -1, ttmp9
	s_mov_b32 s24, 0
	s_mov_b32 s17, exec_lo
	s_delay_alu instid0(VALU_DEP_1) | instskip(NEXT) | instid1(VALU_DEP_1)
	v_add_nc_u32_e32 v4, 32, v3
	v_lshlrev_b64_e32 v[4:5], 3, v[4:5]
	s_wait_kmcnt 0x0
	s_delay_alu instid0(VALU_DEP_1) | instskip(SKIP_1) | instid1(VALU_DEP_2)
	v_add_co_u32 v7, vcc_lo, s20, v4
	s_wait_alu 0xfffd
	v_add_co_ci_u32_e64 v8, null, s21, v5, vcc_lo
	global_load_b64 v[5:6], v[7:8], off scope:SCOPE_DEV
	s_wait_loadcnt 0x0
	v_and_b32_e32 v2, 0xff, v6
	s_delay_alu instid0(VALU_DEP_1)
	v_cmpx_eq_u16_e32 0, v2
	s_cbranch_execz .LBB53_47
.LBB53_45:                              ; =>This Inner Loop Header: Depth=1
	global_load_b64 v[5:6], v[7:8], off scope:SCOPE_DEV
	s_wait_loadcnt 0x0
	v_and_b32_e32 v2, 0xff, v6
	s_delay_alu instid0(VALU_DEP_1) | instskip(SKIP_1) | instid1(SALU_CYCLE_1)
	v_cmp_ne_u16_e32 vcc_lo, 0, v2
	s_or_b32 s24, vcc_lo, s24
	s_and_not1_b32 exec_lo, exec_lo, s24
	s_cbranch_execnz .LBB53_45
; %bb.46:
	s_or_b32 exec_lo, exec_lo, s24
.LBB53_47:
	s_delay_alu instid0(SALU_CYCLE_1)
	s_or_b32 exec_lo, exec_lo, s17
	v_cmp_ne_u32_e32 vcc_lo, 31, v62
	v_lshlrev_b32_e64 v12, v62, -1
	v_add_nc_u32_e32 v14, 2, v62
	v_add_nc_u32_e32 v16, 4, v62
	;; [unrolled: 1-line block ×3, first 2 shown]
	s_wait_alu 0xfffd
	v_add_co_ci_u32_e64 v2, null, 0, v62, vcc_lo
	v_lshl_or_b32 v66, v62, 2, 64
	v_add_nc_u32_e32 v67, 16, v62
	s_delay_alu instid0(VALU_DEP_3)
	v_lshlrev_b32_e32 v11, 2, v2
	v_and_b32_e32 v2, 0xff, v6
	ds_bpermute_b32 v4, v11, v5
	v_cmp_eq_u16_e32 vcc_lo, 2, v2
	s_wait_alu 0xfffd
	v_and_or_b32 v2, vcc_lo, v12, 0x80000000
	v_cmp_gt_u32_e32 vcc_lo, 30, v62
	s_delay_alu instid0(VALU_DEP_2) | instskip(SKIP_2) | instid1(VALU_DEP_2)
	v_ctz_i32_b32_e32 v2, v2
	s_wait_alu 0xfffd
	v_cndmask_b32_e64 v7, 0, 2, vcc_lo
	v_cmp_lt_u32_e32 vcc_lo, v62, v2
	s_delay_alu instid0(VALU_DEP_2) | instskip(SKIP_4) | instid1(VALU_DEP_2)
	v_add_lshl_u32 v13, v7, v62, 2
	s_wait_dscnt 0x0
	s_wait_alu 0xfffd
	v_cndmask_b32_e32 v4, 0, v4, vcc_lo
	v_cmp_gt_u32_e32 vcc_lo, 28, v62
	v_add_nc_u32_e32 v4, v4, v5
	s_wait_alu 0xfffd
	v_cndmask_b32_e64 v7, 0, 4, vcc_lo
	v_cmp_le_u32_e32 vcc_lo, v14, v2
	ds_bpermute_b32 v5, v13, v4
	v_add_lshl_u32 v15, v7, v62, 2
	s_wait_dscnt 0x0
	s_wait_alu 0xfffd
	v_cndmask_b32_e32 v5, 0, v5, vcc_lo
	v_cmp_gt_u32_e32 vcc_lo, 24, v62
	s_delay_alu instid0(VALU_DEP_2)
	v_add_nc_u32_e32 v4, v4, v5
	s_wait_alu 0xfffd
	v_cndmask_b32_e64 v7, 0, 8, vcc_lo
	v_cmp_le_u32_e32 vcc_lo, v16, v2
	ds_bpermute_b32 v5, v15, v4
	v_add_lshl_u32 v17, v7, v62, 2
	s_wait_dscnt 0x0
	s_wait_alu 0xfffd
	v_cndmask_b32_e32 v5, 0, v5, vcc_lo
	v_cmp_le_u32_e32 vcc_lo, v65, v2
	s_delay_alu instid0(VALU_DEP_2)
	v_add_nc_u32_e32 v4, v4, v5
	ds_bpermute_b32 v5, v17, v4
	s_wait_dscnt 0x0
	s_wait_alu 0xfffd
	v_cndmask_b32_e32 v5, 0, v5, vcc_lo
	v_cmp_le_u32_e32 vcc_lo, v67, v2
	s_delay_alu instid0(VALU_DEP_2) | instskip(SKIP_4) | instid1(VALU_DEP_1)
	v_add_nc_u32_e32 v4, v4, v5
	ds_bpermute_b32 v5, v66, v4
	s_wait_dscnt 0x0
	s_wait_alu 0xfffd
	v_cndmask_b32_e32 v2, 0, v5, vcc_lo
	v_dual_mov_b32 v4, 0 :: v_dual_add_nc_u32 v5, v4, v2
	s_branch .LBB53_51
.LBB53_48:                              ;   in Loop: Header=BB53_51 Depth=1
	s_or_b32 exec_lo, exec_lo, s24
.LBB53_49:                              ;   in Loop: Header=BB53_51 Depth=1
	s_delay_alu instid0(SALU_CYCLE_1) | instskip(SKIP_4) | instid1(VALU_DEP_2)
	s_or_b32 exec_lo, exec_lo, s17
	ds_bpermute_b32 v8, v11, v5
	v_and_b32_e32 v7, 0xff, v6
	v_subrev_nc_u32_e32 v3, 32, v3
	s_mov_b32 s17, 0
	v_cmp_eq_u16_e32 vcc_lo, 2, v7
	s_wait_alu 0xfffd
	v_and_or_b32 v7, vcc_lo, v12, 0x80000000
	s_delay_alu instid0(VALU_DEP_1) | instskip(NEXT) | instid1(VALU_DEP_1)
	v_ctz_i32_b32_e32 v7, v7
	v_cmp_lt_u32_e32 vcc_lo, v62, v7
	s_wait_dscnt 0x0
	s_wait_alu 0xfffd
	v_cndmask_b32_e32 v8, 0, v8, vcc_lo
	v_cmp_le_u32_e32 vcc_lo, v14, v7
	s_delay_alu instid0(VALU_DEP_2)
	v_add_nc_u32_e32 v5, v8, v5
	ds_bpermute_b32 v8, v13, v5
	s_wait_dscnt 0x0
	s_wait_alu 0xfffd
	v_cndmask_b32_e32 v8, 0, v8, vcc_lo
	v_cmp_le_u32_e32 vcc_lo, v16, v7
	s_delay_alu instid0(VALU_DEP_2)
	v_add_nc_u32_e32 v5, v5, v8
	ds_bpermute_b32 v8, v15, v5
	;; [unrolled: 7-line block ×3, first 2 shown]
	s_wait_dscnt 0x0
	s_wait_alu 0xfffd
	v_cndmask_b32_e32 v8, 0, v8, vcc_lo
	v_cmp_le_u32_e32 vcc_lo, v67, v7
	s_delay_alu instid0(VALU_DEP_2) | instskip(SKIP_4) | instid1(VALU_DEP_1)
	v_add_nc_u32_e32 v5, v5, v8
	ds_bpermute_b32 v8, v66, v5
	s_wait_dscnt 0x0
	s_wait_alu 0xfffd
	v_cndmask_b32_e32 v7, 0, v8, vcc_lo
	v_add3_u32 v5, v7, v2, v5
.LBB53_50:                              ;   in Loop: Header=BB53_51 Depth=1
	s_and_b32 vcc_lo, exec_lo, s17
	s_wait_alu 0xfffe
	s_cbranch_vccnz .LBB53_56
.LBB53_51:                              ; =>This Loop Header: Depth=1
                                        ;     Child Loop BB53_54 Depth 2
	v_and_b32_e32 v2, 0xff, v6
	s_mov_b32 s17, -1
                                        ; implicit-def: $vgpr6
	s_delay_alu instid0(VALU_DEP_1)
	v_cmp_ne_u16_e32 vcc_lo, 2, v2
	v_mov_b32_e32 v2, v5
                                        ; implicit-def: $vgpr5
	s_cmp_lg_u32 vcc_lo, exec_lo
	s_cbranch_scc1 .LBB53_50
; %bb.52:                               ;   in Loop: Header=BB53_51 Depth=1
	v_lshlrev_b64_e32 v[5:6], 3, v[3:4]
	s_mov_b32 s17, exec_lo
	s_delay_alu instid0(VALU_DEP_1) | instskip(SKIP_1) | instid1(VALU_DEP_2)
	v_add_co_u32 v7, vcc_lo, s20, v5
	s_wait_alu 0xfffd
	v_add_co_ci_u32_e64 v8, null, s21, v6, vcc_lo
	global_load_b64 v[5:6], v[7:8], off scope:SCOPE_DEV
	s_wait_loadcnt 0x0
	v_and_b32_e32 v68, 0xff, v6
	s_delay_alu instid0(VALU_DEP_1)
	v_cmpx_eq_u16_e32 0, v68
	s_cbranch_execz .LBB53_49
; %bb.53:                               ;   in Loop: Header=BB53_51 Depth=1
	s_mov_b32 s24, 0
.LBB53_54:                              ;   Parent Loop BB53_51 Depth=1
                                        ; =>  This Inner Loop Header: Depth=2
	global_load_b64 v[5:6], v[7:8], off scope:SCOPE_DEV
	s_wait_loadcnt 0x0
	v_and_b32_e32 v68, 0xff, v6
	s_delay_alu instid0(VALU_DEP_1) | instskip(SKIP_1) | instid1(SALU_CYCLE_1)
	v_cmp_ne_u16_e32 vcc_lo, 0, v68
	s_or_b32 s24, vcc_lo, s24
	s_and_not1_b32 exec_lo, exec_lo, s24
	s_cbranch_execnz .LBB53_54
	s_branch .LBB53_48
.LBB53_55:
                                        ; implicit-def: $vgpr17
                                        ; implicit-def: $vgpr1_vgpr2_vgpr3_vgpr4_vgpr5_vgpr6_vgpr7_vgpr8_vgpr9_vgpr10_vgpr11_vgpr12_vgpr13_vgpr14_vgpr15_vgpr16
	s_wait_alu 0xfffe
	s_and_b32 vcc_lo, exec_lo, s6
	s_wait_alu 0xfffe
	s_cbranch_vccnz .LBB53_61
	s_branch .LBB53_70
.LBB53_56:
	s_and_saveexec_b32 s17, s6
	s_cbranch_execz .LBB53_58
; %bb.57:
	s_add_co_i32 s24, ttmp9, 32
	s_mov_b32 s25, 0
	v_dual_mov_b32 v4, 2 :: v_dual_add_nc_u32 v3, v2, v1
	v_mov_b32_e32 v5, 0
	s_lshl_b64 s[24:25], s[24:25], 3
	s_delay_alu instid0(SALU_CYCLE_1)
	s_add_nc_u64 s[24:25], s[20:21], s[24:25]
	global_store_b64 v5, v[3:4], s[24:25] scope:SCOPE_DEV
	ds_store_b64 v5, v[1:2] offset:13312
.LBB53_58:
	s_or_b32 exec_lo, exec_lo, s17
	v_cmp_eq_u32_e32 vcc_lo, 0, v0
	s_and_b32 exec_lo, exec_lo, vcc_lo
; %bb.59:
	v_mov_b32_e32 v1, 0
	ds_store_b32 v1, v2 offset:28
.LBB53_60:
	s_wait_alu 0xfffe
	s_or_b32 exec_lo, exec_lo, s7
	s_wait_dscnt 0x0
	v_cndmask_b32_e64 v2, v10, v9, s6
	v_cmp_ne_u32_e32 vcc_lo, 0, v0
	v_mov_b32_e32 v11, 0
	s_wait_loadcnt 0x0
	s_wait_storecnt 0x0
	s_barrier_signal -1
	s_barrier_wait -1
	global_inv scope:SCOPE_SE
	s_wait_alu 0xfffd
	v_cndmask_b32_e32 v2, 0, v2, vcc_lo
	ds_load_b32 v1, v11 offset:28
	s_wait_loadcnt_dscnt 0x0
	s_barrier_signal -1
	s_barrier_wait -1
	global_inv scope:SCOPE_SE
	ds_load_b64 v[16:17], v11 offset:13312
	v_add_nc_u32_e32 v1, v1, v2
	s_delay_alu instid0(VALU_DEP_1) | instskip(NEXT) | instid1(VALU_DEP_1)
	v_add_nc_u32_e32 v2, v1, v53
	v_add_nc_u32_e32 v3, v2, v54
	s_delay_alu instid0(VALU_DEP_1) | instskip(NEXT) | instid1(VALU_DEP_1)
	v_add_nc_u32_e32 v4, v3, v55
	;; [unrolled: 3-line block ×6, first 2 shown]
	v_add_nc_u32_e32 v13, v12, v48
	s_branch .LBB53_70
.LBB53_61:
	v_mov_b32_dpp v1, v64 row_shr:1 row_mask:0xf bank_mask:0xf
	s_delay_alu instid0(VALU_DEP_1) | instskip(NEXT) | instid1(VALU_DEP_1)
	v_cndmask_b32_e64 v1, v1, 0, s5
	v_add_nc_u32_e32 v1, v1, v64
	s_delay_alu instid0(VALU_DEP_1) | instskip(NEXT) | instid1(VALU_DEP_1)
	v_mov_b32_dpp v2, v1 row_shr:2 row_mask:0xf bank_mask:0xf
	v_cndmask_b32_e64 v2, 0, v2, s4
	s_delay_alu instid0(VALU_DEP_1) | instskip(NEXT) | instid1(VALU_DEP_1)
	v_add_nc_u32_e32 v1, v1, v2
	v_mov_b32_dpp v2, v1 row_shr:4 row_mask:0xf bank_mask:0xf
	s_delay_alu instid0(VALU_DEP_1) | instskip(NEXT) | instid1(VALU_DEP_1)
	v_cndmask_b32_e64 v2, 0, v2, s3
	v_add_nc_u32_e32 v1, v1, v2
	s_delay_alu instid0(VALU_DEP_1) | instskip(NEXT) | instid1(VALU_DEP_1)
	v_mov_b32_dpp v2, v1 row_shr:8 row_mask:0xf bank_mask:0xf
	v_cndmask_b32_e64 v2, 0, v2, s2
	s_delay_alu instid0(VALU_DEP_1) | instskip(SKIP_3) | instid1(VALU_DEP_1)
	v_add_nc_u32_e32 v1, v1, v2
	ds_swizzle_b32 v2, v1 offset:swizzle(BROADCAST,32,15)
	s_wait_dscnt 0x0
	v_cndmask_b32_e64 v2, v2, 0, s1
	v_add_nc_u32_e32 v1, v1, v2
	s_and_saveexec_b32 s1, s0
; %bb.62:
	v_lshlrev_b32_e32 v2, 2, v63
	ds_store_b32 v2, v1
; %bb.63:
	s_wait_alu 0xfffe
	s_or_b32 exec_lo, exec_lo, s1
	s_delay_alu instid0(SALU_CYCLE_1)
	s_mov_b32 s0, exec_lo
	s_wait_loadcnt_dscnt 0x0
	s_barrier_signal -1
	s_barrier_wait -1
	global_inv scope:SCOPE_SE
	v_cmpx_gt_u32_e32 8, v0
	s_cbranch_execz .LBB53_65
; %bb.64:
	ds_load_b32 v2, v42
	s_wait_dscnt 0x0
	v_mov_b32_dpp v4, v2 row_shr:1 row_mask:0xf bank_mask:0xf
	v_and_b32_e32 v3, 7, v62
	s_delay_alu instid0(VALU_DEP_1) | instskip(SKIP_1) | instid1(VALU_DEP_3)
	v_cmp_ne_u32_e32 vcc_lo, 0, v3
	s_wait_alu 0xfffd
	v_cndmask_b32_e32 v4, 0, v4, vcc_lo
	v_cmp_lt_u32_e32 vcc_lo, 1, v3
	s_delay_alu instid0(VALU_DEP_2) | instskip(NEXT) | instid1(VALU_DEP_1)
	v_add_nc_u32_e32 v2, v4, v2
	v_mov_b32_dpp v4, v2 row_shr:2 row_mask:0xf bank_mask:0xf
	s_wait_alu 0xfffd
	s_delay_alu instid0(VALU_DEP_1) | instskip(SKIP_1) | instid1(VALU_DEP_2)
	v_cndmask_b32_e32 v4, 0, v4, vcc_lo
	v_cmp_lt_u32_e32 vcc_lo, 3, v3
	v_add_nc_u32_e32 v2, v2, v4
	s_delay_alu instid0(VALU_DEP_1) | instskip(SKIP_1) | instid1(VALU_DEP_1)
	v_mov_b32_dpp v4, v2 row_shr:4 row_mask:0xf bank_mask:0xf
	s_wait_alu 0xfffd
	v_cndmask_b32_e32 v3, 0, v4, vcc_lo
	s_delay_alu instid0(VALU_DEP_1)
	v_add_nc_u32_e32 v2, v2, v3
	ds_store_b32 v42, v2
.LBB53_65:
	s_wait_alu 0xfffe
	s_or_b32 exec_lo, exec_lo, s0
	v_dual_mov_b32 v3, 0 :: v_dual_mov_b32 v2, 0
	s_mov_b32 s0, exec_lo
	s_wait_loadcnt_dscnt 0x0
	s_barrier_signal -1
	s_barrier_wait -1
	global_inv scope:SCOPE_SE
	v_cmpx_lt_u32_e32 31, v0
; %bb.66:
	v_lshl_add_u32 v2, v63, 2, -4
	ds_load_b32 v2, v2
; %bb.67:
	s_wait_alu 0xfffe
	s_or_b32 exec_lo, exec_lo, s0
	v_sub_co_u32 v4, vcc_lo, v62, 1
	s_wait_dscnt 0x0
	v_add_nc_u32_e32 v1, v2, v1
	ds_load_b32 v16, v3 offset:28
	v_cmp_gt_i32_e64 s0, 0, v4
	s_wait_alu 0xf1ff
	s_delay_alu instid0(VALU_DEP_1) | instskip(SKIP_1) | instid1(VALU_DEP_2)
	v_cndmask_b32_e64 v4, v4, v62, s0
	v_cmp_eq_u32_e64 s0, 0, v0
	v_lshlrev_b32_e32 v4, 2, v4
	ds_bpermute_b32 v1, v4, v1
	s_and_saveexec_b32 s1, s0
	s_cbranch_execz .LBB53_69
; %bb.68:
	v_mov_b32_e32 v3, 0
	v_mov_b32_e32 v17, 2
	s_wait_dscnt 0x1
	s_wait_kmcnt 0x0
	global_store_b64 v3, v[16:17], s[20:21] offset:256 scope:SCOPE_DEV
.LBB53_69:
	s_wait_alu 0xfffe
	s_or_b32 exec_lo, exec_lo, s1
	s_wait_dscnt 0x0
	s_wait_alu 0xfffd
	v_cndmask_b32_e32 v1, v1, v2, vcc_lo
	s_wait_loadcnt 0x0
	s_wait_storecnt 0x0
	s_barrier_signal -1
	s_barrier_wait -1
	global_inv scope:SCOPE_SE
	v_cndmask_b32_e64 v1, v1, 0, s0
	s_delay_alu instid0(VALU_DEP_1) | instskip(NEXT) | instid1(VALU_DEP_1)
	v_dual_mov_b32 v17, 0 :: v_dual_add_nc_u32 v2, v1, v53
	v_add_nc_u32_e32 v3, v2, v54
	s_delay_alu instid0(VALU_DEP_1) | instskip(NEXT) | instid1(VALU_DEP_1)
	v_add_nc_u32_e32 v4, v3, v55
	v_add_nc_u32_e32 v5, v4, v52
	s_delay_alu instid0(VALU_DEP_1) | instskip(NEXT) | instid1(VALU_DEP_1)
	v_add_nc_u32_e32 v6, v5, v56
	;; [unrolled: 3-line block ×5, first 2 shown]
	v_add_nc_u32_e32 v13, v12, v48
.LBB53_70:
	v_lshrrev_b32_e32 v56, 8, v51
	v_lshrrev_b32_e32 v55, 16, v51
	s_wait_dscnt 0x0
	v_sub_nc_u32_e32 v1, v1, v17
	v_and_b32_e32 v51, 1, v51
	v_sub_nc_u32_e32 v3, v3, v17
	v_add_nc_u32_e32 v45, v16, v45
	v_sub_nc_u32_e32 v2, v2, v17
	v_sub_nc_u32_e32 v4, v4, v17
	v_cmp_eq_u32_e32 vcc_lo, 1, v51
	v_and_b32_e32 v51, 1, v55
	v_sub_nc_u32_e32 v57, v45, v1
	v_and_b32_e32 v56, 1, v56
	v_sub_nc_u32_e32 v55, v45, v2
	v_lshrrev_b32_e32 v54, 8, v49
	v_lshrrev_b32_e32 v53, 16, v49
	s_wait_alu 0xfffd
	v_cndmask_b32_e32 v1, v57, v1, vcc_lo
	v_sub_nc_u32_e32 v57, v45, v3
	v_add_nc_u32_e32 v55, 1, v55
	v_cmp_eq_u32_e32 vcc_lo, 1, v56
	v_and_b32_e32 v52, 1, v52
	v_lshlrev_b32_e32 v1, 2, v1
	v_add_nc_u32_e32 v57, 2, v57
	v_lshrrev_b32_e32 v15, 8, v47
	v_lshrrev_b32_e32 v14, 16, v47
	ds_store_b32 v1, v28
	s_wait_alu 0xfffd
	v_cndmask_b32_e32 v1, v55, v2, vcc_lo
	v_cmp_eq_u32_e32 vcc_lo, 1, v51
	s_wait_alu 0xfffd
	s_delay_alu instid0(VALU_DEP_2)
	v_dual_cndmask_b32 v2, v57, v3 :: v_dual_lshlrev_b32 v1, 2, v1
	v_sub_nc_u32_e32 v58, v45, v4
	v_cmp_eq_u32_e32 vcc_lo, 1, v52
	ds_store_b32 v1, v29
	v_lshlrev_b32_e32 v2, 2, v2
	v_add_nc_u32_e32 v58, 3, v58
	s_wait_alu 0xfffd
	s_delay_alu instid0(VALU_DEP_1) | instskip(SKIP_2) | instid1(VALU_DEP_3)
	v_cndmask_b32_e32 v3, v58, v4, vcc_lo
	v_sub_nc_u32_e32 v4, v5, v17
	v_sub_nc_u32_e32 v5, v6, v17
	v_lshlrev_b32_e32 v3, 2, v3
	s_delay_alu instid0(VALU_DEP_3) | instskip(NEXT) | instid1(VALU_DEP_3)
	v_sub_nc_u32_e32 v1, v45, v4
	v_sub_nc_u32_e32 v6, v45, v5
	ds_store_b32 v2, v26
	ds_store_b32 v3, v27
	v_and_b32_e32 v2, 1, v49
	v_add_nc_u32_e32 v1, 4, v1
	v_add_nc_u32_e32 v3, 5, v6
	v_sub_nc_u32_e32 v6, v7, v17
	v_and_b32_e32 v7, 1, v54
	v_cmp_eq_u32_e32 vcc_lo, 1, v2
	v_sub_nc_u32_e32 v2, v8, v17
	s_wait_alu 0xfffd
	v_dual_cndmask_b32 v1, v1, v4 :: v_dual_and_b32 v8, 1, v50
	v_sub_nc_u32_e32 v4, v45, v6
	v_cmp_eq_u32_e32 vcc_lo, 1, v7
	v_and_b32_e32 v7, 1, v53
	s_delay_alu instid0(VALU_DEP_4)
	v_lshlrev_b32_e32 v1, 2, v1
	s_wait_alu 0xfffd
	v_dual_cndmask_b32 v3, v3, v5 :: v_dual_add_nc_u32 v4, 6, v4
	v_sub_nc_u32_e32 v5, v45, v2
	v_cmp_eq_u32_e32 vcc_lo, 1, v7
	v_sub_nc_u32_e32 v7, v13, v17
	s_delay_alu instid0(VALU_DEP_4)
	v_lshlrev_b32_e32 v3, 2, v3
	s_wait_alu 0xfffd
	v_dual_cndmask_b32 v4, v4, v6 :: v_dual_add_nc_u32 v5, 7, v5
	v_cmp_eq_u32_e32 vcc_lo, 1, v8
	v_sub_nc_u32_e32 v6, v9, v17
	ds_store_b32 v1, v24
	ds_store_b32 v3, v25
	s_wait_alu 0xfffd
	v_dual_cndmask_b32 v2, v5, v2 :: v_dual_lshlrev_b32 v3, 2, v4
	v_and_b32_e32 v5, 1, v47
	v_sub_nc_u32_e32 v1, v45, v6
	v_sub_nc_u32_e32 v4, v10, v17
	v_and_b32_e32 v10, 1, v48
	s_delay_alu instid0(VALU_DEP_4) | instskip(SKIP_2) | instid1(VALU_DEP_2)
	v_cmp_eq_u32_e32 vcc_lo, 1, v5
	v_sub_nc_u32_e32 v5, v12, v17
	v_add_nc_u32_e32 v1, 8, v1
	v_sub_nc_u32_e32 v9, v45, v5
	s_wait_alu 0xfffd
	s_delay_alu instid0(VALU_DEP_2)
	v_dual_cndmask_b32 v1, v1, v6 :: v_dual_and_b32 v6, 1, v15
	s_wait_kmcnt 0x0
	v_add_co_u32 v15, s0, s18, v17
	v_add_nc_u32_e32 v9, 11, v9
	v_lshlrev_b32_e32 v2, 2, v2
	ds_store_b32 v3, v22
	ds_store_b32 v2, v23
	v_sub_nc_u32_e32 v3, v11, v17
	v_sub_nc_u32_e32 v2, v45, v4
	v_cmp_eq_u32_e32 vcc_lo, 1, v6
	v_and_b32_e32 v11, 1, v46
	v_lshlrev_b32_e32 v1, 2, v1
	v_sub_nc_u32_e32 v8, v45, v3
	v_add_nc_u32_e32 v2, 9, v2
	s_wait_alu 0xf1ff
	v_add_co_ci_u32_e64 v17, null, s19, 0, s0
	s_delay_alu instid0(VALU_DEP_3) | instskip(SKIP_4) | instid1(VALU_DEP_3)
	v_add_nc_u32_e32 v6, 10, v8
	v_and_b32_e32 v8, 1, v14
	s_wait_alu 0xfffd
	v_cndmask_b32_e32 v2, v2, v4, vcc_lo
	v_sub_nc_u32_e32 v4, v45, v7
	v_cmp_eq_u32_e32 vcc_lo, 1, v8
	s_delay_alu instid0(VALU_DEP_3) | instskip(SKIP_1) | instid1(VALU_DEP_3)
	v_lshlrev_b32_e32 v2, 2, v2
	s_wait_alu 0xfffd
	v_dual_cndmask_b32 v3, v6, v3 :: v_dual_add_nc_u32 v4, 12, v4
	v_cmp_eq_u32_e32 vcc_lo, 1, v10
	s_delay_alu instid0(VALU_DEP_2) | instskip(SKIP_4) | instid1(VALU_DEP_2)
	v_lshlrev_b32_e32 v3, 2, v3
	s_wait_alu 0xfffd
	v_cndmask_b32_e32 v5, v9, v5, vcc_lo
	v_cmp_eq_u32_e32 vcc_lo, 1, v11
	s_wait_alu 0xfffd
	v_dual_cndmask_b32 v4, v4, v7 :: v_dual_lshlrev_b32 v5, 2, v5
	v_cmp_ne_u32_e32 vcc_lo, 1, v43
	s_delay_alu instid0(VALU_DEP_2)
	v_lshlrev_b32_e32 v4, 2, v4
	ds_store_b32 v1, v20
	ds_store_b32 v2, v21
	ds_store_b32 v3, v18
	ds_store_b32 v5, v19
	ds_store_b32 v4, v44
	s_wait_loadcnt_dscnt 0x0
	s_barrier_signal -1
	s_barrier_wait -1
	global_inv scope:SCOPE_SE
	ds_load_2addr_stride64_b32 v[11:12], v42 offset1:4
	ds_load_2addr_stride64_b32 v[9:10], v42 offset0:8 offset1:12
	ds_load_2addr_stride64_b32 v[7:8], v42 offset0:16 offset1:20
	;; [unrolled: 1-line block ×5, first 2 shown]
	ds_load_b32 v18, v42 offset:12288
	s_cbranch_vccnz .LBB53_124
; %bb.71:
	s_mov_b32 s17, 0
	v_sub_co_u32 v13, vcc_lo, v15, s12
	s_sub_nc_u64 s[0:1], s[14:15], s[16:17]
	s_wait_alu 0xfffd
	v_subrev_co_ci_u32_e64 v14, null, s13, v17, vcc_lo
	s_wait_alu 0xfffe
	v_add_co_u32 v19, s0, s0, v16
	s_wait_alu 0xf1ff
	v_add_co_ci_u32_e64 v20, null, s1, 0, s0
	s_mov_b32 s0, exec_lo
	v_add_co_u32 v19, vcc_lo, v19, v13
	s_wait_alu 0xfffd
	v_add_co_ci_u32_e64 v20, null, v20, v14, vcc_lo
                                        ; implicit-def: $vgpr13_vgpr14
	v_cmpx_ge_u32_e64 v0, v16
	s_wait_alu 0xfffe
	s_xor_b32 s0, exec_lo, s0
; %bb.72:
	v_not_b32_e32 v13, v0
	s_delay_alu instid0(VALU_DEP_1) | instskip(SKIP_2) | instid1(VALU_DEP_2)
	v_ashrrev_i32_e32 v14, 31, v13
	v_add_co_u32 v13, vcc_lo, v19, v13
	s_wait_alu 0xfffd
	v_add_co_ci_u32_e64 v14, null, v20, v14, vcc_lo
; %bb.73:
	s_wait_alu 0xfffe
	s_and_not1_saveexec_b32 s0, s0
; %bb.74:
	v_add_co_u32 v13, vcc_lo, v15, v0
	s_wait_alu 0xfffd
	v_add_co_ci_u32_e64 v14, null, 0, v17, vcc_lo
; %bb.75:
	s_wait_alu 0xfffe
	s_or_b32 exec_lo, exec_lo, s0
	s_delay_alu instid0(VALU_DEP_1) | instskip(SKIP_1) | instid1(VALU_DEP_1)
	v_lshlrev_b64_e32 v[13:14], 2, v[13:14]
	s_mov_b32 s0, exec_lo
	v_add_co_u32 v13, vcc_lo, s10, v13
	s_wait_alu 0xfffd
	s_delay_alu instid0(VALU_DEP_2)
	v_add_co_ci_u32_e64 v14, null, s11, v14, vcc_lo
	s_wait_dscnt 0x6
	global_store_b32 v[13:14], v11, off
                                        ; implicit-def: $vgpr13_vgpr14
	v_cmpx_ge_u32_e64 v41, v16
	s_wait_alu 0xfffe
	s_xor_b32 s0, exec_lo, s0
; %bb.76:
	v_xor_b32_e32 v13, 0xfffffeff, v0
	s_delay_alu instid0(VALU_DEP_1) | instskip(SKIP_2) | instid1(VALU_DEP_2)
	v_ashrrev_i32_e32 v14, 31, v13
	v_add_co_u32 v13, vcc_lo, v19, v13
	s_wait_alu 0xfffd
	v_add_co_ci_u32_e64 v14, null, v20, v14, vcc_lo
; %bb.77:
	s_wait_alu 0xfffe
	s_and_not1_saveexec_b32 s0, s0
; %bb.78:
	v_add_co_u32 v13, vcc_lo, v15, v41
	s_wait_alu 0xfffd
	v_add_co_ci_u32_e64 v14, null, 0, v17, vcc_lo
; %bb.79:
	s_wait_alu 0xfffe
	s_or_b32 exec_lo, exec_lo, s0
	s_delay_alu instid0(VALU_DEP_1) | instskip(SKIP_1) | instid1(VALU_DEP_1)
	v_lshlrev_b64_e32 v[13:14], 2, v[13:14]
	s_mov_b32 s0, exec_lo
	v_add_co_u32 v13, vcc_lo, s10, v13
	s_wait_alu 0xfffd
	s_delay_alu instid0(VALU_DEP_2)
	v_add_co_ci_u32_e64 v14, null, s11, v14, vcc_lo
	global_store_b32 v[13:14], v12, off
                                        ; implicit-def: $vgpr13_vgpr14
	v_cmpx_ge_u32_e64 v40, v16
	s_wait_alu 0xfffe
	s_xor_b32 s0, exec_lo, s0
; %bb.80:
	v_xor_b32_e32 v13, 0xfffffdff, v0
	s_delay_alu instid0(VALU_DEP_1) | instskip(SKIP_2) | instid1(VALU_DEP_2)
	v_ashrrev_i32_e32 v14, 31, v13
	v_add_co_u32 v13, vcc_lo, v19, v13
	s_wait_alu 0xfffd
	v_add_co_ci_u32_e64 v14, null, v20, v14, vcc_lo
; %bb.81:
	s_wait_alu 0xfffe
	s_and_not1_saveexec_b32 s0, s0
; %bb.82:
	v_add_co_u32 v13, vcc_lo, v15, v40
	s_wait_alu 0xfffd
	v_add_co_ci_u32_e64 v14, null, 0, v17, vcc_lo
; %bb.83:
	s_wait_alu 0xfffe
	s_or_b32 exec_lo, exec_lo, s0
	s_delay_alu instid0(VALU_DEP_1) | instskip(SKIP_1) | instid1(VALU_DEP_1)
	v_lshlrev_b64_e32 v[13:14], 2, v[13:14]
	s_mov_b32 s0, exec_lo
	v_add_co_u32 v13, vcc_lo, s10, v13
	s_wait_alu 0xfffd
	s_delay_alu instid0(VALU_DEP_2)
	v_add_co_ci_u32_e64 v14, null, s11, v14, vcc_lo
	s_wait_dscnt 0x5
	global_store_b32 v[13:14], v9, off
                                        ; implicit-def: $vgpr13_vgpr14
	v_cmpx_ge_u32_e64 v39, v16
	s_wait_alu 0xfffe
	s_xor_b32 s0, exec_lo, s0
; %bb.84:
	v_xor_b32_e32 v13, 0xfffffcff, v0
	s_delay_alu instid0(VALU_DEP_1) | instskip(SKIP_2) | instid1(VALU_DEP_2)
	v_ashrrev_i32_e32 v14, 31, v13
	v_add_co_u32 v13, vcc_lo, v19, v13
	s_wait_alu 0xfffd
	v_add_co_ci_u32_e64 v14, null, v20, v14, vcc_lo
; %bb.85:
	s_wait_alu 0xfffe
	s_and_not1_saveexec_b32 s0, s0
; %bb.86:
	v_add_co_u32 v13, vcc_lo, v15, v39
	s_wait_alu 0xfffd
	v_add_co_ci_u32_e64 v14, null, 0, v17, vcc_lo
; %bb.87:
	s_wait_alu 0xfffe
	s_or_b32 exec_lo, exec_lo, s0
	s_delay_alu instid0(VALU_DEP_1) | instskip(SKIP_1) | instid1(VALU_DEP_1)
	v_lshlrev_b64_e32 v[13:14], 2, v[13:14]
	s_mov_b32 s0, exec_lo
	v_add_co_u32 v13, vcc_lo, s10, v13
	s_wait_alu 0xfffd
	s_delay_alu instid0(VALU_DEP_2)
	v_add_co_ci_u32_e64 v14, null, s11, v14, vcc_lo
	global_store_b32 v[13:14], v10, off
                                        ; implicit-def: $vgpr13_vgpr14
	v_cmpx_ge_u32_e64 v38, v16
	s_wait_alu 0xfffe
	s_xor_b32 s0, exec_lo, s0
; %bb.88:
	v_xor_b32_e32 v13, 0xfffffbff, v0
	;; [unrolled: 59-line block ×6, first 2 shown]
	s_delay_alu instid0(VALU_DEP_1) | instskip(SKIP_2) | instid1(VALU_DEP_2)
	v_ashrrev_i32_e32 v14, 31, v13
	v_add_co_u32 v13, vcc_lo, v19, v13
	s_wait_alu 0xfffd
	v_add_co_ci_u32_e64 v14, null, v20, v14, vcc_lo
; %bb.121:
	s_wait_alu 0xfffe
	s_and_not1_saveexec_b32 s0, s0
; %bb.122:
	v_add_co_u32 v13, vcc_lo, v15, v30
	s_wait_alu 0xfffd
	v_add_co_ci_u32_e64 v14, null, 0, v17, vcc_lo
; %bb.123:
	s_wait_alu 0xfffe
	s_or_b32 exec_lo, exec_lo, s0
	s_mov_b32 s0, -1
	s_branch .LBB53_204
.LBB53_124:
	s_mov_b32 s0, 0
                                        ; implicit-def: $vgpr13_vgpr14
	s_cbranch_execz .LBB53_204
; %bb.125:
	s_mov_b32 s17, 0
	s_delay_alu instid0(SALU_CYCLE_1)
	s_add_nc_u64 s[2:3], s[12:13], s[16:17]
	s_wait_alu 0xfffe
	s_sub_nc_u64 s[2:3], s[14:15], s[2:3]
	s_wait_alu 0xfffe
	v_add_co_u32 v13, s1, s2, v16
	s_wait_alu 0xf1ff
	v_add_co_ci_u32_e64 v14, null, s3, 0, s1
	s_mov_b32 s1, exec_lo
	v_add_co_u32 v19, vcc_lo, v13, v15
	s_wait_alu 0xfffd
	v_add_co_ci_u32_e64 v20, null, v14, v17, vcc_lo
	v_cmpx_gt_u32_e64 s23, v0
	s_cbranch_execz .LBB53_161
; %bb.126:
	s_mov_b32 s2, exec_lo
                                        ; implicit-def: $vgpr13_vgpr14
	v_cmpx_ge_u32_e64 v0, v16
	s_wait_alu 0xfffe
	s_xor_b32 s2, exec_lo, s2
; %bb.127:
	v_not_b32_e32 v13, v0
	s_delay_alu instid0(VALU_DEP_1) | instskip(SKIP_2) | instid1(VALU_DEP_2)
	v_ashrrev_i32_e32 v14, 31, v13
	v_add_co_u32 v13, vcc_lo, v19, v13
	s_wait_alu 0xfffd
	v_add_co_ci_u32_e64 v14, null, v20, v14, vcc_lo
; %bb.128:
	s_wait_alu 0xfffe
	s_and_not1_saveexec_b32 s2, s2
; %bb.129:
	v_add_co_u32 v13, vcc_lo, v15, v0
	s_wait_alu 0xfffd
	v_add_co_ci_u32_e64 v14, null, 0, v17, vcc_lo
; %bb.130:
	s_wait_alu 0xfffe
	s_or_b32 exec_lo, exec_lo, s2
	s_delay_alu instid0(VALU_DEP_1) | instskip(NEXT) | instid1(VALU_DEP_1)
	v_lshlrev_b64_e32 v[13:14], 2, v[13:14]
	v_add_co_u32 v13, vcc_lo, s10, v13
	s_wait_alu 0xfffd
	s_delay_alu instid0(VALU_DEP_2) | instskip(SKIP_3) | instid1(SALU_CYCLE_1)
	v_add_co_ci_u32_e64 v14, null, s11, v14, vcc_lo
	s_wait_dscnt 0x6
	global_store_b32 v[13:14], v11, off
	s_or_b32 exec_lo, exec_lo, s1
	s_mov_b32 s1, exec_lo
	v_cmpx_gt_u32_e64 s23, v41
	s_cbranch_execnz .LBB53_162
.LBB53_131:
	s_wait_alu 0xfffe
	s_or_b32 exec_lo, exec_lo, s1
	s_delay_alu instid0(SALU_CYCLE_1)
	s_mov_b32 s1, exec_lo
	v_cmpx_gt_u32_e64 s23, v40
	s_cbranch_execz .LBB53_167
.LBB53_132:
	s_mov_b32 s2, exec_lo
                                        ; implicit-def: $vgpr11_vgpr12
	v_cmpx_ge_u32_e64 v40, v16
	s_wait_alu 0xfffe
	s_xor_b32 s2, exec_lo, s2
	s_cbranch_execz .LBB53_134
; %bb.133:
	s_wait_dscnt 0x6
	v_xor_b32_e32 v11, 0xfffffdff, v0
                                        ; implicit-def: $vgpr40
	s_delay_alu instid0(VALU_DEP_1) | instskip(SKIP_2) | instid1(VALU_DEP_2)
	v_ashrrev_i32_e32 v12, 31, v11
	v_add_co_u32 v11, vcc_lo, v19, v11
	s_wait_alu 0xfffd
	v_add_co_ci_u32_e64 v12, null, v20, v12, vcc_lo
.LBB53_134:
	s_wait_alu 0xfffe
	s_and_not1_saveexec_b32 s2, s2
	s_cbranch_execz .LBB53_136
; %bb.135:
	s_wait_dscnt 0x6
	v_add_co_u32 v11, vcc_lo, v15, v40
	s_wait_alu 0xfffd
	v_add_co_ci_u32_e64 v12, null, 0, v17, vcc_lo
.LBB53_136:
	s_wait_alu 0xfffe
	s_or_b32 exec_lo, exec_lo, s2
	s_wait_dscnt 0x6
	s_delay_alu instid0(VALU_DEP_1) | instskip(NEXT) | instid1(VALU_DEP_1)
	v_lshlrev_b64_e32 v[11:12], 2, v[11:12]
	v_add_co_u32 v11, vcc_lo, s10, v11
	s_wait_alu 0xfffd
	s_delay_alu instid0(VALU_DEP_2) | instskip(SKIP_3) | instid1(SALU_CYCLE_1)
	v_add_co_ci_u32_e64 v12, null, s11, v12, vcc_lo
	s_wait_dscnt 0x5
	global_store_b32 v[11:12], v9, off
	s_or_b32 exec_lo, exec_lo, s1
	s_mov_b32 s1, exec_lo
	v_cmpx_gt_u32_e64 s23, v39
	s_cbranch_execnz .LBB53_168
.LBB53_137:
	s_wait_alu 0xfffe
	s_or_b32 exec_lo, exec_lo, s1
	s_delay_alu instid0(SALU_CYCLE_1)
	s_mov_b32 s1, exec_lo
	v_cmpx_gt_u32_e64 s23, v38
	s_cbranch_execz .LBB53_173
.LBB53_138:
	s_mov_b32 s2, exec_lo
                                        ; implicit-def: $vgpr9_vgpr10
	v_cmpx_ge_u32_e64 v38, v16
	s_wait_alu 0xfffe
	s_xor_b32 s2, exec_lo, s2
	s_cbranch_execz .LBB53_140
; %bb.139:
	s_wait_dscnt 0x5
	v_xor_b32_e32 v9, 0xfffffbff, v0
                                        ; implicit-def: $vgpr38
	s_delay_alu instid0(VALU_DEP_1) | instskip(SKIP_2) | instid1(VALU_DEP_2)
	v_ashrrev_i32_e32 v10, 31, v9
	v_add_co_u32 v9, vcc_lo, v19, v9
	s_wait_alu 0xfffd
	v_add_co_ci_u32_e64 v10, null, v20, v10, vcc_lo
.LBB53_140:
	s_wait_alu 0xfffe
	s_and_not1_saveexec_b32 s2, s2
	s_cbranch_execz .LBB53_142
; %bb.141:
	s_wait_dscnt 0x5
	v_add_co_u32 v9, vcc_lo, v15, v38
	s_wait_alu 0xfffd
	v_add_co_ci_u32_e64 v10, null, 0, v17, vcc_lo
.LBB53_142:
	s_wait_alu 0xfffe
	s_or_b32 exec_lo, exec_lo, s2
	s_wait_dscnt 0x5
	s_delay_alu instid0(VALU_DEP_1) | instskip(NEXT) | instid1(VALU_DEP_1)
	v_lshlrev_b64_e32 v[9:10], 2, v[9:10]
	v_add_co_u32 v9, vcc_lo, s10, v9
	s_wait_alu 0xfffd
	s_delay_alu instid0(VALU_DEP_2) | instskip(SKIP_3) | instid1(SALU_CYCLE_1)
	v_add_co_ci_u32_e64 v10, null, s11, v10, vcc_lo
	s_wait_dscnt 0x4
	global_store_b32 v[9:10], v7, off
	s_or_b32 exec_lo, exec_lo, s1
	s_mov_b32 s1, exec_lo
	v_cmpx_gt_u32_e64 s23, v37
	s_cbranch_execnz .LBB53_174
.LBB53_143:
	s_wait_alu 0xfffe
	s_or_b32 exec_lo, exec_lo, s1
	s_delay_alu instid0(SALU_CYCLE_1)
	s_mov_b32 s1, exec_lo
	v_cmpx_gt_u32_e64 s23, v36
	s_cbranch_execz .LBB53_179
.LBB53_144:
	s_mov_b32 s2, exec_lo
                                        ; implicit-def: $vgpr7_vgpr8
	v_cmpx_ge_u32_e64 v36, v16
	s_wait_alu 0xfffe
	s_xor_b32 s2, exec_lo, s2
	s_cbranch_execz .LBB53_146
; %bb.145:
	s_wait_dscnt 0x4
	v_xor_b32_e32 v7, 0xfffff9ff, v0
                                        ; implicit-def: $vgpr36
	s_delay_alu instid0(VALU_DEP_1) | instskip(SKIP_2) | instid1(VALU_DEP_2)
	v_ashrrev_i32_e32 v8, 31, v7
	v_add_co_u32 v7, vcc_lo, v19, v7
	s_wait_alu 0xfffd
	v_add_co_ci_u32_e64 v8, null, v20, v8, vcc_lo
.LBB53_146:
	s_wait_alu 0xfffe
	s_and_not1_saveexec_b32 s2, s2
	s_cbranch_execz .LBB53_148
; %bb.147:
	s_wait_dscnt 0x4
	v_add_co_u32 v7, vcc_lo, v15, v36
	s_wait_alu 0xfffd
	v_add_co_ci_u32_e64 v8, null, 0, v17, vcc_lo
.LBB53_148:
	s_wait_alu 0xfffe
	s_or_b32 exec_lo, exec_lo, s2
	s_wait_dscnt 0x4
	s_delay_alu instid0(VALU_DEP_1) | instskip(NEXT) | instid1(VALU_DEP_1)
	v_lshlrev_b64_e32 v[7:8], 2, v[7:8]
	v_add_co_u32 v7, vcc_lo, s10, v7
	s_wait_alu 0xfffd
	s_delay_alu instid0(VALU_DEP_2) | instskip(SKIP_3) | instid1(SALU_CYCLE_1)
	v_add_co_ci_u32_e64 v8, null, s11, v8, vcc_lo
	s_wait_dscnt 0x3
	global_store_b32 v[7:8], v5, off
	s_or_b32 exec_lo, exec_lo, s1
	s_mov_b32 s1, exec_lo
	v_cmpx_gt_u32_e64 s23, v35
	s_cbranch_execnz .LBB53_180
.LBB53_149:
	s_wait_alu 0xfffe
	s_or_b32 exec_lo, exec_lo, s1
	s_delay_alu instid0(SALU_CYCLE_1)
	s_mov_b32 s1, exec_lo
	v_cmpx_gt_u32_e64 s23, v34
	s_cbranch_execz .LBB53_185
.LBB53_150:
	s_mov_b32 s2, exec_lo
                                        ; implicit-def: $vgpr5_vgpr6
	v_cmpx_ge_u32_e64 v34, v16
	s_wait_alu 0xfffe
	s_xor_b32 s2, exec_lo, s2
	s_cbranch_execz .LBB53_152
; %bb.151:
	s_wait_dscnt 0x3
	v_xor_b32_e32 v5, 0xfffff7ff, v0
                                        ; implicit-def: $vgpr34
	s_delay_alu instid0(VALU_DEP_1) | instskip(SKIP_2) | instid1(VALU_DEP_2)
	v_ashrrev_i32_e32 v6, 31, v5
	v_add_co_u32 v5, vcc_lo, v19, v5
	s_wait_alu 0xfffd
	v_add_co_ci_u32_e64 v6, null, v20, v6, vcc_lo
.LBB53_152:
	s_wait_alu 0xfffe
	s_and_not1_saveexec_b32 s2, s2
	s_cbranch_execz .LBB53_154
; %bb.153:
	s_wait_dscnt 0x3
	v_add_co_u32 v5, vcc_lo, v15, v34
	s_wait_alu 0xfffd
	v_add_co_ci_u32_e64 v6, null, 0, v17, vcc_lo
.LBB53_154:
	s_wait_alu 0xfffe
	s_or_b32 exec_lo, exec_lo, s2
	s_wait_dscnt 0x3
	s_delay_alu instid0(VALU_DEP_1) | instskip(NEXT) | instid1(VALU_DEP_1)
	v_lshlrev_b64_e32 v[5:6], 2, v[5:6]
	v_add_co_u32 v5, vcc_lo, s10, v5
	s_wait_alu 0xfffd
	s_delay_alu instid0(VALU_DEP_2) | instskip(SKIP_3) | instid1(SALU_CYCLE_1)
	v_add_co_ci_u32_e64 v6, null, s11, v6, vcc_lo
	s_wait_dscnt 0x2
	global_store_b32 v[5:6], v3, off
	s_or_b32 exec_lo, exec_lo, s1
	s_mov_b32 s1, exec_lo
	v_cmpx_gt_u32_e64 s23, v33
	s_cbranch_execnz .LBB53_186
.LBB53_155:
	s_wait_alu 0xfffe
	s_or_b32 exec_lo, exec_lo, s1
	s_delay_alu instid0(SALU_CYCLE_1)
	s_mov_b32 s1, exec_lo
	v_cmpx_gt_u32_e64 s23, v32
	s_cbranch_execz .LBB53_191
.LBB53_156:
	s_mov_b32 s2, exec_lo
                                        ; implicit-def: $vgpr3_vgpr4
	v_cmpx_ge_u32_e64 v32, v16
	s_wait_alu 0xfffe
	s_xor_b32 s2, exec_lo, s2
	s_cbranch_execz .LBB53_158
; %bb.157:
	s_wait_dscnt 0x2
	v_xor_b32_e32 v3, 0xfffff5ff, v0
                                        ; implicit-def: $vgpr32
	s_delay_alu instid0(VALU_DEP_1) | instskip(SKIP_2) | instid1(VALU_DEP_2)
	v_ashrrev_i32_e32 v4, 31, v3
	v_add_co_u32 v3, vcc_lo, v19, v3
	s_wait_alu 0xfffd
	v_add_co_ci_u32_e64 v4, null, v20, v4, vcc_lo
.LBB53_158:
	s_wait_alu 0xfffe
	s_and_not1_saveexec_b32 s2, s2
	s_cbranch_execz .LBB53_160
; %bb.159:
	s_wait_dscnt 0x2
	v_add_co_u32 v3, vcc_lo, v15, v32
	s_wait_alu 0xfffd
	v_add_co_ci_u32_e64 v4, null, 0, v17, vcc_lo
.LBB53_160:
	s_wait_alu 0xfffe
	s_or_b32 exec_lo, exec_lo, s2
	s_wait_dscnt 0x2
	s_delay_alu instid0(VALU_DEP_1) | instskip(NEXT) | instid1(VALU_DEP_1)
	v_lshlrev_b64_e32 v[3:4], 2, v[3:4]
	v_add_co_u32 v3, vcc_lo, s10, v3
	s_wait_alu 0xfffd
	s_delay_alu instid0(VALU_DEP_2) | instskip(SKIP_3) | instid1(SALU_CYCLE_1)
	v_add_co_ci_u32_e64 v4, null, s11, v4, vcc_lo
	s_wait_dscnt 0x1
	global_store_b32 v[3:4], v1, off
	s_or_b32 exec_lo, exec_lo, s1
	s_mov_b32 s1, exec_lo
	v_cmpx_gt_u32_e64 s23, v31
	s_cbranch_execz .LBB53_197
	s_branch .LBB53_192
.LBB53_161:
	s_wait_alu 0xfffe
	s_or_b32 exec_lo, exec_lo, s1
	s_delay_alu instid0(SALU_CYCLE_1)
	s_mov_b32 s1, exec_lo
	v_cmpx_gt_u32_e64 s23, v41
	s_cbranch_execz .LBB53_131
.LBB53_162:
	s_mov_b32 s2, exec_lo
                                        ; implicit-def: $vgpr13_vgpr14
	v_cmpx_ge_u32_e64 v41, v16
	s_wait_alu 0xfffe
	s_xor_b32 s2, exec_lo, s2
	s_cbranch_execz .LBB53_164
; %bb.163:
	s_wait_dscnt 0x6
	v_xor_b32_e32 v11, 0xfffffeff, v0
                                        ; implicit-def: $vgpr41
	s_delay_alu instid0(VALU_DEP_1) | instskip(SKIP_2) | instid1(VALU_DEP_2)
	v_ashrrev_i32_e32 v14, 31, v11
	v_add_co_u32 v13, vcc_lo, v19, v11
	s_wait_alu 0xfffd
	v_add_co_ci_u32_e64 v14, null, v20, v14, vcc_lo
.LBB53_164:
	s_wait_alu 0xfffe
	s_and_not1_saveexec_b32 s2, s2
; %bb.165:
	v_add_co_u32 v13, vcc_lo, v15, v41
	s_wait_alu 0xfffd
	v_add_co_ci_u32_e64 v14, null, 0, v17, vcc_lo
; %bb.166:
	s_wait_alu 0xfffe
	s_or_b32 exec_lo, exec_lo, s2
	s_delay_alu instid0(VALU_DEP_1) | instskip(NEXT) | instid1(VALU_DEP_1)
	v_lshlrev_b64_e32 v[13:14], 2, v[13:14]
	v_add_co_u32 v13, vcc_lo, s10, v13
	s_wait_alu 0xfffd
	s_delay_alu instid0(VALU_DEP_2) | instskip(SKIP_3) | instid1(SALU_CYCLE_1)
	v_add_co_ci_u32_e64 v14, null, s11, v14, vcc_lo
	s_wait_dscnt 0x6
	global_store_b32 v[13:14], v12, off
	s_or_b32 exec_lo, exec_lo, s1
	s_mov_b32 s1, exec_lo
	v_cmpx_gt_u32_e64 s23, v40
	s_cbranch_execnz .LBB53_132
.LBB53_167:
	s_wait_alu 0xfffe
	s_or_b32 exec_lo, exec_lo, s1
	s_delay_alu instid0(SALU_CYCLE_1)
	s_mov_b32 s1, exec_lo
	v_cmpx_gt_u32_e64 s23, v39
	s_cbranch_execz .LBB53_137
.LBB53_168:
	s_mov_b32 s2, exec_lo
                                        ; implicit-def: $vgpr11_vgpr12
	v_cmpx_ge_u32_e64 v39, v16
	s_wait_alu 0xfffe
	s_xor_b32 s2, exec_lo, s2
	s_cbranch_execz .LBB53_170
; %bb.169:
	s_wait_dscnt 0x5
	v_xor_b32_e32 v9, 0xfffffcff, v0
                                        ; implicit-def: $vgpr39
	s_delay_alu instid0(VALU_DEP_1) | instskip(SKIP_2) | instid1(VALU_DEP_2)
	v_ashrrev_i32_e32 v12, 31, v9
	v_add_co_u32 v11, vcc_lo, v19, v9
	s_wait_alu 0xfffd
	v_add_co_ci_u32_e64 v12, null, v20, v12, vcc_lo
.LBB53_170:
	s_wait_alu 0xfffe
	s_and_not1_saveexec_b32 s2, s2
	s_cbranch_execz .LBB53_172
; %bb.171:
	s_wait_dscnt 0x6
	v_add_co_u32 v11, vcc_lo, v15, v39
	s_wait_alu 0xfffd
	v_add_co_ci_u32_e64 v12, null, 0, v17, vcc_lo
.LBB53_172:
	s_wait_alu 0xfffe
	s_or_b32 exec_lo, exec_lo, s2
	s_wait_dscnt 0x6
	s_delay_alu instid0(VALU_DEP_1) | instskip(NEXT) | instid1(VALU_DEP_1)
	v_lshlrev_b64_e32 v[11:12], 2, v[11:12]
	v_add_co_u32 v11, vcc_lo, s10, v11
	s_wait_alu 0xfffd
	s_delay_alu instid0(VALU_DEP_2) | instskip(SKIP_3) | instid1(SALU_CYCLE_1)
	v_add_co_ci_u32_e64 v12, null, s11, v12, vcc_lo
	s_wait_dscnt 0x5
	global_store_b32 v[11:12], v10, off
	s_or_b32 exec_lo, exec_lo, s1
	s_mov_b32 s1, exec_lo
	v_cmpx_gt_u32_e64 s23, v38
	s_cbranch_execnz .LBB53_138
.LBB53_173:
	s_wait_alu 0xfffe
	s_or_b32 exec_lo, exec_lo, s1
	s_delay_alu instid0(SALU_CYCLE_1)
	s_mov_b32 s1, exec_lo
	v_cmpx_gt_u32_e64 s23, v37
	s_cbranch_execz .LBB53_143
.LBB53_174:
	s_mov_b32 s2, exec_lo
                                        ; implicit-def: $vgpr9_vgpr10
	v_cmpx_ge_u32_e64 v37, v16
	s_wait_alu 0xfffe
	s_xor_b32 s2, exec_lo, s2
	s_cbranch_execz .LBB53_176
; %bb.175:
	s_wait_dscnt 0x4
	v_xor_b32_e32 v7, 0xfffffaff, v0
                                        ; implicit-def: $vgpr37
	s_delay_alu instid0(VALU_DEP_1) | instskip(SKIP_2) | instid1(VALU_DEP_2)
	v_ashrrev_i32_e32 v10, 31, v7
	v_add_co_u32 v9, vcc_lo, v19, v7
	s_wait_alu 0xfffd
	v_add_co_ci_u32_e64 v10, null, v20, v10, vcc_lo
.LBB53_176:
	s_wait_alu 0xfffe
	s_and_not1_saveexec_b32 s2, s2
	s_cbranch_execz .LBB53_178
; %bb.177:
	s_wait_dscnt 0x5
	v_add_co_u32 v9, vcc_lo, v15, v37
	s_wait_alu 0xfffd
	v_add_co_ci_u32_e64 v10, null, 0, v17, vcc_lo
.LBB53_178:
	s_wait_alu 0xfffe
	s_or_b32 exec_lo, exec_lo, s2
	s_wait_dscnt 0x5
	s_delay_alu instid0(VALU_DEP_1) | instskip(NEXT) | instid1(VALU_DEP_1)
	v_lshlrev_b64_e32 v[9:10], 2, v[9:10]
	v_add_co_u32 v9, vcc_lo, s10, v9
	s_wait_alu 0xfffd
	s_delay_alu instid0(VALU_DEP_2) | instskip(SKIP_3) | instid1(SALU_CYCLE_1)
	v_add_co_ci_u32_e64 v10, null, s11, v10, vcc_lo
	s_wait_dscnt 0x4
	global_store_b32 v[9:10], v8, off
	s_or_b32 exec_lo, exec_lo, s1
	s_mov_b32 s1, exec_lo
	v_cmpx_gt_u32_e64 s23, v36
	s_cbranch_execnz .LBB53_144
.LBB53_179:
	s_wait_alu 0xfffe
	s_or_b32 exec_lo, exec_lo, s1
	s_delay_alu instid0(SALU_CYCLE_1)
	s_mov_b32 s1, exec_lo
	v_cmpx_gt_u32_e64 s23, v35
	s_cbranch_execz .LBB53_149
.LBB53_180:
	s_mov_b32 s2, exec_lo
                                        ; implicit-def: $vgpr7_vgpr8
	v_cmpx_ge_u32_e64 v35, v16
	s_wait_alu 0xfffe
	s_xor_b32 s2, exec_lo, s2
	s_cbranch_execz .LBB53_182
; %bb.181:
	s_wait_dscnt 0x3
	v_xor_b32_e32 v5, 0xfffff8ff, v0
                                        ; implicit-def: $vgpr35
	s_delay_alu instid0(VALU_DEP_1) | instskip(SKIP_2) | instid1(VALU_DEP_2)
	v_ashrrev_i32_e32 v8, 31, v5
	v_add_co_u32 v7, vcc_lo, v19, v5
	s_wait_alu 0xfffd
	v_add_co_ci_u32_e64 v8, null, v20, v8, vcc_lo
.LBB53_182:
	s_wait_alu 0xfffe
	s_and_not1_saveexec_b32 s2, s2
	s_cbranch_execz .LBB53_184
; %bb.183:
	s_wait_dscnt 0x4
	v_add_co_u32 v7, vcc_lo, v15, v35
	s_wait_alu 0xfffd
	v_add_co_ci_u32_e64 v8, null, 0, v17, vcc_lo
.LBB53_184:
	s_wait_alu 0xfffe
	s_or_b32 exec_lo, exec_lo, s2
	s_wait_dscnt 0x4
	s_delay_alu instid0(VALU_DEP_1) | instskip(NEXT) | instid1(VALU_DEP_1)
	v_lshlrev_b64_e32 v[7:8], 2, v[7:8]
	v_add_co_u32 v7, vcc_lo, s10, v7
	s_wait_alu 0xfffd
	s_delay_alu instid0(VALU_DEP_2) | instskip(SKIP_3) | instid1(SALU_CYCLE_1)
	v_add_co_ci_u32_e64 v8, null, s11, v8, vcc_lo
	s_wait_dscnt 0x3
	global_store_b32 v[7:8], v6, off
	s_or_b32 exec_lo, exec_lo, s1
	s_mov_b32 s1, exec_lo
	v_cmpx_gt_u32_e64 s23, v34
	s_cbranch_execnz .LBB53_150
.LBB53_185:
	s_wait_alu 0xfffe
	s_or_b32 exec_lo, exec_lo, s1
	s_delay_alu instid0(SALU_CYCLE_1)
	s_mov_b32 s1, exec_lo
	v_cmpx_gt_u32_e64 s23, v33
	s_cbranch_execz .LBB53_155
.LBB53_186:
	s_mov_b32 s2, exec_lo
                                        ; implicit-def: $vgpr5_vgpr6
	v_cmpx_ge_u32_e64 v33, v16
	s_wait_alu 0xfffe
	s_xor_b32 s2, exec_lo, s2
	s_cbranch_execz .LBB53_188
; %bb.187:
	s_wait_dscnt 0x2
	v_xor_b32_e32 v3, 0xfffff6ff, v0
                                        ; implicit-def: $vgpr33
	s_delay_alu instid0(VALU_DEP_1) | instskip(SKIP_2) | instid1(VALU_DEP_2)
	v_ashrrev_i32_e32 v6, 31, v3
	v_add_co_u32 v5, vcc_lo, v19, v3
	s_wait_alu 0xfffd
	v_add_co_ci_u32_e64 v6, null, v20, v6, vcc_lo
.LBB53_188:
	s_wait_alu 0xfffe
	s_and_not1_saveexec_b32 s2, s2
	s_cbranch_execz .LBB53_190
; %bb.189:
	s_wait_dscnt 0x3
	v_add_co_u32 v5, vcc_lo, v15, v33
	s_wait_alu 0xfffd
	v_add_co_ci_u32_e64 v6, null, 0, v17, vcc_lo
.LBB53_190:
	s_wait_alu 0xfffe
	s_or_b32 exec_lo, exec_lo, s2
	s_wait_dscnt 0x3
	s_delay_alu instid0(VALU_DEP_1) | instskip(NEXT) | instid1(VALU_DEP_1)
	v_lshlrev_b64_e32 v[5:6], 2, v[5:6]
	v_add_co_u32 v5, vcc_lo, s10, v5
	s_wait_alu 0xfffd
	s_delay_alu instid0(VALU_DEP_2) | instskip(SKIP_3) | instid1(SALU_CYCLE_1)
	v_add_co_ci_u32_e64 v6, null, s11, v6, vcc_lo
	s_wait_dscnt 0x2
	global_store_b32 v[5:6], v4, off
	s_or_b32 exec_lo, exec_lo, s1
	s_mov_b32 s1, exec_lo
	v_cmpx_gt_u32_e64 s23, v32
	s_cbranch_execnz .LBB53_156
.LBB53_191:
	s_wait_alu 0xfffe
	s_or_b32 exec_lo, exec_lo, s1
	s_delay_alu instid0(SALU_CYCLE_1)
	s_mov_b32 s1, exec_lo
	v_cmpx_gt_u32_e64 s23, v31
	s_cbranch_execz .LBB53_197
.LBB53_192:
	s_mov_b32 s2, exec_lo
                                        ; implicit-def: $vgpr3_vgpr4
	v_cmpx_ge_u32_e64 v31, v16
	s_wait_alu 0xfffe
	s_xor_b32 s2, exec_lo, s2
	s_cbranch_execz .LBB53_194
; %bb.193:
	s_wait_dscnt 0x1
	v_xor_b32_e32 v1, 0xfffff4ff, v0
                                        ; implicit-def: $vgpr31
	s_delay_alu instid0(VALU_DEP_1) | instskip(SKIP_2) | instid1(VALU_DEP_2)
	v_ashrrev_i32_e32 v4, 31, v1
	v_add_co_u32 v3, vcc_lo, v19, v1
	s_wait_alu 0xfffd
	v_add_co_ci_u32_e64 v4, null, v20, v4, vcc_lo
.LBB53_194:
	s_wait_alu 0xfffe
	s_and_not1_saveexec_b32 s2, s2
	s_cbranch_execz .LBB53_196
; %bb.195:
	s_wait_dscnt 0x2
	v_add_co_u32 v3, vcc_lo, v15, v31
	s_wait_alu 0xfffd
	v_add_co_ci_u32_e64 v4, null, 0, v17, vcc_lo
.LBB53_196:
	s_wait_alu 0xfffe
	s_or_b32 exec_lo, exec_lo, s2
	s_wait_dscnt 0x2
	s_delay_alu instid0(VALU_DEP_1) | instskip(NEXT) | instid1(VALU_DEP_1)
	v_lshlrev_b64_e32 v[3:4], 2, v[3:4]
	v_add_co_u32 v3, vcc_lo, s10, v3
	s_wait_alu 0xfffd
	s_delay_alu instid0(VALU_DEP_2)
	v_add_co_ci_u32_e64 v4, null, s11, v4, vcc_lo
	s_wait_dscnt 0x1
	global_store_b32 v[3:4], v2, off
.LBB53_197:
	s_wait_alu 0xfffe
	s_or_b32 exec_lo, exec_lo, s1
	s_delay_alu instid0(SALU_CYCLE_1)
	s_mov_b32 s1, exec_lo
                                        ; implicit-def: $vgpr13_vgpr14
	v_cmpx_gt_u32_e64 s23, v30
	s_cbranch_execz .LBB53_203
; %bb.198:
	s_mov_b32 s2, exec_lo
                                        ; implicit-def: $vgpr13_vgpr14
	v_cmpx_ge_u32_e64 v30, v16
	s_wait_alu 0xfffe
	s_xor_b32 s2, exec_lo, s2
	s_cbranch_execz .LBB53_200
; %bb.199:
	s_wait_dscnt 0x1
	v_xor_b32_e32 v1, 0xfffff3ff, v0
                                        ; implicit-def: $vgpr30
	s_delay_alu instid0(VALU_DEP_1) | instskip(SKIP_2) | instid1(VALU_DEP_2)
	v_ashrrev_i32_e32 v2, 31, v1
	v_add_co_u32 v13, vcc_lo, v19, v1
	s_wait_alu 0xfffd
	v_add_co_ci_u32_e64 v14, null, v20, v2, vcc_lo
.LBB53_200:
	s_wait_alu 0xfffe
	s_and_not1_saveexec_b32 s2, s2
; %bb.201:
	v_add_co_u32 v13, vcc_lo, v15, v30
	s_wait_alu 0xfffd
	v_add_co_ci_u32_e64 v14, null, 0, v17, vcc_lo
; %bb.202:
	s_wait_alu 0xfffe
	s_or_b32 exec_lo, exec_lo, s2
	s_delay_alu instid0(SALU_CYCLE_1)
	s_or_b32 s0, s0, exec_lo
.LBB53_203:
	s_wait_alu 0xfffe
	s_or_b32 exec_lo, exec_lo, s1
.LBB53_204:
	s_wait_alu 0xfffe
	s_and_saveexec_b32 s1, s0
	s_cbranch_execz .LBB53_206
; %bb.205:
	s_wait_dscnt 0x1
	v_lshlrev_b64_e32 v[1:2], 2, v[13:14]
	s_delay_alu instid0(VALU_DEP_1) | instskip(SKIP_1) | instid1(VALU_DEP_2)
	v_add_co_u32 v1, vcc_lo, s10, v1
	s_wait_alu 0xfffd
	v_add_co_ci_u32_e64 v2, null, s11, v2, vcc_lo
	s_wait_dscnt 0x0
	global_store_b32 v[1:2], v18, off
.LBB53_206:
	s_wait_alu 0xfffe
	s_or_b32 exec_lo, exec_lo, s1
	v_cmp_eq_u32_e32 vcc_lo, 0, v0
	s_and_b32 s0, vcc_lo, s22
	s_wait_alu 0xfffe
	s_and_saveexec_b32 s1, s0
	s_cbranch_execz .LBB53_208
; %bb.207:
	v_add_co_u32 v0, vcc_lo, v15, v16
	s_wait_dscnt 0x1
	v_mov_b32_e32 v2, 0
	s_wait_alu 0xfffd
	v_add_co_ci_u32_e64 v1, null, 0, v17, vcc_lo
	global_store_b64 v2, v[0:1], s[8:9]
.LBB53_208:
	s_endpgm
	.section	.rodata,"a",@progbits
	.p2align	6, 0x0
	.amdhsa_kernel _ZN7rocprim17ROCPRIM_400000_NS6detail17trampoline_kernelINS0_13select_configILj256ELj13ELNS0_17block_load_methodE3ELS4_3ELS4_3ELNS0_20block_scan_algorithmE0ELj4294967295EEENS1_25partition_config_selectorILNS1_17partition_subalgoE3EjNS0_10empty_typeEbEEZZNS1_14partition_implILS8_3ELb0ES6_jNS0_17counting_iteratorIjlEEPS9_SE_NS0_5tupleIJPjSE_EEENSF_IJSE_SE_EEES9_SG_JZNS1_25segmented_radix_sort_implINS0_14default_configELb1EPKhPhPKlPlN2at6native12_GLOBAL__N_18offset_tEEE10hipError_tPvRmT1_PNSt15iterator_traitsISY_E10value_typeET2_T3_PNSZ_IS14_E10value_typeET4_jRbjT5_S1A_jjP12ihipStream_tbEUljE_EEESV_SW_SX_S14_S18_S1A_T6_T7_T9_mT8_S1C_bDpT10_ENKUlT_T0_E_clISt17integral_constantIbLb0EES1P_EEDaS1K_S1L_EUlS1K_E_NS1_11comp_targetILNS1_3genE10ELNS1_11target_archE1200ELNS1_3gpuE4ELNS1_3repE0EEENS1_30default_config_static_selectorELNS0_4arch9wavefront6targetE0EEEvSY_
		.amdhsa_group_segment_fixed_size 13320
		.amdhsa_private_segment_fixed_size 0
		.amdhsa_kernarg_size 144
		.amdhsa_user_sgpr_count 2
		.amdhsa_user_sgpr_dispatch_ptr 0
		.amdhsa_user_sgpr_queue_ptr 0
		.amdhsa_user_sgpr_kernarg_segment_ptr 1
		.amdhsa_user_sgpr_dispatch_id 0
		.amdhsa_user_sgpr_private_segment_size 0
		.amdhsa_wavefront_size32 1
		.amdhsa_uses_dynamic_stack 0
		.amdhsa_enable_private_segment 0
		.amdhsa_system_sgpr_workgroup_id_x 1
		.amdhsa_system_sgpr_workgroup_id_y 0
		.amdhsa_system_sgpr_workgroup_id_z 0
		.amdhsa_system_sgpr_workgroup_info 0
		.amdhsa_system_vgpr_workitem_id 0
		.amdhsa_next_free_vgpr 69
		.amdhsa_next_free_sgpr 26
		.amdhsa_reserve_vcc 1
		.amdhsa_float_round_mode_32 0
		.amdhsa_float_round_mode_16_64 0
		.amdhsa_float_denorm_mode_32 3
		.amdhsa_float_denorm_mode_16_64 3
		.amdhsa_fp16_overflow 0
		.amdhsa_workgroup_processor_mode 1
		.amdhsa_memory_ordered 1
		.amdhsa_forward_progress 1
		.amdhsa_inst_pref_size 84
		.amdhsa_round_robin_scheduling 0
		.amdhsa_exception_fp_ieee_invalid_op 0
		.amdhsa_exception_fp_denorm_src 0
		.amdhsa_exception_fp_ieee_div_zero 0
		.amdhsa_exception_fp_ieee_overflow 0
		.amdhsa_exception_fp_ieee_underflow 0
		.amdhsa_exception_fp_ieee_inexact 0
		.amdhsa_exception_int_div_zero 0
	.end_amdhsa_kernel
	.section	.text._ZN7rocprim17ROCPRIM_400000_NS6detail17trampoline_kernelINS0_13select_configILj256ELj13ELNS0_17block_load_methodE3ELS4_3ELS4_3ELNS0_20block_scan_algorithmE0ELj4294967295EEENS1_25partition_config_selectorILNS1_17partition_subalgoE3EjNS0_10empty_typeEbEEZZNS1_14partition_implILS8_3ELb0ES6_jNS0_17counting_iteratorIjlEEPS9_SE_NS0_5tupleIJPjSE_EEENSF_IJSE_SE_EEES9_SG_JZNS1_25segmented_radix_sort_implINS0_14default_configELb1EPKhPhPKlPlN2at6native12_GLOBAL__N_18offset_tEEE10hipError_tPvRmT1_PNSt15iterator_traitsISY_E10value_typeET2_T3_PNSZ_IS14_E10value_typeET4_jRbjT5_S1A_jjP12ihipStream_tbEUljE_EEESV_SW_SX_S14_S18_S1A_T6_T7_T9_mT8_S1C_bDpT10_ENKUlT_T0_E_clISt17integral_constantIbLb0EES1P_EEDaS1K_S1L_EUlS1K_E_NS1_11comp_targetILNS1_3genE10ELNS1_11target_archE1200ELNS1_3gpuE4ELNS1_3repE0EEENS1_30default_config_static_selectorELNS0_4arch9wavefront6targetE0EEEvSY_,"axG",@progbits,_ZN7rocprim17ROCPRIM_400000_NS6detail17trampoline_kernelINS0_13select_configILj256ELj13ELNS0_17block_load_methodE3ELS4_3ELS4_3ELNS0_20block_scan_algorithmE0ELj4294967295EEENS1_25partition_config_selectorILNS1_17partition_subalgoE3EjNS0_10empty_typeEbEEZZNS1_14partition_implILS8_3ELb0ES6_jNS0_17counting_iteratorIjlEEPS9_SE_NS0_5tupleIJPjSE_EEENSF_IJSE_SE_EEES9_SG_JZNS1_25segmented_radix_sort_implINS0_14default_configELb1EPKhPhPKlPlN2at6native12_GLOBAL__N_18offset_tEEE10hipError_tPvRmT1_PNSt15iterator_traitsISY_E10value_typeET2_T3_PNSZ_IS14_E10value_typeET4_jRbjT5_S1A_jjP12ihipStream_tbEUljE_EEESV_SW_SX_S14_S18_S1A_T6_T7_T9_mT8_S1C_bDpT10_ENKUlT_T0_E_clISt17integral_constantIbLb0EES1P_EEDaS1K_S1L_EUlS1K_E_NS1_11comp_targetILNS1_3genE10ELNS1_11target_archE1200ELNS1_3gpuE4ELNS1_3repE0EEENS1_30default_config_static_selectorELNS0_4arch9wavefront6targetE0EEEvSY_,comdat
.Lfunc_end53:
	.size	_ZN7rocprim17ROCPRIM_400000_NS6detail17trampoline_kernelINS0_13select_configILj256ELj13ELNS0_17block_load_methodE3ELS4_3ELS4_3ELNS0_20block_scan_algorithmE0ELj4294967295EEENS1_25partition_config_selectorILNS1_17partition_subalgoE3EjNS0_10empty_typeEbEEZZNS1_14partition_implILS8_3ELb0ES6_jNS0_17counting_iteratorIjlEEPS9_SE_NS0_5tupleIJPjSE_EEENSF_IJSE_SE_EEES9_SG_JZNS1_25segmented_radix_sort_implINS0_14default_configELb1EPKhPhPKlPlN2at6native12_GLOBAL__N_18offset_tEEE10hipError_tPvRmT1_PNSt15iterator_traitsISY_E10value_typeET2_T3_PNSZ_IS14_E10value_typeET4_jRbjT5_S1A_jjP12ihipStream_tbEUljE_EEESV_SW_SX_S14_S18_S1A_T6_T7_T9_mT8_S1C_bDpT10_ENKUlT_T0_E_clISt17integral_constantIbLb0EES1P_EEDaS1K_S1L_EUlS1K_E_NS1_11comp_targetILNS1_3genE10ELNS1_11target_archE1200ELNS1_3gpuE4ELNS1_3repE0EEENS1_30default_config_static_selectorELNS0_4arch9wavefront6targetE0EEEvSY_, .Lfunc_end53-_ZN7rocprim17ROCPRIM_400000_NS6detail17trampoline_kernelINS0_13select_configILj256ELj13ELNS0_17block_load_methodE3ELS4_3ELS4_3ELNS0_20block_scan_algorithmE0ELj4294967295EEENS1_25partition_config_selectorILNS1_17partition_subalgoE3EjNS0_10empty_typeEbEEZZNS1_14partition_implILS8_3ELb0ES6_jNS0_17counting_iteratorIjlEEPS9_SE_NS0_5tupleIJPjSE_EEENSF_IJSE_SE_EEES9_SG_JZNS1_25segmented_radix_sort_implINS0_14default_configELb1EPKhPhPKlPlN2at6native12_GLOBAL__N_18offset_tEEE10hipError_tPvRmT1_PNSt15iterator_traitsISY_E10value_typeET2_T3_PNSZ_IS14_E10value_typeET4_jRbjT5_S1A_jjP12ihipStream_tbEUljE_EEESV_SW_SX_S14_S18_S1A_T6_T7_T9_mT8_S1C_bDpT10_ENKUlT_T0_E_clISt17integral_constantIbLb0EES1P_EEDaS1K_S1L_EUlS1K_E_NS1_11comp_targetILNS1_3genE10ELNS1_11target_archE1200ELNS1_3gpuE4ELNS1_3repE0EEENS1_30default_config_static_selectorELNS0_4arch9wavefront6targetE0EEEvSY_
                                        ; -- End function
	.set _ZN7rocprim17ROCPRIM_400000_NS6detail17trampoline_kernelINS0_13select_configILj256ELj13ELNS0_17block_load_methodE3ELS4_3ELS4_3ELNS0_20block_scan_algorithmE0ELj4294967295EEENS1_25partition_config_selectorILNS1_17partition_subalgoE3EjNS0_10empty_typeEbEEZZNS1_14partition_implILS8_3ELb0ES6_jNS0_17counting_iteratorIjlEEPS9_SE_NS0_5tupleIJPjSE_EEENSF_IJSE_SE_EEES9_SG_JZNS1_25segmented_radix_sort_implINS0_14default_configELb1EPKhPhPKlPlN2at6native12_GLOBAL__N_18offset_tEEE10hipError_tPvRmT1_PNSt15iterator_traitsISY_E10value_typeET2_T3_PNSZ_IS14_E10value_typeET4_jRbjT5_S1A_jjP12ihipStream_tbEUljE_EEESV_SW_SX_S14_S18_S1A_T6_T7_T9_mT8_S1C_bDpT10_ENKUlT_T0_E_clISt17integral_constantIbLb0EES1P_EEDaS1K_S1L_EUlS1K_E_NS1_11comp_targetILNS1_3genE10ELNS1_11target_archE1200ELNS1_3gpuE4ELNS1_3repE0EEENS1_30default_config_static_selectorELNS0_4arch9wavefront6targetE0EEEvSY_.num_vgpr, 69
	.set _ZN7rocprim17ROCPRIM_400000_NS6detail17trampoline_kernelINS0_13select_configILj256ELj13ELNS0_17block_load_methodE3ELS4_3ELS4_3ELNS0_20block_scan_algorithmE0ELj4294967295EEENS1_25partition_config_selectorILNS1_17partition_subalgoE3EjNS0_10empty_typeEbEEZZNS1_14partition_implILS8_3ELb0ES6_jNS0_17counting_iteratorIjlEEPS9_SE_NS0_5tupleIJPjSE_EEENSF_IJSE_SE_EEES9_SG_JZNS1_25segmented_radix_sort_implINS0_14default_configELb1EPKhPhPKlPlN2at6native12_GLOBAL__N_18offset_tEEE10hipError_tPvRmT1_PNSt15iterator_traitsISY_E10value_typeET2_T3_PNSZ_IS14_E10value_typeET4_jRbjT5_S1A_jjP12ihipStream_tbEUljE_EEESV_SW_SX_S14_S18_S1A_T6_T7_T9_mT8_S1C_bDpT10_ENKUlT_T0_E_clISt17integral_constantIbLb0EES1P_EEDaS1K_S1L_EUlS1K_E_NS1_11comp_targetILNS1_3genE10ELNS1_11target_archE1200ELNS1_3gpuE4ELNS1_3repE0EEENS1_30default_config_static_selectorELNS0_4arch9wavefront6targetE0EEEvSY_.num_agpr, 0
	.set _ZN7rocprim17ROCPRIM_400000_NS6detail17trampoline_kernelINS0_13select_configILj256ELj13ELNS0_17block_load_methodE3ELS4_3ELS4_3ELNS0_20block_scan_algorithmE0ELj4294967295EEENS1_25partition_config_selectorILNS1_17partition_subalgoE3EjNS0_10empty_typeEbEEZZNS1_14partition_implILS8_3ELb0ES6_jNS0_17counting_iteratorIjlEEPS9_SE_NS0_5tupleIJPjSE_EEENSF_IJSE_SE_EEES9_SG_JZNS1_25segmented_radix_sort_implINS0_14default_configELb1EPKhPhPKlPlN2at6native12_GLOBAL__N_18offset_tEEE10hipError_tPvRmT1_PNSt15iterator_traitsISY_E10value_typeET2_T3_PNSZ_IS14_E10value_typeET4_jRbjT5_S1A_jjP12ihipStream_tbEUljE_EEESV_SW_SX_S14_S18_S1A_T6_T7_T9_mT8_S1C_bDpT10_ENKUlT_T0_E_clISt17integral_constantIbLb0EES1P_EEDaS1K_S1L_EUlS1K_E_NS1_11comp_targetILNS1_3genE10ELNS1_11target_archE1200ELNS1_3gpuE4ELNS1_3repE0EEENS1_30default_config_static_selectorELNS0_4arch9wavefront6targetE0EEEvSY_.numbered_sgpr, 26
	.set _ZN7rocprim17ROCPRIM_400000_NS6detail17trampoline_kernelINS0_13select_configILj256ELj13ELNS0_17block_load_methodE3ELS4_3ELS4_3ELNS0_20block_scan_algorithmE0ELj4294967295EEENS1_25partition_config_selectorILNS1_17partition_subalgoE3EjNS0_10empty_typeEbEEZZNS1_14partition_implILS8_3ELb0ES6_jNS0_17counting_iteratorIjlEEPS9_SE_NS0_5tupleIJPjSE_EEENSF_IJSE_SE_EEES9_SG_JZNS1_25segmented_radix_sort_implINS0_14default_configELb1EPKhPhPKlPlN2at6native12_GLOBAL__N_18offset_tEEE10hipError_tPvRmT1_PNSt15iterator_traitsISY_E10value_typeET2_T3_PNSZ_IS14_E10value_typeET4_jRbjT5_S1A_jjP12ihipStream_tbEUljE_EEESV_SW_SX_S14_S18_S1A_T6_T7_T9_mT8_S1C_bDpT10_ENKUlT_T0_E_clISt17integral_constantIbLb0EES1P_EEDaS1K_S1L_EUlS1K_E_NS1_11comp_targetILNS1_3genE10ELNS1_11target_archE1200ELNS1_3gpuE4ELNS1_3repE0EEENS1_30default_config_static_selectorELNS0_4arch9wavefront6targetE0EEEvSY_.num_named_barrier, 0
	.set _ZN7rocprim17ROCPRIM_400000_NS6detail17trampoline_kernelINS0_13select_configILj256ELj13ELNS0_17block_load_methodE3ELS4_3ELS4_3ELNS0_20block_scan_algorithmE0ELj4294967295EEENS1_25partition_config_selectorILNS1_17partition_subalgoE3EjNS0_10empty_typeEbEEZZNS1_14partition_implILS8_3ELb0ES6_jNS0_17counting_iteratorIjlEEPS9_SE_NS0_5tupleIJPjSE_EEENSF_IJSE_SE_EEES9_SG_JZNS1_25segmented_radix_sort_implINS0_14default_configELb1EPKhPhPKlPlN2at6native12_GLOBAL__N_18offset_tEEE10hipError_tPvRmT1_PNSt15iterator_traitsISY_E10value_typeET2_T3_PNSZ_IS14_E10value_typeET4_jRbjT5_S1A_jjP12ihipStream_tbEUljE_EEESV_SW_SX_S14_S18_S1A_T6_T7_T9_mT8_S1C_bDpT10_ENKUlT_T0_E_clISt17integral_constantIbLb0EES1P_EEDaS1K_S1L_EUlS1K_E_NS1_11comp_targetILNS1_3genE10ELNS1_11target_archE1200ELNS1_3gpuE4ELNS1_3repE0EEENS1_30default_config_static_selectorELNS0_4arch9wavefront6targetE0EEEvSY_.private_seg_size, 0
	.set _ZN7rocprim17ROCPRIM_400000_NS6detail17trampoline_kernelINS0_13select_configILj256ELj13ELNS0_17block_load_methodE3ELS4_3ELS4_3ELNS0_20block_scan_algorithmE0ELj4294967295EEENS1_25partition_config_selectorILNS1_17partition_subalgoE3EjNS0_10empty_typeEbEEZZNS1_14partition_implILS8_3ELb0ES6_jNS0_17counting_iteratorIjlEEPS9_SE_NS0_5tupleIJPjSE_EEENSF_IJSE_SE_EEES9_SG_JZNS1_25segmented_radix_sort_implINS0_14default_configELb1EPKhPhPKlPlN2at6native12_GLOBAL__N_18offset_tEEE10hipError_tPvRmT1_PNSt15iterator_traitsISY_E10value_typeET2_T3_PNSZ_IS14_E10value_typeET4_jRbjT5_S1A_jjP12ihipStream_tbEUljE_EEESV_SW_SX_S14_S18_S1A_T6_T7_T9_mT8_S1C_bDpT10_ENKUlT_T0_E_clISt17integral_constantIbLb0EES1P_EEDaS1K_S1L_EUlS1K_E_NS1_11comp_targetILNS1_3genE10ELNS1_11target_archE1200ELNS1_3gpuE4ELNS1_3repE0EEENS1_30default_config_static_selectorELNS0_4arch9wavefront6targetE0EEEvSY_.uses_vcc, 1
	.set _ZN7rocprim17ROCPRIM_400000_NS6detail17trampoline_kernelINS0_13select_configILj256ELj13ELNS0_17block_load_methodE3ELS4_3ELS4_3ELNS0_20block_scan_algorithmE0ELj4294967295EEENS1_25partition_config_selectorILNS1_17partition_subalgoE3EjNS0_10empty_typeEbEEZZNS1_14partition_implILS8_3ELb0ES6_jNS0_17counting_iteratorIjlEEPS9_SE_NS0_5tupleIJPjSE_EEENSF_IJSE_SE_EEES9_SG_JZNS1_25segmented_radix_sort_implINS0_14default_configELb1EPKhPhPKlPlN2at6native12_GLOBAL__N_18offset_tEEE10hipError_tPvRmT1_PNSt15iterator_traitsISY_E10value_typeET2_T3_PNSZ_IS14_E10value_typeET4_jRbjT5_S1A_jjP12ihipStream_tbEUljE_EEESV_SW_SX_S14_S18_S1A_T6_T7_T9_mT8_S1C_bDpT10_ENKUlT_T0_E_clISt17integral_constantIbLb0EES1P_EEDaS1K_S1L_EUlS1K_E_NS1_11comp_targetILNS1_3genE10ELNS1_11target_archE1200ELNS1_3gpuE4ELNS1_3repE0EEENS1_30default_config_static_selectorELNS0_4arch9wavefront6targetE0EEEvSY_.uses_flat_scratch, 0
	.set _ZN7rocprim17ROCPRIM_400000_NS6detail17trampoline_kernelINS0_13select_configILj256ELj13ELNS0_17block_load_methodE3ELS4_3ELS4_3ELNS0_20block_scan_algorithmE0ELj4294967295EEENS1_25partition_config_selectorILNS1_17partition_subalgoE3EjNS0_10empty_typeEbEEZZNS1_14partition_implILS8_3ELb0ES6_jNS0_17counting_iteratorIjlEEPS9_SE_NS0_5tupleIJPjSE_EEENSF_IJSE_SE_EEES9_SG_JZNS1_25segmented_radix_sort_implINS0_14default_configELb1EPKhPhPKlPlN2at6native12_GLOBAL__N_18offset_tEEE10hipError_tPvRmT1_PNSt15iterator_traitsISY_E10value_typeET2_T3_PNSZ_IS14_E10value_typeET4_jRbjT5_S1A_jjP12ihipStream_tbEUljE_EEESV_SW_SX_S14_S18_S1A_T6_T7_T9_mT8_S1C_bDpT10_ENKUlT_T0_E_clISt17integral_constantIbLb0EES1P_EEDaS1K_S1L_EUlS1K_E_NS1_11comp_targetILNS1_3genE10ELNS1_11target_archE1200ELNS1_3gpuE4ELNS1_3repE0EEENS1_30default_config_static_selectorELNS0_4arch9wavefront6targetE0EEEvSY_.has_dyn_sized_stack, 0
	.set _ZN7rocprim17ROCPRIM_400000_NS6detail17trampoline_kernelINS0_13select_configILj256ELj13ELNS0_17block_load_methodE3ELS4_3ELS4_3ELNS0_20block_scan_algorithmE0ELj4294967295EEENS1_25partition_config_selectorILNS1_17partition_subalgoE3EjNS0_10empty_typeEbEEZZNS1_14partition_implILS8_3ELb0ES6_jNS0_17counting_iteratorIjlEEPS9_SE_NS0_5tupleIJPjSE_EEENSF_IJSE_SE_EEES9_SG_JZNS1_25segmented_radix_sort_implINS0_14default_configELb1EPKhPhPKlPlN2at6native12_GLOBAL__N_18offset_tEEE10hipError_tPvRmT1_PNSt15iterator_traitsISY_E10value_typeET2_T3_PNSZ_IS14_E10value_typeET4_jRbjT5_S1A_jjP12ihipStream_tbEUljE_EEESV_SW_SX_S14_S18_S1A_T6_T7_T9_mT8_S1C_bDpT10_ENKUlT_T0_E_clISt17integral_constantIbLb0EES1P_EEDaS1K_S1L_EUlS1K_E_NS1_11comp_targetILNS1_3genE10ELNS1_11target_archE1200ELNS1_3gpuE4ELNS1_3repE0EEENS1_30default_config_static_selectorELNS0_4arch9wavefront6targetE0EEEvSY_.has_recursion, 0
	.set _ZN7rocprim17ROCPRIM_400000_NS6detail17trampoline_kernelINS0_13select_configILj256ELj13ELNS0_17block_load_methodE3ELS4_3ELS4_3ELNS0_20block_scan_algorithmE0ELj4294967295EEENS1_25partition_config_selectorILNS1_17partition_subalgoE3EjNS0_10empty_typeEbEEZZNS1_14partition_implILS8_3ELb0ES6_jNS0_17counting_iteratorIjlEEPS9_SE_NS0_5tupleIJPjSE_EEENSF_IJSE_SE_EEES9_SG_JZNS1_25segmented_radix_sort_implINS0_14default_configELb1EPKhPhPKlPlN2at6native12_GLOBAL__N_18offset_tEEE10hipError_tPvRmT1_PNSt15iterator_traitsISY_E10value_typeET2_T3_PNSZ_IS14_E10value_typeET4_jRbjT5_S1A_jjP12ihipStream_tbEUljE_EEESV_SW_SX_S14_S18_S1A_T6_T7_T9_mT8_S1C_bDpT10_ENKUlT_T0_E_clISt17integral_constantIbLb0EES1P_EEDaS1K_S1L_EUlS1K_E_NS1_11comp_targetILNS1_3genE10ELNS1_11target_archE1200ELNS1_3gpuE4ELNS1_3repE0EEENS1_30default_config_static_selectorELNS0_4arch9wavefront6targetE0EEEvSY_.has_indirect_call, 0
	.section	.AMDGPU.csdata,"",@progbits
; Kernel info:
; codeLenInByte = 10676
; TotalNumSgprs: 28
; NumVgprs: 69
; ScratchSize: 0
; MemoryBound: 0
; FloatMode: 240
; IeeeMode: 1
; LDSByteSize: 13320 bytes/workgroup (compile time only)
; SGPRBlocks: 0
; VGPRBlocks: 8
; NumSGPRsForWavesPerEU: 28
; NumVGPRsForWavesPerEU: 69
; Occupancy: 16
; WaveLimiterHint : 0
; COMPUTE_PGM_RSRC2:SCRATCH_EN: 0
; COMPUTE_PGM_RSRC2:USER_SGPR: 2
; COMPUTE_PGM_RSRC2:TRAP_HANDLER: 0
; COMPUTE_PGM_RSRC2:TGID_X_EN: 1
; COMPUTE_PGM_RSRC2:TGID_Y_EN: 0
; COMPUTE_PGM_RSRC2:TGID_Z_EN: 0
; COMPUTE_PGM_RSRC2:TIDIG_COMP_CNT: 0
	.section	.text._ZN7rocprim17ROCPRIM_400000_NS6detail17trampoline_kernelINS0_13select_configILj256ELj13ELNS0_17block_load_methodE3ELS4_3ELS4_3ELNS0_20block_scan_algorithmE0ELj4294967295EEENS1_25partition_config_selectorILNS1_17partition_subalgoE3EjNS0_10empty_typeEbEEZZNS1_14partition_implILS8_3ELb0ES6_jNS0_17counting_iteratorIjlEEPS9_SE_NS0_5tupleIJPjSE_EEENSF_IJSE_SE_EEES9_SG_JZNS1_25segmented_radix_sort_implINS0_14default_configELb1EPKhPhPKlPlN2at6native12_GLOBAL__N_18offset_tEEE10hipError_tPvRmT1_PNSt15iterator_traitsISY_E10value_typeET2_T3_PNSZ_IS14_E10value_typeET4_jRbjT5_S1A_jjP12ihipStream_tbEUljE_EEESV_SW_SX_S14_S18_S1A_T6_T7_T9_mT8_S1C_bDpT10_ENKUlT_T0_E_clISt17integral_constantIbLb0EES1P_EEDaS1K_S1L_EUlS1K_E_NS1_11comp_targetILNS1_3genE9ELNS1_11target_archE1100ELNS1_3gpuE3ELNS1_3repE0EEENS1_30default_config_static_selectorELNS0_4arch9wavefront6targetE0EEEvSY_,"axG",@progbits,_ZN7rocprim17ROCPRIM_400000_NS6detail17trampoline_kernelINS0_13select_configILj256ELj13ELNS0_17block_load_methodE3ELS4_3ELS4_3ELNS0_20block_scan_algorithmE0ELj4294967295EEENS1_25partition_config_selectorILNS1_17partition_subalgoE3EjNS0_10empty_typeEbEEZZNS1_14partition_implILS8_3ELb0ES6_jNS0_17counting_iteratorIjlEEPS9_SE_NS0_5tupleIJPjSE_EEENSF_IJSE_SE_EEES9_SG_JZNS1_25segmented_radix_sort_implINS0_14default_configELb1EPKhPhPKlPlN2at6native12_GLOBAL__N_18offset_tEEE10hipError_tPvRmT1_PNSt15iterator_traitsISY_E10value_typeET2_T3_PNSZ_IS14_E10value_typeET4_jRbjT5_S1A_jjP12ihipStream_tbEUljE_EEESV_SW_SX_S14_S18_S1A_T6_T7_T9_mT8_S1C_bDpT10_ENKUlT_T0_E_clISt17integral_constantIbLb0EES1P_EEDaS1K_S1L_EUlS1K_E_NS1_11comp_targetILNS1_3genE9ELNS1_11target_archE1100ELNS1_3gpuE3ELNS1_3repE0EEENS1_30default_config_static_selectorELNS0_4arch9wavefront6targetE0EEEvSY_,comdat
	.globl	_ZN7rocprim17ROCPRIM_400000_NS6detail17trampoline_kernelINS0_13select_configILj256ELj13ELNS0_17block_load_methodE3ELS4_3ELS4_3ELNS0_20block_scan_algorithmE0ELj4294967295EEENS1_25partition_config_selectorILNS1_17partition_subalgoE3EjNS0_10empty_typeEbEEZZNS1_14partition_implILS8_3ELb0ES6_jNS0_17counting_iteratorIjlEEPS9_SE_NS0_5tupleIJPjSE_EEENSF_IJSE_SE_EEES9_SG_JZNS1_25segmented_radix_sort_implINS0_14default_configELb1EPKhPhPKlPlN2at6native12_GLOBAL__N_18offset_tEEE10hipError_tPvRmT1_PNSt15iterator_traitsISY_E10value_typeET2_T3_PNSZ_IS14_E10value_typeET4_jRbjT5_S1A_jjP12ihipStream_tbEUljE_EEESV_SW_SX_S14_S18_S1A_T6_T7_T9_mT8_S1C_bDpT10_ENKUlT_T0_E_clISt17integral_constantIbLb0EES1P_EEDaS1K_S1L_EUlS1K_E_NS1_11comp_targetILNS1_3genE9ELNS1_11target_archE1100ELNS1_3gpuE3ELNS1_3repE0EEENS1_30default_config_static_selectorELNS0_4arch9wavefront6targetE0EEEvSY_ ; -- Begin function _ZN7rocprim17ROCPRIM_400000_NS6detail17trampoline_kernelINS0_13select_configILj256ELj13ELNS0_17block_load_methodE3ELS4_3ELS4_3ELNS0_20block_scan_algorithmE0ELj4294967295EEENS1_25partition_config_selectorILNS1_17partition_subalgoE3EjNS0_10empty_typeEbEEZZNS1_14partition_implILS8_3ELb0ES6_jNS0_17counting_iteratorIjlEEPS9_SE_NS0_5tupleIJPjSE_EEENSF_IJSE_SE_EEES9_SG_JZNS1_25segmented_radix_sort_implINS0_14default_configELb1EPKhPhPKlPlN2at6native12_GLOBAL__N_18offset_tEEE10hipError_tPvRmT1_PNSt15iterator_traitsISY_E10value_typeET2_T3_PNSZ_IS14_E10value_typeET4_jRbjT5_S1A_jjP12ihipStream_tbEUljE_EEESV_SW_SX_S14_S18_S1A_T6_T7_T9_mT8_S1C_bDpT10_ENKUlT_T0_E_clISt17integral_constantIbLb0EES1P_EEDaS1K_S1L_EUlS1K_E_NS1_11comp_targetILNS1_3genE9ELNS1_11target_archE1100ELNS1_3gpuE3ELNS1_3repE0EEENS1_30default_config_static_selectorELNS0_4arch9wavefront6targetE0EEEvSY_
	.p2align	8
	.type	_ZN7rocprim17ROCPRIM_400000_NS6detail17trampoline_kernelINS0_13select_configILj256ELj13ELNS0_17block_load_methodE3ELS4_3ELS4_3ELNS0_20block_scan_algorithmE0ELj4294967295EEENS1_25partition_config_selectorILNS1_17partition_subalgoE3EjNS0_10empty_typeEbEEZZNS1_14partition_implILS8_3ELb0ES6_jNS0_17counting_iteratorIjlEEPS9_SE_NS0_5tupleIJPjSE_EEENSF_IJSE_SE_EEES9_SG_JZNS1_25segmented_radix_sort_implINS0_14default_configELb1EPKhPhPKlPlN2at6native12_GLOBAL__N_18offset_tEEE10hipError_tPvRmT1_PNSt15iterator_traitsISY_E10value_typeET2_T3_PNSZ_IS14_E10value_typeET4_jRbjT5_S1A_jjP12ihipStream_tbEUljE_EEESV_SW_SX_S14_S18_S1A_T6_T7_T9_mT8_S1C_bDpT10_ENKUlT_T0_E_clISt17integral_constantIbLb0EES1P_EEDaS1K_S1L_EUlS1K_E_NS1_11comp_targetILNS1_3genE9ELNS1_11target_archE1100ELNS1_3gpuE3ELNS1_3repE0EEENS1_30default_config_static_selectorELNS0_4arch9wavefront6targetE0EEEvSY_,@function
_ZN7rocprim17ROCPRIM_400000_NS6detail17trampoline_kernelINS0_13select_configILj256ELj13ELNS0_17block_load_methodE3ELS4_3ELS4_3ELNS0_20block_scan_algorithmE0ELj4294967295EEENS1_25partition_config_selectorILNS1_17partition_subalgoE3EjNS0_10empty_typeEbEEZZNS1_14partition_implILS8_3ELb0ES6_jNS0_17counting_iteratorIjlEEPS9_SE_NS0_5tupleIJPjSE_EEENSF_IJSE_SE_EEES9_SG_JZNS1_25segmented_radix_sort_implINS0_14default_configELb1EPKhPhPKlPlN2at6native12_GLOBAL__N_18offset_tEEE10hipError_tPvRmT1_PNSt15iterator_traitsISY_E10value_typeET2_T3_PNSZ_IS14_E10value_typeET4_jRbjT5_S1A_jjP12ihipStream_tbEUljE_EEESV_SW_SX_S14_S18_S1A_T6_T7_T9_mT8_S1C_bDpT10_ENKUlT_T0_E_clISt17integral_constantIbLb0EES1P_EEDaS1K_S1L_EUlS1K_E_NS1_11comp_targetILNS1_3genE9ELNS1_11target_archE1100ELNS1_3gpuE3ELNS1_3repE0EEENS1_30default_config_static_selectorELNS0_4arch9wavefront6targetE0EEEvSY_: ; @_ZN7rocprim17ROCPRIM_400000_NS6detail17trampoline_kernelINS0_13select_configILj256ELj13ELNS0_17block_load_methodE3ELS4_3ELS4_3ELNS0_20block_scan_algorithmE0ELj4294967295EEENS1_25partition_config_selectorILNS1_17partition_subalgoE3EjNS0_10empty_typeEbEEZZNS1_14partition_implILS8_3ELb0ES6_jNS0_17counting_iteratorIjlEEPS9_SE_NS0_5tupleIJPjSE_EEENSF_IJSE_SE_EEES9_SG_JZNS1_25segmented_radix_sort_implINS0_14default_configELb1EPKhPhPKlPlN2at6native12_GLOBAL__N_18offset_tEEE10hipError_tPvRmT1_PNSt15iterator_traitsISY_E10value_typeET2_T3_PNSZ_IS14_E10value_typeET4_jRbjT5_S1A_jjP12ihipStream_tbEUljE_EEESV_SW_SX_S14_S18_S1A_T6_T7_T9_mT8_S1C_bDpT10_ENKUlT_T0_E_clISt17integral_constantIbLb0EES1P_EEDaS1K_S1L_EUlS1K_E_NS1_11comp_targetILNS1_3genE9ELNS1_11target_archE1100ELNS1_3gpuE3ELNS1_3repE0EEENS1_30default_config_static_selectorELNS0_4arch9wavefront6targetE0EEEvSY_
; %bb.0:
	.section	.rodata,"a",@progbits
	.p2align	6, 0x0
	.amdhsa_kernel _ZN7rocprim17ROCPRIM_400000_NS6detail17trampoline_kernelINS0_13select_configILj256ELj13ELNS0_17block_load_methodE3ELS4_3ELS4_3ELNS0_20block_scan_algorithmE0ELj4294967295EEENS1_25partition_config_selectorILNS1_17partition_subalgoE3EjNS0_10empty_typeEbEEZZNS1_14partition_implILS8_3ELb0ES6_jNS0_17counting_iteratorIjlEEPS9_SE_NS0_5tupleIJPjSE_EEENSF_IJSE_SE_EEES9_SG_JZNS1_25segmented_radix_sort_implINS0_14default_configELb1EPKhPhPKlPlN2at6native12_GLOBAL__N_18offset_tEEE10hipError_tPvRmT1_PNSt15iterator_traitsISY_E10value_typeET2_T3_PNSZ_IS14_E10value_typeET4_jRbjT5_S1A_jjP12ihipStream_tbEUljE_EEESV_SW_SX_S14_S18_S1A_T6_T7_T9_mT8_S1C_bDpT10_ENKUlT_T0_E_clISt17integral_constantIbLb0EES1P_EEDaS1K_S1L_EUlS1K_E_NS1_11comp_targetILNS1_3genE9ELNS1_11target_archE1100ELNS1_3gpuE3ELNS1_3repE0EEENS1_30default_config_static_selectorELNS0_4arch9wavefront6targetE0EEEvSY_
		.amdhsa_group_segment_fixed_size 0
		.amdhsa_private_segment_fixed_size 0
		.amdhsa_kernarg_size 144
		.amdhsa_user_sgpr_count 2
		.amdhsa_user_sgpr_dispatch_ptr 0
		.amdhsa_user_sgpr_queue_ptr 0
		.amdhsa_user_sgpr_kernarg_segment_ptr 1
		.amdhsa_user_sgpr_dispatch_id 0
		.amdhsa_user_sgpr_private_segment_size 0
		.amdhsa_wavefront_size32 1
		.amdhsa_uses_dynamic_stack 0
		.amdhsa_enable_private_segment 0
		.amdhsa_system_sgpr_workgroup_id_x 1
		.amdhsa_system_sgpr_workgroup_id_y 0
		.amdhsa_system_sgpr_workgroup_id_z 0
		.amdhsa_system_sgpr_workgroup_info 0
		.amdhsa_system_vgpr_workitem_id 0
		.amdhsa_next_free_vgpr 1
		.amdhsa_next_free_sgpr 1
		.amdhsa_reserve_vcc 0
		.amdhsa_float_round_mode_32 0
		.amdhsa_float_round_mode_16_64 0
		.amdhsa_float_denorm_mode_32 3
		.amdhsa_float_denorm_mode_16_64 3
		.amdhsa_fp16_overflow 0
		.amdhsa_workgroup_processor_mode 1
		.amdhsa_memory_ordered 1
		.amdhsa_forward_progress 1
		.amdhsa_inst_pref_size 0
		.amdhsa_round_robin_scheduling 0
		.amdhsa_exception_fp_ieee_invalid_op 0
		.amdhsa_exception_fp_denorm_src 0
		.amdhsa_exception_fp_ieee_div_zero 0
		.amdhsa_exception_fp_ieee_overflow 0
		.amdhsa_exception_fp_ieee_underflow 0
		.amdhsa_exception_fp_ieee_inexact 0
		.amdhsa_exception_int_div_zero 0
	.end_amdhsa_kernel
	.section	.text._ZN7rocprim17ROCPRIM_400000_NS6detail17trampoline_kernelINS0_13select_configILj256ELj13ELNS0_17block_load_methodE3ELS4_3ELS4_3ELNS0_20block_scan_algorithmE0ELj4294967295EEENS1_25partition_config_selectorILNS1_17partition_subalgoE3EjNS0_10empty_typeEbEEZZNS1_14partition_implILS8_3ELb0ES6_jNS0_17counting_iteratorIjlEEPS9_SE_NS0_5tupleIJPjSE_EEENSF_IJSE_SE_EEES9_SG_JZNS1_25segmented_radix_sort_implINS0_14default_configELb1EPKhPhPKlPlN2at6native12_GLOBAL__N_18offset_tEEE10hipError_tPvRmT1_PNSt15iterator_traitsISY_E10value_typeET2_T3_PNSZ_IS14_E10value_typeET4_jRbjT5_S1A_jjP12ihipStream_tbEUljE_EEESV_SW_SX_S14_S18_S1A_T6_T7_T9_mT8_S1C_bDpT10_ENKUlT_T0_E_clISt17integral_constantIbLb0EES1P_EEDaS1K_S1L_EUlS1K_E_NS1_11comp_targetILNS1_3genE9ELNS1_11target_archE1100ELNS1_3gpuE3ELNS1_3repE0EEENS1_30default_config_static_selectorELNS0_4arch9wavefront6targetE0EEEvSY_,"axG",@progbits,_ZN7rocprim17ROCPRIM_400000_NS6detail17trampoline_kernelINS0_13select_configILj256ELj13ELNS0_17block_load_methodE3ELS4_3ELS4_3ELNS0_20block_scan_algorithmE0ELj4294967295EEENS1_25partition_config_selectorILNS1_17partition_subalgoE3EjNS0_10empty_typeEbEEZZNS1_14partition_implILS8_3ELb0ES6_jNS0_17counting_iteratorIjlEEPS9_SE_NS0_5tupleIJPjSE_EEENSF_IJSE_SE_EEES9_SG_JZNS1_25segmented_radix_sort_implINS0_14default_configELb1EPKhPhPKlPlN2at6native12_GLOBAL__N_18offset_tEEE10hipError_tPvRmT1_PNSt15iterator_traitsISY_E10value_typeET2_T3_PNSZ_IS14_E10value_typeET4_jRbjT5_S1A_jjP12ihipStream_tbEUljE_EEESV_SW_SX_S14_S18_S1A_T6_T7_T9_mT8_S1C_bDpT10_ENKUlT_T0_E_clISt17integral_constantIbLb0EES1P_EEDaS1K_S1L_EUlS1K_E_NS1_11comp_targetILNS1_3genE9ELNS1_11target_archE1100ELNS1_3gpuE3ELNS1_3repE0EEENS1_30default_config_static_selectorELNS0_4arch9wavefront6targetE0EEEvSY_,comdat
.Lfunc_end54:
	.size	_ZN7rocprim17ROCPRIM_400000_NS6detail17trampoline_kernelINS0_13select_configILj256ELj13ELNS0_17block_load_methodE3ELS4_3ELS4_3ELNS0_20block_scan_algorithmE0ELj4294967295EEENS1_25partition_config_selectorILNS1_17partition_subalgoE3EjNS0_10empty_typeEbEEZZNS1_14partition_implILS8_3ELb0ES6_jNS0_17counting_iteratorIjlEEPS9_SE_NS0_5tupleIJPjSE_EEENSF_IJSE_SE_EEES9_SG_JZNS1_25segmented_radix_sort_implINS0_14default_configELb1EPKhPhPKlPlN2at6native12_GLOBAL__N_18offset_tEEE10hipError_tPvRmT1_PNSt15iterator_traitsISY_E10value_typeET2_T3_PNSZ_IS14_E10value_typeET4_jRbjT5_S1A_jjP12ihipStream_tbEUljE_EEESV_SW_SX_S14_S18_S1A_T6_T7_T9_mT8_S1C_bDpT10_ENKUlT_T0_E_clISt17integral_constantIbLb0EES1P_EEDaS1K_S1L_EUlS1K_E_NS1_11comp_targetILNS1_3genE9ELNS1_11target_archE1100ELNS1_3gpuE3ELNS1_3repE0EEENS1_30default_config_static_selectorELNS0_4arch9wavefront6targetE0EEEvSY_, .Lfunc_end54-_ZN7rocprim17ROCPRIM_400000_NS6detail17trampoline_kernelINS0_13select_configILj256ELj13ELNS0_17block_load_methodE3ELS4_3ELS4_3ELNS0_20block_scan_algorithmE0ELj4294967295EEENS1_25partition_config_selectorILNS1_17partition_subalgoE3EjNS0_10empty_typeEbEEZZNS1_14partition_implILS8_3ELb0ES6_jNS0_17counting_iteratorIjlEEPS9_SE_NS0_5tupleIJPjSE_EEENSF_IJSE_SE_EEES9_SG_JZNS1_25segmented_radix_sort_implINS0_14default_configELb1EPKhPhPKlPlN2at6native12_GLOBAL__N_18offset_tEEE10hipError_tPvRmT1_PNSt15iterator_traitsISY_E10value_typeET2_T3_PNSZ_IS14_E10value_typeET4_jRbjT5_S1A_jjP12ihipStream_tbEUljE_EEESV_SW_SX_S14_S18_S1A_T6_T7_T9_mT8_S1C_bDpT10_ENKUlT_T0_E_clISt17integral_constantIbLb0EES1P_EEDaS1K_S1L_EUlS1K_E_NS1_11comp_targetILNS1_3genE9ELNS1_11target_archE1100ELNS1_3gpuE3ELNS1_3repE0EEENS1_30default_config_static_selectorELNS0_4arch9wavefront6targetE0EEEvSY_
                                        ; -- End function
	.set _ZN7rocprim17ROCPRIM_400000_NS6detail17trampoline_kernelINS0_13select_configILj256ELj13ELNS0_17block_load_methodE3ELS4_3ELS4_3ELNS0_20block_scan_algorithmE0ELj4294967295EEENS1_25partition_config_selectorILNS1_17partition_subalgoE3EjNS0_10empty_typeEbEEZZNS1_14partition_implILS8_3ELb0ES6_jNS0_17counting_iteratorIjlEEPS9_SE_NS0_5tupleIJPjSE_EEENSF_IJSE_SE_EEES9_SG_JZNS1_25segmented_radix_sort_implINS0_14default_configELb1EPKhPhPKlPlN2at6native12_GLOBAL__N_18offset_tEEE10hipError_tPvRmT1_PNSt15iterator_traitsISY_E10value_typeET2_T3_PNSZ_IS14_E10value_typeET4_jRbjT5_S1A_jjP12ihipStream_tbEUljE_EEESV_SW_SX_S14_S18_S1A_T6_T7_T9_mT8_S1C_bDpT10_ENKUlT_T0_E_clISt17integral_constantIbLb0EES1P_EEDaS1K_S1L_EUlS1K_E_NS1_11comp_targetILNS1_3genE9ELNS1_11target_archE1100ELNS1_3gpuE3ELNS1_3repE0EEENS1_30default_config_static_selectorELNS0_4arch9wavefront6targetE0EEEvSY_.num_vgpr, 0
	.set _ZN7rocprim17ROCPRIM_400000_NS6detail17trampoline_kernelINS0_13select_configILj256ELj13ELNS0_17block_load_methodE3ELS4_3ELS4_3ELNS0_20block_scan_algorithmE0ELj4294967295EEENS1_25partition_config_selectorILNS1_17partition_subalgoE3EjNS0_10empty_typeEbEEZZNS1_14partition_implILS8_3ELb0ES6_jNS0_17counting_iteratorIjlEEPS9_SE_NS0_5tupleIJPjSE_EEENSF_IJSE_SE_EEES9_SG_JZNS1_25segmented_radix_sort_implINS0_14default_configELb1EPKhPhPKlPlN2at6native12_GLOBAL__N_18offset_tEEE10hipError_tPvRmT1_PNSt15iterator_traitsISY_E10value_typeET2_T3_PNSZ_IS14_E10value_typeET4_jRbjT5_S1A_jjP12ihipStream_tbEUljE_EEESV_SW_SX_S14_S18_S1A_T6_T7_T9_mT8_S1C_bDpT10_ENKUlT_T0_E_clISt17integral_constantIbLb0EES1P_EEDaS1K_S1L_EUlS1K_E_NS1_11comp_targetILNS1_3genE9ELNS1_11target_archE1100ELNS1_3gpuE3ELNS1_3repE0EEENS1_30default_config_static_selectorELNS0_4arch9wavefront6targetE0EEEvSY_.num_agpr, 0
	.set _ZN7rocprim17ROCPRIM_400000_NS6detail17trampoline_kernelINS0_13select_configILj256ELj13ELNS0_17block_load_methodE3ELS4_3ELS4_3ELNS0_20block_scan_algorithmE0ELj4294967295EEENS1_25partition_config_selectorILNS1_17partition_subalgoE3EjNS0_10empty_typeEbEEZZNS1_14partition_implILS8_3ELb0ES6_jNS0_17counting_iteratorIjlEEPS9_SE_NS0_5tupleIJPjSE_EEENSF_IJSE_SE_EEES9_SG_JZNS1_25segmented_radix_sort_implINS0_14default_configELb1EPKhPhPKlPlN2at6native12_GLOBAL__N_18offset_tEEE10hipError_tPvRmT1_PNSt15iterator_traitsISY_E10value_typeET2_T3_PNSZ_IS14_E10value_typeET4_jRbjT5_S1A_jjP12ihipStream_tbEUljE_EEESV_SW_SX_S14_S18_S1A_T6_T7_T9_mT8_S1C_bDpT10_ENKUlT_T0_E_clISt17integral_constantIbLb0EES1P_EEDaS1K_S1L_EUlS1K_E_NS1_11comp_targetILNS1_3genE9ELNS1_11target_archE1100ELNS1_3gpuE3ELNS1_3repE0EEENS1_30default_config_static_selectorELNS0_4arch9wavefront6targetE0EEEvSY_.numbered_sgpr, 0
	.set _ZN7rocprim17ROCPRIM_400000_NS6detail17trampoline_kernelINS0_13select_configILj256ELj13ELNS0_17block_load_methodE3ELS4_3ELS4_3ELNS0_20block_scan_algorithmE0ELj4294967295EEENS1_25partition_config_selectorILNS1_17partition_subalgoE3EjNS0_10empty_typeEbEEZZNS1_14partition_implILS8_3ELb0ES6_jNS0_17counting_iteratorIjlEEPS9_SE_NS0_5tupleIJPjSE_EEENSF_IJSE_SE_EEES9_SG_JZNS1_25segmented_radix_sort_implINS0_14default_configELb1EPKhPhPKlPlN2at6native12_GLOBAL__N_18offset_tEEE10hipError_tPvRmT1_PNSt15iterator_traitsISY_E10value_typeET2_T3_PNSZ_IS14_E10value_typeET4_jRbjT5_S1A_jjP12ihipStream_tbEUljE_EEESV_SW_SX_S14_S18_S1A_T6_T7_T9_mT8_S1C_bDpT10_ENKUlT_T0_E_clISt17integral_constantIbLb0EES1P_EEDaS1K_S1L_EUlS1K_E_NS1_11comp_targetILNS1_3genE9ELNS1_11target_archE1100ELNS1_3gpuE3ELNS1_3repE0EEENS1_30default_config_static_selectorELNS0_4arch9wavefront6targetE0EEEvSY_.num_named_barrier, 0
	.set _ZN7rocprim17ROCPRIM_400000_NS6detail17trampoline_kernelINS0_13select_configILj256ELj13ELNS0_17block_load_methodE3ELS4_3ELS4_3ELNS0_20block_scan_algorithmE0ELj4294967295EEENS1_25partition_config_selectorILNS1_17partition_subalgoE3EjNS0_10empty_typeEbEEZZNS1_14partition_implILS8_3ELb0ES6_jNS0_17counting_iteratorIjlEEPS9_SE_NS0_5tupleIJPjSE_EEENSF_IJSE_SE_EEES9_SG_JZNS1_25segmented_radix_sort_implINS0_14default_configELb1EPKhPhPKlPlN2at6native12_GLOBAL__N_18offset_tEEE10hipError_tPvRmT1_PNSt15iterator_traitsISY_E10value_typeET2_T3_PNSZ_IS14_E10value_typeET4_jRbjT5_S1A_jjP12ihipStream_tbEUljE_EEESV_SW_SX_S14_S18_S1A_T6_T7_T9_mT8_S1C_bDpT10_ENKUlT_T0_E_clISt17integral_constantIbLb0EES1P_EEDaS1K_S1L_EUlS1K_E_NS1_11comp_targetILNS1_3genE9ELNS1_11target_archE1100ELNS1_3gpuE3ELNS1_3repE0EEENS1_30default_config_static_selectorELNS0_4arch9wavefront6targetE0EEEvSY_.private_seg_size, 0
	.set _ZN7rocprim17ROCPRIM_400000_NS6detail17trampoline_kernelINS0_13select_configILj256ELj13ELNS0_17block_load_methodE3ELS4_3ELS4_3ELNS0_20block_scan_algorithmE0ELj4294967295EEENS1_25partition_config_selectorILNS1_17partition_subalgoE3EjNS0_10empty_typeEbEEZZNS1_14partition_implILS8_3ELb0ES6_jNS0_17counting_iteratorIjlEEPS9_SE_NS0_5tupleIJPjSE_EEENSF_IJSE_SE_EEES9_SG_JZNS1_25segmented_radix_sort_implINS0_14default_configELb1EPKhPhPKlPlN2at6native12_GLOBAL__N_18offset_tEEE10hipError_tPvRmT1_PNSt15iterator_traitsISY_E10value_typeET2_T3_PNSZ_IS14_E10value_typeET4_jRbjT5_S1A_jjP12ihipStream_tbEUljE_EEESV_SW_SX_S14_S18_S1A_T6_T7_T9_mT8_S1C_bDpT10_ENKUlT_T0_E_clISt17integral_constantIbLb0EES1P_EEDaS1K_S1L_EUlS1K_E_NS1_11comp_targetILNS1_3genE9ELNS1_11target_archE1100ELNS1_3gpuE3ELNS1_3repE0EEENS1_30default_config_static_selectorELNS0_4arch9wavefront6targetE0EEEvSY_.uses_vcc, 0
	.set _ZN7rocprim17ROCPRIM_400000_NS6detail17trampoline_kernelINS0_13select_configILj256ELj13ELNS0_17block_load_methodE3ELS4_3ELS4_3ELNS0_20block_scan_algorithmE0ELj4294967295EEENS1_25partition_config_selectorILNS1_17partition_subalgoE3EjNS0_10empty_typeEbEEZZNS1_14partition_implILS8_3ELb0ES6_jNS0_17counting_iteratorIjlEEPS9_SE_NS0_5tupleIJPjSE_EEENSF_IJSE_SE_EEES9_SG_JZNS1_25segmented_radix_sort_implINS0_14default_configELb1EPKhPhPKlPlN2at6native12_GLOBAL__N_18offset_tEEE10hipError_tPvRmT1_PNSt15iterator_traitsISY_E10value_typeET2_T3_PNSZ_IS14_E10value_typeET4_jRbjT5_S1A_jjP12ihipStream_tbEUljE_EEESV_SW_SX_S14_S18_S1A_T6_T7_T9_mT8_S1C_bDpT10_ENKUlT_T0_E_clISt17integral_constantIbLb0EES1P_EEDaS1K_S1L_EUlS1K_E_NS1_11comp_targetILNS1_3genE9ELNS1_11target_archE1100ELNS1_3gpuE3ELNS1_3repE0EEENS1_30default_config_static_selectorELNS0_4arch9wavefront6targetE0EEEvSY_.uses_flat_scratch, 0
	.set _ZN7rocprim17ROCPRIM_400000_NS6detail17trampoline_kernelINS0_13select_configILj256ELj13ELNS0_17block_load_methodE3ELS4_3ELS4_3ELNS0_20block_scan_algorithmE0ELj4294967295EEENS1_25partition_config_selectorILNS1_17partition_subalgoE3EjNS0_10empty_typeEbEEZZNS1_14partition_implILS8_3ELb0ES6_jNS0_17counting_iteratorIjlEEPS9_SE_NS0_5tupleIJPjSE_EEENSF_IJSE_SE_EEES9_SG_JZNS1_25segmented_radix_sort_implINS0_14default_configELb1EPKhPhPKlPlN2at6native12_GLOBAL__N_18offset_tEEE10hipError_tPvRmT1_PNSt15iterator_traitsISY_E10value_typeET2_T3_PNSZ_IS14_E10value_typeET4_jRbjT5_S1A_jjP12ihipStream_tbEUljE_EEESV_SW_SX_S14_S18_S1A_T6_T7_T9_mT8_S1C_bDpT10_ENKUlT_T0_E_clISt17integral_constantIbLb0EES1P_EEDaS1K_S1L_EUlS1K_E_NS1_11comp_targetILNS1_3genE9ELNS1_11target_archE1100ELNS1_3gpuE3ELNS1_3repE0EEENS1_30default_config_static_selectorELNS0_4arch9wavefront6targetE0EEEvSY_.has_dyn_sized_stack, 0
	.set _ZN7rocprim17ROCPRIM_400000_NS6detail17trampoline_kernelINS0_13select_configILj256ELj13ELNS0_17block_load_methodE3ELS4_3ELS4_3ELNS0_20block_scan_algorithmE0ELj4294967295EEENS1_25partition_config_selectorILNS1_17partition_subalgoE3EjNS0_10empty_typeEbEEZZNS1_14partition_implILS8_3ELb0ES6_jNS0_17counting_iteratorIjlEEPS9_SE_NS0_5tupleIJPjSE_EEENSF_IJSE_SE_EEES9_SG_JZNS1_25segmented_radix_sort_implINS0_14default_configELb1EPKhPhPKlPlN2at6native12_GLOBAL__N_18offset_tEEE10hipError_tPvRmT1_PNSt15iterator_traitsISY_E10value_typeET2_T3_PNSZ_IS14_E10value_typeET4_jRbjT5_S1A_jjP12ihipStream_tbEUljE_EEESV_SW_SX_S14_S18_S1A_T6_T7_T9_mT8_S1C_bDpT10_ENKUlT_T0_E_clISt17integral_constantIbLb0EES1P_EEDaS1K_S1L_EUlS1K_E_NS1_11comp_targetILNS1_3genE9ELNS1_11target_archE1100ELNS1_3gpuE3ELNS1_3repE0EEENS1_30default_config_static_selectorELNS0_4arch9wavefront6targetE0EEEvSY_.has_recursion, 0
	.set _ZN7rocprim17ROCPRIM_400000_NS6detail17trampoline_kernelINS0_13select_configILj256ELj13ELNS0_17block_load_methodE3ELS4_3ELS4_3ELNS0_20block_scan_algorithmE0ELj4294967295EEENS1_25partition_config_selectorILNS1_17partition_subalgoE3EjNS0_10empty_typeEbEEZZNS1_14partition_implILS8_3ELb0ES6_jNS0_17counting_iteratorIjlEEPS9_SE_NS0_5tupleIJPjSE_EEENSF_IJSE_SE_EEES9_SG_JZNS1_25segmented_radix_sort_implINS0_14default_configELb1EPKhPhPKlPlN2at6native12_GLOBAL__N_18offset_tEEE10hipError_tPvRmT1_PNSt15iterator_traitsISY_E10value_typeET2_T3_PNSZ_IS14_E10value_typeET4_jRbjT5_S1A_jjP12ihipStream_tbEUljE_EEESV_SW_SX_S14_S18_S1A_T6_T7_T9_mT8_S1C_bDpT10_ENKUlT_T0_E_clISt17integral_constantIbLb0EES1P_EEDaS1K_S1L_EUlS1K_E_NS1_11comp_targetILNS1_3genE9ELNS1_11target_archE1100ELNS1_3gpuE3ELNS1_3repE0EEENS1_30default_config_static_selectorELNS0_4arch9wavefront6targetE0EEEvSY_.has_indirect_call, 0
	.section	.AMDGPU.csdata,"",@progbits
; Kernel info:
; codeLenInByte = 0
; TotalNumSgprs: 0
; NumVgprs: 0
; ScratchSize: 0
; MemoryBound: 0
; FloatMode: 240
; IeeeMode: 1
; LDSByteSize: 0 bytes/workgroup (compile time only)
; SGPRBlocks: 0
; VGPRBlocks: 0
; NumSGPRsForWavesPerEU: 1
; NumVGPRsForWavesPerEU: 1
; Occupancy: 16
; WaveLimiterHint : 0
; COMPUTE_PGM_RSRC2:SCRATCH_EN: 0
; COMPUTE_PGM_RSRC2:USER_SGPR: 2
; COMPUTE_PGM_RSRC2:TRAP_HANDLER: 0
; COMPUTE_PGM_RSRC2:TGID_X_EN: 1
; COMPUTE_PGM_RSRC2:TGID_Y_EN: 0
; COMPUTE_PGM_RSRC2:TGID_Z_EN: 0
; COMPUTE_PGM_RSRC2:TIDIG_COMP_CNT: 0
	.section	.text._ZN7rocprim17ROCPRIM_400000_NS6detail17trampoline_kernelINS0_13select_configILj256ELj13ELNS0_17block_load_methodE3ELS4_3ELS4_3ELNS0_20block_scan_algorithmE0ELj4294967295EEENS1_25partition_config_selectorILNS1_17partition_subalgoE3EjNS0_10empty_typeEbEEZZNS1_14partition_implILS8_3ELb0ES6_jNS0_17counting_iteratorIjlEEPS9_SE_NS0_5tupleIJPjSE_EEENSF_IJSE_SE_EEES9_SG_JZNS1_25segmented_radix_sort_implINS0_14default_configELb1EPKhPhPKlPlN2at6native12_GLOBAL__N_18offset_tEEE10hipError_tPvRmT1_PNSt15iterator_traitsISY_E10value_typeET2_T3_PNSZ_IS14_E10value_typeET4_jRbjT5_S1A_jjP12ihipStream_tbEUljE_EEESV_SW_SX_S14_S18_S1A_T6_T7_T9_mT8_S1C_bDpT10_ENKUlT_T0_E_clISt17integral_constantIbLb0EES1P_EEDaS1K_S1L_EUlS1K_E_NS1_11comp_targetILNS1_3genE8ELNS1_11target_archE1030ELNS1_3gpuE2ELNS1_3repE0EEENS1_30default_config_static_selectorELNS0_4arch9wavefront6targetE0EEEvSY_,"axG",@progbits,_ZN7rocprim17ROCPRIM_400000_NS6detail17trampoline_kernelINS0_13select_configILj256ELj13ELNS0_17block_load_methodE3ELS4_3ELS4_3ELNS0_20block_scan_algorithmE0ELj4294967295EEENS1_25partition_config_selectorILNS1_17partition_subalgoE3EjNS0_10empty_typeEbEEZZNS1_14partition_implILS8_3ELb0ES6_jNS0_17counting_iteratorIjlEEPS9_SE_NS0_5tupleIJPjSE_EEENSF_IJSE_SE_EEES9_SG_JZNS1_25segmented_radix_sort_implINS0_14default_configELb1EPKhPhPKlPlN2at6native12_GLOBAL__N_18offset_tEEE10hipError_tPvRmT1_PNSt15iterator_traitsISY_E10value_typeET2_T3_PNSZ_IS14_E10value_typeET4_jRbjT5_S1A_jjP12ihipStream_tbEUljE_EEESV_SW_SX_S14_S18_S1A_T6_T7_T9_mT8_S1C_bDpT10_ENKUlT_T0_E_clISt17integral_constantIbLb0EES1P_EEDaS1K_S1L_EUlS1K_E_NS1_11comp_targetILNS1_3genE8ELNS1_11target_archE1030ELNS1_3gpuE2ELNS1_3repE0EEENS1_30default_config_static_selectorELNS0_4arch9wavefront6targetE0EEEvSY_,comdat
	.globl	_ZN7rocprim17ROCPRIM_400000_NS6detail17trampoline_kernelINS0_13select_configILj256ELj13ELNS0_17block_load_methodE3ELS4_3ELS4_3ELNS0_20block_scan_algorithmE0ELj4294967295EEENS1_25partition_config_selectorILNS1_17partition_subalgoE3EjNS0_10empty_typeEbEEZZNS1_14partition_implILS8_3ELb0ES6_jNS0_17counting_iteratorIjlEEPS9_SE_NS0_5tupleIJPjSE_EEENSF_IJSE_SE_EEES9_SG_JZNS1_25segmented_radix_sort_implINS0_14default_configELb1EPKhPhPKlPlN2at6native12_GLOBAL__N_18offset_tEEE10hipError_tPvRmT1_PNSt15iterator_traitsISY_E10value_typeET2_T3_PNSZ_IS14_E10value_typeET4_jRbjT5_S1A_jjP12ihipStream_tbEUljE_EEESV_SW_SX_S14_S18_S1A_T6_T7_T9_mT8_S1C_bDpT10_ENKUlT_T0_E_clISt17integral_constantIbLb0EES1P_EEDaS1K_S1L_EUlS1K_E_NS1_11comp_targetILNS1_3genE8ELNS1_11target_archE1030ELNS1_3gpuE2ELNS1_3repE0EEENS1_30default_config_static_selectorELNS0_4arch9wavefront6targetE0EEEvSY_ ; -- Begin function _ZN7rocprim17ROCPRIM_400000_NS6detail17trampoline_kernelINS0_13select_configILj256ELj13ELNS0_17block_load_methodE3ELS4_3ELS4_3ELNS0_20block_scan_algorithmE0ELj4294967295EEENS1_25partition_config_selectorILNS1_17partition_subalgoE3EjNS0_10empty_typeEbEEZZNS1_14partition_implILS8_3ELb0ES6_jNS0_17counting_iteratorIjlEEPS9_SE_NS0_5tupleIJPjSE_EEENSF_IJSE_SE_EEES9_SG_JZNS1_25segmented_radix_sort_implINS0_14default_configELb1EPKhPhPKlPlN2at6native12_GLOBAL__N_18offset_tEEE10hipError_tPvRmT1_PNSt15iterator_traitsISY_E10value_typeET2_T3_PNSZ_IS14_E10value_typeET4_jRbjT5_S1A_jjP12ihipStream_tbEUljE_EEESV_SW_SX_S14_S18_S1A_T6_T7_T9_mT8_S1C_bDpT10_ENKUlT_T0_E_clISt17integral_constantIbLb0EES1P_EEDaS1K_S1L_EUlS1K_E_NS1_11comp_targetILNS1_3genE8ELNS1_11target_archE1030ELNS1_3gpuE2ELNS1_3repE0EEENS1_30default_config_static_selectorELNS0_4arch9wavefront6targetE0EEEvSY_
	.p2align	8
	.type	_ZN7rocprim17ROCPRIM_400000_NS6detail17trampoline_kernelINS0_13select_configILj256ELj13ELNS0_17block_load_methodE3ELS4_3ELS4_3ELNS0_20block_scan_algorithmE0ELj4294967295EEENS1_25partition_config_selectorILNS1_17partition_subalgoE3EjNS0_10empty_typeEbEEZZNS1_14partition_implILS8_3ELb0ES6_jNS0_17counting_iteratorIjlEEPS9_SE_NS0_5tupleIJPjSE_EEENSF_IJSE_SE_EEES9_SG_JZNS1_25segmented_radix_sort_implINS0_14default_configELb1EPKhPhPKlPlN2at6native12_GLOBAL__N_18offset_tEEE10hipError_tPvRmT1_PNSt15iterator_traitsISY_E10value_typeET2_T3_PNSZ_IS14_E10value_typeET4_jRbjT5_S1A_jjP12ihipStream_tbEUljE_EEESV_SW_SX_S14_S18_S1A_T6_T7_T9_mT8_S1C_bDpT10_ENKUlT_T0_E_clISt17integral_constantIbLb0EES1P_EEDaS1K_S1L_EUlS1K_E_NS1_11comp_targetILNS1_3genE8ELNS1_11target_archE1030ELNS1_3gpuE2ELNS1_3repE0EEENS1_30default_config_static_selectorELNS0_4arch9wavefront6targetE0EEEvSY_,@function
_ZN7rocprim17ROCPRIM_400000_NS6detail17trampoline_kernelINS0_13select_configILj256ELj13ELNS0_17block_load_methodE3ELS4_3ELS4_3ELNS0_20block_scan_algorithmE0ELj4294967295EEENS1_25partition_config_selectorILNS1_17partition_subalgoE3EjNS0_10empty_typeEbEEZZNS1_14partition_implILS8_3ELb0ES6_jNS0_17counting_iteratorIjlEEPS9_SE_NS0_5tupleIJPjSE_EEENSF_IJSE_SE_EEES9_SG_JZNS1_25segmented_radix_sort_implINS0_14default_configELb1EPKhPhPKlPlN2at6native12_GLOBAL__N_18offset_tEEE10hipError_tPvRmT1_PNSt15iterator_traitsISY_E10value_typeET2_T3_PNSZ_IS14_E10value_typeET4_jRbjT5_S1A_jjP12ihipStream_tbEUljE_EEESV_SW_SX_S14_S18_S1A_T6_T7_T9_mT8_S1C_bDpT10_ENKUlT_T0_E_clISt17integral_constantIbLb0EES1P_EEDaS1K_S1L_EUlS1K_E_NS1_11comp_targetILNS1_3genE8ELNS1_11target_archE1030ELNS1_3gpuE2ELNS1_3repE0EEENS1_30default_config_static_selectorELNS0_4arch9wavefront6targetE0EEEvSY_: ; @_ZN7rocprim17ROCPRIM_400000_NS6detail17trampoline_kernelINS0_13select_configILj256ELj13ELNS0_17block_load_methodE3ELS4_3ELS4_3ELNS0_20block_scan_algorithmE0ELj4294967295EEENS1_25partition_config_selectorILNS1_17partition_subalgoE3EjNS0_10empty_typeEbEEZZNS1_14partition_implILS8_3ELb0ES6_jNS0_17counting_iteratorIjlEEPS9_SE_NS0_5tupleIJPjSE_EEENSF_IJSE_SE_EEES9_SG_JZNS1_25segmented_radix_sort_implINS0_14default_configELb1EPKhPhPKlPlN2at6native12_GLOBAL__N_18offset_tEEE10hipError_tPvRmT1_PNSt15iterator_traitsISY_E10value_typeET2_T3_PNSZ_IS14_E10value_typeET4_jRbjT5_S1A_jjP12ihipStream_tbEUljE_EEESV_SW_SX_S14_S18_S1A_T6_T7_T9_mT8_S1C_bDpT10_ENKUlT_T0_E_clISt17integral_constantIbLb0EES1P_EEDaS1K_S1L_EUlS1K_E_NS1_11comp_targetILNS1_3genE8ELNS1_11target_archE1030ELNS1_3gpuE2ELNS1_3repE0EEENS1_30default_config_static_selectorELNS0_4arch9wavefront6targetE0EEEvSY_
; %bb.0:
	.section	.rodata,"a",@progbits
	.p2align	6, 0x0
	.amdhsa_kernel _ZN7rocprim17ROCPRIM_400000_NS6detail17trampoline_kernelINS0_13select_configILj256ELj13ELNS0_17block_load_methodE3ELS4_3ELS4_3ELNS0_20block_scan_algorithmE0ELj4294967295EEENS1_25partition_config_selectorILNS1_17partition_subalgoE3EjNS0_10empty_typeEbEEZZNS1_14partition_implILS8_3ELb0ES6_jNS0_17counting_iteratorIjlEEPS9_SE_NS0_5tupleIJPjSE_EEENSF_IJSE_SE_EEES9_SG_JZNS1_25segmented_radix_sort_implINS0_14default_configELb1EPKhPhPKlPlN2at6native12_GLOBAL__N_18offset_tEEE10hipError_tPvRmT1_PNSt15iterator_traitsISY_E10value_typeET2_T3_PNSZ_IS14_E10value_typeET4_jRbjT5_S1A_jjP12ihipStream_tbEUljE_EEESV_SW_SX_S14_S18_S1A_T6_T7_T9_mT8_S1C_bDpT10_ENKUlT_T0_E_clISt17integral_constantIbLb0EES1P_EEDaS1K_S1L_EUlS1K_E_NS1_11comp_targetILNS1_3genE8ELNS1_11target_archE1030ELNS1_3gpuE2ELNS1_3repE0EEENS1_30default_config_static_selectorELNS0_4arch9wavefront6targetE0EEEvSY_
		.amdhsa_group_segment_fixed_size 0
		.amdhsa_private_segment_fixed_size 0
		.amdhsa_kernarg_size 144
		.amdhsa_user_sgpr_count 2
		.amdhsa_user_sgpr_dispatch_ptr 0
		.amdhsa_user_sgpr_queue_ptr 0
		.amdhsa_user_sgpr_kernarg_segment_ptr 1
		.amdhsa_user_sgpr_dispatch_id 0
		.amdhsa_user_sgpr_private_segment_size 0
		.amdhsa_wavefront_size32 1
		.amdhsa_uses_dynamic_stack 0
		.amdhsa_enable_private_segment 0
		.amdhsa_system_sgpr_workgroup_id_x 1
		.amdhsa_system_sgpr_workgroup_id_y 0
		.amdhsa_system_sgpr_workgroup_id_z 0
		.amdhsa_system_sgpr_workgroup_info 0
		.amdhsa_system_vgpr_workitem_id 0
		.amdhsa_next_free_vgpr 1
		.amdhsa_next_free_sgpr 1
		.amdhsa_reserve_vcc 0
		.amdhsa_float_round_mode_32 0
		.amdhsa_float_round_mode_16_64 0
		.amdhsa_float_denorm_mode_32 3
		.amdhsa_float_denorm_mode_16_64 3
		.amdhsa_fp16_overflow 0
		.amdhsa_workgroup_processor_mode 1
		.amdhsa_memory_ordered 1
		.amdhsa_forward_progress 1
		.amdhsa_inst_pref_size 0
		.amdhsa_round_robin_scheduling 0
		.amdhsa_exception_fp_ieee_invalid_op 0
		.amdhsa_exception_fp_denorm_src 0
		.amdhsa_exception_fp_ieee_div_zero 0
		.amdhsa_exception_fp_ieee_overflow 0
		.amdhsa_exception_fp_ieee_underflow 0
		.amdhsa_exception_fp_ieee_inexact 0
		.amdhsa_exception_int_div_zero 0
	.end_amdhsa_kernel
	.section	.text._ZN7rocprim17ROCPRIM_400000_NS6detail17trampoline_kernelINS0_13select_configILj256ELj13ELNS0_17block_load_methodE3ELS4_3ELS4_3ELNS0_20block_scan_algorithmE0ELj4294967295EEENS1_25partition_config_selectorILNS1_17partition_subalgoE3EjNS0_10empty_typeEbEEZZNS1_14partition_implILS8_3ELb0ES6_jNS0_17counting_iteratorIjlEEPS9_SE_NS0_5tupleIJPjSE_EEENSF_IJSE_SE_EEES9_SG_JZNS1_25segmented_radix_sort_implINS0_14default_configELb1EPKhPhPKlPlN2at6native12_GLOBAL__N_18offset_tEEE10hipError_tPvRmT1_PNSt15iterator_traitsISY_E10value_typeET2_T3_PNSZ_IS14_E10value_typeET4_jRbjT5_S1A_jjP12ihipStream_tbEUljE_EEESV_SW_SX_S14_S18_S1A_T6_T7_T9_mT8_S1C_bDpT10_ENKUlT_T0_E_clISt17integral_constantIbLb0EES1P_EEDaS1K_S1L_EUlS1K_E_NS1_11comp_targetILNS1_3genE8ELNS1_11target_archE1030ELNS1_3gpuE2ELNS1_3repE0EEENS1_30default_config_static_selectorELNS0_4arch9wavefront6targetE0EEEvSY_,"axG",@progbits,_ZN7rocprim17ROCPRIM_400000_NS6detail17trampoline_kernelINS0_13select_configILj256ELj13ELNS0_17block_load_methodE3ELS4_3ELS4_3ELNS0_20block_scan_algorithmE0ELj4294967295EEENS1_25partition_config_selectorILNS1_17partition_subalgoE3EjNS0_10empty_typeEbEEZZNS1_14partition_implILS8_3ELb0ES6_jNS0_17counting_iteratorIjlEEPS9_SE_NS0_5tupleIJPjSE_EEENSF_IJSE_SE_EEES9_SG_JZNS1_25segmented_radix_sort_implINS0_14default_configELb1EPKhPhPKlPlN2at6native12_GLOBAL__N_18offset_tEEE10hipError_tPvRmT1_PNSt15iterator_traitsISY_E10value_typeET2_T3_PNSZ_IS14_E10value_typeET4_jRbjT5_S1A_jjP12ihipStream_tbEUljE_EEESV_SW_SX_S14_S18_S1A_T6_T7_T9_mT8_S1C_bDpT10_ENKUlT_T0_E_clISt17integral_constantIbLb0EES1P_EEDaS1K_S1L_EUlS1K_E_NS1_11comp_targetILNS1_3genE8ELNS1_11target_archE1030ELNS1_3gpuE2ELNS1_3repE0EEENS1_30default_config_static_selectorELNS0_4arch9wavefront6targetE0EEEvSY_,comdat
.Lfunc_end55:
	.size	_ZN7rocprim17ROCPRIM_400000_NS6detail17trampoline_kernelINS0_13select_configILj256ELj13ELNS0_17block_load_methodE3ELS4_3ELS4_3ELNS0_20block_scan_algorithmE0ELj4294967295EEENS1_25partition_config_selectorILNS1_17partition_subalgoE3EjNS0_10empty_typeEbEEZZNS1_14partition_implILS8_3ELb0ES6_jNS0_17counting_iteratorIjlEEPS9_SE_NS0_5tupleIJPjSE_EEENSF_IJSE_SE_EEES9_SG_JZNS1_25segmented_radix_sort_implINS0_14default_configELb1EPKhPhPKlPlN2at6native12_GLOBAL__N_18offset_tEEE10hipError_tPvRmT1_PNSt15iterator_traitsISY_E10value_typeET2_T3_PNSZ_IS14_E10value_typeET4_jRbjT5_S1A_jjP12ihipStream_tbEUljE_EEESV_SW_SX_S14_S18_S1A_T6_T7_T9_mT8_S1C_bDpT10_ENKUlT_T0_E_clISt17integral_constantIbLb0EES1P_EEDaS1K_S1L_EUlS1K_E_NS1_11comp_targetILNS1_3genE8ELNS1_11target_archE1030ELNS1_3gpuE2ELNS1_3repE0EEENS1_30default_config_static_selectorELNS0_4arch9wavefront6targetE0EEEvSY_, .Lfunc_end55-_ZN7rocprim17ROCPRIM_400000_NS6detail17trampoline_kernelINS0_13select_configILj256ELj13ELNS0_17block_load_methodE3ELS4_3ELS4_3ELNS0_20block_scan_algorithmE0ELj4294967295EEENS1_25partition_config_selectorILNS1_17partition_subalgoE3EjNS0_10empty_typeEbEEZZNS1_14partition_implILS8_3ELb0ES6_jNS0_17counting_iteratorIjlEEPS9_SE_NS0_5tupleIJPjSE_EEENSF_IJSE_SE_EEES9_SG_JZNS1_25segmented_radix_sort_implINS0_14default_configELb1EPKhPhPKlPlN2at6native12_GLOBAL__N_18offset_tEEE10hipError_tPvRmT1_PNSt15iterator_traitsISY_E10value_typeET2_T3_PNSZ_IS14_E10value_typeET4_jRbjT5_S1A_jjP12ihipStream_tbEUljE_EEESV_SW_SX_S14_S18_S1A_T6_T7_T9_mT8_S1C_bDpT10_ENKUlT_T0_E_clISt17integral_constantIbLb0EES1P_EEDaS1K_S1L_EUlS1K_E_NS1_11comp_targetILNS1_3genE8ELNS1_11target_archE1030ELNS1_3gpuE2ELNS1_3repE0EEENS1_30default_config_static_selectorELNS0_4arch9wavefront6targetE0EEEvSY_
                                        ; -- End function
	.set _ZN7rocprim17ROCPRIM_400000_NS6detail17trampoline_kernelINS0_13select_configILj256ELj13ELNS0_17block_load_methodE3ELS4_3ELS4_3ELNS0_20block_scan_algorithmE0ELj4294967295EEENS1_25partition_config_selectorILNS1_17partition_subalgoE3EjNS0_10empty_typeEbEEZZNS1_14partition_implILS8_3ELb0ES6_jNS0_17counting_iteratorIjlEEPS9_SE_NS0_5tupleIJPjSE_EEENSF_IJSE_SE_EEES9_SG_JZNS1_25segmented_radix_sort_implINS0_14default_configELb1EPKhPhPKlPlN2at6native12_GLOBAL__N_18offset_tEEE10hipError_tPvRmT1_PNSt15iterator_traitsISY_E10value_typeET2_T3_PNSZ_IS14_E10value_typeET4_jRbjT5_S1A_jjP12ihipStream_tbEUljE_EEESV_SW_SX_S14_S18_S1A_T6_T7_T9_mT8_S1C_bDpT10_ENKUlT_T0_E_clISt17integral_constantIbLb0EES1P_EEDaS1K_S1L_EUlS1K_E_NS1_11comp_targetILNS1_3genE8ELNS1_11target_archE1030ELNS1_3gpuE2ELNS1_3repE0EEENS1_30default_config_static_selectorELNS0_4arch9wavefront6targetE0EEEvSY_.num_vgpr, 0
	.set _ZN7rocprim17ROCPRIM_400000_NS6detail17trampoline_kernelINS0_13select_configILj256ELj13ELNS0_17block_load_methodE3ELS4_3ELS4_3ELNS0_20block_scan_algorithmE0ELj4294967295EEENS1_25partition_config_selectorILNS1_17partition_subalgoE3EjNS0_10empty_typeEbEEZZNS1_14partition_implILS8_3ELb0ES6_jNS0_17counting_iteratorIjlEEPS9_SE_NS0_5tupleIJPjSE_EEENSF_IJSE_SE_EEES9_SG_JZNS1_25segmented_radix_sort_implINS0_14default_configELb1EPKhPhPKlPlN2at6native12_GLOBAL__N_18offset_tEEE10hipError_tPvRmT1_PNSt15iterator_traitsISY_E10value_typeET2_T3_PNSZ_IS14_E10value_typeET4_jRbjT5_S1A_jjP12ihipStream_tbEUljE_EEESV_SW_SX_S14_S18_S1A_T6_T7_T9_mT8_S1C_bDpT10_ENKUlT_T0_E_clISt17integral_constantIbLb0EES1P_EEDaS1K_S1L_EUlS1K_E_NS1_11comp_targetILNS1_3genE8ELNS1_11target_archE1030ELNS1_3gpuE2ELNS1_3repE0EEENS1_30default_config_static_selectorELNS0_4arch9wavefront6targetE0EEEvSY_.num_agpr, 0
	.set _ZN7rocprim17ROCPRIM_400000_NS6detail17trampoline_kernelINS0_13select_configILj256ELj13ELNS0_17block_load_methodE3ELS4_3ELS4_3ELNS0_20block_scan_algorithmE0ELj4294967295EEENS1_25partition_config_selectorILNS1_17partition_subalgoE3EjNS0_10empty_typeEbEEZZNS1_14partition_implILS8_3ELb0ES6_jNS0_17counting_iteratorIjlEEPS9_SE_NS0_5tupleIJPjSE_EEENSF_IJSE_SE_EEES9_SG_JZNS1_25segmented_radix_sort_implINS0_14default_configELb1EPKhPhPKlPlN2at6native12_GLOBAL__N_18offset_tEEE10hipError_tPvRmT1_PNSt15iterator_traitsISY_E10value_typeET2_T3_PNSZ_IS14_E10value_typeET4_jRbjT5_S1A_jjP12ihipStream_tbEUljE_EEESV_SW_SX_S14_S18_S1A_T6_T7_T9_mT8_S1C_bDpT10_ENKUlT_T0_E_clISt17integral_constantIbLb0EES1P_EEDaS1K_S1L_EUlS1K_E_NS1_11comp_targetILNS1_3genE8ELNS1_11target_archE1030ELNS1_3gpuE2ELNS1_3repE0EEENS1_30default_config_static_selectorELNS0_4arch9wavefront6targetE0EEEvSY_.numbered_sgpr, 0
	.set _ZN7rocprim17ROCPRIM_400000_NS6detail17trampoline_kernelINS0_13select_configILj256ELj13ELNS0_17block_load_methodE3ELS4_3ELS4_3ELNS0_20block_scan_algorithmE0ELj4294967295EEENS1_25partition_config_selectorILNS1_17partition_subalgoE3EjNS0_10empty_typeEbEEZZNS1_14partition_implILS8_3ELb0ES6_jNS0_17counting_iteratorIjlEEPS9_SE_NS0_5tupleIJPjSE_EEENSF_IJSE_SE_EEES9_SG_JZNS1_25segmented_radix_sort_implINS0_14default_configELb1EPKhPhPKlPlN2at6native12_GLOBAL__N_18offset_tEEE10hipError_tPvRmT1_PNSt15iterator_traitsISY_E10value_typeET2_T3_PNSZ_IS14_E10value_typeET4_jRbjT5_S1A_jjP12ihipStream_tbEUljE_EEESV_SW_SX_S14_S18_S1A_T6_T7_T9_mT8_S1C_bDpT10_ENKUlT_T0_E_clISt17integral_constantIbLb0EES1P_EEDaS1K_S1L_EUlS1K_E_NS1_11comp_targetILNS1_3genE8ELNS1_11target_archE1030ELNS1_3gpuE2ELNS1_3repE0EEENS1_30default_config_static_selectorELNS0_4arch9wavefront6targetE0EEEvSY_.num_named_barrier, 0
	.set _ZN7rocprim17ROCPRIM_400000_NS6detail17trampoline_kernelINS0_13select_configILj256ELj13ELNS0_17block_load_methodE3ELS4_3ELS4_3ELNS0_20block_scan_algorithmE0ELj4294967295EEENS1_25partition_config_selectorILNS1_17partition_subalgoE3EjNS0_10empty_typeEbEEZZNS1_14partition_implILS8_3ELb0ES6_jNS0_17counting_iteratorIjlEEPS9_SE_NS0_5tupleIJPjSE_EEENSF_IJSE_SE_EEES9_SG_JZNS1_25segmented_radix_sort_implINS0_14default_configELb1EPKhPhPKlPlN2at6native12_GLOBAL__N_18offset_tEEE10hipError_tPvRmT1_PNSt15iterator_traitsISY_E10value_typeET2_T3_PNSZ_IS14_E10value_typeET4_jRbjT5_S1A_jjP12ihipStream_tbEUljE_EEESV_SW_SX_S14_S18_S1A_T6_T7_T9_mT8_S1C_bDpT10_ENKUlT_T0_E_clISt17integral_constantIbLb0EES1P_EEDaS1K_S1L_EUlS1K_E_NS1_11comp_targetILNS1_3genE8ELNS1_11target_archE1030ELNS1_3gpuE2ELNS1_3repE0EEENS1_30default_config_static_selectorELNS0_4arch9wavefront6targetE0EEEvSY_.private_seg_size, 0
	.set _ZN7rocprim17ROCPRIM_400000_NS6detail17trampoline_kernelINS0_13select_configILj256ELj13ELNS0_17block_load_methodE3ELS4_3ELS4_3ELNS0_20block_scan_algorithmE0ELj4294967295EEENS1_25partition_config_selectorILNS1_17partition_subalgoE3EjNS0_10empty_typeEbEEZZNS1_14partition_implILS8_3ELb0ES6_jNS0_17counting_iteratorIjlEEPS9_SE_NS0_5tupleIJPjSE_EEENSF_IJSE_SE_EEES9_SG_JZNS1_25segmented_radix_sort_implINS0_14default_configELb1EPKhPhPKlPlN2at6native12_GLOBAL__N_18offset_tEEE10hipError_tPvRmT1_PNSt15iterator_traitsISY_E10value_typeET2_T3_PNSZ_IS14_E10value_typeET4_jRbjT5_S1A_jjP12ihipStream_tbEUljE_EEESV_SW_SX_S14_S18_S1A_T6_T7_T9_mT8_S1C_bDpT10_ENKUlT_T0_E_clISt17integral_constantIbLb0EES1P_EEDaS1K_S1L_EUlS1K_E_NS1_11comp_targetILNS1_3genE8ELNS1_11target_archE1030ELNS1_3gpuE2ELNS1_3repE0EEENS1_30default_config_static_selectorELNS0_4arch9wavefront6targetE0EEEvSY_.uses_vcc, 0
	.set _ZN7rocprim17ROCPRIM_400000_NS6detail17trampoline_kernelINS0_13select_configILj256ELj13ELNS0_17block_load_methodE3ELS4_3ELS4_3ELNS0_20block_scan_algorithmE0ELj4294967295EEENS1_25partition_config_selectorILNS1_17partition_subalgoE3EjNS0_10empty_typeEbEEZZNS1_14partition_implILS8_3ELb0ES6_jNS0_17counting_iteratorIjlEEPS9_SE_NS0_5tupleIJPjSE_EEENSF_IJSE_SE_EEES9_SG_JZNS1_25segmented_radix_sort_implINS0_14default_configELb1EPKhPhPKlPlN2at6native12_GLOBAL__N_18offset_tEEE10hipError_tPvRmT1_PNSt15iterator_traitsISY_E10value_typeET2_T3_PNSZ_IS14_E10value_typeET4_jRbjT5_S1A_jjP12ihipStream_tbEUljE_EEESV_SW_SX_S14_S18_S1A_T6_T7_T9_mT8_S1C_bDpT10_ENKUlT_T0_E_clISt17integral_constantIbLb0EES1P_EEDaS1K_S1L_EUlS1K_E_NS1_11comp_targetILNS1_3genE8ELNS1_11target_archE1030ELNS1_3gpuE2ELNS1_3repE0EEENS1_30default_config_static_selectorELNS0_4arch9wavefront6targetE0EEEvSY_.uses_flat_scratch, 0
	.set _ZN7rocprim17ROCPRIM_400000_NS6detail17trampoline_kernelINS0_13select_configILj256ELj13ELNS0_17block_load_methodE3ELS4_3ELS4_3ELNS0_20block_scan_algorithmE0ELj4294967295EEENS1_25partition_config_selectorILNS1_17partition_subalgoE3EjNS0_10empty_typeEbEEZZNS1_14partition_implILS8_3ELb0ES6_jNS0_17counting_iteratorIjlEEPS9_SE_NS0_5tupleIJPjSE_EEENSF_IJSE_SE_EEES9_SG_JZNS1_25segmented_radix_sort_implINS0_14default_configELb1EPKhPhPKlPlN2at6native12_GLOBAL__N_18offset_tEEE10hipError_tPvRmT1_PNSt15iterator_traitsISY_E10value_typeET2_T3_PNSZ_IS14_E10value_typeET4_jRbjT5_S1A_jjP12ihipStream_tbEUljE_EEESV_SW_SX_S14_S18_S1A_T6_T7_T9_mT8_S1C_bDpT10_ENKUlT_T0_E_clISt17integral_constantIbLb0EES1P_EEDaS1K_S1L_EUlS1K_E_NS1_11comp_targetILNS1_3genE8ELNS1_11target_archE1030ELNS1_3gpuE2ELNS1_3repE0EEENS1_30default_config_static_selectorELNS0_4arch9wavefront6targetE0EEEvSY_.has_dyn_sized_stack, 0
	.set _ZN7rocprim17ROCPRIM_400000_NS6detail17trampoline_kernelINS0_13select_configILj256ELj13ELNS0_17block_load_methodE3ELS4_3ELS4_3ELNS0_20block_scan_algorithmE0ELj4294967295EEENS1_25partition_config_selectorILNS1_17partition_subalgoE3EjNS0_10empty_typeEbEEZZNS1_14partition_implILS8_3ELb0ES6_jNS0_17counting_iteratorIjlEEPS9_SE_NS0_5tupleIJPjSE_EEENSF_IJSE_SE_EEES9_SG_JZNS1_25segmented_radix_sort_implINS0_14default_configELb1EPKhPhPKlPlN2at6native12_GLOBAL__N_18offset_tEEE10hipError_tPvRmT1_PNSt15iterator_traitsISY_E10value_typeET2_T3_PNSZ_IS14_E10value_typeET4_jRbjT5_S1A_jjP12ihipStream_tbEUljE_EEESV_SW_SX_S14_S18_S1A_T6_T7_T9_mT8_S1C_bDpT10_ENKUlT_T0_E_clISt17integral_constantIbLb0EES1P_EEDaS1K_S1L_EUlS1K_E_NS1_11comp_targetILNS1_3genE8ELNS1_11target_archE1030ELNS1_3gpuE2ELNS1_3repE0EEENS1_30default_config_static_selectorELNS0_4arch9wavefront6targetE0EEEvSY_.has_recursion, 0
	.set _ZN7rocprim17ROCPRIM_400000_NS6detail17trampoline_kernelINS0_13select_configILj256ELj13ELNS0_17block_load_methodE3ELS4_3ELS4_3ELNS0_20block_scan_algorithmE0ELj4294967295EEENS1_25partition_config_selectorILNS1_17partition_subalgoE3EjNS0_10empty_typeEbEEZZNS1_14partition_implILS8_3ELb0ES6_jNS0_17counting_iteratorIjlEEPS9_SE_NS0_5tupleIJPjSE_EEENSF_IJSE_SE_EEES9_SG_JZNS1_25segmented_radix_sort_implINS0_14default_configELb1EPKhPhPKlPlN2at6native12_GLOBAL__N_18offset_tEEE10hipError_tPvRmT1_PNSt15iterator_traitsISY_E10value_typeET2_T3_PNSZ_IS14_E10value_typeET4_jRbjT5_S1A_jjP12ihipStream_tbEUljE_EEESV_SW_SX_S14_S18_S1A_T6_T7_T9_mT8_S1C_bDpT10_ENKUlT_T0_E_clISt17integral_constantIbLb0EES1P_EEDaS1K_S1L_EUlS1K_E_NS1_11comp_targetILNS1_3genE8ELNS1_11target_archE1030ELNS1_3gpuE2ELNS1_3repE0EEENS1_30default_config_static_selectorELNS0_4arch9wavefront6targetE0EEEvSY_.has_indirect_call, 0
	.section	.AMDGPU.csdata,"",@progbits
; Kernel info:
; codeLenInByte = 0
; TotalNumSgprs: 0
; NumVgprs: 0
; ScratchSize: 0
; MemoryBound: 0
; FloatMode: 240
; IeeeMode: 1
; LDSByteSize: 0 bytes/workgroup (compile time only)
; SGPRBlocks: 0
; VGPRBlocks: 0
; NumSGPRsForWavesPerEU: 1
; NumVGPRsForWavesPerEU: 1
; Occupancy: 16
; WaveLimiterHint : 0
; COMPUTE_PGM_RSRC2:SCRATCH_EN: 0
; COMPUTE_PGM_RSRC2:USER_SGPR: 2
; COMPUTE_PGM_RSRC2:TRAP_HANDLER: 0
; COMPUTE_PGM_RSRC2:TGID_X_EN: 1
; COMPUTE_PGM_RSRC2:TGID_Y_EN: 0
; COMPUTE_PGM_RSRC2:TGID_Z_EN: 0
; COMPUTE_PGM_RSRC2:TIDIG_COMP_CNT: 0
	.section	.text._ZN7rocprim17ROCPRIM_400000_NS6detail31init_lookback_scan_state_kernelINS1_19lookback_scan_stateIjLb1ELb1EEENS1_16block_id_wrapperIjLb1EEEEEvT_jT0_jPNS7_10value_typeE,"axG",@progbits,_ZN7rocprim17ROCPRIM_400000_NS6detail31init_lookback_scan_state_kernelINS1_19lookback_scan_stateIjLb1ELb1EEENS1_16block_id_wrapperIjLb1EEEEEvT_jT0_jPNS7_10value_typeE,comdat
	.protected	_ZN7rocprim17ROCPRIM_400000_NS6detail31init_lookback_scan_state_kernelINS1_19lookback_scan_stateIjLb1ELb1EEENS1_16block_id_wrapperIjLb1EEEEEvT_jT0_jPNS7_10value_typeE ; -- Begin function _ZN7rocprim17ROCPRIM_400000_NS6detail31init_lookback_scan_state_kernelINS1_19lookback_scan_stateIjLb1ELb1EEENS1_16block_id_wrapperIjLb1EEEEEvT_jT0_jPNS7_10value_typeE
	.globl	_ZN7rocprim17ROCPRIM_400000_NS6detail31init_lookback_scan_state_kernelINS1_19lookback_scan_stateIjLb1ELb1EEENS1_16block_id_wrapperIjLb1EEEEEvT_jT0_jPNS7_10value_typeE
	.p2align	8
	.type	_ZN7rocprim17ROCPRIM_400000_NS6detail31init_lookback_scan_state_kernelINS1_19lookback_scan_stateIjLb1ELb1EEENS1_16block_id_wrapperIjLb1EEEEEvT_jT0_jPNS7_10value_typeE,@function
_ZN7rocprim17ROCPRIM_400000_NS6detail31init_lookback_scan_state_kernelINS1_19lookback_scan_stateIjLb1ELb1EEENS1_16block_id_wrapperIjLb1EEEEEvT_jT0_jPNS7_10value_typeE: ; @_ZN7rocprim17ROCPRIM_400000_NS6detail31init_lookback_scan_state_kernelINS1_19lookback_scan_stateIjLb1ELb1EEENS1_16block_id_wrapperIjLb1EEEEEvT_jT0_jPNS7_10value_typeE
; %bb.0:
	s_clause 0x2
	s_load_b32 s7, s[0:1], 0x34
	s_load_b64 s[2:3], s[0:1], 0x20
	s_load_b96 s[4:6], s[0:1], 0x0
	s_wait_kmcnt 0x0
	s_and_b32 s7, s7, 0xffff
	s_cmp_eq_u64 s[2:3], 0
	v_mad_co_u64_u32 v[0:1], null, ttmp9, s7, v[0:1]
	s_cbranch_scc1 .LBB56_9
; %bb.1:
	s_load_b32 s8, s[0:1], 0x18
	s_mov_b32 s9, 0
	s_wait_kmcnt 0x0
	s_cmp_lt_u32 s8, s6
	s_cselect_b32 s7, s8, 0
	s_wait_alu 0xfffe
	v_cmp_eq_u32_e32 vcc_lo, s7, v0
	s_and_saveexec_b32 s7, vcc_lo
	s_cbranch_execz .LBB56_8
; %bb.2:
	s_add_co_i32 s8, s8, 32
	v_mov_b32_e32 v1, 0
	s_lshl_b64 s[8:9], s[8:9], 3
	s_delay_alu instid0(SALU_CYCLE_1) | instskip(SKIP_3) | instid1(VALU_DEP_1)
	s_add_nc_u64 s[8:9], s[4:5], s[8:9]
	global_load_b64 v[3:4], v1, s[8:9] scope:SCOPE_DEV
	s_wait_loadcnt 0x0
	v_and_b32_e32 v2, 0xff, v4
	v_cmp_ne_u64_e32 vcc_lo, 0, v[1:2]
	s_cbranch_vccnz .LBB56_7
; %bb.3:
	s_mov_b32 s10, 1
.LBB56_4:                               ; =>This Loop Header: Depth=1
                                        ;     Child Loop BB56_5 Depth 2
	s_delay_alu instid0(SALU_CYCLE_1)
	s_mov_b32 s11, s10
.LBB56_5:                               ;   Parent Loop BB56_4 Depth=1
                                        ; =>  This Inner Loop Header: Depth=2
	s_delay_alu instid0(SALU_CYCLE_1)
	s_add_co_i32 s11, s11, -1
	s_sleep 1
	s_cmp_eq_u32 s11, 0
	s_cbranch_scc0 .LBB56_5
; %bb.6:                                ;   in Loop: Header=BB56_4 Depth=1
	global_load_b64 v[3:4], v1, s[8:9] scope:SCOPE_DEV
	s_cmp_lt_u32 s10, 32
	s_cselect_b32 s11, -1, 0
	s_delay_alu instid0(SALU_CYCLE_1) | instskip(SKIP_3) | instid1(VALU_DEP_1)
	s_cmp_lg_u32 s11, 0
	s_add_co_ci_u32 s10, s10, 0
	s_wait_loadcnt 0x0
	v_and_b32_e32 v2, 0xff, v4
	v_cmp_ne_u64_e32 vcc_lo, 0, v[1:2]
	s_cbranch_vccz .LBB56_4
.LBB56_7:
	v_mov_b32_e32 v1, 0
	global_store_b32 v1, v3, s[2:3]
.LBB56_8:
	s_wait_alu 0xfffe
	s_or_b32 exec_lo, exec_lo, s7
.LBB56_9:
	s_delay_alu instid0(SALU_CYCLE_1)
	s_mov_b32 s2, exec_lo
	v_cmpx_eq_u32_e32 0, v0
	s_cbranch_execz .LBB56_11
; %bb.10:
	s_load_b64 s[0:1], s[0:1], 0x10
	v_mov_b32_e32 v1, 0
	s_wait_kmcnt 0x0
	global_store_b32 v1, v1, s[0:1]
.LBB56_11:
	s_or_b32 exec_lo, exec_lo, s2
	s_delay_alu instid0(SALU_CYCLE_1)
	s_mov_b32 s0, exec_lo
	v_cmpx_gt_u32_e64 s6, v0
	s_cbranch_execz .LBB56_13
; %bb.12:
	v_dual_mov_b32 v2, 0 :: v_dual_add_nc_u32 v1, 32, v0
	s_delay_alu instid0(VALU_DEP_1) | instskip(SKIP_1) | instid1(VALU_DEP_2)
	v_lshlrev_b64_e32 v[3:4], 3, v[1:2]
	v_mov_b32_e32 v1, v2
	v_add_co_u32 v3, vcc_lo, s4, v3
	s_delay_alu instid0(VALU_DEP_1)
	v_add_co_ci_u32_e64 v4, null, s5, v4, vcc_lo
	global_store_b64 v[3:4], v[1:2], off
.LBB56_13:
	s_wait_alu 0xfffe
	s_or_b32 exec_lo, exec_lo, s0
	s_delay_alu instid0(SALU_CYCLE_1)
	s_mov_b32 s0, exec_lo
	v_cmpx_gt_u32_e32 32, v0
	s_cbranch_execz .LBB56_15
; %bb.14:
	v_dual_mov_b32 v1, 0 :: v_dual_mov_b32 v4, 0xff
	s_delay_alu instid0(VALU_DEP_1) | instskip(NEXT) | instid1(VALU_DEP_1)
	v_lshlrev_b64_e32 v[2:3], 3, v[0:1]
	v_add_co_u32 v5, vcc_lo, s4, v2
	s_wait_alu 0xfffd
	s_delay_alu instid0(VALU_DEP_2)
	v_add_co_ci_u32_e64 v6, null, s5, v3, vcc_lo
	v_mov_b32_e32 v3, v1
	global_store_b64 v[5:6], v[3:4], off
.LBB56_15:
	s_endpgm
	.section	.rodata,"a",@progbits
	.p2align	6, 0x0
	.amdhsa_kernel _ZN7rocprim17ROCPRIM_400000_NS6detail31init_lookback_scan_state_kernelINS1_19lookback_scan_stateIjLb1ELb1EEENS1_16block_id_wrapperIjLb1EEEEEvT_jT0_jPNS7_10value_typeE
		.amdhsa_group_segment_fixed_size 0
		.amdhsa_private_segment_fixed_size 0
		.amdhsa_kernarg_size 296
		.amdhsa_user_sgpr_count 2
		.amdhsa_user_sgpr_dispatch_ptr 0
		.amdhsa_user_sgpr_queue_ptr 0
		.amdhsa_user_sgpr_kernarg_segment_ptr 1
		.amdhsa_user_sgpr_dispatch_id 0
		.amdhsa_user_sgpr_private_segment_size 0
		.amdhsa_wavefront_size32 1
		.amdhsa_uses_dynamic_stack 0
		.amdhsa_enable_private_segment 0
		.amdhsa_system_sgpr_workgroup_id_x 1
		.amdhsa_system_sgpr_workgroup_id_y 0
		.amdhsa_system_sgpr_workgroup_id_z 0
		.amdhsa_system_sgpr_workgroup_info 0
		.amdhsa_system_vgpr_workitem_id 0
		.amdhsa_next_free_vgpr 7
		.amdhsa_next_free_sgpr 12
		.amdhsa_reserve_vcc 1
		.amdhsa_float_round_mode_32 0
		.amdhsa_float_round_mode_16_64 0
		.amdhsa_float_denorm_mode_32 3
		.amdhsa_float_denorm_mode_16_64 3
		.amdhsa_fp16_overflow 0
		.amdhsa_workgroup_processor_mode 1
		.amdhsa_memory_ordered 1
		.amdhsa_forward_progress 1
		.amdhsa_inst_pref_size 4
		.amdhsa_round_robin_scheduling 0
		.amdhsa_exception_fp_ieee_invalid_op 0
		.amdhsa_exception_fp_denorm_src 0
		.amdhsa_exception_fp_ieee_div_zero 0
		.amdhsa_exception_fp_ieee_overflow 0
		.amdhsa_exception_fp_ieee_underflow 0
		.amdhsa_exception_fp_ieee_inexact 0
		.amdhsa_exception_int_div_zero 0
	.end_amdhsa_kernel
	.section	.text._ZN7rocprim17ROCPRIM_400000_NS6detail31init_lookback_scan_state_kernelINS1_19lookback_scan_stateIjLb1ELb1EEENS1_16block_id_wrapperIjLb1EEEEEvT_jT0_jPNS7_10value_typeE,"axG",@progbits,_ZN7rocprim17ROCPRIM_400000_NS6detail31init_lookback_scan_state_kernelINS1_19lookback_scan_stateIjLb1ELb1EEENS1_16block_id_wrapperIjLb1EEEEEvT_jT0_jPNS7_10value_typeE,comdat
.Lfunc_end56:
	.size	_ZN7rocprim17ROCPRIM_400000_NS6detail31init_lookback_scan_state_kernelINS1_19lookback_scan_stateIjLb1ELb1EEENS1_16block_id_wrapperIjLb1EEEEEvT_jT0_jPNS7_10value_typeE, .Lfunc_end56-_ZN7rocprim17ROCPRIM_400000_NS6detail31init_lookback_scan_state_kernelINS1_19lookback_scan_stateIjLb1ELb1EEENS1_16block_id_wrapperIjLb1EEEEEvT_jT0_jPNS7_10value_typeE
                                        ; -- End function
	.set _ZN7rocprim17ROCPRIM_400000_NS6detail31init_lookback_scan_state_kernelINS1_19lookback_scan_stateIjLb1ELb1EEENS1_16block_id_wrapperIjLb1EEEEEvT_jT0_jPNS7_10value_typeE.num_vgpr, 7
	.set _ZN7rocprim17ROCPRIM_400000_NS6detail31init_lookback_scan_state_kernelINS1_19lookback_scan_stateIjLb1ELb1EEENS1_16block_id_wrapperIjLb1EEEEEvT_jT0_jPNS7_10value_typeE.num_agpr, 0
	.set _ZN7rocprim17ROCPRIM_400000_NS6detail31init_lookback_scan_state_kernelINS1_19lookback_scan_stateIjLb1ELb1EEENS1_16block_id_wrapperIjLb1EEEEEvT_jT0_jPNS7_10value_typeE.numbered_sgpr, 12
	.set _ZN7rocprim17ROCPRIM_400000_NS6detail31init_lookback_scan_state_kernelINS1_19lookback_scan_stateIjLb1ELb1EEENS1_16block_id_wrapperIjLb1EEEEEvT_jT0_jPNS7_10value_typeE.num_named_barrier, 0
	.set _ZN7rocprim17ROCPRIM_400000_NS6detail31init_lookback_scan_state_kernelINS1_19lookback_scan_stateIjLb1ELb1EEENS1_16block_id_wrapperIjLb1EEEEEvT_jT0_jPNS7_10value_typeE.private_seg_size, 0
	.set _ZN7rocprim17ROCPRIM_400000_NS6detail31init_lookback_scan_state_kernelINS1_19lookback_scan_stateIjLb1ELb1EEENS1_16block_id_wrapperIjLb1EEEEEvT_jT0_jPNS7_10value_typeE.uses_vcc, 1
	.set _ZN7rocprim17ROCPRIM_400000_NS6detail31init_lookback_scan_state_kernelINS1_19lookback_scan_stateIjLb1ELb1EEENS1_16block_id_wrapperIjLb1EEEEEvT_jT0_jPNS7_10value_typeE.uses_flat_scratch, 0
	.set _ZN7rocprim17ROCPRIM_400000_NS6detail31init_lookback_scan_state_kernelINS1_19lookback_scan_stateIjLb1ELb1EEENS1_16block_id_wrapperIjLb1EEEEEvT_jT0_jPNS7_10value_typeE.has_dyn_sized_stack, 0
	.set _ZN7rocprim17ROCPRIM_400000_NS6detail31init_lookback_scan_state_kernelINS1_19lookback_scan_stateIjLb1ELb1EEENS1_16block_id_wrapperIjLb1EEEEEvT_jT0_jPNS7_10value_typeE.has_recursion, 0
	.set _ZN7rocprim17ROCPRIM_400000_NS6detail31init_lookback_scan_state_kernelINS1_19lookback_scan_stateIjLb1ELb1EEENS1_16block_id_wrapperIjLb1EEEEEvT_jT0_jPNS7_10value_typeE.has_indirect_call, 0
	.section	.AMDGPU.csdata,"",@progbits
; Kernel info:
; codeLenInByte = 464
; TotalNumSgprs: 14
; NumVgprs: 7
; ScratchSize: 0
; MemoryBound: 0
; FloatMode: 240
; IeeeMode: 1
; LDSByteSize: 0 bytes/workgroup (compile time only)
; SGPRBlocks: 0
; VGPRBlocks: 0
; NumSGPRsForWavesPerEU: 14
; NumVGPRsForWavesPerEU: 7
; Occupancy: 16
; WaveLimiterHint : 0
; COMPUTE_PGM_RSRC2:SCRATCH_EN: 0
; COMPUTE_PGM_RSRC2:USER_SGPR: 2
; COMPUTE_PGM_RSRC2:TRAP_HANDLER: 0
; COMPUTE_PGM_RSRC2:TGID_X_EN: 1
; COMPUTE_PGM_RSRC2:TGID_Y_EN: 0
; COMPUTE_PGM_RSRC2:TGID_Z_EN: 0
; COMPUTE_PGM_RSRC2:TIDIG_COMP_CNT: 0
	.section	.text._ZN7rocprim17ROCPRIM_400000_NS6detail17trampoline_kernelINS0_13select_configILj256ELj13ELNS0_17block_load_methodE3ELS4_3ELS4_3ELNS0_20block_scan_algorithmE0ELj4294967295EEENS1_25partition_config_selectorILNS1_17partition_subalgoE3EjNS0_10empty_typeEbEEZZNS1_14partition_implILS8_3ELb0ES6_jNS0_17counting_iteratorIjlEEPS9_SE_NS0_5tupleIJPjSE_EEENSF_IJSE_SE_EEES9_SG_JZNS1_25segmented_radix_sort_implINS0_14default_configELb1EPKhPhPKlPlN2at6native12_GLOBAL__N_18offset_tEEE10hipError_tPvRmT1_PNSt15iterator_traitsISY_E10value_typeET2_T3_PNSZ_IS14_E10value_typeET4_jRbjT5_S1A_jjP12ihipStream_tbEUljE_EEESV_SW_SX_S14_S18_S1A_T6_T7_T9_mT8_S1C_bDpT10_ENKUlT_T0_E_clISt17integral_constantIbLb1EES1P_EEDaS1K_S1L_EUlS1K_E_NS1_11comp_targetILNS1_3genE0ELNS1_11target_archE4294967295ELNS1_3gpuE0ELNS1_3repE0EEENS1_30default_config_static_selectorELNS0_4arch9wavefront6targetE0EEEvSY_,"axG",@progbits,_ZN7rocprim17ROCPRIM_400000_NS6detail17trampoline_kernelINS0_13select_configILj256ELj13ELNS0_17block_load_methodE3ELS4_3ELS4_3ELNS0_20block_scan_algorithmE0ELj4294967295EEENS1_25partition_config_selectorILNS1_17partition_subalgoE3EjNS0_10empty_typeEbEEZZNS1_14partition_implILS8_3ELb0ES6_jNS0_17counting_iteratorIjlEEPS9_SE_NS0_5tupleIJPjSE_EEENSF_IJSE_SE_EEES9_SG_JZNS1_25segmented_radix_sort_implINS0_14default_configELb1EPKhPhPKlPlN2at6native12_GLOBAL__N_18offset_tEEE10hipError_tPvRmT1_PNSt15iterator_traitsISY_E10value_typeET2_T3_PNSZ_IS14_E10value_typeET4_jRbjT5_S1A_jjP12ihipStream_tbEUljE_EEESV_SW_SX_S14_S18_S1A_T6_T7_T9_mT8_S1C_bDpT10_ENKUlT_T0_E_clISt17integral_constantIbLb1EES1P_EEDaS1K_S1L_EUlS1K_E_NS1_11comp_targetILNS1_3genE0ELNS1_11target_archE4294967295ELNS1_3gpuE0ELNS1_3repE0EEENS1_30default_config_static_selectorELNS0_4arch9wavefront6targetE0EEEvSY_,comdat
	.globl	_ZN7rocprim17ROCPRIM_400000_NS6detail17trampoline_kernelINS0_13select_configILj256ELj13ELNS0_17block_load_methodE3ELS4_3ELS4_3ELNS0_20block_scan_algorithmE0ELj4294967295EEENS1_25partition_config_selectorILNS1_17partition_subalgoE3EjNS0_10empty_typeEbEEZZNS1_14partition_implILS8_3ELb0ES6_jNS0_17counting_iteratorIjlEEPS9_SE_NS0_5tupleIJPjSE_EEENSF_IJSE_SE_EEES9_SG_JZNS1_25segmented_radix_sort_implINS0_14default_configELb1EPKhPhPKlPlN2at6native12_GLOBAL__N_18offset_tEEE10hipError_tPvRmT1_PNSt15iterator_traitsISY_E10value_typeET2_T3_PNSZ_IS14_E10value_typeET4_jRbjT5_S1A_jjP12ihipStream_tbEUljE_EEESV_SW_SX_S14_S18_S1A_T6_T7_T9_mT8_S1C_bDpT10_ENKUlT_T0_E_clISt17integral_constantIbLb1EES1P_EEDaS1K_S1L_EUlS1K_E_NS1_11comp_targetILNS1_3genE0ELNS1_11target_archE4294967295ELNS1_3gpuE0ELNS1_3repE0EEENS1_30default_config_static_selectorELNS0_4arch9wavefront6targetE0EEEvSY_ ; -- Begin function _ZN7rocprim17ROCPRIM_400000_NS6detail17trampoline_kernelINS0_13select_configILj256ELj13ELNS0_17block_load_methodE3ELS4_3ELS4_3ELNS0_20block_scan_algorithmE0ELj4294967295EEENS1_25partition_config_selectorILNS1_17partition_subalgoE3EjNS0_10empty_typeEbEEZZNS1_14partition_implILS8_3ELb0ES6_jNS0_17counting_iteratorIjlEEPS9_SE_NS0_5tupleIJPjSE_EEENSF_IJSE_SE_EEES9_SG_JZNS1_25segmented_radix_sort_implINS0_14default_configELb1EPKhPhPKlPlN2at6native12_GLOBAL__N_18offset_tEEE10hipError_tPvRmT1_PNSt15iterator_traitsISY_E10value_typeET2_T3_PNSZ_IS14_E10value_typeET4_jRbjT5_S1A_jjP12ihipStream_tbEUljE_EEESV_SW_SX_S14_S18_S1A_T6_T7_T9_mT8_S1C_bDpT10_ENKUlT_T0_E_clISt17integral_constantIbLb1EES1P_EEDaS1K_S1L_EUlS1K_E_NS1_11comp_targetILNS1_3genE0ELNS1_11target_archE4294967295ELNS1_3gpuE0ELNS1_3repE0EEENS1_30default_config_static_selectorELNS0_4arch9wavefront6targetE0EEEvSY_
	.p2align	8
	.type	_ZN7rocprim17ROCPRIM_400000_NS6detail17trampoline_kernelINS0_13select_configILj256ELj13ELNS0_17block_load_methodE3ELS4_3ELS4_3ELNS0_20block_scan_algorithmE0ELj4294967295EEENS1_25partition_config_selectorILNS1_17partition_subalgoE3EjNS0_10empty_typeEbEEZZNS1_14partition_implILS8_3ELb0ES6_jNS0_17counting_iteratorIjlEEPS9_SE_NS0_5tupleIJPjSE_EEENSF_IJSE_SE_EEES9_SG_JZNS1_25segmented_radix_sort_implINS0_14default_configELb1EPKhPhPKlPlN2at6native12_GLOBAL__N_18offset_tEEE10hipError_tPvRmT1_PNSt15iterator_traitsISY_E10value_typeET2_T3_PNSZ_IS14_E10value_typeET4_jRbjT5_S1A_jjP12ihipStream_tbEUljE_EEESV_SW_SX_S14_S18_S1A_T6_T7_T9_mT8_S1C_bDpT10_ENKUlT_T0_E_clISt17integral_constantIbLb1EES1P_EEDaS1K_S1L_EUlS1K_E_NS1_11comp_targetILNS1_3genE0ELNS1_11target_archE4294967295ELNS1_3gpuE0ELNS1_3repE0EEENS1_30default_config_static_selectorELNS0_4arch9wavefront6targetE0EEEvSY_,@function
_ZN7rocprim17ROCPRIM_400000_NS6detail17trampoline_kernelINS0_13select_configILj256ELj13ELNS0_17block_load_methodE3ELS4_3ELS4_3ELNS0_20block_scan_algorithmE0ELj4294967295EEENS1_25partition_config_selectorILNS1_17partition_subalgoE3EjNS0_10empty_typeEbEEZZNS1_14partition_implILS8_3ELb0ES6_jNS0_17counting_iteratorIjlEEPS9_SE_NS0_5tupleIJPjSE_EEENSF_IJSE_SE_EEES9_SG_JZNS1_25segmented_radix_sort_implINS0_14default_configELb1EPKhPhPKlPlN2at6native12_GLOBAL__N_18offset_tEEE10hipError_tPvRmT1_PNSt15iterator_traitsISY_E10value_typeET2_T3_PNSZ_IS14_E10value_typeET4_jRbjT5_S1A_jjP12ihipStream_tbEUljE_EEESV_SW_SX_S14_S18_S1A_T6_T7_T9_mT8_S1C_bDpT10_ENKUlT_T0_E_clISt17integral_constantIbLb1EES1P_EEDaS1K_S1L_EUlS1K_E_NS1_11comp_targetILNS1_3genE0ELNS1_11target_archE4294967295ELNS1_3gpuE0ELNS1_3repE0EEENS1_30default_config_static_selectorELNS0_4arch9wavefront6targetE0EEEvSY_: ; @_ZN7rocprim17ROCPRIM_400000_NS6detail17trampoline_kernelINS0_13select_configILj256ELj13ELNS0_17block_load_methodE3ELS4_3ELS4_3ELNS0_20block_scan_algorithmE0ELj4294967295EEENS1_25partition_config_selectorILNS1_17partition_subalgoE3EjNS0_10empty_typeEbEEZZNS1_14partition_implILS8_3ELb0ES6_jNS0_17counting_iteratorIjlEEPS9_SE_NS0_5tupleIJPjSE_EEENSF_IJSE_SE_EEES9_SG_JZNS1_25segmented_radix_sort_implINS0_14default_configELb1EPKhPhPKlPlN2at6native12_GLOBAL__N_18offset_tEEE10hipError_tPvRmT1_PNSt15iterator_traitsISY_E10value_typeET2_T3_PNSZ_IS14_E10value_typeET4_jRbjT5_S1A_jjP12ihipStream_tbEUljE_EEESV_SW_SX_S14_S18_S1A_T6_T7_T9_mT8_S1C_bDpT10_ENKUlT_T0_E_clISt17integral_constantIbLb1EES1P_EEDaS1K_S1L_EUlS1K_E_NS1_11comp_targetILNS1_3genE0ELNS1_11target_archE4294967295ELNS1_3gpuE0ELNS1_3repE0EEENS1_30default_config_static_selectorELNS0_4arch9wavefront6targetE0EEEvSY_
; %bb.0:
	.section	.rodata,"a",@progbits
	.p2align	6, 0x0
	.amdhsa_kernel _ZN7rocprim17ROCPRIM_400000_NS6detail17trampoline_kernelINS0_13select_configILj256ELj13ELNS0_17block_load_methodE3ELS4_3ELS4_3ELNS0_20block_scan_algorithmE0ELj4294967295EEENS1_25partition_config_selectorILNS1_17partition_subalgoE3EjNS0_10empty_typeEbEEZZNS1_14partition_implILS8_3ELb0ES6_jNS0_17counting_iteratorIjlEEPS9_SE_NS0_5tupleIJPjSE_EEENSF_IJSE_SE_EEES9_SG_JZNS1_25segmented_radix_sort_implINS0_14default_configELb1EPKhPhPKlPlN2at6native12_GLOBAL__N_18offset_tEEE10hipError_tPvRmT1_PNSt15iterator_traitsISY_E10value_typeET2_T3_PNSZ_IS14_E10value_typeET4_jRbjT5_S1A_jjP12ihipStream_tbEUljE_EEESV_SW_SX_S14_S18_S1A_T6_T7_T9_mT8_S1C_bDpT10_ENKUlT_T0_E_clISt17integral_constantIbLb1EES1P_EEDaS1K_S1L_EUlS1K_E_NS1_11comp_targetILNS1_3genE0ELNS1_11target_archE4294967295ELNS1_3gpuE0ELNS1_3repE0EEENS1_30default_config_static_selectorELNS0_4arch9wavefront6targetE0EEEvSY_
		.amdhsa_group_segment_fixed_size 0
		.amdhsa_private_segment_fixed_size 0
		.amdhsa_kernarg_size 152
		.amdhsa_user_sgpr_count 2
		.amdhsa_user_sgpr_dispatch_ptr 0
		.amdhsa_user_sgpr_queue_ptr 0
		.amdhsa_user_sgpr_kernarg_segment_ptr 1
		.amdhsa_user_sgpr_dispatch_id 0
		.amdhsa_user_sgpr_private_segment_size 0
		.amdhsa_wavefront_size32 1
		.amdhsa_uses_dynamic_stack 0
		.amdhsa_enable_private_segment 0
		.amdhsa_system_sgpr_workgroup_id_x 1
		.amdhsa_system_sgpr_workgroup_id_y 0
		.amdhsa_system_sgpr_workgroup_id_z 0
		.amdhsa_system_sgpr_workgroup_info 0
		.amdhsa_system_vgpr_workitem_id 0
		.amdhsa_next_free_vgpr 1
		.amdhsa_next_free_sgpr 1
		.amdhsa_reserve_vcc 0
		.amdhsa_float_round_mode_32 0
		.amdhsa_float_round_mode_16_64 0
		.amdhsa_float_denorm_mode_32 3
		.amdhsa_float_denorm_mode_16_64 3
		.amdhsa_fp16_overflow 0
		.amdhsa_workgroup_processor_mode 1
		.amdhsa_memory_ordered 1
		.amdhsa_forward_progress 1
		.amdhsa_inst_pref_size 0
		.amdhsa_round_robin_scheduling 0
		.amdhsa_exception_fp_ieee_invalid_op 0
		.amdhsa_exception_fp_denorm_src 0
		.amdhsa_exception_fp_ieee_div_zero 0
		.amdhsa_exception_fp_ieee_overflow 0
		.amdhsa_exception_fp_ieee_underflow 0
		.amdhsa_exception_fp_ieee_inexact 0
		.amdhsa_exception_int_div_zero 0
	.end_amdhsa_kernel
	.section	.text._ZN7rocprim17ROCPRIM_400000_NS6detail17trampoline_kernelINS0_13select_configILj256ELj13ELNS0_17block_load_methodE3ELS4_3ELS4_3ELNS0_20block_scan_algorithmE0ELj4294967295EEENS1_25partition_config_selectorILNS1_17partition_subalgoE3EjNS0_10empty_typeEbEEZZNS1_14partition_implILS8_3ELb0ES6_jNS0_17counting_iteratorIjlEEPS9_SE_NS0_5tupleIJPjSE_EEENSF_IJSE_SE_EEES9_SG_JZNS1_25segmented_radix_sort_implINS0_14default_configELb1EPKhPhPKlPlN2at6native12_GLOBAL__N_18offset_tEEE10hipError_tPvRmT1_PNSt15iterator_traitsISY_E10value_typeET2_T3_PNSZ_IS14_E10value_typeET4_jRbjT5_S1A_jjP12ihipStream_tbEUljE_EEESV_SW_SX_S14_S18_S1A_T6_T7_T9_mT8_S1C_bDpT10_ENKUlT_T0_E_clISt17integral_constantIbLb1EES1P_EEDaS1K_S1L_EUlS1K_E_NS1_11comp_targetILNS1_3genE0ELNS1_11target_archE4294967295ELNS1_3gpuE0ELNS1_3repE0EEENS1_30default_config_static_selectorELNS0_4arch9wavefront6targetE0EEEvSY_,"axG",@progbits,_ZN7rocprim17ROCPRIM_400000_NS6detail17trampoline_kernelINS0_13select_configILj256ELj13ELNS0_17block_load_methodE3ELS4_3ELS4_3ELNS0_20block_scan_algorithmE0ELj4294967295EEENS1_25partition_config_selectorILNS1_17partition_subalgoE3EjNS0_10empty_typeEbEEZZNS1_14partition_implILS8_3ELb0ES6_jNS0_17counting_iteratorIjlEEPS9_SE_NS0_5tupleIJPjSE_EEENSF_IJSE_SE_EEES9_SG_JZNS1_25segmented_radix_sort_implINS0_14default_configELb1EPKhPhPKlPlN2at6native12_GLOBAL__N_18offset_tEEE10hipError_tPvRmT1_PNSt15iterator_traitsISY_E10value_typeET2_T3_PNSZ_IS14_E10value_typeET4_jRbjT5_S1A_jjP12ihipStream_tbEUljE_EEESV_SW_SX_S14_S18_S1A_T6_T7_T9_mT8_S1C_bDpT10_ENKUlT_T0_E_clISt17integral_constantIbLb1EES1P_EEDaS1K_S1L_EUlS1K_E_NS1_11comp_targetILNS1_3genE0ELNS1_11target_archE4294967295ELNS1_3gpuE0ELNS1_3repE0EEENS1_30default_config_static_selectorELNS0_4arch9wavefront6targetE0EEEvSY_,comdat
.Lfunc_end57:
	.size	_ZN7rocprim17ROCPRIM_400000_NS6detail17trampoline_kernelINS0_13select_configILj256ELj13ELNS0_17block_load_methodE3ELS4_3ELS4_3ELNS0_20block_scan_algorithmE0ELj4294967295EEENS1_25partition_config_selectorILNS1_17partition_subalgoE3EjNS0_10empty_typeEbEEZZNS1_14partition_implILS8_3ELb0ES6_jNS0_17counting_iteratorIjlEEPS9_SE_NS0_5tupleIJPjSE_EEENSF_IJSE_SE_EEES9_SG_JZNS1_25segmented_radix_sort_implINS0_14default_configELb1EPKhPhPKlPlN2at6native12_GLOBAL__N_18offset_tEEE10hipError_tPvRmT1_PNSt15iterator_traitsISY_E10value_typeET2_T3_PNSZ_IS14_E10value_typeET4_jRbjT5_S1A_jjP12ihipStream_tbEUljE_EEESV_SW_SX_S14_S18_S1A_T6_T7_T9_mT8_S1C_bDpT10_ENKUlT_T0_E_clISt17integral_constantIbLb1EES1P_EEDaS1K_S1L_EUlS1K_E_NS1_11comp_targetILNS1_3genE0ELNS1_11target_archE4294967295ELNS1_3gpuE0ELNS1_3repE0EEENS1_30default_config_static_selectorELNS0_4arch9wavefront6targetE0EEEvSY_, .Lfunc_end57-_ZN7rocprim17ROCPRIM_400000_NS6detail17trampoline_kernelINS0_13select_configILj256ELj13ELNS0_17block_load_methodE3ELS4_3ELS4_3ELNS0_20block_scan_algorithmE0ELj4294967295EEENS1_25partition_config_selectorILNS1_17partition_subalgoE3EjNS0_10empty_typeEbEEZZNS1_14partition_implILS8_3ELb0ES6_jNS0_17counting_iteratorIjlEEPS9_SE_NS0_5tupleIJPjSE_EEENSF_IJSE_SE_EEES9_SG_JZNS1_25segmented_radix_sort_implINS0_14default_configELb1EPKhPhPKlPlN2at6native12_GLOBAL__N_18offset_tEEE10hipError_tPvRmT1_PNSt15iterator_traitsISY_E10value_typeET2_T3_PNSZ_IS14_E10value_typeET4_jRbjT5_S1A_jjP12ihipStream_tbEUljE_EEESV_SW_SX_S14_S18_S1A_T6_T7_T9_mT8_S1C_bDpT10_ENKUlT_T0_E_clISt17integral_constantIbLb1EES1P_EEDaS1K_S1L_EUlS1K_E_NS1_11comp_targetILNS1_3genE0ELNS1_11target_archE4294967295ELNS1_3gpuE0ELNS1_3repE0EEENS1_30default_config_static_selectorELNS0_4arch9wavefront6targetE0EEEvSY_
                                        ; -- End function
	.set _ZN7rocprim17ROCPRIM_400000_NS6detail17trampoline_kernelINS0_13select_configILj256ELj13ELNS0_17block_load_methodE3ELS4_3ELS4_3ELNS0_20block_scan_algorithmE0ELj4294967295EEENS1_25partition_config_selectorILNS1_17partition_subalgoE3EjNS0_10empty_typeEbEEZZNS1_14partition_implILS8_3ELb0ES6_jNS0_17counting_iteratorIjlEEPS9_SE_NS0_5tupleIJPjSE_EEENSF_IJSE_SE_EEES9_SG_JZNS1_25segmented_radix_sort_implINS0_14default_configELb1EPKhPhPKlPlN2at6native12_GLOBAL__N_18offset_tEEE10hipError_tPvRmT1_PNSt15iterator_traitsISY_E10value_typeET2_T3_PNSZ_IS14_E10value_typeET4_jRbjT5_S1A_jjP12ihipStream_tbEUljE_EEESV_SW_SX_S14_S18_S1A_T6_T7_T9_mT8_S1C_bDpT10_ENKUlT_T0_E_clISt17integral_constantIbLb1EES1P_EEDaS1K_S1L_EUlS1K_E_NS1_11comp_targetILNS1_3genE0ELNS1_11target_archE4294967295ELNS1_3gpuE0ELNS1_3repE0EEENS1_30default_config_static_selectorELNS0_4arch9wavefront6targetE0EEEvSY_.num_vgpr, 0
	.set _ZN7rocprim17ROCPRIM_400000_NS6detail17trampoline_kernelINS0_13select_configILj256ELj13ELNS0_17block_load_methodE3ELS4_3ELS4_3ELNS0_20block_scan_algorithmE0ELj4294967295EEENS1_25partition_config_selectorILNS1_17partition_subalgoE3EjNS0_10empty_typeEbEEZZNS1_14partition_implILS8_3ELb0ES6_jNS0_17counting_iteratorIjlEEPS9_SE_NS0_5tupleIJPjSE_EEENSF_IJSE_SE_EEES9_SG_JZNS1_25segmented_radix_sort_implINS0_14default_configELb1EPKhPhPKlPlN2at6native12_GLOBAL__N_18offset_tEEE10hipError_tPvRmT1_PNSt15iterator_traitsISY_E10value_typeET2_T3_PNSZ_IS14_E10value_typeET4_jRbjT5_S1A_jjP12ihipStream_tbEUljE_EEESV_SW_SX_S14_S18_S1A_T6_T7_T9_mT8_S1C_bDpT10_ENKUlT_T0_E_clISt17integral_constantIbLb1EES1P_EEDaS1K_S1L_EUlS1K_E_NS1_11comp_targetILNS1_3genE0ELNS1_11target_archE4294967295ELNS1_3gpuE0ELNS1_3repE0EEENS1_30default_config_static_selectorELNS0_4arch9wavefront6targetE0EEEvSY_.num_agpr, 0
	.set _ZN7rocprim17ROCPRIM_400000_NS6detail17trampoline_kernelINS0_13select_configILj256ELj13ELNS0_17block_load_methodE3ELS4_3ELS4_3ELNS0_20block_scan_algorithmE0ELj4294967295EEENS1_25partition_config_selectorILNS1_17partition_subalgoE3EjNS0_10empty_typeEbEEZZNS1_14partition_implILS8_3ELb0ES6_jNS0_17counting_iteratorIjlEEPS9_SE_NS0_5tupleIJPjSE_EEENSF_IJSE_SE_EEES9_SG_JZNS1_25segmented_radix_sort_implINS0_14default_configELb1EPKhPhPKlPlN2at6native12_GLOBAL__N_18offset_tEEE10hipError_tPvRmT1_PNSt15iterator_traitsISY_E10value_typeET2_T3_PNSZ_IS14_E10value_typeET4_jRbjT5_S1A_jjP12ihipStream_tbEUljE_EEESV_SW_SX_S14_S18_S1A_T6_T7_T9_mT8_S1C_bDpT10_ENKUlT_T0_E_clISt17integral_constantIbLb1EES1P_EEDaS1K_S1L_EUlS1K_E_NS1_11comp_targetILNS1_3genE0ELNS1_11target_archE4294967295ELNS1_3gpuE0ELNS1_3repE0EEENS1_30default_config_static_selectorELNS0_4arch9wavefront6targetE0EEEvSY_.numbered_sgpr, 0
	.set _ZN7rocprim17ROCPRIM_400000_NS6detail17trampoline_kernelINS0_13select_configILj256ELj13ELNS0_17block_load_methodE3ELS4_3ELS4_3ELNS0_20block_scan_algorithmE0ELj4294967295EEENS1_25partition_config_selectorILNS1_17partition_subalgoE3EjNS0_10empty_typeEbEEZZNS1_14partition_implILS8_3ELb0ES6_jNS0_17counting_iteratorIjlEEPS9_SE_NS0_5tupleIJPjSE_EEENSF_IJSE_SE_EEES9_SG_JZNS1_25segmented_radix_sort_implINS0_14default_configELb1EPKhPhPKlPlN2at6native12_GLOBAL__N_18offset_tEEE10hipError_tPvRmT1_PNSt15iterator_traitsISY_E10value_typeET2_T3_PNSZ_IS14_E10value_typeET4_jRbjT5_S1A_jjP12ihipStream_tbEUljE_EEESV_SW_SX_S14_S18_S1A_T6_T7_T9_mT8_S1C_bDpT10_ENKUlT_T0_E_clISt17integral_constantIbLb1EES1P_EEDaS1K_S1L_EUlS1K_E_NS1_11comp_targetILNS1_3genE0ELNS1_11target_archE4294967295ELNS1_3gpuE0ELNS1_3repE0EEENS1_30default_config_static_selectorELNS0_4arch9wavefront6targetE0EEEvSY_.num_named_barrier, 0
	.set _ZN7rocprim17ROCPRIM_400000_NS6detail17trampoline_kernelINS0_13select_configILj256ELj13ELNS0_17block_load_methodE3ELS4_3ELS4_3ELNS0_20block_scan_algorithmE0ELj4294967295EEENS1_25partition_config_selectorILNS1_17partition_subalgoE3EjNS0_10empty_typeEbEEZZNS1_14partition_implILS8_3ELb0ES6_jNS0_17counting_iteratorIjlEEPS9_SE_NS0_5tupleIJPjSE_EEENSF_IJSE_SE_EEES9_SG_JZNS1_25segmented_radix_sort_implINS0_14default_configELb1EPKhPhPKlPlN2at6native12_GLOBAL__N_18offset_tEEE10hipError_tPvRmT1_PNSt15iterator_traitsISY_E10value_typeET2_T3_PNSZ_IS14_E10value_typeET4_jRbjT5_S1A_jjP12ihipStream_tbEUljE_EEESV_SW_SX_S14_S18_S1A_T6_T7_T9_mT8_S1C_bDpT10_ENKUlT_T0_E_clISt17integral_constantIbLb1EES1P_EEDaS1K_S1L_EUlS1K_E_NS1_11comp_targetILNS1_3genE0ELNS1_11target_archE4294967295ELNS1_3gpuE0ELNS1_3repE0EEENS1_30default_config_static_selectorELNS0_4arch9wavefront6targetE0EEEvSY_.private_seg_size, 0
	.set _ZN7rocprim17ROCPRIM_400000_NS6detail17trampoline_kernelINS0_13select_configILj256ELj13ELNS0_17block_load_methodE3ELS4_3ELS4_3ELNS0_20block_scan_algorithmE0ELj4294967295EEENS1_25partition_config_selectorILNS1_17partition_subalgoE3EjNS0_10empty_typeEbEEZZNS1_14partition_implILS8_3ELb0ES6_jNS0_17counting_iteratorIjlEEPS9_SE_NS0_5tupleIJPjSE_EEENSF_IJSE_SE_EEES9_SG_JZNS1_25segmented_radix_sort_implINS0_14default_configELb1EPKhPhPKlPlN2at6native12_GLOBAL__N_18offset_tEEE10hipError_tPvRmT1_PNSt15iterator_traitsISY_E10value_typeET2_T3_PNSZ_IS14_E10value_typeET4_jRbjT5_S1A_jjP12ihipStream_tbEUljE_EEESV_SW_SX_S14_S18_S1A_T6_T7_T9_mT8_S1C_bDpT10_ENKUlT_T0_E_clISt17integral_constantIbLb1EES1P_EEDaS1K_S1L_EUlS1K_E_NS1_11comp_targetILNS1_3genE0ELNS1_11target_archE4294967295ELNS1_3gpuE0ELNS1_3repE0EEENS1_30default_config_static_selectorELNS0_4arch9wavefront6targetE0EEEvSY_.uses_vcc, 0
	.set _ZN7rocprim17ROCPRIM_400000_NS6detail17trampoline_kernelINS0_13select_configILj256ELj13ELNS0_17block_load_methodE3ELS4_3ELS4_3ELNS0_20block_scan_algorithmE0ELj4294967295EEENS1_25partition_config_selectorILNS1_17partition_subalgoE3EjNS0_10empty_typeEbEEZZNS1_14partition_implILS8_3ELb0ES6_jNS0_17counting_iteratorIjlEEPS9_SE_NS0_5tupleIJPjSE_EEENSF_IJSE_SE_EEES9_SG_JZNS1_25segmented_radix_sort_implINS0_14default_configELb1EPKhPhPKlPlN2at6native12_GLOBAL__N_18offset_tEEE10hipError_tPvRmT1_PNSt15iterator_traitsISY_E10value_typeET2_T3_PNSZ_IS14_E10value_typeET4_jRbjT5_S1A_jjP12ihipStream_tbEUljE_EEESV_SW_SX_S14_S18_S1A_T6_T7_T9_mT8_S1C_bDpT10_ENKUlT_T0_E_clISt17integral_constantIbLb1EES1P_EEDaS1K_S1L_EUlS1K_E_NS1_11comp_targetILNS1_3genE0ELNS1_11target_archE4294967295ELNS1_3gpuE0ELNS1_3repE0EEENS1_30default_config_static_selectorELNS0_4arch9wavefront6targetE0EEEvSY_.uses_flat_scratch, 0
	.set _ZN7rocprim17ROCPRIM_400000_NS6detail17trampoline_kernelINS0_13select_configILj256ELj13ELNS0_17block_load_methodE3ELS4_3ELS4_3ELNS0_20block_scan_algorithmE0ELj4294967295EEENS1_25partition_config_selectorILNS1_17partition_subalgoE3EjNS0_10empty_typeEbEEZZNS1_14partition_implILS8_3ELb0ES6_jNS0_17counting_iteratorIjlEEPS9_SE_NS0_5tupleIJPjSE_EEENSF_IJSE_SE_EEES9_SG_JZNS1_25segmented_radix_sort_implINS0_14default_configELb1EPKhPhPKlPlN2at6native12_GLOBAL__N_18offset_tEEE10hipError_tPvRmT1_PNSt15iterator_traitsISY_E10value_typeET2_T3_PNSZ_IS14_E10value_typeET4_jRbjT5_S1A_jjP12ihipStream_tbEUljE_EEESV_SW_SX_S14_S18_S1A_T6_T7_T9_mT8_S1C_bDpT10_ENKUlT_T0_E_clISt17integral_constantIbLb1EES1P_EEDaS1K_S1L_EUlS1K_E_NS1_11comp_targetILNS1_3genE0ELNS1_11target_archE4294967295ELNS1_3gpuE0ELNS1_3repE0EEENS1_30default_config_static_selectorELNS0_4arch9wavefront6targetE0EEEvSY_.has_dyn_sized_stack, 0
	.set _ZN7rocprim17ROCPRIM_400000_NS6detail17trampoline_kernelINS0_13select_configILj256ELj13ELNS0_17block_load_methodE3ELS4_3ELS4_3ELNS0_20block_scan_algorithmE0ELj4294967295EEENS1_25partition_config_selectorILNS1_17partition_subalgoE3EjNS0_10empty_typeEbEEZZNS1_14partition_implILS8_3ELb0ES6_jNS0_17counting_iteratorIjlEEPS9_SE_NS0_5tupleIJPjSE_EEENSF_IJSE_SE_EEES9_SG_JZNS1_25segmented_radix_sort_implINS0_14default_configELb1EPKhPhPKlPlN2at6native12_GLOBAL__N_18offset_tEEE10hipError_tPvRmT1_PNSt15iterator_traitsISY_E10value_typeET2_T3_PNSZ_IS14_E10value_typeET4_jRbjT5_S1A_jjP12ihipStream_tbEUljE_EEESV_SW_SX_S14_S18_S1A_T6_T7_T9_mT8_S1C_bDpT10_ENKUlT_T0_E_clISt17integral_constantIbLb1EES1P_EEDaS1K_S1L_EUlS1K_E_NS1_11comp_targetILNS1_3genE0ELNS1_11target_archE4294967295ELNS1_3gpuE0ELNS1_3repE0EEENS1_30default_config_static_selectorELNS0_4arch9wavefront6targetE0EEEvSY_.has_recursion, 0
	.set _ZN7rocprim17ROCPRIM_400000_NS6detail17trampoline_kernelINS0_13select_configILj256ELj13ELNS0_17block_load_methodE3ELS4_3ELS4_3ELNS0_20block_scan_algorithmE0ELj4294967295EEENS1_25partition_config_selectorILNS1_17partition_subalgoE3EjNS0_10empty_typeEbEEZZNS1_14partition_implILS8_3ELb0ES6_jNS0_17counting_iteratorIjlEEPS9_SE_NS0_5tupleIJPjSE_EEENSF_IJSE_SE_EEES9_SG_JZNS1_25segmented_radix_sort_implINS0_14default_configELb1EPKhPhPKlPlN2at6native12_GLOBAL__N_18offset_tEEE10hipError_tPvRmT1_PNSt15iterator_traitsISY_E10value_typeET2_T3_PNSZ_IS14_E10value_typeET4_jRbjT5_S1A_jjP12ihipStream_tbEUljE_EEESV_SW_SX_S14_S18_S1A_T6_T7_T9_mT8_S1C_bDpT10_ENKUlT_T0_E_clISt17integral_constantIbLb1EES1P_EEDaS1K_S1L_EUlS1K_E_NS1_11comp_targetILNS1_3genE0ELNS1_11target_archE4294967295ELNS1_3gpuE0ELNS1_3repE0EEENS1_30default_config_static_selectorELNS0_4arch9wavefront6targetE0EEEvSY_.has_indirect_call, 0
	.section	.AMDGPU.csdata,"",@progbits
; Kernel info:
; codeLenInByte = 0
; TotalNumSgprs: 0
; NumVgprs: 0
; ScratchSize: 0
; MemoryBound: 0
; FloatMode: 240
; IeeeMode: 1
; LDSByteSize: 0 bytes/workgroup (compile time only)
; SGPRBlocks: 0
; VGPRBlocks: 0
; NumSGPRsForWavesPerEU: 1
; NumVGPRsForWavesPerEU: 1
; Occupancy: 16
; WaveLimiterHint : 0
; COMPUTE_PGM_RSRC2:SCRATCH_EN: 0
; COMPUTE_PGM_RSRC2:USER_SGPR: 2
; COMPUTE_PGM_RSRC2:TRAP_HANDLER: 0
; COMPUTE_PGM_RSRC2:TGID_X_EN: 1
; COMPUTE_PGM_RSRC2:TGID_Y_EN: 0
; COMPUTE_PGM_RSRC2:TGID_Z_EN: 0
; COMPUTE_PGM_RSRC2:TIDIG_COMP_CNT: 0
	.section	.text._ZN7rocprim17ROCPRIM_400000_NS6detail17trampoline_kernelINS0_13select_configILj256ELj13ELNS0_17block_load_methodE3ELS4_3ELS4_3ELNS0_20block_scan_algorithmE0ELj4294967295EEENS1_25partition_config_selectorILNS1_17partition_subalgoE3EjNS0_10empty_typeEbEEZZNS1_14partition_implILS8_3ELb0ES6_jNS0_17counting_iteratorIjlEEPS9_SE_NS0_5tupleIJPjSE_EEENSF_IJSE_SE_EEES9_SG_JZNS1_25segmented_radix_sort_implINS0_14default_configELb1EPKhPhPKlPlN2at6native12_GLOBAL__N_18offset_tEEE10hipError_tPvRmT1_PNSt15iterator_traitsISY_E10value_typeET2_T3_PNSZ_IS14_E10value_typeET4_jRbjT5_S1A_jjP12ihipStream_tbEUljE_EEESV_SW_SX_S14_S18_S1A_T6_T7_T9_mT8_S1C_bDpT10_ENKUlT_T0_E_clISt17integral_constantIbLb1EES1P_EEDaS1K_S1L_EUlS1K_E_NS1_11comp_targetILNS1_3genE5ELNS1_11target_archE942ELNS1_3gpuE9ELNS1_3repE0EEENS1_30default_config_static_selectorELNS0_4arch9wavefront6targetE0EEEvSY_,"axG",@progbits,_ZN7rocprim17ROCPRIM_400000_NS6detail17trampoline_kernelINS0_13select_configILj256ELj13ELNS0_17block_load_methodE3ELS4_3ELS4_3ELNS0_20block_scan_algorithmE0ELj4294967295EEENS1_25partition_config_selectorILNS1_17partition_subalgoE3EjNS0_10empty_typeEbEEZZNS1_14partition_implILS8_3ELb0ES6_jNS0_17counting_iteratorIjlEEPS9_SE_NS0_5tupleIJPjSE_EEENSF_IJSE_SE_EEES9_SG_JZNS1_25segmented_radix_sort_implINS0_14default_configELb1EPKhPhPKlPlN2at6native12_GLOBAL__N_18offset_tEEE10hipError_tPvRmT1_PNSt15iterator_traitsISY_E10value_typeET2_T3_PNSZ_IS14_E10value_typeET4_jRbjT5_S1A_jjP12ihipStream_tbEUljE_EEESV_SW_SX_S14_S18_S1A_T6_T7_T9_mT8_S1C_bDpT10_ENKUlT_T0_E_clISt17integral_constantIbLb1EES1P_EEDaS1K_S1L_EUlS1K_E_NS1_11comp_targetILNS1_3genE5ELNS1_11target_archE942ELNS1_3gpuE9ELNS1_3repE0EEENS1_30default_config_static_selectorELNS0_4arch9wavefront6targetE0EEEvSY_,comdat
	.globl	_ZN7rocprim17ROCPRIM_400000_NS6detail17trampoline_kernelINS0_13select_configILj256ELj13ELNS0_17block_load_methodE3ELS4_3ELS4_3ELNS0_20block_scan_algorithmE0ELj4294967295EEENS1_25partition_config_selectorILNS1_17partition_subalgoE3EjNS0_10empty_typeEbEEZZNS1_14partition_implILS8_3ELb0ES6_jNS0_17counting_iteratorIjlEEPS9_SE_NS0_5tupleIJPjSE_EEENSF_IJSE_SE_EEES9_SG_JZNS1_25segmented_radix_sort_implINS0_14default_configELb1EPKhPhPKlPlN2at6native12_GLOBAL__N_18offset_tEEE10hipError_tPvRmT1_PNSt15iterator_traitsISY_E10value_typeET2_T3_PNSZ_IS14_E10value_typeET4_jRbjT5_S1A_jjP12ihipStream_tbEUljE_EEESV_SW_SX_S14_S18_S1A_T6_T7_T9_mT8_S1C_bDpT10_ENKUlT_T0_E_clISt17integral_constantIbLb1EES1P_EEDaS1K_S1L_EUlS1K_E_NS1_11comp_targetILNS1_3genE5ELNS1_11target_archE942ELNS1_3gpuE9ELNS1_3repE0EEENS1_30default_config_static_selectorELNS0_4arch9wavefront6targetE0EEEvSY_ ; -- Begin function _ZN7rocprim17ROCPRIM_400000_NS6detail17trampoline_kernelINS0_13select_configILj256ELj13ELNS0_17block_load_methodE3ELS4_3ELS4_3ELNS0_20block_scan_algorithmE0ELj4294967295EEENS1_25partition_config_selectorILNS1_17partition_subalgoE3EjNS0_10empty_typeEbEEZZNS1_14partition_implILS8_3ELb0ES6_jNS0_17counting_iteratorIjlEEPS9_SE_NS0_5tupleIJPjSE_EEENSF_IJSE_SE_EEES9_SG_JZNS1_25segmented_radix_sort_implINS0_14default_configELb1EPKhPhPKlPlN2at6native12_GLOBAL__N_18offset_tEEE10hipError_tPvRmT1_PNSt15iterator_traitsISY_E10value_typeET2_T3_PNSZ_IS14_E10value_typeET4_jRbjT5_S1A_jjP12ihipStream_tbEUljE_EEESV_SW_SX_S14_S18_S1A_T6_T7_T9_mT8_S1C_bDpT10_ENKUlT_T0_E_clISt17integral_constantIbLb1EES1P_EEDaS1K_S1L_EUlS1K_E_NS1_11comp_targetILNS1_3genE5ELNS1_11target_archE942ELNS1_3gpuE9ELNS1_3repE0EEENS1_30default_config_static_selectorELNS0_4arch9wavefront6targetE0EEEvSY_
	.p2align	8
	.type	_ZN7rocprim17ROCPRIM_400000_NS6detail17trampoline_kernelINS0_13select_configILj256ELj13ELNS0_17block_load_methodE3ELS4_3ELS4_3ELNS0_20block_scan_algorithmE0ELj4294967295EEENS1_25partition_config_selectorILNS1_17partition_subalgoE3EjNS0_10empty_typeEbEEZZNS1_14partition_implILS8_3ELb0ES6_jNS0_17counting_iteratorIjlEEPS9_SE_NS0_5tupleIJPjSE_EEENSF_IJSE_SE_EEES9_SG_JZNS1_25segmented_radix_sort_implINS0_14default_configELb1EPKhPhPKlPlN2at6native12_GLOBAL__N_18offset_tEEE10hipError_tPvRmT1_PNSt15iterator_traitsISY_E10value_typeET2_T3_PNSZ_IS14_E10value_typeET4_jRbjT5_S1A_jjP12ihipStream_tbEUljE_EEESV_SW_SX_S14_S18_S1A_T6_T7_T9_mT8_S1C_bDpT10_ENKUlT_T0_E_clISt17integral_constantIbLb1EES1P_EEDaS1K_S1L_EUlS1K_E_NS1_11comp_targetILNS1_3genE5ELNS1_11target_archE942ELNS1_3gpuE9ELNS1_3repE0EEENS1_30default_config_static_selectorELNS0_4arch9wavefront6targetE0EEEvSY_,@function
_ZN7rocprim17ROCPRIM_400000_NS6detail17trampoline_kernelINS0_13select_configILj256ELj13ELNS0_17block_load_methodE3ELS4_3ELS4_3ELNS0_20block_scan_algorithmE0ELj4294967295EEENS1_25partition_config_selectorILNS1_17partition_subalgoE3EjNS0_10empty_typeEbEEZZNS1_14partition_implILS8_3ELb0ES6_jNS0_17counting_iteratorIjlEEPS9_SE_NS0_5tupleIJPjSE_EEENSF_IJSE_SE_EEES9_SG_JZNS1_25segmented_radix_sort_implINS0_14default_configELb1EPKhPhPKlPlN2at6native12_GLOBAL__N_18offset_tEEE10hipError_tPvRmT1_PNSt15iterator_traitsISY_E10value_typeET2_T3_PNSZ_IS14_E10value_typeET4_jRbjT5_S1A_jjP12ihipStream_tbEUljE_EEESV_SW_SX_S14_S18_S1A_T6_T7_T9_mT8_S1C_bDpT10_ENKUlT_T0_E_clISt17integral_constantIbLb1EES1P_EEDaS1K_S1L_EUlS1K_E_NS1_11comp_targetILNS1_3genE5ELNS1_11target_archE942ELNS1_3gpuE9ELNS1_3repE0EEENS1_30default_config_static_selectorELNS0_4arch9wavefront6targetE0EEEvSY_: ; @_ZN7rocprim17ROCPRIM_400000_NS6detail17trampoline_kernelINS0_13select_configILj256ELj13ELNS0_17block_load_methodE3ELS4_3ELS4_3ELNS0_20block_scan_algorithmE0ELj4294967295EEENS1_25partition_config_selectorILNS1_17partition_subalgoE3EjNS0_10empty_typeEbEEZZNS1_14partition_implILS8_3ELb0ES6_jNS0_17counting_iteratorIjlEEPS9_SE_NS0_5tupleIJPjSE_EEENSF_IJSE_SE_EEES9_SG_JZNS1_25segmented_radix_sort_implINS0_14default_configELb1EPKhPhPKlPlN2at6native12_GLOBAL__N_18offset_tEEE10hipError_tPvRmT1_PNSt15iterator_traitsISY_E10value_typeET2_T3_PNSZ_IS14_E10value_typeET4_jRbjT5_S1A_jjP12ihipStream_tbEUljE_EEESV_SW_SX_S14_S18_S1A_T6_T7_T9_mT8_S1C_bDpT10_ENKUlT_T0_E_clISt17integral_constantIbLb1EES1P_EEDaS1K_S1L_EUlS1K_E_NS1_11comp_targetILNS1_3genE5ELNS1_11target_archE942ELNS1_3gpuE9ELNS1_3repE0EEENS1_30default_config_static_selectorELNS0_4arch9wavefront6targetE0EEEvSY_
; %bb.0:
	.section	.rodata,"a",@progbits
	.p2align	6, 0x0
	.amdhsa_kernel _ZN7rocprim17ROCPRIM_400000_NS6detail17trampoline_kernelINS0_13select_configILj256ELj13ELNS0_17block_load_methodE3ELS4_3ELS4_3ELNS0_20block_scan_algorithmE0ELj4294967295EEENS1_25partition_config_selectorILNS1_17partition_subalgoE3EjNS0_10empty_typeEbEEZZNS1_14partition_implILS8_3ELb0ES6_jNS0_17counting_iteratorIjlEEPS9_SE_NS0_5tupleIJPjSE_EEENSF_IJSE_SE_EEES9_SG_JZNS1_25segmented_radix_sort_implINS0_14default_configELb1EPKhPhPKlPlN2at6native12_GLOBAL__N_18offset_tEEE10hipError_tPvRmT1_PNSt15iterator_traitsISY_E10value_typeET2_T3_PNSZ_IS14_E10value_typeET4_jRbjT5_S1A_jjP12ihipStream_tbEUljE_EEESV_SW_SX_S14_S18_S1A_T6_T7_T9_mT8_S1C_bDpT10_ENKUlT_T0_E_clISt17integral_constantIbLb1EES1P_EEDaS1K_S1L_EUlS1K_E_NS1_11comp_targetILNS1_3genE5ELNS1_11target_archE942ELNS1_3gpuE9ELNS1_3repE0EEENS1_30default_config_static_selectorELNS0_4arch9wavefront6targetE0EEEvSY_
		.amdhsa_group_segment_fixed_size 0
		.amdhsa_private_segment_fixed_size 0
		.amdhsa_kernarg_size 152
		.amdhsa_user_sgpr_count 2
		.amdhsa_user_sgpr_dispatch_ptr 0
		.amdhsa_user_sgpr_queue_ptr 0
		.amdhsa_user_sgpr_kernarg_segment_ptr 1
		.amdhsa_user_sgpr_dispatch_id 0
		.amdhsa_user_sgpr_private_segment_size 0
		.amdhsa_wavefront_size32 1
		.amdhsa_uses_dynamic_stack 0
		.amdhsa_enable_private_segment 0
		.amdhsa_system_sgpr_workgroup_id_x 1
		.amdhsa_system_sgpr_workgroup_id_y 0
		.amdhsa_system_sgpr_workgroup_id_z 0
		.amdhsa_system_sgpr_workgroup_info 0
		.amdhsa_system_vgpr_workitem_id 0
		.amdhsa_next_free_vgpr 1
		.amdhsa_next_free_sgpr 1
		.amdhsa_reserve_vcc 0
		.amdhsa_float_round_mode_32 0
		.amdhsa_float_round_mode_16_64 0
		.amdhsa_float_denorm_mode_32 3
		.amdhsa_float_denorm_mode_16_64 3
		.amdhsa_fp16_overflow 0
		.amdhsa_workgroup_processor_mode 1
		.amdhsa_memory_ordered 1
		.amdhsa_forward_progress 1
		.amdhsa_inst_pref_size 0
		.amdhsa_round_robin_scheduling 0
		.amdhsa_exception_fp_ieee_invalid_op 0
		.amdhsa_exception_fp_denorm_src 0
		.amdhsa_exception_fp_ieee_div_zero 0
		.amdhsa_exception_fp_ieee_overflow 0
		.amdhsa_exception_fp_ieee_underflow 0
		.amdhsa_exception_fp_ieee_inexact 0
		.amdhsa_exception_int_div_zero 0
	.end_amdhsa_kernel
	.section	.text._ZN7rocprim17ROCPRIM_400000_NS6detail17trampoline_kernelINS0_13select_configILj256ELj13ELNS0_17block_load_methodE3ELS4_3ELS4_3ELNS0_20block_scan_algorithmE0ELj4294967295EEENS1_25partition_config_selectorILNS1_17partition_subalgoE3EjNS0_10empty_typeEbEEZZNS1_14partition_implILS8_3ELb0ES6_jNS0_17counting_iteratorIjlEEPS9_SE_NS0_5tupleIJPjSE_EEENSF_IJSE_SE_EEES9_SG_JZNS1_25segmented_radix_sort_implINS0_14default_configELb1EPKhPhPKlPlN2at6native12_GLOBAL__N_18offset_tEEE10hipError_tPvRmT1_PNSt15iterator_traitsISY_E10value_typeET2_T3_PNSZ_IS14_E10value_typeET4_jRbjT5_S1A_jjP12ihipStream_tbEUljE_EEESV_SW_SX_S14_S18_S1A_T6_T7_T9_mT8_S1C_bDpT10_ENKUlT_T0_E_clISt17integral_constantIbLb1EES1P_EEDaS1K_S1L_EUlS1K_E_NS1_11comp_targetILNS1_3genE5ELNS1_11target_archE942ELNS1_3gpuE9ELNS1_3repE0EEENS1_30default_config_static_selectorELNS0_4arch9wavefront6targetE0EEEvSY_,"axG",@progbits,_ZN7rocprim17ROCPRIM_400000_NS6detail17trampoline_kernelINS0_13select_configILj256ELj13ELNS0_17block_load_methodE3ELS4_3ELS4_3ELNS0_20block_scan_algorithmE0ELj4294967295EEENS1_25partition_config_selectorILNS1_17partition_subalgoE3EjNS0_10empty_typeEbEEZZNS1_14partition_implILS8_3ELb0ES6_jNS0_17counting_iteratorIjlEEPS9_SE_NS0_5tupleIJPjSE_EEENSF_IJSE_SE_EEES9_SG_JZNS1_25segmented_radix_sort_implINS0_14default_configELb1EPKhPhPKlPlN2at6native12_GLOBAL__N_18offset_tEEE10hipError_tPvRmT1_PNSt15iterator_traitsISY_E10value_typeET2_T3_PNSZ_IS14_E10value_typeET4_jRbjT5_S1A_jjP12ihipStream_tbEUljE_EEESV_SW_SX_S14_S18_S1A_T6_T7_T9_mT8_S1C_bDpT10_ENKUlT_T0_E_clISt17integral_constantIbLb1EES1P_EEDaS1K_S1L_EUlS1K_E_NS1_11comp_targetILNS1_3genE5ELNS1_11target_archE942ELNS1_3gpuE9ELNS1_3repE0EEENS1_30default_config_static_selectorELNS0_4arch9wavefront6targetE0EEEvSY_,comdat
.Lfunc_end58:
	.size	_ZN7rocprim17ROCPRIM_400000_NS6detail17trampoline_kernelINS0_13select_configILj256ELj13ELNS0_17block_load_methodE3ELS4_3ELS4_3ELNS0_20block_scan_algorithmE0ELj4294967295EEENS1_25partition_config_selectorILNS1_17partition_subalgoE3EjNS0_10empty_typeEbEEZZNS1_14partition_implILS8_3ELb0ES6_jNS0_17counting_iteratorIjlEEPS9_SE_NS0_5tupleIJPjSE_EEENSF_IJSE_SE_EEES9_SG_JZNS1_25segmented_radix_sort_implINS0_14default_configELb1EPKhPhPKlPlN2at6native12_GLOBAL__N_18offset_tEEE10hipError_tPvRmT1_PNSt15iterator_traitsISY_E10value_typeET2_T3_PNSZ_IS14_E10value_typeET4_jRbjT5_S1A_jjP12ihipStream_tbEUljE_EEESV_SW_SX_S14_S18_S1A_T6_T7_T9_mT8_S1C_bDpT10_ENKUlT_T0_E_clISt17integral_constantIbLb1EES1P_EEDaS1K_S1L_EUlS1K_E_NS1_11comp_targetILNS1_3genE5ELNS1_11target_archE942ELNS1_3gpuE9ELNS1_3repE0EEENS1_30default_config_static_selectorELNS0_4arch9wavefront6targetE0EEEvSY_, .Lfunc_end58-_ZN7rocprim17ROCPRIM_400000_NS6detail17trampoline_kernelINS0_13select_configILj256ELj13ELNS0_17block_load_methodE3ELS4_3ELS4_3ELNS0_20block_scan_algorithmE0ELj4294967295EEENS1_25partition_config_selectorILNS1_17partition_subalgoE3EjNS0_10empty_typeEbEEZZNS1_14partition_implILS8_3ELb0ES6_jNS0_17counting_iteratorIjlEEPS9_SE_NS0_5tupleIJPjSE_EEENSF_IJSE_SE_EEES9_SG_JZNS1_25segmented_radix_sort_implINS0_14default_configELb1EPKhPhPKlPlN2at6native12_GLOBAL__N_18offset_tEEE10hipError_tPvRmT1_PNSt15iterator_traitsISY_E10value_typeET2_T3_PNSZ_IS14_E10value_typeET4_jRbjT5_S1A_jjP12ihipStream_tbEUljE_EEESV_SW_SX_S14_S18_S1A_T6_T7_T9_mT8_S1C_bDpT10_ENKUlT_T0_E_clISt17integral_constantIbLb1EES1P_EEDaS1K_S1L_EUlS1K_E_NS1_11comp_targetILNS1_3genE5ELNS1_11target_archE942ELNS1_3gpuE9ELNS1_3repE0EEENS1_30default_config_static_selectorELNS0_4arch9wavefront6targetE0EEEvSY_
                                        ; -- End function
	.set _ZN7rocprim17ROCPRIM_400000_NS6detail17trampoline_kernelINS0_13select_configILj256ELj13ELNS0_17block_load_methodE3ELS4_3ELS4_3ELNS0_20block_scan_algorithmE0ELj4294967295EEENS1_25partition_config_selectorILNS1_17partition_subalgoE3EjNS0_10empty_typeEbEEZZNS1_14partition_implILS8_3ELb0ES6_jNS0_17counting_iteratorIjlEEPS9_SE_NS0_5tupleIJPjSE_EEENSF_IJSE_SE_EEES9_SG_JZNS1_25segmented_radix_sort_implINS0_14default_configELb1EPKhPhPKlPlN2at6native12_GLOBAL__N_18offset_tEEE10hipError_tPvRmT1_PNSt15iterator_traitsISY_E10value_typeET2_T3_PNSZ_IS14_E10value_typeET4_jRbjT5_S1A_jjP12ihipStream_tbEUljE_EEESV_SW_SX_S14_S18_S1A_T6_T7_T9_mT8_S1C_bDpT10_ENKUlT_T0_E_clISt17integral_constantIbLb1EES1P_EEDaS1K_S1L_EUlS1K_E_NS1_11comp_targetILNS1_3genE5ELNS1_11target_archE942ELNS1_3gpuE9ELNS1_3repE0EEENS1_30default_config_static_selectorELNS0_4arch9wavefront6targetE0EEEvSY_.num_vgpr, 0
	.set _ZN7rocprim17ROCPRIM_400000_NS6detail17trampoline_kernelINS0_13select_configILj256ELj13ELNS0_17block_load_methodE3ELS4_3ELS4_3ELNS0_20block_scan_algorithmE0ELj4294967295EEENS1_25partition_config_selectorILNS1_17partition_subalgoE3EjNS0_10empty_typeEbEEZZNS1_14partition_implILS8_3ELb0ES6_jNS0_17counting_iteratorIjlEEPS9_SE_NS0_5tupleIJPjSE_EEENSF_IJSE_SE_EEES9_SG_JZNS1_25segmented_radix_sort_implINS0_14default_configELb1EPKhPhPKlPlN2at6native12_GLOBAL__N_18offset_tEEE10hipError_tPvRmT1_PNSt15iterator_traitsISY_E10value_typeET2_T3_PNSZ_IS14_E10value_typeET4_jRbjT5_S1A_jjP12ihipStream_tbEUljE_EEESV_SW_SX_S14_S18_S1A_T6_T7_T9_mT8_S1C_bDpT10_ENKUlT_T0_E_clISt17integral_constantIbLb1EES1P_EEDaS1K_S1L_EUlS1K_E_NS1_11comp_targetILNS1_3genE5ELNS1_11target_archE942ELNS1_3gpuE9ELNS1_3repE0EEENS1_30default_config_static_selectorELNS0_4arch9wavefront6targetE0EEEvSY_.num_agpr, 0
	.set _ZN7rocprim17ROCPRIM_400000_NS6detail17trampoline_kernelINS0_13select_configILj256ELj13ELNS0_17block_load_methodE3ELS4_3ELS4_3ELNS0_20block_scan_algorithmE0ELj4294967295EEENS1_25partition_config_selectorILNS1_17partition_subalgoE3EjNS0_10empty_typeEbEEZZNS1_14partition_implILS8_3ELb0ES6_jNS0_17counting_iteratorIjlEEPS9_SE_NS0_5tupleIJPjSE_EEENSF_IJSE_SE_EEES9_SG_JZNS1_25segmented_radix_sort_implINS0_14default_configELb1EPKhPhPKlPlN2at6native12_GLOBAL__N_18offset_tEEE10hipError_tPvRmT1_PNSt15iterator_traitsISY_E10value_typeET2_T3_PNSZ_IS14_E10value_typeET4_jRbjT5_S1A_jjP12ihipStream_tbEUljE_EEESV_SW_SX_S14_S18_S1A_T6_T7_T9_mT8_S1C_bDpT10_ENKUlT_T0_E_clISt17integral_constantIbLb1EES1P_EEDaS1K_S1L_EUlS1K_E_NS1_11comp_targetILNS1_3genE5ELNS1_11target_archE942ELNS1_3gpuE9ELNS1_3repE0EEENS1_30default_config_static_selectorELNS0_4arch9wavefront6targetE0EEEvSY_.numbered_sgpr, 0
	.set _ZN7rocprim17ROCPRIM_400000_NS6detail17trampoline_kernelINS0_13select_configILj256ELj13ELNS0_17block_load_methodE3ELS4_3ELS4_3ELNS0_20block_scan_algorithmE0ELj4294967295EEENS1_25partition_config_selectorILNS1_17partition_subalgoE3EjNS0_10empty_typeEbEEZZNS1_14partition_implILS8_3ELb0ES6_jNS0_17counting_iteratorIjlEEPS9_SE_NS0_5tupleIJPjSE_EEENSF_IJSE_SE_EEES9_SG_JZNS1_25segmented_radix_sort_implINS0_14default_configELb1EPKhPhPKlPlN2at6native12_GLOBAL__N_18offset_tEEE10hipError_tPvRmT1_PNSt15iterator_traitsISY_E10value_typeET2_T3_PNSZ_IS14_E10value_typeET4_jRbjT5_S1A_jjP12ihipStream_tbEUljE_EEESV_SW_SX_S14_S18_S1A_T6_T7_T9_mT8_S1C_bDpT10_ENKUlT_T0_E_clISt17integral_constantIbLb1EES1P_EEDaS1K_S1L_EUlS1K_E_NS1_11comp_targetILNS1_3genE5ELNS1_11target_archE942ELNS1_3gpuE9ELNS1_3repE0EEENS1_30default_config_static_selectorELNS0_4arch9wavefront6targetE0EEEvSY_.num_named_barrier, 0
	.set _ZN7rocprim17ROCPRIM_400000_NS6detail17trampoline_kernelINS0_13select_configILj256ELj13ELNS0_17block_load_methodE3ELS4_3ELS4_3ELNS0_20block_scan_algorithmE0ELj4294967295EEENS1_25partition_config_selectorILNS1_17partition_subalgoE3EjNS0_10empty_typeEbEEZZNS1_14partition_implILS8_3ELb0ES6_jNS0_17counting_iteratorIjlEEPS9_SE_NS0_5tupleIJPjSE_EEENSF_IJSE_SE_EEES9_SG_JZNS1_25segmented_radix_sort_implINS0_14default_configELb1EPKhPhPKlPlN2at6native12_GLOBAL__N_18offset_tEEE10hipError_tPvRmT1_PNSt15iterator_traitsISY_E10value_typeET2_T3_PNSZ_IS14_E10value_typeET4_jRbjT5_S1A_jjP12ihipStream_tbEUljE_EEESV_SW_SX_S14_S18_S1A_T6_T7_T9_mT8_S1C_bDpT10_ENKUlT_T0_E_clISt17integral_constantIbLb1EES1P_EEDaS1K_S1L_EUlS1K_E_NS1_11comp_targetILNS1_3genE5ELNS1_11target_archE942ELNS1_3gpuE9ELNS1_3repE0EEENS1_30default_config_static_selectorELNS0_4arch9wavefront6targetE0EEEvSY_.private_seg_size, 0
	.set _ZN7rocprim17ROCPRIM_400000_NS6detail17trampoline_kernelINS0_13select_configILj256ELj13ELNS0_17block_load_methodE3ELS4_3ELS4_3ELNS0_20block_scan_algorithmE0ELj4294967295EEENS1_25partition_config_selectorILNS1_17partition_subalgoE3EjNS0_10empty_typeEbEEZZNS1_14partition_implILS8_3ELb0ES6_jNS0_17counting_iteratorIjlEEPS9_SE_NS0_5tupleIJPjSE_EEENSF_IJSE_SE_EEES9_SG_JZNS1_25segmented_radix_sort_implINS0_14default_configELb1EPKhPhPKlPlN2at6native12_GLOBAL__N_18offset_tEEE10hipError_tPvRmT1_PNSt15iterator_traitsISY_E10value_typeET2_T3_PNSZ_IS14_E10value_typeET4_jRbjT5_S1A_jjP12ihipStream_tbEUljE_EEESV_SW_SX_S14_S18_S1A_T6_T7_T9_mT8_S1C_bDpT10_ENKUlT_T0_E_clISt17integral_constantIbLb1EES1P_EEDaS1K_S1L_EUlS1K_E_NS1_11comp_targetILNS1_3genE5ELNS1_11target_archE942ELNS1_3gpuE9ELNS1_3repE0EEENS1_30default_config_static_selectorELNS0_4arch9wavefront6targetE0EEEvSY_.uses_vcc, 0
	.set _ZN7rocprim17ROCPRIM_400000_NS6detail17trampoline_kernelINS0_13select_configILj256ELj13ELNS0_17block_load_methodE3ELS4_3ELS4_3ELNS0_20block_scan_algorithmE0ELj4294967295EEENS1_25partition_config_selectorILNS1_17partition_subalgoE3EjNS0_10empty_typeEbEEZZNS1_14partition_implILS8_3ELb0ES6_jNS0_17counting_iteratorIjlEEPS9_SE_NS0_5tupleIJPjSE_EEENSF_IJSE_SE_EEES9_SG_JZNS1_25segmented_radix_sort_implINS0_14default_configELb1EPKhPhPKlPlN2at6native12_GLOBAL__N_18offset_tEEE10hipError_tPvRmT1_PNSt15iterator_traitsISY_E10value_typeET2_T3_PNSZ_IS14_E10value_typeET4_jRbjT5_S1A_jjP12ihipStream_tbEUljE_EEESV_SW_SX_S14_S18_S1A_T6_T7_T9_mT8_S1C_bDpT10_ENKUlT_T0_E_clISt17integral_constantIbLb1EES1P_EEDaS1K_S1L_EUlS1K_E_NS1_11comp_targetILNS1_3genE5ELNS1_11target_archE942ELNS1_3gpuE9ELNS1_3repE0EEENS1_30default_config_static_selectorELNS0_4arch9wavefront6targetE0EEEvSY_.uses_flat_scratch, 0
	.set _ZN7rocprim17ROCPRIM_400000_NS6detail17trampoline_kernelINS0_13select_configILj256ELj13ELNS0_17block_load_methodE3ELS4_3ELS4_3ELNS0_20block_scan_algorithmE0ELj4294967295EEENS1_25partition_config_selectorILNS1_17partition_subalgoE3EjNS0_10empty_typeEbEEZZNS1_14partition_implILS8_3ELb0ES6_jNS0_17counting_iteratorIjlEEPS9_SE_NS0_5tupleIJPjSE_EEENSF_IJSE_SE_EEES9_SG_JZNS1_25segmented_radix_sort_implINS0_14default_configELb1EPKhPhPKlPlN2at6native12_GLOBAL__N_18offset_tEEE10hipError_tPvRmT1_PNSt15iterator_traitsISY_E10value_typeET2_T3_PNSZ_IS14_E10value_typeET4_jRbjT5_S1A_jjP12ihipStream_tbEUljE_EEESV_SW_SX_S14_S18_S1A_T6_T7_T9_mT8_S1C_bDpT10_ENKUlT_T0_E_clISt17integral_constantIbLb1EES1P_EEDaS1K_S1L_EUlS1K_E_NS1_11comp_targetILNS1_3genE5ELNS1_11target_archE942ELNS1_3gpuE9ELNS1_3repE0EEENS1_30default_config_static_selectorELNS0_4arch9wavefront6targetE0EEEvSY_.has_dyn_sized_stack, 0
	.set _ZN7rocprim17ROCPRIM_400000_NS6detail17trampoline_kernelINS0_13select_configILj256ELj13ELNS0_17block_load_methodE3ELS4_3ELS4_3ELNS0_20block_scan_algorithmE0ELj4294967295EEENS1_25partition_config_selectorILNS1_17partition_subalgoE3EjNS0_10empty_typeEbEEZZNS1_14partition_implILS8_3ELb0ES6_jNS0_17counting_iteratorIjlEEPS9_SE_NS0_5tupleIJPjSE_EEENSF_IJSE_SE_EEES9_SG_JZNS1_25segmented_radix_sort_implINS0_14default_configELb1EPKhPhPKlPlN2at6native12_GLOBAL__N_18offset_tEEE10hipError_tPvRmT1_PNSt15iterator_traitsISY_E10value_typeET2_T3_PNSZ_IS14_E10value_typeET4_jRbjT5_S1A_jjP12ihipStream_tbEUljE_EEESV_SW_SX_S14_S18_S1A_T6_T7_T9_mT8_S1C_bDpT10_ENKUlT_T0_E_clISt17integral_constantIbLb1EES1P_EEDaS1K_S1L_EUlS1K_E_NS1_11comp_targetILNS1_3genE5ELNS1_11target_archE942ELNS1_3gpuE9ELNS1_3repE0EEENS1_30default_config_static_selectorELNS0_4arch9wavefront6targetE0EEEvSY_.has_recursion, 0
	.set _ZN7rocprim17ROCPRIM_400000_NS6detail17trampoline_kernelINS0_13select_configILj256ELj13ELNS0_17block_load_methodE3ELS4_3ELS4_3ELNS0_20block_scan_algorithmE0ELj4294967295EEENS1_25partition_config_selectorILNS1_17partition_subalgoE3EjNS0_10empty_typeEbEEZZNS1_14partition_implILS8_3ELb0ES6_jNS0_17counting_iteratorIjlEEPS9_SE_NS0_5tupleIJPjSE_EEENSF_IJSE_SE_EEES9_SG_JZNS1_25segmented_radix_sort_implINS0_14default_configELb1EPKhPhPKlPlN2at6native12_GLOBAL__N_18offset_tEEE10hipError_tPvRmT1_PNSt15iterator_traitsISY_E10value_typeET2_T3_PNSZ_IS14_E10value_typeET4_jRbjT5_S1A_jjP12ihipStream_tbEUljE_EEESV_SW_SX_S14_S18_S1A_T6_T7_T9_mT8_S1C_bDpT10_ENKUlT_T0_E_clISt17integral_constantIbLb1EES1P_EEDaS1K_S1L_EUlS1K_E_NS1_11comp_targetILNS1_3genE5ELNS1_11target_archE942ELNS1_3gpuE9ELNS1_3repE0EEENS1_30default_config_static_selectorELNS0_4arch9wavefront6targetE0EEEvSY_.has_indirect_call, 0
	.section	.AMDGPU.csdata,"",@progbits
; Kernel info:
; codeLenInByte = 0
; TotalNumSgprs: 0
; NumVgprs: 0
; ScratchSize: 0
; MemoryBound: 0
; FloatMode: 240
; IeeeMode: 1
; LDSByteSize: 0 bytes/workgroup (compile time only)
; SGPRBlocks: 0
; VGPRBlocks: 0
; NumSGPRsForWavesPerEU: 1
; NumVGPRsForWavesPerEU: 1
; Occupancy: 16
; WaveLimiterHint : 0
; COMPUTE_PGM_RSRC2:SCRATCH_EN: 0
; COMPUTE_PGM_RSRC2:USER_SGPR: 2
; COMPUTE_PGM_RSRC2:TRAP_HANDLER: 0
; COMPUTE_PGM_RSRC2:TGID_X_EN: 1
; COMPUTE_PGM_RSRC2:TGID_Y_EN: 0
; COMPUTE_PGM_RSRC2:TGID_Z_EN: 0
; COMPUTE_PGM_RSRC2:TIDIG_COMP_CNT: 0
	.section	.text._ZN7rocprim17ROCPRIM_400000_NS6detail17trampoline_kernelINS0_13select_configILj256ELj13ELNS0_17block_load_methodE3ELS4_3ELS4_3ELNS0_20block_scan_algorithmE0ELj4294967295EEENS1_25partition_config_selectorILNS1_17partition_subalgoE3EjNS0_10empty_typeEbEEZZNS1_14partition_implILS8_3ELb0ES6_jNS0_17counting_iteratorIjlEEPS9_SE_NS0_5tupleIJPjSE_EEENSF_IJSE_SE_EEES9_SG_JZNS1_25segmented_radix_sort_implINS0_14default_configELb1EPKhPhPKlPlN2at6native12_GLOBAL__N_18offset_tEEE10hipError_tPvRmT1_PNSt15iterator_traitsISY_E10value_typeET2_T3_PNSZ_IS14_E10value_typeET4_jRbjT5_S1A_jjP12ihipStream_tbEUljE_EEESV_SW_SX_S14_S18_S1A_T6_T7_T9_mT8_S1C_bDpT10_ENKUlT_T0_E_clISt17integral_constantIbLb1EES1P_EEDaS1K_S1L_EUlS1K_E_NS1_11comp_targetILNS1_3genE4ELNS1_11target_archE910ELNS1_3gpuE8ELNS1_3repE0EEENS1_30default_config_static_selectorELNS0_4arch9wavefront6targetE0EEEvSY_,"axG",@progbits,_ZN7rocprim17ROCPRIM_400000_NS6detail17trampoline_kernelINS0_13select_configILj256ELj13ELNS0_17block_load_methodE3ELS4_3ELS4_3ELNS0_20block_scan_algorithmE0ELj4294967295EEENS1_25partition_config_selectorILNS1_17partition_subalgoE3EjNS0_10empty_typeEbEEZZNS1_14partition_implILS8_3ELb0ES6_jNS0_17counting_iteratorIjlEEPS9_SE_NS0_5tupleIJPjSE_EEENSF_IJSE_SE_EEES9_SG_JZNS1_25segmented_radix_sort_implINS0_14default_configELb1EPKhPhPKlPlN2at6native12_GLOBAL__N_18offset_tEEE10hipError_tPvRmT1_PNSt15iterator_traitsISY_E10value_typeET2_T3_PNSZ_IS14_E10value_typeET4_jRbjT5_S1A_jjP12ihipStream_tbEUljE_EEESV_SW_SX_S14_S18_S1A_T6_T7_T9_mT8_S1C_bDpT10_ENKUlT_T0_E_clISt17integral_constantIbLb1EES1P_EEDaS1K_S1L_EUlS1K_E_NS1_11comp_targetILNS1_3genE4ELNS1_11target_archE910ELNS1_3gpuE8ELNS1_3repE0EEENS1_30default_config_static_selectorELNS0_4arch9wavefront6targetE0EEEvSY_,comdat
	.globl	_ZN7rocprim17ROCPRIM_400000_NS6detail17trampoline_kernelINS0_13select_configILj256ELj13ELNS0_17block_load_methodE3ELS4_3ELS4_3ELNS0_20block_scan_algorithmE0ELj4294967295EEENS1_25partition_config_selectorILNS1_17partition_subalgoE3EjNS0_10empty_typeEbEEZZNS1_14partition_implILS8_3ELb0ES6_jNS0_17counting_iteratorIjlEEPS9_SE_NS0_5tupleIJPjSE_EEENSF_IJSE_SE_EEES9_SG_JZNS1_25segmented_radix_sort_implINS0_14default_configELb1EPKhPhPKlPlN2at6native12_GLOBAL__N_18offset_tEEE10hipError_tPvRmT1_PNSt15iterator_traitsISY_E10value_typeET2_T3_PNSZ_IS14_E10value_typeET4_jRbjT5_S1A_jjP12ihipStream_tbEUljE_EEESV_SW_SX_S14_S18_S1A_T6_T7_T9_mT8_S1C_bDpT10_ENKUlT_T0_E_clISt17integral_constantIbLb1EES1P_EEDaS1K_S1L_EUlS1K_E_NS1_11comp_targetILNS1_3genE4ELNS1_11target_archE910ELNS1_3gpuE8ELNS1_3repE0EEENS1_30default_config_static_selectorELNS0_4arch9wavefront6targetE0EEEvSY_ ; -- Begin function _ZN7rocprim17ROCPRIM_400000_NS6detail17trampoline_kernelINS0_13select_configILj256ELj13ELNS0_17block_load_methodE3ELS4_3ELS4_3ELNS0_20block_scan_algorithmE0ELj4294967295EEENS1_25partition_config_selectorILNS1_17partition_subalgoE3EjNS0_10empty_typeEbEEZZNS1_14partition_implILS8_3ELb0ES6_jNS0_17counting_iteratorIjlEEPS9_SE_NS0_5tupleIJPjSE_EEENSF_IJSE_SE_EEES9_SG_JZNS1_25segmented_radix_sort_implINS0_14default_configELb1EPKhPhPKlPlN2at6native12_GLOBAL__N_18offset_tEEE10hipError_tPvRmT1_PNSt15iterator_traitsISY_E10value_typeET2_T3_PNSZ_IS14_E10value_typeET4_jRbjT5_S1A_jjP12ihipStream_tbEUljE_EEESV_SW_SX_S14_S18_S1A_T6_T7_T9_mT8_S1C_bDpT10_ENKUlT_T0_E_clISt17integral_constantIbLb1EES1P_EEDaS1K_S1L_EUlS1K_E_NS1_11comp_targetILNS1_3genE4ELNS1_11target_archE910ELNS1_3gpuE8ELNS1_3repE0EEENS1_30default_config_static_selectorELNS0_4arch9wavefront6targetE0EEEvSY_
	.p2align	8
	.type	_ZN7rocprim17ROCPRIM_400000_NS6detail17trampoline_kernelINS0_13select_configILj256ELj13ELNS0_17block_load_methodE3ELS4_3ELS4_3ELNS0_20block_scan_algorithmE0ELj4294967295EEENS1_25partition_config_selectorILNS1_17partition_subalgoE3EjNS0_10empty_typeEbEEZZNS1_14partition_implILS8_3ELb0ES6_jNS0_17counting_iteratorIjlEEPS9_SE_NS0_5tupleIJPjSE_EEENSF_IJSE_SE_EEES9_SG_JZNS1_25segmented_radix_sort_implINS0_14default_configELb1EPKhPhPKlPlN2at6native12_GLOBAL__N_18offset_tEEE10hipError_tPvRmT1_PNSt15iterator_traitsISY_E10value_typeET2_T3_PNSZ_IS14_E10value_typeET4_jRbjT5_S1A_jjP12ihipStream_tbEUljE_EEESV_SW_SX_S14_S18_S1A_T6_T7_T9_mT8_S1C_bDpT10_ENKUlT_T0_E_clISt17integral_constantIbLb1EES1P_EEDaS1K_S1L_EUlS1K_E_NS1_11comp_targetILNS1_3genE4ELNS1_11target_archE910ELNS1_3gpuE8ELNS1_3repE0EEENS1_30default_config_static_selectorELNS0_4arch9wavefront6targetE0EEEvSY_,@function
_ZN7rocprim17ROCPRIM_400000_NS6detail17trampoline_kernelINS0_13select_configILj256ELj13ELNS0_17block_load_methodE3ELS4_3ELS4_3ELNS0_20block_scan_algorithmE0ELj4294967295EEENS1_25partition_config_selectorILNS1_17partition_subalgoE3EjNS0_10empty_typeEbEEZZNS1_14partition_implILS8_3ELb0ES6_jNS0_17counting_iteratorIjlEEPS9_SE_NS0_5tupleIJPjSE_EEENSF_IJSE_SE_EEES9_SG_JZNS1_25segmented_radix_sort_implINS0_14default_configELb1EPKhPhPKlPlN2at6native12_GLOBAL__N_18offset_tEEE10hipError_tPvRmT1_PNSt15iterator_traitsISY_E10value_typeET2_T3_PNSZ_IS14_E10value_typeET4_jRbjT5_S1A_jjP12ihipStream_tbEUljE_EEESV_SW_SX_S14_S18_S1A_T6_T7_T9_mT8_S1C_bDpT10_ENKUlT_T0_E_clISt17integral_constantIbLb1EES1P_EEDaS1K_S1L_EUlS1K_E_NS1_11comp_targetILNS1_3genE4ELNS1_11target_archE910ELNS1_3gpuE8ELNS1_3repE0EEENS1_30default_config_static_selectorELNS0_4arch9wavefront6targetE0EEEvSY_: ; @_ZN7rocprim17ROCPRIM_400000_NS6detail17trampoline_kernelINS0_13select_configILj256ELj13ELNS0_17block_load_methodE3ELS4_3ELS4_3ELNS0_20block_scan_algorithmE0ELj4294967295EEENS1_25partition_config_selectorILNS1_17partition_subalgoE3EjNS0_10empty_typeEbEEZZNS1_14partition_implILS8_3ELb0ES6_jNS0_17counting_iteratorIjlEEPS9_SE_NS0_5tupleIJPjSE_EEENSF_IJSE_SE_EEES9_SG_JZNS1_25segmented_radix_sort_implINS0_14default_configELb1EPKhPhPKlPlN2at6native12_GLOBAL__N_18offset_tEEE10hipError_tPvRmT1_PNSt15iterator_traitsISY_E10value_typeET2_T3_PNSZ_IS14_E10value_typeET4_jRbjT5_S1A_jjP12ihipStream_tbEUljE_EEESV_SW_SX_S14_S18_S1A_T6_T7_T9_mT8_S1C_bDpT10_ENKUlT_T0_E_clISt17integral_constantIbLb1EES1P_EEDaS1K_S1L_EUlS1K_E_NS1_11comp_targetILNS1_3genE4ELNS1_11target_archE910ELNS1_3gpuE8ELNS1_3repE0EEENS1_30default_config_static_selectorELNS0_4arch9wavefront6targetE0EEEvSY_
; %bb.0:
	.section	.rodata,"a",@progbits
	.p2align	6, 0x0
	.amdhsa_kernel _ZN7rocprim17ROCPRIM_400000_NS6detail17trampoline_kernelINS0_13select_configILj256ELj13ELNS0_17block_load_methodE3ELS4_3ELS4_3ELNS0_20block_scan_algorithmE0ELj4294967295EEENS1_25partition_config_selectorILNS1_17partition_subalgoE3EjNS0_10empty_typeEbEEZZNS1_14partition_implILS8_3ELb0ES6_jNS0_17counting_iteratorIjlEEPS9_SE_NS0_5tupleIJPjSE_EEENSF_IJSE_SE_EEES9_SG_JZNS1_25segmented_radix_sort_implINS0_14default_configELb1EPKhPhPKlPlN2at6native12_GLOBAL__N_18offset_tEEE10hipError_tPvRmT1_PNSt15iterator_traitsISY_E10value_typeET2_T3_PNSZ_IS14_E10value_typeET4_jRbjT5_S1A_jjP12ihipStream_tbEUljE_EEESV_SW_SX_S14_S18_S1A_T6_T7_T9_mT8_S1C_bDpT10_ENKUlT_T0_E_clISt17integral_constantIbLb1EES1P_EEDaS1K_S1L_EUlS1K_E_NS1_11comp_targetILNS1_3genE4ELNS1_11target_archE910ELNS1_3gpuE8ELNS1_3repE0EEENS1_30default_config_static_selectorELNS0_4arch9wavefront6targetE0EEEvSY_
		.amdhsa_group_segment_fixed_size 0
		.amdhsa_private_segment_fixed_size 0
		.amdhsa_kernarg_size 152
		.amdhsa_user_sgpr_count 2
		.amdhsa_user_sgpr_dispatch_ptr 0
		.amdhsa_user_sgpr_queue_ptr 0
		.amdhsa_user_sgpr_kernarg_segment_ptr 1
		.amdhsa_user_sgpr_dispatch_id 0
		.amdhsa_user_sgpr_private_segment_size 0
		.amdhsa_wavefront_size32 1
		.amdhsa_uses_dynamic_stack 0
		.amdhsa_enable_private_segment 0
		.amdhsa_system_sgpr_workgroup_id_x 1
		.amdhsa_system_sgpr_workgroup_id_y 0
		.amdhsa_system_sgpr_workgroup_id_z 0
		.amdhsa_system_sgpr_workgroup_info 0
		.amdhsa_system_vgpr_workitem_id 0
		.amdhsa_next_free_vgpr 1
		.amdhsa_next_free_sgpr 1
		.amdhsa_reserve_vcc 0
		.amdhsa_float_round_mode_32 0
		.amdhsa_float_round_mode_16_64 0
		.amdhsa_float_denorm_mode_32 3
		.amdhsa_float_denorm_mode_16_64 3
		.amdhsa_fp16_overflow 0
		.amdhsa_workgroup_processor_mode 1
		.amdhsa_memory_ordered 1
		.amdhsa_forward_progress 1
		.amdhsa_inst_pref_size 0
		.amdhsa_round_robin_scheduling 0
		.amdhsa_exception_fp_ieee_invalid_op 0
		.amdhsa_exception_fp_denorm_src 0
		.amdhsa_exception_fp_ieee_div_zero 0
		.amdhsa_exception_fp_ieee_overflow 0
		.amdhsa_exception_fp_ieee_underflow 0
		.amdhsa_exception_fp_ieee_inexact 0
		.amdhsa_exception_int_div_zero 0
	.end_amdhsa_kernel
	.section	.text._ZN7rocprim17ROCPRIM_400000_NS6detail17trampoline_kernelINS0_13select_configILj256ELj13ELNS0_17block_load_methodE3ELS4_3ELS4_3ELNS0_20block_scan_algorithmE0ELj4294967295EEENS1_25partition_config_selectorILNS1_17partition_subalgoE3EjNS0_10empty_typeEbEEZZNS1_14partition_implILS8_3ELb0ES6_jNS0_17counting_iteratorIjlEEPS9_SE_NS0_5tupleIJPjSE_EEENSF_IJSE_SE_EEES9_SG_JZNS1_25segmented_radix_sort_implINS0_14default_configELb1EPKhPhPKlPlN2at6native12_GLOBAL__N_18offset_tEEE10hipError_tPvRmT1_PNSt15iterator_traitsISY_E10value_typeET2_T3_PNSZ_IS14_E10value_typeET4_jRbjT5_S1A_jjP12ihipStream_tbEUljE_EEESV_SW_SX_S14_S18_S1A_T6_T7_T9_mT8_S1C_bDpT10_ENKUlT_T0_E_clISt17integral_constantIbLb1EES1P_EEDaS1K_S1L_EUlS1K_E_NS1_11comp_targetILNS1_3genE4ELNS1_11target_archE910ELNS1_3gpuE8ELNS1_3repE0EEENS1_30default_config_static_selectorELNS0_4arch9wavefront6targetE0EEEvSY_,"axG",@progbits,_ZN7rocprim17ROCPRIM_400000_NS6detail17trampoline_kernelINS0_13select_configILj256ELj13ELNS0_17block_load_methodE3ELS4_3ELS4_3ELNS0_20block_scan_algorithmE0ELj4294967295EEENS1_25partition_config_selectorILNS1_17partition_subalgoE3EjNS0_10empty_typeEbEEZZNS1_14partition_implILS8_3ELb0ES6_jNS0_17counting_iteratorIjlEEPS9_SE_NS0_5tupleIJPjSE_EEENSF_IJSE_SE_EEES9_SG_JZNS1_25segmented_radix_sort_implINS0_14default_configELb1EPKhPhPKlPlN2at6native12_GLOBAL__N_18offset_tEEE10hipError_tPvRmT1_PNSt15iterator_traitsISY_E10value_typeET2_T3_PNSZ_IS14_E10value_typeET4_jRbjT5_S1A_jjP12ihipStream_tbEUljE_EEESV_SW_SX_S14_S18_S1A_T6_T7_T9_mT8_S1C_bDpT10_ENKUlT_T0_E_clISt17integral_constantIbLb1EES1P_EEDaS1K_S1L_EUlS1K_E_NS1_11comp_targetILNS1_3genE4ELNS1_11target_archE910ELNS1_3gpuE8ELNS1_3repE0EEENS1_30default_config_static_selectorELNS0_4arch9wavefront6targetE0EEEvSY_,comdat
.Lfunc_end59:
	.size	_ZN7rocprim17ROCPRIM_400000_NS6detail17trampoline_kernelINS0_13select_configILj256ELj13ELNS0_17block_load_methodE3ELS4_3ELS4_3ELNS0_20block_scan_algorithmE0ELj4294967295EEENS1_25partition_config_selectorILNS1_17partition_subalgoE3EjNS0_10empty_typeEbEEZZNS1_14partition_implILS8_3ELb0ES6_jNS0_17counting_iteratorIjlEEPS9_SE_NS0_5tupleIJPjSE_EEENSF_IJSE_SE_EEES9_SG_JZNS1_25segmented_radix_sort_implINS0_14default_configELb1EPKhPhPKlPlN2at6native12_GLOBAL__N_18offset_tEEE10hipError_tPvRmT1_PNSt15iterator_traitsISY_E10value_typeET2_T3_PNSZ_IS14_E10value_typeET4_jRbjT5_S1A_jjP12ihipStream_tbEUljE_EEESV_SW_SX_S14_S18_S1A_T6_T7_T9_mT8_S1C_bDpT10_ENKUlT_T0_E_clISt17integral_constantIbLb1EES1P_EEDaS1K_S1L_EUlS1K_E_NS1_11comp_targetILNS1_3genE4ELNS1_11target_archE910ELNS1_3gpuE8ELNS1_3repE0EEENS1_30default_config_static_selectorELNS0_4arch9wavefront6targetE0EEEvSY_, .Lfunc_end59-_ZN7rocprim17ROCPRIM_400000_NS6detail17trampoline_kernelINS0_13select_configILj256ELj13ELNS0_17block_load_methodE3ELS4_3ELS4_3ELNS0_20block_scan_algorithmE0ELj4294967295EEENS1_25partition_config_selectorILNS1_17partition_subalgoE3EjNS0_10empty_typeEbEEZZNS1_14partition_implILS8_3ELb0ES6_jNS0_17counting_iteratorIjlEEPS9_SE_NS0_5tupleIJPjSE_EEENSF_IJSE_SE_EEES9_SG_JZNS1_25segmented_radix_sort_implINS0_14default_configELb1EPKhPhPKlPlN2at6native12_GLOBAL__N_18offset_tEEE10hipError_tPvRmT1_PNSt15iterator_traitsISY_E10value_typeET2_T3_PNSZ_IS14_E10value_typeET4_jRbjT5_S1A_jjP12ihipStream_tbEUljE_EEESV_SW_SX_S14_S18_S1A_T6_T7_T9_mT8_S1C_bDpT10_ENKUlT_T0_E_clISt17integral_constantIbLb1EES1P_EEDaS1K_S1L_EUlS1K_E_NS1_11comp_targetILNS1_3genE4ELNS1_11target_archE910ELNS1_3gpuE8ELNS1_3repE0EEENS1_30default_config_static_selectorELNS0_4arch9wavefront6targetE0EEEvSY_
                                        ; -- End function
	.set _ZN7rocprim17ROCPRIM_400000_NS6detail17trampoline_kernelINS0_13select_configILj256ELj13ELNS0_17block_load_methodE3ELS4_3ELS4_3ELNS0_20block_scan_algorithmE0ELj4294967295EEENS1_25partition_config_selectorILNS1_17partition_subalgoE3EjNS0_10empty_typeEbEEZZNS1_14partition_implILS8_3ELb0ES6_jNS0_17counting_iteratorIjlEEPS9_SE_NS0_5tupleIJPjSE_EEENSF_IJSE_SE_EEES9_SG_JZNS1_25segmented_radix_sort_implINS0_14default_configELb1EPKhPhPKlPlN2at6native12_GLOBAL__N_18offset_tEEE10hipError_tPvRmT1_PNSt15iterator_traitsISY_E10value_typeET2_T3_PNSZ_IS14_E10value_typeET4_jRbjT5_S1A_jjP12ihipStream_tbEUljE_EEESV_SW_SX_S14_S18_S1A_T6_T7_T9_mT8_S1C_bDpT10_ENKUlT_T0_E_clISt17integral_constantIbLb1EES1P_EEDaS1K_S1L_EUlS1K_E_NS1_11comp_targetILNS1_3genE4ELNS1_11target_archE910ELNS1_3gpuE8ELNS1_3repE0EEENS1_30default_config_static_selectorELNS0_4arch9wavefront6targetE0EEEvSY_.num_vgpr, 0
	.set _ZN7rocprim17ROCPRIM_400000_NS6detail17trampoline_kernelINS0_13select_configILj256ELj13ELNS0_17block_load_methodE3ELS4_3ELS4_3ELNS0_20block_scan_algorithmE0ELj4294967295EEENS1_25partition_config_selectorILNS1_17partition_subalgoE3EjNS0_10empty_typeEbEEZZNS1_14partition_implILS8_3ELb0ES6_jNS0_17counting_iteratorIjlEEPS9_SE_NS0_5tupleIJPjSE_EEENSF_IJSE_SE_EEES9_SG_JZNS1_25segmented_radix_sort_implINS0_14default_configELb1EPKhPhPKlPlN2at6native12_GLOBAL__N_18offset_tEEE10hipError_tPvRmT1_PNSt15iterator_traitsISY_E10value_typeET2_T3_PNSZ_IS14_E10value_typeET4_jRbjT5_S1A_jjP12ihipStream_tbEUljE_EEESV_SW_SX_S14_S18_S1A_T6_T7_T9_mT8_S1C_bDpT10_ENKUlT_T0_E_clISt17integral_constantIbLb1EES1P_EEDaS1K_S1L_EUlS1K_E_NS1_11comp_targetILNS1_3genE4ELNS1_11target_archE910ELNS1_3gpuE8ELNS1_3repE0EEENS1_30default_config_static_selectorELNS0_4arch9wavefront6targetE0EEEvSY_.num_agpr, 0
	.set _ZN7rocprim17ROCPRIM_400000_NS6detail17trampoline_kernelINS0_13select_configILj256ELj13ELNS0_17block_load_methodE3ELS4_3ELS4_3ELNS0_20block_scan_algorithmE0ELj4294967295EEENS1_25partition_config_selectorILNS1_17partition_subalgoE3EjNS0_10empty_typeEbEEZZNS1_14partition_implILS8_3ELb0ES6_jNS0_17counting_iteratorIjlEEPS9_SE_NS0_5tupleIJPjSE_EEENSF_IJSE_SE_EEES9_SG_JZNS1_25segmented_radix_sort_implINS0_14default_configELb1EPKhPhPKlPlN2at6native12_GLOBAL__N_18offset_tEEE10hipError_tPvRmT1_PNSt15iterator_traitsISY_E10value_typeET2_T3_PNSZ_IS14_E10value_typeET4_jRbjT5_S1A_jjP12ihipStream_tbEUljE_EEESV_SW_SX_S14_S18_S1A_T6_T7_T9_mT8_S1C_bDpT10_ENKUlT_T0_E_clISt17integral_constantIbLb1EES1P_EEDaS1K_S1L_EUlS1K_E_NS1_11comp_targetILNS1_3genE4ELNS1_11target_archE910ELNS1_3gpuE8ELNS1_3repE0EEENS1_30default_config_static_selectorELNS0_4arch9wavefront6targetE0EEEvSY_.numbered_sgpr, 0
	.set _ZN7rocprim17ROCPRIM_400000_NS6detail17trampoline_kernelINS0_13select_configILj256ELj13ELNS0_17block_load_methodE3ELS4_3ELS4_3ELNS0_20block_scan_algorithmE0ELj4294967295EEENS1_25partition_config_selectorILNS1_17partition_subalgoE3EjNS0_10empty_typeEbEEZZNS1_14partition_implILS8_3ELb0ES6_jNS0_17counting_iteratorIjlEEPS9_SE_NS0_5tupleIJPjSE_EEENSF_IJSE_SE_EEES9_SG_JZNS1_25segmented_radix_sort_implINS0_14default_configELb1EPKhPhPKlPlN2at6native12_GLOBAL__N_18offset_tEEE10hipError_tPvRmT1_PNSt15iterator_traitsISY_E10value_typeET2_T3_PNSZ_IS14_E10value_typeET4_jRbjT5_S1A_jjP12ihipStream_tbEUljE_EEESV_SW_SX_S14_S18_S1A_T6_T7_T9_mT8_S1C_bDpT10_ENKUlT_T0_E_clISt17integral_constantIbLb1EES1P_EEDaS1K_S1L_EUlS1K_E_NS1_11comp_targetILNS1_3genE4ELNS1_11target_archE910ELNS1_3gpuE8ELNS1_3repE0EEENS1_30default_config_static_selectorELNS0_4arch9wavefront6targetE0EEEvSY_.num_named_barrier, 0
	.set _ZN7rocprim17ROCPRIM_400000_NS6detail17trampoline_kernelINS0_13select_configILj256ELj13ELNS0_17block_load_methodE3ELS4_3ELS4_3ELNS0_20block_scan_algorithmE0ELj4294967295EEENS1_25partition_config_selectorILNS1_17partition_subalgoE3EjNS0_10empty_typeEbEEZZNS1_14partition_implILS8_3ELb0ES6_jNS0_17counting_iteratorIjlEEPS9_SE_NS0_5tupleIJPjSE_EEENSF_IJSE_SE_EEES9_SG_JZNS1_25segmented_radix_sort_implINS0_14default_configELb1EPKhPhPKlPlN2at6native12_GLOBAL__N_18offset_tEEE10hipError_tPvRmT1_PNSt15iterator_traitsISY_E10value_typeET2_T3_PNSZ_IS14_E10value_typeET4_jRbjT5_S1A_jjP12ihipStream_tbEUljE_EEESV_SW_SX_S14_S18_S1A_T6_T7_T9_mT8_S1C_bDpT10_ENKUlT_T0_E_clISt17integral_constantIbLb1EES1P_EEDaS1K_S1L_EUlS1K_E_NS1_11comp_targetILNS1_3genE4ELNS1_11target_archE910ELNS1_3gpuE8ELNS1_3repE0EEENS1_30default_config_static_selectorELNS0_4arch9wavefront6targetE0EEEvSY_.private_seg_size, 0
	.set _ZN7rocprim17ROCPRIM_400000_NS6detail17trampoline_kernelINS0_13select_configILj256ELj13ELNS0_17block_load_methodE3ELS4_3ELS4_3ELNS0_20block_scan_algorithmE0ELj4294967295EEENS1_25partition_config_selectorILNS1_17partition_subalgoE3EjNS0_10empty_typeEbEEZZNS1_14partition_implILS8_3ELb0ES6_jNS0_17counting_iteratorIjlEEPS9_SE_NS0_5tupleIJPjSE_EEENSF_IJSE_SE_EEES9_SG_JZNS1_25segmented_radix_sort_implINS0_14default_configELb1EPKhPhPKlPlN2at6native12_GLOBAL__N_18offset_tEEE10hipError_tPvRmT1_PNSt15iterator_traitsISY_E10value_typeET2_T3_PNSZ_IS14_E10value_typeET4_jRbjT5_S1A_jjP12ihipStream_tbEUljE_EEESV_SW_SX_S14_S18_S1A_T6_T7_T9_mT8_S1C_bDpT10_ENKUlT_T0_E_clISt17integral_constantIbLb1EES1P_EEDaS1K_S1L_EUlS1K_E_NS1_11comp_targetILNS1_3genE4ELNS1_11target_archE910ELNS1_3gpuE8ELNS1_3repE0EEENS1_30default_config_static_selectorELNS0_4arch9wavefront6targetE0EEEvSY_.uses_vcc, 0
	.set _ZN7rocprim17ROCPRIM_400000_NS6detail17trampoline_kernelINS0_13select_configILj256ELj13ELNS0_17block_load_methodE3ELS4_3ELS4_3ELNS0_20block_scan_algorithmE0ELj4294967295EEENS1_25partition_config_selectorILNS1_17partition_subalgoE3EjNS0_10empty_typeEbEEZZNS1_14partition_implILS8_3ELb0ES6_jNS0_17counting_iteratorIjlEEPS9_SE_NS0_5tupleIJPjSE_EEENSF_IJSE_SE_EEES9_SG_JZNS1_25segmented_radix_sort_implINS0_14default_configELb1EPKhPhPKlPlN2at6native12_GLOBAL__N_18offset_tEEE10hipError_tPvRmT1_PNSt15iterator_traitsISY_E10value_typeET2_T3_PNSZ_IS14_E10value_typeET4_jRbjT5_S1A_jjP12ihipStream_tbEUljE_EEESV_SW_SX_S14_S18_S1A_T6_T7_T9_mT8_S1C_bDpT10_ENKUlT_T0_E_clISt17integral_constantIbLb1EES1P_EEDaS1K_S1L_EUlS1K_E_NS1_11comp_targetILNS1_3genE4ELNS1_11target_archE910ELNS1_3gpuE8ELNS1_3repE0EEENS1_30default_config_static_selectorELNS0_4arch9wavefront6targetE0EEEvSY_.uses_flat_scratch, 0
	.set _ZN7rocprim17ROCPRIM_400000_NS6detail17trampoline_kernelINS0_13select_configILj256ELj13ELNS0_17block_load_methodE3ELS4_3ELS4_3ELNS0_20block_scan_algorithmE0ELj4294967295EEENS1_25partition_config_selectorILNS1_17partition_subalgoE3EjNS0_10empty_typeEbEEZZNS1_14partition_implILS8_3ELb0ES6_jNS0_17counting_iteratorIjlEEPS9_SE_NS0_5tupleIJPjSE_EEENSF_IJSE_SE_EEES9_SG_JZNS1_25segmented_radix_sort_implINS0_14default_configELb1EPKhPhPKlPlN2at6native12_GLOBAL__N_18offset_tEEE10hipError_tPvRmT1_PNSt15iterator_traitsISY_E10value_typeET2_T3_PNSZ_IS14_E10value_typeET4_jRbjT5_S1A_jjP12ihipStream_tbEUljE_EEESV_SW_SX_S14_S18_S1A_T6_T7_T9_mT8_S1C_bDpT10_ENKUlT_T0_E_clISt17integral_constantIbLb1EES1P_EEDaS1K_S1L_EUlS1K_E_NS1_11comp_targetILNS1_3genE4ELNS1_11target_archE910ELNS1_3gpuE8ELNS1_3repE0EEENS1_30default_config_static_selectorELNS0_4arch9wavefront6targetE0EEEvSY_.has_dyn_sized_stack, 0
	.set _ZN7rocprim17ROCPRIM_400000_NS6detail17trampoline_kernelINS0_13select_configILj256ELj13ELNS0_17block_load_methodE3ELS4_3ELS4_3ELNS0_20block_scan_algorithmE0ELj4294967295EEENS1_25partition_config_selectorILNS1_17partition_subalgoE3EjNS0_10empty_typeEbEEZZNS1_14partition_implILS8_3ELb0ES6_jNS0_17counting_iteratorIjlEEPS9_SE_NS0_5tupleIJPjSE_EEENSF_IJSE_SE_EEES9_SG_JZNS1_25segmented_radix_sort_implINS0_14default_configELb1EPKhPhPKlPlN2at6native12_GLOBAL__N_18offset_tEEE10hipError_tPvRmT1_PNSt15iterator_traitsISY_E10value_typeET2_T3_PNSZ_IS14_E10value_typeET4_jRbjT5_S1A_jjP12ihipStream_tbEUljE_EEESV_SW_SX_S14_S18_S1A_T6_T7_T9_mT8_S1C_bDpT10_ENKUlT_T0_E_clISt17integral_constantIbLb1EES1P_EEDaS1K_S1L_EUlS1K_E_NS1_11comp_targetILNS1_3genE4ELNS1_11target_archE910ELNS1_3gpuE8ELNS1_3repE0EEENS1_30default_config_static_selectorELNS0_4arch9wavefront6targetE0EEEvSY_.has_recursion, 0
	.set _ZN7rocprim17ROCPRIM_400000_NS6detail17trampoline_kernelINS0_13select_configILj256ELj13ELNS0_17block_load_methodE3ELS4_3ELS4_3ELNS0_20block_scan_algorithmE0ELj4294967295EEENS1_25partition_config_selectorILNS1_17partition_subalgoE3EjNS0_10empty_typeEbEEZZNS1_14partition_implILS8_3ELb0ES6_jNS0_17counting_iteratorIjlEEPS9_SE_NS0_5tupleIJPjSE_EEENSF_IJSE_SE_EEES9_SG_JZNS1_25segmented_radix_sort_implINS0_14default_configELb1EPKhPhPKlPlN2at6native12_GLOBAL__N_18offset_tEEE10hipError_tPvRmT1_PNSt15iterator_traitsISY_E10value_typeET2_T3_PNSZ_IS14_E10value_typeET4_jRbjT5_S1A_jjP12ihipStream_tbEUljE_EEESV_SW_SX_S14_S18_S1A_T6_T7_T9_mT8_S1C_bDpT10_ENKUlT_T0_E_clISt17integral_constantIbLb1EES1P_EEDaS1K_S1L_EUlS1K_E_NS1_11comp_targetILNS1_3genE4ELNS1_11target_archE910ELNS1_3gpuE8ELNS1_3repE0EEENS1_30default_config_static_selectorELNS0_4arch9wavefront6targetE0EEEvSY_.has_indirect_call, 0
	.section	.AMDGPU.csdata,"",@progbits
; Kernel info:
; codeLenInByte = 0
; TotalNumSgprs: 0
; NumVgprs: 0
; ScratchSize: 0
; MemoryBound: 0
; FloatMode: 240
; IeeeMode: 1
; LDSByteSize: 0 bytes/workgroup (compile time only)
; SGPRBlocks: 0
; VGPRBlocks: 0
; NumSGPRsForWavesPerEU: 1
; NumVGPRsForWavesPerEU: 1
; Occupancy: 16
; WaveLimiterHint : 0
; COMPUTE_PGM_RSRC2:SCRATCH_EN: 0
; COMPUTE_PGM_RSRC2:USER_SGPR: 2
; COMPUTE_PGM_RSRC2:TRAP_HANDLER: 0
; COMPUTE_PGM_RSRC2:TGID_X_EN: 1
; COMPUTE_PGM_RSRC2:TGID_Y_EN: 0
; COMPUTE_PGM_RSRC2:TGID_Z_EN: 0
; COMPUTE_PGM_RSRC2:TIDIG_COMP_CNT: 0
	.section	.text._ZN7rocprim17ROCPRIM_400000_NS6detail17trampoline_kernelINS0_13select_configILj256ELj13ELNS0_17block_load_methodE3ELS4_3ELS4_3ELNS0_20block_scan_algorithmE0ELj4294967295EEENS1_25partition_config_selectorILNS1_17partition_subalgoE3EjNS0_10empty_typeEbEEZZNS1_14partition_implILS8_3ELb0ES6_jNS0_17counting_iteratorIjlEEPS9_SE_NS0_5tupleIJPjSE_EEENSF_IJSE_SE_EEES9_SG_JZNS1_25segmented_radix_sort_implINS0_14default_configELb1EPKhPhPKlPlN2at6native12_GLOBAL__N_18offset_tEEE10hipError_tPvRmT1_PNSt15iterator_traitsISY_E10value_typeET2_T3_PNSZ_IS14_E10value_typeET4_jRbjT5_S1A_jjP12ihipStream_tbEUljE_EEESV_SW_SX_S14_S18_S1A_T6_T7_T9_mT8_S1C_bDpT10_ENKUlT_T0_E_clISt17integral_constantIbLb1EES1P_EEDaS1K_S1L_EUlS1K_E_NS1_11comp_targetILNS1_3genE3ELNS1_11target_archE908ELNS1_3gpuE7ELNS1_3repE0EEENS1_30default_config_static_selectorELNS0_4arch9wavefront6targetE0EEEvSY_,"axG",@progbits,_ZN7rocprim17ROCPRIM_400000_NS6detail17trampoline_kernelINS0_13select_configILj256ELj13ELNS0_17block_load_methodE3ELS4_3ELS4_3ELNS0_20block_scan_algorithmE0ELj4294967295EEENS1_25partition_config_selectorILNS1_17partition_subalgoE3EjNS0_10empty_typeEbEEZZNS1_14partition_implILS8_3ELb0ES6_jNS0_17counting_iteratorIjlEEPS9_SE_NS0_5tupleIJPjSE_EEENSF_IJSE_SE_EEES9_SG_JZNS1_25segmented_radix_sort_implINS0_14default_configELb1EPKhPhPKlPlN2at6native12_GLOBAL__N_18offset_tEEE10hipError_tPvRmT1_PNSt15iterator_traitsISY_E10value_typeET2_T3_PNSZ_IS14_E10value_typeET4_jRbjT5_S1A_jjP12ihipStream_tbEUljE_EEESV_SW_SX_S14_S18_S1A_T6_T7_T9_mT8_S1C_bDpT10_ENKUlT_T0_E_clISt17integral_constantIbLb1EES1P_EEDaS1K_S1L_EUlS1K_E_NS1_11comp_targetILNS1_3genE3ELNS1_11target_archE908ELNS1_3gpuE7ELNS1_3repE0EEENS1_30default_config_static_selectorELNS0_4arch9wavefront6targetE0EEEvSY_,comdat
	.globl	_ZN7rocprim17ROCPRIM_400000_NS6detail17trampoline_kernelINS0_13select_configILj256ELj13ELNS0_17block_load_methodE3ELS4_3ELS4_3ELNS0_20block_scan_algorithmE0ELj4294967295EEENS1_25partition_config_selectorILNS1_17partition_subalgoE3EjNS0_10empty_typeEbEEZZNS1_14partition_implILS8_3ELb0ES6_jNS0_17counting_iteratorIjlEEPS9_SE_NS0_5tupleIJPjSE_EEENSF_IJSE_SE_EEES9_SG_JZNS1_25segmented_radix_sort_implINS0_14default_configELb1EPKhPhPKlPlN2at6native12_GLOBAL__N_18offset_tEEE10hipError_tPvRmT1_PNSt15iterator_traitsISY_E10value_typeET2_T3_PNSZ_IS14_E10value_typeET4_jRbjT5_S1A_jjP12ihipStream_tbEUljE_EEESV_SW_SX_S14_S18_S1A_T6_T7_T9_mT8_S1C_bDpT10_ENKUlT_T0_E_clISt17integral_constantIbLb1EES1P_EEDaS1K_S1L_EUlS1K_E_NS1_11comp_targetILNS1_3genE3ELNS1_11target_archE908ELNS1_3gpuE7ELNS1_3repE0EEENS1_30default_config_static_selectorELNS0_4arch9wavefront6targetE0EEEvSY_ ; -- Begin function _ZN7rocprim17ROCPRIM_400000_NS6detail17trampoline_kernelINS0_13select_configILj256ELj13ELNS0_17block_load_methodE3ELS4_3ELS4_3ELNS0_20block_scan_algorithmE0ELj4294967295EEENS1_25partition_config_selectorILNS1_17partition_subalgoE3EjNS0_10empty_typeEbEEZZNS1_14partition_implILS8_3ELb0ES6_jNS0_17counting_iteratorIjlEEPS9_SE_NS0_5tupleIJPjSE_EEENSF_IJSE_SE_EEES9_SG_JZNS1_25segmented_radix_sort_implINS0_14default_configELb1EPKhPhPKlPlN2at6native12_GLOBAL__N_18offset_tEEE10hipError_tPvRmT1_PNSt15iterator_traitsISY_E10value_typeET2_T3_PNSZ_IS14_E10value_typeET4_jRbjT5_S1A_jjP12ihipStream_tbEUljE_EEESV_SW_SX_S14_S18_S1A_T6_T7_T9_mT8_S1C_bDpT10_ENKUlT_T0_E_clISt17integral_constantIbLb1EES1P_EEDaS1K_S1L_EUlS1K_E_NS1_11comp_targetILNS1_3genE3ELNS1_11target_archE908ELNS1_3gpuE7ELNS1_3repE0EEENS1_30default_config_static_selectorELNS0_4arch9wavefront6targetE0EEEvSY_
	.p2align	8
	.type	_ZN7rocprim17ROCPRIM_400000_NS6detail17trampoline_kernelINS0_13select_configILj256ELj13ELNS0_17block_load_methodE3ELS4_3ELS4_3ELNS0_20block_scan_algorithmE0ELj4294967295EEENS1_25partition_config_selectorILNS1_17partition_subalgoE3EjNS0_10empty_typeEbEEZZNS1_14partition_implILS8_3ELb0ES6_jNS0_17counting_iteratorIjlEEPS9_SE_NS0_5tupleIJPjSE_EEENSF_IJSE_SE_EEES9_SG_JZNS1_25segmented_radix_sort_implINS0_14default_configELb1EPKhPhPKlPlN2at6native12_GLOBAL__N_18offset_tEEE10hipError_tPvRmT1_PNSt15iterator_traitsISY_E10value_typeET2_T3_PNSZ_IS14_E10value_typeET4_jRbjT5_S1A_jjP12ihipStream_tbEUljE_EEESV_SW_SX_S14_S18_S1A_T6_T7_T9_mT8_S1C_bDpT10_ENKUlT_T0_E_clISt17integral_constantIbLb1EES1P_EEDaS1K_S1L_EUlS1K_E_NS1_11comp_targetILNS1_3genE3ELNS1_11target_archE908ELNS1_3gpuE7ELNS1_3repE0EEENS1_30default_config_static_selectorELNS0_4arch9wavefront6targetE0EEEvSY_,@function
_ZN7rocprim17ROCPRIM_400000_NS6detail17trampoline_kernelINS0_13select_configILj256ELj13ELNS0_17block_load_methodE3ELS4_3ELS4_3ELNS0_20block_scan_algorithmE0ELj4294967295EEENS1_25partition_config_selectorILNS1_17partition_subalgoE3EjNS0_10empty_typeEbEEZZNS1_14partition_implILS8_3ELb0ES6_jNS0_17counting_iteratorIjlEEPS9_SE_NS0_5tupleIJPjSE_EEENSF_IJSE_SE_EEES9_SG_JZNS1_25segmented_radix_sort_implINS0_14default_configELb1EPKhPhPKlPlN2at6native12_GLOBAL__N_18offset_tEEE10hipError_tPvRmT1_PNSt15iterator_traitsISY_E10value_typeET2_T3_PNSZ_IS14_E10value_typeET4_jRbjT5_S1A_jjP12ihipStream_tbEUljE_EEESV_SW_SX_S14_S18_S1A_T6_T7_T9_mT8_S1C_bDpT10_ENKUlT_T0_E_clISt17integral_constantIbLb1EES1P_EEDaS1K_S1L_EUlS1K_E_NS1_11comp_targetILNS1_3genE3ELNS1_11target_archE908ELNS1_3gpuE7ELNS1_3repE0EEENS1_30default_config_static_selectorELNS0_4arch9wavefront6targetE0EEEvSY_: ; @_ZN7rocprim17ROCPRIM_400000_NS6detail17trampoline_kernelINS0_13select_configILj256ELj13ELNS0_17block_load_methodE3ELS4_3ELS4_3ELNS0_20block_scan_algorithmE0ELj4294967295EEENS1_25partition_config_selectorILNS1_17partition_subalgoE3EjNS0_10empty_typeEbEEZZNS1_14partition_implILS8_3ELb0ES6_jNS0_17counting_iteratorIjlEEPS9_SE_NS0_5tupleIJPjSE_EEENSF_IJSE_SE_EEES9_SG_JZNS1_25segmented_radix_sort_implINS0_14default_configELb1EPKhPhPKlPlN2at6native12_GLOBAL__N_18offset_tEEE10hipError_tPvRmT1_PNSt15iterator_traitsISY_E10value_typeET2_T3_PNSZ_IS14_E10value_typeET4_jRbjT5_S1A_jjP12ihipStream_tbEUljE_EEESV_SW_SX_S14_S18_S1A_T6_T7_T9_mT8_S1C_bDpT10_ENKUlT_T0_E_clISt17integral_constantIbLb1EES1P_EEDaS1K_S1L_EUlS1K_E_NS1_11comp_targetILNS1_3genE3ELNS1_11target_archE908ELNS1_3gpuE7ELNS1_3repE0EEENS1_30default_config_static_selectorELNS0_4arch9wavefront6targetE0EEEvSY_
; %bb.0:
	.section	.rodata,"a",@progbits
	.p2align	6, 0x0
	.amdhsa_kernel _ZN7rocprim17ROCPRIM_400000_NS6detail17trampoline_kernelINS0_13select_configILj256ELj13ELNS0_17block_load_methodE3ELS4_3ELS4_3ELNS0_20block_scan_algorithmE0ELj4294967295EEENS1_25partition_config_selectorILNS1_17partition_subalgoE3EjNS0_10empty_typeEbEEZZNS1_14partition_implILS8_3ELb0ES6_jNS0_17counting_iteratorIjlEEPS9_SE_NS0_5tupleIJPjSE_EEENSF_IJSE_SE_EEES9_SG_JZNS1_25segmented_radix_sort_implINS0_14default_configELb1EPKhPhPKlPlN2at6native12_GLOBAL__N_18offset_tEEE10hipError_tPvRmT1_PNSt15iterator_traitsISY_E10value_typeET2_T3_PNSZ_IS14_E10value_typeET4_jRbjT5_S1A_jjP12ihipStream_tbEUljE_EEESV_SW_SX_S14_S18_S1A_T6_T7_T9_mT8_S1C_bDpT10_ENKUlT_T0_E_clISt17integral_constantIbLb1EES1P_EEDaS1K_S1L_EUlS1K_E_NS1_11comp_targetILNS1_3genE3ELNS1_11target_archE908ELNS1_3gpuE7ELNS1_3repE0EEENS1_30default_config_static_selectorELNS0_4arch9wavefront6targetE0EEEvSY_
		.amdhsa_group_segment_fixed_size 0
		.amdhsa_private_segment_fixed_size 0
		.amdhsa_kernarg_size 152
		.amdhsa_user_sgpr_count 2
		.amdhsa_user_sgpr_dispatch_ptr 0
		.amdhsa_user_sgpr_queue_ptr 0
		.amdhsa_user_sgpr_kernarg_segment_ptr 1
		.amdhsa_user_sgpr_dispatch_id 0
		.amdhsa_user_sgpr_private_segment_size 0
		.amdhsa_wavefront_size32 1
		.amdhsa_uses_dynamic_stack 0
		.amdhsa_enable_private_segment 0
		.amdhsa_system_sgpr_workgroup_id_x 1
		.amdhsa_system_sgpr_workgroup_id_y 0
		.amdhsa_system_sgpr_workgroup_id_z 0
		.amdhsa_system_sgpr_workgroup_info 0
		.amdhsa_system_vgpr_workitem_id 0
		.amdhsa_next_free_vgpr 1
		.amdhsa_next_free_sgpr 1
		.amdhsa_reserve_vcc 0
		.amdhsa_float_round_mode_32 0
		.amdhsa_float_round_mode_16_64 0
		.amdhsa_float_denorm_mode_32 3
		.amdhsa_float_denorm_mode_16_64 3
		.amdhsa_fp16_overflow 0
		.amdhsa_workgroup_processor_mode 1
		.amdhsa_memory_ordered 1
		.amdhsa_forward_progress 1
		.amdhsa_inst_pref_size 0
		.amdhsa_round_robin_scheduling 0
		.amdhsa_exception_fp_ieee_invalid_op 0
		.amdhsa_exception_fp_denorm_src 0
		.amdhsa_exception_fp_ieee_div_zero 0
		.amdhsa_exception_fp_ieee_overflow 0
		.amdhsa_exception_fp_ieee_underflow 0
		.amdhsa_exception_fp_ieee_inexact 0
		.amdhsa_exception_int_div_zero 0
	.end_amdhsa_kernel
	.section	.text._ZN7rocprim17ROCPRIM_400000_NS6detail17trampoline_kernelINS0_13select_configILj256ELj13ELNS0_17block_load_methodE3ELS4_3ELS4_3ELNS0_20block_scan_algorithmE0ELj4294967295EEENS1_25partition_config_selectorILNS1_17partition_subalgoE3EjNS0_10empty_typeEbEEZZNS1_14partition_implILS8_3ELb0ES6_jNS0_17counting_iteratorIjlEEPS9_SE_NS0_5tupleIJPjSE_EEENSF_IJSE_SE_EEES9_SG_JZNS1_25segmented_radix_sort_implINS0_14default_configELb1EPKhPhPKlPlN2at6native12_GLOBAL__N_18offset_tEEE10hipError_tPvRmT1_PNSt15iterator_traitsISY_E10value_typeET2_T3_PNSZ_IS14_E10value_typeET4_jRbjT5_S1A_jjP12ihipStream_tbEUljE_EEESV_SW_SX_S14_S18_S1A_T6_T7_T9_mT8_S1C_bDpT10_ENKUlT_T0_E_clISt17integral_constantIbLb1EES1P_EEDaS1K_S1L_EUlS1K_E_NS1_11comp_targetILNS1_3genE3ELNS1_11target_archE908ELNS1_3gpuE7ELNS1_3repE0EEENS1_30default_config_static_selectorELNS0_4arch9wavefront6targetE0EEEvSY_,"axG",@progbits,_ZN7rocprim17ROCPRIM_400000_NS6detail17trampoline_kernelINS0_13select_configILj256ELj13ELNS0_17block_load_methodE3ELS4_3ELS4_3ELNS0_20block_scan_algorithmE0ELj4294967295EEENS1_25partition_config_selectorILNS1_17partition_subalgoE3EjNS0_10empty_typeEbEEZZNS1_14partition_implILS8_3ELb0ES6_jNS0_17counting_iteratorIjlEEPS9_SE_NS0_5tupleIJPjSE_EEENSF_IJSE_SE_EEES9_SG_JZNS1_25segmented_radix_sort_implINS0_14default_configELb1EPKhPhPKlPlN2at6native12_GLOBAL__N_18offset_tEEE10hipError_tPvRmT1_PNSt15iterator_traitsISY_E10value_typeET2_T3_PNSZ_IS14_E10value_typeET4_jRbjT5_S1A_jjP12ihipStream_tbEUljE_EEESV_SW_SX_S14_S18_S1A_T6_T7_T9_mT8_S1C_bDpT10_ENKUlT_T0_E_clISt17integral_constantIbLb1EES1P_EEDaS1K_S1L_EUlS1K_E_NS1_11comp_targetILNS1_3genE3ELNS1_11target_archE908ELNS1_3gpuE7ELNS1_3repE0EEENS1_30default_config_static_selectorELNS0_4arch9wavefront6targetE0EEEvSY_,comdat
.Lfunc_end60:
	.size	_ZN7rocprim17ROCPRIM_400000_NS6detail17trampoline_kernelINS0_13select_configILj256ELj13ELNS0_17block_load_methodE3ELS4_3ELS4_3ELNS0_20block_scan_algorithmE0ELj4294967295EEENS1_25partition_config_selectorILNS1_17partition_subalgoE3EjNS0_10empty_typeEbEEZZNS1_14partition_implILS8_3ELb0ES6_jNS0_17counting_iteratorIjlEEPS9_SE_NS0_5tupleIJPjSE_EEENSF_IJSE_SE_EEES9_SG_JZNS1_25segmented_radix_sort_implINS0_14default_configELb1EPKhPhPKlPlN2at6native12_GLOBAL__N_18offset_tEEE10hipError_tPvRmT1_PNSt15iterator_traitsISY_E10value_typeET2_T3_PNSZ_IS14_E10value_typeET4_jRbjT5_S1A_jjP12ihipStream_tbEUljE_EEESV_SW_SX_S14_S18_S1A_T6_T7_T9_mT8_S1C_bDpT10_ENKUlT_T0_E_clISt17integral_constantIbLb1EES1P_EEDaS1K_S1L_EUlS1K_E_NS1_11comp_targetILNS1_3genE3ELNS1_11target_archE908ELNS1_3gpuE7ELNS1_3repE0EEENS1_30default_config_static_selectorELNS0_4arch9wavefront6targetE0EEEvSY_, .Lfunc_end60-_ZN7rocprim17ROCPRIM_400000_NS6detail17trampoline_kernelINS0_13select_configILj256ELj13ELNS0_17block_load_methodE3ELS4_3ELS4_3ELNS0_20block_scan_algorithmE0ELj4294967295EEENS1_25partition_config_selectorILNS1_17partition_subalgoE3EjNS0_10empty_typeEbEEZZNS1_14partition_implILS8_3ELb0ES6_jNS0_17counting_iteratorIjlEEPS9_SE_NS0_5tupleIJPjSE_EEENSF_IJSE_SE_EEES9_SG_JZNS1_25segmented_radix_sort_implINS0_14default_configELb1EPKhPhPKlPlN2at6native12_GLOBAL__N_18offset_tEEE10hipError_tPvRmT1_PNSt15iterator_traitsISY_E10value_typeET2_T3_PNSZ_IS14_E10value_typeET4_jRbjT5_S1A_jjP12ihipStream_tbEUljE_EEESV_SW_SX_S14_S18_S1A_T6_T7_T9_mT8_S1C_bDpT10_ENKUlT_T0_E_clISt17integral_constantIbLb1EES1P_EEDaS1K_S1L_EUlS1K_E_NS1_11comp_targetILNS1_3genE3ELNS1_11target_archE908ELNS1_3gpuE7ELNS1_3repE0EEENS1_30default_config_static_selectorELNS0_4arch9wavefront6targetE0EEEvSY_
                                        ; -- End function
	.set _ZN7rocprim17ROCPRIM_400000_NS6detail17trampoline_kernelINS0_13select_configILj256ELj13ELNS0_17block_load_methodE3ELS4_3ELS4_3ELNS0_20block_scan_algorithmE0ELj4294967295EEENS1_25partition_config_selectorILNS1_17partition_subalgoE3EjNS0_10empty_typeEbEEZZNS1_14partition_implILS8_3ELb0ES6_jNS0_17counting_iteratorIjlEEPS9_SE_NS0_5tupleIJPjSE_EEENSF_IJSE_SE_EEES9_SG_JZNS1_25segmented_radix_sort_implINS0_14default_configELb1EPKhPhPKlPlN2at6native12_GLOBAL__N_18offset_tEEE10hipError_tPvRmT1_PNSt15iterator_traitsISY_E10value_typeET2_T3_PNSZ_IS14_E10value_typeET4_jRbjT5_S1A_jjP12ihipStream_tbEUljE_EEESV_SW_SX_S14_S18_S1A_T6_T7_T9_mT8_S1C_bDpT10_ENKUlT_T0_E_clISt17integral_constantIbLb1EES1P_EEDaS1K_S1L_EUlS1K_E_NS1_11comp_targetILNS1_3genE3ELNS1_11target_archE908ELNS1_3gpuE7ELNS1_3repE0EEENS1_30default_config_static_selectorELNS0_4arch9wavefront6targetE0EEEvSY_.num_vgpr, 0
	.set _ZN7rocprim17ROCPRIM_400000_NS6detail17trampoline_kernelINS0_13select_configILj256ELj13ELNS0_17block_load_methodE3ELS4_3ELS4_3ELNS0_20block_scan_algorithmE0ELj4294967295EEENS1_25partition_config_selectorILNS1_17partition_subalgoE3EjNS0_10empty_typeEbEEZZNS1_14partition_implILS8_3ELb0ES6_jNS0_17counting_iteratorIjlEEPS9_SE_NS0_5tupleIJPjSE_EEENSF_IJSE_SE_EEES9_SG_JZNS1_25segmented_radix_sort_implINS0_14default_configELb1EPKhPhPKlPlN2at6native12_GLOBAL__N_18offset_tEEE10hipError_tPvRmT1_PNSt15iterator_traitsISY_E10value_typeET2_T3_PNSZ_IS14_E10value_typeET4_jRbjT5_S1A_jjP12ihipStream_tbEUljE_EEESV_SW_SX_S14_S18_S1A_T6_T7_T9_mT8_S1C_bDpT10_ENKUlT_T0_E_clISt17integral_constantIbLb1EES1P_EEDaS1K_S1L_EUlS1K_E_NS1_11comp_targetILNS1_3genE3ELNS1_11target_archE908ELNS1_3gpuE7ELNS1_3repE0EEENS1_30default_config_static_selectorELNS0_4arch9wavefront6targetE0EEEvSY_.num_agpr, 0
	.set _ZN7rocprim17ROCPRIM_400000_NS6detail17trampoline_kernelINS0_13select_configILj256ELj13ELNS0_17block_load_methodE3ELS4_3ELS4_3ELNS0_20block_scan_algorithmE0ELj4294967295EEENS1_25partition_config_selectorILNS1_17partition_subalgoE3EjNS0_10empty_typeEbEEZZNS1_14partition_implILS8_3ELb0ES6_jNS0_17counting_iteratorIjlEEPS9_SE_NS0_5tupleIJPjSE_EEENSF_IJSE_SE_EEES9_SG_JZNS1_25segmented_radix_sort_implINS0_14default_configELb1EPKhPhPKlPlN2at6native12_GLOBAL__N_18offset_tEEE10hipError_tPvRmT1_PNSt15iterator_traitsISY_E10value_typeET2_T3_PNSZ_IS14_E10value_typeET4_jRbjT5_S1A_jjP12ihipStream_tbEUljE_EEESV_SW_SX_S14_S18_S1A_T6_T7_T9_mT8_S1C_bDpT10_ENKUlT_T0_E_clISt17integral_constantIbLb1EES1P_EEDaS1K_S1L_EUlS1K_E_NS1_11comp_targetILNS1_3genE3ELNS1_11target_archE908ELNS1_3gpuE7ELNS1_3repE0EEENS1_30default_config_static_selectorELNS0_4arch9wavefront6targetE0EEEvSY_.numbered_sgpr, 0
	.set _ZN7rocprim17ROCPRIM_400000_NS6detail17trampoline_kernelINS0_13select_configILj256ELj13ELNS0_17block_load_methodE3ELS4_3ELS4_3ELNS0_20block_scan_algorithmE0ELj4294967295EEENS1_25partition_config_selectorILNS1_17partition_subalgoE3EjNS0_10empty_typeEbEEZZNS1_14partition_implILS8_3ELb0ES6_jNS0_17counting_iteratorIjlEEPS9_SE_NS0_5tupleIJPjSE_EEENSF_IJSE_SE_EEES9_SG_JZNS1_25segmented_radix_sort_implINS0_14default_configELb1EPKhPhPKlPlN2at6native12_GLOBAL__N_18offset_tEEE10hipError_tPvRmT1_PNSt15iterator_traitsISY_E10value_typeET2_T3_PNSZ_IS14_E10value_typeET4_jRbjT5_S1A_jjP12ihipStream_tbEUljE_EEESV_SW_SX_S14_S18_S1A_T6_T7_T9_mT8_S1C_bDpT10_ENKUlT_T0_E_clISt17integral_constantIbLb1EES1P_EEDaS1K_S1L_EUlS1K_E_NS1_11comp_targetILNS1_3genE3ELNS1_11target_archE908ELNS1_3gpuE7ELNS1_3repE0EEENS1_30default_config_static_selectorELNS0_4arch9wavefront6targetE0EEEvSY_.num_named_barrier, 0
	.set _ZN7rocprim17ROCPRIM_400000_NS6detail17trampoline_kernelINS0_13select_configILj256ELj13ELNS0_17block_load_methodE3ELS4_3ELS4_3ELNS0_20block_scan_algorithmE0ELj4294967295EEENS1_25partition_config_selectorILNS1_17partition_subalgoE3EjNS0_10empty_typeEbEEZZNS1_14partition_implILS8_3ELb0ES6_jNS0_17counting_iteratorIjlEEPS9_SE_NS0_5tupleIJPjSE_EEENSF_IJSE_SE_EEES9_SG_JZNS1_25segmented_radix_sort_implINS0_14default_configELb1EPKhPhPKlPlN2at6native12_GLOBAL__N_18offset_tEEE10hipError_tPvRmT1_PNSt15iterator_traitsISY_E10value_typeET2_T3_PNSZ_IS14_E10value_typeET4_jRbjT5_S1A_jjP12ihipStream_tbEUljE_EEESV_SW_SX_S14_S18_S1A_T6_T7_T9_mT8_S1C_bDpT10_ENKUlT_T0_E_clISt17integral_constantIbLb1EES1P_EEDaS1K_S1L_EUlS1K_E_NS1_11comp_targetILNS1_3genE3ELNS1_11target_archE908ELNS1_3gpuE7ELNS1_3repE0EEENS1_30default_config_static_selectorELNS0_4arch9wavefront6targetE0EEEvSY_.private_seg_size, 0
	.set _ZN7rocprim17ROCPRIM_400000_NS6detail17trampoline_kernelINS0_13select_configILj256ELj13ELNS0_17block_load_methodE3ELS4_3ELS4_3ELNS0_20block_scan_algorithmE0ELj4294967295EEENS1_25partition_config_selectorILNS1_17partition_subalgoE3EjNS0_10empty_typeEbEEZZNS1_14partition_implILS8_3ELb0ES6_jNS0_17counting_iteratorIjlEEPS9_SE_NS0_5tupleIJPjSE_EEENSF_IJSE_SE_EEES9_SG_JZNS1_25segmented_radix_sort_implINS0_14default_configELb1EPKhPhPKlPlN2at6native12_GLOBAL__N_18offset_tEEE10hipError_tPvRmT1_PNSt15iterator_traitsISY_E10value_typeET2_T3_PNSZ_IS14_E10value_typeET4_jRbjT5_S1A_jjP12ihipStream_tbEUljE_EEESV_SW_SX_S14_S18_S1A_T6_T7_T9_mT8_S1C_bDpT10_ENKUlT_T0_E_clISt17integral_constantIbLb1EES1P_EEDaS1K_S1L_EUlS1K_E_NS1_11comp_targetILNS1_3genE3ELNS1_11target_archE908ELNS1_3gpuE7ELNS1_3repE0EEENS1_30default_config_static_selectorELNS0_4arch9wavefront6targetE0EEEvSY_.uses_vcc, 0
	.set _ZN7rocprim17ROCPRIM_400000_NS6detail17trampoline_kernelINS0_13select_configILj256ELj13ELNS0_17block_load_methodE3ELS4_3ELS4_3ELNS0_20block_scan_algorithmE0ELj4294967295EEENS1_25partition_config_selectorILNS1_17partition_subalgoE3EjNS0_10empty_typeEbEEZZNS1_14partition_implILS8_3ELb0ES6_jNS0_17counting_iteratorIjlEEPS9_SE_NS0_5tupleIJPjSE_EEENSF_IJSE_SE_EEES9_SG_JZNS1_25segmented_radix_sort_implINS0_14default_configELb1EPKhPhPKlPlN2at6native12_GLOBAL__N_18offset_tEEE10hipError_tPvRmT1_PNSt15iterator_traitsISY_E10value_typeET2_T3_PNSZ_IS14_E10value_typeET4_jRbjT5_S1A_jjP12ihipStream_tbEUljE_EEESV_SW_SX_S14_S18_S1A_T6_T7_T9_mT8_S1C_bDpT10_ENKUlT_T0_E_clISt17integral_constantIbLb1EES1P_EEDaS1K_S1L_EUlS1K_E_NS1_11comp_targetILNS1_3genE3ELNS1_11target_archE908ELNS1_3gpuE7ELNS1_3repE0EEENS1_30default_config_static_selectorELNS0_4arch9wavefront6targetE0EEEvSY_.uses_flat_scratch, 0
	.set _ZN7rocprim17ROCPRIM_400000_NS6detail17trampoline_kernelINS0_13select_configILj256ELj13ELNS0_17block_load_methodE3ELS4_3ELS4_3ELNS0_20block_scan_algorithmE0ELj4294967295EEENS1_25partition_config_selectorILNS1_17partition_subalgoE3EjNS0_10empty_typeEbEEZZNS1_14partition_implILS8_3ELb0ES6_jNS0_17counting_iteratorIjlEEPS9_SE_NS0_5tupleIJPjSE_EEENSF_IJSE_SE_EEES9_SG_JZNS1_25segmented_radix_sort_implINS0_14default_configELb1EPKhPhPKlPlN2at6native12_GLOBAL__N_18offset_tEEE10hipError_tPvRmT1_PNSt15iterator_traitsISY_E10value_typeET2_T3_PNSZ_IS14_E10value_typeET4_jRbjT5_S1A_jjP12ihipStream_tbEUljE_EEESV_SW_SX_S14_S18_S1A_T6_T7_T9_mT8_S1C_bDpT10_ENKUlT_T0_E_clISt17integral_constantIbLb1EES1P_EEDaS1K_S1L_EUlS1K_E_NS1_11comp_targetILNS1_3genE3ELNS1_11target_archE908ELNS1_3gpuE7ELNS1_3repE0EEENS1_30default_config_static_selectorELNS0_4arch9wavefront6targetE0EEEvSY_.has_dyn_sized_stack, 0
	.set _ZN7rocprim17ROCPRIM_400000_NS6detail17trampoline_kernelINS0_13select_configILj256ELj13ELNS0_17block_load_methodE3ELS4_3ELS4_3ELNS0_20block_scan_algorithmE0ELj4294967295EEENS1_25partition_config_selectorILNS1_17partition_subalgoE3EjNS0_10empty_typeEbEEZZNS1_14partition_implILS8_3ELb0ES6_jNS0_17counting_iteratorIjlEEPS9_SE_NS0_5tupleIJPjSE_EEENSF_IJSE_SE_EEES9_SG_JZNS1_25segmented_radix_sort_implINS0_14default_configELb1EPKhPhPKlPlN2at6native12_GLOBAL__N_18offset_tEEE10hipError_tPvRmT1_PNSt15iterator_traitsISY_E10value_typeET2_T3_PNSZ_IS14_E10value_typeET4_jRbjT5_S1A_jjP12ihipStream_tbEUljE_EEESV_SW_SX_S14_S18_S1A_T6_T7_T9_mT8_S1C_bDpT10_ENKUlT_T0_E_clISt17integral_constantIbLb1EES1P_EEDaS1K_S1L_EUlS1K_E_NS1_11comp_targetILNS1_3genE3ELNS1_11target_archE908ELNS1_3gpuE7ELNS1_3repE0EEENS1_30default_config_static_selectorELNS0_4arch9wavefront6targetE0EEEvSY_.has_recursion, 0
	.set _ZN7rocprim17ROCPRIM_400000_NS6detail17trampoline_kernelINS0_13select_configILj256ELj13ELNS0_17block_load_methodE3ELS4_3ELS4_3ELNS0_20block_scan_algorithmE0ELj4294967295EEENS1_25partition_config_selectorILNS1_17partition_subalgoE3EjNS0_10empty_typeEbEEZZNS1_14partition_implILS8_3ELb0ES6_jNS0_17counting_iteratorIjlEEPS9_SE_NS0_5tupleIJPjSE_EEENSF_IJSE_SE_EEES9_SG_JZNS1_25segmented_radix_sort_implINS0_14default_configELb1EPKhPhPKlPlN2at6native12_GLOBAL__N_18offset_tEEE10hipError_tPvRmT1_PNSt15iterator_traitsISY_E10value_typeET2_T3_PNSZ_IS14_E10value_typeET4_jRbjT5_S1A_jjP12ihipStream_tbEUljE_EEESV_SW_SX_S14_S18_S1A_T6_T7_T9_mT8_S1C_bDpT10_ENKUlT_T0_E_clISt17integral_constantIbLb1EES1P_EEDaS1K_S1L_EUlS1K_E_NS1_11comp_targetILNS1_3genE3ELNS1_11target_archE908ELNS1_3gpuE7ELNS1_3repE0EEENS1_30default_config_static_selectorELNS0_4arch9wavefront6targetE0EEEvSY_.has_indirect_call, 0
	.section	.AMDGPU.csdata,"",@progbits
; Kernel info:
; codeLenInByte = 0
; TotalNumSgprs: 0
; NumVgprs: 0
; ScratchSize: 0
; MemoryBound: 0
; FloatMode: 240
; IeeeMode: 1
; LDSByteSize: 0 bytes/workgroup (compile time only)
; SGPRBlocks: 0
; VGPRBlocks: 0
; NumSGPRsForWavesPerEU: 1
; NumVGPRsForWavesPerEU: 1
; Occupancy: 16
; WaveLimiterHint : 0
; COMPUTE_PGM_RSRC2:SCRATCH_EN: 0
; COMPUTE_PGM_RSRC2:USER_SGPR: 2
; COMPUTE_PGM_RSRC2:TRAP_HANDLER: 0
; COMPUTE_PGM_RSRC2:TGID_X_EN: 1
; COMPUTE_PGM_RSRC2:TGID_Y_EN: 0
; COMPUTE_PGM_RSRC2:TGID_Z_EN: 0
; COMPUTE_PGM_RSRC2:TIDIG_COMP_CNT: 0
	.section	.text._ZN7rocprim17ROCPRIM_400000_NS6detail17trampoline_kernelINS0_13select_configILj256ELj13ELNS0_17block_load_methodE3ELS4_3ELS4_3ELNS0_20block_scan_algorithmE0ELj4294967295EEENS1_25partition_config_selectorILNS1_17partition_subalgoE3EjNS0_10empty_typeEbEEZZNS1_14partition_implILS8_3ELb0ES6_jNS0_17counting_iteratorIjlEEPS9_SE_NS0_5tupleIJPjSE_EEENSF_IJSE_SE_EEES9_SG_JZNS1_25segmented_radix_sort_implINS0_14default_configELb1EPKhPhPKlPlN2at6native12_GLOBAL__N_18offset_tEEE10hipError_tPvRmT1_PNSt15iterator_traitsISY_E10value_typeET2_T3_PNSZ_IS14_E10value_typeET4_jRbjT5_S1A_jjP12ihipStream_tbEUljE_EEESV_SW_SX_S14_S18_S1A_T6_T7_T9_mT8_S1C_bDpT10_ENKUlT_T0_E_clISt17integral_constantIbLb1EES1P_EEDaS1K_S1L_EUlS1K_E_NS1_11comp_targetILNS1_3genE2ELNS1_11target_archE906ELNS1_3gpuE6ELNS1_3repE0EEENS1_30default_config_static_selectorELNS0_4arch9wavefront6targetE0EEEvSY_,"axG",@progbits,_ZN7rocprim17ROCPRIM_400000_NS6detail17trampoline_kernelINS0_13select_configILj256ELj13ELNS0_17block_load_methodE3ELS4_3ELS4_3ELNS0_20block_scan_algorithmE0ELj4294967295EEENS1_25partition_config_selectorILNS1_17partition_subalgoE3EjNS0_10empty_typeEbEEZZNS1_14partition_implILS8_3ELb0ES6_jNS0_17counting_iteratorIjlEEPS9_SE_NS0_5tupleIJPjSE_EEENSF_IJSE_SE_EEES9_SG_JZNS1_25segmented_radix_sort_implINS0_14default_configELb1EPKhPhPKlPlN2at6native12_GLOBAL__N_18offset_tEEE10hipError_tPvRmT1_PNSt15iterator_traitsISY_E10value_typeET2_T3_PNSZ_IS14_E10value_typeET4_jRbjT5_S1A_jjP12ihipStream_tbEUljE_EEESV_SW_SX_S14_S18_S1A_T6_T7_T9_mT8_S1C_bDpT10_ENKUlT_T0_E_clISt17integral_constantIbLb1EES1P_EEDaS1K_S1L_EUlS1K_E_NS1_11comp_targetILNS1_3genE2ELNS1_11target_archE906ELNS1_3gpuE6ELNS1_3repE0EEENS1_30default_config_static_selectorELNS0_4arch9wavefront6targetE0EEEvSY_,comdat
	.globl	_ZN7rocprim17ROCPRIM_400000_NS6detail17trampoline_kernelINS0_13select_configILj256ELj13ELNS0_17block_load_methodE3ELS4_3ELS4_3ELNS0_20block_scan_algorithmE0ELj4294967295EEENS1_25partition_config_selectorILNS1_17partition_subalgoE3EjNS0_10empty_typeEbEEZZNS1_14partition_implILS8_3ELb0ES6_jNS0_17counting_iteratorIjlEEPS9_SE_NS0_5tupleIJPjSE_EEENSF_IJSE_SE_EEES9_SG_JZNS1_25segmented_radix_sort_implINS0_14default_configELb1EPKhPhPKlPlN2at6native12_GLOBAL__N_18offset_tEEE10hipError_tPvRmT1_PNSt15iterator_traitsISY_E10value_typeET2_T3_PNSZ_IS14_E10value_typeET4_jRbjT5_S1A_jjP12ihipStream_tbEUljE_EEESV_SW_SX_S14_S18_S1A_T6_T7_T9_mT8_S1C_bDpT10_ENKUlT_T0_E_clISt17integral_constantIbLb1EES1P_EEDaS1K_S1L_EUlS1K_E_NS1_11comp_targetILNS1_3genE2ELNS1_11target_archE906ELNS1_3gpuE6ELNS1_3repE0EEENS1_30default_config_static_selectorELNS0_4arch9wavefront6targetE0EEEvSY_ ; -- Begin function _ZN7rocprim17ROCPRIM_400000_NS6detail17trampoline_kernelINS0_13select_configILj256ELj13ELNS0_17block_load_methodE3ELS4_3ELS4_3ELNS0_20block_scan_algorithmE0ELj4294967295EEENS1_25partition_config_selectorILNS1_17partition_subalgoE3EjNS0_10empty_typeEbEEZZNS1_14partition_implILS8_3ELb0ES6_jNS0_17counting_iteratorIjlEEPS9_SE_NS0_5tupleIJPjSE_EEENSF_IJSE_SE_EEES9_SG_JZNS1_25segmented_radix_sort_implINS0_14default_configELb1EPKhPhPKlPlN2at6native12_GLOBAL__N_18offset_tEEE10hipError_tPvRmT1_PNSt15iterator_traitsISY_E10value_typeET2_T3_PNSZ_IS14_E10value_typeET4_jRbjT5_S1A_jjP12ihipStream_tbEUljE_EEESV_SW_SX_S14_S18_S1A_T6_T7_T9_mT8_S1C_bDpT10_ENKUlT_T0_E_clISt17integral_constantIbLb1EES1P_EEDaS1K_S1L_EUlS1K_E_NS1_11comp_targetILNS1_3genE2ELNS1_11target_archE906ELNS1_3gpuE6ELNS1_3repE0EEENS1_30default_config_static_selectorELNS0_4arch9wavefront6targetE0EEEvSY_
	.p2align	8
	.type	_ZN7rocprim17ROCPRIM_400000_NS6detail17trampoline_kernelINS0_13select_configILj256ELj13ELNS0_17block_load_methodE3ELS4_3ELS4_3ELNS0_20block_scan_algorithmE0ELj4294967295EEENS1_25partition_config_selectorILNS1_17partition_subalgoE3EjNS0_10empty_typeEbEEZZNS1_14partition_implILS8_3ELb0ES6_jNS0_17counting_iteratorIjlEEPS9_SE_NS0_5tupleIJPjSE_EEENSF_IJSE_SE_EEES9_SG_JZNS1_25segmented_radix_sort_implINS0_14default_configELb1EPKhPhPKlPlN2at6native12_GLOBAL__N_18offset_tEEE10hipError_tPvRmT1_PNSt15iterator_traitsISY_E10value_typeET2_T3_PNSZ_IS14_E10value_typeET4_jRbjT5_S1A_jjP12ihipStream_tbEUljE_EEESV_SW_SX_S14_S18_S1A_T6_T7_T9_mT8_S1C_bDpT10_ENKUlT_T0_E_clISt17integral_constantIbLb1EES1P_EEDaS1K_S1L_EUlS1K_E_NS1_11comp_targetILNS1_3genE2ELNS1_11target_archE906ELNS1_3gpuE6ELNS1_3repE0EEENS1_30default_config_static_selectorELNS0_4arch9wavefront6targetE0EEEvSY_,@function
_ZN7rocprim17ROCPRIM_400000_NS6detail17trampoline_kernelINS0_13select_configILj256ELj13ELNS0_17block_load_methodE3ELS4_3ELS4_3ELNS0_20block_scan_algorithmE0ELj4294967295EEENS1_25partition_config_selectorILNS1_17partition_subalgoE3EjNS0_10empty_typeEbEEZZNS1_14partition_implILS8_3ELb0ES6_jNS0_17counting_iteratorIjlEEPS9_SE_NS0_5tupleIJPjSE_EEENSF_IJSE_SE_EEES9_SG_JZNS1_25segmented_radix_sort_implINS0_14default_configELb1EPKhPhPKlPlN2at6native12_GLOBAL__N_18offset_tEEE10hipError_tPvRmT1_PNSt15iterator_traitsISY_E10value_typeET2_T3_PNSZ_IS14_E10value_typeET4_jRbjT5_S1A_jjP12ihipStream_tbEUljE_EEESV_SW_SX_S14_S18_S1A_T6_T7_T9_mT8_S1C_bDpT10_ENKUlT_T0_E_clISt17integral_constantIbLb1EES1P_EEDaS1K_S1L_EUlS1K_E_NS1_11comp_targetILNS1_3genE2ELNS1_11target_archE906ELNS1_3gpuE6ELNS1_3repE0EEENS1_30default_config_static_selectorELNS0_4arch9wavefront6targetE0EEEvSY_: ; @_ZN7rocprim17ROCPRIM_400000_NS6detail17trampoline_kernelINS0_13select_configILj256ELj13ELNS0_17block_load_methodE3ELS4_3ELS4_3ELNS0_20block_scan_algorithmE0ELj4294967295EEENS1_25partition_config_selectorILNS1_17partition_subalgoE3EjNS0_10empty_typeEbEEZZNS1_14partition_implILS8_3ELb0ES6_jNS0_17counting_iteratorIjlEEPS9_SE_NS0_5tupleIJPjSE_EEENSF_IJSE_SE_EEES9_SG_JZNS1_25segmented_radix_sort_implINS0_14default_configELb1EPKhPhPKlPlN2at6native12_GLOBAL__N_18offset_tEEE10hipError_tPvRmT1_PNSt15iterator_traitsISY_E10value_typeET2_T3_PNSZ_IS14_E10value_typeET4_jRbjT5_S1A_jjP12ihipStream_tbEUljE_EEESV_SW_SX_S14_S18_S1A_T6_T7_T9_mT8_S1C_bDpT10_ENKUlT_T0_E_clISt17integral_constantIbLb1EES1P_EEDaS1K_S1L_EUlS1K_E_NS1_11comp_targetILNS1_3genE2ELNS1_11target_archE906ELNS1_3gpuE6ELNS1_3repE0EEENS1_30default_config_static_selectorELNS0_4arch9wavefront6targetE0EEEvSY_
; %bb.0:
	.section	.rodata,"a",@progbits
	.p2align	6, 0x0
	.amdhsa_kernel _ZN7rocprim17ROCPRIM_400000_NS6detail17trampoline_kernelINS0_13select_configILj256ELj13ELNS0_17block_load_methodE3ELS4_3ELS4_3ELNS0_20block_scan_algorithmE0ELj4294967295EEENS1_25partition_config_selectorILNS1_17partition_subalgoE3EjNS0_10empty_typeEbEEZZNS1_14partition_implILS8_3ELb0ES6_jNS0_17counting_iteratorIjlEEPS9_SE_NS0_5tupleIJPjSE_EEENSF_IJSE_SE_EEES9_SG_JZNS1_25segmented_radix_sort_implINS0_14default_configELb1EPKhPhPKlPlN2at6native12_GLOBAL__N_18offset_tEEE10hipError_tPvRmT1_PNSt15iterator_traitsISY_E10value_typeET2_T3_PNSZ_IS14_E10value_typeET4_jRbjT5_S1A_jjP12ihipStream_tbEUljE_EEESV_SW_SX_S14_S18_S1A_T6_T7_T9_mT8_S1C_bDpT10_ENKUlT_T0_E_clISt17integral_constantIbLb1EES1P_EEDaS1K_S1L_EUlS1K_E_NS1_11comp_targetILNS1_3genE2ELNS1_11target_archE906ELNS1_3gpuE6ELNS1_3repE0EEENS1_30default_config_static_selectorELNS0_4arch9wavefront6targetE0EEEvSY_
		.amdhsa_group_segment_fixed_size 0
		.amdhsa_private_segment_fixed_size 0
		.amdhsa_kernarg_size 152
		.amdhsa_user_sgpr_count 2
		.amdhsa_user_sgpr_dispatch_ptr 0
		.amdhsa_user_sgpr_queue_ptr 0
		.amdhsa_user_sgpr_kernarg_segment_ptr 1
		.amdhsa_user_sgpr_dispatch_id 0
		.amdhsa_user_sgpr_private_segment_size 0
		.amdhsa_wavefront_size32 1
		.amdhsa_uses_dynamic_stack 0
		.amdhsa_enable_private_segment 0
		.amdhsa_system_sgpr_workgroup_id_x 1
		.amdhsa_system_sgpr_workgroup_id_y 0
		.amdhsa_system_sgpr_workgroup_id_z 0
		.amdhsa_system_sgpr_workgroup_info 0
		.amdhsa_system_vgpr_workitem_id 0
		.amdhsa_next_free_vgpr 1
		.amdhsa_next_free_sgpr 1
		.amdhsa_reserve_vcc 0
		.amdhsa_float_round_mode_32 0
		.amdhsa_float_round_mode_16_64 0
		.amdhsa_float_denorm_mode_32 3
		.amdhsa_float_denorm_mode_16_64 3
		.amdhsa_fp16_overflow 0
		.amdhsa_workgroup_processor_mode 1
		.amdhsa_memory_ordered 1
		.amdhsa_forward_progress 1
		.amdhsa_inst_pref_size 0
		.amdhsa_round_robin_scheduling 0
		.amdhsa_exception_fp_ieee_invalid_op 0
		.amdhsa_exception_fp_denorm_src 0
		.amdhsa_exception_fp_ieee_div_zero 0
		.amdhsa_exception_fp_ieee_overflow 0
		.amdhsa_exception_fp_ieee_underflow 0
		.amdhsa_exception_fp_ieee_inexact 0
		.amdhsa_exception_int_div_zero 0
	.end_amdhsa_kernel
	.section	.text._ZN7rocprim17ROCPRIM_400000_NS6detail17trampoline_kernelINS0_13select_configILj256ELj13ELNS0_17block_load_methodE3ELS4_3ELS4_3ELNS0_20block_scan_algorithmE0ELj4294967295EEENS1_25partition_config_selectorILNS1_17partition_subalgoE3EjNS0_10empty_typeEbEEZZNS1_14partition_implILS8_3ELb0ES6_jNS0_17counting_iteratorIjlEEPS9_SE_NS0_5tupleIJPjSE_EEENSF_IJSE_SE_EEES9_SG_JZNS1_25segmented_radix_sort_implINS0_14default_configELb1EPKhPhPKlPlN2at6native12_GLOBAL__N_18offset_tEEE10hipError_tPvRmT1_PNSt15iterator_traitsISY_E10value_typeET2_T3_PNSZ_IS14_E10value_typeET4_jRbjT5_S1A_jjP12ihipStream_tbEUljE_EEESV_SW_SX_S14_S18_S1A_T6_T7_T9_mT8_S1C_bDpT10_ENKUlT_T0_E_clISt17integral_constantIbLb1EES1P_EEDaS1K_S1L_EUlS1K_E_NS1_11comp_targetILNS1_3genE2ELNS1_11target_archE906ELNS1_3gpuE6ELNS1_3repE0EEENS1_30default_config_static_selectorELNS0_4arch9wavefront6targetE0EEEvSY_,"axG",@progbits,_ZN7rocprim17ROCPRIM_400000_NS6detail17trampoline_kernelINS0_13select_configILj256ELj13ELNS0_17block_load_methodE3ELS4_3ELS4_3ELNS0_20block_scan_algorithmE0ELj4294967295EEENS1_25partition_config_selectorILNS1_17partition_subalgoE3EjNS0_10empty_typeEbEEZZNS1_14partition_implILS8_3ELb0ES6_jNS0_17counting_iteratorIjlEEPS9_SE_NS0_5tupleIJPjSE_EEENSF_IJSE_SE_EEES9_SG_JZNS1_25segmented_radix_sort_implINS0_14default_configELb1EPKhPhPKlPlN2at6native12_GLOBAL__N_18offset_tEEE10hipError_tPvRmT1_PNSt15iterator_traitsISY_E10value_typeET2_T3_PNSZ_IS14_E10value_typeET4_jRbjT5_S1A_jjP12ihipStream_tbEUljE_EEESV_SW_SX_S14_S18_S1A_T6_T7_T9_mT8_S1C_bDpT10_ENKUlT_T0_E_clISt17integral_constantIbLb1EES1P_EEDaS1K_S1L_EUlS1K_E_NS1_11comp_targetILNS1_3genE2ELNS1_11target_archE906ELNS1_3gpuE6ELNS1_3repE0EEENS1_30default_config_static_selectorELNS0_4arch9wavefront6targetE0EEEvSY_,comdat
.Lfunc_end61:
	.size	_ZN7rocprim17ROCPRIM_400000_NS6detail17trampoline_kernelINS0_13select_configILj256ELj13ELNS0_17block_load_methodE3ELS4_3ELS4_3ELNS0_20block_scan_algorithmE0ELj4294967295EEENS1_25partition_config_selectorILNS1_17partition_subalgoE3EjNS0_10empty_typeEbEEZZNS1_14partition_implILS8_3ELb0ES6_jNS0_17counting_iteratorIjlEEPS9_SE_NS0_5tupleIJPjSE_EEENSF_IJSE_SE_EEES9_SG_JZNS1_25segmented_radix_sort_implINS0_14default_configELb1EPKhPhPKlPlN2at6native12_GLOBAL__N_18offset_tEEE10hipError_tPvRmT1_PNSt15iterator_traitsISY_E10value_typeET2_T3_PNSZ_IS14_E10value_typeET4_jRbjT5_S1A_jjP12ihipStream_tbEUljE_EEESV_SW_SX_S14_S18_S1A_T6_T7_T9_mT8_S1C_bDpT10_ENKUlT_T0_E_clISt17integral_constantIbLb1EES1P_EEDaS1K_S1L_EUlS1K_E_NS1_11comp_targetILNS1_3genE2ELNS1_11target_archE906ELNS1_3gpuE6ELNS1_3repE0EEENS1_30default_config_static_selectorELNS0_4arch9wavefront6targetE0EEEvSY_, .Lfunc_end61-_ZN7rocprim17ROCPRIM_400000_NS6detail17trampoline_kernelINS0_13select_configILj256ELj13ELNS0_17block_load_methodE3ELS4_3ELS4_3ELNS0_20block_scan_algorithmE0ELj4294967295EEENS1_25partition_config_selectorILNS1_17partition_subalgoE3EjNS0_10empty_typeEbEEZZNS1_14partition_implILS8_3ELb0ES6_jNS0_17counting_iteratorIjlEEPS9_SE_NS0_5tupleIJPjSE_EEENSF_IJSE_SE_EEES9_SG_JZNS1_25segmented_radix_sort_implINS0_14default_configELb1EPKhPhPKlPlN2at6native12_GLOBAL__N_18offset_tEEE10hipError_tPvRmT1_PNSt15iterator_traitsISY_E10value_typeET2_T3_PNSZ_IS14_E10value_typeET4_jRbjT5_S1A_jjP12ihipStream_tbEUljE_EEESV_SW_SX_S14_S18_S1A_T6_T7_T9_mT8_S1C_bDpT10_ENKUlT_T0_E_clISt17integral_constantIbLb1EES1P_EEDaS1K_S1L_EUlS1K_E_NS1_11comp_targetILNS1_3genE2ELNS1_11target_archE906ELNS1_3gpuE6ELNS1_3repE0EEENS1_30default_config_static_selectorELNS0_4arch9wavefront6targetE0EEEvSY_
                                        ; -- End function
	.set _ZN7rocprim17ROCPRIM_400000_NS6detail17trampoline_kernelINS0_13select_configILj256ELj13ELNS0_17block_load_methodE3ELS4_3ELS4_3ELNS0_20block_scan_algorithmE0ELj4294967295EEENS1_25partition_config_selectorILNS1_17partition_subalgoE3EjNS0_10empty_typeEbEEZZNS1_14partition_implILS8_3ELb0ES6_jNS0_17counting_iteratorIjlEEPS9_SE_NS0_5tupleIJPjSE_EEENSF_IJSE_SE_EEES9_SG_JZNS1_25segmented_radix_sort_implINS0_14default_configELb1EPKhPhPKlPlN2at6native12_GLOBAL__N_18offset_tEEE10hipError_tPvRmT1_PNSt15iterator_traitsISY_E10value_typeET2_T3_PNSZ_IS14_E10value_typeET4_jRbjT5_S1A_jjP12ihipStream_tbEUljE_EEESV_SW_SX_S14_S18_S1A_T6_T7_T9_mT8_S1C_bDpT10_ENKUlT_T0_E_clISt17integral_constantIbLb1EES1P_EEDaS1K_S1L_EUlS1K_E_NS1_11comp_targetILNS1_3genE2ELNS1_11target_archE906ELNS1_3gpuE6ELNS1_3repE0EEENS1_30default_config_static_selectorELNS0_4arch9wavefront6targetE0EEEvSY_.num_vgpr, 0
	.set _ZN7rocprim17ROCPRIM_400000_NS6detail17trampoline_kernelINS0_13select_configILj256ELj13ELNS0_17block_load_methodE3ELS4_3ELS4_3ELNS0_20block_scan_algorithmE0ELj4294967295EEENS1_25partition_config_selectorILNS1_17partition_subalgoE3EjNS0_10empty_typeEbEEZZNS1_14partition_implILS8_3ELb0ES6_jNS0_17counting_iteratorIjlEEPS9_SE_NS0_5tupleIJPjSE_EEENSF_IJSE_SE_EEES9_SG_JZNS1_25segmented_radix_sort_implINS0_14default_configELb1EPKhPhPKlPlN2at6native12_GLOBAL__N_18offset_tEEE10hipError_tPvRmT1_PNSt15iterator_traitsISY_E10value_typeET2_T3_PNSZ_IS14_E10value_typeET4_jRbjT5_S1A_jjP12ihipStream_tbEUljE_EEESV_SW_SX_S14_S18_S1A_T6_T7_T9_mT8_S1C_bDpT10_ENKUlT_T0_E_clISt17integral_constantIbLb1EES1P_EEDaS1K_S1L_EUlS1K_E_NS1_11comp_targetILNS1_3genE2ELNS1_11target_archE906ELNS1_3gpuE6ELNS1_3repE0EEENS1_30default_config_static_selectorELNS0_4arch9wavefront6targetE0EEEvSY_.num_agpr, 0
	.set _ZN7rocprim17ROCPRIM_400000_NS6detail17trampoline_kernelINS0_13select_configILj256ELj13ELNS0_17block_load_methodE3ELS4_3ELS4_3ELNS0_20block_scan_algorithmE0ELj4294967295EEENS1_25partition_config_selectorILNS1_17partition_subalgoE3EjNS0_10empty_typeEbEEZZNS1_14partition_implILS8_3ELb0ES6_jNS0_17counting_iteratorIjlEEPS9_SE_NS0_5tupleIJPjSE_EEENSF_IJSE_SE_EEES9_SG_JZNS1_25segmented_radix_sort_implINS0_14default_configELb1EPKhPhPKlPlN2at6native12_GLOBAL__N_18offset_tEEE10hipError_tPvRmT1_PNSt15iterator_traitsISY_E10value_typeET2_T3_PNSZ_IS14_E10value_typeET4_jRbjT5_S1A_jjP12ihipStream_tbEUljE_EEESV_SW_SX_S14_S18_S1A_T6_T7_T9_mT8_S1C_bDpT10_ENKUlT_T0_E_clISt17integral_constantIbLb1EES1P_EEDaS1K_S1L_EUlS1K_E_NS1_11comp_targetILNS1_3genE2ELNS1_11target_archE906ELNS1_3gpuE6ELNS1_3repE0EEENS1_30default_config_static_selectorELNS0_4arch9wavefront6targetE0EEEvSY_.numbered_sgpr, 0
	.set _ZN7rocprim17ROCPRIM_400000_NS6detail17trampoline_kernelINS0_13select_configILj256ELj13ELNS0_17block_load_methodE3ELS4_3ELS4_3ELNS0_20block_scan_algorithmE0ELj4294967295EEENS1_25partition_config_selectorILNS1_17partition_subalgoE3EjNS0_10empty_typeEbEEZZNS1_14partition_implILS8_3ELb0ES6_jNS0_17counting_iteratorIjlEEPS9_SE_NS0_5tupleIJPjSE_EEENSF_IJSE_SE_EEES9_SG_JZNS1_25segmented_radix_sort_implINS0_14default_configELb1EPKhPhPKlPlN2at6native12_GLOBAL__N_18offset_tEEE10hipError_tPvRmT1_PNSt15iterator_traitsISY_E10value_typeET2_T3_PNSZ_IS14_E10value_typeET4_jRbjT5_S1A_jjP12ihipStream_tbEUljE_EEESV_SW_SX_S14_S18_S1A_T6_T7_T9_mT8_S1C_bDpT10_ENKUlT_T0_E_clISt17integral_constantIbLb1EES1P_EEDaS1K_S1L_EUlS1K_E_NS1_11comp_targetILNS1_3genE2ELNS1_11target_archE906ELNS1_3gpuE6ELNS1_3repE0EEENS1_30default_config_static_selectorELNS0_4arch9wavefront6targetE0EEEvSY_.num_named_barrier, 0
	.set _ZN7rocprim17ROCPRIM_400000_NS6detail17trampoline_kernelINS0_13select_configILj256ELj13ELNS0_17block_load_methodE3ELS4_3ELS4_3ELNS0_20block_scan_algorithmE0ELj4294967295EEENS1_25partition_config_selectorILNS1_17partition_subalgoE3EjNS0_10empty_typeEbEEZZNS1_14partition_implILS8_3ELb0ES6_jNS0_17counting_iteratorIjlEEPS9_SE_NS0_5tupleIJPjSE_EEENSF_IJSE_SE_EEES9_SG_JZNS1_25segmented_radix_sort_implINS0_14default_configELb1EPKhPhPKlPlN2at6native12_GLOBAL__N_18offset_tEEE10hipError_tPvRmT1_PNSt15iterator_traitsISY_E10value_typeET2_T3_PNSZ_IS14_E10value_typeET4_jRbjT5_S1A_jjP12ihipStream_tbEUljE_EEESV_SW_SX_S14_S18_S1A_T6_T7_T9_mT8_S1C_bDpT10_ENKUlT_T0_E_clISt17integral_constantIbLb1EES1P_EEDaS1K_S1L_EUlS1K_E_NS1_11comp_targetILNS1_3genE2ELNS1_11target_archE906ELNS1_3gpuE6ELNS1_3repE0EEENS1_30default_config_static_selectorELNS0_4arch9wavefront6targetE0EEEvSY_.private_seg_size, 0
	.set _ZN7rocprim17ROCPRIM_400000_NS6detail17trampoline_kernelINS0_13select_configILj256ELj13ELNS0_17block_load_methodE3ELS4_3ELS4_3ELNS0_20block_scan_algorithmE0ELj4294967295EEENS1_25partition_config_selectorILNS1_17partition_subalgoE3EjNS0_10empty_typeEbEEZZNS1_14partition_implILS8_3ELb0ES6_jNS0_17counting_iteratorIjlEEPS9_SE_NS0_5tupleIJPjSE_EEENSF_IJSE_SE_EEES9_SG_JZNS1_25segmented_radix_sort_implINS0_14default_configELb1EPKhPhPKlPlN2at6native12_GLOBAL__N_18offset_tEEE10hipError_tPvRmT1_PNSt15iterator_traitsISY_E10value_typeET2_T3_PNSZ_IS14_E10value_typeET4_jRbjT5_S1A_jjP12ihipStream_tbEUljE_EEESV_SW_SX_S14_S18_S1A_T6_T7_T9_mT8_S1C_bDpT10_ENKUlT_T0_E_clISt17integral_constantIbLb1EES1P_EEDaS1K_S1L_EUlS1K_E_NS1_11comp_targetILNS1_3genE2ELNS1_11target_archE906ELNS1_3gpuE6ELNS1_3repE0EEENS1_30default_config_static_selectorELNS0_4arch9wavefront6targetE0EEEvSY_.uses_vcc, 0
	.set _ZN7rocprim17ROCPRIM_400000_NS6detail17trampoline_kernelINS0_13select_configILj256ELj13ELNS0_17block_load_methodE3ELS4_3ELS4_3ELNS0_20block_scan_algorithmE0ELj4294967295EEENS1_25partition_config_selectorILNS1_17partition_subalgoE3EjNS0_10empty_typeEbEEZZNS1_14partition_implILS8_3ELb0ES6_jNS0_17counting_iteratorIjlEEPS9_SE_NS0_5tupleIJPjSE_EEENSF_IJSE_SE_EEES9_SG_JZNS1_25segmented_radix_sort_implINS0_14default_configELb1EPKhPhPKlPlN2at6native12_GLOBAL__N_18offset_tEEE10hipError_tPvRmT1_PNSt15iterator_traitsISY_E10value_typeET2_T3_PNSZ_IS14_E10value_typeET4_jRbjT5_S1A_jjP12ihipStream_tbEUljE_EEESV_SW_SX_S14_S18_S1A_T6_T7_T9_mT8_S1C_bDpT10_ENKUlT_T0_E_clISt17integral_constantIbLb1EES1P_EEDaS1K_S1L_EUlS1K_E_NS1_11comp_targetILNS1_3genE2ELNS1_11target_archE906ELNS1_3gpuE6ELNS1_3repE0EEENS1_30default_config_static_selectorELNS0_4arch9wavefront6targetE0EEEvSY_.uses_flat_scratch, 0
	.set _ZN7rocprim17ROCPRIM_400000_NS6detail17trampoline_kernelINS0_13select_configILj256ELj13ELNS0_17block_load_methodE3ELS4_3ELS4_3ELNS0_20block_scan_algorithmE0ELj4294967295EEENS1_25partition_config_selectorILNS1_17partition_subalgoE3EjNS0_10empty_typeEbEEZZNS1_14partition_implILS8_3ELb0ES6_jNS0_17counting_iteratorIjlEEPS9_SE_NS0_5tupleIJPjSE_EEENSF_IJSE_SE_EEES9_SG_JZNS1_25segmented_radix_sort_implINS0_14default_configELb1EPKhPhPKlPlN2at6native12_GLOBAL__N_18offset_tEEE10hipError_tPvRmT1_PNSt15iterator_traitsISY_E10value_typeET2_T3_PNSZ_IS14_E10value_typeET4_jRbjT5_S1A_jjP12ihipStream_tbEUljE_EEESV_SW_SX_S14_S18_S1A_T6_T7_T9_mT8_S1C_bDpT10_ENKUlT_T0_E_clISt17integral_constantIbLb1EES1P_EEDaS1K_S1L_EUlS1K_E_NS1_11comp_targetILNS1_3genE2ELNS1_11target_archE906ELNS1_3gpuE6ELNS1_3repE0EEENS1_30default_config_static_selectorELNS0_4arch9wavefront6targetE0EEEvSY_.has_dyn_sized_stack, 0
	.set _ZN7rocprim17ROCPRIM_400000_NS6detail17trampoline_kernelINS0_13select_configILj256ELj13ELNS0_17block_load_methodE3ELS4_3ELS4_3ELNS0_20block_scan_algorithmE0ELj4294967295EEENS1_25partition_config_selectorILNS1_17partition_subalgoE3EjNS0_10empty_typeEbEEZZNS1_14partition_implILS8_3ELb0ES6_jNS0_17counting_iteratorIjlEEPS9_SE_NS0_5tupleIJPjSE_EEENSF_IJSE_SE_EEES9_SG_JZNS1_25segmented_radix_sort_implINS0_14default_configELb1EPKhPhPKlPlN2at6native12_GLOBAL__N_18offset_tEEE10hipError_tPvRmT1_PNSt15iterator_traitsISY_E10value_typeET2_T3_PNSZ_IS14_E10value_typeET4_jRbjT5_S1A_jjP12ihipStream_tbEUljE_EEESV_SW_SX_S14_S18_S1A_T6_T7_T9_mT8_S1C_bDpT10_ENKUlT_T0_E_clISt17integral_constantIbLb1EES1P_EEDaS1K_S1L_EUlS1K_E_NS1_11comp_targetILNS1_3genE2ELNS1_11target_archE906ELNS1_3gpuE6ELNS1_3repE0EEENS1_30default_config_static_selectorELNS0_4arch9wavefront6targetE0EEEvSY_.has_recursion, 0
	.set _ZN7rocprim17ROCPRIM_400000_NS6detail17trampoline_kernelINS0_13select_configILj256ELj13ELNS0_17block_load_methodE3ELS4_3ELS4_3ELNS0_20block_scan_algorithmE0ELj4294967295EEENS1_25partition_config_selectorILNS1_17partition_subalgoE3EjNS0_10empty_typeEbEEZZNS1_14partition_implILS8_3ELb0ES6_jNS0_17counting_iteratorIjlEEPS9_SE_NS0_5tupleIJPjSE_EEENSF_IJSE_SE_EEES9_SG_JZNS1_25segmented_radix_sort_implINS0_14default_configELb1EPKhPhPKlPlN2at6native12_GLOBAL__N_18offset_tEEE10hipError_tPvRmT1_PNSt15iterator_traitsISY_E10value_typeET2_T3_PNSZ_IS14_E10value_typeET4_jRbjT5_S1A_jjP12ihipStream_tbEUljE_EEESV_SW_SX_S14_S18_S1A_T6_T7_T9_mT8_S1C_bDpT10_ENKUlT_T0_E_clISt17integral_constantIbLb1EES1P_EEDaS1K_S1L_EUlS1K_E_NS1_11comp_targetILNS1_3genE2ELNS1_11target_archE906ELNS1_3gpuE6ELNS1_3repE0EEENS1_30default_config_static_selectorELNS0_4arch9wavefront6targetE0EEEvSY_.has_indirect_call, 0
	.section	.AMDGPU.csdata,"",@progbits
; Kernel info:
; codeLenInByte = 0
; TotalNumSgprs: 0
; NumVgprs: 0
; ScratchSize: 0
; MemoryBound: 0
; FloatMode: 240
; IeeeMode: 1
; LDSByteSize: 0 bytes/workgroup (compile time only)
; SGPRBlocks: 0
; VGPRBlocks: 0
; NumSGPRsForWavesPerEU: 1
; NumVGPRsForWavesPerEU: 1
; Occupancy: 16
; WaveLimiterHint : 0
; COMPUTE_PGM_RSRC2:SCRATCH_EN: 0
; COMPUTE_PGM_RSRC2:USER_SGPR: 2
; COMPUTE_PGM_RSRC2:TRAP_HANDLER: 0
; COMPUTE_PGM_RSRC2:TGID_X_EN: 1
; COMPUTE_PGM_RSRC2:TGID_Y_EN: 0
; COMPUTE_PGM_RSRC2:TGID_Z_EN: 0
; COMPUTE_PGM_RSRC2:TIDIG_COMP_CNT: 0
	.section	.text._ZN7rocprim17ROCPRIM_400000_NS6detail17trampoline_kernelINS0_13select_configILj256ELj13ELNS0_17block_load_methodE3ELS4_3ELS4_3ELNS0_20block_scan_algorithmE0ELj4294967295EEENS1_25partition_config_selectorILNS1_17partition_subalgoE3EjNS0_10empty_typeEbEEZZNS1_14partition_implILS8_3ELb0ES6_jNS0_17counting_iteratorIjlEEPS9_SE_NS0_5tupleIJPjSE_EEENSF_IJSE_SE_EEES9_SG_JZNS1_25segmented_radix_sort_implINS0_14default_configELb1EPKhPhPKlPlN2at6native12_GLOBAL__N_18offset_tEEE10hipError_tPvRmT1_PNSt15iterator_traitsISY_E10value_typeET2_T3_PNSZ_IS14_E10value_typeET4_jRbjT5_S1A_jjP12ihipStream_tbEUljE_EEESV_SW_SX_S14_S18_S1A_T6_T7_T9_mT8_S1C_bDpT10_ENKUlT_T0_E_clISt17integral_constantIbLb1EES1P_EEDaS1K_S1L_EUlS1K_E_NS1_11comp_targetILNS1_3genE10ELNS1_11target_archE1200ELNS1_3gpuE4ELNS1_3repE0EEENS1_30default_config_static_selectorELNS0_4arch9wavefront6targetE0EEEvSY_,"axG",@progbits,_ZN7rocprim17ROCPRIM_400000_NS6detail17trampoline_kernelINS0_13select_configILj256ELj13ELNS0_17block_load_methodE3ELS4_3ELS4_3ELNS0_20block_scan_algorithmE0ELj4294967295EEENS1_25partition_config_selectorILNS1_17partition_subalgoE3EjNS0_10empty_typeEbEEZZNS1_14partition_implILS8_3ELb0ES6_jNS0_17counting_iteratorIjlEEPS9_SE_NS0_5tupleIJPjSE_EEENSF_IJSE_SE_EEES9_SG_JZNS1_25segmented_radix_sort_implINS0_14default_configELb1EPKhPhPKlPlN2at6native12_GLOBAL__N_18offset_tEEE10hipError_tPvRmT1_PNSt15iterator_traitsISY_E10value_typeET2_T3_PNSZ_IS14_E10value_typeET4_jRbjT5_S1A_jjP12ihipStream_tbEUljE_EEESV_SW_SX_S14_S18_S1A_T6_T7_T9_mT8_S1C_bDpT10_ENKUlT_T0_E_clISt17integral_constantIbLb1EES1P_EEDaS1K_S1L_EUlS1K_E_NS1_11comp_targetILNS1_3genE10ELNS1_11target_archE1200ELNS1_3gpuE4ELNS1_3repE0EEENS1_30default_config_static_selectorELNS0_4arch9wavefront6targetE0EEEvSY_,comdat
	.globl	_ZN7rocprim17ROCPRIM_400000_NS6detail17trampoline_kernelINS0_13select_configILj256ELj13ELNS0_17block_load_methodE3ELS4_3ELS4_3ELNS0_20block_scan_algorithmE0ELj4294967295EEENS1_25partition_config_selectorILNS1_17partition_subalgoE3EjNS0_10empty_typeEbEEZZNS1_14partition_implILS8_3ELb0ES6_jNS0_17counting_iteratorIjlEEPS9_SE_NS0_5tupleIJPjSE_EEENSF_IJSE_SE_EEES9_SG_JZNS1_25segmented_radix_sort_implINS0_14default_configELb1EPKhPhPKlPlN2at6native12_GLOBAL__N_18offset_tEEE10hipError_tPvRmT1_PNSt15iterator_traitsISY_E10value_typeET2_T3_PNSZ_IS14_E10value_typeET4_jRbjT5_S1A_jjP12ihipStream_tbEUljE_EEESV_SW_SX_S14_S18_S1A_T6_T7_T9_mT8_S1C_bDpT10_ENKUlT_T0_E_clISt17integral_constantIbLb1EES1P_EEDaS1K_S1L_EUlS1K_E_NS1_11comp_targetILNS1_3genE10ELNS1_11target_archE1200ELNS1_3gpuE4ELNS1_3repE0EEENS1_30default_config_static_selectorELNS0_4arch9wavefront6targetE0EEEvSY_ ; -- Begin function _ZN7rocprim17ROCPRIM_400000_NS6detail17trampoline_kernelINS0_13select_configILj256ELj13ELNS0_17block_load_methodE3ELS4_3ELS4_3ELNS0_20block_scan_algorithmE0ELj4294967295EEENS1_25partition_config_selectorILNS1_17partition_subalgoE3EjNS0_10empty_typeEbEEZZNS1_14partition_implILS8_3ELb0ES6_jNS0_17counting_iteratorIjlEEPS9_SE_NS0_5tupleIJPjSE_EEENSF_IJSE_SE_EEES9_SG_JZNS1_25segmented_radix_sort_implINS0_14default_configELb1EPKhPhPKlPlN2at6native12_GLOBAL__N_18offset_tEEE10hipError_tPvRmT1_PNSt15iterator_traitsISY_E10value_typeET2_T3_PNSZ_IS14_E10value_typeET4_jRbjT5_S1A_jjP12ihipStream_tbEUljE_EEESV_SW_SX_S14_S18_S1A_T6_T7_T9_mT8_S1C_bDpT10_ENKUlT_T0_E_clISt17integral_constantIbLb1EES1P_EEDaS1K_S1L_EUlS1K_E_NS1_11comp_targetILNS1_3genE10ELNS1_11target_archE1200ELNS1_3gpuE4ELNS1_3repE0EEENS1_30default_config_static_selectorELNS0_4arch9wavefront6targetE0EEEvSY_
	.p2align	8
	.type	_ZN7rocprim17ROCPRIM_400000_NS6detail17trampoline_kernelINS0_13select_configILj256ELj13ELNS0_17block_load_methodE3ELS4_3ELS4_3ELNS0_20block_scan_algorithmE0ELj4294967295EEENS1_25partition_config_selectorILNS1_17partition_subalgoE3EjNS0_10empty_typeEbEEZZNS1_14partition_implILS8_3ELb0ES6_jNS0_17counting_iteratorIjlEEPS9_SE_NS0_5tupleIJPjSE_EEENSF_IJSE_SE_EEES9_SG_JZNS1_25segmented_radix_sort_implINS0_14default_configELb1EPKhPhPKlPlN2at6native12_GLOBAL__N_18offset_tEEE10hipError_tPvRmT1_PNSt15iterator_traitsISY_E10value_typeET2_T3_PNSZ_IS14_E10value_typeET4_jRbjT5_S1A_jjP12ihipStream_tbEUljE_EEESV_SW_SX_S14_S18_S1A_T6_T7_T9_mT8_S1C_bDpT10_ENKUlT_T0_E_clISt17integral_constantIbLb1EES1P_EEDaS1K_S1L_EUlS1K_E_NS1_11comp_targetILNS1_3genE10ELNS1_11target_archE1200ELNS1_3gpuE4ELNS1_3repE0EEENS1_30default_config_static_selectorELNS0_4arch9wavefront6targetE0EEEvSY_,@function
_ZN7rocprim17ROCPRIM_400000_NS6detail17trampoline_kernelINS0_13select_configILj256ELj13ELNS0_17block_load_methodE3ELS4_3ELS4_3ELNS0_20block_scan_algorithmE0ELj4294967295EEENS1_25partition_config_selectorILNS1_17partition_subalgoE3EjNS0_10empty_typeEbEEZZNS1_14partition_implILS8_3ELb0ES6_jNS0_17counting_iteratorIjlEEPS9_SE_NS0_5tupleIJPjSE_EEENSF_IJSE_SE_EEES9_SG_JZNS1_25segmented_radix_sort_implINS0_14default_configELb1EPKhPhPKlPlN2at6native12_GLOBAL__N_18offset_tEEE10hipError_tPvRmT1_PNSt15iterator_traitsISY_E10value_typeET2_T3_PNSZ_IS14_E10value_typeET4_jRbjT5_S1A_jjP12ihipStream_tbEUljE_EEESV_SW_SX_S14_S18_S1A_T6_T7_T9_mT8_S1C_bDpT10_ENKUlT_T0_E_clISt17integral_constantIbLb1EES1P_EEDaS1K_S1L_EUlS1K_E_NS1_11comp_targetILNS1_3genE10ELNS1_11target_archE1200ELNS1_3gpuE4ELNS1_3repE0EEENS1_30default_config_static_selectorELNS0_4arch9wavefront6targetE0EEEvSY_: ; @_ZN7rocprim17ROCPRIM_400000_NS6detail17trampoline_kernelINS0_13select_configILj256ELj13ELNS0_17block_load_methodE3ELS4_3ELS4_3ELNS0_20block_scan_algorithmE0ELj4294967295EEENS1_25partition_config_selectorILNS1_17partition_subalgoE3EjNS0_10empty_typeEbEEZZNS1_14partition_implILS8_3ELb0ES6_jNS0_17counting_iteratorIjlEEPS9_SE_NS0_5tupleIJPjSE_EEENSF_IJSE_SE_EEES9_SG_JZNS1_25segmented_radix_sort_implINS0_14default_configELb1EPKhPhPKlPlN2at6native12_GLOBAL__N_18offset_tEEE10hipError_tPvRmT1_PNSt15iterator_traitsISY_E10value_typeET2_T3_PNSZ_IS14_E10value_typeET4_jRbjT5_S1A_jjP12ihipStream_tbEUljE_EEESV_SW_SX_S14_S18_S1A_T6_T7_T9_mT8_S1C_bDpT10_ENKUlT_T0_E_clISt17integral_constantIbLb1EES1P_EEDaS1K_S1L_EUlS1K_E_NS1_11comp_targetILNS1_3genE10ELNS1_11target_archE1200ELNS1_3gpuE4ELNS1_3repE0EEENS1_30default_config_static_selectorELNS0_4arch9wavefront6targetE0EEEvSY_
; %bb.0:
	s_endpgm
	.section	.rodata,"a",@progbits
	.p2align	6, 0x0
	.amdhsa_kernel _ZN7rocprim17ROCPRIM_400000_NS6detail17trampoline_kernelINS0_13select_configILj256ELj13ELNS0_17block_load_methodE3ELS4_3ELS4_3ELNS0_20block_scan_algorithmE0ELj4294967295EEENS1_25partition_config_selectorILNS1_17partition_subalgoE3EjNS0_10empty_typeEbEEZZNS1_14partition_implILS8_3ELb0ES6_jNS0_17counting_iteratorIjlEEPS9_SE_NS0_5tupleIJPjSE_EEENSF_IJSE_SE_EEES9_SG_JZNS1_25segmented_radix_sort_implINS0_14default_configELb1EPKhPhPKlPlN2at6native12_GLOBAL__N_18offset_tEEE10hipError_tPvRmT1_PNSt15iterator_traitsISY_E10value_typeET2_T3_PNSZ_IS14_E10value_typeET4_jRbjT5_S1A_jjP12ihipStream_tbEUljE_EEESV_SW_SX_S14_S18_S1A_T6_T7_T9_mT8_S1C_bDpT10_ENKUlT_T0_E_clISt17integral_constantIbLb1EES1P_EEDaS1K_S1L_EUlS1K_E_NS1_11comp_targetILNS1_3genE10ELNS1_11target_archE1200ELNS1_3gpuE4ELNS1_3repE0EEENS1_30default_config_static_selectorELNS0_4arch9wavefront6targetE0EEEvSY_
		.amdhsa_group_segment_fixed_size 0
		.amdhsa_private_segment_fixed_size 0
		.amdhsa_kernarg_size 152
		.amdhsa_user_sgpr_count 2
		.amdhsa_user_sgpr_dispatch_ptr 0
		.amdhsa_user_sgpr_queue_ptr 0
		.amdhsa_user_sgpr_kernarg_segment_ptr 1
		.amdhsa_user_sgpr_dispatch_id 0
		.amdhsa_user_sgpr_private_segment_size 0
		.amdhsa_wavefront_size32 1
		.amdhsa_uses_dynamic_stack 0
		.amdhsa_enable_private_segment 0
		.amdhsa_system_sgpr_workgroup_id_x 1
		.amdhsa_system_sgpr_workgroup_id_y 0
		.amdhsa_system_sgpr_workgroup_id_z 0
		.amdhsa_system_sgpr_workgroup_info 0
		.amdhsa_system_vgpr_workitem_id 0
		.amdhsa_next_free_vgpr 1
		.amdhsa_next_free_sgpr 1
		.amdhsa_reserve_vcc 0
		.amdhsa_float_round_mode_32 0
		.amdhsa_float_round_mode_16_64 0
		.amdhsa_float_denorm_mode_32 3
		.amdhsa_float_denorm_mode_16_64 3
		.amdhsa_fp16_overflow 0
		.amdhsa_workgroup_processor_mode 1
		.amdhsa_memory_ordered 1
		.amdhsa_forward_progress 1
		.amdhsa_inst_pref_size 1
		.amdhsa_round_robin_scheduling 0
		.amdhsa_exception_fp_ieee_invalid_op 0
		.amdhsa_exception_fp_denorm_src 0
		.amdhsa_exception_fp_ieee_div_zero 0
		.amdhsa_exception_fp_ieee_overflow 0
		.amdhsa_exception_fp_ieee_underflow 0
		.amdhsa_exception_fp_ieee_inexact 0
		.amdhsa_exception_int_div_zero 0
	.end_amdhsa_kernel
	.section	.text._ZN7rocprim17ROCPRIM_400000_NS6detail17trampoline_kernelINS0_13select_configILj256ELj13ELNS0_17block_load_methodE3ELS4_3ELS4_3ELNS0_20block_scan_algorithmE0ELj4294967295EEENS1_25partition_config_selectorILNS1_17partition_subalgoE3EjNS0_10empty_typeEbEEZZNS1_14partition_implILS8_3ELb0ES6_jNS0_17counting_iteratorIjlEEPS9_SE_NS0_5tupleIJPjSE_EEENSF_IJSE_SE_EEES9_SG_JZNS1_25segmented_radix_sort_implINS0_14default_configELb1EPKhPhPKlPlN2at6native12_GLOBAL__N_18offset_tEEE10hipError_tPvRmT1_PNSt15iterator_traitsISY_E10value_typeET2_T3_PNSZ_IS14_E10value_typeET4_jRbjT5_S1A_jjP12ihipStream_tbEUljE_EEESV_SW_SX_S14_S18_S1A_T6_T7_T9_mT8_S1C_bDpT10_ENKUlT_T0_E_clISt17integral_constantIbLb1EES1P_EEDaS1K_S1L_EUlS1K_E_NS1_11comp_targetILNS1_3genE10ELNS1_11target_archE1200ELNS1_3gpuE4ELNS1_3repE0EEENS1_30default_config_static_selectorELNS0_4arch9wavefront6targetE0EEEvSY_,"axG",@progbits,_ZN7rocprim17ROCPRIM_400000_NS6detail17trampoline_kernelINS0_13select_configILj256ELj13ELNS0_17block_load_methodE3ELS4_3ELS4_3ELNS0_20block_scan_algorithmE0ELj4294967295EEENS1_25partition_config_selectorILNS1_17partition_subalgoE3EjNS0_10empty_typeEbEEZZNS1_14partition_implILS8_3ELb0ES6_jNS0_17counting_iteratorIjlEEPS9_SE_NS0_5tupleIJPjSE_EEENSF_IJSE_SE_EEES9_SG_JZNS1_25segmented_radix_sort_implINS0_14default_configELb1EPKhPhPKlPlN2at6native12_GLOBAL__N_18offset_tEEE10hipError_tPvRmT1_PNSt15iterator_traitsISY_E10value_typeET2_T3_PNSZ_IS14_E10value_typeET4_jRbjT5_S1A_jjP12ihipStream_tbEUljE_EEESV_SW_SX_S14_S18_S1A_T6_T7_T9_mT8_S1C_bDpT10_ENKUlT_T0_E_clISt17integral_constantIbLb1EES1P_EEDaS1K_S1L_EUlS1K_E_NS1_11comp_targetILNS1_3genE10ELNS1_11target_archE1200ELNS1_3gpuE4ELNS1_3repE0EEENS1_30default_config_static_selectorELNS0_4arch9wavefront6targetE0EEEvSY_,comdat
.Lfunc_end62:
	.size	_ZN7rocprim17ROCPRIM_400000_NS6detail17trampoline_kernelINS0_13select_configILj256ELj13ELNS0_17block_load_methodE3ELS4_3ELS4_3ELNS0_20block_scan_algorithmE0ELj4294967295EEENS1_25partition_config_selectorILNS1_17partition_subalgoE3EjNS0_10empty_typeEbEEZZNS1_14partition_implILS8_3ELb0ES6_jNS0_17counting_iteratorIjlEEPS9_SE_NS0_5tupleIJPjSE_EEENSF_IJSE_SE_EEES9_SG_JZNS1_25segmented_radix_sort_implINS0_14default_configELb1EPKhPhPKlPlN2at6native12_GLOBAL__N_18offset_tEEE10hipError_tPvRmT1_PNSt15iterator_traitsISY_E10value_typeET2_T3_PNSZ_IS14_E10value_typeET4_jRbjT5_S1A_jjP12ihipStream_tbEUljE_EEESV_SW_SX_S14_S18_S1A_T6_T7_T9_mT8_S1C_bDpT10_ENKUlT_T0_E_clISt17integral_constantIbLb1EES1P_EEDaS1K_S1L_EUlS1K_E_NS1_11comp_targetILNS1_3genE10ELNS1_11target_archE1200ELNS1_3gpuE4ELNS1_3repE0EEENS1_30default_config_static_selectorELNS0_4arch9wavefront6targetE0EEEvSY_, .Lfunc_end62-_ZN7rocprim17ROCPRIM_400000_NS6detail17trampoline_kernelINS0_13select_configILj256ELj13ELNS0_17block_load_methodE3ELS4_3ELS4_3ELNS0_20block_scan_algorithmE0ELj4294967295EEENS1_25partition_config_selectorILNS1_17partition_subalgoE3EjNS0_10empty_typeEbEEZZNS1_14partition_implILS8_3ELb0ES6_jNS0_17counting_iteratorIjlEEPS9_SE_NS0_5tupleIJPjSE_EEENSF_IJSE_SE_EEES9_SG_JZNS1_25segmented_radix_sort_implINS0_14default_configELb1EPKhPhPKlPlN2at6native12_GLOBAL__N_18offset_tEEE10hipError_tPvRmT1_PNSt15iterator_traitsISY_E10value_typeET2_T3_PNSZ_IS14_E10value_typeET4_jRbjT5_S1A_jjP12ihipStream_tbEUljE_EEESV_SW_SX_S14_S18_S1A_T6_T7_T9_mT8_S1C_bDpT10_ENKUlT_T0_E_clISt17integral_constantIbLb1EES1P_EEDaS1K_S1L_EUlS1K_E_NS1_11comp_targetILNS1_3genE10ELNS1_11target_archE1200ELNS1_3gpuE4ELNS1_3repE0EEENS1_30default_config_static_selectorELNS0_4arch9wavefront6targetE0EEEvSY_
                                        ; -- End function
	.set _ZN7rocprim17ROCPRIM_400000_NS6detail17trampoline_kernelINS0_13select_configILj256ELj13ELNS0_17block_load_methodE3ELS4_3ELS4_3ELNS0_20block_scan_algorithmE0ELj4294967295EEENS1_25partition_config_selectorILNS1_17partition_subalgoE3EjNS0_10empty_typeEbEEZZNS1_14partition_implILS8_3ELb0ES6_jNS0_17counting_iteratorIjlEEPS9_SE_NS0_5tupleIJPjSE_EEENSF_IJSE_SE_EEES9_SG_JZNS1_25segmented_radix_sort_implINS0_14default_configELb1EPKhPhPKlPlN2at6native12_GLOBAL__N_18offset_tEEE10hipError_tPvRmT1_PNSt15iterator_traitsISY_E10value_typeET2_T3_PNSZ_IS14_E10value_typeET4_jRbjT5_S1A_jjP12ihipStream_tbEUljE_EEESV_SW_SX_S14_S18_S1A_T6_T7_T9_mT8_S1C_bDpT10_ENKUlT_T0_E_clISt17integral_constantIbLb1EES1P_EEDaS1K_S1L_EUlS1K_E_NS1_11comp_targetILNS1_3genE10ELNS1_11target_archE1200ELNS1_3gpuE4ELNS1_3repE0EEENS1_30default_config_static_selectorELNS0_4arch9wavefront6targetE0EEEvSY_.num_vgpr, 0
	.set _ZN7rocprim17ROCPRIM_400000_NS6detail17trampoline_kernelINS0_13select_configILj256ELj13ELNS0_17block_load_methodE3ELS4_3ELS4_3ELNS0_20block_scan_algorithmE0ELj4294967295EEENS1_25partition_config_selectorILNS1_17partition_subalgoE3EjNS0_10empty_typeEbEEZZNS1_14partition_implILS8_3ELb0ES6_jNS0_17counting_iteratorIjlEEPS9_SE_NS0_5tupleIJPjSE_EEENSF_IJSE_SE_EEES9_SG_JZNS1_25segmented_radix_sort_implINS0_14default_configELb1EPKhPhPKlPlN2at6native12_GLOBAL__N_18offset_tEEE10hipError_tPvRmT1_PNSt15iterator_traitsISY_E10value_typeET2_T3_PNSZ_IS14_E10value_typeET4_jRbjT5_S1A_jjP12ihipStream_tbEUljE_EEESV_SW_SX_S14_S18_S1A_T6_T7_T9_mT8_S1C_bDpT10_ENKUlT_T0_E_clISt17integral_constantIbLb1EES1P_EEDaS1K_S1L_EUlS1K_E_NS1_11comp_targetILNS1_3genE10ELNS1_11target_archE1200ELNS1_3gpuE4ELNS1_3repE0EEENS1_30default_config_static_selectorELNS0_4arch9wavefront6targetE0EEEvSY_.num_agpr, 0
	.set _ZN7rocprim17ROCPRIM_400000_NS6detail17trampoline_kernelINS0_13select_configILj256ELj13ELNS0_17block_load_methodE3ELS4_3ELS4_3ELNS0_20block_scan_algorithmE0ELj4294967295EEENS1_25partition_config_selectorILNS1_17partition_subalgoE3EjNS0_10empty_typeEbEEZZNS1_14partition_implILS8_3ELb0ES6_jNS0_17counting_iteratorIjlEEPS9_SE_NS0_5tupleIJPjSE_EEENSF_IJSE_SE_EEES9_SG_JZNS1_25segmented_radix_sort_implINS0_14default_configELb1EPKhPhPKlPlN2at6native12_GLOBAL__N_18offset_tEEE10hipError_tPvRmT1_PNSt15iterator_traitsISY_E10value_typeET2_T3_PNSZ_IS14_E10value_typeET4_jRbjT5_S1A_jjP12ihipStream_tbEUljE_EEESV_SW_SX_S14_S18_S1A_T6_T7_T9_mT8_S1C_bDpT10_ENKUlT_T0_E_clISt17integral_constantIbLb1EES1P_EEDaS1K_S1L_EUlS1K_E_NS1_11comp_targetILNS1_3genE10ELNS1_11target_archE1200ELNS1_3gpuE4ELNS1_3repE0EEENS1_30default_config_static_selectorELNS0_4arch9wavefront6targetE0EEEvSY_.numbered_sgpr, 0
	.set _ZN7rocprim17ROCPRIM_400000_NS6detail17trampoline_kernelINS0_13select_configILj256ELj13ELNS0_17block_load_methodE3ELS4_3ELS4_3ELNS0_20block_scan_algorithmE0ELj4294967295EEENS1_25partition_config_selectorILNS1_17partition_subalgoE3EjNS0_10empty_typeEbEEZZNS1_14partition_implILS8_3ELb0ES6_jNS0_17counting_iteratorIjlEEPS9_SE_NS0_5tupleIJPjSE_EEENSF_IJSE_SE_EEES9_SG_JZNS1_25segmented_radix_sort_implINS0_14default_configELb1EPKhPhPKlPlN2at6native12_GLOBAL__N_18offset_tEEE10hipError_tPvRmT1_PNSt15iterator_traitsISY_E10value_typeET2_T3_PNSZ_IS14_E10value_typeET4_jRbjT5_S1A_jjP12ihipStream_tbEUljE_EEESV_SW_SX_S14_S18_S1A_T6_T7_T9_mT8_S1C_bDpT10_ENKUlT_T0_E_clISt17integral_constantIbLb1EES1P_EEDaS1K_S1L_EUlS1K_E_NS1_11comp_targetILNS1_3genE10ELNS1_11target_archE1200ELNS1_3gpuE4ELNS1_3repE0EEENS1_30default_config_static_selectorELNS0_4arch9wavefront6targetE0EEEvSY_.num_named_barrier, 0
	.set _ZN7rocprim17ROCPRIM_400000_NS6detail17trampoline_kernelINS0_13select_configILj256ELj13ELNS0_17block_load_methodE3ELS4_3ELS4_3ELNS0_20block_scan_algorithmE0ELj4294967295EEENS1_25partition_config_selectorILNS1_17partition_subalgoE3EjNS0_10empty_typeEbEEZZNS1_14partition_implILS8_3ELb0ES6_jNS0_17counting_iteratorIjlEEPS9_SE_NS0_5tupleIJPjSE_EEENSF_IJSE_SE_EEES9_SG_JZNS1_25segmented_radix_sort_implINS0_14default_configELb1EPKhPhPKlPlN2at6native12_GLOBAL__N_18offset_tEEE10hipError_tPvRmT1_PNSt15iterator_traitsISY_E10value_typeET2_T3_PNSZ_IS14_E10value_typeET4_jRbjT5_S1A_jjP12ihipStream_tbEUljE_EEESV_SW_SX_S14_S18_S1A_T6_T7_T9_mT8_S1C_bDpT10_ENKUlT_T0_E_clISt17integral_constantIbLb1EES1P_EEDaS1K_S1L_EUlS1K_E_NS1_11comp_targetILNS1_3genE10ELNS1_11target_archE1200ELNS1_3gpuE4ELNS1_3repE0EEENS1_30default_config_static_selectorELNS0_4arch9wavefront6targetE0EEEvSY_.private_seg_size, 0
	.set _ZN7rocprim17ROCPRIM_400000_NS6detail17trampoline_kernelINS0_13select_configILj256ELj13ELNS0_17block_load_methodE3ELS4_3ELS4_3ELNS0_20block_scan_algorithmE0ELj4294967295EEENS1_25partition_config_selectorILNS1_17partition_subalgoE3EjNS0_10empty_typeEbEEZZNS1_14partition_implILS8_3ELb0ES6_jNS0_17counting_iteratorIjlEEPS9_SE_NS0_5tupleIJPjSE_EEENSF_IJSE_SE_EEES9_SG_JZNS1_25segmented_radix_sort_implINS0_14default_configELb1EPKhPhPKlPlN2at6native12_GLOBAL__N_18offset_tEEE10hipError_tPvRmT1_PNSt15iterator_traitsISY_E10value_typeET2_T3_PNSZ_IS14_E10value_typeET4_jRbjT5_S1A_jjP12ihipStream_tbEUljE_EEESV_SW_SX_S14_S18_S1A_T6_T7_T9_mT8_S1C_bDpT10_ENKUlT_T0_E_clISt17integral_constantIbLb1EES1P_EEDaS1K_S1L_EUlS1K_E_NS1_11comp_targetILNS1_3genE10ELNS1_11target_archE1200ELNS1_3gpuE4ELNS1_3repE0EEENS1_30default_config_static_selectorELNS0_4arch9wavefront6targetE0EEEvSY_.uses_vcc, 0
	.set _ZN7rocprim17ROCPRIM_400000_NS6detail17trampoline_kernelINS0_13select_configILj256ELj13ELNS0_17block_load_methodE3ELS4_3ELS4_3ELNS0_20block_scan_algorithmE0ELj4294967295EEENS1_25partition_config_selectorILNS1_17partition_subalgoE3EjNS0_10empty_typeEbEEZZNS1_14partition_implILS8_3ELb0ES6_jNS0_17counting_iteratorIjlEEPS9_SE_NS0_5tupleIJPjSE_EEENSF_IJSE_SE_EEES9_SG_JZNS1_25segmented_radix_sort_implINS0_14default_configELb1EPKhPhPKlPlN2at6native12_GLOBAL__N_18offset_tEEE10hipError_tPvRmT1_PNSt15iterator_traitsISY_E10value_typeET2_T3_PNSZ_IS14_E10value_typeET4_jRbjT5_S1A_jjP12ihipStream_tbEUljE_EEESV_SW_SX_S14_S18_S1A_T6_T7_T9_mT8_S1C_bDpT10_ENKUlT_T0_E_clISt17integral_constantIbLb1EES1P_EEDaS1K_S1L_EUlS1K_E_NS1_11comp_targetILNS1_3genE10ELNS1_11target_archE1200ELNS1_3gpuE4ELNS1_3repE0EEENS1_30default_config_static_selectorELNS0_4arch9wavefront6targetE0EEEvSY_.uses_flat_scratch, 0
	.set _ZN7rocprim17ROCPRIM_400000_NS6detail17trampoline_kernelINS0_13select_configILj256ELj13ELNS0_17block_load_methodE3ELS4_3ELS4_3ELNS0_20block_scan_algorithmE0ELj4294967295EEENS1_25partition_config_selectorILNS1_17partition_subalgoE3EjNS0_10empty_typeEbEEZZNS1_14partition_implILS8_3ELb0ES6_jNS0_17counting_iteratorIjlEEPS9_SE_NS0_5tupleIJPjSE_EEENSF_IJSE_SE_EEES9_SG_JZNS1_25segmented_radix_sort_implINS0_14default_configELb1EPKhPhPKlPlN2at6native12_GLOBAL__N_18offset_tEEE10hipError_tPvRmT1_PNSt15iterator_traitsISY_E10value_typeET2_T3_PNSZ_IS14_E10value_typeET4_jRbjT5_S1A_jjP12ihipStream_tbEUljE_EEESV_SW_SX_S14_S18_S1A_T6_T7_T9_mT8_S1C_bDpT10_ENKUlT_T0_E_clISt17integral_constantIbLb1EES1P_EEDaS1K_S1L_EUlS1K_E_NS1_11comp_targetILNS1_3genE10ELNS1_11target_archE1200ELNS1_3gpuE4ELNS1_3repE0EEENS1_30default_config_static_selectorELNS0_4arch9wavefront6targetE0EEEvSY_.has_dyn_sized_stack, 0
	.set _ZN7rocprim17ROCPRIM_400000_NS6detail17trampoline_kernelINS0_13select_configILj256ELj13ELNS0_17block_load_methodE3ELS4_3ELS4_3ELNS0_20block_scan_algorithmE0ELj4294967295EEENS1_25partition_config_selectorILNS1_17partition_subalgoE3EjNS0_10empty_typeEbEEZZNS1_14partition_implILS8_3ELb0ES6_jNS0_17counting_iteratorIjlEEPS9_SE_NS0_5tupleIJPjSE_EEENSF_IJSE_SE_EEES9_SG_JZNS1_25segmented_radix_sort_implINS0_14default_configELb1EPKhPhPKlPlN2at6native12_GLOBAL__N_18offset_tEEE10hipError_tPvRmT1_PNSt15iterator_traitsISY_E10value_typeET2_T3_PNSZ_IS14_E10value_typeET4_jRbjT5_S1A_jjP12ihipStream_tbEUljE_EEESV_SW_SX_S14_S18_S1A_T6_T7_T9_mT8_S1C_bDpT10_ENKUlT_T0_E_clISt17integral_constantIbLb1EES1P_EEDaS1K_S1L_EUlS1K_E_NS1_11comp_targetILNS1_3genE10ELNS1_11target_archE1200ELNS1_3gpuE4ELNS1_3repE0EEENS1_30default_config_static_selectorELNS0_4arch9wavefront6targetE0EEEvSY_.has_recursion, 0
	.set _ZN7rocprim17ROCPRIM_400000_NS6detail17trampoline_kernelINS0_13select_configILj256ELj13ELNS0_17block_load_methodE3ELS4_3ELS4_3ELNS0_20block_scan_algorithmE0ELj4294967295EEENS1_25partition_config_selectorILNS1_17partition_subalgoE3EjNS0_10empty_typeEbEEZZNS1_14partition_implILS8_3ELb0ES6_jNS0_17counting_iteratorIjlEEPS9_SE_NS0_5tupleIJPjSE_EEENSF_IJSE_SE_EEES9_SG_JZNS1_25segmented_radix_sort_implINS0_14default_configELb1EPKhPhPKlPlN2at6native12_GLOBAL__N_18offset_tEEE10hipError_tPvRmT1_PNSt15iterator_traitsISY_E10value_typeET2_T3_PNSZ_IS14_E10value_typeET4_jRbjT5_S1A_jjP12ihipStream_tbEUljE_EEESV_SW_SX_S14_S18_S1A_T6_T7_T9_mT8_S1C_bDpT10_ENKUlT_T0_E_clISt17integral_constantIbLb1EES1P_EEDaS1K_S1L_EUlS1K_E_NS1_11comp_targetILNS1_3genE10ELNS1_11target_archE1200ELNS1_3gpuE4ELNS1_3repE0EEENS1_30default_config_static_selectorELNS0_4arch9wavefront6targetE0EEEvSY_.has_indirect_call, 0
	.section	.AMDGPU.csdata,"",@progbits
; Kernel info:
; codeLenInByte = 4
; TotalNumSgprs: 0
; NumVgprs: 0
; ScratchSize: 0
; MemoryBound: 0
; FloatMode: 240
; IeeeMode: 1
; LDSByteSize: 0 bytes/workgroup (compile time only)
; SGPRBlocks: 0
; VGPRBlocks: 0
; NumSGPRsForWavesPerEU: 1
; NumVGPRsForWavesPerEU: 1
; Occupancy: 16
; WaveLimiterHint : 0
; COMPUTE_PGM_RSRC2:SCRATCH_EN: 0
; COMPUTE_PGM_RSRC2:USER_SGPR: 2
; COMPUTE_PGM_RSRC2:TRAP_HANDLER: 0
; COMPUTE_PGM_RSRC2:TGID_X_EN: 1
; COMPUTE_PGM_RSRC2:TGID_Y_EN: 0
; COMPUTE_PGM_RSRC2:TGID_Z_EN: 0
; COMPUTE_PGM_RSRC2:TIDIG_COMP_CNT: 0
	.section	.text._ZN7rocprim17ROCPRIM_400000_NS6detail17trampoline_kernelINS0_13select_configILj256ELj13ELNS0_17block_load_methodE3ELS4_3ELS4_3ELNS0_20block_scan_algorithmE0ELj4294967295EEENS1_25partition_config_selectorILNS1_17partition_subalgoE3EjNS0_10empty_typeEbEEZZNS1_14partition_implILS8_3ELb0ES6_jNS0_17counting_iteratorIjlEEPS9_SE_NS0_5tupleIJPjSE_EEENSF_IJSE_SE_EEES9_SG_JZNS1_25segmented_radix_sort_implINS0_14default_configELb1EPKhPhPKlPlN2at6native12_GLOBAL__N_18offset_tEEE10hipError_tPvRmT1_PNSt15iterator_traitsISY_E10value_typeET2_T3_PNSZ_IS14_E10value_typeET4_jRbjT5_S1A_jjP12ihipStream_tbEUljE_EEESV_SW_SX_S14_S18_S1A_T6_T7_T9_mT8_S1C_bDpT10_ENKUlT_T0_E_clISt17integral_constantIbLb1EES1P_EEDaS1K_S1L_EUlS1K_E_NS1_11comp_targetILNS1_3genE9ELNS1_11target_archE1100ELNS1_3gpuE3ELNS1_3repE0EEENS1_30default_config_static_selectorELNS0_4arch9wavefront6targetE0EEEvSY_,"axG",@progbits,_ZN7rocprim17ROCPRIM_400000_NS6detail17trampoline_kernelINS0_13select_configILj256ELj13ELNS0_17block_load_methodE3ELS4_3ELS4_3ELNS0_20block_scan_algorithmE0ELj4294967295EEENS1_25partition_config_selectorILNS1_17partition_subalgoE3EjNS0_10empty_typeEbEEZZNS1_14partition_implILS8_3ELb0ES6_jNS0_17counting_iteratorIjlEEPS9_SE_NS0_5tupleIJPjSE_EEENSF_IJSE_SE_EEES9_SG_JZNS1_25segmented_radix_sort_implINS0_14default_configELb1EPKhPhPKlPlN2at6native12_GLOBAL__N_18offset_tEEE10hipError_tPvRmT1_PNSt15iterator_traitsISY_E10value_typeET2_T3_PNSZ_IS14_E10value_typeET4_jRbjT5_S1A_jjP12ihipStream_tbEUljE_EEESV_SW_SX_S14_S18_S1A_T6_T7_T9_mT8_S1C_bDpT10_ENKUlT_T0_E_clISt17integral_constantIbLb1EES1P_EEDaS1K_S1L_EUlS1K_E_NS1_11comp_targetILNS1_3genE9ELNS1_11target_archE1100ELNS1_3gpuE3ELNS1_3repE0EEENS1_30default_config_static_selectorELNS0_4arch9wavefront6targetE0EEEvSY_,comdat
	.globl	_ZN7rocprim17ROCPRIM_400000_NS6detail17trampoline_kernelINS0_13select_configILj256ELj13ELNS0_17block_load_methodE3ELS4_3ELS4_3ELNS0_20block_scan_algorithmE0ELj4294967295EEENS1_25partition_config_selectorILNS1_17partition_subalgoE3EjNS0_10empty_typeEbEEZZNS1_14partition_implILS8_3ELb0ES6_jNS0_17counting_iteratorIjlEEPS9_SE_NS0_5tupleIJPjSE_EEENSF_IJSE_SE_EEES9_SG_JZNS1_25segmented_radix_sort_implINS0_14default_configELb1EPKhPhPKlPlN2at6native12_GLOBAL__N_18offset_tEEE10hipError_tPvRmT1_PNSt15iterator_traitsISY_E10value_typeET2_T3_PNSZ_IS14_E10value_typeET4_jRbjT5_S1A_jjP12ihipStream_tbEUljE_EEESV_SW_SX_S14_S18_S1A_T6_T7_T9_mT8_S1C_bDpT10_ENKUlT_T0_E_clISt17integral_constantIbLb1EES1P_EEDaS1K_S1L_EUlS1K_E_NS1_11comp_targetILNS1_3genE9ELNS1_11target_archE1100ELNS1_3gpuE3ELNS1_3repE0EEENS1_30default_config_static_selectorELNS0_4arch9wavefront6targetE0EEEvSY_ ; -- Begin function _ZN7rocprim17ROCPRIM_400000_NS6detail17trampoline_kernelINS0_13select_configILj256ELj13ELNS0_17block_load_methodE3ELS4_3ELS4_3ELNS0_20block_scan_algorithmE0ELj4294967295EEENS1_25partition_config_selectorILNS1_17partition_subalgoE3EjNS0_10empty_typeEbEEZZNS1_14partition_implILS8_3ELb0ES6_jNS0_17counting_iteratorIjlEEPS9_SE_NS0_5tupleIJPjSE_EEENSF_IJSE_SE_EEES9_SG_JZNS1_25segmented_radix_sort_implINS0_14default_configELb1EPKhPhPKlPlN2at6native12_GLOBAL__N_18offset_tEEE10hipError_tPvRmT1_PNSt15iterator_traitsISY_E10value_typeET2_T3_PNSZ_IS14_E10value_typeET4_jRbjT5_S1A_jjP12ihipStream_tbEUljE_EEESV_SW_SX_S14_S18_S1A_T6_T7_T9_mT8_S1C_bDpT10_ENKUlT_T0_E_clISt17integral_constantIbLb1EES1P_EEDaS1K_S1L_EUlS1K_E_NS1_11comp_targetILNS1_3genE9ELNS1_11target_archE1100ELNS1_3gpuE3ELNS1_3repE0EEENS1_30default_config_static_selectorELNS0_4arch9wavefront6targetE0EEEvSY_
	.p2align	8
	.type	_ZN7rocprim17ROCPRIM_400000_NS6detail17trampoline_kernelINS0_13select_configILj256ELj13ELNS0_17block_load_methodE3ELS4_3ELS4_3ELNS0_20block_scan_algorithmE0ELj4294967295EEENS1_25partition_config_selectorILNS1_17partition_subalgoE3EjNS0_10empty_typeEbEEZZNS1_14partition_implILS8_3ELb0ES6_jNS0_17counting_iteratorIjlEEPS9_SE_NS0_5tupleIJPjSE_EEENSF_IJSE_SE_EEES9_SG_JZNS1_25segmented_radix_sort_implINS0_14default_configELb1EPKhPhPKlPlN2at6native12_GLOBAL__N_18offset_tEEE10hipError_tPvRmT1_PNSt15iterator_traitsISY_E10value_typeET2_T3_PNSZ_IS14_E10value_typeET4_jRbjT5_S1A_jjP12ihipStream_tbEUljE_EEESV_SW_SX_S14_S18_S1A_T6_T7_T9_mT8_S1C_bDpT10_ENKUlT_T0_E_clISt17integral_constantIbLb1EES1P_EEDaS1K_S1L_EUlS1K_E_NS1_11comp_targetILNS1_3genE9ELNS1_11target_archE1100ELNS1_3gpuE3ELNS1_3repE0EEENS1_30default_config_static_selectorELNS0_4arch9wavefront6targetE0EEEvSY_,@function
_ZN7rocprim17ROCPRIM_400000_NS6detail17trampoline_kernelINS0_13select_configILj256ELj13ELNS0_17block_load_methodE3ELS4_3ELS4_3ELNS0_20block_scan_algorithmE0ELj4294967295EEENS1_25partition_config_selectorILNS1_17partition_subalgoE3EjNS0_10empty_typeEbEEZZNS1_14partition_implILS8_3ELb0ES6_jNS0_17counting_iteratorIjlEEPS9_SE_NS0_5tupleIJPjSE_EEENSF_IJSE_SE_EEES9_SG_JZNS1_25segmented_radix_sort_implINS0_14default_configELb1EPKhPhPKlPlN2at6native12_GLOBAL__N_18offset_tEEE10hipError_tPvRmT1_PNSt15iterator_traitsISY_E10value_typeET2_T3_PNSZ_IS14_E10value_typeET4_jRbjT5_S1A_jjP12ihipStream_tbEUljE_EEESV_SW_SX_S14_S18_S1A_T6_T7_T9_mT8_S1C_bDpT10_ENKUlT_T0_E_clISt17integral_constantIbLb1EES1P_EEDaS1K_S1L_EUlS1K_E_NS1_11comp_targetILNS1_3genE9ELNS1_11target_archE1100ELNS1_3gpuE3ELNS1_3repE0EEENS1_30default_config_static_selectorELNS0_4arch9wavefront6targetE0EEEvSY_: ; @_ZN7rocprim17ROCPRIM_400000_NS6detail17trampoline_kernelINS0_13select_configILj256ELj13ELNS0_17block_load_methodE3ELS4_3ELS4_3ELNS0_20block_scan_algorithmE0ELj4294967295EEENS1_25partition_config_selectorILNS1_17partition_subalgoE3EjNS0_10empty_typeEbEEZZNS1_14partition_implILS8_3ELb0ES6_jNS0_17counting_iteratorIjlEEPS9_SE_NS0_5tupleIJPjSE_EEENSF_IJSE_SE_EEES9_SG_JZNS1_25segmented_radix_sort_implINS0_14default_configELb1EPKhPhPKlPlN2at6native12_GLOBAL__N_18offset_tEEE10hipError_tPvRmT1_PNSt15iterator_traitsISY_E10value_typeET2_T3_PNSZ_IS14_E10value_typeET4_jRbjT5_S1A_jjP12ihipStream_tbEUljE_EEESV_SW_SX_S14_S18_S1A_T6_T7_T9_mT8_S1C_bDpT10_ENKUlT_T0_E_clISt17integral_constantIbLb1EES1P_EEDaS1K_S1L_EUlS1K_E_NS1_11comp_targetILNS1_3genE9ELNS1_11target_archE1100ELNS1_3gpuE3ELNS1_3repE0EEENS1_30default_config_static_selectorELNS0_4arch9wavefront6targetE0EEEvSY_
; %bb.0:
	.section	.rodata,"a",@progbits
	.p2align	6, 0x0
	.amdhsa_kernel _ZN7rocprim17ROCPRIM_400000_NS6detail17trampoline_kernelINS0_13select_configILj256ELj13ELNS0_17block_load_methodE3ELS4_3ELS4_3ELNS0_20block_scan_algorithmE0ELj4294967295EEENS1_25partition_config_selectorILNS1_17partition_subalgoE3EjNS0_10empty_typeEbEEZZNS1_14partition_implILS8_3ELb0ES6_jNS0_17counting_iteratorIjlEEPS9_SE_NS0_5tupleIJPjSE_EEENSF_IJSE_SE_EEES9_SG_JZNS1_25segmented_radix_sort_implINS0_14default_configELb1EPKhPhPKlPlN2at6native12_GLOBAL__N_18offset_tEEE10hipError_tPvRmT1_PNSt15iterator_traitsISY_E10value_typeET2_T3_PNSZ_IS14_E10value_typeET4_jRbjT5_S1A_jjP12ihipStream_tbEUljE_EEESV_SW_SX_S14_S18_S1A_T6_T7_T9_mT8_S1C_bDpT10_ENKUlT_T0_E_clISt17integral_constantIbLb1EES1P_EEDaS1K_S1L_EUlS1K_E_NS1_11comp_targetILNS1_3genE9ELNS1_11target_archE1100ELNS1_3gpuE3ELNS1_3repE0EEENS1_30default_config_static_selectorELNS0_4arch9wavefront6targetE0EEEvSY_
		.amdhsa_group_segment_fixed_size 0
		.amdhsa_private_segment_fixed_size 0
		.amdhsa_kernarg_size 152
		.amdhsa_user_sgpr_count 2
		.amdhsa_user_sgpr_dispatch_ptr 0
		.amdhsa_user_sgpr_queue_ptr 0
		.amdhsa_user_sgpr_kernarg_segment_ptr 1
		.amdhsa_user_sgpr_dispatch_id 0
		.amdhsa_user_sgpr_private_segment_size 0
		.amdhsa_wavefront_size32 1
		.amdhsa_uses_dynamic_stack 0
		.amdhsa_enable_private_segment 0
		.amdhsa_system_sgpr_workgroup_id_x 1
		.amdhsa_system_sgpr_workgroup_id_y 0
		.amdhsa_system_sgpr_workgroup_id_z 0
		.amdhsa_system_sgpr_workgroup_info 0
		.amdhsa_system_vgpr_workitem_id 0
		.amdhsa_next_free_vgpr 1
		.amdhsa_next_free_sgpr 1
		.amdhsa_reserve_vcc 0
		.amdhsa_float_round_mode_32 0
		.amdhsa_float_round_mode_16_64 0
		.amdhsa_float_denorm_mode_32 3
		.amdhsa_float_denorm_mode_16_64 3
		.amdhsa_fp16_overflow 0
		.amdhsa_workgroup_processor_mode 1
		.amdhsa_memory_ordered 1
		.amdhsa_forward_progress 1
		.amdhsa_inst_pref_size 0
		.amdhsa_round_robin_scheduling 0
		.amdhsa_exception_fp_ieee_invalid_op 0
		.amdhsa_exception_fp_denorm_src 0
		.amdhsa_exception_fp_ieee_div_zero 0
		.amdhsa_exception_fp_ieee_overflow 0
		.amdhsa_exception_fp_ieee_underflow 0
		.amdhsa_exception_fp_ieee_inexact 0
		.amdhsa_exception_int_div_zero 0
	.end_amdhsa_kernel
	.section	.text._ZN7rocprim17ROCPRIM_400000_NS6detail17trampoline_kernelINS0_13select_configILj256ELj13ELNS0_17block_load_methodE3ELS4_3ELS4_3ELNS0_20block_scan_algorithmE0ELj4294967295EEENS1_25partition_config_selectorILNS1_17partition_subalgoE3EjNS0_10empty_typeEbEEZZNS1_14partition_implILS8_3ELb0ES6_jNS0_17counting_iteratorIjlEEPS9_SE_NS0_5tupleIJPjSE_EEENSF_IJSE_SE_EEES9_SG_JZNS1_25segmented_radix_sort_implINS0_14default_configELb1EPKhPhPKlPlN2at6native12_GLOBAL__N_18offset_tEEE10hipError_tPvRmT1_PNSt15iterator_traitsISY_E10value_typeET2_T3_PNSZ_IS14_E10value_typeET4_jRbjT5_S1A_jjP12ihipStream_tbEUljE_EEESV_SW_SX_S14_S18_S1A_T6_T7_T9_mT8_S1C_bDpT10_ENKUlT_T0_E_clISt17integral_constantIbLb1EES1P_EEDaS1K_S1L_EUlS1K_E_NS1_11comp_targetILNS1_3genE9ELNS1_11target_archE1100ELNS1_3gpuE3ELNS1_3repE0EEENS1_30default_config_static_selectorELNS0_4arch9wavefront6targetE0EEEvSY_,"axG",@progbits,_ZN7rocprim17ROCPRIM_400000_NS6detail17trampoline_kernelINS0_13select_configILj256ELj13ELNS0_17block_load_methodE3ELS4_3ELS4_3ELNS0_20block_scan_algorithmE0ELj4294967295EEENS1_25partition_config_selectorILNS1_17partition_subalgoE3EjNS0_10empty_typeEbEEZZNS1_14partition_implILS8_3ELb0ES6_jNS0_17counting_iteratorIjlEEPS9_SE_NS0_5tupleIJPjSE_EEENSF_IJSE_SE_EEES9_SG_JZNS1_25segmented_radix_sort_implINS0_14default_configELb1EPKhPhPKlPlN2at6native12_GLOBAL__N_18offset_tEEE10hipError_tPvRmT1_PNSt15iterator_traitsISY_E10value_typeET2_T3_PNSZ_IS14_E10value_typeET4_jRbjT5_S1A_jjP12ihipStream_tbEUljE_EEESV_SW_SX_S14_S18_S1A_T6_T7_T9_mT8_S1C_bDpT10_ENKUlT_T0_E_clISt17integral_constantIbLb1EES1P_EEDaS1K_S1L_EUlS1K_E_NS1_11comp_targetILNS1_3genE9ELNS1_11target_archE1100ELNS1_3gpuE3ELNS1_3repE0EEENS1_30default_config_static_selectorELNS0_4arch9wavefront6targetE0EEEvSY_,comdat
.Lfunc_end63:
	.size	_ZN7rocprim17ROCPRIM_400000_NS6detail17trampoline_kernelINS0_13select_configILj256ELj13ELNS0_17block_load_methodE3ELS4_3ELS4_3ELNS0_20block_scan_algorithmE0ELj4294967295EEENS1_25partition_config_selectorILNS1_17partition_subalgoE3EjNS0_10empty_typeEbEEZZNS1_14partition_implILS8_3ELb0ES6_jNS0_17counting_iteratorIjlEEPS9_SE_NS0_5tupleIJPjSE_EEENSF_IJSE_SE_EEES9_SG_JZNS1_25segmented_radix_sort_implINS0_14default_configELb1EPKhPhPKlPlN2at6native12_GLOBAL__N_18offset_tEEE10hipError_tPvRmT1_PNSt15iterator_traitsISY_E10value_typeET2_T3_PNSZ_IS14_E10value_typeET4_jRbjT5_S1A_jjP12ihipStream_tbEUljE_EEESV_SW_SX_S14_S18_S1A_T6_T7_T9_mT8_S1C_bDpT10_ENKUlT_T0_E_clISt17integral_constantIbLb1EES1P_EEDaS1K_S1L_EUlS1K_E_NS1_11comp_targetILNS1_3genE9ELNS1_11target_archE1100ELNS1_3gpuE3ELNS1_3repE0EEENS1_30default_config_static_selectorELNS0_4arch9wavefront6targetE0EEEvSY_, .Lfunc_end63-_ZN7rocprim17ROCPRIM_400000_NS6detail17trampoline_kernelINS0_13select_configILj256ELj13ELNS0_17block_load_methodE3ELS4_3ELS4_3ELNS0_20block_scan_algorithmE0ELj4294967295EEENS1_25partition_config_selectorILNS1_17partition_subalgoE3EjNS0_10empty_typeEbEEZZNS1_14partition_implILS8_3ELb0ES6_jNS0_17counting_iteratorIjlEEPS9_SE_NS0_5tupleIJPjSE_EEENSF_IJSE_SE_EEES9_SG_JZNS1_25segmented_radix_sort_implINS0_14default_configELb1EPKhPhPKlPlN2at6native12_GLOBAL__N_18offset_tEEE10hipError_tPvRmT1_PNSt15iterator_traitsISY_E10value_typeET2_T3_PNSZ_IS14_E10value_typeET4_jRbjT5_S1A_jjP12ihipStream_tbEUljE_EEESV_SW_SX_S14_S18_S1A_T6_T7_T9_mT8_S1C_bDpT10_ENKUlT_T0_E_clISt17integral_constantIbLb1EES1P_EEDaS1K_S1L_EUlS1K_E_NS1_11comp_targetILNS1_3genE9ELNS1_11target_archE1100ELNS1_3gpuE3ELNS1_3repE0EEENS1_30default_config_static_selectorELNS0_4arch9wavefront6targetE0EEEvSY_
                                        ; -- End function
	.set _ZN7rocprim17ROCPRIM_400000_NS6detail17trampoline_kernelINS0_13select_configILj256ELj13ELNS0_17block_load_methodE3ELS4_3ELS4_3ELNS0_20block_scan_algorithmE0ELj4294967295EEENS1_25partition_config_selectorILNS1_17partition_subalgoE3EjNS0_10empty_typeEbEEZZNS1_14partition_implILS8_3ELb0ES6_jNS0_17counting_iteratorIjlEEPS9_SE_NS0_5tupleIJPjSE_EEENSF_IJSE_SE_EEES9_SG_JZNS1_25segmented_radix_sort_implINS0_14default_configELb1EPKhPhPKlPlN2at6native12_GLOBAL__N_18offset_tEEE10hipError_tPvRmT1_PNSt15iterator_traitsISY_E10value_typeET2_T3_PNSZ_IS14_E10value_typeET4_jRbjT5_S1A_jjP12ihipStream_tbEUljE_EEESV_SW_SX_S14_S18_S1A_T6_T7_T9_mT8_S1C_bDpT10_ENKUlT_T0_E_clISt17integral_constantIbLb1EES1P_EEDaS1K_S1L_EUlS1K_E_NS1_11comp_targetILNS1_3genE9ELNS1_11target_archE1100ELNS1_3gpuE3ELNS1_3repE0EEENS1_30default_config_static_selectorELNS0_4arch9wavefront6targetE0EEEvSY_.num_vgpr, 0
	.set _ZN7rocprim17ROCPRIM_400000_NS6detail17trampoline_kernelINS0_13select_configILj256ELj13ELNS0_17block_load_methodE3ELS4_3ELS4_3ELNS0_20block_scan_algorithmE0ELj4294967295EEENS1_25partition_config_selectorILNS1_17partition_subalgoE3EjNS0_10empty_typeEbEEZZNS1_14partition_implILS8_3ELb0ES6_jNS0_17counting_iteratorIjlEEPS9_SE_NS0_5tupleIJPjSE_EEENSF_IJSE_SE_EEES9_SG_JZNS1_25segmented_radix_sort_implINS0_14default_configELb1EPKhPhPKlPlN2at6native12_GLOBAL__N_18offset_tEEE10hipError_tPvRmT1_PNSt15iterator_traitsISY_E10value_typeET2_T3_PNSZ_IS14_E10value_typeET4_jRbjT5_S1A_jjP12ihipStream_tbEUljE_EEESV_SW_SX_S14_S18_S1A_T6_T7_T9_mT8_S1C_bDpT10_ENKUlT_T0_E_clISt17integral_constantIbLb1EES1P_EEDaS1K_S1L_EUlS1K_E_NS1_11comp_targetILNS1_3genE9ELNS1_11target_archE1100ELNS1_3gpuE3ELNS1_3repE0EEENS1_30default_config_static_selectorELNS0_4arch9wavefront6targetE0EEEvSY_.num_agpr, 0
	.set _ZN7rocprim17ROCPRIM_400000_NS6detail17trampoline_kernelINS0_13select_configILj256ELj13ELNS0_17block_load_methodE3ELS4_3ELS4_3ELNS0_20block_scan_algorithmE0ELj4294967295EEENS1_25partition_config_selectorILNS1_17partition_subalgoE3EjNS0_10empty_typeEbEEZZNS1_14partition_implILS8_3ELb0ES6_jNS0_17counting_iteratorIjlEEPS9_SE_NS0_5tupleIJPjSE_EEENSF_IJSE_SE_EEES9_SG_JZNS1_25segmented_radix_sort_implINS0_14default_configELb1EPKhPhPKlPlN2at6native12_GLOBAL__N_18offset_tEEE10hipError_tPvRmT1_PNSt15iterator_traitsISY_E10value_typeET2_T3_PNSZ_IS14_E10value_typeET4_jRbjT5_S1A_jjP12ihipStream_tbEUljE_EEESV_SW_SX_S14_S18_S1A_T6_T7_T9_mT8_S1C_bDpT10_ENKUlT_T0_E_clISt17integral_constantIbLb1EES1P_EEDaS1K_S1L_EUlS1K_E_NS1_11comp_targetILNS1_3genE9ELNS1_11target_archE1100ELNS1_3gpuE3ELNS1_3repE0EEENS1_30default_config_static_selectorELNS0_4arch9wavefront6targetE0EEEvSY_.numbered_sgpr, 0
	.set _ZN7rocprim17ROCPRIM_400000_NS6detail17trampoline_kernelINS0_13select_configILj256ELj13ELNS0_17block_load_methodE3ELS4_3ELS4_3ELNS0_20block_scan_algorithmE0ELj4294967295EEENS1_25partition_config_selectorILNS1_17partition_subalgoE3EjNS0_10empty_typeEbEEZZNS1_14partition_implILS8_3ELb0ES6_jNS0_17counting_iteratorIjlEEPS9_SE_NS0_5tupleIJPjSE_EEENSF_IJSE_SE_EEES9_SG_JZNS1_25segmented_radix_sort_implINS0_14default_configELb1EPKhPhPKlPlN2at6native12_GLOBAL__N_18offset_tEEE10hipError_tPvRmT1_PNSt15iterator_traitsISY_E10value_typeET2_T3_PNSZ_IS14_E10value_typeET4_jRbjT5_S1A_jjP12ihipStream_tbEUljE_EEESV_SW_SX_S14_S18_S1A_T6_T7_T9_mT8_S1C_bDpT10_ENKUlT_T0_E_clISt17integral_constantIbLb1EES1P_EEDaS1K_S1L_EUlS1K_E_NS1_11comp_targetILNS1_3genE9ELNS1_11target_archE1100ELNS1_3gpuE3ELNS1_3repE0EEENS1_30default_config_static_selectorELNS0_4arch9wavefront6targetE0EEEvSY_.num_named_barrier, 0
	.set _ZN7rocprim17ROCPRIM_400000_NS6detail17trampoline_kernelINS0_13select_configILj256ELj13ELNS0_17block_load_methodE3ELS4_3ELS4_3ELNS0_20block_scan_algorithmE0ELj4294967295EEENS1_25partition_config_selectorILNS1_17partition_subalgoE3EjNS0_10empty_typeEbEEZZNS1_14partition_implILS8_3ELb0ES6_jNS0_17counting_iteratorIjlEEPS9_SE_NS0_5tupleIJPjSE_EEENSF_IJSE_SE_EEES9_SG_JZNS1_25segmented_radix_sort_implINS0_14default_configELb1EPKhPhPKlPlN2at6native12_GLOBAL__N_18offset_tEEE10hipError_tPvRmT1_PNSt15iterator_traitsISY_E10value_typeET2_T3_PNSZ_IS14_E10value_typeET4_jRbjT5_S1A_jjP12ihipStream_tbEUljE_EEESV_SW_SX_S14_S18_S1A_T6_T7_T9_mT8_S1C_bDpT10_ENKUlT_T0_E_clISt17integral_constantIbLb1EES1P_EEDaS1K_S1L_EUlS1K_E_NS1_11comp_targetILNS1_3genE9ELNS1_11target_archE1100ELNS1_3gpuE3ELNS1_3repE0EEENS1_30default_config_static_selectorELNS0_4arch9wavefront6targetE0EEEvSY_.private_seg_size, 0
	.set _ZN7rocprim17ROCPRIM_400000_NS6detail17trampoline_kernelINS0_13select_configILj256ELj13ELNS0_17block_load_methodE3ELS4_3ELS4_3ELNS0_20block_scan_algorithmE0ELj4294967295EEENS1_25partition_config_selectorILNS1_17partition_subalgoE3EjNS0_10empty_typeEbEEZZNS1_14partition_implILS8_3ELb0ES6_jNS0_17counting_iteratorIjlEEPS9_SE_NS0_5tupleIJPjSE_EEENSF_IJSE_SE_EEES9_SG_JZNS1_25segmented_radix_sort_implINS0_14default_configELb1EPKhPhPKlPlN2at6native12_GLOBAL__N_18offset_tEEE10hipError_tPvRmT1_PNSt15iterator_traitsISY_E10value_typeET2_T3_PNSZ_IS14_E10value_typeET4_jRbjT5_S1A_jjP12ihipStream_tbEUljE_EEESV_SW_SX_S14_S18_S1A_T6_T7_T9_mT8_S1C_bDpT10_ENKUlT_T0_E_clISt17integral_constantIbLb1EES1P_EEDaS1K_S1L_EUlS1K_E_NS1_11comp_targetILNS1_3genE9ELNS1_11target_archE1100ELNS1_3gpuE3ELNS1_3repE0EEENS1_30default_config_static_selectorELNS0_4arch9wavefront6targetE0EEEvSY_.uses_vcc, 0
	.set _ZN7rocprim17ROCPRIM_400000_NS6detail17trampoline_kernelINS0_13select_configILj256ELj13ELNS0_17block_load_methodE3ELS4_3ELS4_3ELNS0_20block_scan_algorithmE0ELj4294967295EEENS1_25partition_config_selectorILNS1_17partition_subalgoE3EjNS0_10empty_typeEbEEZZNS1_14partition_implILS8_3ELb0ES6_jNS0_17counting_iteratorIjlEEPS9_SE_NS0_5tupleIJPjSE_EEENSF_IJSE_SE_EEES9_SG_JZNS1_25segmented_radix_sort_implINS0_14default_configELb1EPKhPhPKlPlN2at6native12_GLOBAL__N_18offset_tEEE10hipError_tPvRmT1_PNSt15iterator_traitsISY_E10value_typeET2_T3_PNSZ_IS14_E10value_typeET4_jRbjT5_S1A_jjP12ihipStream_tbEUljE_EEESV_SW_SX_S14_S18_S1A_T6_T7_T9_mT8_S1C_bDpT10_ENKUlT_T0_E_clISt17integral_constantIbLb1EES1P_EEDaS1K_S1L_EUlS1K_E_NS1_11comp_targetILNS1_3genE9ELNS1_11target_archE1100ELNS1_3gpuE3ELNS1_3repE0EEENS1_30default_config_static_selectorELNS0_4arch9wavefront6targetE0EEEvSY_.uses_flat_scratch, 0
	.set _ZN7rocprim17ROCPRIM_400000_NS6detail17trampoline_kernelINS0_13select_configILj256ELj13ELNS0_17block_load_methodE3ELS4_3ELS4_3ELNS0_20block_scan_algorithmE0ELj4294967295EEENS1_25partition_config_selectorILNS1_17partition_subalgoE3EjNS0_10empty_typeEbEEZZNS1_14partition_implILS8_3ELb0ES6_jNS0_17counting_iteratorIjlEEPS9_SE_NS0_5tupleIJPjSE_EEENSF_IJSE_SE_EEES9_SG_JZNS1_25segmented_radix_sort_implINS0_14default_configELb1EPKhPhPKlPlN2at6native12_GLOBAL__N_18offset_tEEE10hipError_tPvRmT1_PNSt15iterator_traitsISY_E10value_typeET2_T3_PNSZ_IS14_E10value_typeET4_jRbjT5_S1A_jjP12ihipStream_tbEUljE_EEESV_SW_SX_S14_S18_S1A_T6_T7_T9_mT8_S1C_bDpT10_ENKUlT_T0_E_clISt17integral_constantIbLb1EES1P_EEDaS1K_S1L_EUlS1K_E_NS1_11comp_targetILNS1_3genE9ELNS1_11target_archE1100ELNS1_3gpuE3ELNS1_3repE0EEENS1_30default_config_static_selectorELNS0_4arch9wavefront6targetE0EEEvSY_.has_dyn_sized_stack, 0
	.set _ZN7rocprim17ROCPRIM_400000_NS6detail17trampoline_kernelINS0_13select_configILj256ELj13ELNS0_17block_load_methodE3ELS4_3ELS4_3ELNS0_20block_scan_algorithmE0ELj4294967295EEENS1_25partition_config_selectorILNS1_17partition_subalgoE3EjNS0_10empty_typeEbEEZZNS1_14partition_implILS8_3ELb0ES6_jNS0_17counting_iteratorIjlEEPS9_SE_NS0_5tupleIJPjSE_EEENSF_IJSE_SE_EEES9_SG_JZNS1_25segmented_radix_sort_implINS0_14default_configELb1EPKhPhPKlPlN2at6native12_GLOBAL__N_18offset_tEEE10hipError_tPvRmT1_PNSt15iterator_traitsISY_E10value_typeET2_T3_PNSZ_IS14_E10value_typeET4_jRbjT5_S1A_jjP12ihipStream_tbEUljE_EEESV_SW_SX_S14_S18_S1A_T6_T7_T9_mT8_S1C_bDpT10_ENKUlT_T0_E_clISt17integral_constantIbLb1EES1P_EEDaS1K_S1L_EUlS1K_E_NS1_11comp_targetILNS1_3genE9ELNS1_11target_archE1100ELNS1_3gpuE3ELNS1_3repE0EEENS1_30default_config_static_selectorELNS0_4arch9wavefront6targetE0EEEvSY_.has_recursion, 0
	.set _ZN7rocprim17ROCPRIM_400000_NS6detail17trampoline_kernelINS0_13select_configILj256ELj13ELNS0_17block_load_methodE3ELS4_3ELS4_3ELNS0_20block_scan_algorithmE0ELj4294967295EEENS1_25partition_config_selectorILNS1_17partition_subalgoE3EjNS0_10empty_typeEbEEZZNS1_14partition_implILS8_3ELb0ES6_jNS0_17counting_iteratorIjlEEPS9_SE_NS0_5tupleIJPjSE_EEENSF_IJSE_SE_EEES9_SG_JZNS1_25segmented_radix_sort_implINS0_14default_configELb1EPKhPhPKlPlN2at6native12_GLOBAL__N_18offset_tEEE10hipError_tPvRmT1_PNSt15iterator_traitsISY_E10value_typeET2_T3_PNSZ_IS14_E10value_typeET4_jRbjT5_S1A_jjP12ihipStream_tbEUljE_EEESV_SW_SX_S14_S18_S1A_T6_T7_T9_mT8_S1C_bDpT10_ENKUlT_T0_E_clISt17integral_constantIbLb1EES1P_EEDaS1K_S1L_EUlS1K_E_NS1_11comp_targetILNS1_3genE9ELNS1_11target_archE1100ELNS1_3gpuE3ELNS1_3repE0EEENS1_30default_config_static_selectorELNS0_4arch9wavefront6targetE0EEEvSY_.has_indirect_call, 0
	.section	.AMDGPU.csdata,"",@progbits
; Kernel info:
; codeLenInByte = 0
; TotalNumSgprs: 0
; NumVgprs: 0
; ScratchSize: 0
; MemoryBound: 0
; FloatMode: 240
; IeeeMode: 1
; LDSByteSize: 0 bytes/workgroup (compile time only)
; SGPRBlocks: 0
; VGPRBlocks: 0
; NumSGPRsForWavesPerEU: 1
; NumVGPRsForWavesPerEU: 1
; Occupancy: 16
; WaveLimiterHint : 0
; COMPUTE_PGM_RSRC2:SCRATCH_EN: 0
; COMPUTE_PGM_RSRC2:USER_SGPR: 2
; COMPUTE_PGM_RSRC2:TRAP_HANDLER: 0
; COMPUTE_PGM_RSRC2:TGID_X_EN: 1
; COMPUTE_PGM_RSRC2:TGID_Y_EN: 0
; COMPUTE_PGM_RSRC2:TGID_Z_EN: 0
; COMPUTE_PGM_RSRC2:TIDIG_COMP_CNT: 0
	.section	.text._ZN7rocprim17ROCPRIM_400000_NS6detail17trampoline_kernelINS0_13select_configILj256ELj13ELNS0_17block_load_methodE3ELS4_3ELS4_3ELNS0_20block_scan_algorithmE0ELj4294967295EEENS1_25partition_config_selectorILNS1_17partition_subalgoE3EjNS0_10empty_typeEbEEZZNS1_14partition_implILS8_3ELb0ES6_jNS0_17counting_iteratorIjlEEPS9_SE_NS0_5tupleIJPjSE_EEENSF_IJSE_SE_EEES9_SG_JZNS1_25segmented_radix_sort_implINS0_14default_configELb1EPKhPhPKlPlN2at6native12_GLOBAL__N_18offset_tEEE10hipError_tPvRmT1_PNSt15iterator_traitsISY_E10value_typeET2_T3_PNSZ_IS14_E10value_typeET4_jRbjT5_S1A_jjP12ihipStream_tbEUljE_EEESV_SW_SX_S14_S18_S1A_T6_T7_T9_mT8_S1C_bDpT10_ENKUlT_T0_E_clISt17integral_constantIbLb1EES1P_EEDaS1K_S1L_EUlS1K_E_NS1_11comp_targetILNS1_3genE8ELNS1_11target_archE1030ELNS1_3gpuE2ELNS1_3repE0EEENS1_30default_config_static_selectorELNS0_4arch9wavefront6targetE0EEEvSY_,"axG",@progbits,_ZN7rocprim17ROCPRIM_400000_NS6detail17trampoline_kernelINS0_13select_configILj256ELj13ELNS0_17block_load_methodE3ELS4_3ELS4_3ELNS0_20block_scan_algorithmE0ELj4294967295EEENS1_25partition_config_selectorILNS1_17partition_subalgoE3EjNS0_10empty_typeEbEEZZNS1_14partition_implILS8_3ELb0ES6_jNS0_17counting_iteratorIjlEEPS9_SE_NS0_5tupleIJPjSE_EEENSF_IJSE_SE_EEES9_SG_JZNS1_25segmented_radix_sort_implINS0_14default_configELb1EPKhPhPKlPlN2at6native12_GLOBAL__N_18offset_tEEE10hipError_tPvRmT1_PNSt15iterator_traitsISY_E10value_typeET2_T3_PNSZ_IS14_E10value_typeET4_jRbjT5_S1A_jjP12ihipStream_tbEUljE_EEESV_SW_SX_S14_S18_S1A_T6_T7_T9_mT8_S1C_bDpT10_ENKUlT_T0_E_clISt17integral_constantIbLb1EES1P_EEDaS1K_S1L_EUlS1K_E_NS1_11comp_targetILNS1_3genE8ELNS1_11target_archE1030ELNS1_3gpuE2ELNS1_3repE0EEENS1_30default_config_static_selectorELNS0_4arch9wavefront6targetE0EEEvSY_,comdat
	.globl	_ZN7rocprim17ROCPRIM_400000_NS6detail17trampoline_kernelINS0_13select_configILj256ELj13ELNS0_17block_load_methodE3ELS4_3ELS4_3ELNS0_20block_scan_algorithmE0ELj4294967295EEENS1_25partition_config_selectorILNS1_17partition_subalgoE3EjNS0_10empty_typeEbEEZZNS1_14partition_implILS8_3ELb0ES6_jNS0_17counting_iteratorIjlEEPS9_SE_NS0_5tupleIJPjSE_EEENSF_IJSE_SE_EEES9_SG_JZNS1_25segmented_radix_sort_implINS0_14default_configELb1EPKhPhPKlPlN2at6native12_GLOBAL__N_18offset_tEEE10hipError_tPvRmT1_PNSt15iterator_traitsISY_E10value_typeET2_T3_PNSZ_IS14_E10value_typeET4_jRbjT5_S1A_jjP12ihipStream_tbEUljE_EEESV_SW_SX_S14_S18_S1A_T6_T7_T9_mT8_S1C_bDpT10_ENKUlT_T0_E_clISt17integral_constantIbLb1EES1P_EEDaS1K_S1L_EUlS1K_E_NS1_11comp_targetILNS1_3genE8ELNS1_11target_archE1030ELNS1_3gpuE2ELNS1_3repE0EEENS1_30default_config_static_selectorELNS0_4arch9wavefront6targetE0EEEvSY_ ; -- Begin function _ZN7rocprim17ROCPRIM_400000_NS6detail17trampoline_kernelINS0_13select_configILj256ELj13ELNS0_17block_load_methodE3ELS4_3ELS4_3ELNS0_20block_scan_algorithmE0ELj4294967295EEENS1_25partition_config_selectorILNS1_17partition_subalgoE3EjNS0_10empty_typeEbEEZZNS1_14partition_implILS8_3ELb0ES6_jNS0_17counting_iteratorIjlEEPS9_SE_NS0_5tupleIJPjSE_EEENSF_IJSE_SE_EEES9_SG_JZNS1_25segmented_radix_sort_implINS0_14default_configELb1EPKhPhPKlPlN2at6native12_GLOBAL__N_18offset_tEEE10hipError_tPvRmT1_PNSt15iterator_traitsISY_E10value_typeET2_T3_PNSZ_IS14_E10value_typeET4_jRbjT5_S1A_jjP12ihipStream_tbEUljE_EEESV_SW_SX_S14_S18_S1A_T6_T7_T9_mT8_S1C_bDpT10_ENKUlT_T0_E_clISt17integral_constantIbLb1EES1P_EEDaS1K_S1L_EUlS1K_E_NS1_11comp_targetILNS1_3genE8ELNS1_11target_archE1030ELNS1_3gpuE2ELNS1_3repE0EEENS1_30default_config_static_selectorELNS0_4arch9wavefront6targetE0EEEvSY_
	.p2align	8
	.type	_ZN7rocprim17ROCPRIM_400000_NS6detail17trampoline_kernelINS0_13select_configILj256ELj13ELNS0_17block_load_methodE3ELS4_3ELS4_3ELNS0_20block_scan_algorithmE0ELj4294967295EEENS1_25partition_config_selectorILNS1_17partition_subalgoE3EjNS0_10empty_typeEbEEZZNS1_14partition_implILS8_3ELb0ES6_jNS0_17counting_iteratorIjlEEPS9_SE_NS0_5tupleIJPjSE_EEENSF_IJSE_SE_EEES9_SG_JZNS1_25segmented_radix_sort_implINS0_14default_configELb1EPKhPhPKlPlN2at6native12_GLOBAL__N_18offset_tEEE10hipError_tPvRmT1_PNSt15iterator_traitsISY_E10value_typeET2_T3_PNSZ_IS14_E10value_typeET4_jRbjT5_S1A_jjP12ihipStream_tbEUljE_EEESV_SW_SX_S14_S18_S1A_T6_T7_T9_mT8_S1C_bDpT10_ENKUlT_T0_E_clISt17integral_constantIbLb1EES1P_EEDaS1K_S1L_EUlS1K_E_NS1_11comp_targetILNS1_3genE8ELNS1_11target_archE1030ELNS1_3gpuE2ELNS1_3repE0EEENS1_30default_config_static_selectorELNS0_4arch9wavefront6targetE0EEEvSY_,@function
_ZN7rocprim17ROCPRIM_400000_NS6detail17trampoline_kernelINS0_13select_configILj256ELj13ELNS0_17block_load_methodE3ELS4_3ELS4_3ELNS0_20block_scan_algorithmE0ELj4294967295EEENS1_25partition_config_selectorILNS1_17partition_subalgoE3EjNS0_10empty_typeEbEEZZNS1_14partition_implILS8_3ELb0ES6_jNS0_17counting_iteratorIjlEEPS9_SE_NS0_5tupleIJPjSE_EEENSF_IJSE_SE_EEES9_SG_JZNS1_25segmented_radix_sort_implINS0_14default_configELb1EPKhPhPKlPlN2at6native12_GLOBAL__N_18offset_tEEE10hipError_tPvRmT1_PNSt15iterator_traitsISY_E10value_typeET2_T3_PNSZ_IS14_E10value_typeET4_jRbjT5_S1A_jjP12ihipStream_tbEUljE_EEESV_SW_SX_S14_S18_S1A_T6_T7_T9_mT8_S1C_bDpT10_ENKUlT_T0_E_clISt17integral_constantIbLb1EES1P_EEDaS1K_S1L_EUlS1K_E_NS1_11comp_targetILNS1_3genE8ELNS1_11target_archE1030ELNS1_3gpuE2ELNS1_3repE0EEENS1_30default_config_static_selectorELNS0_4arch9wavefront6targetE0EEEvSY_: ; @_ZN7rocprim17ROCPRIM_400000_NS6detail17trampoline_kernelINS0_13select_configILj256ELj13ELNS0_17block_load_methodE3ELS4_3ELS4_3ELNS0_20block_scan_algorithmE0ELj4294967295EEENS1_25partition_config_selectorILNS1_17partition_subalgoE3EjNS0_10empty_typeEbEEZZNS1_14partition_implILS8_3ELb0ES6_jNS0_17counting_iteratorIjlEEPS9_SE_NS0_5tupleIJPjSE_EEENSF_IJSE_SE_EEES9_SG_JZNS1_25segmented_radix_sort_implINS0_14default_configELb1EPKhPhPKlPlN2at6native12_GLOBAL__N_18offset_tEEE10hipError_tPvRmT1_PNSt15iterator_traitsISY_E10value_typeET2_T3_PNSZ_IS14_E10value_typeET4_jRbjT5_S1A_jjP12ihipStream_tbEUljE_EEESV_SW_SX_S14_S18_S1A_T6_T7_T9_mT8_S1C_bDpT10_ENKUlT_T0_E_clISt17integral_constantIbLb1EES1P_EEDaS1K_S1L_EUlS1K_E_NS1_11comp_targetILNS1_3genE8ELNS1_11target_archE1030ELNS1_3gpuE2ELNS1_3repE0EEENS1_30default_config_static_selectorELNS0_4arch9wavefront6targetE0EEEvSY_
; %bb.0:
	.section	.rodata,"a",@progbits
	.p2align	6, 0x0
	.amdhsa_kernel _ZN7rocprim17ROCPRIM_400000_NS6detail17trampoline_kernelINS0_13select_configILj256ELj13ELNS0_17block_load_methodE3ELS4_3ELS4_3ELNS0_20block_scan_algorithmE0ELj4294967295EEENS1_25partition_config_selectorILNS1_17partition_subalgoE3EjNS0_10empty_typeEbEEZZNS1_14partition_implILS8_3ELb0ES6_jNS0_17counting_iteratorIjlEEPS9_SE_NS0_5tupleIJPjSE_EEENSF_IJSE_SE_EEES9_SG_JZNS1_25segmented_radix_sort_implINS0_14default_configELb1EPKhPhPKlPlN2at6native12_GLOBAL__N_18offset_tEEE10hipError_tPvRmT1_PNSt15iterator_traitsISY_E10value_typeET2_T3_PNSZ_IS14_E10value_typeET4_jRbjT5_S1A_jjP12ihipStream_tbEUljE_EEESV_SW_SX_S14_S18_S1A_T6_T7_T9_mT8_S1C_bDpT10_ENKUlT_T0_E_clISt17integral_constantIbLb1EES1P_EEDaS1K_S1L_EUlS1K_E_NS1_11comp_targetILNS1_3genE8ELNS1_11target_archE1030ELNS1_3gpuE2ELNS1_3repE0EEENS1_30default_config_static_selectorELNS0_4arch9wavefront6targetE0EEEvSY_
		.amdhsa_group_segment_fixed_size 0
		.amdhsa_private_segment_fixed_size 0
		.amdhsa_kernarg_size 152
		.amdhsa_user_sgpr_count 2
		.amdhsa_user_sgpr_dispatch_ptr 0
		.amdhsa_user_sgpr_queue_ptr 0
		.amdhsa_user_sgpr_kernarg_segment_ptr 1
		.amdhsa_user_sgpr_dispatch_id 0
		.amdhsa_user_sgpr_private_segment_size 0
		.amdhsa_wavefront_size32 1
		.amdhsa_uses_dynamic_stack 0
		.amdhsa_enable_private_segment 0
		.amdhsa_system_sgpr_workgroup_id_x 1
		.amdhsa_system_sgpr_workgroup_id_y 0
		.amdhsa_system_sgpr_workgroup_id_z 0
		.amdhsa_system_sgpr_workgroup_info 0
		.amdhsa_system_vgpr_workitem_id 0
		.amdhsa_next_free_vgpr 1
		.amdhsa_next_free_sgpr 1
		.amdhsa_reserve_vcc 0
		.amdhsa_float_round_mode_32 0
		.amdhsa_float_round_mode_16_64 0
		.amdhsa_float_denorm_mode_32 3
		.amdhsa_float_denorm_mode_16_64 3
		.amdhsa_fp16_overflow 0
		.amdhsa_workgroup_processor_mode 1
		.amdhsa_memory_ordered 1
		.amdhsa_forward_progress 1
		.amdhsa_inst_pref_size 0
		.amdhsa_round_robin_scheduling 0
		.amdhsa_exception_fp_ieee_invalid_op 0
		.amdhsa_exception_fp_denorm_src 0
		.amdhsa_exception_fp_ieee_div_zero 0
		.amdhsa_exception_fp_ieee_overflow 0
		.amdhsa_exception_fp_ieee_underflow 0
		.amdhsa_exception_fp_ieee_inexact 0
		.amdhsa_exception_int_div_zero 0
	.end_amdhsa_kernel
	.section	.text._ZN7rocprim17ROCPRIM_400000_NS6detail17trampoline_kernelINS0_13select_configILj256ELj13ELNS0_17block_load_methodE3ELS4_3ELS4_3ELNS0_20block_scan_algorithmE0ELj4294967295EEENS1_25partition_config_selectorILNS1_17partition_subalgoE3EjNS0_10empty_typeEbEEZZNS1_14partition_implILS8_3ELb0ES6_jNS0_17counting_iteratorIjlEEPS9_SE_NS0_5tupleIJPjSE_EEENSF_IJSE_SE_EEES9_SG_JZNS1_25segmented_radix_sort_implINS0_14default_configELb1EPKhPhPKlPlN2at6native12_GLOBAL__N_18offset_tEEE10hipError_tPvRmT1_PNSt15iterator_traitsISY_E10value_typeET2_T3_PNSZ_IS14_E10value_typeET4_jRbjT5_S1A_jjP12ihipStream_tbEUljE_EEESV_SW_SX_S14_S18_S1A_T6_T7_T9_mT8_S1C_bDpT10_ENKUlT_T0_E_clISt17integral_constantIbLb1EES1P_EEDaS1K_S1L_EUlS1K_E_NS1_11comp_targetILNS1_3genE8ELNS1_11target_archE1030ELNS1_3gpuE2ELNS1_3repE0EEENS1_30default_config_static_selectorELNS0_4arch9wavefront6targetE0EEEvSY_,"axG",@progbits,_ZN7rocprim17ROCPRIM_400000_NS6detail17trampoline_kernelINS0_13select_configILj256ELj13ELNS0_17block_load_methodE3ELS4_3ELS4_3ELNS0_20block_scan_algorithmE0ELj4294967295EEENS1_25partition_config_selectorILNS1_17partition_subalgoE3EjNS0_10empty_typeEbEEZZNS1_14partition_implILS8_3ELb0ES6_jNS0_17counting_iteratorIjlEEPS9_SE_NS0_5tupleIJPjSE_EEENSF_IJSE_SE_EEES9_SG_JZNS1_25segmented_radix_sort_implINS0_14default_configELb1EPKhPhPKlPlN2at6native12_GLOBAL__N_18offset_tEEE10hipError_tPvRmT1_PNSt15iterator_traitsISY_E10value_typeET2_T3_PNSZ_IS14_E10value_typeET4_jRbjT5_S1A_jjP12ihipStream_tbEUljE_EEESV_SW_SX_S14_S18_S1A_T6_T7_T9_mT8_S1C_bDpT10_ENKUlT_T0_E_clISt17integral_constantIbLb1EES1P_EEDaS1K_S1L_EUlS1K_E_NS1_11comp_targetILNS1_3genE8ELNS1_11target_archE1030ELNS1_3gpuE2ELNS1_3repE0EEENS1_30default_config_static_selectorELNS0_4arch9wavefront6targetE0EEEvSY_,comdat
.Lfunc_end64:
	.size	_ZN7rocprim17ROCPRIM_400000_NS6detail17trampoline_kernelINS0_13select_configILj256ELj13ELNS0_17block_load_methodE3ELS4_3ELS4_3ELNS0_20block_scan_algorithmE0ELj4294967295EEENS1_25partition_config_selectorILNS1_17partition_subalgoE3EjNS0_10empty_typeEbEEZZNS1_14partition_implILS8_3ELb0ES6_jNS0_17counting_iteratorIjlEEPS9_SE_NS0_5tupleIJPjSE_EEENSF_IJSE_SE_EEES9_SG_JZNS1_25segmented_radix_sort_implINS0_14default_configELb1EPKhPhPKlPlN2at6native12_GLOBAL__N_18offset_tEEE10hipError_tPvRmT1_PNSt15iterator_traitsISY_E10value_typeET2_T3_PNSZ_IS14_E10value_typeET4_jRbjT5_S1A_jjP12ihipStream_tbEUljE_EEESV_SW_SX_S14_S18_S1A_T6_T7_T9_mT8_S1C_bDpT10_ENKUlT_T0_E_clISt17integral_constantIbLb1EES1P_EEDaS1K_S1L_EUlS1K_E_NS1_11comp_targetILNS1_3genE8ELNS1_11target_archE1030ELNS1_3gpuE2ELNS1_3repE0EEENS1_30default_config_static_selectorELNS0_4arch9wavefront6targetE0EEEvSY_, .Lfunc_end64-_ZN7rocprim17ROCPRIM_400000_NS6detail17trampoline_kernelINS0_13select_configILj256ELj13ELNS0_17block_load_methodE3ELS4_3ELS4_3ELNS0_20block_scan_algorithmE0ELj4294967295EEENS1_25partition_config_selectorILNS1_17partition_subalgoE3EjNS0_10empty_typeEbEEZZNS1_14partition_implILS8_3ELb0ES6_jNS0_17counting_iteratorIjlEEPS9_SE_NS0_5tupleIJPjSE_EEENSF_IJSE_SE_EEES9_SG_JZNS1_25segmented_radix_sort_implINS0_14default_configELb1EPKhPhPKlPlN2at6native12_GLOBAL__N_18offset_tEEE10hipError_tPvRmT1_PNSt15iterator_traitsISY_E10value_typeET2_T3_PNSZ_IS14_E10value_typeET4_jRbjT5_S1A_jjP12ihipStream_tbEUljE_EEESV_SW_SX_S14_S18_S1A_T6_T7_T9_mT8_S1C_bDpT10_ENKUlT_T0_E_clISt17integral_constantIbLb1EES1P_EEDaS1K_S1L_EUlS1K_E_NS1_11comp_targetILNS1_3genE8ELNS1_11target_archE1030ELNS1_3gpuE2ELNS1_3repE0EEENS1_30default_config_static_selectorELNS0_4arch9wavefront6targetE0EEEvSY_
                                        ; -- End function
	.set _ZN7rocprim17ROCPRIM_400000_NS6detail17trampoline_kernelINS0_13select_configILj256ELj13ELNS0_17block_load_methodE3ELS4_3ELS4_3ELNS0_20block_scan_algorithmE0ELj4294967295EEENS1_25partition_config_selectorILNS1_17partition_subalgoE3EjNS0_10empty_typeEbEEZZNS1_14partition_implILS8_3ELb0ES6_jNS0_17counting_iteratorIjlEEPS9_SE_NS0_5tupleIJPjSE_EEENSF_IJSE_SE_EEES9_SG_JZNS1_25segmented_radix_sort_implINS0_14default_configELb1EPKhPhPKlPlN2at6native12_GLOBAL__N_18offset_tEEE10hipError_tPvRmT1_PNSt15iterator_traitsISY_E10value_typeET2_T3_PNSZ_IS14_E10value_typeET4_jRbjT5_S1A_jjP12ihipStream_tbEUljE_EEESV_SW_SX_S14_S18_S1A_T6_T7_T9_mT8_S1C_bDpT10_ENKUlT_T0_E_clISt17integral_constantIbLb1EES1P_EEDaS1K_S1L_EUlS1K_E_NS1_11comp_targetILNS1_3genE8ELNS1_11target_archE1030ELNS1_3gpuE2ELNS1_3repE0EEENS1_30default_config_static_selectorELNS0_4arch9wavefront6targetE0EEEvSY_.num_vgpr, 0
	.set _ZN7rocprim17ROCPRIM_400000_NS6detail17trampoline_kernelINS0_13select_configILj256ELj13ELNS0_17block_load_methodE3ELS4_3ELS4_3ELNS0_20block_scan_algorithmE0ELj4294967295EEENS1_25partition_config_selectorILNS1_17partition_subalgoE3EjNS0_10empty_typeEbEEZZNS1_14partition_implILS8_3ELb0ES6_jNS0_17counting_iteratorIjlEEPS9_SE_NS0_5tupleIJPjSE_EEENSF_IJSE_SE_EEES9_SG_JZNS1_25segmented_radix_sort_implINS0_14default_configELb1EPKhPhPKlPlN2at6native12_GLOBAL__N_18offset_tEEE10hipError_tPvRmT1_PNSt15iterator_traitsISY_E10value_typeET2_T3_PNSZ_IS14_E10value_typeET4_jRbjT5_S1A_jjP12ihipStream_tbEUljE_EEESV_SW_SX_S14_S18_S1A_T6_T7_T9_mT8_S1C_bDpT10_ENKUlT_T0_E_clISt17integral_constantIbLb1EES1P_EEDaS1K_S1L_EUlS1K_E_NS1_11comp_targetILNS1_3genE8ELNS1_11target_archE1030ELNS1_3gpuE2ELNS1_3repE0EEENS1_30default_config_static_selectorELNS0_4arch9wavefront6targetE0EEEvSY_.num_agpr, 0
	.set _ZN7rocprim17ROCPRIM_400000_NS6detail17trampoline_kernelINS0_13select_configILj256ELj13ELNS0_17block_load_methodE3ELS4_3ELS4_3ELNS0_20block_scan_algorithmE0ELj4294967295EEENS1_25partition_config_selectorILNS1_17partition_subalgoE3EjNS0_10empty_typeEbEEZZNS1_14partition_implILS8_3ELb0ES6_jNS0_17counting_iteratorIjlEEPS9_SE_NS0_5tupleIJPjSE_EEENSF_IJSE_SE_EEES9_SG_JZNS1_25segmented_radix_sort_implINS0_14default_configELb1EPKhPhPKlPlN2at6native12_GLOBAL__N_18offset_tEEE10hipError_tPvRmT1_PNSt15iterator_traitsISY_E10value_typeET2_T3_PNSZ_IS14_E10value_typeET4_jRbjT5_S1A_jjP12ihipStream_tbEUljE_EEESV_SW_SX_S14_S18_S1A_T6_T7_T9_mT8_S1C_bDpT10_ENKUlT_T0_E_clISt17integral_constantIbLb1EES1P_EEDaS1K_S1L_EUlS1K_E_NS1_11comp_targetILNS1_3genE8ELNS1_11target_archE1030ELNS1_3gpuE2ELNS1_3repE0EEENS1_30default_config_static_selectorELNS0_4arch9wavefront6targetE0EEEvSY_.numbered_sgpr, 0
	.set _ZN7rocprim17ROCPRIM_400000_NS6detail17trampoline_kernelINS0_13select_configILj256ELj13ELNS0_17block_load_methodE3ELS4_3ELS4_3ELNS0_20block_scan_algorithmE0ELj4294967295EEENS1_25partition_config_selectorILNS1_17partition_subalgoE3EjNS0_10empty_typeEbEEZZNS1_14partition_implILS8_3ELb0ES6_jNS0_17counting_iteratorIjlEEPS9_SE_NS0_5tupleIJPjSE_EEENSF_IJSE_SE_EEES9_SG_JZNS1_25segmented_radix_sort_implINS0_14default_configELb1EPKhPhPKlPlN2at6native12_GLOBAL__N_18offset_tEEE10hipError_tPvRmT1_PNSt15iterator_traitsISY_E10value_typeET2_T3_PNSZ_IS14_E10value_typeET4_jRbjT5_S1A_jjP12ihipStream_tbEUljE_EEESV_SW_SX_S14_S18_S1A_T6_T7_T9_mT8_S1C_bDpT10_ENKUlT_T0_E_clISt17integral_constantIbLb1EES1P_EEDaS1K_S1L_EUlS1K_E_NS1_11comp_targetILNS1_3genE8ELNS1_11target_archE1030ELNS1_3gpuE2ELNS1_3repE0EEENS1_30default_config_static_selectorELNS0_4arch9wavefront6targetE0EEEvSY_.num_named_barrier, 0
	.set _ZN7rocprim17ROCPRIM_400000_NS6detail17trampoline_kernelINS0_13select_configILj256ELj13ELNS0_17block_load_methodE3ELS4_3ELS4_3ELNS0_20block_scan_algorithmE0ELj4294967295EEENS1_25partition_config_selectorILNS1_17partition_subalgoE3EjNS0_10empty_typeEbEEZZNS1_14partition_implILS8_3ELb0ES6_jNS0_17counting_iteratorIjlEEPS9_SE_NS0_5tupleIJPjSE_EEENSF_IJSE_SE_EEES9_SG_JZNS1_25segmented_radix_sort_implINS0_14default_configELb1EPKhPhPKlPlN2at6native12_GLOBAL__N_18offset_tEEE10hipError_tPvRmT1_PNSt15iterator_traitsISY_E10value_typeET2_T3_PNSZ_IS14_E10value_typeET4_jRbjT5_S1A_jjP12ihipStream_tbEUljE_EEESV_SW_SX_S14_S18_S1A_T6_T7_T9_mT8_S1C_bDpT10_ENKUlT_T0_E_clISt17integral_constantIbLb1EES1P_EEDaS1K_S1L_EUlS1K_E_NS1_11comp_targetILNS1_3genE8ELNS1_11target_archE1030ELNS1_3gpuE2ELNS1_3repE0EEENS1_30default_config_static_selectorELNS0_4arch9wavefront6targetE0EEEvSY_.private_seg_size, 0
	.set _ZN7rocprim17ROCPRIM_400000_NS6detail17trampoline_kernelINS0_13select_configILj256ELj13ELNS0_17block_load_methodE3ELS4_3ELS4_3ELNS0_20block_scan_algorithmE0ELj4294967295EEENS1_25partition_config_selectorILNS1_17partition_subalgoE3EjNS0_10empty_typeEbEEZZNS1_14partition_implILS8_3ELb0ES6_jNS0_17counting_iteratorIjlEEPS9_SE_NS0_5tupleIJPjSE_EEENSF_IJSE_SE_EEES9_SG_JZNS1_25segmented_radix_sort_implINS0_14default_configELb1EPKhPhPKlPlN2at6native12_GLOBAL__N_18offset_tEEE10hipError_tPvRmT1_PNSt15iterator_traitsISY_E10value_typeET2_T3_PNSZ_IS14_E10value_typeET4_jRbjT5_S1A_jjP12ihipStream_tbEUljE_EEESV_SW_SX_S14_S18_S1A_T6_T7_T9_mT8_S1C_bDpT10_ENKUlT_T0_E_clISt17integral_constantIbLb1EES1P_EEDaS1K_S1L_EUlS1K_E_NS1_11comp_targetILNS1_3genE8ELNS1_11target_archE1030ELNS1_3gpuE2ELNS1_3repE0EEENS1_30default_config_static_selectorELNS0_4arch9wavefront6targetE0EEEvSY_.uses_vcc, 0
	.set _ZN7rocprim17ROCPRIM_400000_NS6detail17trampoline_kernelINS0_13select_configILj256ELj13ELNS0_17block_load_methodE3ELS4_3ELS4_3ELNS0_20block_scan_algorithmE0ELj4294967295EEENS1_25partition_config_selectorILNS1_17partition_subalgoE3EjNS0_10empty_typeEbEEZZNS1_14partition_implILS8_3ELb0ES6_jNS0_17counting_iteratorIjlEEPS9_SE_NS0_5tupleIJPjSE_EEENSF_IJSE_SE_EEES9_SG_JZNS1_25segmented_radix_sort_implINS0_14default_configELb1EPKhPhPKlPlN2at6native12_GLOBAL__N_18offset_tEEE10hipError_tPvRmT1_PNSt15iterator_traitsISY_E10value_typeET2_T3_PNSZ_IS14_E10value_typeET4_jRbjT5_S1A_jjP12ihipStream_tbEUljE_EEESV_SW_SX_S14_S18_S1A_T6_T7_T9_mT8_S1C_bDpT10_ENKUlT_T0_E_clISt17integral_constantIbLb1EES1P_EEDaS1K_S1L_EUlS1K_E_NS1_11comp_targetILNS1_3genE8ELNS1_11target_archE1030ELNS1_3gpuE2ELNS1_3repE0EEENS1_30default_config_static_selectorELNS0_4arch9wavefront6targetE0EEEvSY_.uses_flat_scratch, 0
	.set _ZN7rocprim17ROCPRIM_400000_NS6detail17trampoline_kernelINS0_13select_configILj256ELj13ELNS0_17block_load_methodE3ELS4_3ELS4_3ELNS0_20block_scan_algorithmE0ELj4294967295EEENS1_25partition_config_selectorILNS1_17partition_subalgoE3EjNS0_10empty_typeEbEEZZNS1_14partition_implILS8_3ELb0ES6_jNS0_17counting_iteratorIjlEEPS9_SE_NS0_5tupleIJPjSE_EEENSF_IJSE_SE_EEES9_SG_JZNS1_25segmented_radix_sort_implINS0_14default_configELb1EPKhPhPKlPlN2at6native12_GLOBAL__N_18offset_tEEE10hipError_tPvRmT1_PNSt15iterator_traitsISY_E10value_typeET2_T3_PNSZ_IS14_E10value_typeET4_jRbjT5_S1A_jjP12ihipStream_tbEUljE_EEESV_SW_SX_S14_S18_S1A_T6_T7_T9_mT8_S1C_bDpT10_ENKUlT_T0_E_clISt17integral_constantIbLb1EES1P_EEDaS1K_S1L_EUlS1K_E_NS1_11comp_targetILNS1_3genE8ELNS1_11target_archE1030ELNS1_3gpuE2ELNS1_3repE0EEENS1_30default_config_static_selectorELNS0_4arch9wavefront6targetE0EEEvSY_.has_dyn_sized_stack, 0
	.set _ZN7rocprim17ROCPRIM_400000_NS6detail17trampoline_kernelINS0_13select_configILj256ELj13ELNS0_17block_load_methodE3ELS4_3ELS4_3ELNS0_20block_scan_algorithmE0ELj4294967295EEENS1_25partition_config_selectorILNS1_17partition_subalgoE3EjNS0_10empty_typeEbEEZZNS1_14partition_implILS8_3ELb0ES6_jNS0_17counting_iteratorIjlEEPS9_SE_NS0_5tupleIJPjSE_EEENSF_IJSE_SE_EEES9_SG_JZNS1_25segmented_radix_sort_implINS0_14default_configELb1EPKhPhPKlPlN2at6native12_GLOBAL__N_18offset_tEEE10hipError_tPvRmT1_PNSt15iterator_traitsISY_E10value_typeET2_T3_PNSZ_IS14_E10value_typeET4_jRbjT5_S1A_jjP12ihipStream_tbEUljE_EEESV_SW_SX_S14_S18_S1A_T6_T7_T9_mT8_S1C_bDpT10_ENKUlT_T0_E_clISt17integral_constantIbLb1EES1P_EEDaS1K_S1L_EUlS1K_E_NS1_11comp_targetILNS1_3genE8ELNS1_11target_archE1030ELNS1_3gpuE2ELNS1_3repE0EEENS1_30default_config_static_selectorELNS0_4arch9wavefront6targetE0EEEvSY_.has_recursion, 0
	.set _ZN7rocprim17ROCPRIM_400000_NS6detail17trampoline_kernelINS0_13select_configILj256ELj13ELNS0_17block_load_methodE3ELS4_3ELS4_3ELNS0_20block_scan_algorithmE0ELj4294967295EEENS1_25partition_config_selectorILNS1_17partition_subalgoE3EjNS0_10empty_typeEbEEZZNS1_14partition_implILS8_3ELb0ES6_jNS0_17counting_iteratorIjlEEPS9_SE_NS0_5tupleIJPjSE_EEENSF_IJSE_SE_EEES9_SG_JZNS1_25segmented_radix_sort_implINS0_14default_configELb1EPKhPhPKlPlN2at6native12_GLOBAL__N_18offset_tEEE10hipError_tPvRmT1_PNSt15iterator_traitsISY_E10value_typeET2_T3_PNSZ_IS14_E10value_typeET4_jRbjT5_S1A_jjP12ihipStream_tbEUljE_EEESV_SW_SX_S14_S18_S1A_T6_T7_T9_mT8_S1C_bDpT10_ENKUlT_T0_E_clISt17integral_constantIbLb1EES1P_EEDaS1K_S1L_EUlS1K_E_NS1_11comp_targetILNS1_3genE8ELNS1_11target_archE1030ELNS1_3gpuE2ELNS1_3repE0EEENS1_30default_config_static_selectorELNS0_4arch9wavefront6targetE0EEEvSY_.has_indirect_call, 0
	.section	.AMDGPU.csdata,"",@progbits
; Kernel info:
; codeLenInByte = 0
; TotalNumSgprs: 0
; NumVgprs: 0
; ScratchSize: 0
; MemoryBound: 0
; FloatMode: 240
; IeeeMode: 1
; LDSByteSize: 0 bytes/workgroup (compile time only)
; SGPRBlocks: 0
; VGPRBlocks: 0
; NumSGPRsForWavesPerEU: 1
; NumVGPRsForWavesPerEU: 1
; Occupancy: 16
; WaveLimiterHint : 0
; COMPUTE_PGM_RSRC2:SCRATCH_EN: 0
; COMPUTE_PGM_RSRC2:USER_SGPR: 2
; COMPUTE_PGM_RSRC2:TRAP_HANDLER: 0
; COMPUTE_PGM_RSRC2:TGID_X_EN: 1
; COMPUTE_PGM_RSRC2:TGID_Y_EN: 0
; COMPUTE_PGM_RSRC2:TGID_Z_EN: 0
; COMPUTE_PGM_RSRC2:TIDIG_COMP_CNT: 0
	.section	.text._ZN7rocprim17ROCPRIM_400000_NS6detail31init_lookback_scan_state_kernelINS1_19lookback_scan_stateIjLb1ELb1EEENS1_16block_id_wrapperIjLb0EEEEEvT_jT0_jPNS7_10value_typeE,"axG",@progbits,_ZN7rocprim17ROCPRIM_400000_NS6detail31init_lookback_scan_state_kernelINS1_19lookback_scan_stateIjLb1ELb1EEENS1_16block_id_wrapperIjLb0EEEEEvT_jT0_jPNS7_10value_typeE,comdat
	.protected	_ZN7rocprim17ROCPRIM_400000_NS6detail31init_lookback_scan_state_kernelINS1_19lookback_scan_stateIjLb1ELb1EEENS1_16block_id_wrapperIjLb0EEEEEvT_jT0_jPNS7_10value_typeE ; -- Begin function _ZN7rocprim17ROCPRIM_400000_NS6detail31init_lookback_scan_state_kernelINS1_19lookback_scan_stateIjLb1ELb1EEENS1_16block_id_wrapperIjLb0EEEEEvT_jT0_jPNS7_10value_typeE
	.globl	_ZN7rocprim17ROCPRIM_400000_NS6detail31init_lookback_scan_state_kernelINS1_19lookback_scan_stateIjLb1ELb1EEENS1_16block_id_wrapperIjLb0EEEEEvT_jT0_jPNS7_10value_typeE
	.p2align	8
	.type	_ZN7rocprim17ROCPRIM_400000_NS6detail31init_lookback_scan_state_kernelINS1_19lookback_scan_stateIjLb1ELb1EEENS1_16block_id_wrapperIjLb0EEEEEvT_jT0_jPNS7_10value_typeE,@function
_ZN7rocprim17ROCPRIM_400000_NS6detail31init_lookback_scan_state_kernelINS1_19lookback_scan_stateIjLb1ELb1EEENS1_16block_id_wrapperIjLb0EEEEEvT_jT0_jPNS7_10value_typeE: ; @_ZN7rocprim17ROCPRIM_400000_NS6detail31init_lookback_scan_state_kernelINS1_19lookback_scan_stateIjLb1ELb1EEENS1_16block_id_wrapperIjLb0EEEEEvT_jT0_jPNS7_10value_typeE
; %bb.0:
	s_clause 0x2
	s_load_b32 s7, s[0:1], 0x2c
	s_load_b64 s[2:3], s[0:1], 0x18
	s_load_b96 s[4:6], s[0:1], 0x0
	s_wait_kmcnt 0x0
	s_and_b32 s7, s7, 0xffff
	s_cmp_eq_u64 s[2:3], 0
	v_mad_co_u64_u32 v[0:1], null, ttmp9, s7, v[0:1]
	s_cbranch_scc1 .LBB65_9
; %bb.1:
	s_load_b32 s0, s[0:1], 0x10
	s_wait_kmcnt 0x0
	s_cmp_lt_u32 s0, s6
	s_cselect_b32 s1, s0, 0
	s_wait_alu 0xfffe
	v_cmp_eq_u32_e32 vcc_lo, s1, v0
	s_mov_b32 s1, 0
	s_and_saveexec_b32 s7, vcc_lo
	s_cbranch_execz .LBB65_8
; %bb.2:
	s_add_co_i32 s0, s0, 32
	v_mov_b32_e32 v1, 0
	s_wait_alu 0xfffe
	s_lshl_b64 s[0:1], s[0:1], 3
	s_wait_alu 0xfffe
	s_add_nc_u64 s[0:1], s[4:5], s[0:1]
	global_load_b64 v[3:4], v1, s[0:1] scope:SCOPE_DEV
	s_wait_loadcnt 0x0
	v_and_b32_e32 v2, 0xff, v4
	s_delay_alu instid0(VALU_DEP_1)
	v_cmp_ne_u64_e32 vcc_lo, 0, v[1:2]
	s_cbranch_vccnz .LBB65_7
; %bb.3:
	s_mov_b32 s8, 1
.LBB65_4:                               ; =>This Loop Header: Depth=1
                                        ;     Child Loop BB65_5 Depth 2
	s_delay_alu instid0(SALU_CYCLE_1)
	s_mov_b32 s9, s8
.LBB65_5:                               ;   Parent Loop BB65_4 Depth=1
                                        ; =>  This Inner Loop Header: Depth=2
	s_delay_alu instid0(SALU_CYCLE_1)
	s_add_co_i32 s9, s9, -1
	s_sleep 1
	s_cmp_eq_u32 s9, 0
	s_cbranch_scc0 .LBB65_5
; %bb.6:                                ;   in Loop: Header=BB65_4 Depth=1
	global_load_b64 v[3:4], v1, s[0:1] scope:SCOPE_DEV
	s_cmp_lt_u32 s8, 32
	s_cselect_b32 s9, -1, 0
	s_delay_alu instid0(SALU_CYCLE_1) | instskip(SKIP_3) | instid1(VALU_DEP_1)
	s_cmp_lg_u32 s9, 0
	s_add_co_ci_u32 s8, s8, 0
	s_wait_loadcnt 0x0
	v_and_b32_e32 v2, 0xff, v4
	v_cmp_ne_u64_e32 vcc_lo, 0, v[1:2]
	s_cbranch_vccz .LBB65_4
.LBB65_7:
	v_mov_b32_e32 v1, 0
	global_store_b32 v1, v3, s[2:3]
.LBB65_8:
	s_wait_alu 0xfffe
	s_or_b32 exec_lo, exec_lo, s7
.LBB65_9:
	s_delay_alu instid0(SALU_CYCLE_1)
	s_mov_b32 s0, exec_lo
	v_cmpx_gt_u32_e64 s6, v0
	s_cbranch_execz .LBB65_11
; %bb.10:
	v_dual_mov_b32 v2, 0 :: v_dual_add_nc_u32 v1, 32, v0
	s_delay_alu instid0(VALU_DEP_1) | instskip(SKIP_1) | instid1(VALU_DEP_2)
	v_lshlrev_b64_e32 v[3:4], 3, v[1:2]
	v_mov_b32_e32 v1, v2
	v_add_co_u32 v3, vcc_lo, s4, v3
	s_delay_alu instid0(VALU_DEP_1)
	v_add_co_ci_u32_e64 v4, null, s5, v4, vcc_lo
	global_store_b64 v[3:4], v[1:2], off
.LBB65_11:
	s_wait_alu 0xfffe
	s_or_b32 exec_lo, exec_lo, s0
	s_delay_alu instid0(SALU_CYCLE_1)
	s_mov_b32 s0, exec_lo
	v_cmpx_gt_u32_e32 32, v0
	s_cbranch_execz .LBB65_13
; %bb.12:
	v_dual_mov_b32 v1, 0 :: v_dual_mov_b32 v4, 0xff
	s_delay_alu instid0(VALU_DEP_1) | instskip(NEXT) | instid1(VALU_DEP_1)
	v_lshlrev_b64_e32 v[2:3], 3, v[0:1]
	v_add_co_u32 v5, vcc_lo, s4, v2
	s_wait_alu 0xfffd
	s_delay_alu instid0(VALU_DEP_2)
	v_add_co_ci_u32_e64 v6, null, s5, v3, vcc_lo
	v_mov_b32_e32 v3, v1
	global_store_b64 v[5:6], v[3:4], off
.LBB65_13:
	s_endpgm
	.section	.rodata,"a",@progbits
	.p2align	6, 0x0
	.amdhsa_kernel _ZN7rocprim17ROCPRIM_400000_NS6detail31init_lookback_scan_state_kernelINS1_19lookback_scan_stateIjLb1ELb1EEENS1_16block_id_wrapperIjLb0EEEEEvT_jT0_jPNS7_10value_typeE
		.amdhsa_group_segment_fixed_size 0
		.amdhsa_private_segment_fixed_size 0
		.amdhsa_kernarg_size 288
		.amdhsa_user_sgpr_count 2
		.amdhsa_user_sgpr_dispatch_ptr 0
		.amdhsa_user_sgpr_queue_ptr 0
		.amdhsa_user_sgpr_kernarg_segment_ptr 1
		.amdhsa_user_sgpr_dispatch_id 0
		.amdhsa_user_sgpr_private_segment_size 0
		.amdhsa_wavefront_size32 1
		.amdhsa_uses_dynamic_stack 0
		.amdhsa_enable_private_segment 0
		.amdhsa_system_sgpr_workgroup_id_x 1
		.amdhsa_system_sgpr_workgroup_id_y 0
		.amdhsa_system_sgpr_workgroup_id_z 0
		.amdhsa_system_sgpr_workgroup_info 0
		.amdhsa_system_vgpr_workitem_id 0
		.amdhsa_next_free_vgpr 7
		.amdhsa_next_free_sgpr 10
		.amdhsa_reserve_vcc 1
		.amdhsa_float_round_mode_32 0
		.amdhsa_float_round_mode_16_64 0
		.amdhsa_float_denorm_mode_32 3
		.amdhsa_float_denorm_mode_16_64 3
		.amdhsa_fp16_overflow 0
		.amdhsa_workgroup_processor_mode 1
		.amdhsa_memory_ordered 1
		.amdhsa_forward_progress 1
		.amdhsa_inst_pref_size 4
		.amdhsa_round_robin_scheduling 0
		.amdhsa_exception_fp_ieee_invalid_op 0
		.amdhsa_exception_fp_denorm_src 0
		.amdhsa_exception_fp_ieee_div_zero 0
		.amdhsa_exception_fp_ieee_overflow 0
		.amdhsa_exception_fp_ieee_underflow 0
		.amdhsa_exception_fp_ieee_inexact 0
		.amdhsa_exception_int_div_zero 0
	.end_amdhsa_kernel
	.section	.text._ZN7rocprim17ROCPRIM_400000_NS6detail31init_lookback_scan_state_kernelINS1_19lookback_scan_stateIjLb1ELb1EEENS1_16block_id_wrapperIjLb0EEEEEvT_jT0_jPNS7_10value_typeE,"axG",@progbits,_ZN7rocprim17ROCPRIM_400000_NS6detail31init_lookback_scan_state_kernelINS1_19lookback_scan_stateIjLb1ELb1EEENS1_16block_id_wrapperIjLb0EEEEEvT_jT0_jPNS7_10value_typeE,comdat
.Lfunc_end65:
	.size	_ZN7rocprim17ROCPRIM_400000_NS6detail31init_lookback_scan_state_kernelINS1_19lookback_scan_stateIjLb1ELb1EEENS1_16block_id_wrapperIjLb0EEEEEvT_jT0_jPNS7_10value_typeE, .Lfunc_end65-_ZN7rocprim17ROCPRIM_400000_NS6detail31init_lookback_scan_state_kernelINS1_19lookback_scan_stateIjLb1ELb1EEENS1_16block_id_wrapperIjLb0EEEEEvT_jT0_jPNS7_10value_typeE
                                        ; -- End function
	.set _ZN7rocprim17ROCPRIM_400000_NS6detail31init_lookback_scan_state_kernelINS1_19lookback_scan_stateIjLb1ELb1EEENS1_16block_id_wrapperIjLb0EEEEEvT_jT0_jPNS7_10value_typeE.num_vgpr, 7
	.set _ZN7rocprim17ROCPRIM_400000_NS6detail31init_lookback_scan_state_kernelINS1_19lookback_scan_stateIjLb1ELb1EEENS1_16block_id_wrapperIjLb0EEEEEvT_jT0_jPNS7_10value_typeE.num_agpr, 0
	.set _ZN7rocprim17ROCPRIM_400000_NS6detail31init_lookback_scan_state_kernelINS1_19lookback_scan_stateIjLb1ELb1EEENS1_16block_id_wrapperIjLb0EEEEEvT_jT0_jPNS7_10value_typeE.numbered_sgpr, 10
	.set _ZN7rocprim17ROCPRIM_400000_NS6detail31init_lookback_scan_state_kernelINS1_19lookback_scan_stateIjLb1ELb1EEENS1_16block_id_wrapperIjLb0EEEEEvT_jT0_jPNS7_10value_typeE.num_named_barrier, 0
	.set _ZN7rocprim17ROCPRIM_400000_NS6detail31init_lookback_scan_state_kernelINS1_19lookback_scan_stateIjLb1ELb1EEENS1_16block_id_wrapperIjLb0EEEEEvT_jT0_jPNS7_10value_typeE.private_seg_size, 0
	.set _ZN7rocprim17ROCPRIM_400000_NS6detail31init_lookback_scan_state_kernelINS1_19lookback_scan_stateIjLb1ELb1EEENS1_16block_id_wrapperIjLb0EEEEEvT_jT0_jPNS7_10value_typeE.uses_vcc, 1
	.set _ZN7rocprim17ROCPRIM_400000_NS6detail31init_lookback_scan_state_kernelINS1_19lookback_scan_stateIjLb1ELb1EEENS1_16block_id_wrapperIjLb0EEEEEvT_jT0_jPNS7_10value_typeE.uses_flat_scratch, 0
	.set _ZN7rocprim17ROCPRIM_400000_NS6detail31init_lookback_scan_state_kernelINS1_19lookback_scan_stateIjLb1ELb1EEENS1_16block_id_wrapperIjLb0EEEEEvT_jT0_jPNS7_10value_typeE.has_dyn_sized_stack, 0
	.set _ZN7rocprim17ROCPRIM_400000_NS6detail31init_lookback_scan_state_kernelINS1_19lookback_scan_stateIjLb1ELb1EEENS1_16block_id_wrapperIjLb0EEEEEvT_jT0_jPNS7_10value_typeE.has_recursion, 0
	.set _ZN7rocprim17ROCPRIM_400000_NS6detail31init_lookback_scan_state_kernelINS1_19lookback_scan_stateIjLb1ELb1EEENS1_16block_id_wrapperIjLb0EEEEEvT_jT0_jPNS7_10value_typeE.has_indirect_call, 0
	.section	.AMDGPU.csdata,"",@progbits
; Kernel info:
; codeLenInByte = 424
; TotalNumSgprs: 12
; NumVgprs: 7
; ScratchSize: 0
; MemoryBound: 0
; FloatMode: 240
; IeeeMode: 1
; LDSByteSize: 0 bytes/workgroup (compile time only)
; SGPRBlocks: 0
; VGPRBlocks: 0
; NumSGPRsForWavesPerEU: 12
; NumVGPRsForWavesPerEU: 7
; Occupancy: 16
; WaveLimiterHint : 0
; COMPUTE_PGM_RSRC2:SCRATCH_EN: 0
; COMPUTE_PGM_RSRC2:USER_SGPR: 2
; COMPUTE_PGM_RSRC2:TRAP_HANDLER: 0
; COMPUTE_PGM_RSRC2:TGID_X_EN: 1
; COMPUTE_PGM_RSRC2:TGID_Y_EN: 0
; COMPUTE_PGM_RSRC2:TGID_Z_EN: 0
; COMPUTE_PGM_RSRC2:TIDIG_COMP_CNT: 0
	.section	.text._ZN7rocprim17ROCPRIM_400000_NS6detail17trampoline_kernelINS0_13select_configILj256ELj13ELNS0_17block_load_methodE3ELS4_3ELS4_3ELNS0_20block_scan_algorithmE0ELj4294967295EEENS1_25partition_config_selectorILNS1_17partition_subalgoE3EjNS0_10empty_typeEbEEZZNS1_14partition_implILS8_3ELb0ES6_jNS0_17counting_iteratorIjlEEPS9_SE_NS0_5tupleIJPjSE_EEENSF_IJSE_SE_EEES9_SG_JZNS1_25segmented_radix_sort_implINS0_14default_configELb1EPKhPhPKlPlN2at6native12_GLOBAL__N_18offset_tEEE10hipError_tPvRmT1_PNSt15iterator_traitsISY_E10value_typeET2_T3_PNSZ_IS14_E10value_typeET4_jRbjT5_S1A_jjP12ihipStream_tbEUljE_EEESV_SW_SX_S14_S18_S1A_T6_T7_T9_mT8_S1C_bDpT10_ENKUlT_T0_E_clISt17integral_constantIbLb1EES1O_IbLb0EEEEDaS1K_S1L_EUlS1K_E_NS1_11comp_targetILNS1_3genE0ELNS1_11target_archE4294967295ELNS1_3gpuE0ELNS1_3repE0EEENS1_30default_config_static_selectorELNS0_4arch9wavefront6targetE0EEEvSY_,"axG",@progbits,_ZN7rocprim17ROCPRIM_400000_NS6detail17trampoline_kernelINS0_13select_configILj256ELj13ELNS0_17block_load_methodE3ELS4_3ELS4_3ELNS0_20block_scan_algorithmE0ELj4294967295EEENS1_25partition_config_selectorILNS1_17partition_subalgoE3EjNS0_10empty_typeEbEEZZNS1_14partition_implILS8_3ELb0ES6_jNS0_17counting_iteratorIjlEEPS9_SE_NS0_5tupleIJPjSE_EEENSF_IJSE_SE_EEES9_SG_JZNS1_25segmented_radix_sort_implINS0_14default_configELb1EPKhPhPKlPlN2at6native12_GLOBAL__N_18offset_tEEE10hipError_tPvRmT1_PNSt15iterator_traitsISY_E10value_typeET2_T3_PNSZ_IS14_E10value_typeET4_jRbjT5_S1A_jjP12ihipStream_tbEUljE_EEESV_SW_SX_S14_S18_S1A_T6_T7_T9_mT8_S1C_bDpT10_ENKUlT_T0_E_clISt17integral_constantIbLb1EES1O_IbLb0EEEEDaS1K_S1L_EUlS1K_E_NS1_11comp_targetILNS1_3genE0ELNS1_11target_archE4294967295ELNS1_3gpuE0ELNS1_3repE0EEENS1_30default_config_static_selectorELNS0_4arch9wavefront6targetE0EEEvSY_,comdat
	.globl	_ZN7rocprim17ROCPRIM_400000_NS6detail17trampoline_kernelINS0_13select_configILj256ELj13ELNS0_17block_load_methodE3ELS4_3ELS4_3ELNS0_20block_scan_algorithmE0ELj4294967295EEENS1_25partition_config_selectorILNS1_17partition_subalgoE3EjNS0_10empty_typeEbEEZZNS1_14partition_implILS8_3ELb0ES6_jNS0_17counting_iteratorIjlEEPS9_SE_NS0_5tupleIJPjSE_EEENSF_IJSE_SE_EEES9_SG_JZNS1_25segmented_radix_sort_implINS0_14default_configELb1EPKhPhPKlPlN2at6native12_GLOBAL__N_18offset_tEEE10hipError_tPvRmT1_PNSt15iterator_traitsISY_E10value_typeET2_T3_PNSZ_IS14_E10value_typeET4_jRbjT5_S1A_jjP12ihipStream_tbEUljE_EEESV_SW_SX_S14_S18_S1A_T6_T7_T9_mT8_S1C_bDpT10_ENKUlT_T0_E_clISt17integral_constantIbLb1EES1O_IbLb0EEEEDaS1K_S1L_EUlS1K_E_NS1_11comp_targetILNS1_3genE0ELNS1_11target_archE4294967295ELNS1_3gpuE0ELNS1_3repE0EEENS1_30default_config_static_selectorELNS0_4arch9wavefront6targetE0EEEvSY_ ; -- Begin function _ZN7rocprim17ROCPRIM_400000_NS6detail17trampoline_kernelINS0_13select_configILj256ELj13ELNS0_17block_load_methodE3ELS4_3ELS4_3ELNS0_20block_scan_algorithmE0ELj4294967295EEENS1_25partition_config_selectorILNS1_17partition_subalgoE3EjNS0_10empty_typeEbEEZZNS1_14partition_implILS8_3ELb0ES6_jNS0_17counting_iteratorIjlEEPS9_SE_NS0_5tupleIJPjSE_EEENSF_IJSE_SE_EEES9_SG_JZNS1_25segmented_radix_sort_implINS0_14default_configELb1EPKhPhPKlPlN2at6native12_GLOBAL__N_18offset_tEEE10hipError_tPvRmT1_PNSt15iterator_traitsISY_E10value_typeET2_T3_PNSZ_IS14_E10value_typeET4_jRbjT5_S1A_jjP12ihipStream_tbEUljE_EEESV_SW_SX_S14_S18_S1A_T6_T7_T9_mT8_S1C_bDpT10_ENKUlT_T0_E_clISt17integral_constantIbLb1EES1O_IbLb0EEEEDaS1K_S1L_EUlS1K_E_NS1_11comp_targetILNS1_3genE0ELNS1_11target_archE4294967295ELNS1_3gpuE0ELNS1_3repE0EEENS1_30default_config_static_selectorELNS0_4arch9wavefront6targetE0EEEvSY_
	.p2align	8
	.type	_ZN7rocprim17ROCPRIM_400000_NS6detail17trampoline_kernelINS0_13select_configILj256ELj13ELNS0_17block_load_methodE3ELS4_3ELS4_3ELNS0_20block_scan_algorithmE0ELj4294967295EEENS1_25partition_config_selectorILNS1_17partition_subalgoE3EjNS0_10empty_typeEbEEZZNS1_14partition_implILS8_3ELb0ES6_jNS0_17counting_iteratorIjlEEPS9_SE_NS0_5tupleIJPjSE_EEENSF_IJSE_SE_EEES9_SG_JZNS1_25segmented_radix_sort_implINS0_14default_configELb1EPKhPhPKlPlN2at6native12_GLOBAL__N_18offset_tEEE10hipError_tPvRmT1_PNSt15iterator_traitsISY_E10value_typeET2_T3_PNSZ_IS14_E10value_typeET4_jRbjT5_S1A_jjP12ihipStream_tbEUljE_EEESV_SW_SX_S14_S18_S1A_T6_T7_T9_mT8_S1C_bDpT10_ENKUlT_T0_E_clISt17integral_constantIbLb1EES1O_IbLb0EEEEDaS1K_S1L_EUlS1K_E_NS1_11comp_targetILNS1_3genE0ELNS1_11target_archE4294967295ELNS1_3gpuE0ELNS1_3repE0EEENS1_30default_config_static_selectorELNS0_4arch9wavefront6targetE0EEEvSY_,@function
_ZN7rocprim17ROCPRIM_400000_NS6detail17trampoline_kernelINS0_13select_configILj256ELj13ELNS0_17block_load_methodE3ELS4_3ELS4_3ELNS0_20block_scan_algorithmE0ELj4294967295EEENS1_25partition_config_selectorILNS1_17partition_subalgoE3EjNS0_10empty_typeEbEEZZNS1_14partition_implILS8_3ELb0ES6_jNS0_17counting_iteratorIjlEEPS9_SE_NS0_5tupleIJPjSE_EEENSF_IJSE_SE_EEES9_SG_JZNS1_25segmented_radix_sort_implINS0_14default_configELb1EPKhPhPKlPlN2at6native12_GLOBAL__N_18offset_tEEE10hipError_tPvRmT1_PNSt15iterator_traitsISY_E10value_typeET2_T3_PNSZ_IS14_E10value_typeET4_jRbjT5_S1A_jjP12ihipStream_tbEUljE_EEESV_SW_SX_S14_S18_S1A_T6_T7_T9_mT8_S1C_bDpT10_ENKUlT_T0_E_clISt17integral_constantIbLb1EES1O_IbLb0EEEEDaS1K_S1L_EUlS1K_E_NS1_11comp_targetILNS1_3genE0ELNS1_11target_archE4294967295ELNS1_3gpuE0ELNS1_3repE0EEENS1_30default_config_static_selectorELNS0_4arch9wavefront6targetE0EEEvSY_: ; @_ZN7rocprim17ROCPRIM_400000_NS6detail17trampoline_kernelINS0_13select_configILj256ELj13ELNS0_17block_load_methodE3ELS4_3ELS4_3ELNS0_20block_scan_algorithmE0ELj4294967295EEENS1_25partition_config_selectorILNS1_17partition_subalgoE3EjNS0_10empty_typeEbEEZZNS1_14partition_implILS8_3ELb0ES6_jNS0_17counting_iteratorIjlEEPS9_SE_NS0_5tupleIJPjSE_EEENSF_IJSE_SE_EEES9_SG_JZNS1_25segmented_radix_sort_implINS0_14default_configELb1EPKhPhPKlPlN2at6native12_GLOBAL__N_18offset_tEEE10hipError_tPvRmT1_PNSt15iterator_traitsISY_E10value_typeET2_T3_PNSZ_IS14_E10value_typeET4_jRbjT5_S1A_jjP12ihipStream_tbEUljE_EEESV_SW_SX_S14_S18_S1A_T6_T7_T9_mT8_S1C_bDpT10_ENKUlT_T0_E_clISt17integral_constantIbLb1EES1O_IbLb0EEEEDaS1K_S1L_EUlS1K_E_NS1_11comp_targetILNS1_3genE0ELNS1_11target_archE4294967295ELNS1_3gpuE0ELNS1_3repE0EEENS1_30default_config_static_selectorELNS0_4arch9wavefront6targetE0EEEvSY_
; %bb.0:
	.section	.rodata,"a",@progbits
	.p2align	6, 0x0
	.amdhsa_kernel _ZN7rocprim17ROCPRIM_400000_NS6detail17trampoline_kernelINS0_13select_configILj256ELj13ELNS0_17block_load_methodE3ELS4_3ELS4_3ELNS0_20block_scan_algorithmE0ELj4294967295EEENS1_25partition_config_selectorILNS1_17partition_subalgoE3EjNS0_10empty_typeEbEEZZNS1_14partition_implILS8_3ELb0ES6_jNS0_17counting_iteratorIjlEEPS9_SE_NS0_5tupleIJPjSE_EEENSF_IJSE_SE_EEES9_SG_JZNS1_25segmented_radix_sort_implINS0_14default_configELb1EPKhPhPKlPlN2at6native12_GLOBAL__N_18offset_tEEE10hipError_tPvRmT1_PNSt15iterator_traitsISY_E10value_typeET2_T3_PNSZ_IS14_E10value_typeET4_jRbjT5_S1A_jjP12ihipStream_tbEUljE_EEESV_SW_SX_S14_S18_S1A_T6_T7_T9_mT8_S1C_bDpT10_ENKUlT_T0_E_clISt17integral_constantIbLb1EES1O_IbLb0EEEEDaS1K_S1L_EUlS1K_E_NS1_11comp_targetILNS1_3genE0ELNS1_11target_archE4294967295ELNS1_3gpuE0ELNS1_3repE0EEENS1_30default_config_static_selectorELNS0_4arch9wavefront6targetE0EEEvSY_
		.amdhsa_group_segment_fixed_size 0
		.amdhsa_private_segment_fixed_size 0
		.amdhsa_kernarg_size 144
		.amdhsa_user_sgpr_count 2
		.amdhsa_user_sgpr_dispatch_ptr 0
		.amdhsa_user_sgpr_queue_ptr 0
		.amdhsa_user_sgpr_kernarg_segment_ptr 1
		.amdhsa_user_sgpr_dispatch_id 0
		.amdhsa_user_sgpr_private_segment_size 0
		.amdhsa_wavefront_size32 1
		.amdhsa_uses_dynamic_stack 0
		.amdhsa_enable_private_segment 0
		.amdhsa_system_sgpr_workgroup_id_x 1
		.amdhsa_system_sgpr_workgroup_id_y 0
		.amdhsa_system_sgpr_workgroup_id_z 0
		.amdhsa_system_sgpr_workgroup_info 0
		.amdhsa_system_vgpr_workitem_id 0
		.amdhsa_next_free_vgpr 1
		.amdhsa_next_free_sgpr 1
		.amdhsa_reserve_vcc 0
		.amdhsa_float_round_mode_32 0
		.amdhsa_float_round_mode_16_64 0
		.amdhsa_float_denorm_mode_32 3
		.amdhsa_float_denorm_mode_16_64 3
		.amdhsa_fp16_overflow 0
		.amdhsa_workgroup_processor_mode 1
		.amdhsa_memory_ordered 1
		.amdhsa_forward_progress 1
		.amdhsa_inst_pref_size 0
		.amdhsa_round_robin_scheduling 0
		.amdhsa_exception_fp_ieee_invalid_op 0
		.amdhsa_exception_fp_denorm_src 0
		.amdhsa_exception_fp_ieee_div_zero 0
		.amdhsa_exception_fp_ieee_overflow 0
		.amdhsa_exception_fp_ieee_underflow 0
		.amdhsa_exception_fp_ieee_inexact 0
		.amdhsa_exception_int_div_zero 0
	.end_amdhsa_kernel
	.section	.text._ZN7rocprim17ROCPRIM_400000_NS6detail17trampoline_kernelINS0_13select_configILj256ELj13ELNS0_17block_load_methodE3ELS4_3ELS4_3ELNS0_20block_scan_algorithmE0ELj4294967295EEENS1_25partition_config_selectorILNS1_17partition_subalgoE3EjNS0_10empty_typeEbEEZZNS1_14partition_implILS8_3ELb0ES6_jNS0_17counting_iteratorIjlEEPS9_SE_NS0_5tupleIJPjSE_EEENSF_IJSE_SE_EEES9_SG_JZNS1_25segmented_radix_sort_implINS0_14default_configELb1EPKhPhPKlPlN2at6native12_GLOBAL__N_18offset_tEEE10hipError_tPvRmT1_PNSt15iterator_traitsISY_E10value_typeET2_T3_PNSZ_IS14_E10value_typeET4_jRbjT5_S1A_jjP12ihipStream_tbEUljE_EEESV_SW_SX_S14_S18_S1A_T6_T7_T9_mT8_S1C_bDpT10_ENKUlT_T0_E_clISt17integral_constantIbLb1EES1O_IbLb0EEEEDaS1K_S1L_EUlS1K_E_NS1_11comp_targetILNS1_3genE0ELNS1_11target_archE4294967295ELNS1_3gpuE0ELNS1_3repE0EEENS1_30default_config_static_selectorELNS0_4arch9wavefront6targetE0EEEvSY_,"axG",@progbits,_ZN7rocprim17ROCPRIM_400000_NS6detail17trampoline_kernelINS0_13select_configILj256ELj13ELNS0_17block_load_methodE3ELS4_3ELS4_3ELNS0_20block_scan_algorithmE0ELj4294967295EEENS1_25partition_config_selectorILNS1_17partition_subalgoE3EjNS0_10empty_typeEbEEZZNS1_14partition_implILS8_3ELb0ES6_jNS0_17counting_iteratorIjlEEPS9_SE_NS0_5tupleIJPjSE_EEENSF_IJSE_SE_EEES9_SG_JZNS1_25segmented_radix_sort_implINS0_14default_configELb1EPKhPhPKlPlN2at6native12_GLOBAL__N_18offset_tEEE10hipError_tPvRmT1_PNSt15iterator_traitsISY_E10value_typeET2_T3_PNSZ_IS14_E10value_typeET4_jRbjT5_S1A_jjP12ihipStream_tbEUljE_EEESV_SW_SX_S14_S18_S1A_T6_T7_T9_mT8_S1C_bDpT10_ENKUlT_T0_E_clISt17integral_constantIbLb1EES1O_IbLb0EEEEDaS1K_S1L_EUlS1K_E_NS1_11comp_targetILNS1_3genE0ELNS1_11target_archE4294967295ELNS1_3gpuE0ELNS1_3repE0EEENS1_30default_config_static_selectorELNS0_4arch9wavefront6targetE0EEEvSY_,comdat
.Lfunc_end66:
	.size	_ZN7rocprim17ROCPRIM_400000_NS6detail17trampoline_kernelINS0_13select_configILj256ELj13ELNS0_17block_load_methodE3ELS4_3ELS4_3ELNS0_20block_scan_algorithmE0ELj4294967295EEENS1_25partition_config_selectorILNS1_17partition_subalgoE3EjNS0_10empty_typeEbEEZZNS1_14partition_implILS8_3ELb0ES6_jNS0_17counting_iteratorIjlEEPS9_SE_NS0_5tupleIJPjSE_EEENSF_IJSE_SE_EEES9_SG_JZNS1_25segmented_radix_sort_implINS0_14default_configELb1EPKhPhPKlPlN2at6native12_GLOBAL__N_18offset_tEEE10hipError_tPvRmT1_PNSt15iterator_traitsISY_E10value_typeET2_T3_PNSZ_IS14_E10value_typeET4_jRbjT5_S1A_jjP12ihipStream_tbEUljE_EEESV_SW_SX_S14_S18_S1A_T6_T7_T9_mT8_S1C_bDpT10_ENKUlT_T0_E_clISt17integral_constantIbLb1EES1O_IbLb0EEEEDaS1K_S1L_EUlS1K_E_NS1_11comp_targetILNS1_3genE0ELNS1_11target_archE4294967295ELNS1_3gpuE0ELNS1_3repE0EEENS1_30default_config_static_selectorELNS0_4arch9wavefront6targetE0EEEvSY_, .Lfunc_end66-_ZN7rocprim17ROCPRIM_400000_NS6detail17trampoline_kernelINS0_13select_configILj256ELj13ELNS0_17block_load_methodE3ELS4_3ELS4_3ELNS0_20block_scan_algorithmE0ELj4294967295EEENS1_25partition_config_selectorILNS1_17partition_subalgoE3EjNS0_10empty_typeEbEEZZNS1_14partition_implILS8_3ELb0ES6_jNS0_17counting_iteratorIjlEEPS9_SE_NS0_5tupleIJPjSE_EEENSF_IJSE_SE_EEES9_SG_JZNS1_25segmented_radix_sort_implINS0_14default_configELb1EPKhPhPKlPlN2at6native12_GLOBAL__N_18offset_tEEE10hipError_tPvRmT1_PNSt15iterator_traitsISY_E10value_typeET2_T3_PNSZ_IS14_E10value_typeET4_jRbjT5_S1A_jjP12ihipStream_tbEUljE_EEESV_SW_SX_S14_S18_S1A_T6_T7_T9_mT8_S1C_bDpT10_ENKUlT_T0_E_clISt17integral_constantIbLb1EES1O_IbLb0EEEEDaS1K_S1L_EUlS1K_E_NS1_11comp_targetILNS1_3genE0ELNS1_11target_archE4294967295ELNS1_3gpuE0ELNS1_3repE0EEENS1_30default_config_static_selectorELNS0_4arch9wavefront6targetE0EEEvSY_
                                        ; -- End function
	.set _ZN7rocprim17ROCPRIM_400000_NS6detail17trampoline_kernelINS0_13select_configILj256ELj13ELNS0_17block_load_methodE3ELS4_3ELS4_3ELNS0_20block_scan_algorithmE0ELj4294967295EEENS1_25partition_config_selectorILNS1_17partition_subalgoE3EjNS0_10empty_typeEbEEZZNS1_14partition_implILS8_3ELb0ES6_jNS0_17counting_iteratorIjlEEPS9_SE_NS0_5tupleIJPjSE_EEENSF_IJSE_SE_EEES9_SG_JZNS1_25segmented_radix_sort_implINS0_14default_configELb1EPKhPhPKlPlN2at6native12_GLOBAL__N_18offset_tEEE10hipError_tPvRmT1_PNSt15iterator_traitsISY_E10value_typeET2_T3_PNSZ_IS14_E10value_typeET4_jRbjT5_S1A_jjP12ihipStream_tbEUljE_EEESV_SW_SX_S14_S18_S1A_T6_T7_T9_mT8_S1C_bDpT10_ENKUlT_T0_E_clISt17integral_constantIbLb1EES1O_IbLb0EEEEDaS1K_S1L_EUlS1K_E_NS1_11comp_targetILNS1_3genE0ELNS1_11target_archE4294967295ELNS1_3gpuE0ELNS1_3repE0EEENS1_30default_config_static_selectorELNS0_4arch9wavefront6targetE0EEEvSY_.num_vgpr, 0
	.set _ZN7rocprim17ROCPRIM_400000_NS6detail17trampoline_kernelINS0_13select_configILj256ELj13ELNS0_17block_load_methodE3ELS4_3ELS4_3ELNS0_20block_scan_algorithmE0ELj4294967295EEENS1_25partition_config_selectorILNS1_17partition_subalgoE3EjNS0_10empty_typeEbEEZZNS1_14partition_implILS8_3ELb0ES6_jNS0_17counting_iteratorIjlEEPS9_SE_NS0_5tupleIJPjSE_EEENSF_IJSE_SE_EEES9_SG_JZNS1_25segmented_radix_sort_implINS0_14default_configELb1EPKhPhPKlPlN2at6native12_GLOBAL__N_18offset_tEEE10hipError_tPvRmT1_PNSt15iterator_traitsISY_E10value_typeET2_T3_PNSZ_IS14_E10value_typeET4_jRbjT5_S1A_jjP12ihipStream_tbEUljE_EEESV_SW_SX_S14_S18_S1A_T6_T7_T9_mT8_S1C_bDpT10_ENKUlT_T0_E_clISt17integral_constantIbLb1EES1O_IbLb0EEEEDaS1K_S1L_EUlS1K_E_NS1_11comp_targetILNS1_3genE0ELNS1_11target_archE4294967295ELNS1_3gpuE0ELNS1_3repE0EEENS1_30default_config_static_selectorELNS0_4arch9wavefront6targetE0EEEvSY_.num_agpr, 0
	.set _ZN7rocprim17ROCPRIM_400000_NS6detail17trampoline_kernelINS0_13select_configILj256ELj13ELNS0_17block_load_methodE3ELS4_3ELS4_3ELNS0_20block_scan_algorithmE0ELj4294967295EEENS1_25partition_config_selectorILNS1_17partition_subalgoE3EjNS0_10empty_typeEbEEZZNS1_14partition_implILS8_3ELb0ES6_jNS0_17counting_iteratorIjlEEPS9_SE_NS0_5tupleIJPjSE_EEENSF_IJSE_SE_EEES9_SG_JZNS1_25segmented_radix_sort_implINS0_14default_configELb1EPKhPhPKlPlN2at6native12_GLOBAL__N_18offset_tEEE10hipError_tPvRmT1_PNSt15iterator_traitsISY_E10value_typeET2_T3_PNSZ_IS14_E10value_typeET4_jRbjT5_S1A_jjP12ihipStream_tbEUljE_EEESV_SW_SX_S14_S18_S1A_T6_T7_T9_mT8_S1C_bDpT10_ENKUlT_T0_E_clISt17integral_constantIbLb1EES1O_IbLb0EEEEDaS1K_S1L_EUlS1K_E_NS1_11comp_targetILNS1_3genE0ELNS1_11target_archE4294967295ELNS1_3gpuE0ELNS1_3repE0EEENS1_30default_config_static_selectorELNS0_4arch9wavefront6targetE0EEEvSY_.numbered_sgpr, 0
	.set _ZN7rocprim17ROCPRIM_400000_NS6detail17trampoline_kernelINS0_13select_configILj256ELj13ELNS0_17block_load_methodE3ELS4_3ELS4_3ELNS0_20block_scan_algorithmE0ELj4294967295EEENS1_25partition_config_selectorILNS1_17partition_subalgoE3EjNS0_10empty_typeEbEEZZNS1_14partition_implILS8_3ELb0ES6_jNS0_17counting_iteratorIjlEEPS9_SE_NS0_5tupleIJPjSE_EEENSF_IJSE_SE_EEES9_SG_JZNS1_25segmented_radix_sort_implINS0_14default_configELb1EPKhPhPKlPlN2at6native12_GLOBAL__N_18offset_tEEE10hipError_tPvRmT1_PNSt15iterator_traitsISY_E10value_typeET2_T3_PNSZ_IS14_E10value_typeET4_jRbjT5_S1A_jjP12ihipStream_tbEUljE_EEESV_SW_SX_S14_S18_S1A_T6_T7_T9_mT8_S1C_bDpT10_ENKUlT_T0_E_clISt17integral_constantIbLb1EES1O_IbLb0EEEEDaS1K_S1L_EUlS1K_E_NS1_11comp_targetILNS1_3genE0ELNS1_11target_archE4294967295ELNS1_3gpuE0ELNS1_3repE0EEENS1_30default_config_static_selectorELNS0_4arch9wavefront6targetE0EEEvSY_.num_named_barrier, 0
	.set _ZN7rocprim17ROCPRIM_400000_NS6detail17trampoline_kernelINS0_13select_configILj256ELj13ELNS0_17block_load_methodE3ELS4_3ELS4_3ELNS0_20block_scan_algorithmE0ELj4294967295EEENS1_25partition_config_selectorILNS1_17partition_subalgoE3EjNS0_10empty_typeEbEEZZNS1_14partition_implILS8_3ELb0ES6_jNS0_17counting_iteratorIjlEEPS9_SE_NS0_5tupleIJPjSE_EEENSF_IJSE_SE_EEES9_SG_JZNS1_25segmented_radix_sort_implINS0_14default_configELb1EPKhPhPKlPlN2at6native12_GLOBAL__N_18offset_tEEE10hipError_tPvRmT1_PNSt15iterator_traitsISY_E10value_typeET2_T3_PNSZ_IS14_E10value_typeET4_jRbjT5_S1A_jjP12ihipStream_tbEUljE_EEESV_SW_SX_S14_S18_S1A_T6_T7_T9_mT8_S1C_bDpT10_ENKUlT_T0_E_clISt17integral_constantIbLb1EES1O_IbLb0EEEEDaS1K_S1L_EUlS1K_E_NS1_11comp_targetILNS1_3genE0ELNS1_11target_archE4294967295ELNS1_3gpuE0ELNS1_3repE0EEENS1_30default_config_static_selectorELNS0_4arch9wavefront6targetE0EEEvSY_.private_seg_size, 0
	.set _ZN7rocprim17ROCPRIM_400000_NS6detail17trampoline_kernelINS0_13select_configILj256ELj13ELNS0_17block_load_methodE3ELS4_3ELS4_3ELNS0_20block_scan_algorithmE0ELj4294967295EEENS1_25partition_config_selectorILNS1_17partition_subalgoE3EjNS0_10empty_typeEbEEZZNS1_14partition_implILS8_3ELb0ES6_jNS0_17counting_iteratorIjlEEPS9_SE_NS0_5tupleIJPjSE_EEENSF_IJSE_SE_EEES9_SG_JZNS1_25segmented_radix_sort_implINS0_14default_configELb1EPKhPhPKlPlN2at6native12_GLOBAL__N_18offset_tEEE10hipError_tPvRmT1_PNSt15iterator_traitsISY_E10value_typeET2_T3_PNSZ_IS14_E10value_typeET4_jRbjT5_S1A_jjP12ihipStream_tbEUljE_EEESV_SW_SX_S14_S18_S1A_T6_T7_T9_mT8_S1C_bDpT10_ENKUlT_T0_E_clISt17integral_constantIbLb1EES1O_IbLb0EEEEDaS1K_S1L_EUlS1K_E_NS1_11comp_targetILNS1_3genE0ELNS1_11target_archE4294967295ELNS1_3gpuE0ELNS1_3repE0EEENS1_30default_config_static_selectorELNS0_4arch9wavefront6targetE0EEEvSY_.uses_vcc, 0
	.set _ZN7rocprim17ROCPRIM_400000_NS6detail17trampoline_kernelINS0_13select_configILj256ELj13ELNS0_17block_load_methodE3ELS4_3ELS4_3ELNS0_20block_scan_algorithmE0ELj4294967295EEENS1_25partition_config_selectorILNS1_17partition_subalgoE3EjNS0_10empty_typeEbEEZZNS1_14partition_implILS8_3ELb0ES6_jNS0_17counting_iteratorIjlEEPS9_SE_NS0_5tupleIJPjSE_EEENSF_IJSE_SE_EEES9_SG_JZNS1_25segmented_radix_sort_implINS0_14default_configELb1EPKhPhPKlPlN2at6native12_GLOBAL__N_18offset_tEEE10hipError_tPvRmT1_PNSt15iterator_traitsISY_E10value_typeET2_T3_PNSZ_IS14_E10value_typeET4_jRbjT5_S1A_jjP12ihipStream_tbEUljE_EEESV_SW_SX_S14_S18_S1A_T6_T7_T9_mT8_S1C_bDpT10_ENKUlT_T0_E_clISt17integral_constantIbLb1EES1O_IbLb0EEEEDaS1K_S1L_EUlS1K_E_NS1_11comp_targetILNS1_3genE0ELNS1_11target_archE4294967295ELNS1_3gpuE0ELNS1_3repE0EEENS1_30default_config_static_selectorELNS0_4arch9wavefront6targetE0EEEvSY_.uses_flat_scratch, 0
	.set _ZN7rocprim17ROCPRIM_400000_NS6detail17trampoline_kernelINS0_13select_configILj256ELj13ELNS0_17block_load_methodE3ELS4_3ELS4_3ELNS0_20block_scan_algorithmE0ELj4294967295EEENS1_25partition_config_selectorILNS1_17partition_subalgoE3EjNS0_10empty_typeEbEEZZNS1_14partition_implILS8_3ELb0ES6_jNS0_17counting_iteratorIjlEEPS9_SE_NS0_5tupleIJPjSE_EEENSF_IJSE_SE_EEES9_SG_JZNS1_25segmented_radix_sort_implINS0_14default_configELb1EPKhPhPKlPlN2at6native12_GLOBAL__N_18offset_tEEE10hipError_tPvRmT1_PNSt15iterator_traitsISY_E10value_typeET2_T3_PNSZ_IS14_E10value_typeET4_jRbjT5_S1A_jjP12ihipStream_tbEUljE_EEESV_SW_SX_S14_S18_S1A_T6_T7_T9_mT8_S1C_bDpT10_ENKUlT_T0_E_clISt17integral_constantIbLb1EES1O_IbLb0EEEEDaS1K_S1L_EUlS1K_E_NS1_11comp_targetILNS1_3genE0ELNS1_11target_archE4294967295ELNS1_3gpuE0ELNS1_3repE0EEENS1_30default_config_static_selectorELNS0_4arch9wavefront6targetE0EEEvSY_.has_dyn_sized_stack, 0
	.set _ZN7rocprim17ROCPRIM_400000_NS6detail17trampoline_kernelINS0_13select_configILj256ELj13ELNS0_17block_load_methodE3ELS4_3ELS4_3ELNS0_20block_scan_algorithmE0ELj4294967295EEENS1_25partition_config_selectorILNS1_17partition_subalgoE3EjNS0_10empty_typeEbEEZZNS1_14partition_implILS8_3ELb0ES6_jNS0_17counting_iteratorIjlEEPS9_SE_NS0_5tupleIJPjSE_EEENSF_IJSE_SE_EEES9_SG_JZNS1_25segmented_radix_sort_implINS0_14default_configELb1EPKhPhPKlPlN2at6native12_GLOBAL__N_18offset_tEEE10hipError_tPvRmT1_PNSt15iterator_traitsISY_E10value_typeET2_T3_PNSZ_IS14_E10value_typeET4_jRbjT5_S1A_jjP12ihipStream_tbEUljE_EEESV_SW_SX_S14_S18_S1A_T6_T7_T9_mT8_S1C_bDpT10_ENKUlT_T0_E_clISt17integral_constantIbLb1EES1O_IbLb0EEEEDaS1K_S1L_EUlS1K_E_NS1_11comp_targetILNS1_3genE0ELNS1_11target_archE4294967295ELNS1_3gpuE0ELNS1_3repE0EEENS1_30default_config_static_selectorELNS0_4arch9wavefront6targetE0EEEvSY_.has_recursion, 0
	.set _ZN7rocprim17ROCPRIM_400000_NS6detail17trampoline_kernelINS0_13select_configILj256ELj13ELNS0_17block_load_methodE3ELS4_3ELS4_3ELNS0_20block_scan_algorithmE0ELj4294967295EEENS1_25partition_config_selectorILNS1_17partition_subalgoE3EjNS0_10empty_typeEbEEZZNS1_14partition_implILS8_3ELb0ES6_jNS0_17counting_iteratorIjlEEPS9_SE_NS0_5tupleIJPjSE_EEENSF_IJSE_SE_EEES9_SG_JZNS1_25segmented_radix_sort_implINS0_14default_configELb1EPKhPhPKlPlN2at6native12_GLOBAL__N_18offset_tEEE10hipError_tPvRmT1_PNSt15iterator_traitsISY_E10value_typeET2_T3_PNSZ_IS14_E10value_typeET4_jRbjT5_S1A_jjP12ihipStream_tbEUljE_EEESV_SW_SX_S14_S18_S1A_T6_T7_T9_mT8_S1C_bDpT10_ENKUlT_T0_E_clISt17integral_constantIbLb1EES1O_IbLb0EEEEDaS1K_S1L_EUlS1K_E_NS1_11comp_targetILNS1_3genE0ELNS1_11target_archE4294967295ELNS1_3gpuE0ELNS1_3repE0EEENS1_30default_config_static_selectorELNS0_4arch9wavefront6targetE0EEEvSY_.has_indirect_call, 0
	.section	.AMDGPU.csdata,"",@progbits
; Kernel info:
; codeLenInByte = 0
; TotalNumSgprs: 0
; NumVgprs: 0
; ScratchSize: 0
; MemoryBound: 0
; FloatMode: 240
; IeeeMode: 1
; LDSByteSize: 0 bytes/workgroup (compile time only)
; SGPRBlocks: 0
; VGPRBlocks: 0
; NumSGPRsForWavesPerEU: 1
; NumVGPRsForWavesPerEU: 1
; Occupancy: 16
; WaveLimiterHint : 0
; COMPUTE_PGM_RSRC2:SCRATCH_EN: 0
; COMPUTE_PGM_RSRC2:USER_SGPR: 2
; COMPUTE_PGM_RSRC2:TRAP_HANDLER: 0
; COMPUTE_PGM_RSRC2:TGID_X_EN: 1
; COMPUTE_PGM_RSRC2:TGID_Y_EN: 0
; COMPUTE_PGM_RSRC2:TGID_Z_EN: 0
; COMPUTE_PGM_RSRC2:TIDIG_COMP_CNT: 0
	.section	.text._ZN7rocprim17ROCPRIM_400000_NS6detail17trampoline_kernelINS0_13select_configILj256ELj13ELNS0_17block_load_methodE3ELS4_3ELS4_3ELNS0_20block_scan_algorithmE0ELj4294967295EEENS1_25partition_config_selectorILNS1_17partition_subalgoE3EjNS0_10empty_typeEbEEZZNS1_14partition_implILS8_3ELb0ES6_jNS0_17counting_iteratorIjlEEPS9_SE_NS0_5tupleIJPjSE_EEENSF_IJSE_SE_EEES9_SG_JZNS1_25segmented_radix_sort_implINS0_14default_configELb1EPKhPhPKlPlN2at6native12_GLOBAL__N_18offset_tEEE10hipError_tPvRmT1_PNSt15iterator_traitsISY_E10value_typeET2_T3_PNSZ_IS14_E10value_typeET4_jRbjT5_S1A_jjP12ihipStream_tbEUljE_EEESV_SW_SX_S14_S18_S1A_T6_T7_T9_mT8_S1C_bDpT10_ENKUlT_T0_E_clISt17integral_constantIbLb1EES1O_IbLb0EEEEDaS1K_S1L_EUlS1K_E_NS1_11comp_targetILNS1_3genE5ELNS1_11target_archE942ELNS1_3gpuE9ELNS1_3repE0EEENS1_30default_config_static_selectorELNS0_4arch9wavefront6targetE0EEEvSY_,"axG",@progbits,_ZN7rocprim17ROCPRIM_400000_NS6detail17trampoline_kernelINS0_13select_configILj256ELj13ELNS0_17block_load_methodE3ELS4_3ELS4_3ELNS0_20block_scan_algorithmE0ELj4294967295EEENS1_25partition_config_selectorILNS1_17partition_subalgoE3EjNS0_10empty_typeEbEEZZNS1_14partition_implILS8_3ELb0ES6_jNS0_17counting_iteratorIjlEEPS9_SE_NS0_5tupleIJPjSE_EEENSF_IJSE_SE_EEES9_SG_JZNS1_25segmented_radix_sort_implINS0_14default_configELb1EPKhPhPKlPlN2at6native12_GLOBAL__N_18offset_tEEE10hipError_tPvRmT1_PNSt15iterator_traitsISY_E10value_typeET2_T3_PNSZ_IS14_E10value_typeET4_jRbjT5_S1A_jjP12ihipStream_tbEUljE_EEESV_SW_SX_S14_S18_S1A_T6_T7_T9_mT8_S1C_bDpT10_ENKUlT_T0_E_clISt17integral_constantIbLb1EES1O_IbLb0EEEEDaS1K_S1L_EUlS1K_E_NS1_11comp_targetILNS1_3genE5ELNS1_11target_archE942ELNS1_3gpuE9ELNS1_3repE0EEENS1_30default_config_static_selectorELNS0_4arch9wavefront6targetE0EEEvSY_,comdat
	.globl	_ZN7rocprim17ROCPRIM_400000_NS6detail17trampoline_kernelINS0_13select_configILj256ELj13ELNS0_17block_load_methodE3ELS4_3ELS4_3ELNS0_20block_scan_algorithmE0ELj4294967295EEENS1_25partition_config_selectorILNS1_17partition_subalgoE3EjNS0_10empty_typeEbEEZZNS1_14partition_implILS8_3ELb0ES6_jNS0_17counting_iteratorIjlEEPS9_SE_NS0_5tupleIJPjSE_EEENSF_IJSE_SE_EEES9_SG_JZNS1_25segmented_radix_sort_implINS0_14default_configELb1EPKhPhPKlPlN2at6native12_GLOBAL__N_18offset_tEEE10hipError_tPvRmT1_PNSt15iterator_traitsISY_E10value_typeET2_T3_PNSZ_IS14_E10value_typeET4_jRbjT5_S1A_jjP12ihipStream_tbEUljE_EEESV_SW_SX_S14_S18_S1A_T6_T7_T9_mT8_S1C_bDpT10_ENKUlT_T0_E_clISt17integral_constantIbLb1EES1O_IbLb0EEEEDaS1K_S1L_EUlS1K_E_NS1_11comp_targetILNS1_3genE5ELNS1_11target_archE942ELNS1_3gpuE9ELNS1_3repE0EEENS1_30default_config_static_selectorELNS0_4arch9wavefront6targetE0EEEvSY_ ; -- Begin function _ZN7rocprim17ROCPRIM_400000_NS6detail17trampoline_kernelINS0_13select_configILj256ELj13ELNS0_17block_load_methodE3ELS4_3ELS4_3ELNS0_20block_scan_algorithmE0ELj4294967295EEENS1_25partition_config_selectorILNS1_17partition_subalgoE3EjNS0_10empty_typeEbEEZZNS1_14partition_implILS8_3ELb0ES6_jNS0_17counting_iteratorIjlEEPS9_SE_NS0_5tupleIJPjSE_EEENSF_IJSE_SE_EEES9_SG_JZNS1_25segmented_radix_sort_implINS0_14default_configELb1EPKhPhPKlPlN2at6native12_GLOBAL__N_18offset_tEEE10hipError_tPvRmT1_PNSt15iterator_traitsISY_E10value_typeET2_T3_PNSZ_IS14_E10value_typeET4_jRbjT5_S1A_jjP12ihipStream_tbEUljE_EEESV_SW_SX_S14_S18_S1A_T6_T7_T9_mT8_S1C_bDpT10_ENKUlT_T0_E_clISt17integral_constantIbLb1EES1O_IbLb0EEEEDaS1K_S1L_EUlS1K_E_NS1_11comp_targetILNS1_3genE5ELNS1_11target_archE942ELNS1_3gpuE9ELNS1_3repE0EEENS1_30default_config_static_selectorELNS0_4arch9wavefront6targetE0EEEvSY_
	.p2align	8
	.type	_ZN7rocprim17ROCPRIM_400000_NS6detail17trampoline_kernelINS0_13select_configILj256ELj13ELNS0_17block_load_methodE3ELS4_3ELS4_3ELNS0_20block_scan_algorithmE0ELj4294967295EEENS1_25partition_config_selectorILNS1_17partition_subalgoE3EjNS0_10empty_typeEbEEZZNS1_14partition_implILS8_3ELb0ES6_jNS0_17counting_iteratorIjlEEPS9_SE_NS0_5tupleIJPjSE_EEENSF_IJSE_SE_EEES9_SG_JZNS1_25segmented_radix_sort_implINS0_14default_configELb1EPKhPhPKlPlN2at6native12_GLOBAL__N_18offset_tEEE10hipError_tPvRmT1_PNSt15iterator_traitsISY_E10value_typeET2_T3_PNSZ_IS14_E10value_typeET4_jRbjT5_S1A_jjP12ihipStream_tbEUljE_EEESV_SW_SX_S14_S18_S1A_T6_T7_T9_mT8_S1C_bDpT10_ENKUlT_T0_E_clISt17integral_constantIbLb1EES1O_IbLb0EEEEDaS1K_S1L_EUlS1K_E_NS1_11comp_targetILNS1_3genE5ELNS1_11target_archE942ELNS1_3gpuE9ELNS1_3repE0EEENS1_30default_config_static_selectorELNS0_4arch9wavefront6targetE0EEEvSY_,@function
_ZN7rocprim17ROCPRIM_400000_NS6detail17trampoline_kernelINS0_13select_configILj256ELj13ELNS0_17block_load_methodE3ELS4_3ELS4_3ELNS0_20block_scan_algorithmE0ELj4294967295EEENS1_25partition_config_selectorILNS1_17partition_subalgoE3EjNS0_10empty_typeEbEEZZNS1_14partition_implILS8_3ELb0ES6_jNS0_17counting_iteratorIjlEEPS9_SE_NS0_5tupleIJPjSE_EEENSF_IJSE_SE_EEES9_SG_JZNS1_25segmented_radix_sort_implINS0_14default_configELb1EPKhPhPKlPlN2at6native12_GLOBAL__N_18offset_tEEE10hipError_tPvRmT1_PNSt15iterator_traitsISY_E10value_typeET2_T3_PNSZ_IS14_E10value_typeET4_jRbjT5_S1A_jjP12ihipStream_tbEUljE_EEESV_SW_SX_S14_S18_S1A_T6_T7_T9_mT8_S1C_bDpT10_ENKUlT_T0_E_clISt17integral_constantIbLb1EES1O_IbLb0EEEEDaS1K_S1L_EUlS1K_E_NS1_11comp_targetILNS1_3genE5ELNS1_11target_archE942ELNS1_3gpuE9ELNS1_3repE0EEENS1_30default_config_static_selectorELNS0_4arch9wavefront6targetE0EEEvSY_: ; @_ZN7rocprim17ROCPRIM_400000_NS6detail17trampoline_kernelINS0_13select_configILj256ELj13ELNS0_17block_load_methodE3ELS4_3ELS4_3ELNS0_20block_scan_algorithmE0ELj4294967295EEENS1_25partition_config_selectorILNS1_17partition_subalgoE3EjNS0_10empty_typeEbEEZZNS1_14partition_implILS8_3ELb0ES6_jNS0_17counting_iteratorIjlEEPS9_SE_NS0_5tupleIJPjSE_EEENSF_IJSE_SE_EEES9_SG_JZNS1_25segmented_radix_sort_implINS0_14default_configELb1EPKhPhPKlPlN2at6native12_GLOBAL__N_18offset_tEEE10hipError_tPvRmT1_PNSt15iterator_traitsISY_E10value_typeET2_T3_PNSZ_IS14_E10value_typeET4_jRbjT5_S1A_jjP12ihipStream_tbEUljE_EEESV_SW_SX_S14_S18_S1A_T6_T7_T9_mT8_S1C_bDpT10_ENKUlT_T0_E_clISt17integral_constantIbLb1EES1O_IbLb0EEEEDaS1K_S1L_EUlS1K_E_NS1_11comp_targetILNS1_3genE5ELNS1_11target_archE942ELNS1_3gpuE9ELNS1_3repE0EEENS1_30default_config_static_selectorELNS0_4arch9wavefront6targetE0EEEvSY_
; %bb.0:
	.section	.rodata,"a",@progbits
	.p2align	6, 0x0
	.amdhsa_kernel _ZN7rocprim17ROCPRIM_400000_NS6detail17trampoline_kernelINS0_13select_configILj256ELj13ELNS0_17block_load_methodE3ELS4_3ELS4_3ELNS0_20block_scan_algorithmE0ELj4294967295EEENS1_25partition_config_selectorILNS1_17partition_subalgoE3EjNS0_10empty_typeEbEEZZNS1_14partition_implILS8_3ELb0ES6_jNS0_17counting_iteratorIjlEEPS9_SE_NS0_5tupleIJPjSE_EEENSF_IJSE_SE_EEES9_SG_JZNS1_25segmented_radix_sort_implINS0_14default_configELb1EPKhPhPKlPlN2at6native12_GLOBAL__N_18offset_tEEE10hipError_tPvRmT1_PNSt15iterator_traitsISY_E10value_typeET2_T3_PNSZ_IS14_E10value_typeET4_jRbjT5_S1A_jjP12ihipStream_tbEUljE_EEESV_SW_SX_S14_S18_S1A_T6_T7_T9_mT8_S1C_bDpT10_ENKUlT_T0_E_clISt17integral_constantIbLb1EES1O_IbLb0EEEEDaS1K_S1L_EUlS1K_E_NS1_11comp_targetILNS1_3genE5ELNS1_11target_archE942ELNS1_3gpuE9ELNS1_3repE0EEENS1_30default_config_static_selectorELNS0_4arch9wavefront6targetE0EEEvSY_
		.amdhsa_group_segment_fixed_size 0
		.amdhsa_private_segment_fixed_size 0
		.amdhsa_kernarg_size 144
		.amdhsa_user_sgpr_count 2
		.amdhsa_user_sgpr_dispatch_ptr 0
		.amdhsa_user_sgpr_queue_ptr 0
		.amdhsa_user_sgpr_kernarg_segment_ptr 1
		.amdhsa_user_sgpr_dispatch_id 0
		.amdhsa_user_sgpr_private_segment_size 0
		.amdhsa_wavefront_size32 1
		.amdhsa_uses_dynamic_stack 0
		.amdhsa_enable_private_segment 0
		.amdhsa_system_sgpr_workgroup_id_x 1
		.amdhsa_system_sgpr_workgroup_id_y 0
		.amdhsa_system_sgpr_workgroup_id_z 0
		.amdhsa_system_sgpr_workgroup_info 0
		.amdhsa_system_vgpr_workitem_id 0
		.amdhsa_next_free_vgpr 1
		.amdhsa_next_free_sgpr 1
		.amdhsa_reserve_vcc 0
		.amdhsa_float_round_mode_32 0
		.amdhsa_float_round_mode_16_64 0
		.amdhsa_float_denorm_mode_32 3
		.amdhsa_float_denorm_mode_16_64 3
		.amdhsa_fp16_overflow 0
		.amdhsa_workgroup_processor_mode 1
		.amdhsa_memory_ordered 1
		.amdhsa_forward_progress 1
		.amdhsa_inst_pref_size 0
		.amdhsa_round_robin_scheduling 0
		.amdhsa_exception_fp_ieee_invalid_op 0
		.amdhsa_exception_fp_denorm_src 0
		.amdhsa_exception_fp_ieee_div_zero 0
		.amdhsa_exception_fp_ieee_overflow 0
		.amdhsa_exception_fp_ieee_underflow 0
		.amdhsa_exception_fp_ieee_inexact 0
		.amdhsa_exception_int_div_zero 0
	.end_amdhsa_kernel
	.section	.text._ZN7rocprim17ROCPRIM_400000_NS6detail17trampoline_kernelINS0_13select_configILj256ELj13ELNS0_17block_load_methodE3ELS4_3ELS4_3ELNS0_20block_scan_algorithmE0ELj4294967295EEENS1_25partition_config_selectorILNS1_17partition_subalgoE3EjNS0_10empty_typeEbEEZZNS1_14partition_implILS8_3ELb0ES6_jNS0_17counting_iteratorIjlEEPS9_SE_NS0_5tupleIJPjSE_EEENSF_IJSE_SE_EEES9_SG_JZNS1_25segmented_radix_sort_implINS0_14default_configELb1EPKhPhPKlPlN2at6native12_GLOBAL__N_18offset_tEEE10hipError_tPvRmT1_PNSt15iterator_traitsISY_E10value_typeET2_T3_PNSZ_IS14_E10value_typeET4_jRbjT5_S1A_jjP12ihipStream_tbEUljE_EEESV_SW_SX_S14_S18_S1A_T6_T7_T9_mT8_S1C_bDpT10_ENKUlT_T0_E_clISt17integral_constantIbLb1EES1O_IbLb0EEEEDaS1K_S1L_EUlS1K_E_NS1_11comp_targetILNS1_3genE5ELNS1_11target_archE942ELNS1_3gpuE9ELNS1_3repE0EEENS1_30default_config_static_selectorELNS0_4arch9wavefront6targetE0EEEvSY_,"axG",@progbits,_ZN7rocprim17ROCPRIM_400000_NS6detail17trampoline_kernelINS0_13select_configILj256ELj13ELNS0_17block_load_methodE3ELS4_3ELS4_3ELNS0_20block_scan_algorithmE0ELj4294967295EEENS1_25partition_config_selectorILNS1_17partition_subalgoE3EjNS0_10empty_typeEbEEZZNS1_14partition_implILS8_3ELb0ES6_jNS0_17counting_iteratorIjlEEPS9_SE_NS0_5tupleIJPjSE_EEENSF_IJSE_SE_EEES9_SG_JZNS1_25segmented_radix_sort_implINS0_14default_configELb1EPKhPhPKlPlN2at6native12_GLOBAL__N_18offset_tEEE10hipError_tPvRmT1_PNSt15iterator_traitsISY_E10value_typeET2_T3_PNSZ_IS14_E10value_typeET4_jRbjT5_S1A_jjP12ihipStream_tbEUljE_EEESV_SW_SX_S14_S18_S1A_T6_T7_T9_mT8_S1C_bDpT10_ENKUlT_T0_E_clISt17integral_constantIbLb1EES1O_IbLb0EEEEDaS1K_S1L_EUlS1K_E_NS1_11comp_targetILNS1_3genE5ELNS1_11target_archE942ELNS1_3gpuE9ELNS1_3repE0EEENS1_30default_config_static_selectorELNS0_4arch9wavefront6targetE0EEEvSY_,comdat
.Lfunc_end67:
	.size	_ZN7rocprim17ROCPRIM_400000_NS6detail17trampoline_kernelINS0_13select_configILj256ELj13ELNS0_17block_load_methodE3ELS4_3ELS4_3ELNS0_20block_scan_algorithmE0ELj4294967295EEENS1_25partition_config_selectorILNS1_17partition_subalgoE3EjNS0_10empty_typeEbEEZZNS1_14partition_implILS8_3ELb0ES6_jNS0_17counting_iteratorIjlEEPS9_SE_NS0_5tupleIJPjSE_EEENSF_IJSE_SE_EEES9_SG_JZNS1_25segmented_radix_sort_implINS0_14default_configELb1EPKhPhPKlPlN2at6native12_GLOBAL__N_18offset_tEEE10hipError_tPvRmT1_PNSt15iterator_traitsISY_E10value_typeET2_T3_PNSZ_IS14_E10value_typeET4_jRbjT5_S1A_jjP12ihipStream_tbEUljE_EEESV_SW_SX_S14_S18_S1A_T6_T7_T9_mT8_S1C_bDpT10_ENKUlT_T0_E_clISt17integral_constantIbLb1EES1O_IbLb0EEEEDaS1K_S1L_EUlS1K_E_NS1_11comp_targetILNS1_3genE5ELNS1_11target_archE942ELNS1_3gpuE9ELNS1_3repE0EEENS1_30default_config_static_selectorELNS0_4arch9wavefront6targetE0EEEvSY_, .Lfunc_end67-_ZN7rocprim17ROCPRIM_400000_NS6detail17trampoline_kernelINS0_13select_configILj256ELj13ELNS0_17block_load_methodE3ELS4_3ELS4_3ELNS0_20block_scan_algorithmE0ELj4294967295EEENS1_25partition_config_selectorILNS1_17partition_subalgoE3EjNS0_10empty_typeEbEEZZNS1_14partition_implILS8_3ELb0ES6_jNS0_17counting_iteratorIjlEEPS9_SE_NS0_5tupleIJPjSE_EEENSF_IJSE_SE_EEES9_SG_JZNS1_25segmented_radix_sort_implINS0_14default_configELb1EPKhPhPKlPlN2at6native12_GLOBAL__N_18offset_tEEE10hipError_tPvRmT1_PNSt15iterator_traitsISY_E10value_typeET2_T3_PNSZ_IS14_E10value_typeET4_jRbjT5_S1A_jjP12ihipStream_tbEUljE_EEESV_SW_SX_S14_S18_S1A_T6_T7_T9_mT8_S1C_bDpT10_ENKUlT_T0_E_clISt17integral_constantIbLb1EES1O_IbLb0EEEEDaS1K_S1L_EUlS1K_E_NS1_11comp_targetILNS1_3genE5ELNS1_11target_archE942ELNS1_3gpuE9ELNS1_3repE0EEENS1_30default_config_static_selectorELNS0_4arch9wavefront6targetE0EEEvSY_
                                        ; -- End function
	.set _ZN7rocprim17ROCPRIM_400000_NS6detail17trampoline_kernelINS0_13select_configILj256ELj13ELNS0_17block_load_methodE3ELS4_3ELS4_3ELNS0_20block_scan_algorithmE0ELj4294967295EEENS1_25partition_config_selectorILNS1_17partition_subalgoE3EjNS0_10empty_typeEbEEZZNS1_14partition_implILS8_3ELb0ES6_jNS0_17counting_iteratorIjlEEPS9_SE_NS0_5tupleIJPjSE_EEENSF_IJSE_SE_EEES9_SG_JZNS1_25segmented_radix_sort_implINS0_14default_configELb1EPKhPhPKlPlN2at6native12_GLOBAL__N_18offset_tEEE10hipError_tPvRmT1_PNSt15iterator_traitsISY_E10value_typeET2_T3_PNSZ_IS14_E10value_typeET4_jRbjT5_S1A_jjP12ihipStream_tbEUljE_EEESV_SW_SX_S14_S18_S1A_T6_T7_T9_mT8_S1C_bDpT10_ENKUlT_T0_E_clISt17integral_constantIbLb1EES1O_IbLb0EEEEDaS1K_S1L_EUlS1K_E_NS1_11comp_targetILNS1_3genE5ELNS1_11target_archE942ELNS1_3gpuE9ELNS1_3repE0EEENS1_30default_config_static_selectorELNS0_4arch9wavefront6targetE0EEEvSY_.num_vgpr, 0
	.set _ZN7rocprim17ROCPRIM_400000_NS6detail17trampoline_kernelINS0_13select_configILj256ELj13ELNS0_17block_load_methodE3ELS4_3ELS4_3ELNS0_20block_scan_algorithmE0ELj4294967295EEENS1_25partition_config_selectorILNS1_17partition_subalgoE3EjNS0_10empty_typeEbEEZZNS1_14partition_implILS8_3ELb0ES6_jNS0_17counting_iteratorIjlEEPS9_SE_NS0_5tupleIJPjSE_EEENSF_IJSE_SE_EEES9_SG_JZNS1_25segmented_radix_sort_implINS0_14default_configELb1EPKhPhPKlPlN2at6native12_GLOBAL__N_18offset_tEEE10hipError_tPvRmT1_PNSt15iterator_traitsISY_E10value_typeET2_T3_PNSZ_IS14_E10value_typeET4_jRbjT5_S1A_jjP12ihipStream_tbEUljE_EEESV_SW_SX_S14_S18_S1A_T6_T7_T9_mT8_S1C_bDpT10_ENKUlT_T0_E_clISt17integral_constantIbLb1EES1O_IbLb0EEEEDaS1K_S1L_EUlS1K_E_NS1_11comp_targetILNS1_3genE5ELNS1_11target_archE942ELNS1_3gpuE9ELNS1_3repE0EEENS1_30default_config_static_selectorELNS0_4arch9wavefront6targetE0EEEvSY_.num_agpr, 0
	.set _ZN7rocprim17ROCPRIM_400000_NS6detail17trampoline_kernelINS0_13select_configILj256ELj13ELNS0_17block_load_methodE3ELS4_3ELS4_3ELNS0_20block_scan_algorithmE0ELj4294967295EEENS1_25partition_config_selectorILNS1_17partition_subalgoE3EjNS0_10empty_typeEbEEZZNS1_14partition_implILS8_3ELb0ES6_jNS0_17counting_iteratorIjlEEPS9_SE_NS0_5tupleIJPjSE_EEENSF_IJSE_SE_EEES9_SG_JZNS1_25segmented_radix_sort_implINS0_14default_configELb1EPKhPhPKlPlN2at6native12_GLOBAL__N_18offset_tEEE10hipError_tPvRmT1_PNSt15iterator_traitsISY_E10value_typeET2_T3_PNSZ_IS14_E10value_typeET4_jRbjT5_S1A_jjP12ihipStream_tbEUljE_EEESV_SW_SX_S14_S18_S1A_T6_T7_T9_mT8_S1C_bDpT10_ENKUlT_T0_E_clISt17integral_constantIbLb1EES1O_IbLb0EEEEDaS1K_S1L_EUlS1K_E_NS1_11comp_targetILNS1_3genE5ELNS1_11target_archE942ELNS1_3gpuE9ELNS1_3repE0EEENS1_30default_config_static_selectorELNS0_4arch9wavefront6targetE0EEEvSY_.numbered_sgpr, 0
	.set _ZN7rocprim17ROCPRIM_400000_NS6detail17trampoline_kernelINS0_13select_configILj256ELj13ELNS0_17block_load_methodE3ELS4_3ELS4_3ELNS0_20block_scan_algorithmE0ELj4294967295EEENS1_25partition_config_selectorILNS1_17partition_subalgoE3EjNS0_10empty_typeEbEEZZNS1_14partition_implILS8_3ELb0ES6_jNS0_17counting_iteratorIjlEEPS9_SE_NS0_5tupleIJPjSE_EEENSF_IJSE_SE_EEES9_SG_JZNS1_25segmented_radix_sort_implINS0_14default_configELb1EPKhPhPKlPlN2at6native12_GLOBAL__N_18offset_tEEE10hipError_tPvRmT1_PNSt15iterator_traitsISY_E10value_typeET2_T3_PNSZ_IS14_E10value_typeET4_jRbjT5_S1A_jjP12ihipStream_tbEUljE_EEESV_SW_SX_S14_S18_S1A_T6_T7_T9_mT8_S1C_bDpT10_ENKUlT_T0_E_clISt17integral_constantIbLb1EES1O_IbLb0EEEEDaS1K_S1L_EUlS1K_E_NS1_11comp_targetILNS1_3genE5ELNS1_11target_archE942ELNS1_3gpuE9ELNS1_3repE0EEENS1_30default_config_static_selectorELNS0_4arch9wavefront6targetE0EEEvSY_.num_named_barrier, 0
	.set _ZN7rocprim17ROCPRIM_400000_NS6detail17trampoline_kernelINS0_13select_configILj256ELj13ELNS0_17block_load_methodE3ELS4_3ELS4_3ELNS0_20block_scan_algorithmE0ELj4294967295EEENS1_25partition_config_selectorILNS1_17partition_subalgoE3EjNS0_10empty_typeEbEEZZNS1_14partition_implILS8_3ELb0ES6_jNS0_17counting_iteratorIjlEEPS9_SE_NS0_5tupleIJPjSE_EEENSF_IJSE_SE_EEES9_SG_JZNS1_25segmented_radix_sort_implINS0_14default_configELb1EPKhPhPKlPlN2at6native12_GLOBAL__N_18offset_tEEE10hipError_tPvRmT1_PNSt15iterator_traitsISY_E10value_typeET2_T3_PNSZ_IS14_E10value_typeET4_jRbjT5_S1A_jjP12ihipStream_tbEUljE_EEESV_SW_SX_S14_S18_S1A_T6_T7_T9_mT8_S1C_bDpT10_ENKUlT_T0_E_clISt17integral_constantIbLb1EES1O_IbLb0EEEEDaS1K_S1L_EUlS1K_E_NS1_11comp_targetILNS1_3genE5ELNS1_11target_archE942ELNS1_3gpuE9ELNS1_3repE0EEENS1_30default_config_static_selectorELNS0_4arch9wavefront6targetE0EEEvSY_.private_seg_size, 0
	.set _ZN7rocprim17ROCPRIM_400000_NS6detail17trampoline_kernelINS0_13select_configILj256ELj13ELNS0_17block_load_methodE3ELS4_3ELS4_3ELNS0_20block_scan_algorithmE0ELj4294967295EEENS1_25partition_config_selectorILNS1_17partition_subalgoE3EjNS0_10empty_typeEbEEZZNS1_14partition_implILS8_3ELb0ES6_jNS0_17counting_iteratorIjlEEPS9_SE_NS0_5tupleIJPjSE_EEENSF_IJSE_SE_EEES9_SG_JZNS1_25segmented_radix_sort_implINS0_14default_configELb1EPKhPhPKlPlN2at6native12_GLOBAL__N_18offset_tEEE10hipError_tPvRmT1_PNSt15iterator_traitsISY_E10value_typeET2_T3_PNSZ_IS14_E10value_typeET4_jRbjT5_S1A_jjP12ihipStream_tbEUljE_EEESV_SW_SX_S14_S18_S1A_T6_T7_T9_mT8_S1C_bDpT10_ENKUlT_T0_E_clISt17integral_constantIbLb1EES1O_IbLb0EEEEDaS1K_S1L_EUlS1K_E_NS1_11comp_targetILNS1_3genE5ELNS1_11target_archE942ELNS1_3gpuE9ELNS1_3repE0EEENS1_30default_config_static_selectorELNS0_4arch9wavefront6targetE0EEEvSY_.uses_vcc, 0
	.set _ZN7rocprim17ROCPRIM_400000_NS6detail17trampoline_kernelINS0_13select_configILj256ELj13ELNS0_17block_load_methodE3ELS4_3ELS4_3ELNS0_20block_scan_algorithmE0ELj4294967295EEENS1_25partition_config_selectorILNS1_17partition_subalgoE3EjNS0_10empty_typeEbEEZZNS1_14partition_implILS8_3ELb0ES6_jNS0_17counting_iteratorIjlEEPS9_SE_NS0_5tupleIJPjSE_EEENSF_IJSE_SE_EEES9_SG_JZNS1_25segmented_radix_sort_implINS0_14default_configELb1EPKhPhPKlPlN2at6native12_GLOBAL__N_18offset_tEEE10hipError_tPvRmT1_PNSt15iterator_traitsISY_E10value_typeET2_T3_PNSZ_IS14_E10value_typeET4_jRbjT5_S1A_jjP12ihipStream_tbEUljE_EEESV_SW_SX_S14_S18_S1A_T6_T7_T9_mT8_S1C_bDpT10_ENKUlT_T0_E_clISt17integral_constantIbLb1EES1O_IbLb0EEEEDaS1K_S1L_EUlS1K_E_NS1_11comp_targetILNS1_3genE5ELNS1_11target_archE942ELNS1_3gpuE9ELNS1_3repE0EEENS1_30default_config_static_selectorELNS0_4arch9wavefront6targetE0EEEvSY_.uses_flat_scratch, 0
	.set _ZN7rocprim17ROCPRIM_400000_NS6detail17trampoline_kernelINS0_13select_configILj256ELj13ELNS0_17block_load_methodE3ELS4_3ELS4_3ELNS0_20block_scan_algorithmE0ELj4294967295EEENS1_25partition_config_selectorILNS1_17partition_subalgoE3EjNS0_10empty_typeEbEEZZNS1_14partition_implILS8_3ELb0ES6_jNS0_17counting_iteratorIjlEEPS9_SE_NS0_5tupleIJPjSE_EEENSF_IJSE_SE_EEES9_SG_JZNS1_25segmented_radix_sort_implINS0_14default_configELb1EPKhPhPKlPlN2at6native12_GLOBAL__N_18offset_tEEE10hipError_tPvRmT1_PNSt15iterator_traitsISY_E10value_typeET2_T3_PNSZ_IS14_E10value_typeET4_jRbjT5_S1A_jjP12ihipStream_tbEUljE_EEESV_SW_SX_S14_S18_S1A_T6_T7_T9_mT8_S1C_bDpT10_ENKUlT_T0_E_clISt17integral_constantIbLb1EES1O_IbLb0EEEEDaS1K_S1L_EUlS1K_E_NS1_11comp_targetILNS1_3genE5ELNS1_11target_archE942ELNS1_3gpuE9ELNS1_3repE0EEENS1_30default_config_static_selectorELNS0_4arch9wavefront6targetE0EEEvSY_.has_dyn_sized_stack, 0
	.set _ZN7rocprim17ROCPRIM_400000_NS6detail17trampoline_kernelINS0_13select_configILj256ELj13ELNS0_17block_load_methodE3ELS4_3ELS4_3ELNS0_20block_scan_algorithmE0ELj4294967295EEENS1_25partition_config_selectorILNS1_17partition_subalgoE3EjNS0_10empty_typeEbEEZZNS1_14partition_implILS8_3ELb0ES6_jNS0_17counting_iteratorIjlEEPS9_SE_NS0_5tupleIJPjSE_EEENSF_IJSE_SE_EEES9_SG_JZNS1_25segmented_radix_sort_implINS0_14default_configELb1EPKhPhPKlPlN2at6native12_GLOBAL__N_18offset_tEEE10hipError_tPvRmT1_PNSt15iterator_traitsISY_E10value_typeET2_T3_PNSZ_IS14_E10value_typeET4_jRbjT5_S1A_jjP12ihipStream_tbEUljE_EEESV_SW_SX_S14_S18_S1A_T6_T7_T9_mT8_S1C_bDpT10_ENKUlT_T0_E_clISt17integral_constantIbLb1EES1O_IbLb0EEEEDaS1K_S1L_EUlS1K_E_NS1_11comp_targetILNS1_3genE5ELNS1_11target_archE942ELNS1_3gpuE9ELNS1_3repE0EEENS1_30default_config_static_selectorELNS0_4arch9wavefront6targetE0EEEvSY_.has_recursion, 0
	.set _ZN7rocprim17ROCPRIM_400000_NS6detail17trampoline_kernelINS0_13select_configILj256ELj13ELNS0_17block_load_methodE3ELS4_3ELS4_3ELNS0_20block_scan_algorithmE0ELj4294967295EEENS1_25partition_config_selectorILNS1_17partition_subalgoE3EjNS0_10empty_typeEbEEZZNS1_14partition_implILS8_3ELb0ES6_jNS0_17counting_iteratorIjlEEPS9_SE_NS0_5tupleIJPjSE_EEENSF_IJSE_SE_EEES9_SG_JZNS1_25segmented_radix_sort_implINS0_14default_configELb1EPKhPhPKlPlN2at6native12_GLOBAL__N_18offset_tEEE10hipError_tPvRmT1_PNSt15iterator_traitsISY_E10value_typeET2_T3_PNSZ_IS14_E10value_typeET4_jRbjT5_S1A_jjP12ihipStream_tbEUljE_EEESV_SW_SX_S14_S18_S1A_T6_T7_T9_mT8_S1C_bDpT10_ENKUlT_T0_E_clISt17integral_constantIbLb1EES1O_IbLb0EEEEDaS1K_S1L_EUlS1K_E_NS1_11comp_targetILNS1_3genE5ELNS1_11target_archE942ELNS1_3gpuE9ELNS1_3repE0EEENS1_30default_config_static_selectorELNS0_4arch9wavefront6targetE0EEEvSY_.has_indirect_call, 0
	.section	.AMDGPU.csdata,"",@progbits
; Kernel info:
; codeLenInByte = 0
; TotalNumSgprs: 0
; NumVgprs: 0
; ScratchSize: 0
; MemoryBound: 0
; FloatMode: 240
; IeeeMode: 1
; LDSByteSize: 0 bytes/workgroup (compile time only)
; SGPRBlocks: 0
; VGPRBlocks: 0
; NumSGPRsForWavesPerEU: 1
; NumVGPRsForWavesPerEU: 1
; Occupancy: 16
; WaveLimiterHint : 0
; COMPUTE_PGM_RSRC2:SCRATCH_EN: 0
; COMPUTE_PGM_RSRC2:USER_SGPR: 2
; COMPUTE_PGM_RSRC2:TRAP_HANDLER: 0
; COMPUTE_PGM_RSRC2:TGID_X_EN: 1
; COMPUTE_PGM_RSRC2:TGID_Y_EN: 0
; COMPUTE_PGM_RSRC2:TGID_Z_EN: 0
; COMPUTE_PGM_RSRC2:TIDIG_COMP_CNT: 0
	.section	.text._ZN7rocprim17ROCPRIM_400000_NS6detail17trampoline_kernelINS0_13select_configILj256ELj13ELNS0_17block_load_methodE3ELS4_3ELS4_3ELNS0_20block_scan_algorithmE0ELj4294967295EEENS1_25partition_config_selectorILNS1_17partition_subalgoE3EjNS0_10empty_typeEbEEZZNS1_14partition_implILS8_3ELb0ES6_jNS0_17counting_iteratorIjlEEPS9_SE_NS0_5tupleIJPjSE_EEENSF_IJSE_SE_EEES9_SG_JZNS1_25segmented_radix_sort_implINS0_14default_configELb1EPKhPhPKlPlN2at6native12_GLOBAL__N_18offset_tEEE10hipError_tPvRmT1_PNSt15iterator_traitsISY_E10value_typeET2_T3_PNSZ_IS14_E10value_typeET4_jRbjT5_S1A_jjP12ihipStream_tbEUljE_EEESV_SW_SX_S14_S18_S1A_T6_T7_T9_mT8_S1C_bDpT10_ENKUlT_T0_E_clISt17integral_constantIbLb1EES1O_IbLb0EEEEDaS1K_S1L_EUlS1K_E_NS1_11comp_targetILNS1_3genE4ELNS1_11target_archE910ELNS1_3gpuE8ELNS1_3repE0EEENS1_30default_config_static_selectorELNS0_4arch9wavefront6targetE0EEEvSY_,"axG",@progbits,_ZN7rocprim17ROCPRIM_400000_NS6detail17trampoline_kernelINS0_13select_configILj256ELj13ELNS0_17block_load_methodE3ELS4_3ELS4_3ELNS0_20block_scan_algorithmE0ELj4294967295EEENS1_25partition_config_selectorILNS1_17partition_subalgoE3EjNS0_10empty_typeEbEEZZNS1_14partition_implILS8_3ELb0ES6_jNS0_17counting_iteratorIjlEEPS9_SE_NS0_5tupleIJPjSE_EEENSF_IJSE_SE_EEES9_SG_JZNS1_25segmented_radix_sort_implINS0_14default_configELb1EPKhPhPKlPlN2at6native12_GLOBAL__N_18offset_tEEE10hipError_tPvRmT1_PNSt15iterator_traitsISY_E10value_typeET2_T3_PNSZ_IS14_E10value_typeET4_jRbjT5_S1A_jjP12ihipStream_tbEUljE_EEESV_SW_SX_S14_S18_S1A_T6_T7_T9_mT8_S1C_bDpT10_ENKUlT_T0_E_clISt17integral_constantIbLb1EES1O_IbLb0EEEEDaS1K_S1L_EUlS1K_E_NS1_11comp_targetILNS1_3genE4ELNS1_11target_archE910ELNS1_3gpuE8ELNS1_3repE0EEENS1_30default_config_static_selectorELNS0_4arch9wavefront6targetE0EEEvSY_,comdat
	.globl	_ZN7rocprim17ROCPRIM_400000_NS6detail17trampoline_kernelINS0_13select_configILj256ELj13ELNS0_17block_load_methodE3ELS4_3ELS4_3ELNS0_20block_scan_algorithmE0ELj4294967295EEENS1_25partition_config_selectorILNS1_17partition_subalgoE3EjNS0_10empty_typeEbEEZZNS1_14partition_implILS8_3ELb0ES6_jNS0_17counting_iteratorIjlEEPS9_SE_NS0_5tupleIJPjSE_EEENSF_IJSE_SE_EEES9_SG_JZNS1_25segmented_radix_sort_implINS0_14default_configELb1EPKhPhPKlPlN2at6native12_GLOBAL__N_18offset_tEEE10hipError_tPvRmT1_PNSt15iterator_traitsISY_E10value_typeET2_T3_PNSZ_IS14_E10value_typeET4_jRbjT5_S1A_jjP12ihipStream_tbEUljE_EEESV_SW_SX_S14_S18_S1A_T6_T7_T9_mT8_S1C_bDpT10_ENKUlT_T0_E_clISt17integral_constantIbLb1EES1O_IbLb0EEEEDaS1K_S1L_EUlS1K_E_NS1_11comp_targetILNS1_3genE4ELNS1_11target_archE910ELNS1_3gpuE8ELNS1_3repE0EEENS1_30default_config_static_selectorELNS0_4arch9wavefront6targetE0EEEvSY_ ; -- Begin function _ZN7rocprim17ROCPRIM_400000_NS6detail17trampoline_kernelINS0_13select_configILj256ELj13ELNS0_17block_load_methodE3ELS4_3ELS4_3ELNS0_20block_scan_algorithmE0ELj4294967295EEENS1_25partition_config_selectorILNS1_17partition_subalgoE3EjNS0_10empty_typeEbEEZZNS1_14partition_implILS8_3ELb0ES6_jNS0_17counting_iteratorIjlEEPS9_SE_NS0_5tupleIJPjSE_EEENSF_IJSE_SE_EEES9_SG_JZNS1_25segmented_radix_sort_implINS0_14default_configELb1EPKhPhPKlPlN2at6native12_GLOBAL__N_18offset_tEEE10hipError_tPvRmT1_PNSt15iterator_traitsISY_E10value_typeET2_T3_PNSZ_IS14_E10value_typeET4_jRbjT5_S1A_jjP12ihipStream_tbEUljE_EEESV_SW_SX_S14_S18_S1A_T6_T7_T9_mT8_S1C_bDpT10_ENKUlT_T0_E_clISt17integral_constantIbLb1EES1O_IbLb0EEEEDaS1K_S1L_EUlS1K_E_NS1_11comp_targetILNS1_3genE4ELNS1_11target_archE910ELNS1_3gpuE8ELNS1_3repE0EEENS1_30default_config_static_selectorELNS0_4arch9wavefront6targetE0EEEvSY_
	.p2align	8
	.type	_ZN7rocprim17ROCPRIM_400000_NS6detail17trampoline_kernelINS0_13select_configILj256ELj13ELNS0_17block_load_methodE3ELS4_3ELS4_3ELNS0_20block_scan_algorithmE0ELj4294967295EEENS1_25partition_config_selectorILNS1_17partition_subalgoE3EjNS0_10empty_typeEbEEZZNS1_14partition_implILS8_3ELb0ES6_jNS0_17counting_iteratorIjlEEPS9_SE_NS0_5tupleIJPjSE_EEENSF_IJSE_SE_EEES9_SG_JZNS1_25segmented_radix_sort_implINS0_14default_configELb1EPKhPhPKlPlN2at6native12_GLOBAL__N_18offset_tEEE10hipError_tPvRmT1_PNSt15iterator_traitsISY_E10value_typeET2_T3_PNSZ_IS14_E10value_typeET4_jRbjT5_S1A_jjP12ihipStream_tbEUljE_EEESV_SW_SX_S14_S18_S1A_T6_T7_T9_mT8_S1C_bDpT10_ENKUlT_T0_E_clISt17integral_constantIbLb1EES1O_IbLb0EEEEDaS1K_S1L_EUlS1K_E_NS1_11comp_targetILNS1_3genE4ELNS1_11target_archE910ELNS1_3gpuE8ELNS1_3repE0EEENS1_30default_config_static_selectorELNS0_4arch9wavefront6targetE0EEEvSY_,@function
_ZN7rocprim17ROCPRIM_400000_NS6detail17trampoline_kernelINS0_13select_configILj256ELj13ELNS0_17block_load_methodE3ELS4_3ELS4_3ELNS0_20block_scan_algorithmE0ELj4294967295EEENS1_25partition_config_selectorILNS1_17partition_subalgoE3EjNS0_10empty_typeEbEEZZNS1_14partition_implILS8_3ELb0ES6_jNS0_17counting_iteratorIjlEEPS9_SE_NS0_5tupleIJPjSE_EEENSF_IJSE_SE_EEES9_SG_JZNS1_25segmented_radix_sort_implINS0_14default_configELb1EPKhPhPKlPlN2at6native12_GLOBAL__N_18offset_tEEE10hipError_tPvRmT1_PNSt15iterator_traitsISY_E10value_typeET2_T3_PNSZ_IS14_E10value_typeET4_jRbjT5_S1A_jjP12ihipStream_tbEUljE_EEESV_SW_SX_S14_S18_S1A_T6_T7_T9_mT8_S1C_bDpT10_ENKUlT_T0_E_clISt17integral_constantIbLb1EES1O_IbLb0EEEEDaS1K_S1L_EUlS1K_E_NS1_11comp_targetILNS1_3genE4ELNS1_11target_archE910ELNS1_3gpuE8ELNS1_3repE0EEENS1_30default_config_static_selectorELNS0_4arch9wavefront6targetE0EEEvSY_: ; @_ZN7rocprim17ROCPRIM_400000_NS6detail17trampoline_kernelINS0_13select_configILj256ELj13ELNS0_17block_load_methodE3ELS4_3ELS4_3ELNS0_20block_scan_algorithmE0ELj4294967295EEENS1_25partition_config_selectorILNS1_17partition_subalgoE3EjNS0_10empty_typeEbEEZZNS1_14partition_implILS8_3ELb0ES6_jNS0_17counting_iteratorIjlEEPS9_SE_NS0_5tupleIJPjSE_EEENSF_IJSE_SE_EEES9_SG_JZNS1_25segmented_radix_sort_implINS0_14default_configELb1EPKhPhPKlPlN2at6native12_GLOBAL__N_18offset_tEEE10hipError_tPvRmT1_PNSt15iterator_traitsISY_E10value_typeET2_T3_PNSZ_IS14_E10value_typeET4_jRbjT5_S1A_jjP12ihipStream_tbEUljE_EEESV_SW_SX_S14_S18_S1A_T6_T7_T9_mT8_S1C_bDpT10_ENKUlT_T0_E_clISt17integral_constantIbLb1EES1O_IbLb0EEEEDaS1K_S1L_EUlS1K_E_NS1_11comp_targetILNS1_3genE4ELNS1_11target_archE910ELNS1_3gpuE8ELNS1_3repE0EEENS1_30default_config_static_selectorELNS0_4arch9wavefront6targetE0EEEvSY_
; %bb.0:
	.section	.rodata,"a",@progbits
	.p2align	6, 0x0
	.amdhsa_kernel _ZN7rocprim17ROCPRIM_400000_NS6detail17trampoline_kernelINS0_13select_configILj256ELj13ELNS0_17block_load_methodE3ELS4_3ELS4_3ELNS0_20block_scan_algorithmE0ELj4294967295EEENS1_25partition_config_selectorILNS1_17partition_subalgoE3EjNS0_10empty_typeEbEEZZNS1_14partition_implILS8_3ELb0ES6_jNS0_17counting_iteratorIjlEEPS9_SE_NS0_5tupleIJPjSE_EEENSF_IJSE_SE_EEES9_SG_JZNS1_25segmented_radix_sort_implINS0_14default_configELb1EPKhPhPKlPlN2at6native12_GLOBAL__N_18offset_tEEE10hipError_tPvRmT1_PNSt15iterator_traitsISY_E10value_typeET2_T3_PNSZ_IS14_E10value_typeET4_jRbjT5_S1A_jjP12ihipStream_tbEUljE_EEESV_SW_SX_S14_S18_S1A_T6_T7_T9_mT8_S1C_bDpT10_ENKUlT_T0_E_clISt17integral_constantIbLb1EES1O_IbLb0EEEEDaS1K_S1L_EUlS1K_E_NS1_11comp_targetILNS1_3genE4ELNS1_11target_archE910ELNS1_3gpuE8ELNS1_3repE0EEENS1_30default_config_static_selectorELNS0_4arch9wavefront6targetE0EEEvSY_
		.amdhsa_group_segment_fixed_size 0
		.amdhsa_private_segment_fixed_size 0
		.amdhsa_kernarg_size 144
		.amdhsa_user_sgpr_count 2
		.amdhsa_user_sgpr_dispatch_ptr 0
		.amdhsa_user_sgpr_queue_ptr 0
		.amdhsa_user_sgpr_kernarg_segment_ptr 1
		.amdhsa_user_sgpr_dispatch_id 0
		.amdhsa_user_sgpr_private_segment_size 0
		.amdhsa_wavefront_size32 1
		.amdhsa_uses_dynamic_stack 0
		.amdhsa_enable_private_segment 0
		.amdhsa_system_sgpr_workgroup_id_x 1
		.amdhsa_system_sgpr_workgroup_id_y 0
		.amdhsa_system_sgpr_workgroup_id_z 0
		.amdhsa_system_sgpr_workgroup_info 0
		.amdhsa_system_vgpr_workitem_id 0
		.amdhsa_next_free_vgpr 1
		.amdhsa_next_free_sgpr 1
		.amdhsa_reserve_vcc 0
		.amdhsa_float_round_mode_32 0
		.amdhsa_float_round_mode_16_64 0
		.amdhsa_float_denorm_mode_32 3
		.amdhsa_float_denorm_mode_16_64 3
		.amdhsa_fp16_overflow 0
		.amdhsa_workgroup_processor_mode 1
		.amdhsa_memory_ordered 1
		.amdhsa_forward_progress 1
		.amdhsa_inst_pref_size 0
		.amdhsa_round_robin_scheduling 0
		.amdhsa_exception_fp_ieee_invalid_op 0
		.amdhsa_exception_fp_denorm_src 0
		.amdhsa_exception_fp_ieee_div_zero 0
		.amdhsa_exception_fp_ieee_overflow 0
		.amdhsa_exception_fp_ieee_underflow 0
		.amdhsa_exception_fp_ieee_inexact 0
		.amdhsa_exception_int_div_zero 0
	.end_amdhsa_kernel
	.section	.text._ZN7rocprim17ROCPRIM_400000_NS6detail17trampoline_kernelINS0_13select_configILj256ELj13ELNS0_17block_load_methodE3ELS4_3ELS4_3ELNS0_20block_scan_algorithmE0ELj4294967295EEENS1_25partition_config_selectorILNS1_17partition_subalgoE3EjNS0_10empty_typeEbEEZZNS1_14partition_implILS8_3ELb0ES6_jNS0_17counting_iteratorIjlEEPS9_SE_NS0_5tupleIJPjSE_EEENSF_IJSE_SE_EEES9_SG_JZNS1_25segmented_radix_sort_implINS0_14default_configELb1EPKhPhPKlPlN2at6native12_GLOBAL__N_18offset_tEEE10hipError_tPvRmT1_PNSt15iterator_traitsISY_E10value_typeET2_T3_PNSZ_IS14_E10value_typeET4_jRbjT5_S1A_jjP12ihipStream_tbEUljE_EEESV_SW_SX_S14_S18_S1A_T6_T7_T9_mT8_S1C_bDpT10_ENKUlT_T0_E_clISt17integral_constantIbLb1EES1O_IbLb0EEEEDaS1K_S1L_EUlS1K_E_NS1_11comp_targetILNS1_3genE4ELNS1_11target_archE910ELNS1_3gpuE8ELNS1_3repE0EEENS1_30default_config_static_selectorELNS0_4arch9wavefront6targetE0EEEvSY_,"axG",@progbits,_ZN7rocprim17ROCPRIM_400000_NS6detail17trampoline_kernelINS0_13select_configILj256ELj13ELNS0_17block_load_methodE3ELS4_3ELS4_3ELNS0_20block_scan_algorithmE0ELj4294967295EEENS1_25partition_config_selectorILNS1_17partition_subalgoE3EjNS0_10empty_typeEbEEZZNS1_14partition_implILS8_3ELb0ES6_jNS0_17counting_iteratorIjlEEPS9_SE_NS0_5tupleIJPjSE_EEENSF_IJSE_SE_EEES9_SG_JZNS1_25segmented_radix_sort_implINS0_14default_configELb1EPKhPhPKlPlN2at6native12_GLOBAL__N_18offset_tEEE10hipError_tPvRmT1_PNSt15iterator_traitsISY_E10value_typeET2_T3_PNSZ_IS14_E10value_typeET4_jRbjT5_S1A_jjP12ihipStream_tbEUljE_EEESV_SW_SX_S14_S18_S1A_T6_T7_T9_mT8_S1C_bDpT10_ENKUlT_T0_E_clISt17integral_constantIbLb1EES1O_IbLb0EEEEDaS1K_S1L_EUlS1K_E_NS1_11comp_targetILNS1_3genE4ELNS1_11target_archE910ELNS1_3gpuE8ELNS1_3repE0EEENS1_30default_config_static_selectorELNS0_4arch9wavefront6targetE0EEEvSY_,comdat
.Lfunc_end68:
	.size	_ZN7rocprim17ROCPRIM_400000_NS6detail17trampoline_kernelINS0_13select_configILj256ELj13ELNS0_17block_load_methodE3ELS4_3ELS4_3ELNS0_20block_scan_algorithmE0ELj4294967295EEENS1_25partition_config_selectorILNS1_17partition_subalgoE3EjNS0_10empty_typeEbEEZZNS1_14partition_implILS8_3ELb0ES6_jNS0_17counting_iteratorIjlEEPS9_SE_NS0_5tupleIJPjSE_EEENSF_IJSE_SE_EEES9_SG_JZNS1_25segmented_radix_sort_implINS0_14default_configELb1EPKhPhPKlPlN2at6native12_GLOBAL__N_18offset_tEEE10hipError_tPvRmT1_PNSt15iterator_traitsISY_E10value_typeET2_T3_PNSZ_IS14_E10value_typeET4_jRbjT5_S1A_jjP12ihipStream_tbEUljE_EEESV_SW_SX_S14_S18_S1A_T6_T7_T9_mT8_S1C_bDpT10_ENKUlT_T0_E_clISt17integral_constantIbLb1EES1O_IbLb0EEEEDaS1K_S1L_EUlS1K_E_NS1_11comp_targetILNS1_3genE4ELNS1_11target_archE910ELNS1_3gpuE8ELNS1_3repE0EEENS1_30default_config_static_selectorELNS0_4arch9wavefront6targetE0EEEvSY_, .Lfunc_end68-_ZN7rocprim17ROCPRIM_400000_NS6detail17trampoline_kernelINS0_13select_configILj256ELj13ELNS0_17block_load_methodE3ELS4_3ELS4_3ELNS0_20block_scan_algorithmE0ELj4294967295EEENS1_25partition_config_selectorILNS1_17partition_subalgoE3EjNS0_10empty_typeEbEEZZNS1_14partition_implILS8_3ELb0ES6_jNS0_17counting_iteratorIjlEEPS9_SE_NS0_5tupleIJPjSE_EEENSF_IJSE_SE_EEES9_SG_JZNS1_25segmented_radix_sort_implINS0_14default_configELb1EPKhPhPKlPlN2at6native12_GLOBAL__N_18offset_tEEE10hipError_tPvRmT1_PNSt15iterator_traitsISY_E10value_typeET2_T3_PNSZ_IS14_E10value_typeET4_jRbjT5_S1A_jjP12ihipStream_tbEUljE_EEESV_SW_SX_S14_S18_S1A_T6_T7_T9_mT8_S1C_bDpT10_ENKUlT_T0_E_clISt17integral_constantIbLb1EES1O_IbLb0EEEEDaS1K_S1L_EUlS1K_E_NS1_11comp_targetILNS1_3genE4ELNS1_11target_archE910ELNS1_3gpuE8ELNS1_3repE0EEENS1_30default_config_static_selectorELNS0_4arch9wavefront6targetE0EEEvSY_
                                        ; -- End function
	.set _ZN7rocprim17ROCPRIM_400000_NS6detail17trampoline_kernelINS0_13select_configILj256ELj13ELNS0_17block_load_methodE3ELS4_3ELS4_3ELNS0_20block_scan_algorithmE0ELj4294967295EEENS1_25partition_config_selectorILNS1_17partition_subalgoE3EjNS0_10empty_typeEbEEZZNS1_14partition_implILS8_3ELb0ES6_jNS0_17counting_iteratorIjlEEPS9_SE_NS0_5tupleIJPjSE_EEENSF_IJSE_SE_EEES9_SG_JZNS1_25segmented_radix_sort_implINS0_14default_configELb1EPKhPhPKlPlN2at6native12_GLOBAL__N_18offset_tEEE10hipError_tPvRmT1_PNSt15iterator_traitsISY_E10value_typeET2_T3_PNSZ_IS14_E10value_typeET4_jRbjT5_S1A_jjP12ihipStream_tbEUljE_EEESV_SW_SX_S14_S18_S1A_T6_T7_T9_mT8_S1C_bDpT10_ENKUlT_T0_E_clISt17integral_constantIbLb1EES1O_IbLb0EEEEDaS1K_S1L_EUlS1K_E_NS1_11comp_targetILNS1_3genE4ELNS1_11target_archE910ELNS1_3gpuE8ELNS1_3repE0EEENS1_30default_config_static_selectorELNS0_4arch9wavefront6targetE0EEEvSY_.num_vgpr, 0
	.set _ZN7rocprim17ROCPRIM_400000_NS6detail17trampoline_kernelINS0_13select_configILj256ELj13ELNS0_17block_load_methodE3ELS4_3ELS4_3ELNS0_20block_scan_algorithmE0ELj4294967295EEENS1_25partition_config_selectorILNS1_17partition_subalgoE3EjNS0_10empty_typeEbEEZZNS1_14partition_implILS8_3ELb0ES6_jNS0_17counting_iteratorIjlEEPS9_SE_NS0_5tupleIJPjSE_EEENSF_IJSE_SE_EEES9_SG_JZNS1_25segmented_radix_sort_implINS0_14default_configELb1EPKhPhPKlPlN2at6native12_GLOBAL__N_18offset_tEEE10hipError_tPvRmT1_PNSt15iterator_traitsISY_E10value_typeET2_T3_PNSZ_IS14_E10value_typeET4_jRbjT5_S1A_jjP12ihipStream_tbEUljE_EEESV_SW_SX_S14_S18_S1A_T6_T7_T9_mT8_S1C_bDpT10_ENKUlT_T0_E_clISt17integral_constantIbLb1EES1O_IbLb0EEEEDaS1K_S1L_EUlS1K_E_NS1_11comp_targetILNS1_3genE4ELNS1_11target_archE910ELNS1_3gpuE8ELNS1_3repE0EEENS1_30default_config_static_selectorELNS0_4arch9wavefront6targetE0EEEvSY_.num_agpr, 0
	.set _ZN7rocprim17ROCPRIM_400000_NS6detail17trampoline_kernelINS0_13select_configILj256ELj13ELNS0_17block_load_methodE3ELS4_3ELS4_3ELNS0_20block_scan_algorithmE0ELj4294967295EEENS1_25partition_config_selectorILNS1_17partition_subalgoE3EjNS0_10empty_typeEbEEZZNS1_14partition_implILS8_3ELb0ES6_jNS0_17counting_iteratorIjlEEPS9_SE_NS0_5tupleIJPjSE_EEENSF_IJSE_SE_EEES9_SG_JZNS1_25segmented_radix_sort_implINS0_14default_configELb1EPKhPhPKlPlN2at6native12_GLOBAL__N_18offset_tEEE10hipError_tPvRmT1_PNSt15iterator_traitsISY_E10value_typeET2_T3_PNSZ_IS14_E10value_typeET4_jRbjT5_S1A_jjP12ihipStream_tbEUljE_EEESV_SW_SX_S14_S18_S1A_T6_T7_T9_mT8_S1C_bDpT10_ENKUlT_T0_E_clISt17integral_constantIbLb1EES1O_IbLb0EEEEDaS1K_S1L_EUlS1K_E_NS1_11comp_targetILNS1_3genE4ELNS1_11target_archE910ELNS1_3gpuE8ELNS1_3repE0EEENS1_30default_config_static_selectorELNS0_4arch9wavefront6targetE0EEEvSY_.numbered_sgpr, 0
	.set _ZN7rocprim17ROCPRIM_400000_NS6detail17trampoline_kernelINS0_13select_configILj256ELj13ELNS0_17block_load_methodE3ELS4_3ELS4_3ELNS0_20block_scan_algorithmE0ELj4294967295EEENS1_25partition_config_selectorILNS1_17partition_subalgoE3EjNS0_10empty_typeEbEEZZNS1_14partition_implILS8_3ELb0ES6_jNS0_17counting_iteratorIjlEEPS9_SE_NS0_5tupleIJPjSE_EEENSF_IJSE_SE_EEES9_SG_JZNS1_25segmented_radix_sort_implINS0_14default_configELb1EPKhPhPKlPlN2at6native12_GLOBAL__N_18offset_tEEE10hipError_tPvRmT1_PNSt15iterator_traitsISY_E10value_typeET2_T3_PNSZ_IS14_E10value_typeET4_jRbjT5_S1A_jjP12ihipStream_tbEUljE_EEESV_SW_SX_S14_S18_S1A_T6_T7_T9_mT8_S1C_bDpT10_ENKUlT_T0_E_clISt17integral_constantIbLb1EES1O_IbLb0EEEEDaS1K_S1L_EUlS1K_E_NS1_11comp_targetILNS1_3genE4ELNS1_11target_archE910ELNS1_3gpuE8ELNS1_3repE0EEENS1_30default_config_static_selectorELNS0_4arch9wavefront6targetE0EEEvSY_.num_named_barrier, 0
	.set _ZN7rocprim17ROCPRIM_400000_NS6detail17trampoline_kernelINS0_13select_configILj256ELj13ELNS0_17block_load_methodE3ELS4_3ELS4_3ELNS0_20block_scan_algorithmE0ELj4294967295EEENS1_25partition_config_selectorILNS1_17partition_subalgoE3EjNS0_10empty_typeEbEEZZNS1_14partition_implILS8_3ELb0ES6_jNS0_17counting_iteratorIjlEEPS9_SE_NS0_5tupleIJPjSE_EEENSF_IJSE_SE_EEES9_SG_JZNS1_25segmented_radix_sort_implINS0_14default_configELb1EPKhPhPKlPlN2at6native12_GLOBAL__N_18offset_tEEE10hipError_tPvRmT1_PNSt15iterator_traitsISY_E10value_typeET2_T3_PNSZ_IS14_E10value_typeET4_jRbjT5_S1A_jjP12ihipStream_tbEUljE_EEESV_SW_SX_S14_S18_S1A_T6_T7_T9_mT8_S1C_bDpT10_ENKUlT_T0_E_clISt17integral_constantIbLb1EES1O_IbLb0EEEEDaS1K_S1L_EUlS1K_E_NS1_11comp_targetILNS1_3genE4ELNS1_11target_archE910ELNS1_3gpuE8ELNS1_3repE0EEENS1_30default_config_static_selectorELNS0_4arch9wavefront6targetE0EEEvSY_.private_seg_size, 0
	.set _ZN7rocprim17ROCPRIM_400000_NS6detail17trampoline_kernelINS0_13select_configILj256ELj13ELNS0_17block_load_methodE3ELS4_3ELS4_3ELNS0_20block_scan_algorithmE0ELj4294967295EEENS1_25partition_config_selectorILNS1_17partition_subalgoE3EjNS0_10empty_typeEbEEZZNS1_14partition_implILS8_3ELb0ES6_jNS0_17counting_iteratorIjlEEPS9_SE_NS0_5tupleIJPjSE_EEENSF_IJSE_SE_EEES9_SG_JZNS1_25segmented_radix_sort_implINS0_14default_configELb1EPKhPhPKlPlN2at6native12_GLOBAL__N_18offset_tEEE10hipError_tPvRmT1_PNSt15iterator_traitsISY_E10value_typeET2_T3_PNSZ_IS14_E10value_typeET4_jRbjT5_S1A_jjP12ihipStream_tbEUljE_EEESV_SW_SX_S14_S18_S1A_T6_T7_T9_mT8_S1C_bDpT10_ENKUlT_T0_E_clISt17integral_constantIbLb1EES1O_IbLb0EEEEDaS1K_S1L_EUlS1K_E_NS1_11comp_targetILNS1_3genE4ELNS1_11target_archE910ELNS1_3gpuE8ELNS1_3repE0EEENS1_30default_config_static_selectorELNS0_4arch9wavefront6targetE0EEEvSY_.uses_vcc, 0
	.set _ZN7rocprim17ROCPRIM_400000_NS6detail17trampoline_kernelINS0_13select_configILj256ELj13ELNS0_17block_load_methodE3ELS4_3ELS4_3ELNS0_20block_scan_algorithmE0ELj4294967295EEENS1_25partition_config_selectorILNS1_17partition_subalgoE3EjNS0_10empty_typeEbEEZZNS1_14partition_implILS8_3ELb0ES6_jNS0_17counting_iteratorIjlEEPS9_SE_NS0_5tupleIJPjSE_EEENSF_IJSE_SE_EEES9_SG_JZNS1_25segmented_radix_sort_implINS0_14default_configELb1EPKhPhPKlPlN2at6native12_GLOBAL__N_18offset_tEEE10hipError_tPvRmT1_PNSt15iterator_traitsISY_E10value_typeET2_T3_PNSZ_IS14_E10value_typeET4_jRbjT5_S1A_jjP12ihipStream_tbEUljE_EEESV_SW_SX_S14_S18_S1A_T6_T7_T9_mT8_S1C_bDpT10_ENKUlT_T0_E_clISt17integral_constantIbLb1EES1O_IbLb0EEEEDaS1K_S1L_EUlS1K_E_NS1_11comp_targetILNS1_3genE4ELNS1_11target_archE910ELNS1_3gpuE8ELNS1_3repE0EEENS1_30default_config_static_selectorELNS0_4arch9wavefront6targetE0EEEvSY_.uses_flat_scratch, 0
	.set _ZN7rocprim17ROCPRIM_400000_NS6detail17trampoline_kernelINS0_13select_configILj256ELj13ELNS0_17block_load_methodE3ELS4_3ELS4_3ELNS0_20block_scan_algorithmE0ELj4294967295EEENS1_25partition_config_selectorILNS1_17partition_subalgoE3EjNS0_10empty_typeEbEEZZNS1_14partition_implILS8_3ELb0ES6_jNS0_17counting_iteratorIjlEEPS9_SE_NS0_5tupleIJPjSE_EEENSF_IJSE_SE_EEES9_SG_JZNS1_25segmented_radix_sort_implINS0_14default_configELb1EPKhPhPKlPlN2at6native12_GLOBAL__N_18offset_tEEE10hipError_tPvRmT1_PNSt15iterator_traitsISY_E10value_typeET2_T3_PNSZ_IS14_E10value_typeET4_jRbjT5_S1A_jjP12ihipStream_tbEUljE_EEESV_SW_SX_S14_S18_S1A_T6_T7_T9_mT8_S1C_bDpT10_ENKUlT_T0_E_clISt17integral_constantIbLb1EES1O_IbLb0EEEEDaS1K_S1L_EUlS1K_E_NS1_11comp_targetILNS1_3genE4ELNS1_11target_archE910ELNS1_3gpuE8ELNS1_3repE0EEENS1_30default_config_static_selectorELNS0_4arch9wavefront6targetE0EEEvSY_.has_dyn_sized_stack, 0
	.set _ZN7rocprim17ROCPRIM_400000_NS6detail17trampoline_kernelINS0_13select_configILj256ELj13ELNS0_17block_load_methodE3ELS4_3ELS4_3ELNS0_20block_scan_algorithmE0ELj4294967295EEENS1_25partition_config_selectorILNS1_17partition_subalgoE3EjNS0_10empty_typeEbEEZZNS1_14partition_implILS8_3ELb0ES6_jNS0_17counting_iteratorIjlEEPS9_SE_NS0_5tupleIJPjSE_EEENSF_IJSE_SE_EEES9_SG_JZNS1_25segmented_radix_sort_implINS0_14default_configELb1EPKhPhPKlPlN2at6native12_GLOBAL__N_18offset_tEEE10hipError_tPvRmT1_PNSt15iterator_traitsISY_E10value_typeET2_T3_PNSZ_IS14_E10value_typeET4_jRbjT5_S1A_jjP12ihipStream_tbEUljE_EEESV_SW_SX_S14_S18_S1A_T6_T7_T9_mT8_S1C_bDpT10_ENKUlT_T0_E_clISt17integral_constantIbLb1EES1O_IbLb0EEEEDaS1K_S1L_EUlS1K_E_NS1_11comp_targetILNS1_3genE4ELNS1_11target_archE910ELNS1_3gpuE8ELNS1_3repE0EEENS1_30default_config_static_selectorELNS0_4arch9wavefront6targetE0EEEvSY_.has_recursion, 0
	.set _ZN7rocprim17ROCPRIM_400000_NS6detail17trampoline_kernelINS0_13select_configILj256ELj13ELNS0_17block_load_methodE3ELS4_3ELS4_3ELNS0_20block_scan_algorithmE0ELj4294967295EEENS1_25partition_config_selectorILNS1_17partition_subalgoE3EjNS0_10empty_typeEbEEZZNS1_14partition_implILS8_3ELb0ES6_jNS0_17counting_iteratorIjlEEPS9_SE_NS0_5tupleIJPjSE_EEENSF_IJSE_SE_EEES9_SG_JZNS1_25segmented_radix_sort_implINS0_14default_configELb1EPKhPhPKlPlN2at6native12_GLOBAL__N_18offset_tEEE10hipError_tPvRmT1_PNSt15iterator_traitsISY_E10value_typeET2_T3_PNSZ_IS14_E10value_typeET4_jRbjT5_S1A_jjP12ihipStream_tbEUljE_EEESV_SW_SX_S14_S18_S1A_T6_T7_T9_mT8_S1C_bDpT10_ENKUlT_T0_E_clISt17integral_constantIbLb1EES1O_IbLb0EEEEDaS1K_S1L_EUlS1K_E_NS1_11comp_targetILNS1_3genE4ELNS1_11target_archE910ELNS1_3gpuE8ELNS1_3repE0EEENS1_30default_config_static_selectorELNS0_4arch9wavefront6targetE0EEEvSY_.has_indirect_call, 0
	.section	.AMDGPU.csdata,"",@progbits
; Kernel info:
; codeLenInByte = 0
; TotalNumSgprs: 0
; NumVgprs: 0
; ScratchSize: 0
; MemoryBound: 0
; FloatMode: 240
; IeeeMode: 1
; LDSByteSize: 0 bytes/workgroup (compile time only)
; SGPRBlocks: 0
; VGPRBlocks: 0
; NumSGPRsForWavesPerEU: 1
; NumVGPRsForWavesPerEU: 1
; Occupancy: 16
; WaveLimiterHint : 0
; COMPUTE_PGM_RSRC2:SCRATCH_EN: 0
; COMPUTE_PGM_RSRC2:USER_SGPR: 2
; COMPUTE_PGM_RSRC2:TRAP_HANDLER: 0
; COMPUTE_PGM_RSRC2:TGID_X_EN: 1
; COMPUTE_PGM_RSRC2:TGID_Y_EN: 0
; COMPUTE_PGM_RSRC2:TGID_Z_EN: 0
; COMPUTE_PGM_RSRC2:TIDIG_COMP_CNT: 0
	.section	.text._ZN7rocprim17ROCPRIM_400000_NS6detail17trampoline_kernelINS0_13select_configILj256ELj13ELNS0_17block_load_methodE3ELS4_3ELS4_3ELNS0_20block_scan_algorithmE0ELj4294967295EEENS1_25partition_config_selectorILNS1_17partition_subalgoE3EjNS0_10empty_typeEbEEZZNS1_14partition_implILS8_3ELb0ES6_jNS0_17counting_iteratorIjlEEPS9_SE_NS0_5tupleIJPjSE_EEENSF_IJSE_SE_EEES9_SG_JZNS1_25segmented_radix_sort_implINS0_14default_configELb1EPKhPhPKlPlN2at6native12_GLOBAL__N_18offset_tEEE10hipError_tPvRmT1_PNSt15iterator_traitsISY_E10value_typeET2_T3_PNSZ_IS14_E10value_typeET4_jRbjT5_S1A_jjP12ihipStream_tbEUljE_EEESV_SW_SX_S14_S18_S1A_T6_T7_T9_mT8_S1C_bDpT10_ENKUlT_T0_E_clISt17integral_constantIbLb1EES1O_IbLb0EEEEDaS1K_S1L_EUlS1K_E_NS1_11comp_targetILNS1_3genE3ELNS1_11target_archE908ELNS1_3gpuE7ELNS1_3repE0EEENS1_30default_config_static_selectorELNS0_4arch9wavefront6targetE0EEEvSY_,"axG",@progbits,_ZN7rocprim17ROCPRIM_400000_NS6detail17trampoline_kernelINS0_13select_configILj256ELj13ELNS0_17block_load_methodE3ELS4_3ELS4_3ELNS0_20block_scan_algorithmE0ELj4294967295EEENS1_25partition_config_selectorILNS1_17partition_subalgoE3EjNS0_10empty_typeEbEEZZNS1_14partition_implILS8_3ELb0ES6_jNS0_17counting_iteratorIjlEEPS9_SE_NS0_5tupleIJPjSE_EEENSF_IJSE_SE_EEES9_SG_JZNS1_25segmented_radix_sort_implINS0_14default_configELb1EPKhPhPKlPlN2at6native12_GLOBAL__N_18offset_tEEE10hipError_tPvRmT1_PNSt15iterator_traitsISY_E10value_typeET2_T3_PNSZ_IS14_E10value_typeET4_jRbjT5_S1A_jjP12ihipStream_tbEUljE_EEESV_SW_SX_S14_S18_S1A_T6_T7_T9_mT8_S1C_bDpT10_ENKUlT_T0_E_clISt17integral_constantIbLb1EES1O_IbLb0EEEEDaS1K_S1L_EUlS1K_E_NS1_11comp_targetILNS1_3genE3ELNS1_11target_archE908ELNS1_3gpuE7ELNS1_3repE0EEENS1_30default_config_static_selectorELNS0_4arch9wavefront6targetE0EEEvSY_,comdat
	.globl	_ZN7rocprim17ROCPRIM_400000_NS6detail17trampoline_kernelINS0_13select_configILj256ELj13ELNS0_17block_load_methodE3ELS4_3ELS4_3ELNS0_20block_scan_algorithmE0ELj4294967295EEENS1_25partition_config_selectorILNS1_17partition_subalgoE3EjNS0_10empty_typeEbEEZZNS1_14partition_implILS8_3ELb0ES6_jNS0_17counting_iteratorIjlEEPS9_SE_NS0_5tupleIJPjSE_EEENSF_IJSE_SE_EEES9_SG_JZNS1_25segmented_radix_sort_implINS0_14default_configELb1EPKhPhPKlPlN2at6native12_GLOBAL__N_18offset_tEEE10hipError_tPvRmT1_PNSt15iterator_traitsISY_E10value_typeET2_T3_PNSZ_IS14_E10value_typeET4_jRbjT5_S1A_jjP12ihipStream_tbEUljE_EEESV_SW_SX_S14_S18_S1A_T6_T7_T9_mT8_S1C_bDpT10_ENKUlT_T0_E_clISt17integral_constantIbLb1EES1O_IbLb0EEEEDaS1K_S1L_EUlS1K_E_NS1_11comp_targetILNS1_3genE3ELNS1_11target_archE908ELNS1_3gpuE7ELNS1_3repE0EEENS1_30default_config_static_selectorELNS0_4arch9wavefront6targetE0EEEvSY_ ; -- Begin function _ZN7rocprim17ROCPRIM_400000_NS6detail17trampoline_kernelINS0_13select_configILj256ELj13ELNS0_17block_load_methodE3ELS4_3ELS4_3ELNS0_20block_scan_algorithmE0ELj4294967295EEENS1_25partition_config_selectorILNS1_17partition_subalgoE3EjNS0_10empty_typeEbEEZZNS1_14partition_implILS8_3ELb0ES6_jNS0_17counting_iteratorIjlEEPS9_SE_NS0_5tupleIJPjSE_EEENSF_IJSE_SE_EEES9_SG_JZNS1_25segmented_radix_sort_implINS0_14default_configELb1EPKhPhPKlPlN2at6native12_GLOBAL__N_18offset_tEEE10hipError_tPvRmT1_PNSt15iterator_traitsISY_E10value_typeET2_T3_PNSZ_IS14_E10value_typeET4_jRbjT5_S1A_jjP12ihipStream_tbEUljE_EEESV_SW_SX_S14_S18_S1A_T6_T7_T9_mT8_S1C_bDpT10_ENKUlT_T0_E_clISt17integral_constantIbLb1EES1O_IbLb0EEEEDaS1K_S1L_EUlS1K_E_NS1_11comp_targetILNS1_3genE3ELNS1_11target_archE908ELNS1_3gpuE7ELNS1_3repE0EEENS1_30default_config_static_selectorELNS0_4arch9wavefront6targetE0EEEvSY_
	.p2align	8
	.type	_ZN7rocprim17ROCPRIM_400000_NS6detail17trampoline_kernelINS0_13select_configILj256ELj13ELNS0_17block_load_methodE3ELS4_3ELS4_3ELNS0_20block_scan_algorithmE0ELj4294967295EEENS1_25partition_config_selectorILNS1_17partition_subalgoE3EjNS0_10empty_typeEbEEZZNS1_14partition_implILS8_3ELb0ES6_jNS0_17counting_iteratorIjlEEPS9_SE_NS0_5tupleIJPjSE_EEENSF_IJSE_SE_EEES9_SG_JZNS1_25segmented_radix_sort_implINS0_14default_configELb1EPKhPhPKlPlN2at6native12_GLOBAL__N_18offset_tEEE10hipError_tPvRmT1_PNSt15iterator_traitsISY_E10value_typeET2_T3_PNSZ_IS14_E10value_typeET4_jRbjT5_S1A_jjP12ihipStream_tbEUljE_EEESV_SW_SX_S14_S18_S1A_T6_T7_T9_mT8_S1C_bDpT10_ENKUlT_T0_E_clISt17integral_constantIbLb1EES1O_IbLb0EEEEDaS1K_S1L_EUlS1K_E_NS1_11comp_targetILNS1_3genE3ELNS1_11target_archE908ELNS1_3gpuE7ELNS1_3repE0EEENS1_30default_config_static_selectorELNS0_4arch9wavefront6targetE0EEEvSY_,@function
_ZN7rocprim17ROCPRIM_400000_NS6detail17trampoline_kernelINS0_13select_configILj256ELj13ELNS0_17block_load_methodE3ELS4_3ELS4_3ELNS0_20block_scan_algorithmE0ELj4294967295EEENS1_25partition_config_selectorILNS1_17partition_subalgoE3EjNS0_10empty_typeEbEEZZNS1_14partition_implILS8_3ELb0ES6_jNS0_17counting_iteratorIjlEEPS9_SE_NS0_5tupleIJPjSE_EEENSF_IJSE_SE_EEES9_SG_JZNS1_25segmented_radix_sort_implINS0_14default_configELb1EPKhPhPKlPlN2at6native12_GLOBAL__N_18offset_tEEE10hipError_tPvRmT1_PNSt15iterator_traitsISY_E10value_typeET2_T3_PNSZ_IS14_E10value_typeET4_jRbjT5_S1A_jjP12ihipStream_tbEUljE_EEESV_SW_SX_S14_S18_S1A_T6_T7_T9_mT8_S1C_bDpT10_ENKUlT_T0_E_clISt17integral_constantIbLb1EES1O_IbLb0EEEEDaS1K_S1L_EUlS1K_E_NS1_11comp_targetILNS1_3genE3ELNS1_11target_archE908ELNS1_3gpuE7ELNS1_3repE0EEENS1_30default_config_static_selectorELNS0_4arch9wavefront6targetE0EEEvSY_: ; @_ZN7rocprim17ROCPRIM_400000_NS6detail17trampoline_kernelINS0_13select_configILj256ELj13ELNS0_17block_load_methodE3ELS4_3ELS4_3ELNS0_20block_scan_algorithmE0ELj4294967295EEENS1_25partition_config_selectorILNS1_17partition_subalgoE3EjNS0_10empty_typeEbEEZZNS1_14partition_implILS8_3ELb0ES6_jNS0_17counting_iteratorIjlEEPS9_SE_NS0_5tupleIJPjSE_EEENSF_IJSE_SE_EEES9_SG_JZNS1_25segmented_radix_sort_implINS0_14default_configELb1EPKhPhPKlPlN2at6native12_GLOBAL__N_18offset_tEEE10hipError_tPvRmT1_PNSt15iterator_traitsISY_E10value_typeET2_T3_PNSZ_IS14_E10value_typeET4_jRbjT5_S1A_jjP12ihipStream_tbEUljE_EEESV_SW_SX_S14_S18_S1A_T6_T7_T9_mT8_S1C_bDpT10_ENKUlT_T0_E_clISt17integral_constantIbLb1EES1O_IbLb0EEEEDaS1K_S1L_EUlS1K_E_NS1_11comp_targetILNS1_3genE3ELNS1_11target_archE908ELNS1_3gpuE7ELNS1_3repE0EEENS1_30default_config_static_selectorELNS0_4arch9wavefront6targetE0EEEvSY_
; %bb.0:
	.section	.rodata,"a",@progbits
	.p2align	6, 0x0
	.amdhsa_kernel _ZN7rocprim17ROCPRIM_400000_NS6detail17trampoline_kernelINS0_13select_configILj256ELj13ELNS0_17block_load_methodE3ELS4_3ELS4_3ELNS0_20block_scan_algorithmE0ELj4294967295EEENS1_25partition_config_selectorILNS1_17partition_subalgoE3EjNS0_10empty_typeEbEEZZNS1_14partition_implILS8_3ELb0ES6_jNS0_17counting_iteratorIjlEEPS9_SE_NS0_5tupleIJPjSE_EEENSF_IJSE_SE_EEES9_SG_JZNS1_25segmented_radix_sort_implINS0_14default_configELb1EPKhPhPKlPlN2at6native12_GLOBAL__N_18offset_tEEE10hipError_tPvRmT1_PNSt15iterator_traitsISY_E10value_typeET2_T3_PNSZ_IS14_E10value_typeET4_jRbjT5_S1A_jjP12ihipStream_tbEUljE_EEESV_SW_SX_S14_S18_S1A_T6_T7_T9_mT8_S1C_bDpT10_ENKUlT_T0_E_clISt17integral_constantIbLb1EES1O_IbLb0EEEEDaS1K_S1L_EUlS1K_E_NS1_11comp_targetILNS1_3genE3ELNS1_11target_archE908ELNS1_3gpuE7ELNS1_3repE0EEENS1_30default_config_static_selectorELNS0_4arch9wavefront6targetE0EEEvSY_
		.amdhsa_group_segment_fixed_size 0
		.amdhsa_private_segment_fixed_size 0
		.amdhsa_kernarg_size 144
		.amdhsa_user_sgpr_count 2
		.amdhsa_user_sgpr_dispatch_ptr 0
		.amdhsa_user_sgpr_queue_ptr 0
		.amdhsa_user_sgpr_kernarg_segment_ptr 1
		.amdhsa_user_sgpr_dispatch_id 0
		.amdhsa_user_sgpr_private_segment_size 0
		.amdhsa_wavefront_size32 1
		.amdhsa_uses_dynamic_stack 0
		.amdhsa_enable_private_segment 0
		.amdhsa_system_sgpr_workgroup_id_x 1
		.amdhsa_system_sgpr_workgroup_id_y 0
		.amdhsa_system_sgpr_workgroup_id_z 0
		.amdhsa_system_sgpr_workgroup_info 0
		.amdhsa_system_vgpr_workitem_id 0
		.amdhsa_next_free_vgpr 1
		.amdhsa_next_free_sgpr 1
		.amdhsa_reserve_vcc 0
		.amdhsa_float_round_mode_32 0
		.amdhsa_float_round_mode_16_64 0
		.amdhsa_float_denorm_mode_32 3
		.amdhsa_float_denorm_mode_16_64 3
		.amdhsa_fp16_overflow 0
		.amdhsa_workgroup_processor_mode 1
		.amdhsa_memory_ordered 1
		.amdhsa_forward_progress 1
		.amdhsa_inst_pref_size 0
		.amdhsa_round_robin_scheduling 0
		.amdhsa_exception_fp_ieee_invalid_op 0
		.amdhsa_exception_fp_denorm_src 0
		.amdhsa_exception_fp_ieee_div_zero 0
		.amdhsa_exception_fp_ieee_overflow 0
		.amdhsa_exception_fp_ieee_underflow 0
		.amdhsa_exception_fp_ieee_inexact 0
		.amdhsa_exception_int_div_zero 0
	.end_amdhsa_kernel
	.section	.text._ZN7rocprim17ROCPRIM_400000_NS6detail17trampoline_kernelINS0_13select_configILj256ELj13ELNS0_17block_load_methodE3ELS4_3ELS4_3ELNS0_20block_scan_algorithmE0ELj4294967295EEENS1_25partition_config_selectorILNS1_17partition_subalgoE3EjNS0_10empty_typeEbEEZZNS1_14partition_implILS8_3ELb0ES6_jNS0_17counting_iteratorIjlEEPS9_SE_NS0_5tupleIJPjSE_EEENSF_IJSE_SE_EEES9_SG_JZNS1_25segmented_radix_sort_implINS0_14default_configELb1EPKhPhPKlPlN2at6native12_GLOBAL__N_18offset_tEEE10hipError_tPvRmT1_PNSt15iterator_traitsISY_E10value_typeET2_T3_PNSZ_IS14_E10value_typeET4_jRbjT5_S1A_jjP12ihipStream_tbEUljE_EEESV_SW_SX_S14_S18_S1A_T6_T7_T9_mT8_S1C_bDpT10_ENKUlT_T0_E_clISt17integral_constantIbLb1EES1O_IbLb0EEEEDaS1K_S1L_EUlS1K_E_NS1_11comp_targetILNS1_3genE3ELNS1_11target_archE908ELNS1_3gpuE7ELNS1_3repE0EEENS1_30default_config_static_selectorELNS0_4arch9wavefront6targetE0EEEvSY_,"axG",@progbits,_ZN7rocprim17ROCPRIM_400000_NS6detail17trampoline_kernelINS0_13select_configILj256ELj13ELNS0_17block_load_methodE3ELS4_3ELS4_3ELNS0_20block_scan_algorithmE0ELj4294967295EEENS1_25partition_config_selectorILNS1_17partition_subalgoE3EjNS0_10empty_typeEbEEZZNS1_14partition_implILS8_3ELb0ES6_jNS0_17counting_iteratorIjlEEPS9_SE_NS0_5tupleIJPjSE_EEENSF_IJSE_SE_EEES9_SG_JZNS1_25segmented_radix_sort_implINS0_14default_configELb1EPKhPhPKlPlN2at6native12_GLOBAL__N_18offset_tEEE10hipError_tPvRmT1_PNSt15iterator_traitsISY_E10value_typeET2_T3_PNSZ_IS14_E10value_typeET4_jRbjT5_S1A_jjP12ihipStream_tbEUljE_EEESV_SW_SX_S14_S18_S1A_T6_T7_T9_mT8_S1C_bDpT10_ENKUlT_T0_E_clISt17integral_constantIbLb1EES1O_IbLb0EEEEDaS1K_S1L_EUlS1K_E_NS1_11comp_targetILNS1_3genE3ELNS1_11target_archE908ELNS1_3gpuE7ELNS1_3repE0EEENS1_30default_config_static_selectorELNS0_4arch9wavefront6targetE0EEEvSY_,comdat
.Lfunc_end69:
	.size	_ZN7rocprim17ROCPRIM_400000_NS6detail17trampoline_kernelINS0_13select_configILj256ELj13ELNS0_17block_load_methodE3ELS4_3ELS4_3ELNS0_20block_scan_algorithmE0ELj4294967295EEENS1_25partition_config_selectorILNS1_17partition_subalgoE3EjNS0_10empty_typeEbEEZZNS1_14partition_implILS8_3ELb0ES6_jNS0_17counting_iteratorIjlEEPS9_SE_NS0_5tupleIJPjSE_EEENSF_IJSE_SE_EEES9_SG_JZNS1_25segmented_radix_sort_implINS0_14default_configELb1EPKhPhPKlPlN2at6native12_GLOBAL__N_18offset_tEEE10hipError_tPvRmT1_PNSt15iterator_traitsISY_E10value_typeET2_T3_PNSZ_IS14_E10value_typeET4_jRbjT5_S1A_jjP12ihipStream_tbEUljE_EEESV_SW_SX_S14_S18_S1A_T6_T7_T9_mT8_S1C_bDpT10_ENKUlT_T0_E_clISt17integral_constantIbLb1EES1O_IbLb0EEEEDaS1K_S1L_EUlS1K_E_NS1_11comp_targetILNS1_3genE3ELNS1_11target_archE908ELNS1_3gpuE7ELNS1_3repE0EEENS1_30default_config_static_selectorELNS0_4arch9wavefront6targetE0EEEvSY_, .Lfunc_end69-_ZN7rocprim17ROCPRIM_400000_NS6detail17trampoline_kernelINS0_13select_configILj256ELj13ELNS0_17block_load_methodE3ELS4_3ELS4_3ELNS0_20block_scan_algorithmE0ELj4294967295EEENS1_25partition_config_selectorILNS1_17partition_subalgoE3EjNS0_10empty_typeEbEEZZNS1_14partition_implILS8_3ELb0ES6_jNS0_17counting_iteratorIjlEEPS9_SE_NS0_5tupleIJPjSE_EEENSF_IJSE_SE_EEES9_SG_JZNS1_25segmented_radix_sort_implINS0_14default_configELb1EPKhPhPKlPlN2at6native12_GLOBAL__N_18offset_tEEE10hipError_tPvRmT1_PNSt15iterator_traitsISY_E10value_typeET2_T3_PNSZ_IS14_E10value_typeET4_jRbjT5_S1A_jjP12ihipStream_tbEUljE_EEESV_SW_SX_S14_S18_S1A_T6_T7_T9_mT8_S1C_bDpT10_ENKUlT_T0_E_clISt17integral_constantIbLb1EES1O_IbLb0EEEEDaS1K_S1L_EUlS1K_E_NS1_11comp_targetILNS1_3genE3ELNS1_11target_archE908ELNS1_3gpuE7ELNS1_3repE0EEENS1_30default_config_static_selectorELNS0_4arch9wavefront6targetE0EEEvSY_
                                        ; -- End function
	.set _ZN7rocprim17ROCPRIM_400000_NS6detail17trampoline_kernelINS0_13select_configILj256ELj13ELNS0_17block_load_methodE3ELS4_3ELS4_3ELNS0_20block_scan_algorithmE0ELj4294967295EEENS1_25partition_config_selectorILNS1_17partition_subalgoE3EjNS0_10empty_typeEbEEZZNS1_14partition_implILS8_3ELb0ES6_jNS0_17counting_iteratorIjlEEPS9_SE_NS0_5tupleIJPjSE_EEENSF_IJSE_SE_EEES9_SG_JZNS1_25segmented_radix_sort_implINS0_14default_configELb1EPKhPhPKlPlN2at6native12_GLOBAL__N_18offset_tEEE10hipError_tPvRmT1_PNSt15iterator_traitsISY_E10value_typeET2_T3_PNSZ_IS14_E10value_typeET4_jRbjT5_S1A_jjP12ihipStream_tbEUljE_EEESV_SW_SX_S14_S18_S1A_T6_T7_T9_mT8_S1C_bDpT10_ENKUlT_T0_E_clISt17integral_constantIbLb1EES1O_IbLb0EEEEDaS1K_S1L_EUlS1K_E_NS1_11comp_targetILNS1_3genE3ELNS1_11target_archE908ELNS1_3gpuE7ELNS1_3repE0EEENS1_30default_config_static_selectorELNS0_4arch9wavefront6targetE0EEEvSY_.num_vgpr, 0
	.set _ZN7rocprim17ROCPRIM_400000_NS6detail17trampoline_kernelINS0_13select_configILj256ELj13ELNS0_17block_load_methodE3ELS4_3ELS4_3ELNS0_20block_scan_algorithmE0ELj4294967295EEENS1_25partition_config_selectorILNS1_17partition_subalgoE3EjNS0_10empty_typeEbEEZZNS1_14partition_implILS8_3ELb0ES6_jNS0_17counting_iteratorIjlEEPS9_SE_NS0_5tupleIJPjSE_EEENSF_IJSE_SE_EEES9_SG_JZNS1_25segmented_radix_sort_implINS0_14default_configELb1EPKhPhPKlPlN2at6native12_GLOBAL__N_18offset_tEEE10hipError_tPvRmT1_PNSt15iterator_traitsISY_E10value_typeET2_T3_PNSZ_IS14_E10value_typeET4_jRbjT5_S1A_jjP12ihipStream_tbEUljE_EEESV_SW_SX_S14_S18_S1A_T6_T7_T9_mT8_S1C_bDpT10_ENKUlT_T0_E_clISt17integral_constantIbLb1EES1O_IbLb0EEEEDaS1K_S1L_EUlS1K_E_NS1_11comp_targetILNS1_3genE3ELNS1_11target_archE908ELNS1_3gpuE7ELNS1_3repE0EEENS1_30default_config_static_selectorELNS0_4arch9wavefront6targetE0EEEvSY_.num_agpr, 0
	.set _ZN7rocprim17ROCPRIM_400000_NS6detail17trampoline_kernelINS0_13select_configILj256ELj13ELNS0_17block_load_methodE3ELS4_3ELS4_3ELNS0_20block_scan_algorithmE0ELj4294967295EEENS1_25partition_config_selectorILNS1_17partition_subalgoE3EjNS0_10empty_typeEbEEZZNS1_14partition_implILS8_3ELb0ES6_jNS0_17counting_iteratorIjlEEPS9_SE_NS0_5tupleIJPjSE_EEENSF_IJSE_SE_EEES9_SG_JZNS1_25segmented_radix_sort_implINS0_14default_configELb1EPKhPhPKlPlN2at6native12_GLOBAL__N_18offset_tEEE10hipError_tPvRmT1_PNSt15iterator_traitsISY_E10value_typeET2_T3_PNSZ_IS14_E10value_typeET4_jRbjT5_S1A_jjP12ihipStream_tbEUljE_EEESV_SW_SX_S14_S18_S1A_T6_T7_T9_mT8_S1C_bDpT10_ENKUlT_T0_E_clISt17integral_constantIbLb1EES1O_IbLb0EEEEDaS1K_S1L_EUlS1K_E_NS1_11comp_targetILNS1_3genE3ELNS1_11target_archE908ELNS1_3gpuE7ELNS1_3repE0EEENS1_30default_config_static_selectorELNS0_4arch9wavefront6targetE0EEEvSY_.numbered_sgpr, 0
	.set _ZN7rocprim17ROCPRIM_400000_NS6detail17trampoline_kernelINS0_13select_configILj256ELj13ELNS0_17block_load_methodE3ELS4_3ELS4_3ELNS0_20block_scan_algorithmE0ELj4294967295EEENS1_25partition_config_selectorILNS1_17partition_subalgoE3EjNS0_10empty_typeEbEEZZNS1_14partition_implILS8_3ELb0ES6_jNS0_17counting_iteratorIjlEEPS9_SE_NS0_5tupleIJPjSE_EEENSF_IJSE_SE_EEES9_SG_JZNS1_25segmented_radix_sort_implINS0_14default_configELb1EPKhPhPKlPlN2at6native12_GLOBAL__N_18offset_tEEE10hipError_tPvRmT1_PNSt15iterator_traitsISY_E10value_typeET2_T3_PNSZ_IS14_E10value_typeET4_jRbjT5_S1A_jjP12ihipStream_tbEUljE_EEESV_SW_SX_S14_S18_S1A_T6_T7_T9_mT8_S1C_bDpT10_ENKUlT_T0_E_clISt17integral_constantIbLb1EES1O_IbLb0EEEEDaS1K_S1L_EUlS1K_E_NS1_11comp_targetILNS1_3genE3ELNS1_11target_archE908ELNS1_3gpuE7ELNS1_3repE0EEENS1_30default_config_static_selectorELNS0_4arch9wavefront6targetE0EEEvSY_.num_named_barrier, 0
	.set _ZN7rocprim17ROCPRIM_400000_NS6detail17trampoline_kernelINS0_13select_configILj256ELj13ELNS0_17block_load_methodE3ELS4_3ELS4_3ELNS0_20block_scan_algorithmE0ELj4294967295EEENS1_25partition_config_selectorILNS1_17partition_subalgoE3EjNS0_10empty_typeEbEEZZNS1_14partition_implILS8_3ELb0ES6_jNS0_17counting_iteratorIjlEEPS9_SE_NS0_5tupleIJPjSE_EEENSF_IJSE_SE_EEES9_SG_JZNS1_25segmented_radix_sort_implINS0_14default_configELb1EPKhPhPKlPlN2at6native12_GLOBAL__N_18offset_tEEE10hipError_tPvRmT1_PNSt15iterator_traitsISY_E10value_typeET2_T3_PNSZ_IS14_E10value_typeET4_jRbjT5_S1A_jjP12ihipStream_tbEUljE_EEESV_SW_SX_S14_S18_S1A_T6_T7_T9_mT8_S1C_bDpT10_ENKUlT_T0_E_clISt17integral_constantIbLb1EES1O_IbLb0EEEEDaS1K_S1L_EUlS1K_E_NS1_11comp_targetILNS1_3genE3ELNS1_11target_archE908ELNS1_3gpuE7ELNS1_3repE0EEENS1_30default_config_static_selectorELNS0_4arch9wavefront6targetE0EEEvSY_.private_seg_size, 0
	.set _ZN7rocprim17ROCPRIM_400000_NS6detail17trampoline_kernelINS0_13select_configILj256ELj13ELNS0_17block_load_methodE3ELS4_3ELS4_3ELNS0_20block_scan_algorithmE0ELj4294967295EEENS1_25partition_config_selectorILNS1_17partition_subalgoE3EjNS0_10empty_typeEbEEZZNS1_14partition_implILS8_3ELb0ES6_jNS0_17counting_iteratorIjlEEPS9_SE_NS0_5tupleIJPjSE_EEENSF_IJSE_SE_EEES9_SG_JZNS1_25segmented_radix_sort_implINS0_14default_configELb1EPKhPhPKlPlN2at6native12_GLOBAL__N_18offset_tEEE10hipError_tPvRmT1_PNSt15iterator_traitsISY_E10value_typeET2_T3_PNSZ_IS14_E10value_typeET4_jRbjT5_S1A_jjP12ihipStream_tbEUljE_EEESV_SW_SX_S14_S18_S1A_T6_T7_T9_mT8_S1C_bDpT10_ENKUlT_T0_E_clISt17integral_constantIbLb1EES1O_IbLb0EEEEDaS1K_S1L_EUlS1K_E_NS1_11comp_targetILNS1_3genE3ELNS1_11target_archE908ELNS1_3gpuE7ELNS1_3repE0EEENS1_30default_config_static_selectorELNS0_4arch9wavefront6targetE0EEEvSY_.uses_vcc, 0
	.set _ZN7rocprim17ROCPRIM_400000_NS6detail17trampoline_kernelINS0_13select_configILj256ELj13ELNS0_17block_load_methodE3ELS4_3ELS4_3ELNS0_20block_scan_algorithmE0ELj4294967295EEENS1_25partition_config_selectorILNS1_17partition_subalgoE3EjNS0_10empty_typeEbEEZZNS1_14partition_implILS8_3ELb0ES6_jNS0_17counting_iteratorIjlEEPS9_SE_NS0_5tupleIJPjSE_EEENSF_IJSE_SE_EEES9_SG_JZNS1_25segmented_radix_sort_implINS0_14default_configELb1EPKhPhPKlPlN2at6native12_GLOBAL__N_18offset_tEEE10hipError_tPvRmT1_PNSt15iterator_traitsISY_E10value_typeET2_T3_PNSZ_IS14_E10value_typeET4_jRbjT5_S1A_jjP12ihipStream_tbEUljE_EEESV_SW_SX_S14_S18_S1A_T6_T7_T9_mT8_S1C_bDpT10_ENKUlT_T0_E_clISt17integral_constantIbLb1EES1O_IbLb0EEEEDaS1K_S1L_EUlS1K_E_NS1_11comp_targetILNS1_3genE3ELNS1_11target_archE908ELNS1_3gpuE7ELNS1_3repE0EEENS1_30default_config_static_selectorELNS0_4arch9wavefront6targetE0EEEvSY_.uses_flat_scratch, 0
	.set _ZN7rocprim17ROCPRIM_400000_NS6detail17trampoline_kernelINS0_13select_configILj256ELj13ELNS0_17block_load_methodE3ELS4_3ELS4_3ELNS0_20block_scan_algorithmE0ELj4294967295EEENS1_25partition_config_selectorILNS1_17partition_subalgoE3EjNS0_10empty_typeEbEEZZNS1_14partition_implILS8_3ELb0ES6_jNS0_17counting_iteratorIjlEEPS9_SE_NS0_5tupleIJPjSE_EEENSF_IJSE_SE_EEES9_SG_JZNS1_25segmented_radix_sort_implINS0_14default_configELb1EPKhPhPKlPlN2at6native12_GLOBAL__N_18offset_tEEE10hipError_tPvRmT1_PNSt15iterator_traitsISY_E10value_typeET2_T3_PNSZ_IS14_E10value_typeET4_jRbjT5_S1A_jjP12ihipStream_tbEUljE_EEESV_SW_SX_S14_S18_S1A_T6_T7_T9_mT8_S1C_bDpT10_ENKUlT_T0_E_clISt17integral_constantIbLb1EES1O_IbLb0EEEEDaS1K_S1L_EUlS1K_E_NS1_11comp_targetILNS1_3genE3ELNS1_11target_archE908ELNS1_3gpuE7ELNS1_3repE0EEENS1_30default_config_static_selectorELNS0_4arch9wavefront6targetE0EEEvSY_.has_dyn_sized_stack, 0
	.set _ZN7rocprim17ROCPRIM_400000_NS6detail17trampoline_kernelINS0_13select_configILj256ELj13ELNS0_17block_load_methodE3ELS4_3ELS4_3ELNS0_20block_scan_algorithmE0ELj4294967295EEENS1_25partition_config_selectorILNS1_17partition_subalgoE3EjNS0_10empty_typeEbEEZZNS1_14partition_implILS8_3ELb0ES6_jNS0_17counting_iteratorIjlEEPS9_SE_NS0_5tupleIJPjSE_EEENSF_IJSE_SE_EEES9_SG_JZNS1_25segmented_radix_sort_implINS0_14default_configELb1EPKhPhPKlPlN2at6native12_GLOBAL__N_18offset_tEEE10hipError_tPvRmT1_PNSt15iterator_traitsISY_E10value_typeET2_T3_PNSZ_IS14_E10value_typeET4_jRbjT5_S1A_jjP12ihipStream_tbEUljE_EEESV_SW_SX_S14_S18_S1A_T6_T7_T9_mT8_S1C_bDpT10_ENKUlT_T0_E_clISt17integral_constantIbLb1EES1O_IbLb0EEEEDaS1K_S1L_EUlS1K_E_NS1_11comp_targetILNS1_3genE3ELNS1_11target_archE908ELNS1_3gpuE7ELNS1_3repE0EEENS1_30default_config_static_selectorELNS0_4arch9wavefront6targetE0EEEvSY_.has_recursion, 0
	.set _ZN7rocprim17ROCPRIM_400000_NS6detail17trampoline_kernelINS0_13select_configILj256ELj13ELNS0_17block_load_methodE3ELS4_3ELS4_3ELNS0_20block_scan_algorithmE0ELj4294967295EEENS1_25partition_config_selectorILNS1_17partition_subalgoE3EjNS0_10empty_typeEbEEZZNS1_14partition_implILS8_3ELb0ES6_jNS0_17counting_iteratorIjlEEPS9_SE_NS0_5tupleIJPjSE_EEENSF_IJSE_SE_EEES9_SG_JZNS1_25segmented_radix_sort_implINS0_14default_configELb1EPKhPhPKlPlN2at6native12_GLOBAL__N_18offset_tEEE10hipError_tPvRmT1_PNSt15iterator_traitsISY_E10value_typeET2_T3_PNSZ_IS14_E10value_typeET4_jRbjT5_S1A_jjP12ihipStream_tbEUljE_EEESV_SW_SX_S14_S18_S1A_T6_T7_T9_mT8_S1C_bDpT10_ENKUlT_T0_E_clISt17integral_constantIbLb1EES1O_IbLb0EEEEDaS1K_S1L_EUlS1K_E_NS1_11comp_targetILNS1_3genE3ELNS1_11target_archE908ELNS1_3gpuE7ELNS1_3repE0EEENS1_30default_config_static_selectorELNS0_4arch9wavefront6targetE0EEEvSY_.has_indirect_call, 0
	.section	.AMDGPU.csdata,"",@progbits
; Kernel info:
; codeLenInByte = 0
; TotalNumSgprs: 0
; NumVgprs: 0
; ScratchSize: 0
; MemoryBound: 0
; FloatMode: 240
; IeeeMode: 1
; LDSByteSize: 0 bytes/workgroup (compile time only)
; SGPRBlocks: 0
; VGPRBlocks: 0
; NumSGPRsForWavesPerEU: 1
; NumVGPRsForWavesPerEU: 1
; Occupancy: 16
; WaveLimiterHint : 0
; COMPUTE_PGM_RSRC2:SCRATCH_EN: 0
; COMPUTE_PGM_RSRC2:USER_SGPR: 2
; COMPUTE_PGM_RSRC2:TRAP_HANDLER: 0
; COMPUTE_PGM_RSRC2:TGID_X_EN: 1
; COMPUTE_PGM_RSRC2:TGID_Y_EN: 0
; COMPUTE_PGM_RSRC2:TGID_Z_EN: 0
; COMPUTE_PGM_RSRC2:TIDIG_COMP_CNT: 0
	.section	.text._ZN7rocprim17ROCPRIM_400000_NS6detail17trampoline_kernelINS0_13select_configILj256ELj13ELNS0_17block_load_methodE3ELS4_3ELS4_3ELNS0_20block_scan_algorithmE0ELj4294967295EEENS1_25partition_config_selectorILNS1_17partition_subalgoE3EjNS0_10empty_typeEbEEZZNS1_14partition_implILS8_3ELb0ES6_jNS0_17counting_iteratorIjlEEPS9_SE_NS0_5tupleIJPjSE_EEENSF_IJSE_SE_EEES9_SG_JZNS1_25segmented_radix_sort_implINS0_14default_configELb1EPKhPhPKlPlN2at6native12_GLOBAL__N_18offset_tEEE10hipError_tPvRmT1_PNSt15iterator_traitsISY_E10value_typeET2_T3_PNSZ_IS14_E10value_typeET4_jRbjT5_S1A_jjP12ihipStream_tbEUljE_EEESV_SW_SX_S14_S18_S1A_T6_T7_T9_mT8_S1C_bDpT10_ENKUlT_T0_E_clISt17integral_constantIbLb1EES1O_IbLb0EEEEDaS1K_S1L_EUlS1K_E_NS1_11comp_targetILNS1_3genE2ELNS1_11target_archE906ELNS1_3gpuE6ELNS1_3repE0EEENS1_30default_config_static_selectorELNS0_4arch9wavefront6targetE0EEEvSY_,"axG",@progbits,_ZN7rocprim17ROCPRIM_400000_NS6detail17trampoline_kernelINS0_13select_configILj256ELj13ELNS0_17block_load_methodE3ELS4_3ELS4_3ELNS0_20block_scan_algorithmE0ELj4294967295EEENS1_25partition_config_selectorILNS1_17partition_subalgoE3EjNS0_10empty_typeEbEEZZNS1_14partition_implILS8_3ELb0ES6_jNS0_17counting_iteratorIjlEEPS9_SE_NS0_5tupleIJPjSE_EEENSF_IJSE_SE_EEES9_SG_JZNS1_25segmented_radix_sort_implINS0_14default_configELb1EPKhPhPKlPlN2at6native12_GLOBAL__N_18offset_tEEE10hipError_tPvRmT1_PNSt15iterator_traitsISY_E10value_typeET2_T3_PNSZ_IS14_E10value_typeET4_jRbjT5_S1A_jjP12ihipStream_tbEUljE_EEESV_SW_SX_S14_S18_S1A_T6_T7_T9_mT8_S1C_bDpT10_ENKUlT_T0_E_clISt17integral_constantIbLb1EES1O_IbLb0EEEEDaS1K_S1L_EUlS1K_E_NS1_11comp_targetILNS1_3genE2ELNS1_11target_archE906ELNS1_3gpuE6ELNS1_3repE0EEENS1_30default_config_static_selectorELNS0_4arch9wavefront6targetE0EEEvSY_,comdat
	.globl	_ZN7rocprim17ROCPRIM_400000_NS6detail17trampoline_kernelINS0_13select_configILj256ELj13ELNS0_17block_load_methodE3ELS4_3ELS4_3ELNS0_20block_scan_algorithmE0ELj4294967295EEENS1_25partition_config_selectorILNS1_17partition_subalgoE3EjNS0_10empty_typeEbEEZZNS1_14partition_implILS8_3ELb0ES6_jNS0_17counting_iteratorIjlEEPS9_SE_NS0_5tupleIJPjSE_EEENSF_IJSE_SE_EEES9_SG_JZNS1_25segmented_radix_sort_implINS0_14default_configELb1EPKhPhPKlPlN2at6native12_GLOBAL__N_18offset_tEEE10hipError_tPvRmT1_PNSt15iterator_traitsISY_E10value_typeET2_T3_PNSZ_IS14_E10value_typeET4_jRbjT5_S1A_jjP12ihipStream_tbEUljE_EEESV_SW_SX_S14_S18_S1A_T6_T7_T9_mT8_S1C_bDpT10_ENKUlT_T0_E_clISt17integral_constantIbLb1EES1O_IbLb0EEEEDaS1K_S1L_EUlS1K_E_NS1_11comp_targetILNS1_3genE2ELNS1_11target_archE906ELNS1_3gpuE6ELNS1_3repE0EEENS1_30default_config_static_selectorELNS0_4arch9wavefront6targetE0EEEvSY_ ; -- Begin function _ZN7rocprim17ROCPRIM_400000_NS6detail17trampoline_kernelINS0_13select_configILj256ELj13ELNS0_17block_load_methodE3ELS4_3ELS4_3ELNS0_20block_scan_algorithmE0ELj4294967295EEENS1_25partition_config_selectorILNS1_17partition_subalgoE3EjNS0_10empty_typeEbEEZZNS1_14partition_implILS8_3ELb0ES6_jNS0_17counting_iteratorIjlEEPS9_SE_NS0_5tupleIJPjSE_EEENSF_IJSE_SE_EEES9_SG_JZNS1_25segmented_radix_sort_implINS0_14default_configELb1EPKhPhPKlPlN2at6native12_GLOBAL__N_18offset_tEEE10hipError_tPvRmT1_PNSt15iterator_traitsISY_E10value_typeET2_T3_PNSZ_IS14_E10value_typeET4_jRbjT5_S1A_jjP12ihipStream_tbEUljE_EEESV_SW_SX_S14_S18_S1A_T6_T7_T9_mT8_S1C_bDpT10_ENKUlT_T0_E_clISt17integral_constantIbLb1EES1O_IbLb0EEEEDaS1K_S1L_EUlS1K_E_NS1_11comp_targetILNS1_3genE2ELNS1_11target_archE906ELNS1_3gpuE6ELNS1_3repE0EEENS1_30default_config_static_selectorELNS0_4arch9wavefront6targetE0EEEvSY_
	.p2align	8
	.type	_ZN7rocprim17ROCPRIM_400000_NS6detail17trampoline_kernelINS0_13select_configILj256ELj13ELNS0_17block_load_methodE3ELS4_3ELS4_3ELNS0_20block_scan_algorithmE0ELj4294967295EEENS1_25partition_config_selectorILNS1_17partition_subalgoE3EjNS0_10empty_typeEbEEZZNS1_14partition_implILS8_3ELb0ES6_jNS0_17counting_iteratorIjlEEPS9_SE_NS0_5tupleIJPjSE_EEENSF_IJSE_SE_EEES9_SG_JZNS1_25segmented_radix_sort_implINS0_14default_configELb1EPKhPhPKlPlN2at6native12_GLOBAL__N_18offset_tEEE10hipError_tPvRmT1_PNSt15iterator_traitsISY_E10value_typeET2_T3_PNSZ_IS14_E10value_typeET4_jRbjT5_S1A_jjP12ihipStream_tbEUljE_EEESV_SW_SX_S14_S18_S1A_T6_T7_T9_mT8_S1C_bDpT10_ENKUlT_T0_E_clISt17integral_constantIbLb1EES1O_IbLb0EEEEDaS1K_S1L_EUlS1K_E_NS1_11comp_targetILNS1_3genE2ELNS1_11target_archE906ELNS1_3gpuE6ELNS1_3repE0EEENS1_30default_config_static_selectorELNS0_4arch9wavefront6targetE0EEEvSY_,@function
_ZN7rocprim17ROCPRIM_400000_NS6detail17trampoline_kernelINS0_13select_configILj256ELj13ELNS0_17block_load_methodE3ELS4_3ELS4_3ELNS0_20block_scan_algorithmE0ELj4294967295EEENS1_25partition_config_selectorILNS1_17partition_subalgoE3EjNS0_10empty_typeEbEEZZNS1_14partition_implILS8_3ELb0ES6_jNS0_17counting_iteratorIjlEEPS9_SE_NS0_5tupleIJPjSE_EEENSF_IJSE_SE_EEES9_SG_JZNS1_25segmented_radix_sort_implINS0_14default_configELb1EPKhPhPKlPlN2at6native12_GLOBAL__N_18offset_tEEE10hipError_tPvRmT1_PNSt15iterator_traitsISY_E10value_typeET2_T3_PNSZ_IS14_E10value_typeET4_jRbjT5_S1A_jjP12ihipStream_tbEUljE_EEESV_SW_SX_S14_S18_S1A_T6_T7_T9_mT8_S1C_bDpT10_ENKUlT_T0_E_clISt17integral_constantIbLb1EES1O_IbLb0EEEEDaS1K_S1L_EUlS1K_E_NS1_11comp_targetILNS1_3genE2ELNS1_11target_archE906ELNS1_3gpuE6ELNS1_3repE0EEENS1_30default_config_static_selectorELNS0_4arch9wavefront6targetE0EEEvSY_: ; @_ZN7rocprim17ROCPRIM_400000_NS6detail17trampoline_kernelINS0_13select_configILj256ELj13ELNS0_17block_load_methodE3ELS4_3ELS4_3ELNS0_20block_scan_algorithmE0ELj4294967295EEENS1_25partition_config_selectorILNS1_17partition_subalgoE3EjNS0_10empty_typeEbEEZZNS1_14partition_implILS8_3ELb0ES6_jNS0_17counting_iteratorIjlEEPS9_SE_NS0_5tupleIJPjSE_EEENSF_IJSE_SE_EEES9_SG_JZNS1_25segmented_radix_sort_implINS0_14default_configELb1EPKhPhPKlPlN2at6native12_GLOBAL__N_18offset_tEEE10hipError_tPvRmT1_PNSt15iterator_traitsISY_E10value_typeET2_T3_PNSZ_IS14_E10value_typeET4_jRbjT5_S1A_jjP12ihipStream_tbEUljE_EEESV_SW_SX_S14_S18_S1A_T6_T7_T9_mT8_S1C_bDpT10_ENKUlT_T0_E_clISt17integral_constantIbLb1EES1O_IbLb0EEEEDaS1K_S1L_EUlS1K_E_NS1_11comp_targetILNS1_3genE2ELNS1_11target_archE906ELNS1_3gpuE6ELNS1_3repE0EEENS1_30default_config_static_selectorELNS0_4arch9wavefront6targetE0EEEvSY_
; %bb.0:
	.section	.rodata,"a",@progbits
	.p2align	6, 0x0
	.amdhsa_kernel _ZN7rocprim17ROCPRIM_400000_NS6detail17trampoline_kernelINS0_13select_configILj256ELj13ELNS0_17block_load_methodE3ELS4_3ELS4_3ELNS0_20block_scan_algorithmE0ELj4294967295EEENS1_25partition_config_selectorILNS1_17partition_subalgoE3EjNS0_10empty_typeEbEEZZNS1_14partition_implILS8_3ELb0ES6_jNS0_17counting_iteratorIjlEEPS9_SE_NS0_5tupleIJPjSE_EEENSF_IJSE_SE_EEES9_SG_JZNS1_25segmented_radix_sort_implINS0_14default_configELb1EPKhPhPKlPlN2at6native12_GLOBAL__N_18offset_tEEE10hipError_tPvRmT1_PNSt15iterator_traitsISY_E10value_typeET2_T3_PNSZ_IS14_E10value_typeET4_jRbjT5_S1A_jjP12ihipStream_tbEUljE_EEESV_SW_SX_S14_S18_S1A_T6_T7_T9_mT8_S1C_bDpT10_ENKUlT_T0_E_clISt17integral_constantIbLb1EES1O_IbLb0EEEEDaS1K_S1L_EUlS1K_E_NS1_11comp_targetILNS1_3genE2ELNS1_11target_archE906ELNS1_3gpuE6ELNS1_3repE0EEENS1_30default_config_static_selectorELNS0_4arch9wavefront6targetE0EEEvSY_
		.amdhsa_group_segment_fixed_size 0
		.amdhsa_private_segment_fixed_size 0
		.amdhsa_kernarg_size 144
		.amdhsa_user_sgpr_count 2
		.amdhsa_user_sgpr_dispatch_ptr 0
		.amdhsa_user_sgpr_queue_ptr 0
		.amdhsa_user_sgpr_kernarg_segment_ptr 1
		.amdhsa_user_sgpr_dispatch_id 0
		.amdhsa_user_sgpr_private_segment_size 0
		.amdhsa_wavefront_size32 1
		.amdhsa_uses_dynamic_stack 0
		.amdhsa_enable_private_segment 0
		.amdhsa_system_sgpr_workgroup_id_x 1
		.amdhsa_system_sgpr_workgroup_id_y 0
		.amdhsa_system_sgpr_workgroup_id_z 0
		.amdhsa_system_sgpr_workgroup_info 0
		.amdhsa_system_vgpr_workitem_id 0
		.amdhsa_next_free_vgpr 1
		.amdhsa_next_free_sgpr 1
		.amdhsa_reserve_vcc 0
		.amdhsa_float_round_mode_32 0
		.amdhsa_float_round_mode_16_64 0
		.amdhsa_float_denorm_mode_32 3
		.amdhsa_float_denorm_mode_16_64 3
		.amdhsa_fp16_overflow 0
		.amdhsa_workgroup_processor_mode 1
		.amdhsa_memory_ordered 1
		.amdhsa_forward_progress 1
		.amdhsa_inst_pref_size 0
		.amdhsa_round_robin_scheduling 0
		.amdhsa_exception_fp_ieee_invalid_op 0
		.amdhsa_exception_fp_denorm_src 0
		.amdhsa_exception_fp_ieee_div_zero 0
		.amdhsa_exception_fp_ieee_overflow 0
		.amdhsa_exception_fp_ieee_underflow 0
		.amdhsa_exception_fp_ieee_inexact 0
		.amdhsa_exception_int_div_zero 0
	.end_amdhsa_kernel
	.section	.text._ZN7rocprim17ROCPRIM_400000_NS6detail17trampoline_kernelINS0_13select_configILj256ELj13ELNS0_17block_load_methodE3ELS4_3ELS4_3ELNS0_20block_scan_algorithmE0ELj4294967295EEENS1_25partition_config_selectorILNS1_17partition_subalgoE3EjNS0_10empty_typeEbEEZZNS1_14partition_implILS8_3ELb0ES6_jNS0_17counting_iteratorIjlEEPS9_SE_NS0_5tupleIJPjSE_EEENSF_IJSE_SE_EEES9_SG_JZNS1_25segmented_radix_sort_implINS0_14default_configELb1EPKhPhPKlPlN2at6native12_GLOBAL__N_18offset_tEEE10hipError_tPvRmT1_PNSt15iterator_traitsISY_E10value_typeET2_T3_PNSZ_IS14_E10value_typeET4_jRbjT5_S1A_jjP12ihipStream_tbEUljE_EEESV_SW_SX_S14_S18_S1A_T6_T7_T9_mT8_S1C_bDpT10_ENKUlT_T0_E_clISt17integral_constantIbLb1EES1O_IbLb0EEEEDaS1K_S1L_EUlS1K_E_NS1_11comp_targetILNS1_3genE2ELNS1_11target_archE906ELNS1_3gpuE6ELNS1_3repE0EEENS1_30default_config_static_selectorELNS0_4arch9wavefront6targetE0EEEvSY_,"axG",@progbits,_ZN7rocprim17ROCPRIM_400000_NS6detail17trampoline_kernelINS0_13select_configILj256ELj13ELNS0_17block_load_methodE3ELS4_3ELS4_3ELNS0_20block_scan_algorithmE0ELj4294967295EEENS1_25partition_config_selectorILNS1_17partition_subalgoE3EjNS0_10empty_typeEbEEZZNS1_14partition_implILS8_3ELb0ES6_jNS0_17counting_iteratorIjlEEPS9_SE_NS0_5tupleIJPjSE_EEENSF_IJSE_SE_EEES9_SG_JZNS1_25segmented_radix_sort_implINS0_14default_configELb1EPKhPhPKlPlN2at6native12_GLOBAL__N_18offset_tEEE10hipError_tPvRmT1_PNSt15iterator_traitsISY_E10value_typeET2_T3_PNSZ_IS14_E10value_typeET4_jRbjT5_S1A_jjP12ihipStream_tbEUljE_EEESV_SW_SX_S14_S18_S1A_T6_T7_T9_mT8_S1C_bDpT10_ENKUlT_T0_E_clISt17integral_constantIbLb1EES1O_IbLb0EEEEDaS1K_S1L_EUlS1K_E_NS1_11comp_targetILNS1_3genE2ELNS1_11target_archE906ELNS1_3gpuE6ELNS1_3repE0EEENS1_30default_config_static_selectorELNS0_4arch9wavefront6targetE0EEEvSY_,comdat
.Lfunc_end70:
	.size	_ZN7rocprim17ROCPRIM_400000_NS6detail17trampoline_kernelINS0_13select_configILj256ELj13ELNS0_17block_load_methodE3ELS4_3ELS4_3ELNS0_20block_scan_algorithmE0ELj4294967295EEENS1_25partition_config_selectorILNS1_17partition_subalgoE3EjNS0_10empty_typeEbEEZZNS1_14partition_implILS8_3ELb0ES6_jNS0_17counting_iteratorIjlEEPS9_SE_NS0_5tupleIJPjSE_EEENSF_IJSE_SE_EEES9_SG_JZNS1_25segmented_radix_sort_implINS0_14default_configELb1EPKhPhPKlPlN2at6native12_GLOBAL__N_18offset_tEEE10hipError_tPvRmT1_PNSt15iterator_traitsISY_E10value_typeET2_T3_PNSZ_IS14_E10value_typeET4_jRbjT5_S1A_jjP12ihipStream_tbEUljE_EEESV_SW_SX_S14_S18_S1A_T6_T7_T9_mT8_S1C_bDpT10_ENKUlT_T0_E_clISt17integral_constantIbLb1EES1O_IbLb0EEEEDaS1K_S1L_EUlS1K_E_NS1_11comp_targetILNS1_3genE2ELNS1_11target_archE906ELNS1_3gpuE6ELNS1_3repE0EEENS1_30default_config_static_selectorELNS0_4arch9wavefront6targetE0EEEvSY_, .Lfunc_end70-_ZN7rocprim17ROCPRIM_400000_NS6detail17trampoline_kernelINS0_13select_configILj256ELj13ELNS0_17block_load_methodE3ELS4_3ELS4_3ELNS0_20block_scan_algorithmE0ELj4294967295EEENS1_25partition_config_selectorILNS1_17partition_subalgoE3EjNS0_10empty_typeEbEEZZNS1_14partition_implILS8_3ELb0ES6_jNS0_17counting_iteratorIjlEEPS9_SE_NS0_5tupleIJPjSE_EEENSF_IJSE_SE_EEES9_SG_JZNS1_25segmented_radix_sort_implINS0_14default_configELb1EPKhPhPKlPlN2at6native12_GLOBAL__N_18offset_tEEE10hipError_tPvRmT1_PNSt15iterator_traitsISY_E10value_typeET2_T3_PNSZ_IS14_E10value_typeET4_jRbjT5_S1A_jjP12ihipStream_tbEUljE_EEESV_SW_SX_S14_S18_S1A_T6_T7_T9_mT8_S1C_bDpT10_ENKUlT_T0_E_clISt17integral_constantIbLb1EES1O_IbLb0EEEEDaS1K_S1L_EUlS1K_E_NS1_11comp_targetILNS1_3genE2ELNS1_11target_archE906ELNS1_3gpuE6ELNS1_3repE0EEENS1_30default_config_static_selectorELNS0_4arch9wavefront6targetE0EEEvSY_
                                        ; -- End function
	.set _ZN7rocprim17ROCPRIM_400000_NS6detail17trampoline_kernelINS0_13select_configILj256ELj13ELNS0_17block_load_methodE3ELS4_3ELS4_3ELNS0_20block_scan_algorithmE0ELj4294967295EEENS1_25partition_config_selectorILNS1_17partition_subalgoE3EjNS0_10empty_typeEbEEZZNS1_14partition_implILS8_3ELb0ES6_jNS0_17counting_iteratorIjlEEPS9_SE_NS0_5tupleIJPjSE_EEENSF_IJSE_SE_EEES9_SG_JZNS1_25segmented_radix_sort_implINS0_14default_configELb1EPKhPhPKlPlN2at6native12_GLOBAL__N_18offset_tEEE10hipError_tPvRmT1_PNSt15iterator_traitsISY_E10value_typeET2_T3_PNSZ_IS14_E10value_typeET4_jRbjT5_S1A_jjP12ihipStream_tbEUljE_EEESV_SW_SX_S14_S18_S1A_T6_T7_T9_mT8_S1C_bDpT10_ENKUlT_T0_E_clISt17integral_constantIbLb1EES1O_IbLb0EEEEDaS1K_S1L_EUlS1K_E_NS1_11comp_targetILNS1_3genE2ELNS1_11target_archE906ELNS1_3gpuE6ELNS1_3repE0EEENS1_30default_config_static_selectorELNS0_4arch9wavefront6targetE0EEEvSY_.num_vgpr, 0
	.set _ZN7rocprim17ROCPRIM_400000_NS6detail17trampoline_kernelINS0_13select_configILj256ELj13ELNS0_17block_load_methodE3ELS4_3ELS4_3ELNS0_20block_scan_algorithmE0ELj4294967295EEENS1_25partition_config_selectorILNS1_17partition_subalgoE3EjNS0_10empty_typeEbEEZZNS1_14partition_implILS8_3ELb0ES6_jNS0_17counting_iteratorIjlEEPS9_SE_NS0_5tupleIJPjSE_EEENSF_IJSE_SE_EEES9_SG_JZNS1_25segmented_radix_sort_implINS0_14default_configELb1EPKhPhPKlPlN2at6native12_GLOBAL__N_18offset_tEEE10hipError_tPvRmT1_PNSt15iterator_traitsISY_E10value_typeET2_T3_PNSZ_IS14_E10value_typeET4_jRbjT5_S1A_jjP12ihipStream_tbEUljE_EEESV_SW_SX_S14_S18_S1A_T6_T7_T9_mT8_S1C_bDpT10_ENKUlT_T0_E_clISt17integral_constantIbLb1EES1O_IbLb0EEEEDaS1K_S1L_EUlS1K_E_NS1_11comp_targetILNS1_3genE2ELNS1_11target_archE906ELNS1_3gpuE6ELNS1_3repE0EEENS1_30default_config_static_selectorELNS0_4arch9wavefront6targetE0EEEvSY_.num_agpr, 0
	.set _ZN7rocprim17ROCPRIM_400000_NS6detail17trampoline_kernelINS0_13select_configILj256ELj13ELNS0_17block_load_methodE3ELS4_3ELS4_3ELNS0_20block_scan_algorithmE0ELj4294967295EEENS1_25partition_config_selectorILNS1_17partition_subalgoE3EjNS0_10empty_typeEbEEZZNS1_14partition_implILS8_3ELb0ES6_jNS0_17counting_iteratorIjlEEPS9_SE_NS0_5tupleIJPjSE_EEENSF_IJSE_SE_EEES9_SG_JZNS1_25segmented_radix_sort_implINS0_14default_configELb1EPKhPhPKlPlN2at6native12_GLOBAL__N_18offset_tEEE10hipError_tPvRmT1_PNSt15iterator_traitsISY_E10value_typeET2_T3_PNSZ_IS14_E10value_typeET4_jRbjT5_S1A_jjP12ihipStream_tbEUljE_EEESV_SW_SX_S14_S18_S1A_T6_T7_T9_mT8_S1C_bDpT10_ENKUlT_T0_E_clISt17integral_constantIbLb1EES1O_IbLb0EEEEDaS1K_S1L_EUlS1K_E_NS1_11comp_targetILNS1_3genE2ELNS1_11target_archE906ELNS1_3gpuE6ELNS1_3repE0EEENS1_30default_config_static_selectorELNS0_4arch9wavefront6targetE0EEEvSY_.numbered_sgpr, 0
	.set _ZN7rocprim17ROCPRIM_400000_NS6detail17trampoline_kernelINS0_13select_configILj256ELj13ELNS0_17block_load_methodE3ELS4_3ELS4_3ELNS0_20block_scan_algorithmE0ELj4294967295EEENS1_25partition_config_selectorILNS1_17partition_subalgoE3EjNS0_10empty_typeEbEEZZNS1_14partition_implILS8_3ELb0ES6_jNS0_17counting_iteratorIjlEEPS9_SE_NS0_5tupleIJPjSE_EEENSF_IJSE_SE_EEES9_SG_JZNS1_25segmented_radix_sort_implINS0_14default_configELb1EPKhPhPKlPlN2at6native12_GLOBAL__N_18offset_tEEE10hipError_tPvRmT1_PNSt15iterator_traitsISY_E10value_typeET2_T3_PNSZ_IS14_E10value_typeET4_jRbjT5_S1A_jjP12ihipStream_tbEUljE_EEESV_SW_SX_S14_S18_S1A_T6_T7_T9_mT8_S1C_bDpT10_ENKUlT_T0_E_clISt17integral_constantIbLb1EES1O_IbLb0EEEEDaS1K_S1L_EUlS1K_E_NS1_11comp_targetILNS1_3genE2ELNS1_11target_archE906ELNS1_3gpuE6ELNS1_3repE0EEENS1_30default_config_static_selectorELNS0_4arch9wavefront6targetE0EEEvSY_.num_named_barrier, 0
	.set _ZN7rocprim17ROCPRIM_400000_NS6detail17trampoline_kernelINS0_13select_configILj256ELj13ELNS0_17block_load_methodE3ELS4_3ELS4_3ELNS0_20block_scan_algorithmE0ELj4294967295EEENS1_25partition_config_selectorILNS1_17partition_subalgoE3EjNS0_10empty_typeEbEEZZNS1_14partition_implILS8_3ELb0ES6_jNS0_17counting_iteratorIjlEEPS9_SE_NS0_5tupleIJPjSE_EEENSF_IJSE_SE_EEES9_SG_JZNS1_25segmented_radix_sort_implINS0_14default_configELb1EPKhPhPKlPlN2at6native12_GLOBAL__N_18offset_tEEE10hipError_tPvRmT1_PNSt15iterator_traitsISY_E10value_typeET2_T3_PNSZ_IS14_E10value_typeET4_jRbjT5_S1A_jjP12ihipStream_tbEUljE_EEESV_SW_SX_S14_S18_S1A_T6_T7_T9_mT8_S1C_bDpT10_ENKUlT_T0_E_clISt17integral_constantIbLb1EES1O_IbLb0EEEEDaS1K_S1L_EUlS1K_E_NS1_11comp_targetILNS1_3genE2ELNS1_11target_archE906ELNS1_3gpuE6ELNS1_3repE0EEENS1_30default_config_static_selectorELNS0_4arch9wavefront6targetE0EEEvSY_.private_seg_size, 0
	.set _ZN7rocprim17ROCPRIM_400000_NS6detail17trampoline_kernelINS0_13select_configILj256ELj13ELNS0_17block_load_methodE3ELS4_3ELS4_3ELNS0_20block_scan_algorithmE0ELj4294967295EEENS1_25partition_config_selectorILNS1_17partition_subalgoE3EjNS0_10empty_typeEbEEZZNS1_14partition_implILS8_3ELb0ES6_jNS0_17counting_iteratorIjlEEPS9_SE_NS0_5tupleIJPjSE_EEENSF_IJSE_SE_EEES9_SG_JZNS1_25segmented_radix_sort_implINS0_14default_configELb1EPKhPhPKlPlN2at6native12_GLOBAL__N_18offset_tEEE10hipError_tPvRmT1_PNSt15iterator_traitsISY_E10value_typeET2_T3_PNSZ_IS14_E10value_typeET4_jRbjT5_S1A_jjP12ihipStream_tbEUljE_EEESV_SW_SX_S14_S18_S1A_T6_T7_T9_mT8_S1C_bDpT10_ENKUlT_T0_E_clISt17integral_constantIbLb1EES1O_IbLb0EEEEDaS1K_S1L_EUlS1K_E_NS1_11comp_targetILNS1_3genE2ELNS1_11target_archE906ELNS1_3gpuE6ELNS1_3repE0EEENS1_30default_config_static_selectorELNS0_4arch9wavefront6targetE0EEEvSY_.uses_vcc, 0
	.set _ZN7rocprim17ROCPRIM_400000_NS6detail17trampoline_kernelINS0_13select_configILj256ELj13ELNS0_17block_load_methodE3ELS4_3ELS4_3ELNS0_20block_scan_algorithmE0ELj4294967295EEENS1_25partition_config_selectorILNS1_17partition_subalgoE3EjNS0_10empty_typeEbEEZZNS1_14partition_implILS8_3ELb0ES6_jNS0_17counting_iteratorIjlEEPS9_SE_NS0_5tupleIJPjSE_EEENSF_IJSE_SE_EEES9_SG_JZNS1_25segmented_radix_sort_implINS0_14default_configELb1EPKhPhPKlPlN2at6native12_GLOBAL__N_18offset_tEEE10hipError_tPvRmT1_PNSt15iterator_traitsISY_E10value_typeET2_T3_PNSZ_IS14_E10value_typeET4_jRbjT5_S1A_jjP12ihipStream_tbEUljE_EEESV_SW_SX_S14_S18_S1A_T6_T7_T9_mT8_S1C_bDpT10_ENKUlT_T0_E_clISt17integral_constantIbLb1EES1O_IbLb0EEEEDaS1K_S1L_EUlS1K_E_NS1_11comp_targetILNS1_3genE2ELNS1_11target_archE906ELNS1_3gpuE6ELNS1_3repE0EEENS1_30default_config_static_selectorELNS0_4arch9wavefront6targetE0EEEvSY_.uses_flat_scratch, 0
	.set _ZN7rocprim17ROCPRIM_400000_NS6detail17trampoline_kernelINS0_13select_configILj256ELj13ELNS0_17block_load_methodE3ELS4_3ELS4_3ELNS0_20block_scan_algorithmE0ELj4294967295EEENS1_25partition_config_selectorILNS1_17partition_subalgoE3EjNS0_10empty_typeEbEEZZNS1_14partition_implILS8_3ELb0ES6_jNS0_17counting_iteratorIjlEEPS9_SE_NS0_5tupleIJPjSE_EEENSF_IJSE_SE_EEES9_SG_JZNS1_25segmented_radix_sort_implINS0_14default_configELb1EPKhPhPKlPlN2at6native12_GLOBAL__N_18offset_tEEE10hipError_tPvRmT1_PNSt15iterator_traitsISY_E10value_typeET2_T3_PNSZ_IS14_E10value_typeET4_jRbjT5_S1A_jjP12ihipStream_tbEUljE_EEESV_SW_SX_S14_S18_S1A_T6_T7_T9_mT8_S1C_bDpT10_ENKUlT_T0_E_clISt17integral_constantIbLb1EES1O_IbLb0EEEEDaS1K_S1L_EUlS1K_E_NS1_11comp_targetILNS1_3genE2ELNS1_11target_archE906ELNS1_3gpuE6ELNS1_3repE0EEENS1_30default_config_static_selectorELNS0_4arch9wavefront6targetE0EEEvSY_.has_dyn_sized_stack, 0
	.set _ZN7rocprim17ROCPRIM_400000_NS6detail17trampoline_kernelINS0_13select_configILj256ELj13ELNS0_17block_load_methodE3ELS4_3ELS4_3ELNS0_20block_scan_algorithmE0ELj4294967295EEENS1_25partition_config_selectorILNS1_17partition_subalgoE3EjNS0_10empty_typeEbEEZZNS1_14partition_implILS8_3ELb0ES6_jNS0_17counting_iteratorIjlEEPS9_SE_NS0_5tupleIJPjSE_EEENSF_IJSE_SE_EEES9_SG_JZNS1_25segmented_radix_sort_implINS0_14default_configELb1EPKhPhPKlPlN2at6native12_GLOBAL__N_18offset_tEEE10hipError_tPvRmT1_PNSt15iterator_traitsISY_E10value_typeET2_T3_PNSZ_IS14_E10value_typeET4_jRbjT5_S1A_jjP12ihipStream_tbEUljE_EEESV_SW_SX_S14_S18_S1A_T6_T7_T9_mT8_S1C_bDpT10_ENKUlT_T0_E_clISt17integral_constantIbLb1EES1O_IbLb0EEEEDaS1K_S1L_EUlS1K_E_NS1_11comp_targetILNS1_3genE2ELNS1_11target_archE906ELNS1_3gpuE6ELNS1_3repE0EEENS1_30default_config_static_selectorELNS0_4arch9wavefront6targetE0EEEvSY_.has_recursion, 0
	.set _ZN7rocprim17ROCPRIM_400000_NS6detail17trampoline_kernelINS0_13select_configILj256ELj13ELNS0_17block_load_methodE3ELS4_3ELS4_3ELNS0_20block_scan_algorithmE0ELj4294967295EEENS1_25partition_config_selectorILNS1_17partition_subalgoE3EjNS0_10empty_typeEbEEZZNS1_14partition_implILS8_3ELb0ES6_jNS0_17counting_iteratorIjlEEPS9_SE_NS0_5tupleIJPjSE_EEENSF_IJSE_SE_EEES9_SG_JZNS1_25segmented_radix_sort_implINS0_14default_configELb1EPKhPhPKlPlN2at6native12_GLOBAL__N_18offset_tEEE10hipError_tPvRmT1_PNSt15iterator_traitsISY_E10value_typeET2_T3_PNSZ_IS14_E10value_typeET4_jRbjT5_S1A_jjP12ihipStream_tbEUljE_EEESV_SW_SX_S14_S18_S1A_T6_T7_T9_mT8_S1C_bDpT10_ENKUlT_T0_E_clISt17integral_constantIbLb1EES1O_IbLb0EEEEDaS1K_S1L_EUlS1K_E_NS1_11comp_targetILNS1_3genE2ELNS1_11target_archE906ELNS1_3gpuE6ELNS1_3repE0EEENS1_30default_config_static_selectorELNS0_4arch9wavefront6targetE0EEEvSY_.has_indirect_call, 0
	.section	.AMDGPU.csdata,"",@progbits
; Kernel info:
; codeLenInByte = 0
; TotalNumSgprs: 0
; NumVgprs: 0
; ScratchSize: 0
; MemoryBound: 0
; FloatMode: 240
; IeeeMode: 1
; LDSByteSize: 0 bytes/workgroup (compile time only)
; SGPRBlocks: 0
; VGPRBlocks: 0
; NumSGPRsForWavesPerEU: 1
; NumVGPRsForWavesPerEU: 1
; Occupancy: 16
; WaveLimiterHint : 0
; COMPUTE_PGM_RSRC2:SCRATCH_EN: 0
; COMPUTE_PGM_RSRC2:USER_SGPR: 2
; COMPUTE_PGM_RSRC2:TRAP_HANDLER: 0
; COMPUTE_PGM_RSRC2:TGID_X_EN: 1
; COMPUTE_PGM_RSRC2:TGID_Y_EN: 0
; COMPUTE_PGM_RSRC2:TGID_Z_EN: 0
; COMPUTE_PGM_RSRC2:TIDIG_COMP_CNT: 0
	.section	.text._ZN7rocprim17ROCPRIM_400000_NS6detail17trampoline_kernelINS0_13select_configILj256ELj13ELNS0_17block_load_methodE3ELS4_3ELS4_3ELNS0_20block_scan_algorithmE0ELj4294967295EEENS1_25partition_config_selectorILNS1_17partition_subalgoE3EjNS0_10empty_typeEbEEZZNS1_14partition_implILS8_3ELb0ES6_jNS0_17counting_iteratorIjlEEPS9_SE_NS0_5tupleIJPjSE_EEENSF_IJSE_SE_EEES9_SG_JZNS1_25segmented_radix_sort_implINS0_14default_configELb1EPKhPhPKlPlN2at6native12_GLOBAL__N_18offset_tEEE10hipError_tPvRmT1_PNSt15iterator_traitsISY_E10value_typeET2_T3_PNSZ_IS14_E10value_typeET4_jRbjT5_S1A_jjP12ihipStream_tbEUljE_EEESV_SW_SX_S14_S18_S1A_T6_T7_T9_mT8_S1C_bDpT10_ENKUlT_T0_E_clISt17integral_constantIbLb1EES1O_IbLb0EEEEDaS1K_S1L_EUlS1K_E_NS1_11comp_targetILNS1_3genE10ELNS1_11target_archE1200ELNS1_3gpuE4ELNS1_3repE0EEENS1_30default_config_static_selectorELNS0_4arch9wavefront6targetE0EEEvSY_,"axG",@progbits,_ZN7rocprim17ROCPRIM_400000_NS6detail17trampoline_kernelINS0_13select_configILj256ELj13ELNS0_17block_load_methodE3ELS4_3ELS4_3ELNS0_20block_scan_algorithmE0ELj4294967295EEENS1_25partition_config_selectorILNS1_17partition_subalgoE3EjNS0_10empty_typeEbEEZZNS1_14partition_implILS8_3ELb0ES6_jNS0_17counting_iteratorIjlEEPS9_SE_NS0_5tupleIJPjSE_EEENSF_IJSE_SE_EEES9_SG_JZNS1_25segmented_radix_sort_implINS0_14default_configELb1EPKhPhPKlPlN2at6native12_GLOBAL__N_18offset_tEEE10hipError_tPvRmT1_PNSt15iterator_traitsISY_E10value_typeET2_T3_PNSZ_IS14_E10value_typeET4_jRbjT5_S1A_jjP12ihipStream_tbEUljE_EEESV_SW_SX_S14_S18_S1A_T6_T7_T9_mT8_S1C_bDpT10_ENKUlT_T0_E_clISt17integral_constantIbLb1EES1O_IbLb0EEEEDaS1K_S1L_EUlS1K_E_NS1_11comp_targetILNS1_3genE10ELNS1_11target_archE1200ELNS1_3gpuE4ELNS1_3repE0EEENS1_30default_config_static_selectorELNS0_4arch9wavefront6targetE0EEEvSY_,comdat
	.globl	_ZN7rocprim17ROCPRIM_400000_NS6detail17trampoline_kernelINS0_13select_configILj256ELj13ELNS0_17block_load_methodE3ELS4_3ELS4_3ELNS0_20block_scan_algorithmE0ELj4294967295EEENS1_25partition_config_selectorILNS1_17partition_subalgoE3EjNS0_10empty_typeEbEEZZNS1_14partition_implILS8_3ELb0ES6_jNS0_17counting_iteratorIjlEEPS9_SE_NS0_5tupleIJPjSE_EEENSF_IJSE_SE_EEES9_SG_JZNS1_25segmented_radix_sort_implINS0_14default_configELb1EPKhPhPKlPlN2at6native12_GLOBAL__N_18offset_tEEE10hipError_tPvRmT1_PNSt15iterator_traitsISY_E10value_typeET2_T3_PNSZ_IS14_E10value_typeET4_jRbjT5_S1A_jjP12ihipStream_tbEUljE_EEESV_SW_SX_S14_S18_S1A_T6_T7_T9_mT8_S1C_bDpT10_ENKUlT_T0_E_clISt17integral_constantIbLb1EES1O_IbLb0EEEEDaS1K_S1L_EUlS1K_E_NS1_11comp_targetILNS1_3genE10ELNS1_11target_archE1200ELNS1_3gpuE4ELNS1_3repE0EEENS1_30default_config_static_selectorELNS0_4arch9wavefront6targetE0EEEvSY_ ; -- Begin function _ZN7rocprim17ROCPRIM_400000_NS6detail17trampoline_kernelINS0_13select_configILj256ELj13ELNS0_17block_load_methodE3ELS4_3ELS4_3ELNS0_20block_scan_algorithmE0ELj4294967295EEENS1_25partition_config_selectorILNS1_17partition_subalgoE3EjNS0_10empty_typeEbEEZZNS1_14partition_implILS8_3ELb0ES6_jNS0_17counting_iteratorIjlEEPS9_SE_NS0_5tupleIJPjSE_EEENSF_IJSE_SE_EEES9_SG_JZNS1_25segmented_radix_sort_implINS0_14default_configELb1EPKhPhPKlPlN2at6native12_GLOBAL__N_18offset_tEEE10hipError_tPvRmT1_PNSt15iterator_traitsISY_E10value_typeET2_T3_PNSZ_IS14_E10value_typeET4_jRbjT5_S1A_jjP12ihipStream_tbEUljE_EEESV_SW_SX_S14_S18_S1A_T6_T7_T9_mT8_S1C_bDpT10_ENKUlT_T0_E_clISt17integral_constantIbLb1EES1O_IbLb0EEEEDaS1K_S1L_EUlS1K_E_NS1_11comp_targetILNS1_3genE10ELNS1_11target_archE1200ELNS1_3gpuE4ELNS1_3repE0EEENS1_30default_config_static_selectorELNS0_4arch9wavefront6targetE0EEEvSY_
	.p2align	8
	.type	_ZN7rocprim17ROCPRIM_400000_NS6detail17trampoline_kernelINS0_13select_configILj256ELj13ELNS0_17block_load_methodE3ELS4_3ELS4_3ELNS0_20block_scan_algorithmE0ELj4294967295EEENS1_25partition_config_selectorILNS1_17partition_subalgoE3EjNS0_10empty_typeEbEEZZNS1_14partition_implILS8_3ELb0ES6_jNS0_17counting_iteratorIjlEEPS9_SE_NS0_5tupleIJPjSE_EEENSF_IJSE_SE_EEES9_SG_JZNS1_25segmented_radix_sort_implINS0_14default_configELb1EPKhPhPKlPlN2at6native12_GLOBAL__N_18offset_tEEE10hipError_tPvRmT1_PNSt15iterator_traitsISY_E10value_typeET2_T3_PNSZ_IS14_E10value_typeET4_jRbjT5_S1A_jjP12ihipStream_tbEUljE_EEESV_SW_SX_S14_S18_S1A_T6_T7_T9_mT8_S1C_bDpT10_ENKUlT_T0_E_clISt17integral_constantIbLb1EES1O_IbLb0EEEEDaS1K_S1L_EUlS1K_E_NS1_11comp_targetILNS1_3genE10ELNS1_11target_archE1200ELNS1_3gpuE4ELNS1_3repE0EEENS1_30default_config_static_selectorELNS0_4arch9wavefront6targetE0EEEvSY_,@function
_ZN7rocprim17ROCPRIM_400000_NS6detail17trampoline_kernelINS0_13select_configILj256ELj13ELNS0_17block_load_methodE3ELS4_3ELS4_3ELNS0_20block_scan_algorithmE0ELj4294967295EEENS1_25partition_config_selectorILNS1_17partition_subalgoE3EjNS0_10empty_typeEbEEZZNS1_14partition_implILS8_3ELb0ES6_jNS0_17counting_iteratorIjlEEPS9_SE_NS0_5tupleIJPjSE_EEENSF_IJSE_SE_EEES9_SG_JZNS1_25segmented_radix_sort_implINS0_14default_configELb1EPKhPhPKlPlN2at6native12_GLOBAL__N_18offset_tEEE10hipError_tPvRmT1_PNSt15iterator_traitsISY_E10value_typeET2_T3_PNSZ_IS14_E10value_typeET4_jRbjT5_S1A_jjP12ihipStream_tbEUljE_EEESV_SW_SX_S14_S18_S1A_T6_T7_T9_mT8_S1C_bDpT10_ENKUlT_T0_E_clISt17integral_constantIbLb1EES1O_IbLb0EEEEDaS1K_S1L_EUlS1K_E_NS1_11comp_targetILNS1_3genE10ELNS1_11target_archE1200ELNS1_3gpuE4ELNS1_3repE0EEENS1_30default_config_static_selectorELNS0_4arch9wavefront6targetE0EEEvSY_: ; @_ZN7rocprim17ROCPRIM_400000_NS6detail17trampoline_kernelINS0_13select_configILj256ELj13ELNS0_17block_load_methodE3ELS4_3ELS4_3ELNS0_20block_scan_algorithmE0ELj4294967295EEENS1_25partition_config_selectorILNS1_17partition_subalgoE3EjNS0_10empty_typeEbEEZZNS1_14partition_implILS8_3ELb0ES6_jNS0_17counting_iteratorIjlEEPS9_SE_NS0_5tupleIJPjSE_EEENSF_IJSE_SE_EEES9_SG_JZNS1_25segmented_radix_sort_implINS0_14default_configELb1EPKhPhPKlPlN2at6native12_GLOBAL__N_18offset_tEEE10hipError_tPvRmT1_PNSt15iterator_traitsISY_E10value_typeET2_T3_PNSZ_IS14_E10value_typeET4_jRbjT5_S1A_jjP12ihipStream_tbEUljE_EEESV_SW_SX_S14_S18_S1A_T6_T7_T9_mT8_S1C_bDpT10_ENKUlT_T0_E_clISt17integral_constantIbLb1EES1O_IbLb0EEEEDaS1K_S1L_EUlS1K_E_NS1_11comp_targetILNS1_3genE10ELNS1_11target_archE1200ELNS1_3gpuE4ELNS1_3repE0EEENS1_30default_config_static_selectorELNS0_4arch9wavefront6targetE0EEEvSY_
; %bb.0:
	s_endpgm
	.section	.rodata,"a",@progbits
	.p2align	6, 0x0
	.amdhsa_kernel _ZN7rocprim17ROCPRIM_400000_NS6detail17trampoline_kernelINS0_13select_configILj256ELj13ELNS0_17block_load_methodE3ELS4_3ELS4_3ELNS0_20block_scan_algorithmE0ELj4294967295EEENS1_25partition_config_selectorILNS1_17partition_subalgoE3EjNS0_10empty_typeEbEEZZNS1_14partition_implILS8_3ELb0ES6_jNS0_17counting_iteratorIjlEEPS9_SE_NS0_5tupleIJPjSE_EEENSF_IJSE_SE_EEES9_SG_JZNS1_25segmented_radix_sort_implINS0_14default_configELb1EPKhPhPKlPlN2at6native12_GLOBAL__N_18offset_tEEE10hipError_tPvRmT1_PNSt15iterator_traitsISY_E10value_typeET2_T3_PNSZ_IS14_E10value_typeET4_jRbjT5_S1A_jjP12ihipStream_tbEUljE_EEESV_SW_SX_S14_S18_S1A_T6_T7_T9_mT8_S1C_bDpT10_ENKUlT_T0_E_clISt17integral_constantIbLb1EES1O_IbLb0EEEEDaS1K_S1L_EUlS1K_E_NS1_11comp_targetILNS1_3genE10ELNS1_11target_archE1200ELNS1_3gpuE4ELNS1_3repE0EEENS1_30default_config_static_selectorELNS0_4arch9wavefront6targetE0EEEvSY_
		.amdhsa_group_segment_fixed_size 0
		.amdhsa_private_segment_fixed_size 0
		.amdhsa_kernarg_size 144
		.amdhsa_user_sgpr_count 2
		.amdhsa_user_sgpr_dispatch_ptr 0
		.amdhsa_user_sgpr_queue_ptr 0
		.amdhsa_user_sgpr_kernarg_segment_ptr 1
		.amdhsa_user_sgpr_dispatch_id 0
		.amdhsa_user_sgpr_private_segment_size 0
		.amdhsa_wavefront_size32 1
		.amdhsa_uses_dynamic_stack 0
		.amdhsa_enable_private_segment 0
		.amdhsa_system_sgpr_workgroup_id_x 1
		.amdhsa_system_sgpr_workgroup_id_y 0
		.amdhsa_system_sgpr_workgroup_id_z 0
		.amdhsa_system_sgpr_workgroup_info 0
		.amdhsa_system_vgpr_workitem_id 0
		.amdhsa_next_free_vgpr 1
		.amdhsa_next_free_sgpr 1
		.amdhsa_reserve_vcc 0
		.amdhsa_float_round_mode_32 0
		.amdhsa_float_round_mode_16_64 0
		.amdhsa_float_denorm_mode_32 3
		.amdhsa_float_denorm_mode_16_64 3
		.amdhsa_fp16_overflow 0
		.amdhsa_workgroup_processor_mode 1
		.amdhsa_memory_ordered 1
		.amdhsa_forward_progress 1
		.amdhsa_inst_pref_size 1
		.amdhsa_round_robin_scheduling 0
		.amdhsa_exception_fp_ieee_invalid_op 0
		.amdhsa_exception_fp_denorm_src 0
		.amdhsa_exception_fp_ieee_div_zero 0
		.amdhsa_exception_fp_ieee_overflow 0
		.amdhsa_exception_fp_ieee_underflow 0
		.amdhsa_exception_fp_ieee_inexact 0
		.amdhsa_exception_int_div_zero 0
	.end_amdhsa_kernel
	.section	.text._ZN7rocprim17ROCPRIM_400000_NS6detail17trampoline_kernelINS0_13select_configILj256ELj13ELNS0_17block_load_methodE3ELS4_3ELS4_3ELNS0_20block_scan_algorithmE0ELj4294967295EEENS1_25partition_config_selectorILNS1_17partition_subalgoE3EjNS0_10empty_typeEbEEZZNS1_14partition_implILS8_3ELb0ES6_jNS0_17counting_iteratorIjlEEPS9_SE_NS0_5tupleIJPjSE_EEENSF_IJSE_SE_EEES9_SG_JZNS1_25segmented_radix_sort_implINS0_14default_configELb1EPKhPhPKlPlN2at6native12_GLOBAL__N_18offset_tEEE10hipError_tPvRmT1_PNSt15iterator_traitsISY_E10value_typeET2_T3_PNSZ_IS14_E10value_typeET4_jRbjT5_S1A_jjP12ihipStream_tbEUljE_EEESV_SW_SX_S14_S18_S1A_T6_T7_T9_mT8_S1C_bDpT10_ENKUlT_T0_E_clISt17integral_constantIbLb1EES1O_IbLb0EEEEDaS1K_S1L_EUlS1K_E_NS1_11comp_targetILNS1_3genE10ELNS1_11target_archE1200ELNS1_3gpuE4ELNS1_3repE0EEENS1_30default_config_static_selectorELNS0_4arch9wavefront6targetE0EEEvSY_,"axG",@progbits,_ZN7rocprim17ROCPRIM_400000_NS6detail17trampoline_kernelINS0_13select_configILj256ELj13ELNS0_17block_load_methodE3ELS4_3ELS4_3ELNS0_20block_scan_algorithmE0ELj4294967295EEENS1_25partition_config_selectorILNS1_17partition_subalgoE3EjNS0_10empty_typeEbEEZZNS1_14partition_implILS8_3ELb0ES6_jNS0_17counting_iteratorIjlEEPS9_SE_NS0_5tupleIJPjSE_EEENSF_IJSE_SE_EEES9_SG_JZNS1_25segmented_radix_sort_implINS0_14default_configELb1EPKhPhPKlPlN2at6native12_GLOBAL__N_18offset_tEEE10hipError_tPvRmT1_PNSt15iterator_traitsISY_E10value_typeET2_T3_PNSZ_IS14_E10value_typeET4_jRbjT5_S1A_jjP12ihipStream_tbEUljE_EEESV_SW_SX_S14_S18_S1A_T6_T7_T9_mT8_S1C_bDpT10_ENKUlT_T0_E_clISt17integral_constantIbLb1EES1O_IbLb0EEEEDaS1K_S1L_EUlS1K_E_NS1_11comp_targetILNS1_3genE10ELNS1_11target_archE1200ELNS1_3gpuE4ELNS1_3repE0EEENS1_30default_config_static_selectorELNS0_4arch9wavefront6targetE0EEEvSY_,comdat
.Lfunc_end71:
	.size	_ZN7rocprim17ROCPRIM_400000_NS6detail17trampoline_kernelINS0_13select_configILj256ELj13ELNS0_17block_load_methodE3ELS4_3ELS4_3ELNS0_20block_scan_algorithmE0ELj4294967295EEENS1_25partition_config_selectorILNS1_17partition_subalgoE3EjNS0_10empty_typeEbEEZZNS1_14partition_implILS8_3ELb0ES6_jNS0_17counting_iteratorIjlEEPS9_SE_NS0_5tupleIJPjSE_EEENSF_IJSE_SE_EEES9_SG_JZNS1_25segmented_radix_sort_implINS0_14default_configELb1EPKhPhPKlPlN2at6native12_GLOBAL__N_18offset_tEEE10hipError_tPvRmT1_PNSt15iterator_traitsISY_E10value_typeET2_T3_PNSZ_IS14_E10value_typeET4_jRbjT5_S1A_jjP12ihipStream_tbEUljE_EEESV_SW_SX_S14_S18_S1A_T6_T7_T9_mT8_S1C_bDpT10_ENKUlT_T0_E_clISt17integral_constantIbLb1EES1O_IbLb0EEEEDaS1K_S1L_EUlS1K_E_NS1_11comp_targetILNS1_3genE10ELNS1_11target_archE1200ELNS1_3gpuE4ELNS1_3repE0EEENS1_30default_config_static_selectorELNS0_4arch9wavefront6targetE0EEEvSY_, .Lfunc_end71-_ZN7rocprim17ROCPRIM_400000_NS6detail17trampoline_kernelINS0_13select_configILj256ELj13ELNS0_17block_load_methodE3ELS4_3ELS4_3ELNS0_20block_scan_algorithmE0ELj4294967295EEENS1_25partition_config_selectorILNS1_17partition_subalgoE3EjNS0_10empty_typeEbEEZZNS1_14partition_implILS8_3ELb0ES6_jNS0_17counting_iteratorIjlEEPS9_SE_NS0_5tupleIJPjSE_EEENSF_IJSE_SE_EEES9_SG_JZNS1_25segmented_radix_sort_implINS0_14default_configELb1EPKhPhPKlPlN2at6native12_GLOBAL__N_18offset_tEEE10hipError_tPvRmT1_PNSt15iterator_traitsISY_E10value_typeET2_T3_PNSZ_IS14_E10value_typeET4_jRbjT5_S1A_jjP12ihipStream_tbEUljE_EEESV_SW_SX_S14_S18_S1A_T6_T7_T9_mT8_S1C_bDpT10_ENKUlT_T0_E_clISt17integral_constantIbLb1EES1O_IbLb0EEEEDaS1K_S1L_EUlS1K_E_NS1_11comp_targetILNS1_3genE10ELNS1_11target_archE1200ELNS1_3gpuE4ELNS1_3repE0EEENS1_30default_config_static_selectorELNS0_4arch9wavefront6targetE0EEEvSY_
                                        ; -- End function
	.set _ZN7rocprim17ROCPRIM_400000_NS6detail17trampoline_kernelINS0_13select_configILj256ELj13ELNS0_17block_load_methodE3ELS4_3ELS4_3ELNS0_20block_scan_algorithmE0ELj4294967295EEENS1_25partition_config_selectorILNS1_17partition_subalgoE3EjNS0_10empty_typeEbEEZZNS1_14partition_implILS8_3ELb0ES6_jNS0_17counting_iteratorIjlEEPS9_SE_NS0_5tupleIJPjSE_EEENSF_IJSE_SE_EEES9_SG_JZNS1_25segmented_radix_sort_implINS0_14default_configELb1EPKhPhPKlPlN2at6native12_GLOBAL__N_18offset_tEEE10hipError_tPvRmT1_PNSt15iterator_traitsISY_E10value_typeET2_T3_PNSZ_IS14_E10value_typeET4_jRbjT5_S1A_jjP12ihipStream_tbEUljE_EEESV_SW_SX_S14_S18_S1A_T6_T7_T9_mT8_S1C_bDpT10_ENKUlT_T0_E_clISt17integral_constantIbLb1EES1O_IbLb0EEEEDaS1K_S1L_EUlS1K_E_NS1_11comp_targetILNS1_3genE10ELNS1_11target_archE1200ELNS1_3gpuE4ELNS1_3repE0EEENS1_30default_config_static_selectorELNS0_4arch9wavefront6targetE0EEEvSY_.num_vgpr, 0
	.set _ZN7rocprim17ROCPRIM_400000_NS6detail17trampoline_kernelINS0_13select_configILj256ELj13ELNS0_17block_load_methodE3ELS4_3ELS4_3ELNS0_20block_scan_algorithmE0ELj4294967295EEENS1_25partition_config_selectorILNS1_17partition_subalgoE3EjNS0_10empty_typeEbEEZZNS1_14partition_implILS8_3ELb0ES6_jNS0_17counting_iteratorIjlEEPS9_SE_NS0_5tupleIJPjSE_EEENSF_IJSE_SE_EEES9_SG_JZNS1_25segmented_radix_sort_implINS0_14default_configELb1EPKhPhPKlPlN2at6native12_GLOBAL__N_18offset_tEEE10hipError_tPvRmT1_PNSt15iterator_traitsISY_E10value_typeET2_T3_PNSZ_IS14_E10value_typeET4_jRbjT5_S1A_jjP12ihipStream_tbEUljE_EEESV_SW_SX_S14_S18_S1A_T6_T7_T9_mT8_S1C_bDpT10_ENKUlT_T0_E_clISt17integral_constantIbLb1EES1O_IbLb0EEEEDaS1K_S1L_EUlS1K_E_NS1_11comp_targetILNS1_3genE10ELNS1_11target_archE1200ELNS1_3gpuE4ELNS1_3repE0EEENS1_30default_config_static_selectorELNS0_4arch9wavefront6targetE0EEEvSY_.num_agpr, 0
	.set _ZN7rocprim17ROCPRIM_400000_NS6detail17trampoline_kernelINS0_13select_configILj256ELj13ELNS0_17block_load_methodE3ELS4_3ELS4_3ELNS0_20block_scan_algorithmE0ELj4294967295EEENS1_25partition_config_selectorILNS1_17partition_subalgoE3EjNS0_10empty_typeEbEEZZNS1_14partition_implILS8_3ELb0ES6_jNS0_17counting_iteratorIjlEEPS9_SE_NS0_5tupleIJPjSE_EEENSF_IJSE_SE_EEES9_SG_JZNS1_25segmented_radix_sort_implINS0_14default_configELb1EPKhPhPKlPlN2at6native12_GLOBAL__N_18offset_tEEE10hipError_tPvRmT1_PNSt15iterator_traitsISY_E10value_typeET2_T3_PNSZ_IS14_E10value_typeET4_jRbjT5_S1A_jjP12ihipStream_tbEUljE_EEESV_SW_SX_S14_S18_S1A_T6_T7_T9_mT8_S1C_bDpT10_ENKUlT_T0_E_clISt17integral_constantIbLb1EES1O_IbLb0EEEEDaS1K_S1L_EUlS1K_E_NS1_11comp_targetILNS1_3genE10ELNS1_11target_archE1200ELNS1_3gpuE4ELNS1_3repE0EEENS1_30default_config_static_selectorELNS0_4arch9wavefront6targetE0EEEvSY_.numbered_sgpr, 0
	.set _ZN7rocprim17ROCPRIM_400000_NS6detail17trampoline_kernelINS0_13select_configILj256ELj13ELNS0_17block_load_methodE3ELS4_3ELS4_3ELNS0_20block_scan_algorithmE0ELj4294967295EEENS1_25partition_config_selectorILNS1_17partition_subalgoE3EjNS0_10empty_typeEbEEZZNS1_14partition_implILS8_3ELb0ES6_jNS0_17counting_iteratorIjlEEPS9_SE_NS0_5tupleIJPjSE_EEENSF_IJSE_SE_EEES9_SG_JZNS1_25segmented_radix_sort_implINS0_14default_configELb1EPKhPhPKlPlN2at6native12_GLOBAL__N_18offset_tEEE10hipError_tPvRmT1_PNSt15iterator_traitsISY_E10value_typeET2_T3_PNSZ_IS14_E10value_typeET4_jRbjT5_S1A_jjP12ihipStream_tbEUljE_EEESV_SW_SX_S14_S18_S1A_T6_T7_T9_mT8_S1C_bDpT10_ENKUlT_T0_E_clISt17integral_constantIbLb1EES1O_IbLb0EEEEDaS1K_S1L_EUlS1K_E_NS1_11comp_targetILNS1_3genE10ELNS1_11target_archE1200ELNS1_3gpuE4ELNS1_3repE0EEENS1_30default_config_static_selectorELNS0_4arch9wavefront6targetE0EEEvSY_.num_named_barrier, 0
	.set _ZN7rocprim17ROCPRIM_400000_NS6detail17trampoline_kernelINS0_13select_configILj256ELj13ELNS0_17block_load_methodE3ELS4_3ELS4_3ELNS0_20block_scan_algorithmE0ELj4294967295EEENS1_25partition_config_selectorILNS1_17partition_subalgoE3EjNS0_10empty_typeEbEEZZNS1_14partition_implILS8_3ELb0ES6_jNS0_17counting_iteratorIjlEEPS9_SE_NS0_5tupleIJPjSE_EEENSF_IJSE_SE_EEES9_SG_JZNS1_25segmented_radix_sort_implINS0_14default_configELb1EPKhPhPKlPlN2at6native12_GLOBAL__N_18offset_tEEE10hipError_tPvRmT1_PNSt15iterator_traitsISY_E10value_typeET2_T3_PNSZ_IS14_E10value_typeET4_jRbjT5_S1A_jjP12ihipStream_tbEUljE_EEESV_SW_SX_S14_S18_S1A_T6_T7_T9_mT8_S1C_bDpT10_ENKUlT_T0_E_clISt17integral_constantIbLb1EES1O_IbLb0EEEEDaS1K_S1L_EUlS1K_E_NS1_11comp_targetILNS1_3genE10ELNS1_11target_archE1200ELNS1_3gpuE4ELNS1_3repE0EEENS1_30default_config_static_selectorELNS0_4arch9wavefront6targetE0EEEvSY_.private_seg_size, 0
	.set _ZN7rocprim17ROCPRIM_400000_NS6detail17trampoline_kernelINS0_13select_configILj256ELj13ELNS0_17block_load_methodE3ELS4_3ELS4_3ELNS0_20block_scan_algorithmE0ELj4294967295EEENS1_25partition_config_selectorILNS1_17partition_subalgoE3EjNS0_10empty_typeEbEEZZNS1_14partition_implILS8_3ELb0ES6_jNS0_17counting_iteratorIjlEEPS9_SE_NS0_5tupleIJPjSE_EEENSF_IJSE_SE_EEES9_SG_JZNS1_25segmented_radix_sort_implINS0_14default_configELb1EPKhPhPKlPlN2at6native12_GLOBAL__N_18offset_tEEE10hipError_tPvRmT1_PNSt15iterator_traitsISY_E10value_typeET2_T3_PNSZ_IS14_E10value_typeET4_jRbjT5_S1A_jjP12ihipStream_tbEUljE_EEESV_SW_SX_S14_S18_S1A_T6_T7_T9_mT8_S1C_bDpT10_ENKUlT_T0_E_clISt17integral_constantIbLb1EES1O_IbLb0EEEEDaS1K_S1L_EUlS1K_E_NS1_11comp_targetILNS1_3genE10ELNS1_11target_archE1200ELNS1_3gpuE4ELNS1_3repE0EEENS1_30default_config_static_selectorELNS0_4arch9wavefront6targetE0EEEvSY_.uses_vcc, 0
	.set _ZN7rocprim17ROCPRIM_400000_NS6detail17trampoline_kernelINS0_13select_configILj256ELj13ELNS0_17block_load_methodE3ELS4_3ELS4_3ELNS0_20block_scan_algorithmE0ELj4294967295EEENS1_25partition_config_selectorILNS1_17partition_subalgoE3EjNS0_10empty_typeEbEEZZNS1_14partition_implILS8_3ELb0ES6_jNS0_17counting_iteratorIjlEEPS9_SE_NS0_5tupleIJPjSE_EEENSF_IJSE_SE_EEES9_SG_JZNS1_25segmented_radix_sort_implINS0_14default_configELb1EPKhPhPKlPlN2at6native12_GLOBAL__N_18offset_tEEE10hipError_tPvRmT1_PNSt15iterator_traitsISY_E10value_typeET2_T3_PNSZ_IS14_E10value_typeET4_jRbjT5_S1A_jjP12ihipStream_tbEUljE_EEESV_SW_SX_S14_S18_S1A_T6_T7_T9_mT8_S1C_bDpT10_ENKUlT_T0_E_clISt17integral_constantIbLb1EES1O_IbLb0EEEEDaS1K_S1L_EUlS1K_E_NS1_11comp_targetILNS1_3genE10ELNS1_11target_archE1200ELNS1_3gpuE4ELNS1_3repE0EEENS1_30default_config_static_selectorELNS0_4arch9wavefront6targetE0EEEvSY_.uses_flat_scratch, 0
	.set _ZN7rocprim17ROCPRIM_400000_NS6detail17trampoline_kernelINS0_13select_configILj256ELj13ELNS0_17block_load_methodE3ELS4_3ELS4_3ELNS0_20block_scan_algorithmE0ELj4294967295EEENS1_25partition_config_selectorILNS1_17partition_subalgoE3EjNS0_10empty_typeEbEEZZNS1_14partition_implILS8_3ELb0ES6_jNS0_17counting_iteratorIjlEEPS9_SE_NS0_5tupleIJPjSE_EEENSF_IJSE_SE_EEES9_SG_JZNS1_25segmented_radix_sort_implINS0_14default_configELb1EPKhPhPKlPlN2at6native12_GLOBAL__N_18offset_tEEE10hipError_tPvRmT1_PNSt15iterator_traitsISY_E10value_typeET2_T3_PNSZ_IS14_E10value_typeET4_jRbjT5_S1A_jjP12ihipStream_tbEUljE_EEESV_SW_SX_S14_S18_S1A_T6_T7_T9_mT8_S1C_bDpT10_ENKUlT_T0_E_clISt17integral_constantIbLb1EES1O_IbLb0EEEEDaS1K_S1L_EUlS1K_E_NS1_11comp_targetILNS1_3genE10ELNS1_11target_archE1200ELNS1_3gpuE4ELNS1_3repE0EEENS1_30default_config_static_selectorELNS0_4arch9wavefront6targetE0EEEvSY_.has_dyn_sized_stack, 0
	.set _ZN7rocprim17ROCPRIM_400000_NS6detail17trampoline_kernelINS0_13select_configILj256ELj13ELNS0_17block_load_methodE3ELS4_3ELS4_3ELNS0_20block_scan_algorithmE0ELj4294967295EEENS1_25partition_config_selectorILNS1_17partition_subalgoE3EjNS0_10empty_typeEbEEZZNS1_14partition_implILS8_3ELb0ES6_jNS0_17counting_iteratorIjlEEPS9_SE_NS0_5tupleIJPjSE_EEENSF_IJSE_SE_EEES9_SG_JZNS1_25segmented_radix_sort_implINS0_14default_configELb1EPKhPhPKlPlN2at6native12_GLOBAL__N_18offset_tEEE10hipError_tPvRmT1_PNSt15iterator_traitsISY_E10value_typeET2_T3_PNSZ_IS14_E10value_typeET4_jRbjT5_S1A_jjP12ihipStream_tbEUljE_EEESV_SW_SX_S14_S18_S1A_T6_T7_T9_mT8_S1C_bDpT10_ENKUlT_T0_E_clISt17integral_constantIbLb1EES1O_IbLb0EEEEDaS1K_S1L_EUlS1K_E_NS1_11comp_targetILNS1_3genE10ELNS1_11target_archE1200ELNS1_3gpuE4ELNS1_3repE0EEENS1_30default_config_static_selectorELNS0_4arch9wavefront6targetE0EEEvSY_.has_recursion, 0
	.set _ZN7rocprim17ROCPRIM_400000_NS6detail17trampoline_kernelINS0_13select_configILj256ELj13ELNS0_17block_load_methodE3ELS4_3ELS4_3ELNS0_20block_scan_algorithmE0ELj4294967295EEENS1_25partition_config_selectorILNS1_17partition_subalgoE3EjNS0_10empty_typeEbEEZZNS1_14partition_implILS8_3ELb0ES6_jNS0_17counting_iteratorIjlEEPS9_SE_NS0_5tupleIJPjSE_EEENSF_IJSE_SE_EEES9_SG_JZNS1_25segmented_radix_sort_implINS0_14default_configELb1EPKhPhPKlPlN2at6native12_GLOBAL__N_18offset_tEEE10hipError_tPvRmT1_PNSt15iterator_traitsISY_E10value_typeET2_T3_PNSZ_IS14_E10value_typeET4_jRbjT5_S1A_jjP12ihipStream_tbEUljE_EEESV_SW_SX_S14_S18_S1A_T6_T7_T9_mT8_S1C_bDpT10_ENKUlT_T0_E_clISt17integral_constantIbLb1EES1O_IbLb0EEEEDaS1K_S1L_EUlS1K_E_NS1_11comp_targetILNS1_3genE10ELNS1_11target_archE1200ELNS1_3gpuE4ELNS1_3repE0EEENS1_30default_config_static_selectorELNS0_4arch9wavefront6targetE0EEEvSY_.has_indirect_call, 0
	.section	.AMDGPU.csdata,"",@progbits
; Kernel info:
; codeLenInByte = 4
; TotalNumSgprs: 0
; NumVgprs: 0
; ScratchSize: 0
; MemoryBound: 0
; FloatMode: 240
; IeeeMode: 1
; LDSByteSize: 0 bytes/workgroup (compile time only)
; SGPRBlocks: 0
; VGPRBlocks: 0
; NumSGPRsForWavesPerEU: 1
; NumVGPRsForWavesPerEU: 1
; Occupancy: 16
; WaveLimiterHint : 0
; COMPUTE_PGM_RSRC2:SCRATCH_EN: 0
; COMPUTE_PGM_RSRC2:USER_SGPR: 2
; COMPUTE_PGM_RSRC2:TRAP_HANDLER: 0
; COMPUTE_PGM_RSRC2:TGID_X_EN: 1
; COMPUTE_PGM_RSRC2:TGID_Y_EN: 0
; COMPUTE_PGM_RSRC2:TGID_Z_EN: 0
; COMPUTE_PGM_RSRC2:TIDIG_COMP_CNT: 0
	.section	.text._ZN7rocprim17ROCPRIM_400000_NS6detail17trampoline_kernelINS0_13select_configILj256ELj13ELNS0_17block_load_methodE3ELS4_3ELS4_3ELNS0_20block_scan_algorithmE0ELj4294967295EEENS1_25partition_config_selectorILNS1_17partition_subalgoE3EjNS0_10empty_typeEbEEZZNS1_14partition_implILS8_3ELb0ES6_jNS0_17counting_iteratorIjlEEPS9_SE_NS0_5tupleIJPjSE_EEENSF_IJSE_SE_EEES9_SG_JZNS1_25segmented_radix_sort_implINS0_14default_configELb1EPKhPhPKlPlN2at6native12_GLOBAL__N_18offset_tEEE10hipError_tPvRmT1_PNSt15iterator_traitsISY_E10value_typeET2_T3_PNSZ_IS14_E10value_typeET4_jRbjT5_S1A_jjP12ihipStream_tbEUljE_EEESV_SW_SX_S14_S18_S1A_T6_T7_T9_mT8_S1C_bDpT10_ENKUlT_T0_E_clISt17integral_constantIbLb1EES1O_IbLb0EEEEDaS1K_S1L_EUlS1K_E_NS1_11comp_targetILNS1_3genE9ELNS1_11target_archE1100ELNS1_3gpuE3ELNS1_3repE0EEENS1_30default_config_static_selectorELNS0_4arch9wavefront6targetE0EEEvSY_,"axG",@progbits,_ZN7rocprim17ROCPRIM_400000_NS6detail17trampoline_kernelINS0_13select_configILj256ELj13ELNS0_17block_load_methodE3ELS4_3ELS4_3ELNS0_20block_scan_algorithmE0ELj4294967295EEENS1_25partition_config_selectorILNS1_17partition_subalgoE3EjNS0_10empty_typeEbEEZZNS1_14partition_implILS8_3ELb0ES6_jNS0_17counting_iteratorIjlEEPS9_SE_NS0_5tupleIJPjSE_EEENSF_IJSE_SE_EEES9_SG_JZNS1_25segmented_radix_sort_implINS0_14default_configELb1EPKhPhPKlPlN2at6native12_GLOBAL__N_18offset_tEEE10hipError_tPvRmT1_PNSt15iterator_traitsISY_E10value_typeET2_T3_PNSZ_IS14_E10value_typeET4_jRbjT5_S1A_jjP12ihipStream_tbEUljE_EEESV_SW_SX_S14_S18_S1A_T6_T7_T9_mT8_S1C_bDpT10_ENKUlT_T0_E_clISt17integral_constantIbLb1EES1O_IbLb0EEEEDaS1K_S1L_EUlS1K_E_NS1_11comp_targetILNS1_3genE9ELNS1_11target_archE1100ELNS1_3gpuE3ELNS1_3repE0EEENS1_30default_config_static_selectorELNS0_4arch9wavefront6targetE0EEEvSY_,comdat
	.globl	_ZN7rocprim17ROCPRIM_400000_NS6detail17trampoline_kernelINS0_13select_configILj256ELj13ELNS0_17block_load_methodE3ELS4_3ELS4_3ELNS0_20block_scan_algorithmE0ELj4294967295EEENS1_25partition_config_selectorILNS1_17partition_subalgoE3EjNS0_10empty_typeEbEEZZNS1_14partition_implILS8_3ELb0ES6_jNS0_17counting_iteratorIjlEEPS9_SE_NS0_5tupleIJPjSE_EEENSF_IJSE_SE_EEES9_SG_JZNS1_25segmented_radix_sort_implINS0_14default_configELb1EPKhPhPKlPlN2at6native12_GLOBAL__N_18offset_tEEE10hipError_tPvRmT1_PNSt15iterator_traitsISY_E10value_typeET2_T3_PNSZ_IS14_E10value_typeET4_jRbjT5_S1A_jjP12ihipStream_tbEUljE_EEESV_SW_SX_S14_S18_S1A_T6_T7_T9_mT8_S1C_bDpT10_ENKUlT_T0_E_clISt17integral_constantIbLb1EES1O_IbLb0EEEEDaS1K_S1L_EUlS1K_E_NS1_11comp_targetILNS1_3genE9ELNS1_11target_archE1100ELNS1_3gpuE3ELNS1_3repE0EEENS1_30default_config_static_selectorELNS0_4arch9wavefront6targetE0EEEvSY_ ; -- Begin function _ZN7rocprim17ROCPRIM_400000_NS6detail17trampoline_kernelINS0_13select_configILj256ELj13ELNS0_17block_load_methodE3ELS4_3ELS4_3ELNS0_20block_scan_algorithmE0ELj4294967295EEENS1_25partition_config_selectorILNS1_17partition_subalgoE3EjNS0_10empty_typeEbEEZZNS1_14partition_implILS8_3ELb0ES6_jNS0_17counting_iteratorIjlEEPS9_SE_NS0_5tupleIJPjSE_EEENSF_IJSE_SE_EEES9_SG_JZNS1_25segmented_radix_sort_implINS0_14default_configELb1EPKhPhPKlPlN2at6native12_GLOBAL__N_18offset_tEEE10hipError_tPvRmT1_PNSt15iterator_traitsISY_E10value_typeET2_T3_PNSZ_IS14_E10value_typeET4_jRbjT5_S1A_jjP12ihipStream_tbEUljE_EEESV_SW_SX_S14_S18_S1A_T6_T7_T9_mT8_S1C_bDpT10_ENKUlT_T0_E_clISt17integral_constantIbLb1EES1O_IbLb0EEEEDaS1K_S1L_EUlS1K_E_NS1_11comp_targetILNS1_3genE9ELNS1_11target_archE1100ELNS1_3gpuE3ELNS1_3repE0EEENS1_30default_config_static_selectorELNS0_4arch9wavefront6targetE0EEEvSY_
	.p2align	8
	.type	_ZN7rocprim17ROCPRIM_400000_NS6detail17trampoline_kernelINS0_13select_configILj256ELj13ELNS0_17block_load_methodE3ELS4_3ELS4_3ELNS0_20block_scan_algorithmE0ELj4294967295EEENS1_25partition_config_selectorILNS1_17partition_subalgoE3EjNS0_10empty_typeEbEEZZNS1_14partition_implILS8_3ELb0ES6_jNS0_17counting_iteratorIjlEEPS9_SE_NS0_5tupleIJPjSE_EEENSF_IJSE_SE_EEES9_SG_JZNS1_25segmented_radix_sort_implINS0_14default_configELb1EPKhPhPKlPlN2at6native12_GLOBAL__N_18offset_tEEE10hipError_tPvRmT1_PNSt15iterator_traitsISY_E10value_typeET2_T3_PNSZ_IS14_E10value_typeET4_jRbjT5_S1A_jjP12ihipStream_tbEUljE_EEESV_SW_SX_S14_S18_S1A_T6_T7_T9_mT8_S1C_bDpT10_ENKUlT_T0_E_clISt17integral_constantIbLb1EES1O_IbLb0EEEEDaS1K_S1L_EUlS1K_E_NS1_11comp_targetILNS1_3genE9ELNS1_11target_archE1100ELNS1_3gpuE3ELNS1_3repE0EEENS1_30default_config_static_selectorELNS0_4arch9wavefront6targetE0EEEvSY_,@function
_ZN7rocprim17ROCPRIM_400000_NS6detail17trampoline_kernelINS0_13select_configILj256ELj13ELNS0_17block_load_methodE3ELS4_3ELS4_3ELNS0_20block_scan_algorithmE0ELj4294967295EEENS1_25partition_config_selectorILNS1_17partition_subalgoE3EjNS0_10empty_typeEbEEZZNS1_14partition_implILS8_3ELb0ES6_jNS0_17counting_iteratorIjlEEPS9_SE_NS0_5tupleIJPjSE_EEENSF_IJSE_SE_EEES9_SG_JZNS1_25segmented_radix_sort_implINS0_14default_configELb1EPKhPhPKlPlN2at6native12_GLOBAL__N_18offset_tEEE10hipError_tPvRmT1_PNSt15iterator_traitsISY_E10value_typeET2_T3_PNSZ_IS14_E10value_typeET4_jRbjT5_S1A_jjP12ihipStream_tbEUljE_EEESV_SW_SX_S14_S18_S1A_T6_T7_T9_mT8_S1C_bDpT10_ENKUlT_T0_E_clISt17integral_constantIbLb1EES1O_IbLb0EEEEDaS1K_S1L_EUlS1K_E_NS1_11comp_targetILNS1_3genE9ELNS1_11target_archE1100ELNS1_3gpuE3ELNS1_3repE0EEENS1_30default_config_static_selectorELNS0_4arch9wavefront6targetE0EEEvSY_: ; @_ZN7rocprim17ROCPRIM_400000_NS6detail17trampoline_kernelINS0_13select_configILj256ELj13ELNS0_17block_load_methodE3ELS4_3ELS4_3ELNS0_20block_scan_algorithmE0ELj4294967295EEENS1_25partition_config_selectorILNS1_17partition_subalgoE3EjNS0_10empty_typeEbEEZZNS1_14partition_implILS8_3ELb0ES6_jNS0_17counting_iteratorIjlEEPS9_SE_NS0_5tupleIJPjSE_EEENSF_IJSE_SE_EEES9_SG_JZNS1_25segmented_radix_sort_implINS0_14default_configELb1EPKhPhPKlPlN2at6native12_GLOBAL__N_18offset_tEEE10hipError_tPvRmT1_PNSt15iterator_traitsISY_E10value_typeET2_T3_PNSZ_IS14_E10value_typeET4_jRbjT5_S1A_jjP12ihipStream_tbEUljE_EEESV_SW_SX_S14_S18_S1A_T6_T7_T9_mT8_S1C_bDpT10_ENKUlT_T0_E_clISt17integral_constantIbLb1EES1O_IbLb0EEEEDaS1K_S1L_EUlS1K_E_NS1_11comp_targetILNS1_3genE9ELNS1_11target_archE1100ELNS1_3gpuE3ELNS1_3repE0EEENS1_30default_config_static_selectorELNS0_4arch9wavefront6targetE0EEEvSY_
; %bb.0:
	.section	.rodata,"a",@progbits
	.p2align	6, 0x0
	.amdhsa_kernel _ZN7rocprim17ROCPRIM_400000_NS6detail17trampoline_kernelINS0_13select_configILj256ELj13ELNS0_17block_load_methodE3ELS4_3ELS4_3ELNS0_20block_scan_algorithmE0ELj4294967295EEENS1_25partition_config_selectorILNS1_17partition_subalgoE3EjNS0_10empty_typeEbEEZZNS1_14partition_implILS8_3ELb0ES6_jNS0_17counting_iteratorIjlEEPS9_SE_NS0_5tupleIJPjSE_EEENSF_IJSE_SE_EEES9_SG_JZNS1_25segmented_radix_sort_implINS0_14default_configELb1EPKhPhPKlPlN2at6native12_GLOBAL__N_18offset_tEEE10hipError_tPvRmT1_PNSt15iterator_traitsISY_E10value_typeET2_T3_PNSZ_IS14_E10value_typeET4_jRbjT5_S1A_jjP12ihipStream_tbEUljE_EEESV_SW_SX_S14_S18_S1A_T6_T7_T9_mT8_S1C_bDpT10_ENKUlT_T0_E_clISt17integral_constantIbLb1EES1O_IbLb0EEEEDaS1K_S1L_EUlS1K_E_NS1_11comp_targetILNS1_3genE9ELNS1_11target_archE1100ELNS1_3gpuE3ELNS1_3repE0EEENS1_30default_config_static_selectorELNS0_4arch9wavefront6targetE0EEEvSY_
		.amdhsa_group_segment_fixed_size 0
		.amdhsa_private_segment_fixed_size 0
		.amdhsa_kernarg_size 144
		.amdhsa_user_sgpr_count 2
		.amdhsa_user_sgpr_dispatch_ptr 0
		.amdhsa_user_sgpr_queue_ptr 0
		.amdhsa_user_sgpr_kernarg_segment_ptr 1
		.amdhsa_user_sgpr_dispatch_id 0
		.amdhsa_user_sgpr_private_segment_size 0
		.amdhsa_wavefront_size32 1
		.amdhsa_uses_dynamic_stack 0
		.amdhsa_enable_private_segment 0
		.amdhsa_system_sgpr_workgroup_id_x 1
		.amdhsa_system_sgpr_workgroup_id_y 0
		.amdhsa_system_sgpr_workgroup_id_z 0
		.amdhsa_system_sgpr_workgroup_info 0
		.amdhsa_system_vgpr_workitem_id 0
		.amdhsa_next_free_vgpr 1
		.amdhsa_next_free_sgpr 1
		.amdhsa_reserve_vcc 0
		.amdhsa_float_round_mode_32 0
		.amdhsa_float_round_mode_16_64 0
		.amdhsa_float_denorm_mode_32 3
		.amdhsa_float_denorm_mode_16_64 3
		.amdhsa_fp16_overflow 0
		.amdhsa_workgroup_processor_mode 1
		.amdhsa_memory_ordered 1
		.amdhsa_forward_progress 1
		.amdhsa_inst_pref_size 0
		.amdhsa_round_robin_scheduling 0
		.amdhsa_exception_fp_ieee_invalid_op 0
		.amdhsa_exception_fp_denorm_src 0
		.amdhsa_exception_fp_ieee_div_zero 0
		.amdhsa_exception_fp_ieee_overflow 0
		.amdhsa_exception_fp_ieee_underflow 0
		.amdhsa_exception_fp_ieee_inexact 0
		.amdhsa_exception_int_div_zero 0
	.end_amdhsa_kernel
	.section	.text._ZN7rocprim17ROCPRIM_400000_NS6detail17trampoline_kernelINS0_13select_configILj256ELj13ELNS0_17block_load_methodE3ELS4_3ELS4_3ELNS0_20block_scan_algorithmE0ELj4294967295EEENS1_25partition_config_selectorILNS1_17partition_subalgoE3EjNS0_10empty_typeEbEEZZNS1_14partition_implILS8_3ELb0ES6_jNS0_17counting_iteratorIjlEEPS9_SE_NS0_5tupleIJPjSE_EEENSF_IJSE_SE_EEES9_SG_JZNS1_25segmented_radix_sort_implINS0_14default_configELb1EPKhPhPKlPlN2at6native12_GLOBAL__N_18offset_tEEE10hipError_tPvRmT1_PNSt15iterator_traitsISY_E10value_typeET2_T3_PNSZ_IS14_E10value_typeET4_jRbjT5_S1A_jjP12ihipStream_tbEUljE_EEESV_SW_SX_S14_S18_S1A_T6_T7_T9_mT8_S1C_bDpT10_ENKUlT_T0_E_clISt17integral_constantIbLb1EES1O_IbLb0EEEEDaS1K_S1L_EUlS1K_E_NS1_11comp_targetILNS1_3genE9ELNS1_11target_archE1100ELNS1_3gpuE3ELNS1_3repE0EEENS1_30default_config_static_selectorELNS0_4arch9wavefront6targetE0EEEvSY_,"axG",@progbits,_ZN7rocprim17ROCPRIM_400000_NS6detail17trampoline_kernelINS0_13select_configILj256ELj13ELNS0_17block_load_methodE3ELS4_3ELS4_3ELNS0_20block_scan_algorithmE0ELj4294967295EEENS1_25partition_config_selectorILNS1_17partition_subalgoE3EjNS0_10empty_typeEbEEZZNS1_14partition_implILS8_3ELb0ES6_jNS0_17counting_iteratorIjlEEPS9_SE_NS0_5tupleIJPjSE_EEENSF_IJSE_SE_EEES9_SG_JZNS1_25segmented_radix_sort_implINS0_14default_configELb1EPKhPhPKlPlN2at6native12_GLOBAL__N_18offset_tEEE10hipError_tPvRmT1_PNSt15iterator_traitsISY_E10value_typeET2_T3_PNSZ_IS14_E10value_typeET4_jRbjT5_S1A_jjP12ihipStream_tbEUljE_EEESV_SW_SX_S14_S18_S1A_T6_T7_T9_mT8_S1C_bDpT10_ENKUlT_T0_E_clISt17integral_constantIbLb1EES1O_IbLb0EEEEDaS1K_S1L_EUlS1K_E_NS1_11comp_targetILNS1_3genE9ELNS1_11target_archE1100ELNS1_3gpuE3ELNS1_3repE0EEENS1_30default_config_static_selectorELNS0_4arch9wavefront6targetE0EEEvSY_,comdat
.Lfunc_end72:
	.size	_ZN7rocprim17ROCPRIM_400000_NS6detail17trampoline_kernelINS0_13select_configILj256ELj13ELNS0_17block_load_methodE3ELS4_3ELS4_3ELNS0_20block_scan_algorithmE0ELj4294967295EEENS1_25partition_config_selectorILNS1_17partition_subalgoE3EjNS0_10empty_typeEbEEZZNS1_14partition_implILS8_3ELb0ES6_jNS0_17counting_iteratorIjlEEPS9_SE_NS0_5tupleIJPjSE_EEENSF_IJSE_SE_EEES9_SG_JZNS1_25segmented_radix_sort_implINS0_14default_configELb1EPKhPhPKlPlN2at6native12_GLOBAL__N_18offset_tEEE10hipError_tPvRmT1_PNSt15iterator_traitsISY_E10value_typeET2_T3_PNSZ_IS14_E10value_typeET4_jRbjT5_S1A_jjP12ihipStream_tbEUljE_EEESV_SW_SX_S14_S18_S1A_T6_T7_T9_mT8_S1C_bDpT10_ENKUlT_T0_E_clISt17integral_constantIbLb1EES1O_IbLb0EEEEDaS1K_S1L_EUlS1K_E_NS1_11comp_targetILNS1_3genE9ELNS1_11target_archE1100ELNS1_3gpuE3ELNS1_3repE0EEENS1_30default_config_static_selectorELNS0_4arch9wavefront6targetE0EEEvSY_, .Lfunc_end72-_ZN7rocprim17ROCPRIM_400000_NS6detail17trampoline_kernelINS0_13select_configILj256ELj13ELNS0_17block_load_methodE3ELS4_3ELS4_3ELNS0_20block_scan_algorithmE0ELj4294967295EEENS1_25partition_config_selectorILNS1_17partition_subalgoE3EjNS0_10empty_typeEbEEZZNS1_14partition_implILS8_3ELb0ES6_jNS0_17counting_iteratorIjlEEPS9_SE_NS0_5tupleIJPjSE_EEENSF_IJSE_SE_EEES9_SG_JZNS1_25segmented_radix_sort_implINS0_14default_configELb1EPKhPhPKlPlN2at6native12_GLOBAL__N_18offset_tEEE10hipError_tPvRmT1_PNSt15iterator_traitsISY_E10value_typeET2_T3_PNSZ_IS14_E10value_typeET4_jRbjT5_S1A_jjP12ihipStream_tbEUljE_EEESV_SW_SX_S14_S18_S1A_T6_T7_T9_mT8_S1C_bDpT10_ENKUlT_T0_E_clISt17integral_constantIbLb1EES1O_IbLb0EEEEDaS1K_S1L_EUlS1K_E_NS1_11comp_targetILNS1_3genE9ELNS1_11target_archE1100ELNS1_3gpuE3ELNS1_3repE0EEENS1_30default_config_static_selectorELNS0_4arch9wavefront6targetE0EEEvSY_
                                        ; -- End function
	.set _ZN7rocprim17ROCPRIM_400000_NS6detail17trampoline_kernelINS0_13select_configILj256ELj13ELNS0_17block_load_methodE3ELS4_3ELS4_3ELNS0_20block_scan_algorithmE0ELj4294967295EEENS1_25partition_config_selectorILNS1_17partition_subalgoE3EjNS0_10empty_typeEbEEZZNS1_14partition_implILS8_3ELb0ES6_jNS0_17counting_iteratorIjlEEPS9_SE_NS0_5tupleIJPjSE_EEENSF_IJSE_SE_EEES9_SG_JZNS1_25segmented_radix_sort_implINS0_14default_configELb1EPKhPhPKlPlN2at6native12_GLOBAL__N_18offset_tEEE10hipError_tPvRmT1_PNSt15iterator_traitsISY_E10value_typeET2_T3_PNSZ_IS14_E10value_typeET4_jRbjT5_S1A_jjP12ihipStream_tbEUljE_EEESV_SW_SX_S14_S18_S1A_T6_T7_T9_mT8_S1C_bDpT10_ENKUlT_T0_E_clISt17integral_constantIbLb1EES1O_IbLb0EEEEDaS1K_S1L_EUlS1K_E_NS1_11comp_targetILNS1_3genE9ELNS1_11target_archE1100ELNS1_3gpuE3ELNS1_3repE0EEENS1_30default_config_static_selectorELNS0_4arch9wavefront6targetE0EEEvSY_.num_vgpr, 0
	.set _ZN7rocprim17ROCPRIM_400000_NS6detail17trampoline_kernelINS0_13select_configILj256ELj13ELNS0_17block_load_methodE3ELS4_3ELS4_3ELNS0_20block_scan_algorithmE0ELj4294967295EEENS1_25partition_config_selectorILNS1_17partition_subalgoE3EjNS0_10empty_typeEbEEZZNS1_14partition_implILS8_3ELb0ES6_jNS0_17counting_iteratorIjlEEPS9_SE_NS0_5tupleIJPjSE_EEENSF_IJSE_SE_EEES9_SG_JZNS1_25segmented_radix_sort_implINS0_14default_configELb1EPKhPhPKlPlN2at6native12_GLOBAL__N_18offset_tEEE10hipError_tPvRmT1_PNSt15iterator_traitsISY_E10value_typeET2_T3_PNSZ_IS14_E10value_typeET4_jRbjT5_S1A_jjP12ihipStream_tbEUljE_EEESV_SW_SX_S14_S18_S1A_T6_T7_T9_mT8_S1C_bDpT10_ENKUlT_T0_E_clISt17integral_constantIbLb1EES1O_IbLb0EEEEDaS1K_S1L_EUlS1K_E_NS1_11comp_targetILNS1_3genE9ELNS1_11target_archE1100ELNS1_3gpuE3ELNS1_3repE0EEENS1_30default_config_static_selectorELNS0_4arch9wavefront6targetE0EEEvSY_.num_agpr, 0
	.set _ZN7rocprim17ROCPRIM_400000_NS6detail17trampoline_kernelINS0_13select_configILj256ELj13ELNS0_17block_load_methodE3ELS4_3ELS4_3ELNS0_20block_scan_algorithmE0ELj4294967295EEENS1_25partition_config_selectorILNS1_17partition_subalgoE3EjNS0_10empty_typeEbEEZZNS1_14partition_implILS8_3ELb0ES6_jNS0_17counting_iteratorIjlEEPS9_SE_NS0_5tupleIJPjSE_EEENSF_IJSE_SE_EEES9_SG_JZNS1_25segmented_radix_sort_implINS0_14default_configELb1EPKhPhPKlPlN2at6native12_GLOBAL__N_18offset_tEEE10hipError_tPvRmT1_PNSt15iterator_traitsISY_E10value_typeET2_T3_PNSZ_IS14_E10value_typeET4_jRbjT5_S1A_jjP12ihipStream_tbEUljE_EEESV_SW_SX_S14_S18_S1A_T6_T7_T9_mT8_S1C_bDpT10_ENKUlT_T0_E_clISt17integral_constantIbLb1EES1O_IbLb0EEEEDaS1K_S1L_EUlS1K_E_NS1_11comp_targetILNS1_3genE9ELNS1_11target_archE1100ELNS1_3gpuE3ELNS1_3repE0EEENS1_30default_config_static_selectorELNS0_4arch9wavefront6targetE0EEEvSY_.numbered_sgpr, 0
	.set _ZN7rocprim17ROCPRIM_400000_NS6detail17trampoline_kernelINS0_13select_configILj256ELj13ELNS0_17block_load_methodE3ELS4_3ELS4_3ELNS0_20block_scan_algorithmE0ELj4294967295EEENS1_25partition_config_selectorILNS1_17partition_subalgoE3EjNS0_10empty_typeEbEEZZNS1_14partition_implILS8_3ELb0ES6_jNS0_17counting_iteratorIjlEEPS9_SE_NS0_5tupleIJPjSE_EEENSF_IJSE_SE_EEES9_SG_JZNS1_25segmented_radix_sort_implINS0_14default_configELb1EPKhPhPKlPlN2at6native12_GLOBAL__N_18offset_tEEE10hipError_tPvRmT1_PNSt15iterator_traitsISY_E10value_typeET2_T3_PNSZ_IS14_E10value_typeET4_jRbjT5_S1A_jjP12ihipStream_tbEUljE_EEESV_SW_SX_S14_S18_S1A_T6_T7_T9_mT8_S1C_bDpT10_ENKUlT_T0_E_clISt17integral_constantIbLb1EES1O_IbLb0EEEEDaS1K_S1L_EUlS1K_E_NS1_11comp_targetILNS1_3genE9ELNS1_11target_archE1100ELNS1_3gpuE3ELNS1_3repE0EEENS1_30default_config_static_selectorELNS0_4arch9wavefront6targetE0EEEvSY_.num_named_barrier, 0
	.set _ZN7rocprim17ROCPRIM_400000_NS6detail17trampoline_kernelINS0_13select_configILj256ELj13ELNS0_17block_load_methodE3ELS4_3ELS4_3ELNS0_20block_scan_algorithmE0ELj4294967295EEENS1_25partition_config_selectorILNS1_17partition_subalgoE3EjNS0_10empty_typeEbEEZZNS1_14partition_implILS8_3ELb0ES6_jNS0_17counting_iteratorIjlEEPS9_SE_NS0_5tupleIJPjSE_EEENSF_IJSE_SE_EEES9_SG_JZNS1_25segmented_radix_sort_implINS0_14default_configELb1EPKhPhPKlPlN2at6native12_GLOBAL__N_18offset_tEEE10hipError_tPvRmT1_PNSt15iterator_traitsISY_E10value_typeET2_T3_PNSZ_IS14_E10value_typeET4_jRbjT5_S1A_jjP12ihipStream_tbEUljE_EEESV_SW_SX_S14_S18_S1A_T6_T7_T9_mT8_S1C_bDpT10_ENKUlT_T0_E_clISt17integral_constantIbLb1EES1O_IbLb0EEEEDaS1K_S1L_EUlS1K_E_NS1_11comp_targetILNS1_3genE9ELNS1_11target_archE1100ELNS1_3gpuE3ELNS1_3repE0EEENS1_30default_config_static_selectorELNS0_4arch9wavefront6targetE0EEEvSY_.private_seg_size, 0
	.set _ZN7rocprim17ROCPRIM_400000_NS6detail17trampoline_kernelINS0_13select_configILj256ELj13ELNS0_17block_load_methodE3ELS4_3ELS4_3ELNS0_20block_scan_algorithmE0ELj4294967295EEENS1_25partition_config_selectorILNS1_17partition_subalgoE3EjNS0_10empty_typeEbEEZZNS1_14partition_implILS8_3ELb0ES6_jNS0_17counting_iteratorIjlEEPS9_SE_NS0_5tupleIJPjSE_EEENSF_IJSE_SE_EEES9_SG_JZNS1_25segmented_radix_sort_implINS0_14default_configELb1EPKhPhPKlPlN2at6native12_GLOBAL__N_18offset_tEEE10hipError_tPvRmT1_PNSt15iterator_traitsISY_E10value_typeET2_T3_PNSZ_IS14_E10value_typeET4_jRbjT5_S1A_jjP12ihipStream_tbEUljE_EEESV_SW_SX_S14_S18_S1A_T6_T7_T9_mT8_S1C_bDpT10_ENKUlT_T0_E_clISt17integral_constantIbLb1EES1O_IbLb0EEEEDaS1K_S1L_EUlS1K_E_NS1_11comp_targetILNS1_3genE9ELNS1_11target_archE1100ELNS1_3gpuE3ELNS1_3repE0EEENS1_30default_config_static_selectorELNS0_4arch9wavefront6targetE0EEEvSY_.uses_vcc, 0
	.set _ZN7rocprim17ROCPRIM_400000_NS6detail17trampoline_kernelINS0_13select_configILj256ELj13ELNS0_17block_load_methodE3ELS4_3ELS4_3ELNS0_20block_scan_algorithmE0ELj4294967295EEENS1_25partition_config_selectorILNS1_17partition_subalgoE3EjNS0_10empty_typeEbEEZZNS1_14partition_implILS8_3ELb0ES6_jNS0_17counting_iteratorIjlEEPS9_SE_NS0_5tupleIJPjSE_EEENSF_IJSE_SE_EEES9_SG_JZNS1_25segmented_radix_sort_implINS0_14default_configELb1EPKhPhPKlPlN2at6native12_GLOBAL__N_18offset_tEEE10hipError_tPvRmT1_PNSt15iterator_traitsISY_E10value_typeET2_T3_PNSZ_IS14_E10value_typeET4_jRbjT5_S1A_jjP12ihipStream_tbEUljE_EEESV_SW_SX_S14_S18_S1A_T6_T7_T9_mT8_S1C_bDpT10_ENKUlT_T0_E_clISt17integral_constantIbLb1EES1O_IbLb0EEEEDaS1K_S1L_EUlS1K_E_NS1_11comp_targetILNS1_3genE9ELNS1_11target_archE1100ELNS1_3gpuE3ELNS1_3repE0EEENS1_30default_config_static_selectorELNS0_4arch9wavefront6targetE0EEEvSY_.uses_flat_scratch, 0
	.set _ZN7rocprim17ROCPRIM_400000_NS6detail17trampoline_kernelINS0_13select_configILj256ELj13ELNS0_17block_load_methodE3ELS4_3ELS4_3ELNS0_20block_scan_algorithmE0ELj4294967295EEENS1_25partition_config_selectorILNS1_17partition_subalgoE3EjNS0_10empty_typeEbEEZZNS1_14partition_implILS8_3ELb0ES6_jNS0_17counting_iteratorIjlEEPS9_SE_NS0_5tupleIJPjSE_EEENSF_IJSE_SE_EEES9_SG_JZNS1_25segmented_radix_sort_implINS0_14default_configELb1EPKhPhPKlPlN2at6native12_GLOBAL__N_18offset_tEEE10hipError_tPvRmT1_PNSt15iterator_traitsISY_E10value_typeET2_T3_PNSZ_IS14_E10value_typeET4_jRbjT5_S1A_jjP12ihipStream_tbEUljE_EEESV_SW_SX_S14_S18_S1A_T6_T7_T9_mT8_S1C_bDpT10_ENKUlT_T0_E_clISt17integral_constantIbLb1EES1O_IbLb0EEEEDaS1K_S1L_EUlS1K_E_NS1_11comp_targetILNS1_3genE9ELNS1_11target_archE1100ELNS1_3gpuE3ELNS1_3repE0EEENS1_30default_config_static_selectorELNS0_4arch9wavefront6targetE0EEEvSY_.has_dyn_sized_stack, 0
	.set _ZN7rocprim17ROCPRIM_400000_NS6detail17trampoline_kernelINS0_13select_configILj256ELj13ELNS0_17block_load_methodE3ELS4_3ELS4_3ELNS0_20block_scan_algorithmE0ELj4294967295EEENS1_25partition_config_selectorILNS1_17partition_subalgoE3EjNS0_10empty_typeEbEEZZNS1_14partition_implILS8_3ELb0ES6_jNS0_17counting_iteratorIjlEEPS9_SE_NS0_5tupleIJPjSE_EEENSF_IJSE_SE_EEES9_SG_JZNS1_25segmented_radix_sort_implINS0_14default_configELb1EPKhPhPKlPlN2at6native12_GLOBAL__N_18offset_tEEE10hipError_tPvRmT1_PNSt15iterator_traitsISY_E10value_typeET2_T3_PNSZ_IS14_E10value_typeET4_jRbjT5_S1A_jjP12ihipStream_tbEUljE_EEESV_SW_SX_S14_S18_S1A_T6_T7_T9_mT8_S1C_bDpT10_ENKUlT_T0_E_clISt17integral_constantIbLb1EES1O_IbLb0EEEEDaS1K_S1L_EUlS1K_E_NS1_11comp_targetILNS1_3genE9ELNS1_11target_archE1100ELNS1_3gpuE3ELNS1_3repE0EEENS1_30default_config_static_selectorELNS0_4arch9wavefront6targetE0EEEvSY_.has_recursion, 0
	.set _ZN7rocprim17ROCPRIM_400000_NS6detail17trampoline_kernelINS0_13select_configILj256ELj13ELNS0_17block_load_methodE3ELS4_3ELS4_3ELNS0_20block_scan_algorithmE0ELj4294967295EEENS1_25partition_config_selectorILNS1_17partition_subalgoE3EjNS0_10empty_typeEbEEZZNS1_14partition_implILS8_3ELb0ES6_jNS0_17counting_iteratorIjlEEPS9_SE_NS0_5tupleIJPjSE_EEENSF_IJSE_SE_EEES9_SG_JZNS1_25segmented_radix_sort_implINS0_14default_configELb1EPKhPhPKlPlN2at6native12_GLOBAL__N_18offset_tEEE10hipError_tPvRmT1_PNSt15iterator_traitsISY_E10value_typeET2_T3_PNSZ_IS14_E10value_typeET4_jRbjT5_S1A_jjP12ihipStream_tbEUljE_EEESV_SW_SX_S14_S18_S1A_T6_T7_T9_mT8_S1C_bDpT10_ENKUlT_T0_E_clISt17integral_constantIbLb1EES1O_IbLb0EEEEDaS1K_S1L_EUlS1K_E_NS1_11comp_targetILNS1_3genE9ELNS1_11target_archE1100ELNS1_3gpuE3ELNS1_3repE0EEENS1_30default_config_static_selectorELNS0_4arch9wavefront6targetE0EEEvSY_.has_indirect_call, 0
	.section	.AMDGPU.csdata,"",@progbits
; Kernel info:
; codeLenInByte = 0
; TotalNumSgprs: 0
; NumVgprs: 0
; ScratchSize: 0
; MemoryBound: 0
; FloatMode: 240
; IeeeMode: 1
; LDSByteSize: 0 bytes/workgroup (compile time only)
; SGPRBlocks: 0
; VGPRBlocks: 0
; NumSGPRsForWavesPerEU: 1
; NumVGPRsForWavesPerEU: 1
; Occupancy: 16
; WaveLimiterHint : 0
; COMPUTE_PGM_RSRC2:SCRATCH_EN: 0
; COMPUTE_PGM_RSRC2:USER_SGPR: 2
; COMPUTE_PGM_RSRC2:TRAP_HANDLER: 0
; COMPUTE_PGM_RSRC2:TGID_X_EN: 1
; COMPUTE_PGM_RSRC2:TGID_Y_EN: 0
; COMPUTE_PGM_RSRC2:TGID_Z_EN: 0
; COMPUTE_PGM_RSRC2:TIDIG_COMP_CNT: 0
	.section	.text._ZN7rocprim17ROCPRIM_400000_NS6detail17trampoline_kernelINS0_13select_configILj256ELj13ELNS0_17block_load_methodE3ELS4_3ELS4_3ELNS0_20block_scan_algorithmE0ELj4294967295EEENS1_25partition_config_selectorILNS1_17partition_subalgoE3EjNS0_10empty_typeEbEEZZNS1_14partition_implILS8_3ELb0ES6_jNS0_17counting_iteratorIjlEEPS9_SE_NS0_5tupleIJPjSE_EEENSF_IJSE_SE_EEES9_SG_JZNS1_25segmented_radix_sort_implINS0_14default_configELb1EPKhPhPKlPlN2at6native12_GLOBAL__N_18offset_tEEE10hipError_tPvRmT1_PNSt15iterator_traitsISY_E10value_typeET2_T3_PNSZ_IS14_E10value_typeET4_jRbjT5_S1A_jjP12ihipStream_tbEUljE_EEESV_SW_SX_S14_S18_S1A_T6_T7_T9_mT8_S1C_bDpT10_ENKUlT_T0_E_clISt17integral_constantIbLb1EES1O_IbLb0EEEEDaS1K_S1L_EUlS1K_E_NS1_11comp_targetILNS1_3genE8ELNS1_11target_archE1030ELNS1_3gpuE2ELNS1_3repE0EEENS1_30default_config_static_selectorELNS0_4arch9wavefront6targetE0EEEvSY_,"axG",@progbits,_ZN7rocprim17ROCPRIM_400000_NS6detail17trampoline_kernelINS0_13select_configILj256ELj13ELNS0_17block_load_methodE3ELS4_3ELS4_3ELNS0_20block_scan_algorithmE0ELj4294967295EEENS1_25partition_config_selectorILNS1_17partition_subalgoE3EjNS0_10empty_typeEbEEZZNS1_14partition_implILS8_3ELb0ES6_jNS0_17counting_iteratorIjlEEPS9_SE_NS0_5tupleIJPjSE_EEENSF_IJSE_SE_EEES9_SG_JZNS1_25segmented_radix_sort_implINS0_14default_configELb1EPKhPhPKlPlN2at6native12_GLOBAL__N_18offset_tEEE10hipError_tPvRmT1_PNSt15iterator_traitsISY_E10value_typeET2_T3_PNSZ_IS14_E10value_typeET4_jRbjT5_S1A_jjP12ihipStream_tbEUljE_EEESV_SW_SX_S14_S18_S1A_T6_T7_T9_mT8_S1C_bDpT10_ENKUlT_T0_E_clISt17integral_constantIbLb1EES1O_IbLb0EEEEDaS1K_S1L_EUlS1K_E_NS1_11comp_targetILNS1_3genE8ELNS1_11target_archE1030ELNS1_3gpuE2ELNS1_3repE0EEENS1_30default_config_static_selectorELNS0_4arch9wavefront6targetE0EEEvSY_,comdat
	.globl	_ZN7rocprim17ROCPRIM_400000_NS6detail17trampoline_kernelINS0_13select_configILj256ELj13ELNS0_17block_load_methodE3ELS4_3ELS4_3ELNS0_20block_scan_algorithmE0ELj4294967295EEENS1_25partition_config_selectorILNS1_17partition_subalgoE3EjNS0_10empty_typeEbEEZZNS1_14partition_implILS8_3ELb0ES6_jNS0_17counting_iteratorIjlEEPS9_SE_NS0_5tupleIJPjSE_EEENSF_IJSE_SE_EEES9_SG_JZNS1_25segmented_radix_sort_implINS0_14default_configELb1EPKhPhPKlPlN2at6native12_GLOBAL__N_18offset_tEEE10hipError_tPvRmT1_PNSt15iterator_traitsISY_E10value_typeET2_T3_PNSZ_IS14_E10value_typeET4_jRbjT5_S1A_jjP12ihipStream_tbEUljE_EEESV_SW_SX_S14_S18_S1A_T6_T7_T9_mT8_S1C_bDpT10_ENKUlT_T0_E_clISt17integral_constantIbLb1EES1O_IbLb0EEEEDaS1K_S1L_EUlS1K_E_NS1_11comp_targetILNS1_3genE8ELNS1_11target_archE1030ELNS1_3gpuE2ELNS1_3repE0EEENS1_30default_config_static_selectorELNS0_4arch9wavefront6targetE0EEEvSY_ ; -- Begin function _ZN7rocprim17ROCPRIM_400000_NS6detail17trampoline_kernelINS0_13select_configILj256ELj13ELNS0_17block_load_methodE3ELS4_3ELS4_3ELNS0_20block_scan_algorithmE0ELj4294967295EEENS1_25partition_config_selectorILNS1_17partition_subalgoE3EjNS0_10empty_typeEbEEZZNS1_14partition_implILS8_3ELb0ES6_jNS0_17counting_iteratorIjlEEPS9_SE_NS0_5tupleIJPjSE_EEENSF_IJSE_SE_EEES9_SG_JZNS1_25segmented_radix_sort_implINS0_14default_configELb1EPKhPhPKlPlN2at6native12_GLOBAL__N_18offset_tEEE10hipError_tPvRmT1_PNSt15iterator_traitsISY_E10value_typeET2_T3_PNSZ_IS14_E10value_typeET4_jRbjT5_S1A_jjP12ihipStream_tbEUljE_EEESV_SW_SX_S14_S18_S1A_T6_T7_T9_mT8_S1C_bDpT10_ENKUlT_T0_E_clISt17integral_constantIbLb1EES1O_IbLb0EEEEDaS1K_S1L_EUlS1K_E_NS1_11comp_targetILNS1_3genE8ELNS1_11target_archE1030ELNS1_3gpuE2ELNS1_3repE0EEENS1_30default_config_static_selectorELNS0_4arch9wavefront6targetE0EEEvSY_
	.p2align	8
	.type	_ZN7rocprim17ROCPRIM_400000_NS6detail17trampoline_kernelINS0_13select_configILj256ELj13ELNS0_17block_load_methodE3ELS4_3ELS4_3ELNS0_20block_scan_algorithmE0ELj4294967295EEENS1_25partition_config_selectorILNS1_17partition_subalgoE3EjNS0_10empty_typeEbEEZZNS1_14partition_implILS8_3ELb0ES6_jNS0_17counting_iteratorIjlEEPS9_SE_NS0_5tupleIJPjSE_EEENSF_IJSE_SE_EEES9_SG_JZNS1_25segmented_radix_sort_implINS0_14default_configELb1EPKhPhPKlPlN2at6native12_GLOBAL__N_18offset_tEEE10hipError_tPvRmT1_PNSt15iterator_traitsISY_E10value_typeET2_T3_PNSZ_IS14_E10value_typeET4_jRbjT5_S1A_jjP12ihipStream_tbEUljE_EEESV_SW_SX_S14_S18_S1A_T6_T7_T9_mT8_S1C_bDpT10_ENKUlT_T0_E_clISt17integral_constantIbLb1EES1O_IbLb0EEEEDaS1K_S1L_EUlS1K_E_NS1_11comp_targetILNS1_3genE8ELNS1_11target_archE1030ELNS1_3gpuE2ELNS1_3repE0EEENS1_30default_config_static_selectorELNS0_4arch9wavefront6targetE0EEEvSY_,@function
_ZN7rocprim17ROCPRIM_400000_NS6detail17trampoline_kernelINS0_13select_configILj256ELj13ELNS0_17block_load_methodE3ELS4_3ELS4_3ELNS0_20block_scan_algorithmE0ELj4294967295EEENS1_25partition_config_selectorILNS1_17partition_subalgoE3EjNS0_10empty_typeEbEEZZNS1_14partition_implILS8_3ELb0ES6_jNS0_17counting_iteratorIjlEEPS9_SE_NS0_5tupleIJPjSE_EEENSF_IJSE_SE_EEES9_SG_JZNS1_25segmented_radix_sort_implINS0_14default_configELb1EPKhPhPKlPlN2at6native12_GLOBAL__N_18offset_tEEE10hipError_tPvRmT1_PNSt15iterator_traitsISY_E10value_typeET2_T3_PNSZ_IS14_E10value_typeET4_jRbjT5_S1A_jjP12ihipStream_tbEUljE_EEESV_SW_SX_S14_S18_S1A_T6_T7_T9_mT8_S1C_bDpT10_ENKUlT_T0_E_clISt17integral_constantIbLb1EES1O_IbLb0EEEEDaS1K_S1L_EUlS1K_E_NS1_11comp_targetILNS1_3genE8ELNS1_11target_archE1030ELNS1_3gpuE2ELNS1_3repE0EEENS1_30default_config_static_selectorELNS0_4arch9wavefront6targetE0EEEvSY_: ; @_ZN7rocprim17ROCPRIM_400000_NS6detail17trampoline_kernelINS0_13select_configILj256ELj13ELNS0_17block_load_methodE3ELS4_3ELS4_3ELNS0_20block_scan_algorithmE0ELj4294967295EEENS1_25partition_config_selectorILNS1_17partition_subalgoE3EjNS0_10empty_typeEbEEZZNS1_14partition_implILS8_3ELb0ES6_jNS0_17counting_iteratorIjlEEPS9_SE_NS0_5tupleIJPjSE_EEENSF_IJSE_SE_EEES9_SG_JZNS1_25segmented_radix_sort_implINS0_14default_configELb1EPKhPhPKlPlN2at6native12_GLOBAL__N_18offset_tEEE10hipError_tPvRmT1_PNSt15iterator_traitsISY_E10value_typeET2_T3_PNSZ_IS14_E10value_typeET4_jRbjT5_S1A_jjP12ihipStream_tbEUljE_EEESV_SW_SX_S14_S18_S1A_T6_T7_T9_mT8_S1C_bDpT10_ENKUlT_T0_E_clISt17integral_constantIbLb1EES1O_IbLb0EEEEDaS1K_S1L_EUlS1K_E_NS1_11comp_targetILNS1_3genE8ELNS1_11target_archE1030ELNS1_3gpuE2ELNS1_3repE0EEENS1_30default_config_static_selectorELNS0_4arch9wavefront6targetE0EEEvSY_
; %bb.0:
	.section	.rodata,"a",@progbits
	.p2align	6, 0x0
	.amdhsa_kernel _ZN7rocprim17ROCPRIM_400000_NS6detail17trampoline_kernelINS0_13select_configILj256ELj13ELNS0_17block_load_methodE3ELS4_3ELS4_3ELNS0_20block_scan_algorithmE0ELj4294967295EEENS1_25partition_config_selectorILNS1_17partition_subalgoE3EjNS0_10empty_typeEbEEZZNS1_14partition_implILS8_3ELb0ES6_jNS0_17counting_iteratorIjlEEPS9_SE_NS0_5tupleIJPjSE_EEENSF_IJSE_SE_EEES9_SG_JZNS1_25segmented_radix_sort_implINS0_14default_configELb1EPKhPhPKlPlN2at6native12_GLOBAL__N_18offset_tEEE10hipError_tPvRmT1_PNSt15iterator_traitsISY_E10value_typeET2_T3_PNSZ_IS14_E10value_typeET4_jRbjT5_S1A_jjP12ihipStream_tbEUljE_EEESV_SW_SX_S14_S18_S1A_T6_T7_T9_mT8_S1C_bDpT10_ENKUlT_T0_E_clISt17integral_constantIbLb1EES1O_IbLb0EEEEDaS1K_S1L_EUlS1K_E_NS1_11comp_targetILNS1_3genE8ELNS1_11target_archE1030ELNS1_3gpuE2ELNS1_3repE0EEENS1_30default_config_static_selectorELNS0_4arch9wavefront6targetE0EEEvSY_
		.amdhsa_group_segment_fixed_size 0
		.amdhsa_private_segment_fixed_size 0
		.amdhsa_kernarg_size 144
		.amdhsa_user_sgpr_count 2
		.amdhsa_user_sgpr_dispatch_ptr 0
		.amdhsa_user_sgpr_queue_ptr 0
		.amdhsa_user_sgpr_kernarg_segment_ptr 1
		.amdhsa_user_sgpr_dispatch_id 0
		.amdhsa_user_sgpr_private_segment_size 0
		.amdhsa_wavefront_size32 1
		.amdhsa_uses_dynamic_stack 0
		.amdhsa_enable_private_segment 0
		.amdhsa_system_sgpr_workgroup_id_x 1
		.amdhsa_system_sgpr_workgroup_id_y 0
		.amdhsa_system_sgpr_workgroup_id_z 0
		.amdhsa_system_sgpr_workgroup_info 0
		.amdhsa_system_vgpr_workitem_id 0
		.amdhsa_next_free_vgpr 1
		.amdhsa_next_free_sgpr 1
		.amdhsa_reserve_vcc 0
		.amdhsa_float_round_mode_32 0
		.amdhsa_float_round_mode_16_64 0
		.amdhsa_float_denorm_mode_32 3
		.amdhsa_float_denorm_mode_16_64 3
		.amdhsa_fp16_overflow 0
		.amdhsa_workgroup_processor_mode 1
		.amdhsa_memory_ordered 1
		.amdhsa_forward_progress 1
		.amdhsa_inst_pref_size 0
		.amdhsa_round_robin_scheduling 0
		.amdhsa_exception_fp_ieee_invalid_op 0
		.amdhsa_exception_fp_denorm_src 0
		.amdhsa_exception_fp_ieee_div_zero 0
		.amdhsa_exception_fp_ieee_overflow 0
		.amdhsa_exception_fp_ieee_underflow 0
		.amdhsa_exception_fp_ieee_inexact 0
		.amdhsa_exception_int_div_zero 0
	.end_amdhsa_kernel
	.section	.text._ZN7rocprim17ROCPRIM_400000_NS6detail17trampoline_kernelINS0_13select_configILj256ELj13ELNS0_17block_load_methodE3ELS4_3ELS4_3ELNS0_20block_scan_algorithmE0ELj4294967295EEENS1_25partition_config_selectorILNS1_17partition_subalgoE3EjNS0_10empty_typeEbEEZZNS1_14partition_implILS8_3ELb0ES6_jNS0_17counting_iteratorIjlEEPS9_SE_NS0_5tupleIJPjSE_EEENSF_IJSE_SE_EEES9_SG_JZNS1_25segmented_radix_sort_implINS0_14default_configELb1EPKhPhPKlPlN2at6native12_GLOBAL__N_18offset_tEEE10hipError_tPvRmT1_PNSt15iterator_traitsISY_E10value_typeET2_T3_PNSZ_IS14_E10value_typeET4_jRbjT5_S1A_jjP12ihipStream_tbEUljE_EEESV_SW_SX_S14_S18_S1A_T6_T7_T9_mT8_S1C_bDpT10_ENKUlT_T0_E_clISt17integral_constantIbLb1EES1O_IbLb0EEEEDaS1K_S1L_EUlS1K_E_NS1_11comp_targetILNS1_3genE8ELNS1_11target_archE1030ELNS1_3gpuE2ELNS1_3repE0EEENS1_30default_config_static_selectorELNS0_4arch9wavefront6targetE0EEEvSY_,"axG",@progbits,_ZN7rocprim17ROCPRIM_400000_NS6detail17trampoline_kernelINS0_13select_configILj256ELj13ELNS0_17block_load_methodE3ELS4_3ELS4_3ELNS0_20block_scan_algorithmE0ELj4294967295EEENS1_25partition_config_selectorILNS1_17partition_subalgoE3EjNS0_10empty_typeEbEEZZNS1_14partition_implILS8_3ELb0ES6_jNS0_17counting_iteratorIjlEEPS9_SE_NS0_5tupleIJPjSE_EEENSF_IJSE_SE_EEES9_SG_JZNS1_25segmented_radix_sort_implINS0_14default_configELb1EPKhPhPKlPlN2at6native12_GLOBAL__N_18offset_tEEE10hipError_tPvRmT1_PNSt15iterator_traitsISY_E10value_typeET2_T3_PNSZ_IS14_E10value_typeET4_jRbjT5_S1A_jjP12ihipStream_tbEUljE_EEESV_SW_SX_S14_S18_S1A_T6_T7_T9_mT8_S1C_bDpT10_ENKUlT_T0_E_clISt17integral_constantIbLb1EES1O_IbLb0EEEEDaS1K_S1L_EUlS1K_E_NS1_11comp_targetILNS1_3genE8ELNS1_11target_archE1030ELNS1_3gpuE2ELNS1_3repE0EEENS1_30default_config_static_selectorELNS0_4arch9wavefront6targetE0EEEvSY_,comdat
.Lfunc_end73:
	.size	_ZN7rocprim17ROCPRIM_400000_NS6detail17trampoline_kernelINS0_13select_configILj256ELj13ELNS0_17block_load_methodE3ELS4_3ELS4_3ELNS0_20block_scan_algorithmE0ELj4294967295EEENS1_25partition_config_selectorILNS1_17partition_subalgoE3EjNS0_10empty_typeEbEEZZNS1_14partition_implILS8_3ELb0ES6_jNS0_17counting_iteratorIjlEEPS9_SE_NS0_5tupleIJPjSE_EEENSF_IJSE_SE_EEES9_SG_JZNS1_25segmented_radix_sort_implINS0_14default_configELb1EPKhPhPKlPlN2at6native12_GLOBAL__N_18offset_tEEE10hipError_tPvRmT1_PNSt15iterator_traitsISY_E10value_typeET2_T3_PNSZ_IS14_E10value_typeET4_jRbjT5_S1A_jjP12ihipStream_tbEUljE_EEESV_SW_SX_S14_S18_S1A_T6_T7_T9_mT8_S1C_bDpT10_ENKUlT_T0_E_clISt17integral_constantIbLb1EES1O_IbLb0EEEEDaS1K_S1L_EUlS1K_E_NS1_11comp_targetILNS1_3genE8ELNS1_11target_archE1030ELNS1_3gpuE2ELNS1_3repE0EEENS1_30default_config_static_selectorELNS0_4arch9wavefront6targetE0EEEvSY_, .Lfunc_end73-_ZN7rocprim17ROCPRIM_400000_NS6detail17trampoline_kernelINS0_13select_configILj256ELj13ELNS0_17block_load_methodE3ELS4_3ELS4_3ELNS0_20block_scan_algorithmE0ELj4294967295EEENS1_25partition_config_selectorILNS1_17partition_subalgoE3EjNS0_10empty_typeEbEEZZNS1_14partition_implILS8_3ELb0ES6_jNS0_17counting_iteratorIjlEEPS9_SE_NS0_5tupleIJPjSE_EEENSF_IJSE_SE_EEES9_SG_JZNS1_25segmented_radix_sort_implINS0_14default_configELb1EPKhPhPKlPlN2at6native12_GLOBAL__N_18offset_tEEE10hipError_tPvRmT1_PNSt15iterator_traitsISY_E10value_typeET2_T3_PNSZ_IS14_E10value_typeET4_jRbjT5_S1A_jjP12ihipStream_tbEUljE_EEESV_SW_SX_S14_S18_S1A_T6_T7_T9_mT8_S1C_bDpT10_ENKUlT_T0_E_clISt17integral_constantIbLb1EES1O_IbLb0EEEEDaS1K_S1L_EUlS1K_E_NS1_11comp_targetILNS1_3genE8ELNS1_11target_archE1030ELNS1_3gpuE2ELNS1_3repE0EEENS1_30default_config_static_selectorELNS0_4arch9wavefront6targetE0EEEvSY_
                                        ; -- End function
	.set _ZN7rocprim17ROCPRIM_400000_NS6detail17trampoline_kernelINS0_13select_configILj256ELj13ELNS0_17block_load_methodE3ELS4_3ELS4_3ELNS0_20block_scan_algorithmE0ELj4294967295EEENS1_25partition_config_selectorILNS1_17partition_subalgoE3EjNS0_10empty_typeEbEEZZNS1_14partition_implILS8_3ELb0ES6_jNS0_17counting_iteratorIjlEEPS9_SE_NS0_5tupleIJPjSE_EEENSF_IJSE_SE_EEES9_SG_JZNS1_25segmented_radix_sort_implINS0_14default_configELb1EPKhPhPKlPlN2at6native12_GLOBAL__N_18offset_tEEE10hipError_tPvRmT1_PNSt15iterator_traitsISY_E10value_typeET2_T3_PNSZ_IS14_E10value_typeET4_jRbjT5_S1A_jjP12ihipStream_tbEUljE_EEESV_SW_SX_S14_S18_S1A_T6_T7_T9_mT8_S1C_bDpT10_ENKUlT_T0_E_clISt17integral_constantIbLb1EES1O_IbLb0EEEEDaS1K_S1L_EUlS1K_E_NS1_11comp_targetILNS1_3genE8ELNS1_11target_archE1030ELNS1_3gpuE2ELNS1_3repE0EEENS1_30default_config_static_selectorELNS0_4arch9wavefront6targetE0EEEvSY_.num_vgpr, 0
	.set _ZN7rocprim17ROCPRIM_400000_NS6detail17trampoline_kernelINS0_13select_configILj256ELj13ELNS0_17block_load_methodE3ELS4_3ELS4_3ELNS0_20block_scan_algorithmE0ELj4294967295EEENS1_25partition_config_selectorILNS1_17partition_subalgoE3EjNS0_10empty_typeEbEEZZNS1_14partition_implILS8_3ELb0ES6_jNS0_17counting_iteratorIjlEEPS9_SE_NS0_5tupleIJPjSE_EEENSF_IJSE_SE_EEES9_SG_JZNS1_25segmented_radix_sort_implINS0_14default_configELb1EPKhPhPKlPlN2at6native12_GLOBAL__N_18offset_tEEE10hipError_tPvRmT1_PNSt15iterator_traitsISY_E10value_typeET2_T3_PNSZ_IS14_E10value_typeET4_jRbjT5_S1A_jjP12ihipStream_tbEUljE_EEESV_SW_SX_S14_S18_S1A_T6_T7_T9_mT8_S1C_bDpT10_ENKUlT_T0_E_clISt17integral_constantIbLb1EES1O_IbLb0EEEEDaS1K_S1L_EUlS1K_E_NS1_11comp_targetILNS1_3genE8ELNS1_11target_archE1030ELNS1_3gpuE2ELNS1_3repE0EEENS1_30default_config_static_selectorELNS0_4arch9wavefront6targetE0EEEvSY_.num_agpr, 0
	.set _ZN7rocprim17ROCPRIM_400000_NS6detail17trampoline_kernelINS0_13select_configILj256ELj13ELNS0_17block_load_methodE3ELS4_3ELS4_3ELNS0_20block_scan_algorithmE0ELj4294967295EEENS1_25partition_config_selectorILNS1_17partition_subalgoE3EjNS0_10empty_typeEbEEZZNS1_14partition_implILS8_3ELb0ES6_jNS0_17counting_iteratorIjlEEPS9_SE_NS0_5tupleIJPjSE_EEENSF_IJSE_SE_EEES9_SG_JZNS1_25segmented_radix_sort_implINS0_14default_configELb1EPKhPhPKlPlN2at6native12_GLOBAL__N_18offset_tEEE10hipError_tPvRmT1_PNSt15iterator_traitsISY_E10value_typeET2_T3_PNSZ_IS14_E10value_typeET4_jRbjT5_S1A_jjP12ihipStream_tbEUljE_EEESV_SW_SX_S14_S18_S1A_T6_T7_T9_mT8_S1C_bDpT10_ENKUlT_T0_E_clISt17integral_constantIbLb1EES1O_IbLb0EEEEDaS1K_S1L_EUlS1K_E_NS1_11comp_targetILNS1_3genE8ELNS1_11target_archE1030ELNS1_3gpuE2ELNS1_3repE0EEENS1_30default_config_static_selectorELNS0_4arch9wavefront6targetE0EEEvSY_.numbered_sgpr, 0
	.set _ZN7rocprim17ROCPRIM_400000_NS6detail17trampoline_kernelINS0_13select_configILj256ELj13ELNS0_17block_load_methodE3ELS4_3ELS4_3ELNS0_20block_scan_algorithmE0ELj4294967295EEENS1_25partition_config_selectorILNS1_17partition_subalgoE3EjNS0_10empty_typeEbEEZZNS1_14partition_implILS8_3ELb0ES6_jNS0_17counting_iteratorIjlEEPS9_SE_NS0_5tupleIJPjSE_EEENSF_IJSE_SE_EEES9_SG_JZNS1_25segmented_radix_sort_implINS0_14default_configELb1EPKhPhPKlPlN2at6native12_GLOBAL__N_18offset_tEEE10hipError_tPvRmT1_PNSt15iterator_traitsISY_E10value_typeET2_T3_PNSZ_IS14_E10value_typeET4_jRbjT5_S1A_jjP12ihipStream_tbEUljE_EEESV_SW_SX_S14_S18_S1A_T6_T7_T9_mT8_S1C_bDpT10_ENKUlT_T0_E_clISt17integral_constantIbLb1EES1O_IbLb0EEEEDaS1K_S1L_EUlS1K_E_NS1_11comp_targetILNS1_3genE8ELNS1_11target_archE1030ELNS1_3gpuE2ELNS1_3repE0EEENS1_30default_config_static_selectorELNS0_4arch9wavefront6targetE0EEEvSY_.num_named_barrier, 0
	.set _ZN7rocprim17ROCPRIM_400000_NS6detail17trampoline_kernelINS0_13select_configILj256ELj13ELNS0_17block_load_methodE3ELS4_3ELS4_3ELNS0_20block_scan_algorithmE0ELj4294967295EEENS1_25partition_config_selectorILNS1_17partition_subalgoE3EjNS0_10empty_typeEbEEZZNS1_14partition_implILS8_3ELb0ES6_jNS0_17counting_iteratorIjlEEPS9_SE_NS0_5tupleIJPjSE_EEENSF_IJSE_SE_EEES9_SG_JZNS1_25segmented_radix_sort_implINS0_14default_configELb1EPKhPhPKlPlN2at6native12_GLOBAL__N_18offset_tEEE10hipError_tPvRmT1_PNSt15iterator_traitsISY_E10value_typeET2_T3_PNSZ_IS14_E10value_typeET4_jRbjT5_S1A_jjP12ihipStream_tbEUljE_EEESV_SW_SX_S14_S18_S1A_T6_T7_T9_mT8_S1C_bDpT10_ENKUlT_T0_E_clISt17integral_constantIbLb1EES1O_IbLb0EEEEDaS1K_S1L_EUlS1K_E_NS1_11comp_targetILNS1_3genE8ELNS1_11target_archE1030ELNS1_3gpuE2ELNS1_3repE0EEENS1_30default_config_static_selectorELNS0_4arch9wavefront6targetE0EEEvSY_.private_seg_size, 0
	.set _ZN7rocprim17ROCPRIM_400000_NS6detail17trampoline_kernelINS0_13select_configILj256ELj13ELNS0_17block_load_methodE3ELS4_3ELS4_3ELNS0_20block_scan_algorithmE0ELj4294967295EEENS1_25partition_config_selectorILNS1_17partition_subalgoE3EjNS0_10empty_typeEbEEZZNS1_14partition_implILS8_3ELb0ES6_jNS0_17counting_iteratorIjlEEPS9_SE_NS0_5tupleIJPjSE_EEENSF_IJSE_SE_EEES9_SG_JZNS1_25segmented_radix_sort_implINS0_14default_configELb1EPKhPhPKlPlN2at6native12_GLOBAL__N_18offset_tEEE10hipError_tPvRmT1_PNSt15iterator_traitsISY_E10value_typeET2_T3_PNSZ_IS14_E10value_typeET4_jRbjT5_S1A_jjP12ihipStream_tbEUljE_EEESV_SW_SX_S14_S18_S1A_T6_T7_T9_mT8_S1C_bDpT10_ENKUlT_T0_E_clISt17integral_constantIbLb1EES1O_IbLb0EEEEDaS1K_S1L_EUlS1K_E_NS1_11comp_targetILNS1_3genE8ELNS1_11target_archE1030ELNS1_3gpuE2ELNS1_3repE0EEENS1_30default_config_static_selectorELNS0_4arch9wavefront6targetE0EEEvSY_.uses_vcc, 0
	.set _ZN7rocprim17ROCPRIM_400000_NS6detail17trampoline_kernelINS0_13select_configILj256ELj13ELNS0_17block_load_methodE3ELS4_3ELS4_3ELNS0_20block_scan_algorithmE0ELj4294967295EEENS1_25partition_config_selectorILNS1_17partition_subalgoE3EjNS0_10empty_typeEbEEZZNS1_14partition_implILS8_3ELb0ES6_jNS0_17counting_iteratorIjlEEPS9_SE_NS0_5tupleIJPjSE_EEENSF_IJSE_SE_EEES9_SG_JZNS1_25segmented_radix_sort_implINS0_14default_configELb1EPKhPhPKlPlN2at6native12_GLOBAL__N_18offset_tEEE10hipError_tPvRmT1_PNSt15iterator_traitsISY_E10value_typeET2_T3_PNSZ_IS14_E10value_typeET4_jRbjT5_S1A_jjP12ihipStream_tbEUljE_EEESV_SW_SX_S14_S18_S1A_T6_T7_T9_mT8_S1C_bDpT10_ENKUlT_T0_E_clISt17integral_constantIbLb1EES1O_IbLb0EEEEDaS1K_S1L_EUlS1K_E_NS1_11comp_targetILNS1_3genE8ELNS1_11target_archE1030ELNS1_3gpuE2ELNS1_3repE0EEENS1_30default_config_static_selectorELNS0_4arch9wavefront6targetE0EEEvSY_.uses_flat_scratch, 0
	.set _ZN7rocprim17ROCPRIM_400000_NS6detail17trampoline_kernelINS0_13select_configILj256ELj13ELNS0_17block_load_methodE3ELS4_3ELS4_3ELNS0_20block_scan_algorithmE0ELj4294967295EEENS1_25partition_config_selectorILNS1_17partition_subalgoE3EjNS0_10empty_typeEbEEZZNS1_14partition_implILS8_3ELb0ES6_jNS0_17counting_iteratorIjlEEPS9_SE_NS0_5tupleIJPjSE_EEENSF_IJSE_SE_EEES9_SG_JZNS1_25segmented_radix_sort_implINS0_14default_configELb1EPKhPhPKlPlN2at6native12_GLOBAL__N_18offset_tEEE10hipError_tPvRmT1_PNSt15iterator_traitsISY_E10value_typeET2_T3_PNSZ_IS14_E10value_typeET4_jRbjT5_S1A_jjP12ihipStream_tbEUljE_EEESV_SW_SX_S14_S18_S1A_T6_T7_T9_mT8_S1C_bDpT10_ENKUlT_T0_E_clISt17integral_constantIbLb1EES1O_IbLb0EEEEDaS1K_S1L_EUlS1K_E_NS1_11comp_targetILNS1_3genE8ELNS1_11target_archE1030ELNS1_3gpuE2ELNS1_3repE0EEENS1_30default_config_static_selectorELNS0_4arch9wavefront6targetE0EEEvSY_.has_dyn_sized_stack, 0
	.set _ZN7rocprim17ROCPRIM_400000_NS6detail17trampoline_kernelINS0_13select_configILj256ELj13ELNS0_17block_load_methodE3ELS4_3ELS4_3ELNS0_20block_scan_algorithmE0ELj4294967295EEENS1_25partition_config_selectorILNS1_17partition_subalgoE3EjNS0_10empty_typeEbEEZZNS1_14partition_implILS8_3ELb0ES6_jNS0_17counting_iteratorIjlEEPS9_SE_NS0_5tupleIJPjSE_EEENSF_IJSE_SE_EEES9_SG_JZNS1_25segmented_radix_sort_implINS0_14default_configELb1EPKhPhPKlPlN2at6native12_GLOBAL__N_18offset_tEEE10hipError_tPvRmT1_PNSt15iterator_traitsISY_E10value_typeET2_T3_PNSZ_IS14_E10value_typeET4_jRbjT5_S1A_jjP12ihipStream_tbEUljE_EEESV_SW_SX_S14_S18_S1A_T6_T7_T9_mT8_S1C_bDpT10_ENKUlT_T0_E_clISt17integral_constantIbLb1EES1O_IbLb0EEEEDaS1K_S1L_EUlS1K_E_NS1_11comp_targetILNS1_3genE8ELNS1_11target_archE1030ELNS1_3gpuE2ELNS1_3repE0EEENS1_30default_config_static_selectorELNS0_4arch9wavefront6targetE0EEEvSY_.has_recursion, 0
	.set _ZN7rocprim17ROCPRIM_400000_NS6detail17trampoline_kernelINS0_13select_configILj256ELj13ELNS0_17block_load_methodE3ELS4_3ELS4_3ELNS0_20block_scan_algorithmE0ELj4294967295EEENS1_25partition_config_selectorILNS1_17partition_subalgoE3EjNS0_10empty_typeEbEEZZNS1_14partition_implILS8_3ELb0ES6_jNS0_17counting_iteratorIjlEEPS9_SE_NS0_5tupleIJPjSE_EEENSF_IJSE_SE_EEES9_SG_JZNS1_25segmented_radix_sort_implINS0_14default_configELb1EPKhPhPKlPlN2at6native12_GLOBAL__N_18offset_tEEE10hipError_tPvRmT1_PNSt15iterator_traitsISY_E10value_typeET2_T3_PNSZ_IS14_E10value_typeET4_jRbjT5_S1A_jjP12ihipStream_tbEUljE_EEESV_SW_SX_S14_S18_S1A_T6_T7_T9_mT8_S1C_bDpT10_ENKUlT_T0_E_clISt17integral_constantIbLb1EES1O_IbLb0EEEEDaS1K_S1L_EUlS1K_E_NS1_11comp_targetILNS1_3genE8ELNS1_11target_archE1030ELNS1_3gpuE2ELNS1_3repE0EEENS1_30default_config_static_selectorELNS0_4arch9wavefront6targetE0EEEvSY_.has_indirect_call, 0
	.section	.AMDGPU.csdata,"",@progbits
; Kernel info:
; codeLenInByte = 0
; TotalNumSgprs: 0
; NumVgprs: 0
; ScratchSize: 0
; MemoryBound: 0
; FloatMode: 240
; IeeeMode: 1
; LDSByteSize: 0 bytes/workgroup (compile time only)
; SGPRBlocks: 0
; VGPRBlocks: 0
; NumSGPRsForWavesPerEU: 1
; NumVGPRsForWavesPerEU: 1
; Occupancy: 16
; WaveLimiterHint : 0
; COMPUTE_PGM_RSRC2:SCRATCH_EN: 0
; COMPUTE_PGM_RSRC2:USER_SGPR: 2
; COMPUTE_PGM_RSRC2:TRAP_HANDLER: 0
; COMPUTE_PGM_RSRC2:TGID_X_EN: 1
; COMPUTE_PGM_RSRC2:TGID_Y_EN: 0
; COMPUTE_PGM_RSRC2:TGID_Z_EN: 0
; COMPUTE_PGM_RSRC2:TIDIG_COMP_CNT: 0
	.section	.text._ZN7rocprim17ROCPRIM_400000_NS6detail31init_lookback_scan_state_kernelINS1_19lookback_scan_stateIjLb0ELb1EEENS1_16block_id_wrapperIjLb1EEEEEvT_jT0_jPNS7_10value_typeE,"axG",@progbits,_ZN7rocprim17ROCPRIM_400000_NS6detail31init_lookback_scan_state_kernelINS1_19lookback_scan_stateIjLb0ELb1EEENS1_16block_id_wrapperIjLb1EEEEEvT_jT0_jPNS7_10value_typeE,comdat
	.protected	_ZN7rocprim17ROCPRIM_400000_NS6detail31init_lookback_scan_state_kernelINS1_19lookback_scan_stateIjLb0ELb1EEENS1_16block_id_wrapperIjLb1EEEEEvT_jT0_jPNS7_10value_typeE ; -- Begin function _ZN7rocprim17ROCPRIM_400000_NS6detail31init_lookback_scan_state_kernelINS1_19lookback_scan_stateIjLb0ELb1EEENS1_16block_id_wrapperIjLb1EEEEEvT_jT0_jPNS7_10value_typeE
	.globl	_ZN7rocprim17ROCPRIM_400000_NS6detail31init_lookback_scan_state_kernelINS1_19lookback_scan_stateIjLb0ELb1EEENS1_16block_id_wrapperIjLb1EEEEEvT_jT0_jPNS7_10value_typeE
	.p2align	8
	.type	_ZN7rocprim17ROCPRIM_400000_NS6detail31init_lookback_scan_state_kernelINS1_19lookback_scan_stateIjLb0ELb1EEENS1_16block_id_wrapperIjLb1EEEEEvT_jT0_jPNS7_10value_typeE,@function
_ZN7rocprim17ROCPRIM_400000_NS6detail31init_lookback_scan_state_kernelINS1_19lookback_scan_stateIjLb0ELb1EEENS1_16block_id_wrapperIjLb1EEEEEvT_jT0_jPNS7_10value_typeE: ; @_ZN7rocprim17ROCPRIM_400000_NS6detail31init_lookback_scan_state_kernelINS1_19lookback_scan_stateIjLb0ELb1EEENS1_16block_id_wrapperIjLb1EEEEEvT_jT0_jPNS7_10value_typeE
; %bb.0:
	s_clause 0x2
	s_load_b32 s7, s[0:1], 0x34
	s_load_b64 s[2:3], s[0:1], 0x20
	s_load_b96 s[4:6], s[0:1], 0x0
	s_wait_kmcnt 0x0
	s_and_b32 s7, s7, 0xffff
	s_cmp_eq_u64 s[2:3], 0
	v_mad_co_u64_u32 v[0:1], null, ttmp9, s7, v[0:1]
	s_cbranch_scc1 .LBB74_6
; %bb.1:
	s_load_b32 s8, s[0:1], 0x18
	s_mov_b32 s9, 0
	s_wait_kmcnt 0x0
	s_cmp_lt_u32 s8, s6
	s_cselect_b32 s7, s8, 0
	s_wait_alu 0xfffe
	v_cmp_eq_u32_e32 vcc_lo, s7, v0
	s_and_saveexec_b32 s7, vcc_lo
	s_cbranch_execz .LBB74_5
; %bb.2:
	s_add_co_i32 s8, s8, 32
	v_mov_b32_e32 v3, 0
	s_lshl_b64 s[8:9], s[8:9], 3
	s_delay_alu instid0(SALU_CYCLE_1) | instskip(SKIP_3) | instid1(VALU_DEP_1)
	s_add_nc_u64 s[8:9], s[4:5], s[8:9]
	global_load_b64 v[1:2], v3, s[8:9] scope:SCOPE_DEV
	s_wait_loadcnt 0x0
	v_and_b32_e32 v4, 0xff, v2
	v_cmp_ne_u64_e32 vcc_lo, 0, v[3:4]
	s_cbranch_vccnz .LBB74_4
.LBB74_3:                               ; =>This Inner Loop Header: Depth=1
	global_load_b64 v[1:2], v3, s[8:9] scope:SCOPE_DEV
	s_wait_loadcnt 0x0
	v_and_b32_e32 v4, 0xff, v2
	s_delay_alu instid0(VALU_DEP_1)
	v_cmp_eq_u64_e32 vcc_lo, 0, v[3:4]
	s_cbranch_vccnz .LBB74_3
.LBB74_4:
	v_mov_b32_e32 v2, 0
	global_store_b32 v2, v1, s[2:3]
.LBB74_5:
	s_wait_alu 0xfffe
	s_or_b32 exec_lo, exec_lo, s7
.LBB74_6:
	s_delay_alu instid0(SALU_CYCLE_1)
	s_mov_b32 s2, exec_lo
	v_cmpx_eq_u32_e32 0, v0
	s_cbranch_execz .LBB74_8
; %bb.7:
	s_load_b64 s[0:1], s[0:1], 0x10
	v_mov_b32_e32 v1, 0
	s_wait_kmcnt 0x0
	global_store_b32 v1, v1, s[0:1]
.LBB74_8:
	s_or_b32 exec_lo, exec_lo, s2
	s_delay_alu instid0(SALU_CYCLE_1)
	s_mov_b32 s0, exec_lo
	v_cmpx_gt_u32_e64 s6, v0
	s_cbranch_execz .LBB74_10
; %bb.9:
	v_dual_mov_b32 v2, 0 :: v_dual_add_nc_u32 v1, 32, v0
	s_delay_alu instid0(VALU_DEP_1) | instskip(SKIP_1) | instid1(VALU_DEP_2)
	v_lshlrev_b64_e32 v[3:4], 3, v[1:2]
	v_mov_b32_e32 v1, v2
	v_add_co_u32 v3, vcc_lo, s4, v3
	s_delay_alu instid0(VALU_DEP_1)
	v_add_co_ci_u32_e64 v4, null, s5, v4, vcc_lo
	global_store_b64 v[3:4], v[1:2], off
.LBB74_10:
	s_wait_alu 0xfffe
	s_or_b32 exec_lo, exec_lo, s0
	s_delay_alu instid0(SALU_CYCLE_1)
	s_mov_b32 s0, exec_lo
	v_cmpx_gt_u32_e32 32, v0
	s_cbranch_execz .LBB74_12
; %bb.11:
	v_dual_mov_b32 v1, 0 :: v_dual_mov_b32 v4, 0xff
	s_delay_alu instid0(VALU_DEP_1) | instskip(NEXT) | instid1(VALU_DEP_1)
	v_lshlrev_b64_e32 v[2:3], 3, v[0:1]
	v_add_co_u32 v5, vcc_lo, s4, v2
	s_wait_alu 0xfffd
	s_delay_alu instid0(VALU_DEP_2)
	v_add_co_ci_u32_e64 v6, null, s5, v3, vcc_lo
	v_mov_b32_e32 v3, v1
	global_store_b64 v[5:6], v[3:4], off
.LBB74_12:
	s_endpgm
	.section	.rodata,"a",@progbits
	.p2align	6, 0x0
	.amdhsa_kernel _ZN7rocprim17ROCPRIM_400000_NS6detail31init_lookback_scan_state_kernelINS1_19lookback_scan_stateIjLb0ELb1EEENS1_16block_id_wrapperIjLb1EEEEEvT_jT0_jPNS7_10value_typeE
		.amdhsa_group_segment_fixed_size 0
		.amdhsa_private_segment_fixed_size 0
		.amdhsa_kernarg_size 296
		.amdhsa_user_sgpr_count 2
		.amdhsa_user_sgpr_dispatch_ptr 0
		.amdhsa_user_sgpr_queue_ptr 0
		.amdhsa_user_sgpr_kernarg_segment_ptr 1
		.amdhsa_user_sgpr_dispatch_id 0
		.amdhsa_user_sgpr_private_segment_size 0
		.amdhsa_wavefront_size32 1
		.amdhsa_uses_dynamic_stack 0
		.amdhsa_enable_private_segment 0
		.amdhsa_system_sgpr_workgroup_id_x 1
		.amdhsa_system_sgpr_workgroup_id_y 0
		.amdhsa_system_sgpr_workgroup_id_z 0
		.amdhsa_system_sgpr_workgroup_info 0
		.amdhsa_system_vgpr_workitem_id 0
		.amdhsa_next_free_vgpr 7
		.amdhsa_next_free_sgpr 10
		.amdhsa_reserve_vcc 1
		.amdhsa_float_round_mode_32 0
		.amdhsa_float_round_mode_16_64 0
		.amdhsa_float_denorm_mode_32 3
		.amdhsa_float_denorm_mode_16_64 3
		.amdhsa_fp16_overflow 0
		.amdhsa_workgroup_processor_mode 1
		.amdhsa_memory_ordered 1
		.amdhsa_forward_progress 1
		.amdhsa_inst_pref_size 4
		.amdhsa_round_robin_scheduling 0
		.amdhsa_exception_fp_ieee_invalid_op 0
		.amdhsa_exception_fp_denorm_src 0
		.amdhsa_exception_fp_ieee_div_zero 0
		.amdhsa_exception_fp_ieee_overflow 0
		.amdhsa_exception_fp_ieee_underflow 0
		.amdhsa_exception_fp_ieee_inexact 0
		.amdhsa_exception_int_div_zero 0
	.end_amdhsa_kernel
	.section	.text._ZN7rocprim17ROCPRIM_400000_NS6detail31init_lookback_scan_state_kernelINS1_19lookback_scan_stateIjLb0ELb1EEENS1_16block_id_wrapperIjLb1EEEEEvT_jT0_jPNS7_10value_typeE,"axG",@progbits,_ZN7rocprim17ROCPRIM_400000_NS6detail31init_lookback_scan_state_kernelINS1_19lookback_scan_stateIjLb0ELb1EEENS1_16block_id_wrapperIjLb1EEEEEvT_jT0_jPNS7_10value_typeE,comdat
.Lfunc_end74:
	.size	_ZN7rocprim17ROCPRIM_400000_NS6detail31init_lookback_scan_state_kernelINS1_19lookback_scan_stateIjLb0ELb1EEENS1_16block_id_wrapperIjLb1EEEEEvT_jT0_jPNS7_10value_typeE, .Lfunc_end74-_ZN7rocprim17ROCPRIM_400000_NS6detail31init_lookback_scan_state_kernelINS1_19lookback_scan_stateIjLb0ELb1EEENS1_16block_id_wrapperIjLb1EEEEEvT_jT0_jPNS7_10value_typeE
                                        ; -- End function
	.set _ZN7rocprim17ROCPRIM_400000_NS6detail31init_lookback_scan_state_kernelINS1_19lookback_scan_stateIjLb0ELb1EEENS1_16block_id_wrapperIjLb1EEEEEvT_jT0_jPNS7_10value_typeE.num_vgpr, 7
	.set _ZN7rocprim17ROCPRIM_400000_NS6detail31init_lookback_scan_state_kernelINS1_19lookback_scan_stateIjLb0ELb1EEENS1_16block_id_wrapperIjLb1EEEEEvT_jT0_jPNS7_10value_typeE.num_agpr, 0
	.set _ZN7rocprim17ROCPRIM_400000_NS6detail31init_lookback_scan_state_kernelINS1_19lookback_scan_stateIjLb0ELb1EEENS1_16block_id_wrapperIjLb1EEEEEvT_jT0_jPNS7_10value_typeE.numbered_sgpr, 10
	.set _ZN7rocprim17ROCPRIM_400000_NS6detail31init_lookback_scan_state_kernelINS1_19lookback_scan_stateIjLb0ELb1EEENS1_16block_id_wrapperIjLb1EEEEEvT_jT0_jPNS7_10value_typeE.num_named_barrier, 0
	.set _ZN7rocprim17ROCPRIM_400000_NS6detail31init_lookback_scan_state_kernelINS1_19lookback_scan_stateIjLb0ELb1EEENS1_16block_id_wrapperIjLb1EEEEEvT_jT0_jPNS7_10value_typeE.private_seg_size, 0
	.set _ZN7rocprim17ROCPRIM_400000_NS6detail31init_lookback_scan_state_kernelINS1_19lookback_scan_stateIjLb0ELb1EEENS1_16block_id_wrapperIjLb1EEEEEvT_jT0_jPNS7_10value_typeE.uses_vcc, 1
	.set _ZN7rocprim17ROCPRIM_400000_NS6detail31init_lookback_scan_state_kernelINS1_19lookback_scan_stateIjLb0ELb1EEENS1_16block_id_wrapperIjLb1EEEEEvT_jT0_jPNS7_10value_typeE.uses_flat_scratch, 0
	.set _ZN7rocprim17ROCPRIM_400000_NS6detail31init_lookback_scan_state_kernelINS1_19lookback_scan_stateIjLb0ELb1EEENS1_16block_id_wrapperIjLb1EEEEEvT_jT0_jPNS7_10value_typeE.has_dyn_sized_stack, 0
	.set _ZN7rocprim17ROCPRIM_400000_NS6detail31init_lookback_scan_state_kernelINS1_19lookback_scan_stateIjLb0ELb1EEENS1_16block_id_wrapperIjLb1EEEEEvT_jT0_jPNS7_10value_typeE.has_recursion, 0
	.set _ZN7rocprim17ROCPRIM_400000_NS6detail31init_lookback_scan_state_kernelINS1_19lookback_scan_stateIjLb0ELb1EEENS1_16block_id_wrapperIjLb1EEEEEvT_jT0_jPNS7_10value_typeE.has_indirect_call, 0
	.section	.AMDGPU.csdata,"",@progbits
; Kernel info:
; codeLenInByte = 416
; TotalNumSgprs: 12
; NumVgprs: 7
; ScratchSize: 0
; MemoryBound: 0
; FloatMode: 240
; IeeeMode: 1
; LDSByteSize: 0 bytes/workgroup (compile time only)
; SGPRBlocks: 0
; VGPRBlocks: 0
; NumSGPRsForWavesPerEU: 12
; NumVGPRsForWavesPerEU: 7
; Occupancy: 16
; WaveLimiterHint : 0
; COMPUTE_PGM_RSRC2:SCRATCH_EN: 0
; COMPUTE_PGM_RSRC2:USER_SGPR: 2
; COMPUTE_PGM_RSRC2:TRAP_HANDLER: 0
; COMPUTE_PGM_RSRC2:TGID_X_EN: 1
; COMPUTE_PGM_RSRC2:TGID_Y_EN: 0
; COMPUTE_PGM_RSRC2:TGID_Z_EN: 0
; COMPUTE_PGM_RSRC2:TIDIG_COMP_CNT: 0
	.section	.text._ZN7rocprim17ROCPRIM_400000_NS6detail17trampoline_kernelINS0_13select_configILj256ELj13ELNS0_17block_load_methodE3ELS4_3ELS4_3ELNS0_20block_scan_algorithmE0ELj4294967295EEENS1_25partition_config_selectorILNS1_17partition_subalgoE3EjNS0_10empty_typeEbEEZZNS1_14partition_implILS8_3ELb0ES6_jNS0_17counting_iteratorIjlEEPS9_SE_NS0_5tupleIJPjSE_EEENSF_IJSE_SE_EEES9_SG_JZNS1_25segmented_radix_sort_implINS0_14default_configELb1EPKhPhPKlPlN2at6native12_GLOBAL__N_18offset_tEEE10hipError_tPvRmT1_PNSt15iterator_traitsISY_E10value_typeET2_T3_PNSZ_IS14_E10value_typeET4_jRbjT5_S1A_jjP12ihipStream_tbEUljE_EEESV_SW_SX_S14_S18_S1A_T6_T7_T9_mT8_S1C_bDpT10_ENKUlT_T0_E_clISt17integral_constantIbLb0EES1O_IbLb1EEEEDaS1K_S1L_EUlS1K_E_NS1_11comp_targetILNS1_3genE0ELNS1_11target_archE4294967295ELNS1_3gpuE0ELNS1_3repE0EEENS1_30default_config_static_selectorELNS0_4arch9wavefront6targetE0EEEvSY_,"axG",@progbits,_ZN7rocprim17ROCPRIM_400000_NS6detail17trampoline_kernelINS0_13select_configILj256ELj13ELNS0_17block_load_methodE3ELS4_3ELS4_3ELNS0_20block_scan_algorithmE0ELj4294967295EEENS1_25partition_config_selectorILNS1_17partition_subalgoE3EjNS0_10empty_typeEbEEZZNS1_14partition_implILS8_3ELb0ES6_jNS0_17counting_iteratorIjlEEPS9_SE_NS0_5tupleIJPjSE_EEENSF_IJSE_SE_EEES9_SG_JZNS1_25segmented_radix_sort_implINS0_14default_configELb1EPKhPhPKlPlN2at6native12_GLOBAL__N_18offset_tEEE10hipError_tPvRmT1_PNSt15iterator_traitsISY_E10value_typeET2_T3_PNSZ_IS14_E10value_typeET4_jRbjT5_S1A_jjP12ihipStream_tbEUljE_EEESV_SW_SX_S14_S18_S1A_T6_T7_T9_mT8_S1C_bDpT10_ENKUlT_T0_E_clISt17integral_constantIbLb0EES1O_IbLb1EEEEDaS1K_S1L_EUlS1K_E_NS1_11comp_targetILNS1_3genE0ELNS1_11target_archE4294967295ELNS1_3gpuE0ELNS1_3repE0EEENS1_30default_config_static_selectorELNS0_4arch9wavefront6targetE0EEEvSY_,comdat
	.globl	_ZN7rocprim17ROCPRIM_400000_NS6detail17trampoline_kernelINS0_13select_configILj256ELj13ELNS0_17block_load_methodE3ELS4_3ELS4_3ELNS0_20block_scan_algorithmE0ELj4294967295EEENS1_25partition_config_selectorILNS1_17partition_subalgoE3EjNS0_10empty_typeEbEEZZNS1_14partition_implILS8_3ELb0ES6_jNS0_17counting_iteratorIjlEEPS9_SE_NS0_5tupleIJPjSE_EEENSF_IJSE_SE_EEES9_SG_JZNS1_25segmented_radix_sort_implINS0_14default_configELb1EPKhPhPKlPlN2at6native12_GLOBAL__N_18offset_tEEE10hipError_tPvRmT1_PNSt15iterator_traitsISY_E10value_typeET2_T3_PNSZ_IS14_E10value_typeET4_jRbjT5_S1A_jjP12ihipStream_tbEUljE_EEESV_SW_SX_S14_S18_S1A_T6_T7_T9_mT8_S1C_bDpT10_ENKUlT_T0_E_clISt17integral_constantIbLb0EES1O_IbLb1EEEEDaS1K_S1L_EUlS1K_E_NS1_11comp_targetILNS1_3genE0ELNS1_11target_archE4294967295ELNS1_3gpuE0ELNS1_3repE0EEENS1_30default_config_static_selectorELNS0_4arch9wavefront6targetE0EEEvSY_ ; -- Begin function _ZN7rocprim17ROCPRIM_400000_NS6detail17trampoline_kernelINS0_13select_configILj256ELj13ELNS0_17block_load_methodE3ELS4_3ELS4_3ELNS0_20block_scan_algorithmE0ELj4294967295EEENS1_25partition_config_selectorILNS1_17partition_subalgoE3EjNS0_10empty_typeEbEEZZNS1_14partition_implILS8_3ELb0ES6_jNS0_17counting_iteratorIjlEEPS9_SE_NS0_5tupleIJPjSE_EEENSF_IJSE_SE_EEES9_SG_JZNS1_25segmented_radix_sort_implINS0_14default_configELb1EPKhPhPKlPlN2at6native12_GLOBAL__N_18offset_tEEE10hipError_tPvRmT1_PNSt15iterator_traitsISY_E10value_typeET2_T3_PNSZ_IS14_E10value_typeET4_jRbjT5_S1A_jjP12ihipStream_tbEUljE_EEESV_SW_SX_S14_S18_S1A_T6_T7_T9_mT8_S1C_bDpT10_ENKUlT_T0_E_clISt17integral_constantIbLb0EES1O_IbLb1EEEEDaS1K_S1L_EUlS1K_E_NS1_11comp_targetILNS1_3genE0ELNS1_11target_archE4294967295ELNS1_3gpuE0ELNS1_3repE0EEENS1_30default_config_static_selectorELNS0_4arch9wavefront6targetE0EEEvSY_
	.p2align	8
	.type	_ZN7rocprim17ROCPRIM_400000_NS6detail17trampoline_kernelINS0_13select_configILj256ELj13ELNS0_17block_load_methodE3ELS4_3ELS4_3ELNS0_20block_scan_algorithmE0ELj4294967295EEENS1_25partition_config_selectorILNS1_17partition_subalgoE3EjNS0_10empty_typeEbEEZZNS1_14partition_implILS8_3ELb0ES6_jNS0_17counting_iteratorIjlEEPS9_SE_NS0_5tupleIJPjSE_EEENSF_IJSE_SE_EEES9_SG_JZNS1_25segmented_radix_sort_implINS0_14default_configELb1EPKhPhPKlPlN2at6native12_GLOBAL__N_18offset_tEEE10hipError_tPvRmT1_PNSt15iterator_traitsISY_E10value_typeET2_T3_PNSZ_IS14_E10value_typeET4_jRbjT5_S1A_jjP12ihipStream_tbEUljE_EEESV_SW_SX_S14_S18_S1A_T6_T7_T9_mT8_S1C_bDpT10_ENKUlT_T0_E_clISt17integral_constantIbLb0EES1O_IbLb1EEEEDaS1K_S1L_EUlS1K_E_NS1_11comp_targetILNS1_3genE0ELNS1_11target_archE4294967295ELNS1_3gpuE0ELNS1_3repE0EEENS1_30default_config_static_selectorELNS0_4arch9wavefront6targetE0EEEvSY_,@function
_ZN7rocprim17ROCPRIM_400000_NS6detail17trampoline_kernelINS0_13select_configILj256ELj13ELNS0_17block_load_methodE3ELS4_3ELS4_3ELNS0_20block_scan_algorithmE0ELj4294967295EEENS1_25partition_config_selectorILNS1_17partition_subalgoE3EjNS0_10empty_typeEbEEZZNS1_14partition_implILS8_3ELb0ES6_jNS0_17counting_iteratorIjlEEPS9_SE_NS0_5tupleIJPjSE_EEENSF_IJSE_SE_EEES9_SG_JZNS1_25segmented_radix_sort_implINS0_14default_configELb1EPKhPhPKlPlN2at6native12_GLOBAL__N_18offset_tEEE10hipError_tPvRmT1_PNSt15iterator_traitsISY_E10value_typeET2_T3_PNSZ_IS14_E10value_typeET4_jRbjT5_S1A_jjP12ihipStream_tbEUljE_EEESV_SW_SX_S14_S18_S1A_T6_T7_T9_mT8_S1C_bDpT10_ENKUlT_T0_E_clISt17integral_constantIbLb0EES1O_IbLb1EEEEDaS1K_S1L_EUlS1K_E_NS1_11comp_targetILNS1_3genE0ELNS1_11target_archE4294967295ELNS1_3gpuE0ELNS1_3repE0EEENS1_30default_config_static_selectorELNS0_4arch9wavefront6targetE0EEEvSY_: ; @_ZN7rocprim17ROCPRIM_400000_NS6detail17trampoline_kernelINS0_13select_configILj256ELj13ELNS0_17block_load_methodE3ELS4_3ELS4_3ELNS0_20block_scan_algorithmE0ELj4294967295EEENS1_25partition_config_selectorILNS1_17partition_subalgoE3EjNS0_10empty_typeEbEEZZNS1_14partition_implILS8_3ELb0ES6_jNS0_17counting_iteratorIjlEEPS9_SE_NS0_5tupleIJPjSE_EEENSF_IJSE_SE_EEES9_SG_JZNS1_25segmented_radix_sort_implINS0_14default_configELb1EPKhPhPKlPlN2at6native12_GLOBAL__N_18offset_tEEE10hipError_tPvRmT1_PNSt15iterator_traitsISY_E10value_typeET2_T3_PNSZ_IS14_E10value_typeET4_jRbjT5_S1A_jjP12ihipStream_tbEUljE_EEESV_SW_SX_S14_S18_S1A_T6_T7_T9_mT8_S1C_bDpT10_ENKUlT_T0_E_clISt17integral_constantIbLb0EES1O_IbLb1EEEEDaS1K_S1L_EUlS1K_E_NS1_11comp_targetILNS1_3genE0ELNS1_11target_archE4294967295ELNS1_3gpuE0ELNS1_3repE0EEENS1_30default_config_static_selectorELNS0_4arch9wavefront6targetE0EEEvSY_
; %bb.0:
	.section	.rodata,"a",@progbits
	.p2align	6, 0x0
	.amdhsa_kernel _ZN7rocprim17ROCPRIM_400000_NS6detail17trampoline_kernelINS0_13select_configILj256ELj13ELNS0_17block_load_methodE3ELS4_3ELS4_3ELNS0_20block_scan_algorithmE0ELj4294967295EEENS1_25partition_config_selectorILNS1_17partition_subalgoE3EjNS0_10empty_typeEbEEZZNS1_14partition_implILS8_3ELb0ES6_jNS0_17counting_iteratorIjlEEPS9_SE_NS0_5tupleIJPjSE_EEENSF_IJSE_SE_EEES9_SG_JZNS1_25segmented_radix_sort_implINS0_14default_configELb1EPKhPhPKlPlN2at6native12_GLOBAL__N_18offset_tEEE10hipError_tPvRmT1_PNSt15iterator_traitsISY_E10value_typeET2_T3_PNSZ_IS14_E10value_typeET4_jRbjT5_S1A_jjP12ihipStream_tbEUljE_EEESV_SW_SX_S14_S18_S1A_T6_T7_T9_mT8_S1C_bDpT10_ENKUlT_T0_E_clISt17integral_constantIbLb0EES1O_IbLb1EEEEDaS1K_S1L_EUlS1K_E_NS1_11comp_targetILNS1_3genE0ELNS1_11target_archE4294967295ELNS1_3gpuE0ELNS1_3repE0EEENS1_30default_config_static_selectorELNS0_4arch9wavefront6targetE0EEEvSY_
		.amdhsa_group_segment_fixed_size 0
		.amdhsa_private_segment_fixed_size 0
		.amdhsa_kernarg_size 152
		.amdhsa_user_sgpr_count 2
		.amdhsa_user_sgpr_dispatch_ptr 0
		.amdhsa_user_sgpr_queue_ptr 0
		.amdhsa_user_sgpr_kernarg_segment_ptr 1
		.amdhsa_user_sgpr_dispatch_id 0
		.amdhsa_user_sgpr_private_segment_size 0
		.amdhsa_wavefront_size32 1
		.amdhsa_uses_dynamic_stack 0
		.amdhsa_enable_private_segment 0
		.amdhsa_system_sgpr_workgroup_id_x 1
		.amdhsa_system_sgpr_workgroup_id_y 0
		.amdhsa_system_sgpr_workgroup_id_z 0
		.amdhsa_system_sgpr_workgroup_info 0
		.amdhsa_system_vgpr_workitem_id 0
		.amdhsa_next_free_vgpr 1
		.amdhsa_next_free_sgpr 1
		.amdhsa_reserve_vcc 0
		.amdhsa_float_round_mode_32 0
		.amdhsa_float_round_mode_16_64 0
		.amdhsa_float_denorm_mode_32 3
		.amdhsa_float_denorm_mode_16_64 3
		.amdhsa_fp16_overflow 0
		.amdhsa_workgroup_processor_mode 1
		.amdhsa_memory_ordered 1
		.amdhsa_forward_progress 1
		.amdhsa_inst_pref_size 0
		.amdhsa_round_robin_scheduling 0
		.amdhsa_exception_fp_ieee_invalid_op 0
		.amdhsa_exception_fp_denorm_src 0
		.amdhsa_exception_fp_ieee_div_zero 0
		.amdhsa_exception_fp_ieee_overflow 0
		.amdhsa_exception_fp_ieee_underflow 0
		.amdhsa_exception_fp_ieee_inexact 0
		.amdhsa_exception_int_div_zero 0
	.end_amdhsa_kernel
	.section	.text._ZN7rocprim17ROCPRIM_400000_NS6detail17trampoline_kernelINS0_13select_configILj256ELj13ELNS0_17block_load_methodE3ELS4_3ELS4_3ELNS0_20block_scan_algorithmE0ELj4294967295EEENS1_25partition_config_selectorILNS1_17partition_subalgoE3EjNS0_10empty_typeEbEEZZNS1_14partition_implILS8_3ELb0ES6_jNS0_17counting_iteratorIjlEEPS9_SE_NS0_5tupleIJPjSE_EEENSF_IJSE_SE_EEES9_SG_JZNS1_25segmented_radix_sort_implINS0_14default_configELb1EPKhPhPKlPlN2at6native12_GLOBAL__N_18offset_tEEE10hipError_tPvRmT1_PNSt15iterator_traitsISY_E10value_typeET2_T3_PNSZ_IS14_E10value_typeET4_jRbjT5_S1A_jjP12ihipStream_tbEUljE_EEESV_SW_SX_S14_S18_S1A_T6_T7_T9_mT8_S1C_bDpT10_ENKUlT_T0_E_clISt17integral_constantIbLb0EES1O_IbLb1EEEEDaS1K_S1L_EUlS1K_E_NS1_11comp_targetILNS1_3genE0ELNS1_11target_archE4294967295ELNS1_3gpuE0ELNS1_3repE0EEENS1_30default_config_static_selectorELNS0_4arch9wavefront6targetE0EEEvSY_,"axG",@progbits,_ZN7rocprim17ROCPRIM_400000_NS6detail17trampoline_kernelINS0_13select_configILj256ELj13ELNS0_17block_load_methodE3ELS4_3ELS4_3ELNS0_20block_scan_algorithmE0ELj4294967295EEENS1_25partition_config_selectorILNS1_17partition_subalgoE3EjNS0_10empty_typeEbEEZZNS1_14partition_implILS8_3ELb0ES6_jNS0_17counting_iteratorIjlEEPS9_SE_NS0_5tupleIJPjSE_EEENSF_IJSE_SE_EEES9_SG_JZNS1_25segmented_radix_sort_implINS0_14default_configELb1EPKhPhPKlPlN2at6native12_GLOBAL__N_18offset_tEEE10hipError_tPvRmT1_PNSt15iterator_traitsISY_E10value_typeET2_T3_PNSZ_IS14_E10value_typeET4_jRbjT5_S1A_jjP12ihipStream_tbEUljE_EEESV_SW_SX_S14_S18_S1A_T6_T7_T9_mT8_S1C_bDpT10_ENKUlT_T0_E_clISt17integral_constantIbLb0EES1O_IbLb1EEEEDaS1K_S1L_EUlS1K_E_NS1_11comp_targetILNS1_3genE0ELNS1_11target_archE4294967295ELNS1_3gpuE0ELNS1_3repE0EEENS1_30default_config_static_selectorELNS0_4arch9wavefront6targetE0EEEvSY_,comdat
.Lfunc_end75:
	.size	_ZN7rocprim17ROCPRIM_400000_NS6detail17trampoline_kernelINS0_13select_configILj256ELj13ELNS0_17block_load_methodE3ELS4_3ELS4_3ELNS0_20block_scan_algorithmE0ELj4294967295EEENS1_25partition_config_selectorILNS1_17partition_subalgoE3EjNS0_10empty_typeEbEEZZNS1_14partition_implILS8_3ELb0ES6_jNS0_17counting_iteratorIjlEEPS9_SE_NS0_5tupleIJPjSE_EEENSF_IJSE_SE_EEES9_SG_JZNS1_25segmented_radix_sort_implINS0_14default_configELb1EPKhPhPKlPlN2at6native12_GLOBAL__N_18offset_tEEE10hipError_tPvRmT1_PNSt15iterator_traitsISY_E10value_typeET2_T3_PNSZ_IS14_E10value_typeET4_jRbjT5_S1A_jjP12ihipStream_tbEUljE_EEESV_SW_SX_S14_S18_S1A_T6_T7_T9_mT8_S1C_bDpT10_ENKUlT_T0_E_clISt17integral_constantIbLb0EES1O_IbLb1EEEEDaS1K_S1L_EUlS1K_E_NS1_11comp_targetILNS1_3genE0ELNS1_11target_archE4294967295ELNS1_3gpuE0ELNS1_3repE0EEENS1_30default_config_static_selectorELNS0_4arch9wavefront6targetE0EEEvSY_, .Lfunc_end75-_ZN7rocprim17ROCPRIM_400000_NS6detail17trampoline_kernelINS0_13select_configILj256ELj13ELNS0_17block_load_methodE3ELS4_3ELS4_3ELNS0_20block_scan_algorithmE0ELj4294967295EEENS1_25partition_config_selectorILNS1_17partition_subalgoE3EjNS0_10empty_typeEbEEZZNS1_14partition_implILS8_3ELb0ES6_jNS0_17counting_iteratorIjlEEPS9_SE_NS0_5tupleIJPjSE_EEENSF_IJSE_SE_EEES9_SG_JZNS1_25segmented_radix_sort_implINS0_14default_configELb1EPKhPhPKlPlN2at6native12_GLOBAL__N_18offset_tEEE10hipError_tPvRmT1_PNSt15iterator_traitsISY_E10value_typeET2_T3_PNSZ_IS14_E10value_typeET4_jRbjT5_S1A_jjP12ihipStream_tbEUljE_EEESV_SW_SX_S14_S18_S1A_T6_T7_T9_mT8_S1C_bDpT10_ENKUlT_T0_E_clISt17integral_constantIbLb0EES1O_IbLb1EEEEDaS1K_S1L_EUlS1K_E_NS1_11comp_targetILNS1_3genE0ELNS1_11target_archE4294967295ELNS1_3gpuE0ELNS1_3repE0EEENS1_30default_config_static_selectorELNS0_4arch9wavefront6targetE0EEEvSY_
                                        ; -- End function
	.set _ZN7rocprim17ROCPRIM_400000_NS6detail17trampoline_kernelINS0_13select_configILj256ELj13ELNS0_17block_load_methodE3ELS4_3ELS4_3ELNS0_20block_scan_algorithmE0ELj4294967295EEENS1_25partition_config_selectorILNS1_17partition_subalgoE3EjNS0_10empty_typeEbEEZZNS1_14partition_implILS8_3ELb0ES6_jNS0_17counting_iteratorIjlEEPS9_SE_NS0_5tupleIJPjSE_EEENSF_IJSE_SE_EEES9_SG_JZNS1_25segmented_radix_sort_implINS0_14default_configELb1EPKhPhPKlPlN2at6native12_GLOBAL__N_18offset_tEEE10hipError_tPvRmT1_PNSt15iterator_traitsISY_E10value_typeET2_T3_PNSZ_IS14_E10value_typeET4_jRbjT5_S1A_jjP12ihipStream_tbEUljE_EEESV_SW_SX_S14_S18_S1A_T6_T7_T9_mT8_S1C_bDpT10_ENKUlT_T0_E_clISt17integral_constantIbLb0EES1O_IbLb1EEEEDaS1K_S1L_EUlS1K_E_NS1_11comp_targetILNS1_3genE0ELNS1_11target_archE4294967295ELNS1_3gpuE0ELNS1_3repE0EEENS1_30default_config_static_selectorELNS0_4arch9wavefront6targetE0EEEvSY_.num_vgpr, 0
	.set _ZN7rocprim17ROCPRIM_400000_NS6detail17trampoline_kernelINS0_13select_configILj256ELj13ELNS0_17block_load_methodE3ELS4_3ELS4_3ELNS0_20block_scan_algorithmE0ELj4294967295EEENS1_25partition_config_selectorILNS1_17partition_subalgoE3EjNS0_10empty_typeEbEEZZNS1_14partition_implILS8_3ELb0ES6_jNS0_17counting_iteratorIjlEEPS9_SE_NS0_5tupleIJPjSE_EEENSF_IJSE_SE_EEES9_SG_JZNS1_25segmented_radix_sort_implINS0_14default_configELb1EPKhPhPKlPlN2at6native12_GLOBAL__N_18offset_tEEE10hipError_tPvRmT1_PNSt15iterator_traitsISY_E10value_typeET2_T3_PNSZ_IS14_E10value_typeET4_jRbjT5_S1A_jjP12ihipStream_tbEUljE_EEESV_SW_SX_S14_S18_S1A_T6_T7_T9_mT8_S1C_bDpT10_ENKUlT_T0_E_clISt17integral_constantIbLb0EES1O_IbLb1EEEEDaS1K_S1L_EUlS1K_E_NS1_11comp_targetILNS1_3genE0ELNS1_11target_archE4294967295ELNS1_3gpuE0ELNS1_3repE0EEENS1_30default_config_static_selectorELNS0_4arch9wavefront6targetE0EEEvSY_.num_agpr, 0
	.set _ZN7rocprim17ROCPRIM_400000_NS6detail17trampoline_kernelINS0_13select_configILj256ELj13ELNS0_17block_load_methodE3ELS4_3ELS4_3ELNS0_20block_scan_algorithmE0ELj4294967295EEENS1_25partition_config_selectorILNS1_17partition_subalgoE3EjNS0_10empty_typeEbEEZZNS1_14partition_implILS8_3ELb0ES6_jNS0_17counting_iteratorIjlEEPS9_SE_NS0_5tupleIJPjSE_EEENSF_IJSE_SE_EEES9_SG_JZNS1_25segmented_radix_sort_implINS0_14default_configELb1EPKhPhPKlPlN2at6native12_GLOBAL__N_18offset_tEEE10hipError_tPvRmT1_PNSt15iterator_traitsISY_E10value_typeET2_T3_PNSZ_IS14_E10value_typeET4_jRbjT5_S1A_jjP12ihipStream_tbEUljE_EEESV_SW_SX_S14_S18_S1A_T6_T7_T9_mT8_S1C_bDpT10_ENKUlT_T0_E_clISt17integral_constantIbLb0EES1O_IbLb1EEEEDaS1K_S1L_EUlS1K_E_NS1_11comp_targetILNS1_3genE0ELNS1_11target_archE4294967295ELNS1_3gpuE0ELNS1_3repE0EEENS1_30default_config_static_selectorELNS0_4arch9wavefront6targetE0EEEvSY_.numbered_sgpr, 0
	.set _ZN7rocprim17ROCPRIM_400000_NS6detail17trampoline_kernelINS0_13select_configILj256ELj13ELNS0_17block_load_methodE3ELS4_3ELS4_3ELNS0_20block_scan_algorithmE0ELj4294967295EEENS1_25partition_config_selectorILNS1_17partition_subalgoE3EjNS0_10empty_typeEbEEZZNS1_14partition_implILS8_3ELb0ES6_jNS0_17counting_iteratorIjlEEPS9_SE_NS0_5tupleIJPjSE_EEENSF_IJSE_SE_EEES9_SG_JZNS1_25segmented_radix_sort_implINS0_14default_configELb1EPKhPhPKlPlN2at6native12_GLOBAL__N_18offset_tEEE10hipError_tPvRmT1_PNSt15iterator_traitsISY_E10value_typeET2_T3_PNSZ_IS14_E10value_typeET4_jRbjT5_S1A_jjP12ihipStream_tbEUljE_EEESV_SW_SX_S14_S18_S1A_T6_T7_T9_mT8_S1C_bDpT10_ENKUlT_T0_E_clISt17integral_constantIbLb0EES1O_IbLb1EEEEDaS1K_S1L_EUlS1K_E_NS1_11comp_targetILNS1_3genE0ELNS1_11target_archE4294967295ELNS1_3gpuE0ELNS1_3repE0EEENS1_30default_config_static_selectorELNS0_4arch9wavefront6targetE0EEEvSY_.num_named_barrier, 0
	.set _ZN7rocprim17ROCPRIM_400000_NS6detail17trampoline_kernelINS0_13select_configILj256ELj13ELNS0_17block_load_methodE3ELS4_3ELS4_3ELNS0_20block_scan_algorithmE0ELj4294967295EEENS1_25partition_config_selectorILNS1_17partition_subalgoE3EjNS0_10empty_typeEbEEZZNS1_14partition_implILS8_3ELb0ES6_jNS0_17counting_iteratorIjlEEPS9_SE_NS0_5tupleIJPjSE_EEENSF_IJSE_SE_EEES9_SG_JZNS1_25segmented_radix_sort_implINS0_14default_configELb1EPKhPhPKlPlN2at6native12_GLOBAL__N_18offset_tEEE10hipError_tPvRmT1_PNSt15iterator_traitsISY_E10value_typeET2_T3_PNSZ_IS14_E10value_typeET4_jRbjT5_S1A_jjP12ihipStream_tbEUljE_EEESV_SW_SX_S14_S18_S1A_T6_T7_T9_mT8_S1C_bDpT10_ENKUlT_T0_E_clISt17integral_constantIbLb0EES1O_IbLb1EEEEDaS1K_S1L_EUlS1K_E_NS1_11comp_targetILNS1_3genE0ELNS1_11target_archE4294967295ELNS1_3gpuE0ELNS1_3repE0EEENS1_30default_config_static_selectorELNS0_4arch9wavefront6targetE0EEEvSY_.private_seg_size, 0
	.set _ZN7rocprim17ROCPRIM_400000_NS6detail17trampoline_kernelINS0_13select_configILj256ELj13ELNS0_17block_load_methodE3ELS4_3ELS4_3ELNS0_20block_scan_algorithmE0ELj4294967295EEENS1_25partition_config_selectorILNS1_17partition_subalgoE3EjNS0_10empty_typeEbEEZZNS1_14partition_implILS8_3ELb0ES6_jNS0_17counting_iteratorIjlEEPS9_SE_NS0_5tupleIJPjSE_EEENSF_IJSE_SE_EEES9_SG_JZNS1_25segmented_radix_sort_implINS0_14default_configELb1EPKhPhPKlPlN2at6native12_GLOBAL__N_18offset_tEEE10hipError_tPvRmT1_PNSt15iterator_traitsISY_E10value_typeET2_T3_PNSZ_IS14_E10value_typeET4_jRbjT5_S1A_jjP12ihipStream_tbEUljE_EEESV_SW_SX_S14_S18_S1A_T6_T7_T9_mT8_S1C_bDpT10_ENKUlT_T0_E_clISt17integral_constantIbLb0EES1O_IbLb1EEEEDaS1K_S1L_EUlS1K_E_NS1_11comp_targetILNS1_3genE0ELNS1_11target_archE4294967295ELNS1_3gpuE0ELNS1_3repE0EEENS1_30default_config_static_selectorELNS0_4arch9wavefront6targetE0EEEvSY_.uses_vcc, 0
	.set _ZN7rocprim17ROCPRIM_400000_NS6detail17trampoline_kernelINS0_13select_configILj256ELj13ELNS0_17block_load_methodE3ELS4_3ELS4_3ELNS0_20block_scan_algorithmE0ELj4294967295EEENS1_25partition_config_selectorILNS1_17partition_subalgoE3EjNS0_10empty_typeEbEEZZNS1_14partition_implILS8_3ELb0ES6_jNS0_17counting_iteratorIjlEEPS9_SE_NS0_5tupleIJPjSE_EEENSF_IJSE_SE_EEES9_SG_JZNS1_25segmented_radix_sort_implINS0_14default_configELb1EPKhPhPKlPlN2at6native12_GLOBAL__N_18offset_tEEE10hipError_tPvRmT1_PNSt15iterator_traitsISY_E10value_typeET2_T3_PNSZ_IS14_E10value_typeET4_jRbjT5_S1A_jjP12ihipStream_tbEUljE_EEESV_SW_SX_S14_S18_S1A_T6_T7_T9_mT8_S1C_bDpT10_ENKUlT_T0_E_clISt17integral_constantIbLb0EES1O_IbLb1EEEEDaS1K_S1L_EUlS1K_E_NS1_11comp_targetILNS1_3genE0ELNS1_11target_archE4294967295ELNS1_3gpuE0ELNS1_3repE0EEENS1_30default_config_static_selectorELNS0_4arch9wavefront6targetE0EEEvSY_.uses_flat_scratch, 0
	.set _ZN7rocprim17ROCPRIM_400000_NS6detail17trampoline_kernelINS0_13select_configILj256ELj13ELNS0_17block_load_methodE3ELS4_3ELS4_3ELNS0_20block_scan_algorithmE0ELj4294967295EEENS1_25partition_config_selectorILNS1_17partition_subalgoE3EjNS0_10empty_typeEbEEZZNS1_14partition_implILS8_3ELb0ES6_jNS0_17counting_iteratorIjlEEPS9_SE_NS0_5tupleIJPjSE_EEENSF_IJSE_SE_EEES9_SG_JZNS1_25segmented_radix_sort_implINS0_14default_configELb1EPKhPhPKlPlN2at6native12_GLOBAL__N_18offset_tEEE10hipError_tPvRmT1_PNSt15iterator_traitsISY_E10value_typeET2_T3_PNSZ_IS14_E10value_typeET4_jRbjT5_S1A_jjP12ihipStream_tbEUljE_EEESV_SW_SX_S14_S18_S1A_T6_T7_T9_mT8_S1C_bDpT10_ENKUlT_T0_E_clISt17integral_constantIbLb0EES1O_IbLb1EEEEDaS1K_S1L_EUlS1K_E_NS1_11comp_targetILNS1_3genE0ELNS1_11target_archE4294967295ELNS1_3gpuE0ELNS1_3repE0EEENS1_30default_config_static_selectorELNS0_4arch9wavefront6targetE0EEEvSY_.has_dyn_sized_stack, 0
	.set _ZN7rocprim17ROCPRIM_400000_NS6detail17trampoline_kernelINS0_13select_configILj256ELj13ELNS0_17block_load_methodE3ELS4_3ELS4_3ELNS0_20block_scan_algorithmE0ELj4294967295EEENS1_25partition_config_selectorILNS1_17partition_subalgoE3EjNS0_10empty_typeEbEEZZNS1_14partition_implILS8_3ELb0ES6_jNS0_17counting_iteratorIjlEEPS9_SE_NS0_5tupleIJPjSE_EEENSF_IJSE_SE_EEES9_SG_JZNS1_25segmented_radix_sort_implINS0_14default_configELb1EPKhPhPKlPlN2at6native12_GLOBAL__N_18offset_tEEE10hipError_tPvRmT1_PNSt15iterator_traitsISY_E10value_typeET2_T3_PNSZ_IS14_E10value_typeET4_jRbjT5_S1A_jjP12ihipStream_tbEUljE_EEESV_SW_SX_S14_S18_S1A_T6_T7_T9_mT8_S1C_bDpT10_ENKUlT_T0_E_clISt17integral_constantIbLb0EES1O_IbLb1EEEEDaS1K_S1L_EUlS1K_E_NS1_11comp_targetILNS1_3genE0ELNS1_11target_archE4294967295ELNS1_3gpuE0ELNS1_3repE0EEENS1_30default_config_static_selectorELNS0_4arch9wavefront6targetE0EEEvSY_.has_recursion, 0
	.set _ZN7rocprim17ROCPRIM_400000_NS6detail17trampoline_kernelINS0_13select_configILj256ELj13ELNS0_17block_load_methodE3ELS4_3ELS4_3ELNS0_20block_scan_algorithmE0ELj4294967295EEENS1_25partition_config_selectorILNS1_17partition_subalgoE3EjNS0_10empty_typeEbEEZZNS1_14partition_implILS8_3ELb0ES6_jNS0_17counting_iteratorIjlEEPS9_SE_NS0_5tupleIJPjSE_EEENSF_IJSE_SE_EEES9_SG_JZNS1_25segmented_radix_sort_implINS0_14default_configELb1EPKhPhPKlPlN2at6native12_GLOBAL__N_18offset_tEEE10hipError_tPvRmT1_PNSt15iterator_traitsISY_E10value_typeET2_T3_PNSZ_IS14_E10value_typeET4_jRbjT5_S1A_jjP12ihipStream_tbEUljE_EEESV_SW_SX_S14_S18_S1A_T6_T7_T9_mT8_S1C_bDpT10_ENKUlT_T0_E_clISt17integral_constantIbLb0EES1O_IbLb1EEEEDaS1K_S1L_EUlS1K_E_NS1_11comp_targetILNS1_3genE0ELNS1_11target_archE4294967295ELNS1_3gpuE0ELNS1_3repE0EEENS1_30default_config_static_selectorELNS0_4arch9wavefront6targetE0EEEvSY_.has_indirect_call, 0
	.section	.AMDGPU.csdata,"",@progbits
; Kernel info:
; codeLenInByte = 0
; TotalNumSgprs: 0
; NumVgprs: 0
; ScratchSize: 0
; MemoryBound: 0
; FloatMode: 240
; IeeeMode: 1
; LDSByteSize: 0 bytes/workgroup (compile time only)
; SGPRBlocks: 0
; VGPRBlocks: 0
; NumSGPRsForWavesPerEU: 1
; NumVGPRsForWavesPerEU: 1
; Occupancy: 16
; WaveLimiterHint : 0
; COMPUTE_PGM_RSRC2:SCRATCH_EN: 0
; COMPUTE_PGM_RSRC2:USER_SGPR: 2
; COMPUTE_PGM_RSRC2:TRAP_HANDLER: 0
; COMPUTE_PGM_RSRC2:TGID_X_EN: 1
; COMPUTE_PGM_RSRC2:TGID_Y_EN: 0
; COMPUTE_PGM_RSRC2:TGID_Z_EN: 0
; COMPUTE_PGM_RSRC2:TIDIG_COMP_CNT: 0
	.section	.text._ZN7rocprim17ROCPRIM_400000_NS6detail17trampoline_kernelINS0_13select_configILj256ELj13ELNS0_17block_load_methodE3ELS4_3ELS4_3ELNS0_20block_scan_algorithmE0ELj4294967295EEENS1_25partition_config_selectorILNS1_17partition_subalgoE3EjNS0_10empty_typeEbEEZZNS1_14partition_implILS8_3ELb0ES6_jNS0_17counting_iteratorIjlEEPS9_SE_NS0_5tupleIJPjSE_EEENSF_IJSE_SE_EEES9_SG_JZNS1_25segmented_radix_sort_implINS0_14default_configELb1EPKhPhPKlPlN2at6native12_GLOBAL__N_18offset_tEEE10hipError_tPvRmT1_PNSt15iterator_traitsISY_E10value_typeET2_T3_PNSZ_IS14_E10value_typeET4_jRbjT5_S1A_jjP12ihipStream_tbEUljE_EEESV_SW_SX_S14_S18_S1A_T6_T7_T9_mT8_S1C_bDpT10_ENKUlT_T0_E_clISt17integral_constantIbLb0EES1O_IbLb1EEEEDaS1K_S1L_EUlS1K_E_NS1_11comp_targetILNS1_3genE5ELNS1_11target_archE942ELNS1_3gpuE9ELNS1_3repE0EEENS1_30default_config_static_selectorELNS0_4arch9wavefront6targetE0EEEvSY_,"axG",@progbits,_ZN7rocprim17ROCPRIM_400000_NS6detail17trampoline_kernelINS0_13select_configILj256ELj13ELNS0_17block_load_methodE3ELS4_3ELS4_3ELNS0_20block_scan_algorithmE0ELj4294967295EEENS1_25partition_config_selectorILNS1_17partition_subalgoE3EjNS0_10empty_typeEbEEZZNS1_14partition_implILS8_3ELb0ES6_jNS0_17counting_iteratorIjlEEPS9_SE_NS0_5tupleIJPjSE_EEENSF_IJSE_SE_EEES9_SG_JZNS1_25segmented_radix_sort_implINS0_14default_configELb1EPKhPhPKlPlN2at6native12_GLOBAL__N_18offset_tEEE10hipError_tPvRmT1_PNSt15iterator_traitsISY_E10value_typeET2_T3_PNSZ_IS14_E10value_typeET4_jRbjT5_S1A_jjP12ihipStream_tbEUljE_EEESV_SW_SX_S14_S18_S1A_T6_T7_T9_mT8_S1C_bDpT10_ENKUlT_T0_E_clISt17integral_constantIbLb0EES1O_IbLb1EEEEDaS1K_S1L_EUlS1K_E_NS1_11comp_targetILNS1_3genE5ELNS1_11target_archE942ELNS1_3gpuE9ELNS1_3repE0EEENS1_30default_config_static_selectorELNS0_4arch9wavefront6targetE0EEEvSY_,comdat
	.globl	_ZN7rocprim17ROCPRIM_400000_NS6detail17trampoline_kernelINS0_13select_configILj256ELj13ELNS0_17block_load_methodE3ELS4_3ELS4_3ELNS0_20block_scan_algorithmE0ELj4294967295EEENS1_25partition_config_selectorILNS1_17partition_subalgoE3EjNS0_10empty_typeEbEEZZNS1_14partition_implILS8_3ELb0ES6_jNS0_17counting_iteratorIjlEEPS9_SE_NS0_5tupleIJPjSE_EEENSF_IJSE_SE_EEES9_SG_JZNS1_25segmented_radix_sort_implINS0_14default_configELb1EPKhPhPKlPlN2at6native12_GLOBAL__N_18offset_tEEE10hipError_tPvRmT1_PNSt15iterator_traitsISY_E10value_typeET2_T3_PNSZ_IS14_E10value_typeET4_jRbjT5_S1A_jjP12ihipStream_tbEUljE_EEESV_SW_SX_S14_S18_S1A_T6_T7_T9_mT8_S1C_bDpT10_ENKUlT_T0_E_clISt17integral_constantIbLb0EES1O_IbLb1EEEEDaS1K_S1L_EUlS1K_E_NS1_11comp_targetILNS1_3genE5ELNS1_11target_archE942ELNS1_3gpuE9ELNS1_3repE0EEENS1_30default_config_static_selectorELNS0_4arch9wavefront6targetE0EEEvSY_ ; -- Begin function _ZN7rocprim17ROCPRIM_400000_NS6detail17trampoline_kernelINS0_13select_configILj256ELj13ELNS0_17block_load_methodE3ELS4_3ELS4_3ELNS0_20block_scan_algorithmE0ELj4294967295EEENS1_25partition_config_selectorILNS1_17partition_subalgoE3EjNS0_10empty_typeEbEEZZNS1_14partition_implILS8_3ELb0ES6_jNS0_17counting_iteratorIjlEEPS9_SE_NS0_5tupleIJPjSE_EEENSF_IJSE_SE_EEES9_SG_JZNS1_25segmented_radix_sort_implINS0_14default_configELb1EPKhPhPKlPlN2at6native12_GLOBAL__N_18offset_tEEE10hipError_tPvRmT1_PNSt15iterator_traitsISY_E10value_typeET2_T3_PNSZ_IS14_E10value_typeET4_jRbjT5_S1A_jjP12ihipStream_tbEUljE_EEESV_SW_SX_S14_S18_S1A_T6_T7_T9_mT8_S1C_bDpT10_ENKUlT_T0_E_clISt17integral_constantIbLb0EES1O_IbLb1EEEEDaS1K_S1L_EUlS1K_E_NS1_11comp_targetILNS1_3genE5ELNS1_11target_archE942ELNS1_3gpuE9ELNS1_3repE0EEENS1_30default_config_static_selectorELNS0_4arch9wavefront6targetE0EEEvSY_
	.p2align	8
	.type	_ZN7rocprim17ROCPRIM_400000_NS6detail17trampoline_kernelINS0_13select_configILj256ELj13ELNS0_17block_load_methodE3ELS4_3ELS4_3ELNS0_20block_scan_algorithmE0ELj4294967295EEENS1_25partition_config_selectorILNS1_17partition_subalgoE3EjNS0_10empty_typeEbEEZZNS1_14partition_implILS8_3ELb0ES6_jNS0_17counting_iteratorIjlEEPS9_SE_NS0_5tupleIJPjSE_EEENSF_IJSE_SE_EEES9_SG_JZNS1_25segmented_radix_sort_implINS0_14default_configELb1EPKhPhPKlPlN2at6native12_GLOBAL__N_18offset_tEEE10hipError_tPvRmT1_PNSt15iterator_traitsISY_E10value_typeET2_T3_PNSZ_IS14_E10value_typeET4_jRbjT5_S1A_jjP12ihipStream_tbEUljE_EEESV_SW_SX_S14_S18_S1A_T6_T7_T9_mT8_S1C_bDpT10_ENKUlT_T0_E_clISt17integral_constantIbLb0EES1O_IbLb1EEEEDaS1K_S1L_EUlS1K_E_NS1_11comp_targetILNS1_3genE5ELNS1_11target_archE942ELNS1_3gpuE9ELNS1_3repE0EEENS1_30default_config_static_selectorELNS0_4arch9wavefront6targetE0EEEvSY_,@function
_ZN7rocprim17ROCPRIM_400000_NS6detail17trampoline_kernelINS0_13select_configILj256ELj13ELNS0_17block_load_methodE3ELS4_3ELS4_3ELNS0_20block_scan_algorithmE0ELj4294967295EEENS1_25partition_config_selectorILNS1_17partition_subalgoE3EjNS0_10empty_typeEbEEZZNS1_14partition_implILS8_3ELb0ES6_jNS0_17counting_iteratorIjlEEPS9_SE_NS0_5tupleIJPjSE_EEENSF_IJSE_SE_EEES9_SG_JZNS1_25segmented_radix_sort_implINS0_14default_configELb1EPKhPhPKlPlN2at6native12_GLOBAL__N_18offset_tEEE10hipError_tPvRmT1_PNSt15iterator_traitsISY_E10value_typeET2_T3_PNSZ_IS14_E10value_typeET4_jRbjT5_S1A_jjP12ihipStream_tbEUljE_EEESV_SW_SX_S14_S18_S1A_T6_T7_T9_mT8_S1C_bDpT10_ENKUlT_T0_E_clISt17integral_constantIbLb0EES1O_IbLb1EEEEDaS1K_S1L_EUlS1K_E_NS1_11comp_targetILNS1_3genE5ELNS1_11target_archE942ELNS1_3gpuE9ELNS1_3repE0EEENS1_30default_config_static_selectorELNS0_4arch9wavefront6targetE0EEEvSY_: ; @_ZN7rocprim17ROCPRIM_400000_NS6detail17trampoline_kernelINS0_13select_configILj256ELj13ELNS0_17block_load_methodE3ELS4_3ELS4_3ELNS0_20block_scan_algorithmE0ELj4294967295EEENS1_25partition_config_selectorILNS1_17partition_subalgoE3EjNS0_10empty_typeEbEEZZNS1_14partition_implILS8_3ELb0ES6_jNS0_17counting_iteratorIjlEEPS9_SE_NS0_5tupleIJPjSE_EEENSF_IJSE_SE_EEES9_SG_JZNS1_25segmented_radix_sort_implINS0_14default_configELb1EPKhPhPKlPlN2at6native12_GLOBAL__N_18offset_tEEE10hipError_tPvRmT1_PNSt15iterator_traitsISY_E10value_typeET2_T3_PNSZ_IS14_E10value_typeET4_jRbjT5_S1A_jjP12ihipStream_tbEUljE_EEESV_SW_SX_S14_S18_S1A_T6_T7_T9_mT8_S1C_bDpT10_ENKUlT_T0_E_clISt17integral_constantIbLb0EES1O_IbLb1EEEEDaS1K_S1L_EUlS1K_E_NS1_11comp_targetILNS1_3genE5ELNS1_11target_archE942ELNS1_3gpuE9ELNS1_3repE0EEENS1_30default_config_static_selectorELNS0_4arch9wavefront6targetE0EEEvSY_
; %bb.0:
	.section	.rodata,"a",@progbits
	.p2align	6, 0x0
	.amdhsa_kernel _ZN7rocprim17ROCPRIM_400000_NS6detail17trampoline_kernelINS0_13select_configILj256ELj13ELNS0_17block_load_methodE3ELS4_3ELS4_3ELNS0_20block_scan_algorithmE0ELj4294967295EEENS1_25partition_config_selectorILNS1_17partition_subalgoE3EjNS0_10empty_typeEbEEZZNS1_14partition_implILS8_3ELb0ES6_jNS0_17counting_iteratorIjlEEPS9_SE_NS0_5tupleIJPjSE_EEENSF_IJSE_SE_EEES9_SG_JZNS1_25segmented_radix_sort_implINS0_14default_configELb1EPKhPhPKlPlN2at6native12_GLOBAL__N_18offset_tEEE10hipError_tPvRmT1_PNSt15iterator_traitsISY_E10value_typeET2_T3_PNSZ_IS14_E10value_typeET4_jRbjT5_S1A_jjP12ihipStream_tbEUljE_EEESV_SW_SX_S14_S18_S1A_T6_T7_T9_mT8_S1C_bDpT10_ENKUlT_T0_E_clISt17integral_constantIbLb0EES1O_IbLb1EEEEDaS1K_S1L_EUlS1K_E_NS1_11comp_targetILNS1_3genE5ELNS1_11target_archE942ELNS1_3gpuE9ELNS1_3repE0EEENS1_30default_config_static_selectorELNS0_4arch9wavefront6targetE0EEEvSY_
		.amdhsa_group_segment_fixed_size 0
		.amdhsa_private_segment_fixed_size 0
		.amdhsa_kernarg_size 152
		.amdhsa_user_sgpr_count 2
		.amdhsa_user_sgpr_dispatch_ptr 0
		.amdhsa_user_sgpr_queue_ptr 0
		.amdhsa_user_sgpr_kernarg_segment_ptr 1
		.amdhsa_user_sgpr_dispatch_id 0
		.amdhsa_user_sgpr_private_segment_size 0
		.amdhsa_wavefront_size32 1
		.amdhsa_uses_dynamic_stack 0
		.amdhsa_enable_private_segment 0
		.amdhsa_system_sgpr_workgroup_id_x 1
		.amdhsa_system_sgpr_workgroup_id_y 0
		.amdhsa_system_sgpr_workgroup_id_z 0
		.amdhsa_system_sgpr_workgroup_info 0
		.amdhsa_system_vgpr_workitem_id 0
		.amdhsa_next_free_vgpr 1
		.amdhsa_next_free_sgpr 1
		.amdhsa_reserve_vcc 0
		.amdhsa_float_round_mode_32 0
		.amdhsa_float_round_mode_16_64 0
		.amdhsa_float_denorm_mode_32 3
		.amdhsa_float_denorm_mode_16_64 3
		.amdhsa_fp16_overflow 0
		.amdhsa_workgroup_processor_mode 1
		.amdhsa_memory_ordered 1
		.amdhsa_forward_progress 1
		.amdhsa_inst_pref_size 0
		.amdhsa_round_robin_scheduling 0
		.amdhsa_exception_fp_ieee_invalid_op 0
		.amdhsa_exception_fp_denorm_src 0
		.amdhsa_exception_fp_ieee_div_zero 0
		.amdhsa_exception_fp_ieee_overflow 0
		.amdhsa_exception_fp_ieee_underflow 0
		.amdhsa_exception_fp_ieee_inexact 0
		.amdhsa_exception_int_div_zero 0
	.end_amdhsa_kernel
	.section	.text._ZN7rocprim17ROCPRIM_400000_NS6detail17trampoline_kernelINS0_13select_configILj256ELj13ELNS0_17block_load_methodE3ELS4_3ELS4_3ELNS0_20block_scan_algorithmE0ELj4294967295EEENS1_25partition_config_selectorILNS1_17partition_subalgoE3EjNS0_10empty_typeEbEEZZNS1_14partition_implILS8_3ELb0ES6_jNS0_17counting_iteratorIjlEEPS9_SE_NS0_5tupleIJPjSE_EEENSF_IJSE_SE_EEES9_SG_JZNS1_25segmented_radix_sort_implINS0_14default_configELb1EPKhPhPKlPlN2at6native12_GLOBAL__N_18offset_tEEE10hipError_tPvRmT1_PNSt15iterator_traitsISY_E10value_typeET2_T3_PNSZ_IS14_E10value_typeET4_jRbjT5_S1A_jjP12ihipStream_tbEUljE_EEESV_SW_SX_S14_S18_S1A_T6_T7_T9_mT8_S1C_bDpT10_ENKUlT_T0_E_clISt17integral_constantIbLb0EES1O_IbLb1EEEEDaS1K_S1L_EUlS1K_E_NS1_11comp_targetILNS1_3genE5ELNS1_11target_archE942ELNS1_3gpuE9ELNS1_3repE0EEENS1_30default_config_static_selectorELNS0_4arch9wavefront6targetE0EEEvSY_,"axG",@progbits,_ZN7rocprim17ROCPRIM_400000_NS6detail17trampoline_kernelINS0_13select_configILj256ELj13ELNS0_17block_load_methodE3ELS4_3ELS4_3ELNS0_20block_scan_algorithmE0ELj4294967295EEENS1_25partition_config_selectorILNS1_17partition_subalgoE3EjNS0_10empty_typeEbEEZZNS1_14partition_implILS8_3ELb0ES6_jNS0_17counting_iteratorIjlEEPS9_SE_NS0_5tupleIJPjSE_EEENSF_IJSE_SE_EEES9_SG_JZNS1_25segmented_radix_sort_implINS0_14default_configELb1EPKhPhPKlPlN2at6native12_GLOBAL__N_18offset_tEEE10hipError_tPvRmT1_PNSt15iterator_traitsISY_E10value_typeET2_T3_PNSZ_IS14_E10value_typeET4_jRbjT5_S1A_jjP12ihipStream_tbEUljE_EEESV_SW_SX_S14_S18_S1A_T6_T7_T9_mT8_S1C_bDpT10_ENKUlT_T0_E_clISt17integral_constantIbLb0EES1O_IbLb1EEEEDaS1K_S1L_EUlS1K_E_NS1_11comp_targetILNS1_3genE5ELNS1_11target_archE942ELNS1_3gpuE9ELNS1_3repE0EEENS1_30default_config_static_selectorELNS0_4arch9wavefront6targetE0EEEvSY_,comdat
.Lfunc_end76:
	.size	_ZN7rocprim17ROCPRIM_400000_NS6detail17trampoline_kernelINS0_13select_configILj256ELj13ELNS0_17block_load_methodE3ELS4_3ELS4_3ELNS0_20block_scan_algorithmE0ELj4294967295EEENS1_25partition_config_selectorILNS1_17partition_subalgoE3EjNS0_10empty_typeEbEEZZNS1_14partition_implILS8_3ELb0ES6_jNS0_17counting_iteratorIjlEEPS9_SE_NS0_5tupleIJPjSE_EEENSF_IJSE_SE_EEES9_SG_JZNS1_25segmented_radix_sort_implINS0_14default_configELb1EPKhPhPKlPlN2at6native12_GLOBAL__N_18offset_tEEE10hipError_tPvRmT1_PNSt15iterator_traitsISY_E10value_typeET2_T3_PNSZ_IS14_E10value_typeET4_jRbjT5_S1A_jjP12ihipStream_tbEUljE_EEESV_SW_SX_S14_S18_S1A_T6_T7_T9_mT8_S1C_bDpT10_ENKUlT_T0_E_clISt17integral_constantIbLb0EES1O_IbLb1EEEEDaS1K_S1L_EUlS1K_E_NS1_11comp_targetILNS1_3genE5ELNS1_11target_archE942ELNS1_3gpuE9ELNS1_3repE0EEENS1_30default_config_static_selectorELNS0_4arch9wavefront6targetE0EEEvSY_, .Lfunc_end76-_ZN7rocprim17ROCPRIM_400000_NS6detail17trampoline_kernelINS0_13select_configILj256ELj13ELNS0_17block_load_methodE3ELS4_3ELS4_3ELNS0_20block_scan_algorithmE0ELj4294967295EEENS1_25partition_config_selectorILNS1_17partition_subalgoE3EjNS0_10empty_typeEbEEZZNS1_14partition_implILS8_3ELb0ES6_jNS0_17counting_iteratorIjlEEPS9_SE_NS0_5tupleIJPjSE_EEENSF_IJSE_SE_EEES9_SG_JZNS1_25segmented_radix_sort_implINS0_14default_configELb1EPKhPhPKlPlN2at6native12_GLOBAL__N_18offset_tEEE10hipError_tPvRmT1_PNSt15iterator_traitsISY_E10value_typeET2_T3_PNSZ_IS14_E10value_typeET4_jRbjT5_S1A_jjP12ihipStream_tbEUljE_EEESV_SW_SX_S14_S18_S1A_T6_T7_T9_mT8_S1C_bDpT10_ENKUlT_T0_E_clISt17integral_constantIbLb0EES1O_IbLb1EEEEDaS1K_S1L_EUlS1K_E_NS1_11comp_targetILNS1_3genE5ELNS1_11target_archE942ELNS1_3gpuE9ELNS1_3repE0EEENS1_30default_config_static_selectorELNS0_4arch9wavefront6targetE0EEEvSY_
                                        ; -- End function
	.set _ZN7rocprim17ROCPRIM_400000_NS6detail17trampoline_kernelINS0_13select_configILj256ELj13ELNS0_17block_load_methodE3ELS4_3ELS4_3ELNS0_20block_scan_algorithmE0ELj4294967295EEENS1_25partition_config_selectorILNS1_17partition_subalgoE3EjNS0_10empty_typeEbEEZZNS1_14partition_implILS8_3ELb0ES6_jNS0_17counting_iteratorIjlEEPS9_SE_NS0_5tupleIJPjSE_EEENSF_IJSE_SE_EEES9_SG_JZNS1_25segmented_radix_sort_implINS0_14default_configELb1EPKhPhPKlPlN2at6native12_GLOBAL__N_18offset_tEEE10hipError_tPvRmT1_PNSt15iterator_traitsISY_E10value_typeET2_T3_PNSZ_IS14_E10value_typeET4_jRbjT5_S1A_jjP12ihipStream_tbEUljE_EEESV_SW_SX_S14_S18_S1A_T6_T7_T9_mT8_S1C_bDpT10_ENKUlT_T0_E_clISt17integral_constantIbLb0EES1O_IbLb1EEEEDaS1K_S1L_EUlS1K_E_NS1_11comp_targetILNS1_3genE5ELNS1_11target_archE942ELNS1_3gpuE9ELNS1_3repE0EEENS1_30default_config_static_selectorELNS0_4arch9wavefront6targetE0EEEvSY_.num_vgpr, 0
	.set _ZN7rocprim17ROCPRIM_400000_NS6detail17trampoline_kernelINS0_13select_configILj256ELj13ELNS0_17block_load_methodE3ELS4_3ELS4_3ELNS0_20block_scan_algorithmE0ELj4294967295EEENS1_25partition_config_selectorILNS1_17partition_subalgoE3EjNS0_10empty_typeEbEEZZNS1_14partition_implILS8_3ELb0ES6_jNS0_17counting_iteratorIjlEEPS9_SE_NS0_5tupleIJPjSE_EEENSF_IJSE_SE_EEES9_SG_JZNS1_25segmented_radix_sort_implINS0_14default_configELb1EPKhPhPKlPlN2at6native12_GLOBAL__N_18offset_tEEE10hipError_tPvRmT1_PNSt15iterator_traitsISY_E10value_typeET2_T3_PNSZ_IS14_E10value_typeET4_jRbjT5_S1A_jjP12ihipStream_tbEUljE_EEESV_SW_SX_S14_S18_S1A_T6_T7_T9_mT8_S1C_bDpT10_ENKUlT_T0_E_clISt17integral_constantIbLb0EES1O_IbLb1EEEEDaS1K_S1L_EUlS1K_E_NS1_11comp_targetILNS1_3genE5ELNS1_11target_archE942ELNS1_3gpuE9ELNS1_3repE0EEENS1_30default_config_static_selectorELNS0_4arch9wavefront6targetE0EEEvSY_.num_agpr, 0
	.set _ZN7rocprim17ROCPRIM_400000_NS6detail17trampoline_kernelINS0_13select_configILj256ELj13ELNS0_17block_load_methodE3ELS4_3ELS4_3ELNS0_20block_scan_algorithmE0ELj4294967295EEENS1_25partition_config_selectorILNS1_17partition_subalgoE3EjNS0_10empty_typeEbEEZZNS1_14partition_implILS8_3ELb0ES6_jNS0_17counting_iteratorIjlEEPS9_SE_NS0_5tupleIJPjSE_EEENSF_IJSE_SE_EEES9_SG_JZNS1_25segmented_radix_sort_implINS0_14default_configELb1EPKhPhPKlPlN2at6native12_GLOBAL__N_18offset_tEEE10hipError_tPvRmT1_PNSt15iterator_traitsISY_E10value_typeET2_T3_PNSZ_IS14_E10value_typeET4_jRbjT5_S1A_jjP12ihipStream_tbEUljE_EEESV_SW_SX_S14_S18_S1A_T6_T7_T9_mT8_S1C_bDpT10_ENKUlT_T0_E_clISt17integral_constantIbLb0EES1O_IbLb1EEEEDaS1K_S1L_EUlS1K_E_NS1_11comp_targetILNS1_3genE5ELNS1_11target_archE942ELNS1_3gpuE9ELNS1_3repE0EEENS1_30default_config_static_selectorELNS0_4arch9wavefront6targetE0EEEvSY_.numbered_sgpr, 0
	.set _ZN7rocprim17ROCPRIM_400000_NS6detail17trampoline_kernelINS0_13select_configILj256ELj13ELNS0_17block_load_methodE3ELS4_3ELS4_3ELNS0_20block_scan_algorithmE0ELj4294967295EEENS1_25partition_config_selectorILNS1_17partition_subalgoE3EjNS0_10empty_typeEbEEZZNS1_14partition_implILS8_3ELb0ES6_jNS0_17counting_iteratorIjlEEPS9_SE_NS0_5tupleIJPjSE_EEENSF_IJSE_SE_EEES9_SG_JZNS1_25segmented_radix_sort_implINS0_14default_configELb1EPKhPhPKlPlN2at6native12_GLOBAL__N_18offset_tEEE10hipError_tPvRmT1_PNSt15iterator_traitsISY_E10value_typeET2_T3_PNSZ_IS14_E10value_typeET4_jRbjT5_S1A_jjP12ihipStream_tbEUljE_EEESV_SW_SX_S14_S18_S1A_T6_T7_T9_mT8_S1C_bDpT10_ENKUlT_T0_E_clISt17integral_constantIbLb0EES1O_IbLb1EEEEDaS1K_S1L_EUlS1K_E_NS1_11comp_targetILNS1_3genE5ELNS1_11target_archE942ELNS1_3gpuE9ELNS1_3repE0EEENS1_30default_config_static_selectorELNS0_4arch9wavefront6targetE0EEEvSY_.num_named_barrier, 0
	.set _ZN7rocprim17ROCPRIM_400000_NS6detail17trampoline_kernelINS0_13select_configILj256ELj13ELNS0_17block_load_methodE3ELS4_3ELS4_3ELNS0_20block_scan_algorithmE0ELj4294967295EEENS1_25partition_config_selectorILNS1_17partition_subalgoE3EjNS0_10empty_typeEbEEZZNS1_14partition_implILS8_3ELb0ES6_jNS0_17counting_iteratorIjlEEPS9_SE_NS0_5tupleIJPjSE_EEENSF_IJSE_SE_EEES9_SG_JZNS1_25segmented_radix_sort_implINS0_14default_configELb1EPKhPhPKlPlN2at6native12_GLOBAL__N_18offset_tEEE10hipError_tPvRmT1_PNSt15iterator_traitsISY_E10value_typeET2_T3_PNSZ_IS14_E10value_typeET4_jRbjT5_S1A_jjP12ihipStream_tbEUljE_EEESV_SW_SX_S14_S18_S1A_T6_T7_T9_mT8_S1C_bDpT10_ENKUlT_T0_E_clISt17integral_constantIbLb0EES1O_IbLb1EEEEDaS1K_S1L_EUlS1K_E_NS1_11comp_targetILNS1_3genE5ELNS1_11target_archE942ELNS1_3gpuE9ELNS1_3repE0EEENS1_30default_config_static_selectorELNS0_4arch9wavefront6targetE0EEEvSY_.private_seg_size, 0
	.set _ZN7rocprim17ROCPRIM_400000_NS6detail17trampoline_kernelINS0_13select_configILj256ELj13ELNS0_17block_load_methodE3ELS4_3ELS4_3ELNS0_20block_scan_algorithmE0ELj4294967295EEENS1_25partition_config_selectorILNS1_17partition_subalgoE3EjNS0_10empty_typeEbEEZZNS1_14partition_implILS8_3ELb0ES6_jNS0_17counting_iteratorIjlEEPS9_SE_NS0_5tupleIJPjSE_EEENSF_IJSE_SE_EEES9_SG_JZNS1_25segmented_radix_sort_implINS0_14default_configELb1EPKhPhPKlPlN2at6native12_GLOBAL__N_18offset_tEEE10hipError_tPvRmT1_PNSt15iterator_traitsISY_E10value_typeET2_T3_PNSZ_IS14_E10value_typeET4_jRbjT5_S1A_jjP12ihipStream_tbEUljE_EEESV_SW_SX_S14_S18_S1A_T6_T7_T9_mT8_S1C_bDpT10_ENKUlT_T0_E_clISt17integral_constantIbLb0EES1O_IbLb1EEEEDaS1K_S1L_EUlS1K_E_NS1_11comp_targetILNS1_3genE5ELNS1_11target_archE942ELNS1_3gpuE9ELNS1_3repE0EEENS1_30default_config_static_selectorELNS0_4arch9wavefront6targetE0EEEvSY_.uses_vcc, 0
	.set _ZN7rocprim17ROCPRIM_400000_NS6detail17trampoline_kernelINS0_13select_configILj256ELj13ELNS0_17block_load_methodE3ELS4_3ELS4_3ELNS0_20block_scan_algorithmE0ELj4294967295EEENS1_25partition_config_selectorILNS1_17partition_subalgoE3EjNS0_10empty_typeEbEEZZNS1_14partition_implILS8_3ELb0ES6_jNS0_17counting_iteratorIjlEEPS9_SE_NS0_5tupleIJPjSE_EEENSF_IJSE_SE_EEES9_SG_JZNS1_25segmented_radix_sort_implINS0_14default_configELb1EPKhPhPKlPlN2at6native12_GLOBAL__N_18offset_tEEE10hipError_tPvRmT1_PNSt15iterator_traitsISY_E10value_typeET2_T3_PNSZ_IS14_E10value_typeET4_jRbjT5_S1A_jjP12ihipStream_tbEUljE_EEESV_SW_SX_S14_S18_S1A_T6_T7_T9_mT8_S1C_bDpT10_ENKUlT_T0_E_clISt17integral_constantIbLb0EES1O_IbLb1EEEEDaS1K_S1L_EUlS1K_E_NS1_11comp_targetILNS1_3genE5ELNS1_11target_archE942ELNS1_3gpuE9ELNS1_3repE0EEENS1_30default_config_static_selectorELNS0_4arch9wavefront6targetE0EEEvSY_.uses_flat_scratch, 0
	.set _ZN7rocprim17ROCPRIM_400000_NS6detail17trampoline_kernelINS0_13select_configILj256ELj13ELNS0_17block_load_methodE3ELS4_3ELS4_3ELNS0_20block_scan_algorithmE0ELj4294967295EEENS1_25partition_config_selectorILNS1_17partition_subalgoE3EjNS0_10empty_typeEbEEZZNS1_14partition_implILS8_3ELb0ES6_jNS0_17counting_iteratorIjlEEPS9_SE_NS0_5tupleIJPjSE_EEENSF_IJSE_SE_EEES9_SG_JZNS1_25segmented_radix_sort_implINS0_14default_configELb1EPKhPhPKlPlN2at6native12_GLOBAL__N_18offset_tEEE10hipError_tPvRmT1_PNSt15iterator_traitsISY_E10value_typeET2_T3_PNSZ_IS14_E10value_typeET4_jRbjT5_S1A_jjP12ihipStream_tbEUljE_EEESV_SW_SX_S14_S18_S1A_T6_T7_T9_mT8_S1C_bDpT10_ENKUlT_T0_E_clISt17integral_constantIbLb0EES1O_IbLb1EEEEDaS1K_S1L_EUlS1K_E_NS1_11comp_targetILNS1_3genE5ELNS1_11target_archE942ELNS1_3gpuE9ELNS1_3repE0EEENS1_30default_config_static_selectorELNS0_4arch9wavefront6targetE0EEEvSY_.has_dyn_sized_stack, 0
	.set _ZN7rocprim17ROCPRIM_400000_NS6detail17trampoline_kernelINS0_13select_configILj256ELj13ELNS0_17block_load_methodE3ELS4_3ELS4_3ELNS0_20block_scan_algorithmE0ELj4294967295EEENS1_25partition_config_selectorILNS1_17partition_subalgoE3EjNS0_10empty_typeEbEEZZNS1_14partition_implILS8_3ELb0ES6_jNS0_17counting_iteratorIjlEEPS9_SE_NS0_5tupleIJPjSE_EEENSF_IJSE_SE_EEES9_SG_JZNS1_25segmented_radix_sort_implINS0_14default_configELb1EPKhPhPKlPlN2at6native12_GLOBAL__N_18offset_tEEE10hipError_tPvRmT1_PNSt15iterator_traitsISY_E10value_typeET2_T3_PNSZ_IS14_E10value_typeET4_jRbjT5_S1A_jjP12ihipStream_tbEUljE_EEESV_SW_SX_S14_S18_S1A_T6_T7_T9_mT8_S1C_bDpT10_ENKUlT_T0_E_clISt17integral_constantIbLb0EES1O_IbLb1EEEEDaS1K_S1L_EUlS1K_E_NS1_11comp_targetILNS1_3genE5ELNS1_11target_archE942ELNS1_3gpuE9ELNS1_3repE0EEENS1_30default_config_static_selectorELNS0_4arch9wavefront6targetE0EEEvSY_.has_recursion, 0
	.set _ZN7rocprim17ROCPRIM_400000_NS6detail17trampoline_kernelINS0_13select_configILj256ELj13ELNS0_17block_load_methodE3ELS4_3ELS4_3ELNS0_20block_scan_algorithmE0ELj4294967295EEENS1_25partition_config_selectorILNS1_17partition_subalgoE3EjNS0_10empty_typeEbEEZZNS1_14partition_implILS8_3ELb0ES6_jNS0_17counting_iteratorIjlEEPS9_SE_NS0_5tupleIJPjSE_EEENSF_IJSE_SE_EEES9_SG_JZNS1_25segmented_radix_sort_implINS0_14default_configELb1EPKhPhPKlPlN2at6native12_GLOBAL__N_18offset_tEEE10hipError_tPvRmT1_PNSt15iterator_traitsISY_E10value_typeET2_T3_PNSZ_IS14_E10value_typeET4_jRbjT5_S1A_jjP12ihipStream_tbEUljE_EEESV_SW_SX_S14_S18_S1A_T6_T7_T9_mT8_S1C_bDpT10_ENKUlT_T0_E_clISt17integral_constantIbLb0EES1O_IbLb1EEEEDaS1K_S1L_EUlS1K_E_NS1_11comp_targetILNS1_3genE5ELNS1_11target_archE942ELNS1_3gpuE9ELNS1_3repE0EEENS1_30default_config_static_selectorELNS0_4arch9wavefront6targetE0EEEvSY_.has_indirect_call, 0
	.section	.AMDGPU.csdata,"",@progbits
; Kernel info:
; codeLenInByte = 0
; TotalNumSgprs: 0
; NumVgprs: 0
; ScratchSize: 0
; MemoryBound: 0
; FloatMode: 240
; IeeeMode: 1
; LDSByteSize: 0 bytes/workgroup (compile time only)
; SGPRBlocks: 0
; VGPRBlocks: 0
; NumSGPRsForWavesPerEU: 1
; NumVGPRsForWavesPerEU: 1
; Occupancy: 16
; WaveLimiterHint : 0
; COMPUTE_PGM_RSRC2:SCRATCH_EN: 0
; COMPUTE_PGM_RSRC2:USER_SGPR: 2
; COMPUTE_PGM_RSRC2:TRAP_HANDLER: 0
; COMPUTE_PGM_RSRC2:TGID_X_EN: 1
; COMPUTE_PGM_RSRC2:TGID_Y_EN: 0
; COMPUTE_PGM_RSRC2:TGID_Z_EN: 0
; COMPUTE_PGM_RSRC2:TIDIG_COMP_CNT: 0
	.section	.text._ZN7rocprim17ROCPRIM_400000_NS6detail17trampoline_kernelINS0_13select_configILj256ELj13ELNS0_17block_load_methodE3ELS4_3ELS4_3ELNS0_20block_scan_algorithmE0ELj4294967295EEENS1_25partition_config_selectorILNS1_17partition_subalgoE3EjNS0_10empty_typeEbEEZZNS1_14partition_implILS8_3ELb0ES6_jNS0_17counting_iteratorIjlEEPS9_SE_NS0_5tupleIJPjSE_EEENSF_IJSE_SE_EEES9_SG_JZNS1_25segmented_radix_sort_implINS0_14default_configELb1EPKhPhPKlPlN2at6native12_GLOBAL__N_18offset_tEEE10hipError_tPvRmT1_PNSt15iterator_traitsISY_E10value_typeET2_T3_PNSZ_IS14_E10value_typeET4_jRbjT5_S1A_jjP12ihipStream_tbEUljE_EEESV_SW_SX_S14_S18_S1A_T6_T7_T9_mT8_S1C_bDpT10_ENKUlT_T0_E_clISt17integral_constantIbLb0EES1O_IbLb1EEEEDaS1K_S1L_EUlS1K_E_NS1_11comp_targetILNS1_3genE4ELNS1_11target_archE910ELNS1_3gpuE8ELNS1_3repE0EEENS1_30default_config_static_selectorELNS0_4arch9wavefront6targetE0EEEvSY_,"axG",@progbits,_ZN7rocprim17ROCPRIM_400000_NS6detail17trampoline_kernelINS0_13select_configILj256ELj13ELNS0_17block_load_methodE3ELS4_3ELS4_3ELNS0_20block_scan_algorithmE0ELj4294967295EEENS1_25partition_config_selectorILNS1_17partition_subalgoE3EjNS0_10empty_typeEbEEZZNS1_14partition_implILS8_3ELb0ES6_jNS0_17counting_iteratorIjlEEPS9_SE_NS0_5tupleIJPjSE_EEENSF_IJSE_SE_EEES9_SG_JZNS1_25segmented_radix_sort_implINS0_14default_configELb1EPKhPhPKlPlN2at6native12_GLOBAL__N_18offset_tEEE10hipError_tPvRmT1_PNSt15iterator_traitsISY_E10value_typeET2_T3_PNSZ_IS14_E10value_typeET4_jRbjT5_S1A_jjP12ihipStream_tbEUljE_EEESV_SW_SX_S14_S18_S1A_T6_T7_T9_mT8_S1C_bDpT10_ENKUlT_T0_E_clISt17integral_constantIbLb0EES1O_IbLb1EEEEDaS1K_S1L_EUlS1K_E_NS1_11comp_targetILNS1_3genE4ELNS1_11target_archE910ELNS1_3gpuE8ELNS1_3repE0EEENS1_30default_config_static_selectorELNS0_4arch9wavefront6targetE0EEEvSY_,comdat
	.globl	_ZN7rocprim17ROCPRIM_400000_NS6detail17trampoline_kernelINS0_13select_configILj256ELj13ELNS0_17block_load_methodE3ELS4_3ELS4_3ELNS0_20block_scan_algorithmE0ELj4294967295EEENS1_25partition_config_selectorILNS1_17partition_subalgoE3EjNS0_10empty_typeEbEEZZNS1_14partition_implILS8_3ELb0ES6_jNS0_17counting_iteratorIjlEEPS9_SE_NS0_5tupleIJPjSE_EEENSF_IJSE_SE_EEES9_SG_JZNS1_25segmented_radix_sort_implINS0_14default_configELb1EPKhPhPKlPlN2at6native12_GLOBAL__N_18offset_tEEE10hipError_tPvRmT1_PNSt15iterator_traitsISY_E10value_typeET2_T3_PNSZ_IS14_E10value_typeET4_jRbjT5_S1A_jjP12ihipStream_tbEUljE_EEESV_SW_SX_S14_S18_S1A_T6_T7_T9_mT8_S1C_bDpT10_ENKUlT_T0_E_clISt17integral_constantIbLb0EES1O_IbLb1EEEEDaS1K_S1L_EUlS1K_E_NS1_11comp_targetILNS1_3genE4ELNS1_11target_archE910ELNS1_3gpuE8ELNS1_3repE0EEENS1_30default_config_static_selectorELNS0_4arch9wavefront6targetE0EEEvSY_ ; -- Begin function _ZN7rocprim17ROCPRIM_400000_NS6detail17trampoline_kernelINS0_13select_configILj256ELj13ELNS0_17block_load_methodE3ELS4_3ELS4_3ELNS0_20block_scan_algorithmE0ELj4294967295EEENS1_25partition_config_selectorILNS1_17partition_subalgoE3EjNS0_10empty_typeEbEEZZNS1_14partition_implILS8_3ELb0ES6_jNS0_17counting_iteratorIjlEEPS9_SE_NS0_5tupleIJPjSE_EEENSF_IJSE_SE_EEES9_SG_JZNS1_25segmented_radix_sort_implINS0_14default_configELb1EPKhPhPKlPlN2at6native12_GLOBAL__N_18offset_tEEE10hipError_tPvRmT1_PNSt15iterator_traitsISY_E10value_typeET2_T3_PNSZ_IS14_E10value_typeET4_jRbjT5_S1A_jjP12ihipStream_tbEUljE_EEESV_SW_SX_S14_S18_S1A_T6_T7_T9_mT8_S1C_bDpT10_ENKUlT_T0_E_clISt17integral_constantIbLb0EES1O_IbLb1EEEEDaS1K_S1L_EUlS1K_E_NS1_11comp_targetILNS1_3genE4ELNS1_11target_archE910ELNS1_3gpuE8ELNS1_3repE0EEENS1_30default_config_static_selectorELNS0_4arch9wavefront6targetE0EEEvSY_
	.p2align	8
	.type	_ZN7rocprim17ROCPRIM_400000_NS6detail17trampoline_kernelINS0_13select_configILj256ELj13ELNS0_17block_load_methodE3ELS4_3ELS4_3ELNS0_20block_scan_algorithmE0ELj4294967295EEENS1_25partition_config_selectorILNS1_17partition_subalgoE3EjNS0_10empty_typeEbEEZZNS1_14partition_implILS8_3ELb0ES6_jNS0_17counting_iteratorIjlEEPS9_SE_NS0_5tupleIJPjSE_EEENSF_IJSE_SE_EEES9_SG_JZNS1_25segmented_radix_sort_implINS0_14default_configELb1EPKhPhPKlPlN2at6native12_GLOBAL__N_18offset_tEEE10hipError_tPvRmT1_PNSt15iterator_traitsISY_E10value_typeET2_T3_PNSZ_IS14_E10value_typeET4_jRbjT5_S1A_jjP12ihipStream_tbEUljE_EEESV_SW_SX_S14_S18_S1A_T6_T7_T9_mT8_S1C_bDpT10_ENKUlT_T0_E_clISt17integral_constantIbLb0EES1O_IbLb1EEEEDaS1K_S1L_EUlS1K_E_NS1_11comp_targetILNS1_3genE4ELNS1_11target_archE910ELNS1_3gpuE8ELNS1_3repE0EEENS1_30default_config_static_selectorELNS0_4arch9wavefront6targetE0EEEvSY_,@function
_ZN7rocprim17ROCPRIM_400000_NS6detail17trampoline_kernelINS0_13select_configILj256ELj13ELNS0_17block_load_methodE3ELS4_3ELS4_3ELNS0_20block_scan_algorithmE0ELj4294967295EEENS1_25partition_config_selectorILNS1_17partition_subalgoE3EjNS0_10empty_typeEbEEZZNS1_14partition_implILS8_3ELb0ES6_jNS0_17counting_iteratorIjlEEPS9_SE_NS0_5tupleIJPjSE_EEENSF_IJSE_SE_EEES9_SG_JZNS1_25segmented_radix_sort_implINS0_14default_configELb1EPKhPhPKlPlN2at6native12_GLOBAL__N_18offset_tEEE10hipError_tPvRmT1_PNSt15iterator_traitsISY_E10value_typeET2_T3_PNSZ_IS14_E10value_typeET4_jRbjT5_S1A_jjP12ihipStream_tbEUljE_EEESV_SW_SX_S14_S18_S1A_T6_T7_T9_mT8_S1C_bDpT10_ENKUlT_T0_E_clISt17integral_constantIbLb0EES1O_IbLb1EEEEDaS1K_S1L_EUlS1K_E_NS1_11comp_targetILNS1_3genE4ELNS1_11target_archE910ELNS1_3gpuE8ELNS1_3repE0EEENS1_30default_config_static_selectorELNS0_4arch9wavefront6targetE0EEEvSY_: ; @_ZN7rocprim17ROCPRIM_400000_NS6detail17trampoline_kernelINS0_13select_configILj256ELj13ELNS0_17block_load_methodE3ELS4_3ELS4_3ELNS0_20block_scan_algorithmE0ELj4294967295EEENS1_25partition_config_selectorILNS1_17partition_subalgoE3EjNS0_10empty_typeEbEEZZNS1_14partition_implILS8_3ELb0ES6_jNS0_17counting_iteratorIjlEEPS9_SE_NS0_5tupleIJPjSE_EEENSF_IJSE_SE_EEES9_SG_JZNS1_25segmented_radix_sort_implINS0_14default_configELb1EPKhPhPKlPlN2at6native12_GLOBAL__N_18offset_tEEE10hipError_tPvRmT1_PNSt15iterator_traitsISY_E10value_typeET2_T3_PNSZ_IS14_E10value_typeET4_jRbjT5_S1A_jjP12ihipStream_tbEUljE_EEESV_SW_SX_S14_S18_S1A_T6_T7_T9_mT8_S1C_bDpT10_ENKUlT_T0_E_clISt17integral_constantIbLb0EES1O_IbLb1EEEEDaS1K_S1L_EUlS1K_E_NS1_11comp_targetILNS1_3genE4ELNS1_11target_archE910ELNS1_3gpuE8ELNS1_3repE0EEENS1_30default_config_static_selectorELNS0_4arch9wavefront6targetE0EEEvSY_
; %bb.0:
	.section	.rodata,"a",@progbits
	.p2align	6, 0x0
	.amdhsa_kernel _ZN7rocprim17ROCPRIM_400000_NS6detail17trampoline_kernelINS0_13select_configILj256ELj13ELNS0_17block_load_methodE3ELS4_3ELS4_3ELNS0_20block_scan_algorithmE0ELj4294967295EEENS1_25partition_config_selectorILNS1_17partition_subalgoE3EjNS0_10empty_typeEbEEZZNS1_14partition_implILS8_3ELb0ES6_jNS0_17counting_iteratorIjlEEPS9_SE_NS0_5tupleIJPjSE_EEENSF_IJSE_SE_EEES9_SG_JZNS1_25segmented_radix_sort_implINS0_14default_configELb1EPKhPhPKlPlN2at6native12_GLOBAL__N_18offset_tEEE10hipError_tPvRmT1_PNSt15iterator_traitsISY_E10value_typeET2_T3_PNSZ_IS14_E10value_typeET4_jRbjT5_S1A_jjP12ihipStream_tbEUljE_EEESV_SW_SX_S14_S18_S1A_T6_T7_T9_mT8_S1C_bDpT10_ENKUlT_T0_E_clISt17integral_constantIbLb0EES1O_IbLb1EEEEDaS1K_S1L_EUlS1K_E_NS1_11comp_targetILNS1_3genE4ELNS1_11target_archE910ELNS1_3gpuE8ELNS1_3repE0EEENS1_30default_config_static_selectorELNS0_4arch9wavefront6targetE0EEEvSY_
		.amdhsa_group_segment_fixed_size 0
		.amdhsa_private_segment_fixed_size 0
		.amdhsa_kernarg_size 152
		.amdhsa_user_sgpr_count 2
		.amdhsa_user_sgpr_dispatch_ptr 0
		.amdhsa_user_sgpr_queue_ptr 0
		.amdhsa_user_sgpr_kernarg_segment_ptr 1
		.amdhsa_user_sgpr_dispatch_id 0
		.amdhsa_user_sgpr_private_segment_size 0
		.amdhsa_wavefront_size32 1
		.amdhsa_uses_dynamic_stack 0
		.amdhsa_enable_private_segment 0
		.amdhsa_system_sgpr_workgroup_id_x 1
		.amdhsa_system_sgpr_workgroup_id_y 0
		.amdhsa_system_sgpr_workgroup_id_z 0
		.amdhsa_system_sgpr_workgroup_info 0
		.amdhsa_system_vgpr_workitem_id 0
		.amdhsa_next_free_vgpr 1
		.amdhsa_next_free_sgpr 1
		.amdhsa_reserve_vcc 0
		.amdhsa_float_round_mode_32 0
		.amdhsa_float_round_mode_16_64 0
		.amdhsa_float_denorm_mode_32 3
		.amdhsa_float_denorm_mode_16_64 3
		.amdhsa_fp16_overflow 0
		.amdhsa_workgroup_processor_mode 1
		.amdhsa_memory_ordered 1
		.amdhsa_forward_progress 1
		.amdhsa_inst_pref_size 0
		.amdhsa_round_robin_scheduling 0
		.amdhsa_exception_fp_ieee_invalid_op 0
		.amdhsa_exception_fp_denorm_src 0
		.amdhsa_exception_fp_ieee_div_zero 0
		.amdhsa_exception_fp_ieee_overflow 0
		.amdhsa_exception_fp_ieee_underflow 0
		.amdhsa_exception_fp_ieee_inexact 0
		.amdhsa_exception_int_div_zero 0
	.end_amdhsa_kernel
	.section	.text._ZN7rocprim17ROCPRIM_400000_NS6detail17trampoline_kernelINS0_13select_configILj256ELj13ELNS0_17block_load_methodE3ELS4_3ELS4_3ELNS0_20block_scan_algorithmE0ELj4294967295EEENS1_25partition_config_selectorILNS1_17partition_subalgoE3EjNS0_10empty_typeEbEEZZNS1_14partition_implILS8_3ELb0ES6_jNS0_17counting_iteratorIjlEEPS9_SE_NS0_5tupleIJPjSE_EEENSF_IJSE_SE_EEES9_SG_JZNS1_25segmented_radix_sort_implINS0_14default_configELb1EPKhPhPKlPlN2at6native12_GLOBAL__N_18offset_tEEE10hipError_tPvRmT1_PNSt15iterator_traitsISY_E10value_typeET2_T3_PNSZ_IS14_E10value_typeET4_jRbjT5_S1A_jjP12ihipStream_tbEUljE_EEESV_SW_SX_S14_S18_S1A_T6_T7_T9_mT8_S1C_bDpT10_ENKUlT_T0_E_clISt17integral_constantIbLb0EES1O_IbLb1EEEEDaS1K_S1L_EUlS1K_E_NS1_11comp_targetILNS1_3genE4ELNS1_11target_archE910ELNS1_3gpuE8ELNS1_3repE0EEENS1_30default_config_static_selectorELNS0_4arch9wavefront6targetE0EEEvSY_,"axG",@progbits,_ZN7rocprim17ROCPRIM_400000_NS6detail17trampoline_kernelINS0_13select_configILj256ELj13ELNS0_17block_load_methodE3ELS4_3ELS4_3ELNS0_20block_scan_algorithmE0ELj4294967295EEENS1_25partition_config_selectorILNS1_17partition_subalgoE3EjNS0_10empty_typeEbEEZZNS1_14partition_implILS8_3ELb0ES6_jNS0_17counting_iteratorIjlEEPS9_SE_NS0_5tupleIJPjSE_EEENSF_IJSE_SE_EEES9_SG_JZNS1_25segmented_radix_sort_implINS0_14default_configELb1EPKhPhPKlPlN2at6native12_GLOBAL__N_18offset_tEEE10hipError_tPvRmT1_PNSt15iterator_traitsISY_E10value_typeET2_T3_PNSZ_IS14_E10value_typeET4_jRbjT5_S1A_jjP12ihipStream_tbEUljE_EEESV_SW_SX_S14_S18_S1A_T6_T7_T9_mT8_S1C_bDpT10_ENKUlT_T0_E_clISt17integral_constantIbLb0EES1O_IbLb1EEEEDaS1K_S1L_EUlS1K_E_NS1_11comp_targetILNS1_3genE4ELNS1_11target_archE910ELNS1_3gpuE8ELNS1_3repE0EEENS1_30default_config_static_selectorELNS0_4arch9wavefront6targetE0EEEvSY_,comdat
.Lfunc_end77:
	.size	_ZN7rocprim17ROCPRIM_400000_NS6detail17trampoline_kernelINS0_13select_configILj256ELj13ELNS0_17block_load_methodE3ELS4_3ELS4_3ELNS0_20block_scan_algorithmE0ELj4294967295EEENS1_25partition_config_selectorILNS1_17partition_subalgoE3EjNS0_10empty_typeEbEEZZNS1_14partition_implILS8_3ELb0ES6_jNS0_17counting_iteratorIjlEEPS9_SE_NS0_5tupleIJPjSE_EEENSF_IJSE_SE_EEES9_SG_JZNS1_25segmented_radix_sort_implINS0_14default_configELb1EPKhPhPKlPlN2at6native12_GLOBAL__N_18offset_tEEE10hipError_tPvRmT1_PNSt15iterator_traitsISY_E10value_typeET2_T3_PNSZ_IS14_E10value_typeET4_jRbjT5_S1A_jjP12ihipStream_tbEUljE_EEESV_SW_SX_S14_S18_S1A_T6_T7_T9_mT8_S1C_bDpT10_ENKUlT_T0_E_clISt17integral_constantIbLb0EES1O_IbLb1EEEEDaS1K_S1L_EUlS1K_E_NS1_11comp_targetILNS1_3genE4ELNS1_11target_archE910ELNS1_3gpuE8ELNS1_3repE0EEENS1_30default_config_static_selectorELNS0_4arch9wavefront6targetE0EEEvSY_, .Lfunc_end77-_ZN7rocprim17ROCPRIM_400000_NS6detail17trampoline_kernelINS0_13select_configILj256ELj13ELNS0_17block_load_methodE3ELS4_3ELS4_3ELNS0_20block_scan_algorithmE0ELj4294967295EEENS1_25partition_config_selectorILNS1_17partition_subalgoE3EjNS0_10empty_typeEbEEZZNS1_14partition_implILS8_3ELb0ES6_jNS0_17counting_iteratorIjlEEPS9_SE_NS0_5tupleIJPjSE_EEENSF_IJSE_SE_EEES9_SG_JZNS1_25segmented_radix_sort_implINS0_14default_configELb1EPKhPhPKlPlN2at6native12_GLOBAL__N_18offset_tEEE10hipError_tPvRmT1_PNSt15iterator_traitsISY_E10value_typeET2_T3_PNSZ_IS14_E10value_typeET4_jRbjT5_S1A_jjP12ihipStream_tbEUljE_EEESV_SW_SX_S14_S18_S1A_T6_T7_T9_mT8_S1C_bDpT10_ENKUlT_T0_E_clISt17integral_constantIbLb0EES1O_IbLb1EEEEDaS1K_S1L_EUlS1K_E_NS1_11comp_targetILNS1_3genE4ELNS1_11target_archE910ELNS1_3gpuE8ELNS1_3repE0EEENS1_30default_config_static_selectorELNS0_4arch9wavefront6targetE0EEEvSY_
                                        ; -- End function
	.set _ZN7rocprim17ROCPRIM_400000_NS6detail17trampoline_kernelINS0_13select_configILj256ELj13ELNS0_17block_load_methodE3ELS4_3ELS4_3ELNS0_20block_scan_algorithmE0ELj4294967295EEENS1_25partition_config_selectorILNS1_17partition_subalgoE3EjNS0_10empty_typeEbEEZZNS1_14partition_implILS8_3ELb0ES6_jNS0_17counting_iteratorIjlEEPS9_SE_NS0_5tupleIJPjSE_EEENSF_IJSE_SE_EEES9_SG_JZNS1_25segmented_radix_sort_implINS0_14default_configELb1EPKhPhPKlPlN2at6native12_GLOBAL__N_18offset_tEEE10hipError_tPvRmT1_PNSt15iterator_traitsISY_E10value_typeET2_T3_PNSZ_IS14_E10value_typeET4_jRbjT5_S1A_jjP12ihipStream_tbEUljE_EEESV_SW_SX_S14_S18_S1A_T6_T7_T9_mT8_S1C_bDpT10_ENKUlT_T0_E_clISt17integral_constantIbLb0EES1O_IbLb1EEEEDaS1K_S1L_EUlS1K_E_NS1_11comp_targetILNS1_3genE4ELNS1_11target_archE910ELNS1_3gpuE8ELNS1_3repE0EEENS1_30default_config_static_selectorELNS0_4arch9wavefront6targetE0EEEvSY_.num_vgpr, 0
	.set _ZN7rocprim17ROCPRIM_400000_NS6detail17trampoline_kernelINS0_13select_configILj256ELj13ELNS0_17block_load_methodE3ELS4_3ELS4_3ELNS0_20block_scan_algorithmE0ELj4294967295EEENS1_25partition_config_selectorILNS1_17partition_subalgoE3EjNS0_10empty_typeEbEEZZNS1_14partition_implILS8_3ELb0ES6_jNS0_17counting_iteratorIjlEEPS9_SE_NS0_5tupleIJPjSE_EEENSF_IJSE_SE_EEES9_SG_JZNS1_25segmented_radix_sort_implINS0_14default_configELb1EPKhPhPKlPlN2at6native12_GLOBAL__N_18offset_tEEE10hipError_tPvRmT1_PNSt15iterator_traitsISY_E10value_typeET2_T3_PNSZ_IS14_E10value_typeET4_jRbjT5_S1A_jjP12ihipStream_tbEUljE_EEESV_SW_SX_S14_S18_S1A_T6_T7_T9_mT8_S1C_bDpT10_ENKUlT_T0_E_clISt17integral_constantIbLb0EES1O_IbLb1EEEEDaS1K_S1L_EUlS1K_E_NS1_11comp_targetILNS1_3genE4ELNS1_11target_archE910ELNS1_3gpuE8ELNS1_3repE0EEENS1_30default_config_static_selectorELNS0_4arch9wavefront6targetE0EEEvSY_.num_agpr, 0
	.set _ZN7rocprim17ROCPRIM_400000_NS6detail17trampoline_kernelINS0_13select_configILj256ELj13ELNS0_17block_load_methodE3ELS4_3ELS4_3ELNS0_20block_scan_algorithmE0ELj4294967295EEENS1_25partition_config_selectorILNS1_17partition_subalgoE3EjNS0_10empty_typeEbEEZZNS1_14partition_implILS8_3ELb0ES6_jNS0_17counting_iteratorIjlEEPS9_SE_NS0_5tupleIJPjSE_EEENSF_IJSE_SE_EEES9_SG_JZNS1_25segmented_radix_sort_implINS0_14default_configELb1EPKhPhPKlPlN2at6native12_GLOBAL__N_18offset_tEEE10hipError_tPvRmT1_PNSt15iterator_traitsISY_E10value_typeET2_T3_PNSZ_IS14_E10value_typeET4_jRbjT5_S1A_jjP12ihipStream_tbEUljE_EEESV_SW_SX_S14_S18_S1A_T6_T7_T9_mT8_S1C_bDpT10_ENKUlT_T0_E_clISt17integral_constantIbLb0EES1O_IbLb1EEEEDaS1K_S1L_EUlS1K_E_NS1_11comp_targetILNS1_3genE4ELNS1_11target_archE910ELNS1_3gpuE8ELNS1_3repE0EEENS1_30default_config_static_selectorELNS0_4arch9wavefront6targetE0EEEvSY_.numbered_sgpr, 0
	.set _ZN7rocprim17ROCPRIM_400000_NS6detail17trampoline_kernelINS0_13select_configILj256ELj13ELNS0_17block_load_methodE3ELS4_3ELS4_3ELNS0_20block_scan_algorithmE0ELj4294967295EEENS1_25partition_config_selectorILNS1_17partition_subalgoE3EjNS0_10empty_typeEbEEZZNS1_14partition_implILS8_3ELb0ES6_jNS0_17counting_iteratorIjlEEPS9_SE_NS0_5tupleIJPjSE_EEENSF_IJSE_SE_EEES9_SG_JZNS1_25segmented_radix_sort_implINS0_14default_configELb1EPKhPhPKlPlN2at6native12_GLOBAL__N_18offset_tEEE10hipError_tPvRmT1_PNSt15iterator_traitsISY_E10value_typeET2_T3_PNSZ_IS14_E10value_typeET4_jRbjT5_S1A_jjP12ihipStream_tbEUljE_EEESV_SW_SX_S14_S18_S1A_T6_T7_T9_mT8_S1C_bDpT10_ENKUlT_T0_E_clISt17integral_constantIbLb0EES1O_IbLb1EEEEDaS1K_S1L_EUlS1K_E_NS1_11comp_targetILNS1_3genE4ELNS1_11target_archE910ELNS1_3gpuE8ELNS1_3repE0EEENS1_30default_config_static_selectorELNS0_4arch9wavefront6targetE0EEEvSY_.num_named_barrier, 0
	.set _ZN7rocprim17ROCPRIM_400000_NS6detail17trampoline_kernelINS0_13select_configILj256ELj13ELNS0_17block_load_methodE3ELS4_3ELS4_3ELNS0_20block_scan_algorithmE0ELj4294967295EEENS1_25partition_config_selectorILNS1_17partition_subalgoE3EjNS0_10empty_typeEbEEZZNS1_14partition_implILS8_3ELb0ES6_jNS0_17counting_iteratorIjlEEPS9_SE_NS0_5tupleIJPjSE_EEENSF_IJSE_SE_EEES9_SG_JZNS1_25segmented_radix_sort_implINS0_14default_configELb1EPKhPhPKlPlN2at6native12_GLOBAL__N_18offset_tEEE10hipError_tPvRmT1_PNSt15iterator_traitsISY_E10value_typeET2_T3_PNSZ_IS14_E10value_typeET4_jRbjT5_S1A_jjP12ihipStream_tbEUljE_EEESV_SW_SX_S14_S18_S1A_T6_T7_T9_mT8_S1C_bDpT10_ENKUlT_T0_E_clISt17integral_constantIbLb0EES1O_IbLb1EEEEDaS1K_S1L_EUlS1K_E_NS1_11comp_targetILNS1_3genE4ELNS1_11target_archE910ELNS1_3gpuE8ELNS1_3repE0EEENS1_30default_config_static_selectorELNS0_4arch9wavefront6targetE0EEEvSY_.private_seg_size, 0
	.set _ZN7rocprim17ROCPRIM_400000_NS6detail17trampoline_kernelINS0_13select_configILj256ELj13ELNS0_17block_load_methodE3ELS4_3ELS4_3ELNS0_20block_scan_algorithmE0ELj4294967295EEENS1_25partition_config_selectorILNS1_17partition_subalgoE3EjNS0_10empty_typeEbEEZZNS1_14partition_implILS8_3ELb0ES6_jNS0_17counting_iteratorIjlEEPS9_SE_NS0_5tupleIJPjSE_EEENSF_IJSE_SE_EEES9_SG_JZNS1_25segmented_radix_sort_implINS0_14default_configELb1EPKhPhPKlPlN2at6native12_GLOBAL__N_18offset_tEEE10hipError_tPvRmT1_PNSt15iterator_traitsISY_E10value_typeET2_T3_PNSZ_IS14_E10value_typeET4_jRbjT5_S1A_jjP12ihipStream_tbEUljE_EEESV_SW_SX_S14_S18_S1A_T6_T7_T9_mT8_S1C_bDpT10_ENKUlT_T0_E_clISt17integral_constantIbLb0EES1O_IbLb1EEEEDaS1K_S1L_EUlS1K_E_NS1_11comp_targetILNS1_3genE4ELNS1_11target_archE910ELNS1_3gpuE8ELNS1_3repE0EEENS1_30default_config_static_selectorELNS0_4arch9wavefront6targetE0EEEvSY_.uses_vcc, 0
	.set _ZN7rocprim17ROCPRIM_400000_NS6detail17trampoline_kernelINS0_13select_configILj256ELj13ELNS0_17block_load_methodE3ELS4_3ELS4_3ELNS0_20block_scan_algorithmE0ELj4294967295EEENS1_25partition_config_selectorILNS1_17partition_subalgoE3EjNS0_10empty_typeEbEEZZNS1_14partition_implILS8_3ELb0ES6_jNS0_17counting_iteratorIjlEEPS9_SE_NS0_5tupleIJPjSE_EEENSF_IJSE_SE_EEES9_SG_JZNS1_25segmented_radix_sort_implINS0_14default_configELb1EPKhPhPKlPlN2at6native12_GLOBAL__N_18offset_tEEE10hipError_tPvRmT1_PNSt15iterator_traitsISY_E10value_typeET2_T3_PNSZ_IS14_E10value_typeET4_jRbjT5_S1A_jjP12ihipStream_tbEUljE_EEESV_SW_SX_S14_S18_S1A_T6_T7_T9_mT8_S1C_bDpT10_ENKUlT_T0_E_clISt17integral_constantIbLb0EES1O_IbLb1EEEEDaS1K_S1L_EUlS1K_E_NS1_11comp_targetILNS1_3genE4ELNS1_11target_archE910ELNS1_3gpuE8ELNS1_3repE0EEENS1_30default_config_static_selectorELNS0_4arch9wavefront6targetE0EEEvSY_.uses_flat_scratch, 0
	.set _ZN7rocprim17ROCPRIM_400000_NS6detail17trampoline_kernelINS0_13select_configILj256ELj13ELNS0_17block_load_methodE3ELS4_3ELS4_3ELNS0_20block_scan_algorithmE0ELj4294967295EEENS1_25partition_config_selectorILNS1_17partition_subalgoE3EjNS0_10empty_typeEbEEZZNS1_14partition_implILS8_3ELb0ES6_jNS0_17counting_iteratorIjlEEPS9_SE_NS0_5tupleIJPjSE_EEENSF_IJSE_SE_EEES9_SG_JZNS1_25segmented_radix_sort_implINS0_14default_configELb1EPKhPhPKlPlN2at6native12_GLOBAL__N_18offset_tEEE10hipError_tPvRmT1_PNSt15iterator_traitsISY_E10value_typeET2_T3_PNSZ_IS14_E10value_typeET4_jRbjT5_S1A_jjP12ihipStream_tbEUljE_EEESV_SW_SX_S14_S18_S1A_T6_T7_T9_mT8_S1C_bDpT10_ENKUlT_T0_E_clISt17integral_constantIbLb0EES1O_IbLb1EEEEDaS1K_S1L_EUlS1K_E_NS1_11comp_targetILNS1_3genE4ELNS1_11target_archE910ELNS1_3gpuE8ELNS1_3repE0EEENS1_30default_config_static_selectorELNS0_4arch9wavefront6targetE0EEEvSY_.has_dyn_sized_stack, 0
	.set _ZN7rocprim17ROCPRIM_400000_NS6detail17trampoline_kernelINS0_13select_configILj256ELj13ELNS0_17block_load_methodE3ELS4_3ELS4_3ELNS0_20block_scan_algorithmE0ELj4294967295EEENS1_25partition_config_selectorILNS1_17partition_subalgoE3EjNS0_10empty_typeEbEEZZNS1_14partition_implILS8_3ELb0ES6_jNS0_17counting_iteratorIjlEEPS9_SE_NS0_5tupleIJPjSE_EEENSF_IJSE_SE_EEES9_SG_JZNS1_25segmented_radix_sort_implINS0_14default_configELb1EPKhPhPKlPlN2at6native12_GLOBAL__N_18offset_tEEE10hipError_tPvRmT1_PNSt15iterator_traitsISY_E10value_typeET2_T3_PNSZ_IS14_E10value_typeET4_jRbjT5_S1A_jjP12ihipStream_tbEUljE_EEESV_SW_SX_S14_S18_S1A_T6_T7_T9_mT8_S1C_bDpT10_ENKUlT_T0_E_clISt17integral_constantIbLb0EES1O_IbLb1EEEEDaS1K_S1L_EUlS1K_E_NS1_11comp_targetILNS1_3genE4ELNS1_11target_archE910ELNS1_3gpuE8ELNS1_3repE0EEENS1_30default_config_static_selectorELNS0_4arch9wavefront6targetE0EEEvSY_.has_recursion, 0
	.set _ZN7rocprim17ROCPRIM_400000_NS6detail17trampoline_kernelINS0_13select_configILj256ELj13ELNS0_17block_load_methodE3ELS4_3ELS4_3ELNS0_20block_scan_algorithmE0ELj4294967295EEENS1_25partition_config_selectorILNS1_17partition_subalgoE3EjNS0_10empty_typeEbEEZZNS1_14partition_implILS8_3ELb0ES6_jNS0_17counting_iteratorIjlEEPS9_SE_NS0_5tupleIJPjSE_EEENSF_IJSE_SE_EEES9_SG_JZNS1_25segmented_radix_sort_implINS0_14default_configELb1EPKhPhPKlPlN2at6native12_GLOBAL__N_18offset_tEEE10hipError_tPvRmT1_PNSt15iterator_traitsISY_E10value_typeET2_T3_PNSZ_IS14_E10value_typeET4_jRbjT5_S1A_jjP12ihipStream_tbEUljE_EEESV_SW_SX_S14_S18_S1A_T6_T7_T9_mT8_S1C_bDpT10_ENKUlT_T0_E_clISt17integral_constantIbLb0EES1O_IbLb1EEEEDaS1K_S1L_EUlS1K_E_NS1_11comp_targetILNS1_3genE4ELNS1_11target_archE910ELNS1_3gpuE8ELNS1_3repE0EEENS1_30default_config_static_selectorELNS0_4arch9wavefront6targetE0EEEvSY_.has_indirect_call, 0
	.section	.AMDGPU.csdata,"",@progbits
; Kernel info:
; codeLenInByte = 0
; TotalNumSgprs: 0
; NumVgprs: 0
; ScratchSize: 0
; MemoryBound: 0
; FloatMode: 240
; IeeeMode: 1
; LDSByteSize: 0 bytes/workgroup (compile time only)
; SGPRBlocks: 0
; VGPRBlocks: 0
; NumSGPRsForWavesPerEU: 1
; NumVGPRsForWavesPerEU: 1
; Occupancy: 16
; WaveLimiterHint : 0
; COMPUTE_PGM_RSRC2:SCRATCH_EN: 0
; COMPUTE_PGM_RSRC2:USER_SGPR: 2
; COMPUTE_PGM_RSRC2:TRAP_HANDLER: 0
; COMPUTE_PGM_RSRC2:TGID_X_EN: 1
; COMPUTE_PGM_RSRC2:TGID_Y_EN: 0
; COMPUTE_PGM_RSRC2:TGID_Z_EN: 0
; COMPUTE_PGM_RSRC2:TIDIG_COMP_CNT: 0
	.section	.text._ZN7rocprim17ROCPRIM_400000_NS6detail17trampoline_kernelINS0_13select_configILj256ELj13ELNS0_17block_load_methodE3ELS4_3ELS4_3ELNS0_20block_scan_algorithmE0ELj4294967295EEENS1_25partition_config_selectorILNS1_17partition_subalgoE3EjNS0_10empty_typeEbEEZZNS1_14partition_implILS8_3ELb0ES6_jNS0_17counting_iteratorIjlEEPS9_SE_NS0_5tupleIJPjSE_EEENSF_IJSE_SE_EEES9_SG_JZNS1_25segmented_radix_sort_implINS0_14default_configELb1EPKhPhPKlPlN2at6native12_GLOBAL__N_18offset_tEEE10hipError_tPvRmT1_PNSt15iterator_traitsISY_E10value_typeET2_T3_PNSZ_IS14_E10value_typeET4_jRbjT5_S1A_jjP12ihipStream_tbEUljE_EEESV_SW_SX_S14_S18_S1A_T6_T7_T9_mT8_S1C_bDpT10_ENKUlT_T0_E_clISt17integral_constantIbLb0EES1O_IbLb1EEEEDaS1K_S1L_EUlS1K_E_NS1_11comp_targetILNS1_3genE3ELNS1_11target_archE908ELNS1_3gpuE7ELNS1_3repE0EEENS1_30default_config_static_selectorELNS0_4arch9wavefront6targetE0EEEvSY_,"axG",@progbits,_ZN7rocprim17ROCPRIM_400000_NS6detail17trampoline_kernelINS0_13select_configILj256ELj13ELNS0_17block_load_methodE3ELS4_3ELS4_3ELNS0_20block_scan_algorithmE0ELj4294967295EEENS1_25partition_config_selectorILNS1_17partition_subalgoE3EjNS0_10empty_typeEbEEZZNS1_14partition_implILS8_3ELb0ES6_jNS0_17counting_iteratorIjlEEPS9_SE_NS0_5tupleIJPjSE_EEENSF_IJSE_SE_EEES9_SG_JZNS1_25segmented_radix_sort_implINS0_14default_configELb1EPKhPhPKlPlN2at6native12_GLOBAL__N_18offset_tEEE10hipError_tPvRmT1_PNSt15iterator_traitsISY_E10value_typeET2_T3_PNSZ_IS14_E10value_typeET4_jRbjT5_S1A_jjP12ihipStream_tbEUljE_EEESV_SW_SX_S14_S18_S1A_T6_T7_T9_mT8_S1C_bDpT10_ENKUlT_T0_E_clISt17integral_constantIbLb0EES1O_IbLb1EEEEDaS1K_S1L_EUlS1K_E_NS1_11comp_targetILNS1_3genE3ELNS1_11target_archE908ELNS1_3gpuE7ELNS1_3repE0EEENS1_30default_config_static_selectorELNS0_4arch9wavefront6targetE0EEEvSY_,comdat
	.globl	_ZN7rocprim17ROCPRIM_400000_NS6detail17trampoline_kernelINS0_13select_configILj256ELj13ELNS0_17block_load_methodE3ELS4_3ELS4_3ELNS0_20block_scan_algorithmE0ELj4294967295EEENS1_25partition_config_selectorILNS1_17partition_subalgoE3EjNS0_10empty_typeEbEEZZNS1_14partition_implILS8_3ELb0ES6_jNS0_17counting_iteratorIjlEEPS9_SE_NS0_5tupleIJPjSE_EEENSF_IJSE_SE_EEES9_SG_JZNS1_25segmented_radix_sort_implINS0_14default_configELb1EPKhPhPKlPlN2at6native12_GLOBAL__N_18offset_tEEE10hipError_tPvRmT1_PNSt15iterator_traitsISY_E10value_typeET2_T3_PNSZ_IS14_E10value_typeET4_jRbjT5_S1A_jjP12ihipStream_tbEUljE_EEESV_SW_SX_S14_S18_S1A_T6_T7_T9_mT8_S1C_bDpT10_ENKUlT_T0_E_clISt17integral_constantIbLb0EES1O_IbLb1EEEEDaS1K_S1L_EUlS1K_E_NS1_11comp_targetILNS1_3genE3ELNS1_11target_archE908ELNS1_3gpuE7ELNS1_3repE0EEENS1_30default_config_static_selectorELNS0_4arch9wavefront6targetE0EEEvSY_ ; -- Begin function _ZN7rocprim17ROCPRIM_400000_NS6detail17trampoline_kernelINS0_13select_configILj256ELj13ELNS0_17block_load_methodE3ELS4_3ELS4_3ELNS0_20block_scan_algorithmE0ELj4294967295EEENS1_25partition_config_selectorILNS1_17partition_subalgoE3EjNS0_10empty_typeEbEEZZNS1_14partition_implILS8_3ELb0ES6_jNS0_17counting_iteratorIjlEEPS9_SE_NS0_5tupleIJPjSE_EEENSF_IJSE_SE_EEES9_SG_JZNS1_25segmented_radix_sort_implINS0_14default_configELb1EPKhPhPKlPlN2at6native12_GLOBAL__N_18offset_tEEE10hipError_tPvRmT1_PNSt15iterator_traitsISY_E10value_typeET2_T3_PNSZ_IS14_E10value_typeET4_jRbjT5_S1A_jjP12ihipStream_tbEUljE_EEESV_SW_SX_S14_S18_S1A_T6_T7_T9_mT8_S1C_bDpT10_ENKUlT_T0_E_clISt17integral_constantIbLb0EES1O_IbLb1EEEEDaS1K_S1L_EUlS1K_E_NS1_11comp_targetILNS1_3genE3ELNS1_11target_archE908ELNS1_3gpuE7ELNS1_3repE0EEENS1_30default_config_static_selectorELNS0_4arch9wavefront6targetE0EEEvSY_
	.p2align	8
	.type	_ZN7rocprim17ROCPRIM_400000_NS6detail17trampoline_kernelINS0_13select_configILj256ELj13ELNS0_17block_load_methodE3ELS4_3ELS4_3ELNS0_20block_scan_algorithmE0ELj4294967295EEENS1_25partition_config_selectorILNS1_17partition_subalgoE3EjNS0_10empty_typeEbEEZZNS1_14partition_implILS8_3ELb0ES6_jNS0_17counting_iteratorIjlEEPS9_SE_NS0_5tupleIJPjSE_EEENSF_IJSE_SE_EEES9_SG_JZNS1_25segmented_radix_sort_implINS0_14default_configELb1EPKhPhPKlPlN2at6native12_GLOBAL__N_18offset_tEEE10hipError_tPvRmT1_PNSt15iterator_traitsISY_E10value_typeET2_T3_PNSZ_IS14_E10value_typeET4_jRbjT5_S1A_jjP12ihipStream_tbEUljE_EEESV_SW_SX_S14_S18_S1A_T6_T7_T9_mT8_S1C_bDpT10_ENKUlT_T0_E_clISt17integral_constantIbLb0EES1O_IbLb1EEEEDaS1K_S1L_EUlS1K_E_NS1_11comp_targetILNS1_3genE3ELNS1_11target_archE908ELNS1_3gpuE7ELNS1_3repE0EEENS1_30default_config_static_selectorELNS0_4arch9wavefront6targetE0EEEvSY_,@function
_ZN7rocprim17ROCPRIM_400000_NS6detail17trampoline_kernelINS0_13select_configILj256ELj13ELNS0_17block_load_methodE3ELS4_3ELS4_3ELNS0_20block_scan_algorithmE0ELj4294967295EEENS1_25partition_config_selectorILNS1_17partition_subalgoE3EjNS0_10empty_typeEbEEZZNS1_14partition_implILS8_3ELb0ES6_jNS0_17counting_iteratorIjlEEPS9_SE_NS0_5tupleIJPjSE_EEENSF_IJSE_SE_EEES9_SG_JZNS1_25segmented_radix_sort_implINS0_14default_configELb1EPKhPhPKlPlN2at6native12_GLOBAL__N_18offset_tEEE10hipError_tPvRmT1_PNSt15iterator_traitsISY_E10value_typeET2_T3_PNSZ_IS14_E10value_typeET4_jRbjT5_S1A_jjP12ihipStream_tbEUljE_EEESV_SW_SX_S14_S18_S1A_T6_T7_T9_mT8_S1C_bDpT10_ENKUlT_T0_E_clISt17integral_constantIbLb0EES1O_IbLb1EEEEDaS1K_S1L_EUlS1K_E_NS1_11comp_targetILNS1_3genE3ELNS1_11target_archE908ELNS1_3gpuE7ELNS1_3repE0EEENS1_30default_config_static_selectorELNS0_4arch9wavefront6targetE0EEEvSY_: ; @_ZN7rocprim17ROCPRIM_400000_NS6detail17trampoline_kernelINS0_13select_configILj256ELj13ELNS0_17block_load_methodE3ELS4_3ELS4_3ELNS0_20block_scan_algorithmE0ELj4294967295EEENS1_25partition_config_selectorILNS1_17partition_subalgoE3EjNS0_10empty_typeEbEEZZNS1_14partition_implILS8_3ELb0ES6_jNS0_17counting_iteratorIjlEEPS9_SE_NS0_5tupleIJPjSE_EEENSF_IJSE_SE_EEES9_SG_JZNS1_25segmented_radix_sort_implINS0_14default_configELb1EPKhPhPKlPlN2at6native12_GLOBAL__N_18offset_tEEE10hipError_tPvRmT1_PNSt15iterator_traitsISY_E10value_typeET2_T3_PNSZ_IS14_E10value_typeET4_jRbjT5_S1A_jjP12ihipStream_tbEUljE_EEESV_SW_SX_S14_S18_S1A_T6_T7_T9_mT8_S1C_bDpT10_ENKUlT_T0_E_clISt17integral_constantIbLb0EES1O_IbLb1EEEEDaS1K_S1L_EUlS1K_E_NS1_11comp_targetILNS1_3genE3ELNS1_11target_archE908ELNS1_3gpuE7ELNS1_3repE0EEENS1_30default_config_static_selectorELNS0_4arch9wavefront6targetE0EEEvSY_
; %bb.0:
	.section	.rodata,"a",@progbits
	.p2align	6, 0x0
	.amdhsa_kernel _ZN7rocprim17ROCPRIM_400000_NS6detail17trampoline_kernelINS0_13select_configILj256ELj13ELNS0_17block_load_methodE3ELS4_3ELS4_3ELNS0_20block_scan_algorithmE0ELj4294967295EEENS1_25partition_config_selectorILNS1_17partition_subalgoE3EjNS0_10empty_typeEbEEZZNS1_14partition_implILS8_3ELb0ES6_jNS0_17counting_iteratorIjlEEPS9_SE_NS0_5tupleIJPjSE_EEENSF_IJSE_SE_EEES9_SG_JZNS1_25segmented_radix_sort_implINS0_14default_configELb1EPKhPhPKlPlN2at6native12_GLOBAL__N_18offset_tEEE10hipError_tPvRmT1_PNSt15iterator_traitsISY_E10value_typeET2_T3_PNSZ_IS14_E10value_typeET4_jRbjT5_S1A_jjP12ihipStream_tbEUljE_EEESV_SW_SX_S14_S18_S1A_T6_T7_T9_mT8_S1C_bDpT10_ENKUlT_T0_E_clISt17integral_constantIbLb0EES1O_IbLb1EEEEDaS1K_S1L_EUlS1K_E_NS1_11comp_targetILNS1_3genE3ELNS1_11target_archE908ELNS1_3gpuE7ELNS1_3repE0EEENS1_30default_config_static_selectorELNS0_4arch9wavefront6targetE0EEEvSY_
		.amdhsa_group_segment_fixed_size 0
		.amdhsa_private_segment_fixed_size 0
		.amdhsa_kernarg_size 152
		.amdhsa_user_sgpr_count 2
		.amdhsa_user_sgpr_dispatch_ptr 0
		.amdhsa_user_sgpr_queue_ptr 0
		.amdhsa_user_sgpr_kernarg_segment_ptr 1
		.amdhsa_user_sgpr_dispatch_id 0
		.amdhsa_user_sgpr_private_segment_size 0
		.amdhsa_wavefront_size32 1
		.amdhsa_uses_dynamic_stack 0
		.amdhsa_enable_private_segment 0
		.amdhsa_system_sgpr_workgroup_id_x 1
		.amdhsa_system_sgpr_workgroup_id_y 0
		.amdhsa_system_sgpr_workgroup_id_z 0
		.amdhsa_system_sgpr_workgroup_info 0
		.amdhsa_system_vgpr_workitem_id 0
		.amdhsa_next_free_vgpr 1
		.amdhsa_next_free_sgpr 1
		.amdhsa_reserve_vcc 0
		.amdhsa_float_round_mode_32 0
		.amdhsa_float_round_mode_16_64 0
		.amdhsa_float_denorm_mode_32 3
		.amdhsa_float_denorm_mode_16_64 3
		.amdhsa_fp16_overflow 0
		.amdhsa_workgroup_processor_mode 1
		.amdhsa_memory_ordered 1
		.amdhsa_forward_progress 1
		.amdhsa_inst_pref_size 0
		.amdhsa_round_robin_scheduling 0
		.amdhsa_exception_fp_ieee_invalid_op 0
		.amdhsa_exception_fp_denorm_src 0
		.amdhsa_exception_fp_ieee_div_zero 0
		.amdhsa_exception_fp_ieee_overflow 0
		.amdhsa_exception_fp_ieee_underflow 0
		.amdhsa_exception_fp_ieee_inexact 0
		.amdhsa_exception_int_div_zero 0
	.end_amdhsa_kernel
	.section	.text._ZN7rocprim17ROCPRIM_400000_NS6detail17trampoline_kernelINS0_13select_configILj256ELj13ELNS0_17block_load_methodE3ELS4_3ELS4_3ELNS0_20block_scan_algorithmE0ELj4294967295EEENS1_25partition_config_selectorILNS1_17partition_subalgoE3EjNS0_10empty_typeEbEEZZNS1_14partition_implILS8_3ELb0ES6_jNS0_17counting_iteratorIjlEEPS9_SE_NS0_5tupleIJPjSE_EEENSF_IJSE_SE_EEES9_SG_JZNS1_25segmented_radix_sort_implINS0_14default_configELb1EPKhPhPKlPlN2at6native12_GLOBAL__N_18offset_tEEE10hipError_tPvRmT1_PNSt15iterator_traitsISY_E10value_typeET2_T3_PNSZ_IS14_E10value_typeET4_jRbjT5_S1A_jjP12ihipStream_tbEUljE_EEESV_SW_SX_S14_S18_S1A_T6_T7_T9_mT8_S1C_bDpT10_ENKUlT_T0_E_clISt17integral_constantIbLb0EES1O_IbLb1EEEEDaS1K_S1L_EUlS1K_E_NS1_11comp_targetILNS1_3genE3ELNS1_11target_archE908ELNS1_3gpuE7ELNS1_3repE0EEENS1_30default_config_static_selectorELNS0_4arch9wavefront6targetE0EEEvSY_,"axG",@progbits,_ZN7rocprim17ROCPRIM_400000_NS6detail17trampoline_kernelINS0_13select_configILj256ELj13ELNS0_17block_load_methodE3ELS4_3ELS4_3ELNS0_20block_scan_algorithmE0ELj4294967295EEENS1_25partition_config_selectorILNS1_17partition_subalgoE3EjNS0_10empty_typeEbEEZZNS1_14partition_implILS8_3ELb0ES6_jNS0_17counting_iteratorIjlEEPS9_SE_NS0_5tupleIJPjSE_EEENSF_IJSE_SE_EEES9_SG_JZNS1_25segmented_radix_sort_implINS0_14default_configELb1EPKhPhPKlPlN2at6native12_GLOBAL__N_18offset_tEEE10hipError_tPvRmT1_PNSt15iterator_traitsISY_E10value_typeET2_T3_PNSZ_IS14_E10value_typeET4_jRbjT5_S1A_jjP12ihipStream_tbEUljE_EEESV_SW_SX_S14_S18_S1A_T6_T7_T9_mT8_S1C_bDpT10_ENKUlT_T0_E_clISt17integral_constantIbLb0EES1O_IbLb1EEEEDaS1K_S1L_EUlS1K_E_NS1_11comp_targetILNS1_3genE3ELNS1_11target_archE908ELNS1_3gpuE7ELNS1_3repE0EEENS1_30default_config_static_selectorELNS0_4arch9wavefront6targetE0EEEvSY_,comdat
.Lfunc_end78:
	.size	_ZN7rocprim17ROCPRIM_400000_NS6detail17trampoline_kernelINS0_13select_configILj256ELj13ELNS0_17block_load_methodE3ELS4_3ELS4_3ELNS0_20block_scan_algorithmE0ELj4294967295EEENS1_25partition_config_selectorILNS1_17partition_subalgoE3EjNS0_10empty_typeEbEEZZNS1_14partition_implILS8_3ELb0ES6_jNS0_17counting_iteratorIjlEEPS9_SE_NS0_5tupleIJPjSE_EEENSF_IJSE_SE_EEES9_SG_JZNS1_25segmented_radix_sort_implINS0_14default_configELb1EPKhPhPKlPlN2at6native12_GLOBAL__N_18offset_tEEE10hipError_tPvRmT1_PNSt15iterator_traitsISY_E10value_typeET2_T3_PNSZ_IS14_E10value_typeET4_jRbjT5_S1A_jjP12ihipStream_tbEUljE_EEESV_SW_SX_S14_S18_S1A_T6_T7_T9_mT8_S1C_bDpT10_ENKUlT_T0_E_clISt17integral_constantIbLb0EES1O_IbLb1EEEEDaS1K_S1L_EUlS1K_E_NS1_11comp_targetILNS1_3genE3ELNS1_11target_archE908ELNS1_3gpuE7ELNS1_3repE0EEENS1_30default_config_static_selectorELNS0_4arch9wavefront6targetE0EEEvSY_, .Lfunc_end78-_ZN7rocprim17ROCPRIM_400000_NS6detail17trampoline_kernelINS0_13select_configILj256ELj13ELNS0_17block_load_methodE3ELS4_3ELS4_3ELNS0_20block_scan_algorithmE0ELj4294967295EEENS1_25partition_config_selectorILNS1_17partition_subalgoE3EjNS0_10empty_typeEbEEZZNS1_14partition_implILS8_3ELb0ES6_jNS0_17counting_iteratorIjlEEPS9_SE_NS0_5tupleIJPjSE_EEENSF_IJSE_SE_EEES9_SG_JZNS1_25segmented_radix_sort_implINS0_14default_configELb1EPKhPhPKlPlN2at6native12_GLOBAL__N_18offset_tEEE10hipError_tPvRmT1_PNSt15iterator_traitsISY_E10value_typeET2_T3_PNSZ_IS14_E10value_typeET4_jRbjT5_S1A_jjP12ihipStream_tbEUljE_EEESV_SW_SX_S14_S18_S1A_T6_T7_T9_mT8_S1C_bDpT10_ENKUlT_T0_E_clISt17integral_constantIbLb0EES1O_IbLb1EEEEDaS1K_S1L_EUlS1K_E_NS1_11comp_targetILNS1_3genE3ELNS1_11target_archE908ELNS1_3gpuE7ELNS1_3repE0EEENS1_30default_config_static_selectorELNS0_4arch9wavefront6targetE0EEEvSY_
                                        ; -- End function
	.set _ZN7rocprim17ROCPRIM_400000_NS6detail17trampoline_kernelINS0_13select_configILj256ELj13ELNS0_17block_load_methodE3ELS4_3ELS4_3ELNS0_20block_scan_algorithmE0ELj4294967295EEENS1_25partition_config_selectorILNS1_17partition_subalgoE3EjNS0_10empty_typeEbEEZZNS1_14partition_implILS8_3ELb0ES6_jNS0_17counting_iteratorIjlEEPS9_SE_NS0_5tupleIJPjSE_EEENSF_IJSE_SE_EEES9_SG_JZNS1_25segmented_radix_sort_implINS0_14default_configELb1EPKhPhPKlPlN2at6native12_GLOBAL__N_18offset_tEEE10hipError_tPvRmT1_PNSt15iterator_traitsISY_E10value_typeET2_T3_PNSZ_IS14_E10value_typeET4_jRbjT5_S1A_jjP12ihipStream_tbEUljE_EEESV_SW_SX_S14_S18_S1A_T6_T7_T9_mT8_S1C_bDpT10_ENKUlT_T0_E_clISt17integral_constantIbLb0EES1O_IbLb1EEEEDaS1K_S1L_EUlS1K_E_NS1_11comp_targetILNS1_3genE3ELNS1_11target_archE908ELNS1_3gpuE7ELNS1_3repE0EEENS1_30default_config_static_selectorELNS0_4arch9wavefront6targetE0EEEvSY_.num_vgpr, 0
	.set _ZN7rocprim17ROCPRIM_400000_NS6detail17trampoline_kernelINS0_13select_configILj256ELj13ELNS0_17block_load_methodE3ELS4_3ELS4_3ELNS0_20block_scan_algorithmE0ELj4294967295EEENS1_25partition_config_selectorILNS1_17partition_subalgoE3EjNS0_10empty_typeEbEEZZNS1_14partition_implILS8_3ELb0ES6_jNS0_17counting_iteratorIjlEEPS9_SE_NS0_5tupleIJPjSE_EEENSF_IJSE_SE_EEES9_SG_JZNS1_25segmented_radix_sort_implINS0_14default_configELb1EPKhPhPKlPlN2at6native12_GLOBAL__N_18offset_tEEE10hipError_tPvRmT1_PNSt15iterator_traitsISY_E10value_typeET2_T3_PNSZ_IS14_E10value_typeET4_jRbjT5_S1A_jjP12ihipStream_tbEUljE_EEESV_SW_SX_S14_S18_S1A_T6_T7_T9_mT8_S1C_bDpT10_ENKUlT_T0_E_clISt17integral_constantIbLb0EES1O_IbLb1EEEEDaS1K_S1L_EUlS1K_E_NS1_11comp_targetILNS1_3genE3ELNS1_11target_archE908ELNS1_3gpuE7ELNS1_3repE0EEENS1_30default_config_static_selectorELNS0_4arch9wavefront6targetE0EEEvSY_.num_agpr, 0
	.set _ZN7rocprim17ROCPRIM_400000_NS6detail17trampoline_kernelINS0_13select_configILj256ELj13ELNS0_17block_load_methodE3ELS4_3ELS4_3ELNS0_20block_scan_algorithmE0ELj4294967295EEENS1_25partition_config_selectorILNS1_17partition_subalgoE3EjNS0_10empty_typeEbEEZZNS1_14partition_implILS8_3ELb0ES6_jNS0_17counting_iteratorIjlEEPS9_SE_NS0_5tupleIJPjSE_EEENSF_IJSE_SE_EEES9_SG_JZNS1_25segmented_radix_sort_implINS0_14default_configELb1EPKhPhPKlPlN2at6native12_GLOBAL__N_18offset_tEEE10hipError_tPvRmT1_PNSt15iterator_traitsISY_E10value_typeET2_T3_PNSZ_IS14_E10value_typeET4_jRbjT5_S1A_jjP12ihipStream_tbEUljE_EEESV_SW_SX_S14_S18_S1A_T6_T7_T9_mT8_S1C_bDpT10_ENKUlT_T0_E_clISt17integral_constantIbLb0EES1O_IbLb1EEEEDaS1K_S1L_EUlS1K_E_NS1_11comp_targetILNS1_3genE3ELNS1_11target_archE908ELNS1_3gpuE7ELNS1_3repE0EEENS1_30default_config_static_selectorELNS0_4arch9wavefront6targetE0EEEvSY_.numbered_sgpr, 0
	.set _ZN7rocprim17ROCPRIM_400000_NS6detail17trampoline_kernelINS0_13select_configILj256ELj13ELNS0_17block_load_methodE3ELS4_3ELS4_3ELNS0_20block_scan_algorithmE0ELj4294967295EEENS1_25partition_config_selectorILNS1_17partition_subalgoE3EjNS0_10empty_typeEbEEZZNS1_14partition_implILS8_3ELb0ES6_jNS0_17counting_iteratorIjlEEPS9_SE_NS0_5tupleIJPjSE_EEENSF_IJSE_SE_EEES9_SG_JZNS1_25segmented_radix_sort_implINS0_14default_configELb1EPKhPhPKlPlN2at6native12_GLOBAL__N_18offset_tEEE10hipError_tPvRmT1_PNSt15iterator_traitsISY_E10value_typeET2_T3_PNSZ_IS14_E10value_typeET4_jRbjT5_S1A_jjP12ihipStream_tbEUljE_EEESV_SW_SX_S14_S18_S1A_T6_T7_T9_mT8_S1C_bDpT10_ENKUlT_T0_E_clISt17integral_constantIbLb0EES1O_IbLb1EEEEDaS1K_S1L_EUlS1K_E_NS1_11comp_targetILNS1_3genE3ELNS1_11target_archE908ELNS1_3gpuE7ELNS1_3repE0EEENS1_30default_config_static_selectorELNS0_4arch9wavefront6targetE0EEEvSY_.num_named_barrier, 0
	.set _ZN7rocprim17ROCPRIM_400000_NS6detail17trampoline_kernelINS0_13select_configILj256ELj13ELNS0_17block_load_methodE3ELS4_3ELS4_3ELNS0_20block_scan_algorithmE0ELj4294967295EEENS1_25partition_config_selectorILNS1_17partition_subalgoE3EjNS0_10empty_typeEbEEZZNS1_14partition_implILS8_3ELb0ES6_jNS0_17counting_iteratorIjlEEPS9_SE_NS0_5tupleIJPjSE_EEENSF_IJSE_SE_EEES9_SG_JZNS1_25segmented_radix_sort_implINS0_14default_configELb1EPKhPhPKlPlN2at6native12_GLOBAL__N_18offset_tEEE10hipError_tPvRmT1_PNSt15iterator_traitsISY_E10value_typeET2_T3_PNSZ_IS14_E10value_typeET4_jRbjT5_S1A_jjP12ihipStream_tbEUljE_EEESV_SW_SX_S14_S18_S1A_T6_T7_T9_mT8_S1C_bDpT10_ENKUlT_T0_E_clISt17integral_constantIbLb0EES1O_IbLb1EEEEDaS1K_S1L_EUlS1K_E_NS1_11comp_targetILNS1_3genE3ELNS1_11target_archE908ELNS1_3gpuE7ELNS1_3repE0EEENS1_30default_config_static_selectorELNS0_4arch9wavefront6targetE0EEEvSY_.private_seg_size, 0
	.set _ZN7rocprim17ROCPRIM_400000_NS6detail17trampoline_kernelINS0_13select_configILj256ELj13ELNS0_17block_load_methodE3ELS4_3ELS4_3ELNS0_20block_scan_algorithmE0ELj4294967295EEENS1_25partition_config_selectorILNS1_17partition_subalgoE3EjNS0_10empty_typeEbEEZZNS1_14partition_implILS8_3ELb0ES6_jNS0_17counting_iteratorIjlEEPS9_SE_NS0_5tupleIJPjSE_EEENSF_IJSE_SE_EEES9_SG_JZNS1_25segmented_radix_sort_implINS0_14default_configELb1EPKhPhPKlPlN2at6native12_GLOBAL__N_18offset_tEEE10hipError_tPvRmT1_PNSt15iterator_traitsISY_E10value_typeET2_T3_PNSZ_IS14_E10value_typeET4_jRbjT5_S1A_jjP12ihipStream_tbEUljE_EEESV_SW_SX_S14_S18_S1A_T6_T7_T9_mT8_S1C_bDpT10_ENKUlT_T0_E_clISt17integral_constantIbLb0EES1O_IbLb1EEEEDaS1K_S1L_EUlS1K_E_NS1_11comp_targetILNS1_3genE3ELNS1_11target_archE908ELNS1_3gpuE7ELNS1_3repE0EEENS1_30default_config_static_selectorELNS0_4arch9wavefront6targetE0EEEvSY_.uses_vcc, 0
	.set _ZN7rocprim17ROCPRIM_400000_NS6detail17trampoline_kernelINS0_13select_configILj256ELj13ELNS0_17block_load_methodE3ELS4_3ELS4_3ELNS0_20block_scan_algorithmE0ELj4294967295EEENS1_25partition_config_selectorILNS1_17partition_subalgoE3EjNS0_10empty_typeEbEEZZNS1_14partition_implILS8_3ELb0ES6_jNS0_17counting_iteratorIjlEEPS9_SE_NS0_5tupleIJPjSE_EEENSF_IJSE_SE_EEES9_SG_JZNS1_25segmented_radix_sort_implINS0_14default_configELb1EPKhPhPKlPlN2at6native12_GLOBAL__N_18offset_tEEE10hipError_tPvRmT1_PNSt15iterator_traitsISY_E10value_typeET2_T3_PNSZ_IS14_E10value_typeET4_jRbjT5_S1A_jjP12ihipStream_tbEUljE_EEESV_SW_SX_S14_S18_S1A_T6_T7_T9_mT8_S1C_bDpT10_ENKUlT_T0_E_clISt17integral_constantIbLb0EES1O_IbLb1EEEEDaS1K_S1L_EUlS1K_E_NS1_11comp_targetILNS1_3genE3ELNS1_11target_archE908ELNS1_3gpuE7ELNS1_3repE0EEENS1_30default_config_static_selectorELNS0_4arch9wavefront6targetE0EEEvSY_.uses_flat_scratch, 0
	.set _ZN7rocprim17ROCPRIM_400000_NS6detail17trampoline_kernelINS0_13select_configILj256ELj13ELNS0_17block_load_methodE3ELS4_3ELS4_3ELNS0_20block_scan_algorithmE0ELj4294967295EEENS1_25partition_config_selectorILNS1_17partition_subalgoE3EjNS0_10empty_typeEbEEZZNS1_14partition_implILS8_3ELb0ES6_jNS0_17counting_iteratorIjlEEPS9_SE_NS0_5tupleIJPjSE_EEENSF_IJSE_SE_EEES9_SG_JZNS1_25segmented_radix_sort_implINS0_14default_configELb1EPKhPhPKlPlN2at6native12_GLOBAL__N_18offset_tEEE10hipError_tPvRmT1_PNSt15iterator_traitsISY_E10value_typeET2_T3_PNSZ_IS14_E10value_typeET4_jRbjT5_S1A_jjP12ihipStream_tbEUljE_EEESV_SW_SX_S14_S18_S1A_T6_T7_T9_mT8_S1C_bDpT10_ENKUlT_T0_E_clISt17integral_constantIbLb0EES1O_IbLb1EEEEDaS1K_S1L_EUlS1K_E_NS1_11comp_targetILNS1_3genE3ELNS1_11target_archE908ELNS1_3gpuE7ELNS1_3repE0EEENS1_30default_config_static_selectorELNS0_4arch9wavefront6targetE0EEEvSY_.has_dyn_sized_stack, 0
	.set _ZN7rocprim17ROCPRIM_400000_NS6detail17trampoline_kernelINS0_13select_configILj256ELj13ELNS0_17block_load_methodE3ELS4_3ELS4_3ELNS0_20block_scan_algorithmE0ELj4294967295EEENS1_25partition_config_selectorILNS1_17partition_subalgoE3EjNS0_10empty_typeEbEEZZNS1_14partition_implILS8_3ELb0ES6_jNS0_17counting_iteratorIjlEEPS9_SE_NS0_5tupleIJPjSE_EEENSF_IJSE_SE_EEES9_SG_JZNS1_25segmented_radix_sort_implINS0_14default_configELb1EPKhPhPKlPlN2at6native12_GLOBAL__N_18offset_tEEE10hipError_tPvRmT1_PNSt15iterator_traitsISY_E10value_typeET2_T3_PNSZ_IS14_E10value_typeET4_jRbjT5_S1A_jjP12ihipStream_tbEUljE_EEESV_SW_SX_S14_S18_S1A_T6_T7_T9_mT8_S1C_bDpT10_ENKUlT_T0_E_clISt17integral_constantIbLb0EES1O_IbLb1EEEEDaS1K_S1L_EUlS1K_E_NS1_11comp_targetILNS1_3genE3ELNS1_11target_archE908ELNS1_3gpuE7ELNS1_3repE0EEENS1_30default_config_static_selectorELNS0_4arch9wavefront6targetE0EEEvSY_.has_recursion, 0
	.set _ZN7rocprim17ROCPRIM_400000_NS6detail17trampoline_kernelINS0_13select_configILj256ELj13ELNS0_17block_load_methodE3ELS4_3ELS4_3ELNS0_20block_scan_algorithmE0ELj4294967295EEENS1_25partition_config_selectorILNS1_17partition_subalgoE3EjNS0_10empty_typeEbEEZZNS1_14partition_implILS8_3ELb0ES6_jNS0_17counting_iteratorIjlEEPS9_SE_NS0_5tupleIJPjSE_EEENSF_IJSE_SE_EEES9_SG_JZNS1_25segmented_radix_sort_implINS0_14default_configELb1EPKhPhPKlPlN2at6native12_GLOBAL__N_18offset_tEEE10hipError_tPvRmT1_PNSt15iterator_traitsISY_E10value_typeET2_T3_PNSZ_IS14_E10value_typeET4_jRbjT5_S1A_jjP12ihipStream_tbEUljE_EEESV_SW_SX_S14_S18_S1A_T6_T7_T9_mT8_S1C_bDpT10_ENKUlT_T0_E_clISt17integral_constantIbLb0EES1O_IbLb1EEEEDaS1K_S1L_EUlS1K_E_NS1_11comp_targetILNS1_3genE3ELNS1_11target_archE908ELNS1_3gpuE7ELNS1_3repE0EEENS1_30default_config_static_selectorELNS0_4arch9wavefront6targetE0EEEvSY_.has_indirect_call, 0
	.section	.AMDGPU.csdata,"",@progbits
; Kernel info:
; codeLenInByte = 0
; TotalNumSgprs: 0
; NumVgprs: 0
; ScratchSize: 0
; MemoryBound: 0
; FloatMode: 240
; IeeeMode: 1
; LDSByteSize: 0 bytes/workgroup (compile time only)
; SGPRBlocks: 0
; VGPRBlocks: 0
; NumSGPRsForWavesPerEU: 1
; NumVGPRsForWavesPerEU: 1
; Occupancy: 16
; WaveLimiterHint : 0
; COMPUTE_PGM_RSRC2:SCRATCH_EN: 0
; COMPUTE_PGM_RSRC2:USER_SGPR: 2
; COMPUTE_PGM_RSRC2:TRAP_HANDLER: 0
; COMPUTE_PGM_RSRC2:TGID_X_EN: 1
; COMPUTE_PGM_RSRC2:TGID_Y_EN: 0
; COMPUTE_PGM_RSRC2:TGID_Z_EN: 0
; COMPUTE_PGM_RSRC2:TIDIG_COMP_CNT: 0
	.section	.text._ZN7rocprim17ROCPRIM_400000_NS6detail17trampoline_kernelINS0_13select_configILj256ELj13ELNS0_17block_load_methodE3ELS4_3ELS4_3ELNS0_20block_scan_algorithmE0ELj4294967295EEENS1_25partition_config_selectorILNS1_17partition_subalgoE3EjNS0_10empty_typeEbEEZZNS1_14partition_implILS8_3ELb0ES6_jNS0_17counting_iteratorIjlEEPS9_SE_NS0_5tupleIJPjSE_EEENSF_IJSE_SE_EEES9_SG_JZNS1_25segmented_radix_sort_implINS0_14default_configELb1EPKhPhPKlPlN2at6native12_GLOBAL__N_18offset_tEEE10hipError_tPvRmT1_PNSt15iterator_traitsISY_E10value_typeET2_T3_PNSZ_IS14_E10value_typeET4_jRbjT5_S1A_jjP12ihipStream_tbEUljE_EEESV_SW_SX_S14_S18_S1A_T6_T7_T9_mT8_S1C_bDpT10_ENKUlT_T0_E_clISt17integral_constantIbLb0EES1O_IbLb1EEEEDaS1K_S1L_EUlS1K_E_NS1_11comp_targetILNS1_3genE2ELNS1_11target_archE906ELNS1_3gpuE6ELNS1_3repE0EEENS1_30default_config_static_selectorELNS0_4arch9wavefront6targetE0EEEvSY_,"axG",@progbits,_ZN7rocprim17ROCPRIM_400000_NS6detail17trampoline_kernelINS0_13select_configILj256ELj13ELNS0_17block_load_methodE3ELS4_3ELS4_3ELNS0_20block_scan_algorithmE0ELj4294967295EEENS1_25partition_config_selectorILNS1_17partition_subalgoE3EjNS0_10empty_typeEbEEZZNS1_14partition_implILS8_3ELb0ES6_jNS0_17counting_iteratorIjlEEPS9_SE_NS0_5tupleIJPjSE_EEENSF_IJSE_SE_EEES9_SG_JZNS1_25segmented_radix_sort_implINS0_14default_configELb1EPKhPhPKlPlN2at6native12_GLOBAL__N_18offset_tEEE10hipError_tPvRmT1_PNSt15iterator_traitsISY_E10value_typeET2_T3_PNSZ_IS14_E10value_typeET4_jRbjT5_S1A_jjP12ihipStream_tbEUljE_EEESV_SW_SX_S14_S18_S1A_T6_T7_T9_mT8_S1C_bDpT10_ENKUlT_T0_E_clISt17integral_constantIbLb0EES1O_IbLb1EEEEDaS1K_S1L_EUlS1K_E_NS1_11comp_targetILNS1_3genE2ELNS1_11target_archE906ELNS1_3gpuE6ELNS1_3repE0EEENS1_30default_config_static_selectorELNS0_4arch9wavefront6targetE0EEEvSY_,comdat
	.globl	_ZN7rocprim17ROCPRIM_400000_NS6detail17trampoline_kernelINS0_13select_configILj256ELj13ELNS0_17block_load_methodE3ELS4_3ELS4_3ELNS0_20block_scan_algorithmE0ELj4294967295EEENS1_25partition_config_selectorILNS1_17partition_subalgoE3EjNS0_10empty_typeEbEEZZNS1_14partition_implILS8_3ELb0ES6_jNS0_17counting_iteratorIjlEEPS9_SE_NS0_5tupleIJPjSE_EEENSF_IJSE_SE_EEES9_SG_JZNS1_25segmented_radix_sort_implINS0_14default_configELb1EPKhPhPKlPlN2at6native12_GLOBAL__N_18offset_tEEE10hipError_tPvRmT1_PNSt15iterator_traitsISY_E10value_typeET2_T3_PNSZ_IS14_E10value_typeET4_jRbjT5_S1A_jjP12ihipStream_tbEUljE_EEESV_SW_SX_S14_S18_S1A_T6_T7_T9_mT8_S1C_bDpT10_ENKUlT_T0_E_clISt17integral_constantIbLb0EES1O_IbLb1EEEEDaS1K_S1L_EUlS1K_E_NS1_11comp_targetILNS1_3genE2ELNS1_11target_archE906ELNS1_3gpuE6ELNS1_3repE0EEENS1_30default_config_static_selectorELNS0_4arch9wavefront6targetE0EEEvSY_ ; -- Begin function _ZN7rocprim17ROCPRIM_400000_NS6detail17trampoline_kernelINS0_13select_configILj256ELj13ELNS0_17block_load_methodE3ELS4_3ELS4_3ELNS0_20block_scan_algorithmE0ELj4294967295EEENS1_25partition_config_selectorILNS1_17partition_subalgoE3EjNS0_10empty_typeEbEEZZNS1_14partition_implILS8_3ELb0ES6_jNS0_17counting_iteratorIjlEEPS9_SE_NS0_5tupleIJPjSE_EEENSF_IJSE_SE_EEES9_SG_JZNS1_25segmented_radix_sort_implINS0_14default_configELb1EPKhPhPKlPlN2at6native12_GLOBAL__N_18offset_tEEE10hipError_tPvRmT1_PNSt15iterator_traitsISY_E10value_typeET2_T3_PNSZ_IS14_E10value_typeET4_jRbjT5_S1A_jjP12ihipStream_tbEUljE_EEESV_SW_SX_S14_S18_S1A_T6_T7_T9_mT8_S1C_bDpT10_ENKUlT_T0_E_clISt17integral_constantIbLb0EES1O_IbLb1EEEEDaS1K_S1L_EUlS1K_E_NS1_11comp_targetILNS1_3genE2ELNS1_11target_archE906ELNS1_3gpuE6ELNS1_3repE0EEENS1_30default_config_static_selectorELNS0_4arch9wavefront6targetE0EEEvSY_
	.p2align	8
	.type	_ZN7rocprim17ROCPRIM_400000_NS6detail17trampoline_kernelINS0_13select_configILj256ELj13ELNS0_17block_load_methodE3ELS4_3ELS4_3ELNS0_20block_scan_algorithmE0ELj4294967295EEENS1_25partition_config_selectorILNS1_17partition_subalgoE3EjNS0_10empty_typeEbEEZZNS1_14partition_implILS8_3ELb0ES6_jNS0_17counting_iteratorIjlEEPS9_SE_NS0_5tupleIJPjSE_EEENSF_IJSE_SE_EEES9_SG_JZNS1_25segmented_radix_sort_implINS0_14default_configELb1EPKhPhPKlPlN2at6native12_GLOBAL__N_18offset_tEEE10hipError_tPvRmT1_PNSt15iterator_traitsISY_E10value_typeET2_T3_PNSZ_IS14_E10value_typeET4_jRbjT5_S1A_jjP12ihipStream_tbEUljE_EEESV_SW_SX_S14_S18_S1A_T6_T7_T9_mT8_S1C_bDpT10_ENKUlT_T0_E_clISt17integral_constantIbLb0EES1O_IbLb1EEEEDaS1K_S1L_EUlS1K_E_NS1_11comp_targetILNS1_3genE2ELNS1_11target_archE906ELNS1_3gpuE6ELNS1_3repE0EEENS1_30default_config_static_selectorELNS0_4arch9wavefront6targetE0EEEvSY_,@function
_ZN7rocprim17ROCPRIM_400000_NS6detail17trampoline_kernelINS0_13select_configILj256ELj13ELNS0_17block_load_methodE3ELS4_3ELS4_3ELNS0_20block_scan_algorithmE0ELj4294967295EEENS1_25partition_config_selectorILNS1_17partition_subalgoE3EjNS0_10empty_typeEbEEZZNS1_14partition_implILS8_3ELb0ES6_jNS0_17counting_iteratorIjlEEPS9_SE_NS0_5tupleIJPjSE_EEENSF_IJSE_SE_EEES9_SG_JZNS1_25segmented_radix_sort_implINS0_14default_configELb1EPKhPhPKlPlN2at6native12_GLOBAL__N_18offset_tEEE10hipError_tPvRmT1_PNSt15iterator_traitsISY_E10value_typeET2_T3_PNSZ_IS14_E10value_typeET4_jRbjT5_S1A_jjP12ihipStream_tbEUljE_EEESV_SW_SX_S14_S18_S1A_T6_T7_T9_mT8_S1C_bDpT10_ENKUlT_T0_E_clISt17integral_constantIbLb0EES1O_IbLb1EEEEDaS1K_S1L_EUlS1K_E_NS1_11comp_targetILNS1_3genE2ELNS1_11target_archE906ELNS1_3gpuE6ELNS1_3repE0EEENS1_30default_config_static_selectorELNS0_4arch9wavefront6targetE0EEEvSY_: ; @_ZN7rocprim17ROCPRIM_400000_NS6detail17trampoline_kernelINS0_13select_configILj256ELj13ELNS0_17block_load_methodE3ELS4_3ELS4_3ELNS0_20block_scan_algorithmE0ELj4294967295EEENS1_25partition_config_selectorILNS1_17partition_subalgoE3EjNS0_10empty_typeEbEEZZNS1_14partition_implILS8_3ELb0ES6_jNS0_17counting_iteratorIjlEEPS9_SE_NS0_5tupleIJPjSE_EEENSF_IJSE_SE_EEES9_SG_JZNS1_25segmented_radix_sort_implINS0_14default_configELb1EPKhPhPKlPlN2at6native12_GLOBAL__N_18offset_tEEE10hipError_tPvRmT1_PNSt15iterator_traitsISY_E10value_typeET2_T3_PNSZ_IS14_E10value_typeET4_jRbjT5_S1A_jjP12ihipStream_tbEUljE_EEESV_SW_SX_S14_S18_S1A_T6_T7_T9_mT8_S1C_bDpT10_ENKUlT_T0_E_clISt17integral_constantIbLb0EES1O_IbLb1EEEEDaS1K_S1L_EUlS1K_E_NS1_11comp_targetILNS1_3genE2ELNS1_11target_archE906ELNS1_3gpuE6ELNS1_3repE0EEENS1_30default_config_static_selectorELNS0_4arch9wavefront6targetE0EEEvSY_
; %bb.0:
	.section	.rodata,"a",@progbits
	.p2align	6, 0x0
	.amdhsa_kernel _ZN7rocprim17ROCPRIM_400000_NS6detail17trampoline_kernelINS0_13select_configILj256ELj13ELNS0_17block_load_methodE3ELS4_3ELS4_3ELNS0_20block_scan_algorithmE0ELj4294967295EEENS1_25partition_config_selectorILNS1_17partition_subalgoE3EjNS0_10empty_typeEbEEZZNS1_14partition_implILS8_3ELb0ES6_jNS0_17counting_iteratorIjlEEPS9_SE_NS0_5tupleIJPjSE_EEENSF_IJSE_SE_EEES9_SG_JZNS1_25segmented_radix_sort_implINS0_14default_configELb1EPKhPhPKlPlN2at6native12_GLOBAL__N_18offset_tEEE10hipError_tPvRmT1_PNSt15iterator_traitsISY_E10value_typeET2_T3_PNSZ_IS14_E10value_typeET4_jRbjT5_S1A_jjP12ihipStream_tbEUljE_EEESV_SW_SX_S14_S18_S1A_T6_T7_T9_mT8_S1C_bDpT10_ENKUlT_T0_E_clISt17integral_constantIbLb0EES1O_IbLb1EEEEDaS1K_S1L_EUlS1K_E_NS1_11comp_targetILNS1_3genE2ELNS1_11target_archE906ELNS1_3gpuE6ELNS1_3repE0EEENS1_30default_config_static_selectorELNS0_4arch9wavefront6targetE0EEEvSY_
		.amdhsa_group_segment_fixed_size 0
		.amdhsa_private_segment_fixed_size 0
		.amdhsa_kernarg_size 152
		.amdhsa_user_sgpr_count 2
		.amdhsa_user_sgpr_dispatch_ptr 0
		.amdhsa_user_sgpr_queue_ptr 0
		.amdhsa_user_sgpr_kernarg_segment_ptr 1
		.amdhsa_user_sgpr_dispatch_id 0
		.amdhsa_user_sgpr_private_segment_size 0
		.amdhsa_wavefront_size32 1
		.amdhsa_uses_dynamic_stack 0
		.amdhsa_enable_private_segment 0
		.amdhsa_system_sgpr_workgroup_id_x 1
		.amdhsa_system_sgpr_workgroup_id_y 0
		.amdhsa_system_sgpr_workgroup_id_z 0
		.amdhsa_system_sgpr_workgroup_info 0
		.amdhsa_system_vgpr_workitem_id 0
		.amdhsa_next_free_vgpr 1
		.amdhsa_next_free_sgpr 1
		.amdhsa_reserve_vcc 0
		.amdhsa_float_round_mode_32 0
		.amdhsa_float_round_mode_16_64 0
		.amdhsa_float_denorm_mode_32 3
		.amdhsa_float_denorm_mode_16_64 3
		.amdhsa_fp16_overflow 0
		.amdhsa_workgroup_processor_mode 1
		.amdhsa_memory_ordered 1
		.amdhsa_forward_progress 1
		.amdhsa_inst_pref_size 0
		.amdhsa_round_robin_scheduling 0
		.amdhsa_exception_fp_ieee_invalid_op 0
		.amdhsa_exception_fp_denorm_src 0
		.amdhsa_exception_fp_ieee_div_zero 0
		.amdhsa_exception_fp_ieee_overflow 0
		.amdhsa_exception_fp_ieee_underflow 0
		.amdhsa_exception_fp_ieee_inexact 0
		.amdhsa_exception_int_div_zero 0
	.end_amdhsa_kernel
	.section	.text._ZN7rocprim17ROCPRIM_400000_NS6detail17trampoline_kernelINS0_13select_configILj256ELj13ELNS0_17block_load_methodE3ELS4_3ELS4_3ELNS0_20block_scan_algorithmE0ELj4294967295EEENS1_25partition_config_selectorILNS1_17partition_subalgoE3EjNS0_10empty_typeEbEEZZNS1_14partition_implILS8_3ELb0ES6_jNS0_17counting_iteratorIjlEEPS9_SE_NS0_5tupleIJPjSE_EEENSF_IJSE_SE_EEES9_SG_JZNS1_25segmented_radix_sort_implINS0_14default_configELb1EPKhPhPKlPlN2at6native12_GLOBAL__N_18offset_tEEE10hipError_tPvRmT1_PNSt15iterator_traitsISY_E10value_typeET2_T3_PNSZ_IS14_E10value_typeET4_jRbjT5_S1A_jjP12ihipStream_tbEUljE_EEESV_SW_SX_S14_S18_S1A_T6_T7_T9_mT8_S1C_bDpT10_ENKUlT_T0_E_clISt17integral_constantIbLb0EES1O_IbLb1EEEEDaS1K_S1L_EUlS1K_E_NS1_11comp_targetILNS1_3genE2ELNS1_11target_archE906ELNS1_3gpuE6ELNS1_3repE0EEENS1_30default_config_static_selectorELNS0_4arch9wavefront6targetE0EEEvSY_,"axG",@progbits,_ZN7rocprim17ROCPRIM_400000_NS6detail17trampoline_kernelINS0_13select_configILj256ELj13ELNS0_17block_load_methodE3ELS4_3ELS4_3ELNS0_20block_scan_algorithmE0ELj4294967295EEENS1_25partition_config_selectorILNS1_17partition_subalgoE3EjNS0_10empty_typeEbEEZZNS1_14partition_implILS8_3ELb0ES6_jNS0_17counting_iteratorIjlEEPS9_SE_NS0_5tupleIJPjSE_EEENSF_IJSE_SE_EEES9_SG_JZNS1_25segmented_radix_sort_implINS0_14default_configELb1EPKhPhPKlPlN2at6native12_GLOBAL__N_18offset_tEEE10hipError_tPvRmT1_PNSt15iterator_traitsISY_E10value_typeET2_T3_PNSZ_IS14_E10value_typeET4_jRbjT5_S1A_jjP12ihipStream_tbEUljE_EEESV_SW_SX_S14_S18_S1A_T6_T7_T9_mT8_S1C_bDpT10_ENKUlT_T0_E_clISt17integral_constantIbLb0EES1O_IbLb1EEEEDaS1K_S1L_EUlS1K_E_NS1_11comp_targetILNS1_3genE2ELNS1_11target_archE906ELNS1_3gpuE6ELNS1_3repE0EEENS1_30default_config_static_selectorELNS0_4arch9wavefront6targetE0EEEvSY_,comdat
.Lfunc_end79:
	.size	_ZN7rocprim17ROCPRIM_400000_NS6detail17trampoline_kernelINS0_13select_configILj256ELj13ELNS0_17block_load_methodE3ELS4_3ELS4_3ELNS0_20block_scan_algorithmE0ELj4294967295EEENS1_25partition_config_selectorILNS1_17partition_subalgoE3EjNS0_10empty_typeEbEEZZNS1_14partition_implILS8_3ELb0ES6_jNS0_17counting_iteratorIjlEEPS9_SE_NS0_5tupleIJPjSE_EEENSF_IJSE_SE_EEES9_SG_JZNS1_25segmented_radix_sort_implINS0_14default_configELb1EPKhPhPKlPlN2at6native12_GLOBAL__N_18offset_tEEE10hipError_tPvRmT1_PNSt15iterator_traitsISY_E10value_typeET2_T3_PNSZ_IS14_E10value_typeET4_jRbjT5_S1A_jjP12ihipStream_tbEUljE_EEESV_SW_SX_S14_S18_S1A_T6_T7_T9_mT8_S1C_bDpT10_ENKUlT_T0_E_clISt17integral_constantIbLb0EES1O_IbLb1EEEEDaS1K_S1L_EUlS1K_E_NS1_11comp_targetILNS1_3genE2ELNS1_11target_archE906ELNS1_3gpuE6ELNS1_3repE0EEENS1_30default_config_static_selectorELNS0_4arch9wavefront6targetE0EEEvSY_, .Lfunc_end79-_ZN7rocprim17ROCPRIM_400000_NS6detail17trampoline_kernelINS0_13select_configILj256ELj13ELNS0_17block_load_methodE3ELS4_3ELS4_3ELNS0_20block_scan_algorithmE0ELj4294967295EEENS1_25partition_config_selectorILNS1_17partition_subalgoE3EjNS0_10empty_typeEbEEZZNS1_14partition_implILS8_3ELb0ES6_jNS0_17counting_iteratorIjlEEPS9_SE_NS0_5tupleIJPjSE_EEENSF_IJSE_SE_EEES9_SG_JZNS1_25segmented_radix_sort_implINS0_14default_configELb1EPKhPhPKlPlN2at6native12_GLOBAL__N_18offset_tEEE10hipError_tPvRmT1_PNSt15iterator_traitsISY_E10value_typeET2_T3_PNSZ_IS14_E10value_typeET4_jRbjT5_S1A_jjP12ihipStream_tbEUljE_EEESV_SW_SX_S14_S18_S1A_T6_T7_T9_mT8_S1C_bDpT10_ENKUlT_T0_E_clISt17integral_constantIbLb0EES1O_IbLb1EEEEDaS1K_S1L_EUlS1K_E_NS1_11comp_targetILNS1_3genE2ELNS1_11target_archE906ELNS1_3gpuE6ELNS1_3repE0EEENS1_30default_config_static_selectorELNS0_4arch9wavefront6targetE0EEEvSY_
                                        ; -- End function
	.set _ZN7rocprim17ROCPRIM_400000_NS6detail17trampoline_kernelINS0_13select_configILj256ELj13ELNS0_17block_load_methodE3ELS4_3ELS4_3ELNS0_20block_scan_algorithmE0ELj4294967295EEENS1_25partition_config_selectorILNS1_17partition_subalgoE3EjNS0_10empty_typeEbEEZZNS1_14partition_implILS8_3ELb0ES6_jNS0_17counting_iteratorIjlEEPS9_SE_NS0_5tupleIJPjSE_EEENSF_IJSE_SE_EEES9_SG_JZNS1_25segmented_radix_sort_implINS0_14default_configELb1EPKhPhPKlPlN2at6native12_GLOBAL__N_18offset_tEEE10hipError_tPvRmT1_PNSt15iterator_traitsISY_E10value_typeET2_T3_PNSZ_IS14_E10value_typeET4_jRbjT5_S1A_jjP12ihipStream_tbEUljE_EEESV_SW_SX_S14_S18_S1A_T6_T7_T9_mT8_S1C_bDpT10_ENKUlT_T0_E_clISt17integral_constantIbLb0EES1O_IbLb1EEEEDaS1K_S1L_EUlS1K_E_NS1_11comp_targetILNS1_3genE2ELNS1_11target_archE906ELNS1_3gpuE6ELNS1_3repE0EEENS1_30default_config_static_selectorELNS0_4arch9wavefront6targetE0EEEvSY_.num_vgpr, 0
	.set _ZN7rocprim17ROCPRIM_400000_NS6detail17trampoline_kernelINS0_13select_configILj256ELj13ELNS0_17block_load_methodE3ELS4_3ELS4_3ELNS0_20block_scan_algorithmE0ELj4294967295EEENS1_25partition_config_selectorILNS1_17partition_subalgoE3EjNS0_10empty_typeEbEEZZNS1_14partition_implILS8_3ELb0ES6_jNS0_17counting_iteratorIjlEEPS9_SE_NS0_5tupleIJPjSE_EEENSF_IJSE_SE_EEES9_SG_JZNS1_25segmented_radix_sort_implINS0_14default_configELb1EPKhPhPKlPlN2at6native12_GLOBAL__N_18offset_tEEE10hipError_tPvRmT1_PNSt15iterator_traitsISY_E10value_typeET2_T3_PNSZ_IS14_E10value_typeET4_jRbjT5_S1A_jjP12ihipStream_tbEUljE_EEESV_SW_SX_S14_S18_S1A_T6_T7_T9_mT8_S1C_bDpT10_ENKUlT_T0_E_clISt17integral_constantIbLb0EES1O_IbLb1EEEEDaS1K_S1L_EUlS1K_E_NS1_11comp_targetILNS1_3genE2ELNS1_11target_archE906ELNS1_3gpuE6ELNS1_3repE0EEENS1_30default_config_static_selectorELNS0_4arch9wavefront6targetE0EEEvSY_.num_agpr, 0
	.set _ZN7rocprim17ROCPRIM_400000_NS6detail17trampoline_kernelINS0_13select_configILj256ELj13ELNS0_17block_load_methodE3ELS4_3ELS4_3ELNS0_20block_scan_algorithmE0ELj4294967295EEENS1_25partition_config_selectorILNS1_17partition_subalgoE3EjNS0_10empty_typeEbEEZZNS1_14partition_implILS8_3ELb0ES6_jNS0_17counting_iteratorIjlEEPS9_SE_NS0_5tupleIJPjSE_EEENSF_IJSE_SE_EEES9_SG_JZNS1_25segmented_radix_sort_implINS0_14default_configELb1EPKhPhPKlPlN2at6native12_GLOBAL__N_18offset_tEEE10hipError_tPvRmT1_PNSt15iterator_traitsISY_E10value_typeET2_T3_PNSZ_IS14_E10value_typeET4_jRbjT5_S1A_jjP12ihipStream_tbEUljE_EEESV_SW_SX_S14_S18_S1A_T6_T7_T9_mT8_S1C_bDpT10_ENKUlT_T0_E_clISt17integral_constantIbLb0EES1O_IbLb1EEEEDaS1K_S1L_EUlS1K_E_NS1_11comp_targetILNS1_3genE2ELNS1_11target_archE906ELNS1_3gpuE6ELNS1_3repE0EEENS1_30default_config_static_selectorELNS0_4arch9wavefront6targetE0EEEvSY_.numbered_sgpr, 0
	.set _ZN7rocprim17ROCPRIM_400000_NS6detail17trampoline_kernelINS0_13select_configILj256ELj13ELNS0_17block_load_methodE3ELS4_3ELS4_3ELNS0_20block_scan_algorithmE0ELj4294967295EEENS1_25partition_config_selectorILNS1_17partition_subalgoE3EjNS0_10empty_typeEbEEZZNS1_14partition_implILS8_3ELb0ES6_jNS0_17counting_iteratorIjlEEPS9_SE_NS0_5tupleIJPjSE_EEENSF_IJSE_SE_EEES9_SG_JZNS1_25segmented_radix_sort_implINS0_14default_configELb1EPKhPhPKlPlN2at6native12_GLOBAL__N_18offset_tEEE10hipError_tPvRmT1_PNSt15iterator_traitsISY_E10value_typeET2_T3_PNSZ_IS14_E10value_typeET4_jRbjT5_S1A_jjP12ihipStream_tbEUljE_EEESV_SW_SX_S14_S18_S1A_T6_T7_T9_mT8_S1C_bDpT10_ENKUlT_T0_E_clISt17integral_constantIbLb0EES1O_IbLb1EEEEDaS1K_S1L_EUlS1K_E_NS1_11comp_targetILNS1_3genE2ELNS1_11target_archE906ELNS1_3gpuE6ELNS1_3repE0EEENS1_30default_config_static_selectorELNS0_4arch9wavefront6targetE0EEEvSY_.num_named_barrier, 0
	.set _ZN7rocprim17ROCPRIM_400000_NS6detail17trampoline_kernelINS0_13select_configILj256ELj13ELNS0_17block_load_methodE3ELS4_3ELS4_3ELNS0_20block_scan_algorithmE0ELj4294967295EEENS1_25partition_config_selectorILNS1_17partition_subalgoE3EjNS0_10empty_typeEbEEZZNS1_14partition_implILS8_3ELb0ES6_jNS0_17counting_iteratorIjlEEPS9_SE_NS0_5tupleIJPjSE_EEENSF_IJSE_SE_EEES9_SG_JZNS1_25segmented_radix_sort_implINS0_14default_configELb1EPKhPhPKlPlN2at6native12_GLOBAL__N_18offset_tEEE10hipError_tPvRmT1_PNSt15iterator_traitsISY_E10value_typeET2_T3_PNSZ_IS14_E10value_typeET4_jRbjT5_S1A_jjP12ihipStream_tbEUljE_EEESV_SW_SX_S14_S18_S1A_T6_T7_T9_mT8_S1C_bDpT10_ENKUlT_T0_E_clISt17integral_constantIbLb0EES1O_IbLb1EEEEDaS1K_S1L_EUlS1K_E_NS1_11comp_targetILNS1_3genE2ELNS1_11target_archE906ELNS1_3gpuE6ELNS1_3repE0EEENS1_30default_config_static_selectorELNS0_4arch9wavefront6targetE0EEEvSY_.private_seg_size, 0
	.set _ZN7rocprim17ROCPRIM_400000_NS6detail17trampoline_kernelINS0_13select_configILj256ELj13ELNS0_17block_load_methodE3ELS4_3ELS4_3ELNS0_20block_scan_algorithmE0ELj4294967295EEENS1_25partition_config_selectorILNS1_17partition_subalgoE3EjNS0_10empty_typeEbEEZZNS1_14partition_implILS8_3ELb0ES6_jNS0_17counting_iteratorIjlEEPS9_SE_NS0_5tupleIJPjSE_EEENSF_IJSE_SE_EEES9_SG_JZNS1_25segmented_radix_sort_implINS0_14default_configELb1EPKhPhPKlPlN2at6native12_GLOBAL__N_18offset_tEEE10hipError_tPvRmT1_PNSt15iterator_traitsISY_E10value_typeET2_T3_PNSZ_IS14_E10value_typeET4_jRbjT5_S1A_jjP12ihipStream_tbEUljE_EEESV_SW_SX_S14_S18_S1A_T6_T7_T9_mT8_S1C_bDpT10_ENKUlT_T0_E_clISt17integral_constantIbLb0EES1O_IbLb1EEEEDaS1K_S1L_EUlS1K_E_NS1_11comp_targetILNS1_3genE2ELNS1_11target_archE906ELNS1_3gpuE6ELNS1_3repE0EEENS1_30default_config_static_selectorELNS0_4arch9wavefront6targetE0EEEvSY_.uses_vcc, 0
	.set _ZN7rocprim17ROCPRIM_400000_NS6detail17trampoline_kernelINS0_13select_configILj256ELj13ELNS0_17block_load_methodE3ELS4_3ELS4_3ELNS0_20block_scan_algorithmE0ELj4294967295EEENS1_25partition_config_selectorILNS1_17partition_subalgoE3EjNS0_10empty_typeEbEEZZNS1_14partition_implILS8_3ELb0ES6_jNS0_17counting_iteratorIjlEEPS9_SE_NS0_5tupleIJPjSE_EEENSF_IJSE_SE_EEES9_SG_JZNS1_25segmented_radix_sort_implINS0_14default_configELb1EPKhPhPKlPlN2at6native12_GLOBAL__N_18offset_tEEE10hipError_tPvRmT1_PNSt15iterator_traitsISY_E10value_typeET2_T3_PNSZ_IS14_E10value_typeET4_jRbjT5_S1A_jjP12ihipStream_tbEUljE_EEESV_SW_SX_S14_S18_S1A_T6_T7_T9_mT8_S1C_bDpT10_ENKUlT_T0_E_clISt17integral_constantIbLb0EES1O_IbLb1EEEEDaS1K_S1L_EUlS1K_E_NS1_11comp_targetILNS1_3genE2ELNS1_11target_archE906ELNS1_3gpuE6ELNS1_3repE0EEENS1_30default_config_static_selectorELNS0_4arch9wavefront6targetE0EEEvSY_.uses_flat_scratch, 0
	.set _ZN7rocprim17ROCPRIM_400000_NS6detail17trampoline_kernelINS0_13select_configILj256ELj13ELNS0_17block_load_methodE3ELS4_3ELS4_3ELNS0_20block_scan_algorithmE0ELj4294967295EEENS1_25partition_config_selectorILNS1_17partition_subalgoE3EjNS0_10empty_typeEbEEZZNS1_14partition_implILS8_3ELb0ES6_jNS0_17counting_iteratorIjlEEPS9_SE_NS0_5tupleIJPjSE_EEENSF_IJSE_SE_EEES9_SG_JZNS1_25segmented_radix_sort_implINS0_14default_configELb1EPKhPhPKlPlN2at6native12_GLOBAL__N_18offset_tEEE10hipError_tPvRmT1_PNSt15iterator_traitsISY_E10value_typeET2_T3_PNSZ_IS14_E10value_typeET4_jRbjT5_S1A_jjP12ihipStream_tbEUljE_EEESV_SW_SX_S14_S18_S1A_T6_T7_T9_mT8_S1C_bDpT10_ENKUlT_T0_E_clISt17integral_constantIbLb0EES1O_IbLb1EEEEDaS1K_S1L_EUlS1K_E_NS1_11comp_targetILNS1_3genE2ELNS1_11target_archE906ELNS1_3gpuE6ELNS1_3repE0EEENS1_30default_config_static_selectorELNS0_4arch9wavefront6targetE0EEEvSY_.has_dyn_sized_stack, 0
	.set _ZN7rocprim17ROCPRIM_400000_NS6detail17trampoline_kernelINS0_13select_configILj256ELj13ELNS0_17block_load_methodE3ELS4_3ELS4_3ELNS0_20block_scan_algorithmE0ELj4294967295EEENS1_25partition_config_selectorILNS1_17partition_subalgoE3EjNS0_10empty_typeEbEEZZNS1_14partition_implILS8_3ELb0ES6_jNS0_17counting_iteratorIjlEEPS9_SE_NS0_5tupleIJPjSE_EEENSF_IJSE_SE_EEES9_SG_JZNS1_25segmented_radix_sort_implINS0_14default_configELb1EPKhPhPKlPlN2at6native12_GLOBAL__N_18offset_tEEE10hipError_tPvRmT1_PNSt15iterator_traitsISY_E10value_typeET2_T3_PNSZ_IS14_E10value_typeET4_jRbjT5_S1A_jjP12ihipStream_tbEUljE_EEESV_SW_SX_S14_S18_S1A_T6_T7_T9_mT8_S1C_bDpT10_ENKUlT_T0_E_clISt17integral_constantIbLb0EES1O_IbLb1EEEEDaS1K_S1L_EUlS1K_E_NS1_11comp_targetILNS1_3genE2ELNS1_11target_archE906ELNS1_3gpuE6ELNS1_3repE0EEENS1_30default_config_static_selectorELNS0_4arch9wavefront6targetE0EEEvSY_.has_recursion, 0
	.set _ZN7rocprim17ROCPRIM_400000_NS6detail17trampoline_kernelINS0_13select_configILj256ELj13ELNS0_17block_load_methodE3ELS4_3ELS4_3ELNS0_20block_scan_algorithmE0ELj4294967295EEENS1_25partition_config_selectorILNS1_17partition_subalgoE3EjNS0_10empty_typeEbEEZZNS1_14partition_implILS8_3ELb0ES6_jNS0_17counting_iteratorIjlEEPS9_SE_NS0_5tupleIJPjSE_EEENSF_IJSE_SE_EEES9_SG_JZNS1_25segmented_radix_sort_implINS0_14default_configELb1EPKhPhPKlPlN2at6native12_GLOBAL__N_18offset_tEEE10hipError_tPvRmT1_PNSt15iterator_traitsISY_E10value_typeET2_T3_PNSZ_IS14_E10value_typeET4_jRbjT5_S1A_jjP12ihipStream_tbEUljE_EEESV_SW_SX_S14_S18_S1A_T6_T7_T9_mT8_S1C_bDpT10_ENKUlT_T0_E_clISt17integral_constantIbLb0EES1O_IbLb1EEEEDaS1K_S1L_EUlS1K_E_NS1_11comp_targetILNS1_3genE2ELNS1_11target_archE906ELNS1_3gpuE6ELNS1_3repE0EEENS1_30default_config_static_selectorELNS0_4arch9wavefront6targetE0EEEvSY_.has_indirect_call, 0
	.section	.AMDGPU.csdata,"",@progbits
; Kernel info:
; codeLenInByte = 0
; TotalNumSgprs: 0
; NumVgprs: 0
; ScratchSize: 0
; MemoryBound: 0
; FloatMode: 240
; IeeeMode: 1
; LDSByteSize: 0 bytes/workgroup (compile time only)
; SGPRBlocks: 0
; VGPRBlocks: 0
; NumSGPRsForWavesPerEU: 1
; NumVGPRsForWavesPerEU: 1
; Occupancy: 16
; WaveLimiterHint : 0
; COMPUTE_PGM_RSRC2:SCRATCH_EN: 0
; COMPUTE_PGM_RSRC2:USER_SGPR: 2
; COMPUTE_PGM_RSRC2:TRAP_HANDLER: 0
; COMPUTE_PGM_RSRC2:TGID_X_EN: 1
; COMPUTE_PGM_RSRC2:TGID_Y_EN: 0
; COMPUTE_PGM_RSRC2:TGID_Z_EN: 0
; COMPUTE_PGM_RSRC2:TIDIG_COMP_CNT: 0
	.section	.text._ZN7rocprim17ROCPRIM_400000_NS6detail17trampoline_kernelINS0_13select_configILj256ELj13ELNS0_17block_load_methodE3ELS4_3ELS4_3ELNS0_20block_scan_algorithmE0ELj4294967295EEENS1_25partition_config_selectorILNS1_17partition_subalgoE3EjNS0_10empty_typeEbEEZZNS1_14partition_implILS8_3ELb0ES6_jNS0_17counting_iteratorIjlEEPS9_SE_NS0_5tupleIJPjSE_EEENSF_IJSE_SE_EEES9_SG_JZNS1_25segmented_radix_sort_implINS0_14default_configELb1EPKhPhPKlPlN2at6native12_GLOBAL__N_18offset_tEEE10hipError_tPvRmT1_PNSt15iterator_traitsISY_E10value_typeET2_T3_PNSZ_IS14_E10value_typeET4_jRbjT5_S1A_jjP12ihipStream_tbEUljE_EEESV_SW_SX_S14_S18_S1A_T6_T7_T9_mT8_S1C_bDpT10_ENKUlT_T0_E_clISt17integral_constantIbLb0EES1O_IbLb1EEEEDaS1K_S1L_EUlS1K_E_NS1_11comp_targetILNS1_3genE10ELNS1_11target_archE1200ELNS1_3gpuE4ELNS1_3repE0EEENS1_30default_config_static_selectorELNS0_4arch9wavefront6targetE0EEEvSY_,"axG",@progbits,_ZN7rocprim17ROCPRIM_400000_NS6detail17trampoline_kernelINS0_13select_configILj256ELj13ELNS0_17block_load_methodE3ELS4_3ELS4_3ELNS0_20block_scan_algorithmE0ELj4294967295EEENS1_25partition_config_selectorILNS1_17partition_subalgoE3EjNS0_10empty_typeEbEEZZNS1_14partition_implILS8_3ELb0ES6_jNS0_17counting_iteratorIjlEEPS9_SE_NS0_5tupleIJPjSE_EEENSF_IJSE_SE_EEES9_SG_JZNS1_25segmented_radix_sort_implINS0_14default_configELb1EPKhPhPKlPlN2at6native12_GLOBAL__N_18offset_tEEE10hipError_tPvRmT1_PNSt15iterator_traitsISY_E10value_typeET2_T3_PNSZ_IS14_E10value_typeET4_jRbjT5_S1A_jjP12ihipStream_tbEUljE_EEESV_SW_SX_S14_S18_S1A_T6_T7_T9_mT8_S1C_bDpT10_ENKUlT_T0_E_clISt17integral_constantIbLb0EES1O_IbLb1EEEEDaS1K_S1L_EUlS1K_E_NS1_11comp_targetILNS1_3genE10ELNS1_11target_archE1200ELNS1_3gpuE4ELNS1_3repE0EEENS1_30default_config_static_selectorELNS0_4arch9wavefront6targetE0EEEvSY_,comdat
	.globl	_ZN7rocprim17ROCPRIM_400000_NS6detail17trampoline_kernelINS0_13select_configILj256ELj13ELNS0_17block_load_methodE3ELS4_3ELS4_3ELNS0_20block_scan_algorithmE0ELj4294967295EEENS1_25partition_config_selectorILNS1_17partition_subalgoE3EjNS0_10empty_typeEbEEZZNS1_14partition_implILS8_3ELb0ES6_jNS0_17counting_iteratorIjlEEPS9_SE_NS0_5tupleIJPjSE_EEENSF_IJSE_SE_EEES9_SG_JZNS1_25segmented_radix_sort_implINS0_14default_configELb1EPKhPhPKlPlN2at6native12_GLOBAL__N_18offset_tEEE10hipError_tPvRmT1_PNSt15iterator_traitsISY_E10value_typeET2_T3_PNSZ_IS14_E10value_typeET4_jRbjT5_S1A_jjP12ihipStream_tbEUljE_EEESV_SW_SX_S14_S18_S1A_T6_T7_T9_mT8_S1C_bDpT10_ENKUlT_T0_E_clISt17integral_constantIbLb0EES1O_IbLb1EEEEDaS1K_S1L_EUlS1K_E_NS1_11comp_targetILNS1_3genE10ELNS1_11target_archE1200ELNS1_3gpuE4ELNS1_3repE0EEENS1_30default_config_static_selectorELNS0_4arch9wavefront6targetE0EEEvSY_ ; -- Begin function _ZN7rocprim17ROCPRIM_400000_NS6detail17trampoline_kernelINS0_13select_configILj256ELj13ELNS0_17block_load_methodE3ELS4_3ELS4_3ELNS0_20block_scan_algorithmE0ELj4294967295EEENS1_25partition_config_selectorILNS1_17partition_subalgoE3EjNS0_10empty_typeEbEEZZNS1_14partition_implILS8_3ELb0ES6_jNS0_17counting_iteratorIjlEEPS9_SE_NS0_5tupleIJPjSE_EEENSF_IJSE_SE_EEES9_SG_JZNS1_25segmented_radix_sort_implINS0_14default_configELb1EPKhPhPKlPlN2at6native12_GLOBAL__N_18offset_tEEE10hipError_tPvRmT1_PNSt15iterator_traitsISY_E10value_typeET2_T3_PNSZ_IS14_E10value_typeET4_jRbjT5_S1A_jjP12ihipStream_tbEUljE_EEESV_SW_SX_S14_S18_S1A_T6_T7_T9_mT8_S1C_bDpT10_ENKUlT_T0_E_clISt17integral_constantIbLb0EES1O_IbLb1EEEEDaS1K_S1L_EUlS1K_E_NS1_11comp_targetILNS1_3genE10ELNS1_11target_archE1200ELNS1_3gpuE4ELNS1_3repE0EEENS1_30default_config_static_selectorELNS0_4arch9wavefront6targetE0EEEvSY_
	.p2align	8
	.type	_ZN7rocprim17ROCPRIM_400000_NS6detail17trampoline_kernelINS0_13select_configILj256ELj13ELNS0_17block_load_methodE3ELS4_3ELS4_3ELNS0_20block_scan_algorithmE0ELj4294967295EEENS1_25partition_config_selectorILNS1_17partition_subalgoE3EjNS0_10empty_typeEbEEZZNS1_14partition_implILS8_3ELb0ES6_jNS0_17counting_iteratorIjlEEPS9_SE_NS0_5tupleIJPjSE_EEENSF_IJSE_SE_EEES9_SG_JZNS1_25segmented_radix_sort_implINS0_14default_configELb1EPKhPhPKlPlN2at6native12_GLOBAL__N_18offset_tEEE10hipError_tPvRmT1_PNSt15iterator_traitsISY_E10value_typeET2_T3_PNSZ_IS14_E10value_typeET4_jRbjT5_S1A_jjP12ihipStream_tbEUljE_EEESV_SW_SX_S14_S18_S1A_T6_T7_T9_mT8_S1C_bDpT10_ENKUlT_T0_E_clISt17integral_constantIbLb0EES1O_IbLb1EEEEDaS1K_S1L_EUlS1K_E_NS1_11comp_targetILNS1_3genE10ELNS1_11target_archE1200ELNS1_3gpuE4ELNS1_3repE0EEENS1_30default_config_static_selectorELNS0_4arch9wavefront6targetE0EEEvSY_,@function
_ZN7rocprim17ROCPRIM_400000_NS6detail17trampoline_kernelINS0_13select_configILj256ELj13ELNS0_17block_load_methodE3ELS4_3ELS4_3ELNS0_20block_scan_algorithmE0ELj4294967295EEENS1_25partition_config_selectorILNS1_17partition_subalgoE3EjNS0_10empty_typeEbEEZZNS1_14partition_implILS8_3ELb0ES6_jNS0_17counting_iteratorIjlEEPS9_SE_NS0_5tupleIJPjSE_EEENSF_IJSE_SE_EEES9_SG_JZNS1_25segmented_radix_sort_implINS0_14default_configELb1EPKhPhPKlPlN2at6native12_GLOBAL__N_18offset_tEEE10hipError_tPvRmT1_PNSt15iterator_traitsISY_E10value_typeET2_T3_PNSZ_IS14_E10value_typeET4_jRbjT5_S1A_jjP12ihipStream_tbEUljE_EEESV_SW_SX_S14_S18_S1A_T6_T7_T9_mT8_S1C_bDpT10_ENKUlT_T0_E_clISt17integral_constantIbLb0EES1O_IbLb1EEEEDaS1K_S1L_EUlS1K_E_NS1_11comp_targetILNS1_3genE10ELNS1_11target_archE1200ELNS1_3gpuE4ELNS1_3repE0EEENS1_30default_config_static_selectorELNS0_4arch9wavefront6targetE0EEEvSY_: ; @_ZN7rocprim17ROCPRIM_400000_NS6detail17trampoline_kernelINS0_13select_configILj256ELj13ELNS0_17block_load_methodE3ELS4_3ELS4_3ELNS0_20block_scan_algorithmE0ELj4294967295EEENS1_25partition_config_selectorILNS1_17partition_subalgoE3EjNS0_10empty_typeEbEEZZNS1_14partition_implILS8_3ELb0ES6_jNS0_17counting_iteratorIjlEEPS9_SE_NS0_5tupleIJPjSE_EEENSF_IJSE_SE_EEES9_SG_JZNS1_25segmented_radix_sort_implINS0_14default_configELb1EPKhPhPKlPlN2at6native12_GLOBAL__N_18offset_tEEE10hipError_tPvRmT1_PNSt15iterator_traitsISY_E10value_typeET2_T3_PNSZ_IS14_E10value_typeET4_jRbjT5_S1A_jjP12ihipStream_tbEUljE_EEESV_SW_SX_S14_S18_S1A_T6_T7_T9_mT8_S1C_bDpT10_ENKUlT_T0_E_clISt17integral_constantIbLb0EES1O_IbLb1EEEEDaS1K_S1L_EUlS1K_E_NS1_11comp_targetILNS1_3genE10ELNS1_11target_archE1200ELNS1_3gpuE4ELNS1_3repE0EEENS1_30default_config_static_selectorELNS0_4arch9wavefront6targetE0EEEvSY_
; %bb.0:
	s_clause 0x6
	s_load_b64 s[16:17], s[0:1], 0x10
	s_load_b64 s[10:11], s[0:1], 0x28
	;; [unrolled: 1-line block ×3, first 2 shown]
	s_load_b128 s[12:15], s[0:1], 0x48
	s_load_b32 s3, s[0:1], 0x90
	s_load_b64 s[20:21], s[0:1], 0x68
	s_load_b128 s[4:7], s[0:1], 0x80
	v_cmp_eq_u32_e64 s2, 0, v0
	s_and_saveexec_b32 s8, s2
	s_cbranch_execz .LBB80_4
; %bb.1:
	s_mov_b32 s22, exec_lo
	s_mov_b32 s9, exec_lo
	v_mbcnt_lo_u32_b32 v1, s22, 0
                                        ; implicit-def: $vgpr2
	s_delay_alu instid0(VALU_DEP_1)
	v_cmpx_eq_u32_e32 0, v1
	s_cbranch_execz .LBB80_3
; %bb.2:
	s_load_b64 s[24:25], s[0:1], 0x78
	s_bcnt1_i32_b32 s22, s22
	s_wait_alu 0xfffe
	v_dual_mov_b32 v2, 0 :: v_dual_mov_b32 v3, s22
	s_wait_kmcnt 0x0
	global_atomic_add_u32 v2, v2, v3, s[24:25] th:TH_ATOMIC_RETURN scope:SCOPE_DEV
.LBB80_3:
	s_or_b32 exec_lo, exec_lo, s9
	s_wait_loadcnt 0x0
	v_readfirstlane_b32 s9, v2
	s_delay_alu instid0(VALU_DEP_1)
	v_dual_mov_b32 v2, 0 :: v_dual_add_nc_u32 v1, s9, v1
	ds_store_b32 v2, v1
.LBB80_4:
	s_or_b32 exec_lo, exec_lo, s8
	v_mov_b32_e32 v1, 0
	s_clause 0x1
	s_load_b32 s8, s[0:1], 0x8
	s_load_b32 s0, s[0:1], 0x70
	s_wait_dscnt 0x0
	s_barrier_signal -1
	s_barrier_wait -1
	global_inv scope:SCOPE_SE
	ds_load_b32 v2, v1
	s_wait_loadcnt_dscnt 0x0
	s_barrier_signal -1
	s_barrier_wait -1
	global_inv scope:SCOPE_SE
	s_wait_kmcnt 0x0
	global_load_b64 v[17:18], v1, s[14:15]
	s_mov_b32 s1, 0
	v_lshlrev_b32_e32 v45, 2, v0
	s_mov_b32 s23, -1
	s_add_co_i32 s8, s8, s16
	s_add_co_i32 s9, s0, -1
	s_mulk_i32 s0, 0xd00
	s_delay_alu instid0(SALU_CYCLE_1)
	s_add_co_i32 s14, s0, s16
	s_add_nc_u64 s[0:1], s[16:17], s[0:1]
	v_readfirstlane_b32 s15, v2
	v_cmp_gt_u64_e64 s0, s[18:19], s[0:1]
	s_sub_co_i32 s22, s18, s14
	s_wait_alu 0xfffe
	v_cmp_ne_u32_e32 vcc_lo, s9, v2
	s_addk_co_i32 s22, 0xd00
	s_cmp_eq_u32 s15, s9
	s_mul_i32 s14, s15, 0xd00
	s_cselect_b32 s9, -1, 0
	s_or_b32 s1, s0, vcc_lo
	s_wait_alu 0xfffe
	s_and_b32 vcc_lo, exec_lo, s1
	s_cbranch_vccz .LBB80_6
; %bb.5:
	v_add3_u32 v1, s14, s8, v0
	s_mov_b32 s23, 0
	s_delay_alu instid0(VALU_DEP_1)
	v_add_nc_u32_e32 v2, 0x100, v1
	v_add_nc_u32_e32 v3, 0x200, v1
	;; [unrolled: 1-line block ×12, first 2 shown]
	ds_store_2addr_stride64_b32 v45, v1, v2 offset1:4
	ds_store_2addr_stride64_b32 v45, v3, v4 offset0:8 offset1:12
	ds_store_2addr_stride64_b32 v45, v5, v6 offset0:16 offset1:20
	ds_store_2addr_stride64_b32 v45, v7, v8 offset0:24 offset1:28
	ds_store_2addr_stride64_b32 v45, v9, v10 offset0:32 offset1:36
	ds_store_2addr_stride64_b32 v45, v11, v12 offset0:40 offset1:44
	ds_store_b32 v45, v13 offset:12288
	s_wait_loadcnt_dscnt 0x0
	s_barrier_signal -1
	s_barrier_wait -1
.LBB80_6:
	v_cmp_gt_u32_e64 s0, s22, v0
	v_or_b32_e32 v44, 0x100, v0
	v_or_b32_e32 v43, 0x200, v0
	;; [unrolled: 1-line block ×12, first 2 shown]
	s_wait_alu 0xfffe
	s_and_not1_b32 vcc_lo, exec_lo, s23
	s_cbranch_vccnz .LBB80_8
; %bb.7:
	s_add_co_i32 s8, s14, s8
	v_cmp_gt_u32_e32 vcc_lo, s22, v44
	s_wait_alu 0xfffe
	v_add_nc_u32_e32 v13, s8, v33
	v_add_nc_u32_e32 v12, s8, v34
	;; [unrolled: 1-line block ×12, first 2 shown]
	s_delay_alu instid0(VALU_DEP_1) | instskip(SKIP_1) | instid1(VALU_DEP_2)
	v_dual_cndmask_b32 v2, 0, v2 :: v_dual_add_nc_u32 v1, s8, v0
	v_cmp_gt_u32_e32 vcc_lo, s22, v43
	v_cndmask_b32_e64 v1, 0, v1, s0
	s_wait_alu 0xfffd
	v_cndmask_b32_e32 v3, 0, v3, vcc_lo
	v_cmp_gt_u32_e32 vcc_lo, s22, v42
	s_wait_alu 0xfffd
	v_cndmask_b32_e32 v4, 0, v4, vcc_lo
	v_cmp_gt_u32_e32 vcc_lo, s22, v41
	;; [unrolled: 3-line block ×10, first 2 shown]
	s_wait_alu 0xfffd
	v_cndmask_b32_e32 v13, 0, v13, vcc_lo
	ds_store_2addr_stride64_b32 v45, v1, v2 offset1:4
	ds_store_2addr_stride64_b32 v45, v3, v4 offset0:8 offset1:12
	ds_store_2addr_stride64_b32 v45, v5, v6 offset0:16 offset1:20
	;; [unrolled: 1-line block ×5, first 2 shown]
	ds_store_b32 v45, v13 offset:12288
	s_wait_loadcnt_dscnt 0x0
	s_barrier_signal -1
	s_barrier_wait -1
.LBB80_8:
	v_mul_u32_u24_e32 v48, 13, v0
	s_wait_loadcnt 0x0
	global_inv scope:SCOPE_SE
	v_cndmask_b32_e64 v46, 0, 1, s1
	s_and_not1_b32 vcc_lo, exec_lo, s1
	v_lshlrev_b32_e32 v1, 2, v48
	ds_load_2addr_b32 v[29:30], v1 offset0:2 offset1:3
	ds_load_2addr_b32 v[25:26], v1 offset0:6 offset1:7
	;; [unrolled: 1-line block ×3, first 2 shown]
	ds_load_2addr_b32 v[31:32], v1 offset1:1
	ds_load_2addr_b32 v[21:22], v1 offset0:10 offset1:11
	ds_load_b32 v47, v1 offset:48
	ds_load_2addr_b32 v[23:24], v1 offset0:8 offset1:9
	s_wait_loadcnt_dscnt 0x0
	s_barrier_signal -1
	s_barrier_wait -1
	global_inv scope:SCOPE_SE
	s_wait_alu 0xfffe
	s_cbranch_vccnz .LBB80_10
; %bb.9:
	v_add_nc_u32_e32 v1, s5, v30
	v_add_nc_u32_e32 v2, s7, v30
	;; [unrolled: 1-line block ×5, first 2 shown]
	v_mul_lo_u32 v1, v1, s4
	v_mul_lo_u32 v2, v2, s6
	v_add_nc_u32_e32 v8, s7, v29
	v_add_nc_u32_e32 v3, s5, v32
	;; [unrolled: 1-line block ×3, first 2 shown]
	v_mul_lo_u32 v5, v5, s4
	v_mul_lo_u32 v4, v4, s4
	v_add_nc_u32_e32 v9, s5, v27
	v_mul_lo_u32 v3, v3, s4
	v_sub_nc_u32_e32 v1, v1, v2
	v_mul_lo_u32 v2, v7, s6
	v_mul_lo_u32 v7, v8, s6
	;; [unrolled: 1-line block ×3, first 2 shown]
	v_add_nc_u32_e32 v8, s5, v28
	v_add_nc_u32_e32 v10, s7, v27
	v_mul_lo_u32 v9, v9, s4
	v_cmp_lt_u32_e32 vcc_lo, s3, v1
	v_add_nc_u32_e32 v14, s7, v22
	v_sub_nc_u32_e32 v2, v4, v2
	v_sub_nc_u32_e32 v4, v5, v7
	v_add_nc_u32_e32 v5, s7, v28
	v_sub_nc_u32_e32 v3, v3, v6
	v_add_nc_u32_e32 v6, s5, v26
	v_add_nc_u32_e32 v7, s7, v26
	v_mul_lo_u32 v8, v8, s4
	v_mul_lo_u32 v5, v5, s6
	;; [unrolled: 1-line block ×5, first 2 shown]
	s_wait_alu 0xfffd
	v_cndmask_b32_e64 v1, 0, 1, vcc_lo
	v_cmp_lt_u32_e32 vcc_lo, s3, v3
	v_mul_lo_u32 v14, v14, s6
	v_add_nc_u32_e32 v15, s7, v24
	v_sub_nc_u32_e32 v5, v8, v5
	v_add_nc_u32_e32 v8, s7, v25
	s_wait_alu 0xfffd
	v_cndmask_b32_e64 v3, 0, 1, vcc_lo
	v_sub_nc_u32_e32 v6, v6, v7
	v_mul_lo_u32 v15, v15, s6
	v_cmp_lt_u32_e32 vcc_lo, s3, v5
	v_mul_lo_u32 v7, v8, s6
	v_sub_nc_u32_e32 v8, v9, v10
	v_add_nc_u32_e32 v9, s5, v22
	v_add_nc_u32_e32 v10, s5, v24
	s_wait_alu 0xfffd
	v_cndmask_b32_e64 v5, 0, 1, vcc_lo
	v_cmp_lt_u32_e32 vcc_lo, s3, v6
	v_add_nc_u32_e32 v11, s5, v25
	v_mul_lo_u32 v9, v9, s4
	v_mul_lo_u32 v10, v10, s4
	v_add_nc_u32_e32 v12, s5, v23
	s_wait_alu 0xfffd
	v_cndmask_b32_e64 v6, 0, 1, vcc_lo
	v_mul_lo_u32 v11, v11, s4
	v_add_nc_u32_e32 v16, s7, v23
	v_lshlrev_b16 v3, 8, v3
	v_add_nc_u32_e32 v13, s5, v21
	v_sub_nc_u32_e32 v9, v9, v14
	v_sub_nc_u32_e32 v10, v10, v15
	v_add_nc_u32_e32 v19, s7, v21
	v_mul_lo_u32 v12, v12, s4
	v_mul_lo_u32 v16, v16, s6
	v_cmp_lt_u32_e32 vcc_lo, s3, v9
	v_sub_nc_u32_e32 v7, v11, v7
	v_lshrrev_b32_e32 v3, 8, v3
	v_mul_lo_u32 v11, v13, s4
	v_mul_lo_u32 v13, v19, s6
	s_wait_alu 0xfffd
	v_cndmask_b32_e64 v9, 0, 1, vcc_lo
	v_cmp_lt_u32_e32 vcc_lo, s3, v2
	v_sub_nc_u32_e32 v12, v12, v16
	v_lshlrev_b16 v3, 8, v3
	v_lshlrev_b16 v1, 8, v1
	v_lshlrev_b16 v5, 8, v5
	s_wait_alu 0xfffd
	v_cndmask_b32_e64 v2, 0, 1, vcc_lo
	v_cmp_lt_u32_e32 vcc_lo, s3, v10
	v_sub_nc_u32_e32 v11, v11, v13
	v_add_nc_u32_e32 v14, s5, v47
	v_add_nc_u32_e32 v15, s7, v47
	v_or_b32_e32 v2, v2, v3
	s_wait_alu 0xfffd
	v_cndmask_b32_e64 v10, 0, 1, vcc_lo
	v_cmp_lt_u32_e32 vcc_lo, s3, v4
	v_lshlrev_b16 v3, 8, v9
	v_lshrrev_b32_e32 v5, 8, v5
	v_lshrrev_b32_e32 v1, 8, v1
	v_lshlrev_b16 v9, 8, v10
	s_wait_alu 0xfffd
	v_cndmask_b32_e64 v4, 0, 1, vcc_lo
	v_cmp_lt_u32_e32 vcc_lo, s3, v8
	v_lshrrev_b32_e32 v3, 8, v3
	v_mul_lo_u32 v14, v14, s4
	v_lshrrev_b32_e32 v9, 8, v9
	v_mul_lo_u32 v15, v15, s6
	s_wait_alu 0xfffd
	v_cndmask_b32_e64 v8, 0, 1, vcc_lo
	v_cmp_lt_u32_e32 vcc_lo, s3, v7
	v_lshlrev_b16 v6, 8, v6
	v_lshlrev_b16 v1, 8, v1
	;; [unrolled: 1-line block ×4, first 2 shown]
	s_wait_alu 0xfffd
	v_cndmask_b32_e64 v7, 0, 1, vcc_lo
	v_cmp_lt_u32_e32 vcc_lo, s3, v12
	v_lshlrev_b16 v3, 8, v3
	v_sub_nc_u32_e32 v10, v14, v15
	v_or_b32_e32 v1, v4, v1
	v_or_b32_e32 v4, v8, v5
	s_wait_alu 0xfffd
	v_cndmask_b32_e64 v12, 0, 1, vcc_lo
	v_cmp_lt_u32_e32 vcc_lo, s3, v11
	v_or_b32_e32 v5, v7, v6
	v_and_b32_e32 v2, 0xffff, v2
	v_lshlrev_b32_e32 v1, 16, v1
	v_or_b32_e32 v6, v12, v9
	s_wait_alu 0xfffd
	v_cndmask_b32_e64 v11, 0, 1, vcc_lo
	v_and_b32_e32 v4, 0xffff, v4
	v_lshlrev_b32_e32 v5, 16, v5
	v_cmp_lt_u32_e32 vcc_lo, s3, v10
	v_and_b32_e32 v6, 0xffff, v6
	v_or_b32_e32 v3, v11, v3
	v_or_b32_e32 v54, v2, v1
	;; [unrolled: 1-line block ×3, first 2 shown]
	s_wait_alu 0xfffd
	v_cndmask_b32_e64 v49, 0, 1, vcc_lo
	v_lshlrev_b32_e32 v3, 16, v3
	s_delay_alu instid0(VALU_DEP_1)
	v_or_b32_e32 v50, v6, v3
	s_cbranch_execz .LBB80_11
	s_branch .LBB80_38
.LBB80_10:
                                        ; implicit-def: $vgpr49
                                        ; implicit-def: $vgpr50
                                        ; implicit-def: $vgpr52
                                        ; implicit-def: $vgpr54
.LBB80_11:
	v_dual_mov_b32 v2, 0 :: v_dual_mov_b32 v1, 0
	s_mov_b32 s0, exec_lo
	v_cmpx_gt_u32_e64 s22, v48
	s_cbranch_execz .LBB80_13
; %bb.12:
	v_add_nc_u32_e32 v1, s5, v31
	v_add_nc_u32_e32 v3, s7, v31
	s_delay_alu instid0(VALU_DEP_2) | instskip(NEXT) | instid1(VALU_DEP_2)
	v_mul_lo_u32 v1, v1, s4
	v_mul_lo_u32 v3, v3, s6
	s_delay_alu instid0(VALU_DEP_1) | instskip(NEXT) | instid1(VALU_DEP_1)
	v_sub_nc_u32_e32 v1, v1, v3
	v_cmp_lt_u32_e32 vcc_lo, s3, v1
	s_wait_alu 0xfffd
	v_cndmask_b32_e64 v1, 0, 1, vcc_lo
.LBB80_13:
	s_wait_alu 0xfffe
	s_or_b32 exec_lo, exec_lo, s0
	v_add_nc_u32_e32 v3, 1, v48
	s_mov_b32 s0, exec_lo
	s_delay_alu instid0(VALU_DEP_1)
	v_cmpx_gt_u32_e64 s22, v3
	s_cbranch_execz .LBB80_15
; %bb.14:
	v_add_nc_u32_e32 v2, s5, v32
	v_add_nc_u32_e32 v3, s7, v32
	s_delay_alu instid0(VALU_DEP_2) | instskip(NEXT) | instid1(VALU_DEP_2)
	v_mul_lo_u32 v2, v2, s4
	v_mul_lo_u32 v3, v3, s6
	s_delay_alu instid0(VALU_DEP_1) | instskip(NEXT) | instid1(VALU_DEP_1)
	v_sub_nc_u32_e32 v2, v2, v3
	v_cmp_lt_u32_e32 vcc_lo, s3, v2
	s_wait_alu 0xfffd
	v_cndmask_b32_e64 v2, 0, 1, vcc_lo
.LBB80_15:
	s_wait_alu 0xfffe
	s_or_b32 exec_lo, exec_lo, s0
	v_dual_mov_b32 v4, 0 :: v_dual_add_nc_u32 v3, 2, v48
	s_delay_alu instid0(VALU_DEP_1)
	v_cmp_gt_u32_e32 vcc_lo, s22, v3
	v_mov_b32_e32 v3, 0
	s_and_saveexec_b32 s0, vcc_lo
	s_cbranch_execz .LBB80_17
; %bb.16:
	v_add_nc_u32_e32 v3, s5, v29
	v_add_nc_u32_e32 v5, s7, v29
	s_delay_alu instid0(VALU_DEP_2) | instskip(NEXT) | instid1(VALU_DEP_2)
	v_mul_lo_u32 v3, v3, s4
	v_mul_lo_u32 v5, v5, s6
	s_delay_alu instid0(VALU_DEP_1) | instskip(NEXT) | instid1(VALU_DEP_1)
	v_sub_nc_u32_e32 v3, v3, v5
	v_cmp_lt_u32_e32 vcc_lo, s3, v3
	s_wait_alu 0xfffd
	v_cndmask_b32_e64 v3, 0, 1, vcc_lo
.LBB80_17:
	s_wait_alu 0xfffe
	s_or_b32 exec_lo, exec_lo, s0
	v_add_nc_u32_e32 v5, 3, v48
	s_mov_b32 s0, exec_lo
	s_delay_alu instid0(VALU_DEP_1)
	v_cmpx_gt_u32_e64 s22, v5
	s_cbranch_execz .LBB80_19
; %bb.18:
	v_add_nc_u32_e32 v4, s5, v30
	v_add_nc_u32_e32 v5, s7, v30
	s_delay_alu instid0(VALU_DEP_2) | instskip(NEXT) | instid1(VALU_DEP_2)
	v_mul_lo_u32 v4, v4, s4
	v_mul_lo_u32 v5, v5, s6
	s_delay_alu instid0(VALU_DEP_1) | instskip(NEXT) | instid1(VALU_DEP_1)
	v_sub_nc_u32_e32 v4, v4, v5
	v_cmp_lt_u32_e32 vcc_lo, s3, v4
	s_wait_alu 0xfffd
	v_cndmask_b32_e64 v4, 0, 1, vcc_lo
.LBB80_19:
	s_wait_alu 0xfffe
	s_or_b32 exec_lo, exec_lo, s0
	v_dual_mov_b32 v6, 0 :: v_dual_add_nc_u32 v5, 4, v48
	s_delay_alu instid0(VALU_DEP_1)
	v_cmp_gt_u32_e32 vcc_lo, s22, v5
	v_mov_b32_e32 v5, 0
	s_and_saveexec_b32 s0, vcc_lo
	;; [unrolled: 39-line block ×5, first 2 shown]
	s_cbranch_execz .LBB80_33
; %bb.32:
	v_add_nc_u32_e32 v11, s5, v21
	v_add_nc_u32_e32 v13, s7, v21
	s_delay_alu instid0(VALU_DEP_2) | instskip(NEXT) | instid1(VALU_DEP_2)
	v_mul_lo_u32 v11, v11, s4
	v_mul_lo_u32 v13, v13, s6
	s_delay_alu instid0(VALU_DEP_1) | instskip(NEXT) | instid1(VALU_DEP_1)
	v_sub_nc_u32_e32 v11, v11, v13
	v_cmp_lt_u32_e32 vcc_lo, s3, v11
	s_wait_alu 0xfffd
	v_cndmask_b32_e64 v11, 0, 1, vcc_lo
.LBB80_33:
	s_wait_alu 0xfffe
	s_or_b32 exec_lo, exec_lo, s0
	v_add_nc_u32_e32 v13, 11, v48
	s_mov_b32 s0, exec_lo
	s_delay_alu instid0(VALU_DEP_1)
	v_cmpx_gt_u32_e64 s22, v13
	s_cbranch_execz .LBB80_35
; %bb.34:
	v_add_nc_u32_e32 v12, s5, v22
	v_add_nc_u32_e32 v13, s7, v22
	s_delay_alu instid0(VALU_DEP_2) | instskip(NEXT) | instid1(VALU_DEP_2)
	v_mul_lo_u32 v12, v12, s4
	v_mul_lo_u32 v13, v13, s6
	s_delay_alu instid0(VALU_DEP_1) | instskip(NEXT) | instid1(VALU_DEP_1)
	v_sub_nc_u32_e32 v12, v12, v13
	v_cmp_lt_u32_e32 vcc_lo, s3, v12
	s_wait_alu 0xfffd
	v_cndmask_b32_e64 v12, 0, 1, vcc_lo
.LBB80_35:
	s_wait_alu 0xfffe
	s_or_b32 exec_lo, exec_lo, s0
	v_add_nc_u32_e32 v13, 12, v48
	v_mov_b32_e32 v49, 0
	s_mov_b32 s0, exec_lo
	s_delay_alu instid0(VALU_DEP_2)
	v_cmpx_gt_u32_e64 s22, v13
	s_cbranch_execz .LBB80_37
; %bb.36:
	v_add_nc_u32_e32 v13, s5, v47
	v_add_nc_u32_e32 v14, s7, v47
	s_delay_alu instid0(VALU_DEP_2) | instskip(NEXT) | instid1(VALU_DEP_2)
	v_mul_lo_u32 v13, v13, s4
	v_mul_lo_u32 v14, v14, s6
	s_delay_alu instid0(VALU_DEP_1) | instskip(NEXT) | instid1(VALU_DEP_1)
	v_sub_nc_u32_e32 v13, v13, v14
	v_cmp_lt_u32_e32 vcc_lo, s3, v13
	s_wait_alu 0xfffd
	v_cndmask_b32_e64 v49, 0, 1, vcc_lo
.LBB80_37:
	s_wait_alu 0xfffe
	s_or_b32 exec_lo, exec_lo, s0
	v_lshlrev_b16 v2, 8, v2
	v_lshlrev_b16 v4, 8, v4
	;; [unrolled: 1-line block ×5, first 2 shown]
	v_or_b32_e32 v1, v1, v2
	v_lshlrev_b16 v2, 8, v12
	v_or_b32_e32 v3, v3, v4
	v_or_b32_e32 v4, v5, v6
	;; [unrolled: 1-line block ×5, first 2 shown]
	v_and_b32_e32 v1, 0xffff, v1
	v_lshlrev_b32_e32 v3, 16, v3
	v_and_b32_e32 v4, 0xffff, v4
	v_lshlrev_b32_e32 v5, 16, v5
	v_and_b32_e32 v6, 0xffff, v6
	v_lshlrev_b32_e32 v2, 16, v2
	v_or_b32_e32 v54, v1, v3
	s_delay_alu instid0(VALU_DEP_4) | instskip(NEXT) | instid1(VALU_DEP_3)
	v_or_b32_e32 v52, v4, v5
	v_or_b32_e32 v50, v6, v2
.LBB80_38:
	s_delay_alu instid0(VALU_DEP_3)
	v_and_b32_e32 v56, 0xff, v54
	v_bfe_u32 v57, v54, 8, 8
	v_bfe_u32 v58, v54, 16, 8
	v_lshrrev_b32_e32 v55, 24, v54
	v_and_b32_e32 v59, 0xff, v52
	v_bfe_u32 v60, v52, 8, 8
	v_bfe_u32 v61, v52, 16, 8
	v_add3_u32 v1, v57, v56, v58
	v_lshrrev_b32_e32 v53, 24, v52
	v_and_b32_e32 v62, 0xff, v50
	v_bfe_u32 v63, v50, 8, 8
	v_mbcnt_lo_u32_b32 v65, -1, 0
	v_add3_u32 v1, v1, v55, v59
	v_bfe_u32 v64, v50, 16, 8
	v_lshrrev_b32_e32 v51, 24, v50
	v_and_b32_e32 v2, 0xff, v49
	v_and_b32_e32 v3, 15, v65
	v_add3_u32 v1, v1, v60, v61
	v_or_b32_e32 v4, 31, v0
	v_and_b32_e32 v5, 16, v65
	v_lshrrev_b32_e32 v66, 5, v0
	v_cmp_eq_u32_e64 s6, 0, v3
	v_add3_u32 v1, v1, v53, v62
	v_cmp_lt_u32_e64 s5, 1, v3
	v_cmp_lt_u32_e64 s4, 3, v3
	;; [unrolled: 1-line block ×3, first 2 shown]
	v_cmp_eq_u32_e64 s1, 0, v5
	v_add3_u32 v1, v1, v63, v64
	v_cmp_eq_u32_e64 s0, v0, v4
	s_cmp_lg_u32 s15, 0
	s_mov_b32 s7, -1
	v_add3_u32 v67, v1, v51, v2
	s_cbranch_scc0 .LBB80_59
; %bb.39:
	s_delay_alu instid0(VALU_DEP_1) | instskip(NEXT) | instid1(VALU_DEP_1)
	v_mov_b32_dpp v1, v67 row_shr:1 row_mask:0xf bank_mask:0xf
	v_cndmask_b32_e64 v1, v1, 0, s6
	s_delay_alu instid0(VALU_DEP_1) | instskip(NEXT) | instid1(VALU_DEP_1)
	v_add_nc_u32_e32 v1, v1, v67
	v_mov_b32_dpp v2, v1 row_shr:2 row_mask:0xf bank_mask:0xf
	s_delay_alu instid0(VALU_DEP_1) | instskip(NEXT) | instid1(VALU_DEP_1)
	v_cndmask_b32_e64 v2, 0, v2, s5
	v_add_nc_u32_e32 v1, v1, v2
	s_delay_alu instid0(VALU_DEP_1) | instskip(NEXT) | instid1(VALU_DEP_1)
	v_mov_b32_dpp v2, v1 row_shr:4 row_mask:0xf bank_mask:0xf
	v_cndmask_b32_e64 v2, 0, v2, s4
	s_delay_alu instid0(VALU_DEP_1) | instskip(NEXT) | instid1(VALU_DEP_1)
	v_add_nc_u32_e32 v1, v1, v2
	v_mov_b32_dpp v2, v1 row_shr:8 row_mask:0xf bank_mask:0xf
	s_delay_alu instid0(VALU_DEP_1) | instskip(NEXT) | instid1(VALU_DEP_1)
	v_cndmask_b32_e64 v2, 0, v2, s3
	v_add_nc_u32_e32 v1, v1, v2
	ds_swizzle_b32 v2, v1 offset:swizzle(BROADCAST,32,15)
	s_wait_dscnt 0x0
	v_cndmask_b32_e64 v2, v2, 0, s1
	s_delay_alu instid0(VALU_DEP_1)
	v_add_nc_u32_e32 v1, v1, v2
	s_and_saveexec_b32 s7, s0
; %bb.40:
	v_lshlrev_b32_e32 v2, 2, v66
	ds_store_b32 v2, v1
; %bb.41:
	s_wait_alu 0xfffe
	s_or_b32 exec_lo, exec_lo, s7
	s_delay_alu instid0(SALU_CYCLE_1)
	s_mov_b32 s7, exec_lo
	s_wait_loadcnt_dscnt 0x0
	s_barrier_signal -1
	s_barrier_wait -1
	global_inv scope:SCOPE_SE
	v_cmpx_gt_u32_e32 8, v0
	s_cbranch_execz .LBB80_43
; %bb.42:
	ds_load_b32 v2, v45
	s_wait_dscnt 0x0
	v_mov_b32_dpp v4, v2 row_shr:1 row_mask:0xf bank_mask:0xf
	v_and_b32_e32 v3, 7, v65
	s_delay_alu instid0(VALU_DEP_1) | instskip(SKIP_1) | instid1(VALU_DEP_3)
	v_cmp_ne_u32_e32 vcc_lo, 0, v3
	s_wait_alu 0xfffd
	v_cndmask_b32_e32 v4, 0, v4, vcc_lo
	v_cmp_lt_u32_e32 vcc_lo, 1, v3
	s_delay_alu instid0(VALU_DEP_2) | instskip(NEXT) | instid1(VALU_DEP_1)
	v_add_nc_u32_e32 v2, v4, v2
	v_mov_b32_dpp v4, v2 row_shr:2 row_mask:0xf bank_mask:0xf
	s_wait_alu 0xfffd
	s_delay_alu instid0(VALU_DEP_1) | instskip(SKIP_1) | instid1(VALU_DEP_2)
	v_cndmask_b32_e32 v4, 0, v4, vcc_lo
	v_cmp_lt_u32_e32 vcc_lo, 3, v3
	v_add_nc_u32_e32 v2, v2, v4
	s_delay_alu instid0(VALU_DEP_1) | instskip(SKIP_1) | instid1(VALU_DEP_1)
	v_mov_b32_dpp v4, v2 row_shr:4 row_mask:0xf bank_mask:0xf
	s_wait_alu 0xfffd
	v_cndmask_b32_e32 v3, 0, v4, vcc_lo
	s_delay_alu instid0(VALU_DEP_1)
	v_add_nc_u32_e32 v2, v2, v3
	ds_store_b32 v45, v2
.LBB80_43:
	s_wait_alu 0xfffe
	s_or_b32 exec_lo, exec_lo, s7
	s_delay_alu instid0(SALU_CYCLE_1)
	s_mov_b32 s8, exec_lo
	v_cmp_gt_u32_e32 vcc_lo, 32, v0
	s_wait_loadcnt_dscnt 0x0
	s_barrier_signal -1
	s_barrier_wait -1
	global_inv scope:SCOPE_SE
                                        ; implicit-def: $vgpr9
	v_cmpx_lt_u32_e32 31, v0
	s_cbranch_execz .LBB80_45
; %bb.44:
	v_lshl_add_u32 v2, v66, 2, -4
	ds_load_b32 v9, v2
	s_wait_dscnt 0x0
	v_add_nc_u32_e32 v1, v9, v1
.LBB80_45:
	s_wait_alu 0xfffe
	s_or_b32 exec_lo, exec_lo, s8
	v_sub_co_u32 v2, s7, v65, 1
	s_delay_alu instid0(VALU_DEP_1) | instskip(SKIP_1) | instid1(VALU_DEP_1)
	v_cmp_gt_i32_e64 s8, 0, v2
	s_wait_alu 0xf1ff
	v_cndmask_b32_e64 v2, v2, v65, s8
	s_delay_alu instid0(VALU_DEP_1)
	v_lshlrev_b32_e32 v2, 2, v2
	ds_bpermute_b32 v10, v2, v1
	s_and_saveexec_b32 s8, vcc_lo
	s_cbranch_execz .LBB80_64
; %bb.46:
	v_mov_b32_e32 v5, 0
	ds_load_b32 v1, v5 offset:28
	s_and_saveexec_b32 s23, s7
	s_cbranch_execz .LBB80_48
; %bb.47:
	s_add_co_i32 s24, s15, 32
	s_mov_b32 s25, 0
	v_mov_b32_e32 v2, 1
	s_lshl_b64 s[24:25], s[24:25], 3
	s_delay_alu instid0(SALU_CYCLE_1)
	s_add_nc_u64 s[24:25], s[20:21], s[24:25]
	s_wait_dscnt 0x0
	global_store_b64 v5, v[1:2], s[24:25] scope:SCOPE_DEV
.LBB80_48:
	s_wait_alu 0xfffe
	s_or_b32 exec_lo, exec_lo, s23
	v_xad_u32 v3, v65, -1, s15
	s_mov_b32 s24, 0
	s_mov_b32 s23, exec_lo
	s_delay_alu instid0(VALU_DEP_1) | instskip(NEXT) | instid1(VALU_DEP_1)
	v_add_nc_u32_e32 v4, 32, v3
	v_lshlrev_b64_e32 v[4:5], 3, v[4:5]
	s_delay_alu instid0(VALU_DEP_1) | instskip(SKIP_1) | instid1(VALU_DEP_2)
	v_add_co_u32 v7, vcc_lo, s20, v4
	s_wait_alu 0xfffd
	v_add_co_ci_u32_e64 v8, null, s21, v5, vcc_lo
	global_load_b64 v[5:6], v[7:8], off scope:SCOPE_DEV
	s_wait_loadcnt 0x0
	v_and_b32_e32 v2, 0xff, v6
	s_delay_alu instid0(VALU_DEP_1)
	v_cmpx_eq_u16_e32 0, v2
	s_cbranch_execz .LBB80_51
.LBB80_49:                              ; =>This Inner Loop Header: Depth=1
	global_load_b64 v[5:6], v[7:8], off scope:SCOPE_DEV
	s_wait_loadcnt 0x0
	v_and_b32_e32 v2, 0xff, v6
	s_delay_alu instid0(VALU_DEP_1) | instskip(SKIP_1) | instid1(SALU_CYCLE_1)
	v_cmp_ne_u16_e32 vcc_lo, 0, v2
	s_or_b32 s24, vcc_lo, s24
	s_and_not1_b32 exec_lo, exec_lo, s24
	s_cbranch_execnz .LBB80_49
; %bb.50:
	s_or_b32 exec_lo, exec_lo, s24
.LBB80_51:
	s_wait_alu 0xfffe
	s_or_b32 exec_lo, exec_lo, s23
	v_cmp_ne_u32_e32 vcc_lo, 31, v65
	v_lshlrev_b32_e64 v12, v65, -1
	v_add_nc_u32_e32 v14, 2, v65
	v_add_nc_u32_e32 v16, 4, v65
	;; [unrolled: 1-line block ×3, first 2 shown]
	s_wait_alu 0xfffd
	v_add_co_ci_u32_e64 v2, null, 0, v65, vcc_lo
	v_lshl_or_b32 v68, v65, 2, 64
	v_add_nc_u32_e32 v69, 16, v65
	s_delay_alu instid0(VALU_DEP_3)
	v_lshlrev_b32_e32 v11, 2, v2
	v_and_b32_e32 v2, 0xff, v6
	ds_bpermute_b32 v4, v11, v5
	v_cmp_eq_u16_e32 vcc_lo, 2, v2
	s_wait_alu 0xfffd
	v_and_or_b32 v2, vcc_lo, v12, 0x80000000
	v_cmp_gt_u32_e32 vcc_lo, 30, v65
	s_delay_alu instid0(VALU_DEP_2) | instskip(SKIP_2) | instid1(VALU_DEP_2)
	v_ctz_i32_b32_e32 v2, v2
	s_wait_alu 0xfffd
	v_cndmask_b32_e64 v7, 0, 2, vcc_lo
	v_cmp_lt_u32_e32 vcc_lo, v65, v2
	s_delay_alu instid0(VALU_DEP_2) | instskip(SKIP_4) | instid1(VALU_DEP_2)
	v_add_lshl_u32 v13, v7, v65, 2
	s_wait_dscnt 0x0
	s_wait_alu 0xfffd
	v_cndmask_b32_e32 v4, 0, v4, vcc_lo
	v_cmp_gt_u32_e32 vcc_lo, 28, v65
	v_add_nc_u32_e32 v4, v4, v5
	s_wait_alu 0xfffd
	v_cndmask_b32_e64 v7, 0, 4, vcc_lo
	v_cmp_le_u32_e32 vcc_lo, v14, v2
	ds_bpermute_b32 v5, v13, v4
	v_add_lshl_u32 v15, v7, v65, 2
	s_wait_dscnt 0x0
	s_wait_alu 0xfffd
	v_cndmask_b32_e32 v5, 0, v5, vcc_lo
	v_cmp_gt_u32_e32 vcc_lo, 24, v65
	s_delay_alu instid0(VALU_DEP_2)
	v_add_nc_u32_e32 v4, v4, v5
	s_wait_alu 0xfffd
	v_cndmask_b32_e64 v7, 0, 8, vcc_lo
	v_cmp_le_u32_e32 vcc_lo, v16, v2
	ds_bpermute_b32 v5, v15, v4
	v_add_lshl_u32 v19, v7, v65, 2
	s_wait_dscnt 0x0
	s_wait_alu 0xfffd
	v_cndmask_b32_e32 v5, 0, v5, vcc_lo
	v_cmp_le_u32_e32 vcc_lo, v20, v2
	s_delay_alu instid0(VALU_DEP_2)
	v_add_nc_u32_e32 v4, v4, v5
	ds_bpermute_b32 v5, v19, v4
	s_wait_dscnt 0x0
	s_wait_alu 0xfffd
	v_cndmask_b32_e32 v5, 0, v5, vcc_lo
	v_cmp_le_u32_e32 vcc_lo, v69, v2
	s_delay_alu instid0(VALU_DEP_2) | instskip(SKIP_4) | instid1(VALU_DEP_1)
	v_add_nc_u32_e32 v4, v4, v5
	ds_bpermute_b32 v5, v68, v4
	s_wait_dscnt 0x0
	s_wait_alu 0xfffd
	v_cndmask_b32_e32 v2, 0, v5, vcc_lo
	v_dual_mov_b32 v4, 0 :: v_dual_add_nc_u32 v5, v4, v2
	s_branch .LBB80_55
.LBB80_52:                              ;   in Loop: Header=BB80_55 Depth=1
	s_or_b32 exec_lo, exec_lo, s24
.LBB80_53:                              ;   in Loop: Header=BB80_55 Depth=1
	s_wait_alu 0xfffe
	s_or_b32 exec_lo, exec_lo, s23
	ds_bpermute_b32 v8, v11, v5
	v_and_b32_e32 v7, 0xff, v6
	v_subrev_nc_u32_e32 v3, 32, v3
	s_mov_b32 s23, 0
	s_delay_alu instid0(VALU_DEP_2) | instskip(SKIP_2) | instid1(VALU_DEP_1)
	v_cmp_eq_u16_e32 vcc_lo, 2, v7
	s_wait_alu 0xfffd
	v_and_or_b32 v7, vcc_lo, v12, 0x80000000
	v_ctz_i32_b32_e32 v7, v7
	s_delay_alu instid0(VALU_DEP_1) | instskip(SKIP_4) | instid1(VALU_DEP_2)
	v_cmp_lt_u32_e32 vcc_lo, v65, v7
	s_wait_dscnt 0x0
	s_wait_alu 0xfffd
	v_cndmask_b32_e32 v8, 0, v8, vcc_lo
	v_cmp_le_u32_e32 vcc_lo, v14, v7
	v_add_nc_u32_e32 v5, v8, v5
	ds_bpermute_b32 v8, v13, v5
	s_wait_dscnt 0x0
	s_wait_alu 0xfffd
	v_cndmask_b32_e32 v8, 0, v8, vcc_lo
	v_cmp_le_u32_e32 vcc_lo, v16, v7
	s_delay_alu instid0(VALU_DEP_2)
	v_add_nc_u32_e32 v5, v5, v8
	ds_bpermute_b32 v8, v15, v5
	s_wait_dscnt 0x0
	s_wait_alu 0xfffd
	v_cndmask_b32_e32 v8, 0, v8, vcc_lo
	v_cmp_le_u32_e32 vcc_lo, v20, v7
	s_delay_alu instid0(VALU_DEP_2)
	v_add_nc_u32_e32 v5, v5, v8
	ds_bpermute_b32 v8, v19, v5
	s_wait_dscnt 0x0
	s_wait_alu 0xfffd
	v_cndmask_b32_e32 v8, 0, v8, vcc_lo
	v_cmp_le_u32_e32 vcc_lo, v69, v7
	s_delay_alu instid0(VALU_DEP_2) | instskip(SKIP_4) | instid1(VALU_DEP_1)
	v_add_nc_u32_e32 v5, v5, v8
	ds_bpermute_b32 v8, v68, v5
	s_wait_dscnt 0x0
	s_wait_alu 0xfffd
	v_cndmask_b32_e32 v7, 0, v8, vcc_lo
	v_add3_u32 v5, v7, v2, v5
.LBB80_54:                              ;   in Loop: Header=BB80_55 Depth=1
	s_wait_alu 0xfffe
	s_and_b32 vcc_lo, exec_lo, s23
	s_wait_alu 0xfffe
	s_cbranch_vccnz .LBB80_60
.LBB80_55:                              ; =>This Loop Header: Depth=1
                                        ;     Child Loop BB80_58 Depth 2
	v_and_b32_e32 v2, 0xff, v6
	s_mov_b32 s23, -1
                                        ; implicit-def: $vgpr6
	s_delay_alu instid0(VALU_DEP_1)
	v_cmp_ne_u16_e32 vcc_lo, 2, v2
	v_mov_b32_e32 v2, v5
                                        ; implicit-def: $vgpr5
	s_cmp_lg_u32 vcc_lo, exec_lo
	s_cbranch_scc1 .LBB80_54
; %bb.56:                               ;   in Loop: Header=BB80_55 Depth=1
	v_lshlrev_b64_e32 v[5:6], 3, v[3:4]
	s_mov_b32 s23, exec_lo
	s_delay_alu instid0(VALU_DEP_1) | instskip(SKIP_1) | instid1(VALU_DEP_2)
	v_add_co_u32 v7, vcc_lo, s20, v5
	s_wait_alu 0xfffd
	v_add_co_ci_u32_e64 v8, null, s21, v6, vcc_lo
	global_load_b64 v[5:6], v[7:8], off scope:SCOPE_DEV
	s_wait_loadcnt 0x0
	v_and_b32_e32 v70, 0xff, v6
	s_delay_alu instid0(VALU_DEP_1)
	v_cmpx_eq_u16_e32 0, v70
	s_cbranch_execz .LBB80_53
; %bb.57:                               ;   in Loop: Header=BB80_55 Depth=1
	s_mov_b32 s24, 0
.LBB80_58:                              ;   Parent Loop BB80_55 Depth=1
                                        ; =>  This Inner Loop Header: Depth=2
	global_load_b64 v[5:6], v[7:8], off scope:SCOPE_DEV
	s_wait_loadcnt 0x0
	v_and_b32_e32 v70, 0xff, v6
	s_delay_alu instid0(VALU_DEP_1) | instskip(SKIP_1) | instid1(SALU_CYCLE_1)
	v_cmp_ne_u16_e32 vcc_lo, 0, v70
	s_or_b32 s24, vcc_lo, s24
	s_and_not1_b32 exec_lo, exec_lo, s24
	s_cbranch_execnz .LBB80_58
	s_branch .LBB80_52
.LBB80_59:
                                        ; implicit-def: $vgpr20
                                        ; implicit-def: $vgpr1_vgpr2_vgpr3_vgpr4_vgpr5_vgpr6_vgpr7_vgpr8_vgpr9_vgpr10_vgpr11_vgpr12_vgpr13_vgpr14_vgpr15_vgpr16
	s_wait_alu 0xfffe
	s_and_b32 vcc_lo, exec_lo, s7
	s_wait_alu 0xfffe
	s_cbranch_vccnz .LBB80_65
	s_branch .LBB80_74
.LBB80_60:
	s_and_saveexec_b32 s23, s7
	s_cbranch_execz .LBB80_62
; %bb.61:
	s_add_co_i32 s24, s15, 32
	s_mov_b32 s25, 0
	v_dual_mov_b32 v4, 2 :: v_dual_add_nc_u32 v3, v2, v1
	v_mov_b32_e32 v5, 0
	s_lshl_b64 s[24:25], s[24:25], 3
	s_delay_alu instid0(SALU_CYCLE_1)
	s_add_nc_u64 s[24:25], s[20:21], s[24:25]
	global_store_b64 v5, v[3:4], s[24:25] scope:SCOPE_DEV
	ds_store_b64 v5, v[1:2] offset:13312
.LBB80_62:
	s_wait_alu 0xfffe
	s_or_b32 exec_lo, exec_lo, s23
	s_delay_alu instid0(SALU_CYCLE_1)
	s_and_b32 exec_lo, exec_lo, s2
; %bb.63:
	v_mov_b32_e32 v1, 0
	ds_store_b32 v1, v2 offset:28
.LBB80_64:
	s_wait_alu 0xfffe
	s_or_b32 exec_lo, exec_lo, s8
	v_mov_b32_e32 v11, 0
	s_wait_storecnt 0x0
	s_wait_loadcnt_dscnt 0x0
	s_barrier_signal -1
	s_barrier_wait -1
	global_inv scope:SCOPE_SE
	ds_load_b32 v1, v11 offset:28
	v_cndmask_b32_e64 v2, v10, v9, s7
	s_wait_loadcnt_dscnt 0x0
	s_barrier_signal -1
	s_barrier_wait -1
	global_inv scope:SCOPE_SE
	v_cndmask_b32_e64 v2, v2, 0, s2
	s_delay_alu instid0(VALU_DEP_1) | instskip(NEXT) | instid1(VALU_DEP_1)
	v_add_nc_u32_e32 v1, v1, v2
	v_add_nc_u32_e32 v2, v1, v56
	ds_load_b64 v[19:20], v11 offset:13312
	v_add_nc_u32_e32 v3, v2, v57
	s_delay_alu instid0(VALU_DEP_1) | instskip(NEXT) | instid1(VALU_DEP_1)
	v_add_nc_u32_e32 v4, v3, v58
	v_add_nc_u32_e32 v5, v4, v55
	s_delay_alu instid0(VALU_DEP_1) | instskip(NEXT) | instid1(VALU_DEP_1)
	v_add_nc_u32_e32 v6, v5, v59
	;; [unrolled: 3-line block ×5, first 2 shown]
	v_add_nc_u32_e32 v13, v12, v51
	s_branch .LBB80_74
.LBB80_65:
	v_mov_b32_dpp v1, v67 row_shr:1 row_mask:0xf bank_mask:0xf
	s_delay_alu instid0(VALU_DEP_1) | instskip(NEXT) | instid1(VALU_DEP_1)
	v_cndmask_b32_e64 v1, v1, 0, s6
	v_add_nc_u32_e32 v1, v1, v67
	s_delay_alu instid0(VALU_DEP_1) | instskip(NEXT) | instid1(VALU_DEP_1)
	v_mov_b32_dpp v2, v1 row_shr:2 row_mask:0xf bank_mask:0xf
	v_cndmask_b32_e64 v2, 0, v2, s5
	s_delay_alu instid0(VALU_DEP_1) | instskip(NEXT) | instid1(VALU_DEP_1)
	v_add_nc_u32_e32 v1, v1, v2
	v_mov_b32_dpp v2, v1 row_shr:4 row_mask:0xf bank_mask:0xf
	s_delay_alu instid0(VALU_DEP_1) | instskip(NEXT) | instid1(VALU_DEP_1)
	v_cndmask_b32_e64 v2, 0, v2, s4
	v_add_nc_u32_e32 v1, v1, v2
	s_delay_alu instid0(VALU_DEP_1) | instskip(NEXT) | instid1(VALU_DEP_1)
	v_mov_b32_dpp v2, v1 row_shr:8 row_mask:0xf bank_mask:0xf
	v_cndmask_b32_e64 v2, 0, v2, s3
	s_delay_alu instid0(VALU_DEP_1) | instskip(SKIP_3) | instid1(VALU_DEP_1)
	v_add_nc_u32_e32 v1, v1, v2
	ds_swizzle_b32 v2, v1 offset:swizzle(BROADCAST,32,15)
	s_wait_dscnt 0x0
	v_cndmask_b32_e64 v2, v2, 0, s1
	v_add_nc_u32_e32 v1, v1, v2
	s_and_saveexec_b32 s1, s0
; %bb.66:
	v_lshlrev_b32_e32 v2, 2, v66
	ds_store_b32 v2, v1
; %bb.67:
	s_wait_alu 0xfffe
	s_or_b32 exec_lo, exec_lo, s1
	s_delay_alu instid0(SALU_CYCLE_1)
	s_mov_b32 s0, exec_lo
	s_wait_loadcnt_dscnt 0x0
	s_barrier_signal -1
	s_barrier_wait -1
	global_inv scope:SCOPE_SE
	v_cmpx_gt_u32_e32 8, v0
	s_cbranch_execz .LBB80_69
; %bb.68:
	ds_load_b32 v2, v45
	s_wait_dscnt 0x0
	v_mov_b32_dpp v4, v2 row_shr:1 row_mask:0xf bank_mask:0xf
	v_and_b32_e32 v3, 7, v65
	s_delay_alu instid0(VALU_DEP_1) | instskip(SKIP_1) | instid1(VALU_DEP_3)
	v_cmp_ne_u32_e32 vcc_lo, 0, v3
	s_wait_alu 0xfffd
	v_cndmask_b32_e32 v4, 0, v4, vcc_lo
	v_cmp_lt_u32_e32 vcc_lo, 1, v3
	s_delay_alu instid0(VALU_DEP_2) | instskip(NEXT) | instid1(VALU_DEP_1)
	v_add_nc_u32_e32 v2, v4, v2
	v_mov_b32_dpp v4, v2 row_shr:2 row_mask:0xf bank_mask:0xf
	s_wait_alu 0xfffd
	s_delay_alu instid0(VALU_DEP_1) | instskip(SKIP_1) | instid1(VALU_DEP_2)
	v_cndmask_b32_e32 v4, 0, v4, vcc_lo
	v_cmp_lt_u32_e32 vcc_lo, 3, v3
	v_add_nc_u32_e32 v2, v2, v4
	s_delay_alu instid0(VALU_DEP_1) | instskip(SKIP_1) | instid1(VALU_DEP_1)
	v_mov_b32_dpp v4, v2 row_shr:4 row_mask:0xf bank_mask:0xf
	s_wait_alu 0xfffd
	v_cndmask_b32_e32 v3, 0, v4, vcc_lo
	s_delay_alu instid0(VALU_DEP_1)
	v_add_nc_u32_e32 v2, v2, v3
	ds_store_b32 v45, v2
.LBB80_69:
	s_wait_alu 0xfffe
	s_or_b32 exec_lo, exec_lo, s0
	v_dual_mov_b32 v3, 0 :: v_dual_mov_b32 v2, 0
	s_mov_b32 s0, exec_lo
	s_wait_loadcnt_dscnt 0x0
	s_barrier_signal -1
	s_barrier_wait -1
	global_inv scope:SCOPE_SE
	v_cmpx_lt_u32_e32 31, v0
; %bb.70:
	v_lshl_add_u32 v2, v66, 2, -4
	ds_load_b32 v2, v2
; %bb.71:
	s_wait_alu 0xfffe
	s_or_b32 exec_lo, exec_lo, s0
	v_sub_co_u32 v4, vcc_lo, v65, 1
	s_wait_dscnt 0x0
	v_add_nc_u32_e32 v1, v2, v1
	ds_load_b32 v19, v3 offset:28
	v_cmp_gt_i32_e64 s0, 0, v4
	s_wait_alu 0xf1ff
	s_delay_alu instid0(VALU_DEP_1) | instskip(NEXT) | instid1(VALU_DEP_1)
	v_cndmask_b32_e64 v4, v4, v65, s0
	v_lshlrev_b32_e32 v4, 2, v4
	ds_bpermute_b32 v1, v4, v1
	s_and_saveexec_b32 s0, s2
	s_cbranch_execz .LBB80_73
; %bb.72:
	v_dual_mov_b32 v3, 0 :: v_dual_mov_b32 v20, 2
	s_wait_dscnt 0x1
	global_store_b64 v3, v[19:20], s[20:21] offset:256 scope:SCOPE_DEV
.LBB80_73:
	s_wait_alu 0xfffe
	s_or_b32 exec_lo, exec_lo, s0
	s_wait_dscnt 0x0
	s_wait_alu 0xfffd
	v_cndmask_b32_e32 v1, v1, v2, vcc_lo
	s_wait_loadcnt 0x0
	s_wait_storecnt 0x0
	s_barrier_signal -1
	s_barrier_wait -1
	global_inv scope:SCOPE_SE
	v_cndmask_b32_e64 v1, v1, 0, s2
	v_mov_b32_e32 v20, 0
	s_delay_alu instid0(VALU_DEP_2) | instskip(NEXT) | instid1(VALU_DEP_1)
	v_add_nc_u32_e32 v2, v1, v56
	v_add_nc_u32_e32 v3, v2, v57
	s_delay_alu instid0(VALU_DEP_1) | instskip(NEXT) | instid1(VALU_DEP_1)
	v_add_nc_u32_e32 v4, v3, v58
	v_add_nc_u32_e32 v5, v4, v55
	s_delay_alu instid0(VALU_DEP_1) | instskip(NEXT) | instid1(VALU_DEP_1)
	;; [unrolled: 3-line block ×5, first 2 shown]
	v_add_nc_u32_e32 v12, v11, v64
	v_add_nc_u32_e32 v13, v12, v51
.LBB80_74:
	s_wait_dscnt 0x0
	v_sub_nc_u32_e32 v1, v1, v20
	v_sub_nc_u32_e32 v2, v2, v20
	v_add_nc_u32_e32 v48, v19, v48
	v_lshrrev_b32_e32 v58, 8, v54
	v_lshrrev_b32_e32 v57, 16, v54
	v_sub_nc_u32_e32 v4, v4, v20
	v_sub_nc_u32_e32 v3, v3, v20
	;; [unrolled: 1-line block ×3, first 2 shown]
	v_and_b32_e32 v54, 1, v54
	v_and_b32_e32 v58, 1, v58
	;; [unrolled: 1-line block ×3, first 2 shown]
	v_lshrrev_b32_e32 v56, 8, v52
	v_lshrrev_b32_e32 v16, 16, v52
	v_cmp_eq_u32_e32 vcc_lo, 1, v54
	v_and_b32_e32 v54, 1, v57
	v_sub_nc_u32_e32 v57, v48, v2
	v_lshrrev_b32_e32 v15, 8, v50
	v_lshrrev_b32_e32 v14, 16, v50
	s_wait_alu 0xfffd
	v_cndmask_b32_e32 v1, v59, v1, vcc_lo
	v_cmp_eq_u32_e32 vcc_lo, 1, v58
	v_add_nc_u32_e32 v57, 1, v57
	s_delay_alu instid0(VALU_DEP_3)
	v_lshlrev_b32_e32 v1, 2, v1
	ds_store_b32 v1, v31
	s_wait_alu 0xfffd
	v_cndmask_b32_e32 v1, v57, v2, vcc_lo
	v_sub_nc_u32_e32 v59, v48, v3
	v_sub_nc_u32_e32 v60, v48, v4
	v_cmp_eq_u32_e32 vcc_lo, 1, v54
	s_delay_alu instid0(VALU_DEP_4) | instskip(NEXT) | instid1(VALU_DEP_4)
	v_lshlrev_b32_e32 v1, 2, v1
	v_add_nc_u32_e32 v59, 2, v59
	s_delay_alu instid0(VALU_DEP_4)
	v_add_nc_u32_e32 v60, 3, v60
	ds_store_b32 v1, v32
	s_wait_alu 0xfffd
	v_cndmask_b32_e32 v2, v59, v3, vcc_lo
	v_cmp_eq_u32_e32 vcc_lo, 1, v55
	s_wait_alu 0xfffd
	s_delay_alu instid0(VALU_DEP_2) | instskip(SKIP_2) | instid1(VALU_DEP_3)
	v_dual_cndmask_b32 v3, v60, v4 :: v_dual_lshlrev_b32 v2, 2, v2
	v_sub_nc_u32_e32 v4, v5, v20
	v_sub_nc_u32_e32 v5, v6, v20
	v_lshlrev_b32_e32 v3, 2, v3
	s_delay_alu instid0(VALU_DEP_3) | instskip(NEXT) | instid1(VALU_DEP_3)
	v_sub_nc_u32_e32 v1, v48, v4
	v_sub_nc_u32_e32 v6, v48, v5
	ds_store_b32 v2, v29
	ds_store_b32 v3, v30
	v_and_b32_e32 v2, 1, v52
	v_add_nc_u32_e32 v1, 4, v1
	v_add_nc_u32_e32 v3, 5, v6
	v_sub_nc_u32_e32 v6, v7, v20
	v_and_b32_e32 v7, 1, v56
	v_cmp_eq_u32_e32 vcc_lo, 1, v2
	v_sub_nc_u32_e32 v2, v8, v20
	s_wait_alu 0xfffd
	v_dual_cndmask_b32 v1, v1, v4 :: v_dual_and_b32 v8, 1, v53
	v_sub_nc_u32_e32 v4, v48, v6
	v_cmp_eq_u32_e32 vcc_lo, 1, v7
	v_and_b32_e32 v7, 1, v16
	s_delay_alu instid0(VALU_DEP_4)
	v_lshlrev_b32_e32 v1, 2, v1
	s_wait_alu 0xfffd
	v_dual_cndmask_b32 v3, v3, v5 :: v_dual_add_nc_u32 v4, 6, v4
	v_sub_nc_u32_e32 v5, v48, v2
	v_cmp_eq_u32_e32 vcc_lo, 1, v7
	v_sub_nc_u32_e32 v7, v13, v20
	s_delay_alu instid0(VALU_DEP_4)
	v_lshlrev_b32_e32 v3, 2, v3
	s_wait_alu 0xfffd
	v_dual_cndmask_b32 v4, v4, v6 :: v_dual_add_nc_u32 v5, 7, v5
	v_cmp_eq_u32_e32 vcc_lo, 1, v8
	v_sub_nc_u32_e32 v6, v9, v20
	ds_store_b32 v1, v27
	ds_store_b32 v3, v28
	s_wait_alu 0xfffd
	v_dual_cndmask_b32 v2, v5, v2 :: v_dual_lshlrev_b32 v3, 2, v4
	v_sub_nc_u32_e32 v1, v48, v6
	v_and_b32_e32 v5, 1, v50
	v_sub_nc_u32_e32 v4, v10, v20
	v_and_b32_e32 v10, 1, v51
	v_lshlrev_b32_e32 v2, 2, v2
	v_add_nc_u32_e32 v1, 8, v1
	ds_store_b32 v3, v25
	ds_store_b32 v2, v26
	v_cmp_eq_u32_e32 vcc_lo, 1, v5
	v_sub_nc_u32_e32 v3, v11, v20
	v_sub_nc_u32_e32 v2, v48, v4
	;; [unrolled: 1-line block ×3, first 2 shown]
	v_and_b32_e32 v11, 1, v49
	s_wait_alu 0xfffd
	v_dual_cndmask_b32 v1, v1, v6 :: v_dual_and_b32 v6, 1, v15
	v_sub_nc_u32_e32 v8, v48, v3
	v_add_nc_u32_e32 v2, 9, v2
	v_sub_nc_u32_e32 v9, v48, v5
	s_delay_alu instid0(VALU_DEP_4)
	v_lshlrev_b32_e32 v1, 2, v1
	v_cmp_eq_u32_e32 vcc_lo, 1, v6
	v_add_nc_u32_e32 v6, 10, v8
	v_and_b32_e32 v8, 1, v14
	v_add_nc_u32_e32 v9, 11, v9
	v_add_co_u32 v15, s0, v17, v20
	s_wait_alu 0xfffd
	v_cndmask_b32_e32 v2, v2, v4, vcc_lo
	v_cmp_eq_u32_e32 vcc_lo, 1, v8
	v_sub_nc_u32_e32 v4, v48, v7
	s_wait_alu 0xf1ff
	v_add_co_ci_u32_e64 v16, null, 0, v18, s0
	s_wait_alu 0xfffd
	v_dual_cndmask_b32 v3, v6, v3 :: v_dual_lshlrev_b32 v2, 2, v2
	v_cmp_eq_u32_e32 vcc_lo, 1, v10
	v_add_nc_u32_e32 v4, 12, v4
	s_delay_alu instid0(VALU_DEP_3) | instskip(SKIP_4) | instid1(VALU_DEP_2)
	v_lshlrev_b32_e32 v3, 2, v3
	s_wait_alu 0xfffd
	v_cndmask_b32_e32 v5, v9, v5, vcc_lo
	v_cmp_eq_u32_e32 vcc_lo, 1, v11
	s_wait_alu 0xfffd
	v_dual_cndmask_b32 v4, v4, v7 :: v_dual_lshlrev_b32 v5, 2, v5
	v_cmp_ne_u32_e32 vcc_lo, 1, v46
	s_delay_alu instid0(VALU_DEP_2)
	v_lshlrev_b32_e32 v4, 2, v4
	ds_store_b32 v1, v23
	ds_store_b32 v2, v24
	;; [unrolled: 1-line block ×5, first 2 shown]
	s_wait_loadcnt_dscnt 0x0
	s_barrier_signal -1
	s_barrier_wait -1
	global_inv scope:SCOPE_SE
	ds_load_2addr_stride64_b32 v[11:12], v45 offset1:4
	ds_load_2addr_stride64_b32 v[9:10], v45 offset0:8 offset1:12
	ds_load_2addr_stride64_b32 v[7:8], v45 offset0:16 offset1:20
	;; [unrolled: 1-line block ×5, first 2 shown]
	ds_load_b32 v21, v45 offset:12288
	s_cbranch_vccnz .LBB80_131
; %bb.75:
	s_mov_b32 s15, 0
	v_sub_co_u32 v13, vcc_lo, v15, s16
	s_wait_alu 0xfffe
	s_sub_nc_u64 s[0:1], s[18:19], s[14:15]
	s_wait_alu 0xfffd
	v_subrev_co_ci_u32_e64 v14, null, s17, v16, vcc_lo
	s_wait_alu 0xfffe
	v_add_co_u32 v17, s0, s0, v19
	s_wait_alu 0xf1ff
	v_add_co_ci_u32_e64 v18, null, s1, 0, s0
	s_mov_b32 s0, exec_lo
	v_add_co_u32 v17, vcc_lo, v17, v13
	s_wait_alu 0xfffd
	v_add_co_ci_u32_e64 v18, null, v18, v14, vcc_lo
                                        ; implicit-def: $vgpr13_vgpr14
	v_cmpx_ge_u32_e64 v0, v19
	s_wait_alu 0xfffe
	s_xor_b32 s0, exec_lo, s0
; %bb.76:
	v_not_b32_e32 v13, v0
	s_delay_alu instid0(VALU_DEP_1) | instskip(SKIP_2) | instid1(VALU_DEP_2)
	v_ashrrev_i32_e32 v14, 31, v13
	v_add_co_u32 v13, vcc_lo, v17, v13
	s_wait_alu 0xfffd
	v_add_co_ci_u32_e64 v14, null, v18, v14, vcc_lo
; %bb.77:
	s_wait_alu 0xfffe
	s_and_not1_saveexec_b32 s0, s0
; %bb.78:
	v_add_co_u32 v13, vcc_lo, v15, v0
	s_wait_alu 0xfffd
	v_add_co_ci_u32_e64 v14, null, 0, v16, vcc_lo
; %bb.79:
	s_wait_alu 0xfffe
	s_or_b32 exec_lo, exec_lo, s0
	s_delay_alu instid0(VALU_DEP_1) | instskip(SKIP_1) | instid1(VALU_DEP_1)
	v_lshlrev_b64_e32 v[13:14], 2, v[13:14]
	s_mov_b32 s0, exec_lo
	v_add_co_u32 v13, vcc_lo, s10, v13
	s_wait_alu 0xfffd
	s_delay_alu instid0(VALU_DEP_2)
	v_add_co_ci_u32_e64 v14, null, s11, v14, vcc_lo
	s_wait_dscnt 0x6
	global_store_b32 v[13:14], v11, off
                                        ; implicit-def: $vgpr13_vgpr14
	v_cmpx_ge_u32_e64 v44, v19
	s_wait_alu 0xfffe
	s_xor_b32 s0, exec_lo, s0
; %bb.80:
	v_xor_b32_e32 v13, 0xfffffeff, v0
	s_delay_alu instid0(VALU_DEP_1) | instskip(SKIP_2) | instid1(VALU_DEP_2)
	v_ashrrev_i32_e32 v14, 31, v13
	v_add_co_u32 v13, vcc_lo, v17, v13
	s_wait_alu 0xfffd
	v_add_co_ci_u32_e64 v14, null, v18, v14, vcc_lo
; %bb.81:
	s_wait_alu 0xfffe
	s_and_not1_saveexec_b32 s0, s0
; %bb.82:
	v_add_co_u32 v13, vcc_lo, v15, v44
	s_wait_alu 0xfffd
	v_add_co_ci_u32_e64 v14, null, 0, v16, vcc_lo
; %bb.83:
	s_wait_alu 0xfffe
	s_or_b32 exec_lo, exec_lo, s0
	s_delay_alu instid0(VALU_DEP_1) | instskip(SKIP_1) | instid1(VALU_DEP_1)
	v_lshlrev_b64_e32 v[13:14], 2, v[13:14]
	s_mov_b32 s0, exec_lo
	v_add_co_u32 v13, vcc_lo, s10, v13
	s_wait_alu 0xfffd
	s_delay_alu instid0(VALU_DEP_2)
	v_add_co_ci_u32_e64 v14, null, s11, v14, vcc_lo
	global_store_b32 v[13:14], v12, off
                                        ; implicit-def: $vgpr13_vgpr14
	v_cmpx_ge_u32_e64 v43, v19
	s_wait_alu 0xfffe
	s_xor_b32 s0, exec_lo, s0
; %bb.84:
	v_xor_b32_e32 v13, 0xfffffdff, v0
	s_delay_alu instid0(VALU_DEP_1) | instskip(SKIP_2) | instid1(VALU_DEP_2)
	v_ashrrev_i32_e32 v14, 31, v13
	v_add_co_u32 v13, vcc_lo, v17, v13
	s_wait_alu 0xfffd
	v_add_co_ci_u32_e64 v14, null, v18, v14, vcc_lo
; %bb.85:
	s_wait_alu 0xfffe
	s_and_not1_saveexec_b32 s0, s0
; %bb.86:
	v_add_co_u32 v13, vcc_lo, v15, v43
	s_wait_alu 0xfffd
	v_add_co_ci_u32_e64 v14, null, 0, v16, vcc_lo
; %bb.87:
	s_wait_alu 0xfffe
	s_or_b32 exec_lo, exec_lo, s0
	s_delay_alu instid0(VALU_DEP_1) | instskip(SKIP_1) | instid1(VALU_DEP_1)
	v_lshlrev_b64_e32 v[13:14], 2, v[13:14]
	s_mov_b32 s0, exec_lo
	v_add_co_u32 v13, vcc_lo, s10, v13
	s_wait_alu 0xfffd
	s_delay_alu instid0(VALU_DEP_2)
	v_add_co_ci_u32_e64 v14, null, s11, v14, vcc_lo
	s_wait_dscnt 0x5
	global_store_b32 v[13:14], v9, off
                                        ; implicit-def: $vgpr13_vgpr14
	v_cmpx_ge_u32_e64 v42, v19
	s_wait_alu 0xfffe
	s_xor_b32 s0, exec_lo, s0
; %bb.88:
	v_xor_b32_e32 v13, 0xfffffcff, v0
	s_delay_alu instid0(VALU_DEP_1) | instskip(SKIP_2) | instid1(VALU_DEP_2)
	v_ashrrev_i32_e32 v14, 31, v13
	v_add_co_u32 v13, vcc_lo, v17, v13
	s_wait_alu 0xfffd
	v_add_co_ci_u32_e64 v14, null, v18, v14, vcc_lo
; %bb.89:
	s_wait_alu 0xfffe
	s_and_not1_saveexec_b32 s0, s0
; %bb.90:
	v_add_co_u32 v13, vcc_lo, v15, v42
	s_wait_alu 0xfffd
	v_add_co_ci_u32_e64 v14, null, 0, v16, vcc_lo
; %bb.91:
	s_wait_alu 0xfffe
	s_or_b32 exec_lo, exec_lo, s0
	s_delay_alu instid0(VALU_DEP_1) | instskip(SKIP_1) | instid1(VALU_DEP_1)
	v_lshlrev_b64_e32 v[13:14], 2, v[13:14]
	s_mov_b32 s0, exec_lo
	v_add_co_u32 v13, vcc_lo, s10, v13
	s_wait_alu 0xfffd
	s_delay_alu instid0(VALU_DEP_2)
	v_add_co_ci_u32_e64 v14, null, s11, v14, vcc_lo
	global_store_b32 v[13:14], v10, off
                                        ; implicit-def: $vgpr13_vgpr14
	v_cmpx_ge_u32_e64 v41, v19
	s_wait_alu 0xfffe
	s_xor_b32 s0, exec_lo, s0
; %bb.92:
	v_xor_b32_e32 v13, 0xfffffbff, v0
	;; [unrolled: 59-line block ×6, first 2 shown]
	s_delay_alu instid0(VALU_DEP_1) | instskip(SKIP_2) | instid1(VALU_DEP_2)
	v_ashrrev_i32_e32 v14, 31, v13
	v_add_co_u32 v13, vcc_lo, v17, v13
	s_wait_alu 0xfffd
	v_add_co_ci_u32_e64 v14, null, v18, v14, vcc_lo
; %bb.125:
	s_wait_alu 0xfffe
	s_and_not1_saveexec_b32 s0, s0
; %bb.126:
	v_add_co_u32 v13, vcc_lo, v15, v33
	s_wait_alu 0xfffd
	v_add_co_ci_u32_e64 v14, null, 0, v16, vcc_lo
; %bb.127:
	s_wait_alu 0xfffe
	s_or_b32 exec_lo, exec_lo, s0
	s_mov_b32 s0, -1
.LBB80_128:
	s_wait_alu 0xfffe
	s_and_saveexec_b32 s1, s0
	s_cbranch_execz .LBB80_211
.LBB80_129:
	s_wait_dscnt 0x1
	v_lshlrev_b64_e32 v[0:1], 2, v[13:14]
	s_delay_alu instid0(VALU_DEP_1) | instskip(SKIP_1) | instid1(VALU_DEP_2)
	v_add_co_u32 v0, vcc_lo, s10, v0
	s_wait_alu 0xfffd
	v_add_co_ci_u32_e64 v1, null, s11, v1, vcc_lo
	s_wait_dscnt 0x0
	global_store_b32 v[0:1], v21, off
	s_wait_alu 0xfffe
	s_or_b32 exec_lo, exec_lo, s1
	s_and_b32 s0, s2, s9
	s_wait_alu 0xfffe
	s_and_saveexec_b32 s1, s0
	s_cbranch_execnz .LBB80_212
.LBB80_130:
	s_endpgm
.LBB80_131:
	s_mov_b32 s0, 0
                                        ; implicit-def: $vgpr13_vgpr14
	s_cbranch_execz .LBB80_128
; %bb.132:
	s_mov_b32 s15, 0
	s_wait_alu 0xfffe
	s_add_nc_u64 s[4:5], s[16:17], s[14:15]
	s_wait_alu 0xfffe
	s_sub_nc_u64 s[4:5], s[18:19], s[4:5]
	s_wait_alu 0xfffe
	v_add_co_u32 v13, s1, s4, v19
	s_wait_alu 0xf1ff
	v_add_co_ci_u32_e64 v14, null, s5, 0, s1
	s_mov_b32 s1, exec_lo
	v_add_co_u32 v17, vcc_lo, v13, v15
	s_wait_alu 0xfffd
	v_add_co_ci_u32_e64 v18, null, v14, v16, vcc_lo
	v_cmpx_gt_u32_e64 s22, v0
	s_cbranch_execz .LBB80_168
; %bb.133:
	s_mov_b32 s3, exec_lo
                                        ; implicit-def: $vgpr13_vgpr14
	v_cmpx_ge_u32_e64 v0, v19
	s_wait_alu 0xfffe
	s_xor_b32 s3, exec_lo, s3
; %bb.134:
	v_not_b32_e32 v13, v0
	s_delay_alu instid0(VALU_DEP_1) | instskip(SKIP_2) | instid1(VALU_DEP_2)
	v_ashrrev_i32_e32 v14, 31, v13
	v_add_co_u32 v13, vcc_lo, v17, v13
	s_wait_alu 0xfffd
	v_add_co_ci_u32_e64 v14, null, v18, v14, vcc_lo
; %bb.135:
	s_wait_alu 0xfffe
	s_and_not1_saveexec_b32 s3, s3
; %bb.136:
	v_add_co_u32 v13, vcc_lo, v15, v0
	s_wait_alu 0xfffd
	v_add_co_ci_u32_e64 v14, null, 0, v16, vcc_lo
; %bb.137:
	s_wait_alu 0xfffe
	s_or_b32 exec_lo, exec_lo, s3
	s_delay_alu instid0(VALU_DEP_1) | instskip(NEXT) | instid1(VALU_DEP_1)
	v_lshlrev_b64_e32 v[13:14], 2, v[13:14]
	v_add_co_u32 v13, vcc_lo, s10, v13
	s_wait_alu 0xfffd
	s_delay_alu instid0(VALU_DEP_2) | instskip(SKIP_3) | instid1(SALU_CYCLE_1)
	v_add_co_ci_u32_e64 v14, null, s11, v14, vcc_lo
	s_wait_dscnt 0x6
	global_store_b32 v[13:14], v11, off
	s_or_b32 exec_lo, exec_lo, s1
	s_mov_b32 s1, exec_lo
	v_cmpx_gt_u32_e64 s22, v44
	s_cbranch_execnz .LBB80_169
.LBB80_138:
	s_wait_alu 0xfffe
	s_or_b32 exec_lo, exec_lo, s1
	s_delay_alu instid0(SALU_CYCLE_1)
	s_mov_b32 s1, exec_lo
	v_cmpx_gt_u32_e64 s22, v43
	s_cbranch_execz .LBB80_174
.LBB80_139:
	s_mov_b32 s3, exec_lo
                                        ; implicit-def: $vgpr11_vgpr12
	v_cmpx_ge_u32_e64 v43, v19
	s_wait_alu 0xfffe
	s_xor_b32 s3, exec_lo, s3
	s_cbranch_execz .LBB80_141
; %bb.140:
	s_wait_dscnt 0x6
	v_xor_b32_e32 v11, 0xfffffdff, v0
                                        ; implicit-def: $vgpr43
	s_delay_alu instid0(VALU_DEP_1) | instskip(SKIP_2) | instid1(VALU_DEP_2)
	v_ashrrev_i32_e32 v12, 31, v11
	v_add_co_u32 v11, vcc_lo, v17, v11
	s_wait_alu 0xfffd
	v_add_co_ci_u32_e64 v12, null, v18, v12, vcc_lo
.LBB80_141:
	s_wait_alu 0xfffe
	s_and_not1_saveexec_b32 s3, s3
	s_cbranch_execz .LBB80_143
; %bb.142:
	s_wait_dscnt 0x6
	v_add_co_u32 v11, vcc_lo, v15, v43
	s_wait_alu 0xfffd
	v_add_co_ci_u32_e64 v12, null, 0, v16, vcc_lo
.LBB80_143:
	s_wait_alu 0xfffe
	s_or_b32 exec_lo, exec_lo, s3
	s_wait_dscnt 0x6
	s_delay_alu instid0(VALU_DEP_1) | instskip(NEXT) | instid1(VALU_DEP_1)
	v_lshlrev_b64_e32 v[11:12], 2, v[11:12]
	v_add_co_u32 v11, vcc_lo, s10, v11
	s_wait_alu 0xfffd
	s_delay_alu instid0(VALU_DEP_2) | instskip(SKIP_3) | instid1(SALU_CYCLE_1)
	v_add_co_ci_u32_e64 v12, null, s11, v12, vcc_lo
	s_wait_dscnt 0x5
	global_store_b32 v[11:12], v9, off
	s_or_b32 exec_lo, exec_lo, s1
	s_mov_b32 s1, exec_lo
	v_cmpx_gt_u32_e64 s22, v42
	s_cbranch_execnz .LBB80_175
.LBB80_144:
	s_wait_alu 0xfffe
	s_or_b32 exec_lo, exec_lo, s1
	s_delay_alu instid0(SALU_CYCLE_1)
	s_mov_b32 s1, exec_lo
	v_cmpx_gt_u32_e64 s22, v41
	s_cbranch_execz .LBB80_180
.LBB80_145:
	s_mov_b32 s3, exec_lo
                                        ; implicit-def: $vgpr9_vgpr10
	v_cmpx_ge_u32_e64 v41, v19
	s_wait_alu 0xfffe
	s_xor_b32 s3, exec_lo, s3
	s_cbranch_execz .LBB80_147
; %bb.146:
	s_wait_dscnt 0x5
	v_xor_b32_e32 v9, 0xfffffbff, v0
                                        ; implicit-def: $vgpr41
	s_delay_alu instid0(VALU_DEP_1) | instskip(SKIP_2) | instid1(VALU_DEP_2)
	v_ashrrev_i32_e32 v10, 31, v9
	v_add_co_u32 v9, vcc_lo, v17, v9
	s_wait_alu 0xfffd
	v_add_co_ci_u32_e64 v10, null, v18, v10, vcc_lo
.LBB80_147:
	s_wait_alu 0xfffe
	s_and_not1_saveexec_b32 s3, s3
	s_cbranch_execz .LBB80_149
; %bb.148:
	s_wait_dscnt 0x5
	v_add_co_u32 v9, vcc_lo, v15, v41
	s_wait_alu 0xfffd
	v_add_co_ci_u32_e64 v10, null, 0, v16, vcc_lo
.LBB80_149:
	s_wait_alu 0xfffe
	s_or_b32 exec_lo, exec_lo, s3
	s_wait_dscnt 0x5
	s_delay_alu instid0(VALU_DEP_1) | instskip(NEXT) | instid1(VALU_DEP_1)
	v_lshlrev_b64_e32 v[9:10], 2, v[9:10]
	v_add_co_u32 v9, vcc_lo, s10, v9
	s_wait_alu 0xfffd
	s_delay_alu instid0(VALU_DEP_2) | instskip(SKIP_3) | instid1(SALU_CYCLE_1)
	v_add_co_ci_u32_e64 v10, null, s11, v10, vcc_lo
	s_wait_dscnt 0x4
	global_store_b32 v[9:10], v7, off
	s_or_b32 exec_lo, exec_lo, s1
	s_mov_b32 s1, exec_lo
	v_cmpx_gt_u32_e64 s22, v40
	s_cbranch_execnz .LBB80_181
.LBB80_150:
	s_wait_alu 0xfffe
	s_or_b32 exec_lo, exec_lo, s1
	s_delay_alu instid0(SALU_CYCLE_1)
	s_mov_b32 s1, exec_lo
	v_cmpx_gt_u32_e64 s22, v39
	s_cbranch_execz .LBB80_186
.LBB80_151:
	s_mov_b32 s3, exec_lo
                                        ; implicit-def: $vgpr7_vgpr8
	v_cmpx_ge_u32_e64 v39, v19
	s_wait_alu 0xfffe
	s_xor_b32 s3, exec_lo, s3
	s_cbranch_execz .LBB80_153
; %bb.152:
	s_wait_dscnt 0x4
	v_xor_b32_e32 v7, 0xfffff9ff, v0
                                        ; implicit-def: $vgpr39
	s_delay_alu instid0(VALU_DEP_1) | instskip(SKIP_2) | instid1(VALU_DEP_2)
	v_ashrrev_i32_e32 v8, 31, v7
	v_add_co_u32 v7, vcc_lo, v17, v7
	s_wait_alu 0xfffd
	v_add_co_ci_u32_e64 v8, null, v18, v8, vcc_lo
.LBB80_153:
	s_wait_alu 0xfffe
	s_and_not1_saveexec_b32 s3, s3
	s_cbranch_execz .LBB80_155
; %bb.154:
	s_wait_dscnt 0x4
	v_add_co_u32 v7, vcc_lo, v15, v39
	s_wait_alu 0xfffd
	v_add_co_ci_u32_e64 v8, null, 0, v16, vcc_lo
.LBB80_155:
	s_wait_alu 0xfffe
	s_or_b32 exec_lo, exec_lo, s3
	s_wait_dscnt 0x4
	s_delay_alu instid0(VALU_DEP_1) | instskip(NEXT) | instid1(VALU_DEP_1)
	v_lshlrev_b64_e32 v[7:8], 2, v[7:8]
	v_add_co_u32 v7, vcc_lo, s10, v7
	s_wait_alu 0xfffd
	s_delay_alu instid0(VALU_DEP_2) | instskip(SKIP_3) | instid1(SALU_CYCLE_1)
	v_add_co_ci_u32_e64 v8, null, s11, v8, vcc_lo
	s_wait_dscnt 0x3
	global_store_b32 v[7:8], v5, off
	s_or_b32 exec_lo, exec_lo, s1
	s_mov_b32 s1, exec_lo
	v_cmpx_gt_u32_e64 s22, v38
	s_cbranch_execnz .LBB80_187
.LBB80_156:
	s_wait_alu 0xfffe
	s_or_b32 exec_lo, exec_lo, s1
	s_delay_alu instid0(SALU_CYCLE_1)
	s_mov_b32 s1, exec_lo
	v_cmpx_gt_u32_e64 s22, v37
	s_cbranch_execz .LBB80_192
.LBB80_157:
	s_mov_b32 s3, exec_lo
                                        ; implicit-def: $vgpr5_vgpr6
	v_cmpx_ge_u32_e64 v37, v19
	s_wait_alu 0xfffe
	s_xor_b32 s3, exec_lo, s3
	s_cbranch_execz .LBB80_159
; %bb.158:
	s_wait_dscnt 0x3
	v_xor_b32_e32 v5, 0xfffff7ff, v0
                                        ; implicit-def: $vgpr37
	s_delay_alu instid0(VALU_DEP_1) | instskip(SKIP_2) | instid1(VALU_DEP_2)
	v_ashrrev_i32_e32 v6, 31, v5
	v_add_co_u32 v5, vcc_lo, v17, v5
	s_wait_alu 0xfffd
	v_add_co_ci_u32_e64 v6, null, v18, v6, vcc_lo
.LBB80_159:
	s_wait_alu 0xfffe
	s_and_not1_saveexec_b32 s3, s3
	s_cbranch_execz .LBB80_161
; %bb.160:
	s_wait_dscnt 0x3
	v_add_co_u32 v5, vcc_lo, v15, v37
	s_wait_alu 0xfffd
	v_add_co_ci_u32_e64 v6, null, 0, v16, vcc_lo
.LBB80_161:
	s_wait_alu 0xfffe
	s_or_b32 exec_lo, exec_lo, s3
	s_wait_dscnt 0x3
	s_delay_alu instid0(VALU_DEP_1) | instskip(NEXT) | instid1(VALU_DEP_1)
	v_lshlrev_b64_e32 v[5:6], 2, v[5:6]
	v_add_co_u32 v5, vcc_lo, s10, v5
	s_wait_alu 0xfffd
	s_delay_alu instid0(VALU_DEP_2) | instskip(SKIP_3) | instid1(SALU_CYCLE_1)
	v_add_co_ci_u32_e64 v6, null, s11, v6, vcc_lo
	s_wait_dscnt 0x2
	global_store_b32 v[5:6], v3, off
	s_or_b32 exec_lo, exec_lo, s1
	s_mov_b32 s1, exec_lo
	v_cmpx_gt_u32_e64 s22, v36
	s_cbranch_execnz .LBB80_193
.LBB80_162:
	s_wait_alu 0xfffe
	s_or_b32 exec_lo, exec_lo, s1
	s_delay_alu instid0(SALU_CYCLE_1)
	s_mov_b32 s1, exec_lo
	v_cmpx_gt_u32_e64 s22, v35
	s_cbranch_execz .LBB80_198
.LBB80_163:
	s_mov_b32 s3, exec_lo
                                        ; implicit-def: $vgpr3_vgpr4
	v_cmpx_ge_u32_e64 v35, v19
	s_wait_alu 0xfffe
	s_xor_b32 s3, exec_lo, s3
	s_cbranch_execz .LBB80_165
; %bb.164:
	s_wait_dscnt 0x2
	v_xor_b32_e32 v3, 0xfffff5ff, v0
                                        ; implicit-def: $vgpr35
	s_delay_alu instid0(VALU_DEP_1) | instskip(SKIP_2) | instid1(VALU_DEP_2)
	v_ashrrev_i32_e32 v4, 31, v3
	v_add_co_u32 v3, vcc_lo, v17, v3
	s_wait_alu 0xfffd
	v_add_co_ci_u32_e64 v4, null, v18, v4, vcc_lo
.LBB80_165:
	s_wait_alu 0xfffe
	s_and_not1_saveexec_b32 s3, s3
	s_cbranch_execz .LBB80_167
; %bb.166:
	s_wait_dscnt 0x2
	v_add_co_u32 v3, vcc_lo, v15, v35
	s_wait_alu 0xfffd
	v_add_co_ci_u32_e64 v4, null, 0, v16, vcc_lo
.LBB80_167:
	s_wait_alu 0xfffe
	s_or_b32 exec_lo, exec_lo, s3
	s_wait_dscnt 0x2
	s_delay_alu instid0(VALU_DEP_1) | instskip(NEXT) | instid1(VALU_DEP_1)
	v_lshlrev_b64_e32 v[3:4], 2, v[3:4]
	v_add_co_u32 v3, vcc_lo, s10, v3
	s_wait_alu 0xfffd
	s_delay_alu instid0(VALU_DEP_2) | instskip(SKIP_3) | instid1(SALU_CYCLE_1)
	v_add_co_ci_u32_e64 v4, null, s11, v4, vcc_lo
	s_wait_dscnt 0x1
	global_store_b32 v[3:4], v1, off
	s_or_b32 exec_lo, exec_lo, s1
	s_mov_b32 s1, exec_lo
	v_cmpx_gt_u32_e64 s22, v34
	s_cbranch_execz .LBB80_204
	s_branch .LBB80_199
.LBB80_168:
	s_wait_alu 0xfffe
	s_or_b32 exec_lo, exec_lo, s1
	s_delay_alu instid0(SALU_CYCLE_1)
	s_mov_b32 s1, exec_lo
	v_cmpx_gt_u32_e64 s22, v44
	s_cbranch_execz .LBB80_138
.LBB80_169:
	s_mov_b32 s3, exec_lo
                                        ; implicit-def: $vgpr13_vgpr14
	v_cmpx_ge_u32_e64 v44, v19
	s_wait_alu 0xfffe
	s_xor_b32 s3, exec_lo, s3
	s_cbranch_execz .LBB80_171
; %bb.170:
	s_wait_dscnt 0x6
	v_xor_b32_e32 v11, 0xfffffeff, v0
                                        ; implicit-def: $vgpr44
	s_delay_alu instid0(VALU_DEP_1) | instskip(SKIP_2) | instid1(VALU_DEP_2)
	v_ashrrev_i32_e32 v14, 31, v11
	v_add_co_u32 v13, vcc_lo, v17, v11
	s_wait_alu 0xfffd
	v_add_co_ci_u32_e64 v14, null, v18, v14, vcc_lo
.LBB80_171:
	s_wait_alu 0xfffe
	s_and_not1_saveexec_b32 s3, s3
; %bb.172:
	v_add_co_u32 v13, vcc_lo, v15, v44
	s_wait_alu 0xfffd
	v_add_co_ci_u32_e64 v14, null, 0, v16, vcc_lo
; %bb.173:
	s_wait_alu 0xfffe
	s_or_b32 exec_lo, exec_lo, s3
	s_delay_alu instid0(VALU_DEP_1) | instskip(NEXT) | instid1(VALU_DEP_1)
	v_lshlrev_b64_e32 v[13:14], 2, v[13:14]
	v_add_co_u32 v13, vcc_lo, s10, v13
	s_wait_alu 0xfffd
	s_delay_alu instid0(VALU_DEP_2) | instskip(SKIP_3) | instid1(SALU_CYCLE_1)
	v_add_co_ci_u32_e64 v14, null, s11, v14, vcc_lo
	s_wait_dscnt 0x6
	global_store_b32 v[13:14], v12, off
	s_or_b32 exec_lo, exec_lo, s1
	s_mov_b32 s1, exec_lo
	v_cmpx_gt_u32_e64 s22, v43
	s_cbranch_execnz .LBB80_139
.LBB80_174:
	s_wait_alu 0xfffe
	s_or_b32 exec_lo, exec_lo, s1
	s_delay_alu instid0(SALU_CYCLE_1)
	s_mov_b32 s1, exec_lo
	v_cmpx_gt_u32_e64 s22, v42
	s_cbranch_execz .LBB80_144
.LBB80_175:
	s_mov_b32 s3, exec_lo
                                        ; implicit-def: $vgpr11_vgpr12
	v_cmpx_ge_u32_e64 v42, v19
	s_wait_alu 0xfffe
	s_xor_b32 s3, exec_lo, s3
	s_cbranch_execz .LBB80_177
; %bb.176:
	s_wait_dscnt 0x5
	v_xor_b32_e32 v9, 0xfffffcff, v0
                                        ; implicit-def: $vgpr42
	s_delay_alu instid0(VALU_DEP_1) | instskip(SKIP_2) | instid1(VALU_DEP_2)
	v_ashrrev_i32_e32 v12, 31, v9
	v_add_co_u32 v11, vcc_lo, v17, v9
	s_wait_alu 0xfffd
	v_add_co_ci_u32_e64 v12, null, v18, v12, vcc_lo
.LBB80_177:
	s_wait_alu 0xfffe
	s_and_not1_saveexec_b32 s3, s3
	s_cbranch_execz .LBB80_179
; %bb.178:
	s_wait_dscnt 0x6
	v_add_co_u32 v11, vcc_lo, v15, v42
	s_wait_alu 0xfffd
	v_add_co_ci_u32_e64 v12, null, 0, v16, vcc_lo
.LBB80_179:
	s_wait_alu 0xfffe
	s_or_b32 exec_lo, exec_lo, s3
	s_wait_dscnt 0x6
	s_delay_alu instid0(VALU_DEP_1) | instskip(NEXT) | instid1(VALU_DEP_1)
	v_lshlrev_b64_e32 v[11:12], 2, v[11:12]
	v_add_co_u32 v11, vcc_lo, s10, v11
	s_wait_alu 0xfffd
	s_delay_alu instid0(VALU_DEP_2) | instskip(SKIP_3) | instid1(SALU_CYCLE_1)
	v_add_co_ci_u32_e64 v12, null, s11, v12, vcc_lo
	s_wait_dscnt 0x5
	global_store_b32 v[11:12], v10, off
	s_or_b32 exec_lo, exec_lo, s1
	s_mov_b32 s1, exec_lo
	v_cmpx_gt_u32_e64 s22, v41
	s_cbranch_execnz .LBB80_145
.LBB80_180:
	s_wait_alu 0xfffe
	s_or_b32 exec_lo, exec_lo, s1
	s_delay_alu instid0(SALU_CYCLE_1)
	s_mov_b32 s1, exec_lo
	v_cmpx_gt_u32_e64 s22, v40
	s_cbranch_execz .LBB80_150
.LBB80_181:
	s_mov_b32 s3, exec_lo
                                        ; implicit-def: $vgpr9_vgpr10
	v_cmpx_ge_u32_e64 v40, v19
	s_wait_alu 0xfffe
	s_xor_b32 s3, exec_lo, s3
	s_cbranch_execz .LBB80_183
; %bb.182:
	s_wait_dscnt 0x4
	v_xor_b32_e32 v7, 0xfffffaff, v0
                                        ; implicit-def: $vgpr40
	s_delay_alu instid0(VALU_DEP_1) | instskip(SKIP_2) | instid1(VALU_DEP_2)
	v_ashrrev_i32_e32 v10, 31, v7
	v_add_co_u32 v9, vcc_lo, v17, v7
	s_wait_alu 0xfffd
	v_add_co_ci_u32_e64 v10, null, v18, v10, vcc_lo
.LBB80_183:
	s_wait_alu 0xfffe
	s_and_not1_saveexec_b32 s3, s3
	s_cbranch_execz .LBB80_185
; %bb.184:
	s_wait_dscnt 0x5
	v_add_co_u32 v9, vcc_lo, v15, v40
	s_wait_alu 0xfffd
	v_add_co_ci_u32_e64 v10, null, 0, v16, vcc_lo
.LBB80_185:
	s_wait_alu 0xfffe
	s_or_b32 exec_lo, exec_lo, s3
	s_wait_dscnt 0x5
	s_delay_alu instid0(VALU_DEP_1) | instskip(NEXT) | instid1(VALU_DEP_1)
	v_lshlrev_b64_e32 v[9:10], 2, v[9:10]
	v_add_co_u32 v9, vcc_lo, s10, v9
	s_wait_alu 0xfffd
	s_delay_alu instid0(VALU_DEP_2) | instskip(SKIP_3) | instid1(SALU_CYCLE_1)
	v_add_co_ci_u32_e64 v10, null, s11, v10, vcc_lo
	s_wait_dscnt 0x4
	global_store_b32 v[9:10], v8, off
	s_or_b32 exec_lo, exec_lo, s1
	s_mov_b32 s1, exec_lo
	v_cmpx_gt_u32_e64 s22, v39
	s_cbranch_execnz .LBB80_151
.LBB80_186:
	s_wait_alu 0xfffe
	s_or_b32 exec_lo, exec_lo, s1
	s_delay_alu instid0(SALU_CYCLE_1)
	s_mov_b32 s1, exec_lo
	v_cmpx_gt_u32_e64 s22, v38
	s_cbranch_execz .LBB80_156
.LBB80_187:
	s_mov_b32 s3, exec_lo
                                        ; implicit-def: $vgpr7_vgpr8
	v_cmpx_ge_u32_e64 v38, v19
	s_wait_alu 0xfffe
	s_xor_b32 s3, exec_lo, s3
	s_cbranch_execz .LBB80_189
; %bb.188:
	s_wait_dscnt 0x3
	v_xor_b32_e32 v5, 0xfffff8ff, v0
                                        ; implicit-def: $vgpr38
	s_delay_alu instid0(VALU_DEP_1) | instskip(SKIP_2) | instid1(VALU_DEP_2)
	v_ashrrev_i32_e32 v8, 31, v5
	v_add_co_u32 v7, vcc_lo, v17, v5
	s_wait_alu 0xfffd
	v_add_co_ci_u32_e64 v8, null, v18, v8, vcc_lo
.LBB80_189:
	s_wait_alu 0xfffe
	s_and_not1_saveexec_b32 s3, s3
	s_cbranch_execz .LBB80_191
; %bb.190:
	s_wait_dscnt 0x4
	v_add_co_u32 v7, vcc_lo, v15, v38
	s_wait_alu 0xfffd
	v_add_co_ci_u32_e64 v8, null, 0, v16, vcc_lo
.LBB80_191:
	s_wait_alu 0xfffe
	s_or_b32 exec_lo, exec_lo, s3
	s_wait_dscnt 0x4
	s_delay_alu instid0(VALU_DEP_1) | instskip(NEXT) | instid1(VALU_DEP_1)
	v_lshlrev_b64_e32 v[7:8], 2, v[7:8]
	v_add_co_u32 v7, vcc_lo, s10, v7
	s_wait_alu 0xfffd
	s_delay_alu instid0(VALU_DEP_2) | instskip(SKIP_3) | instid1(SALU_CYCLE_1)
	v_add_co_ci_u32_e64 v8, null, s11, v8, vcc_lo
	s_wait_dscnt 0x3
	global_store_b32 v[7:8], v6, off
	s_or_b32 exec_lo, exec_lo, s1
	s_mov_b32 s1, exec_lo
	v_cmpx_gt_u32_e64 s22, v37
	s_cbranch_execnz .LBB80_157
.LBB80_192:
	s_wait_alu 0xfffe
	s_or_b32 exec_lo, exec_lo, s1
	s_delay_alu instid0(SALU_CYCLE_1)
	s_mov_b32 s1, exec_lo
	v_cmpx_gt_u32_e64 s22, v36
	s_cbranch_execz .LBB80_162
.LBB80_193:
	s_mov_b32 s3, exec_lo
                                        ; implicit-def: $vgpr5_vgpr6
	v_cmpx_ge_u32_e64 v36, v19
	s_wait_alu 0xfffe
	s_xor_b32 s3, exec_lo, s3
	s_cbranch_execz .LBB80_195
; %bb.194:
	s_wait_dscnt 0x2
	v_xor_b32_e32 v3, 0xfffff6ff, v0
                                        ; implicit-def: $vgpr36
	s_delay_alu instid0(VALU_DEP_1) | instskip(SKIP_2) | instid1(VALU_DEP_2)
	v_ashrrev_i32_e32 v6, 31, v3
	v_add_co_u32 v5, vcc_lo, v17, v3
	s_wait_alu 0xfffd
	v_add_co_ci_u32_e64 v6, null, v18, v6, vcc_lo
.LBB80_195:
	s_wait_alu 0xfffe
	s_and_not1_saveexec_b32 s3, s3
	s_cbranch_execz .LBB80_197
; %bb.196:
	s_wait_dscnt 0x3
	v_add_co_u32 v5, vcc_lo, v15, v36
	s_wait_alu 0xfffd
	v_add_co_ci_u32_e64 v6, null, 0, v16, vcc_lo
.LBB80_197:
	s_wait_alu 0xfffe
	s_or_b32 exec_lo, exec_lo, s3
	s_wait_dscnt 0x3
	s_delay_alu instid0(VALU_DEP_1) | instskip(NEXT) | instid1(VALU_DEP_1)
	v_lshlrev_b64_e32 v[5:6], 2, v[5:6]
	v_add_co_u32 v5, vcc_lo, s10, v5
	s_wait_alu 0xfffd
	s_delay_alu instid0(VALU_DEP_2) | instskip(SKIP_3) | instid1(SALU_CYCLE_1)
	v_add_co_ci_u32_e64 v6, null, s11, v6, vcc_lo
	s_wait_dscnt 0x2
	global_store_b32 v[5:6], v4, off
	s_or_b32 exec_lo, exec_lo, s1
	s_mov_b32 s1, exec_lo
	v_cmpx_gt_u32_e64 s22, v35
	s_cbranch_execnz .LBB80_163
.LBB80_198:
	s_wait_alu 0xfffe
	s_or_b32 exec_lo, exec_lo, s1
	s_delay_alu instid0(SALU_CYCLE_1)
	s_mov_b32 s1, exec_lo
	v_cmpx_gt_u32_e64 s22, v34
	s_cbranch_execz .LBB80_204
.LBB80_199:
	s_mov_b32 s3, exec_lo
                                        ; implicit-def: $vgpr3_vgpr4
	v_cmpx_ge_u32_e64 v34, v19
	s_wait_alu 0xfffe
	s_xor_b32 s3, exec_lo, s3
	s_cbranch_execz .LBB80_201
; %bb.200:
	s_wait_dscnt 0x1
	v_xor_b32_e32 v1, 0xfffff4ff, v0
                                        ; implicit-def: $vgpr34
	s_delay_alu instid0(VALU_DEP_1) | instskip(SKIP_2) | instid1(VALU_DEP_2)
	v_ashrrev_i32_e32 v4, 31, v1
	v_add_co_u32 v3, vcc_lo, v17, v1
	s_wait_alu 0xfffd
	v_add_co_ci_u32_e64 v4, null, v18, v4, vcc_lo
.LBB80_201:
	s_wait_alu 0xfffe
	s_and_not1_saveexec_b32 s3, s3
	s_cbranch_execz .LBB80_203
; %bb.202:
	s_wait_dscnt 0x2
	v_add_co_u32 v3, vcc_lo, v15, v34
	s_wait_alu 0xfffd
	v_add_co_ci_u32_e64 v4, null, 0, v16, vcc_lo
.LBB80_203:
	s_wait_alu 0xfffe
	s_or_b32 exec_lo, exec_lo, s3
	s_wait_dscnt 0x2
	s_delay_alu instid0(VALU_DEP_1) | instskip(NEXT) | instid1(VALU_DEP_1)
	v_lshlrev_b64_e32 v[3:4], 2, v[3:4]
	v_add_co_u32 v3, vcc_lo, s10, v3
	s_wait_alu 0xfffd
	s_delay_alu instid0(VALU_DEP_2)
	v_add_co_ci_u32_e64 v4, null, s11, v4, vcc_lo
	s_wait_dscnt 0x1
	global_store_b32 v[3:4], v2, off
.LBB80_204:
	s_wait_alu 0xfffe
	s_or_b32 exec_lo, exec_lo, s1
	s_delay_alu instid0(SALU_CYCLE_1)
	s_mov_b32 s1, exec_lo
                                        ; implicit-def: $vgpr13_vgpr14
	v_cmpx_gt_u32_e64 s22, v33
	s_cbranch_execz .LBB80_210
; %bb.205:
	s_mov_b32 s3, exec_lo
                                        ; implicit-def: $vgpr13_vgpr14
	v_cmpx_ge_u32_e64 v33, v19
	s_wait_alu 0xfffe
	s_xor_b32 s3, exec_lo, s3
	s_cbranch_execz .LBB80_207
; %bb.206:
	v_xor_b32_e32 v0, 0xfffff3ff, v0
                                        ; implicit-def: $vgpr33
	s_wait_dscnt 0x1
	s_delay_alu instid0(VALU_DEP_1) | instskip(SKIP_2) | instid1(VALU_DEP_2)
	v_ashrrev_i32_e32 v1, 31, v0
	v_add_co_u32 v13, vcc_lo, v17, v0
	s_wait_alu 0xfffd
	v_add_co_ci_u32_e64 v14, null, v18, v1, vcc_lo
.LBB80_207:
	s_wait_alu 0xfffe
	s_and_not1_saveexec_b32 s3, s3
; %bb.208:
	v_add_co_u32 v13, vcc_lo, v15, v33
	s_wait_alu 0xfffd
	v_add_co_ci_u32_e64 v14, null, 0, v16, vcc_lo
; %bb.209:
	s_wait_alu 0xfffe
	s_or_b32 exec_lo, exec_lo, s3
	s_delay_alu instid0(SALU_CYCLE_1)
	s_or_b32 s0, s0, exec_lo
.LBB80_210:
	s_wait_alu 0xfffe
	s_or_b32 exec_lo, exec_lo, s1
	s_and_saveexec_b32 s1, s0
	s_cbranch_execnz .LBB80_129
.LBB80_211:
	s_wait_alu 0xfffe
	s_or_b32 exec_lo, exec_lo, s1
	s_and_b32 s0, s2, s9
	s_wait_alu 0xfffe
	s_and_saveexec_b32 s1, s0
	s_cbranch_execz .LBB80_130
.LBB80_212:
	v_add_co_u32 v0, vcc_lo, v15, v19
	s_wait_dscnt 0x1
	v_mov_b32_e32 v2, 0
	s_wait_alu 0xfffd
	v_add_co_ci_u32_e64 v1, null, 0, v16, vcc_lo
	global_store_b64 v2, v[0:1], s[12:13]
	s_endpgm
	.section	.rodata,"a",@progbits
	.p2align	6, 0x0
	.amdhsa_kernel _ZN7rocprim17ROCPRIM_400000_NS6detail17trampoline_kernelINS0_13select_configILj256ELj13ELNS0_17block_load_methodE3ELS4_3ELS4_3ELNS0_20block_scan_algorithmE0ELj4294967295EEENS1_25partition_config_selectorILNS1_17partition_subalgoE3EjNS0_10empty_typeEbEEZZNS1_14partition_implILS8_3ELb0ES6_jNS0_17counting_iteratorIjlEEPS9_SE_NS0_5tupleIJPjSE_EEENSF_IJSE_SE_EEES9_SG_JZNS1_25segmented_radix_sort_implINS0_14default_configELb1EPKhPhPKlPlN2at6native12_GLOBAL__N_18offset_tEEE10hipError_tPvRmT1_PNSt15iterator_traitsISY_E10value_typeET2_T3_PNSZ_IS14_E10value_typeET4_jRbjT5_S1A_jjP12ihipStream_tbEUljE_EEESV_SW_SX_S14_S18_S1A_T6_T7_T9_mT8_S1C_bDpT10_ENKUlT_T0_E_clISt17integral_constantIbLb0EES1O_IbLb1EEEEDaS1K_S1L_EUlS1K_E_NS1_11comp_targetILNS1_3genE10ELNS1_11target_archE1200ELNS1_3gpuE4ELNS1_3repE0EEENS1_30default_config_static_selectorELNS0_4arch9wavefront6targetE0EEEvSY_
		.amdhsa_group_segment_fixed_size 13320
		.amdhsa_private_segment_fixed_size 0
		.amdhsa_kernarg_size 152
		.amdhsa_user_sgpr_count 2
		.amdhsa_user_sgpr_dispatch_ptr 0
		.amdhsa_user_sgpr_queue_ptr 0
		.amdhsa_user_sgpr_kernarg_segment_ptr 1
		.amdhsa_user_sgpr_dispatch_id 0
		.amdhsa_user_sgpr_private_segment_size 0
		.amdhsa_wavefront_size32 1
		.amdhsa_uses_dynamic_stack 0
		.amdhsa_enable_private_segment 0
		.amdhsa_system_sgpr_workgroup_id_x 1
		.amdhsa_system_sgpr_workgroup_id_y 0
		.amdhsa_system_sgpr_workgroup_id_z 0
		.amdhsa_system_sgpr_workgroup_info 0
		.amdhsa_system_vgpr_workitem_id 0
		.amdhsa_next_free_vgpr 71
		.amdhsa_next_free_sgpr 26
		.amdhsa_reserve_vcc 1
		.amdhsa_float_round_mode_32 0
		.amdhsa_float_round_mode_16_64 0
		.amdhsa_float_denorm_mode_32 3
		.amdhsa_float_denorm_mode_16_64 3
		.amdhsa_fp16_overflow 0
		.amdhsa_workgroup_processor_mode 1
		.amdhsa_memory_ordered 1
		.amdhsa_forward_progress 1
		.amdhsa_inst_pref_size 86
		.amdhsa_round_robin_scheduling 0
		.amdhsa_exception_fp_ieee_invalid_op 0
		.amdhsa_exception_fp_denorm_src 0
		.amdhsa_exception_fp_ieee_div_zero 0
		.amdhsa_exception_fp_ieee_overflow 0
		.amdhsa_exception_fp_ieee_underflow 0
		.amdhsa_exception_fp_ieee_inexact 0
		.amdhsa_exception_int_div_zero 0
	.end_amdhsa_kernel
	.section	.text._ZN7rocprim17ROCPRIM_400000_NS6detail17trampoline_kernelINS0_13select_configILj256ELj13ELNS0_17block_load_methodE3ELS4_3ELS4_3ELNS0_20block_scan_algorithmE0ELj4294967295EEENS1_25partition_config_selectorILNS1_17partition_subalgoE3EjNS0_10empty_typeEbEEZZNS1_14partition_implILS8_3ELb0ES6_jNS0_17counting_iteratorIjlEEPS9_SE_NS0_5tupleIJPjSE_EEENSF_IJSE_SE_EEES9_SG_JZNS1_25segmented_radix_sort_implINS0_14default_configELb1EPKhPhPKlPlN2at6native12_GLOBAL__N_18offset_tEEE10hipError_tPvRmT1_PNSt15iterator_traitsISY_E10value_typeET2_T3_PNSZ_IS14_E10value_typeET4_jRbjT5_S1A_jjP12ihipStream_tbEUljE_EEESV_SW_SX_S14_S18_S1A_T6_T7_T9_mT8_S1C_bDpT10_ENKUlT_T0_E_clISt17integral_constantIbLb0EES1O_IbLb1EEEEDaS1K_S1L_EUlS1K_E_NS1_11comp_targetILNS1_3genE10ELNS1_11target_archE1200ELNS1_3gpuE4ELNS1_3repE0EEENS1_30default_config_static_selectorELNS0_4arch9wavefront6targetE0EEEvSY_,"axG",@progbits,_ZN7rocprim17ROCPRIM_400000_NS6detail17trampoline_kernelINS0_13select_configILj256ELj13ELNS0_17block_load_methodE3ELS4_3ELS4_3ELNS0_20block_scan_algorithmE0ELj4294967295EEENS1_25partition_config_selectorILNS1_17partition_subalgoE3EjNS0_10empty_typeEbEEZZNS1_14partition_implILS8_3ELb0ES6_jNS0_17counting_iteratorIjlEEPS9_SE_NS0_5tupleIJPjSE_EEENSF_IJSE_SE_EEES9_SG_JZNS1_25segmented_radix_sort_implINS0_14default_configELb1EPKhPhPKlPlN2at6native12_GLOBAL__N_18offset_tEEE10hipError_tPvRmT1_PNSt15iterator_traitsISY_E10value_typeET2_T3_PNSZ_IS14_E10value_typeET4_jRbjT5_S1A_jjP12ihipStream_tbEUljE_EEESV_SW_SX_S14_S18_S1A_T6_T7_T9_mT8_S1C_bDpT10_ENKUlT_T0_E_clISt17integral_constantIbLb0EES1O_IbLb1EEEEDaS1K_S1L_EUlS1K_E_NS1_11comp_targetILNS1_3genE10ELNS1_11target_archE1200ELNS1_3gpuE4ELNS1_3repE0EEENS1_30default_config_static_selectorELNS0_4arch9wavefront6targetE0EEEvSY_,comdat
.Lfunc_end80:
	.size	_ZN7rocprim17ROCPRIM_400000_NS6detail17trampoline_kernelINS0_13select_configILj256ELj13ELNS0_17block_load_methodE3ELS4_3ELS4_3ELNS0_20block_scan_algorithmE0ELj4294967295EEENS1_25partition_config_selectorILNS1_17partition_subalgoE3EjNS0_10empty_typeEbEEZZNS1_14partition_implILS8_3ELb0ES6_jNS0_17counting_iteratorIjlEEPS9_SE_NS0_5tupleIJPjSE_EEENSF_IJSE_SE_EEES9_SG_JZNS1_25segmented_radix_sort_implINS0_14default_configELb1EPKhPhPKlPlN2at6native12_GLOBAL__N_18offset_tEEE10hipError_tPvRmT1_PNSt15iterator_traitsISY_E10value_typeET2_T3_PNSZ_IS14_E10value_typeET4_jRbjT5_S1A_jjP12ihipStream_tbEUljE_EEESV_SW_SX_S14_S18_S1A_T6_T7_T9_mT8_S1C_bDpT10_ENKUlT_T0_E_clISt17integral_constantIbLb0EES1O_IbLb1EEEEDaS1K_S1L_EUlS1K_E_NS1_11comp_targetILNS1_3genE10ELNS1_11target_archE1200ELNS1_3gpuE4ELNS1_3repE0EEENS1_30default_config_static_selectorELNS0_4arch9wavefront6targetE0EEEvSY_, .Lfunc_end80-_ZN7rocprim17ROCPRIM_400000_NS6detail17trampoline_kernelINS0_13select_configILj256ELj13ELNS0_17block_load_methodE3ELS4_3ELS4_3ELNS0_20block_scan_algorithmE0ELj4294967295EEENS1_25partition_config_selectorILNS1_17partition_subalgoE3EjNS0_10empty_typeEbEEZZNS1_14partition_implILS8_3ELb0ES6_jNS0_17counting_iteratorIjlEEPS9_SE_NS0_5tupleIJPjSE_EEENSF_IJSE_SE_EEES9_SG_JZNS1_25segmented_radix_sort_implINS0_14default_configELb1EPKhPhPKlPlN2at6native12_GLOBAL__N_18offset_tEEE10hipError_tPvRmT1_PNSt15iterator_traitsISY_E10value_typeET2_T3_PNSZ_IS14_E10value_typeET4_jRbjT5_S1A_jjP12ihipStream_tbEUljE_EEESV_SW_SX_S14_S18_S1A_T6_T7_T9_mT8_S1C_bDpT10_ENKUlT_T0_E_clISt17integral_constantIbLb0EES1O_IbLb1EEEEDaS1K_S1L_EUlS1K_E_NS1_11comp_targetILNS1_3genE10ELNS1_11target_archE1200ELNS1_3gpuE4ELNS1_3repE0EEENS1_30default_config_static_selectorELNS0_4arch9wavefront6targetE0EEEvSY_
                                        ; -- End function
	.set _ZN7rocprim17ROCPRIM_400000_NS6detail17trampoline_kernelINS0_13select_configILj256ELj13ELNS0_17block_load_methodE3ELS4_3ELS4_3ELNS0_20block_scan_algorithmE0ELj4294967295EEENS1_25partition_config_selectorILNS1_17partition_subalgoE3EjNS0_10empty_typeEbEEZZNS1_14partition_implILS8_3ELb0ES6_jNS0_17counting_iteratorIjlEEPS9_SE_NS0_5tupleIJPjSE_EEENSF_IJSE_SE_EEES9_SG_JZNS1_25segmented_radix_sort_implINS0_14default_configELb1EPKhPhPKlPlN2at6native12_GLOBAL__N_18offset_tEEE10hipError_tPvRmT1_PNSt15iterator_traitsISY_E10value_typeET2_T3_PNSZ_IS14_E10value_typeET4_jRbjT5_S1A_jjP12ihipStream_tbEUljE_EEESV_SW_SX_S14_S18_S1A_T6_T7_T9_mT8_S1C_bDpT10_ENKUlT_T0_E_clISt17integral_constantIbLb0EES1O_IbLb1EEEEDaS1K_S1L_EUlS1K_E_NS1_11comp_targetILNS1_3genE10ELNS1_11target_archE1200ELNS1_3gpuE4ELNS1_3repE0EEENS1_30default_config_static_selectorELNS0_4arch9wavefront6targetE0EEEvSY_.num_vgpr, 71
	.set _ZN7rocprim17ROCPRIM_400000_NS6detail17trampoline_kernelINS0_13select_configILj256ELj13ELNS0_17block_load_methodE3ELS4_3ELS4_3ELNS0_20block_scan_algorithmE0ELj4294967295EEENS1_25partition_config_selectorILNS1_17partition_subalgoE3EjNS0_10empty_typeEbEEZZNS1_14partition_implILS8_3ELb0ES6_jNS0_17counting_iteratorIjlEEPS9_SE_NS0_5tupleIJPjSE_EEENSF_IJSE_SE_EEES9_SG_JZNS1_25segmented_radix_sort_implINS0_14default_configELb1EPKhPhPKlPlN2at6native12_GLOBAL__N_18offset_tEEE10hipError_tPvRmT1_PNSt15iterator_traitsISY_E10value_typeET2_T3_PNSZ_IS14_E10value_typeET4_jRbjT5_S1A_jjP12ihipStream_tbEUljE_EEESV_SW_SX_S14_S18_S1A_T6_T7_T9_mT8_S1C_bDpT10_ENKUlT_T0_E_clISt17integral_constantIbLb0EES1O_IbLb1EEEEDaS1K_S1L_EUlS1K_E_NS1_11comp_targetILNS1_3genE10ELNS1_11target_archE1200ELNS1_3gpuE4ELNS1_3repE0EEENS1_30default_config_static_selectorELNS0_4arch9wavefront6targetE0EEEvSY_.num_agpr, 0
	.set _ZN7rocprim17ROCPRIM_400000_NS6detail17trampoline_kernelINS0_13select_configILj256ELj13ELNS0_17block_load_methodE3ELS4_3ELS4_3ELNS0_20block_scan_algorithmE0ELj4294967295EEENS1_25partition_config_selectorILNS1_17partition_subalgoE3EjNS0_10empty_typeEbEEZZNS1_14partition_implILS8_3ELb0ES6_jNS0_17counting_iteratorIjlEEPS9_SE_NS0_5tupleIJPjSE_EEENSF_IJSE_SE_EEES9_SG_JZNS1_25segmented_radix_sort_implINS0_14default_configELb1EPKhPhPKlPlN2at6native12_GLOBAL__N_18offset_tEEE10hipError_tPvRmT1_PNSt15iterator_traitsISY_E10value_typeET2_T3_PNSZ_IS14_E10value_typeET4_jRbjT5_S1A_jjP12ihipStream_tbEUljE_EEESV_SW_SX_S14_S18_S1A_T6_T7_T9_mT8_S1C_bDpT10_ENKUlT_T0_E_clISt17integral_constantIbLb0EES1O_IbLb1EEEEDaS1K_S1L_EUlS1K_E_NS1_11comp_targetILNS1_3genE10ELNS1_11target_archE1200ELNS1_3gpuE4ELNS1_3repE0EEENS1_30default_config_static_selectorELNS0_4arch9wavefront6targetE0EEEvSY_.numbered_sgpr, 26
	.set _ZN7rocprim17ROCPRIM_400000_NS6detail17trampoline_kernelINS0_13select_configILj256ELj13ELNS0_17block_load_methodE3ELS4_3ELS4_3ELNS0_20block_scan_algorithmE0ELj4294967295EEENS1_25partition_config_selectorILNS1_17partition_subalgoE3EjNS0_10empty_typeEbEEZZNS1_14partition_implILS8_3ELb0ES6_jNS0_17counting_iteratorIjlEEPS9_SE_NS0_5tupleIJPjSE_EEENSF_IJSE_SE_EEES9_SG_JZNS1_25segmented_radix_sort_implINS0_14default_configELb1EPKhPhPKlPlN2at6native12_GLOBAL__N_18offset_tEEE10hipError_tPvRmT1_PNSt15iterator_traitsISY_E10value_typeET2_T3_PNSZ_IS14_E10value_typeET4_jRbjT5_S1A_jjP12ihipStream_tbEUljE_EEESV_SW_SX_S14_S18_S1A_T6_T7_T9_mT8_S1C_bDpT10_ENKUlT_T0_E_clISt17integral_constantIbLb0EES1O_IbLb1EEEEDaS1K_S1L_EUlS1K_E_NS1_11comp_targetILNS1_3genE10ELNS1_11target_archE1200ELNS1_3gpuE4ELNS1_3repE0EEENS1_30default_config_static_selectorELNS0_4arch9wavefront6targetE0EEEvSY_.num_named_barrier, 0
	.set _ZN7rocprim17ROCPRIM_400000_NS6detail17trampoline_kernelINS0_13select_configILj256ELj13ELNS0_17block_load_methodE3ELS4_3ELS4_3ELNS0_20block_scan_algorithmE0ELj4294967295EEENS1_25partition_config_selectorILNS1_17partition_subalgoE3EjNS0_10empty_typeEbEEZZNS1_14partition_implILS8_3ELb0ES6_jNS0_17counting_iteratorIjlEEPS9_SE_NS0_5tupleIJPjSE_EEENSF_IJSE_SE_EEES9_SG_JZNS1_25segmented_radix_sort_implINS0_14default_configELb1EPKhPhPKlPlN2at6native12_GLOBAL__N_18offset_tEEE10hipError_tPvRmT1_PNSt15iterator_traitsISY_E10value_typeET2_T3_PNSZ_IS14_E10value_typeET4_jRbjT5_S1A_jjP12ihipStream_tbEUljE_EEESV_SW_SX_S14_S18_S1A_T6_T7_T9_mT8_S1C_bDpT10_ENKUlT_T0_E_clISt17integral_constantIbLb0EES1O_IbLb1EEEEDaS1K_S1L_EUlS1K_E_NS1_11comp_targetILNS1_3genE10ELNS1_11target_archE1200ELNS1_3gpuE4ELNS1_3repE0EEENS1_30default_config_static_selectorELNS0_4arch9wavefront6targetE0EEEvSY_.private_seg_size, 0
	.set _ZN7rocprim17ROCPRIM_400000_NS6detail17trampoline_kernelINS0_13select_configILj256ELj13ELNS0_17block_load_methodE3ELS4_3ELS4_3ELNS0_20block_scan_algorithmE0ELj4294967295EEENS1_25partition_config_selectorILNS1_17partition_subalgoE3EjNS0_10empty_typeEbEEZZNS1_14partition_implILS8_3ELb0ES6_jNS0_17counting_iteratorIjlEEPS9_SE_NS0_5tupleIJPjSE_EEENSF_IJSE_SE_EEES9_SG_JZNS1_25segmented_radix_sort_implINS0_14default_configELb1EPKhPhPKlPlN2at6native12_GLOBAL__N_18offset_tEEE10hipError_tPvRmT1_PNSt15iterator_traitsISY_E10value_typeET2_T3_PNSZ_IS14_E10value_typeET4_jRbjT5_S1A_jjP12ihipStream_tbEUljE_EEESV_SW_SX_S14_S18_S1A_T6_T7_T9_mT8_S1C_bDpT10_ENKUlT_T0_E_clISt17integral_constantIbLb0EES1O_IbLb1EEEEDaS1K_S1L_EUlS1K_E_NS1_11comp_targetILNS1_3genE10ELNS1_11target_archE1200ELNS1_3gpuE4ELNS1_3repE0EEENS1_30default_config_static_selectorELNS0_4arch9wavefront6targetE0EEEvSY_.uses_vcc, 1
	.set _ZN7rocprim17ROCPRIM_400000_NS6detail17trampoline_kernelINS0_13select_configILj256ELj13ELNS0_17block_load_methodE3ELS4_3ELS4_3ELNS0_20block_scan_algorithmE0ELj4294967295EEENS1_25partition_config_selectorILNS1_17partition_subalgoE3EjNS0_10empty_typeEbEEZZNS1_14partition_implILS8_3ELb0ES6_jNS0_17counting_iteratorIjlEEPS9_SE_NS0_5tupleIJPjSE_EEENSF_IJSE_SE_EEES9_SG_JZNS1_25segmented_radix_sort_implINS0_14default_configELb1EPKhPhPKlPlN2at6native12_GLOBAL__N_18offset_tEEE10hipError_tPvRmT1_PNSt15iterator_traitsISY_E10value_typeET2_T3_PNSZ_IS14_E10value_typeET4_jRbjT5_S1A_jjP12ihipStream_tbEUljE_EEESV_SW_SX_S14_S18_S1A_T6_T7_T9_mT8_S1C_bDpT10_ENKUlT_T0_E_clISt17integral_constantIbLb0EES1O_IbLb1EEEEDaS1K_S1L_EUlS1K_E_NS1_11comp_targetILNS1_3genE10ELNS1_11target_archE1200ELNS1_3gpuE4ELNS1_3repE0EEENS1_30default_config_static_selectorELNS0_4arch9wavefront6targetE0EEEvSY_.uses_flat_scratch, 0
	.set _ZN7rocprim17ROCPRIM_400000_NS6detail17trampoline_kernelINS0_13select_configILj256ELj13ELNS0_17block_load_methodE3ELS4_3ELS4_3ELNS0_20block_scan_algorithmE0ELj4294967295EEENS1_25partition_config_selectorILNS1_17partition_subalgoE3EjNS0_10empty_typeEbEEZZNS1_14partition_implILS8_3ELb0ES6_jNS0_17counting_iteratorIjlEEPS9_SE_NS0_5tupleIJPjSE_EEENSF_IJSE_SE_EEES9_SG_JZNS1_25segmented_radix_sort_implINS0_14default_configELb1EPKhPhPKlPlN2at6native12_GLOBAL__N_18offset_tEEE10hipError_tPvRmT1_PNSt15iterator_traitsISY_E10value_typeET2_T3_PNSZ_IS14_E10value_typeET4_jRbjT5_S1A_jjP12ihipStream_tbEUljE_EEESV_SW_SX_S14_S18_S1A_T6_T7_T9_mT8_S1C_bDpT10_ENKUlT_T0_E_clISt17integral_constantIbLb0EES1O_IbLb1EEEEDaS1K_S1L_EUlS1K_E_NS1_11comp_targetILNS1_3genE10ELNS1_11target_archE1200ELNS1_3gpuE4ELNS1_3repE0EEENS1_30default_config_static_selectorELNS0_4arch9wavefront6targetE0EEEvSY_.has_dyn_sized_stack, 0
	.set _ZN7rocprim17ROCPRIM_400000_NS6detail17trampoline_kernelINS0_13select_configILj256ELj13ELNS0_17block_load_methodE3ELS4_3ELS4_3ELNS0_20block_scan_algorithmE0ELj4294967295EEENS1_25partition_config_selectorILNS1_17partition_subalgoE3EjNS0_10empty_typeEbEEZZNS1_14partition_implILS8_3ELb0ES6_jNS0_17counting_iteratorIjlEEPS9_SE_NS0_5tupleIJPjSE_EEENSF_IJSE_SE_EEES9_SG_JZNS1_25segmented_radix_sort_implINS0_14default_configELb1EPKhPhPKlPlN2at6native12_GLOBAL__N_18offset_tEEE10hipError_tPvRmT1_PNSt15iterator_traitsISY_E10value_typeET2_T3_PNSZ_IS14_E10value_typeET4_jRbjT5_S1A_jjP12ihipStream_tbEUljE_EEESV_SW_SX_S14_S18_S1A_T6_T7_T9_mT8_S1C_bDpT10_ENKUlT_T0_E_clISt17integral_constantIbLb0EES1O_IbLb1EEEEDaS1K_S1L_EUlS1K_E_NS1_11comp_targetILNS1_3genE10ELNS1_11target_archE1200ELNS1_3gpuE4ELNS1_3repE0EEENS1_30default_config_static_selectorELNS0_4arch9wavefront6targetE0EEEvSY_.has_recursion, 0
	.set _ZN7rocprim17ROCPRIM_400000_NS6detail17trampoline_kernelINS0_13select_configILj256ELj13ELNS0_17block_load_methodE3ELS4_3ELS4_3ELNS0_20block_scan_algorithmE0ELj4294967295EEENS1_25partition_config_selectorILNS1_17partition_subalgoE3EjNS0_10empty_typeEbEEZZNS1_14partition_implILS8_3ELb0ES6_jNS0_17counting_iteratorIjlEEPS9_SE_NS0_5tupleIJPjSE_EEENSF_IJSE_SE_EEES9_SG_JZNS1_25segmented_radix_sort_implINS0_14default_configELb1EPKhPhPKlPlN2at6native12_GLOBAL__N_18offset_tEEE10hipError_tPvRmT1_PNSt15iterator_traitsISY_E10value_typeET2_T3_PNSZ_IS14_E10value_typeET4_jRbjT5_S1A_jjP12ihipStream_tbEUljE_EEESV_SW_SX_S14_S18_S1A_T6_T7_T9_mT8_S1C_bDpT10_ENKUlT_T0_E_clISt17integral_constantIbLb0EES1O_IbLb1EEEEDaS1K_S1L_EUlS1K_E_NS1_11comp_targetILNS1_3genE10ELNS1_11target_archE1200ELNS1_3gpuE4ELNS1_3repE0EEENS1_30default_config_static_selectorELNS0_4arch9wavefront6targetE0EEEvSY_.has_indirect_call, 0
	.section	.AMDGPU.csdata,"",@progbits
; Kernel info:
; codeLenInByte = 10900
; TotalNumSgprs: 28
; NumVgprs: 71
; ScratchSize: 0
; MemoryBound: 0
; FloatMode: 240
; IeeeMode: 1
; LDSByteSize: 13320 bytes/workgroup (compile time only)
; SGPRBlocks: 0
; VGPRBlocks: 8
; NumSGPRsForWavesPerEU: 28
; NumVGPRsForWavesPerEU: 71
; Occupancy: 16
; WaveLimiterHint : 0
; COMPUTE_PGM_RSRC2:SCRATCH_EN: 0
; COMPUTE_PGM_RSRC2:USER_SGPR: 2
; COMPUTE_PGM_RSRC2:TRAP_HANDLER: 0
; COMPUTE_PGM_RSRC2:TGID_X_EN: 1
; COMPUTE_PGM_RSRC2:TGID_Y_EN: 0
; COMPUTE_PGM_RSRC2:TGID_Z_EN: 0
; COMPUTE_PGM_RSRC2:TIDIG_COMP_CNT: 0
	.section	.text._ZN7rocprim17ROCPRIM_400000_NS6detail17trampoline_kernelINS0_13select_configILj256ELj13ELNS0_17block_load_methodE3ELS4_3ELS4_3ELNS0_20block_scan_algorithmE0ELj4294967295EEENS1_25partition_config_selectorILNS1_17partition_subalgoE3EjNS0_10empty_typeEbEEZZNS1_14partition_implILS8_3ELb0ES6_jNS0_17counting_iteratorIjlEEPS9_SE_NS0_5tupleIJPjSE_EEENSF_IJSE_SE_EEES9_SG_JZNS1_25segmented_radix_sort_implINS0_14default_configELb1EPKhPhPKlPlN2at6native12_GLOBAL__N_18offset_tEEE10hipError_tPvRmT1_PNSt15iterator_traitsISY_E10value_typeET2_T3_PNSZ_IS14_E10value_typeET4_jRbjT5_S1A_jjP12ihipStream_tbEUljE_EEESV_SW_SX_S14_S18_S1A_T6_T7_T9_mT8_S1C_bDpT10_ENKUlT_T0_E_clISt17integral_constantIbLb0EES1O_IbLb1EEEEDaS1K_S1L_EUlS1K_E_NS1_11comp_targetILNS1_3genE9ELNS1_11target_archE1100ELNS1_3gpuE3ELNS1_3repE0EEENS1_30default_config_static_selectorELNS0_4arch9wavefront6targetE0EEEvSY_,"axG",@progbits,_ZN7rocprim17ROCPRIM_400000_NS6detail17trampoline_kernelINS0_13select_configILj256ELj13ELNS0_17block_load_methodE3ELS4_3ELS4_3ELNS0_20block_scan_algorithmE0ELj4294967295EEENS1_25partition_config_selectorILNS1_17partition_subalgoE3EjNS0_10empty_typeEbEEZZNS1_14partition_implILS8_3ELb0ES6_jNS0_17counting_iteratorIjlEEPS9_SE_NS0_5tupleIJPjSE_EEENSF_IJSE_SE_EEES9_SG_JZNS1_25segmented_radix_sort_implINS0_14default_configELb1EPKhPhPKlPlN2at6native12_GLOBAL__N_18offset_tEEE10hipError_tPvRmT1_PNSt15iterator_traitsISY_E10value_typeET2_T3_PNSZ_IS14_E10value_typeET4_jRbjT5_S1A_jjP12ihipStream_tbEUljE_EEESV_SW_SX_S14_S18_S1A_T6_T7_T9_mT8_S1C_bDpT10_ENKUlT_T0_E_clISt17integral_constantIbLb0EES1O_IbLb1EEEEDaS1K_S1L_EUlS1K_E_NS1_11comp_targetILNS1_3genE9ELNS1_11target_archE1100ELNS1_3gpuE3ELNS1_3repE0EEENS1_30default_config_static_selectorELNS0_4arch9wavefront6targetE0EEEvSY_,comdat
	.globl	_ZN7rocprim17ROCPRIM_400000_NS6detail17trampoline_kernelINS0_13select_configILj256ELj13ELNS0_17block_load_methodE3ELS4_3ELS4_3ELNS0_20block_scan_algorithmE0ELj4294967295EEENS1_25partition_config_selectorILNS1_17partition_subalgoE3EjNS0_10empty_typeEbEEZZNS1_14partition_implILS8_3ELb0ES6_jNS0_17counting_iteratorIjlEEPS9_SE_NS0_5tupleIJPjSE_EEENSF_IJSE_SE_EEES9_SG_JZNS1_25segmented_radix_sort_implINS0_14default_configELb1EPKhPhPKlPlN2at6native12_GLOBAL__N_18offset_tEEE10hipError_tPvRmT1_PNSt15iterator_traitsISY_E10value_typeET2_T3_PNSZ_IS14_E10value_typeET4_jRbjT5_S1A_jjP12ihipStream_tbEUljE_EEESV_SW_SX_S14_S18_S1A_T6_T7_T9_mT8_S1C_bDpT10_ENKUlT_T0_E_clISt17integral_constantIbLb0EES1O_IbLb1EEEEDaS1K_S1L_EUlS1K_E_NS1_11comp_targetILNS1_3genE9ELNS1_11target_archE1100ELNS1_3gpuE3ELNS1_3repE0EEENS1_30default_config_static_selectorELNS0_4arch9wavefront6targetE0EEEvSY_ ; -- Begin function _ZN7rocprim17ROCPRIM_400000_NS6detail17trampoline_kernelINS0_13select_configILj256ELj13ELNS0_17block_load_methodE3ELS4_3ELS4_3ELNS0_20block_scan_algorithmE0ELj4294967295EEENS1_25partition_config_selectorILNS1_17partition_subalgoE3EjNS0_10empty_typeEbEEZZNS1_14partition_implILS8_3ELb0ES6_jNS0_17counting_iteratorIjlEEPS9_SE_NS0_5tupleIJPjSE_EEENSF_IJSE_SE_EEES9_SG_JZNS1_25segmented_radix_sort_implINS0_14default_configELb1EPKhPhPKlPlN2at6native12_GLOBAL__N_18offset_tEEE10hipError_tPvRmT1_PNSt15iterator_traitsISY_E10value_typeET2_T3_PNSZ_IS14_E10value_typeET4_jRbjT5_S1A_jjP12ihipStream_tbEUljE_EEESV_SW_SX_S14_S18_S1A_T6_T7_T9_mT8_S1C_bDpT10_ENKUlT_T0_E_clISt17integral_constantIbLb0EES1O_IbLb1EEEEDaS1K_S1L_EUlS1K_E_NS1_11comp_targetILNS1_3genE9ELNS1_11target_archE1100ELNS1_3gpuE3ELNS1_3repE0EEENS1_30default_config_static_selectorELNS0_4arch9wavefront6targetE0EEEvSY_
	.p2align	8
	.type	_ZN7rocprim17ROCPRIM_400000_NS6detail17trampoline_kernelINS0_13select_configILj256ELj13ELNS0_17block_load_methodE3ELS4_3ELS4_3ELNS0_20block_scan_algorithmE0ELj4294967295EEENS1_25partition_config_selectorILNS1_17partition_subalgoE3EjNS0_10empty_typeEbEEZZNS1_14partition_implILS8_3ELb0ES6_jNS0_17counting_iteratorIjlEEPS9_SE_NS0_5tupleIJPjSE_EEENSF_IJSE_SE_EEES9_SG_JZNS1_25segmented_radix_sort_implINS0_14default_configELb1EPKhPhPKlPlN2at6native12_GLOBAL__N_18offset_tEEE10hipError_tPvRmT1_PNSt15iterator_traitsISY_E10value_typeET2_T3_PNSZ_IS14_E10value_typeET4_jRbjT5_S1A_jjP12ihipStream_tbEUljE_EEESV_SW_SX_S14_S18_S1A_T6_T7_T9_mT8_S1C_bDpT10_ENKUlT_T0_E_clISt17integral_constantIbLb0EES1O_IbLb1EEEEDaS1K_S1L_EUlS1K_E_NS1_11comp_targetILNS1_3genE9ELNS1_11target_archE1100ELNS1_3gpuE3ELNS1_3repE0EEENS1_30default_config_static_selectorELNS0_4arch9wavefront6targetE0EEEvSY_,@function
_ZN7rocprim17ROCPRIM_400000_NS6detail17trampoline_kernelINS0_13select_configILj256ELj13ELNS0_17block_load_methodE3ELS4_3ELS4_3ELNS0_20block_scan_algorithmE0ELj4294967295EEENS1_25partition_config_selectorILNS1_17partition_subalgoE3EjNS0_10empty_typeEbEEZZNS1_14partition_implILS8_3ELb0ES6_jNS0_17counting_iteratorIjlEEPS9_SE_NS0_5tupleIJPjSE_EEENSF_IJSE_SE_EEES9_SG_JZNS1_25segmented_radix_sort_implINS0_14default_configELb1EPKhPhPKlPlN2at6native12_GLOBAL__N_18offset_tEEE10hipError_tPvRmT1_PNSt15iterator_traitsISY_E10value_typeET2_T3_PNSZ_IS14_E10value_typeET4_jRbjT5_S1A_jjP12ihipStream_tbEUljE_EEESV_SW_SX_S14_S18_S1A_T6_T7_T9_mT8_S1C_bDpT10_ENKUlT_T0_E_clISt17integral_constantIbLb0EES1O_IbLb1EEEEDaS1K_S1L_EUlS1K_E_NS1_11comp_targetILNS1_3genE9ELNS1_11target_archE1100ELNS1_3gpuE3ELNS1_3repE0EEENS1_30default_config_static_selectorELNS0_4arch9wavefront6targetE0EEEvSY_: ; @_ZN7rocprim17ROCPRIM_400000_NS6detail17trampoline_kernelINS0_13select_configILj256ELj13ELNS0_17block_load_methodE3ELS4_3ELS4_3ELNS0_20block_scan_algorithmE0ELj4294967295EEENS1_25partition_config_selectorILNS1_17partition_subalgoE3EjNS0_10empty_typeEbEEZZNS1_14partition_implILS8_3ELb0ES6_jNS0_17counting_iteratorIjlEEPS9_SE_NS0_5tupleIJPjSE_EEENSF_IJSE_SE_EEES9_SG_JZNS1_25segmented_radix_sort_implINS0_14default_configELb1EPKhPhPKlPlN2at6native12_GLOBAL__N_18offset_tEEE10hipError_tPvRmT1_PNSt15iterator_traitsISY_E10value_typeET2_T3_PNSZ_IS14_E10value_typeET4_jRbjT5_S1A_jjP12ihipStream_tbEUljE_EEESV_SW_SX_S14_S18_S1A_T6_T7_T9_mT8_S1C_bDpT10_ENKUlT_T0_E_clISt17integral_constantIbLb0EES1O_IbLb1EEEEDaS1K_S1L_EUlS1K_E_NS1_11comp_targetILNS1_3genE9ELNS1_11target_archE1100ELNS1_3gpuE3ELNS1_3repE0EEENS1_30default_config_static_selectorELNS0_4arch9wavefront6targetE0EEEvSY_
; %bb.0:
	.section	.rodata,"a",@progbits
	.p2align	6, 0x0
	.amdhsa_kernel _ZN7rocprim17ROCPRIM_400000_NS6detail17trampoline_kernelINS0_13select_configILj256ELj13ELNS0_17block_load_methodE3ELS4_3ELS4_3ELNS0_20block_scan_algorithmE0ELj4294967295EEENS1_25partition_config_selectorILNS1_17partition_subalgoE3EjNS0_10empty_typeEbEEZZNS1_14partition_implILS8_3ELb0ES6_jNS0_17counting_iteratorIjlEEPS9_SE_NS0_5tupleIJPjSE_EEENSF_IJSE_SE_EEES9_SG_JZNS1_25segmented_radix_sort_implINS0_14default_configELb1EPKhPhPKlPlN2at6native12_GLOBAL__N_18offset_tEEE10hipError_tPvRmT1_PNSt15iterator_traitsISY_E10value_typeET2_T3_PNSZ_IS14_E10value_typeET4_jRbjT5_S1A_jjP12ihipStream_tbEUljE_EEESV_SW_SX_S14_S18_S1A_T6_T7_T9_mT8_S1C_bDpT10_ENKUlT_T0_E_clISt17integral_constantIbLb0EES1O_IbLb1EEEEDaS1K_S1L_EUlS1K_E_NS1_11comp_targetILNS1_3genE9ELNS1_11target_archE1100ELNS1_3gpuE3ELNS1_3repE0EEENS1_30default_config_static_selectorELNS0_4arch9wavefront6targetE0EEEvSY_
		.amdhsa_group_segment_fixed_size 0
		.amdhsa_private_segment_fixed_size 0
		.amdhsa_kernarg_size 152
		.amdhsa_user_sgpr_count 2
		.amdhsa_user_sgpr_dispatch_ptr 0
		.amdhsa_user_sgpr_queue_ptr 0
		.amdhsa_user_sgpr_kernarg_segment_ptr 1
		.amdhsa_user_sgpr_dispatch_id 0
		.amdhsa_user_sgpr_private_segment_size 0
		.amdhsa_wavefront_size32 1
		.amdhsa_uses_dynamic_stack 0
		.amdhsa_enable_private_segment 0
		.amdhsa_system_sgpr_workgroup_id_x 1
		.amdhsa_system_sgpr_workgroup_id_y 0
		.amdhsa_system_sgpr_workgroup_id_z 0
		.amdhsa_system_sgpr_workgroup_info 0
		.amdhsa_system_vgpr_workitem_id 0
		.amdhsa_next_free_vgpr 1
		.amdhsa_next_free_sgpr 1
		.amdhsa_reserve_vcc 0
		.amdhsa_float_round_mode_32 0
		.amdhsa_float_round_mode_16_64 0
		.amdhsa_float_denorm_mode_32 3
		.amdhsa_float_denorm_mode_16_64 3
		.amdhsa_fp16_overflow 0
		.amdhsa_workgroup_processor_mode 1
		.amdhsa_memory_ordered 1
		.amdhsa_forward_progress 1
		.amdhsa_inst_pref_size 0
		.amdhsa_round_robin_scheduling 0
		.amdhsa_exception_fp_ieee_invalid_op 0
		.amdhsa_exception_fp_denorm_src 0
		.amdhsa_exception_fp_ieee_div_zero 0
		.amdhsa_exception_fp_ieee_overflow 0
		.amdhsa_exception_fp_ieee_underflow 0
		.amdhsa_exception_fp_ieee_inexact 0
		.amdhsa_exception_int_div_zero 0
	.end_amdhsa_kernel
	.section	.text._ZN7rocprim17ROCPRIM_400000_NS6detail17trampoline_kernelINS0_13select_configILj256ELj13ELNS0_17block_load_methodE3ELS4_3ELS4_3ELNS0_20block_scan_algorithmE0ELj4294967295EEENS1_25partition_config_selectorILNS1_17partition_subalgoE3EjNS0_10empty_typeEbEEZZNS1_14partition_implILS8_3ELb0ES6_jNS0_17counting_iteratorIjlEEPS9_SE_NS0_5tupleIJPjSE_EEENSF_IJSE_SE_EEES9_SG_JZNS1_25segmented_radix_sort_implINS0_14default_configELb1EPKhPhPKlPlN2at6native12_GLOBAL__N_18offset_tEEE10hipError_tPvRmT1_PNSt15iterator_traitsISY_E10value_typeET2_T3_PNSZ_IS14_E10value_typeET4_jRbjT5_S1A_jjP12ihipStream_tbEUljE_EEESV_SW_SX_S14_S18_S1A_T6_T7_T9_mT8_S1C_bDpT10_ENKUlT_T0_E_clISt17integral_constantIbLb0EES1O_IbLb1EEEEDaS1K_S1L_EUlS1K_E_NS1_11comp_targetILNS1_3genE9ELNS1_11target_archE1100ELNS1_3gpuE3ELNS1_3repE0EEENS1_30default_config_static_selectorELNS0_4arch9wavefront6targetE0EEEvSY_,"axG",@progbits,_ZN7rocprim17ROCPRIM_400000_NS6detail17trampoline_kernelINS0_13select_configILj256ELj13ELNS0_17block_load_methodE3ELS4_3ELS4_3ELNS0_20block_scan_algorithmE0ELj4294967295EEENS1_25partition_config_selectorILNS1_17partition_subalgoE3EjNS0_10empty_typeEbEEZZNS1_14partition_implILS8_3ELb0ES6_jNS0_17counting_iteratorIjlEEPS9_SE_NS0_5tupleIJPjSE_EEENSF_IJSE_SE_EEES9_SG_JZNS1_25segmented_radix_sort_implINS0_14default_configELb1EPKhPhPKlPlN2at6native12_GLOBAL__N_18offset_tEEE10hipError_tPvRmT1_PNSt15iterator_traitsISY_E10value_typeET2_T3_PNSZ_IS14_E10value_typeET4_jRbjT5_S1A_jjP12ihipStream_tbEUljE_EEESV_SW_SX_S14_S18_S1A_T6_T7_T9_mT8_S1C_bDpT10_ENKUlT_T0_E_clISt17integral_constantIbLb0EES1O_IbLb1EEEEDaS1K_S1L_EUlS1K_E_NS1_11comp_targetILNS1_3genE9ELNS1_11target_archE1100ELNS1_3gpuE3ELNS1_3repE0EEENS1_30default_config_static_selectorELNS0_4arch9wavefront6targetE0EEEvSY_,comdat
.Lfunc_end81:
	.size	_ZN7rocprim17ROCPRIM_400000_NS6detail17trampoline_kernelINS0_13select_configILj256ELj13ELNS0_17block_load_methodE3ELS4_3ELS4_3ELNS0_20block_scan_algorithmE0ELj4294967295EEENS1_25partition_config_selectorILNS1_17partition_subalgoE3EjNS0_10empty_typeEbEEZZNS1_14partition_implILS8_3ELb0ES6_jNS0_17counting_iteratorIjlEEPS9_SE_NS0_5tupleIJPjSE_EEENSF_IJSE_SE_EEES9_SG_JZNS1_25segmented_radix_sort_implINS0_14default_configELb1EPKhPhPKlPlN2at6native12_GLOBAL__N_18offset_tEEE10hipError_tPvRmT1_PNSt15iterator_traitsISY_E10value_typeET2_T3_PNSZ_IS14_E10value_typeET4_jRbjT5_S1A_jjP12ihipStream_tbEUljE_EEESV_SW_SX_S14_S18_S1A_T6_T7_T9_mT8_S1C_bDpT10_ENKUlT_T0_E_clISt17integral_constantIbLb0EES1O_IbLb1EEEEDaS1K_S1L_EUlS1K_E_NS1_11comp_targetILNS1_3genE9ELNS1_11target_archE1100ELNS1_3gpuE3ELNS1_3repE0EEENS1_30default_config_static_selectorELNS0_4arch9wavefront6targetE0EEEvSY_, .Lfunc_end81-_ZN7rocprim17ROCPRIM_400000_NS6detail17trampoline_kernelINS0_13select_configILj256ELj13ELNS0_17block_load_methodE3ELS4_3ELS4_3ELNS0_20block_scan_algorithmE0ELj4294967295EEENS1_25partition_config_selectorILNS1_17partition_subalgoE3EjNS0_10empty_typeEbEEZZNS1_14partition_implILS8_3ELb0ES6_jNS0_17counting_iteratorIjlEEPS9_SE_NS0_5tupleIJPjSE_EEENSF_IJSE_SE_EEES9_SG_JZNS1_25segmented_radix_sort_implINS0_14default_configELb1EPKhPhPKlPlN2at6native12_GLOBAL__N_18offset_tEEE10hipError_tPvRmT1_PNSt15iterator_traitsISY_E10value_typeET2_T3_PNSZ_IS14_E10value_typeET4_jRbjT5_S1A_jjP12ihipStream_tbEUljE_EEESV_SW_SX_S14_S18_S1A_T6_T7_T9_mT8_S1C_bDpT10_ENKUlT_T0_E_clISt17integral_constantIbLb0EES1O_IbLb1EEEEDaS1K_S1L_EUlS1K_E_NS1_11comp_targetILNS1_3genE9ELNS1_11target_archE1100ELNS1_3gpuE3ELNS1_3repE0EEENS1_30default_config_static_selectorELNS0_4arch9wavefront6targetE0EEEvSY_
                                        ; -- End function
	.set _ZN7rocprim17ROCPRIM_400000_NS6detail17trampoline_kernelINS0_13select_configILj256ELj13ELNS0_17block_load_methodE3ELS4_3ELS4_3ELNS0_20block_scan_algorithmE0ELj4294967295EEENS1_25partition_config_selectorILNS1_17partition_subalgoE3EjNS0_10empty_typeEbEEZZNS1_14partition_implILS8_3ELb0ES6_jNS0_17counting_iteratorIjlEEPS9_SE_NS0_5tupleIJPjSE_EEENSF_IJSE_SE_EEES9_SG_JZNS1_25segmented_radix_sort_implINS0_14default_configELb1EPKhPhPKlPlN2at6native12_GLOBAL__N_18offset_tEEE10hipError_tPvRmT1_PNSt15iterator_traitsISY_E10value_typeET2_T3_PNSZ_IS14_E10value_typeET4_jRbjT5_S1A_jjP12ihipStream_tbEUljE_EEESV_SW_SX_S14_S18_S1A_T6_T7_T9_mT8_S1C_bDpT10_ENKUlT_T0_E_clISt17integral_constantIbLb0EES1O_IbLb1EEEEDaS1K_S1L_EUlS1K_E_NS1_11comp_targetILNS1_3genE9ELNS1_11target_archE1100ELNS1_3gpuE3ELNS1_3repE0EEENS1_30default_config_static_selectorELNS0_4arch9wavefront6targetE0EEEvSY_.num_vgpr, 0
	.set _ZN7rocprim17ROCPRIM_400000_NS6detail17trampoline_kernelINS0_13select_configILj256ELj13ELNS0_17block_load_methodE3ELS4_3ELS4_3ELNS0_20block_scan_algorithmE0ELj4294967295EEENS1_25partition_config_selectorILNS1_17partition_subalgoE3EjNS0_10empty_typeEbEEZZNS1_14partition_implILS8_3ELb0ES6_jNS0_17counting_iteratorIjlEEPS9_SE_NS0_5tupleIJPjSE_EEENSF_IJSE_SE_EEES9_SG_JZNS1_25segmented_radix_sort_implINS0_14default_configELb1EPKhPhPKlPlN2at6native12_GLOBAL__N_18offset_tEEE10hipError_tPvRmT1_PNSt15iterator_traitsISY_E10value_typeET2_T3_PNSZ_IS14_E10value_typeET4_jRbjT5_S1A_jjP12ihipStream_tbEUljE_EEESV_SW_SX_S14_S18_S1A_T6_T7_T9_mT8_S1C_bDpT10_ENKUlT_T0_E_clISt17integral_constantIbLb0EES1O_IbLb1EEEEDaS1K_S1L_EUlS1K_E_NS1_11comp_targetILNS1_3genE9ELNS1_11target_archE1100ELNS1_3gpuE3ELNS1_3repE0EEENS1_30default_config_static_selectorELNS0_4arch9wavefront6targetE0EEEvSY_.num_agpr, 0
	.set _ZN7rocprim17ROCPRIM_400000_NS6detail17trampoline_kernelINS0_13select_configILj256ELj13ELNS0_17block_load_methodE3ELS4_3ELS4_3ELNS0_20block_scan_algorithmE0ELj4294967295EEENS1_25partition_config_selectorILNS1_17partition_subalgoE3EjNS0_10empty_typeEbEEZZNS1_14partition_implILS8_3ELb0ES6_jNS0_17counting_iteratorIjlEEPS9_SE_NS0_5tupleIJPjSE_EEENSF_IJSE_SE_EEES9_SG_JZNS1_25segmented_radix_sort_implINS0_14default_configELb1EPKhPhPKlPlN2at6native12_GLOBAL__N_18offset_tEEE10hipError_tPvRmT1_PNSt15iterator_traitsISY_E10value_typeET2_T3_PNSZ_IS14_E10value_typeET4_jRbjT5_S1A_jjP12ihipStream_tbEUljE_EEESV_SW_SX_S14_S18_S1A_T6_T7_T9_mT8_S1C_bDpT10_ENKUlT_T0_E_clISt17integral_constantIbLb0EES1O_IbLb1EEEEDaS1K_S1L_EUlS1K_E_NS1_11comp_targetILNS1_3genE9ELNS1_11target_archE1100ELNS1_3gpuE3ELNS1_3repE0EEENS1_30default_config_static_selectorELNS0_4arch9wavefront6targetE0EEEvSY_.numbered_sgpr, 0
	.set _ZN7rocprim17ROCPRIM_400000_NS6detail17trampoline_kernelINS0_13select_configILj256ELj13ELNS0_17block_load_methodE3ELS4_3ELS4_3ELNS0_20block_scan_algorithmE0ELj4294967295EEENS1_25partition_config_selectorILNS1_17partition_subalgoE3EjNS0_10empty_typeEbEEZZNS1_14partition_implILS8_3ELb0ES6_jNS0_17counting_iteratorIjlEEPS9_SE_NS0_5tupleIJPjSE_EEENSF_IJSE_SE_EEES9_SG_JZNS1_25segmented_radix_sort_implINS0_14default_configELb1EPKhPhPKlPlN2at6native12_GLOBAL__N_18offset_tEEE10hipError_tPvRmT1_PNSt15iterator_traitsISY_E10value_typeET2_T3_PNSZ_IS14_E10value_typeET4_jRbjT5_S1A_jjP12ihipStream_tbEUljE_EEESV_SW_SX_S14_S18_S1A_T6_T7_T9_mT8_S1C_bDpT10_ENKUlT_T0_E_clISt17integral_constantIbLb0EES1O_IbLb1EEEEDaS1K_S1L_EUlS1K_E_NS1_11comp_targetILNS1_3genE9ELNS1_11target_archE1100ELNS1_3gpuE3ELNS1_3repE0EEENS1_30default_config_static_selectorELNS0_4arch9wavefront6targetE0EEEvSY_.num_named_barrier, 0
	.set _ZN7rocprim17ROCPRIM_400000_NS6detail17trampoline_kernelINS0_13select_configILj256ELj13ELNS0_17block_load_methodE3ELS4_3ELS4_3ELNS0_20block_scan_algorithmE0ELj4294967295EEENS1_25partition_config_selectorILNS1_17partition_subalgoE3EjNS0_10empty_typeEbEEZZNS1_14partition_implILS8_3ELb0ES6_jNS0_17counting_iteratorIjlEEPS9_SE_NS0_5tupleIJPjSE_EEENSF_IJSE_SE_EEES9_SG_JZNS1_25segmented_radix_sort_implINS0_14default_configELb1EPKhPhPKlPlN2at6native12_GLOBAL__N_18offset_tEEE10hipError_tPvRmT1_PNSt15iterator_traitsISY_E10value_typeET2_T3_PNSZ_IS14_E10value_typeET4_jRbjT5_S1A_jjP12ihipStream_tbEUljE_EEESV_SW_SX_S14_S18_S1A_T6_T7_T9_mT8_S1C_bDpT10_ENKUlT_T0_E_clISt17integral_constantIbLb0EES1O_IbLb1EEEEDaS1K_S1L_EUlS1K_E_NS1_11comp_targetILNS1_3genE9ELNS1_11target_archE1100ELNS1_3gpuE3ELNS1_3repE0EEENS1_30default_config_static_selectorELNS0_4arch9wavefront6targetE0EEEvSY_.private_seg_size, 0
	.set _ZN7rocprim17ROCPRIM_400000_NS6detail17trampoline_kernelINS0_13select_configILj256ELj13ELNS0_17block_load_methodE3ELS4_3ELS4_3ELNS0_20block_scan_algorithmE0ELj4294967295EEENS1_25partition_config_selectorILNS1_17partition_subalgoE3EjNS0_10empty_typeEbEEZZNS1_14partition_implILS8_3ELb0ES6_jNS0_17counting_iteratorIjlEEPS9_SE_NS0_5tupleIJPjSE_EEENSF_IJSE_SE_EEES9_SG_JZNS1_25segmented_radix_sort_implINS0_14default_configELb1EPKhPhPKlPlN2at6native12_GLOBAL__N_18offset_tEEE10hipError_tPvRmT1_PNSt15iterator_traitsISY_E10value_typeET2_T3_PNSZ_IS14_E10value_typeET4_jRbjT5_S1A_jjP12ihipStream_tbEUljE_EEESV_SW_SX_S14_S18_S1A_T6_T7_T9_mT8_S1C_bDpT10_ENKUlT_T0_E_clISt17integral_constantIbLb0EES1O_IbLb1EEEEDaS1K_S1L_EUlS1K_E_NS1_11comp_targetILNS1_3genE9ELNS1_11target_archE1100ELNS1_3gpuE3ELNS1_3repE0EEENS1_30default_config_static_selectorELNS0_4arch9wavefront6targetE0EEEvSY_.uses_vcc, 0
	.set _ZN7rocprim17ROCPRIM_400000_NS6detail17trampoline_kernelINS0_13select_configILj256ELj13ELNS0_17block_load_methodE3ELS4_3ELS4_3ELNS0_20block_scan_algorithmE0ELj4294967295EEENS1_25partition_config_selectorILNS1_17partition_subalgoE3EjNS0_10empty_typeEbEEZZNS1_14partition_implILS8_3ELb0ES6_jNS0_17counting_iteratorIjlEEPS9_SE_NS0_5tupleIJPjSE_EEENSF_IJSE_SE_EEES9_SG_JZNS1_25segmented_radix_sort_implINS0_14default_configELb1EPKhPhPKlPlN2at6native12_GLOBAL__N_18offset_tEEE10hipError_tPvRmT1_PNSt15iterator_traitsISY_E10value_typeET2_T3_PNSZ_IS14_E10value_typeET4_jRbjT5_S1A_jjP12ihipStream_tbEUljE_EEESV_SW_SX_S14_S18_S1A_T6_T7_T9_mT8_S1C_bDpT10_ENKUlT_T0_E_clISt17integral_constantIbLb0EES1O_IbLb1EEEEDaS1K_S1L_EUlS1K_E_NS1_11comp_targetILNS1_3genE9ELNS1_11target_archE1100ELNS1_3gpuE3ELNS1_3repE0EEENS1_30default_config_static_selectorELNS0_4arch9wavefront6targetE0EEEvSY_.uses_flat_scratch, 0
	.set _ZN7rocprim17ROCPRIM_400000_NS6detail17trampoline_kernelINS0_13select_configILj256ELj13ELNS0_17block_load_methodE3ELS4_3ELS4_3ELNS0_20block_scan_algorithmE0ELj4294967295EEENS1_25partition_config_selectorILNS1_17partition_subalgoE3EjNS0_10empty_typeEbEEZZNS1_14partition_implILS8_3ELb0ES6_jNS0_17counting_iteratorIjlEEPS9_SE_NS0_5tupleIJPjSE_EEENSF_IJSE_SE_EEES9_SG_JZNS1_25segmented_radix_sort_implINS0_14default_configELb1EPKhPhPKlPlN2at6native12_GLOBAL__N_18offset_tEEE10hipError_tPvRmT1_PNSt15iterator_traitsISY_E10value_typeET2_T3_PNSZ_IS14_E10value_typeET4_jRbjT5_S1A_jjP12ihipStream_tbEUljE_EEESV_SW_SX_S14_S18_S1A_T6_T7_T9_mT8_S1C_bDpT10_ENKUlT_T0_E_clISt17integral_constantIbLb0EES1O_IbLb1EEEEDaS1K_S1L_EUlS1K_E_NS1_11comp_targetILNS1_3genE9ELNS1_11target_archE1100ELNS1_3gpuE3ELNS1_3repE0EEENS1_30default_config_static_selectorELNS0_4arch9wavefront6targetE0EEEvSY_.has_dyn_sized_stack, 0
	.set _ZN7rocprim17ROCPRIM_400000_NS6detail17trampoline_kernelINS0_13select_configILj256ELj13ELNS0_17block_load_methodE3ELS4_3ELS4_3ELNS0_20block_scan_algorithmE0ELj4294967295EEENS1_25partition_config_selectorILNS1_17partition_subalgoE3EjNS0_10empty_typeEbEEZZNS1_14partition_implILS8_3ELb0ES6_jNS0_17counting_iteratorIjlEEPS9_SE_NS0_5tupleIJPjSE_EEENSF_IJSE_SE_EEES9_SG_JZNS1_25segmented_radix_sort_implINS0_14default_configELb1EPKhPhPKlPlN2at6native12_GLOBAL__N_18offset_tEEE10hipError_tPvRmT1_PNSt15iterator_traitsISY_E10value_typeET2_T3_PNSZ_IS14_E10value_typeET4_jRbjT5_S1A_jjP12ihipStream_tbEUljE_EEESV_SW_SX_S14_S18_S1A_T6_T7_T9_mT8_S1C_bDpT10_ENKUlT_T0_E_clISt17integral_constantIbLb0EES1O_IbLb1EEEEDaS1K_S1L_EUlS1K_E_NS1_11comp_targetILNS1_3genE9ELNS1_11target_archE1100ELNS1_3gpuE3ELNS1_3repE0EEENS1_30default_config_static_selectorELNS0_4arch9wavefront6targetE0EEEvSY_.has_recursion, 0
	.set _ZN7rocprim17ROCPRIM_400000_NS6detail17trampoline_kernelINS0_13select_configILj256ELj13ELNS0_17block_load_methodE3ELS4_3ELS4_3ELNS0_20block_scan_algorithmE0ELj4294967295EEENS1_25partition_config_selectorILNS1_17partition_subalgoE3EjNS0_10empty_typeEbEEZZNS1_14partition_implILS8_3ELb0ES6_jNS0_17counting_iteratorIjlEEPS9_SE_NS0_5tupleIJPjSE_EEENSF_IJSE_SE_EEES9_SG_JZNS1_25segmented_radix_sort_implINS0_14default_configELb1EPKhPhPKlPlN2at6native12_GLOBAL__N_18offset_tEEE10hipError_tPvRmT1_PNSt15iterator_traitsISY_E10value_typeET2_T3_PNSZ_IS14_E10value_typeET4_jRbjT5_S1A_jjP12ihipStream_tbEUljE_EEESV_SW_SX_S14_S18_S1A_T6_T7_T9_mT8_S1C_bDpT10_ENKUlT_T0_E_clISt17integral_constantIbLb0EES1O_IbLb1EEEEDaS1K_S1L_EUlS1K_E_NS1_11comp_targetILNS1_3genE9ELNS1_11target_archE1100ELNS1_3gpuE3ELNS1_3repE0EEENS1_30default_config_static_selectorELNS0_4arch9wavefront6targetE0EEEvSY_.has_indirect_call, 0
	.section	.AMDGPU.csdata,"",@progbits
; Kernel info:
; codeLenInByte = 0
; TotalNumSgprs: 0
; NumVgprs: 0
; ScratchSize: 0
; MemoryBound: 0
; FloatMode: 240
; IeeeMode: 1
; LDSByteSize: 0 bytes/workgroup (compile time only)
; SGPRBlocks: 0
; VGPRBlocks: 0
; NumSGPRsForWavesPerEU: 1
; NumVGPRsForWavesPerEU: 1
; Occupancy: 16
; WaveLimiterHint : 0
; COMPUTE_PGM_RSRC2:SCRATCH_EN: 0
; COMPUTE_PGM_RSRC2:USER_SGPR: 2
; COMPUTE_PGM_RSRC2:TRAP_HANDLER: 0
; COMPUTE_PGM_RSRC2:TGID_X_EN: 1
; COMPUTE_PGM_RSRC2:TGID_Y_EN: 0
; COMPUTE_PGM_RSRC2:TGID_Z_EN: 0
; COMPUTE_PGM_RSRC2:TIDIG_COMP_CNT: 0
	.section	.text._ZN7rocprim17ROCPRIM_400000_NS6detail17trampoline_kernelINS0_13select_configILj256ELj13ELNS0_17block_load_methodE3ELS4_3ELS4_3ELNS0_20block_scan_algorithmE0ELj4294967295EEENS1_25partition_config_selectorILNS1_17partition_subalgoE3EjNS0_10empty_typeEbEEZZNS1_14partition_implILS8_3ELb0ES6_jNS0_17counting_iteratorIjlEEPS9_SE_NS0_5tupleIJPjSE_EEENSF_IJSE_SE_EEES9_SG_JZNS1_25segmented_radix_sort_implINS0_14default_configELb1EPKhPhPKlPlN2at6native12_GLOBAL__N_18offset_tEEE10hipError_tPvRmT1_PNSt15iterator_traitsISY_E10value_typeET2_T3_PNSZ_IS14_E10value_typeET4_jRbjT5_S1A_jjP12ihipStream_tbEUljE_EEESV_SW_SX_S14_S18_S1A_T6_T7_T9_mT8_S1C_bDpT10_ENKUlT_T0_E_clISt17integral_constantIbLb0EES1O_IbLb1EEEEDaS1K_S1L_EUlS1K_E_NS1_11comp_targetILNS1_3genE8ELNS1_11target_archE1030ELNS1_3gpuE2ELNS1_3repE0EEENS1_30default_config_static_selectorELNS0_4arch9wavefront6targetE0EEEvSY_,"axG",@progbits,_ZN7rocprim17ROCPRIM_400000_NS6detail17trampoline_kernelINS0_13select_configILj256ELj13ELNS0_17block_load_methodE3ELS4_3ELS4_3ELNS0_20block_scan_algorithmE0ELj4294967295EEENS1_25partition_config_selectorILNS1_17partition_subalgoE3EjNS0_10empty_typeEbEEZZNS1_14partition_implILS8_3ELb0ES6_jNS0_17counting_iteratorIjlEEPS9_SE_NS0_5tupleIJPjSE_EEENSF_IJSE_SE_EEES9_SG_JZNS1_25segmented_radix_sort_implINS0_14default_configELb1EPKhPhPKlPlN2at6native12_GLOBAL__N_18offset_tEEE10hipError_tPvRmT1_PNSt15iterator_traitsISY_E10value_typeET2_T3_PNSZ_IS14_E10value_typeET4_jRbjT5_S1A_jjP12ihipStream_tbEUljE_EEESV_SW_SX_S14_S18_S1A_T6_T7_T9_mT8_S1C_bDpT10_ENKUlT_T0_E_clISt17integral_constantIbLb0EES1O_IbLb1EEEEDaS1K_S1L_EUlS1K_E_NS1_11comp_targetILNS1_3genE8ELNS1_11target_archE1030ELNS1_3gpuE2ELNS1_3repE0EEENS1_30default_config_static_selectorELNS0_4arch9wavefront6targetE0EEEvSY_,comdat
	.globl	_ZN7rocprim17ROCPRIM_400000_NS6detail17trampoline_kernelINS0_13select_configILj256ELj13ELNS0_17block_load_methodE3ELS4_3ELS4_3ELNS0_20block_scan_algorithmE0ELj4294967295EEENS1_25partition_config_selectorILNS1_17partition_subalgoE3EjNS0_10empty_typeEbEEZZNS1_14partition_implILS8_3ELb0ES6_jNS0_17counting_iteratorIjlEEPS9_SE_NS0_5tupleIJPjSE_EEENSF_IJSE_SE_EEES9_SG_JZNS1_25segmented_radix_sort_implINS0_14default_configELb1EPKhPhPKlPlN2at6native12_GLOBAL__N_18offset_tEEE10hipError_tPvRmT1_PNSt15iterator_traitsISY_E10value_typeET2_T3_PNSZ_IS14_E10value_typeET4_jRbjT5_S1A_jjP12ihipStream_tbEUljE_EEESV_SW_SX_S14_S18_S1A_T6_T7_T9_mT8_S1C_bDpT10_ENKUlT_T0_E_clISt17integral_constantIbLb0EES1O_IbLb1EEEEDaS1K_S1L_EUlS1K_E_NS1_11comp_targetILNS1_3genE8ELNS1_11target_archE1030ELNS1_3gpuE2ELNS1_3repE0EEENS1_30default_config_static_selectorELNS0_4arch9wavefront6targetE0EEEvSY_ ; -- Begin function _ZN7rocprim17ROCPRIM_400000_NS6detail17trampoline_kernelINS0_13select_configILj256ELj13ELNS0_17block_load_methodE3ELS4_3ELS4_3ELNS0_20block_scan_algorithmE0ELj4294967295EEENS1_25partition_config_selectorILNS1_17partition_subalgoE3EjNS0_10empty_typeEbEEZZNS1_14partition_implILS8_3ELb0ES6_jNS0_17counting_iteratorIjlEEPS9_SE_NS0_5tupleIJPjSE_EEENSF_IJSE_SE_EEES9_SG_JZNS1_25segmented_radix_sort_implINS0_14default_configELb1EPKhPhPKlPlN2at6native12_GLOBAL__N_18offset_tEEE10hipError_tPvRmT1_PNSt15iterator_traitsISY_E10value_typeET2_T3_PNSZ_IS14_E10value_typeET4_jRbjT5_S1A_jjP12ihipStream_tbEUljE_EEESV_SW_SX_S14_S18_S1A_T6_T7_T9_mT8_S1C_bDpT10_ENKUlT_T0_E_clISt17integral_constantIbLb0EES1O_IbLb1EEEEDaS1K_S1L_EUlS1K_E_NS1_11comp_targetILNS1_3genE8ELNS1_11target_archE1030ELNS1_3gpuE2ELNS1_3repE0EEENS1_30default_config_static_selectorELNS0_4arch9wavefront6targetE0EEEvSY_
	.p2align	8
	.type	_ZN7rocprim17ROCPRIM_400000_NS6detail17trampoline_kernelINS0_13select_configILj256ELj13ELNS0_17block_load_methodE3ELS4_3ELS4_3ELNS0_20block_scan_algorithmE0ELj4294967295EEENS1_25partition_config_selectorILNS1_17partition_subalgoE3EjNS0_10empty_typeEbEEZZNS1_14partition_implILS8_3ELb0ES6_jNS0_17counting_iteratorIjlEEPS9_SE_NS0_5tupleIJPjSE_EEENSF_IJSE_SE_EEES9_SG_JZNS1_25segmented_radix_sort_implINS0_14default_configELb1EPKhPhPKlPlN2at6native12_GLOBAL__N_18offset_tEEE10hipError_tPvRmT1_PNSt15iterator_traitsISY_E10value_typeET2_T3_PNSZ_IS14_E10value_typeET4_jRbjT5_S1A_jjP12ihipStream_tbEUljE_EEESV_SW_SX_S14_S18_S1A_T6_T7_T9_mT8_S1C_bDpT10_ENKUlT_T0_E_clISt17integral_constantIbLb0EES1O_IbLb1EEEEDaS1K_S1L_EUlS1K_E_NS1_11comp_targetILNS1_3genE8ELNS1_11target_archE1030ELNS1_3gpuE2ELNS1_3repE0EEENS1_30default_config_static_selectorELNS0_4arch9wavefront6targetE0EEEvSY_,@function
_ZN7rocprim17ROCPRIM_400000_NS6detail17trampoline_kernelINS0_13select_configILj256ELj13ELNS0_17block_load_methodE3ELS4_3ELS4_3ELNS0_20block_scan_algorithmE0ELj4294967295EEENS1_25partition_config_selectorILNS1_17partition_subalgoE3EjNS0_10empty_typeEbEEZZNS1_14partition_implILS8_3ELb0ES6_jNS0_17counting_iteratorIjlEEPS9_SE_NS0_5tupleIJPjSE_EEENSF_IJSE_SE_EEES9_SG_JZNS1_25segmented_radix_sort_implINS0_14default_configELb1EPKhPhPKlPlN2at6native12_GLOBAL__N_18offset_tEEE10hipError_tPvRmT1_PNSt15iterator_traitsISY_E10value_typeET2_T3_PNSZ_IS14_E10value_typeET4_jRbjT5_S1A_jjP12ihipStream_tbEUljE_EEESV_SW_SX_S14_S18_S1A_T6_T7_T9_mT8_S1C_bDpT10_ENKUlT_T0_E_clISt17integral_constantIbLb0EES1O_IbLb1EEEEDaS1K_S1L_EUlS1K_E_NS1_11comp_targetILNS1_3genE8ELNS1_11target_archE1030ELNS1_3gpuE2ELNS1_3repE0EEENS1_30default_config_static_selectorELNS0_4arch9wavefront6targetE0EEEvSY_: ; @_ZN7rocprim17ROCPRIM_400000_NS6detail17trampoline_kernelINS0_13select_configILj256ELj13ELNS0_17block_load_methodE3ELS4_3ELS4_3ELNS0_20block_scan_algorithmE0ELj4294967295EEENS1_25partition_config_selectorILNS1_17partition_subalgoE3EjNS0_10empty_typeEbEEZZNS1_14partition_implILS8_3ELb0ES6_jNS0_17counting_iteratorIjlEEPS9_SE_NS0_5tupleIJPjSE_EEENSF_IJSE_SE_EEES9_SG_JZNS1_25segmented_radix_sort_implINS0_14default_configELb1EPKhPhPKlPlN2at6native12_GLOBAL__N_18offset_tEEE10hipError_tPvRmT1_PNSt15iterator_traitsISY_E10value_typeET2_T3_PNSZ_IS14_E10value_typeET4_jRbjT5_S1A_jjP12ihipStream_tbEUljE_EEESV_SW_SX_S14_S18_S1A_T6_T7_T9_mT8_S1C_bDpT10_ENKUlT_T0_E_clISt17integral_constantIbLb0EES1O_IbLb1EEEEDaS1K_S1L_EUlS1K_E_NS1_11comp_targetILNS1_3genE8ELNS1_11target_archE1030ELNS1_3gpuE2ELNS1_3repE0EEENS1_30default_config_static_selectorELNS0_4arch9wavefront6targetE0EEEvSY_
; %bb.0:
	.section	.rodata,"a",@progbits
	.p2align	6, 0x0
	.amdhsa_kernel _ZN7rocprim17ROCPRIM_400000_NS6detail17trampoline_kernelINS0_13select_configILj256ELj13ELNS0_17block_load_methodE3ELS4_3ELS4_3ELNS0_20block_scan_algorithmE0ELj4294967295EEENS1_25partition_config_selectorILNS1_17partition_subalgoE3EjNS0_10empty_typeEbEEZZNS1_14partition_implILS8_3ELb0ES6_jNS0_17counting_iteratorIjlEEPS9_SE_NS0_5tupleIJPjSE_EEENSF_IJSE_SE_EEES9_SG_JZNS1_25segmented_radix_sort_implINS0_14default_configELb1EPKhPhPKlPlN2at6native12_GLOBAL__N_18offset_tEEE10hipError_tPvRmT1_PNSt15iterator_traitsISY_E10value_typeET2_T3_PNSZ_IS14_E10value_typeET4_jRbjT5_S1A_jjP12ihipStream_tbEUljE_EEESV_SW_SX_S14_S18_S1A_T6_T7_T9_mT8_S1C_bDpT10_ENKUlT_T0_E_clISt17integral_constantIbLb0EES1O_IbLb1EEEEDaS1K_S1L_EUlS1K_E_NS1_11comp_targetILNS1_3genE8ELNS1_11target_archE1030ELNS1_3gpuE2ELNS1_3repE0EEENS1_30default_config_static_selectorELNS0_4arch9wavefront6targetE0EEEvSY_
		.amdhsa_group_segment_fixed_size 0
		.amdhsa_private_segment_fixed_size 0
		.amdhsa_kernarg_size 152
		.amdhsa_user_sgpr_count 2
		.amdhsa_user_sgpr_dispatch_ptr 0
		.amdhsa_user_sgpr_queue_ptr 0
		.amdhsa_user_sgpr_kernarg_segment_ptr 1
		.amdhsa_user_sgpr_dispatch_id 0
		.amdhsa_user_sgpr_private_segment_size 0
		.amdhsa_wavefront_size32 1
		.amdhsa_uses_dynamic_stack 0
		.amdhsa_enable_private_segment 0
		.amdhsa_system_sgpr_workgroup_id_x 1
		.amdhsa_system_sgpr_workgroup_id_y 0
		.amdhsa_system_sgpr_workgroup_id_z 0
		.amdhsa_system_sgpr_workgroup_info 0
		.amdhsa_system_vgpr_workitem_id 0
		.amdhsa_next_free_vgpr 1
		.amdhsa_next_free_sgpr 1
		.amdhsa_reserve_vcc 0
		.amdhsa_float_round_mode_32 0
		.amdhsa_float_round_mode_16_64 0
		.amdhsa_float_denorm_mode_32 3
		.amdhsa_float_denorm_mode_16_64 3
		.amdhsa_fp16_overflow 0
		.amdhsa_workgroup_processor_mode 1
		.amdhsa_memory_ordered 1
		.amdhsa_forward_progress 1
		.amdhsa_inst_pref_size 0
		.amdhsa_round_robin_scheduling 0
		.amdhsa_exception_fp_ieee_invalid_op 0
		.amdhsa_exception_fp_denorm_src 0
		.amdhsa_exception_fp_ieee_div_zero 0
		.amdhsa_exception_fp_ieee_overflow 0
		.amdhsa_exception_fp_ieee_underflow 0
		.amdhsa_exception_fp_ieee_inexact 0
		.amdhsa_exception_int_div_zero 0
	.end_amdhsa_kernel
	.section	.text._ZN7rocprim17ROCPRIM_400000_NS6detail17trampoline_kernelINS0_13select_configILj256ELj13ELNS0_17block_load_methodE3ELS4_3ELS4_3ELNS0_20block_scan_algorithmE0ELj4294967295EEENS1_25partition_config_selectorILNS1_17partition_subalgoE3EjNS0_10empty_typeEbEEZZNS1_14partition_implILS8_3ELb0ES6_jNS0_17counting_iteratorIjlEEPS9_SE_NS0_5tupleIJPjSE_EEENSF_IJSE_SE_EEES9_SG_JZNS1_25segmented_radix_sort_implINS0_14default_configELb1EPKhPhPKlPlN2at6native12_GLOBAL__N_18offset_tEEE10hipError_tPvRmT1_PNSt15iterator_traitsISY_E10value_typeET2_T3_PNSZ_IS14_E10value_typeET4_jRbjT5_S1A_jjP12ihipStream_tbEUljE_EEESV_SW_SX_S14_S18_S1A_T6_T7_T9_mT8_S1C_bDpT10_ENKUlT_T0_E_clISt17integral_constantIbLb0EES1O_IbLb1EEEEDaS1K_S1L_EUlS1K_E_NS1_11comp_targetILNS1_3genE8ELNS1_11target_archE1030ELNS1_3gpuE2ELNS1_3repE0EEENS1_30default_config_static_selectorELNS0_4arch9wavefront6targetE0EEEvSY_,"axG",@progbits,_ZN7rocprim17ROCPRIM_400000_NS6detail17trampoline_kernelINS0_13select_configILj256ELj13ELNS0_17block_load_methodE3ELS4_3ELS4_3ELNS0_20block_scan_algorithmE0ELj4294967295EEENS1_25partition_config_selectorILNS1_17partition_subalgoE3EjNS0_10empty_typeEbEEZZNS1_14partition_implILS8_3ELb0ES6_jNS0_17counting_iteratorIjlEEPS9_SE_NS0_5tupleIJPjSE_EEENSF_IJSE_SE_EEES9_SG_JZNS1_25segmented_radix_sort_implINS0_14default_configELb1EPKhPhPKlPlN2at6native12_GLOBAL__N_18offset_tEEE10hipError_tPvRmT1_PNSt15iterator_traitsISY_E10value_typeET2_T3_PNSZ_IS14_E10value_typeET4_jRbjT5_S1A_jjP12ihipStream_tbEUljE_EEESV_SW_SX_S14_S18_S1A_T6_T7_T9_mT8_S1C_bDpT10_ENKUlT_T0_E_clISt17integral_constantIbLb0EES1O_IbLb1EEEEDaS1K_S1L_EUlS1K_E_NS1_11comp_targetILNS1_3genE8ELNS1_11target_archE1030ELNS1_3gpuE2ELNS1_3repE0EEENS1_30default_config_static_selectorELNS0_4arch9wavefront6targetE0EEEvSY_,comdat
.Lfunc_end82:
	.size	_ZN7rocprim17ROCPRIM_400000_NS6detail17trampoline_kernelINS0_13select_configILj256ELj13ELNS0_17block_load_methodE3ELS4_3ELS4_3ELNS0_20block_scan_algorithmE0ELj4294967295EEENS1_25partition_config_selectorILNS1_17partition_subalgoE3EjNS0_10empty_typeEbEEZZNS1_14partition_implILS8_3ELb0ES6_jNS0_17counting_iteratorIjlEEPS9_SE_NS0_5tupleIJPjSE_EEENSF_IJSE_SE_EEES9_SG_JZNS1_25segmented_radix_sort_implINS0_14default_configELb1EPKhPhPKlPlN2at6native12_GLOBAL__N_18offset_tEEE10hipError_tPvRmT1_PNSt15iterator_traitsISY_E10value_typeET2_T3_PNSZ_IS14_E10value_typeET4_jRbjT5_S1A_jjP12ihipStream_tbEUljE_EEESV_SW_SX_S14_S18_S1A_T6_T7_T9_mT8_S1C_bDpT10_ENKUlT_T0_E_clISt17integral_constantIbLb0EES1O_IbLb1EEEEDaS1K_S1L_EUlS1K_E_NS1_11comp_targetILNS1_3genE8ELNS1_11target_archE1030ELNS1_3gpuE2ELNS1_3repE0EEENS1_30default_config_static_selectorELNS0_4arch9wavefront6targetE0EEEvSY_, .Lfunc_end82-_ZN7rocprim17ROCPRIM_400000_NS6detail17trampoline_kernelINS0_13select_configILj256ELj13ELNS0_17block_load_methodE3ELS4_3ELS4_3ELNS0_20block_scan_algorithmE0ELj4294967295EEENS1_25partition_config_selectorILNS1_17partition_subalgoE3EjNS0_10empty_typeEbEEZZNS1_14partition_implILS8_3ELb0ES6_jNS0_17counting_iteratorIjlEEPS9_SE_NS0_5tupleIJPjSE_EEENSF_IJSE_SE_EEES9_SG_JZNS1_25segmented_radix_sort_implINS0_14default_configELb1EPKhPhPKlPlN2at6native12_GLOBAL__N_18offset_tEEE10hipError_tPvRmT1_PNSt15iterator_traitsISY_E10value_typeET2_T3_PNSZ_IS14_E10value_typeET4_jRbjT5_S1A_jjP12ihipStream_tbEUljE_EEESV_SW_SX_S14_S18_S1A_T6_T7_T9_mT8_S1C_bDpT10_ENKUlT_T0_E_clISt17integral_constantIbLb0EES1O_IbLb1EEEEDaS1K_S1L_EUlS1K_E_NS1_11comp_targetILNS1_3genE8ELNS1_11target_archE1030ELNS1_3gpuE2ELNS1_3repE0EEENS1_30default_config_static_selectorELNS0_4arch9wavefront6targetE0EEEvSY_
                                        ; -- End function
	.set _ZN7rocprim17ROCPRIM_400000_NS6detail17trampoline_kernelINS0_13select_configILj256ELj13ELNS0_17block_load_methodE3ELS4_3ELS4_3ELNS0_20block_scan_algorithmE0ELj4294967295EEENS1_25partition_config_selectorILNS1_17partition_subalgoE3EjNS0_10empty_typeEbEEZZNS1_14partition_implILS8_3ELb0ES6_jNS0_17counting_iteratorIjlEEPS9_SE_NS0_5tupleIJPjSE_EEENSF_IJSE_SE_EEES9_SG_JZNS1_25segmented_radix_sort_implINS0_14default_configELb1EPKhPhPKlPlN2at6native12_GLOBAL__N_18offset_tEEE10hipError_tPvRmT1_PNSt15iterator_traitsISY_E10value_typeET2_T3_PNSZ_IS14_E10value_typeET4_jRbjT5_S1A_jjP12ihipStream_tbEUljE_EEESV_SW_SX_S14_S18_S1A_T6_T7_T9_mT8_S1C_bDpT10_ENKUlT_T0_E_clISt17integral_constantIbLb0EES1O_IbLb1EEEEDaS1K_S1L_EUlS1K_E_NS1_11comp_targetILNS1_3genE8ELNS1_11target_archE1030ELNS1_3gpuE2ELNS1_3repE0EEENS1_30default_config_static_selectorELNS0_4arch9wavefront6targetE0EEEvSY_.num_vgpr, 0
	.set _ZN7rocprim17ROCPRIM_400000_NS6detail17trampoline_kernelINS0_13select_configILj256ELj13ELNS0_17block_load_methodE3ELS4_3ELS4_3ELNS0_20block_scan_algorithmE0ELj4294967295EEENS1_25partition_config_selectorILNS1_17partition_subalgoE3EjNS0_10empty_typeEbEEZZNS1_14partition_implILS8_3ELb0ES6_jNS0_17counting_iteratorIjlEEPS9_SE_NS0_5tupleIJPjSE_EEENSF_IJSE_SE_EEES9_SG_JZNS1_25segmented_radix_sort_implINS0_14default_configELb1EPKhPhPKlPlN2at6native12_GLOBAL__N_18offset_tEEE10hipError_tPvRmT1_PNSt15iterator_traitsISY_E10value_typeET2_T3_PNSZ_IS14_E10value_typeET4_jRbjT5_S1A_jjP12ihipStream_tbEUljE_EEESV_SW_SX_S14_S18_S1A_T6_T7_T9_mT8_S1C_bDpT10_ENKUlT_T0_E_clISt17integral_constantIbLb0EES1O_IbLb1EEEEDaS1K_S1L_EUlS1K_E_NS1_11comp_targetILNS1_3genE8ELNS1_11target_archE1030ELNS1_3gpuE2ELNS1_3repE0EEENS1_30default_config_static_selectorELNS0_4arch9wavefront6targetE0EEEvSY_.num_agpr, 0
	.set _ZN7rocprim17ROCPRIM_400000_NS6detail17trampoline_kernelINS0_13select_configILj256ELj13ELNS0_17block_load_methodE3ELS4_3ELS4_3ELNS0_20block_scan_algorithmE0ELj4294967295EEENS1_25partition_config_selectorILNS1_17partition_subalgoE3EjNS0_10empty_typeEbEEZZNS1_14partition_implILS8_3ELb0ES6_jNS0_17counting_iteratorIjlEEPS9_SE_NS0_5tupleIJPjSE_EEENSF_IJSE_SE_EEES9_SG_JZNS1_25segmented_radix_sort_implINS0_14default_configELb1EPKhPhPKlPlN2at6native12_GLOBAL__N_18offset_tEEE10hipError_tPvRmT1_PNSt15iterator_traitsISY_E10value_typeET2_T3_PNSZ_IS14_E10value_typeET4_jRbjT5_S1A_jjP12ihipStream_tbEUljE_EEESV_SW_SX_S14_S18_S1A_T6_T7_T9_mT8_S1C_bDpT10_ENKUlT_T0_E_clISt17integral_constantIbLb0EES1O_IbLb1EEEEDaS1K_S1L_EUlS1K_E_NS1_11comp_targetILNS1_3genE8ELNS1_11target_archE1030ELNS1_3gpuE2ELNS1_3repE0EEENS1_30default_config_static_selectorELNS0_4arch9wavefront6targetE0EEEvSY_.numbered_sgpr, 0
	.set _ZN7rocprim17ROCPRIM_400000_NS6detail17trampoline_kernelINS0_13select_configILj256ELj13ELNS0_17block_load_methodE3ELS4_3ELS4_3ELNS0_20block_scan_algorithmE0ELj4294967295EEENS1_25partition_config_selectorILNS1_17partition_subalgoE3EjNS0_10empty_typeEbEEZZNS1_14partition_implILS8_3ELb0ES6_jNS0_17counting_iteratorIjlEEPS9_SE_NS0_5tupleIJPjSE_EEENSF_IJSE_SE_EEES9_SG_JZNS1_25segmented_radix_sort_implINS0_14default_configELb1EPKhPhPKlPlN2at6native12_GLOBAL__N_18offset_tEEE10hipError_tPvRmT1_PNSt15iterator_traitsISY_E10value_typeET2_T3_PNSZ_IS14_E10value_typeET4_jRbjT5_S1A_jjP12ihipStream_tbEUljE_EEESV_SW_SX_S14_S18_S1A_T6_T7_T9_mT8_S1C_bDpT10_ENKUlT_T0_E_clISt17integral_constantIbLb0EES1O_IbLb1EEEEDaS1K_S1L_EUlS1K_E_NS1_11comp_targetILNS1_3genE8ELNS1_11target_archE1030ELNS1_3gpuE2ELNS1_3repE0EEENS1_30default_config_static_selectorELNS0_4arch9wavefront6targetE0EEEvSY_.num_named_barrier, 0
	.set _ZN7rocprim17ROCPRIM_400000_NS6detail17trampoline_kernelINS0_13select_configILj256ELj13ELNS0_17block_load_methodE3ELS4_3ELS4_3ELNS0_20block_scan_algorithmE0ELj4294967295EEENS1_25partition_config_selectorILNS1_17partition_subalgoE3EjNS0_10empty_typeEbEEZZNS1_14partition_implILS8_3ELb0ES6_jNS0_17counting_iteratorIjlEEPS9_SE_NS0_5tupleIJPjSE_EEENSF_IJSE_SE_EEES9_SG_JZNS1_25segmented_radix_sort_implINS0_14default_configELb1EPKhPhPKlPlN2at6native12_GLOBAL__N_18offset_tEEE10hipError_tPvRmT1_PNSt15iterator_traitsISY_E10value_typeET2_T3_PNSZ_IS14_E10value_typeET4_jRbjT5_S1A_jjP12ihipStream_tbEUljE_EEESV_SW_SX_S14_S18_S1A_T6_T7_T9_mT8_S1C_bDpT10_ENKUlT_T0_E_clISt17integral_constantIbLb0EES1O_IbLb1EEEEDaS1K_S1L_EUlS1K_E_NS1_11comp_targetILNS1_3genE8ELNS1_11target_archE1030ELNS1_3gpuE2ELNS1_3repE0EEENS1_30default_config_static_selectorELNS0_4arch9wavefront6targetE0EEEvSY_.private_seg_size, 0
	.set _ZN7rocprim17ROCPRIM_400000_NS6detail17trampoline_kernelINS0_13select_configILj256ELj13ELNS0_17block_load_methodE3ELS4_3ELS4_3ELNS0_20block_scan_algorithmE0ELj4294967295EEENS1_25partition_config_selectorILNS1_17partition_subalgoE3EjNS0_10empty_typeEbEEZZNS1_14partition_implILS8_3ELb0ES6_jNS0_17counting_iteratorIjlEEPS9_SE_NS0_5tupleIJPjSE_EEENSF_IJSE_SE_EEES9_SG_JZNS1_25segmented_radix_sort_implINS0_14default_configELb1EPKhPhPKlPlN2at6native12_GLOBAL__N_18offset_tEEE10hipError_tPvRmT1_PNSt15iterator_traitsISY_E10value_typeET2_T3_PNSZ_IS14_E10value_typeET4_jRbjT5_S1A_jjP12ihipStream_tbEUljE_EEESV_SW_SX_S14_S18_S1A_T6_T7_T9_mT8_S1C_bDpT10_ENKUlT_T0_E_clISt17integral_constantIbLb0EES1O_IbLb1EEEEDaS1K_S1L_EUlS1K_E_NS1_11comp_targetILNS1_3genE8ELNS1_11target_archE1030ELNS1_3gpuE2ELNS1_3repE0EEENS1_30default_config_static_selectorELNS0_4arch9wavefront6targetE0EEEvSY_.uses_vcc, 0
	.set _ZN7rocprim17ROCPRIM_400000_NS6detail17trampoline_kernelINS0_13select_configILj256ELj13ELNS0_17block_load_methodE3ELS4_3ELS4_3ELNS0_20block_scan_algorithmE0ELj4294967295EEENS1_25partition_config_selectorILNS1_17partition_subalgoE3EjNS0_10empty_typeEbEEZZNS1_14partition_implILS8_3ELb0ES6_jNS0_17counting_iteratorIjlEEPS9_SE_NS0_5tupleIJPjSE_EEENSF_IJSE_SE_EEES9_SG_JZNS1_25segmented_radix_sort_implINS0_14default_configELb1EPKhPhPKlPlN2at6native12_GLOBAL__N_18offset_tEEE10hipError_tPvRmT1_PNSt15iterator_traitsISY_E10value_typeET2_T3_PNSZ_IS14_E10value_typeET4_jRbjT5_S1A_jjP12ihipStream_tbEUljE_EEESV_SW_SX_S14_S18_S1A_T6_T7_T9_mT8_S1C_bDpT10_ENKUlT_T0_E_clISt17integral_constantIbLb0EES1O_IbLb1EEEEDaS1K_S1L_EUlS1K_E_NS1_11comp_targetILNS1_3genE8ELNS1_11target_archE1030ELNS1_3gpuE2ELNS1_3repE0EEENS1_30default_config_static_selectorELNS0_4arch9wavefront6targetE0EEEvSY_.uses_flat_scratch, 0
	.set _ZN7rocprim17ROCPRIM_400000_NS6detail17trampoline_kernelINS0_13select_configILj256ELj13ELNS0_17block_load_methodE3ELS4_3ELS4_3ELNS0_20block_scan_algorithmE0ELj4294967295EEENS1_25partition_config_selectorILNS1_17partition_subalgoE3EjNS0_10empty_typeEbEEZZNS1_14partition_implILS8_3ELb0ES6_jNS0_17counting_iteratorIjlEEPS9_SE_NS0_5tupleIJPjSE_EEENSF_IJSE_SE_EEES9_SG_JZNS1_25segmented_radix_sort_implINS0_14default_configELb1EPKhPhPKlPlN2at6native12_GLOBAL__N_18offset_tEEE10hipError_tPvRmT1_PNSt15iterator_traitsISY_E10value_typeET2_T3_PNSZ_IS14_E10value_typeET4_jRbjT5_S1A_jjP12ihipStream_tbEUljE_EEESV_SW_SX_S14_S18_S1A_T6_T7_T9_mT8_S1C_bDpT10_ENKUlT_T0_E_clISt17integral_constantIbLb0EES1O_IbLb1EEEEDaS1K_S1L_EUlS1K_E_NS1_11comp_targetILNS1_3genE8ELNS1_11target_archE1030ELNS1_3gpuE2ELNS1_3repE0EEENS1_30default_config_static_selectorELNS0_4arch9wavefront6targetE0EEEvSY_.has_dyn_sized_stack, 0
	.set _ZN7rocprim17ROCPRIM_400000_NS6detail17trampoline_kernelINS0_13select_configILj256ELj13ELNS0_17block_load_methodE3ELS4_3ELS4_3ELNS0_20block_scan_algorithmE0ELj4294967295EEENS1_25partition_config_selectorILNS1_17partition_subalgoE3EjNS0_10empty_typeEbEEZZNS1_14partition_implILS8_3ELb0ES6_jNS0_17counting_iteratorIjlEEPS9_SE_NS0_5tupleIJPjSE_EEENSF_IJSE_SE_EEES9_SG_JZNS1_25segmented_radix_sort_implINS0_14default_configELb1EPKhPhPKlPlN2at6native12_GLOBAL__N_18offset_tEEE10hipError_tPvRmT1_PNSt15iterator_traitsISY_E10value_typeET2_T3_PNSZ_IS14_E10value_typeET4_jRbjT5_S1A_jjP12ihipStream_tbEUljE_EEESV_SW_SX_S14_S18_S1A_T6_T7_T9_mT8_S1C_bDpT10_ENKUlT_T0_E_clISt17integral_constantIbLb0EES1O_IbLb1EEEEDaS1K_S1L_EUlS1K_E_NS1_11comp_targetILNS1_3genE8ELNS1_11target_archE1030ELNS1_3gpuE2ELNS1_3repE0EEENS1_30default_config_static_selectorELNS0_4arch9wavefront6targetE0EEEvSY_.has_recursion, 0
	.set _ZN7rocprim17ROCPRIM_400000_NS6detail17trampoline_kernelINS0_13select_configILj256ELj13ELNS0_17block_load_methodE3ELS4_3ELS4_3ELNS0_20block_scan_algorithmE0ELj4294967295EEENS1_25partition_config_selectorILNS1_17partition_subalgoE3EjNS0_10empty_typeEbEEZZNS1_14partition_implILS8_3ELb0ES6_jNS0_17counting_iteratorIjlEEPS9_SE_NS0_5tupleIJPjSE_EEENSF_IJSE_SE_EEES9_SG_JZNS1_25segmented_radix_sort_implINS0_14default_configELb1EPKhPhPKlPlN2at6native12_GLOBAL__N_18offset_tEEE10hipError_tPvRmT1_PNSt15iterator_traitsISY_E10value_typeET2_T3_PNSZ_IS14_E10value_typeET4_jRbjT5_S1A_jjP12ihipStream_tbEUljE_EEESV_SW_SX_S14_S18_S1A_T6_T7_T9_mT8_S1C_bDpT10_ENKUlT_T0_E_clISt17integral_constantIbLb0EES1O_IbLb1EEEEDaS1K_S1L_EUlS1K_E_NS1_11comp_targetILNS1_3genE8ELNS1_11target_archE1030ELNS1_3gpuE2ELNS1_3repE0EEENS1_30default_config_static_selectorELNS0_4arch9wavefront6targetE0EEEvSY_.has_indirect_call, 0
	.section	.AMDGPU.csdata,"",@progbits
; Kernel info:
; codeLenInByte = 0
; TotalNumSgprs: 0
; NumVgprs: 0
; ScratchSize: 0
; MemoryBound: 0
; FloatMode: 240
; IeeeMode: 1
; LDSByteSize: 0 bytes/workgroup (compile time only)
; SGPRBlocks: 0
; VGPRBlocks: 0
; NumSGPRsForWavesPerEU: 1
; NumVGPRsForWavesPerEU: 1
; Occupancy: 16
; WaveLimiterHint : 0
; COMPUTE_PGM_RSRC2:SCRATCH_EN: 0
; COMPUTE_PGM_RSRC2:USER_SGPR: 2
; COMPUTE_PGM_RSRC2:TRAP_HANDLER: 0
; COMPUTE_PGM_RSRC2:TGID_X_EN: 1
; COMPUTE_PGM_RSRC2:TGID_Y_EN: 0
; COMPUTE_PGM_RSRC2:TGID_Z_EN: 0
; COMPUTE_PGM_RSRC2:TIDIG_COMP_CNT: 0
	.section	.text._ZN7rocprim17ROCPRIM_400000_NS6detail17trampoline_kernelINS0_14default_configENS1_36segmented_radix_sort_config_selectorIhlEEZNS1_25segmented_radix_sort_implIS3_Lb1EPKhPhPKlPlN2at6native12_GLOBAL__N_18offset_tEEE10hipError_tPvRmT1_PNSt15iterator_traitsISK_E10value_typeET2_T3_PNSL_ISQ_E10value_typeET4_jRbjT5_SW_jjP12ihipStream_tbEUlT_E_NS1_11comp_targetILNS1_3genE0ELNS1_11target_archE4294967295ELNS1_3gpuE0ELNS1_3repE0EEENS1_30default_config_static_selectorELNS0_4arch9wavefront6targetE0EEEvSK_,"axG",@progbits,_ZN7rocprim17ROCPRIM_400000_NS6detail17trampoline_kernelINS0_14default_configENS1_36segmented_radix_sort_config_selectorIhlEEZNS1_25segmented_radix_sort_implIS3_Lb1EPKhPhPKlPlN2at6native12_GLOBAL__N_18offset_tEEE10hipError_tPvRmT1_PNSt15iterator_traitsISK_E10value_typeET2_T3_PNSL_ISQ_E10value_typeET4_jRbjT5_SW_jjP12ihipStream_tbEUlT_E_NS1_11comp_targetILNS1_3genE0ELNS1_11target_archE4294967295ELNS1_3gpuE0ELNS1_3repE0EEENS1_30default_config_static_selectorELNS0_4arch9wavefront6targetE0EEEvSK_,comdat
	.globl	_ZN7rocprim17ROCPRIM_400000_NS6detail17trampoline_kernelINS0_14default_configENS1_36segmented_radix_sort_config_selectorIhlEEZNS1_25segmented_radix_sort_implIS3_Lb1EPKhPhPKlPlN2at6native12_GLOBAL__N_18offset_tEEE10hipError_tPvRmT1_PNSt15iterator_traitsISK_E10value_typeET2_T3_PNSL_ISQ_E10value_typeET4_jRbjT5_SW_jjP12ihipStream_tbEUlT_E_NS1_11comp_targetILNS1_3genE0ELNS1_11target_archE4294967295ELNS1_3gpuE0ELNS1_3repE0EEENS1_30default_config_static_selectorELNS0_4arch9wavefront6targetE0EEEvSK_ ; -- Begin function _ZN7rocprim17ROCPRIM_400000_NS6detail17trampoline_kernelINS0_14default_configENS1_36segmented_radix_sort_config_selectorIhlEEZNS1_25segmented_radix_sort_implIS3_Lb1EPKhPhPKlPlN2at6native12_GLOBAL__N_18offset_tEEE10hipError_tPvRmT1_PNSt15iterator_traitsISK_E10value_typeET2_T3_PNSL_ISQ_E10value_typeET4_jRbjT5_SW_jjP12ihipStream_tbEUlT_E_NS1_11comp_targetILNS1_3genE0ELNS1_11target_archE4294967295ELNS1_3gpuE0ELNS1_3repE0EEENS1_30default_config_static_selectorELNS0_4arch9wavefront6targetE0EEEvSK_
	.p2align	8
	.type	_ZN7rocprim17ROCPRIM_400000_NS6detail17trampoline_kernelINS0_14default_configENS1_36segmented_radix_sort_config_selectorIhlEEZNS1_25segmented_radix_sort_implIS3_Lb1EPKhPhPKlPlN2at6native12_GLOBAL__N_18offset_tEEE10hipError_tPvRmT1_PNSt15iterator_traitsISK_E10value_typeET2_T3_PNSL_ISQ_E10value_typeET4_jRbjT5_SW_jjP12ihipStream_tbEUlT_E_NS1_11comp_targetILNS1_3genE0ELNS1_11target_archE4294967295ELNS1_3gpuE0ELNS1_3repE0EEENS1_30default_config_static_selectorELNS0_4arch9wavefront6targetE0EEEvSK_,@function
_ZN7rocprim17ROCPRIM_400000_NS6detail17trampoline_kernelINS0_14default_configENS1_36segmented_radix_sort_config_selectorIhlEEZNS1_25segmented_radix_sort_implIS3_Lb1EPKhPhPKlPlN2at6native12_GLOBAL__N_18offset_tEEE10hipError_tPvRmT1_PNSt15iterator_traitsISK_E10value_typeET2_T3_PNSL_ISQ_E10value_typeET4_jRbjT5_SW_jjP12ihipStream_tbEUlT_E_NS1_11comp_targetILNS1_3genE0ELNS1_11target_archE4294967295ELNS1_3gpuE0ELNS1_3repE0EEENS1_30default_config_static_selectorELNS0_4arch9wavefront6targetE0EEEvSK_: ; @_ZN7rocprim17ROCPRIM_400000_NS6detail17trampoline_kernelINS0_14default_configENS1_36segmented_radix_sort_config_selectorIhlEEZNS1_25segmented_radix_sort_implIS3_Lb1EPKhPhPKlPlN2at6native12_GLOBAL__N_18offset_tEEE10hipError_tPvRmT1_PNSt15iterator_traitsISK_E10value_typeET2_T3_PNSL_ISQ_E10value_typeET4_jRbjT5_SW_jjP12ihipStream_tbEUlT_E_NS1_11comp_targetILNS1_3genE0ELNS1_11target_archE4294967295ELNS1_3gpuE0ELNS1_3repE0EEENS1_30default_config_static_selectorELNS0_4arch9wavefront6targetE0EEEvSK_
; %bb.0:
	.section	.rodata,"a",@progbits
	.p2align	6, 0x0
	.amdhsa_kernel _ZN7rocprim17ROCPRIM_400000_NS6detail17trampoline_kernelINS0_14default_configENS1_36segmented_radix_sort_config_selectorIhlEEZNS1_25segmented_radix_sort_implIS3_Lb1EPKhPhPKlPlN2at6native12_GLOBAL__N_18offset_tEEE10hipError_tPvRmT1_PNSt15iterator_traitsISK_E10value_typeET2_T3_PNSL_ISQ_E10value_typeET4_jRbjT5_SW_jjP12ihipStream_tbEUlT_E_NS1_11comp_targetILNS1_3genE0ELNS1_11target_archE4294967295ELNS1_3gpuE0ELNS1_3repE0EEENS1_30default_config_static_selectorELNS0_4arch9wavefront6targetE0EEEvSK_
		.amdhsa_group_segment_fixed_size 0
		.amdhsa_private_segment_fixed_size 0
		.amdhsa_kernarg_size 96
		.amdhsa_user_sgpr_count 2
		.amdhsa_user_sgpr_dispatch_ptr 0
		.amdhsa_user_sgpr_queue_ptr 0
		.amdhsa_user_sgpr_kernarg_segment_ptr 1
		.amdhsa_user_sgpr_dispatch_id 0
		.amdhsa_user_sgpr_private_segment_size 0
		.amdhsa_wavefront_size32 1
		.amdhsa_uses_dynamic_stack 0
		.amdhsa_enable_private_segment 0
		.amdhsa_system_sgpr_workgroup_id_x 1
		.amdhsa_system_sgpr_workgroup_id_y 0
		.amdhsa_system_sgpr_workgroup_id_z 0
		.amdhsa_system_sgpr_workgroup_info 0
		.amdhsa_system_vgpr_workitem_id 0
		.amdhsa_next_free_vgpr 1
		.amdhsa_next_free_sgpr 1
		.amdhsa_reserve_vcc 0
		.amdhsa_float_round_mode_32 0
		.amdhsa_float_round_mode_16_64 0
		.amdhsa_float_denorm_mode_32 3
		.amdhsa_float_denorm_mode_16_64 3
		.amdhsa_fp16_overflow 0
		.amdhsa_workgroup_processor_mode 1
		.amdhsa_memory_ordered 1
		.amdhsa_forward_progress 1
		.amdhsa_inst_pref_size 0
		.amdhsa_round_robin_scheduling 0
		.amdhsa_exception_fp_ieee_invalid_op 0
		.amdhsa_exception_fp_denorm_src 0
		.amdhsa_exception_fp_ieee_div_zero 0
		.amdhsa_exception_fp_ieee_overflow 0
		.amdhsa_exception_fp_ieee_underflow 0
		.amdhsa_exception_fp_ieee_inexact 0
		.amdhsa_exception_int_div_zero 0
	.end_amdhsa_kernel
	.section	.text._ZN7rocprim17ROCPRIM_400000_NS6detail17trampoline_kernelINS0_14default_configENS1_36segmented_radix_sort_config_selectorIhlEEZNS1_25segmented_radix_sort_implIS3_Lb1EPKhPhPKlPlN2at6native12_GLOBAL__N_18offset_tEEE10hipError_tPvRmT1_PNSt15iterator_traitsISK_E10value_typeET2_T3_PNSL_ISQ_E10value_typeET4_jRbjT5_SW_jjP12ihipStream_tbEUlT_E_NS1_11comp_targetILNS1_3genE0ELNS1_11target_archE4294967295ELNS1_3gpuE0ELNS1_3repE0EEENS1_30default_config_static_selectorELNS0_4arch9wavefront6targetE0EEEvSK_,"axG",@progbits,_ZN7rocprim17ROCPRIM_400000_NS6detail17trampoline_kernelINS0_14default_configENS1_36segmented_radix_sort_config_selectorIhlEEZNS1_25segmented_radix_sort_implIS3_Lb1EPKhPhPKlPlN2at6native12_GLOBAL__N_18offset_tEEE10hipError_tPvRmT1_PNSt15iterator_traitsISK_E10value_typeET2_T3_PNSL_ISQ_E10value_typeET4_jRbjT5_SW_jjP12ihipStream_tbEUlT_E_NS1_11comp_targetILNS1_3genE0ELNS1_11target_archE4294967295ELNS1_3gpuE0ELNS1_3repE0EEENS1_30default_config_static_selectorELNS0_4arch9wavefront6targetE0EEEvSK_,comdat
.Lfunc_end83:
	.size	_ZN7rocprim17ROCPRIM_400000_NS6detail17trampoline_kernelINS0_14default_configENS1_36segmented_radix_sort_config_selectorIhlEEZNS1_25segmented_radix_sort_implIS3_Lb1EPKhPhPKlPlN2at6native12_GLOBAL__N_18offset_tEEE10hipError_tPvRmT1_PNSt15iterator_traitsISK_E10value_typeET2_T3_PNSL_ISQ_E10value_typeET4_jRbjT5_SW_jjP12ihipStream_tbEUlT_E_NS1_11comp_targetILNS1_3genE0ELNS1_11target_archE4294967295ELNS1_3gpuE0ELNS1_3repE0EEENS1_30default_config_static_selectorELNS0_4arch9wavefront6targetE0EEEvSK_, .Lfunc_end83-_ZN7rocprim17ROCPRIM_400000_NS6detail17trampoline_kernelINS0_14default_configENS1_36segmented_radix_sort_config_selectorIhlEEZNS1_25segmented_radix_sort_implIS3_Lb1EPKhPhPKlPlN2at6native12_GLOBAL__N_18offset_tEEE10hipError_tPvRmT1_PNSt15iterator_traitsISK_E10value_typeET2_T3_PNSL_ISQ_E10value_typeET4_jRbjT5_SW_jjP12ihipStream_tbEUlT_E_NS1_11comp_targetILNS1_3genE0ELNS1_11target_archE4294967295ELNS1_3gpuE0ELNS1_3repE0EEENS1_30default_config_static_selectorELNS0_4arch9wavefront6targetE0EEEvSK_
                                        ; -- End function
	.set _ZN7rocprim17ROCPRIM_400000_NS6detail17trampoline_kernelINS0_14default_configENS1_36segmented_radix_sort_config_selectorIhlEEZNS1_25segmented_radix_sort_implIS3_Lb1EPKhPhPKlPlN2at6native12_GLOBAL__N_18offset_tEEE10hipError_tPvRmT1_PNSt15iterator_traitsISK_E10value_typeET2_T3_PNSL_ISQ_E10value_typeET4_jRbjT5_SW_jjP12ihipStream_tbEUlT_E_NS1_11comp_targetILNS1_3genE0ELNS1_11target_archE4294967295ELNS1_3gpuE0ELNS1_3repE0EEENS1_30default_config_static_selectorELNS0_4arch9wavefront6targetE0EEEvSK_.num_vgpr, 0
	.set _ZN7rocprim17ROCPRIM_400000_NS6detail17trampoline_kernelINS0_14default_configENS1_36segmented_radix_sort_config_selectorIhlEEZNS1_25segmented_radix_sort_implIS3_Lb1EPKhPhPKlPlN2at6native12_GLOBAL__N_18offset_tEEE10hipError_tPvRmT1_PNSt15iterator_traitsISK_E10value_typeET2_T3_PNSL_ISQ_E10value_typeET4_jRbjT5_SW_jjP12ihipStream_tbEUlT_E_NS1_11comp_targetILNS1_3genE0ELNS1_11target_archE4294967295ELNS1_3gpuE0ELNS1_3repE0EEENS1_30default_config_static_selectorELNS0_4arch9wavefront6targetE0EEEvSK_.num_agpr, 0
	.set _ZN7rocprim17ROCPRIM_400000_NS6detail17trampoline_kernelINS0_14default_configENS1_36segmented_radix_sort_config_selectorIhlEEZNS1_25segmented_radix_sort_implIS3_Lb1EPKhPhPKlPlN2at6native12_GLOBAL__N_18offset_tEEE10hipError_tPvRmT1_PNSt15iterator_traitsISK_E10value_typeET2_T3_PNSL_ISQ_E10value_typeET4_jRbjT5_SW_jjP12ihipStream_tbEUlT_E_NS1_11comp_targetILNS1_3genE0ELNS1_11target_archE4294967295ELNS1_3gpuE0ELNS1_3repE0EEENS1_30default_config_static_selectorELNS0_4arch9wavefront6targetE0EEEvSK_.numbered_sgpr, 0
	.set _ZN7rocprim17ROCPRIM_400000_NS6detail17trampoline_kernelINS0_14default_configENS1_36segmented_radix_sort_config_selectorIhlEEZNS1_25segmented_radix_sort_implIS3_Lb1EPKhPhPKlPlN2at6native12_GLOBAL__N_18offset_tEEE10hipError_tPvRmT1_PNSt15iterator_traitsISK_E10value_typeET2_T3_PNSL_ISQ_E10value_typeET4_jRbjT5_SW_jjP12ihipStream_tbEUlT_E_NS1_11comp_targetILNS1_3genE0ELNS1_11target_archE4294967295ELNS1_3gpuE0ELNS1_3repE0EEENS1_30default_config_static_selectorELNS0_4arch9wavefront6targetE0EEEvSK_.num_named_barrier, 0
	.set _ZN7rocprim17ROCPRIM_400000_NS6detail17trampoline_kernelINS0_14default_configENS1_36segmented_radix_sort_config_selectorIhlEEZNS1_25segmented_radix_sort_implIS3_Lb1EPKhPhPKlPlN2at6native12_GLOBAL__N_18offset_tEEE10hipError_tPvRmT1_PNSt15iterator_traitsISK_E10value_typeET2_T3_PNSL_ISQ_E10value_typeET4_jRbjT5_SW_jjP12ihipStream_tbEUlT_E_NS1_11comp_targetILNS1_3genE0ELNS1_11target_archE4294967295ELNS1_3gpuE0ELNS1_3repE0EEENS1_30default_config_static_selectorELNS0_4arch9wavefront6targetE0EEEvSK_.private_seg_size, 0
	.set _ZN7rocprim17ROCPRIM_400000_NS6detail17trampoline_kernelINS0_14default_configENS1_36segmented_radix_sort_config_selectorIhlEEZNS1_25segmented_radix_sort_implIS3_Lb1EPKhPhPKlPlN2at6native12_GLOBAL__N_18offset_tEEE10hipError_tPvRmT1_PNSt15iterator_traitsISK_E10value_typeET2_T3_PNSL_ISQ_E10value_typeET4_jRbjT5_SW_jjP12ihipStream_tbEUlT_E_NS1_11comp_targetILNS1_3genE0ELNS1_11target_archE4294967295ELNS1_3gpuE0ELNS1_3repE0EEENS1_30default_config_static_selectorELNS0_4arch9wavefront6targetE0EEEvSK_.uses_vcc, 0
	.set _ZN7rocprim17ROCPRIM_400000_NS6detail17trampoline_kernelINS0_14default_configENS1_36segmented_radix_sort_config_selectorIhlEEZNS1_25segmented_radix_sort_implIS3_Lb1EPKhPhPKlPlN2at6native12_GLOBAL__N_18offset_tEEE10hipError_tPvRmT1_PNSt15iterator_traitsISK_E10value_typeET2_T3_PNSL_ISQ_E10value_typeET4_jRbjT5_SW_jjP12ihipStream_tbEUlT_E_NS1_11comp_targetILNS1_3genE0ELNS1_11target_archE4294967295ELNS1_3gpuE0ELNS1_3repE0EEENS1_30default_config_static_selectorELNS0_4arch9wavefront6targetE0EEEvSK_.uses_flat_scratch, 0
	.set _ZN7rocprim17ROCPRIM_400000_NS6detail17trampoline_kernelINS0_14default_configENS1_36segmented_radix_sort_config_selectorIhlEEZNS1_25segmented_radix_sort_implIS3_Lb1EPKhPhPKlPlN2at6native12_GLOBAL__N_18offset_tEEE10hipError_tPvRmT1_PNSt15iterator_traitsISK_E10value_typeET2_T3_PNSL_ISQ_E10value_typeET4_jRbjT5_SW_jjP12ihipStream_tbEUlT_E_NS1_11comp_targetILNS1_3genE0ELNS1_11target_archE4294967295ELNS1_3gpuE0ELNS1_3repE0EEENS1_30default_config_static_selectorELNS0_4arch9wavefront6targetE0EEEvSK_.has_dyn_sized_stack, 0
	.set _ZN7rocprim17ROCPRIM_400000_NS6detail17trampoline_kernelINS0_14default_configENS1_36segmented_radix_sort_config_selectorIhlEEZNS1_25segmented_radix_sort_implIS3_Lb1EPKhPhPKlPlN2at6native12_GLOBAL__N_18offset_tEEE10hipError_tPvRmT1_PNSt15iterator_traitsISK_E10value_typeET2_T3_PNSL_ISQ_E10value_typeET4_jRbjT5_SW_jjP12ihipStream_tbEUlT_E_NS1_11comp_targetILNS1_3genE0ELNS1_11target_archE4294967295ELNS1_3gpuE0ELNS1_3repE0EEENS1_30default_config_static_selectorELNS0_4arch9wavefront6targetE0EEEvSK_.has_recursion, 0
	.set _ZN7rocprim17ROCPRIM_400000_NS6detail17trampoline_kernelINS0_14default_configENS1_36segmented_radix_sort_config_selectorIhlEEZNS1_25segmented_radix_sort_implIS3_Lb1EPKhPhPKlPlN2at6native12_GLOBAL__N_18offset_tEEE10hipError_tPvRmT1_PNSt15iterator_traitsISK_E10value_typeET2_T3_PNSL_ISQ_E10value_typeET4_jRbjT5_SW_jjP12ihipStream_tbEUlT_E_NS1_11comp_targetILNS1_3genE0ELNS1_11target_archE4294967295ELNS1_3gpuE0ELNS1_3repE0EEENS1_30default_config_static_selectorELNS0_4arch9wavefront6targetE0EEEvSK_.has_indirect_call, 0
	.section	.AMDGPU.csdata,"",@progbits
; Kernel info:
; codeLenInByte = 0
; TotalNumSgprs: 0
; NumVgprs: 0
; ScratchSize: 0
; MemoryBound: 0
; FloatMode: 240
; IeeeMode: 1
; LDSByteSize: 0 bytes/workgroup (compile time only)
; SGPRBlocks: 0
; VGPRBlocks: 0
; NumSGPRsForWavesPerEU: 1
; NumVGPRsForWavesPerEU: 1
; Occupancy: 16
; WaveLimiterHint : 0
; COMPUTE_PGM_RSRC2:SCRATCH_EN: 0
; COMPUTE_PGM_RSRC2:USER_SGPR: 2
; COMPUTE_PGM_RSRC2:TRAP_HANDLER: 0
; COMPUTE_PGM_RSRC2:TGID_X_EN: 1
; COMPUTE_PGM_RSRC2:TGID_Y_EN: 0
; COMPUTE_PGM_RSRC2:TGID_Z_EN: 0
; COMPUTE_PGM_RSRC2:TIDIG_COMP_CNT: 0
	.section	.text._ZN7rocprim17ROCPRIM_400000_NS6detail17trampoline_kernelINS0_14default_configENS1_36segmented_radix_sort_config_selectorIhlEEZNS1_25segmented_radix_sort_implIS3_Lb1EPKhPhPKlPlN2at6native12_GLOBAL__N_18offset_tEEE10hipError_tPvRmT1_PNSt15iterator_traitsISK_E10value_typeET2_T3_PNSL_ISQ_E10value_typeET4_jRbjT5_SW_jjP12ihipStream_tbEUlT_E_NS1_11comp_targetILNS1_3genE5ELNS1_11target_archE942ELNS1_3gpuE9ELNS1_3repE0EEENS1_30default_config_static_selectorELNS0_4arch9wavefront6targetE0EEEvSK_,"axG",@progbits,_ZN7rocprim17ROCPRIM_400000_NS6detail17trampoline_kernelINS0_14default_configENS1_36segmented_radix_sort_config_selectorIhlEEZNS1_25segmented_radix_sort_implIS3_Lb1EPKhPhPKlPlN2at6native12_GLOBAL__N_18offset_tEEE10hipError_tPvRmT1_PNSt15iterator_traitsISK_E10value_typeET2_T3_PNSL_ISQ_E10value_typeET4_jRbjT5_SW_jjP12ihipStream_tbEUlT_E_NS1_11comp_targetILNS1_3genE5ELNS1_11target_archE942ELNS1_3gpuE9ELNS1_3repE0EEENS1_30default_config_static_selectorELNS0_4arch9wavefront6targetE0EEEvSK_,comdat
	.globl	_ZN7rocprim17ROCPRIM_400000_NS6detail17trampoline_kernelINS0_14default_configENS1_36segmented_radix_sort_config_selectorIhlEEZNS1_25segmented_radix_sort_implIS3_Lb1EPKhPhPKlPlN2at6native12_GLOBAL__N_18offset_tEEE10hipError_tPvRmT1_PNSt15iterator_traitsISK_E10value_typeET2_T3_PNSL_ISQ_E10value_typeET4_jRbjT5_SW_jjP12ihipStream_tbEUlT_E_NS1_11comp_targetILNS1_3genE5ELNS1_11target_archE942ELNS1_3gpuE9ELNS1_3repE0EEENS1_30default_config_static_selectorELNS0_4arch9wavefront6targetE0EEEvSK_ ; -- Begin function _ZN7rocprim17ROCPRIM_400000_NS6detail17trampoline_kernelINS0_14default_configENS1_36segmented_radix_sort_config_selectorIhlEEZNS1_25segmented_radix_sort_implIS3_Lb1EPKhPhPKlPlN2at6native12_GLOBAL__N_18offset_tEEE10hipError_tPvRmT1_PNSt15iterator_traitsISK_E10value_typeET2_T3_PNSL_ISQ_E10value_typeET4_jRbjT5_SW_jjP12ihipStream_tbEUlT_E_NS1_11comp_targetILNS1_3genE5ELNS1_11target_archE942ELNS1_3gpuE9ELNS1_3repE0EEENS1_30default_config_static_selectorELNS0_4arch9wavefront6targetE0EEEvSK_
	.p2align	8
	.type	_ZN7rocprim17ROCPRIM_400000_NS6detail17trampoline_kernelINS0_14default_configENS1_36segmented_radix_sort_config_selectorIhlEEZNS1_25segmented_radix_sort_implIS3_Lb1EPKhPhPKlPlN2at6native12_GLOBAL__N_18offset_tEEE10hipError_tPvRmT1_PNSt15iterator_traitsISK_E10value_typeET2_T3_PNSL_ISQ_E10value_typeET4_jRbjT5_SW_jjP12ihipStream_tbEUlT_E_NS1_11comp_targetILNS1_3genE5ELNS1_11target_archE942ELNS1_3gpuE9ELNS1_3repE0EEENS1_30default_config_static_selectorELNS0_4arch9wavefront6targetE0EEEvSK_,@function
_ZN7rocprim17ROCPRIM_400000_NS6detail17trampoline_kernelINS0_14default_configENS1_36segmented_radix_sort_config_selectorIhlEEZNS1_25segmented_radix_sort_implIS3_Lb1EPKhPhPKlPlN2at6native12_GLOBAL__N_18offset_tEEE10hipError_tPvRmT1_PNSt15iterator_traitsISK_E10value_typeET2_T3_PNSL_ISQ_E10value_typeET4_jRbjT5_SW_jjP12ihipStream_tbEUlT_E_NS1_11comp_targetILNS1_3genE5ELNS1_11target_archE942ELNS1_3gpuE9ELNS1_3repE0EEENS1_30default_config_static_selectorELNS0_4arch9wavefront6targetE0EEEvSK_: ; @_ZN7rocprim17ROCPRIM_400000_NS6detail17trampoline_kernelINS0_14default_configENS1_36segmented_radix_sort_config_selectorIhlEEZNS1_25segmented_radix_sort_implIS3_Lb1EPKhPhPKlPlN2at6native12_GLOBAL__N_18offset_tEEE10hipError_tPvRmT1_PNSt15iterator_traitsISK_E10value_typeET2_T3_PNSL_ISQ_E10value_typeET4_jRbjT5_SW_jjP12ihipStream_tbEUlT_E_NS1_11comp_targetILNS1_3genE5ELNS1_11target_archE942ELNS1_3gpuE9ELNS1_3repE0EEENS1_30default_config_static_selectorELNS0_4arch9wavefront6targetE0EEEvSK_
; %bb.0:
	.section	.rodata,"a",@progbits
	.p2align	6, 0x0
	.amdhsa_kernel _ZN7rocprim17ROCPRIM_400000_NS6detail17trampoline_kernelINS0_14default_configENS1_36segmented_radix_sort_config_selectorIhlEEZNS1_25segmented_radix_sort_implIS3_Lb1EPKhPhPKlPlN2at6native12_GLOBAL__N_18offset_tEEE10hipError_tPvRmT1_PNSt15iterator_traitsISK_E10value_typeET2_T3_PNSL_ISQ_E10value_typeET4_jRbjT5_SW_jjP12ihipStream_tbEUlT_E_NS1_11comp_targetILNS1_3genE5ELNS1_11target_archE942ELNS1_3gpuE9ELNS1_3repE0EEENS1_30default_config_static_selectorELNS0_4arch9wavefront6targetE0EEEvSK_
		.amdhsa_group_segment_fixed_size 0
		.amdhsa_private_segment_fixed_size 0
		.amdhsa_kernarg_size 96
		.amdhsa_user_sgpr_count 2
		.amdhsa_user_sgpr_dispatch_ptr 0
		.amdhsa_user_sgpr_queue_ptr 0
		.amdhsa_user_sgpr_kernarg_segment_ptr 1
		.amdhsa_user_sgpr_dispatch_id 0
		.amdhsa_user_sgpr_private_segment_size 0
		.amdhsa_wavefront_size32 1
		.amdhsa_uses_dynamic_stack 0
		.amdhsa_enable_private_segment 0
		.amdhsa_system_sgpr_workgroup_id_x 1
		.amdhsa_system_sgpr_workgroup_id_y 0
		.amdhsa_system_sgpr_workgroup_id_z 0
		.amdhsa_system_sgpr_workgroup_info 0
		.amdhsa_system_vgpr_workitem_id 0
		.amdhsa_next_free_vgpr 1
		.amdhsa_next_free_sgpr 1
		.amdhsa_reserve_vcc 0
		.amdhsa_float_round_mode_32 0
		.amdhsa_float_round_mode_16_64 0
		.amdhsa_float_denorm_mode_32 3
		.amdhsa_float_denorm_mode_16_64 3
		.amdhsa_fp16_overflow 0
		.amdhsa_workgroup_processor_mode 1
		.amdhsa_memory_ordered 1
		.amdhsa_forward_progress 1
		.amdhsa_inst_pref_size 0
		.amdhsa_round_robin_scheduling 0
		.amdhsa_exception_fp_ieee_invalid_op 0
		.amdhsa_exception_fp_denorm_src 0
		.amdhsa_exception_fp_ieee_div_zero 0
		.amdhsa_exception_fp_ieee_overflow 0
		.amdhsa_exception_fp_ieee_underflow 0
		.amdhsa_exception_fp_ieee_inexact 0
		.amdhsa_exception_int_div_zero 0
	.end_amdhsa_kernel
	.section	.text._ZN7rocprim17ROCPRIM_400000_NS6detail17trampoline_kernelINS0_14default_configENS1_36segmented_radix_sort_config_selectorIhlEEZNS1_25segmented_radix_sort_implIS3_Lb1EPKhPhPKlPlN2at6native12_GLOBAL__N_18offset_tEEE10hipError_tPvRmT1_PNSt15iterator_traitsISK_E10value_typeET2_T3_PNSL_ISQ_E10value_typeET4_jRbjT5_SW_jjP12ihipStream_tbEUlT_E_NS1_11comp_targetILNS1_3genE5ELNS1_11target_archE942ELNS1_3gpuE9ELNS1_3repE0EEENS1_30default_config_static_selectorELNS0_4arch9wavefront6targetE0EEEvSK_,"axG",@progbits,_ZN7rocprim17ROCPRIM_400000_NS6detail17trampoline_kernelINS0_14default_configENS1_36segmented_radix_sort_config_selectorIhlEEZNS1_25segmented_radix_sort_implIS3_Lb1EPKhPhPKlPlN2at6native12_GLOBAL__N_18offset_tEEE10hipError_tPvRmT1_PNSt15iterator_traitsISK_E10value_typeET2_T3_PNSL_ISQ_E10value_typeET4_jRbjT5_SW_jjP12ihipStream_tbEUlT_E_NS1_11comp_targetILNS1_3genE5ELNS1_11target_archE942ELNS1_3gpuE9ELNS1_3repE0EEENS1_30default_config_static_selectorELNS0_4arch9wavefront6targetE0EEEvSK_,comdat
.Lfunc_end84:
	.size	_ZN7rocprim17ROCPRIM_400000_NS6detail17trampoline_kernelINS0_14default_configENS1_36segmented_radix_sort_config_selectorIhlEEZNS1_25segmented_radix_sort_implIS3_Lb1EPKhPhPKlPlN2at6native12_GLOBAL__N_18offset_tEEE10hipError_tPvRmT1_PNSt15iterator_traitsISK_E10value_typeET2_T3_PNSL_ISQ_E10value_typeET4_jRbjT5_SW_jjP12ihipStream_tbEUlT_E_NS1_11comp_targetILNS1_3genE5ELNS1_11target_archE942ELNS1_3gpuE9ELNS1_3repE0EEENS1_30default_config_static_selectorELNS0_4arch9wavefront6targetE0EEEvSK_, .Lfunc_end84-_ZN7rocprim17ROCPRIM_400000_NS6detail17trampoline_kernelINS0_14default_configENS1_36segmented_radix_sort_config_selectorIhlEEZNS1_25segmented_radix_sort_implIS3_Lb1EPKhPhPKlPlN2at6native12_GLOBAL__N_18offset_tEEE10hipError_tPvRmT1_PNSt15iterator_traitsISK_E10value_typeET2_T3_PNSL_ISQ_E10value_typeET4_jRbjT5_SW_jjP12ihipStream_tbEUlT_E_NS1_11comp_targetILNS1_3genE5ELNS1_11target_archE942ELNS1_3gpuE9ELNS1_3repE0EEENS1_30default_config_static_selectorELNS0_4arch9wavefront6targetE0EEEvSK_
                                        ; -- End function
	.set _ZN7rocprim17ROCPRIM_400000_NS6detail17trampoline_kernelINS0_14default_configENS1_36segmented_radix_sort_config_selectorIhlEEZNS1_25segmented_radix_sort_implIS3_Lb1EPKhPhPKlPlN2at6native12_GLOBAL__N_18offset_tEEE10hipError_tPvRmT1_PNSt15iterator_traitsISK_E10value_typeET2_T3_PNSL_ISQ_E10value_typeET4_jRbjT5_SW_jjP12ihipStream_tbEUlT_E_NS1_11comp_targetILNS1_3genE5ELNS1_11target_archE942ELNS1_3gpuE9ELNS1_3repE0EEENS1_30default_config_static_selectorELNS0_4arch9wavefront6targetE0EEEvSK_.num_vgpr, 0
	.set _ZN7rocprim17ROCPRIM_400000_NS6detail17trampoline_kernelINS0_14default_configENS1_36segmented_radix_sort_config_selectorIhlEEZNS1_25segmented_radix_sort_implIS3_Lb1EPKhPhPKlPlN2at6native12_GLOBAL__N_18offset_tEEE10hipError_tPvRmT1_PNSt15iterator_traitsISK_E10value_typeET2_T3_PNSL_ISQ_E10value_typeET4_jRbjT5_SW_jjP12ihipStream_tbEUlT_E_NS1_11comp_targetILNS1_3genE5ELNS1_11target_archE942ELNS1_3gpuE9ELNS1_3repE0EEENS1_30default_config_static_selectorELNS0_4arch9wavefront6targetE0EEEvSK_.num_agpr, 0
	.set _ZN7rocprim17ROCPRIM_400000_NS6detail17trampoline_kernelINS0_14default_configENS1_36segmented_radix_sort_config_selectorIhlEEZNS1_25segmented_radix_sort_implIS3_Lb1EPKhPhPKlPlN2at6native12_GLOBAL__N_18offset_tEEE10hipError_tPvRmT1_PNSt15iterator_traitsISK_E10value_typeET2_T3_PNSL_ISQ_E10value_typeET4_jRbjT5_SW_jjP12ihipStream_tbEUlT_E_NS1_11comp_targetILNS1_3genE5ELNS1_11target_archE942ELNS1_3gpuE9ELNS1_3repE0EEENS1_30default_config_static_selectorELNS0_4arch9wavefront6targetE0EEEvSK_.numbered_sgpr, 0
	.set _ZN7rocprim17ROCPRIM_400000_NS6detail17trampoline_kernelINS0_14default_configENS1_36segmented_radix_sort_config_selectorIhlEEZNS1_25segmented_radix_sort_implIS3_Lb1EPKhPhPKlPlN2at6native12_GLOBAL__N_18offset_tEEE10hipError_tPvRmT1_PNSt15iterator_traitsISK_E10value_typeET2_T3_PNSL_ISQ_E10value_typeET4_jRbjT5_SW_jjP12ihipStream_tbEUlT_E_NS1_11comp_targetILNS1_3genE5ELNS1_11target_archE942ELNS1_3gpuE9ELNS1_3repE0EEENS1_30default_config_static_selectorELNS0_4arch9wavefront6targetE0EEEvSK_.num_named_barrier, 0
	.set _ZN7rocprim17ROCPRIM_400000_NS6detail17trampoline_kernelINS0_14default_configENS1_36segmented_radix_sort_config_selectorIhlEEZNS1_25segmented_radix_sort_implIS3_Lb1EPKhPhPKlPlN2at6native12_GLOBAL__N_18offset_tEEE10hipError_tPvRmT1_PNSt15iterator_traitsISK_E10value_typeET2_T3_PNSL_ISQ_E10value_typeET4_jRbjT5_SW_jjP12ihipStream_tbEUlT_E_NS1_11comp_targetILNS1_3genE5ELNS1_11target_archE942ELNS1_3gpuE9ELNS1_3repE0EEENS1_30default_config_static_selectorELNS0_4arch9wavefront6targetE0EEEvSK_.private_seg_size, 0
	.set _ZN7rocprim17ROCPRIM_400000_NS6detail17trampoline_kernelINS0_14default_configENS1_36segmented_radix_sort_config_selectorIhlEEZNS1_25segmented_radix_sort_implIS3_Lb1EPKhPhPKlPlN2at6native12_GLOBAL__N_18offset_tEEE10hipError_tPvRmT1_PNSt15iterator_traitsISK_E10value_typeET2_T3_PNSL_ISQ_E10value_typeET4_jRbjT5_SW_jjP12ihipStream_tbEUlT_E_NS1_11comp_targetILNS1_3genE5ELNS1_11target_archE942ELNS1_3gpuE9ELNS1_3repE0EEENS1_30default_config_static_selectorELNS0_4arch9wavefront6targetE0EEEvSK_.uses_vcc, 0
	.set _ZN7rocprim17ROCPRIM_400000_NS6detail17trampoline_kernelINS0_14default_configENS1_36segmented_radix_sort_config_selectorIhlEEZNS1_25segmented_radix_sort_implIS3_Lb1EPKhPhPKlPlN2at6native12_GLOBAL__N_18offset_tEEE10hipError_tPvRmT1_PNSt15iterator_traitsISK_E10value_typeET2_T3_PNSL_ISQ_E10value_typeET4_jRbjT5_SW_jjP12ihipStream_tbEUlT_E_NS1_11comp_targetILNS1_3genE5ELNS1_11target_archE942ELNS1_3gpuE9ELNS1_3repE0EEENS1_30default_config_static_selectorELNS0_4arch9wavefront6targetE0EEEvSK_.uses_flat_scratch, 0
	.set _ZN7rocprim17ROCPRIM_400000_NS6detail17trampoline_kernelINS0_14default_configENS1_36segmented_radix_sort_config_selectorIhlEEZNS1_25segmented_radix_sort_implIS3_Lb1EPKhPhPKlPlN2at6native12_GLOBAL__N_18offset_tEEE10hipError_tPvRmT1_PNSt15iterator_traitsISK_E10value_typeET2_T3_PNSL_ISQ_E10value_typeET4_jRbjT5_SW_jjP12ihipStream_tbEUlT_E_NS1_11comp_targetILNS1_3genE5ELNS1_11target_archE942ELNS1_3gpuE9ELNS1_3repE0EEENS1_30default_config_static_selectorELNS0_4arch9wavefront6targetE0EEEvSK_.has_dyn_sized_stack, 0
	.set _ZN7rocprim17ROCPRIM_400000_NS6detail17trampoline_kernelINS0_14default_configENS1_36segmented_radix_sort_config_selectorIhlEEZNS1_25segmented_radix_sort_implIS3_Lb1EPKhPhPKlPlN2at6native12_GLOBAL__N_18offset_tEEE10hipError_tPvRmT1_PNSt15iterator_traitsISK_E10value_typeET2_T3_PNSL_ISQ_E10value_typeET4_jRbjT5_SW_jjP12ihipStream_tbEUlT_E_NS1_11comp_targetILNS1_3genE5ELNS1_11target_archE942ELNS1_3gpuE9ELNS1_3repE0EEENS1_30default_config_static_selectorELNS0_4arch9wavefront6targetE0EEEvSK_.has_recursion, 0
	.set _ZN7rocprim17ROCPRIM_400000_NS6detail17trampoline_kernelINS0_14default_configENS1_36segmented_radix_sort_config_selectorIhlEEZNS1_25segmented_radix_sort_implIS3_Lb1EPKhPhPKlPlN2at6native12_GLOBAL__N_18offset_tEEE10hipError_tPvRmT1_PNSt15iterator_traitsISK_E10value_typeET2_T3_PNSL_ISQ_E10value_typeET4_jRbjT5_SW_jjP12ihipStream_tbEUlT_E_NS1_11comp_targetILNS1_3genE5ELNS1_11target_archE942ELNS1_3gpuE9ELNS1_3repE0EEENS1_30default_config_static_selectorELNS0_4arch9wavefront6targetE0EEEvSK_.has_indirect_call, 0
	.section	.AMDGPU.csdata,"",@progbits
; Kernel info:
; codeLenInByte = 0
; TotalNumSgprs: 0
; NumVgprs: 0
; ScratchSize: 0
; MemoryBound: 0
; FloatMode: 240
; IeeeMode: 1
; LDSByteSize: 0 bytes/workgroup (compile time only)
; SGPRBlocks: 0
; VGPRBlocks: 0
; NumSGPRsForWavesPerEU: 1
; NumVGPRsForWavesPerEU: 1
; Occupancy: 16
; WaveLimiterHint : 0
; COMPUTE_PGM_RSRC2:SCRATCH_EN: 0
; COMPUTE_PGM_RSRC2:USER_SGPR: 2
; COMPUTE_PGM_RSRC2:TRAP_HANDLER: 0
; COMPUTE_PGM_RSRC2:TGID_X_EN: 1
; COMPUTE_PGM_RSRC2:TGID_Y_EN: 0
; COMPUTE_PGM_RSRC2:TGID_Z_EN: 0
; COMPUTE_PGM_RSRC2:TIDIG_COMP_CNT: 0
	.section	.text._ZN7rocprim17ROCPRIM_400000_NS6detail17trampoline_kernelINS0_14default_configENS1_36segmented_radix_sort_config_selectorIhlEEZNS1_25segmented_radix_sort_implIS3_Lb1EPKhPhPKlPlN2at6native12_GLOBAL__N_18offset_tEEE10hipError_tPvRmT1_PNSt15iterator_traitsISK_E10value_typeET2_T3_PNSL_ISQ_E10value_typeET4_jRbjT5_SW_jjP12ihipStream_tbEUlT_E_NS1_11comp_targetILNS1_3genE4ELNS1_11target_archE910ELNS1_3gpuE8ELNS1_3repE0EEENS1_30default_config_static_selectorELNS0_4arch9wavefront6targetE0EEEvSK_,"axG",@progbits,_ZN7rocprim17ROCPRIM_400000_NS6detail17trampoline_kernelINS0_14default_configENS1_36segmented_radix_sort_config_selectorIhlEEZNS1_25segmented_radix_sort_implIS3_Lb1EPKhPhPKlPlN2at6native12_GLOBAL__N_18offset_tEEE10hipError_tPvRmT1_PNSt15iterator_traitsISK_E10value_typeET2_T3_PNSL_ISQ_E10value_typeET4_jRbjT5_SW_jjP12ihipStream_tbEUlT_E_NS1_11comp_targetILNS1_3genE4ELNS1_11target_archE910ELNS1_3gpuE8ELNS1_3repE0EEENS1_30default_config_static_selectorELNS0_4arch9wavefront6targetE0EEEvSK_,comdat
	.globl	_ZN7rocprim17ROCPRIM_400000_NS6detail17trampoline_kernelINS0_14default_configENS1_36segmented_radix_sort_config_selectorIhlEEZNS1_25segmented_radix_sort_implIS3_Lb1EPKhPhPKlPlN2at6native12_GLOBAL__N_18offset_tEEE10hipError_tPvRmT1_PNSt15iterator_traitsISK_E10value_typeET2_T3_PNSL_ISQ_E10value_typeET4_jRbjT5_SW_jjP12ihipStream_tbEUlT_E_NS1_11comp_targetILNS1_3genE4ELNS1_11target_archE910ELNS1_3gpuE8ELNS1_3repE0EEENS1_30default_config_static_selectorELNS0_4arch9wavefront6targetE0EEEvSK_ ; -- Begin function _ZN7rocprim17ROCPRIM_400000_NS6detail17trampoline_kernelINS0_14default_configENS1_36segmented_radix_sort_config_selectorIhlEEZNS1_25segmented_radix_sort_implIS3_Lb1EPKhPhPKlPlN2at6native12_GLOBAL__N_18offset_tEEE10hipError_tPvRmT1_PNSt15iterator_traitsISK_E10value_typeET2_T3_PNSL_ISQ_E10value_typeET4_jRbjT5_SW_jjP12ihipStream_tbEUlT_E_NS1_11comp_targetILNS1_3genE4ELNS1_11target_archE910ELNS1_3gpuE8ELNS1_3repE0EEENS1_30default_config_static_selectorELNS0_4arch9wavefront6targetE0EEEvSK_
	.p2align	8
	.type	_ZN7rocprim17ROCPRIM_400000_NS6detail17trampoline_kernelINS0_14default_configENS1_36segmented_radix_sort_config_selectorIhlEEZNS1_25segmented_radix_sort_implIS3_Lb1EPKhPhPKlPlN2at6native12_GLOBAL__N_18offset_tEEE10hipError_tPvRmT1_PNSt15iterator_traitsISK_E10value_typeET2_T3_PNSL_ISQ_E10value_typeET4_jRbjT5_SW_jjP12ihipStream_tbEUlT_E_NS1_11comp_targetILNS1_3genE4ELNS1_11target_archE910ELNS1_3gpuE8ELNS1_3repE0EEENS1_30default_config_static_selectorELNS0_4arch9wavefront6targetE0EEEvSK_,@function
_ZN7rocprim17ROCPRIM_400000_NS6detail17trampoline_kernelINS0_14default_configENS1_36segmented_radix_sort_config_selectorIhlEEZNS1_25segmented_radix_sort_implIS3_Lb1EPKhPhPKlPlN2at6native12_GLOBAL__N_18offset_tEEE10hipError_tPvRmT1_PNSt15iterator_traitsISK_E10value_typeET2_T3_PNSL_ISQ_E10value_typeET4_jRbjT5_SW_jjP12ihipStream_tbEUlT_E_NS1_11comp_targetILNS1_3genE4ELNS1_11target_archE910ELNS1_3gpuE8ELNS1_3repE0EEENS1_30default_config_static_selectorELNS0_4arch9wavefront6targetE0EEEvSK_: ; @_ZN7rocprim17ROCPRIM_400000_NS6detail17trampoline_kernelINS0_14default_configENS1_36segmented_radix_sort_config_selectorIhlEEZNS1_25segmented_radix_sort_implIS3_Lb1EPKhPhPKlPlN2at6native12_GLOBAL__N_18offset_tEEE10hipError_tPvRmT1_PNSt15iterator_traitsISK_E10value_typeET2_T3_PNSL_ISQ_E10value_typeET4_jRbjT5_SW_jjP12ihipStream_tbEUlT_E_NS1_11comp_targetILNS1_3genE4ELNS1_11target_archE910ELNS1_3gpuE8ELNS1_3repE0EEENS1_30default_config_static_selectorELNS0_4arch9wavefront6targetE0EEEvSK_
; %bb.0:
	.section	.rodata,"a",@progbits
	.p2align	6, 0x0
	.amdhsa_kernel _ZN7rocprim17ROCPRIM_400000_NS6detail17trampoline_kernelINS0_14default_configENS1_36segmented_radix_sort_config_selectorIhlEEZNS1_25segmented_radix_sort_implIS3_Lb1EPKhPhPKlPlN2at6native12_GLOBAL__N_18offset_tEEE10hipError_tPvRmT1_PNSt15iterator_traitsISK_E10value_typeET2_T3_PNSL_ISQ_E10value_typeET4_jRbjT5_SW_jjP12ihipStream_tbEUlT_E_NS1_11comp_targetILNS1_3genE4ELNS1_11target_archE910ELNS1_3gpuE8ELNS1_3repE0EEENS1_30default_config_static_selectorELNS0_4arch9wavefront6targetE0EEEvSK_
		.amdhsa_group_segment_fixed_size 0
		.amdhsa_private_segment_fixed_size 0
		.amdhsa_kernarg_size 96
		.amdhsa_user_sgpr_count 2
		.amdhsa_user_sgpr_dispatch_ptr 0
		.amdhsa_user_sgpr_queue_ptr 0
		.amdhsa_user_sgpr_kernarg_segment_ptr 1
		.amdhsa_user_sgpr_dispatch_id 0
		.amdhsa_user_sgpr_private_segment_size 0
		.amdhsa_wavefront_size32 1
		.amdhsa_uses_dynamic_stack 0
		.amdhsa_enable_private_segment 0
		.amdhsa_system_sgpr_workgroup_id_x 1
		.amdhsa_system_sgpr_workgroup_id_y 0
		.amdhsa_system_sgpr_workgroup_id_z 0
		.amdhsa_system_sgpr_workgroup_info 0
		.amdhsa_system_vgpr_workitem_id 0
		.amdhsa_next_free_vgpr 1
		.amdhsa_next_free_sgpr 1
		.amdhsa_reserve_vcc 0
		.amdhsa_float_round_mode_32 0
		.amdhsa_float_round_mode_16_64 0
		.amdhsa_float_denorm_mode_32 3
		.amdhsa_float_denorm_mode_16_64 3
		.amdhsa_fp16_overflow 0
		.amdhsa_workgroup_processor_mode 1
		.amdhsa_memory_ordered 1
		.amdhsa_forward_progress 1
		.amdhsa_inst_pref_size 0
		.amdhsa_round_robin_scheduling 0
		.amdhsa_exception_fp_ieee_invalid_op 0
		.amdhsa_exception_fp_denorm_src 0
		.amdhsa_exception_fp_ieee_div_zero 0
		.amdhsa_exception_fp_ieee_overflow 0
		.amdhsa_exception_fp_ieee_underflow 0
		.amdhsa_exception_fp_ieee_inexact 0
		.amdhsa_exception_int_div_zero 0
	.end_amdhsa_kernel
	.section	.text._ZN7rocprim17ROCPRIM_400000_NS6detail17trampoline_kernelINS0_14default_configENS1_36segmented_radix_sort_config_selectorIhlEEZNS1_25segmented_radix_sort_implIS3_Lb1EPKhPhPKlPlN2at6native12_GLOBAL__N_18offset_tEEE10hipError_tPvRmT1_PNSt15iterator_traitsISK_E10value_typeET2_T3_PNSL_ISQ_E10value_typeET4_jRbjT5_SW_jjP12ihipStream_tbEUlT_E_NS1_11comp_targetILNS1_3genE4ELNS1_11target_archE910ELNS1_3gpuE8ELNS1_3repE0EEENS1_30default_config_static_selectorELNS0_4arch9wavefront6targetE0EEEvSK_,"axG",@progbits,_ZN7rocprim17ROCPRIM_400000_NS6detail17trampoline_kernelINS0_14default_configENS1_36segmented_radix_sort_config_selectorIhlEEZNS1_25segmented_radix_sort_implIS3_Lb1EPKhPhPKlPlN2at6native12_GLOBAL__N_18offset_tEEE10hipError_tPvRmT1_PNSt15iterator_traitsISK_E10value_typeET2_T3_PNSL_ISQ_E10value_typeET4_jRbjT5_SW_jjP12ihipStream_tbEUlT_E_NS1_11comp_targetILNS1_3genE4ELNS1_11target_archE910ELNS1_3gpuE8ELNS1_3repE0EEENS1_30default_config_static_selectorELNS0_4arch9wavefront6targetE0EEEvSK_,comdat
.Lfunc_end85:
	.size	_ZN7rocprim17ROCPRIM_400000_NS6detail17trampoline_kernelINS0_14default_configENS1_36segmented_radix_sort_config_selectorIhlEEZNS1_25segmented_radix_sort_implIS3_Lb1EPKhPhPKlPlN2at6native12_GLOBAL__N_18offset_tEEE10hipError_tPvRmT1_PNSt15iterator_traitsISK_E10value_typeET2_T3_PNSL_ISQ_E10value_typeET4_jRbjT5_SW_jjP12ihipStream_tbEUlT_E_NS1_11comp_targetILNS1_3genE4ELNS1_11target_archE910ELNS1_3gpuE8ELNS1_3repE0EEENS1_30default_config_static_selectorELNS0_4arch9wavefront6targetE0EEEvSK_, .Lfunc_end85-_ZN7rocprim17ROCPRIM_400000_NS6detail17trampoline_kernelINS0_14default_configENS1_36segmented_radix_sort_config_selectorIhlEEZNS1_25segmented_radix_sort_implIS3_Lb1EPKhPhPKlPlN2at6native12_GLOBAL__N_18offset_tEEE10hipError_tPvRmT1_PNSt15iterator_traitsISK_E10value_typeET2_T3_PNSL_ISQ_E10value_typeET4_jRbjT5_SW_jjP12ihipStream_tbEUlT_E_NS1_11comp_targetILNS1_3genE4ELNS1_11target_archE910ELNS1_3gpuE8ELNS1_3repE0EEENS1_30default_config_static_selectorELNS0_4arch9wavefront6targetE0EEEvSK_
                                        ; -- End function
	.set _ZN7rocprim17ROCPRIM_400000_NS6detail17trampoline_kernelINS0_14default_configENS1_36segmented_radix_sort_config_selectorIhlEEZNS1_25segmented_radix_sort_implIS3_Lb1EPKhPhPKlPlN2at6native12_GLOBAL__N_18offset_tEEE10hipError_tPvRmT1_PNSt15iterator_traitsISK_E10value_typeET2_T3_PNSL_ISQ_E10value_typeET4_jRbjT5_SW_jjP12ihipStream_tbEUlT_E_NS1_11comp_targetILNS1_3genE4ELNS1_11target_archE910ELNS1_3gpuE8ELNS1_3repE0EEENS1_30default_config_static_selectorELNS0_4arch9wavefront6targetE0EEEvSK_.num_vgpr, 0
	.set _ZN7rocprim17ROCPRIM_400000_NS6detail17trampoline_kernelINS0_14default_configENS1_36segmented_radix_sort_config_selectorIhlEEZNS1_25segmented_radix_sort_implIS3_Lb1EPKhPhPKlPlN2at6native12_GLOBAL__N_18offset_tEEE10hipError_tPvRmT1_PNSt15iterator_traitsISK_E10value_typeET2_T3_PNSL_ISQ_E10value_typeET4_jRbjT5_SW_jjP12ihipStream_tbEUlT_E_NS1_11comp_targetILNS1_3genE4ELNS1_11target_archE910ELNS1_3gpuE8ELNS1_3repE0EEENS1_30default_config_static_selectorELNS0_4arch9wavefront6targetE0EEEvSK_.num_agpr, 0
	.set _ZN7rocprim17ROCPRIM_400000_NS6detail17trampoline_kernelINS0_14default_configENS1_36segmented_radix_sort_config_selectorIhlEEZNS1_25segmented_radix_sort_implIS3_Lb1EPKhPhPKlPlN2at6native12_GLOBAL__N_18offset_tEEE10hipError_tPvRmT1_PNSt15iterator_traitsISK_E10value_typeET2_T3_PNSL_ISQ_E10value_typeET4_jRbjT5_SW_jjP12ihipStream_tbEUlT_E_NS1_11comp_targetILNS1_3genE4ELNS1_11target_archE910ELNS1_3gpuE8ELNS1_3repE0EEENS1_30default_config_static_selectorELNS0_4arch9wavefront6targetE0EEEvSK_.numbered_sgpr, 0
	.set _ZN7rocprim17ROCPRIM_400000_NS6detail17trampoline_kernelINS0_14default_configENS1_36segmented_radix_sort_config_selectorIhlEEZNS1_25segmented_radix_sort_implIS3_Lb1EPKhPhPKlPlN2at6native12_GLOBAL__N_18offset_tEEE10hipError_tPvRmT1_PNSt15iterator_traitsISK_E10value_typeET2_T3_PNSL_ISQ_E10value_typeET4_jRbjT5_SW_jjP12ihipStream_tbEUlT_E_NS1_11comp_targetILNS1_3genE4ELNS1_11target_archE910ELNS1_3gpuE8ELNS1_3repE0EEENS1_30default_config_static_selectorELNS0_4arch9wavefront6targetE0EEEvSK_.num_named_barrier, 0
	.set _ZN7rocprim17ROCPRIM_400000_NS6detail17trampoline_kernelINS0_14default_configENS1_36segmented_radix_sort_config_selectorIhlEEZNS1_25segmented_radix_sort_implIS3_Lb1EPKhPhPKlPlN2at6native12_GLOBAL__N_18offset_tEEE10hipError_tPvRmT1_PNSt15iterator_traitsISK_E10value_typeET2_T3_PNSL_ISQ_E10value_typeET4_jRbjT5_SW_jjP12ihipStream_tbEUlT_E_NS1_11comp_targetILNS1_3genE4ELNS1_11target_archE910ELNS1_3gpuE8ELNS1_3repE0EEENS1_30default_config_static_selectorELNS0_4arch9wavefront6targetE0EEEvSK_.private_seg_size, 0
	.set _ZN7rocprim17ROCPRIM_400000_NS6detail17trampoline_kernelINS0_14default_configENS1_36segmented_radix_sort_config_selectorIhlEEZNS1_25segmented_radix_sort_implIS3_Lb1EPKhPhPKlPlN2at6native12_GLOBAL__N_18offset_tEEE10hipError_tPvRmT1_PNSt15iterator_traitsISK_E10value_typeET2_T3_PNSL_ISQ_E10value_typeET4_jRbjT5_SW_jjP12ihipStream_tbEUlT_E_NS1_11comp_targetILNS1_3genE4ELNS1_11target_archE910ELNS1_3gpuE8ELNS1_3repE0EEENS1_30default_config_static_selectorELNS0_4arch9wavefront6targetE0EEEvSK_.uses_vcc, 0
	.set _ZN7rocprim17ROCPRIM_400000_NS6detail17trampoline_kernelINS0_14default_configENS1_36segmented_radix_sort_config_selectorIhlEEZNS1_25segmented_radix_sort_implIS3_Lb1EPKhPhPKlPlN2at6native12_GLOBAL__N_18offset_tEEE10hipError_tPvRmT1_PNSt15iterator_traitsISK_E10value_typeET2_T3_PNSL_ISQ_E10value_typeET4_jRbjT5_SW_jjP12ihipStream_tbEUlT_E_NS1_11comp_targetILNS1_3genE4ELNS1_11target_archE910ELNS1_3gpuE8ELNS1_3repE0EEENS1_30default_config_static_selectorELNS0_4arch9wavefront6targetE0EEEvSK_.uses_flat_scratch, 0
	.set _ZN7rocprim17ROCPRIM_400000_NS6detail17trampoline_kernelINS0_14default_configENS1_36segmented_radix_sort_config_selectorIhlEEZNS1_25segmented_radix_sort_implIS3_Lb1EPKhPhPKlPlN2at6native12_GLOBAL__N_18offset_tEEE10hipError_tPvRmT1_PNSt15iterator_traitsISK_E10value_typeET2_T3_PNSL_ISQ_E10value_typeET4_jRbjT5_SW_jjP12ihipStream_tbEUlT_E_NS1_11comp_targetILNS1_3genE4ELNS1_11target_archE910ELNS1_3gpuE8ELNS1_3repE0EEENS1_30default_config_static_selectorELNS0_4arch9wavefront6targetE0EEEvSK_.has_dyn_sized_stack, 0
	.set _ZN7rocprim17ROCPRIM_400000_NS6detail17trampoline_kernelINS0_14default_configENS1_36segmented_radix_sort_config_selectorIhlEEZNS1_25segmented_radix_sort_implIS3_Lb1EPKhPhPKlPlN2at6native12_GLOBAL__N_18offset_tEEE10hipError_tPvRmT1_PNSt15iterator_traitsISK_E10value_typeET2_T3_PNSL_ISQ_E10value_typeET4_jRbjT5_SW_jjP12ihipStream_tbEUlT_E_NS1_11comp_targetILNS1_3genE4ELNS1_11target_archE910ELNS1_3gpuE8ELNS1_3repE0EEENS1_30default_config_static_selectorELNS0_4arch9wavefront6targetE0EEEvSK_.has_recursion, 0
	.set _ZN7rocprim17ROCPRIM_400000_NS6detail17trampoline_kernelINS0_14default_configENS1_36segmented_radix_sort_config_selectorIhlEEZNS1_25segmented_radix_sort_implIS3_Lb1EPKhPhPKlPlN2at6native12_GLOBAL__N_18offset_tEEE10hipError_tPvRmT1_PNSt15iterator_traitsISK_E10value_typeET2_T3_PNSL_ISQ_E10value_typeET4_jRbjT5_SW_jjP12ihipStream_tbEUlT_E_NS1_11comp_targetILNS1_3genE4ELNS1_11target_archE910ELNS1_3gpuE8ELNS1_3repE0EEENS1_30default_config_static_selectorELNS0_4arch9wavefront6targetE0EEEvSK_.has_indirect_call, 0
	.section	.AMDGPU.csdata,"",@progbits
; Kernel info:
; codeLenInByte = 0
; TotalNumSgprs: 0
; NumVgprs: 0
; ScratchSize: 0
; MemoryBound: 0
; FloatMode: 240
; IeeeMode: 1
; LDSByteSize: 0 bytes/workgroup (compile time only)
; SGPRBlocks: 0
; VGPRBlocks: 0
; NumSGPRsForWavesPerEU: 1
; NumVGPRsForWavesPerEU: 1
; Occupancy: 16
; WaveLimiterHint : 0
; COMPUTE_PGM_RSRC2:SCRATCH_EN: 0
; COMPUTE_PGM_RSRC2:USER_SGPR: 2
; COMPUTE_PGM_RSRC2:TRAP_HANDLER: 0
; COMPUTE_PGM_RSRC2:TGID_X_EN: 1
; COMPUTE_PGM_RSRC2:TGID_Y_EN: 0
; COMPUTE_PGM_RSRC2:TGID_Z_EN: 0
; COMPUTE_PGM_RSRC2:TIDIG_COMP_CNT: 0
	.section	.text._ZN7rocprim17ROCPRIM_400000_NS6detail17trampoline_kernelINS0_14default_configENS1_36segmented_radix_sort_config_selectorIhlEEZNS1_25segmented_radix_sort_implIS3_Lb1EPKhPhPKlPlN2at6native12_GLOBAL__N_18offset_tEEE10hipError_tPvRmT1_PNSt15iterator_traitsISK_E10value_typeET2_T3_PNSL_ISQ_E10value_typeET4_jRbjT5_SW_jjP12ihipStream_tbEUlT_E_NS1_11comp_targetILNS1_3genE3ELNS1_11target_archE908ELNS1_3gpuE7ELNS1_3repE0EEENS1_30default_config_static_selectorELNS0_4arch9wavefront6targetE0EEEvSK_,"axG",@progbits,_ZN7rocprim17ROCPRIM_400000_NS6detail17trampoline_kernelINS0_14default_configENS1_36segmented_radix_sort_config_selectorIhlEEZNS1_25segmented_radix_sort_implIS3_Lb1EPKhPhPKlPlN2at6native12_GLOBAL__N_18offset_tEEE10hipError_tPvRmT1_PNSt15iterator_traitsISK_E10value_typeET2_T3_PNSL_ISQ_E10value_typeET4_jRbjT5_SW_jjP12ihipStream_tbEUlT_E_NS1_11comp_targetILNS1_3genE3ELNS1_11target_archE908ELNS1_3gpuE7ELNS1_3repE0EEENS1_30default_config_static_selectorELNS0_4arch9wavefront6targetE0EEEvSK_,comdat
	.globl	_ZN7rocprim17ROCPRIM_400000_NS6detail17trampoline_kernelINS0_14default_configENS1_36segmented_radix_sort_config_selectorIhlEEZNS1_25segmented_radix_sort_implIS3_Lb1EPKhPhPKlPlN2at6native12_GLOBAL__N_18offset_tEEE10hipError_tPvRmT1_PNSt15iterator_traitsISK_E10value_typeET2_T3_PNSL_ISQ_E10value_typeET4_jRbjT5_SW_jjP12ihipStream_tbEUlT_E_NS1_11comp_targetILNS1_3genE3ELNS1_11target_archE908ELNS1_3gpuE7ELNS1_3repE0EEENS1_30default_config_static_selectorELNS0_4arch9wavefront6targetE0EEEvSK_ ; -- Begin function _ZN7rocprim17ROCPRIM_400000_NS6detail17trampoline_kernelINS0_14default_configENS1_36segmented_radix_sort_config_selectorIhlEEZNS1_25segmented_radix_sort_implIS3_Lb1EPKhPhPKlPlN2at6native12_GLOBAL__N_18offset_tEEE10hipError_tPvRmT1_PNSt15iterator_traitsISK_E10value_typeET2_T3_PNSL_ISQ_E10value_typeET4_jRbjT5_SW_jjP12ihipStream_tbEUlT_E_NS1_11comp_targetILNS1_3genE3ELNS1_11target_archE908ELNS1_3gpuE7ELNS1_3repE0EEENS1_30default_config_static_selectorELNS0_4arch9wavefront6targetE0EEEvSK_
	.p2align	8
	.type	_ZN7rocprim17ROCPRIM_400000_NS6detail17trampoline_kernelINS0_14default_configENS1_36segmented_radix_sort_config_selectorIhlEEZNS1_25segmented_radix_sort_implIS3_Lb1EPKhPhPKlPlN2at6native12_GLOBAL__N_18offset_tEEE10hipError_tPvRmT1_PNSt15iterator_traitsISK_E10value_typeET2_T3_PNSL_ISQ_E10value_typeET4_jRbjT5_SW_jjP12ihipStream_tbEUlT_E_NS1_11comp_targetILNS1_3genE3ELNS1_11target_archE908ELNS1_3gpuE7ELNS1_3repE0EEENS1_30default_config_static_selectorELNS0_4arch9wavefront6targetE0EEEvSK_,@function
_ZN7rocprim17ROCPRIM_400000_NS6detail17trampoline_kernelINS0_14default_configENS1_36segmented_radix_sort_config_selectorIhlEEZNS1_25segmented_radix_sort_implIS3_Lb1EPKhPhPKlPlN2at6native12_GLOBAL__N_18offset_tEEE10hipError_tPvRmT1_PNSt15iterator_traitsISK_E10value_typeET2_T3_PNSL_ISQ_E10value_typeET4_jRbjT5_SW_jjP12ihipStream_tbEUlT_E_NS1_11comp_targetILNS1_3genE3ELNS1_11target_archE908ELNS1_3gpuE7ELNS1_3repE0EEENS1_30default_config_static_selectorELNS0_4arch9wavefront6targetE0EEEvSK_: ; @_ZN7rocprim17ROCPRIM_400000_NS6detail17trampoline_kernelINS0_14default_configENS1_36segmented_radix_sort_config_selectorIhlEEZNS1_25segmented_radix_sort_implIS3_Lb1EPKhPhPKlPlN2at6native12_GLOBAL__N_18offset_tEEE10hipError_tPvRmT1_PNSt15iterator_traitsISK_E10value_typeET2_T3_PNSL_ISQ_E10value_typeET4_jRbjT5_SW_jjP12ihipStream_tbEUlT_E_NS1_11comp_targetILNS1_3genE3ELNS1_11target_archE908ELNS1_3gpuE7ELNS1_3repE0EEENS1_30default_config_static_selectorELNS0_4arch9wavefront6targetE0EEEvSK_
; %bb.0:
	.section	.rodata,"a",@progbits
	.p2align	6, 0x0
	.amdhsa_kernel _ZN7rocprim17ROCPRIM_400000_NS6detail17trampoline_kernelINS0_14default_configENS1_36segmented_radix_sort_config_selectorIhlEEZNS1_25segmented_radix_sort_implIS3_Lb1EPKhPhPKlPlN2at6native12_GLOBAL__N_18offset_tEEE10hipError_tPvRmT1_PNSt15iterator_traitsISK_E10value_typeET2_T3_PNSL_ISQ_E10value_typeET4_jRbjT5_SW_jjP12ihipStream_tbEUlT_E_NS1_11comp_targetILNS1_3genE3ELNS1_11target_archE908ELNS1_3gpuE7ELNS1_3repE0EEENS1_30default_config_static_selectorELNS0_4arch9wavefront6targetE0EEEvSK_
		.amdhsa_group_segment_fixed_size 0
		.amdhsa_private_segment_fixed_size 0
		.amdhsa_kernarg_size 96
		.amdhsa_user_sgpr_count 2
		.amdhsa_user_sgpr_dispatch_ptr 0
		.amdhsa_user_sgpr_queue_ptr 0
		.amdhsa_user_sgpr_kernarg_segment_ptr 1
		.amdhsa_user_sgpr_dispatch_id 0
		.amdhsa_user_sgpr_private_segment_size 0
		.amdhsa_wavefront_size32 1
		.amdhsa_uses_dynamic_stack 0
		.amdhsa_enable_private_segment 0
		.amdhsa_system_sgpr_workgroup_id_x 1
		.amdhsa_system_sgpr_workgroup_id_y 0
		.amdhsa_system_sgpr_workgroup_id_z 0
		.amdhsa_system_sgpr_workgroup_info 0
		.amdhsa_system_vgpr_workitem_id 0
		.amdhsa_next_free_vgpr 1
		.amdhsa_next_free_sgpr 1
		.amdhsa_reserve_vcc 0
		.amdhsa_float_round_mode_32 0
		.amdhsa_float_round_mode_16_64 0
		.amdhsa_float_denorm_mode_32 3
		.amdhsa_float_denorm_mode_16_64 3
		.amdhsa_fp16_overflow 0
		.amdhsa_workgroup_processor_mode 1
		.amdhsa_memory_ordered 1
		.amdhsa_forward_progress 1
		.amdhsa_inst_pref_size 0
		.amdhsa_round_robin_scheduling 0
		.amdhsa_exception_fp_ieee_invalid_op 0
		.amdhsa_exception_fp_denorm_src 0
		.amdhsa_exception_fp_ieee_div_zero 0
		.amdhsa_exception_fp_ieee_overflow 0
		.amdhsa_exception_fp_ieee_underflow 0
		.amdhsa_exception_fp_ieee_inexact 0
		.amdhsa_exception_int_div_zero 0
	.end_amdhsa_kernel
	.section	.text._ZN7rocprim17ROCPRIM_400000_NS6detail17trampoline_kernelINS0_14default_configENS1_36segmented_radix_sort_config_selectorIhlEEZNS1_25segmented_radix_sort_implIS3_Lb1EPKhPhPKlPlN2at6native12_GLOBAL__N_18offset_tEEE10hipError_tPvRmT1_PNSt15iterator_traitsISK_E10value_typeET2_T3_PNSL_ISQ_E10value_typeET4_jRbjT5_SW_jjP12ihipStream_tbEUlT_E_NS1_11comp_targetILNS1_3genE3ELNS1_11target_archE908ELNS1_3gpuE7ELNS1_3repE0EEENS1_30default_config_static_selectorELNS0_4arch9wavefront6targetE0EEEvSK_,"axG",@progbits,_ZN7rocprim17ROCPRIM_400000_NS6detail17trampoline_kernelINS0_14default_configENS1_36segmented_radix_sort_config_selectorIhlEEZNS1_25segmented_radix_sort_implIS3_Lb1EPKhPhPKlPlN2at6native12_GLOBAL__N_18offset_tEEE10hipError_tPvRmT1_PNSt15iterator_traitsISK_E10value_typeET2_T3_PNSL_ISQ_E10value_typeET4_jRbjT5_SW_jjP12ihipStream_tbEUlT_E_NS1_11comp_targetILNS1_3genE3ELNS1_11target_archE908ELNS1_3gpuE7ELNS1_3repE0EEENS1_30default_config_static_selectorELNS0_4arch9wavefront6targetE0EEEvSK_,comdat
.Lfunc_end86:
	.size	_ZN7rocprim17ROCPRIM_400000_NS6detail17trampoline_kernelINS0_14default_configENS1_36segmented_radix_sort_config_selectorIhlEEZNS1_25segmented_radix_sort_implIS3_Lb1EPKhPhPKlPlN2at6native12_GLOBAL__N_18offset_tEEE10hipError_tPvRmT1_PNSt15iterator_traitsISK_E10value_typeET2_T3_PNSL_ISQ_E10value_typeET4_jRbjT5_SW_jjP12ihipStream_tbEUlT_E_NS1_11comp_targetILNS1_3genE3ELNS1_11target_archE908ELNS1_3gpuE7ELNS1_3repE0EEENS1_30default_config_static_selectorELNS0_4arch9wavefront6targetE0EEEvSK_, .Lfunc_end86-_ZN7rocprim17ROCPRIM_400000_NS6detail17trampoline_kernelINS0_14default_configENS1_36segmented_radix_sort_config_selectorIhlEEZNS1_25segmented_radix_sort_implIS3_Lb1EPKhPhPKlPlN2at6native12_GLOBAL__N_18offset_tEEE10hipError_tPvRmT1_PNSt15iterator_traitsISK_E10value_typeET2_T3_PNSL_ISQ_E10value_typeET4_jRbjT5_SW_jjP12ihipStream_tbEUlT_E_NS1_11comp_targetILNS1_3genE3ELNS1_11target_archE908ELNS1_3gpuE7ELNS1_3repE0EEENS1_30default_config_static_selectorELNS0_4arch9wavefront6targetE0EEEvSK_
                                        ; -- End function
	.set _ZN7rocprim17ROCPRIM_400000_NS6detail17trampoline_kernelINS0_14default_configENS1_36segmented_radix_sort_config_selectorIhlEEZNS1_25segmented_radix_sort_implIS3_Lb1EPKhPhPKlPlN2at6native12_GLOBAL__N_18offset_tEEE10hipError_tPvRmT1_PNSt15iterator_traitsISK_E10value_typeET2_T3_PNSL_ISQ_E10value_typeET4_jRbjT5_SW_jjP12ihipStream_tbEUlT_E_NS1_11comp_targetILNS1_3genE3ELNS1_11target_archE908ELNS1_3gpuE7ELNS1_3repE0EEENS1_30default_config_static_selectorELNS0_4arch9wavefront6targetE0EEEvSK_.num_vgpr, 0
	.set _ZN7rocprim17ROCPRIM_400000_NS6detail17trampoline_kernelINS0_14default_configENS1_36segmented_radix_sort_config_selectorIhlEEZNS1_25segmented_radix_sort_implIS3_Lb1EPKhPhPKlPlN2at6native12_GLOBAL__N_18offset_tEEE10hipError_tPvRmT1_PNSt15iterator_traitsISK_E10value_typeET2_T3_PNSL_ISQ_E10value_typeET4_jRbjT5_SW_jjP12ihipStream_tbEUlT_E_NS1_11comp_targetILNS1_3genE3ELNS1_11target_archE908ELNS1_3gpuE7ELNS1_3repE0EEENS1_30default_config_static_selectorELNS0_4arch9wavefront6targetE0EEEvSK_.num_agpr, 0
	.set _ZN7rocprim17ROCPRIM_400000_NS6detail17trampoline_kernelINS0_14default_configENS1_36segmented_radix_sort_config_selectorIhlEEZNS1_25segmented_radix_sort_implIS3_Lb1EPKhPhPKlPlN2at6native12_GLOBAL__N_18offset_tEEE10hipError_tPvRmT1_PNSt15iterator_traitsISK_E10value_typeET2_T3_PNSL_ISQ_E10value_typeET4_jRbjT5_SW_jjP12ihipStream_tbEUlT_E_NS1_11comp_targetILNS1_3genE3ELNS1_11target_archE908ELNS1_3gpuE7ELNS1_3repE0EEENS1_30default_config_static_selectorELNS0_4arch9wavefront6targetE0EEEvSK_.numbered_sgpr, 0
	.set _ZN7rocprim17ROCPRIM_400000_NS6detail17trampoline_kernelINS0_14default_configENS1_36segmented_radix_sort_config_selectorIhlEEZNS1_25segmented_radix_sort_implIS3_Lb1EPKhPhPKlPlN2at6native12_GLOBAL__N_18offset_tEEE10hipError_tPvRmT1_PNSt15iterator_traitsISK_E10value_typeET2_T3_PNSL_ISQ_E10value_typeET4_jRbjT5_SW_jjP12ihipStream_tbEUlT_E_NS1_11comp_targetILNS1_3genE3ELNS1_11target_archE908ELNS1_3gpuE7ELNS1_3repE0EEENS1_30default_config_static_selectorELNS0_4arch9wavefront6targetE0EEEvSK_.num_named_barrier, 0
	.set _ZN7rocprim17ROCPRIM_400000_NS6detail17trampoline_kernelINS0_14default_configENS1_36segmented_radix_sort_config_selectorIhlEEZNS1_25segmented_radix_sort_implIS3_Lb1EPKhPhPKlPlN2at6native12_GLOBAL__N_18offset_tEEE10hipError_tPvRmT1_PNSt15iterator_traitsISK_E10value_typeET2_T3_PNSL_ISQ_E10value_typeET4_jRbjT5_SW_jjP12ihipStream_tbEUlT_E_NS1_11comp_targetILNS1_3genE3ELNS1_11target_archE908ELNS1_3gpuE7ELNS1_3repE0EEENS1_30default_config_static_selectorELNS0_4arch9wavefront6targetE0EEEvSK_.private_seg_size, 0
	.set _ZN7rocprim17ROCPRIM_400000_NS6detail17trampoline_kernelINS0_14default_configENS1_36segmented_radix_sort_config_selectorIhlEEZNS1_25segmented_radix_sort_implIS3_Lb1EPKhPhPKlPlN2at6native12_GLOBAL__N_18offset_tEEE10hipError_tPvRmT1_PNSt15iterator_traitsISK_E10value_typeET2_T3_PNSL_ISQ_E10value_typeET4_jRbjT5_SW_jjP12ihipStream_tbEUlT_E_NS1_11comp_targetILNS1_3genE3ELNS1_11target_archE908ELNS1_3gpuE7ELNS1_3repE0EEENS1_30default_config_static_selectorELNS0_4arch9wavefront6targetE0EEEvSK_.uses_vcc, 0
	.set _ZN7rocprim17ROCPRIM_400000_NS6detail17trampoline_kernelINS0_14default_configENS1_36segmented_radix_sort_config_selectorIhlEEZNS1_25segmented_radix_sort_implIS3_Lb1EPKhPhPKlPlN2at6native12_GLOBAL__N_18offset_tEEE10hipError_tPvRmT1_PNSt15iterator_traitsISK_E10value_typeET2_T3_PNSL_ISQ_E10value_typeET4_jRbjT5_SW_jjP12ihipStream_tbEUlT_E_NS1_11comp_targetILNS1_3genE3ELNS1_11target_archE908ELNS1_3gpuE7ELNS1_3repE0EEENS1_30default_config_static_selectorELNS0_4arch9wavefront6targetE0EEEvSK_.uses_flat_scratch, 0
	.set _ZN7rocprim17ROCPRIM_400000_NS6detail17trampoline_kernelINS0_14default_configENS1_36segmented_radix_sort_config_selectorIhlEEZNS1_25segmented_radix_sort_implIS3_Lb1EPKhPhPKlPlN2at6native12_GLOBAL__N_18offset_tEEE10hipError_tPvRmT1_PNSt15iterator_traitsISK_E10value_typeET2_T3_PNSL_ISQ_E10value_typeET4_jRbjT5_SW_jjP12ihipStream_tbEUlT_E_NS1_11comp_targetILNS1_3genE3ELNS1_11target_archE908ELNS1_3gpuE7ELNS1_3repE0EEENS1_30default_config_static_selectorELNS0_4arch9wavefront6targetE0EEEvSK_.has_dyn_sized_stack, 0
	.set _ZN7rocprim17ROCPRIM_400000_NS6detail17trampoline_kernelINS0_14default_configENS1_36segmented_radix_sort_config_selectorIhlEEZNS1_25segmented_radix_sort_implIS3_Lb1EPKhPhPKlPlN2at6native12_GLOBAL__N_18offset_tEEE10hipError_tPvRmT1_PNSt15iterator_traitsISK_E10value_typeET2_T3_PNSL_ISQ_E10value_typeET4_jRbjT5_SW_jjP12ihipStream_tbEUlT_E_NS1_11comp_targetILNS1_3genE3ELNS1_11target_archE908ELNS1_3gpuE7ELNS1_3repE0EEENS1_30default_config_static_selectorELNS0_4arch9wavefront6targetE0EEEvSK_.has_recursion, 0
	.set _ZN7rocprim17ROCPRIM_400000_NS6detail17trampoline_kernelINS0_14default_configENS1_36segmented_radix_sort_config_selectorIhlEEZNS1_25segmented_radix_sort_implIS3_Lb1EPKhPhPKlPlN2at6native12_GLOBAL__N_18offset_tEEE10hipError_tPvRmT1_PNSt15iterator_traitsISK_E10value_typeET2_T3_PNSL_ISQ_E10value_typeET4_jRbjT5_SW_jjP12ihipStream_tbEUlT_E_NS1_11comp_targetILNS1_3genE3ELNS1_11target_archE908ELNS1_3gpuE7ELNS1_3repE0EEENS1_30default_config_static_selectorELNS0_4arch9wavefront6targetE0EEEvSK_.has_indirect_call, 0
	.section	.AMDGPU.csdata,"",@progbits
; Kernel info:
; codeLenInByte = 0
; TotalNumSgprs: 0
; NumVgprs: 0
; ScratchSize: 0
; MemoryBound: 0
; FloatMode: 240
; IeeeMode: 1
; LDSByteSize: 0 bytes/workgroup (compile time only)
; SGPRBlocks: 0
; VGPRBlocks: 0
; NumSGPRsForWavesPerEU: 1
; NumVGPRsForWavesPerEU: 1
; Occupancy: 16
; WaveLimiterHint : 0
; COMPUTE_PGM_RSRC2:SCRATCH_EN: 0
; COMPUTE_PGM_RSRC2:USER_SGPR: 2
; COMPUTE_PGM_RSRC2:TRAP_HANDLER: 0
; COMPUTE_PGM_RSRC2:TGID_X_EN: 1
; COMPUTE_PGM_RSRC2:TGID_Y_EN: 0
; COMPUTE_PGM_RSRC2:TGID_Z_EN: 0
; COMPUTE_PGM_RSRC2:TIDIG_COMP_CNT: 0
	.section	.text._ZN7rocprim17ROCPRIM_400000_NS6detail17trampoline_kernelINS0_14default_configENS1_36segmented_radix_sort_config_selectorIhlEEZNS1_25segmented_radix_sort_implIS3_Lb1EPKhPhPKlPlN2at6native12_GLOBAL__N_18offset_tEEE10hipError_tPvRmT1_PNSt15iterator_traitsISK_E10value_typeET2_T3_PNSL_ISQ_E10value_typeET4_jRbjT5_SW_jjP12ihipStream_tbEUlT_E_NS1_11comp_targetILNS1_3genE2ELNS1_11target_archE906ELNS1_3gpuE6ELNS1_3repE0EEENS1_30default_config_static_selectorELNS0_4arch9wavefront6targetE0EEEvSK_,"axG",@progbits,_ZN7rocprim17ROCPRIM_400000_NS6detail17trampoline_kernelINS0_14default_configENS1_36segmented_radix_sort_config_selectorIhlEEZNS1_25segmented_radix_sort_implIS3_Lb1EPKhPhPKlPlN2at6native12_GLOBAL__N_18offset_tEEE10hipError_tPvRmT1_PNSt15iterator_traitsISK_E10value_typeET2_T3_PNSL_ISQ_E10value_typeET4_jRbjT5_SW_jjP12ihipStream_tbEUlT_E_NS1_11comp_targetILNS1_3genE2ELNS1_11target_archE906ELNS1_3gpuE6ELNS1_3repE0EEENS1_30default_config_static_selectorELNS0_4arch9wavefront6targetE0EEEvSK_,comdat
	.globl	_ZN7rocprim17ROCPRIM_400000_NS6detail17trampoline_kernelINS0_14default_configENS1_36segmented_radix_sort_config_selectorIhlEEZNS1_25segmented_radix_sort_implIS3_Lb1EPKhPhPKlPlN2at6native12_GLOBAL__N_18offset_tEEE10hipError_tPvRmT1_PNSt15iterator_traitsISK_E10value_typeET2_T3_PNSL_ISQ_E10value_typeET4_jRbjT5_SW_jjP12ihipStream_tbEUlT_E_NS1_11comp_targetILNS1_3genE2ELNS1_11target_archE906ELNS1_3gpuE6ELNS1_3repE0EEENS1_30default_config_static_selectorELNS0_4arch9wavefront6targetE0EEEvSK_ ; -- Begin function _ZN7rocprim17ROCPRIM_400000_NS6detail17trampoline_kernelINS0_14default_configENS1_36segmented_radix_sort_config_selectorIhlEEZNS1_25segmented_radix_sort_implIS3_Lb1EPKhPhPKlPlN2at6native12_GLOBAL__N_18offset_tEEE10hipError_tPvRmT1_PNSt15iterator_traitsISK_E10value_typeET2_T3_PNSL_ISQ_E10value_typeET4_jRbjT5_SW_jjP12ihipStream_tbEUlT_E_NS1_11comp_targetILNS1_3genE2ELNS1_11target_archE906ELNS1_3gpuE6ELNS1_3repE0EEENS1_30default_config_static_selectorELNS0_4arch9wavefront6targetE0EEEvSK_
	.p2align	8
	.type	_ZN7rocprim17ROCPRIM_400000_NS6detail17trampoline_kernelINS0_14default_configENS1_36segmented_radix_sort_config_selectorIhlEEZNS1_25segmented_radix_sort_implIS3_Lb1EPKhPhPKlPlN2at6native12_GLOBAL__N_18offset_tEEE10hipError_tPvRmT1_PNSt15iterator_traitsISK_E10value_typeET2_T3_PNSL_ISQ_E10value_typeET4_jRbjT5_SW_jjP12ihipStream_tbEUlT_E_NS1_11comp_targetILNS1_3genE2ELNS1_11target_archE906ELNS1_3gpuE6ELNS1_3repE0EEENS1_30default_config_static_selectorELNS0_4arch9wavefront6targetE0EEEvSK_,@function
_ZN7rocprim17ROCPRIM_400000_NS6detail17trampoline_kernelINS0_14default_configENS1_36segmented_radix_sort_config_selectorIhlEEZNS1_25segmented_radix_sort_implIS3_Lb1EPKhPhPKlPlN2at6native12_GLOBAL__N_18offset_tEEE10hipError_tPvRmT1_PNSt15iterator_traitsISK_E10value_typeET2_T3_PNSL_ISQ_E10value_typeET4_jRbjT5_SW_jjP12ihipStream_tbEUlT_E_NS1_11comp_targetILNS1_3genE2ELNS1_11target_archE906ELNS1_3gpuE6ELNS1_3repE0EEENS1_30default_config_static_selectorELNS0_4arch9wavefront6targetE0EEEvSK_: ; @_ZN7rocprim17ROCPRIM_400000_NS6detail17trampoline_kernelINS0_14default_configENS1_36segmented_radix_sort_config_selectorIhlEEZNS1_25segmented_radix_sort_implIS3_Lb1EPKhPhPKlPlN2at6native12_GLOBAL__N_18offset_tEEE10hipError_tPvRmT1_PNSt15iterator_traitsISK_E10value_typeET2_T3_PNSL_ISQ_E10value_typeET4_jRbjT5_SW_jjP12ihipStream_tbEUlT_E_NS1_11comp_targetILNS1_3genE2ELNS1_11target_archE906ELNS1_3gpuE6ELNS1_3repE0EEENS1_30default_config_static_selectorELNS0_4arch9wavefront6targetE0EEEvSK_
; %bb.0:
	.section	.rodata,"a",@progbits
	.p2align	6, 0x0
	.amdhsa_kernel _ZN7rocprim17ROCPRIM_400000_NS6detail17trampoline_kernelINS0_14default_configENS1_36segmented_radix_sort_config_selectorIhlEEZNS1_25segmented_radix_sort_implIS3_Lb1EPKhPhPKlPlN2at6native12_GLOBAL__N_18offset_tEEE10hipError_tPvRmT1_PNSt15iterator_traitsISK_E10value_typeET2_T3_PNSL_ISQ_E10value_typeET4_jRbjT5_SW_jjP12ihipStream_tbEUlT_E_NS1_11comp_targetILNS1_3genE2ELNS1_11target_archE906ELNS1_3gpuE6ELNS1_3repE0EEENS1_30default_config_static_selectorELNS0_4arch9wavefront6targetE0EEEvSK_
		.amdhsa_group_segment_fixed_size 0
		.amdhsa_private_segment_fixed_size 0
		.amdhsa_kernarg_size 96
		.amdhsa_user_sgpr_count 2
		.amdhsa_user_sgpr_dispatch_ptr 0
		.amdhsa_user_sgpr_queue_ptr 0
		.amdhsa_user_sgpr_kernarg_segment_ptr 1
		.amdhsa_user_sgpr_dispatch_id 0
		.amdhsa_user_sgpr_private_segment_size 0
		.amdhsa_wavefront_size32 1
		.amdhsa_uses_dynamic_stack 0
		.amdhsa_enable_private_segment 0
		.amdhsa_system_sgpr_workgroup_id_x 1
		.amdhsa_system_sgpr_workgroup_id_y 0
		.amdhsa_system_sgpr_workgroup_id_z 0
		.amdhsa_system_sgpr_workgroup_info 0
		.amdhsa_system_vgpr_workitem_id 0
		.amdhsa_next_free_vgpr 1
		.amdhsa_next_free_sgpr 1
		.amdhsa_reserve_vcc 0
		.amdhsa_float_round_mode_32 0
		.amdhsa_float_round_mode_16_64 0
		.amdhsa_float_denorm_mode_32 3
		.amdhsa_float_denorm_mode_16_64 3
		.amdhsa_fp16_overflow 0
		.amdhsa_workgroup_processor_mode 1
		.amdhsa_memory_ordered 1
		.amdhsa_forward_progress 1
		.amdhsa_inst_pref_size 0
		.amdhsa_round_robin_scheduling 0
		.amdhsa_exception_fp_ieee_invalid_op 0
		.amdhsa_exception_fp_denorm_src 0
		.amdhsa_exception_fp_ieee_div_zero 0
		.amdhsa_exception_fp_ieee_overflow 0
		.amdhsa_exception_fp_ieee_underflow 0
		.amdhsa_exception_fp_ieee_inexact 0
		.amdhsa_exception_int_div_zero 0
	.end_amdhsa_kernel
	.section	.text._ZN7rocprim17ROCPRIM_400000_NS6detail17trampoline_kernelINS0_14default_configENS1_36segmented_radix_sort_config_selectorIhlEEZNS1_25segmented_radix_sort_implIS3_Lb1EPKhPhPKlPlN2at6native12_GLOBAL__N_18offset_tEEE10hipError_tPvRmT1_PNSt15iterator_traitsISK_E10value_typeET2_T3_PNSL_ISQ_E10value_typeET4_jRbjT5_SW_jjP12ihipStream_tbEUlT_E_NS1_11comp_targetILNS1_3genE2ELNS1_11target_archE906ELNS1_3gpuE6ELNS1_3repE0EEENS1_30default_config_static_selectorELNS0_4arch9wavefront6targetE0EEEvSK_,"axG",@progbits,_ZN7rocprim17ROCPRIM_400000_NS6detail17trampoline_kernelINS0_14default_configENS1_36segmented_radix_sort_config_selectorIhlEEZNS1_25segmented_radix_sort_implIS3_Lb1EPKhPhPKlPlN2at6native12_GLOBAL__N_18offset_tEEE10hipError_tPvRmT1_PNSt15iterator_traitsISK_E10value_typeET2_T3_PNSL_ISQ_E10value_typeET4_jRbjT5_SW_jjP12ihipStream_tbEUlT_E_NS1_11comp_targetILNS1_3genE2ELNS1_11target_archE906ELNS1_3gpuE6ELNS1_3repE0EEENS1_30default_config_static_selectorELNS0_4arch9wavefront6targetE0EEEvSK_,comdat
.Lfunc_end87:
	.size	_ZN7rocprim17ROCPRIM_400000_NS6detail17trampoline_kernelINS0_14default_configENS1_36segmented_radix_sort_config_selectorIhlEEZNS1_25segmented_radix_sort_implIS3_Lb1EPKhPhPKlPlN2at6native12_GLOBAL__N_18offset_tEEE10hipError_tPvRmT1_PNSt15iterator_traitsISK_E10value_typeET2_T3_PNSL_ISQ_E10value_typeET4_jRbjT5_SW_jjP12ihipStream_tbEUlT_E_NS1_11comp_targetILNS1_3genE2ELNS1_11target_archE906ELNS1_3gpuE6ELNS1_3repE0EEENS1_30default_config_static_selectorELNS0_4arch9wavefront6targetE0EEEvSK_, .Lfunc_end87-_ZN7rocprim17ROCPRIM_400000_NS6detail17trampoline_kernelINS0_14default_configENS1_36segmented_radix_sort_config_selectorIhlEEZNS1_25segmented_radix_sort_implIS3_Lb1EPKhPhPKlPlN2at6native12_GLOBAL__N_18offset_tEEE10hipError_tPvRmT1_PNSt15iterator_traitsISK_E10value_typeET2_T3_PNSL_ISQ_E10value_typeET4_jRbjT5_SW_jjP12ihipStream_tbEUlT_E_NS1_11comp_targetILNS1_3genE2ELNS1_11target_archE906ELNS1_3gpuE6ELNS1_3repE0EEENS1_30default_config_static_selectorELNS0_4arch9wavefront6targetE0EEEvSK_
                                        ; -- End function
	.set _ZN7rocprim17ROCPRIM_400000_NS6detail17trampoline_kernelINS0_14default_configENS1_36segmented_radix_sort_config_selectorIhlEEZNS1_25segmented_radix_sort_implIS3_Lb1EPKhPhPKlPlN2at6native12_GLOBAL__N_18offset_tEEE10hipError_tPvRmT1_PNSt15iterator_traitsISK_E10value_typeET2_T3_PNSL_ISQ_E10value_typeET4_jRbjT5_SW_jjP12ihipStream_tbEUlT_E_NS1_11comp_targetILNS1_3genE2ELNS1_11target_archE906ELNS1_3gpuE6ELNS1_3repE0EEENS1_30default_config_static_selectorELNS0_4arch9wavefront6targetE0EEEvSK_.num_vgpr, 0
	.set _ZN7rocprim17ROCPRIM_400000_NS6detail17trampoline_kernelINS0_14default_configENS1_36segmented_radix_sort_config_selectorIhlEEZNS1_25segmented_radix_sort_implIS3_Lb1EPKhPhPKlPlN2at6native12_GLOBAL__N_18offset_tEEE10hipError_tPvRmT1_PNSt15iterator_traitsISK_E10value_typeET2_T3_PNSL_ISQ_E10value_typeET4_jRbjT5_SW_jjP12ihipStream_tbEUlT_E_NS1_11comp_targetILNS1_3genE2ELNS1_11target_archE906ELNS1_3gpuE6ELNS1_3repE0EEENS1_30default_config_static_selectorELNS0_4arch9wavefront6targetE0EEEvSK_.num_agpr, 0
	.set _ZN7rocprim17ROCPRIM_400000_NS6detail17trampoline_kernelINS0_14default_configENS1_36segmented_radix_sort_config_selectorIhlEEZNS1_25segmented_radix_sort_implIS3_Lb1EPKhPhPKlPlN2at6native12_GLOBAL__N_18offset_tEEE10hipError_tPvRmT1_PNSt15iterator_traitsISK_E10value_typeET2_T3_PNSL_ISQ_E10value_typeET4_jRbjT5_SW_jjP12ihipStream_tbEUlT_E_NS1_11comp_targetILNS1_3genE2ELNS1_11target_archE906ELNS1_3gpuE6ELNS1_3repE0EEENS1_30default_config_static_selectorELNS0_4arch9wavefront6targetE0EEEvSK_.numbered_sgpr, 0
	.set _ZN7rocprim17ROCPRIM_400000_NS6detail17trampoline_kernelINS0_14default_configENS1_36segmented_radix_sort_config_selectorIhlEEZNS1_25segmented_radix_sort_implIS3_Lb1EPKhPhPKlPlN2at6native12_GLOBAL__N_18offset_tEEE10hipError_tPvRmT1_PNSt15iterator_traitsISK_E10value_typeET2_T3_PNSL_ISQ_E10value_typeET4_jRbjT5_SW_jjP12ihipStream_tbEUlT_E_NS1_11comp_targetILNS1_3genE2ELNS1_11target_archE906ELNS1_3gpuE6ELNS1_3repE0EEENS1_30default_config_static_selectorELNS0_4arch9wavefront6targetE0EEEvSK_.num_named_barrier, 0
	.set _ZN7rocprim17ROCPRIM_400000_NS6detail17trampoline_kernelINS0_14default_configENS1_36segmented_radix_sort_config_selectorIhlEEZNS1_25segmented_radix_sort_implIS3_Lb1EPKhPhPKlPlN2at6native12_GLOBAL__N_18offset_tEEE10hipError_tPvRmT1_PNSt15iterator_traitsISK_E10value_typeET2_T3_PNSL_ISQ_E10value_typeET4_jRbjT5_SW_jjP12ihipStream_tbEUlT_E_NS1_11comp_targetILNS1_3genE2ELNS1_11target_archE906ELNS1_3gpuE6ELNS1_3repE0EEENS1_30default_config_static_selectorELNS0_4arch9wavefront6targetE0EEEvSK_.private_seg_size, 0
	.set _ZN7rocprim17ROCPRIM_400000_NS6detail17trampoline_kernelINS0_14default_configENS1_36segmented_radix_sort_config_selectorIhlEEZNS1_25segmented_radix_sort_implIS3_Lb1EPKhPhPKlPlN2at6native12_GLOBAL__N_18offset_tEEE10hipError_tPvRmT1_PNSt15iterator_traitsISK_E10value_typeET2_T3_PNSL_ISQ_E10value_typeET4_jRbjT5_SW_jjP12ihipStream_tbEUlT_E_NS1_11comp_targetILNS1_3genE2ELNS1_11target_archE906ELNS1_3gpuE6ELNS1_3repE0EEENS1_30default_config_static_selectorELNS0_4arch9wavefront6targetE0EEEvSK_.uses_vcc, 0
	.set _ZN7rocprim17ROCPRIM_400000_NS6detail17trampoline_kernelINS0_14default_configENS1_36segmented_radix_sort_config_selectorIhlEEZNS1_25segmented_radix_sort_implIS3_Lb1EPKhPhPKlPlN2at6native12_GLOBAL__N_18offset_tEEE10hipError_tPvRmT1_PNSt15iterator_traitsISK_E10value_typeET2_T3_PNSL_ISQ_E10value_typeET4_jRbjT5_SW_jjP12ihipStream_tbEUlT_E_NS1_11comp_targetILNS1_3genE2ELNS1_11target_archE906ELNS1_3gpuE6ELNS1_3repE0EEENS1_30default_config_static_selectorELNS0_4arch9wavefront6targetE0EEEvSK_.uses_flat_scratch, 0
	.set _ZN7rocprim17ROCPRIM_400000_NS6detail17trampoline_kernelINS0_14default_configENS1_36segmented_radix_sort_config_selectorIhlEEZNS1_25segmented_radix_sort_implIS3_Lb1EPKhPhPKlPlN2at6native12_GLOBAL__N_18offset_tEEE10hipError_tPvRmT1_PNSt15iterator_traitsISK_E10value_typeET2_T3_PNSL_ISQ_E10value_typeET4_jRbjT5_SW_jjP12ihipStream_tbEUlT_E_NS1_11comp_targetILNS1_3genE2ELNS1_11target_archE906ELNS1_3gpuE6ELNS1_3repE0EEENS1_30default_config_static_selectorELNS0_4arch9wavefront6targetE0EEEvSK_.has_dyn_sized_stack, 0
	.set _ZN7rocprim17ROCPRIM_400000_NS6detail17trampoline_kernelINS0_14default_configENS1_36segmented_radix_sort_config_selectorIhlEEZNS1_25segmented_radix_sort_implIS3_Lb1EPKhPhPKlPlN2at6native12_GLOBAL__N_18offset_tEEE10hipError_tPvRmT1_PNSt15iterator_traitsISK_E10value_typeET2_T3_PNSL_ISQ_E10value_typeET4_jRbjT5_SW_jjP12ihipStream_tbEUlT_E_NS1_11comp_targetILNS1_3genE2ELNS1_11target_archE906ELNS1_3gpuE6ELNS1_3repE0EEENS1_30default_config_static_selectorELNS0_4arch9wavefront6targetE0EEEvSK_.has_recursion, 0
	.set _ZN7rocprim17ROCPRIM_400000_NS6detail17trampoline_kernelINS0_14default_configENS1_36segmented_radix_sort_config_selectorIhlEEZNS1_25segmented_radix_sort_implIS3_Lb1EPKhPhPKlPlN2at6native12_GLOBAL__N_18offset_tEEE10hipError_tPvRmT1_PNSt15iterator_traitsISK_E10value_typeET2_T3_PNSL_ISQ_E10value_typeET4_jRbjT5_SW_jjP12ihipStream_tbEUlT_E_NS1_11comp_targetILNS1_3genE2ELNS1_11target_archE906ELNS1_3gpuE6ELNS1_3repE0EEENS1_30default_config_static_selectorELNS0_4arch9wavefront6targetE0EEEvSK_.has_indirect_call, 0
	.section	.AMDGPU.csdata,"",@progbits
; Kernel info:
; codeLenInByte = 0
; TotalNumSgprs: 0
; NumVgprs: 0
; ScratchSize: 0
; MemoryBound: 0
; FloatMode: 240
; IeeeMode: 1
; LDSByteSize: 0 bytes/workgroup (compile time only)
; SGPRBlocks: 0
; VGPRBlocks: 0
; NumSGPRsForWavesPerEU: 1
; NumVGPRsForWavesPerEU: 1
; Occupancy: 16
; WaveLimiterHint : 0
; COMPUTE_PGM_RSRC2:SCRATCH_EN: 0
; COMPUTE_PGM_RSRC2:USER_SGPR: 2
; COMPUTE_PGM_RSRC2:TRAP_HANDLER: 0
; COMPUTE_PGM_RSRC2:TGID_X_EN: 1
; COMPUTE_PGM_RSRC2:TGID_Y_EN: 0
; COMPUTE_PGM_RSRC2:TGID_Z_EN: 0
; COMPUTE_PGM_RSRC2:TIDIG_COMP_CNT: 0
	.text
	.p2align	2                               ; -- Begin function _ZN7rocprim17ROCPRIM_400000_NS6detail40segmented_radix_sort_single_block_helperIhlLj256ELj8ELb1EE4sortIPKhPhPKlPlEEbT_T0_T1_T2_jjjjRNS3_12storage_typeE
	.type	_ZN7rocprim17ROCPRIM_400000_NS6detail40segmented_radix_sort_single_block_helperIhlLj256ELj8ELb1EE4sortIPKhPhPKlPlEEbT_T0_T1_T2_jjjjRNS3_12storage_typeE,@function
_ZN7rocprim17ROCPRIM_400000_NS6detail40segmented_radix_sort_single_block_helperIhlLj256ELj8ELb1EE4sortIPKhPhPKlPlEEbT_T0_T1_T2_jjjjRNS3_12storage_typeE: ; @_ZN7rocprim17ROCPRIM_400000_NS6detail40segmented_radix_sort_single_block_helperIhlLj256ELj8ELb1EE4sortIPKhPhPKlPlEEbT_T0_T1_T2_jjjjRNS3_12storage_typeE
; %bb.0:
	s_wait_loadcnt_dscnt 0x0
	s_wait_expcnt 0x0
	s_wait_samplecnt 0x0
	s_wait_bvhcnt 0x0
	s_wait_kmcnt 0x0
	v_sub_nc_u32_e32 v98, v9, v8
	s_mov_b32 s16, exec_lo
	s_delay_alu instid0(VALU_DEP_1)
	v_cmpx_gt_u32_e32 0x801, v98
	s_cbranch_execz .LBB88_199
; %bb.1:
	v_bfe_u32 v9, v31, 10, 10
	v_bfe_u32 v15, v31, 20, 10
	v_and_b32_e32 v14, 0x3ff, v31
	v_mbcnt_lo_u32_b32 v30, -1, 0
	s_mov_b32 s0, exec_lo
	v_cmpx_lt_u32_e32 0x400, v98
	s_wait_alu 0xfffe
	s_xor_b32 s17, exec_lo, s0
	s_cbranch_execz .LBB88_79
; %bb.2:
	s_load_b64 s[0:1], s[8:9], 0x0
	s_and_b32 s2, ttmp7, 0xffff
	s_mov_b32 s3, 0
	v_add_co_u32 v0, vcc_lo, v0, v8
	s_wait_alu 0xfffd
	v_add_co_ci_u32_e64 v1, null, 0, v1, vcc_lo
	s_delay_alu instid0(VALU_DEP_2) | instskip(SKIP_1) | instid1(VALU_DEP_2)
	v_add_co_u32 v0, vcc_lo, v0, v30
	s_wait_alu 0xfffd
	v_add_co_ci_u32_e64 v1, null, 0, v1, vcc_lo
	s_wait_kmcnt 0x0
	s_wait_alu 0xfffe
	s_cmp_lt_u32 s2, s1
	s_cselect_b32 s2, 14, 20
	s_cmp_lt_u32 ttmp9, s0
	s_wait_alu 0xfffe
	s_add_nc_u64 s[4:5], s[8:9], s[2:3]
	s_cselect_b32 s2, 12, 18
	s_load_u16 s4, s[4:5], 0x0
	s_add_nc_u64 s[0:1], s[8:9], s[2:3]
	s_load_u16 s0, s[0:1], 0x0
	s_wait_kmcnt 0x0
	v_mad_u32_u24 v9, v15, s4, v9
	s_delay_alu instid0(VALU_DEP_1) | instskip(SKIP_1) | instid1(VALU_DEP_1)
	v_mad_co_u64_u32 v[25:26], null, v9, s0, v[14:15]
	v_mov_b32_e32 v9, 0
	v_dual_mov_b32 v17, v9 :: v_dual_mov_b32 v18, v9
	s_delay_alu instid0(VALU_DEP_3) | instskip(SKIP_1) | instid1(VALU_DEP_2)
	v_dual_mov_b32 v16, v9 :: v_dual_lshlrev_b32 v15, 3, v25
	v_dual_mov_b32 v19, v9 :: v_dual_mov_b32 v22, v9
	v_dual_mov_b32 v20, v9 :: v_dual_and_b32 v15, 0xffffff00, v15
	v_mov_b32_e32 v21, v9
	v_mov_b32_e32 v23, v9
	s_delay_alu instid0(VALU_DEP_3) | instskip(SKIP_3) | instid1(VALU_DEP_3)
	v_or_b32_e32 v26, v15, v30
	v_add_co_u32 v0, vcc_lo, v0, v15
	s_wait_alu 0xfffd
	v_add_co_ci_u32_e64 v1, null, 0, v1, vcc_lo
	v_cmp_lt_u32_e32 vcc_lo, v26, v98
	s_and_saveexec_b32 s0, vcc_lo
	s_cbranch_execz .LBB88_4
; %bb.3:
	flat_load_u8 v17, v[0:1]
	v_dual_mov_b32 v18, v9 :: v_dual_mov_b32 v19, v9
	v_dual_mov_b32 v20, v9 :: v_dual_mov_b32 v21, v9
	;; [unrolled: 1-line block ×3, first 2 shown]
.LBB88_4:
	s_wait_alu 0xfffe
	s_or_b32 exec_lo, exec_lo, s0
	v_or_b32_e32 v24, 32, v26
	s_delay_alu instid0(VALU_DEP_1)
	v_cmp_lt_u32_e64 s0, v24, v98
	v_mov_b32_e32 v24, v9
	s_and_saveexec_b32 s1, s0
	s_cbranch_execz .LBB88_6
; %bb.5:
	flat_load_u8 v24, v[0:1] offset:32
.LBB88_6:
	s_wait_alu 0xfffe
	s_or_b32 exec_lo, exec_lo, s1
	v_or_b32_e32 v27, 64, v26
	s_delay_alu instid0(VALU_DEP_1)
	v_cmp_lt_u32_e64 s1, v27, v98
	s_and_saveexec_b32 s2, s1
	s_cbranch_execz .LBB88_8
; %bb.7:
	flat_load_u8 v18, v[0:1] offset:64
.LBB88_8:
	s_wait_alu 0xfffe
	s_or_b32 exec_lo, exec_lo, s2
	v_or_b32_e32 v27, 0x60, v26
	s_delay_alu instid0(VALU_DEP_1)
	v_cmp_lt_u32_e64 s2, v27, v98
	;; [unrolled: 10-line block ×6, first 2 shown]
	s_and_saveexec_b32 s7, s6
	s_cbranch_execz .LBB88_18
; %bb.17:
	flat_load_u8 v23, v[0:1] offset:224
.LBB88_18:
	s_wait_alu 0xfffe
	s_or_b32 exec_lo, exec_lo, s7
	v_lshlrev_b64_e32 v[0:1], 3, v[8:9]
	v_lshlrev_b32_e32 v9, 3, v30
                                        ; implicit-def: $vgpr32_vgpr33
	s_delay_alu instid0(VALU_DEP_2) | instskip(SKIP_1) | instid1(VALU_DEP_3)
	v_add_co_u32 v26, s7, v4, v0
	s_wait_alu 0xf1ff
	v_add_co_ci_u32_e64 v27, null, v5, v1, s7
	v_lshlrev_b64_e32 v[4:5], 3, v[15:16]
	s_delay_alu instid0(VALU_DEP_3) | instskip(SKIP_1) | instid1(VALU_DEP_3)
	v_add_co_u32 v9, s7, v26, v9
	s_wait_alu 0xf1ff
	v_add_co_ci_u32_e64 v15, null, 0, v27, s7
	s_delay_alu instid0(VALU_DEP_2) | instskip(SKIP_1) | instid1(VALU_DEP_2)
	v_add_co_u32 v4, s7, v9, v4
	s_wait_alu 0xf1ff
	v_add_co_ci_u32_e64 v5, null, v15, v5, s7
	s_and_saveexec_b32 s7, vcc_lo
	s_cbranch_execnz .LBB88_112
; %bb.19:
	s_wait_alu 0xfffe
	s_or_b32 exec_lo, exec_lo, s7
                                        ; implicit-def: $vgpr36_vgpr37
	s_and_saveexec_b32 s7, s0
	s_cbranch_execnz .LBB88_113
.LBB88_20:
	s_wait_alu 0xfffe
	s_or_b32 exec_lo, exec_lo, s7
                                        ; implicit-def: $vgpr38_vgpr39
	s_and_saveexec_b32 s0, s1
	s_cbranch_execnz .LBB88_114
.LBB88_21:
	s_wait_alu 0xfffe
	s_or_b32 exec_lo, exec_lo, s0
                                        ; implicit-def: $vgpr48_vgpr49
	s_and_saveexec_b32 s0, s2
	s_cbranch_execnz .LBB88_115
.LBB88_22:
	s_wait_alu 0xfffe
	s_or_b32 exec_lo, exec_lo, s0
                                        ; implicit-def: $vgpr50_vgpr51
	s_and_saveexec_b32 s0, s3
	s_cbranch_execnz .LBB88_116
.LBB88_23:
	s_wait_alu 0xfffe
	s_or_b32 exec_lo, exec_lo, s0
                                        ; implicit-def: $vgpr52_vgpr53
	s_and_saveexec_b32 s0, s4
	s_cbranch_execnz .LBB88_117
.LBB88_24:
	s_wait_alu 0xfffe
	s_or_b32 exec_lo, exec_lo, s0
                                        ; implicit-def: $vgpr54_vgpr55
	s_and_saveexec_b32 s0, s5
	s_cbranch_execnz .LBB88_118
.LBB88_25:
	s_wait_alu 0xfffe
	s_or_b32 exec_lo, exec_lo, s0
                                        ; implicit-def: $vgpr34_vgpr35
	s_and_saveexec_b32 s0, s6
	s_cbranch_execz .LBB88_27
.LBB88_26:
	flat_load_b64 v[34:35], v[4:5] offset:1792
.LBB88_27:
	s_wait_alu 0xfffe
	s_or_b32 exec_lo, exec_lo, s0
	s_wait_loadcnt_dscnt 0x0
	v_xor_b32_e32 v5, -1, v21
	v_xor_b32_e32 v9, -1, v24
	v_lshl_add_u32 v21, v14, 5, v12
	v_xor_b32_e32 v4, -1, v23
	v_xor_b32_e32 v16, -1, v20
	v_lshlrev_b16 v5, 8, v5
	v_lshlrev_b16 v20, 8, v9
	v_add_nc_u32_e32 v9, 32, v21
	v_add_nc_u32_e32 v99, 36, v21
	;; [unrolled: 1-line block ×8, first 2 shown]
	v_and_b32_e32 v21, 0x3e0, v14
	v_lshlrev_b16 v4, 8, v4
	v_and_b32_e32 v23, 15, v30
	v_sub_co_u32 v26, s2, v30, 1
	s_delay_alu instid0(VALU_DEP_4)
	v_min_u32_e32 v21, 0xe0, v21
	s_getpc_b64 s[0:1]
	s_wait_alu 0xfffe
	s_sext_i32_i16 s1, s1
	s_add_co_u32 s0, s0, _ZN7rocprim17ROCPRIM_400000_NS16block_radix_sortIhLj256ELj8ElLj1ELj1ELj8ELNS0_26block_radix_rank_algorithmE2ELNS0_18block_padding_hintE2ELNS0_4arch9wavefront6targetE0EE19radix_bits_per_passE@rel32@lo+12
	s_wait_alu 0xfffe
	s_add_co_ci_u32 s1, s1, _ZN7rocprim17ROCPRIM_400000_NS16block_radix_sortIhLj256ELj8ElLj1ELj1ELj8ELNS0_26block_radix_rank_algorithmE2ELNS0_18block_padding_hintE2ELNS0_4arch9wavefront6targetE0EE19radix_bits_per_passE@rel32@hi+24
	v_xor_b32_e32 v15, -1, v22
	v_lshrrev_b32_e32 v4, 8, v4
	v_lshrrev_b32_e32 v5, 8, v5
	v_xor_b32_e32 v17, -1, v17
	s_load_b32 s18, s[0:1], 0x0
	v_dual_mov_b32 v117, 0 :: v_dual_lshlrev_b32 v22, 3, v14
	v_cmp_eq_u32_e32 vcc_lo, 0, v23
	v_cmp_lt_u32_e64 s0, 1, v23
	v_cmp_lt_u32_e64 s1, 3, v23
	v_and_b32_e32 v24, 16, v30
	v_cmp_lt_u32_e64 s3, 7, v23
	v_or_b32_e32 v21, 31, v21
	v_lshrrev_b32_e32 v23, 3, v14
	v_cmp_gt_i32_e64 s5, 0, v26
	v_lshrrev_b32_e32 v20, 8, v20
	v_xor_b32_e32 v19, -1, v19
	v_cmp_eq_u32_e64 s4, 0, v24
	v_and_or_b32 v22, 0x1f00, v22, v30
	s_wait_alu 0xf1ff
	v_cndmask_b32_e64 v24, v26, v30, s5
	v_cmp_eq_u32_e64 s5, v14, v21
	v_and_b32_e32 v21, 0x7c, v23
	v_and_b32_e32 v17, 0xff, v17
	v_lshlrev_b16 v20, 8, v20
	v_and_b32_e32 v16, 0xff, v16
	v_lshlrev_b16 v5, 8, v5
	;; [unrolled: 2-line block ×3, first 2 shown]
	v_lshlrev_b16 v19, 8, v19
	v_xor_b32_e32 v18, -1, v18
	v_add_nc_u32_e32 v116, v12, v21
	v_add_nc_u32_e32 v119, v12, v22
	v_mul_u32_u24_e32 v21, 7, v22
	v_or_b32_e32 v17, v17, v20
	v_or_b32_e32 v5, v16, v5
	;; [unrolled: 1-line block ×3, first 2 shown]
	v_and_b32_e32 v23, 7, v30
	v_add_nc_u32_e32 v133, v119, v21
	v_perm_b32 v15, v18, v19, 0xc0c0104
	v_and_b32_e32 v16, 0xffff, v17
	v_and_b32_e32 v5, 0xffff, v5
	v_lshlrev_b32_e32 v4, 16, v4
	v_lshrrev_b32_e32 v114, 5, v25
	v_cmp_gt_u32_e64 s6, 8, v14
	v_cmp_lt_u32_e64 s7, 31, v14
	v_lshlrev_b32_e32 v115, 2, v24
	v_cmp_eq_u32_e64 s10, 0, v14
	v_lshl_add_u32 v118, v14, 2, v12
	v_cmp_eq_u32_e64 s11, 0, v23
	v_cmp_lt_u32_e64 s12, 1, v23
	v_cmp_lt_u32_e64 s13, 3, v23
	v_add_nc_u32_e32 v128, -4, v116
	v_add_nc_u32_e32 v129, 32, v119
	v_add_nc_u32_e32 v130, 64, v119
	v_add_nc_u32_e32 v131, 0x60, v119
	v_add_nc_u32_e32 v132, 0x80, v119
	v_add_nc_u32_e32 v134, 0xa0, v119
	v_add_nc_u32_e32 v135, 0xc0, v119
	v_add_nc_u32_e32 v144, 0xe0, v119
	v_add_nc_u32_e32 v145, 0x100, v133
	v_add_nc_u32_e32 v146, 0x200, v133
	v_add_nc_u32_e32 v147, 0x300, v133
	v_add_nc_u32_e32 v148, 0x400, v133
	v_add_nc_u32_e32 v149, 0x500, v133
	v_add_nc_u32_e32 v150, 0x600, v133
	v_add_nc_u32_e32 v151, 0x700, v133
	v_lshl_or_b32 v19, v15, 16, v16
	v_or_b32_e32 v97, v5, v4
	v_sub_nc_u32_e32 v160, v11, v10
	s_mov_b32 s19, 0
	s_wait_storecnt 0x0
	s_barrier_signal -1
	s_barrier_wait -1
	global_inv scope:SCOPE_SE
	s_branch .LBB88_29
.LBB88_28:                              ;   in Loop: Header=BB88_29 Depth=1
	s_wait_alu 0xfffe
	s_or_b32 exec_lo, exec_lo, s15
	s_delay_alu instid0(SALU_CYCLE_1)
	s_and_b32 s14, exec_lo, s20
	s_wait_alu 0xfffe
	s_or_b32 s19, s14, s19
	s_wait_alu 0xfffe
	s_and_not1_b32 exec_lo, exec_lo, s19
	s_cbranch_execz .LBB88_53
.LBB88_29:                              ; =>This Inner Loop Header: Depth=1
	s_wait_kmcnt 0x0
	v_min_u32_e32 v4, s18, v160
	v_dual_mov_b32 v28, v32 :: v_dual_and_b32 v5, 0xff, v19
	v_mov_b32_e32 v23, v36
	v_dual_mov_b32 v29, v33 :: v_dual_mov_b32 v24, v37
	s_delay_alu instid0(VALU_DEP_4) | instskip(NEXT) | instid1(VALU_DEP_4)
	v_lshlrev_b32_e64 v4, v4, -1
	v_lshrrev_b32_e32 v5, v10, v5
	v_dual_mov_b32 v26, v48 :: v_dual_mov_b32 v27, v49
	v_dual_mov_b32 v17, v50 :: v_dual_mov_b32 v18, v51
	s_delay_alu instid0(VALU_DEP_4) | instskip(SKIP_2) | instid1(VALU_DEP_3)
	v_not_b32_e32 v64, v4
	v_dual_mov_b32 v21, v38 :: v_dual_mov_b32 v22, v39
	v_dual_mov_b32 v15, v52 :: v_dual_mov_b32 v16, v53
	v_and_b32_e32 v20, v5, v64
	v_dual_mov_b32 v4, v54 :: v_dual_mov_b32 v5, v55
	ds_store_b32 v9, v117
	ds_store_b32 v99, v117
	;; [unrolled: 1-line block ×5, first 2 shown]
	v_and_b32_e32 v30, 1, v20
	v_lshlrev_b32_e32 v31, 30, v20
	v_lshlrev_b32_e32 v32, 29, v20
	v_lshlrev_b32_e32 v33, 28, v20
	v_lshlrev_b32_e32 v37, 27, v20
	v_add_co_u32 v30, s14, v30, -1
	s_wait_alu 0xf1ff
	v_cndmask_b32_e64 v36, 0, 1, s14
	v_not_b32_e32 v48, v31
	v_cmp_gt_i32_e64 s15, 0, v31
	v_not_b32_e32 v31, v32
	v_lshlrev_b32_e32 v38, 26, v20
	v_cmp_ne_u32_e64 s14, 0, v36
	v_ashrrev_i32_e32 v48, 31, v48
	v_lshlrev_b32_e32 v39, 25, v20
	v_ashrrev_i32_e32 v31, 31, v31
	v_lshlrev_b32_e32 v36, 24, v20
	s_wait_alu 0xf1ff
	v_xor_b32_e32 v30, s14, v30
	v_cmp_gt_i32_e64 s14, 0, v32
	v_not_b32_e32 v32, v33
	v_xor_b32_e32 v48, s15, v48
	v_cmp_gt_i32_e64 s15, 0, v33
	v_and_b32_e32 v30, exec_lo, v30
	v_not_b32_e32 v33, v37
	v_ashrrev_i32_e32 v32, 31, v32
	s_wait_alu 0xf1ff
	v_xor_b32_e32 v31, s14, v31
	v_cmp_gt_i32_e64 s14, 0, v37
	v_and_b32_e32 v30, v30, v48
	v_not_b32_e32 v37, v38
	v_ashrrev_i32_e32 v33, 31, v33
	v_xor_b32_e32 v32, s15, v32
	v_cmp_gt_i32_e64 s15, 0, v38
	v_and_b32_e32 v30, v30, v31
	v_not_b32_e32 v31, v39
	v_ashrrev_i32_e32 v37, 31, v37
	s_wait_alu 0xf1ff
	v_xor_b32_e32 v33, s14, v33
	v_cmp_gt_i32_e64 s14, 0, v39
	v_and_b32_e32 v30, v30, v32
	v_not_b32_e32 v32, v36
	v_ashrrev_i32_e32 v38, 31, v31
	v_xor_b32_e32 v37, s15, v37
	v_cmp_gt_i32_e64 s15, 0, v36
	v_and_b32_e32 v33, v30, v33
	v_dual_mov_b32 v30, v34 :: v_dual_mov_b32 v31, v35
	v_ashrrev_i32_e32 v32, 31, v32
	s_wait_alu 0xf1ff
	v_xor_b32_e32 v34, s14, v38
	v_and_b32_e32 v33, v33, v37
	ds_store_b32 v103, v117
	ds_store_b32 v112, v117
	;; [unrolled: 1-line block ×3, first 2 shown]
	v_xor_b32_e32 v32, s15, v32
	s_wait_loadcnt_dscnt 0x0
	v_and_b32_e32 v33, v33, v34
	v_lshlrev_b32_e32 v34, 3, v20
	s_barrier_signal -1
	s_barrier_wait -1
	global_inv scope:SCOPE_SE
	v_and_b32_e32 v20, v33, v32
	v_add_lshl_u32 v33, v34, v114, 2
	; wave barrier
	s_delay_alu instid0(VALU_DEP_2) | instskip(NEXT) | instid1(VALU_DEP_2)
	v_mbcnt_lo_u32_b32 v32, v20, 0
	v_add_co_u32 v33, null, v12, v33
	v_cmp_ne_u32_e64 s15, 0, v20
	s_delay_alu instid0(VALU_DEP_3) | instskip(NEXT) | instid1(VALU_DEP_3)
	v_cmp_eq_u32_e64 s14, 0, v32
	v_add_co_u32 v33, null, v33, 32
	s_and_b32 s15, s15, s14
	s_wait_alu 0xfffe
	s_and_saveexec_b32 s14, s15
; %bb.30:                               ;   in Loop: Header=BB88_29 Depth=1
	v_bcnt_u32_b32 v20, v20, 0
	ds_store_b32 v33, v20
; %bb.31:                               ;   in Loop: Header=BB88_29 Depth=1
	s_wait_alu 0xfffe
	s_or_b32 exec_lo, exec_lo, s14
	v_bfe_u32 v20, v19, 8, 8
	; wave barrier
	s_delay_alu instid0(VALU_DEP_1) | instskip(NEXT) | instid1(VALU_DEP_1)
	v_lshrrev_b32_e32 v20, v10, v20
	v_and_b32_e32 v20, v20, v64
	s_delay_alu instid0(VALU_DEP_1)
	v_and_b32_e32 v34, 1, v20
	v_lshlrev_b32_e32 v35, 30, v20
	v_lshlrev_b32_e32 v36, 29, v20
	;; [unrolled: 1-line block ×4, first 2 shown]
	v_add_co_u32 v34, s14, v34, -1
	s_wait_alu 0xf1ff
	v_cndmask_b32_e64 v38, 0, 1, s14
	v_not_b32_e32 v50, v35
	v_cmp_gt_i32_e64 s15, 0, v35
	v_not_b32_e32 v35, v36
	v_lshlrev_b32_e32 v48, 26, v20
	v_cmp_ne_u32_e64 s14, 0, v38
	v_ashrrev_i32_e32 v50, 31, v50
	v_lshlrev_b32_e32 v49, 25, v20
	v_ashrrev_i32_e32 v35, 31, v35
	v_lshlrev_b32_e32 v38, 24, v20
	s_wait_alu 0xf1ff
	v_xor_b32_e32 v34, s14, v34
	v_cmp_gt_i32_e64 s14, 0, v36
	v_not_b32_e32 v36, v37
	v_xor_b32_e32 v50, s15, v50
	v_cmp_gt_i32_e64 s15, 0, v37
	v_and_b32_e32 v34, exec_lo, v34
	v_not_b32_e32 v37, v39
	v_ashrrev_i32_e32 v36, 31, v36
	s_wait_alu 0xf1ff
	v_xor_b32_e32 v35, s14, v35
	v_cmp_gt_i32_e64 s14, 0, v39
	v_and_b32_e32 v34, v34, v50
	v_not_b32_e32 v39, v48
	v_ashrrev_i32_e32 v37, 31, v37
	v_xor_b32_e32 v36, s15, v36
	v_cmp_gt_i32_e64 s15, 0, v48
	v_and_b32_e32 v34, v34, v35
	v_not_b32_e32 v35, v49
	v_ashrrev_i32_e32 v39, 31, v39
	s_wait_alu 0xf1ff
	v_xor_b32_e32 v37, s14, v37
	v_cmp_gt_i32_e64 s14, 0, v49
	v_and_b32_e32 v34, v34, v36
	v_not_b32_e32 v36, v38
	v_ashrrev_i32_e32 v35, 31, v35
	v_xor_b32_e32 v39, s15, v39
	v_lshl_add_u32 v20, v20, 3, v114
	v_and_b32_e32 v34, v34, v37
	v_cmp_gt_i32_e64 s15, 0, v38
	v_ashrrev_i32_e32 v36, 31, v36
	s_wait_alu 0xf1ff
	v_xor_b32_e32 v35, s14, v35
	v_lshl_add_u32 v38, v20, 2, v12
	v_and_b32_e32 v34, v34, v39
	v_xor_b32_e32 v20, s15, v36
	s_delay_alu instid0(VALU_DEP_3) | instskip(NEXT) | instid1(VALU_DEP_3)
	v_add_nc_u32_e32 v36, 32, v38
	v_and_b32_e32 v35, v34, v35
	ds_load_b32 v34, v38 offset:32
	; wave barrier
	v_dual_mov_b32 v20, v97 :: v_dual_and_b32 v37, v35, v20
	s_delay_alu instid0(VALU_DEP_1) | instskip(SKIP_1) | instid1(VALU_DEP_2)
	v_mbcnt_lo_u32_b32 v35, v37, 0
	v_cmp_ne_u32_e64 s15, 0, v37
	v_cmp_eq_u32_e64 s14, 0, v35
	s_and_b32 s15, s15, s14
	s_wait_alu 0xfffe
	s_and_saveexec_b32 s14, s15
	s_cbranch_execz .LBB88_33
; %bb.32:                               ;   in Loop: Header=BB88_29 Depth=1
	s_wait_dscnt 0x0
	v_bcnt_u32_b32 v37, v37, v34
	ds_store_b32 v36, v37
.LBB88_33:                              ;   in Loop: Header=BB88_29 Depth=1
	s_wait_alu 0xfffe
	s_or_b32 exec_lo, exec_lo, s14
	v_bfe_u32 v37, v19, 16, 8
	; wave barrier
	s_delay_alu instid0(VALU_DEP_1) | instskip(NEXT) | instid1(VALU_DEP_1)
	v_lshrrev_b32_e32 v37, v10, v37
	v_and_b32_e32 v37, v37, v64
	s_delay_alu instid0(VALU_DEP_1)
	v_and_b32_e32 v38, 1, v37
	v_lshlrev_b32_e32 v39, 30, v37
	v_lshlrev_b32_e32 v48, 29, v37
	;; [unrolled: 1-line block ×4, first 2 shown]
	v_add_co_u32 v38, s14, v38, -1
	s_wait_alu 0xf1ff
	v_cndmask_b32_e64 v50, 0, 1, s14
	v_not_b32_e32 v54, v39
	v_cmp_gt_i32_e64 s15, 0, v39
	v_not_b32_e32 v39, v48
	v_lshlrev_b32_e32 v52, 26, v37
	v_cmp_ne_u32_e64 s14, 0, v50
	v_ashrrev_i32_e32 v54, 31, v54
	v_lshlrev_b32_e32 v53, 25, v37
	v_ashrrev_i32_e32 v39, 31, v39
	v_lshlrev_b32_e32 v50, 24, v37
	s_wait_alu 0xf1ff
	v_xor_b32_e32 v38, s14, v38
	v_cmp_gt_i32_e64 s14, 0, v48
	v_not_b32_e32 v48, v49
	v_xor_b32_e32 v54, s15, v54
	v_cmp_gt_i32_e64 s15, 0, v49
	v_and_b32_e32 v38, exec_lo, v38
	v_not_b32_e32 v49, v51
	v_ashrrev_i32_e32 v48, 31, v48
	s_wait_alu 0xf1ff
	v_xor_b32_e32 v39, s14, v39
	v_cmp_gt_i32_e64 s14, 0, v51
	v_and_b32_e32 v38, v38, v54
	v_not_b32_e32 v51, v52
	v_ashrrev_i32_e32 v49, 31, v49
	v_xor_b32_e32 v48, s15, v48
	v_cmp_gt_i32_e64 s15, 0, v52
	v_and_b32_e32 v38, v38, v39
	v_not_b32_e32 v39, v53
	v_ashrrev_i32_e32 v51, 31, v51
	s_wait_alu 0xf1ff
	v_xor_b32_e32 v49, s14, v49
	v_cmp_gt_i32_e64 s14, 0, v53
	v_and_b32_e32 v38, v38, v48
	v_not_b32_e32 v48, v50
	v_ashrrev_i32_e32 v39, 31, v39
	v_xor_b32_e32 v51, s15, v51
	v_lshl_add_u32 v37, v37, 3, v114
	v_and_b32_e32 v38, v38, v49
	v_cmp_gt_i32_e64 s15, 0, v50
	v_ashrrev_i32_e32 v48, 31, v48
	s_wait_alu 0xf1ff
	v_xor_b32_e32 v39, s14, v39
	v_lshl_add_u32 v49, v37, 2, v12
	v_and_b32_e32 v38, v38, v51
	v_xor_b32_e32 v48, s15, v48
	ds_load_b32 v37, v49 offset:32
	v_and_b32_e32 v38, v38, v39
	v_add_nc_u32_e32 v39, 32, v49
	; wave barrier
	s_delay_alu instid0(VALU_DEP_2) | instskip(NEXT) | instid1(VALU_DEP_1)
	v_and_b32_e32 v48, v38, v48
	v_mbcnt_lo_u32_b32 v38, v48, 0
	v_cmp_ne_u32_e64 s15, 0, v48
	s_delay_alu instid0(VALU_DEP_2)
	v_cmp_eq_u32_e64 s14, 0, v38
	s_and_b32 s15, s15, s14
	s_wait_alu 0xfffe
	s_and_saveexec_b32 s14, s15
	s_cbranch_execz .LBB88_35
; %bb.34:                               ;   in Loop: Header=BB88_29 Depth=1
	s_wait_dscnt 0x0
	v_bcnt_u32_b32 v48, v48, v37
	ds_store_b32 v39, v48
.LBB88_35:                              ;   in Loop: Header=BB88_29 Depth=1
	s_wait_alu 0xfffe
	s_or_b32 exec_lo, exec_lo, s14
	v_alignbit_b32 v48, v20, v19, 24
	; wave barrier
	s_delay_alu instid0(VALU_DEP_1) | instskip(NEXT) | instid1(VALU_DEP_1)
	v_and_b32_e32 v48, 0xff, v48
	v_lshrrev_b32_e32 v48, v10, v48
	s_delay_alu instid0(VALU_DEP_1) | instskip(NEXT) | instid1(VALU_DEP_1)
	v_and_b32_e32 v48, v48, v64
	v_and_b32_e32 v49, 1, v48
	v_lshlrev_b32_e32 v50, 30, v48
	v_lshlrev_b32_e32 v51, 29, v48
	;; [unrolled: 1-line block ×4, first 2 shown]
	v_add_co_u32 v49, s14, v49, -1
	s_wait_alu 0xf1ff
	v_cndmask_b32_e64 v53, 0, 1, s14
	v_not_b32_e32 v66, v50
	v_cmp_gt_i32_e64 s15, 0, v50
	v_not_b32_e32 v50, v51
	v_lshlrev_b32_e32 v55, 26, v48
	v_cmp_ne_u32_e64 s14, 0, v53
	v_ashrrev_i32_e32 v66, 31, v66
	v_lshlrev_b32_e32 v65, 25, v48
	v_ashrrev_i32_e32 v50, 31, v50
	v_lshlrev_b32_e32 v53, 24, v48
	s_wait_alu 0xf1ff
	v_xor_b32_e32 v49, s14, v49
	v_cmp_gt_i32_e64 s14, 0, v51
	v_not_b32_e32 v51, v52
	v_xor_b32_e32 v66, s15, v66
	v_cmp_gt_i32_e64 s15, 0, v52
	v_and_b32_e32 v49, exec_lo, v49
	v_not_b32_e32 v52, v54
	v_ashrrev_i32_e32 v51, 31, v51
	s_wait_alu 0xf1ff
	v_xor_b32_e32 v50, s14, v50
	v_cmp_gt_i32_e64 s14, 0, v54
	v_and_b32_e32 v49, v49, v66
	v_not_b32_e32 v54, v55
	v_ashrrev_i32_e32 v52, 31, v52
	v_xor_b32_e32 v51, s15, v51
	v_cmp_gt_i32_e64 s15, 0, v55
	v_and_b32_e32 v49, v49, v50
	v_not_b32_e32 v50, v65
	v_ashrrev_i32_e32 v54, 31, v54
	s_wait_alu 0xf1ff
	v_xor_b32_e32 v52, s14, v52
	v_cmp_gt_i32_e64 s14, 0, v65
	v_and_b32_e32 v49, v49, v51
	v_not_b32_e32 v51, v53
	v_ashrrev_i32_e32 v50, 31, v50
	v_xor_b32_e32 v54, s15, v54
	v_lshl_add_u32 v48, v48, 3, v114
	v_and_b32_e32 v49, v49, v52
	v_cmp_gt_i32_e64 s15, 0, v53
	v_ashrrev_i32_e32 v51, 31, v51
	s_wait_alu 0xf1ff
	v_xor_b32_e32 v50, s14, v50
	v_lshl_add_u32 v52, v48, 2, v12
	v_and_b32_e32 v49, v49, v54
	v_xor_b32_e32 v51, s15, v51
	ds_load_b32 v48, v52 offset:32
	v_and_b32_e32 v49, v49, v50
	v_add_nc_u32_e32 v50, 32, v52
	; wave barrier
	s_delay_alu instid0(VALU_DEP_2) | instskip(NEXT) | instid1(VALU_DEP_1)
	v_and_b32_e32 v51, v49, v51
	v_mbcnt_lo_u32_b32 v49, v51, 0
	v_cmp_ne_u32_e64 s15, 0, v51
	s_delay_alu instid0(VALU_DEP_2)
	v_cmp_eq_u32_e64 s14, 0, v49
	s_and_b32 s15, s15, s14
	s_wait_alu 0xfffe
	s_and_saveexec_b32 s14, s15
	s_cbranch_execz .LBB88_37
; %bb.36:                               ;   in Loop: Header=BB88_29 Depth=1
	s_wait_dscnt 0x0
	v_bcnt_u32_b32 v51, v51, v48
	ds_store_b32 v50, v51
.LBB88_37:                              ;   in Loop: Header=BB88_29 Depth=1
	s_wait_alu 0xfffe
	s_or_b32 exec_lo, exec_lo, s14
	v_and_b32_e32 v51, 0xff, v20
	; wave barrier
	s_delay_alu instid0(VALU_DEP_1) | instskip(NEXT) | instid1(VALU_DEP_1)
	v_lshrrev_b32_e32 v51, v10, v51
	v_and_b32_e32 v51, v51, v64
	s_delay_alu instid0(VALU_DEP_1)
	v_and_b32_e32 v52, 1, v51
	v_lshlrev_b32_e32 v53, 30, v51
	v_lshlrev_b32_e32 v54, 29, v51
	;; [unrolled: 1-line block ×4, first 2 shown]
	v_add_co_u32 v52, s14, v52, -1
	s_wait_alu 0xf1ff
	v_cndmask_b32_e64 v65, 0, 1, s14
	v_not_b32_e32 v69, v53
	v_cmp_gt_i32_e64 s15, 0, v53
	v_not_b32_e32 v53, v54
	v_lshlrev_b32_e32 v67, 26, v51
	v_cmp_ne_u32_e64 s14, 0, v65
	v_ashrrev_i32_e32 v69, 31, v69
	v_lshlrev_b32_e32 v68, 25, v51
	v_ashrrev_i32_e32 v53, 31, v53
	v_lshlrev_b32_e32 v65, 24, v51
	s_wait_alu 0xf1ff
	v_xor_b32_e32 v52, s14, v52
	v_cmp_gt_i32_e64 s14, 0, v54
	v_not_b32_e32 v54, v55
	v_xor_b32_e32 v69, s15, v69
	v_cmp_gt_i32_e64 s15, 0, v55
	v_and_b32_e32 v52, exec_lo, v52
	v_not_b32_e32 v55, v66
	v_ashrrev_i32_e32 v54, 31, v54
	s_wait_alu 0xf1ff
	v_xor_b32_e32 v53, s14, v53
	v_cmp_gt_i32_e64 s14, 0, v66
	v_and_b32_e32 v52, v52, v69
	v_not_b32_e32 v66, v67
	v_ashrrev_i32_e32 v55, 31, v55
	v_xor_b32_e32 v54, s15, v54
	v_cmp_gt_i32_e64 s15, 0, v67
	v_and_b32_e32 v52, v52, v53
	v_not_b32_e32 v53, v68
	v_ashrrev_i32_e32 v66, 31, v66
	s_wait_alu 0xf1ff
	v_xor_b32_e32 v55, s14, v55
	v_cmp_gt_i32_e64 s14, 0, v68
	v_and_b32_e32 v52, v52, v54
	v_not_b32_e32 v54, v65
	v_ashrrev_i32_e32 v53, 31, v53
	v_xor_b32_e32 v66, s15, v66
	v_lshl_add_u32 v51, v51, 3, v114
	v_and_b32_e32 v52, v52, v55
	v_cmp_gt_i32_e64 s15, 0, v65
	v_ashrrev_i32_e32 v54, 31, v54
	s_wait_alu 0xf1ff
	v_xor_b32_e32 v53, s14, v53
	v_lshl_add_u32 v55, v51, 2, v12
	v_and_b32_e32 v52, v52, v66
	v_xor_b32_e32 v54, s15, v54
	ds_load_b32 v51, v55 offset:32
	v_and_b32_e32 v52, v52, v53
	v_add_nc_u32_e32 v53, 32, v55
	; wave barrier
	s_delay_alu instid0(VALU_DEP_2) | instskip(NEXT) | instid1(VALU_DEP_1)
	v_and_b32_e32 v54, v52, v54
	v_mbcnt_lo_u32_b32 v52, v54, 0
	v_cmp_ne_u32_e64 s15, 0, v54
	s_delay_alu instid0(VALU_DEP_2)
	v_cmp_eq_u32_e64 s14, 0, v52
	s_and_b32 s15, s15, s14
	s_wait_alu 0xfffe
	s_and_saveexec_b32 s14, s15
	s_cbranch_execz .LBB88_39
; %bb.38:                               ;   in Loop: Header=BB88_29 Depth=1
	s_wait_dscnt 0x0
	v_bcnt_u32_b32 v54, v54, v51
	ds_store_b32 v53, v54
.LBB88_39:                              ;   in Loop: Header=BB88_29 Depth=1
	s_wait_alu 0xfffe
	s_or_b32 exec_lo, exec_lo, s14
	v_bfe_u32 v54, v20, 8, 8
	; wave barrier
	s_delay_alu instid0(VALU_DEP_1) | instskip(NEXT) | instid1(VALU_DEP_1)
	v_lshrrev_b32_e32 v54, v10, v54
	v_and_b32_e32 v54, v54, v64
	s_delay_alu instid0(VALU_DEP_1)
	v_and_b32_e32 v55, 1, v54
	v_lshlrev_b32_e32 v65, 30, v54
	v_lshlrev_b32_e32 v66, 29, v54
	;; [unrolled: 1-line block ×4, first 2 shown]
	v_add_co_u32 v55, s14, v55, -1
	s_wait_alu 0xf1ff
	v_cndmask_b32_e64 v68, 0, 1, s14
	v_not_b32_e32 v80, v65
	v_cmp_gt_i32_e64 s15, 0, v65
	v_not_b32_e32 v65, v66
	v_lshlrev_b32_e32 v70, 26, v54
	v_cmp_ne_u32_e64 s14, 0, v68
	v_ashrrev_i32_e32 v80, 31, v80
	v_lshlrev_b32_e32 v71, 25, v54
	v_ashrrev_i32_e32 v65, 31, v65
	v_lshlrev_b32_e32 v68, 24, v54
	s_wait_alu 0xf1ff
	v_xor_b32_e32 v55, s14, v55
	v_cmp_gt_i32_e64 s14, 0, v66
	v_not_b32_e32 v66, v67
	v_xor_b32_e32 v80, s15, v80
	v_cmp_gt_i32_e64 s15, 0, v67
	v_and_b32_e32 v55, exec_lo, v55
	v_not_b32_e32 v67, v69
	v_ashrrev_i32_e32 v66, 31, v66
	s_wait_alu 0xf1ff
	v_xor_b32_e32 v65, s14, v65
	v_cmp_gt_i32_e64 s14, 0, v69
	v_and_b32_e32 v55, v55, v80
	v_not_b32_e32 v69, v70
	v_ashrrev_i32_e32 v67, 31, v67
	v_xor_b32_e32 v66, s15, v66
	v_cmp_gt_i32_e64 s15, 0, v70
	v_and_b32_e32 v55, v55, v65
	v_not_b32_e32 v65, v71
	v_ashrrev_i32_e32 v69, 31, v69
	s_wait_alu 0xf1ff
	v_xor_b32_e32 v67, s14, v67
	v_cmp_gt_i32_e64 s14, 0, v71
	v_and_b32_e32 v55, v55, v66
	v_not_b32_e32 v66, v68
	v_ashrrev_i32_e32 v65, 31, v65
	v_xor_b32_e32 v69, s15, v69
	v_lshl_add_u32 v54, v54, 3, v114
	v_and_b32_e32 v55, v55, v67
	v_cmp_gt_i32_e64 s15, 0, v68
	v_ashrrev_i32_e32 v66, 31, v66
	s_wait_alu 0xf1ff
	v_xor_b32_e32 v65, s14, v65
	v_lshl_add_u32 v67, v54, 2, v12
	v_and_b32_e32 v55, v55, v69
	v_xor_b32_e32 v66, s15, v66
	ds_load_b32 v54, v67 offset:32
	v_and_b32_e32 v55, v55, v65
	v_add_nc_u32_e32 v65, 32, v67
	; wave barrier
	s_delay_alu instid0(VALU_DEP_2) | instskip(NEXT) | instid1(VALU_DEP_1)
	v_and_b32_e32 v66, v55, v66
	v_mbcnt_lo_u32_b32 v55, v66, 0
	v_cmp_ne_u32_e64 s15, 0, v66
	s_delay_alu instid0(VALU_DEP_2)
	v_cmp_eq_u32_e64 s14, 0, v55
	s_and_b32 s15, s15, s14
	s_wait_alu 0xfffe
	s_and_saveexec_b32 s14, s15
	s_cbranch_execz .LBB88_41
; %bb.40:                               ;   in Loop: Header=BB88_29 Depth=1
	s_wait_dscnt 0x0
	v_bcnt_u32_b32 v66, v66, v54
	ds_store_b32 v65, v66
.LBB88_41:                              ;   in Loop: Header=BB88_29 Depth=1
	s_wait_alu 0xfffe
	s_or_b32 exec_lo, exec_lo, s14
	v_bfe_u32 v66, v20, 16, 8
	; wave barrier
	s_delay_alu instid0(VALU_DEP_1) | instskip(NEXT) | instid1(VALU_DEP_1)
	v_lshrrev_b32_e32 v66, v10, v66
	v_and_b32_e32 v66, v66, v64
	s_delay_alu instid0(VALU_DEP_1)
	v_and_b32_e32 v67, 1, v66
	v_lshlrev_b32_e32 v68, 30, v66
	v_lshlrev_b32_e32 v69, 29, v66
	;; [unrolled: 1-line block ×4, first 2 shown]
	v_add_co_u32 v67, s14, v67, -1
	s_wait_alu 0xf1ff
	v_cndmask_b32_e64 v71, 0, 1, s14
	v_not_b32_e32 v83, v68
	v_cmp_gt_i32_e64 s15, 0, v68
	v_not_b32_e32 v68, v69
	v_lshlrev_b32_e32 v81, 26, v66
	v_cmp_ne_u32_e64 s14, 0, v71
	v_ashrrev_i32_e32 v83, 31, v83
	v_lshlrev_b32_e32 v82, 25, v66
	v_ashrrev_i32_e32 v68, 31, v68
	v_lshlrev_b32_e32 v71, 24, v66
	s_wait_alu 0xf1ff
	v_xor_b32_e32 v67, s14, v67
	v_cmp_gt_i32_e64 s14, 0, v69
	v_not_b32_e32 v69, v70
	v_xor_b32_e32 v83, s15, v83
	v_cmp_gt_i32_e64 s15, 0, v70
	v_and_b32_e32 v67, exec_lo, v67
	v_not_b32_e32 v70, v80
	v_ashrrev_i32_e32 v69, 31, v69
	s_wait_alu 0xf1ff
	v_xor_b32_e32 v68, s14, v68
	v_cmp_gt_i32_e64 s14, 0, v80
	v_and_b32_e32 v67, v67, v83
	v_not_b32_e32 v80, v81
	v_ashrrev_i32_e32 v70, 31, v70
	v_xor_b32_e32 v69, s15, v69
	v_cmp_gt_i32_e64 s15, 0, v81
	v_and_b32_e32 v67, v67, v68
	v_not_b32_e32 v68, v82
	v_ashrrev_i32_e32 v80, 31, v80
	s_wait_alu 0xf1ff
	v_xor_b32_e32 v70, s14, v70
	v_cmp_gt_i32_e64 s14, 0, v82
	v_and_b32_e32 v67, v67, v69
	v_not_b32_e32 v69, v71
	v_ashrrev_i32_e32 v68, 31, v68
	v_xor_b32_e32 v80, s15, v80
	v_lshl_add_u32 v66, v66, 3, v114
	v_and_b32_e32 v67, v67, v70
	v_cmp_gt_i32_e64 s15, 0, v71
	v_ashrrev_i32_e32 v69, 31, v69
	s_wait_alu 0xf1ff
	v_xor_b32_e32 v68, s14, v68
	v_lshl_add_u32 v70, v66, 2, v12
	v_and_b32_e32 v67, v67, v80
	v_xor_b32_e32 v69, s15, v69
	ds_load_b32 v66, v70 offset:32
	v_and_b32_e32 v67, v67, v68
	v_add_nc_u32_e32 v68, 32, v70
	; wave barrier
	s_delay_alu instid0(VALU_DEP_2) | instskip(NEXT) | instid1(VALU_DEP_1)
	v_and_b32_e32 v69, v67, v69
	v_mbcnt_lo_u32_b32 v67, v69, 0
	v_cmp_ne_u32_e64 s15, 0, v69
	s_delay_alu instid0(VALU_DEP_2)
	v_cmp_eq_u32_e64 s14, 0, v67
	s_and_b32 s15, s15, s14
	s_wait_alu 0xfffe
	s_and_saveexec_b32 s14, s15
	s_cbranch_execz .LBB88_43
; %bb.42:                               ;   in Loop: Header=BB88_29 Depth=1
	s_wait_dscnt 0x0
	v_bcnt_u32_b32 v69, v69, v66
	ds_store_b32 v68, v69
.LBB88_43:                              ;   in Loop: Header=BB88_29 Depth=1
	s_wait_alu 0xfffe
	s_or_b32 exec_lo, exec_lo, s14
	v_lshrrev_b32_e32 v161, 24, v20
	; wave barrier
	s_delay_alu instid0(VALU_DEP_1) | instskip(NEXT) | instid1(VALU_DEP_1)
	v_lshrrev_b32_e32 v69, v10, v161
	v_and_b32_e32 v64, v69, v64
	s_delay_alu instid0(VALU_DEP_1)
	v_and_b32_e32 v69, 1, v64
	v_lshlrev_b32_e32 v70, 30, v64
	v_lshlrev_b32_e32 v71, 29, v64
	v_lshlrev_b32_e32 v80, 28, v64
	v_lshlrev_b32_e32 v82, 27, v64
	v_add_co_u32 v69, s14, v69, -1
	s_wait_alu 0xf1ff
	v_cndmask_b32_e64 v81, 0, 1, s14
	v_not_b32_e32 v85, v70
	v_cmp_gt_i32_e64 s15, 0, v70
	v_not_b32_e32 v70, v71
	v_lshlrev_b32_e32 v83, 26, v64
	v_cmp_ne_u32_e64 s14, 0, v81
	v_ashrrev_i32_e32 v85, 31, v85
	v_lshlrev_b32_e32 v84, 25, v64
	v_ashrrev_i32_e32 v70, 31, v70
	v_lshlrev_b32_e32 v81, 24, v64
	s_wait_alu 0xf1ff
	v_xor_b32_e32 v69, s14, v69
	v_cmp_gt_i32_e64 s14, 0, v71
	v_not_b32_e32 v71, v80
	v_xor_b32_e32 v85, s15, v85
	v_cmp_gt_i32_e64 s15, 0, v80
	v_and_b32_e32 v69, exec_lo, v69
	v_not_b32_e32 v80, v82
	v_ashrrev_i32_e32 v71, 31, v71
	s_wait_alu 0xf1ff
	v_xor_b32_e32 v70, s14, v70
	v_cmp_gt_i32_e64 s14, 0, v82
	v_and_b32_e32 v69, v69, v85
	v_not_b32_e32 v82, v83
	v_ashrrev_i32_e32 v80, 31, v80
	v_xor_b32_e32 v71, s15, v71
	v_cmp_gt_i32_e64 s15, 0, v83
	v_and_b32_e32 v69, v69, v70
	v_not_b32_e32 v70, v84
	v_ashrrev_i32_e32 v82, 31, v82
	s_wait_alu 0xf1ff
	v_xor_b32_e32 v80, s14, v80
	v_cmp_gt_i32_e64 s14, 0, v84
	v_and_b32_e32 v69, v69, v71
	v_not_b32_e32 v71, v81
	v_ashrrev_i32_e32 v70, 31, v70
	v_xor_b32_e32 v82, s15, v82
	v_lshl_add_u32 v64, v64, 3, v114
	v_and_b32_e32 v69, v69, v80
	v_cmp_gt_i32_e64 s15, 0, v81
	v_ashrrev_i32_e32 v71, 31, v71
	s_wait_alu 0xf1ff
	v_xor_b32_e32 v70, s14, v70
	v_lshl_add_u32 v80, v64, 2, v12
	v_and_b32_e32 v69, v69, v82
	v_xor_b32_e32 v71, s15, v71
	ds_load_b32 v64, v80 offset:32
	v_and_b32_e32 v69, v69, v70
	v_add_nc_u32_e32 v70, 32, v80
	; wave barrier
	s_delay_alu instid0(VALU_DEP_2) | instskip(NEXT) | instid1(VALU_DEP_1)
	v_and_b32_e32 v71, v69, v71
	v_mbcnt_lo_u32_b32 v69, v71, 0
	v_cmp_ne_u32_e64 s15, 0, v71
	s_delay_alu instid0(VALU_DEP_2)
	v_cmp_eq_u32_e64 s14, 0, v69
	s_and_b32 s15, s15, s14
	s_wait_alu 0xfffe
	s_and_saveexec_b32 s14, s15
	s_cbranch_execz .LBB88_45
; %bb.44:                               ;   in Loop: Header=BB88_29 Depth=1
	s_wait_dscnt 0x0
	v_bcnt_u32_b32 v71, v71, v64
	ds_store_b32 v70, v71
.LBB88_45:                              ;   in Loop: Header=BB88_29 Depth=1
	s_wait_alu 0xfffe
	s_or_b32 exec_lo, exec_lo, s14
	; wave barrier
	s_wait_loadcnt_dscnt 0x0
	s_barrier_signal -1
	s_barrier_wait -1
	global_inv scope:SCOPE_SE
	ds_load_b32 v80, v9
	ds_load_b32 v81, v99
	;; [unrolled: 1-line block ×8, first 2 shown]
	s_wait_dscnt 0x6
	v_add_nc_u32_e32 v87, v81, v80
	s_wait_dscnt 0x4
	s_delay_alu instid0(VALU_DEP_1) | instskip(SKIP_1) | instid1(VALU_DEP_1)
	v_add3_u32 v87, v87, v82, v83
	s_wait_dscnt 0x2
	v_add3_u32 v87, v87, v84, v85
	s_wait_dscnt 0x0
	s_delay_alu instid0(VALU_DEP_1) | instskip(NEXT) | instid1(VALU_DEP_1)
	v_add3_u32 v86, v87, v71, v86
	v_mov_b32_dpp v87, v86 row_shr:1 row_mask:0xf bank_mask:0xf
	s_wait_alu 0xfffd
	s_delay_alu instid0(VALU_DEP_1) | instskip(NEXT) | instid1(VALU_DEP_1)
	v_cndmask_b32_e64 v87, v87, 0, vcc_lo
	v_add_nc_u32_e32 v86, v87, v86
	s_delay_alu instid0(VALU_DEP_1) | instskip(NEXT) | instid1(VALU_DEP_1)
	v_mov_b32_dpp v87, v86 row_shr:2 row_mask:0xf bank_mask:0xf
	v_cndmask_b32_e64 v87, 0, v87, s0
	s_delay_alu instid0(VALU_DEP_1) | instskip(NEXT) | instid1(VALU_DEP_1)
	v_add_nc_u32_e32 v86, v86, v87
	v_mov_b32_dpp v87, v86 row_shr:4 row_mask:0xf bank_mask:0xf
	s_delay_alu instid0(VALU_DEP_1) | instskip(NEXT) | instid1(VALU_DEP_1)
	v_cndmask_b32_e64 v87, 0, v87, s1
	v_add_nc_u32_e32 v86, v86, v87
	s_delay_alu instid0(VALU_DEP_1) | instskip(NEXT) | instid1(VALU_DEP_1)
	v_mov_b32_dpp v87, v86 row_shr:8 row_mask:0xf bank_mask:0xf
	v_cndmask_b32_e64 v87, 0, v87, s3
	s_delay_alu instid0(VALU_DEP_1) | instskip(SKIP_3) | instid1(VALU_DEP_1)
	v_add_nc_u32_e32 v86, v86, v87
	ds_swizzle_b32 v87, v86 offset:swizzle(BROADCAST,32,15)
	s_wait_dscnt 0x0
	v_cndmask_b32_e64 v87, v87, 0, s4
	v_add_nc_u32_e32 v86, v86, v87
	s_and_saveexec_b32 s14, s5
; %bb.46:                               ;   in Loop: Header=BB88_29 Depth=1
	ds_store_b32 v116, v86
; %bb.47:                               ;   in Loop: Header=BB88_29 Depth=1
	s_wait_alu 0xfffe
	s_or_b32 exec_lo, exec_lo, s14
	s_wait_loadcnt_dscnt 0x0
	s_barrier_signal -1
	s_barrier_wait -1
	global_inv scope:SCOPE_SE
	s_and_saveexec_b32 s14, s6
	s_cbranch_execz .LBB88_49
; %bb.48:                               ;   in Loop: Header=BB88_29 Depth=1
	ds_load_b32 v87, v118
	s_wait_dscnt 0x0
	v_mov_b32_dpp v96, v87 row_shr:1 row_mask:0xf bank_mask:0xf
	s_delay_alu instid0(VALU_DEP_1) | instskip(NEXT) | instid1(VALU_DEP_1)
	v_cndmask_b32_e64 v96, v96, 0, s11
	v_add_nc_u32_e32 v87, v96, v87
	s_delay_alu instid0(VALU_DEP_1) | instskip(NEXT) | instid1(VALU_DEP_1)
	v_mov_b32_dpp v96, v87 row_shr:2 row_mask:0xf bank_mask:0xf
	v_cndmask_b32_e64 v96, 0, v96, s12
	s_delay_alu instid0(VALU_DEP_1) | instskip(NEXT) | instid1(VALU_DEP_1)
	v_add_nc_u32_e32 v87, v87, v96
	v_mov_b32_dpp v96, v87 row_shr:4 row_mask:0xf bank_mask:0xf
	s_delay_alu instid0(VALU_DEP_1) | instskip(NEXT) | instid1(VALU_DEP_1)
	v_cndmask_b32_e64 v96, 0, v96, s13
	v_add_nc_u32_e32 v87, v87, v96
	ds_store_b32 v118, v87
.LBB88_49:                              ;   in Loop: Header=BB88_29 Depth=1
	s_wait_alu 0xfffe
	s_or_b32 exec_lo, exec_lo, s14
	v_mov_b32_e32 v87, 0
	s_wait_loadcnt_dscnt 0x0
	s_barrier_signal -1
	s_barrier_wait -1
	global_inv scope:SCOPE_SE
	s_and_saveexec_b32 s14, s7
; %bb.50:                               ;   in Loop: Header=BB88_29 Depth=1
	ds_load_b32 v87, v128
; %bb.51:                               ;   in Loop: Header=BB88_29 Depth=1
	s_wait_alu 0xfffe
	s_or_b32 exec_lo, exec_lo, s14
	s_wait_dscnt 0x0
	v_add_nc_u32_e32 v86, v87, v86
	v_add_nc_u32_e32 v10, 8, v10
	v_lshrrev_b64 v[96:97], 24, v[19:20]
	v_lshrrev_b32_e32 v179, 8, v19
	v_lshrrev_b32_e32 v182, 16, v19
	ds_bpermute_b32 v86, v115, v86
	v_lshrrev_b32_e32 v180, 8, v20
	v_lshrrev_b32_e32 v181, 16, v20
	v_cmp_lt_u32_e64 s14, v10, v11
	s_mov_b32 s20, -1
                                        ; implicit-def: $vgpr97
	v_mov_b32_e32 v178, v19
	s_wait_dscnt 0x0
	v_cndmask_b32_e64 v86, v86, v87, s2
	s_delay_alu instid0(VALU_DEP_1) | instskip(NEXT) | instid1(VALU_DEP_1)
	v_cndmask_b32_e64 v86, v86, 0, s10
	v_add_nc_u32_e32 v80, v86, v80
	s_delay_alu instid0(VALU_DEP_1) | instskip(SKIP_4) | instid1(VALU_DEP_1)
	v_add_nc_u32_e32 v81, v80, v81
	ds_store_b32 v9, v86
	ds_store_b32 v99, v80
	ds_store_b32 v100, v81
	v_add_nc_u32_e32 v82, v81, v82
	v_add_nc_u32_e32 v83, v82, v83
	s_delay_alu instid0(VALU_DEP_1) | instskip(NEXT) | instid1(VALU_DEP_1)
	v_add_nc_u32_e32 v84, v83, v84
	v_add_nc_u32_e32 v85, v84, v85
	s_delay_alu instid0(VALU_DEP_1)
	v_add_nc_u32_e32 v71, v85, v71
	ds_store_b32 v101, v82
	ds_store_b32 v102, v83
	;; [unrolled: 1-line block ×5, first 2 shown]
	s_wait_loadcnt_dscnt 0x0
	s_barrier_signal -1
	s_barrier_wait -1
	global_inv scope:SCOPE_SE
	ds_load_b32 v33, v33
	ds_load_b32 v36, v36
	;; [unrolled: 1-line block ×8, first 2 shown]
	s_wait_loadcnt_dscnt 0x0
	v_add_nc_u32_e32 v177, v33, v32
	v_add3_u32 v176, v35, v34, v36
	v_add3_u32 v167, v38, v37, v39
	;; [unrolled: 1-line block ×7, first 2 shown]
	v_add_co_u32 v70, s15, v12, v177
	s_wait_alu 0xf1ff
	v_add_co_ci_u32_e64 v71, null, 0, v13, s15
	v_add_co_u32 v64, s15, v12, v176
	s_wait_alu 0xf1ff
	v_add_co_ci_u32_e64 v65, null, 0, v13, s15
	v_add_co_u32 v66, s15, v12, v167
	s_wait_alu 0xf1ff
	v_add_co_ci_u32_e64 v67, null, 0, v13, s15
	v_add_co_u32 v68, s15, v12, v166
	s_wait_alu 0xf1ff
	v_add_co_ci_u32_e64 v69, null, 0, v13, s15
	v_add_co_u32 v80, s15, v12, v165
	s_wait_alu 0xf1ff
	v_add_co_ci_u32_e64 v81, null, 0, v13, s15
	v_add_co_u32 v82, s15, v12, v164
	s_wait_alu 0xf1ff
	v_add_co_ci_u32_e64 v83, null, 0, v13, s15
	v_add_co_u32 v84, s15, v12, v163
	s_wait_alu 0xf1ff
	v_add_co_ci_u32_e64 v85, null, 0, v13, s15
	v_add_co_u32 v86, s15, v12, v162
	s_wait_alu 0xf1ff
	v_add_co_ci_u32_e64 v87, null, 0, v13, s15
                                        ; implicit-def: $vgpr32_vgpr33
                                        ; implicit-def: $vgpr36_vgpr37
                                        ; implicit-def: $vgpr38_vgpr39
                                        ; implicit-def: $vgpr48_vgpr49
                                        ; implicit-def: $vgpr50_vgpr51
                                        ; implicit-def: $vgpr52_vgpr53
                                        ; implicit-def: $vgpr54_vgpr55
                                        ; implicit-def: $vgpr34_vgpr35
	s_and_saveexec_b32 s15, s14
	s_cbranch_execz .LBB88_28
; %bb.52:                               ;   in Loop: Header=BB88_29 Depth=1
	v_mad_co_u64_u32 v[32:33], null, v177, 7, v[70:71]
	v_mad_co_u64_u32 v[33:34], null, v176, 7, v[64:65]
	;; [unrolled: 1-line block ×4, first 2 shown]
	s_barrier_signal -1
	s_barrier_wait -1
	global_inv scope:SCOPE_SE
	ds_store_b8 v70, v19
	ds_store_b8 v64, v179
	;; [unrolled: 1-line block ×8, first 2 shown]
	s_wait_loadcnt_dscnt 0x0
	s_barrier_signal -1
	s_barrier_wait -1
	global_inv scope:SCOPE_SE
	ds_load_u8 v19, v131
	ds_load_u8 v97, v130
	;; [unrolled: 1-line block ×8, first 2 shown]
	v_mad_co_u64_u32 v[36:37], null, v165, 7, v[80:81]
	v_mad_co_u64_u32 v[37:38], null, v164, 7, v[82:83]
	;; [unrolled: 1-line block ×4, first 2 shown]
	s_wait_loadcnt_dscnt 0x0
	s_barrier_signal -1
	s_barrier_wait -1
	global_inv scope:SCOPE_SE
	ds_store_b64 v32, v[28:29]
	ds_store_b64 v33, v[23:24]
	;; [unrolled: 1-line block ×8, first 2 shown]
	s_wait_loadcnt_dscnt 0x0
	s_barrier_signal -1
	s_barrier_wait -1
	global_inv scope:SCOPE_SE
	ds_load_b64 v[32:33], v133
	ds_load_b64 v[36:37], v145
	;; [unrolled: 1-line block ×8, first 2 shown]
	v_perm_b32 v183, v192, v183, 0xc0c0004
	v_perm_b32 v19, v97, v19, 0xc0c0004
	;; [unrolled: 1-line block ×4, first 2 shown]
	v_add_nc_u32_e32 v160, -8, v160
	s_xor_b32 s20, exec_lo, -1
	v_lshl_or_b32 v19, v19, 16, v183
	s_wait_loadcnt_dscnt 0x0
	v_lshl_or_b32 v97, v192, 16, v97
	s_barrier_signal -1
	s_barrier_wait -1
	global_inv scope:SCOPE_SE
	s_branch .LBB88_28
.LBB88_53:
	s_or_b32 exec_lo, exec_lo, s19
	v_mad_co_u64_u32 v[9:10], null, v177, 7, v[70:71]
	v_add_nc_u32_e32 v50, v12, v14
	s_barrier_signal -1
	s_barrier_wait -1
	s_wait_loadcnt 0x0
	global_inv scope:SCOPE_SE
	ds_store_b8 v70, v178
	ds_store_b8 v64, v179
	;; [unrolled: 1-line block ×8, first 2 shown]
	s_wait_loadcnt_dscnt 0x0
	s_barrier_signal -1
	s_barrier_wait -1
	global_inv scope:SCOPE_SE
	ds_load_u8 v39, v50
	ds_load_u8 v38, v50 offset:256
	ds_load_u8 v37, v50 offset:512
	;; [unrolled: 1-line block ×7, first 2 shown]
	s_wait_loadcnt_dscnt 0x0
	s_barrier_signal -1
	s_barrier_wait -1
	global_inv scope:SCOPE_SE
	ds_store_b64 v9, v[28:29]
	v_mad_co_u64_u32 v[9:10], null, v176, 7, v[64:65]
	v_mad_co_u64_u32 v[10:11], null, v167, 7, v[66:67]
	v_mad_co_u64_u32 v[11:12], null, v166, 7, v[68:69]
	v_mad_co_u64_u32 v[12:13], null, v165, 7, v[80:81]
	v_mad_co_u64_u32 v[19:20], null, v164, 7, v[82:83]
	v_mad_co_u64_u32 v[28:29], null, v163, 7, v[84:85]
	v_mad_co_u64_u32 v[48:49], null, v162, 7, v[86:87]
	ds_store_b64 v9, v[23:24]
	ds_store_b64 v10, v[21:22]
	;; [unrolled: 1-line block ×3, first 2 shown]
	v_mul_u32_u24_e32 v9, 7, v14
	ds_store_b64 v12, v[17:18]
	ds_store_b64 v19, v[15:16]
	;; [unrolled: 1-line block ×4, first 2 shown]
	s_wait_loadcnt_dscnt 0x0
	s_barrier_signal -1
	v_add_nc_u32_e32 v4, v50, v9
	s_barrier_wait -1
	global_inv scope:SCOPE_SE
	ds_load_2addr_stride64_b64 v[21:24], v4 offset1:4
	ds_load_2addr_stride64_b64 v[17:20], v4 offset0:8 offset1:12
	ds_load_2addr_stride64_b64 v[13:16], v4 offset0:16 offset1:20
	;; [unrolled: 1-line block ×3, first 2 shown]
	v_add_co_u32 v2, vcc_lo, v2, v8
	s_wait_alu 0xfffd
	v_add_co_ci_u32_e64 v3, null, 0, v3, vcc_lo
	v_mov_b32_e32 v26, 0
	s_delay_alu instid0(VALU_DEP_3) | instskip(SKIP_1) | instid1(VALU_DEP_3)
	v_add_co_u32 v2, vcc_lo, v2, v25
	s_wait_alu 0xfffd
	v_add_co_ci_u32_e64 v3, null, 0, v3, vcc_lo
	v_cmp_lt_u32_e32 vcc_lo, v25, v98
	s_wait_loadcnt_dscnt 0x0
	s_barrier_signal -1
	s_barrier_wait -1
	global_inv scope:SCOPE_SE
	s_and_saveexec_b32 s0, vcc_lo
	s_cbranch_execz .LBB88_55
; %bb.54:
	v_xor_b32_e32 v4, -1, v39
	flat_store_b8 v[2:3], v4
.LBB88_55:
	s_wait_alu 0xfffe
	s_or_b32 exec_lo, exec_lo, s0
	v_add_nc_u32_e32 v4, 0x100, v25
	s_delay_alu instid0(VALU_DEP_1)
	v_cmp_lt_u32_e64 s0, v4, v98
	s_and_saveexec_b32 s1, s0
	s_cbranch_execz .LBB88_57
; %bb.56:
	v_xor_b32_e32 v4, -1, v38
	flat_store_b8 v[2:3], v4 offset:256
.LBB88_57:
	s_wait_alu 0xfffe
	s_or_b32 exec_lo, exec_lo, s1
	v_add_nc_u32_e32 v4, 0x200, v25
	s_delay_alu instid0(VALU_DEP_1)
	v_cmp_lt_u32_e64 s1, v4, v98
	s_and_saveexec_b32 s2, s1
	s_cbranch_execz .LBB88_59
; %bb.58:
	v_xor_b32_e32 v4, -1, v37
	flat_store_b8 v[2:3], v4 offset:512
.LBB88_59:
	;; [unrolled: 11-line block ×7, first 2 shown]
	s_wait_alu 0xfffe
	s_or_b32 exec_lo, exec_lo, s7
	v_lshlrev_b64_e32 v[2:3], 3, v[25:26]
	v_add_co_u32 v0, s7, v6, v0
	s_wait_alu 0xf1ff
	v_add_co_ci_u32_e64 v1, null, v7, v1, s7
	s_delay_alu instid0(VALU_DEP_2) | instskip(SKIP_1) | instid1(VALU_DEP_2)
	v_add_co_u32 v0, s7, v0, v2
	s_wait_alu 0xf1ff
	v_add_co_ci_u32_e64 v1, null, v1, v3, s7
	s_and_saveexec_b32 s7, vcc_lo
	s_cbranch_execnz .LBB88_119
; %bb.70:
	s_wait_alu 0xfffe
	s_or_b32 exec_lo, exec_lo, s7
	s_and_saveexec_b32 s7, s0
	s_cbranch_execnz .LBB88_120
.LBB88_71:
	s_wait_alu 0xfffe
	s_or_b32 exec_lo, exec_lo, s7
	s_and_saveexec_b32 s0, s1
	s_cbranch_execnz .LBB88_121
.LBB88_72:
	s_wait_alu 0xfffe
	s_or_b32 exec_lo, exec_lo, s0
	s_and_saveexec_b32 s0, s2
	s_cbranch_execnz .LBB88_122
.LBB88_73:
	s_wait_alu 0xfffe
	s_or_b32 exec_lo, exec_lo, s0
	s_and_saveexec_b32 s0, s3
	s_cbranch_execnz .LBB88_123
.LBB88_74:
	s_wait_alu 0xfffe
	s_or_b32 exec_lo, exec_lo, s0
	s_and_saveexec_b32 s0, s4
	s_cbranch_execnz .LBB88_124
.LBB88_75:
	s_wait_alu 0xfffe
	s_or_b32 exec_lo, exec_lo, s0
	s_and_saveexec_b32 s0, s5
	s_cbranch_execnz .LBB88_125
.LBB88_76:
	s_wait_alu 0xfffe
	s_or_b32 exec_lo, exec_lo, s0
	s_and_saveexec_b32 s0, s6
	s_cbranch_execz .LBB88_78
.LBB88_77:
	flat_store_b64 v[0:1], v[11:12] offset:14336
.LBB88_78:
	s_wait_alu 0xfffe
	s_or_b32 exec_lo, exec_lo, s0
                                        ; implicit-def: $vgpr98
                                        ; implicit-def: $vgpr0
                                        ; implicit-def: $vgpr1
                                        ; implicit-def: $vgpr2
                                        ; implicit-def: $vgpr3
                                        ; implicit-def: $vgpr4
                                        ; implicit-def: $vgpr5
                                        ; implicit-def: $vgpr6
                                        ; implicit-def: $vgpr7
                                        ; implicit-def: $vgpr8
                                        ; implicit-def: $vgpr10
                                        ; implicit-def: $vgpr11
                                        ; implicit-def: $vgpr12
                                        ; implicit-def: $vgpr13
                                        ; implicit-def: $vgpr9
                                        ; implicit-def: $vgpr15
                                        ; implicit-def: $vgpr14
                                        ; implicit-def: $vgpr30
.LBB88_79:
	s_wait_alu 0xfffe
	s_and_not1_saveexec_b32 s0, s17
	s_cbranch_execz .LBB88_199
; %bb.80:
	s_mov_b32 s0, exec_lo
	v_cmpx_lt_u32_e32 0x200, v98
	s_wait_alu 0xfffe
	s_xor_b32 s17, exec_lo, s0
	s_cbranch_execz .LBB88_140
; %bb.81:
	s_load_b64 s[0:1], s[8:9], 0x0
	s_and_b32 s2, ttmp7, 0xffff
	s_mov_b32 s3, 0
	v_add_co_u32 v0, vcc_lo, v0, v8
	s_wait_alu 0xfffd
	v_add_co_ci_u32_e64 v1, null, 0, v1, vcc_lo
	s_delay_alu instid0(VALU_DEP_2) | instskip(SKIP_1) | instid1(VALU_DEP_2)
	v_add_co_u32 v0, vcc_lo, v0, v30
	s_wait_alu 0xfffd
	v_add_co_ci_u32_e64 v1, null, 0, v1, vcc_lo
	s_wait_kmcnt 0x0
	s_wait_alu 0xfffe
	s_cmp_lt_u32 s2, s1
	s_cselect_b32 s2, 14, 20
	s_cmp_lt_u32 ttmp9, s0
	s_wait_alu 0xfffe
	s_add_nc_u64 s[4:5], s[8:9], s[2:3]
	s_cselect_b32 s2, 12, 18
	s_load_u16 s4, s[4:5], 0x0
	s_add_nc_u64 s[0:1], s[8:9], s[2:3]
	s_load_u16 s0, s[0:1], 0x0
	s_wait_kmcnt 0x0
	v_mad_u32_u24 v9, v15, s4, v9
	s_delay_alu instid0(VALU_DEP_1) | instskip(SKIP_1) | instid1(VALU_DEP_1)
	v_mad_co_u64_u32 v[17:18], null, v9, s0, v[14:15]
	v_mov_b32_e32 v9, 0
	v_dual_mov_b32 v19, v9 :: v_dual_mov_b32 v20, v9
	s_delay_alu instid0(VALU_DEP_3) | instskip(NEXT) | instid1(VALU_DEP_1)
	v_dual_mov_b32 v16, v9 :: v_dual_lshlrev_b32 v15, 2, v17
	v_dual_mov_b32 v18, v9 :: v_dual_and_b32 v15, 0xffffff80, v15
	s_delay_alu instid0(VALU_DEP_1) | instskip(SKIP_3) | instid1(VALU_DEP_3)
	v_or_b32_e32 v22, v15, v30
	v_add_co_u32 v0, vcc_lo, v0, v15
	s_wait_alu 0xfffd
	v_add_co_ci_u32_e64 v1, null, 0, v1, vcc_lo
	v_cmp_lt_u32_e32 vcc_lo, v22, v98
	s_and_saveexec_b32 s0, vcc_lo
	s_cbranch_execz .LBB88_83
; %bb.82:
	flat_load_u8 v18, v[0:1]
	v_dual_mov_b32 v19, v9 :: v_dual_mov_b32 v20, v9
.LBB88_83:
	s_wait_alu 0xfffe
	s_or_b32 exec_lo, exec_lo, s0
	v_or_b32_e32 v21, 32, v22
	s_delay_alu instid0(VALU_DEP_1)
	v_cmp_lt_u32_e64 s0, v21, v98
	v_mov_b32_e32 v21, v9
	s_and_saveexec_b32 s1, s0
	s_cbranch_execz .LBB88_85
; %bb.84:
	flat_load_u8 v21, v[0:1] offset:32
.LBB88_85:
	s_wait_alu 0xfffe
	s_or_b32 exec_lo, exec_lo, s1
	v_or_b32_e32 v23, 64, v22
	s_delay_alu instid0(VALU_DEP_1)
	v_cmp_lt_u32_e64 s1, v23, v98
	s_and_saveexec_b32 s2, s1
	s_cbranch_execz .LBB88_87
; %bb.86:
	flat_load_u8 v19, v[0:1] offset:64
.LBB88_87:
	s_wait_alu 0xfffe
	s_or_b32 exec_lo, exec_lo, s2
	v_or_b32_e32 v22, 0x60, v22
	s_delay_alu instid0(VALU_DEP_1)
	v_cmp_lt_u32_e64 s2, v22, v98
	s_and_saveexec_b32 s3, s2
	s_cbranch_execz .LBB88_89
; %bb.88:
	flat_load_u8 v20, v[0:1] offset:96
.LBB88_89:
	s_wait_alu 0xfffe
	s_or_b32 exec_lo, exec_lo, s3
	v_lshlrev_b64_e32 v[0:1], 3, v[8:9]
	v_lshlrev_b32_e32 v9, 3, v30
                                        ; implicit-def: $vgpr24_vgpr25
	s_delay_alu instid0(VALU_DEP_2) | instskip(SKIP_1) | instid1(VALU_DEP_3)
	v_add_co_u32 v22, s3, v4, v0
	s_wait_alu 0xf1ff
	v_add_co_ci_u32_e64 v23, null, v5, v1, s3
	v_lshlrev_b64_e32 v[4:5], 3, v[15:16]
	s_delay_alu instid0(VALU_DEP_3) | instskip(SKIP_1) | instid1(VALU_DEP_3)
	v_add_co_u32 v9, s3, v22, v9
	s_wait_alu 0xf1ff
	v_add_co_ci_u32_e64 v15, null, 0, v23, s3
	s_delay_alu instid0(VALU_DEP_2) | instskip(SKIP_1) | instid1(VALU_DEP_2)
	v_add_co_u32 v4, s3, v9, v4
	s_wait_alu 0xf1ff
	v_add_co_ci_u32_e64 v5, null, v15, v5, s3
	s_and_saveexec_b32 s3, vcc_lo
	s_cbranch_execnz .LBB88_164
; %bb.90:
	s_wait_alu 0xfffe
	s_or_b32 exec_lo, exec_lo, s3
                                        ; implicit-def: $vgpr26_vgpr27
	s_and_saveexec_b32 s3, s0
	s_cbranch_execnz .LBB88_165
.LBB88_91:
	s_wait_alu 0xfffe
	s_or_b32 exec_lo, exec_lo, s3
                                        ; implicit-def: $vgpr28_vgpr29
	s_and_saveexec_b32 s0, s1
	s_cbranch_execnz .LBB88_166
.LBB88_92:
	s_wait_alu 0xfffe
	s_or_b32 exec_lo, exec_lo, s0
                                        ; implicit-def: $vgpr22_vgpr23
	s_and_saveexec_b32 s0, s2
	s_cbranch_execz .LBB88_94
.LBB88_93:
	flat_load_b64 v[22:23], v[4:5] offset:768
.LBB88_94:
	s_wait_alu 0xfffe
	s_or_b32 exec_lo, exec_lo, s0
	s_wait_loadcnt_dscnt 0x0
	v_xor_b32_e32 v4, -1, v18
	v_xor_b32_e32 v5, -1, v21
	;; [unrolled: 1-line block ×4, first 2 shown]
	v_sub_co_u32 v16, s2, v30, 1
	v_dual_mov_b32 v67, 0 :: v_dual_and_b32 v4, 0xff, v4
	v_lshlrev_b16 v5, 8, v5
	v_and_b32_e32 v9, 0xff, v9
	v_lshlrev_b16 v15, 8, v15
	v_cmp_gt_i32_e64 s6, 0, v16
	s_getpc_b64 s[0:1]
	s_wait_alu 0xfffe
	s_sext_i32_i16 s1, s1
	s_add_co_u32 s0, s0, _ZN7rocprim17ROCPRIM_400000_NS16block_radix_sortIhLj256ELj4ElLj1ELj1ELj8ELNS0_26block_radix_rank_algorithmE2ELNS0_18block_padding_hintE2ELNS0_4arch9wavefront6targetE0EE19radix_bits_per_passE@rel32@lo+12
	s_wait_alu 0xfffe
	s_add_co_ci_u32 s1, s1, _ZN7rocprim17ROCPRIM_400000_NS16block_radix_sortIhLj256ELj4ElLj1ELj1ELj8ELNS0_26block_radix_rank_algorithmE2ELNS0_18block_padding_hintE2ELNS0_4arch9wavefront6targetE0EE19radix_bits_per_passE@rel32@hi+24
	v_or_b32_e32 v4, v4, v5
	s_load_b32 s18, s[0:1], 0x0
	v_or_b32_e32 v5, v9, v15
	v_lshl_add_u32 v15, v14, 5, v12
	v_lshrrev_b32_e32 v55, 5, v17
	v_and_b32_e32 v4, 0xffff, v4
	v_cmp_lt_u32_e64 s7, 31, v14
	v_lshlrev_b32_e32 v5, 16, v5
	v_add_nc_u32_e32 v9, 32, v15
	v_add_nc_u32_e32 v48, 36, v15
	v_add_nc_u32_e32 v49, 40, v15
	v_add_nc_u32_e32 v50, 44, v15
	v_or_b32_e32 v64, v4, v5
	v_and_b32_e32 v4, 0x3e0, v14
	v_add_nc_u32_e32 v51, 48, v15
	v_add_nc_u32_e32 v52, 52, v15
	v_and_b32_e32 v5, 15, v30
	v_add_nc_u32_e32 v53, 56, v15
	v_add_nc_u32_e32 v54, 60, v15
	v_min_u32_e32 v4, 0xe0, v4
	v_and_b32_e32 v15, 16, v30
	v_cmp_eq_u32_e32 vcc_lo, 0, v5
	v_cmp_lt_u32_e64 s0, 1, v5
	v_cmp_lt_u32_e64 s1, 3, v5
	v_or_b32_e32 v4, 31, v4
	v_cmp_lt_u32_e64 s3, 7, v5
	v_cmp_eq_u32_e64 s4, 0, v15
	v_cndmask_b32_e64 v5, v16, v30, s6
	v_lshlrev_b32_e32 v15, 2, v14
	v_cmp_eq_u32_e64 s5, v14, v4
	v_lshrrev_b32_e32 v4, 3, v14
	v_cmp_gt_u32_e64 s6, 8, v14
	v_lshlrev_b32_e32 v65, 2, v5
	v_and_or_b32 v5, 0xf80, v15, v30
	v_cmp_eq_u32_e64 s10, 0, v14
	v_and_b32_e32 v4, 0x7c, v4
	v_add_nc_u32_e32 v69, v12, v15
	v_sub_nc_u32_e32 v86, v11, v10
	v_add_nc_u32_e32 v68, v12, v5
	v_mul_u32_u24_e32 v5, 7, v5
	v_add_nc_u32_e32 v66, v12, v4
	v_and_b32_e32 v4, 7, v30
	s_mov_b32 s19, 0
	v_add_nc_u32_e32 v80, 32, v68
	v_add_nc_u32_e32 v70, v68, v5
	v_add_nc_u32_e32 v71, -4, v66
	v_cmp_eq_u32_e64 s11, 0, v4
	v_cmp_lt_u32_e64 s12, 1, v4
	v_cmp_lt_u32_e64 s13, 3, v4
	v_add_nc_u32_e32 v81, 64, v68
	v_add_nc_u32_e32 v82, 0x60, v68
	;; [unrolled: 1-line block ×5, first 2 shown]
	s_wait_storecnt 0x0
	s_barrier_signal -1
	s_barrier_wait -1
	global_inv scope:SCOPE_SE
	s_branch .LBB88_96
.LBB88_95:                              ;   in Loop: Header=BB88_96 Depth=1
	s_wait_alu 0xfffe
	s_or_b32 exec_lo, exec_lo, s15
	s_delay_alu instid0(SALU_CYCLE_1)
	s_and_b32 s14, exec_lo, s20
	s_wait_alu 0xfffe
	s_or_b32 s19, s14, s19
	s_wait_alu 0xfffe
	s_and_not1_b32 exec_lo, exec_lo, s19
	s_cbranch_execz .LBB88_126
.LBB88_96:                              ; =>This Inner Loop Header: Depth=1
	s_wait_kmcnt 0x0
	v_min_u32_e32 v4, s18, v86
	v_dual_mov_b32 v18, v24 :: v_dual_and_b32 v5, 0xff, v64
	v_mov_b32_e32 v19, v25
	ds_store_b32 v9, v67
	ds_store_b32 v48, v67
	;; [unrolled: 1-line block ×3, first 2 shown]
	v_lshlrev_b32_e64 v4, v4, -1
	v_lshrrev_b32_e32 v5, v10, v5
	ds_store_b32 v50, v67
	ds_store_b32 v51, v67
	;; [unrolled: 1-line block ×5, first 2 shown]
	v_not_b32_e32 v30, v4
	s_wait_loadcnt_dscnt 0x0
	s_barrier_signal -1
	s_barrier_wait -1
	global_inv scope:SCOPE_SE
	v_and_b32_e32 v31, v5, v30
	v_dual_mov_b32 v15, v26 :: v_dual_mov_b32 v16, v27
	v_dual_mov_b32 v4, v28 :: v_dual_mov_b32 v5, v29
	s_delay_alu instid0(VALU_DEP_3)
	v_lshlrev_b32_e32 v24, 29, v31
	v_and_b32_e32 v20, 1, v31
	v_lshlrev_b32_e32 v21, 30, v31
	v_lshlrev_b32_e32 v25, 28, v31
	;; [unrolled: 1-line block ×4, first 2 shown]
	v_add_co_u32 v20, s14, v20, -1
	s_wait_alu 0xf1ff
	v_cndmask_b32_e64 v26, 0, 1, s14
	v_not_b32_e32 v32, v21
	v_cmp_gt_i32_e64 s15, 0, v21
	v_not_b32_e32 v21, v24
	v_lshlrev_b32_e32 v29, 25, v31
	v_cmp_ne_u32_e64 s14, 0, v26
	v_ashrrev_i32_e32 v32, 31, v32
	v_lshlrev_b32_e32 v26, 24, v31
	v_ashrrev_i32_e32 v21, 31, v21
	s_wait_alu 0xf1ff
	v_xor_b32_e32 v20, s14, v20
	v_cmp_gt_i32_e64 s14, 0, v24
	v_not_b32_e32 v24, v25
	v_xor_b32_e32 v32, s15, v32
	v_cmp_gt_i32_e64 s15, 0, v25
	v_and_b32_e32 v20, exec_lo, v20
	v_not_b32_e32 v25, v27
	v_ashrrev_i32_e32 v24, 31, v24
	s_wait_alu 0xf1ff
	v_xor_b32_e32 v21, s14, v21
	v_cmp_gt_i32_e64 s14, 0, v27
	v_and_b32_e32 v20, v20, v32
	v_not_b32_e32 v27, v28
	v_ashrrev_i32_e32 v25, 31, v25
	v_xor_b32_e32 v24, s15, v24
	v_cmp_gt_i32_e64 s15, 0, v28
	v_and_b32_e32 v20, v20, v21
	v_not_b32_e32 v21, v29
	v_ashrrev_i32_e32 v27, 31, v27
	s_wait_alu 0xf1ff
	v_xor_b32_e32 v25, s14, v25
	v_cmp_gt_i32_e64 s14, 0, v29
	v_and_b32_e32 v20, v20, v24
	v_not_b32_e32 v24, v26
	v_ashrrev_i32_e32 v28, 31, v21
	v_xor_b32_e32 v27, s15, v27
	v_cmp_gt_i32_e64 s15, 0, v26
	v_dual_mov_b32 v20, v22 :: v_dual_and_b32 v25, v20, v25
	v_mov_b32_e32 v21, v23
	v_ashrrev_i32_e32 v22, 31, v24
	s_wait_alu 0xf1ff
	v_xor_b32_e32 v23, s14, v28
	v_and_b32_e32 v24, v25, v27
	v_lshlrev_b32_e32 v25, 3, v31
	; wave barrier
	v_xor_b32_e32 v22, s15, v22
	s_delay_alu instid0(VALU_DEP_3) | instskip(NEXT) | instid1(VALU_DEP_1)
	v_and_b32_e32 v23, v24, v23
	v_and_b32_e32 v24, v23, v22
	s_delay_alu instid0(VALU_DEP_4) | instskip(NEXT) | instid1(VALU_DEP_2)
	v_add_lshl_u32 v23, v25, v55, 2
	v_mbcnt_lo_u32_b32 v22, v24, 0
	s_delay_alu instid0(VALU_DEP_2) | instskip(SKIP_1) | instid1(VALU_DEP_3)
	v_add_co_u32 v23, null, v12, v23
	v_cmp_ne_u32_e64 s15, 0, v24
	v_cmp_eq_u32_e64 s14, 0, v22
	s_delay_alu instid0(VALU_DEP_3)
	v_add_co_u32 v23, null, v23, 32
	s_and_b32 s15, s15, s14
	s_wait_alu 0xfffe
	s_and_saveexec_b32 s14, s15
; %bb.97:                               ;   in Loop: Header=BB88_96 Depth=1
	v_bcnt_u32_b32 v24, v24, 0
	ds_store_b32 v23, v24
; %bb.98:                               ;   in Loop: Header=BB88_96 Depth=1
	s_wait_alu 0xfffe
	s_or_b32 exec_lo, exec_lo, s14
	v_bfe_u32 v24, v64, 8, 8
	; wave barrier
	s_delay_alu instid0(VALU_DEP_1) | instskip(NEXT) | instid1(VALU_DEP_1)
	v_lshrrev_b32_e32 v24, v10, v24
	v_and_b32_e32 v24, v24, v30
	s_delay_alu instid0(VALU_DEP_1)
	v_and_b32_e32 v25, 1, v24
	v_lshlrev_b32_e32 v26, 30, v24
	v_lshlrev_b32_e32 v27, 29, v24
	;; [unrolled: 1-line block ×4, first 2 shown]
	v_add_co_u32 v25, s14, v25, -1
	s_wait_alu 0xf1ff
	v_cndmask_b32_e64 v29, 0, 1, s14
	v_not_b32_e32 v34, v26
	v_cmp_gt_i32_e64 s15, 0, v26
	v_not_b32_e32 v26, v27
	v_lshlrev_b32_e32 v32, 26, v24
	v_cmp_ne_u32_e64 s14, 0, v29
	v_ashrrev_i32_e32 v34, 31, v34
	v_lshlrev_b32_e32 v33, 25, v24
	v_ashrrev_i32_e32 v26, 31, v26
	v_lshlrev_b32_e32 v29, 24, v24
	s_wait_alu 0xf1ff
	v_xor_b32_e32 v25, s14, v25
	v_cmp_gt_i32_e64 s14, 0, v27
	v_not_b32_e32 v27, v28
	v_xor_b32_e32 v34, s15, v34
	v_cmp_gt_i32_e64 s15, 0, v28
	v_and_b32_e32 v25, exec_lo, v25
	v_not_b32_e32 v28, v31
	v_ashrrev_i32_e32 v27, 31, v27
	s_wait_alu 0xf1ff
	v_xor_b32_e32 v26, s14, v26
	v_cmp_gt_i32_e64 s14, 0, v31
	v_and_b32_e32 v25, v25, v34
	v_not_b32_e32 v31, v32
	v_ashrrev_i32_e32 v28, 31, v28
	v_xor_b32_e32 v27, s15, v27
	v_cmp_gt_i32_e64 s15, 0, v32
	v_and_b32_e32 v25, v25, v26
	v_not_b32_e32 v26, v33
	v_ashrrev_i32_e32 v31, 31, v31
	s_wait_alu 0xf1ff
	v_xor_b32_e32 v28, s14, v28
	v_cmp_gt_i32_e64 s14, 0, v33
	v_and_b32_e32 v25, v25, v27
	v_not_b32_e32 v27, v29
	v_ashrrev_i32_e32 v26, 31, v26
	v_xor_b32_e32 v31, s15, v31
	v_lshl_add_u32 v24, v24, 3, v55
	v_and_b32_e32 v25, v25, v28
	v_cmp_gt_i32_e64 s15, 0, v29
	v_ashrrev_i32_e32 v27, 31, v27
	s_wait_alu 0xf1ff
	v_xor_b32_e32 v26, s14, v26
	v_lshl_add_u32 v28, v24, 2, v12
	v_and_b32_e32 v25, v25, v31
	v_xor_b32_e32 v27, s15, v27
	ds_load_b32 v24, v28 offset:32
	v_and_b32_e32 v25, v25, v26
	v_add_nc_u32_e32 v26, 32, v28
	; wave barrier
	s_delay_alu instid0(VALU_DEP_2) | instskip(NEXT) | instid1(VALU_DEP_1)
	v_and_b32_e32 v27, v25, v27
	v_mbcnt_lo_u32_b32 v25, v27, 0
	v_cmp_ne_u32_e64 s15, 0, v27
	s_delay_alu instid0(VALU_DEP_2)
	v_cmp_eq_u32_e64 s14, 0, v25
	s_and_b32 s15, s15, s14
	s_wait_alu 0xfffe
	s_and_saveexec_b32 s14, s15
	s_cbranch_execz .LBB88_100
; %bb.99:                               ;   in Loop: Header=BB88_96 Depth=1
	s_wait_dscnt 0x0
	v_bcnt_u32_b32 v27, v27, v24
	ds_store_b32 v26, v27
.LBB88_100:                             ;   in Loop: Header=BB88_96 Depth=1
	s_wait_alu 0xfffe
	s_or_b32 exec_lo, exec_lo, s14
	v_bfe_u32 v27, v64, 16, 8
	; wave barrier
	s_delay_alu instid0(VALU_DEP_1) | instskip(NEXT) | instid1(VALU_DEP_1)
	v_lshrrev_b32_e32 v27, v10, v27
	v_and_b32_e32 v27, v27, v30
	s_delay_alu instid0(VALU_DEP_1)
	v_and_b32_e32 v28, 1, v27
	v_lshlrev_b32_e32 v29, 30, v27
	v_lshlrev_b32_e32 v31, 29, v27
	;; [unrolled: 1-line block ×4, first 2 shown]
	v_add_co_u32 v28, s14, v28, -1
	s_wait_alu 0xf1ff
	v_cndmask_b32_e64 v33, 0, 1, s14
	v_not_b32_e32 v37, v29
	v_cmp_gt_i32_e64 s15, 0, v29
	v_not_b32_e32 v29, v31
	v_lshlrev_b32_e32 v35, 26, v27
	v_cmp_ne_u32_e64 s14, 0, v33
	v_ashrrev_i32_e32 v37, 31, v37
	v_lshlrev_b32_e32 v36, 25, v27
	v_ashrrev_i32_e32 v29, 31, v29
	v_lshlrev_b32_e32 v33, 24, v27
	s_wait_alu 0xf1ff
	v_xor_b32_e32 v28, s14, v28
	v_cmp_gt_i32_e64 s14, 0, v31
	v_not_b32_e32 v31, v32
	v_xor_b32_e32 v37, s15, v37
	v_cmp_gt_i32_e64 s15, 0, v32
	v_and_b32_e32 v28, exec_lo, v28
	v_not_b32_e32 v32, v34
	v_ashrrev_i32_e32 v31, 31, v31
	s_wait_alu 0xf1ff
	v_xor_b32_e32 v29, s14, v29
	v_cmp_gt_i32_e64 s14, 0, v34
	v_and_b32_e32 v28, v28, v37
	v_not_b32_e32 v34, v35
	v_ashrrev_i32_e32 v32, 31, v32
	v_xor_b32_e32 v31, s15, v31
	v_cmp_gt_i32_e64 s15, 0, v35
	v_and_b32_e32 v28, v28, v29
	v_not_b32_e32 v29, v36
	v_ashrrev_i32_e32 v34, 31, v34
	s_wait_alu 0xf1ff
	v_xor_b32_e32 v32, s14, v32
	v_cmp_gt_i32_e64 s14, 0, v36
	v_and_b32_e32 v28, v28, v31
	v_not_b32_e32 v31, v33
	v_ashrrev_i32_e32 v29, 31, v29
	v_xor_b32_e32 v34, s15, v34
	v_lshl_add_u32 v27, v27, 3, v55
	v_and_b32_e32 v28, v28, v32
	v_cmp_gt_i32_e64 s15, 0, v33
	v_ashrrev_i32_e32 v31, 31, v31
	s_wait_alu 0xf1ff
	v_xor_b32_e32 v29, s14, v29
	v_lshl_add_u32 v32, v27, 2, v12
	v_and_b32_e32 v28, v28, v34
	v_xor_b32_e32 v31, s15, v31
	ds_load_b32 v27, v32 offset:32
	v_and_b32_e32 v28, v28, v29
	v_add_nc_u32_e32 v29, 32, v32
	; wave barrier
	s_delay_alu instid0(VALU_DEP_2) | instskip(NEXT) | instid1(VALU_DEP_1)
	v_and_b32_e32 v31, v28, v31
	v_mbcnt_lo_u32_b32 v28, v31, 0
	v_cmp_ne_u32_e64 s15, 0, v31
	s_delay_alu instid0(VALU_DEP_2)
	v_cmp_eq_u32_e64 s14, 0, v28
	s_and_b32 s15, s15, s14
	s_wait_alu 0xfffe
	s_and_saveexec_b32 s14, s15
	s_cbranch_execz .LBB88_102
; %bb.101:                              ;   in Loop: Header=BB88_96 Depth=1
	s_wait_dscnt 0x0
	v_bcnt_u32_b32 v31, v31, v27
	ds_store_b32 v29, v31
.LBB88_102:                             ;   in Loop: Header=BB88_96 Depth=1
	s_wait_alu 0xfffe
	s_or_b32 exec_lo, exec_lo, s14
	v_lshrrev_b32_e32 v87, 24, v64
	; wave barrier
	s_delay_alu instid0(VALU_DEP_1) | instskip(NEXT) | instid1(VALU_DEP_1)
	v_lshrrev_b32_e32 v31, v10, v87
	v_and_b32_e32 v30, v31, v30
	s_delay_alu instid0(VALU_DEP_1)
	v_and_b32_e32 v31, 1, v30
	v_lshlrev_b32_e32 v32, 30, v30
	v_lshlrev_b32_e32 v33, 29, v30
	;; [unrolled: 1-line block ×4, first 2 shown]
	v_add_co_u32 v31, s14, v31, -1
	s_wait_alu 0xf1ff
	v_cndmask_b32_e64 v35, 0, 1, s14
	v_not_b32_e32 v39, v32
	v_cmp_gt_i32_e64 s15, 0, v32
	v_not_b32_e32 v32, v33
	v_lshlrev_b32_e32 v37, 26, v30
	v_cmp_ne_u32_e64 s14, 0, v35
	v_ashrrev_i32_e32 v39, 31, v39
	v_lshlrev_b32_e32 v38, 25, v30
	v_ashrrev_i32_e32 v32, 31, v32
	v_lshlrev_b32_e32 v35, 24, v30
	s_wait_alu 0xf1ff
	v_xor_b32_e32 v31, s14, v31
	v_cmp_gt_i32_e64 s14, 0, v33
	v_not_b32_e32 v33, v34
	v_xor_b32_e32 v39, s15, v39
	v_cmp_gt_i32_e64 s15, 0, v34
	v_and_b32_e32 v31, exec_lo, v31
	v_not_b32_e32 v34, v36
	v_ashrrev_i32_e32 v33, 31, v33
	s_wait_alu 0xf1ff
	v_xor_b32_e32 v32, s14, v32
	v_cmp_gt_i32_e64 s14, 0, v36
	v_and_b32_e32 v31, v31, v39
	v_not_b32_e32 v36, v37
	v_ashrrev_i32_e32 v34, 31, v34
	v_xor_b32_e32 v33, s15, v33
	v_cmp_gt_i32_e64 s15, 0, v37
	v_and_b32_e32 v31, v31, v32
	v_not_b32_e32 v32, v38
	v_ashrrev_i32_e32 v36, 31, v36
	s_wait_alu 0xf1ff
	v_xor_b32_e32 v34, s14, v34
	v_cmp_gt_i32_e64 s14, 0, v38
	v_and_b32_e32 v31, v31, v33
	v_not_b32_e32 v33, v35
	v_ashrrev_i32_e32 v32, 31, v32
	v_xor_b32_e32 v36, s15, v36
	v_lshl_add_u32 v30, v30, 3, v55
	v_and_b32_e32 v31, v31, v34
	v_cmp_gt_i32_e64 s15, 0, v35
	v_ashrrev_i32_e32 v33, 31, v33
	s_wait_alu 0xf1ff
	v_xor_b32_e32 v32, s14, v32
	v_lshl_add_u32 v34, v30, 2, v12
	v_and_b32_e32 v31, v31, v36
	v_xor_b32_e32 v33, s15, v33
	ds_load_b32 v30, v34 offset:32
	v_and_b32_e32 v31, v31, v32
	v_add_nc_u32_e32 v32, 32, v34
	; wave barrier
	s_delay_alu instid0(VALU_DEP_2) | instskip(NEXT) | instid1(VALU_DEP_1)
	v_and_b32_e32 v33, v31, v33
	v_mbcnt_lo_u32_b32 v31, v33, 0
	v_cmp_ne_u32_e64 s15, 0, v33
	s_delay_alu instid0(VALU_DEP_2)
	v_cmp_eq_u32_e64 s14, 0, v31
	s_and_b32 s15, s15, s14
	s_wait_alu 0xfffe
	s_and_saveexec_b32 s14, s15
	s_cbranch_execz .LBB88_104
; %bb.103:                              ;   in Loop: Header=BB88_96 Depth=1
	s_wait_dscnt 0x0
	v_bcnt_u32_b32 v33, v33, v30
	ds_store_b32 v32, v33
.LBB88_104:                             ;   in Loop: Header=BB88_96 Depth=1
	s_wait_alu 0xfffe
	s_or_b32 exec_lo, exec_lo, s14
	; wave barrier
	s_wait_loadcnt_dscnt 0x0
	s_barrier_signal -1
	s_barrier_wait -1
	global_inv scope:SCOPE_SE
	ds_load_b32 v34, v9
	ds_load_b32 v35, v48
	;; [unrolled: 1-line block ×8, first 2 shown]
	s_wait_dscnt 0x6
	v_add_nc_u32_e32 v97, v35, v34
	s_wait_dscnt 0x4
	s_delay_alu instid0(VALU_DEP_1) | instskip(SKIP_1) | instid1(VALU_DEP_1)
	v_add3_u32 v97, v97, v36, v37
	s_wait_dscnt 0x2
	v_add3_u32 v97, v97, v38, v39
	s_wait_dscnt 0x0
	s_delay_alu instid0(VALU_DEP_1) | instskip(NEXT) | instid1(VALU_DEP_1)
	v_add3_u32 v96, v97, v33, v96
	v_mov_b32_dpp v97, v96 row_shr:1 row_mask:0xf bank_mask:0xf
	s_wait_alu 0xfffd
	s_delay_alu instid0(VALU_DEP_1) | instskip(NEXT) | instid1(VALU_DEP_1)
	v_cndmask_b32_e64 v97, v97, 0, vcc_lo
	v_add_nc_u32_e32 v96, v97, v96
	s_delay_alu instid0(VALU_DEP_1) | instskip(NEXT) | instid1(VALU_DEP_1)
	v_mov_b32_dpp v97, v96 row_shr:2 row_mask:0xf bank_mask:0xf
	v_cndmask_b32_e64 v97, 0, v97, s0
	s_delay_alu instid0(VALU_DEP_1) | instskip(NEXT) | instid1(VALU_DEP_1)
	v_add_nc_u32_e32 v96, v96, v97
	v_mov_b32_dpp v97, v96 row_shr:4 row_mask:0xf bank_mask:0xf
	s_delay_alu instid0(VALU_DEP_1) | instskip(NEXT) | instid1(VALU_DEP_1)
	v_cndmask_b32_e64 v97, 0, v97, s1
	v_add_nc_u32_e32 v96, v96, v97
	s_delay_alu instid0(VALU_DEP_1) | instskip(NEXT) | instid1(VALU_DEP_1)
	v_mov_b32_dpp v97, v96 row_shr:8 row_mask:0xf bank_mask:0xf
	v_cndmask_b32_e64 v97, 0, v97, s3
	s_delay_alu instid0(VALU_DEP_1) | instskip(SKIP_3) | instid1(VALU_DEP_1)
	v_add_nc_u32_e32 v96, v96, v97
	ds_swizzle_b32 v97, v96 offset:swizzle(BROADCAST,32,15)
	s_wait_dscnt 0x0
	v_cndmask_b32_e64 v97, v97, 0, s4
	v_add_nc_u32_e32 v96, v96, v97
	s_and_saveexec_b32 s14, s5
; %bb.105:                              ;   in Loop: Header=BB88_96 Depth=1
	ds_store_b32 v66, v96
; %bb.106:                              ;   in Loop: Header=BB88_96 Depth=1
	s_wait_alu 0xfffe
	s_or_b32 exec_lo, exec_lo, s14
	s_wait_loadcnt_dscnt 0x0
	s_barrier_signal -1
	s_barrier_wait -1
	global_inv scope:SCOPE_SE
	s_and_saveexec_b32 s14, s6
	s_cbranch_execz .LBB88_108
; %bb.107:                              ;   in Loop: Header=BB88_96 Depth=1
	ds_load_b32 v97, v69
	s_wait_dscnt 0x0
	v_mov_b32_dpp v99, v97 row_shr:1 row_mask:0xf bank_mask:0xf
	s_delay_alu instid0(VALU_DEP_1) | instskip(NEXT) | instid1(VALU_DEP_1)
	v_cndmask_b32_e64 v99, v99, 0, s11
	v_add_nc_u32_e32 v97, v99, v97
	s_delay_alu instid0(VALU_DEP_1) | instskip(NEXT) | instid1(VALU_DEP_1)
	v_mov_b32_dpp v99, v97 row_shr:2 row_mask:0xf bank_mask:0xf
	v_cndmask_b32_e64 v99, 0, v99, s12
	s_delay_alu instid0(VALU_DEP_1) | instskip(NEXT) | instid1(VALU_DEP_1)
	v_add_nc_u32_e32 v97, v97, v99
	v_mov_b32_dpp v99, v97 row_shr:4 row_mask:0xf bank_mask:0xf
	s_delay_alu instid0(VALU_DEP_1) | instskip(NEXT) | instid1(VALU_DEP_1)
	v_cndmask_b32_e64 v99, 0, v99, s13
	v_add_nc_u32_e32 v97, v97, v99
	ds_store_b32 v69, v97
.LBB88_108:                             ;   in Loop: Header=BB88_96 Depth=1
	s_wait_alu 0xfffe
	s_or_b32 exec_lo, exec_lo, s14
	v_mov_b32_e32 v97, 0
	s_wait_loadcnt_dscnt 0x0
	s_barrier_signal -1
	s_barrier_wait -1
	global_inv scope:SCOPE_SE
	s_and_saveexec_b32 s14, s7
; %bb.109:                              ;   in Loop: Header=BB88_96 Depth=1
	ds_load_b32 v97, v71
; %bb.110:                              ;   in Loop: Header=BB88_96 Depth=1
	s_wait_alu 0xfffe
	s_or_b32 exec_lo, exec_lo, s14
	s_wait_dscnt 0x0
	v_add_nc_u32_e32 v96, v97, v96
	v_add_nc_u32_e32 v10, 8, v10
	v_lshrrev_b32_e32 v101, 8, v64
	v_lshrrev_b32_e32 v102, 16, v64
	s_mov_b32 s20, -1
	ds_bpermute_b32 v96, v65, v96
	v_mov_b32_e32 v100, v64
	s_wait_dscnt 0x0
	v_cndmask_b32_e64 v96, v96, v97, s2
	s_delay_alu instid0(VALU_DEP_1) | instskip(NEXT) | instid1(VALU_DEP_1)
	v_cndmask_b32_e64 v96, v96, 0, s10
	v_add_nc_u32_e32 v34, v96, v34
	s_delay_alu instid0(VALU_DEP_1) | instskip(SKIP_4) | instid1(VALU_DEP_1)
	v_add_nc_u32_e32 v35, v34, v35
	ds_store_b32 v9, v96
	ds_store_b32 v48, v34
	;; [unrolled: 1-line block ×3, first 2 shown]
	v_add_nc_u32_e32 v36, v35, v36
	v_add_nc_u32_e32 v37, v36, v37
	s_delay_alu instid0(VALU_DEP_1) | instskip(NEXT) | instid1(VALU_DEP_1)
	v_add_nc_u32_e32 v38, v37, v38
	v_add_nc_u32_e32 v39, v38, v39
	s_delay_alu instid0(VALU_DEP_1)
	v_add_nc_u32_e32 v33, v39, v33
	ds_store_b32 v50, v36
	ds_store_b32 v51, v37
	ds_store_b32 v52, v38
	ds_store_b32 v53, v39
	ds_store_b32 v54, v33
	s_wait_loadcnt_dscnt 0x0
	s_barrier_signal -1
	s_barrier_wait -1
	global_inv scope:SCOPE_SE
	ds_load_b32 v23, v23
	ds_load_b32 v26, v26
	;; [unrolled: 1-line block ×4, first 2 shown]
	s_wait_loadcnt_dscnt 0x0
	v_add_nc_u32_e32 v22, v23, v22
	v_add3_u32 v99, v25, v24, v26
	v_add3_u32 v97, v28, v27, v29
	;; [unrolled: 1-line block ×3, first 2 shown]
                                        ; implicit-def: $vgpr24_vgpr25
                                        ; implicit-def: $vgpr26_vgpr27
                                        ; implicit-def: $vgpr28_vgpr29
	s_delay_alu instid0(VALU_DEP_4)
	v_add_co_u32 v38, s15, v12, v22
	s_wait_alu 0xf1ff
	v_add_co_ci_u32_e64 v39, null, 0, v13, s15
	v_add_co_u32 v30, s15, v12, v99
	s_wait_alu 0xf1ff
	v_add_co_ci_u32_e64 v31, null, 0, v13, s15
	v_add_co_u32 v34, s15, v12, v97
	v_mad_co_u64_u32 v[32:33], null, v22, 7, v[38:39]
	s_wait_alu 0xf1ff
	v_add_co_ci_u32_e64 v35, null, 0, v13, s15
	v_add_co_u32 v36, s15, v12, v96
	s_wait_alu 0xf1ff
	v_add_co_ci_u32_e64 v37, null, 0, v13, s15
	s_mov_b32 s15, exec_lo
                                        ; implicit-def: $vgpr22_vgpr23
	v_cmpx_lt_u32_e64 v10, v11
	s_cbranch_execz .LBB88_95
; %bb.111:                              ;   in Loop: Header=BB88_96 Depth=1
	s_barrier_signal -1
	s_barrier_wait -1
	global_inv scope:SCOPE_SE
	ds_store_b8 v38, v64
	ds_store_b8 v30, v101
	;; [unrolled: 1-line block ×4, first 2 shown]
	s_wait_loadcnt_dscnt 0x0
	s_barrier_signal -1
	s_barrier_wait -1
	global_inv scope:SCOPE_SE
	ds_load_u8 v33, v80
	ds_load_u8 v39, v68
	;; [unrolled: 1-line block ×4, first 2 shown]
	v_mad_co_u64_u32 v[22:23], null, v99, 7, v[30:31]
	v_mad_co_u64_u32 v[23:24], null, v97, 7, v[34:35]
	;; [unrolled: 1-line block ×3, first 2 shown]
	s_wait_loadcnt_dscnt 0x0
	s_barrier_signal -1
	s_barrier_wait -1
	global_inv scope:SCOPE_SE
	ds_store_b64 v32, v[18:19]
	ds_store_b64 v22, v[15:16]
	;; [unrolled: 1-line block ×4, first 2 shown]
	s_wait_loadcnt_dscnt 0x0
	s_barrier_signal -1
	s_barrier_wait -1
	global_inv scope:SCOPE_SE
	ds_load_b64 v[24:25], v70
	ds_load_b64 v[26:27], v83
	;; [unrolled: 1-line block ×4, first 2 shown]
	v_add_nc_u32_e32 v86, -8, v86
	v_perm_b32 v33, v39, v33, 0xc0c0004
	s_xor_b32 s20, exec_lo, -1
	v_perm_b32 v39, v103, v64, 0xc0c0004
	s_wait_loadcnt_dscnt 0x0
	s_barrier_signal -1
	s_barrier_wait -1
	global_inv scope:SCOPE_SE
	v_lshl_or_b32 v64, v39, 16, v33
	s_branch .LBB88_95
.LBB88_112:
	flat_load_b64 v[32:33], v[4:5]
	s_wait_alu 0xfffe
	s_or_b32 exec_lo, exec_lo, s7
                                        ; implicit-def: $vgpr36_vgpr37
	s_and_saveexec_b32 s7, s0
	s_cbranch_execz .LBB88_20
.LBB88_113:
	flat_load_b64 v[36:37], v[4:5] offset:256
	s_wait_alu 0xfffe
	s_or_b32 exec_lo, exec_lo, s7
                                        ; implicit-def: $vgpr38_vgpr39
	s_and_saveexec_b32 s0, s1
	s_cbranch_execz .LBB88_21
.LBB88_114:
	flat_load_b64 v[38:39], v[4:5] offset:512
	s_wait_alu 0xfffe
	s_or_b32 exec_lo, exec_lo, s0
                                        ; implicit-def: $vgpr48_vgpr49
	s_and_saveexec_b32 s0, s2
	s_cbranch_execz .LBB88_22
.LBB88_115:
	flat_load_b64 v[48:49], v[4:5] offset:768
	s_wait_alu 0xfffe
	s_or_b32 exec_lo, exec_lo, s0
                                        ; implicit-def: $vgpr50_vgpr51
	s_and_saveexec_b32 s0, s3
	s_cbranch_execz .LBB88_23
.LBB88_116:
	flat_load_b64 v[50:51], v[4:5] offset:1024
	s_wait_alu 0xfffe
	s_or_b32 exec_lo, exec_lo, s0
                                        ; implicit-def: $vgpr52_vgpr53
	s_and_saveexec_b32 s0, s4
	s_cbranch_execz .LBB88_24
.LBB88_117:
	flat_load_b64 v[52:53], v[4:5] offset:1280
	s_wait_alu 0xfffe
	s_or_b32 exec_lo, exec_lo, s0
                                        ; implicit-def: $vgpr54_vgpr55
	s_and_saveexec_b32 s0, s5
	s_cbranch_execz .LBB88_25
.LBB88_118:
	flat_load_b64 v[54:55], v[4:5] offset:1536
	s_wait_alu 0xfffe
	s_or_b32 exec_lo, exec_lo, s0
                                        ; implicit-def: $vgpr34_vgpr35
	s_and_saveexec_b32 s0, s6
	s_cbranch_execnz .LBB88_26
	s_branch .LBB88_27
.LBB88_119:
	flat_store_b64 v[0:1], v[21:22]
	s_wait_alu 0xfffe
	s_or_b32 exec_lo, exec_lo, s7
	s_and_saveexec_b32 s7, s0
	s_cbranch_execz .LBB88_71
.LBB88_120:
	flat_store_b64 v[0:1], v[23:24] offset:2048
	s_wait_alu 0xfffe
	s_or_b32 exec_lo, exec_lo, s7
	s_and_saveexec_b32 s0, s1
	s_cbranch_execz .LBB88_72
.LBB88_121:
	flat_store_b64 v[0:1], v[17:18] offset:4096
	s_wait_alu 0xfffe
	s_or_b32 exec_lo, exec_lo, s0
	s_and_saveexec_b32 s0, s2
	s_cbranch_execz .LBB88_73
.LBB88_122:
	flat_store_b64 v[0:1], v[19:20] offset:6144
	s_wait_alu 0xfffe
	s_or_b32 exec_lo, exec_lo, s0
	s_and_saveexec_b32 s0, s3
	s_cbranch_execz .LBB88_74
.LBB88_123:
	flat_store_b64 v[0:1], v[13:14] offset:8192
	s_wait_alu 0xfffe
	s_or_b32 exec_lo, exec_lo, s0
	s_and_saveexec_b32 s0, s4
	s_cbranch_execz .LBB88_75
.LBB88_124:
	flat_store_b64 v[0:1], v[15:16] offset:10240
	s_wait_alu 0xfffe
	s_or_b32 exec_lo, exec_lo, s0
	s_and_saveexec_b32 s0, s5
	s_cbranch_execz .LBB88_76
.LBB88_125:
	flat_store_b64 v[0:1], v[9:10] offset:12288
	s_wait_alu 0xfffe
	s_or_b32 exec_lo, exec_lo, s0
	s_and_saveexec_b32 s0, s6
	s_cbranch_execnz .LBB88_77
	s_branch .LBB88_78
.LBB88_126:
	s_or_b32 exec_lo, exec_lo, s19
	v_mad_co_u64_u32 v[9:10], null, v99, 7, v[30:31]
	v_mad_co_u64_u32 v[10:11], null, v97, 7, v[34:35]
	v_add_nc_u32_e32 v13, v12, v14
	v_mad_co_u64_u32 v[11:12], null, v96, 7, v[36:37]
	v_mul_u32_u24_e32 v12, 7, v14
	s_barrier_signal -1
	s_barrier_wait -1
	s_wait_loadcnt 0x0
	global_inv scope:SCOPE_SE
	ds_store_b8 v38, v100
	ds_store_b8 v30, v101
	;; [unrolled: 1-line block ×4, first 2 shown]
	s_wait_loadcnt_dscnt 0x0
	s_barrier_signal -1
	s_barrier_wait -1
	global_inv scope:SCOPE_SE
	ds_load_u8 v25, v13
	ds_load_u8 v24, v13 offset:256
	ds_load_u8 v23, v13 offset:512
	;; [unrolled: 1-line block ×3, first 2 shown]
	s_wait_loadcnt_dscnt 0x0
	s_barrier_signal -1
	s_barrier_wait -1
	global_inv scope:SCOPE_SE
	ds_store_b64 v32, v[18:19]
	ds_store_b64 v9, v[15:16]
	;; [unrolled: 1-line block ×4, first 2 shown]
	v_mov_b32_e32 v18, 0
	v_add_nc_u32_e32 v4, v13, v12
	s_wait_loadcnt_dscnt 0x0
	s_barrier_signal -1
	s_barrier_wait -1
	global_inv scope:SCOPE_SE
	ds_load_2addr_stride64_b64 v[13:16], v4 offset1:4
	ds_load_2addr_stride64_b64 v[9:12], v4 offset0:8 offset1:12
	v_add_co_u32 v2, vcc_lo, v2, v8
	s_wait_alu 0xfffd
	v_add_co_ci_u32_e64 v3, null, 0, v3, vcc_lo
	s_wait_loadcnt_dscnt 0x0
	s_delay_alu instid0(VALU_DEP_2) | instskip(SKIP_1) | instid1(VALU_DEP_2)
	v_add_co_u32 v2, vcc_lo, v2, v17
	s_wait_alu 0xfffd
	v_add_co_ci_u32_e64 v3, null, 0, v3, vcc_lo
	v_cmp_lt_u32_e32 vcc_lo, v17, v98
	s_barrier_signal -1
	s_barrier_wait -1
	global_inv scope:SCOPE_SE
	s_and_saveexec_b32 s0, vcc_lo
	s_cbranch_execz .LBB88_128
; %bb.127:
	v_xor_b32_e32 v4, -1, v25
	flat_store_b8 v[2:3], v4
.LBB88_128:
	s_wait_alu 0xfffe
	s_or_b32 exec_lo, exec_lo, s0
	v_add_nc_u32_e32 v4, 0x100, v17
	s_delay_alu instid0(VALU_DEP_1)
	v_cmp_lt_u32_e64 s0, v4, v98
	s_and_saveexec_b32 s1, s0
	s_cbranch_execz .LBB88_130
; %bb.129:
	v_xor_b32_e32 v4, -1, v24
	flat_store_b8 v[2:3], v4 offset:256
.LBB88_130:
	s_wait_alu 0xfffe
	s_or_b32 exec_lo, exec_lo, s1
	v_add_nc_u32_e32 v4, 0x200, v17
	s_delay_alu instid0(VALU_DEP_1)
	v_cmp_lt_u32_e64 s1, v4, v98
	s_and_saveexec_b32 s2, s1
	s_cbranch_execz .LBB88_132
; %bb.131:
	v_xor_b32_e32 v4, -1, v23
	flat_store_b8 v[2:3], v4 offset:512
.LBB88_132:
	;; [unrolled: 11-line block ×3, first 2 shown]
	s_wait_alu 0xfffe
	s_or_b32 exec_lo, exec_lo, s3
	v_lshlrev_b64_e32 v[2:3], 3, v[17:18]
	v_add_co_u32 v0, s3, v6, v0
	s_wait_alu 0xf1ff
	v_add_co_ci_u32_e64 v1, null, v7, v1, s3
	s_delay_alu instid0(VALU_DEP_2) | instskip(SKIP_1) | instid1(VALU_DEP_2)
	v_add_co_u32 v0, s3, v0, v2
	s_wait_alu 0xf1ff
	v_add_co_ci_u32_e64 v1, null, v1, v3, s3
	s_and_saveexec_b32 s3, vcc_lo
	s_cbranch_execnz .LBB88_167
; %bb.135:
	s_wait_alu 0xfffe
	s_or_b32 exec_lo, exec_lo, s3
	s_and_saveexec_b32 s3, s0
	s_cbranch_execnz .LBB88_168
.LBB88_136:
	s_wait_alu 0xfffe
	s_or_b32 exec_lo, exec_lo, s3
	s_and_saveexec_b32 s0, s1
	s_cbranch_execnz .LBB88_169
.LBB88_137:
	s_wait_alu 0xfffe
	s_or_b32 exec_lo, exec_lo, s0
	s_and_saveexec_b32 s0, s2
	s_cbranch_execz .LBB88_139
.LBB88_138:
	flat_store_b64 v[0:1], v[11:12] offset:6144
.LBB88_139:
	s_wait_alu 0xfffe
	s_or_b32 exec_lo, exec_lo, s0
                                        ; implicit-def: $vgpr98
                                        ; implicit-def: $vgpr0
                                        ; implicit-def: $vgpr1
                                        ; implicit-def: $vgpr2
                                        ; implicit-def: $vgpr3
                                        ; implicit-def: $vgpr4
                                        ; implicit-def: $vgpr5
                                        ; implicit-def: $vgpr6
                                        ; implicit-def: $vgpr7
                                        ; implicit-def: $vgpr8
                                        ; implicit-def: $vgpr10
                                        ; implicit-def: $vgpr11
                                        ; implicit-def: $vgpr12
                                        ; implicit-def: $vgpr13
                                        ; implicit-def: $vgpr9
                                        ; implicit-def: $vgpr15
                                        ; implicit-def: $vgpr14
                                        ; implicit-def: $vgpr30
.LBB88_140:
	s_wait_alu 0xfffe
	s_and_not1_saveexec_b32 s0, s17
	s_cbranch_execz .LBB88_199
; %bb.141:
	s_load_b64 s[0:1], s[8:9], 0x0
	s_and_b32 s2, ttmp7, 0xffff
	s_mov_b32 s3, 0
	s_wait_kmcnt 0x0
	s_wait_alu 0xfffe
	s_cmp_lt_u32 s2, s1
	s_cselect_b32 s2, 14, 20
	s_cmp_lt_u32 ttmp9, s0
	s_wait_alu 0xfffe
	s_add_nc_u64 s[4:5], s[8:9], s[2:3]
	s_cselect_b32 s2, 12, 18
	s_load_u16 s4, s[4:5], 0x0
	s_add_nc_u64 s[0:1], s[8:9], s[2:3]
	s_load_u16 s0, s[0:1], 0x0
	s_wait_kmcnt 0x0
	v_mad_u32_u24 v9, v15, s4, v9
	s_delay_alu instid0(VALU_DEP_1)
	v_mad_co_u64_u32 v[15:16], null, v9, s0, v[14:15]
	v_mov_b32_e32 v9, 0
	s_mov_b32 s0, exec_lo
	v_cmpx_lt_u32_e32 0x100, v98
	s_wait_alu 0xfffe
	s_xor_b32 s14, exec_lo, s0
	s_cbranch_execz .LBB88_179
; %bb.142:
	s_delay_alu instid0(VALU_DEP_3) | instskip(SKIP_3) | instid1(VALU_DEP_3)
	v_dual_mov_b32 v17, v9 :: v_dual_lshlrev_b32 v16, 1, v15
	v_add_co_u32 v0, vcc_lo, v0, v8
	s_wait_alu 0xfffd
	v_add_co_ci_u32_e64 v1, null, 0, v1, vcc_lo
	v_and_b32_e32 v16, 0xffffffc0, v16
	s_delay_alu instid0(VALU_DEP_3) | instskip(SKIP_1) | instid1(VALU_DEP_3)
	v_add_co_u32 v0, vcc_lo, v0, v30
	s_wait_alu 0xfffd
	v_add_co_ci_u32_e64 v1, null, 0, v1, vcc_lo
	s_delay_alu instid0(VALU_DEP_3) | instskip(NEXT) | instid1(VALU_DEP_3)
	v_or_b32_e32 v18, v30, v16
	v_add_co_u32 v0, vcc_lo, v0, v16
	s_wait_alu 0xfffd
	s_delay_alu instid0(VALU_DEP_3) | instskip(NEXT) | instid1(VALU_DEP_3)
	v_add_co_ci_u32_e64 v1, null, 0, v1, vcc_lo
	v_cmp_lt_u32_e32 vcc_lo, v18, v98
	v_mov_b32_e32 v22, v9
	s_and_saveexec_b32 s0, vcc_lo
	s_cbranch_execz .LBB88_144
; %bb.143:
	flat_load_u8 v22, v[0:1]
.LBB88_144:
	s_wait_alu 0xfffe
	s_or_b32 exec_lo, exec_lo, s0
	v_or_b32_e32 v18, 32, v18
	v_mov_b32_e32 v23, v9
	s_delay_alu instid0(VALU_DEP_2)
	v_cmp_lt_u32_e64 s0, v18, v98
	s_and_saveexec_b32 s1, s0
	s_cbranch_execz .LBB88_146
; %bb.145:
	flat_load_u8 v23, v[0:1] offset:32
.LBB88_146:
	s_wait_alu 0xfffe
	s_or_b32 exec_lo, exec_lo, s1
	v_lshlrev_b64_e32 v[0:1], 3, v[8:9]
	v_dual_mov_b32 v20, 0 :: v_dual_lshlrev_b32 v9, 3, v30
	v_lshlrev_b64_e32 v[16:17], 3, v[16:17]
	v_dual_mov_b32 v21, 0 :: v_dual_mov_b32 v18, 0
	s_delay_alu instid0(VALU_DEP_4) | instskip(SKIP_3) | instid1(VALU_DEP_3)
	v_add_co_u32 v4, s1, v4, v0
	s_wait_alu 0xf1ff
	v_add_co_ci_u32_e64 v5, null, v5, v1, s1
	v_mov_b32_e32 v19, 0
	v_add_co_u32 v4, s1, v4, v9
	s_wait_alu 0xf1ff
	s_delay_alu instid0(VALU_DEP_3) | instskip(NEXT) | instid1(VALU_DEP_2)
	v_add_co_ci_u32_e64 v5, null, 0, v5, s1
	v_add_co_u32 v4, s1, v4, v16
	s_wait_alu 0xf1ff
	s_delay_alu instid0(VALU_DEP_2)
	v_add_co_ci_u32_e64 v5, null, v5, v17, s1
	s_and_saveexec_b32 s1, vcc_lo
	s_cbranch_execz .LBB88_148
; %bb.147:
	flat_load_b64 v[18:19], v[4:5]
.LBB88_148:
	s_wait_alu 0xfffe
	s_or_b32 exec_lo, exec_lo, s1
	s_and_saveexec_b32 s1, s0
	s_cbranch_execz .LBB88_150
; %bb.149:
	flat_load_b64 v[20:21], v[4:5] offset:256
.LBB88_150:
	s_wait_alu 0xfffe
	s_or_b32 exec_lo, exec_lo, s1
	s_wait_loadcnt_dscnt 0x0
	v_xor_b32_e32 v4, -1, v22
	v_xor_b32_e32 v5, -1, v23
	v_lshl_add_u32 v16, v14, 5, v12
	v_sub_co_u32 v17, s2, v30, 1
	s_delay_alu instid0(VALU_DEP_4) | instskip(NEXT) | instid1(VALU_DEP_4)
	v_dual_mov_b32 v49, 0 :: v_dual_and_b32 v4, 0xff, v4
	v_lshlrev_b16 v5, 8, v5
	s_delay_alu instid0(VALU_DEP_4)
	v_add_nc_u32_e32 v9, 32, v16
	v_add_nc_u32_e32 v29, 36, v16
	;; [unrolled: 1-line block ×4, first 2 shown]
	v_or_b32_e32 v4, v4, v5
	v_add_nc_u32_e32 v33, 48, v16
	v_add_nc_u32_e32 v34, 52, v16
	v_and_b32_e32 v5, 15, v30
	v_add_nc_u32_e32 v35, 56, v16
	v_and_b32_e32 v38, 0xffff, v4
	v_and_b32_e32 v4, 0x3e0, v14
	v_add_nc_u32_e32 v36, 60, v16
	v_and_b32_e32 v16, 16, v30
	v_cmp_gt_i32_e64 s6, 0, v17
	s_getpc_b64 s[0:1]
	s_wait_alu 0xfffe
	s_sext_i32_i16 s1, s1
	s_add_co_u32 s0, s0, _ZN7rocprim17ROCPRIM_400000_NS16block_radix_sortIhLj256ELj2ElLj1ELj1ELj8ELNS0_26block_radix_rank_algorithmE2ELNS0_18block_padding_hintE2ELNS0_4arch9wavefront6targetE0EE19radix_bits_per_passE@rel32@lo+12
	s_wait_alu 0xfffe
	s_add_co_ci_u32 s1, s1, _ZN7rocprim17ROCPRIM_400000_NS16block_radix_sortIhLj256ELj2ElLj1ELj1ELj8ELNS0_26block_radix_rank_algorithmE2ELNS0_18block_padding_hintE2ELNS0_4arch9wavefront6targetE0EE19radix_bits_per_passE@rel32@hi+24
	v_min_u32_e32 v4, 0xe0, v4
	s_load_b32 s15, s[0:1], 0x0
	v_cmp_eq_u32_e32 vcc_lo, 0, v5
	v_cmp_lt_u32_e64 s0, 1, v5
	v_cmp_lt_u32_e64 s1, 3, v5
	v_or_b32_e32 v4, 31, v4
	v_cmp_lt_u32_e64 s3, 7, v5
	v_cmp_eq_u32_e64 s4, 0, v16
	v_cndmask_b32_e64 v5, v17, v30, s6
	v_lshrrev_b32_e32 v16, 3, v14
	v_cmp_eq_u32_e64 s5, v14, v4
	v_lshlrev_b32_e32 v4, 1, v14
	v_lshrrev_b32_e32 v37, 5, v15
	v_lshlrev_b32_e32 v39, 2, v5
	v_and_b32_e32 v5, 0x7c, v16
	v_and_b32_e32 v16, 7, v30
	v_and_or_b32 v4, 0x7c0, v4, v30
	v_cmp_gt_u32_e64 s6, 8, v14
	v_cmp_lt_u32_e64 s7, 31, v14
	v_add_nc_u32_e32 v48, v12, v5
	v_cmp_eq_u32_e64 s8, 0, v14
	v_add_nc_u32_e32 v30, v12, v4
	v_mul_u32_u24_e32 v4, 7, v4
	v_lshl_add_u32 v50, v14, 2, v12
	v_cmp_eq_u32_e64 s9, 0, v16
	v_cmp_lt_u32_e64 s10, 1, v16
	v_cmp_lt_u32_e64 s11, 3, v16
	v_add_nc_u32_e32 v51, v30, v4
	v_add_nc_u32_e32 v52, -4, v48
	v_add_nc_u32_e32 v53, 32, v30
	v_sub_nc_u32_e32 v55, v11, v10
	s_mov_b32 s17, 0
	v_add_nc_u32_e32 v54, 0x100, v51
	s_wait_storecnt 0x0
	s_barrier_signal -1
	s_barrier_wait -1
	global_inv scope:SCOPE_SE
	s_branch .LBB88_152
.LBB88_151:                             ;   in Loop: Header=BB88_152 Depth=1
	s_wait_alu 0xfffe
	s_or_b32 exec_lo, exec_lo, s13
	s_delay_alu instid0(SALU_CYCLE_1)
	s_and_b32 s12, exec_lo, s18
	s_wait_alu 0xfffe
	s_or_b32 s17, s12, s17
	s_wait_alu 0xfffe
	s_and_not1_b32 exec_lo, exec_lo, s17
	s_cbranch_execz .LBB88_170
.LBB88_152:                             ; =>This Inner Loop Header: Depth=1
	s_wait_kmcnt 0x0
	v_min_u32_e32 v4, s15, v55
	v_and_b32_e32 v5, 0xff, v38
	ds_store_b32 v9, v49
	ds_store_b32 v29, v49
	;; [unrolled: 1-line block ×6, first 2 shown]
	v_lshlrev_b32_e64 v4, v4, -1
	v_lshrrev_b32_e32 v5, v10, v5
	ds_store_b32 v35, v49
	ds_store_b32 v36, v49
	s_wait_loadcnt_dscnt 0x0
	s_barrier_signal -1
	v_not_b32_e32 v22, v4
	s_barrier_wait -1
	global_inv scope:SCOPE_SE
	; wave barrier
	v_dual_mov_b32 v4, v20 :: v_dual_and_b32 v23, v5, v22
	s_delay_alu instid0(VALU_DEP_1)
	v_dual_mov_b32 v5, v21 :: v_dual_and_b32 v16, 1, v23
	v_lshlrev_b32_e32 v17, 30, v23
	v_lshlrev_b32_e32 v20, 29, v23
	;; [unrolled: 1-line block ×4, first 2 shown]
	v_add_co_u32 v16, s12, v16, -1
	s_wait_alu 0xf1ff
	v_cndmask_b32_e64 v24, 0, 1, s12
	v_not_b32_e32 v28, v17
	v_cmp_gt_i32_e64 s13, 0, v17
	v_not_b32_e32 v17, v20
	v_lshlrev_b32_e32 v26, 26, v23
	v_cmp_ne_u32_e64 s12, 0, v24
	v_ashrrev_i32_e32 v28, 31, v28
	v_lshlrev_b32_e32 v27, 25, v23
	v_ashrrev_i32_e32 v17, 31, v17
	v_lshlrev_b32_e32 v24, 24, v23
	s_wait_alu 0xf1ff
	v_xor_b32_e32 v16, s12, v16
	v_cmp_gt_i32_e64 s12, 0, v20
	v_not_b32_e32 v20, v21
	v_xor_b32_e32 v28, s13, v28
	v_cmp_gt_i32_e64 s13, 0, v21
	v_and_b32_e32 v16, exec_lo, v16
	v_not_b32_e32 v21, v25
	v_ashrrev_i32_e32 v20, 31, v20
	s_wait_alu 0xf1ff
	v_xor_b32_e32 v17, s12, v17
	v_cmp_gt_i32_e64 s12, 0, v25
	v_and_b32_e32 v16, v16, v28
	v_not_b32_e32 v25, v26
	v_ashrrev_i32_e32 v21, 31, v21
	v_xor_b32_e32 v20, s13, v20
	v_cmp_gt_i32_e64 s13, 0, v26
	v_and_b32_e32 v16, v16, v17
	v_not_b32_e32 v17, v27
	v_ashrrev_i32_e32 v25, 31, v25
	s_wait_alu 0xf1ff
	v_xor_b32_e32 v21, s12, v21
	v_cmp_gt_i32_e64 s12, 0, v27
	v_and_b32_e32 v16, v16, v20
	v_not_b32_e32 v20, v24
	v_ashrrev_i32_e32 v26, 31, v17
	v_xor_b32_e32 v25, s13, v25
	v_cmp_gt_i32_e64 s13, 0, v24
	v_dual_mov_b32 v16, v18 :: v_dual_and_b32 v21, v16, v21
	v_mov_b32_e32 v17, v19
	v_ashrrev_i32_e32 v18, 31, v20
	s_wait_alu 0xf1ff
	v_xor_b32_e32 v19, s12, v26
	v_and_b32_e32 v20, v21, v25
	v_lshlrev_b32_e32 v21, 3, v23
	v_xor_b32_e32 v18, s13, v18
	s_delay_alu instid0(VALU_DEP_3) | instskip(NEXT) | instid1(VALU_DEP_1)
	v_and_b32_e32 v19, v20, v19
	v_and_b32_e32 v20, v19, v18
	s_delay_alu instid0(VALU_DEP_4) | instskip(NEXT) | instid1(VALU_DEP_2)
	v_add_lshl_u32 v19, v21, v37, 2
	v_mbcnt_lo_u32_b32 v18, v20, 0
	s_delay_alu instid0(VALU_DEP_2) | instskip(SKIP_1) | instid1(VALU_DEP_3)
	v_add_co_u32 v19, null, v12, v19
	v_cmp_ne_u32_e64 s13, 0, v20
	v_cmp_eq_u32_e64 s12, 0, v18
	s_delay_alu instid0(VALU_DEP_3)
	v_add_co_u32 v19, null, v19, 32
	s_and_b32 s13, s13, s12
	s_wait_alu 0xfffe
	s_and_saveexec_b32 s12, s13
; %bb.153:                              ;   in Loop: Header=BB88_152 Depth=1
	v_bcnt_u32_b32 v20, v20, 0
	ds_store_b32 v19, v20
; %bb.154:                              ;   in Loop: Header=BB88_152 Depth=1
	s_wait_alu 0xfffe
	s_or_b32 exec_lo, exec_lo, s12
	v_lshrrev_b16 v64, 8, v38
	; wave barrier
	s_delay_alu instid0(VALU_DEP_1) | instskip(NEXT) | instid1(VALU_DEP_1)
	v_and_b32_e32 v20, 0xffff, v64
	v_lshrrev_b32_e32 v20, v10, v20
	s_delay_alu instid0(VALU_DEP_1) | instskip(NEXT) | instid1(VALU_DEP_1)
	v_and_b32_e32 v20, v20, v22
	v_and_b32_e32 v21, 1, v20
	v_lshlrev_b32_e32 v22, 30, v20
	v_lshlrev_b32_e32 v23, 29, v20
	;; [unrolled: 1-line block ×4, first 2 shown]
	v_add_co_u32 v21, s12, v21, -1
	s_wait_alu 0xf1ff
	v_cndmask_b32_e64 v25, 0, 1, s12
	v_not_b32_e32 v65, v22
	v_cmp_gt_i32_e64 s13, 0, v22
	v_not_b32_e32 v22, v23
	v_lshlrev_b32_e32 v27, 26, v20
	v_cmp_ne_u32_e64 s12, 0, v25
	v_ashrrev_i32_e32 v65, 31, v65
	v_lshlrev_b32_e32 v28, 25, v20
	v_ashrrev_i32_e32 v22, 31, v22
	v_lshlrev_b32_e32 v25, 24, v20
	s_wait_alu 0xf1ff
	v_xor_b32_e32 v21, s12, v21
	v_cmp_gt_i32_e64 s12, 0, v23
	v_not_b32_e32 v23, v24
	v_xor_b32_e32 v65, s13, v65
	v_cmp_gt_i32_e64 s13, 0, v24
	v_and_b32_e32 v21, exec_lo, v21
	v_not_b32_e32 v24, v26
	v_ashrrev_i32_e32 v23, 31, v23
	s_wait_alu 0xf1ff
	v_xor_b32_e32 v22, s12, v22
	v_cmp_gt_i32_e64 s12, 0, v26
	v_and_b32_e32 v21, v21, v65
	v_not_b32_e32 v26, v27
	v_ashrrev_i32_e32 v24, 31, v24
	v_xor_b32_e32 v23, s13, v23
	v_cmp_gt_i32_e64 s13, 0, v27
	v_and_b32_e32 v21, v21, v22
	v_not_b32_e32 v22, v28
	v_ashrrev_i32_e32 v26, 31, v26
	s_wait_alu 0xf1ff
	v_xor_b32_e32 v24, s12, v24
	v_cmp_gt_i32_e64 s12, 0, v28
	v_and_b32_e32 v21, v21, v23
	v_not_b32_e32 v23, v25
	v_ashrrev_i32_e32 v22, 31, v22
	v_xor_b32_e32 v26, s13, v26
	v_lshl_add_u32 v20, v20, 3, v37
	v_and_b32_e32 v21, v21, v24
	v_cmp_gt_i32_e64 s13, 0, v25
	v_ashrrev_i32_e32 v23, 31, v23
	s_wait_alu 0xf1ff
	v_xor_b32_e32 v22, s12, v22
	v_lshl_add_u32 v24, v20, 2, v12
	v_and_b32_e32 v21, v21, v26
	v_xor_b32_e32 v23, s13, v23
	ds_load_b32 v20, v24 offset:32
	v_and_b32_e32 v21, v21, v22
	v_add_nc_u32_e32 v22, 32, v24
	; wave barrier
	s_delay_alu instid0(VALU_DEP_2) | instskip(NEXT) | instid1(VALU_DEP_1)
	v_and_b32_e32 v23, v21, v23
	v_mbcnt_lo_u32_b32 v21, v23, 0
	v_cmp_ne_u32_e64 s13, 0, v23
	s_delay_alu instid0(VALU_DEP_2)
	v_cmp_eq_u32_e64 s12, 0, v21
	s_and_b32 s13, s13, s12
	s_wait_alu 0xfffe
	s_and_saveexec_b32 s12, s13
	s_cbranch_execz .LBB88_156
; %bb.155:                              ;   in Loop: Header=BB88_152 Depth=1
	s_wait_dscnt 0x0
	v_bcnt_u32_b32 v23, v23, v20
	ds_store_b32 v22, v23
.LBB88_156:                             ;   in Loop: Header=BB88_152 Depth=1
	s_wait_alu 0xfffe
	s_or_b32 exec_lo, exec_lo, s12
	; wave barrier
	s_wait_loadcnt_dscnt 0x0
	s_barrier_signal -1
	s_barrier_wait -1
	global_inv scope:SCOPE_SE
	ds_load_b32 v24, v9
	ds_load_b32 v25, v29
	ds_load_b32 v26, v31
	ds_load_b32 v27, v32
	ds_load_b32 v28, v33
	ds_load_b32 v65, v34
	ds_load_b32 v23, v35
	ds_load_b32 v66, v36
	s_wait_dscnt 0x6
	v_add_nc_u32_e32 v67, v25, v24
	s_wait_dscnt 0x4
	s_delay_alu instid0(VALU_DEP_1) | instskip(SKIP_1) | instid1(VALU_DEP_1)
	v_add3_u32 v67, v67, v26, v27
	s_wait_dscnt 0x2
	v_add3_u32 v67, v67, v28, v65
	s_wait_dscnt 0x0
	s_delay_alu instid0(VALU_DEP_1) | instskip(NEXT) | instid1(VALU_DEP_1)
	v_add3_u32 v66, v67, v23, v66
	v_mov_b32_dpp v67, v66 row_shr:1 row_mask:0xf bank_mask:0xf
	s_wait_alu 0xfffd
	s_delay_alu instid0(VALU_DEP_1) | instskip(NEXT) | instid1(VALU_DEP_1)
	v_cndmask_b32_e64 v67, v67, 0, vcc_lo
	v_add_nc_u32_e32 v66, v67, v66
	s_delay_alu instid0(VALU_DEP_1) | instskip(NEXT) | instid1(VALU_DEP_1)
	v_mov_b32_dpp v67, v66 row_shr:2 row_mask:0xf bank_mask:0xf
	v_cndmask_b32_e64 v67, 0, v67, s0
	s_delay_alu instid0(VALU_DEP_1) | instskip(NEXT) | instid1(VALU_DEP_1)
	v_add_nc_u32_e32 v66, v66, v67
	v_mov_b32_dpp v67, v66 row_shr:4 row_mask:0xf bank_mask:0xf
	s_delay_alu instid0(VALU_DEP_1) | instskip(NEXT) | instid1(VALU_DEP_1)
	v_cndmask_b32_e64 v67, 0, v67, s1
	v_add_nc_u32_e32 v66, v66, v67
	s_delay_alu instid0(VALU_DEP_1) | instskip(NEXT) | instid1(VALU_DEP_1)
	v_mov_b32_dpp v67, v66 row_shr:8 row_mask:0xf bank_mask:0xf
	v_cndmask_b32_e64 v67, 0, v67, s3
	s_delay_alu instid0(VALU_DEP_1) | instskip(SKIP_3) | instid1(VALU_DEP_1)
	v_add_nc_u32_e32 v66, v66, v67
	ds_swizzle_b32 v67, v66 offset:swizzle(BROADCAST,32,15)
	s_wait_dscnt 0x0
	v_cndmask_b32_e64 v67, v67, 0, s4
	v_add_nc_u32_e32 v66, v66, v67
	s_and_saveexec_b32 s12, s5
; %bb.157:                              ;   in Loop: Header=BB88_152 Depth=1
	ds_store_b32 v48, v66
; %bb.158:                              ;   in Loop: Header=BB88_152 Depth=1
	s_wait_alu 0xfffe
	s_or_b32 exec_lo, exec_lo, s12
	s_wait_loadcnt_dscnt 0x0
	s_barrier_signal -1
	s_barrier_wait -1
	global_inv scope:SCOPE_SE
	s_and_saveexec_b32 s12, s6
	s_cbranch_execz .LBB88_160
; %bb.159:                              ;   in Loop: Header=BB88_152 Depth=1
	ds_load_b32 v67, v50
	s_wait_dscnt 0x0
	v_mov_b32_dpp v68, v67 row_shr:1 row_mask:0xf bank_mask:0xf
	s_delay_alu instid0(VALU_DEP_1) | instskip(NEXT) | instid1(VALU_DEP_1)
	v_cndmask_b32_e64 v68, v68, 0, s9
	v_add_nc_u32_e32 v67, v68, v67
	s_delay_alu instid0(VALU_DEP_1) | instskip(NEXT) | instid1(VALU_DEP_1)
	v_mov_b32_dpp v68, v67 row_shr:2 row_mask:0xf bank_mask:0xf
	v_cndmask_b32_e64 v68, 0, v68, s10
	s_delay_alu instid0(VALU_DEP_1) | instskip(NEXT) | instid1(VALU_DEP_1)
	v_add_nc_u32_e32 v67, v67, v68
	v_mov_b32_dpp v68, v67 row_shr:4 row_mask:0xf bank_mask:0xf
	s_delay_alu instid0(VALU_DEP_1) | instskip(NEXT) | instid1(VALU_DEP_1)
	v_cndmask_b32_e64 v68, 0, v68, s11
	v_add_nc_u32_e32 v67, v67, v68
	ds_store_b32 v50, v67
.LBB88_160:                             ;   in Loop: Header=BB88_152 Depth=1
	s_wait_alu 0xfffe
	s_or_b32 exec_lo, exec_lo, s12
	v_mov_b32_e32 v67, 0
	s_wait_loadcnt_dscnt 0x0
	s_barrier_signal -1
	s_barrier_wait -1
	global_inv scope:SCOPE_SE
	s_and_saveexec_b32 s12, s7
; %bb.161:                              ;   in Loop: Header=BB88_152 Depth=1
	ds_load_b32 v67, v52
; %bb.162:                              ;   in Loop: Header=BB88_152 Depth=1
	s_wait_alu 0xfffe
	s_or_b32 exec_lo, exec_lo, s12
	s_wait_dscnt 0x0
	v_add_nc_u32_e32 v66, v67, v66
	v_add_nc_u32_e32 v10, 8, v10
	s_mov_b32 s18, -1
	s_mov_b32 s13, exec_lo
	ds_bpermute_b32 v66, v39, v66
	s_wait_dscnt 0x0
	v_cndmask_b32_e64 v66, v66, v67, s2
	s_delay_alu instid0(VALU_DEP_1) | instskip(NEXT) | instid1(VALU_DEP_1)
	v_cndmask_b32_e64 v66, v66, 0, s8
	v_add_nc_u32_e32 v24, v66, v24
	s_delay_alu instid0(VALU_DEP_1) | instskip(SKIP_4) | instid1(VALU_DEP_1)
	v_add_nc_u32_e32 v25, v24, v25
	ds_store_b32 v9, v66
	ds_store_b32 v29, v24
	;; [unrolled: 1-line block ×3, first 2 shown]
	v_add_nc_u32_e32 v26, v25, v26
	v_add_nc_u32_e32 v27, v26, v27
	s_delay_alu instid0(VALU_DEP_1) | instskip(NEXT) | instid1(VALU_DEP_1)
	v_add_nc_u32_e32 v28, v27, v28
	v_add_nc_u32_e32 v65, v28, v65
	s_delay_alu instid0(VALU_DEP_1)
	v_add_nc_u32_e32 v23, v65, v23
	ds_store_b32 v32, v26
	ds_store_b32 v33, v27
	;; [unrolled: 1-line block ×5, first 2 shown]
	s_wait_loadcnt_dscnt 0x0
	s_barrier_signal -1
	s_barrier_wait -1
	global_inv scope:SCOPE_SE
	ds_load_b32 v19, v19
	ds_load_b32 v22, v22
	s_wait_loadcnt_dscnt 0x0
	v_add_nc_u32_e32 v18, v19, v18
	v_add3_u32 v19, v21, v20, v22
                                        ; implicit-def: $vgpr20_vgpr21
	s_delay_alu instid0(VALU_DEP_2) | instskip(SKIP_2) | instid1(VALU_DEP_3)
	v_add_co_u32 v25, s12, v12, v18
	s_wait_alu 0xf1ff
	v_add_co_ci_u32_e64 v26, null, 0, v13, s12
	v_add_co_u32 v27, s12, v12, v19
	s_wait_alu 0xf1ff
	v_add_co_ci_u32_e64 v28, null, 0, v13, s12
	s_delay_alu instid0(VALU_DEP_3) | instskip(NEXT) | instid1(VALU_DEP_2)
	v_mad_co_u64_u32 v[22:23], null, v18, 7, v[25:26]
	v_mad_co_u64_u32 v[23:24], null, v19, 7, v[27:28]
	v_mov_b32_e32 v24, v38
                                        ; implicit-def: $vgpr18_vgpr19
	v_cmpx_lt_u32_e64 v10, v11
	s_cbranch_execz .LBB88_151
; %bb.163:                              ;   in Loop: Header=BB88_152 Depth=1
	s_barrier_signal -1
	s_barrier_wait -1
	global_inv scope:SCOPE_SE
	ds_store_b8 v25, v38
	ds_store_b8 v27, v64
	s_wait_loadcnt_dscnt 0x0
	s_barrier_signal -1
	s_barrier_wait -1
	global_inv scope:SCOPE_SE
	ds_load_u8 v26, v53
	ds_load_u8 v28, v30
	s_wait_loadcnt_dscnt 0x0
	s_barrier_signal -1
	s_barrier_wait -1
	global_inv scope:SCOPE_SE
	ds_store_b64 v22, v[16:17]
	ds_store_b64 v23, v[4:5]
	s_wait_loadcnt_dscnt 0x0
	s_barrier_signal -1
	s_barrier_wait -1
	global_inv scope:SCOPE_SE
	ds_load_b64 v[18:19], v51
	ds_load_b64 v[20:21], v54
	v_add_nc_u32_e32 v55, -8, v55
	s_xor_b32 s18, exec_lo, -1
	s_wait_loadcnt_dscnt 0x0
	s_barrier_signal -1
	s_barrier_wait -1
	global_inv scope:SCOPE_SE
	v_perm_b32 v38, v28, v26, 0xc0c0004
	s_branch .LBB88_151
.LBB88_164:
	flat_load_b64 v[24:25], v[4:5]
	s_wait_alu 0xfffe
	s_or_b32 exec_lo, exec_lo, s3
                                        ; implicit-def: $vgpr26_vgpr27
	s_and_saveexec_b32 s3, s0
	s_cbranch_execz .LBB88_91
.LBB88_165:
	flat_load_b64 v[26:27], v[4:5] offset:256
	s_wait_alu 0xfffe
	s_or_b32 exec_lo, exec_lo, s3
                                        ; implicit-def: $vgpr28_vgpr29
	s_and_saveexec_b32 s0, s1
	s_cbranch_execz .LBB88_92
.LBB88_166:
	flat_load_b64 v[28:29], v[4:5] offset:512
	s_wait_alu 0xfffe
	s_or_b32 exec_lo, exec_lo, s0
                                        ; implicit-def: $vgpr22_vgpr23
	s_and_saveexec_b32 s0, s2
	s_cbranch_execnz .LBB88_93
	s_branch .LBB88_94
.LBB88_167:
	flat_store_b64 v[0:1], v[13:14]
	s_wait_alu 0xfffe
	s_or_b32 exec_lo, exec_lo, s3
	s_and_saveexec_b32 s3, s0
	s_cbranch_execz .LBB88_136
.LBB88_168:
	flat_store_b64 v[0:1], v[15:16] offset:2048
	s_wait_alu 0xfffe
	s_or_b32 exec_lo, exec_lo, s3
	s_and_saveexec_b32 s0, s1
	s_cbranch_execz .LBB88_137
.LBB88_169:
	flat_store_b64 v[0:1], v[9:10] offset:4096
	s_wait_alu 0xfffe
	s_or_b32 exec_lo, exec_lo, s0
	s_and_saveexec_b32 s0, s2
	s_cbranch_execnz .LBB88_138
	s_branch .LBB88_139
.LBB88_170:
	s_or_b32 exec_lo, exec_lo, s17
	v_add_nc_u32_e32 v9, v12, v14
	v_mul_u32_u24_e32 v10, 7, v14
	s_barrier_signal -1
	s_barrier_wait -1
	s_wait_loadcnt 0x0
	global_inv scope:SCOPE_SE
	ds_store_b8 v25, v24
	ds_store_b8 v27, v64
	s_wait_loadcnt_dscnt 0x0
	s_barrier_signal -1
	s_barrier_wait -1
	global_inv scope:SCOPE_SE
	ds_load_u8 v18, v9
	ds_load_u8 v13, v9 offset:256
	s_wait_loadcnt_dscnt 0x0
	s_barrier_signal -1
	s_barrier_wait -1
	global_inv scope:SCOPE_SE
	ds_store_b64 v22, v[16:17]
	ds_store_b64 v23, v[4:5]
	v_mov_b32_e32 v16, 0
	v_add_nc_u32_e32 v4, v9, v10
	s_wait_loadcnt_dscnt 0x0
	s_barrier_signal -1
	s_barrier_wait -1
	global_inv scope:SCOPE_SE
	ds_load_2addr_stride64_b64 v[9:12], v4 offset1:4
	v_add_co_u32 v2, vcc_lo, v2, v8
	s_wait_alu 0xfffd
	v_add_co_ci_u32_e64 v3, null, 0, v3, vcc_lo
	s_wait_loadcnt_dscnt 0x0
	s_delay_alu instid0(VALU_DEP_2) | instskip(SKIP_1) | instid1(VALU_DEP_2)
	v_add_co_u32 v2, vcc_lo, v2, v15
	s_wait_alu 0xfffd
	v_add_co_ci_u32_e64 v3, null, 0, v3, vcc_lo
	v_cmp_lt_u32_e32 vcc_lo, v15, v98
	s_barrier_signal -1
	s_barrier_wait -1
	global_inv scope:SCOPE_SE
	s_and_saveexec_b32 s0, vcc_lo
	s_cbranch_execz .LBB88_172
; %bb.171:
	v_xor_b32_e32 v4, -1, v18
	flat_store_b8 v[2:3], v4
.LBB88_172:
	s_wait_alu 0xfffe
	s_or_b32 exec_lo, exec_lo, s0
	v_add_nc_u32_e32 v4, 0x100, v15
	s_delay_alu instid0(VALU_DEP_1)
	v_cmp_lt_u32_e64 s0, v4, v98
	s_and_saveexec_b32 s1, s0
	s_cbranch_execz .LBB88_174
; %bb.173:
	v_xor_b32_e32 v4, -1, v13
	flat_store_b8 v[2:3], v4 offset:256
.LBB88_174:
	s_wait_alu 0xfffe
	s_or_b32 exec_lo, exec_lo, s1
	v_lshlrev_b64_e32 v[2:3], 3, v[15:16]
	v_add_co_u32 v0, s1, v6, v0
	s_wait_alu 0xf1ff
	v_add_co_ci_u32_e64 v1, null, v7, v1, s1
	s_delay_alu instid0(VALU_DEP_2) | instskip(SKIP_1) | instid1(VALU_DEP_2)
	v_add_co_u32 v0, s1, v0, v2
	s_wait_alu 0xf1ff
	v_add_co_ci_u32_e64 v1, null, v1, v3, s1
	s_and_saveexec_b32 s1, vcc_lo
	s_cbranch_execz .LBB88_176
; %bb.175:
	flat_store_b64 v[0:1], v[9:10]
.LBB88_176:
	s_wait_alu 0xfffe
	s_or_b32 exec_lo, exec_lo, s1
	s_and_saveexec_b32 s1, s0
	s_cbranch_execz .LBB88_178
; %bb.177:
	flat_store_b64 v[0:1], v[11:12] offset:2048
.LBB88_178:
	s_wait_alu 0xfffe
	s_or_b32 exec_lo, exec_lo, s1
                                        ; implicit-def: $vgpr15_vgpr16
                                        ; implicit-def: $vgpr8_vgpr9
                                        ; implicit-def: $vgpr98
                                        ; implicit-def: $vgpr0
                                        ; implicit-def: $vgpr1
                                        ; implicit-def: $vgpr2
                                        ; implicit-def: $vgpr3
                                        ; implicit-def: $vgpr4
                                        ; implicit-def: $vgpr5
                                        ; implicit-def: $vgpr6
                                        ; implicit-def: $vgpr7
                                        ; implicit-def: $vgpr10
                                        ; implicit-def: $vgpr11
                                        ; implicit-def: $vgpr12
                                        ; implicit-def: $vgpr13
                                        ; implicit-def: $vgpr14
                                        ; implicit-def: $vgpr30
.LBB88_179:
	s_wait_alu 0xfffe
	s_and_not1_saveexec_b32 s0, s14
	s_cbranch_execz .LBB88_199
; %bb.180:
	v_and_b32_e32 v18, 0xffffffe0, v15
	v_mov_b32_e32 v37, 0xff
	s_delay_alu instid0(VALU_DEP_2) | instskip(NEXT) | instid1(VALU_DEP_1)
	v_or_b32_e32 v16, v30, v18
	v_cmp_lt_u32_e32 vcc_lo, v16, v98
	s_and_saveexec_b32 s1, vcc_lo
	s_cbranch_execz .LBB88_182
; %bb.181:
	v_add_co_u32 v0, s0, v0, v8
	s_wait_alu 0xf1fe
	v_add_co_ci_u32_e64 v1, null, 0, v1, s0
	s_delay_alu instid0(VALU_DEP_2) | instskip(SKIP_1) | instid1(VALU_DEP_2)
	v_add_co_u32 v0, s0, v0, v30
	s_wait_alu 0xf1ff
	v_add_co_ci_u32_e64 v1, null, 0, v1, s0
	s_delay_alu instid0(VALU_DEP_2) | instskip(SKIP_1) | instid1(VALU_DEP_2)
	v_add_co_u32 v0, s0, v0, v18
	s_wait_alu 0xf1ff
	v_add_co_ci_u32_e64 v1, null, 0, v1, s0
	flat_load_u8 v0, v[0:1]
	s_wait_loadcnt_dscnt 0x0
	v_xor_b32_e32 v37, -1, v0
.LBB88_182:
	s_wait_alu 0xfffe
	s_or_b32 exec_lo, exec_lo, s1
	v_lshlrev_b64_e32 v[0:1], 3, v[8:9]
                                        ; implicit-def: $vgpr16_vgpr17
	s_and_saveexec_b32 s0, vcc_lo
	s_cbranch_execz .LBB88_184
; %bb.183:
	v_mov_b32_e32 v19, 0
	v_lshlrev_b32_e32 v9, 3, v30
	s_delay_alu instid0(VALU_DEP_3) | instskip(SKIP_3) | instid1(VALU_DEP_3)
	v_add_co_u32 v16, vcc_lo, v4, v0
	s_wait_alu 0xfffd
	v_add_co_ci_u32_e64 v17, null, v5, v1, vcc_lo
	v_lshlrev_b64_e32 v[4:5], 3, v[18:19]
	v_add_co_u32 v9, vcc_lo, v16, v9
	s_wait_alu 0xfffd
	s_delay_alu instid0(VALU_DEP_3) | instskip(NEXT) | instid1(VALU_DEP_2)
	v_add_co_ci_u32_e64 v16, null, 0, v17, vcc_lo
	v_add_co_u32 v4, vcc_lo, v9, v4
	s_wait_alu 0xfffd
	s_delay_alu instid0(VALU_DEP_2)
	v_add_co_ci_u32_e64 v5, null, v16, v5, vcc_lo
	flat_load_b64 v[16:17], v[4:5]
.LBB88_184:
	s_wait_alu 0xfffe
	s_or_b32 exec_lo, exec_lo, s0
	v_lshl_add_u32 v4, v14, 5, v12
	v_and_b32_e32 v5, 15, v30
	v_sub_co_u32 v28, s2, v30, 1
	s_getpc_b64 s[0:1]
	s_wait_alu 0xfffe
	s_sext_i32_i16 s1, s1
	s_add_co_u32 s0, s0, _ZN7rocprim17ROCPRIM_400000_NS16block_radix_sortIhLj256ELj1ElLj1ELj1ELj8ELNS0_26block_radix_rank_algorithmE2ELNS0_18block_padding_hintE2ELNS0_4arch9wavefront6targetE0EE19radix_bits_per_passE@rel32@lo+12
	s_wait_alu 0xfffe
	s_add_co_ci_u32 s1, s1, _ZN7rocprim17ROCPRIM_400000_NS16block_radix_sortIhLj256ELj1ElLj1ELj1ELj8ELNS0_26block_radix_rank_algorithmE2ELNS0_18block_padding_hintE2ELNS0_4arch9wavefront6targetE0EE19radix_bits_per_passE@rel32@hi+24
	v_add_nc_u32_e32 v9, 32, v4
	v_add_nc_u32_e32 v20, 36, v4
	;; [unrolled: 1-line block ×8, first 2 shown]
	v_and_b32_e32 v4, 0x3e0, v14
	s_load_b32 s14, s[0:1], 0x0
	v_cmp_eq_u32_e32 vcc_lo, 0, v5
	v_cmp_lt_u32_e64 s0, 1, v5
	v_cmp_lt_u32_e64 s1, 3, v5
	v_min_u32_e32 v18, 0xe0, v4
	v_and_b32_e32 v19, 16, v30
	v_cmp_lt_u32_e64 s3, 7, v5
	v_cmp_gt_i32_e64 s5, 0, v28
	v_or_b32_e32 v4, v30, v4
	v_or_b32_e32 v5, 31, v18
	v_lshrrev_b32_e32 v18, 3, v14
	v_cmp_eq_u32_e64 s4, 0, v19
	s_wait_alu 0xf1ff
	v_cndmask_b32_e64 v19, v28, v30, s5
	v_add_nc_u32_e32 v32, v12, v4
	v_cmp_eq_u32_e64 s5, v14, v5
	v_and_b32_e32 v5, 0x7c, v18
	v_mul_u32_u24_e32 v4, 7, v4
	v_lshrrev_b32_e32 v27, 5, v15
	v_cmp_gt_u32_e64 s6, 8, v14
	v_cmp_lt_u32_e64 s7, 31, v14
	v_add_nc_u32_e32 v29, v12, v5
	v_and_b32_e32 v5, 7, v30
	v_lshlrev_b32_e32 v28, 2, v19
	v_cmp_eq_u32_e64 s8, 0, v14
	v_mov_b32_e32 v30, 0
	v_lshl_add_u32 v31, v14, 2, v12
	v_cmp_eq_u32_e64 s9, 0, v5
	v_cmp_lt_u32_e64 s10, 1, v5
	v_cmp_lt_u32_e64 s11, 3, v5
	v_add_nc_u32_e32 v33, -4, v29
	v_add_nc_u32_e32 v34, v32, v4
	v_sub_nc_u32_e32 v35, v11, v10
	s_mov_b32 s15, 0
	s_wait_storecnt 0x0
	s_wait_loadcnt_dscnt 0x0
	s_barrier_signal -1
	s_barrier_wait -1
	global_inv scope:SCOPE_SE
	s_branch .LBB88_186
.LBB88_185:                             ;   in Loop: Header=BB88_186 Depth=1
	s_wait_alu 0xfffe
	s_or_b32 exec_lo, exec_lo, s13
	s_delay_alu instid0(SALU_CYCLE_1)
	s_and_b32 s12, exec_lo, s17
	s_wait_alu 0xfffe
	s_or_b32 s15, s12, s15
	s_wait_alu 0xfffe
	s_and_not1_b32 exec_lo, exec_lo, s15
	s_cbranch_execz .LBB88_196
.LBB88_186:                             ; =>This Inner Loop Header: Depth=1
	v_mov_b32_e32 v36, v37
	s_wait_kmcnt 0x0
	v_min_u32_e32 v5, s14, v35
	ds_store_b32 v9, v30
	ds_store_b32 v20, v30
	;; [unrolled: 1-line block ×6, first 2 shown]
	v_and_b32_e32 v4, 0xff, v36
	ds_store_b32 v25, v30
	ds_store_b32 v26, v30
	s_wait_loadcnt_dscnt 0x0
	s_barrier_signal -1
	s_barrier_wait -1
	v_lshrrev_b32_e32 v4, v10, v4
	global_inv scope:SCOPE_SE
	; wave barrier
	v_bfe_u32 v18, v4, 0, v5
	s_delay_alu instid0(VALU_DEP_1)
	v_and_b32_e32 v4, 1, v18
	v_lshlrev_b32_e32 v5, 30, v18
	v_lshlrev_b32_e32 v19, 29, v18
	;; [unrolled: 1-line block ×4, first 2 shown]
	v_add_co_u32 v4, s12, v4, -1
	s_wait_alu 0xf1ff
	v_cndmask_b32_e64 v38, 0, 1, s12
	v_not_b32_e32 v50, v5
	v_cmp_gt_i32_e64 s13, 0, v5
	v_not_b32_e32 v5, v19
	v_lshlrev_b32_e32 v48, 26, v18
	v_cmp_ne_u32_e64 s12, 0, v38
	v_ashrrev_i32_e32 v50, 31, v50
	v_lshlrev_b32_e32 v49, 25, v18
	v_ashrrev_i32_e32 v5, 31, v5
	v_lshlrev_b32_e32 v38, 24, v18
	s_wait_alu 0xf1ff
	v_xor_b32_e32 v4, s12, v4
	v_cmp_gt_i32_e64 s12, 0, v19
	v_not_b32_e32 v19, v37
	v_xor_b32_e32 v50, s13, v50
	v_cmp_gt_i32_e64 s13, 0, v37
	v_and_b32_e32 v4, exec_lo, v4
	v_not_b32_e32 v37, v39
	v_ashrrev_i32_e32 v19, 31, v19
	s_wait_alu 0xf1ff
	v_xor_b32_e32 v5, s12, v5
	v_cmp_gt_i32_e64 s12, 0, v39
	v_and_b32_e32 v4, v4, v50
	v_not_b32_e32 v39, v48
	v_ashrrev_i32_e32 v37, 31, v37
	v_xor_b32_e32 v19, s13, v19
	v_cmp_gt_i32_e64 s13, 0, v48
	v_and_b32_e32 v4, v4, v5
	v_not_b32_e32 v5, v49
	v_ashrrev_i32_e32 v39, 31, v39
	s_wait_alu 0xf1ff
	v_xor_b32_e32 v37, s12, v37
	v_cmp_gt_i32_e64 s12, 0, v49
	v_and_b32_e32 v4, v4, v19
	v_not_b32_e32 v19, v38
	v_ashrrev_i32_e32 v48, 31, v5
	v_xor_b32_e32 v39, s13, v39
	v_cmp_gt_i32_e64 s13, 0, v38
	v_and_b32_e32 v37, v4, v37
	v_dual_mov_b32 v4, v16 :: v_dual_mov_b32 v5, v17
	v_ashrrev_i32_e32 v16, 31, v19
	s_wait_alu 0xf1ff
	v_xor_b32_e32 v17, s12, v48
	v_and_b32_e32 v19, v37, v39
	s_delay_alu instid0(VALU_DEP_3) | instskip(NEXT) | instid1(VALU_DEP_2)
	v_xor_b32_e32 v16, s13, v16
	v_and_b32_e32 v17, v19, v17
	v_lshlrev_b32_e32 v19, 3, v18
	s_delay_alu instid0(VALU_DEP_2) | instskip(NEXT) | instid1(VALU_DEP_2)
	v_and_b32_e32 v18, v17, v16
	v_add_lshl_u32 v17, v19, v27, 2
	s_delay_alu instid0(VALU_DEP_2) | instskip(NEXT) | instid1(VALU_DEP_2)
	v_mbcnt_lo_u32_b32 v16, v18, 0
	v_add_co_u32 v17, null, v12, v17
	v_cmp_ne_u32_e64 s13, 0, v18
	s_delay_alu instid0(VALU_DEP_3) | instskip(NEXT) | instid1(VALU_DEP_3)
	v_cmp_eq_u32_e64 s12, 0, v16
	v_add_co_u32 v17, null, v17, 32
	s_and_b32 s13, s13, s12
	s_wait_alu 0xfffe
	s_and_saveexec_b32 s12, s13
; %bb.187:                              ;   in Loop: Header=BB88_186 Depth=1
	v_bcnt_u32_b32 v18, v18, 0
	ds_store_b32 v17, v18
; %bb.188:                              ;   in Loop: Header=BB88_186 Depth=1
	s_wait_alu 0xfffe
	s_or_b32 exec_lo, exec_lo, s12
	; wave barrier
	s_wait_loadcnt_dscnt 0x0
	s_barrier_signal -1
	s_barrier_wait -1
	global_inv scope:SCOPE_SE
	ds_load_b32 v19, v9
	ds_load_b32 v37, v20
	;; [unrolled: 1-line block ×8, first 2 shown]
	s_wait_dscnt 0x6
	v_add_nc_u32_e32 v51, v37, v19
	s_wait_dscnt 0x4
	s_delay_alu instid0(VALU_DEP_1) | instskip(SKIP_1) | instid1(VALU_DEP_1)
	v_add3_u32 v51, v51, v38, v39
	s_wait_dscnt 0x2
	v_add3_u32 v51, v51, v48, v49
	s_wait_dscnt 0x0
	s_delay_alu instid0(VALU_DEP_1) | instskip(NEXT) | instid1(VALU_DEP_1)
	v_add3_u32 v50, v51, v18, v50
	v_mov_b32_dpp v51, v50 row_shr:1 row_mask:0xf bank_mask:0xf
	s_wait_alu 0xfffd
	s_delay_alu instid0(VALU_DEP_1) | instskip(NEXT) | instid1(VALU_DEP_1)
	v_cndmask_b32_e64 v51, v51, 0, vcc_lo
	v_add_nc_u32_e32 v50, v51, v50
	s_delay_alu instid0(VALU_DEP_1) | instskip(NEXT) | instid1(VALU_DEP_1)
	v_mov_b32_dpp v51, v50 row_shr:2 row_mask:0xf bank_mask:0xf
	v_cndmask_b32_e64 v51, 0, v51, s0
	s_delay_alu instid0(VALU_DEP_1) | instskip(NEXT) | instid1(VALU_DEP_1)
	v_add_nc_u32_e32 v50, v50, v51
	v_mov_b32_dpp v51, v50 row_shr:4 row_mask:0xf bank_mask:0xf
	s_delay_alu instid0(VALU_DEP_1) | instskip(NEXT) | instid1(VALU_DEP_1)
	v_cndmask_b32_e64 v51, 0, v51, s1
	v_add_nc_u32_e32 v50, v50, v51
	s_delay_alu instid0(VALU_DEP_1) | instskip(NEXT) | instid1(VALU_DEP_1)
	v_mov_b32_dpp v51, v50 row_shr:8 row_mask:0xf bank_mask:0xf
	v_cndmask_b32_e64 v51, 0, v51, s3
	s_delay_alu instid0(VALU_DEP_1) | instskip(SKIP_3) | instid1(VALU_DEP_1)
	v_add_nc_u32_e32 v50, v50, v51
	ds_swizzle_b32 v51, v50 offset:swizzle(BROADCAST,32,15)
	s_wait_dscnt 0x0
	v_cndmask_b32_e64 v51, v51, 0, s4
	v_add_nc_u32_e32 v50, v50, v51
	s_and_saveexec_b32 s12, s5
; %bb.189:                              ;   in Loop: Header=BB88_186 Depth=1
	ds_store_b32 v29, v50
; %bb.190:                              ;   in Loop: Header=BB88_186 Depth=1
	s_wait_alu 0xfffe
	s_or_b32 exec_lo, exec_lo, s12
	s_wait_loadcnt_dscnt 0x0
	s_barrier_signal -1
	s_barrier_wait -1
	global_inv scope:SCOPE_SE
	s_and_saveexec_b32 s12, s6
	s_cbranch_execz .LBB88_192
; %bb.191:                              ;   in Loop: Header=BB88_186 Depth=1
	ds_load_b32 v51, v31
	s_wait_dscnt 0x0
	v_mov_b32_dpp v52, v51 row_shr:1 row_mask:0xf bank_mask:0xf
	s_delay_alu instid0(VALU_DEP_1) | instskip(NEXT) | instid1(VALU_DEP_1)
	v_cndmask_b32_e64 v52, v52, 0, s9
	v_add_nc_u32_e32 v51, v52, v51
	s_delay_alu instid0(VALU_DEP_1) | instskip(NEXT) | instid1(VALU_DEP_1)
	v_mov_b32_dpp v52, v51 row_shr:2 row_mask:0xf bank_mask:0xf
	v_cndmask_b32_e64 v52, 0, v52, s10
	s_delay_alu instid0(VALU_DEP_1) | instskip(NEXT) | instid1(VALU_DEP_1)
	v_add_nc_u32_e32 v51, v51, v52
	v_mov_b32_dpp v52, v51 row_shr:4 row_mask:0xf bank_mask:0xf
	s_delay_alu instid0(VALU_DEP_1) | instskip(NEXT) | instid1(VALU_DEP_1)
	v_cndmask_b32_e64 v52, 0, v52, s11
	v_add_nc_u32_e32 v51, v51, v52
	ds_store_b32 v31, v51
.LBB88_192:                             ;   in Loop: Header=BB88_186 Depth=1
	s_wait_alu 0xfffe
	s_or_b32 exec_lo, exec_lo, s12
	v_mov_b32_e32 v51, 0
	s_wait_loadcnt_dscnt 0x0
	s_barrier_signal -1
	s_barrier_wait -1
	global_inv scope:SCOPE_SE
	s_and_saveexec_b32 s12, s7
; %bb.193:                              ;   in Loop: Header=BB88_186 Depth=1
	ds_load_b32 v51, v33
; %bb.194:                              ;   in Loop: Header=BB88_186 Depth=1
	s_wait_alu 0xfffe
	s_or_b32 exec_lo, exec_lo, s12
	s_wait_dscnt 0x0
	v_add_nc_u32_e32 v50, v51, v50
	v_add_nc_u32_e32 v10, 8, v10
	s_mov_b32 s17, -1
	ds_bpermute_b32 v50, v28, v50
	s_wait_dscnt 0x0
	v_cndmask_b32_e64 v50, v50, v51, s2
	s_delay_alu instid0(VALU_DEP_1) | instskip(NEXT) | instid1(VALU_DEP_1)
	v_cndmask_b32_e64 v50, v50, 0, s8
	v_add_nc_u32_e32 v19, v50, v19
	s_delay_alu instid0(VALU_DEP_1) | instskip(SKIP_4) | instid1(VALU_DEP_1)
	v_add_nc_u32_e32 v37, v19, v37
	ds_store_b32 v9, v50
	ds_store_b32 v20, v19
	;; [unrolled: 1-line block ×3, first 2 shown]
	v_add_nc_u32_e32 v38, v37, v38
                                        ; implicit-def: $vgpr37
	v_add_nc_u32_e32 v39, v38, v39
	s_delay_alu instid0(VALU_DEP_1) | instskip(NEXT) | instid1(VALU_DEP_1)
	v_add_nc_u32_e32 v48, v39, v48
	v_add_nc_u32_e32 v49, v48, v49
	s_delay_alu instid0(VALU_DEP_1)
	v_add_nc_u32_e32 v18, v49, v18
	ds_store_b32 v22, v38
	ds_store_b32 v23, v39
	;; [unrolled: 1-line block ×5, first 2 shown]
	s_wait_loadcnt_dscnt 0x0
	s_barrier_signal -1
	s_barrier_wait -1
	global_inv scope:SCOPE_SE
	ds_load_b32 v17, v17
	s_wait_loadcnt_dscnt 0x0
	v_add_nc_u32_e32 v38, v17, v16
                                        ; implicit-def: $vgpr16_vgpr17
	s_delay_alu instid0(VALU_DEP_1)
	v_add_co_u32 v18, s13, v12, v38
	s_wait_alu 0xf1ff
	v_add_co_ci_u32_e64 v19, null, 0, v13, s13
	s_mov_b32 s13, exec_lo
	v_cmpx_lt_u32_e64 v10, v11
	s_cbranch_execz .LBB88_185
; %bb.195:                              ;   in Loop: Header=BB88_186 Depth=1
	v_mad_co_u64_u32 v[16:17], null, v38, 7, v[18:19]
	s_barrier_signal -1
	s_barrier_wait -1
	global_inv scope:SCOPE_SE
	ds_store_b8 v18, v36
	s_wait_loadcnt_dscnt 0x0
	s_barrier_signal -1
	s_barrier_wait -1
	global_inv scope:SCOPE_SE
	ds_load_u8 v37, v32
	s_wait_loadcnt_dscnt 0x0
	s_barrier_signal -1
	s_barrier_wait -1
	global_inv scope:SCOPE_SE
	ds_store_b64 v16, v[4:5]
	s_wait_loadcnt_dscnt 0x0
	s_barrier_signal -1
	s_barrier_wait -1
	global_inv scope:SCOPE_SE
	ds_load_b64 v[16:17], v34
	v_add_nc_u32_e32 v35, -8, v35
	s_xor_b32 s17, exec_lo, -1
	s_wait_loadcnt_dscnt 0x0
	s_barrier_signal -1
	s_barrier_wait -1
	global_inv scope:SCOPE_SE
	s_branch .LBB88_185
.LBB88_196:
	s_or_b32 exec_lo, exec_lo, s15
	v_mad_co_u64_u32 v[10:11], null, v38, 7, v[18:19]
	v_add_nc_u32_e32 v12, v12, v14
	v_mul_u32_u24_e32 v11, 7, v14
	s_barrier_signal -1
	s_barrier_wait -1
	s_wait_loadcnt 0x0
	global_inv scope:SCOPE_SE
	ds_store_b8 v18, v36
	s_wait_loadcnt_dscnt 0x0
	s_barrier_signal -1
	s_barrier_wait -1
	global_inv scope:SCOPE_SE
	ds_load_u8 v9, v12
	s_wait_loadcnt_dscnt 0x0
	s_barrier_signal -1
	s_barrier_wait -1
	global_inv scope:SCOPE_SE
	ds_store_b64 v10, v[4:5]
	v_add_nc_u32_e32 v4, v12, v11
	s_wait_loadcnt_dscnt 0x0
	s_barrier_signal -1
	s_barrier_wait -1
	global_inv scope:SCOPE_SE
	ds_load_b64 v[4:5], v4
	s_mov_b32 s0, exec_lo
	s_wait_loadcnt_dscnt 0x0
	s_barrier_signal -1
	s_barrier_wait -1
	global_inv scope:SCOPE_SE
	v_cmpx_lt_u32_e64 v15, v98
	s_cbranch_execz .LBB88_198
; %bb.197:
	v_mov_b32_e32 v16, 0
	v_add_co_u32 v6, vcc_lo, v6, v0
	s_wait_alu 0xfffd
	v_add_co_ci_u32_e64 v7, null, v7, v1, vcc_lo
	v_add_co_u32 v2, vcc_lo, v2, v8
	v_lshlrev_b64_e32 v[0:1], 3, v[15:16]
	s_wait_alu 0xfffd
	v_add_co_ci_u32_e64 v3, null, 0, v3, vcc_lo
	s_delay_alu instid0(VALU_DEP_3) | instskip(SKIP_2) | instid1(VALU_DEP_3)
	v_add_co_u32 v2, vcc_lo, v2, v15
	v_xor_b32_e32 v8, -1, v9
	s_wait_alu 0xfffd
	v_add_co_ci_u32_e64 v3, null, 0, v3, vcc_lo
	v_add_co_u32 v0, vcc_lo, v6, v0
	s_wait_alu 0xfffd
	v_add_co_ci_u32_e64 v1, null, v7, v1, vcc_lo
	flat_store_b8 v[2:3], v8
	flat_store_b64 v[0:1], v[4:5]
.LBB88_198:
	s_wait_alu 0xfffe
	s_or_b32 exec_lo, exec_lo, s0
.LBB88_199:
	s_wait_alu 0xfffe
	s_or_b32 exec_lo, exec_lo, s16
	s_wait_loadcnt_dscnt 0x0
	s_setpc_b64 s[30:31]
.Lfunc_end88:
	.size	_ZN7rocprim17ROCPRIM_400000_NS6detail40segmented_radix_sort_single_block_helperIhlLj256ELj8ELb1EE4sortIPKhPhPKlPlEEbT_T0_T1_T2_jjjjRNS3_12storage_typeE, .Lfunc_end88-_ZN7rocprim17ROCPRIM_400000_NS6detail40segmented_radix_sort_single_block_helperIhlLj256ELj8ELb1EE4sortIPKhPhPKlPlEEbT_T0_T1_T2_jjjjRNS3_12storage_typeE
                                        ; -- End function
	.set .L_ZN7rocprim17ROCPRIM_400000_NS6detail40segmented_radix_sort_single_block_helperIhlLj256ELj8ELb1EE4sortIPKhPhPKlPlEEbT_T0_T1_T2_jjjjRNS3_12storage_typeE.num_vgpr, 197
	.set .L_ZN7rocprim17ROCPRIM_400000_NS6detail40segmented_radix_sort_single_block_helperIhlLj256ELj8ELb1EE4sortIPKhPhPKlPlEEbT_T0_T1_T2_jjjjRNS3_12storage_typeE.num_agpr, 0
	.set .L_ZN7rocprim17ROCPRIM_400000_NS6detail40segmented_radix_sort_single_block_helperIhlLj256ELj8ELb1EE4sortIPKhPhPKlPlEEbT_T0_T1_T2_jjjjRNS3_12storage_typeE.numbered_sgpr, 32
	.set .L_ZN7rocprim17ROCPRIM_400000_NS6detail40segmented_radix_sort_single_block_helperIhlLj256ELj8ELb1EE4sortIPKhPhPKlPlEEbT_T0_T1_T2_jjjjRNS3_12storage_typeE.num_named_barrier, 0
	.set .L_ZN7rocprim17ROCPRIM_400000_NS6detail40segmented_radix_sort_single_block_helperIhlLj256ELj8ELb1EE4sortIPKhPhPKlPlEEbT_T0_T1_T2_jjjjRNS3_12storage_typeE.private_seg_size, 0
	.set .L_ZN7rocprim17ROCPRIM_400000_NS6detail40segmented_radix_sort_single_block_helperIhlLj256ELj8ELb1EE4sortIPKhPhPKlPlEEbT_T0_T1_T2_jjjjRNS3_12storage_typeE.uses_vcc, 1
	.set .L_ZN7rocprim17ROCPRIM_400000_NS6detail40segmented_radix_sort_single_block_helperIhlLj256ELj8ELb1EE4sortIPKhPhPKlPlEEbT_T0_T1_T2_jjjjRNS3_12storage_typeE.uses_flat_scratch, 0
	.set .L_ZN7rocprim17ROCPRIM_400000_NS6detail40segmented_radix_sort_single_block_helperIhlLj256ELj8ELb1EE4sortIPKhPhPKlPlEEbT_T0_T1_T2_jjjjRNS3_12storage_typeE.has_dyn_sized_stack, 0
	.set .L_ZN7rocprim17ROCPRIM_400000_NS6detail40segmented_radix_sort_single_block_helperIhlLj256ELj8ELb1EE4sortIPKhPhPKlPlEEbT_T0_T1_T2_jjjjRNS3_12storage_typeE.has_recursion, 0
	.set .L_ZN7rocprim17ROCPRIM_400000_NS6detail40segmented_radix_sort_single_block_helperIhlLj256ELj8ELb1EE4sortIPKhPhPKlPlEEbT_T0_T1_T2_jjjjRNS3_12storage_typeE.has_indirect_call, 0
	.section	.AMDGPU.csdata,"",@progbits
; Function info:
; codeLenInByte = 17952
; TotalNumSgprs: 34
; NumVgprs: 197
; ScratchSize: 0
; MemoryBound: 1
	.section	.text._ZN7rocprim17ROCPRIM_400000_NS6detail17trampoline_kernelINS0_14default_configENS1_36segmented_radix_sort_config_selectorIhlEEZNS1_25segmented_radix_sort_implIS3_Lb1EPKhPhPKlPlN2at6native12_GLOBAL__N_18offset_tEEE10hipError_tPvRmT1_PNSt15iterator_traitsISK_E10value_typeET2_T3_PNSL_ISQ_E10value_typeET4_jRbjT5_SW_jjP12ihipStream_tbEUlT_E_NS1_11comp_targetILNS1_3genE10ELNS1_11target_archE1201ELNS1_3gpuE5ELNS1_3repE0EEENS1_30default_config_static_selectorELNS0_4arch9wavefront6targetE0EEEvSK_,"axG",@progbits,_ZN7rocprim17ROCPRIM_400000_NS6detail17trampoline_kernelINS0_14default_configENS1_36segmented_radix_sort_config_selectorIhlEEZNS1_25segmented_radix_sort_implIS3_Lb1EPKhPhPKlPlN2at6native12_GLOBAL__N_18offset_tEEE10hipError_tPvRmT1_PNSt15iterator_traitsISK_E10value_typeET2_T3_PNSL_ISQ_E10value_typeET4_jRbjT5_SW_jjP12ihipStream_tbEUlT_E_NS1_11comp_targetILNS1_3genE10ELNS1_11target_archE1201ELNS1_3gpuE5ELNS1_3repE0EEENS1_30default_config_static_selectorELNS0_4arch9wavefront6targetE0EEEvSK_,comdat
	.globl	_ZN7rocprim17ROCPRIM_400000_NS6detail17trampoline_kernelINS0_14default_configENS1_36segmented_radix_sort_config_selectorIhlEEZNS1_25segmented_radix_sort_implIS3_Lb1EPKhPhPKlPlN2at6native12_GLOBAL__N_18offset_tEEE10hipError_tPvRmT1_PNSt15iterator_traitsISK_E10value_typeET2_T3_PNSL_ISQ_E10value_typeET4_jRbjT5_SW_jjP12ihipStream_tbEUlT_E_NS1_11comp_targetILNS1_3genE10ELNS1_11target_archE1201ELNS1_3gpuE5ELNS1_3repE0EEENS1_30default_config_static_selectorELNS0_4arch9wavefront6targetE0EEEvSK_ ; -- Begin function _ZN7rocprim17ROCPRIM_400000_NS6detail17trampoline_kernelINS0_14default_configENS1_36segmented_radix_sort_config_selectorIhlEEZNS1_25segmented_radix_sort_implIS3_Lb1EPKhPhPKlPlN2at6native12_GLOBAL__N_18offset_tEEE10hipError_tPvRmT1_PNSt15iterator_traitsISK_E10value_typeET2_T3_PNSL_ISQ_E10value_typeET4_jRbjT5_SW_jjP12ihipStream_tbEUlT_E_NS1_11comp_targetILNS1_3genE10ELNS1_11target_archE1201ELNS1_3gpuE5ELNS1_3repE0EEENS1_30default_config_static_selectorELNS0_4arch9wavefront6targetE0EEEvSK_
	.p2align	8
	.type	_ZN7rocprim17ROCPRIM_400000_NS6detail17trampoline_kernelINS0_14default_configENS1_36segmented_radix_sort_config_selectorIhlEEZNS1_25segmented_radix_sort_implIS3_Lb1EPKhPhPKlPlN2at6native12_GLOBAL__N_18offset_tEEE10hipError_tPvRmT1_PNSt15iterator_traitsISK_E10value_typeET2_T3_PNSL_ISQ_E10value_typeET4_jRbjT5_SW_jjP12ihipStream_tbEUlT_E_NS1_11comp_targetILNS1_3genE10ELNS1_11target_archE1201ELNS1_3gpuE5ELNS1_3repE0EEENS1_30default_config_static_selectorELNS0_4arch9wavefront6targetE0EEEvSK_,@function
_ZN7rocprim17ROCPRIM_400000_NS6detail17trampoline_kernelINS0_14default_configENS1_36segmented_radix_sort_config_selectorIhlEEZNS1_25segmented_radix_sort_implIS3_Lb1EPKhPhPKlPlN2at6native12_GLOBAL__N_18offset_tEEE10hipError_tPvRmT1_PNSt15iterator_traitsISK_E10value_typeET2_T3_PNSL_ISQ_E10value_typeET4_jRbjT5_SW_jjP12ihipStream_tbEUlT_E_NS1_11comp_targetILNS1_3genE10ELNS1_11target_archE1201ELNS1_3gpuE5ELNS1_3repE0EEENS1_30default_config_static_selectorELNS0_4arch9wavefront6targetE0EEEvSK_: ; @_ZN7rocprim17ROCPRIM_400000_NS6detail17trampoline_kernelINS0_14default_configENS1_36segmented_radix_sort_config_selectorIhlEEZNS1_25segmented_radix_sort_implIS3_Lb1EPKhPhPKlPlN2at6native12_GLOBAL__N_18offset_tEEE10hipError_tPvRmT1_PNSt15iterator_traitsISK_E10value_typeET2_T3_PNSL_ISQ_E10value_typeET4_jRbjT5_SW_jjP12ihipStream_tbEUlT_E_NS1_11comp_targetILNS1_3genE10ELNS1_11target_archE1201ELNS1_3gpuE5ELNS1_3repE0EEENS1_30default_config_static_selectorELNS0_4arch9wavefront6targetE0EEEvSK_
; %bb.0:
	s_clause 0x1
	s_load_b64 s[8:9], s[0:1], 0x38
	s_load_b128 s[4:7], s[0:1], 0x40
	s_mov_b32 s2, ttmp9
	s_mov_b32 s3, 0
	s_mov_b32 s32, 0
	s_lshl_b64 s[2:3], s[2:3], 2
	s_wait_kmcnt 0x0
	s_add_nc_u64 s[2:3], s[8:9], s[2:3]
	s_load_b32 s2, s[2:3], 0x0
	s_wait_kmcnt 0x0
	s_add_co_i32 s33, s2, s5
	s_add_co_i32 s34, s2, s7
	s_mul_i32 s33, s33, s4
	s_mul_i32 s34, s34, s6
	s_delay_alu instid0(SALU_CYCLE_1)
	s_cmp_le_u32 s34, s33
	s_cbranch_scc1 .LBB89_670
; %bb.1:
	s_clause 0x3
	s_load_b32 s2, s[0:1], 0x30
	s_load_b128 s[24:27], s[0:1], 0x20
	s_load_b96 s[44:46], s[0:1], 0x50
	s_load_b256 s[36:43], s[0:1], 0x0
	s_wait_kmcnt 0x0
	s_bitcmp1_b32 s2, 0
	s_mov_b32 s2, -1
	s_cselect_b32 s35, -1, 0
	s_sub_co_i32 s47, s34, s33
	s_delay_alu instid0(SALU_CYCLE_1)
	s_cmp_lt_u32 s47, 0x801
	s_cbranch_scc0 .LBB89_7
; %bb.2:
	v_cndmask_b32_e64 v1, 0, 1, s35
	s_and_b32 s2, s44, 1
	s_delay_alu instid0(VALU_DEP_1) | instid1(SALU_CYCLE_1)
	v_cmp_ne_u32_e32 vcc_lo, s2, v1
	s_mov_b32 s2, -1
	s_cbranch_vccnz .LBB89_4
; %bb.3:
	s_mov_b64 s[2:3], src_shared_base
	v_dual_mov_b32 v31, v0 :: v_dual_mov_b32 v40, v0
	v_dual_mov_b32 v0, s36 :: v_dual_mov_b32 v1, s37
	;; [unrolled: 1-line block ×7, first 2 shown]
	s_wait_alu 0xfffe
	v_dual_mov_b32 v12, 0 :: v_dual_mov_b32 v13, s3
	s_add_nc_u64 s[8:9], s[0:1], 0x60
	s_getpc_b64 s[4:5]
	s_sext_i32_i16 s5, s5
	s_add_co_u32 s4, s4, _ZN7rocprim17ROCPRIM_400000_NS6detail40segmented_radix_sort_single_block_helperIhlLj256ELj8ELb1EE4sortIPKhPhPKlPlEEbT_T0_T1_T2_jjjjRNS3_12storage_typeE@rel32@lo+8
	s_add_co_ci_u32 s5, s5, _ZN7rocprim17ROCPRIM_400000_NS6detail40segmented_radix_sort_single_block_helperIhlLj256ELj8ELb1EE4sortIPKhPhPKlPlEEbT_T0_T1_T2_jjjjRNS3_12storage_typeE@rel32@hi+16
	s_mov_b64 s[22:23], s[0:1]
	s_swappc_b64 s[30:31], s[4:5]
	v_mov_b32_e32 v0, v40
	s_mov_b64 s[0:1], s[22:23]
	s_mov_b32 s2, 0
.LBB89_4:
	s_wait_alu 0xfffe
	s_and_not1_b32 vcc_lo, exec_lo, s2
	s_wait_alu 0xfffe
	s_cbranch_vccnz .LBB89_6
; %bb.5:
	s_mov_b64 s[2:3], src_shared_base
	v_dual_mov_b32 v31, v0 :: v_dual_mov_b32 v40, v0
	v_dual_mov_b32 v0, s36 :: v_dual_mov_b32 v1, s37
	;; [unrolled: 1-line block ×7, first 2 shown]
	s_wait_alu 0xfffe
	v_dual_mov_b32 v12, 0 :: v_dual_mov_b32 v13, s3
	s_add_nc_u64 s[8:9], s[0:1], 0x60
	s_getpc_b64 s[4:5]
	s_wait_alu 0xfffe
	s_sext_i32_i16 s5, s5
	s_add_co_u32 s4, s4, _ZN7rocprim17ROCPRIM_400000_NS6detail40segmented_radix_sort_single_block_helperIhlLj256ELj8ELb1EE4sortIPKhPhPKlPlEEbT_T0_T1_T2_jjjjRNS3_12storage_typeE@rel32@lo+12
	s_wait_alu 0xfffe
	s_add_co_ci_u32 s5, s5, _ZN7rocprim17ROCPRIM_400000_NS6detail40segmented_radix_sort_single_block_helperIhlLj256ELj8ELb1EE4sortIPKhPhPKlPlEEbT_T0_T1_T2_jjjjRNS3_12storage_typeE@rel32@hi+24
	s_mov_b64 s[22:23], s[0:1]
	s_wait_alu 0xfffe
	s_swappc_b64 s[30:31], s[4:5]
	v_mov_b32_e32 v0, v40
	s_mov_b64 s[0:1], s[22:23]
.LBB89_6:
	s_mov_b32 s2, 0
.LBB89_7:
	s_wait_alu 0xfffe
	s_and_not1_b32 vcc_lo, exec_lo, s2
	s_wait_alu 0xfffe
	s_cbranch_vccnz .LBB89_670
; %bb.8:
	s_cmp_ge_u32 s45, s46
	s_cbranch_scc1 .LBB89_670
; %bb.9:
	v_and_b32_e32 v1, 0x3ff, v0
	v_dual_mov_b32 v61, 1 :: v_dual_and_b32 v2, 3, v0
	v_lshrrev_b32_e32 v4, 3, v0
	v_mbcnt_lo_u32_b32 v58, -1, 0
	s_delay_alu instid0(VALU_DEP_4) | instskip(NEXT) | instid1(VALU_DEP_4)
	v_or_b32_e32 v5, 31, v1
	v_lshlrev_b32_e32 v39, 2, v2
	v_lshlrev_b32_e32 v2, 3, v1
	v_and_b32_e32 v38, 28, v4
	v_lshlrev_b32_e32 v4, 5, v1
	v_cmp_eq_u32_e64 s3, v1, v5
	v_dual_mov_b32 v3, 0 :: v_dual_lshlrev_b32 v28, 2, v1
	v_and_b32_e32 v2, 0x700, v2
	s_delay_alu instid0(VALU_DEP_4) | instskip(SKIP_2) | instid1(VALU_DEP_4)
	v_sub_nc_u32_e32 v46, 0, v4
	v_lshlrev_b32_e32 v66, 3, v58
	v_add_co_u32 v32, s2, s40, v1
	v_lshlrev_b32_e32 v5, 3, v2
	v_mad_u32_u24 v40, v1, 12, v28
	v_or_b32_e32 v68, v58, v2
	v_or_b32_e32 v29, 0x100, v1
	;; [unrolled: 1-line block ×3, first 2 shown]
	v_add_co_u32 v4, s8, s26, v5
	s_wait_alu 0xf1ff
	v_add_co_ci_u32_e64 v6, null, s27, 0, s8
	v_add_co_u32 v7, s8, s40, v2
	s_wait_alu 0xf1ff
	v_add_co_ci_u32_e64 v8, null, s41, 0, s8
	;; [unrolled: 3-line block ×6, first 2 shown]
	v_add_co_u32 v56, s8, s42, v5
	v_add_co_u32 v69, vcc_lo, v4, v66
	s_wait_alu 0xf1ff
	v_add_co_ci_u32_e64 v57, null, s43, 0, s8
	v_add_co_u32 v59, s8, s36, v2
	s_wait_alu 0xfffd
	v_add_co_ci_u32_e64 v70, null, 0, v6, vcc_lo
	v_add_co_u32 v78, vcc_lo, v7, v58
	v_or_b32_e32 v31, 0x300, v1
	v_add_co_ci_u32_e64 v33, null, s41, 0, s2
	v_or_b32_e32 v34, 0x400, v1
	v_or_b32_e32 v35, 0x500, v1
	;; [unrolled: 1-line block ×4, first 2 shown]
	v_cmp_gt_u32_e64 s2, 0x100, v1
	v_or_b32_e32 v41, 0x4400, v38
	v_cmp_gt_u32_e64 s4, 8, v1
	v_add_nc_u32_e32 v42, 0x4400, v28
	v_cmp_lt_u32_e64 s5, 31, v1
	v_add_nc_u32_e32 v43, 0x43fc, v38
	v_bfe_u32 v44, v0, 20, 10
	v_bfe_u32 v0, v0, 10, 10
	v_mad_u32_u24 v45, v1, 20, v40
	v_cmp_eq_u32_e64 s6, 0, v1
	v_cmp_ne_u32_e64 s7, 0xff, v1
	v_mul_u32_u24_e32 v47, 7, v1
	s_wait_alu 0xf1ff
	v_add_co_ci_u32_e64 v60, null, s37, 0, s8
	v_and_b32_e32 v62, 15, v58
	v_bfe_i32 v63, v58, 4, 1
	v_and_b32_e32 v64, 16, v58
	v_and_b32_e32 v65, 7, v58
	v_sub_co_u32 v67, s8, v58, 1
	v_or_b32_e32 v71, 32, v68
	v_or_b32_e32 v72, 64, v68
	;; [unrolled: 1-line block ×7, first 2 shown]
	s_wait_alu 0xfffd
	v_add_co_ci_u32_e64 v79, null, 0, v8, vcc_lo
	s_add_nc_u64 s[28:29], s[0:1], 0x60
	s_mov_b32 s23, 0
	s_mov_b32 s30, s45
	s_branch .LBB89_12
.LBB89_10:                              ;   in Loop: Header=BB89_12 Depth=1
	s_wait_loadcnt_dscnt 0x0
	s_barrier_signal -1
	s_barrier_wait -1
.LBB89_11:                              ;   in Loop: Header=BB89_12 Depth=1
	s_add_co_i32 s30, s30, 8
	global_inv scope:SCOPE_SE
	s_wait_alu 0xfffe
	s_cmp_ge_u32 s30, s46
	s_cbranch_scc1 .LBB89_670
.LBB89_12:                              ; =>This Loop Header: Depth=1
                                        ;     Child Loop BB89_16 Depth 2
                                        ;     Child Loop BB89_64 Depth 2
	;; [unrolled: 1-line block ×8, first 2 shown]
	s_wait_alu 0xfffe
	s_sub_co_i32 s0, s46, s30
	s_xor_b32 s35, s35, -1
	s_wait_alu 0xfffe
	s_min_u32 s0, s0, 8
	ds_store_2addr_stride64_b32 v28, v3, v3 offset1:4
	s_wait_alu 0xfffe
	s_lshl_b32 s0, -1, s0
	ds_store_2addr_stride64_b32 v28, v3, v3 offset0:8 offset1:12
	s_wait_alu 0xfffe
	s_not_b32 s31, s0
	s_cmp_lg_u32 s30, s45
	s_mov_b32 s0, -1
	s_wait_storecnt_dscnt 0x0
	s_cbranch_scc0 .LBB89_342
; %bb.13:                               ;   in Loop: Header=BB89_12 Depth=1
	s_and_b32 vcc_lo, exec_lo, s35
	s_wait_alu 0xfffe
	s_cbranch_vccz .LBB89_177
; %bb.14:                               ;   in Loop: Header=BB89_12 Depth=1
	v_dual_mov_b32 v7, 0 :: v_dual_mov_b32 v10, 0
	v_dual_mov_b32 v9, 0 :: v_dual_mov_b32 v8, 0
	;; [unrolled: 1-line block ×3, first 2 shown]
	v_mov_b32_e32 v4, 0
	v_mov_b32_e32 v2, 0
	s_mov_b32 s9, s47
	s_mov_b32 s22, s33
	s_barrier_signal -1
	s_barrier_wait -1
	global_inv scope:SCOPE_SE
	s_branch .LBB89_16
.LBB89_15:                              ;   in Loop: Header=BB89_16 Depth=2
	s_wait_alu 0xfffe
	s_or_b32 exec_lo, exec_lo, s0
	s_addk_co_i32 s9, 0xf800
	s_cmp_ge_u32 s10, s34
	s_mov_b32 s22, s10
	s_cbranch_scc1 .LBB89_52
.LBB89_16:                              ;   Parent Loop BB89_12 Depth=1
                                        ; =>  This Inner Loop Header: Depth=2
	s_wait_alu 0xfffe
	s_add_co_i32 s10, s22, 0x800
	s_mov_b32 s0, -1
	s_wait_alu 0xfffe
	s_cmp_gt_u32 s10, s34
                                        ; implicit-def: $vgpr11
                                        ; implicit-def: $vgpr12
                                        ; implicit-def: $vgpr13
                                        ; implicit-def: $vgpr14
                                        ; implicit-def: $vgpr15
                                        ; implicit-def: $vgpr16
                                        ; implicit-def: $vgpr17
                                        ; implicit-def: $vgpr18
	s_cbranch_scc1 .LBB89_18
; %bb.17:                               ;   in Loop: Header=BB89_16 Depth=2
	v_add_co_u32 v19, vcc_lo, v32, s22
	s_wait_alu 0xfffd
	v_add_co_ci_u32_e64 v20, null, 0, v33, vcc_lo
	s_mov_b32 s0, 0
	s_clause 0x7
	global_load_u8 v18, v[19:20], off offset:1792
	global_load_u8 v17, v[19:20], off offset:1536
	;; [unrolled: 1-line block ×7, first 2 shown]
	global_load_u8 v11, v[19:20], off
.LBB89_18:                              ;   in Loop: Header=BB89_16 Depth=2
	s_wait_alu 0xfffe
	s_and_not1_b32 vcc_lo, exec_lo, s0
	s_movk_i32 s0, 0x800
	s_wait_alu 0xfffe
	s_cbranch_vccnz .LBB89_29
; %bb.19:                               ;   in Loop: Header=BB89_16 Depth=2
	s_add_nc_u64 s[0:1], s[40:41], s[22:23]
	s_mov_b32 s11, exec_lo
	v_cmpx_gt_u32_e64 s9, v1
	s_cbranch_execnz .LBB89_45
; %bb.20:                               ;   in Loop: Header=BB89_16 Depth=2
	s_wait_alu 0xfffe
	s_or_b32 exec_lo, exec_lo, s11
	s_delay_alu instid0(SALU_CYCLE_1)
	s_mov_b32 s11, exec_lo
	v_cmpx_gt_u32_e64 s9, v29
	s_cbranch_execnz .LBB89_46
.LBB89_21:                              ;   in Loop: Header=BB89_16 Depth=2
	s_wait_alu 0xfffe
	s_or_b32 exec_lo, exec_lo, s11
	s_delay_alu instid0(SALU_CYCLE_1)
	s_mov_b32 s11, exec_lo
	v_cmpx_gt_u32_e64 s9, v30
	s_cbranch_execnz .LBB89_47
.LBB89_22:                              ;   in Loop: Header=BB89_16 Depth=2
	s_wait_alu 0xfffe
	s_or_b32 exec_lo, exec_lo, s11
	s_delay_alu instid0(SALU_CYCLE_1)
	s_mov_b32 s11, exec_lo
	v_cmpx_gt_u32_e64 s9, v31
	s_cbranch_execnz .LBB89_48
.LBB89_23:                              ;   in Loop: Header=BB89_16 Depth=2
	s_wait_alu 0xfffe
	s_or_b32 exec_lo, exec_lo, s11
	s_delay_alu instid0(SALU_CYCLE_1)
	s_mov_b32 s11, exec_lo
	v_cmpx_gt_u32_e64 s9, v34
	s_cbranch_execnz .LBB89_49
.LBB89_24:                              ;   in Loop: Header=BB89_16 Depth=2
	s_wait_alu 0xfffe
	s_or_b32 exec_lo, exec_lo, s11
	s_delay_alu instid0(SALU_CYCLE_1)
	s_mov_b32 s11, exec_lo
	v_cmpx_gt_u32_e64 s9, v35
	s_cbranch_execnz .LBB89_50
.LBB89_25:                              ;   in Loop: Header=BB89_16 Depth=2
	s_wait_alu 0xfffe
	s_or_b32 exec_lo, exec_lo, s11
	s_delay_alu instid0(SALU_CYCLE_1)
	s_mov_b32 s11, exec_lo
	v_cmpx_gt_u32_e64 s9, v36
	s_cbranch_execnz .LBB89_51
.LBB89_26:                              ;   in Loop: Header=BB89_16 Depth=2
	s_wait_alu 0xfffe
	s_or_b32 exec_lo, exec_lo, s11
	s_delay_alu instid0(SALU_CYCLE_1)
	s_mov_b32 s11, exec_lo
	v_cmpx_gt_u32_e64 s9, v37
	s_cbranch_execz .LBB89_28
.LBB89_27:                              ;   in Loop: Header=BB89_16 Depth=2
	s_wait_loadcnt 0x0
	v_add_co_u32 v11, s0, s0, v1
	s_wait_alu 0xf1ff
	v_add_co_ci_u32_e64 v12, null, s1, 0, s0
	global_load_u8 v2, v[11:12], off offset:1792
.LBB89_28:                              ;   in Loop: Header=BB89_16 Depth=2
	s_wait_alu 0xfffe
	s_or_b32 exec_lo, exec_lo, s11
	s_wait_loadcnt 0x0
	v_dual_mov_b32 v11, v7 :: v_dual_mov_b32 v12, v10
	v_dual_mov_b32 v13, v9 :: v_dual_mov_b32 v14, v8
	;; [unrolled: 1-line block ×4, first 2 shown]
	s_mov_b32 s0, s9
.LBB89_29:                              ;   in Loop: Header=BB89_16 Depth=2
	s_wait_loadcnt 0x5
	s_delay_alu instid0(VALU_DEP_1)
	v_dual_mov_b32 v2, v18 :: v_dual_mov_b32 v5, v16
	s_wait_loadcnt 0x2
	v_dual_mov_b32 v4, v17 :: v_dual_mov_b32 v9, v13
	s_wait_loadcnt 0x0
	v_dual_mov_b32 v6, v15 :: v_dual_mov_b32 v7, v11
	v_mov_b32_e32 v8, v14
	v_mov_b32_e32 v10, v12
	s_mov_b32 s1, exec_lo
	s_wait_alu 0xfffe
	v_cmpx_gt_u32_e64 s0, v1
	s_cbranch_execnz .LBB89_37
; %bb.30:                               ;   in Loop: Header=BB89_16 Depth=2
	s_or_b32 exec_lo, exec_lo, s1
	s_delay_alu instid0(SALU_CYCLE_1)
	s_mov_b32 s1, exec_lo
	v_cmpx_gt_u32_e64 s0, v29
	s_cbranch_execnz .LBB89_38
.LBB89_31:                              ;   in Loop: Header=BB89_16 Depth=2
	s_wait_alu 0xfffe
	s_or_b32 exec_lo, exec_lo, s1
	s_delay_alu instid0(SALU_CYCLE_1)
	s_mov_b32 s1, exec_lo
	v_cmpx_gt_u32_e64 s0, v30
	s_cbranch_execnz .LBB89_39
.LBB89_32:                              ;   in Loop: Header=BB89_16 Depth=2
	s_wait_alu 0xfffe
	s_or_b32 exec_lo, exec_lo, s1
	s_delay_alu instid0(SALU_CYCLE_1)
	s_mov_b32 s1, exec_lo
	v_cmpx_gt_u32_e64 s0, v31
	s_cbranch_execnz .LBB89_40
.LBB89_33:                              ;   in Loop: Header=BB89_16 Depth=2
	s_wait_alu 0xfffe
	s_or_b32 exec_lo, exec_lo, s1
	s_delay_alu instid0(SALU_CYCLE_1)
	s_mov_b32 s1, exec_lo
	v_cmpx_gt_u32_e64 s0, v34
	s_cbranch_execnz .LBB89_41
.LBB89_34:                              ;   in Loop: Header=BB89_16 Depth=2
	s_wait_alu 0xfffe
	s_or_b32 exec_lo, exec_lo, s1
	s_delay_alu instid0(SALU_CYCLE_1)
	s_mov_b32 s1, exec_lo
	v_cmpx_gt_u32_e64 s0, v35
	s_cbranch_execnz .LBB89_42
.LBB89_35:                              ;   in Loop: Header=BB89_16 Depth=2
	s_wait_alu 0xfffe
	s_or_b32 exec_lo, exec_lo, s1
	s_delay_alu instid0(SALU_CYCLE_1)
	s_mov_b32 s1, exec_lo
	v_cmpx_gt_u32_e64 s0, v36
	s_cbranch_execnz .LBB89_43
.LBB89_36:                              ;   in Loop: Header=BB89_16 Depth=2
	s_wait_alu 0xfffe
	s_or_b32 exec_lo, exec_lo, s1
	v_cmp_gt_u32_e32 vcc_lo, s0, v37
	s_and_saveexec_b32 s0, vcc_lo
	s_cbranch_execz .LBB89_15
	s_branch .LBB89_44
.LBB89_37:                              ;   in Loop: Header=BB89_16 Depth=2
	v_xor_b32_e32 v11, -1, v7
	s_delay_alu instid0(VALU_DEP_1) | instskip(NEXT) | instid1(VALU_DEP_1)
	v_and_b32_e32 v11, 0xff, v11
	v_lshrrev_b32_e32 v11, s30, v11
	s_delay_alu instid0(VALU_DEP_1) | instskip(NEXT) | instid1(VALU_DEP_1)
	v_and_b32_e32 v11, s31, v11
	v_lshl_or_b32 v11, v11, 4, v39
	ds_add_u32 v11, v61
	s_or_b32 exec_lo, exec_lo, s1
	s_delay_alu instid0(SALU_CYCLE_1)
	s_mov_b32 s1, exec_lo
	v_cmpx_gt_u32_e64 s0, v29
	s_cbranch_execz .LBB89_31
.LBB89_38:                              ;   in Loop: Header=BB89_16 Depth=2
	v_xor_b32_e32 v11, -1, v10
	s_delay_alu instid0(VALU_DEP_1) | instskip(NEXT) | instid1(VALU_DEP_1)
	v_and_b32_e32 v11, 0xff, v11
	v_lshrrev_b32_e32 v11, s30, v11
	s_delay_alu instid0(VALU_DEP_1) | instskip(NEXT) | instid1(VALU_DEP_1)
	v_and_b32_e32 v11, s31, v11
	v_lshl_or_b32 v11, v11, 4, v39
	ds_add_u32 v11, v61
	s_wait_alu 0xfffe
	s_or_b32 exec_lo, exec_lo, s1
	s_delay_alu instid0(SALU_CYCLE_1)
	s_mov_b32 s1, exec_lo
	v_cmpx_gt_u32_e64 s0, v30
	s_cbranch_execz .LBB89_32
.LBB89_39:                              ;   in Loop: Header=BB89_16 Depth=2
	v_xor_b32_e32 v11, -1, v9
	s_delay_alu instid0(VALU_DEP_1) | instskip(NEXT) | instid1(VALU_DEP_1)
	v_and_b32_e32 v11, 0xff, v11
	v_lshrrev_b32_e32 v11, s30, v11
	s_delay_alu instid0(VALU_DEP_1) | instskip(NEXT) | instid1(VALU_DEP_1)
	v_and_b32_e32 v11, s31, v11
	v_lshl_or_b32 v11, v11, 4, v39
	ds_add_u32 v11, v61
	s_wait_alu 0xfffe
	s_or_b32 exec_lo, exec_lo, s1
	s_delay_alu instid0(SALU_CYCLE_1)
	s_mov_b32 s1, exec_lo
	v_cmpx_gt_u32_e64 s0, v31
	s_cbranch_execz .LBB89_33
.LBB89_40:                              ;   in Loop: Header=BB89_16 Depth=2
	v_xor_b32_e32 v11, -1, v8
	s_delay_alu instid0(VALU_DEP_1) | instskip(NEXT) | instid1(VALU_DEP_1)
	v_and_b32_e32 v11, 0xff, v11
	v_lshrrev_b32_e32 v11, s30, v11
	s_delay_alu instid0(VALU_DEP_1) | instskip(NEXT) | instid1(VALU_DEP_1)
	v_and_b32_e32 v11, s31, v11
	v_lshl_or_b32 v11, v11, 4, v39
	ds_add_u32 v11, v61
	s_wait_alu 0xfffe
	s_or_b32 exec_lo, exec_lo, s1
	s_delay_alu instid0(SALU_CYCLE_1)
	s_mov_b32 s1, exec_lo
	v_cmpx_gt_u32_e64 s0, v34
	s_cbranch_execz .LBB89_34
.LBB89_41:                              ;   in Loop: Header=BB89_16 Depth=2
	v_xor_b32_e32 v11, -1, v6
	s_delay_alu instid0(VALU_DEP_1) | instskip(NEXT) | instid1(VALU_DEP_1)
	v_and_b32_e32 v11, 0xff, v11
	v_lshrrev_b32_e32 v11, s30, v11
	s_delay_alu instid0(VALU_DEP_1) | instskip(NEXT) | instid1(VALU_DEP_1)
	v_and_b32_e32 v11, s31, v11
	v_lshl_or_b32 v11, v11, 4, v39
	ds_add_u32 v11, v61
	s_wait_alu 0xfffe
	s_or_b32 exec_lo, exec_lo, s1
	s_delay_alu instid0(SALU_CYCLE_1)
	s_mov_b32 s1, exec_lo
	v_cmpx_gt_u32_e64 s0, v35
	s_cbranch_execz .LBB89_35
.LBB89_42:                              ;   in Loop: Header=BB89_16 Depth=2
	v_xor_b32_e32 v11, -1, v5
	s_delay_alu instid0(VALU_DEP_1) | instskip(NEXT) | instid1(VALU_DEP_1)
	v_and_b32_e32 v11, 0xff, v11
	v_lshrrev_b32_e32 v11, s30, v11
	s_delay_alu instid0(VALU_DEP_1) | instskip(NEXT) | instid1(VALU_DEP_1)
	v_and_b32_e32 v11, s31, v11
	v_lshl_or_b32 v11, v11, 4, v39
	ds_add_u32 v11, v61
	s_wait_alu 0xfffe
	s_or_b32 exec_lo, exec_lo, s1
	s_delay_alu instid0(SALU_CYCLE_1)
	s_mov_b32 s1, exec_lo
	v_cmpx_gt_u32_e64 s0, v36
	s_cbranch_execz .LBB89_36
.LBB89_43:                              ;   in Loop: Header=BB89_16 Depth=2
	v_xor_b32_e32 v11, -1, v4
	s_delay_alu instid0(VALU_DEP_1) | instskip(NEXT) | instid1(VALU_DEP_1)
	v_and_b32_e32 v11, 0xff, v11
	v_lshrrev_b32_e32 v11, s30, v11
	s_delay_alu instid0(VALU_DEP_1) | instskip(NEXT) | instid1(VALU_DEP_1)
	v_and_b32_e32 v11, s31, v11
	v_lshl_or_b32 v11, v11, 4, v39
	ds_add_u32 v11, v61
	s_wait_alu 0xfffe
	s_or_b32 exec_lo, exec_lo, s1
	v_cmp_gt_u32_e32 vcc_lo, s0, v37
	s_and_saveexec_b32 s0, vcc_lo
	s_cbranch_execz .LBB89_15
.LBB89_44:                              ;   in Loop: Header=BB89_16 Depth=2
	v_xor_b32_e32 v11, -1, v2
	s_delay_alu instid0(VALU_DEP_1) | instskip(NEXT) | instid1(VALU_DEP_1)
	v_and_b32_e32 v11, 0xff, v11
	v_lshrrev_b32_e32 v11, s30, v11
	s_delay_alu instid0(VALU_DEP_1) | instskip(NEXT) | instid1(VALU_DEP_1)
	v_and_b32_e32 v11, s31, v11
	v_lshl_or_b32 v11, v11, 4, v39
	ds_add_u32 v11, v61
	s_branch .LBB89_15
.LBB89_45:                              ;   in Loop: Header=BB89_16 Depth=2
	s_wait_loadcnt 0x0
	s_wait_alu 0xfffe
	v_add_co_u32 v11, s12, s0, v1
	s_wait_alu 0xf1ff
	v_add_co_ci_u32_e64 v12, null, s1, 0, s12
	global_load_u8 v7, v[11:12], off
	s_or_b32 exec_lo, exec_lo, s11
	s_delay_alu instid0(SALU_CYCLE_1)
	s_mov_b32 s11, exec_lo
	v_cmpx_gt_u32_e64 s9, v29
	s_cbranch_execz .LBB89_21
.LBB89_46:                              ;   in Loop: Header=BB89_16 Depth=2
	v_add_co_u32 v10, s12, s0, v1
	s_wait_loadcnt 0x0
	s_wait_alu 0xf1ff
	v_add_co_ci_u32_e64 v11, null, s1, 0, s12
	global_load_u8 v10, v[10:11], off offset:256
	s_wait_alu 0xfffe
	s_or_b32 exec_lo, exec_lo, s11
	s_delay_alu instid0(SALU_CYCLE_1)
	s_mov_b32 s11, exec_lo
	v_cmpx_gt_u32_e64 s9, v30
	s_cbranch_execz .LBB89_22
.LBB89_47:                              ;   in Loop: Header=BB89_16 Depth=2
	s_wait_loadcnt 0x0
	v_add_co_u32 v11, s12, s0, v1
	s_wait_alu 0xf1ff
	v_add_co_ci_u32_e64 v12, null, s1, 0, s12
	global_load_u8 v9, v[11:12], off offset:512
	s_wait_alu 0xfffe
	s_or_b32 exec_lo, exec_lo, s11
	s_delay_alu instid0(SALU_CYCLE_1)
	s_mov_b32 s11, exec_lo
	v_cmpx_gt_u32_e64 s9, v31
	s_cbranch_execz .LBB89_23
.LBB89_48:                              ;   in Loop: Header=BB89_16 Depth=2
	s_wait_loadcnt 0x0
	v_add_co_u32 v11, s12, s0, v1
	s_wait_alu 0xf1ff
	v_add_co_ci_u32_e64 v12, null, s1, 0, s12
	global_load_u8 v8, v[11:12], off offset:768
	s_wait_alu 0xfffe
	s_or_b32 exec_lo, exec_lo, s11
	s_delay_alu instid0(SALU_CYCLE_1)
	s_mov_b32 s11, exec_lo
	v_cmpx_gt_u32_e64 s9, v34
	s_cbranch_execz .LBB89_24
.LBB89_49:                              ;   in Loop: Header=BB89_16 Depth=2
	s_wait_loadcnt 0x0
	v_add_co_u32 v11, s12, s0, v1
	s_wait_alu 0xf1ff
	v_add_co_ci_u32_e64 v12, null, s1, 0, s12
	global_load_u8 v6, v[11:12], off offset:1024
	s_wait_alu 0xfffe
	s_or_b32 exec_lo, exec_lo, s11
	s_delay_alu instid0(SALU_CYCLE_1)
	s_mov_b32 s11, exec_lo
	v_cmpx_gt_u32_e64 s9, v35
	s_cbranch_execz .LBB89_25
.LBB89_50:                              ;   in Loop: Header=BB89_16 Depth=2
	s_wait_loadcnt 0x0
	v_add_co_u32 v11, s12, s0, v1
	s_wait_alu 0xf1ff
	v_add_co_ci_u32_e64 v12, null, s1, 0, s12
	global_load_u8 v5, v[11:12], off offset:1280
	s_wait_alu 0xfffe
	s_or_b32 exec_lo, exec_lo, s11
	s_delay_alu instid0(SALU_CYCLE_1)
	s_mov_b32 s11, exec_lo
	v_cmpx_gt_u32_e64 s9, v36
	s_cbranch_execz .LBB89_26
.LBB89_51:                              ;   in Loop: Header=BB89_16 Depth=2
	s_wait_loadcnt 0x0
	v_add_co_u32 v11, s12, s0, v1
	s_wait_alu 0xf1ff
	v_add_co_ci_u32_e64 v12, null, s1, 0, s12
	global_load_u8 v4, v[11:12], off offset:1536
	s_wait_alu 0xfffe
	s_or_b32 exec_lo, exec_lo, s11
	s_delay_alu instid0(SALU_CYCLE_1)
	s_mov_b32 s11, exec_lo
	v_cmpx_gt_u32_e64 s9, v37
	s_cbranch_execnz .LBB89_27
	s_branch .LBB89_28
.LBB89_52:                              ;   in Loop: Header=BB89_12 Depth=1
	v_mov_b32_e32 v2, 0
	s_wait_dscnt 0x0
	s_barrier_signal -1
	s_barrier_wait -1
	global_inv scope:SCOPE_SE
	s_and_saveexec_b32 s0, s2
	s_cbranch_execz .LBB89_54
; %bb.53:                               ;   in Loop: Header=BB89_12 Depth=1
	ds_load_2addr_b64 v[4:7], v40 offset1:1
	s_wait_dscnt 0x0
	v_add_nc_u32_e32 v2, v5, v4
	s_delay_alu instid0(VALU_DEP_1)
	v_add3_u32 v2, v2, v6, v7
.LBB89_54:                              ;   in Loop: Header=BB89_12 Depth=1
	s_wait_alu 0xfffe
	s_or_b32 exec_lo, exec_lo, s0
	s_delay_alu instid0(VALU_DEP_1)
	v_mov_b32_dpp v4, v2 row_shr:1 row_mask:0xf bank_mask:0xf
	v_cmp_eq_u32_e64 s0, 0, v62
	v_cmp_lt_u32_e64 s1, 1, v62
	v_cmp_lt_u32_e64 s9, 3, v62
	;; [unrolled: 1-line block ×3, first 2 shown]
	v_cmp_eq_u32_e64 s11, 0, v64
	s_wait_alu 0xf1ff
	v_cndmask_b32_e64 v4, v4, 0, s0
	s_delay_alu instid0(VALU_DEP_1) | instskip(NEXT) | instid1(VALU_DEP_1)
	v_add_nc_u32_e32 v2, v4, v2
	v_mov_b32_dpp v4, v2 row_shr:2 row_mask:0xf bank_mask:0xf
	s_delay_alu instid0(VALU_DEP_1) | instskip(NEXT) | instid1(VALU_DEP_1)
	v_cndmask_b32_e64 v4, 0, v4, s1
	v_add_nc_u32_e32 v2, v2, v4
	s_delay_alu instid0(VALU_DEP_1) | instskip(NEXT) | instid1(VALU_DEP_1)
	v_mov_b32_dpp v4, v2 row_shr:4 row_mask:0xf bank_mask:0xf
	v_cndmask_b32_e64 v4, 0, v4, s9
	s_delay_alu instid0(VALU_DEP_1) | instskip(NEXT) | instid1(VALU_DEP_1)
	v_add_nc_u32_e32 v2, v2, v4
	v_mov_b32_dpp v4, v2 row_shr:8 row_mask:0xf bank_mask:0xf
	s_delay_alu instid0(VALU_DEP_1) | instskip(NEXT) | instid1(VALU_DEP_1)
	v_cndmask_b32_e64 v4, 0, v4, s10
	v_add_nc_u32_e32 v2, v2, v4
	ds_swizzle_b32 v4, v2 offset:swizzle(BROADCAST,32,15)
	s_wait_dscnt 0x0
	v_and_b32_e32 v4, v63, v4
	s_delay_alu instid0(VALU_DEP_1)
	v_add_nc_u32_e32 v2, v2, v4
	s_and_saveexec_b32 s12, s3
; %bb.55:                               ;   in Loop: Header=BB89_12 Depth=1
	ds_store_b32 v41, v2
; %bb.56:                               ;   in Loop: Header=BB89_12 Depth=1
	s_wait_alu 0xfffe
	s_or_b32 exec_lo, exec_lo, s12
	s_wait_loadcnt_dscnt 0x0
	s_barrier_signal -1
	s_barrier_wait -1
	global_inv scope:SCOPE_SE
	s_and_saveexec_b32 s12, s4
	s_cbranch_execz .LBB89_58
; %bb.57:                               ;   in Loop: Header=BB89_12 Depth=1
	ds_load_b32 v4, v42
	v_cmp_ne_u32_e32 vcc_lo, 0, v65
	s_wait_dscnt 0x0
	v_mov_b32_dpp v5, v4 row_shr:1 row_mask:0xf bank_mask:0xf
	s_wait_alu 0xfffd
	s_delay_alu instid0(VALU_DEP_1) | instskip(SKIP_1) | instid1(VALU_DEP_2)
	v_cndmask_b32_e32 v5, 0, v5, vcc_lo
	v_cmp_lt_u32_e32 vcc_lo, 1, v65
	v_add_nc_u32_e32 v4, v5, v4
	s_delay_alu instid0(VALU_DEP_1) | instskip(SKIP_1) | instid1(VALU_DEP_1)
	v_mov_b32_dpp v5, v4 row_shr:2 row_mask:0xf bank_mask:0xf
	s_wait_alu 0xfffd
	v_cndmask_b32_e32 v5, 0, v5, vcc_lo
	v_cmp_lt_u32_e32 vcc_lo, 3, v65
	s_delay_alu instid0(VALU_DEP_2) | instskip(NEXT) | instid1(VALU_DEP_1)
	v_add_nc_u32_e32 v4, v4, v5
	v_mov_b32_dpp v5, v4 row_shr:4 row_mask:0xf bank_mask:0xf
	s_wait_alu 0xfffd
	s_delay_alu instid0(VALU_DEP_1) | instskip(NEXT) | instid1(VALU_DEP_1)
	v_cndmask_b32_e32 v5, 0, v5, vcc_lo
	v_add_nc_u32_e32 v4, v4, v5
	ds_store_b32 v42, v4
.LBB89_58:                              ;   in Loop: Header=BB89_12 Depth=1
	s_wait_alu 0xfffe
	s_or_b32 exec_lo, exec_lo, s12
	v_mov_b32_e32 v4, 0
	s_wait_loadcnt_dscnt 0x0
	s_barrier_signal -1
	s_barrier_wait -1
	global_inv scope:SCOPE_SE
	s_and_saveexec_b32 s12, s5
; %bb.59:                               ;   in Loop: Header=BB89_12 Depth=1
	ds_load_b32 v4, v43
; %bb.60:                               ;   in Loop: Header=BB89_12 Depth=1
	s_wait_alu 0xfffe
	s_or_b32 exec_lo, exec_lo, s12
	v_cmp_gt_i32_e32 vcc_lo, 0, v67
	s_wait_dscnt 0x0
	v_add_nc_u32_e32 v2, v4, v2
	s_wait_loadcnt 0x0
	s_barrier_signal -1
	s_barrier_wait -1
	s_wait_alu 0xfffd
	v_cndmask_b32_e32 v5, v67, v58, vcc_lo
	global_inv scope:SCOPE_SE
	v_lshlrev_b32_e32 v80, 2, v5
	ds_bpermute_b32 v2, v80, v2
	s_and_saveexec_b32 s12, s2
	s_cbranch_execz .LBB89_62
; %bb.61:                               ;   in Loop: Header=BB89_12 Depth=1
	s_wait_dscnt 0x0
	v_cndmask_b32_e64 v2, v2, v4, s8
	s_delay_alu instid0(VALU_DEP_1)
	v_add_nc_u32_e32 v2, s33, v2
	ds_store_b32 v28, v2
.LBB89_62:                              ;   in Loop: Header=BB89_12 Depth=1
	s_wait_alu 0xfffe
	s_or_b32 exec_lo, exec_lo, s12
	s_clause 0x1
	s_load_b32 s12, s[28:29], 0x4
	s_load_b32 s14, s[28:29], 0xc
	s_mov_b32 s42, s47
                                        ; implicit-def: $vgpr6_vgpr7
                                        ; implicit-def: $vgpr8_vgpr9
                                        ; implicit-def: $vgpr10_vgpr11
                                        ; implicit-def: $vgpr12_vgpr13
                                        ; implicit-def: $vgpr14_vgpr15
                                        ; implicit-def: $vgpr16_vgpr17
                                        ; implicit-def: $vgpr18_vgpr19
                                        ; implicit-def: $vgpr82
                                        ; implicit-def: $vgpr83
                                        ; implicit-def: $vgpr84
                                        ; implicit-def: $vgpr85
                                        ; implicit-def: $vgpr86
                                        ; implicit-def: $vgpr87
                                        ; implicit-def: $vgpr88
                                        ; implicit-def: $vgpr89
	s_wait_kmcnt 0x0
	s_cmp_lt_u32 ttmp7, s12
	s_cselect_b32 s22, 14, 20
	s_wait_alu 0xfffe
	s_add_nc_u64 s[12:13], s[28:29], s[22:23]
	s_mov_b32 s22, s33
	s_load_u16 s12, s[12:13], 0x0
	v_cmp_lt_u32_e64 s13, 1, v65
	s_wait_dscnt 0x0
	s_wait_kmcnt 0x0
	v_mad_u32_u24 v2, v44, s12, v0
	s_and_b32 s12, s14, 0xffff
	v_cmp_lt_u32_e64 s14, 3, v65
	s_wait_alu 0xfffe
	s_delay_alu instid0(VALU_DEP_2) | instskip(SKIP_1) | instid1(VALU_DEP_2)
	v_mad_co_u64_u32 v[4:5], null, v2, s12, v[1:2]
	v_cmp_eq_u32_e64 s12, 0, v65
	v_lshrrev_b32_e32 v2, 3, v4
                                        ; implicit-def: $vgpr4_vgpr5
	s_delay_alu instid0(VALU_DEP_1)
	v_and_b32_e32 v81, 0x1ffffffc, v2
	s_branch .LBB89_64
.LBB89_63:                              ;   in Loop: Header=BB89_64 Depth=2
	s_wait_alu 0xfffe
	s_or_b32 exec_lo, exec_lo, s15
	s_addk_co_i32 s42, 0xf800
	s_cmp_lt_u32 s43, s34
	s_mov_b32 s22, s43
	s_cbranch_scc0 .LBB89_176
.LBB89_64:                              ;   Parent Loop BB89_12 Depth=1
                                        ; =>  This Inner Loop Header: Depth=2
	s_wait_alu 0xfffe
	s_add_co_i32 s43, s22, 0x800
	s_wait_alu 0xfffe
	s_cmp_gt_u32 s43, s34
	s_cbranch_scc1 .LBB89_66
; %bb.65:                               ;   in Loop: Header=BB89_64 Depth=2
	v_add_co_u32 v20, vcc_lo, v78, s22
	s_wait_alu 0xfffd
	v_add_co_ci_u32_e64 v21, null, 0, v79, vcc_lo
	s_mov_b32 s15, -1
	s_clause 0x6
	global_load_u8 v23, v[20:21], off offset:192
	global_load_u8 v24, v[20:21], off offset:160
	;; [unrolled: 1-line block ×6, first 2 shown]
	global_load_u8 v90, v[20:21], off
	s_movk_i32 s16, 0x800
                                        ; implicit-def: $vgpr22
	s_cbranch_execz .LBB89_67
	s_branch .LBB89_77
.LBB89_66:                              ;   in Loop: Header=BB89_64 Depth=2
	s_mov_b32 s15, 0
                                        ; implicit-def: $vgpr90
                                        ; implicit-def: $vgpr92
                                        ; implicit-def: $vgpr27
                                        ; implicit-def: $vgpr26
                                        ; implicit-def: $vgpr25
                                        ; implicit-def: $vgpr24
                                        ; implicit-def: $vgpr23
	s_movk_i32 s16, 0x800
                                        ; implicit-def: $vgpr22
.LBB89_67:                              ;   in Loop: Header=BB89_64 Depth=2
	v_add_co_u32 v20, vcc_lo, v78, s22
	s_wait_alu 0xfffd
	v_add_co_ci_u32_e64 v21, null, 0, v79, vcc_lo
	s_wait_loadcnt 0x0
	v_dual_mov_b32 v27, 0 :: v_dual_mov_b32 v90, 0
	v_dual_mov_b32 v26, 0 :: v_dual_mov_b32 v25, 0
	;; [unrolled: 1-line block ×3, first 2 shown]
	v_mov_b32_e32 v22, 0
	s_mov_b32 s15, exec_lo
	v_cmpx_gt_u32_e64 s42, v68
	s_cbranch_execz .LBB89_69
; %bb.68:                               ;   in Loop: Header=BB89_64 Depth=2
	global_load_u8 v90, v[20:21], off
	v_dual_mov_b32 v26, 0 :: v_dual_mov_b32 v25, 0
	v_dual_mov_b32 v24, 0 :: v_dual_mov_b32 v23, 0
	v_mov_b32_e32 v22, 0
.LBB89_69:                              ;   in Loop: Header=BB89_64 Depth=2
	s_wait_alu 0xfffe
	s_or_b32 exec_lo, exec_lo, s15
	v_mov_b32_e32 v92, v27
	s_mov_b32 s15, exec_lo
	v_cmpx_gt_u32_e64 s42, v71
	s_cbranch_execnz .LBB89_171
; %bb.70:                               ;   in Loop: Header=BB89_64 Depth=2
	s_wait_alu 0xfffe
	s_or_b32 exec_lo, exec_lo, s15
	s_delay_alu instid0(SALU_CYCLE_1)
	s_mov_b32 s15, exec_lo
	v_cmpx_gt_u32_e64 s42, v72
	s_cbranch_execnz .LBB89_172
.LBB89_71:                              ;   in Loop: Header=BB89_64 Depth=2
	s_wait_alu 0xfffe
	s_or_b32 exec_lo, exec_lo, s15
	s_delay_alu instid0(SALU_CYCLE_1)
	s_mov_b32 s15, exec_lo
	v_cmpx_gt_u32_e64 s42, v73
	s_cbranch_execnz .LBB89_173
.LBB89_72:                              ;   in Loop: Header=BB89_64 Depth=2
	s_wait_alu 0xfffe
	s_or_b32 exec_lo, exec_lo, s15
	s_delay_alu instid0(SALU_CYCLE_1)
	s_mov_b32 s15, exec_lo
	v_cmpx_gt_u32_e64 s42, v74
	s_cbranch_execnz .LBB89_174
.LBB89_73:                              ;   in Loop: Header=BB89_64 Depth=2
	s_wait_alu 0xfffe
	s_or_b32 exec_lo, exec_lo, s15
	s_delay_alu instid0(SALU_CYCLE_1)
	s_mov_b32 s15, exec_lo
	v_cmpx_gt_u32_e64 s42, v75
	s_cbranch_execnz .LBB89_175
.LBB89_74:                              ;   in Loop: Header=BB89_64 Depth=2
	s_wait_alu 0xfffe
	s_or_b32 exec_lo, exec_lo, s15
	s_delay_alu instid0(SALU_CYCLE_1)
	s_mov_b32 s15, exec_lo
	v_cmpx_gt_u32_e64 s42, v76
	s_cbranch_execz .LBB89_76
.LBB89_75:                              ;   in Loop: Header=BB89_64 Depth=2
	global_load_u8 v23, v[20:21], off offset:192
.LBB89_76:                              ;   in Loop: Header=BB89_64 Depth=2
	s_wait_alu 0xfffe
	s_or_b32 exec_lo, exec_lo, s15
	v_cmp_gt_u32_e64 s15, s42, v77
	s_sub_co_i32 s16, s34, s22
.LBB89_77:                              ;   in Loop: Header=BB89_64 Depth=2
	v_mov_b32_e32 v2, s42
	s_wait_alu 0xfffe
	s_and_saveexec_b32 s17, s15
	s_cbranch_execz .LBB89_79
; %bb.78:                               ;   in Loop: Header=BB89_64 Depth=2
	v_add_co_u32 v20, vcc_lo, v78, s22
	s_wait_alu 0xfffd
	v_add_co_ci_u32_e64 v21, null, s23, v79, vcc_lo
	v_mov_b32_e32 v2, s16
	global_load_u8 v22, v[20:21], off offset:224
.LBB89_79:                              ;   in Loop: Header=BB89_64 Depth=2
	s_wait_alu 0xfffe
	s_or_b32 exec_lo, exec_lo, s17
	s_wait_loadcnt 0x0
	v_xor_b32_e32 v90, -1, v90
	s_delay_alu instid0(VALU_DEP_1) | instskip(NEXT) | instid1(VALU_DEP_1)
	v_and_b32_e32 v20, 0xff, v90
	v_lshrrev_b32_e32 v20, s30, v20
	s_delay_alu instid0(VALU_DEP_1) | instskip(NEXT) | instid1(VALU_DEP_1)
	v_and_b32_e32 v21, s31, v20
	v_and_b32_e32 v20, 1, v21
	v_lshlrev_b32_e32 v91, 30, v21
	v_lshlrev_b32_e32 v93, 29, v21
	;; [unrolled: 1-line block ×4, first 2 shown]
	v_add_co_u32 v20, s15, v20, -1
	s_wait_alu 0xf1ff
	v_cndmask_b32_e64 v95, 0, 1, s15
	v_not_b32_e32 v99, v91
	v_cmp_gt_i32_e64 s15, 0, v91
	v_not_b32_e32 v91, v93
	v_lshlrev_b32_e32 v97, 26, v21
	v_cmp_ne_u32_e32 vcc_lo, 0, v95
	v_ashrrev_i32_e32 v99, 31, v99
	v_lshlrev_b32_e32 v98, 25, v21
	v_ashrrev_i32_e32 v91, 31, v91
	v_lshlrev_b32_e32 v95, 24, v21
	s_wait_alu 0xfffd
	v_xor_b32_e32 v20, vcc_lo, v20
	v_cmp_gt_i32_e32 vcc_lo, 0, v93
	v_not_b32_e32 v93, v94
	s_wait_alu 0xf1ff
	v_xor_b32_e32 v99, s15, v99
	v_cmp_gt_i32_e64 s15, 0, v94
	v_and_b32_e32 v20, exec_lo, v20
	v_not_b32_e32 v94, v96
	v_ashrrev_i32_e32 v93, 31, v93
	s_wait_alu 0xfffd
	v_xor_b32_e32 v91, vcc_lo, v91
	v_cmp_gt_i32_e32 vcc_lo, 0, v96
	v_and_b32_e32 v20, v20, v99
	v_not_b32_e32 v96, v97
	v_ashrrev_i32_e32 v94, 31, v94
	s_wait_alu 0xf1ff
	v_xor_b32_e32 v93, s15, v93
	v_cmp_gt_i32_e64 s15, 0, v97
	v_and_b32_e32 v20, v20, v91
	v_not_b32_e32 v91, v98
	v_ashrrev_i32_e32 v96, 31, v96
	s_wait_alu 0xfffd
	v_xor_b32_e32 v94, vcc_lo, v94
	v_cmp_gt_i32_e32 vcc_lo, 0, v98
	v_and_b32_e32 v20, v20, v93
	v_not_b32_e32 v93, v95
	v_ashrrev_i32_e32 v91, 31, v91
	s_wait_alu 0xf1ff
	v_xor_b32_e32 v96, s15, v96
	v_cmp_gt_i32_e64 s15, 0, v95
	v_and_b32_e32 v20, v20, v94
	v_ashrrev_i32_e32 v93, 31, v93
	s_wait_alu 0xfffd
	v_xor_b32_e32 v91, vcc_lo, v91
	v_mul_u32_u24_e32 v21, 36, v21
	v_add_nc_u32_e32 v95, 0x428, v45
	v_and_b32_e32 v20, v20, v96
	s_wait_alu 0xf1ff
	v_xor_b32_e32 v94, s15, v93
	v_add_nc_u32_e32 v93, 0x438, v45
	v_add_nc_u32_e32 v96, 0x430, v45
	;; [unrolled: 1-line block ×3, first 2 shown]
	v_and_b32_e32 v20, v20, v91
	ds_store_2addr_b32 v93, v3, v3 offset1:1
	v_and_b32_e32 v20, v20, v94
	v_add_nc_u32_e32 v94, 0x420, v45
	ds_store_2addr_b32 v94, v3, v3 offset1:1
	ds_store_2addr_b32 v95, v3, v3 offset1:1
	;; [unrolled: 1-line block ×3, first 2 shown]
	ds_store_b32 v45, v3 offset:1088
	v_mbcnt_lo_u32_b32 v91, v20, 0
	v_cmp_ne_u32_e64 s15, 0, v20
	s_wait_dscnt 0x0
	s_barrier_signal -1
	s_barrier_wait -1
	v_cmp_eq_u32_e32 vcc_lo, 0, v91
	global_inv scope:SCOPE_SE
	; wave barrier
	s_and_b32 s16, s15, vcc_lo
	s_wait_alu 0xfffe
	s_and_saveexec_b32 s15, s16
; %bb.80:                               ;   in Loop: Header=BB89_64 Depth=2
	v_bcnt_u32_b32 v20, v20, 0
	ds_store_b32 v97, v20 offset:1056
; %bb.81:                               ;   in Loop: Header=BB89_64 Depth=2
	s_wait_alu 0xfffe
	s_or_b32 exec_lo, exec_lo, s15
	v_xor_b32_e32 v92, -1, v92
	; wave barrier
	s_delay_alu instid0(VALU_DEP_1) | instskip(NEXT) | instid1(VALU_DEP_1)
	v_and_b32_e32 v20, 0xff, v92
	v_lshrrev_b32_e32 v20, s30, v20
	s_delay_alu instid0(VALU_DEP_1) | instskip(NEXT) | instid1(VALU_DEP_1)
	v_and_b32_e32 v21, s31, v20
	v_and_b32_e32 v20, 1, v21
	v_lshlrev_b32_e32 v98, 30, v21
	v_lshlrev_b32_e32 v99, 29, v21
	;; [unrolled: 1-line block ×4, first 2 shown]
	v_add_co_u32 v20, s15, v20, -1
	s_wait_alu 0xf1ff
	v_cndmask_b32_e64 v101, 0, 1, s15
	v_not_b32_e32 v105, v98
	v_cmp_gt_i32_e64 s15, 0, v98
	v_not_b32_e32 v98, v99
	v_lshlrev_b32_e32 v103, 26, v21
	v_cmp_ne_u32_e32 vcc_lo, 0, v101
	v_ashrrev_i32_e32 v105, 31, v105
	v_lshlrev_b32_e32 v104, 25, v21
	v_ashrrev_i32_e32 v98, 31, v98
	v_lshlrev_b32_e32 v101, 24, v21
	s_wait_alu 0xfffd
	v_xor_b32_e32 v20, vcc_lo, v20
	v_cmp_gt_i32_e32 vcc_lo, 0, v99
	v_not_b32_e32 v99, v100
	s_wait_alu 0xf1ff
	v_xor_b32_e32 v105, s15, v105
	v_cmp_gt_i32_e64 s15, 0, v100
	v_and_b32_e32 v20, exec_lo, v20
	v_not_b32_e32 v100, v102
	v_ashrrev_i32_e32 v99, 31, v99
	s_wait_alu 0xfffd
	v_xor_b32_e32 v98, vcc_lo, v98
	v_cmp_gt_i32_e32 vcc_lo, 0, v102
	v_and_b32_e32 v20, v20, v105
	v_not_b32_e32 v102, v103
	v_ashrrev_i32_e32 v100, 31, v100
	s_wait_alu 0xf1ff
	v_xor_b32_e32 v99, s15, v99
	v_cmp_gt_i32_e64 s15, 0, v103
	v_and_b32_e32 v20, v20, v98
	v_not_b32_e32 v98, v104
	v_ashrrev_i32_e32 v102, 31, v102
	s_wait_alu 0xfffd
	v_xor_b32_e32 v100, vcc_lo, v100
	v_cmp_gt_i32_e32 vcc_lo, 0, v104
	v_and_b32_e32 v20, v20, v99
	v_not_b32_e32 v99, v101
	v_ashrrev_i32_e32 v98, 31, v98
	s_wait_alu 0xf1ff
	v_xor_b32_e32 v102, s15, v102
	v_cmp_gt_i32_e64 s15, 0, v101
	v_and_b32_e32 v20, v20, v100
	v_ashrrev_i32_e32 v99, 31, v99
	s_wait_alu 0xfffd
	v_xor_b32_e32 v98, vcc_lo, v98
	v_mad_u32_u24 v100, v21, 36, v81
	v_mul_u32_u24_e32 v21, 36, v21
	v_and_b32_e32 v20, v20, v102
	s_wait_alu 0xf1ff
	v_xor_b32_e32 v99, s15, v99
	s_delay_alu instid0(VALU_DEP_3) | instskip(NEXT) | instid1(VALU_DEP_3)
	v_add_nc_u32_e32 v101, v81, v21
	v_and_b32_e32 v20, v20, v98
	ds_load_b32 v98, v100 offset:1056
	; wave barrier
	v_and_b32_e32 v20, v20, v99
	s_delay_alu instid0(VALU_DEP_1) | instskip(SKIP_1) | instid1(VALU_DEP_2)
	v_mbcnt_lo_u32_b32 v99, v20, 0
	v_cmp_ne_u32_e64 s15, 0, v20
	v_cmp_eq_u32_e32 vcc_lo, 0, v99
	s_and_b32 s16, s15, vcc_lo
	s_wait_alu 0xfffe
	s_and_saveexec_b32 s15, s16
	s_cbranch_execz .LBB89_83
; %bb.82:                               ;   in Loop: Header=BB89_64 Depth=2
	s_wait_dscnt 0x0
	v_bcnt_u32_b32 v20, v20, v98
	ds_store_b32 v101, v20 offset:1056
.LBB89_83:                              ;   in Loop: Header=BB89_64 Depth=2
	s_wait_alu 0xfffe
	s_or_b32 exec_lo, exec_lo, s15
	v_xor_b32_e32 v100, -1, v27
	; wave barrier
	s_delay_alu instid0(VALU_DEP_1) | instskip(NEXT) | instid1(VALU_DEP_1)
	v_and_b32_e32 v20, 0xff, v100
	v_lshrrev_b32_e32 v20, s30, v20
	s_delay_alu instid0(VALU_DEP_1) | instskip(NEXT) | instid1(VALU_DEP_1)
	v_and_b32_e32 v21, s31, v20
	v_and_b32_e32 v20, 1, v21
	v_lshlrev_b32_e32 v27, 30, v21
	v_lshlrev_b32_e32 v102, 29, v21
	;; [unrolled: 1-line block ×4, first 2 shown]
	v_add_co_u32 v20, s15, v20, -1
	s_wait_alu 0xf1ff
	v_cndmask_b32_e64 v104, 0, 1, s15
	v_not_b32_e32 v108, v27
	v_cmp_gt_i32_e64 s15, 0, v27
	v_not_b32_e32 v27, v102
	v_lshlrev_b32_e32 v106, 26, v21
	v_cmp_ne_u32_e32 vcc_lo, 0, v104
	v_ashrrev_i32_e32 v108, 31, v108
	v_lshlrev_b32_e32 v107, 25, v21
	v_ashrrev_i32_e32 v27, 31, v27
	v_lshlrev_b32_e32 v104, 24, v21
	s_wait_alu 0xfffd
	v_xor_b32_e32 v20, vcc_lo, v20
	v_cmp_gt_i32_e32 vcc_lo, 0, v102
	v_not_b32_e32 v102, v103
	s_wait_alu 0xf1ff
	v_xor_b32_e32 v108, s15, v108
	v_cmp_gt_i32_e64 s15, 0, v103
	v_and_b32_e32 v20, exec_lo, v20
	v_not_b32_e32 v103, v105
	v_ashrrev_i32_e32 v102, 31, v102
	s_wait_alu 0xfffd
	v_xor_b32_e32 v27, vcc_lo, v27
	v_cmp_gt_i32_e32 vcc_lo, 0, v105
	v_and_b32_e32 v20, v20, v108
	v_not_b32_e32 v105, v106
	v_ashrrev_i32_e32 v103, 31, v103
	s_wait_alu 0xf1ff
	v_xor_b32_e32 v102, s15, v102
	v_cmp_gt_i32_e64 s15, 0, v106
	v_and_b32_e32 v20, v20, v27
	v_not_b32_e32 v27, v107
	v_ashrrev_i32_e32 v105, 31, v105
	s_wait_alu 0xfffd
	v_xor_b32_e32 v103, vcc_lo, v103
	v_cmp_gt_i32_e32 vcc_lo, 0, v107
	v_and_b32_e32 v20, v20, v102
	v_not_b32_e32 v102, v104
	v_ashrrev_i32_e32 v27, 31, v27
	s_wait_alu 0xf1ff
	v_xor_b32_e32 v105, s15, v105
	v_cmp_gt_i32_e64 s15, 0, v104
	v_and_b32_e32 v20, v20, v103
	v_ashrrev_i32_e32 v102, 31, v102
	s_wait_alu 0xfffd
	v_xor_b32_e32 v27, vcc_lo, v27
	v_mad_u32_u24 v103, v21, 36, v81
	v_mul_u32_u24_e32 v21, 36, v21
	v_and_b32_e32 v20, v20, v105
	s_wait_alu 0xf1ff
	v_xor_b32_e32 v104, s15, v102
	ds_load_b32 v102, v103 offset:1056
	v_add_nc_u32_e32 v105, v81, v21
	v_and_b32_e32 v20, v20, v27
	; wave barrier
	s_delay_alu instid0(VALU_DEP_1) | instskip(NEXT) | instid1(VALU_DEP_1)
	v_and_b32_e32 v20, v20, v104
	v_mbcnt_lo_u32_b32 v103, v20, 0
	v_cmp_ne_u32_e64 s15, 0, v20
	s_delay_alu instid0(VALU_DEP_2)
	v_cmp_eq_u32_e32 vcc_lo, 0, v103
	s_and_b32 s16, s15, vcc_lo
	s_wait_alu 0xfffe
	s_and_saveexec_b32 s15, s16
	s_cbranch_execz .LBB89_85
; %bb.84:                               ;   in Loop: Header=BB89_64 Depth=2
	s_wait_dscnt 0x0
	v_bcnt_u32_b32 v20, v20, v102
	ds_store_b32 v105, v20 offset:1056
.LBB89_85:                              ;   in Loop: Header=BB89_64 Depth=2
	s_wait_alu 0xfffe
	s_or_b32 exec_lo, exec_lo, s15
	v_xor_b32_e32 v104, -1, v26
	; wave barrier
	s_delay_alu instid0(VALU_DEP_1) | instskip(NEXT) | instid1(VALU_DEP_1)
	v_and_b32_e32 v20, 0xff, v104
	v_lshrrev_b32_e32 v20, s30, v20
	s_delay_alu instid0(VALU_DEP_1) | instskip(NEXT) | instid1(VALU_DEP_1)
	v_and_b32_e32 v21, s31, v20
	v_and_b32_e32 v20, 1, v21
	v_lshlrev_b32_e32 v26, 30, v21
	v_lshlrev_b32_e32 v27, 29, v21
	;; [unrolled: 1-line block ×4, first 2 shown]
	v_add_co_u32 v20, s15, v20, -1
	s_wait_alu 0xf1ff
	v_cndmask_b32_e64 v107, 0, 1, s15
	v_not_b32_e32 v111, v26
	v_cmp_gt_i32_e64 s15, 0, v26
	v_not_b32_e32 v26, v27
	v_lshlrev_b32_e32 v109, 26, v21
	v_cmp_ne_u32_e32 vcc_lo, 0, v107
	v_ashrrev_i32_e32 v111, 31, v111
	v_lshlrev_b32_e32 v110, 25, v21
	v_ashrrev_i32_e32 v26, 31, v26
	v_lshlrev_b32_e32 v107, 24, v21
	s_wait_alu 0xfffd
	v_xor_b32_e32 v20, vcc_lo, v20
	v_cmp_gt_i32_e32 vcc_lo, 0, v27
	v_not_b32_e32 v27, v106
	s_wait_alu 0xf1ff
	v_xor_b32_e32 v111, s15, v111
	v_cmp_gt_i32_e64 s15, 0, v106
	v_and_b32_e32 v20, exec_lo, v20
	v_not_b32_e32 v106, v108
	v_ashrrev_i32_e32 v27, 31, v27
	s_wait_alu 0xfffd
	v_xor_b32_e32 v26, vcc_lo, v26
	v_cmp_gt_i32_e32 vcc_lo, 0, v108
	v_and_b32_e32 v20, v20, v111
	v_not_b32_e32 v108, v109
	v_ashrrev_i32_e32 v106, 31, v106
	s_wait_alu 0xf1ff
	v_xor_b32_e32 v27, s15, v27
	v_cmp_gt_i32_e64 s15, 0, v109
	v_and_b32_e32 v20, v20, v26
	v_not_b32_e32 v26, v110
	v_ashrrev_i32_e32 v108, 31, v108
	s_wait_alu 0xfffd
	v_xor_b32_e32 v106, vcc_lo, v106
	v_cmp_gt_i32_e32 vcc_lo, 0, v110
	v_and_b32_e32 v20, v20, v27
	v_not_b32_e32 v27, v107
	v_ashrrev_i32_e32 v26, 31, v26
	s_wait_alu 0xf1ff
	v_xor_b32_e32 v108, s15, v108
	v_cmp_gt_i32_e64 s15, 0, v107
	v_and_b32_e32 v20, v20, v106
	v_ashrrev_i32_e32 v27, 31, v27
	s_wait_alu 0xfffd
	v_xor_b32_e32 v26, vcc_lo, v26
	v_mad_u32_u24 v106, v21, 36, v81
	v_mul_u32_u24_e32 v21, 36, v21
	v_and_b32_e32 v20, v20, v108
	s_wait_alu 0xf1ff
	v_xor_b32_e32 v27, s15, v27
	ds_load_b32 v106, v106 offset:1056
	v_add_nc_u32_e32 v109, v81, v21
	v_and_b32_e32 v20, v20, v26
	; wave barrier
	s_delay_alu instid0(VALU_DEP_1) | instskip(NEXT) | instid1(VALU_DEP_1)
	v_and_b32_e32 v20, v20, v27
	v_mbcnt_lo_u32_b32 v107, v20, 0
	v_cmp_ne_u32_e64 s15, 0, v20
	s_delay_alu instid0(VALU_DEP_2)
	v_cmp_eq_u32_e32 vcc_lo, 0, v107
	s_and_b32 s16, s15, vcc_lo
	s_wait_alu 0xfffe
	s_and_saveexec_b32 s15, s16
	s_cbranch_execz .LBB89_87
; %bb.86:                               ;   in Loop: Header=BB89_64 Depth=2
	s_wait_dscnt 0x0
	v_bcnt_u32_b32 v20, v20, v106
	ds_store_b32 v109, v20 offset:1056
.LBB89_87:                              ;   in Loop: Header=BB89_64 Depth=2
	s_wait_alu 0xfffe
	s_or_b32 exec_lo, exec_lo, s15
	v_xor_b32_e32 v108, -1, v25
	; wave barrier
	s_delay_alu instid0(VALU_DEP_1) | instskip(NEXT) | instid1(VALU_DEP_1)
	v_and_b32_e32 v20, 0xff, v108
	v_lshrrev_b32_e32 v20, s30, v20
	s_delay_alu instid0(VALU_DEP_1) | instskip(NEXT) | instid1(VALU_DEP_1)
	v_and_b32_e32 v21, s31, v20
	v_and_b32_e32 v20, 1, v21
	v_lshlrev_b32_e32 v25, 30, v21
	v_lshlrev_b32_e32 v26, 29, v21
	;; [unrolled: 1-line block ×4, first 2 shown]
	v_add_co_u32 v20, s15, v20, -1
	s_wait_alu 0xf1ff
	v_cndmask_b32_e64 v110, 0, 1, s15
	v_not_b32_e32 v114, v25
	v_cmp_gt_i32_e64 s15, 0, v25
	v_not_b32_e32 v25, v26
	v_lshlrev_b32_e32 v112, 26, v21
	v_cmp_ne_u32_e32 vcc_lo, 0, v110
	v_ashrrev_i32_e32 v114, 31, v114
	v_lshlrev_b32_e32 v113, 25, v21
	v_ashrrev_i32_e32 v25, 31, v25
	v_lshlrev_b32_e32 v110, 24, v21
	s_wait_alu 0xfffd
	v_xor_b32_e32 v20, vcc_lo, v20
	v_cmp_gt_i32_e32 vcc_lo, 0, v26
	v_not_b32_e32 v26, v27
	s_wait_alu 0xf1ff
	v_xor_b32_e32 v114, s15, v114
	v_cmp_gt_i32_e64 s15, 0, v27
	v_and_b32_e32 v20, exec_lo, v20
	v_not_b32_e32 v27, v111
	v_ashrrev_i32_e32 v26, 31, v26
	s_wait_alu 0xfffd
	v_xor_b32_e32 v25, vcc_lo, v25
	v_cmp_gt_i32_e32 vcc_lo, 0, v111
	v_and_b32_e32 v20, v20, v114
	v_not_b32_e32 v111, v112
	v_ashrrev_i32_e32 v27, 31, v27
	s_wait_alu 0xf1ff
	v_xor_b32_e32 v26, s15, v26
	v_cmp_gt_i32_e64 s15, 0, v112
	v_and_b32_e32 v20, v20, v25
	v_not_b32_e32 v25, v113
	v_ashrrev_i32_e32 v111, 31, v111
	s_wait_alu 0xfffd
	v_xor_b32_e32 v27, vcc_lo, v27
	v_cmp_gt_i32_e32 vcc_lo, 0, v113
	v_and_b32_e32 v20, v20, v26
	v_not_b32_e32 v26, v110
	v_ashrrev_i32_e32 v25, 31, v25
	s_wait_alu 0xf1ff
	v_xor_b32_e32 v111, s15, v111
	v_cmp_gt_i32_e64 s15, 0, v110
	v_and_b32_e32 v20, v20, v27
	v_ashrrev_i32_e32 v26, 31, v26
	s_wait_alu 0xfffd
	v_xor_b32_e32 v25, vcc_lo, v25
	v_mad_u32_u24 v27, v21, 36, v81
	v_mul_u32_u24_e32 v21, 36, v21
	v_and_b32_e32 v20, v20, v111
	s_wait_alu 0xf1ff
	v_xor_b32_e32 v26, s15, v26
	ds_load_b32 v110, v27 offset:1056
	v_add_nc_u32_e32 v113, v81, v21
	v_and_b32_e32 v20, v20, v25
	; wave barrier
	s_delay_alu instid0(VALU_DEP_1) | instskip(NEXT) | instid1(VALU_DEP_1)
	v_and_b32_e32 v20, v20, v26
	v_mbcnt_lo_u32_b32 v111, v20, 0
	v_cmp_ne_u32_e64 s15, 0, v20
	s_delay_alu instid0(VALU_DEP_2)
	v_cmp_eq_u32_e32 vcc_lo, 0, v111
	s_and_b32 s16, s15, vcc_lo
	s_wait_alu 0xfffe
	s_and_saveexec_b32 s15, s16
	s_cbranch_execz .LBB89_89
; %bb.88:                               ;   in Loop: Header=BB89_64 Depth=2
	s_wait_dscnt 0x0
	v_bcnt_u32_b32 v20, v20, v110
	ds_store_b32 v113, v20 offset:1056
.LBB89_89:                              ;   in Loop: Header=BB89_64 Depth=2
	s_wait_alu 0xfffe
	s_or_b32 exec_lo, exec_lo, s15
	v_xor_b32_e32 v112, -1, v24
	; wave barrier
	s_delay_alu instid0(VALU_DEP_1) | instskip(NEXT) | instid1(VALU_DEP_1)
	v_and_b32_e32 v20, 0xff, v112
	v_lshrrev_b32_e32 v20, s30, v20
	s_delay_alu instid0(VALU_DEP_1) | instskip(NEXT) | instid1(VALU_DEP_1)
	v_and_b32_e32 v21, s31, v20
	v_and_b32_e32 v20, 1, v21
	v_lshlrev_b32_e32 v24, 30, v21
	v_lshlrev_b32_e32 v25, 29, v21
	;; [unrolled: 1-line block ×4, first 2 shown]
	v_add_co_u32 v20, s15, v20, -1
	s_wait_alu 0xf1ff
	v_cndmask_b32_e64 v27, 0, 1, s15
	v_not_b32_e32 v117, v24
	v_cmp_gt_i32_e64 s15, 0, v24
	v_not_b32_e32 v24, v25
	v_lshlrev_b32_e32 v115, 26, v21
	v_cmp_ne_u32_e32 vcc_lo, 0, v27
	v_ashrrev_i32_e32 v117, 31, v117
	v_lshlrev_b32_e32 v116, 25, v21
	v_ashrrev_i32_e32 v24, 31, v24
	v_lshlrev_b32_e32 v27, 24, v21
	s_wait_alu 0xfffd
	v_xor_b32_e32 v20, vcc_lo, v20
	v_cmp_gt_i32_e32 vcc_lo, 0, v25
	v_not_b32_e32 v25, v26
	s_wait_alu 0xf1ff
	v_xor_b32_e32 v117, s15, v117
	v_cmp_gt_i32_e64 s15, 0, v26
	v_and_b32_e32 v20, exec_lo, v20
	v_not_b32_e32 v26, v114
	v_ashrrev_i32_e32 v25, 31, v25
	s_wait_alu 0xfffd
	v_xor_b32_e32 v24, vcc_lo, v24
	v_cmp_gt_i32_e32 vcc_lo, 0, v114
	v_and_b32_e32 v20, v20, v117
	v_not_b32_e32 v114, v115
	v_ashrrev_i32_e32 v26, 31, v26
	s_wait_alu 0xf1ff
	v_xor_b32_e32 v25, s15, v25
	v_cmp_gt_i32_e64 s15, 0, v115
	v_and_b32_e32 v20, v20, v24
	v_not_b32_e32 v24, v116
	v_ashrrev_i32_e32 v114, 31, v114
	s_wait_alu 0xfffd
	v_xor_b32_e32 v26, vcc_lo, v26
	v_cmp_gt_i32_e32 vcc_lo, 0, v116
	v_and_b32_e32 v20, v20, v25
	v_not_b32_e32 v25, v27
	v_ashrrev_i32_e32 v24, 31, v24
	s_wait_alu 0xf1ff
	v_xor_b32_e32 v114, s15, v114
	v_cmp_gt_i32_e64 s15, 0, v27
	v_and_b32_e32 v20, v20, v26
	v_ashrrev_i32_e32 v25, 31, v25
	s_wait_alu 0xfffd
	v_xor_b32_e32 v24, vcc_lo, v24
	v_mad_u32_u24 v26, v21, 36, v81
	v_mul_u32_u24_e32 v21, 36, v21
	v_and_b32_e32 v20, v20, v114
	s_wait_alu 0xf1ff
	v_xor_b32_e32 v25, s15, v25
	ds_load_b32 v114, v26 offset:1056
	v_add_nc_u32_e32 v117, v81, v21
	v_and_b32_e32 v20, v20, v24
	; wave barrier
	s_delay_alu instid0(VALU_DEP_1) | instskip(NEXT) | instid1(VALU_DEP_1)
	v_and_b32_e32 v20, v20, v25
	v_mbcnt_lo_u32_b32 v115, v20, 0
	v_cmp_ne_u32_e64 s15, 0, v20
	s_delay_alu instid0(VALU_DEP_2)
	v_cmp_eq_u32_e32 vcc_lo, 0, v115
	s_and_b32 s16, s15, vcc_lo
	s_wait_alu 0xfffe
	s_and_saveexec_b32 s15, s16
	s_cbranch_execz .LBB89_91
; %bb.90:                               ;   in Loop: Header=BB89_64 Depth=2
	s_wait_dscnt 0x0
	v_bcnt_u32_b32 v20, v20, v114
	ds_store_b32 v117, v20 offset:1056
.LBB89_91:                              ;   in Loop: Header=BB89_64 Depth=2
	s_wait_alu 0xfffe
	s_or_b32 exec_lo, exec_lo, s15
	v_xor_b32_e32 v116, -1, v23
	; wave barrier
	s_delay_alu instid0(VALU_DEP_1) | instskip(NEXT) | instid1(VALU_DEP_1)
	v_and_b32_e32 v20, 0xff, v116
	v_lshrrev_b32_e32 v20, s30, v20
	s_delay_alu instid0(VALU_DEP_1) | instskip(NEXT) | instid1(VALU_DEP_1)
	v_and_b32_e32 v21, s31, v20
	v_and_b32_e32 v20, 1, v21
	v_lshlrev_b32_e32 v23, 30, v21
	v_lshlrev_b32_e32 v24, 29, v21
	;; [unrolled: 1-line block ×4, first 2 shown]
	v_add_co_u32 v20, s15, v20, -1
	s_wait_alu 0xf1ff
	v_cndmask_b32_e64 v26, 0, 1, s15
	v_not_b32_e32 v120, v23
	v_cmp_gt_i32_e64 s15, 0, v23
	v_not_b32_e32 v23, v24
	v_lshlrev_b32_e32 v118, 26, v21
	v_cmp_ne_u32_e32 vcc_lo, 0, v26
	v_ashrrev_i32_e32 v120, 31, v120
	v_lshlrev_b32_e32 v119, 25, v21
	v_ashrrev_i32_e32 v23, 31, v23
	v_lshlrev_b32_e32 v26, 24, v21
	s_wait_alu 0xfffd
	v_xor_b32_e32 v20, vcc_lo, v20
	v_cmp_gt_i32_e32 vcc_lo, 0, v24
	v_not_b32_e32 v24, v25
	s_wait_alu 0xf1ff
	v_xor_b32_e32 v120, s15, v120
	v_cmp_gt_i32_e64 s15, 0, v25
	v_and_b32_e32 v20, exec_lo, v20
	v_not_b32_e32 v25, v27
	v_ashrrev_i32_e32 v24, 31, v24
	s_wait_alu 0xfffd
	v_xor_b32_e32 v23, vcc_lo, v23
	v_cmp_gt_i32_e32 vcc_lo, 0, v27
	v_and_b32_e32 v20, v20, v120
	v_not_b32_e32 v27, v118
	v_ashrrev_i32_e32 v25, 31, v25
	s_wait_alu 0xf1ff
	v_xor_b32_e32 v24, s15, v24
	v_cmp_gt_i32_e64 s15, 0, v118
	v_and_b32_e32 v20, v20, v23
	v_not_b32_e32 v23, v119
	v_ashrrev_i32_e32 v27, 31, v27
	s_wait_alu 0xfffd
	v_xor_b32_e32 v25, vcc_lo, v25
	v_cmp_gt_i32_e32 vcc_lo, 0, v119
	v_and_b32_e32 v20, v20, v24
	v_not_b32_e32 v24, v26
	v_ashrrev_i32_e32 v23, 31, v23
	s_wait_alu 0xf1ff
	v_xor_b32_e32 v27, s15, v27
	v_cmp_gt_i32_e64 s15, 0, v26
	v_and_b32_e32 v20, v20, v25
	v_ashrrev_i32_e32 v24, 31, v24
	s_wait_alu 0xfffd
	v_xor_b32_e32 v23, vcc_lo, v23
	v_mad_u32_u24 v25, v21, 36, v81
	v_mul_u32_u24_e32 v21, 36, v21
	v_and_b32_e32 v20, v20, v27
	s_wait_alu 0xf1ff
	v_xor_b32_e32 v24, s15, v24
	ds_load_b32 v118, v25 offset:1056
	v_add_nc_u32_e32 v121, v81, v21
	v_and_b32_e32 v20, v20, v23
	; wave barrier
	s_delay_alu instid0(VALU_DEP_1) | instskip(NEXT) | instid1(VALU_DEP_1)
	v_and_b32_e32 v20, v20, v24
	v_mbcnt_lo_u32_b32 v119, v20, 0
	v_cmp_ne_u32_e64 s15, 0, v20
	s_delay_alu instid0(VALU_DEP_2)
	v_cmp_eq_u32_e32 vcc_lo, 0, v119
	s_and_b32 s16, s15, vcc_lo
	s_wait_alu 0xfffe
	s_and_saveexec_b32 s15, s16
	s_cbranch_execz .LBB89_93
; %bb.92:                               ;   in Loop: Header=BB89_64 Depth=2
	s_wait_dscnt 0x0
	v_bcnt_u32_b32 v20, v20, v118
	ds_store_b32 v121, v20 offset:1056
.LBB89_93:                              ;   in Loop: Header=BB89_64 Depth=2
	s_wait_alu 0xfffe
	s_or_b32 exec_lo, exec_lo, s15
	v_xor_b32_e32 v120, -1, v22
	; wave barrier
	s_delay_alu instid0(VALU_DEP_1) | instskip(NEXT) | instid1(VALU_DEP_1)
	v_and_b32_e32 v20, 0xff, v120
	v_lshrrev_b32_e32 v20, s30, v20
	s_delay_alu instid0(VALU_DEP_1) | instskip(NEXT) | instid1(VALU_DEP_1)
	v_and_b32_e32 v21, s31, v20
	v_and_b32_e32 v20, 1, v21
	v_lshlrev_b32_e32 v22, 30, v21
	v_lshlrev_b32_e32 v23, 29, v21
	;; [unrolled: 1-line block ×4, first 2 shown]
	v_add_co_u32 v20, s15, v20, -1
	s_wait_alu 0xf1ff
	v_cndmask_b32_e64 v25, 0, 1, s15
	v_not_b32_e32 v123, v22
	v_cmp_gt_i32_e64 s15, 0, v22
	v_not_b32_e32 v22, v23
	v_lshlrev_b32_e32 v27, 26, v21
	v_cmp_ne_u32_e32 vcc_lo, 0, v25
	v_ashrrev_i32_e32 v123, 31, v123
	v_lshlrev_b32_e32 v122, 25, v21
	v_ashrrev_i32_e32 v22, 31, v22
	v_lshlrev_b32_e32 v25, 24, v21
	s_wait_alu 0xfffd
	v_xor_b32_e32 v20, vcc_lo, v20
	v_cmp_gt_i32_e32 vcc_lo, 0, v23
	v_not_b32_e32 v23, v24
	s_wait_alu 0xf1ff
	v_xor_b32_e32 v123, s15, v123
	v_cmp_gt_i32_e64 s15, 0, v24
	v_and_b32_e32 v20, exec_lo, v20
	v_not_b32_e32 v24, v26
	v_ashrrev_i32_e32 v23, 31, v23
	s_wait_alu 0xfffd
	v_xor_b32_e32 v22, vcc_lo, v22
	v_cmp_gt_i32_e32 vcc_lo, 0, v26
	v_and_b32_e32 v20, v20, v123
	v_not_b32_e32 v26, v27
	v_ashrrev_i32_e32 v24, 31, v24
	s_wait_alu 0xf1ff
	v_xor_b32_e32 v23, s15, v23
	v_cmp_gt_i32_e64 s15, 0, v27
	v_and_b32_e32 v20, v20, v22
	v_not_b32_e32 v22, v122
	v_ashrrev_i32_e32 v26, 31, v26
	s_wait_alu 0xfffd
	v_xor_b32_e32 v24, vcc_lo, v24
	v_cmp_gt_i32_e32 vcc_lo, 0, v122
	v_and_b32_e32 v20, v20, v23
	v_not_b32_e32 v23, v25
	v_ashrrev_i32_e32 v22, 31, v22
	s_wait_alu 0xf1ff
	v_xor_b32_e32 v26, s15, v26
	v_cmp_gt_i32_e64 s15, 0, v25
	v_and_b32_e32 v20, v20, v24
	v_ashrrev_i32_e32 v23, 31, v23
	s_wait_alu 0xfffd
	v_xor_b32_e32 v22, vcc_lo, v22
	v_mad_u32_u24 v24, v21, 36, v81
	v_mul_u32_u24_e32 v21, 36, v21
	v_and_b32_e32 v20, v20, v26
	s_wait_alu 0xf1ff
	v_xor_b32_e32 v23, s15, v23
	ds_load_b32 v122, v24 offset:1056
	v_add_nc_u32_e32 v124, v81, v21
	v_and_b32_e32 v20, v20, v22
	; wave barrier
	s_delay_alu instid0(VALU_DEP_1) | instskip(NEXT) | instid1(VALU_DEP_1)
	v_and_b32_e32 v20, v20, v23
	v_mbcnt_lo_u32_b32 v123, v20, 0
	v_cmp_ne_u32_e64 s15, 0, v20
	s_delay_alu instid0(VALU_DEP_2)
	v_cmp_eq_u32_e32 vcc_lo, 0, v123
	s_and_b32 s16, s15, vcc_lo
	s_wait_alu 0xfffe
	s_and_saveexec_b32 s15, s16
	s_cbranch_execz .LBB89_95
; %bb.94:                               ;   in Loop: Header=BB89_64 Depth=2
	s_wait_dscnt 0x0
	v_bcnt_u32_b32 v20, v20, v122
	ds_store_b32 v124, v20 offset:1056
.LBB89_95:                              ;   in Loop: Header=BB89_64 Depth=2
	s_wait_alu 0xfffe
	s_or_b32 exec_lo, exec_lo, s15
	; wave barrier
	s_wait_loadcnt_dscnt 0x0
	s_barrier_signal -1
	s_barrier_wait -1
	global_inv scope:SCOPE_SE
	ds_load_2addr_b32 v[26:27], v94 offset1:1
	ds_load_2addr_b32 v[24:25], v95 offset1:1
	;; [unrolled: 1-line block ×4, first 2 shown]
	ds_load_b32 v125, v45 offset:1088
	s_wait_dscnt 0x3
	v_add3_u32 v126, v27, v26, v24
	s_wait_dscnt 0x2
	s_delay_alu instid0(VALU_DEP_1) | instskip(SKIP_1) | instid1(VALU_DEP_1)
	v_add3_u32 v126, v126, v25, v22
	s_wait_dscnt 0x1
	v_add3_u32 v126, v126, v23, v20
	s_wait_dscnt 0x0
	s_delay_alu instid0(VALU_DEP_1) | instskip(NEXT) | instid1(VALU_DEP_1)
	v_add3_u32 v125, v126, v21, v125
	v_mov_b32_dpp v126, v125 row_shr:1 row_mask:0xf bank_mask:0xf
	s_delay_alu instid0(VALU_DEP_1) | instskip(NEXT) | instid1(VALU_DEP_1)
	v_cndmask_b32_e64 v126, v126, 0, s0
	v_add_nc_u32_e32 v125, v126, v125
	s_delay_alu instid0(VALU_DEP_1) | instskip(NEXT) | instid1(VALU_DEP_1)
	v_mov_b32_dpp v126, v125 row_shr:2 row_mask:0xf bank_mask:0xf
	v_cndmask_b32_e64 v126, 0, v126, s1
	s_delay_alu instid0(VALU_DEP_1) | instskip(NEXT) | instid1(VALU_DEP_1)
	v_add_nc_u32_e32 v125, v125, v126
	v_mov_b32_dpp v126, v125 row_shr:4 row_mask:0xf bank_mask:0xf
	s_delay_alu instid0(VALU_DEP_1) | instskip(NEXT) | instid1(VALU_DEP_1)
	v_cndmask_b32_e64 v126, 0, v126, s9
	v_add_nc_u32_e32 v125, v125, v126
	s_delay_alu instid0(VALU_DEP_1) | instskip(NEXT) | instid1(VALU_DEP_1)
	v_mov_b32_dpp v126, v125 row_shr:8 row_mask:0xf bank_mask:0xf
	v_cndmask_b32_e64 v126, 0, v126, s10
	s_delay_alu instid0(VALU_DEP_1) | instskip(SKIP_3) | instid1(VALU_DEP_1)
	v_add_nc_u32_e32 v125, v125, v126
	ds_swizzle_b32 v126, v125 offset:swizzle(BROADCAST,32,15)
	s_wait_dscnt 0x0
	v_cndmask_b32_e64 v126, v126, 0, s11
	v_add_nc_u32_e32 v125, v125, v126
	s_and_saveexec_b32 s15, s3
; %bb.96:                               ;   in Loop: Header=BB89_64 Depth=2
	ds_store_b32 v38, v125 offset:1024
; %bb.97:                               ;   in Loop: Header=BB89_64 Depth=2
	s_wait_alu 0xfffe
	s_or_b32 exec_lo, exec_lo, s15
	s_wait_loadcnt_dscnt 0x0
	s_barrier_signal -1
	s_barrier_wait -1
	global_inv scope:SCOPE_SE
	s_and_saveexec_b32 s15, s4
	s_cbranch_execz .LBB89_99
; %bb.98:                               ;   in Loop: Header=BB89_64 Depth=2
	v_add_nc_u32_e32 v126, v45, v46
	ds_load_b32 v127, v126 offset:1024
	s_wait_dscnt 0x0
	v_mov_b32_dpp v128, v127 row_shr:1 row_mask:0xf bank_mask:0xf
	s_delay_alu instid0(VALU_DEP_1) | instskip(NEXT) | instid1(VALU_DEP_1)
	v_cndmask_b32_e64 v128, v128, 0, s12
	v_add_nc_u32_e32 v127, v128, v127
	s_delay_alu instid0(VALU_DEP_1) | instskip(NEXT) | instid1(VALU_DEP_1)
	v_mov_b32_dpp v128, v127 row_shr:2 row_mask:0xf bank_mask:0xf
	v_cndmask_b32_e64 v128, 0, v128, s13
	s_delay_alu instid0(VALU_DEP_1) | instskip(NEXT) | instid1(VALU_DEP_1)
	v_add_nc_u32_e32 v127, v127, v128
	v_mov_b32_dpp v128, v127 row_shr:4 row_mask:0xf bank_mask:0xf
	s_delay_alu instid0(VALU_DEP_1) | instskip(NEXT) | instid1(VALU_DEP_1)
	v_cndmask_b32_e64 v128, 0, v128, s14
	v_add_nc_u32_e32 v127, v127, v128
	ds_store_b32 v126, v127 offset:1024
.LBB89_99:                              ;   in Loop: Header=BB89_64 Depth=2
	s_wait_alu 0xfffe
	s_or_b32 exec_lo, exec_lo, s15
	v_mov_b32_e32 v126, 0
	s_wait_loadcnt_dscnt 0x0
	s_barrier_signal -1
	s_barrier_wait -1
	global_inv scope:SCOPE_SE
	s_and_saveexec_b32 s15, s5
; %bb.100:                              ;   in Loop: Header=BB89_64 Depth=2
	ds_load_b32 v126, v38 offset:1020
; %bb.101:                              ;   in Loop: Header=BB89_64 Depth=2
	s_wait_alu 0xfffe
	s_or_b32 exec_lo, exec_lo, s15
	s_wait_dscnt 0x0
	v_add_nc_u32_e32 v125, v126, v125
	ds_bpermute_b32 v125, v80, v125
	s_wait_dscnt 0x0
	v_cndmask_b32_e64 v125, v125, v126, s8
	s_delay_alu instid0(VALU_DEP_1) | instskip(NEXT) | instid1(VALU_DEP_1)
	v_cndmask_b32_e64 v125, v125, 0, s6
	v_add_nc_u32_e32 v26, v125, v26
	s_delay_alu instid0(VALU_DEP_1) | instskip(NEXT) | instid1(VALU_DEP_1)
	v_add_nc_u32_e32 v27, v26, v27
	v_add_nc_u32_e32 v24, v27, v24
	s_delay_alu instid0(VALU_DEP_1) | instskip(NEXT) | instid1(VALU_DEP_1)
	v_add_nc_u32_e32 v25, v24, v25
	;; [unrolled: 3-line block ×3, first 2 shown]
	v_add_nc_u32_e32 v20, v23, v20
	s_delay_alu instid0(VALU_DEP_1)
	v_add_nc_u32_e32 v21, v20, v21
	ds_store_2addr_b32 v93, v23, v20 offset1:1
	ds_store_2addr_b32 v94, v125, v26 offset1:1
	;; [unrolled: 1-line block ×4, first 2 shown]
	ds_store_b32 v45, v21 offset:1088
	s_wait_loadcnt_dscnt 0x0
	s_barrier_signal -1
	s_barrier_wait -1
	global_inv scope:SCOPE_SE
	ds_load_b32 v20, v97 offset:1056
	ds_load_b32 v21, v101 offset:1056
	;; [unrolled: 1-line block ×9, first 2 shown]
	v_mov_b32_e32 v22, 0x800
	s_and_saveexec_b32 s15, s7
; %bb.102:                              ;   in Loop: Header=BB89_64 Depth=2
	ds_load_b32 v22, v45 offset:1092
; %bb.103:                              ;   in Loop: Header=BB89_64 Depth=2
	s_wait_alu 0xfffe
	s_or_b32 exec_lo, exec_lo, s15
	s_wait_loadcnt_dscnt 0x0
	s_barrier_signal -1
	s_barrier_wait -1
	global_inv scope:SCOPE_SE
	s_and_saveexec_b32 s15, s2
	s_cbranch_execz .LBB89_105
; %bb.104:                              ;   in Loop: Header=BB89_64 Depth=2
	ds_load_b32 v27, v28
	s_wait_dscnt 0x0
	v_sub_nc_u32_e32 v26, v27, v26
	ds_store_b32 v28, v26
.LBB89_105:                             ;   in Loop: Header=BB89_64 Depth=2
	s_wait_alu 0xfffe
	s_or_b32 exec_lo, exec_lo, s15
	v_add_nc_u32_e32 v94, v20, v91
	v_add3_u32 v93, v99, v98, v21
	v_add3_u32 v91, v103, v102, v23
	;; [unrolled: 1-line block ×7, first 2 shown]
	v_cmp_lt_u32_e64 s20, v1, v2
	ds_store_b8 v94, v90 offset:1024
	ds_store_b8 v93, v92 offset:1024
	;; [unrolled: 1-line block ×8, first 2 shown]
	s_wait_loadcnt_dscnt 0x0
	s_barrier_signal -1
	s_barrier_wait -1
	global_inv scope:SCOPE_SE
	s_and_saveexec_b32 s15, s20
	s_cbranch_execnz .LBB89_142
; %bb.106:                              ;   in Loop: Header=BB89_64 Depth=2
	s_wait_alu 0xfffe
	s_or_b32 exec_lo, exec_lo, s15
	v_cmp_lt_u32_e64 s21, v29, v2
	s_and_saveexec_b32 s15, s21
	s_cbranch_execnz .LBB89_143
.LBB89_107:                             ;   in Loop: Header=BB89_64 Depth=2
	s_wait_alu 0xfffe
	s_or_b32 exec_lo, exec_lo, s15
	v_cmp_lt_u32_e64 s19, v30, v2
	s_and_saveexec_b32 s15, s19
	s_cbranch_execnz .LBB89_144
.LBB89_108:                             ;   in Loop: Header=BB89_64 Depth=2
	s_wait_alu 0xfffe
	s_or_b32 exec_lo, exec_lo, s15
	v_cmp_lt_u32_e64 s18, v31, v2
	s_and_saveexec_b32 s15, s18
	s_cbranch_execnz .LBB89_145
.LBB89_109:                             ;   in Loop: Header=BB89_64 Depth=2
	s_wait_alu 0xfffe
	s_or_b32 exec_lo, exec_lo, s15
	v_cmp_lt_u32_e64 s17, v34, v2
	s_and_saveexec_b32 s15, s17
	s_cbranch_execnz .LBB89_146
.LBB89_110:                             ;   in Loop: Header=BB89_64 Depth=2
	s_wait_alu 0xfffe
	s_or_b32 exec_lo, exec_lo, s15
	v_cmp_lt_u32_e64 s16, v35, v2
	s_and_saveexec_b32 s15, s16
	s_cbranch_execnz .LBB89_147
.LBB89_111:                             ;   in Loop: Header=BB89_64 Depth=2
	s_wait_alu 0xfffe
	s_or_b32 exec_lo, exec_lo, s15
	v_cmp_lt_u32_e64 s15, v36, v2
	s_and_saveexec_b32 s44, s15
	s_cbranch_execnz .LBB89_148
.LBB89_112:                             ;   in Loop: Header=BB89_64 Depth=2
	s_wait_alu 0xfffe
	s_or_b32 exec_lo, exec_lo, s44
	v_cmp_lt_u32_e32 vcc_lo, v37, v2
	s_and_saveexec_b32 s44, vcc_lo
	s_cbranch_execz .LBB89_114
.LBB89_113:                             ;   in Loop: Header=BB89_64 Depth=2
	ds_load_u8 v20, v1 offset:2816
	s_wait_dscnt 0x0
	v_and_b32_e32 v21, 0xff, v20
	v_xor_b32_e32 v20, -1, v20
	s_delay_alu instid0(VALU_DEP_2) | instskip(NEXT) | instid1(VALU_DEP_1)
	v_lshrrev_b32_e32 v21, s30, v21
	v_and_b32_e32 v21, s31, v21
	s_delay_alu instid0(VALU_DEP_1)
	v_lshlrev_b32_e32 v21, 2, v21
	ds_load_b32 v21, v21
	s_wait_dscnt 0x0
	v_add_nc_u32_e32 v21, v21, v37
	global_store_b8 v21, v20, s[38:39]
.LBB89_114:                             ;   in Loop: Header=BB89_64 Depth=2
	s_wait_alu 0xfffe
	s_or_b32 exec_lo, exec_lo, s44
	s_lshl_b64 s[48:49], s[22:23], 3
	s_wait_alu 0xfffe
	v_add_co_u32 v20, s22, v69, s48
	s_wait_alu 0xf1ff
	v_add_co_ci_u32_e64 v21, null, s49, v70, s22
	v_cmp_lt_u32_e64 s22, v68, v2
	s_and_saveexec_b32 s44, s22
	s_wait_alu 0xfffe
	s_xor_b32 s22, exec_lo, s44
	s_cbranch_execnz .LBB89_149
; %bb.115:                              ;   in Loop: Header=BB89_64 Depth=2
	s_wait_alu 0xfffe
	s_or_b32 exec_lo, exec_lo, s22
	s_delay_alu instid0(SALU_CYCLE_1)
	s_mov_b32 s44, exec_lo
	v_cmpx_lt_u32_e64 v71, v2
	s_cbranch_execnz .LBB89_150
.LBB89_116:                             ;   in Loop: Header=BB89_64 Depth=2
	s_wait_alu 0xfffe
	s_or_b32 exec_lo, exec_lo, s44
	s_delay_alu instid0(SALU_CYCLE_1)
	s_mov_b32 s44, exec_lo
	v_cmpx_lt_u32_e64 v72, v2
	s_cbranch_execnz .LBB89_151
.LBB89_117:                             ;   in Loop: Header=BB89_64 Depth=2
	s_wait_alu 0xfffe
	s_or_b32 exec_lo, exec_lo, s44
	s_delay_alu instid0(SALU_CYCLE_1)
	s_mov_b32 s44, exec_lo
	v_cmpx_lt_u32_e64 v73, v2
	s_cbranch_execnz .LBB89_152
.LBB89_118:                             ;   in Loop: Header=BB89_64 Depth=2
	s_wait_alu 0xfffe
	s_or_b32 exec_lo, exec_lo, s44
	s_delay_alu instid0(SALU_CYCLE_1)
	s_mov_b32 s44, exec_lo
	v_cmpx_lt_u32_e64 v74, v2
	s_cbranch_execnz .LBB89_153
.LBB89_119:                             ;   in Loop: Header=BB89_64 Depth=2
	s_wait_alu 0xfffe
	s_or_b32 exec_lo, exec_lo, s44
	s_delay_alu instid0(SALU_CYCLE_1)
	s_mov_b32 s44, exec_lo
	v_cmpx_lt_u32_e64 v75, v2
	s_cbranch_execnz .LBB89_154
.LBB89_120:                             ;   in Loop: Header=BB89_64 Depth=2
	s_wait_alu 0xfffe
	s_or_b32 exec_lo, exec_lo, s44
	s_delay_alu instid0(SALU_CYCLE_1)
	s_mov_b32 s44, exec_lo
	v_cmpx_lt_u32_e64 v76, v2
	s_cbranch_execnz .LBB89_155
.LBB89_121:                             ;   in Loop: Header=BB89_64 Depth=2
	s_wait_alu 0xfffe
	s_or_b32 exec_lo, exec_lo, s44
	s_delay_alu instid0(SALU_CYCLE_1)
	s_mov_b32 s44, exec_lo
	v_cmpx_lt_u32_e64 v77, v2
	s_cbranch_execnz .LBB89_156
.LBB89_122:                             ;   in Loop: Header=BB89_64 Depth=2
	s_wait_alu 0xfffe
	s_or_b32 exec_lo, exec_lo, s44
	s_and_saveexec_b32 s22, s20
	s_cbranch_execnz .LBB89_157
.LBB89_123:                             ;   in Loop: Header=BB89_64 Depth=2
	s_wait_alu 0xfffe
	s_or_b32 exec_lo, exec_lo, s22
	s_and_saveexec_b32 s22, s21
	s_cbranch_execnz .LBB89_158
.LBB89_124:                             ;   in Loop: Header=BB89_64 Depth=2
	s_wait_alu 0xfffe
	s_or_b32 exec_lo, exec_lo, s22
	s_and_saveexec_b32 s22, s19
	s_cbranch_execnz .LBB89_159
.LBB89_125:                             ;   in Loop: Header=BB89_64 Depth=2
	s_wait_alu 0xfffe
	s_or_b32 exec_lo, exec_lo, s22
	s_and_saveexec_b32 s22, s18
	s_cbranch_execnz .LBB89_160
.LBB89_126:                             ;   in Loop: Header=BB89_64 Depth=2
	s_wait_alu 0xfffe
	s_or_b32 exec_lo, exec_lo, s22
	s_and_saveexec_b32 s22, s17
	s_cbranch_execnz .LBB89_161
.LBB89_127:                             ;   in Loop: Header=BB89_64 Depth=2
	s_wait_alu 0xfffe
	s_or_b32 exec_lo, exec_lo, s22
	s_and_saveexec_b32 s22, s16
	s_cbranch_execnz .LBB89_162
.LBB89_128:                             ;   in Loop: Header=BB89_64 Depth=2
	s_wait_alu 0xfffe
	s_or_b32 exec_lo, exec_lo, s22
	s_and_saveexec_b32 s22, s15
	s_cbranch_execnz .LBB89_163
.LBB89_129:                             ;   in Loop: Header=BB89_64 Depth=2
	s_wait_alu 0xfffe
	s_or_b32 exec_lo, exec_lo, s22
	s_and_saveexec_b32 s22, vcc_lo
	s_cbranch_execz .LBB89_131
.LBB89_130:                             ;   in Loop: Header=BB89_64 Depth=2
	ds_load_u8 v2, v1 offset:2816
	s_wait_dscnt 0x0
	v_lshrrev_b32_e32 v2, s30, v2
	s_delay_alu instid0(VALU_DEP_1)
	v_and_b32_e32 v82, s31, v2
.LBB89_131:                             ;   in Loop: Header=BB89_64 Depth=2
	s_wait_alu 0xfffe
	s_or_b32 exec_lo, exec_lo, s22
	v_lshlrev_b32_e32 v2, 3, v94
	v_lshlrev_b32_e32 v20, 3, v93
	;; [unrolled: 1-line block ×3, first 2 shown]
	s_wait_loadcnt 0x0
	s_wait_storecnt 0x0
	s_barrier_signal -1
	s_barrier_wait -1
	global_inv scope:SCOPE_SE
	ds_store_b64 v2, v[18:19] offset:1024
	ds_store_b64 v20, v[16:17] offset:1024
	;; [unrolled: 1-line block ×3, first 2 shown]
	v_lshlrev_b32_e32 v2, 3, v27
	v_lshlrev_b32_e32 v20, 3, v26
	;; [unrolled: 1-line block ×5, first 2 shown]
	ds_store_b64 v2, v[12:13] offset:1024
	ds_store_b64 v20, v[10:11] offset:1024
	;; [unrolled: 1-line block ×5, first 2 shown]
	s_wait_loadcnt_dscnt 0x0
	s_barrier_signal -1
	s_barrier_wait -1
	global_inv scope:SCOPE_SE
	s_and_saveexec_b32 s22, s20
	s_cbranch_execnz .LBB89_164
; %bb.132:                              ;   in Loop: Header=BB89_64 Depth=2
	s_wait_alu 0xfffe
	s_or_b32 exec_lo, exec_lo, s22
	s_and_saveexec_b32 s22, s21
	s_cbranch_execnz .LBB89_165
.LBB89_133:                             ;   in Loop: Header=BB89_64 Depth=2
	s_wait_alu 0xfffe
	s_or_b32 exec_lo, exec_lo, s22
	s_and_saveexec_b32 s20, s19
	s_cbranch_execnz .LBB89_166
.LBB89_134:                             ;   in Loop: Header=BB89_64 Depth=2
	s_wait_alu 0xfffe
	s_or_b32 exec_lo, exec_lo, s20
	s_and_saveexec_b32 s19, s18
	s_cbranch_execnz .LBB89_167
.LBB89_135:                             ;   in Loop: Header=BB89_64 Depth=2
	s_wait_alu 0xfffe
	s_or_b32 exec_lo, exec_lo, s19
	s_and_saveexec_b32 s18, s17
	s_cbranch_execnz .LBB89_168
.LBB89_136:                             ;   in Loop: Header=BB89_64 Depth=2
	s_wait_alu 0xfffe
	s_or_b32 exec_lo, exec_lo, s18
	s_and_saveexec_b32 s17, s16
	s_cbranch_execnz .LBB89_169
.LBB89_137:                             ;   in Loop: Header=BB89_64 Depth=2
	s_wait_alu 0xfffe
	s_or_b32 exec_lo, exec_lo, s17
	s_and_saveexec_b32 s16, s15
	s_cbranch_execnz .LBB89_170
.LBB89_138:                             ;   in Loop: Header=BB89_64 Depth=2
	s_wait_alu 0xfffe
	s_or_b32 exec_lo, exec_lo, s16
	s_and_saveexec_b32 s15, vcc_lo
	s_cbranch_execz .LBB89_140
.LBB89_139:                             ;   in Loop: Header=BB89_64 Depth=2
	v_lshlrev_b32_e32 v2, 2, v82
	v_add_nc_u32_e32 v20, v1, v47
	ds_load_b32 v2, v2
	ds_load_b64 v[20:21], v20 offset:15360
	s_wait_dscnt 0x1
	v_add_nc_u32_e32 v2, v2, v37
	s_delay_alu instid0(VALU_DEP_1) | instskip(NEXT) | instid1(VALU_DEP_1)
	v_lshlrev_b64_e32 v[23:24], 3, v[2:3]
	v_add_co_u32 v23, vcc_lo, s24, v23
	s_wait_alu 0xfffd
	s_delay_alu instid0(VALU_DEP_2)
	v_add_co_ci_u32_e64 v24, null, s25, v24, vcc_lo
	s_wait_dscnt 0x0
	global_store_b64 v[23:24], v[20:21], off
.LBB89_140:                             ;   in Loop: Header=BB89_64 Depth=2
	s_wait_alu 0xfffe
	s_or_b32 exec_lo, exec_lo, s15
	s_wait_loadcnt 0x0
	s_wait_storecnt 0x0
	s_barrier_signal -1
	s_barrier_wait -1
	global_inv scope:SCOPE_SE
	s_and_saveexec_b32 s15, s2
	s_cbranch_execz .LBB89_63
; %bb.141:                              ;   in Loop: Header=BB89_64 Depth=2
	ds_load_b32 v2, v28
	s_wait_dscnt 0x0
	v_add_nc_u32_e32 v2, v2, v22
	ds_store_b32 v28, v2
	s_branch .LBB89_63
.LBB89_142:                             ;   in Loop: Header=BB89_64 Depth=2
	ds_load_u8 v20, v1 offset:1024
	s_wait_dscnt 0x0
	v_and_b32_e32 v21, 0xff, v20
	v_xor_b32_e32 v20, -1, v20
	s_delay_alu instid0(VALU_DEP_2) | instskip(NEXT) | instid1(VALU_DEP_1)
	v_lshrrev_b32_e32 v21, s30, v21
	v_and_b32_e32 v21, s31, v21
	s_delay_alu instid0(VALU_DEP_1)
	v_lshlrev_b32_e32 v21, 2, v21
	ds_load_b32 v21, v21
	s_wait_dscnt 0x0
	v_add_nc_u32_e32 v21, v21, v1
	global_store_b8 v21, v20, s[38:39]
	s_wait_alu 0xfffe
	s_or_b32 exec_lo, exec_lo, s15
	v_cmp_lt_u32_e64 s21, v29, v2
	s_and_saveexec_b32 s15, s21
	s_cbranch_execz .LBB89_107
.LBB89_143:                             ;   in Loop: Header=BB89_64 Depth=2
	ds_load_u8 v20, v1 offset:1280
	s_wait_dscnt 0x0
	v_and_b32_e32 v21, 0xff, v20
	v_xor_b32_e32 v20, -1, v20
	s_delay_alu instid0(VALU_DEP_2) | instskip(NEXT) | instid1(VALU_DEP_1)
	v_lshrrev_b32_e32 v21, s30, v21
	v_and_b32_e32 v21, s31, v21
	s_delay_alu instid0(VALU_DEP_1)
	v_lshlrev_b32_e32 v21, 2, v21
	ds_load_b32 v21, v21
	s_wait_dscnt 0x0
	v_add_nc_u32_e32 v21, v21, v29
	global_store_b8 v21, v20, s[38:39]
	s_wait_alu 0xfffe
	s_or_b32 exec_lo, exec_lo, s15
	v_cmp_lt_u32_e64 s19, v30, v2
	s_and_saveexec_b32 s15, s19
	s_cbranch_execz .LBB89_108
.LBB89_144:                             ;   in Loop: Header=BB89_64 Depth=2
	ds_load_u8 v20, v1 offset:1536
	s_wait_dscnt 0x0
	v_and_b32_e32 v21, 0xff, v20
	v_xor_b32_e32 v20, -1, v20
	s_delay_alu instid0(VALU_DEP_2) | instskip(NEXT) | instid1(VALU_DEP_1)
	v_lshrrev_b32_e32 v21, s30, v21
	v_and_b32_e32 v21, s31, v21
	s_delay_alu instid0(VALU_DEP_1)
	v_lshlrev_b32_e32 v21, 2, v21
	ds_load_b32 v21, v21
	s_wait_dscnt 0x0
	v_add_nc_u32_e32 v21, v21, v30
	global_store_b8 v21, v20, s[38:39]
	s_wait_alu 0xfffe
	s_or_b32 exec_lo, exec_lo, s15
	v_cmp_lt_u32_e64 s18, v31, v2
	s_and_saveexec_b32 s15, s18
	s_cbranch_execz .LBB89_109
.LBB89_145:                             ;   in Loop: Header=BB89_64 Depth=2
	ds_load_u8 v20, v1 offset:1792
	s_wait_dscnt 0x0
	v_and_b32_e32 v21, 0xff, v20
	v_xor_b32_e32 v20, -1, v20
	s_delay_alu instid0(VALU_DEP_2) | instskip(NEXT) | instid1(VALU_DEP_1)
	v_lshrrev_b32_e32 v21, s30, v21
	v_and_b32_e32 v21, s31, v21
	s_delay_alu instid0(VALU_DEP_1)
	v_lshlrev_b32_e32 v21, 2, v21
	ds_load_b32 v21, v21
	s_wait_dscnt 0x0
	v_add_nc_u32_e32 v21, v21, v31
	global_store_b8 v21, v20, s[38:39]
	s_wait_alu 0xfffe
	s_or_b32 exec_lo, exec_lo, s15
	v_cmp_lt_u32_e64 s17, v34, v2
	s_and_saveexec_b32 s15, s17
	s_cbranch_execz .LBB89_110
.LBB89_146:                             ;   in Loop: Header=BB89_64 Depth=2
	ds_load_u8 v20, v1 offset:2048
	s_wait_dscnt 0x0
	v_and_b32_e32 v21, 0xff, v20
	v_xor_b32_e32 v20, -1, v20
	s_delay_alu instid0(VALU_DEP_2) | instskip(NEXT) | instid1(VALU_DEP_1)
	v_lshrrev_b32_e32 v21, s30, v21
	v_and_b32_e32 v21, s31, v21
	s_delay_alu instid0(VALU_DEP_1)
	v_lshlrev_b32_e32 v21, 2, v21
	ds_load_b32 v21, v21
	s_wait_dscnt 0x0
	v_add_nc_u32_e32 v21, v21, v34
	global_store_b8 v21, v20, s[38:39]
	s_wait_alu 0xfffe
	s_or_b32 exec_lo, exec_lo, s15
	v_cmp_lt_u32_e64 s16, v35, v2
	s_and_saveexec_b32 s15, s16
	s_cbranch_execz .LBB89_111
.LBB89_147:                             ;   in Loop: Header=BB89_64 Depth=2
	ds_load_u8 v20, v1 offset:2304
	s_wait_dscnt 0x0
	v_and_b32_e32 v21, 0xff, v20
	v_xor_b32_e32 v20, -1, v20
	s_delay_alu instid0(VALU_DEP_2) | instskip(NEXT) | instid1(VALU_DEP_1)
	v_lshrrev_b32_e32 v21, s30, v21
	v_and_b32_e32 v21, s31, v21
	s_delay_alu instid0(VALU_DEP_1)
	v_lshlrev_b32_e32 v21, 2, v21
	ds_load_b32 v21, v21
	s_wait_dscnt 0x0
	v_add_nc_u32_e32 v21, v21, v35
	global_store_b8 v21, v20, s[38:39]
	s_wait_alu 0xfffe
	s_or_b32 exec_lo, exec_lo, s15
	v_cmp_lt_u32_e64 s15, v36, v2
	s_and_saveexec_b32 s44, s15
	s_cbranch_execz .LBB89_112
.LBB89_148:                             ;   in Loop: Header=BB89_64 Depth=2
	ds_load_u8 v20, v1 offset:2560
	s_wait_dscnt 0x0
	v_and_b32_e32 v21, 0xff, v20
	v_xor_b32_e32 v20, -1, v20
	s_delay_alu instid0(VALU_DEP_2) | instskip(NEXT) | instid1(VALU_DEP_1)
	v_lshrrev_b32_e32 v21, s30, v21
	v_and_b32_e32 v21, s31, v21
	s_delay_alu instid0(VALU_DEP_1)
	v_lshlrev_b32_e32 v21, 2, v21
	ds_load_b32 v21, v21
	s_wait_dscnt 0x0
	v_add_nc_u32_e32 v21, v21, v36
	global_store_b8 v21, v20, s[38:39]
	s_wait_alu 0xfffe
	s_or_b32 exec_lo, exec_lo, s44
	v_cmp_lt_u32_e32 vcc_lo, v37, v2
	s_and_saveexec_b32 s44, vcc_lo
	s_cbranch_execnz .LBB89_113
	s_branch .LBB89_114
.LBB89_149:                             ;   in Loop: Header=BB89_64 Depth=2
	global_load_b64 v[18:19], v[20:21], off
	s_wait_alu 0xfffe
	s_or_b32 exec_lo, exec_lo, s22
	s_delay_alu instid0(SALU_CYCLE_1)
	s_mov_b32 s44, exec_lo
	v_cmpx_lt_u32_e64 v71, v2
	s_cbranch_execz .LBB89_116
.LBB89_150:                             ;   in Loop: Header=BB89_64 Depth=2
	global_load_b64 v[16:17], v[20:21], off offset:256
	s_wait_alu 0xfffe
	s_or_b32 exec_lo, exec_lo, s44
	s_delay_alu instid0(SALU_CYCLE_1)
	s_mov_b32 s44, exec_lo
	v_cmpx_lt_u32_e64 v72, v2
	s_cbranch_execz .LBB89_117
.LBB89_151:                             ;   in Loop: Header=BB89_64 Depth=2
	global_load_b64 v[14:15], v[20:21], off offset:512
	s_wait_alu 0xfffe
	s_or_b32 exec_lo, exec_lo, s44
	s_delay_alu instid0(SALU_CYCLE_1)
	s_mov_b32 s44, exec_lo
	v_cmpx_lt_u32_e64 v73, v2
	s_cbranch_execz .LBB89_118
.LBB89_152:                             ;   in Loop: Header=BB89_64 Depth=2
	global_load_b64 v[12:13], v[20:21], off offset:768
	s_wait_alu 0xfffe
	s_or_b32 exec_lo, exec_lo, s44
	s_delay_alu instid0(SALU_CYCLE_1)
	s_mov_b32 s44, exec_lo
	v_cmpx_lt_u32_e64 v74, v2
	s_cbranch_execz .LBB89_119
.LBB89_153:                             ;   in Loop: Header=BB89_64 Depth=2
	global_load_b64 v[10:11], v[20:21], off offset:1024
	s_wait_alu 0xfffe
	s_or_b32 exec_lo, exec_lo, s44
	s_delay_alu instid0(SALU_CYCLE_1)
	s_mov_b32 s44, exec_lo
	v_cmpx_lt_u32_e64 v75, v2
	s_cbranch_execz .LBB89_120
.LBB89_154:                             ;   in Loop: Header=BB89_64 Depth=2
	global_load_b64 v[8:9], v[20:21], off offset:1280
	s_wait_alu 0xfffe
	s_or_b32 exec_lo, exec_lo, s44
	s_delay_alu instid0(SALU_CYCLE_1)
	s_mov_b32 s44, exec_lo
	v_cmpx_lt_u32_e64 v76, v2
	s_cbranch_execz .LBB89_121
.LBB89_155:                             ;   in Loop: Header=BB89_64 Depth=2
	global_load_b64 v[6:7], v[20:21], off offset:1536
	s_wait_alu 0xfffe
	s_or_b32 exec_lo, exec_lo, s44
	s_delay_alu instid0(SALU_CYCLE_1)
	s_mov_b32 s44, exec_lo
	v_cmpx_lt_u32_e64 v77, v2
	s_cbranch_execz .LBB89_122
.LBB89_156:                             ;   in Loop: Header=BB89_64 Depth=2
	global_load_b64 v[4:5], v[20:21], off offset:1792
	s_wait_alu 0xfffe
	s_or_b32 exec_lo, exec_lo, s44
	s_and_saveexec_b32 s22, s20
	s_cbranch_execz .LBB89_123
.LBB89_157:                             ;   in Loop: Header=BB89_64 Depth=2
	ds_load_u8 v2, v1 offset:1024
	s_wait_dscnt 0x0
	v_lshrrev_b32_e32 v2, s30, v2
	s_delay_alu instid0(VALU_DEP_1)
	v_and_b32_e32 v89, s31, v2
	s_wait_alu 0xfffe
	s_or_b32 exec_lo, exec_lo, s22
	s_and_saveexec_b32 s22, s21
	s_cbranch_execz .LBB89_124
.LBB89_158:                             ;   in Loop: Header=BB89_64 Depth=2
	ds_load_u8 v2, v1 offset:1280
	s_wait_dscnt 0x0
	v_lshrrev_b32_e32 v2, s30, v2
	s_delay_alu instid0(VALU_DEP_1)
	v_and_b32_e32 v88, s31, v2
	s_wait_alu 0xfffe
	s_or_b32 exec_lo, exec_lo, s22
	s_and_saveexec_b32 s22, s19
	s_cbranch_execz .LBB89_125
.LBB89_159:                             ;   in Loop: Header=BB89_64 Depth=2
	ds_load_u8 v2, v1 offset:1536
	s_wait_dscnt 0x0
	v_lshrrev_b32_e32 v2, s30, v2
	s_delay_alu instid0(VALU_DEP_1)
	v_and_b32_e32 v87, s31, v2
	s_wait_alu 0xfffe
	s_or_b32 exec_lo, exec_lo, s22
	s_and_saveexec_b32 s22, s18
	s_cbranch_execz .LBB89_126
.LBB89_160:                             ;   in Loop: Header=BB89_64 Depth=2
	ds_load_u8 v2, v1 offset:1792
	s_wait_dscnt 0x0
	v_lshrrev_b32_e32 v2, s30, v2
	s_delay_alu instid0(VALU_DEP_1)
	v_and_b32_e32 v86, s31, v2
	s_wait_alu 0xfffe
	s_or_b32 exec_lo, exec_lo, s22
	s_and_saveexec_b32 s22, s17
	s_cbranch_execz .LBB89_127
.LBB89_161:                             ;   in Loop: Header=BB89_64 Depth=2
	ds_load_u8 v2, v1 offset:2048
	s_wait_dscnt 0x0
	v_lshrrev_b32_e32 v2, s30, v2
	s_delay_alu instid0(VALU_DEP_1)
	v_and_b32_e32 v85, s31, v2
	s_wait_alu 0xfffe
	s_or_b32 exec_lo, exec_lo, s22
	s_and_saveexec_b32 s22, s16
	s_cbranch_execz .LBB89_128
.LBB89_162:                             ;   in Loop: Header=BB89_64 Depth=2
	ds_load_u8 v2, v1 offset:2304
	s_wait_dscnt 0x0
	v_lshrrev_b32_e32 v2, s30, v2
	s_delay_alu instid0(VALU_DEP_1)
	v_and_b32_e32 v84, s31, v2
	s_wait_alu 0xfffe
	s_or_b32 exec_lo, exec_lo, s22
	s_and_saveexec_b32 s22, s15
	s_cbranch_execz .LBB89_129
.LBB89_163:                             ;   in Loop: Header=BB89_64 Depth=2
	ds_load_u8 v2, v1 offset:2560
	s_wait_dscnt 0x0
	v_lshrrev_b32_e32 v2, s30, v2
	s_delay_alu instid0(VALU_DEP_1)
	v_and_b32_e32 v83, s31, v2
	s_wait_alu 0xfffe
	s_or_b32 exec_lo, exec_lo, s22
	s_and_saveexec_b32 s22, vcc_lo
	s_cbranch_execnz .LBB89_130
	s_branch .LBB89_131
.LBB89_164:                             ;   in Loop: Header=BB89_64 Depth=2
	v_lshlrev_b32_e32 v2, 2, v89
	v_add_nc_u32_e32 v20, v1, v47
	ds_load_b32 v2, v2
	ds_load_b64 v[20:21], v20 offset:1024
	s_wait_dscnt 0x1
	v_add_nc_u32_e32 v2, v2, v1
	s_delay_alu instid0(VALU_DEP_1) | instskip(NEXT) | instid1(VALU_DEP_1)
	v_lshlrev_b64_e32 v[23:24], 3, v[2:3]
	v_add_co_u32 v23, s20, s24, v23
	s_wait_alu 0xf1ff
	s_delay_alu instid0(VALU_DEP_2)
	v_add_co_ci_u32_e64 v24, null, s25, v24, s20
	s_wait_dscnt 0x0
	global_store_b64 v[23:24], v[20:21], off
	s_wait_alu 0xfffe
	s_or_b32 exec_lo, exec_lo, s22
	s_and_saveexec_b32 s22, s21
	s_cbranch_execz .LBB89_133
.LBB89_165:                             ;   in Loop: Header=BB89_64 Depth=2
	v_lshlrev_b32_e32 v2, 2, v88
	v_add_nc_u32_e32 v20, v1, v47
	ds_load_b32 v2, v2
	ds_load_b64 v[20:21], v20 offset:3072
	s_wait_dscnt 0x1
	v_add_nc_u32_e32 v2, v2, v29
	s_delay_alu instid0(VALU_DEP_1) | instskip(NEXT) | instid1(VALU_DEP_1)
	v_lshlrev_b64_e32 v[23:24], 3, v[2:3]
	v_add_co_u32 v23, s20, s24, v23
	s_wait_alu 0xf1ff
	s_delay_alu instid0(VALU_DEP_2)
	v_add_co_ci_u32_e64 v24, null, s25, v24, s20
	s_wait_dscnt 0x0
	global_store_b64 v[23:24], v[20:21], off
	s_wait_alu 0xfffe
	s_or_b32 exec_lo, exec_lo, s22
	s_and_saveexec_b32 s20, s19
	s_cbranch_execz .LBB89_134
.LBB89_166:                             ;   in Loop: Header=BB89_64 Depth=2
	v_lshlrev_b32_e32 v2, 2, v87
	v_add_nc_u32_e32 v20, v1, v47
	ds_load_b32 v2, v2
	ds_load_b64 v[20:21], v20 offset:5120
	s_wait_dscnt 0x1
	v_add_nc_u32_e32 v2, v2, v30
	s_delay_alu instid0(VALU_DEP_1) | instskip(NEXT) | instid1(VALU_DEP_1)
	v_lshlrev_b64_e32 v[23:24], 3, v[2:3]
	v_add_co_u32 v23, s19, s24, v23
	s_wait_alu 0xf1ff
	s_delay_alu instid0(VALU_DEP_2)
	v_add_co_ci_u32_e64 v24, null, s25, v24, s19
	s_wait_dscnt 0x0
	global_store_b64 v[23:24], v[20:21], off
	s_wait_alu 0xfffe
	s_or_b32 exec_lo, exec_lo, s20
	s_and_saveexec_b32 s19, s18
	s_cbranch_execz .LBB89_135
.LBB89_167:                             ;   in Loop: Header=BB89_64 Depth=2
	v_lshlrev_b32_e32 v2, 2, v86
	v_add_nc_u32_e32 v20, v1, v47
	ds_load_b32 v2, v2
	ds_load_b64 v[20:21], v20 offset:7168
	s_wait_dscnt 0x1
	v_add_nc_u32_e32 v2, v2, v31
	s_delay_alu instid0(VALU_DEP_1) | instskip(NEXT) | instid1(VALU_DEP_1)
	v_lshlrev_b64_e32 v[23:24], 3, v[2:3]
	v_add_co_u32 v23, s18, s24, v23
	s_wait_alu 0xf1ff
	s_delay_alu instid0(VALU_DEP_2)
	v_add_co_ci_u32_e64 v24, null, s25, v24, s18
	s_wait_dscnt 0x0
	global_store_b64 v[23:24], v[20:21], off
	s_wait_alu 0xfffe
	s_or_b32 exec_lo, exec_lo, s19
	s_and_saveexec_b32 s18, s17
	s_cbranch_execz .LBB89_136
.LBB89_168:                             ;   in Loop: Header=BB89_64 Depth=2
	v_lshlrev_b32_e32 v2, 2, v85
	v_add_nc_u32_e32 v20, v1, v47
	ds_load_b32 v2, v2
	ds_load_b64 v[20:21], v20 offset:9216
	s_wait_dscnt 0x1
	v_add_nc_u32_e32 v2, v2, v34
	s_delay_alu instid0(VALU_DEP_1) | instskip(NEXT) | instid1(VALU_DEP_1)
	v_lshlrev_b64_e32 v[23:24], 3, v[2:3]
	v_add_co_u32 v23, s17, s24, v23
	s_wait_alu 0xf1ff
	s_delay_alu instid0(VALU_DEP_2)
	v_add_co_ci_u32_e64 v24, null, s25, v24, s17
	s_wait_dscnt 0x0
	global_store_b64 v[23:24], v[20:21], off
	s_wait_alu 0xfffe
	s_or_b32 exec_lo, exec_lo, s18
	s_and_saveexec_b32 s17, s16
	s_cbranch_execz .LBB89_137
.LBB89_169:                             ;   in Loop: Header=BB89_64 Depth=2
	v_lshlrev_b32_e32 v2, 2, v84
	v_add_nc_u32_e32 v20, v1, v47
	ds_load_b32 v2, v2
	ds_load_b64 v[20:21], v20 offset:11264
	s_wait_dscnt 0x1
	v_add_nc_u32_e32 v2, v2, v35
	s_delay_alu instid0(VALU_DEP_1) | instskip(NEXT) | instid1(VALU_DEP_1)
	v_lshlrev_b64_e32 v[23:24], 3, v[2:3]
	v_add_co_u32 v23, s16, s24, v23
	s_wait_alu 0xf1ff
	s_delay_alu instid0(VALU_DEP_2)
	v_add_co_ci_u32_e64 v24, null, s25, v24, s16
	s_wait_dscnt 0x0
	global_store_b64 v[23:24], v[20:21], off
	s_wait_alu 0xfffe
	s_or_b32 exec_lo, exec_lo, s17
	s_and_saveexec_b32 s16, s15
	s_cbranch_execz .LBB89_138
.LBB89_170:                             ;   in Loop: Header=BB89_64 Depth=2
	v_lshlrev_b32_e32 v2, 2, v83
	v_add_nc_u32_e32 v20, v1, v47
	ds_load_b32 v2, v2
	ds_load_b64 v[20:21], v20 offset:13312
	s_wait_dscnt 0x1
	v_add_nc_u32_e32 v2, v2, v36
	s_delay_alu instid0(VALU_DEP_1) | instskip(NEXT) | instid1(VALU_DEP_1)
	v_lshlrev_b64_e32 v[23:24], 3, v[2:3]
	v_add_co_u32 v23, s15, s24, v23
	s_wait_alu 0xf1ff
	s_delay_alu instid0(VALU_DEP_2)
	v_add_co_ci_u32_e64 v24, null, s25, v24, s15
	s_wait_dscnt 0x0
	global_store_b64 v[23:24], v[20:21], off
	s_wait_alu 0xfffe
	s_or_b32 exec_lo, exec_lo, s16
	s_and_saveexec_b32 s15, vcc_lo
	s_cbranch_execnz .LBB89_139
	s_branch .LBB89_140
.LBB89_171:                             ;   in Loop: Header=BB89_64 Depth=2
	global_load_u8 v92, v[20:21], off offset:32
	s_wait_alu 0xfffe
	s_or_b32 exec_lo, exec_lo, s15
	s_delay_alu instid0(SALU_CYCLE_1)
	s_mov_b32 s15, exec_lo
	v_cmpx_gt_u32_e64 s42, v72
	s_cbranch_execz .LBB89_71
.LBB89_172:                             ;   in Loop: Header=BB89_64 Depth=2
	global_load_u8 v27, v[20:21], off offset:64
	s_wait_alu 0xfffe
	s_or_b32 exec_lo, exec_lo, s15
	s_delay_alu instid0(SALU_CYCLE_1)
	s_mov_b32 s15, exec_lo
	v_cmpx_gt_u32_e64 s42, v73
	s_cbranch_execz .LBB89_72
.LBB89_173:                             ;   in Loop: Header=BB89_64 Depth=2
	global_load_u8 v26, v[20:21], off offset:96
	s_wait_alu 0xfffe
	s_or_b32 exec_lo, exec_lo, s15
	s_delay_alu instid0(SALU_CYCLE_1)
	s_mov_b32 s15, exec_lo
	v_cmpx_gt_u32_e64 s42, v74
	s_cbranch_execz .LBB89_73
.LBB89_174:                             ;   in Loop: Header=BB89_64 Depth=2
	global_load_u8 v25, v[20:21], off offset:128
	s_wait_alu 0xfffe
	s_or_b32 exec_lo, exec_lo, s15
	s_delay_alu instid0(SALU_CYCLE_1)
	s_mov_b32 s15, exec_lo
	v_cmpx_gt_u32_e64 s42, v75
	s_cbranch_execz .LBB89_74
.LBB89_175:                             ;   in Loop: Header=BB89_64 Depth=2
	global_load_u8 v24, v[20:21], off offset:160
	s_wait_alu 0xfffe
	s_or_b32 exec_lo, exec_lo, s15
	s_delay_alu instid0(SALU_CYCLE_1)
	s_mov_b32 s15, exec_lo
	v_cmpx_gt_u32_e64 s42, v76
	s_cbranch_execnz .LBB89_75
	s_branch .LBB89_76
.LBB89_176:                             ;   in Loop: Header=BB89_12 Depth=1
	s_wait_loadcnt_dscnt 0x0
	s_barrier_signal -1
	s_mov_b32 s0, 0
	s_barrier_wait -1
.LBB89_177:                             ;   in Loop: Header=BB89_12 Depth=1
	s_wait_alu 0xfffe
	s_and_b32 vcc_lo, exec_lo, s0
	s_wait_alu 0xfffe
	s_cbranch_vccz .LBB89_341
; %bb.178:                              ;   in Loop: Header=BB89_12 Depth=1
	v_dual_mov_b32 v7, 0 :: v_dual_mov_b32 v10, 0
	v_dual_mov_b32 v9, 0 :: v_dual_mov_b32 v8, 0
	;; [unrolled: 1-line block ×3, first 2 shown]
	v_mov_b32_e32 v4, 0
	v_mov_b32_e32 v2, 0
	s_mov_b32 s9, s47
	s_mov_b32 s22, s33
	s_barrier_signal -1
	s_barrier_wait -1
	global_inv scope:SCOPE_SE
	s_branch .LBB89_180
.LBB89_179:                             ;   in Loop: Header=BB89_180 Depth=2
	s_wait_alu 0xfffe
	s_or_b32 exec_lo, exec_lo, s0
	s_addk_co_i32 s9, 0xf800
	s_cmp_ge_u32 s10, s34
	s_mov_b32 s22, s10
	s_cbranch_scc1 .LBB89_216
.LBB89_180:                             ;   Parent Loop BB89_12 Depth=1
                                        ; =>  This Inner Loop Header: Depth=2
	s_wait_alu 0xfffe
	s_add_co_i32 s10, s22, 0x800
	s_mov_b32 s0, -1
	s_wait_alu 0xfffe
	s_cmp_gt_u32 s10, s34
                                        ; implicit-def: $vgpr11
                                        ; implicit-def: $vgpr12
                                        ; implicit-def: $vgpr13
                                        ; implicit-def: $vgpr14
                                        ; implicit-def: $vgpr15
                                        ; implicit-def: $vgpr16
                                        ; implicit-def: $vgpr17
                                        ; implicit-def: $vgpr18
	s_cbranch_scc1 .LBB89_182
; %bb.181:                              ;   in Loop: Header=BB89_180 Depth=2
	v_add_co_u32 v19, vcc_lo, v48, s22
	s_wait_alu 0xfffd
	v_add_co_ci_u32_e64 v20, null, 0, v49, vcc_lo
	s_mov_b32 s0, 0
	s_clause 0x7
	global_load_u8 v18, v[19:20], off offset:1792
	global_load_u8 v17, v[19:20], off offset:1536
	;; [unrolled: 1-line block ×7, first 2 shown]
	global_load_u8 v11, v[19:20], off
.LBB89_182:                             ;   in Loop: Header=BB89_180 Depth=2
	s_wait_alu 0xfffe
	s_and_not1_b32 vcc_lo, exec_lo, s0
	s_movk_i32 s0, 0x800
	s_wait_alu 0xfffe
	s_cbranch_vccnz .LBB89_193
; %bb.183:                              ;   in Loop: Header=BB89_180 Depth=2
	s_add_nc_u64 s[0:1], s[38:39], s[22:23]
	s_mov_b32 s11, exec_lo
	v_cmpx_gt_u32_e64 s9, v1
	s_cbranch_execnz .LBB89_209
; %bb.184:                              ;   in Loop: Header=BB89_180 Depth=2
	s_wait_alu 0xfffe
	s_or_b32 exec_lo, exec_lo, s11
	s_delay_alu instid0(SALU_CYCLE_1)
	s_mov_b32 s11, exec_lo
	v_cmpx_gt_u32_e64 s9, v29
	s_cbranch_execnz .LBB89_210
.LBB89_185:                             ;   in Loop: Header=BB89_180 Depth=2
	s_wait_alu 0xfffe
	s_or_b32 exec_lo, exec_lo, s11
	s_delay_alu instid0(SALU_CYCLE_1)
	s_mov_b32 s11, exec_lo
	v_cmpx_gt_u32_e64 s9, v30
	s_cbranch_execnz .LBB89_211
.LBB89_186:                             ;   in Loop: Header=BB89_180 Depth=2
	s_wait_alu 0xfffe
	s_or_b32 exec_lo, exec_lo, s11
	s_delay_alu instid0(SALU_CYCLE_1)
	s_mov_b32 s11, exec_lo
	v_cmpx_gt_u32_e64 s9, v31
	s_cbranch_execnz .LBB89_212
.LBB89_187:                             ;   in Loop: Header=BB89_180 Depth=2
	s_wait_alu 0xfffe
	s_or_b32 exec_lo, exec_lo, s11
	s_delay_alu instid0(SALU_CYCLE_1)
	s_mov_b32 s11, exec_lo
	v_cmpx_gt_u32_e64 s9, v34
	s_cbranch_execnz .LBB89_213
.LBB89_188:                             ;   in Loop: Header=BB89_180 Depth=2
	s_wait_alu 0xfffe
	s_or_b32 exec_lo, exec_lo, s11
	s_delay_alu instid0(SALU_CYCLE_1)
	s_mov_b32 s11, exec_lo
	v_cmpx_gt_u32_e64 s9, v35
	s_cbranch_execnz .LBB89_214
.LBB89_189:                             ;   in Loop: Header=BB89_180 Depth=2
	s_wait_alu 0xfffe
	s_or_b32 exec_lo, exec_lo, s11
	s_delay_alu instid0(SALU_CYCLE_1)
	s_mov_b32 s11, exec_lo
	v_cmpx_gt_u32_e64 s9, v36
	s_cbranch_execnz .LBB89_215
.LBB89_190:                             ;   in Loop: Header=BB89_180 Depth=2
	s_wait_alu 0xfffe
	s_or_b32 exec_lo, exec_lo, s11
	s_delay_alu instid0(SALU_CYCLE_1)
	s_mov_b32 s11, exec_lo
	v_cmpx_gt_u32_e64 s9, v37
	s_cbranch_execz .LBB89_192
.LBB89_191:                             ;   in Loop: Header=BB89_180 Depth=2
	s_wait_loadcnt 0x0
	v_add_co_u32 v11, s0, s0, v1
	s_wait_alu 0xf1ff
	v_add_co_ci_u32_e64 v12, null, s1, 0, s0
	global_load_u8 v2, v[11:12], off offset:1792
.LBB89_192:                             ;   in Loop: Header=BB89_180 Depth=2
	s_wait_alu 0xfffe
	s_or_b32 exec_lo, exec_lo, s11
	s_wait_loadcnt 0x0
	v_dual_mov_b32 v11, v7 :: v_dual_mov_b32 v12, v10
	v_dual_mov_b32 v13, v9 :: v_dual_mov_b32 v14, v8
	;; [unrolled: 1-line block ×4, first 2 shown]
	s_mov_b32 s0, s9
.LBB89_193:                             ;   in Loop: Header=BB89_180 Depth=2
	s_wait_loadcnt 0x5
	s_delay_alu instid0(VALU_DEP_1)
	v_dual_mov_b32 v2, v18 :: v_dual_mov_b32 v5, v16
	s_wait_loadcnt 0x2
	v_dual_mov_b32 v4, v17 :: v_dual_mov_b32 v9, v13
	s_wait_loadcnt 0x0
	v_dual_mov_b32 v6, v15 :: v_dual_mov_b32 v7, v11
	v_mov_b32_e32 v8, v14
	v_mov_b32_e32 v10, v12
	s_mov_b32 s1, exec_lo
	s_wait_alu 0xfffe
	v_cmpx_gt_u32_e64 s0, v1
	s_cbranch_execnz .LBB89_201
; %bb.194:                              ;   in Loop: Header=BB89_180 Depth=2
	s_or_b32 exec_lo, exec_lo, s1
	s_delay_alu instid0(SALU_CYCLE_1)
	s_mov_b32 s1, exec_lo
	v_cmpx_gt_u32_e64 s0, v29
	s_cbranch_execnz .LBB89_202
.LBB89_195:                             ;   in Loop: Header=BB89_180 Depth=2
	s_wait_alu 0xfffe
	s_or_b32 exec_lo, exec_lo, s1
	s_delay_alu instid0(SALU_CYCLE_1)
	s_mov_b32 s1, exec_lo
	v_cmpx_gt_u32_e64 s0, v30
	s_cbranch_execnz .LBB89_203
.LBB89_196:                             ;   in Loop: Header=BB89_180 Depth=2
	s_wait_alu 0xfffe
	s_or_b32 exec_lo, exec_lo, s1
	s_delay_alu instid0(SALU_CYCLE_1)
	s_mov_b32 s1, exec_lo
	v_cmpx_gt_u32_e64 s0, v31
	s_cbranch_execnz .LBB89_204
.LBB89_197:                             ;   in Loop: Header=BB89_180 Depth=2
	s_wait_alu 0xfffe
	s_or_b32 exec_lo, exec_lo, s1
	s_delay_alu instid0(SALU_CYCLE_1)
	s_mov_b32 s1, exec_lo
	v_cmpx_gt_u32_e64 s0, v34
	s_cbranch_execnz .LBB89_205
.LBB89_198:                             ;   in Loop: Header=BB89_180 Depth=2
	s_wait_alu 0xfffe
	s_or_b32 exec_lo, exec_lo, s1
	s_delay_alu instid0(SALU_CYCLE_1)
	s_mov_b32 s1, exec_lo
	v_cmpx_gt_u32_e64 s0, v35
	s_cbranch_execnz .LBB89_206
.LBB89_199:                             ;   in Loop: Header=BB89_180 Depth=2
	s_wait_alu 0xfffe
	s_or_b32 exec_lo, exec_lo, s1
	s_delay_alu instid0(SALU_CYCLE_1)
	s_mov_b32 s1, exec_lo
	v_cmpx_gt_u32_e64 s0, v36
	s_cbranch_execnz .LBB89_207
.LBB89_200:                             ;   in Loop: Header=BB89_180 Depth=2
	s_wait_alu 0xfffe
	s_or_b32 exec_lo, exec_lo, s1
	v_cmp_gt_u32_e32 vcc_lo, s0, v37
	s_and_saveexec_b32 s0, vcc_lo
	s_cbranch_execz .LBB89_179
	s_branch .LBB89_208
.LBB89_201:                             ;   in Loop: Header=BB89_180 Depth=2
	v_xor_b32_e32 v11, -1, v7
	s_delay_alu instid0(VALU_DEP_1) | instskip(NEXT) | instid1(VALU_DEP_1)
	v_and_b32_e32 v11, 0xff, v11
	v_lshrrev_b32_e32 v11, s30, v11
	s_delay_alu instid0(VALU_DEP_1) | instskip(NEXT) | instid1(VALU_DEP_1)
	v_and_b32_e32 v11, s31, v11
	v_lshl_or_b32 v11, v11, 4, v39
	ds_add_u32 v11, v61
	s_or_b32 exec_lo, exec_lo, s1
	s_delay_alu instid0(SALU_CYCLE_1)
	s_mov_b32 s1, exec_lo
	v_cmpx_gt_u32_e64 s0, v29
	s_cbranch_execz .LBB89_195
.LBB89_202:                             ;   in Loop: Header=BB89_180 Depth=2
	v_xor_b32_e32 v11, -1, v10
	s_delay_alu instid0(VALU_DEP_1) | instskip(NEXT) | instid1(VALU_DEP_1)
	v_and_b32_e32 v11, 0xff, v11
	v_lshrrev_b32_e32 v11, s30, v11
	s_delay_alu instid0(VALU_DEP_1) | instskip(NEXT) | instid1(VALU_DEP_1)
	v_and_b32_e32 v11, s31, v11
	v_lshl_or_b32 v11, v11, 4, v39
	ds_add_u32 v11, v61
	s_wait_alu 0xfffe
	s_or_b32 exec_lo, exec_lo, s1
	s_delay_alu instid0(SALU_CYCLE_1)
	s_mov_b32 s1, exec_lo
	v_cmpx_gt_u32_e64 s0, v30
	s_cbranch_execz .LBB89_196
.LBB89_203:                             ;   in Loop: Header=BB89_180 Depth=2
	v_xor_b32_e32 v11, -1, v9
	s_delay_alu instid0(VALU_DEP_1) | instskip(NEXT) | instid1(VALU_DEP_1)
	v_and_b32_e32 v11, 0xff, v11
	v_lshrrev_b32_e32 v11, s30, v11
	s_delay_alu instid0(VALU_DEP_1) | instskip(NEXT) | instid1(VALU_DEP_1)
	v_and_b32_e32 v11, s31, v11
	v_lshl_or_b32 v11, v11, 4, v39
	ds_add_u32 v11, v61
	s_wait_alu 0xfffe
	s_or_b32 exec_lo, exec_lo, s1
	s_delay_alu instid0(SALU_CYCLE_1)
	s_mov_b32 s1, exec_lo
	v_cmpx_gt_u32_e64 s0, v31
	s_cbranch_execz .LBB89_197
.LBB89_204:                             ;   in Loop: Header=BB89_180 Depth=2
	v_xor_b32_e32 v11, -1, v8
	s_delay_alu instid0(VALU_DEP_1) | instskip(NEXT) | instid1(VALU_DEP_1)
	v_and_b32_e32 v11, 0xff, v11
	v_lshrrev_b32_e32 v11, s30, v11
	s_delay_alu instid0(VALU_DEP_1) | instskip(NEXT) | instid1(VALU_DEP_1)
	v_and_b32_e32 v11, s31, v11
	v_lshl_or_b32 v11, v11, 4, v39
	ds_add_u32 v11, v61
	s_wait_alu 0xfffe
	s_or_b32 exec_lo, exec_lo, s1
	s_delay_alu instid0(SALU_CYCLE_1)
	s_mov_b32 s1, exec_lo
	v_cmpx_gt_u32_e64 s0, v34
	s_cbranch_execz .LBB89_198
.LBB89_205:                             ;   in Loop: Header=BB89_180 Depth=2
	v_xor_b32_e32 v11, -1, v6
	s_delay_alu instid0(VALU_DEP_1) | instskip(NEXT) | instid1(VALU_DEP_1)
	v_and_b32_e32 v11, 0xff, v11
	v_lshrrev_b32_e32 v11, s30, v11
	s_delay_alu instid0(VALU_DEP_1) | instskip(NEXT) | instid1(VALU_DEP_1)
	v_and_b32_e32 v11, s31, v11
	v_lshl_or_b32 v11, v11, 4, v39
	ds_add_u32 v11, v61
	s_wait_alu 0xfffe
	s_or_b32 exec_lo, exec_lo, s1
	s_delay_alu instid0(SALU_CYCLE_1)
	s_mov_b32 s1, exec_lo
	v_cmpx_gt_u32_e64 s0, v35
	s_cbranch_execz .LBB89_199
.LBB89_206:                             ;   in Loop: Header=BB89_180 Depth=2
	v_xor_b32_e32 v11, -1, v5
	s_delay_alu instid0(VALU_DEP_1) | instskip(NEXT) | instid1(VALU_DEP_1)
	v_and_b32_e32 v11, 0xff, v11
	v_lshrrev_b32_e32 v11, s30, v11
	s_delay_alu instid0(VALU_DEP_1) | instskip(NEXT) | instid1(VALU_DEP_1)
	v_and_b32_e32 v11, s31, v11
	v_lshl_or_b32 v11, v11, 4, v39
	ds_add_u32 v11, v61
	s_wait_alu 0xfffe
	s_or_b32 exec_lo, exec_lo, s1
	s_delay_alu instid0(SALU_CYCLE_1)
	s_mov_b32 s1, exec_lo
	v_cmpx_gt_u32_e64 s0, v36
	s_cbranch_execz .LBB89_200
.LBB89_207:                             ;   in Loop: Header=BB89_180 Depth=2
	v_xor_b32_e32 v11, -1, v4
	s_delay_alu instid0(VALU_DEP_1) | instskip(NEXT) | instid1(VALU_DEP_1)
	v_and_b32_e32 v11, 0xff, v11
	v_lshrrev_b32_e32 v11, s30, v11
	s_delay_alu instid0(VALU_DEP_1) | instskip(NEXT) | instid1(VALU_DEP_1)
	v_and_b32_e32 v11, s31, v11
	v_lshl_or_b32 v11, v11, 4, v39
	ds_add_u32 v11, v61
	s_wait_alu 0xfffe
	s_or_b32 exec_lo, exec_lo, s1
	v_cmp_gt_u32_e32 vcc_lo, s0, v37
	s_and_saveexec_b32 s0, vcc_lo
	s_cbranch_execz .LBB89_179
.LBB89_208:                             ;   in Loop: Header=BB89_180 Depth=2
	v_xor_b32_e32 v11, -1, v2
	s_delay_alu instid0(VALU_DEP_1) | instskip(NEXT) | instid1(VALU_DEP_1)
	v_and_b32_e32 v11, 0xff, v11
	v_lshrrev_b32_e32 v11, s30, v11
	s_delay_alu instid0(VALU_DEP_1) | instskip(NEXT) | instid1(VALU_DEP_1)
	v_and_b32_e32 v11, s31, v11
	v_lshl_or_b32 v11, v11, 4, v39
	ds_add_u32 v11, v61
	s_branch .LBB89_179
.LBB89_209:                             ;   in Loop: Header=BB89_180 Depth=2
	s_wait_loadcnt 0x0
	s_wait_alu 0xfffe
	v_add_co_u32 v11, s12, s0, v1
	s_wait_alu 0xf1ff
	v_add_co_ci_u32_e64 v12, null, s1, 0, s12
	global_load_u8 v7, v[11:12], off
	s_or_b32 exec_lo, exec_lo, s11
	s_delay_alu instid0(SALU_CYCLE_1)
	s_mov_b32 s11, exec_lo
	v_cmpx_gt_u32_e64 s9, v29
	s_cbranch_execz .LBB89_185
.LBB89_210:                             ;   in Loop: Header=BB89_180 Depth=2
	v_add_co_u32 v10, s12, s0, v1
	s_wait_loadcnt 0x0
	s_wait_alu 0xf1ff
	v_add_co_ci_u32_e64 v11, null, s1, 0, s12
	global_load_u8 v10, v[10:11], off offset:256
	s_wait_alu 0xfffe
	s_or_b32 exec_lo, exec_lo, s11
	s_delay_alu instid0(SALU_CYCLE_1)
	s_mov_b32 s11, exec_lo
	v_cmpx_gt_u32_e64 s9, v30
	s_cbranch_execz .LBB89_186
.LBB89_211:                             ;   in Loop: Header=BB89_180 Depth=2
	s_wait_loadcnt 0x0
	v_add_co_u32 v11, s12, s0, v1
	s_wait_alu 0xf1ff
	v_add_co_ci_u32_e64 v12, null, s1, 0, s12
	global_load_u8 v9, v[11:12], off offset:512
	s_wait_alu 0xfffe
	s_or_b32 exec_lo, exec_lo, s11
	s_delay_alu instid0(SALU_CYCLE_1)
	s_mov_b32 s11, exec_lo
	v_cmpx_gt_u32_e64 s9, v31
	s_cbranch_execz .LBB89_187
.LBB89_212:                             ;   in Loop: Header=BB89_180 Depth=2
	s_wait_loadcnt 0x0
	v_add_co_u32 v11, s12, s0, v1
	s_wait_alu 0xf1ff
	v_add_co_ci_u32_e64 v12, null, s1, 0, s12
	global_load_u8 v8, v[11:12], off offset:768
	s_wait_alu 0xfffe
	s_or_b32 exec_lo, exec_lo, s11
	s_delay_alu instid0(SALU_CYCLE_1)
	s_mov_b32 s11, exec_lo
	v_cmpx_gt_u32_e64 s9, v34
	s_cbranch_execz .LBB89_188
.LBB89_213:                             ;   in Loop: Header=BB89_180 Depth=2
	s_wait_loadcnt 0x0
	v_add_co_u32 v11, s12, s0, v1
	s_wait_alu 0xf1ff
	v_add_co_ci_u32_e64 v12, null, s1, 0, s12
	global_load_u8 v6, v[11:12], off offset:1024
	s_wait_alu 0xfffe
	s_or_b32 exec_lo, exec_lo, s11
	s_delay_alu instid0(SALU_CYCLE_1)
	s_mov_b32 s11, exec_lo
	v_cmpx_gt_u32_e64 s9, v35
	s_cbranch_execz .LBB89_189
.LBB89_214:                             ;   in Loop: Header=BB89_180 Depth=2
	s_wait_loadcnt 0x0
	v_add_co_u32 v11, s12, s0, v1
	s_wait_alu 0xf1ff
	v_add_co_ci_u32_e64 v12, null, s1, 0, s12
	global_load_u8 v5, v[11:12], off offset:1280
	s_wait_alu 0xfffe
	s_or_b32 exec_lo, exec_lo, s11
	s_delay_alu instid0(SALU_CYCLE_1)
	s_mov_b32 s11, exec_lo
	v_cmpx_gt_u32_e64 s9, v36
	s_cbranch_execz .LBB89_190
.LBB89_215:                             ;   in Loop: Header=BB89_180 Depth=2
	s_wait_loadcnt 0x0
	v_add_co_u32 v11, s12, s0, v1
	s_wait_alu 0xf1ff
	v_add_co_ci_u32_e64 v12, null, s1, 0, s12
	global_load_u8 v4, v[11:12], off offset:1536
	s_wait_alu 0xfffe
	s_or_b32 exec_lo, exec_lo, s11
	s_delay_alu instid0(SALU_CYCLE_1)
	s_mov_b32 s11, exec_lo
	v_cmpx_gt_u32_e64 s9, v37
	s_cbranch_execnz .LBB89_191
	s_branch .LBB89_192
.LBB89_216:                             ;   in Loop: Header=BB89_12 Depth=1
	v_mov_b32_e32 v2, 0
	s_wait_dscnt 0x0
	s_barrier_signal -1
	s_barrier_wait -1
	global_inv scope:SCOPE_SE
	s_and_saveexec_b32 s0, s2
	s_cbranch_execz .LBB89_218
; %bb.217:                              ;   in Loop: Header=BB89_12 Depth=1
	ds_load_2addr_b64 v[4:7], v40 offset1:1
	s_wait_dscnt 0x0
	v_add_nc_u32_e32 v2, v5, v4
	s_delay_alu instid0(VALU_DEP_1)
	v_add3_u32 v2, v2, v6, v7
.LBB89_218:                             ;   in Loop: Header=BB89_12 Depth=1
	s_wait_alu 0xfffe
	s_or_b32 exec_lo, exec_lo, s0
	s_delay_alu instid0(VALU_DEP_1)
	v_mov_b32_dpp v4, v2 row_shr:1 row_mask:0xf bank_mask:0xf
	v_cmp_eq_u32_e64 s0, 0, v62
	v_cmp_lt_u32_e64 s1, 1, v62
	v_cmp_lt_u32_e64 s9, 3, v62
	;; [unrolled: 1-line block ×3, first 2 shown]
	v_cmp_eq_u32_e64 s11, 0, v64
	s_wait_alu 0xf1ff
	v_cndmask_b32_e64 v4, v4, 0, s0
	s_delay_alu instid0(VALU_DEP_1) | instskip(NEXT) | instid1(VALU_DEP_1)
	v_add_nc_u32_e32 v2, v4, v2
	v_mov_b32_dpp v4, v2 row_shr:2 row_mask:0xf bank_mask:0xf
	s_delay_alu instid0(VALU_DEP_1) | instskip(NEXT) | instid1(VALU_DEP_1)
	v_cndmask_b32_e64 v4, 0, v4, s1
	v_add_nc_u32_e32 v2, v2, v4
	s_delay_alu instid0(VALU_DEP_1) | instskip(NEXT) | instid1(VALU_DEP_1)
	v_mov_b32_dpp v4, v2 row_shr:4 row_mask:0xf bank_mask:0xf
	v_cndmask_b32_e64 v4, 0, v4, s9
	s_delay_alu instid0(VALU_DEP_1) | instskip(NEXT) | instid1(VALU_DEP_1)
	v_add_nc_u32_e32 v2, v2, v4
	v_mov_b32_dpp v4, v2 row_shr:8 row_mask:0xf bank_mask:0xf
	s_delay_alu instid0(VALU_DEP_1) | instskip(NEXT) | instid1(VALU_DEP_1)
	v_cndmask_b32_e64 v4, 0, v4, s10
	v_add_nc_u32_e32 v2, v2, v4
	ds_swizzle_b32 v4, v2 offset:swizzle(BROADCAST,32,15)
	s_wait_dscnt 0x0
	v_and_b32_e32 v4, v63, v4
	s_delay_alu instid0(VALU_DEP_1)
	v_add_nc_u32_e32 v2, v2, v4
	s_and_saveexec_b32 s12, s3
; %bb.219:                              ;   in Loop: Header=BB89_12 Depth=1
	ds_store_b32 v41, v2
; %bb.220:                              ;   in Loop: Header=BB89_12 Depth=1
	s_wait_alu 0xfffe
	s_or_b32 exec_lo, exec_lo, s12
	s_wait_loadcnt_dscnt 0x0
	s_barrier_signal -1
	s_barrier_wait -1
	global_inv scope:SCOPE_SE
	s_and_saveexec_b32 s12, s4
	s_cbranch_execz .LBB89_222
; %bb.221:                              ;   in Loop: Header=BB89_12 Depth=1
	ds_load_b32 v4, v42
	v_cmp_ne_u32_e32 vcc_lo, 0, v65
	s_wait_dscnt 0x0
	v_mov_b32_dpp v5, v4 row_shr:1 row_mask:0xf bank_mask:0xf
	s_wait_alu 0xfffd
	s_delay_alu instid0(VALU_DEP_1) | instskip(SKIP_1) | instid1(VALU_DEP_2)
	v_cndmask_b32_e32 v5, 0, v5, vcc_lo
	v_cmp_lt_u32_e32 vcc_lo, 1, v65
	v_add_nc_u32_e32 v4, v5, v4
	s_delay_alu instid0(VALU_DEP_1) | instskip(SKIP_1) | instid1(VALU_DEP_1)
	v_mov_b32_dpp v5, v4 row_shr:2 row_mask:0xf bank_mask:0xf
	s_wait_alu 0xfffd
	v_cndmask_b32_e32 v5, 0, v5, vcc_lo
	v_cmp_lt_u32_e32 vcc_lo, 3, v65
	s_delay_alu instid0(VALU_DEP_2) | instskip(NEXT) | instid1(VALU_DEP_1)
	v_add_nc_u32_e32 v4, v4, v5
	v_mov_b32_dpp v5, v4 row_shr:4 row_mask:0xf bank_mask:0xf
	s_wait_alu 0xfffd
	s_delay_alu instid0(VALU_DEP_1) | instskip(NEXT) | instid1(VALU_DEP_1)
	v_cndmask_b32_e32 v5, 0, v5, vcc_lo
	v_add_nc_u32_e32 v4, v4, v5
	ds_store_b32 v42, v4
.LBB89_222:                             ;   in Loop: Header=BB89_12 Depth=1
	s_wait_alu 0xfffe
	s_or_b32 exec_lo, exec_lo, s12
	v_mov_b32_e32 v4, 0
	s_wait_loadcnt_dscnt 0x0
	s_barrier_signal -1
	s_barrier_wait -1
	global_inv scope:SCOPE_SE
	s_and_saveexec_b32 s12, s5
; %bb.223:                              ;   in Loop: Header=BB89_12 Depth=1
	ds_load_b32 v4, v43
; %bb.224:                              ;   in Loop: Header=BB89_12 Depth=1
	s_wait_alu 0xfffe
	s_or_b32 exec_lo, exec_lo, s12
	v_cmp_gt_i32_e32 vcc_lo, 0, v67
	s_wait_dscnt 0x0
	v_add_nc_u32_e32 v2, v4, v2
	s_wait_loadcnt 0x0
	s_barrier_signal -1
	s_barrier_wait -1
	s_wait_alu 0xfffd
	v_cndmask_b32_e32 v5, v67, v58, vcc_lo
	global_inv scope:SCOPE_SE
	v_lshlrev_b32_e32 v80, 2, v5
	ds_bpermute_b32 v2, v80, v2
	s_and_saveexec_b32 s12, s2
	s_cbranch_execz .LBB89_226
; %bb.225:                              ;   in Loop: Header=BB89_12 Depth=1
	s_wait_dscnt 0x0
	v_cndmask_b32_e64 v2, v2, v4, s8
	s_delay_alu instid0(VALU_DEP_1)
	v_add_nc_u32_e32 v2, s33, v2
	ds_store_b32 v28, v2
.LBB89_226:                             ;   in Loop: Header=BB89_12 Depth=1
	s_wait_alu 0xfffe
	s_or_b32 exec_lo, exec_lo, s12
	s_load_b64 s[12:13], s[28:29], 0x0
	v_add_co_u32 v81, vcc_lo, v50, v66
	s_wait_alu 0xfffd
	v_add_co_ci_u32_e64 v82, null, 0, v51, vcc_lo
	v_add_co_u32 v83, vcc_lo, v52, v58
	s_wait_alu 0xfffd
	v_add_co_ci_u32_e64 v84, null, 0, v53, vcc_lo
	s_mov_b32 s42, s47
                                        ; implicit-def: $vgpr6_vgpr7
                                        ; implicit-def: $vgpr8_vgpr9
                                        ; implicit-def: $vgpr10_vgpr11
                                        ; implicit-def: $vgpr12_vgpr13
                                        ; implicit-def: $vgpr14_vgpr15
                                        ; implicit-def: $vgpr16_vgpr17
                                        ; implicit-def: $vgpr18_vgpr19
                                        ; implicit-def: $vgpr86
                                        ; implicit-def: $vgpr87
                                        ; implicit-def: $vgpr88
                                        ; implicit-def: $vgpr89
                                        ; implicit-def: $vgpr90
                                        ; implicit-def: $vgpr91
                                        ; implicit-def: $vgpr92
                                        ; implicit-def: $vgpr93
	s_wait_kmcnt 0x0
	s_cmp_lt_u32 ttmp7, s13
	s_cselect_b32 s22, 14, 20
	s_cmp_lt_u32 ttmp9, s12
	s_wait_alu 0xfffe
	s_add_nc_u64 s[14:15], s[28:29], s[22:23]
	s_cselect_b32 s22, 12, 18
	s_load_u16 s14, s[14:15], 0x0
	s_add_nc_u64 s[12:13], s[28:29], s[22:23]
	s_mov_b32 s22, s33
	s_load_u16 s12, s[12:13], 0x0
	v_cmp_lt_u32_e64 s13, 1, v65
	s_wait_dscnt 0x0
	s_wait_kmcnt 0x0
	v_mad_u32_u24 v2, v44, s14, v0
	v_cmp_lt_u32_e64 s14, 3, v65
	s_delay_alu instid0(VALU_DEP_2) | instskip(SKIP_1) | instid1(VALU_DEP_2)
	v_mad_co_u64_u32 v[4:5], null, v2, s12, v[1:2]
	v_cmp_eq_u32_e64 s12, 0, v65
	v_lshrrev_b32_e32 v2, 3, v4
                                        ; implicit-def: $vgpr4_vgpr5
	s_delay_alu instid0(VALU_DEP_1)
	v_and_b32_e32 v85, 0x1ffffffc, v2
	s_branch .LBB89_228
.LBB89_227:                             ;   in Loop: Header=BB89_228 Depth=2
	s_wait_alu 0xfffe
	s_or_b32 exec_lo, exec_lo, s15
	s_addk_co_i32 s42, 0xf800
	s_cmp_lt_u32 s43, s34
	s_mov_b32 s22, s43
	s_cbranch_scc0 .LBB89_340
.LBB89_228:                             ;   Parent Loop BB89_12 Depth=1
                                        ; =>  This Inner Loop Header: Depth=2
	s_wait_alu 0xfffe
	s_add_co_i32 s43, s22, 0x800
	s_wait_alu 0xfffe
	s_cmp_gt_u32 s43, s34
	s_cbranch_scc1 .LBB89_230
; %bb.229:                              ;   in Loop: Header=BB89_228 Depth=2
	v_add_co_u32 v20, vcc_lo, v83, s22
	s_wait_alu 0xfffd
	v_add_co_ci_u32_e64 v21, null, 0, v84, vcc_lo
	s_mov_b32 s15, -1
	s_clause 0x6
	global_load_u8 v23, v[20:21], off offset:192
	global_load_u8 v24, v[20:21], off offset:160
	;; [unrolled: 1-line block ×6, first 2 shown]
	global_load_u8 v94, v[20:21], off
	s_movk_i32 s16, 0x800
                                        ; implicit-def: $vgpr22
	s_cbranch_execz .LBB89_231
	s_branch .LBB89_241
.LBB89_230:                             ;   in Loop: Header=BB89_228 Depth=2
	s_mov_b32 s15, 0
                                        ; implicit-def: $vgpr94
                                        ; implicit-def: $vgpr96
                                        ; implicit-def: $vgpr27
                                        ; implicit-def: $vgpr26
                                        ; implicit-def: $vgpr25
                                        ; implicit-def: $vgpr24
                                        ; implicit-def: $vgpr23
	s_movk_i32 s16, 0x800
                                        ; implicit-def: $vgpr22
.LBB89_231:                             ;   in Loop: Header=BB89_228 Depth=2
	v_add_co_u32 v20, vcc_lo, v83, s22
	s_wait_alu 0xfffd
	v_add_co_ci_u32_e64 v21, null, 0, v84, vcc_lo
	s_wait_loadcnt 0x0
	v_dual_mov_b32 v27, 0 :: v_dual_mov_b32 v94, 0
	v_dual_mov_b32 v26, 0 :: v_dual_mov_b32 v25, 0
	;; [unrolled: 1-line block ×3, first 2 shown]
	v_mov_b32_e32 v22, 0
	s_mov_b32 s15, exec_lo
	v_cmpx_gt_u32_e64 s42, v68
	s_cbranch_execz .LBB89_233
; %bb.232:                              ;   in Loop: Header=BB89_228 Depth=2
	global_load_u8 v94, v[20:21], off
	v_dual_mov_b32 v26, 0 :: v_dual_mov_b32 v25, 0
	v_dual_mov_b32 v24, 0 :: v_dual_mov_b32 v23, 0
	v_mov_b32_e32 v22, 0
.LBB89_233:                             ;   in Loop: Header=BB89_228 Depth=2
	s_wait_alu 0xfffe
	s_or_b32 exec_lo, exec_lo, s15
	v_mov_b32_e32 v96, v27
	s_mov_b32 s15, exec_lo
	v_cmpx_gt_u32_e64 s42, v71
	s_cbranch_execnz .LBB89_335
; %bb.234:                              ;   in Loop: Header=BB89_228 Depth=2
	s_wait_alu 0xfffe
	s_or_b32 exec_lo, exec_lo, s15
	s_delay_alu instid0(SALU_CYCLE_1)
	s_mov_b32 s15, exec_lo
	v_cmpx_gt_u32_e64 s42, v72
	s_cbranch_execnz .LBB89_336
.LBB89_235:                             ;   in Loop: Header=BB89_228 Depth=2
	s_wait_alu 0xfffe
	s_or_b32 exec_lo, exec_lo, s15
	s_delay_alu instid0(SALU_CYCLE_1)
	s_mov_b32 s15, exec_lo
	v_cmpx_gt_u32_e64 s42, v73
	s_cbranch_execnz .LBB89_337
.LBB89_236:                             ;   in Loop: Header=BB89_228 Depth=2
	s_wait_alu 0xfffe
	s_or_b32 exec_lo, exec_lo, s15
	s_delay_alu instid0(SALU_CYCLE_1)
	s_mov_b32 s15, exec_lo
	v_cmpx_gt_u32_e64 s42, v74
	s_cbranch_execnz .LBB89_338
.LBB89_237:                             ;   in Loop: Header=BB89_228 Depth=2
	s_wait_alu 0xfffe
	s_or_b32 exec_lo, exec_lo, s15
	s_delay_alu instid0(SALU_CYCLE_1)
	s_mov_b32 s15, exec_lo
	v_cmpx_gt_u32_e64 s42, v75
	s_cbranch_execnz .LBB89_339
.LBB89_238:                             ;   in Loop: Header=BB89_228 Depth=2
	s_wait_alu 0xfffe
	s_or_b32 exec_lo, exec_lo, s15
	s_delay_alu instid0(SALU_CYCLE_1)
	s_mov_b32 s15, exec_lo
	v_cmpx_gt_u32_e64 s42, v76
	s_cbranch_execz .LBB89_240
.LBB89_239:                             ;   in Loop: Header=BB89_228 Depth=2
	global_load_u8 v23, v[20:21], off offset:192
.LBB89_240:                             ;   in Loop: Header=BB89_228 Depth=2
	s_wait_alu 0xfffe
	s_or_b32 exec_lo, exec_lo, s15
	v_cmp_gt_u32_e64 s15, s42, v77
	s_sub_co_i32 s16, s34, s22
.LBB89_241:                             ;   in Loop: Header=BB89_228 Depth=2
	v_mov_b32_e32 v2, s42
	s_wait_alu 0xfffe
	s_and_saveexec_b32 s17, s15
	s_cbranch_execz .LBB89_243
; %bb.242:                              ;   in Loop: Header=BB89_228 Depth=2
	v_add_co_u32 v20, vcc_lo, v83, s22
	s_wait_alu 0xfffd
	v_add_co_ci_u32_e64 v21, null, s23, v84, vcc_lo
	v_mov_b32_e32 v2, s16
	global_load_u8 v22, v[20:21], off offset:224
.LBB89_243:                             ;   in Loop: Header=BB89_228 Depth=2
	s_wait_alu 0xfffe
	s_or_b32 exec_lo, exec_lo, s17
	s_wait_loadcnt 0x0
	v_xor_b32_e32 v94, -1, v94
	s_delay_alu instid0(VALU_DEP_1) | instskip(NEXT) | instid1(VALU_DEP_1)
	v_and_b32_e32 v20, 0xff, v94
	v_lshrrev_b32_e32 v20, s30, v20
	s_delay_alu instid0(VALU_DEP_1) | instskip(NEXT) | instid1(VALU_DEP_1)
	v_and_b32_e32 v21, s31, v20
	v_and_b32_e32 v20, 1, v21
	v_lshlrev_b32_e32 v95, 30, v21
	v_lshlrev_b32_e32 v97, 29, v21
	;; [unrolled: 1-line block ×4, first 2 shown]
	v_add_co_u32 v20, s15, v20, -1
	s_wait_alu 0xf1ff
	v_cndmask_b32_e64 v99, 0, 1, s15
	v_not_b32_e32 v103, v95
	v_cmp_gt_i32_e64 s15, 0, v95
	v_not_b32_e32 v95, v97
	v_lshlrev_b32_e32 v101, 26, v21
	v_cmp_ne_u32_e32 vcc_lo, 0, v99
	v_ashrrev_i32_e32 v103, 31, v103
	v_lshlrev_b32_e32 v102, 25, v21
	v_ashrrev_i32_e32 v95, 31, v95
	v_lshlrev_b32_e32 v99, 24, v21
	s_wait_alu 0xfffd
	v_xor_b32_e32 v20, vcc_lo, v20
	v_cmp_gt_i32_e32 vcc_lo, 0, v97
	v_not_b32_e32 v97, v98
	s_wait_alu 0xf1ff
	v_xor_b32_e32 v103, s15, v103
	v_cmp_gt_i32_e64 s15, 0, v98
	v_and_b32_e32 v20, exec_lo, v20
	v_not_b32_e32 v98, v100
	v_ashrrev_i32_e32 v97, 31, v97
	s_wait_alu 0xfffd
	v_xor_b32_e32 v95, vcc_lo, v95
	v_cmp_gt_i32_e32 vcc_lo, 0, v100
	v_and_b32_e32 v20, v20, v103
	v_not_b32_e32 v100, v101
	v_ashrrev_i32_e32 v98, 31, v98
	s_wait_alu 0xf1ff
	v_xor_b32_e32 v97, s15, v97
	v_cmp_gt_i32_e64 s15, 0, v101
	v_and_b32_e32 v20, v20, v95
	v_not_b32_e32 v95, v102
	v_ashrrev_i32_e32 v100, 31, v100
	s_wait_alu 0xfffd
	v_xor_b32_e32 v98, vcc_lo, v98
	v_cmp_gt_i32_e32 vcc_lo, 0, v102
	v_and_b32_e32 v20, v20, v97
	v_not_b32_e32 v97, v99
	v_ashrrev_i32_e32 v95, 31, v95
	s_wait_alu 0xf1ff
	v_xor_b32_e32 v100, s15, v100
	v_cmp_gt_i32_e64 s15, 0, v99
	v_and_b32_e32 v20, v20, v98
	v_ashrrev_i32_e32 v97, 31, v97
	s_wait_alu 0xfffd
	v_xor_b32_e32 v95, vcc_lo, v95
	v_mul_u32_u24_e32 v21, 36, v21
	v_add_nc_u32_e32 v99, 0x428, v45
	v_and_b32_e32 v20, v20, v100
	s_wait_alu 0xf1ff
	v_xor_b32_e32 v98, s15, v97
	v_add_nc_u32_e32 v97, 0x438, v45
	v_add_nc_u32_e32 v100, 0x430, v45
	;; [unrolled: 1-line block ×3, first 2 shown]
	v_and_b32_e32 v20, v20, v95
	ds_store_2addr_b32 v97, v3, v3 offset1:1
	v_and_b32_e32 v20, v20, v98
	v_add_nc_u32_e32 v98, 0x420, v45
	ds_store_2addr_b32 v98, v3, v3 offset1:1
	ds_store_2addr_b32 v99, v3, v3 offset1:1
	;; [unrolled: 1-line block ×3, first 2 shown]
	ds_store_b32 v45, v3 offset:1088
	v_mbcnt_lo_u32_b32 v95, v20, 0
	v_cmp_ne_u32_e64 s15, 0, v20
	s_wait_dscnt 0x0
	s_barrier_signal -1
	s_barrier_wait -1
	v_cmp_eq_u32_e32 vcc_lo, 0, v95
	global_inv scope:SCOPE_SE
	; wave barrier
	s_and_b32 s16, s15, vcc_lo
	s_wait_alu 0xfffe
	s_and_saveexec_b32 s15, s16
; %bb.244:                              ;   in Loop: Header=BB89_228 Depth=2
	v_bcnt_u32_b32 v20, v20, 0
	ds_store_b32 v101, v20 offset:1056
; %bb.245:                              ;   in Loop: Header=BB89_228 Depth=2
	s_wait_alu 0xfffe
	s_or_b32 exec_lo, exec_lo, s15
	v_xor_b32_e32 v96, -1, v96
	; wave barrier
	s_delay_alu instid0(VALU_DEP_1) | instskip(NEXT) | instid1(VALU_DEP_1)
	v_and_b32_e32 v20, 0xff, v96
	v_lshrrev_b32_e32 v20, s30, v20
	s_delay_alu instid0(VALU_DEP_1) | instskip(NEXT) | instid1(VALU_DEP_1)
	v_and_b32_e32 v21, s31, v20
	v_and_b32_e32 v20, 1, v21
	v_lshlrev_b32_e32 v102, 30, v21
	v_lshlrev_b32_e32 v103, 29, v21
	;; [unrolled: 1-line block ×4, first 2 shown]
	v_add_co_u32 v20, s15, v20, -1
	s_wait_alu 0xf1ff
	v_cndmask_b32_e64 v105, 0, 1, s15
	v_not_b32_e32 v109, v102
	v_cmp_gt_i32_e64 s15, 0, v102
	v_not_b32_e32 v102, v103
	v_lshlrev_b32_e32 v107, 26, v21
	v_cmp_ne_u32_e32 vcc_lo, 0, v105
	v_ashrrev_i32_e32 v109, 31, v109
	v_lshlrev_b32_e32 v108, 25, v21
	v_ashrrev_i32_e32 v102, 31, v102
	v_lshlrev_b32_e32 v105, 24, v21
	s_wait_alu 0xfffd
	v_xor_b32_e32 v20, vcc_lo, v20
	v_cmp_gt_i32_e32 vcc_lo, 0, v103
	v_not_b32_e32 v103, v104
	s_wait_alu 0xf1ff
	v_xor_b32_e32 v109, s15, v109
	v_cmp_gt_i32_e64 s15, 0, v104
	v_and_b32_e32 v20, exec_lo, v20
	v_not_b32_e32 v104, v106
	v_ashrrev_i32_e32 v103, 31, v103
	s_wait_alu 0xfffd
	v_xor_b32_e32 v102, vcc_lo, v102
	v_cmp_gt_i32_e32 vcc_lo, 0, v106
	v_and_b32_e32 v20, v20, v109
	v_not_b32_e32 v106, v107
	v_ashrrev_i32_e32 v104, 31, v104
	s_wait_alu 0xf1ff
	v_xor_b32_e32 v103, s15, v103
	v_cmp_gt_i32_e64 s15, 0, v107
	v_and_b32_e32 v20, v20, v102
	v_not_b32_e32 v102, v108
	v_ashrrev_i32_e32 v106, 31, v106
	s_wait_alu 0xfffd
	v_xor_b32_e32 v104, vcc_lo, v104
	v_cmp_gt_i32_e32 vcc_lo, 0, v108
	v_and_b32_e32 v20, v20, v103
	v_not_b32_e32 v103, v105
	v_ashrrev_i32_e32 v102, 31, v102
	s_wait_alu 0xf1ff
	v_xor_b32_e32 v106, s15, v106
	v_cmp_gt_i32_e64 s15, 0, v105
	v_and_b32_e32 v20, v20, v104
	v_ashrrev_i32_e32 v103, 31, v103
	s_wait_alu 0xfffd
	v_xor_b32_e32 v102, vcc_lo, v102
	v_mad_u32_u24 v104, v21, 36, v85
	v_mul_u32_u24_e32 v21, 36, v21
	v_and_b32_e32 v20, v20, v106
	s_wait_alu 0xf1ff
	v_xor_b32_e32 v103, s15, v103
	s_delay_alu instid0(VALU_DEP_3) | instskip(NEXT) | instid1(VALU_DEP_3)
	v_add_nc_u32_e32 v105, v85, v21
	v_and_b32_e32 v20, v20, v102
	ds_load_b32 v102, v104 offset:1056
	; wave barrier
	v_and_b32_e32 v20, v20, v103
	s_delay_alu instid0(VALU_DEP_1) | instskip(SKIP_1) | instid1(VALU_DEP_2)
	v_mbcnt_lo_u32_b32 v103, v20, 0
	v_cmp_ne_u32_e64 s15, 0, v20
	v_cmp_eq_u32_e32 vcc_lo, 0, v103
	s_and_b32 s16, s15, vcc_lo
	s_wait_alu 0xfffe
	s_and_saveexec_b32 s15, s16
	s_cbranch_execz .LBB89_247
; %bb.246:                              ;   in Loop: Header=BB89_228 Depth=2
	s_wait_dscnt 0x0
	v_bcnt_u32_b32 v20, v20, v102
	ds_store_b32 v105, v20 offset:1056
.LBB89_247:                             ;   in Loop: Header=BB89_228 Depth=2
	s_wait_alu 0xfffe
	s_or_b32 exec_lo, exec_lo, s15
	v_xor_b32_e32 v104, -1, v27
	; wave barrier
	s_delay_alu instid0(VALU_DEP_1) | instskip(NEXT) | instid1(VALU_DEP_1)
	v_and_b32_e32 v20, 0xff, v104
	v_lshrrev_b32_e32 v20, s30, v20
	s_delay_alu instid0(VALU_DEP_1) | instskip(NEXT) | instid1(VALU_DEP_1)
	v_and_b32_e32 v21, s31, v20
	v_and_b32_e32 v20, 1, v21
	v_lshlrev_b32_e32 v27, 30, v21
	v_lshlrev_b32_e32 v106, 29, v21
	;; [unrolled: 1-line block ×4, first 2 shown]
	v_add_co_u32 v20, s15, v20, -1
	s_wait_alu 0xf1ff
	v_cndmask_b32_e64 v108, 0, 1, s15
	v_not_b32_e32 v112, v27
	v_cmp_gt_i32_e64 s15, 0, v27
	v_not_b32_e32 v27, v106
	v_lshlrev_b32_e32 v110, 26, v21
	v_cmp_ne_u32_e32 vcc_lo, 0, v108
	v_ashrrev_i32_e32 v112, 31, v112
	v_lshlrev_b32_e32 v111, 25, v21
	v_ashrrev_i32_e32 v27, 31, v27
	v_lshlrev_b32_e32 v108, 24, v21
	s_wait_alu 0xfffd
	v_xor_b32_e32 v20, vcc_lo, v20
	v_cmp_gt_i32_e32 vcc_lo, 0, v106
	v_not_b32_e32 v106, v107
	s_wait_alu 0xf1ff
	v_xor_b32_e32 v112, s15, v112
	v_cmp_gt_i32_e64 s15, 0, v107
	v_and_b32_e32 v20, exec_lo, v20
	v_not_b32_e32 v107, v109
	v_ashrrev_i32_e32 v106, 31, v106
	s_wait_alu 0xfffd
	v_xor_b32_e32 v27, vcc_lo, v27
	v_cmp_gt_i32_e32 vcc_lo, 0, v109
	v_and_b32_e32 v20, v20, v112
	v_not_b32_e32 v109, v110
	v_ashrrev_i32_e32 v107, 31, v107
	s_wait_alu 0xf1ff
	v_xor_b32_e32 v106, s15, v106
	v_cmp_gt_i32_e64 s15, 0, v110
	v_and_b32_e32 v20, v20, v27
	v_not_b32_e32 v27, v111
	v_ashrrev_i32_e32 v109, 31, v109
	s_wait_alu 0xfffd
	v_xor_b32_e32 v107, vcc_lo, v107
	v_cmp_gt_i32_e32 vcc_lo, 0, v111
	v_and_b32_e32 v20, v20, v106
	v_not_b32_e32 v106, v108
	v_ashrrev_i32_e32 v27, 31, v27
	s_wait_alu 0xf1ff
	v_xor_b32_e32 v109, s15, v109
	v_cmp_gt_i32_e64 s15, 0, v108
	v_and_b32_e32 v20, v20, v107
	v_ashrrev_i32_e32 v106, 31, v106
	s_wait_alu 0xfffd
	v_xor_b32_e32 v27, vcc_lo, v27
	v_mad_u32_u24 v107, v21, 36, v85
	v_mul_u32_u24_e32 v21, 36, v21
	v_and_b32_e32 v20, v20, v109
	s_wait_alu 0xf1ff
	v_xor_b32_e32 v108, s15, v106
	ds_load_b32 v106, v107 offset:1056
	v_add_nc_u32_e32 v109, v85, v21
	v_and_b32_e32 v20, v20, v27
	; wave barrier
	s_delay_alu instid0(VALU_DEP_1) | instskip(NEXT) | instid1(VALU_DEP_1)
	v_and_b32_e32 v20, v20, v108
	v_mbcnt_lo_u32_b32 v107, v20, 0
	v_cmp_ne_u32_e64 s15, 0, v20
	s_delay_alu instid0(VALU_DEP_2)
	v_cmp_eq_u32_e32 vcc_lo, 0, v107
	s_and_b32 s16, s15, vcc_lo
	s_wait_alu 0xfffe
	s_and_saveexec_b32 s15, s16
	s_cbranch_execz .LBB89_249
; %bb.248:                              ;   in Loop: Header=BB89_228 Depth=2
	s_wait_dscnt 0x0
	v_bcnt_u32_b32 v20, v20, v106
	ds_store_b32 v109, v20 offset:1056
.LBB89_249:                             ;   in Loop: Header=BB89_228 Depth=2
	s_wait_alu 0xfffe
	s_or_b32 exec_lo, exec_lo, s15
	v_xor_b32_e32 v108, -1, v26
	; wave barrier
	s_delay_alu instid0(VALU_DEP_1) | instskip(NEXT) | instid1(VALU_DEP_1)
	v_and_b32_e32 v20, 0xff, v108
	v_lshrrev_b32_e32 v20, s30, v20
	s_delay_alu instid0(VALU_DEP_1) | instskip(NEXT) | instid1(VALU_DEP_1)
	v_and_b32_e32 v21, s31, v20
	v_and_b32_e32 v20, 1, v21
	v_lshlrev_b32_e32 v26, 30, v21
	v_lshlrev_b32_e32 v27, 29, v21
	;; [unrolled: 1-line block ×4, first 2 shown]
	v_add_co_u32 v20, s15, v20, -1
	s_wait_alu 0xf1ff
	v_cndmask_b32_e64 v111, 0, 1, s15
	v_not_b32_e32 v115, v26
	v_cmp_gt_i32_e64 s15, 0, v26
	v_not_b32_e32 v26, v27
	v_lshlrev_b32_e32 v113, 26, v21
	v_cmp_ne_u32_e32 vcc_lo, 0, v111
	v_ashrrev_i32_e32 v115, 31, v115
	v_lshlrev_b32_e32 v114, 25, v21
	v_ashrrev_i32_e32 v26, 31, v26
	v_lshlrev_b32_e32 v111, 24, v21
	s_wait_alu 0xfffd
	v_xor_b32_e32 v20, vcc_lo, v20
	v_cmp_gt_i32_e32 vcc_lo, 0, v27
	v_not_b32_e32 v27, v110
	s_wait_alu 0xf1ff
	v_xor_b32_e32 v115, s15, v115
	v_cmp_gt_i32_e64 s15, 0, v110
	v_and_b32_e32 v20, exec_lo, v20
	v_not_b32_e32 v110, v112
	v_ashrrev_i32_e32 v27, 31, v27
	s_wait_alu 0xfffd
	v_xor_b32_e32 v26, vcc_lo, v26
	v_cmp_gt_i32_e32 vcc_lo, 0, v112
	v_and_b32_e32 v20, v20, v115
	v_not_b32_e32 v112, v113
	v_ashrrev_i32_e32 v110, 31, v110
	s_wait_alu 0xf1ff
	v_xor_b32_e32 v27, s15, v27
	v_cmp_gt_i32_e64 s15, 0, v113
	v_and_b32_e32 v20, v20, v26
	v_not_b32_e32 v26, v114
	v_ashrrev_i32_e32 v112, 31, v112
	s_wait_alu 0xfffd
	v_xor_b32_e32 v110, vcc_lo, v110
	v_cmp_gt_i32_e32 vcc_lo, 0, v114
	v_and_b32_e32 v20, v20, v27
	v_not_b32_e32 v27, v111
	v_ashrrev_i32_e32 v26, 31, v26
	s_wait_alu 0xf1ff
	v_xor_b32_e32 v112, s15, v112
	v_cmp_gt_i32_e64 s15, 0, v111
	v_and_b32_e32 v20, v20, v110
	v_ashrrev_i32_e32 v27, 31, v27
	s_wait_alu 0xfffd
	v_xor_b32_e32 v26, vcc_lo, v26
	v_mad_u32_u24 v110, v21, 36, v85
	v_mul_u32_u24_e32 v21, 36, v21
	v_and_b32_e32 v20, v20, v112
	s_wait_alu 0xf1ff
	v_xor_b32_e32 v27, s15, v27
	ds_load_b32 v110, v110 offset:1056
	v_add_nc_u32_e32 v113, v85, v21
	v_and_b32_e32 v20, v20, v26
	; wave barrier
	s_delay_alu instid0(VALU_DEP_1) | instskip(NEXT) | instid1(VALU_DEP_1)
	v_and_b32_e32 v20, v20, v27
	v_mbcnt_lo_u32_b32 v111, v20, 0
	v_cmp_ne_u32_e64 s15, 0, v20
	s_delay_alu instid0(VALU_DEP_2)
	v_cmp_eq_u32_e32 vcc_lo, 0, v111
	s_and_b32 s16, s15, vcc_lo
	s_wait_alu 0xfffe
	s_and_saveexec_b32 s15, s16
	s_cbranch_execz .LBB89_251
; %bb.250:                              ;   in Loop: Header=BB89_228 Depth=2
	s_wait_dscnt 0x0
	v_bcnt_u32_b32 v20, v20, v110
	ds_store_b32 v113, v20 offset:1056
.LBB89_251:                             ;   in Loop: Header=BB89_228 Depth=2
	s_wait_alu 0xfffe
	s_or_b32 exec_lo, exec_lo, s15
	v_xor_b32_e32 v112, -1, v25
	; wave barrier
	s_delay_alu instid0(VALU_DEP_1) | instskip(NEXT) | instid1(VALU_DEP_1)
	v_and_b32_e32 v20, 0xff, v112
	v_lshrrev_b32_e32 v20, s30, v20
	s_delay_alu instid0(VALU_DEP_1) | instskip(NEXT) | instid1(VALU_DEP_1)
	v_and_b32_e32 v21, s31, v20
	v_and_b32_e32 v20, 1, v21
	v_lshlrev_b32_e32 v25, 30, v21
	v_lshlrev_b32_e32 v26, 29, v21
	;; [unrolled: 1-line block ×4, first 2 shown]
	v_add_co_u32 v20, s15, v20, -1
	s_wait_alu 0xf1ff
	v_cndmask_b32_e64 v114, 0, 1, s15
	v_not_b32_e32 v118, v25
	v_cmp_gt_i32_e64 s15, 0, v25
	v_not_b32_e32 v25, v26
	v_lshlrev_b32_e32 v116, 26, v21
	v_cmp_ne_u32_e32 vcc_lo, 0, v114
	v_ashrrev_i32_e32 v118, 31, v118
	v_lshlrev_b32_e32 v117, 25, v21
	v_ashrrev_i32_e32 v25, 31, v25
	v_lshlrev_b32_e32 v114, 24, v21
	s_wait_alu 0xfffd
	v_xor_b32_e32 v20, vcc_lo, v20
	v_cmp_gt_i32_e32 vcc_lo, 0, v26
	v_not_b32_e32 v26, v27
	s_wait_alu 0xf1ff
	v_xor_b32_e32 v118, s15, v118
	v_cmp_gt_i32_e64 s15, 0, v27
	v_and_b32_e32 v20, exec_lo, v20
	v_not_b32_e32 v27, v115
	v_ashrrev_i32_e32 v26, 31, v26
	s_wait_alu 0xfffd
	v_xor_b32_e32 v25, vcc_lo, v25
	v_cmp_gt_i32_e32 vcc_lo, 0, v115
	v_and_b32_e32 v20, v20, v118
	v_not_b32_e32 v115, v116
	v_ashrrev_i32_e32 v27, 31, v27
	s_wait_alu 0xf1ff
	v_xor_b32_e32 v26, s15, v26
	v_cmp_gt_i32_e64 s15, 0, v116
	v_and_b32_e32 v20, v20, v25
	v_not_b32_e32 v25, v117
	v_ashrrev_i32_e32 v115, 31, v115
	s_wait_alu 0xfffd
	v_xor_b32_e32 v27, vcc_lo, v27
	v_cmp_gt_i32_e32 vcc_lo, 0, v117
	v_and_b32_e32 v20, v20, v26
	v_not_b32_e32 v26, v114
	v_ashrrev_i32_e32 v25, 31, v25
	s_wait_alu 0xf1ff
	v_xor_b32_e32 v115, s15, v115
	v_cmp_gt_i32_e64 s15, 0, v114
	v_and_b32_e32 v20, v20, v27
	v_ashrrev_i32_e32 v26, 31, v26
	s_wait_alu 0xfffd
	v_xor_b32_e32 v25, vcc_lo, v25
	v_mad_u32_u24 v27, v21, 36, v85
	v_mul_u32_u24_e32 v21, 36, v21
	v_and_b32_e32 v20, v20, v115
	s_wait_alu 0xf1ff
	v_xor_b32_e32 v26, s15, v26
	ds_load_b32 v114, v27 offset:1056
	v_add_nc_u32_e32 v117, v85, v21
	v_and_b32_e32 v20, v20, v25
	; wave barrier
	s_delay_alu instid0(VALU_DEP_1) | instskip(NEXT) | instid1(VALU_DEP_1)
	v_and_b32_e32 v20, v20, v26
	v_mbcnt_lo_u32_b32 v115, v20, 0
	v_cmp_ne_u32_e64 s15, 0, v20
	s_delay_alu instid0(VALU_DEP_2)
	v_cmp_eq_u32_e32 vcc_lo, 0, v115
	s_and_b32 s16, s15, vcc_lo
	s_wait_alu 0xfffe
	s_and_saveexec_b32 s15, s16
	s_cbranch_execz .LBB89_253
; %bb.252:                              ;   in Loop: Header=BB89_228 Depth=2
	s_wait_dscnt 0x0
	v_bcnt_u32_b32 v20, v20, v114
	ds_store_b32 v117, v20 offset:1056
.LBB89_253:                             ;   in Loop: Header=BB89_228 Depth=2
	s_wait_alu 0xfffe
	s_or_b32 exec_lo, exec_lo, s15
	v_xor_b32_e32 v116, -1, v24
	; wave barrier
	s_delay_alu instid0(VALU_DEP_1) | instskip(NEXT) | instid1(VALU_DEP_1)
	v_and_b32_e32 v20, 0xff, v116
	v_lshrrev_b32_e32 v20, s30, v20
	s_delay_alu instid0(VALU_DEP_1) | instskip(NEXT) | instid1(VALU_DEP_1)
	v_and_b32_e32 v21, s31, v20
	v_and_b32_e32 v20, 1, v21
	v_lshlrev_b32_e32 v24, 30, v21
	v_lshlrev_b32_e32 v25, 29, v21
	;; [unrolled: 1-line block ×4, first 2 shown]
	v_add_co_u32 v20, s15, v20, -1
	s_wait_alu 0xf1ff
	v_cndmask_b32_e64 v27, 0, 1, s15
	v_not_b32_e32 v121, v24
	v_cmp_gt_i32_e64 s15, 0, v24
	v_not_b32_e32 v24, v25
	v_lshlrev_b32_e32 v119, 26, v21
	v_cmp_ne_u32_e32 vcc_lo, 0, v27
	v_ashrrev_i32_e32 v121, 31, v121
	v_lshlrev_b32_e32 v120, 25, v21
	v_ashrrev_i32_e32 v24, 31, v24
	v_lshlrev_b32_e32 v27, 24, v21
	s_wait_alu 0xfffd
	v_xor_b32_e32 v20, vcc_lo, v20
	v_cmp_gt_i32_e32 vcc_lo, 0, v25
	v_not_b32_e32 v25, v26
	s_wait_alu 0xf1ff
	v_xor_b32_e32 v121, s15, v121
	v_cmp_gt_i32_e64 s15, 0, v26
	v_and_b32_e32 v20, exec_lo, v20
	v_not_b32_e32 v26, v118
	v_ashrrev_i32_e32 v25, 31, v25
	s_wait_alu 0xfffd
	v_xor_b32_e32 v24, vcc_lo, v24
	v_cmp_gt_i32_e32 vcc_lo, 0, v118
	v_and_b32_e32 v20, v20, v121
	v_not_b32_e32 v118, v119
	v_ashrrev_i32_e32 v26, 31, v26
	s_wait_alu 0xf1ff
	v_xor_b32_e32 v25, s15, v25
	v_cmp_gt_i32_e64 s15, 0, v119
	v_and_b32_e32 v20, v20, v24
	v_not_b32_e32 v24, v120
	v_ashrrev_i32_e32 v118, 31, v118
	s_wait_alu 0xfffd
	v_xor_b32_e32 v26, vcc_lo, v26
	v_cmp_gt_i32_e32 vcc_lo, 0, v120
	v_and_b32_e32 v20, v20, v25
	v_not_b32_e32 v25, v27
	v_ashrrev_i32_e32 v24, 31, v24
	s_wait_alu 0xf1ff
	v_xor_b32_e32 v118, s15, v118
	v_cmp_gt_i32_e64 s15, 0, v27
	v_and_b32_e32 v20, v20, v26
	v_ashrrev_i32_e32 v25, 31, v25
	s_wait_alu 0xfffd
	v_xor_b32_e32 v24, vcc_lo, v24
	v_mad_u32_u24 v26, v21, 36, v85
	v_mul_u32_u24_e32 v21, 36, v21
	v_and_b32_e32 v20, v20, v118
	s_wait_alu 0xf1ff
	v_xor_b32_e32 v25, s15, v25
	ds_load_b32 v118, v26 offset:1056
	v_add_nc_u32_e32 v121, v85, v21
	v_and_b32_e32 v20, v20, v24
	; wave barrier
	s_delay_alu instid0(VALU_DEP_1) | instskip(NEXT) | instid1(VALU_DEP_1)
	v_and_b32_e32 v20, v20, v25
	v_mbcnt_lo_u32_b32 v119, v20, 0
	v_cmp_ne_u32_e64 s15, 0, v20
	s_delay_alu instid0(VALU_DEP_2)
	v_cmp_eq_u32_e32 vcc_lo, 0, v119
	s_and_b32 s16, s15, vcc_lo
	s_wait_alu 0xfffe
	s_and_saveexec_b32 s15, s16
	s_cbranch_execz .LBB89_255
; %bb.254:                              ;   in Loop: Header=BB89_228 Depth=2
	s_wait_dscnt 0x0
	v_bcnt_u32_b32 v20, v20, v118
	ds_store_b32 v121, v20 offset:1056
.LBB89_255:                             ;   in Loop: Header=BB89_228 Depth=2
	s_wait_alu 0xfffe
	s_or_b32 exec_lo, exec_lo, s15
	v_xor_b32_e32 v120, -1, v23
	; wave barrier
	s_delay_alu instid0(VALU_DEP_1) | instskip(NEXT) | instid1(VALU_DEP_1)
	v_and_b32_e32 v20, 0xff, v120
	v_lshrrev_b32_e32 v20, s30, v20
	s_delay_alu instid0(VALU_DEP_1) | instskip(NEXT) | instid1(VALU_DEP_1)
	v_and_b32_e32 v21, s31, v20
	v_and_b32_e32 v20, 1, v21
	v_lshlrev_b32_e32 v23, 30, v21
	v_lshlrev_b32_e32 v24, 29, v21
	;; [unrolled: 1-line block ×4, first 2 shown]
	v_add_co_u32 v20, s15, v20, -1
	s_wait_alu 0xf1ff
	v_cndmask_b32_e64 v26, 0, 1, s15
	v_not_b32_e32 v124, v23
	v_cmp_gt_i32_e64 s15, 0, v23
	v_not_b32_e32 v23, v24
	v_lshlrev_b32_e32 v122, 26, v21
	v_cmp_ne_u32_e32 vcc_lo, 0, v26
	v_ashrrev_i32_e32 v124, 31, v124
	v_lshlrev_b32_e32 v123, 25, v21
	v_ashrrev_i32_e32 v23, 31, v23
	v_lshlrev_b32_e32 v26, 24, v21
	s_wait_alu 0xfffd
	v_xor_b32_e32 v20, vcc_lo, v20
	v_cmp_gt_i32_e32 vcc_lo, 0, v24
	v_not_b32_e32 v24, v25
	s_wait_alu 0xf1ff
	v_xor_b32_e32 v124, s15, v124
	v_cmp_gt_i32_e64 s15, 0, v25
	v_and_b32_e32 v20, exec_lo, v20
	v_not_b32_e32 v25, v27
	v_ashrrev_i32_e32 v24, 31, v24
	s_wait_alu 0xfffd
	v_xor_b32_e32 v23, vcc_lo, v23
	v_cmp_gt_i32_e32 vcc_lo, 0, v27
	v_and_b32_e32 v20, v20, v124
	v_not_b32_e32 v27, v122
	v_ashrrev_i32_e32 v25, 31, v25
	s_wait_alu 0xf1ff
	v_xor_b32_e32 v24, s15, v24
	v_cmp_gt_i32_e64 s15, 0, v122
	v_and_b32_e32 v20, v20, v23
	v_not_b32_e32 v23, v123
	v_ashrrev_i32_e32 v27, 31, v27
	s_wait_alu 0xfffd
	v_xor_b32_e32 v25, vcc_lo, v25
	v_cmp_gt_i32_e32 vcc_lo, 0, v123
	v_and_b32_e32 v20, v20, v24
	v_not_b32_e32 v24, v26
	v_ashrrev_i32_e32 v23, 31, v23
	s_wait_alu 0xf1ff
	v_xor_b32_e32 v27, s15, v27
	v_cmp_gt_i32_e64 s15, 0, v26
	v_and_b32_e32 v20, v20, v25
	v_ashrrev_i32_e32 v24, 31, v24
	s_wait_alu 0xfffd
	v_xor_b32_e32 v23, vcc_lo, v23
	v_mad_u32_u24 v25, v21, 36, v85
	v_mul_u32_u24_e32 v21, 36, v21
	v_and_b32_e32 v20, v20, v27
	s_wait_alu 0xf1ff
	v_xor_b32_e32 v24, s15, v24
	ds_load_b32 v122, v25 offset:1056
	v_add_nc_u32_e32 v125, v85, v21
	v_and_b32_e32 v20, v20, v23
	; wave barrier
	s_delay_alu instid0(VALU_DEP_1) | instskip(NEXT) | instid1(VALU_DEP_1)
	v_and_b32_e32 v20, v20, v24
	v_mbcnt_lo_u32_b32 v123, v20, 0
	v_cmp_ne_u32_e64 s15, 0, v20
	s_delay_alu instid0(VALU_DEP_2)
	v_cmp_eq_u32_e32 vcc_lo, 0, v123
	s_and_b32 s16, s15, vcc_lo
	s_wait_alu 0xfffe
	s_and_saveexec_b32 s15, s16
	s_cbranch_execz .LBB89_257
; %bb.256:                              ;   in Loop: Header=BB89_228 Depth=2
	s_wait_dscnt 0x0
	v_bcnt_u32_b32 v20, v20, v122
	ds_store_b32 v125, v20 offset:1056
.LBB89_257:                             ;   in Loop: Header=BB89_228 Depth=2
	s_wait_alu 0xfffe
	s_or_b32 exec_lo, exec_lo, s15
	v_xor_b32_e32 v124, -1, v22
	; wave barrier
	s_delay_alu instid0(VALU_DEP_1) | instskip(NEXT) | instid1(VALU_DEP_1)
	v_and_b32_e32 v20, 0xff, v124
	v_lshrrev_b32_e32 v20, s30, v20
	s_delay_alu instid0(VALU_DEP_1) | instskip(NEXT) | instid1(VALU_DEP_1)
	v_and_b32_e32 v21, s31, v20
	v_and_b32_e32 v20, 1, v21
	v_lshlrev_b32_e32 v22, 30, v21
	v_lshlrev_b32_e32 v23, 29, v21
	;; [unrolled: 1-line block ×4, first 2 shown]
	v_add_co_u32 v20, s15, v20, -1
	s_wait_alu 0xf1ff
	v_cndmask_b32_e64 v25, 0, 1, s15
	v_not_b32_e32 v127, v22
	v_cmp_gt_i32_e64 s15, 0, v22
	v_not_b32_e32 v22, v23
	v_lshlrev_b32_e32 v27, 26, v21
	v_cmp_ne_u32_e32 vcc_lo, 0, v25
	v_ashrrev_i32_e32 v127, 31, v127
	v_lshlrev_b32_e32 v126, 25, v21
	v_ashrrev_i32_e32 v22, 31, v22
	v_lshlrev_b32_e32 v25, 24, v21
	s_wait_alu 0xfffd
	v_xor_b32_e32 v20, vcc_lo, v20
	v_cmp_gt_i32_e32 vcc_lo, 0, v23
	v_not_b32_e32 v23, v24
	s_wait_alu 0xf1ff
	v_xor_b32_e32 v127, s15, v127
	v_cmp_gt_i32_e64 s15, 0, v24
	v_and_b32_e32 v20, exec_lo, v20
	v_not_b32_e32 v24, v26
	v_ashrrev_i32_e32 v23, 31, v23
	s_wait_alu 0xfffd
	v_xor_b32_e32 v22, vcc_lo, v22
	v_cmp_gt_i32_e32 vcc_lo, 0, v26
	v_and_b32_e32 v20, v20, v127
	v_not_b32_e32 v26, v27
	v_ashrrev_i32_e32 v24, 31, v24
	s_wait_alu 0xf1ff
	v_xor_b32_e32 v23, s15, v23
	v_cmp_gt_i32_e64 s15, 0, v27
	v_and_b32_e32 v20, v20, v22
	v_not_b32_e32 v22, v126
	v_ashrrev_i32_e32 v26, 31, v26
	s_wait_alu 0xfffd
	v_xor_b32_e32 v24, vcc_lo, v24
	v_cmp_gt_i32_e32 vcc_lo, 0, v126
	v_and_b32_e32 v20, v20, v23
	v_not_b32_e32 v23, v25
	v_ashrrev_i32_e32 v22, 31, v22
	s_wait_alu 0xf1ff
	v_xor_b32_e32 v26, s15, v26
	v_cmp_gt_i32_e64 s15, 0, v25
	v_and_b32_e32 v20, v20, v24
	v_ashrrev_i32_e32 v23, 31, v23
	s_wait_alu 0xfffd
	v_xor_b32_e32 v22, vcc_lo, v22
	v_mad_u32_u24 v24, v21, 36, v85
	v_mul_u32_u24_e32 v21, 36, v21
	v_and_b32_e32 v20, v20, v26
	s_wait_alu 0xf1ff
	v_xor_b32_e32 v23, s15, v23
	ds_load_b32 v126, v24 offset:1056
	v_add_nc_u32_e32 v128, v85, v21
	v_and_b32_e32 v20, v20, v22
	; wave barrier
	s_delay_alu instid0(VALU_DEP_1) | instskip(NEXT) | instid1(VALU_DEP_1)
	v_and_b32_e32 v20, v20, v23
	v_mbcnt_lo_u32_b32 v127, v20, 0
	v_cmp_ne_u32_e64 s15, 0, v20
	s_delay_alu instid0(VALU_DEP_2)
	v_cmp_eq_u32_e32 vcc_lo, 0, v127
	s_and_b32 s16, s15, vcc_lo
	s_wait_alu 0xfffe
	s_and_saveexec_b32 s15, s16
	s_cbranch_execz .LBB89_259
; %bb.258:                              ;   in Loop: Header=BB89_228 Depth=2
	s_wait_dscnt 0x0
	v_bcnt_u32_b32 v20, v20, v126
	ds_store_b32 v128, v20 offset:1056
.LBB89_259:                             ;   in Loop: Header=BB89_228 Depth=2
	s_wait_alu 0xfffe
	s_or_b32 exec_lo, exec_lo, s15
	; wave barrier
	s_wait_loadcnt_dscnt 0x0
	s_barrier_signal -1
	s_barrier_wait -1
	global_inv scope:SCOPE_SE
	ds_load_2addr_b32 v[26:27], v98 offset1:1
	ds_load_2addr_b32 v[24:25], v99 offset1:1
	;; [unrolled: 1-line block ×4, first 2 shown]
	ds_load_b32 v129, v45 offset:1088
	s_wait_dscnt 0x3
	v_add3_u32 v130, v27, v26, v24
	s_wait_dscnt 0x2
	s_delay_alu instid0(VALU_DEP_1) | instskip(SKIP_1) | instid1(VALU_DEP_1)
	v_add3_u32 v130, v130, v25, v22
	s_wait_dscnt 0x1
	v_add3_u32 v130, v130, v23, v20
	s_wait_dscnt 0x0
	s_delay_alu instid0(VALU_DEP_1) | instskip(NEXT) | instid1(VALU_DEP_1)
	v_add3_u32 v129, v130, v21, v129
	v_mov_b32_dpp v130, v129 row_shr:1 row_mask:0xf bank_mask:0xf
	s_delay_alu instid0(VALU_DEP_1) | instskip(NEXT) | instid1(VALU_DEP_1)
	v_cndmask_b32_e64 v130, v130, 0, s0
	v_add_nc_u32_e32 v129, v130, v129
	s_delay_alu instid0(VALU_DEP_1) | instskip(NEXT) | instid1(VALU_DEP_1)
	v_mov_b32_dpp v130, v129 row_shr:2 row_mask:0xf bank_mask:0xf
	v_cndmask_b32_e64 v130, 0, v130, s1
	s_delay_alu instid0(VALU_DEP_1) | instskip(NEXT) | instid1(VALU_DEP_1)
	v_add_nc_u32_e32 v129, v129, v130
	v_mov_b32_dpp v130, v129 row_shr:4 row_mask:0xf bank_mask:0xf
	s_delay_alu instid0(VALU_DEP_1) | instskip(NEXT) | instid1(VALU_DEP_1)
	v_cndmask_b32_e64 v130, 0, v130, s9
	v_add_nc_u32_e32 v129, v129, v130
	s_delay_alu instid0(VALU_DEP_1) | instskip(NEXT) | instid1(VALU_DEP_1)
	v_mov_b32_dpp v130, v129 row_shr:8 row_mask:0xf bank_mask:0xf
	v_cndmask_b32_e64 v130, 0, v130, s10
	s_delay_alu instid0(VALU_DEP_1) | instskip(SKIP_3) | instid1(VALU_DEP_1)
	v_add_nc_u32_e32 v129, v129, v130
	ds_swizzle_b32 v130, v129 offset:swizzle(BROADCAST,32,15)
	s_wait_dscnt 0x0
	v_cndmask_b32_e64 v130, v130, 0, s11
	v_add_nc_u32_e32 v129, v129, v130
	s_and_saveexec_b32 s15, s3
; %bb.260:                              ;   in Loop: Header=BB89_228 Depth=2
	ds_store_b32 v38, v129 offset:1024
; %bb.261:                              ;   in Loop: Header=BB89_228 Depth=2
	s_wait_alu 0xfffe
	s_or_b32 exec_lo, exec_lo, s15
	s_wait_loadcnt_dscnt 0x0
	s_barrier_signal -1
	s_barrier_wait -1
	global_inv scope:SCOPE_SE
	s_and_saveexec_b32 s15, s4
	s_cbranch_execz .LBB89_263
; %bb.262:                              ;   in Loop: Header=BB89_228 Depth=2
	v_add_nc_u32_e32 v130, v45, v46
	ds_load_b32 v131, v130 offset:1024
	s_wait_dscnt 0x0
	v_mov_b32_dpp v132, v131 row_shr:1 row_mask:0xf bank_mask:0xf
	s_delay_alu instid0(VALU_DEP_1) | instskip(NEXT) | instid1(VALU_DEP_1)
	v_cndmask_b32_e64 v132, v132, 0, s12
	v_add_nc_u32_e32 v131, v132, v131
	s_delay_alu instid0(VALU_DEP_1) | instskip(NEXT) | instid1(VALU_DEP_1)
	v_mov_b32_dpp v132, v131 row_shr:2 row_mask:0xf bank_mask:0xf
	v_cndmask_b32_e64 v132, 0, v132, s13
	s_delay_alu instid0(VALU_DEP_1) | instskip(NEXT) | instid1(VALU_DEP_1)
	v_add_nc_u32_e32 v131, v131, v132
	v_mov_b32_dpp v132, v131 row_shr:4 row_mask:0xf bank_mask:0xf
	s_delay_alu instid0(VALU_DEP_1) | instskip(NEXT) | instid1(VALU_DEP_1)
	v_cndmask_b32_e64 v132, 0, v132, s14
	v_add_nc_u32_e32 v131, v131, v132
	ds_store_b32 v130, v131 offset:1024
.LBB89_263:                             ;   in Loop: Header=BB89_228 Depth=2
	s_wait_alu 0xfffe
	s_or_b32 exec_lo, exec_lo, s15
	v_mov_b32_e32 v130, 0
	s_wait_loadcnt_dscnt 0x0
	s_barrier_signal -1
	s_barrier_wait -1
	global_inv scope:SCOPE_SE
	s_and_saveexec_b32 s15, s5
; %bb.264:                              ;   in Loop: Header=BB89_228 Depth=2
	ds_load_b32 v130, v38 offset:1020
; %bb.265:                              ;   in Loop: Header=BB89_228 Depth=2
	s_wait_alu 0xfffe
	s_or_b32 exec_lo, exec_lo, s15
	s_wait_dscnt 0x0
	v_add_nc_u32_e32 v129, v130, v129
	ds_bpermute_b32 v129, v80, v129
	s_wait_dscnt 0x0
	v_cndmask_b32_e64 v129, v129, v130, s8
	s_delay_alu instid0(VALU_DEP_1) | instskip(NEXT) | instid1(VALU_DEP_1)
	v_cndmask_b32_e64 v129, v129, 0, s6
	v_add_nc_u32_e32 v26, v129, v26
	s_delay_alu instid0(VALU_DEP_1) | instskip(NEXT) | instid1(VALU_DEP_1)
	v_add_nc_u32_e32 v27, v26, v27
	v_add_nc_u32_e32 v24, v27, v24
	s_delay_alu instid0(VALU_DEP_1) | instskip(NEXT) | instid1(VALU_DEP_1)
	v_add_nc_u32_e32 v25, v24, v25
	;; [unrolled: 3-line block ×3, first 2 shown]
	v_add_nc_u32_e32 v20, v23, v20
	s_delay_alu instid0(VALU_DEP_1)
	v_add_nc_u32_e32 v21, v20, v21
	ds_store_2addr_b32 v97, v23, v20 offset1:1
	ds_store_2addr_b32 v98, v129, v26 offset1:1
	;; [unrolled: 1-line block ×4, first 2 shown]
	ds_store_b32 v45, v21 offset:1088
	s_wait_loadcnt_dscnt 0x0
	s_barrier_signal -1
	s_barrier_wait -1
	global_inv scope:SCOPE_SE
	ds_load_b32 v20, v101 offset:1056
	ds_load_b32 v21, v105 offset:1056
	;; [unrolled: 1-line block ×9, first 2 shown]
	v_mov_b32_e32 v22, 0x800
	s_and_saveexec_b32 s15, s7
; %bb.266:                              ;   in Loop: Header=BB89_228 Depth=2
	ds_load_b32 v22, v45 offset:1092
; %bb.267:                              ;   in Loop: Header=BB89_228 Depth=2
	s_wait_alu 0xfffe
	s_or_b32 exec_lo, exec_lo, s15
	s_wait_loadcnt_dscnt 0x0
	s_barrier_signal -1
	s_barrier_wait -1
	global_inv scope:SCOPE_SE
	s_and_saveexec_b32 s15, s2
	s_cbranch_execz .LBB89_269
; %bb.268:                              ;   in Loop: Header=BB89_228 Depth=2
	ds_load_b32 v27, v28
	s_wait_dscnt 0x0
	v_sub_nc_u32_e32 v26, v27, v26
	ds_store_b32 v28, v26
.LBB89_269:                             ;   in Loop: Header=BB89_228 Depth=2
	s_wait_alu 0xfffe
	s_or_b32 exec_lo, exec_lo, s15
	v_add_nc_u32_e32 v98, v20, v95
	v_add3_u32 v97, v103, v102, v21
	v_add3_u32 v95, v107, v106, v23
	;; [unrolled: 1-line block ×7, first 2 shown]
	v_cmp_lt_u32_e64 s20, v1, v2
	ds_store_b8 v98, v94 offset:1024
	ds_store_b8 v97, v96 offset:1024
	;; [unrolled: 1-line block ×8, first 2 shown]
	s_wait_loadcnt_dscnt 0x0
	s_barrier_signal -1
	s_barrier_wait -1
	global_inv scope:SCOPE_SE
	s_and_saveexec_b32 s15, s20
	s_cbranch_execnz .LBB89_306
; %bb.270:                              ;   in Loop: Header=BB89_228 Depth=2
	s_wait_alu 0xfffe
	s_or_b32 exec_lo, exec_lo, s15
	v_cmp_lt_u32_e64 s21, v29, v2
	s_and_saveexec_b32 s15, s21
	s_cbranch_execnz .LBB89_307
.LBB89_271:                             ;   in Loop: Header=BB89_228 Depth=2
	s_wait_alu 0xfffe
	s_or_b32 exec_lo, exec_lo, s15
	v_cmp_lt_u32_e64 s19, v30, v2
	s_and_saveexec_b32 s15, s19
	s_cbranch_execnz .LBB89_308
.LBB89_272:                             ;   in Loop: Header=BB89_228 Depth=2
	s_wait_alu 0xfffe
	s_or_b32 exec_lo, exec_lo, s15
	v_cmp_lt_u32_e64 s18, v31, v2
	s_and_saveexec_b32 s15, s18
	s_cbranch_execnz .LBB89_309
.LBB89_273:                             ;   in Loop: Header=BB89_228 Depth=2
	s_wait_alu 0xfffe
	s_or_b32 exec_lo, exec_lo, s15
	v_cmp_lt_u32_e64 s17, v34, v2
	s_and_saveexec_b32 s15, s17
	s_cbranch_execnz .LBB89_310
.LBB89_274:                             ;   in Loop: Header=BB89_228 Depth=2
	s_wait_alu 0xfffe
	s_or_b32 exec_lo, exec_lo, s15
	v_cmp_lt_u32_e64 s16, v35, v2
	s_and_saveexec_b32 s15, s16
	s_cbranch_execnz .LBB89_311
.LBB89_275:                             ;   in Loop: Header=BB89_228 Depth=2
	s_wait_alu 0xfffe
	s_or_b32 exec_lo, exec_lo, s15
	v_cmp_lt_u32_e64 s15, v36, v2
	s_and_saveexec_b32 s44, s15
	s_cbranch_execnz .LBB89_312
.LBB89_276:                             ;   in Loop: Header=BB89_228 Depth=2
	s_wait_alu 0xfffe
	s_or_b32 exec_lo, exec_lo, s44
	v_cmp_lt_u32_e32 vcc_lo, v37, v2
	s_and_saveexec_b32 s44, vcc_lo
	s_cbranch_execz .LBB89_278
.LBB89_277:                             ;   in Loop: Header=BB89_228 Depth=2
	ds_load_u8 v20, v1 offset:2816
	s_wait_dscnt 0x0
	v_and_b32_e32 v21, 0xff, v20
	v_xor_b32_e32 v20, -1, v20
	s_delay_alu instid0(VALU_DEP_2) | instskip(NEXT) | instid1(VALU_DEP_1)
	v_lshrrev_b32_e32 v21, s30, v21
	v_and_b32_e32 v21, s31, v21
	s_delay_alu instid0(VALU_DEP_1)
	v_lshlrev_b32_e32 v21, 2, v21
	ds_load_b32 v21, v21
	s_wait_dscnt 0x0
	v_add_nc_u32_e32 v21, v21, v37
	global_store_b8 v21, v20, s[40:41]
.LBB89_278:                             ;   in Loop: Header=BB89_228 Depth=2
	s_wait_alu 0xfffe
	s_or_b32 exec_lo, exec_lo, s44
	s_lshl_b64 s[48:49], s[22:23], 3
	s_wait_alu 0xfffe
	v_add_co_u32 v20, s22, v81, s48
	s_wait_alu 0xf1ff
	v_add_co_ci_u32_e64 v21, null, s49, v82, s22
	v_cmp_lt_u32_e64 s22, v68, v2
	s_and_saveexec_b32 s44, s22
	s_wait_alu 0xfffe
	s_xor_b32 s22, exec_lo, s44
	s_cbranch_execnz .LBB89_313
; %bb.279:                              ;   in Loop: Header=BB89_228 Depth=2
	s_wait_alu 0xfffe
	s_or_b32 exec_lo, exec_lo, s22
	s_delay_alu instid0(SALU_CYCLE_1)
	s_mov_b32 s44, exec_lo
	v_cmpx_lt_u32_e64 v71, v2
	s_cbranch_execnz .LBB89_314
.LBB89_280:                             ;   in Loop: Header=BB89_228 Depth=2
	s_wait_alu 0xfffe
	s_or_b32 exec_lo, exec_lo, s44
	s_delay_alu instid0(SALU_CYCLE_1)
	s_mov_b32 s44, exec_lo
	v_cmpx_lt_u32_e64 v72, v2
	s_cbranch_execnz .LBB89_315
.LBB89_281:                             ;   in Loop: Header=BB89_228 Depth=2
	s_wait_alu 0xfffe
	s_or_b32 exec_lo, exec_lo, s44
	s_delay_alu instid0(SALU_CYCLE_1)
	s_mov_b32 s44, exec_lo
	v_cmpx_lt_u32_e64 v73, v2
	s_cbranch_execnz .LBB89_316
.LBB89_282:                             ;   in Loop: Header=BB89_228 Depth=2
	s_wait_alu 0xfffe
	s_or_b32 exec_lo, exec_lo, s44
	s_delay_alu instid0(SALU_CYCLE_1)
	s_mov_b32 s44, exec_lo
	v_cmpx_lt_u32_e64 v74, v2
	s_cbranch_execnz .LBB89_317
.LBB89_283:                             ;   in Loop: Header=BB89_228 Depth=2
	s_wait_alu 0xfffe
	s_or_b32 exec_lo, exec_lo, s44
	s_delay_alu instid0(SALU_CYCLE_1)
	s_mov_b32 s44, exec_lo
	v_cmpx_lt_u32_e64 v75, v2
	s_cbranch_execnz .LBB89_318
.LBB89_284:                             ;   in Loop: Header=BB89_228 Depth=2
	s_wait_alu 0xfffe
	s_or_b32 exec_lo, exec_lo, s44
	s_delay_alu instid0(SALU_CYCLE_1)
	s_mov_b32 s44, exec_lo
	v_cmpx_lt_u32_e64 v76, v2
	s_cbranch_execnz .LBB89_319
.LBB89_285:                             ;   in Loop: Header=BB89_228 Depth=2
	s_wait_alu 0xfffe
	s_or_b32 exec_lo, exec_lo, s44
	s_delay_alu instid0(SALU_CYCLE_1)
	s_mov_b32 s44, exec_lo
	v_cmpx_lt_u32_e64 v77, v2
	s_cbranch_execnz .LBB89_320
.LBB89_286:                             ;   in Loop: Header=BB89_228 Depth=2
	s_wait_alu 0xfffe
	s_or_b32 exec_lo, exec_lo, s44
	s_and_saveexec_b32 s22, s20
	s_cbranch_execnz .LBB89_321
.LBB89_287:                             ;   in Loop: Header=BB89_228 Depth=2
	s_wait_alu 0xfffe
	s_or_b32 exec_lo, exec_lo, s22
	s_and_saveexec_b32 s22, s21
	s_cbranch_execnz .LBB89_322
.LBB89_288:                             ;   in Loop: Header=BB89_228 Depth=2
	s_wait_alu 0xfffe
	s_or_b32 exec_lo, exec_lo, s22
	s_and_saveexec_b32 s22, s19
	s_cbranch_execnz .LBB89_323
.LBB89_289:                             ;   in Loop: Header=BB89_228 Depth=2
	s_wait_alu 0xfffe
	s_or_b32 exec_lo, exec_lo, s22
	s_and_saveexec_b32 s22, s18
	s_cbranch_execnz .LBB89_324
.LBB89_290:                             ;   in Loop: Header=BB89_228 Depth=2
	s_wait_alu 0xfffe
	s_or_b32 exec_lo, exec_lo, s22
	s_and_saveexec_b32 s22, s17
	s_cbranch_execnz .LBB89_325
.LBB89_291:                             ;   in Loop: Header=BB89_228 Depth=2
	s_wait_alu 0xfffe
	s_or_b32 exec_lo, exec_lo, s22
	s_and_saveexec_b32 s22, s16
	s_cbranch_execnz .LBB89_326
.LBB89_292:                             ;   in Loop: Header=BB89_228 Depth=2
	s_wait_alu 0xfffe
	s_or_b32 exec_lo, exec_lo, s22
	s_and_saveexec_b32 s22, s15
	s_cbranch_execnz .LBB89_327
.LBB89_293:                             ;   in Loop: Header=BB89_228 Depth=2
	s_wait_alu 0xfffe
	s_or_b32 exec_lo, exec_lo, s22
	s_and_saveexec_b32 s22, vcc_lo
	s_cbranch_execz .LBB89_295
.LBB89_294:                             ;   in Loop: Header=BB89_228 Depth=2
	ds_load_u8 v2, v1 offset:2816
	s_wait_dscnt 0x0
	v_lshrrev_b32_e32 v2, s30, v2
	s_delay_alu instid0(VALU_DEP_1)
	v_and_b32_e32 v86, s31, v2
.LBB89_295:                             ;   in Loop: Header=BB89_228 Depth=2
	s_wait_alu 0xfffe
	s_or_b32 exec_lo, exec_lo, s22
	v_lshlrev_b32_e32 v2, 3, v98
	v_lshlrev_b32_e32 v20, 3, v97
	;; [unrolled: 1-line block ×3, first 2 shown]
	s_wait_loadcnt 0x0
	s_wait_storecnt 0x0
	s_barrier_signal -1
	s_barrier_wait -1
	global_inv scope:SCOPE_SE
	ds_store_b64 v2, v[18:19] offset:1024
	ds_store_b64 v20, v[16:17] offset:1024
	ds_store_b64 v21, v[14:15] offset:1024
	v_lshlrev_b32_e32 v2, 3, v27
	v_lshlrev_b32_e32 v20, 3, v26
	;; [unrolled: 1-line block ×5, first 2 shown]
	ds_store_b64 v2, v[12:13] offset:1024
	ds_store_b64 v20, v[10:11] offset:1024
	;; [unrolled: 1-line block ×5, first 2 shown]
	s_wait_loadcnt_dscnt 0x0
	s_barrier_signal -1
	s_barrier_wait -1
	global_inv scope:SCOPE_SE
	s_and_saveexec_b32 s22, s20
	s_cbranch_execnz .LBB89_328
; %bb.296:                              ;   in Loop: Header=BB89_228 Depth=2
	s_wait_alu 0xfffe
	s_or_b32 exec_lo, exec_lo, s22
	s_and_saveexec_b32 s22, s21
	s_cbranch_execnz .LBB89_329
.LBB89_297:                             ;   in Loop: Header=BB89_228 Depth=2
	s_wait_alu 0xfffe
	s_or_b32 exec_lo, exec_lo, s22
	s_and_saveexec_b32 s20, s19
	s_cbranch_execnz .LBB89_330
.LBB89_298:                             ;   in Loop: Header=BB89_228 Depth=2
	s_wait_alu 0xfffe
	s_or_b32 exec_lo, exec_lo, s20
	s_and_saveexec_b32 s19, s18
	s_cbranch_execnz .LBB89_331
.LBB89_299:                             ;   in Loop: Header=BB89_228 Depth=2
	s_wait_alu 0xfffe
	s_or_b32 exec_lo, exec_lo, s19
	s_and_saveexec_b32 s18, s17
	s_cbranch_execnz .LBB89_332
.LBB89_300:                             ;   in Loop: Header=BB89_228 Depth=2
	s_wait_alu 0xfffe
	s_or_b32 exec_lo, exec_lo, s18
	s_and_saveexec_b32 s17, s16
	s_cbranch_execnz .LBB89_333
.LBB89_301:                             ;   in Loop: Header=BB89_228 Depth=2
	s_wait_alu 0xfffe
	s_or_b32 exec_lo, exec_lo, s17
	s_and_saveexec_b32 s16, s15
	s_cbranch_execnz .LBB89_334
.LBB89_302:                             ;   in Loop: Header=BB89_228 Depth=2
	s_wait_alu 0xfffe
	s_or_b32 exec_lo, exec_lo, s16
	s_and_saveexec_b32 s15, vcc_lo
	s_cbranch_execz .LBB89_304
.LBB89_303:                             ;   in Loop: Header=BB89_228 Depth=2
	v_lshlrev_b32_e32 v2, 2, v86
	v_add_nc_u32_e32 v20, v1, v47
	ds_load_b32 v2, v2
	ds_load_b64 v[20:21], v20 offset:15360
	s_wait_dscnt 0x1
	v_add_nc_u32_e32 v2, v2, v37
	s_delay_alu instid0(VALU_DEP_1) | instskip(NEXT) | instid1(VALU_DEP_1)
	v_lshlrev_b64_e32 v[23:24], 3, v[2:3]
	v_add_co_u32 v23, vcc_lo, s26, v23
	s_wait_alu 0xfffd
	s_delay_alu instid0(VALU_DEP_2)
	v_add_co_ci_u32_e64 v24, null, s27, v24, vcc_lo
	s_wait_dscnt 0x0
	global_store_b64 v[23:24], v[20:21], off
.LBB89_304:                             ;   in Loop: Header=BB89_228 Depth=2
	s_wait_alu 0xfffe
	s_or_b32 exec_lo, exec_lo, s15
	s_wait_loadcnt 0x0
	s_wait_storecnt 0x0
	s_barrier_signal -1
	s_barrier_wait -1
	global_inv scope:SCOPE_SE
	s_and_saveexec_b32 s15, s2
	s_cbranch_execz .LBB89_227
; %bb.305:                              ;   in Loop: Header=BB89_228 Depth=2
	ds_load_b32 v2, v28
	s_wait_dscnt 0x0
	v_add_nc_u32_e32 v2, v2, v22
	ds_store_b32 v28, v2
	s_branch .LBB89_227
.LBB89_306:                             ;   in Loop: Header=BB89_228 Depth=2
	ds_load_u8 v20, v1 offset:1024
	s_wait_dscnt 0x0
	v_and_b32_e32 v21, 0xff, v20
	v_xor_b32_e32 v20, -1, v20
	s_delay_alu instid0(VALU_DEP_2) | instskip(NEXT) | instid1(VALU_DEP_1)
	v_lshrrev_b32_e32 v21, s30, v21
	v_and_b32_e32 v21, s31, v21
	s_delay_alu instid0(VALU_DEP_1)
	v_lshlrev_b32_e32 v21, 2, v21
	ds_load_b32 v21, v21
	s_wait_dscnt 0x0
	v_add_nc_u32_e32 v21, v21, v1
	global_store_b8 v21, v20, s[40:41]
	s_wait_alu 0xfffe
	s_or_b32 exec_lo, exec_lo, s15
	v_cmp_lt_u32_e64 s21, v29, v2
	s_and_saveexec_b32 s15, s21
	s_cbranch_execz .LBB89_271
.LBB89_307:                             ;   in Loop: Header=BB89_228 Depth=2
	ds_load_u8 v20, v1 offset:1280
	s_wait_dscnt 0x0
	v_and_b32_e32 v21, 0xff, v20
	v_xor_b32_e32 v20, -1, v20
	s_delay_alu instid0(VALU_DEP_2) | instskip(NEXT) | instid1(VALU_DEP_1)
	v_lshrrev_b32_e32 v21, s30, v21
	v_and_b32_e32 v21, s31, v21
	s_delay_alu instid0(VALU_DEP_1)
	v_lshlrev_b32_e32 v21, 2, v21
	ds_load_b32 v21, v21
	s_wait_dscnt 0x0
	v_add_nc_u32_e32 v21, v21, v29
	global_store_b8 v21, v20, s[40:41]
	s_wait_alu 0xfffe
	s_or_b32 exec_lo, exec_lo, s15
	v_cmp_lt_u32_e64 s19, v30, v2
	s_and_saveexec_b32 s15, s19
	s_cbranch_execz .LBB89_272
.LBB89_308:                             ;   in Loop: Header=BB89_228 Depth=2
	ds_load_u8 v20, v1 offset:1536
	s_wait_dscnt 0x0
	v_and_b32_e32 v21, 0xff, v20
	v_xor_b32_e32 v20, -1, v20
	s_delay_alu instid0(VALU_DEP_2) | instskip(NEXT) | instid1(VALU_DEP_1)
	v_lshrrev_b32_e32 v21, s30, v21
	v_and_b32_e32 v21, s31, v21
	s_delay_alu instid0(VALU_DEP_1)
	v_lshlrev_b32_e32 v21, 2, v21
	ds_load_b32 v21, v21
	s_wait_dscnt 0x0
	v_add_nc_u32_e32 v21, v21, v30
	global_store_b8 v21, v20, s[40:41]
	s_wait_alu 0xfffe
	s_or_b32 exec_lo, exec_lo, s15
	v_cmp_lt_u32_e64 s18, v31, v2
	s_and_saveexec_b32 s15, s18
	s_cbranch_execz .LBB89_273
.LBB89_309:                             ;   in Loop: Header=BB89_228 Depth=2
	ds_load_u8 v20, v1 offset:1792
	s_wait_dscnt 0x0
	v_and_b32_e32 v21, 0xff, v20
	v_xor_b32_e32 v20, -1, v20
	s_delay_alu instid0(VALU_DEP_2) | instskip(NEXT) | instid1(VALU_DEP_1)
	v_lshrrev_b32_e32 v21, s30, v21
	v_and_b32_e32 v21, s31, v21
	s_delay_alu instid0(VALU_DEP_1)
	v_lshlrev_b32_e32 v21, 2, v21
	ds_load_b32 v21, v21
	s_wait_dscnt 0x0
	v_add_nc_u32_e32 v21, v21, v31
	global_store_b8 v21, v20, s[40:41]
	s_wait_alu 0xfffe
	s_or_b32 exec_lo, exec_lo, s15
	v_cmp_lt_u32_e64 s17, v34, v2
	s_and_saveexec_b32 s15, s17
	s_cbranch_execz .LBB89_274
.LBB89_310:                             ;   in Loop: Header=BB89_228 Depth=2
	ds_load_u8 v20, v1 offset:2048
	s_wait_dscnt 0x0
	v_and_b32_e32 v21, 0xff, v20
	v_xor_b32_e32 v20, -1, v20
	s_delay_alu instid0(VALU_DEP_2) | instskip(NEXT) | instid1(VALU_DEP_1)
	v_lshrrev_b32_e32 v21, s30, v21
	v_and_b32_e32 v21, s31, v21
	s_delay_alu instid0(VALU_DEP_1)
	v_lshlrev_b32_e32 v21, 2, v21
	ds_load_b32 v21, v21
	s_wait_dscnt 0x0
	v_add_nc_u32_e32 v21, v21, v34
	global_store_b8 v21, v20, s[40:41]
	s_wait_alu 0xfffe
	s_or_b32 exec_lo, exec_lo, s15
	v_cmp_lt_u32_e64 s16, v35, v2
	s_and_saveexec_b32 s15, s16
	s_cbranch_execz .LBB89_275
.LBB89_311:                             ;   in Loop: Header=BB89_228 Depth=2
	ds_load_u8 v20, v1 offset:2304
	s_wait_dscnt 0x0
	v_and_b32_e32 v21, 0xff, v20
	v_xor_b32_e32 v20, -1, v20
	s_delay_alu instid0(VALU_DEP_2) | instskip(NEXT) | instid1(VALU_DEP_1)
	v_lshrrev_b32_e32 v21, s30, v21
	v_and_b32_e32 v21, s31, v21
	s_delay_alu instid0(VALU_DEP_1)
	v_lshlrev_b32_e32 v21, 2, v21
	ds_load_b32 v21, v21
	s_wait_dscnt 0x0
	v_add_nc_u32_e32 v21, v21, v35
	global_store_b8 v21, v20, s[40:41]
	s_wait_alu 0xfffe
	s_or_b32 exec_lo, exec_lo, s15
	v_cmp_lt_u32_e64 s15, v36, v2
	s_and_saveexec_b32 s44, s15
	s_cbranch_execz .LBB89_276
.LBB89_312:                             ;   in Loop: Header=BB89_228 Depth=2
	ds_load_u8 v20, v1 offset:2560
	s_wait_dscnt 0x0
	v_and_b32_e32 v21, 0xff, v20
	v_xor_b32_e32 v20, -1, v20
	s_delay_alu instid0(VALU_DEP_2) | instskip(NEXT) | instid1(VALU_DEP_1)
	v_lshrrev_b32_e32 v21, s30, v21
	v_and_b32_e32 v21, s31, v21
	s_delay_alu instid0(VALU_DEP_1)
	v_lshlrev_b32_e32 v21, 2, v21
	ds_load_b32 v21, v21
	s_wait_dscnt 0x0
	v_add_nc_u32_e32 v21, v21, v36
	global_store_b8 v21, v20, s[40:41]
	s_wait_alu 0xfffe
	s_or_b32 exec_lo, exec_lo, s44
	v_cmp_lt_u32_e32 vcc_lo, v37, v2
	s_and_saveexec_b32 s44, vcc_lo
	s_cbranch_execnz .LBB89_277
	s_branch .LBB89_278
.LBB89_313:                             ;   in Loop: Header=BB89_228 Depth=2
	global_load_b64 v[18:19], v[20:21], off
	s_wait_alu 0xfffe
	s_or_b32 exec_lo, exec_lo, s22
	s_delay_alu instid0(SALU_CYCLE_1)
	s_mov_b32 s44, exec_lo
	v_cmpx_lt_u32_e64 v71, v2
	s_cbranch_execz .LBB89_280
.LBB89_314:                             ;   in Loop: Header=BB89_228 Depth=2
	global_load_b64 v[16:17], v[20:21], off offset:256
	s_wait_alu 0xfffe
	s_or_b32 exec_lo, exec_lo, s44
	s_delay_alu instid0(SALU_CYCLE_1)
	s_mov_b32 s44, exec_lo
	v_cmpx_lt_u32_e64 v72, v2
	s_cbranch_execz .LBB89_281
.LBB89_315:                             ;   in Loop: Header=BB89_228 Depth=2
	global_load_b64 v[14:15], v[20:21], off offset:512
	s_wait_alu 0xfffe
	s_or_b32 exec_lo, exec_lo, s44
	s_delay_alu instid0(SALU_CYCLE_1)
	s_mov_b32 s44, exec_lo
	v_cmpx_lt_u32_e64 v73, v2
	s_cbranch_execz .LBB89_282
.LBB89_316:                             ;   in Loop: Header=BB89_228 Depth=2
	global_load_b64 v[12:13], v[20:21], off offset:768
	s_wait_alu 0xfffe
	s_or_b32 exec_lo, exec_lo, s44
	s_delay_alu instid0(SALU_CYCLE_1)
	s_mov_b32 s44, exec_lo
	v_cmpx_lt_u32_e64 v74, v2
	s_cbranch_execz .LBB89_283
.LBB89_317:                             ;   in Loop: Header=BB89_228 Depth=2
	global_load_b64 v[10:11], v[20:21], off offset:1024
	s_wait_alu 0xfffe
	s_or_b32 exec_lo, exec_lo, s44
	s_delay_alu instid0(SALU_CYCLE_1)
	s_mov_b32 s44, exec_lo
	v_cmpx_lt_u32_e64 v75, v2
	s_cbranch_execz .LBB89_284
.LBB89_318:                             ;   in Loop: Header=BB89_228 Depth=2
	global_load_b64 v[8:9], v[20:21], off offset:1280
	s_wait_alu 0xfffe
	s_or_b32 exec_lo, exec_lo, s44
	s_delay_alu instid0(SALU_CYCLE_1)
	s_mov_b32 s44, exec_lo
	v_cmpx_lt_u32_e64 v76, v2
	s_cbranch_execz .LBB89_285
.LBB89_319:                             ;   in Loop: Header=BB89_228 Depth=2
	global_load_b64 v[6:7], v[20:21], off offset:1536
	s_wait_alu 0xfffe
	s_or_b32 exec_lo, exec_lo, s44
	s_delay_alu instid0(SALU_CYCLE_1)
	s_mov_b32 s44, exec_lo
	v_cmpx_lt_u32_e64 v77, v2
	s_cbranch_execz .LBB89_286
.LBB89_320:                             ;   in Loop: Header=BB89_228 Depth=2
	global_load_b64 v[4:5], v[20:21], off offset:1792
	s_wait_alu 0xfffe
	s_or_b32 exec_lo, exec_lo, s44
	s_and_saveexec_b32 s22, s20
	s_cbranch_execz .LBB89_287
.LBB89_321:                             ;   in Loop: Header=BB89_228 Depth=2
	ds_load_u8 v2, v1 offset:1024
	s_wait_dscnt 0x0
	v_lshrrev_b32_e32 v2, s30, v2
	s_delay_alu instid0(VALU_DEP_1)
	v_and_b32_e32 v93, s31, v2
	s_wait_alu 0xfffe
	s_or_b32 exec_lo, exec_lo, s22
	s_and_saveexec_b32 s22, s21
	s_cbranch_execz .LBB89_288
.LBB89_322:                             ;   in Loop: Header=BB89_228 Depth=2
	ds_load_u8 v2, v1 offset:1280
	s_wait_dscnt 0x0
	v_lshrrev_b32_e32 v2, s30, v2
	s_delay_alu instid0(VALU_DEP_1)
	v_and_b32_e32 v92, s31, v2
	s_wait_alu 0xfffe
	s_or_b32 exec_lo, exec_lo, s22
	s_and_saveexec_b32 s22, s19
	s_cbranch_execz .LBB89_289
.LBB89_323:                             ;   in Loop: Header=BB89_228 Depth=2
	ds_load_u8 v2, v1 offset:1536
	s_wait_dscnt 0x0
	v_lshrrev_b32_e32 v2, s30, v2
	s_delay_alu instid0(VALU_DEP_1)
	v_and_b32_e32 v91, s31, v2
	s_wait_alu 0xfffe
	s_or_b32 exec_lo, exec_lo, s22
	s_and_saveexec_b32 s22, s18
	s_cbranch_execz .LBB89_290
.LBB89_324:                             ;   in Loop: Header=BB89_228 Depth=2
	ds_load_u8 v2, v1 offset:1792
	s_wait_dscnt 0x0
	v_lshrrev_b32_e32 v2, s30, v2
	s_delay_alu instid0(VALU_DEP_1)
	v_and_b32_e32 v90, s31, v2
	s_wait_alu 0xfffe
	s_or_b32 exec_lo, exec_lo, s22
	s_and_saveexec_b32 s22, s17
	s_cbranch_execz .LBB89_291
.LBB89_325:                             ;   in Loop: Header=BB89_228 Depth=2
	ds_load_u8 v2, v1 offset:2048
	s_wait_dscnt 0x0
	v_lshrrev_b32_e32 v2, s30, v2
	s_delay_alu instid0(VALU_DEP_1)
	v_and_b32_e32 v89, s31, v2
	s_wait_alu 0xfffe
	s_or_b32 exec_lo, exec_lo, s22
	s_and_saveexec_b32 s22, s16
	s_cbranch_execz .LBB89_292
.LBB89_326:                             ;   in Loop: Header=BB89_228 Depth=2
	ds_load_u8 v2, v1 offset:2304
	s_wait_dscnt 0x0
	v_lshrrev_b32_e32 v2, s30, v2
	s_delay_alu instid0(VALU_DEP_1)
	v_and_b32_e32 v88, s31, v2
	s_wait_alu 0xfffe
	s_or_b32 exec_lo, exec_lo, s22
	s_and_saveexec_b32 s22, s15
	s_cbranch_execz .LBB89_293
.LBB89_327:                             ;   in Loop: Header=BB89_228 Depth=2
	ds_load_u8 v2, v1 offset:2560
	s_wait_dscnt 0x0
	v_lshrrev_b32_e32 v2, s30, v2
	s_delay_alu instid0(VALU_DEP_1)
	v_and_b32_e32 v87, s31, v2
	s_wait_alu 0xfffe
	s_or_b32 exec_lo, exec_lo, s22
	s_and_saveexec_b32 s22, vcc_lo
	s_cbranch_execnz .LBB89_294
	s_branch .LBB89_295
.LBB89_328:                             ;   in Loop: Header=BB89_228 Depth=2
	v_lshlrev_b32_e32 v2, 2, v93
	v_add_nc_u32_e32 v20, v1, v47
	ds_load_b32 v2, v2
	ds_load_b64 v[20:21], v20 offset:1024
	s_wait_dscnt 0x1
	v_add_nc_u32_e32 v2, v2, v1
	s_delay_alu instid0(VALU_DEP_1) | instskip(NEXT) | instid1(VALU_DEP_1)
	v_lshlrev_b64_e32 v[23:24], 3, v[2:3]
	v_add_co_u32 v23, s20, s26, v23
	s_wait_alu 0xf1ff
	s_delay_alu instid0(VALU_DEP_2)
	v_add_co_ci_u32_e64 v24, null, s27, v24, s20
	s_wait_dscnt 0x0
	global_store_b64 v[23:24], v[20:21], off
	s_wait_alu 0xfffe
	s_or_b32 exec_lo, exec_lo, s22
	s_and_saveexec_b32 s22, s21
	s_cbranch_execz .LBB89_297
.LBB89_329:                             ;   in Loop: Header=BB89_228 Depth=2
	v_lshlrev_b32_e32 v2, 2, v92
	v_add_nc_u32_e32 v20, v1, v47
	ds_load_b32 v2, v2
	ds_load_b64 v[20:21], v20 offset:3072
	s_wait_dscnt 0x1
	v_add_nc_u32_e32 v2, v2, v29
	s_delay_alu instid0(VALU_DEP_1) | instskip(NEXT) | instid1(VALU_DEP_1)
	v_lshlrev_b64_e32 v[23:24], 3, v[2:3]
	v_add_co_u32 v23, s20, s26, v23
	s_wait_alu 0xf1ff
	s_delay_alu instid0(VALU_DEP_2)
	v_add_co_ci_u32_e64 v24, null, s27, v24, s20
	s_wait_dscnt 0x0
	global_store_b64 v[23:24], v[20:21], off
	s_wait_alu 0xfffe
	s_or_b32 exec_lo, exec_lo, s22
	s_and_saveexec_b32 s20, s19
	s_cbranch_execz .LBB89_298
.LBB89_330:                             ;   in Loop: Header=BB89_228 Depth=2
	v_lshlrev_b32_e32 v2, 2, v91
	v_add_nc_u32_e32 v20, v1, v47
	ds_load_b32 v2, v2
	ds_load_b64 v[20:21], v20 offset:5120
	s_wait_dscnt 0x1
	v_add_nc_u32_e32 v2, v2, v30
	s_delay_alu instid0(VALU_DEP_1) | instskip(NEXT) | instid1(VALU_DEP_1)
	v_lshlrev_b64_e32 v[23:24], 3, v[2:3]
	v_add_co_u32 v23, s19, s26, v23
	s_wait_alu 0xf1ff
	s_delay_alu instid0(VALU_DEP_2)
	v_add_co_ci_u32_e64 v24, null, s27, v24, s19
	s_wait_dscnt 0x0
	global_store_b64 v[23:24], v[20:21], off
	s_wait_alu 0xfffe
	s_or_b32 exec_lo, exec_lo, s20
	s_and_saveexec_b32 s19, s18
	s_cbranch_execz .LBB89_299
.LBB89_331:                             ;   in Loop: Header=BB89_228 Depth=2
	v_lshlrev_b32_e32 v2, 2, v90
	v_add_nc_u32_e32 v20, v1, v47
	ds_load_b32 v2, v2
	ds_load_b64 v[20:21], v20 offset:7168
	s_wait_dscnt 0x1
	v_add_nc_u32_e32 v2, v2, v31
	s_delay_alu instid0(VALU_DEP_1) | instskip(NEXT) | instid1(VALU_DEP_1)
	v_lshlrev_b64_e32 v[23:24], 3, v[2:3]
	v_add_co_u32 v23, s18, s26, v23
	s_wait_alu 0xf1ff
	s_delay_alu instid0(VALU_DEP_2)
	v_add_co_ci_u32_e64 v24, null, s27, v24, s18
	s_wait_dscnt 0x0
	global_store_b64 v[23:24], v[20:21], off
	s_wait_alu 0xfffe
	s_or_b32 exec_lo, exec_lo, s19
	s_and_saveexec_b32 s18, s17
	s_cbranch_execz .LBB89_300
.LBB89_332:                             ;   in Loop: Header=BB89_228 Depth=2
	v_lshlrev_b32_e32 v2, 2, v89
	v_add_nc_u32_e32 v20, v1, v47
	ds_load_b32 v2, v2
	ds_load_b64 v[20:21], v20 offset:9216
	s_wait_dscnt 0x1
	v_add_nc_u32_e32 v2, v2, v34
	s_delay_alu instid0(VALU_DEP_1) | instskip(NEXT) | instid1(VALU_DEP_1)
	v_lshlrev_b64_e32 v[23:24], 3, v[2:3]
	v_add_co_u32 v23, s17, s26, v23
	s_wait_alu 0xf1ff
	s_delay_alu instid0(VALU_DEP_2)
	v_add_co_ci_u32_e64 v24, null, s27, v24, s17
	s_wait_dscnt 0x0
	global_store_b64 v[23:24], v[20:21], off
	s_wait_alu 0xfffe
	s_or_b32 exec_lo, exec_lo, s18
	s_and_saveexec_b32 s17, s16
	s_cbranch_execz .LBB89_301
.LBB89_333:                             ;   in Loop: Header=BB89_228 Depth=2
	v_lshlrev_b32_e32 v2, 2, v88
	v_add_nc_u32_e32 v20, v1, v47
	ds_load_b32 v2, v2
	ds_load_b64 v[20:21], v20 offset:11264
	s_wait_dscnt 0x1
	v_add_nc_u32_e32 v2, v2, v35
	s_delay_alu instid0(VALU_DEP_1) | instskip(NEXT) | instid1(VALU_DEP_1)
	v_lshlrev_b64_e32 v[23:24], 3, v[2:3]
	v_add_co_u32 v23, s16, s26, v23
	s_wait_alu 0xf1ff
	s_delay_alu instid0(VALU_DEP_2)
	v_add_co_ci_u32_e64 v24, null, s27, v24, s16
	s_wait_dscnt 0x0
	global_store_b64 v[23:24], v[20:21], off
	s_wait_alu 0xfffe
	s_or_b32 exec_lo, exec_lo, s17
	s_and_saveexec_b32 s16, s15
	s_cbranch_execz .LBB89_302
.LBB89_334:                             ;   in Loop: Header=BB89_228 Depth=2
	v_lshlrev_b32_e32 v2, 2, v87
	v_add_nc_u32_e32 v20, v1, v47
	ds_load_b32 v2, v2
	ds_load_b64 v[20:21], v20 offset:13312
	s_wait_dscnt 0x1
	v_add_nc_u32_e32 v2, v2, v36
	s_delay_alu instid0(VALU_DEP_1) | instskip(NEXT) | instid1(VALU_DEP_1)
	v_lshlrev_b64_e32 v[23:24], 3, v[2:3]
	v_add_co_u32 v23, s15, s26, v23
	s_wait_alu 0xf1ff
	s_delay_alu instid0(VALU_DEP_2)
	v_add_co_ci_u32_e64 v24, null, s27, v24, s15
	s_wait_dscnt 0x0
	global_store_b64 v[23:24], v[20:21], off
	s_wait_alu 0xfffe
	s_or_b32 exec_lo, exec_lo, s16
	s_and_saveexec_b32 s15, vcc_lo
	s_cbranch_execnz .LBB89_303
	s_branch .LBB89_304
.LBB89_335:                             ;   in Loop: Header=BB89_228 Depth=2
	global_load_u8 v96, v[20:21], off offset:32
	s_wait_alu 0xfffe
	s_or_b32 exec_lo, exec_lo, s15
	s_delay_alu instid0(SALU_CYCLE_1)
	s_mov_b32 s15, exec_lo
	v_cmpx_gt_u32_e64 s42, v72
	s_cbranch_execz .LBB89_235
.LBB89_336:                             ;   in Loop: Header=BB89_228 Depth=2
	global_load_u8 v27, v[20:21], off offset:64
	s_wait_alu 0xfffe
	s_or_b32 exec_lo, exec_lo, s15
	s_delay_alu instid0(SALU_CYCLE_1)
	s_mov_b32 s15, exec_lo
	v_cmpx_gt_u32_e64 s42, v73
	s_cbranch_execz .LBB89_236
.LBB89_337:                             ;   in Loop: Header=BB89_228 Depth=2
	global_load_u8 v26, v[20:21], off offset:96
	s_wait_alu 0xfffe
	s_or_b32 exec_lo, exec_lo, s15
	s_delay_alu instid0(SALU_CYCLE_1)
	s_mov_b32 s15, exec_lo
	v_cmpx_gt_u32_e64 s42, v74
	s_cbranch_execz .LBB89_237
.LBB89_338:                             ;   in Loop: Header=BB89_228 Depth=2
	global_load_u8 v25, v[20:21], off offset:128
	s_wait_alu 0xfffe
	s_or_b32 exec_lo, exec_lo, s15
	s_delay_alu instid0(SALU_CYCLE_1)
	s_mov_b32 s15, exec_lo
	v_cmpx_gt_u32_e64 s42, v75
	s_cbranch_execz .LBB89_238
.LBB89_339:                             ;   in Loop: Header=BB89_228 Depth=2
	global_load_u8 v24, v[20:21], off offset:160
	s_wait_alu 0xfffe
	s_or_b32 exec_lo, exec_lo, s15
	s_delay_alu instid0(SALU_CYCLE_1)
	s_mov_b32 s15, exec_lo
	v_cmpx_gt_u32_e64 s42, v76
	s_cbranch_execnz .LBB89_239
	s_branch .LBB89_240
.LBB89_340:                             ;   in Loop: Header=BB89_12 Depth=1
	s_wait_loadcnt_dscnt 0x0
	s_barrier_signal -1
	s_barrier_wait -1
.LBB89_341:                             ;   in Loop: Header=BB89_12 Depth=1
	s_mov_b32 s0, 0
.LBB89_342:                             ;   in Loop: Header=BB89_12 Depth=1
	s_wait_alu 0xfffe
	s_and_not1_b32 vcc_lo, exec_lo, s0
	s_wait_alu 0xfffe
	s_cbranch_vccnz .LBB89_11
; %bb.343:                              ;   in Loop: Header=BB89_12 Depth=1
	s_and_b32 vcc_lo, exec_lo, s35
	s_mov_b32 s0, -1
	s_wait_alu 0xfffe
	s_cbranch_vccz .LBB89_507
; %bb.344:                              ;   in Loop: Header=BB89_12 Depth=1
	v_dual_mov_b32 v7, 0 :: v_dual_mov_b32 v10, 0
	v_dual_mov_b32 v9, 0 :: v_dual_mov_b32 v8, 0
	;; [unrolled: 1-line block ×3, first 2 shown]
	v_mov_b32_e32 v4, 0
	v_mov_b32_e32 v2, 0
	s_mov_b32 s9, s47
	s_mov_b32 s22, s33
	s_barrier_signal -1
	s_barrier_wait -1
	global_inv scope:SCOPE_SE
	s_branch .LBB89_346
.LBB89_345:                             ;   in Loop: Header=BB89_346 Depth=2
	s_wait_alu 0xfffe
	s_or_b32 exec_lo, exec_lo, s0
	s_addk_co_i32 s9, 0xf800
	s_cmp_ge_u32 s10, s34
	s_mov_b32 s22, s10
	s_cbranch_scc1 .LBB89_382
.LBB89_346:                             ;   Parent Loop BB89_12 Depth=1
                                        ; =>  This Inner Loop Header: Depth=2
	s_wait_alu 0xfffe
	s_add_co_i32 s10, s22, 0x800
	s_mov_b32 s0, -1
	s_wait_alu 0xfffe
	s_cmp_gt_u32 s10, s34
                                        ; implicit-def: $vgpr11
                                        ; implicit-def: $vgpr12
                                        ; implicit-def: $vgpr13
                                        ; implicit-def: $vgpr14
                                        ; implicit-def: $vgpr15
                                        ; implicit-def: $vgpr16
                                        ; implicit-def: $vgpr17
                                        ; implicit-def: $vgpr18
	s_cbranch_scc1 .LBB89_348
; %bb.347:                              ;   in Loop: Header=BB89_346 Depth=2
	v_add_co_u32 v19, vcc_lo, v54, s22
	s_wait_alu 0xfffd
	v_add_co_ci_u32_e64 v20, null, 0, v55, vcc_lo
	s_mov_b32 s0, 0
	s_clause 0x7
	global_load_u8 v18, v[19:20], off offset:1792
	global_load_u8 v17, v[19:20], off offset:1536
	;; [unrolled: 1-line block ×7, first 2 shown]
	global_load_u8 v11, v[19:20], off
.LBB89_348:                             ;   in Loop: Header=BB89_346 Depth=2
	s_wait_alu 0xfffe
	s_and_not1_b32 vcc_lo, exec_lo, s0
	s_movk_i32 s0, 0x800
	s_wait_alu 0xfffe
	s_cbranch_vccnz .LBB89_359
; %bb.349:                              ;   in Loop: Header=BB89_346 Depth=2
	s_add_nc_u64 s[0:1], s[36:37], s[22:23]
	s_mov_b32 s11, exec_lo
	v_cmpx_gt_u32_e64 s9, v1
	s_cbranch_execnz .LBB89_375
; %bb.350:                              ;   in Loop: Header=BB89_346 Depth=2
	s_wait_alu 0xfffe
	s_or_b32 exec_lo, exec_lo, s11
	s_delay_alu instid0(SALU_CYCLE_1)
	s_mov_b32 s11, exec_lo
	v_cmpx_gt_u32_e64 s9, v29
	s_cbranch_execnz .LBB89_376
.LBB89_351:                             ;   in Loop: Header=BB89_346 Depth=2
	s_wait_alu 0xfffe
	s_or_b32 exec_lo, exec_lo, s11
	s_delay_alu instid0(SALU_CYCLE_1)
	s_mov_b32 s11, exec_lo
	v_cmpx_gt_u32_e64 s9, v30
	s_cbranch_execnz .LBB89_377
.LBB89_352:                             ;   in Loop: Header=BB89_346 Depth=2
	s_wait_alu 0xfffe
	s_or_b32 exec_lo, exec_lo, s11
	s_delay_alu instid0(SALU_CYCLE_1)
	s_mov_b32 s11, exec_lo
	v_cmpx_gt_u32_e64 s9, v31
	s_cbranch_execnz .LBB89_378
.LBB89_353:                             ;   in Loop: Header=BB89_346 Depth=2
	s_wait_alu 0xfffe
	s_or_b32 exec_lo, exec_lo, s11
	s_delay_alu instid0(SALU_CYCLE_1)
	s_mov_b32 s11, exec_lo
	v_cmpx_gt_u32_e64 s9, v34
	s_cbranch_execnz .LBB89_379
.LBB89_354:                             ;   in Loop: Header=BB89_346 Depth=2
	s_wait_alu 0xfffe
	s_or_b32 exec_lo, exec_lo, s11
	s_delay_alu instid0(SALU_CYCLE_1)
	s_mov_b32 s11, exec_lo
	v_cmpx_gt_u32_e64 s9, v35
	s_cbranch_execnz .LBB89_380
.LBB89_355:                             ;   in Loop: Header=BB89_346 Depth=2
	s_wait_alu 0xfffe
	s_or_b32 exec_lo, exec_lo, s11
	s_delay_alu instid0(SALU_CYCLE_1)
	s_mov_b32 s11, exec_lo
	v_cmpx_gt_u32_e64 s9, v36
	s_cbranch_execnz .LBB89_381
.LBB89_356:                             ;   in Loop: Header=BB89_346 Depth=2
	s_wait_alu 0xfffe
	s_or_b32 exec_lo, exec_lo, s11
	s_delay_alu instid0(SALU_CYCLE_1)
	s_mov_b32 s11, exec_lo
	v_cmpx_gt_u32_e64 s9, v37
	s_cbranch_execz .LBB89_358
.LBB89_357:                             ;   in Loop: Header=BB89_346 Depth=2
	s_wait_loadcnt 0x0
	v_add_co_u32 v11, s0, s0, v1
	s_wait_alu 0xf1ff
	v_add_co_ci_u32_e64 v12, null, s1, 0, s0
	global_load_u8 v2, v[11:12], off offset:1792
.LBB89_358:                             ;   in Loop: Header=BB89_346 Depth=2
	s_wait_alu 0xfffe
	s_or_b32 exec_lo, exec_lo, s11
	s_wait_loadcnt 0x0
	v_dual_mov_b32 v11, v7 :: v_dual_mov_b32 v12, v10
	v_dual_mov_b32 v13, v9 :: v_dual_mov_b32 v14, v8
	;; [unrolled: 1-line block ×4, first 2 shown]
	s_mov_b32 s0, s9
.LBB89_359:                             ;   in Loop: Header=BB89_346 Depth=2
	s_wait_loadcnt 0x5
	s_delay_alu instid0(VALU_DEP_1)
	v_dual_mov_b32 v2, v18 :: v_dual_mov_b32 v5, v16
	s_wait_loadcnt 0x2
	v_dual_mov_b32 v4, v17 :: v_dual_mov_b32 v9, v13
	s_wait_loadcnt 0x0
	v_dual_mov_b32 v6, v15 :: v_dual_mov_b32 v7, v11
	v_mov_b32_e32 v8, v14
	v_mov_b32_e32 v10, v12
	s_mov_b32 s1, exec_lo
	s_wait_alu 0xfffe
	v_cmpx_gt_u32_e64 s0, v1
	s_cbranch_execnz .LBB89_367
; %bb.360:                              ;   in Loop: Header=BB89_346 Depth=2
	s_or_b32 exec_lo, exec_lo, s1
	s_delay_alu instid0(SALU_CYCLE_1)
	s_mov_b32 s1, exec_lo
	v_cmpx_gt_u32_e64 s0, v29
	s_cbranch_execnz .LBB89_368
.LBB89_361:                             ;   in Loop: Header=BB89_346 Depth=2
	s_wait_alu 0xfffe
	s_or_b32 exec_lo, exec_lo, s1
	s_delay_alu instid0(SALU_CYCLE_1)
	s_mov_b32 s1, exec_lo
	v_cmpx_gt_u32_e64 s0, v30
	s_cbranch_execnz .LBB89_369
.LBB89_362:                             ;   in Loop: Header=BB89_346 Depth=2
	s_wait_alu 0xfffe
	s_or_b32 exec_lo, exec_lo, s1
	s_delay_alu instid0(SALU_CYCLE_1)
	s_mov_b32 s1, exec_lo
	v_cmpx_gt_u32_e64 s0, v31
	s_cbranch_execnz .LBB89_370
.LBB89_363:                             ;   in Loop: Header=BB89_346 Depth=2
	s_wait_alu 0xfffe
	s_or_b32 exec_lo, exec_lo, s1
	s_delay_alu instid0(SALU_CYCLE_1)
	s_mov_b32 s1, exec_lo
	v_cmpx_gt_u32_e64 s0, v34
	s_cbranch_execnz .LBB89_371
.LBB89_364:                             ;   in Loop: Header=BB89_346 Depth=2
	s_wait_alu 0xfffe
	s_or_b32 exec_lo, exec_lo, s1
	s_delay_alu instid0(SALU_CYCLE_1)
	s_mov_b32 s1, exec_lo
	v_cmpx_gt_u32_e64 s0, v35
	s_cbranch_execnz .LBB89_372
.LBB89_365:                             ;   in Loop: Header=BB89_346 Depth=2
	s_wait_alu 0xfffe
	s_or_b32 exec_lo, exec_lo, s1
	s_delay_alu instid0(SALU_CYCLE_1)
	s_mov_b32 s1, exec_lo
	v_cmpx_gt_u32_e64 s0, v36
	s_cbranch_execnz .LBB89_373
.LBB89_366:                             ;   in Loop: Header=BB89_346 Depth=2
	s_wait_alu 0xfffe
	s_or_b32 exec_lo, exec_lo, s1
	v_cmp_gt_u32_e32 vcc_lo, s0, v37
	s_and_saveexec_b32 s0, vcc_lo
	s_cbranch_execz .LBB89_345
	s_branch .LBB89_374
.LBB89_367:                             ;   in Loop: Header=BB89_346 Depth=2
	v_xor_b32_e32 v11, -1, v7
	s_delay_alu instid0(VALU_DEP_1) | instskip(NEXT) | instid1(VALU_DEP_1)
	v_and_b32_e32 v11, 0xff, v11
	v_lshrrev_b32_e32 v11, s45, v11
	s_delay_alu instid0(VALU_DEP_1) | instskip(NEXT) | instid1(VALU_DEP_1)
	v_and_b32_e32 v11, s31, v11
	v_lshl_or_b32 v11, v11, 4, v39
	ds_add_u32 v11, v61
	s_or_b32 exec_lo, exec_lo, s1
	s_delay_alu instid0(SALU_CYCLE_1)
	s_mov_b32 s1, exec_lo
	v_cmpx_gt_u32_e64 s0, v29
	s_cbranch_execz .LBB89_361
.LBB89_368:                             ;   in Loop: Header=BB89_346 Depth=2
	v_xor_b32_e32 v11, -1, v10
	s_delay_alu instid0(VALU_DEP_1) | instskip(NEXT) | instid1(VALU_DEP_1)
	v_and_b32_e32 v11, 0xff, v11
	v_lshrrev_b32_e32 v11, s45, v11
	s_delay_alu instid0(VALU_DEP_1) | instskip(NEXT) | instid1(VALU_DEP_1)
	v_and_b32_e32 v11, s31, v11
	v_lshl_or_b32 v11, v11, 4, v39
	ds_add_u32 v11, v61
	s_wait_alu 0xfffe
	s_or_b32 exec_lo, exec_lo, s1
	s_delay_alu instid0(SALU_CYCLE_1)
	s_mov_b32 s1, exec_lo
	v_cmpx_gt_u32_e64 s0, v30
	s_cbranch_execz .LBB89_362
.LBB89_369:                             ;   in Loop: Header=BB89_346 Depth=2
	v_xor_b32_e32 v11, -1, v9
	s_delay_alu instid0(VALU_DEP_1) | instskip(NEXT) | instid1(VALU_DEP_1)
	v_and_b32_e32 v11, 0xff, v11
	v_lshrrev_b32_e32 v11, s45, v11
	s_delay_alu instid0(VALU_DEP_1) | instskip(NEXT) | instid1(VALU_DEP_1)
	v_and_b32_e32 v11, s31, v11
	v_lshl_or_b32 v11, v11, 4, v39
	ds_add_u32 v11, v61
	s_wait_alu 0xfffe
	s_or_b32 exec_lo, exec_lo, s1
	s_delay_alu instid0(SALU_CYCLE_1)
	s_mov_b32 s1, exec_lo
	v_cmpx_gt_u32_e64 s0, v31
	s_cbranch_execz .LBB89_363
.LBB89_370:                             ;   in Loop: Header=BB89_346 Depth=2
	v_xor_b32_e32 v11, -1, v8
	s_delay_alu instid0(VALU_DEP_1) | instskip(NEXT) | instid1(VALU_DEP_1)
	v_and_b32_e32 v11, 0xff, v11
	v_lshrrev_b32_e32 v11, s45, v11
	s_delay_alu instid0(VALU_DEP_1) | instskip(NEXT) | instid1(VALU_DEP_1)
	v_and_b32_e32 v11, s31, v11
	v_lshl_or_b32 v11, v11, 4, v39
	ds_add_u32 v11, v61
	s_wait_alu 0xfffe
	s_or_b32 exec_lo, exec_lo, s1
	s_delay_alu instid0(SALU_CYCLE_1)
	s_mov_b32 s1, exec_lo
	v_cmpx_gt_u32_e64 s0, v34
	s_cbranch_execz .LBB89_364
.LBB89_371:                             ;   in Loop: Header=BB89_346 Depth=2
	v_xor_b32_e32 v11, -1, v6
	s_delay_alu instid0(VALU_DEP_1) | instskip(NEXT) | instid1(VALU_DEP_1)
	v_and_b32_e32 v11, 0xff, v11
	v_lshrrev_b32_e32 v11, s45, v11
	s_delay_alu instid0(VALU_DEP_1) | instskip(NEXT) | instid1(VALU_DEP_1)
	v_and_b32_e32 v11, s31, v11
	v_lshl_or_b32 v11, v11, 4, v39
	ds_add_u32 v11, v61
	s_wait_alu 0xfffe
	s_or_b32 exec_lo, exec_lo, s1
	s_delay_alu instid0(SALU_CYCLE_1)
	s_mov_b32 s1, exec_lo
	v_cmpx_gt_u32_e64 s0, v35
	s_cbranch_execz .LBB89_365
.LBB89_372:                             ;   in Loop: Header=BB89_346 Depth=2
	v_xor_b32_e32 v11, -1, v5
	s_delay_alu instid0(VALU_DEP_1) | instskip(NEXT) | instid1(VALU_DEP_1)
	v_and_b32_e32 v11, 0xff, v11
	v_lshrrev_b32_e32 v11, s45, v11
	s_delay_alu instid0(VALU_DEP_1) | instskip(NEXT) | instid1(VALU_DEP_1)
	v_and_b32_e32 v11, s31, v11
	v_lshl_or_b32 v11, v11, 4, v39
	ds_add_u32 v11, v61
	s_wait_alu 0xfffe
	s_or_b32 exec_lo, exec_lo, s1
	s_delay_alu instid0(SALU_CYCLE_1)
	s_mov_b32 s1, exec_lo
	v_cmpx_gt_u32_e64 s0, v36
	s_cbranch_execz .LBB89_366
.LBB89_373:                             ;   in Loop: Header=BB89_346 Depth=2
	v_xor_b32_e32 v11, -1, v4
	s_delay_alu instid0(VALU_DEP_1) | instskip(NEXT) | instid1(VALU_DEP_1)
	v_and_b32_e32 v11, 0xff, v11
	v_lshrrev_b32_e32 v11, s45, v11
	s_delay_alu instid0(VALU_DEP_1) | instskip(NEXT) | instid1(VALU_DEP_1)
	v_and_b32_e32 v11, s31, v11
	v_lshl_or_b32 v11, v11, 4, v39
	ds_add_u32 v11, v61
	s_wait_alu 0xfffe
	s_or_b32 exec_lo, exec_lo, s1
	v_cmp_gt_u32_e32 vcc_lo, s0, v37
	s_and_saveexec_b32 s0, vcc_lo
	s_cbranch_execz .LBB89_345
.LBB89_374:                             ;   in Loop: Header=BB89_346 Depth=2
	v_xor_b32_e32 v11, -1, v2
	s_delay_alu instid0(VALU_DEP_1) | instskip(NEXT) | instid1(VALU_DEP_1)
	v_and_b32_e32 v11, 0xff, v11
	v_lshrrev_b32_e32 v11, s45, v11
	s_delay_alu instid0(VALU_DEP_1) | instskip(NEXT) | instid1(VALU_DEP_1)
	v_and_b32_e32 v11, s31, v11
	v_lshl_or_b32 v11, v11, 4, v39
	ds_add_u32 v11, v61
	s_branch .LBB89_345
.LBB89_375:                             ;   in Loop: Header=BB89_346 Depth=2
	s_wait_loadcnt 0x0
	s_wait_alu 0xfffe
	v_add_co_u32 v11, s12, s0, v1
	s_wait_alu 0xf1ff
	v_add_co_ci_u32_e64 v12, null, s1, 0, s12
	global_load_u8 v7, v[11:12], off
	s_or_b32 exec_lo, exec_lo, s11
	s_delay_alu instid0(SALU_CYCLE_1)
	s_mov_b32 s11, exec_lo
	v_cmpx_gt_u32_e64 s9, v29
	s_cbranch_execz .LBB89_351
.LBB89_376:                             ;   in Loop: Header=BB89_346 Depth=2
	v_add_co_u32 v10, s12, s0, v1
	s_wait_loadcnt 0x0
	s_wait_alu 0xf1ff
	v_add_co_ci_u32_e64 v11, null, s1, 0, s12
	global_load_u8 v10, v[10:11], off offset:256
	s_wait_alu 0xfffe
	s_or_b32 exec_lo, exec_lo, s11
	s_delay_alu instid0(SALU_CYCLE_1)
	s_mov_b32 s11, exec_lo
	v_cmpx_gt_u32_e64 s9, v30
	s_cbranch_execz .LBB89_352
.LBB89_377:                             ;   in Loop: Header=BB89_346 Depth=2
	s_wait_loadcnt 0x0
	v_add_co_u32 v11, s12, s0, v1
	s_wait_alu 0xf1ff
	v_add_co_ci_u32_e64 v12, null, s1, 0, s12
	global_load_u8 v9, v[11:12], off offset:512
	s_wait_alu 0xfffe
	s_or_b32 exec_lo, exec_lo, s11
	s_delay_alu instid0(SALU_CYCLE_1)
	s_mov_b32 s11, exec_lo
	v_cmpx_gt_u32_e64 s9, v31
	s_cbranch_execz .LBB89_353
.LBB89_378:                             ;   in Loop: Header=BB89_346 Depth=2
	s_wait_loadcnt 0x0
	v_add_co_u32 v11, s12, s0, v1
	s_wait_alu 0xf1ff
	v_add_co_ci_u32_e64 v12, null, s1, 0, s12
	global_load_u8 v8, v[11:12], off offset:768
	s_wait_alu 0xfffe
	s_or_b32 exec_lo, exec_lo, s11
	s_delay_alu instid0(SALU_CYCLE_1)
	s_mov_b32 s11, exec_lo
	v_cmpx_gt_u32_e64 s9, v34
	s_cbranch_execz .LBB89_354
.LBB89_379:                             ;   in Loop: Header=BB89_346 Depth=2
	s_wait_loadcnt 0x0
	v_add_co_u32 v11, s12, s0, v1
	s_wait_alu 0xf1ff
	v_add_co_ci_u32_e64 v12, null, s1, 0, s12
	global_load_u8 v6, v[11:12], off offset:1024
	s_wait_alu 0xfffe
	s_or_b32 exec_lo, exec_lo, s11
	s_delay_alu instid0(SALU_CYCLE_1)
	s_mov_b32 s11, exec_lo
	v_cmpx_gt_u32_e64 s9, v35
	s_cbranch_execz .LBB89_355
.LBB89_380:                             ;   in Loop: Header=BB89_346 Depth=2
	s_wait_loadcnt 0x0
	v_add_co_u32 v11, s12, s0, v1
	s_wait_alu 0xf1ff
	v_add_co_ci_u32_e64 v12, null, s1, 0, s12
	global_load_u8 v5, v[11:12], off offset:1280
	s_wait_alu 0xfffe
	s_or_b32 exec_lo, exec_lo, s11
	s_delay_alu instid0(SALU_CYCLE_1)
	s_mov_b32 s11, exec_lo
	v_cmpx_gt_u32_e64 s9, v36
	s_cbranch_execz .LBB89_356
.LBB89_381:                             ;   in Loop: Header=BB89_346 Depth=2
	s_wait_loadcnt 0x0
	v_add_co_u32 v11, s12, s0, v1
	s_wait_alu 0xf1ff
	v_add_co_ci_u32_e64 v12, null, s1, 0, s12
	global_load_u8 v4, v[11:12], off offset:1536
	s_wait_alu 0xfffe
	s_or_b32 exec_lo, exec_lo, s11
	s_delay_alu instid0(SALU_CYCLE_1)
	s_mov_b32 s11, exec_lo
	v_cmpx_gt_u32_e64 s9, v37
	s_cbranch_execnz .LBB89_357
	s_branch .LBB89_358
.LBB89_382:                             ;   in Loop: Header=BB89_12 Depth=1
	v_mov_b32_e32 v2, 0
	s_wait_dscnt 0x0
	s_barrier_signal -1
	s_barrier_wait -1
	global_inv scope:SCOPE_SE
	s_and_saveexec_b32 s0, s2
	s_cbranch_execz .LBB89_384
; %bb.383:                              ;   in Loop: Header=BB89_12 Depth=1
	ds_load_2addr_b64 v[4:7], v40 offset1:1
	s_wait_dscnt 0x0
	v_add_nc_u32_e32 v2, v5, v4
	s_delay_alu instid0(VALU_DEP_1)
	v_add3_u32 v2, v2, v6, v7
.LBB89_384:                             ;   in Loop: Header=BB89_12 Depth=1
	s_wait_alu 0xfffe
	s_or_b32 exec_lo, exec_lo, s0
	s_delay_alu instid0(VALU_DEP_1)
	v_mov_b32_dpp v4, v2 row_shr:1 row_mask:0xf bank_mask:0xf
	v_cmp_eq_u32_e64 s0, 0, v62
	v_cmp_lt_u32_e64 s1, 1, v62
	v_cmp_lt_u32_e64 s9, 3, v62
	;; [unrolled: 1-line block ×3, first 2 shown]
	v_cmp_eq_u32_e64 s11, 0, v64
	s_wait_alu 0xf1ff
	v_cndmask_b32_e64 v4, v4, 0, s0
	s_delay_alu instid0(VALU_DEP_1) | instskip(NEXT) | instid1(VALU_DEP_1)
	v_add_nc_u32_e32 v2, v4, v2
	v_mov_b32_dpp v4, v2 row_shr:2 row_mask:0xf bank_mask:0xf
	s_delay_alu instid0(VALU_DEP_1) | instskip(NEXT) | instid1(VALU_DEP_1)
	v_cndmask_b32_e64 v4, 0, v4, s1
	v_add_nc_u32_e32 v2, v2, v4
	s_delay_alu instid0(VALU_DEP_1) | instskip(NEXT) | instid1(VALU_DEP_1)
	v_mov_b32_dpp v4, v2 row_shr:4 row_mask:0xf bank_mask:0xf
	v_cndmask_b32_e64 v4, 0, v4, s9
	s_delay_alu instid0(VALU_DEP_1) | instskip(NEXT) | instid1(VALU_DEP_1)
	v_add_nc_u32_e32 v2, v2, v4
	v_mov_b32_dpp v4, v2 row_shr:8 row_mask:0xf bank_mask:0xf
	s_delay_alu instid0(VALU_DEP_1) | instskip(NEXT) | instid1(VALU_DEP_1)
	v_cndmask_b32_e64 v4, 0, v4, s10
	v_add_nc_u32_e32 v2, v2, v4
	ds_swizzle_b32 v4, v2 offset:swizzle(BROADCAST,32,15)
	s_wait_dscnt 0x0
	v_and_b32_e32 v4, v63, v4
	s_delay_alu instid0(VALU_DEP_1)
	v_add_nc_u32_e32 v2, v2, v4
	s_and_saveexec_b32 s12, s3
; %bb.385:                              ;   in Loop: Header=BB89_12 Depth=1
	ds_store_b32 v41, v2
; %bb.386:                              ;   in Loop: Header=BB89_12 Depth=1
	s_wait_alu 0xfffe
	s_or_b32 exec_lo, exec_lo, s12
	s_wait_loadcnt_dscnt 0x0
	s_barrier_signal -1
	s_barrier_wait -1
	global_inv scope:SCOPE_SE
	s_and_saveexec_b32 s12, s4
	s_cbranch_execz .LBB89_388
; %bb.387:                              ;   in Loop: Header=BB89_12 Depth=1
	ds_load_b32 v4, v42
	v_cmp_ne_u32_e32 vcc_lo, 0, v65
	s_wait_dscnt 0x0
	v_mov_b32_dpp v5, v4 row_shr:1 row_mask:0xf bank_mask:0xf
	s_wait_alu 0xfffd
	s_delay_alu instid0(VALU_DEP_1) | instskip(SKIP_1) | instid1(VALU_DEP_2)
	v_cndmask_b32_e32 v5, 0, v5, vcc_lo
	v_cmp_lt_u32_e32 vcc_lo, 1, v65
	v_add_nc_u32_e32 v4, v5, v4
	s_delay_alu instid0(VALU_DEP_1) | instskip(SKIP_1) | instid1(VALU_DEP_1)
	v_mov_b32_dpp v5, v4 row_shr:2 row_mask:0xf bank_mask:0xf
	s_wait_alu 0xfffd
	v_cndmask_b32_e32 v5, 0, v5, vcc_lo
	v_cmp_lt_u32_e32 vcc_lo, 3, v65
	s_delay_alu instid0(VALU_DEP_2) | instskip(NEXT) | instid1(VALU_DEP_1)
	v_add_nc_u32_e32 v4, v4, v5
	v_mov_b32_dpp v5, v4 row_shr:4 row_mask:0xf bank_mask:0xf
	s_wait_alu 0xfffd
	s_delay_alu instid0(VALU_DEP_1) | instskip(NEXT) | instid1(VALU_DEP_1)
	v_cndmask_b32_e32 v5, 0, v5, vcc_lo
	v_add_nc_u32_e32 v4, v4, v5
	ds_store_b32 v42, v4
.LBB89_388:                             ;   in Loop: Header=BB89_12 Depth=1
	s_wait_alu 0xfffe
	s_or_b32 exec_lo, exec_lo, s12
	v_mov_b32_e32 v4, 0
	s_wait_loadcnt_dscnt 0x0
	s_barrier_signal -1
	s_barrier_wait -1
	global_inv scope:SCOPE_SE
	s_and_saveexec_b32 s12, s5
; %bb.389:                              ;   in Loop: Header=BB89_12 Depth=1
	ds_load_b32 v4, v43
; %bb.390:                              ;   in Loop: Header=BB89_12 Depth=1
	s_wait_alu 0xfffe
	s_or_b32 exec_lo, exec_lo, s12
	v_cmp_gt_i32_e32 vcc_lo, 0, v67
	s_wait_dscnt 0x0
	v_add_nc_u32_e32 v2, v4, v2
	s_wait_loadcnt 0x0
	s_barrier_signal -1
	s_barrier_wait -1
	s_wait_alu 0xfffd
	v_cndmask_b32_e32 v5, v67, v58, vcc_lo
	global_inv scope:SCOPE_SE
	v_lshlrev_b32_e32 v80, 2, v5
	ds_bpermute_b32 v2, v80, v2
	s_and_saveexec_b32 s12, s2
	s_cbranch_execz .LBB89_392
; %bb.391:                              ;   in Loop: Header=BB89_12 Depth=1
	s_wait_dscnt 0x0
	v_cndmask_b32_e64 v2, v2, v4, s8
	s_delay_alu instid0(VALU_DEP_1)
	v_add_nc_u32_e32 v2, s33, v2
	ds_store_b32 v28, v2
.LBB89_392:                             ;   in Loop: Header=BB89_12 Depth=1
	s_wait_alu 0xfffe
	s_or_b32 exec_lo, exec_lo, s12
	s_load_b64 s[12:13], s[28:29], 0x0
	v_add_co_u32 v81, vcc_lo, v56, v66
	s_wait_alu 0xfffd
	v_add_co_ci_u32_e64 v82, null, 0, v57, vcc_lo
	v_add_co_u32 v83, vcc_lo, v59, v58
	s_wait_alu 0xfffd
	v_add_co_ci_u32_e64 v84, null, 0, v60, vcc_lo
	s_mov_b32 s42, s47
                                        ; implicit-def: $vgpr6_vgpr7
                                        ; implicit-def: $vgpr8_vgpr9
                                        ; implicit-def: $vgpr10_vgpr11
                                        ; implicit-def: $vgpr12_vgpr13
                                        ; implicit-def: $vgpr14_vgpr15
                                        ; implicit-def: $vgpr16_vgpr17
                                        ; implicit-def: $vgpr18_vgpr19
                                        ; implicit-def: $vgpr86
                                        ; implicit-def: $vgpr87
                                        ; implicit-def: $vgpr88
                                        ; implicit-def: $vgpr89
                                        ; implicit-def: $vgpr90
                                        ; implicit-def: $vgpr91
                                        ; implicit-def: $vgpr92
                                        ; implicit-def: $vgpr93
	s_wait_kmcnt 0x0
	s_cmp_lt_u32 ttmp7, s13
	s_cselect_b32 s22, 14, 20
	s_cmp_lt_u32 ttmp9, s12
	s_wait_alu 0xfffe
	s_add_nc_u64 s[14:15], s[28:29], s[22:23]
	s_cselect_b32 s22, 12, 18
	s_load_u16 s14, s[14:15], 0x0
	s_add_nc_u64 s[12:13], s[28:29], s[22:23]
	s_mov_b32 s22, s33
	s_load_u16 s12, s[12:13], 0x0
	v_cmp_lt_u32_e64 s13, 1, v65
	s_wait_dscnt 0x0
	s_wait_kmcnt 0x0
	v_mad_u32_u24 v2, v44, s14, v0
	v_cmp_lt_u32_e64 s14, 3, v65
	s_delay_alu instid0(VALU_DEP_2) | instskip(SKIP_1) | instid1(VALU_DEP_2)
	v_mad_co_u64_u32 v[4:5], null, v2, s12, v[1:2]
	v_cmp_eq_u32_e64 s12, 0, v65
	v_lshrrev_b32_e32 v2, 3, v4
                                        ; implicit-def: $vgpr4_vgpr5
	s_delay_alu instid0(VALU_DEP_1)
	v_and_b32_e32 v85, 0x1ffffffc, v2
	s_branch .LBB89_394
.LBB89_393:                             ;   in Loop: Header=BB89_394 Depth=2
	s_wait_alu 0xfffe
	s_or_b32 exec_lo, exec_lo, s15
	s_addk_co_i32 s42, 0xf800
	s_cmp_lt_u32 s43, s34
	s_mov_b32 s22, s43
	s_cbranch_scc0 .LBB89_506
.LBB89_394:                             ;   Parent Loop BB89_12 Depth=1
                                        ; =>  This Inner Loop Header: Depth=2
	s_wait_alu 0xfffe
	s_add_co_i32 s43, s22, 0x800
	s_wait_alu 0xfffe
	s_cmp_gt_u32 s43, s34
	s_cbranch_scc1 .LBB89_396
; %bb.395:                              ;   in Loop: Header=BB89_394 Depth=2
	v_add_co_u32 v20, vcc_lo, v83, s22
	s_wait_alu 0xfffd
	v_add_co_ci_u32_e64 v21, null, 0, v84, vcc_lo
	s_mov_b32 s15, -1
	s_clause 0x6
	global_load_u8 v23, v[20:21], off offset:192
	global_load_u8 v24, v[20:21], off offset:160
	;; [unrolled: 1-line block ×6, first 2 shown]
	global_load_u8 v94, v[20:21], off
	s_movk_i32 s16, 0x800
                                        ; implicit-def: $vgpr22
	s_cbranch_execz .LBB89_397
	s_branch .LBB89_407
.LBB89_396:                             ;   in Loop: Header=BB89_394 Depth=2
	s_mov_b32 s15, 0
                                        ; implicit-def: $vgpr94
                                        ; implicit-def: $vgpr96
                                        ; implicit-def: $vgpr27
                                        ; implicit-def: $vgpr26
                                        ; implicit-def: $vgpr25
                                        ; implicit-def: $vgpr24
                                        ; implicit-def: $vgpr23
	s_movk_i32 s16, 0x800
                                        ; implicit-def: $vgpr22
.LBB89_397:                             ;   in Loop: Header=BB89_394 Depth=2
	v_add_co_u32 v20, vcc_lo, v83, s22
	s_wait_alu 0xfffd
	v_add_co_ci_u32_e64 v21, null, 0, v84, vcc_lo
	s_wait_loadcnt 0x0
	v_dual_mov_b32 v27, 0 :: v_dual_mov_b32 v94, 0
	v_dual_mov_b32 v26, 0 :: v_dual_mov_b32 v25, 0
	;; [unrolled: 1-line block ×3, first 2 shown]
	v_mov_b32_e32 v22, 0
	s_mov_b32 s15, exec_lo
	v_cmpx_gt_u32_e64 s42, v68
	s_cbranch_execz .LBB89_399
; %bb.398:                              ;   in Loop: Header=BB89_394 Depth=2
	global_load_u8 v94, v[20:21], off
	v_dual_mov_b32 v26, 0 :: v_dual_mov_b32 v25, 0
	v_dual_mov_b32 v24, 0 :: v_dual_mov_b32 v23, 0
	v_mov_b32_e32 v22, 0
.LBB89_399:                             ;   in Loop: Header=BB89_394 Depth=2
	s_wait_alu 0xfffe
	s_or_b32 exec_lo, exec_lo, s15
	v_mov_b32_e32 v96, v27
	s_mov_b32 s15, exec_lo
	v_cmpx_gt_u32_e64 s42, v71
	s_cbranch_execnz .LBB89_501
; %bb.400:                              ;   in Loop: Header=BB89_394 Depth=2
	s_wait_alu 0xfffe
	s_or_b32 exec_lo, exec_lo, s15
	s_delay_alu instid0(SALU_CYCLE_1)
	s_mov_b32 s15, exec_lo
	v_cmpx_gt_u32_e64 s42, v72
	s_cbranch_execnz .LBB89_502
.LBB89_401:                             ;   in Loop: Header=BB89_394 Depth=2
	s_wait_alu 0xfffe
	s_or_b32 exec_lo, exec_lo, s15
	s_delay_alu instid0(SALU_CYCLE_1)
	s_mov_b32 s15, exec_lo
	v_cmpx_gt_u32_e64 s42, v73
	s_cbranch_execnz .LBB89_503
.LBB89_402:                             ;   in Loop: Header=BB89_394 Depth=2
	s_wait_alu 0xfffe
	s_or_b32 exec_lo, exec_lo, s15
	s_delay_alu instid0(SALU_CYCLE_1)
	s_mov_b32 s15, exec_lo
	v_cmpx_gt_u32_e64 s42, v74
	s_cbranch_execnz .LBB89_504
.LBB89_403:                             ;   in Loop: Header=BB89_394 Depth=2
	s_wait_alu 0xfffe
	s_or_b32 exec_lo, exec_lo, s15
	s_delay_alu instid0(SALU_CYCLE_1)
	s_mov_b32 s15, exec_lo
	v_cmpx_gt_u32_e64 s42, v75
	s_cbranch_execnz .LBB89_505
.LBB89_404:                             ;   in Loop: Header=BB89_394 Depth=2
	s_wait_alu 0xfffe
	s_or_b32 exec_lo, exec_lo, s15
	s_delay_alu instid0(SALU_CYCLE_1)
	s_mov_b32 s15, exec_lo
	v_cmpx_gt_u32_e64 s42, v76
	s_cbranch_execz .LBB89_406
.LBB89_405:                             ;   in Loop: Header=BB89_394 Depth=2
	global_load_u8 v23, v[20:21], off offset:192
.LBB89_406:                             ;   in Loop: Header=BB89_394 Depth=2
	s_wait_alu 0xfffe
	s_or_b32 exec_lo, exec_lo, s15
	v_cmp_gt_u32_e64 s15, s42, v77
	s_sub_co_i32 s16, s34, s22
.LBB89_407:                             ;   in Loop: Header=BB89_394 Depth=2
	v_mov_b32_e32 v2, s42
	s_wait_alu 0xfffe
	s_and_saveexec_b32 s17, s15
	s_cbranch_execz .LBB89_409
; %bb.408:                              ;   in Loop: Header=BB89_394 Depth=2
	v_add_co_u32 v20, vcc_lo, v83, s22
	s_wait_alu 0xfffd
	v_add_co_ci_u32_e64 v21, null, s23, v84, vcc_lo
	v_mov_b32_e32 v2, s16
	global_load_u8 v22, v[20:21], off offset:224
.LBB89_409:                             ;   in Loop: Header=BB89_394 Depth=2
	s_wait_alu 0xfffe
	s_or_b32 exec_lo, exec_lo, s17
	s_wait_loadcnt 0x0
	v_xor_b32_e32 v94, -1, v94
	s_delay_alu instid0(VALU_DEP_1) | instskip(NEXT) | instid1(VALU_DEP_1)
	v_and_b32_e32 v20, 0xff, v94
	v_lshrrev_b32_e32 v20, s45, v20
	s_delay_alu instid0(VALU_DEP_1) | instskip(NEXT) | instid1(VALU_DEP_1)
	v_and_b32_e32 v21, s31, v20
	v_and_b32_e32 v20, 1, v21
	v_lshlrev_b32_e32 v95, 30, v21
	v_lshlrev_b32_e32 v97, 29, v21
	;; [unrolled: 1-line block ×4, first 2 shown]
	v_add_co_u32 v20, s15, v20, -1
	s_wait_alu 0xf1ff
	v_cndmask_b32_e64 v99, 0, 1, s15
	v_not_b32_e32 v103, v95
	v_cmp_gt_i32_e64 s15, 0, v95
	v_not_b32_e32 v95, v97
	v_lshlrev_b32_e32 v101, 26, v21
	v_cmp_ne_u32_e32 vcc_lo, 0, v99
	v_ashrrev_i32_e32 v103, 31, v103
	v_lshlrev_b32_e32 v102, 25, v21
	v_ashrrev_i32_e32 v95, 31, v95
	v_lshlrev_b32_e32 v99, 24, v21
	s_wait_alu 0xfffd
	v_xor_b32_e32 v20, vcc_lo, v20
	v_cmp_gt_i32_e32 vcc_lo, 0, v97
	v_not_b32_e32 v97, v98
	s_wait_alu 0xf1ff
	v_xor_b32_e32 v103, s15, v103
	v_cmp_gt_i32_e64 s15, 0, v98
	v_and_b32_e32 v20, exec_lo, v20
	v_not_b32_e32 v98, v100
	v_ashrrev_i32_e32 v97, 31, v97
	s_wait_alu 0xfffd
	v_xor_b32_e32 v95, vcc_lo, v95
	v_cmp_gt_i32_e32 vcc_lo, 0, v100
	v_and_b32_e32 v20, v20, v103
	v_not_b32_e32 v100, v101
	v_ashrrev_i32_e32 v98, 31, v98
	s_wait_alu 0xf1ff
	v_xor_b32_e32 v97, s15, v97
	v_cmp_gt_i32_e64 s15, 0, v101
	v_and_b32_e32 v20, v20, v95
	v_not_b32_e32 v95, v102
	v_ashrrev_i32_e32 v100, 31, v100
	s_wait_alu 0xfffd
	v_xor_b32_e32 v98, vcc_lo, v98
	v_cmp_gt_i32_e32 vcc_lo, 0, v102
	v_and_b32_e32 v20, v20, v97
	v_not_b32_e32 v97, v99
	v_ashrrev_i32_e32 v95, 31, v95
	s_wait_alu 0xf1ff
	v_xor_b32_e32 v100, s15, v100
	v_cmp_gt_i32_e64 s15, 0, v99
	v_and_b32_e32 v20, v20, v98
	v_ashrrev_i32_e32 v97, 31, v97
	s_wait_alu 0xfffd
	v_xor_b32_e32 v95, vcc_lo, v95
	v_mul_u32_u24_e32 v21, 36, v21
	v_add_nc_u32_e32 v99, 0x428, v45
	v_and_b32_e32 v20, v20, v100
	s_wait_alu 0xf1ff
	v_xor_b32_e32 v98, s15, v97
	v_add_nc_u32_e32 v97, 0x438, v45
	v_add_nc_u32_e32 v100, 0x430, v45
	;; [unrolled: 1-line block ×3, first 2 shown]
	v_and_b32_e32 v20, v20, v95
	ds_store_2addr_b32 v97, v3, v3 offset1:1
	v_and_b32_e32 v20, v20, v98
	v_add_nc_u32_e32 v98, 0x420, v45
	ds_store_2addr_b32 v98, v3, v3 offset1:1
	ds_store_2addr_b32 v99, v3, v3 offset1:1
	;; [unrolled: 1-line block ×3, first 2 shown]
	ds_store_b32 v45, v3 offset:1088
	v_mbcnt_lo_u32_b32 v95, v20, 0
	v_cmp_ne_u32_e64 s15, 0, v20
	s_wait_dscnt 0x0
	s_barrier_signal -1
	s_barrier_wait -1
	v_cmp_eq_u32_e32 vcc_lo, 0, v95
	global_inv scope:SCOPE_SE
	; wave barrier
	s_and_b32 s16, s15, vcc_lo
	s_wait_alu 0xfffe
	s_and_saveexec_b32 s15, s16
; %bb.410:                              ;   in Loop: Header=BB89_394 Depth=2
	v_bcnt_u32_b32 v20, v20, 0
	ds_store_b32 v101, v20 offset:1056
; %bb.411:                              ;   in Loop: Header=BB89_394 Depth=2
	s_wait_alu 0xfffe
	s_or_b32 exec_lo, exec_lo, s15
	v_xor_b32_e32 v96, -1, v96
	; wave barrier
	s_delay_alu instid0(VALU_DEP_1) | instskip(NEXT) | instid1(VALU_DEP_1)
	v_and_b32_e32 v20, 0xff, v96
	v_lshrrev_b32_e32 v20, s45, v20
	s_delay_alu instid0(VALU_DEP_1) | instskip(NEXT) | instid1(VALU_DEP_1)
	v_and_b32_e32 v21, s31, v20
	v_and_b32_e32 v20, 1, v21
	v_lshlrev_b32_e32 v102, 30, v21
	v_lshlrev_b32_e32 v103, 29, v21
	;; [unrolled: 1-line block ×4, first 2 shown]
	v_add_co_u32 v20, s15, v20, -1
	s_wait_alu 0xf1ff
	v_cndmask_b32_e64 v105, 0, 1, s15
	v_not_b32_e32 v109, v102
	v_cmp_gt_i32_e64 s15, 0, v102
	v_not_b32_e32 v102, v103
	v_lshlrev_b32_e32 v107, 26, v21
	v_cmp_ne_u32_e32 vcc_lo, 0, v105
	v_ashrrev_i32_e32 v109, 31, v109
	v_lshlrev_b32_e32 v108, 25, v21
	v_ashrrev_i32_e32 v102, 31, v102
	v_lshlrev_b32_e32 v105, 24, v21
	s_wait_alu 0xfffd
	v_xor_b32_e32 v20, vcc_lo, v20
	v_cmp_gt_i32_e32 vcc_lo, 0, v103
	v_not_b32_e32 v103, v104
	s_wait_alu 0xf1ff
	v_xor_b32_e32 v109, s15, v109
	v_cmp_gt_i32_e64 s15, 0, v104
	v_and_b32_e32 v20, exec_lo, v20
	v_not_b32_e32 v104, v106
	v_ashrrev_i32_e32 v103, 31, v103
	s_wait_alu 0xfffd
	v_xor_b32_e32 v102, vcc_lo, v102
	v_cmp_gt_i32_e32 vcc_lo, 0, v106
	v_and_b32_e32 v20, v20, v109
	v_not_b32_e32 v106, v107
	v_ashrrev_i32_e32 v104, 31, v104
	s_wait_alu 0xf1ff
	v_xor_b32_e32 v103, s15, v103
	v_cmp_gt_i32_e64 s15, 0, v107
	v_and_b32_e32 v20, v20, v102
	v_not_b32_e32 v102, v108
	v_ashrrev_i32_e32 v106, 31, v106
	s_wait_alu 0xfffd
	v_xor_b32_e32 v104, vcc_lo, v104
	v_cmp_gt_i32_e32 vcc_lo, 0, v108
	v_and_b32_e32 v20, v20, v103
	v_not_b32_e32 v103, v105
	v_ashrrev_i32_e32 v102, 31, v102
	s_wait_alu 0xf1ff
	v_xor_b32_e32 v106, s15, v106
	v_cmp_gt_i32_e64 s15, 0, v105
	v_and_b32_e32 v20, v20, v104
	v_ashrrev_i32_e32 v103, 31, v103
	s_wait_alu 0xfffd
	v_xor_b32_e32 v102, vcc_lo, v102
	v_mad_u32_u24 v104, v21, 36, v85
	v_mul_u32_u24_e32 v21, 36, v21
	v_and_b32_e32 v20, v20, v106
	s_wait_alu 0xf1ff
	v_xor_b32_e32 v103, s15, v103
	s_delay_alu instid0(VALU_DEP_3) | instskip(NEXT) | instid1(VALU_DEP_3)
	v_add_nc_u32_e32 v105, v85, v21
	v_and_b32_e32 v20, v20, v102
	ds_load_b32 v102, v104 offset:1056
	; wave barrier
	v_and_b32_e32 v20, v20, v103
	s_delay_alu instid0(VALU_DEP_1) | instskip(SKIP_1) | instid1(VALU_DEP_2)
	v_mbcnt_lo_u32_b32 v103, v20, 0
	v_cmp_ne_u32_e64 s15, 0, v20
	v_cmp_eq_u32_e32 vcc_lo, 0, v103
	s_and_b32 s16, s15, vcc_lo
	s_wait_alu 0xfffe
	s_and_saveexec_b32 s15, s16
	s_cbranch_execz .LBB89_413
; %bb.412:                              ;   in Loop: Header=BB89_394 Depth=2
	s_wait_dscnt 0x0
	v_bcnt_u32_b32 v20, v20, v102
	ds_store_b32 v105, v20 offset:1056
.LBB89_413:                             ;   in Loop: Header=BB89_394 Depth=2
	s_wait_alu 0xfffe
	s_or_b32 exec_lo, exec_lo, s15
	v_xor_b32_e32 v104, -1, v27
	; wave barrier
	s_delay_alu instid0(VALU_DEP_1) | instskip(NEXT) | instid1(VALU_DEP_1)
	v_and_b32_e32 v20, 0xff, v104
	v_lshrrev_b32_e32 v20, s45, v20
	s_delay_alu instid0(VALU_DEP_1) | instskip(NEXT) | instid1(VALU_DEP_1)
	v_and_b32_e32 v21, s31, v20
	v_and_b32_e32 v20, 1, v21
	v_lshlrev_b32_e32 v27, 30, v21
	v_lshlrev_b32_e32 v106, 29, v21
	;; [unrolled: 1-line block ×4, first 2 shown]
	v_add_co_u32 v20, s15, v20, -1
	s_wait_alu 0xf1ff
	v_cndmask_b32_e64 v108, 0, 1, s15
	v_not_b32_e32 v112, v27
	v_cmp_gt_i32_e64 s15, 0, v27
	v_not_b32_e32 v27, v106
	v_lshlrev_b32_e32 v110, 26, v21
	v_cmp_ne_u32_e32 vcc_lo, 0, v108
	v_ashrrev_i32_e32 v112, 31, v112
	v_lshlrev_b32_e32 v111, 25, v21
	v_ashrrev_i32_e32 v27, 31, v27
	v_lshlrev_b32_e32 v108, 24, v21
	s_wait_alu 0xfffd
	v_xor_b32_e32 v20, vcc_lo, v20
	v_cmp_gt_i32_e32 vcc_lo, 0, v106
	v_not_b32_e32 v106, v107
	s_wait_alu 0xf1ff
	v_xor_b32_e32 v112, s15, v112
	v_cmp_gt_i32_e64 s15, 0, v107
	v_and_b32_e32 v20, exec_lo, v20
	v_not_b32_e32 v107, v109
	v_ashrrev_i32_e32 v106, 31, v106
	s_wait_alu 0xfffd
	v_xor_b32_e32 v27, vcc_lo, v27
	v_cmp_gt_i32_e32 vcc_lo, 0, v109
	v_and_b32_e32 v20, v20, v112
	v_not_b32_e32 v109, v110
	v_ashrrev_i32_e32 v107, 31, v107
	s_wait_alu 0xf1ff
	v_xor_b32_e32 v106, s15, v106
	v_cmp_gt_i32_e64 s15, 0, v110
	v_and_b32_e32 v20, v20, v27
	v_not_b32_e32 v27, v111
	v_ashrrev_i32_e32 v109, 31, v109
	s_wait_alu 0xfffd
	v_xor_b32_e32 v107, vcc_lo, v107
	v_cmp_gt_i32_e32 vcc_lo, 0, v111
	v_and_b32_e32 v20, v20, v106
	v_not_b32_e32 v106, v108
	v_ashrrev_i32_e32 v27, 31, v27
	s_wait_alu 0xf1ff
	v_xor_b32_e32 v109, s15, v109
	v_cmp_gt_i32_e64 s15, 0, v108
	v_and_b32_e32 v20, v20, v107
	v_ashrrev_i32_e32 v106, 31, v106
	s_wait_alu 0xfffd
	v_xor_b32_e32 v27, vcc_lo, v27
	v_mad_u32_u24 v107, v21, 36, v85
	v_mul_u32_u24_e32 v21, 36, v21
	v_and_b32_e32 v20, v20, v109
	s_wait_alu 0xf1ff
	v_xor_b32_e32 v108, s15, v106
	ds_load_b32 v106, v107 offset:1056
	v_add_nc_u32_e32 v109, v85, v21
	v_and_b32_e32 v20, v20, v27
	; wave barrier
	s_delay_alu instid0(VALU_DEP_1) | instskip(NEXT) | instid1(VALU_DEP_1)
	v_and_b32_e32 v20, v20, v108
	v_mbcnt_lo_u32_b32 v107, v20, 0
	v_cmp_ne_u32_e64 s15, 0, v20
	s_delay_alu instid0(VALU_DEP_2)
	v_cmp_eq_u32_e32 vcc_lo, 0, v107
	s_and_b32 s16, s15, vcc_lo
	s_wait_alu 0xfffe
	s_and_saveexec_b32 s15, s16
	s_cbranch_execz .LBB89_415
; %bb.414:                              ;   in Loop: Header=BB89_394 Depth=2
	s_wait_dscnt 0x0
	v_bcnt_u32_b32 v20, v20, v106
	ds_store_b32 v109, v20 offset:1056
.LBB89_415:                             ;   in Loop: Header=BB89_394 Depth=2
	s_wait_alu 0xfffe
	s_or_b32 exec_lo, exec_lo, s15
	v_xor_b32_e32 v108, -1, v26
	; wave barrier
	s_delay_alu instid0(VALU_DEP_1) | instskip(NEXT) | instid1(VALU_DEP_1)
	v_and_b32_e32 v20, 0xff, v108
	v_lshrrev_b32_e32 v20, s45, v20
	s_delay_alu instid0(VALU_DEP_1) | instskip(NEXT) | instid1(VALU_DEP_1)
	v_and_b32_e32 v21, s31, v20
	v_and_b32_e32 v20, 1, v21
	v_lshlrev_b32_e32 v26, 30, v21
	v_lshlrev_b32_e32 v27, 29, v21
	;; [unrolled: 1-line block ×4, first 2 shown]
	v_add_co_u32 v20, s15, v20, -1
	s_wait_alu 0xf1ff
	v_cndmask_b32_e64 v111, 0, 1, s15
	v_not_b32_e32 v115, v26
	v_cmp_gt_i32_e64 s15, 0, v26
	v_not_b32_e32 v26, v27
	v_lshlrev_b32_e32 v113, 26, v21
	v_cmp_ne_u32_e32 vcc_lo, 0, v111
	v_ashrrev_i32_e32 v115, 31, v115
	v_lshlrev_b32_e32 v114, 25, v21
	v_ashrrev_i32_e32 v26, 31, v26
	v_lshlrev_b32_e32 v111, 24, v21
	s_wait_alu 0xfffd
	v_xor_b32_e32 v20, vcc_lo, v20
	v_cmp_gt_i32_e32 vcc_lo, 0, v27
	v_not_b32_e32 v27, v110
	s_wait_alu 0xf1ff
	v_xor_b32_e32 v115, s15, v115
	v_cmp_gt_i32_e64 s15, 0, v110
	v_and_b32_e32 v20, exec_lo, v20
	v_not_b32_e32 v110, v112
	v_ashrrev_i32_e32 v27, 31, v27
	s_wait_alu 0xfffd
	v_xor_b32_e32 v26, vcc_lo, v26
	v_cmp_gt_i32_e32 vcc_lo, 0, v112
	v_and_b32_e32 v20, v20, v115
	v_not_b32_e32 v112, v113
	v_ashrrev_i32_e32 v110, 31, v110
	s_wait_alu 0xf1ff
	v_xor_b32_e32 v27, s15, v27
	v_cmp_gt_i32_e64 s15, 0, v113
	v_and_b32_e32 v20, v20, v26
	v_not_b32_e32 v26, v114
	v_ashrrev_i32_e32 v112, 31, v112
	s_wait_alu 0xfffd
	v_xor_b32_e32 v110, vcc_lo, v110
	v_cmp_gt_i32_e32 vcc_lo, 0, v114
	v_and_b32_e32 v20, v20, v27
	v_not_b32_e32 v27, v111
	v_ashrrev_i32_e32 v26, 31, v26
	s_wait_alu 0xf1ff
	v_xor_b32_e32 v112, s15, v112
	v_cmp_gt_i32_e64 s15, 0, v111
	v_and_b32_e32 v20, v20, v110
	v_ashrrev_i32_e32 v27, 31, v27
	s_wait_alu 0xfffd
	v_xor_b32_e32 v26, vcc_lo, v26
	v_mad_u32_u24 v110, v21, 36, v85
	v_mul_u32_u24_e32 v21, 36, v21
	v_and_b32_e32 v20, v20, v112
	s_wait_alu 0xf1ff
	v_xor_b32_e32 v27, s15, v27
	ds_load_b32 v110, v110 offset:1056
	v_add_nc_u32_e32 v113, v85, v21
	v_and_b32_e32 v20, v20, v26
	; wave barrier
	s_delay_alu instid0(VALU_DEP_1) | instskip(NEXT) | instid1(VALU_DEP_1)
	v_and_b32_e32 v20, v20, v27
	v_mbcnt_lo_u32_b32 v111, v20, 0
	v_cmp_ne_u32_e64 s15, 0, v20
	s_delay_alu instid0(VALU_DEP_2)
	v_cmp_eq_u32_e32 vcc_lo, 0, v111
	s_and_b32 s16, s15, vcc_lo
	s_wait_alu 0xfffe
	s_and_saveexec_b32 s15, s16
	s_cbranch_execz .LBB89_417
; %bb.416:                              ;   in Loop: Header=BB89_394 Depth=2
	s_wait_dscnt 0x0
	v_bcnt_u32_b32 v20, v20, v110
	ds_store_b32 v113, v20 offset:1056
.LBB89_417:                             ;   in Loop: Header=BB89_394 Depth=2
	s_wait_alu 0xfffe
	s_or_b32 exec_lo, exec_lo, s15
	v_xor_b32_e32 v112, -1, v25
	; wave barrier
	s_delay_alu instid0(VALU_DEP_1) | instskip(NEXT) | instid1(VALU_DEP_1)
	v_and_b32_e32 v20, 0xff, v112
	v_lshrrev_b32_e32 v20, s45, v20
	s_delay_alu instid0(VALU_DEP_1) | instskip(NEXT) | instid1(VALU_DEP_1)
	v_and_b32_e32 v21, s31, v20
	v_and_b32_e32 v20, 1, v21
	v_lshlrev_b32_e32 v25, 30, v21
	v_lshlrev_b32_e32 v26, 29, v21
	;; [unrolled: 1-line block ×4, first 2 shown]
	v_add_co_u32 v20, s15, v20, -1
	s_wait_alu 0xf1ff
	v_cndmask_b32_e64 v114, 0, 1, s15
	v_not_b32_e32 v118, v25
	v_cmp_gt_i32_e64 s15, 0, v25
	v_not_b32_e32 v25, v26
	v_lshlrev_b32_e32 v116, 26, v21
	v_cmp_ne_u32_e32 vcc_lo, 0, v114
	v_ashrrev_i32_e32 v118, 31, v118
	v_lshlrev_b32_e32 v117, 25, v21
	v_ashrrev_i32_e32 v25, 31, v25
	v_lshlrev_b32_e32 v114, 24, v21
	s_wait_alu 0xfffd
	v_xor_b32_e32 v20, vcc_lo, v20
	v_cmp_gt_i32_e32 vcc_lo, 0, v26
	v_not_b32_e32 v26, v27
	s_wait_alu 0xf1ff
	v_xor_b32_e32 v118, s15, v118
	v_cmp_gt_i32_e64 s15, 0, v27
	v_and_b32_e32 v20, exec_lo, v20
	v_not_b32_e32 v27, v115
	v_ashrrev_i32_e32 v26, 31, v26
	s_wait_alu 0xfffd
	v_xor_b32_e32 v25, vcc_lo, v25
	v_cmp_gt_i32_e32 vcc_lo, 0, v115
	v_and_b32_e32 v20, v20, v118
	v_not_b32_e32 v115, v116
	v_ashrrev_i32_e32 v27, 31, v27
	s_wait_alu 0xf1ff
	v_xor_b32_e32 v26, s15, v26
	v_cmp_gt_i32_e64 s15, 0, v116
	v_and_b32_e32 v20, v20, v25
	v_not_b32_e32 v25, v117
	v_ashrrev_i32_e32 v115, 31, v115
	s_wait_alu 0xfffd
	v_xor_b32_e32 v27, vcc_lo, v27
	v_cmp_gt_i32_e32 vcc_lo, 0, v117
	v_and_b32_e32 v20, v20, v26
	v_not_b32_e32 v26, v114
	v_ashrrev_i32_e32 v25, 31, v25
	s_wait_alu 0xf1ff
	v_xor_b32_e32 v115, s15, v115
	v_cmp_gt_i32_e64 s15, 0, v114
	v_and_b32_e32 v20, v20, v27
	v_ashrrev_i32_e32 v26, 31, v26
	s_wait_alu 0xfffd
	v_xor_b32_e32 v25, vcc_lo, v25
	v_mad_u32_u24 v27, v21, 36, v85
	v_mul_u32_u24_e32 v21, 36, v21
	v_and_b32_e32 v20, v20, v115
	s_wait_alu 0xf1ff
	v_xor_b32_e32 v26, s15, v26
	ds_load_b32 v114, v27 offset:1056
	v_add_nc_u32_e32 v117, v85, v21
	v_and_b32_e32 v20, v20, v25
	; wave barrier
	s_delay_alu instid0(VALU_DEP_1) | instskip(NEXT) | instid1(VALU_DEP_1)
	v_and_b32_e32 v20, v20, v26
	v_mbcnt_lo_u32_b32 v115, v20, 0
	v_cmp_ne_u32_e64 s15, 0, v20
	s_delay_alu instid0(VALU_DEP_2)
	v_cmp_eq_u32_e32 vcc_lo, 0, v115
	s_and_b32 s16, s15, vcc_lo
	s_wait_alu 0xfffe
	s_and_saveexec_b32 s15, s16
	s_cbranch_execz .LBB89_419
; %bb.418:                              ;   in Loop: Header=BB89_394 Depth=2
	s_wait_dscnt 0x0
	v_bcnt_u32_b32 v20, v20, v114
	ds_store_b32 v117, v20 offset:1056
.LBB89_419:                             ;   in Loop: Header=BB89_394 Depth=2
	s_wait_alu 0xfffe
	s_or_b32 exec_lo, exec_lo, s15
	v_xor_b32_e32 v116, -1, v24
	; wave barrier
	s_delay_alu instid0(VALU_DEP_1) | instskip(NEXT) | instid1(VALU_DEP_1)
	v_and_b32_e32 v20, 0xff, v116
	v_lshrrev_b32_e32 v20, s45, v20
	s_delay_alu instid0(VALU_DEP_1) | instskip(NEXT) | instid1(VALU_DEP_1)
	v_and_b32_e32 v21, s31, v20
	v_and_b32_e32 v20, 1, v21
	v_lshlrev_b32_e32 v24, 30, v21
	v_lshlrev_b32_e32 v25, 29, v21
	;; [unrolled: 1-line block ×4, first 2 shown]
	v_add_co_u32 v20, s15, v20, -1
	s_wait_alu 0xf1ff
	v_cndmask_b32_e64 v27, 0, 1, s15
	v_not_b32_e32 v121, v24
	v_cmp_gt_i32_e64 s15, 0, v24
	v_not_b32_e32 v24, v25
	v_lshlrev_b32_e32 v119, 26, v21
	v_cmp_ne_u32_e32 vcc_lo, 0, v27
	v_ashrrev_i32_e32 v121, 31, v121
	v_lshlrev_b32_e32 v120, 25, v21
	v_ashrrev_i32_e32 v24, 31, v24
	v_lshlrev_b32_e32 v27, 24, v21
	s_wait_alu 0xfffd
	v_xor_b32_e32 v20, vcc_lo, v20
	v_cmp_gt_i32_e32 vcc_lo, 0, v25
	v_not_b32_e32 v25, v26
	s_wait_alu 0xf1ff
	v_xor_b32_e32 v121, s15, v121
	v_cmp_gt_i32_e64 s15, 0, v26
	v_and_b32_e32 v20, exec_lo, v20
	v_not_b32_e32 v26, v118
	v_ashrrev_i32_e32 v25, 31, v25
	s_wait_alu 0xfffd
	v_xor_b32_e32 v24, vcc_lo, v24
	v_cmp_gt_i32_e32 vcc_lo, 0, v118
	v_and_b32_e32 v20, v20, v121
	v_not_b32_e32 v118, v119
	v_ashrrev_i32_e32 v26, 31, v26
	s_wait_alu 0xf1ff
	v_xor_b32_e32 v25, s15, v25
	v_cmp_gt_i32_e64 s15, 0, v119
	v_and_b32_e32 v20, v20, v24
	v_not_b32_e32 v24, v120
	v_ashrrev_i32_e32 v118, 31, v118
	s_wait_alu 0xfffd
	v_xor_b32_e32 v26, vcc_lo, v26
	v_cmp_gt_i32_e32 vcc_lo, 0, v120
	v_and_b32_e32 v20, v20, v25
	v_not_b32_e32 v25, v27
	v_ashrrev_i32_e32 v24, 31, v24
	s_wait_alu 0xf1ff
	v_xor_b32_e32 v118, s15, v118
	v_cmp_gt_i32_e64 s15, 0, v27
	v_and_b32_e32 v20, v20, v26
	v_ashrrev_i32_e32 v25, 31, v25
	s_wait_alu 0xfffd
	v_xor_b32_e32 v24, vcc_lo, v24
	v_mad_u32_u24 v26, v21, 36, v85
	v_mul_u32_u24_e32 v21, 36, v21
	v_and_b32_e32 v20, v20, v118
	s_wait_alu 0xf1ff
	v_xor_b32_e32 v25, s15, v25
	ds_load_b32 v118, v26 offset:1056
	v_add_nc_u32_e32 v121, v85, v21
	v_and_b32_e32 v20, v20, v24
	; wave barrier
	s_delay_alu instid0(VALU_DEP_1) | instskip(NEXT) | instid1(VALU_DEP_1)
	v_and_b32_e32 v20, v20, v25
	v_mbcnt_lo_u32_b32 v119, v20, 0
	v_cmp_ne_u32_e64 s15, 0, v20
	s_delay_alu instid0(VALU_DEP_2)
	v_cmp_eq_u32_e32 vcc_lo, 0, v119
	s_and_b32 s16, s15, vcc_lo
	s_wait_alu 0xfffe
	s_and_saveexec_b32 s15, s16
	s_cbranch_execz .LBB89_421
; %bb.420:                              ;   in Loop: Header=BB89_394 Depth=2
	s_wait_dscnt 0x0
	v_bcnt_u32_b32 v20, v20, v118
	ds_store_b32 v121, v20 offset:1056
.LBB89_421:                             ;   in Loop: Header=BB89_394 Depth=2
	s_wait_alu 0xfffe
	s_or_b32 exec_lo, exec_lo, s15
	v_xor_b32_e32 v120, -1, v23
	; wave barrier
	s_delay_alu instid0(VALU_DEP_1) | instskip(NEXT) | instid1(VALU_DEP_1)
	v_and_b32_e32 v20, 0xff, v120
	v_lshrrev_b32_e32 v20, s45, v20
	s_delay_alu instid0(VALU_DEP_1) | instskip(NEXT) | instid1(VALU_DEP_1)
	v_and_b32_e32 v21, s31, v20
	v_and_b32_e32 v20, 1, v21
	v_lshlrev_b32_e32 v23, 30, v21
	v_lshlrev_b32_e32 v24, 29, v21
	v_lshlrev_b32_e32 v25, 28, v21
	v_lshlrev_b32_e32 v27, 27, v21
	v_add_co_u32 v20, s15, v20, -1
	s_wait_alu 0xf1ff
	v_cndmask_b32_e64 v26, 0, 1, s15
	v_not_b32_e32 v124, v23
	v_cmp_gt_i32_e64 s15, 0, v23
	v_not_b32_e32 v23, v24
	v_lshlrev_b32_e32 v122, 26, v21
	v_cmp_ne_u32_e32 vcc_lo, 0, v26
	v_ashrrev_i32_e32 v124, 31, v124
	v_lshlrev_b32_e32 v123, 25, v21
	v_ashrrev_i32_e32 v23, 31, v23
	v_lshlrev_b32_e32 v26, 24, v21
	s_wait_alu 0xfffd
	v_xor_b32_e32 v20, vcc_lo, v20
	v_cmp_gt_i32_e32 vcc_lo, 0, v24
	v_not_b32_e32 v24, v25
	s_wait_alu 0xf1ff
	v_xor_b32_e32 v124, s15, v124
	v_cmp_gt_i32_e64 s15, 0, v25
	v_and_b32_e32 v20, exec_lo, v20
	v_not_b32_e32 v25, v27
	v_ashrrev_i32_e32 v24, 31, v24
	s_wait_alu 0xfffd
	v_xor_b32_e32 v23, vcc_lo, v23
	v_cmp_gt_i32_e32 vcc_lo, 0, v27
	v_and_b32_e32 v20, v20, v124
	v_not_b32_e32 v27, v122
	v_ashrrev_i32_e32 v25, 31, v25
	s_wait_alu 0xf1ff
	v_xor_b32_e32 v24, s15, v24
	v_cmp_gt_i32_e64 s15, 0, v122
	v_and_b32_e32 v20, v20, v23
	v_not_b32_e32 v23, v123
	v_ashrrev_i32_e32 v27, 31, v27
	s_wait_alu 0xfffd
	v_xor_b32_e32 v25, vcc_lo, v25
	v_cmp_gt_i32_e32 vcc_lo, 0, v123
	v_and_b32_e32 v20, v20, v24
	v_not_b32_e32 v24, v26
	v_ashrrev_i32_e32 v23, 31, v23
	s_wait_alu 0xf1ff
	v_xor_b32_e32 v27, s15, v27
	v_cmp_gt_i32_e64 s15, 0, v26
	v_and_b32_e32 v20, v20, v25
	v_ashrrev_i32_e32 v24, 31, v24
	s_wait_alu 0xfffd
	v_xor_b32_e32 v23, vcc_lo, v23
	v_mad_u32_u24 v25, v21, 36, v85
	v_mul_u32_u24_e32 v21, 36, v21
	v_and_b32_e32 v20, v20, v27
	s_wait_alu 0xf1ff
	v_xor_b32_e32 v24, s15, v24
	ds_load_b32 v122, v25 offset:1056
	v_add_nc_u32_e32 v125, v85, v21
	v_and_b32_e32 v20, v20, v23
	; wave barrier
	s_delay_alu instid0(VALU_DEP_1) | instskip(NEXT) | instid1(VALU_DEP_1)
	v_and_b32_e32 v20, v20, v24
	v_mbcnt_lo_u32_b32 v123, v20, 0
	v_cmp_ne_u32_e64 s15, 0, v20
	s_delay_alu instid0(VALU_DEP_2)
	v_cmp_eq_u32_e32 vcc_lo, 0, v123
	s_and_b32 s16, s15, vcc_lo
	s_wait_alu 0xfffe
	s_and_saveexec_b32 s15, s16
	s_cbranch_execz .LBB89_423
; %bb.422:                              ;   in Loop: Header=BB89_394 Depth=2
	s_wait_dscnt 0x0
	v_bcnt_u32_b32 v20, v20, v122
	ds_store_b32 v125, v20 offset:1056
.LBB89_423:                             ;   in Loop: Header=BB89_394 Depth=2
	s_wait_alu 0xfffe
	s_or_b32 exec_lo, exec_lo, s15
	v_xor_b32_e32 v124, -1, v22
	; wave barrier
	s_delay_alu instid0(VALU_DEP_1) | instskip(NEXT) | instid1(VALU_DEP_1)
	v_and_b32_e32 v20, 0xff, v124
	v_lshrrev_b32_e32 v20, s45, v20
	s_delay_alu instid0(VALU_DEP_1) | instskip(NEXT) | instid1(VALU_DEP_1)
	v_and_b32_e32 v21, s31, v20
	v_and_b32_e32 v20, 1, v21
	v_lshlrev_b32_e32 v22, 30, v21
	v_lshlrev_b32_e32 v23, 29, v21
	;; [unrolled: 1-line block ×4, first 2 shown]
	v_add_co_u32 v20, s15, v20, -1
	s_wait_alu 0xf1ff
	v_cndmask_b32_e64 v25, 0, 1, s15
	v_not_b32_e32 v127, v22
	v_cmp_gt_i32_e64 s15, 0, v22
	v_not_b32_e32 v22, v23
	v_lshlrev_b32_e32 v27, 26, v21
	v_cmp_ne_u32_e32 vcc_lo, 0, v25
	v_ashrrev_i32_e32 v127, 31, v127
	v_lshlrev_b32_e32 v126, 25, v21
	v_ashrrev_i32_e32 v22, 31, v22
	v_lshlrev_b32_e32 v25, 24, v21
	s_wait_alu 0xfffd
	v_xor_b32_e32 v20, vcc_lo, v20
	v_cmp_gt_i32_e32 vcc_lo, 0, v23
	v_not_b32_e32 v23, v24
	s_wait_alu 0xf1ff
	v_xor_b32_e32 v127, s15, v127
	v_cmp_gt_i32_e64 s15, 0, v24
	v_and_b32_e32 v20, exec_lo, v20
	v_not_b32_e32 v24, v26
	v_ashrrev_i32_e32 v23, 31, v23
	s_wait_alu 0xfffd
	v_xor_b32_e32 v22, vcc_lo, v22
	v_cmp_gt_i32_e32 vcc_lo, 0, v26
	v_and_b32_e32 v20, v20, v127
	v_not_b32_e32 v26, v27
	v_ashrrev_i32_e32 v24, 31, v24
	s_wait_alu 0xf1ff
	v_xor_b32_e32 v23, s15, v23
	v_cmp_gt_i32_e64 s15, 0, v27
	v_and_b32_e32 v20, v20, v22
	v_not_b32_e32 v22, v126
	v_ashrrev_i32_e32 v26, 31, v26
	s_wait_alu 0xfffd
	v_xor_b32_e32 v24, vcc_lo, v24
	v_cmp_gt_i32_e32 vcc_lo, 0, v126
	v_and_b32_e32 v20, v20, v23
	v_not_b32_e32 v23, v25
	v_ashrrev_i32_e32 v22, 31, v22
	s_wait_alu 0xf1ff
	v_xor_b32_e32 v26, s15, v26
	v_cmp_gt_i32_e64 s15, 0, v25
	v_and_b32_e32 v20, v20, v24
	v_ashrrev_i32_e32 v23, 31, v23
	s_wait_alu 0xfffd
	v_xor_b32_e32 v22, vcc_lo, v22
	v_mad_u32_u24 v24, v21, 36, v85
	v_mul_u32_u24_e32 v21, 36, v21
	v_and_b32_e32 v20, v20, v26
	s_wait_alu 0xf1ff
	v_xor_b32_e32 v23, s15, v23
	ds_load_b32 v126, v24 offset:1056
	v_add_nc_u32_e32 v128, v85, v21
	v_and_b32_e32 v20, v20, v22
	; wave barrier
	s_delay_alu instid0(VALU_DEP_1) | instskip(NEXT) | instid1(VALU_DEP_1)
	v_and_b32_e32 v20, v20, v23
	v_mbcnt_lo_u32_b32 v127, v20, 0
	v_cmp_ne_u32_e64 s15, 0, v20
	s_delay_alu instid0(VALU_DEP_2)
	v_cmp_eq_u32_e32 vcc_lo, 0, v127
	s_and_b32 s16, s15, vcc_lo
	s_wait_alu 0xfffe
	s_and_saveexec_b32 s15, s16
	s_cbranch_execz .LBB89_425
; %bb.424:                              ;   in Loop: Header=BB89_394 Depth=2
	s_wait_dscnt 0x0
	v_bcnt_u32_b32 v20, v20, v126
	ds_store_b32 v128, v20 offset:1056
.LBB89_425:                             ;   in Loop: Header=BB89_394 Depth=2
	s_wait_alu 0xfffe
	s_or_b32 exec_lo, exec_lo, s15
	; wave barrier
	s_wait_loadcnt_dscnt 0x0
	s_barrier_signal -1
	s_barrier_wait -1
	global_inv scope:SCOPE_SE
	ds_load_2addr_b32 v[26:27], v98 offset1:1
	ds_load_2addr_b32 v[24:25], v99 offset1:1
	;; [unrolled: 1-line block ×4, first 2 shown]
	ds_load_b32 v129, v45 offset:1088
	s_wait_dscnt 0x3
	v_add3_u32 v130, v27, v26, v24
	s_wait_dscnt 0x2
	s_delay_alu instid0(VALU_DEP_1) | instskip(SKIP_1) | instid1(VALU_DEP_1)
	v_add3_u32 v130, v130, v25, v22
	s_wait_dscnt 0x1
	v_add3_u32 v130, v130, v23, v20
	s_wait_dscnt 0x0
	s_delay_alu instid0(VALU_DEP_1) | instskip(NEXT) | instid1(VALU_DEP_1)
	v_add3_u32 v129, v130, v21, v129
	v_mov_b32_dpp v130, v129 row_shr:1 row_mask:0xf bank_mask:0xf
	s_delay_alu instid0(VALU_DEP_1) | instskip(NEXT) | instid1(VALU_DEP_1)
	v_cndmask_b32_e64 v130, v130, 0, s0
	v_add_nc_u32_e32 v129, v130, v129
	s_delay_alu instid0(VALU_DEP_1) | instskip(NEXT) | instid1(VALU_DEP_1)
	v_mov_b32_dpp v130, v129 row_shr:2 row_mask:0xf bank_mask:0xf
	v_cndmask_b32_e64 v130, 0, v130, s1
	s_delay_alu instid0(VALU_DEP_1) | instskip(NEXT) | instid1(VALU_DEP_1)
	v_add_nc_u32_e32 v129, v129, v130
	v_mov_b32_dpp v130, v129 row_shr:4 row_mask:0xf bank_mask:0xf
	s_delay_alu instid0(VALU_DEP_1) | instskip(NEXT) | instid1(VALU_DEP_1)
	v_cndmask_b32_e64 v130, 0, v130, s9
	v_add_nc_u32_e32 v129, v129, v130
	s_delay_alu instid0(VALU_DEP_1) | instskip(NEXT) | instid1(VALU_DEP_1)
	v_mov_b32_dpp v130, v129 row_shr:8 row_mask:0xf bank_mask:0xf
	v_cndmask_b32_e64 v130, 0, v130, s10
	s_delay_alu instid0(VALU_DEP_1) | instskip(SKIP_3) | instid1(VALU_DEP_1)
	v_add_nc_u32_e32 v129, v129, v130
	ds_swizzle_b32 v130, v129 offset:swizzle(BROADCAST,32,15)
	s_wait_dscnt 0x0
	v_cndmask_b32_e64 v130, v130, 0, s11
	v_add_nc_u32_e32 v129, v129, v130
	s_and_saveexec_b32 s15, s3
; %bb.426:                              ;   in Loop: Header=BB89_394 Depth=2
	ds_store_b32 v38, v129 offset:1024
; %bb.427:                              ;   in Loop: Header=BB89_394 Depth=2
	s_wait_alu 0xfffe
	s_or_b32 exec_lo, exec_lo, s15
	s_wait_loadcnt_dscnt 0x0
	s_barrier_signal -1
	s_barrier_wait -1
	global_inv scope:SCOPE_SE
	s_and_saveexec_b32 s15, s4
	s_cbranch_execz .LBB89_429
; %bb.428:                              ;   in Loop: Header=BB89_394 Depth=2
	v_add_nc_u32_e32 v130, v45, v46
	ds_load_b32 v131, v130 offset:1024
	s_wait_dscnt 0x0
	v_mov_b32_dpp v132, v131 row_shr:1 row_mask:0xf bank_mask:0xf
	s_delay_alu instid0(VALU_DEP_1) | instskip(NEXT) | instid1(VALU_DEP_1)
	v_cndmask_b32_e64 v132, v132, 0, s12
	v_add_nc_u32_e32 v131, v132, v131
	s_delay_alu instid0(VALU_DEP_1) | instskip(NEXT) | instid1(VALU_DEP_1)
	v_mov_b32_dpp v132, v131 row_shr:2 row_mask:0xf bank_mask:0xf
	v_cndmask_b32_e64 v132, 0, v132, s13
	s_delay_alu instid0(VALU_DEP_1) | instskip(NEXT) | instid1(VALU_DEP_1)
	v_add_nc_u32_e32 v131, v131, v132
	v_mov_b32_dpp v132, v131 row_shr:4 row_mask:0xf bank_mask:0xf
	s_delay_alu instid0(VALU_DEP_1) | instskip(NEXT) | instid1(VALU_DEP_1)
	v_cndmask_b32_e64 v132, 0, v132, s14
	v_add_nc_u32_e32 v131, v131, v132
	ds_store_b32 v130, v131 offset:1024
.LBB89_429:                             ;   in Loop: Header=BB89_394 Depth=2
	s_wait_alu 0xfffe
	s_or_b32 exec_lo, exec_lo, s15
	v_mov_b32_e32 v130, 0
	s_wait_loadcnt_dscnt 0x0
	s_barrier_signal -1
	s_barrier_wait -1
	global_inv scope:SCOPE_SE
	s_and_saveexec_b32 s15, s5
; %bb.430:                              ;   in Loop: Header=BB89_394 Depth=2
	ds_load_b32 v130, v38 offset:1020
; %bb.431:                              ;   in Loop: Header=BB89_394 Depth=2
	s_wait_alu 0xfffe
	s_or_b32 exec_lo, exec_lo, s15
	s_wait_dscnt 0x0
	v_add_nc_u32_e32 v129, v130, v129
	ds_bpermute_b32 v129, v80, v129
	s_wait_dscnt 0x0
	v_cndmask_b32_e64 v129, v129, v130, s8
	s_delay_alu instid0(VALU_DEP_1) | instskip(NEXT) | instid1(VALU_DEP_1)
	v_cndmask_b32_e64 v129, v129, 0, s6
	v_add_nc_u32_e32 v26, v129, v26
	s_delay_alu instid0(VALU_DEP_1) | instskip(NEXT) | instid1(VALU_DEP_1)
	v_add_nc_u32_e32 v27, v26, v27
	v_add_nc_u32_e32 v24, v27, v24
	s_delay_alu instid0(VALU_DEP_1) | instskip(NEXT) | instid1(VALU_DEP_1)
	v_add_nc_u32_e32 v25, v24, v25
	;; [unrolled: 3-line block ×3, first 2 shown]
	v_add_nc_u32_e32 v20, v23, v20
	s_delay_alu instid0(VALU_DEP_1)
	v_add_nc_u32_e32 v21, v20, v21
	ds_store_2addr_b32 v97, v23, v20 offset1:1
	ds_store_2addr_b32 v98, v129, v26 offset1:1
	;; [unrolled: 1-line block ×4, first 2 shown]
	ds_store_b32 v45, v21 offset:1088
	s_wait_loadcnt_dscnt 0x0
	s_barrier_signal -1
	s_barrier_wait -1
	global_inv scope:SCOPE_SE
	ds_load_b32 v20, v101 offset:1056
	ds_load_b32 v21, v105 offset:1056
	;; [unrolled: 1-line block ×9, first 2 shown]
	v_mov_b32_e32 v22, 0x800
	s_and_saveexec_b32 s15, s7
; %bb.432:                              ;   in Loop: Header=BB89_394 Depth=2
	ds_load_b32 v22, v45 offset:1092
; %bb.433:                              ;   in Loop: Header=BB89_394 Depth=2
	s_wait_alu 0xfffe
	s_or_b32 exec_lo, exec_lo, s15
	s_wait_loadcnt_dscnt 0x0
	s_barrier_signal -1
	s_barrier_wait -1
	global_inv scope:SCOPE_SE
	s_and_saveexec_b32 s15, s2
	s_cbranch_execz .LBB89_435
; %bb.434:                              ;   in Loop: Header=BB89_394 Depth=2
	ds_load_b32 v27, v28
	s_wait_dscnt 0x0
	v_sub_nc_u32_e32 v26, v27, v26
	ds_store_b32 v28, v26
.LBB89_435:                             ;   in Loop: Header=BB89_394 Depth=2
	s_wait_alu 0xfffe
	s_or_b32 exec_lo, exec_lo, s15
	v_add_nc_u32_e32 v98, v20, v95
	v_add3_u32 v97, v103, v102, v21
	v_add3_u32 v95, v107, v106, v23
	v_add3_u32 v27, v111, v110, v24
	v_add3_u32 v26, v115, v114, v25
	v_add3_u32 v25, v119, v118, v99
	v_add3_u32 v24, v123, v122, v100
	v_add3_u32 v23, v127, v126, v101
	v_cmp_lt_u32_e64 s20, v1, v2
	ds_store_b8 v98, v94 offset:1024
	ds_store_b8 v97, v96 offset:1024
	;; [unrolled: 1-line block ×8, first 2 shown]
	s_wait_loadcnt_dscnt 0x0
	s_barrier_signal -1
	s_barrier_wait -1
	global_inv scope:SCOPE_SE
	s_and_saveexec_b32 s15, s20
	s_cbranch_execnz .LBB89_472
; %bb.436:                              ;   in Loop: Header=BB89_394 Depth=2
	s_wait_alu 0xfffe
	s_or_b32 exec_lo, exec_lo, s15
	v_cmp_lt_u32_e64 s21, v29, v2
	s_and_saveexec_b32 s15, s21
	s_cbranch_execnz .LBB89_473
.LBB89_437:                             ;   in Loop: Header=BB89_394 Depth=2
	s_wait_alu 0xfffe
	s_or_b32 exec_lo, exec_lo, s15
	v_cmp_lt_u32_e64 s19, v30, v2
	s_and_saveexec_b32 s15, s19
	s_cbranch_execnz .LBB89_474
.LBB89_438:                             ;   in Loop: Header=BB89_394 Depth=2
	s_wait_alu 0xfffe
	s_or_b32 exec_lo, exec_lo, s15
	v_cmp_lt_u32_e64 s18, v31, v2
	s_and_saveexec_b32 s15, s18
	s_cbranch_execnz .LBB89_475
.LBB89_439:                             ;   in Loop: Header=BB89_394 Depth=2
	s_wait_alu 0xfffe
	s_or_b32 exec_lo, exec_lo, s15
	v_cmp_lt_u32_e64 s17, v34, v2
	s_and_saveexec_b32 s15, s17
	s_cbranch_execnz .LBB89_476
.LBB89_440:                             ;   in Loop: Header=BB89_394 Depth=2
	s_wait_alu 0xfffe
	s_or_b32 exec_lo, exec_lo, s15
	v_cmp_lt_u32_e64 s16, v35, v2
	s_and_saveexec_b32 s15, s16
	s_cbranch_execnz .LBB89_477
.LBB89_441:                             ;   in Loop: Header=BB89_394 Depth=2
	s_wait_alu 0xfffe
	s_or_b32 exec_lo, exec_lo, s15
	v_cmp_lt_u32_e64 s15, v36, v2
	s_and_saveexec_b32 s44, s15
	s_cbranch_execnz .LBB89_478
.LBB89_442:                             ;   in Loop: Header=BB89_394 Depth=2
	s_wait_alu 0xfffe
	s_or_b32 exec_lo, exec_lo, s44
	v_cmp_lt_u32_e32 vcc_lo, v37, v2
	s_and_saveexec_b32 s44, vcc_lo
	s_cbranch_execz .LBB89_444
.LBB89_443:                             ;   in Loop: Header=BB89_394 Depth=2
	ds_load_u8 v20, v1 offset:2816
	s_wait_dscnt 0x0
	v_and_b32_e32 v21, 0xff, v20
	v_xor_b32_e32 v20, -1, v20
	s_delay_alu instid0(VALU_DEP_2) | instskip(NEXT) | instid1(VALU_DEP_1)
	v_lshrrev_b32_e32 v21, s45, v21
	v_and_b32_e32 v21, s31, v21
	s_delay_alu instid0(VALU_DEP_1)
	v_lshlrev_b32_e32 v21, 2, v21
	ds_load_b32 v21, v21
	s_wait_dscnt 0x0
	v_add_nc_u32_e32 v21, v21, v37
	global_store_b8 v21, v20, s[38:39]
.LBB89_444:                             ;   in Loop: Header=BB89_394 Depth=2
	s_wait_alu 0xfffe
	s_or_b32 exec_lo, exec_lo, s44
	s_lshl_b64 s[48:49], s[22:23], 3
	s_wait_alu 0xfffe
	v_add_co_u32 v20, s22, v81, s48
	s_wait_alu 0xf1ff
	v_add_co_ci_u32_e64 v21, null, s49, v82, s22
	v_cmp_lt_u32_e64 s22, v68, v2
	s_and_saveexec_b32 s44, s22
	s_wait_alu 0xfffe
	s_xor_b32 s22, exec_lo, s44
	s_cbranch_execnz .LBB89_479
; %bb.445:                              ;   in Loop: Header=BB89_394 Depth=2
	s_wait_alu 0xfffe
	s_or_b32 exec_lo, exec_lo, s22
	s_delay_alu instid0(SALU_CYCLE_1)
	s_mov_b32 s44, exec_lo
	v_cmpx_lt_u32_e64 v71, v2
	s_cbranch_execnz .LBB89_480
.LBB89_446:                             ;   in Loop: Header=BB89_394 Depth=2
	s_wait_alu 0xfffe
	s_or_b32 exec_lo, exec_lo, s44
	s_delay_alu instid0(SALU_CYCLE_1)
	s_mov_b32 s44, exec_lo
	v_cmpx_lt_u32_e64 v72, v2
	s_cbranch_execnz .LBB89_481
.LBB89_447:                             ;   in Loop: Header=BB89_394 Depth=2
	s_wait_alu 0xfffe
	s_or_b32 exec_lo, exec_lo, s44
	s_delay_alu instid0(SALU_CYCLE_1)
	s_mov_b32 s44, exec_lo
	v_cmpx_lt_u32_e64 v73, v2
	s_cbranch_execnz .LBB89_482
.LBB89_448:                             ;   in Loop: Header=BB89_394 Depth=2
	s_wait_alu 0xfffe
	s_or_b32 exec_lo, exec_lo, s44
	s_delay_alu instid0(SALU_CYCLE_1)
	s_mov_b32 s44, exec_lo
	v_cmpx_lt_u32_e64 v74, v2
	s_cbranch_execnz .LBB89_483
.LBB89_449:                             ;   in Loop: Header=BB89_394 Depth=2
	s_wait_alu 0xfffe
	s_or_b32 exec_lo, exec_lo, s44
	s_delay_alu instid0(SALU_CYCLE_1)
	s_mov_b32 s44, exec_lo
	v_cmpx_lt_u32_e64 v75, v2
	s_cbranch_execnz .LBB89_484
.LBB89_450:                             ;   in Loop: Header=BB89_394 Depth=2
	s_wait_alu 0xfffe
	s_or_b32 exec_lo, exec_lo, s44
	s_delay_alu instid0(SALU_CYCLE_1)
	s_mov_b32 s44, exec_lo
	v_cmpx_lt_u32_e64 v76, v2
	s_cbranch_execnz .LBB89_485
.LBB89_451:                             ;   in Loop: Header=BB89_394 Depth=2
	s_wait_alu 0xfffe
	s_or_b32 exec_lo, exec_lo, s44
	s_delay_alu instid0(SALU_CYCLE_1)
	s_mov_b32 s44, exec_lo
	v_cmpx_lt_u32_e64 v77, v2
	s_cbranch_execnz .LBB89_486
.LBB89_452:                             ;   in Loop: Header=BB89_394 Depth=2
	s_wait_alu 0xfffe
	s_or_b32 exec_lo, exec_lo, s44
	s_and_saveexec_b32 s22, s20
	s_cbranch_execnz .LBB89_487
.LBB89_453:                             ;   in Loop: Header=BB89_394 Depth=2
	s_wait_alu 0xfffe
	s_or_b32 exec_lo, exec_lo, s22
	s_and_saveexec_b32 s22, s21
	s_cbranch_execnz .LBB89_488
.LBB89_454:                             ;   in Loop: Header=BB89_394 Depth=2
	s_wait_alu 0xfffe
	s_or_b32 exec_lo, exec_lo, s22
	s_and_saveexec_b32 s22, s19
	s_cbranch_execnz .LBB89_489
.LBB89_455:                             ;   in Loop: Header=BB89_394 Depth=2
	s_wait_alu 0xfffe
	s_or_b32 exec_lo, exec_lo, s22
	s_and_saveexec_b32 s22, s18
	s_cbranch_execnz .LBB89_490
.LBB89_456:                             ;   in Loop: Header=BB89_394 Depth=2
	s_wait_alu 0xfffe
	s_or_b32 exec_lo, exec_lo, s22
	s_and_saveexec_b32 s22, s17
	s_cbranch_execnz .LBB89_491
.LBB89_457:                             ;   in Loop: Header=BB89_394 Depth=2
	s_wait_alu 0xfffe
	s_or_b32 exec_lo, exec_lo, s22
	s_and_saveexec_b32 s22, s16
	s_cbranch_execnz .LBB89_492
.LBB89_458:                             ;   in Loop: Header=BB89_394 Depth=2
	s_wait_alu 0xfffe
	s_or_b32 exec_lo, exec_lo, s22
	s_and_saveexec_b32 s22, s15
	s_cbranch_execnz .LBB89_493
.LBB89_459:                             ;   in Loop: Header=BB89_394 Depth=2
	s_wait_alu 0xfffe
	s_or_b32 exec_lo, exec_lo, s22
	s_and_saveexec_b32 s22, vcc_lo
	s_cbranch_execz .LBB89_461
.LBB89_460:                             ;   in Loop: Header=BB89_394 Depth=2
	ds_load_u8 v2, v1 offset:2816
	s_wait_dscnt 0x0
	v_lshrrev_b32_e32 v2, s45, v2
	s_delay_alu instid0(VALU_DEP_1)
	v_and_b32_e32 v86, s31, v2
.LBB89_461:                             ;   in Loop: Header=BB89_394 Depth=2
	s_wait_alu 0xfffe
	s_or_b32 exec_lo, exec_lo, s22
	v_lshlrev_b32_e32 v2, 3, v98
	v_lshlrev_b32_e32 v20, 3, v97
	;; [unrolled: 1-line block ×3, first 2 shown]
	s_wait_loadcnt 0x0
	s_wait_storecnt 0x0
	s_barrier_signal -1
	s_barrier_wait -1
	global_inv scope:SCOPE_SE
	ds_store_b64 v2, v[18:19] offset:1024
	ds_store_b64 v20, v[16:17] offset:1024
	;; [unrolled: 1-line block ×3, first 2 shown]
	v_lshlrev_b32_e32 v2, 3, v27
	v_lshlrev_b32_e32 v20, 3, v26
	;; [unrolled: 1-line block ×5, first 2 shown]
	ds_store_b64 v2, v[12:13] offset:1024
	ds_store_b64 v20, v[10:11] offset:1024
	;; [unrolled: 1-line block ×5, first 2 shown]
	s_wait_loadcnt_dscnt 0x0
	s_barrier_signal -1
	s_barrier_wait -1
	global_inv scope:SCOPE_SE
	s_and_saveexec_b32 s22, s20
	s_cbranch_execnz .LBB89_494
; %bb.462:                              ;   in Loop: Header=BB89_394 Depth=2
	s_wait_alu 0xfffe
	s_or_b32 exec_lo, exec_lo, s22
	s_and_saveexec_b32 s22, s21
	s_cbranch_execnz .LBB89_495
.LBB89_463:                             ;   in Loop: Header=BB89_394 Depth=2
	s_wait_alu 0xfffe
	s_or_b32 exec_lo, exec_lo, s22
	s_and_saveexec_b32 s20, s19
	s_cbranch_execnz .LBB89_496
.LBB89_464:                             ;   in Loop: Header=BB89_394 Depth=2
	s_wait_alu 0xfffe
	s_or_b32 exec_lo, exec_lo, s20
	s_and_saveexec_b32 s19, s18
	s_cbranch_execnz .LBB89_497
.LBB89_465:                             ;   in Loop: Header=BB89_394 Depth=2
	s_wait_alu 0xfffe
	s_or_b32 exec_lo, exec_lo, s19
	s_and_saveexec_b32 s18, s17
	s_cbranch_execnz .LBB89_498
.LBB89_466:                             ;   in Loop: Header=BB89_394 Depth=2
	s_wait_alu 0xfffe
	s_or_b32 exec_lo, exec_lo, s18
	s_and_saveexec_b32 s17, s16
	s_cbranch_execnz .LBB89_499
.LBB89_467:                             ;   in Loop: Header=BB89_394 Depth=2
	s_wait_alu 0xfffe
	s_or_b32 exec_lo, exec_lo, s17
	s_and_saveexec_b32 s16, s15
	s_cbranch_execnz .LBB89_500
.LBB89_468:                             ;   in Loop: Header=BB89_394 Depth=2
	s_wait_alu 0xfffe
	s_or_b32 exec_lo, exec_lo, s16
	s_and_saveexec_b32 s15, vcc_lo
	s_cbranch_execz .LBB89_470
.LBB89_469:                             ;   in Loop: Header=BB89_394 Depth=2
	v_lshlrev_b32_e32 v2, 2, v86
	v_add_nc_u32_e32 v20, v1, v47
	ds_load_b32 v2, v2
	ds_load_b64 v[20:21], v20 offset:15360
	s_wait_dscnt 0x1
	v_add_nc_u32_e32 v2, v2, v37
	s_delay_alu instid0(VALU_DEP_1) | instskip(NEXT) | instid1(VALU_DEP_1)
	v_lshlrev_b64_e32 v[23:24], 3, v[2:3]
	v_add_co_u32 v23, vcc_lo, s24, v23
	s_wait_alu 0xfffd
	s_delay_alu instid0(VALU_DEP_2)
	v_add_co_ci_u32_e64 v24, null, s25, v24, vcc_lo
	s_wait_dscnt 0x0
	global_store_b64 v[23:24], v[20:21], off
.LBB89_470:                             ;   in Loop: Header=BB89_394 Depth=2
	s_wait_alu 0xfffe
	s_or_b32 exec_lo, exec_lo, s15
	s_wait_loadcnt 0x0
	s_wait_storecnt 0x0
	s_barrier_signal -1
	s_barrier_wait -1
	global_inv scope:SCOPE_SE
	s_and_saveexec_b32 s15, s2
	s_cbranch_execz .LBB89_393
; %bb.471:                              ;   in Loop: Header=BB89_394 Depth=2
	ds_load_b32 v2, v28
	s_wait_dscnt 0x0
	v_add_nc_u32_e32 v2, v2, v22
	ds_store_b32 v28, v2
	s_branch .LBB89_393
.LBB89_472:                             ;   in Loop: Header=BB89_394 Depth=2
	ds_load_u8 v20, v1 offset:1024
	s_wait_dscnt 0x0
	v_and_b32_e32 v21, 0xff, v20
	v_xor_b32_e32 v20, -1, v20
	s_delay_alu instid0(VALU_DEP_2) | instskip(NEXT) | instid1(VALU_DEP_1)
	v_lshrrev_b32_e32 v21, s45, v21
	v_and_b32_e32 v21, s31, v21
	s_delay_alu instid0(VALU_DEP_1)
	v_lshlrev_b32_e32 v21, 2, v21
	ds_load_b32 v21, v21
	s_wait_dscnt 0x0
	v_add_nc_u32_e32 v21, v21, v1
	global_store_b8 v21, v20, s[38:39]
	s_wait_alu 0xfffe
	s_or_b32 exec_lo, exec_lo, s15
	v_cmp_lt_u32_e64 s21, v29, v2
	s_and_saveexec_b32 s15, s21
	s_cbranch_execz .LBB89_437
.LBB89_473:                             ;   in Loop: Header=BB89_394 Depth=2
	ds_load_u8 v20, v1 offset:1280
	s_wait_dscnt 0x0
	v_and_b32_e32 v21, 0xff, v20
	v_xor_b32_e32 v20, -1, v20
	s_delay_alu instid0(VALU_DEP_2) | instskip(NEXT) | instid1(VALU_DEP_1)
	v_lshrrev_b32_e32 v21, s45, v21
	v_and_b32_e32 v21, s31, v21
	s_delay_alu instid0(VALU_DEP_1)
	v_lshlrev_b32_e32 v21, 2, v21
	ds_load_b32 v21, v21
	s_wait_dscnt 0x0
	v_add_nc_u32_e32 v21, v21, v29
	global_store_b8 v21, v20, s[38:39]
	s_wait_alu 0xfffe
	s_or_b32 exec_lo, exec_lo, s15
	v_cmp_lt_u32_e64 s19, v30, v2
	s_and_saveexec_b32 s15, s19
	s_cbranch_execz .LBB89_438
.LBB89_474:                             ;   in Loop: Header=BB89_394 Depth=2
	ds_load_u8 v20, v1 offset:1536
	s_wait_dscnt 0x0
	v_and_b32_e32 v21, 0xff, v20
	v_xor_b32_e32 v20, -1, v20
	s_delay_alu instid0(VALU_DEP_2) | instskip(NEXT) | instid1(VALU_DEP_1)
	v_lshrrev_b32_e32 v21, s45, v21
	v_and_b32_e32 v21, s31, v21
	s_delay_alu instid0(VALU_DEP_1)
	v_lshlrev_b32_e32 v21, 2, v21
	ds_load_b32 v21, v21
	s_wait_dscnt 0x0
	v_add_nc_u32_e32 v21, v21, v30
	global_store_b8 v21, v20, s[38:39]
	s_wait_alu 0xfffe
	s_or_b32 exec_lo, exec_lo, s15
	v_cmp_lt_u32_e64 s18, v31, v2
	s_and_saveexec_b32 s15, s18
	s_cbranch_execz .LBB89_439
.LBB89_475:                             ;   in Loop: Header=BB89_394 Depth=2
	ds_load_u8 v20, v1 offset:1792
	s_wait_dscnt 0x0
	v_and_b32_e32 v21, 0xff, v20
	v_xor_b32_e32 v20, -1, v20
	s_delay_alu instid0(VALU_DEP_2) | instskip(NEXT) | instid1(VALU_DEP_1)
	v_lshrrev_b32_e32 v21, s45, v21
	v_and_b32_e32 v21, s31, v21
	s_delay_alu instid0(VALU_DEP_1)
	v_lshlrev_b32_e32 v21, 2, v21
	ds_load_b32 v21, v21
	s_wait_dscnt 0x0
	v_add_nc_u32_e32 v21, v21, v31
	global_store_b8 v21, v20, s[38:39]
	s_wait_alu 0xfffe
	s_or_b32 exec_lo, exec_lo, s15
	v_cmp_lt_u32_e64 s17, v34, v2
	s_and_saveexec_b32 s15, s17
	s_cbranch_execz .LBB89_440
.LBB89_476:                             ;   in Loop: Header=BB89_394 Depth=2
	ds_load_u8 v20, v1 offset:2048
	s_wait_dscnt 0x0
	v_and_b32_e32 v21, 0xff, v20
	v_xor_b32_e32 v20, -1, v20
	s_delay_alu instid0(VALU_DEP_2) | instskip(NEXT) | instid1(VALU_DEP_1)
	v_lshrrev_b32_e32 v21, s45, v21
	v_and_b32_e32 v21, s31, v21
	s_delay_alu instid0(VALU_DEP_1)
	v_lshlrev_b32_e32 v21, 2, v21
	ds_load_b32 v21, v21
	s_wait_dscnt 0x0
	v_add_nc_u32_e32 v21, v21, v34
	global_store_b8 v21, v20, s[38:39]
	s_wait_alu 0xfffe
	s_or_b32 exec_lo, exec_lo, s15
	v_cmp_lt_u32_e64 s16, v35, v2
	s_and_saveexec_b32 s15, s16
	s_cbranch_execz .LBB89_441
.LBB89_477:                             ;   in Loop: Header=BB89_394 Depth=2
	ds_load_u8 v20, v1 offset:2304
	s_wait_dscnt 0x0
	v_and_b32_e32 v21, 0xff, v20
	v_xor_b32_e32 v20, -1, v20
	s_delay_alu instid0(VALU_DEP_2) | instskip(NEXT) | instid1(VALU_DEP_1)
	v_lshrrev_b32_e32 v21, s45, v21
	v_and_b32_e32 v21, s31, v21
	s_delay_alu instid0(VALU_DEP_1)
	v_lshlrev_b32_e32 v21, 2, v21
	ds_load_b32 v21, v21
	s_wait_dscnt 0x0
	v_add_nc_u32_e32 v21, v21, v35
	global_store_b8 v21, v20, s[38:39]
	s_wait_alu 0xfffe
	s_or_b32 exec_lo, exec_lo, s15
	v_cmp_lt_u32_e64 s15, v36, v2
	s_and_saveexec_b32 s44, s15
	s_cbranch_execz .LBB89_442
.LBB89_478:                             ;   in Loop: Header=BB89_394 Depth=2
	ds_load_u8 v20, v1 offset:2560
	s_wait_dscnt 0x0
	v_and_b32_e32 v21, 0xff, v20
	v_xor_b32_e32 v20, -1, v20
	s_delay_alu instid0(VALU_DEP_2) | instskip(NEXT) | instid1(VALU_DEP_1)
	v_lshrrev_b32_e32 v21, s45, v21
	v_and_b32_e32 v21, s31, v21
	s_delay_alu instid0(VALU_DEP_1)
	v_lshlrev_b32_e32 v21, 2, v21
	ds_load_b32 v21, v21
	s_wait_dscnt 0x0
	v_add_nc_u32_e32 v21, v21, v36
	global_store_b8 v21, v20, s[38:39]
	s_wait_alu 0xfffe
	s_or_b32 exec_lo, exec_lo, s44
	v_cmp_lt_u32_e32 vcc_lo, v37, v2
	s_and_saveexec_b32 s44, vcc_lo
	s_cbranch_execnz .LBB89_443
	s_branch .LBB89_444
.LBB89_479:                             ;   in Loop: Header=BB89_394 Depth=2
	global_load_b64 v[18:19], v[20:21], off
	s_wait_alu 0xfffe
	s_or_b32 exec_lo, exec_lo, s22
	s_delay_alu instid0(SALU_CYCLE_1)
	s_mov_b32 s44, exec_lo
	v_cmpx_lt_u32_e64 v71, v2
	s_cbranch_execz .LBB89_446
.LBB89_480:                             ;   in Loop: Header=BB89_394 Depth=2
	global_load_b64 v[16:17], v[20:21], off offset:256
	s_wait_alu 0xfffe
	s_or_b32 exec_lo, exec_lo, s44
	s_delay_alu instid0(SALU_CYCLE_1)
	s_mov_b32 s44, exec_lo
	v_cmpx_lt_u32_e64 v72, v2
	s_cbranch_execz .LBB89_447
.LBB89_481:                             ;   in Loop: Header=BB89_394 Depth=2
	global_load_b64 v[14:15], v[20:21], off offset:512
	s_wait_alu 0xfffe
	s_or_b32 exec_lo, exec_lo, s44
	s_delay_alu instid0(SALU_CYCLE_1)
	s_mov_b32 s44, exec_lo
	v_cmpx_lt_u32_e64 v73, v2
	s_cbranch_execz .LBB89_448
.LBB89_482:                             ;   in Loop: Header=BB89_394 Depth=2
	global_load_b64 v[12:13], v[20:21], off offset:768
	s_wait_alu 0xfffe
	s_or_b32 exec_lo, exec_lo, s44
	s_delay_alu instid0(SALU_CYCLE_1)
	s_mov_b32 s44, exec_lo
	v_cmpx_lt_u32_e64 v74, v2
	s_cbranch_execz .LBB89_449
.LBB89_483:                             ;   in Loop: Header=BB89_394 Depth=2
	global_load_b64 v[10:11], v[20:21], off offset:1024
	s_wait_alu 0xfffe
	s_or_b32 exec_lo, exec_lo, s44
	s_delay_alu instid0(SALU_CYCLE_1)
	s_mov_b32 s44, exec_lo
	v_cmpx_lt_u32_e64 v75, v2
	s_cbranch_execz .LBB89_450
.LBB89_484:                             ;   in Loop: Header=BB89_394 Depth=2
	global_load_b64 v[8:9], v[20:21], off offset:1280
	s_wait_alu 0xfffe
	s_or_b32 exec_lo, exec_lo, s44
	s_delay_alu instid0(SALU_CYCLE_1)
	s_mov_b32 s44, exec_lo
	v_cmpx_lt_u32_e64 v76, v2
	s_cbranch_execz .LBB89_451
.LBB89_485:                             ;   in Loop: Header=BB89_394 Depth=2
	global_load_b64 v[6:7], v[20:21], off offset:1536
	s_wait_alu 0xfffe
	s_or_b32 exec_lo, exec_lo, s44
	s_delay_alu instid0(SALU_CYCLE_1)
	s_mov_b32 s44, exec_lo
	v_cmpx_lt_u32_e64 v77, v2
	s_cbranch_execz .LBB89_452
.LBB89_486:                             ;   in Loop: Header=BB89_394 Depth=2
	global_load_b64 v[4:5], v[20:21], off offset:1792
	s_wait_alu 0xfffe
	s_or_b32 exec_lo, exec_lo, s44
	s_and_saveexec_b32 s22, s20
	s_cbranch_execz .LBB89_453
.LBB89_487:                             ;   in Loop: Header=BB89_394 Depth=2
	ds_load_u8 v2, v1 offset:1024
	s_wait_dscnt 0x0
	v_lshrrev_b32_e32 v2, s45, v2
	s_delay_alu instid0(VALU_DEP_1)
	v_and_b32_e32 v93, s31, v2
	s_wait_alu 0xfffe
	s_or_b32 exec_lo, exec_lo, s22
	s_and_saveexec_b32 s22, s21
	s_cbranch_execz .LBB89_454
.LBB89_488:                             ;   in Loop: Header=BB89_394 Depth=2
	ds_load_u8 v2, v1 offset:1280
	s_wait_dscnt 0x0
	v_lshrrev_b32_e32 v2, s45, v2
	s_delay_alu instid0(VALU_DEP_1)
	v_and_b32_e32 v92, s31, v2
	s_wait_alu 0xfffe
	s_or_b32 exec_lo, exec_lo, s22
	s_and_saveexec_b32 s22, s19
	s_cbranch_execz .LBB89_455
.LBB89_489:                             ;   in Loop: Header=BB89_394 Depth=2
	ds_load_u8 v2, v1 offset:1536
	s_wait_dscnt 0x0
	v_lshrrev_b32_e32 v2, s45, v2
	s_delay_alu instid0(VALU_DEP_1)
	v_and_b32_e32 v91, s31, v2
	s_wait_alu 0xfffe
	s_or_b32 exec_lo, exec_lo, s22
	s_and_saveexec_b32 s22, s18
	s_cbranch_execz .LBB89_456
.LBB89_490:                             ;   in Loop: Header=BB89_394 Depth=2
	ds_load_u8 v2, v1 offset:1792
	s_wait_dscnt 0x0
	v_lshrrev_b32_e32 v2, s45, v2
	s_delay_alu instid0(VALU_DEP_1)
	v_and_b32_e32 v90, s31, v2
	s_wait_alu 0xfffe
	s_or_b32 exec_lo, exec_lo, s22
	s_and_saveexec_b32 s22, s17
	s_cbranch_execz .LBB89_457
.LBB89_491:                             ;   in Loop: Header=BB89_394 Depth=2
	ds_load_u8 v2, v1 offset:2048
	s_wait_dscnt 0x0
	v_lshrrev_b32_e32 v2, s45, v2
	s_delay_alu instid0(VALU_DEP_1)
	v_and_b32_e32 v89, s31, v2
	s_wait_alu 0xfffe
	s_or_b32 exec_lo, exec_lo, s22
	s_and_saveexec_b32 s22, s16
	s_cbranch_execz .LBB89_458
.LBB89_492:                             ;   in Loop: Header=BB89_394 Depth=2
	ds_load_u8 v2, v1 offset:2304
	s_wait_dscnt 0x0
	v_lshrrev_b32_e32 v2, s45, v2
	s_delay_alu instid0(VALU_DEP_1)
	v_and_b32_e32 v88, s31, v2
	s_wait_alu 0xfffe
	s_or_b32 exec_lo, exec_lo, s22
	s_and_saveexec_b32 s22, s15
	s_cbranch_execz .LBB89_459
.LBB89_493:                             ;   in Loop: Header=BB89_394 Depth=2
	ds_load_u8 v2, v1 offset:2560
	s_wait_dscnt 0x0
	v_lshrrev_b32_e32 v2, s45, v2
	s_delay_alu instid0(VALU_DEP_1)
	v_and_b32_e32 v87, s31, v2
	s_wait_alu 0xfffe
	s_or_b32 exec_lo, exec_lo, s22
	s_and_saveexec_b32 s22, vcc_lo
	s_cbranch_execnz .LBB89_460
	s_branch .LBB89_461
.LBB89_494:                             ;   in Loop: Header=BB89_394 Depth=2
	v_lshlrev_b32_e32 v2, 2, v93
	v_add_nc_u32_e32 v20, v1, v47
	ds_load_b32 v2, v2
	ds_load_b64 v[20:21], v20 offset:1024
	s_wait_dscnt 0x1
	v_add_nc_u32_e32 v2, v2, v1
	s_delay_alu instid0(VALU_DEP_1) | instskip(NEXT) | instid1(VALU_DEP_1)
	v_lshlrev_b64_e32 v[23:24], 3, v[2:3]
	v_add_co_u32 v23, s20, s24, v23
	s_wait_alu 0xf1ff
	s_delay_alu instid0(VALU_DEP_2)
	v_add_co_ci_u32_e64 v24, null, s25, v24, s20
	s_wait_dscnt 0x0
	global_store_b64 v[23:24], v[20:21], off
	s_wait_alu 0xfffe
	s_or_b32 exec_lo, exec_lo, s22
	s_and_saveexec_b32 s22, s21
	s_cbranch_execz .LBB89_463
.LBB89_495:                             ;   in Loop: Header=BB89_394 Depth=2
	v_lshlrev_b32_e32 v2, 2, v92
	v_add_nc_u32_e32 v20, v1, v47
	ds_load_b32 v2, v2
	ds_load_b64 v[20:21], v20 offset:3072
	s_wait_dscnt 0x1
	v_add_nc_u32_e32 v2, v2, v29
	s_delay_alu instid0(VALU_DEP_1) | instskip(NEXT) | instid1(VALU_DEP_1)
	v_lshlrev_b64_e32 v[23:24], 3, v[2:3]
	v_add_co_u32 v23, s20, s24, v23
	s_wait_alu 0xf1ff
	s_delay_alu instid0(VALU_DEP_2)
	v_add_co_ci_u32_e64 v24, null, s25, v24, s20
	s_wait_dscnt 0x0
	global_store_b64 v[23:24], v[20:21], off
	s_wait_alu 0xfffe
	s_or_b32 exec_lo, exec_lo, s22
	s_and_saveexec_b32 s20, s19
	s_cbranch_execz .LBB89_464
.LBB89_496:                             ;   in Loop: Header=BB89_394 Depth=2
	v_lshlrev_b32_e32 v2, 2, v91
	v_add_nc_u32_e32 v20, v1, v47
	ds_load_b32 v2, v2
	ds_load_b64 v[20:21], v20 offset:5120
	s_wait_dscnt 0x1
	v_add_nc_u32_e32 v2, v2, v30
	s_delay_alu instid0(VALU_DEP_1) | instskip(NEXT) | instid1(VALU_DEP_1)
	v_lshlrev_b64_e32 v[23:24], 3, v[2:3]
	v_add_co_u32 v23, s19, s24, v23
	s_wait_alu 0xf1ff
	s_delay_alu instid0(VALU_DEP_2)
	v_add_co_ci_u32_e64 v24, null, s25, v24, s19
	s_wait_dscnt 0x0
	global_store_b64 v[23:24], v[20:21], off
	s_wait_alu 0xfffe
	s_or_b32 exec_lo, exec_lo, s20
	s_and_saveexec_b32 s19, s18
	s_cbranch_execz .LBB89_465
.LBB89_497:                             ;   in Loop: Header=BB89_394 Depth=2
	v_lshlrev_b32_e32 v2, 2, v90
	v_add_nc_u32_e32 v20, v1, v47
	ds_load_b32 v2, v2
	ds_load_b64 v[20:21], v20 offset:7168
	s_wait_dscnt 0x1
	v_add_nc_u32_e32 v2, v2, v31
	s_delay_alu instid0(VALU_DEP_1) | instskip(NEXT) | instid1(VALU_DEP_1)
	v_lshlrev_b64_e32 v[23:24], 3, v[2:3]
	v_add_co_u32 v23, s18, s24, v23
	s_wait_alu 0xf1ff
	s_delay_alu instid0(VALU_DEP_2)
	v_add_co_ci_u32_e64 v24, null, s25, v24, s18
	s_wait_dscnt 0x0
	global_store_b64 v[23:24], v[20:21], off
	s_wait_alu 0xfffe
	s_or_b32 exec_lo, exec_lo, s19
	s_and_saveexec_b32 s18, s17
	s_cbranch_execz .LBB89_466
.LBB89_498:                             ;   in Loop: Header=BB89_394 Depth=2
	v_lshlrev_b32_e32 v2, 2, v89
	v_add_nc_u32_e32 v20, v1, v47
	ds_load_b32 v2, v2
	ds_load_b64 v[20:21], v20 offset:9216
	s_wait_dscnt 0x1
	v_add_nc_u32_e32 v2, v2, v34
	s_delay_alu instid0(VALU_DEP_1) | instskip(NEXT) | instid1(VALU_DEP_1)
	v_lshlrev_b64_e32 v[23:24], 3, v[2:3]
	v_add_co_u32 v23, s17, s24, v23
	s_wait_alu 0xf1ff
	s_delay_alu instid0(VALU_DEP_2)
	v_add_co_ci_u32_e64 v24, null, s25, v24, s17
	s_wait_dscnt 0x0
	global_store_b64 v[23:24], v[20:21], off
	s_wait_alu 0xfffe
	s_or_b32 exec_lo, exec_lo, s18
	s_and_saveexec_b32 s17, s16
	s_cbranch_execz .LBB89_467
.LBB89_499:                             ;   in Loop: Header=BB89_394 Depth=2
	v_lshlrev_b32_e32 v2, 2, v88
	v_add_nc_u32_e32 v20, v1, v47
	ds_load_b32 v2, v2
	ds_load_b64 v[20:21], v20 offset:11264
	s_wait_dscnt 0x1
	v_add_nc_u32_e32 v2, v2, v35
	s_delay_alu instid0(VALU_DEP_1) | instskip(NEXT) | instid1(VALU_DEP_1)
	v_lshlrev_b64_e32 v[23:24], 3, v[2:3]
	v_add_co_u32 v23, s16, s24, v23
	s_wait_alu 0xf1ff
	s_delay_alu instid0(VALU_DEP_2)
	v_add_co_ci_u32_e64 v24, null, s25, v24, s16
	s_wait_dscnt 0x0
	global_store_b64 v[23:24], v[20:21], off
	s_wait_alu 0xfffe
	s_or_b32 exec_lo, exec_lo, s17
	s_and_saveexec_b32 s16, s15
	s_cbranch_execz .LBB89_468
.LBB89_500:                             ;   in Loop: Header=BB89_394 Depth=2
	v_lshlrev_b32_e32 v2, 2, v87
	v_add_nc_u32_e32 v20, v1, v47
	ds_load_b32 v2, v2
	ds_load_b64 v[20:21], v20 offset:13312
	s_wait_dscnt 0x1
	v_add_nc_u32_e32 v2, v2, v36
	s_delay_alu instid0(VALU_DEP_1) | instskip(NEXT) | instid1(VALU_DEP_1)
	v_lshlrev_b64_e32 v[23:24], 3, v[2:3]
	v_add_co_u32 v23, s15, s24, v23
	s_wait_alu 0xf1ff
	s_delay_alu instid0(VALU_DEP_2)
	v_add_co_ci_u32_e64 v24, null, s25, v24, s15
	s_wait_dscnt 0x0
	global_store_b64 v[23:24], v[20:21], off
	s_wait_alu 0xfffe
	s_or_b32 exec_lo, exec_lo, s16
	s_and_saveexec_b32 s15, vcc_lo
	s_cbranch_execnz .LBB89_469
	s_branch .LBB89_470
.LBB89_501:                             ;   in Loop: Header=BB89_394 Depth=2
	global_load_u8 v96, v[20:21], off offset:32
	s_wait_alu 0xfffe
	s_or_b32 exec_lo, exec_lo, s15
	s_delay_alu instid0(SALU_CYCLE_1)
	s_mov_b32 s15, exec_lo
	v_cmpx_gt_u32_e64 s42, v72
	s_cbranch_execz .LBB89_401
.LBB89_502:                             ;   in Loop: Header=BB89_394 Depth=2
	global_load_u8 v27, v[20:21], off offset:64
	s_wait_alu 0xfffe
	s_or_b32 exec_lo, exec_lo, s15
	s_delay_alu instid0(SALU_CYCLE_1)
	s_mov_b32 s15, exec_lo
	v_cmpx_gt_u32_e64 s42, v73
	s_cbranch_execz .LBB89_402
.LBB89_503:                             ;   in Loop: Header=BB89_394 Depth=2
	global_load_u8 v26, v[20:21], off offset:96
	s_wait_alu 0xfffe
	s_or_b32 exec_lo, exec_lo, s15
	s_delay_alu instid0(SALU_CYCLE_1)
	s_mov_b32 s15, exec_lo
	v_cmpx_gt_u32_e64 s42, v74
	s_cbranch_execz .LBB89_403
.LBB89_504:                             ;   in Loop: Header=BB89_394 Depth=2
	global_load_u8 v25, v[20:21], off offset:128
	s_wait_alu 0xfffe
	s_or_b32 exec_lo, exec_lo, s15
	s_delay_alu instid0(SALU_CYCLE_1)
	s_mov_b32 s15, exec_lo
	v_cmpx_gt_u32_e64 s42, v75
	s_cbranch_execz .LBB89_404
.LBB89_505:                             ;   in Loop: Header=BB89_394 Depth=2
	global_load_u8 v24, v[20:21], off offset:160
	s_wait_alu 0xfffe
	s_or_b32 exec_lo, exec_lo, s15
	s_delay_alu instid0(SALU_CYCLE_1)
	s_mov_b32 s15, exec_lo
	v_cmpx_gt_u32_e64 s42, v76
	s_cbranch_execnz .LBB89_405
	s_branch .LBB89_406
.LBB89_506:                             ;   in Loop: Header=BB89_12 Depth=1
	s_wait_loadcnt_dscnt 0x0
	s_barrier_signal -1
	s_mov_b32 s0, 0
	s_barrier_wait -1
.LBB89_507:                             ;   in Loop: Header=BB89_12 Depth=1
	s_wait_alu 0xfffe
	s_and_b32 vcc_lo, exec_lo, s0
	s_wait_alu 0xfffe
	s_cbranch_vccz .LBB89_11
; %bb.508:                              ;   in Loop: Header=BB89_12 Depth=1
	v_dual_mov_b32 v7, 0 :: v_dual_mov_b32 v10, 0
	v_dual_mov_b32 v9, 0 :: v_dual_mov_b32 v8, 0
	;; [unrolled: 1-line block ×3, first 2 shown]
	v_mov_b32_e32 v4, 0
	v_mov_b32_e32 v2, 0
	s_mov_b32 s9, s47
	s_mov_b32 s22, s33
	s_barrier_signal -1
	s_barrier_wait -1
	global_inv scope:SCOPE_SE
	s_branch .LBB89_510
.LBB89_509:                             ;   in Loop: Header=BB89_510 Depth=2
	s_wait_alu 0xfffe
	s_or_b32 exec_lo, exec_lo, s0
	s_addk_co_i32 s9, 0xf800
	s_cmp_ge_u32 s10, s34
	s_mov_b32 s22, s10
	s_cbranch_scc1 .LBB89_546
.LBB89_510:                             ;   Parent Loop BB89_12 Depth=1
                                        ; =>  This Inner Loop Header: Depth=2
	s_wait_alu 0xfffe
	s_add_co_i32 s10, s22, 0x800
	s_mov_b32 s0, -1
	s_wait_alu 0xfffe
	s_cmp_gt_u32 s10, s34
                                        ; implicit-def: $vgpr11
                                        ; implicit-def: $vgpr12
                                        ; implicit-def: $vgpr13
                                        ; implicit-def: $vgpr14
                                        ; implicit-def: $vgpr15
                                        ; implicit-def: $vgpr16
                                        ; implicit-def: $vgpr17
                                        ; implicit-def: $vgpr18
	s_cbranch_scc1 .LBB89_512
; %bb.511:                              ;   in Loop: Header=BB89_510 Depth=2
	v_add_co_u32 v19, vcc_lo, v54, s22
	s_wait_alu 0xfffd
	v_add_co_ci_u32_e64 v20, null, 0, v55, vcc_lo
	s_mov_b32 s0, 0
	s_clause 0x7
	global_load_u8 v18, v[19:20], off offset:1792
	global_load_u8 v17, v[19:20], off offset:1536
	;; [unrolled: 1-line block ×7, first 2 shown]
	global_load_u8 v11, v[19:20], off
.LBB89_512:                             ;   in Loop: Header=BB89_510 Depth=2
	s_wait_alu 0xfffe
	s_and_not1_b32 vcc_lo, exec_lo, s0
	s_movk_i32 s0, 0x800
	s_wait_alu 0xfffe
	s_cbranch_vccnz .LBB89_523
; %bb.513:                              ;   in Loop: Header=BB89_510 Depth=2
	s_add_nc_u64 s[0:1], s[36:37], s[22:23]
	s_mov_b32 s11, exec_lo
	v_cmpx_gt_u32_e64 s9, v1
	s_cbranch_execnz .LBB89_539
; %bb.514:                              ;   in Loop: Header=BB89_510 Depth=2
	s_wait_alu 0xfffe
	s_or_b32 exec_lo, exec_lo, s11
	s_delay_alu instid0(SALU_CYCLE_1)
	s_mov_b32 s11, exec_lo
	v_cmpx_gt_u32_e64 s9, v29
	s_cbranch_execnz .LBB89_540
.LBB89_515:                             ;   in Loop: Header=BB89_510 Depth=2
	s_wait_alu 0xfffe
	s_or_b32 exec_lo, exec_lo, s11
	s_delay_alu instid0(SALU_CYCLE_1)
	s_mov_b32 s11, exec_lo
	v_cmpx_gt_u32_e64 s9, v30
	s_cbranch_execnz .LBB89_541
.LBB89_516:                             ;   in Loop: Header=BB89_510 Depth=2
	s_wait_alu 0xfffe
	s_or_b32 exec_lo, exec_lo, s11
	s_delay_alu instid0(SALU_CYCLE_1)
	s_mov_b32 s11, exec_lo
	v_cmpx_gt_u32_e64 s9, v31
	s_cbranch_execnz .LBB89_542
.LBB89_517:                             ;   in Loop: Header=BB89_510 Depth=2
	s_wait_alu 0xfffe
	s_or_b32 exec_lo, exec_lo, s11
	s_delay_alu instid0(SALU_CYCLE_1)
	s_mov_b32 s11, exec_lo
	v_cmpx_gt_u32_e64 s9, v34
	s_cbranch_execnz .LBB89_543
.LBB89_518:                             ;   in Loop: Header=BB89_510 Depth=2
	s_wait_alu 0xfffe
	s_or_b32 exec_lo, exec_lo, s11
	s_delay_alu instid0(SALU_CYCLE_1)
	s_mov_b32 s11, exec_lo
	v_cmpx_gt_u32_e64 s9, v35
	s_cbranch_execnz .LBB89_544
.LBB89_519:                             ;   in Loop: Header=BB89_510 Depth=2
	s_wait_alu 0xfffe
	s_or_b32 exec_lo, exec_lo, s11
	s_delay_alu instid0(SALU_CYCLE_1)
	s_mov_b32 s11, exec_lo
	v_cmpx_gt_u32_e64 s9, v36
	s_cbranch_execnz .LBB89_545
.LBB89_520:                             ;   in Loop: Header=BB89_510 Depth=2
	s_wait_alu 0xfffe
	s_or_b32 exec_lo, exec_lo, s11
	s_delay_alu instid0(SALU_CYCLE_1)
	s_mov_b32 s11, exec_lo
	v_cmpx_gt_u32_e64 s9, v37
	s_cbranch_execz .LBB89_522
.LBB89_521:                             ;   in Loop: Header=BB89_510 Depth=2
	s_wait_loadcnt 0x0
	v_add_co_u32 v11, s0, s0, v1
	s_wait_alu 0xf1ff
	v_add_co_ci_u32_e64 v12, null, s1, 0, s0
	global_load_u8 v2, v[11:12], off offset:1792
.LBB89_522:                             ;   in Loop: Header=BB89_510 Depth=2
	s_wait_alu 0xfffe
	s_or_b32 exec_lo, exec_lo, s11
	s_wait_loadcnt 0x0
	v_dual_mov_b32 v11, v7 :: v_dual_mov_b32 v12, v10
	v_dual_mov_b32 v13, v9 :: v_dual_mov_b32 v14, v8
	;; [unrolled: 1-line block ×4, first 2 shown]
	s_mov_b32 s0, s9
.LBB89_523:                             ;   in Loop: Header=BB89_510 Depth=2
	s_wait_loadcnt 0x5
	s_delay_alu instid0(VALU_DEP_1)
	v_dual_mov_b32 v2, v18 :: v_dual_mov_b32 v5, v16
	s_wait_loadcnt 0x2
	v_dual_mov_b32 v4, v17 :: v_dual_mov_b32 v9, v13
	s_wait_loadcnt 0x0
	v_dual_mov_b32 v6, v15 :: v_dual_mov_b32 v7, v11
	v_mov_b32_e32 v8, v14
	v_mov_b32_e32 v10, v12
	s_mov_b32 s1, exec_lo
	s_wait_alu 0xfffe
	v_cmpx_gt_u32_e64 s0, v1
	s_cbranch_execnz .LBB89_531
; %bb.524:                              ;   in Loop: Header=BB89_510 Depth=2
	s_or_b32 exec_lo, exec_lo, s1
	s_delay_alu instid0(SALU_CYCLE_1)
	s_mov_b32 s1, exec_lo
	v_cmpx_gt_u32_e64 s0, v29
	s_cbranch_execnz .LBB89_532
.LBB89_525:                             ;   in Loop: Header=BB89_510 Depth=2
	s_wait_alu 0xfffe
	s_or_b32 exec_lo, exec_lo, s1
	s_delay_alu instid0(SALU_CYCLE_1)
	s_mov_b32 s1, exec_lo
	v_cmpx_gt_u32_e64 s0, v30
	s_cbranch_execnz .LBB89_533
.LBB89_526:                             ;   in Loop: Header=BB89_510 Depth=2
	s_wait_alu 0xfffe
	s_or_b32 exec_lo, exec_lo, s1
	s_delay_alu instid0(SALU_CYCLE_1)
	s_mov_b32 s1, exec_lo
	v_cmpx_gt_u32_e64 s0, v31
	s_cbranch_execnz .LBB89_534
.LBB89_527:                             ;   in Loop: Header=BB89_510 Depth=2
	s_wait_alu 0xfffe
	s_or_b32 exec_lo, exec_lo, s1
	s_delay_alu instid0(SALU_CYCLE_1)
	s_mov_b32 s1, exec_lo
	v_cmpx_gt_u32_e64 s0, v34
	s_cbranch_execnz .LBB89_535
.LBB89_528:                             ;   in Loop: Header=BB89_510 Depth=2
	s_wait_alu 0xfffe
	s_or_b32 exec_lo, exec_lo, s1
	s_delay_alu instid0(SALU_CYCLE_1)
	s_mov_b32 s1, exec_lo
	v_cmpx_gt_u32_e64 s0, v35
	s_cbranch_execnz .LBB89_536
.LBB89_529:                             ;   in Loop: Header=BB89_510 Depth=2
	s_wait_alu 0xfffe
	s_or_b32 exec_lo, exec_lo, s1
	s_delay_alu instid0(SALU_CYCLE_1)
	s_mov_b32 s1, exec_lo
	v_cmpx_gt_u32_e64 s0, v36
	s_cbranch_execnz .LBB89_537
.LBB89_530:                             ;   in Loop: Header=BB89_510 Depth=2
	s_wait_alu 0xfffe
	s_or_b32 exec_lo, exec_lo, s1
	v_cmp_gt_u32_e32 vcc_lo, s0, v37
	s_and_saveexec_b32 s0, vcc_lo
	s_cbranch_execz .LBB89_509
	s_branch .LBB89_538
.LBB89_531:                             ;   in Loop: Header=BB89_510 Depth=2
	v_xor_b32_e32 v11, -1, v7
	s_delay_alu instid0(VALU_DEP_1) | instskip(NEXT) | instid1(VALU_DEP_1)
	v_and_b32_e32 v11, 0xff, v11
	v_lshrrev_b32_e32 v11, s45, v11
	s_delay_alu instid0(VALU_DEP_1) | instskip(NEXT) | instid1(VALU_DEP_1)
	v_and_b32_e32 v11, s31, v11
	v_lshl_or_b32 v11, v11, 4, v39
	ds_add_u32 v11, v61
	s_or_b32 exec_lo, exec_lo, s1
	s_delay_alu instid0(SALU_CYCLE_1)
	s_mov_b32 s1, exec_lo
	v_cmpx_gt_u32_e64 s0, v29
	s_cbranch_execz .LBB89_525
.LBB89_532:                             ;   in Loop: Header=BB89_510 Depth=2
	v_xor_b32_e32 v11, -1, v10
	s_delay_alu instid0(VALU_DEP_1) | instskip(NEXT) | instid1(VALU_DEP_1)
	v_and_b32_e32 v11, 0xff, v11
	v_lshrrev_b32_e32 v11, s45, v11
	s_delay_alu instid0(VALU_DEP_1) | instskip(NEXT) | instid1(VALU_DEP_1)
	v_and_b32_e32 v11, s31, v11
	v_lshl_or_b32 v11, v11, 4, v39
	ds_add_u32 v11, v61
	s_wait_alu 0xfffe
	s_or_b32 exec_lo, exec_lo, s1
	s_delay_alu instid0(SALU_CYCLE_1)
	s_mov_b32 s1, exec_lo
	v_cmpx_gt_u32_e64 s0, v30
	s_cbranch_execz .LBB89_526
.LBB89_533:                             ;   in Loop: Header=BB89_510 Depth=2
	v_xor_b32_e32 v11, -1, v9
	s_delay_alu instid0(VALU_DEP_1) | instskip(NEXT) | instid1(VALU_DEP_1)
	v_and_b32_e32 v11, 0xff, v11
	v_lshrrev_b32_e32 v11, s45, v11
	s_delay_alu instid0(VALU_DEP_1) | instskip(NEXT) | instid1(VALU_DEP_1)
	v_and_b32_e32 v11, s31, v11
	v_lshl_or_b32 v11, v11, 4, v39
	ds_add_u32 v11, v61
	s_wait_alu 0xfffe
	s_or_b32 exec_lo, exec_lo, s1
	s_delay_alu instid0(SALU_CYCLE_1)
	s_mov_b32 s1, exec_lo
	v_cmpx_gt_u32_e64 s0, v31
	s_cbranch_execz .LBB89_527
.LBB89_534:                             ;   in Loop: Header=BB89_510 Depth=2
	v_xor_b32_e32 v11, -1, v8
	s_delay_alu instid0(VALU_DEP_1) | instskip(NEXT) | instid1(VALU_DEP_1)
	v_and_b32_e32 v11, 0xff, v11
	v_lshrrev_b32_e32 v11, s45, v11
	s_delay_alu instid0(VALU_DEP_1) | instskip(NEXT) | instid1(VALU_DEP_1)
	v_and_b32_e32 v11, s31, v11
	v_lshl_or_b32 v11, v11, 4, v39
	ds_add_u32 v11, v61
	s_wait_alu 0xfffe
	s_or_b32 exec_lo, exec_lo, s1
	s_delay_alu instid0(SALU_CYCLE_1)
	s_mov_b32 s1, exec_lo
	v_cmpx_gt_u32_e64 s0, v34
	s_cbranch_execz .LBB89_528
.LBB89_535:                             ;   in Loop: Header=BB89_510 Depth=2
	v_xor_b32_e32 v11, -1, v6
	s_delay_alu instid0(VALU_DEP_1) | instskip(NEXT) | instid1(VALU_DEP_1)
	v_and_b32_e32 v11, 0xff, v11
	v_lshrrev_b32_e32 v11, s45, v11
	s_delay_alu instid0(VALU_DEP_1) | instskip(NEXT) | instid1(VALU_DEP_1)
	v_and_b32_e32 v11, s31, v11
	v_lshl_or_b32 v11, v11, 4, v39
	ds_add_u32 v11, v61
	s_wait_alu 0xfffe
	s_or_b32 exec_lo, exec_lo, s1
	s_delay_alu instid0(SALU_CYCLE_1)
	s_mov_b32 s1, exec_lo
	v_cmpx_gt_u32_e64 s0, v35
	s_cbranch_execz .LBB89_529
.LBB89_536:                             ;   in Loop: Header=BB89_510 Depth=2
	v_xor_b32_e32 v11, -1, v5
	s_delay_alu instid0(VALU_DEP_1) | instskip(NEXT) | instid1(VALU_DEP_1)
	v_and_b32_e32 v11, 0xff, v11
	v_lshrrev_b32_e32 v11, s45, v11
	s_delay_alu instid0(VALU_DEP_1) | instskip(NEXT) | instid1(VALU_DEP_1)
	v_and_b32_e32 v11, s31, v11
	v_lshl_or_b32 v11, v11, 4, v39
	ds_add_u32 v11, v61
	s_wait_alu 0xfffe
	s_or_b32 exec_lo, exec_lo, s1
	s_delay_alu instid0(SALU_CYCLE_1)
	s_mov_b32 s1, exec_lo
	v_cmpx_gt_u32_e64 s0, v36
	s_cbranch_execz .LBB89_530
.LBB89_537:                             ;   in Loop: Header=BB89_510 Depth=2
	v_xor_b32_e32 v11, -1, v4
	s_delay_alu instid0(VALU_DEP_1) | instskip(NEXT) | instid1(VALU_DEP_1)
	v_and_b32_e32 v11, 0xff, v11
	v_lshrrev_b32_e32 v11, s45, v11
	s_delay_alu instid0(VALU_DEP_1) | instskip(NEXT) | instid1(VALU_DEP_1)
	v_and_b32_e32 v11, s31, v11
	v_lshl_or_b32 v11, v11, 4, v39
	ds_add_u32 v11, v61
	s_wait_alu 0xfffe
	s_or_b32 exec_lo, exec_lo, s1
	v_cmp_gt_u32_e32 vcc_lo, s0, v37
	s_and_saveexec_b32 s0, vcc_lo
	s_cbranch_execz .LBB89_509
.LBB89_538:                             ;   in Loop: Header=BB89_510 Depth=2
	v_xor_b32_e32 v11, -1, v2
	s_delay_alu instid0(VALU_DEP_1) | instskip(NEXT) | instid1(VALU_DEP_1)
	v_and_b32_e32 v11, 0xff, v11
	v_lshrrev_b32_e32 v11, s45, v11
	s_delay_alu instid0(VALU_DEP_1) | instskip(NEXT) | instid1(VALU_DEP_1)
	v_and_b32_e32 v11, s31, v11
	v_lshl_or_b32 v11, v11, 4, v39
	ds_add_u32 v11, v61
	s_branch .LBB89_509
.LBB89_539:                             ;   in Loop: Header=BB89_510 Depth=2
	s_wait_loadcnt 0x0
	s_wait_alu 0xfffe
	v_add_co_u32 v11, s12, s0, v1
	s_wait_alu 0xf1ff
	v_add_co_ci_u32_e64 v12, null, s1, 0, s12
	global_load_u8 v7, v[11:12], off
	s_or_b32 exec_lo, exec_lo, s11
	s_delay_alu instid0(SALU_CYCLE_1)
	s_mov_b32 s11, exec_lo
	v_cmpx_gt_u32_e64 s9, v29
	s_cbranch_execz .LBB89_515
.LBB89_540:                             ;   in Loop: Header=BB89_510 Depth=2
	v_add_co_u32 v10, s12, s0, v1
	s_wait_loadcnt 0x0
	s_wait_alu 0xf1ff
	v_add_co_ci_u32_e64 v11, null, s1, 0, s12
	global_load_u8 v10, v[10:11], off offset:256
	s_wait_alu 0xfffe
	s_or_b32 exec_lo, exec_lo, s11
	s_delay_alu instid0(SALU_CYCLE_1)
	s_mov_b32 s11, exec_lo
	v_cmpx_gt_u32_e64 s9, v30
	s_cbranch_execz .LBB89_516
.LBB89_541:                             ;   in Loop: Header=BB89_510 Depth=2
	s_wait_loadcnt 0x0
	v_add_co_u32 v11, s12, s0, v1
	s_wait_alu 0xf1ff
	v_add_co_ci_u32_e64 v12, null, s1, 0, s12
	global_load_u8 v9, v[11:12], off offset:512
	s_wait_alu 0xfffe
	s_or_b32 exec_lo, exec_lo, s11
	s_delay_alu instid0(SALU_CYCLE_1)
	s_mov_b32 s11, exec_lo
	v_cmpx_gt_u32_e64 s9, v31
	s_cbranch_execz .LBB89_517
.LBB89_542:                             ;   in Loop: Header=BB89_510 Depth=2
	s_wait_loadcnt 0x0
	v_add_co_u32 v11, s12, s0, v1
	s_wait_alu 0xf1ff
	v_add_co_ci_u32_e64 v12, null, s1, 0, s12
	global_load_u8 v8, v[11:12], off offset:768
	s_wait_alu 0xfffe
	s_or_b32 exec_lo, exec_lo, s11
	s_delay_alu instid0(SALU_CYCLE_1)
	s_mov_b32 s11, exec_lo
	v_cmpx_gt_u32_e64 s9, v34
	s_cbranch_execz .LBB89_518
.LBB89_543:                             ;   in Loop: Header=BB89_510 Depth=2
	s_wait_loadcnt 0x0
	v_add_co_u32 v11, s12, s0, v1
	s_wait_alu 0xf1ff
	v_add_co_ci_u32_e64 v12, null, s1, 0, s12
	global_load_u8 v6, v[11:12], off offset:1024
	s_wait_alu 0xfffe
	s_or_b32 exec_lo, exec_lo, s11
	s_delay_alu instid0(SALU_CYCLE_1)
	s_mov_b32 s11, exec_lo
	v_cmpx_gt_u32_e64 s9, v35
	s_cbranch_execz .LBB89_519
.LBB89_544:                             ;   in Loop: Header=BB89_510 Depth=2
	s_wait_loadcnt 0x0
	v_add_co_u32 v11, s12, s0, v1
	s_wait_alu 0xf1ff
	v_add_co_ci_u32_e64 v12, null, s1, 0, s12
	global_load_u8 v5, v[11:12], off offset:1280
	s_wait_alu 0xfffe
	s_or_b32 exec_lo, exec_lo, s11
	s_delay_alu instid0(SALU_CYCLE_1)
	s_mov_b32 s11, exec_lo
	v_cmpx_gt_u32_e64 s9, v36
	s_cbranch_execz .LBB89_520
.LBB89_545:                             ;   in Loop: Header=BB89_510 Depth=2
	s_wait_loadcnt 0x0
	v_add_co_u32 v11, s12, s0, v1
	s_wait_alu 0xf1ff
	v_add_co_ci_u32_e64 v12, null, s1, 0, s12
	global_load_u8 v4, v[11:12], off offset:1536
	s_wait_alu 0xfffe
	s_or_b32 exec_lo, exec_lo, s11
	s_delay_alu instid0(SALU_CYCLE_1)
	s_mov_b32 s11, exec_lo
	v_cmpx_gt_u32_e64 s9, v37
	s_cbranch_execnz .LBB89_521
	s_branch .LBB89_522
.LBB89_546:                             ;   in Loop: Header=BB89_12 Depth=1
	v_mov_b32_e32 v2, 0
	s_wait_dscnt 0x0
	s_barrier_signal -1
	s_barrier_wait -1
	global_inv scope:SCOPE_SE
	s_and_saveexec_b32 s0, s2
	s_cbranch_execz .LBB89_548
; %bb.547:                              ;   in Loop: Header=BB89_12 Depth=1
	ds_load_2addr_b64 v[4:7], v40 offset1:1
	s_wait_dscnt 0x0
	v_add_nc_u32_e32 v2, v5, v4
	s_delay_alu instid0(VALU_DEP_1)
	v_add3_u32 v2, v2, v6, v7
.LBB89_548:                             ;   in Loop: Header=BB89_12 Depth=1
	s_wait_alu 0xfffe
	s_or_b32 exec_lo, exec_lo, s0
	s_delay_alu instid0(VALU_DEP_1)
	v_mov_b32_dpp v4, v2 row_shr:1 row_mask:0xf bank_mask:0xf
	v_cmp_eq_u32_e64 s0, 0, v62
	v_cmp_lt_u32_e64 s1, 1, v62
	v_cmp_lt_u32_e64 s9, 3, v62
	;; [unrolled: 1-line block ×3, first 2 shown]
	v_cmp_eq_u32_e64 s11, 0, v64
	s_wait_alu 0xf1ff
	v_cndmask_b32_e64 v4, v4, 0, s0
	s_delay_alu instid0(VALU_DEP_1) | instskip(NEXT) | instid1(VALU_DEP_1)
	v_add_nc_u32_e32 v2, v4, v2
	v_mov_b32_dpp v4, v2 row_shr:2 row_mask:0xf bank_mask:0xf
	s_delay_alu instid0(VALU_DEP_1) | instskip(NEXT) | instid1(VALU_DEP_1)
	v_cndmask_b32_e64 v4, 0, v4, s1
	v_add_nc_u32_e32 v2, v2, v4
	s_delay_alu instid0(VALU_DEP_1) | instskip(NEXT) | instid1(VALU_DEP_1)
	v_mov_b32_dpp v4, v2 row_shr:4 row_mask:0xf bank_mask:0xf
	v_cndmask_b32_e64 v4, 0, v4, s9
	s_delay_alu instid0(VALU_DEP_1) | instskip(NEXT) | instid1(VALU_DEP_1)
	v_add_nc_u32_e32 v2, v2, v4
	v_mov_b32_dpp v4, v2 row_shr:8 row_mask:0xf bank_mask:0xf
	s_delay_alu instid0(VALU_DEP_1) | instskip(NEXT) | instid1(VALU_DEP_1)
	v_cndmask_b32_e64 v4, 0, v4, s10
	v_add_nc_u32_e32 v2, v2, v4
	ds_swizzle_b32 v4, v2 offset:swizzle(BROADCAST,32,15)
	s_wait_dscnt 0x0
	v_and_b32_e32 v4, v63, v4
	s_delay_alu instid0(VALU_DEP_1)
	v_add_nc_u32_e32 v2, v2, v4
	s_and_saveexec_b32 s12, s3
; %bb.549:                              ;   in Loop: Header=BB89_12 Depth=1
	ds_store_b32 v41, v2
; %bb.550:                              ;   in Loop: Header=BB89_12 Depth=1
	s_wait_alu 0xfffe
	s_or_b32 exec_lo, exec_lo, s12
	s_wait_loadcnt_dscnt 0x0
	s_barrier_signal -1
	s_barrier_wait -1
	global_inv scope:SCOPE_SE
	s_and_saveexec_b32 s12, s4
	s_cbranch_execz .LBB89_552
; %bb.551:                              ;   in Loop: Header=BB89_12 Depth=1
	ds_load_b32 v4, v42
	v_cmp_ne_u32_e32 vcc_lo, 0, v65
	s_wait_dscnt 0x0
	v_mov_b32_dpp v5, v4 row_shr:1 row_mask:0xf bank_mask:0xf
	s_wait_alu 0xfffd
	s_delay_alu instid0(VALU_DEP_1) | instskip(SKIP_1) | instid1(VALU_DEP_2)
	v_cndmask_b32_e32 v5, 0, v5, vcc_lo
	v_cmp_lt_u32_e32 vcc_lo, 1, v65
	v_add_nc_u32_e32 v4, v5, v4
	s_delay_alu instid0(VALU_DEP_1) | instskip(SKIP_1) | instid1(VALU_DEP_1)
	v_mov_b32_dpp v5, v4 row_shr:2 row_mask:0xf bank_mask:0xf
	s_wait_alu 0xfffd
	v_cndmask_b32_e32 v5, 0, v5, vcc_lo
	v_cmp_lt_u32_e32 vcc_lo, 3, v65
	s_delay_alu instid0(VALU_DEP_2) | instskip(NEXT) | instid1(VALU_DEP_1)
	v_add_nc_u32_e32 v4, v4, v5
	v_mov_b32_dpp v5, v4 row_shr:4 row_mask:0xf bank_mask:0xf
	s_wait_alu 0xfffd
	s_delay_alu instid0(VALU_DEP_1) | instskip(NEXT) | instid1(VALU_DEP_1)
	v_cndmask_b32_e32 v5, 0, v5, vcc_lo
	v_add_nc_u32_e32 v4, v4, v5
	ds_store_b32 v42, v4
.LBB89_552:                             ;   in Loop: Header=BB89_12 Depth=1
	s_wait_alu 0xfffe
	s_or_b32 exec_lo, exec_lo, s12
	v_mov_b32_e32 v4, 0
	s_wait_loadcnt_dscnt 0x0
	s_barrier_signal -1
	s_barrier_wait -1
	global_inv scope:SCOPE_SE
	s_and_saveexec_b32 s12, s5
; %bb.553:                              ;   in Loop: Header=BB89_12 Depth=1
	ds_load_b32 v4, v43
; %bb.554:                              ;   in Loop: Header=BB89_12 Depth=1
	s_wait_alu 0xfffe
	s_or_b32 exec_lo, exec_lo, s12
	v_cmp_gt_i32_e32 vcc_lo, 0, v67
	s_wait_dscnt 0x0
	v_add_nc_u32_e32 v2, v4, v2
	s_wait_loadcnt 0x0
	s_barrier_signal -1
	s_barrier_wait -1
	s_wait_alu 0xfffd
	v_cndmask_b32_e32 v5, v67, v58, vcc_lo
	global_inv scope:SCOPE_SE
	v_lshlrev_b32_e32 v80, 2, v5
	ds_bpermute_b32 v2, v80, v2
	s_and_saveexec_b32 s12, s2
	s_cbranch_execz .LBB89_556
; %bb.555:                              ;   in Loop: Header=BB89_12 Depth=1
	s_wait_dscnt 0x0
	v_cndmask_b32_e64 v2, v2, v4, s8
	s_delay_alu instid0(VALU_DEP_1)
	v_add_nc_u32_e32 v2, s33, v2
	ds_store_b32 v28, v2
.LBB89_556:                             ;   in Loop: Header=BB89_12 Depth=1
	s_wait_alu 0xfffe
	s_or_b32 exec_lo, exec_lo, s12
	s_load_b64 s[12:13], s[28:29], 0x0
	v_add_co_u32 v81, vcc_lo, v56, v66
	s_wait_alu 0xfffd
	v_add_co_ci_u32_e64 v82, null, 0, v57, vcc_lo
	v_add_co_u32 v83, vcc_lo, v59, v58
	s_wait_alu 0xfffd
	v_add_co_ci_u32_e64 v84, null, 0, v60, vcc_lo
	s_mov_b32 s42, s47
                                        ; implicit-def: $vgpr6_vgpr7
                                        ; implicit-def: $vgpr8_vgpr9
                                        ; implicit-def: $vgpr10_vgpr11
                                        ; implicit-def: $vgpr12_vgpr13
                                        ; implicit-def: $vgpr14_vgpr15
                                        ; implicit-def: $vgpr16_vgpr17
                                        ; implicit-def: $vgpr18_vgpr19
                                        ; implicit-def: $vgpr86
                                        ; implicit-def: $vgpr87
                                        ; implicit-def: $vgpr88
                                        ; implicit-def: $vgpr89
                                        ; implicit-def: $vgpr90
                                        ; implicit-def: $vgpr91
                                        ; implicit-def: $vgpr92
                                        ; implicit-def: $vgpr93
	s_wait_kmcnt 0x0
	s_cmp_lt_u32 ttmp7, s13
	s_cselect_b32 s22, 14, 20
	s_cmp_lt_u32 ttmp9, s12
	s_wait_alu 0xfffe
	s_add_nc_u64 s[14:15], s[28:29], s[22:23]
	s_cselect_b32 s22, 12, 18
	s_load_u16 s14, s[14:15], 0x0
	s_add_nc_u64 s[12:13], s[28:29], s[22:23]
	s_mov_b32 s22, s33
	s_load_u16 s12, s[12:13], 0x0
	v_cmp_lt_u32_e64 s13, 1, v65
	s_wait_dscnt 0x0
	s_wait_kmcnt 0x0
	v_mad_u32_u24 v2, v44, s14, v0
	v_cmp_lt_u32_e64 s14, 3, v65
	s_delay_alu instid0(VALU_DEP_2) | instskip(SKIP_1) | instid1(VALU_DEP_2)
	v_mad_co_u64_u32 v[4:5], null, v2, s12, v[1:2]
	v_cmp_eq_u32_e64 s12, 0, v65
	v_lshrrev_b32_e32 v2, 3, v4
                                        ; implicit-def: $vgpr4_vgpr5
	s_delay_alu instid0(VALU_DEP_1)
	v_and_b32_e32 v85, 0x1ffffffc, v2
	s_branch .LBB89_558
.LBB89_557:                             ;   in Loop: Header=BB89_558 Depth=2
	s_wait_alu 0xfffe
	s_or_b32 exec_lo, exec_lo, s15
	s_addk_co_i32 s42, 0xf800
	s_cmp_lt_u32 s43, s34
	s_mov_b32 s22, s43
	s_cbranch_scc0 .LBB89_10
.LBB89_558:                             ;   Parent Loop BB89_12 Depth=1
                                        ; =>  This Inner Loop Header: Depth=2
	s_wait_alu 0xfffe
	s_add_co_i32 s43, s22, 0x800
	s_wait_alu 0xfffe
	s_cmp_gt_u32 s43, s34
	s_cbranch_scc1 .LBB89_560
; %bb.559:                              ;   in Loop: Header=BB89_558 Depth=2
	v_add_co_u32 v20, vcc_lo, v83, s22
	s_wait_alu 0xfffd
	v_add_co_ci_u32_e64 v21, null, 0, v84, vcc_lo
	s_mov_b32 s15, -1
	s_clause 0x6
	global_load_u8 v23, v[20:21], off offset:192
	global_load_u8 v24, v[20:21], off offset:160
	;; [unrolled: 1-line block ×6, first 2 shown]
	global_load_u8 v94, v[20:21], off
	s_movk_i32 s16, 0x800
                                        ; implicit-def: $vgpr22
	s_cbranch_execz .LBB89_561
	s_branch .LBB89_571
.LBB89_560:                             ;   in Loop: Header=BB89_558 Depth=2
	s_mov_b32 s15, 0
                                        ; implicit-def: $vgpr94
                                        ; implicit-def: $vgpr96
                                        ; implicit-def: $vgpr27
                                        ; implicit-def: $vgpr26
                                        ; implicit-def: $vgpr25
                                        ; implicit-def: $vgpr24
                                        ; implicit-def: $vgpr23
	s_movk_i32 s16, 0x800
                                        ; implicit-def: $vgpr22
.LBB89_561:                             ;   in Loop: Header=BB89_558 Depth=2
	v_add_co_u32 v20, vcc_lo, v83, s22
	s_wait_alu 0xfffd
	v_add_co_ci_u32_e64 v21, null, 0, v84, vcc_lo
	s_wait_loadcnt 0x0
	v_dual_mov_b32 v27, 0 :: v_dual_mov_b32 v94, 0
	v_dual_mov_b32 v26, 0 :: v_dual_mov_b32 v25, 0
	;; [unrolled: 1-line block ×3, first 2 shown]
	v_mov_b32_e32 v22, 0
	s_mov_b32 s15, exec_lo
	v_cmpx_gt_u32_e64 s42, v68
	s_cbranch_execz .LBB89_563
; %bb.562:                              ;   in Loop: Header=BB89_558 Depth=2
	global_load_u8 v94, v[20:21], off
	v_dual_mov_b32 v26, 0 :: v_dual_mov_b32 v25, 0
	v_dual_mov_b32 v24, 0 :: v_dual_mov_b32 v23, 0
	v_mov_b32_e32 v22, 0
.LBB89_563:                             ;   in Loop: Header=BB89_558 Depth=2
	s_wait_alu 0xfffe
	s_or_b32 exec_lo, exec_lo, s15
	v_mov_b32_e32 v96, v27
	s_mov_b32 s15, exec_lo
	v_cmpx_gt_u32_e64 s42, v71
	s_cbranch_execnz .LBB89_665
; %bb.564:                              ;   in Loop: Header=BB89_558 Depth=2
	s_wait_alu 0xfffe
	s_or_b32 exec_lo, exec_lo, s15
	s_delay_alu instid0(SALU_CYCLE_1)
	s_mov_b32 s15, exec_lo
	v_cmpx_gt_u32_e64 s42, v72
	s_cbranch_execnz .LBB89_666
.LBB89_565:                             ;   in Loop: Header=BB89_558 Depth=2
	s_wait_alu 0xfffe
	s_or_b32 exec_lo, exec_lo, s15
	s_delay_alu instid0(SALU_CYCLE_1)
	s_mov_b32 s15, exec_lo
	v_cmpx_gt_u32_e64 s42, v73
	s_cbranch_execnz .LBB89_667
.LBB89_566:                             ;   in Loop: Header=BB89_558 Depth=2
	s_wait_alu 0xfffe
	s_or_b32 exec_lo, exec_lo, s15
	s_delay_alu instid0(SALU_CYCLE_1)
	s_mov_b32 s15, exec_lo
	v_cmpx_gt_u32_e64 s42, v74
	s_cbranch_execnz .LBB89_668
.LBB89_567:                             ;   in Loop: Header=BB89_558 Depth=2
	s_wait_alu 0xfffe
	s_or_b32 exec_lo, exec_lo, s15
	s_delay_alu instid0(SALU_CYCLE_1)
	s_mov_b32 s15, exec_lo
	v_cmpx_gt_u32_e64 s42, v75
	s_cbranch_execnz .LBB89_669
.LBB89_568:                             ;   in Loop: Header=BB89_558 Depth=2
	s_wait_alu 0xfffe
	s_or_b32 exec_lo, exec_lo, s15
	s_delay_alu instid0(SALU_CYCLE_1)
	s_mov_b32 s15, exec_lo
	v_cmpx_gt_u32_e64 s42, v76
	s_cbranch_execz .LBB89_570
.LBB89_569:                             ;   in Loop: Header=BB89_558 Depth=2
	global_load_u8 v23, v[20:21], off offset:192
.LBB89_570:                             ;   in Loop: Header=BB89_558 Depth=2
	s_wait_alu 0xfffe
	s_or_b32 exec_lo, exec_lo, s15
	v_cmp_gt_u32_e64 s15, s42, v77
	s_sub_co_i32 s16, s34, s22
.LBB89_571:                             ;   in Loop: Header=BB89_558 Depth=2
	v_mov_b32_e32 v2, s42
	s_wait_alu 0xfffe
	s_and_saveexec_b32 s17, s15
	s_cbranch_execz .LBB89_573
; %bb.572:                              ;   in Loop: Header=BB89_558 Depth=2
	v_add_co_u32 v20, vcc_lo, v83, s22
	s_wait_alu 0xfffd
	v_add_co_ci_u32_e64 v21, null, s23, v84, vcc_lo
	v_mov_b32_e32 v2, s16
	global_load_u8 v22, v[20:21], off offset:224
.LBB89_573:                             ;   in Loop: Header=BB89_558 Depth=2
	s_wait_alu 0xfffe
	s_or_b32 exec_lo, exec_lo, s17
	s_wait_loadcnt 0x0
	v_xor_b32_e32 v94, -1, v94
	s_delay_alu instid0(VALU_DEP_1) | instskip(NEXT) | instid1(VALU_DEP_1)
	v_and_b32_e32 v20, 0xff, v94
	v_lshrrev_b32_e32 v20, s45, v20
	s_delay_alu instid0(VALU_DEP_1) | instskip(NEXT) | instid1(VALU_DEP_1)
	v_and_b32_e32 v21, s31, v20
	v_and_b32_e32 v20, 1, v21
	v_lshlrev_b32_e32 v95, 30, v21
	v_lshlrev_b32_e32 v97, 29, v21
	;; [unrolled: 1-line block ×4, first 2 shown]
	v_add_co_u32 v20, s15, v20, -1
	s_wait_alu 0xf1ff
	v_cndmask_b32_e64 v99, 0, 1, s15
	v_not_b32_e32 v103, v95
	v_cmp_gt_i32_e64 s15, 0, v95
	v_not_b32_e32 v95, v97
	v_lshlrev_b32_e32 v101, 26, v21
	v_cmp_ne_u32_e32 vcc_lo, 0, v99
	v_ashrrev_i32_e32 v103, 31, v103
	v_lshlrev_b32_e32 v102, 25, v21
	v_ashrrev_i32_e32 v95, 31, v95
	v_lshlrev_b32_e32 v99, 24, v21
	s_wait_alu 0xfffd
	v_xor_b32_e32 v20, vcc_lo, v20
	v_cmp_gt_i32_e32 vcc_lo, 0, v97
	v_not_b32_e32 v97, v98
	s_wait_alu 0xf1ff
	v_xor_b32_e32 v103, s15, v103
	v_cmp_gt_i32_e64 s15, 0, v98
	v_and_b32_e32 v20, exec_lo, v20
	v_not_b32_e32 v98, v100
	v_ashrrev_i32_e32 v97, 31, v97
	s_wait_alu 0xfffd
	v_xor_b32_e32 v95, vcc_lo, v95
	v_cmp_gt_i32_e32 vcc_lo, 0, v100
	v_and_b32_e32 v20, v20, v103
	v_not_b32_e32 v100, v101
	v_ashrrev_i32_e32 v98, 31, v98
	s_wait_alu 0xf1ff
	v_xor_b32_e32 v97, s15, v97
	v_cmp_gt_i32_e64 s15, 0, v101
	v_and_b32_e32 v20, v20, v95
	v_not_b32_e32 v95, v102
	v_ashrrev_i32_e32 v100, 31, v100
	s_wait_alu 0xfffd
	v_xor_b32_e32 v98, vcc_lo, v98
	v_cmp_gt_i32_e32 vcc_lo, 0, v102
	v_and_b32_e32 v20, v20, v97
	v_not_b32_e32 v97, v99
	v_ashrrev_i32_e32 v95, 31, v95
	s_wait_alu 0xf1ff
	v_xor_b32_e32 v100, s15, v100
	v_cmp_gt_i32_e64 s15, 0, v99
	v_and_b32_e32 v20, v20, v98
	v_ashrrev_i32_e32 v97, 31, v97
	s_wait_alu 0xfffd
	v_xor_b32_e32 v95, vcc_lo, v95
	v_mul_u32_u24_e32 v21, 36, v21
	v_add_nc_u32_e32 v99, 0x428, v45
	v_and_b32_e32 v20, v20, v100
	s_wait_alu 0xf1ff
	v_xor_b32_e32 v98, s15, v97
	v_add_nc_u32_e32 v97, 0x438, v45
	v_add_nc_u32_e32 v100, 0x430, v45
	;; [unrolled: 1-line block ×3, first 2 shown]
	v_and_b32_e32 v20, v20, v95
	ds_store_2addr_b32 v97, v3, v3 offset1:1
	v_and_b32_e32 v20, v20, v98
	v_add_nc_u32_e32 v98, 0x420, v45
	ds_store_2addr_b32 v98, v3, v3 offset1:1
	ds_store_2addr_b32 v99, v3, v3 offset1:1
	;; [unrolled: 1-line block ×3, first 2 shown]
	ds_store_b32 v45, v3 offset:1088
	v_mbcnt_lo_u32_b32 v95, v20, 0
	v_cmp_ne_u32_e64 s15, 0, v20
	s_wait_dscnt 0x0
	s_barrier_signal -1
	s_barrier_wait -1
	v_cmp_eq_u32_e32 vcc_lo, 0, v95
	global_inv scope:SCOPE_SE
	; wave barrier
	s_and_b32 s16, s15, vcc_lo
	s_wait_alu 0xfffe
	s_and_saveexec_b32 s15, s16
; %bb.574:                              ;   in Loop: Header=BB89_558 Depth=2
	v_bcnt_u32_b32 v20, v20, 0
	ds_store_b32 v101, v20 offset:1056
; %bb.575:                              ;   in Loop: Header=BB89_558 Depth=2
	s_wait_alu 0xfffe
	s_or_b32 exec_lo, exec_lo, s15
	v_xor_b32_e32 v96, -1, v96
	; wave barrier
	s_delay_alu instid0(VALU_DEP_1) | instskip(NEXT) | instid1(VALU_DEP_1)
	v_and_b32_e32 v20, 0xff, v96
	v_lshrrev_b32_e32 v20, s45, v20
	s_delay_alu instid0(VALU_DEP_1) | instskip(NEXT) | instid1(VALU_DEP_1)
	v_and_b32_e32 v21, s31, v20
	v_and_b32_e32 v20, 1, v21
	v_lshlrev_b32_e32 v102, 30, v21
	v_lshlrev_b32_e32 v103, 29, v21
	;; [unrolled: 1-line block ×4, first 2 shown]
	v_add_co_u32 v20, s15, v20, -1
	s_wait_alu 0xf1ff
	v_cndmask_b32_e64 v105, 0, 1, s15
	v_not_b32_e32 v109, v102
	v_cmp_gt_i32_e64 s15, 0, v102
	v_not_b32_e32 v102, v103
	v_lshlrev_b32_e32 v107, 26, v21
	v_cmp_ne_u32_e32 vcc_lo, 0, v105
	v_ashrrev_i32_e32 v109, 31, v109
	v_lshlrev_b32_e32 v108, 25, v21
	v_ashrrev_i32_e32 v102, 31, v102
	v_lshlrev_b32_e32 v105, 24, v21
	s_wait_alu 0xfffd
	v_xor_b32_e32 v20, vcc_lo, v20
	v_cmp_gt_i32_e32 vcc_lo, 0, v103
	v_not_b32_e32 v103, v104
	s_wait_alu 0xf1ff
	v_xor_b32_e32 v109, s15, v109
	v_cmp_gt_i32_e64 s15, 0, v104
	v_and_b32_e32 v20, exec_lo, v20
	v_not_b32_e32 v104, v106
	v_ashrrev_i32_e32 v103, 31, v103
	s_wait_alu 0xfffd
	v_xor_b32_e32 v102, vcc_lo, v102
	v_cmp_gt_i32_e32 vcc_lo, 0, v106
	v_and_b32_e32 v20, v20, v109
	v_not_b32_e32 v106, v107
	v_ashrrev_i32_e32 v104, 31, v104
	s_wait_alu 0xf1ff
	v_xor_b32_e32 v103, s15, v103
	v_cmp_gt_i32_e64 s15, 0, v107
	v_and_b32_e32 v20, v20, v102
	v_not_b32_e32 v102, v108
	v_ashrrev_i32_e32 v106, 31, v106
	s_wait_alu 0xfffd
	v_xor_b32_e32 v104, vcc_lo, v104
	v_cmp_gt_i32_e32 vcc_lo, 0, v108
	v_and_b32_e32 v20, v20, v103
	v_not_b32_e32 v103, v105
	v_ashrrev_i32_e32 v102, 31, v102
	s_wait_alu 0xf1ff
	v_xor_b32_e32 v106, s15, v106
	v_cmp_gt_i32_e64 s15, 0, v105
	v_and_b32_e32 v20, v20, v104
	v_ashrrev_i32_e32 v103, 31, v103
	s_wait_alu 0xfffd
	v_xor_b32_e32 v102, vcc_lo, v102
	v_mad_u32_u24 v104, v21, 36, v85
	v_mul_u32_u24_e32 v21, 36, v21
	v_and_b32_e32 v20, v20, v106
	s_wait_alu 0xf1ff
	v_xor_b32_e32 v103, s15, v103
	s_delay_alu instid0(VALU_DEP_3) | instskip(NEXT) | instid1(VALU_DEP_3)
	v_add_nc_u32_e32 v105, v85, v21
	v_and_b32_e32 v20, v20, v102
	ds_load_b32 v102, v104 offset:1056
	; wave barrier
	v_and_b32_e32 v20, v20, v103
	s_delay_alu instid0(VALU_DEP_1) | instskip(SKIP_1) | instid1(VALU_DEP_2)
	v_mbcnt_lo_u32_b32 v103, v20, 0
	v_cmp_ne_u32_e64 s15, 0, v20
	v_cmp_eq_u32_e32 vcc_lo, 0, v103
	s_and_b32 s16, s15, vcc_lo
	s_wait_alu 0xfffe
	s_and_saveexec_b32 s15, s16
	s_cbranch_execz .LBB89_577
; %bb.576:                              ;   in Loop: Header=BB89_558 Depth=2
	s_wait_dscnt 0x0
	v_bcnt_u32_b32 v20, v20, v102
	ds_store_b32 v105, v20 offset:1056
.LBB89_577:                             ;   in Loop: Header=BB89_558 Depth=2
	s_wait_alu 0xfffe
	s_or_b32 exec_lo, exec_lo, s15
	v_xor_b32_e32 v104, -1, v27
	; wave barrier
	s_delay_alu instid0(VALU_DEP_1) | instskip(NEXT) | instid1(VALU_DEP_1)
	v_and_b32_e32 v20, 0xff, v104
	v_lshrrev_b32_e32 v20, s45, v20
	s_delay_alu instid0(VALU_DEP_1) | instskip(NEXT) | instid1(VALU_DEP_1)
	v_and_b32_e32 v21, s31, v20
	v_and_b32_e32 v20, 1, v21
	v_lshlrev_b32_e32 v27, 30, v21
	v_lshlrev_b32_e32 v106, 29, v21
	;; [unrolled: 1-line block ×4, first 2 shown]
	v_add_co_u32 v20, s15, v20, -1
	s_wait_alu 0xf1ff
	v_cndmask_b32_e64 v108, 0, 1, s15
	v_not_b32_e32 v112, v27
	v_cmp_gt_i32_e64 s15, 0, v27
	v_not_b32_e32 v27, v106
	v_lshlrev_b32_e32 v110, 26, v21
	v_cmp_ne_u32_e32 vcc_lo, 0, v108
	v_ashrrev_i32_e32 v112, 31, v112
	v_lshlrev_b32_e32 v111, 25, v21
	v_ashrrev_i32_e32 v27, 31, v27
	v_lshlrev_b32_e32 v108, 24, v21
	s_wait_alu 0xfffd
	v_xor_b32_e32 v20, vcc_lo, v20
	v_cmp_gt_i32_e32 vcc_lo, 0, v106
	v_not_b32_e32 v106, v107
	s_wait_alu 0xf1ff
	v_xor_b32_e32 v112, s15, v112
	v_cmp_gt_i32_e64 s15, 0, v107
	v_and_b32_e32 v20, exec_lo, v20
	v_not_b32_e32 v107, v109
	v_ashrrev_i32_e32 v106, 31, v106
	s_wait_alu 0xfffd
	v_xor_b32_e32 v27, vcc_lo, v27
	v_cmp_gt_i32_e32 vcc_lo, 0, v109
	v_and_b32_e32 v20, v20, v112
	v_not_b32_e32 v109, v110
	v_ashrrev_i32_e32 v107, 31, v107
	s_wait_alu 0xf1ff
	v_xor_b32_e32 v106, s15, v106
	v_cmp_gt_i32_e64 s15, 0, v110
	v_and_b32_e32 v20, v20, v27
	v_not_b32_e32 v27, v111
	v_ashrrev_i32_e32 v109, 31, v109
	s_wait_alu 0xfffd
	v_xor_b32_e32 v107, vcc_lo, v107
	v_cmp_gt_i32_e32 vcc_lo, 0, v111
	v_and_b32_e32 v20, v20, v106
	v_not_b32_e32 v106, v108
	v_ashrrev_i32_e32 v27, 31, v27
	s_wait_alu 0xf1ff
	v_xor_b32_e32 v109, s15, v109
	v_cmp_gt_i32_e64 s15, 0, v108
	v_and_b32_e32 v20, v20, v107
	v_ashrrev_i32_e32 v106, 31, v106
	s_wait_alu 0xfffd
	v_xor_b32_e32 v27, vcc_lo, v27
	v_mad_u32_u24 v107, v21, 36, v85
	v_mul_u32_u24_e32 v21, 36, v21
	v_and_b32_e32 v20, v20, v109
	s_wait_alu 0xf1ff
	v_xor_b32_e32 v108, s15, v106
	ds_load_b32 v106, v107 offset:1056
	v_add_nc_u32_e32 v109, v85, v21
	v_and_b32_e32 v20, v20, v27
	; wave barrier
	s_delay_alu instid0(VALU_DEP_1) | instskip(NEXT) | instid1(VALU_DEP_1)
	v_and_b32_e32 v20, v20, v108
	v_mbcnt_lo_u32_b32 v107, v20, 0
	v_cmp_ne_u32_e64 s15, 0, v20
	s_delay_alu instid0(VALU_DEP_2)
	v_cmp_eq_u32_e32 vcc_lo, 0, v107
	s_and_b32 s16, s15, vcc_lo
	s_wait_alu 0xfffe
	s_and_saveexec_b32 s15, s16
	s_cbranch_execz .LBB89_579
; %bb.578:                              ;   in Loop: Header=BB89_558 Depth=2
	s_wait_dscnt 0x0
	v_bcnt_u32_b32 v20, v20, v106
	ds_store_b32 v109, v20 offset:1056
.LBB89_579:                             ;   in Loop: Header=BB89_558 Depth=2
	s_wait_alu 0xfffe
	s_or_b32 exec_lo, exec_lo, s15
	v_xor_b32_e32 v108, -1, v26
	; wave barrier
	s_delay_alu instid0(VALU_DEP_1) | instskip(NEXT) | instid1(VALU_DEP_1)
	v_and_b32_e32 v20, 0xff, v108
	v_lshrrev_b32_e32 v20, s45, v20
	s_delay_alu instid0(VALU_DEP_1) | instskip(NEXT) | instid1(VALU_DEP_1)
	v_and_b32_e32 v21, s31, v20
	v_and_b32_e32 v20, 1, v21
	v_lshlrev_b32_e32 v26, 30, v21
	v_lshlrev_b32_e32 v27, 29, v21
	;; [unrolled: 1-line block ×4, first 2 shown]
	v_add_co_u32 v20, s15, v20, -1
	s_wait_alu 0xf1ff
	v_cndmask_b32_e64 v111, 0, 1, s15
	v_not_b32_e32 v115, v26
	v_cmp_gt_i32_e64 s15, 0, v26
	v_not_b32_e32 v26, v27
	v_lshlrev_b32_e32 v113, 26, v21
	v_cmp_ne_u32_e32 vcc_lo, 0, v111
	v_ashrrev_i32_e32 v115, 31, v115
	v_lshlrev_b32_e32 v114, 25, v21
	v_ashrrev_i32_e32 v26, 31, v26
	v_lshlrev_b32_e32 v111, 24, v21
	s_wait_alu 0xfffd
	v_xor_b32_e32 v20, vcc_lo, v20
	v_cmp_gt_i32_e32 vcc_lo, 0, v27
	v_not_b32_e32 v27, v110
	s_wait_alu 0xf1ff
	v_xor_b32_e32 v115, s15, v115
	v_cmp_gt_i32_e64 s15, 0, v110
	v_and_b32_e32 v20, exec_lo, v20
	v_not_b32_e32 v110, v112
	v_ashrrev_i32_e32 v27, 31, v27
	s_wait_alu 0xfffd
	v_xor_b32_e32 v26, vcc_lo, v26
	v_cmp_gt_i32_e32 vcc_lo, 0, v112
	v_and_b32_e32 v20, v20, v115
	v_not_b32_e32 v112, v113
	v_ashrrev_i32_e32 v110, 31, v110
	s_wait_alu 0xf1ff
	v_xor_b32_e32 v27, s15, v27
	v_cmp_gt_i32_e64 s15, 0, v113
	v_and_b32_e32 v20, v20, v26
	v_not_b32_e32 v26, v114
	v_ashrrev_i32_e32 v112, 31, v112
	s_wait_alu 0xfffd
	v_xor_b32_e32 v110, vcc_lo, v110
	v_cmp_gt_i32_e32 vcc_lo, 0, v114
	v_and_b32_e32 v20, v20, v27
	v_not_b32_e32 v27, v111
	v_ashrrev_i32_e32 v26, 31, v26
	s_wait_alu 0xf1ff
	v_xor_b32_e32 v112, s15, v112
	v_cmp_gt_i32_e64 s15, 0, v111
	v_and_b32_e32 v20, v20, v110
	v_ashrrev_i32_e32 v27, 31, v27
	s_wait_alu 0xfffd
	v_xor_b32_e32 v26, vcc_lo, v26
	v_mad_u32_u24 v110, v21, 36, v85
	v_mul_u32_u24_e32 v21, 36, v21
	v_and_b32_e32 v20, v20, v112
	s_wait_alu 0xf1ff
	v_xor_b32_e32 v27, s15, v27
	ds_load_b32 v110, v110 offset:1056
	v_add_nc_u32_e32 v113, v85, v21
	v_and_b32_e32 v20, v20, v26
	; wave barrier
	s_delay_alu instid0(VALU_DEP_1) | instskip(NEXT) | instid1(VALU_DEP_1)
	v_and_b32_e32 v20, v20, v27
	v_mbcnt_lo_u32_b32 v111, v20, 0
	v_cmp_ne_u32_e64 s15, 0, v20
	s_delay_alu instid0(VALU_DEP_2)
	v_cmp_eq_u32_e32 vcc_lo, 0, v111
	s_and_b32 s16, s15, vcc_lo
	s_wait_alu 0xfffe
	s_and_saveexec_b32 s15, s16
	s_cbranch_execz .LBB89_581
; %bb.580:                              ;   in Loop: Header=BB89_558 Depth=2
	s_wait_dscnt 0x0
	v_bcnt_u32_b32 v20, v20, v110
	ds_store_b32 v113, v20 offset:1056
.LBB89_581:                             ;   in Loop: Header=BB89_558 Depth=2
	s_wait_alu 0xfffe
	s_or_b32 exec_lo, exec_lo, s15
	v_xor_b32_e32 v112, -1, v25
	; wave barrier
	s_delay_alu instid0(VALU_DEP_1) | instskip(NEXT) | instid1(VALU_DEP_1)
	v_and_b32_e32 v20, 0xff, v112
	v_lshrrev_b32_e32 v20, s45, v20
	s_delay_alu instid0(VALU_DEP_1) | instskip(NEXT) | instid1(VALU_DEP_1)
	v_and_b32_e32 v21, s31, v20
	v_and_b32_e32 v20, 1, v21
	v_lshlrev_b32_e32 v25, 30, v21
	v_lshlrev_b32_e32 v26, 29, v21
	;; [unrolled: 1-line block ×4, first 2 shown]
	v_add_co_u32 v20, s15, v20, -1
	s_wait_alu 0xf1ff
	v_cndmask_b32_e64 v114, 0, 1, s15
	v_not_b32_e32 v118, v25
	v_cmp_gt_i32_e64 s15, 0, v25
	v_not_b32_e32 v25, v26
	v_lshlrev_b32_e32 v116, 26, v21
	v_cmp_ne_u32_e32 vcc_lo, 0, v114
	v_ashrrev_i32_e32 v118, 31, v118
	v_lshlrev_b32_e32 v117, 25, v21
	v_ashrrev_i32_e32 v25, 31, v25
	v_lshlrev_b32_e32 v114, 24, v21
	s_wait_alu 0xfffd
	v_xor_b32_e32 v20, vcc_lo, v20
	v_cmp_gt_i32_e32 vcc_lo, 0, v26
	v_not_b32_e32 v26, v27
	s_wait_alu 0xf1ff
	v_xor_b32_e32 v118, s15, v118
	v_cmp_gt_i32_e64 s15, 0, v27
	v_and_b32_e32 v20, exec_lo, v20
	v_not_b32_e32 v27, v115
	v_ashrrev_i32_e32 v26, 31, v26
	s_wait_alu 0xfffd
	v_xor_b32_e32 v25, vcc_lo, v25
	v_cmp_gt_i32_e32 vcc_lo, 0, v115
	v_and_b32_e32 v20, v20, v118
	v_not_b32_e32 v115, v116
	v_ashrrev_i32_e32 v27, 31, v27
	s_wait_alu 0xf1ff
	v_xor_b32_e32 v26, s15, v26
	v_cmp_gt_i32_e64 s15, 0, v116
	v_and_b32_e32 v20, v20, v25
	v_not_b32_e32 v25, v117
	v_ashrrev_i32_e32 v115, 31, v115
	s_wait_alu 0xfffd
	v_xor_b32_e32 v27, vcc_lo, v27
	v_cmp_gt_i32_e32 vcc_lo, 0, v117
	v_and_b32_e32 v20, v20, v26
	v_not_b32_e32 v26, v114
	v_ashrrev_i32_e32 v25, 31, v25
	s_wait_alu 0xf1ff
	v_xor_b32_e32 v115, s15, v115
	v_cmp_gt_i32_e64 s15, 0, v114
	v_and_b32_e32 v20, v20, v27
	v_ashrrev_i32_e32 v26, 31, v26
	s_wait_alu 0xfffd
	v_xor_b32_e32 v25, vcc_lo, v25
	v_mad_u32_u24 v27, v21, 36, v85
	v_mul_u32_u24_e32 v21, 36, v21
	v_and_b32_e32 v20, v20, v115
	s_wait_alu 0xf1ff
	v_xor_b32_e32 v26, s15, v26
	ds_load_b32 v114, v27 offset:1056
	v_add_nc_u32_e32 v117, v85, v21
	v_and_b32_e32 v20, v20, v25
	; wave barrier
	s_delay_alu instid0(VALU_DEP_1) | instskip(NEXT) | instid1(VALU_DEP_1)
	v_and_b32_e32 v20, v20, v26
	v_mbcnt_lo_u32_b32 v115, v20, 0
	v_cmp_ne_u32_e64 s15, 0, v20
	s_delay_alu instid0(VALU_DEP_2)
	v_cmp_eq_u32_e32 vcc_lo, 0, v115
	s_and_b32 s16, s15, vcc_lo
	s_wait_alu 0xfffe
	s_and_saveexec_b32 s15, s16
	s_cbranch_execz .LBB89_583
; %bb.582:                              ;   in Loop: Header=BB89_558 Depth=2
	s_wait_dscnt 0x0
	v_bcnt_u32_b32 v20, v20, v114
	ds_store_b32 v117, v20 offset:1056
.LBB89_583:                             ;   in Loop: Header=BB89_558 Depth=2
	s_wait_alu 0xfffe
	s_or_b32 exec_lo, exec_lo, s15
	v_xor_b32_e32 v116, -1, v24
	; wave barrier
	s_delay_alu instid0(VALU_DEP_1) | instskip(NEXT) | instid1(VALU_DEP_1)
	v_and_b32_e32 v20, 0xff, v116
	v_lshrrev_b32_e32 v20, s45, v20
	s_delay_alu instid0(VALU_DEP_1) | instskip(NEXT) | instid1(VALU_DEP_1)
	v_and_b32_e32 v21, s31, v20
	v_and_b32_e32 v20, 1, v21
	v_lshlrev_b32_e32 v24, 30, v21
	v_lshlrev_b32_e32 v25, 29, v21
	;; [unrolled: 1-line block ×4, first 2 shown]
	v_add_co_u32 v20, s15, v20, -1
	s_wait_alu 0xf1ff
	v_cndmask_b32_e64 v27, 0, 1, s15
	v_not_b32_e32 v121, v24
	v_cmp_gt_i32_e64 s15, 0, v24
	v_not_b32_e32 v24, v25
	v_lshlrev_b32_e32 v119, 26, v21
	v_cmp_ne_u32_e32 vcc_lo, 0, v27
	v_ashrrev_i32_e32 v121, 31, v121
	v_lshlrev_b32_e32 v120, 25, v21
	v_ashrrev_i32_e32 v24, 31, v24
	v_lshlrev_b32_e32 v27, 24, v21
	s_wait_alu 0xfffd
	v_xor_b32_e32 v20, vcc_lo, v20
	v_cmp_gt_i32_e32 vcc_lo, 0, v25
	v_not_b32_e32 v25, v26
	s_wait_alu 0xf1ff
	v_xor_b32_e32 v121, s15, v121
	v_cmp_gt_i32_e64 s15, 0, v26
	v_and_b32_e32 v20, exec_lo, v20
	v_not_b32_e32 v26, v118
	v_ashrrev_i32_e32 v25, 31, v25
	s_wait_alu 0xfffd
	v_xor_b32_e32 v24, vcc_lo, v24
	v_cmp_gt_i32_e32 vcc_lo, 0, v118
	v_and_b32_e32 v20, v20, v121
	v_not_b32_e32 v118, v119
	v_ashrrev_i32_e32 v26, 31, v26
	s_wait_alu 0xf1ff
	v_xor_b32_e32 v25, s15, v25
	v_cmp_gt_i32_e64 s15, 0, v119
	v_and_b32_e32 v20, v20, v24
	v_not_b32_e32 v24, v120
	v_ashrrev_i32_e32 v118, 31, v118
	s_wait_alu 0xfffd
	v_xor_b32_e32 v26, vcc_lo, v26
	v_cmp_gt_i32_e32 vcc_lo, 0, v120
	v_and_b32_e32 v20, v20, v25
	v_not_b32_e32 v25, v27
	v_ashrrev_i32_e32 v24, 31, v24
	s_wait_alu 0xf1ff
	v_xor_b32_e32 v118, s15, v118
	v_cmp_gt_i32_e64 s15, 0, v27
	v_and_b32_e32 v20, v20, v26
	v_ashrrev_i32_e32 v25, 31, v25
	s_wait_alu 0xfffd
	v_xor_b32_e32 v24, vcc_lo, v24
	v_mad_u32_u24 v26, v21, 36, v85
	v_mul_u32_u24_e32 v21, 36, v21
	v_and_b32_e32 v20, v20, v118
	s_wait_alu 0xf1ff
	v_xor_b32_e32 v25, s15, v25
	ds_load_b32 v118, v26 offset:1056
	v_add_nc_u32_e32 v121, v85, v21
	v_and_b32_e32 v20, v20, v24
	; wave barrier
	s_delay_alu instid0(VALU_DEP_1) | instskip(NEXT) | instid1(VALU_DEP_1)
	v_and_b32_e32 v20, v20, v25
	v_mbcnt_lo_u32_b32 v119, v20, 0
	v_cmp_ne_u32_e64 s15, 0, v20
	s_delay_alu instid0(VALU_DEP_2)
	v_cmp_eq_u32_e32 vcc_lo, 0, v119
	s_and_b32 s16, s15, vcc_lo
	s_wait_alu 0xfffe
	s_and_saveexec_b32 s15, s16
	s_cbranch_execz .LBB89_585
; %bb.584:                              ;   in Loop: Header=BB89_558 Depth=2
	s_wait_dscnt 0x0
	v_bcnt_u32_b32 v20, v20, v118
	ds_store_b32 v121, v20 offset:1056
.LBB89_585:                             ;   in Loop: Header=BB89_558 Depth=2
	s_wait_alu 0xfffe
	s_or_b32 exec_lo, exec_lo, s15
	v_xor_b32_e32 v120, -1, v23
	; wave barrier
	s_delay_alu instid0(VALU_DEP_1) | instskip(NEXT) | instid1(VALU_DEP_1)
	v_and_b32_e32 v20, 0xff, v120
	v_lshrrev_b32_e32 v20, s45, v20
	s_delay_alu instid0(VALU_DEP_1) | instskip(NEXT) | instid1(VALU_DEP_1)
	v_and_b32_e32 v21, s31, v20
	v_and_b32_e32 v20, 1, v21
	v_lshlrev_b32_e32 v23, 30, v21
	v_lshlrev_b32_e32 v24, 29, v21
	;; [unrolled: 1-line block ×4, first 2 shown]
	v_add_co_u32 v20, s15, v20, -1
	s_wait_alu 0xf1ff
	v_cndmask_b32_e64 v26, 0, 1, s15
	v_not_b32_e32 v124, v23
	v_cmp_gt_i32_e64 s15, 0, v23
	v_not_b32_e32 v23, v24
	v_lshlrev_b32_e32 v122, 26, v21
	v_cmp_ne_u32_e32 vcc_lo, 0, v26
	v_ashrrev_i32_e32 v124, 31, v124
	v_lshlrev_b32_e32 v123, 25, v21
	v_ashrrev_i32_e32 v23, 31, v23
	v_lshlrev_b32_e32 v26, 24, v21
	s_wait_alu 0xfffd
	v_xor_b32_e32 v20, vcc_lo, v20
	v_cmp_gt_i32_e32 vcc_lo, 0, v24
	v_not_b32_e32 v24, v25
	s_wait_alu 0xf1ff
	v_xor_b32_e32 v124, s15, v124
	v_cmp_gt_i32_e64 s15, 0, v25
	v_and_b32_e32 v20, exec_lo, v20
	v_not_b32_e32 v25, v27
	v_ashrrev_i32_e32 v24, 31, v24
	s_wait_alu 0xfffd
	v_xor_b32_e32 v23, vcc_lo, v23
	v_cmp_gt_i32_e32 vcc_lo, 0, v27
	v_and_b32_e32 v20, v20, v124
	v_not_b32_e32 v27, v122
	v_ashrrev_i32_e32 v25, 31, v25
	s_wait_alu 0xf1ff
	v_xor_b32_e32 v24, s15, v24
	v_cmp_gt_i32_e64 s15, 0, v122
	v_and_b32_e32 v20, v20, v23
	v_not_b32_e32 v23, v123
	v_ashrrev_i32_e32 v27, 31, v27
	s_wait_alu 0xfffd
	v_xor_b32_e32 v25, vcc_lo, v25
	v_cmp_gt_i32_e32 vcc_lo, 0, v123
	v_and_b32_e32 v20, v20, v24
	v_not_b32_e32 v24, v26
	v_ashrrev_i32_e32 v23, 31, v23
	s_wait_alu 0xf1ff
	v_xor_b32_e32 v27, s15, v27
	v_cmp_gt_i32_e64 s15, 0, v26
	v_and_b32_e32 v20, v20, v25
	v_ashrrev_i32_e32 v24, 31, v24
	s_wait_alu 0xfffd
	v_xor_b32_e32 v23, vcc_lo, v23
	v_mad_u32_u24 v25, v21, 36, v85
	v_mul_u32_u24_e32 v21, 36, v21
	v_and_b32_e32 v20, v20, v27
	s_wait_alu 0xf1ff
	v_xor_b32_e32 v24, s15, v24
	ds_load_b32 v122, v25 offset:1056
	v_add_nc_u32_e32 v125, v85, v21
	v_and_b32_e32 v20, v20, v23
	; wave barrier
	s_delay_alu instid0(VALU_DEP_1) | instskip(NEXT) | instid1(VALU_DEP_1)
	v_and_b32_e32 v20, v20, v24
	v_mbcnt_lo_u32_b32 v123, v20, 0
	v_cmp_ne_u32_e64 s15, 0, v20
	s_delay_alu instid0(VALU_DEP_2)
	v_cmp_eq_u32_e32 vcc_lo, 0, v123
	s_and_b32 s16, s15, vcc_lo
	s_wait_alu 0xfffe
	s_and_saveexec_b32 s15, s16
	s_cbranch_execz .LBB89_587
; %bb.586:                              ;   in Loop: Header=BB89_558 Depth=2
	s_wait_dscnt 0x0
	v_bcnt_u32_b32 v20, v20, v122
	ds_store_b32 v125, v20 offset:1056
.LBB89_587:                             ;   in Loop: Header=BB89_558 Depth=2
	s_wait_alu 0xfffe
	s_or_b32 exec_lo, exec_lo, s15
	v_xor_b32_e32 v124, -1, v22
	; wave barrier
	s_delay_alu instid0(VALU_DEP_1) | instskip(NEXT) | instid1(VALU_DEP_1)
	v_and_b32_e32 v20, 0xff, v124
	v_lshrrev_b32_e32 v20, s45, v20
	s_delay_alu instid0(VALU_DEP_1) | instskip(NEXT) | instid1(VALU_DEP_1)
	v_and_b32_e32 v21, s31, v20
	v_and_b32_e32 v20, 1, v21
	v_lshlrev_b32_e32 v22, 30, v21
	v_lshlrev_b32_e32 v23, 29, v21
	;; [unrolled: 1-line block ×4, first 2 shown]
	v_add_co_u32 v20, s15, v20, -1
	s_wait_alu 0xf1ff
	v_cndmask_b32_e64 v25, 0, 1, s15
	v_not_b32_e32 v127, v22
	v_cmp_gt_i32_e64 s15, 0, v22
	v_not_b32_e32 v22, v23
	v_lshlrev_b32_e32 v27, 26, v21
	v_cmp_ne_u32_e32 vcc_lo, 0, v25
	v_ashrrev_i32_e32 v127, 31, v127
	v_lshlrev_b32_e32 v126, 25, v21
	v_ashrrev_i32_e32 v22, 31, v22
	v_lshlrev_b32_e32 v25, 24, v21
	s_wait_alu 0xfffd
	v_xor_b32_e32 v20, vcc_lo, v20
	v_cmp_gt_i32_e32 vcc_lo, 0, v23
	v_not_b32_e32 v23, v24
	s_wait_alu 0xf1ff
	v_xor_b32_e32 v127, s15, v127
	v_cmp_gt_i32_e64 s15, 0, v24
	v_and_b32_e32 v20, exec_lo, v20
	v_not_b32_e32 v24, v26
	v_ashrrev_i32_e32 v23, 31, v23
	s_wait_alu 0xfffd
	v_xor_b32_e32 v22, vcc_lo, v22
	v_cmp_gt_i32_e32 vcc_lo, 0, v26
	v_and_b32_e32 v20, v20, v127
	v_not_b32_e32 v26, v27
	v_ashrrev_i32_e32 v24, 31, v24
	s_wait_alu 0xf1ff
	v_xor_b32_e32 v23, s15, v23
	v_cmp_gt_i32_e64 s15, 0, v27
	v_and_b32_e32 v20, v20, v22
	v_not_b32_e32 v22, v126
	v_ashrrev_i32_e32 v26, 31, v26
	s_wait_alu 0xfffd
	v_xor_b32_e32 v24, vcc_lo, v24
	v_cmp_gt_i32_e32 vcc_lo, 0, v126
	v_and_b32_e32 v20, v20, v23
	v_not_b32_e32 v23, v25
	v_ashrrev_i32_e32 v22, 31, v22
	s_wait_alu 0xf1ff
	v_xor_b32_e32 v26, s15, v26
	v_cmp_gt_i32_e64 s15, 0, v25
	v_and_b32_e32 v20, v20, v24
	v_ashrrev_i32_e32 v23, 31, v23
	s_wait_alu 0xfffd
	v_xor_b32_e32 v22, vcc_lo, v22
	v_mad_u32_u24 v24, v21, 36, v85
	v_mul_u32_u24_e32 v21, 36, v21
	v_and_b32_e32 v20, v20, v26
	s_wait_alu 0xf1ff
	v_xor_b32_e32 v23, s15, v23
	ds_load_b32 v126, v24 offset:1056
	v_add_nc_u32_e32 v128, v85, v21
	v_and_b32_e32 v20, v20, v22
	; wave barrier
	s_delay_alu instid0(VALU_DEP_1) | instskip(NEXT) | instid1(VALU_DEP_1)
	v_and_b32_e32 v20, v20, v23
	v_mbcnt_lo_u32_b32 v127, v20, 0
	v_cmp_ne_u32_e64 s15, 0, v20
	s_delay_alu instid0(VALU_DEP_2)
	v_cmp_eq_u32_e32 vcc_lo, 0, v127
	s_and_b32 s16, s15, vcc_lo
	s_wait_alu 0xfffe
	s_and_saveexec_b32 s15, s16
	s_cbranch_execz .LBB89_589
; %bb.588:                              ;   in Loop: Header=BB89_558 Depth=2
	s_wait_dscnt 0x0
	v_bcnt_u32_b32 v20, v20, v126
	ds_store_b32 v128, v20 offset:1056
.LBB89_589:                             ;   in Loop: Header=BB89_558 Depth=2
	s_wait_alu 0xfffe
	s_or_b32 exec_lo, exec_lo, s15
	; wave barrier
	s_wait_loadcnt_dscnt 0x0
	s_barrier_signal -1
	s_barrier_wait -1
	global_inv scope:SCOPE_SE
	ds_load_2addr_b32 v[26:27], v98 offset1:1
	ds_load_2addr_b32 v[24:25], v99 offset1:1
	;; [unrolled: 1-line block ×4, first 2 shown]
	ds_load_b32 v129, v45 offset:1088
	s_wait_dscnt 0x3
	v_add3_u32 v130, v27, v26, v24
	s_wait_dscnt 0x2
	s_delay_alu instid0(VALU_DEP_1) | instskip(SKIP_1) | instid1(VALU_DEP_1)
	v_add3_u32 v130, v130, v25, v22
	s_wait_dscnt 0x1
	v_add3_u32 v130, v130, v23, v20
	s_wait_dscnt 0x0
	s_delay_alu instid0(VALU_DEP_1) | instskip(NEXT) | instid1(VALU_DEP_1)
	v_add3_u32 v129, v130, v21, v129
	v_mov_b32_dpp v130, v129 row_shr:1 row_mask:0xf bank_mask:0xf
	s_delay_alu instid0(VALU_DEP_1) | instskip(NEXT) | instid1(VALU_DEP_1)
	v_cndmask_b32_e64 v130, v130, 0, s0
	v_add_nc_u32_e32 v129, v130, v129
	s_delay_alu instid0(VALU_DEP_1) | instskip(NEXT) | instid1(VALU_DEP_1)
	v_mov_b32_dpp v130, v129 row_shr:2 row_mask:0xf bank_mask:0xf
	v_cndmask_b32_e64 v130, 0, v130, s1
	s_delay_alu instid0(VALU_DEP_1) | instskip(NEXT) | instid1(VALU_DEP_1)
	v_add_nc_u32_e32 v129, v129, v130
	v_mov_b32_dpp v130, v129 row_shr:4 row_mask:0xf bank_mask:0xf
	s_delay_alu instid0(VALU_DEP_1) | instskip(NEXT) | instid1(VALU_DEP_1)
	v_cndmask_b32_e64 v130, 0, v130, s9
	v_add_nc_u32_e32 v129, v129, v130
	s_delay_alu instid0(VALU_DEP_1) | instskip(NEXT) | instid1(VALU_DEP_1)
	v_mov_b32_dpp v130, v129 row_shr:8 row_mask:0xf bank_mask:0xf
	v_cndmask_b32_e64 v130, 0, v130, s10
	s_delay_alu instid0(VALU_DEP_1) | instskip(SKIP_3) | instid1(VALU_DEP_1)
	v_add_nc_u32_e32 v129, v129, v130
	ds_swizzle_b32 v130, v129 offset:swizzle(BROADCAST,32,15)
	s_wait_dscnt 0x0
	v_cndmask_b32_e64 v130, v130, 0, s11
	v_add_nc_u32_e32 v129, v129, v130
	s_and_saveexec_b32 s15, s3
; %bb.590:                              ;   in Loop: Header=BB89_558 Depth=2
	ds_store_b32 v38, v129 offset:1024
; %bb.591:                              ;   in Loop: Header=BB89_558 Depth=2
	s_wait_alu 0xfffe
	s_or_b32 exec_lo, exec_lo, s15
	s_wait_loadcnt_dscnt 0x0
	s_barrier_signal -1
	s_barrier_wait -1
	global_inv scope:SCOPE_SE
	s_and_saveexec_b32 s15, s4
	s_cbranch_execz .LBB89_593
; %bb.592:                              ;   in Loop: Header=BB89_558 Depth=2
	v_add_nc_u32_e32 v130, v45, v46
	ds_load_b32 v131, v130 offset:1024
	s_wait_dscnt 0x0
	v_mov_b32_dpp v132, v131 row_shr:1 row_mask:0xf bank_mask:0xf
	s_delay_alu instid0(VALU_DEP_1) | instskip(NEXT) | instid1(VALU_DEP_1)
	v_cndmask_b32_e64 v132, v132, 0, s12
	v_add_nc_u32_e32 v131, v132, v131
	s_delay_alu instid0(VALU_DEP_1) | instskip(NEXT) | instid1(VALU_DEP_1)
	v_mov_b32_dpp v132, v131 row_shr:2 row_mask:0xf bank_mask:0xf
	v_cndmask_b32_e64 v132, 0, v132, s13
	s_delay_alu instid0(VALU_DEP_1) | instskip(NEXT) | instid1(VALU_DEP_1)
	v_add_nc_u32_e32 v131, v131, v132
	v_mov_b32_dpp v132, v131 row_shr:4 row_mask:0xf bank_mask:0xf
	s_delay_alu instid0(VALU_DEP_1) | instskip(NEXT) | instid1(VALU_DEP_1)
	v_cndmask_b32_e64 v132, 0, v132, s14
	v_add_nc_u32_e32 v131, v131, v132
	ds_store_b32 v130, v131 offset:1024
.LBB89_593:                             ;   in Loop: Header=BB89_558 Depth=2
	s_wait_alu 0xfffe
	s_or_b32 exec_lo, exec_lo, s15
	v_mov_b32_e32 v130, 0
	s_wait_loadcnt_dscnt 0x0
	s_barrier_signal -1
	s_barrier_wait -1
	global_inv scope:SCOPE_SE
	s_and_saveexec_b32 s15, s5
; %bb.594:                              ;   in Loop: Header=BB89_558 Depth=2
	ds_load_b32 v130, v38 offset:1020
; %bb.595:                              ;   in Loop: Header=BB89_558 Depth=2
	s_wait_alu 0xfffe
	s_or_b32 exec_lo, exec_lo, s15
	s_wait_dscnt 0x0
	v_add_nc_u32_e32 v129, v130, v129
	ds_bpermute_b32 v129, v80, v129
	s_wait_dscnt 0x0
	v_cndmask_b32_e64 v129, v129, v130, s8
	s_delay_alu instid0(VALU_DEP_1) | instskip(NEXT) | instid1(VALU_DEP_1)
	v_cndmask_b32_e64 v129, v129, 0, s6
	v_add_nc_u32_e32 v26, v129, v26
	s_delay_alu instid0(VALU_DEP_1) | instskip(NEXT) | instid1(VALU_DEP_1)
	v_add_nc_u32_e32 v27, v26, v27
	v_add_nc_u32_e32 v24, v27, v24
	s_delay_alu instid0(VALU_DEP_1) | instskip(NEXT) | instid1(VALU_DEP_1)
	v_add_nc_u32_e32 v25, v24, v25
	;; [unrolled: 3-line block ×3, first 2 shown]
	v_add_nc_u32_e32 v20, v23, v20
	s_delay_alu instid0(VALU_DEP_1)
	v_add_nc_u32_e32 v21, v20, v21
	ds_store_2addr_b32 v97, v23, v20 offset1:1
	ds_store_2addr_b32 v98, v129, v26 offset1:1
	;; [unrolled: 1-line block ×4, first 2 shown]
	ds_store_b32 v45, v21 offset:1088
	s_wait_loadcnt_dscnt 0x0
	s_barrier_signal -1
	s_barrier_wait -1
	global_inv scope:SCOPE_SE
	ds_load_b32 v20, v101 offset:1056
	ds_load_b32 v21, v105 offset:1056
	;; [unrolled: 1-line block ×9, first 2 shown]
	v_mov_b32_e32 v22, 0x800
	s_and_saveexec_b32 s15, s7
; %bb.596:                              ;   in Loop: Header=BB89_558 Depth=2
	ds_load_b32 v22, v45 offset:1092
; %bb.597:                              ;   in Loop: Header=BB89_558 Depth=2
	s_wait_alu 0xfffe
	s_or_b32 exec_lo, exec_lo, s15
	s_wait_loadcnt_dscnt 0x0
	s_barrier_signal -1
	s_barrier_wait -1
	global_inv scope:SCOPE_SE
	s_and_saveexec_b32 s15, s2
	s_cbranch_execz .LBB89_599
; %bb.598:                              ;   in Loop: Header=BB89_558 Depth=2
	ds_load_b32 v27, v28
	s_wait_dscnt 0x0
	v_sub_nc_u32_e32 v26, v27, v26
	ds_store_b32 v28, v26
.LBB89_599:                             ;   in Loop: Header=BB89_558 Depth=2
	s_wait_alu 0xfffe
	s_or_b32 exec_lo, exec_lo, s15
	v_add_nc_u32_e32 v98, v20, v95
	v_add3_u32 v97, v103, v102, v21
	v_add3_u32 v95, v107, v106, v23
	v_add3_u32 v27, v111, v110, v24
	v_add3_u32 v26, v115, v114, v25
	v_add3_u32 v25, v119, v118, v99
	v_add3_u32 v24, v123, v122, v100
	v_add3_u32 v23, v127, v126, v101
	v_cmp_lt_u32_e64 s19, v1, v2
	ds_store_b8 v98, v94 offset:1024
	ds_store_b8 v97, v96 offset:1024
	;; [unrolled: 1-line block ×8, first 2 shown]
	s_wait_loadcnt_dscnt 0x0
	s_barrier_signal -1
	s_barrier_wait -1
	global_inv scope:SCOPE_SE
	s_and_saveexec_b32 s15, s19
	s_cbranch_execnz .LBB89_636
; %bb.600:                              ;   in Loop: Header=BB89_558 Depth=2
	s_wait_alu 0xfffe
	s_or_b32 exec_lo, exec_lo, s15
	v_cmp_lt_u32_e64 s21, v29, v2
	s_and_saveexec_b32 s15, s21
	s_cbranch_execnz .LBB89_637
.LBB89_601:                             ;   in Loop: Header=BB89_558 Depth=2
	s_wait_alu 0xfffe
	s_or_b32 exec_lo, exec_lo, s15
	v_cmp_lt_u32_e64 s20, v30, v2
	s_and_saveexec_b32 s15, s20
	s_cbranch_execnz .LBB89_638
.LBB89_602:                             ;   in Loop: Header=BB89_558 Depth=2
	s_wait_alu 0xfffe
	s_or_b32 exec_lo, exec_lo, s15
	v_cmp_lt_u32_e64 s18, v31, v2
	s_and_saveexec_b32 s15, s18
	s_cbranch_execnz .LBB89_639
.LBB89_603:                             ;   in Loop: Header=BB89_558 Depth=2
	s_wait_alu 0xfffe
	s_or_b32 exec_lo, exec_lo, s15
	v_cmp_lt_u32_e64 s17, v34, v2
	s_and_saveexec_b32 s15, s17
	s_cbranch_execnz .LBB89_640
.LBB89_604:                             ;   in Loop: Header=BB89_558 Depth=2
	s_wait_alu 0xfffe
	s_or_b32 exec_lo, exec_lo, s15
	v_cmp_lt_u32_e64 s16, v35, v2
	s_and_saveexec_b32 s15, s16
	s_cbranch_execnz .LBB89_641
.LBB89_605:                             ;   in Loop: Header=BB89_558 Depth=2
	s_wait_alu 0xfffe
	s_or_b32 exec_lo, exec_lo, s15
	v_cmp_lt_u32_e64 s15, v36, v2
	s_and_saveexec_b32 s44, s15
	s_cbranch_execnz .LBB89_642
.LBB89_606:                             ;   in Loop: Header=BB89_558 Depth=2
	s_wait_alu 0xfffe
	s_or_b32 exec_lo, exec_lo, s44
	v_cmp_lt_u32_e32 vcc_lo, v37, v2
	s_and_saveexec_b32 s44, vcc_lo
	s_cbranch_execz .LBB89_608
.LBB89_607:                             ;   in Loop: Header=BB89_558 Depth=2
	ds_load_u8 v20, v1 offset:2816
	s_wait_dscnt 0x0
	v_and_b32_e32 v21, 0xff, v20
	v_xor_b32_e32 v20, -1, v20
	s_delay_alu instid0(VALU_DEP_2) | instskip(NEXT) | instid1(VALU_DEP_1)
	v_lshrrev_b32_e32 v21, s45, v21
	v_and_b32_e32 v21, s31, v21
	s_delay_alu instid0(VALU_DEP_1)
	v_lshlrev_b32_e32 v21, 2, v21
	ds_load_b32 v21, v21
	s_wait_dscnt 0x0
	v_add_nc_u32_e32 v21, v21, v37
	global_store_b8 v21, v20, s[40:41]
.LBB89_608:                             ;   in Loop: Header=BB89_558 Depth=2
	s_wait_alu 0xfffe
	s_or_b32 exec_lo, exec_lo, s44
	s_lshl_b64 s[48:49], s[22:23], 3
	s_wait_alu 0xfffe
	v_add_co_u32 v20, s22, v81, s48
	s_wait_alu 0xf1ff
	v_add_co_ci_u32_e64 v21, null, s49, v82, s22
	v_cmp_lt_u32_e64 s22, v68, v2
	s_and_saveexec_b32 s44, s22
	s_wait_alu 0xfffe
	s_xor_b32 s22, exec_lo, s44
	s_cbranch_execnz .LBB89_643
; %bb.609:                              ;   in Loop: Header=BB89_558 Depth=2
	s_wait_alu 0xfffe
	s_or_b32 exec_lo, exec_lo, s22
	s_delay_alu instid0(SALU_CYCLE_1)
	s_mov_b32 s44, exec_lo
	v_cmpx_lt_u32_e64 v71, v2
	s_cbranch_execnz .LBB89_644
.LBB89_610:                             ;   in Loop: Header=BB89_558 Depth=2
	s_wait_alu 0xfffe
	s_or_b32 exec_lo, exec_lo, s44
	s_delay_alu instid0(SALU_CYCLE_1)
	s_mov_b32 s44, exec_lo
	v_cmpx_lt_u32_e64 v72, v2
	s_cbranch_execnz .LBB89_645
.LBB89_611:                             ;   in Loop: Header=BB89_558 Depth=2
	s_wait_alu 0xfffe
	s_or_b32 exec_lo, exec_lo, s44
	s_delay_alu instid0(SALU_CYCLE_1)
	s_mov_b32 s44, exec_lo
	v_cmpx_lt_u32_e64 v73, v2
	s_cbranch_execnz .LBB89_646
.LBB89_612:                             ;   in Loop: Header=BB89_558 Depth=2
	s_wait_alu 0xfffe
	s_or_b32 exec_lo, exec_lo, s44
	s_delay_alu instid0(SALU_CYCLE_1)
	s_mov_b32 s44, exec_lo
	v_cmpx_lt_u32_e64 v74, v2
	s_cbranch_execnz .LBB89_647
.LBB89_613:                             ;   in Loop: Header=BB89_558 Depth=2
	s_wait_alu 0xfffe
	s_or_b32 exec_lo, exec_lo, s44
	s_delay_alu instid0(SALU_CYCLE_1)
	s_mov_b32 s44, exec_lo
	v_cmpx_lt_u32_e64 v75, v2
	s_cbranch_execnz .LBB89_648
.LBB89_614:                             ;   in Loop: Header=BB89_558 Depth=2
	s_wait_alu 0xfffe
	s_or_b32 exec_lo, exec_lo, s44
	s_delay_alu instid0(SALU_CYCLE_1)
	s_mov_b32 s44, exec_lo
	v_cmpx_lt_u32_e64 v76, v2
	s_cbranch_execnz .LBB89_649
.LBB89_615:                             ;   in Loop: Header=BB89_558 Depth=2
	s_wait_alu 0xfffe
	s_or_b32 exec_lo, exec_lo, s44
	s_delay_alu instid0(SALU_CYCLE_1)
	s_mov_b32 s44, exec_lo
	v_cmpx_lt_u32_e64 v77, v2
	s_cbranch_execnz .LBB89_650
.LBB89_616:                             ;   in Loop: Header=BB89_558 Depth=2
	s_wait_alu 0xfffe
	s_or_b32 exec_lo, exec_lo, s44
	s_and_saveexec_b32 s22, s19
	s_cbranch_execnz .LBB89_651
.LBB89_617:                             ;   in Loop: Header=BB89_558 Depth=2
	s_wait_alu 0xfffe
	s_or_b32 exec_lo, exec_lo, s22
	s_and_saveexec_b32 s22, s21
	s_cbranch_execnz .LBB89_652
.LBB89_618:                             ;   in Loop: Header=BB89_558 Depth=2
	s_wait_alu 0xfffe
	s_or_b32 exec_lo, exec_lo, s22
	s_and_saveexec_b32 s22, s20
	s_cbranch_execnz .LBB89_653
.LBB89_619:                             ;   in Loop: Header=BB89_558 Depth=2
	s_wait_alu 0xfffe
	s_or_b32 exec_lo, exec_lo, s22
	s_and_saveexec_b32 s22, s18
	s_cbranch_execnz .LBB89_654
.LBB89_620:                             ;   in Loop: Header=BB89_558 Depth=2
	s_wait_alu 0xfffe
	s_or_b32 exec_lo, exec_lo, s22
	s_and_saveexec_b32 s22, s17
	s_cbranch_execnz .LBB89_655
.LBB89_621:                             ;   in Loop: Header=BB89_558 Depth=2
	s_wait_alu 0xfffe
	s_or_b32 exec_lo, exec_lo, s22
	s_and_saveexec_b32 s22, s16
	s_cbranch_execnz .LBB89_656
.LBB89_622:                             ;   in Loop: Header=BB89_558 Depth=2
	s_wait_alu 0xfffe
	s_or_b32 exec_lo, exec_lo, s22
	s_and_saveexec_b32 s22, s15
	s_cbranch_execnz .LBB89_657
.LBB89_623:                             ;   in Loop: Header=BB89_558 Depth=2
	s_wait_alu 0xfffe
	s_or_b32 exec_lo, exec_lo, s22
	s_and_saveexec_b32 s22, vcc_lo
	s_cbranch_execz .LBB89_625
.LBB89_624:                             ;   in Loop: Header=BB89_558 Depth=2
	ds_load_u8 v2, v1 offset:2816
	s_wait_dscnt 0x0
	v_lshrrev_b32_e32 v2, s45, v2
	s_delay_alu instid0(VALU_DEP_1)
	v_and_b32_e32 v86, s31, v2
.LBB89_625:                             ;   in Loop: Header=BB89_558 Depth=2
	s_wait_alu 0xfffe
	s_or_b32 exec_lo, exec_lo, s22
	v_lshlrev_b32_e32 v2, 3, v98
	v_lshlrev_b32_e32 v20, 3, v97
	;; [unrolled: 1-line block ×3, first 2 shown]
	s_wait_loadcnt 0x0
	s_wait_storecnt 0x0
	s_barrier_signal -1
	s_barrier_wait -1
	global_inv scope:SCOPE_SE
	ds_store_b64 v2, v[18:19] offset:1024
	ds_store_b64 v20, v[16:17] offset:1024
	;; [unrolled: 1-line block ×3, first 2 shown]
	v_lshlrev_b32_e32 v2, 3, v27
	v_lshlrev_b32_e32 v20, 3, v26
	;; [unrolled: 1-line block ×5, first 2 shown]
	ds_store_b64 v2, v[12:13] offset:1024
	ds_store_b64 v20, v[10:11] offset:1024
	;; [unrolled: 1-line block ×5, first 2 shown]
	v_add_nc_u32_e32 v20, v1, v47
	s_wait_loadcnt_dscnt 0x0
	s_barrier_signal -1
	s_barrier_wait -1
	global_inv scope:SCOPE_SE
	s_and_saveexec_b32 s22, s19
	s_cbranch_execnz .LBB89_658
; %bb.626:                              ;   in Loop: Header=BB89_558 Depth=2
	s_wait_alu 0xfffe
	s_or_b32 exec_lo, exec_lo, s22
	s_and_saveexec_b32 s22, s21
	s_cbranch_execnz .LBB89_659
.LBB89_627:                             ;   in Loop: Header=BB89_558 Depth=2
	s_wait_alu 0xfffe
	s_or_b32 exec_lo, exec_lo, s22
	s_and_saveexec_b32 s21, s20
	s_cbranch_execnz .LBB89_660
.LBB89_628:                             ;   in Loop: Header=BB89_558 Depth=2
	s_wait_alu 0xfffe
	s_or_b32 exec_lo, exec_lo, s21
	s_and_saveexec_b32 s19, s18
	s_cbranch_execnz .LBB89_661
.LBB89_629:                             ;   in Loop: Header=BB89_558 Depth=2
	s_wait_alu 0xfffe
	s_or_b32 exec_lo, exec_lo, s19
	s_and_saveexec_b32 s18, s17
	s_cbranch_execnz .LBB89_662
.LBB89_630:                             ;   in Loop: Header=BB89_558 Depth=2
	s_wait_alu 0xfffe
	s_or_b32 exec_lo, exec_lo, s18
	s_and_saveexec_b32 s17, s16
	s_cbranch_execnz .LBB89_663
.LBB89_631:                             ;   in Loop: Header=BB89_558 Depth=2
	s_wait_alu 0xfffe
	s_or_b32 exec_lo, exec_lo, s17
	s_and_saveexec_b32 s16, s15
	s_cbranch_execnz .LBB89_664
.LBB89_632:                             ;   in Loop: Header=BB89_558 Depth=2
	s_wait_alu 0xfffe
	s_or_b32 exec_lo, exec_lo, s16
	s_and_saveexec_b32 s15, vcc_lo
	s_cbranch_execz .LBB89_634
.LBB89_633:                             ;   in Loop: Header=BB89_558 Depth=2
	v_lshlrev_b32_e32 v2, 2, v86
	ds_load_b32 v2, v2
	ds_load_b64 v[20:21], v20 offset:15360
	s_wait_dscnt 0x1
	v_add_nc_u32_e32 v2, v2, v37
	s_delay_alu instid0(VALU_DEP_1) | instskip(NEXT) | instid1(VALU_DEP_1)
	v_lshlrev_b64_e32 v[23:24], 3, v[2:3]
	v_add_co_u32 v23, vcc_lo, s26, v23
	s_wait_alu 0xfffd
	s_delay_alu instid0(VALU_DEP_2)
	v_add_co_ci_u32_e64 v24, null, s27, v24, vcc_lo
	s_wait_dscnt 0x0
	global_store_b64 v[23:24], v[20:21], off
.LBB89_634:                             ;   in Loop: Header=BB89_558 Depth=2
	s_wait_alu 0xfffe
	s_or_b32 exec_lo, exec_lo, s15
	s_wait_loadcnt 0x0
	s_wait_storecnt 0x0
	s_barrier_signal -1
	s_barrier_wait -1
	global_inv scope:SCOPE_SE
	s_and_saveexec_b32 s15, s2
	s_cbranch_execz .LBB89_557
; %bb.635:                              ;   in Loop: Header=BB89_558 Depth=2
	ds_load_b32 v2, v28
	s_wait_dscnt 0x0
	v_add_nc_u32_e32 v2, v2, v22
	ds_store_b32 v28, v2
	s_branch .LBB89_557
.LBB89_636:                             ;   in Loop: Header=BB89_558 Depth=2
	ds_load_u8 v20, v1 offset:1024
	s_wait_dscnt 0x0
	v_and_b32_e32 v21, 0xff, v20
	v_xor_b32_e32 v20, -1, v20
	s_delay_alu instid0(VALU_DEP_2) | instskip(NEXT) | instid1(VALU_DEP_1)
	v_lshrrev_b32_e32 v21, s45, v21
	v_and_b32_e32 v21, s31, v21
	s_delay_alu instid0(VALU_DEP_1)
	v_lshlrev_b32_e32 v21, 2, v21
	ds_load_b32 v21, v21
	s_wait_dscnt 0x0
	v_add_nc_u32_e32 v21, v21, v1
	global_store_b8 v21, v20, s[40:41]
	s_wait_alu 0xfffe
	s_or_b32 exec_lo, exec_lo, s15
	v_cmp_lt_u32_e64 s21, v29, v2
	s_and_saveexec_b32 s15, s21
	s_cbranch_execz .LBB89_601
.LBB89_637:                             ;   in Loop: Header=BB89_558 Depth=2
	ds_load_u8 v20, v1 offset:1280
	s_wait_dscnt 0x0
	v_and_b32_e32 v21, 0xff, v20
	v_xor_b32_e32 v20, -1, v20
	s_delay_alu instid0(VALU_DEP_2) | instskip(NEXT) | instid1(VALU_DEP_1)
	v_lshrrev_b32_e32 v21, s45, v21
	v_and_b32_e32 v21, s31, v21
	s_delay_alu instid0(VALU_DEP_1)
	v_lshlrev_b32_e32 v21, 2, v21
	ds_load_b32 v21, v21
	s_wait_dscnt 0x0
	v_add_nc_u32_e32 v21, v21, v29
	global_store_b8 v21, v20, s[40:41]
	s_wait_alu 0xfffe
	s_or_b32 exec_lo, exec_lo, s15
	v_cmp_lt_u32_e64 s20, v30, v2
	s_and_saveexec_b32 s15, s20
	s_cbranch_execz .LBB89_602
.LBB89_638:                             ;   in Loop: Header=BB89_558 Depth=2
	ds_load_u8 v20, v1 offset:1536
	s_wait_dscnt 0x0
	v_and_b32_e32 v21, 0xff, v20
	v_xor_b32_e32 v20, -1, v20
	s_delay_alu instid0(VALU_DEP_2) | instskip(NEXT) | instid1(VALU_DEP_1)
	v_lshrrev_b32_e32 v21, s45, v21
	v_and_b32_e32 v21, s31, v21
	s_delay_alu instid0(VALU_DEP_1)
	v_lshlrev_b32_e32 v21, 2, v21
	ds_load_b32 v21, v21
	s_wait_dscnt 0x0
	v_add_nc_u32_e32 v21, v21, v30
	global_store_b8 v21, v20, s[40:41]
	s_wait_alu 0xfffe
	s_or_b32 exec_lo, exec_lo, s15
	v_cmp_lt_u32_e64 s18, v31, v2
	s_and_saveexec_b32 s15, s18
	s_cbranch_execz .LBB89_603
.LBB89_639:                             ;   in Loop: Header=BB89_558 Depth=2
	ds_load_u8 v20, v1 offset:1792
	s_wait_dscnt 0x0
	v_and_b32_e32 v21, 0xff, v20
	v_xor_b32_e32 v20, -1, v20
	s_delay_alu instid0(VALU_DEP_2) | instskip(NEXT) | instid1(VALU_DEP_1)
	v_lshrrev_b32_e32 v21, s45, v21
	v_and_b32_e32 v21, s31, v21
	s_delay_alu instid0(VALU_DEP_1)
	v_lshlrev_b32_e32 v21, 2, v21
	ds_load_b32 v21, v21
	s_wait_dscnt 0x0
	v_add_nc_u32_e32 v21, v21, v31
	global_store_b8 v21, v20, s[40:41]
	s_wait_alu 0xfffe
	s_or_b32 exec_lo, exec_lo, s15
	v_cmp_lt_u32_e64 s17, v34, v2
	s_and_saveexec_b32 s15, s17
	s_cbranch_execz .LBB89_604
.LBB89_640:                             ;   in Loop: Header=BB89_558 Depth=2
	ds_load_u8 v20, v1 offset:2048
	s_wait_dscnt 0x0
	v_and_b32_e32 v21, 0xff, v20
	v_xor_b32_e32 v20, -1, v20
	s_delay_alu instid0(VALU_DEP_2) | instskip(NEXT) | instid1(VALU_DEP_1)
	v_lshrrev_b32_e32 v21, s45, v21
	v_and_b32_e32 v21, s31, v21
	s_delay_alu instid0(VALU_DEP_1)
	v_lshlrev_b32_e32 v21, 2, v21
	ds_load_b32 v21, v21
	s_wait_dscnt 0x0
	v_add_nc_u32_e32 v21, v21, v34
	global_store_b8 v21, v20, s[40:41]
	s_wait_alu 0xfffe
	s_or_b32 exec_lo, exec_lo, s15
	v_cmp_lt_u32_e64 s16, v35, v2
	s_and_saveexec_b32 s15, s16
	s_cbranch_execz .LBB89_605
.LBB89_641:                             ;   in Loop: Header=BB89_558 Depth=2
	ds_load_u8 v20, v1 offset:2304
	s_wait_dscnt 0x0
	v_and_b32_e32 v21, 0xff, v20
	v_xor_b32_e32 v20, -1, v20
	s_delay_alu instid0(VALU_DEP_2) | instskip(NEXT) | instid1(VALU_DEP_1)
	v_lshrrev_b32_e32 v21, s45, v21
	v_and_b32_e32 v21, s31, v21
	s_delay_alu instid0(VALU_DEP_1)
	v_lshlrev_b32_e32 v21, 2, v21
	ds_load_b32 v21, v21
	s_wait_dscnt 0x0
	v_add_nc_u32_e32 v21, v21, v35
	global_store_b8 v21, v20, s[40:41]
	s_wait_alu 0xfffe
	s_or_b32 exec_lo, exec_lo, s15
	v_cmp_lt_u32_e64 s15, v36, v2
	s_and_saveexec_b32 s44, s15
	s_cbranch_execz .LBB89_606
.LBB89_642:                             ;   in Loop: Header=BB89_558 Depth=2
	ds_load_u8 v20, v1 offset:2560
	s_wait_dscnt 0x0
	v_and_b32_e32 v21, 0xff, v20
	v_xor_b32_e32 v20, -1, v20
	s_delay_alu instid0(VALU_DEP_2) | instskip(NEXT) | instid1(VALU_DEP_1)
	v_lshrrev_b32_e32 v21, s45, v21
	v_and_b32_e32 v21, s31, v21
	s_delay_alu instid0(VALU_DEP_1)
	v_lshlrev_b32_e32 v21, 2, v21
	ds_load_b32 v21, v21
	s_wait_dscnt 0x0
	v_add_nc_u32_e32 v21, v21, v36
	global_store_b8 v21, v20, s[40:41]
	s_wait_alu 0xfffe
	s_or_b32 exec_lo, exec_lo, s44
	v_cmp_lt_u32_e32 vcc_lo, v37, v2
	s_and_saveexec_b32 s44, vcc_lo
	s_cbranch_execnz .LBB89_607
	s_branch .LBB89_608
.LBB89_643:                             ;   in Loop: Header=BB89_558 Depth=2
	global_load_b64 v[18:19], v[20:21], off
	s_wait_alu 0xfffe
	s_or_b32 exec_lo, exec_lo, s22
	s_delay_alu instid0(SALU_CYCLE_1)
	s_mov_b32 s44, exec_lo
	v_cmpx_lt_u32_e64 v71, v2
	s_cbranch_execz .LBB89_610
.LBB89_644:                             ;   in Loop: Header=BB89_558 Depth=2
	global_load_b64 v[16:17], v[20:21], off offset:256
	s_wait_alu 0xfffe
	s_or_b32 exec_lo, exec_lo, s44
	s_delay_alu instid0(SALU_CYCLE_1)
	s_mov_b32 s44, exec_lo
	v_cmpx_lt_u32_e64 v72, v2
	s_cbranch_execz .LBB89_611
.LBB89_645:                             ;   in Loop: Header=BB89_558 Depth=2
	global_load_b64 v[14:15], v[20:21], off offset:512
	s_wait_alu 0xfffe
	s_or_b32 exec_lo, exec_lo, s44
	s_delay_alu instid0(SALU_CYCLE_1)
	s_mov_b32 s44, exec_lo
	v_cmpx_lt_u32_e64 v73, v2
	s_cbranch_execz .LBB89_612
.LBB89_646:                             ;   in Loop: Header=BB89_558 Depth=2
	global_load_b64 v[12:13], v[20:21], off offset:768
	s_wait_alu 0xfffe
	s_or_b32 exec_lo, exec_lo, s44
	s_delay_alu instid0(SALU_CYCLE_1)
	s_mov_b32 s44, exec_lo
	v_cmpx_lt_u32_e64 v74, v2
	s_cbranch_execz .LBB89_613
.LBB89_647:                             ;   in Loop: Header=BB89_558 Depth=2
	global_load_b64 v[10:11], v[20:21], off offset:1024
	s_wait_alu 0xfffe
	s_or_b32 exec_lo, exec_lo, s44
	s_delay_alu instid0(SALU_CYCLE_1)
	s_mov_b32 s44, exec_lo
	v_cmpx_lt_u32_e64 v75, v2
	s_cbranch_execz .LBB89_614
.LBB89_648:                             ;   in Loop: Header=BB89_558 Depth=2
	global_load_b64 v[8:9], v[20:21], off offset:1280
	s_wait_alu 0xfffe
	s_or_b32 exec_lo, exec_lo, s44
	s_delay_alu instid0(SALU_CYCLE_1)
	s_mov_b32 s44, exec_lo
	v_cmpx_lt_u32_e64 v76, v2
	s_cbranch_execz .LBB89_615
.LBB89_649:                             ;   in Loop: Header=BB89_558 Depth=2
	global_load_b64 v[6:7], v[20:21], off offset:1536
	s_wait_alu 0xfffe
	s_or_b32 exec_lo, exec_lo, s44
	s_delay_alu instid0(SALU_CYCLE_1)
	s_mov_b32 s44, exec_lo
	v_cmpx_lt_u32_e64 v77, v2
	s_cbranch_execz .LBB89_616
.LBB89_650:                             ;   in Loop: Header=BB89_558 Depth=2
	global_load_b64 v[4:5], v[20:21], off offset:1792
	s_wait_alu 0xfffe
	s_or_b32 exec_lo, exec_lo, s44
	s_and_saveexec_b32 s22, s19
	s_cbranch_execz .LBB89_617
.LBB89_651:                             ;   in Loop: Header=BB89_558 Depth=2
	ds_load_u8 v2, v1 offset:1024
	s_wait_dscnt 0x0
	v_lshrrev_b32_e32 v2, s45, v2
	s_delay_alu instid0(VALU_DEP_1)
	v_and_b32_e32 v93, s31, v2
	s_wait_alu 0xfffe
	s_or_b32 exec_lo, exec_lo, s22
	s_and_saveexec_b32 s22, s21
	s_cbranch_execz .LBB89_618
.LBB89_652:                             ;   in Loop: Header=BB89_558 Depth=2
	ds_load_u8 v2, v1 offset:1280
	s_wait_dscnt 0x0
	v_lshrrev_b32_e32 v2, s45, v2
	s_delay_alu instid0(VALU_DEP_1)
	v_and_b32_e32 v92, s31, v2
	s_wait_alu 0xfffe
	s_or_b32 exec_lo, exec_lo, s22
	s_and_saveexec_b32 s22, s20
	s_cbranch_execz .LBB89_619
.LBB89_653:                             ;   in Loop: Header=BB89_558 Depth=2
	ds_load_u8 v2, v1 offset:1536
	s_wait_dscnt 0x0
	v_lshrrev_b32_e32 v2, s45, v2
	s_delay_alu instid0(VALU_DEP_1)
	v_and_b32_e32 v91, s31, v2
	s_wait_alu 0xfffe
	s_or_b32 exec_lo, exec_lo, s22
	s_and_saveexec_b32 s22, s18
	s_cbranch_execz .LBB89_620
.LBB89_654:                             ;   in Loop: Header=BB89_558 Depth=2
	ds_load_u8 v2, v1 offset:1792
	s_wait_dscnt 0x0
	v_lshrrev_b32_e32 v2, s45, v2
	s_delay_alu instid0(VALU_DEP_1)
	v_and_b32_e32 v90, s31, v2
	s_wait_alu 0xfffe
	s_or_b32 exec_lo, exec_lo, s22
	s_and_saveexec_b32 s22, s17
	s_cbranch_execz .LBB89_621
.LBB89_655:                             ;   in Loop: Header=BB89_558 Depth=2
	ds_load_u8 v2, v1 offset:2048
	s_wait_dscnt 0x0
	v_lshrrev_b32_e32 v2, s45, v2
	s_delay_alu instid0(VALU_DEP_1)
	v_and_b32_e32 v89, s31, v2
	s_wait_alu 0xfffe
	s_or_b32 exec_lo, exec_lo, s22
	s_and_saveexec_b32 s22, s16
	s_cbranch_execz .LBB89_622
.LBB89_656:                             ;   in Loop: Header=BB89_558 Depth=2
	ds_load_u8 v2, v1 offset:2304
	s_wait_dscnt 0x0
	v_lshrrev_b32_e32 v2, s45, v2
	s_delay_alu instid0(VALU_DEP_1)
	v_and_b32_e32 v88, s31, v2
	s_wait_alu 0xfffe
	s_or_b32 exec_lo, exec_lo, s22
	s_and_saveexec_b32 s22, s15
	s_cbranch_execz .LBB89_623
.LBB89_657:                             ;   in Loop: Header=BB89_558 Depth=2
	ds_load_u8 v2, v1 offset:2560
	s_wait_dscnt 0x0
	v_lshrrev_b32_e32 v2, s45, v2
	s_delay_alu instid0(VALU_DEP_1)
	v_and_b32_e32 v87, s31, v2
	s_wait_alu 0xfffe
	s_or_b32 exec_lo, exec_lo, s22
	s_and_saveexec_b32 s22, vcc_lo
	s_cbranch_execnz .LBB89_624
	s_branch .LBB89_625
.LBB89_658:                             ;   in Loop: Header=BB89_558 Depth=2
	v_lshlrev_b32_e32 v2, 2, v93
	ds_load_b32 v2, v2
	ds_load_b64 v[23:24], v20 offset:1024
	s_wait_dscnt 0x1
	v_add_nc_u32_e32 v2, v2, v1
	s_delay_alu instid0(VALU_DEP_1) | instskip(NEXT) | instid1(VALU_DEP_1)
	v_lshlrev_b64_e32 v[25:26], 3, v[2:3]
	v_add_co_u32 v25, s19, s26, v25
	s_wait_alu 0xf1ff
	s_delay_alu instid0(VALU_DEP_2)
	v_add_co_ci_u32_e64 v26, null, s27, v26, s19
	s_wait_dscnt 0x0
	global_store_b64 v[25:26], v[23:24], off
	s_wait_alu 0xfffe
	s_or_b32 exec_lo, exec_lo, s22
	s_and_saveexec_b32 s22, s21
	s_cbranch_execz .LBB89_627
.LBB89_659:                             ;   in Loop: Header=BB89_558 Depth=2
	v_lshlrev_b32_e32 v2, 2, v92
	ds_load_b32 v2, v2
	ds_load_b64 v[23:24], v20 offset:3072
	s_wait_dscnt 0x1
	v_add_nc_u32_e32 v2, v2, v29
	s_delay_alu instid0(VALU_DEP_1) | instskip(NEXT) | instid1(VALU_DEP_1)
	v_lshlrev_b64_e32 v[25:26], 3, v[2:3]
	v_add_co_u32 v25, s19, s26, v25
	s_wait_alu 0xf1ff
	s_delay_alu instid0(VALU_DEP_2)
	v_add_co_ci_u32_e64 v26, null, s27, v26, s19
	s_wait_dscnt 0x0
	global_store_b64 v[25:26], v[23:24], off
	s_wait_alu 0xfffe
	s_or_b32 exec_lo, exec_lo, s22
	s_and_saveexec_b32 s21, s20
	s_cbranch_execz .LBB89_628
.LBB89_660:                             ;   in Loop: Header=BB89_558 Depth=2
	v_lshlrev_b32_e32 v2, 2, v91
	ds_load_b32 v2, v2
	ds_load_b64 v[23:24], v20 offset:5120
	s_wait_dscnt 0x1
	v_add_nc_u32_e32 v2, v2, v30
	s_delay_alu instid0(VALU_DEP_1) | instskip(NEXT) | instid1(VALU_DEP_1)
	v_lshlrev_b64_e32 v[25:26], 3, v[2:3]
	v_add_co_u32 v25, s19, s26, v25
	s_wait_alu 0xf1ff
	s_delay_alu instid0(VALU_DEP_2)
	v_add_co_ci_u32_e64 v26, null, s27, v26, s19
	s_wait_dscnt 0x0
	global_store_b64 v[25:26], v[23:24], off
	s_wait_alu 0xfffe
	s_or_b32 exec_lo, exec_lo, s21
	s_and_saveexec_b32 s19, s18
	s_cbranch_execz .LBB89_629
.LBB89_661:                             ;   in Loop: Header=BB89_558 Depth=2
	v_lshlrev_b32_e32 v2, 2, v90
	ds_load_b32 v2, v2
	ds_load_b64 v[23:24], v20 offset:7168
	s_wait_dscnt 0x1
	v_add_nc_u32_e32 v2, v2, v31
	s_delay_alu instid0(VALU_DEP_1) | instskip(NEXT) | instid1(VALU_DEP_1)
	v_lshlrev_b64_e32 v[25:26], 3, v[2:3]
	v_add_co_u32 v25, s18, s26, v25
	s_wait_alu 0xf1ff
	s_delay_alu instid0(VALU_DEP_2)
	v_add_co_ci_u32_e64 v26, null, s27, v26, s18
	s_wait_dscnt 0x0
	global_store_b64 v[25:26], v[23:24], off
	s_wait_alu 0xfffe
	s_or_b32 exec_lo, exec_lo, s19
	s_and_saveexec_b32 s18, s17
	s_cbranch_execz .LBB89_630
.LBB89_662:                             ;   in Loop: Header=BB89_558 Depth=2
	v_lshlrev_b32_e32 v2, 2, v89
	ds_load_b32 v2, v2
	ds_load_b64 v[23:24], v20 offset:9216
	s_wait_dscnt 0x1
	v_add_nc_u32_e32 v2, v2, v34
	s_delay_alu instid0(VALU_DEP_1) | instskip(NEXT) | instid1(VALU_DEP_1)
	v_lshlrev_b64_e32 v[25:26], 3, v[2:3]
	v_add_co_u32 v25, s17, s26, v25
	s_wait_alu 0xf1ff
	s_delay_alu instid0(VALU_DEP_2)
	v_add_co_ci_u32_e64 v26, null, s27, v26, s17
	s_wait_dscnt 0x0
	global_store_b64 v[25:26], v[23:24], off
	s_wait_alu 0xfffe
	s_or_b32 exec_lo, exec_lo, s18
	s_and_saveexec_b32 s17, s16
	s_cbranch_execz .LBB89_631
.LBB89_663:                             ;   in Loop: Header=BB89_558 Depth=2
	v_lshlrev_b32_e32 v2, 2, v88
	ds_load_b32 v2, v2
	ds_load_b64 v[23:24], v20 offset:11264
	s_wait_dscnt 0x1
	v_add_nc_u32_e32 v2, v2, v35
	s_delay_alu instid0(VALU_DEP_1) | instskip(NEXT) | instid1(VALU_DEP_1)
	v_lshlrev_b64_e32 v[25:26], 3, v[2:3]
	v_add_co_u32 v25, s16, s26, v25
	s_wait_alu 0xf1ff
	s_delay_alu instid0(VALU_DEP_2)
	v_add_co_ci_u32_e64 v26, null, s27, v26, s16
	s_wait_dscnt 0x0
	global_store_b64 v[25:26], v[23:24], off
	s_wait_alu 0xfffe
	s_or_b32 exec_lo, exec_lo, s17
	s_and_saveexec_b32 s16, s15
	s_cbranch_execz .LBB89_632
.LBB89_664:                             ;   in Loop: Header=BB89_558 Depth=2
	v_lshlrev_b32_e32 v2, 2, v87
	ds_load_b32 v2, v2
	ds_load_b64 v[23:24], v20 offset:13312
	s_wait_dscnt 0x1
	v_add_nc_u32_e32 v2, v2, v36
	s_delay_alu instid0(VALU_DEP_1) | instskip(NEXT) | instid1(VALU_DEP_1)
	v_lshlrev_b64_e32 v[25:26], 3, v[2:3]
	v_add_co_u32 v25, s15, s26, v25
	s_wait_alu 0xf1ff
	s_delay_alu instid0(VALU_DEP_2)
	v_add_co_ci_u32_e64 v26, null, s27, v26, s15
	s_wait_dscnt 0x0
	global_store_b64 v[25:26], v[23:24], off
	s_wait_alu 0xfffe
	s_or_b32 exec_lo, exec_lo, s16
	s_and_saveexec_b32 s15, vcc_lo
	s_cbranch_execnz .LBB89_633
	s_branch .LBB89_634
.LBB89_665:                             ;   in Loop: Header=BB89_558 Depth=2
	global_load_u8 v96, v[20:21], off offset:32
	s_wait_alu 0xfffe
	s_or_b32 exec_lo, exec_lo, s15
	s_delay_alu instid0(SALU_CYCLE_1)
	s_mov_b32 s15, exec_lo
	v_cmpx_gt_u32_e64 s42, v72
	s_cbranch_execz .LBB89_565
.LBB89_666:                             ;   in Loop: Header=BB89_558 Depth=2
	global_load_u8 v27, v[20:21], off offset:64
	s_wait_alu 0xfffe
	s_or_b32 exec_lo, exec_lo, s15
	s_delay_alu instid0(SALU_CYCLE_1)
	s_mov_b32 s15, exec_lo
	v_cmpx_gt_u32_e64 s42, v73
	s_cbranch_execz .LBB89_566
.LBB89_667:                             ;   in Loop: Header=BB89_558 Depth=2
	global_load_u8 v26, v[20:21], off offset:96
	s_wait_alu 0xfffe
	s_or_b32 exec_lo, exec_lo, s15
	s_delay_alu instid0(SALU_CYCLE_1)
	s_mov_b32 s15, exec_lo
	v_cmpx_gt_u32_e64 s42, v74
	s_cbranch_execz .LBB89_567
.LBB89_668:                             ;   in Loop: Header=BB89_558 Depth=2
	global_load_u8 v25, v[20:21], off offset:128
	s_wait_alu 0xfffe
	s_or_b32 exec_lo, exec_lo, s15
	s_delay_alu instid0(SALU_CYCLE_1)
	s_mov_b32 s15, exec_lo
	v_cmpx_gt_u32_e64 s42, v75
	s_cbranch_execz .LBB89_568
.LBB89_669:                             ;   in Loop: Header=BB89_558 Depth=2
	global_load_u8 v24, v[20:21], off offset:160
	s_wait_alu 0xfffe
	s_or_b32 exec_lo, exec_lo, s15
	s_delay_alu instid0(SALU_CYCLE_1)
	s_mov_b32 s15, exec_lo
	v_cmpx_gt_u32_e64 s42, v76
	s_cbranch_execnz .LBB89_569
	s_branch .LBB89_570
.LBB89_670:
	s_endpgm
	.section	.rodata,"a",@progbits
	.p2align	6, 0x0
	.amdhsa_kernel _ZN7rocprim17ROCPRIM_400000_NS6detail17trampoline_kernelINS0_14default_configENS1_36segmented_radix_sort_config_selectorIhlEEZNS1_25segmented_radix_sort_implIS3_Lb1EPKhPhPKlPlN2at6native12_GLOBAL__N_18offset_tEEE10hipError_tPvRmT1_PNSt15iterator_traitsISK_E10value_typeET2_T3_PNSL_ISQ_E10value_typeET4_jRbjT5_SW_jjP12ihipStream_tbEUlT_E_NS1_11comp_targetILNS1_3genE10ELNS1_11target_archE1201ELNS1_3gpuE5ELNS1_3repE0EEENS1_30default_config_static_selectorELNS0_4arch9wavefront6targetE0EEEvSK_
		.amdhsa_group_segment_fixed_size 17440
		.amdhsa_private_segment_fixed_size 0
		.amdhsa_kernarg_size 352
		.amdhsa_user_sgpr_count 2
		.amdhsa_user_sgpr_dispatch_ptr 0
		.amdhsa_user_sgpr_queue_ptr 0
		.amdhsa_user_sgpr_kernarg_segment_ptr 1
		.amdhsa_user_sgpr_dispatch_id 0
		.amdhsa_user_sgpr_private_segment_size 0
		.amdhsa_wavefront_size32 1
		.amdhsa_uses_dynamic_stack 0
		.amdhsa_enable_private_segment 0
		.amdhsa_system_sgpr_workgroup_id_x 1
		.amdhsa_system_sgpr_workgroup_id_y 1
		.amdhsa_system_sgpr_workgroup_id_z 0
		.amdhsa_system_sgpr_workgroup_info 0
		.amdhsa_system_vgpr_workitem_id 2
		.amdhsa_next_free_vgpr 197
		.amdhsa_next_free_sgpr 50
		.amdhsa_reserve_vcc 1
		.amdhsa_float_round_mode_32 0
		.amdhsa_float_round_mode_16_64 0
		.amdhsa_float_denorm_mode_32 3
		.amdhsa_float_denorm_mode_16_64 3
		.amdhsa_fp16_overflow 0
		.amdhsa_workgroup_processor_mode 1
		.amdhsa_memory_ordered 1
		.amdhsa_forward_progress 1
		.amdhsa_inst_pref_size 255
		.amdhsa_round_robin_scheduling 0
		.amdhsa_exception_fp_ieee_invalid_op 0
		.amdhsa_exception_fp_denorm_src 0
		.amdhsa_exception_fp_ieee_div_zero 0
		.amdhsa_exception_fp_ieee_overflow 0
		.amdhsa_exception_fp_ieee_underflow 0
		.amdhsa_exception_fp_ieee_inexact 0
		.amdhsa_exception_int_div_zero 0
	.end_amdhsa_kernel
	.section	.text._ZN7rocprim17ROCPRIM_400000_NS6detail17trampoline_kernelINS0_14default_configENS1_36segmented_radix_sort_config_selectorIhlEEZNS1_25segmented_radix_sort_implIS3_Lb1EPKhPhPKlPlN2at6native12_GLOBAL__N_18offset_tEEE10hipError_tPvRmT1_PNSt15iterator_traitsISK_E10value_typeET2_T3_PNSL_ISQ_E10value_typeET4_jRbjT5_SW_jjP12ihipStream_tbEUlT_E_NS1_11comp_targetILNS1_3genE10ELNS1_11target_archE1201ELNS1_3gpuE5ELNS1_3repE0EEENS1_30default_config_static_selectorELNS0_4arch9wavefront6targetE0EEEvSK_,"axG",@progbits,_ZN7rocprim17ROCPRIM_400000_NS6detail17trampoline_kernelINS0_14default_configENS1_36segmented_radix_sort_config_selectorIhlEEZNS1_25segmented_radix_sort_implIS3_Lb1EPKhPhPKlPlN2at6native12_GLOBAL__N_18offset_tEEE10hipError_tPvRmT1_PNSt15iterator_traitsISK_E10value_typeET2_T3_PNSL_ISQ_E10value_typeET4_jRbjT5_SW_jjP12ihipStream_tbEUlT_E_NS1_11comp_targetILNS1_3genE10ELNS1_11target_archE1201ELNS1_3gpuE5ELNS1_3repE0EEENS1_30default_config_static_selectorELNS0_4arch9wavefront6targetE0EEEvSK_,comdat
.Lfunc_end89:
	.size	_ZN7rocprim17ROCPRIM_400000_NS6detail17trampoline_kernelINS0_14default_configENS1_36segmented_radix_sort_config_selectorIhlEEZNS1_25segmented_radix_sort_implIS3_Lb1EPKhPhPKlPlN2at6native12_GLOBAL__N_18offset_tEEE10hipError_tPvRmT1_PNSt15iterator_traitsISK_E10value_typeET2_T3_PNSL_ISQ_E10value_typeET4_jRbjT5_SW_jjP12ihipStream_tbEUlT_E_NS1_11comp_targetILNS1_3genE10ELNS1_11target_archE1201ELNS1_3gpuE5ELNS1_3repE0EEENS1_30default_config_static_selectorELNS0_4arch9wavefront6targetE0EEEvSK_, .Lfunc_end89-_ZN7rocprim17ROCPRIM_400000_NS6detail17trampoline_kernelINS0_14default_configENS1_36segmented_radix_sort_config_selectorIhlEEZNS1_25segmented_radix_sort_implIS3_Lb1EPKhPhPKlPlN2at6native12_GLOBAL__N_18offset_tEEE10hipError_tPvRmT1_PNSt15iterator_traitsISK_E10value_typeET2_T3_PNSL_ISQ_E10value_typeET4_jRbjT5_SW_jjP12ihipStream_tbEUlT_E_NS1_11comp_targetILNS1_3genE10ELNS1_11target_archE1201ELNS1_3gpuE5ELNS1_3repE0EEENS1_30default_config_static_selectorELNS0_4arch9wavefront6targetE0EEEvSK_
                                        ; -- End function
	.set _ZN7rocprim17ROCPRIM_400000_NS6detail17trampoline_kernelINS0_14default_configENS1_36segmented_radix_sort_config_selectorIhlEEZNS1_25segmented_radix_sort_implIS3_Lb1EPKhPhPKlPlN2at6native12_GLOBAL__N_18offset_tEEE10hipError_tPvRmT1_PNSt15iterator_traitsISK_E10value_typeET2_T3_PNSL_ISQ_E10value_typeET4_jRbjT5_SW_jjP12ihipStream_tbEUlT_E_NS1_11comp_targetILNS1_3genE10ELNS1_11target_archE1201ELNS1_3gpuE5ELNS1_3repE0EEENS1_30default_config_static_selectorELNS0_4arch9wavefront6targetE0EEEvSK_.num_vgpr, max(133, .L_ZN7rocprim17ROCPRIM_400000_NS6detail40segmented_radix_sort_single_block_helperIhlLj256ELj8ELb1EE4sortIPKhPhPKlPlEEbT_T0_T1_T2_jjjjRNS3_12storage_typeE.num_vgpr)
	.set _ZN7rocprim17ROCPRIM_400000_NS6detail17trampoline_kernelINS0_14default_configENS1_36segmented_radix_sort_config_selectorIhlEEZNS1_25segmented_radix_sort_implIS3_Lb1EPKhPhPKlPlN2at6native12_GLOBAL__N_18offset_tEEE10hipError_tPvRmT1_PNSt15iterator_traitsISK_E10value_typeET2_T3_PNSL_ISQ_E10value_typeET4_jRbjT5_SW_jjP12ihipStream_tbEUlT_E_NS1_11comp_targetILNS1_3genE10ELNS1_11target_archE1201ELNS1_3gpuE5ELNS1_3repE0EEENS1_30default_config_static_selectorELNS0_4arch9wavefront6targetE0EEEvSK_.num_agpr, max(0, .L_ZN7rocprim17ROCPRIM_400000_NS6detail40segmented_radix_sort_single_block_helperIhlLj256ELj8ELb1EE4sortIPKhPhPKlPlEEbT_T0_T1_T2_jjjjRNS3_12storage_typeE.num_agpr)
	.set _ZN7rocprim17ROCPRIM_400000_NS6detail17trampoline_kernelINS0_14default_configENS1_36segmented_radix_sort_config_selectorIhlEEZNS1_25segmented_radix_sort_implIS3_Lb1EPKhPhPKlPlN2at6native12_GLOBAL__N_18offset_tEEE10hipError_tPvRmT1_PNSt15iterator_traitsISK_E10value_typeET2_T3_PNSL_ISQ_E10value_typeET4_jRbjT5_SW_jjP12ihipStream_tbEUlT_E_NS1_11comp_targetILNS1_3genE10ELNS1_11target_archE1201ELNS1_3gpuE5ELNS1_3repE0EEENS1_30default_config_static_selectorELNS0_4arch9wavefront6targetE0EEEvSK_.numbered_sgpr, max(50, .L_ZN7rocprim17ROCPRIM_400000_NS6detail40segmented_radix_sort_single_block_helperIhlLj256ELj8ELb1EE4sortIPKhPhPKlPlEEbT_T0_T1_T2_jjjjRNS3_12storage_typeE.numbered_sgpr)
	.set _ZN7rocprim17ROCPRIM_400000_NS6detail17trampoline_kernelINS0_14default_configENS1_36segmented_radix_sort_config_selectorIhlEEZNS1_25segmented_radix_sort_implIS3_Lb1EPKhPhPKlPlN2at6native12_GLOBAL__N_18offset_tEEE10hipError_tPvRmT1_PNSt15iterator_traitsISK_E10value_typeET2_T3_PNSL_ISQ_E10value_typeET4_jRbjT5_SW_jjP12ihipStream_tbEUlT_E_NS1_11comp_targetILNS1_3genE10ELNS1_11target_archE1201ELNS1_3gpuE5ELNS1_3repE0EEENS1_30default_config_static_selectorELNS0_4arch9wavefront6targetE0EEEvSK_.num_named_barrier, max(0, .L_ZN7rocprim17ROCPRIM_400000_NS6detail40segmented_radix_sort_single_block_helperIhlLj256ELj8ELb1EE4sortIPKhPhPKlPlEEbT_T0_T1_T2_jjjjRNS3_12storage_typeE.num_named_barrier)
	.set _ZN7rocprim17ROCPRIM_400000_NS6detail17trampoline_kernelINS0_14default_configENS1_36segmented_radix_sort_config_selectorIhlEEZNS1_25segmented_radix_sort_implIS3_Lb1EPKhPhPKlPlN2at6native12_GLOBAL__N_18offset_tEEE10hipError_tPvRmT1_PNSt15iterator_traitsISK_E10value_typeET2_T3_PNSL_ISQ_E10value_typeET4_jRbjT5_SW_jjP12ihipStream_tbEUlT_E_NS1_11comp_targetILNS1_3genE10ELNS1_11target_archE1201ELNS1_3gpuE5ELNS1_3repE0EEENS1_30default_config_static_selectorELNS0_4arch9wavefront6targetE0EEEvSK_.private_seg_size, 0+max(.L_ZN7rocprim17ROCPRIM_400000_NS6detail40segmented_radix_sort_single_block_helperIhlLj256ELj8ELb1EE4sortIPKhPhPKlPlEEbT_T0_T1_T2_jjjjRNS3_12storage_typeE.private_seg_size)
	.set _ZN7rocprim17ROCPRIM_400000_NS6detail17trampoline_kernelINS0_14default_configENS1_36segmented_radix_sort_config_selectorIhlEEZNS1_25segmented_radix_sort_implIS3_Lb1EPKhPhPKlPlN2at6native12_GLOBAL__N_18offset_tEEE10hipError_tPvRmT1_PNSt15iterator_traitsISK_E10value_typeET2_T3_PNSL_ISQ_E10value_typeET4_jRbjT5_SW_jjP12ihipStream_tbEUlT_E_NS1_11comp_targetILNS1_3genE10ELNS1_11target_archE1201ELNS1_3gpuE5ELNS1_3repE0EEENS1_30default_config_static_selectorELNS0_4arch9wavefront6targetE0EEEvSK_.uses_vcc, or(1, .L_ZN7rocprim17ROCPRIM_400000_NS6detail40segmented_radix_sort_single_block_helperIhlLj256ELj8ELb1EE4sortIPKhPhPKlPlEEbT_T0_T1_T2_jjjjRNS3_12storage_typeE.uses_vcc)
	.set _ZN7rocprim17ROCPRIM_400000_NS6detail17trampoline_kernelINS0_14default_configENS1_36segmented_radix_sort_config_selectorIhlEEZNS1_25segmented_radix_sort_implIS3_Lb1EPKhPhPKlPlN2at6native12_GLOBAL__N_18offset_tEEE10hipError_tPvRmT1_PNSt15iterator_traitsISK_E10value_typeET2_T3_PNSL_ISQ_E10value_typeET4_jRbjT5_SW_jjP12ihipStream_tbEUlT_E_NS1_11comp_targetILNS1_3genE10ELNS1_11target_archE1201ELNS1_3gpuE5ELNS1_3repE0EEENS1_30default_config_static_selectorELNS0_4arch9wavefront6targetE0EEEvSK_.uses_flat_scratch, or(0, .L_ZN7rocprim17ROCPRIM_400000_NS6detail40segmented_radix_sort_single_block_helperIhlLj256ELj8ELb1EE4sortIPKhPhPKlPlEEbT_T0_T1_T2_jjjjRNS3_12storage_typeE.uses_flat_scratch)
	.set _ZN7rocprim17ROCPRIM_400000_NS6detail17trampoline_kernelINS0_14default_configENS1_36segmented_radix_sort_config_selectorIhlEEZNS1_25segmented_radix_sort_implIS3_Lb1EPKhPhPKlPlN2at6native12_GLOBAL__N_18offset_tEEE10hipError_tPvRmT1_PNSt15iterator_traitsISK_E10value_typeET2_T3_PNSL_ISQ_E10value_typeET4_jRbjT5_SW_jjP12ihipStream_tbEUlT_E_NS1_11comp_targetILNS1_3genE10ELNS1_11target_archE1201ELNS1_3gpuE5ELNS1_3repE0EEENS1_30default_config_static_selectorELNS0_4arch9wavefront6targetE0EEEvSK_.has_dyn_sized_stack, or(0, .L_ZN7rocprim17ROCPRIM_400000_NS6detail40segmented_radix_sort_single_block_helperIhlLj256ELj8ELb1EE4sortIPKhPhPKlPlEEbT_T0_T1_T2_jjjjRNS3_12storage_typeE.has_dyn_sized_stack)
	.set _ZN7rocprim17ROCPRIM_400000_NS6detail17trampoline_kernelINS0_14default_configENS1_36segmented_radix_sort_config_selectorIhlEEZNS1_25segmented_radix_sort_implIS3_Lb1EPKhPhPKlPlN2at6native12_GLOBAL__N_18offset_tEEE10hipError_tPvRmT1_PNSt15iterator_traitsISK_E10value_typeET2_T3_PNSL_ISQ_E10value_typeET4_jRbjT5_SW_jjP12ihipStream_tbEUlT_E_NS1_11comp_targetILNS1_3genE10ELNS1_11target_archE1201ELNS1_3gpuE5ELNS1_3repE0EEENS1_30default_config_static_selectorELNS0_4arch9wavefront6targetE0EEEvSK_.has_recursion, or(0, .L_ZN7rocprim17ROCPRIM_400000_NS6detail40segmented_radix_sort_single_block_helperIhlLj256ELj8ELb1EE4sortIPKhPhPKlPlEEbT_T0_T1_T2_jjjjRNS3_12storage_typeE.has_recursion)
	.set _ZN7rocprim17ROCPRIM_400000_NS6detail17trampoline_kernelINS0_14default_configENS1_36segmented_radix_sort_config_selectorIhlEEZNS1_25segmented_radix_sort_implIS3_Lb1EPKhPhPKlPlN2at6native12_GLOBAL__N_18offset_tEEE10hipError_tPvRmT1_PNSt15iterator_traitsISK_E10value_typeET2_T3_PNSL_ISQ_E10value_typeET4_jRbjT5_SW_jjP12ihipStream_tbEUlT_E_NS1_11comp_targetILNS1_3genE10ELNS1_11target_archE1201ELNS1_3gpuE5ELNS1_3repE0EEENS1_30default_config_static_selectorELNS0_4arch9wavefront6targetE0EEEvSK_.has_indirect_call, or(0, .L_ZN7rocprim17ROCPRIM_400000_NS6detail40segmented_radix_sort_single_block_helperIhlLj256ELj8ELb1EE4sortIPKhPhPKlPlEEbT_T0_T1_T2_jjjjRNS3_12storage_typeE.has_indirect_call)
	.section	.AMDGPU.csdata,"",@progbits
; Kernel info:
; codeLenInByte = 42476
; TotalNumSgprs: 52
; NumVgprs: 197
; ScratchSize: 0
; MemoryBound: 0
; FloatMode: 240
; IeeeMode: 1
; LDSByteSize: 17440 bytes/workgroup (compile time only)
; SGPRBlocks: 0
; VGPRBlocks: 24
; NumSGPRsForWavesPerEU: 52
; NumVGPRsForWavesPerEU: 197
; Occupancy: 7
; WaveLimiterHint : 1
; COMPUTE_PGM_RSRC2:SCRATCH_EN: 0
; COMPUTE_PGM_RSRC2:USER_SGPR: 2
; COMPUTE_PGM_RSRC2:TRAP_HANDLER: 0
; COMPUTE_PGM_RSRC2:TGID_X_EN: 1
; COMPUTE_PGM_RSRC2:TGID_Y_EN: 1
; COMPUTE_PGM_RSRC2:TGID_Z_EN: 0
; COMPUTE_PGM_RSRC2:TIDIG_COMP_CNT: 2
	.section	.text._ZN7rocprim17ROCPRIM_400000_NS6detail17trampoline_kernelINS0_14default_configENS1_36segmented_radix_sort_config_selectorIhlEEZNS1_25segmented_radix_sort_implIS3_Lb1EPKhPhPKlPlN2at6native12_GLOBAL__N_18offset_tEEE10hipError_tPvRmT1_PNSt15iterator_traitsISK_E10value_typeET2_T3_PNSL_ISQ_E10value_typeET4_jRbjT5_SW_jjP12ihipStream_tbEUlT_E_NS1_11comp_targetILNS1_3genE10ELNS1_11target_archE1200ELNS1_3gpuE4ELNS1_3repE0EEENS1_30default_config_static_selectorELNS0_4arch9wavefront6targetE0EEEvSK_,"axG",@progbits,_ZN7rocprim17ROCPRIM_400000_NS6detail17trampoline_kernelINS0_14default_configENS1_36segmented_radix_sort_config_selectorIhlEEZNS1_25segmented_radix_sort_implIS3_Lb1EPKhPhPKlPlN2at6native12_GLOBAL__N_18offset_tEEE10hipError_tPvRmT1_PNSt15iterator_traitsISK_E10value_typeET2_T3_PNSL_ISQ_E10value_typeET4_jRbjT5_SW_jjP12ihipStream_tbEUlT_E_NS1_11comp_targetILNS1_3genE10ELNS1_11target_archE1200ELNS1_3gpuE4ELNS1_3repE0EEENS1_30default_config_static_selectorELNS0_4arch9wavefront6targetE0EEEvSK_,comdat
	.globl	_ZN7rocprim17ROCPRIM_400000_NS6detail17trampoline_kernelINS0_14default_configENS1_36segmented_radix_sort_config_selectorIhlEEZNS1_25segmented_radix_sort_implIS3_Lb1EPKhPhPKlPlN2at6native12_GLOBAL__N_18offset_tEEE10hipError_tPvRmT1_PNSt15iterator_traitsISK_E10value_typeET2_T3_PNSL_ISQ_E10value_typeET4_jRbjT5_SW_jjP12ihipStream_tbEUlT_E_NS1_11comp_targetILNS1_3genE10ELNS1_11target_archE1200ELNS1_3gpuE4ELNS1_3repE0EEENS1_30default_config_static_selectorELNS0_4arch9wavefront6targetE0EEEvSK_ ; -- Begin function _ZN7rocprim17ROCPRIM_400000_NS6detail17trampoline_kernelINS0_14default_configENS1_36segmented_radix_sort_config_selectorIhlEEZNS1_25segmented_radix_sort_implIS3_Lb1EPKhPhPKlPlN2at6native12_GLOBAL__N_18offset_tEEE10hipError_tPvRmT1_PNSt15iterator_traitsISK_E10value_typeET2_T3_PNSL_ISQ_E10value_typeET4_jRbjT5_SW_jjP12ihipStream_tbEUlT_E_NS1_11comp_targetILNS1_3genE10ELNS1_11target_archE1200ELNS1_3gpuE4ELNS1_3repE0EEENS1_30default_config_static_selectorELNS0_4arch9wavefront6targetE0EEEvSK_
	.p2align	8
	.type	_ZN7rocprim17ROCPRIM_400000_NS6detail17trampoline_kernelINS0_14default_configENS1_36segmented_radix_sort_config_selectorIhlEEZNS1_25segmented_radix_sort_implIS3_Lb1EPKhPhPKlPlN2at6native12_GLOBAL__N_18offset_tEEE10hipError_tPvRmT1_PNSt15iterator_traitsISK_E10value_typeET2_T3_PNSL_ISQ_E10value_typeET4_jRbjT5_SW_jjP12ihipStream_tbEUlT_E_NS1_11comp_targetILNS1_3genE10ELNS1_11target_archE1200ELNS1_3gpuE4ELNS1_3repE0EEENS1_30default_config_static_selectorELNS0_4arch9wavefront6targetE0EEEvSK_,@function
_ZN7rocprim17ROCPRIM_400000_NS6detail17trampoline_kernelINS0_14default_configENS1_36segmented_radix_sort_config_selectorIhlEEZNS1_25segmented_radix_sort_implIS3_Lb1EPKhPhPKlPlN2at6native12_GLOBAL__N_18offset_tEEE10hipError_tPvRmT1_PNSt15iterator_traitsISK_E10value_typeET2_T3_PNSL_ISQ_E10value_typeET4_jRbjT5_SW_jjP12ihipStream_tbEUlT_E_NS1_11comp_targetILNS1_3genE10ELNS1_11target_archE1200ELNS1_3gpuE4ELNS1_3repE0EEENS1_30default_config_static_selectorELNS0_4arch9wavefront6targetE0EEEvSK_: ; @_ZN7rocprim17ROCPRIM_400000_NS6detail17trampoline_kernelINS0_14default_configENS1_36segmented_radix_sort_config_selectorIhlEEZNS1_25segmented_radix_sort_implIS3_Lb1EPKhPhPKlPlN2at6native12_GLOBAL__N_18offset_tEEE10hipError_tPvRmT1_PNSt15iterator_traitsISK_E10value_typeET2_T3_PNSL_ISQ_E10value_typeET4_jRbjT5_SW_jjP12ihipStream_tbEUlT_E_NS1_11comp_targetILNS1_3genE10ELNS1_11target_archE1200ELNS1_3gpuE4ELNS1_3repE0EEENS1_30default_config_static_selectorELNS0_4arch9wavefront6targetE0EEEvSK_
; %bb.0:
	.section	.rodata,"a",@progbits
	.p2align	6, 0x0
	.amdhsa_kernel _ZN7rocprim17ROCPRIM_400000_NS6detail17trampoline_kernelINS0_14default_configENS1_36segmented_radix_sort_config_selectorIhlEEZNS1_25segmented_radix_sort_implIS3_Lb1EPKhPhPKlPlN2at6native12_GLOBAL__N_18offset_tEEE10hipError_tPvRmT1_PNSt15iterator_traitsISK_E10value_typeET2_T3_PNSL_ISQ_E10value_typeET4_jRbjT5_SW_jjP12ihipStream_tbEUlT_E_NS1_11comp_targetILNS1_3genE10ELNS1_11target_archE1200ELNS1_3gpuE4ELNS1_3repE0EEENS1_30default_config_static_selectorELNS0_4arch9wavefront6targetE0EEEvSK_
		.amdhsa_group_segment_fixed_size 0
		.amdhsa_private_segment_fixed_size 0
		.amdhsa_kernarg_size 96
		.amdhsa_user_sgpr_count 2
		.amdhsa_user_sgpr_dispatch_ptr 0
		.amdhsa_user_sgpr_queue_ptr 0
		.amdhsa_user_sgpr_kernarg_segment_ptr 1
		.amdhsa_user_sgpr_dispatch_id 0
		.amdhsa_user_sgpr_private_segment_size 0
		.amdhsa_wavefront_size32 1
		.amdhsa_uses_dynamic_stack 0
		.amdhsa_enable_private_segment 0
		.amdhsa_system_sgpr_workgroup_id_x 1
		.amdhsa_system_sgpr_workgroup_id_y 0
		.amdhsa_system_sgpr_workgroup_id_z 0
		.amdhsa_system_sgpr_workgroup_info 0
		.amdhsa_system_vgpr_workitem_id 0
		.amdhsa_next_free_vgpr 1
		.amdhsa_next_free_sgpr 1
		.amdhsa_reserve_vcc 0
		.amdhsa_float_round_mode_32 0
		.amdhsa_float_round_mode_16_64 0
		.amdhsa_float_denorm_mode_32 3
		.amdhsa_float_denorm_mode_16_64 3
		.amdhsa_fp16_overflow 0
		.amdhsa_workgroup_processor_mode 1
		.amdhsa_memory_ordered 1
		.amdhsa_forward_progress 1
		.amdhsa_inst_pref_size 0
		.amdhsa_round_robin_scheduling 0
		.amdhsa_exception_fp_ieee_invalid_op 0
		.amdhsa_exception_fp_denorm_src 0
		.amdhsa_exception_fp_ieee_div_zero 0
		.amdhsa_exception_fp_ieee_overflow 0
		.amdhsa_exception_fp_ieee_underflow 0
		.amdhsa_exception_fp_ieee_inexact 0
		.amdhsa_exception_int_div_zero 0
	.end_amdhsa_kernel
	.section	.text._ZN7rocprim17ROCPRIM_400000_NS6detail17trampoline_kernelINS0_14default_configENS1_36segmented_radix_sort_config_selectorIhlEEZNS1_25segmented_radix_sort_implIS3_Lb1EPKhPhPKlPlN2at6native12_GLOBAL__N_18offset_tEEE10hipError_tPvRmT1_PNSt15iterator_traitsISK_E10value_typeET2_T3_PNSL_ISQ_E10value_typeET4_jRbjT5_SW_jjP12ihipStream_tbEUlT_E_NS1_11comp_targetILNS1_3genE10ELNS1_11target_archE1200ELNS1_3gpuE4ELNS1_3repE0EEENS1_30default_config_static_selectorELNS0_4arch9wavefront6targetE0EEEvSK_,"axG",@progbits,_ZN7rocprim17ROCPRIM_400000_NS6detail17trampoline_kernelINS0_14default_configENS1_36segmented_radix_sort_config_selectorIhlEEZNS1_25segmented_radix_sort_implIS3_Lb1EPKhPhPKlPlN2at6native12_GLOBAL__N_18offset_tEEE10hipError_tPvRmT1_PNSt15iterator_traitsISK_E10value_typeET2_T3_PNSL_ISQ_E10value_typeET4_jRbjT5_SW_jjP12ihipStream_tbEUlT_E_NS1_11comp_targetILNS1_3genE10ELNS1_11target_archE1200ELNS1_3gpuE4ELNS1_3repE0EEENS1_30default_config_static_selectorELNS0_4arch9wavefront6targetE0EEEvSK_,comdat
.Lfunc_end90:
	.size	_ZN7rocprim17ROCPRIM_400000_NS6detail17trampoline_kernelINS0_14default_configENS1_36segmented_radix_sort_config_selectorIhlEEZNS1_25segmented_radix_sort_implIS3_Lb1EPKhPhPKlPlN2at6native12_GLOBAL__N_18offset_tEEE10hipError_tPvRmT1_PNSt15iterator_traitsISK_E10value_typeET2_T3_PNSL_ISQ_E10value_typeET4_jRbjT5_SW_jjP12ihipStream_tbEUlT_E_NS1_11comp_targetILNS1_3genE10ELNS1_11target_archE1200ELNS1_3gpuE4ELNS1_3repE0EEENS1_30default_config_static_selectorELNS0_4arch9wavefront6targetE0EEEvSK_, .Lfunc_end90-_ZN7rocprim17ROCPRIM_400000_NS6detail17trampoline_kernelINS0_14default_configENS1_36segmented_radix_sort_config_selectorIhlEEZNS1_25segmented_radix_sort_implIS3_Lb1EPKhPhPKlPlN2at6native12_GLOBAL__N_18offset_tEEE10hipError_tPvRmT1_PNSt15iterator_traitsISK_E10value_typeET2_T3_PNSL_ISQ_E10value_typeET4_jRbjT5_SW_jjP12ihipStream_tbEUlT_E_NS1_11comp_targetILNS1_3genE10ELNS1_11target_archE1200ELNS1_3gpuE4ELNS1_3repE0EEENS1_30default_config_static_selectorELNS0_4arch9wavefront6targetE0EEEvSK_
                                        ; -- End function
	.set _ZN7rocprim17ROCPRIM_400000_NS6detail17trampoline_kernelINS0_14default_configENS1_36segmented_radix_sort_config_selectorIhlEEZNS1_25segmented_radix_sort_implIS3_Lb1EPKhPhPKlPlN2at6native12_GLOBAL__N_18offset_tEEE10hipError_tPvRmT1_PNSt15iterator_traitsISK_E10value_typeET2_T3_PNSL_ISQ_E10value_typeET4_jRbjT5_SW_jjP12ihipStream_tbEUlT_E_NS1_11comp_targetILNS1_3genE10ELNS1_11target_archE1200ELNS1_3gpuE4ELNS1_3repE0EEENS1_30default_config_static_selectorELNS0_4arch9wavefront6targetE0EEEvSK_.num_vgpr, 0
	.set _ZN7rocprim17ROCPRIM_400000_NS6detail17trampoline_kernelINS0_14default_configENS1_36segmented_radix_sort_config_selectorIhlEEZNS1_25segmented_radix_sort_implIS3_Lb1EPKhPhPKlPlN2at6native12_GLOBAL__N_18offset_tEEE10hipError_tPvRmT1_PNSt15iterator_traitsISK_E10value_typeET2_T3_PNSL_ISQ_E10value_typeET4_jRbjT5_SW_jjP12ihipStream_tbEUlT_E_NS1_11comp_targetILNS1_3genE10ELNS1_11target_archE1200ELNS1_3gpuE4ELNS1_3repE0EEENS1_30default_config_static_selectorELNS0_4arch9wavefront6targetE0EEEvSK_.num_agpr, 0
	.set _ZN7rocprim17ROCPRIM_400000_NS6detail17trampoline_kernelINS0_14default_configENS1_36segmented_radix_sort_config_selectorIhlEEZNS1_25segmented_radix_sort_implIS3_Lb1EPKhPhPKlPlN2at6native12_GLOBAL__N_18offset_tEEE10hipError_tPvRmT1_PNSt15iterator_traitsISK_E10value_typeET2_T3_PNSL_ISQ_E10value_typeET4_jRbjT5_SW_jjP12ihipStream_tbEUlT_E_NS1_11comp_targetILNS1_3genE10ELNS1_11target_archE1200ELNS1_3gpuE4ELNS1_3repE0EEENS1_30default_config_static_selectorELNS0_4arch9wavefront6targetE0EEEvSK_.numbered_sgpr, 0
	.set _ZN7rocprim17ROCPRIM_400000_NS6detail17trampoline_kernelINS0_14default_configENS1_36segmented_radix_sort_config_selectorIhlEEZNS1_25segmented_radix_sort_implIS3_Lb1EPKhPhPKlPlN2at6native12_GLOBAL__N_18offset_tEEE10hipError_tPvRmT1_PNSt15iterator_traitsISK_E10value_typeET2_T3_PNSL_ISQ_E10value_typeET4_jRbjT5_SW_jjP12ihipStream_tbEUlT_E_NS1_11comp_targetILNS1_3genE10ELNS1_11target_archE1200ELNS1_3gpuE4ELNS1_3repE0EEENS1_30default_config_static_selectorELNS0_4arch9wavefront6targetE0EEEvSK_.num_named_barrier, 0
	.set _ZN7rocprim17ROCPRIM_400000_NS6detail17trampoline_kernelINS0_14default_configENS1_36segmented_radix_sort_config_selectorIhlEEZNS1_25segmented_radix_sort_implIS3_Lb1EPKhPhPKlPlN2at6native12_GLOBAL__N_18offset_tEEE10hipError_tPvRmT1_PNSt15iterator_traitsISK_E10value_typeET2_T3_PNSL_ISQ_E10value_typeET4_jRbjT5_SW_jjP12ihipStream_tbEUlT_E_NS1_11comp_targetILNS1_3genE10ELNS1_11target_archE1200ELNS1_3gpuE4ELNS1_3repE0EEENS1_30default_config_static_selectorELNS0_4arch9wavefront6targetE0EEEvSK_.private_seg_size, 0
	.set _ZN7rocprim17ROCPRIM_400000_NS6detail17trampoline_kernelINS0_14default_configENS1_36segmented_radix_sort_config_selectorIhlEEZNS1_25segmented_radix_sort_implIS3_Lb1EPKhPhPKlPlN2at6native12_GLOBAL__N_18offset_tEEE10hipError_tPvRmT1_PNSt15iterator_traitsISK_E10value_typeET2_T3_PNSL_ISQ_E10value_typeET4_jRbjT5_SW_jjP12ihipStream_tbEUlT_E_NS1_11comp_targetILNS1_3genE10ELNS1_11target_archE1200ELNS1_3gpuE4ELNS1_3repE0EEENS1_30default_config_static_selectorELNS0_4arch9wavefront6targetE0EEEvSK_.uses_vcc, 0
	.set _ZN7rocprim17ROCPRIM_400000_NS6detail17trampoline_kernelINS0_14default_configENS1_36segmented_radix_sort_config_selectorIhlEEZNS1_25segmented_radix_sort_implIS3_Lb1EPKhPhPKlPlN2at6native12_GLOBAL__N_18offset_tEEE10hipError_tPvRmT1_PNSt15iterator_traitsISK_E10value_typeET2_T3_PNSL_ISQ_E10value_typeET4_jRbjT5_SW_jjP12ihipStream_tbEUlT_E_NS1_11comp_targetILNS1_3genE10ELNS1_11target_archE1200ELNS1_3gpuE4ELNS1_3repE0EEENS1_30default_config_static_selectorELNS0_4arch9wavefront6targetE0EEEvSK_.uses_flat_scratch, 0
	.set _ZN7rocprim17ROCPRIM_400000_NS6detail17trampoline_kernelINS0_14default_configENS1_36segmented_radix_sort_config_selectorIhlEEZNS1_25segmented_radix_sort_implIS3_Lb1EPKhPhPKlPlN2at6native12_GLOBAL__N_18offset_tEEE10hipError_tPvRmT1_PNSt15iterator_traitsISK_E10value_typeET2_T3_PNSL_ISQ_E10value_typeET4_jRbjT5_SW_jjP12ihipStream_tbEUlT_E_NS1_11comp_targetILNS1_3genE10ELNS1_11target_archE1200ELNS1_3gpuE4ELNS1_3repE0EEENS1_30default_config_static_selectorELNS0_4arch9wavefront6targetE0EEEvSK_.has_dyn_sized_stack, 0
	.set _ZN7rocprim17ROCPRIM_400000_NS6detail17trampoline_kernelINS0_14default_configENS1_36segmented_radix_sort_config_selectorIhlEEZNS1_25segmented_radix_sort_implIS3_Lb1EPKhPhPKlPlN2at6native12_GLOBAL__N_18offset_tEEE10hipError_tPvRmT1_PNSt15iterator_traitsISK_E10value_typeET2_T3_PNSL_ISQ_E10value_typeET4_jRbjT5_SW_jjP12ihipStream_tbEUlT_E_NS1_11comp_targetILNS1_3genE10ELNS1_11target_archE1200ELNS1_3gpuE4ELNS1_3repE0EEENS1_30default_config_static_selectorELNS0_4arch9wavefront6targetE0EEEvSK_.has_recursion, 0
	.set _ZN7rocprim17ROCPRIM_400000_NS6detail17trampoline_kernelINS0_14default_configENS1_36segmented_radix_sort_config_selectorIhlEEZNS1_25segmented_radix_sort_implIS3_Lb1EPKhPhPKlPlN2at6native12_GLOBAL__N_18offset_tEEE10hipError_tPvRmT1_PNSt15iterator_traitsISK_E10value_typeET2_T3_PNSL_ISQ_E10value_typeET4_jRbjT5_SW_jjP12ihipStream_tbEUlT_E_NS1_11comp_targetILNS1_3genE10ELNS1_11target_archE1200ELNS1_3gpuE4ELNS1_3repE0EEENS1_30default_config_static_selectorELNS0_4arch9wavefront6targetE0EEEvSK_.has_indirect_call, 0
	.section	.AMDGPU.csdata,"",@progbits
; Kernel info:
; codeLenInByte = 0
; TotalNumSgprs: 0
; NumVgprs: 0
; ScratchSize: 0
; MemoryBound: 0
; FloatMode: 240
; IeeeMode: 1
; LDSByteSize: 0 bytes/workgroup (compile time only)
; SGPRBlocks: 0
; VGPRBlocks: 0
; NumSGPRsForWavesPerEU: 1
; NumVGPRsForWavesPerEU: 1
; Occupancy: 16
; WaveLimiterHint : 0
; COMPUTE_PGM_RSRC2:SCRATCH_EN: 0
; COMPUTE_PGM_RSRC2:USER_SGPR: 2
; COMPUTE_PGM_RSRC2:TRAP_HANDLER: 0
; COMPUTE_PGM_RSRC2:TGID_X_EN: 1
; COMPUTE_PGM_RSRC2:TGID_Y_EN: 0
; COMPUTE_PGM_RSRC2:TGID_Z_EN: 0
; COMPUTE_PGM_RSRC2:TIDIG_COMP_CNT: 0
	.section	.text._ZN7rocprim17ROCPRIM_400000_NS6detail17trampoline_kernelINS0_14default_configENS1_36segmented_radix_sort_config_selectorIhlEEZNS1_25segmented_radix_sort_implIS3_Lb1EPKhPhPKlPlN2at6native12_GLOBAL__N_18offset_tEEE10hipError_tPvRmT1_PNSt15iterator_traitsISK_E10value_typeET2_T3_PNSL_ISQ_E10value_typeET4_jRbjT5_SW_jjP12ihipStream_tbEUlT_E_NS1_11comp_targetILNS1_3genE9ELNS1_11target_archE1100ELNS1_3gpuE3ELNS1_3repE0EEENS1_30default_config_static_selectorELNS0_4arch9wavefront6targetE0EEEvSK_,"axG",@progbits,_ZN7rocprim17ROCPRIM_400000_NS6detail17trampoline_kernelINS0_14default_configENS1_36segmented_radix_sort_config_selectorIhlEEZNS1_25segmented_radix_sort_implIS3_Lb1EPKhPhPKlPlN2at6native12_GLOBAL__N_18offset_tEEE10hipError_tPvRmT1_PNSt15iterator_traitsISK_E10value_typeET2_T3_PNSL_ISQ_E10value_typeET4_jRbjT5_SW_jjP12ihipStream_tbEUlT_E_NS1_11comp_targetILNS1_3genE9ELNS1_11target_archE1100ELNS1_3gpuE3ELNS1_3repE0EEENS1_30default_config_static_selectorELNS0_4arch9wavefront6targetE0EEEvSK_,comdat
	.globl	_ZN7rocprim17ROCPRIM_400000_NS6detail17trampoline_kernelINS0_14default_configENS1_36segmented_radix_sort_config_selectorIhlEEZNS1_25segmented_radix_sort_implIS3_Lb1EPKhPhPKlPlN2at6native12_GLOBAL__N_18offset_tEEE10hipError_tPvRmT1_PNSt15iterator_traitsISK_E10value_typeET2_T3_PNSL_ISQ_E10value_typeET4_jRbjT5_SW_jjP12ihipStream_tbEUlT_E_NS1_11comp_targetILNS1_3genE9ELNS1_11target_archE1100ELNS1_3gpuE3ELNS1_3repE0EEENS1_30default_config_static_selectorELNS0_4arch9wavefront6targetE0EEEvSK_ ; -- Begin function _ZN7rocprim17ROCPRIM_400000_NS6detail17trampoline_kernelINS0_14default_configENS1_36segmented_radix_sort_config_selectorIhlEEZNS1_25segmented_radix_sort_implIS3_Lb1EPKhPhPKlPlN2at6native12_GLOBAL__N_18offset_tEEE10hipError_tPvRmT1_PNSt15iterator_traitsISK_E10value_typeET2_T3_PNSL_ISQ_E10value_typeET4_jRbjT5_SW_jjP12ihipStream_tbEUlT_E_NS1_11comp_targetILNS1_3genE9ELNS1_11target_archE1100ELNS1_3gpuE3ELNS1_3repE0EEENS1_30default_config_static_selectorELNS0_4arch9wavefront6targetE0EEEvSK_
	.p2align	8
	.type	_ZN7rocprim17ROCPRIM_400000_NS6detail17trampoline_kernelINS0_14default_configENS1_36segmented_radix_sort_config_selectorIhlEEZNS1_25segmented_radix_sort_implIS3_Lb1EPKhPhPKlPlN2at6native12_GLOBAL__N_18offset_tEEE10hipError_tPvRmT1_PNSt15iterator_traitsISK_E10value_typeET2_T3_PNSL_ISQ_E10value_typeET4_jRbjT5_SW_jjP12ihipStream_tbEUlT_E_NS1_11comp_targetILNS1_3genE9ELNS1_11target_archE1100ELNS1_3gpuE3ELNS1_3repE0EEENS1_30default_config_static_selectorELNS0_4arch9wavefront6targetE0EEEvSK_,@function
_ZN7rocprim17ROCPRIM_400000_NS6detail17trampoline_kernelINS0_14default_configENS1_36segmented_radix_sort_config_selectorIhlEEZNS1_25segmented_radix_sort_implIS3_Lb1EPKhPhPKlPlN2at6native12_GLOBAL__N_18offset_tEEE10hipError_tPvRmT1_PNSt15iterator_traitsISK_E10value_typeET2_T3_PNSL_ISQ_E10value_typeET4_jRbjT5_SW_jjP12ihipStream_tbEUlT_E_NS1_11comp_targetILNS1_3genE9ELNS1_11target_archE1100ELNS1_3gpuE3ELNS1_3repE0EEENS1_30default_config_static_selectorELNS0_4arch9wavefront6targetE0EEEvSK_: ; @_ZN7rocprim17ROCPRIM_400000_NS6detail17trampoline_kernelINS0_14default_configENS1_36segmented_radix_sort_config_selectorIhlEEZNS1_25segmented_radix_sort_implIS3_Lb1EPKhPhPKlPlN2at6native12_GLOBAL__N_18offset_tEEE10hipError_tPvRmT1_PNSt15iterator_traitsISK_E10value_typeET2_T3_PNSL_ISQ_E10value_typeET4_jRbjT5_SW_jjP12ihipStream_tbEUlT_E_NS1_11comp_targetILNS1_3genE9ELNS1_11target_archE1100ELNS1_3gpuE3ELNS1_3repE0EEENS1_30default_config_static_selectorELNS0_4arch9wavefront6targetE0EEEvSK_
; %bb.0:
	.section	.rodata,"a",@progbits
	.p2align	6, 0x0
	.amdhsa_kernel _ZN7rocprim17ROCPRIM_400000_NS6detail17trampoline_kernelINS0_14default_configENS1_36segmented_radix_sort_config_selectorIhlEEZNS1_25segmented_radix_sort_implIS3_Lb1EPKhPhPKlPlN2at6native12_GLOBAL__N_18offset_tEEE10hipError_tPvRmT1_PNSt15iterator_traitsISK_E10value_typeET2_T3_PNSL_ISQ_E10value_typeET4_jRbjT5_SW_jjP12ihipStream_tbEUlT_E_NS1_11comp_targetILNS1_3genE9ELNS1_11target_archE1100ELNS1_3gpuE3ELNS1_3repE0EEENS1_30default_config_static_selectorELNS0_4arch9wavefront6targetE0EEEvSK_
		.amdhsa_group_segment_fixed_size 0
		.amdhsa_private_segment_fixed_size 0
		.amdhsa_kernarg_size 96
		.amdhsa_user_sgpr_count 2
		.amdhsa_user_sgpr_dispatch_ptr 0
		.amdhsa_user_sgpr_queue_ptr 0
		.amdhsa_user_sgpr_kernarg_segment_ptr 1
		.amdhsa_user_sgpr_dispatch_id 0
		.amdhsa_user_sgpr_private_segment_size 0
		.amdhsa_wavefront_size32 1
		.amdhsa_uses_dynamic_stack 0
		.amdhsa_enable_private_segment 0
		.amdhsa_system_sgpr_workgroup_id_x 1
		.amdhsa_system_sgpr_workgroup_id_y 0
		.amdhsa_system_sgpr_workgroup_id_z 0
		.amdhsa_system_sgpr_workgroup_info 0
		.amdhsa_system_vgpr_workitem_id 0
		.amdhsa_next_free_vgpr 1
		.amdhsa_next_free_sgpr 1
		.amdhsa_reserve_vcc 0
		.amdhsa_float_round_mode_32 0
		.amdhsa_float_round_mode_16_64 0
		.amdhsa_float_denorm_mode_32 3
		.amdhsa_float_denorm_mode_16_64 3
		.amdhsa_fp16_overflow 0
		.amdhsa_workgroup_processor_mode 1
		.amdhsa_memory_ordered 1
		.amdhsa_forward_progress 1
		.amdhsa_inst_pref_size 0
		.amdhsa_round_robin_scheduling 0
		.amdhsa_exception_fp_ieee_invalid_op 0
		.amdhsa_exception_fp_denorm_src 0
		.amdhsa_exception_fp_ieee_div_zero 0
		.amdhsa_exception_fp_ieee_overflow 0
		.amdhsa_exception_fp_ieee_underflow 0
		.amdhsa_exception_fp_ieee_inexact 0
		.amdhsa_exception_int_div_zero 0
	.end_amdhsa_kernel
	.section	.text._ZN7rocprim17ROCPRIM_400000_NS6detail17trampoline_kernelINS0_14default_configENS1_36segmented_radix_sort_config_selectorIhlEEZNS1_25segmented_radix_sort_implIS3_Lb1EPKhPhPKlPlN2at6native12_GLOBAL__N_18offset_tEEE10hipError_tPvRmT1_PNSt15iterator_traitsISK_E10value_typeET2_T3_PNSL_ISQ_E10value_typeET4_jRbjT5_SW_jjP12ihipStream_tbEUlT_E_NS1_11comp_targetILNS1_3genE9ELNS1_11target_archE1100ELNS1_3gpuE3ELNS1_3repE0EEENS1_30default_config_static_selectorELNS0_4arch9wavefront6targetE0EEEvSK_,"axG",@progbits,_ZN7rocprim17ROCPRIM_400000_NS6detail17trampoline_kernelINS0_14default_configENS1_36segmented_radix_sort_config_selectorIhlEEZNS1_25segmented_radix_sort_implIS3_Lb1EPKhPhPKlPlN2at6native12_GLOBAL__N_18offset_tEEE10hipError_tPvRmT1_PNSt15iterator_traitsISK_E10value_typeET2_T3_PNSL_ISQ_E10value_typeET4_jRbjT5_SW_jjP12ihipStream_tbEUlT_E_NS1_11comp_targetILNS1_3genE9ELNS1_11target_archE1100ELNS1_3gpuE3ELNS1_3repE0EEENS1_30default_config_static_selectorELNS0_4arch9wavefront6targetE0EEEvSK_,comdat
.Lfunc_end91:
	.size	_ZN7rocprim17ROCPRIM_400000_NS6detail17trampoline_kernelINS0_14default_configENS1_36segmented_radix_sort_config_selectorIhlEEZNS1_25segmented_radix_sort_implIS3_Lb1EPKhPhPKlPlN2at6native12_GLOBAL__N_18offset_tEEE10hipError_tPvRmT1_PNSt15iterator_traitsISK_E10value_typeET2_T3_PNSL_ISQ_E10value_typeET4_jRbjT5_SW_jjP12ihipStream_tbEUlT_E_NS1_11comp_targetILNS1_3genE9ELNS1_11target_archE1100ELNS1_3gpuE3ELNS1_3repE0EEENS1_30default_config_static_selectorELNS0_4arch9wavefront6targetE0EEEvSK_, .Lfunc_end91-_ZN7rocprim17ROCPRIM_400000_NS6detail17trampoline_kernelINS0_14default_configENS1_36segmented_radix_sort_config_selectorIhlEEZNS1_25segmented_radix_sort_implIS3_Lb1EPKhPhPKlPlN2at6native12_GLOBAL__N_18offset_tEEE10hipError_tPvRmT1_PNSt15iterator_traitsISK_E10value_typeET2_T3_PNSL_ISQ_E10value_typeET4_jRbjT5_SW_jjP12ihipStream_tbEUlT_E_NS1_11comp_targetILNS1_3genE9ELNS1_11target_archE1100ELNS1_3gpuE3ELNS1_3repE0EEENS1_30default_config_static_selectorELNS0_4arch9wavefront6targetE0EEEvSK_
                                        ; -- End function
	.set _ZN7rocprim17ROCPRIM_400000_NS6detail17trampoline_kernelINS0_14default_configENS1_36segmented_radix_sort_config_selectorIhlEEZNS1_25segmented_radix_sort_implIS3_Lb1EPKhPhPKlPlN2at6native12_GLOBAL__N_18offset_tEEE10hipError_tPvRmT1_PNSt15iterator_traitsISK_E10value_typeET2_T3_PNSL_ISQ_E10value_typeET4_jRbjT5_SW_jjP12ihipStream_tbEUlT_E_NS1_11comp_targetILNS1_3genE9ELNS1_11target_archE1100ELNS1_3gpuE3ELNS1_3repE0EEENS1_30default_config_static_selectorELNS0_4arch9wavefront6targetE0EEEvSK_.num_vgpr, 0
	.set _ZN7rocprim17ROCPRIM_400000_NS6detail17trampoline_kernelINS0_14default_configENS1_36segmented_radix_sort_config_selectorIhlEEZNS1_25segmented_radix_sort_implIS3_Lb1EPKhPhPKlPlN2at6native12_GLOBAL__N_18offset_tEEE10hipError_tPvRmT1_PNSt15iterator_traitsISK_E10value_typeET2_T3_PNSL_ISQ_E10value_typeET4_jRbjT5_SW_jjP12ihipStream_tbEUlT_E_NS1_11comp_targetILNS1_3genE9ELNS1_11target_archE1100ELNS1_3gpuE3ELNS1_3repE0EEENS1_30default_config_static_selectorELNS0_4arch9wavefront6targetE0EEEvSK_.num_agpr, 0
	.set _ZN7rocprim17ROCPRIM_400000_NS6detail17trampoline_kernelINS0_14default_configENS1_36segmented_radix_sort_config_selectorIhlEEZNS1_25segmented_radix_sort_implIS3_Lb1EPKhPhPKlPlN2at6native12_GLOBAL__N_18offset_tEEE10hipError_tPvRmT1_PNSt15iterator_traitsISK_E10value_typeET2_T3_PNSL_ISQ_E10value_typeET4_jRbjT5_SW_jjP12ihipStream_tbEUlT_E_NS1_11comp_targetILNS1_3genE9ELNS1_11target_archE1100ELNS1_3gpuE3ELNS1_3repE0EEENS1_30default_config_static_selectorELNS0_4arch9wavefront6targetE0EEEvSK_.numbered_sgpr, 0
	.set _ZN7rocprim17ROCPRIM_400000_NS6detail17trampoline_kernelINS0_14default_configENS1_36segmented_radix_sort_config_selectorIhlEEZNS1_25segmented_radix_sort_implIS3_Lb1EPKhPhPKlPlN2at6native12_GLOBAL__N_18offset_tEEE10hipError_tPvRmT1_PNSt15iterator_traitsISK_E10value_typeET2_T3_PNSL_ISQ_E10value_typeET4_jRbjT5_SW_jjP12ihipStream_tbEUlT_E_NS1_11comp_targetILNS1_3genE9ELNS1_11target_archE1100ELNS1_3gpuE3ELNS1_3repE0EEENS1_30default_config_static_selectorELNS0_4arch9wavefront6targetE0EEEvSK_.num_named_barrier, 0
	.set _ZN7rocprim17ROCPRIM_400000_NS6detail17trampoline_kernelINS0_14default_configENS1_36segmented_radix_sort_config_selectorIhlEEZNS1_25segmented_radix_sort_implIS3_Lb1EPKhPhPKlPlN2at6native12_GLOBAL__N_18offset_tEEE10hipError_tPvRmT1_PNSt15iterator_traitsISK_E10value_typeET2_T3_PNSL_ISQ_E10value_typeET4_jRbjT5_SW_jjP12ihipStream_tbEUlT_E_NS1_11comp_targetILNS1_3genE9ELNS1_11target_archE1100ELNS1_3gpuE3ELNS1_3repE0EEENS1_30default_config_static_selectorELNS0_4arch9wavefront6targetE0EEEvSK_.private_seg_size, 0
	.set _ZN7rocprim17ROCPRIM_400000_NS6detail17trampoline_kernelINS0_14default_configENS1_36segmented_radix_sort_config_selectorIhlEEZNS1_25segmented_radix_sort_implIS3_Lb1EPKhPhPKlPlN2at6native12_GLOBAL__N_18offset_tEEE10hipError_tPvRmT1_PNSt15iterator_traitsISK_E10value_typeET2_T3_PNSL_ISQ_E10value_typeET4_jRbjT5_SW_jjP12ihipStream_tbEUlT_E_NS1_11comp_targetILNS1_3genE9ELNS1_11target_archE1100ELNS1_3gpuE3ELNS1_3repE0EEENS1_30default_config_static_selectorELNS0_4arch9wavefront6targetE0EEEvSK_.uses_vcc, 0
	.set _ZN7rocprim17ROCPRIM_400000_NS6detail17trampoline_kernelINS0_14default_configENS1_36segmented_radix_sort_config_selectorIhlEEZNS1_25segmented_radix_sort_implIS3_Lb1EPKhPhPKlPlN2at6native12_GLOBAL__N_18offset_tEEE10hipError_tPvRmT1_PNSt15iterator_traitsISK_E10value_typeET2_T3_PNSL_ISQ_E10value_typeET4_jRbjT5_SW_jjP12ihipStream_tbEUlT_E_NS1_11comp_targetILNS1_3genE9ELNS1_11target_archE1100ELNS1_3gpuE3ELNS1_3repE0EEENS1_30default_config_static_selectorELNS0_4arch9wavefront6targetE0EEEvSK_.uses_flat_scratch, 0
	.set _ZN7rocprim17ROCPRIM_400000_NS6detail17trampoline_kernelINS0_14default_configENS1_36segmented_radix_sort_config_selectorIhlEEZNS1_25segmented_radix_sort_implIS3_Lb1EPKhPhPKlPlN2at6native12_GLOBAL__N_18offset_tEEE10hipError_tPvRmT1_PNSt15iterator_traitsISK_E10value_typeET2_T3_PNSL_ISQ_E10value_typeET4_jRbjT5_SW_jjP12ihipStream_tbEUlT_E_NS1_11comp_targetILNS1_3genE9ELNS1_11target_archE1100ELNS1_3gpuE3ELNS1_3repE0EEENS1_30default_config_static_selectorELNS0_4arch9wavefront6targetE0EEEvSK_.has_dyn_sized_stack, 0
	.set _ZN7rocprim17ROCPRIM_400000_NS6detail17trampoline_kernelINS0_14default_configENS1_36segmented_radix_sort_config_selectorIhlEEZNS1_25segmented_radix_sort_implIS3_Lb1EPKhPhPKlPlN2at6native12_GLOBAL__N_18offset_tEEE10hipError_tPvRmT1_PNSt15iterator_traitsISK_E10value_typeET2_T3_PNSL_ISQ_E10value_typeET4_jRbjT5_SW_jjP12ihipStream_tbEUlT_E_NS1_11comp_targetILNS1_3genE9ELNS1_11target_archE1100ELNS1_3gpuE3ELNS1_3repE0EEENS1_30default_config_static_selectorELNS0_4arch9wavefront6targetE0EEEvSK_.has_recursion, 0
	.set _ZN7rocprim17ROCPRIM_400000_NS6detail17trampoline_kernelINS0_14default_configENS1_36segmented_radix_sort_config_selectorIhlEEZNS1_25segmented_radix_sort_implIS3_Lb1EPKhPhPKlPlN2at6native12_GLOBAL__N_18offset_tEEE10hipError_tPvRmT1_PNSt15iterator_traitsISK_E10value_typeET2_T3_PNSL_ISQ_E10value_typeET4_jRbjT5_SW_jjP12ihipStream_tbEUlT_E_NS1_11comp_targetILNS1_3genE9ELNS1_11target_archE1100ELNS1_3gpuE3ELNS1_3repE0EEENS1_30default_config_static_selectorELNS0_4arch9wavefront6targetE0EEEvSK_.has_indirect_call, 0
	.section	.AMDGPU.csdata,"",@progbits
; Kernel info:
; codeLenInByte = 0
; TotalNumSgprs: 0
; NumVgprs: 0
; ScratchSize: 0
; MemoryBound: 0
; FloatMode: 240
; IeeeMode: 1
; LDSByteSize: 0 bytes/workgroup (compile time only)
; SGPRBlocks: 0
; VGPRBlocks: 0
; NumSGPRsForWavesPerEU: 1
; NumVGPRsForWavesPerEU: 1
; Occupancy: 16
; WaveLimiterHint : 0
; COMPUTE_PGM_RSRC2:SCRATCH_EN: 0
; COMPUTE_PGM_RSRC2:USER_SGPR: 2
; COMPUTE_PGM_RSRC2:TRAP_HANDLER: 0
; COMPUTE_PGM_RSRC2:TGID_X_EN: 1
; COMPUTE_PGM_RSRC2:TGID_Y_EN: 0
; COMPUTE_PGM_RSRC2:TGID_Z_EN: 0
; COMPUTE_PGM_RSRC2:TIDIG_COMP_CNT: 0
	.section	.text._ZN7rocprim17ROCPRIM_400000_NS6detail17trampoline_kernelINS0_14default_configENS1_36segmented_radix_sort_config_selectorIhlEEZNS1_25segmented_radix_sort_implIS3_Lb1EPKhPhPKlPlN2at6native12_GLOBAL__N_18offset_tEEE10hipError_tPvRmT1_PNSt15iterator_traitsISK_E10value_typeET2_T3_PNSL_ISQ_E10value_typeET4_jRbjT5_SW_jjP12ihipStream_tbEUlT_E_NS1_11comp_targetILNS1_3genE8ELNS1_11target_archE1030ELNS1_3gpuE2ELNS1_3repE0EEENS1_30default_config_static_selectorELNS0_4arch9wavefront6targetE0EEEvSK_,"axG",@progbits,_ZN7rocprim17ROCPRIM_400000_NS6detail17trampoline_kernelINS0_14default_configENS1_36segmented_radix_sort_config_selectorIhlEEZNS1_25segmented_radix_sort_implIS3_Lb1EPKhPhPKlPlN2at6native12_GLOBAL__N_18offset_tEEE10hipError_tPvRmT1_PNSt15iterator_traitsISK_E10value_typeET2_T3_PNSL_ISQ_E10value_typeET4_jRbjT5_SW_jjP12ihipStream_tbEUlT_E_NS1_11comp_targetILNS1_3genE8ELNS1_11target_archE1030ELNS1_3gpuE2ELNS1_3repE0EEENS1_30default_config_static_selectorELNS0_4arch9wavefront6targetE0EEEvSK_,comdat
	.globl	_ZN7rocprim17ROCPRIM_400000_NS6detail17trampoline_kernelINS0_14default_configENS1_36segmented_radix_sort_config_selectorIhlEEZNS1_25segmented_radix_sort_implIS3_Lb1EPKhPhPKlPlN2at6native12_GLOBAL__N_18offset_tEEE10hipError_tPvRmT1_PNSt15iterator_traitsISK_E10value_typeET2_T3_PNSL_ISQ_E10value_typeET4_jRbjT5_SW_jjP12ihipStream_tbEUlT_E_NS1_11comp_targetILNS1_3genE8ELNS1_11target_archE1030ELNS1_3gpuE2ELNS1_3repE0EEENS1_30default_config_static_selectorELNS0_4arch9wavefront6targetE0EEEvSK_ ; -- Begin function _ZN7rocprim17ROCPRIM_400000_NS6detail17trampoline_kernelINS0_14default_configENS1_36segmented_radix_sort_config_selectorIhlEEZNS1_25segmented_radix_sort_implIS3_Lb1EPKhPhPKlPlN2at6native12_GLOBAL__N_18offset_tEEE10hipError_tPvRmT1_PNSt15iterator_traitsISK_E10value_typeET2_T3_PNSL_ISQ_E10value_typeET4_jRbjT5_SW_jjP12ihipStream_tbEUlT_E_NS1_11comp_targetILNS1_3genE8ELNS1_11target_archE1030ELNS1_3gpuE2ELNS1_3repE0EEENS1_30default_config_static_selectorELNS0_4arch9wavefront6targetE0EEEvSK_
	.p2align	8
	.type	_ZN7rocprim17ROCPRIM_400000_NS6detail17trampoline_kernelINS0_14default_configENS1_36segmented_radix_sort_config_selectorIhlEEZNS1_25segmented_radix_sort_implIS3_Lb1EPKhPhPKlPlN2at6native12_GLOBAL__N_18offset_tEEE10hipError_tPvRmT1_PNSt15iterator_traitsISK_E10value_typeET2_T3_PNSL_ISQ_E10value_typeET4_jRbjT5_SW_jjP12ihipStream_tbEUlT_E_NS1_11comp_targetILNS1_3genE8ELNS1_11target_archE1030ELNS1_3gpuE2ELNS1_3repE0EEENS1_30default_config_static_selectorELNS0_4arch9wavefront6targetE0EEEvSK_,@function
_ZN7rocprim17ROCPRIM_400000_NS6detail17trampoline_kernelINS0_14default_configENS1_36segmented_radix_sort_config_selectorIhlEEZNS1_25segmented_radix_sort_implIS3_Lb1EPKhPhPKlPlN2at6native12_GLOBAL__N_18offset_tEEE10hipError_tPvRmT1_PNSt15iterator_traitsISK_E10value_typeET2_T3_PNSL_ISQ_E10value_typeET4_jRbjT5_SW_jjP12ihipStream_tbEUlT_E_NS1_11comp_targetILNS1_3genE8ELNS1_11target_archE1030ELNS1_3gpuE2ELNS1_3repE0EEENS1_30default_config_static_selectorELNS0_4arch9wavefront6targetE0EEEvSK_: ; @_ZN7rocprim17ROCPRIM_400000_NS6detail17trampoline_kernelINS0_14default_configENS1_36segmented_radix_sort_config_selectorIhlEEZNS1_25segmented_radix_sort_implIS3_Lb1EPKhPhPKlPlN2at6native12_GLOBAL__N_18offset_tEEE10hipError_tPvRmT1_PNSt15iterator_traitsISK_E10value_typeET2_T3_PNSL_ISQ_E10value_typeET4_jRbjT5_SW_jjP12ihipStream_tbEUlT_E_NS1_11comp_targetILNS1_3genE8ELNS1_11target_archE1030ELNS1_3gpuE2ELNS1_3repE0EEENS1_30default_config_static_selectorELNS0_4arch9wavefront6targetE0EEEvSK_
; %bb.0:
	.section	.rodata,"a",@progbits
	.p2align	6, 0x0
	.amdhsa_kernel _ZN7rocprim17ROCPRIM_400000_NS6detail17trampoline_kernelINS0_14default_configENS1_36segmented_radix_sort_config_selectorIhlEEZNS1_25segmented_radix_sort_implIS3_Lb1EPKhPhPKlPlN2at6native12_GLOBAL__N_18offset_tEEE10hipError_tPvRmT1_PNSt15iterator_traitsISK_E10value_typeET2_T3_PNSL_ISQ_E10value_typeET4_jRbjT5_SW_jjP12ihipStream_tbEUlT_E_NS1_11comp_targetILNS1_3genE8ELNS1_11target_archE1030ELNS1_3gpuE2ELNS1_3repE0EEENS1_30default_config_static_selectorELNS0_4arch9wavefront6targetE0EEEvSK_
		.amdhsa_group_segment_fixed_size 0
		.amdhsa_private_segment_fixed_size 0
		.amdhsa_kernarg_size 96
		.amdhsa_user_sgpr_count 2
		.amdhsa_user_sgpr_dispatch_ptr 0
		.amdhsa_user_sgpr_queue_ptr 0
		.amdhsa_user_sgpr_kernarg_segment_ptr 1
		.amdhsa_user_sgpr_dispatch_id 0
		.amdhsa_user_sgpr_private_segment_size 0
		.amdhsa_wavefront_size32 1
		.amdhsa_uses_dynamic_stack 0
		.amdhsa_enable_private_segment 0
		.amdhsa_system_sgpr_workgroup_id_x 1
		.amdhsa_system_sgpr_workgroup_id_y 0
		.amdhsa_system_sgpr_workgroup_id_z 0
		.amdhsa_system_sgpr_workgroup_info 0
		.amdhsa_system_vgpr_workitem_id 0
		.amdhsa_next_free_vgpr 1
		.amdhsa_next_free_sgpr 1
		.amdhsa_reserve_vcc 0
		.amdhsa_float_round_mode_32 0
		.amdhsa_float_round_mode_16_64 0
		.amdhsa_float_denorm_mode_32 3
		.amdhsa_float_denorm_mode_16_64 3
		.amdhsa_fp16_overflow 0
		.amdhsa_workgroup_processor_mode 1
		.amdhsa_memory_ordered 1
		.amdhsa_forward_progress 1
		.amdhsa_inst_pref_size 0
		.amdhsa_round_robin_scheduling 0
		.amdhsa_exception_fp_ieee_invalid_op 0
		.amdhsa_exception_fp_denorm_src 0
		.amdhsa_exception_fp_ieee_div_zero 0
		.amdhsa_exception_fp_ieee_overflow 0
		.amdhsa_exception_fp_ieee_underflow 0
		.amdhsa_exception_fp_ieee_inexact 0
		.amdhsa_exception_int_div_zero 0
	.end_amdhsa_kernel
	.section	.text._ZN7rocprim17ROCPRIM_400000_NS6detail17trampoline_kernelINS0_14default_configENS1_36segmented_radix_sort_config_selectorIhlEEZNS1_25segmented_radix_sort_implIS3_Lb1EPKhPhPKlPlN2at6native12_GLOBAL__N_18offset_tEEE10hipError_tPvRmT1_PNSt15iterator_traitsISK_E10value_typeET2_T3_PNSL_ISQ_E10value_typeET4_jRbjT5_SW_jjP12ihipStream_tbEUlT_E_NS1_11comp_targetILNS1_3genE8ELNS1_11target_archE1030ELNS1_3gpuE2ELNS1_3repE0EEENS1_30default_config_static_selectorELNS0_4arch9wavefront6targetE0EEEvSK_,"axG",@progbits,_ZN7rocprim17ROCPRIM_400000_NS6detail17trampoline_kernelINS0_14default_configENS1_36segmented_radix_sort_config_selectorIhlEEZNS1_25segmented_radix_sort_implIS3_Lb1EPKhPhPKlPlN2at6native12_GLOBAL__N_18offset_tEEE10hipError_tPvRmT1_PNSt15iterator_traitsISK_E10value_typeET2_T3_PNSL_ISQ_E10value_typeET4_jRbjT5_SW_jjP12ihipStream_tbEUlT_E_NS1_11comp_targetILNS1_3genE8ELNS1_11target_archE1030ELNS1_3gpuE2ELNS1_3repE0EEENS1_30default_config_static_selectorELNS0_4arch9wavefront6targetE0EEEvSK_,comdat
.Lfunc_end92:
	.size	_ZN7rocprim17ROCPRIM_400000_NS6detail17trampoline_kernelINS0_14default_configENS1_36segmented_radix_sort_config_selectorIhlEEZNS1_25segmented_radix_sort_implIS3_Lb1EPKhPhPKlPlN2at6native12_GLOBAL__N_18offset_tEEE10hipError_tPvRmT1_PNSt15iterator_traitsISK_E10value_typeET2_T3_PNSL_ISQ_E10value_typeET4_jRbjT5_SW_jjP12ihipStream_tbEUlT_E_NS1_11comp_targetILNS1_3genE8ELNS1_11target_archE1030ELNS1_3gpuE2ELNS1_3repE0EEENS1_30default_config_static_selectorELNS0_4arch9wavefront6targetE0EEEvSK_, .Lfunc_end92-_ZN7rocprim17ROCPRIM_400000_NS6detail17trampoline_kernelINS0_14default_configENS1_36segmented_radix_sort_config_selectorIhlEEZNS1_25segmented_radix_sort_implIS3_Lb1EPKhPhPKlPlN2at6native12_GLOBAL__N_18offset_tEEE10hipError_tPvRmT1_PNSt15iterator_traitsISK_E10value_typeET2_T3_PNSL_ISQ_E10value_typeET4_jRbjT5_SW_jjP12ihipStream_tbEUlT_E_NS1_11comp_targetILNS1_3genE8ELNS1_11target_archE1030ELNS1_3gpuE2ELNS1_3repE0EEENS1_30default_config_static_selectorELNS0_4arch9wavefront6targetE0EEEvSK_
                                        ; -- End function
	.set _ZN7rocprim17ROCPRIM_400000_NS6detail17trampoline_kernelINS0_14default_configENS1_36segmented_radix_sort_config_selectorIhlEEZNS1_25segmented_radix_sort_implIS3_Lb1EPKhPhPKlPlN2at6native12_GLOBAL__N_18offset_tEEE10hipError_tPvRmT1_PNSt15iterator_traitsISK_E10value_typeET2_T3_PNSL_ISQ_E10value_typeET4_jRbjT5_SW_jjP12ihipStream_tbEUlT_E_NS1_11comp_targetILNS1_3genE8ELNS1_11target_archE1030ELNS1_3gpuE2ELNS1_3repE0EEENS1_30default_config_static_selectorELNS0_4arch9wavefront6targetE0EEEvSK_.num_vgpr, 0
	.set _ZN7rocprim17ROCPRIM_400000_NS6detail17trampoline_kernelINS0_14default_configENS1_36segmented_radix_sort_config_selectorIhlEEZNS1_25segmented_radix_sort_implIS3_Lb1EPKhPhPKlPlN2at6native12_GLOBAL__N_18offset_tEEE10hipError_tPvRmT1_PNSt15iterator_traitsISK_E10value_typeET2_T3_PNSL_ISQ_E10value_typeET4_jRbjT5_SW_jjP12ihipStream_tbEUlT_E_NS1_11comp_targetILNS1_3genE8ELNS1_11target_archE1030ELNS1_3gpuE2ELNS1_3repE0EEENS1_30default_config_static_selectorELNS0_4arch9wavefront6targetE0EEEvSK_.num_agpr, 0
	.set _ZN7rocprim17ROCPRIM_400000_NS6detail17trampoline_kernelINS0_14default_configENS1_36segmented_radix_sort_config_selectorIhlEEZNS1_25segmented_radix_sort_implIS3_Lb1EPKhPhPKlPlN2at6native12_GLOBAL__N_18offset_tEEE10hipError_tPvRmT1_PNSt15iterator_traitsISK_E10value_typeET2_T3_PNSL_ISQ_E10value_typeET4_jRbjT5_SW_jjP12ihipStream_tbEUlT_E_NS1_11comp_targetILNS1_3genE8ELNS1_11target_archE1030ELNS1_3gpuE2ELNS1_3repE0EEENS1_30default_config_static_selectorELNS0_4arch9wavefront6targetE0EEEvSK_.numbered_sgpr, 0
	.set _ZN7rocprim17ROCPRIM_400000_NS6detail17trampoline_kernelINS0_14default_configENS1_36segmented_radix_sort_config_selectorIhlEEZNS1_25segmented_radix_sort_implIS3_Lb1EPKhPhPKlPlN2at6native12_GLOBAL__N_18offset_tEEE10hipError_tPvRmT1_PNSt15iterator_traitsISK_E10value_typeET2_T3_PNSL_ISQ_E10value_typeET4_jRbjT5_SW_jjP12ihipStream_tbEUlT_E_NS1_11comp_targetILNS1_3genE8ELNS1_11target_archE1030ELNS1_3gpuE2ELNS1_3repE0EEENS1_30default_config_static_selectorELNS0_4arch9wavefront6targetE0EEEvSK_.num_named_barrier, 0
	.set _ZN7rocprim17ROCPRIM_400000_NS6detail17trampoline_kernelINS0_14default_configENS1_36segmented_radix_sort_config_selectorIhlEEZNS1_25segmented_radix_sort_implIS3_Lb1EPKhPhPKlPlN2at6native12_GLOBAL__N_18offset_tEEE10hipError_tPvRmT1_PNSt15iterator_traitsISK_E10value_typeET2_T3_PNSL_ISQ_E10value_typeET4_jRbjT5_SW_jjP12ihipStream_tbEUlT_E_NS1_11comp_targetILNS1_3genE8ELNS1_11target_archE1030ELNS1_3gpuE2ELNS1_3repE0EEENS1_30default_config_static_selectorELNS0_4arch9wavefront6targetE0EEEvSK_.private_seg_size, 0
	.set _ZN7rocprim17ROCPRIM_400000_NS6detail17trampoline_kernelINS0_14default_configENS1_36segmented_radix_sort_config_selectorIhlEEZNS1_25segmented_radix_sort_implIS3_Lb1EPKhPhPKlPlN2at6native12_GLOBAL__N_18offset_tEEE10hipError_tPvRmT1_PNSt15iterator_traitsISK_E10value_typeET2_T3_PNSL_ISQ_E10value_typeET4_jRbjT5_SW_jjP12ihipStream_tbEUlT_E_NS1_11comp_targetILNS1_3genE8ELNS1_11target_archE1030ELNS1_3gpuE2ELNS1_3repE0EEENS1_30default_config_static_selectorELNS0_4arch9wavefront6targetE0EEEvSK_.uses_vcc, 0
	.set _ZN7rocprim17ROCPRIM_400000_NS6detail17trampoline_kernelINS0_14default_configENS1_36segmented_radix_sort_config_selectorIhlEEZNS1_25segmented_radix_sort_implIS3_Lb1EPKhPhPKlPlN2at6native12_GLOBAL__N_18offset_tEEE10hipError_tPvRmT1_PNSt15iterator_traitsISK_E10value_typeET2_T3_PNSL_ISQ_E10value_typeET4_jRbjT5_SW_jjP12ihipStream_tbEUlT_E_NS1_11comp_targetILNS1_3genE8ELNS1_11target_archE1030ELNS1_3gpuE2ELNS1_3repE0EEENS1_30default_config_static_selectorELNS0_4arch9wavefront6targetE0EEEvSK_.uses_flat_scratch, 0
	.set _ZN7rocprim17ROCPRIM_400000_NS6detail17trampoline_kernelINS0_14default_configENS1_36segmented_radix_sort_config_selectorIhlEEZNS1_25segmented_radix_sort_implIS3_Lb1EPKhPhPKlPlN2at6native12_GLOBAL__N_18offset_tEEE10hipError_tPvRmT1_PNSt15iterator_traitsISK_E10value_typeET2_T3_PNSL_ISQ_E10value_typeET4_jRbjT5_SW_jjP12ihipStream_tbEUlT_E_NS1_11comp_targetILNS1_3genE8ELNS1_11target_archE1030ELNS1_3gpuE2ELNS1_3repE0EEENS1_30default_config_static_selectorELNS0_4arch9wavefront6targetE0EEEvSK_.has_dyn_sized_stack, 0
	.set _ZN7rocprim17ROCPRIM_400000_NS6detail17trampoline_kernelINS0_14default_configENS1_36segmented_radix_sort_config_selectorIhlEEZNS1_25segmented_radix_sort_implIS3_Lb1EPKhPhPKlPlN2at6native12_GLOBAL__N_18offset_tEEE10hipError_tPvRmT1_PNSt15iterator_traitsISK_E10value_typeET2_T3_PNSL_ISQ_E10value_typeET4_jRbjT5_SW_jjP12ihipStream_tbEUlT_E_NS1_11comp_targetILNS1_3genE8ELNS1_11target_archE1030ELNS1_3gpuE2ELNS1_3repE0EEENS1_30default_config_static_selectorELNS0_4arch9wavefront6targetE0EEEvSK_.has_recursion, 0
	.set _ZN7rocprim17ROCPRIM_400000_NS6detail17trampoline_kernelINS0_14default_configENS1_36segmented_radix_sort_config_selectorIhlEEZNS1_25segmented_radix_sort_implIS3_Lb1EPKhPhPKlPlN2at6native12_GLOBAL__N_18offset_tEEE10hipError_tPvRmT1_PNSt15iterator_traitsISK_E10value_typeET2_T3_PNSL_ISQ_E10value_typeET4_jRbjT5_SW_jjP12ihipStream_tbEUlT_E_NS1_11comp_targetILNS1_3genE8ELNS1_11target_archE1030ELNS1_3gpuE2ELNS1_3repE0EEENS1_30default_config_static_selectorELNS0_4arch9wavefront6targetE0EEEvSK_.has_indirect_call, 0
	.section	.AMDGPU.csdata,"",@progbits
; Kernel info:
; codeLenInByte = 0
; TotalNumSgprs: 0
; NumVgprs: 0
; ScratchSize: 0
; MemoryBound: 0
; FloatMode: 240
; IeeeMode: 1
; LDSByteSize: 0 bytes/workgroup (compile time only)
; SGPRBlocks: 0
; VGPRBlocks: 0
; NumSGPRsForWavesPerEU: 1
; NumVGPRsForWavesPerEU: 1
; Occupancy: 16
; WaveLimiterHint : 0
; COMPUTE_PGM_RSRC2:SCRATCH_EN: 0
; COMPUTE_PGM_RSRC2:USER_SGPR: 2
; COMPUTE_PGM_RSRC2:TRAP_HANDLER: 0
; COMPUTE_PGM_RSRC2:TGID_X_EN: 1
; COMPUTE_PGM_RSRC2:TGID_Y_EN: 0
; COMPUTE_PGM_RSRC2:TGID_Z_EN: 0
; COMPUTE_PGM_RSRC2:TIDIG_COMP_CNT: 0
	.section	.text._ZN7rocprim17ROCPRIM_400000_NS6detail17trampoline_kernelINS0_14default_configENS1_36segmented_radix_sort_config_selectorIhlEEZNS1_25segmented_radix_sort_implIS3_Lb1EPKhPhPKlPlN2at6native12_GLOBAL__N_18offset_tEEE10hipError_tPvRmT1_PNSt15iterator_traitsISK_E10value_typeET2_T3_PNSL_ISQ_E10value_typeET4_jRbjT5_SW_jjP12ihipStream_tbEUlT_E0_NS1_11comp_targetILNS1_3genE0ELNS1_11target_archE4294967295ELNS1_3gpuE0ELNS1_3repE0EEENS1_60segmented_radix_sort_warp_sort_medium_config_static_selectorELNS0_4arch9wavefront6targetE0EEEvSK_,"axG",@progbits,_ZN7rocprim17ROCPRIM_400000_NS6detail17trampoline_kernelINS0_14default_configENS1_36segmented_radix_sort_config_selectorIhlEEZNS1_25segmented_radix_sort_implIS3_Lb1EPKhPhPKlPlN2at6native12_GLOBAL__N_18offset_tEEE10hipError_tPvRmT1_PNSt15iterator_traitsISK_E10value_typeET2_T3_PNSL_ISQ_E10value_typeET4_jRbjT5_SW_jjP12ihipStream_tbEUlT_E0_NS1_11comp_targetILNS1_3genE0ELNS1_11target_archE4294967295ELNS1_3gpuE0ELNS1_3repE0EEENS1_60segmented_radix_sort_warp_sort_medium_config_static_selectorELNS0_4arch9wavefront6targetE0EEEvSK_,comdat
	.globl	_ZN7rocprim17ROCPRIM_400000_NS6detail17trampoline_kernelINS0_14default_configENS1_36segmented_radix_sort_config_selectorIhlEEZNS1_25segmented_radix_sort_implIS3_Lb1EPKhPhPKlPlN2at6native12_GLOBAL__N_18offset_tEEE10hipError_tPvRmT1_PNSt15iterator_traitsISK_E10value_typeET2_T3_PNSL_ISQ_E10value_typeET4_jRbjT5_SW_jjP12ihipStream_tbEUlT_E0_NS1_11comp_targetILNS1_3genE0ELNS1_11target_archE4294967295ELNS1_3gpuE0ELNS1_3repE0EEENS1_60segmented_radix_sort_warp_sort_medium_config_static_selectorELNS0_4arch9wavefront6targetE0EEEvSK_ ; -- Begin function _ZN7rocprim17ROCPRIM_400000_NS6detail17trampoline_kernelINS0_14default_configENS1_36segmented_radix_sort_config_selectorIhlEEZNS1_25segmented_radix_sort_implIS3_Lb1EPKhPhPKlPlN2at6native12_GLOBAL__N_18offset_tEEE10hipError_tPvRmT1_PNSt15iterator_traitsISK_E10value_typeET2_T3_PNSL_ISQ_E10value_typeET4_jRbjT5_SW_jjP12ihipStream_tbEUlT_E0_NS1_11comp_targetILNS1_3genE0ELNS1_11target_archE4294967295ELNS1_3gpuE0ELNS1_3repE0EEENS1_60segmented_radix_sort_warp_sort_medium_config_static_selectorELNS0_4arch9wavefront6targetE0EEEvSK_
	.p2align	8
	.type	_ZN7rocprim17ROCPRIM_400000_NS6detail17trampoline_kernelINS0_14default_configENS1_36segmented_radix_sort_config_selectorIhlEEZNS1_25segmented_radix_sort_implIS3_Lb1EPKhPhPKlPlN2at6native12_GLOBAL__N_18offset_tEEE10hipError_tPvRmT1_PNSt15iterator_traitsISK_E10value_typeET2_T3_PNSL_ISQ_E10value_typeET4_jRbjT5_SW_jjP12ihipStream_tbEUlT_E0_NS1_11comp_targetILNS1_3genE0ELNS1_11target_archE4294967295ELNS1_3gpuE0ELNS1_3repE0EEENS1_60segmented_radix_sort_warp_sort_medium_config_static_selectorELNS0_4arch9wavefront6targetE0EEEvSK_,@function
_ZN7rocprim17ROCPRIM_400000_NS6detail17trampoline_kernelINS0_14default_configENS1_36segmented_radix_sort_config_selectorIhlEEZNS1_25segmented_radix_sort_implIS3_Lb1EPKhPhPKlPlN2at6native12_GLOBAL__N_18offset_tEEE10hipError_tPvRmT1_PNSt15iterator_traitsISK_E10value_typeET2_T3_PNSL_ISQ_E10value_typeET4_jRbjT5_SW_jjP12ihipStream_tbEUlT_E0_NS1_11comp_targetILNS1_3genE0ELNS1_11target_archE4294967295ELNS1_3gpuE0ELNS1_3repE0EEENS1_60segmented_radix_sort_warp_sort_medium_config_static_selectorELNS0_4arch9wavefront6targetE0EEEvSK_: ; @_ZN7rocprim17ROCPRIM_400000_NS6detail17trampoline_kernelINS0_14default_configENS1_36segmented_radix_sort_config_selectorIhlEEZNS1_25segmented_radix_sort_implIS3_Lb1EPKhPhPKlPlN2at6native12_GLOBAL__N_18offset_tEEE10hipError_tPvRmT1_PNSt15iterator_traitsISK_E10value_typeET2_T3_PNSL_ISQ_E10value_typeET4_jRbjT5_SW_jjP12ihipStream_tbEUlT_E0_NS1_11comp_targetILNS1_3genE0ELNS1_11target_archE4294967295ELNS1_3gpuE0ELNS1_3repE0EEENS1_60segmented_radix_sort_warp_sort_medium_config_static_selectorELNS0_4arch9wavefront6targetE0EEEvSK_
; %bb.0:
	.section	.rodata,"a",@progbits
	.p2align	6, 0x0
	.amdhsa_kernel _ZN7rocprim17ROCPRIM_400000_NS6detail17trampoline_kernelINS0_14default_configENS1_36segmented_radix_sort_config_selectorIhlEEZNS1_25segmented_radix_sort_implIS3_Lb1EPKhPhPKlPlN2at6native12_GLOBAL__N_18offset_tEEE10hipError_tPvRmT1_PNSt15iterator_traitsISK_E10value_typeET2_T3_PNSL_ISQ_E10value_typeET4_jRbjT5_SW_jjP12ihipStream_tbEUlT_E0_NS1_11comp_targetILNS1_3genE0ELNS1_11target_archE4294967295ELNS1_3gpuE0ELNS1_3repE0EEENS1_60segmented_radix_sort_warp_sort_medium_config_static_selectorELNS0_4arch9wavefront6targetE0EEEvSK_
		.amdhsa_group_segment_fixed_size 0
		.amdhsa_private_segment_fixed_size 0
		.amdhsa_kernarg_size 88
		.amdhsa_user_sgpr_count 2
		.amdhsa_user_sgpr_dispatch_ptr 0
		.amdhsa_user_sgpr_queue_ptr 0
		.amdhsa_user_sgpr_kernarg_segment_ptr 1
		.amdhsa_user_sgpr_dispatch_id 0
		.amdhsa_user_sgpr_private_segment_size 0
		.amdhsa_wavefront_size32 1
		.amdhsa_uses_dynamic_stack 0
		.amdhsa_enable_private_segment 0
		.amdhsa_system_sgpr_workgroup_id_x 1
		.amdhsa_system_sgpr_workgroup_id_y 0
		.amdhsa_system_sgpr_workgroup_id_z 0
		.amdhsa_system_sgpr_workgroup_info 0
		.amdhsa_system_vgpr_workitem_id 0
		.amdhsa_next_free_vgpr 1
		.amdhsa_next_free_sgpr 1
		.amdhsa_reserve_vcc 0
		.amdhsa_float_round_mode_32 0
		.amdhsa_float_round_mode_16_64 0
		.amdhsa_float_denorm_mode_32 3
		.amdhsa_float_denorm_mode_16_64 3
		.amdhsa_fp16_overflow 0
		.amdhsa_workgroup_processor_mode 1
		.amdhsa_memory_ordered 1
		.amdhsa_forward_progress 1
		.amdhsa_inst_pref_size 0
		.amdhsa_round_robin_scheduling 0
		.amdhsa_exception_fp_ieee_invalid_op 0
		.amdhsa_exception_fp_denorm_src 0
		.amdhsa_exception_fp_ieee_div_zero 0
		.amdhsa_exception_fp_ieee_overflow 0
		.amdhsa_exception_fp_ieee_underflow 0
		.amdhsa_exception_fp_ieee_inexact 0
		.amdhsa_exception_int_div_zero 0
	.end_amdhsa_kernel
	.section	.text._ZN7rocprim17ROCPRIM_400000_NS6detail17trampoline_kernelINS0_14default_configENS1_36segmented_radix_sort_config_selectorIhlEEZNS1_25segmented_radix_sort_implIS3_Lb1EPKhPhPKlPlN2at6native12_GLOBAL__N_18offset_tEEE10hipError_tPvRmT1_PNSt15iterator_traitsISK_E10value_typeET2_T3_PNSL_ISQ_E10value_typeET4_jRbjT5_SW_jjP12ihipStream_tbEUlT_E0_NS1_11comp_targetILNS1_3genE0ELNS1_11target_archE4294967295ELNS1_3gpuE0ELNS1_3repE0EEENS1_60segmented_radix_sort_warp_sort_medium_config_static_selectorELNS0_4arch9wavefront6targetE0EEEvSK_,"axG",@progbits,_ZN7rocprim17ROCPRIM_400000_NS6detail17trampoline_kernelINS0_14default_configENS1_36segmented_radix_sort_config_selectorIhlEEZNS1_25segmented_radix_sort_implIS3_Lb1EPKhPhPKlPlN2at6native12_GLOBAL__N_18offset_tEEE10hipError_tPvRmT1_PNSt15iterator_traitsISK_E10value_typeET2_T3_PNSL_ISQ_E10value_typeET4_jRbjT5_SW_jjP12ihipStream_tbEUlT_E0_NS1_11comp_targetILNS1_3genE0ELNS1_11target_archE4294967295ELNS1_3gpuE0ELNS1_3repE0EEENS1_60segmented_radix_sort_warp_sort_medium_config_static_selectorELNS0_4arch9wavefront6targetE0EEEvSK_,comdat
.Lfunc_end93:
	.size	_ZN7rocprim17ROCPRIM_400000_NS6detail17trampoline_kernelINS0_14default_configENS1_36segmented_radix_sort_config_selectorIhlEEZNS1_25segmented_radix_sort_implIS3_Lb1EPKhPhPKlPlN2at6native12_GLOBAL__N_18offset_tEEE10hipError_tPvRmT1_PNSt15iterator_traitsISK_E10value_typeET2_T3_PNSL_ISQ_E10value_typeET4_jRbjT5_SW_jjP12ihipStream_tbEUlT_E0_NS1_11comp_targetILNS1_3genE0ELNS1_11target_archE4294967295ELNS1_3gpuE0ELNS1_3repE0EEENS1_60segmented_radix_sort_warp_sort_medium_config_static_selectorELNS0_4arch9wavefront6targetE0EEEvSK_, .Lfunc_end93-_ZN7rocprim17ROCPRIM_400000_NS6detail17trampoline_kernelINS0_14default_configENS1_36segmented_radix_sort_config_selectorIhlEEZNS1_25segmented_radix_sort_implIS3_Lb1EPKhPhPKlPlN2at6native12_GLOBAL__N_18offset_tEEE10hipError_tPvRmT1_PNSt15iterator_traitsISK_E10value_typeET2_T3_PNSL_ISQ_E10value_typeET4_jRbjT5_SW_jjP12ihipStream_tbEUlT_E0_NS1_11comp_targetILNS1_3genE0ELNS1_11target_archE4294967295ELNS1_3gpuE0ELNS1_3repE0EEENS1_60segmented_radix_sort_warp_sort_medium_config_static_selectorELNS0_4arch9wavefront6targetE0EEEvSK_
                                        ; -- End function
	.set _ZN7rocprim17ROCPRIM_400000_NS6detail17trampoline_kernelINS0_14default_configENS1_36segmented_radix_sort_config_selectorIhlEEZNS1_25segmented_radix_sort_implIS3_Lb1EPKhPhPKlPlN2at6native12_GLOBAL__N_18offset_tEEE10hipError_tPvRmT1_PNSt15iterator_traitsISK_E10value_typeET2_T3_PNSL_ISQ_E10value_typeET4_jRbjT5_SW_jjP12ihipStream_tbEUlT_E0_NS1_11comp_targetILNS1_3genE0ELNS1_11target_archE4294967295ELNS1_3gpuE0ELNS1_3repE0EEENS1_60segmented_radix_sort_warp_sort_medium_config_static_selectorELNS0_4arch9wavefront6targetE0EEEvSK_.num_vgpr, 0
	.set _ZN7rocprim17ROCPRIM_400000_NS6detail17trampoline_kernelINS0_14default_configENS1_36segmented_radix_sort_config_selectorIhlEEZNS1_25segmented_radix_sort_implIS3_Lb1EPKhPhPKlPlN2at6native12_GLOBAL__N_18offset_tEEE10hipError_tPvRmT1_PNSt15iterator_traitsISK_E10value_typeET2_T3_PNSL_ISQ_E10value_typeET4_jRbjT5_SW_jjP12ihipStream_tbEUlT_E0_NS1_11comp_targetILNS1_3genE0ELNS1_11target_archE4294967295ELNS1_3gpuE0ELNS1_3repE0EEENS1_60segmented_radix_sort_warp_sort_medium_config_static_selectorELNS0_4arch9wavefront6targetE0EEEvSK_.num_agpr, 0
	.set _ZN7rocprim17ROCPRIM_400000_NS6detail17trampoline_kernelINS0_14default_configENS1_36segmented_radix_sort_config_selectorIhlEEZNS1_25segmented_radix_sort_implIS3_Lb1EPKhPhPKlPlN2at6native12_GLOBAL__N_18offset_tEEE10hipError_tPvRmT1_PNSt15iterator_traitsISK_E10value_typeET2_T3_PNSL_ISQ_E10value_typeET4_jRbjT5_SW_jjP12ihipStream_tbEUlT_E0_NS1_11comp_targetILNS1_3genE0ELNS1_11target_archE4294967295ELNS1_3gpuE0ELNS1_3repE0EEENS1_60segmented_radix_sort_warp_sort_medium_config_static_selectorELNS0_4arch9wavefront6targetE0EEEvSK_.numbered_sgpr, 0
	.set _ZN7rocprim17ROCPRIM_400000_NS6detail17trampoline_kernelINS0_14default_configENS1_36segmented_radix_sort_config_selectorIhlEEZNS1_25segmented_radix_sort_implIS3_Lb1EPKhPhPKlPlN2at6native12_GLOBAL__N_18offset_tEEE10hipError_tPvRmT1_PNSt15iterator_traitsISK_E10value_typeET2_T3_PNSL_ISQ_E10value_typeET4_jRbjT5_SW_jjP12ihipStream_tbEUlT_E0_NS1_11comp_targetILNS1_3genE0ELNS1_11target_archE4294967295ELNS1_3gpuE0ELNS1_3repE0EEENS1_60segmented_radix_sort_warp_sort_medium_config_static_selectorELNS0_4arch9wavefront6targetE0EEEvSK_.num_named_barrier, 0
	.set _ZN7rocprim17ROCPRIM_400000_NS6detail17trampoline_kernelINS0_14default_configENS1_36segmented_radix_sort_config_selectorIhlEEZNS1_25segmented_radix_sort_implIS3_Lb1EPKhPhPKlPlN2at6native12_GLOBAL__N_18offset_tEEE10hipError_tPvRmT1_PNSt15iterator_traitsISK_E10value_typeET2_T3_PNSL_ISQ_E10value_typeET4_jRbjT5_SW_jjP12ihipStream_tbEUlT_E0_NS1_11comp_targetILNS1_3genE0ELNS1_11target_archE4294967295ELNS1_3gpuE0ELNS1_3repE0EEENS1_60segmented_radix_sort_warp_sort_medium_config_static_selectorELNS0_4arch9wavefront6targetE0EEEvSK_.private_seg_size, 0
	.set _ZN7rocprim17ROCPRIM_400000_NS6detail17trampoline_kernelINS0_14default_configENS1_36segmented_radix_sort_config_selectorIhlEEZNS1_25segmented_radix_sort_implIS3_Lb1EPKhPhPKlPlN2at6native12_GLOBAL__N_18offset_tEEE10hipError_tPvRmT1_PNSt15iterator_traitsISK_E10value_typeET2_T3_PNSL_ISQ_E10value_typeET4_jRbjT5_SW_jjP12ihipStream_tbEUlT_E0_NS1_11comp_targetILNS1_3genE0ELNS1_11target_archE4294967295ELNS1_3gpuE0ELNS1_3repE0EEENS1_60segmented_radix_sort_warp_sort_medium_config_static_selectorELNS0_4arch9wavefront6targetE0EEEvSK_.uses_vcc, 0
	.set _ZN7rocprim17ROCPRIM_400000_NS6detail17trampoline_kernelINS0_14default_configENS1_36segmented_radix_sort_config_selectorIhlEEZNS1_25segmented_radix_sort_implIS3_Lb1EPKhPhPKlPlN2at6native12_GLOBAL__N_18offset_tEEE10hipError_tPvRmT1_PNSt15iterator_traitsISK_E10value_typeET2_T3_PNSL_ISQ_E10value_typeET4_jRbjT5_SW_jjP12ihipStream_tbEUlT_E0_NS1_11comp_targetILNS1_3genE0ELNS1_11target_archE4294967295ELNS1_3gpuE0ELNS1_3repE0EEENS1_60segmented_radix_sort_warp_sort_medium_config_static_selectorELNS0_4arch9wavefront6targetE0EEEvSK_.uses_flat_scratch, 0
	.set _ZN7rocprim17ROCPRIM_400000_NS6detail17trampoline_kernelINS0_14default_configENS1_36segmented_radix_sort_config_selectorIhlEEZNS1_25segmented_radix_sort_implIS3_Lb1EPKhPhPKlPlN2at6native12_GLOBAL__N_18offset_tEEE10hipError_tPvRmT1_PNSt15iterator_traitsISK_E10value_typeET2_T3_PNSL_ISQ_E10value_typeET4_jRbjT5_SW_jjP12ihipStream_tbEUlT_E0_NS1_11comp_targetILNS1_3genE0ELNS1_11target_archE4294967295ELNS1_3gpuE0ELNS1_3repE0EEENS1_60segmented_radix_sort_warp_sort_medium_config_static_selectorELNS0_4arch9wavefront6targetE0EEEvSK_.has_dyn_sized_stack, 0
	.set _ZN7rocprim17ROCPRIM_400000_NS6detail17trampoline_kernelINS0_14default_configENS1_36segmented_radix_sort_config_selectorIhlEEZNS1_25segmented_radix_sort_implIS3_Lb1EPKhPhPKlPlN2at6native12_GLOBAL__N_18offset_tEEE10hipError_tPvRmT1_PNSt15iterator_traitsISK_E10value_typeET2_T3_PNSL_ISQ_E10value_typeET4_jRbjT5_SW_jjP12ihipStream_tbEUlT_E0_NS1_11comp_targetILNS1_3genE0ELNS1_11target_archE4294967295ELNS1_3gpuE0ELNS1_3repE0EEENS1_60segmented_radix_sort_warp_sort_medium_config_static_selectorELNS0_4arch9wavefront6targetE0EEEvSK_.has_recursion, 0
	.set _ZN7rocprim17ROCPRIM_400000_NS6detail17trampoline_kernelINS0_14default_configENS1_36segmented_radix_sort_config_selectorIhlEEZNS1_25segmented_radix_sort_implIS3_Lb1EPKhPhPKlPlN2at6native12_GLOBAL__N_18offset_tEEE10hipError_tPvRmT1_PNSt15iterator_traitsISK_E10value_typeET2_T3_PNSL_ISQ_E10value_typeET4_jRbjT5_SW_jjP12ihipStream_tbEUlT_E0_NS1_11comp_targetILNS1_3genE0ELNS1_11target_archE4294967295ELNS1_3gpuE0ELNS1_3repE0EEENS1_60segmented_radix_sort_warp_sort_medium_config_static_selectorELNS0_4arch9wavefront6targetE0EEEvSK_.has_indirect_call, 0
	.section	.AMDGPU.csdata,"",@progbits
; Kernel info:
; codeLenInByte = 0
; TotalNumSgprs: 0
; NumVgprs: 0
; ScratchSize: 0
; MemoryBound: 0
; FloatMode: 240
; IeeeMode: 1
; LDSByteSize: 0 bytes/workgroup (compile time only)
; SGPRBlocks: 0
; VGPRBlocks: 0
; NumSGPRsForWavesPerEU: 1
; NumVGPRsForWavesPerEU: 1
; Occupancy: 16
; WaveLimiterHint : 0
; COMPUTE_PGM_RSRC2:SCRATCH_EN: 0
; COMPUTE_PGM_RSRC2:USER_SGPR: 2
; COMPUTE_PGM_RSRC2:TRAP_HANDLER: 0
; COMPUTE_PGM_RSRC2:TGID_X_EN: 1
; COMPUTE_PGM_RSRC2:TGID_Y_EN: 0
; COMPUTE_PGM_RSRC2:TGID_Z_EN: 0
; COMPUTE_PGM_RSRC2:TIDIG_COMP_CNT: 0
	.section	.text._ZN7rocprim17ROCPRIM_400000_NS6detail17trampoline_kernelINS0_14default_configENS1_36segmented_radix_sort_config_selectorIhlEEZNS1_25segmented_radix_sort_implIS3_Lb1EPKhPhPKlPlN2at6native12_GLOBAL__N_18offset_tEEE10hipError_tPvRmT1_PNSt15iterator_traitsISK_E10value_typeET2_T3_PNSL_ISQ_E10value_typeET4_jRbjT5_SW_jjP12ihipStream_tbEUlT_E0_NS1_11comp_targetILNS1_3genE5ELNS1_11target_archE942ELNS1_3gpuE9ELNS1_3repE0EEENS1_60segmented_radix_sort_warp_sort_medium_config_static_selectorELNS0_4arch9wavefront6targetE0EEEvSK_,"axG",@progbits,_ZN7rocprim17ROCPRIM_400000_NS6detail17trampoline_kernelINS0_14default_configENS1_36segmented_radix_sort_config_selectorIhlEEZNS1_25segmented_radix_sort_implIS3_Lb1EPKhPhPKlPlN2at6native12_GLOBAL__N_18offset_tEEE10hipError_tPvRmT1_PNSt15iterator_traitsISK_E10value_typeET2_T3_PNSL_ISQ_E10value_typeET4_jRbjT5_SW_jjP12ihipStream_tbEUlT_E0_NS1_11comp_targetILNS1_3genE5ELNS1_11target_archE942ELNS1_3gpuE9ELNS1_3repE0EEENS1_60segmented_radix_sort_warp_sort_medium_config_static_selectorELNS0_4arch9wavefront6targetE0EEEvSK_,comdat
	.globl	_ZN7rocprim17ROCPRIM_400000_NS6detail17trampoline_kernelINS0_14default_configENS1_36segmented_radix_sort_config_selectorIhlEEZNS1_25segmented_radix_sort_implIS3_Lb1EPKhPhPKlPlN2at6native12_GLOBAL__N_18offset_tEEE10hipError_tPvRmT1_PNSt15iterator_traitsISK_E10value_typeET2_T3_PNSL_ISQ_E10value_typeET4_jRbjT5_SW_jjP12ihipStream_tbEUlT_E0_NS1_11comp_targetILNS1_3genE5ELNS1_11target_archE942ELNS1_3gpuE9ELNS1_3repE0EEENS1_60segmented_radix_sort_warp_sort_medium_config_static_selectorELNS0_4arch9wavefront6targetE0EEEvSK_ ; -- Begin function _ZN7rocprim17ROCPRIM_400000_NS6detail17trampoline_kernelINS0_14default_configENS1_36segmented_radix_sort_config_selectorIhlEEZNS1_25segmented_radix_sort_implIS3_Lb1EPKhPhPKlPlN2at6native12_GLOBAL__N_18offset_tEEE10hipError_tPvRmT1_PNSt15iterator_traitsISK_E10value_typeET2_T3_PNSL_ISQ_E10value_typeET4_jRbjT5_SW_jjP12ihipStream_tbEUlT_E0_NS1_11comp_targetILNS1_3genE5ELNS1_11target_archE942ELNS1_3gpuE9ELNS1_3repE0EEENS1_60segmented_radix_sort_warp_sort_medium_config_static_selectorELNS0_4arch9wavefront6targetE0EEEvSK_
	.p2align	8
	.type	_ZN7rocprim17ROCPRIM_400000_NS6detail17trampoline_kernelINS0_14default_configENS1_36segmented_radix_sort_config_selectorIhlEEZNS1_25segmented_radix_sort_implIS3_Lb1EPKhPhPKlPlN2at6native12_GLOBAL__N_18offset_tEEE10hipError_tPvRmT1_PNSt15iterator_traitsISK_E10value_typeET2_T3_PNSL_ISQ_E10value_typeET4_jRbjT5_SW_jjP12ihipStream_tbEUlT_E0_NS1_11comp_targetILNS1_3genE5ELNS1_11target_archE942ELNS1_3gpuE9ELNS1_3repE0EEENS1_60segmented_radix_sort_warp_sort_medium_config_static_selectorELNS0_4arch9wavefront6targetE0EEEvSK_,@function
_ZN7rocprim17ROCPRIM_400000_NS6detail17trampoline_kernelINS0_14default_configENS1_36segmented_radix_sort_config_selectorIhlEEZNS1_25segmented_radix_sort_implIS3_Lb1EPKhPhPKlPlN2at6native12_GLOBAL__N_18offset_tEEE10hipError_tPvRmT1_PNSt15iterator_traitsISK_E10value_typeET2_T3_PNSL_ISQ_E10value_typeET4_jRbjT5_SW_jjP12ihipStream_tbEUlT_E0_NS1_11comp_targetILNS1_3genE5ELNS1_11target_archE942ELNS1_3gpuE9ELNS1_3repE0EEENS1_60segmented_radix_sort_warp_sort_medium_config_static_selectorELNS0_4arch9wavefront6targetE0EEEvSK_: ; @_ZN7rocprim17ROCPRIM_400000_NS6detail17trampoline_kernelINS0_14default_configENS1_36segmented_radix_sort_config_selectorIhlEEZNS1_25segmented_radix_sort_implIS3_Lb1EPKhPhPKlPlN2at6native12_GLOBAL__N_18offset_tEEE10hipError_tPvRmT1_PNSt15iterator_traitsISK_E10value_typeET2_T3_PNSL_ISQ_E10value_typeET4_jRbjT5_SW_jjP12ihipStream_tbEUlT_E0_NS1_11comp_targetILNS1_3genE5ELNS1_11target_archE942ELNS1_3gpuE9ELNS1_3repE0EEENS1_60segmented_radix_sort_warp_sort_medium_config_static_selectorELNS0_4arch9wavefront6targetE0EEEvSK_
; %bb.0:
	.section	.rodata,"a",@progbits
	.p2align	6, 0x0
	.amdhsa_kernel _ZN7rocprim17ROCPRIM_400000_NS6detail17trampoline_kernelINS0_14default_configENS1_36segmented_radix_sort_config_selectorIhlEEZNS1_25segmented_radix_sort_implIS3_Lb1EPKhPhPKlPlN2at6native12_GLOBAL__N_18offset_tEEE10hipError_tPvRmT1_PNSt15iterator_traitsISK_E10value_typeET2_T3_PNSL_ISQ_E10value_typeET4_jRbjT5_SW_jjP12ihipStream_tbEUlT_E0_NS1_11comp_targetILNS1_3genE5ELNS1_11target_archE942ELNS1_3gpuE9ELNS1_3repE0EEENS1_60segmented_radix_sort_warp_sort_medium_config_static_selectorELNS0_4arch9wavefront6targetE0EEEvSK_
		.amdhsa_group_segment_fixed_size 0
		.amdhsa_private_segment_fixed_size 0
		.amdhsa_kernarg_size 88
		.amdhsa_user_sgpr_count 2
		.amdhsa_user_sgpr_dispatch_ptr 0
		.amdhsa_user_sgpr_queue_ptr 0
		.amdhsa_user_sgpr_kernarg_segment_ptr 1
		.amdhsa_user_sgpr_dispatch_id 0
		.amdhsa_user_sgpr_private_segment_size 0
		.amdhsa_wavefront_size32 1
		.amdhsa_uses_dynamic_stack 0
		.amdhsa_enable_private_segment 0
		.amdhsa_system_sgpr_workgroup_id_x 1
		.amdhsa_system_sgpr_workgroup_id_y 0
		.amdhsa_system_sgpr_workgroup_id_z 0
		.amdhsa_system_sgpr_workgroup_info 0
		.amdhsa_system_vgpr_workitem_id 0
		.amdhsa_next_free_vgpr 1
		.amdhsa_next_free_sgpr 1
		.amdhsa_reserve_vcc 0
		.amdhsa_float_round_mode_32 0
		.amdhsa_float_round_mode_16_64 0
		.amdhsa_float_denorm_mode_32 3
		.amdhsa_float_denorm_mode_16_64 3
		.amdhsa_fp16_overflow 0
		.amdhsa_workgroup_processor_mode 1
		.amdhsa_memory_ordered 1
		.amdhsa_forward_progress 1
		.amdhsa_inst_pref_size 0
		.amdhsa_round_robin_scheduling 0
		.amdhsa_exception_fp_ieee_invalid_op 0
		.amdhsa_exception_fp_denorm_src 0
		.amdhsa_exception_fp_ieee_div_zero 0
		.amdhsa_exception_fp_ieee_overflow 0
		.amdhsa_exception_fp_ieee_underflow 0
		.amdhsa_exception_fp_ieee_inexact 0
		.amdhsa_exception_int_div_zero 0
	.end_amdhsa_kernel
	.section	.text._ZN7rocprim17ROCPRIM_400000_NS6detail17trampoline_kernelINS0_14default_configENS1_36segmented_radix_sort_config_selectorIhlEEZNS1_25segmented_radix_sort_implIS3_Lb1EPKhPhPKlPlN2at6native12_GLOBAL__N_18offset_tEEE10hipError_tPvRmT1_PNSt15iterator_traitsISK_E10value_typeET2_T3_PNSL_ISQ_E10value_typeET4_jRbjT5_SW_jjP12ihipStream_tbEUlT_E0_NS1_11comp_targetILNS1_3genE5ELNS1_11target_archE942ELNS1_3gpuE9ELNS1_3repE0EEENS1_60segmented_radix_sort_warp_sort_medium_config_static_selectorELNS0_4arch9wavefront6targetE0EEEvSK_,"axG",@progbits,_ZN7rocprim17ROCPRIM_400000_NS6detail17trampoline_kernelINS0_14default_configENS1_36segmented_radix_sort_config_selectorIhlEEZNS1_25segmented_radix_sort_implIS3_Lb1EPKhPhPKlPlN2at6native12_GLOBAL__N_18offset_tEEE10hipError_tPvRmT1_PNSt15iterator_traitsISK_E10value_typeET2_T3_PNSL_ISQ_E10value_typeET4_jRbjT5_SW_jjP12ihipStream_tbEUlT_E0_NS1_11comp_targetILNS1_3genE5ELNS1_11target_archE942ELNS1_3gpuE9ELNS1_3repE0EEENS1_60segmented_radix_sort_warp_sort_medium_config_static_selectorELNS0_4arch9wavefront6targetE0EEEvSK_,comdat
.Lfunc_end94:
	.size	_ZN7rocprim17ROCPRIM_400000_NS6detail17trampoline_kernelINS0_14default_configENS1_36segmented_radix_sort_config_selectorIhlEEZNS1_25segmented_radix_sort_implIS3_Lb1EPKhPhPKlPlN2at6native12_GLOBAL__N_18offset_tEEE10hipError_tPvRmT1_PNSt15iterator_traitsISK_E10value_typeET2_T3_PNSL_ISQ_E10value_typeET4_jRbjT5_SW_jjP12ihipStream_tbEUlT_E0_NS1_11comp_targetILNS1_3genE5ELNS1_11target_archE942ELNS1_3gpuE9ELNS1_3repE0EEENS1_60segmented_radix_sort_warp_sort_medium_config_static_selectorELNS0_4arch9wavefront6targetE0EEEvSK_, .Lfunc_end94-_ZN7rocprim17ROCPRIM_400000_NS6detail17trampoline_kernelINS0_14default_configENS1_36segmented_radix_sort_config_selectorIhlEEZNS1_25segmented_radix_sort_implIS3_Lb1EPKhPhPKlPlN2at6native12_GLOBAL__N_18offset_tEEE10hipError_tPvRmT1_PNSt15iterator_traitsISK_E10value_typeET2_T3_PNSL_ISQ_E10value_typeET4_jRbjT5_SW_jjP12ihipStream_tbEUlT_E0_NS1_11comp_targetILNS1_3genE5ELNS1_11target_archE942ELNS1_3gpuE9ELNS1_3repE0EEENS1_60segmented_radix_sort_warp_sort_medium_config_static_selectorELNS0_4arch9wavefront6targetE0EEEvSK_
                                        ; -- End function
	.set _ZN7rocprim17ROCPRIM_400000_NS6detail17trampoline_kernelINS0_14default_configENS1_36segmented_radix_sort_config_selectorIhlEEZNS1_25segmented_radix_sort_implIS3_Lb1EPKhPhPKlPlN2at6native12_GLOBAL__N_18offset_tEEE10hipError_tPvRmT1_PNSt15iterator_traitsISK_E10value_typeET2_T3_PNSL_ISQ_E10value_typeET4_jRbjT5_SW_jjP12ihipStream_tbEUlT_E0_NS1_11comp_targetILNS1_3genE5ELNS1_11target_archE942ELNS1_3gpuE9ELNS1_3repE0EEENS1_60segmented_radix_sort_warp_sort_medium_config_static_selectorELNS0_4arch9wavefront6targetE0EEEvSK_.num_vgpr, 0
	.set _ZN7rocprim17ROCPRIM_400000_NS6detail17trampoline_kernelINS0_14default_configENS1_36segmented_radix_sort_config_selectorIhlEEZNS1_25segmented_radix_sort_implIS3_Lb1EPKhPhPKlPlN2at6native12_GLOBAL__N_18offset_tEEE10hipError_tPvRmT1_PNSt15iterator_traitsISK_E10value_typeET2_T3_PNSL_ISQ_E10value_typeET4_jRbjT5_SW_jjP12ihipStream_tbEUlT_E0_NS1_11comp_targetILNS1_3genE5ELNS1_11target_archE942ELNS1_3gpuE9ELNS1_3repE0EEENS1_60segmented_radix_sort_warp_sort_medium_config_static_selectorELNS0_4arch9wavefront6targetE0EEEvSK_.num_agpr, 0
	.set _ZN7rocprim17ROCPRIM_400000_NS6detail17trampoline_kernelINS0_14default_configENS1_36segmented_radix_sort_config_selectorIhlEEZNS1_25segmented_radix_sort_implIS3_Lb1EPKhPhPKlPlN2at6native12_GLOBAL__N_18offset_tEEE10hipError_tPvRmT1_PNSt15iterator_traitsISK_E10value_typeET2_T3_PNSL_ISQ_E10value_typeET4_jRbjT5_SW_jjP12ihipStream_tbEUlT_E0_NS1_11comp_targetILNS1_3genE5ELNS1_11target_archE942ELNS1_3gpuE9ELNS1_3repE0EEENS1_60segmented_radix_sort_warp_sort_medium_config_static_selectorELNS0_4arch9wavefront6targetE0EEEvSK_.numbered_sgpr, 0
	.set _ZN7rocprim17ROCPRIM_400000_NS6detail17trampoline_kernelINS0_14default_configENS1_36segmented_radix_sort_config_selectorIhlEEZNS1_25segmented_radix_sort_implIS3_Lb1EPKhPhPKlPlN2at6native12_GLOBAL__N_18offset_tEEE10hipError_tPvRmT1_PNSt15iterator_traitsISK_E10value_typeET2_T3_PNSL_ISQ_E10value_typeET4_jRbjT5_SW_jjP12ihipStream_tbEUlT_E0_NS1_11comp_targetILNS1_3genE5ELNS1_11target_archE942ELNS1_3gpuE9ELNS1_3repE0EEENS1_60segmented_radix_sort_warp_sort_medium_config_static_selectorELNS0_4arch9wavefront6targetE0EEEvSK_.num_named_barrier, 0
	.set _ZN7rocprim17ROCPRIM_400000_NS6detail17trampoline_kernelINS0_14default_configENS1_36segmented_radix_sort_config_selectorIhlEEZNS1_25segmented_radix_sort_implIS3_Lb1EPKhPhPKlPlN2at6native12_GLOBAL__N_18offset_tEEE10hipError_tPvRmT1_PNSt15iterator_traitsISK_E10value_typeET2_T3_PNSL_ISQ_E10value_typeET4_jRbjT5_SW_jjP12ihipStream_tbEUlT_E0_NS1_11comp_targetILNS1_3genE5ELNS1_11target_archE942ELNS1_3gpuE9ELNS1_3repE0EEENS1_60segmented_radix_sort_warp_sort_medium_config_static_selectorELNS0_4arch9wavefront6targetE0EEEvSK_.private_seg_size, 0
	.set _ZN7rocprim17ROCPRIM_400000_NS6detail17trampoline_kernelINS0_14default_configENS1_36segmented_radix_sort_config_selectorIhlEEZNS1_25segmented_radix_sort_implIS3_Lb1EPKhPhPKlPlN2at6native12_GLOBAL__N_18offset_tEEE10hipError_tPvRmT1_PNSt15iterator_traitsISK_E10value_typeET2_T3_PNSL_ISQ_E10value_typeET4_jRbjT5_SW_jjP12ihipStream_tbEUlT_E0_NS1_11comp_targetILNS1_3genE5ELNS1_11target_archE942ELNS1_3gpuE9ELNS1_3repE0EEENS1_60segmented_radix_sort_warp_sort_medium_config_static_selectorELNS0_4arch9wavefront6targetE0EEEvSK_.uses_vcc, 0
	.set _ZN7rocprim17ROCPRIM_400000_NS6detail17trampoline_kernelINS0_14default_configENS1_36segmented_radix_sort_config_selectorIhlEEZNS1_25segmented_radix_sort_implIS3_Lb1EPKhPhPKlPlN2at6native12_GLOBAL__N_18offset_tEEE10hipError_tPvRmT1_PNSt15iterator_traitsISK_E10value_typeET2_T3_PNSL_ISQ_E10value_typeET4_jRbjT5_SW_jjP12ihipStream_tbEUlT_E0_NS1_11comp_targetILNS1_3genE5ELNS1_11target_archE942ELNS1_3gpuE9ELNS1_3repE0EEENS1_60segmented_radix_sort_warp_sort_medium_config_static_selectorELNS0_4arch9wavefront6targetE0EEEvSK_.uses_flat_scratch, 0
	.set _ZN7rocprim17ROCPRIM_400000_NS6detail17trampoline_kernelINS0_14default_configENS1_36segmented_radix_sort_config_selectorIhlEEZNS1_25segmented_radix_sort_implIS3_Lb1EPKhPhPKlPlN2at6native12_GLOBAL__N_18offset_tEEE10hipError_tPvRmT1_PNSt15iterator_traitsISK_E10value_typeET2_T3_PNSL_ISQ_E10value_typeET4_jRbjT5_SW_jjP12ihipStream_tbEUlT_E0_NS1_11comp_targetILNS1_3genE5ELNS1_11target_archE942ELNS1_3gpuE9ELNS1_3repE0EEENS1_60segmented_radix_sort_warp_sort_medium_config_static_selectorELNS0_4arch9wavefront6targetE0EEEvSK_.has_dyn_sized_stack, 0
	.set _ZN7rocprim17ROCPRIM_400000_NS6detail17trampoline_kernelINS0_14default_configENS1_36segmented_radix_sort_config_selectorIhlEEZNS1_25segmented_radix_sort_implIS3_Lb1EPKhPhPKlPlN2at6native12_GLOBAL__N_18offset_tEEE10hipError_tPvRmT1_PNSt15iterator_traitsISK_E10value_typeET2_T3_PNSL_ISQ_E10value_typeET4_jRbjT5_SW_jjP12ihipStream_tbEUlT_E0_NS1_11comp_targetILNS1_3genE5ELNS1_11target_archE942ELNS1_3gpuE9ELNS1_3repE0EEENS1_60segmented_radix_sort_warp_sort_medium_config_static_selectorELNS0_4arch9wavefront6targetE0EEEvSK_.has_recursion, 0
	.set _ZN7rocprim17ROCPRIM_400000_NS6detail17trampoline_kernelINS0_14default_configENS1_36segmented_radix_sort_config_selectorIhlEEZNS1_25segmented_radix_sort_implIS3_Lb1EPKhPhPKlPlN2at6native12_GLOBAL__N_18offset_tEEE10hipError_tPvRmT1_PNSt15iterator_traitsISK_E10value_typeET2_T3_PNSL_ISQ_E10value_typeET4_jRbjT5_SW_jjP12ihipStream_tbEUlT_E0_NS1_11comp_targetILNS1_3genE5ELNS1_11target_archE942ELNS1_3gpuE9ELNS1_3repE0EEENS1_60segmented_radix_sort_warp_sort_medium_config_static_selectorELNS0_4arch9wavefront6targetE0EEEvSK_.has_indirect_call, 0
	.section	.AMDGPU.csdata,"",@progbits
; Kernel info:
; codeLenInByte = 0
; TotalNumSgprs: 0
; NumVgprs: 0
; ScratchSize: 0
; MemoryBound: 0
; FloatMode: 240
; IeeeMode: 1
; LDSByteSize: 0 bytes/workgroup (compile time only)
; SGPRBlocks: 0
; VGPRBlocks: 0
; NumSGPRsForWavesPerEU: 1
; NumVGPRsForWavesPerEU: 1
; Occupancy: 16
; WaveLimiterHint : 0
; COMPUTE_PGM_RSRC2:SCRATCH_EN: 0
; COMPUTE_PGM_RSRC2:USER_SGPR: 2
; COMPUTE_PGM_RSRC2:TRAP_HANDLER: 0
; COMPUTE_PGM_RSRC2:TGID_X_EN: 1
; COMPUTE_PGM_RSRC2:TGID_Y_EN: 0
; COMPUTE_PGM_RSRC2:TGID_Z_EN: 0
; COMPUTE_PGM_RSRC2:TIDIG_COMP_CNT: 0
	.section	.text._ZN7rocprim17ROCPRIM_400000_NS6detail17trampoline_kernelINS0_14default_configENS1_36segmented_radix_sort_config_selectorIhlEEZNS1_25segmented_radix_sort_implIS3_Lb1EPKhPhPKlPlN2at6native12_GLOBAL__N_18offset_tEEE10hipError_tPvRmT1_PNSt15iterator_traitsISK_E10value_typeET2_T3_PNSL_ISQ_E10value_typeET4_jRbjT5_SW_jjP12ihipStream_tbEUlT_E0_NS1_11comp_targetILNS1_3genE4ELNS1_11target_archE910ELNS1_3gpuE8ELNS1_3repE0EEENS1_60segmented_radix_sort_warp_sort_medium_config_static_selectorELNS0_4arch9wavefront6targetE0EEEvSK_,"axG",@progbits,_ZN7rocprim17ROCPRIM_400000_NS6detail17trampoline_kernelINS0_14default_configENS1_36segmented_radix_sort_config_selectorIhlEEZNS1_25segmented_radix_sort_implIS3_Lb1EPKhPhPKlPlN2at6native12_GLOBAL__N_18offset_tEEE10hipError_tPvRmT1_PNSt15iterator_traitsISK_E10value_typeET2_T3_PNSL_ISQ_E10value_typeET4_jRbjT5_SW_jjP12ihipStream_tbEUlT_E0_NS1_11comp_targetILNS1_3genE4ELNS1_11target_archE910ELNS1_3gpuE8ELNS1_3repE0EEENS1_60segmented_radix_sort_warp_sort_medium_config_static_selectorELNS0_4arch9wavefront6targetE0EEEvSK_,comdat
	.globl	_ZN7rocprim17ROCPRIM_400000_NS6detail17trampoline_kernelINS0_14default_configENS1_36segmented_radix_sort_config_selectorIhlEEZNS1_25segmented_radix_sort_implIS3_Lb1EPKhPhPKlPlN2at6native12_GLOBAL__N_18offset_tEEE10hipError_tPvRmT1_PNSt15iterator_traitsISK_E10value_typeET2_T3_PNSL_ISQ_E10value_typeET4_jRbjT5_SW_jjP12ihipStream_tbEUlT_E0_NS1_11comp_targetILNS1_3genE4ELNS1_11target_archE910ELNS1_3gpuE8ELNS1_3repE0EEENS1_60segmented_radix_sort_warp_sort_medium_config_static_selectorELNS0_4arch9wavefront6targetE0EEEvSK_ ; -- Begin function _ZN7rocprim17ROCPRIM_400000_NS6detail17trampoline_kernelINS0_14default_configENS1_36segmented_radix_sort_config_selectorIhlEEZNS1_25segmented_radix_sort_implIS3_Lb1EPKhPhPKlPlN2at6native12_GLOBAL__N_18offset_tEEE10hipError_tPvRmT1_PNSt15iterator_traitsISK_E10value_typeET2_T3_PNSL_ISQ_E10value_typeET4_jRbjT5_SW_jjP12ihipStream_tbEUlT_E0_NS1_11comp_targetILNS1_3genE4ELNS1_11target_archE910ELNS1_3gpuE8ELNS1_3repE0EEENS1_60segmented_radix_sort_warp_sort_medium_config_static_selectorELNS0_4arch9wavefront6targetE0EEEvSK_
	.p2align	8
	.type	_ZN7rocprim17ROCPRIM_400000_NS6detail17trampoline_kernelINS0_14default_configENS1_36segmented_radix_sort_config_selectorIhlEEZNS1_25segmented_radix_sort_implIS3_Lb1EPKhPhPKlPlN2at6native12_GLOBAL__N_18offset_tEEE10hipError_tPvRmT1_PNSt15iterator_traitsISK_E10value_typeET2_T3_PNSL_ISQ_E10value_typeET4_jRbjT5_SW_jjP12ihipStream_tbEUlT_E0_NS1_11comp_targetILNS1_3genE4ELNS1_11target_archE910ELNS1_3gpuE8ELNS1_3repE0EEENS1_60segmented_radix_sort_warp_sort_medium_config_static_selectorELNS0_4arch9wavefront6targetE0EEEvSK_,@function
_ZN7rocprim17ROCPRIM_400000_NS6detail17trampoline_kernelINS0_14default_configENS1_36segmented_radix_sort_config_selectorIhlEEZNS1_25segmented_radix_sort_implIS3_Lb1EPKhPhPKlPlN2at6native12_GLOBAL__N_18offset_tEEE10hipError_tPvRmT1_PNSt15iterator_traitsISK_E10value_typeET2_T3_PNSL_ISQ_E10value_typeET4_jRbjT5_SW_jjP12ihipStream_tbEUlT_E0_NS1_11comp_targetILNS1_3genE4ELNS1_11target_archE910ELNS1_3gpuE8ELNS1_3repE0EEENS1_60segmented_radix_sort_warp_sort_medium_config_static_selectorELNS0_4arch9wavefront6targetE0EEEvSK_: ; @_ZN7rocprim17ROCPRIM_400000_NS6detail17trampoline_kernelINS0_14default_configENS1_36segmented_radix_sort_config_selectorIhlEEZNS1_25segmented_radix_sort_implIS3_Lb1EPKhPhPKlPlN2at6native12_GLOBAL__N_18offset_tEEE10hipError_tPvRmT1_PNSt15iterator_traitsISK_E10value_typeET2_T3_PNSL_ISQ_E10value_typeET4_jRbjT5_SW_jjP12ihipStream_tbEUlT_E0_NS1_11comp_targetILNS1_3genE4ELNS1_11target_archE910ELNS1_3gpuE8ELNS1_3repE0EEENS1_60segmented_radix_sort_warp_sort_medium_config_static_selectorELNS0_4arch9wavefront6targetE0EEEvSK_
; %bb.0:
	.section	.rodata,"a",@progbits
	.p2align	6, 0x0
	.amdhsa_kernel _ZN7rocprim17ROCPRIM_400000_NS6detail17trampoline_kernelINS0_14default_configENS1_36segmented_radix_sort_config_selectorIhlEEZNS1_25segmented_radix_sort_implIS3_Lb1EPKhPhPKlPlN2at6native12_GLOBAL__N_18offset_tEEE10hipError_tPvRmT1_PNSt15iterator_traitsISK_E10value_typeET2_T3_PNSL_ISQ_E10value_typeET4_jRbjT5_SW_jjP12ihipStream_tbEUlT_E0_NS1_11comp_targetILNS1_3genE4ELNS1_11target_archE910ELNS1_3gpuE8ELNS1_3repE0EEENS1_60segmented_radix_sort_warp_sort_medium_config_static_selectorELNS0_4arch9wavefront6targetE0EEEvSK_
		.amdhsa_group_segment_fixed_size 0
		.amdhsa_private_segment_fixed_size 0
		.amdhsa_kernarg_size 88
		.amdhsa_user_sgpr_count 2
		.amdhsa_user_sgpr_dispatch_ptr 0
		.amdhsa_user_sgpr_queue_ptr 0
		.amdhsa_user_sgpr_kernarg_segment_ptr 1
		.amdhsa_user_sgpr_dispatch_id 0
		.amdhsa_user_sgpr_private_segment_size 0
		.amdhsa_wavefront_size32 1
		.amdhsa_uses_dynamic_stack 0
		.amdhsa_enable_private_segment 0
		.amdhsa_system_sgpr_workgroup_id_x 1
		.amdhsa_system_sgpr_workgroup_id_y 0
		.amdhsa_system_sgpr_workgroup_id_z 0
		.amdhsa_system_sgpr_workgroup_info 0
		.amdhsa_system_vgpr_workitem_id 0
		.amdhsa_next_free_vgpr 1
		.amdhsa_next_free_sgpr 1
		.amdhsa_reserve_vcc 0
		.amdhsa_float_round_mode_32 0
		.amdhsa_float_round_mode_16_64 0
		.amdhsa_float_denorm_mode_32 3
		.amdhsa_float_denorm_mode_16_64 3
		.amdhsa_fp16_overflow 0
		.amdhsa_workgroup_processor_mode 1
		.amdhsa_memory_ordered 1
		.amdhsa_forward_progress 1
		.amdhsa_inst_pref_size 0
		.amdhsa_round_robin_scheduling 0
		.amdhsa_exception_fp_ieee_invalid_op 0
		.amdhsa_exception_fp_denorm_src 0
		.amdhsa_exception_fp_ieee_div_zero 0
		.amdhsa_exception_fp_ieee_overflow 0
		.amdhsa_exception_fp_ieee_underflow 0
		.amdhsa_exception_fp_ieee_inexact 0
		.amdhsa_exception_int_div_zero 0
	.end_amdhsa_kernel
	.section	.text._ZN7rocprim17ROCPRIM_400000_NS6detail17trampoline_kernelINS0_14default_configENS1_36segmented_radix_sort_config_selectorIhlEEZNS1_25segmented_radix_sort_implIS3_Lb1EPKhPhPKlPlN2at6native12_GLOBAL__N_18offset_tEEE10hipError_tPvRmT1_PNSt15iterator_traitsISK_E10value_typeET2_T3_PNSL_ISQ_E10value_typeET4_jRbjT5_SW_jjP12ihipStream_tbEUlT_E0_NS1_11comp_targetILNS1_3genE4ELNS1_11target_archE910ELNS1_3gpuE8ELNS1_3repE0EEENS1_60segmented_radix_sort_warp_sort_medium_config_static_selectorELNS0_4arch9wavefront6targetE0EEEvSK_,"axG",@progbits,_ZN7rocprim17ROCPRIM_400000_NS6detail17trampoline_kernelINS0_14default_configENS1_36segmented_radix_sort_config_selectorIhlEEZNS1_25segmented_radix_sort_implIS3_Lb1EPKhPhPKlPlN2at6native12_GLOBAL__N_18offset_tEEE10hipError_tPvRmT1_PNSt15iterator_traitsISK_E10value_typeET2_T3_PNSL_ISQ_E10value_typeET4_jRbjT5_SW_jjP12ihipStream_tbEUlT_E0_NS1_11comp_targetILNS1_3genE4ELNS1_11target_archE910ELNS1_3gpuE8ELNS1_3repE0EEENS1_60segmented_radix_sort_warp_sort_medium_config_static_selectorELNS0_4arch9wavefront6targetE0EEEvSK_,comdat
.Lfunc_end95:
	.size	_ZN7rocprim17ROCPRIM_400000_NS6detail17trampoline_kernelINS0_14default_configENS1_36segmented_radix_sort_config_selectorIhlEEZNS1_25segmented_radix_sort_implIS3_Lb1EPKhPhPKlPlN2at6native12_GLOBAL__N_18offset_tEEE10hipError_tPvRmT1_PNSt15iterator_traitsISK_E10value_typeET2_T3_PNSL_ISQ_E10value_typeET4_jRbjT5_SW_jjP12ihipStream_tbEUlT_E0_NS1_11comp_targetILNS1_3genE4ELNS1_11target_archE910ELNS1_3gpuE8ELNS1_3repE0EEENS1_60segmented_radix_sort_warp_sort_medium_config_static_selectorELNS0_4arch9wavefront6targetE0EEEvSK_, .Lfunc_end95-_ZN7rocprim17ROCPRIM_400000_NS6detail17trampoline_kernelINS0_14default_configENS1_36segmented_radix_sort_config_selectorIhlEEZNS1_25segmented_radix_sort_implIS3_Lb1EPKhPhPKlPlN2at6native12_GLOBAL__N_18offset_tEEE10hipError_tPvRmT1_PNSt15iterator_traitsISK_E10value_typeET2_T3_PNSL_ISQ_E10value_typeET4_jRbjT5_SW_jjP12ihipStream_tbEUlT_E0_NS1_11comp_targetILNS1_3genE4ELNS1_11target_archE910ELNS1_3gpuE8ELNS1_3repE0EEENS1_60segmented_radix_sort_warp_sort_medium_config_static_selectorELNS0_4arch9wavefront6targetE0EEEvSK_
                                        ; -- End function
	.set _ZN7rocprim17ROCPRIM_400000_NS6detail17trampoline_kernelINS0_14default_configENS1_36segmented_radix_sort_config_selectorIhlEEZNS1_25segmented_radix_sort_implIS3_Lb1EPKhPhPKlPlN2at6native12_GLOBAL__N_18offset_tEEE10hipError_tPvRmT1_PNSt15iterator_traitsISK_E10value_typeET2_T3_PNSL_ISQ_E10value_typeET4_jRbjT5_SW_jjP12ihipStream_tbEUlT_E0_NS1_11comp_targetILNS1_3genE4ELNS1_11target_archE910ELNS1_3gpuE8ELNS1_3repE0EEENS1_60segmented_radix_sort_warp_sort_medium_config_static_selectorELNS0_4arch9wavefront6targetE0EEEvSK_.num_vgpr, 0
	.set _ZN7rocprim17ROCPRIM_400000_NS6detail17trampoline_kernelINS0_14default_configENS1_36segmented_radix_sort_config_selectorIhlEEZNS1_25segmented_radix_sort_implIS3_Lb1EPKhPhPKlPlN2at6native12_GLOBAL__N_18offset_tEEE10hipError_tPvRmT1_PNSt15iterator_traitsISK_E10value_typeET2_T3_PNSL_ISQ_E10value_typeET4_jRbjT5_SW_jjP12ihipStream_tbEUlT_E0_NS1_11comp_targetILNS1_3genE4ELNS1_11target_archE910ELNS1_3gpuE8ELNS1_3repE0EEENS1_60segmented_radix_sort_warp_sort_medium_config_static_selectorELNS0_4arch9wavefront6targetE0EEEvSK_.num_agpr, 0
	.set _ZN7rocprim17ROCPRIM_400000_NS6detail17trampoline_kernelINS0_14default_configENS1_36segmented_radix_sort_config_selectorIhlEEZNS1_25segmented_radix_sort_implIS3_Lb1EPKhPhPKlPlN2at6native12_GLOBAL__N_18offset_tEEE10hipError_tPvRmT1_PNSt15iterator_traitsISK_E10value_typeET2_T3_PNSL_ISQ_E10value_typeET4_jRbjT5_SW_jjP12ihipStream_tbEUlT_E0_NS1_11comp_targetILNS1_3genE4ELNS1_11target_archE910ELNS1_3gpuE8ELNS1_3repE0EEENS1_60segmented_radix_sort_warp_sort_medium_config_static_selectorELNS0_4arch9wavefront6targetE0EEEvSK_.numbered_sgpr, 0
	.set _ZN7rocprim17ROCPRIM_400000_NS6detail17trampoline_kernelINS0_14default_configENS1_36segmented_radix_sort_config_selectorIhlEEZNS1_25segmented_radix_sort_implIS3_Lb1EPKhPhPKlPlN2at6native12_GLOBAL__N_18offset_tEEE10hipError_tPvRmT1_PNSt15iterator_traitsISK_E10value_typeET2_T3_PNSL_ISQ_E10value_typeET4_jRbjT5_SW_jjP12ihipStream_tbEUlT_E0_NS1_11comp_targetILNS1_3genE4ELNS1_11target_archE910ELNS1_3gpuE8ELNS1_3repE0EEENS1_60segmented_radix_sort_warp_sort_medium_config_static_selectorELNS0_4arch9wavefront6targetE0EEEvSK_.num_named_barrier, 0
	.set _ZN7rocprim17ROCPRIM_400000_NS6detail17trampoline_kernelINS0_14default_configENS1_36segmented_radix_sort_config_selectorIhlEEZNS1_25segmented_radix_sort_implIS3_Lb1EPKhPhPKlPlN2at6native12_GLOBAL__N_18offset_tEEE10hipError_tPvRmT1_PNSt15iterator_traitsISK_E10value_typeET2_T3_PNSL_ISQ_E10value_typeET4_jRbjT5_SW_jjP12ihipStream_tbEUlT_E0_NS1_11comp_targetILNS1_3genE4ELNS1_11target_archE910ELNS1_3gpuE8ELNS1_3repE0EEENS1_60segmented_radix_sort_warp_sort_medium_config_static_selectorELNS0_4arch9wavefront6targetE0EEEvSK_.private_seg_size, 0
	.set _ZN7rocprim17ROCPRIM_400000_NS6detail17trampoline_kernelINS0_14default_configENS1_36segmented_radix_sort_config_selectorIhlEEZNS1_25segmented_radix_sort_implIS3_Lb1EPKhPhPKlPlN2at6native12_GLOBAL__N_18offset_tEEE10hipError_tPvRmT1_PNSt15iterator_traitsISK_E10value_typeET2_T3_PNSL_ISQ_E10value_typeET4_jRbjT5_SW_jjP12ihipStream_tbEUlT_E0_NS1_11comp_targetILNS1_3genE4ELNS1_11target_archE910ELNS1_3gpuE8ELNS1_3repE0EEENS1_60segmented_radix_sort_warp_sort_medium_config_static_selectorELNS0_4arch9wavefront6targetE0EEEvSK_.uses_vcc, 0
	.set _ZN7rocprim17ROCPRIM_400000_NS6detail17trampoline_kernelINS0_14default_configENS1_36segmented_radix_sort_config_selectorIhlEEZNS1_25segmented_radix_sort_implIS3_Lb1EPKhPhPKlPlN2at6native12_GLOBAL__N_18offset_tEEE10hipError_tPvRmT1_PNSt15iterator_traitsISK_E10value_typeET2_T3_PNSL_ISQ_E10value_typeET4_jRbjT5_SW_jjP12ihipStream_tbEUlT_E0_NS1_11comp_targetILNS1_3genE4ELNS1_11target_archE910ELNS1_3gpuE8ELNS1_3repE0EEENS1_60segmented_radix_sort_warp_sort_medium_config_static_selectorELNS0_4arch9wavefront6targetE0EEEvSK_.uses_flat_scratch, 0
	.set _ZN7rocprim17ROCPRIM_400000_NS6detail17trampoline_kernelINS0_14default_configENS1_36segmented_radix_sort_config_selectorIhlEEZNS1_25segmented_radix_sort_implIS3_Lb1EPKhPhPKlPlN2at6native12_GLOBAL__N_18offset_tEEE10hipError_tPvRmT1_PNSt15iterator_traitsISK_E10value_typeET2_T3_PNSL_ISQ_E10value_typeET4_jRbjT5_SW_jjP12ihipStream_tbEUlT_E0_NS1_11comp_targetILNS1_3genE4ELNS1_11target_archE910ELNS1_3gpuE8ELNS1_3repE0EEENS1_60segmented_radix_sort_warp_sort_medium_config_static_selectorELNS0_4arch9wavefront6targetE0EEEvSK_.has_dyn_sized_stack, 0
	.set _ZN7rocprim17ROCPRIM_400000_NS6detail17trampoline_kernelINS0_14default_configENS1_36segmented_radix_sort_config_selectorIhlEEZNS1_25segmented_radix_sort_implIS3_Lb1EPKhPhPKlPlN2at6native12_GLOBAL__N_18offset_tEEE10hipError_tPvRmT1_PNSt15iterator_traitsISK_E10value_typeET2_T3_PNSL_ISQ_E10value_typeET4_jRbjT5_SW_jjP12ihipStream_tbEUlT_E0_NS1_11comp_targetILNS1_3genE4ELNS1_11target_archE910ELNS1_3gpuE8ELNS1_3repE0EEENS1_60segmented_radix_sort_warp_sort_medium_config_static_selectorELNS0_4arch9wavefront6targetE0EEEvSK_.has_recursion, 0
	.set _ZN7rocprim17ROCPRIM_400000_NS6detail17trampoline_kernelINS0_14default_configENS1_36segmented_radix_sort_config_selectorIhlEEZNS1_25segmented_radix_sort_implIS3_Lb1EPKhPhPKlPlN2at6native12_GLOBAL__N_18offset_tEEE10hipError_tPvRmT1_PNSt15iterator_traitsISK_E10value_typeET2_T3_PNSL_ISQ_E10value_typeET4_jRbjT5_SW_jjP12ihipStream_tbEUlT_E0_NS1_11comp_targetILNS1_3genE4ELNS1_11target_archE910ELNS1_3gpuE8ELNS1_3repE0EEENS1_60segmented_radix_sort_warp_sort_medium_config_static_selectorELNS0_4arch9wavefront6targetE0EEEvSK_.has_indirect_call, 0
	.section	.AMDGPU.csdata,"",@progbits
; Kernel info:
; codeLenInByte = 0
; TotalNumSgprs: 0
; NumVgprs: 0
; ScratchSize: 0
; MemoryBound: 0
; FloatMode: 240
; IeeeMode: 1
; LDSByteSize: 0 bytes/workgroup (compile time only)
; SGPRBlocks: 0
; VGPRBlocks: 0
; NumSGPRsForWavesPerEU: 1
; NumVGPRsForWavesPerEU: 1
; Occupancy: 16
; WaveLimiterHint : 0
; COMPUTE_PGM_RSRC2:SCRATCH_EN: 0
; COMPUTE_PGM_RSRC2:USER_SGPR: 2
; COMPUTE_PGM_RSRC2:TRAP_HANDLER: 0
; COMPUTE_PGM_RSRC2:TGID_X_EN: 1
; COMPUTE_PGM_RSRC2:TGID_Y_EN: 0
; COMPUTE_PGM_RSRC2:TGID_Z_EN: 0
; COMPUTE_PGM_RSRC2:TIDIG_COMP_CNT: 0
	.section	.text._ZN7rocprim17ROCPRIM_400000_NS6detail17trampoline_kernelINS0_14default_configENS1_36segmented_radix_sort_config_selectorIhlEEZNS1_25segmented_radix_sort_implIS3_Lb1EPKhPhPKlPlN2at6native12_GLOBAL__N_18offset_tEEE10hipError_tPvRmT1_PNSt15iterator_traitsISK_E10value_typeET2_T3_PNSL_ISQ_E10value_typeET4_jRbjT5_SW_jjP12ihipStream_tbEUlT_E0_NS1_11comp_targetILNS1_3genE3ELNS1_11target_archE908ELNS1_3gpuE7ELNS1_3repE0EEENS1_60segmented_radix_sort_warp_sort_medium_config_static_selectorELNS0_4arch9wavefront6targetE0EEEvSK_,"axG",@progbits,_ZN7rocprim17ROCPRIM_400000_NS6detail17trampoline_kernelINS0_14default_configENS1_36segmented_radix_sort_config_selectorIhlEEZNS1_25segmented_radix_sort_implIS3_Lb1EPKhPhPKlPlN2at6native12_GLOBAL__N_18offset_tEEE10hipError_tPvRmT1_PNSt15iterator_traitsISK_E10value_typeET2_T3_PNSL_ISQ_E10value_typeET4_jRbjT5_SW_jjP12ihipStream_tbEUlT_E0_NS1_11comp_targetILNS1_3genE3ELNS1_11target_archE908ELNS1_3gpuE7ELNS1_3repE0EEENS1_60segmented_radix_sort_warp_sort_medium_config_static_selectorELNS0_4arch9wavefront6targetE0EEEvSK_,comdat
	.globl	_ZN7rocprim17ROCPRIM_400000_NS6detail17trampoline_kernelINS0_14default_configENS1_36segmented_radix_sort_config_selectorIhlEEZNS1_25segmented_radix_sort_implIS3_Lb1EPKhPhPKlPlN2at6native12_GLOBAL__N_18offset_tEEE10hipError_tPvRmT1_PNSt15iterator_traitsISK_E10value_typeET2_T3_PNSL_ISQ_E10value_typeET4_jRbjT5_SW_jjP12ihipStream_tbEUlT_E0_NS1_11comp_targetILNS1_3genE3ELNS1_11target_archE908ELNS1_3gpuE7ELNS1_3repE0EEENS1_60segmented_radix_sort_warp_sort_medium_config_static_selectorELNS0_4arch9wavefront6targetE0EEEvSK_ ; -- Begin function _ZN7rocprim17ROCPRIM_400000_NS6detail17trampoline_kernelINS0_14default_configENS1_36segmented_radix_sort_config_selectorIhlEEZNS1_25segmented_radix_sort_implIS3_Lb1EPKhPhPKlPlN2at6native12_GLOBAL__N_18offset_tEEE10hipError_tPvRmT1_PNSt15iterator_traitsISK_E10value_typeET2_T3_PNSL_ISQ_E10value_typeET4_jRbjT5_SW_jjP12ihipStream_tbEUlT_E0_NS1_11comp_targetILNS1_3genE3ELNS1_11target_archE908ELNS1_3gpuE7ELNS1_3repE0EEENS1_60segmented_radix_sort_warp_sort_medium_config_static_selectorELNS0_4arch9wavefront6targetE0EEEvSK_
	.p2align	8
	.type	_ZN7rocprim17ROCPRIM_400000_NS6detail17trampoline_kernelINS0_14default_configENS1_36segmented_radix_sort_config_selectorIhlEEZNS1_25segmented_radix_sort_implIS3_Lb1EPKhPhPKlPlN2at6native12_GLOBAL__N_18offset_tEEE10hipError_tPvRmT1_PNSt15iterator_traitsISK_E10value_typeET2_T3_PNSL_ISQ_E10value_typeET4_jRbjT5_SW_jjP12ihipStream_tbEUlT_E0_NS1_11comp_targetILNS1_3genE3ELNS1_11target_archE908ELNS1_3gpuE7ELNS1_3repE0EEENS1_60segmented_radix_sort_warp_sort_medium_config_static_selectorELNS0_4arch9wavefront6targetE0EEEvSK_,@function
_ZN7rocprim17ROCPRIM_400000_NS6detail17trampoline_kernelINS0_14default_configENS1_36segmented_radix_sort_config_selectorIhlEEZNS1_25segmented_radix_sort_implIS3_Lb1EPKhPhPKlPlN2at6native12_GLOBAL__N_18offset_tEEE10hipError_tPvRmT1_PNSt15iterator_traitsISK_E10value_typeET2_T3_PNSL_ISQ_E10value_typeET4_jRbjT5_SW_jjP12ihipStream_tbEUlT_E0_NS1_11comp_targetILNS1_3genE3ELNS1_11target_archE908ELNS1_3gpuE7ELNS1_3repE0EEENS1_60segmented_radix_sort_warp_sort_medium_config_static_selectorELNS0_4arch9wavefront6targetE0EEEvSK_: ; @_ZN7rocprim17ROCPRIM_400000_NS6detail17trampoline_kernelINS0_14default_configENS1_36segmented_radix_sort_config_selectorIhlEEZNS1_25segmented_radix_sort_implIS3_Lb1EPKhPhPKlPlN2at6native12_GLOBAL__N_18offset_tEEE10hipError_tPvRmT1_PNSt15iterator_traitsISK_E10value_typeET2_T3_PNSL_ISQ_E10value_typeET4_jRbjT5_SW_jjP12ihipStream_tbEUlT_E0_NS1_11comp_targetILNS1_3genE3ELNS1_11target_archE908ELNS1_3gpuE7ELNS1_3repE0EEENS1_60segmented_radix_sort_warp_sort_medium_config_static_selectorELNS0_4arch9wavefront6targetE0EEEvSK_
; %bb.0:
	.section	.rodata,"a",@progbits
	.p2align	6, 0x0
	.amdhsa_kernel _ZN7rocprim17ROCPRIM_400000_NS6detail17trampoline_kernelINS0_14default_configENS1_36segmented_radix_sort_config_selectorIhlEEZNS1_25segmented_radix_sort_implIS3_Lb1EPKhPhPKlPlN2at6native12_GLOBAL__N_18offset_tEEE10hipError_tPvRmT1_PNSt15iterator_traitsISK_E10value_typeET2_T3_PNSL_ISQ_E10value_typeET4_jRbjT5_SW_jjP12ihipStream_tbEUlT_E0_NS1_11comp_targetILNS1_3genE3ELNS1_11target_archE908ELNS1_3gpuE7ELNS1_3repE0EEENS1_60segmented_radix_sort_warp_sort_medium_config_static_selectorELNS0_4arch9wavefront6targetE0EEEvSK_
		.amdhsa_group_segment_fixed_size 0
		.amdhsa_private_segment_fixed_size 0
		.amdhsa_kernarg_size 88
		.amdhsa_user_sgpr_count 2
		.amdhsa_user_sgpr_dispatch_ptr 0
		.amdhsa_user_sgpr_queue_ptr 0
		.amdhsa_user_sgpr_kernarg_segment_ptr 1
		.amdhsa_user_sgpr_dispatch_id 0
		.amdhsa_user_sgpr_private_segment_size 0
		.amdhsa_wavefront_size32 1
		.amdhsa_uses_dynamic_stack 0
		.amdhsa_enable_private_segment 0
		.amdhsa_system_sgpr_workgroup_id_x 1
		.amdhsa_system_sgpr_workgroup_id_y 0
		.amdhsa_system_sgpr_workgroup_id_z 0
		.amdhsa_system_sgpr_workgroup_info 0
		.amdhsa_system_vgpr_workitem_id 0
		.amdhsa_next_free_vgpr 1
		.amdhsa_next_free_sgpr 1
		.amdhsa_reserve_vcc 0
		.amdhsa_float_round_mode_32 0
		.amdhsa_float_round_mode_16_64 0
		.amdhsa_float_denorm_mode_32 3
		.amdhsa_float_denorm_mode_16_64 3
		.amdhsa_fp16_overflow 0
		.amdhsa_workgroup_processor_mode 1
		.amdhsa_memory_ordered 1
		.amdhsa_forward_progress 1
		.amdhsa_inst_pref_size 0
		.amdhsa_round_robin_scheduling 0
		.amdhsa_exception_fp_ieee_invalid_op 0
		.amdhsa_exception_fp_denorm_src 0
		.amdhsa_exception_fp_ieee_div_zero 0
		.amdhsa_exception_fp_ieee_overflow 0
		.amdhsa_exception_fp_ieee_underflow 0
		.amdhsa_exception_fp_ieee_inexact 0
		.amdhsa_exception_int_div_zero 0
	.end_amdhsa_kernel
	.section	.text._ZN7rocprim17ROCPRIM_400000_NS6detail17trampoline_kernelINS0_14default_configENS1_36segmented_radix_sort_config_selectorIhlEEZNS1_25segmented_radix_sort_implIS3_Lb1EPKhPhPKlPlN2at6native12_GLOBAL__N_18offset_tEEE10hipError_tPvRmT1_PNSt15iterator_traitsISK_E10value_typeET2_T3_PNSL_ISQ_E10value_typeET4_jRbjT5_SW_jjP12ihipStream_tbEUlT_E0_NS1_11comp_targetILNS1_3genE3ELNS1_11target_archE908ELNS1_3gpuE7ELNS1_3repE0EEENS1_60segmented_radix_sort_warp_sort_medium_config_static_selectorELNS0_4arch9wavefront6targetE0EEEvSK_,"axG",@progbits,_ZN7rocprim17ROCPRIM_400000_NS6detail17trampoline_kernelINS0_14default_configENS1_36segmented_radix_sort_config_selectorIhlEEZNS1_25segmented_radix_sort_implIS3_Lb1EPKhPhPKlPlN2at6native12_GLOBAL__N_18offset_tEEE10hipError_tPvRmT1_PNSt15iterator_traitsISK_E10value_typeET2_T3_PNSL_ISQ_E10value_typeET4_jRbjT5_SW_jjP12ihipStream_tbEUlT_E0_NS1_11comp_targetILNS1_3genE3ELNS1_11target_archE908ELNS1_3gpuE7ELNS1_3repE0EEENS1_60segmented_radix_sort_warp_sort_medium_config_static_selectorELNS0_4arch9wavefront6targetE0EEEvSK_,comdat
.Lfunc_end96:
	.size	_ZN7rocprim17ROCPRIM_400000_NS6detail17trampoline_kernelINS0_14default_configENS1_36segmented_radix_sort_config_selectorIhlEEZNS1_25segmented_radix_sort_implIS3_Lb1EPKhPhPKlPlN2at6native12_GLOBAL__N_18offset_tEEE10hipError_tPvRmT1_PNSt15iterator_traitsISK_E10value_typeET2_T3_PNSL_ISQ_E10value_typeET4_jRbjT5_SW_jjP12ihipStream_tbEUlT_E0_NS1_11comp_targetILNS1_3genE3ELNS1_11target_archE908ELNS1_3gpuE7ELNS1_3repE0EEENS1_60segmented_radix_sort_warp_sort_medium_config_static_selectorELNS0_4arch9wavefront6targetE0EEEvSK_, .Lfunc_end96-_ZN7rocprim17ROCPRIM_400000_NS6detail17trampoline_kernelINS0_14default_configENS1_36segmented_radix_sort_config_selectorIhlEEZNS1_25segmented_radix_sort_implIS3_Lb1EPKhPhPKlPlN2at6native12_GLOBAL__N_18offset_tEEE10hipError_tPvRmT1_PNSt15iterator_traitsISK_E10value_typeET2_T3_PNSL_ISQ_E10value_typeET4_jRbjT5_SW_jjP12ihipStream_tbEUlT_E0_NS1_11comp_targetILNS1_3genE3ELNS1_11target_archE908ELNS1_3gpuE7ELNS1_3repE0EEENS1_60segmented_radix_sort_warp_sort_medium_config_static_selectorELNS0_4arch9wavefront6targetE0EEEvSK_
                                        ; -- End function
	.set _ZN7rocprim17ROCPRIM_400000_NS6detail17trampoline_kernelINS0_14default_configENS1_36segmented_radix_sort_config_selectorIhlEEZNS1_25segmented_radix_sort_implIS3_Lb1EPKhPhPKlPlN2at6native12_GLOBAL__N_18offset_tEEE10hipError_tPvRmT1_PNSt15iterator_traitsISK_E10value_typeET2_T3_PNSL_ISQ_E10value_typeET4_jRbjT5_SW_jjP12ihipStream_tbEUlT_E0_NS1_11comp_targetILNS1_3genE3ELNS1_11target_archE908ELNS1_3gpuE7ELNS1_3repE0EEENS1_60segmented_radix_sort_warp_sort_medium_config_static_selectorELNS0_4arch9wavefront6targetE0EEEvSK_.num_vgpr, 0
	.set _ZN7rocprim17ROCPRIM_400000_NS6detail17trampoline_kernelINS0_14default_configENS1_36segmented_radix_sort_config_selectorIhlEEZNS1_25segmented_radix_sort_implIS3_Lb1EPKhPhPKlPlN2at6native12_GLOBAL__N_18offset_tEEE10hipError_tPvRmT1_PNSt15iterator_traitsISK_E10value_typeET2_T3_PNSL_ISQ_E10value_typeET4_jRbjT5_SW_jjP12ihipStream_tbEUlT_E0_NS1_11comp_targetILNS1_3genE3ELNS1_11target_archE908ELNS1_3gpuE7ELNS1_3repE0EEENS1_60segmented_radix_sort_warp_sort_medium_config_static_selectorELNS0_4arch9wavefront6targetE0EEEvSK_.num_agpr, 0
	.set _ZN7rocprim17ROCPRIM_400000_NS6detail17trampoline_kernelINS0_14default_configENS1_36segmented_radix_sort_config_selectorIhlEEZNS1_25segmented_radix_sort_implIS3_Lb1EPKhPhPKlPlN2at6native12_GLOBAL__N_18offset_tEEE10hipError_tPvRmT1_PNSt15iterator_traitsISK_E10value_typeET2_T3_PNSL_ISQ_E10value_typeET4_jRbjT5_SW_jjP12ihipStream_tbEUlT_E0_NS1_11comp_targetILNS1_3genE3ELNS1_11target_archE908ELNS1_3gpuE7ELNS1_3repE0EEENS1_60segmented_radix_sort_warp_sort_medium_config_static_selectorELNS0_4arch9wavefront6targetE0EEEvSK_.numbered_sgpr, 0
	.set _ZN7rocprim17ROCPRIM_400000_NS6detail17trampoline_kernelINS0_14default_configENS1_36segmented_radix_sort_config_selectorIhlEEZNS1_25segmented_radix_sort_implIS3_Lb1EPKhPhPKlPlN2at6native12_GLOBAL__N_18offset_tEEE10hipError_tPvRmT1_PNSt15iterator_traitsISK_E10value_typeET2_T3_PNSL_ISQ_E10value_typeET4_jRbjT5_SW_jjP12ihipStream_tbEUlT_E0_NS1_11comp_targetILNS1_3genE3ELNS1_11target_archE908ELNS1_3gpuE7ELNS1_3repE0EEENS1_60segmented_radix_sort_warp_sort_medium_config_static_selectorELNS0_4arch9wavefront6targetE0EEEvSK_.num_named_barrier, 0
	.set _ZN7rocprim17ROCPRIM_400000_NS6detail17trampoline_kernelINS0_14default_configENS1_36segmented_radix_sort_config_selectorIhlEEZNS1_25segmented_radix_sort_implIS3_Lb1EPKhPhPKlPlN2at6native12_GLOBAL__N_18offset_tEEE10hipError_tPvRmT1_PNSt15iterator_traitsISK_E10value_typeET2_T3_PNSL_ISQ_E10value_typeET4_jRbjT5_SW_jjP12ihipStream_tbEUlT_E0_NS1_11comp_targetILNS1_3genE3ELNS1_11target_archE908ELNS1_3gpuE7ELNS1_3repE0EEENS1_60segmented_radix_sort_warp_sort_medium_config_static_selectorELNS0_4arch9wavefront6targetE0EEEvSK_.private_seg_size, 0
	.set _ZN7rocprim17ROCPRIM_400000_NS6detail17trampoline_kernelINS0_14default_configENS1_36segmented_radix_sort_config_selectorIhlEEZNS1_25segmented_radix_sort_implIS3_Lb1EPKhPhPKlPlN2at6native12_GLOBAL__N_18offset_tEEE10hipError_tPvRmT1_PNSt15iterator_traitsISK_E10value_typeET2_T3_PNSL_ISQ_E10value_typeET4_jRbjT5_SW_jjP12ihipStream_tbEUlT_E0_NS1_11comp_targetILNS1_3genE3ELNS1_11target_archE908ELNS1_3gpuE7ELNS1_3repE0EEENS1_60segmented_radix_sort_warp_sort_medium_config_static_selectorELNS0_4arch9wavefront6targetE0EEEvSK_.uses_vcc, 0
	.set _ZN7rocprim17ROCPRIM_400000_NS6detail17trampoline_kernelINS0_14default_configENS1_36segmented_radix_sort_config_selectorIhlEEZNS1_25segmented_radix_sort_implIS3_Lb1EPKhPhPKlPlN2at6native12_GLOBAL__N_18offset_tEEE10hipError_tPvRmT1_PNSt15iterator_traitsISK_E10value_typeET2_T3_PNSL_ISQ_E10value_typeET4_jRbjT5_SW_jjP12ihipStream_tbEUlT_E0_NS1_11comp_targetILNS1_3genE3ELNS1_11target_archE908ELNS1_3gpuE7ELNS1_3repE0EEENS1_60segmented_radix_sort_warp_sort_medium_config_static_selectorELNS0_4arch9wavefront6targetE0EEEvSK_.uses_flat_scratch, 0
	.set _ZN7rocprim17ROCPRIM_400000_NS6detail17trampoline_kernelINS0_14default_configENS1_36segmented_radix_sort_config_selectorIhlEEZNS1_25segmented_radix_sort_implIS3_Lb1EPKhPhPKlPlN2at6native12_GLOBAL__N_18offset_tEEE10hipError_tPvRmT1_PNSt15iterator_traitsISK_E10value_typeET2_T3_PNSL_ISQ_E10value_typeET4_jRbjT5_SW_jjP12ihipStream_tbEUlT_E0_NS1_11comp_targetILNS1_3genE3ELNS1_11target_archE908ELNS1_3gpuE7ELNS1_3repE0EEENS1_60segmented_radix_sort_warp_sort_medium_config_static_selectorELNS0_4arch9wavefront6targetE0EEEvSK_.has_dyn_sized_stack, 0
	.set _ZN7rocprim17ROCPRIM_400000_NS6detail17trampoline_kernelINS0_14default_configENS1_36segmented_radix_sort_config_selectorIhlEEZNS1_25segmented_radix_sort_implIS3_Lb1EPKhPhPKlPlN2at6native12_GLOBAL__N_18offset_tEEE10hipError_tPvRmT1_PNSt15iterator_traitsISK_E10value_typeET2_T3_PNSL_ISQ_E10value_typeET4_jRbjT5_SW_jjP12ihipStream_tbEUlT_E0_NS1_11comp_targetILNS1_3genE3ELNS1_11target_archE908ELNS1_3gpuE7ELNS1_3repE0EEENS1_60segmented_radix_sort_warp_sort_medium_config_static_selectorELNS0_4arch9wavefront6targetE0EEEvSK_.has_recursion, 0
	.set _ZN7rocprim17ROCPRIM_400000_NS6detail17trampoline_kernelINS0_14default_configENS1_36segmented_radix_sort_config_selectorIhlEEZNS1_25segmented_radix_sort_implIS3_Lb1EPKhPhPKlPlN2at6native12_GLOBAL__N_18offset_tEEE10hipError_tPvRmT1_PNSt15iterator_traitsISK_E10value_typeET2_T3_PNSL_ISQ_E10value_typeET4_jRbjT5_SW_jjP12ihipStream_tbEUlT_E0_NS1_11comp_targetILNS1_3genE3ELNS1_11target_archE908ELNS1_3gpuE7ELNS1_3repE0EEENS1_60segmented_radix_sort_warp_sort_medium_config_static_selectorELNS0_4arch9wavefront6targetE0EEEvSK_.has_indirect_call, 0
	.section	.AMDGPU.csdata,"",@progbits
; Kernel info:
; codeLenInByte = 0
; TotalNumSgprs: 0
; NumVgprs: 0
; ScratchSize: 0
; MemoryBound: 0
; FloatMode: 240
; IeeeMode: 1
; LDSByteSize: 0 bytes/workgroup (compile time only)
; SGPRBlocks: 0
; VGPRBlocks: 0
; NumSGPRsForWavesPerEU: 1
; NumVGPRsForWavesPerEU: 1
; Occupancy: 16
; WaveLimiterHint : 0
; COMPUTE_PGM_RSRC2:SCRATCH_EN: 0
; COMPUTE_PGM_RSRC2:USER_SGPR: 2
; COMPUTE_PGM_RSRC2:TRAP_HANDLER: 0
; COMPUTE_PGM_RSRC2:TGID_X_EN: 1
; COMPUTE_PGM_RSRC2:TGID_Y_EN: 0
; COMPUTE_PGM_RSRC2:TGID_Z_EN: 0
; COMPUTE_PGM_RSRC2:TIDIG_COMP_CNT: 0
	.section	.text._ZN7rocprim17ROCPRIM_400000_NS6detail17trampoline_kernelINS0_14default_configENS1_36segmented_radix_sort_config_selectorIhlEEZNS1_25segmented_radix_sort_implIS3_Lb1EPKhPhPKlPlN2at6native12_GLOBAL__N_18offset_tEEE10hipError_tPvRmT1_PNSt15iterator_traitsISK_E10value_typeET2_T3_PNSL_ISQ_E10value_typeET4_jRbjT5_SW_jjP12ihipStream_tbEUlT_E0_NS1_11comp_targetILNS1_3genE2ELNS1_11target_archE906ELNS1_3gpuE6ELNS1_3repE0EEENS1_60segmented_radix_sort_warp_sort_medium_config_static_selectorELNS0_4arch9wavefront6targetE0EEEvSK_,"axG",@progbits,_ZN7rocprim17ROCPRIM_400000_NS6detail17trampoline_kernelINS0_14default_configENS1_36segmented_radix_sort_config_selectorIhlEEZNS1_25segmented_radix_sort_implIS3_Lb1EPKhPhPKlPlN2at6native12_GLOBAL__N_18offset_tEEE10hipError_tPvRmT1_PNSt15iterator_traitsISK_E10value_typeET2_T3_PNSL_ISQ_E10value_typeET4_jRbjT5_SW_jjP12ihipStream_tbEUlT_E0_NS1_11comp_targetILNS1_3genE2ELNS1_11target_archE906ELNS1_3gpuE6ELNS1_3repE0EEENS1_60segmented_radix_sort_warp_sort_medium_config_static_selectorELNS0_4arch9wavefront6targetE0EEEvSK_,comdat
	.globl	_ZN7rocprim17ROCPRIM_400000_NS6detail17trampoline_kernelINS0_14default_configENS1_36segmented_radix_sort_config_selectorIhlEEZNS1_25segmented_radix_sort_implIS3_Lb1EPKhPhPKlPlN2at6native12_GLOBAL__N_18offset_tEEE10hipError_tPvRmT1_PNSt15iterator_traitsISK_E10value_typeET2_T3_PNSL_ISQ_E10value_typeET4_jRbjT5_SW_jjP12ihipStream_tbEUlT_E0_NS1_11comp_targetILNS1_3genE2ELNS1_11target_archE906ELNS1_3gpuE6ELNS1_3repE0EEENS1_60segmented_radix_sort_warp_sort_medium_config_static_selectorELNS0_4arch9wavefront6targetE0EEEvSK_ ; -- Begin function _ZN7rocprim17ROCPRIM_400000_NS6detail17trampoline_kernelINS0_14default_configENS1_36segmented_radix_sort_config_selectorIhlEEZNS1_25segmented_radix_sort_implIS3_Lb1EPKhPhPKlPlN2at6native12_GLOBAL__N_18offset_tEEE10hipError_tPvRmT1_PNSt15iterator_traitsISK_E10value_typeET2_T3_PNSL_ISQ_E10value_typeET4_jRbjT5_SW_jjP12ihipStream_tbEUlT_E0_NS1_11comp_targetILNS1_3genE2ELNS1_11target_archE906ELNS1_3gpuE6ELNS1_3repE0EEENS1_60segmented_radix_sort_warp_sort_medium_config_static_selectorELNS0_4arch9wavefront6targetE0EEEvSK_
	.p2align	8
	.type	_ZN7rocprim17ROCPRIM_400000_NS6detail17trampoline_kernelINS0_14default_configENS1_36segmented_radix_sort_config_selectorIhlEEZNS1_25segmented_radix_sort_implIS3_Lb1EPKhPhPKlPlN2at6native12_GLOBAL__N_18offset_tEEE10hipError_tPvRmT1_PNSt15iterator_traitsISK_E10value_typeET2_T3_PNSL_ISQ_E10value_typeET4_jRbjT5_SW_jjP12ihipStream_tbEUlT_E0_NS1_11comp_targetILNS1_3genE2ELNS1_11target_archE906ELNS1_3gpuE6ELNS1_3repE0EEENS1_60segmented_radix_sort_warp_sort_medium_config_static_selectorELNS0_4arch9wavefront6targetE0EEEvSK_,@function
_ZN7rocprim17ROCPRIM_400000_NS6detail17trampoline_kernelINS0_14default_configENS1_36segmented_radix_sort_config_selectorIhlEEZNS1_25segmented_radix_sort_implIS3_Lb1EPKhPhPKlPlN2at6native12_GLOBAL__N_18offset_tEEE10hipError_tPvRmT1_PNSt15iterator_traitsISK_E10value_typeET2_T3_PNSL_ISQ_E10value_typeET4_jRbjT5_SW_jjP12ihipStream_tbEUlT_E0_NS1_11comp_targetILNS1_3genE2ELNS1_11target_archE906ELNS1_3gpuE6ELNS1_3repE0EEENS1_60segmented_radix_sort_warp_sort_medium_config_static_selectorELNS0_4arch9wavefront6targetE0EEEvSK_: ; @_ZN7rocprim17ROCPRIM_400000_NS6detail17trampoline_kernelINS0_14default_configENS1_36segmented_radix_sort_config_selectorIhlEEZNS1_25segmented_radix_sort_implIS3_Lb1EPKhPhPKlPlN2at6native12_GLOBAL__N_18offset_tEEE10hipError_tPvRmT1_PNSt15iterator_traitsISK_E10value_typeET2_T3_PNSL_ISQ_E10value_typeET4_jRbjT5_SW_jjP12ihipStream_tbEUlT_E0_NS1_11comp_targetILNS1_3genE2ELNS1_11target_archE906ELNS1_3gpuE6ELNS1_3repE0EEENS1_60segmented_radix_sort_warp_sort_medium_config_static_selectorELNS0_4arch9wavefront6targetE0EEEvSK_
; %bb.0:
	.section	.rodata,"a",@progbits
	.p2align	6, 0x0
	.amdhsa_kernel _ZN7rocprim17ROCPRIM_400000_NS6detail17trampoline_kernelINS0_14default_configENS1_36segmented_radix_sort_config_selectorIhlEEZNS1_25segmented_radix_sort_implIS3_Lb1EPKhPhPKlPlN2at6native12_GLOBAL__N_18offset_tEEE10hipError_tPvRmT1_PNSt15iterator_traitsISK_E10value_typeET2_T3_PNSL_ISQ_E10value_typeET4_jRbjT5_SW_jjP12ihipStream_tbEUlT_E0_NS1_11comp_targetILNS1_3genE2ELNS1_11target_archE906ELNS1_3gpuE6ELNS1_3repE0EEENS1_60segmented_radix_sort_warp_sort_medium_config_static_selectorELNS0_4arch9wavefront6targetE0EEEvSK_
		.amdhsa_group_segment_fixed_size 0
		.amdhsa_private_segment_fixed_size 0
		.amdhsa_kernarg_size 88
		.amdhsa_user_sgpr_count 2
		.amdhsa_user_sgpr_dispatch_ptr 0
		.amdhsa_user_sgpr_queue_ptr 0
		.amdhsa_user_sgpr_kernarg_segment_ptr 1
		.amdhsa_user_sgpr_dispatch_id 0
		.amdhsa_user_sgpr_private_segment_size 0
		.amdhsa_wavefront_size32 1
		.amdhsa_uses_dynamic_stack 0
		.amdhsa_enable_private_segment 0
		.amdhsa_system_sgpr_workgroup_id_x 1
		.amdhsa_system_sgpr_workgroup_id_y 0
		.amdhsa_system_sgpr_workgroup_id_z 0
		.amdhsa_system_sgpr_workgroup_info 0
		.amdhsa_system_vgpr_workitem_id 0
		.amdhsa_next_free_vgpr 1
		.amdhsa_next_free_sgpr 1
		.amdhsa_reserve_vcc 0
		.amdhsa_float_round_mode_32 0
		.amdhsa_float_round_mode_16_64 0
		.amdhsa_float_denorm_mode_32 3
		.amdhsa_float_denorm_mode_16_64 3
		.amdhsa_fp16_overflow 0
		.amdhsa_workgroup_processor_mode 1
		.amdhsa_memory_ordered 1
		.amdhsa_forward_progress 1
		.amdhsa_inst_pref_size 0
		.amdhsa_round_robin_scheduling 0
		.amdhsa_exception_fp_ieee_invalid_op 0
		.amdhsa_exception_fp_denorm_src 0
		.amdhsa_exception_fp_ieee_div_zero 0
		.amdhsa_exception_fp_ieee_overflow 0
		.amdhsa_exception_fp_ieee_underflow 0
		.amdhsa_exception_fp_ieee_inexact 0
		.amdhsa_exception_int_div_zero 0
	.end_amdhsa_kernel
	.section	.text._ZN7rocprim17ROCPRIM_400000_NS6detail17trampoline_kernelINS0_14default_configENS1_36segmented_radix_sort_config_selectorIhlEEZNS1_25segmented_radix_sort_implIS3_Lb1EPKhPhPKlPlN2at6native12_GLOBAL__N_18offset_tEEE10hipError_tPvRmT1_PNSt15iterator_traitsISK_E10value_typeET2_T3_PNSL_ISQ_E10value_typeET4_jRbjT5_SW_jjP12ihipStream_tbEUlT_E0_NS1_11comp_targetILNS1_3genE2ELNS1_11target_archE906ELNS1_3gpuE6ELNS1_3repE0EEENS1_60segmented_radix_sort_warp_sort_medium_config_static_selectorELNS0_4arch9wavefront6targetE0EEEvSK_,"axG",@progbits,_ZN7rocprim17ROCPRIM_400000_NS6detail17trampoline_kernelINS0_14default_configENS1_36segmented_radix_sort_config_selectorIhlEEZNS1_25segmented_radix_sort_implIS3_Lb1EPKhPhPKlPlN2at6native12_GLOBAL__N_18offset_tEEE10hipError_tPvRmT1_PNSt15iterator_traitsISK_E10value_typeET2_T3_PNSL_ISQ_E10value_typeET4_jRbjT5_SW_jjP12ihipStream_tbEUlT_E0_NS1_11comp_targetILNS1_3genE2ELNS1_11target_archE906ELNS1_3gpuE6ELNS1_3repE0EEENS1_60segmented_radix_sort_warp_sort_medium_config_static_selectorELNS0_4arch9wavefront6targetE0EEEvSK_,comdat
.Lfunc_end97:
	.size	_ZN7rocprim17ROCPRIM_400000_NS6detail17trampoline_kernelINS0_14default_configENS1_36segmented_radix_sort_config_selectorIhlEEZNS1_25segmented_radix_sort_implIS3_Lb1EPKhPhPKlPlN2at6native12_GLOBAL__N_18offset_tEEE10hipError_tPvRmT1_PNSt15iterator_traitsISK_E10value_typeET2_T3_PNSL_ISQ_E10value_typeET4_jRbjT5_SW_jjP12ihipStream_tbEUlT_E0_NS1_11comp_targetILNS1_3genE2ELNS1_11target_archE906ELNS1_3gpuE6ELNS1_3repE0EEENS1_60segmented_radix_sort_warp_sort_medium_config_static_selectorELNS0_4arch9wavefront6targetE0EEEvSK_, .Lfunc_end97-_ZN7rocprim17ROCPRIM_400000_NS6detail17trampoline_kernelINS0_14default_configENS1_36segmented_radix_sort_config_selectorIhlEEZNS1_25segmented_radix_sort_implIS3_Lb1EPKhPhPKlPlN2at6native12_GLOBAL__N_18offset_tEEE10hipError_tPvRmT1_PNSt15iterator_traitsISK_E10value_typeET2_T3_PNSL_ISQ_E10value_typeET4_jRbjT5_SW_jjP12ihipStream_tbEUlT_E0_NS1_11comp_targetILNS1_3genE2ELNS1_11target_archE906ELNS1_3gpuE6ELNS1_3repE0EEENS1_60segmented_radix_sort_warp_sort_medium_config_static_selectorELNS0_4arch9wavefront6targetE0EEEvSK_
                                        ; -- End function
	.set _ZN7rocprim17ROCPRIM_400000_NS6detail17trampoline_kernelINS0_14default_configENS1_36segmented_radix_sort_config_selectorIhlEEZNS1_25segmented_radix_sort_implIS3_Lb1EPKhPhPKlPlN2at6native12_GLOBAL__N_18offset_tEEE10hipError_tPvRmT1_PNSt15iterator_traitsISK_E10value_typeET2_T3_PNSL_ISQ_E10value_typeET4_jRbjT5_SW_jjP12ihipStream_tbEUlT_E0_NS1_11comp_targetILNS1_3genE2ELNS1_11target_archE906ELNS1_3gpuE6ELNS1_3repE0EEENS1_60segmented_radix_sort_warp_sort_medium_config_static_selectorELNS0_4arch9wavefront6targetE0EEEvSK_.num_vgpr, 0
	.set _ZN7rocprim17ROCPRIM_400000_NS6detail17trampoline_kernelINS0_14default_configENS1_36segmented_radix_sort_config_selectorIhlEEZNS1_25segmented_radix_sort_implIS3_Lb1EPKhPhPKlPlN2at6native12_GLOBAL__N_18offset_tEEE10hipError_tPvRmT1_PNSt15iterator_traitsISK_E10value_typeET2_T3_PNSL_ISQ_E10value_typeET4_jRbjT5_SW_jjP12ihipStream_tbEUlT_E0_NS1_11comp_targetILNS1_3genE2ELNS1_11target_archE906ELNS1_3gpuE6ELNS1_3repE0EEENS1_60segmented_radix_sort_warp_sort_medium_config_static_selectorELNS0_4arch9wavefront6targetE0EEEvSK_.num_agpr, 0
	.set _ZN7rocprim17ROCPRIM_400000_NS6detail17trampoline_kernelINS0_14default_configENS1_36segmented_radix_sort_config_selectorIhlEEZNS1_25segmented_radix_sort_implIS3_Lb1EPKhPhPKlPlN2at6native12_GLOBAL__N_18offset_tEEE10hipError_tPvRmT1_PNSt15iterator_traitsISK_E10value_typeET2_T3_PNSL_ISQ_E10value_typeET4_jRbjT5_SW_jjP12ihipStream_tbEUlT_E0_NS1_11comp_targetILNS1_3genE2ELNS1_11target_archE906ELNS1_3gpuE6ELNS1_3repE0EEENS1_60segmented_radix_sort_warp_sort_medium_config_static_selectorELNS0_4arch9wavefront6targetE0EEEvSK_.numbered_sgpr, 0
	.set _ZN7rocprim17ROCPRIM_400000_NS6detail17trampoline_kernelINS0_14default_configENS1_36segmented_radix_sort_config_selectorIhlEEZNS1_25segmented_radix_sort_implIS3_Lb1EPKhPhPKlPlN2at6native12_GLOBAL__N_18offset_tEEE10hipError_tPvRmT1_PNSt15iterator_traitsISK_E10value_typeET2_T3_PNSL_ISQ_E10value_typeET4_jRbjT5_SW_jjP12ihipStream_tbEUlT_E0_NS1_11comp_targetILNS1_3genE2ELNS1_11target_archE906ELNS1_3gpuE6ELNS1_3repE0EEENS1_60segmented_radix_sort_warp_sort_medium_config_static_selectorELNS0_4arch9wavefront6targetE0EEEvSK_.num_named_barrier, 0
	.set _ZN7rocprim17ROCPRIM_400000_NS6detail17trampoline_kernelINS0_14default_configENS1_36segmented_radix_sort_config_selectorIhlEEZNS1_25segmented_radix_sort_implIS3_Lb1EPKhPhPKlPlN2at6native12_GLOBAL__N_18offset_tEEE10hipError_tPvRmT1_PNSt15iterator_traitsISK_E10value_typeET2_T3_PNSL_ISQ_E10value_typeET4_jRbjT5_SW_jjP12ihipStream_tbEUlT_E0_NS1_11comp_targetILNS1_3genE2ELNS1_11target_archE906ELNS1_3gpuE6ELNS1_3repE0EEENS1_60segmented_radix_sort_warp_sort_medium_config_static_selectorELNS0_4arch9wavefront6targetE0EEEvSK_.private_seg_size, 0
	.set _ZN7rocprim17ROCPRIM_400000_NS6detail17trampoline_kernelINS0_14default_configENS1_36segmented_radix_sort_config_selectorIhlEEZNS1_25segmented_radix_sort_implIS3_Lb1EPKhPhPKlPlN2at6native12_GLOBAL__N_18offset_tEEE10hipError_tPvRmT1_PNSt15iterator_traitsISK_E10value_typeET2_T3_PNSL_ISQ_E10value_typeET4_jRbjT5_SW_jjP12ihipStream_tbEUlT_E0_NS1_11comp_targetILNS1_3genE2ELNS1_11target_archE906ELNS1_3gpuE6ELNS1_3repE0EEENS1_60segmented_radix_sort_warp_sort_medium_config_static_selectorELNS0_4arch9wavefront6targetE0EEEvSK_.uses_vcc, 0
	.set _ZN7rocprim17ROCPRIM_400000_NS6detail17trampoline_kernelINS0_14default_configENS1_36segmented_radix_sort_config_selectorIhlEEZNS1_25segmented_radix_sort_implIS3_Lb1EPKhPhPKlPlN2at6native12_GLOBAL__N_18offset_tEEE10hipError_tPvRmT1_PNSt15iterator_traitsISK_E10value_typeET2_T3_PNSL_ISQ_E10value_typeET4_jRbjT5_SW_jjP12ihipStream_tbEUlT_E0_NS1_11comp_targetILNS1_3genE2ELNS1_11target_archE906ELNS1_3gpuE6ELNS1_3repE0EEENS1_60segmented_radix_sort_warp_sort_medium_config_static_selectorELNS0_4arch9wavefront6targetE0EEEvSK_.uses_flat_scratch, 0
	.set _ZN7rocprim17ROCPRIM_400000_NS6detail17trampoline_kernelINS0_14default_configENS1_36segmented_radix_sort_config_selectorIhlEEZNS1_25segmented_radix_sort_implIS3_Lb1EPKhPhPKlPlN2at6native12_GLOBAL__N_18offset_tEEE10hipError_tPvRmT1_PNSt15iterator_traitsISK_E10value_typeET2_T3_PNSL_ISQ_E10value_typeET4_jRbjT5_SW_jjP12ihipStream_tbEUlT_E0_NS1_11comp_targetILNS1_3genE2ELNS1_11target_archE906ELNS1_3gpuE6ELNS1_3repE0EEENS1_60segmented_radix_sort_warp_sort_medium_config_static_selectorELNS0_4arch9wavefront6targetE0EEEvSK_.has_dyn_sized_stack, 0
	.set _ZN7rocprim17ROCPRIM_400000_NS6detail17trampoline_kernelINS0_14default_configENS1_36segmented_radix_sort_config_selectorIhlEEZNS1_25segmented_radix_sort_implIS3_Lb1EPKhPhPKlPlN2at6native12_GLOBAL__N_18offset_tEEE10hipError_tPvRmT1_PNSt15iterator_traitsISK_E10value_typeET2_T3_PNSL_ISQ_E10value_typeET4_jRbjT5_SW_jjP12ihipStream_tbEUlT_E0_NS1_11comp_targetILNS1_3genE2ELNS1_11target_archE906ELNS1_3gpuE6ELNS1_3repE0EEENS1_60segmented_radix_sort_warp_sort_medium_config_static_selectorELNS0_4arch9wavefront6targetE0EEEvSK_.has_recursion, 0
	.set _ZN7rocprim17ROCPRIM_400000_NS6detail17trampoline_kernelINS0_14default_configENS1_36segmented_radix_sort_config_selectorIhlEEZNS1_25segmented_radix_sort_implIS3_Lb1EPKhPhPKlPlN2at6native12_GLOBAL__N_18offset_tEEE10hipError_tPvRmT1_PNSt15iterator_traitsISK_E10value_typeET2_T3_PNSL_ISQ_E10value_typeET4_jRbjT5_SW_jjP12ihipStream_tbEUlT_E0_NS1_11comp_targetILNS1_3genE2ELNS1_11target_archE906ELNS1_3gpuE6ELNS1_3repE0EEENS1_60segmented_radix_sort_warp_sort_medium_config_static_selectorELNS0_4arch9wavefront6targetE0EEEvSK_.has_indirect_call, 0
	.section	.AMDGPU.csdata,"",@progbits
; Kernel info:
; codeLenInByte = 0
; TotalNumSgprs: 0
; NumVgprs: 0
; ScratchSize: 0
; MemoryBound: 0
; FloatMode: 240
; IeeeMode: 1
; LDSByteSize: 0 bytes/workgroup (compile time only)
; SGPRBlocks: 0
; VGPRBlocks: 0
; NumSGPRsForWavesPerEU: 1
; NumVGPRsForWavesPerEU: 1
; Occupancy: 16
; WaveLimiterHint : 0
; COMPUTE_PGM_RSRC2:SCRATCH_EN: 0
; COMPUTE_PGM_RSRC2:USER_SGPR: 2
; COMPUTE_PGM_RSRC2:TRAP_HANDLER: 0
; COMPUTE_PGM_RSRC2:TGID_X_EN: 1
; COMPUTE_PGM_RSRC2:TGID_Y_EN: 0
; COMPUTE_PGM_RSRC2:TGID_Z_EN: 0
; COMPUTE_PGM_RSRC2:TIDIG_COMP_CNT: 0
	.text
	.p2align	2                               ; -- Begin function _ZN7rocprim17ROCPRIM_400000_NS6detail26segmented_warp_sort_helperINS1_20WarpSortHelperConfigILj16ELj8ELj256EEEhlLi256ELb1EvE4sortIPKhPhPKlPlEEvT_T0_T1_T2_jjjjRNS5_12storage_typeE
	.type	_ZN7rocprim17ROCPRIM_400000_NS6detail26segmented_warp_sort_helperINS1_20WarpSortHelperConfigILj16ELj8ELj256EEEhlLi256ELb1EvE4sortIPKhPhPKlPlEEvT_T0_T1_T2_jjjjRNS5_12storage_typeE,@function
_ZN7rocprim17ROCPRIM_400000_NS6detail26segmented_warp_sort_helperINS1_20WarpSortHelperConfigILj16ELj8ELj256EEEhlLi256ELb1EvE4sortIPKhPhPKlPlEEvT_T0_T1_T2_jjjjRNS5_12storage_typeE: ; @_ZN7rocprim17ROCPRIM_400000_NS6detail26segmented_warp_sort_helperINS1_20WarpSortHelperConfigILj16ELj8ELj256EEEhlLi256ELb1EvE4sortIPKhPhPKlPlEEvT_T0_T1_T2_jjjjRNS5_12storage_typeE
; %bb.0:
	s_wait_loadcnt_dscnt 0x0
	s_wait_expcnt 0x0
	s_wait_samplecnt 0x0
	s_wait_bvhcnt 0x0
	s_wait_kmcnt 0x0
	v_mbcnt_lo_u32_b32 v12, -1, 0
	v_add_co_u32 v0, vcc_lo, v0, v8
	s_wait_alu 0xfffd
	v_add_co_ci_u32_e64 v1, null, 0, v1, vcc_lo
	s_delay_alu instid0(VALU_DEP_3) | instskip(SKIP_3) | instid1(VALU_DEP_1)
	v_lshlrev_b32_e32 v33, 3, v12
	v_sub_nc_u32_e32 v12, v9, v8
	v_mov_b32_e32 v9, 0
	s_mov_b32 s1, 0
	v_mov_b32_e32 v26, v9
	v_dual_mov_b32 v27, v9 :: v_dual_and_b32 v30, 0x78, v33
	s_delay_alu instid0(VALU_DEP_1)
	v_add_co_u32 v0, vcc_lo, v0, v30
	s_wait_alu 0xfffd
	v_add_co_ci_u32_e64 v1, null, 0, v1, vcc_lo
	v_cmp_lt_u32_e32 vcc_lo, v30, v12
	s_and_saveexec_b32 s0, vcc_lo
	s_cbranch_execz .LBB98_2
; %bb.1:
	flat_load_u8 v13, v[0:1]
	s_wait_loadcnt_dscnt 0x0
	s_wait_alu 0xfffe
	v_dual_mov_b32 v27, s1 :: v_dual_and_b32 v26, 0xffff, v13
.LBB98_2:
	s_wait_alu 0xfffe
	s_or_b32 exec_lo, exec_lo, s0
	v_or_b32_e32 v13, 1, v30
	s_delay_alu instid0(VALU_DEP_1)
	v_cmp_lt_u32_e64 s0, v13, v12
	s_and_saveexec_b32 s1, s0
	s_cbranch_execz .LBB98_4
; %bb.3:
	flat_load_u8 v13, v[0:1] offset:1
	s_wait_loadcnt_dscnt 0x0
	v_perm_b32 v26, v26, v13, 0x7060004
.LBB98_4:
	s_wait_alu 0xfffe
	s_or_b32 exec_lo, exec_lo, s1
	v_or_b32_e32 v13, 2, v30
	s_delay_alu instid0(VALU_DEP_1)
	v_cmp_lt_u32_e64 s1, v13, v12
	s_and_saveexec_b32 s2, s1
	s_cbranch_execz .LBB98_6
; %bb.5:
	flat_load_u8 v13, v[0:1] offset:2
	s_wait_loadcnt_dscnt 0x0
	v_perm_b32 v13, v13, v26, 0xc0c0304
	s_delay_alu instid0(VALU_DEP_1) | instskip(NEXT) | instid1(VALU_DEP_1)
	v_lshlrev_b32_e32 v13, 16, v13
	v_and_or_b32 v26, 0xffff, v26, v13
.LBB98_6:
	s_wait_alu 0xfffe
	s_or_b32 exec_lo, exec_lo, s2
	v_or_b32_e32 v13, 3, v30
	s_delay_alu instid0(VALU_DEP_1)
	v_cmp_lt_u32_e64 s2, v13, v12
	s_and_saveexec_b32 s3, s2
	s_cbranch_execz .LBB98_8
; %bb.7:
	flat_load_u8 v13, v[0:1] offset:3
	s_wait_loadcnt_dscnt 0x0
	v_perm_b32 v13, v26, v13, 0xc0c0006
	s_delay_alu instid0(VALU_DEP_1) | instskip(NEXT) | instid1(VALU_DEP_1)
	v_lshlrev_b32_e32 v13, 16, v13
	v_and_or_b32 v26, 0xffff, v26, v13
.LBB98_8:
	s_wait_alu 0xfffe
	s_or_b32 exec_lo, exec_lo, s3
	v_or_b32_e32 v13, 4, v30
	s_delay_alu instid0(VALU_DEP_1)
	v_cmp_lt_u32_e64 s3, v13, v12
	s_and_saveexec_b32 s4, s3
	s_cbranch_execz .LBB98_10
; %bb.9:
	flat_load_u8 v13, v[0:1] offset:4
	s_wait_loadcnt_dscnt 0x0
	v_perm_b32 v27, v13, v27, 0x3020104
.LBB98_10:
	s_wait_alu 0xfffe
	s_or_b32 exec_lo, exec_lo, s4
	v_or_b32_e32 v13, 5, v30
	s_delay_alu instid0(VALU_DEP_1)
	v_cmp_lt_u32_e64 s4, v13, v12
	s_and_saveexec_b32 s5, s4
	s_cbranch_execz .LBB98_12
; %bb.11:
	flat_load_u8 v13, v[0:1] offset:5
	s_wait_loadcnt_dscnt 0x0
	v_perm_b32 v27, v27, v13, 0x7060004
.LBB98_12:
	s_wait_alu 0xfffe
	s_or_b32 exec_lo, exec_lo, s5
	v_or_b32_e32 v13, 6, v30
	s_delay_alu instid0(VALU_DEP_1)
	v_cmp_lt_u32_e64 s5, v13, v12
	s_and_saveexec_b32 s6, s5
	s_cbranch_execz .LBB98_14
; %bb.13:
	flat_load_u8 v13, v[0:1] offset:6
	s_wait_loadcnt_dscnt 0x0
	v_perm_b32 v27, v27, v13, 0x7000504
.LBB98_14:
	s_wait_alu 0xfffe
	s_or_b32 exec_lo, exec_lo, s6
	v_or_b32_e32 v13, 7, v30
	s_delay_alu instid0(VALU_DEP_1)
	v_cmp_lt_u32_e64 s6, v13, v12
	s_and_saveexec_b32 s7, s6
	s_cbranch_execz .LBB98_16
; %bb.15:
	flat_load_u8 v0, v[0:1] offset:7
	s_wait_loadcnt_dscnt 0x0
	v_perm_b32 v27, v27, v0, 0x60504
.LBB98_16:
	s_wait_alu 0xfffe
	s_or_b32 exec_lo, exec_lo, s7
	v_lshlrev_b64_e32 v[0:1], 3, v[8:9]
	v_lshlrev_b32_e32 v32, 3, v30
	; wave barrier
	s_delay_alu instid0(VALU_DEP_2) | instskip(SKIP_1) | instid1(VALU_DEP_3)
	v_add_co_u32 v4, s7, v4, v0
	s_wait_alu 0xf1ff
	v_add_co_ci_u32_e64 v5, null, v5, v1, s7
	s_delay_alu instid0(VALU_DEP_2) | instskip(SKIP_1) | instid1(VALU_DEP_2)
	v_add_co_u32 v28, s7, v4, v32
	s_wait_alu 0xf1ff
	v_add_co_ci_u32_e64 v29, null, 0, v5, s7
                                        ; implicit-def: $vgpr4_vgpr5
	s_and_saveexec_b32 s7, vcc_lo
	s_cbranch_execnz .LBB98_135
; %bb.17:
	s_wait_alu 0xfffe
	s_or_b32 exec_lo, exec_lo, s7
                                        ; implicit-def: $vgpr12_vgpr13
	s_and_saveexec_b32 s7, s0
	s_cbranch_execnz .LBB98_136
.LBB98_18:
	s_wait_alu 0xfffe
	s_or_b32 exec_lo, exec_lo, s7
                                        ; implicit-def: $vgpr16_vgpr17
	s_and_saveexec_b32 s7, s1
	s_cbranch_execnz .LBB98_137
.LBB98_19:
	s_wait_alu 0xfffe
	s_or_b32 exec_lo, exec_lo, s7
                                        ; implicit-def: $vgpr20_vgpr21
	s_and_saveexec_b32 s7, s2
	s_cbranch_execnz .LBB98_138
.LBB98_20:
	s_wait_alu 0xfffe
	s_or_b32 exec_lo, exec_lo, s7
                                        ; implicit-def: $vgpr22_vgpr23
	s_and_saveexec_b32 s7, s3
	s_cbranch_execnz .LBB98_139
.LBB98_21:
	s_wait_alu 0xfffe
	s_or_b32 exec_lo, exec_lo, s7
                                        ; implicit-def: $vgpr18_vgpr19
	s_and_saveexec_b32 s7, s4
	s_cbranch_execnz .LBB98_140
.LBB98_22:
	s_wait_alu 0xfffe
	s_or_b32 exec_lo, exec_lo, s7
                                        ; implicit-def: $vgpr14_vgpr15
	s_and_saveexec_b32 s7, s5
	s_cbranch_execnz .LBB98_141
.LBB98_23:
	s_wait_alu 0xfffe
	s_or_b32 exec_lo, exec_lo, s7
                                        ; implicit-def: $vgpr24_vgpr25
	s_and_saveexec_b32 s7, s6
	s_cbranch_execz .LBB98_25
.LBB98_24:
	flat_load_b64 v[24:25], v[28:29] offset:56
.LBB98_25:
	s_wait_alu 0xfffe
	s_or_b32 exec_lo, exec_lo, s7
	v_cmp_ne_u32_e64 s7, 0, v10
	v_cmp_ne_u32_e64 s10, 8, v11
	v_bfe_u32 v28, v31, 10, 10
	v_bfe_u32 v29, v31, 20, 10
	v_and_b32_e32 v9, 0x3ff, v31
	s_mov_b32 s11, 0
	s_or_b32 s7, s7, s10
	; wave barrier
	s_wait_alu 0xfffe
	s_and_saveexec_b32 s10, s7
	s_wait_alu 0xfffe
	s_xor_b32 s18, exec_lo, s10
	s_cbranch_execz .LBB98_71
; %bb.26:
	s_load_b64 s[12:13], s[8:9], 0x0
	s_and_b32 s7, ttmp7, 0xffff
	v_lshlrev_b32_e64 v11, v11, -1
	v_lshlrev_b32_e64 v10, v10, -1
	s_mov_b32 s19, exec_lo
	s_delay_alu instid0(VALU_DEP_1)
	v_xor_b32_e32 v11, v11, v10
	s_wait_kmcnt 0x0
	s_wait_alu 0xfffe
	s_cmp_lt_u32 s7, s13
	s_cselect_b32 s10, 14, 20
	s_cmp_lt_u32 ttmp9, s12
	s_wait_alu 0xfffe
	s_add_nc_u64 s[14:15], s[8:9], s[10:11]
	s_cselect_b32 s10, 12, 18
	s_load_u16 s7, s[14:15], 0x0
	s_add_nc_u64 s[10:11], s[8:9], s[10:11]
	s_load_u16 s10, s[10:11], 0x0
	s_wait_kmcnt 0x0
	v_mad_u32_u24 v28, v29, s7, v28
	s_delay_alu instid0(VALU_DEP_1) | instskip(NEXT) | instid1(VALU_DEP_1)
	v_mul_lo_u32 v28, v28, s10
	v_add_lshl_u32 v28, v28, v9, 3
	s_delay_alu instid0(VALU_DEP_1)
	v_cmpx_gt_u32_e32 0x800, v28
	s_cbranch_execz .LBB98_30
; %bb.27:
	v_lshrrev_b32_e32 v9, 8, v26
	v_and_b32_e32 v10, v26, v11
	v_perm_b32 v29, 0, v26, 0xc0c0001
	v_and_b32_e32 v35, v27, v11
	s_delay_alu instid0(VALU_DEP_4) | instskip(NEXT) | instid1(VALU_DEP_4)
	v_and_b32_e32 v9, v9, v11
	v_and_b32_e32 v10, 0xff, v10
	s_delay_alu instid0(VALU_DEP_4) | instskip(NEXT) | instid1(VALU_DEP_4)
	v_and_or_b32 v29, 0xffff0000, v26, v29
	v_and_b32_e32 v35, 0xff, v35
	s_delay_alu instid0(VALU_DEP_4) | instskip(NEXT) | instid1(VALU_DEP_1)
	v_and_b32_e32 v9, 0xff, v9
	v_cmp_gt_u16_e64 s7, v9, v10
	s_wait_alu 0xf1ff
	s_delay_alu instid0(VALU_DEP_1)
	v_cndmask_b32_e64 v10, v26, v29, s7
	v_lshrrev_b32_e32 v29, 8, v27
	s_wait_loadcnt_dscnt 0x0
	v_cndmask_b32_e64 v9, v12, v4, s7
	v_cndmask_b32_e64 v4, v4, v12, s7
	;; [unrolled: 1-line block ×3, first 2 shown]
	v_lshrrev_b32_e32 v26, 16, v10
	v_lshrrev_b32_e32 v31, 24, v10
	v_and_b32_e32 v29, v29, v11
	v_cndmask_b32_e64 v5, v5, v13, s7
	s_delay_alu instid0(VALU_DEP_4) | instskip(SKIP_3) | instid1(VALU_DEP_4)
	v_and_b32_e32 v34, v26, v11
	v_perm_b32 v26, 0, v26, 0xc0c0001
	v_and_b32_e32 v31, v31, v11
	v_and_b32_e32 v29, 0xff, v29
	;; [unrolled: 1-line block ×3, first 2 shown]
	s_delay_alu instid0(VALU_DEP_4) | instskip(NEXT) | instid1(VALU_DEP_3)
	v_lshlrev_b32_e32 v26, 16, v26
	v_cmp_gt_u16_e64 s11, v29, v35
	s_delay_alu instid0(VALU_DEP_3) | instskip(NEXT) | instid1(VALU_DEP_3)
	v_cmp_gt_u16_e64 s10, v31, v34
	v_and_or_b32 v26, 0xffff, v10, v26
	v_perm_b32 v31, v27, v27, 0x7060405
	s_wait_alu 0xf1ff
	v_cndmask_b32_e64 v12, v19, v23, s11
	v_cndmask_b32_e64 v38, v17, v21, s10
	;; [unrolled: 1-line block ×7, first 2 shown]
	v_lshrrev_b32_e32 v31, 16, v10
	v_lshrrev_b32_e32 v34, 8, v10
	;; [unrolled: 1-line block ×4, first 2 shown]
	v_perm_b32 v39, v10, v10, 0x7050604
	v_and_b32_e32 v31, v31, v11
	v_and_b32_e32 v34, v34, v11
	;; [unrolled: 1-line block ×4, first 2 shown]
	v_cndmask_b32_e64 v26, v22, v18, s11
	v_and_b32_e32 v31, 0xff, v31
	v_and_b32_e32 v34, 0xff, v34
	;; [unrolled: 1-line block ×3, first 2 shown]
	v_cndmask_b32_e64 v18, v18, v22, s11
	s_delay_alu instid0(VALU_DEP_3) | instskip(SKIP_1) | instid1(VALU_DEP_4)
	v_cmp_gt_u16_e64 s12, v31, v34
	v_perm_b32 v31, v27, v27, 0x6070504
	v_cmp_gt_u16_e64 s13, v36, v35
	s_wait_alu 0xf1ff
	s_delay_alu instid0(VALU_DEP_3) | instskip(SKIP_1) | instid1(VALU_DEP_3)
	v_cndmask_b32_e64 v10, v10, v39, s12
	v_cndmask_b32_e64 v34, v38, v37, s12
	;; [unrolled: 1-line block ×5, first 2 shown]
	v_lshrrev_b32_e32 v31, 16, v10
	v_lshrrev_b32_e32 v48, 24, v10
	v_lshlrev_b16 v36, 8, v27
	v_and_b32_e32 v39, v27, v11
	v_cndmask_b32_e64 v37, v37, v38, s12
	v_and_b32_e32 v31, 0xff, v31
	s_delay_alu instid0(VALU_DEP_1) | instskip(NEXT) | instid1(VALU_DEP_4)
	v_or_b32_e32 v31, v31, v36
	v_and_b32_e32 v36, 0xff, v39
	v_and_b32_e32 v39, v48, v11
	v_cndmask_b32_e64 v48, v23, v19, s11
	s_delay_alu instid0(VALU_DEP_4) | instskip(NEXT) | instid1(VALU_DEP_3)
	v_lshlrev_b32_e32 v31, 16, v31
	v_cmp_gt_u16_e64 s14, v36, v39
	v_cndmask_b32_e64 v39, v9, v16, s12
	v_cndmask_b32_e64 v9, v16, v9, s12
	s_delay_alu instid0(VALU_DEP_4)
	v_and_or_b32 v21, 0xffff, v10, v31
	v_perm_b32 v31, v10, v27, 0x3020107
	s_wait_alu 0xf1ff
	v_cndmask_b32_e64 v16, v29, v26, s14
	v_cndmask_b32_e64 v26, v26, v29, s14
	;; [unrolled: 1-line block ×6, first 2 shown]
	s_delay_alu instid0(VALU_DEP_3) | instskip(NEXT) | instid1(VALU_DEP_3)
	v_lshrrev_b32_e32 v19, 8, v10
	v_lshrrev_b32_e32 v23, 16, v21
	v_lshrrev_b32_e32 v27, 8, v21
	v_and_b32_e32 v20, v10, v11
	v_perm_b32 v31, 0, v10, 0xc0c0001
	v_and_b32_e32 v19, v19, v11
	v_and_b32_e32 v23, v23, v11
	v_and_b32_e32 v27, v27, v11
	v_and_b32_e32 v20, 0xff, v20
	v_and_or_b32 v31, 0xffff0000, v10, v31
	v_and_b32_e32 v19, 0xff, v19
	v_and_b32_e32 v23, 0xff, v23
	;; [unrolled: 1-line block ×3, first 2 shown]
	s_delay_alu instid0(VALU_DEP_3) | instskip(SKIP_1) | instid1(VALU_DEP_3)
	v_cmp_gt_u16_e64 s10, v19, v20
	v_perm_b32 v20, v21, v21, 0x7050604
	v_cmp_gt_u16_e64 s15, v23, v27
	v_cndmask_b32_e64 v19, v15, v25, s13
	v_cndmask_b32_e64 v15, v25, v15, s13
	s_wait_alu 0xf1ff
	v_cndmask_b32_e64 v10, v10, v31, s10
	v_cndmask_b32_e64 v23, v39, v4, s10
	v_cndmask_b32_e64 v20, v21, v20, s15
	v_cndmask_b32_e64 v27, v12, v19, s15
	v_cndmask_b32_e64 v12, v19, v12, s15
	v_lshrrev_b32_e32 v21, 16, v10
	v_lshrrev_b32_e32 v31, 24, v10
	;; [unrolled: 1-line block ×3, first 2 shown]
	v_and_b32_e32 v50, v20, v11
	v_cndmask_b32_e64 v4, v4, v39, s10
	v_and_b32_e32 v49, v21, v11
	v_perm_b32 v21, 0, v21, 0xc0c0001
	v_and_b32_e32 v22, v22, v11
	v_and_b32_e32 v31, v31, v11
	;; [unrolled: 1-line block ×4, first 2 shown]
	v_lshlrev_b32_e32 v21, 16, v21
	v_and_b32_e32 v22, 0xff, v22
	v_cndmask_b32_e64 v38, v37, v5, s10
	v_cndmask_b32_e64 v5, v5, v37, s10
	v_cmp_gt_u16_e64 s11, v31, v49
	v_and_or_b32 v21, 0xffff, v10, v21
	v_perm_b32 v49, v20, v20, 0x7060405
	v_cmp_gt_u16_e64 s16, v22, v29
	v_cndmask_b32_e64 v31, v18, v35, s15
	v_cndmask_b32_e64 v18, v35, v18, s15
	s_wait_alu 0xf1ff
	v_cndmask_b32_e64 v10, v10, v21, s11
	v_cndmask_b32_e64 v22, v16, v9, s11
	;; [unrolled: 1-line block ×5, first 2 shown]
	v_lshrrev_b32_e32 v21, 16, v10
	v_lshrrev_b32_e32 v29, 8, v10
	;; [unrolled: 1-line block ×4, first 2 shown]
	v_perm_b32 v51, v10, v10, 0x7050604
	v_and_b32_e32 v21, v21, v11
	v_and_b32_e32 v29, v29, v11
	;; [unrolled: 1-line block ×4, first 2 shown]
	v_cndmask_b32_e64 v34, v36, v34, s11
	v_and_b32_e32 v21, 0xff, v21
	v_and_b32_e32 v29, 0xff, v29
	;; [unrolled: 1-line block ×3, first 2 shown]
	v_cndmask_b32_e64 v13, v26, v31, s16
	s_delay_alu instid0(VALU_DEP_3) | instskip(SKIP_1) | instid1(VALU_DEP_4)
	v_cmp_gt_u16_e64 s12, v21, v29
	v_perm_b32 v21, v20, v20, 0x6070504
	v_cmp_gt_u16_e64 s17, v49, v24
	s_wait_alu 0xf1ff
	s_delay_alu instid0(VALU_DEP_3) | instskip(SKIP_1) | instid1(VALU_DEP_3)
	v_cndmask_b32_e64 v10, v10, v51, s12
	v_cndmask_b32_e64 v36, v23, v9, s12
	;; [unrolled: 1-line block ×5, first 2 shown]
	v_lshrrev_b32_e32 v21, 16, v10
	v_lshrrev_b32_e32 v51, 24, v10
	v_lshlrev_b16 v35, 8, v20
	v_and_b32_e32 v49, v20, v11
	v_cndmask_b32_e64 v14, v14, v18, s17
	v_and_b32_e32 v21, 0xff, v21
	v_and_b32_e32 v48, v51, v11
	v_cndmask_b32_e64 v24, v50, v38, s12
	v_cndmask_b32_e64 v38, v38, v50, s12
	s_delay_alu instid0(VALU_DEP_4) | instskip(SKIP_3) | instid1(VALU_DEP_4)
	v_or_b32_e32 v21, v21, v35
	v_and_b32_e32 v35, 0xff, v49
	v_cndmask_b32_e64 v49, v17, v27, s16
	v_cndmask_b32_e64 v17, v27, v17, s16
	v_lshlrev_b32_e32 v21, 16, v21
	s_delay_alu instid0(VALU_DEP_4) | instskip(SKIP_1) | instid1(VALU_DEP_3)
	v_cmp_gt_u16_e64 s14, v35, v48
	v_perm_b32 v35, v10, v20, 0x3020107
	v_and_or_b32 v21, 0xffff, v10, v21
	s_wait_alu 0xf1ff
	s_delay_alu instid0(VALU_DEP_3) | instskip(NEXT) | instid1(VALU_DEP_3)
	v_cndmask_b32_e64 v23, v22, v13, s14
	v_cndmask_b32_e64 v20, v20, v35, s14
	;; [unrolled: 1-line block ×6, first 2 shown]
	v_lshrrev_b32_e32 v21, 16, v20
	v_lshrrev_b32_e32 v27, 8, v20
	s_delay_alu instid0(VALU_DEP_4) | instskip(SKIP_1) | instid1(VALU_DEP_4)
	v_lshrrev_b32_e32 v19, 8, v10
	v_and_b32_e32 v16, v10, v11
	v_and_b32_e32 v21, v21, v11
	s_delay_alu instid0(VALU_DEP_4)
	v_and_b32_e32 v27, v27, v11
	v_perm_b32 v35, 0, v10, 0xc0c0001
	v_and_b32_e32 v19, v19, v11
	v_and_b32_e32 v16, 0xff, v16
	;; [unrolled: 1-line block ×4, first 2 shown]
	v_and_or_b32 v35, 0xffff0000, v10, v35
	v_and_b32_e32 v19, 0xff, v19
	s_delay_alu instid0(VALU_DEP_3) | instskip(NEXT) | instid1(VALU_DEP_2)
	v_cmp_gt_u16_e64 s11, v21, v27
	v_cmp_gt_u16_e64 s7, v19, v16
	v_perm_b32 v19, v20, v20, 0x7050604
	v_cndmask_b32_e64 v16, v12, v15, s17
	v_cndmask_b32_e64 v12, v15, v12, s17
	s_wait_alu 0xf1ff
	v_cndmask_b32_e64 v10, v10, v35, s7
	v_cndmask_b32_e64 v19, v20, v19, s11
	v_cndmask_b32_e64 v20, v31, v26, s16
	v_cndmask_b32_e64 v27, v17, v16, s11
	v_cndmask_b32_e64 v15, v16, v17, s11
	v_lshrrev_b32_e32 v26, 16, v10
	v_lshrrev_b32_e32 v31, 8, v19
	;; [unrolled: 1-line block ×3, first 2 shown]
	v_and_b32_e32 v48, v19, v11
	v_cndmask_b32_e64 v21, v36, v4, s7
	v_and_b32_e32 v39, v26, v11
	v_perm_b32 v26, 0, v26, 0xc0c0001
	v_and_b32_e32 v31, v31, v11
	v_and_b32_e32 v35, v35, v11
	;; [unrolled: 1-line block ×4, first 2 shown]
	v_lshlrev_b32_e32 v26, 16, v26
	v_and_b32_e32 v31, 0xff, v31
	v_cndmask_b32_e64 v4, v4, v36, s7
	s_delay_alu instid0(VALU_DEP_4) | instskip(NEXT) | instid1(VALU_DEP_4)
	v_cmp_gt_u16_e64 s13, v35, v39
	v_and_or_b32 v26, 0xffff, v10, v26
	v_perm_b32 v39, v19, v19, 0x7060405
	v_cmp_gt_u16_e64 s15, v31, v22
	v_cndmask_b32_e64 v35, v20, v29, s11
	v_cndmask_b32_e64 v20, v29, v20, s11
	s_wait_alu 0xf1ff
	v_cndmask_b32_e64 v10, v10, v26, s13
	v_cndmask_b32_e64 v50, v24, v25, s13
	;; [unrolled: 1-line block ×5, first 2 shown]
	v_lshrrev_b32_e32 v31, 16, v10
	v_lshrrev_b32_e32 v37, 8, v10
	;; [unrolled: 1-line block ×4, first 2 shown]
	v_perm_b32 v51, v10, v10, 0x7050604
	v_and_b32_e32 v31, v31, v11
	v_and_b32_e32 v37, v37, v11
	;; [unrolled: 1-line block ×4, first 2 shown]
	v_perm_b32 v29, v19, v19, 0x6070504
	v_and_b32_e32 v31, 0xff, v31
	v_and_b32_e32 v37, 0xff, v37
	;; [unrolled: 1-line block ×3, first 2 shown]
	v_cndmask_b32_e64 v9, v9, v23, s13
	v_cndmask_b32_e64 v49, v34, v27, s15
	;; [unrolled: 1-line block ×3, first 2 shown]
	v_cmp_gt_u16_e64 s10, v31, v37
	v_cmp_gt_u16_e64 s12, v48, v18
	v_cndmask_b32_e64 v13, v35, v13, s15
	v_cndmask_b32_e64 v39, v38, v5, s7
	;; [unrolled: 1-line block ×3, first 2 shown]
	s_wait_alu 0xf1ff
	v_cndmask_b32_e64 v10, v10, v51, s10
	v_cndmask_b32_e64 v19, v19, v29, s12
	;; [unrolled: 1-line block ×5, first 2 shown]
	v_lshrrev_b32_e32 v29, 16, v10
	v_lshlrev_b16 v37, 8, v19
	v_and_b32_e32 v48, v19, v11
	v_lshrrev_b32_e32 v51, 24, v10
	v_perm_b32 v25, v10, v19, 0x3020107
	v_and_b32_e32 v29, 0xff, v29
	v_cndmask_b32_e64 v31, v20, v14, s12
	v_and_b32_e32 v48, 0xff, v48
	v_cndmask_b32_e64 v14, v14, v20, s12
	s_delay_alu instid0(VALU_DEP_4) | instskip(SKIP_1) | instid1(VALU_DEP_2)
	v_or_b32_e32 v29, v29, v37
	v_and_b32_e32 v37, v51, v11
	v_lshlrev_b32_e32 v29, 16, v29
	s_delay_alu instid0(VALU_DEP_2) | instskip(NEXT) | instid1(VALU_DEP_2)
	v_cmp_gt_u16_e64 s14, v48, v37
	v_and_or_b32 v29, 0xffff, v10, v29
	s_wait_alu 0xf1ff
	s_delay_alu instid0(VALU_DEP_2)
	v_cndmask_b32_e64 v19, v19, v25, s14
	v_cndmask_b32_e64 v25, v27, v34, s15
	;; [unrolled: 1-line block ×5, first 2 shown]
	v_lshrrev_b32_e32 v16, 16, v19
	v_lshrrev_b32_e32 v17, 8, v19
	v_perm_b32 v48, v19, v19, 0x7050604
	v_cndmask_b32_e64 v12, v12, v15, s12
	v_lshrrev_b32_e32 v23, 8, v10
	v_and_b32_e32 v16, v16, v11
	v_and_b32_e32 v17, v17, v11
	;; [unrolled: 1-line block ×3, first 2 shown]
	v_perm_b32 v34, 0, v10, 0xc0c0001
	v_and_b32_e32 v23, v23, v11
	v_and_b32_e32 v16, 0xff, v16
	;; [unrolled: 1-line block ×4, first 2 shown]
	v_cndmask_b32_e64 v15, v39, v50, s10
	v_and_b32_e32 v23, 0xff, v23
	v_cndmask_b32_e64 v37, v24, v49, s14
	v_cmp_gt_u16_e64 s11, v16, v17
	v_and_or_b32 v16, 0xffff0000, v10, v34
	v_cndmask_b32_e64 v34, v22, v26, s14
	v_cmp_gt_u16_e64 s13, v23, v29
	s_wait_alu 0xf1ff
	v_cndmask_b32_e64 v17, v19, v48, s11
	v_cndmask_b32_e64 v23, v25, v27, s11
	;; [unrolled: 1-line block ×5, first 2 shown]
	v_lshrrev_b32_e32 v16, 8, v17
	v_and_b32_e32 v22, v17, v11
	v_perm_b32 v51, v17, v17, 0x7060405
	v_lshrrev_b32_e32 v19, 16, v10
	v_lshrrev_b32_e32 v26, 24, v10
	v_and_b32_e32 v16, v16, v11
	v_and_b32_e32 v22, 0xff, v22
	v_cndmask_b32_e64 v5, v5, v15, s13
	v_and_b32_e32 v35, v19, v11
	v_perm_b32 v19, 0, v19, 0xc0c0001
	v_and_b32_e32 v16, 0xff, v16
	v_and_b32_e32 v26, v26, v11
	v_cndmask_b32_e64 v48, v13, v31, s11
	v_and_b32_e32 v35, 0xff, v35
	v_lshlrev_b32_e32 v19, 16, v19
	v_cmp_gt_u16_e64 s15, v16, v22
	v_cndmask_b32_e64 v13, v31, v13, s11
	v_cndmask_b32_e64 v29, v36, v4, s13
	v_cmp_gt_u16_e64 s16, v26, v35
	v_and_or_b32 v16, 0xffff, v10, v19
	s_wait_alu 0xf1ff
	v_cndmask_b32_e64 v17, v17, v51, s15
	v_cndmask_b32_e64 v22, v21, v48, s15
	v_cndmask_b32_e64 v4, v4, v36, s13
	v_cndmask_b32_e64 v26, v34, v9, s16
	v_cndmask_b32_e64 v16, v10, v16, s16
	v_lshrrev_b32_e32 v10, 16, v17
	v_lshrrev_b32_e32 v27, 24, v17
	v_perm_b32 v39, v17, v17, 0x6070504
	v_cndmask_b32_e64 v31, v9, v34, s16
	v_lshrrev_b32_e32 v19, 16, v16
	v_lshrrev_b32_e32 v35, 8, v16
	v_and_b32_e32 v10, v10, v11
	v_and_b32_e32 v27, v27, v11
	v_cndmask_b32_e64 v50, v18, v37, s16
	v_and_b32_e32 v19, v19, v11
	v_and_b32_e32 v35, v35, v11
	;; [unrolled: 1-line block ×3, first 2 shown]
	s_delay_alu instid0(VALU_DEP_3) | instskip(NEXT) | instid1(VALU_DEP_3)
	v_and_b32_e32 v19, 0xff, v19
	v_and_b32_e32 v35, 0xff, v35
	s_delay_alu instid0(VALU_DEP_3) | instskip(SKIP_1) | instid1(VALU_DEP_3)
	v_cmp_gt_u16_e64 s7, v27, v10
	v_perm_b32 v27, v16, v16, 0x7050604
	v_cmp_gt_u16_e64 s10, v19, v35
	s_wait_alu 0xf1ff
	s_delay_alu instid0(VALU_DEP_3)
	v_cndmask_b32_e64 v35, v17, v39, s7
	v_cndmask_b32_e64 v10, v25, v12, s7
	;; [unrolled: 1-line block ×6, first 2 shown]
	v_and_b32_e32 v19, v35, v11
	v_cndmask_b32_e64 v17, v50, v38, s10
	s_delay_alu instid0(VALU_DEP_4) | instskip(NEXT) | instid1(VALU_DEP_4)
	v_lshrrev_b32_e32 v20, 24, v39
	v_cndmask_b32_e64 v15, v16, v23, s15
	s_delay_alu instid0(VALU_DEP_4)
	v_and_b32_e32 v24, 0xff, v19
	v_cndmask_b32_e64 v19, v23, v16, s15
	v_lshrrev_b32_e32 v16, 16, v39
	v_and_b32_e32 v20, v20, v11
	v_perm_b32 v27, v39, v35, 0x3020107
	v_cndmask_b32_e64 v23, v37, v18, s16
	v_cndmask_b32_e64 v18, v48, v21, s15
	v_and_b32_e32 v16, 0xff, v16
	v_cmp_gt_u16_e64 s11, v24, v20
	v_lshlrev_b16 v20, 8, v35
	v_cndmask_b32_e64 v24, v14, v13, s7
	v_cndmask_b32_e64 v13, v38, v50, s10
	s_wait_alu 0xf1ff
	v_cndmask_b32_e64 v27, v35, v27, s11
	v_or_b32_e32 v12, v16, v20
	v_cndmask_b32_e64 v21, v23, v15, s11
	v_cndmask_b32_e64 v16, v31, v29, s10
	v_cndmask_b32_e64 v23, v15, v23, s11
	v_lshrrev_b32_e32 v20, 16, v27
	v_lshlrev_b32_e32 v14, 16, v12
	v_lshrrev_b32_e32 v34, 8, v27
	v_cndmask_b32_e64 v12, v29, v31, s10
	s_mov_b32 s10, exec_lo
	v_and_b32_e32 v20, v20, v11
	v_and_or_b32 v14, 0xffff, v39, v14
	v_and_b32_e32 v34, v34, v11
	s_delay_alu instid0(VALU_DEP_3)
	v_and_b32_e32 v29, 0xff, v20
	v_cndmask_b32_e64 v20, v26, v22, s11
	v_cndmask_b32_e64 v22, v22, v26, s11
	;; [unrolled: 1-line block ×3, first 2 shown]
	v_mov_b32_e32 v15, v10
	v_dual_mov_b32 v14, v9 :: v_dual_and_b32 v31, 0xff, v34
	s_delay_alu instid0(VALU_DEP_1)
	v_cmpx_gt_u16_e64 v29, v31
; %bb.28:
	v_perm_b32 v27, v27, v27, 0x7050604
	v_dual_mov_b32 v14, v18 :: v_dual_mov_b32 v15, v19
	v_dual_mov_b32 v19, v10 :: v_dual_mov_b32 v18, v9
; %bb.29:
	s_wait_alu 0xfffe
	s_or_b32 exec_lo, exec_lo, s10
.LBB98_30:
	s_delay_alu instid0(SALU_CYCLE_1)
	s_or_b32 exec_lo, exec_lo, s19
	v_and_b32_e32 v28, 0xffffff00, v28
	v_or_b32_e32 v29, 8, v33
	v_and_b32_e32 v34, 8, v33
	v_and_b32_e32 v48, 0xf0, v33
	v_lshrrev_b64 v[9:10], 24, v[26:27]
	v_sub_nc_u32_e64 v31, 0x800, v28 clamp
	v_lshlrev_b32_e32 v10, 3, v28
	v_lshrrev_b32_e32 v35, 8, v26
	v_lshrrev_b32_e32 v36, 16, v26
	;; [unrolled: 1-line block ×3, first 2 shown]
	v_min_u32_e32 v50, v31, v29
	v_min_u32_e32 v49, v31, v34
	v_lshrrev_b32_e32 v38, 16, v27
	v_or_b32_e32 v53, v28, v33
	v_lshl_or_b32 v29, v33, 3, v10
	v_add_nc_u32_e32 v39, 8, v50
	v_sub_nc_u32_e32 v52, v50, v48
	s_mov_b32 s10, exec_lo
	ds_store_b8 v53, v26
	s_wait_loadcnt_dscnt 0x1
	ds_store_b64 v29, v[4:5] offset:2048
	ds_store_b8 v53, v35 offset:1
	ds_store_b64 v29, v[12:13] offset:2056
	v_min_u32_e32 v34, v31, v39
	v_min_u32_e32 v52, v49, v52
	ds_store_b8 v53, v36 offset:2
	ds_store_b64 v29, v[16:17] offset:2064
	ds_store_b8 v53, v9 offset:3
	ds_store_b64 v29, v[20:21] offset:2072
	;; [unrolled: 2-line block ×3, first 2 shown]
	ds_store_b8 v53, v37 offset:5
	v_sub_nc_u32_e32 v39, v34, v50
	s_delay_alu instid0(VALU_DEP_1)
	v_sub_nc_u32_e64 v51, v49, v39 clamp
	v_lshrrev_b32_e32 v39, 24, v27
	ds_store_b64 v29, v[18:19] offset:2088
	ds_store_b8 v53, v38 offset:6
	ds_store_b64 v29, v[14:15] offset:2096
	ds_store_b8 v53, v39 offset:7
	ds_store_b64 v29, v[24:25] offset:2104
	; wave barrier
	v_cmpx_lt_u32_e64 v51, v52
	s_cbranch_execz .LBB98_34
; %bb.31:
	v_add_nc_u32_e32 v53, v28, v48
	v_add3_u32 v54, v28, v50, v49
	s_mov_b32 s11, 0
.LBB98_32:                              ; =>This Inner Loop Header: Depth=1
	v_add_nc_u32_e32 v55, v52, v51
	s_delay_alu instid0(VALU_DEP_1) | instskip(NEXT) | instid1(VALU_DEP_1)
	v_lshrrev_b32_e32 v55, 1, v55
	v_xad_u32 v64, v55, -1, v54
	v_add_nc_u32_e32 v65, v53, v55
	v_add_nc_u32_e32 v66, 1, v55
	ds_load_u8 v64, v64
	ds_load_u8 v65, v65
	s_wait_dscnt 0x1
	v_and_b32_e32 v64, v64, v11
	s_wait_dscnt 0x0
	v_and_b32_e32 v65, v65, v11
	s_delay_alu instid0(VALU_DEP_2) | instskip(NEXT) | instid1(VALU_DEP_2)
	v_and_b32_e32 v64, 0xff, v64
	v_and_b32_e32 v65, 0xff, v65
	s_delay_alu instid0(VALU_DEP_1) | instskip(SKIP_1) | instid1(VALU_DEP_1)
	v_cmp_gt_u16_e64 s7, v64, v65
	s_wait_alu 0xf1ff
	v_cndmask_b32_e64 v52, v52, v55, s7
	v_cndmask_b32_e64 v51, v66, v51, s7
	s_delay_alu instid0(VALU_DEP_1)
	v_cmp_ge_u32_e64 s7, v51, v52
	s_wait_alu 0xfffe
	s_or_b32 s11, s7, s11
	s_wait_alu 0xfffe
	s_and_not1_b32 exec_lo, exec_lo, s11
	s_cbranch_execnz .LBB98_32
; %bb.33:
	s_or_b32 exec_lo, exec_lo, s11
.LBB98_34:
	s_wait_alu 0xfffe
	s_or_b32 exec_lo, exec_lo, s10
	v_add_nc_u32_e32 v49, v50, v49
	v_add_nc_u32_e32 v52, v51, v48
	v_mov_b32_e32 v48, v26
	s_delay_alu instid0(VALU_DEP_3) | instskip(NEXT) | instid1(VALU_DEP_3)
	v_sub_nc_u32_e32 v51, v49, v51
	v_cmp_le_u32_e64 s7, v52, v50
	v_mov_b32_e32 v49, v27
	s_delay_alu instid0(VALU_DEP_3)
	v_cmp_le_u32_e64 s10, v51, v34
	s_or_b32 s7, s7, s10
	s_wait_alu 0xfffe
	s_and_saveexec_b32 s19, s7
	s_cbranch_execz .LBB98_40
; %bb.35:
	v_cmp_lt_u32_e64 s7, v52, v50
                                        ; implicit-def: $vgpr9
	s_and_saveexec_b32 s10, s7
; %bb.36:
	v_add_nc_u32_e32 v4, v28, v52
	ds_load_u8 v9, v4
; %bb.37:
	s_wait_alu 0xfffe
	s_or_b32 exec_lo, exec_lo, s10
	v_cmp_ge_u32_e64 s10, v51, v34
	s_mov_b32 s12, exec_lo
                                        ; implicit-def: $vgpr24
	v_cmpx_lt_u32_e64 v51, v34
; %bb.38:
	v_add_nc_u32_e32 v4, v28, v51
	ds_load_u8 v24, v4
; %bb.39:
	s_wait_alu 0xfffe
	s_or_b32 exec_lo, exec_lo, s12
	s_wait_dscnt 0x0
	v_and_b32_e32 v4, v24, v11
	v_and_b32_e32 v5, v9, v11
	s_delay_alu instid0(VALU_DEP_2) | instskip(NEXT) | instid1(VALU_DEP_2)
	v_and_b32_e32 v4, 0xff, v4
	v_and_b32_e32 v5, 0xff, v5
	s_delay_alu instid0(VALU_DEP_1)
	v_cmp_le_u16_e64 s11, v4, v5
	s_and_b32 s7, s7, s11
	s_wait_alu 0xfffe
	s_or_b32 s7, s10, s7
	s_wait_alu 0xfffe
	v_cndmask_b32_e64 v4, v51, v52, s7
	v_cndmask_b32_e64 v5, v34, v50, s7
	;; [unrolled: 1-line block ×3, first 2 shown]
	s_delay_alu instid0(VALU_DEP_3) | instskip(NEXT) | instid1(VALU_DEP_3)
	v_add_nc_u32_e32 v12, 1, v4
	v_add_nc_u32_e32 v5, -1, v5
	v_lshl_add_u32 v4, v4, 3, v10
	s_delay_alu instid0(VALU_DEP_3) | instskip(NEXT) | instid1(VALU_DEP_3)
	v_cndmask_b32_e64 v14, v52, v12, s7
	v_min_u32_e32 v5, v12, v5
	v_cndmask_b32_e64 v12, v12, v51, s7
	s_delay_alu instid0(VALU_DEP_3) | instskip(NEXT) | instid1(VALU_DEP_3)
	v_cmp_lt_u32_e64 s10, v14, v50
	v_add_nc_u32_e32 v5, v28, v5
	s_delay_alu instid0(VALU_DEP_3) | instskip(SKIP_4) | instid1(VALU_DEP_2)
	v_cmp_ge_u32_e64 s12, v12, v34
	ds_load_u8 v5, v5
	s_wait_dscnt 0x0
	v_cndmask_b32_e64 v25, v5, v24, s7
	v_cndmask_b32_e64 v26, v9, v5, s7
	v_and_b32_e32 v5, v25, v11
	s_delay_alu instid0(VALU_DEP_2) | instskip(NEXT) | instid1(VALU_DEP_2)
	v_and_b32_e32 v13, v26, v11
	v_and_b32_e32 v5, 0xff, v5
	s_delay_alu instid0(VALU_DEP_2) | instskip(NEXT) | instid1(VALU_DEP_1)
	v_and_b32_e32 v13, 0xff, v13
	v_cmp_le_u16_e64 s11, v5, v13
	s_and_b32 s10, s10, s11
	s_wait_alu 0xfffe
	s_or_b32 s10, s12, s10
	s_wait_alu 0xfffe
	v_cndmask_b32_e64 v5, v12, v14, s10
	v_cndmask_b32_e64 v13, v34, v50, s10
	;; [unrolled: 1-line block ×3, first 2 shown]
	s_delay_alu instid0(VALU_DEP_3) | instskip(NEXT) | instid1(VALU_DEP_3)
	v_add_nc_u32_e32 v15, 1, v5
	v_add_nc_u32_e32 v13, -1, v13
	s_delay_alu instid0(VALU_DEP_2) | instskip(NEXT) | instid1(VALU_DEP_2)
	v_cndmask_b32_e64 v14, v14, v15, s10
	v_min_u32_e32 v13, v15, v13
	v_cndmask_b32_e64 v12, v15, v12, s10
	s_delay_alu instid0(VALU_DEP_3) | instskip(NEXT) | instid1(VALU_DEP_3)
	v_cmp_lt_u32_e64 s11, v14, v50
	v_add_nc_u32_e32 v13, v28, v13
	s_delay_alu instid0(VALU_DEP_3) | instskip(SKIP_4) | instid1(VALU_DEP_2)
	v_cmp_ge_u32_e64 s13, v12, v34
	ds_load_u8 v13, v13
	s_wait_dscnt 0x0
	v_cndmask_b32_e64 v27, v13, v25, s10
	v_cndmask_b32_e64 v36, v26, v13, s10
	v_and_b32_e32 v13, v27, v11
	s_delay_alu instid0(VALU_DEP_2) | instskip(NEXT) | instid1(VALU_DEP_2)
	v_and_b32_e32 v16, v36, v11
	v_and_b32_e32 v13, 0xff, v13
	s_delay_alu instid0(VALU_DEP_2) | instskip(NEXT) | instid1(VALU_DEP_1)
	v_and_b32_e32 v16, 0xff, v16
	v_cmp_le_u16_e64 s12, v13, v16
	s_and_b32 s11, s11, s12
	s_wait_alu 0xfffe
	s_or_b32 s11, s13, s11
	s_wait_alu 0xfffe
	v_cndmask_b32_e64 v13, v12, v14, s11
	v_cndmask_b32_e64 v15, v34, v50, s11
	s_delay_alu instid0(VALU_DEP_2) | instskip(NEXT) | instid1(VALU_DEP_2)
	v_add_nc_u32_e32 v16, 1, v13
	v_add_nc_u32_e32 v15, -1, v15
	s_delay_alu instid0(VALU_DEP_2) | instskip(NEXT) | instid1(VALU_DEP_2)
	v_cndmask_b32_e64 v14, v14, v16, s11
	v_min_u32_e32 v15, v16, v15
	v_cndmask_b32_e64 v12, v16, v12, s11
	s_delay_alu instid0(VALU_DEP_3) | instskip(NEXT) | instid1(VALU_DEP_3)
	v_cmp_lt_u32_e64 s12, v14, v50
	v_add_nc_u32_e32 v15, v28, v15
	s_delay_alu instid0(VALU_DEP_3)
	v_cmp_ge_u32_e64 s14, v12, v34
	ds_load_u8 v15, v15
	s_wait_dscnt 0x0
	v_cndmask_b32_e64 v37, v15, v27, s11
	v_cndmask_b32_e64 v38, v36, v15, s11
	v_cndmask_b32_e64 v36, v27, v36, s11
	s_delay_alu instid0(VALU_DEP_3) | instskip(NEXT) | instid1(VALU_DEP_3)
	v_and_b32_e32 v15, v37, v11
	v_and_b32_e32 v17, v38, v11
	s_delay_alu instid0(VALU_DEP_2) | instskip(NEXT) | instid1(VALU_DEP_2)
	v_and_b32_e32 v15, 0xff, v15
	v_and_b32_e32 v17, 0xff, v17
	s_delay_alu instid0(VALU_DEP_1)
	v_cmp_le_u16_e64 s13, v15, v17
	s_and_b32 s12, s12, s13
	s_wait_alu 0xfffe
	s_or_b32 s12, s14, s12
	s_wait_alu 0xfffe
	v_cndmask_b32_e64 v15, v12, v14, s12
	v_cndmask_b32_e64 v16, v34, v50, s12
	;; [unrolled: 1-line block ×3, first 2 shown]
	s_delay_alu instid0(VALU_DEP_3) | instskip(NEXT) | instid1(VALU_DEP_3)
	v_add_nc_u32_e32 v17, 1, v15
	v_add_nc_u32_e32 v16, -1, v16
	v_lshl_add_u32 v15, v15, 3, v10
	s_delay_alu instid0(VALU_DEP_3) | instskip(NEXT) | instid1(VALU_DEP_3)
	v_cndmask_b32_e64 v14, v14, v17, s12
	v_min_u32_e32 v16, v17, v16
	v_cndmask_b32_e64 v12, v17, v12, s12
	s_delay_alu instid0(VALU_DEP_3) | instskip(NEXT) | instid1(VALU_DEP_3)
	v_cmp_lt_u32_e64 s13, v14, v50
	v_add_nc_u32_e32 v16, v28, v16
	s_delay_alu instid0(VALU_DEP_3) | instskip(SKIP_4) | instid1(VALU_DEP_2)
	v_cmp_ge_u32_e64 s15, v12, v34
	ds_load_u8 v16, v16
	s_wait_dscnt 0x0
	v_cndmask_b32_e64 v39, v16, v37, s12
	v_cndmask_b32_e64 v49, v38, v16, s12
	v_and_b32_e32 v16, v39, v11
	s_delay_alu instid0(VALU_DEP_2) | instskip(NEXT) | instid1(VALU_DEP_2)
	v_and_b32_e32 v18, v49, v11
	v_and_b32_e32 v16, 0xff, v16
	s_delay_alu instid0(VALU_DEP_2) | instskip(NEXT) | instid1(VALU_DEP_1)
	v_and_b32_e32 v18, 0xff, v18
	v_cmp_le_u16_e64 s14, v16, v18
	s_and_b32 s13, s13, s14
	s_wait_alu 0xfffe
	s_or_b32 s13, s15, s13
	s_wait_alu 0xfffe
	v_cndmask_b32_e64 v18, v12, v14, s13
	v_cndmask_b32_e64 v16, v34, v50, s13
	s_delay_alu instid0(VALU_DEP_2) | instskip(NEXT) | instid1(VALU_DEP_2)
	v_add_nc_u32_e32 v17, 1, v18
	v_add_nc_u32_e32 v16, -1, v16
	s_delay_alu instid0(VALU_DEP_2) | instskip(NEXT) | instid1(VALU_DEP_2)
	v_cndmask_b32_e64 v14, v14, v17, s13
	v_min_u32_e32 v16, v17, v16
	v_cndmask_b32_e64 v12, v17, v12, s13
	s_delay_alu instid0(VALU_DEP_3) | instskip(NEXT) | instid1(VALU_DEP_3)
	v_cmp_lt_u32_e64 s14, v14, v50
	v_add_nc_u32_e32 v16, v28, v16
	s_delay_alu instid0(VALU_DEP_3)
	v_cmp_ge_u32_e64 s16, v12, v34
	ds_load_u8 v16, v16
	s_wait_dscnt 0x0
	v_cndmask_b32_e64 v51, v16, v39, s13
	v_cndmask_b32_e64 v52, v49, v16, s13
	;; [unrolled: 1-line block ×3, first 2 shown]
	s_delay_alu instid0(VALU_DEP_3) | instskip(NEXT) | instid1(VALU_DEP_3)
	v_and_b32_e32 v16, v51, v11
	v_and_b32_e32 v19, v52, v11
	s_delay_alu instid0(VALU_DEP_3) | instskip(NEXT) | instid1(VALU_DEP_3)
	v_and_b32_e32 v27, 0xff, v49
	v_and_b32_e32 v16, 0xff, v16
	s_delay_alu instid0(VALU_DEP_3) | instskip(NEXT) | instid1(VALU_DEP_1)
	v_and_b32_e32 v19, 0xff, v19
	v_cmp_le_u16_e64 s15, v16, v19
	s_and_b32 s14, s14, s15
	s_wait_alu 0xfffe
	s_or_b32 s14, s16, s14
	s_wait_alu 0xfffe
	v_cndmask_b32_e64 v19, v12, v14, s14
	v_cndmask_b32_e64 v16, v34, v50, s14
	;; [unrolled: 1-line block ×3, first 2 shown]
	s_delay_alu instid0(VALU_DEP_3) | instskip(NEXT) | instid1(VALU_DEP_3)
	v_add_nc_u32_e32 v17, 1, v19
	v_add_nc_u32_e32 v16, -1, v16
	s_delay_alu instid0(VALU_DEP_2) | instskip(NEXT) | instid1(VALU_DEP_2)
	v_cndmask_b32_e64 v55, v14, v17, s14
	v_min_u32_e32 v16, v17, v16
	v_cndmask_b32_e64 v64, v17, v12, s14
	s_delay_alu instid0(VALU_DEP_3) | instskip(NEXT) | instid1(VALU_DEP_3)
	v_cmp_lt_u32_e64 s15, v55, v50
	v_add_nc_u32_e32 v16, v28, v16
	s_delay_alu instid0(VALU_DEP_3)
	v_cmp_ge_u32_e64 s17, v64, v34
	ds_load_u8 v16, v16
	s_wait_dscnt 0x0
	v_cndmask_b32_e64 v53, v16, v51, s14
	v_cndmask_b32_e64 v54, v52, v16, s14
	v_and_b32_e32 v52, 0xff, v36
	s_delay_alu instid0(VALU_DEP_3) | instskip(NEXT) | instid1(VALU_DEP_3)
	v_and_b32_e32 v16, v53, v11
	v_and_b32_e32 v20, v54, v11
	s_delay_alu instid0(VALU_DEP_2) | instskip(NEXT) | instid1(VALU_DEP_2)
	v_and_b32_e32 v14, 0xff, v16
	v_and_b32_e32 v16, 0xff, v20
	s_delay_alu instid0(VALU_DEP_1)
	v_cmp_le_u16_e64 s16, v14, v16
	v_lshl_add_u32 v16, v13, 3, v10
	s_and_b32 s15, s15, s16
	s_wait_alu 0xfffe
	s_or_b32 s15, s17, s15
	s_wait_alu 0xfffe
	v_cndmask_b32_e64 v14, v64, v55, s15
	v_cndmask_b32_e64 v12, v34, v50, s15
	;; [unrolled: 1-line block ×3, first 2 shown]
	s_delay_alu instid0(VALU_DEP_3) | instskip(NEXT) | instid1(VALU_DEP_3)
	v_add_nc_u32_e32 v65, 1, v14
	v_add_nc_u32_e32 v12, -1, v12
	v_lshl_add_u32 v14, v14, 3, v10
	s_delay_alu instid0(VALU_DEP_3) | instskip(NEXT) | instid1(VALU_DEP_3)
	v_cndmask_b32_e64 v24, v55, v65, s15
	v_min_u32_e32 v12, v65, v12
	v_cndmask_b32_e64 v55, v65, v64, s15
	s_delay_alu instid0(VALU_DEP_3) | instskip(NEXT) | instid1(VALU_DEP_3)
	v_cmp_lt_u32_e64 s7, v24, v50
	v_add_nc_u32_e32 v12, v28, v12
	s_delay_alu instid0(VALU_DEP_3)
	v_cmp_ge_u32_e64 s11, v55, v34
	v_lshlrev_b16 v34, 8, v37
	v_and_b32_e32 v50, 0xff, v38
	ds_load_u8 v22, v12
	v_lshl_add_u32 v12, v5, 3, v10
	ds_load_b64 v[4:5], v4 offset:2048
	ds_load_b64 v[12:13], v12 offset:2048
	;; [unrolled: 1-line block ×4, first 2 shown]
	v_lshl_add_u32 v15, v18, 3, v10
	v_lshl_add_u32 v18, v19, 3, v10
	v_or_b32_e32 v27, v27, v34
	s_delay_alu instid0(VALU_DEP_1)
	v_and_b32_e32 v27, 0xffff, v27
	s_wait_dscnt 0x4
	v_cndmask_b32_e64 v66, v22, v53, s15
	v_cndmask_b32_e64 v67, v54, v22, s15
	ds_load_b64 v[22:23], v15 offset:2048
	ds_load_b64 v[18:19], v18 offset:2048
	;; [unrolled: 1-line block ×3, first 2 shown]
	v_lshlrev_b16 v53, 8, v35
	v_and_b32_e32 v54, 0xff, v48
	v_and_b32_e32 v68, v66, v11
	;; [unrolled: 1-line block ×3, first 2 shown]
	s_delay_alu instid0(VALU_DEP_3) | instskip(NEXT) | instid1(VALU_DEP_3)
	v_or_b32_e32 v34, v54, v53
	v_and_b32_e32 v25, 0xff, v68
	s_delay_alu instid0(VALU_DEP_3) | instskip(NEXT) | instid1(VALU_DEP_3)
	v_and_b32_e32 v26, 0xff, v69
	v_and_b32_e32 v34, 0xffff, v34
	s_delay_alu instid0(VALU_DEP_2) | instskip(SKIP_2) | instid1(VALU_DEP_1)
	v_cmp_le_u16_e64 s10, v25, v26
	v_lshlrev_b16 v26, 8, v9
	s_and_b32 s7, s7, s10
	v_or_b32_e32 v26, v52, v26
	s_wait_alu 0xfffe
	s_or_b32 s7, s11, s7
	s_wait_alu 0xfffe
	v_cndmask_b32_e64 v24, v55, v24, s7
	v_cndmask_b32_e64 v39, v66, v67, s7
	v_lshlrev_b32_e32 v26, 16, v26
	s_delay_alu instid0(VALU_DEP_3) | instskip(NEXT) | instid1(VALU_DEP_3)
	v_lshl_add_u32 v24, v24, 3, v10
	v_lshlrev_b16 v51, 8, v39
	s_delay_alu instid0(VALU_DEP_3) | instskip(SKIP_2) | instid1(VALU_DEP_1)
	v_or_b32_e32 v26, v34, v26
	ds_load_b64 v[24:25], v24 offset:2048
	v_or_b32_e32 v50, v50, v51
	v_lshlrev_b32_e32 v50, 16, v50
	s_delay_alu instid0(VALU_DEP_1)
	v_or_b32_e32 v27, v27, v50
.LBB98_40:
	s_wait_alu 0xfffe
	s_or_b32 exec_lo, exec_lo, s19
	v_and_b32_e32 v52, 0xe0, v33
	v_and_b32_e32 v53, 24, v33
	s_mov_b32 s10, exec_lo
	; wave barrier
	s_delay_alu instid0(VALU_DEP_2) | instskip(NEXT) | instid1(VALU_DEP_2)
	v_or_b32_e32 v34, 16, v52
	v_min_u32_e32 v53, v31, v53
	s_delay_alu instid0(VALU_DEP_2)
	v_min_u32_e32 v51, v31, v34
	v_add_nc_u32_e32 v34, v28, v33
	ds_store_b8 v34, v48
	s_wait_dscnt 0x8
	ds_store_b64 v29, v[4:5] offset:2048
	ds_store_b8 v34, v35 offset:1
	s_wait_dscnt 0x9
	ds_store_b64 v29, v[12:13] offset:2056
	v_add_nc_u32_e32 v50, 16, v51
	v_sub_nc_u32_e32 v55, v51, v52
	ds_store_b8 v34, v36 offset:2
	s_wait_dscnt 0xa
	ds_store_b64 v29, v[16:17] offset:2064
	ds_store_b8 v34, v9 offset:3
	s_wait_dscnt 0xb
	ds_store_b64 v29, v[20:21] offset:2072
	;; [unrolled: 3-line block ×6, first 2 shown]
	v_min_u32_e32 v50, v31, v50
	v_min_u32_e32 v55, v53, v55
	; wave barrier
	s_delay_alu instid0(VALU_DEP_2) | instskip(NEXT) | instid1(VALU_DEP_1)
	v_sub_nc_u32_e32 v54, v50, v51
	v_sub_nc_u32_e64 v54, v53, v54 clamp
	s_delay_alu instid0(VALU_DEP_1)
	v_cmpx_lt_u32_e64 v54, v55
	s_cbranch_execz .LBB98_44
; %bb.41:
	v_add_nc_u32_e32 v64, v28, v52
	v_add3_u32 v65, v28, v51, v53
	s_mov_b32 s11, 0
.LBB98_42:                              ; =>This Inner Loop Header: Depth=1
	v_add_nc_u32_e32 v66, v55, v54
	s_delay_alu instid0(VALU_DEP_1) | instskip(NEXT) | instid1(VALU_DEP_1)
	v_lshrrev_b32_e32 v66, 1, v66
	v_xad_u32 v67, v66, -1, v65
	v_add_nc_u32_e32 v68, v64, v66
	v_add_nc_u32_e32 v69, 1, v66
	ds_load_u8 v67, v67
	ds_load_u8 v68, v68
	s_wait_dscnt 0x1
	v_and_b32_e32 v67, v67, v11
	s_wait_dscnt 0x0
	v_and_b32_e32 v68, v68, v11
	s_delay_alu instid0(VALU_DEP_2) | instskip(NEXT) | instid1(VALU_DEP_2)
	v_and_b32_e32 v67, 0xff, v67
	v_and_b32_e32 v68, 0xff, v68
	s_delay_alu instid0(VALU_DEP_1) | instskip(SKIP_1) | instid1(VALU_DEP_1)
	v_cmp_gt_u16_e64 s7, v67, v68
	s_wait_alu 0xf1ff
	v_cndmask_b32_e64 v55, v55, v66, s7
	v_cndmask_b32_e64 v54, v69, v54, s7
	s_delay_alu instid0(VALU_DEP_1)
	v_cmp_ge_u32_e64 s7, v54, v55
	s_wait_alu 0xfffe
	s_or_b32 s11, s7, s11
	s_wait_alu 0xfffe
	s_and_not1_b32 exec_lo, exec_lo, s11
	s_cbranch_execnz .LBB98_42
; %bb.43:
	s_or_b32 exec_lo, exec_lo, s11
.LBB98_44:
	s_wait_alu 0xfffe
	s_or_b32 exec_lo, exec_lo, s10
	v_add_nc_u32_e32 v55, v51, v53
	v_add_nc_u32_e32 v53, v54, v52
	s_delay_alu instid0(VALU_DEP_2) | instskip(NEXT) | instid1(VALU_DEP_2)
	v_sub_nc_u32_e32 v52, v55, v54
	v_cmp_le_u32_e64 s7, v53, v51
	s_delay_alu instid0(VALU_DEP_2)
	v_cmp_le_u32_e64 s10, v52, v50
	s_or_b32 s7, s7, s10
	s_wait_alu 0xfffe
	s_and_saveexec_b32 s19, s7
	s_cbranch_execz .LBB98_50
; %bb.45:
	v_cmp_lt_u32_e64 s7, v53, v51
                                        ; implicit-def: $vgpr9
	s_and_saveexec_b32 s10, s7
; %bb.46:
	v_add_nc_u32_e32 v4, v28, v53
	ds_load_u8 v9, v4
; %bb.47:
	s_wait_alu 0xfffe
	s_or_b32 exec_lo, exec_lo, s10
	v_cmp_ge_u32_e64 s10, v52, v50
	s_mov_b32 s12, exec_lo
                                        ; implicit-def: $vgpr24
	v_cmpx_lt_u32_e64 v52, v50
; %bb.48:
	v_add_nc_u32_e32 v4, v28, v52
	ds_load_u8 v24, v4
; %bb.49:
	s_wait_alu 0xfffe
	s_or_b32 exec_lo, exec_lo, s12
	s_wait_dscnt 0x0
	v_and_b32_e32 v4, v24, v11
	v_and_b32_e32 v5, v9, v11
	s_delay_alu instid0(VALU_DEP_2) | instskip(NEXT) | instid1(VALU_DEP_2)
	v_and_b32_e32 v4, 0xff, v4
	v_and_b32_e32 v5, 0xff, v5
	s_delay_alu instid0(VALU_DEP_1)
	v_cmp_le_u16_e64 s11, v4, v5
	s_and_b32 s7, s7, s11
	s_wait_alu 0xfffe
	s_or_b32 s7, s10, s7
	s_wait_alu 0xfffe
	v_cndmask_b32_e64 v4, v52, v53, s7
	v_cndmask_b32_e64 v5, v50, v51, s7
	;; [unrolled: 1-line block ×3, first 2 shown]
	s_delay_alu instid0(VALU_DEP_3) | instskip(NEXT) | instid1(VALU_DEP_3)
	v_add_nc_u32_e32 v12, 1, v4
	v_add_nc_u32_e32 v5, -1, v5
	v_lshl_add_u32 v4, v4, 3, v10
	s_delay_alu instid0(VALU_DEP_3) | instskip(NEXT) | instid1(VALU_DEP_3)
	v_cndmask_b32_e64 v14, v53, v12, s7
	v_min_u32_e32 v5, v12, v5
	v_cndmask_b32_e64 v12, v12, v52, s7
	s_delay_alu instid0(VALU_DEP_3) | instskip(NEXT) | instid1(VALU_DEP_3)
	v_cmp_lt_u32_e64 s10, v14, v51
	v_add_nc_u32_e32 v5, v28, v5
	s_delay_alu instid0(VALU_DEP_3) | instskip(SKIP_4) | instid1(VALU_DEP_2)
	v_cmp_ge_u32_e64 s12, v12, v50
	ds_load_u8 v5, v5
	s_wait_dscnt 0x0
	v_cndmask_b32_e64 v25, v5, v24, s7
	v_cndmask_b32_e64 v26, v9, v5, s7
	v_and_b32_e32 v5, v25, v11
	s_delay_alu instid0(VALU_DEP_2) | instskip(NEXT) | instid1(VALU_DEP_2)
	v_and_b32_e32 v13, v26, v11
	v_and_b32_e32 v5, 0xff, v5
	s_delay_alu instid0(VALU_DEP_2) | instskip(NEXT) | instid1(VALU_DEP_1)
	v_and_b32_e32 v13, 0xff, v13
	v_cmp_le_u16_e64 s11, v5, v13
	s_and_b32 s10, s10, s11
	s_wait_alu 0xfffe
	s_or_b32 s10, s12, s10
	s_wait_alu 0xfffe
	v_cndmask_b32_e64 v5, v12, v14, s10
	v_cndmask_b32_e64 v13, v50, v51, s10
	;; [unrolled: 1-line block ×3, first 2 shown]
	s_delay_alu instid0(VALU_DEP_3) | instskip(NEXT) | instid1(VALU_DEP_3)
	v_add_nc_u32_e32 v15, 1, v5
	v_add_nc_u32_e32 v13, -1, v13
	s_delay_alu instid0(VALU_DEP_2) | instskip(NEXT) | instid1(VALU_DEP_2)
	v_cndmask_b32_e64 v14, v14, v15, s10
	v_min_u32_e32 v13, v15, v13
	v_cndmask_b32_e64 v12, v15, v12, s10
	s_delay_alu instid0(VALU_DEP_3) | instskip(NEXT) | instid1(VALU_DEP_3)
	v_cmp_lt_u32_e64 s11, v14, v51
	v_add_nc_u32_e32 v13, v28, v13
	s_delay_alu instid0(VALU_DEP_3) | instskip(SKIP_4) | instid1(VALU_DEP_2)
	v_cmp_ge_u32_e64 s13, v12, v50
	ds_load_u8 v13, v13
	s_wait_dscnt 0x0
	v_cndmask_b32_e64 v27, v13, v25, s10
	v_cndmask_b32_e64 v36, v26, v13, s10
	v_and_b32_e32 v13, v27, v11
	s_delay_alu instid0(VALU_DEP_2) | instskip(NEXT) | instid1(VALU_DEP_2)
	v_and_b32_e32 v16, v36, v11
	v_and_b32_e32 v13, 0xff, v13
	s_delay_alu instid0(VALU_DEP_2) | instskip(NEXT) | instid1(VALU_DEP_1)
	v_and_b32_e32 v16, 0xff, v16
	v_cmp_le_u16_e64 s12, v13, v16
	s_and_b32 s11, s11, s12
	s_wait_alu 0xfffe
	s_or_b32 s11, s13, s11
	s_wait_alu 0xfffe
	v_cndmask_b32_e64 v13, v12, v14, s11
	v_cndmask_b32_e64 v15, v50, v51, s11
	s_delay_alu instid0(VALU_DEP_2) | instskip(NEXT) | instid1(VALU_DEP_2)
	v_add_nc_u32_e32 v16, 1, v13
	v_add_nc_u32_e32 v15, -1, v15
	s_delay_alu instid0(VALU_DEP_2) | instskip(NEXT) | instid1(VALU_DEP_2)
	v_cndmask_b32_e64 v14, v14, v16, s11
	v_min_u32_e32 v15, v16, v15
	v_cndmask_b32_e64 v12, v16, v12, s11
	s_delay_alu instid0(VALU_DEP_3) | instskip(NEXT) | instid1(VALU_DEP_3)
	v_cmp_lt_u32_e64 s12, v14, v51
	v_add_nc_u32_e32 v15, v28, v15
	s_delay_alu instid0(VALU_DEP_3)
	v_cmp_ge_u32_e64 s14, v12, v50
	ds_load_u8 v15, v15
	s_wait_dscnt 0x0
	v_cndmask_b32_e64 v37, v15, v27, s11
	v_cndmask_b32_e64 v38, v36, v15, s11
	;; [unrolled: 1-line block ×3, first 2 shown]
	s_delay_alu instid0(VALU_DEP_3) | instskip(NEXT) | instid1(VALU_DEP_3)
	v_and_b32_e32 v15, v37, v11
	v_and_b32_e32 v17, v38, v11
	s_delay_alu instid0(VALU_DEP_2) | instskip(NEXT) | instid1(VALU_DEP_2)
	v_and_b32_e32 v15, 0xff, v15
	v_and_b32_e32 v17, 0xff, v17
	s_delay_alu instid0(VALU_DEP_1)
	v_cmp_le_u16_e64 s13, v15, v17
	s_and_b32 s12, s12, s13
	s_wait_alu 0xfffe
	s_or_b32 s12, s14, s12
	s_wait_alu 0xfffe
	v_cndmask_b32_e64 v15, v12, v14, s12
	v_cndmask_b32_e64 v16, v50, v51, s12
	;; [unrolled: 1-line block ×3, first 2 shown]
	s_delay_alu instid0(VALU_DEP_3) | instskip(NEXT) | instid1(VALU_DEP_3)
	v_add_nc_u32_e32 v17, 1, v15
	v_add_nc_u32_e32 v16, -1, v16
	v_lshl_add_u32 v15, v15, 3, v10
	s_delay_alu instid0(VALU_DEP_3) | instskip(NEXT) | instid1(VALU_DEP_3)
	v_cndmask_b32_e64 v14, v14, v17, s12
	v_min_u32_e32 v16, v17, v16
	v_cndmask_b32_e64 v12, v17, v12, s12
	s_delay_alu instid0(VALU_DEP_3) | instskip(NEXT) | instid1(VALU_DEP_3)
	v_cmp_lt_u32_e64 s13, v14, v51
	v_add_nc_u32_e32 v16, v28, v16
	s_delay_alu instid0(VALU_DEP_3) | instskip(SKIP_4) | instid1(VALU_DEP_2)
	v_cmp_ge_u32_e64 s15, v12, v50
	ds_load_u8 v16, v16
	s_wait_dscnt 0x0
	v_cndmask_b32_e64 v39, v16, v37, s12
	v_cndmask_b32_e64 v49, v38, v16, s12
	v_and_b32_e32 v16, v39, v11
	s_delay_alu instid0(VALU_DEP_2) | instskip(NEXT) | instid1(VALU_DEP_2)
	v_and_b32_e32 v18, v49, v11
	v_and_b32_e32 v16, 0xff, v16
	s_delay_alu instid0(VALU_DEP_2) | instskip(NEXT) | instid1(VALU_DEP_1)
	v_and_b32_e32 v18, 0xff, v18
	v_cmp_le_u16_e64 s14, v16, v18
	s_and_b32 s13, s13, s14
	s_wait_alu 0xfffe
	s_or_b32 s13, s15, s13
	s_wait_alu 0xfffe
	v_cndmask_b32_e64 v18, v12, v14, s13
	v_cndmask_b32_e64 v16, v50, v51, s13
	s_delay_alu instid0(VALU_DEP_2) | instskip(NEXT) | instid1(VALU_DEP_2)
	v_add_nc_u32_e32 v17, 1, v18
	v_add_nc_u32_e32 v16, -1, v16
	s_delay_alu instid0(VALU_DEP_2) | instskip(NEXT) | instid1(VALU_DEP_2)
	v_cndmask_b32_e64 v14, v14, v17, s13
	v_min_u32_e32 v16, v17, v16
	v_cndmask_b32_e64 v12, v17, v12, s13
	s_delay_alu instid0(VALU_DEP_3) | instskip(NEXT) | instid1(VALU_DEP_3)
	v_cmp_lt_u32_e64 s14, v14, v51
	v_add_nc_u32_e32 v16, v28, v16
	s_delay_alu instid0(VALU_DEP_3)
	v_cmp_ge_u32_e64 s16, v12, v50
	ds_load_u8 v16, v16
	s_wait_dscnt 0x0
	v_cndmask_b32_e64 v52, v16, v39, s13
	v_cndmask_b32_e64 v53, v49, v16, s13
	;; [unrolled: 1-line block ×3, first 2 shown]
	s_delay_alu instid0(VALU_DEP_3) | instskip(NEXT) | instid1(VALU_DEP_3)
	v_and_b32_e32 v16, v52, v11
	v_and_b32_e32 v19, v53, v11
	s_delay_alu instid0(VALU_DEP_3) | instskip(NEXT) | instid1(VALU_DEP_3)
	v_and_b32_e32 v27, 0xff, v49
	v_and_b32_e32 v16, 0xff, v16
	s_delay_alu instid0(VALU_DEP_3) | instskip(NEXT) | instid1(VALU_DEP_1)
	v_and_b32_e32 v19, 0xff, v19
	v_cmp_le_u16_e64 s15, v16, v19
	s_and_b32 s14, s14, s15
	s_wait_alu 0xfffe
	s_or_b32 s14, s16, s14
	s_wait_alu 0xfffe
	v_cndmask_b32_e64 v19, v12, v14, s14
	v_cndmask_b32_e64 v16, v50, v51, s14
	;; [unrolled: 1-line block ×3, first 2 shown]
	s_delay_alu instid0(VALU_DEP_3) | instskip(NEXT) | instid1(VALU_DEP_3)
	v_add_nc_u32_e32 v17, 1, v19
	v_add_nc_u32_e32 v16, -1, v16
	s_delay_alu instid0(VALU_DEP_2) | instskip(NEXT) | instid1(VALU_DEP_2)
	v_cndmask_b32_e64 v64, v14, v17, s14
	v_min_u32_e32 v16, v17, v16
	v_cndmask_b32_e64 v65, v17, v12, s14
	s_delay_alu instid0(VALU_DEP_3) | instskip(NEXT) | instid1(VALU_DEP_3)
	v_cmp_lt_u32_e64 s15, v64, v51
	v_add_nc_u32_e32 v16, v28, v16
	s_delay_alu instid0(VALU_DEP_3)
	v_cmp_ge_u32_e64 s17, v65, v50
	ds_load_u8 v16, v16
	s_wait_dscnt 0x0
	v_cndmask_b32_e64 v54, v16, v52, s14
	v_cndmask_b32_e64 v55, v53, v16, s14
	v_and_b32_e32 v53, 0xff, v36
	s_delay_alu instid0(VALU_DEP_3) | instskip(NEXT) | instid1(VALU_DEP_3)
	v_and_b32_e32 v16, v54, v11
	v_and_b32_e32 v20, v55, v11
	s_delay_alu instid0(VALU_DEP_2) | instskip(NEXT) | instid1(VALU_DEP_2)
	v_and_b32_e32 v14, 0xff, v16
	v_and_b32_e32 v16, 0xff, v20
	s_delay_alu instid0(VALU_DEP_1)
	v_cmp_le_u16_e64 s16, v14, v16
	v_lshl_add_u32 v16, v13, 3, v10
	s_and_b32 s15, s15, s16
	s_wait_alu 0xfffe
	s_or_b32 s15, s17, s15
	s_wait_alu 0xfffe
	v_cndmask_b32_e64 v14, v65, v64, s15
	v_cndmask_b32_e64 v12, v50, v51, s15
	;; [unrolled: 1-line block ×3, first 2 shown]
	s_delay_alu instid0(VALU_DEP_3) | instskip(NEXT) | instid1(VALU_DEP_3)
	v_add_nc_u32_e32 v66, 1, v14
	v_add_nc_u32_e32 v12, -1, v12
	v_lshl_add_u32 v14, v14, 3, v10
	s_delay_alu instid0(VALU_DEP_3) | instskip(NEXT) | instid1(VALU_DEP_3)
	v_cndmask_b32_e64 v24, v64, v66, s15
	v_min_u32_e32 v12, v66, v12
	v_cndmask_b32_e64 v64, v66, v65, s15
	s_delay_alu instid0(VALU_DEP_3) | instskip(NEXT) | instid1(VALU_DEP_3)
	v_cmp_lt_u32_e64 s7, v24, v51
	v_add_nc_u32_e32 v12, v28, v12
	s_delay_alu instid0(VALU_DEP_3)
	v_cmp_ge_u32_e64 s11, v64, v50
	v_lshlrev_b16 v50, 8, v37
	v_and_b32_e32 v51, 0xff, v38
	ds_load_u8 v22, v12
	v_lshl_add_u32 v12, v5, 3, v10
	ds_load_b64 v[4:5], v4 offset:2048
	ds_load_b64 v[12:13], v12 offset:2048
	;; [unrolled: 1-line block ×4, first 2 shown]
	v_lshl_add_u32 v15, v18, 3, v10
	v_lshl_add_u32 v18, v19, 3, v10
	v_or_b32_e32 v27, v27, v50
	s_delay_alu instid0(VALU_DEP_1)
	v_and_b32_e32 v27, 0xffff, v27
	s_wait_dscnt 0x4
	v_cndmask_b32_e64 v67, v22, v54, s15
	v_cndmask_b32_e64 v68, v55, v22, s15
	ds_load_b64 v[22:23], v15 offset:2048
	ds_load_b64 v[18:19], v18 offset:2048
	;; [unrolled: 1-line block ×3, first 2 shown]
	v_lshlrev_b16 v54, 8, v35
	v_and_b32_e32 v55, 0xff, v48
	v_and_b32_e32 v69, v67, v11
	;; [unrolled: 1-line block ×3, first 2 shown]
	s_delay_alu instid0(VALU_DEP_3) | instskip(NEXT) | instid1(VALU_DEP_3)
	v_or_b32_e32 v50, v55, v54
	v_and_b32_e32 v25, 0xff, v69
	s_delay_alu instid0(VALU_DEP_3) | instskip(NEXT) | instid1(VALU_DEP_3)
	v_and_b32_e32 v26, 0xff, v70
	v_and_b32_e32 v50, 0xffff, v50
	s_delay_alu instid0(VALU_DEP_2) | instskip(SKIP_2) | instid1(VALU_DEP_1)
	v_cmp_le_u16_e64 s10, v25, v26
	v_lshlrev_b16 v26, 8, v9
	s_and_b32 s7, s7, s10
	v_or_b32_e32 v26, v53, v26
	s_wait_alu 0xfffe
	s_or_b32 s7, s11, s7
	s_wait_alu 0xfffe
	v_cndmask_b32_e64 v24, v64, v24, s7
	v_cndmask_b32_e64 v39, v67, v68, s7
	v_lshlrev_b32_e32 v26, 16, v26
	s_delay_alu instid0(VALU_DEP_3) | instskip(NEXT) | instid1(VALU_DEP_3)
	v_lshl_add_u32 v24, v24, 3, v10
	v_lshlrev_b16 v52, 8, v39
	s_delay_alu instid0(VALU_DEP_3) | instskip(SKIP_2) | instid1(VALU_DEP_1)
	v_or_b32_e32 v26, v50, v26
	ds_load_b64 v[24:25], v24 offset:2048
	v_or_b32_e32 v51, v51, v52
	v_lshlrev_b32_e32 v51, 16, v51
	s_delay_alu instid0(VALU_DEP_1)
	v_or_b32_e32 v27, v27, v51
.LBB98_50:
	s_wait_alu 0xfffe
	s_or_b32 exec_lo, exec_lo, s19
	v_and_b32_e32 v52, 0xc0, v33
	v_and_b32_e32 v53, 56, v33
	s_mov_b32 s10, exec_lo
	; wave barrier
	s_delay_alu instid0(VALU_DEP_2) | instskip(NEXT) | instid1(VALU_DEP_2)
	v_or_b32_e32 v50, 32, v52
	v_min_u32_e32 v53, v31, v53
	ds_store_b8 v34, v48
	s_wait_dscnt 0x8
	ds_store_b64 v29, v[4:5] offset:2048
	ds_store_b8 v34, v35 offset:1
	s_wait_dscnt 0x9
	ds_store_b64 v29, v[12:13] offset:2056
	ds_store_b8 v34, v36 offset:2
	s_wait_dscnt 0xa
	ds_store_b64 v29, v[16:17] offset:2064
	ds_store_b8 v34, v9 offset:3
	v_min_u32_e32 v51, v31, v50
	s_wait_dscnt 0xb
	ds_store_b64 v29, v[20:21] offset:2072
	ds_store_b8 v34, v49 offset:4
	s_wait_dscnt 0xc
	ds_store_b64 v29, v[22:23] offset:2080
	ds_store_b8 v34, v37 offset:5
	s_wait_dscnt 0xd
	ds_store_b64 v29, v[18:19] offset:2088
	ds_store_b8 v34, v38 offset:6
	s_wait_dscnt 0xe
	ds_store_b64 v29, v[14:15] offset:2096
	ds_store_b8 v34, v39 offset:7
	s_wait_dscnt 0xf
	ds_store_b64 v29, v[24:25] offset:2104
	; wave barrier
	v_add_nc_u32_e32 v50, 32, v51
	v_sub_nc_u32_e32 v55, v51, v52
	s_delay_alu instid0(VALU_DEP_2) | instskip(NEXT) | instid1(VALU_DEP_2)
	v_min_u32_e32 v50, v31, v50
	v_min_u32_e32 v55, v53, v55
	s_delay_alu instid0(VALU_DEP_2) | instskip(NEXT) | instid1(VALU_DEP_1)
	v_sub_nc_u32_e32 v54, v50, v51
	v_sub_nc_u32_e64 v54, v53, v54 clamp
	s_delay_alu instid0(VALU_DEP_1)
	v_cmpx_lt_u32_e64 v54, v55
	s_cbranch_execz .LBB98_54
; %bb.51:
	v_add_nc_u32_e32 v64, v28, v52
	v_add3_u32 v65, v28, v51, v53
	s_mov_b32 s11, 0
.LBB98_52:                              ; =>This Inner Loop Header: Depth=1
	v_add_nc_u32_e32 v66, v55, v54
	s_delay_alu instid0(VALU_DEP_1) | instskip(NEXT) | instid1(VALU_DEP_1)
	v_lshrrev_b32_e32 v66, 1, v66
	v_xad_u32 v67, v66, -1, v65
	v_add_nc_u32_e32 v68, v64, v66
	v_add_nc_u32_e32 v69, 1, v66
	ds_load_u8 v67, v67
	ds_load_u8 v68, v68
	s_wait_dscnt 0x1
	v_and_b32_e32 v67, v67, v11
	s_wait_dscnt 0x0
	v_and_b32_e32 v68, v68, v11
	s_delay_alu instid0(VALU_DEP_2) | instskip(NEXT) | instid1(VALU_DEP_2)
	v_and_b32_e32 v67, 0xff, v67
	v_and_b32_e32 v68, 0xff, v68
	s_delay_alu instid0(VALU_DEP_1) | instskip(SKIP_1) | instid1(VALU_DEP_1)
	v_cmp_gt_u16_e64 s7, v67, v68
	s_wait_alu 0xf1ff
	v_cndmask_b32_e64 v55, v55, v66, s7
	v_cndmask_b32_e64 v54, v69, v54, s7
	s_delay_alu instid0(VALU_DEP_1)
	v_cmp_ge_u32_e64 s7, v54, v55
	s_wait_alu 0xfffe
	s_or_b32 s11, s7, s11
	s_wait_alu 0xfffe
	s_and_not1_b32 exec_lo, exec_lo, s11
	s_cbranch_execnz .LBB98_52
; %bb.53:
	s_or_b32 exec_lo, exec_lo, s11
.LBB98_54:
	s_wait_alu 0xfffe
	s_or_b32 exec_lo, exec_lo, s10
	v_add_nc_u32_e32 v55, v51, v53
	v_add_nc_u32_e32 v53, v54, v52
	s_delay_alu instid0(VALU_DEP_2) | instskip(NEXT) | instid1(VALU_DEP_2)
	v_sub_nc_u32_e32 v52, v55, v54
	v_cmp_le_u32_e64 s7, v53, v51
	s_delay_alu instid0(VALU_DEP_2)
	v_cmp_le_u32_e64 s10, v52, v50
	s_or_b32 s7, s7, s10
	s_wait_alu 0xfffe
	s_and_saveexec_b32 s19, s7
	s_cbranch_execz .LBB98_60
; %bb.55:
	v_cmp_lt_u32_e64 s7, v53, v51
                                        ; implicit-def: $vgpr9
	s_and_saveexec_b32 s10, s7
; %bb.56:
	v_add_nc_u32_e32 v4, v28, v53
	ds_load_u8 v9, v4
; %bb.57:
	s_wait_alu 0xfffe
	s_or_b32 exec_lo, exec_lo, s10
	v_cmp_ge_u32_e64 s10, v52, v50
	s_mov_b32 s12, exec_lo
                                        ; implicit-def: $vgpr24
	v_cmpx_lt_u32_e64 v52, v50
; %bb.58:
	v_add_nc_u32_e32 v4, v28, v52
	ds_load_u8 v24, v4
; %bb.59:
	s_wait_alu 0xfffe
	s_or_b32 exec_lo, exec_lo, s12
	s_wait_dscnt 0x0
	v_and_b32_e32 v4, v24, v11
	v_and_b32_e32 v5, v9, v11
	s_delay_alu instid0(VALU_DEP_2) | instskip(NEXT) | instid1(VALU_DEP_2)
	v_and_b32_e32 v4, 0xff, v4
	v_and_b32_e32 v5, 0xff, v5
	s_delay_alu instid0(VALU_DEP_1)
	v_cmp_le_u16_e64 s11, v4, v5
	s_and_b32 s7, s7, s11
	s_wait_alu 0xfffe
	s_or_b32 s7, s10, s7
	s_wait_alu 0xfffe
	v_cndmask_b32_e64 v4, v52, v53, s7
	v_cndmask_b32_e64 v5, v50, v51, s7
	;; [unrolled: 1-line block ×3, first 2 shown]
	s_delay_alu instid0(VALU_DEP_3) | instskip(NEXT) | instid1(VALU_DEP_3)
	v_add_nc_u32_e32 v12, 1, v4
	v_add_nc_u32_e32 v5, -1, v5
	v_lshl_add_u32 v4, v4, 3, v10
	s_delay_alu instid0(VALU_DEP_3) | instskip(NEXT) | instid1(VALU_DEP_3)
	v_cndmask_b32_e64 v14, v53, v12, s7
	v_min_u32_e32 v5, v12, v5
	v_cndmask_b32_e64 v12, v12, v52, s7
	s_delay_alu instid0(VALU_DEP_3) | instskip(NEXT) | instid1(VALU_DEP_3)
	v_cmp_lt_u32_e64 s10, v14, v51
	v_add_nc_u32_e32 v5, v28, v5
	s_delay_alu instid0(VALU_DEP_3) | instskip(SKIP_4) | instid1(VALU_DEP_2)
	v_cmp_ge_u32_e64 s12, v12, v50
	ds_load_u8 v5, v5
	s_wait_dscnt 0x0
	v_cndmask_b32_e64 v25, v5, v24, s7
	v_cndmask_b32_e64 v26, v9, v5, s7
	v_and_b32_e32 v5, v25, v11
	s_delay_alu instid0(VALU_DEP_2) | instskip(NEXT) | instid1(VALU_DEP_2)
	v_and_b32_e32 v13, v26, v11
	v_and_b32_e32 v5, 0xff, v5
	s_delay_alu instid0(VALU_DEP_2) | instskip(NEXT) | instid1(VALU_DEP_1)
	v_and_b32_e32 v13, 0xff, v13
	v_cmp_le_u16_e64 s11, v5, v13
	s_and_b32 s10, s10, s11
	s_wait_alu 0xfffe
	s_or_b32 s10, s12, s10
	s_wait_alu 0xfffe
	v_cndmask_b32_e64 v5, v12, v14, s10
	v_cndmask_b32_e64 v13, v50, v51, s10
	;; [unrolled: 1-line block ×3, first 2 shown]
	s_delay_alu instid0(VALU_DEP_3) | instskip(NEXT) | instid1(VALU_DEP_3)
	v_add_nc_u32_e32 v15, 1, v5
	v_add_nc_u32_e32 v13, -1, v13
	s_delay_alu instid0(VALU_DEP_2) | instskip(NEXT) | instid1(VALU_DEP_2)
	v_cndmask_b32_e64 v14, v14, v15, s10
	v_min_u32_e32 v13, v15, v13
	v_cndmask_b32_e64 v12, v15, v12, s10
	s_delay_alu instid0(VALU_DEP_3) | instskip(NEXT) | instid1(VALU_DEP_3)
	v_cmp_lt_u32_e64 s11, v14, v51
	v_add_nc_u32_e32 v13, v28, v13
	s_delay_alu instid0(VALU_DEP_3) | instskip(SKIP_4) | instid1(VALU_DEP_2)
	v_cmp_ge_u32_e64 s13, v12, v50
	ds_load_u8 v13, v13
	s_wait_dscnt 0x0
	v_cndmask_b32_e64 v27, v13, v25, s10
	v_cndmask_b32_e64 v36, v26, v13, s10
	v_and_b32_e32 v13, v27, v11
	s_delay_alu instid0(VALU_DEP_2) | instskip(NEXT) | instid1(VALU_DEP_2)
	v_and_b32_e32 v16, v36, v11
	v_and_b32_e32 v13, 0xff, v13
	s_delay_alu instid0(VALU_DEP_2) | instskip(NEXT) | instid1(VALU_DEP_1)
	v_and_b32_e32 v16, 0xff, v16
	v_cmp_le_u16_e64 s12, v13, v16
	s_and_b32 s11, s11, s12
	s_wait_alu 0xfffe
	s_or_b32 s11, s13, s11
	s_wait_alu 0xfffe
	v_cndmask_b32_e64 v13, v12, v14, s11
	v_cndmask_b32_e64 v15, v50, v51, s11
	s_delay_alu instid0(VALU_DEP_2) | instskip(NEXT) | instid1(VALU_DEP_2)
	v_add_nc_u32_e32 v16, 1, v13
	v_add_nc_u32_e32 v15, -1, v15
	s_delay_alu instid0(VALU_DEP_2) | instskip(NEXT) | instid1(VALU_DEP_2)
	v_cndmask_b32_e64 v14, v14, v16, s11
	v_min_u32_e32 v15, v16, v15
	v_cndmask_b32_e64 v12, v16, v12, s11
	s_delay_alu instid0(VALU_DEP_3) | instskip(NEXT) | instid1(VALU_DEP_3)
	v_cmp_lt_u32_e64 s12, v14, v51
	v_add_nc_u32_e32 v15, v28, v15
	s_delay_alu instid0(VALU_DEP_3)
	v_cmp_ge_u32_e64 s14, v12, v50
	ds_load_u8 v15, v15
	s_wait_dscnt 0x0
	v_cndmask_b32_e64 v37, v15, v27, s11
	v_cndmask_b32_e64 v38, v36, v15, s11
	;; [unrolled: 1-line block ×3, first 2 shown]
	s_delay_alu instid0(VALU_DEP_3) | instskip(NEXT) | instid1(VALU_DEP_3)
	v_and_b32_e32 v15, v37, v11
	v_and_b32_e32 v17, v38, v11
	s_delay_alu instid0(VALU_DEP_2) | instskip(NEXT) | instid1(VALU_DEP_2)
	v_and_b32_e32 v15, 0xff, v15
	v_and_b32_e32 v17, 0xff, v17
	s_delay_alu instid0(VALU_DEP_1)
	v_cmp_le_u16_e64 s13, v15, v17
	s_and_b32 s12, s12, s13
	s_wait_alu 0xfffe
	s_or_b32 s12, s14, s12
	s_wait_alu 0xfffe
	v_cndmask_b32_e64 v15, v12, v14, s12
	v_cndmask_b32_e64 v16, v50, v51, s12
	;; [unrolled: 1-line block ×3, first 2 shown]
	s_delay_alu instid0(VALU_DEP_3) | instskip(NEXT) | instid1(VALU_DEP_3)
	v_add_nc_u32_e32 v17, 1, v15
	v_add_nc_u32_e32 v16, -1, v16
	v_lshl_add_u32 v15, v15, 3, v10
	s_delay_alu instid0(VALU_DEP_3) | instskip(NEXT) | instid1(VALU_DEP_3)
	v_cndmask_b32_e64 v14, v14, v17, s12
	v_min_u32_e32 v16, v17, v16
	v_cndmask_b32_e64 v12, v17, v12, s12
	s_delay_alu instid0(VALU_DEP_3) | instskip(NEXT) | instid1(VALU_DEP_3)
	v_cmp_lt_u32_e64 s13, v14, v51
	v_add_nc_u32_e32 v16, v28, v16
	s_delay_alu instid0(VALU_DEP_3) | instskip(SKIP_4) | instid1(VALU_DEP_2)
	v_cmp_ge_u32_e64 s15, v12, v50
	ds_load_u8 v16, v16
	s_wait_dscnt 0x0
	v_cndmask_b32_e64 v39, v16, v37, s12
	v_cndmask_b32_e64 v49, v38, v16, s12
	v_and_b32_e32 v16, v39, v11
	s_delay_alu instid0(VALU_DEP_2) | instskip(NEXT) | instid1(VALU_DEP_2)
	v_and_b32_e32 v18, v49, v11
	v_and_b32_e32 v16, 0xff, v16
	s_delay_alu instid0(VALU_DEP_2) | instskip(NEXT) | instid1(VALU_DEP_1)
	v_and_b32_e32 v18, 0xff, v18
	v_cmp_le_u16_e64 s14, v16, v18
	s_and_b32 s13, s13, s14
	s_wait_alu 0xfffe
	s_or_b32 s13, s15, s13
	s_wait_alu 0xfffe
	v_cndmask_b32_e64 v18, v12, v14, s13
	v_cndmask_b32_e64 v16, v50, v51, s13
	s_delay_alu instid0(VALU_DEP_2) | instskip(NEXT) | instid1(VALU_DEP_2)
	v_add_nc_u32_e32 v17, 1, v18
	v_add_nc_u32_e32 v16, -1, v16
	s_delay_alu instid0(VALU_DEP_2) | instskip(NEXT) | instid1(VALU_DEP_2)
	v_cndmask_b32_e64 v14, v14, v17, s13
	v_min_u32_e32 v16, v17, v16
	v_cndmask_b32_e64 v12, v17, v12, s13
	s_delay_alu instid0(VALU_DEP_3) | instskip(NEXT) | instid1(VALU_DEP_3)
	v_cmp_lt_u32_e64 s14, v14, v51
	v_add_nc_u32_e32 v16, v28, v16
	s_delay_alu instid0(VALU_DEP_3)
	v_cmp_ge_u32_e64 s16, v12, v50
	ds_load_u8 v16, v16
	s_wait_dscnt 0x0
	v_cndmask_b32_e64 v52, v16, v39, s13
	v_cndmask_b32_e64 v53, v49, v16, s13
	;; [unrolled: 1-line block ×3, first 2 shown]
	s_delay_alu instid0(VALU_DEP_3) | instskip(NEXT) | instid1(VALU_DEP_3)
	v_and_b32_e32 v16, v52, v11
	v_and_b32_e32 v19, v53, v11
	s_delay_alu instid0(VALU_DEP_3) | instskip(NEXT) | instid1(VALU_DEP_3)
	v_and_b32_e32 v27, 0xff, v49
	v_and_b32_e32 v16, 0xff, v16
	s_delay_alu instid0(VALU_DEP_3) | instskip(NEXT) | instid1(VALU_DEP_1)
	v_and_b32_e32 v19, 0xff, v19
	v_cmp_le_u16_e64 s15, v16, v19
	s_and_b32 s14, s14, s15
	s_wait_alu 0xfffe
	s_or_b32 s14, s16, s14
	s_wait_alu 0xfffe
	v_cndmask_b32_e64 v19, v12, v14, s14
	v_cndmask_b32_e64 v16, v50, v51, s14
	v_cndmask_b32_e64 v37, v52, v53, s14
	s_delay_alu instid0(VALU_DEP_3) | instskip(NEXT) | instid1(VALU_DEP_3)
	v_add_nc_u32_e32 v17, 1, v19
	v_add_nc_u32_e32 v16, -1, v16
	s_delay_alu instid0(VALU_DEP_2) | instskip(NEXT) | instid1(VALU_DEP_2)
	v_cndmask_b32_e64 v64, v14, v17, s14
	v_min_u32_e32 v16, v17, v16
	v_cndmask_b32_e64 v65, v17, v12, s14
	s_delay_alu instid0(VALU_DEP_3) | instskip(NEXT) | instid1(VALU_DEP_3)
	v_cmp_lt_u32_e64 s15, v64, v51
	v_add_nc_u32_e32 v16, v28, v16
	s_delay_alu instid0(VALU_DEP_3)
	v_cmp_ge_u32_e64 s17, v65, v50
	ds_load_u8 v16, v16
	s_wait_dscnt 0x0
	v_cndmask_b32_e64 v54, v16, v52, s14
	v_cndmask_b32_e64 v55, v53, v16, s14
	v_and_b32_e32 v53, 0xff, v36
	s_delay_alu instid0(VALU_DEP_3) | instskip(NEXT) | instid1(VALU_DEP_3)
	v_and_b32_e32 v16, v54, v11
	v_and_b32_e32 v20, v55, v11
	s_delay_alu instid0(VALU_DEP_2) | instskip(NEXT) | instid1(VALU_DEP_2)
	v_and_b32_e32 v14, 0xff, v16
	v_and_b32_e32 v16, 0xff, v20
	s_delay_alu instid0(VALU_DEP_1)
	v_cmp_le_u16_e64 s16, v14, v16
	v_lshl_add_u32 v16, v13, 3, v10
	s_and_b32 s15, s15, s16
	s_wait_alu 0xfffe
	s_or_b32 s15, s17, s15
	s_wait_alu 0xfffe
	v_cndmask_b32_e64 v14, v65, v64, s15
	v_cndmask_b32_e64 v12, v50, v51, s15
	;; [unrolled: 1-line block ×3, first 2 shown]
	s_delay_alu instid0(VALU_DEP_3) | instskip(NEXT) | instid1(VALU_DEP_3)
	v_add_nc_u32_e32 v66, 1, v14
	v_add_nc_u32_e32 v12, -1, v12
	v_lshl_add_u32 v14, v14, 3, v10
	s_delay_alu instid0(VALU_DEP_3) | instskip(NEXT) | instid1(VALU_DEP_3)
	v_cndmask_b32_e64 v24, v64, v66, s15
	v_min_u32_e32 v12, v66, v12
	v_cndmask_b32_e64 v64, v66, v65, s15
	s_delay_alu instid0(VALU_DEP_3) | instskip(NEXT) | instid1(VALU_DEP_3)
	v_cmp_lt_u32_e64 s7, v24, v51
	v_add_nc_u32_e32 v12, v28, v12
	s_delay_alu instid0(VALU_DEP_3)
	v_cmp_ge_u32_e64 s11, v64, v50
	v_lshlrev_b16 v50, 8, v37
	v_and_b32_e32 v51, 0xff, v38
	ds_load_u8 v22, v12
	v_lshl_add_u32 v12, v5, 3, v10
	ds_load_b64 v[4:5], v4 offset:2048
	ds_load_b64 v[12:13], v12 offset:2048
	;; [unrolled: 1-line block ×4, first 2 shown]
	v_lshl_add_u32 v15, v18, 3, v10
	v_lshl_add_u32 v18, v19, 3, v10
	v_or_b32_e32 v27, v27, v50
	s_delay_alu instid0(VALU_DEP_1)
	v_and_b32_e32 v27, 0xffff, v27
	s_wait_dscnt 0x4
	v_cndmask_b32_e64 v67, v22, v54, s15
	v_cndmask_b32_e64 v68, v55, v22, s15
	ds_load_b64 v[22:23], v15 offset:2048
	ds_load_b64 v[18:19], v18 offset:2048
	;; [unrolled: 1-line block ×3, first 2 shown]
	v_lshlrev_b16 v54, 8, v35
	v_and_b32_e32 v55, 0xff, v48
	v_and_b32_e32 v69, v67, v11
	;; [unrolled: 1-line block ×3, first 2 shown]
	s_delay_alu instid0(VALU_DEP_3) | instskip(NEXT) | instid1(VALU_DEP_3)
	v_or_b32_e32 v50, v55, v54
	v_and_b32_e32 v25, 0xff, v69
	s_delay_alu instid0(VALU_DEP_3) | instskip(NEXT) | instid1(VALU_DEP_3)
	v_and_b32_e32 v26, 0xff, v70
	v_and_b32_e32 v50, 0xffff, v50
	s_delay_alu instid0(VALU_DEP_2) | instskip(SKIP_2) | instid1(VALU_DEP_1)
	v_cmp_le_u16_e64 s10, v25, v26
	v_lshlrev_b16 v26, 8, v9
	s_and_b32 s7, s7, s10
	v_or_b32_e32 v26, v53, v26
	s_wait_alu 0xfffe
	s_or_b32 s7, s11, s7
	s_wait_alu 0xfffe
	v_cndmask_b32_e64 v24, v64, v24, s7
	v_cndmask_b32_e64 v39, v67, v68, s7
	v_lshlrev_b32_e32 v26, 16, v26
	s_delay_alu instid0(VALU_DEP_3) | instskip(NEXT) | instid1(VALU_DEP_3)
	v_lshl_add_u32 v24, v24, 3, v10
	v_lshlrev_b16 v52, 8, v39
	s_delay_alu instid0(VALU_DEP_3) | instskip(SKIP_2) | instid1(VALU_DEP_1)
	v_or_b32_e32 v26, v50, v26
	ds_load_b64 v[24:25], v24 offset:2048
	v_or_b32_e32 v51, v51, v52
	v_lshlrev_b32_e32 v51, 16, v51
	s_delay_alu instid0(VALU_DEP_1)
	v_or_b32_e32 v27, v27, v51
.LBB98_60:
	s_wait_alu 0xfffe
	s_or_b32 exec_lo, exec_lo, s19
	v_and_b32_e32 v51, 0x80, v33
	; wave barrier
	ds_store_b8 v34, v48
	s_wait_dscnt 0x8
	ds_store_b64 v29, v[4:5] offset:2048
	ds_store_b8 v34, v35 offset:1
	s_wait_dscnt 0x9
	ds_store_b64 v29, v[12:13] offset:2056
	ds_store_b8 v34, v36 offset:2
	;; [unrolled: 3-line block ×3, first 2 shown]
	v_or_b32_e32 v33, 64, v51
	v_min_u32_e32 v9, v31, v30
	s_mov_b32 s10, exec_lo
	s_wait_dscnt 0xb
	ds_store_b64 v29, v[20:21] offset:2072
	ds_store_b8 v34, v49 offset:4
	s_wait_dscnt 0xc
	ds_store_b64 v29, v[22:23] offset:2080
	ds_store_b8 v34, v37 offset:5
	;; [unrolled: 3-line block ×4, first 2 shown]
	s_wait_dscnt 0xf
	ds_store_b64 v29, v[24:25] offset:2104
	v_min_u32_e32 v50, v31, v33
	; wave barrier
	s_delay_alu instid0(VALU_DEP_1) | instskip(SKIP_1) | instid1(VALU_DEP_2)
	v_add_nc_u32_e32 v33, 64, v50
	v_sub_nc_u32_e32 v36, v50, v51
	v_min_u32_e32 v33, v31, v33
	s_delay_alu instid0(VALU_DEP_1) | instskip(NEXT) | instid1(VALU_DEP_1)
	v_sub_nc_u32_e32 v31, v33, v50
	v_sub_nc_u32_e64 v35, v9, v31 clamp
	s_delay_alu instid0(VALU_DEP_4) | instskip(NEXT) | instid1(VALU_DEP_1)
	v_min_u32_e32 v31, v9, v36
	v_cmpx_lt_u32_e64 v35, v31
	s_cbranch_execz .LBB98_64
; %bb.61:
	v_add_nc_u32_e32 v29, v28, v51
	v_add3_u32 v34, v28, v50, v9
	s_mov_b32 s11, 0
.LBB98_62:                              ; =>This Inner Loop Header: Depth=1
	v_add_nc_u32_e32 v36, v31, v35
	s_delay_alu instid0(VALU_DEP_1) | instskip(NEXT) | instid1(VALU_DEP_1)
	v_lshrrev_b32_e32 v36, 1, v36
	v_xad_u32 v37, v36, -1, v34
	v_add_nc_u32_e32 v38, v29, v36
	v_add_nc_u32_e32 v39, 1, v36
	ds_load_u8 v37, v37
	ds_load_u8 v38, v38
	s_wait_dscnt 0x1
	v_and_b32_e32 v37, v37, v11
	s_wait_dscnt 0x0
	v_and_b32_e32 v38, v38, v11
	s_delay_alu instid0(VALU_DEP_2) | instskip(NEXT) | instid1(VALU_DEP_2)
	v_and_b32_e32 v37, 0xff, v37
	v_and_b32_e32 v38, 0xff, v38
	s_delay_alu instid0(VALU_DEP_1) | instskip(SKIP_1) | instid1(VALU_DEP_1)
	v_cmp_gt_u16_e64 s7, v37, v38
	s_wait_alu 0xf1ff
	v_cndmask_b32_e64 v31, v31, v36, s7
	v_cndmask_b32_e64 v35, v39, v35, s7
	s_delay_alu instid0(VALU_DEP_1)
	v_cmp_ge_u32_e64 s7, v35, v31
	s_wait_alu 0xfffe
	s_or_b32 s11, s7, s11
	s_wait_alu 0xfffe
	s_and_not1_b32 exec_lo, exec_lo, s11
	s_cbranch_execnz .LBB98_62
; %bb.63:
	s_or_b32 exec_lo, exec_lo, s11
.LBB98_64:
	s_wait_alu 0xfffe
	s_or_b32 exec_lo, exec_lo, s10
	v_add_nc_u32_e32 v9, v50, v9
	v_add_nc_u32_e32 v31, v35, v51
	s_delay_alu instid0(VALU_DEP_2) | instskip(NEXT) | instid1(VALU_DEP_2)
	v_sub_nc_u32_e32 v29, v9, v35
	v_cmp_le_u32_e64 s7, v31, v50
	s_delay_alu instid0(VALU_DEP_2)
	v_cmp_le_u32_e64 s10, v29, v33
	s_or_b32 s7, s7, s10
	s_wait_alu 0xfffe
	s_and_saveexec_b32 s19, s7
	s_cbranch_execz .LBB98_70
; %bb.65:
	v_cmp_lt_u32_e64 s7, v31, v50
                                        ; implicit-def: $vgpr9
	s_and_saveexec_b32 s10, s7
; %bb.66:
	v_add_nc_u32_e32 v4, v28, v31
	ds_load_u8 v9, v4
; %bb.67:
	s_wait_alu 0xfffe
	s_or_b32 exec_lo, exec_lo, s10
	v_cmp_ge_u32_e64 s10, v29, v33
	s_mov_b32 s12, exec_lo
                                        ; implicit-def: $vgpr24
	v_cmpx_lt_u32_e64 v29, v33
; %bb.68:
	v_add_nc_u32_e32 v4, v28, v29
	ds_load_u8 v24, v4
; %bb.69:
	s_wait_alu 0xfffe
	s_or_b32 exec_lo, exec_lo, s12
	s_wait_dscnt 0x0
	v_and_b32_e32 v4, v24, v11
	v_and_b32_e32 v5, v9, v11
	s_delay_alu instid0(VALU_DEP_2) | instskip(NEXT) | instid1(VALU_DEP_2)
	v_and_b32_e32 v4, 0xff, v4
	v_and_b32_e32 v5, 0xff, v5
	s_delay_alu instid0(VALU_DEP_1)
	v_cmp_le_u16_e64 s11, v4, v5
	s_and_b32 s7, s7, s11
	s_wait_alu 0xfffe
	s_or_b32 s7, s10, s7
	s_wait_alu 0xfffe
	v_cndmask_b32_e64 v4, v29, v31, s7
	v_cndmask_b32_e64 v5, v33, v50, s7
	s_delay_alu instid0(VALU_DEP_2) | instskip(NEXT) | instid1(VALU_DEP_2)
	v_add_nc_u32_e32 v12, 1, v4
	v_add_nc_u32_e32 v5, -1, v5
	v_lshl_add_u32 v4, v4, 3, v10
	s_delay_alu instid0(VALU_DEP_3) | instskip(NEXT) | instid1(VALU_DEP_3)
	v_cndmask_b32_e64 v14, v31, v12, s7
	v_min_u32_e32 v5, v12, v5
	v_cndmask_b32_e64 v12, v12, v29, s7
	s_delay_alu instid0(VALU_DEP_3) | instskip(NEXT) | instid1(VALU_DEP_3)
	v_cmp_lt_u32_e64 s10, v14, v50
	v_add_nc_u32_e32 v5, v28, v5
	s_delay_alu instid0(VALU_DEP_3)
	v_cmp_ge_u32_e64 s12, v12, v33
	ds_load_u8 v5, v5
	s_wait_dscnt 0x0
	v_cndmask_b32_e64 v25, v5, v24, s7
	v_cndmask_b32_e64 v26, v9, v5, s7
	;; [unrolled: 1-line block ×3, first 2 shown]
	s_delay_alu instid0(VALU_DEP_3) | instskip(NEXT) | instid1(VALU_DEP_3)
	v_and_b32_e32 v5, v25, v11
	v_and_b32_e32 v13, v26, v11
	s_delay_alu instid0(VALU_DEP_3) | instskip(NEXT) | instid1(VALU_DEP_3)
	v_and_b32_e32 v9, 0xff, v9
	v_and_b32_e32 v5, 0xff, v5
	s_delay_alu instid0(VALU_DEP_3) | instskip(NEXT) | instid1(VALU_DEP_1)
	v_and_b32_e32 v13, 0xff, v13
	v_cmp_le_u16_e64 s11, v5, v13
	s_and_b32 s10, s10, s11
	s_wait_alu 0xfffe
	s_or_b32 s10, s12, s10
	s_wait_alu 0xfffe
	v_cndmask_b32_e64 v5, v12, v14, s10
	v_cndmask_b32_e64 v13, v33, v50, s10
	;; [unrolled: 1-line block ×3, first 2 shown]
	s_delay_alu instid0(VALU_DEP_3) | instskip(NEXT) | instid1(VALU_DEP_3)
	v_add_nc_u32_e32 v15, 1, v5
	v_add_nc_u32_e32 v13, -1, v13
	s_delay_alu instid0(VALU_DEP_2) | instskip(NEXT) | instid1(VALU_DEP_2)
	v_cndmask_b32_e64 v14, v14, v15, s10
	v_min_u32_e32 v13, v15, v13
	v_cndmask_b32_e64 v12, v15, v12, s10
	s_delay_alu instid0(VALU_DEP_3) | instskip(NEXT) | instid1(VALU_DEP_3)
	v_cmp_lt_u32_e64 s11, v14, v50
	v_add_nc_u32_e32 v13, v28, v13
	s_delay_alu instid0(VALU_DEP_3) | instskip(SKIP_4) | instid1(VALU_DEP_2)
	v_cmp_ge_u32_e64 s13, v12, v33
	ds_load_u8 v13, v13
	s_wait_dscnt 0x0
	v_cndmask_b32_e64 v27, v13, v25, s10
	v_cndmask_b32_e64 v29, v26, v13, s10
	v_and_b32_e32 v13, v27, v11
	s_delay_alu instid0(VALU_DEP_2) | instskip(NEXT) | instid1(VALU_DEP_2)
	v_and_b32_e32 v16, v29, v11
	v_and_b32_e32 v13, 0xff, v13
	s_delay_alu instid0(VALU_DEP_2) | instskip(NEXT) | instid1(VALU_DEP_1)
	v_and_b32_e32 v16, 0xff, v16
	v_cmp_le_u16_e64 s12, v13, v16
	s_and_b32 s11, s11, s12
	s_wait_alu 0xfffe
	s_or_b32 s11, s13, s11
	s_wait_alu 0xfffe
	v_cndmask_b32_e64 v13, v12, v14, s11
	v_cndmask_b32_e64 v15, v33, v50, s11
	s_delay_alu instid0(VALU_DEP_2) | instskip(NEXT) | instid1(VALU_DEP_2)
	v_add_nc_u32_e32 v16, 1, v13
	v_add_nc_u32_e32 v15, -1, v15
	s_delay_alu instid0(VALU_DEP_2) | instskip(NEXT) | instid1(VALU_DEP_2)
	v_cndmask_b32_e64 v14, v14, v16, s11
	v_min_u32_e32 v15, v16, v15
	v_cndmask_b32_e64 v12, v16, v12, s11
	s_delay_alu instid0(VALU_DEP_3) | instskip(NEXT) | instid1(VALU_DEP_3)
	v_cmp_lt_u32_e64 s12, v14, v50
	v_add_nc_u32_e32 v15, v28, v15
	s_delay_alu instid0(VALU_DEP_3)
	v_cmp_ge_u32_e64 s14, v12, v33
	ds_load_u8 v15, v15
	s_wait_dscnt 0x0
	v_cndmask_b32_e64 v31, v15, v27, s11
	v_cndmask_b32_e64 v34, v29, v15, s11
	;; [unrolled: 1-line block ×3, first 2 shown]
	s_delay_alu instid0(VALU_DEP_3) | instskip(NEXT) | instid1(VALU_DEP_3)
	v_and_b32_e32 v15, v31, v11
	v_and_b32_e32 v17, v34, v11
	s_delay_alu instid0(VALU_DEP_3) | instskip(NEXT) | instid1(VALU_DEP_3)
	v_and_b32_e32 v27, 0xff, v27
	v_and_b32_e32 v15, 0xff, v15
	s_delay_alu instid0(VALU_DEP_3) | instskip(NEXT) | instid1(VALU_DEP_1)
	v_and_b32_e32 v17, 0xff, v17
	v_cmp_le_u16_e64 s13, v15, v17
	s_and_b32 s12, s12, s13
	s_wait_alu 0xfffe
	s_or_b32 s12, s14, s12
	s_wait_alu 0xfffe
	v_cndmask_b32_e64 v15, v12, v14, s12
	v_cndmask_b32_e64 v16, v33, v50, s12
	s_delay_alu instid0(VALU_DEP_2) | instskip(NEXT) | instid1(VALU_DEP_2)
	v_add_nc_u32_e32 v17, 1, v15
	v_add_nc_u32_e32 v16, -1, v16
	v_lshl_add_u32 v15, v15, 3, v10
	s_delay_alu instid0(VALU_DEP_3) | instskip(NEXT) | instid1(VALU_DEP_3)
	v_cndmask_b32_e64 v14, v14, v17, s12
	v_min_u32_e32 v16, v17, v16
	v_cndmask_b32_e64 v12, v17, v12, s12
	s_delay_alu instid0(VALU_DEP_3) | instskip(NEXT) | instid1(VALU_DEP_3)
	v_cmp_lt_u32_e64 s13, v14, v50
	v_add_nc_u32_e32 v16, v28, v16
	s_delay_alu instid0(VALU_DEP_3)
	v_cmp_ge_u32_e64 s15, v12, v33
	ds_load_u8 v16, v16
	s_wait_dscnt 0x0
	v_cndmask_b32_e64 v35, v16, v31, s12
	v_cndmask_b32_e64 v36, v34, v16, s12
	;; [unrolled: 1-line block ×3, first 2 shown]
	s_delay_alu instid0(VALU_DEP_3) | instskip(NEXT) | instid1(VALU_DEP_3)
	v_and_b32_e32 v16, v35, v11
	v_and_b32_e32 v18, v36, v11
	s_delay_alu instid0(VALU_DEP_2) | instskip(NEXT) | instid1(VALU_DEP_2)
	v_and_b32_e32 v16, 0xff, v16
	v_and_b32_e32 v18, 0xff, v18
	s_delay_alu instid0(VALU_DEP_1)
	v_cmp_le_u16_e64 s14, v16, v18
	s_and_b32 s13, s13, s14
	s_wait_alu 0xfffe
	s_or_b32 s13, s15, s13
	s_wait_alu 0xfffe
	v_cndmask_b32_e64 v18, v12, v14, s13
	v_cndmask_b32_e64 v16, v33, v50, s13
	s_delay_alu instid0(VALU_DEP_2) | instskip(NEXT) | instid1(VALU_DEP_2)
	v_add_nc_u32_e32 v17, 1, v18
	v_add_nc_u32_e32 v16, -1, v16
	s_delay_alu instid0(VALU_DEP_2) | instskip(NEXT) | instid1(VALU_DEP_2)
	v_cndmask_b32_e64 v14, v14, v17, s13
	v_min_u32_e32 v16, v17, v16
	v_cndmask_b32_e64 v12, v17, v12, s13
	s_delay_alu instid0(VALU_DEP_3) | instskip(NEXT) | instid1(VALU_DEP_3)
	v_cmp_lt_u32_e64 s14, v14, v50
	v_add_nc_u32_e32 v16, v28, v16
	s_delay_alu instid0(VALU_DEP_3) | instskip(SKIP_4) | instid1(VALU_DEP_2)
	v_cmp_ge_u32_e64 s16, v12, v33
	ds_load_u8 v16, v16
	s_wait_dscnt 0x0
	v_cndmask_b32_e64 v37, v16, v35, s13
	v_cndmask_b32_e64 v38, v36, v16, s13
	v_and_b32_e32 v16, v37, v11
	s_delay_alu instid0(VALU_DEP_2) | instskip(NEXT) | instid1(VALU_DEP_2)
	v_and_b32_e32 v19, v38, v11
	v_and_b32_e32 v16, 0xff, v16
	s_delay_alu instid0(VALU_DEP_2) | instskip(NEXT) | instid1(VALU_DEP_1)
	v_and_b32_e32 v19, 0xff, v19
	v_cmp_le_u16_e64 s15, v16, v19
	s_and_b32 s14, s14, s15
	s_wait_alu 0xfffe
	s_or_b32 s14, s16, s14
	s_wait_alu 0xfffe
	v_cndmask_b32_e64 v19, v12, v14, s14
	v_cndmask_b32_e64 v16, v33, v50, s14
	;; [unrolled: 1-line block ×3, first 2 shown]
	s_delay_alu instid0(VALU_DEP_3) | instskip(NEXT) | instid1(VALU_DEP_3)
	v_add_nc_u32_e32 v17, 1, v19
	v_add_nc_u32_e32 v16, -1, v16
	s_delay_alu instid0(VALU_DEP_3) | instskip(NEXT) | instid1(VALU_DEP_3)
	v_lshlrev_b16 v29, 8, v29
	v_cndmask_b32_e64 v49, v14, v17, s14
	s_delay_alu instid0(VALU_DEP_3) | instskip(SKIP_1) | instid1(VALU_DEP_3)
	v_min_u32_e32 v16, v17, v16
	v_cndmask_b32_e64 v51, v17, v12, s14
	v_cmp_lt_u32_e64 s15, v49, v50
	s_delay_alu instid0(VALU_DEP_3) | instskip(NEXT) | instid1(VALU_DEP_3)
	v_add_nc_u32_e32 v16, v28, v16
	v_cmp_ge_u32_e64 s17, v51, v33
	ds_load_u8 v16, v16
	s_wait_dscnt 0x0
	v_cndmask_b32_e64 v39, v16, v37, s14
	v_cndmask_b32_e64 v48, v38, v16, s14
	s_delay_alu instid0(VALU_DEP_2) | instskip(NEXT) | instid1(VALU_DEP_2)
	v_and_b32_e32 v16, v39, v11
	v_and_b32_e32 v20, v48, v11
	s_delay_alu instid0(VALU_DEP_2) | instskip(NEXT) | instid1(VALU_DEP_2)
	v_and_b32_e32 v14, 0xff, v16
	v_and_b32_e32 v16, 0xff, v20
	s_delay_alu instid0(VALU_DEP_1)
	v_cmp_le_u16_e64 s16, v14, v16
	v_lshl_add_u32 v16, v13, 3, v10
	s_and_b32 s15, s15, s16
	s_wait_alu 0xfffe
	s_or_b32 s15, s17, s15
	s_wait_alu 0xfffe
	v_cndmask_b32_e64 v14, v51, v49, s15
	v_cndmask_b32_e64 v12, v33, v50, s15
	s_delay_alu instid0(VALU_DEP_2) | instskip(NEXT) | instid1(VALU_DEP_2)
	v_add_nc_u32_e32 v52, 1, v14
	v_add_nc_u32_e32 v12, -1, v12
	v_lshl_add_u32 v14, v14, 3, v10
	s_delay_alu instid0(VALU_DEP_3) | instskip(NEXT) | instid1(VALU_DEP_3)
	v_cndmask_b32_e64 v25, v49, v52, s15
	v_min_u32_e32 v12, v52, v12
	v_cndmask_b32_e64 v34, v52, v51, s15
	s_delay_alu instid0(VALU_DEP_3) | instskip(NEXT) | instid1(VALU_DEP_3)
	v_cmp_lt_u32_e64 s7, v25, v50
	v_add_nc_u32_e32 v12, v28, v12
	s_delay_alu instid0(VALU_DEP_3)
	v_cmp_ge_u32_e64 s11, v34, v33
	v_lshlrev_b16 v33, 8, v24
	ds_load_u8 v22, v12
	v_lshl_add_u32 v12, v5, 3, v10
	ds_load_b64 v[4:5], v4 offset:2048
	ds_load_b64 v[12:13], v12 offset:2048
	;; [unrolled: 1-line block ×4, first 2 shown]
	v_lshl_add_u32 v15, v18, 3, v10
	v_lshl_add_u32 v18, v19, 3, v10
	v_or_b32_e32 v9, v9, v33
	s_delay_alu instid0(VALU_DEP_1)
	v_and_b32_e32 v9, 0xffff, v9
	s_wait_dscnt 0x4
	v_cndmask_b32_e64 v28, v22, v39, s15
	v_cndmask_b32_e64 v53, v48, v22, s15
	ds_load_b64 v[22:23], v15 offset:2048
	ds_load_b64 v[18:19], v18 offset:2048
	;; [unrolled: 1-line block ×3, first 2 shown]
	v_and_b32_e32 v54, v28, v11
	v_and_b32_e32 v11, v53, v11
	s_delay_alu instid0(VALU_DEP_2) | instskip(NEXT) | instid1(VALU_DEP_2)
	v_and_b32_e32 v26, 0xff, v54
	v_and_b32_e32 v11, 0xff, v11
	s_delay_alu instid0(VALU_DEP_1) | instskip(SKIP_4) | instid1(VALU_DEP_3)
	v_cmp_le_u16_e64 s10, v26, v11
	v_lshlrev_b16 v11, 8, v31
	v_cndmask_b32_e64 v26, v35, v36, s13
	v_cndmask_b32_e64 v31, v39, v48, s15
	s_and_b32 s7, s7, s10
	v_or_b32_e32 v11, v27, v11
	s_wait_alu 0xfffe
	s_or_b32 s7, s11, s7
	v_and_b32_e32 v26, 0xff, v26
	s_wait_alu 0xfffe
	v_cndmask_b32_e64 v25, v34, v25, s7
	v_cndmask_b32_e64 v28, v28, v53, s7
	v_and_b32_e32 v31, 0xff, v31
	v_lshlrev_b32_e32 v11, 16, v11
	v_or_b32_e32 v26, v26, v29
	v_lshl_add_u32 v10, v25, 3, v10
	v_lshlrev_b16 v28, 8, v28
	s_delay_alu instid0(VALU_DEP_3) | instskip(SKIP_2) | instid1(VALU_DEP_1)
	v_and_b32_e32 v26, 0xffff, v26
	ds_load_b64 v[24:25], v10 offset:2048
	v_or_b32_e32 v10, v31, v28
	v_lshlrev_b32_e32 v10, 16, v10
	s_delay_alu instid0(VALU_DEP_1)
	v_or_b32_e32 v27, v26, v10
	v_or_b32_e32 v26, v9, v11
.LBB98_70:
	s_wait_alu 0xfffe
	s_or_b32 exec_lo, exec_lo, s19
	; wave barrier
	s_wait_storecnt_dscnt 0x0
	s_barrier_signal -1
	s_barrier_wait -1
                                        ; implicit-def: $vgpr33
                                        ; implicit-def: $vgpr28
                                        ; implicit-def: $vgpr29
                                        ; implicit-def: $vgpr9
.LBB98_71:
	s_wait_alu 0xfffe
	s_and_not1_saveexec_b32 s16, s18
	s_cbranch_execz .LBB98_117
; %bb.72:
	s_load_b64 s[10:11], s[8:9], 0x0
	s_and_b32 s7, ttmp7, 0xffff
	s_mov_b32 s13, 0
	s_wait_kmcnt 0x0
	s_wait_alu 0xfffe
	s_cmp_lt_u32 s7, s11
	s_cselect_b32 s12, 14, 20
	s_cmp_lt_u32 ttmp9, s10
	s_wait_alu 0xfffe
	s_add_nc_u64 s[14:15], s[8:9], s[12:13]
	s_cselect_b32 s12, 12, 18
	s_load_u16 s7, s[14:15], 0x0
	s_add_nc_u64 s[8:9], s[8:9], s[12:13]
	s_load_u16 s8, s[8:9], 0x0
	s_mov_b32 s15, exec_lo
	s_wait_kmcnt 0x0
	v_mad_u32_u24 v10, v29, s7, v28
	s_delay_alu instid0(VALU_DEP_1) | instskip(NEXT) | instid1(VALU_DEP_1)
	v_mul_lo_u32 v10, v10, s8
	v_add_lshl_u32 v11, v10, v9, 3
	s_delay_alu instid0(VALU_DEP_1)
	v_cmpx_gt_u32_e32 0x800, v11
	s_cbranch_execz .LBB98_76
; %bb.73:
	v_lshrrev_b32_e32 v9, 8, v26
	v_perm_b32 v10, 0, v26, 0xc0c0001
	v_and_b32_e32 v28, 0xff, v26
	v_lshrrev_b32_e32 v29, 8, v27
	v_and_b32_e32 v34, 0xff, v27
	v_and_b32_e32 v9, 0xff, v9
	v_and_or_b32 v10, 0xffff0000, v26, v10
	s_delay_alu instid0(VALU_DEP_4) | instskip(NEXT) | instid1(VALU_DEP_3)
	v_and_b32_e32 v29, 0xff, v29
	v_cmp_gt_u16_e64 s7, v9, v28
	s_delay_alu instid0(VALU_DEP_2) | instskip(SKIP_1) | instid1(VALU_DEP_2)
	v_cmp_gt_u16_e64 s9, v29, v34
	s_wait_alu 0xf1ff
	v_cndmask_b32_e64 v10, v26, v10, s7
	s_wait_loadcnt_dscnt 0x0
	v_cndmask_b32_e64 v9, v12, v4, s7
	v_cndmask_b32_e64 v4, v4, v12, s7
	;; [unrolled: 1-line block ×4, first 2 shown]
	v_lshrrev_b32_e32 v26, 16, v10
	v_lshrrev_b32_e32 v31, 24, v10
	v_cndmask_b32_e64 v35, v13, v5, s7
	v_cndmask_b32_e64 v5, v5, v13, s7
	s_delay_alu instid0(VALU_DEP_4) | instskip(SKIP_1) | instid1(VALU_DEP_2)
	v_perm_b32 v28, 0, v26, 0xc0c0001
	v_and_b32_e32 v26, 0xff, v26
	v_lshlrev_b32_e32 v28, 16, v28
	s_delay_alu instid0(VALU_DEP_2) | instskip(NEXT) | instid1(VALU_DEP_2)
	v_cmp_gt_u16_e64 s8, v31, v26
	v_and_or_b32 v26, 0xffff, v10, v28
	v_perm_b32 v28, v27, v27, 0x7060405
	s_wait_alu 0xf1ff
	s_delay_alu instid0(VALU_DEP_3)
	v_cndmask_b32_e64 v37, v17, v21, s8
	v_cndmask_b32_e64 v17, v21, v17, s8
	;; [unrolled: 1-line block ×8, first 2 shown]
	v_lshrrev_b32_e32 v28, 16, v10
	v_lshrrev_b32_e32 v31, 8, v10
	;; [unrolled: 1-line block ×4, first 2 shown]
	v_perm_b32 v38, v10, v10, 0x7050604
	v_and_b32_e32 v28, 0xff, v28
	v_and_b32_e32 v31, 0xff, v31
	;; [unrolled: 1-line block ×3, first 2 shown]
	s_delay_alu instid0(VALU_DEP_2) | instskip(SKIP_1) | instid1(VALU_DEP_3)
	v_cmp_gt_u16_e64 s10, v28, v31
	v_perm_b32 v28, v27, v27, 0x6070504
	v_cmp_gt_u16_e64 s11, v36, v34
	s_wait_alu 0xf1ff
	s_delay_alu instid0(VALU_DEP_3) | instskip(SKIP_1) | instid1(VALU_DEP_3)
	v_cndmask_b32_e64 v10, v10, v38, s10
	v_cndmask_b32_e64 v31, v37, v35, s10
	;; [unrolled: 1-line block ×5, first 2 shown]
	v_lshrrev_b32_e32 v28, 16, v10
	v_lshrrev_b32_e32 v38, 24, v10
	v_lshlrev_b16 v36, 8, v27
	s_delay_alu instid0(VALU_DEP_3) | instskip(NEXT) | instid1(VALU_DEP_1)
	v_and_b32_e32 v28, 0xff, v28
	v_or_b32_e32 v28, v28, v36
	v_and_b32_e32 v36, 0xff, v27
	s_delay_alu instid0(VALU_DEP_2) | instskip(NEXT) | instid1(VALU_DEP_2)
	v_lshlrev_b32_e32 v28, 16, v28
	v_cmp_gt_u16_e64 s12, v36, v38
	v_cndmask_b32_e64 v38, v9, v16, s10
	v_cndmask_b32_e64 v9, v16, v9, s10
	s_delay_alu instid0(VALU_DEP_4) | instskip(SKIP_3) | instid1(VALU_DEP_3)
	v_and_or_b32 v21, 0xffff, v10, v28
	s_wait_alu 0xf1ff
	v_cndmask_b32_e64 v28, v17, v39, s12
	v_cndmask_b32_e64 v17, v39, v17, s12
	;; [unrolled: 1-line block ×3, first 2 shown]
	v_perm_b32 v10, v10, v27, 0x3020107
	s_delay_alu instid0(VALU_DEP_2) | instskip(NEXT) | instid1(VALU_DEP_2)
	v_lshrrev_b32_e32 v19, 8, v21
	v_cndmask_b32_e64 v10, v27, v10, s12
	v_perm_b32 v20, 0, v21, 0xc0c0001
	v_and_b32_e32 v23, 0xff, v21
	s_delay_alu instid0(VALU_DEP_4) | instskip(NEXT) | instid1(VALU_DEP_4)
	v_and_b32_e32 v19, 0xff, v19
	v_lshrrev_b32_e32 v27, 16, v10
	v_lshrrev_b32_e32 v36, 8, v10
	v_and_or_b32 v20, 0xffff0000, v21, v20
	s_delay_alu instid0(VALU_DEP_4) | instskip(NEXT) | instid1(VALU_DEP_4)
	v_cmp_gt_u16_e64 s8, v19, v23
	v_and_b32_e32 v19, 0xff, v27
	s_delay_alu instid0(VALU_DEP_4)
	v_and_b32_e32 v23, 0xff, v36
	v_cndmask_b32_e64 v27, v15, v25, s11
	v_cndmask_b32_e64 v15, v25, v15, s11
	s_wait_alu 0xf1ff
	v_cndmask_b32_e64 v20, v21, v20, s8
	v_perm_b32 v21, v10, v10, 0x7050604
	v_cmp_gt_u16_e64 s13, v19, v23
	v_cndmask_b32_e64 v36, v38, v4, s8
	v_cndmask_b32_e64 v4, v4, v38, s8
	v_lshrrev_b32_e32 v19, 16, v20
	v_lshrrev_b32_e32 v48, 24, v20
	s_wait_alu 0xf1ff
	v_cndmask_b32_e64 v10, v10, v21, s13
	v_cndmask_b32_e64 v21, v29, v26, s12
	v_cndmask_b32_e64 v26, v26, v29, s12
	v_perm_b32 v16, 0, v19, 0xc0c0001
	v_and_b32_e32 v19, 0xff, v19
	v_lshrrev_b32_e32 v22, 8, v10
	v_and_b32_e32 v29, 0xff, v10
	v_cndmask_b32_e64 v23, v12, v27, s13
	v_lshlrev_b32_e32 v16, 16, v16
	v_cmp_gt_u16_e64 s9, v48, v19
	v_and_b32_e32 v22, 0xff, v22
	v_perm_b32 v48, v10, v10, 0x7060405
	v_cndmask_b32_e64 v12, v27, v12, s13
	v_and_or_b32 v16, 0xffff, v20, v16
	s_wait_alu 0xf1ff
	v_cndmask_b32_e64 v49, v31, v28, s9
	v_cmp_gt_u16_e64 s14, v22, v29
	v_cndmask_b32_e64 v22, v21, v9, s9
	v_cndmask_b32_e64 v9, v9, v21, s9
	;; [unrolled: 1-line block ×4, first 2 shown]
	s_wait_alu 0xf1ff
	v_cndmask_b32_e64 v10, v10, v48, s14
	v_cndmask_b32_e64 v28, v28, v31, s9
	;; [unrolled: 1-line block ×3, first 2 shown]
	v_lshrrev_b32_e32 v29, 16, v16
	v_lshrrev_b32_e32 v35, 8, v16
	v_lshrrev_b32_e32 v24, 16, v10
	v_lshrrev_b32_e32 v48, 24, v10
	v_perm_b32 v50, v16, v16, 0x7050604
	v_and_b32_e32 v29, 0xff, v29
	v_and_b32_e32 v35, 0xff, v35
	;; [unrolled: 1-line block ×3, first 2 shown]
	v_cndmask_b32_e64 v13, v26, v19, s14
	v_cndmask_b32_e64 v19, v19, v26, s14
	;; [unrolled: 1-line block ×3, first 2 shown]
	v_cmp_gt_u16_e64 s7, v29, v35
	v_perm_b32 v29, v10, v10, 0x6070504
	v_cmp_gt_u16_e64 s10, v48, v24
	v_cndmask_b32_e64 v48, v17, v23, s14
	v_cndmask_b32_e64 v17, v23, v17, s14
	s_wait_alu 0xf1ff
	v_cndmask_b32_e64 v16, v16, v50, s7
	v_cndmask_b32_e64 v37, v20, v5, s8
	;; [unrolled: 1-line block ×5, first 2 shown]
	v_lshrrev_b32_e32 v29, 16, v16
	v_lshrrev_b32_e32 v39, 24, v16
	v_lshlrev_b16 v35, 8, v10
	v_cndmask_b32_e64 v24, v49, v37, s7
	v_cndmask_b32_e64 v5, v5, v20, s8
	v_and_b32_e32 v29, 0xff, v29
	s_delay_alu instid0(VALU_DEP_1) | instskip(SKIP_1) | instid1(VALU_DEP_2)
	v_or_b32_e32 v29, v29, v35
	v_and_b32_e32 v35, 0xff, v10
	v_lshlrev_b32_e32 v29, 16, v29
	s_delay_alu instid0(VALU_DEP_2) | instskip(SKIP_2) | instid1(VALU_DEP_4)
	v_cmp_gt_u16_e64 s12, v35, v39
	v_cndmask_b32_e64 v35, v36, v9, s7
	v_cndmask_b32_e64 v9, v9, v36, s7
	v_and_or_b32 v29, 0xffff, v16, v29
	s_wait_alu 0xf1ff
	v_cndmask_b32_e64 v25, v28, v48, s12
	v_cndmask_b32_e64 v28, v48, v28, s12
	s_delay_alu instid0(VALU_DEP_3) | instskip(SKIP_1) | instid1(VALU_DEP_2)
	v_cndmask_b32_e64 v29, v16, v29, s12
	v_perm_b32 v16, v16, v10, 0x3020107
	v_lshrrev_b32_e32 v23, 8, v29
	s_delay_alu instid0(VALU_DEP_2) | instskip(SKIP_2) | instid1(VALU_DEP_4)
	v_cndmask_b32_e64 v10, v10, v16, s12
	v_perm_b32 v16, 0, v29, 0xc0c0001
	v_and_b32_e32 v21, 0xff, v29
	v_and_b32_e32 v23, 0xff, v23
	s_delay_alu instid0(VALU_DEP_4) | instskip(SKIP_2) | instid1(VALU_DEP_4)
	v_lshrrev_b32_e32 v27, 16, v10
	v_lshrrev_b32_e32 v31, 8, v10
	v_and_or_b32 v16, 0xffff0000, v29, v16
	v_cmp_gt_u16_e64 s9, v23, v21
	s_delay_alu instid0(VALU_DEP_4) | instskip(NEXT) | instid1(VALU_DEP_4)
	v_and_b32_e32 v21, 0xff, v27
	v_and_b32_e32 v23, 0xff, v31
	v_cndmask_b32_e64 v27, v12, v15, s10
	v_cndmask_b32_e64 v12, v15, v12, s10
	s_wait_alu 0xf1ff
	v_cndmask_b32_e64 v16, v29, v16, s9
	v_perm_b32 v29, v10, v10, 0x7050604
	v_cmp_gt_u16_e64 s11, v21, v23
	v_cndmask_b32_e64 v31, v35, v4, s9
	v_cndmask_b32_e64 v4, v4, v35, s9
	v_lshrrev_b32_e32 v21, 16, v16
	v_lshrrev_b32_e32 v38, 24, v16
	s_wait_alu 0xf1ff
	v_cndmask_b32_e64 v10, v10, v29, s11
	v_cndmask_b32_e64 v29, v22, v13, s12
	;; [unrolled: 1-line block ×3, first 2 shown]
	v_perm_b32 v26, 0, v21, 0xc0c0001
	v_and_b32_e32 v21, 0xff, v21
	v_lshrrev_b32_e32 v36, 8, v10
	v_and_b32_e32 v22, 0xff, v10
	v_cndmask_b32_e64 v23, v17, v27, s11
	v_lshlrev_b32_e32 v26, 16, v26
	v_cmp_gt_u16_e64 s13, v38, v21
	v_and_b32_e32 v36, 0xff, v36
	v_perm_b32 v38, v10, v10, 0x7060405
	v_cndmask_b32_e64 v17, v27, v17, s11
	v_and_or_b32 v21, 0xffff, v16, v26
	v_cndmask_b32_e64 v26, v19, v34, s11
	v_cmp_gt_u16_e64 s14, v36, v22
	v_cndmask_b32_e64 v19, v34, v19, s11
	s_wait_alu 0xf1ff
	v_cndmask_b32_e64 v22, v29, v9, s13
	v_cndmask_b32_e64 v16, v16, v21, s13
	;; [unrolled: 1-line block ×6, first 2 shown]
	v_lshrrev_b32_e32 v36, 16, v16
	v_lshrrev_b32_e32 v37, 8, v16
	;; [unrolled: 1-line block ×4, first 2 shown]
	v_perm_b32 v50, v16, v16, 0x7050604
	v_and_b32_e32 v36, 0xff, v36
	v_and_b32_e32 v37, 0xff, v37
	;; [unrolled: 1-line block ×3, first 2 shown]
	v_perm_b32 v34, v10, v10, 0x6070504
	v_cndmask_b32_e64 v38, v21, v5, s9
	v_cndmask_b32_e64 v5, v5, v21, s9
	v_cmp_gt_u16_e64 s7, v36, v37
	v_cmp_gt_u16_e64 s8, v39, v18
	v_cndmask_b32_e64 v21, v28, v23, s14
	v_cndmask_b32_e64 v9, v9, v29, s13
	v_cndmask_b32_e64 v20, v13, v26, s14
	s_wait_alu 0xf1ff
	v_cndmask_b32_e64 v16, v16, v50, s7
	v_cndmask_b32_e64 v10, v10, v34, s8
	;; [unrolled: 1-line block ×5, first 2 shown]
	v_lshrrev_b32_e32 v34, 16, v16
	v_lshlrev_b16 v37, 8, v10
	v_and_b32_e32 v27, 0xff, v10
	v_perm_b32 v25, v16, v10, 0x3020107
	v_cndmask_b32_e64 v18, v19, v14, s8
	v_and_b32_e32 v34, 0xff, v34
	v_cndmask_b32_e64 v14, v14, v19, s8
	v_cndmask_b32_e64 v13, v26, v13, s14
	s_delay_alu instid0(VALU_DEP_3) | instskip(SKIP_1) | instid1(VALU_DEP_2)
	v_or_b32_e32 v15, v34, v37
	v_lshrrev_b32_e32 v34, 24, v16
	v_lshlrev_b32_e32 v15, 16, v15
	s_delay_alu instid0(VALU_DEP_2) | instskip(NEXT) | instid1(VALU_DEP_2)
	v_cmp_gt_u16_e64 s10, v27, v34
	v_and_or_b32 v15, 0xffff, v16, v15
	s_wait_alu 0xf1ff
	s_delay_alu instid0(VALU_DEP_2)
	v_cndmask_b32_e64 v10, v10, v25, s10
	v_cndmask_b32_e64 v26, v24, v21, s10
	;; [unrolled: 1-line block ×5, first 2 shown]
	v_lshrrev_b32_e32 v27, 16, v10
	v_lshrrev_b32_e32 v28, 8, v10
	v_cndmask_b32_e64 v23, v17, v12, s8
	v_lshrrev_b32_e32 v25, 8, v15
	v_perm_b32 v29, 0, v15, 0xc0c0001
	v_and_b32_e32 v34, 0xff, v15
	v_and_b32_e32 v27, 0xff, v27
	;; [unrolled: 1-line block ×4, first 2 shown]
	v_and_or_b32 v29, 0xffff0000, v15, v29
	v_cndmask_b32_e64 v12, v12, v17, s8
	s_delay_alu instid0(VALU_DEP_4) | instskip(NEXT) | instid1(VALU_DEP_4)
	v_cmp_gt_u16_e64 s11, v27, v28
	v_cmp_gt_u16_e64 s9, v25, v34
	v_perm_b32 v25, v10, v10, 0x7050604
	s_wait_alu 0xf1ff
	s_delay_alu instid0(VALU_DEP_3) | instskip(NEXT) | instid1(VALU_DEP_3)
	v_cndmask_b32_e64 v37, v13, v18, s11
	v_cndmask_b32_e64 v15, v15, v29, s9
	s_delay_alu instid0(VALU_DEP_3)
	v_cndmask_b32_e64 v10, v10, v25, s11
	v_cndmask_b32_e64 v29, v22, v20, s10
	;; [unrolled: 1-line block ×4, first 2 shown]
	v_lshrrev_b32_e32 v17, 16, v15
	v_lshrrev_b32_e32 v27, 8, v10
	v_and_b32_e32 v31, 0xff, v10
	v_lshrrev_b32_e32 v34, 24, v15
	v_perm_b32 v38, v10, v10, 0x7060405
	v_perm_b32 v22, 0, v17, 0xc0c0001
	v_and_b32_e32 v27, 0xff, v27
	v_and_b32_e32 v17, 0xff, v17
	v_cndmask_b32_e64 v13, v18, v13, s11
	v_cndmask_b32_e64 v19, v16, v23, s11
	v_lshlrev_b32_e32 v22, 16, v22
	v_cmp_gt_u16_e64 s7, v27, v31
	v_cmp_gt_u16_e64 s8, v34, v17
	v_cndmask_b32_e64 v16, v23, v16, s11
	v_cndmask_b32_e64 v23, v25, v5, s9
	v_and_or_b32 v17, 0xffff, v15, v22
	s_wait_alu 0xf1ff
	v_cndmask_b32_e64 v24, v10, v38, s7
	v_cndmask_b32_e64 v5, v5, v25, s9
	;; [unrolled: 1-line block ×5, first 2 shown]
	v_lshrrev_b32_e32 v10, 16, v24
	v_lshrrev_b32_e32 v25, 24, v24
	v_perm_b32 v27, v24, v24, 0x6070504
	v_cndmask_b32_e64 v35, v21, v19, s7
	v_lshrrev_b32_e32 v17, 16, v15
	v_lshrrev_b32_e32 v18, 8, v15
	v_and_b32_e32 v10, 0xff, v10
	v_cndmask_b32_e64 v19, v19, v21, s7
	v_cndmask_b32_e64 v22, v20, v37, s7
	v_and_b32_e32 v17, 0xff, v17
	v_and_b32_e32 v18, 0xff, v18
	v_cmp_gt_u16_e64 s10, v25, v10
	v_perm_b32 v25, v15, v15, 0x7050604
	v_cndmask_b32_e64 v31, v29, v9, s8
	v_cndmask_b32_e64 v34, v36, v26, s8
	v_cmp_gt_u16_e64 s11, v17, v18
	s_wait_alu 0xf1ff
	v_cndmask_b32_e64 v24, v24, v27, s10
	v_cndmask_b32_e64 v18, v37, v20, s7
	;; [unrolled: 1-line block ×5, first 2 shown]
	v_and_b32_e32 v20, 0xff, v24
	v_lshlrev_b16 v27, 8, v24
	v_cndmask_b32_e64 v17, v34, v23, s11
	s_delay_alu instid0(VALU_DEP_4) | instskip(SKIP_2) | instid1(VALU_DEP_3)
	v_lshrrev_b32_e32 v21, 16, v15
	v_lshrrev_b32_e32 v25, 24, v15
	v_perm_b32 v36, v15, v24, 0x3020107
	v_and_b32_e32 v37, 0xff, v21
	s_delay_alu instid0(VALU_DEP_3)
	v_cmp_gt_u16_e64 s7, v20, v25
	v_cndmask_b32_e64 v20, v9, v29, s8
	v_cndmask_b32_e64 v9, v13, v14, s10
	;; [unrolled: 1-line block ×3, first 2 shown]
	v_or_b32_e32 v29, v37, v27
	s_wait_alu 0xf1ff
	v_cndmask_b32_e64 v27, v24, v36, s7
	v_cndmask_b32_e64 v24, v14, v13, s10
	;; [unrolled: 1-line block ×4, first 2 shown]
	v_lshlrev_b32_e32 v14, 16, v29
	v_lshrrev_b32_e32 v29, 16, v27
	v_lshrrev_b32_e32 v36, 8, v27
	v_cndmask_b32_e64 v23, v35, v26, s7
	v_cndmask_b32_e64 v16, v20, v28, s11
	v_and_or_b32 v14, 0xffff, v15, v14
	v_cndmask_b32_e64 v12, v28, v20, s11
	v_and_b32_e32 v28, 0xff, v29
	v_and_b32_e32 v29, 0xff, v36
	v_cndmask_b32_e64 v20, v31, v22, s7
	v_cndmask_b32_e64 v26, v15, v14, s7
	v_mov_b32_e32 v15, v10
	v_cndmask_b32_e64 v22, v22, v31, s7
	v_mov_b32_e32 v14, v9
	s_mov_b32 s8, exec_lo
	v_cmpx_gt_u16_e64 v28, v29
; %bb.74:
	v_perm_b32 v27, v27, v27, 0x7050604
	v_dual_mov_b32 v14, v18 :: v_dual_mov_b32 v15, v19
	v_dual_mov_b32 v19, v10 :: v_dual_mov_b32 v18, v9
; %bb.75:
	s_wait_alu 0xfffe
	s_or_b32 exec_lo, exec_lo, s8
.LBB98_76:
	s_wait_alu 0xfffe
	s_or_b32 exec_lo, exec_lo, s15
	v_and_b32_e32 v11, 0xffffff00, v11
	v_or_b32_e32 v28, 8, v33
	v_and_b32_e32 v31, 8, v33
	v_and_b32_e32 v38, 0xf0, v33
	v_lshrrev_b64 v[9:10], 24, v[26:27]
	v_sub_nc_u32_e64 v29, 0x800, v11 clamp
	v_lshlrev_b32_e32 v10, 3, v11
	v_lshrrev_b32_e32 v34, 8, v26
	v_lshrrev_b32_e32 v35, 16, v26
	;; [unrolled: 1-line block ×3, first 2 shown]
	v_min_u32_e32 v49, v29, v28
	v_min_u32_e32 v48, v29, v31
	v_lshrrev_b32_e32 v37, 16, v27
	v_or_b32_e32 v52, v11, v33
	v_lshl_or_b32 v28, v33, 3, v10
	v_add_nc_u32_e32 v39, 8, v49
	v_sub_nc_u32_e32 v51, v49, v38
	s_mov_b32 s8, exec_lo
	ds_store_b8 v52, v26
	s_wait_loadcnt_dscnt 0x1
	ds_store_b64 v28, v[4:5] offset:2048
	ds_store_b8 v52, v34 offset:1
	ds_store_b64 v28, v[12:13] offset:2056
	v_min_u32_e32 v31, v29, v39
	v_min_u32_e32 v51, v48, v51
	ds_store_b8 v52, v35 offset:2
	ds_store_b64 v28, v[16:17] offset:2064
	ds_store_b8 v52, v9 offset:3
	ds_store_b64 v28, v[20:21] offset:2072
	;; [unrolled: 2-line block ×3, first 2 shown]
	ds_store_b8 v52, v36 offset:5
	v_sub_nc_u32_e32 v39, v31, v49
	s_delay_alu instid0(VALU_DEP_1)
	v_sub_nc_u32_e64 v50, v48, v39 clamp
	v_lshrrev_b32_e32 v39, 24, v27
	ds_store_b64 v28, v[18:19] offset:2088
	ds_store_b8 v52, v37 offset:6
	ds_store_b64 v28, v[14:15] offset:2096
	ds_store_b8 v52, v39 offset:7
	ds_store_b64 v28, v[24:25] offset:2104
	; wave barrier
	v_cmpx_lt_u32_e64 v50, v51
	s_cbranch_execz .LBB98_80
; %bb.77:
	v_add_nc_u32_e32 v52, v11, v38
	v_add3_u32 v53, v11, v49, v48
	s_mov_b32 s9, 0
.LBB98_78:                              ; =>This Inner Loop Header: Depth=1
	v_add_nc_u32_e32 v54, v51, v50
	s_delay_alu instid0(VALU_DEP_1) | instskip(NEXT) | instid1(VALU_DEP_1)
	v_lshrrev_b32_e32 v54, 1, v54
	v_add_nc_u32_e32 v55, v52, v54
	v_xad_u32 v64, v54, -1, v53
	v_add_nc_u32_e32 v65, 1, v54
	ds_load_u8 v55, v55
	ds_load_u8 v64, v64
	s_wait_dscnt 0x0
	v_cmp_gt_u16_e64 s7, v64, v55
	s_wait_alu 0xf1ff
	s_delay_alu instid0(VALU_DEP_1) | instskip(SKIP_1) | instid1(VALU_DEP_1)
	v_cndmask_b32_e64 v51, v51, v54, s7
	v_cndmask_b32_e64 v50, v65, v50, s7
	v_cmp_ge_u32_e64 s7, v50, v51
	s_wait_alu 0xfffe
	s_or_b32 s9, s7, s9
	s_wait_alu 0xfffe
	s_and_not1_b32 exec_lo, exec_lo, s9
	s_cbranch_execnz .LBB98_78
; %bb.79:
	s_or_b32 exec_lo, exec_lo, s9
.LBB98_80:
	s_wait_alu 0xfffe
	s_or_b32 exec_lo, exec_lo, s8
	v_add_nc_u32_e32 v48, v49, v48
	v_add_nc_u32_e32 v51, v50, v38
	v_mov_b32_e32 v38, v26
	s_delay_alu instid0(VALU_DEP_3) | instskip(SKIP_1) | instid1(VALU_DEP_4)
	v_sub_nc_u32_e32 v50, v48, v50
	v_mov_b32_e32 v48, v27
	v_cmp_le_u32_e64 s7, v51, v49
	s_delay_alu instid0(VALU_DEP_3)
	v_cmp_le_u32_e64 s8, v50, v31
	s_or_b32 s7, s7, s8
	s_wait_alu 0xfffe
	s_and_saveexec_b32 s17, s7
	s_cbranch_execz .LBB98_86
; %bb.81:
	v_cmp_lt_u32_e64 s7, v51, v49
                                        ; implicit-def: $vgpr9
	s_and_saveexec_b32 s8, s7
; %bb.82:
	v_add_nc_u32_e32 v4, v11, v51
	ds_load_u8 v9, v4
; %bb.83:
	s_wait_alu 0xfffe
	s_or_b32 exec_lo, exec_lo, s8
	v_cmp_ge_u32_e64 s8, v50, v31
	s_mov_b32 s10, exec_lo
                                        ; implicit-def: $vgpr24
	v_cmpx_lt_u32_e64 v50, v31
; %bb.84:
	v_add_nc_u32_e32 v4, v11, v50
	ds_load_u8 v24, v4
; %bb.85:
	s_wait_alu 0xfffe
	s_or_b32 exec_lo, exec_lo, s10
	s_wait_dscnt 0x0
	v_and_b32_e32 v4, 0xff, v9
	v_and_b32_e32 v5, 0xff, v24
	s_delay_alu instid0(VALU_DEP_1)
	v_cmp_le_u16_e64 s9, v5, v4
	s_and_b32 s7, s7, s9
	s_wait_alu 0xfffe
	s_or_b32 s7, s8, s7
	s_wait_alu 0xfffe
	v_cndmask_b32_e64 v4, v50, v51, s7
	v_cndmask_b32_e64 v5, v31, v49, s7
	s_delay_alu instid0(VALU_DEP_2) | instskip(NEXT) | instid1(VALU_DEP_2)
	v_add_nc_u32_e32 v12, 1, v4
	v_add_nc_u32_e32 v5, -1, v5
	v_lshl_add_u32 v4, v4, 3, v10
	s_delay_alu instid0(VALU_DEP_2) | instskip(NEXT) | instid1(VALU_DEP_1)
	v_min_u32_e32 v5, v12, v5
	v_add_nc_u32_e32 v5, v11, v5
	ds_load_u8 v5, v5
	s_wait_dscnt 0x0
	v_cndmask_b32_e64 v25, v5, v24, s7
	v_cndmask_b32_e64 v26, v9, v5, s7
	;; [unrolled: 1-line block ×4, first 2 shown]
	s_delay_alu instid0(VALU_DEP_4) | instskip(NEXT) | instid1(VALU_DEP_4)
	v_and_b32_e32 v13, 0xff, v25
	v_and_b32_e32 v14, 0xff, v26
	s_delay_alu instid0(VALU_DEP_4) | instskip(NEXT) | instid1(VALU_DEP_4)
	v_cmp_lt_u32_e64 s8, v5, v49
	v_cmp_ge_u32_e64 s10, v12, v31
	s_delay_alu instid0(VALU_DEP_3)
	v_cmp_le_u16_e64 s9, v13, v14
	s_and_b32 s8, s8, s9
	s_wait_alu 0xfffe
	s_or_b32 s8, s10, s8
	s_wait_alu 0xfffe
	v_cndmask_b32_e64 v13, v12, v5, s8
	v_cndmask_b32_e64 v14, v31, v49, s8
	s_delay_alu instid0(VALU_DEP_2) | instskip(NEXT) | instid1(VALU_DEP_2)
	v_add_nc_u32_e32 v15, 1, v13
	v_add_nc_u32_e32 v14, -1, v14
	s_delay_alu instid0(VALU_DEP_2) | instskip(NEXT) | instid1(VALU_DEP_2)
	v_cndmask_b32_e64 v5, v5, v15, s8
	v_min_u32_e32 v14, v15, v14
	v_cndmask_b32_e64 v12, v15, v12, s8
	s_delay_alu instid0(VALU_DEP_3) | instskip(NEXT) | instid1(VALU_DEP_3)
	v_cmp_lt_u32_e64 s9, v5, v49
	v_add_nc_u32_e32 v14, v11, v14
	s_delay_alu instid0(VALU_DEP_3) | instskip(SKIP_4) | instid1(VALU_DEP_2)
	v_cmp_ge_u32_e64 s11, v12, v31
	ds_load_u8 v14, v14
	s_wait_dscnt 0x0
	v_cndmask_b32_e64 v27, v14, v25, s8
	v_cndmask_b32_e64 v35, v26, v14, s8
	v_and_b32_e32 v14, 0xff, v27
	s_delay_alu instid0(VALU_DEP_2) | instskip(NEXT) | instid1(VALU_DEP_1)
	v_and_b32_e32 v16, 0xff, v35
	v_cmp_le_u16_e64 s10, v14, v16
	s_and_b32 s9, s9, s10
	s_wait_alu 0xfffe
	s_or_b32 s9, s11, s9
	s_wait_alu 0xfffe
	v_cndmask_b32_e64 v14, v12, v5, s9
	v_cndmask_b32_e64 v15, v31, v49, s9
	s_delay_alu instid0(VALU_DEP_2) | instskip(NEXT) | instid1(VALU_DEP_2)
	v_add_nc_u32_e32 v16, 1, v14
	v_add_nc_u32_e32 v15, -1, v15
	v_lshl_add_u32 v14, v14, 3, v10
	s_delay_alu instid0(VALU_DEP_3) | instskip(NEXT) | instid1(VALU_DEP_3)
	v_cndmask_b32_e64 v5, v5, v16, s9
	v_min_u32_e32 v15, v16, v15
	v_cndmask_b32_e64 v12, v16, v12, s9
	s_delay_alu instid0(VALU_DEP_3) | instskip(NEXT) | instid1(VALU_DEP_3)
	v_cmp_lt_u32_e64 s10, v5, v49
	v_add_nc_u32_e32 v15, v11, v15
	s_delay_alu instid0(VALU_DEP_3)
	v_cmp_ge_u32_e64 s12, v12, v31
	ds_load_u8 v15, v15
	s_wait_dscnt 0x0
	v_cndmask_b32_e64 v36, v15, v27, s9
	v_cndmask_b32_e64 v37, v35, v15, s9
	;; [unrolled: 1-line block ×3, first 2 shown]
	s_delay_alu instid0(VALU_DEP_3) | instskip(NEXT) | instid1(VALU_DEP_3)
	v_and_b32_e32 v15, 0xff, v36
	v_and_b32_e32 v17, 0xff, v37
	s_delay_alu instid0(VALU_DEP_1)
	v_cmp_le_u16_e64 s11, v15, v17
	s_and_b32 s10, s10, s11
	s_wait_alu 0xfffe
	s_or_b32 s10, s12, s10
	s_wait_alu 0xfffe
	v_cndmask_b32_e64 v15, v12, v5, s10
	v_cndmask_b32_e64 v16, v31, v49, s10
	s_delay_alu instid0(VALU_DEP_2) | instskip(NEXT) | instid1(VALU_DEP_2)
	v_add_nc_u32_e32 v17, 1, v15
	v_add_nc_u32_e32 v16, -1, v16
	v_lshl_add_u32 v15, v15, 3, v10
	s_delay_alu instid0(VALU_DEP_3) | instskip(NEXT) | instid1(VALU_DEP_3)
	v_cndmask_b32_e64 v5, v5, v17, s10
	v_min_u32_e32 v16, v17, v16
	v_cndmask_b32_e64 v12, v17, v12, s10
	s_delay_alu instid0(VALU_DEP_3) | instskip(NEXT) | instid1(VALU_DEP_3)
	v_cmp_lt_u32_e64 s11, v5, v49
	v_add_nc_u32_e32 v16, v11, v16
	s_delay_alu instid0(VALU_DEP_3) | instskip(SKIP_4) | instid1(VALU_DEP_2)
	v_cmp_ge_u32_e64 s13, v12, v31
	ds_load_u8 v16, v16
	s_wait_dscnt 0x0
	v_cndmask_b32_e64 v39, v16, v36, s10
	v_cndmask_b32_e64 v48, v37, v16, s10
	v_and_b32_e32 v16, 0xff, v39
	s_delay_alu instid0(VALU_DEP_2) | instskip(NEXT) | instid1(VALU_DEP_1)
	v_and_b32_e32 v18, 0xff, v48
	v_cmp_le_u16_e64 s12, v16, v18
	s_and_b32 s11, s11, s12
	s_wait_alu 0xfffe
	s_or_b32 s11, s13, s11
	s_wait_alu 0xfffe
	v_cndmask_b32_e64 v16, v12, v5, s11
	v_cndmask_b32_e64 v17, v31, v49, s11
	s_delay_alu instid0(VALU_DEP_2) | instskip(NEXT) | instid1(VALU_DEP_2)
	v_add_nc_u32_e32 v18, 1, v16
	v_add_nc_u32_e32 v17, -1, v17
	s_delay_alu instid0(VALU_DEP_2) | instskip(NEXT) | instid1(VALU_DEP_2)
	v_cndmask_b32_e64 v5, v5, v18, s11
	v_min_u32_e32 v17, v18, v17
	v_cndmask_b32_e64 v12, v18, v12, s11
	s_delay_alu instid0(VALU_DEP_3) | instskip(NEXT) | instid1(VALU_DEP_3)
	v_cmp_lt_u32_e64 s12, v5, v49
	v_add_nc_u32_e32 v17, v11, v17
	s_delay_alu instid0(VALU_DEP_3)
	v_cmp_ge_u32_e64 s14, v12, v31
	ds_load_u8 v17, v17
	s_wait_dscnt 0x0
	v_cndmask_b32_e64 v50, v17, v39, s11
	v_cndmask_b32_e64 v51, v48, v17, s11
	;; [unrolled: 1-line block ×3, first 2 shown]
	s_delay_alu instid0(VALU_DEP_3) | instskip(NEXT) | instid1(VALU_DEP_3)
	v_and_b32_e32 v17, 0xff, v50
	v_and_b32_e32 v19, 0xff, v51
	s_delay_alu instid0(VALU_DEP_3) | instskip(NEXT) | instid1(VALU_DEP_2)
	v_and_b32_e32 v27, 0xff, v48
	v_cmp_le_u16_e64 s13, v17, v19
	s_and_b32 s12, s12, s13
	s_wait_alu 0xfffe
	s_or_b32 s12, s14, s12
	s_wait_alu 0xfffe
	v_cndmask_b32_e64 v17, v12, v5, s12
	v_cndmask_b32_e64 v18, v31, v49, s12
	s_delay_alu instid0(VALU_DEP_2) | instskip(NEXT) | instid1(VALU_DEP_2)
	v_add_nc_u32_e32 v19, 1, v17
	v_add_nc_u32_e32 v18, -1, v18
	v_lshl_add_u32 v38, v17, 3, v10
	s_delay_alu instid0(VALU_DEP_3) | instskip(NEXT) | instid1(VALU_DEP_3)
	v_cndmask_b32_e64 v54, v5, v19, s12
	v_min_u32_e32 v18, v19, v18
	v_cndmask_b32_e64 v55, v19, v12, s12
	v_lshl_add_u32 v12, v13, 3, v10
	v_lshl_add_u32 v19, v16, 3, v10
	v_cmp_lt_u32_e64 s13, v54, v49
	v_add_nc_u32_e32 v18, v11, v18
	v_cmp_ge_u32_e64 s15, v55, v31
	ds_load_u8 v18, v18
	s_wait_dscnt 0x0
	v_cndmask_b32_e64 v52, v18, v50, s12
	v_cndmask_b32_e64 v53, v51, v18, s12
	s_delay_alu instid0(VALU_DEP_2) | instskip(NEXT) | instid1(VALU_DEP_2)
	v_and_b32_e32 v5, 0xff, v52
	v_and_b32_e32 v18, 0xff, v53
	s_delay_alu instid0(VALU_DEP_1)
	v_cmp_le_u16_e64 s14, v5, v18
	s_and_b32 s13, s13, s14
	s_wait_alu 0xfffe
	s_or_b32 s13, s15, s13
	s_wait_alu 0xfffe
	v_cndmask_b32_e64 v18, v55, v54, s13
	v_cndmask_b32_e64 v5, v31, v49, s13
	s_delay_alu instid0(VALU_DEP_2) | instskip(NEXT) | instid1(VALU_DEP_2)
	v_add_nc_u32_e32 v64, 1, v18
	v_add_nc_u32_e32 v5, -1, v5
	v_lshl_add_u32 v65, v18, 3, v10
	s_delay_alu instid0(VALU_DEP_2) | instskip(NEXT) | instid1(VALU_DEP_1)
	v_min_u32_e32 v5, v64, v5
	v_add_nc_u32_e32 v5, v11, v5
	ds_load_u8 v34, v5
	ds_load_b64 v[4:5], v4 offset:2048
	ds_load_b64 v[12:13], v12 offset:2048
	;; [unrolled: 1-line block ×7, first 2 shown]
	v_cndmask_b32_e64 v38, v24, v9, s7
	v_cndmask_b32_e64 v24, v54, v64, s13
	;; [unrolled: 1-line block ×6, first 2 shown]
	v_cmp_lt_u32_e64 s7, v24, v49
	v_cmp_ge_u32_e64 s9, v54, v31
	v_and_b32_e32 v51, 0xff, v35
	v_lshlrev_b16 v31, 8, v36
	v_and_b32_e32 v49, 0xff, v37
	s_delay_alu instid0(VALU_DEP_2)
	v_or_b32_e32 v27, v27, v31
	s_wait_dscnt 0x7
	v_cndmask_b32_e64 v65, v34, v52, s13
	v_cndmask_b32_e64 v66, v53, v34, s13
	;; [unrolled: 1-line block ×3, first 2 shown]
	v_and_b32_e32 v53, 0xff, v38
	v_and_b32_e32 v27, 0xffff, v27
	;; [unrolled: 1-line block ×4, first 2 shown]
	v_lshlrev_b16 v52, 8, v34
	s_delay_alu instid0(VALU_DEP_2) | instskip(SKIP_1) | instid1(VALU_DEP_3)
	v_cmp_le_u16_e64 s8, v25, v26
	v_lshlrev_b16 v26, 8, v9
	v_or_b32_e32 v31, v53, v52
	s_and_b32 s7, s7, s8
	s_delay_alu instid0(VALU_DEP_2)
	v_or_b32_e32 v26, v51, v26
	s_wait_alu 0xfffe
	s_or_b32 s7, s9, s7
	v_and_b32_e32 v31, 0xffff, v31
	s_wait_alu 0xfffe
	v_cndmask_b32_e64 v24, v54, v24, s7
	v_cndmask_b32_e64 v39, v65, v66, s7
	v_lshlrev_b32_e32 v26, 16, v26
	s_delay_alu instid0(VALU_DEP_3) | instskip(NEXT) | instid1(VALU_DEP_3)
	v_lshl_add_u32 v24, v24, 3, v10
	v_lshlrev_b16 v50, 8, v39
	s_delay_alu instid0(VALU_DEP_3) | instskip(SKIP_2) | instid1(VALU_DEP_1)
	v_or_b32_e32 v26, v31, v26
	ds_load_b64 v[24:25], v24 offset:2048
	v_or_b32_e32 v49, v49, v50
	v_lshlrev_b32_e32 v49, 16, v49
	s_delay_alu instid0(VALU_DEP_1)
	v_or_b32_e32 v27, v27, v49
.LBB98_86:
	s_wait_alu 0xfffe
	s_or_b32 exec_lo, exec_lo, s17
	v_and_b32_e32 v51, 0xe0, v33
	v_and_b32_e32 v52, 24, v33
	s_mov_b32 s8, exec_lo
	; wave barrier
	s_delay_alu instid0(VALU_DEP_2) | instskip(NEXT) | instid1(VALU_DEP_2)
	v_or_b32_e32 v31, 16, v51
	v_min_u32_e32 v52, v29, v52
	s_delay_alu instid0(VALU_DEP_2)
	v_min_u32_e32 v50, v29, v31
	v_add_nc_u32_e32 v31, v11, v33
	ds_store_b8 v31, v38
	s_wait_dscnt 0x8
	ds_store_b64 v28, v[4:5] offset:2048
	ds_store_b8 v31, v34 offset:1
	s_wait_dscnt 0x9
	ds_store_b64 v28, v[12:13] offset:2056
	v_add_nc_u32_e32 v49, 16, v50
	v_sub_nc_u32_e32 v54, v50, v51
	ds_store_b8 v31, v35 offset:2
	s_wait_dscnt 0xa
	ds_store_b64 v28, v[16:17] offset:2064
	ds_store_b8 v31, v9 offset:3
	s_wait_dscnt 0xb
	ds_store_b64 v28, v[20:21] offset:2072
	;; [unrolled: 3-line block ×6, first 2 shown]
	v_min_u32_e32 v49, v29, v49
	v_min_u32_e32 v54, v52, v54
	; wave barrier
	s_delay_alu instid0(VALU_DEP_2) | instskip(NEXT) | instid1(VALU_DEP_1)
	v_sub_nc_u32_e32 v53, v49, v50
	v_sub_nc_u32_e64 v53, v52, v53 clamp
	s_delay_alu instid0(VALU_DEP_1)
	v_cmpx_lt_u32_e64 v53, v54
	s_cbranch_execz .LBB98_90
; %bb.87:
	v_add_nc_u32_e32 v55, v11, v51
	v_add3_u32 v64, v11, v50, v52
	s_mov_b32 s9, 0
.LBB98_88:                              ; =>This Inner Loop Header: Depth=1
	v_add_nc_u32_e32 v65, v54, v53
	s_delay_alu instid0(VALU_DEP_1) | instskip(NEXT) | instid1(VALU_DEP_1)
	v_lshrrev_b32_e32 v65, 1, v65
	v_add_nc_u32_e32 v66, v55, v65
	v_xad_u32 v67, v65, -1, v64
	v_add_nc_u32_e32 v68, 1, v65
	ds_load_u8 v66, v66
	ds_load_u8 v67, v67
	s_wait_dscnt 0x0
	v_cmp_gt_u16_e64 s7, v67, v66
	s_wait_alu 0xf1ff
	s_delay_alu instid0(VALU_DEP_1) | instskip(SKIP_1) | instid1(VALU_DEP_1)
	v_cndmask_b32_e64 v54, v54, v65, s7
	v_cndmask_b32_e64 v53, v68, v53, s7
	v_cmp_ge_u32_e64 s7, v53, v54
	s_wait_alu 0xfffe
	s_or_b32 s9, s7, s9
	s_wait_alu 0xfffe
	s_and_not1_b32 exec_lo, exec_lo, s9
	s_cbranch_execnz .LBB98_88
; %bb.89:
	s_or_b32 exec_lo, exec_lo, s9
.LBB98_90:
	s_wait_alu 0xfffe
	s_or_b32 exec_lo, exec_lo, s8
	v_add_nc_u32_e32 v54, v50, v52
	v_add_nc_u32_e32 v52, v53, v51
	s_delay_alu instid0(VALU_DEP_2) | instskip(NEXT) | instid1(VALU_DEP_2)
	v_sub_nc_u32_e32 v51, v54, v53
	v_cmp_le_u32_e64 s7, v52, v50
	s_delay_alu instid0(VALU_DEP_2)
	v_cmp_le_u32_e64 s8, v51, v49
	s_or_b32 s7, s7, s8
	s_wait_alu 0xfffe
	s_and_saveexec_b32 s17, s7
	s_cbranch_execz .LBB98_96
; %bb.91:
	v_cmp_lt_u32_e64 s7, v52, v50
                                        ; implicit-def: $vgpr9
	s_and_saveexec_b32 s8, s7
; %bb.92:
	v_add_nc_u32_e32 v4, v11, v52
	ds_load_u8 v9, v4
; %bb.93:
	s_wait_alu 0xfffe
	s_or_b32 exec_lo, exec_lo, s8
	v_cmp_ge_u32_e64 s8, v51, v49
	s_mov_b32 s10, exec_lo
                                        ; implicit-def: $vgpr24
	v_cmpx_lt_u32_e64 v51, v49
; %bb.94:
	v_add_nc_u32_e32 v4, v11, v51
	ds_load_u8 v24, v4
; %bb.95:
	s_wait_alu 0xfffe
	s_or_b32 exec_lo, exec_lo, s10
	s_wait_dscnt 0x0
	v_and_b32_e32 v4, 0xff, v9
	v_and_b32_e32 v5, 0xff, v24
	s_delay_alu instid0(VALU_DEP_1)
	v_cmp_le_u16_e64 s9, v5, v4
	s_and_b32 s7, s7, s9
	s_wait_alu 0xfffe
	s_or_b32 s7, s8, s7
	s_wait_alu 0xfffe
	v_cndmask_b32_e64 v4, v51, v52, s7
	v_cndmask_b32_e64 v5, v49, v50, s7
	s_delay_alu instid0(VALU_DEP_2) | instskip(NEXT) | instid1(VALU_DEP_2)
	v_add_nc_u32_e32 v12, 1, v4
	v_add_nc_u32_e32 v5, -1, v5
	v_lshl_add_u32 v4, v4, 3, v10
	s_delay_alu instid0(VALU_DEP_2) | instskip(NEXT) | instid1(VALU_DEP_1)
	v_min_u32_e32 v5, v12, v5
	v_add_nc_u32_e32 v5, v11, v5
	ds_load_u8 v5, v5
	s_wait_dscnt 0x0
	v_cndmask_b32_e64 v25, v5, v24, s7
	v_cndmask_b32_e64 v26, v9, v5, s7
	;; [unrolled: 1-line block ×4, first 2 shown]
	s_delay_alu instid0(VALU_DEP_4) | instskip(NEXT) | instid1(VALU_DEP_4)
	v_and_b32_e32 v13, 0xff, v25
	v_and_b32_e32 v14, 0xff, v26
	s_delay_alu instid0(VALU_DEP_4) | instskip(NEXT) | instid1(VALU_DEP_4)
	v_cmp_lt_u32_e64 s8, v5, v50
	v_cmp_ge_u32_e64 s10, v12, v49
	s_delay_alu instid0(VALU_DEP_3)
	v_cmp_le_u16_e64 s9, v13, v14
	s_and_b32 s8, s8, s9
	s_wait_alu 0xfffe
	s_or_b32 s8, s10, s8
	s_wait_alu 0xfffe
	v_cndmask_b32_e64 v13, v12, v5, s8
	v_cndmask_b32_e64 v14, v49, v50, s8
	s_delay_alu instid0(VALU_DEP_2) | instskip(NEXT) | instid1(VALU_DEP_2)
	v_add_nc_u32_e32 v15, 1, v13
	v_add_nc_u32_e32 v14, -1, v14
	s_delay_alu instid0(VALU_DEP_2) | instskip(NEXT) | instid1(VALU_DEP_2)
	v_cndmask_b32_e64 v5, v5, v15, s8
	v_min_u32_e32 v14, v15, v14
	v_cndmask_b32_e64 v12, v15, v12, s8
	s_delay_alu instid0(VALU_DEP_3) | instskip(NEXT) | instid1(VALU_DEP_3)
	v_cmp_lt_u32_e64 s9, v5, v50
	v_add_nc_u32_e32 v14, v11, v14
	s_delay_alu instid0(VALU_DEP_3) | instskip(SKIP_4) | instid1(VALU_DEP_2)
	v_cmp_ge_u32_e64 s11, v12, v49
	ds_load_u8 v14, v14
	s_wait_dscnt 0x0
	v_cndmask_b32_e64 v27, v14, v25, s8
	v_cndmask_b32_e64 v35, v26, v14, s8
	v_and_b32_e32 v14, 0xff, v27
	s_delay_alu instid0(VALU_DEP_2) | instskip(NEXT) | instid1(VALU_DEP_1)
	v_and_b32_e32 v16, 0xff, v35
	v_cmp_le_u16_e64 s10, v14, v16
	s_and_b32 s9, s9, s10
	s_wait_alu 0xfffe
	s_or_b32 s9, s11, s9
	s_wait_alu 0xfffe
	v_cndmask_b32_e64 v14, v12, v5, s9
	v_cndmask_b32_e64 v15, v49, v50, s9
	s_delay_alu instid0(VALU_DEP_2) | instskip(NEXT) | instid1(VALU_DEP_2)
	v_add_nc_u32_e32 v16, 1, v14
	v_add_nc_u32_e32 v15, -1, v15
	v_lshl_add_u32 v14, v14, 3, v10
	s_delay_alu instid0(VALU_DEP_3) | instskip(NEXT) | instid1(VALU_DEP_3)
	v_cndmask_b32_e64 v5, v5, v16, s9
	v_min_u32_e32 v15, v16, v15
	v_cndmask_b32_e64 v12, v16, v12, s9
	s_delay_alu instid0(VALU_DEP_3) | instskip(NEXT) | instid1(VALU_DEP_3)
	v_cmp_lt_u32_e64 s10, v5, v50
	v_add_nc_u32_e32 v15, v11, v15
	s_delay_alu instid0(VALU_DEP_3)
	v_cmp_ge_u32_e64 s12, v12, v49
	ds_load_u8 v15, v15
	s_wait_dscnt 0x0
	v_cndmask_b32_e64 v36, v15, v27, s9
	v_cndmask_b32_e64 v37, v35, v15, s9
	;; [unrolled: 1-line block ×3, first 2 shown]
	s_delay_alu instid0(VALU_DEP_3) | instskip(NEXT) | instid1(VALU_DEP_3)
	v_and_b32_e32 v15, 0xff, v36
	v_and_b32_e32 v17, 0xff, v37
	s_delay_alu instid0(VALU_DEP_1)
	v_cmp_le_u16_e64 s11, v15, v17
	s_and_b32 s10, s10, s11
	s_wait_alu 0xfffe
	s_or_b32 s10, s12, s10
	s_wait_alu 0xfffe
	v_cndmask_b32_e64 v15, v12, v5, s10
	v_cndmask_b32_e64 v16, v49, v50, s10
	s_delay_alu instid0(VALU_DEP_2) | instskip(NEXT) | instid1(VALU_DEP_2)
	v_add_nc_u32_e32 v17, 1, v15
	v_add_nc_u32_e32 v16, -1, v16
	v_lshl_add_u32 v15, v15, 3, v10
	s_delay_alu instid0(VALU_DEP_3) | instskip(NEXT) | instid1(VALU_DEP_3)
	v_cndmask_b32_e64 v5, v5, v17, s10
	v_min_u32_e32 v16, v17, v16
	v_cndmask_b32_e64 v12, v17, v12, s10
	s_delay_alu instid0(VALU_DEP_3) | instskip(NEXT) | instid1(VALU_DEP_3)
	v_cmp_lt_u32_e64 s11, v5, v50
	v_add_nc_u32_e32 v16, v11, v16
	s_delay_alu instid0(VALU_DEP_3) | instskip(SKIP_4) | instid1(VALU_DEP_2)
	v_cmp_ge_u32_e64 s13, v12, v49
	ds_load_u8 v16, v16
	s_wait_dscnt 0x0
	v_cndmask_b32_e64 v39, v16, v36, s10
	v_cndmask_b32_e64 v48, v37, v16, s10
	v_and_b32_e32 v16, 0xff, v39
	s_delay_alu instid0(VALU_DEP_2) | instskip(NEXT) | instid1(VALU_DEP_1)
	v_and_b32_e32 v18, 0xff, v48
	v_cmp_le_u16_e64 s12, v16, v18
	s_and_b32 s11, s11, s12
	s_wait_alu 0xfffe
	s_or_b32 s11, s13, s11
	s_wait_alu 0xfffe
	v_cndmask_b32_e64 v16, v12, v5, s11
	v_cndmask_b32_e64 v17, v49, v50, s11
	s_delay_alu instid0(VALU_DEP_2) | instskip(NEXT) | instid1(VALU_DEP_2)
	v_add_nc_u32_e32 v18, 1, v16
	v_add_nc_u32_e32 v17, -1, v17
	s_delay_alu instid0(VALU_DEP_2) | instskip(NEXT) | instid1(VALU_DEP_2)
	v_cndmask_b32_e64 v5, v5, v18, s11
	v_min_u32_e32 v17, v18, v17
	v_cndmask_b32_e64 v12, v18, v12, s11
	s_delay_alu instid0(VALU_DEP_3) | instskip(NEXT) | instid1(VALU_DEP_3)
	v_cmp_lt_u32_e64 s12, v5, v50
	v_add_nc_u32_e32 v17, v11, v17
	s_delay_alu instid0(VALU_DEP_3)
	v_cmp_ge_u32_e64 s14, v12, v49
	ds_load_u8 v17, v17
	s_wait_dscnt 0x0
	v_cndmask_b32_e64 v51, v17, v39, s11
	v_cndmask_b32_e64 v52, v48, v17, s11
	;; [unrolled: 1-line block ×3, first 2 shown]
	s_delay_alu instid0(VALU_DEP_3) | instskip(NEXT) | instid1(VALU_DEP_3)
	v_and_b32_e32 v17, 0xff, v51
	v_and_b32_e32 v19, 0xff, v52
	s_delay_alu instid0(VALU_DEP_3) | instskip(NEXT) | instid1(VALU_DEP_2)
	v_and_b32_e32 v27, 0xff, v48
	v_cmp_le_u16_e64 s13, v17, v19
	s_and_b32 s12, s12, s13
	s_wait_alu 0xfffe
	s_or_b32 s12, s14, s12
	s_wait_alu 0xfffe
	v_cndmask_b32_e64 v17, v12, v5, s12
	v_cndmask_b32_e64 v18, v49, v50, s12
	s_delay_alu instid0(VALU_DEP_2) | instskip(NEXT) | instid1(VALU_DEP_2)
	v_add_nc_u32_e32 v19, 1, v17
	v_add_nc_u32_e32 v18, -1, v18
	v_lshl_add_u32 v38, v17, 3, v10
	s_delay_alu instid0(VALU_DEP_3) | instskip(NEXT) | instid1(VALU_DEP_3)
	v_cndmask_b32_e64 v55, v5, v19, s12
	v_min_u32_e32 v18, v19, v18
	v_cndmask_b32_e64 v64, v19, v12, s12
	v_lshl_add_u32 v12, v13, 3, v10
	v_lshl_add_u32 v19, v16, 3, v10
	v_cmp_lt_u32_e64 s13, v55, v50
	v_add_nc_u32_e32 v18, v11, v18
	v_cmp_ge_u32_e64 s15, v64, v49
	ds_load_u8 v18, v18
	s_wait_dscnt 0x0
	v_cndmask_b32_e64 v53, v18, v51, s12
	v_cndmask_b32_e64 v54, v52, v18, s12
	s_delay_alu instid0(VALU_DEP_2) | instskip(NEXT) | instid1(VALU_DEP_2)
	v_and_b32_e32 v5, 0xff, v53
	v_and_b32_e32 v18, 0xff, v54
	s_delay_alu instid0(VALU_DEP_1)
	v_cmp_le_u16_e64 s14, v5, v18
	s_and_b32 s13, s13, s14
	s_wait_alu 0xfffe
	s_or_b32 s13, s15, s13
	s_wait_alu 0xfffe
	v_cndmask_b32_e64 v18, v64, v55, s13
	v_cndmask_b32_e64 v5, v49, v50, s13
	s_delay_alu instid0(VALU_DEP_2) | instskip(NEXT) | instid1(VALU_DEP_2)
	v_add_nc_u32_e32 v65, 1, v18
	v_add_nc_u32_e32 v5, -1, v5
	v_lshl_add_u32 v66, v18, 3, v10
	s_delay_alu instid0(VALU_DEP_2) | instskip(NEXT) | instid1(VALU_DEP_1)
	v_min_u32_e32 v5, v65, v5
	v_add_nc_u32_e32 v5, v11, v5
	ds_load_u8 v34, v5
	ds_load_b64 v[4:5], v4 offset:2048
	ds_load_b64 v[12:13], v12 offset:2048
	;; [unrolled: 1-line block ×7, first 2 shown]
	v_cndmask_b32_e64 v38, v24, v9, s7
	v_cndmask_b32_e64 v24, v55, v65, s13
	;; [unrolled: 1-line block ×6, first 2 shown]
	v_cmp_lt_u32_e64 s7, v24, v50
	v_cmp_ge_u32_e64 s9, v55, v49
	v_and_b32_e32 v52, 0xff, v35
	v_lshlrev_b16 v49, 8, v36
	v_and_b32_e32 v50, 0xff, v37
	s_delay_alu instid0(VALU_DEP_2)
	v_or_b32_e32 v27, v27, v49
	s_wait_dscnt 0x7
	v_cndmask_b32_e64 v66, v34, v53, s13
	v_cndmask_b32_e64 v67, v54, v34, s13
	;; [unrolled: 1-line block ×3, first 2 shown]
	v_and_b32_e32 v54, 0xff, v38
	v_and_b32_e32 v27, 0xffff, v27
	;; [unrolled: 1-line block ×4, first 2 shown]
	v_lshlrev_b16 v53, 8, v34
	s_delay_alu instid0(VALU_DEP_2) | instskip(SKIP_1) | instid1(VALU_DEP_3)
	v_cmp_le_u16_e64 s8, v25, v26
	v_lshlrev_b16 v26, 8, v9
	v_or_b32_e32 v49, v54, v53
	s_and_b32 s7, s7, s8
	s_delay_alu instid0(VALU_DEP_2)
	v_or_b32_e32 v26, v52, v26
	s_wait_alu 0xfffe
	s_or_b32 s7, s9, s7
	v_and_b32_e32 v49, 0xffff, v49
	s_wait_alu 0xfffe
	v_cndmask_b32_e64 v24, v55, v24, s7
	v_cndmask_b32_e64 v39, v66, v67, s7
	v_lshlrev_b32_e32 v26, 16, v26
	s_delay_alu instid0(VALU_DEP_3) | instskip(NEXT) | instid1(VALU_DEP_3)
	v_lshl_add_u32 v24, v24, 3, v10
	v_lshlrev_b16 v51, 8, v39
	s_delay_alu instid0(VALU_DEP_3) | instskip(SKIP_2) | instid1(VALU_DEP_1)
	v_or_b32_e32 v26, v49, v26
	ds_load_b64 v[24:25], v24 offset:2048
	v_or_b32_e32 v50, v50, v51
	v_lshlrev_b32_e32 v50, 16, v50
	s_delay_alu instid0(VALU_DEP_1)
	v_or_b32_e32 v27, v27, v50
.LBB98_96:
	s_wait_alu 0xfffe
	s_or_b32 exec_lo, exec_lo, s17
	v_and_b32_e32 v51, 0xc0, v33
	v_and_b32_e32 v52, 56, v33
	s_mov_b32 s8, exec_lo
	; wave barrier
	s_delay_alu instid0(VALU_DEP_2) | instskip(NEXT) | instid1(VALU_DEP_2)
	v_or_b32_e32 v49, 32, v51
	v_min_u32_e32 v52, v29, v52
	ds_store_b8 v31, v38
	s_wait_dscnt 0x8
	ds_store_b64 v28, v[4:5] offset:2048
	ds_store_b8 v31, v34 offset:1
	s_wait_dscnt 0x9
	ds_store_b64 v28, v[12:13] offset:2056
	ds_store_b8 v31, v35 offset:2
	;; [unrolled: 3-line block ×3, first 2 shown]
	v_min_u32_e32 v50, v29, v49
	s_wait_dscnt 0xb
	ds_store_b64 v28, v[20:21] offset:2072
	ds_store_b8 v31, v48 offset:4
	s_wait_dscnt 0xc
	ds_store_b64 v28, v[22:23] offset:2080
	ds_store_b8 v31, v36 offset:5
	;; [unrolled: 3-line block ×4, first 2 shown]
	s_wait_dscnt 0xf
	ds_store_b64 v28, v[24:25] offset:2104
	; wave barrier
	v_add_nc_u32_e32 v49, 32, v50
	v_sub_nc_u32_e32 v54, v50, v51
	s_delay_alu instid0(VALU_DEP_2) | instskip(NEXT) | instid1(VALU_DEP_2)
	v_min_u32_e32 v49, v29, v49
	v_min_u32_e32 v54, v52, v54
	s_delay_alu instid0(VALU_DEP_2) | instskip(NEXT) | instid1(VALU_DEP_1)
	v_sub_nc_u32_e32 v53, v49, v50
	v_sub_nc_u32_e64 v53, v52, v53 clamp
	s_delay_alu instid0(VALU_DEP_1)
	v_cmpx_lt_u32_e64 v53, v54
	s_cbranch_execz .LBB98_100
; %bb.97:
	v_add_nc_u32_e32 v55, v11, v51
	v_add3_u32 v64, v11, v50, v52
	s_mov_b32 s9, 0
.LBB98_98:                              ; =>This Inner Loop Header: Depth=1
	v_add_nc_u32_e32 v65, v54, v53
	s_delay_alu instid0(VALU_DEP_1) | instskip(NEXT) | instid1(VALU_DEP_1)
	v_lshrrev_b32_e32 v65, 1, v65
	v_add_nc_u32_e32 v66, v55, v65
	v_xad_u32 v67, v65, -1, v64
	v_add_nc_u32_e32 v68, 1, v65
	ds_load_u8 v66, v66
	ds_load_u8 v67, v67
	s_wait_dscnt 0x0
	v_cmp_gt_u16_e64 s7, v67, v66
	s_wait_alu 0xf1ff
	s_delay_alu instid0(VALU_DEP_1) | instskip(SKIP_1) | instid1(VALU_DEP_1)
	v_cndmask_b32_e64 v54, v54, v65, s7
	v_cndmask_b32_e64 v53, v68, v53, s7
	v_cmp_ge_u32_e64 s7, v53, v54
	s_wait_alu 0xfffe
	s_or_b32 s9, s7, s9
	s_wait_alu 0xfffe
	s_and_not1_b32 exec_lo, exec_lo, s9
	s_cbranch_execnz .LBB98_98
; %bb.99:
	s_or_b32 exec_lo, exec_lo, s9
.LBB98_100:
	s_wait_alu 0xfffe
	s_or_b32 exec_lo, exec_lo, s8
	v_add_nc_u32_e32 v54, v50, v52
	v_add_nc_u32_e32 v52, v53, v51
	s_delay_alu instid0(VALU_DEP_2) | instskip(NEXT) | instid1(VALU_DEP_2)
	v_sub_nc_u32_e32 v51, v54, v53
	v_cmp_le_u32_e64 s7, v52, v50
	s_delay_alu instid0(VALU_DEP_2)
	v_cmp_le_u32_e64 s8, v51, v49
	s_or_b32 s7, s7, s8
	s_wait_alu 0xfffe
	s_and_saveexec_b32 s17, s7
	s_cbranch_execz .LBB98_106
; %bb.101:
	v_cmp_lt_u32_e64 s7, v52, v50
                                        ; implicit-def: $vgpr9
	s_and_saveexec_b32 s8, s7
; %bb.102:
	v_add_nc_u32_e32 v4, v11, v52
	ds_load_u8 v9, v4
; %bb.103:
	s_wait_alu 0xfffe
	s_or_b32 exec_lo, exec_lo, s8
	v_cmp_ge_u32_e64 s8, v51, v49
	s_mov_b32 s10, exec_lo
                                        ; implicit-def: $vgpr24
	v_cmpx_lt_u32_e64 v51, v49
; %bb.104:
	v_add_nc_u32_e32 v4, v11, v51
	ds_load_u8 v24, v4
; %bb.105:
	s_wait_alu 0xfffe
	s_or_b32 exec_lo, exec_lo, s10
	s_wait_dscnt 0x0
	v_and_b32_e32 v4, 0xff, v9
	v_and_b32_e32 v5, 0xff, v24
	s_delay_alu instid0(VALU_DEP_1)
	v_cmp_le_u16_e64 s9, v5, v4
	s_and_b32 s7, s7, s9
	s_wait_alu 0xfffe
	s_or_b32 s7, s8, s7
	s_wait_alu 0xfffe
	v_cndmask_b32_e64 v4, v51, v52, s7
	v_cndmask_b32_e64 v5, v49, v50, s7
	s_delay_alu instid0(VALU_DEP_2) | instskip(NEXT) | instid1(VALU_DEP_2)
	v_add_nc_u32_e32 v12, 1, v4
	v_add_nc_u32_e32 v5, -1, v5
	v_lshl_add_u32 v4, v4, 3, v10
	s_delay_alu instid0(VALU_DEP_2) | instskip(NEXT) | instid1(VALU_DEP_1)
	v_min_u32_e32 v5, v12, v5
	v_add_nc_u32_e32 v5, v11, v5
	ds_load_u8 v5, v5
	s_wait_dscnt 0x0
	v_cndmask_b32_e64 v25, v5, v24, s7
	v_cndmask_b32_e64 v26, v9, v5, s7
	v_cndmask_b32_e64 v5, v52, v12, s7
	v_cndmask_b32_e64 v12, v12, v51, s7
	s_delay_alu instid0(VALU_DEP_4) | instskip(NEXT) | instid1(VALU_DEP_4)
	v_and_b32_e32 v13, 0xff, v25
	v_and_b32_e32 v14, 0xff, v26
	s_delay_alu instid0(VALU_DEP_4) | instskip(NEXT) | instid1(VALU_DEP_4)
	v_cmp_lt_u32_e64 s8, v5, v50
	v_cmp_ge_u32_e64 s10, v12, v49
	s_delay_alu instid0(VALU_DEP_3)
	v_cmp_le_u16_e64 s9, v13, v14
	s_and_b32 s8, s8, s9
	s_wait_alu 0xfffe
	s_or_b32 s8, s10, s8
	s_wait_alu 0xfffe
	v_cndmask_b32_e64 v13, v12, v5, s8
	v_cndmask_b32_e64 v14, v49, v50, s8
	s_delay_alu instid0(VALU_DEP_2) | instskip(NEXT) | instid1(VALU_DEP_2)
	v_add_nc_u32_e32 v15, 1, v13
	v_add_nc_u32_e32 v14, -1, v14
	s_delay_alu instid0(VALU_DEP_2) | instskip(NEXT) | instid1(VALU_DEP_2)
	v_cndmask_b32_e64 v5, v5, v15, s8
	v_min_u32_e32 v14, v15, v14
	v_cndmask_b32_e64 v12, v15, v12, s8
	s_delay_alu instid0(VALU_DEP_3) | instskip(NEXT) | instid1(VALU_DEP_3)
	v_cmp_lt_u32_e64 s9, v5, v50
	v_add_nc_u32_e32 v14, v11, v14
	s_delay_alu instid0(VALU_DEP_3) | instskip(SKIP_4) | instid1(VALU_DEP_2)
	v_cmp_ge_u32_e64 s11, v12, v49
	ds_load_u8 v14, v14
	s_wait_dscnt 0x0
	v_cndmask_b32_e64 v27, v14, v25, s8
	v_cndmask_b32_e64 v35, v26, v14, s8
	v_and_b32_e32 v14, 0xff, v27
	s_delay_alu instid0(VALU_DEP_2) | instskip(NEXT) | instid1(VALU_DEP_1)
	v_and_b32_e32 v16, 0xff, v35
	v_cmp_le_u16_e64 s10, v14, v16
	s_and_b32 s9, s9, s10
	s_wait_alu 0xfffe
	s_or_b32 s9, s11, s9
	s_wait_alu 0xfffe
	v_cndmask_b32_e64 v14, v12, v5, s9
	v_cndmask_b32_e64 v15, v49, v50, s9
	s_delay_alu instid0(VALU_DEP_2) | instskip(NEXT) | instid1(VALU_DEP_2)
	v_add_nc_u32_e32 v16, 1, v14
	v_add_nc_u32_e32 v15, -1, v15
	v_lshl_add_u32 v14, v14, 3, v10
	s_delay_alu instid0(VALU_DEP_3) | instskip(NEXT) | instid1(VALU_DEP_3)
	v_cndmask_b32_e64 v5, v5, v16, s9
	v_min_u32_e32 v15, v16, v15
	v_cndmask_b32_e64 v12, v16, v12, s9
	s_delay_alu instid0(VALU_DEP_3) | instskip(NEXT) | instid1(VALU_DEP_3)
	v_cmp_lt_u32_e64 s10, v5, v50
	v_add_nc_u32_e32 v15, v11, v15
	s_delay_alu instid0(VALU_DEP_3)
	v_cmp_ge_u32_e64 s12, v12, v49
	ds_load_u8 v15, v15
	s_wait_dscnt 0x0
	v_cndmask_b32_e64 v36, v15, v27, s9
	v_cndmask_b32_e64 v37, v35, v15, s9
	;; [unrolled: 1-line block ×3, first 2 shown]
	s_delay_alu instid0(VALU_DEP_3) | instskip(NEXT) | instid1(VALU_DEP_3)
	v_and_b32_e32 v15, 0xff, v36
	v_and_b32_e32 v17, 0xff, v37
	s_delay_alu instid0(VALU_DEP_1)
	v_cmp_le_u16_e64 s11, v15, v17
	s_and_b32 s10, s10, s11
	s_wait_alu 0xfffe
	s_or_b32 s10, s12, s10
	s_wait_alu 0xfffe
	v_cndmask_b32_e64 v15, v12, v5, s10
	v_cndmask_b32_e64 v16, v49, v50, s10
	s_delay_alu instid0(VALU_DEP_2) | instskip(NEXT) | instid1(VALU_DEP_2)
	v_add_nc_u32_e32 v17, 1, v15
	v_add_nc_u32_e32 v16, -1, v16
	v_lshl_add_u32 v15, v15, 3, v10
	s_delay_alu instid0(VALU_DEP_3) | instskip(NEXT) | instid1(VALU_DEP_3)
	v_cndmask_b32_e64 v5, v5, v17, s10
	v_min_u32_e32 v16, v17, v16
	v_cndmask_b32_e64 v12, v17, v12, s10
	s_delay_alu instid0(VALU_DEP_3) | instskip(NEXT) | instid1(VALU_DEP_3)
	v_cmp_lt_u32_e64 s11, v5, v50
	v_add_nc_u32_e32 v16, v11, v16
	s_delay_alu instid0(VALU_DEP_3) | instskip(SKIP_4) | instid1(VALU_DEP_2)
	v_cmp_ge_u32_e64 s13, v12, v49
	ds_load_u8 v16, v16
	s_wait_dscnt 0x0
	v_cndmask_b32_e64 v39, v16, v36, s10
	v_cndmask_b32_e64 v48, v37, v16, s10
	v_and_b32_e32 v16, 0xff, v39
	s_delay_alu instid0(VALU_DEP_2) | instskip(NEXT) | instid1(VALU_DEP_1)
	v_and_b32_e32 v18, 0xff, v48
	v_cmp_le_u16_e64 s12, v16, v18
	s_and_b32 s11, s11, s12
	s_wait_alu 0xfffe
	s_or_b32 s11, s13, s11
	s_wait_alu 0xfffe
	v_cndmask_b32_e64 v16, v12, v5, s11
	v_cndmask_b32_e64 v17, v49, v50, s11
	s_delay_alu instid0(VALU_DEP_2) | instskip(NEXT) | instid1(VALU_DEP_2)
	v_add_nc_u32_e32 v18, 1, v16
	v_add_nc_u32_e32 v17, -1, v17
	s_delay_alu instid0(VALU_DEP_2) | instskip(NEXT) | instid1(VALU_DEP_2)
	v_cndmask_b32_e64 v5, v5, v18, s11
	v_min_u32_e32 v17, v18, v17
	v_cndmask_b32_e64 v12, v18, v12, s11
	s_delay_alu instid0(VALU_DEP_3) | instskip(NEXT) | instid1(VALU_DEP_3)
	v_cmp_lt_u32_e64 s12, v5, v50
	v_add_nc_u32_e32 v17, v11, v17
	s_delay_alu instid0(VALU_DEP_3)
	v_cmp_ge_u32_e64 s14, v12, v49
	ds_load_u8 v17, v17
	s_wait_dscnt 0x0
	v_cndmask_b32_e64 v51, v17, v39, s11
	v_cndmask_b32_e64 v52, v48, v17, s11
	;; [unrolled: 1-line block ×3, first 2 shown]
	s_delay_alu instid0(VALU_DEP_3) | instskip(NEXT) | instid1(VALU_DEP_3)
	v_and_b32_e32 v17, 0xff, v51
	v_and_b32_e32 v19, 0xff, v52
	s_delay_alu instid0(VALU_DEP_3) | instskip(NEXT) | instid1(VALU_DEP_2)
	v_and_b32_e32 v27, 0xff, v48
	v_cmp_le_u16_e64 s13, v17, v19
	s_and_b32 s12, s12, s13
	s_wait_alu 0xfffe
	s_or_b32 s12, s14, s12
	s_wait_alu 0xfffe
	v_cndmask_b32_e64 v17, v12, v5, s12
	v_cndmask_b32_e64 v18, v49, v50, s12
	s_delay_alu instid0(VALU_DEP_2) | instskip(NEXT) | instid1(VALU_DEP_2)
	v_add_nc_u32_e32 v19, 1, v17
	v_add_nc_u32_e32 v18, -1, v18
	v_lshl_add_u32 v38, v17, 3, v10
	s_delay_alu instid0(VALU_DEP_3) | instskip(NEXT) | instid1(VALU_DEP_3)
	v_cndmask_b32_e64 v55, v5, v19, s12
	v_min_u32_e32 v18, v19, v18
	v_cndmask_b32_e64 v64, v19, v12, s12
	v_lshl_add_u32 v12, v13, 3, v10
	v_lshl_add_u32 v19, v16, 3, v10
	v_cmp_lt_u32_e64 s13, v55, v50
	v_add_nc_u32_e32 v18, v11, v18
	v_cmp_ge_u32_e64 s15, v64, v49
	ds_load_u8 v18, v18
	s_wait_dscnt 0x0
	v_cndmask_b32_e64 v53, v18, v51, s12
	v_cndmask_b32_e64 v54, v52, v18, s12
	s_delay_alu instid0(VALU_DEP_2) | instskip(NEXT) | instid1(VALU_DEP_2)
	v_and_b32_e32 v5, 0xff, v53
	v_and_b32_e32 v18, 0xff, v54
	s_delay_alu instid0(VALU_DEP_1)
	v_cmp_le_u16_e64 s14, v5, v18
	s_and_b32 s13, s13, s14
	s_wait_alu 0xfffe
	s_or_b32 s13, s15, s13
	s_wait_alu 0xfffe
	v_cndmask_b32_e64 v18, v64, v55, s13
	v_cndmask_b32_e64 v5, v49, v50, s13
	s_delay_alu instid0(VALU_DEP_2) | instskip(NEXT) | instid1(VALU_DEP_2)
	v_add_nc_u32_e32 v65, 1, v18
	v_add_nc_u32_e32 v5, -1, v5
	v_lshl_add_u32 v66, v18, 3, v10
	s_delay_alu instid0(VALU_DEP_2) | instskip(NEXT) | instid1(VALU_DEP_1)
	v_min_u32_e32 v5, v65, v5
	v_add_nc_u32_e32 v5, v11, v5
	ds_load_u8 v34, v5
	ds_load_b64 v[4:5], v4 offset:2048
	ds_load_b64 v[12:13], v12 offset:2048
	;; [unrolled: 1-line block ×7, first 2 shown]
	v_cndmask_b32_e64 v38, v24, v9, s7
	v_cndmask_b32_e64 v24, v55, v65, s13
	;; [unrolled: 1-line block ×6, first 2 shown]
	v_cmp_lt_u32_e64 s7, v24, v50
	v_cmp_ge_u32_e64 s9, v55, v49
	v_and_b32_e32 v52, 0xff, v35
	v_lshlrev_b16 v49, 8, v36
	v_and_b32_e32 v50, 0xff, v37
	s_delay_alu instid0(VALU_DEP_2)
	v_or_b32_e32 v27, v27, v49
	s_wait_dscnt 0x7
	v_cndmask_b32_e64 v66, v34, v53, s13
	v_cndmask_b32_e64 v67, v54, v34, s13
	v_cndmask_b32_e64 v34, v25, v26, s8
	v_and_b32_e32 v54, 0xff, v38
	v_and_b32_e32 v27, 0xffff, v27
	;; [unrolled: 1-line block ×4, first 2 shown]
	v_lshlrev_b16 v53, 8, v34
	s_delay_alu instid0(VALU_DEP_2) | instskip(SKIP_1) | instid1(VALU_DEP_3)
	v_cmp_le_u16_e64 s8, v25, v26
	v_lshlrev_b16 v26, 8, v9
	v_or_b32_e32 v49, v54, v53
	s_and_b32 s7, s7, s8
	s_delay_alu instid0(VALU_DEP_2)
	v_or_b32_e32 v26, v52, v26
	s_wait_alu 0xfffe
	s_or_b32 s7, s9, s7
	v_and_b32_e32 v49, 0xffff, v49
	s_wait_alu 0xfffe
	v_cndmask_b32_e64 v24, v55, v24, s7
	v_cndmask_b32_e64 v39, v66, v67, s7
	v_lshlrev_b32_e32 v26, 16, v26
	s_delay_alu instid0(VALU_DEP_3) | instskip(NEXT) | instid1(VALU_DEP_3)
	v_lshl_add_u32 v24, v24, 3, v10
	v_lshlrev_b16 v51, 8, v39
	s_delay_alu instid0(VALU_DEP_3) | instskip(SKIP_2) | instid1(VALU_DEP_1)
	v_or_b32_e32 v26, v49, v26
	ds_load_b64 v[24:25], v24 offset:2048
	v_or_b32_e32 v50, v50, v51
	v_lshlrev_b32_e32 v50, 16, v50
	s_delay_alu instid0(VALU_DEP_1)
	v_or_b32_e32 v27, v27, v50
.LBB98_106:
	s_wait_alu 0xfffe
	s_or_b32 exec_lo, exec_lo, s17
	v_and_b32_e32 v50, 0x80, v33
	; wave barrier
	ds_store_b8 v31, v38
	s_wait_dscnt 0x8
	ds_store_b64 v28, v[4:5] offset:2048
	ds_store_b8 v31, v34 offset:1
	s_wait_dscnt 0x9
	ds_store_b64 v28, v[12:13] offset:2056
	ds_store_b8 v31, v35 offset:2
	;; [unrolled: 3-line block ×3, first 2 shown]
	v_or_b32_e32 v33, 64, v50
	v_min_u32_e32 v9, v29, v30
	s_mov_b32 s8, exec_lo
	s_wait_dscnt 0xb
	ds_store_b64 v28, v[20:21] offset:2072
	ds_store_b8 v31, v48 offset:4
	s_wait_dscnt 0xc
	ds_store_b64 v28, v[22:23] offset:2080
	ds_store_b8 v31, v36 offset:5
	;; [unrolled: 3-line block ×4, first 2 shown]
	s_wait_dscnt 0xf
	ds_store_b64 v28, v[24:25] offset:2104
	v_min_u32_e32 v49, v29, v33
	; wave barrier
	s_delay_alu instid0(VALU_DEP_1) | instskip(SKIP_1) | instid1(VALU_DEP_2)
	v_add_nc_u32_e32 v33, 64, v49
	v_sub_nc_u32_e32 v35, v49, v50
	v_min_u32_e32 v33, v29, v33
	s_delay_alu instid0(VALU_DEP_1) | instskip(NEXT) | instid1(VALU_DEP_1)
	v_sub_nc_u32_e32 v29, v33, v49
	v_sub_nc_u32_e64 v34, v9, v29 clamp
	s_delay_alu instid0(VALU_DEP_4) | instskip(NEXT) | instid1(VALU_DEP_1)
	v_min_u32_e32 v29, v9, v35
	v_cmpx_lt_u32_e64 v34, v29
	s_cbranch_execz .LBB98_110
; %bb.107:
	v_add_nc_u32_e32 v28, v11, v50
	v_add3_u32 v31, v11, v49, v9
	s_mov_b32 s9, 0
.LBB98_108:                             ; =>This Inner Loop Header: Depth=1
	v_add_nc_u32_e32 v35, v29, v34
	s_delay_alu instid0(VALU_DEP_1) | instskip(NEXT) | instid1(VALU_DEP_1)
	v_lshrrev_b32_e32 v35, 1, v35
	v_add_nc_u32_e32 v36, v28, v35
	v_xad_u32 v37, v35, -1, v31
	v_add_nc_u32_e32 v38, 1, v35
	ds_load_u8 v36, v36
	ds_load_u8 v37, v37
	s_wait_dscnt 0x0
	v_cmp_gt_u16_e64 s7, v37, v36
	s_wait_alu 0xf1ff
	s_delay_alu instid0(VALU_DEP_1) | instskip(SKIP_1) | instid1(VALU_DEP_1)
	v_cndmask_b32_e64 v29, v29, v35, s7
	v_cndmask_b32_e64 v34, v38, v34, s7
	v_cmp_ge_u32_e64 s7, v34, v29
	s_wait_alu 0xfffe
	s_or_b32 s9, s7, s9
	s_wait_alu 0xfffe
	s_and_not1_b32 exec_lo, exec_lo, s9
	s_cbranch_execnz .LBB98_108
; %bb.109:
	s_or_b32 exec_lo, exec_lo, s9
.LBB98_110:
	s_wait_alu 0xfffe
	s_or_b32 exec_lo, exec_lo, s8
	v_add_nc_u32_e32 v9, v49, v9
	v_add_nc_u32_e32 v29, v34, v50
	s_delay_alu instid0(VALU_DEP_2) | instskip(NEXT) | instid1(VALU_DEP_2)
	v_sub_nc_u32_e32 v28, v9, v34
	v_cmp_le_u32_e64 s7, v29, v49
	s_delay_alu instid0(VALU_DEP_2)
	v_cmp_le_u32_e64 s8, v28, v33
	s_or_b32 s7, s7, s8
	s_wait_alu 0xfffe
	s_and_saveexec_b32 s17, s7
	s_cbranch_execz .LBB98_116
; %bb.111:
	v_cmp_lt_u32_e64 s7, v29, v49
                                        ; implicit-def: $vgpr9
	s_and_saveexec_b32 s8, s7
; %bb.112:
	v_add_nc_u32_e32 v4, v11, v29
	ds_load_u8 v9, v4
; %bb.113:
	s_wait_alu 0xfffe
	s_or_b32 exec_lo, exec_lo, s8
	v_cmp_ge_u32_e64 s8, v28, v33
	s_mov_b32 s10, exec_lo
                                        ; implicit-def: $vgpr24
	v_cmpx_lt_u32_e64 v28, v33
; %bb.114:
	v_add_nc_u32_e32 v4, v11, v28
	ds_load_u8 v24, v4
; %bb.115:
	s_wait_alu 0xfffe
	s_or_b32 exec_lo, exec_lo, s10
	s_wait_dscnt 0x0
	v_and_b32_e32 v4, 0xff, v9
	v_and_b32_e32 v5, 0xff, v24
	s_delay_alu instid0(VALU_DEP_1)
	v_cmp_le_u16_e64 s9, v5, v4
	s_and_b32 s7, s7, s9
	s_wait_alu 0xfffe
	s_or_b32 s7, s8, s7
	s_wait_alu 0xfffe
	v_cndmask_b32_e64 v4, v28, v29, s7
	v_cndmask_b32_e64 v5, v33, v49, s7
	s_delay_alu instid0(VALU_DEP_2) | instskip(NEXT) | instid1(VALU_DEP_2)
	v_add_nc_u32_e32 v12, 1, v4
	v_add_nc_u32_e32 v5, -1, v5
	v_lshl_add_u32 v4, v4, 3, v10
	s_delay_alu instid0(VALU_DEP_2) | instskip(NEXT) | instid1(VALU_DEP_1)
	v_min_u32_e32 v5, v12, v5
	v_add_nc_u32_e32 v5, v11, v5
	ds_load_u8 v5, v5
	s_wait_dscnt 0x0
	v_cndmask_b32_e64 v25, v5, v24, s7
	v_cndmask_b32_e64 v26, v9, v5, s7
	;; [unrolled: 1-line block ×5, first 2 shown]
	v_and_b32_e32 v13, 0xff, v25
	v_and_b32_e32 v14, 0xff, v26
	v_cmp_lt_u32_e64 s8, v5, v49
	v_cmp_ge_u32_e64 s10, v12, v33
	v_and_b32_e32 v9, 0xff, v9
	s_delay_alu instid0(VALU_DEP_4)
	v_cmp_le_u16_e64 s9, v13, v14
	s_and_b32 s8, s8, s9
	s_wait_alu 0xfffe
	s_or_b32 s8, s10, s8
	s_wait_alu 0xfffe
	v_cndmask_b32_e64 v13, v12, v5, s8
	v_cndmask_b32_e64 v14, v33, v49, s8
	;; [unrolled: 1-line block ×3, first 2 shown]
	s_delay_alu instid0(VALU_DEP_3) | instskip(NEXT) | instid1(VALU_DEP_3)
	v_add_nc_u32_e32 v15, 1, v13
	v_add_nc_u32_e32 v14, -1, v14
	s_delay_alu instid0(VALU_DEP_2) | instskip(NEXT) | instid1(VALU_DEP_2)
	v_cndmask_b32_e64 v5, v5, v15, s8
	v_min_u32_e32 v14, v15, v14
	v_cndmask_b32_e64 v12, v15, v12, s8
	s_delay_alu instid0(VALU_DEP_3) | instskip(NEXT) | instid1(VALU_DEP_3)
	v_cmp_lt_u32_e64 s9, v5, v49
	v_add_nc_u32_e32 v14, v11, v14
	s_delay_alu instid0(VALU_DEP_3) | instskip(SKIP_4) | instid1(VALU_DEP_2)
	v_cmp_ge_u32_e64 s11, v12, v33
	ds_load_u8 v14, v14
	s_wait_dscnt 0x0
	v_cndmask_b32_e64 v27, v14, v25, s8
	v_cndmask_b32_e64 v28, v26, v14, s8
	v_and_b32_e32 v14, 0xff, v27
	s_delay_alu instid0(VALU_DEP_2) | instskip(NEXT) | instid1(VALU_DEP_1)
	v_and_b32_e32 v16, 0xff, v28
	v_cmp_le_u16_e64 s10, v14, v16
	s_and_b32 s9, s9, s10
	s_wait_alu 0xfffe
	s_or_b32 s9, s11, s9
	s_wait_alu 0xfffe
	v_cndmask_b32_e64 v14, v12, v5, s9
	v_cndmask_b32_e64 v15, v33, v49, s9
	s_delay_alu instid0(VALU_DEP_2) | instskip(NEXT) | instid1(VALU_DEP_2)
	v_add_nc_u32_e32 v16, 1, v14
	v_add_nc_u32_e32 v15, -1, v15
	v_lshl_add_u32 v14, v14, 3, v10
	s_delay_alu instid0(VALU_DEP_3) | instskip(NEXT) | instid1(VALU_DEP_3)
	v_cndmask_b32_e64 v5, v5, v16, s9
	v_min_u32_e32 v15, v16, v15
	v_cndmask_b32_e64 v12, v16, v12, s9
	s_delay_alu instid0(VALU_DEP_3) | instskip(NEXT) | instid1(VALU_DEP_3)
	v_cmp_lt_u32_e64 s10, v5, v49
	v_add_nc_u32_e32 v15, v11, v15
	s_delay_alu instid0(VALU_DEP_3)
	v_cmp_ge_u32_e64 s12, v12, v33
	ds_load_u8 v15, v15
	s_wait_dscnt 0x0
	v_cndmask_b32_e64 v29, v15, v27, s9
	v_cndmask_b32_e64 v31, v28, v15, s9
	v_cndmask_b32_e64 v27, v27, v28, s9
	s_delay_alu instid0(VALU_DEP_3) | instskip(NEXT) | instid1(VALU_DEP_3)
	v_and_b32_e32 v15, 0xff, v29
	v_and_b32_e32 v17, 0xff, v31
	s_delay_alu instid0(VALU_DEP_3) | instskip(NEXT) | instid1(VALU_DEP_2)
	v_and_b32_e32 v27, 0xff, v27
	v_cmp_le_u16_e64 s11, v15, v17
	s_and_b32 s10, s10, s11
	s_wait_alu 0xfffe
	s_or_b32 s10, s12, s10
	s_wait_alu 0xfffe
	v_cndmask_b32_e64 v15, v12, v5, s10
	v_cndmask_b32_e64 v16, v33, v49, s10
	s_delay_alu instid0(VALU_DEP_2) | instskip(NEXT) | instid1(VALU_DEP_2)
	v_add_nc_u32_e32 v17, 1, v15
	v_add_nc_u32_e32 v16, -1, v16
	v_lshl_add_u32 v15, v15, 3, v10
	s_delay_alu instid0(VALU_DEP_3) | instskip(NEXT) | instid1(VALU_DEP_3)
	v_cndmask_b32_e64 v5, v5, v17, s10
	v_min_u32_e32 v16, v17, v16
	v_cndmask_b32_e64 v12, v17, v12, s10
	s_delay_alu instid0(VALU_DEP_3) | instskip(NEXT) | instid1(VALU_DEP_3)
	v_cmp_lt_u32_e64 s11, v5, v49
	v_add_nc_u32_e32 v16, v11, v16
	s_delay_alu instid0(VALU_DEP_3)
	v_cmp_ge_u32_e64 s13, v12, v33
	ds_load_u8 v16, v16
	s_wait_dscnt 0x0
	v_cndmask_b32_e64 v34, v16, v29, s10
	v_cndmask_b32_e64 v35, v31, v16, s10
	;; [unrolled: 1-line block ×3, first 2 shown]
	s_delay_alu instid0(VALU_DEP_3) | instskip(NEXT) | instid1(VALU_DEP_3)
	v_and_b32_e32 v16, 0xff, v34
	v_and_b32_e32 v18, 0xff, v35
	s_delay_alu instid0(VALU_DEP_1)
	v_cmp_le_u16_e64 s12, v16, v18
	s_and_b32 s11, s11, s12
	s_wait_alu 0xfffe
	s_or_b32 s11, s13, s11
	s_wait_alu 0xfffe
	v_cndmask_b32_e64 v16, v12, v5, s11
	v_cndmask_b32_e64 v17, v33, v49, s11
	;; [unrolled: 1-line block ×3, first 2 shown]
	s_delay_alu instid0(VALU_DEP_3) | instskip(NEXT) | instid1(VALU_DEP_3)
	v_add_nc_u32_e32 v18, 1, v16
	v_add_nc_u32_e32 v17, -1, v17
	s_delay_alu instid0(VALU_DEP_3) | instskip(NEXT) | instid1(VALU_DEP_3)
	v_and_b32_e32 v28, 0xff, v28
	v_cndmask_b32_e64 v5, v5, v18, s11
	s_delay_alu instid0(VALU_DEP_3) | instskip(SKIP_1) | instid1(VALU_DEP_3)
	v_min_u32_e32 v17, v18, v17
	v_cndmask_b32_e64 v12, v18, v12, s11
	v_cmp_lt_u32_e64 s12, v5, v49
	s_delay_alu instid0(VALU_DEP_3) | instskip(NEXT) | instid1(VALU_DEP_3)
	v_add_nc_u32_e32 v17, v11, v17
	v_cmp_ge_u32_e64 s14, v12, v33
	ds_load_u8 v17, v17
	s_wait_dscnt 0x0
	v_cndmask_b32_e64 v36, v17, v34, s11
	v_cndmask_b32_e64 v37, v35, v17, s11
	s_delay_alu instid0(VALU_DEP_2) | instskip(NEXT) | instid1(VALU_DEP_2)
	v_and_b32_e32 v17, 0xff, v36
	v_and_b32_e32 v19, 0xff, v37
	s_delay_alu instid0(VALU_DEP_1)
	v_cmp_le_u16_e64 s13, v17, v19
	s_and_b32 s12, s12, s13
	s_wait_alu 0xfffe
	s_or_b32 s12, s14, s12
	s_wait_alu 0xfffe
	v_cndmask_b32_e64 v17, v12, v5, s12
	v_cndmask_b32_e64 v18, v33, v49, s12
	s_delay_alu instid0(VALU_DEP_2) | instskip(NEXT) | instid1(VALU_DEP_2)
	v_add_nc_u32_e32 v19, 1, v17
	v_add_nc_u32_e32 v18, -1, v18
	v_lshl_add_u32 v52, v17, 3, v10
	s_delay_alu instid0(VALU_DEP_3) | instskip(NEXT) | instid1(VALU_DEP_3)
	v_cndmask_b32_e64 v48, v5, v19, s12
	v_min_u32_e32 v18, v19, v18
	v_cndmask_b32_e64 v50, v19, v12, s12
	v_lshl_add_u32 v12, v13, 3, v10
	v_lshl_add_u32 v19, v16, 3, v10
	v_cmp_lt_u32_e64 s13, v48, v49
	v_add_nc_u32_e32 v18, v11, v18
	v_cmp_ge_u32_e64 s15, v50, v33
	ds_load_u8 v18, v18
	s_wait_dscnt 0x0
	v_cndmask_b32_e64 v38, v18, v36, s12
	v_cndmask_b32_e64 v39, v37, v18, s12
	s_delay_alu instid0(VALU_DEP_2) | instskip(NEXT) | instid1(VALU_DEP_2)
	v_and_b32_e32 v5, 0xff, v38
	v_and_b32_e32 v18, 0xff, v39
	s_delay_alu instid0(VALU_DEP_1)
	v_cmp_le_u16_e64 s14, v5, v18
	s_and_b32 s13, s13, s14
	s_wait_alu 0xfffe
	s_or_b32 s13, s15, s13
	s_wait_alu 0xfffe
	v_cndmask_b32_e64 v18, v50, v48, s13
	v_cndmask_b32_e64 v5, v33, v49, s13
	s_delay_alu instid0(VALU_DEP_2) | instskip(NEXT) | instid1(VALU_DEP_2)
	v_add_nc_u32_e32 v51, 1, v18
	v_add_nc_u32_e32 v5, -1, v5
	v_lshl_add_u32 v53, v18, 3, v10
	s_delay_alu instid0(VALU_DEP_3) | instskip(NEXT) | instid1(VALU_DEP_3)
	v_cndmask_b32_e64 v25, v48, v51, s13
	v_min_u32_e32 v5, v51, v5
	v_cndmask_b32_e64 v31, v51, v50, s13
	s_delay_alu instid0(VALU_DEP_3) | instskip(NEXT) | instid1(VALU_DEP_3)
	v_cmp_lt_u32_e64 s7, v25, v49
	v_add_nc_u32_e32 v5, v11, v5
	s_delay_alu instid0(VALU_DEP_3)
	v_cmp_ge_u32_e64 s9, v31, v33
	v_cndmask_b32_e64 v33, v38, v39, s13
	ds_load_u8 v11, v5
	ds_load_b64 v[4:5], v4 offset:2048
	ds_load_b64 v[12:13], v12 offset:2048
	ds_load_b64 v[16:17], v14 offset:2048
	ds_load_b64 v[20:21], v15 offset:2048
	ds_load_b64 v[22:23], v19 offset:2048
	ds_load_b64 v[18:19], v52 offset:2048
	ds_load_b64 v[14:15], v53 offset:2048
	s_wait_dscnt 0x7
	v_cndmask_b32_e64 v52, v11, v38, s13
	v_cndmask_b32_e64 v11, v39, v11, s13
	s_delay_alu instid0(VALU_DEP_2) | instskip(NEXT) | instid1(VALU_DEP_2)
	v_and_b32_e32 v26, 0xff, v52
	v_and_b32_e32 v48, 0xff, v11
	s_delay_alu instid0(VALU_DEP_1) | instskip(SKIP_3) | instid1(VALU_DEP_2)
	v_cmp_le_u16_e64 s8, v26, v48
	v_lshlrev_b16 v26, 8, v29
	v_cndmask_b32_e64 v29, v36, v37, s12
	s_and_b32 s7, s7, s8
	v_or_b32_e32 v26, v27, v26
	s_wait_alu 0xfffe
	s_or_b32 s7, s9, s7
	v_lshlrev_b16 v29, 8, v29
	s_wait_alu 0xfffe
	v_cndmask_b32_e64 v25, v31, v25, s7
	v_cndmask_b32_e64 v11, v52, v11, s7
	v_and_b32_e32 v31, 0xff, v33
	v_lshlrev_b16 v33, 8, v24
	v_lshlrev_b32_e32 v26, 16, v26
	v_lshl_add_u32 v10, v25, 3, v10
	v_lshlrev_b16 v11, 8, v11
	s_delay_alu instid0(VALU_DEP_4) | instskip(SKIP_4) | instid1(VALU_DEP_3)
	v_or_b32_e32 v9, v9, v33
	ds_load_b64 v[24:25], v10 offset:2048
	v_or_b32_e32 v10, v31, v11
	v_or_b32_e32 v11, v28, v29
	v_and_b32_e32 v9, 0xffff, v9
	v_lshlrev_b32_e32 v10, 16, v10
	s_delay_alu instid0(VALU_DEP_3) | instskip(NEXT) | instid1(VALU_DEP_3)
	v_and_b32_e32 v11, 0xffff, v11
	v_or_b32_e32 v26, v9, v26
	s_delay_alu instid0(VALU_DEP_2)
	v_or_b32_e32 v27, v11, v10
.LBB98_116:
	s_wait_alu 0xfffe
	s_or_b32 exec_lo, exec_lo, s17
	; wave barrier
	s_wait_storecnt_dscnt 0x0
	s_barrier_signal -1
	s_barrier_wait -1
.LBB98_117:
	s_wait_alu 0xfffe
	s_or_b32 exec_lo, exec_lo, s16
	v_add_co_u32 v2, s7, v2, v8
	s_wait_alu 0xf1ff
	v_add_co_ci_u32_e64 v3, null, 0, v3, s7
	s_wait_storecnt 0x0
	s_wait_loadcnt_dscnt 0x0
	global_inv scope:SCOPE_SE
	v_add_co_u32 v2, s7, v2, v30
	s_wait_alu 0xf1ff
	v_add_co_ci_u32_e64 v3, null, 0, v3, s7
	; wave barrier
	s_and_saveexec_b32 s7, vcc_lo
	s_cbranch_execnz .LBB98_142
; %bb.118:
	s_wait_alu 0xfffe
	s_or_b32 exec_lo, exec_lo, s7
	s_and_saveexec_b32 s7, s0
	s_cbranch_execnz .LBB98_143
.LBB98_119:
	s_wait_alu 0xfffe
	s_or_b32 exec_lo, exec_lo, s7
	s_and_saveexec_b32 s7, s1
	s_cbranch_execnz .LBB98_144
.LBB98_120:
	s_wait_alu 0xfffe
	s_or_b32 exec_lo, exec_lo, s7
	s_and_saveexec_b32 s7, s2
	s_cbranch_execnz .LBB98_145
.LBB98_121:
	s_wait_alu 0xfffe
	s_or_b32 exec_lo, exec_lo, s7
	s_and_saveexec_b32 s7, s3
	s_cbranch_execnz .LBB98_146
.LBB98_122:
	s_wait_alu 0xfffe
	s_or_b32 exec_lo, exec_lo, s7
	s_and_saveexec_b32 s7, s4
	s_cbranch_execnz .LBB98_147
.LBB98_123:
	s_wait_alu 0xfffe
	s_or_b32 exec_lo, exec_lo, s7
	s_and_saveexec_b32 s7, s5
	s_cbranch_execnz .LBB98_148
.LBB98_124:
	s_wait_alu 0xfffe
	s_or_b32 exec_lo, exec_lo, s7
	s_and_saveexec_b32 s7, s6
	s_cbranch_execz .LBB98_126
.LBB98_125:
	v_lshrrev_b32_e32 v8, 24, v27
	flat_store_b8 v[2:3], v8 offset:7
.LBB98_126:
	s_wait_alu 0xfffe
	s_or_b32 exec_lo, exec_lo, s7
	v_add_co_u32 v0, s7, v6, v0
	s_wait_alu 0xf1ff
	v_add_co_ci_u32_e64 v1, null, v7, v1, s7
	s_delay_alu instid0(VALU_DEP_2) | instskip(SKIP_1) | instid1(VALU_DEP_2)
	v_add_co_u32 v0, s7, v0, v32
	s_wait_alu 0xf1ff
	v_add_co_ci_u32_e64 v1, null, 0, v1, s7
	; wave barrier
	s_and_saveexec_b32 s7, vcc_lo
	s_cbranch_execnz .LBB98_149
; %bb.127:
	s_wait_alu 0xfffe
	s_or_b32 exec_lo, exec_lo, s7
	s_and_saveexec_b32 s7, s0
	s_cbranch_execnz .LBB98_150
.LBB98_128:
	s_wait_alu 0xfffe
	s_or_b32 exec_lo, exec_lo, s7
	s_and_saveexec_b32 s0, s1
	s_cbranch_execnz .LBB98_151
.LBB98_129:
	s_wait_alu 0xfffe
	s_or_b32 exec_lo, exec_lo, s0
	s_and_saveexec_b32 s0, s2
	s_cbranch_execnz .LBB98_152
.LBB98_130:
	s_wait_alu 0xfffe
	s_or_b32 exec_lo, exec_lo, s0
	s_and_saveexec_b32 s0, s3
	s_cbranch_execnz .LBB98_153
.LBB98_131:
	s_wait_alu 0xfffe
	s_or_b32 exec_lo, exec_lo, s0
	s_and_saveexec_b32 s0, s4
	s_cbranch_execnz .LBB98_154
.LBB98_132:
	s_wait_alu 0xfffe
	s_or_b32 exec_lo, exec_lo, s0
	s_and_saveexec_b32 s0, s5
	s_cbranch_execnz .LBB98_155
.LBB98_133:
	s_wait_alu 0xfffe
	s_or_b32 exec_lo, exec_lo, s0
	s_and_saveexec_b32 s0, s6
	s_cbranch_execnz .LBB98_156
.LBB98_134:
	s_wait_alu 0xfffe
	s_or_b32 exec_lo, exec_lo, s0
	s_wait_loadcnt_dscnt 0x0
	s_setpc_b64 s[30:31]
.LBB98_135:
	flat_load_b64 v[4:5], v[28:29]
	s_wait_alu 0xfffe
	s_or_b32 exec_lo, exec_lo, s7
                                        ; implicit-def: $vgpr12_vgpr13
	s_and_saveexec_b32 s7, s0
	s_cbranch_execz .LBB98_18
.LBB98_136:
	flat_load_b64 v[12:13], v[28:29] offset:8
	s_wait_alu 0xfffe
	s_or_b32 exec_lo, exec_lo, s7
                                        ; implicit-def: $vgpr16_vgpr17
	s_and_saveexec_b32 s7, s1
	s_cbranch_execz .LBB98_19
.LBB98_137:
	flat_load_b64 v[16:17], v[28:29] offset:16
	s_wait_alu 0xfffe
	s_or_b32 exec_lo, exec_lo, s7
                                        ; implicit-def: $vgpr20_vgpr21
	s_and_saveexec_b32 s7, s2
	s_cbranch_execz .LBB98_20
.LBB98_138:
	flat_load_b64 v[20:21], v[28:29] offset:24
	s_wait_alu 0xfffe
	s_or_b32 exec_lo, exec_lo, s7
                                        ; implicit-def: $vgpr22_vgpr23
	s_and_saveexec_b32 s7, s3
	s_cbranch_execz .LBB98_21
.LBB98_139:
	flat_load_b64 v[22:23], v[28:29] offset:32
	s_wait_alu 0xfffe
	s_or_b32 exec_lo, exec_lo, s7
                                        ; implicit-def: $vgpr18_vgpr19
	s_and_saveexec_b32 s7, s4
	s_cbranch_execz .LBB98_22
.LBB98_140:
	flat_load_b64 v[18:19], v[28:29] offset:40
	s_wait_alu 0xfffe
	s_or_b32 exec_lo, exec_lo, s7
                                        ; implicit-def: $vgpr14_vgpr15
	s_and_saveexec_b32 s7, s5
	s_cbranch_execz .LBB98_23
.LBB98_141:
	flat_load_b64 v[14:15], v[28:29] offset:48
	s_wait_alu 0xfffe
	s_or_b32 exec_lo, exec_lo, s7
                                        ; implicit-def: $vgpr24_vgpr25
	s_and_saveexec_b32 s7, s6
	s_cbranch_execnz .LBB98_24
	s_branch .LBB98_25
.LBB98_142:
	flat_store_b8 v[2:3], v26
	s_wait_alu 0xfffe
	s_or_b32 exec_lo, exec_lo, s7
	s_and_saveexec_b32 s7, s0
	s_cbranch_execz .LBB98_119
.LBB98_143:
	v_lshrrev_b32_e32 v8, 8, v26
	flat_store_b8 v[2:3], v8 offset:1
	s_wait_alu 0xfffe
	s_or_b32 exec_lo, exec_lo, s7
	s_and_saveexec_b32 s7, s1
	s_cbranch_execz .LBB98_120
.LBB98_144:
	flat_store_d16_hi_b8 v[2:3], v26 offset:2
	s_wait_alu 0xfffe
	s_or_b32 exec_lo, exec_lo, s7
	s_and_saveexec_b32 s7, s2
	s_cbranch_execz .LBB98_121
.LBB98_145:
	v_lshrrev_b32_e32 v8, 24, v26
	flat_store_b8 v[2:3], v8 offset:3
	s_wait_alu 0xfffe
	s_or_b32 exec_lo, exec_lo, s7
	s_and_saveexec_b32 s7, s3
	s_cbranch_execz .LBB98_122
.LBB98_146:
	flat_store_b8 v[2:3], v27 offset:4
	s_wait_alu 0xfffe
	s_or_b32 exec_lo, exec_lo, s7
	s_and_saveexec_b32 s7, s4
	s_cbranch_execz .LBB98_123
.LBB98_147:
	v_lshrrev_b32_e32 v8, 8, v27
	flat_store_b8 v[2:3], v8 offset:5
	s_wait_alu 0xfffe
	s_or_b32 exec_lo, exec_lo, s7
	s_and_saveexec_b32 s7, s5
	s_cbranch_execz .LBB98_124
.LBB98_148:
	flat_store_d16_hi_b8 v[2:3], v27 offset:6
	s_wait_alu 0xfffe
	s_or_b32 exec_lo, exec_lo, s7
	s_and_saveexec_b32 s7, s6
	s_cbranch_execnz .LBB98_125
	s_branch .LBB98_126
.LBB98_149:
	flat_store_b64 v[0:1], v[4:5]
	s_wait_alu 0xfffe
	s_or_b32 exec_lo, exec_lo, s7
	s_and_saveexec_b32 s7, s0
	s_cbranch_execz .LBB98_128
.LBB98_150:
	flat_store_b64 v[0:1], v[12:13] offset:8
	s_wait_alu 0xfffe
	s_or_b32 exec_lo, exec_lo, s7
	s_and_saveexec_b32 s0, s1
	s_cbranch_execz .LBB98_129
.LBB98_151:
	flat_store_b64 v[0:1], v[16:17] offset:16
	s_wait_alu 0xfffe
	s_or_b32 exec_lo, exec_lo, s0
	s_and_saveexec_b32 s0, s2
	s_cbranch_execz .LBB98_130
.LBB98_152:
	flat_store_b64 v[0:1], v[20:21] offset:24
	s_wait_alu 0xfffe
	s_or_b32 exec_lo, exec_lo, s0
	s_and_saveexec_b32 s0, s3
	s_cbranch_execz .LBB98_131
.LBB98_153:
	flat_store_b64 v[0:1], v[22:23] offset:32
	s_wait_alu 0xfffe
	s_or_b32 exec_lo, exec_lo, s0
	s_and_saveexec_b32 s0, s4
	s_cbranch_execz .LBB98_132
.LBB98_154:
	flat_store_b64 v[0:1], v[18:19] offset:40
	s_wait_alu 0xfffe
	s_or_b32 exec_lo, exec_lo, s0
	s_and_saveexec_b32 s0, s5
	s_cbranch_execz .LBB98_133
.LBB98_155:
	flat_store_b64 v[0:1], v[14:15] offset:48
	s_wait_alu 0xfffe
	s_or_b32 exec_lo, exec_lo, s0
	s_and_saveexec_b32 s0, s6
	s_cbranch_execz .LBB98_134
.LBB98_156:
	flat_store_b64 v[0:1], v[24:25] offset:56
	s_wait_alu 0xfffe
	s_or_b32 exec_lo, exec_lo, s0
	s_wait_loadcnt_dscnt 0x0
	s_setpc_b64 s[30:31]
.Lfunc_end98:
	.size	_ZN7rocprim17ROCPRIM_400000_NS6detail26segmented_warp_sort_helperINS1_20WarpSortHelperConfigILj16ELj8ELj256EEEhlLi256ELb1EvE4sortIPKhPhPKlPlEEvT_T0_T1_T2_jjjjRNS5_12storage_typeE, .Lfunc_end98-_ZN7rocprim17ROCPRIM_400000_NS6detail26segmented_warp_sort_helperINS1_20WarpSortHelperConfigILj16ELj8ELj256EEEhlLi256ELb1EvE4sortIPKhPhPKlPlEEvT_T0_T1_T2_jjjjRNS5_12storage_typeE
                                        ; -- End function
	.set .L_ZN7rocprim17ROCPRIM_400000_NS6detail26segmented_warp_sort_helperINS1_20WarpSortHelperConfigILj16ELj8ELj256EEEhlLi256ELb1EvE4sortIPKhPhPKlPlEEvT_T0_T1_T2_jjjjRNS5_12storage_typeE.num_vgpr, 71
	.set .L_ZN7rocprim17ROCPRIM_400000_NS6detail26segmented_warp_sort_helperINS1_20WarpSortHelperConfigILj16ELj8ELj256EEEhlLi256ELb1EvE4sortIPKhPhPKlPlEEvT_T0_T1_T2_jjjjRNS5_12storage_typeE.num_agpr, 0
	.set .L_ZN7rocprim17ROCPRIM_400000_NS6detail26segmented_warp_sort_helperINS1_20WarpSortHelperConfigILj16ELj8ELj256EEEhlLi256ELb1EvE4sortIPKhPhPKlPlEEvT_T0_T1_T2_jjjjRNS5_12storage_typeE.numbered_sgpr, 32
	.set .L_ZN7rocprim17ROCPRIM_400000_NS6detail26segmented_warp_sort_helperINS1_20WarpSortHelperConfigILj16ELj8ELj256EEEhlLi256ELb1EvE4sortIPKhPhPKlPlEEvT_T0_T1_T2_jjjjRNS5_12storage_typeE.num_named_barrier, 0
	.set .L_ZN7rocprim17ROCPRIM_400000_NS6detail26segmented_warp_sort_helperINS1_20WarpSortHelperConfigILj16ELj8ELj256EEEhlLi256ELb1EvE4sortIPKhPhPKlPlEEvT_T0_T1_T2_jjjjRNS5_12storage_typeE.private_seg_size, 0
	.set .L_ZN7rocprim17ROCPRIM_400000_NS6detail26segmented_warp_sort_helperINS1_20WarpSortHelperConfigILj16ELj8ELj256EEEhlLi256ELb1EvE4sortIPKhPhPKlPlEEvT_T0_T1_T2_jjjjRNS5_12storage_typeE.uses_vcc, 1
	.set .L_ZN7rocprim17ROCPRIM_400000_NS6detail26segmented_warp_sort_helperINS1_20WarpSortHelperConfigILj16ELj8ELj256EEEhlLi256ELb1EvE4sortIPKhPhPKlPlEEvT_T0_T1_T2_jjjjRNS5_12storage_typeE.uses_flat_scratch, 0
	.set .L_ZN7rocprim17ROCPRIM_400000_NS6detail26segmented_warp_sort_helperINS1_20WarpSortHelperConfigILj16ELj8ELj256EEEhlLi256ELb1EvE4sortIPKhPhPKlPlEEvT_T0_T1_T2_jjjjRNS5_12storage_typeE.has_dyn_sized_stack, 0
	.set .L_ZN7rocprim17ROCPRIM_400000_NS6detail26segmented_warp_sort_helperINS1_20WarpSortHelperConfigILj16ELj8ELj256EEEhlLi256ELb1EvE4sortIPKhPhPKlPlEEvT_T0_T1_T2_jjjjRNS5_12storage_typeE.has_recursion, 0
	.set .L_ZN7rocprim17ROCPRIM_400000_NS6detail26segmented_warp_sort_helperINS1_20WarpSortHelperConfigILj16ELj8ELj256EEEhlLi256ELb1EvE4sortIPKhPhPKlPlEEvT_T0_T1_T2_jjjjRNS5_12storage_typeE.has_indirect_call, 0
	.section	.AMDGPU.csdata,"",@progbits
; Function info:
; codeLenInByte = 24124
; TotalNumSgprs: 34
; NumVgprs: 71
; ScratchSize: 0
; MemoryBound: 0
	.section	.text._ZN7rocprim17ROCPRIM_400000_NS6detail17trampoline_kernelINS0_14default_configENS1_36segmented_radix_sort_config_selectorIhlEEZNS1_25segmented_radix_sort_implIS3_Lb1EPKhPhPKlPlN2at6native12_GLOBAL__N_18offset_tEEE10hipError_tPvRmT1_PNSt15iterator_traitsISK_E10value_typeET2_T3_PNSL_ISQ_E10value_typeET4_jRbjT5_SW_jjP12ihipStream_tbEUlT_E0_NS1_11comp_targetILNS1_3genE10ELNS1_11target_archE1201ELNS1_3gpuE5ELNS1_3repE0EEENS1_60segmented_radix_sort_warp_sort_medium_config_static_selectorELNS0_4arch9wavefront6targetE0EEEvSK_,"axG",@progbits,_ZN7rocprim17ROCPRIM_400000_NS6detail17trampoline_kernelINS0_14default_configENS1_36segmented_radix_sort_config_selectorIhlEEZNS1_25segmented_radix_sort_implIS3_Lb1EPKhPhPKlPlN2at6native12_GLOBAL__N_18offset_tEEE10hipError_tPvRmT1_PNSt15iterator_traitsISK_E10value_typeET2_T3_PNSL_ISQ_E10value_typeET4_jRbjT5_SW_jjP12ihipStream_tbEUlT_E0_NS1_11comp_targetILNS1_3genE10ELNS1_11target_archE1201ELNS1_3gpuE5ELNS1_3repE0EEENS1_60segmented_radix_sort_warp_sort_medium_config_static_selectorELNS0_4arch9wavefront6targetE0EEEvSK_,comdat
	.globl	_ZN7rocprim17ROCPRIM_400000_NS6detail17trampoline_kernelINS0_14default_configENS1_36segmented_radix_sort_config_selectorIhlEEZNS1_25segmented_radix_sort_implIS3_Lb1EPKhPhPKlPlN2at6native12_GLOBAL__N_18offset_tEEE10hipError_tPvRmT1_PNSt15iterator_traitsISK_E10value_typeET2_T3_PNSL_ISQ_E10value_typeET4_jRbjT5_SW_jjP12ihipStream_tbEUlT_E0_NS1_11comp_targetILNS1_3genE10ELNS1_11target_archE1201ELNS1_3gpuE5ELNS1_3repE0EEENS1_60segmented_radix_sort_warp_sort_medium_config_static_selectorELNS0_4arch9wavefront6targetE0EEEvSK_ ; -- Begin function _ZN7rocprim17ROCPRIM_400000_NS6detail17trampoline_kernelINS0_14default_configENS1_36segmented_radix_sort_config_selectorIhlEEZNS1_25segmented_radix_sort_implIS3_Lb1EPKhPhPKlPlN2at6native12_GLOBAL__N_18offset_tEEE10hipError_tPvRmT1_PNSt15iterator_traitsISK_E10value_typeET2_T3_PNSL_ISQ_E10value_typeET4_jRbjT5_SW_jjP12ihipStream_tbEUlT_E0_NS1_11comp_targetILNS1_3genE10ELNS1_11target_archE1201ELNS1_3gpuE5ELNS1_3repE0EEENS1_60segmented_radix_sort_warp_sort_medium_config_static_selectorELNS0_4arch9wavefront6targetE0EEEvSK_
	.p2align	8
	.type	_ZN7rocprim17ROCPRIM_400000_NS6detail17trampoline_kernelINS0_14default_configENS1_36segmented_radix_sort_config_selectorIhlEEZNS1_25segmented_radix_sort_implIS3_Lb1EPKhPhPKlPlN2at6native12_GLOBAL__N_18offset_tEEE10hipError_tPvRmT1_PNSt15iterator_traitsISK_E10value_typeET2_T3_PNSL_ISQ_E10value_typeET4_jRbjT5_SW_jjP12ihipStream_tbEUlT_E0_NS1_11comp_targetILNS1_3genE10ELNS1_11target_archE1201ELNS1_3gpuE5ELNS1_3repE0EEENS1_60segmented_radix_sort_warp_sort_medium_config_static_selectorELNS0_4arch9wavefront6targetE0EEEvSK_,@function
_ZN7rocprim17ROCPRIM_400000_NS6detail17trampoline_kernelINS0_14default_configENS1_36segmented_radix_sort_config_selectorIhlEEZNS1_25segmented_radix_sort_implIS3_Lb1EPKhPhPKlPlN2at6native12_GLOBAL__N_18offset_tEEE10hipError_tPvRmT1_PNSt15iterator_traitsISK_E10value_typeET2_T3_PNSL_ISQ_E10value_typeET4_jRbjT5_SW_jjP12ihipStream_tbEUlT_E0_NS1_11comp_targetILNS1_3genE10ELNS1_11target_archE1201ELNS1_3gpuE5ELNS1_3repE0EEENS1_60segmented_radix_sort_warp_sort_medium_config_static_selectorELNS0_4arch9wavefront6targetE0EEEvSK_: ; @_ZN7rocprim17ROCPRIM_400000_NS6detail17trampoline_kernelINS0_14default_configENS1_36segmented_radix_sort_config_selectorIhlEEZNS1_25segmented_radix_sort_implIS3_Lb1EPKhPhPKlPlN2at6native12_GLOBAL__N_18offset_tEEE10hipError_tPvRmT1_PNSt15iterator_traitsISK_E10value_typeET2_T3_PNSL_ISQ_E10value_typeET4_jRbjT5_SW_jjP12ihipStream_tbEUlT_E0_NS1_11comp_targetILNS1_3genE10ELNS1_11target_archE1201ELNS1_3gpuE5ELNS1_3repE0EEENS1_60segmented_radix_sort_warp_sort_medium_config_static_selectorELNS0_4arch9wavefront6targetE0EEEvSK_
; %bb.0:
	s_load_b32 s2, s[0:1], 0x64
	v_bfe_u32 v1, v0, 10, 10
	v_bfe_u32 v2, v0, 20, 10
	s_mov_b32 s32, 0
	s_wait_kmcnt 0x0
	s_lshr_b32 s3, s2, 16
	s_and_b32 s2, s2, 0xffff
	v_mad_u32_u24 v2, v2, s3, v1
	v_and_b32_e32 v1, 0x3ff, v0
	s_load_b32 s3, s[0:1], 0x34
	s_delay_alu instid0(VALU_DEP_1) | instskip(SKIP_2) | instid1(VALU_DEP_1)
	v_mad_co_u64_u32 v[1:2], null, v2, s2, v[1:2]
	s_mov_b32 s2, exec_lo
	v_lshrrev_b32_e32 v1, 4, v1
	v_lshl_add_u32 v1, ttmp9, 4, v1
	s_wait_kmcnt 0x0
	s_delay_alu instid0(VALU_DEP_1)
	v_cmpx_gt_u32_e64 s3, v1
	s_cbranch_execz .LBB99_6
; %bb.1:
	s_clause 0x1
	s_load_b64 s[2:3], s[0:1], 0x38
	s_load_b128 s[4:7], s[0:1], 0x40
	v_mov_b32_e32 v2, 0
	s_delay_alu instid0(VALU_DEP_1) | instskip(SKIP_1) | instid1(VALU_DEP_1)
	v_lshlrev_b64_e32 v[1:2], 2, v[1:2]
	s_wait_kmcnt 0x0
	v_add_co_u32 v1, vcc_lo, s2, v1
	s_delay_alu instid0(VALU_DEP_1) | instskip(SKIP_4) | instid1(VALU_DEP_2)
	v_add_co_ci_u32_e64 v2, null, s3, v2, vcc_lo
	global_load_b32 v1, v[1:2], off
	s_wait_loadcnt 0x0
	v_add_nc_u32_e32 v2, s5, v1
	v_add_nc_u32_e32 v1, s7, v1
	v_mul_lo_u32 v40, v2, s4
	s_delay_alu instid0(VALU_DEP_2) | instskip(NEXT) | instid1(VALU_DEP_1)
	v_mul_lo_u32 v41, v1, s6
	v_cmp_gt_u32_e32 vcc_lo, v41, v40
	s_and_b32 exec_lo, exec_lo, vcc_lo
	s_cbranch_execz .LBB99_6
; %bb.2:
	s_clause 0x3
	s_load_b32 s2, s[0:1], 0x30
	s_load_b128 s[24:27], s[0:1], 0x20
	s_load_b256 s[36:43], s[0:1], 0x0
	s_load_b64 s[22:23], s[0:1], 0x50
	s_add_nc_u64 s[20:21], s[0:1], 0x58
	s_wait_kmcnt 0x0
	s_bitcmp0_b32 s2, 0
	s_mov_b32 s2, -1
	s_cbranch_scc0 .LBB99_4
; %bb.3:
	v_dual_mov_b32 v31, v0 :: v_dual_mov_b32 v42, v0
	v_dual_mov_b32 v0, s36 :: v_dual_mov_b32 v1, s37
	;; [unrolled: 1-line block ×7, first 2 shown]
	s_getpc_b64 s[0:1]
	s_wait_alu 0xfffe
	s_sext_i32_i16 s1, s1
	s_add_co_u32 s0, s0, _ZN7rocprim17ROCPRIM_400000_NS6detail26segmented_warp_sort_helperINS1_20WarpSortHelperConfigILj16ELj8ELj256EEEhlLi256ELb1EvE4sortIPKhPhPKlPlEEvT_T0_T1_T2_jjjjRNS5_12storage_typeE@rel32@lo+12
	s_wait_alu 0xfffe
	s_add_co_ci_u32 s1, s1, _ZN7rocprim17ROCPRIM_400000_NS6detail26segmented_warp_sort_helperINS1_20WarpSortHelperConfigILj16ELj8ELj256EEEhlLi256ELb1EvE4sortIPKhPhPKlPlEEvT_T0_T1_T2_jjjjRNS5_12storage_typeE@rel32@hi+24
	s_mov_b64 s[8:9], s[20:21]
	s_wait_alu 0xfffe
	s_swappc_b64 s[30:31], s[0:1]
	v_mov_b32_e32 v0, v42
	s_mov_b32 s2, 0
.LBB99_4:
	s_wait_alu 0xfffe
	s_and_not1_b32 vcc_lo, exec_lo, s2
	s_wait_alu 0xfffe
	s_cbranch_vccnz .LBB99_6
; %bb.5:
	v_dual_mov_b32 v31, v0 :: v_dual_mov_b32 v0, s36
	v_dual_mov_b32 v1, s37 :: v_dual_mov_b32 v2, s40
	;; [unrolled: 1-line block ×6, first 2 shown]
	v_mov_b32_e32 v11, s23
	s_getpc_b64 s[0:1]
	s_wait_alu 0xfffe
	s_sext_i32_i16 s1, s1
	s_add_co_u32 s0, s0, _ZN7rocprim17ROCPRIM_400000_NS6detail26segmented_warp_sort_helperINS1_20WarpSortHelperConfigILj16ELj8ELj256EEEhlLi256ELb1EvE4sortIPKhPhPKlPlEEvT_T0_T1_T2_jjjjRNS5_12storage_typeE@rel32@lo+12
	s_wait_alu 0xfffe
	s_add_co_ci_u32 s1, s1, _ZN7rocprim17ROCPRIM_400000_NS6detail26segmented_warp_sort_helperINS1_20WarpSortHelperConfigILj16ELj8ELj256EEEhlLi256ELb1EvE4sortIPKhPhPKlPlEEvT_T0_T1_T2_jjjjRNS5_12storage_typeE@rel32@hi+24
	s_mov_b64 s[8:9], s[20:21]
	s_wait_alu 0xfffe
	s_swappc_b64 s[30:31], s[0:1]
.LBB99_6:
	s_endpgm
	.section	.rodata,"a",@progbits
	.p2align	6, 0x0
	.amdhsa_kernel _ZN7rocprim17ROCPRIM_400000_NS6detail17trampoline_kernelINS0_14default_configENS1_36segmented_radix_sort_config_selectorIhlEEZNS1_25segmented_radix_sort_implIS3_Lb1EPKhPhPKlPlN2at6native12_GLOBAL__N_18offset_tEEE10hipError_tPvRmT1_PNSt15iterator_traitsISK_E10value_typeET2_T3_PNSL_ISQ_E10value_typeET4_jRbjT5_SW_jjP12ihipStream_tbEUlT_E0_NS1_11comp_targetILNS1_3genE10ELNS1_11target_archE1201ELNS1_3gpuE5ELNS1_3repE0EEENS1_60segmented_radix_sort_warp_sort_medium_config_static_selectorELNS0_4arch9wavefront6targetE0EEEvSK_
		.amdhsa_group_segment_fixed_size 18432
		.amdhsa_private_segment_fixed_size 0
		.amdhsa_kernarg_size 344
		.amdhsa_user_sgpr_count 2
		.amdhsa_user_sgpr_dispatch_ptr 0
		.amdhsa_user_sgpr_queue_ptr 0
		.amdhsa_user_sgpr_kernarg_segment_ptr 1
		.amdhsa_user_sgpr_dispatch_id 0
		.amdhsa_user_sgpr_private_segment_size 0
		.amdhsa_wavefront_size32 1
		.amdhsa_uses_dynamic_stack 0
		.amdhsa_enable_private_segment 0
		.amdhsa_system_sgpr_workgroup_id_x 1
		.amdhsa_system_sgpr_workgroup_id_y 1
		.amdhsa_system_sgpr_workgroup_id_z 0
		.amdhsa_system_sgpr_workgroup_info 0
		.amdhsa_system_vgpr_workitem_id 2
		.amdhsa_next_free_vgpr 71
		.amdhsa_next_free_sgpr 44
		.amdhsa_reserve_vcc 1
		.amdhsa_float_round_mode_32 0
		.amdhsa_float_round_mode_16_64 0
		.amdhsa_float_denorm_mode_32 3
		.amdhsa_float_denorm_mode_16_64 3
		.amdhsa_fp16_overflow 0
		.amdhsa_workgroup_processor_mode 1
		.amdhsa_memory_ordered 1
		.amdhsa_forward_progress 1
		.amdhsa_inst_pref_size 4
		.amdhsa_round_robin_scheduling 0
		.amdhsa_exception_fp_ieee_invalid_op 0
		.amdhsa_exception_fp_denorm_src 0
		.amdhsa_exception_fp_ieee_div_zero 0
		.amdhsa_exception_fp_ieee_overflow 0
		.amdhsa_exception_fp_ieee_underflow 0
		.amdhsa_exception_fp_ieee_inexact 0
		.amdhsa_exception_int_div_zero 0
	.end_amdhsa_kernel
	.section	.text._ZN7rocprim17ROCPRIM_400000_NS6detail17trampoline_kernelINS0_14default_configENS1_36segmented_radix_sort_config_selectorIhlEEZNS1_25segmented_radix_sort_implIS3_Lb1EPKhPhPKlPlN2at6native12_GLOBAL__N_18offset_tEEE10hipError_tPvRmT1_PNSt15iterator_traitsISK_E10value_typeET2_T3_PNSL_ISQ_E10value_typeET4_jRbjT5_SW_jjP12ihipStream_tbEUlT_E0_NS1_11comp_targetILNS1_3genE10ELNS1_11target_archE1201ELNS1_3gpuE5ELNS1_3repE0EEENS1_60segmented_radix_sort_warp_sort_medium_config_static_selectorELNS0_4arch9wavefront6targetE0EEEvSK_,"axG",@progbits,_ZN7rocprim17ROCPRIM_400000_NS6detail17trampoline_kernelINS0_14default_configENS1_36segmented_radix_sort_config_selectorIhlEEZNS1_25segmented_radix_sort_implIS3_Lb1EPKhPhPKlPlN2at6native12_GLOBAL__N_18offset_tEEE10hipError_tPvRmT1_PNSt15iterator_traitsISK_E10value_typeET2_T3_PNSL_ISQ_E10value_typeET4_jRbjT5_SW_jjP12ihipStream_tbEUlT_E0_NS1_11comp_targetILNS1_3genE10ELNS1_11target_archE1201ELNS1_3gpuE5ELNS1_3repE0EEENS1_60segmented_radix_sort_warp_sort_medium_config_static_selectorELNS0_4arch9wavefront6targetE0EEEvSK_,comdat
.Lfunc_end99:
	.size	_ZN7rocprim17ROCPRIM_400000_NS6detail17trampoline_kernelINS0_14default_configENS1_36segmented_radix_sort_config_selectorIhlEEZNS1_25segmented_radix_sort_implIS3_Lb1EPKhPhPKlPlN2at6native12_GLOBAL__N_18offset_tEEE10hipError_tPvRmT1_PNSt15iterator_traitsISK_E10value_typeET2_T3_PNSL_ISQ_E10value_typeET4_jRbjT5_SW_jjP12ihipStream_tbEUlT_E0_NS1_11comp_targetILNS1_3genE10ELNS1_11target_archE1201ELNS1_3gpuE5ELNS1_3repE0EEENS1_60segmented_radix_sort_warp_sort_medium_config_static_selectorELNS0_4arch9wavefront6targetE0EEEvSK_, .Lfunc_end99-_ZN7rocprim17ROCPRIM_400000_NS6detail17trampoline_kernelINS0_14default_configENS1_36segmented_radix_sort_config_selectorIhlEEZNS1_25segmented_radix_sort_implIS3_Lb1EPKhPhPKlPlN2at6native12_GLOBAL__N_18offset_tEEE10hipError_tPvRmT1_PNSt15iterator_traitsISK_E10value_typeET2_T3_PNSL_ISQ_E10value_typeET4_jRbjT5_SW_jjP12ihipStream_tbEUlT_E0_NS1_11comp_targetILNS1_3genE10ELNS1_11target_archE1201ELNS1_3gpuE5ELNS1_3repE0EEENS1_60segmented_radix_sort_warp_sort_medium_config_static_selectorELNS0_4arch9wavefront6targetE0EEEvSK_
                                        ; -- End function
	.set _ZN7rocprim17ROCPRIM_400000_NS6detail17trampoline_kernelINS0_14default_configENS1_36segmented_radix_sort_config_selectorIhlEEZNS1_25segmented_radix_sort_implIS3_Lb1EPKhPhPKlPlN2at6native12_GLOBAL__N_18offset_tEEE10hipError_tPvRmT1_PNSt15iterator_traitsISK_E10value_typeET2_T3_PNSL_ISQ_E10value_typeET4_jRbjT5_SW_jjP12ihipStream_tbEUlT_E0_NS1_11comp_targetILNS1_3genE10ELNS1_11target_archE1201ELNS1_3gpuE5ELNS1_3repE0EEENS1_60segmented_radix_sort_warp_sort_medium_config_static_selectorELNS0_4arch9wavefront6targetE0EEEvSK_.num_vgpr, max(43, .L_ZN7rocprim17ROCPRIM_400000_NS6detail26segmented_warp_sort_helperINS1_20WarpSortHelperConfigILj16ELj8ELj256EEEhlLi256ELb1EvE4sortIPKhPhPKlPlEEvT_T0_T1_T2_jjjjRNS5_12storage_typeE.num_vgpr)
	.set _ZN7rocprim17ROCPRIM_400000_NS6detail17trampoline_kernelINS0_14default_configENS1_36segmented_radix_sort_config_selectorIhlEEZNS1_25segmented_radix_sort_implIS3_Lb1EPKhPhPKlPlN2at6native12_GLOBAL__N_18offset_tEEE10hipError_tPvRmT1_PNSt15iterator_traitsISK_E10value_typeET2_T3_PNSL_ISQ_E10value_typeET4_jRbjT5_SW_jjP12ihipStream_tbEUlT_E0_NS1_11comp_targetILNS1_3genE10ELNS1_11target_archE1201ELNS1_3gpuE5ELNS1_3repE0EEENS1_60segmented_radix_sort_warp_sort_medium_config_static_selectorELNS0_4arch9wavefront6targetE0EEEvSK_.num_agpr, max(0, .L_ZN7rocprim17ROCPRIM_400000_NS6detail26segmented_warp_sort_helperINS1_20WarpSortHelperConfigILj16ELj8ELj256EEEhlLi256ELb1EvE4sortIPKhPhPKlPlEEvT_T0_T1_T2_jjjjRNS5_12storage_typeE.num_agpr)
	.set _ZN7rocprim17ROCPRIM_400000_NS6detail17trampoline_kernelINS0_14default_configENS1_36segmented_radix_sort_config_selectorIhlEEZNS1_25segmented_radix_sort_implIS3_Lb1EPKhPhPKlPlN2at6native12_GLOBAL__N_18offset_tEEE10hipError_tPvRmT1_PNSt15iterator_traitsISK_E10value_typeET2_T3_PNSL_ISQ_E10value_typeET4_jRbjT5_SW_jjP12ihipStream_tbEUlT_E0_NS1_11comp_targetILNS1_3genE10ELNS1_11target_archE1201ELNS1_3gpuE5ELNS1_3repE0EEENS1_60segmented_radix_sort_warp_sort_medium_config_static_selectorELNS0_4arch9wavefront6targetE0EEEvSK_.numbered_sgpr, max(44, .L_ZN7rocprim17ROCPRIM_400000_NS6detail26segmented_warp_sort_helperINS1_20WarpSortHelperConfigILj16ELj8ELj256EEEhlLi256ELb1EvE4sortIPKhPhPKlPlEEvT_T0_T1_T2_jjjjRNS5_12storage_typeE.numbered_sgpr)
	.set _ZN7rocprim17ROCPRIM_400000_NS6detail17trampoline_kernelINS0_14default_configENS1_36segmented_radix_sort_config_selectorIhlEEZNS1_25segmented_radix_sort_implIS3_Lb1EPKhPhPKlPlN2at6native12_GLOBAL__N_18offset_tEEE10hipError_tPvRmT1_PNSt15iterator_traitsISK_E10value_typeET2_T3_PNSL_ISQ_E10value_typeET4_jRbjT5_SW_jjP12ihipStream_tbEUlT_E0_NS1_11comp_targetILNS1_3genE10ELNS1_11target_archE1201ELNS1_3gpuE5ELNS1_3repE0EEENS1_60segmented_radix_sort_warp_sort_medium_config_static_selectorELNS0_4arch9wavefront6targetE0EEEvSK_.num_named_barrier, max(0, .L_ZN7rocprim17ROCPRIM_400000_NS6detail26segmented_warp_sort_helperINS1_20WarpSortHelperConfigILj16ELj8ELj256EEEhlLi256ELb1EvE4sortIPKhPhPKlPlEEvT_T0_T1_T2_jjjjRNS5_12storage_typeE.num_named_barrier)
	.set _ZN7rocprim17ROCPRIM_400000_NS6detail17trampoline_kernelINS0_14default_configENS1_36segmented_radix_sort_config_selectorIhlEEZNS1_25segmented_radix_sort_implIS3_Lb1EPKhPhPKlPlN2at6native12_GLOBAL__N_18offset_tEEE10hipError_tPvRmT1_PNSt15iterator_traitsISK_E10value_typeET2_T3_PNSL_ISQ_E10value_typeET4_jRbjT5_SW_jjP12ihipStream_tbEUlT_E0_NS1_11comp_targetILNS1_3genE10ELNS1_11target_archE1201ELNS1_3gpuE5ELNS1_3repE0EEENS1_60segmented_radix_sort_warp_sort_medium_config_static_selectorELNS0_4arch9wavefront6targetE0EEEvSK_.private_seg_size, 0+max(.L_ZN7rocprim17ROCPRIM_400000_NS6detail26segmented_warp_sort_helperINS1_20WarpSortHelperConfigILj16ELj8ELj256EEEhlLi256ELb1EvE4sortIPKhPhPKlPlEEvT_T0_T1_T2_jjjjRNS5_12storage_typeE.private_seg_size)
	.set _ZN7rocprim17ROCPRIM_400000_NS6detail17trampoline_kernelINS0_14default_configENS1_36segmented_radix_sort_config_selectorIhlEEZNS1_25segmented_radix_sort_implIS3_Lb1EPKhPhPKlPlN2at6native12_GLOBAL__N_18offset_tEEE10hipError_tPvRmT1_PNSt15iterator_traitsISK_E10value_typeET2_T3_PNSL_ISQ_E10value_typeET4_jRbjT5_SW_jjP12ihipStream_tbEUlT_E0_NS1_11comp_targetILNS1_3genE10ELNS1_11target_archE1201ELNS1_3gpuE5ELNS1_3repE0EEENS1_60segmented_radix_sort_warp_sort_medium_config_static_selectorELNS0_4arch9wavefront6targetE0EEEvSK_.uses_vcc, or(1, .L_ZN7rocprim17ROCPRIM_400000_NS6detail26segmented_warp_sort_helperINS1_20WarpSortHelperConfigILj16ELj8ELj256EEEhlLi256ELb1EvE4sortIPKhPhPKlPlEEvT_T0_T1_T2_jjjjRNS5_12storage_typeE.uses_vcc)
	.set _ZN7rocprim17ROCPRIM_400000_NS6detail17trampoline_kernelINS0_14default_configENS1_36segmented_radix_sort_config_selectorIhlEEZNS1_25segmented_radix_sort_implIS3_Lb1EPKhPhPKlPlN2at6native12_GLOBAL__N_18offset_tEEE10hipError_tPvRmT1_PNSt15iterator_traitsISK_E10value_typeET2_T3_PNSL_ISQ_E10value_typeET4_jRbjT5_SW_jjP12ihipStream_tbEUlT_E0_NS1_11comp_targetILNS1_3genE10ELNS1_11target_archE1201ELNS1_3gpuE5ELNS1_3repE0EEENS1_60segmented_radix_sort_warp_sort_medium_config_static_selectorELNS0_4arch9wavefront6targetE0EEEvSK_.uses_flat_scratch, or(0, .L_ZN7rocprim17ROCPRIM_400000_NS6detail26segmented_warp_sort_helperINS1_20WarpSortHelperConfigILj16ELj8ELj256EEEhlLi256ELb1EvE4sortIPKhPhPKlPlEEvT_T0_T1_T2_jjjjRNS5_12storage_typeE.uses_flat_scratch)
	.set _ZN7rocprim17ROCPRIM_400000_NS6detail17trampoline_kernelINS0_14default_configENS1_36segmented_radix_sort_config_selectorIhlEEZNS1_25segmented_radix_sort_implIS3_Lb1EPKhPhPKlPlN2at6native12_GLOBAL__N_18offset_tEEE10hipError_tPvRmT1_PNSt15iterator_traitsISK_E10value_typeET2_T3_PNSL_ISQ_E10value_typeET4_jRbjT5_SW_jjP12ihipStream_tbEUlT_E0_NS1_11comp_targetILNS1_3genE10ELNS1_11target_archE1201ELNS1_3gpuE5ELNS1_3repE0EEENS1_60segmented_radix_sort_warp_sort_medium_config_static_selectorELNS0_4arch9wavefront6targetE0EEEvSK_.has_dyn_sized_stack, or(0, .L_ZN7rocprim17ROCPRIM_400000_NS6detail26segmented_warp_sort_helperINS1_20WarpSortHelperConfigILj16ELj8ELj256EEEhlLi256ELb1EvE4sortIPKhPhPKlPlEEvT_T0_T1_T2_jjjjRNS5_12storage_typeE.has_dyn_sized_stack)
	.set _ZN7rocprim17ROCPRIM_400000_NS6detail17trampoline_kernelINS0_14default_configENS1_36segmented_radix_sort_config_selectorIhlEEZNS1_25segmented_radix_sort_implIS3_Lb1EPKhPhPKlPlN2at6native12_GLOBAL__N_18offset_tEEE10hipError_tPvRmT1_PNSt15iterator_traitsISK_E10value_typeET2_T3_PNSL_ISQ_E10value_typeET4_jRbjT5_SW_jjP12ihipStream_tbEUlT_E0_NS1_11comp_targetILNS1_3genE10ELNS1_11target_archE1201ELNS1_3gpuE5ELNS1_3repE0EEENS1_60segmented_radix_sort_warp_sort_medium_config_static_selectorELNS0_4arch9wavefront6targetE0EEEvSK_.has_recursion, or(0, .L_ZN7rocprim17ROCPRIM_400000_NS6detail26segmented_warp_sort_helperINS1_20WarpSortHelperConfigILj16ELj8ELj256EEEhlLi256ELb1EvE4sortIPKhPhPKlPlEEvT_T0_T1_T2_jjjjRNS5_12storage_typeE.has_recursion)
	.set _ZN7rocprim17ROCPRIM_400000_NS6detail17trampoline_kernelINS0_14default_configENS1_36segmented_radix_sort_config_selectorIhlEEZNS1_25segmented_radix_sort_implIS3_Lb1EPKhPhPKlPlN2at6native12_GLOBAL__N_18offset_tEEE10hipError_tPvRmT1_PNSt15iterator_traitsISK_E10value_typeET2_T3_PNSL_ISQ_E10value_typeET4_jRbjT5_SW_jjP12ihipStream_tbEUlT_E0_NS1_11comp_targetILNS1_3genE10ELNS1_11target_archE1201ELNS1_3gpuE5ELNS1_3repE0EEENS1_60segmented_radix_sort_warp_sort_medium_config_static_selectorELNS0_4arch9wavefront6targetE0EEEvSK_.has_indirect_call, or(0, .L_ZN7rocprim17ROCPRIM_400000_NS6detail26segmented_warp_sort_helperINS1_20WarpSortHelperConfigILj16ELj8ELj256EEEhlLi256ELb1EvE4sortIPKhPhPKlPlEEvT_T0_T1_T2_jjjjRNS5_12storage_typeE.has_indirect_call)
	.section	.AMDGPU.csdata,"",@progbits
; Kernel info:
; codeLenInByte = 512
; TotalNumSgprs: 46
; NumVgprs: 71
; ScratchSize: 0
; MemoryBound: 0
; FloatMode: 240
; IeeeMode: 1
; LDSByteSize: 18432 bytes/workgroup (compile time only)
; SGPRBlocks: 0
; VGPRBlocks: 8
; NumSGPRsForWavesPerEU: 46
; NumVGPRsForWavesPerEU: 71
; Occupancy: 14
; WaveLimiterHint : 0
; COMPUTE_PGM_RSRC2:SCRATCH_EN: 0
; COMPUTE_PGM_RSRC2:USER_SGPR: 2
; COMPUTE_PGM_RSRC2:TRAP_HANDLER: 0
; COMPUTE_PGM_RSRC2:TGID_X_EN: 1
; COMPUTE_PGM_RSRC2:TGID_Y_EN: 1
; COMPUTE_PGM_RSRC2:TGID_Z_EN: 0
; COMPUTE_PGM_RSRC2:TIDIG_COMP_CNT: 2
	.section	.text._ZN7rocprim17ROCPRIM_400000_NS6detail17trampoline_kernelINS0_14default_configENS1_36segmented_radix_sort_config_selectorIhlEEZNS1_25segmented_radix_sort_implIS3_Lb1EPKhPhPKlPlN2at6native12_GLOBAL__N_18offset_tEEE10hipError_tPvRmT1_PNSt15iterator_traitsISK_E10value_typeET2_T3_PNSL_ISQ_E10value_typeET4_jRbjT5_SW_jjP12ihipStream_tbEUlT_E0_NS1_11comp_targetILNS1_3genE10ELNS1_11target_archE1200ELNS1_3gpuE4ELNS1_3repE0EEENS1_60segmented_radix_sort_warp_sort_medium_config_static_selectorELNS0_4arch9wavefront6targetE0EEEvSK_,"axG",@progbits,_ZN7rocprim17ROCPRIM_400000_NS6detail17trampoline_kernelINS0_14default_configENS1_36segmented_radix_sort_config_selectorIhlEEZNS1_25segmented_radix_sort_implIS3_Lb1EPKhPhPKlPlN2at6native12_GLOBAL__N_18offset_tEEE10hipError_tPvRmT1_PNSt15iterator_traitsISK_E10value_typeET2_T3_PNSL_ISQ_E10value_typeET4_jRbjT5_SW_jjP12ihipStream_tbEUlT_E0_NS1_11comp_targetILNS1_3genE10ELNS1_11target_archE1200ELNS1_3gpuE4ELNS1_3repE0EEENS1_60segmented_radix_sort_warp_sort_medium_config_static_selectorELNS0_4arch9wavefront6targetE0EEEvSK_,comdat
	.globl	_ZN7rocprim17ROCPRIM_400000_NS6detail17trampoline_kernelINS0_14default_configENS1_36segmented_radix_sort_config_selectorIhlEEZNS1_25segmented_radix_sort_implIS3_Lb1EPKhPhPKlPlN2at6native12_GLOBAL__N_18offset_tEEE10hipError_tPvRmT1_PNSt15iterator_traitsISK_E10value_typeET2_T3_PNSL_ISQ_E10value_typeET4_jRbjT5_SW_jjP12ihipStream_tbEUlT_E0_NS1_11comp_targetILNS1_3genE10ELNS1_11target_archE1200ELNS1_3gpuE4ELNS1_3repE0EEENS1_60segmented_radix_sort_warp_sort_medium_config_static_selectorELNS0_4arch9wavefront6targetE0EEEvSK_ ; -- Begin function _ZN7rocprim17ROCPRIM_400000_NS6detail17trampoline_kernelINS0_14default_configENS1_36segmented_radix_sort_config_selectorIhlEEZNS1_25segmented_radix_sort_implIS3_Lb1EPKhPhPKlPlN2at6native12_GLOBAL__N_18offset_tEEE10hipError_tPvRmT1_PNSt15iterator_traitsISK_E10value_typeET2_T3_PNSL_ISQ_E10value_typeET4_jRbjT5_SW_jjP12ihipStream_tbEUlT_E0_NS1_11comp_targetILNS1_3genE10ELNS1_11target_archE1200ELNS1_3gpuE4ELNS1_3repE0EEENS1_60segmented_radix_sort_warp_sort_medium_config_static_selectorELNS0_4arch9wavefront6targetE0EEEvSK_
	.p2align	8
	.type	_ZN7rocprim17ROCPRIM_400000_NS6detail17trampoline_kernelINS0_14default_configENS1_36segmented_radix_sort_config_selectorIhlEEZNS1_25segmented_radix_sort_implIS3_Lb1EPKhPhPKlPlN2at6native12_GLOBAL__N_18offset_tEEE10hipError_tPvRmT1_PNSt15iterator_traitsISK_E10value_typeET2_T3_PNSL_ISQ_E10value_typeET4_jRbjT5_SW_jjP12ihipStream_tbEUlT_E0_NS1_11comp_targetILNS1_3genE10ELNS1_11target_archE1200ELNS1_3gpuE4ELNS1_3repE0EEENS1_60segmented_radix_sort_warp_sort_medium_config_static_selectorELNS0_4arch9wavefront6targetE0EEEvSK_,@function
_ZN7rocprim17ROCPRIM_400000_NS6detail17trampoline_kernelINS0_14default_configENS1_36segmented_radix_sort_config_selectorIhlEEZNS1_25segmented_radix_sort_implIS3_Lb1EPKhPhPKlPlN2at6native12_GLOBAL__N_18offset_tEEE10hipError_tPvRmT1_PNSt15iterator_traitsISK_E10value_typeET2_T3_PNSL_ISQ_E10value_typeET4_jRbjT5_SW_jjP12ihipStream_tbEUlT_E0_NS1_11comp_targetILNS1_3genE10ELNS1_11target_archE1200ELNS1_3gpuE4ELNS1_3repE0EEENS1_60segmented_radix_sort_warp_sort_medium_config_static_selectorELNS0_4arch9wavefront6targetE0EEEvSK_: ; @_ZN7rocprim17ROCPRIM_400000_NS6detail17trampoline_kernelINS0_14default_configENS1_36segmented_radix_sort_config_selectorIhlEEZNS1_25segmented_radix_sort_implIS3_Lb1EPKhPhPKlPlN2at6native12_GLOBAL__N_18offset_tEEE10hipError_tPvRmT1_PNSt15iterator_traitsISK_E10value_typeET2_T3_PNSL_ISQ_E10value_typeET4_jRbjT5_SW_jjP12ihipStream_tbEUlT_E0_NS1_11comp_targetILNS1_3genE10ELNS1_11target_archE1200ELNS1_3gpuE4ELNS1_3repE0EEENS1_60segmented_radix_sort_warp_sort_medium_config_static_selectorELNS0_4arch9wavefront6targetE0EEEvSK_
; %bb.0:
	.section	.rodata,"a",@progbits
	.p2align	6, 0x0
	.amdhsa_kernel _ZN7rocprim17ROCPRIM_400000_NS6detail17trampoline_kernelINS0_14default_configENS1_36segmented_radix_sort_config_selectorIhlEEZNS1_25segmented_radix_sort_implIS3_Lb1EPKhPhPKlPlN2at6native12_GLOBAL__N_18offset_tEEE10hipError_tPvRmT1_PNSt15iterator_traitsISK_E10value_typeET2_T3_PNSL_ISQ_E10value_typeET4_jRbjT5_SW_jjP12ihipStream_tbEUlT_E0_NS1_11comp_targetILNS1_3genE10ELNS1_11target_archE1200ELNS1_3gpuE4ELNS1_3repE0EEENS1_60segmented_radix_sort_warp_sort_medium_config_static_selectorELNS0_4arch9wavefront6targetE0EEEvSK_
		.amdhsa_group_segment_fixed_size 0
		.amdhsa_private_segment_fixed_size 0
		.amdhsa_kernarg_size 88
		.amdhsa_user_sgpr_count 2
		.amdhsa_user_sgpr_dispatch_ptr 0
		.amdhsa_user_sgpr_queue_ptr 0
		.amdhsa_user_sgpr_kernarg_segment_ptr 1
		.amdhsa_user_sgpr_dispatch_id 0
		.amdhsa_user_sgpr_private_segment_size 0
		.amdhsa_wavefront_size32 1
		.amdhsa_uses_dynamic_stack 0
		.amdhsa_enable_private_segment 0
		.amdhsa_system_sgpr_workgroup_id_x 1
		.amdhsa_system_sgpr_workgroup_id_y 0
		.amdhsa_system_sgpr_workgroup_id_z 0
		.amdhsa_system_sgpr_workgroup_info 0
		.amdhsa_system_vgpr_workitem_id 0
		.amdhsa_next_free_vgpr 1
		.amdhsa_next_free_sgpr 1
		.amdhsa_reserve_vcc 0
		.amdhsa_float_round_mode_32 0
		.amdhsa_float_round_mode_16_64 0
		.amdhsa_float_denorm_mode_32 3
		.amdhsa_float_denorm_mode_16_64 3
		.amdhsa_fp16_overflow 0
		.amdhsa_workgroup_processor_mode 1
		.amdhsa_memory_ordered 1
		.amdhsa_forward_progress 1
		.amdhsa_inst_pref_size 0
		.amdhsa_round_robin_scheduling 0
		.amdhsa_exception_fp_ieee_invalid_op 0
		.amdhsa_exception_fp_denorm_src 0
		.amdhsa_exception_fp_ieee_div_zero 0
		.amdhsa_exception_fp_ieee_overflow 0
		.amdhsa_exception_fp_ieee_underflow 0
		.amdhsa_exception_fp_ieee_inexact 0
		.amdhsa_exception_int_div_zero 0
	.end_amdhsa_kernel
	.section	.text._ZN7rocprim17ROCPRIM_400000_NS6detail17trampoline_kernelINS0_14default_configENS1_36segmented_radix_sort_config_selectorIhlEEZNS1_25segmented_radix_sort_implIS3_Lb1EPKhPhPKlPlN2at6native12_GLOBAL__N_18offset_tEEE10hipError_tPvRmT1_PNSt15iterator_traitsISK_E10value_typeET2_T3_PNSL_ISQ_E10value_typeET4_jRbjT5_SW_jjP12ihipStream_tbEUlT_E0_NS1_11comp_targetILNS1_3genE10ELNS1_11target_archE1200ELNS1_3gpuE4ELNS1_3repE0EEENS1_60segmented_radix_sort_warp_sort_medium_config_static_selectorELNS0_4arch9wavefront6targetE0EEEvSK_,"axG",@progbits,_ZN7rocprim17ROCPRIM_400000_NS6detail17trampoline_kernelINS0_14default_configENS1_36segmented_radix_sort_config_selectorIhlEEZNS1_25segmented_radix_sort_implIS3_Lb1EPKhPhPKlPlN2at6native12_GLOBAL__N_18offset_tEEE10hipError_tPvRmT1_PNSt15iterator_traitsISK_E10value_typeET2_T3_PNSL_ISQ_E10value_typeET4_jRbjT5_SW_jjP12ihipStream_tbEUlT_E0_NS1_11comp_targetILNS1_3genE10ELNS1_11target_archE1200ELNS1_3gpuE4ELNS1_3repE0EEENS1_60segmented_radix_sort_warp_sort_medium_config_static_selectorELNS0_4arch9wavefront6targetE0EEEvSK_,comdat
.Lfunc_end100:
	.size	_ZN7rocprim17ROCPRIM_400000_NS6detail17trampoline_kernelINS0_14default_configENS1_36segmented_radix_sort_config_selectorIhlEEZNS1_25segmented_radix_sort_implIS3_Lb1EPKhPhPKlPlN2at6native12_GLOBAL__N_18offset_tEEE10hipError_tPvRmT1_PNSt15iterator_traitsISK_E10value_typeET2_T3_PNSL_ISQ_E10value_typeET4_jRbjT5_SW_jjP12ihipStream_tbEUlT_E0_NS1_11comp_targetILNS1_3genE10ELNS1_11target_archE1200ELNS1_3gpuE4ELNS1_3repE0EEENS1_60segmented_radix_sort_warp_sort_medium_config_static_selectorELNS0_4arch9wavefront6targetE0EEEvSK_, .Lfunc_end100-_ZN7rocprim17ROCPRIM_400000_NS6detail17trampoline_kernelINS0_14default_configENS1_36segmented_radix_sort_config_selectorIhlEEZNS1_25segmented_radix_sort_implIS3_Lb1EPKhPhPKlPlN2at6native12_GLOBAL__N_18offset_tEEE10hipError_tPvRmT1_PNSt15iterator_traitsISK_E10value_typeET2_T3_PNSL_ISQ_E10value_typeET4_jRbjT5_SW_jjP12ihipStream_tbEUlT_E0_NS1_11comp_targetILNS1_3genE10ELNS1_11target_archE1200ELNS1_3gpuE4ELNS1_3repE0EEENS1_60segmented_radix_sort_warp_sort_medium_config_static_selectorELNS0_4arch9wavefront6targetE0EEEvSK_
                                        ; -- End function
	.set _ZN7rocprim17ROCPRIM_400000_NS6detail17trampoline_kernelINS0_14default_configENS1_36segmented_radix_sort_config_selectorIhlEEZNS1_25segmented_radix_sort_implIS3_Lb1EPKhPhPKlPlN2at6native12_GLOBAL__N_18offset_tEEE10hipError_tPvRmT1_PNSt15iterator_traitsISK_E10value_typeET2_T3_PNSL_ISQ_E10value_typeET4_jRbjT5_SW_jjP12ihipStream_tbEUlT_E0_NS1_11comp_targetILNS1_3genE10ELNS1_11target_archE1200ELNS1_3gpuE4ELNS1_3repE0EEENS1_60segmented_radix_sort_warp_sort_medium_config_static_selectorELNS0_4arch9wavefront6targetE0EEEvSK_.num_vgpr, 0
	.set _ZN7rocprim17ROCPRIM_400000_NS6detail17trampoline_kernelINS0_14default_configENS1_36segmented_radix_sort_config_selectorIhlEEZNS1_25segmented_radix_sort_implIS3_Lb1EPKhPhPKlPlN2at6native12_GLOBAL__N_18offset_tEEE10hipError_tPvRmT1_PNSt15iterator_traitsISK_E10value_typeET2_T3_PNSL_ISQ_E10value_typeET4_jRbjT5_SW_jjP12ihipStream_tbEUlT_E0_NS1_11comp_targetILNS1_3genE10ELNS1_11target_archE1200ELNS1_3gpuE4ELNS1_3repE0EEENS1_60segmented_radix_sort_warp_sort_medium_config_static_selectorELNS0_4arch9wavefront6targetE0EEEvSK_.num_agpr, 0
	.set _ZN7rocprim17ROCPRIM_400000_NS6detail17trampoline_kernelINS0_14default_configENS1_36segmented_radix_sort_config_selectorIhlEEZNS1_25segmented_radix_sort_implIS3_Lb1EPKhPhPKlPlN2at6native12_GLOBAL__N_18offset_tEEE10hipError_tPvRmT1_PNSt15iterator_traitsISK_E10value_typeET2_T3_PNSL_ISQ_E10value_typeET4_jRbjT5_SW_jjP12ihipStream_tbEUlT_E0_NS1_11comp_targetILNS1_3genE10ELNS1_11target_archE1200ELNS1_3gpuE4ELNS1_3repE0EEENS1_60segmented_radix_sort_warp_sort_medium_config_static_selectorELNS0_4arch9wavefront6targetE0EEEvSK_.numbered_sgpr, 0
	.set _ZN7rocprim17ROCPRIM_400000_NS6detail17trampoline_kernelINS0_14default_configENS1_36segmented_radix_sort_config_selectorIhlEEZNS1_25segmented_radix_sort_implIS3_Lb1EPKhPhPKlPlN2at6native12_GLOBAL__N_18offset_tEEE10hipError_tPvRmT1_PNSt15iterator_traitsISK_E10value_typeET2_T3_PNSL_ISQ_E10value_typeET4_jRbjT5_SW_jjP12ihipStream_tbEUlT_E0_NS1_11comp_targetILNS1_3genE10ELNS1_11target_archE1200ELNS1_3gpuE4ELNS1_3repE0EEENS1_60segmented_radix_sort_warp_sort_medium_config_static_selectorELNS0_4arch9wavefront6targetE0EEEvSK_.num_named_barrier, 0
	.set _ZN7rocprim17ROCPRIM_400000_NS6detail17trampoline_kernelINS0_14default_configENS1_36segmented_radix_sort_config_selectorIhlEEZNS1_25segmented_radix_sort_implIS3_Lb1EPKhPhPKlPlN2at6native12_GLOBAL__N_18offset_tEEE10hipError_tPvRmT1_PNSt15iterator_traitsISK_E10value_typeET2_T3_PNSL_ISQ_E10value_typeET4_jRbjT5_SW_jjP12ihipStream_tbEUlT_E0_NS1_11comp_targetILNS1_3genE10ELNS1_11target_archE1200ELNS1_3gpuE4ELNS1_3repE0EEENS1_60segmented_radix_sort_warp_sort_medium_config_static_selectorELNS0_4arch9wavefront6targetE0EEEvSK_.private_seg_size, 0
	.set _ZN7rocprim17ROCPRIM_400000_NS6detail17trampoline_kernelINS0_14default_configENS1_36segmented_radix_sort_config_selectorIhlEEZNS1_25segmented_radix_sort_implIS3_Lb1EPKhPhPKlPlN2at6native12_GLOBAL__N_18offset_tEEE10hipError_tPvRmT1_PNSt15iterator_traitsISK_E10value_typeET2_T3_PNSL_ISQ_E10value_typeET4_jRbjT5_SW_jjP12ihipStream_tbEUlT_E0_NS1_11comp_targetILNS1_3genE10ELNS1_11target_archE1200ELNS1_3gpuE4ELNS1_3repE0EEENS1_60segmented_radix_sort_warp_sort_medium_config_static_selectorELNS0_4arch9wavefront6targetE0EEEvSK_.uses_vcc, 0
	.set _ZN7rocprim17ROCPRIM_400000_NS6detail17trampoline_kernelINS0_14default_configENS1_36segmented_radix_sort_config_selectorIhlEEZNS1_25segmented_radix_sort_implIS3_Lb1EPKhPhPKlPlN2at6native12_GLOBAL__N_18offset_tEEE10hipError_tPvRmT1_PNSt15iterator_traitsISK_E10value_typeET2_T3_PNSL_ISQ_E10value_typeET4_jRbjT5_SW_jjP12ihipStream_tbEUlT_E0_NS1_11comp_targetILNS1_3genE10ELNS1_11target_archE1200ELNS1_3gpuE4ELNS1_3repE0EEENS1_60segmented_radix_sort_warp_sort_medium_config_static_selectorELNS0_4arch9wavefront6targetE0EEEvSK_.uses_flat_scratch, 0
	.set _ZN7rocprim17ROCPRIM_400000_NS6detail17trampoline_kernelINS0_14default_configENS1_36segmented_radix_sort_config_selectorIhlEEZNS1_25segmented_radix_sort_implIS3_Lb1EPKhPhPKlPlN2at6native12_GLOBAL__N_18offset_tEEE10hipError_tPvRmT1_PNSt15iterator_traitsISK_E10value_typeET2_T3_PNSL_ISQ_E10value_typeET4_jRbjT5_SW_jjP12ihipStream_tbEUlT_E0_NS1_11comp_targetILNS1_3genE10ELNS1_11target_archE1200ELNS1_3gpuE4ELNS1_3repE0EEENS1_60segmented_radix_sort_warp_sort_medium_config_static_selectorELNS0_4arch9wavefront6targetE0EEEvSK_.has_dyn_sized_stack, 0
	.set _ZN7rocprim17ROCPRIM_400000_NS6detail17trampoline_kernelINS0_14default_configENS1_36segmented_radix_sort_config_selectorIhlEEZNS1_25segmented_radix_sort_implIS3_Lb1EPKhPhPKlPlN2at6native12_GLOBAL__N_18offset_tEEE10hipError_tPvRmT1_PNSt15iterator_traitsISK_E10value_typeET2_T3_PNSL_ISQ_E10value_typeET4_jRbjT5_SW_jjP12ihipStream_tbEUlT_E0_NS1_11comp_targetILNS1_3genE10ELNS1_11target_archE1200ELNS1_3gpuE4ELNS1_3repE0EEENS1_60segmented_radix_sort_warp_sort_medium_config_static_selectorELNS0_4arch9wavefront6targetE0EEEvSK_.has_recursion, 0
	.set _ZN7rocprim17ROCPRIM_400000_NS6detail17trampoline_kernelINS0_14default_configENS1_36segmented_radix_sort_config_selectorIhlEEZNS1_25segmented_radix_sort_implIS3_Lb1EPKhPhPKlPlN2at6native12_GLOBAL__N_18offset_tEEE10hipError_tPvRmT1_PNSt15iterator_traitsISK_E10value_typeET2_T3_PNSL_ISQ_E10value_typeET4_jRbjT5_SW_jjP12ihipStream_tbEUlT_E0_NS1_11comp_targetILNS1_3genE10ELNS1_11target_archE1200ELNS1_3gpuE4ELNS1_3repE0EEENS1_60segmented_radix_sort_warp_sort_medium_config_static_selectorELNS0_4arch9wavefront6targetE0EEEvSK_.has_indirect_call, 0
	.section	.AMDGPU.csdata,"",@progbits
; Kernel info:
; codeLenInByte = 0
; TotalNumSgprs: 0
; NumVgprs: 0
; ScratchSize: 0
; MemoryBound: 0
; FloatMode: 240
; IeeeMode: 1
; LDSByteSize: 0 bytes/workgroup (compile time only)
; SGPRBlocks: 0
; VGPRBlocks: 0
; NumSGPRsForWavesPerEU: 1
; NumVGPRsForWavesPerEU: 1
; Occupancy: 16
; WaveLimiterHint : 0
; COMPUTE_PGM_RSRC2:SCRATCH_EN: 0
; COMPUTE_PGM_RSRC2:USER_SGPR: 2
; COMPUTE_PGM_RSRC2:TRAP_HANDLER: 0
; COMPUTE_PGM_RSRC2:TGID_X_EN: 1
; COMPUTE_PGM_RSRC2:TGID_Y_EN: 0
; COMPUTE_PGM_RSRC2:TGID_Z_EN: 0
; COMPUTE_PGM_RSRC2:TIDIG_COMP_CNT: 0
	.section	.text._ZN7rocprim17ROCPRIM_400000_NS6detail17trampoline_kernelINS0_14default_configENS1_36segmented_radix_sort_config_selectorIhlEEZNS1_25segmented_radix_sort_implIS3_Lb1EPKhPhPKlPlN2at6native12_GLOBAL__N_18offset_tEEE10hipError_tPvRmT1_PNSt15iterator_traitsISK_E10value_typeET2_T3_PNSL_ISQ_E10value_typeET4_jRbjT5_SW_jjP12ihipStream_tbEUlT_E0_NS1_11comp_targetILNS1_3genE9ELNS1_11target_archE1100ELNS1_3gpuE3ELNS1_3repE0EEENS1_60segmented_radix_sort_warp_sort_medium_config_static_selectorELNS0_4arch9wavefront6targetE0EEEvSK_,"axG",@progbits,_ZN7rocprim17ROCPRIM_400000_NS6detail17trampoline_kernelINS0_14default_configENS1_36segmented_radix_sort_config_selectorIhlEEZNS1_25segmented_radix_sort_implIS3_Lb1EPKhPhPKlPlN2at6native12_GLOBAL__N_18offset_tEEE10hipError_tPvRmT1_PNSt15iterator_traitsISK_E10value_typeET2_T3_PNSL_ISQ_E10value_typeET4_jRbjT5_SW_jjP12ihipStream_tbEUlT_E0_NS1_11comp_targetILNS1_3genE9ELNS1_11target_archE1100ELNS1_3gpuE3ELNS1_3repE0EEENS1_60segmented_radix_sort_warp_sort_medium_config_static_selectorELNS0_4arch9wavefront6targetE0EEEvSK_,comdat
	.globl	_ZN7rocprim17ROCPRIM_400000_NS6detail17trampoline_kernelINS0_14default_configENS1_36segmented_radix_sort_config_selectorIhlEEZNS1_25segmented_radix_sort_implIS3_Lb1EPKhPhPKlPlN2at6native12_GLOBAL__N_18offset_tEEE10hipError_tPvRmT1_PNSt15iterator_traitsISK_E10value_typeET2_T3_PNSL_ISQ_E10value_typeET4_jRbjT5_SW_jjP12ihipStream_tbEUlT_E0_NS1_11comp_targetILNS1_3genE9ELNS1_11target_archE1100ELNS1_3gpuE3ELNS1_3repE0EEENS1_60segmented_radix_sort_warp_sort_medium_config_static_selectorELNS0_4arch9wavefront6targetE0EEEvSK_ ; -- Begin function _ZN7rocprim17ROCPRIM_400000_NS6detail17trampoline_kernelINS0_14default_configENS1_36segmented_radix_sort_config_selectorIhlEEZNS1_25segmented_radix_sort_implIS3_Lb1EPKhPhPKlPlN2at6native12_GLOBAL__N_18offset_tEEE10hipError_tPvRmT1_PNSt15iterator_traitsISK_E10value_typeET2_T3_PNSL_ISQ_E10value_typeET4_jRbjT5_SW_jjP12ihipStream_tbEUlT_E0_NS1_11comp_targetILNS1_3genE9ELNS1_11target_archE1100ELNS1_3gpuE3ELNS1_3repE0EEENS1_60segmented_radix_sort_warp_sort_medium_config_static_selectorELNS0_4arch9wavefront6targetE0EEEvSK_
	.p2align	8
	.type	_ZN7rocprim17ROCPRIM_400000_NS6detail17trampoline_kernelINS0_14default_configENS1_36segmented_radix_sort_config_selectorIhlEEZNS1_25segmented_radix_sort_implIS3_Lb1EPKhPhPKlPlN2at6native12_GLOBAL__N_18offset_tEEE10hipError_tPvRmT1_PNSt15iterator_traitsISK_E10value_typeET2_T3_PNSL_ISQ_E10value_typeET4_jRbjT5_SW_jjP12ihipStream_tbEUlT_E0_NS1_11comp_targetILNS1_3genE9ELNS1_11target_archE1100ELNS1_3gpuE3ELNS1_3repE0EEENS1_60segmented_radix_sort_warp_sort_medium_config_static_selectorELNS0_4arch9wavefront6targetE0EEEvSK_,@function
_ZN7rocprim17ROCPRIM_400000_NS6detail17trampoline_kernelINS0_14default_configENS1_36segmented_radix_sort_config_selectorIhlEEZNS1_25segmented_radix_sort_implIS3_Lb1EPKhPhPKlPlN2at6native12_GLOBAL__N_18offset_tEEE10hipError_tPvRmT1_PNSt15iterator_traitsISK_E10value_typeET2_T3_PNSL_ISQ_E10value_typeET4_jRbjT5_SW_jjP12ihipStream_tbEUlT_E0_NS1_11comp_targetILNS1_3genE9ELNS1_11target_archE1100ELNS1_3gpuE3ELNS1_3repE0EEENS1_60segmented_radix_sort_warp_sort_medium_config_static_selectorELNS0_4arch9wavefront6targetE0EEEvSK_: ; @_ZN7rocprim17ROCPRIM_400000_NS6detail17trampoline_kernelINS0_14default_configENS1_36segmented_radix_sort_config_selectorIhlEEZNS1_25segmented_radix_sort_implIS3_Lb1EPKhPhPKlPlN2at6native12_GLOBAL__N_18offset_tEEE10hipError_tPvRmT1_PNSt15iterator_traitsISK_E10value_typeET2_T3_PNSL_ISQ_E10value_typeET4_jRbjT5_SW_jjP12ihipStream_tbEUlT_E0_NS1_11comp_targetILNS1_3genE9ELNS1_11target_archE1100ELNS1_3gpuE3ELNS1_3repE0EEENS1_60segmented_radix_sort_warp_sort_medium_config_static_selectorELNS0_4arch9wavefront6targetE0EEEvSK_
; %bb.0:
	.section	.rodata,"a",@progbits
	.p2align	6, 0x0
	.amdhsa_kernel _ZN7rocprim17ROCPRIM_400000_NS6detail17trampoline_kernelINS0_14default_configENS1_36segmented_radix_sort_config_selectorIhlEEZNS1_25segmented_radix_sort_implIS3_Lb1EPKhPhPKlPlN2at6native12_GLOBAL__N_18offset_tEEE10hipError_tPvRmT1_PNSt15iterator_traitsISK_E10value_typeET2_T3_PNSL_ISQ_E10value_typeET4_jRbjT5_SW_jjP12ihipStream_tbEUlT_E0_NS1_11comp_targetILNS1_3genE9ELNS1_11target_archE1100ELNS1_3gpuE3ELNS1_3repE0EEENS1_60segmented_radix_sort_warp_sort_medium_config_static_selectorELNS0_4arch9wavefront6targetE0EEEvSK_
		.amdhsa_group_segment_fixed_size 0
		.amdhsa_private_segment_fixed_size 0
		.amdhsa_kernarg_size 88
		.amdhsa_user_sgpr_count 2
		.amdhsa_user_sgpr_dispatch_ptr 0
		.amdhsa_user_sgpr_queue_ptr 0
		.amdhsa_user_sgpr_kernarg_segment_ptr 1
		.amdhsa_user_sgpr_dispatch_id 0
		.amdhsa_user_sgpr_private_segment_size 0
		.amdhsa_wavefront_size32 1
		.amdhsa_uses_dynamic_stack 0
		.amdhsa_enable_private_segment 0
		.amdhsa_system_sgpr_workgroup_id_x 1
		.amdhsa_system_sgpr_workgroup_id_y 0
		.amdhsa_system_sgpr_workgroup_id_z 0
		.amdhsa_system_sgpr_workgroup_info 0
		.amdhsa_system_vgpr_workitem_id 0
		.amdhsa_next_free_vgpr 1
		.amdhsa_next_free_sgpr 1
		.amdhsa_reserve_vcc 0
		.amdhsa_float_round_mode_32 0
		.amdhsa_float_round_mode_16_64 0
		.amdhsa_float_denorm_mode_32 3
		.amdhsa_float_denorm_mode_16_64 3
		.amdhsa_fp16_overflow 0
		.amdhsa_workgroup_processor_mode 1
		.amdhsa_memory_ordered 1
		.amdhsa_forward_progress 1
		.amdhsa_inst_pref_size 0
		.amdhsa_round_robin_scheduling 0
		.amdhsa_exception_fp_ieee_invalid_op 0
		.amdhsa_exception_fp_denorm_src 0
		.amdhsa_exception_fp_ieee_div_zero 0
		.amdhsa_exception_fp_ieee_overflow 0
		.amdhsa_exception_fp_ieee_underflow 0
		.amdhsa_exception_fp_ieee_inexact 0
		.amdhsa_exception_int_div_zero 0
	.end_amdhsa_kernel
	.section	.text._ZN7rocprim17ROCPRIM_400000_NS6detail17trampoline_kernelINS0_14default_configENS1_36segmented_radix_sort_config_selectorIhlEEZNS1_25segmented_radix_sort_implIS3_Lb1EPKhPhPKlPlN2at6native12_GLOBAL__N_18offset_tEEE10hipError_tPvRmT1_PNSt15iterator_traitsISK_E10value_typeET2_T3_PNSL_ISQ_E10value_typeET4_jRbjT5_SW_jjP12ihipStream_tbEUlT_E0_NS1_11comp_targetILNS1_3genE9ELNS1_11target_archE1100ELNS1_3gpuE3ELNS1_3repE0EEENS1_60segmented_radix_sort_warp_sort_medium_config_static_selectorELNS0_4arch9wavefront6targetE0EEEvSK_,"axG",@progbits,_ZN7rocprim17ROCPRIM_400000_NS6detail17trampoline_kernelINS0_14default_configENS1_36segmented_radix_sort_config_selectorIhlEEZNS1_25segmented_radix_sort_implIS3_Lb1EPKhPhPKlPlN2at6native12_GLOBAL__N_18offset_tEEE10hipError_tPvRmT1_PNSt15iterator_traitsISK_E10value_typeET2_T3_PNSL_ISQ_E10value_typeET4_jRbjT5_SW_jjP12ihipStream_tbEUlT_E0_NS1_11comp_targetILNS1_3genE9ELNS1_11target_archE1100ELNS1_3gpuE3ELNS1_3repE0EEENS1_60segmented_radix_sort_warp_sort_medium_config_static_selectorELNS0_4arch9wavefront6targetE0EEEvSK_,comdat
.Lfunc_end101:
	.size	_ZN7rocprim17ROCPRIM_400000_NS6detail17trampoline_kernelINS0_14default_configENS1_36segmented_radix_sort_config_selectorIhlEEZNS1_25segmented_radix_sort_implIS3_Lb1EPKhPhPKlPlN2at6native12_GLOBAL__N_18offset_tEEE10hipError_tPvRmT1_PNSt15iterator_traitsISK_E10value_typeET2_T3_PNSL_ISQ_E10value_typeET4_jRbjT5_SW_jjP12ihipStream_tbEUlT_E0_NS1_11comp_targetILNS1_3genE9ELNS1_11target_archE1100ELNS1_3gpuE3ELNS1_3repE0EEENS1_60segmented_radix_sort_warp_sort_medium_config_static_selectorELNS0_4arch9wavefront6targetE0EEEvSK_, .Lfunc_end101-_ZN7rocprim17ROCPRIM_400000_NS6detail17trampoline_kernelINS0_14default_configENS1_36segmented_radix_sort_config_selectorIhlEEZNS1_25segmented_radix_sort_implIS3_Lb1EPKhPhPKlPlN2at6native12_GLOBAL__N_18offset_tEEE10hipError_tPvRmT1_PNSt15iterator_traitsISK_E10value_typeET2_T3_PNSL_ISQ_E10value_typeET4_jRbjT5_SW_jjP12ihipStream_tbEUlT_E0_NS1_11comp_targetILNS1_3genE9ELNS1_11target_archE1100ELNS1_3gpuE3ELNS1_3repE0EEENS1_60segmented_radix_sort_warp_sort_medium_config_static_selectorELNS0_4arch9wavefront6targetE0EEEvSK_
                                        ; -- End function
	.set _ZN7rocprim17ROCPRIM_400000_NS6detail17trampoline_kernelINS0_14default_configENS1_36segmented_radix_sort_config_selectorIhlEEZNS1_25segmented_radix_sort_implIS3_Lb1EPKhPhPKlPlN2at6native12_GLOBAL__N_18offset_tEEE10hipError_tPvRmT1_PNSt15iterator_traitsISK_E10value_typeET2_T3_PNSL_ISQ_E10value_typeET4_jRbjT5_SW_jjP12ihipStream_tbEUlT_E0_NS1_11comp_targetILNS1_3genE9ELNS1_11target_archE1100ELNS1_3gpuE3ELNS1_3repE0EEENS1_60segmented_radix_sort_warp_sort_medium_config_static_selectorELNS0_4arch9wavefront6targetE0EEEvSK_.num_vgpr, 0
	.set _ZN7rocprim17ROCPRIM_400000_NS6detail17trampoline_kernelINS0_14default_configENS1_36segmented_radix_sort_config_selectorIhlEEZNS1_25segmented_radix_sort_implIS3_Lb1EPKhPhPKlPlN2at6native12_GLOBAL__N_18offset_tEEE10hipError_tPvRmT1_PNSt15iterator_traitsISK_E10value_typeET2_T3_PNSL_ISQ_E10value_typeET4_jRbjT5_SW_jjP12ihipStream_tbEUlT_E0_NS1_11comp_targetILNS1_3genE9ELNS1_11target_archE1100ELNS1_3gpuE3ELNS1_3repE0EEENS1_60segmented_radix_sort_warp_sort_medium_config_static_selectorELNS0_4arch9wavefront6targetE0EEEvSK_.num_agpr, 0
	.set _ZN7rocprim17ROCPRIM_400000_NS6detail17trampoline_kernelINS0_14default_configENS1_36segmented_radix_sort_config_selectorIhlEEZNS1_25segmented_radix_sort_implIS3_Lb1EPKhPhPKlPlN2at6native12_GLOBAL__N_18offset_tEEE10hipError_tPvRmT1_PNSt15iterator_traitsISK_E10value_typeET2_T3_PNSL_ISQ_E10value_typeET4_jRbjT5_SW_jjP12ihipStream_tbEUlT_E0_NS1_11comp_targetILNS1_3genE9ELNS1_11target_archE1100ELNS1_3gpuE3ELNS1_3repE0EEENS1_60segmented_radix_sort_warp_sort_medium_config_static_selectorELNS0_4arch9wavefront6targetE0EEEvSK_.numbered_sgpr, 0
	.set _ZN7rocprim17ROCPRIM_400000_NS6detail17trampoline_kernelINS0_14default_configENS1_36segmented_radix_sort_config_selectorIhlEEZNS1_25segmented_radix_sort_implIS3_Lb1EPKhPhPKlPlN2at6native12_GLOBAL__N_18offset_tEEE10hipError_tPvRmT1_PNSt15iterator_traitsISK_E10value_typeET2_T3_PNSL_ISQ_E10value_typeET4_jRbjT5_SW_jjP12ihipStream_tbEUlT_E0_NS1_11comp_targetILNS1_3genE9ELNS1_11target_archE1100ELNS1_3gpuE3ELNS1_3repE0EEENS1_60segmented_radix_sort_warp_sort_medium_config_static_selectorELNS0_4arch9wavefront6targetE0EEEvSK_.num_named_barrier, 0
	.set _ZN7rocprim17ROCPRIM_400000_NS6detail17trampoline_kernelINS0_14default_configENS1_36segmented_radix_sort_config_selectorIhlEEZNS1_25segmented_radix_sort_implIS3_Lb1EPKhPhPKlPlN2at6native12_GLOBAL__N_18offset_tEEE10hipError_tPvRmT1_PNSt15iterator_traitsISK_E10value_typeET2_T3_PNSL_ISQ_E10value_typeET4_jRbjT5_SW_jjP12ihipStream_tbEUlT_E0_NS1_11comp_targetILNS1_3genE9ELNS1_11target_archE1100ELNS1_3gpuE3ELNS1_3repE0EEENS1_60segmented_radix_sort_warp_sort_medium_config_static_selectorELNS0_4arch9wavefront6targetE0EEEvSK_.private_seg_size, 0
	.set _ZN7rocprim17ROCPRIM_400000_NS6detail17trampoline_kernelINS0_14default_configENS1_36segmented_radix_sort_config_selectorIhlEEZNS1_25segmented_radix_sort_implIS3_Lb1EPKhPhPKlPlN2at6native12_GLOBAL__N_18offset_tEEE10hipError_tPvRmT1_PNSt15iterator_traitsISK_E10value_typeET2_T3_PNSL_ISQ_E10value_typeET4_jRbjT5_SW_jjP12ihipStream_tbEUlT_E0_NS1_11comp_targetILNS1_3genE9ELNS1_11target_archE1100ELNS1_3gpuE3ELNS1_3repE0EEENS1_60segmented_radix_sort_warp_sort_medium_config_static_selectorELNS0_4arch9wavefront6targetE0EEEvSK_.uses_vcc, 0
	.set _ZN7rocprim17ROCPRIM_400000_NS6detail17trampoline_kernelINS0_14default_configENS1_36segmented_radix_sort_config_selectorIhlEEZNS1_25segmented_radix_sort_implIS3_Lb1EPKhPhPKlPlN2at6native12_GLOBAL__N_18offset_tEEE10hipError_tPvRmT1_PNSt15iterator_traitsISK_E10value_typeET2_T3_PNSL_ISQ_E10value_typeET4_jRbjT5_SW_jjP12ihipStream_tbEUlT_E0_NS1_11comp_targetILNS1_3genE9ELNS1_11target_archE1100ELNS1_3gpuE3ELNS1_3repE0EEENS1_60segmented_radix_sort_warp_sort_medium_config_static_selectorELNS0_4arch9wavefront6targetE0EEEvSK_.uses_flat_scratch, 0
	.set _ZN7rocprim17ROCPRIM_400000_NS6detail17trampoline_kernelINS0_14default_configENS1_36segmented_radix_sort_config_selectorIhlEEZNS1_25segmented_radix_sort_implIS3_Lb1EPKhPhPKlPlN2at6native12_GLOBAL__N_18offset_tEEE10hipError_tPvRmT1_PNSt15iterator_traitsISK_E10value_typeET2_T3_PNSL_ISQ_E10value_typeET4_jRbjT5_SW_jjP12ihipStream_tbEUlT_E0_NS1_11comp_targetILNS1_3genE9ELNS1_11target_archE1100ELNS1_3gpuE3ELNS1_3repE0EEENS1_60segmented_radix_sort_warp_sort_medium_config_static_selectorELNS0_4arch9wavefront6targetE0EEEvSK_.has_dyn_sized_stack, 0
	.set _ZN7rocprim17ROCPRIM_400000_NS6detail17trampoline_kernelINS0_14default_configENS1_36segmented_radix_sort_config_selectorIhlEEZNS1_25segmented_radix_sort_implIS3_Lb1EPKhPhPKlPlN2at6native12_GLOBAL__N_18offset_tEEE10hipError_tPvRmT1_PNSt15iterator_traitsISK_E10value_typeET2_T3_PNSL_ISQ_E10value_typeET4_jRbjT5_SW_jjP12ihipStream_tbEUlT_E0_NS1_11comp_targetILNS1_3genE9ELNS1_11target_archE1100ELNS1_3gpuE3ELNS1_3repE0EEENS1_60segmented_radix_sort_warp_sort_medium_config_static_selectorELNS0_4arch9wavefront6targetE0EEEvSK_.has_recursion, 0
	.set _ZN7rocprim17ROCPRIM_400000_NS6detail17trampoline_kernelINS0_14default_configENS1_36segmented_radix_sort_config_selectorIhlEEZNS1_25segmented_radix_sort_implIS3_Lb1EPKhPhPKlPlN2at6native12_GLOBAL__N_18offset_tEEE10hipError_tPvRmT1_PNSt15iterator_traitsISK_E10value_typeET2_T3_PNSL_ISQ_E10value_typeET4_jRbjT5_SW_jjP12ihipStream_tbEUlT_E0_NS1_11comp_targetILNS1_3genE9ELNS1_11target_archE1100ELNS1_3gpuE3ELNS1_3repE0EEENS1_60segmented_radix_sort_warp_sort_medium_config_static_selectorELNS0_4arch9wavefront6targetE0EEEvSK_.has_indirect_call, 0
	.section	.AMDGPU.csdata,"",@progbits
; Kernel info:
; codeLenInByte = 0
; TotalNumSgprs: 0
; NumVgprs: 0
; ScratchSize: 0
; MemoryBound: 0
; FloatMode: 240
; IeeeMode: 1
; LDSByteSize: 0 bytes/workgroup (compile time only)
; SGPRBlocks: 0
; VGPRBlocks: 0
; NumSGPRsForWavesPerEU: 1
; NumVGPRsForWavesPerEU: 1
; Occupancy: 16
; WaveLimiterHint : 0
; COMPUTE_PGM_RSRC2:SCRATCH_EN: 0
; COMPUTE_PGM_RSRC2:USER_SGPR: 2
; COMPUTE_PGM_RSRC2:TRAP_HANDLER: 0
; COMPUTE_PGM_RSRC2:TGID_X_EN: 1
; COMPUTE_PGM_RSRC2:TGID_Y_EN: 0
; COMPUTE_PGM_RSRC2:TGID_Z_EN: 0
; COMPUTE_PGM_RSRC2:TIDIG_COMP_CNT: 0
	.section	.text._ZN7rocprim17ROCPRIM_400000_NS6detail17trampoline_kernelINS0_14default_configENS1_36segmented_radix_sort_config_selectorIhlEEZNS1_25segmented_radix_sort_implIS3_Lb1EPKhPhPKlPlN2at6native12_GLOBAL__N_18offset_tEEE10hipError_tPvRmT1_PNSt15iterator_traitsISK_E10value_typeET2_T3_PNSL_ISQ_E10value_typeET4_jRbjT5_SW_jjP12ihipStream_tbEUlT_E0_NS1_11comp_targetILNS1_3genE8ELNS1_11target_archE1030ELNS1_3gpuE2ELNS1_3repE0EEENS1_60segmented_radix_sort_warp_sort_medium_config_static_selectorELNS0_4arch9wavefront6targetE0EEEvSK_,"axG",@progbits,_ZN7rocprim17ROCPRIM_400000_NS6detail17trampoline_kernelINS0_14default_configENS1_36segmented_radix_sort_config_selectorIhlEEZNS1_25segmented_radix_sort_implIS3_Lb1EPKhPhPKlPlN2at6native12_GLOBAL__N_18offset_tEEE10hipError_tPvRmT1_PNSt15iterator_traitsISK_E10value_typeET2_T3_PNSL_ISQ_E10value_typeET4_jRbjT5_SW_jjP12ihipStream_tbEUlT_E0_NS1_11comp_targetILNS1_3genE8ELNS1_11target_archE1030ELNS1_3gpuE2ELNS1_3repE0EEENS1_60segmented_radix_sort_warp_sort_medium_config_static_selectorELNS0_4arch9wavefront6targetE0EEEvSK_,comdat
	.globl	_ZN7rocprim17ROCPRIM_400000_NS6detail17trampoline_kernelINS0_14default_configENS1_36segmented_radix_sort_config_selectorIhlEEZNS1_25segmented_radix_sort_implIS3_Lb1EPKhPhPKlPlN2at6native12_GLOBAL__N_18offset_tEEE10hipError_tPvRmT1_PNSt15iterator_traitsISK_E10value_typeET2_T3_PNSL_ISQ_E10value_typeET4_jRbjT5_SW_jjP12ihipStream_tbEUlT_E0_NS1_11comp_targetILNS1_3genE8ELNS1_11target_archE1030ELNS1_3gpuE2ELNS1_3repE0EEENS1_60segmented_radix_sort_warp_sort_medium_config_static_selectorELNS0_4arch9wavefront6targetE0EEEvSK_ ; -- Begin function _ZN7rocprim17ROCPRIM_400000_NS6detail17trampoline_kernelINS0_14default_configENS1_36segmented_radix_sort_config_selectorIhlEEZNS1_25segmented_radix_sort_implIS3_Lb1EPKhPhPKlPlN2at6native12_GLOBAL__N_18offset_tEEE10hipError_tPvRmT1_PNSt15iterator_traitsISK_E10value_typeET2_T3_PNSL_ISQ_E10value_typeET4_jRbjT5_SW_jjP12ihipStream_tbEUlT_E0_NS1_11comp_targetILNS1_3genE8ELNS1_11target_archE1030ELNS1_3gpuE2ELNS1_3repE0EEENS1_60segmented_radix_sort_warp_sort_medium_config_static_selectorELNS0_4arch9wavefront6targetE0EEEvSK_
	.p2align	8
	.type	_ZN7rocprim17ROCPRIM_400000_NS6detail17trampoline_kernelINS0_14default_configENS1_36segmented_radix_sort_config_selectorIhlEEZNS1_25segmented_radix_sort_implIS3_Lb1EPKhPhPKlPlN2at6native12_GLOBAL__N_18offset_tEEE10hipError_tPvRmT1_PNSt15iterator_traitsISK_E10value_typeET2_T3_PNSL_ISQ_E10value_typeET4_jRbjT5_SW_jjP12ihipStream_tbEUlT_E0_NS1_11comp_targetILNS1_3genE8ELNS1_11target_archE1030ELNS1_3gpuE2ELNS1_3repE0EEENS1_60segmented_radix_sort_warp_sort_medium_config_static_selectorELNS0_4arch9wavefront6targetE0EEEvSK_,@function
_ZN7rocprim17ROCPRIM_400000_NS6detail17trampoline_kernelINS0_14default_configENS1_36segmented_radix_sort_config_selectorIhlEEZNS1_25segmented_radix_sort_implIS3_Lb1EPKhPhPKlPlN2at6native12_GLOBAL__N_18offset_tEEE10hipError_tPvRmT1_PNSt15iterator_traitsISK_E10value_typeET2_T3_PNSL_ISQ_E10value_typeET4_jRbjT5_SW_jjP12ihipStream_tbEUlT_E0_NS1_11comp_targetILNS1_3genE8ELNS1_11target_archE1030ELNS1_3gpuE2ELNS1_3repE0EEENS1_60segmented_radix_sort_warp_sort_medium_config_static_selectorELNS0_4arch9wavefront6targetE0EEEvSK_: ; @_ZN7rocprim17ROCPRIM_400000_NS6detail17trampoline_kernelINS0_14default_configENS1_36segmented_radix_sort_config_selectorIhlEEZNS1_25segmented_radix_sort_implIS3_Lb1EPKhPhPKlPlN2at6native12_GLOBAL__N_18offset_tEEE10hipError_tPvRmT1_PNSt15iterator_traitsISK_E10value_typeET2_T3_PNSL_ISQ_E10value_typeET4_jRbjT5_SW_jjP12ihipStream_tbEUlT_E0_NS1_11comp_targetILNS1_3genE8ELNS1_11target_archE1030ELNS1_3gpuE2ELNS1_3repE0EEENS1_60segmented_radix_sort_warp_sort_medium_config_static_selectorELNS0_4arch9wavefront6targetE0EEEvSK_
; %bb.0:
	.section	.rodata,"a",@progbits
	.p2align	6, 0x0
	.amdhsa_kernel _ZN7rocprim17ROCPRIM_400000_NS6detail17trampoline_kernelINS0_14default_configENS1_36segmented_radix_sort_config_selectorIhlEEZNS1_25segmented_radix_sort_implIS3_Lb1EPKhPhPKlPlN2at6native12_GLOBAL__N_18offset_tEEE10hipError_tPvRmT1_PNSt15iterator_traitsISK_E10value_typeET2_T3_PNSL_ISQ_E10value_typeET4_jRbjT5_SW_jjP12ihipStream_tbEUlT_E0_NS1_11comp_targetILNS1_3genE8ELNS1_11target_archE1030ELNS1_3gpuE2ELNS1_3repE0EEENS1_60segmented_radix_sort_warp_sort_medium_config_static_selectorELNS0_4arch9wavefront6targetE0EEEvSK_
		.amdhsa_group_segment_fixed_size 0
		.amdhsa_private_segment_fixed_size 0
		.amdhsa_kernarg_size 88
		.amdhsa_user_sgpr_count 2
		.amdhsa_user_sgpr_dispatch_ptr 0
		.amdhsa_user_sgpr_queue_ptr 0
		.amdhsa_user_sgpr_kernarg_segment_ptr 1
		.amdhsa_user_sgpr_dispatch_id 0
		.amdhsa_user_sgpr_private_segment_size 0
		.amdhsa_wavefront_size32 1
		.amdhsa_uses_dynamic_stack 0
		.amdhsa_enable_private_segment 0
		.amdhsa_system_sgpr_workgroup_id_x 1
		.amdhsa_system_sgpr_workgroup_id_y 0
		.amdhsa_system_sgpr_workgroup_id_z 0
		.amdhsa_system_sgpr_workgroup_info 0
		.amdhsa_system_vgpr_workitem_id 0
		.amdhsa_next_free_vgpr 1
		.amdhsa_next_free_sgpr 1
		.amdhsa_reserve_vcc 0
		.amdhsa_float_round_mode_32 0
		.amdhsa_float_round_mode_16_64 0
		.amdhsa_float_denorm_mode_32 3
		.amdhsa_float_denorm_mode_16_64 3
		.amdhsa_fp16_overflow 0
		.amdhsa_workgroup_processor_mode 1
		.amdhsa_memory_ordered 1
		.amdhsa_forward_progress 1
		.amdhsa_inst_pref_size 0
		.amdhsa_round_robin_scheduling 0
		.amdhsa_exception_fp_ieee_invalid_op 0
		.amdhsa_exception_fp_denorm_src 0
		.amdhsa_exception_fp_ieee_div_zero 0
		.amdhsa_exception_fp_ieee_overflow 0
		.amdhsa_exception_fp_ieee_underflow 0
		.amdhsa_exception_fp_ieee_inexact 0
		.amdhsa_exception_int_div_zero 0
	.end_amdhsa_kernel
	.section	.text._ZN7rocprim17ROCPRIM_400000_NS6detail17trampoline_kernelINS0_14default_configENS1_36segmented_radix_sort_config_selectorIhlEEZNS1_25segmented_radix_sort_implIS3_Lb1EPKhPhPKlPlN2at6native12_GLOBAL__N_18offset_tEEE10hipError_tPvRmT1_PNSt15iterator_traitsISK_E10value_typeET2_T3_PNSL_ISQ_E10value_typeET4_jRbjT5_SW_jjP12ihipStream_tbEUlT_E0_NS1_11comp_targetILNS1_3genE8ELNS1_11target_archE1030ELNS1_3gpuE2ELNS1_3repE0EEENS1_60segmented_radix_sort_warp_sort_medium_config_static_selectorELNS0_4arch9wavefront6targetE0EEEvSK_,"axG",@progbits,_ZN7rocprim17ROCPRIM_400000_NS6detail17trampoline_kernelINS0_14default_configENS1_36segmented_radix_sort_config_selectorIhlEEZNS1_25segmented_radix_sort_implIS3_Lb1EPKhPhPKlPlN2at6native12_GLOBAL__N_18offset_tEEE10hipError_tPvRmT1_PNSt15iterator_traitsISK_E10value_typeET2_T3_PNSL_ISQ_E10value_typeET4_jRbjT5_SW_jjP12ihipStream_tbEUlT_E0_NS1_11comp_targetILNS1_3genE8ELNS1_11target_archE1030ELNS1_3gpuE2ELNS1_3repE0EEENS1_60segmented_radix_sort_warp_sort_medium_config_static_selectorELNS0_4arch9wavefront6targetE0EEEvSK_,comdat
.Lfunc_end102:
	.size	_ZN7rocprim17ROCPRIM_400000_NS6detail17trampoline_kernelINS0_14default_configENS1_36segmented_radix_sort_config_selectorIhlEEZNS1_25segmented_radix_sort_implIS3_Lb1EPKhPhPKlPlN2at6native12_GLOBAL__N_18offset_tEEE10hipError_tPvRmT1_PNSt15iterator_traitsISK_E10value_typeET2_T3_PNSL_ISQ_E10value_typeET4_jRbjT5_SW_jjP12ihipStream_tbEUlT_E0_NS1_11comp_targetILNS1_3genE8ELNS1_11target_archE1030ELNS1_3gpuE2ELNS1_3repE0EEENS1_60segmented_radix_sort_warp_sort_medium_config_static_selectorELNS0_4arch9wavefront6targetE0EEEvSK_, .Lfunc_end102-_ZN7rocprim17ROCPRIM_400000_NS6detail17trampoline_kernelINS0_14default_configENS1_36segmented_radix_sort_config_selectorIhlEEZNS1_25segmented_radix_sort_implIS3_Lb1EPKhPhPKlPlN2at6native12_GLOBAL__N_18offset_tEEE10hipError_tPvRmT1_PNSt15iterator_traitsISK_E10value_typeET2_T3_PNSL_ISQ_E10value_typeET4_jRbjT5_SW_jjP12ihipStream_tbEUlT_E0_NS1_11comp_targetILNS1_3genE8ELNS1_11target_archE1030ELNS1_3gpuE2ELNS1_3repE0EEENS1_60segmented_radix_sort_warp_sort_medium_config_static_selectorELNS0_4arch9wavefront6targetE0EEEvSK_
                                        ; -- End function
	.set _ZN7rocprim17ROCPRIM_400000_NS6detail17trampoline_kernelINS0_14default_configENS1_36segmented_radix_sort_config_selectorIhlEEZNS1_25segmented_radix_sort_implIS3_Lb1EPKhPhPKlPlN2at6native12_GLOBAL__N_18offset_tEEE10hipError_tPvRmT1_PNSt15iterator_traitsISK_E10value_typeET2_T3_PNSL_ISQ_E10value_typeET4_jRbjT5_SW_jjP12ihipStream_tbEUlT_E0_NS1_11comp_targetILNS1_3genE8ELNS1_11target_archE1030ELNS1_3gpuE2ELNS1_3repE0EEENS1_60segmented_radix_sort_warp_sort_medium_config_static_selectorELNS0_4arch9wavefront6targetE0EEEvSK_.num_vgpr, 0
	.set _ZN7rocprim17ROCPRIM_400000_NS6detail17trampoline_kernelINS0_14default_configENS1_36segmented_radix_sort_config_selectorIhlEEZNS1_25segmented_radix_sort_implIS3_Lb1EPKhPhPKlPlN2at6native12_GLOBAL__N_18offset_tEEE10hipError_tPvRmT1_PNSt15iterator_traitsISK_E10value_typeET2_T3_PNSL_ISQ_E10value_typeET4_jRbjT5_SW_jjP12ihipStream_tbEUlT_E0_NS1_11comp_targetILNS1_3genE8ELNS1_11target_archE1030ELNS1_3gpuE2ELNS1_3repE0EEENS1_60segmented_radix_sort_warp_sort_medium_config_static_selectorELNS0_4arch9wavefront6targetE0EEEvSK_.num_agpr, 0
	.set _ZN7rocprim17ROCPRIM_400000_NS6detail17trampoline_kernelINS0_14default_configENS1_36segmented_radix_sort_config_selectorIhlEEZNS1_25segmented_radix_sort_implIS3_Lb1EPKhPhPKlPlN2at6native12_GLOBAL__N_18offset_tEEE10hipError_tPvRmT1_PNSt15iterator_traitsISK_E10value_typeET2_T3_PNSL_ISQ_E10value_typeET4_jRbjT5_SW_jjP12ihipStream_tbEUlT_E0_NS1_11comp_targetILNS1_3genE8ELNS1_11target_archE1030ELNS1_3gpuE2ELNS1_3repE0EEENS1_60segmented_radix_sort_warp_sort_medium_config_static_selectorELNS0_4arch9wavefront6targetE0EEEvSK_.numbered_sgpr, 0
	.set _ZN7rocprim17ROCPRIM_400000_NS6detail17trampoline_kernelINS0_14default_configENS1_36segmented_radix_sort_config_selectorIhlEEZNS1_25segmented_radix_sort_implIS3_Lb1EPKhPhPKlPlN2at6native12_GLOBAL__N_18offset_tEEE10hipError_tPvRmT1_PNSt15iterator_traitsISK_E10value_typeET2_T3_PNSL_ISQ_E10value_typeET4_jRbjT5_SW_jjP12ihipStream_tbEUlT_E0_NS1_11comp_targetILNS1_3genE8ELNS1_11target_archE1030ELNS1_3gpuE2ELNS1_3repE0EEENS1_60segmented_radix_sort_warp_sort_medium_config_static_selectorELNS0_4arch9wavefront6targetE0EEEvSK_.num_named_barrier, 0
	.set _ZN7rocprim17ROCPRIM_400000_NS6detail17trampoline_kernelINS0_14default_configENS1_36segmented_radix_sort_config_selectorIhlEEZNS1_25segmented_radix_sort_implIS3_Lb1EPKhPhPKlPlN2at6native12_GLOBAL__N_18offset_tEEE10hipError_tPvRmT1_PNSt15iterator_traitsISK_E10value_typeET2_T3_PNSL_ISQ_E10value_typeET4_jRbjT5_SW_jjP12ihipStream_tbEUlT_E0_NS1_11comp_targetILNS1_3genE8ELNS1_11target_archE1030ELNS1_3gpuE2ELNS1_3repE0EEENS1_60segmented_radix_sort_warp_sort_medium_config_static_selectorELNS0_4arch9wavefront6targetE0EEEvSK_.private_seg_size, 0
	.set _ZN7rocprim17ROCPRIM_400000_NS6detail17trampoline_kernelINS0_14default_configENS1_36segmented_radix_sort_config_selectorIhlEEZNS1_25segmented_radix_sort_implIS3_Lb1EPKhPhPKlPlN2at6native12_GLOBAL__N_18offset_tEEE10hipError_tPvRmT1_PNSt15iterator_traitsISK_E10value_typeET2_T3_PNSL_ISQ_E10value_typeET4_jRbjT5_SW_jjP12ihipStream_tbEUlT_E0_NS1_11comp_targetILNS1_3genE8ELNS1_11target_archE1030ELNS1_3gpuE2ELNS1_3repE0EEENS1_60segmented_radix_sort_warp_sort_medium_config_static_selectorELNS0_4arch9wavefront6targetE0EEEvSK_.uses_vcc, 0
	.set _ZN7rocprim17ROCPRIM_400000_NS6detail17trampoline_kernelINS0_14default_configENS1_36segmented_radix_sort_config_selectorIhlEEZNS1_25segmented_radix_sort_implIS3_Lb1EPKhPhPKlPlN2at6native12_GLOBAL__N_18offset_tEEE10hipError_tPvRmT1_PNSt15iterator_traitsISK_E10value_typeET2_T3_PNSL_ISQ_E10value_typeET4_jRbjT5_SW_jjP12ihipStream_tbEUlT_E0_NS1_11comp_targetILNS1_3genE8ELNS1_11target_archE1030ELNS1_3gpuE2ELNS1_3repE0EEENS1_60segmented_radix_sort_warp_sort_medium_config_static_selectorELNS0_4arch9wavefront6targetE0EEEvSK_.uses_flat_scratch, 0
	.set _ZN7rocprim17ROCPRIM_400000_NS6detail17trampoline_kernelINS0_14default_configENS1_36segmented_radix_sort_config_selectorIhlEEZNS1_25segmented_radix_sort_implIS3_Lb1EPKhPhPKlPlN2at6native12_GLOBAL__N_18offset_tEEE10hipError_tPvRmT1_PNSt15iterator_traitsISK_E10value_typeET2_T3_PNSL_ISQ_E10value_typeET4_jRbjT5_SW_jjP12ihipStream_tbEUlT_E0_NS1_11comp_targetILNS1_3genE8ELNS1_11target_archE1030ELNS1_3gpuE2ELNS1_3repE0EEENS1_60segmented_radix_sort_warp_sort_medium_config_static_selectorELNS0_4arch9wavefront6targetE0EEEvSK_.has_dyn_sized_stack, 0
	.set _ZN7rocprim17ROCPRIM_400000_NS6detail17trampoline_kernelINS0_14default_configENS1_36segmented_radix_sort_config_selectorIhlEEZNS1_25segmented_radix_sort_implIS3_Lb1EPKhPhPKlPlN2at6native12_GLOBAL__N_18offset_tEEE10hipError_tPvRmT1_PNSt15iterator_traitsISK_E10value_typeET2_T3_PNSL_ISQ_E10value_typeET4_jRbjT5_SW_jjP12ihipStream_tbEUlT_E0_NS1_11comp_targetILNS1_3genE8ELNS1_11target_archE1030ELNS1_3gpuE2ELNS1_3repE0EEENS1_60segmented_radix_sort_warp_sort_medium_config_static_selectorELNS0_4arch9wavefront6targetE0EEEvSK_.has_recursion, 0
	.set _ZN7rocprim17ROCPRIM_400000_NS6detail17trampoline_kernelINS0_14default_configENS1_36segmented_radix_sort_config_selectorIhlEEZNS1_25segmented_radix_sort_implIS3_Lb1EPKhPhPKlPlN2at6native12_GLOBAL__N_18offset_tEEE10hipError_tPvRmT1_PNSt15iterator_traitsISK_E10value_typeET2_T3_PNSL_ISQ_E10value_typeET4_jRbjT5_SW_jjP12ihipStream_tbEUlT_E0_NS1_11comp_targetILNS1_3genE8ELNS1_11target_archE1030ELNS1_3gpuE2ELNS1_3repE0EEENS1_60segmented_radix_sort_warp_sort_medium_config_static_selectorELNS0_4arch9wavefront6targetE0EEEvSK_.has_indirect_call, 0
	.section	.AMDGPU.csdata,"",@progbits
; Kernel info:
; codeLenInByte = 0
; TotalNumSgprs: 0
; NumVgprs: 0
; ScratchSize: 0
; MemoryBound: 0
; FloatMode: 240
; IeeeMode: 1
; LDSByteSize: 0 bytes/workgroup (compile time only)
; SGPRBlocks: 0
; VGPRBlocks: 0
; NumSGPRsForWavesPerEU: 1
; NumVGPRsForWavesPerEU: 1
; Occupancy: 16
; WaveLimiterHint : 0
; COMPUTE_PGM_RSRC2:SCRATCH_EN: 0
; COMPUTE_PGM_RSRC2:USER_SGPR: 2
; COMPUTE_PGM_RSRC2:TRAP_HANDLER: 0
; COMPUTE_PGM_RSRC2:TGID_X_EN: 1
; COMPUTE_PGM_RSRC2:TGID_Y_EN: 0
; COMPUTE_PGM_RSRC2:TGID_Z_EN: 0
; COMPUTE_PGM_RSRC2:TIDIG_COMP_CNT: 0
	.section	.text._ZN7rocprim17ROCPRIM_400000_NS6detail17trampoline_kernelINS0_14default_configENS1_36segmented_radix_sort_config_selectorIhlEEZNS1_25segmented_radix_sort_implIS3_Lb1EPKhPhPKlPlN2at6native12_GLOBAL__N_18offset_tEEE10hipError_tPvRmT1_PNSt15iterator_traitsISK_E10value_typeET2_T3_PNSL_ISQ_E10value_typeET4_jRbjT5_SW_jjP12ihipStream_tbEUlT_E1_NS1_11comp_targetILNS1_3genE0ELNS1_11target_archE4294967295ELNS1_3gpuE0ELNS1_3repE0EEENS1_59segmented_radix_sort_warp_sort_small_config_static_selectorELNS0_4arch9wavefront6targetE0EEEvSK_,"axG",@progbits,_ZN7rocprim17ROCPRIM_400000_NS6detail17trampoline_kernelINS0_14default_configENS1_36segmented_radix_sort_config_selectorIhlEEZNS1_25segmented_radix_sort_implIS3_Lb1EPKhPhPKlPlN2at6native12_GLOBAL__N_18offset_tEEE10hipError_tPvRmT1_PNSt15iterator_traitsISK_E10value_typeET2_T3_PNSL_ISQ_E10value_typeET4_jRbjT5_SW_jjP12ihipStream_tbEUlT_E1_NS1_11comp_targetILNS1_3genE0ELNS1_11target_archE4294967295ELNS1_3gpuE0ELNS1_3repE0EEENS1_59segmented_radix_sort_warp_sort_small_config_static_selectorELNS0_4arch9wavefront6targetE0EEEvSK_,comdat
	.globl	_ZN7rocprim17ROCPRIM_400000_NS6detail17trampoline_kernelINS0_14default_configENS1_36segmented_radix_sort_config_selectorIhlEEZNS1_25segmented_radix_sort_implIS3_Lb1EPKhPhPKlPlN2at6native12_GLOBAL__N_18offset_tEEE10hipError_tPvRmT1_PNSt15iterator_traitsISK_E10value_typeET2_T3_PNSL_ISQ_E10value_typeET4_jRbjT5_SW_jjP12ihipStream_tbEUlT_E1_NS1_11comp_targetILNS1_3genE0ELNS1_11target_archE4294967295ELNS1_3gpuE0ELNS1_3repE0EEENS1_59segmented_radix_sort_warp_sort_small_config_static_selectorELNS0_4arch9wavefront6targetE0EEEvSK_ ; -- Begin function _ZN7rocprim17ROCPRIM_400000_NS6detail17trampoline_kernelINS0_14default_configENS1_36segmented_radix_sort_config_selectorIhlEEZNS1_25segmented_radix_sort_implIS3_Lb1EPKhPhPKlPlN2at6native12_GLOBAL__N_18offset_tEEE10hipError_tPvRmT1_PNSt15iterator_traitsISK_E10value_typeET2_T3_PNSL_ISQ_E10value_typeET4_jRbjT5_SW_jjP12ihipStream_tbEUlT_E1_NS1_11comp_targetILNS1_3genE0ELNS1_11target_archE4294967295ELNS1_3gpuE0ELNS1_3repE0EEENS1_59segmented_radix_sort_warp_sort_small_config_static_selectorELNS0_4arch9wavefront6targetE0EEEvSK_
	.p2align	8
	.type	_ZN7rocprim17ROCPRIM_400000_NS6detail17trampoline_kernelINS0_14default_configENS1_36segmented_radix_sort_config_selectorIhlEEZNS1_25segmented_radix_sort_implIS3_Lb1EPKhPhPKlPlN2at6native12_GLOBAL__N_18offset_tEEE10hipError_tPvRmT1_PNSt15iterator_traitsISK_E10value_typeET2_T3_PNSL_ISQ_E10value_typeET4_jRbjT5_SW_jjP12ihipStream_tbEUlT_E1_NS1_11comp_targetILNS1_3genE0ELNS1_11target_archE4294967295ELNS1_3gpuE0ELNS1_3repE0EEENS1_59segmented_radix_sort_warp_sort_small_config_static_selectorELNS0_4arch9wavefront6targetE0EEEvSK_,@function
_ZN7rocprim17ROCPRIM_400000_NS6detail17trampoline_kernelINS0_14default_configENS1_36segmented_radix_sort_config_selectorIhlEEZNS1_25segmented_radix_sort_implIS3_Lb1EPKhPhPKlPlN2at6native12_GLOBAL__N_18offset_tEEE10hipError_tPvRmT1_PNSt15iterator_traitsISK_E10value_typeET2_T3_PNSL_ISQ_E10value_typeET4_jRbjT5_SW_jjP12ihipStream_tbEUlT_E1_NS1_11comp_targetILNS1_3genE0ELNS1_11target_archE4294967295ELNS1_3gpuE0ELNS1_3repE0EEENS1_59segmented_radix_sort_warp_sort_small_config_static_selectorELNS0_4arch9wavefront6targetE0EEEvSK_: ; @_ZN7rocprim17ROCPRIM_400000_NS6detail17trampoline_kernelINS0_14default_configENS1_36segmented_radix_sort_config_selectorIhlEEZNS1_25segmented_radix_sort_implIS3_Lb1EPKhPhPKlPlN2at6native12_GLOBAL__N_18offset_tEEE10hipError_tPvRmT1_PNSt15iterator_traitsISK_E10value_typeET2_T3_PNSL_ISQ_E10value_typeET4_jRbjT5_SW_jjP12ihipStream_tbEUlT_E1_NS1_11comp_targetILNS1_3genE0ELNS1_11target_archE4294967295ELNS1_3gpuE0ELNS1_3repE0EEENS1_59segmented_radix_sort_warp_sort_small_config_static_selectorELNS0_4arch9wavefront6targetE0EEEvSK_
; %bb.0:
	.section	.rodata,"a",@progbits
	.p2align	6, 0x0
	.amdhsa_kernel _ZN7rocprim17ROCPRIM_400000_NS6detail17trampoline_kernelINS0_14default_configENS1_36segmented_radix_sort_config_selectorIhlEEZNS1_25segmented_radix_sort_implIS3_Lb1EPKhPhPKlPlN2at6native12_GLOBAL__N_18offset_tEEE10hipError_tPvRmT1_PNSt15iterator_traitsISK_E10value_typeET2_T3_PNSL_ISQ_E10value_typeET4_jRbjT5_SW_jjP12ihipStream_tbEUlT_E1_NS1_11comp_targetILNS1_3genE0ELNS1_11target_archE4294967295ELNS1_3gpuE0ELNS1_3repE0EEENS1_59segmented_radix_sort_warp_sort_small_config_static_selectorELNS0_4arch9wavefront6targetE0EEEvSK_
		.amdhsa_group_segment_fixed_size 0
		.amdhsa_private_segment_fixed_size 0
		.amdhsa_kernarg_size 88
		.amdhsa_user_sgpr_count 2
		.amdhsa_user_sgpr_dispatch_ptr 0
		.amdhsa_user_sgpr_queue_ptr 0
		.amdhsa_user_sgpr_kernarg_segment_ptr 1
		.amdhsa_user_sgpr_dispatch_id 0
		.amdhsa_user_sgpr_private_segment_size 0
		.amdhsa_wavefront_size32 1
		.amdhsa_uses_dynamic_stack 0
		.amdhsa_enable_private_segment 0
		.amdhsa_system_sgpr_workgroup_id_x 1
		.amdhsa_system_sgpr_workgroup_id_y 0
		.amdhsa_system_sgpr_workgroup_id_z 0
		.amdhsa_system_sgpr_workgroup_info 0
		.amdhsa_system_vgpr_workitem_id 0
		.amdhsa_next_free_vgpr 1
		.amdhsa_next_free_sgpr 1
		.amdhsa_reserve_vcc 0
		.amdhsa_float_round_mode_32 0
		.amdhsa_float_round_mode_16_64 0
		.amdhsa_float_denorm_mode_32 3
		.amdhsa_float_denorm_mode_16_64 3
		.amdhsa_fp16_overflow 0
		.amdhsa_workgroup_processor_mode 1
		.amdhsa_memory_ordered 1
		.amdhsa_forward_progress 1
		.amdhsa_inst_pref_size 0
		.amdhsa_round_robin_scheduling 0
		.amdhsa_exception_fp_ieee_invalid_op 0
		.amdhsa_exception_fp_denorm_src 0
		.amdhsa_exception_fp_ieee_div_zero 0
		.amdhsa_exception_fp_ieee_overflow 0
		.amdhsa_exception_fp_ieee_underflow 0
		.amdhsa_exception_fp_ieee_inexact 0
		.amdhsa_exception_int_div_zero 0
	.end_amdhsa_kernel
	.section	.text._ZN7rocprim17ROCPRIM_400000_NS6detail17trampoline_kernelINS0_14default_configENS1_36segmented_radix_sort_config_selectorIhlEEZNS1_25segmented_radix_sort_implIS3_Lb1EPKhPhPKlPlN2at6native12_GLOBAL__N_18offset_tEEE10hipError_tPvRmT1_PNSt15iterator_traitsISK_E10value_typeET2_T3_PNSL_ISQ_E10value_typeET4_jRbjT5_SW_jjP12ihipStream_tbEUlT_E1_NS1_11comp_targetILNS1_3genE0ELNS1_11target_archE4294967295ELNS1_3gpuE0ELNS1_3repE0EEENS1_59segmented_radix_sort_warp_sort_small_config_static_selectorELNS0_4arch9wavefront6targetE0EEEvSK_,"axG",@progbits,_ZN7rocprim17ROCPRIM_400000_NS6detail17trampoline_kernelINS0_14default_configENS1_36segmented_radix_sort_config_selectorIhlEEZNS1_25segmented_radix_sort_implIS3_Lb1EPKhPhPKlPlN2at6native12_GLOBAL__N_18offset_tEEE10hipError_tPvRmT1_PNSt15iterator_traitsISK_E10value_typeET2_T3_PNSL_ISQ_E10value_typeET4_jRbjT5_SW_jjP12ihipStream_tbEUlT_E1_NS1_11comp_targetILNS1_3genE0ELNS1_11target_archE4294967295ELNS1_3gpuE0ELNS1_3repE0EEENS1_59segmented_radix_sort_warp_sort_small_config_static_selectorELNS0_4arch9wavefront6targetE0EEEvSK_,comdat
.Lfunc_end103:
	.size	_ZN7rocprim17ROCPRIM_400000_NS6detail17trampoline_kernelINS0_14default_configENS1_36segmented_radix_sort_config_selectorIhlEEZNS1_25segmented_radix_sort_implIS3_Lb1EPKhPhPKlPlN2at6native12_GLOBAL__N_18offset_tEEE10hipError_tPvRmT1_PNSt15iterator_traitsISK_E10value_typeET2_T3_PNSL_ISQ_E10value_typeET4_jRbjT5_SW_jjP12ihipStream_tbEUlT_E1_NS1_11comp_targetILNS1_3genE0ELNS1_11target_archE4294967295ELNS1_3gpuE0ELNS1_3repE0EEENS1_59segmented_radix_sort_warp_sort_small_config_static_selectorELNS0_4arch9wavefront6targetE0EEEvSK_, .Lfunc_end103-_ZN7rocprim17ROCPRIM_400000_NS6detail17trampoline_kernelINS0_14default_configENS1_36segmented_radix_sort_config_selectorIhlEEZNS1_25segmented_radix_sort_implIS3_Lb1EPKhPhPKlPlN2at6native12_GLOBAL__N_18offset_tEEE10hipError_tPvRmT1_PNSt15iterator_traitsISK_E10value_typeET2_T3_PNSL_ISQ_E10value_typeET4_jRbjT5_SW_jjP12ihipStream_tbEUlT_E1_NS1_11comp_targetILNS1_3genE0ELNS1_11target_archE4294967295ELNS1_3gpuE0ELNS1_3repE0EEENS1_59segmented_radix_sort_warp_sort_small_config_static_selectorELNS0_4arch9wavefront6targetE0EEEvSK_
                                        ; -- End function
	.set _ZN7rocprim17ROCPRIM_400000_NS6detail17trampoline_kernelINS0_14default_configENS1_36segmented_radix_sort_config_selectorIhlEEZNS1_25segmented_radix_sort_implIS3_Lb1EPKhPhPKlPlN2at6native12_GLOBAL__N_18offset_tEEE10hipError_tPvRmT1_PNSt15iterator_traitsISK_E10value_typeET2_T3_PNSL_ISQ_E10value_typeET4_jRbjT5_SW_jjP12ihipStream_tbEUlT_E1_NS1_11comp_targetILNS1_3genE0ELNS1_11target_archE4294967295ELNS1_3gpuE0ELNS1_3repE0EEENS1_59segmented_radix_sort_warp_sort_small_config_static_selectorELNS0_4arch9wavefront6targetE0EEEvSK_.num_vgpr, 0
	.set _ZN7rocprim17ROCPRIM_400000_NS6detail17trampoline_kernelINS0_14default_configENS1_36segmented_radix_sort_config_selectorIhlEEZNS1_25segmented_radix_sort_implIS3_Lb1EPKhPhPKlPlN2at6native12_GLOBAL__N_18offset_tEEE10hipError_tPvRmT1_PNSt15iterator_traitsISK_E10value_typeET2_T3_PNSL_ISQ_E10value_typeET4_jRbjT5_SW_jjP12ihipStream_tbEUlT_E1_NS1_11comp_targetILNS1_3genE0ELNS1_11target_archE4294967295ELNS1_3gpuE0ELNS1_3repE0EEENS1_59segmented_radix_sort_warp_sort_small_config_static_selectorELNS0_4arch9wavefront6targetE0EEEvSK_.num_agpr, 0
	.set _ZN7rocprim17ROCPRIM_400000_NS6detail17trampoline_kernelINS0_14default_configENS1_36segmented_radix_sort_config_selectorIhlEEZNS1_25segmented_radix_sort_implIS3_Lb1EPKhPhPKlPlN2at6native12_GLOBAL__N_18offset_tEEE10hipError_tPvRmT1_PNSt15iterator_traitsISK_E10value_typeET2_T3_PNSL_ISQ_E10value_typeET4_jRbjT5_SW_jjP12ihipStream_tbEUlT_E1_NS1_11comp_targetILNS1_3genE0ELNS1_11target_archE4294967295ELNS1_3gpuE0ELNS1_3repE0EEENS1_59segmented_radix_sort_warp_sort_small_config_static_selectorELNS0_4arch9wavefront6targetE0EEEvSK_.numbered_sgpr, 0
	.set _ZN7rocprim17ROCPRIM_400000_NS6detail17trampoline_kernelINS0_14default_configENS1_36segmented_radix_sort_config_selectorIhlEEZNS1_25segmented_radix_sort_implIS3_Lb1EPKhPhPKlPlN2at6native12_GLOBAL__N_18offset_tEEE10hipError_tPvRmT1_PNSt15iterator_traitsISK_E10value_typeET2_T3_PNSL_ISQ_E10value_typeET4_jRbjT5_SW_jjP12ihipStream_tbEUlT_E1_NS1_11comp_targetILNS1_3genE0ELNS1_11target_archE4294967295ELNS1_3gpuE0ELNS1_3repE0EEENS1_59segmented_radix_sort_warp_sort_small_config_static_selectorELNS0_4arch9wavefront6targetE0EEEvSK_.num_named_barrier, 0
	.set _ZN7rocprim17ROCPRIM_400000_NS6detail17trampoline_kernelINS0_14default_configENS1_36segmented_radix_sort_config_selectorIhlEEZNS1_25segmented_radix_sort_implIS3_Lb1EPKhPhPKlPlN2at6native12_GLOBAL__N_18offset_tEEE10hipError_tPvRmT1_PNSt15iterator_traitsISK_E10value_typeET2_T3_PNSL_ISQ_E10value_typeET4_jRbjT5_SW_jjP12ihipStream_tbEUlT_E1_NS1_11comp_targetILNS1_3genE0ELNS1_11target_archE4294967295ELNS1_3gpuE0ELNS1_3repE0EEENS1_59segmented_radix_sort_warp_sort_small_config_static_selectorELNS0_4arch9wavefront6targetE0EEEvSK_.private_seg_size, 0
	.set _ZN7rocprim17ROCPRIM_400000_NS6detail17trampoline_kernelINS0_14default_configENS1_36segmented_radix_sort_config_selectorIhlEEZNS1_25segmented_radix_sort_implIS3_Lb1EPKhPhPKlPlN2at6native12_GLOBAL__N_18offset_tEEE10hipError_tPvRmT1_PNSt15iterator_traitsISK_E10value_typeET2_T3_PNSL_ISQ_E10value_typeET4_jRbjT5_SW_jjP12ihipStream_tbEUlT_E1_NS1_11comp_targetILNS1_3genE0ELNS1_11target_archE4294967295ELNS1_3gpuE0ELNS1_3repE0EEENS1_59segmented_radix_sort_warp_sort_small_config_static_selectorELNS0_4arch9wavefront6targetE0EEEvSK_.uses_vcc, 0
	.set _ZN7rocprim17ROCPRIM_400000_NS6detail17trampoline_kernelINS0_14default_configENS1_36segmented_radix_sort_config_selectorIhlEEZNS1_25segmented_radix_sort_implIS3_Lb1EPKhPhPKlPlN2at6native12_GLOBAL__N_18offset_tEEE10hipError_tPvRmT1_PNSt15iterator_traitsISK_E10value_typeET2_T3_PNSL_ISQ_E10value_typeET4_jRbjT5_SW_jjP12ihipStream_tbEUlT_E1_NS1_11comp_targetILNS1_3genE0ELNS1_11target_archE4294967295ELNS1_3gpuE0ELNS1_3repE0EEENS1_59segmented_radix_sort_warp_sort_small_config_static_selectorELNS0_4arch9wavefront6targetE0EEEvSK_.uses_flat_scratch, 0
	.set _ZN7rocprim17ROCPRIM_400000_NS6detail17trampoline_kernelINS0_14default_configENS1_36segmented_radix_sort_config_selectorIhlEEZNS1_25segmented_radix_sort_implIS3_Lb1EPKhPhPKlPlN2at6native12_GLOBAL__N_18offset_tEEE10hipError_tPvRmT1_PNSt15iterator_traitsISK_E10value_typeET2_T3_PNSL_ISQ_E10value_typeET4_jRbjT5_SW_jjP12ihipStream_tbEUlT_E1_NS1_11comp_targetILNS1_3genE0ELNS1_11target_archE4294967295ELNS1_3gpuE0ELNS1_3repE0EEENS1_59segmented_radix_sort_warp_sort_small_config_static_selectorELNS0_4arch9wavefront6targetE0EEEvSK_.has_dyn_sized_stack, 0
	.set _ZN7rocprim17ROCPRIM_400000_NS6detail17trampoline_kernelINS0_14default_configENS1_36segmented_radix_sort_config_selectorIhlEEZNS1_25segmented_radix_sort_implIS3_Lb1EPKhPhPKlPlN2at6native12_GLOBAL__N_18offset_tEEE10hipError_tPvRmT1_PNSt15iterator_traitsISK_E10value_typeET2_T3_PNSL_ISQ_E10value_typeET4_jRbjT5_SW_jjP12ihipStream_tbEUlT_E1_NS1_11comp_targetILNS1_3genE0ELNS1_11target_archE4294967295ELNS1_3gpuE0ELNS1_3repE0EEENS1_59segmented_radix_sort_warp_sort_small_config_static_selectorELNS0_4arch9wavefront6targetE0EEEvSK_.has_recursion, 0
	.set _ZN7rocprim17ROCPRIM_400000_NS6detail17trampoline_kernelINS0_14default_configENS1_36segmented_radix_sort_config_selectorIhlEEZNS1_25segmented_radix_sort_implIS3_Lb1EPKhPhPKlPlN2at6native12_GLOBAL__N_18offset_tEEE10hipError_tPvRmT1_PNSt15iterator_traitsISK_E10value_typeET2_T3_PNSL_ISQ_E10value_typeET4_jRbjT5_SW_jjP12ihipStream_tbEUlT_E1_NS1_11comp_targetILNS1_3genE0ELNS1_11target_archE4294967295ELNS1_3gpuE0ELNS1_3repE0EEENS1_59segmented_radix_sort_warp_sort_small_config_static_selectorELNS0_4arch9wavefront6targetE0EEEvSK_.has_indirect_call, 0
	.section	.AMDGPU.csdata,"",@progbits
; Kernel info:
; codeLenInByte = 0
; TotalNumSgprs: 0
; NumVgprs: 0
; ScratchSize: 0
; MemoryBound: 0
; FloatMode: 240
; IeeeMode: 1
; LDSByteSize: 0 bytes/workgroup (compile time only)
; SGPRBlocks: 0
; VGPRBlocks: 0
; NumSGPRsForWavesPerEU: 1
; NumVGPRsForWavesPerEU: 1
; Occupancy: 16
; WaveLimiterHint : 0
; COMPUTE_PGM_RSRC2:SCRATCH_EN: 0
; COMPUTE_PGM_RSRC2:USER_SGPR: 2
; COMPUTE_PGM_RSRC2:TRAP_HANDLER: 0
; COMPUTE_PGM_RSRC2:TGID_X_EN: 1
; COMPUTE_PGM_RSRC2:TGID_Y_EN: 0
; COMPUTE_PGM_RSRC2:TGID_Z_EN: 0
; COMPUTE_PGM_RSRC2:TIDIG_COMP_CNT: 0
	.section	.text._ZN7rocprim17ROCPRIM_400000_NS6detail17trampoline_kernelINS0_14default_configENS1_36segmented_radix_sort_config_selectorIhlEEZNS1_25segmented_radix_sort_implIS3_Lb1EPKhPhPKlPlN2at6native12_GLOBAL__N_18offset_tEEE10hipError_tPvRmT1_PNSt15iterator_traitsISK_E10value_typeET2_T3_PNSL_ISQ_E10value_typeET4_jRbjT5_SW_jjP12ihipStream_tbEUlT_E1_NS1_11comp_targetILNS1_3genE5ELNS1_11target_archE942ELNS1_3gpuE9ELNS1_3repE0EEENS1_59segmented_radix_sort_warp_sort_small_config_static_selectorELNS0_4arch9wavefront6targetE0EEEvSK_,"axG",@progbits,_ZN7rocprim17ROCPRIM_400000_NS6detail17trampoline_kernelINS0_14default_configENS1_36segmented_radix_sort_config_selectorIhlEEZNS1_25segmented_radix_sort_implIS3_Lb1EPKhPhPKlPlN2at6native12_GLOBAL__N_18offset_tEEE10hipError_tPvRmT1_PNSt15iterator_traitsISK_E10value_typeET2_T3_PNSL_ISQ_E10value_typeET4_jRbjT5_SW_jjP12ihipStream_tbEUlT_E1_NS1_11comp_targetILNS1_3genE5ELNS1_11target_archE942ELNS1_3gpuE9ELNS1_3repE0EEENS1_59segmented_radix_sort_warp_sort_small_config_static_selectorELNS0_4arch9wavefront6targetE0EEEvSK_,comdat
	.globl	_ZN7rocprim17ROCPRIM_400000_NS6detail17trampoline_kernelINS0_14default_configENS1_36segmented_radix_sort_config_selectorIhlEEZNS1_25segmented_radix_sort_implIS3_Lb1EPKhPhPKlPlN2at6native12_GLOBAL__N_18offset_tEEE10hipError_tPvRmT1_PNSt15iterator_traitsISK_E10value_typeET2_T3_PNSL_ISQ_E10value_typeET4_jRbjT5_SW_jjP12ihipStream_tbEUlT_E1_NS1_11comp_targetILNS1_3genE5ELNS1_11target_archE942ELNS1_3gpuE9ELNS1_3repE0EEENS1_59segmented_radix_sort_warp_sort_small_config_static_selectorELNS0_4arch9wavefront6targetE0EEEvSK_ ; -- Begin function _ZN7rocprim17ROCPRIM_400000_NS6detail17trampoline_kernelINS0_14default_configENS1_36segmented_radix_sort_config_selectorIhlEEZNS1_25segmented_radix_sort_implIS3_Lb1EPKhPhPKlPlN2at6native12_GLOBAL__N_18offset_tEEE10hipError_tPvRmT1_PNSt15iterator_traitsISK_E10value_typeET2_T3_PNSL_ISQ_E10value_typeET4_jRbjT5_SW_jjP12ihipStream_tbEUlT_E1_NS1_11comp_targetILNS1_3genE5ELNS1_11target_archE942ELNS1_3gpuE9ELNS1_3repE0EEENS1_59segmented_radix_sort_warp_sort_small_config_static_selectorELNS0_4arch9wavefront6targetE0EEEvSK_
	.p2align	8
	.type	_ZN7rocprim17ROCPRIM_400000_NS6detail17trampoline_kernelINS0_14default_configENS1_36segmented_radix_sort_config_selectorIhlEEZNS1_25segmented_radix_sort_implIS3_Lb1EPKhPhPKlPlN2at6native12_GLOBAL__N_18offset_tEEE10hipError_tPvRmT1_PNSt15iterator_traitsISK_E10value_typeET2_T3_PNSL_ISQ_E10value_typeET4_jRbjT5_SW_jjP12ihipStream_tbEUlT_E1_NS1_11comp_targetILNS1_3genE5ELNS1_11target_archE942ELNS1_3gpuE9ELNS1_3repE0EEENS1_59segmented_radix_sort_warp_sort_small_config_static_selectorELNS0_4arch9wavefront6targetE0EEEvSK_,@function
_ZN7rocprim17ROCPRIM_400000_NS6detail17trampoline_kernelINS0_14default_configENS1_36segmented_radix_sort_config_selectorIhlEEZNS1_25segmented_radix_sort_implIS3_Lb1EPKhPhPKlPlN2at6native12_GLOBAL__N_18offset_tEEE10hipError_tPvRmT1_PNSt15iterator_traitsISK_E10value_typeET2_T3_PNSL_ISQ_E10value_typeET4_jRbjT5_SW_jjP12ihipStream_tbEUlT_E1_NS1_11comp_targetILNS1_3genE5ELNS1_11target_archE942ELNS1_3gpuE9ELNS1_3repE0EEENS1_59segmented_radix_sort_warp_sort_small_config_static_selectorELNS0_4arch9wavefront6targetE0EEEvSK_: ; @_ZN7rocprim17ROCPRIM_400000_NS6detail17trampoline_kernelINS0_14default_configENS1_36segmented_radix_sort_config_selectorIhlEEZNS1_25segmented_radix_sort_implIS3_Lb1EPKhPhPKlPlN2at6native12_GLOBAL__N_18offset_tEEE10hipError_tPvRmT1_PNSt15iterator_traitsISK_E10value_typeET2_T3_PNSL_ISQ_E10value_typeET4_jRbjT5_SW_jjP12ihipStream_tbEUlT_E1_NS1_11comp_targetILNS1_3genE5ELNS1_11target_archE942ELNS1_3gpuE9ELNS1_3repE0EEENS1_59segmented_radix_sort_warp_sort_small_config_static_selectorELNS0_4arch9wavefront6targetE0EEEvSK_
; %bb.0:
	.section	.rodata,"a",@progbits
	.p2align	6, 0x0
	.amdhsa_kernel _ZN7rocprim17ROCPRIM_400000_NS6detail17trampoline_kernelINS0_14default_configENS1_36segmented_radix_sort_config_selectorIhlEEZNS1_25segmented_radix_sort_implIS3_Lb1EPKhPhPKlPlN2at6native12_GLOBAL__N_18offset_tEEE10hipError_tPvRmT1_PNSt15iterator_traitsISK_E10value_typeET2_T3_PNSL_ISQ_E10value_typeET4_jRbjT5_SW_jjP12ihipStream_tbEUlT_E1_NS1_11comp_targetILNS1_3genE5ELNS1_11target_archE942ELNS1_3gpuE9ELNS1_3repE0EEENS1_59segmented_radix_sort_warp_sort_small_config_static_selectorELNS0_4arch9wavefront6targetE0EEEvSK_
		.amdhsa_group_segment_fixed_size 0
		.amdhsa_private_segment_fixed_size 0
		.amdhsa_kernarg_size 88
		.amdhsa_user_sgpr_count 2
		.amdhsa_user_sgpr_dispatch_ptr 0
		.amdhsa_user_sgpr_queue_ptr 0
		.amdhsa_user_sgpr_kernarg_segment_ptr 1
		.amdhsa_user_sgpr_dispatch_id 0
		.amdhsa_user_sgpr_private_segment_size 0
		.amdhsa_wavefront_size32 1
		.amdhsa_uses_dynamic_stack 0
		.amdhsa_enable_private_segment 0
		.amdhsa_system_sgpr_workgroup_id_x 1
		.amdhsa_system_sgpr_workgroup_id_y 0
		.amdhsa_system_sgpr_workgroup_id_z 0
		.amdhsa_system_sgpr_workgroup_info 0
		.amdhsa_system_vgpr_workitem_id 0
		.amdhsa_next_free_vgpr 1
		.amdhsa_next_free_sgpr 1
		.amdhsa_reserve_vcc 0
		.amdhsa_float_round_mode_32 0
		.amdhsa_float_round_mode_16_64 0
		.amdhsa_float_denorm_mode_32 3
		.amdhsa_float_denorm_mode_16_64 3
		.amdhsa_fp16_overflow 0
		.amdhsa_workgroup_processor_mode 1
		.amdhsa_memory_ordered 1
		.amdhsa_forward_progress 1
		.amdhsa_inst_pref_size 0
		.amdhsa_round_robin_scheduling 0
		.amdhsa_exception_fp_ieee_invalid_op 0
		.amdhsa_exception_fp_denorm_src 0
		.amdhsa_exception_fp_ieee_div_zero 0
		.amdhsa_exception_fp_ieee_overflow 0
		.amdhsa_exception_fp_ieee_underflow 0
		.amdhsa_exception_fp_ieee_inexact 0
		.amdhsa_exception_int_div_zero 0
	.end_amdhsa_kernel
	.section	.text._ZN7rocprim17ROCPRIM_400000_NS6detail17trampoline_kernelINS0_14default_configENS1_36segmented_radix_sort_config_selectorIhlEEZNS1_25segmented_radix_sort_implIS3_Lb1EPKhPhPKlPlN2at6native12_GLOBAL__N_18offset_tEEE10hipError_tPvRmT1_PNSt15iterator_traitsISK_E10value_typeET2_T3_PNSL_ISQ_E10value_typeET4_jRbjT5_SW_jjP12ihipStream_tbEUlT_E1_NS1_11comp_targetILNS1_3genE5ELNS1_11target_archE942ELNS1_3gpuE9ELNS1_3repE0EEENS1_59segmented_radix_sort_warp_sort_small_config_static_selectorELNS0_4arch9wavefront6targetE0EEEvSK_,"axG",@progbits,_ZN7rocprim17ROCPRIM_400000_NS6detail17trampoline_kernelINS0_14default_configENS1_36segmented_radix_sort_config_selectorIhlEEZNS1_25segmented_radix_sort_implIS3_Lb1EPKhPhPKlPlN2at6native12_GLOBAL__N_18offset_tEEE10hipError_tPvRmT1_PNSt15iterator_traitsISK_E10value_typeET2_T3_PNSL_ISQ_E10value_typeET4_jRbjT5_SW_jjP12ihipStream_tbEUlT_E1_NS1_11comp_targetILNS1_3genE5ELNS1_11target_archE942ELNS1_3gpuE9ELNS1_3repE0EEENS1_59segmented_radix_sort_warp_sort_small_config_static_selectorELNS0_4arch9wavefront6targetE0EEEvSK_,comdat
.Lfunc_end104:
	.size	_ZN7rocprim17ROCPRIM_400000_NS6detail17trampoline_kernelINS0_14default_configENS1_36segmented_radix_sort_config_selectorIhlEEZNS1_25segmented_radix_sort_implIS3_Lb1EPKhPhPKlPlN2at6native12_GLOBAL__N_18offset_tEEE10hipError_tPvRmT1_PNSt15iterator_traitsISK_E10value_typeET2_T3_PNSL_ISQ_E10value_typeET4_jRbjT5_SW_jjP12ihipStream_tbEUlT_E1_NS1_11comp_targetILNS1_3genE5ELNS1_11target_archE942ELNS1_3gpuE9ELNS1_3repE0EEENS1_59segmented_radix_sort_warp_sort_small_config_static_selectorELNS0_4arch9wavefront6targetE0EEEvSK_, .Lfunc_end104-_ZN7rocprim17ROCPRIM_400000_NS6detail17trampoline_kernelINS0_14default_configENS1_36segmented_radix_sort_config_selectorIhlEEZNS1_25segmented_radix_sort_implIS3_Lb1EPKhPhPKlPlN2at6native12_GLOBAL__N_18offset_tEEE10hipError_tPvRmT1_PNSt15iterator_traitsISK_E10value_typeET2_T3_PNSL_ISQ_E10value_typeET4_jRbjT5_SW_jjP12ihipStream_tbEUlT_E1_NS1_11comp_targetILNS1_3genE5ELNS1_11target_archE942ELNS1_3gpuE9ELNS1_3repE0EEENS1_59segmented_radix_sort_warp_sort_small_config_static_selectorELNS0_4arch9wavefront6targetE0EEEvSK_
                                        ; -- End function
	.set _ZN7rocprim17ROCPRIM_400000_NS6detail17trampoline_kernelINS0_14default_configENS1_36segmented_radix_sort_config_selectorIhlEEZNS1_25segmented_radix_sort_implIS3_Lb1EPKhPhPKlPlN2at6native12_GLOBAL__N_18offset_tEEE10hipError_tPvRmT1_PNSt15iterator_traitsISK_E10value_typeET2_T3_PNSL_ISQ_E10value_typeET4_jRbjT5_SW_jjP12ihipStream_tbEUlT_E1_NS1_11comp_targetILNS1_3genE5ELNS1_11target_archE942ELNS1_3gpuE9ELNS1_3repE0EEENS1_59segmented_radix_sort_warp_sort_small_config_static_selectorELNS0_4arch9wavefront6targetE0EEEvSK_.num_vgpr, 0
	.set _ZN7rocprim17ROCPRIM_400000_NS6detail17trampoline_kernelINS0_14default_configENS1_36segmented_radix_sort_config_selectorIhlEEZNS1_25segmented_radix_sort_implIS3_Lb1EPKhPhPKlPlN2at6native12_GLOBAL__N_18offset_tEEE10hipError_tPvRmT1_PNSt15iterator_traitsISK_E10value_typeET2_T3_PNSL_ISQ_E10value_typeET4_jRbjT5_SW_jjP12ihipStream_tbEUlT_E1_NS1_11comp_targetILNS1_3genE5ELNS1_11target_archE942ELNS1_3gpuE9ELNS1_3repE0EEENS1_59segmented_radix_sort_warp_sort_small_config_static_selectorELNS0_4arch9wavefront6targetE0EEEvSK_.num_agpr, 0
	.set _ZN7rocprim17ROCPRIM_400000_NS6detail17trampoline_kernelINS0_14default_configENS1_36segmented_radix_sort_config_selectorIhlEEZNS1_25segmented_radix_sort_implIS3_Lb1EPKhPhPKlPlN2at6native12_GLOBAL__N_18offset_tEEE10hipError_tPvRmT1_PNSt15iterator_traitsISK_E10value_typeET2_T3_PNSL_ISQ_E10value_typeET4_jRbjT5_SW_jjP12ihipStream_tbEUlT_E1_NS1_11comp_targetILNS1_3genE5ELNS1_11target_archE942ELNS1_3gpuE9ELNS1_3repE0EEENS1_59segmented_radix_sort_warp_sort_small_config_static_selectorELNS0_4arch9wavefront6targetE0EEEvSK_.numbered_sgpr, 0
	.set _ZN7rocprim17ROCPRIM_400000_NS6detail17trampoline_kernelINS0_14default_configENS1_36segmented_radix_sort_config_selectorIhlEEZNS1_25segmented_radix_sort_implIS3_Lb1EPKhPhPKlPlN2at6native12_GLOBAL__N_18offset_tEEE10hipError_tPvRmT1_PNSt15iterator_traitsISK_E10value_typeET2_T3_PNSL_ISQ_E10value_typeET4_jRbjT5_SW_jjP12ihipStream_tbEUlT_E1_NS1_11comp_targetILNS1_3genE5ELNS1_11target_archE942ELNS1_3gpuE9ELNS1_3repE0EEENS1_59segmented_radix_sort_warp_sort_small_config_static_selectorELNS0_4arch9wavefront6targetE0EEEvSK_.num_named_barrier, 0
	.set _ZN7rocprim17ROCPRIM_400000_NS6detail17trampoline_kernelINS0_14default_configENS1_36segmented_radix_sort_config_selectorIhlEEZNS1_25segmented_radix_sort_implIS3_Lb1EPKhPhPKlPlN2at6native12_GLOBAL__N_18offset_tEEE10hipError_tPvRmT1_PNSt15iterator_traitsISK_E10value_typeET2_T3_PNSL_ISQ_E10value_typeET4_jRbjT5_SW_jjP12ihipStream_tbEUlT_E1_NS1_11comp_targetILNS1_3genE5ELNS1_11target_archE942ELNS1_3gpuE9ELNS1_3repE0EEENS1_59segmented_radix_sort_warp_sort_small_config_static_selectorELNS0_4arch9wavefront6targetE0EEEvSK_.private_seg_size, 0
	.set _ZN7rocprim17ROCPRIM_400000_NS6detail17trampoline_kernelINS0_14default_configENS1_36segmented_radix_sort_config_selectorIhlEEZNS1_25segmented_radix_sort_implIS3_Lb1EPKhPhPKlPlN2at6native12_GLOBAL__N_18offset_tEEE10hipError_tPvRmT1_PNSt15iterator_traitsISK_E10value_typeET2_T3_PNSL_ISQ_E10value_typeET4_jRbjT5_SW_jjP12ihipStream_tbEUlT_E1_NS1_11comp_targetILNS1_3genE5ELNS1_11target_archE942ELNS1_3gpuE9ELNS1_3repE0EEENS1_59segmented_radix_sort_warp_sort_small_config_static_selectorELNS0_4arch9wavefront6targetE0EEEvSK_.uses_vcc, 0
	.set _ZN7rocprim17ROCPRIM_400000_NS6detail17trampoline_kernelINS0_14default_configENS1_36segmented_radix_sort_config_selectorIhlEEZNS1_25segmented_radix_sort_implIS3_Lb1EPKhPhPKlPlN2at6native12_GLOBAL__N_18offset_tEEE10hipError_tPvRmT1_PNSt15iterator_traitsISK_E10value_typeET2_T3_PNSL_ISQ_E10value_typeET4_jRbjT5_SW_jjP12ihipStream_tbEUlT_E1_NS1_11comp_targetILNS1_3genE5ELNS1_11target_archE942ELNS1_3gpuE9ELNS1_3repE0EEENS1_59segmented_radix_sort_warp_sort_small_config_static_selectorELNS0_4arch9wavefront6targetE0EEEvSK_.uses_flat_scratch, 0
	.set _ZN7rocprim17ROCPRIM_400000_NS6detail17trampoline_kernelINS0_14default_configENS1_36segmented_radix_sort_config_selectorIhlEEZNS1_25segmented_radix_sort_implIS3_Lb1EPKhPhPKlPlN2at6native12_GLOBAL__N_18offset_tEEE10hipError_tPvRmT1_PNSt15iterator_traitsISK_E10value_typeET2_T3_PNSL_ISQ_E10value_typeET4_jRbjT5_SW_jjP12ihipStream_tbEUlT_E1_NS1_11comp_targetILNS1_3genE5ELNS1_11target_archE942ELNS1_3gpuE9ELNS1_3repE0EEENS1_59segmented_radix_sort_warp_sort_small_config_static_selectorELNS0_4arch9wavefront6targetE0EEEvSK_.has_dyn_sized_stack, 0
	.set _ZN7rocprim17ROCPRIM_400000_NS6detail17trampoline_kernelINS0_14default_configENS1_36segmented_radix_sort_config_selectorIhlEEZNS1_25segmented_radix_sort_implIS3_Lb1EPKhPhPKlPlN2at6native12_GLOBAL__N_18offset_tEEE10hipError_tPvRmT1_PNSt15iterator_traitsISK_E10value_typeET2_T3_PNSL_ISQ_E10value_typeET4_jRbjT5_SW_jjP12ihipStream_tbEUlT_E1_NS1_11comp_targetILNS1_3genE5ELNS1_11target_archE942ELNS1_3gpuE9ELNS1_3repE0EEENS1_59segmented_radix_sort_warp_sort_small_config_static_selectorELNS0_4arch9wavefront6targetE0EEEvSK_.has_recursion, 0
	.set _ZN7rocprim17ROCPRIM_400000_NS6detail17trampoline_kernelINS0_14default_configENS1_36segmented_radix_sort_config_selectorIhlEEZNS1_25segmented_radix_sort_implIS3_Lb1EPKhPhPKlPlN2at6native12_GLOBAL__N_18offset_tEEE10hipError_tPvRmT1_PNSt15iterator_traitsISK_E10value_typeET2_T3_PNSL_ISQ_E10value_typeET4_jRbjT5_SW_jjP12ihipStream_tbEUlT_E1_NS1_11comp_targetILNS1_3genE5ELNS1_11target_archE942ELNS1_3gpuE9ELNS1_3repE0EEENS1_59segmented_radix_sort_warp_sort_small_config_static_selectorELNS0_4arch9wavefront6targetE0EEEvSK_.has_indirect_call, 0
	.section	.AMDGPU.csdata,"",@progbits
; Kernel info:
; codeLenInByte = 0
; TotalNumSgprs: 0
; NumVgprs: 0
; ScratchSize: 0
; MemoryBound: 0
; FloatMode: 240
; IeeeMode: 1
; LDSByteSize: 0 bytes/workgroup (compile time only)
; SGPRBlocks: 0
; VGPRBlocks: 0
; NumSGPRsForWavesPerEU: 1
; NumVGPRsForWavesPerEU: 1
; Occupancy: 16
; WaveLimiterHint : 0
; COMPUTE_PGM_RSRC2:SCRATCH_EN: 0
; COMPUTE_PGM_RSRC2:USER_SGPR: 2
; COMPUTE_PGM_RSRC2:TRAP_HANDLER: 0
; COMPUTE_PGM_RSRC2:TGID_X_EN: 1
; COMPUTE_PGM_RSRC2:TGID_Y_EN: 0
; COMPUTE_PGM_RSRC2:TGID_Z_EN: 0
; COMPUTE_PGM_RSRC2:TIDIG_COMP_CNT: 0
	.section	.text._ZN7rocprim17ROCPRIM_400000_NS6detail17trampoline_kernelINS0_14default_configENS1_36segmented_radix_sort_config_selectorIhlEEZNS1_25segmented_radix_sort_implIS3_Lb1EPKhPhPKlPlN2at6native12_GLOBAL__N_18offset_tEEE10hipError_tPvRmT1_PNSt15iterator_traitsISK_E10value_typeET2_T3_PNSL_ISQ_E10value_typeET4_jRbjT5_SW_jjP12ihipStream_tbEUlT_E1_NS1_11comp_targetILNS1_3genE4ELNS1_11target_archE910ELNS1_3gpuE8ELNS1_3repE0EEENS1_59segmented_radix_sort_warp_sort_small_config_static_selectorELNS0_4arch9wavefront6targetE0EEEvSK_,"axG",@progbits,_ZN7rocprim17ROCPRIM_400000_NS6detail17trampoline_kernelINS0_14default_configENS1_36segmented_radix_sort_config_selectorIhlEEZNS1_25segmented_radix_sort_implIS3_Lb1EPKhPhPKlPlN2at6native12_GLOBAL__N_18offset_tEEE10hipError_tPvRmT1_PNSt15iterator_traitsISK_E10value_typeET2_T3_PNSL_ISQ_E10value_typeET4_jRbjT5_SW_jjP12ihipStream_tbEUlT_E1_NS1_11comp_targetILNS1_3genE4ELNS1_11target_archE910ELNS1_3gpuE8ELNS1_3repE0EEENS1_59segmented_radix_sort_warp_sort_small_config_static_selectorELNS0_4arch9wavefront6targetE0EEEvSK_,comdat
	.globl	_ZN7rocprim17ROCPRIM_400000_NS6detail17trampoline_kernelINS0_14default_configENS1_36segmented_radix_sort_config_selectorIhlEEZNS1_25segmented_radix_sort_implIS3_Lb1EPKhPhPKlPlN2at6native12_GLOBAL__N_18offset_tEEE10hipError_tPvRmT1_PNSt15iterator_traitsISK_E10value_typeET2_T3_PNSL_ISQ_E10value_typeET4_jRbjT5_SW_jjP12ihipStream_tbEUlT_E1_NS1_11comp_targetILNS1_3genE4ELNS1_11target_archE910ELNS1_3gpuE8ELNS1_3repE0EEENS1_59segmented_radix_sort_warp_sort_small_config_static_selectorELNS0_4arch9wavefront6targetE0EEEvSK_ ; -- Begin function _ZN7rocprim17ROCPRIM_400000_NS6detail17trampoline_kernelINS0_14default_configENS1_36segmented_radix_sort_config_selectorIhlEEZNS1_25segmented_radix_sort_implIS3_Lb1EPKhPhPKlPlN2at6native12_GLOBAL__N_18offset_tEEE10hipError_tPvRmT1_PNSt15iterator_traitsISK_E10value_typeET2_T3_PNSL_ISQ_E10value_typeET4_jRbjT5_SW_jjP12ihipStream_tbEUlT_E1_NS1_11comp_targetILNS1_3genE4ELNS1_11target_archE910ELNS1_3gpuE8ELNS1_3repE0EEENS1_59segmented_radix_sort_warp_sort_small_config_static_selectorELNS0_4arch9wavefront6targetE0EEEvSK_
	.p2align	8
	.type	_ZN7rocprim17ROCPRIM_400000_NS6detail17trampoline_kernelINS0_14default_configENS1_36segmented_radix_sort_config_selectorIhlEEZNS1_25segmented_radix_sort_implIS3_Lb1EPKhPhPKlPlN2at6native12_GLOBAL__N_18offset_tEEE10hipError_tPvRmT1_PNSt15iterator_traitsISK_E10value_typeET2_T3_PNSL_ISQ_E10value_typeET4_jRbjT5_SW_jjP12ihipStream_tbEUlT_E1_NS1_11comp_targetILNS1_3genE4ELNS1_11target_archE910ELNS1_3gpuE8ELNS1_3repE0EEENS1_59segmented_radix_sort_warp_sort_small_config_static_selectorELNS0_4arch9wavefront6targetE0EEEvSK_,@function
_ZN7rocprim17ROCPRIM_400000_NS6detail17trampoline_kernelINS0_14default_configENS1_36segmented_radix_sort_config_selectorIhlEEZNS1_25segmented_radix_sort_implIS3_Lb1EPKhPhPKlPlN2at6native12_GLOBAL__N_18offset_tEEE10hipError_tPvRmT1_PNSt15iterator_traitsISK_E10value_typeET2_T3_PNSL_ISQ_E10value_typeET4_jRbjT5_SW_jjP12ihipStream_tbEUlT_E1_NS1_11comp_targetILNS1_3genE4ELNS1_11target_archE910ELNS1_3gpuE8ELNS1_3repE0EEENS1_59segmented_radix_sort_warp_sort_small_config_static_selectorELNS0_4arch9wavefront6targetE0EEEvSK_: ; @_ZN7rocprim17ROCPRIM_400000_NS6detail17trampoline_kernelINS0_14default_configENS1_36segmented_radix_sort_config_selectorIhlEEZNS1_25segmented_radix_sort_implIS3_Lb1EPKhPhPKlPlN2at6native12_GLOBAL__N_18offset_tEEE10hipError_tPvRmT1_PNSt15iterator_traitsISK_E10value_typeET2_T3_PNSL_ISQ_E10value_typeET4_jRbjT5_SW_jjP12ihipStream_tbEUlT_E1_NS1_11comp_targetILNS1_3genE4ELNS1_11target_archE910ELNS1_3gpuE8ELNS1_3repE0EEENS1_59segmented_radix_sort_warp_sort_small_config_static_selectorELNS0_4arch9wavefront6targetE0EEEvSK_
; %bb.0:
	.section	.rodata,"a",@progbits
	.p2align	6, 0x0
	.amdhsa_kernel _ZN7rocprim17ROCPRIM_400000_NS6detail17trampoline_kernelINS0_14default_configENS1_36segmented_radix_sort_config_selectorIhlEEZNS1_25segmented_radix_sort_implIS3_Lb1EPKhPhPKlPlN2at6native12_GLOBAL__N_18offset_tEEE10hipError_tPvRmT1_PNSt15iterator_traitsISK_E10value_typeET2_T3_PNSL_ISQ_E10value_typeET4_jRbjT5_SW_jjP12ihipStream_tbEUlT_E1_NS1_11comp_targetILNS1_3genE4ELNS1_11target_archE910ELNS1_3gpuE8ELNS1_3repE0EEENS1_59segmented_radix_sort_warp_sort_small_config_static_selectorELNS0_4arch9wavefront6targetE0EEEvSK_
		.amdhsa_group_segment_fixed_size 0
		.amdhsa_private_segment_fixed_size 0
		.amdhsa_kernarg_size 88
		.amdhsa_user_sgpr_count 2
		.amdhsa_user_sgpr_dispatch_ptr 0
		.amdhsa_user_sgpr_queue_ptr 0
		.amdhsa_user_sgpr_kernarg_segment_ptr 1
		.amdhsa_user_sgpr_dispatch_id 0
		.amdhsa_user_sgpr_private_segment_size 0
		.amdhsa_wavefront_size32 1
		.amdhsa_uses_dynamic_stack 0
		.amdhsa_enable_private_segment 0
		.amdhsa_system_sgpr_workgroup_id_x 1
		.amdhsa_system_sgpr_workgroup_id_y 0
		.amdhsa_system_sgpr_workgroup_id_z 0
		.amdhsa_system_sgpr_workgroup_info 0
		.amdhsa_system_vgpr_workitem_id 0
		.amdhsa_next_free_vgpr 1
		.amdhsa_next_free_sgpr 1
		.amdhsa_reserve_vcc 0
		.amdhsa_float_round_mode_32 0
		.amdhsa_float_round_mode_16_64 0
		.amdhsa_float_denorm_mode_32 3
		.amdhsa_float_denorm_mode_16_64 3
		.amdhsa_fp16_overflow 0
		.amdhsa_workgroup_processor_mode 1
		.amdhsa_memory_ordered 1
		.amdhsa_forward_progress 1
		.amdhsa_inst_pref_size 0
		.amdhsa_round_robin_scheduling 0
		.amdhsa_exception_fp_ieee_invalid_op 0
		.amdhsa_exception_fp_denorm_src 0
		.amdhsa_exception_fp_ieee_div_zero 0
		.amdhsa_exception_fp_ieee_overflow 0
		.amdhsa_exception_fp_ieee_underflow 0
		.amdhsa_exception_fp_ieee_inexact 0
		.amdhsa_exception_int_div_zero 0
	.end_amdhsa_kernel
	.section	.text._ZN7rocprim17ROCPRIM_400000_NS6detail17trampoline_kernelINS0_14default_configENS1_36segmented_radix_sort_config_selectorIhlEEZNS1_25segmented_radix_sort_implIS3_Lb1EPKhPhPKlPlN2at6native12_GLOBAL__N_18offset_tEEE10hipError_tPvRmT1_PNSt15iterator_traitsISK_E10value_typeET2_T3_PNSL_ISQ_E10value_typeET4_jRbjT5_SW_jjP12ihipStream_tbEUlT_E1_NS1_11comp_targetILNS1_3genE4ELNS1_11target_archE910ELNS1_3gpuE8ELNS1_3repE0EEENS1_59segmented_radix_sort_warp_sort_small_config_static_selectorELNS0_4arch9wavefront6targetE0EEEvSK_,"axG",@progbits,_ZN7rocprim17ROCPRIM_400000_NS6detail17trampoline_kernelINS0_14default_configENS1_36segmented_radix_sort_config_selectorIhlEEZNS1_25segmented_radix_sort_implIS3_Lb1EPKhPhPKlPlN2at6native12_GLOBAL__N_18offset_tEEE10hipError_tPvRmT1_PNSt15iterator_traitsISK_E10value_typeET2_T3_PNSL_ISQ_E10value_typeET4_jRbjT5_SW_jjP12ihipStream_tbEUlT_E1_NS1_11comp_targetILNS1_3genE4ELNS1_11target_archE910ELNS1_3gpuE8ELNS1_3repE0EEENS1_59segmented_radix_sort_warp_sort_small_config_static_selectorELNS0_4arch9wavefront6targetE0EEEvSK_,comdat
.Lfunc_end105:
	.size	_ZN7rocprim17ROCPRIM_400000_NS6detail17trampoline_kernelINS0_14default_configENS1_36segmented_radix_sort_config_selectorIhlEEZNS1_25segmented_radix_sort_implIS3_Lb1EPKhPhPKlPlN2at6native12_GLOBAL__N_18offset_tEEE10hipError_tPvRmT1_PNSt15iterator_traitsISK_E10value_typeET2_T3_PNSL_ISQ_E10value_typeET4_jRbjT5_SW_jjP12ihipStream_tbEUlT_E1_NS1_11comp_targetILNS1_3genE4ELNS1_11target_archE910ELNS1_3gpuE8ELNS1_3repE0EEENS1_59segmented_radix_sort_warp_sort_small_config_static_selectorELNS0_4arch9wavefront6targetE0EEEvSK_, .Lfunc_end105-_ZN7rocprim17ROCPRIM_400000_NS6detail17trampoline_kernelINS0_14default_configENS1_36segmented_radix_sort_config_selectorIhlEEZNS1_25segmented_radix_sort_implIS3_Lb1EPKhPhPKlPlN2at6native12_GLOBAL__N_18offset_tEEE10hipError_tPvRmT1_PNSt15iterator_traitsISK_E10value_typeET2_T3_PNSL_ISQ_E10value_typeET4_jRbjT5_SW_jjP12ihipStream_tbEUlT_E1_NS1_11comp_targetILNS1_3genE4ELNS1_11target_archE910ELNS1_3gpuE8ELNS1_3repE0EEENS1_59segmented_radix_sort_warp_sort_small_config_static_selectorELNS0_4arch9wavefront6targetE0EEEvSK_
                                        ; -- End function
	.set _ZN7rocprim17ROCPRIM_400000_NS6detail17trampoline_kernelINS0_14default_configENS1_36segmented_radix_sort_config_selectorIhlEEZNS1_25segmented_radix_sort_implIS3_Lb1EPKhPhPKlPlN2at6native12_GLOBAL__N_18offset_tEEE10hipError_tPvRmT1_PNSt15iterator_traitsISK_E10value_typeET2_T3_PNSL_ISQ_E10value_typeET4_jRbjT5_SW_jjP12ihipStream_tbEUlT_E1_NS1_11comp_targetILNS1_3genE4ELNS1_11target_archE910ELNS1_3gpuE8ELNS1_3repE0EEENS1_59segmented_radix_sort_warp_sort_small_config_static_selectorELNS0_4arch9wavefront6targetE0EEEvSK_.num_vgpr, 0
	.set _ZN7rocprim17ROCPRIM_400000_NS6detail17trampoline_kernelINS0_14default_configENS1_36segmented_radix_sort_config_selectorIhlEEZNS1_25segmented_radix_sort_implIS3_Lb1EPKhPhPKlPlN2at6native12_GLOBAL__N_18offset_tEEE10hipError_tPvRmT1_PNSt15iterator_traitsISK_E10value_typeET2_T3_PNSL_ISQ_E10value_typeET4_jRbjT5_SW_jjP12ihipStream_tbEUlT_E1_NS1_11comp_targetILNS1_3genE4ELNS1_11target_archE910ELNS1_3gpuE8ELNS1_3repE0EEENS1_59segmented_radix_sort_warp_sort_small_config_static_selectorELNS0_4arch9wavefront6targetE0EEEvSK_.num_agpr, 0
	.set _ZN7rocprim17ROCPRIM_400000_NS6detail17trampoline_kernelINS0_14default_configENS1_36segmented_radix_sort_config_selectorIhlEEZNS1_25segmented_radix_sort_implIS3_Lb1EPKhPhPKlPlN2at6native12_GLOBAL__N_18offset_tEEE10hipError_tPvRmT1_PNSt15iterator_traitsISK_E10value_typeET2_T3_PNSL_ISQ_E10value_typeET4_jRbjT5_SW_jjP12ihipStream_tbEUlT_E1_NS1_11comp_targetILNS1_3genE4ELNS1_11target_archE910ELNS1_3gpuE8ELNS1_3repE0EEENS1_59segmented_radix_sort_warp_sort_small_config_static_selectorELNS0_4arch9wavefront6targetE0EEEvSK_.numbered_sgpr, 0
	.set _ZN7rocprim17ROCPRIM_400000_NS6detail17trampoline_kernelINS0_14default_configENS1_36segmented_radix_sort_config_selectorIhlEEZNS1_25segmented_radix_sort_implIS3_Lb1EPKhPhPKlPlN2at6native12_GLOBAL__N_18offset_tEEE10hipError_tPvRmT1_PNSt15iterator_traitsISK_E10value_typeET2_T3_PNSL_ISQ_E10value_typeET4_jRbjT5_SW_jjP12ihipStream_tbEUlT_E1_NS1_11comp_targetILNS1_3genE4ELNS1_11target_archE910ELNS1_3gpuE8ELNS1_3repE0EEENS1_59segmented_radix_sort_warp_sort_small_config_static_selectorELNS0_4arch9wavefront6targetE0EEEvSK_.num_named_barrier, 0
	.set _ZN7rocprim17ROCPRIM_400000_NS6detail17trampoline_kernelINS0_14default_configENS1_36segmented_radix_sort_config_selectorIhlEEZNS1_25segmented_radix_sort_implIS3_Lb1EPKhPhPKlPlN2at6native12_GLOBAL__N_18offset_tEEE10hipError_tPvRmT1_PNSt15iterator_traitsISK_E10value_typeET2_T3_PNSL_ISQ_E10value_typeET4_jRbjT5_SW_jjP12ihipStream_tbEUlT_E1_NS1_11comp_targetILNS1_3genE4ELNS1_11target_archE910ELNS1_3gpuE8ELNS1_3repE0EEENS1_59segmented_radix_sort_warp_sort_small_config_static_selectorELNS0_4arch9wavefront6targetE0EEEvSK_.private_seg_size, 0
	.set _ZN7rocprim17ROCPRIM_400000_NS6detail17trampoline_kernelINS0_14default_configENS1_36segmented_radix_sort_config_selectorIhlEEZNS1_25segmented_radix_sort_implIS3_Lb1EPKhPhPKlPlN2at6native12_GLOBAL__N_18offset_tEEE10hipError_tPvRmT1_PNSt15iterator_traitsISK_E10value_typeET2_T3_PNSL_ISQ_E10value_typeET4_jRbjT5_SW_jjP12ihipStream_tbEUlT_E1_NS1_11comp_targetILNS1_3genE4ELNS1_11target_archE910ELNS1_3gpuE8ELNS1_3repE0EEENS1_59segmented_radix_sort_warp_sort_small_config_static_selectorELNS0_4arch9wavefront6targetE0EEEvSK_.uses_vcc, 0
	.set _ZN7rocprim17ROCPRIM_400000_NS6detail17trampoline_kernelINS0_14default_configENS1_36segmented_radix_sort_config_selectorIhlEEZNS1_25segmented_radix_sort_implIS3_Lb1EPKhPhPKlPlN2at6native12_GLOBAL__N_18offset_tEEE10hipError_tPvRmT1_PNSt15iterator_traitsISK_E10value_typeET2_T3_PNSL_ISQ_E10value_typeET4_jRbjT5_SW_jjP12ihipStream_tbEUlT_E1_NS1_11comp_targetILNS1_3genE4ELNS1_11target_archE910ELNS1_3gpuE8ELNS1_3repE0EEENS1_59segmented_radix_sort_warp_sort_small_config_static_selectorELNS0_4arch9wavefront6targetE0EEEvSK_.uses_flat_scratch, 0
	.set _ZN7rocprim17ROCPRIM_400000_NS6detail17trampoline_kernelINS0_14default_configENS1_36segmented_radix_sort_config_selectorIhlEEZNS1_25segmented_radix_sort_implIS3_Lb1EPKhPhPKlPlN2at6native12_GLOBAL__N_18offset_tEEE10hipError_tPvRmT1_PNSt15iterator_traitsISK_E10value_typeET2_T3_PNSL_ISQ_E10value_typeET4_jRbjT5_SW_jjP12ihipStream_tbEUlT_E1_NS1_11comp_targetILNS1_3genE4ELNS1_11target_archE910ELNS1_3gpuE8ELNS1_3repE0EEENS1_59segmented_radix_sort_warp_sort_small_config_static_selectorELNS0_4arch9wavefront6targetE0EEEvSK_.has_dyn_sized_stack, 0
	.set _ZN7rocprim17ROCPRIM_400000_NS6detail17trampoline_kernelINS0_14default_configENS1_36segmented_radix_sort_config_selectorIhlEEZNS1_25segmented_radix_sort_implIS3_Lb1EPKhPhPKlPlN2at6native12_GLOBAL__N_18offset_tEEE10hipError_tPvRmT1_PNSt15iterator_traitsISK_E10value_typeET2_T3_PNSL_ISQ_E10value_typeET4_jRbjT5_SW_jjP12ihipStream_tbEUlT_E1_NS1_11comp_targetILNS1_3genE4ELNS1_11target_archE910ELNS1_3gpuE8ELNS1_3repE0EEENS1_59segmented_radix_sort_warp_sort_small_config_static_selectorELNS0_4arch9wavefront6targetE0EEEvSK_.has_recursion, 0
	.set _ZN7rocprim17ROCPRIM_400000_NS6detail17trampoline_kernelINS0_14default_configENS1_36segmented_radix_sort_config_selectorIhlEEZNS1_25segmented_radix_sort_implIS3_Lb1EPKhPhPKlPlN2at6native12_GLOBAL__N_18offset_tEEE10hipError_tPvRmT1_PNSt15iterator_traitsISK_E10value_typeET2_T3_PNSL_ISQ_E10value_typeET4_jRbjT5_SW_jjP12ihipStream_tbEUlT_E1_NS1_11comp_targetILNS1_3genE4ELNS1_11target_archE910ELNS1_3gpuE8ELNS1_3repE0EEENS1_59segmented_radix_sort_warp_sort_small_config_static_selectorELNS0_4arch9wavefront6targetE0EEEvSK_.has_indirect_call, 0
	.section	.AMDGPU.csdata,"",@progbits
; Kernel info:
; codeLenInByte = 0
; TotalNumSgprs: 0
; NumVgprs: 0
; ScratchSize: 0
; MemoryBound: 0
; FloatMode: 240
; IeeeMode: 1
; LDSByteSize: 0 bytes/workgroup (compile time only)
; SGPRBlocks: 0
; VGPRBlocks: 0
; NumSGPRsForWavesPerEU: 1
; NumVGPRsForWavesPerEU: 1
; Occupancy: 16
; WaveLimiterHint : 0
; COMPUTE_PGM_RSRC2:SCRATCH_EN: 0
; COMPUTE_PGM_RSRC2:USER_SGPR: 2
; COMPUTE_PGM_RSRC2:TRAP_HANDLER: 0
; COMPUTE_PGM_RSRC2:TGID_X_EN: 1
; COMPUTE_PGM_RSRC2:TGID_Y_EN: 0
; COMPUTE_PGM_RSRC2:TGID_Z_EN: 0
; COMPUTE_PGM_RSRC2:TIDIG_COMP_CNT: 0
	.section	.text._ZN7rocprim17ROCPRIM_400000_NS6detail17trampoline_kernelINS0_14default_configENS1_36segmented_radix_sort_config_selectorIhlEEZNS1_25segmented_radix_sort_implIS3_Lb1EPKhPhPKlPlN2at6native12_GLOBAL__N_18offset_tEEE10hipError_tPvRmT1_PNSt15iterator_traitsISK_E10value_typeET2_T3_PNSL_ISQ_E10value_typeET4_jRbjT5_SW_jjP12ihipStream_tbEUlT_E1_NS1_11comp_targetILNS1_3genE3ELNS1_11target_archE908ELNS1_3gpuE7ELNS1_3repE0EEENS1_59segmented_radix_sort_warp_sort_small_config_static_selectorELNS0_4arch9wavefront6targetE0EEEvSK_,"axG",@progbits,_ZN7rocprim17ROCPRIM_400000_NS6detail17trampoline_kernelINS0_14default_configENS1_36segmented_radix_sort_config_selectorIhlEEZNS1_25segmented_radix_sort_implIS3_Lb1EPKhPhPKlPlN2at6native12_GLOBAL__N_18offset_tEEE10hipError_tPvRmT1_PNSt15iterator_traitsISK_E10value_typeET2_T3_PNSL_ISQ_E10value_typeET4_jRbjT5_SW_jjP12ihipStream_tbEUlT_E1_NS1_11comp_targetILNS1_3genE3ELNS1_11target_archE908ELNS1_3gpuE7ELNS1_3repE0EEENS1_59segmented_radix_sort_warp_sort_small_config_static_selectorELNS0_4arch9wavefront6targetE0EEEvSK_,comdat
	.globl	_ZN7rocprim17ROCPRIM_400000_NS6detail17trampoline_kernelINS0_14default_configENS1_36segmented_radix_sort_config_selectorIhlEEZNS1_25segmented_radix_sort_implIS3_Lb1EPKhPhPKlPlN2at6native12_GLOBAL__N_18offset_tEEE10hipError_tPvRmT1_PNSt15iterator_traitsISK_E10value_typeET2_T3_PNSL_ISQ_E10value_typeET4_jRbjT5_SW_jjP12ihipStream_tbEUlT_E1_NS1_11comp_targetILNS1_3genE3ELNS1_11target_archE908ELNS1_3gpuE7ELNS1_3repE0EEENS1_59segmented_radix_sort_warp_sort_small_config_static_selectorELNS0_4arch9wavefront6targetE0EEEvSK_ ; -- Begin function _ZN7rocprim17ROCPRIM_400000_NS6detail17trampoline_kernelINS0_14default_configENS1_36segmented_radix_sort_config_selectorIhlEEZNS1_25segmented_radix_sort_implIS3_Lb1EPKhPhPKlPlN2at6native12_GLOBAL__N_18offset_tEEE10hipError_tPvRmT1_PNSt15iterator_traitsISK_E10value_typeET2_T3_PNSL_ISQ_E10value_typeET4_jRbjT5_SW_jjP12ihipStream_tbEUlT_E1_NS1_11comp_targetILNS1_3genE3ELNS1_11target_archE908ELNS1_3gpuE7ELNS1_3repE0EEENS1_59segmented_radix_sort_warp_sort_small_config_static_selectorELNS0_4arch9wavefront6targetE0EEEvSK_
	.p2align	8
	.type	_ZN7rocprim17ROCPRIM_400000_NS6detail17trampoline_kernelINS0_14default_configENS1_36segmented_radix_sort_config_selectorIhlEEZNS1_25segmented_radix_sort_implIS3_Lb1EPKhPhPKlPlN2at6native12_GLOBAL__N_18offset_tEEE10hipError_tPvRmT1_PNSt15iterator_traitsISK_E10value_typeET2_T3_PNSL_ISQ_E10value_typeET4_jRbjT5_SW_jjP12ihipStream_tbEUlT_E1_NS1_11comp_targetILNS1_3genE3ELNS1_11target_archE908ELNS1_3gpuE7ELNS1_3repE0EEENS1_59segmented_radix_sort_warp_sort_small_config_static_selectorELNS0_4arch9wavefront6targetE0EEEvSK_,@function
_ZN7rocprim17ROCPRIM_400000_NS6detail17trampoline_kernelINS0_14default_configENS1_36segmented_radix_sort_config_selectorIhlEEZNS1_25segmented_radix_sort_implIS3_Lb1EPKhPhPKlPlN2at6native12_GLOBAL__N_18offset_tEEE10hipError_tPvRmT1_PNSt15iterator_traitsISK_E10value_typeET2_T3_PNSL_ISQ_E10value_typeET4_jRbjT5_SW_jjP12ihipStream_tbEUlT_E1_NS1_11comp_targetILNS1_3genE3ELNS1_11target_archE908ELNS1_3gpuE7ELNS1_3repE0EEENS1_59segmented_radix_sort_warp_sort_small_config_static_selectorELNS0_4arch9wavefront6targetE0EEEvSK_: ; @_ZN7rocprim17ROCPRIM_400000_NS6detail17trampoline_kernelINS0_14default_configENS1_36segmented_radix_sort_config_selectorIhlEEZNS1_25segmented_radix_sort_implIS3_Lb1EPKhPhPKlPlN2at6native12_GLOBAL__N_18offset_tEEE10hipError_tPvRmT1_PNSt15iterator_traitsISK_E10value_typeET2_T3_PNSL_ISQ_E10value_typeET4_jRbjT5_SW_jjP12ihipStream_tbEUlT_E1_NS1_11comp_targetILNS1_3genE3ELNS1_11target_archE908ELNS1_3gpuE7ELNS1_3repE0EEENS1_59segmented_radix_sort_warp_sort_small_config_static_selectorELNS0_4arch9wavefront6targetE0EEEvSK_
; %bb.0:
	.section	.rodata,"a",@progbits
	.p2align	6, 0x0
	.amdhsa_kernel _ZN7rocprim17ROCPRIM_400000_NS6detail17trampoline_kernelINS0_14default_configENS1_36segmented_radix_sort_config_selectorIhlEEZNS1_25segmented_radix_sort_implIS3_Lb1EPKhPhPKlPlN2at6native12_GLOBAL__N_18offset_tEEE10hipError_tPvRmT1_PNSt15iterator_traitsISK_E10value_typeET2_T3_PNSL_ISQ_E10value_typeET4_jRbjT5_SW_jjP12ihipStream_tbEUlT_E1_NS1_11comp_targetILNS1_3genE3ELNS1_11target_archE908ELNS1_3gpuE7ELNS1_3repE0EEENS1_59segmented_radix_sort_warp_sort_small_config_static_selectorELNS0_4arch9wavefront6targetE0EEEvSK_
		.amdhsa_group_segment_fixed_size 0
		.amdhsa_private_segment_fixed_size 0
		.amdhsa_kernarg_size 88
		.amdhsa_user_sgpr_count 2
		.amdhsa_user_sgpr_dispatch_ptr 0
		.amdhsa_user_sgpr_queue_ptr 0
		.amdhsa_user_sgpr_kernarg_segment_ptr 1
		.amdhsa_user_sgpr_dispatch_id 0
		.amdhsa_user_sgpr_private_segment_size 0
		.amdhsa_wavefront_size32 1
		.amdhsa_uses_dynamic_stack 0
		.amdhsa_enable_private_segment 0
		.amdhsa_system_sgpr_workgroup_id_x 1
		.amdhsa_system_sgpr_workgroup_id_y 0
		.amdhsa_system_sgpr_workgroup_id_z 0
		.amdhsa_system_sgpr_workgroup_info 0
		.amdhsa_system_vgpr_workitem_id 0
		.amdhsa_next_free_vgpr 1
		.amdhsa_next_free_sgpr 1
		.amdhsa_reserve_vcc 0
		.amdhsa_float_round_mode_32 0
		.amdhsa_float_round_mode_16_64 0
		.amdhsa_float_denorm_mode_32 3
		.amdhsa_float_denorm_mode_16_64 3
		.amdhsa_fp16_overflow 0
		.amdhsa_workgroup_processor_mode 1
		.amdhsa_memory_ordered 1
		.amdhsa_forward_progress 1
		.amdhsa_inst_pref_size 0
		.amdhsa_round_robin_scheduling 0
		.amdhsa_exception_fp_ieee_invalid_op 0
		.amdhsa_exception_fp_denorm_src 0
		.amdhsa_exception_fp_ieee_div_zero 0
		.amdhsa_exception_fp_ieee_overflow 0
		.amdhsa_exception_fp_ieee_underflow 0
		.amdhsa_exception_fp_ieee_inexact 0
		.amdhsa_exception_int_div_zero 0
	.end_amdhsa_kernel
	.section	.text._ZN7rocprim17ROCPRIM_400000_NS6detail17trampoline_kernelINS0_14default_configENS1_36segmented_radix_sort_config_selectorIhlEEZNS1_25segmented_radix_sort_implIS3_Lb1EPKhPhPKlPlN2at6native12_GLOBAL__N_18offset_tEEE10hipError_tPvRmT1_PNSt15iterator_traitsISK_E10value_typeET2_T3_PNSL_ISQ_E10value_typeET4_jRbjT5_SW_jjP12ihipStream_tbEUlT_E1_NS1_11comp_targetILNS1_3genE3ELNS1_11target_archE908ELNS1_3gpuE7ELNS1_3repE0EEENS1_59segmented_radix_sort_warp_sort_small_config_static_selectorELNS0_4arch9wavefront6targetE0EEEvSK_,"axG",@progbits,_ZN7rocprim17ROCPRIM_400000_NS6detail17trampoline_kernelINS0_14default_configENS1_36segmented_radix_sort_config_selectorIhlEEZNS1_25segmented_radix_sort_implIS3_Lb1EPKhPhPKlPlN2at6native12_GLOBAL__N_18offset_tEEE10hipError_tPvRmT1_PNSt15iterator_traitsISK_E10value_typeET2_T3_PNSL_ISQ_E10value_typeET4_jRbjT5_SW_jjP12ihipStream_tbEUlT_E1_NS1_11comp_targetILNS1_3genE3ELNS1_11target_archE908ELNS1_3gpuE7ELNS1_3repE0EEENS1_59segmented_radix_sort_warp_sort_small_config_static_selectorELNS0_4arch9wavefront6targetE0EEEvSK_,comdat
.Lfunc_end106:
	.size	_ZN7rocprim17ROCPRIM_400000_NS6detail17trampoline_kernelINS0_14default_configENS1_36segmented_radix_sort_config_selectorIhlEEZNS1_25segmented_radix_sort_implIS3_Lb1EPKhPhPKlPlN2at6native12_GLOBAL__N_18offset_tEEE10hipError_tPvRmT1_PNSt15iterator_traitsISK_E10value_typeET2_T3_PNSL_ISQ_E10value_typeET4_jRbjT5_SW_jjP12ihipStream_tbEUlT_E1_NS1_11comp_targetILNS1_3genE3ELNS1_11target_archE908ELNS1_3gpuE7ELNS1_3repE0EEENS1_59segmented_radix_sort_warp_sort_small_config_static_selectorELNS0_4arch9wavefront6targetE0EEEvSK_, .Lfunc_end106-_ZN7rocprim17ROCPRIM_400000_NS6detail17trampoline_kernelINS0_14default_configENS1_36segmented_radix_sort_config_selectorIhlEEZNS1_25segmented_radix_sort_implIS3_Lb1EPKhPhPKlPlN2at6native12_GLOBAL__N_18offset_tEEE10hipError_tPvRmT1_PNSt15iterator_traitsISK_E10value_typeET2_T3_PNSL_ISQ_E10value_typeET4_jRbjT5_SW_jjP12ihipStream_tbEUlT_E1_NS1_11comp_targetILNS1_3genE3ELNS1_11target_archE908ELNS1_3gpuE7ELNS1_3repE0EEENS1_59segmented_radix_sort_warp_sort_small_config_static_selectorELNS0_4arch9wavefront6targetE0EEEvSK_
                                        ; -- End function
	.set _ZN7rocprim17ROCPRIM_400000_NS6detail17trampoline_kernelINS0_14default_configENS1_36segmented_radix_sort_config_selectorIhlEEZNS1_25segmented_radix_sort_implIS3_Lb1EPKhPhPKlPlN2at6native12_GLOBAL__N_18offset_tEEE10hipError_tPvRmT1_PNSt15iterator_traitsISK_E10value_typeET2_T3_PNSL_ISQ_E10value_typeET4_jRbjT5_SW_jjP12ihipStream_tbEUlT_E1_NS1_11comp_targetILNS1_3genE3ELNS1_11target_archE908ELNS1_3gpuE7ELNS1_3repE0EEENS1_59segmented_radix_sort_warp_sort_small_config_static_selectorELNS0_4arch9wavefront6targetE0EEEvSK_.num_vgpr, 0
	.set _ZN7rocprim17ROCPRIM_400000_NS6detail17trampoline_kernelINS0_14default_configENS1_36segmented_radix_sort_config_selectorIhlEEZNS1_25segmented_radix_sort_implIS3_Lb1EPKhPhPKlPlN2at6native12_GLOBAL__N_18offset_tEEE10hipError_tPvRmT1_PNSt15iterator_traitsISK_E10value_typeET2_T3_PNSL_ISQ_E10value_typeET4_jRbjT5_SW_jjP12ihipStream_tbEUlT_E1_NS1_11comp_targetILNS1_3genE3ELNS1_11target_archE908ELNS1_3gpuE7ELNS1_3repE0EEENS1_59segmented_radix_sort_warp_sort_small_config_static_selectorELNS0_4arch9wavefront6targetE0EEEvSK_.num_agpr, 0
	.set _ZN7rocprim17ROCPRIM_400000_NS6detail17trampoline_kernelINS0_14default_configENS1_36segmented_radix_sort_config_selectorIhlEEZNS1_25segmented_radix_sort_implIS3_Lb1EPKhPhPKlPlN2at6native12_GLOBAL__N_18offset_tEEE10hipError_tPvRmT1_PNSt15iterator_traitsISK_E10value_typeET2_T3_PNSL_ISQ_E10value_typeET4_jRbjT5_SW_jjP12ihipStream_tbEUlT_E1_NS1_11comp_targetILNS1_3genE3ELNS1_11target_archE908ELNS1_3gpuE7ELNS1_3repE0EEENS1_59segmented_radix_sort_warp_sort_small_config_static_selectorELNS0_4arch9wavefront6targetE0EEEvSK_.numbered_sgpr, 0
	.set _ZN7rocprim17ROCPRIM_400000_NS6detail17trampoline_kernelINS0_14default_configENS1_36segmented_radix_sort_config_selectorIhlEEZNS1_25segmented_radix_sort_implIS3_Lb1EPKhPhPKlPlN2at6native12_GLOBAL__N_18offset_tEEE10hipError_tPvRmT1_PNSt15iterator_traitsISK_E10value_typeET2_T3_PNSL_ISQ_E10value_typeET4_jRbjT5_SW_jjP12ihipStream_tbEUlT_E1_NS1_11comp_targetILNS1_3genE3ELNS1_11target_archE908ELNS1_3gpuE7ELNS1_3repE0EEENS1_59segmented_radix_sort_warp_sort_small_config_static_selectorELNS0_4arch9wavefront6targetE0EEEvSK_.num_named_barrier, 0
	.set _ZN7rocprim17ROCPRIM_400000_NS6detail17trampoline_kernelINS0_14default_configENS1_36segmented_radix_sort_config_selectorIhlEEZNS1_25segmented_radix_sort_implIS3_Lb1EPKhPhPKlPlN2at6native12_GLOBAL__N_18offset_tEEE10hipError_tPvRmT1_PNSt15iterator_traitsISK_E10value_typeET2_T3_PNSL_ISQ_E10value_typeET4_jRbjT5_SW_jjP12ihipStream_tbEUlT_E1_NS1_11comp_targetILNS1_3genE3ELNS1_11target_archE908ELNS1_3gpuE7ELNS1_3repE0EEENS1_59segmented_radix_sort_warp_sort_small_config_static_selectorELNS0_4arch9wavefront6targetE0EEEvSK_.private_seg_size, 0
	.set _ZN7rocprim17ROCPRIM_400000_NS6detail17trampoline_kernelINS0_14default_configENS1_36segmented_radix_sort_config_selectorIhlEEZNS1_25segmented_radix_sort_implIS3_Lb1EPKhPhPKlPlN2at6native12_GLOBAL__N_18offset_tEEE10hipError_tPvRmT1_PNSt15iterator_traitsISK_E10value_typeET2_T3_PNSL_ISQ_E10value_typeET4_jRbjT5_SW_jjP12ihipStream_tbEUlT_E1_NS1_11comp_targetILNS1_3genE3ELNS1_11target_archE908ELNS1_3gpuE7ELNS1_3repE0EEENS1_59segmented_radix_sort_warp_sort_small_config_static_selectorELNS0_4arch9wavefront6targetE0EEEvSK_.uses_vcc, 0
	.set _ZN7rocprim17ROCPRIM_400000_NS6detail17trampoline_kernelINS0_14default_configENS1_36segmented_radix_sort_config_selectorIhlEEZNS1_25segmented_radix_sort_implIS3_Lb1EPKhPhPKlPlN2at6native12_GLOBAL__N_18offset_tEEE10hipError_tPvRmT1_PNSt15iterator_traitsISK_E10value_typeET2_T3_PNSL_ISQ_E10value_typeET4_jRbjT5_SW_jjP12ihipStream_tbEUlT_E1_NS1_11comp_targetILNS1_3genE3ELNS1_11target_archE908ELNS1_3gpuE7ELNS1_3repE0EEENS1_59segmented_radix_sort_warp_sort_small_config_static_selectorELNS0_4arch9wavefront6targetE0EEEvSK_.uses_flat_scratch, 0
	.set _ZN7rocprim17ROCPRIM_400000_NS6detail17trampoline_kernelINS0_14default_configENS1_36segmented_radix_sort_config_selectorIhlEEZNS1_25segmented_radix_sort_implIS3_Lb1EPKhPhPKlPlN2at6native12_GLOBAL__N_18offset_tEEE10hipError_tPvRmT1_PNSt15iterator_traitsISK_E10value_typeET2_T3_PNSL_ISQ_E10value_typeET4_jRbjT5_SW_jjP12ihipStream_tbEUlT_E1_NS1_11comp_targetILNS1_3genE3ELNS1_11target_archE908ELNS1_3gpuE7ELNS1_3repE0EEENS1_59segmented_radix_sort_warp_sort_small_config_static_selectorELNS0_4arch9wavefront6targetE0EEEvSK_.has_dyn_sized_stack, 0
	.set _ZN7rocprim17ROCPRIM_400000_NS6detail17trampoline_kernelINS0_14default_configENS1_36segmented_radix_sort_config_selectorIhlEEZNS1_25segmented_radix_sort_implIS3_Lb1EPKhPhPKlPlN2at6native12_GLOBAL__N_18offset_tEEE10hipError_tPvRmT1_PNSt15iterator_traitsISK_E10value_typeET2_T3_PNSL_ISQ_E10value_typeET4_jRbjT5_SW_jjP12ihipStream_tbEUlT_E1_NS1_11comp_targetILNS1_3genE3ELNS1_11target_archE908ELNS1_3gpuE7ELNS1_3repE0EEENS1_59segmented_radix_sort_warp_sort_small_config_static_selectorELNS0_4arch9wavefront6targetE0EEEvSK_.has_recursion, 0
	.set _ZN7rocprim17ROCPRIM_400000_NS6detail17trampoline_kernelINS0_14default_configENS1_36segmented_radix_sort_config_selectorIhlEEZNS1_25segmented_radix_sort_implIS3_Lb1EPKhPhPKlPlN2at6native12_GLOBAL__N_18offset_tEEE10hipError_tPvRmT1_PNSt15iterator_traitsISK_E10value_typeET2_T3_PNSL_ISQ_E10value_typeET4_jRbjT5_SW_jjP12ihipStream_tbEUlT_E1_NS1_11comp_targetILNS1_3genE3ELNS1_11target_archE908ELNS1_3gpuE7ELNS1_3repE0EEENS1_59segmented_radix_sort_warp_sort_small_config_static_selectorELNS0_4arch9wavefront6targetE0EEEvSK_.has_indirect_call, 0
	.section	.AMDGPU.csdata,"",@progbits
; Kernel info:
; codeLenInByte = 0
; TotalNumSgprs: 0
; NumVgprs: 0
; ScratchSize: 0
; MemoryBound: 0
; FloatMode: 240
; IeeeMode: 1
; LDSByteSize: 0 bytes/workgroup (compile time only)
; SGPRBlocks: 0
; VGPRBlocks: 0
; NumSGPRsForWavesPerEU: 1
; NumVGPRsForWavesPerEU: 1
; Occupancy: 16
; WaveLimiterHint : 0
; COMPUTE_PGM_RSRC2:SCRATCH_EN: 0
; COMPUTE_PGM_RSRC2:USER_SGPR: 2
; COMPUTE_PGM_RSRC2:TRAP_HANDLER: 0
; COMPUTE_PGM_RSRC2:TGID_X_EN: 1
; COMPUTE_PGM_RSRC2:TGID_Y_EN: 0
; COMPUTE_PGM_RSRC2:TGID_Z_EN: 0
; COMPUTE_PGM_RSRC2:TIDIG_COMP_CNT: 0
	.section	.text._ZN7rocprim17ROCPRIM_400000_NS6detail17trampoline_kernelINS0_14default_configENS1_36segmented_radix_sort_config_selectorIhlEEZNS1_25segmented_radix_sort_implIS3_Lb1EPKhPhPKlPlN2at6native12_GLOBAL__N_18offset_tEEE10hipError_tPvRmT1_PNSt15iterator_traitsISK_E10value_typeET2_T3_PNSL_ISQ_E10value_typeET4_jRbjT5_SW_jjP12ihipStream_tbEUlT_E1_NS1_11comp_targetILNS1_3genE2ELNS1_11target_archE906ELNS1_3gpuE6ELNS1_3repE0EEENS1_59segmented_radix_sort_warp_sort_small_config_static_selectorELNS0_4arch9wavefront6targetE0EEEvSK_,"axG",@progbits,_ZN7rocprim17ROCPRIM_400000_NS6detail17trampoline_kernelINS0_14default_configENS1_36segmented_radix_sort_config_selectorIhlEEZNS1_25segmented_radix_sort_implIS3_Lb1EPKhPhPKlPlN2at6native12_GLOBAL__N_18offset_tEEE10hipError_tPvRmT1_PNSt15iterator_traitsISK_E10value_typeET2_T3_PNSL_ISQ_E10value_typeET4_jRbjT5_SW_jjP12ihipStream_tbEUlT_E1_NS1_11comp_targetILNS1_3genE2ELNS1_11target_archE906ELNS1_3gpuE6ELNS1_3repE0EEENS1_59segmented_radix_sort_warp_sort_small_config_static_selectorELNS0_4arch9wavefront6targetE0EEEvSK_,comdat
	.globl	_ZN7rocprim17ROCPRIM_400000_NS6detail17trampoline_kernelINS0_14default_configENS1_36segmented_radix_sort_config_selectorIhlEEZNS1_25segmented_radix_sort_implIS3_Lb1EPKhPhPKlPlN2at6native12_GLOBAL__N_18offset_tEEE10hipError_tPvRmT1_PNSt15iterator_traitsISK_E10value_typeET2_T3_PNSL_ISQ_E10value_typeET4_jRbjT5_SW_jjP12ihipStream_tbEUlT_E1_NS1_11comp_targetILNS1_3genE2ELNS1_11target_archE906ELNS1_3gpuE6ELNS1_3repE0EEENS1_59segmented_radix_sort_warp_sort_small_config_static_selectorELNS0_4arch9wavefront6targetE0EEEvSK_ ; -- Begin function _ZN7rocprim17ROCPRIM_400000_NS6detail17trampoline_kernelINS0_14default_configENS1_36segmented_radix_sort_config_selectorIhlEEZNS1_25segmented_radix_sort_implIS3_Lb1EPKhPhPKlPlN2at6native12_GLOBAL__N_18offset_tEEE10hipError_tPvRmT1_PNSt15iterator_traitsISK_E10value_typeET2_T3_PNSL_ISQ_E10value_typeET4_jRbjT5_SW_jjP12ihipStream_tbEUlT_E1_NS1_11comp_targetILNS1_3genE2ELNS1_11target_archE906ELNS1_3gpuE6ELNS1_3repE0EEENS1_59segmented_radix_sort_warp_sort_small_config_static_selectorELNS0_4arch9wavefront6targetE0EEEvSK_
	.p2align	8
	.type	_ZN7rocprim17ROCPRIM_400000_NS6detail17trampoline_kernelINS0_14default_configENS1_36segmented_radix_sort_config_selectorIhlEEZNS1_25segmented_radix_sort_implIS3_Lb1EPKhPhPKlPlN2at6native12_GLOBAL__N_18offset_tEEE10hipError_tPvRmT1_PNSt15iterator_traitsISK_E10value_typeET2_T3_PNSL_ISQ_E10value_typeET4_jRbjT5_SW_jjP12ihipStream_tbEUlT_E1_NS1_11comp_targetILNS1_3genE2ELNS1_11target_archE906ELNS1_3gpuE6ELNS1_3repE0EEENS1_59segmented_radix_sort_warp_sort_small_config_static_selectorELNS0_4arch9wavefront6targetE0EEEvSK_,@function
_ZN7rocprim17ROCPRIM_400000_NS6detail17trampoline_kernelINS0_14default_configENS1_36segmented_radix_sort_config_selectorIhlEEZNS1_25segmented_radix_sort_implIS3_Lb1EPKhPhPKlPlN2at6native12_GLOBAL__N_18offset_tEEE10hipError_tPvRmT1_PNSt15iterator_traitsISK_E10value_typeET2_T3_PNSL_ISQ_E10value_typeET4_jRbjT5_SW_jjP12ihipStream_tbEUlT_E1_NS1_11comp_targetILNS1_3genE2ELNS1_11target_archE906ELNS1_3gpuE6ELNS1_3repE0EEENS1_59segmented_radix_sort_warp_sort_small_config_static_selectorELNS0_4arch9wavefront6targetE0EEEvSK_: ; @_ZN7rocprim17ROCPRIM_400000_NS6detail17trampoline_kernelINS0_14default_configENS1_36segmented_radix_sort_config_selectorIhlEEZNS1_25segmented_radix_sort_implIS3_Lb1EPKhPhPKlPlN2at6native12_GLOBAL__N_18offset_tEEE10hipError_tPvRmT1_PNSt15iterator_traitsISK_E10value_typeET2_T3_PNSL_ISQ_E10value_typeET4_jRbjT5_SW_jjP12ihipStream_tbEUlT_E1_NS1_11comp_targetILNS1_3genE2ELNS1_11target_archE906ELNS1_3gpuE6ELNS1_3repE0EEENS1_59segmented_radix_sort_warp_sort_small_config_static_selectorELNS0_4arch9wavefront6targetE0EEEvSK_
; %bb.0:
	.section	.rodata,"a",@progbits
	.p2align	6, 0x0
	.amdhsa_kernel _ZN7rocprim17ROCPRIM_400000_NS6detail17trampoline_kernelINS0_14default_configENS1_36segmented_radix_sort_config_selectorIhlEEZNS1_25segmented_radix_sort_implIS3_Lb1EPKhPhPKlPlN2at6native12_GLOBAL__N_18offset_tEEE10hipError_tPvRmT1_PNSt15iterator_traitsISK_E10value_typeET2_T3_PNSL_ISQ_E10value_typeET4_jRbjT5_SW_jjP12ihipStream_tbEUlT_E1_NS1_11comp_targetILNS1_3genE2ELNS1_11target_archE906ELNS1_3gpuE6ELNS1_3repE0EEENS1_59segmented_radix_sort_warp_sort_small_config_static_selectorELNS0_4arch9wavefront6targetE0EEEvSK_
		.amdhsa_group_segment_fixed_size 0
		.amdhsa_private_segment_fixed_size 0
		.amdhsa_kernarg_size 88
		.amdhsa_user_sgpr_count 2
		.amdhsa_user_sgpr_dispatch_ptr 0
		.amdhsa_user_sgpr_queue_ptr 0
		.amdhsa_user_sgpr_kernarg_segment_ptr 1
		.amdhsa_user_sgpr_dispatch_id 0
		.amdhsa_user_sgpr_private_segment_size 0
		.amdhsa_wavefront_size32 1
		.amdhsa_uses_dynamic_stack 0
		.amdhsa_enable_private_segment 0
		.amdhsa_system_sgpr_workgroup_id_x 1
		.amdhsa_system_sgpr_workgroup_id_y 0
		.amdhsa_system_sgpr_workgroup_id_z 0
		.amdhsa_system_sgpr_workgroup_info 0
		.amdhsa_system_vgpr_workitem_id 0
		.amdhsa_next_free_vgpr 1
		.amdhsa_next_free_sgpr 1
		.amdhsa_reserve_vcc 0
		.amdhsa_float_round_mode_32 0
		.amdhsa_float_round_mode_16_64 0
		.amdhsa_float_denorm_mode_32 3
		.amdhsa_float_denorm_mode_16_64 3
		.amdhsa_fp16_overflow 0
		.amdhsa_workgroup_processor_mode 1
		.amdhsa_memory_ordered 1
		.amdhsa_forward_progress 1
		.amdhsa_inst_pref_size 0
		.amdhsa_round_robin_scheduling 0
		.amdhsa_exception_fp_ieee_invalid_op 0
		.amdhsa_exception_fp_denorm_src 0
		.amdhsa_exception_fp_ieee_div_zero 0
		.amdhsa_exception_fp_ieee_overflow 0
		.amdhsa_exception_fp_ieee_underflow 0
		.amdhsa_exception_fp_ieee_inexact 0
		.amdhsa_exception_int_div_zero 0
	.end_amdhsa_kernel
	.section	.text._ZN7rocprim17ROCPRIM_400000_NS6detail17trampoline_kernelINS0_14default_configENS1_36segmented_radix_sort_config_selectorIhlEEZNS1_25segmented_radix_sort_implIS3_Lb1EPKhPhPKlPlN2at6native12_GLOBAL__N_18offset_tEEE10hipError_tPvRmT1_PNSt15iterator_traitsISK_E10value_typeET2_T3_PNSL_ISQ_E10value_typeET4_jRbjT5_SW_jjP12ihipStream_tbEUlT_E1_NS1_11comp_targetILNS1_3genE2ELNS1_11target_archE906ELNS1_3gpuE6ELNS1_3repE0EEENS1_59segmented_radix_sort_warp_sort_small_config_static_selectorELNS0_4arch9wavefront6targetE0EEEvSK_,"axG",@progbits,_ZN7rocprim17ROCPRIM_400000_NS6detail17trampoline_kernelINS0_14default_configENS1_36segmented_radix_sort_config_selectorIhlEEZNS1_25segmented_radix_sort_implIS3_Lb1EPKhPhPKlPlN2at6native12_GLOBAL__N_18offset_tEEE10hipError_tPvRmT1_PNSt15iterator_traitsISK_E10value_typeET2_T3_PNSL_ISQ_E10value_typeET4_jRbjT5_SW_jjP12ihipStream_tbEUlT_E1_NS1_11comp_targetILNS1_3genE2ELNS1_11target_archE906ELNS1_3gpuE6ELNS1_3repE0EEENS1_59segmented_radix_sort_warp_sort_small_config_static_selectorELNS0_4arch9wavefront6targetE0EEEvSK_,comdat
.Lfunc_end107:
	.size	_ZN7rocprim17ROCPRIM_400000_NS6detail17trampoline_kernelINS0_14default_configENS1_36segmented_radix_sort_config_selectorIhlEEZNS1_25segmented_radix_sort_implIS3_Lb1EPKhPhPKlPlN2at6native12_GLOBAL__N_18offset_tEEE10hipError_tPvRmT1_PNSt15iterator_traitsISK_E10value_typeET2_T3_PNSL_ISQ_E10value_typeET4_jRbjT5_SW_jjP12ihipStream_tbEUlT_E1_NS1_11comp_targetILNS1_3genE2ELNS1_11target_archE906ELNS1_3gpuE6ELNS1_3repE0EEENS1_59segmented_radix_sort_warp_sort_small_config_static_selectorELNS0_4arch9wavefront6targetE0EEEvSK_, .Lfunc_end107-_ZN7rocprim17ROCPRIM_400000_NS6detail17trampoline_kernelINS0_14default_configENS1_36segmented_radix_sort_config_selectorIhlEEZNS1_25segmented_radix_sort_implIS3_Lb1EPKhPhPKlPlN2at6native12_GLOBAL__N_18offset_tEEE10hipError_tPvRmT1_PNSt15iterator_traitsISK_E10value_typeET2_T3_PNSL_ISQ_E10value_typeET4_jRbjT5_SW_jjP12ihipStream_tbEUlT_E1_NS1_11comp_targetILNS1_3genE2ELNS1_11target_archE906ELNS1_3gpuE6ELNS1_3repE0EEENS1_59segmented_radix_sort_warp_sort_small_config_static_selectorELNS0_4arch9wavefront6targetE0EEEvSK_
                                        ; -- End function
	.set _ZN7rocprim17ROCPRIM_400000_NS6detail17trampoline_kernelINS0_14default_configENS1_36segmented_radix_sort_config_selectorIhlEEZNS1_25segmented_radix_sort_implIS3_Lb1EPKhPhPKlPlN2at6native12_GLOBAL__N_18offset_tEEE10hipError_tPvRmT1_PNSt15iterator_traitsISK_E10value_typeET2_T3_PNSL_ISQ_E10value_typeET4_jRbjT5_SW_jjP12ihipStream_tbEUlT_E1_NS1_11comp_targetILNS1_3genE2ELNS1_11target_archE906ELNS1_3gpuE6ELNS1_3repE0EEENS1_59segmented_radix_sort_warp_sort_small_config_static_selectorELNS0_4arch9wavefront6targetE0EEEvSK_.num_vgpr, 0
	.set _ZN7rocprim17ROCPRIM_400000_NS6detail17trampoline_kernelINS0_14default_configENS1_36segmented_radix_sort_config_selectorIhlEEZNS1_25segmented_radix_sort_implIS3_Lb1EPKhPhPKlPlN2at6native12_GLOBAL__N_18offset_tEEE10hipError_tPvRmT1_PNSt15iterator_traitsISK_E10value_typeET2_T3_PNSL_ISQ_E10value_typeET4_jRbjT5_SW_jjP12ihipStream_tbEUlT_E1_NS1_11comp_targetILNS1_3genE2ELNS1_11target_archE906ELNS1_3gpuE6ELNS1_3repE0EEENS1_59segmented_radix_sort_warp_sort_small_config_static_selectorELNS0_4arch9wavefront6targetE0EEEvSK_.num_agpr, 0
	.set _ZN7rocprim17ROCPRIM_400000_NS6detail17trampoline_kernelINS0_14default_configENS1_36segmented_radix_sort_config_selectorIhlEEZNS1_25segmented_radix_sort_implIS3_Lb1EPKhPhPKlPlN2at6native12_GLOBAL__N_18offset_tEEE10hipError_tPvRmT1_PNSt15iterator_traitsISK_E10value_typeET2_T3_PNSL_ISQ_E10value_typeET4_jRbjT5_SW_jjP12ihipStream_tbEUlT_E1_NS1_11comp_targetILNS1_3genE2ELNS1_11target_archE906ELNS1_3gpuE6ELNS1_3repE0EEENS1_59segmented_radix_sort_warp_sort_small_config_static_selectorELNS0_4arch9wavefront6targetE0EEEvSK_.numbered_sgpr, 0
	.set _ZN7rocprim17ROCPRIM_400000_NS6detail17trampoline_kernelINS0_14default_configENS1_36segmented_radix_sort_config_selectorIhlEEZNS1_25segmented_radix_sort_implIS3_Lb1EPKhPhPKlPlN2at6native12_GLOBAL__N_18offset_tEEE10hipError_tPvRmT1_PNSt15iterator_traitsISK_E10value_typeET2_T3_PNSL_ISQ_E10value_typeET4_jRbjT5_SW_jjP12ihipStream_tbEUlT_E1_NS1_11comp_targetILNS1_3genE2ELNS1_11target_archE906ELNS1_3gpuE6ELNS1_3repE0EEENS1_59segmented_radix_sort_warp_sort_small_config_static_selectorELNS0_4arch9wavefront6targetE0EEEvSK_.num_named_barrier, 0
	.set _ZN7rocprim17ROCPRIM_400000_NS6detail17trampoline_kernelINS0_14default_configENS1_36segmented_radix_sort_config_selectorIhlEEZNS1_25segmented_radix_sort_implIS3_Lb1EPKhPhPKlPlN2at6native12_GLOBAL__N_18offset_tEEE10hipError_tPvRmT1_PNSt15iterator_traitsISK_E10value_typeET2_T3_PNSL_ISQ_E10value_typeET4_jRbjT5_SW_jjP12ihipStream_tbEUlT_E1_NS1_11comp_targetILNS1_3genE2ELNS1_11target_archE906ELNS1_3gpuE6ELNS1_3repE0EEENS1_59segmented_radix_sort_warp_sort_small_config_static_selectorELNS0_4arch9wavefront6targetE0EEEvSK_.private_seg_size, 0
	.set _ZN7rocprim17ROCPRIM_400000_NS6detail17trampoline_kernelINS0_14default_configENS1_36segmented_radix_sort_config_selectorIhlEEZNS1_25segmented_radix_sort_implIS3_Lb1EPKhPhPKlPlN2at6native12_GLOBAL__N_18offset_tEEE10hipError_tPvRmT1_PNSt15iterator_traitsISK_E10value_typeET2_T3_PNSL_ISQ_E10value_typeET4_jRbjT5_SW_jjP12ihipStream_tbEUlT_E1_NS1_11comp_targetILNS1_3genE2ELNS1_11target_archE906ELNS1_3gpuE6ELNS1_3repE0EEENS1_59segmented_radix_sort_warp_sort_small_config_static_selectorELNS0_4arch9wavefront6targetE0EEEvSK_.uses_vcc, 0
	.set _ZN7rocprim17ROCPRIM_400000_NS6detail17trampoline_kernelINS0_14default_configENS1_36segmented_radix_sort_config_selectorIhlEEZNS1_25segmented_radix_sort_implIS3_Lb1EPKhPhPKlPlN2at6native12_GLOBAL__N_18offset_tEEE10hipError_tPvRmT1_PNSt15iterator_traitsISK_E10value_typeET2_T3_PNSL_ISQ_E10value_typeET4_jRbjT5_SW_jjP12ihipStream_tbEUlT_E1_NS1_11comp_targetILNS1_3genE2ELNS1_11target_archE906ELNS1_3gpuE6ELNS1_3repE0EEENS1_59segmented_radix_sort_warp_sort_small_config_static_selectorELNS0_4arch9wavefront6targetE0EEEvSK_.uses_flat_scratch, 0
	.set _ZN7rocprim17ROCPRIM_400000_NS6detail17trampoline_kernelINS0_14default_configENS1_36segmented_radix_sort_config_selectorIhlEEZNS1_25segmented_radix_sort_implIS3_Lb1EPKhPhPKlPlN2at6native12_GLOBAL__N_18offset_tEEE10hipError_tPvRmT1_PNSt15iterator_traitsISK_E10value_typeET2_T3_PNSL_ISQ_E10value_typeET4_jRbjT5_SW_jjP12ihipStream_tbEUlT_E1_NS1_11comp_targetILNS1_3genE2ELNS1_11target_archE906ELNS1_3gpuE6ELNS1_3repE0EEENS1_59segmented_radix_sort_warp_sort_small_config_static_selectorELNS0_4arch9wavefront6targetE0EEEvSK_.has_dyn_sized_stack, 0
	.set _ZN7rocprim17ROCPRIM_400000_NS6detail17trampoline_kernelINS0_14default_configENS1_36segmented_radix_sort_config_selectorIhlEEZNS1_25segmented_radix_sort_implIS3_Lb1EPKhPhPKlPlN2at6native12_GLOBAL__N_18offset_tEEE10hipError_tPvRmT1_PNSt15iterator_traitsISK_E10value_typeET2_T3_PNSL_ISQ_E10value_typeET4_jRbjT5_SW_jjP12ihipStream_tbEUlT_E1_NS1_11comp_targetILNS1_3genE2ELNS1_11target_archE906ELNS1_3gpuE6ELNS1_3repE0EEENS1_59segmented_radix_sort_warp_sort_small_config_static_selectorELNS0_4arch9wavefront6targetE0EEEvSK_.has_recursion, 0
	.set _ZN7rocprim17ROCPRIM_400000_NS6detail17trampoline_kernelINS0_14default_configENS1_36segmented_radix_sort_config_selectorIhlEEZNS1_25segmented_radix_sort_implIS3_Lb1EPKhPhPKlPlN2at6native12_GLOBAL__N_18offset_tEEE10hipError_tPvRmT1_PNSt15iterator_traitsISK_E10value_typeET2_T3_PNSL_ISQ_E10value_typeET4_jRbjT5_SW_jjP12ihipStream_tbEUlT_E1_NS1_11comp_targetILNS1_3genE2ELNS1_11target_archE906ELNS1_3gpuE6ELNS1_3repE0EEENS1_59segmented_radix_sort_warp_sort_small_config_static_selectorELNS0_4arch9wavefront6targetE0EEEvSK_.has_indirect_call, 0
	.section	.AMDGPU.csdata,"",@progbits
; Kernel info:
; codeLenInByte = 0
; TotalNumSgprs: 0
; NumVgprs: 0
; ScratchSize: 0
; MemoryBound: 0
; FloatMode: 240
; IeeeMode: 1
; LDSByteSize: 0 bytes/workgroup (compile time only)
; SGPRBlocks: 0
; VGPRBlocks: 0
; NumSGPRsForWavesPerEU: 1
; NumVGPRsForWavesPerEU: 1
; Occupancy: 16
; WaveLimiterHint : 0
; COMPUTE_PGM_RSRC2:SCRATCH_EN: 0
; COMPUTE_PGM_RSRC2:USER_SGPR: 2
; COMPUTE_PGM_RSRC2:TRAP_HANDLER: 0
; COMPUTE_PGM_RSRC2:TGID_X_EN: 1
; COMPUTE_PGM_RSRC2:TGID_Y_EN: 0
; COMPUTE_PGM_RSRC2:TGID_Z_EN: 0
; COMPUTE_PGM_RSRC2:TIDIG_COMP_CNT: 0
	.text
	.p2align	2                               ; -- Begin function _ZN7rocprim17ROCPRIM_400000_NS6detail26segmented_warp_sort_helperINS1_20WarpSortHelperConfigILj8ELj4ELj256EEEhlLi256ELb1EvE4sortIPKhPhPKlPlEEvT_T0_T1_T2_jjjjRNS5_12storage_typeE
	.type	_ZN7rocprim17ROCPRIM_400000_NS6detail26segmented_warp_sort_helperINS1_20WarpSortHelperConfigILj8ELj4ELj256EEEhlLi256ELb1EvE4sortIPKhPhPKlPlEEvT_T0_T1_T2_jjjjRNS5_12storage_typeE,@function
_ZN7rocprim17ROCPRIM_400000_NS6detail26segmented_warp_sort_helperINS1_20WarpSortHelperConfigILj8ELj4ELj256EEEhlLi256ELb1EvE4sortIPKhPhPKlPlEEvT_T0_T1_T2_jjjjRNS5_12storage_typeE: ; @_ZN7rocprim17ROCPRIM_400000_NS6detail26segmented_warp_sort_helperINS1_20WarpSortHelperConfigILj8ELj4ELj256EEEhlLi256ELb1EvE4sortIPKhPhPKlPlEEvT_T0_T1_T2_jjjjRNS5_12storage_typeE
; %bb.0:
	s_wait_loadcnt_dscnt 0x0
	s_wait_expcnt 0x0
	s_wait_samplecnt 0x0
	s_wait_bvhcnt 0x0
	s_wait_kmcnt 0x0
	v_mbcnt_lo_u32_b32 v14, -1, 0
	v_add_co_u32 v0, vcc_lo, v0, v8
	s_wait_alu 0xfffd
	v_add_co_ci_u32_e64 v1, null, 0, v1, vcc_lo
	s_delay_alu instid0(VALU_DEP_3) | instskip(SKIP_1) | instid1(VALU_DEP_2)
	v_lshlrev_b32_e32 v24, 2, v14
	v_sub_nc_u32_e32 v14, v9, v8
	v_dual_mov_b32 v9, 0 :: v_dual_and_b32 v22, 28, v24
	s_delay_alu instid0(VALU_DEP_1) | instskip(NEXT) | instid1(VALU_DEP_2)
	v_mov_b32_e32 v25, v9
	v_add_co_u32 v0, vcc_lo, v0, v22
	s_wait_alu 0xfffd
	v_add_co_ci_u32_e64 v1, null, 0, v1, vcc_lo
	v_cmp_lt_u32_e32 vcc_lo, v22, v14
	s_and_saveexec_b32 s0, vcc_lo
	s_cbranch_execz .LBB108_2
; %bb.1:
	flat_load_u8 v25, v[0:1]
.LBB108_2:
	s_wait_alu 0xfffe
	s_or_b32 exec_lo, exec_lo, s0
	v_or_b32_e32 v15, 1, v22
	s_delay_alu instid0(VALU_DEP_1)
	v_cmp_lt_u32_e64 s0, v15, v14
	s_and_saveexec_b32 s1, s0
	s_cbranch_execz .LBB108_4
; %bb.3:
	flat_load_u8 v15, v[0:1] offset:1
	s_wait_loadcnt_dscnt 0x0
	v_lshlrev_b16 v15, 8, v15
	s_delay_alu instid0(VALU_DEP_1) | instskip(NEXT) | instid1(VALU_DEP_1)
	v_or_b32_e32 v15, v25, v15
	v_and_b32_e32 v25, 0xffff, v15
.LBB108_4:
	s_wait_alu 0xfffe
	s_or_b32 exec_lo, exec_lo, s1
	v_or_b32_e32 v15, 2, v22
	s_delay_alu instid0(VALU_DEP_1)
	v_cmp_lt_u32_e64 s1, v15, v14
	s_and_saveexec_b32 s2, s1
	s_cbranch_execz .LBB108_6
; %bb.5:
	flat_load_u8 v15, v[0:1] offset:2
	s_wait_loadcnt_dscnt 0x0
	v_lshl_or_b32 v25, v15, 16, v25
.LBB108_6:
	s_wait_alu 0xfffe
	s_or_b32 exec_lo, exec_lo, s2
	v_or_b32_e32 v15, 3, v22
	s_delay_alu instid0(VALU_DEP_1)
	v_cmp_lt_u32_e64 s2, v15, v14
	s_and_saveexec_b32 s3, s2
	s_cbranch_execz .LBB108_8
; %bb.7:
	flat_load_u8 v0, v[0:1] offset:3
	s_wait_loadcnt_dscnt 0x101
	v_lshrrev_b32_e32 v1, 16, v25
	s_wait_loadcnt_dscnt 0x0
	v_lshlrev_b16 v0, 8, v0
	s_delay_alu instid0(VALU_DEP_1) | instskip(NEXT) | instid1(VALU_DEP_1)
	v_or_b32_e32 v0, v1, v0
	v_lshlrev_b32_e32 v0, 16, v0
	s_delay_alu instid0(VALU_DEP_1)
	v_and_or_b32 v25, 0xffff, v25, v0
.LBB108_8:
	s_wait_alu 0xfffe
	s_or_b32 exec_lo, exec_lo, s3
	v_lshlrev_b64_e32 v[0:1], 3, v[8:9]
	v_lshlrev_b32_e32 v23, 3, v22
	; wave barrier
	s_delay_alu instid0(VALU_DEP_2) | instskip(SKIP_1) | instid1(VALU_DEP_3)
	v_add_co_u32 v4, s3, v4, v0
	s_wait_alu 0xf1ff
	v_add_co_ci_u32_e64 v5, null, v5, v1, s3
	s_delay_alu instid0(VALU_DEP_2) | instskip(SKIP_1) | instid1(VALU_DEP_2)
	v_add_co_u32 v20, s3, v4, v23
	s_wait_alu 0xf1ff
	v_add_co_ci_u32_e64 v21, null, 0, v5, s3
                                        ; implicit-def: $vgpr4_vgpr5
	s_and_saveexec_b32 s3, vcc_lo
	s_cbranch_execnz .LBB108_107
; %bb.9:
	s_wait_alu 0xfffe
	s_or_b32 exec_lo, exec_lo, s3
                                        ; implicit-def: $vgpr14_vgpr15
	s_and_saveexec_b32 s3, s0
	s_cbranch_execnz .LBB108_108
.LBB108_10:
	s_wait_alu 0xfffe
	s_or_b32 exec_lo, exec_lo, s3
                                        ; implicit-def: $vgpr18_vgpr19
	s_and_saveexec_b32 s3, s1
	s_cbranch_execnz .LBB108_109
.LBB108_11:
	s_wait_alu 0xfffe
	s_or_b32 exec_lo, exec_lo, s3
                                        ; implicit-def: $vgpr16_vgpr17
	s_and_saveexec_b32 s3, s2
	s_cbranch_execz .LBB108_13
.LBB108_12:
	flat_load_b64 v[16:17], v[20:21] offset:24
.LBB108_13:
	s_wait_alu 0xfffe
	s_or_b32 exec_lo, exec_lo, s3
	v_cmp_ne_u32_e64 s3, 0, v10
	v_cmp_ne_u32_e64 s4, 8, v11
	v_bfe_u32 v20, v31, 10, 10
	v_bfe_u32 v21, v31, 20, 10
	v_and_b32_e32 v9, 0x3ff, v31
	s_mov_b32 s5, 0
	s_or_b32 s3, s3, s4
	; wave barrier
	s_wait_alu 0xfffe
	s_and_saveexec_b32 s4, s3
	s_wait_alu 0xfffe
	s_xor_b32 s10, exec_lo, s4
	s_cbranch_execz .LBB108_55
; %bb.14:
	s_load_b64 s[6:7], s[8:9], 0x0
	s_and_b32 s3, ttmp7, 0xffff
	v_lshlrev_b32_e64 v10, v10, -1
	s_wait_kmcnt 0x0
	s_wait_alu 0xfffe
	s_cmp_lt_u32 s3, s7
	s_cselect_b32 s4, 14, 20
	s_cmp_lt_u32 ttmp9, s6
	s_wait_alu 0xfffe
	s_add_nc_u64 s[12:13], s[8:9], s[4:5]
	s_cselect_b32 s4, 12, 18
	s_load_u16 s3, s[12:13], 0x0
	s_add_nc_u64 s[4:5], s[8:9], s[4:5]
	s_mov_b32 s6, exec_lo
	s_load_u16 s4, s[4:5], 0x0
	s_wait_kmcnt 0x0
	v_mad_u32_u24 v20, v21, s3, v20
	v_lshlrev_b32_e64 v21, v11, -1
	s_delay_alu instid0(VALU_DEP_2) | instskip(NEXT) | instid1(VALU_DEP_2)
	v_mul_lo_u32 v20, v20, s4
	v_xor_b32_e32 v26, v21, v10
	s_delay_alu instid0(VALU_DEP_2) | instskip(NEXT) | instid1(VALU_DEP_1)
	v_add_lshl_u32 v11, v20, v9, 2
	v_cmpx_gt_u32_e32 0x400, v11
	s_cbranch_execz .LBB108_24
; %bb.15:
	s_wait_loadcnt_dscnt 0x0
	v_lshrrev_b32_e32 v9, 8, v25
	v_and_b32_e32 v10, v25, v26
	v_perm_b32 v20, v25, v25, 0x7060405
	s_delay_alu instid0(VALU_DEP_3) | instskip(NEXT) | instid1(VALU_DEP_3)
	v_and_b32_e32 v9, v9, v26
	v_and_b32_e32 v10, 0xff, v10
	s_delay_alu instid0(VALU_DEP_2) | instskip(NEXT) | instid1(VALU_DEP_1)
	v_and_b32_e32 v9, 0xff, v9
	v_cmp_gt_u16_e64 s3, v9, v10
	v_dual_mov_b32 v9, v18 :: v_dual_mov_b32 v10, v19
	s_wait_alu 0xf1ff
	s_delay_alu instid0(VALU_DEP_2) | instskip(NEXT) | instid1(VALU_DEP_1)
	v_cndmask_b32_e64 v25, v25, v20, s3
	v_lshrrev_b32_e32 v27, 16, v25
	v_lshrrev_b32_e32 v21, 24, v25
	;; [unrolled: 1-line block ×3, first 2 shown]
	s_delay_alu instid0(VALU_DEP_3) | instskip(NEXT) | instid1(VALU_DEP_3)
	v_and_b32_e32 v20, v27, v26
	v_and_b32_e32 v30, v21, v26
	s_delay_alu instid0(VALU_DEP_2) | instskip(NEXT) | instid1(VALU_DEP_1)
	v_and_b32_e32 v29, 0xff, v20
	v_cmp_gt_u16_e64 s4, v30, v29
	v_mov_b32_e32 v29, v21
	s_and_saveexec_b32 s5, s4
; %bb.16:
	v_mov_b32_e32 v9, v16
	v_dual_mov_b32 v29, v27 :: v_dual_mov_b32 v10, v17
	v_dual_mov_b32 v16, v18 :: v_dual_mov_b32 v17, v19
	;; [unrolled: 1-line block ×3, first 2 shown]
; %bb.17:
	s_wait_alu 0xfffe
	s_or_b32 exec_lo, exec_lo, s5
	v_cndmask_b32_e64 v21, v15, v5, s3
	s_delay_alu instid0(VALU_DEP_2) | instskip(SKIP_2) | instid1(VALU_DEP_1)
	v_and_b32_e32 v18, 0xff, v20
	v_cndmask_b32_e64 v20, v14, v4, s3
	v_and_b32_e32 v30, v28, v26
	v_and_b32_e32 v19, 0xff, v30
	s_delay_alu instid0(VALU_DEP_1) | instskip(NEXT) | instid1(VALU_DEP_4)
	v_cmp_gt_u16_e64 s4, v18, v19
	v_dual_mov_b32 v18, v20 :: v_dual_mov_b32 v19, v21
	s_and_saveexec_b32 s5, s4
	s_wait_alu 0xfffe
	s_xor_b32 s4, exec_lo, s5
; %bb.18:
	v_dual_mov_b32 v31, v28 :: v_dual_and_b32 v30, v27, v26
	v_dual_mov_b32 v19, v10 :: v_dual_mov_b32 v18, v9
	v_dual_mov_b32 v9, v20 :: v_dual_mov_b32 v10, v21
	s_delay_alu instid0(VALU_DEP_3)
	v_dual_mov_b32 v28, v27 :: v_dual_mov_b32 v27, v31
; %bb.19:
	s_wait_alu 0xfffe
	s_or_b32 exec_lo, exec_lo, s4
	s_delay_alu instid0(VALU_DEP_1)
	v_perm_b32 v20, v27, v29, 0xc0c0004
	v_and_b32_e32 v27, v25, v26
	v_perm_b32 v21, v28, v25, 0xc0c0004
	v_perm_b32 v25, v25, v28, 0xc0c0004
	v_and_b32_e32 v28, 0xff, v30
	v_lshlrev_b32_e32 v20, 16, v20
	v_and_b32_e32 v27, 0xff, v27
	s_delay_alu instid0(VALU_DEP_2) | instskip(SKIP_1) | instid1(VALU_DEP_3)
	v_or_b32_e32 v21, v21, v20
	v_or_b32_e32 v20, v25, v20
	v_cmp_gt_u16_e64 s4, v28, v27
	s_wait_alu 0xf1ff
	s_delay_alu instid0(VALU_DEP_1) | instskip(NEXT) | instid1(VALU_DEP_1)
	v_cndmask_b32_e64 v25, v20, v21, s4
	v_lshrrev_b32_e32 v27, 16, v25
	v_lshrrev_b32_e32 v29, 24, v25
	s_delay_alu instid0(VALU_DEP_2) | instskip(NEXT) | instid1(VALU_DEP_2)
	v_and_b32_e32 v28, v27, v26
	v_and_b32_e32 v30, v29, v26
	s_delay_alu instid0(VALU_DEP_2) | instskip(NEXT) | instid1(VALU_DEP_1)
	v_and_b32_e32 v20, 0xff, v28
	v_cmp_gt_u16_e64 s5, v30, v20
	v_dual_mov_b32 v21, v10 :: v_dual_mov_b32 v20, v9
	s_and_saveexec_b32 s7, s5
; %bb.20:
	v_perm_b32 v25, v25, v25, 0x6070504
	v_dual_mov_b32 v21, v17 :: v_dual_mov_b32 v20, v16
	v_dual_mov_b32 v17, v10 :: v_dual_mov_b32 v16, v9
	;; [unrolled: 1-line block ×3, first 2 shown]
; %bb.21:
	s_wait_alu 0xfffe
	s_or_b32 exec_lo, exec_lo, s7
	v_lshrrev_b32_e32 v9, 8, v25
	v_cndmask_b32_e64 v10, v5, v15, s3
	v_cndmask_b32_e64 v14, v4, v14, s3
	v_and_b32_e32 v28, 0xff, v28
	s_delay_alu instid0(VALU_DEP_4) | instskip(NEXT) | instid1(VALU_DEP_4)
	v_and_b32_e32 v9, v9, v26
	v_cndmask_b32_e64 v5, v10, v19, s4
	s_delay_alu instid0(VALU_DEP_4)
	v_cndmask_b32_e64 v4, v14, v18, s4
	v_cndmask_b32_e64 v15, v19, v10, s4
	;; [unrolled: 1-line block ×3, first 2 shown]
	v_dual_mov_b32 v18, v20 :: v_dual_and_b32 v9, 0xff, v9
	v_mov_b32_e32 v19, v21
	s_mov_b32 s4, exec_lo
	s_delay_alu instid0(VALU_DEP_2)
	v_cmpx_gt_u16_e64 v28, v9
; %bb.22:
	v_perm_b32 v25, v25, v27, 0x7050004
	v_dual_mov_b32 v19, v15 :: v_dual_mov_b32 v18, v14
	v_dual_mov_b32 v14, v20 :: v_dual_mov_b32 v15, v21
; %bb.23:
	s_wait_alu 0xfffe
	s_or_b32 exec_lo, exec_lo, s4
.LBB108_24:
	s_delay_alu instid0(SALU_CYCLE_1) | instskip(SKIP_4) | instid1(VALU_DEP_3)
	s_or_b32 exec_lo, exec_lo, s6
	v_and_b32_e32 v9, 0xffffff80, v11
	v_or_b32_e32 v10, 4, v24
	v_and_b32_e32 v28, 0x78, v24
	s_mov_b32 s4, exec_lo
	v_sub_nc_u32_e64 v20, 0x400, v9 clamp
	v_add_co_u32 v11, s3, v12, v9
	s_wait_alu 0xf1ff
	v_add_co_ci_u32_e64 v12, null, 0, v13, s3
	s_delay_alu instid0(VALU_DEP_3) | instskip(SKIP_1) | instid1(VALU_DEP_2)
	v_min_u32_e32 v32, v20, v10
	v_and_b32_e32 v13, 4, v24
	v_add_nc_u32_e32 v10, 4, v32
	s_delay_alu instid0(VALU_DEP_2) | instskip(NEXT) | instid1(VALU_DEP_2)
	v_min_u32_e32 v29, v20, v13
	v_min_u32_e32 v33, v20, v10
	v_mad_co_u64_u32 v[9:10], null, v9, 7, v[11:12]
	v_sub_nc_u32_e32 v10, v32, v28
	s_delay_alu instid0(VALU_DEP_3) | instskip(NEXT) | instid1(VALU_DEP_2)
	v_sub_nc_u32_e32 v21, v33, v32
	v_min_u32_e32 v13, v29, v10
	s_delay_alu instid0(VALU_DEP_4) | instskip(NEXT) | instid1(VALU_DEP_3)
	v_lshl_add_u32 v12, v24, 3, v9
	v_sub_nc_u32_e64 v30, v29, v21 clamp
	v_add_co_u32 v10, null, v11, v24
	s_wait_loadcnt_dscnt 0x0
	ds_store_2addr_b64 v12, v[4:5], v[14:15] offset0:128 offset1:129
	ds_store_b64 v12, v[18:19] offset:1040
	ds_store_b32 v10, v25
	ds_store_b64 v12, v[16:17] offset:1048
	; wave barrier
	v_cmpx_lt_u32_e64 v30, v13
	s_cbranch_execz .LBB108_28
; %bb.25:
	v_add_co_u32 v21, null, v11, v28
	v_add_co_u32 v27, null, v11, v32
	s_mov_b32 s5, 0
.LBB108_26:                             ; =>This Inner Loop Header: Depth=1
	v_add_nc_u32_e32 v31, v13, v30
	s_delay_alu instid0(VALU_DEP_1) | instskip(NEXT) | instid1(VALU_DEP_1)
	v_lshrrev_b32_e32 v31, 1, v31
	v_not_b32_e32 v34, v31
	v_add_nc_u32_e32 v35, v21, v31
	v_add_nc_u32_e32 v36, 1, v31
	s_delay_alu instid0(VALU_DEP_3)
	v_add3_u32 v34, v29, v34, v27
	ds_load_u8 v35, v35
	ds_load_u8 v34, v34
	s_wait_dscnt 0x1
	v_and_b32_e32 v35, v35, v26
	s_wait_dscnt 0x0
	v_and_b32_e32 v34, v34, v26
	s_delay_alu instid0(VALU_DEP_2) | instskip(NEXT) | instid1(VALU_DEP_2)
	v_and_b32_e32 v35, 0xff, v35
	v_and_b32_e32 v34, 0xff, v34
	s_delay_alu instid0(VALU_DEP_1) | instskip(SKIP_1) | instid1(VALU_DEP_1)
	v_cmp_gt_u16_e64 s3, v34, v35
	s_wait_alu 0xf1ff
	v_cndmask_b32_e64 v13, v13, v31, s3
	v_cndmask_b32_e64 v30, v36, v30, s3
	s_delay_alu instid0(VALU_DEP_1)
	v_cmp_ge_u32_e64 s3, v30, v13
	s_wait_alu 0xfffe
	s_or_b32 s5, s3, s5
	s_wait_alu 0xfffe
	s_and_not1_b32 exec_lo, exec_lo, s5
	s_cbranch_execnz .LBB108_26
; %bb.27:
	s_or_b32 exec_lo, exec_lo, s5
.LBB108_28:
	s_wait_alu 0xfffe
	s_or_b32 exec_lo, exec_lo, s4
	v_add_nc_u32_e32 v29, v32, v29
	v_add_nc_u32_e32 v35, v30, v28
	;; [unrolled: 1-line block ×5, first 2 shown]
	v_sub_nc_u32_e32 v34, v29, v30
	v_cmp_le_u32_e64 s3, v35, v32
	v_dual_mov_b32 v29, v25 :: v_dual_add_nc_u32 v12, 0x418, v12
	v_lshrrev_b32_e32 v30, 16, v25
	s_delay_alu instid0(VALU_DEP_4)
	v_cmp_le_u32_e64 s4, v34, v33
	v_lshrrev_b32_e32 v28, 8, v25
	v_lshrrev_b32_e32 v31, 24, v25
	s_or_b32 s3, s3, s4
	s_wait_alu 0xfffe
	s_and_saveexec_b32 s11, s3
	s_cbranch_execz .LBB108_34
; %bb.29:
	v_cmp_lt_u32_e64 s3, v35, v32
                                        ; implicit-def: $vgpr4
	s_and_saveexec_b32 s4, s3
; %bb.30:
	v_add_nc_u32_e32 v4, v11, v35
	ds_load_u8 v4, v4
; %bb.31:
	s_wait_alu 0xfffe
	s_or_b32 exec_lo, exec_lo, s4
	v_cmp_ge_u32_e64 s4, v34, v33
	s_mov_b32 s6, exec_lo
                                        ; implicit-def: $vgpr5
	v_cmpx_lt_u32_e64 v34, v33
; %bb.32:
	v_add_nc_u32_e32 v5, v11, v34
	ds_load_u8 v5, v5
; %bb.33:
	s_wait_alu 0xfffe
	s_or_b32 exec_lo, exec_lo, s6
	s_wait_dscnt 0x0
	v_and_b32_e32 v14, v5, v26
	v_and_b32_e32 v15, v4, v26
	s_delay_alu instid0(VALU_DEP_2) | instskip(NEXT) | instid1(VALU_DEP_2)
	v_and_b32_e32 v14, 0xff, v14
	v_and_b32_e32 v15, 0xff, v15
	s_delay_alu instid0(VALU_DEP_1)
	v_cmp_le_u16_e64 s5, v14, v15
	s_and_b32 s3, s3, s5
	s_wait_alu 0xfffe
	s_or_b32 s3, s4, s3
	s_wait_alu 0xfffe
	v_cndmask_b32_e64 v14, v34, v35, s3
	v_cndmask_b32_e64 v15, v33, v32, s3
	s_delay_alu instid0(VALU_DEP_2) | instskip(NEXT) | instid1(VALU_DEP_2)
	v_add_nc_u32_e32 v16, 1, v14
	v_add_nc_u32_e32 v15, -1, v15
	v_lshl_add_u32 v14, v14, 3, v9
	s_delay_alu instid0(VALU_DEP_3) | instskip(NEXT) | instid1(VALU_DEP_3)
	v_cndmask_b32_e64 v25, v35, v16, s3
	v_min_u32_e32 v15, v16, v15
	v_cndmask_b32_e64 v16, v16, v34, s3
	s_delay_alu instid0(VALU_DEP_3) | instskip(NEXT) | instid1(VALU_DEP_3)
	v_cmp_lt_u32_e64 s4, v25, v32
	v_add_nc_u32_e32 v15, v11, v15
	s_delay_alu instid0(VALU_DEP_3) | instskip(SKIP_4) | instid1(VALU_DEP_2)
	v_cmp_ge_u32_e64 s6, v16, v33
	ds_load_u8 v15, v15
	s_wait_dscnt 0x0
	v_cndmask_b32_e64 v17, v15, v5, s3
	v_cndmask_b32_e64 v15, v4, v15, s3
	v_and_b32_e32 v18, v17, v26
	s_delay_alu instid0(VALU_DEP_2) | instskip(NEXT) | instid1(VALU_DEP_2)
	v_and_b32_e32 v19, v15, v26
	v_and_b32_e32 v18, 0xff, v18
	s_delay_alu instid0(VALU_DEP_2) | instskip(NEXT) | instid1(VALU_DEP_1)
	v_and_b32_e32 v19, 0xff, v19
	v_cmp_le_u16_e64 s5, v18, v19
	s_and_b32 s4, s4, s5
	s_wait_alu 0xfffe
	s_or_b32 s4, s6, s4
	s_wait_alu 0xfffe
	v_cndmask_b32_e64 v18, v16, v25, s4
	v_cndmask_b32_e64 v19, v33, v32, s4
	s_delay_alu instid0(VALU_DEP_2) | instskip(NEXT) | instid1(VALU_DEP_2)
	v_add_nc_u32_e32 v28, 1, v18
	v_add_nc_u32_e32 v19, -1, v19
	s_delay_alu instid0(VALU_DEP_2) | instskip(NEXT) | instid1(VALU_DEP_2)
	v_cndmask_b32_e64 v25, v25, v28, s4
	v_min_u32_e32 v19, v28, v19
	v_cndmask_b32_e64 v16, v28, v16, s4
	s_delay_alu instid0(VALU_DEP_3) | instskip(NEXT) | instid1(VALU_DEP_3)
	v_cmp_lt_u32_e64 s5, v25, v32
	v_add_nc_u32_e32 v19, v11, v19
	s_delay_alu instid0(VALU_DEP_3) | instskip(SKIP_4) | instid1(VALU_DEP_2)
	v_cmp_ge_u32_e64 s7, v16, v33
	ds_load_u8 v19, v19
	s_wait_dscnt 0x0
	v_cndmask_b32_e64 v30, v19, v17, s4
	v_cndmask_b32_e64 v19, v15, v19, s4
	v_and_b32_e32 v29, v30, v26
	s_delay_alu instid0(VALU_DEP_2) | instskip(NEXT) | instid1(VALU_DEP_2)
	v_and_b32_e32 v31, v19, v26
	v_and_b32_e32 v29, 0xff, v29
	s_delay_alu instid0(VALU_DEP_2) | instskip(NEXT) | instid1(VALU_DEP_1)
	v_and_b32_e32 v31, 0xff, v31
	v_cmp_le_u16_e64 s6, v29, v31
	s_and_b32 s5, s5, s6
	s_wait_alu 0xfffe
	s_or_b32 s5, s7, s5
	s_wait_alu 0xfffe
	v_cndmask_b32_e64 v31, v16, v25, s5
	v_cndmask_b32_e64 v28, v33, v32, s5
	s_delay_alu instid0(VALU_DEP_2) | instskip(NEXT) | instid1(VALU_DEP_2)
	v_add_nc_u32_e32 v29, 1, v31
	v_add_nc_u32_e32 v28, -1, v28
	s_delay_alu instid0(VALU_DEP_2) | instskip(NEXT) | instid1(VALU_DEP_2)
	v_cndmask_b32_e64 v25, v25, v29, s5
	v_min_u32_e32 v28, v29, v28
	v_cndmask_b32_e64 v16, v29, v16, s5
	v_cndmask_b32_e64 v29, v5, v4, s3
	ds_load_b64 v[4:5], v14 offset:1024
	v_cmp_lt_u32_e64 s3, v25, v32
	v_add_nc_u32_e32 v28, v11, v28
	v_cmp_ge_u32_e64 s7, v16, v33
	v_lshl_add_u32 v14, v18, 3, v9
	ds_load_u8 v28, v28
	s_wait_dscnt 0x0
	v_cndmask_b32_e64 v34, v28, v30, s5
	v_cndmask_b32_e64 v35, v19, v28, s5
	;; [unrolled: 1-line block ×3, first 2 shown]
	s_delay_alu instid0(VALU_DEP_3) | instskip(NEXT) | instid1(VALU_DEP_3)
	v_and_b32_e32 v28, v34, v26
	v_and_b32_e32 v36, v35, v26
	s_delay_alu instid0(VALU_DEP_3) | instskip(NEXT) | instid1(VALU_DEP_3)
	v_and_b32_e32 v32, 0xff, v30
	v_and_b32_e32 v28, 0xff, v28
	s_delay_alu instid0(VALU_DEP_3) | instskip(NEXT) | instid1(VALU_DEP_1)
	v_and_b32_e32 v36, 0xff, v36
	v_cmp_le_u16_e64 s6, v28, v36
	v_cndmask_b32_e64 v28, v17, v15, s4
	v_lshl_add_u32 v17, v31, 3, v9
	ds_load_b64 v[14:15], v14 offset:1024
	ds_load_b64 v[18:19], v17 offset:1024
	s_and_b32 s3, s3, s6
	v_lshlrev_b16 v33, 8, v28
	s_wait_alu 0xfffe
	s_or_b32 s3, s7, s3
	s_wait_alu 0xfffe
	v_cndmask_b32_e64 v16, v16, v25, s3
	v_cndmask_b32_e64 v31, v34, v35, s3
	v_and_b32_e32 v34, 0xff, v29
	s_delay_alu instid0(VALU_DEP_3) | instskip(NEXT) | instid1(VALU_DEP_3)
	v_lshl_add_u32 v16, v16, 3, v9
	v_lshlrev_b16 v25, 8, v31
	ds_load_b64 v[16:17], v16 offset:1024
	v_or_b32_e32 v25, v32, v25
	v_or_b32_e32 v32, v34, v33
	s_delay_alu instid0(VALU_DEP_2) | instskip(NEXT) | instid1(VALU_DEP_2)
	v_lshlrev_b32_e32 v25, 16, v25
	v_and_b32_e32 v32, 0xffff, v32
	s_delay_alu instid0(VALU_DEP_1)
	v_or_b32_e32 v25, v32, v25
.LBB108_34:
	s_wait_alu 0xfffe
	s_or_b32 exec_lo, exec_lo, s11
	v_and_b32_e32 v37, 0x70, v24
	v_and_b32_e32 v33, 12, v24
	s_mov_b32 s4, exec_lo
	; wave barrier
	s_delay_alu instid0(VALU_DEP_2) | instskip(NEXT) | instid1(VALU_DEP_2)
	v_or_b32_e32 v32, 8, v37
	v_min_u32_e32 v38, v20, v33
	ds_store_b8 v10, v29
	ds_store_b64 v27, v[4:5]
	ds_store_b8 v10, v28 offset:1
	s_wait_dscnt 0x5
	ds_store_b64 v21, v[14:15]
	ds_store_b8 v10, v30 offset:2
	s_wait_dscnt 0x6
	ds_store_b64 v13, v[18:19]
	ds_store_b8 v10, v31 offset:3
	s_wait_dscnt 0x7
	ds_store_b64 v12, v[16:17]
	v_min_u32_e32 v35, v20, v32
	; wave barrier
	s_delay_alu instid0(VALU_DEP_1) | instskip(SKIP_1) | instid1(VALU_DEP_2)
	v_add_nc_u32_e32 v32, 8, v35
	v_sub_nc_u32_e32 v33, v35, v37
	v_min_u32_e32 v36, v20, v32
	s_delay_alu instid0(VALU_DEP_1) | instskip(NEXT) | instid1(VALU_DEP_1)
	v_sub_nc_u32_e32 v32, v36, v35
	v_sub_nc_u32_e64 v39, v38, v32 clamp
	s_delay_alu instid0(VALU_DEP_4) | instskip(NEXT) | instid1(VALU_DEP_1)
	v_min_u32_e32 v32, v38, v33
	v_cmpx_lt_u32_e64 v39, v32
	s_cbranch_execz .LBB108_38
; %bb.35:
	v_add_co_u32 v33, null, v11, v37
	v_add_co_u32 v34, null, v11, v35
	s_mov_b32 s5, 0
.LBB108_36:                             ; =>This Inner Loop Header: Depth=1
	v_add_nc_u32_e32 v48, v32, v39
	s_delay_alu instid0(VALU_DEP_1) | instskip(NEXT) | instid1(VALU_DEP_1)
	v_lshrrev_b32_e32 v48, 1, v48
	v_not_b32_e32 v49, v48
	v_add_nc_u32_e32 v50, v33, v48
	v_add_nc_u32_e32 v51, 1, v48
	s_delay_alu instid0(VALU_DEP_3)
	v_add3_u32 v49, v38, v49, v34
	ds_load_u8 v50, v50
	ds_load_u8 v49, v49
	s_wait_dscnt 0x1
	v_and_b32_e32 v50, v50, v26
	s_wait_dscnt 0x0
	v_and_b32_e32 v49, v49, v26
	s_delay_alu instid0(VALU_DEP_2) | instskip(NEXT) | instid1(VALU_DEP_2)
	v_and_b32_e32 v50, 0xff, v50
	v_and_b32_e32 v49, 0xff, v49
	s_delay_alu instid0(VALU_DEP_1) | instskip(SKIP_1) | instid1(VALU_DEP_1)
	v_cmp_gt_u16_e64 s3, v49, v50
	s_wait_alu 0xf1ff
	v_cndmask_b32_e64 v32, v32, v48, s3
	v_cndmask_b32_e64 v39, v51, v39, s3
	s_delay_alu instid0(VALU_DEP_1)
	v_cmp_ge_u32_e64 s3, v39, v32
	s_wait_alu 0xfffe
	s_or_b32 s5, s3, s5
	s_wait_alu 0xfffe
	s_and_not1_b32 exec_lo, exec_lo, s5
	s_cbranch_execnz .LBB108_36
; %bb.37:
	s_or_b32 exec_lo, exec_lo, s5
.LBB108_38:
	s_wait_alu 0xfffe
	s_or_b32 exec_lo, exec_lo, s4
	v_add_nc_u32_e32 v48, v35, v38
	v_add_nc_u32_e32 v38, v39, v37
	;; [unrolled: 1-line block ×5, first 2 shown]
	v_sub_nc_u32_e32 v37, v48, v39
	v_cmp_le_u32_e64 s3, v38, v35
	s_delay_alu instid0(VALU_DEP_2)
	v_cmp_le_u32_e64 s4, v37, v36
	s_or_b32 s3, s3, s4
	s_wait_alu 0xfffe
	s_and_saveexec_b32 s11, s3
	s_cbranch_execz .LBB108_44
; %bb.39:
	v_cmp_lt_u32_e64 s3, v38, v35
                                        ; implicit-def: $vgpr4
	s_and_saveexec_b32 s4, s3
; %bb.40:
	v_add_nc_u32_e32 v4, v11, v38
	ds_load_u8 v4, v4
; %bb.41:
	s_wait_alu 0xfffe
	s_or_b32 exec_lo, exec_lo, s4
	v_cmp_ge_u32_e64 s4, v37, v36
	s_mov_b32 s6, exec_lo
                                        ; implicit-def: $vgpr5
	v_cmpx_lt_u32_e64 v37, v36
; %bb.42:
	v_add_nc_u32_e32 v5, v11, v37
	ds_load_u8 v5, v5
; %bb.43:
	s_wait_alu 0xfffe
	s_or_b32 exec_lo, exec_lo, s6
	s_wait_dscnt 0x0
	v_and_b32_e32 v14, v5, v26
	v_and_b32_e32 v15, v4, v26
	s_delay_alu instid0(VALU_DEP_2) | instskip(NEXT) | instid1(VALU_DEP_2)
	v_and_b32_e32 v14, 0xff, v14
	v_and_b32_e32 v15, 0xff, v15
	s_delay_alu instid0(VALU_DEP_1)
	v_cmp_le_u16_e64 s5, v14, v15
	s_and_b32 s3, s3, s5
	s_wait_alu 0xfffe
	s_or_b32 s3, s4, s3
	s_wait_alu 0xfffe
	v_cndmask_b32_e64 v14, v37, v38, s3
	v_cndmask_b32_e64 v15, v36, v35, s3
	s_delay_alu instid0(VALU_DEP_2) | instskip(NEXT) | instid1(VALU_DEP_2)
	v_add_nc_u32_e32 v16, 1, v14
	v_add_nc_u32_e32 v15, -1, v15
	v_lshl_add_u32 v14, v14, 3, v9
	s_delay_alu instid0(VALU_DEP_3) | instskip(NEXT) | instid1(VALU_DEP_3)
	v_cndmask_b32_e64 v25, v38, v16, s3
	v_min_u32_e32 v15, v16, v15
	v_cndmask_b32_e64 v16, v16, v37, s3
	s_delay_alu instid0(VALU_DEP_3) | instskip(NEXT) | instid1(VALU_DEP_3)
	v_cmp_lt_u32_e64 s4, v25, v35
	v_add_nc_u32_e32 v15, v11, v15
	s_delay_alu instid0(VALU_DEP_3) | instskip(SKIP_4) | instid1(VALU_DEP_2)
	v_cmp_ge_u32_e64 s6, v16, v36
	ds_load_u8 v15, v15
	s_wait_dscnt 0x0
	v_cndmask_b32_e64 v17, v15, v5, s3
	v_cndmask_b32_e64 v15, v4, v15, s3
	v_and_b32_e32 v18, v17, v26
	s_delay_alu instid0(VALU_DEP_2) | instskip(NEXT) | instid1(VALU_DEP_2)
	v_and_b32_e32 v19, v15, v26
	v_and_b32_e32 v18, 0xff, v18
	s_delay_alu instid0(VALU_DEP_2) | instskip(NEXT) | instid1(VALU_DEP_1)
	v_and_b32_e32 v19, 0xff, v19
	v_cmp_le_u16_e64 s5, v18, v19
	s_and_b32 s4, s4, s5
	s_wait_alu 0xfffe
	s_or_b32 s4, s6, s4
	s_wait_alu 0xfffe
	v_cndmask_b32_e64 v18, v16, v25, s4
	v_cndmask_b32_e64 v19, v36, v35, s4
	s_delay_alu instid0(VALU_DEP_2) | instskip(NEXT) | instid1(VALU_DEP_2)
	v_add_nc_u32_e32 v28, 1, v18
	v_add_nc_u32_e32 v19, -1, v19
	s_delay_alu instid0(VALU_DEP_2) | instskip(NEXT) | instid1(VALU_DEP_2)
	v_cndmask_b32_e64 v25, v25, v28, s4
	v_min_u32_e32 v19, v28, v19
	v_cndmask_b32_e64 v16, v28, v16, s4
	s_delay_alu instid0(VALU_DEP_3) | instskip(NEXT) | instid1(VALU_DEP_3)
	v_cmp_lt_u32_e64 s5, v25, v35
	v_add_nc_u32_e32 v19, v11, v19
	s_delay_alu instid0(VALU_DEP_3) | instskip(SKIP_4) | instid1(VALU_DEP_2)
	v_cmp_ge_u32_e64 s7, v16, v36
	ds_load_u8 v19, v19
	s_wait_dscnt 0x0
	v_cndmask_b32_e64 v30, v19, v17, s4
	v_cndmask_b32_e64 v19, v15, v19, s4
	v_and_b32_e32 v29, v30, v26
	s_delay_alu instid0(VALU_DEP_2) | instskip(NEXT) | instid1(VALU_DEP_2)
	v_and_b32_e32 v31, v19, v26
	v_and_b32_e32 v29, 0xff, v29
	s_delay_alu instid0(VALU_DEP_2) | instskip(NEXT) | instid1(VALU_DEP_1)
	v_and_b32_e32 v31, 0xff, v31
	v_cmp_le_u16_e64 s6, v29, v31
	s_and_b32 s5, s5, s6
	s_wait_alu 0xfffe
	s_or_b32 s5, s7, s5
	s_wait_alu 0xfffe
	v_cndmask_b32_e64 v31, v16, v25, s5
	v_cndmask_b32_e64 v28, v36, v35, s5
	s_delay_alu instid0(VALU_DEP_2) | instskip(NEXT) | instid1(VALU_DEP_2)
	v_add_nc_u32_e32 v29, 1, v31
	v_add_nc_u32_e32 v28, -1, v28
	s_delay_alu instid0(VALU_DEP_2) | instskip(NEXT) | instid1(VALU_DEP_2)
	v_cndmask_b32_e64 v25, v25, v29, s5
	v_min_u32_e32 v28, v29, v28
	v_cndmask_b32_e64 v16, v29, v16, s5
	v_cndmask_b32_e64 v29, v5, v4, s3
	ds_load_b64 v[4:5], v14 offset:1024
	v_cmp_lt_u32_e64 s3, v25, v35
	v_add_nc_u32_e32 v28, v11, v28
	v_cmp_ge_u32_e64 s7, v16, v36
	v_lshl_add_u32 v14, v18, 3, v9
	ds_load_u8 v28, v28
	s_wait_dscnt 0x0
	v_cndmask_b32_e64 v37, v28, v30, s5
	v_cndmask_b32_e64 v38, v19, v28, s5
	;; [unrolled: 1-line block ×3, first 2 shown]
	s_delay_alu instid0(VALU_DEP_3) | instskip(NEXT) | instid1(VALU_DEP_3)
	v_and_b32_e32 v28, v37, v26
	v_and_b32_e32 v39, v38, v26
	s_delay_alu instid0(VALU_DEP_3) | instskip(NEXT) | instid1(VALU_DEP_3)
	v_and_b32_e32 v35, 0xff, v30
	v_and_b32_e32 v28, 0xff, v28
	s_delay_alu instid0(VALU_DEP_3) | instskip(NEXT) | instid1(VALU_DEP_1)
	v_and_b32_e32 v39, 0xff, v39
	v_cmp_le_u16_e64 s6, v28, v39
	v_cndmask_b32_e64 v28, v17, v15, s4
	v_lshl_add_u32 v17, v31, 3, v9
	ds_load_b64 v[14:15], v14 offset:1024
	ds_load_b64 v[18:19], v17 offset:1024
	s_and_b32 s3, s3, s6
	v_lshlrev_b16 v36, 8, v28
	s_wait_alu 0xfffe
	s_or_b32 s3, s7, s3
	s_wait_alu 0xfffe
	v_cndmask_b32_e64 v16, v16, v25, s3
	v_cndmask_b32_e64 v31, v37, v38, s3
	v_and_b32_e32 v37, 0xff, v29
	s_delay_alu instid0(VALU_DEP_3) | instskip(NEXT) | instid1(VALU_DEP_3)
	v_lshl_add_u32 v16, v16, 3, v9
	v_lshlrev_b16 v25, 8, v31
	ds_load_b64 v[16:17], v16 offset:1024
	v_or_b32_e32 v25, v35, v25
	v_or_b32_e32 v35, v37, v36
	s_delay_alu instid0(VALU_DEP_2) | instskip(NEXT) | instid1(VALU_DEP_2)
	v_lshlrev_b32_e32 v25, 16, v25
	v_and_b32_e32 v35, 0xffff, v35
	s_delay_alu instid0(VALU_DEP_1)
	v_or_b32_e32 v25, v35, v25
.LBB108_44:
	s_wait_alu 0xfffe
	s_or_b32 exec_lo, exec_lo, s11
	v_and_b32_e32 v36, 0x60, v24
	; wave barrier
	ds_store_b8 v10, v29
	ds_store_b64 v27, v[4:5]
	s_mov_b32 s4, exec_lo
	v_or_b32_e32 v24, 16, v36
	ds_store_b8 v34, v28
	s_wait_dscnt 0x5
	ds_store_b64 v21, v[14:15]
	ds_store_b8 v33, v30
	s_wait_dscnt 0x6
	ds_store_b64 v13, v[18:19]
	;; [unrolled: 3-line block ×3, first 2 shown]
	; wave barrier
	v_min_u32_e32 v35, v20, v24
	s_delay_alu instid0(VALU_DEP_1) | instskip(SKIP_1) | instid1(VALU_DEP_2)
	v_add_nc_u32_e32 v24, 16, v35
	v_sub_nc_u32_e32 v38, v35, v36
	v_min_u32_e32 v24, v20, v24
	v_min_u32_e32 v20, v20, v22
	s_delay_alu instid0(VALU_DEP_2) | instskip(NEXT) | instid1(VALU_DEP_2)
	v_sub_nc_u32_e32 v37, v24, v35
	v_min_u32_e32 v27, v20, v38
	s_delay_alu instid0(VALU_DEP_2) | instskip(NEXT) | instid1(VALU_DEP_1)
	v_sub_nc_u32_e64 v10, v20, v37 clamp
	v_cmpx_lt_u32_e64 v10, v27
	s_cbranch_execz .LBB108_48
; %bb.45:
	v_add_co_u32 v12, null, v11, v36
	v_add_co_u32 v13, null, v11, v35
	s_mov_b32 s5, 0
.LBB108_46:                             ; =>This Inner Loop Header: Depth=1
	v_add_nc_u32_e32 v21, v27, v10
	s_delay_alu instid0(VALU_DEP_1) | instskip(NEXT) | instid1(VALU_DEP_1)
	v_lshrrev_b32_e32 v21, 1, v21
	v_not_b32_e32 v28, v21
	v_add_nc_u32_e32 v29, v12, v21
	v_add_nc_u32_e32 v30, 1, v21
	s_delay_alu instid0(VALU_DEP_3)
	v_add3_u32 v28, v20, v28, v13
	ds_load_u8 v29, v29
	ds_load_u8 v28, v28
	s_wait_dscnt 0x1
	v_and_b32_e32 v29, v29, v26
	s_wait_dscnt 0x0
	v_and_b32_e32 v28, v28, v26
	s_delay_alu instid0(VALU_DEP_2) | instskip(NEXT) | instid1(VALU_DEP_2)
	v_and_b32_e32 v29, 0xff, v29
	v_and_b32_e32 v28, 0xff, v28
	s_delay_alu instid0(VALU_DEP_1) | instskip(SKIP_1) | instid1(VALU_DEP_1)
	v_cmp_gt_u16_e64 s3, v28, v29
	s_wait_alu 0xf1ff
	v_cndmask_b32_e64 v27, v27, v21, s3
	v_cndmask_b32_e64 v10, v30, v10, s3
	s_delay_alu instid0(VALU_DEP_1)
	v_cmp_ge_u32_e64 s3, v10, v27
	s_wait_alu 0xfffe
	s_or_b32 s5, s3, s5
	s_wait_alu 0xfffe
	s_and_not1_b32 exec_lo, exec_lo, s5
	s_cbranch_execnz .LBB108_46
; %bb.47:
	s_or_b32 exec_lo, exec_lo, s5
.LBB108_48:
	s_wait_alu 0xfffe
	s_or_b32 exec_lo, exec_lo, s4
	v_add_nc_u32_e32 v13, v35, v20
	v_add_nc_u32_e32 v12, v10, v36
	s_delay_alu instid0(VALU_DEP_2) | instskip(NEXT) | instid1(VALU_DEP_2)
	v_sub_nc_u32_e32 v10, v13, v10
	v_cmp_le_u32_e64 s3, v12, v35
	s_delay_alu instid0(VALU_DEP_2)
	v_cmp_le_u32_e64 s4, v10, v24
	s_or_b32 s3, s3, s4
	s_wait_alu 0xfffe
	s_and_saveexec_b32 s11, s3
	s_cbranch_execz .LBB108_54
; %bb.49:
	v_cmp_lt_u32_e64 s3, v12, v35
                                        ; implicit-def: $vgpr4
	s_and_saveexec_b32 s4, s3
; %bb.50:
	v_add_nc_u32_e32 v4, v11, v12
	ds_load_u8 v4, v4
; %bb.51:
	s_wait_alu 0xfffe
	s_or_b32 exec_lo, exec_lo, s4
	v_cmp_ge_u32_e64 s4, v10, v24
	s_mov_b32 s6, exec_lo
                                        ; implicit-def: $vgpr5
	v_cmpx_lt_u32_e64 v10, v24
; %bb.52:
	v_add_nc_u32_e32 v5, v11, v10
	ds_load_u8 v5, v5
; %bb.53:
	s_wait_alu 0xfffe
	s_or_b32 exec_lo, exec_lo, s6
	s_wait_dscnt 0x0
	v_and_b32_e32 v13, v5, v26
	v_and_b32_e32 v14, v4, v26
	s_delay_alu instid0(VALU_DEP_2) | instskip(NEXT) | instid1(VALU_DEP_2)
	v_and_b32_e32 v13, 0xff, v13
	v_and_b32_e32 v14, 0xff, v14
	s_delay_alu instid0(VALU_DEP_1)
	v_cmp_le_u16_e64 s5, v13, v14
	s_and_b32 s3, s3, s5
	s_wait_alu 0xfffe
	s_or_b32 s3, s4, s3
	s_wait_alu 0xfffe
	v_cndmask_b32_e64 v13, v10, v12, s3
	v_cndmask_b32_e64 v14, v24, v35, s3
	s_delay_alu instid0(VALU_DEP_2) | instskip(NEXT) | instid1(VALU_DEP_2)
	v_add_nc_u32_e32 v15, 1, v13
	v_add_nc_u32_e32 v14, -1, v14
	v_lshl_add_u32 v13, v13, 3, v9
	s_delay_alu instid0(VALU_DEP_3) | instskip(NEXT) | instid1(VALU_DEP_3)
	v_cndmask_b32_e64 v12, v12, v15, s3
	v_min_u32_e32 v14, v15, v14
	v_cndmask_b32_e64 v10, v15, v10, s3
	s_delay_alu instid0(VALU_DEP_3) | instskip(NEXT) | instid1(VALU_DEP_3)
	v_cmp_lt_u32_e64 s4, v12, v35
	v_add_nc_u32_e32 v14, v11, v14
	s_delay_alu instid0(VALU_DEP_3) | instskip(SKIP_4) | instid1(VALU_DEP_2)
	v_cmp_ge_u32_e64 s6, v10, v24
	ds_load_u8 v14, v14
	s_wait_dscnt 0x0
	v_cndmask_b32_e64 v16, v14, v5, s3
	v_cndmask_b32_e64 v14, v4, v14, s3
	v_and_b32_e32 v17, v16, v26
	s_delay_alu instid0(VALU_DEP_2) | instskip(NEXT) | instid1(VALU_DEP_2)
	v_and_b32_e32 v18, v14, v26
	v_and_b32_e32 v17, 0xff, v17
	s_delay_alu instid0(VALU_DEP_2) | instskip(NEXT) | instid1(VALU_DEP_1)
	v_and_b32_e32 v18, 0xff, v18
	v_cmp_le_u16_e64 s5, v17, v18
	s_and_b32 s4, s4, s5
	s_wait_alu 0xfffe
	s_or_b32 s4, s6, s4
	s_wait_alu 0xfffe
	v_cndmask_b32_e64 v15, v10, v12, s4
	v_cndmask_b32_e64 v17, v24, v35, s4
	s_delay_alu instid0(VALU_DEP_2) | instskip(NEXT) | instid1(VALU_DEP_2)
	v_add_nc_u32_e32 v18, 1, v15
	v_add_nc_u32_e32 v17, -1, v17
	s_delay_alu instid0(VALU_DEP_2) | instskip(NEXT) | instid1(VALU_DEP_2)
	v_cndmask_b32_e64 v12, v12, v18, s4
	v_min_u32_e32 v17, v18, v17
	v_cndmask_b32_e64 v10, v18, v10, s4
	s_delay_alu instid0(VALU_DEP_3) | instskip(NEXT) | instid1(VALU_DEP_3)
	v_cmp_lt_u32_e64 s5, v12, v35
	v_add_nc_u32_e32 v17, v11, v17
	s_delay_alu instid0(VALU_DEP_3) | instskip(SKIP_4) | instid1(VALU_DEP_2)
	v_cmp_ge_u32_e64 s7, v10, v24
	ds_load_u8 v17, v17
	s_wait_dscnt 0x0
	v_cndmask_b32_e64 v19, v17, v16, s4
	v_cndmask_b32_e64 v17, v14, v17, s4
	v_and_b32_e32 v20, v19, v26
	s_delay_alu instid0(VALU_DEP_2) | instskip(NEXT) | instid1(VALU_DEP_2)
	v_and_b32_e32 v21, v17, v26
	v_and_b32_e32 v20, 0xff, v20
	s_delay_alu instid0(VALU_DEP_2) | instskip(NEXT) | instid1(VALU_DEP_1)
	v_and_b32_e32 v21, 0xff, v21
	v_cmp_le_u16_e64 s6, v20, v21
	s_and_b32 s5, s5, s6
	s_wait_alu 0xfffe
	s_or_b32 s5, s7, s5
	s_wait_alu 0xfffe
	v_cndmask_b32_e64 v18, v10, v12, s5
	v_cndmask_b32_e64 v20, v24, v35, s5
	s_delay_alu instid0(VALU_DEP_2) | instskip(NEXT) | instid1(VALU_DEP_2)
	v_add_nc_u32_e32 v21, 1, v18
	v_add_nc_u32_e32 v20, -1, v20
	s_delay_alu instid0(VALU_DEP_2) | instskip(NEXT) | instid1(VALU_DEP_2)
	v_cndmask_b32_e64 v12, v12, v21, s5
	v_min_u32_e32 v20, v21, v20
	v_cndmask_b32_e64 v10, v21, v10, s5
	v_cndmask_b32_e64 v21, v5, v4, s3
	ds_load_b64 v[4:5], v13 offset:1024
	v_cmp_lt_u32_e64 s3, v12, v35
	v_add_nc_u32_e32 v11, v11, v20
	v_cmp_ge_u32_e64 s7, v10, v24
	v_cndmask_b32_e64 v13, v16, v14, s4
	v_lshl_add_u32 v14, v15, 3, v9
	v_lshl_add_u32 v16, v18, 3, v9
	ds_load_u8 v11, v11
	s_wait_dscnt 0x0
	v_cndmask_b32_e64 v20, v11, v19, s5
	v_cndmask_b32_e64 v11, v17, v11, s5
	s_delay_alu instid0(VALU_DEP_2) | instskip(NEXT) | instid1(VALU_DEP_2)
	v_and_b32_e32 v25, v20, v26
	v_and_b32_e32 v26, v11, v26
	s_delay_alu instid0(VALU_DEP_2) | instskip(NEXT) | instid1(VALU_DEP_2)
	v_and_b32_e32 v25, 0xff, v25
	v_and_b32_e32 v26, 0xff, v26
	s_delay_alu instid0(VALU_DEP_1)
	v_cmp_le_u16_e64 s6, v25, v26
	s_and_b32 s3, s3, s6
	s_wait_alu 0xfffe
	s_or_b32 s3, s7, s3
	s_wait_alu 0xfffe
	v_cndmask_b32_e64 v10, v10, v12, s3
	v_cndmask_b32_e64 v11, v20, v11, s3
	;; [unrolled: 1-line block ×3, first 2 shown]
	ds_load_b64 v[14:15], v14 offset:1024
	ds_load_b64 v[18:19], v16 offset:1024
	v_lshl_add_u32 v9, v10, 3, v9
	v_lshlrev_b16 v10, 8, v11
	v_and_b32_e32 v11, 0xff, v12
	v_lshlrev_b16 v12, 8, v13
	v_and_b32_e32 v13, 0xff, v21
	ds_load_b64 v[16:17], v9 offset:1024
	v_or_b32_e32 v9, v11, v10
	v_or_b32_e32 v10, v13, v12
	s_delay_alu instid0(VALU_DEP_2) | instskip(NEXT) | instid1(VALU_DEP_2)
	v_lshlrev_b32_e32 v9, 16, v9
	v_and_b32_e32 v10, 0xffff, v10
	s_delay_alu instid0(VALU_DEP_1)
	v_or_b32_e32 v25, v10, v9
.LBB108_54:
	s_wait_alu 0xfffe
	s_or_b32 exec_lo, exec_lo, s11
	; wave barrier
	s_wait_storecnt_dscnt 0x0
	s_barrier_signal -1
	s_barrier_wait -1
                                        ; implicit-def: $vgpr24
                                        ; implicit-def: $vgpr12
                                        ; implicit-def: $vgpr13
                                        ; implicit-def: $vgpr20
                                        ; implicit-def: $vgpr21
                                        ; implicit-def: $vgpr9
.LBB108_55:
	s_wait_alu 0xfffe
	s_and_not1_saveexec_b32 s10, s10
	s_cbranch_execz .LBB108_97
; %bb.56:
	s_load_b64 s[4:5], s[8:9], 0x0
	s_and_b32 s3, ttmp7, 0xffff
	s_mov_b32 s7, 0
	s_wait_kmcnt 0x0
	s_wait_alu 0xfffe
	s_cmp_lt_u32 s3, s5
	s_cselect_b32 s6, 14, 20
	s_cmp_lt_u32 ttmp9, s4
	s_wait_alu 0xfffe
	s_add_nc_u64 s[12:13], s[8:9], s[6:7]
	s_cselect_b32 s6, 12, 18
	s_load_u16 s3, s[12:13], 0x0
	s_add_nc_u64 s[4:5], s[8:9], s[6:7]
	s_mov_b32 s6, exec_lo
	s_load_u16 s4, s[4:5], 0x0
	s_wait_kmcnt 0x0
	v_mad_u32_u24 v10, v21, s3, v20
	s_delay_alu instid0(VALU_DEP_1) | instskip(NEXT) | instid1(VALU_DEP_1)
	v_mul_lo_u32 v10, v10, s4
	v_add_lshl_u32 v11, v10, v9, 2
	s_delay_alu instid0(VALU_DEP_1)
	v_cmpx_gt_u32_e32 0x400, v11
	s_cbranch_execz .LBB108_66
; %bb.57:
	s_wait_loadcnt_dscnt 0x0
	v_lshrrev_b32_e32 v9, 8, v25
	v_and_b32_e32 v10, 0xff, v25
	v_perm_b32 v20, v25, v25, 0x7060405
	s_mov_b32 s5, exec_lo
	s_delay_alu instid0(VALU_DEP_3) | instskip(NEXT) | instid1(VALU_DEP_1)
	v_and_b32_e32 v9, 0xff, v9
	v_cmp_gt_u16_e64 s3, v9, v10
	v_dual_mov_b32 v9, v18 :: v_dual_mov_b32 v10, v19
	s_wait_alu 0xf1ff
	s_delay_alu instid0(VALU_DEP_2) | instskip(NEXT) | instid1(VALU_DEP_1)
	v_cndmask_b32_e64 v25, v25, v20, s3
	v_lshrrev_b32_e32 v26, 16, v25
	v_lshrrev_b32_e32 v20, 24, v25
	;; [unrolled: 1-line block ×3, first 2 shown]
	s_delay_alu instid0(VALU_DEP_2) | instskip(NEXT) | instid1(VALU_DEP_1)
	v_dual_mov_b32 v28, v20 :: v_dual_and_b32 v21, 0xff, v26
	v_cmpx_gt_u16_e64 v20, v21
; %bb.58:
	v_dual_mov_b32 v28, v26 :: v_dual_mov_b32 v9, v16
	v_mov_b32_e32 v10, v17
	v_dual_mov_b32 v16, v18 :: v_dual_mov_b32 v17, v19
	v_mov_b32_e32 v26, v20
; %bb.59:
	s_wait_alu 0xfffe
	s_or_b32 exec_lo, exec_lo, s5
	v_cndmask_b32_e64 v21, v15, v5, s3
	s_delay_alu instid0(VALU_DEP_2) | instskip(SKIP_2) | instid1(VALU_DEP_1)
	v_and_b32_e32 v19, 0xff, v26
	v_cndmask_b32_e64 v20, v14, v4, s3
	v_and_b32_e32 v18, 0xff, v27
	v_cmp_gt_u16_e64 s4, v19, v18
	s_delay_alu instid0(VALU_DEP_3)
	v_dual_mov_b32 v18, v20 :: v_dual_mov_b32 v19, v21
	s_and_saveexec_b32 s5, s4
	s_wait_alu 0xfffe
	s_xor_b32 s4, exec_lo, s5
; %bb.60:
	v_mov_b32_e32 v19, v10
	v_dual_mov_b32 v29, v27 :: v_dual_mov_b32 v18, v9
	v_mov_b32_e32 v9, v20
	v_swap_b32 v27, v26
	v_mov_b32_e32 v10, v21
; %bb.61:
	s_wait_alu 0xfffe
	s_or_b32 exec_lo, exec_lo, s4
	s_delay_alu instid0(VALU_DEP_2) | instskip(NEXT) | instid1(VALU_DEP_3)
	v_perm_b32 v20, v26, v28, 0xc0c0004
	v_perm_b32 v21, v27, v25, 0xc0c0004
	;; [unrolled: 1-line block ×3, first 2 shown]
	v_and_b32_e32 v25, 0xff, v25
	v_and_b32_e32 v27, 0xff, v27
	v_lshlrev_b32_e32 v20, 16, v20
	s_delay_alu instid0(VALU_DEP_2) | instskip(NEXT) | instid1(VALU_DEP_2)
	v_cmp_gt_u16_e64 s4, v27, v25
	v_or_b32_e32 v21, v21, v20
	v_or_b32_e32 v20, v26, v20
	s_wait_alu 0xf1ff
	s_delay_alu instid0(VALU_DEP_1) | instskip(NEXT) | instid1(VALU_DEP_1)
	v_cndmask_b32_e64 v25, v20, v21, s4
	v_lshrrev_b32_e32 v26, 16, v25
	v_lshrrev_b32_e32 v27, 24, v25
	s_delay_alu instid0(VALU_DEP_2) | instskip(NEXT) | instid1(VALU_DEP_1)
	v_and_b32_e32 v20, 0xff, v26
	v_cmp_gt_u16_e64 s5, v27, v20
	v_dual_mov_b32 v21, v10 :: v_dual_mov_b32 v20, v9
	s_and_saveexec_b32 s7, s5
; %bb.62:
	v_perm_b32 v25, v25, v25, 0x6070504
	v_dual_mov_b32 v21, v17 :: v_dual_mov_b32 v20, v16
	v_dual_mov_b32 v17, v10 :: v_dual_mov_b32 v16, v9
	v_mov_b32_e32 v26, v27
; %bb.63:
	s_wait_alu 0xfffe
	s_or_b32 exec_lo, exec_lo, s7
	v_cndmask_b32_e64 v10, v5, v15, s3
	v_cndmask_b32_e64 v14, v4, v14, s3
	v_lshrrev_b32_e32 v9, 8, v25
	v_and_b32_e32 v27, 0xff, v26
	s_delay_alu instid0(VALU_DEP_4) | instskip(NEXT) | instid1(VALU_DEP_4)
	v_cndmask_b32_e64 v5, v10, v19, s4
	v_cndmask_b32_e64 v4, v14, v18, s4
	;; [unrolled: 1-line block ×4, first 2 shown]
	v_dual_mov_b32 v18, v20 :: v_dual_and_b32 v9, 0xff, v9
	v_mov_b32_e32 v19, v21
	s_mov_b32 s4, exec_lo
	s_delay_alu instid0(VALU_DEP_2)
	v_cmpx_gt_u16_e64 v27, v9
; %bb.64:
	v_perm_b32 v25, v25, v26, 0x7050004
	v_dual_mov_b32 v19, v15 :: v_dual_mov_b32 v18, v14
	v_dual_mov_b32 v14, v20 :: v_dual_mov_b32 v15, v21
; %bb.65:
	s_wait_alu 0xfffe
	s_or_b32 exec_lo, exec_lo, s4
.LBB108_66:
	s_delay_alu instid0(SALU_CYCLE_1) | instskip(SKIP_4) | instid1(VALU_DEP_3)
	s_or_b32 exec_lo, exec_lo, s6
	v_and_b32_e32 v9, 0xffffff80, v11
	v_or_b32_e32 v10, 4, v24
	v_and_b32_e32 v27, 0x78, v24
	s_mov_b32 s4, exec_lo
	v_sub_nc_u32_e64 v20, 0x400, v9 clamp
	v_add_co_u32 v11, s3, v12, v9
	s_wait_alu 0xf1ff
	v_add_co_ci_u32_e64 v12, null, 0, v13, s3
	s_delay_alu instid0(VALU_DEP_3) | instskip(SKIP_1) | instid1(VALU_DEP_2)
	v_min_u32_e32 v31, v20, v10
	v_and_b32_e32 v13, 4, v24
	v_add_nc_u32_e32 v10, 4, v31
	s_delay_alu instid0(VALU_DEP_2) | instskip(NEXT) | instid1(VALU_DEP_2)
	v_min_u32_e32 v28, v20, v13
	v_min_u32_e32 v32, v20, v10
	v_mad_co_u64_u32 v[9:10], null, v9, 7, v[11:12]
	v_sub_nc_u32_e32 v10, v31, v27
	s_delay_alu instid0(VALU_DEP_3) | instskip(NEXT) | instid1(VALU_DEP_2)
	v_sub_nc_u32_e32 v21, v32, v31
	v_min_u32_e32 v13, v28, v10
	s_delay_alu instid0(VALU_DEP_4) | instskip(NEXT) | instid1(VALU_DEP_3)
	v_lshl_add_u32 v12, v24, 3, v9
	v_sub_nc_u32_e64 v29, v28, v21 clamp
	v_add_co_u32 v10, null, v11, v24
	s_wait_loadcnt_dscnt 0x0
	ds_store_2addr_b64 v12, v[4:5], v[14:15] offset0:128 offset1:129
	ds_store_b64 v12, v[18:19] offset:1040
	ds_store_b32 v10, v25
	ds_store_b64 v12, v[16:17] offset:1048
	; wave barrier
	v_cmpx_lt_u32_e64 v29, v13
	s_cbranch_execz .LBB108_70
; %bb.67:
	v_add_co_u32 v21, null, v11, v27
	v_add_co_u32 v26, null, v11, v31
	s_mov_b32 s5, 0
.LBB108_68:                             ; =>This Inner Loop Header: Depth=1
	v_add_nc_u32_e32 v30, v13, v29
	s_delay_alu instid0(VALU_DEP_1) | instskip(NEXT) | instid1(VALU_DEP_1)
	v_lshrrev_b32_e32 v30, 1, v30
	v_not_b32_e32 v33, v30
	v_add_nc_u32_e32 v34, v21, v30
	v_add_nc_u32_e32 v35, 1, v30
	s_delay_alu instid0(VALU_DEP_3)
	v_add3_u32 v33, v28, v33, v26
	ds_load_u8 v34, v34
	ds_load_u8 v33, v33
	s_wait_dscnt 0x0
	v_cmp_gt_u16_e64 s3, v33, v34
	s_wait_alu 0xf1ff
	s_delay_alu instid0(VALU_DEP_1) | instskip(SKIP_1) | instid1(VALU_DEP_1)
	v_cndmask_b32_e64 v13, v13, v30, s3
	v_cndmask_b32_e64 v29, v35, v29, s3
	v_cmp_ge_u32_e64 s3, v29, v13
	s_wait_alu 0xfffe
	s_or_b32 s5, s3, s5
	s_wait_alu 0xfffe
	s_and_not1_b32 exec_lo, exec_lo, s5
	s_cbranch_execnz .LBB108_68
; %bb.69:
	s_or_b32 exec_lo, exec_lo, s5
.LBB108_70:
	s_wait_alu 0xfffe
	s_or_b32 exec_lo, exec_lo, s4
	v_add_nc_u32_e32 v28, v31, v28
	v_add_nc_u32_e32 v34, v29, v27
	v_dual_mov_b32 v27, v25 :: v_dual_add_nc_u32 v26, 0x400, v12
	v_add_nc_u32_e32 v21, 0x408, v12
	s_delay_alu instid0(VALU_DEP_4) | instskip(NEXT) | instid1(VALU_DEP_4)
	v_sub_nc_u32_e32 v33, v28, v29
	v_cmp_le_u32_e64 s3, v34, v31
	v_add_nc_u32_e32 v13, 0x410, v12
	v_add_nc_u32_e32 v12, 0x418, v12
	v_lshrrev_b32_e32 v29, 16, v25
	v_cmp_le_u32_e64 s4, v33, v32
	v_lshrrev_b32_e32 v28, 8, v25
	v_lshrrev_b32_e32 v30, 24, v25
	s_or_b32 s3, s3, s4
	s_wait_alu 0xfffe
	s_and_saveexec_b32 s8, s3
	s_cbranch_execz .LBB108_76
; %bb.71:
	v_cmp_lt_u32_e64 s3, v34, v31
                                        ; implicit-def: $vgpr4
	s_and_saveexec_b32 s4, s3
; %bb.72:
	v_add_nc_u32_e32 v4, v11, v34
	ds_load_u8 v4, v4
; %bb.73:
	s_wait_alu 0xfffe
	s_or_b32 exec_lo, exec_lo, s4
	v_cmp_ge_u32_e64 s4, v33, v32
	s_mov_b32 s6, exec_lo
                                        ; implicit-def: $vgpr5
	v_cmpx_lt_u32_e64 v33, v32
; %bb.74:
	v_add_nc_u32_e32 v5, v11, v33
	ds_load_u8 v5, v5
; %bb.75:
	s_wait_alu 0xfffe
	s_or_b32 exec_lo, exec_lo, s6
	s_wait_dscnt 0x0
	v_and_b32_e32 v14, 0xff, v4
	v_and_b32_e32 v15, 0xff, v5
	s_delay_alu instid0(VALU_DEP_1)
	v_cmp_le_u16_e64 s5, v15, v14
	s_and_b32 s3, s3, s5
	s_wait_alu 0xfffe
	s_or_b32 s3, s4, s3
	s_wait_alu 0xfffe
	v_cndmask_b32_e64 v14, v33, v34, s3
	v_cndmask_b32_e64 v15, v32, v31, s3
	s_delay_alu instid0(VALU_DEP_2) | instskip(NEXT) | instid1(VALU_DEP_2)
	v_add_nc_u32_e32 v16, 1, v14
	v_add_nc_u32_e32 v15, -1, v15
	v_lshl_add_u32 v14, v14, 3, v9
	s_delay_alu instid0(VALU_DEP_3) | instskip(NEXT) | instid1(VALU_DEP_3)
	v_cndmask_b32_e64 v18, v34, v16, s3
	v_min_u32_e32 v15, v16, v15
	v_cndmask_b32_e64 v16, v16, v33, s3
	s_delay_alu instid0(VALU_DEP_3) | instskip(NEXT) | instid1(VALU_DEP_3)
	v_cmp_lt_u32_e64 s4, v18, v31
	v_add_nc_u32_e32 v15, v11, v15
	s_delay_alu instid0(VALU_DEP_3) | instskip(SKIP_4) | instid1(VALU_DEP_2)
	v_cmp_ge_u32_e64 s6, v16, v32
	ds_load_u8 v15, v15
	s_wait_dscnt 0x0
	v_cndmask_b32_e64 v17, v15, v5, s3
	v_cndmask_b32_e64 v15, v4, v15, s3
	v_and_b32_e32 v19, 0xff, v17
	s_delay_alu instid0(VALU_DEP_2) | instskip(NEXT) | instid1(VALU_DEP_1)
	v_and_b32_e32 v25, 0xff, v15
	v_cmp_le_u16_e64 s5, v19, v25
	s_and_b32 s4, s4, s5
	s_wait_alu 0xfffe
	s_or_b32 s4, s6, s4
	s_wait_alu 0xfffe
	v_cndmask_b32_e64 v19, v16, v18, s4
	v_cndmask_b32_e64 v25, v32, v31, s4
	s_delay_alu instid0(VALU_DEP_2) | instskip(NEXT) | instid1(VALU_DEP_2)
	v_add_nc_u32_e32 v27, 1, v19
	v_add_nc_u32_e32 v25, -1, v25
	s_delay_alu instid0(VALU_DEP_2) | instskip(NEXT) | instid1(VALU_DEP_2)
	v_cndmask_b32_e64 v18, v18, v27, s4
	v_min_u32_e32 v25, v27, v25
	v_cndmask_b32_e64 v16, v27, v16, s4
	s_delay_alu instid0(VALU_DEP_3) | instskip(NEXT) | instid1(VALU_DEP_3)
	v_cmp_lt_u32_e64 s5, v18, v31
	v_add_nc_u32_e32 v25, v11, v25
	s_delay_alu instid0(VALU_DEP_3) | instskip(SKIP_4) | instid1(VALU_DEP_2)
	v_cmp_ge_u32_e64 s7, v16, v32
	ds_load_u8 v25, v25
	s_wait_dscnt 0x0
	v_cndmask_b32_e64 v29, v25, v17, s4
	v_cndmask_b32_e64 v25, v15, v25, s4
	v_and_b32_e32 v28, 0xff, v29
	s_delay_alu instid0(VALU_DEP_2) | instskip(NEXT) | instid1(VALU_DEP_1)
	v_and_b32_e32 v30, 0xff, v25
	v_cmp_le_u16_e64 s6, v28, v30
	s_and_b32 s5, s5, s6
	s_wait_alu 0xfffe
	s_or_b32 s5, s7, s5
	s_wait_alu 0xfffe
	v_cndmask_b32_e64 v30, v16, v18, s5
	v_cndmask_b32_e64 v27, v32, v31, s5
	s_delay_alu instid0(VALU_DEP_2) | instskip(NEXT) | instid1(VALU_DEP_2)
	v_add_nc_u32_e32 v28, 1, v30
	v_add_nc_u32_e32 v27, -1, v27
	s_delay_alu instid0(VALU_DEP_2) | instskip(NEXT) | instid1(VALU_DEP_2)
	v_cndmask_b32_e64 v18, v18, v28, s5
	v_min_u32_e32 v27, v28, v27
	v_cndmask_b32_e64 v16, v28, v16, s5
	v_cndmask_b32_e64 v28, v17, v15, s4
	v_lshl_add_u32 v17, v30, 3, v9
	s_delay_alu instid0(VALU_DEP_4) | instskip(NEXT) | instid1(VALU_DEP_4)
	v_add_nc_u32_e32 v27, v11, v27
	v_cmp_ge_u32_e64 s7, v16, v32
	s_delay_alu instid0(VALU_DEP_4)
	v_lshlrev_b16 v32, 8, v28
	ds_load_u8 v27, v27
	s_wait_dscnt 0x0
	v_cndmask_b32_e64 v33, v27, v29, s5
	v_cndmask_b32_e64 v34, v25, v27, s5
	;; [unrolled: 1-line block ×3, first 2 shown]
	v_cmp_lt_u32_e64 s3, v18, v31
	ds_load_b64 v[4:5], v14 offset:1024
	v_and_b32_e32 v35, 0xff, v33
	v_and_b32_e32 v36, 0xff, v34
	v_lshl_add_u32 v14, v19, 3, v9
	v_cndmask_b32_e64 v29, v29, v25, s5
	s_delay_alu instid0(VALU_DEP_3) | instskip(NEXT) | instid1(VALU_DEP_2)
	v_cmp_le_u16_e64 s6, v35, v36
	v_and_b32_e32 v31, 0xff, v29
	s_and_b32 s3, s3, s6
	s_wait_alu 0xfffe
	s_or_b32 s3, s7, s3
	s_wait_alu 0xfffe
	v_cndmask_b32_e64 v16, v16, v18, s3
	v_cndmask_b32_e64 v30, v33, v34, s3
	ds_load_b64 v[14:15], v14 offset:1024
	ds_load_b64 v[18:19], v17 offset:1024
	v_and_b32_e32 v33, 0xff, v27
	v_lshl_add_u32 v16, v16, 3, v9
	v_lshlrev_b16 v25, 8, v30
	ds_load_b64 v[16:17], v16 offset:1024
	v_or_b32_e32 v25, v31, v25
	v_or_b32_e32 v31, v33, v32
	s_delay_alu instid0(VALU_DEP_2) | instskip(NEXT) | instid1(VALU_DEP_2)
	v_lshlrev_b32_e32 v25, 16, v25
	v_and_b32_e32 v31, 0xffff, v31
	s_delay_alu instid0(VALU_DEP_1)
	v_or_b32_e32 v25, v31, v25
.LBB108_76:
	s_wait_alu 0xfffe
	s_or_b32 exec_lo, exec_lo, s8
	v_and_b32_e32 v36, 0x70, v24
	v_and_b32_e32 v32, 12, v24
	s_mov_b32 s4, exec_lo
	; wave barrier
	s_delay_alu instid0(VALU_DEP_2) | instskip(NEXT) | instid1(VALU_DEP_2)
	v_or_b32_e32 v31, 8, v36
	v_min_u32_e32 v37, v20, v32
	ds_store_b8 v10, v27
	s_wait_dscnt 0x4
	ds_store_b64 v26, v[4:5]
	ds_store_b8 v10, v28 offset:1
	s_wait_dscnt 0x5
	ds_store_b64 v21, v[14:15]
	ds_store_b8 v10, v29 offset:2
	;; [unrolled: 3-line block ×3, first 2 shown]
	s_wait_dscnt 0x7
	ds_store_b64 v12, v[16:17]
	v_min_u32_e32 v34, v20, v31
	; wave barrier
	s_delay_alu instid0(VALU_DEP_1) | instskip(SKIP_1) | instid1(VALU_DEP_2)
	v_add_nc_u32_e32 v31, 8, v34
	v_sub_nc_u32_e32 v32, v34, v36
	v_min_u32_e32 v35, v20, v31
	s_delay_alu instid0(VALU_DEP_1) | instskip(NEXT) | instid1(VALU_DEP_1)
	v_sub_nc_u32_e32 v31, v35, v34
	v_sub_nc_u32_e64 v38, v37, v31 clamp
	s_delay_alu instid0(VALU_DEP_4) | instskip(NEXT) | instid1(VALU_DEP_1)
	v_min_u32_e32 v31, v37, v32
	v_cmpx_lt_u32_e64 v38, v31
	s_cbranch_execz .LBB108_80
; %bb.77:
	v_add_co_u32 v32, null, v11, v36
	v_add_co_u32 v33, null, v11, v34
	s_mov_b32 s5, 0
.LBB108_78:                             ; =>This Inner Loop Header: Depth=1
	v_add_nc_u32_e32 v39, v31, v38
	s_delay_alu instid0(VALU_DEP_1) | instskip(NEXT) | instid1(VALU_DEP_1)
	v_lshrrev_b32_e32 v39, 1, v39
	v_not_b32_e32 v48, v39
	v_add_nc_u32_e32 v49, v32, v39
	v_add_nc_u32_e32 v50, 1, v39
	s_delay_alu instid0(VALU_DEP_3)
	v_add3_u32 v48, v37, v48, v33
	ds_load_u8 v49, v49
	ds_load_u8 v48, v48
	s_wait_dscnt 0x0
	v_cmp_gt_u16_e64 s3, v48, v49
	s_wait_alu 0xf1ff
	s_delay_alu instid0(VALU_DEP_1) | instskip(SKIP_1) | instid1(VALU_DEP_1)
	v_cndmask_b32_e64 v31, v31, v39, s3
	v_cndmask_b32_e64 v38, v50, v38, s3
	v_cmp_ge_u32_e64 s3, v38, v31
	s_wait_alu 0xfffe
	s_or_b32 s5, s3, s5
	s_wait_alu 0xfffe
	s_and_not1_b32 exec_lo, exec_lo, s5
	s_cbranch_execnz .LBB108_78
; %bb.79:
	s_or_b32 exec_lo, exec_lo, s5
.LBB108_80:
	s_wait_alu 0xfffe
	s_or_b32 exec_lo, exec_lo, s4
	v_add_nc_u32_e32 v39, v34, v37
	v_add_nc_u32_e32 v37, v38, v36
	;; [unrolled: 1-line block ×5, first 2 shown]
	v_sub_nc_u32_e32 v36, v39, v38
	v_cmp_le_u32_e64 s3, v37, v34
	s_delay_alu instid0(VALU_DEP_2)
	v_cmp_le_u32_e64 s4, v36, v35
	s_or_b32 s3, s3, s4
	s_wait_alu 0xfffe
	s_and_saveexec_b32 s8, s3
	s_cbranch_execz .LBB108_86
; %bb.81:
	v_cmp_lt_u32_e64 s3, v37, v34
                                        ; implicit-def: $vgpr4
	s_and_saveexec_b32 s4, s3
; %bb.82:
	v_add_nc_u32_e32 v4, v11, v37
	ds_load_u8 v4, v4
; %bb.83:
	s_wait_alu 0xfffe
	s_or_b32 exec_lo, exec_lo, s4
	v_cmp_ge_u32_e64 s4, v36, v35
	s_mov_b32 s6, exec_lo
                                        ; implicit-def: $vgpr5
	v_cmpx_lt_u32_e64 v36, v35
; %bb.84:
	v_add_nc_u32_e32 v5, v11, v36
	ds_load_u8 v5, v5
; %bb.85:
	s_wait_alu 0xfffe
	s_or_b32 exec_lo, exec_lo, s6
	s_wait_dscnt 0x0
	v_and_b32_e32 v14, 0xff, v4
	v_and_b32_e32 v15, 0xff, v5
	s_delay_alu instid0(VALU_DEP_1)
	v_cmp_le_u16_e64 s5, v15, v14
	s_and_b32 s3, s3, s5
	s_wait_alu 0xfffe
	s_or_b32 s3, s4, s3
	s_wait_alu 0xfffe
	v_cndmask_b32_e64 v14, v36, v37, s3
	v_cndmask_b32_e64 v15, v35, v34, s3
	s_delay_alu instid0(VALU_DEP_2) | instskip(NEXT) | instid1(VALU_DEP_2)
	v_add_nc_u32_e32 v16, 1, v14
	v_add_nc_u32_e32 v15, -1, v15
	v_lshl_add_u32 v14, v14, 3, v9
	s_delay_alu instid0(VALU_DEP_3) | instskip(NEXT) | instid1(VALU_DEP_3)
	v_cndmask_b32_e64 v18, v37, v16, s3
	v_min_u32_e32 v15, v16, v15
	v_cndmask_b32_e64 v16, v16, v36, s3
	s_delay_alu instid0(VALU_DEP_3) | instskip(NEXT) | instid1(VALU_DEP_3)
	v_cmp_lt_u32_e64 s4, v18, v34
	v_add_nc_u32_e32 v15, v11, v15
	s_delay_alu instid0(VALU_DEP_3) | instskip(SKIP_4) | instid1(VALU_DEP_2)
	v_cmp_ge_u32_e64 s6, v16, v35
	ds_load_u8 v15, v15
	s_wait_dscnt 0x0
	v_cndmask_b32_e64 v17, v15, v5, s3
	v_cndmask_b32_e64 v15, v4, v15, s3
	v_and_b32_e32 v19, 0xff, v17
	s_delay_alu instid0(VALU_DEP_2) | instskip(NEXT) | instid1(VALU_DEP_1)
	v_and_b32_e32 v25, 0xff, v15
	v_cmp_le_u16_e64 s5, v19, v25
	s_and_b32 s4, s4, s5
	s_wait_alu 0xfffe
	s_or_b32 s4, s6, s4
	s_wait_alu 0xfffe
	v_cndmask_b32_e64 v19, v16, v18, s4
	v_cndmask_b32_e64 v25, v35, v34, s4
	s_delay_alu instid0(VALU_DEP_2) | instskip(NEXT) | instid1(VALU_DEP_2)
	v_add_nc_u32_e32 v27, 1, v19
	v_add_nc_u32_e32 v25, -1, v25
	s_delay_alu instid0(VALU_DEP_2) | instskip(NEXT) | instid1(VALU_DEP_2)
	v_cndmask_b32_e64 v18, v18, v27, s4
	v_min_u32_e32 v25, v27, v25
	v_cndmask_b32_e64 v16, v27, v16, s4
	s_delay_alu instid0(VALU_DEP_3) | instskip(NEXT) | instid1(VALU_DEP_3)
	v_cmp_lt_u32_e64 s5, v18, v34
	v_add_nc_u32_e32 v25, v11, v25
	s_delay_alu instid0(VALU_DEP_3) | instskip(SKIP_4) | instid1(VALU_DEP_2)
	v_cmp_ge_u32_e64 s7, v16, v35
	ds_load_u8 v25, v25
	s_wait_dscnt 0x0
	v_cndmask_b32_e64 v29, v25, v17, s4
	v_cndmask_b32_e64 v25, v15, v25, s4
	v_and_b32_e32 v28, 0xff, v29
	s_delay_alu instid0(VALU_DEP_2) | instskip(NEXT) | instid1(VALU_DEP_1)
	v_and_b32_e32 v30, 0xff, v25
	v_cmp_le_u16_e64 s6, v28, v30
	s_and_b32 s5, s5, s6
	s_wait_alu 0xfffe
	s_or_b32 s5, s7, s5
	s_wait_alu 0xfffe
	v_cndmask_b32_e64 v30, v16, v18, s5
	v_cndmask_b32_e64 v27, v35, v34, s5
	s_delay_alu instid0(VALU_DEP_2) | instskip(NEXT) | instid1(VALU_DEP_2)
	v_add_nc_u32_e32 v28, 1, v30
	v_add_nc_u32_e32 v27, -1, v27
	s_delay_alu instid0(VALU_DEP_2) | instskip(NEXT) | instid1(VALU_DEP_2)
	v_cndmask_b32_e64 v18, v18, v28, s5
	v_min_u32_e32 v27, v28, v27
	v_cndmask_b32_e64 v16, v28, v16, s5
	v_cndmask_b32_e64 v28, v17, v15, s4
	v_lshl_add_u32 v17, v30, 3, v9
	s_delay_alu instid0(VALU_DEP_4) | instskip(NEXT) | instid1(VALU_DEP_4)
	v_add_nc_u32_e32 v27, v11, v27
	v_cmp_ge_u32_e64 s7, v16, v35
	s_delay_alu instid0(VALU_DEP_4)
	v_lshlrev_b16 v35, 8, v28
	ds_load_u8 v27, v27
	s_wait_dscnt 0x0
	v_cndmask_b32_e64 v36, v27, v29, s5
	v_cndmask_b32_e64 v37, v25, v27, s5
	;; [unrolled: 1-line block ×3, first 2 shown]
	v_cmp_lt_u32_e64 s3, v18, v34
	ds_load_b64 v[4:5], v14 offset:1024
	v_and_b32_e32 v38, 0xff, v36
	v_and_b32_e32 v39, 0xff, v37
	v_lshl_add_u32 v14, v19, 3, v9
	v_cndmask_b32_e64 v29, v29, v25, s5
	s_delay_alu instid0(VALU_DEP_3) | instskip(NEXT) | instid1(VALU_DEP_2)
	v_cmp_le_u16_e64 s6, v38, v39
	v_and_b32_e32 v34, 0xff, v29
	s_and_b32 s3, s3, s6
	s_wait_alu 0xfffe
	s_or_b32 s3, s7, s3
	s_wait_alu 0xfffe
	v_cndmask_b32_e64 v16, v16, v18, s3
	v_cndmask_b32_e64 v30, v36, v37, s3
	ds_load_b64 v[14:15], v14 offset:1024
	ds_load_b64 v[18:19], v17 offset:1024
	v_and_b32_e32 v36, 0xff, v27
	v_lshl_add_u32 v16, v16, 3, v9
	v_lshlrev_b16 v25, 8, v30
	ds_load_b64 v[16:17], v16 offset:1024
	v_or_b32_e32 v25, v34, v25
	v_or_b32_e32 v34, v36, v35
	s_delay_alu instid0(VALU_DEP_2) | instskip(NEXT) | instid1(VALU_DEP_2)
	v_lshlrev_b32_e32 v25, 16, v25
	v_and_b32_e32 v34, 0xffff, v34
	s_delay_alu instid0(VALU_DEP_1)
	v_or_b32_e32 v25, v34, v25
.LBB108_86:
	s_wait_alu 0xfffe
	s_or_b32 exec_lo, exec_lo, s8
	v_and_b32_e32 v35, 0x60, v24
	; wave barrier
	ds_store_b8 v10, v27
	s_wait_dscnt 0x4
	ds_store_b64 v26, v[4:5]
	s_mov_b32 s4, exec_lo
	v_or_b32_e32 v24, 16, v35
	ds_store_b8 v33, v28
	s_wait_dscnt 0x5
	ds_store_b64 v21, v[14:15]
	ds_store_b8 v32, v29
	s_wait_dscnt 0x6
	ds_store_b64 v13, v[18:19]
	ds_store_b8 v31, v30
	s_wait_dscnt 0x7
	ds_store_b64 v12, v[16:17]
	; wave barrier
	v_min_u32_e32 v34, v20, v24
	s_delay_alu instid0(VALU_DEP_1) | instskip(SKIP_1) | instid1(VALU_DEP_2)
	v_add_nc_u32_e32 v24, 16, v34
	v_sub_nc_u32_e32 v37, v34, v35
	v_min_u32_e32 v24, v20, v24
	v_min_u32_e32 v20, v20, v22
	s_delay_alu instid0(VALU_DEP_2) | instskip(NEXT) | instid1(VALU_DEP_2)
	v_sub_nc_u32_e32 v36, v24, v34
	v_min_u32_e32 v26, v20, v37
	s_delay_alu instid0(VALU_DEP_2) | instskip(NEXT) | instid1(VALU_DEP_1)
	v_sub_nc_u32_e64 v10, v20, v36 clamp
	v_cmpx_lt_u32_e64 v10, v26
	s_cbranch_execz .LBB108_90
; %bb.87:
	v_add_co_u32 v12, null, v11, v35
	v_add_co_u32 v13, null, v11, v34
	s_mov_b32 s5, 0
.LBB108_88:                             ; =>This Inner Loop Header: Depth=1
	v_add_nc_u32_e32 v21, v26, v10
	s_delay_alu instid0(VALU_DEP_1) | instskip(NEXT) | instid1(VALU_DEP_1)
	v_lshrrev_b32_e32 v21, 1, v21
	v_not_b32_e32 v27, v21
	v_add_nc_u32_e32 v28, v12, v21
	v_add_nc_u32_e32 v29, 1, v21
	s_delay_alu instid0(VALU_DEP_3)
	v_add3_u32 v27, v20, v27, v13
	ds_load_u8 v28, v28
	ds_load_u8 v27, v27
	s_wait_dscnt 0x0
	v_cmp_gt_u16_e64 s3, v27, v28
	s_wait_alu 0xf1ff
	s_delay_alu instid0(VALU_DEP_1) | instskip(SKIP_1) | instid1(VALU_DEP_1)
	v_cndmask_b32_e64 v26, v26, v21, s3
	v_cndmask_b32_e64 v10, v29, v10, s3
	v_cmp_ge_u32_e64 s3, v10, v26
	s_wait_alu 0xfffe
	s_or_b32 s5, s3, s5
	s_wait_alu 0xfffe
	s_and_not1_b32 exec_lo, exec_lo, s5
	s_cbranch_execnz .LBB108_88
; %bb.89:
	s_or_b32 exec_lo, exec_lo, s5
.LBB108_90:
	s_wait_alu 0xfffe
	s_or_b32 exec_lo, exec_lo, s4
	v_add_nc_u32_e32 v13, v34, v20
	v_add_nc_u32_e32 v12, v10, v35
	s_delay_alu instid0(VALU_DEP_2) | instskip(NEXT) | instid1(VALU_DEP_2)
	v_sub_nc_u32_e32 v10, v13, v10
	v_cmp_le_u32_e64 s3, v12, v34
	s_delay_alu instid0(VALU_DEP_2)
	v_cmp_le_u32_e64 s4, v10, v24
	s_or_b32 s3, s3, s4
	s_wait_alu 0xfffe
	s_and_saveexec_b32 s8, s3
	s_cbranch_execz .LBB108_96
; %bb.91:
	v_cmp_lt_u32_e64 s3, v12, v34
                                        ; implicit-def: $vgpr4
	s_and_saveexec_b32 s4, s3
; %bb.92:
	v_add_nc_u32_e32 v4, v11, v12
	ds_load_u8 v4, v4
; %bb.93:
	s_wait_alu 0xfffe
	s_or_b32 exec_lo, exec_lo, s4
	v_cmp_ge_u32_e64 s4, v10, v24
	s_mov_b32 s6, exec_lo
                                        ; implicit-def: $vgpr5
	v_cmpx_lt_u32_e64 v10, v24
; %bb.94:
	v_add_nc_u32_e32 v5, v11, v10
	ds_load_u8 v5, v5
; %bb.95:
	s_wait_alu 0xfffe
	s_or_b32 exec_lo, exec_lo, s6
	s_wait_dscnt 0x0
	v_and_b32_e32 v13, 0xff, v4
	v_and_b32_e32 v14, 0xff, v5
	s_delay_alu instid0(VALU_DEP_1)
	v_cmp_le_u16_e64 s5, v14, v13
	s_and_b32 s3, s3, s5
	s_wait_alu 0xfffe
	s_or_b32 s3, s4, s3
	s_wait_alu 0xfffe
	v_cndmask_b32_e64 v13, v10, v12, s3
	v_cndmask_b32_e64 v14, v24, v34, s3
	s_delay_alu instid0(VALU_DEP_2) | instskip(NEXT) | instid1(VALU_DEP_2)
	v_add_nc_u32_e32 v15, 1, v13
	v_add_nc_u32_e32 v14, -1, v14
	v_lshl_add_u32 v13, v13, 3, v9
	s_delay_alu instid0(VALU_DEP_3) | instskip(NEXT) | instid1(VALU_DEP_3)
	v_cndmask_b32_e64 v12, v12, v15, s3
	v_min_u32_e32 v14, v15, v14
	v_cndmask_b32_e64 v10, v15, v10, s3
	s_delay_alu instid0(VALU_DEP_3) | instskip(NEXT) | instid1(VALU_DEP_3)
	v_cmp_lt_u32_e64 s4, v12, v34
	v_add_nc_u32_e32 v14, v11, v14
	s_delay_alu instid0(VALU_DEP_3) | instskip(SKIP_4) | instid1(VALU_DEP_2)
	v_cmp_ge_u32_e64 s6, v10, v24
	ds_load_u8 v14, v14
	s_wait_dscnt 0x0
	v_cndmask_b32_e64 v16, v14, v5, s3
	v_cndmask_b32_e64 v14, v4, v14, s3
	v_and_b32_e32 v17, 0xff, v16
	s_delay_alu instid0(VALU_DEP_2) | instskip(NEXT) | instid1(VALU_DEP_1)
	v_and_b32_e32 v18, 0xff, v14
	v_cmp_le_u16_e64 s5, v17, v18
	s_and_b32 s4, s4, s5
	s_wait_alu 0xfffe
	s_or_b32 s4, s6, s4
	s_wait_alu 0xfffe
	v_cndmask_b32_e64 v15, v10, v12, s4
	v_cndmask_b32_e64 v17, v24, v34, s4
	s_delay_alu instid0(VALU_DEP_2) | instskip(NEXT) | instid1(VALU_DEP_2)
	v_add_nc_u32_e32 v18, 1, v15
	v_add_nc_u32_e32 v17, -1, v17
	s_delay_alu instid0(VALU_DEP_2) | instskip(NEXT) | instid1(VALU_DEP_2)
	v_cndmask_b32_e64 v12, v12, v18, s4
	v_min_u32_e32 v17, v18, v17
	v_cndmask_b32_e64 v10, v18, v10, s4
	s_delay_alu instid0(VALU_DEP_3) | instskip(NEXT) | instid1(VALU_DEP_3)
	v_cmp_lt_u32_e64 s5, v12, v34
	v_add_nc_u32_e32 v17, v11, v17
	s_delay_alu instid0(VALU_DEP_3) | instskip(SKIP_4) | instid1(VALU_DEP_2)
	v_cmp_ge_u32_e64 s7, v10, v24
	ds_load_u8 v17, v17
	s_wait_dscnt 0x0
	v_cndmask_b32_e64 v19, v17, v16, s4
	v_cndmask_b32_e64 v17, v14, v17, s4
	v_and_b32_e32 v20, 0xff, v19
	s_delay_alu instid0(VALU_DEP_2) | instskip(NEXT) | instid1(VALU_DEP_1)
	v_and_b32_e32 v21, 0xff, v17
	v_cmp_le_u16_e64 s6, v20, v21
	s_and_b32 s5, s5, s6
	s_wait_alu 0xfffe
	s_or_b32 s5, s7, s5
	s_wait_alu 0xfffe
	v_cndmask_b32_e64 v18, v10, v12, s5
	v_cndmask_b32_e64 v20, v24, v34, s5
	s_delay_alu instid0(VALU_DEP_2) | instskip(NEXT) | instid1(VALU_DEP_2)
	v_add_nc_u32_e32 v21, 1, v18
	v_add_nc_u32_e32 v20, -1, v20
	s_delay_alu instid0(VALU_DEP_2) | instskip(NEXT) | instid1(VALU_DEP_2)
	v_cndmask_b32_e64 v12, v12, v21, s5
	v_min_u32_e32 v20, v21, v20
	v_cndmask_b32_e64 v10, v21, v10, s5
	v_cndmask_b32_e64 v21, v5, v4, s3
	ds_load_b64 v[4:5], v13 offset:1024
	v_cmp_lt_u32_e64 s3, v12, v34
	v_add_nc_u32_e32 v11, v11, v20
	v_cmp_ge_u32_e64 s7, v10, v24
	v_cndmask_b32_e64 v13, v16, v14, s4
	v_lshl_add_u32 v14, v15, 3, v9
	v_lshl_add_u32 v16, v18, 3, v9
	ds_load_u8 v11, v11
	s_wait_dscnt 0x0
	v_cndmask_b32_e64 v20, v11, v19, s5
	v_cndmask_b32_e64 v11, v17, v11, s5
	s_delay_alu instid0(VALU_DEP_2) | instskip(NEXT) | instid1(VALU_DEP_2)
	v_and_b32_e32 v25, 0xff, v20
	v_and_b32_e32 v26, 0xff, v11
	s_delay_alu instid0(VALU_DEP_1)
	v_cmp_le_u16_e64 s6, v25, v26
	s_and_b32 s3, s3, s6
	s_wait_alu 0xfffe
	s_or_b32 s3, s7, s3
	s_wait_alu 0xfffe
	v_cndmask_b32_e64 v10, v10, v12, s3
	v_cndmask_b32_e64 v11, v20, v11, s3
	;; [unrolled: 1-line block ×3, first 2 shown]
	ds_load_b64 v[14:15], v14 offset:1024
	ds_load_b64 v[18:19], v16 offset:1024
	v_lshl_add_u32 v9, v10, 3, v9
	v_lshlrev_b16 v10, 8, v11
	v_and_b32_e32 v11, 0xff, v12
	v_lshlrev_b16 v12, 8, v13
	v_and_b32_e32 v13, 0xff, v21
	ds_load_b64 v[16:17], v9 offset:1024
	v_or_b32_e32 v9, v11, v10
	v_or_b32_e32 v10, v13, v12
	s_delay_alu instid0(VALU_DEP_2) | instskip(NEXT) | instid1(VALU_DEP_2)
	v_lshlrev_b32_e32 v9, 16, v9
	v_and_b32_e32 v10, 0xffff, v10
	s_delay_alu instid0(VALU_DEP_1)
	v_or_b32_e32 v25, v10, v9
.LBB108_96:
	s_wait_alu 0xfffe
	s_or_b32 exec_lo, exec_lo, s8
	; wave barrier
	s_wait_storecnt_dscnt 0x0
	s_barrier_signal -1
	s_barrier_wait -1
.LBB108_97:
	s_wait_alu 0xfffe
	s_or_b32 exec_lo, exec_lo, s10
	v_add_co_u32 v2, s3, v2, v8
	s_wait_alu 0xf1ff
	v_add_co_ci_u32_e64 v3, null, 0, v3, s3
	s_wait_storecnt 0x0
	s_wait_loadcnt_dscnt 0x0
	global_inv scope:SCOPE_SE
	v_add_co_u32 v2, s3, v2, v22
	s_wait_alu 0xf1ff
	v_add_co_ci_u32_e64 v3, null, 0, v3, s3
	; wave barrier
	s_and_saveexec_b32 s3, vcc_lo
	s_cbranch_execnz .LBB108_110
; %bb.98:
	s_wait_alu 0xfffe
	s_or_b32 exec_lo, exec_lo, s3
	s_and_saveexec_b32 s3, s0
	s_cbranch_execnz .LBB108_111
.LBB108_99:
	s_wait_alu 0xfffe
	s_or_b32 exec_lo, exec_lo, s3
	s_and_saveexec_b32 s3, s1
	s_cbranch_execnz .LBB108_112
.LBB108_100:
	s_wait_alu 0xfffe
	s_or_b32 exec_lo, exec_lo, s3
	s_and_saveexec_b32 s3, s2
	s_cbranch_execz .LBB108_102
.LBB108_101:
	v_lshrrev_b32_e32 v8, 24, v25
	flat_store_b8 v[2:3], v8 offset:3
.LBB108_102:
	s_wait_alu 0xfffe
	s_or_b32 exec_lo, exec_lo, s3
	v_add_co_u32 v0, s3, v6, v0
	s_wait_alu 0xf1ff
	v_add_co_ci_u32_e64 v1, null, v7, v1, s3
	s_delay_alu instid0(VALU_DEP_2) | instskip(SKIP_1) | instid1(VALU_DEP_2)
	v_add_co_u32 v0, s3, v0, v23
	s_wait_alu 0xf1ff
	v_add_co_ci_u32_e64 v1, null, 0, v1, s3
	; wave barrier
	s_and_saveexec_b32 s3, vcc_lo
	s_cbranch_execnz .LBB108_113
; %bb.103:
	s_wait_alu 0xfffe
	s_or_b32 exec_lo, exec_lo, s3
	s_and_saveexec_b32 s3, s0
	s_cbranch_execnz .LBB108_114
.LBB108_104:
	s_wait_alu 0xfffe
	s_or_b32 exec_lo, exec_lo, s3
	s_and_saveexec_b32 s0, s1
	s_cbranch_execnz .LBB108_115
.LBB108_105:
	s_wait_alu 0xfffe
	s_or_b32 exec_lo, exec_lo, s0
	s_and_saveexec_b32 s0, s2
	s_cbranch_execnz .LBB108_116
.LBB108_106:
	s_wait_alu 0xfffe
	s_or_b32 exec_lo, exec_lo, s0
	s_wait_loadcnt_dscnt 0x0
	s_setpc_b64 s[30:31]
.LBB108_107:
	flat_load_b64 v[4:5], v[20:21]
	s_wait_alu 0xfffe
	s_or_b32 exec_lo, exec_lo, s3
                                        ; implicit-def: $vgpr14_vgpr15
	s_and_saveexec_b32 s3, s0
	s_cbranch_execz .LBB108_10
.LBB108_108:
	flat_load_b64 v[14:15], v[20:21] offset:8
	s_wait_alu 0xfffe
	s_or_b32 exec_lo, exec_lo, s3
                                        ; implicit-def: $vgpr18_vgpr19
	s_and_saveexec_b32 s3, s1
	s_cbranch_execz .LBB108_11
.LBB108_109:
	flat_load_b64 v[18:19], v[20:21] offset:16
	s_wait_alu 0xfffe
	s_or_b32 exec_lo, exec_lo, s3
                                        ; implicit-def: $vgpr16_vgpr17
	s_and_saveexec_b32 s3, s2
	s_cbranch_execnz .LBB108_12
	s_branch .LBB108_13
.LBB108_110:
	flat_store_b8 v[2:3], v25
	s_wait_alu 0xfffe
	s_or_b32 exec_lo, exec_lo, s3
	s_and_saveexec_b32 s3, s0
	s_cbranch_execz .LBB108_99
.LBB108_111:
	v_lshrrev_b32_e32 v8, 8, v25
	flat_store_b8 v[2:3], v8 offset:1
	s_wait_alu 0xfffe
	s_or_b32 exec_lo, exec_lo, s3
	s_and_saveexec_b32 s3, s1
	s_cbranch_execz .LBB108_100
.LBB108_112:
	flat_store_d16_hi_b8 v[2:3], v25 offset:2
	s_wait_alu 0xfffe
	s_or_b32 exec_lo, exec_lo, s3
	s_and_saveexec_b32 s3, s2
	s_cbranch_execnz .LBB108_101
	s_branch .LBB108_102
.LBB108_113:
	flat_store_b64 v[0:1], v[4:5]
	s_wait_alu 0xfffe
	s_or_b32 exec_lo, exec_lo, s3
	s_and_saveexec_b32 s3, s0
	s_cbranch_execz .LBB108_104
.LBB108_114:
	flat_store_b64 v[0:1], v[14:15] offset:8
	s_wait_alu 0xfffe
	s_or_b32 exec_lo, exec_lo, s3
	s_and_saveexec_b32 s0, s1
	s_cbranch_execz .LBB108_105
.LBB108_115:
	flat_store_b64 v[0:1], v[18:19] offset:16
	s_wait_alu 0xfffe
	s_or_b32 exec_lo, exec_lo, s0
	s_and_saveexec_b32 s0, s2
	s_cbranch_execz .LBB108_106
.LBB108_116:
	flat_store_b64 v[0:1], v[16:17] offset:24
	s_wait_alu 0xfffe
	s_or_b32 exec_lo, exec_lo, s0
	s_wait_loadcnt_dscnt 0x0
	s_setpc_b64 s[30:31]
.Lfunc_end108:
	.size	_ZN7rocprim17ROCPRIM_400000_NS6detail26segmented_warp_sort_helperINS1_20WarpSortHelperConfigILj8ELj4ELj256EEEhlLi256ELb1EvE4sortIPKhPhPKlPlEEvT_T0_T1_T2_jjjjRNS5_12storage_typeE, .Lfunc_end108-_ZN7rocprim17ROCPRIM_400000_NS6detail26segmented_warp_sort_helperINS1_20WarpSortHelperConfigILj8ELj4ELj256EEEhlLi256ELb1EvE4sortIPKhPhPKlPlEEvT_T0_T1_T2_jjjjRNS5_12storage_typeE
                                        ; -- End function
	.set .L_ZN7rocprim17ROCPRIM_400000_NS6detail26segmented_warp_sort_helperINS1_20WarpSortHelperConfigILj8ELj4ELj256EEEhlLi256ELb1EvE4sortIPKhPhPKlPlEEvT_T0_T1_T2_jjjjRNS5_12storage_typeE.num_vgpr, 52
	.set .L_ZN7rocprim17ROCPRIM_400000_NS6detail26segmented_warp_sort_helperINS1_20WarpSortHelperConfigILj8ELj4ELj256EEEhlLi256ELb1EvE4sortIPKhPhPKlPlEEvT_T0_T1_T2_jjjjRNS5_12storage_typeE.num_agpr, 0
	.set .L_ZN7rocprim17ROCPRIM_400000_NS6detail26segmented_warp_sort_helperINS1_20WarpSortHelperConfigILj8ELj4ELj256EEEhlLi256ELb1EvE4sortIPKhPhPKlPlEEvT_T0_T1_T2_jjjjRNS5_12storage_typeE.numbered_sgpr, 32
	.set .L_ZN7rocprim17ROCPRIM_400000_NS6detail26segmented_warp_sort_helperINS1_20WarpSortHelperConfigILj8ELj4ELj256EEEhlLi256ELb1EvE4sortIPKhPhPKlPlEEvT_T0_T1_T2_jjjjRNS5_12storage_typeE.num_named_barrier, 0
	.set .L_ZN7rocprim17ROCPRIM_400000_NS6detail26segmented_warp_sort_helperINS1_20WarpSortHelperConfigILj8ELj4ELj256EEEhlLi256ELb1EvE4sortIPKhPhPKlPlEEvT_T0_T1_T2_jjjjRNS5_12storage_typeE.private_seg_size, 0
	.set .L_ZN7rocprim17ROCPRIM_400000_NS6detail26segmented_warp_sort_helperINS1_20WarpSortHelperConfigILj8ELj4ELj256EEEhlLi256ELb1EvE4sortIPKhPhPKlPlEEvT_T0_T1_T2_jjjjRNS5_12storage_typeE.uses_vcc, 1
	.set .L_ZN7rocprim17ROCPRIM_400000_NS6detail26segmented_warp_sort_helperINS1_20WarpSortHelperConfigILj8ELj4ELj256EEEhlLi256ELb1EvE4sortIPKhPhPKlPlEEvT_T0_T1_T2_jjjjRNS5_12storage_typeE.uses_flat_scratch, 0
	.set .L_ZN7rocprim17ROCPRIM_400000_NS6detail26segmented_warp_sort_helperINS1_20WarpSortHelperConfigILj8ELj4ELj256EEEhlLi256ELb1EvE4sortIPKhPhPKlPlEEvT_T0_T1_T2_jjjjRNS5_12storage_typeE.has_dyn_sized_stack, 0
	.set .L_ZN7rocprim17ROCPRIM_400000_NS6detail26segmented_warp_sort_helperINS1_20WarpSortHelperConfigILj8ELj4ELj256EEEhlLi256ELb1EvE4sortIPKhPhPKlPlEEvT_T0_T1_T2_jjjjRNS5_12storage_typeE.has_recursion, 0
	.set .L_ZN7rocprim17ROCPRIM_400000_NS6detail26segmented_warp_sort_helperINS1_20WarpSortHelperConfigILj8ELj4ELj256EEEhlLi256ELb1EvE4sortIPKhPhPKlPlEEvT_T0_T1_T2_jjjjRNS5_12storage_typeE.has_indirect_call, 0
	.section	.AMDGPU.csdata,"",@progbits
; Function info:
; codeLenInByte = 9656
; TotalNumSgprs: 34
; NumVgprs: 52
; ScratchSize: 0
; MemoryBound: 0
	.section	.text._ZN7rocprim17ROCPRIM_400000_NS6detail17trampoline_kernelINS0_14default_configENS1_36segmented_radix_sort_config_selectorIhlEEZNS1_25segmented_radix_sort_implIS3_Lb1EPKhPhPKlPlN2at6native12_GLOBAL__N_18offset_tEEE10hipError_tPvRmT1_PNSt15iterator_traitsISK_E10value_typeET2_T3_PNSL_ISQ_E10value_typeET4_jRbjT5_SW_jjP12ihipStream_tbEUlT_E1_NS1_11comp_targetILNS1_3genE10ELNS1_11target_archE1201ELNS1_3gpuE5ELNS1_3repE0EEENS1_59segmented_radix_sort_warp_sort_small_config_static_selectorELNS0_4arch9wavefront6targetE0EEEvSK_,"axG",@progbits,_ZN7rocprim17ROCPRIM_400000_NS6detail17trampoline_kernelINS0_14default_configENS1_36segmented_radix_sort_config_selectorIhlEEZNS1_25segmented_radix_sort_implIS3_Lb1EPKhPhPKlPlN2at6native12_GLOBAL__N_18offset_tEEE10hipError_tPvRmT1_PNSt15iterator_traitsISK_E10value_typeET2_T3_PNSL_ISQ_E10value_typeET4_jRbjT5_SW_jjP12ihipStream_tbEUlT_E1_NS1_11comp_targetILNS1_3genE10ELNS1_11target_archE1201ELNS1_3gpuE5ELNS1_3repE0EEENS1_59segmented_radix_sort_warp_sort_small_config_static_selectorELNS0_4arch9wavefront6targetE0EEEvSK_,comdat
	.globl	_ZN7rocprim17ROCPRIM_400000_NS6detail17trampoline_kernelINS0_14default_configENS1_36segmented_radix_sort_config_selectorIhlEEZNS1_25segmented_radix_sort_implIS3_Lb1EPKhPhPKlPlN2at6native12_GLOBAL__N_18offset_tEEE10hipError_tPvRmT1_PNSt15iterator_traitsISK_E10value_typeET2_T3_PNSL_ISQ_E10value_typeET4_jRbjT5_SW_jjP12ihipStream_tbEUlT_E1_NS1_11comp_targetILNS1_3genE10ELNS1_11target_archE1201ELNS1_3gpuE5ELNS1_3repE0EEENS1_59segmented_radix_sort_warp_sort_small_config_static_selectorELNS0_4arch9wavefront6targetE0EEEvSK_ ; -- Begin function _ZN7rocprim17ROCPRIM_400000_NS6detail17trampoline_kernelINS0_14default_configENS1_36segmented_radix_sort_config_selectorIhlEEZNS1_25segmented_radix_sort_implIS3_Lb1EPKhPhPKlPlN2at6native12_GLOBAL__N_18offset_tEEE10hipError_tPvRmT1_PNSt15iterator_traitsISK_E10value_typeET2_T3_PNSL_ISQ_E10value_typeET4_jRbjT5_SW_jjP12ihipStream_tbEUlT_E1_NS1_11comp_targetILNS1_3genE10ELNS1_11target_archE1201ELNS1_3gpuE5ELNS1_3repE0EEENS1_59segmented_radix_sort_warp_sort_small_config_static_selectorELNS0_4arch9wavefront6targetE0EEEvSK_
	.p2align	8
	.type	_ZN7rocprim17ROCPRIM_400000_NS6detail17trampoline_kernelINS0_14default_configENS1_36segmented_radix_sort_config_selectorIhlEEZNS1_25segmented_radix_sort_implIS3_Lb1EPKhPhPKlPlN2at6native12_GLOBAL__N_18offset_tEEE10hipError_tPvRmT1_PNSt15iterator_traitsISK_E10value_typeET2_T3_PNSL_ISQ_E10value_typeET4_jRbjT5_SW_jjP12ihipStream_tbEUlT_E1_NS1_11comp_targetILNS1_3genE10ELNS1_11target_archE1201ELNS1_3gpuE5ELNS1_3repE0EEENS1_59segmented_radix_sort_warp_sort_small_config_static_selectorELNS0_4arch9wavefront6targetE0EEEvSK_,@function
_ZN7rocprim17ROCPRIM_400000_NS6detail17trampoline_kernelINS0_14default_configENS1_36segmented_radix_sort_config_selectorIhlEEZNS1_25segmented_radix_sort_implIS3_Lb1EPKhPhPKlPlN2at6native12_GLOBAL__N_18offset_tEEE10hipError_tPvRmT1_PNSt15iterator_traitsISK_E10value_typeET2_T3_PNSL_ISQ_E10value_typeET4_jRbjT5_SW_jjP12ihipStream_tbEUlT_E1_NS1_11comp_targetILNS1_3genE10ELNS1_11target_archE1201ELNS1_3gpuE5ELNS1_3repE0EEENS1_59segmented_radix_sort_warp_sort_small_config_static_selectorELNS0_4arch9wavefront6targetE0EEEvSK_: ; @_ZN7rocprim17ROCPRIM_400000_NS6detail17trampoline_kernelINS0_14default_configENS1_36segmented_radix_sort_config_selectorIhlEEZNS1_25segmented_radix_sort_implIS3_Lb1EPKhPhPKlPlN2at6native12_GLOBAL__N_18offset_tEEE10hipError_tPvRmT1_PNSt15iterator_traitsISK_E10value_typeET2_T3_PNSL_ISQ_E10value_typeET4_jRbjT5_SW_jjP12ihipStream_tbEUlT_E1_NS1_11comp_targetILNS1_3genE10ELNS1_11target_archE1201ELNS1_3gpuE5ELNS1_3repE0EEENS1_59segmented_radix_sort_warp_sort_small_config_static_selectorELNS0_4arch9wavefront6targetE0EEEvSK_
; %bb.0:
	s_load_b32 s2, s[0:1], 0x64
	v_bfe_u32 v1, v0, 10, 10
	v_bfe_u32 v2, v0, 20, 10
	s_mov_b32 s32, 0
	s_wait_kmcnt 0x0
	s_lshr_b32 s3, s2, 16
	s_and_b32 s2, s2, 0xffff
	v_mad_u32_u24 v2, v2, s3, v1
	v_and_b32_e32 v1, 0x3ff, v0
	s_load_b32 s3, s[0:1], 0x34
	s_delay_alu instid0(VALU_DEP_1) | instskip(SKIP_2) | instid1(VALU_DEP_1)
	v_mad_co_u64_u32 v[1:2], null, v2, s2, v[1:2]
	s_mov_b32 s2, exec_lo
	v_lshrrev_b32_e32 v1, 3, v1
	v_lshl_add_u32 v1, ttmp9, 5, v1
	s_wait_kmcnt 0x0
	s_delay_alu instid0(VALU_DEP_1)
	v_cmpx_gt_u32_e64 s3, v1
	s_cbranch_execz .LBB109_6
; %bb.1:
	s_clause 0x1
	s_load_b64 s[2:3], s[0:1], 0x38
	s_load_b128 s[4:7], s[0:1], 0x40
	v_mov_b32_e32 v2, 0
	s_delay_alu instid0(VALU_DEP_1) | instskip(SKIP_1) | instid1(VALU_DEP_1)
	v_lshlrev_b64_e32 v[1:2], 2, v[1:2]
	s_wait_kmcnt 0x0
	v_sub_co_u32 v1, vcc_lo, s2, v1
	s_delay_alu instid0(VALU_DEP_1) | instskip(SKIP_4) | instid1(VALU_DEP_2)
	v_sub_co_ci_u32_e64 v2, null, s3, v2, vcc_lo
	global_load_b32 v1, v[1:2], off offset:-4
	s_wait_loadcnt 0x0
	v_add_nc_u32_e32 v2, s5, v1
	v_add_nc_u32_e32 v1, s7, v1
	v_mul_lo_u32 v40, v2, s4
	s_delay_alu instid0(VALU_DEP_2) | instskip(NEXT) | instid1(VALU_DEP_1)
	v_mul_lo_u32 v41, v1, s6
	v_cmp_gt_u32_e32 vcc_lo, v41, v40
	s_and_b32 exec_lo, exec_lo, vcc_lo
	s_cbranch_execz .LBB109_6
; %bb.2:
	s_clause 0x3
	s_load_b32 s2, s[0:1], 0x30
	s_load_b128 s[24:27], s[0:1], 0x20
	s_load_b256 s[16:23], s[0:1], 0x0
	s_load_b64 s[28:29], s[0:1], 0x50
	s_add_nc_u64 s[14:15], s[0:1], 0x58
	s_wait_kmcnt 0x0
	s_bitcmp0_b32 s2, 0
	s_mov_b32 s2, -1
	s_cbranch_scc0 .LBB109_4
; %bb.3:
	s_mov_b64 s[0:1], src_shared_base
	v_dual_mov_b32 v31, v0 :: v_dual_mov_b32 v42, v0
	v_dual_mov_b32 v0, s16 :: v_dual_mov_b32 v1, s17
	;; [unrolled: 1-line block ×7, first 2 shown]
	s_wait_alu 0xfffe
	v_dual_mov_b32 v12, 0 :: v_dual_mov_b32 v13, s1
	s_getpc_b64 s[2:3]
	s_wait_alu 0xfffe
	s_sext_i32_i16 s3, s3
	s_add_co_u32 s2, s2, _ZN7rocprim17ROCPRIM_400000_NS6detail26segmented_warp_sort_helperINS1_20WarpSortHelperConfigILj8ELj4ELj256EEEhlLi256ELb1EvE4sortIPKhPhPKlPlEEvT_T0_T1_T2_jjjjRNS5_12storage_typeE@rel32@lo+12
	s_wait_alu 0xfffe
	s_add_co_ci_u32 s3, s3, _ZN7rocprim17ROCPRIM_400000_NS6detail26segmented_warp_sort_helperINS1_20WarpSortHelperConfigILj8ELj4ELj256EEEhlLi256ELb1EvE4sortIPKhPhPKlPlEEvT_T0_T1_T2_jjjjRNS5_12storage_typeE@rel32@hi+24
	s_mov_b64 s[8:9], s[14:15]
	s_wait_alu 0xfffe
	s_swappc_b64 s[30:31], s[2:3]
	v_mov_b32_e32 v0, v42
	s_mov_b32 s2, 0
.LBB109_4:
	s_wait_alu 0xfffe
	s_and_not1_b32 vcc_lo, exec_lo, s2
	s_wait_alu 0xfffe
	s_cbranch_vccnz .LBB109_6
; %bb.5:
	s_mov_b64 s[0:1], src_shared_base
	v_dual_mov_b32 v31, v0 :: v_dual_mov_b32 v0, s16
	v_dual_mov_b32 v1, s17 :: v_dual_mov_b32 v2, s20
	;; [unrolled: 1-line block ×7, first 2 shown]
	s_wait_alu 0xfffe
	v_mov_b32_e32 v13, s1
	s_getpc_b64 s[2:3]
	s_wait_alu 0xfffe
	s_sext_i32_i16 s3, s3
	s_add_co_u32 s2, s2, _ZN7rocprim17ROCPRIM_400000_NS6detail26segmented_warp_sort_helperINS1_20WarpSortHelperConfigILj8ELj4ELj256EEEhlLi256ELb1EvE4sortIPKhPhPKlPlEEvT_T0_T1_T2_jjjjRNS5_12storage_typeE@rel32@lo+12
	s_wait_alu 0xfffe
	s_add_co_ci_u32 s3, s3, _ZN7rocprim17ROCPRIM_400000_NS6detail26segmented_warp_sort_helperINS1_20WarpSortHelperConfigILj8ELj4ELj256EEEhlLi256ELb1EvE4sortIPKhPhPKlPlEEvT_T0_T1_T2_jjjjRNS5_12storage_typeE@rel32@hi+24
	s_mov_b64 s[8:9], s[14:15]
	s_wait_alu 0xfffe
	s_swappc_b64 s[30:31], s[2:3]
.LBB109_6:
	s_endpgm
	.section	.rodata,"a",@progbits
	.p2align	6, 0x0
	.amdhsa_kernel _ZN7rocprim17ROCPRIM_400000_NS6detail17trampoline_kernelINS0_14default_configENS1_36segmented_radix_sort_config_selectorIhlEEZNS1_25segmented_radix_sort_implIS3_Lb1EPKhPhPKlPlN2at6native12_GLOBAL__N_18offset_tEEE10hipError_tPvRmT1_PNSt15iterator_traitsISK_E10value_typeET2_T3_PNSL_ISQ_E10value_typeET4_jRbjT5_SW_jjP12ihipStream_tbEUlT_E1_NS1_11comp_targetILNS1_3genE10ELNS1_11target_archE1201ELNS1_3gpuE5ELNS1_3repE0EEENS1_59segmented_radix_sort_warp_sort_small_config_static_selectorELNS0_4arch9wavefront6targetE0EEEvSK_
		.amdhsa_group_segment_fixed_size 9216
		.amdhsa_private_segment_fixed_size 0
		.amdhsa_kernarg_size 344
		.amdhsa_user_sgpr_count 2
		.amdhsa_user_sgpr_dispatch_ptr 0
		.amdhsa_user_sgpr_queue_ptr 0
		.amdhsa_user_sgpr_kernarg_segment_ptr 1
		.amdhsa_user_sgpr_dispatch_id 0
		.amdhsa_user_sgpr_private_segment_size 0
		.amdhsa_wavefront_size32 1
		.amdhsa_uses_dynamic_stack 0
		.amdhsa_enable_private_segment 0
		.amdhsa_system_sgpr_workgroup_id_x 1
		.amdhsa_system_sgpr_workgroup_id_y 1
		.amdhsa_system_sgpr_workgroup_id_z 0
		.amdhsa_system_sgpr_workgroup_info 0
		.amdhsa_system_vgpr_workitem_id 2
		.amdhsa_next_free_vgpr 52
		.amdhsa_next_free_sgpr 33
		.amdhsa_reserve_vcc 1
		.amdhsa_float_round_mode_32 0
		.amdhsa_float_round_mode_16_64 0
		.amdhsa_float_denorm_mode_32 3
		.amdhsa_float_denorm_mode_16_64 3
		.amdhsa_fp16_overflow 0
		.amdhsa_workgroup_processor_mode 1
		.amdhsa_memory_ordered 1
		.amdhsa_forward_progress 1
		.amdhsa_inst_pref_size 5
		.amdhsa_round_robin_scheduling 0
		.amdhsa_exception_fp_ieee_invalid_op 0
		.amdhsa_exception_fp_denorm_src 0
		.amdhsa_exception_fp_ieee_div_zero 0
		.amdhsa_exception_fp_ieee_overflow 0
		.amdhsa_exception_fp_ieee_underflow 0
		.amdhsa_exception_fp_ieee_inexact 0
		.amdhsa_exception_int_div_zero 0
	.end_amdhsa_kernel
	.section	.text._ZN7rocprim17ROCPRIM_400000_NS6detail17trampoline_kernelINS0_14default_configENS1_36segmented_radix_sort_config_selectorIhlEEZNS1_25segmented_radix_sort_implIS3_Lb1EPKhPhPKlPlN2at6native12_GLOBAL__N_18offset_tEEE10hipError_tPvRmT1_PNSt15iterator_traitsISK_E10value_typeET2_T3_PNSL_ISQ_E10value_typeET4_jRbjT5_SW_jjP12ihipStream_tbEUlT_E1_NS1_11comp_targetILNS1_3genE10ELNS1_11target_archE1201ELNS1_3gpuE5ELNS1_3repE0EEENS1_59segmented_radix_sort_warp_sort_small_config_static_selectorELNS0_4arch9wavefront6targetE0EEEvSK_,"axG",@progbits,_ZN7rocprim17ROCPRIM_400000_NS6detail17trampoline_kernelINS0_14default_configENS1_36segmented_radix_sort_config_selectorIhlEEZNS1_25segmented_radix_sort_implIS3_Lb1EPKhPhPKlPlN2at6native12_GLOBAL__N_18offset_tEEE10hipError_tPvRmT1_PNSt15iterator_traitsISK_E10value_typeET2_T3_PNSL_ISQ_E10value_typeET4_jRbjT5_SW_jjP12ihipStream_tbEUlT_E1_NS1_11comp_targetILNS1_3genE10ELNS1_11target_archE1201ELNS1_3gpuE5ELNS1_3repE0EEENS1_59segmented_radix_sort_warp_sort_small_config_static_selectorELNS0_4arch9wavefront6targetE0EEEvSK_,comdat
.Lfunc_end109:
	.size	_ZN7rocprim17ROCPRIM_400000_NS6detail17trampoline_kernelINS0_14default_configENS1_36segmented_radix_sort_config_selectorIhlEEZNS1_25segmented_radix_sort_implIS3_Lb1EPKhPhPKlPlN2at6native12_GLOBAL__N_18offset_tEEE10hipError_tPvRmT1_PNSt15iterator_traitsISK_E10value_typeET2_T3_PNSL_ISQ_E10value_typeET4_jRbjT5_SW_jjP12ihipStream_tbEUlT_E1_NS1_11comp_targetILNS1_3genE10ELNS1_11target_archE1201ELNS1_3gpuE5ELNS1_3repE0EEENS1_59segmented_radix_sort_warp_sort_small_config_static_selectorELNS0_4arch9wavefront6targetE0EEEvSK_, .Lfunc_end109-_ZN7rocprim17ROCPRIM_400000_NS6detail17trampoline_kernelINS0_14default_configENS1_36segmented_radix_sort_config_selectorIhlEEZNS1_25segmented_radix_sort_implIS3_Lb1EPKhPhPKlPlN2at6native12_GLOBAL__N_18offset_tEEE10hipError_tPvRmT1_PNSt15iterator_traitsISK_E10value_typeET2_T3_PNSL_ISQ_E10value_typeET4_jRbjT5_SW_jjP12ihipStream_tbEUlT_E1_NS1_11comp_targetILNS1_3genE10ELNS1_11target_archE1201ELNS1_3gpuE5ELNS1_3repE0EEENS1_59segmented_radix_sort_warp_sort_small_config_static_selectorELNS0_4arch9wavefront6targetE0EEEvSK_
                                        ; -- End function
	.set _ZN7rocprim17ROCPRIM_400000_NS6detail17trampoline_kernelINS0_14default_configENS1_36segmented_radix_sort_config_selectorIhlEEZNS1_25segmented_radix_sort_implIS3_Lb1EPKhPhPKlPlN2at6native12_GLOBAL__N_18offset_tEEE10hipError_tPvRmT1_PNSt15iterator_traitsISK_E10value_typeET2_T3_PNSL_ISQ_E10value_typeET4_jRbjT5_SW_jjP12ihipStream_tbEUlT_E1_NS1_11comp_targetILNS1_3genE10ELNS1_11target_archE1201ELNS1_3gpuE5ELNS1_3repE0EEENS1_59segmented_radix_sort_warp_sort_small_config_static_selectorELNS0_4arch9wavefront6targetE0EEEvSK_.num_vgpr, max(43, .L_ZN7rocprim17ROCPRIM_400000_NS6detail26segmented_warp_sort_helperINS1_20WarpSortHelperConfigILj8ELj4ELj256EEEhlLi256ELb1EvE4sortIPKhPhPKlPlEEvT_T0_T1_T2_jjjjRNS5_12storage_typeE.num_vgpr)
	.set _ZN7rocprim17ROCPRIM_400000_NS6detail17trampoline_kernelINS0_14default_configENS1_36segmented_radix_sort_config_selectorIhlEEZNS1_25segmented_radix_sort_implIS3_Lb1EPKhPhPKlPlN2at6native12_GLOBAL__N_18offset_tEEE10hipError_tPvRmT1_PNSt15iterator_traitsISK_E10value_typeET2_T3_PNSL_ISQ_E10value_typeET4_jRbjT5_SW_jjP12ihipStream_tbEUlT_E1_NS1_11comp_targetILNS1_3genE10ELNS1_11target_archE1201ELNS1_3gpuE5ELNS1_3repE0EEENS1_59segmented_radix_sort_warp_sort_small_config_static_selectorELNS0_4arch9wavefront6targetE0EEEvSK_.num_agpr, max(0, .L_ZN7rocprim17ROCPRIM_400000_NS6detail26segmented_warp_sort_helperINS1_20WarpSortHelperConfigILj8ELj4ELj256EEEhlLi256ELb1EvE4sortIPKhPhPKlPlEEvT_T0_T1_T2_jjjjRNS5_12storage_typeE.num_agpr)
	.set _ZN7rocprim17ROCPRIM_400000_NS6detail17trampoline_kernelINS0_14default_configENS1_36segmented_radix_sort_config_selectorIhlEEZNS1_25segmented_radix_sort_implIS3_Lb1EPKhPhPKlPlN2at6native12_GLOBAL__N_18offset_tEEE10hipError_tPvRmT1_PNSt15iterator_traitsISK_E10value_typeET2_T3_PNSL_ISQ_E10value_typeET4_jRbjT5_SW_jjP12ihipStream_tbEUlT_E1_NS1_11comp_targetILNS1_3genE10ELNS1_11target_archE1201ELNS1_3gpuE5ELNS1_3repE0EEENS1_59segmented_radix_sort_warp_sort_small_config_static_selectorELNS0_4arch9wavefront6targetE0EEEvSK_.numbered_sgpr, max(33, .L_ZN7rocprim17ROCPRIM_400000_NS6detail26segmented_warp_sort_helperINS1_20WarpSortHelperConfigILj8ELj4ELj256EEEhlLi256ELb1EvE4sortIPKhPhPKlPlEEvT_T0_T1_T2_jjjjRNS5_12storage_typeE.numbered_sgpr)
	.set _ZN7rocprim17ROCPRIM_400000_NS6detail17trampoline_kernelINS0_14default_configENS1_36segmented_radix_sort_config_selectorIhlEEZNS1_25segmented_radix_sort_implIS3_Lb1EPKhPhPKlPlN2at6native12_GLOBAL__N_18offset_tEEE10hipError_tPvRmT1_PNSt15iterator_traitsISK_E10value_typeET2_T3_PNSL_ISQ_E10value_typeET4_jRbjT5_SW_jjP12ihipStream_tbEUlT_E1_NS1_11comp_targetILNS1_3genE10ELNS1_11target_archE1201ELNS1_3gpuE5ELNS1_3repE0EEENS1_59segmented_radix_sort_warp_sort_small_config_static_selectorELNS0_4arch9wavefront6targetE0EEEvSK_.num_named_barrier, max(0, .L_ZN7rocprim17ROCPRIM_400000_NS6detail26segmented_warp_sort_helperINS1_20WarpSortHelperConfigILj8ELj4ELj256EEEhlLi256ELb1EvE4sortIPKhPhPKlPlEEvT_T0_T1_T2_jjjjRNS5_12storage_typeE.num_named_barrier)
	.set _ZN7rocprim17ROCPRIM_400000_NS6detail17trampoline_kernelINS0_14default_configENS1_36segmented_radix_sort_config_selectorIhlEEZNS1_25segmented_radix_sort_implIS3_Lb1EPKhPhPKlPlN2at6native12_GLOBAL__N_18offset_tEEE10hipError_tPvRmT1_PNSt15iterator_traitsISK_E10value_typeET2_T3_PNSL_ISQ_E10value_typeET4_jRbjT5_SW_jjP12ihipStream_tbEUlT_E1_NS1_11comp_targetILNS1_3genE10ELNS1_11target_archE1201ELNS1_3gpuE5ELNS1_3repE0EEENS1_59segmented_radix_sort_warp_sort_small_config_static_selectorELNS0_4arch9wavefront6targetE0EEEvSK_.private_seg_size, 0+max(.L_ZN7rocprim17ROCPRIM_400000_NS6detail26segmented_warp_sort_helperINS1_20WarpSortHelperConfigILj8ELj4ELj256EEEhlLi256ELb1EvE4sortIPKhPhPKlPlEEvT_T0_T1_T2_jjjjRNS5_12storage_typeE.private_seg_size)
	.set _ZN7rocprim17ROCPRIM_400000_NS6detail17trampoline_kernelINS0_14default_configENS1_36segmented_radix_sort_config_selectorIhlEEZNS1_25segmented_radix_sort_implIS3_Lb1EPKhPhPKlPlN2at6native12_GLOBAL__N_18offset_tEEE10hipError_tPvRmT1_PNSt15iterator_traitsISK_E10value_typeET2_T3_PNSL_ISQ_E10value_typeET4_jRbjT5_SW_jjP12ihipStream_tbEUlT_E1_NS1_11comp_targetILNS1_3genE10ELNS1_11target_archE1201ELNS1_3gpuE5ELNS1_3repE0EEENS1_59segmented_radix_sort_warp_sort_small_config_static_selectorELNS0_4arch9wavefront6targetE0EEEvSK_.uses_vcc, or(1, .L_ZN7rocprim17ROCPRIM_400000_NS6detail26segmented_warp_sort_helperINS1_20WarpSortHelperConfigILj8ELj4ELj256EEEhlLi256ELb1EvE4sortIPKhPhPKlPlEEvT_T0_T1_T2_jjjjRNS5_12storage_typeE.uses_vcc)
	.set _ZN7rocprim17ROCPRIM_400000_NS6detail17trampoline_kernelINS0_14default_configENS1_36segmented_radix_sort_config_selectorIhlEEZNS1_25segmented_radix_sort_implIS3_Lb1EPKhPhPKlPlN2at6native12_GLOBAL__N_18offset_tEEE10hipError_tPvRmT1_PNSt15iterator_traitsISK_E10value_typeET2_T3_PNSL_ISQ_E10value_typeET4_jRbjT5_SW_jjP12ihipStream_tbEUlT_E1_NS1_11comp_targetILNS1_3genE10ELNS1_11target_archE1201ELNS1_3gpuE5ELNS1_3repE0EEENS1_59segmented_radix_sort_warp_sort_small_config_static_selectorELNS0_4arch9wavefront6targetE0EEEvSK_.uses_flat_scratch, or(0, .L_ZN7rocprim17ROCPRIM_400000_NS6detail26segmented_warp_sort_helperINS1_20WarpSortHelperConfigILj8ELj4ELj256EEEhlLi256ELb1EvE4sortIPKhPhPKlPlEEvT_T0_T1_T2_jjjjRNS5_12storage_typeE.uses_flat_scratch)
	.set _ZN7rocprim17ROCPRIM_400000_NS6detail17trampoline_kernelINS0_14default_configENS1_36segmented_radix_sort_config_selectorIhlEEZNS1_25segmented_radix_sort_implIS3_Lb1EPKhPhPKlPlN2at6native12_GLOBAL__N_18offset_tEEE10hipError_tPvRmT1_PNSt15iterator_traitsISK_E10value_typeET2_T3_PNSL_ISQ_E10value_typeET4_jRbjT5_SW_jjP12ihipStream_tbEUlT_E1_NS1_11comp_targetILNS1_3genE10ELNS1_11target_archE1201ELNS1_3gpuE5ELNS1_3repE0EEENS1_59segmented_radix_sort_warp_sort_small_config_static_selectorELNS0_4arch9wavefront6targetE0EEEvSK_.has_dyn_sized_stack, or(0, .L_ZN7rocprim17ROCPRIM_400000_NS6detail26segmented_warp_sort_helperINS1_20WarpSortHelperConfigILj8ELj4ELj256EEEhlLi256ELb1EvE4sortIPKhPhPKlPlEEvT_T0_T1_T2_jjjjRNS5_12storage_typeE.has_dyn_sized_stack)
	.set _ZN7rocprim17ROCPRIM_400000_NS6detail17trampoline_kernelINS0_14default_configENS1_36segmented_radix_sort_config_selectorIhlEEZNS1_25segmented_radix_sort_implIS3_Lb1EPKhPhPKlPlN2at6native12_GLOBAL__N_18offset_tEEE10hipError_tPvRmT1_PNSt15iterator_traitsISK_E10value_typeET2_T3_PNSL_ISQ_E10value_typeET4_jRbjT5_SW_jjP12ihipStream_tbEUlT_E1_NS1_11comp_targetILNS1_3genE10ELNS1_11target_archE1201ELNS1_3gpuE5ELNS1_3repE0EEENS1_59segmented_radix_sort_warp_sort_small_config_static_selectorELNS0_4arch9wavefront6targetE0EEEvSK_.has_recursion, or(0, .L_ZN7rocprim17ROCPRIM_400000_NS6detail26segmented_warp_sort_helperINS1_20WarpSortHelperConfigILj8ELj4ELj256EEEhlLi256ELb1EvE4sortIPKhPhPKlPlEEvT_T0_T1_T2_jjjjRNS5_12storage_typeE.has_recursion)
	.set _ZN7rocprim17ROCPRIM_400000_NS6detail17trampoline_kernelINS0_14default_configENS1_36segmented_radix_sort_config_selectorIhlEEZNS1_25segmented_radix_sort_implIS3_Lb1EPKhPhPKlPlN2at6native12_GLOBAL__N_18offset_tEEE10hipError_tPvRmT1_PNSt15iterator_traitsISK_E10value_typeET2_T3_PNSL_ISQ_E10value_typeET4_jRbjT5_SW_jjP12ihipStream_tbEUlT_E1_NS1_11comp_targetILNS1_3genE10ELNS1_11target_archE1201ELNS1_3gpuE5ELNS1_3repE0EEENS1_59segmented_radix_sort_warp_sort_small_config_static_selectorELNS0_4arch9wavefront6targetE0EEEvSK_.has_indirect_call, or(0, .L_ZN7rocprim17ROCPRIM_400000_NS6detail26segmented_warp_sort_helperINS1_20WarpSortHelperConfigILj8ELj4ELj256EEEhlLi256ELb1EvE4sortIPKhPhPKlPlEEvT_T0_T1_T2_jjjjRNS5_12storage_typeE.has_indirect_call)
	.section	.AMDGPU.csdata,"",@progbits
; Kernel info:
; codeLenInByte = 544
; TotalNumSgprs: 35
; NumVgprs: 52
; ScratchSize: 0
; MemoryBound: 0
; FloatMode: 240
; IeeeMode: 1
; LDSByteSize: 9216 bytes/workgroup (compile time only)
; SGPRBlocks: 0
; VGPRBlocks: 6
; NumSGPRsForWavesPerEU: 35
; NumVGPRsForWavesPerEU: 52
; Occupancy: 16
; WaveLimiterHint : 0
; COMPUTE_PGM_RSRC2:SCRATCH_EN: 0
; COMPUTE_PGM_RSRC2:USER_SGPR: 2
; COMPUTE_PGM_RSRC2:TRAP_HANDLER: 0
; COMPUTE_PGM_RSRC2:TGID_X_EN: 1
; COMPUTE_PGM_RSRC2:TGID_Y_EN: 1
; COMPUTE_PGM_RSRC2:TGID_Z_EN: 0
; COMPUTE_PGM_RSRC2:TIDIG_COMP_CNT: 2
	.section	.text._ZN7rocprim17ROCPRIM_400000_NS6detail17trampoline_kernelINS0_14default_configENS1_36segmented_radix_sort_config_selectorIhlEEZNS1_25segmented_radix_sort_implIS3_Lb1EPKhPhPKlPlN2at6native12_GLOBAL__N_18offset_tEEE10hipError_tPvRmT1_PNSt15iterator_traitsISK_E10value_typeET2_T3_PNSL_ISQ_E10value_typeET4_jRbjT5_SW_jjP12ihipStream_tbEUlT_E1_NS1_11comp_targetILNS1_3genE10ELNS1_11target_archE1200ELNS1_3gpuE4ELNS1_3repE0EEENS1_59segmented_radix_sort_warp_sort_small_config_static_selectorELNS0_4arch9wavefront6targetE0EEEvSK_,"axG",@progbits,_ZN7rocprim17ROCPRIM_400000_NS6detail17trampoline_kernelINS0_14default_configENS1_36segmented_radix_sort_config_selectorIhlEEZNS1_25segmented_radix_sort_implIS3_Lb1EPKhPhPKlPlN2at6native12_GLOBAL__N_18offset_tEEE10hipError_tPvRmT1_PNSt15iterator_traitsISK_E10value_typeET2_T3_PNSL_ISQ_E10value_typeET4_jRbjT5_SW_jjP12ihipStream_tbEUlT_E1_NS1_11comp_targetILNS1_3genE10ELNS1_11target_archE1200ELNS1_3gpuE4ELNS1_3repE0EEENS1_59segmented_radix_sort_warp_sort_small_config_static_selectorELNS0_4arch9wavefront6targetE0EEEvSK_,comdat
	.globl	_ZN7rocprim17ROCPRIM_400000_NS6detail17trampoline_kernelINS0_14default_configENS1_36segmented_radix_sort_config_selectorIhlEEZNS1_25segmented_radix_sort_implIS3_Lb1EPKhPhPKlPlN2at6native12_GLOBAL__N_18offset_tEEE10hipError_tPvRmT1_PNSt15iterator_traitsISK_E10value_typeET2_T3_PNSL_ISQ_E10value_typeET4_jRbjT5_SW_jjP12ihipStream_tbEUlT_E1_NS1_11comp_targetILNS1_3genE10ELNS1_11target_archE1200ELNS1_3gpuE4ELNS1_3repE0EEENS1_59segmented_radix_sort_warp_sort_small_config_static_selectorELNS0_4arch9wavefront6targetE0EEEvSK_ ; -- Begin function _ZN7rocprim17ROCPRIM_400000_NS6detail17trampoline_kernelINS0_14default_configENS1_36segmented_radix_sort_config_selectorIhlEEZNS1_25segmented_radix_sort_implIS3_Lb1EPKhPhPKlPlN2at6native12_GLOBAL__N_18offset_tEEE10hipError_tPvRmT1_PNSt15iterator_traitsISK_E10value_typeET2_T3_PNSL_ISQ_E10value_typeET4_jRbjT5_SW_jjP12ihipStream_tbEUlT_E1_NS1_11comp_targetILNS1_3genE10ELNS1_11target_archE1200ELNS1_3gpuE4ELNS1_3repE0EEENS1_59segmented_radix_sort_warp_sort_small_config_static_selectorELNS0_4arch9wavefront6targetE0EEEvSK_
	.p2align	8
	.type	_ZN7rocprim17ROCPRIM_400000_NS6detail17trampoline_kernelINS0_14default_configENS1_36segmented_radix_sort_config_selectorIhlEEZNS1_25segmented_radix_sort_implIS3_Lb1EPKhPhPKlPlN2at6native12_GLOBAL__N_18offset_tEEE10hipError_tPvRmT1_PNSt15iterator_traitsISK_E10value_typeET2_T3_PNSL_ISQ_E10value_typeET4_jRbjT5_SW_jjP12ihipStream_tbEUlT_E1_NS1_11comp_targetILNS1_3genE10ELNS1_11target_archE1200ELNS1_3gpuE4ELNS1_3repE0EEENS1_59segmented_radix_sort_warp_sort_small_config_static_selectorELNS0_4arch9wavefront6targetE0EEEvSK_,@function
_ZN7rocprim17ROCPRIM_400000_NS6detail17trampoline_kernelINS0_14default_configENS1_36segmented_radix_sort_config_selectorIhlEEZNS1_25segmented_radix_sort_implIS3_Lb1EPKhPhPKlPlN2at6native12_GLOBAL__N_18offset_tEEE10hipError_tPvRmT1_PNSt15iterator_traitsISK_E10value_typeET2_T3_PNSL_ISQ_E10value_typeET4_jRbjT5_SW_jjP12ihipStream_tbEUlT_E1_NS1_11comp_targetILNS1_3genE10ELNS1_11target_archE1200ELNS1_3gpuE4ELNS1_3repE0EEENS1_59segmented_radix_sort_warp_sort_small_config_static_selectorELNS0_4arch9wavefront6targetE0EEEvSK_: ; @_ZN7rocprim17ROCPRIM_400000_NS6detail17trampoline_kernelINS0_14default_configENS1_36segmented_radix_sort_config_selectorIhlEEZNS1_25segmented_radix_sort_implIS3_Lb1EPKhPhPKlPlN2at6native12_GLOBAL__N_18offset_tEEE10hipError_tPvRmT1_PNSt15iterator_traitsISK_E10value_typeET2_T3_PNSL_ISQ_E10value_typeET4_jRbjT5_SW_jjP12ihipStream_tbEUlT_E1_NS1_11comp_targetILNS1_3genE10ELNS1_11target_archE1200ELNS1_3gpuE4ELNS1_3repE0EEENS1_59segmented_radix_sort_warp_sort_small_config_static_selectorELNS0_4arch9wavefront6targetE0EEEvSK_
; %bb.0:
	.section	.rodata,"a",@progbits
	.p2align	6, 0x0
	.amdhsa_kernel _ZN7rocprim17ROCPRIM_400000_NS6detail17trampoline_kernelINS0_14default_configENS1_36segmented_radix_sort_config_selectorIhlEEZNS1_25segmented_radix_sort_implIS3_Lb1EPKhPhPKlPlN2at6native12_GLOBAL__N_18offset_tEEE10hipError_tPvRmT1_PNSt15iterator_traitsISK_E10value_typeET2_T3_PNSL_ISQ_E10value_typeET4_jRbjT5_SW_jjP12ihipStream_tbEUlT_E1_NS1_11comp_targetILNS1_3genE10ELNS1_11target_archE1200ELNS1_3gpuE4ELNS1_3repE0EEENS1_59segmented_radix_sort_warp_sort_small_config_static_selectorELNS0_4arch9wavefront6targetE0EEEvSK_
		.amdhsa_group_segment_fixed_size 0
		.amdhsa_private_segment_fixed_size 0
		.amdhsa_kernarg_size 88
		.amdhsa_user_sgpr_count 2
		.amdhsa_user_sgpr_dispatch_ptr 0
		.amdhsa_user_sgpr_queue_ptr 0
		.amdhsa_user_sgpr_kernarg_segment_ptr 1
		.amdhsa_user_sgpr_dispatch_id 0
		.amdhsa_user_sgpr_private_segment_size 0
		.amdhsa_wavefront_size32 1
		.amdhsa_uses_dynamic_stack 0
		.amdhsa_enable_private_segment 0
		.amdhsa_system_sgpr_workgroup_id_x 1
		.amdhsa_system_sgpr_workgroup_id_y 0
		.amdhsa_system_sgpr_workgroup_id_z 0
		.amdhsa_system_sgpr_workgroup_info 0
		.amdhsa_system_vgpr_workitem_id 0
		.amdhsa_next_free_vgpr 1
		.amdhsa_next_free_sgpr 1
		.amdhsa_reserve_vcc 0
		.amdhsa_float_round_mode_32 0
		.amdhsa_float_round_mode_16_64 0
		.amdhsa_float_denorm_mode_32 3
		.amdhsa_float_denorm_mode_16_64 3
		.amdhsa_fp16_overflow 0
		.amdhsa_workgroup_processor_mode 1
		.amdhsa_memory_ordered 1
		.amdhsa_forward_progress 1
		.amdhsa_inst_pref_size 0
		.amdhsa_round_robin_scheduling 0
		.amdhsa_exception_fp_ieee_invalid_op 0
		.amdhsa_exception_fp_denorm_src 0
		.amdhsa_exception_fp_ieee_div_zero 0
		.amdhsa_exception_fp_ieee_overflow 0
		.amdhsa_exception_fp_ieee_underflow 0
		.amdhsa_exception_fp_ieee_inexact 0
		.amdhsa_exception_int_div_zero 0
	.end_amdhsa_kernel
	.section	.text._ZN7rocprim17ROCPRIM_400000_NS6detail17trampoline_kernelINS0_14default_configENS1_36segmented_radix_sort_config_selectorIhlEEZNS1_25segmented_radix_sort_implIS3_Lb1EPKhPhPKlPlN2at6native12_GLOBAL__N_18offset_tEEE10hipError_tPvRmT1_PNSt15iterator_traitsISK_E10value_typeET2_T3_PNSL_ISQ_E10value_typeET4_jRbjT5_SW_jjP12ihipStream_tbEUlT_E1_NS1_11comp_targetILNS1_3genE10ELNS1_11target_archE1200ELNS1_3gpuE4ELNS1_3repE0EEENS1_59segmented_radix_sort_warp_sort_small_config_static_selectorELNS0_4arch9wavefront6targetE0EEEvSK_,"axG",@progbits,_ZN7rocprim17ROCPRIM_400000_NS6detail17trampoline_kernelINS0_14default_configENS1_36segmented_radix_sort_config_selectorIhlEEZNS1_25segmented_radix_sort_implIS3_Lb1EPKhPhPKlPlN2at6native12_GLOBAL__N_18offset_tEEE10hipError_tPvRmT1_PNSt15iterator_traitsISK_E10value_typeET2_T3_PNSL_ISQ_E10value_typeET4_jRbjT5_SW_jjP12ihipStream_tbEUlT_E1_NS1_11comp_targetILNS1_3genE10ELNS1_11target_archE1200ELNS1_3gpuE4ELNS1_3repE0EEENS1_59segmented_radix_sort_warp_sort_small_config_static_selectorELNS0_4arch9wavefront6targetE0EEEvSK_,comdat
.Lfunc_end110:
	.size	_ZN7rocprim17ROCPRIM_400000_NS6detail17trampoline_kernelINS0_14default_configENS1_36segmented_radix_sort_config_selectorIhlEEZNS1_25segmented_radix_sort_implIS3_Lb1EPKhPhPKlPlN2at6native12_GLOBAL__N_18offset_tEEE10hipError_tPvRmT1_PNSt15iterator_traitsISK_E10value_typeET2_T3_PNSL_ISQ_E10value_typeET4_jRbjT5_SW_jjP12ihipStream_tbEUlT_E1_NS1_11comp_targetILNS1_3genE10ELNS1_11target_archE1200ELNS1_3gpuE4ELNS1_3repE0EEENS1_59segmented_radix_sort_warp_sort_small_config_static_selectorELNS0_4arch9wavefront6targetE0EEEvSK_, .Lfunc_end110-_ZN7rocprim17ROCPRIM_400000_NS6detail17trampoline_kernelINS0_14default_configENS1_36segmented_radix_sort_config_selectorIhlEEZNS1_25segmented_radix_sort_implIS3_Lb1EPKhPhPKlPlN2at6native12_GLOBAL__N_18offset_tEEE10hipError_tPvRmT1_PNSt15iterator_traitsISK_E10value_typeET2_T3_PNSL_ISQ_E10value_typeET4_jRbjT5_SW_jjP12ihipStream_tbEUlT_E1_NS1_11comp_targetILNS1_3genE10ELNS1_11target_archE1200ELNS1_3gpuE4ELNS1_3repE0EEENS1_59segmented_radix_sort_warp_sort_small_config_static_selectorELNS0_4arch9wavefront6targetE0EEEvSK_
                                        ; -- End function
	.set _ZN7rocprim17ROCPRIM_400000_NS6detail17trampoline_kernelINS0_14default_configENS1_36segmented_radix_sort_config_selectorIhlEEZNS1_25segmented_radix_sort_implIS3_Lb1EPKhPhPKlPlN2at6native12_GLOBAL__N_18offset_tEEE10hipError_tPvRmT1_PNSt15iterator_traitsISK_E10value_typeET2_T3_PNSL_ISQ_E10value_typeET4_jRbjT5_SW_jjP12ihipStream_tbEUlT_E1_NS1_11comp_targetILNS1_3genE10ELNS1_11target_archE1200ELNS1_3gpuE4ELNS1_3repE0EEENS1_59segmented_radix_sort_warp_sort_small_config_static_selectorELNS0_4arch9wavefront6targetE0EEEvSK_.num_vgpr, 0
	.set _ZN7rocprim17ROCPRIM_400000_NS6detail17trampoline_kernelINS0_14default_configENS1_36segmented_radix_sort_config_selectorIhlEEZNS1_25segmented_radix_sort_implIS3_Lb1EPKhPhPKlPlN2at6native12_GLOBAL__N_18offset_tEEE10hipError_tPvRmT1_PNSt15iterator_traitsISK_E10value_typeET2_T3_PNSL_ISQ_E10value_typeET4_jRbjT5_SW_jjP12ihipStream_tbEUlT_E1_NS1_11comp_targetILNS1_3genE10ELNS1_11target_archE1200ELNS1_3gpuE4ELNS1_3repE0EEENS1_59segmented_radix_sort_warp_sort_small_config_static_selectorELNS0_4arch9wavefront6targetE0EEEvSK_.num_agpr, 0
	.set _ZN7rocprim17ROCPRIM_400000_NS6detail17trampoline_kernelINS0_14default_configENS1_36segmented_radix_sort_config_selectorIhlEEZNS1_25segmented_radix_sort_implIS3_Lb1EPKhPhPKlPlN2at6native12_GLOBAL__N_18offset_tEEE10hipError_tPvRmT1_PNSt15iterator_traitsISK_E10value_typeET2_T3_PNSL_ISQ_E10value_typeET4_jRbjT5_SW_jjP12ihipStream_tbEUlT_E1_NS1_11comp_targetILNS1_3genE10ELNS1_11target_archE1200ELNS1_3gpuE4ELNS1_3repE0EEENS1_59segmented_radix_sort_warp_sort_small_config_static_selectorELNS0_4arch9wavefront6targetE0EEEvSK_.numbered_sgpr, 0
	.set _ZN7rocprim17ROCPRIM_400000_NS6detail17trampoline_kernelINS0_14default_configENS1_36segmented_radix_sort_config_selectorIhlEEZNS1_25segmented_radix_sort_implIS3_Lb1EPKhPhPKlPlN2at6native12_GLOBAL__N_18offset_tEEE10hipError_tPvRmT1_PNSt15iterator_traitsISK_E10value_typeET2_T3_PNSL_ISQ_E10value_typeET4_jRbjT5_SW_jjP12ihipStream_tbEUlT_E1_NS1_11comp_targetILNS1_3genE10ELNS1_11target_archE1200ELNS1_3gpuE4ELNS1_3repE0EEENS1_59segmented_radix_sort_warp_sort_small_config_static_selectorELNS0_4arch9wavefront6targetE0EEEvSK_.num_named_barrier, 0
	.set _ZN7rocprim17ROCPRIM_400000_NS6detail17trampoline_kernelINS0_14default_configENS1_36segmented_radix_sort_config_selectorIhlEEZNS1_25segmented_radix_sort_implIS3_Lb1EPKhPhPKlPlN2at6native12_GLOBAL__N_18offset_tEEE10hipError_tPvRmT1_PNSt15iterator_traitsISK_E10value_typeET2_T3_PNSL_ISQ_E10value_typeET4_jRbjT5_SW_jjP12ihipStream_tbEUlT_E1_NS1_11comp_targetILNS1_3genE10ELNS1_11target_archE1200ELNS1_3gpuE4ELNS1_3repE0EEENS1_59segmented_radix_sort_warp_sort_small_config_static_selectorELNS0_4arch9wavefront6targetE0EEEvSK_.private_seg_size, 0
	.set _ZN7rocprim17ROCPRIM_400000_NS6detail17trampoline_kernelINS0_14default_configENS1_36segmented_radix_sort_config_selectorIhlEEZNS1_25segmented_radix_sort_implIS3_Lb1EPKhPhPKlPlN2at6native12_GLOBAL__N_18offset_tEEE10hipError_tPvRmT1_PNSt15iterator_traitsISK_E10value_typeET2_T3_PNSL_ISQ_E10value_typeET4_jRbjT5_SW_jjP12ihipStream_tbEUlT_E1_NS1_11comp_targetILNS1_3genE10ELNS1_11target_archE1200ELNS1_3gpuE4ELNS1_3repE0EEENS1_59segmented_radix_sort_warp_sort_small_config_static_selectorELNS0_4arch9wavefront6targetE0EEEvSK_.uses_vcc, 0
	.set _ZN7rocprim17ROCPRIM_400000_NS6detail17trampoline_kernelINS0_14default_configENS1_36segmented_radix_sort_config_selectorIhlEEZNS1_25segmented_radix_sort_implIS3_Lb1EPKhPhPKlPlN2at6native12_GLOBAL__N_18offset_tEEE10hipError_tPvRmT1_PNSt15iterator_traitsISK_E10value_typeET2_T3_PNSL_ISQ_E10value_typeET4_jRbjT5_SW_jjP12ihipStream_tbEUlT_E1_NS1_11comp_targetILNS1_3genE10ELNS1_11target_archE1200ELNS1_3gpuE4ELNS1_3repE0EEENS1_59segmented_radix_sort_warp_sort_small_config_static_selectorELNS0_4arch9wavefront6targetE0EEEvSK_.uses_flat_scratch, 0
	.set _ZN7rocprim17ROCPRIM_400000_NS6detail17trampoline_kernelINS0_14default_configENS1_36segmented_radix_sort_config_selectorIhlEEZNS1_25segmented_radix_sort_implIS3_Lb1EPKhPhPKlPlN2at6native12_GLOBAL__N_18offset_tEEE10hipError_tPvRmT1_PNSt15iterator_traitsISK_E10value_typeET2_T3_PNSL_ISQ_E10value_typeET4_jRbjT5_SW_jjP12ihipStream_tbEUlT_E1_NS1_11comp_targetILNS1_3genE10ELNS1_11target_archE1200ELNS1_3gpuE4ELNS1_3repE0EEENS1_59segmented_radix_sort_warp_sort_small_config_static_selectorELNS0_4arch9wavefront6targetE0EEEvSK_.has_dyn_sized_stack, 0
	.set _ZN7rocprim17ROCPRIM_400000_NS6detail17trampoline_kernelINS0_14default_configENS1_36segmented_radix_sort_config_selectorIhlEEZNS1_25segmented_radix_sort_implIS3_Lb1EPKhPhPKlPlN2at6native12_GLOBAL__N_18offset_tEEE10hipError_tPvRmT1_PNSt15iterator_traitsISK_E10value_typeET2_T3_PNSL_ISQ_E10value_typeET4_jRbjT5_SW_jjP12ihipStream_tbEUlT_E1_NS1_11comp_targetILNS1_3genE10ELNS1_11target_archE1200ELNS1_3gpuE4ELNS1_3repE0EEENS1_59segmented_radix_sort_warp_sort_small_config_static_selectorELNS0_4arch9wavefront6targetE0EEEvSK_.has_recursion, 0
	.set _ZN7rocprim17ROCPRIM_400000_NS6detail17trampoline_kernelINS0_14default_configENS1_36segmented_radix_sort_config_selectorIhlEEZNS1_25segmented_radix_sort_implIS3_Lb1EPKhPhPKlPlN2at6native12_GLOBAL__N_18offset_tEEE10hipError_tPvRmT1_PNSt15iterator_traitsISK_E10value_typeET2_T3_PNSL_ISQ_E10value_typeET4_jRbjT5_SW_jjP12ihipStream_tbEUlT_E1_NS1_11comp_targetILNS1_3genE10ELNS1_11target_archE1200ELNS1_3gpuE4ELNS1_3repE0EEENS1_59segmented_radix_sort_warp_sort_small_config_static_selectorELNS0_4arch9wavefront6targetE0EEEvSK_.has_indirect_call, 0
	.section	.AMDGPU.csdata,"",@progbits
; Kernel info:
; codeLenInByte = 0
; TotalNumSgprs: 0
; NumVgprs: 0
; ScratchSize: 0
; MemoryBound: 0
; FloatMode: 240
; IeeeMode: 1
; LDSByteSize: 0 bytes/workgroup (compile time only)
; SGPRBlocks: 0
; VGPRBlocks: 0
; NumSGPRsForWavesPerEU: 1
; NumVGPRsForWavesPerEU: 1
; Occupancy: 16
; WaveLimiterHint : 0
; COMPUTE_PGM_RSRC2:SCRATCH_EN: 0
; COMPUTE_PGM_RSRC2:USER_SGPR: 2
; COMPUTE_PGM_RSRC2:TRAP_HANDLER: 0
; COMPUTE_PGM_RSRC2:TGID_X_EN: 1
; COMPUTE_PGM_RSRC2:TGID_Y_EN: 0
; COMPUTE_PGM_RSRC2:TGID_Z_EN: 0
; COMPUTE_PGM_RSRC2:TIDIG_COMP_CNT: 0
	.section	.text._ZN7rocprim17ROCPRIM_400000_NS6detail17trampoline_kernelINS0_14default_configENS1_36segmented_radix_sort_config_selectorIhlEEZNS1_25segmented_radix_sort_implIS3_Lb1EPKhPhPKlPlN2at6native12_GLOBAL__N_18offset_tEEE10hipError_tPvRmT1_PNSt15iterator_traitsISK_E10value_typeET2_T3_PNSL_ISQ_E10value_typeET4_jRbjT5_SW_jjP12ihipStream_tbEUlT_E1_NS1_11comp_targetILNS1_3genE9ELNS1_11target_archE1100ELNS1_3gpuE3ELNS1_3repE0EEENS1_59segmented_radix_sort_warp_sort_small_config_static_selectorELNS0_4arch9wavefront6targetE0EEEvSK_,"axG",@progbits,_ZN7rocprim17ROCPRIM_400000_NS6detail17trampoline_kernelINS0_14default_configENS1_36segmented_radix_sort_config_selectorIhlEEZNS1_25segmented_radix_sort_implIS3_Lb1EPKhPhPKlPlN2at6native12_GLOBAL__N_18offset_tEEE10hipError_tPvRmT1_PNSt15iterator_traitsISK_E10value_typeET2_T3_PNSL_ISQ_E10value_typeET4_jRbjT5_SW_jjP12ihipStream_tbEUlT_E1_NS1_11comp_targetILNS1_3genE9ELNS1_11target_archE1100ELNS1_3gpuE3ELNS1_3repE0EEENS1_59segmented_radix_sort_warp_sort_small_config_static_selectorELNS0_4arch9wavefront6targetE0EEEvSK_,comdat
	.globl	_ZN7rocprim17ROCPRIM_400000_NS6detail17trampoline_kernelINS0_14default_configENS1_36segmented_radix_sort_config_selectorIhlEEZNS1_25segmented_radix_sort_implIS3_Lb1EPKhPhPKlPlN2at6native12_GLOBAL__N_18offset_tEEE10hipError_tPvRmT1_PNSt15iterator_traitsISK_E10value_typeET2_T3_PNSL_ISQ_E10value_typeET4_jRbjT5_SW_jjP12ihipStream_tbEUlT_E1_NS1_11comp_targetILNS1_3genE9ELNS1_11target_archE1100ELNS1_3gpuE3ELNS1_3repE0EEENS1_59segmented_radix_sort_warp_sort_small_config_static_selectorELNS0_4arch9wavefront6targetE0EEEvSK_ ; -- Begin function _ZN7rocprim17ROCPRIM_400000_NS6detail17trampoline_kernelINS0_14default_configENS1_36segmented_radix_sort_config_selectorIhlEEZNS1_25segmented_radix_sort_implIS3_Lb1EPKhPhPKlPlN2at6native12_GLOBAL__N_18offset_tEEE10hipError_tPvRmT1_PNSt15iterator_traitsISK_E10value_typeET2_T3_PNSL_ISQ_E10value_typeET4_jRbjT5_SW_jjP12ihipStream_tbEUlT_E1_NS1_11comp_targetILNS1_3genE9ELNS1_11target_archE1100ELNS1_3gpuE3ELNS1_3repE0EEENS1_59segmented_radix_sort_warp_sort_small_config_static_selectorELNS0_4arch9wavefront6targetE0EEEvSK_
	.p2align	8
	.type	_ZN7rocprim17ROCPRIM_400000_NS6detail17trampoline_kernelINS0_14default_configENS1_36segmented_radix_sort_config_selectorIhlEEZNS1_25segmented_radix_sort_implIS3_Lb1EPKhPhPKlPlN2at6native12_GLOBAL__N_18offset_tEEE10hipError_tPvRmT1_PNSt15iterator_traitsISK_E10value_typeET2_T3_PNSL_ISQ_E10value_typeET4_jRbjT5_SW_jjP12ihipStream_tbEUlT_E1_NS1_11comp_targetILNS1_3genE9ELNS1_11target_archE1100ELNS1_3gpuE3ELNS1_3repE0EEENS1_59segmented_radix_sort_warp_sort_small_config_static_selectorELNS0_4arch9wavefront6targetE0EEEvSK_,@function
_ZN7rocprim17ROCPRIM_400000_NS6detail17trampoline_kernelINS0_14default_configENS1_36segmented_radix_sort_config_selectorIhlEEZNS1_25segmented_radix_sort_implIS3_Lb1EPKhPhPKlPlN2at6native12_GLOBAL__N_18offset_tEEE10hipError_tPvRmT1_PNSt15iterator_traitsISK_E10value_typeET2_T3_PNSL_ISQ_E10value_typeET4_jRbjT5_SW_jjP12ihipStream_tbEUlT_E1_NS1_11comp_targetILNS1_3genE9ELNS1_11target_archE1100ELNS1_3gpuE3ELNS1_3repE0EEENS1_59segmented_radix_sort_warp_sort_small_config_static_selectorELNS0_4arch9wavefront6targetE0EEEvSK_: ; @_ZN7rocprim17ROCPRIM_400000_NS6detail17trampoline_kernelINS0_14default_configENS1_36segmented_radix_sort_config_selectorIhlEEZNS1_25segmented_radix_sort_implIS3_Lb1EPKhPhPKlPlN2at6native12_GLOBAL__N_18offset_tEEE10hipError_tPvRmT1_PNSt15iterator_traitsISK_E10value_typeET2_T3_PNSL_ISQ_E10value_typeET4_jRbjT5_SW_jjP12ihipStream_tbEUlT_E1_NS1_11comp_targetILNS1_3genE9ELNS1_11target_archE1100ELNS1_3gpuE3ELNS1_3repE0EEENS1_59segmented_radix_sort_warp_sort_small_config_static_selectorELNS0_4arch9wavefront6targetE0EEEvSK_
; %bb.0:
	.section	.rodata,"a",@progbits
	.p2align	6, 0x0
	.amdhsa_kernel _ZN7rocprim17ROCPRIM_400000_NS6detail17trampoline_kernelINS0_14default_configENS1_36segmented_radix_sort_config_selectorIhlEEZNS1_25segmented_radix_sort_implIS3_Lb1EPKhPhPKlPlN2at6native12_GLOBAL__N_18offset_tEEE10hipError_tPvRmT1_PNSt15iterator_traitsISK_E10value_typeET2_T3_PNSL_ISQ_E10value_typeET4_jRbjT5_SW_jjP12ihipStream_tbEUlT_E1_NS1_11comp_targetILNS1_3genE9ELNS1_11target_archE1100ELNS1_3gpuE3ELNS1_3repE0EEENS1_59segmented_radix_sort_warp_sort_small_config_static_selectorELNS0_4arch9wavefront6targetE0EEEvSK_
		.amdhsa_group_segment_fixed_size 0
		.amdhsa_private_segment_fixed_size 0
		.amdhsa_kernarg_size 88
		.amdhsa_user_sgpr_count 2
		.amdhsa_user_sgpr_dispatch_ptr 0
		.amdhsa_user_sgpr_queue_ptr 0
		.amdhsa_user_sgpr_kernarg_segment_ptr 1
		.amdhsa_user_sgpr_dispatch_id 0
		.amdhsa_user_sgpr_private_segment_size 0
		.amdhsa_wavefront_size32 1
		.amdhsa_uses_dynamic_stack 0
		.amdhsa_enable_private_segment 0
		.amdhsa_system_sgpr_workgroup_id_x 1
		.amdhsa_system_sgpr_workgroup_id_y 0
		.amdhsa_system_sgpr_workgroup_id_z 0
		.amdhsa_system_sgpr_workgroup_info 0
		.amdhsa_system_vgpr_workitem_id 0
		.amdhsa_next_free_vgpr 1
		.amdhsa_next_free_sgpr 1
		.amdhsa_reserve_vcc 0
		.amdhsa_float_round_mode_32 0
		.amdhsa_float_round_mode_16_64 0
		.amdhsa_float_denorm_mode_32 3
		.amdhsa_float_denorm_mode_16_64 3
		.amdhsa_fp16_overflow 0
		.amdhsa_workgroup_processor_mode 1
		.amdhsa_memory_ordered 1
		.amdhsa_forward_progress 1
		.amdhsa_inst_pref_size 0
		.amdhsa_round_robin_scheduling 0
		.amdhsa_exception_fp_ieee_invalid_op 0
		.amdhsa_exception_fp_denorm_src 0
		.amdhsa_exception_fp_ieee_div_zero 0
		.amdhsa_exception_fp_ieee_overflow 0
		.amdhsa_exception_fp_ieee_underflow 0
		.amdhsa_exception_fp_ieee_inexact 0
		.amdhsa_exception_int_div_zero 0
	.end_amdhsa_kernel
	.section	.text._ZN7rocprim17ROCPRIM_400000_NS6detail17trampoline_kernelINS0_14default_configENS1_36segmented_radix_sort_config_selectorIhlEEZNS1_25segmented_radix_sort_implIS3_Lb1EPKhPhPKlPlN2at6native12_GLOBAL__N_18offset_tEEE10hipError_tPvRmT1_PNSt15iterator_traitsISK_E10value_typeET2_T3_PNSL_ISQ_E10value_typeET4_jRbjT5_SW_jjP12ihipStream_tbEUlT_E1_NS1_11comp_targetILNS1_3genE9ELNS1_11target_archE1100ELNS1_3gpuE3ELNS1_3repE0EEENS1_59segmented_radix_sort_warp_sort_small_config_static_selectorELNS0_4arch9wavefront6targetE0EEEvSK_,"axG",@progbits,_ZN7rocprim17ROCPRIM_400000_NS6detail17trampoline_kernelINS0_14default_configENS1_36segmented_radix_sort_config_selectorIhlEEZNS1_25segmented_radix_sort_implIS3_Lb1EPKhPhPKlPlN2at6native12_GLOBAL__N_18offset_tEEE10hipError_tPvRmT1_PNSt15iterator_traitsISK_E10value_typeET2_T3_PNSL_ISQ_E10value_typeET4_jRbjT5_SW_jjP12ihipStream_tbEUlT_E1_NS1_11comp_targetILNS1_3genE9ELNS1_11target_archE1100ELNS1_3gpuE3ELNS1_3repE0EEENS1_59segmented_radix_sort_warp_sort_small_config_static_selectorELNS0_4arch9wavefront6targetE0EEEvSK_,comdat
.Lfunc_end111:
	.size	_ZN7rocprim17ROCPRIM_400000_NS6detail17trampoline_kernelINS0_14default_configENS1_36segmented_radix_sort_config_selectorIhlEEZNS1_25segmented_radix_sort_implIS3_Lb1EPKhPhPKlPlN2at6native12_GLOBAL__N_18offset_tEEE10hipError_tPvRmT1_PNSt15iterator_traitsISK_E10value_typeET2_T3_PNSL_ISQ_E10value_typeET4_jRbjT5_SW_jjP12ihipStream_tbEUlT_E1_NS1_11comp_targetILNS1_3genE9ELNS1_11target_archE1100ELNS1_3gpuE3ELNS1_3repE0EEENS1_59segmented_radix_sort_warp_sort_small_config_static_selectorELNS0_4arch9wavefront6targetE0EEEvSK_, .Lfunc_end111-_ZN7rocprim17ROCPRIM_400000_NS6detail17trampoline_kernelINS0_14default_configENS1_36segmented_radix_sort_config_selectorIhlEEZNS1_25segmented_radix_sort_implIS3_Lb1EPKhPhPKlPlN2at6native12_GLOBAL__N_18offset_tEEE10hipError_tPvRmT1_PNSt15iterator_traitsISK_E10value_typeET2_T3_PNSL_ISQ_E10value_typeET4_jRbjT5_SW_jjP12ihipStream_tbEUlT_E1_NS1_11comp_targetILNS1_3genE9ELNS1_11target_archE1100ELNS1_3gpuE3ELNS1_3repE0EEENS1_59segmented_radix_sort_warp_sort_small_config_static_selectorELNS0_4arch9wavefront6targetE0EEEvSK_
                                        ; -- End function
	.set _ZN7rocprim17ROCPRIM_400000_NS6detail17trampoline_kernelINS0_14default_configENS1_36segmented_radix_sort_config_selectorIhlEEZNS1_25segmented_radix_sort_implIS3_Lb1EPKhPhPKlPlN2at6native12_GLOBAL__N_18offset_tEEE10hipError_tPvRmT1_PNSt15iterator_traitsISK_E10value_typeET2_T3_PNSL_ISQ_E10value_typeET4_jRbjT5_SW_jjP12ihipStream_tbEUlT_E1_NS1_11comp_targetILNS1_3genE9ELNS1_11target_archE1100ELNS1_3gpuE3ELNS1_3repE0EEENS1_59segmented_radix_sort_warp_sort_small_config_static_selectorELNS0_4arch9wavefront6targetE0EEEvSK_.num_vgpr, 0
	.set _ZN7rocprim17ROCPRIM_400000_NS6detail17trampoline_kernelINS0_14default_configENS1_36segmented_radix_sort_config_selectorIhlEEZNS1_25segmented_radix_sort_implIS3_Lb1EPKhPhPKlPlN2at6native12_GLOBAL__N_18offset_tEEE10hipError_tPvRmT1_PNSt15iterator_traitsISK_E10value_typeET2_T3_PNSL_ISQ_E10value_typeET4_jRbjT5_SW_jjP12ihipStream_tbEUlT_E1_NS1_11comp_targetILNS1_3genE9ELNS1_11target_archE1100ELNS1_3gpuE3ELNS1_3repE0EEENS1_59segmented_radix_sort_warp_sort_small_config_static_selectorELNS0_4arch9wavefront6targetE0EEEvSK_.num_agpr, 0
	.set _ZN7rocprim17ROCPRIM_400000_NS6detail17trampoline_kernelINS0_14default_configENS1_36segmented_radix_sort_config_selectorIhlEEZNS1_25segmented_radix_sort_implIS3_Lb1EPKhPhPKlPlN2at6native12_GLOBAL__N_18offset_tEEE10hipError_tPvRmT1_PNSt15iterator_traitsISK_E10value_typeET2_T3_PNSL_ISQ_E10value_typeET4_jRbjT5_SW_jjP12ihipStream_tbEUlT_E1_NS1_11comp_targetILNS1_3genE9ELNS1_11target_archE1100ELNS1_3gpuE3ELNS1_3repE0EEENS1_59segmented_radix_sort_warp_sort_small_config_static_selectorELNS0_4arch9wavefront6targetE0EEEvSK_.numbered_sgpr, 0
	.set _ZN7rocprim17ROCPRIM_400000_NS6detail17trampoline_kernelINS0_14default_configENS1_36segmented_radix_sort_config_selectorIhlEEZNS1_25segmented_radix_sort_implIS3_Lb1EPKhPhPKlPlN2at6native12_GLOBAL__N_18offset_tEEE10hipError_tPvRmT1_PNSt15iterator_traitsISK_E10value_typeET2_T3_PNSL_ISQ_E10value_typeET4_jRbjT5_SW_jjP12ihipStream_tbEUlT_E1_NS1_11comp_targetILNS1_3genE9ELNS1_11target_archE1100ELNS1_3gpuE3ELNS1_3repE0EEENS1_59segmented_radix_sort_warp_sort_small_config_static_selectorELNS0_4arch9wavefront6targetE0EEEvSK_.num_named_barrier, 0
	.set _ZN7rocprim17ROCPRIM_400000_NS6detail17trampoline_kernelINS0_14default_configENS1_36segmented_radix_sort_config_selectorIhlEEZNS1_25segmented_radix_sort_implIS3_Lb1EPKhPhPKlPlN2at6native12_GLOBAL__N_18offset_tEEE10hipError_tPvRmT1_PNSt15iterator_traitsISK_E10value_typeET2_T3_PNSL_ISQ_E10value_typeET4_jRbjT5_SW_jjP12ihipStream_tbEUlT_E1_NS1_11comp_targetILNS1_3genE9ELNS1_11target_archE1100ELNS1_3gpuE3ELNS1_3repE0EEENS1_59segmented_radix_sort_warp_sort_small_config_static_selectorELNS0_4arch9wavefront6targetE0EEEvSK_.private_seg_size, 0
	.set _ZN7rocprim17ROCPRIM_400000_NS6detail17trampoline_kernelINS0_14default_configENS1_36segmented_radix_sort_config_selectorIhlEEZNS1_25segmented_radix_sort_implIS3_Lb1EPKhPhPKlPlN2at6native12_GLOBAL__N_18offset_tEEE10hipError_tPvRmT1_PNSt15iterator_traitsISK_E10value_typeET2_T3_PNSL_ISQ_E10value_typeET4_jRbjT5_SW_jjP12ihipStream_tbEUlT_E1_NS1_11comp_targetILNS1_3genE9ELNS1_11target_archE1100ELNS1_3gpuE3ELNS1_3repE0EEENS1_59segmented_radix_sort_warp_sort_small_config_static_selectorELNS0_4arch9wavefront6targetE0EEEvSK_.uses_vcc, 0
	.set _ZN7rocprim17ROCPRIM_400000_NS6detail17trampoline_kernelINS0_14default_configENS1_36segmented_radix_sort_config_selectorIhlEEZNS1_25segmented_radix_sort_implIS3_Lb1EPKhPhPKlPlN2at6native12_GLOBAL__N_18offset_tEEE10hipError_tPvRmT1_PNSt15iterator_traitsISK_E10value_typeET2_T3_PNSL_ISQ_E10value_typeET4_jRbjT5_SW_jjP12ihipStream_tbEUlT_E1_NS1_11comp_targetILNS1_3genE9ELNS1_11target_archE1100ELNS1_3gpuE3ELNS1_3repE0EEENS1_59segmented_radix_sort_warp_sort_small_config_static_selectorELNS0_4arch9wavefront6targetE0EEEvSK_.uses_flat_scratch, 0
	.set _ZN7rocprim17ROCPRIM_400000_NS6detail17trampoline_kernelINS0_14default_configENS1_36segmented_radix_sort_config_selectorIhlEEZNS1_25segmented_radix_sort_implIS3_Lb1EPKhPhPKlPlN2at6native12_GLOBAL__N_18offset_tEEE10hipError_tPvRmT1_PNSt15iterator_traitsISK_E10value_typeET2_T3_PNSL_ISQ_E10value_typeET4_jRbjT5_SW_jjP12ihipStream_tbEUlT_E1_NS1_11comp_targetILNS1_3genE9ELNS1_11target_archE1100ELNS1_3gpuE3ELNS1_3repE0EEENS1_59segmented_radix_sort_warp_sort_small_config_static_selectorELNS0_4arch9wavefront6targetE0EEEvSK_.has_dyn_sized_stack, 0
	.set _ZN7rocprim17ROCPRIM_400000_NS6detail17trampoline_kernelINS0_14default_configENS1_36segmented_radix_sort_config_selectorIhlEEZNS1_25segmented_radix_sort_implIS3_Lb1EPKhPhPKlPlN2at6native12_GLOBAL__N_18offset_tEEE10hipError_tPvRmT1_PNSt15iterator_traitsISK_E10value_typeET2_T3_PNSL_ISQ_E10value_typeET4_jRbjT5_SW_jjP12ihipStream_tbEUlT_E1_NS1_11comp_targetILNS1_3genE9ELNS1_11target_archE1100ELNS1_3gpuE3ELNS1_3repE0EEENS1_59segmented_radix_sort_warp_sort_small_config_static_selectorELNS0_4arch9wavefront6targetE0EEEvSK_.has_recursion, 0
	.set _ZN7rocprim17ROCPRIM_400000_NS6detail17trampoline_kernelINS0_14default_configENS1_36segmented_radix_sort_config_selectorIhlEEZNS1_25segmented_radix_sort_implIS3_Lb1EPKhPhPKlPlN2at6native12_GLOBAL__N_18offset_tEEE10hipError_tPvRmT1_PNSt15iterator_traitsISK_E10value_typeET2_T3_PNSL_ISQ_E10value_typeET4_jRbjT5_SW_jjP12ihipStream_tbEUlT_E1_NS1_11comp_targetILNS1_3genE9ELNS1_11target_archE1100ELNS1_3gpuE3ELNS1_3repE0EEENS1_59segmented_radix_sort_warp_sort_small_config_static_selectorELNS0_4arch9wavefront6targetE0EEEvSK_.has_indirect_call, 0
	.section	.AMDGPU.csdata,"",@progbits
; Kernel info:
; codeLenInByte = 0
; TotalNumSgprs: 0
; NumVgprs: 0
; ScratchSize: 0
; MemoryBound: 0
; FloatMode: 240
; IeeeMode: 1
; LDSByteSize: 0 bytes/workgroup (compile time only)
; SGPRBlocks: 0
; VGPRBlocks: 0
; NumSGPRsForWavesPerEU: 1
; NumVGPRsForWavesPerEU: 1
; Occupancy: 16
; WaveLimiterHint : 0
; COMPUTE_PGM_RSRC2:SCRATCH_EN: 0
; COMPUTE_PGM_RSRC2:USER_SGPR: 2
; COMPUTE_PGM_RSRC2:TRAP_HANDLER: 0
; COMPUTE_PGM_RSRC2:TGID_X_EN: 1
; COMPUTE_PGM_RSRC2:TGID_Y_EN: 0
; COMPUTE_PGM_RSRC2:TGID_Z_EN: 0
; COMPUTE_PGM_RSRC2:TIDIG_COMP_CNT: 0
	.section	.text._ZN7rocprim17ROCPRIM_400000_NS6detail17trampoline_kernelINS0_14default_configENS1_36segmented_radix_sort_config_selectorIhlEEZNS1_25segmented_radix_sort_implIS3_Lb1EPKhPhPKlPlN2at6native12_GLOBAL__N_18offset_tEEE10hipError_tPvRmT1_PNSt15iterator_traitsISK_E10value_typeET2_T3_PNSL_ISQ_E10value_typeET4_jRbjT5_SW_jjP12ihipStream_tbEUlT_E1_NS1_11comp_targetILNS1_3genE8ELNS1_11target_archE1030ELNS1_3gpuE2ELNS1_3repE0EEENS1_59segmented_radix_sort_warp_sort_small_config_static_selectorELNS0_4arch9wavefront6targetE0EEEvSK_,"axG",@progbits,_ZN7rocprim17ROCPRIM_400000_NS6detail17trampoline_kernelINS0_14default_configENS1_36segmented_radix_sort_config_selectorIhlEEZNS1_25segmented_radix_sort_implIS3_Lb1EPKhPhPKlPlN2at6native12_GLOBAL__N_18offset_tEEE10hipError_tPvRmT1_PNSt15iterator_traitsISK_E10value_typeET2_T3_PNSL_ISQ_E10value_typeET4_jRbjT5_SW_jjP12ihipStream_tbEUlT_E1_NS1_11comp_targetILNS1_3genE8ELNS1_11target_archE1030ELNS1_3gpuE2ELNS1_3repE0EEENS1_59segmented_radix_sort_warp_sort_small_config_static_selectorELNS0_4arch9wavefront6targetE0EEEvSK_,comdat
	.globl	_ZN7rocprim17ROCPRIM_400000_NS6detail17trampoline_kernelINS0_14default_configENS1_36segmented_radix_sort_config_selectorIhlEEZNS1_25segmented_radix_sort_implIS3_Lb1EPKhPhPKlPlN2at6native12_GLOBAL__N_18offset_tEEE10hipError_tPvRmT1_PNSt15iterator_traitsISK_E10value_typeET2_T3_PNSL_ISQ_E10value_typeET4_jRbjT5_SW_jjP12ihipStream_tbEUlT_E1_NS1_11comp_targetILNS1_3genE8ELNS1_11target_archE1030ELNS1_3gpuE2ELNS1_3repE0EEENS1_59segmented_radix_sort_warp_sort_small_config_static_selectorELNS0_4arch9wavefront6targetE0EEEvSK_ ; -- Begin function _ZN7rocprim17ROCPRIM_400000_NS6detail17trampoline_kernelINS0_14default_configENS1_36segmented_radix_sort_config_selectorIhlEEZNS1_25segmented_radix_sort_implIS3_Lb1EPKhPhPKlPlN2at6native12_GLOBAL__N_18offset_tEEE10hipError_tPvRmT1_PNSt15iterator_traitsISK_E10value_typeET2_T3_PNSL_ISQ_E10value_typeET4_jRbjT5_SW_jjP12ihipStream_tbEUlT_E1_NS1_11comp_targetILNS1_3genE8ELNS1_11target_archE1030ELNS1_3gpuE2ELNS1_3repE0EEENS1_59segmented_radix_sort_warp_sort_small_config_static_selectorELNS0_4arch9wavefront6targetE0EEEvSK_
	.p2align	8
	.type	_ZN7rocprim17ROCPRIM_400000_NS6detail17trampoline_kernelINS0_14default_configENS1_36segmented_radix_sort_config_selectorIhlEEZNS1_25segmented_radix_sort_implIS3_Lb1EPKhPhPKlPlN2at6native12_GLOBAL__N_18offset_tEEE10hipError_tPvRmT1_PNSt15iterator_traitsISK_E10value_typeET2_T3_PNSL_ISQ_E10value_typeET4_jRbjT5_SW_jjP12ihipStream_tbEUlT_E1_NS1_11comp_targetILNS1_3genE8ELNS1_11target_archE1030ELNS1_3gpuE2ELNS1_3repE0EEENS1_59segmented_radix_sort_warp_sort_small_config_static_selectorELNS0_4arch9wavefront6targetE0EEEvSK_,@function
_ZN7rocprim17ROCPRIM_400000_NS6detail17trampoline_kernelINS0_14default_configENS1_36segmented_radix_sort_config_selectorIhlEEZNS1_25segmented_radix_sort_implIS3_Lb1EPKhPhPKlPlN2at6native12_GLOBAL__N_18offset_tEEE10hipError_tPvRmT1_PNSt15iterator_traitsISK_E10value_typeET2_T3_PNSL_ISQ_E10value_typeET4_jRbjT5_SW_jjP12ihipStream_tbEUlT_E1_NS1_11comp_targetILNS1_3genE8ELNS1_11target_archE1030ELNS1_3gpuE2ELNS1_3repE0EEENS1_59segmented_radix_sort_warp_sort_small_config_static_selectorELNS0_4arch9wavefront6targetE0EEEvSK_: ; @_ZN7rocprim17ROCPRIM_400000_NS6detail17trampoline_kernelINS0_14default_configENS1_36segmented_radix_sort_config_selectorIhlEEZNS1_25segmented_radix_sort_implIS3_Lb1EPKhPhPKlPlN2at6native12_GLOBAL__N_18offset_tEEE10hipError_tPvRmT1_PNSt15iterator_traitsISK_E10value_typeET2_T3_PNSL_ISQ_E10value_typeET4_jRbjT5_SW_jjP12ihipStream_tbEUlT_E1_NS1_11comp_targetILNS1_3genE8ELNS1_11target_archE1030ELNS1_3gpuE2ELNS1_3repE0EEENS1_59segmented_radix_sort_warp_sort_small_config_static_selectorELNS0_4arch9wavefront6targetE0EEEvSK_
; %bb.0:
	.section	.rodata,"a",@progbits
	.p2align	6, 0x0
	.amdhsa_kernel _ZN7rocprim17ROCPRIM_400000_NS6detail17trampoline_kernelINS0_14default_configENS1_36segmented_radix_sort_config_selectorIhlEEZNS1_25segmented_radix_sort_implIS3_Lb1EPKhPhPKlPlN2at6native12_GLOBAL__N_18offset_tEEE10hipError_tPvRmT1_PNSt15iterator_traitsISK_E10value_typeET2_T3_PNSL_ISQ_E10value_typeET4_jRbjT5_SW_jjP12ihipStream_tbEUlT_E1_NS1_11comp_targetILNS1_3genE8ELNS1_11target_archE1030ELNS1_3gpuE2ELNS1_3repE0EEENS1_59segmented_radix_sort_warp_sort_small_config_static_selectorELNS0_4arch9wavefront6targetE0EEEvSK_
		.amdhsa_group_segment_fixed_size 0
		.amdhsa_private_segment_fixed_size 0
		.amdhsa_kernarg_size 88
		.amdhsa_user_sgpr_count 2
		.amdhsa_user_sgpr_dispatch_ptr 0
		.amdhsa_user_sgpr_queue_ptr 0
		.amdhsa_user_sgpr_kernarg_segment_ptr 1
		.amdhsa_user_sgpr_dispatch_id 0
		.amdhsa_user_sgpr_private_segment_size 0
		.amdhsa_wavefront_size32 1
		.amdhsa_uses_dynamic_stack 0
		.amdhsa_enable_private_segment 0
		.amdhsa_system_sgpr_workgroup_id_x 1
		.amdhsa_system_sgpr_workgroup_id_y 0
		.amdhsa_system_sgpr_workgroup_id_z 0
		.amdhsa_system_sgpr_workgroup_info 0
		.amdhsa_system_vgpr_workitem_id 0
		.amdhsa_next_free_vgpr 1
		.amdhsa_next_free_sgpr 1
		.amdhsa_reserve_vcc 0
		.amdhsa_float_round_mode_32 0
		.amdhsa_float_round_mode_16_64 0
		.amdhsa_float_denorm_mode_32 3
		.amdhsa_float_denorm_mode_16_64 3
		.amdhsa_fp16_overflow 0
		.amdhsa_workgroup_processor_mode 1
		.amdhsa_memory_ordered 1
		.amdhsa_forward_progress 1
		.amdhsa_inst_pref_size 0
		.amdhsa_round_robin_scheduling 0
		.amdhsa_exception_fp_ieee_invalid_op 0
		.amdhsa_exception_fp_denorm_src 0
		.amdhsa_exception_fp_ieee_div_zero 0
		.amdhsa_exception_fp_ieee_overflow 0
		.amdhsa_exception_fp_ieee_underflow 0
		.amdhsa_exception_fp_ieee_inexact 0
		.amdhsa_exception_int_div_zero 0
	.end_amdhsa_kernel
	.section	.text._ZN7rocprim17ROCPRIM_400000_NS6detail17trampoline_kernelINS0_14default_configENS1_36segmented_radix_sort_config_selectorIhlEEZNS1_25segmented_radix_sort_implIS3_Lb1EPKhPhPKlPlN2at6native12_GLOBAL__N_18offset_tEEE10hipError_tPvRmT1_PNSt15iterator_traitsISK_E10value_typeET2_T3_PNSL_ISQ_E10value_typeET4_jRbjT5_SW_jjP12ihipStream_tbEUlT_E1_NS1_11comp_targetILNS1_3genE8ELNS1_11target_archE1030ELNS1_3gpuE2ELNS1_3repE0EEENS1_59segmented_radix_sort_warp_sort_small_config_static_selectorELNS0_4arch9wavefront6targetE0EEEvSK_,"axG",@progbits,_ZN7rocprim17ROCPRIM_400000_NS6detail17trampoline_kernelINS0_14default_configENS1_36segmented_radix_sort_config_selectorIhlEEZNS1_25segmented_radix_sort_implIS3_Lb1EPKhPhPKlPlN2at6native12_GLOBAL__N_18offset_tEEE10hipError_tPvRmT1_PNSt15iterator_traitsISK_E10value_typeET2_T3_PNSL_ISQ_E10value_typeET4_jRbjT5_SW_jjP12ihipStream_tbEUlT_E1_NS1_11comp_targetILNS1_3genE8ELNS1_11target_archE1030ELNS1_3gpuE2ELNS1_3repE0EEENS1_59segmented_radix_sort_warp_sort_small_config_static_selectorELNS0_4arch9wavefront6targetE0EEEvSK_,comdat
.Lfunc_end112:
	.size	_ZN7rocprim17ROCPRIM_400000_NS6detail17trampoline_kernelINS0_14default_configENS1_36segmented_radix_sort_config_selectorIhlEEZNS1_25segmented_radix_sort_implIS3_Lb1EPKhPhPKlPlN2at6native12_GLOBAL__N_18offset_tEEE10hipError_tPvRmT1_PNSt15iterator_traitsISK_E10value_typeET2_T3_PNSL_ISQ_E10value_typeET4_jRbjT5_SW_jjP12ihipStream_tbEUlT_E1_NS1_11comp_targetILNS1_3genE8ELNS1_11target_archE1030ELNS1_3gpuE2ELNS1_3repE0EEENS1_59segmented_radix_sort_warp_sort_small_config_static_selectorELNS0_4arch9wavefront6targetE0EEEvSK_, .Lfunc_end112-_ZN7rocprim17ROCPRIM_400000_NS6detail17trampoline_kernelINS0_14default_configENS1_36segmented_radix_sort_config_selectorIhlEEZNS1_25segmented_radix_sort_implIS3_Lb1EPKhPhPKlPlN2at6native12_GLOBAL__N_18offset_tEEE10hipError_tPvRmT1_PNSt15iterator_traitsISK_E10value_typeET2_T3_PNSL_ISQ_E10value_typeET4_jRbjT5_SW_jjP12ihipStream_tbEUlT_E1_NS1_11comp_targetILNS1_3genE8ELNS1_11target_archE1030ELNS1_3gpuE2ELNS1_3repE0EEENS1_59segmented_radix_sort_warp_sort_small_config_static_selectorELNS0_4arch9wavefront6targetE0EEEvSK_
                                        ; -- End function
	.set _ZN7rocprim17ROCPRIM_400000_NS6detail17trampoline_kernelINS0_14default_configENS1_36segmented_radix_sort_config_selectorIhlEEZNS1_25segmented_radix_sort_implIS3_Lb1EPKhPhPKlPlN2at6native12_GLOBAL__N_18offset_tEEE10hipError_tPvRmT1_PNSt15iterator_traitsISK_E10value_typeET2_T3_PNSL_ISQ_E10value_typeET4_jRbjT5_SW_jjP12ihipStream_tbEUlT_E1_NS1_11comp_targetILNS1_3genE8ELNS1_11target_archE1030ELNS1_3gpuE2ELNS1_3repE0EEENS1_59segmented_radix_sort_warp_sort_small_config_static_selectorELNS0_4arch9wavefront6targetE0EEEvSK_.num_vgpr, 0
	.set _ZN7rocprim17ROCPRIM_400000_NS6detail17trampoline_kernelINS0_14default_configENS1_36segmented_radix_sort_config_selectorIhlEEZNS1_25segmented_radix_sort_implIS3_Lb1EPKhPhPKlPlN2at6native12_GLOBAL__N_18offset_tEEE10hipError_tPvRmT1_PNSt15iterator_traitsISK_E10value_typeET2_T3_PNSL_ISQ_E10value_typeET4_jRbjT5_SW_jjP12ihipStream_tbEUlT_E1_NS1_11comp_targetILNS1_3genE8ELNS1_11target_archE1030ELNS1_3gpuE2ELNS1_3repE0EEENS1_59segmented_radix_sort_warp_sort_small_config_static_selectorELNS0_4arch9wavefront6targetE0EEEvSK_.num_agpr, 0
	.set _ZN7rocprim17ROCPRIM_400000_NS6detail17trampoline_kernelINS0_14default_configENS1_36segmented_radix_sort_config_selectorIhlEEZNS1_25segmented_radix_sort_implIS3_Lb1EPKhPhPKlPlN2at6native12_GLOBAL__N_18offset_tEEE10hipError_tPvRmT1_PNSt15iterator_traitsISK_E10value_typeET2_T3_PNSL_ISQ_E10value_typeET4_jRbjT5_SW_jjP12ihipStream_tbEUlT_E1_NS1_11comp_targetILNS1_3genE8ELNS1_11target_archE1030ELNS1_3gpuE2ELNS1_3repE0EEENS1_59segmented_radix_sort_warp_sort_small_config_static_selectorELNS0_4arch9wavefront6targetE0EEEvSK_.numbered_sgpr, 0
	.set _ZN7rocprim17ROCPRIM_400000_NS6detail17trampoline_kernelINS0_14default_configENS1_36segmented_radix_sort_config_selectorIhlEEZNS1_25segmented_radix_sort_implIS3_Lb1EPKhPhPKlPlN2at6native12_GLOBAL__N_18offset_tEEE10hipError_tPvRmT1_PNSt15iterator_traitsISK_E10value_typeET2_T3_PNSL_ISQ_E10value_typeET4_jRbjT5_SW_jjP12ihipStream_tbEUlT_E1_NS1_11comp_targetILNS1_3genE8ELNS1_11target_archE1030ELNS1_3gpuE2ELNS1_3repE0EEENS1_59segmented_radix_sort_warp_sort_small_config_static_selectorELNS0_4arch9wavefront6targetE0EEEvSK_.num_named_barrier, 0
	.set _ZN7rocprim17ROCPRIM_400000_NS6detail17trampoline_kernelINS0_14default_configENS1_36segmented_radix_sort_config_selectorIhlEEZNS1_25segmented_radix_sort_implIS3_Lb1EPKhPhPKlPlN2at6native12_GLOBAL__N_18offset_tEEE10hipError_tPvRmT1_PNSt15iterator_traitsISK_E10value_typeET2_T3_PNSL_ISQ_E10value_typeET4_jRbjT5_SW_jjP12ihipStream_tbEUlT_E1_NS1_11comp_targetILNS1_3genE8ELNS1_11target_archE1030ELNS1_3gpuE2ELNS1_3repE0EEENS1_59segmented_radix_sort_warp_sort_small_config_static_selectorELNS0_4arch9wavefront6targetE0EEEvSK_.private_seg_size, 0
	.set _ZN7rocprim17ROCPRIM_400000_NS6detail17trampoline_kernelINS0_14default_configENS1_36segmented_radix_sort_config_selectorIhlEEZNS1_25segmented_radix_sort_implIS3_Lb1EPKhPhPKlPlN2at6native12_GLOBAL__N_18offset_tEEE10hipError_tPvRmT1_PNSt15iterator_traitsISK_E10value_typeET2_T3_PNSL_ISQ_E10value_typeET4_jRbjT5_SW_jjP12ihipStream_tbEUlT_E1_NS1_11comp_targetILNS1_3genE8ELNS1_11target_archE1030ELNS1_3gpuE2ELNS1_3repE0EEENS1_59segmented_radix_sort_warp_sort_small_config_static_selectorELNS0_4arch9wavefront6targetE0EEEvSK_.uses_vcc, 0
	.set _ZN7rocprim17ROCPRIM_400000_NS6detail17trampoline_kernelINS0_14default_configENS1_36segmented_radix_sort_config_selectorIhlEEZNS1_25segmented_radix_sort_implIS3_Lb1EPKhPhPKlPlN2at6native12_GLOBAL__N_18offset_tEEE10hipError_tPvRmT1_PNSt15iterator_traitsISK_E10value_typeET2_T3_PNSL_ISQ_E10value_typeET4_jRbjT5_SW_jjP12ihipStream_tbEUlT_E1_NS1_11comp_targetILNS1_3genE8ELNS1_11target_archE1030ELNS1_3gpuE2ELNS1_3repE0EEENS1_59segmented_radix_sort_warp_sort_small_config_static_selectorELNS0_4arch9wavefront6targetE0EEEvSK_.uses_flat_scratch, 0
	.set _ZN7rocprim17ROCPRIM_400000_NS6detail17trampoline_kernelINS0_14default_configENS1_36segmented_radix_sort_config_selectorIhlEEZNS1_25segmented_radix_sort_implIS3_Lb1EPKhPhPKlPlN2at6native12_GLOBAL__N_18offset_tEEE10hipError_tPvRmT1_PNSt15iterator_traitsISK_E10value_typeET2_T3_PNSL_ISQ_E10value_typeET4_jRbjT5_SW_jjP12ihipStream_tbEUlT_E1_NS1_11comp_targetILNS1_3genE8ELNS1_11target_archE1030ELNS1_3gpuE2ELNS1_3repE0EEENS1_59segmented_radix_sort_warp_sort_small_config_static_selectorELNS0_4arch9wavefront6targetE0EEEvSK_.has_dyn_sized_stack, 0
	.set _ZN7rocprim17ROCPRIM_400000_NS6detail17trampoline_kernelINS0_14default_configENS1_36segmented_radix_sort_config_selectorIhlEEZNS1_25segmented_radix_sort_implIS3_Lb1EPKhPhPKlPlN2at6native12_GLOBAL__N_18offset_tEEE10hipError_tPvRmT1_PNSt15iterator_traitsISK_E10value_typeET2_T3_PNSL_ISQ_E10value_typeET4_jRbjT5_SW_jjP12ihipStream_tbEUlT_E1_NS1_11comp_targetILNS1_3genE8ELNS1_11target_archE1030ELNS1_3gpuE2ELNS1_3repE0EEENS1_59segmented_radix_sort_warp_sort_small_config_static_selectorELNS0_4arch9wavefront6targetE0EEEvSK_.has_recursion, 0
	.set _ZN7rocprim17ROCPRIM_400000_NS6detail17trampoline_kernelINS0_14default_configENS1_36segmented_radix_sort_config_selectorIhlEEZNS1_25segmented_radix_sort_implIS3_Lb1EPKhPhPKlPlN2at6native12_GLOBAL__N_18offset_tEEE10hipError_tPvRmT1_PNSt15iterator_traitsISK_E10value_typeET2_T3_PNSL_ISQ_E10value_typeET4_jRbjT5_SW_jjP12ihipStream_tbEUlT_E1_NS1_11comp_targetILNS1_3genE8ELNS1_11target_archE1030ELNS1_3gpuE2ELNS1_3repE0EEENS1_59segmented_radix_sort_warp_sort_small_config_static_selectorELNS0_4arch9wavefront6targetE0EEEvSK_.has_indirect_call, 0
	.section	.AMDGPU.csdata,"",@progbits
; Kernel info:
; codeLenInByte = 0
; TotalNumSgprs: 0
; NumVgprs: 0
; ScratchSize: 0
; MemoryBound: 0
; FloatMode: 240
; IeeeMode: 1
; LDSByteSize: 0 bytes/workgroup (compile time only)
; SGPRBlocks: 0
; VGPRBlocks: 0
; NumSGPRsForWavesPerEU: 1
; NumVGPRsForWavesPerEU: 1
; Occupancy: 16
; WaveLimiterHint : 0
; COMPUTE_PGM_RSRC2:SCRATCH_EN: 0
; COMPUTE_PGM_RSRC2:USER_SGPR: 2
; COMPUTE_PGM_RSRC2:TRAP_HANDLER: 0
; COMPUTE_PGM_RSRC2:TGID_X_EN: 1
; COMPUTE_PGM_RSRC2:TGID_Y_EN: 0
; COMPUTE_PGM_RSRC2:TGID_Z_EN: 0
; COMPUTE_PGM_RSRC2:TIDIG_COMP_CNT: 0
	.section	.text._ZN7rocprim17ROCPRIM_400000_NS6detail17trampoline_kernelINS0_14default_configENS1_36segmented_radix_sort_config_selectorIhlEEZNS1_25segmented_radix_sort_implIS3_Lb1EPKhPhPKlPlN2at6native12_GLOBAL__N_18offset_tEEE10hipError_tPvRmT1_PNSt15iterator_traitsISK_E10value_typeET2_T3_PNSL_ISQ_E10value_typeET4_jRbjT5_SW_jjP12ihipStream_tbEUlT_E2_NS1_11comp_targetILNS1_3genE0ELNS1_11target_archE4294967295ELNS1_3gpuE0ELNS1_3repE0EEENS1_30default_config_static_selectorELNS0_4arch9wavefront6targetE0EEEvSK_,"axG",@progbits,_ZN7rocprim17ROCPRIM_400000_NS6detail17trampoline_kernelINS0_14default_configENS1_36segmented_radix_sort_config_selectorIhlEEZNS1_25segmented_radix_sort_implIS3_Lb1EPKhPhPKlPlN2at6native12_GLOBAL__N_18offset_tEEE10hipError_tPvRmT1_PNSt15iterator_traitsISK_E10value_typeET2_T3_PNSL_ISQ_E10value_typeET4_jRbjT5_SW_jjP12ihipStream_tbEUlT_E2_NS1_11comp_targetILNS1_3genE0ELNS1_11target_archE4294967295ELNS1_3gpuE0ELNS1_3repE0EEENS1_30default_config_static_selectorELNS0_4arch9wavefront6targetE0EEEvSK_,comdat
	.globl	_ZN7rocprim17ROCPRIM_400000_NS6detail17trampoline_kernelINS0_14default_configENS1_36segmented_radix_sort_config_selectorIhlEEZNS1_25segmented_radix_sort_implIS3_Lb1EPKhPhPKlPlN2at6native12_GLOBAL__N_18offset_tEEE10hipError_tPvRmT1_PNSt15iterator_traitsISK_E10value_typeET2_T3_PNSL_ISQ_E10value_typeET4_jRbjT5_SW_jjP12ihipStream_tbEUlT_E2_NS1_11comp_targetILNS1_3genE0ELNS1_11target_archE4294967295ELNS1_3gpuE0ELNS1_3repE0EEENS1_30default_config_static_selectorELNS0_4arch9wavefront6targetE0EEEvSK_ ; -- Begin function _ZN7rocprim17ROCPRIM_400000_NS6detail17trampoline_kernelINS0_14default_configENS1_36segmented_radix_sort_config_selectorIhlEEZNS1_25segmented_radix_sort_implIS3_Lb1EPKhPhPKlPlN2at6native12_GLOBAL__N_18offset_tEEE10hipError_tPvRmT1_PNSt15iterator_traitsISK_E10value_typeET2_T3_PNSL_ISQ_E10value_typeET4_jRbjT5_SW_jjP12ihipStream_tbEUlT_E2_NS1_11comp_targetILNS1_3genE0ELNS1_11target_archE4294967295ELNS1_3gpuE0ELNS1_3repE0EEENS1_30default_config_static_selectorELNS0_4arch9wavefront6targetE0EEEvSK_
	.p2align	8
	.type	_ZN7rocprim17ROCPRIM_400000_NS6detail17trampoline_kernelINS0_14default_configENS1_36segmented_radix_sort_config_selectorIhlEEZNS1_25segmented_radix_sort_implIS3_Lb1EPKhPhPKlPlN2at6native12_GLOBAL__N_18offset_tEEE10hipError_tPvRmT1_PNSt15iterator_traitsISK_E10value_typeET2_T3_PNSL_ISQ_E10value_typeET4_jRbjT5_SW_jjP12ihipStream_tbEUlT_E2_NS1_11comp_targetILNS1_3genE0ELNS1_11target_archE4294967295ELNS1_3gpuE0ELNS1_3repE0EEENS1_30default_config_static_selectorELNS0_4arch9wavefront6targetE0EEEvSK_,@function
_ZN7rocprim17ROCPRIM_400000_NS6detail17trampoline_kernelINS0_14default_configENS1_36segmented_radix_sort_config_selectorIhlEEZNS1_25segmented_radix_sort_implIS3_Lb1EPKhPhPKlPlN2at6native12_GLOBAL__N_18offset_tEEE10hipError_tPvRmT1_PNSt15iterator_traitsISK_E10value_typeET2_T3_PNSL_ISQ_E10value_typeET4_jRbjT5_SW_jjP12ihipStream_tbEUlT_E2_NS1_11comp_targetILNS1_3genE0ELNS1_11target_archE4294967295ELNS1_3gpuE0ELNS1_3repE0EEENS1_30default_config_static_selectorELNS0_4arch9wavefront6targetE0EEEvSK_: ; @_ZN7rocprim17ROCPRIM_400000_NS6detail17trampoline_kernelINS0_14default_configENS1_36segmented_radix_sort_config_selectorIhlEEZNS1_25segmented_radix_sort_implIS3_Lb1EPKhPhPKlPlN2at6native12_GLOBAL__N_18offset_tEEE10hipError_tPvRmT1_PNSt15iterator_traitsISK_E10value_typeET2_T3_PNSL_ISQ_E10value_typeET4_jRbjT5_SW_jjP12ihipStream_tbEUlT_E2_NS1_11comp_targetILNS1_3genE0ELNS1_11target_archE4294967295ELNS1_3gpuE0ELNS1_3repE0EEENS1_30default_config_static_selectorELNS0_4arch9wavefront6targetE0EEEvSK_
; %bb.0:
	.section	.rodata,"a",@progbits
	.p2align	6, 0x0
	.amdhsa_kernel _ZN7rocprim17ROCPRIM_400000_NS6detail17trampoline_kernelINS0_14default_configENS1_36segmented_radix_sort_config_selectorIhlEEZNS1_25segmented_radix_sort_implIS3_Lb1EPKhPhPKlPlN2at6native12_GLOBAL__N_18offset_tEEE10hipError_tPvRmT1_PNSt15iterator_traitsISK_E10value_typeET2_T3_PNSL_ISQ_E10value_typeET4_jRbjT5_SW_jjP12ihipStream_tbEUlT_E2_NS1_11comp_targetILNS1_3genE0ELNS1_11target_archE4294967295ELNS1_3gpuE0ELNS1_3repE0EEENS1_30default_config_static_selectorELNS0_4arch9wavefront6targetE0EEEvSK_
		.amdhsa_group_segment_fixed_size 0
		.amdhsa_private_segment_fixed_size 0
		.amdhsa_kernarg_size 80
		.amdhsa_user_sgpr_count 2
		.amdhsa_user_sgpr_dispatch_ptr 0
		.amdhsa_user_sgpr_queue_ptr 0
		.amdhsa_user_sgpr_kernarg_segment_ptr 1
		.amdhsa_user_sgpr_dispatch_id 0
		.amdhsa_user_sgpr_private_segment_size 0
		.amdhsa_wavefront_size32 1
		.amdhsa_uses_dynamic_stack 0
		.amdhsa_enable_private_segment 0
		.amdhsa_system_sgpr_workgroup_id_x 1
		.amdhsa_system_sgpr_workgroup_id_y 0
		.amdhsa_system_sgpr_workgroup_id_z 0
		.amdhsa_system_sgpr_workgroup_info 0
		.amdhsa_system_vgpr_workitem_id 0
		.amdhsa_next_free_vgpr 1
		.amdhsa_next_free_sgpr 1
		.amdhsa_reserve_vcc 0
		.amdhsa_float_round_mode_32 0
		.amdhsa_float_round_mode_16_64 0
		.amdhsa_float_denorm_mode_32 3
		.amdhsa_float_denorm_mode_16_64 3
		.amdhsa_fp16_overflow 0
		.amdhsa_workgroup_processor_mode 1
		.amdhsa_memory_ordered 1
		.amdhsa_forward_progress 1
		.amdhsa_inst_pref_size 0
		.amdhsa_round_robin_scheduling 0
		.amdhsa_exception_fp_ieee_invalid_op 0
		.amdhsa_exception_fp_denorm_src 0
		.amdhsa_exception_fp_ieee_div_zero 0
		.amdhsa_exception_fp_ieee_overflow 0
		.amdhsa_exception_fp_ieee_underflow 0
		.amdhsa_exception_fp_ieee_inexact 0
		.amdhsa_exception_int_div_zero 0
	.end_amdhsa_kernel
	.section	.text._ZN7rocprim17ROCPRIM_400000_NS6detail17trampoline_kernelINS0_14default_configENS1_36segmented_radix_sort_config_selectorIhlEEZNS1_25segmented_radix_sort_implIS3_Lb1EPKhPhPKlPlN2at6native12_GLOBAL__N_18offset_tEEE10hipError_tPvRmT1_PNSt15iterator_traitsISK_E10value_typeET2_T3_PNSL_ISQ_E10value_typeET4_jRbjT5_SW_jjP12ihipStream_tbEUlT_E2_NS1_11comp_targetILNS1_3genE0ELNS1_11target_archE4294967295ELNS1_3gpuE0ELNS1_3repE0EEENS1_30default_config_static_selectorELNS0_4arch9wavefront6targetE0EEEvSK_,"axG",@progbits,_ZN7rocprim17ROCPRIM_400000_NS6detail17trampoline_kernelINS0_14default_configENS1_36segmented_radix_sort_config_selectorIhlEEZNS1_25segmented_radix_sort_implIS3_Lb1EPKhPhPKlPlN2at6native12_GLOBAL__N_18offset_tEEE10hipError_tPvRmT1_PNSt15iterator_traitsISK_E10value_typeET2_T3_PNSL_ISQ_E10value_typeET4_jRbjT5_SW_jjP12ihipStream_tbEUlT_E2_NS1_11comp_targetILNS1_3genE0ELNS1_11target_archE4294967295ELNS1_3gpuE0ELNS1_3repE0EEENS1_30default_config_static_selectorELNS0_4arch9wavefront6targetE0EEEvSK_,comdat
.Lfunc_end113:
	.size	_ZN7rocprim17ROCPRIM_400000_NS6detail17trampoline_kernelINS0_14default_configENS1_36segmented_radix_sort_config_selectorIhlEEZNS1_25segmented_radix_sort_implIS3_Lb1EPKhPhPKlPlN2at6native12_GLOBAL__N_18offset_tEEE10hipError_tPvRmT1_PNSt15iterator_traitsISK_E10value_typeET2_T3_PNSL_ISQ_E10value_typeET4_jRbjT5_SW_jjP12ihipStream_tbEUlT_E2_NS1_11comp_targetILNS1_3genE0ELNS1_11target_archE4294967295ELNS1_3gpuE0ELNS1_3repE0EEENS1_30default_config_static_selectorELNS0_4arch9wavefront6targetE0EEEvSK_, .Lfunc_end113-_ZN7rocprim17ROCPRIM_400000_NS6detail17trampoline_kernelINS0_14default_configENS1_36segmented_radix_sort_config_selectorIhlEEZNS1_25segmented_radix_sort_implIS3_Lb1EPKhPhPKlPlN2at6native12_GLOBAL__N_18offset_tEEE10hipError_tPvRmT1_PNSt15iterator_traitsISK_E10value_typeET2_T3_PNSL_ISQ_E10value_typeET4_jRbjT5_SW_jjP12ihipStream_tbEUlT_E2_NS1_11comp_targetILNS1_3genE0ELNS1_11target_archE4294967295ELNS1_3gpuE0ELNS1_3repE0EEENS1_30default_config_static_selectorELNS0_4arch9wavefront6targetE0EEEvSK_
                                        ; -- End function
	.set _ZN7rocprim17ROCPRIM_400000_NS6detail17trampoline_kernelINS0_14default_configENS1_36segmented_radix_sort_config_selectorIhlEEZNS1_25segmented_radix_sort_implIS3_Lb1EPKhPhPKlPlN2at6native12_GLOBAL__N_18offset_tEEE10hipError_tPvRmT1_PNSt15iterator_traitsISK_E10value_typeET2_T3_PNSL_ISQ_E10value_typeET4_jRbjT5_SW_jjP12ihipStream_tbEUlT_E2_NS1_11comp_targetILNS1_3genE0ELNS1_11target_archE4294967295ELNS1_3gpuE0ELNS1_3repE0EEENS1_30default_config_static_selectorELNS0_4arch9wavefront6targetE0EEEvSK_.num_vgpr, 0
	.set _ZN7rocprim17ROCPRIM_400000_NS6detail17trampoline_kernelINS0_14default_configENS1_36segmented_radix_sort_config_selectorIhlEEZNS1_25segmented_radix_sort_implIS3_Lb1EPKhPhPKlPlN2at6native12_GLOBAL__N_18offset_tEEE10hipError_tPvRmT1_PNSt15iterator_traitsISK_E10value_typeET2_T3_PNSL_ISQ_E10value_typeET4_jRbjT5_SW_jjP12ihipStream_tbEUlT_E2_NS1_11comp_targetILNS1_3genE0ELNS1_11target_archE4294967295ELNS1_3gpuE0ELNS1_3repE0EEENS1_30default_config_static_selectorELNS0_4arch9wavefront6targetE0EEEvSK_.num_agpr, 0
	.set _ZN7rocprim17ROCPRIM_400000_NS6detail17trampoline_kernelINS0_14default_configENS1_36segmented_radix_sort_config_selectorIhlEEZNS1_25segmented_radix_sort_implIS3_Lb1EPKhPhPKlPlN2at6native12_GLOBAL__N_18offset_tEEE10hipError_tPvRmT1_PNSt15iterator_traitsISK_E10value_typeET2_T3_PNSL_ISQ_E10value_typeET4_jRbjT5_SW_jjP12ihipStream_tbEUlT_E2_NS1_11comp_targetILNS1_3genE0ELNS1_11target_archE4294967295ELNS1_3gpuE0ELNS1_3repE0EEENS1_30default_config_static_selectorELNS0_4arch9wavefront6targetE0EEEvSK_.numbered_sgpr, 0
	.set _ZN7rocprim17ROCPRIM_400000_NS6detail17trampoline_kernelINS0_14default_configENS1_36segmented_radix_sort_config_selectorIhlEEZNS1_25segmented_radix_sort_implIS3_Lb1EPKhPhPKlPlN2at6native12_GLOBAL__N_18offset_tEEE10hipError_tPvRmT1_PNSt15iterator_traitsISK_E10value_typeET2_T3_PNSL_ISQ_E10value_typeET4_jRbjT5_SW_jjP12ihipStream_tbEUlT_E2_NS1_11comp_targetILNS1_3genE0ELNS1_11target_archE4294967295ELNS1_3gpuE0ELNS1_3repE0EEENS1_30default_config_static_selectorELNS0_4arch9wavefront6targetE0EEEvSK_.num_named_barrier, 0
	.set _ZN7rocprim17ROCPRIM_400000_NS6detail17trampoline_kernelINS0_14default_configENS1_36segmented_radix_sort_config_selectorIhlEEZNS1_25segmented_radix_sort_implIS3_Lb1EPKhPhPKlPlN2at6native12_GLOBAL__N_18offset_tEEE10hipError_tPvRmT1_PNSt15iterator_traitsISK_E10value_typeET2_T3_PNSL_ISQ_E10value_typeET4_jRbjT5_SW_jjP12ihipStream_tbEUlT_E2_NS1_11comp_targetILNS1_3genE0ELNS1_11target_archE4294967295ELNS1_3gpuE0ELNS1_3repE0EEENS1_30default_config_static_selectorELNS0_4arch9wavefront6targetE0EEEvSK_.private_seg_size, 0
	.set _ZN7rocprim17ROCPRIM_400000_NS6detail17trampoline_kernelINS0_14default_configENS1_36segmented_radix_sort_config_selectorIhlEEZNS1_25segmented_radix_sort_implIS3_Lb1EPKhPhPKlPlN2at6native12_GLOBAL__N_18offset_tEEE10hipError_tPvRmT1_PNSt15iterator_traitsISK_E10value_typeET2_T3_PNSL_ISQ_E10value_typeET4_jRbjT5_SW_jjP12ihipStream_tbEUlT_E2_NS1_11comp_targetILNS1_3genE0ELNS1_11target_archE4294967295ELNS1_3gpuE0ELNS1_3repE0EEENS1_30default_config_static_selectorELNS0_4arch9wavefront6targetE0EEEvSK_.uses_vcc, 0
	.set _ZN7rocprim17ROCPRIM_400000_NS6detail17trampoline_kernelINS0_14default_configENS1_36segmented_radix_sort_config_selectorIhlEEZNS1_25segmented_radix_sort_implIS3_Lb1EPKhPhPKlPlN2at6native12_GLOBAL__N_18offset_tEEE10hipError_tPvRmT1_PNSt15iterator_traitsISK_E10value_typeET2_T3_PNSL_ISQ_E10value_typeET4_jRbjT5_SW_jjP12ihipStream_tbEUlT_E2_NS1_11comp_targetILNS1_3genE0ELNS1_11target_archE4294967295ELNS1_3gpuE0ELNS1_3repE0EEENS1_30default_config_static_selectorELNS0_4arch9wavefront6targetE0EEEvSK_.uses_flat_scratch, 0
	.set _ZN7rocprim17ROCPRIM_400000_NS6detail17trampoline_kernelINS0_14default_configENS1_36segmented_radix_sort_config_selectorIhlEEZNS1_25segmented_radix_sort_implIS3_Lb1EPKhPhPKlPlN2at6native12_GLOBAL__N_18offset_tEEE10hipError_tPvRmT1_PNSt15iterator_traitsISK_E10value_typeET2_T3_PNSL_ISQ_E10value_typeET4_jRbjT5_SW_jjP12ihipStream_tbEUlT_E2_NS1_11comp_targetILNS1_3genE0ELNS1_11target_archE4294967295ELNS1_3gpuE0ELNS1_3repE0EEENS1_30default_config_static_selectorELNS0_4arch9wavefront6targetE0EEEvSK_.has_dyn_sized_stack, 0
	.set _ZN7rocprim17ROCPRIM_400000_NS6detail17trampoline_kernelINS0_14default_configENS1_36segmented_radix_sort_config_selectorIhlEEZNS1_25segmented_radix_sort_implIS3_Lb1EPKhPhPKlPlN2at6native12_GLOBAL__N_18offset_tEEE10hipError_tPvRmT1_PNSt15iterator_traitsISK_E10value_typeET2_T3_PNSL_ISQ_E10value_typeET4_jRbjT5_SW_jjP12ihipStream_tbEUlT_E2_NS1_11comp_targetILNS1_3genE0ELNS1_11target_archE4294967295ELNS1_3gpuE0ELNS1_3repE0EEENS1_30default_config_static_selectorELNS0_4arch9wavefront6targetE0EEEvSK_.has_recursion, 0
	.set _ZN7rocprim17ROCPRIM_400000_NS6detail17trampoline_kernelINS0_14default_configENS1_36segmented_radix_sort_config_selectorIhlEEZNS1_25segmented_radix_sort_implIS3_Lb1EPKhPhPKlPlN2at6native12_GLOBAL__N_18offset_tEEE10hipError_tPvRmT1_PNSt15iterator_traitsISK_E10value_typeET2_T3_PNSL_ISQ_E10value_typeET4_jRbjT5_SW_jjP12ihipStream_tbEUlT_E2_NS1_11comp_targetILNS1_3genE0ELNS1_11target_archE4294967295ELNS1_3gpuE0ELNS1_3repE0EEENS1_30default_config_static_selectorELNS0_4arch9wavefront6targetE0EEEvSK_.has_indirect_call, 0
	.section	.AMDGPU.csdata,"",@progbits
; Kernel info:
; codeLenInByte = 0
; TotalNumSgprs: 0
; NumVgprs: 0
; ScratchSize: 0
; MemoryBound: 0
; FloatMode: 240
; IeeeMode: 1
; LDSByteSize: 0 bytes/workgroup (compile time only)
; SGPRBlocks: 0
; VGPRBlocks: 0
; NumSGPRsForWavesPerEU: 1
; NumVGPRsForWavesPerEU: 1
; Occupancy: 16
; WaveLimiterHint : 0
; COMPUTE_PGM_RSRC2:SCRATCH_EN: 0
; COMPUTE_PGM_RSRC2:USER_SGPR: 2
; COMPUTE_PGM_RSRC2:TRAP_HANDLER: 0
; COMPUTE_PGM_RSRC2:TGID_X_EN: 1
; COMPUTE_PGM_RSRC2:TGID_Y_EN: 0
; COMPUTE_PGM_RSRC2:TGID_Z_EN: 0
; COMPUTE_PGM_RSRC2:TIDIG_COMP_CNT: 0
	.section	.text._ZN7rocprim17ROCPRIM_400000_NS6detail17trampoline_kernelINS0_14default_configENS1_36segmented_radix_sort_config_selectorIhlEEZNS1_25segmented_radix_sort_implIS3_Lb1EPKhPhPKlPlN2at6native12_GLOBAL__N_18offset_tEEE10hipError_tPvRmT1_PNSt15iterator_traitsISK_E10value_typeET2_T3_PNSL_ISQ_E10value_typeET4_jRbjT5_SW_jjP12ihipStream_tbEUlT_E2_NS1_11comp_targetILNS1_3genE5ELNS1_11target_archE942ELNS1_3gpuE9ELNS1_3repE0EEENS1_30default_config_static_selectorELNS0_4arch9wavefront6targetE0EEEvSK_,"axG",@progbits,_ZN7rocprim17ROCPRIM_400000_NS6detail17trampoline_kernelINS0_14default_configENS1_36segmented_radix_sort_config_selectorIhlEEZNS1_25segmented_radix_sort_implIS3_Lb1EPKhPhPKlPlN2at6native12_GLOBAL__N_18offset_tEEE10hipError_tPvRmT1_PNSt15iterator_traitsISK_E10value_typeET2_T3_PNSL_ISQ_E10value_typeET4_jRbjT5_SW_jjP12ihipStream_tbEUlT_E2_NS1_11comp_targetILNS1_3genE5ELNS1_11target_archE942ELNS1_3gpuE9ELNS1_3repE0EEENS1_30default_config_static_selectorELNS0_4arch9wavefront6targetE0EEEvSK_,comdat
	.globl	_ZN7rocprim17ROCPRIM_400000_NS6detail17trampoline_kernelINS0_14default_configENS1_36segmented_radix_sort_config_selectorIhlEEZNS1_25segmented_radix_sort_implIS3_Lb1EPKhPhPKlPlN2at6native12_GLOBAL__N_18offset_tEEE10hipError_tPvRmT1_PNSt15iterator_traitsISK_E10value_typeET2_T3_PNSL_ISQ_E10value_typeET4_jRbjT5_SW_jjP12ihipStream_tbEUlT_E2_NS1_11comp_targetILNS1_3genE5ELNS1_11target_archE942ELNS1_3gpuE9ELNS1_3repE0EEENS1_30default_config_static_selectorELNS0_4arch9wavefront6targetE0EEEvSK_ ; -- Begin function _ZN7rocprim17ROCPRIM_400000_NS6detail17trampoline_kernelINS0_14default_configENS1_36segmented_radix_sort_config_selectorIhlEEZNS1_25segmented_radix_sort_implIS3_Lb1EPKhPhPKlPlN2at6native12_GLOBAL__N_18offset_tEEE10hipError_tPvRmT1_PNSt15iterator_traitsISK_E10value_typeET2_T3_PNSL_ISQ_E10value_typeET4_jRbjT5_SW_jjP12ihipStream_tbEUlT_E2_NS1_11comp_targetILNS1_3genE5ELNS1_11target_archE942ELNS1_3gpuE9ELNS1_3repE0EEENS1_30default_config_static_selectorELNS0_4arch9wavefront6targetE0EEEvSK_
	.p2align	8
	.type	_ZN7rocprim17ROCPRIM_400000_NS6detail17trampoline_kernelINS0_14default_configENS1_36segmented_radix_sort_config_selectorIhlEEZNS1_25segmented_radix_sort_implIS3_Lb1EPKhPhPKlPlN2at6native12_GLOBAL__N_18offset_tEEE10hipError_tPvRmT1_PNSt15iterator_traitsISK_E10value_typeET2_T3_PNSL_ISQ_E10value_typeET4_jRbjT5_SW_jjP12ihipStream_tbEUlT_E2_NS1_11comp_targetILNS1_3genE5ELNS1_11target_archE942ELNS1_3gpuE9ELNS1_3repE0EEENS1_30default_config_static_selectorELNS0_4arch9wavefront6targetE0EEEvSK_,@function
_ZN7rocprim17ROCPRIM_400000_NS6detail17trampoline_kernelINS0_14default_configENS1_36segmented_radix_sort_config_selectorIhlEEZNS1_25segmented_radix_sort_implIS3_Lb1EPKhPhPKlPlN2at6native12_GLOBAL__N_18offset_tEEE10hipError_tPvRmT1_PNSt15iterator_traitsISK_E10value_typeET2_T3_PNSL_ISQ_E10value_typeET4_jRbjT5_SW_jjP12ihipStream_tbEUlT_E2_NS1_11comp_targetILNS1_3genE5ELNS1_11target_archE942ELNS1_3gpuE9ELNS1_3repE0EEENS1_30default_config_static_selectorELNS0_4arch9wavefront6targetE0EEEvSK_: ; @_ZN7rocprim17ROCPRIM_400000_NS6detail17trampoline_kernelINS0_14default_configENS1_36segmented_radix_sort_config_selectorIhlEEZNS1_25segmented_radix_sort_implIS3_Lb1EPKhPhPKlPlN2at6native12_GLOBAL__N_18offset_tEEE10hipError_tPvRmT1_PNSt15iterator_traitsISK_E10value_typeET2_T3_PNSL_ISQ_E10value_typeET4_jRbjT5_SW_jjP12ihipStream_tbEUlT_E2_NS1_11comp_targetILNS1_3genE5ELNS1_11target_archE942ELNS1_3gpuE9ELNS1_3repE0EEENS1_30default_config_static_selectorELNS0_4arch9wavefront6targetE0EEEvSK_
; %bb.0:
	.section	.rodata,"a",@progbits
	.p2align	6, 0x0
	.amdhsa_kernel _ZN7rocprim17ROCPRIM_400000_NS6detail17trampoline_kernelINS0_14default_configENS1_36segmented_radix_sort_config_selectorIhlEEZNS1_25segmented_radix_sort_implIS3_Lb1EPKhPhPKlPlN2at6native12_GLOBAL__N_18offset_tEEE10hipError_tPvRmT1_PNSt15iterator_traitsISK_E10value_typeET2_T3_PNSL_ISQ_E10value_typeET4_jRbjT5_SW_jjP12ihipStream_tbEUlT_E2_NS1_11comp_targetILNS1_3genE5ELNS1_11target_archE942ELNS1_3gpuE9ELNS1_3repE0EEENS1_30default_config_static_selectorELNS0_4arch9wavefront6targetE0EEEvSK_
		.amdhsa_group_segment_fixed_size 0
		.amdhsa_private_segment_fixed_size 0
		.amdhsa_kernarg_size 80
		.amdhsa_user_sgpr_count 2
		.amdhsa_user_sgpr_dispatch_ptr 0
		.amdhsa_user_sgpr_queue_ptr 0
		.amdhsa_user_sgpr_kernarg_segment_ptr 1
		.amdhsa_user_sgpr_dispatch_id 0
		.amdhsa_user_sgpr_private_segment_size 0
		.amdhsa_wavefront_size32 1
		.amdhsa_uses_dynamic_stack 0
		.amdhsa_enable_private_segment 0
		.amdhsa_system_sgpr_workgroup_id_x 1
		.amdhsa_system_sgpr_workgroup_id_y 0
		.amdhsa_system_sgpr_workgroup_id_z 0
		.amdhsa_system_sgpr_workgroup_info 0
		.amdhsa_system_vgpr_workitem_id 0
		.amdhsa_next_free_vgpr 1
		.amdhsa_next_free_sgpr 1
		.amdhsa_reserve_vcc 0
		.amdhsa_float_round_mode_32 0
		.amdhsa_float_round_mode_16_64 0
		.amdhsa_float_denorm_mode_32 3
		.amdhsa_float_denorm_mode_16_64 3
		.amdhsa_fp16_overflow 0
		.amdhsa_workgroup_processor_mode 1
		.amdhsa_memory_ordered 1
		.amdhsa_forward_progress 1
		.amdhsa_inst_pref_size 0
		.amdhsa_round_robin_scheduling 0
		.amdhsa_exception_fp_ieee_invalid_op 0
		.amdhsa_exception_fp_denorm_src 0
		.amdhsa_exception_fp_ieee_div_zero 0
		.amdhsa_exception_fp_ieee_overflow 0
		.amdhsa_exception_fp_ieee_underflow 0
		.amdhsa_exception_fp_ieee_inexact 0
		.amdhsa_exception_int_div_zero 0
	.end_amdhsa_kernel
	.section	.text._ZN7rocprim17ROCPRIM_400000_NS6detail17trampoline_kernelINS0_14default_configENS1_36segmented_radix_sort_config_selectorIhlEEZNS1_25segmented_radix_sort_implIS3_Lb1EPKhPhPKlPlN2at6native12_GLOBAL__N_18offset_tEEE10hipError_tPvRmT1_PNSt15iterator_traitsISK_E10value_typeET2_T3_PNSL_ISQ_E10value_typeET4_jRbjT5_SW_jjP12ihipStream_tbEUlT_E2_NS1_11comp_targetILNS1_3genE5ELNS1_11target_archE942ELNS1_3gpuE9ELNS1_3repE0EEENS1_30default_config_static_selectorELNS0_4arch9wavefront6targetE0EEEvSK_,"axG",@progbits,_ZN7rocprim17ROCPRIM_400000_NS6detail17trampoline_kernelINS0_14default_configENS1_36segmented_radix_sort_config_selectorIhlEEZNS1_25segmented_radix_sort_implIS3_Lb1EPKhPhPKlPlN2at6native12_GLOBAL__N_18offset_tEEE10hipError_tPvRmT1_PNSt15iterator_traitsISK_E10value_typeET2_T3_PNSL_ISQ_E10value_typeET4_jRbjT5_SW_jjP12ihipStream_tbEUlT_E2_NS1_11comp_targetILNS1_3genE5ELNS1_11target_archE942ELNS1_3gpuE9ELNS1_3repE0EEENS1_30default_config_static_selectorELNS0_4arch9wavefront6targetE0EEEvSK_,comdat
.Lfunc_end114:
	.size	_ZN7rocprim17ROCPRIM_400000_NS6detail17trampoline_kernelINS0_14default_configENS1_36segmented_radix_sort_config_selectorIhlEEZNS1_25segmented_radix_sort_implIS3_Lb1EPKhPhPKlPlN2at6native12_GLOBAL__N_18offset_tEEE10hipError_tPvRmT1_PNSt15iterator_traitsISK_E10value_typeET2_T3_PNSL_ISQ_E10value_typeET4_jRbjT5_SW_jjP12ihipStream_tbEUlT_E2_NS1_11comp_targetILNS1_3genE5ELNS1_11target_archE942ELNS1_3gpuE9ELNS1_3repE0EEENS1_30default_config_static_selectorELNS0_4arch9wavefront6targetE0EEEvSK_, .Lfunc_end114-_ZN7rocprim17ROCPRIM_400000_NS6detail17trampoline_kernelINS0_14default_configENS1_36segmented_radix_sort_config_selectorIhlEEZNS1_25segmented_radix_sort_implIS3_Lb1EPKhPhPKlPlN2at6native12_GLOBAL__N_18offset_tEEE10hipError_tPvRmT1_PNSt15iterator_traitsISK_E10value_typeET2_T3_PNSL_ISQ_E10value_typeET4_jRbjT5_SW_jjP12ihipStream_tbEUlT_E2_NS1_11comp_targetILNS1_3genE5ELNS1_11target_archE942ELNS1_3gpuE9ELNS1_3repE0EEENS1_30default_config_static_selectorELNS0_4arch9wavefront6targetE0EEEvSK_
                                        ; -- End function
	.set _ZN7rocprim17ROCPRIM_400000_NS6detail17trampoline_kernelINS0_14default_configENS1_36segmented_radix_sort_config_selectorIhlEEZNS1_25segmented_radix_sort_implIS3_Lb1EPKhPhPKlPlN2at6native12_GLOBAL__N_18offset_tEEE10hipError_tPvRmT1_PNSt15iterator_traitsISK_E10value_typeET2_T3_PNSL_ISQ_E10value_typeET4_jRbjT5_SW_jjP12ihipStream_tbEUlT_E2_NS1_11comp_targetILNS1_3genE5ELNS1_11target_archE942ELNS1_3gpuE9ELNS1_3repE0EEENS1_30default_config_static_selectorELNS0_4arch9wavefront6targetE0EEEvSK_.num_vgpr, 0
	.set _ZN7rocprim17ROCPRIM_400000_NS6detail17trampoline_kernelINS0_14default_configENS1_36segmented_radix_sort_config_selectorIhlEEZNS1_25segmented_radix_sort_implIS3_Lb1EPKhPhPKlPlN2at6native12_GLOBAL__N_18offset_tEEE10hipError_tPvRmT1_PNSt15iterator_traitsISK_E10value_typeET2_T3_PNSL_ISQ_E10value_typeET4_jRbjT5_SW_jjP12ihipStream_tbEUlT_E2_NS1_11comp_targetILNS1_3genE5ELNS1_11target_archE942ELNS1_3gpuE9ELNS1_3repE0EEENS1_30default_config_static_selectorELNS0_4arch9wavefront6targetE0EEEvSK_.num_agpr, 0
	.set _ZN7rocprim17ROCPRIM_400000_NS6detail17trampoline_kernelINS0_14default_configENS1_36segmented_radix_sort_config_selectorIhlEEZNS1_25segmented_radix_sort_implIS3_Lb1EPKhPhPKlPlN2at6native12_GLOBAL__N_18offset_tEEE10hipError_tPvRmT1_PNSt15iterator_traitsISK_E10value_typeET2_T3_PNSL_ISQ_E10value_typeET4_jRbjT5_SW_jjP12ihipStream_tbEUlT_E2_NS1_11comp_targetILNS1_3genE5ELNS1_11target_archE942ELNS1_3gpuE9ELNS1_3repE0EEENS1_30default_config_static_selectorELNS0_4arch9wavefront6targetE0EEEvSK_.numbered_sgpr, 0
	.set _ZN7rocprim17ROCPRIM_400000_NS6detail17trampoline_kernelINS0_14default_configENS1_36segmented_radix_sort_config_selectorIhlEEZNS1_25segmented_radix_sort_implIS3_Lb1EPKhPhPKlPlN2at6native12_GLOBAL__N_18offset_tEEE10hipError_tPvRmT1_PNSt15iterator_traitsISK_E10value_typeET2_T3_PNSL_ISQ_E10value_typeET4_jRbjT5_SW_jjP12ihipStream_tbEUlT_E2_NS1_11comp_targetILNS1_3genE5ELNS1_11target_archE942ELNS1_3gpuE9ELNS1_3repE0EEENS1_30default_config_static_selectorELNS0_4arch9wavefront6targetE0EEEvSK_.num_named_barrier, 0
	.set _ZN7rocprim17ROCPRIM_400000_NS6detail17trampoline_kernelINS0_14default_configENS1_36segmented_radix_sort_config_selectorIhlEEZNS1_25segmented_radix_sort_implIS3_Lb1EPKhPhPKlPlN2at6native12_GLOBAL__N_18offset_tEEE10hipError_tPvRmT1_PNSt15iterator_traitsISK_E10value_typeET2_T3_PNSL_ISQ_E10value_typeET4_jRbjT5_SW_jjP12ihipStream_tbEUlT_E2_NS1_11comp_targetILNS1_3genE5ELNS1_11target_archE942ELNS1_3gpuE9ELNS1_3repE0EEENS1_30default_config_static_selectorELNS0_4arch9wavefront6targetE0EEEvSK_.private_seg_size, 0
	.set _ZN7rocprim17ROCPRIM_400000_NS6detail17trampoline_kernelINS0_14default_configENS1_36segmented_radix_sort_config_selectorIhlEEZNS1_25segmented_radix_sort_implIS3_Lb1EPKhPhPKlPlN2at6native12_GLOBAL__N_18offset_tEEE10hipError_tPvRmT1_PNSt15iterator_traitsISK_E10value_typeET2_T3_PNSL_ISQ_E10value_typeET4_jRbjT5_SW_jjP12ihipStream_tbEUlT_E2_NS1_11comp_targetILNS1_3genE5ELNS1_11target_archE942ELNS1_3gpuE9ELNS1_3repE0EEENS1_30default_config_static_selectorELNS0_4arch9wavefront6targetE0EEEvSK_.uses_vcc, 0
	.set _ZN7rocprim17ROCPRIM_400000_NS6detail17trampoline_kernelINS0_14default_configENS1_36segmented_radix_sort_config_selectorIhlEEZNS1_25segmented_radix_sort_implIS3_Lb1EPKhPhPKlPlN2at6native12_GLOBAL__N_18offset_tEEE10hipError_tPvRmT1_PNSt15iterator_traitsISK_E10value_typeET2_T3_PNSL_ISQ_E10value_typeET4_jRbjT5_SW_jjP12ihipStream_tbEUlT_E2_NS1_11comp_targetILNS1_3genE5ELNS1_11target_archE942ELNS1_3gpuE9ELNS1_3repE0EEENS1_30default_config_static_selectorELNS0_4arch9wavefront6targetE0EEEvSK_.uses_flat_scratch, 0
	.set _ZN7rocprim17ROCPRIM_400000_NS6detail17trampoline_kernelINS0_14default_configENS1_36segmented_radix_sort_config_selectorIhlEEZNS1_25segmented_radix_sort_implIS3_Lb1EPKhPhPKlPlN2at6native12_GLOBAL__N_18offset_tEEE10hipError_tPvRmT1_PNSt15iterator_traitsISK_E10value_typeET2_T3_PNSL_ISQ_E10value_typeET4_jRbjT5_SW_jjP12ihipStream_tbEUlT_E2_NS1_11comp_targetILNS1_3genE5ELNS1_11target_archE942ELNS1_3gpuE9ELNS1_3repE0EEENS1_30default_config_static_selectorELNS0_4arch9wavefront6targetE0EEEvSK_.has_dyn_sized_stack, 0
	.set _ZN7rocprim17ROCPRIM_400000_NS6detail17trampoline_kernelINS0_14default_configENS1_36segmented_radix_sort_config_selectorIhlEEZNS1_25segmented_radix_sort_implIS3_Lb1EPKhPhPKlPlN2at6native12_GLOBAL__N_18offset_tEEE10hipError_tPvRmT1_PNSt15iterator_traitsISK_E10value_typeET2_T3_PNSL_ISQ_E10value_typeET4_jRbjT5_SW_jjP12ihipStream_tbEUlT_E2_NS1_11comp_targetILNS1_3genE5ELNS1_11target_archE942ELNS1_3gpuE9ELNS1_3repE0EEENS1_30default_config_static_selectorELNS0_4arch9wavefront6targetE0EEEvSK_.has_recursion, 0
	.set _ZN7rocprim17ROCPRIM_400000_NS6detail17trampoline_kernelINS0_14default_configENS1_36segmented_radix_sort_config_selectorIhlEEZNS1_25segmented_radix_sort_implIS3_Lb1EPKhPhPKlPlN2at6native12_GLOBAL__N_18offset_tEEE10hipError_tPvRmT1_PNSt15iterator_traitsISK_E10value_typeET2_T3_PNSL_ISQ_E10value_typeET4_jRbjT5_SW_jjP12ihipStream_tbEUlT_E2_NS1_11comp_targetILNS1_3genE5ELNS1_11target_archE942ELNS1_3gpuE9ELNS1_3repE0EEENS1_30default_config_static_selectorELNS0_4arch9wavefront6targetE0EEEvSK_.has_indirect_call, 0
	.section	.AMDGPU.csdata,"",@progbits
; Kernel info:
; codeLenInByte = 0
; TotalNumSgprs: 0
; NumVgprs: 0
; ScratchSize: 0
; MemoryBound: 0
; FloatMode: 240
; IeeeMode: 1
; LDSByteSize: 0 bytes/workgroup (compile time only)
; SGPRBlocks: 0
; VGPRBlocks: 0
; NumSGPRsForWavesPerEU: 1
; NumVGPRsForWavesPerEU: 1
; Occupancy: 16
; WaveLimiterHint : 0
; COMPUTE_PGM_RSRC2:SCRATCH_EN: 0
; COMPUTE_PGM_RSRC2:USER_SGPR: 2
; COMPUTE_PGM_RSRC2:TRAP_HANDLER: 0
; COMPUTE_PGM_RSRC2:TGID_X_EN: 1
; COMPUTE_PGM_RSRC2:TGID_Y_EN: 0
; COMPUTE_PGM_RSRC2:TGID_Z_EN: 0
; COMPUTE_PGM_RSRC2:TIDIG_COMP_CNT: 0
	.section	.text._ZN7rocprim17ROCPRIM_400000_NS6detail17trampoline_kernelINS0_14default_configENS1_36segmented_radix_sort_config_selectorIhlEEZNS1_25segmented_radix_sort_implIS3_Lb1EPKhPhPKlPlN2at6native12_GLOBAL__N_18offset_tEEE10hipError_tPvRmT1_PNSt15iterator_traitsISK_E10value_typeET2_T3_PNSL_ISQ_E10value_typeET4_jRbjT5_SW_jjP12ihipStream_tbEUlT_E2_NS1_11comp_targetILNS1_3genE4ELNS1_11target_archE910ELNS1_3gpuE8ELNS1_3repE0EEENS1_30default_config_static_selectorELNS0_4arch9wavefront6targetE0EEEvSK_,"axG",@progbits,_ZN7rocprim17ROCPRIM_400000_NS6detail17trampoline_kernelINS0_14default_configENS1_36segmented_radix_sort_config_selectorIhlEEZNS1_25segmented_radix_sort_implIS3_Lb1EPKhPhPKlPlN2at6native12_GLOBAL__N_18offset_tEEE10hipError_tPvRmT1_PNSt15iterator_traitsISK_E10value_typeET2_T3_PNSL_ISQ_E10value_typeET4_jRbjT5_SW_jjP12ihipStream_tbEUlT_E2_NS1_11comp_targetILNS1_3genE4ELNS1_11target_archE910ELNS1_3gpuE8ELNS1_3repE0EEENS1_30default_config_static_selectorELNS0_4arch9wavefront6targetE0EEEvSK_,comdat
	.globl	_ZN7rocprim17ROCPRIM_400000_NS6detail17trampoline_kernelINS0_14default_configENS1_36segmented_radix_sort_config_selectorIhlEEZNS1_25segmented_radix_sort_implIS3_Lb1EPKhPhPKlPlN2at6native12_GLOBAL__N_18offset_tEEE10hipError_tPvRmT1_PNSt15iterator_traitsISK_E10value_typeET2_T3_PNSL_ISQ_E10value_typeET4_jRbjT5_SW_jjP12ihipStream_tbEUlT_E2_NS1_11comp_targetILNS1_3genE4ELNS1_11target_archE910ELNS1_3gpuE8ELNS1_3repE0EEENS1_30default_config_static_selectorELNS0_4arch9wavefront6targetE0EEEvSK_ ; -- Begin function _ZN7rocprim17ROCPRIM_400000_NS6detail17trampoline_kernelINS0_14default_configENS1_36segmented_radix_sort_config_selectorIhlEEZNS1_25segmented_radix_sort_implIS3_Lb1EPKhPhPKlPlN2at6native12_GLOBAL__N_18offset_tEEE10hipError_tPvRmT1_PNSt15iterator_traitsISK_E10value_typeET2_T3_PNSL_ISQ_E10value_typeET4_jRbjT5_SW_jjP12ihipStream_tbEUlT_E2_NS1_11comp_targetILNS1_3genE4ELNS1_11target_archE910ELNS1_3gpuE8ELNS1_3repE0EEENS1_30default_config_static_selectorELNS0_4arch9wavefront6targetE0EEEvSK_
	.p2align	8
	.type	_ZN7rocprim17ROCPRIM_400000_NS6detail17trampoline_kernelINS0_14default_configENS1_36segmented_radix_sort_config_selectorIhlEEZNS1_25segmented_radix_sort_implIS3_Lb1EPKhPhPKlPlN2at6native12_GLOBAL__N_18offset_tEEE10hipError_tPvRmT1_PNSt15iterator_traitsISK_E10value_typeET2_T3_PNSL_ISQ_E10value_typeET4_jRbjT5_SW_jjP12ihipStream_tbEUlT_E2_NS1_11comp_targetILNS1_3genE4ELNS1_11target_archE910ELNS1_3gpuE8ELNS1_3repE0EEENS1_30default_config_static_selectorELNS0_4arch9wavefront6targetE0EEEvSK_,@function
_ZN7rocprim17ROCPRIM_400000_NS6detail17trampoline_kernelINS0_14default_configENS1_36segmented_radix_sort_config_selectorIhlEEZNS1_25segmented_radix_sort_implIS3_Lb1EPKhPhPKlPlN2at6native12_GLOBAL__N_18offset_tEEE10hipError_tPvRmT1_PNSt15iterator_traitsISK_E10value_typeET2_T3_PNSL_ISQ_E10value_typeET4_jRbjT5_SW_jjP12ihipStream_tbEUlT_E2_NS1_11comp_targetILNS1_3genE4ELNS1_11target_archE910ELNS1_3gpuE8ELNS1_3repE0EEENS1_30default_config_static_selectorELNS0_4arch9wavefront6targetE0EEEvSK_: ; @_ZN7rocprim17ROCPRIM_400000_NS6detail17trampoline_kernelINS0_14default_configENS1_36segmented_radix_sort_config_selectorIhlEEZNS1_25segmented_radix_sort_implIS3_Lb1EPKhPhPKlPlN2at6native12_GLOBAL__N_18offset_tEEE10hipError_tPvRmT1_PNSt15iterator_traitsISK_E10value_typeET2_T3_PNSL_ISQ_E10value_typeET4_jRbjT5_SW_jjP12ihipStream_tbEUlT_E2_NS1_11comp_targetILNS1_3genE4ELNS1_11target_archE910ELNS1_3gpuE8ELNS1_3repE0EEENS1_30default_config_static_selectorELNS0_4arch9wavefront6targetE0EEEvSK_
; %bb.0:
	.section	.rodata,"a",@progbits
	.p2align	6, 0x0
	.amdhsa_kernel _ZN7rocprim17ROCPRIM_400000_NS6detail17trampoline_kernelINS0_14default_configENS1_36segmented_radix_sort_config_selectorIhlEEZNS1_25segmented_radix_sort_implIS3_Lb1EPKhPhPKlPlN2at6native12_GLOBAL__N_18offset_tEEE10hipError_tPvRmT1_PNSt15iterator_traitsISK_E10value_typeET2_T3_PNSL_ISQ_E10value_typeET4_jRbjT5_SW_jjP12ihipStream_tbEUlT_E2_NS1_11comp_targetILNS1_3genE4ELNS1_11target_archE910ELNS1_3gpuE8ELNS1_3repE0EEENS1_30default_config_static_selectorELNS0_4arch9wavefront6targetE0EEEvSK_
		.amdhsa_group_segment_fixed_size 0
		.amdhsa_private_segment_fixed_size 0
		.amdhsa_kernarg_size 80
		.amdhsa_user_sgpr_count 2
		.amdhsa_user_sgpr_dispatch_ptr 0
		.amdhsa_user_sgpr_queue_ptr 0
		.amdhsa_user_sgpr_kernarg_segment_ptr 1
		.amdhsa_user_sgpr_dispatch_id 0
		.amdhsa_user_sgpr_private_segment_size 0
		.amdhsa_wavefront_size32 1
		.amdhsa_uses_dynamic_stack 0
		.amdhsa_enable_private_segment 0
		.amdhsa_system_sgpr_workgroup_id_x 1
		.amdhsa_system_sgpr_workgroup_id_y 0
		.amdhsa_system_sgpr_workgroup_id_z 0
		.amdhsa_system_sgpr_workgroup_info 0
		.amdhsa_system_vgpr_workitem_id 0
		.amdhsa_next_free_vgpr 1
		.amdhsa_next_free_sgpr 1
		.amdhsa_reserve_vcc 0
		.amdhsa_float_round_mode_32 0
		.amdhsa_float_round_mode_16_64 0
		.amdhsa_float_denorm_mode_32 3
		.amdhsa_float_denorm_mode_16_64 3
		.amdhsa_fp16_overflow 0
		.amdhsa_workgroup_processor_mode 1
		.amdhsa_memory_ordered 1
		.amdhsa_forward_progress 1
		.amdhsa_inst_pref_size 0
		.amdhsa_round_robin_scheduling 0
		.amdhsa_exception_fp_ieee_invalid_op 0
		.amdhsa_exception_fp_denorm_src 0
		.amdhsa_exception_fp_ieee_div_zero 0
		.amdhsa_exception_fp_ieee_overflow 0
		.amdhsa_exception_fp_ieee_underflow 0
		.amdhsa_exception_fp_ieee_inexact 0
		.amdhsa_exception_int_div_zero 0
	.end_amdhsa_kernel
	.section	.text._ZN7rocprim17ROCPRIM_400000_NS6detail17trampoline_kernelINS0_14default_configENS1_36segmented_radix_sort_config_selectorIhlEEZNS1_25segmented_radix_sort_implIS3_Lb1EPKhPhPKlPlN2at6native12_GLOBAL__N_18offset_tEEE10hipError_tPvRmT1_PNSt15iterator_traitsISK_E10value_typeET2_T3_PNSL_ISQ_E10value_typeET4_jRbjT5_SW_jjP12ihipStream_tbEUlT_E2_NS1_11comp_targetILNS1_3genE4ELNS1_11target_archE910ELNS1_3gpuE8ELNS1_3repE0EEENS1_30default_config_static_selectorELNS0_4arch9wavefront6targetE0EEEvSK_,"axG",@progbits,_ZN7rocprim17ROCPRIM_400000_NS6detail17trampoline_kernelINS0_14default_configENS1_36segmented_radix_sort_config_selectorIhlEEZNS1_25segmented_radix_sort_implIS3_Lb1EPKhPhPKlPlN2at6native12_GLOBAL__N_18offset_tEEE10hipError_tPvRmT1_PNSt15iterator_traitsISK_E10value_typeET2_T3_PNSL_ISQ_E10value_typeET4_jRbjT5_SW_jjP12ihipStream_tbEUlT_E2_NS1_11comp_targetILNS1_3genE4ELNS1_11target_archE910ELNS1_3gpuE8ELNS1_3repE0EEENS1_30default_config_static_selectorELNS0_4arch9wavefront6targetE0EEEvSK_,comdat
.Lfunc_end115:
	.size	_ZN7rocprim17ROCPRIM_400000_NS6detail17trampoline_kernelINS0_14default_configENS1_36segmented_radix_sort_config_selectorIhlEEZNS1_25segmented_radix_sort_implIS3_Lb1EPKhPhPKlPlN2at6native12_GLOBAL__N_18offset_tEEE10hipError_tPvRmT1_PNSt15iterator_traitsISK_E10value_typeET2_T3_PNSL_ISQ_E10value_typeET4_jRbjT5_SW_jjP12ihipStream_tbEUlT_E2_NS1_11comp_targetILNS1_3genE4ELNS1_11target_archE910ELNS1_3gpuE8ELNS1_3repE0EEENS1_30default_config_static_selectorELNS0_4arch9wavefront6targetE0EEEvSK_, .Lfunc_end115-_ZN7rocprim17ROCPRIM_400000_NS6detail17trampoline_kernelINS0_14default_configENS1_36segmented_radix_sort_config_selectorIhlEEZNS1_25segmented_radix_sort_implIS3_Lb1EPKhPhPKlPlN2at6native12_GLOBAL__N_18offset_tEEE10hipError_tPvRmT1_PNSt15iterator_traitsISK_E10value_typeET2_T3_PNSL_ISQ_E10value_typeET4_jRbjT5_SW_jjP12ihipStream_tbEUlT_E2_NS1_11comp_targetILNS1_3genE4ELNS1_11target_archE910ELNS1_3gpuE8ELNS1_3repE0EEENS1_30default_config_static_selectorELNS0_4arch9wavefront6targetE0EEEvSK_
                                        ; -- End function
	.set _ZN7rocprim17ROCPRIM_400000_NS6detail17trampoline_kernelINS0_14default_configENS1_36segmented_radix_sort_config_selectorIhlEEZNS1_25segmented_radix_sort_implIS3_Lb1EPKhPhPKlPlN2at6native12_GLOBAL__N_18offset_tEEE10hipError_tPvRmT1_PNSt15iterator_traitsISK_E10value_typeET2_T3_PNSL_ISQ_E10value_typeET4_jRbjT5_SW_jjP12ihipStream_tbEUlT_E2_NS1_11comp_targetILNS1_3genE4ELNS1_11target_archE910ELNS1_3gpuE8ELNS1_3repE0EEENS1_30default_config_static_selectorELNS0_4arch9wavefront6targetE0EEEvSK_.num_vgpr, 0
	.set _ZN7rocprim17ROCPRIM_400000_NS6detail17trampoline_kernelINS0_14default_configENS1_36segmented_radix_sort_config_selectorIhlEEZNS1_25segmented_radix_sort_implIS3_Lb1EPKhPhPKlPlN2at6native12_GLOBAL__N_18offset_tEEE10hipError_tPvRmT1_PNSt15iterator_traitsISK_E10value_typeET2_T3_PNSL_ISQ_E10value_typeET4_jRbjT5_SW_jjP12ihipStream_tbEUlT_E2_NS1_11comp_targetILNS1_3genE4ELNS1_11target_archE910ELNS1_3gpuE8ELNS1_3repE0EEENS1_30default_config_static_selectorELNS0_4arch9wavefront6targetE0EEEvSK_.num_agpr, 0
	.set _ZN7rocprim17ROCPRIM_400000_NS6detail17trampoline_kernelINS0_14default_configENS1_36segmented_radix_sort_config_selectorIhlEEZNS1_25segmented_radix_sort_implIS3_Lb1EPKhPhPKlPlN2at6native12_GLOBAL__N_18offset_tEEE10hipError_tPvRmT1_PNSt15iterator_traitsISK_E10value_typeET2_T3_PNSL_ISQ_E10value_typeET4_jRbjT5_SW_jjP12ihipStream_tbEUlT_E2_NS1_11comp_targetILNS1_3genE4ELNS1_11target_archE910ELNS1_3gpuE8ELNS1_3repE0EEENS1_30default_config_static_selectorELNS0_4arch9wavefront6targetE0EEEvSK_.numbered_sgpr, 0
	.set _ZN7rocprim17ROCPRIM_400000_NS6detail17trampoline_kernelINS0_14default_configENS1_36segmented_radix_sort_config_selectorIhlEEZNS1_25segmented_radix_sort_implIS3_Lb1EPKhPhPKlPlN2at6native12_GLOBAL__N_18offset_tEEE10hipError_tPvRmT1_PNSt15iterator_traitsISK_E10value_typeET2_T3_PNSL_ISQ_E10value_typeET4_jRbjT5_SW_jjP12ihipStream_tbEUlT_E2_NS1_11comp_targetILNS1_3genE4ELNS1_11target_archE910ELNS1_3gpuE8ELNS1_3repE0EEENS1_30default_config_static_selectorELNS0_4arch9wavefront6targetE0EEEvSK_.num_named_barrier, 0
	.set _ZN7rocprim17ROCPRIM_400000_NS6detail17trampoline_kernelINS0_14default_configENS1_36segmented_radix_sort_config_selectorIhlEEZNS1_25segmented_radix_sort_implIS3_Lb1EPKhPhPKlPlN2at6native12_GLOBAL__N_18offset_tEEE10hipError_tPvRmT1_PNSt15iterator_traitsISK_E10value_typeET2_T3_PNSL_ISQ_E10value_typeET4_jRbjT5_SW_jjP12ihipStream_tbEUlT_E2_NS1_11comp_targetILNS1_3genE4ELNS1_11target_archE910ELNS1_3gpuE8ELNS1_3repE0EEENS1_30default_config_static_selectorELNS0_4arch9wavefront6targetE0EEEvSK_.private_seg_size, 0
	.set _ZN7rocprim17ROCPRIM_400000_NS6detail17trampoline_kernelINS0_14default_configENS1_36segmented_radix_sort_config_selectorIhlEEZNS1_25segmented_radix_sort_implIS3_Lb1EPKhPhPKlPlN2at6native12_GLOBAL__N_18offset_tEEE10hipError_tPvRmT1_PNSt15iterator_traitsISK_E10value_typeET2_T3_PNSL_ISQ_E10value_typeET4_jRbjT5_SW_jjP12ihipStream_tbEUlT_E2_NS1_11comp_targetILNS1_3genE4ELNS1_11target_archE910ELNS1_3gpuE8ELNS1_3repE0EEENS1_30default_config_static_selectorELNS0_4arch9wavefront6targetE0EEEvSK_.uses_vcc, 0
	.set _ZN7rocprim17ROCPRIM_400000_NS6detail17trampoline_kernelINS0_14default_configENS1_36segmented_radix_sort_config_selectorIhlEEZNS1_25segmented_radix_sort_implIS3_Lb1EPKhPhPKlPlN2at6native12_GLOBAL__N_18offset_tEEE10hipError_tPvRmT1_PNSt15iterator_traitsISK_E10value_typeET2_T3_PNSL_ISQ_E10value_typeET4_jRbjT5_SW_jjP12ihipStream_tbEUlT_E2_NS1_11comp_targetILNS1_3genE4ELNS1_11target_archE910ELNS1_3gpuE8ELNS1_3repE0EEENS1_30default_config_static_selectorELNS0_4arch9wavefront6targetE0EEEvSK_.uses_flat_scratch, 0
	.set _ZN7rocprim17ROCPRIM_400000_NS6detail17trampoline_kernelINS0_14default_configENS1_36segmented_radix_sort_config_selectorIhlEEZNS1_25segmented_radix_sort_implIS3_Lb1EPKhPhPKlPlN2at6native12_GLOBAL__N_18offset_tEEE10hipError_tPvRmT1_PNSt15iterator_traitsISK_E10value_typeET2_T3_PNSL_ISQ_E10value_typeET4_jRbjT5_SW_jjP12ihipStream_tbEUlT_E2_NS1_11comp_targetILNS1_3genE4ELNS1_11target_archE910ELNS1_3gpuE8ELNS1_3repE0EEENS1_30default_config_static_selectorELNS0_4arch9wavefront6targetE0EEEvSK_.has_dyn_sized_stack, 0
	.set _ZN7rocprim17ROCPRIM_400000_NS6detail17trampoline_kernelINS0_14default_configENS1_36segmented_radix_sort_config_selectorIhlEEZNS1_25segmented_radix_sort_implIS3_Lb1EPKhPhPKlPlN2at6native12_GLOBAL__N_18offset_tEEE10hipError_tPvRmT1_PNSt15iterator_traitsISK_E10value_typeET2_T3_PNSL_ISQ_E10value_typeET4_jRbjT5_SW_jjP12ihipStream_tbEUlT_E2_NS1_11comp_targetILNS1_3genE4ELNS1_11target_archE910ELNS1_3gpuE8ELNS1_3repE0EEENS1_30default_config_static_selectorELNS0_4arch9wavefront6targetE0EEEvSK_.has_recursion, 0
	.set _ZN7rocprim17ROCPRIM_400000_NS6detail17trampoline_kernelINS0_14default_configENS1_36segmented_radix_sort_config_selectorIhlEEZNS1_25segmented_radix_sort_implIS3_Lb1EPKhPhPKlPlN2at6native12_GLOBAL__N_18offset_tEEE10hipError_tPvRmT1_PNSt15iterator_traitsISK_E10value_typeET2_T3_PNSL_ISQ_E10value_typeET4_jRbjT5_SW_jjP12ihipStream_tbEUlT_E2_NS1_11comp_targetILNS1_3genE4ELNS1_11target_archE910ELNS1_3gpuE8ELNS1_3repE0EEENS1_30default_config_static_selectorELNS0_4arch9wavefront6targetE0EEEvSK_.has_indirect_call, 0
	.section	.AMDGPU.csdata,"",@progbits
; Kernel info:
; codeLenInByte = 0
; TotalNumSgprs: 0
; NumVgprs: 0
; ScratchSize: 0
; MemoryBound: 0
; FloatMode: 240
; IeeeMode: 1
; LDSByteSize: 0 bytes/workgroup (compile time only)
; SGPRBlocks: 0
; VGPRBlocks: 0
; NumSGPRsForWavesPerEU: 1
; NumVGPRsForWavesPerEU: 1
; Occupancy: 16
; WaveLimiterHint : 0
; COMPUTE_PGM_RSRC2:SCRATCH_EN: 0
; COMPUTE_PGM_RSRC2:USER_SGPR: 2
; COMPUTE_PGM_RSRC2:TRAP_HANDLER: 0
; COMPUTE_PGM_RSRC2:TGID_X_EN: 1
; COMPUTE_PGM_RSRC2:TGID_Y_EN: 0
; COMPUTE_PGM_RSRC2:TGID_Z_EN: 0
; COMPUTE_PGM_RSRC2:TIDIG_COMP_CNT: 0
	.section	.text._ZN7rocprim17ROCPRIM_400000_NS6detail17trampoline_kernelINS0_14default_configENS1_36segmented_radix_sort_config_selectorIhlEEZNS1_25segmented_radix_sort_implIS3_Lb1EPKhPhPKlPlN2at6native12_GLOBAL__N_18offset_tEEE10hipError_tPvRmT1_PNSt15iterator_traitsISK_E10value_typeET2_T3_PNSL_ISQ_E10value_typeET4_jRbjT5_SW_jjP12ihipStream_tbEUlT_E2_NS1_11comp_targetILNS1_3genE3ELNS1_11target_archE908ELNS1_3gpuE7ELNS1_3repE0EEENS1_30default_config_static_selectorELNS0_4arch9wavefront6targetE0EEEvSK_,"axG",@progbits,_ZN7rocprim17ROCPRIM_400000_NS6detail17trampoline_kernelINS0_14default_configENS1_36segmented_radix_sort_config_selectorIhlEEZNS1_25segmented_radix_sort_implIS3_Lb1EPKhPhPKlPlN2at6native12_GLOBAL__N_18offset_tEEE10hipError_tPvRmT1_PNSt15iterator_traitsISK_E10value_typeET2_T3_PNSL_ISQ_E10value_typeET4_jRbjT5_SW_jjP12ihipStream_tbEUlT_E2_NS1_11comp_targetILNS1_3genE3ELNS1_11target_archE908ELNS1_3gpuE7ELNS1_3repE0EEENS1_30default_config_static_selectorELNS0_4arch9wavefront6targetE0EEEvSK_,comdat
	.globl	_ZN7rocprim17ROCPRIM_400000_NS6detail17trampoline_kernelINS0_14default_configENS1_36segmented_radix_sort_config_selectorIhlEEZNS1_25segmented_radix_sort_implIS3_Lb1EPKhPhPKlPlN2at6native12_GLOBAL__N_18offset_tEEE10hipError_tPvRmT1_PNSt15iterator_traitsISK_E10value_typeET2_T3_PNSL_ISQ_E10value_typeET4_jRbjT5_SW_jjP12ihipStream_tbEUlT_E2_NS1_11comp_targetILNS1_3genE3ELNS1_11target_archE908ELNS1_3gpuE7ELNS1_3repE0EEENS1_30default_config_static_selectorELNS0_4arch9wavefront6targetE0EEEvSK_ ; -- Begin function _ZN7rocprim17ROCPRIM_400000_NS6detail17trampoline_kernelINS0_14default_configENS1_36segmented_radix_sort_config_selectorIhlEEZNS1_25segmented_radix_sort_implIS3_Lb1EPKhPhPKlPlN2at6native12_GLOBAL__N_18offset_tEEE10hipError_tPvRmT1_PNSt15iterator_traitsISK_E10value_typeET2_T3_PNSL_ISQ_E10value_typeET4_jRbjT5_SW_jjP12ihipStream_tbEUlT_E2_NS1_11comp_targetILNS1_3genE3ELNS1_11target_archE908ELNS1_3gpuE7ELNS1_3repE0EEENS1_30default_config_static_selectorELNS0_4arch9wavefront6targetE0EEEvSK_
	.p2align	8
	.type	_ZN7rocprim17ROCPRIM_400000_NS6detail17trampoline_kernelINS0_14default_configENS1_36segmented_radix_sort_config_selectorIhlEEZNS1_25segmented_radix_sort_implIS3_Lb1EPKhPhPKlPlN2at6native12_GLOBAL__N_18offset_tEEE10hipError_tPvRmT1_PNSt15iterator_traitsISK_E10value_typeET2_T3_PNSL_ISQ_E10value_typeET4_jRbjT5_SW_jjP12ihipStream_tbEUlT_E2_NS1_11comp_targetILNS1_3genE3ELNS1_11target_archE908ELNS1_3gpuE7ELNS1_3repE0EEENS1_30default_config_static_selectorELNS0_4arch9wavefront6targetE0EEEvSK_,@function
_ZN7rocprim17ROCPRIM_400000_NS6detail17trampoline_kernelINS0_14default_configENS1_36segmented_radix_sort_config_selectorIhlEEZNS1_25segmented_radix_sort_implIS3_Lb1EPKhPhPKlPlN2at6native12_GLOBAL__N_18offset_tEEE10hipError_tPvRmT1_PNSt15iterator_traitsISK_E10value_typeET2_T3_PNSL_ISQ_E10value_typeET4_jRbjT5_SW_jjP12ihipStream_tbEUlT_E2_NS1_11comp_targetILNS1_3genE3ELNS1_11target_archE908ELNS1_3gpuE7ELNS1_3repE0EEENS1_30default_config_static_selectorELNS0_4arch9wavefront6targetE0EEEvSK_: ; @_ZN7rocprim17ROCPRIM_400000_NS6detail17trampoline_kernelINS0_14default_configENS1_36segmented_radix_sort_config_selectorIhlEEZNS1_25segmented_radix_sort_implIS3_Lb1EPKhPhPKlPlN2at6native12_GLOBAL__N_18offset_tEEE10hipError_tPvRmT1_PNSt15iterator_traitsISK_E10value_typeET2_T3_PNSL_ISQ_E10value_typeET4_jRbjT5_SW_jjP12ihipStream_tbEUlT_E2_NS1_11comp_targetILNS1_3genE3ELNS1_11target_archE908ELNS1_3gpuE7ELNS1_3repE0EEENS1_30default_config_static_selectorELNS0_4arch9wavefront6targetE0EEEvSK_
; %bb.0:
	.section	.rodata,"a",@progbits
	.p2align	6, 0x0
	.amdhsa_kernel _ZN7rocprim17ROCPRIM_400000_NS6detail17trampoline_kernelINS0_14default_configENS1_36segmented_radix_sort_config_selectorIhlEEZNS1_25segmented_radix_sort_implIS3_Lb1EPKhPhPKlPlN2at6native12_GLOBAL__N_18offset_tEEE10hipError_tPvRmT1_PNSt15iterator_traitsISK_E10value_typeET2_T3_PNSL_ISQ_E10value_typeET4_jRbjT5_SW_jjP12ihipStream_tbEUlT_E2_NS1_11comp_targetILNS1_3genE3ELNS1_11target_archE908ELNS1_3gpuE7ELNS1_3repE0EEENS1_30default_config_static_selectorELNS0_4arch9wavefront6targetE0EEEvSK_
		.amdhsa_group_segment_fixed_size 0
		.amdhsa_private_segment_fixed_size 0
		.amdhsa_kernarg_size 80
		.amdhsa_user_sgpr_count 2
		.amdhsa_user_sgpr_dispatch_ptr 0
		.amdhsa_user_sgpr_queue_ptr 0
		.amdhsa_user_sgpr_kernarg_segment_ptr 1
		.amdhsa_user_sgpr_dispatch_id 0
		.amdhsa_user_sgpr_private_segment_size 0
		.amdhsa_wavefront_size32 1
		.amdhsa_uses_dynamic_stack 0
		.amdhsa_enable_private_segment 0
		.amdhsa_system_sgpr_workgroup_id_x 1
		.amdhsa_system_sgpr_workgroup_id_y 0
		.amdhsa_system_sgpr_workgroup_id_z 0
		.amdhsa_system_sgpr_workgroup_info 0
		.amdhsa_system_vgpr_workitem_id 0
		.amdhsa_next_free_vgpr 1
		.amdhsa_next_free_sgpr 1
		.amdhsa_reserve_vcc 0
		.amdhsa_float_round_mode_32 0
		.amdhsa_float_round_mode_16_64 0
		.amdhsa_float_denorm_mode_32 3
		.amdhsa_float_denorm_mode_16_64 3
		.amdhsa_fp16_overflow 0
		.amdhsa_workgroup_processor_mode 1
		.amdhsa_memory_ordered 1
		.amdhsa_forward_progress 1
		.amdhsa_inst_pref_size 0
		.amdhsa_round_robin_scheduling 0
		.amdhsa_exception_fp_ieee_invalid_op 0
		.amdhsa_exception_fp_denorm_src 0
		.amdhsa_exception_fp_ieee_div_zero 0
		.amdhsa_exception_fp_ieee_overflow 0
		.amdhsa_exception_fp_ieee_underflow 0
		.amdhsa_exception_fp_ieee_inexact 0
		.amdhsa_exception_int_div_zero 0
	.end_amdhsa_kernel
	.section	.text._ZN7rocprim17ROCPRIM_400000_NS6detail17trampoline_kernelINS0_14default_configENS1_36segmented_radix_sort_config_selectorIhlEEZNS1_25segmented_radix_sort_implIS3_Lb1EPKhPhPKlPlN2at6native12_GLOBAL__N_18offset_tEEE10hipError_tPvRmT1_PNSt15iterator_traitsISK_E10value_typeET2_T3_PNSL_ISQ_E10value_typeET4_jRbjT5_SW_jjP12ihipStream_tbEUlT_E2_NS1_11comp_targetILNS1_3genE3ELNS1_11target_archE908ELNS1_3gpuE7ELNS1_3repE0EEENS1_30default_config_static_selectorELNS0_4arch9wavefront6targetE0EEEvSK_,"axG",@progbits,_ZN7rocprim17ROCPRIM_400000_NS6detail17trampoline_kernelINS0_14default_configENS1_36segmented_radix_sort_config_selectorIhlEEZNS1_25segmented_radix_sort_implIS3_Lb1EPKhPhPKlPlN2at6native12_GLOBAL__N_18offset_tEEE10hipError_tPvRmT1_PNSt15iterator_traitsISK_E10value_typeET2_T3_PNSL_ISQ_E10value_typeET4_jRbjT5_SW_jjP12ihipStream_tbEUlT_E2_NS1_11comp_targetILNS1_3genE3ELNS1_11target_archE908ELNS1_3gpuE7ELNS1_3repE0EEENS1_30default_config_static_selectorELNS0_4arch9wavefront6targetE0EEEvSK_,comdat
.Lfunc_end116:
	.size	_ZN7rocprim17ROCPRIM_400000_NS6detail17trampoline_kernelINS0_14default_configENS1_36segmented_radix_sort_config_selectorIhlEEZNS1_25segmented_radix_sort_implIS3_Lb1EPKhPhPKlPlN2at6native12_GLOBAL__N_18offset_tEEE10hipError_tPvRmT1_PNSt15iterator_traitsISK_E10value_typeET2_T3_PNSL_ISQ_E10value_typeET4_jRbjT5_SW_jjP12ihipStream_tbEUlT_E2_NS1_11comp_targetILNS1_3genE3ELNS1_11target_archE908ELNS1_3gpuE7ELNS1_3repE0EEENS1_30default_config_static_selectorELNS0_4arch9wavefront6targetE0EEEvSK_, .Lfunc_end116-_ZN7rocprim17ROCPRIM_400000_NS6detail17trampoline_kernelINS0_14default_configENS1_36segmented_radix_sort_config_selectorIhlEEZNS1_25segmented_radix_sort_implIS3_Lb1EPKhPhPKlPlN2at6native12_GLOBAL__N_18offset_tEEE10hipError_tPvRmT1_PNSt15iterator_traitsISK_E10value_typeET2_T3_PNSL_ISQ_E10value_typeET4_jRbjT5_SW_jjP12ihipStream_tbEUlT_E2_NS1_11comp_targetILNS1_3genE3ELNS1_11target_archE908ELNS1_3gpuE7ELNS1_3repE0EEENS1_30default_config_static_selectorELNS0_4arch9wavefront6targetE0EEEvSK_
                                        ; -- End function
	.set _ZN7rocprim17ROCPRIM_400000_NS6detail17trampoline_kernelINS0_14default_configENS1_36segmented_radix_sort_config_selectorIhlEEZNS1_25segmented_radix_sort_implIS3_Lb1EPKhPhPKlPlN2at6native12_GLOBAL__N_18offset_tEEE10hipError_tPvRmT1_PNSt15iterator_traitsISK_E10value_typeET2_T3_PNSL_ISQ_E10value_typeET4_jRbjT5_SW_jjP12ihipStream_tbEUlT_E2_NS1_11comp_targetILNS1_3genE3ELNS1_11target_archE908ELNS1_3gpuE7ELNS1_3repE0EEENS1_30default_config_static_selectorELNS0_4arch9wavefront6targetE0EEEvSK_.num_vgpr, 0
	.set _ZN7rocprim17ROCPRIM_400000_NS6detail17trampoline_kernelINS0_14default_configENS1_36segmented_radix_sort_config_selectorIhlEEZNS1_25segmented_radix_sort_implIS3_Lb1EPKhPhPKlPlN2at6native12_GLOBAL__N_18offset_tEEE10hipError_tPvRmT1_PNSt15iterator_traitsISK_E10value_typeET2_T3_PNSL_ISQ_E10value_typeET4_jRbjT5_SW_jjP12ihipStream_tbEUlT_E2_NS1_11comp_targetILNS1_3genE3ELNS1_11target_archE908ELNS1_3gpuE7ELNS1_3repE0EEENS1_30default_config_static_selectorELNS0_4arch9wavefront6targetE0EEEvSK_.num_agpr, 0
	.set _ZN7rocprim17ROCPRIM_400000_NS6detail17trampoline_kernelINS0_14default_configENS1_36segmented_radix_sort_config_selectorIhlEEZNS1_25segmented_radix_sort_implIS3_Lb1EPKhPhPKlPlN2at6native12_GLOBAL__N_18offset_tEEE10hipError_tPvRmT1_PNSt15iterator_traitsISK_E10value_typeET2_T3_PNSL_ISQ_E10value_typeET4_jRbjT5_SW_jjP12ihipStream_tbEUlT_E2_NS1_11comp_targetILNS1_3genE3ELNS1_11target_archE908ELNS1_3gpuE7ELNS1_3repE0EEENS1_30default_config_static_selectorELNS0_4arch9wavefront6targetE0EEEvSK_.numbered_sgpr, 0
	.set _ZN7rocprim17ROCPRIM_400000_NS6detail17trampoline_kernelINS0_14default_configENS1_36segmented_radix_sort_config_selectorIhlEEZNS1_25segmented_radix_sort_implIS3_Lb1EPKhPhPKlPlN2at6native12_GLOBAL__N_18offset_tEEE10hipError_tPvRmT1_PNSt15iterator_traitsISK_E10value_typeET2_T3_PNSL_ISQ_E10value_typeET4_jRbjT5_SW_jjP12ihipStream_tbEUlT_E2_NS1_11comp_targetILNS1_3genE3ELNS1_11target_archE908ELNS1_3gpuE7ELNS1_3repE0EEENS1_30default_config_static_selectorELNS0_4arch9wavefront6targetE0EEEvSK_.num_named_barrier, 0
	.set _ZN7rocprim17ROCPRIM_400000_NS6detail17trampoline_kernelINS0_14default_configENS1_36segmented_radix_sort_config_selectorIhlEEZNS1_25segmented_radix_sort_implIS3_Lb1EPKhPhPKlPlN2at6native12_GLOBAL__N_18offset_tEEE10hipError_tPvRmT1_PNSt15iterator_traitsISK_E10value_typeET2_T3_PNSL_ISQ_E10value_typeET4_jRbjT5_SW_jjP12ihipStream_tbEUlT_E2_NS1_11comp_targetILNS1_3genE3ELNS1_11target_archE908ELNS1_3gpuE7ELNS1_3repE0EEENS1_30default_config_static_selectorELNS0_4arch9wavefront6targetE0EEEvSK_.private_seg_size, 0
	.set _ZN7rocprim17ROCPRIM_400000_NS6detail17trampoline_kernelINS0_14default_configENS1_36segmented_radix_sort_config_selectorIhlEEZNS1_25segmented_radix_sort_implIS3_Lb1EPKhPhPKlPlN2at6native12_GLOBAL__N_18offset_tEEE10hipError_tPvRmT1_PNSt15iterator_traitsISK_E10value_typeET2_T3_PNSL_ISQ_E10value_typeET4_jRbjT5_SW_jjP12ihipStream_tbEUlT_E2_NS1_11comp_targetILNS1_3genE3ELNS1_11target_archE908ELNS1_3gpuE7ELNS1_3repE0EEENS1_30default_config_static_selectorELNS0_4arch9wavefront6targetE0EEEvSK_.uses_vcc, 0
	.set _ZN7rocprim17ROCPRIM_400000_NS6detail17trampoline_kernelINS0_14default_configENS1_36segmented_radix_sort_config_selectorIhlEEZNS1_25segmented_radix_sort_implIS3_Lb1EPKhPhPKlPlN2at6native12_GLOBAL__N_18offset_tEEE10hipError_tPvRmT1_PNSt15iterator_traitsISK_E10value_typeET2_T3_PNSL_ISQ_E10value_typeET4_jRbjT5_SW_jjP12ihipStream_tbEUlT_E2_NS1_11comp_targetILNS1_3genE3ELNS1_11target_archE908ELNS1_3gpuE7ELNS1_3repE0EEENS1_30default_config_static_selectorELNS0_4arch9wavefront6targetE0EEEvSK_.uses_flat_scratch, 0
	.set _ZN7rocprim17ROCPRIM_400000_NS6detail17trampoline_kernelINS0_14default_configENS1_36segmented_radix_sort_config_selectorIhlEEZNS1_25segmented_radix_sort_implIS3_Lb1EPKhPhPKlPlN2at6native12_GLOBAL__N_18offset_tEEE10hipError_tPvRmT1_PNSt15iterator_traitsISK_E10value_typeET2_T3_PNSL_ISQ_E10value_typeET4_jRbjT5_SW_jjP12ihipStream_tbEUlT_E2_NS1_11comp_targetILNS1_3genE3ELNS1_11target_archE908ELNS1_3gpuE7ELNS1_3repE0EEENS1_30default_config_static_selectorELNS0_4arch9wavefront6targetE0EEEvSK_.has_dyn_sized_stack, 0
	.set _ZN7rocprim17ROCPRIM_400000_NS6detail17trampoline_kernelINS0_14default_configENS1_36segmented_radix_sort_config_selectorIhlEEZNS1_25segmented_radix_sort_implIS3_Lb1EPKhPhPKlPlN2at6native12_GLOBAL__N_18offset_tEEE10hipError_tPvRmT1_PNSt15iterator_traitsISK_E10value_typeET2_T3_PNSL_ISQ_E10value_typeET4_jRbjT5_SW_jjP12ihipStream_tbEUlT_E2_NS1_11comp_targetILNS1_3genE3ELNS1_11target_archE908ELNS1_3gpuE7ELNS1_3repE0EEENS1_30default_config_static_selectorELNS0_4arch9wavefront6targetE0EEEvSK_.has_recursion, 0
	.set _ZN7rocprim17ROCPRIM_400000_NS6detail17trampoline_kernelINS0_14default_configENS1_36segmented_radix_sort_config_selectorIhlEEZNS1_25segmented_radix_sort_implIS3_Lb1EPKhPhPKlPlN2at6native12_GLOBAL__N_18offset_tEEE10hipError_tPvRmT1_PNSt15iterator_traitsISK_E10value_typeET2_T3_PNSL_ISQ_E10value_typeET4_jRbjT5_SW_jjP12ihipStream_tbEUlT_E2_NS1_11comp_targetILNS1_3genE3ELNS1_11target_archE908ELNS1_3gpuE7ELNS1_3repE0EEENS1_30default_config_static_selectorELNS0_4arch9wavefront6targetE0EEEvSK_.has_indirect_call, 0
	.section	.AMDGPU.csdata,"",@progbits
; Kernel info:
; codeLenInByte = 0
; TotalNumSgprs: 0
; NumVgprs: 0
; ScratchSize: 0
; MemoryBound: 0
; FloatMode: 240
; IeeeMode: 1
; LDSByteSize: 0 bytes/workgroup (compile time only)
; SGPRBlocks: 0
; VGPRBlocks: 0
; NumSGPRsForWavesPerEU: 1
; NumVGPRsForWavesPerEU: 1
; Occupancy: 16
; WaveLimiterHint : 0
; COMPUTE_PGM_RSRC2:SCRATCH_EN: 0
; COMPUTE_PGM_RSRC2:USER_SGPR: 2
; COMPUTE_PGM_RSRC2:TRAP_HANDLER: 0
; COMPUTE_PGM_RSRC2:TGID_X_EN: 1
; COMPUTE_PGM_RSRC2:TGID_Y_EN: 0
; COMPUTE_PGM_RSRC2:TGID_Z_EN: 0
; COMPUTE_PGM_RSRC2:TIDIG_COMP_CNT: 0
	.section	.text._ZN7rocprim17ROCPRIM_400000_NS6detail17trampoline_kernelINS0_14default_configENS1_36segmented_radix_sort_config_selectorIhlEEZNS1_25segmented_radix_sort_implIS3_Lb1EPKhPhPKlPlN2at6native12_GLOBAL__N_18offset_tEEE10hipError_tPvRmT1_PNSt15iterator_traitsISK_E10value_typeET2_T3_PNSL_ISQ_E10value_typeET4_jRbjT5_SW_jjP12ihipStream_tbEUlT_E2_NS1_11comp_targetILNS1_3genE2ELNS1_11target_archE906ELNS1_3gpuE6ELNS1_3repE0EEENS1_30default_config_static_selectorELNS0_4arch9wavefront6targetE0EEEvSK_,"axG",@progbits,_ZN7rocprim17ROCPRIM_400000_NS6detail17trampoline_kernelINS0_14default_configENS1_36segmented_radix_sort_config_selectorIhlEEZNS1_25segmented_radix_sort_implIS3_Lb1EPKhPhPKlPlN2at6native12_GLOBAL__N_18offset_tEEE10hipError_tPvRmT1_PNSt15iterator_traitsISK_E10value_typeET2_T3_PNSL_ISQ_E10value_typeET4_jRbjT5_SW_jjP12ihipStream_tbEUlT_E2_NS1_11comp_targetILNS1_3genE2ELNS1_11target_archE906ELNS1_3gpuE6ELNS1_3repE0EEENS1_30default_config_static_selectorELNS0_4arch9wavefront6targetE0EEEvSK_,comdat
	.globl	_ZN7rocprim17ROCPRIM_400000_NS6detail17trampoline_kernelINS0_14default_configENS1_36segmented_radix_sort_config_selectorIhlEEZNS1_25segmented_radix_sort_implIS3_Lb1EPKhPhPKlPlN2at6native12_GLOBAL__N_18offset_tEEE10hipError_tPvRmT1_PNSt15iterator_traitsISK_E10value_typeET2_T3_PNSL_ISQ_E10value_typeET4_jRbjT5_SW_jjP12ihipStream_tbEUlT_E2_NS1_11comp_targetILNS1_3genE2ELNS1_11target_archE906ELNS1_3gpuE6ELNS1_3repE0EEENS1_30default_config_static_selectorELNS0_4arch9wavefront6targetE0EEEvSK_ ; -- Begin function _ZN7rocprim17ROCPRIM_400000_NS6detail17trampoline_kernelINS0_14default_configENS1_36segmented_radix_sort_config_selectorIhlEEZNS1_25segmented_radix_sort_implIS3_Lb1EPKhPhPKlPlN2at6native12_GLOBAL__N_18offset_tEEE10hipError_tPvRmT1_PNSt15iterator_traitsISK_E10value_typeET2_T3_PNSL_ISQ_E10value_typeET4_jRbjT5_SW_jjP12ihipStream_tbEUlT_E2_NS1_11comp_targetILNS1_3genE2ELNS1_11target_archE906ELNS1_3gpuE6ELNS1_3repE0EEENS1_30default_config_static_selectorELNS0_4arch9wavefront6targetE0EEEvSK_
	.p2align	8
	.type	_ZN7rocprim17ROCPRIM_400000_NS6detail17trampoline_kernelINS0_14default_configENS1_36segmented_radix_sort_config_selectorIhlEEZNS1_25segmented_radix_sort_implIS3_Lb1EPKhPhPKlPlN2at6native12_GLOBAL__N_18offset_tEEE10hipError_tPvRmT1_PNSt15iterator_traitsISK_E10value_typeET2_T3_PNSL_ISQ_E10value_typeET4_jRbjT5_SW_jjP12ihipStream_tbEUlT_E2_NS1_11comp_targetILNS1_3genE2ELNS1_11target_archE906ELNS1_3gpuE6ELNS1_3repE0EEENS1_30default_config_static_selectorELNS0_4arch9wavefront6targetE0EEEvSK_,@function
_ZN7rocprim17ROCPRIM_400000_NS6detail17trampoline_kernelINS0_14default_configENS1_36segmented_radix_sort_config_selectorIhlEEZNS1_25segmented_radix_sort_implIS3_Lb1EPKhPhPKlPlN2at6native12_GLOBAL__N_18offset_tEEE10hipError_tPvRmT1_PNSt15iterator_traitsISK_E10value_typeET2_T3_PNSL_ISQ_E10value_typeET4_jRbjT5_SW_jjP12ihipStream_tbEUlT_E2_NS1_11comp_targetILNS1_3genE2ELNS1_11target_archE906ELNS1_3gpuE6ELNS1_3repE0EEENS1_30default_config_static_selectorELNS0_4arch9wavefront6targetE0EEEvSK_: ; @_ZN7rocprim17ROCPRIM_400000_NS6detail17trampoline_kernelINS0_14default_configENS1_36segmented_radix_sort_config_selectorIhlEEZNS1_25segmented_radix_sort_implIS3_Lb1EPKhPhPKlPlN2at6native12_GLOBAL__N_18offset_tEEE10hipError_tPvRmT1_PNSt15iterator_traitsISK_E10value_typeET2_T3_PNSL_ISQ_E10value_typeET4_jRbjT5_SW_jjP12ihipStream_tbEUlT_E2_NS1_11comp_targetILNS1_3genE2ELNS1_11target_archE906ELNS1_3gpuE6ELNS1_3repE0EEENS1_30default_config_static_selectorELNS0_4arch9wavefront6targetE0EEEvSK_
; %bb.0:
	.section	.rodata,"a",@progbits
	.p2align	6, 0x0
	.amdhsa_kernel _ZN7rocprim17ROCPRIM_400000_NS6detail17trampoline_kernelINS0_14default_configENS1_36segmented_radix_sort_config_selectorIhlEEZNS1_25segmented_radix_sort_implIS3_Lb1EPKhPhPKlPlN2at6native12_GLOBAL__N_18offset_tEEE10hipError_tPvRmT1_PNSt15iterator_traitsISK_E10value_typeET2_T3_PNSL_ISQ_E10value_typeET4_jRbjT5_SW_jjP12ihipStream_tbEUlT_E2_NS1_11comp_targetILNS1_3genE2ELNS1_11target_archE906ELNS1_3gpuE6ELNS1_3repE0EEENS1_30default_config_static_selectorELNS0_4arch9wavefront6targetE0EEEvSK_
		.amdhsa_group_segment_fixed_size 0
		.amdhsa_private_segment_fixed_size 0
		.amdhsa_kernarg_size 80
		.amdhsa_user_sgpr_count 2
		.amdhsa_user_sgpr_dispatch_ptr 0
		.amdhsa_user_sgpr_queue_ptr 0
		.amdhsa_user_sgpr_kernarg_segment_ptr 1
		.amdhsa_user_sgpr_dispatch_id 0
		.amdhsa_user_sgpr_private_segment_size 0
		.amdhsa_wavefront_size32 1
		.amdhsa_uses_dynamic_stack 0
		.amdhsa_enable_private_segment 0
		.amdhsa_system_sgpr_workgroup_id_x 1
		.amdhsa_system_sgpr_workgroup_id_y 0
		.amdhsa_system_sgpr_workgroup_id_z 0
		.amdhsa_system_sgpr_workgroup_info 0
		.amdhsa_system_vgpr_workitem_id 0
		.amdhsa_next_free_vgpr 1
		.amdhsa_next_free_sgpr 1
		.amdhsa_reserve_vcc 0
		.amdhsa_float_round_mode_32 0
		.amdhsa_float_round_mode_16_64 0
		.amdhsa_float_denorm_mode_32 3
		.amdhsa_float_denorm_mode_16_64 3
		.amdhsa_fp16_overflow 0
		.amdhsa_workgroup_processor_mode 1
		.amdhsa_memory_ordered 1
		.amdhsa_forward_progress 1
		.amdhsa_inst_pref_size 0
		.amdhsa_round_robin_scheduling 0
		.amdhsa_exception_fp_ieee_invalid_op 0
		.amdhsa_exception_fp_denorm_src 0
		.amdhsa_exception_fp_ieee_div_zero 0
		.amdhsa_exception_fp_ieee_overflow 0
		.amdhsa_exception_fp_ieee_underflow 0
		.amdhsa_exception_fp_ieee_inexact 0
		.amdhsa_exception_int_div_zero 0
	.end_amdhsa_kernel
	.section	.text._ZN7rocprim17ROCPRIM_400000_NS6detail17trampoline_kernelINS0_14default_configENS1_36segmented_radix_sort_config_selectorIhlEEZNS1_25segmented_radix_sort_implIS3_Lb1EPKhPhPKlPlN2at6native12_GLOBAL__N_18offset_tEEE10hipError_tPvRmT1_PNSt15iterator_traitsISK_E10value_typeET2_T3_PNSL_ISQ_E10value_typeET4_jRbjT5_SW_jjP12ihipStream_tbEUlT_E2_NS1_11comp_targetILNS1_3genE2ELNS1_11target_archE906ELNS1_3gpuE6ELNS1_3repE0EEENS1_30default_config_static_selectorELNS0_4arch9wavefront6targetE0EEEvSK_,"axG",@progbits,_ZN7rocprim17ROCPRIM_400000_NS6detail17trampoline_kernelINS0_14default_configENS1_36segmented_radix_sort_config_selectorIhlEEZNS1_25segmented_radix_sort_implIS3_Lb1EPKhPhPKlPlN2at6native12_GLOBAL__N_18offset_tEEE10hipError_tPvRmT1_PNSt15iterator_traitsISK_E10value_typeET2_T3_PNSL_ISQ_E10value_typeET4_jRbjT5_SW_jjP12ihipStream_tbEUlT_E2_NS1_11comp_targetILNS1_3genE2ELNS1_11target_archE906ELNS1_3gpuE6ELNS1_3repE0EEENS1_30default_config_static_selectorELNS0_4arch9wavefront6targetE0EEEvSK_,comdat
.Lfunc_end117:
	.size	_ZN7rocprim17ROCPRIM_400000_NS6detail17trampoline_kernelINS0_14default_configENS1_36segmented_radix_sort_config_selectorIhlEEZNS1_25segmented_radix_sort_implIS3_Lb1EPKhPhPKlPlN2at6native12_GLOBAL__N_18offset_tEEE10hipError_tPvRmT1_PNSt15iterator_traitsISK_E10value_typeET2_T3_PNSL_ISQ_E10value_typeET4_jRbjT5_SW_jjP12ihipStream_tbEUlT_E2_NS1_11comp_targetILNS1_3genE2ELNS1_11target_archE906ELNS1_3gpuE6ELNS1_3repE0EEENS1_30default_config_static_selectorELNS0_4arch9wavefront6targetE0EEEvSK_, .Lfunc_end117-_ZN7rocprim17ROCPRIM_400000_NS6detail17trampoline_kernelINS0_14default_configENS1_36segmented_radix_sort_config_selectorIhlEEZNS1_25segmented_radix_sort_implIS3_Lb1EPKhPhPKlPlN2at6native12_GLOBAL__N_18offset_tEEE10hipError_tPvRmT1_PNSt15iterator_traitsISK_E10value_typeET2_T3_PNSL_ISQ_E10value_typeET4_jRbjT5_SW_jjP12ihipStream_tbEUlT_E2_NS1_11comp_targetILNS1_3genE2ELNS1_11target_archE906ELNS1_3gpuE6ELNS1_3repE0EEENS1_30default_config_static_selectorELNS0_4arch9wavefront6targetE0EEEvSK_
                                        ; -- End function
	.set _ZN7rocprim17ROCPRIM_400000_NS6detail17trampoline_kernelINS0_14default_configENS1_36segmented_radix_sort_config_selectorIhlEEZNS1_25segmented_radix_sort_implIS3_Lb1EPKhPhPKlPlN2at6native12_GLOBAL__N_18offset_tEEE10hipError_tPvRmT1_PNSt15iterator_traitsISK_E10value_typeET2_T3_PNSL_ISQ_E10value_typeET4_jRbjT5_SW_jjP12ihipStream_tbEUlT_E2_NS1_11comp_targetILNS1_3genE2ELNS1_11target_archE906ELNS1_3gpuE6ELNS1_3repE0EEENS1_30default_config_static_selectorELNS0_4arch9wavefront6targetE0EEEvSK_.num_vgpr, 0
	.set _ZN7rocprim17ROCPRIM_400000_NS6detail17trampoline_kernelINS0_14default_configENS1_36segmented_radix_sort_config_selectorIhlEEZNS1_25segmented_radix_sort_implIS3_Lb1EPKhPhPKlPlN2at6native12_GLOBAL__N_18offset_tEEE10hipError_tPvRmT1_PNSt15iterator_traitsISK_E10value_typeET2_T3_PNSL_ISQ_E10value_typeET4_jRbjT5_SW_jjP12ihipStream_tbEUlT_E2_NS1_11comp_targetILNS1_3genE2ELNS1_11target_archE906ELNS1_3gpuE6ELNS1_3repE0EEENS1_30default_config_static_selectorELNS0_4arch9wavefront6targetE0EEEvSK_.num_agpr, 0
	.set _ZN7rocprim17ROCPRIM_400000_NS6detail17trampoline_kernelINS0_14default_configENS1_36segmented_radix_sort_config_selectorIhlEEZNS1_25segmented_radix_sort_implIS3_Lb1EPKhPhPKlPlN2at6native12_GLOBAL__N_18offset_tEEE10hipError_tPvRmT1_PNSt15iterator_traitsISK_E10value_typeET2_T3_PNSL_ISQ_E10value_typeET4_jRbjT5_SW_jjP12ihipStream_tbEUlT_E2_NS1_11comp_targetILNS1_3genE2ELNS1_11target_archE906ELNS1_3gpuE6ELNS1_3repE0EEENS1_30default_config_static_selectorELNS0_4arch9wavefront6targetE0EEEvSK_.numbered_sgpr, 0
	.set _ZN7rocprim17ROCPRIM_400000_NS6detail17trampoline_kernelINS0_14default_configENS1_36segmented_radix_sort_config_selectorIhlEEZNS1_25segmented_radix_sort_implIS3_Lb1EPKhPhPKlPlN2at6native12_GLOBAL__N_18offset_tEEE10hipError_tPvRmT1_PNSt15iterator_traitsISK_E10value_typeET2_T3_PNSL_ISQ_E10value_typeET4_jRbjT5_SW_jjP12ihipStream_tbEUlT_E2_NS1_11comp_targetILNS1_3genE2ELNS1_11target_archE906ELNS1_3gpuE6ELNS1_3repE0EEENS1_30default_config_static_selectorELNS0_4arch9wavefront6targetE0EEEvSK_.num_named_barrier, 0
	.set _ZN7rocprim17ROCPRIM_400000_NS6detail17trampoline_kernelINS0_14default_configENS1_36segmented_radix_sort_config_selectorIhlEEZNS1_25segmented_radix_sort_implIS3_Lb1EPKhPhPKlPlN2at6native12_GLOBAL__N_18offset_tEEE10hipError_tPvRmT1_PNSt15iterator_traitsISK_E10value_typeET2_T3_PNSL_ISQ_E10value_typeET4_jRbjT5_SW_jjP12ihipStream_tbEUlT_E2_NS1_11comp_targetILNS1_3genE2ELNS1_11target_archE906ELNS1_3gpuE6ELNS1_3repE0EEENS1_30default_config_static_selectorELNS0_4arch9wavefront6targetE0EEEvSK_.private_seg_size, 0
	.set _ZN7rocprim17ROCPRIM_400000_NS6detail17trampoline_kernelINS0_14default_configENS1_36segmented_radix_sort_config_selectorIhlEEZNS1_25segmented_radix_sort_implIS3_Lb1EPKhPhPKlPlN2at6native12_GLOBAL__N_18offset_tEEE10hipError_tPvRmT1_PNSt15iterator_traitsISK_E10value_typeET2_T3_PNSL_ISQ_E10value_typeET4_jRbjT5_SW_jjP12ihipStream_tbEUlT_E2_NS1_11comp_targetILNS1_3genE2ELNS1_11target_archE906ELNS1_3gpuE6ELNS1_3repE0EEENS1_30default_config_static_selectorELNS0_4arch9wavefront6targetE0EEEvSK_.uses_vcc, 0
	.set _ZN7rocprim17ROCPRIM_400000_NS6detail17trampoline_kernelINS0_14default_configENS1_36segmented_radix_sort_config_selectorIhlEEZNS1_25segmented_radix_sort_implIS3_Lb1EPKhPhPKlPlN2at6native12_GLOBAL__N_18offset_tEEE10hipError_tPvRmT1_PNSt15iterator_traitsISK_E10value_typeET2_T3_PNSL_ISQ_E10value_typeET4_jRbjT5_SW_jjP12ihipStream_tbEUlT_E2_NS1_11comp_targetILNS1_3genE2ELNS1_11target_archE906ELNS1_3gpuE6ELNS1_3repE0EEENS1_30default_config_static_selectorELNS0_4arch9wavefront6targetE0EEEvSK_.uses_flat_scratch, 0
	.set _ZN7rocprim17ROCPRIM_400000_NS6detail17trampoline_kernelINS0_14default_configENS1_36segmented_radix_sort_config_selectorIhlEEZNS1_25segmented_radix_sort_implIS3_Lb1EPKhPhPKlPlN2at6native12_GLOBAL__N_18offset_tEEE10hipError_tPvRmT1_PNSt15iterator_traitsISK_E10value_typeET2_T3_PNSL_ISQ_E10value_typeET4_jRbjT5_SW_jjP12ihipStream_tbEUlT_E2_NS1_11comp_targetILNS1_3genE2ELNS1_11target_archE906ELNS1_3gpuE6ELNS1_3repE0EEENS1_30default_config_static_selectorELNS0_4arch9wavefront6targetE0EEEvSK_.has_dyn_sized_stack, 0
	.set _ZN7rocprim17ROCPRIM_400000_NS6detail17trampoline_kernelINS0_14default_configENS1_36segmented_radix_sort_config_selectorIhlEEZNS1_25segmented_radix_sort_implIS3_Lb1EPKhPhPKlPlN2at6native12_GLOBAL__N_18offset_tEEE10hipError_tPvRmT1_PNSt15iterator_traitsISK_E10value_typeET2_T3_PNSL_ISQ_E10value_typeET4_jRbjT5_SW_jjP12ihipStream_tbEUlT_E2_NS1_11comp_targetILNS1_3genE2ELNS1_11target_archE906ELNS1_3gpuE6ELNS1_3repE0EEENS1_30default_config_static_selectorELNS0_4arch9wavefront6targetE0EEEvSK_.has_recursion, 0
	.set _ZN7rocprim17ROCPRIM_400000_NS6detail17trampoline_kernelINS0_14default_configENS1_36segmented_radix_sort_config_selectorIhlEEZNS1_25segmented_radix_sort_implIS3_Lb1EPKhPhPKlPlN2at6native12_GLOBAL__N_18offset_tEEE10hipError_tPvRmT1_PNSt15iterator_traitsISK_E10value_typeET2_T3_PNSL_ISQ_E10value_typeET4_jRbjT5_SW_jjP12ihipStream_tbEUlT_E2_NS1_11comp_targetILNS1_3genE2ELNS1_11target_archE906ELNS1_3gpuE6ELNS1_3repE0EEENS1_30default_config_static_selectorELNS0_4arch9wavefront6targetE0EEEvSK_.has_indirect_call, 0
	.section	.AMDGPU.csdata,"",@progbits
; Kernel info:
; codeLenInByte = 0
; TotalNumSgprs: 0
; NumVgprs: 0
; ScratchSize: 0
; MemoryBound: 0
; FloatMode: 240
; IeeeMode: 1
; LDSByteSize: 0 bytes/workgroup (compile time only)
; SGPRBlocks: 0
; VGPRBlocks: 0
; NumSGPRsForWavesPerEU: 1
; NumVGPRsForWavesPerEU: 1
; Occupancy: 16
; WaveLimiterHint : 0
; COMPUTE_PGM_RSRC2:SCRATCH_EN: 0
; COMPUTE_PGM_RSRC2:USER_SGPR: 2
; COMPUTE_PGM_RSRC2:TRAP_HANDLER: 0
; COMPUTE_PGM_RSRC2:TGID_X_EN: 1
; COMPUTE_PGM_RSRC2:TGID_Y_EN: 0
; COMPUTE_PGM_RSRC2:TGID_Z_EN: 0
; COMPUTE_PGM_RSRC2:TIDIG_COMP_CNT: 0
	.section	.text._ZN7rocprim17ROCPRIM_400000_NS6detail17trampoline_kernelINS0_14default_configENS1_36segmented_radix_sort_config_selectorIhlEEZNS1_25segmented_radix_sort_implIS3_Lb1EPKhPhPKlPlN2at6native12_GLOBAL__N_18offset_tEEE10hipError_tPvRmT1_PNSt15iterator_traitsISK_E10value_typeET2_T3_PNSL_ISQ_E10value_typeET4_jRbjT5_SW_jjP12ihipStream_tbEUlT_E2_NS1_11comp_targetILNS1_3genE10ELNS1_11target_archE1201ELNS1_3gpuE5ELNS1_3repE0EEENS1_30default_config_static_selectorELNS0_4arch9wavefront6targetE0EEEvSK_,"axG",@progbits,_ZN7rocprim17ROCPRIM_400000_NS6detail17trampoline_kernelINS0_14default_configENS1_36segmented_radix_sort_config_selectorIhlEEZNS1_25segmented_radix_sort_implIS3_Lb1EPKhPhPKlPlN2at6native12_GLOBAL__N_18offset_tEEE10hipError_tPvRmT1_PNSt15iterator_traitsISK_E10value_typeET2_T3_PNSL_ISQ_E10value_typeET4_jRbjT5_SW_jjP12ihipStream_tbEUlT_E2_NS1_11comp_targetILNS1_3genE10ELNS1_11target_archE1201ELNS1_3gpuE5ELNS1_3repE0EEENS1_30default_config_static_selectorELNS0_4arch9wavefront6targetE0EEEvSK_,comdat
	.globl	_ZN7rocprim17ROCPRIM_400000_NS6detail17trampoline_kernelINS0_14default_configENS1_36segmented_radix_sort_config_selectorIhlEEZNS1_25segmented_radix_sort_implIS3_Lb1EPKhPhPKlPlN2at6native12_GLOBAL__N_18offset_tEEE10hipError_tPvRmT1_PNSt15iterator_traitsISK_E10value_typeET2_T3_PNSL_ISQ_E10value_typeET4_jRbjT5_SW_jjP12ihipStream_tbEUlT_E2_NS1_11comp_targetILNS1_3genE10ELNS1_11target_archE1201ELNS1_3gpuE5ELNS1_3repE0EEENS1_30default_config_static_selectorELNS0_4arch9wavefront6targetE0EEEvSK_ ; -- Begin function _ZN7rocprim17ROCPRIM_400000_NS6detail17trampoline_kernelINS0_14default_configENS1_36segmented_radix_sort_config_selectorIhlEEZNS1_25segmented_radix_sort_implIS3_Lb1EPKhPhPKlPlN2at6native12_GLOBAL__N_18offset_tEEE10hipError_tPvRmT1_PNSt15iterator_traitsISK_E10value_typeET2_T3_PNSL_ISQ_E10value_typeET4_jRbjT5_SW_jjP12ihipStream_tbEUlT_E2_NS1_11comp_targetILNS1_3genE10ELNS1_11target_archE1201ELNS1_3gpuE5ELNS1_3repE0EEENS1_30default_config_static_selectorELNS0_4arch9wavefront6targetE0EEEvSK_
	.p2align	8
	.type	_ZN7rocprim17ROCPRIM_400000_NS6detail17trampoline_kernelINS0_14default_configENS1_36segmented_radix_sort_config_selectorIhlEEZNS1_25segmented_radix_sort_implIS3_Lb1EPKhPhPKlPlN2at6native12_GLOBAL__N_18offset_tEEE10hipError_tPvRmT1_PNSt15iterator_traitsISK_E10value_typeET2_T3_PNSL_ISQ_E10value_typeET4_jRbjT5_SW_jjP12ihipStream_tbEUlT_E2_NS1_11comp_targetILNS1_3genE10ELNS1_11target_archE1201ELNS1_3gpuE5ELNS1_3repE0EEENS1_30default_config_static_selectorELNS0_4arch9wavefront6targetE0EEEvSK_,@function
_ZN7rocprim17ROCPRIM_400000_NS6detail17trampoline_kernelINS0_14default_configENS1_36segmented_radix_sort_config_selectorIhlEEZNS1_25segmented_radix_sort_implIS3_Lb1EPKhPhPKlPlN2at6native12_GLOBAL__N_18offset_tEEE10hipError_tPvRmT1_PNSt15iterator_traitsISK_E10value_typeET2_T3_PNSL_ISQ_E10value_typeET4_jRbjT5_SW_jjP12ihipStream_tbEUlT_E2_NS1_11comp_targetILNS1_3genE10ELNS1_11target_archE1201ELNS1_3gpuE5ELNS1_3repE0EEENS1_30default_config_static_selectorELNS0_4arch9wavefront6targetE0EEEvSK_: ; @_ZN7rocprim17ROCPRIM_400000_NS6detail17trampoline_kernelINS0_14default_configENS1_36segmented_radix_sort_config_selectorIhlEEZNS1_25segmented_radix_sort_implIS3_Lb1EPKhPhPKlPlN2at6native12_GLOBAL__N_18offset_tEEE10hipError_tPvRmT1_PNSt15iterator_traitsISK_E10value_typeET2_T3_PNSL_ISQ_E10value_typeET4_jRbjT5_SW_jjP12ihipStream_tbEUlT_E2_NS1_11comp_targetILNS1_3genE10ELNS1_11target_archE1201ELNS1_3gpuE5ELNS1_3repE0EEENS1_30default_config_static_selectorELNS0_4arch9wavefront6targetE0EEEvSK_
; %bb.0:
	s_load_b128 s[4:7], s[0:1], 0x34
	s_mov_b32 s32, 0
	s_wait_kmcnt 0x0
	s_add_co_i32 s33, s5, ttmp9
	s_add_co_i32 s34, s7, ttmp9
	s_mul_i32 s33, s33, s4
	s_mul_i32 s34, s34, s6
	s_delay_alu instid0(SALU_CYCLE_1)
	s_cmp_le_u32 s34, s33
	s_cbranch_scc1 .LBB118_678
; %bb.1:
	s_clause 0x3
	s_load_b32 s2, s[0:1], 0x30
	s_load_b128 s[24:27], s[0:1], 0x20
	s_load_b96 s[44:46], s[0:1], 0x44
	s_load_b256 s[36:43], s[0:1], 0x0
	s_wait_kmcnt 0x0
	s_bitcmp1_b32 s2, 0
	s_mov_b32 s2, -1
	s_cselect_b32 s35, -1, 0
	s_sub_co_i32 s47, s34, s33
	s_delay_alu instid0(SALU_CYCLE_1)
	s_cmp_lt_u32 s47, 0x801
	s_cbranch_scc0 .LBB118_15
; %bb.2:
	s_cmp_lt_u32 s47, 33
	s_cbranch_scc0 .LBB118_9
; %bb.3:
	s_load_b32 s2, s[0:1], 0x5c
	v_bfe_u32 v1, v0, 10, 10
	v_bfe_u32 v2, v0, 20, 10
	s_mov_b32 s16, exec_lo
	s_wait_kmcnt 0x0
	s_lshr_b32 s3, s2, 16
	s_and_b32 s2, s2, 0xffff
	v_mad_u32_u24 v2, v2, s3, v1
	v_and_b32_e32 v1, 0x3ff, v0
	s_delay_alu instid0(VALU_DEP_1) | instskip(NEXT) | instid1(VALU_DEP_1)
	v_mad_co_u64_u32 v[1:2], null, v2, s2, v[1:2]
	v_cmpx_gt_u32_e32 8, v1
	s_cbranch_execz .LBB118_8
; %bb.4:
	v_cndmask_b32_e64 v1, 0, 1, s35
	s_and_b32 s2, s44, 1
	s_wait_alu 0xfffe
	s_delay_alu instid0(VALU_DEP_1)
	v_cmp_ne_u32_e32 vcc_lo, s2, v1
	s_mov_b32 s2, -1
	s_cbranch_vccnz .LBB118_6
; %bb.5:
	s_mov_b64 s[2:3], src_shared_base
	v_dual_mov_b32 v31, v0 :: v_dual_mov_b32 v40, v0
	v_dual_mov_b32 v0, s36 :: v_dual_mov_b32 v1, s37
	;; [unrolled: 1-line block ×7, first 2 shown]
	s_wait_alu 0xfffe
	v_dual_mov_b32 v12, 0 :: v_dual_mov_b32 v13, s3
	s_add_nc_u64 s[8:9], s[0:1], 0x50
	s_getpc_b64 s[4:5]
	s_sext_i32_i16 s5, s5
	s_add_co_u32 s4, s4, _ZN7rocprim17ROCPRIM_400000_NS6detail26segmented_warp_sort_helperINS1_20WarpSortHelperConfigILj8ELj4ELj256EEEhlLi256ELb1EvE4sortIPKhPhPKlPlEEvT_T0_T1_T2_jjjjRNS5_12storage_typeE@rel32@lo+8
	s_add_co_ci_u32 s5, s5, _ZN7rocprim17ROCPRIM_400000_NS6detail26segmented_warp_sort_helperINS1_20WarpSortHelperConfigILj8ELj4ELj256EEEhlLi256ELb1EvE4sortIPKhPhPKlPlEEvT_T0_T1_T2_jjjjRNS5_12storage_typeE@rel32@hi+16
	s_mov_b64 s[14:15], s[0:1]
	s_swappc_b64 s[30:31], s[4:5]
	v_mov_b32_e32 v0, v40
	s_mov_b64 s[0:1], s[14:15]
	s_mov_b32 s2, 0
.LBB118_6:
	s_wait_alu 0xfffe
	s_and_not1_b32 vcc_lo, exec_lo, s2
	s_wait_alu 0xfffe
	s_cbranch_vccnz .LBB118_8
; %bb.7:
	s_mov_b64 s[2:3], src_shared_base
	v_dual_mov_b32 v31, v0 :: v_dual_mov_b32 v40, v0
	v_dual_mov_b32 v0, s36 :: v_dual_mov_b32 v1, s37
	;; [unrolled: 1-line block ×7, first 2 shown]
	s_wait_alu 0xfffe
	v_dual_mov_b32 v12, 0 :: v_dual_mov_b32 v13, s3
	s_add_nc_u64 s[8:9], s[0:1], 0x50
	s_getpc_b64 s[4:5]
	s_wait_alu 0xfffe
	s_sext_i32_i16 s5, s5
	s_add_co_u32 s4, s4, _ZN7rocprim17ROCPRIM_400000_NS6detail26segmented_warp_sort_helperINS1_20WarpSortHelperConfigILj8ELj4ELj256EEEhlLi256ELb1EvE4sortIPKhPhPKlPlEEvT_T0_T1_T2_jjjjRNS5_12storage_typeE@rel32@lo+12
	s_wait_alu 0xfffe
	s_add_co_ci_u32 s5, s5, _ZN7rocprim17ROCPRIM_400000_NS6detail26segmented_warp_sort_helperINS1_20WarpSortHelperConfigILj8ELj4ELj256EEEhlLi256ELb1EvE4sortIPKhPhPKlPlEEvT_T0_T1_T2_jjjjRNS5_12storage_typeE@rel32@hi+24
	s_mov_b64 s[14:15], s[0:1]
	s_wait_alu 0xfffe
	s_swappc_b64 s[30:31], s[4:5]
	v_mov_b32_e32 v0, v40
	s_mov_b64 s[0:1], s[14:15]
.LBB118_8:
	s_or_b32 exec_lo, exec_lo, s16
	s_mov_b32 s2, 0
.LBB118_9:
	s_wait_alu 0xfffe
	s_and_not1_b32 vcc_lo, exec_lo, s2
	s_wait_alu 0xfffe
	s_cbranch_vccnz .LBB118_14
; %bb.10:
	v_cndmask_b32_e64 v1, 0, 1, s35
	s_and_b32 s2, s44, 1
	s_wait_alu 0xfffe
	s_delay_alu instid0(VALU_DEP_1)
	v_cmp_ne_u32_e32 vcc_lo, s2, v1
	s_mov_b32 s2, -1
	s_cbranch_vccnz .LBB118_12
; %bb.11:
	s_mov_b64 s[2:3], src_shared_base
	v_dual_mov_b32 v31, v0 :: v_dual_mov_b32 v40, v0
	v_dual_mov_b32 v0, s36 :: v_dual_mov_b32 v1, s37
	;; [unrolled: 1-line block ×7, first 2 shown]
	s_wait_alu 0xfffe
	v_dual_mov_b32 v12, 0 :: v_dual_mov_b32 v13, s3
	s_add_nc_u64 s[8:9], s[0:1], 0x50
	s_getpc_b64 s[4:5]
	s_wait_alu 0xfffe
	s_sext_i32_i16 s5, s5
	s_add_co_u32 s4, s4, _ZN7rocprim17ROCPRIM_400000_NS6detail40segmented_radix_sort_single_block_helperIhlLj256ELj8ELb1EE4sortIPKhPhPKlPlEEbT_T0_T1_T2_jjjjRNS3_12storage_typeE@rel32@lo+12
	s_wait_alu 0xfffe
	s_add_co_ci_u32 s5, s5, _ZN7rocprim17ROCPRIM_400000_NS6detail40segmented_radix_sort_single_block_helperIhlLj256ELj8ELb1EE4sortIPKhPhPKlPlEEbT_T0_T1_T2_jjjjRNS3_12storage_typeE@rel32@hi+24
	s_mov_b64 s[22:23], s[0:1]
	s_wait_alu 0xfffe
	s_swappc_b64 s[30:31], s[4:5]
	v_mov_b32_e32 v0, v40
	s_mov_b64 s[0:1], s[22:23]
	s_mov_b32 s2, 0
.LBB118_12:
	s_wait_alu 0xfffe
	s_and_not1_b32 vcc_lo, exec_lo, s2
	s_wait_alu 0xfffe
	s_cbranch_vccnz .LBB118_14
; %bb.13:
	s_mov_b64 s[2:3], src_shared_base
	v_dual_mov_b32 v31, v0 :: v_dual_mov_b32 v40, v0
	v_dual_mov_b32 v0, s36 :: v_dual_mov_b32 v1, s37
	;; [unrolled: 1-line block ×7, first 2 shown]
	s_wait_alu 0xfffe
	v_dual_mov_b32 v12, 0 :: v_dual_mov_b32 v13, s3
	s_add_nc_u64 s[8:9], s[0:1], 0x50
	s_getpc_b64 s[4:5]
	s_wait_alu 0xfffe
	s_sext_i32_i16 s5, s5
	s_add_co_u32 s4, s4, _ZN7rocprim17ROCPRIM_400000_NS6detail40segmented_radix_sort_single_block_helperIhlLj256ELj8ELb1EE4sortIPKhPhPKlPlEEbT_T0_T1_T2_jjjjRNS3_12storage_typeE@rel32@lo+12
	s_wait_alu 0xfffe
	s_add_co_ci_u32 s5, s5, _ZN7rocprim17ROCPRIM_400000_NS6detail40segmented_radix_sort_single_block_helperIhlLj256ELj8ELb1EE4sortIPKhPhPKlPlEEbT_T0_T1_T2_jjjjRNS3_12storage_typeE@rel32@hi+24
	s_mov_b64 s[22:23], s[0:1]
	s_wait_alu 0xfffe
	s_swappc_b64 s[30:31], s[4:5]
	v_mov_b32_e32 v0, v40
	s_mov_b64 s[0:1], s[22:23]
.LBB118_14:
	s_mov_b32 s2, 0
.LBB118_15:
	s_wait_alu 0xfffe
	s_and_not1_b32 vcc_lo, exec_lo, s2
	s_wait_alu 0xfffe
	s_cbranch_vccnz .LBB118_678
; %bb.16:
	s_cmp_ge_u32 s45, s46
	s_cbranch_scc1 .LBB118_678
; %bb.17:
	v_and_b32_e32 v1, 0x3ff, v0
	v_dual_mov_b32 v61, 1 :: v_dual_and_b32 v2, 3, v0
	v_lshrrev_b32_e32 v4, 3, v0
	v_mbcnt_lo_u32_b32 v58, -1, 0
	s_delay_alu instid0(VALU_DEP_4) | instskip(NEXT) | instid1(VALU_DEP_4)
	v_or_b32_e32 v5, 31, v1
	v_lshlrev_b32_e32 v39, 2, v2
	v_lshlrev_b32_e32 v2, 3, v1
	v_and_b32_e32 v38, 28, v4
	v_lshlrev_b32_e32 v4, 5, v1
	v_cmp_eq_u32_e64 s3, v1, v5
	v_dual_mov_b32 v3, 0 :: v_dual_lshlrev_b32 v28, 2, v1
	v_and_b32_e32 v2, 0x700, v2
	s_delay_alu instid0(VALU_DEP_4) | instskip(SKIP_2) | instid1(VALU_DEP_4)
	v_sub_nc_u32_e32 v46, 0, v4
	v_lshlrev_b32_e32 v66, 3, v58
	v_add_co_u32 v32, s2, s40, v1
	v_lshlrev_b32_e32 v5, 3, v2
	v_mad_u32_u24 v40, v1, 12, v28
	v_or_b32_e32 v68, v58, v2
	v_or_b32_e32 v29, 0x100, v1
	;; [unrolled: 1-line block ×3, first 2 shown]
	v_add_co_u32 v4, s8, s26, v5
	s_wait_alu 0xf1ff
	v_add_co_ci_u32_e64 v6, null, s27, 0, s8
	v_add_co_u32 v7, s8, s40, v2
	s_wait_alu 0xf1ff
	v_add_co_ci_u32_e64 v8, null, s41, 0, s8
	;; [unrolled: 3-line block ×6, first 2 shown]
	v_add_co_u32 v56, s8, s42, v5
	v_add_co_u32 v69, vcc_lo, v4, v66
	s_wait_alu 0xf1ff
	v_add_co_ci_u32_e64 v57, null, s43, 0, s8
	v_add_co_u32 v59, s8, s36, v2
	s_wait_alu 0xfffd
	v_add_co_ci_u32_e64 v70, null, 0, v6, vcc_lo
	v_add_co_u32 v78, vcc_lo, v7, v58
	v_or_b32_e32 v31, 0x300, v1
	v_add_co_ci_u32_e64 v33, null, s41, 0, s2
	v_or_b32_e32 v34, 0x400, v1
	v_or_b32_e32 v35, 0x500, v1
	;; [unrolled: 1-line block ×4, first 2 shown]
	v_cmp_gt_u32_e64 s2, 0x100, v1
	v_or_b32_e32 v41, 0x4400, v38
	v_cmp_gt_u32_e64 s4, 8, v1
	v_add_nc_u32_e32 v42, 0x4400, v28
	v_cmp_lt_u32_e64 s5, 31, v1
	v_add_nc_u32_e32 v43, 0x43fc, v38
	v_bfe_u32 v44, v0, 20, 10
	v_bfe_u32 v0, v0, 10, 10
	v_mad_u32_u24 v45, v1, 20, v40
	v_cmp_eq_u32_e64 s6, 0, v1
	v_cmp_ne_u32_e64 s7, 0xff, v1
	v_mul_u32_u24_e32 v47, 7, v1
	s_wait_alu 0xf1ff
	v_add_co_ci_u32_e64 v60, null, s37, 0, s8
	v_and_b32_e32 v62, 15, v58
	v_bfe_i32 v63, v58, 4, 1
	v_and_b32_e32 v64, 16, v58
	v_and_b32_e32 v65, 7, v58
	v_sub_co_u32 v67, s8, v58, 1
	v_or_b32_e32 v71, 32, v68
	v_or_b32_e32 v72, 64, v68
	;; [unrolled: 1-line block ×7, first 2 shown]
	s_wait_alu 0xfffd
	v_add_co_ci_u32_e64 v79, null, 0, v8, vcc_lo
	s_add_nc_u64 s[28:29], s[0:1], 0x50
	s_mov_b32 s23, 0
	s_mov_b32 s30, s45
	s_branch .LBB118_20
.LBB118_18:                             ;   in Loop: Header=BB118_20 Depth=1
	s_wait_loadcnt_dscnt 0x0
	s_barrier_signal -1
	s_barrier_wait -1
.LBB118_19:                             ;   in Loop: Header=BB118_20 Depth=1
	s_add_co_i32 s30, s30, 8
	global_inv scope:SCOPE_SE
	s_wait_alu 0xfffe
	s_cmp_ge_u32 s30, s46
	s_cbranch_scc1 .LBB118_678
.LBB118_20:                             ; =>This Loop Header: Depth=1
                                        ;     Child Loop BB118_24 Depth 2
                                        ;     Child Loop BB118_72 Depth 2
	;; [unrolled: 1-line block ×8, first 2 shown]
	s_wait_alu 0xfffe
	s_sub_co_i32 s0, s46, s30
	s_xor_b32 s35, s35, -1
	s_wait_alu 0xfffe
	s_min_u32 s0, s0, 8
	ds_store_2addr_stride64_b32 v28, v3, v3 offset1:4
	s_wait_alu 0xfffe
	s_lshl_b32 s0, -1, s0
	ds_store_2addr_stride64_b32 v28, v3, v3 offset0:8 offset1:12
	s_wait_alu 0xfffe
	s_not_b32 s31, s0
	s_cmp_lg_u32 s30, s45
	s_mov_b32 s0, -1
	s_wait_storecnt_dscnt 0x0
	s_cbranch_scc0 .LBB118_350
; %bb.21:                               ;   in Loop: Header=BB118_20 Depth=1
	s_and_b32 vcc_lo, exec_lo, s35
	s_wait_alu 0xfffe
	s_cbranch_vccz .LBB118_185
; %bb.22:                               ;   in Loop: Header=BB118_20 Depth=1
	v_dual_mov_b32 v7, 0 :: v_dual_mov_b32 v10, 0
	v_dual_mov_b32 v9, 0 :: v_dual_mov_b32 v8, 0
	v_dual_mov_b32 v6, 0 :: v_dual_mov_b32 v5, 0
	v_mov_b32_e32 v4, 0
	v_mov_b32_e32 v2, 0
	s_mov_b32 s9, s47
	s_mov_b32 s22, s33
	s_barrier_signal -1
	s_barrier_wait -1
	global_inv scope:SCOPE_SE
	s_branch .LBB118_24
.LBB118_23:                             ;   in Loop: Header=BB118_24 Depth=2
	s_wait_alu 0xfffe
	s_or_b32 exec_lo, exec_lo, s0
	s_addk_co_i32 s9, 0xf800
	s_cmp_ge_u32 s10, s34
	s_mov_b32 s22, s10
	s_cbranch_scc1 .LBB118_60
.LBB118_24:                             ;   Parent Loop BB118_20 Depth=1
                                        ; =>  This Inner Loop Header: Depth=2
	s_wait_alu 0xfffe
	s_add_co_i32 s10, s22, 0x800
	s_mov_b32 s0, -1
	s_wait_alu 0xfffe
	s_cmp_gt_u32 s10, s34
                                        ; implicit-def: $vgpr11
                                        ; implicit-def: $vgpr12
                                        ; implicit-def: $vgpr13
                                        ; implicit-def: $vgpr14
                                        ; implicit-def: $vgpr15
                                        ; implicit-def: $vgpr16
                                        ; implicit-def: $vgpr17
                                        ; implicit-def: $vgpr18
	s_cbranch_scc1 .LBB118_26
; %bb.25:                               ;   in Loop: Header=BB118_24 Depth=2
	v_add_co_u32 v19, vcc_lo, v32, s22
	s_wait_alu 0xfffd
	v_add_co_ci_u32_e64 v20, null, 0, v33, vcc_lo
	s_mov_b32 s0, 0
	s_clause 0x7
	global_load_u8 v18, v[19:20], off offset:1792
	global_load_u8 v17, v[19:20], off offset:1536
	;; [unrolled: 1-line block ×7, first 2 shown]
	global_load_u8 v11, v[19:20], off
.LBB118_26:                             ;   in Loop: Header=BB118_24 Depth=2
	s_wait_alu 0xfffe
	s_and_not1_b32 vcc_lo, exec_lo, s0
	s_movk_i32 s0, 0x800
	s_wait_alu 0xfffe
	s_cbranch_vccnz .LBB118_37
; %bb.27:                               ;   in Loop: Header=BB118_24 Depth=2
	s_add_nc_u64 s[0:1], s[40:41], s[22:23]
	s_mov_b32 s11, exec_lo
	v_cmpx_gt_u32_e64 s9, v1
	s_cbranch_execnz .LBB118_53
; %bb.28:                               ;   in Loop: Header=BB118_24 Depth=2
	s_wait_alu 0xfffe
	s_or_b32 exec_lo, exec_lo, s11
	s_delay_alu instid0(SALU_CYCLE_1)
	s_mov_b32 s11, exec_lo
	v_cmpx_gt_u32_e64 s9, v29
	s_cbranch_execnz .LBB118_54
.LBB118_29:                             ;   in Loop: Header=BB118_24 Depth=2
	s_wait_alu 0xfffe
	s_or_b32 exec_lo, exec_lo, s11
	s_delay_alu instid0(SALU_CYCLE_1)
	s_mov_b32 s11, exec_lo
	v_cmpx_gt_u32_e64 s9, v30
	s_cbranch_execnz .LBB118_55
.LBB118_30:                             ;   in Loop: Header=BB118_24 Depth=2
	s_wait_alu 0xfffe
	s_or_b32 exec_lo, exec_lo, s11
	s_delay_alu instid0(SALU_CYCLE_1)
	s_mov_b32 s11, exec_lo
	v_cmpx_gt_u32_e64 s9, v31
	s_cbranch_execnz .LBB118_56
.LBB118_31:                             ;   in Loop: Header=BB118_24 Depth=2
	s_wait_alu 0xfffe
	s_or_b32 exec_lo, exec_lo, s11
	s_delay_alu instid0(SALU_CYCLE_1)
	s_mov_b32 s11, exec_lo
	v_cmpx_gt_u32_e64 s9, v34
	s_cbranch_execnz .LBB118_57
.LBB118_32:                             ;   in Loop: Header=BB118_24 Depth=2
	s_wait_alu 0xfffe
	s_or_b32 exec_lo, exec_lo, s11
	s_delay_alu instid0(SALU_CYCLE_1)
	s_mov_b32 s11, exec_lo
	v_cmpx_gt_u32_e64 s9, v35
	s_cbranch_execnz .LBB118_58
.LBB118_33:                             ;   in Loop: Header=BB118_24 Depth=2
	s_wait_alu 0xfffe
	s_or_b32 exec_lo, exec_lo, s11
	s_delay_alu instid0(SALU_CYCLE_1)
	s_mov_b32 s11, exec_lo
	v_cmpx_gt_u32_e64 s9, v36
	s_cbranch_execnz .LBB118_59
.LBB118_34:                             ;   in Loop: Header=BB118_24 Depth=2
	s_wait_alu 0xfffe
	s_or_b32 exec_lo, exec_lo, s11
	s_delay_alu instid0(SALU_CYCLE_1)
	s_mov_b32 s11, exec_lo
	v_cmpx_gt_u32_e64 s9, v37
	s_cbranch_execz .LBB118_36
.LBB118_35:                             ;   in Loop: Header=BB118_24 Depth=2
	s_wait_loadcnt 0x0
	v_add_co_u32 v11, s0, s0, v1
	s_wait_alu 0xf1ff
	v_add_co_ci_u32_e64 v12, null, s1, 0, s0
	global_load_u8 v2, v[11:12], off offset:1792
.LBB118_36:                             ;   in Loop: Header=BB118_24 Depth=2
	s_wait_alu 0xfffe
	s_or_b32 exec_lo, exec_lo, s11
	s_wait_loadcnt 0x0
	v_dual_mov_b32 v11, v7 :: v_dual_mov_b32 v12, v10
	v_dual_mov_b32 v13, v9 :: v_dual_mov_b32 v14, v8
	;; [unrolled: 1-line block ×4, first 2 shown]
	s_mov_b32 s0, s9
.LBB118_37:                             ;   in Loop: Header=BB118_24 Depth=2
	s_wait_loadcnt 0x5
	s_delay_alu instid0(VALU_DEP_1)
	v_dual_mov_b32 v2, v18 :: v_dual_mov_b32 v5, v16
	s_wait_loadcnt 0x2
	v_dual_mov_b32 v4, v17 :: v_dual_mov_b32 v9, v13
	s_wait_loadcnt 0x0
	v_dual_mov_b32 v6, v15 :: v_dual_mov_b32 v7, v11
	v_mov_b32_e32 v8, v14
	v_mov_b32_e32 v10, v12
	s_mov_b32 s1, exec_lo
	s_wait_alu 0xfffe
	v_cmpx_gt_u32_e64 s0, v1
	s_cbranch_execnz .LBB118_45
; %bb.38:                               ;   in Loop: Header=BB118_24 Depth=2
	s_or_b32 exec_lo, exec_lo, s1
	s_delay_alu instid0(SALU_CYCLE_1)
	s_mov_b32 s1, exec_lo
	v_cmpx_gt_u32_e64 s0, v29
	s_cbranch_execnz .LBB118_46
.LBB118_39:                             ;   in Loop: Header=BB118_24 Depth=2
	s_wait_alu 0xfffe
	s_or_b32 exec_lo, exec_lo, s1
	s_delay_alu instid0(SALU_CYCLE_1)
	s_mov_b32 s1, exec_lo
	v_cmpx_gt_u32_e64 s0, v30
	s_cbranch_execnz .LBB118_47
.LBB118_40:                             ;   in Loop: Header=BB118_24 Depth=2
	s_wait_alu 0xfffe
	s_or_b32 exec_lo, exec_lo, s1
	s_delay_alu instid0(SALU_CYCLE_1)
	s_mov_b32 s1, exec_lo
	v_cmpx_gt_u32_e64 s0, v31
	s_cbranch_execnz .LBB118_48
.LBB118_41:                             ;   in Loop: Header=BB118_24 Depth=2
	s_wait_alu 0xfffe
	s_or_b32 exec_lo, exec_lo, s1
	s_delay_alu instid0(SALU_CYCLE_1)
	s_mov_b32 s1, exec_lo
	v_cmpx_gt_u32_e64 s0, v34
	s_cbranch_execnz .LBB118_49
.LBB118_42:                             ;   in Loop: Header=BB118_24 Depth=2
	s_wait_alu 0xfffe
	s_or_b32 exec_lo, exec_lo, s1
	s_delay_alu instid0(SALU_CYCLE_1)
	s_mov_b32 s1, exec_lo
	v_cmpx_gt_u32_e64 s0, v35
	s_cbranch_execnz .LBB118_50
.LBB118_43:                             ;   in Loop: Header=BB118_24 Depth=2
	s_wait_alu 0xfffe
	s_or_b32 exec_lo, exec_lo, s1
	s_delay_alu instid0(SALU_CYCLE_1)
	s_mov_b32 s1, exec_lo
	v_cmpx_gt_u32_e64 s0, v36
	s_cbranch_execnz .LBB118_51
.LBB118_44:                             ;   in Loop: Header=BB118_24 Depth=2
	s_wait_alu 0xfffe
	s_or_b32 exec_lo, exec_lo, s1
	v_cmp_gt_u32_e32 vcc_lo, s0, v37
	s_and_saveexec_b32 s0, vcc_lo
	s_cbranch_execz .LBB118_23
	s_branch .LBB118_52
.LBB118_45:                             ;   in Loop: Header=BB118_24 Depth=2
	v_xor_b32_e32 v11, -1, v7
	s_delay_alu instid0(VALU_DEP_1) | instskip(NEXT) | instid1(VALU_DEP_1)
	v_and_b32_e32 v11, 0xff, v11
	v_lshrrev_b32_e32 v11, s30, v11
	s_delay_alu instid0(VALU_DEP_1) | instskip(NEXT) | instid1(VALU_DEP_1)
	v_and_b32_e32 v11, s31, v11
	v_lshl_or_b32 v11, v11, 4, v39
	ds_add_u32 v11, v61
	s_or_b32 exec_lo, exec_lo, s1
	s_delay_alu instid0(SALU_CYCLE_1)
	s_mov_b32 s1, exec_lo
	v_cmpx_gt_u32_e64 s0, v29
	s_cbranch_execz .LBB118_39
.LBB118_46:                             ;   in Loop: Header=BB118_24 Depth=2
	v_xor_b32_e32 v11, -1, v10
	s_delay_alu instid0(VALU_DEP_1) | instskip(NEXT) | instid1(VALU_DEP_1)
	v_and_b32_e32 v11, 0xff, v11
	v_lshrrev_b32_e32 v11, s30, v11
	s_delay_alu instid0(VALU_DEP_1) | instskip(NEXT) | instid1(VALU_DEP_1)
	v_and_b32_e32 v11, s31, v11
	v_lshl_or_b32 v11, v11, 4, v39
	ds_add_u32 v11, v61
	s_wait_alu 0xfffe
	s_or_b32 exec_lo, exec_lo, s1
	s_delay_alu instid0(SALU_CYCLE_1)
	s_mov_b32 s1, exec_lo
	v_cmpx_gt_u32_e64 s0, v30
	s_cbranch_execz .LBB118_40
.LBB118_47:                             ;   in Loop: Header=BB118_24 Depth=2
	v_xor_b32_e32 v11, -1, v9
	s_delay_alu instid0(VALU_DEP_1) | instskip(NEXT) | instid1(VALU_DEP_1)
	v_and_b32_e32 v11, 0xff, v11
	v_lshrrev_b32_e32 v11, s30, v11
	s_delay_alu instid0(VALU_DEP_1) | instskip(NEXT) | instid1(VALU_DEP_1)
	v_and_b32_e32 v11, s31, v11
	v_lshl_or_b32 v11, v11, 4, v39
	ds_add_u32 v11, v61
	s_wait_alu 0xfffe
	s_or_b32 exec_lo, exec_lo, s1
	s_delay_alu instid0(SALU_CYCLE_1)
	s_mov_b32 s1, exec_lo
	v_cmpx_gt_u32_e64 s0, v31
	s_cbranch_execz .LBB118_41
.LBB118_48:                             ;   in Loop: Header=BB118_24 Depth=2
	v_xor_b32_e32 v11, -1, v8
	s_delay_alu instid0(VALU_DEP_1) | instskip(NEXT) | instid1(VALU_DEP_1)
	v_and_b32_e32 v11, 0xff, v11
	v_lshrrev_b32_e32 v11, s30, v11
	s_delay_alu instid0(VALU_DEP_1) | instskip(NEXT) | instid1(VALU_DEP_1)
	v_and_b32_e32 v11, s31, v11
	v_lshl_or_b32 v11, v11, 4, v39
	ds_add_u32 v11, v61
	s_wait_alu 0xfffe
	s_or_b32 exec_lo, exec_lo, s1
	s_delay_alu instid0(SALU_CYCLE_1)
	s_mov_b32 s1, exec_lo
	v_cmpx_gt_u32_e64 s0, v34
	s_cbranch_execz .LBB118_42
.LBB118_49:                             ;   in Loop: Header=BB118_24 Depth=2
	v_xor_b32_e32 v11, -1, v6
	s_delay_alu instid0(VALU_DEP_1) | instskip(NEXT) | instid1(VALU_DEP_1)
	v_and_b32_e32 v11, 0xff, v11
	v_lshrrev_b32_e32 v11, s30, v11
	s_delay_alu instid0(VALU_DEP_1) | instskip(NEXT) | instid1(VALU_DEP_1)
	v_and_b32_e32 v11, s31, v11
	v_lshl_or_b32 v11, v11, 4, v39
	ds_add_u32 v11, v61
	s_wait_alu 0xfffe
	s_or_b32 exec_lo, exec_lo, s1
	s_delay_alu instid0(SALU_CYCLE_1)
	s_mov_b32 s1, exec_lo
	v_cmpx_gt_u32_e64 s0, v35
	s_cbranch_execz .LBB118_43
.LBB118_50:                             ;   in Loop: Header=BB118_24 Depth=2
	v_xor_b32_e32 v11, -1, v5
	s_delay_alu instid0(VALU_DEP_1) | instskip(NEXT) | instid1(VALU_DEP_1)
	v_and_b32_e32 v11, 0xff, v11
	v_lshrrev_b32_e32 v11, s30, v11
	s_delay_alu instid0(VALU_DEP_1) | instskip(NEXT) | instid1(VALU_DEP_1)
	v_and_b32_e32 v11, s31, v11
	v_lshl_or_b32 v11, v11, 4, v39
	ds_add_u32 v11, v61
	s_wait_alu 0xfffe
	s_or_b32 exec_lo, exec_lo, s1
	s_delay_alu instid0(SALU_CYCLE_1)
	s_mov_b32 s1, exec_lo
	v_cmpx_gt_u32_e64 s0, v36
	s_cbranch_execz .LBB118_44
.LBB118_51:                             ;   in Loop: Header=BB118_24 Depth=2
	v_xor_b32_e32 v11, -1, v4
	s_delay_alu instid0(VALU_DEP_1) | instskip(NEXT) | instid1(VALU_DEP_1)
	v_and_b32_e32 v11, 0xff, v11
	v_lshrrev_b32_e32 v11, s30, v11
	s_delay_alu instid0(VALU_DEP_1) | instskip(NEXT) | instid1(VALU_DEP_1)
	v_and_b32_e32 v11, s31, v11
	v_lshl_or_b32 v11, v11, 4, v39
	ds_add_u32 v11, v61
	s_wait_alu 0xfffe
	s_or_b32 exec_lo, exec_lo, s1
	v_cmp_gt_u32_e32 vcc_lo, s0, v37
	s_and_saveexec_b32 s0, vcc_lo
	s_cbranch_execz .LBB118_23
.LBB118_52:                             ;   in Loop: Header=BB118_24 Depth=2
	v_xor_b32_e32 v11, -1, v2
	s_delay_alu instid0(VALU_DEP_1) | instskip(NEXT) | instid1(VALU_DEP_1)
	v_and_b32_e32 v11, 0xff, v11
	v_lshrrev_b32_e32 v11, s30, v11
	s_delay_alu instid0(VALU_DEP_1) | instskip(NEXT) | instid1(VALU_DEP_1)
	v_and_b32_e32 v11, s31, v11
	v_lshl_or_b32 v11, v11, 4, v39
	ds_add_u32 v11, v61
	s_branch .LBB118_23
.LBB118_53:                             ;   in Loop: Header=BB118_24 Depth=2
	s_wait_loadcnt 0x0
	s_wait_alu 0xfffe
	v_add_co_u32 v11, s12, s0, v1
	s_wait_alu 0xf1ff
	v_add_co_ci_u32_e64 v12, null, s1, 0, s12
	global_load_u8 v7, v[11:12], off
	s_or_b32 exec_lo, exec_lo, s11
	s_delay_alu instid0(SALU_CYCLE_1)
	s_mov_b32 s11, exec_lo
	v_cmpx_gt_u32_e64 s9, v29
	s_cbranch_execz .LBB118_29
.LBB118_54:                             ;   in Loop: Header=BB118_24 Depth=2
	v_add_co_u32 v10, s12, s0, v1
	s_wait_loadcnt 0x0
	s_wait_alu 0xf1ff
	v_add_co_ci_u32_e64 v11, null, s1, 0, s12
	global_load_u8 v10, v[10:11], off offset:256
	s_wait_alu 0xfffe
	s_or_b32 exec_lo, exec_lo, s11
	s_delay_alu instid0(SALU_CYCLE_1)
	s_mov_b32 s11, exec_lo
	v_cmpx_gt_u32_e64 s9, v30
	s_cbranch_execz .LBB118_30
.LBB118_55:                             ;   in Loop: Header=BB118_24 Depth=2
	s_wait_loadcnt 0x0
	v_add_co_u32 v11, s12, s0, v1
	s_wait_alu 0xf1ff
	v_add_co_ci_u32_e64 v12, null, s1, 0, s12
	global_load_u8 v9, v[11:12], off offset:512
	s_wait_alu 0xfffe
	s_or_b32 exec_lo, exec_lo, s11
	s_delay_alu instid0(SALU_CYCLE_1)
	s_mov_b32 s11, exec_lo
	v_cmpx_gt_u32_e64 s9, v31
	s_cbranch_execz .LBB118_31
.LBB118_56:                             ;   in Loop: Header=BB118_24 Depth=2
	s_wait_loadcnt 0x0
	v_add_co_u32 v11, s12, s0, v1
	s_wait_alu 0xf1ff
	v_add_co_ci_u32_e64 v12, null, s1, 0, s12
	global_load_u8 v8, v[11:12], off offset:768
	s_wait_alu 0xfffe
	s_or_b32 exec_lo, exec_lo, s11
	s_delay_alu instid0(SALU_CYCLE_1)
	s_mov_b32 s11, exec_lo
	v_cmpx_gt_u32_e64 s9, v34
	s_cbranch_execz .LBB118_32
.LBB118_57:                             ;   in Loop: Header=BB118_24 Depth=2
	s_wait_loadcnt 0x0
	v_add_co_u32 v11, s12, s0, v1
	s_wait_alu 0xf1ff
	v_add_co_ci_u32_e64 v12, null, s1, 0, s12
	global_load_u8 v6, v[11:12], off offset:1024
	s_wait_alu 0xfffe
	s_or_b32 exec_lo, exec_lo, s11
	s_delay_alu instid0(SALU_CYCLE_1)
	s_mov_b32 s11, exec_lo
	v_cmpx_gt_u32_e64 s9, v35
	s_cbranch_execz .LBB118_33
.LBB118_58:                             ;   in Loop: Header=BB118_24 Depth=2
	s_wait_loadcnt 0x0
	v_add_co_u32 v11, s12, s0, v1
	s_wait_alu 0xf1ff
	v_add_co_ci_u32_e64 v12, null, s1, 0, s12
	global_load_u8 v5, v[11:12], off offset:1280
	s_wait_alu 0xfffe
	s_or_b32 exec_lo, exec_lo, s11
	s_delay_alu instid0(SALU_CYCLE_1)
	s_mov_b32 s11, exec_lo
	v_cmpx_gt_u32_e64 s9, v36
	s_cbranch_execz .LBB118_34
.LBB118_59:                             ;   in Loop: Header=BB118_24 Depth=2
	s_wait_loadcnt 0x0
	v_add_co_u32 v11, s12, s0, v1
	s_wait_alu 0xf1ff
	v_add_co_ci_u32_e64 v12, null, s1, 0, s12
	global_load_u8 v4, v[11:12], off offset:1536
	s_wait_alu 0xfffe
	s_or_b32 exec_lo, exec_lo, s11
	s_delay_alu instid0(SALU_CYCLE_1)
	s_mov_b32 s11, exec_lo
	v_cmpx_gt_u32_e64 s9, v37
	s_cbranch_execnz .LBB118_35
	s_branch .LBB118_36
.LBB118_60:                             ;   in Loop: Header=BB118_20 Depth=1
	v_mov_b32_e32 v2, 0
	s_wait_dscnt 0x0
	s_barrier_signal -1
	s_barrier_wait -1
	global_inv scope:SCOPE_SE
	s_and_saveexec_b32 s0, s2
	s_cbranch_execz .LBB118_62
; %bb.61:                               ;   in Loop: Header=BB118_20 Depth=1
	ds_load_2addr_b64 v[4:7], v40 offset1:1
	s_wait_dscnt 0x0
	v_add_nc_u32_e32 v2, v5, v4
	s_delay_alu instid0(VALU_DEP_1)
	v_add3_u32 v2, v2, v6, v7
.LBB118_62:                             ;   in Loop: Header=BB118_20 Depth=1
	s_wait_alu 0xfffe
	s_or_b32 exec_lo, exec_lo, s0
	s_delay_alu instid0(VALU_DEP_1)
	v_mov_b32_dpp v4, v2 row_shr:1 row_mask:0xf bank_mask:0xf
	v_cmp_eq_u32_e64 s0, 0, v62
	v_cmp_lt_u32_e64 s1, 1, v62
	v_cmp_lt_u32_e64 s9, 3, v62
	;; [unrolled: 1-line block ×3, first 2 shown]
	v_cmp_eq_u32_e64 s11, 0, v64
	s_wait_alu 0xf1ff
	v_cndmask_b32_e64 v4, v4, 0, s0
	s_delay_alu instid0(VALU_DEP_1) | instskip(NEXT) | instid1(VALU_DEP_1)
	v_add_nc_u32_e32 v2, v4, v2
	v_mov_b32_dpp v4, v2 row_shr:2 row_mask:0xf bank_mask:0xf
	s_delay_alu instid0(VALU_DEP_1) | instskip(NEXT) | instid1(VALU_DEP_1)
	v_cndmask_b32_e64 v4, 0, v4, s1
	v_add_nc_u32_e32 v2, v2, v4
	s_delay_alu instid0(VALU_DEP_1) | instskip(NEXT) | instid1(VALU_DEP_1)
	v_mov_b32_dpp v4, v2 row_shr:4 row_mask:0xf bank_mask:0xf
	v_cndmask_b32_e64 v4, 0, v4, s9
	s_delay_alu instid0(VALU_DEP_1) | instskip(NEXT) | instid1(VALU_DEP_1)
	v_add_nc_u32_e32 v2, v2, v4
	v_mov_b32_dpp v4, v2 row_shr:8 row_mask:0xf bank_mask:0xf
	s_delay_alu instid0(VALU_DEP_1) | instskip(NEXT) | instid1(VALU_DEP_1)
	v_cndmask_b32_e64 v4, 0, v4, s10
	v_add_nc_u32_e32 v2, v2, v4
	ds_swizzle_b32 v4, v2 offset:swizzle(BROADCAST,32,15)
	s_wait_dscnt 0x0
	v_and_b32_e32 v4, v63, v4
	s_delay_alu instid0(VALU_DEP_1)
	v_add_nc_u32_e32 v2, v2, v4
	s_and_saveexec_b32 s12, s3
; %bb.63:                               ;   in Loop: Header=BB118_20 Depth=1
	ds_store_b32 v41, v2
; %bb.64:                               ;   in Loop: Header=BB118_20 Depth=1
	s_wait_alu 0xfffe
	s_or_b32 exec_lo, exec_lo, s12
	s_wait_loadcnt_dscnt 0x0
	s_barrier_signal -1
	s_barrier_wait -1
	global_inv scope:SCOPE_SE
	s_and_saveexec_b32 s12, s4
	s_cbranch_execz .LBB118_66
; %bb.65:                               ;   in Loop: Header=BB118_20 Depth=1
	ds_load_b32 v4, v42
	v_cmp_ne_u32_e32 vcc_lo, 0, v65
	s_wait_dscnt 0x0
	v_mov_b32_dpp v5, v4 row_shr:1 row_mask:0xf bank_mask:0xf
	s_wait_alu 0xfffd
	s_delay_alu instid0(VALU_DEP_1) | instskip(SKIP_1) | instid1(VALU_DEP_2)
	v_cndmask_b32_e32 v5, 0, v5, vcc_lo
	v_cmp_lt_u32_e32 vcc_lo, 1, v65
	v_add_nc_u32_e32 v4, v5, v4
	s_delay_alu instid0(VALU_DEP_1) | instskip(SKIP_1) | instid1(VALU_DEP_1)
	v_mov_b32_dpp v5, v4 row_shr:2 row_mask:0xf bank_mask:0xf
	s_wait_alu 0xfffd
	v_cndmask_b32_e32 v5, 0, v5, vcc_lo
	v_cmp_lt_u32_e32 vcc_lo, 3, v65
	s_delay_alu instid0(VALU_DEP_2) | instskip(NEXT) | instid1(VALU_DEP_1)
	v_add_nc_u32_e32 v4, v4, v5
	v_mov_b32_dpp v5, v4 row_shr:4 row_mask:0xf bank_mask:0xf
	s_wait_alu 0xfffd
	s_delay_alu instid0(VALU_DEP_1) | instskip(NEXT) | instid1(VALU_DEP_1)
	v_cndmask_b32_e32 v5, 0, v5, vcc_lo
	v_add_nc_u32_e32 v4, v4, v5
	ds_store_b32 v42, v4
.LBB118_66:                             ;   in Loop: Header=BB118_20 Depth=1
	s_wait_alu 0xfffe
	s_or_b32 exec_lo, exec_lo, s12
	v_mov_b32_e32 v4, 0
	s_wait_loadcnt_dscnt 0x0
	s_barrier_signal -1
	s_barrier_wait -1
	global_inv scope:SCOPE_SE
	s_and_saveexec_b32 s12, s5
; %bb.67:                               ;   in Loop: Header=BB118_20 Depth=1
	ds_load_b32 v4, v43
; %bb.68:                               ;   in Loop: Header=BB118_20 Depth=1
	s_wait_alu 0xfffe
	s_or_b32 exec_lo, exec_lo, s12
	v_cmp_gt_i32_e32 vcc_lo, 0, v67
	s_wait_dscnt 0x0
	v_add_nc_u32_e32 v2, v4, v2
	s_wait_loadcnt 0x0
	s_barrier_signal -1
	s_barrier_wait -1
	s_wait_alu 0xfffd
	v_cndmask_b32_e32 v5, v67, v58, vcc_lo
	global_inv scope:SCOPE_SE
	v_lshlrev_b32_e32 v80, 2, v5
	ds_bpermute_b32 v2, v80, v2
	s_and_saveexec_b32 s12, s2
	s_cbranch_execz .LBB118_70
; %bb.69:                               ;   in Loop: Header=BB118_20 Depth=1
	s_wait_dscnt 0x0
	v_cndmask_b32_e64 v2, v2, v4, s8
	s_delay_alu instid0(VALU_DEP_1)
	v_add_nc_u32_e32 v2, s33, v2
	ds_store_b32 v28, v2
.LBB118_70:                             ;   in Loop: Header=BB118_20 Depth=1
	s_wait_alu 0xfffe
	s_or_b32 exec_lo, exec_lo, s12
	s_clause 0x1
	s_load_b32 s12, s[28:29], 0x4
	s_load_b32 s14, s[28:29], 0xc
	s_mov_b32 s42, s47
                                        ; implicit-def: $vgpr6_vgpr7
                                        ; implicit-def: $vgpr8_vgpr9
                                        ; implicit-def: $vgpr10_vgpr11
                                        ; implicit-def: $vgpr12_vgpr13
                                        ; implicit-def: $vgpr14_vgpr15
                                        ; implicit-def: $vgpr16_vgpr17
                                        ; implicit-def: $vgpr18_vgpr19
                                        ; implicit-def: $vgpr82
                                        ; implicit-def: $vgpr83
                                        ; implicit-def: $vgpr84
                                        ; implicit-def: $vgpr85
                                        ; implicit-def: $vgpr86
                                        ; implicit-def: $vgpr87
                                        ; implicit-def: $vgpr88
                                        ; implicit-def: $vgpr89
	s_wait_kmcnt 0x0
	s_cmp_lt_u32 ttmp7, s12
	s_cselect_b32 s22, 14, 20
	s_wait_alu 0xfffe
	s_add_nc_u64 s[12:13], s[28:29], s[22:23]
	s_mov_b32 s22, s33
	s_load_u16 s12, s[12:13], 0x0
	v_cmp_lt_u32_e64 s13, 1, v65
	s_wait_dscnt 0x0
	s_wait_kmcnt 0x0
	v_mad_u32_u24 v2, v44, s12, v0
	s_and_b32 s12, s14, 0xffff
	v_cmp_lt_u32_e64 s14, 3, v65
	s_wait_alu 0xfffe
	s_delay_alu instid0(VALU_DEP_2) | instskip(SKIP_1) | instid1(VALU_DEP_2)
	v_mad_co_u64_u32 v[4:5], null, v2, s12, v[1:2]
	v_cmp_eq_u32_e64 s12, 0, v65
	v_lshrrev_b32_e32 v2, 3, v4
                                        ; implicit-def: $vgpr4_vgpr5
	s_delay_alu instid0(VALU_DEP_1)
	v_and_b32_e32 v81, 0x1ffffffc, v2
	s_branch .LBB118_72
.LBB118_71:                             ;   in Loop: Header=BB118_72 Depth=2
	s_wait_alu 0xfffe
	s_or_b32 exec_lo, exec_lo, s15
	s_addk_co_i32 s42, 0xf800
	s_cmp_lt_u32 s43, s34
	s_mov_b32 s22, s43
	s_cbranch_scc0 .LBB118_184
.LBB118_72:                             ;   Parent Loop BB118_20 Depth=1
                                        ; =>  This Inner Loop Header: Depth=2
	s_wait_alu 0xfffe
	s_add_co_i32 s43, s22, 0x800
	s_wait_alu 0xfffe
	s_cmp_gt_u32 s43, s34
	s_cbranch_scc1 .LBB118_74
; %bb.73:                               ;   in Loop: Header=BB118_72 Depth=2
	v_add_co_u32 v20, vcc_lo, v78, s22
	s_wait_alu 0xfffd
	v_add_co_ci_u32_e64 v21, null, 0, v79, vcc_lo
	s_mov_b32 s15, -1
	s_clause 0x6
	global_load_u8 v23, v[20:21], off offset:192
	global_load_u8 v24, v[20:21], off offset:160
	;; [unrolled: 1-line block ×6, first 2 shown]
	global_load_u8 v90, v[20:21], off
	s_movk_i32 s16, 0x800
                                        ; implicit-def: $vgpr22
	s_cbranch_execz .LBB118_75
	s_branch .LBB118_85
.LBB118_74:                             ;   in Loop: Header=BB118_72 Depth=2
	s_mov_b32 s15, 0
                                        ; implicit-def: $vgpr90
                                        ; implicit-def: $vgpr92
                                        ; implicit-def: $vgpr27
                                        ; implicit-def: $vgpr26
                                        ; implicit-def: $vgpr25
                                        ; implicit-def: $vgpr24
                                        ; implicit-def: $vgpr23
	s_movk_i32 s16, 0x800
                                        ; implicit-def: $vgpr22
.LBB118_75:                             ;   in Loop: Header=BB118_72 Depth=2
	v_add_co_u32 v20, vcc_lo, v78, s22
	s_wait_alu 0xfffd
	v_add_co_ci_u32_e64 v21, null, 0, v79, vcc_lo
	s_wait_loadcnt 0x0
	v_dual_mov_b32 v27, 0 :: v_dual_mov_b32 v90, 0
	v_dual_mov_b32 v26, 0 :: v_dual_mov_b32 v25, 0
	;; [unrolled: 1-line block ×3, first 2 shown]
	v_mov_b32_e32 v22, 0
	s_mov_b32 s15, exec_lo
	v_cmpx_gt_u32_e64 s42, v68
	s_cbranch_execz .LBB118_77
; %bb.76:                               ;   in Loop: Header=BB118_72 Depth=2
	global_load_u8 v90, v[20:21], off
	v_dual_mov_b32 v26, 0 :: v_dual_mov_b32 v25, 0
	v_dual_mov_b32 v24, 0 :: v_dual_mov_b32 v23, 0
	v_mov_b32_e32 v22, 0
.LBB118_77:                             ;   in Loop: Header=BB118_72 Depth=2
	s_wait_alu 0xfffe
	s_or_b32 exec_lo, exec_lo, s15
	v_mov_b32_e32 v92, v27
	s_mov_b32 s15, exec_lo
	v_cmpx_gt_u32_e64 s42, v71
	s_cbranch_execnz .LBB118_179
; %bb.78:                               ;   in Loop: Header=BB118_72 Depth=2
	s_wait_alu 0xfffe
	s_or_b32 exec_lo, exec_lo, s15
	s_delay_alu instid0(SALU_CYCLE_1)
	s_mov_b32 s15, exec_lo
	v_cmpx_gt_u32_e64 s42, v72
	s_cbranch_execnz .LBB118_180
.LBB118_79:                             ;   in Loop: Header=BB118_72 Depth=2
	s_wait_alu 0xfffe
	s_or_b32 exec_lo, exec_lo, s15
	s_delay_alu instid0(SALU_CYCLE_1)
	s_mov_b32 s15, exec_lo
	v_cmpx_gt_u32_e64 s42, v73
	s_cbranch_execnz .LBB118_181
.LBB118_80:                             ;   in Loop: Header=BB118_72 Depth=2
	s_wait_alu 0xfffe
	s_or_b32 exec_lo, exec_lo, s15
	s_delay_alu instid0(SALU_CYCLE_1)
	s_mov_b32 s15, exec_lo
	v_cmpx_gt_u32_e64 s42, v74
	s_cbranch_execnz .LBB118_182
.LBB118_81:                             ;   in Loop: Header=BB118_72 Depth=2
	s_wait_alu 0xfffe
	s_or_b32 exec_lo, exec_lo, s15
	s_delay_alu instid0(SALU_CYCLE_1)
	s_mov_b32 s15, exec_lo
	v_cmpx_gt_u32_e64 s42, v75
	s_cbranch_execnz .LBB118_183
.LBB118_82:                             ;   in Loop: Header=BB118_72 Depth=2
	s_wait_alu 0xfffe
	s_or_b32 exec_lo, exec_lo, s15
	s_delay_alu instid0(SALU_CYCLE_1)
	s_mov_b32 s15, exec_lo
	v_cmpx_gt_u32_e64 s42, v76
	s_cbranch_execz .LBB118_84
.LBB118_83:                             ;   in Loop: Header=BB118_72 Depth=2
	global_load_u8 v23, v[20:21], off offset:192
.LBB118_84:                             ;   in Loop: Header=BB118_72 Depth=2
	s_wait_alu 0xfffe
	s_or_b32 exec_lo, exec_lo, s15
	v_cmp_gt_u32_e64 s15, s42, v77
	s_sub_co_i32 s16, s34, s22
.LBB118_85:                             ;   in Loop: Header=BB118_72 Depth=2
	v_mov_b32_e32 v2, s42
	s_wait_alu 0xfffe
	s_and_saveexec_b32 s17, s15
	s_cbranch_execz .LBB118_87
; %bb.86:                               ;   in Loop: Header=BB118_72 Depth=2
	v_add_co_u32 v20, vcc_lo, v78, s22
	s_wait_alu 0xfffd
	v_add_co_ci_u32_e64 v21, null, s23, v79, vcc_lo
	v_mov_b32_e32 v2, s16
	global_load_u8 v22, v[20:21], off offset:224
.LBB118_87:                             ;   in Loop: Header=BB118_72 Depth=2
	s_wait_alu 0xfffe
	s_or_b32 exec_lo, exec_lo, s17
	s_wait_loadcnt 0x0
	v_xor_b32_e32 v90, -1, v90
	s_delay_alu instid0(VALU_DEP_1) | instskip(NEXT) | instid1(VALU_DEP_1)
	v_and_b32_e32 v20, 0xff, v90
	v_lshrrev_b32_e32 v20, s30, v20
	s_delay_alu instid0(VALU_DEP_1) | instskip(NEXT) | instid1(VALU_DEP_1)
	v_and_b32_e32 v21, s31, v20
	v_and_b32_e32 v20, 1, v21
	v_lshlrev_b32_e32 v91, 30, v21
	v_lshlrev_b32_e32 v93, 29, v21
	;; [unrolled: 1-line block ×4, first 2 shown]
	v_add_co_u32 v20, s15, v20, -1
	s_wait_alu 0xf1ff
	v_cndmask_b32_e64 v95, 0, 1, s15
	v_not_b32_e32 v99, v91
	v_cmp_gt_i32_e64 s15, 0, v91
	v_not_b32_e32 v91, v93
	v_lshlrev_b32_e32 v97, 26, v21
	v_cmp_ne_u32_e32 vcc_lo, 0, v95
	v_ashrrev_i32_e32 v99, 31, v99
	v_lshlrev_b32_e32 v98, 25, v21
	v_ashrrev_i32_e32 v91, 31, v91
	v_lshlrev_b32_e32 v95, 24, v21
	s_wait_alu 0xfffd
	v_xor_b32_e32 v20, vcc_lo, v20
	v_cmp_gt_i32_e32 vcc_lo, 0, v93
	v_not_b32_e32 v93, v94
	s_wait_alu 0xf1ff
	v_xor_b32_e32 v99, s15, v99
	v_cmp_gt_i32_e64 s15, 0, v94
	v_and_b32_e32 v20, exec_lo, v20
	v_not_b32_e32 v94, v96
	v_ashrrev_i32_e32 v93, 31, v93
	s_wait_alu 0xfffd
	v_xor_b32_e32 v91, vcc_lo, v91
	v_cmp_gt_i32_e32 vcc_lo, 0, v96
	v_and_b32_e32 v20, v20, v99
	v_not_b32_e32 v96, v97
	v_ashrrev_i32_e32 v94, 31, v94
	s_wait_alu 0xf1ff
	v_xor_b32_e32 v93, s15, v93
	v_cmp_gt_i32_e64 s15, 0, v97
	v_and_b32_e32 v20, v20, v91
	v_not_b32_e32 v91, v98
	v_ashrrev_i32_e32 v96, 31, v96
	s_wait_alu 0xfffd
	v_xor_b32_e32 v94, vcc_lo, v94
	v_cmp_gt_i32_e32 vcc_lo, 0, v98
	v_and_b32_e32 v20, v20, v93
	v_not_b32_e32 v93, v95
	v_ashrrev_i32_e32 v91, 31, v91
	s_wait_alu 0xf1ff
	v_xor_b32_e32 v96, s15, v96
	v_cmp_gt_i32_e64 s15, 0, v95
	v_and_b32_e32 v20, v20, v94
	v_ashrrev_i32_e32 v93, 31, v93
	s_wait_alu 0xfffd
	v_xor_b32_e32 v91, vcc_lo, v91
	v_mul_u32_u24_e32 v21, 36, v21
	v_add_nc_u32_e32 v95, 0x428, v45
	v_and_b32_e32 v20, v20, v96
	s_wait_alu 0xf1ff
	v_xor_b32_e32 v94, s15, v93
	v_add_nc_u32_e32 v93, 0x438, v45
	v_add_nc_u32_e32 v96, 0x430, v45
	;; [unrolled: 1-line block ×3, first 2 shown]
	v_and_b32_e32 v20, v20, v91
	ds_store_2addr_b32 v93, v3, v3 offset1:1
	v_and_b32_e32 v20, v20, v94
	v_add_nc_u32_e32 v94, 0x420, v45
	ds_store_2addr_b32 v94, v3, v3 offset1:1
	ds_store_2addr_b32 v95, v3, v3 offset1:1
	;; [unrolled: 1-line block ×3, first 2 shown]
	ds_store_b32 v45, v3 offset:1088
	v_mbcnt_lo_u32_b32 v91, v20, 0
	v_cmp_ne_u32_e64 s15, 0, v20
	s_wait_dscnt 0x0
	s_barrier_signal -1
	s_barrier_wait -1
	v_cmp_eq_u32_e32 vcc_lo, 0, v91
	global_inv scope:SCOPE_SE
	; wave barrier
	s_and_b32 s16, s15, vcc_lo
	s_wait_alu 0xfffe
	s_and_saveexec_b32 s15, s16
; %bb.88:                               ;   in Loop: Header=BB118_72 Depth=2
	v_bcnt_u32_b32 v20, v20, 0
	ds_store_b32 v97, v20 offset:1056
; %bb.89:                               ;   in Loop: Header=BB118_72 Depth=2
	s_wait_alu 0xfffe
	s_or_b32 exec_lo, exec_lo, s15
	v_xor_b32_e32 v92, -1, v92
	; wave barrier
	s_delay_alu instid0(VALU_DEP_1) | instskip(NEXT) | instid1(VALU_DEP_1)
	v_and_b32_e32 v20, 0xff, v92
	v_lshrrev_b32_e32 v20, s30, v20
	s_delay_alu instid0(VALU_DEP_1) | instskip(NEXT) | instid1(VALU_DEP_1)
	v_and_b32_e32 v21, s31, v20
	v_and_b32_e32 v20, 1, v21
	v_lshlrev_b32_e32 v98, 30, v21
	v_lshlrev_b32_e32 v99, 29, v21
	;; [unrolled: 1-line block ×4, first 2 shown]
	v_add_co_u32 v20, s15, v20, -1
	s_wait_alu 0xf1ff
	v_cndmask_b32_e64 v101, 0, 1, s15
	v_not_b32_e32 v105, v98
	v_cmp_gt_i32_e64 s15, 0, v98
	v_not_b32_e32 v98, v99
	v_lshlrev_b32_e32 v103, 26, v21
	v_cmp_ne_u32_e32 vcc_lo, 0, v101
	v_ashrrev_i32_e32 v105, 31, v105
	v_lshlrev_b32_e32 v104, 25, v21
	v_ashrrev_i32_e32 v98, 31, v98
	v_lshlrev_b32_e32 v101, 24, v21
	s_wait_alu 0xfffd
	v_xor_b32_e32 v20, vcc_lo, v20
	v_cmp_gt_i32_e32 vcc_lo, 0, v99
	v_not_b32_e32 v99, v100
	s_wait_alu 0xf1ff
	v_xor_b32_e32 v105, s15, v105
	v_cmp_gt_i32_e64 s15, 0, v100
	v_and_b32_e32 v20, exec_lo, v20
	v_not_b32_e32 v100, v102
	v_ashrrev_i32_e32 v99, 31, v99
	s_wait_alu 0xfffd
	v_xor_b32_e32 v98, vcc_lo, v98
	v_cmp_gt_i32_e32 vcc_lo, 0, v102
	v_and_b32_e32 v20, v20, v105
	v_not_b32_e32 v102, v103
	v_ashrrev_i32_e32 v100, 31, v100
	s_wait_alu 0xf1ff
	v_xor_b32_e32 v99, s15, v99
	v_cmp_gt_i32_e64 s15, 0, v103
	v_and_b32_e32 v20, v20, v98
	v_not_b32_e32 v98, v104
	v_ashrrev_i32_e32 v102, 31, v102
	s_wait_alu 0xfffd
	v_xor_b32_e32 v100, vcc_lo, v100
	v_cmp_gt_i32_e32 vcc_lo, 0, v104
	v_and_b32_e32 v20, v20, v99
	v_not_b32_e32 v99, v101
	v_ashrrev_i32_e32 v98, 31, v98
	s_wait_alu 0xf1ff
	v_xor_b32_e32 v102, s15, v102
	v_cmp_gt_i32_e64 s15, 0, v101
	v_and_b32_e32 v20, v20, v100
	v_ashrrev_i32_e32 v99, 31, v99
	s_wait_alu 0xfffd
	v_xor_b32_e32 v98, vcc_lo, v98
	v_mad_u32_u24 v100, v21, 36, v81
	v_mul_u32_u24_e32 v21, 36, v21
	v_and_b32_e32 v20, v20, v102
	s_wait_alu 0xf1ff
	v_xor_b32_e32 v99, s15, v99
	s_delay_alu instid0(VALU_DEP_3) | instskip(NEXT) | instid1(VALU_DEP_3)
	v_add_nc_u32_e32 v101, v81, v21
	v_and_b32_e32 v20, v20, v98
	ds_load_b32 v98, v100 offset:1056
	; wave barrier
	v_and_b32_e32 v20, v20, v99
	s_delay_alu instid0(VALU_DEP_1) | instskip(SKIP_1) | instid1(VALU_DEP_2)
	v_mbcnt_lo_u32_b32 v99, v20, 0
	v_cmp_ne_u32_e64 s15, 0, v20
	v_cmp_eq_u32_e32 vcc_lo, 0, v99
	s_and_b32 s16, s15, vcc_lo
	s_wait_alu 0xfffe
	s_and_saveexec_b32 s15, s16
	s_cbranch_execz .LBB118_91
; %bb.90:                               ;   in Loop: Header=BB118_72 Depth=2
	s_wait_dscnt 0x0
	v_bcnt_u32_b32 v20, v20, v98
	ds_store_b32 v101, v20 offset:1056
.LBB118_91:                             ;   in Loop: Header=BB118_72 Depth=2
	s_wait_alu 0xfffe
	s_or_b32 exec_lo, exec_lo, s15
	v_xor_b32_e32 v100, -1, v27
	; wave barrier
	s_delay_alu instid0(VALU_DEP_1) | instskip(NEXT) | instid1(VALU_DEP_1)
	v_and_b32_e32 v20, 0xff, v100
	v_lshrrev_b32_e32 v20, s30, v20
	s_delay_alu instid0(VALU_DEP_1) | instskip(NEXT) | instid1(VALU_DEP_1)
	v_and_b32_e32 v21, s31, v20
	v_and_b32_e32 v20, 1, v21
	v_lshlrev_b32_e32 v27, 30, v21
	v_lshlrev_b32_e32 v102, 29, v21
	v_lshlrev_b32_e32 v103, 28, v21
	v_lshlrev_b32_e32 v105, 27, v21
	v_add_co_u32 v20, s15, v20, -1
	s_wait_alu 0xf1ff
	v_cndmask_b32_e64 v104, 0, 1, s15
	v_not_b32_e32 v108, v27
	v_cmp_gt_i32_e64 s15, 0, v27
	v_not_b32_e32 v27, v102
	v_lshlrev_b32_e32 v106, 26, v21
	v_cmp_ne_u32_e32 vcc_lo, 0, v104
	v_ashrrev_i32_e32 v108, 31, v108
	v_lshlrev_b32_e32 v107, 25, v21
	v_ashrrev_i32_e32 v27, 31, v27
	v_lshlrev_b32_e32 v104, 24, v21
	s_wait_alu 0xfffd
	v_xor_b32_e32 v20, vcc_lo, v20
	v_cmp_gt_i32_e32 vcc_lo, 0, v102
	v_not_b32_e32 v102, v103
	s_wait_alu 0xf1ff
	v_xor_b32_e32 v108, s15, v108
	v_cmp_gt_i32_e64 s15, 0, v103
	v_and_b32_e32 v20, exec_lo, v20
	v_not_b32_e32 v103, v105
	v_ashrrev_i32_e32 v102, 31, v102
	s_wait_alu 0xfffd
	v_xor_b32_e32 v27, vcc_lo, v27
	v_cmp_gt_i32_e32 vcc_lo, 0, v105
	v_and_b32_e32 v20, v20, v108
	v_not_b32_e32 v105, v106
	v_ashrrev_i32_e32 v103, 31, v103
	s_wait_alu 0xf1ff
	v_xor_b32_e32 v102, s15, v102
	v_cmp_gt_i32_e64 s15, 0, v106
	v_and_b32_e32 v20, v20, v27
	v_not_b32_e32 v27, v107
	v_ashrrev_i32_e32 v105, 31, v105
	s_wait_alu 0xfffd
	v_xor_b32_e32 v103, vcc_lo, v103
	v_cmp_gt_i32_e32 vcc_lo, 0, v107
	v_and_b32_e32 v20, v20, v102
	v_not_b32_e32 v102, v104
	v_ashrrev_i32_e32 v27, 31, v27
	s_wait_alu 0xf1ff
	v_xor_b32_e32 v105, s15, v105
	v_cmp_gt_i32_e64 s15, 0, v104
	v_and_b32_e32 v20, v20, v103
	v_ashrrev_i32_e32 v102, 31, v102
	s_wait_alu 0xfffd
	v_xor_b32_e32 v27, vcc_lo, v27
	v_mad_u32_u24 v103, v21, 36, v81
	v_mul_u32_u24_e32 v21, 36, v21
	v_and_b32_e32 v20, v20, v105
	s_wait_alu 0xf1ff
	v_xor_b32_e32 v104, s15, v102
	ds_load_b32 v102, v103 offset:1056
	v_add_nc_u32_e32 v105, v81, v21
	v_and_b32_e32 v20, v20, v27
	; wave barrier
	s_delay_alu instid0(VALU_DEP_1) | instskip(NEXT) | instid1(VALU_DEP_1)
	v_and_b32_e32 v20, v20, v104
	v_mbcnt_lo_u32_b32 v103, v20, 0
	v_cmp_ne_u32_e64 s15, 0, v20
	s_delay_alu instid0(VALU_DEP_2)
	v_cmp_eq_u32_e32 vcc_lo, 0, v103
	s_and_b32 s16, s15, vcc_lo
	s_wait_alu 0xfffe
	s_and_saveexec_b32 s15, s16
	s_cbranch_execz .LBB118_93
; %bb.92:                               ;   in Loop: Header=BB118_72 Depth=2
	s_wait_dscnt 0x0
	v_bcnt_u32_b32 v20, v20, v102
	ds_store_b32 v105, v20 offset:1056
.LBB118_93:                             ;   in Loop: Header=BB118_72 Depth=2
	s_wait_alu 0xfffe
	s_or_b32 exec_lo, exec_lo, s15
	v_xor_b32_e32 v104, -1, v26
	; wave barrier
	s_delay_alu instid0(VALU_DEP_1) | instskip(NEXT) | instid1(VALU_DEP_1)
	v_and_b32_e32 v20, 0xff, v104
	v_lshrrev_b32_e32 v20, s30, v20
	s_delay_alu instid0(VALU_DEP_1) | instskip(NEXT) | instid1(VALU_DEP_1)
	v_and_b32_e32 v21, s31, v20
	v_and_b32_e32 v20, 1, v21
	v_lshlrev_b32_e32 v26, 30, v21
	v_lshlrev_b32_e32 v27, 29, v21
	;; [unrolled: 1-line block ×4, first 2 shown]
	v_add_co_u32 v20, s15, v20, -1
	s_wait_alu 0xf1ff
	v_cndmask_b32_e64 v107, 0, 1, s15
	v_not_b32_e32 v111, v26
	v_cmp_gt_i32_e64 s15, 0, v26
	v_not_b32_e32 v26, v27
	v_lshlrev_b32_e32 v109, 26, v21
	v_cmp_ne_u32_e32 vcc_lo, 0, v107
	v_ashrrev_i32_e32 v111, 31, v111
	v_lshlrev_b32_e32 v110, 25, v21
	v_ashrrev_i32_e32 v26, 31, v26
	v_lshlrev_b32_e32 v107, 24, v21
	s_wait_alu 0xfffd
	v_xor_b32_e32 v20, vcc_lo, v20
	v_cmp_gt_i32_e32 vcc_lo, 0, v27
	v_not_b32_e32 v27, v106
	s_wait_alu 0xf1ff
	v_xor_b32_e32 v111, s15, v111
	v_cmp_gt_i32_e64 s15, 0, v106
	v_and_b32_e32 v20, exec_lo, v20
	v_not_b32_e32 v106, v108
	v_ashrrev_i32_e32 v27, 31, v27
	s_wait_alu 0xfffd
	v_xor_b32_e32 v26, vcc_lo, v26
	v_cmp_gt_i32_e32 vcc_lo, 0, v108
	v_and_b32_e32 v20, v20, v111
	v_not_b32_e32 v108, v109
	v_ashrrev_i32_e32 v106, 31, v106
	s_wait_alu 0xf1ff
	v_xor_b32_e32 v27, s15, v27
	v_cmp_gt_i32_e64 s15, 0, v109
	v_and_b32_e32 v20, v20, v26
	v_not_b32_e32 v26, v110
	v_ashrrev_i32_e32 v108, 31, v108
	s_wait_alu 0xfffd
	v_xor_b32_e32 v106, vcc_lo, v106
	v_cmp_gt_i32_e32 vcc_lo, 0, v110
	v_and_b32_e32 v20, v20, v27
	v_not_b32_e32 v27, v107
	v_ashrrev_i32_e32 v26, 31, v26
	s_wait_alu 0xf1ff
	v_xor_b32_e32 v108, s15, v108
	v_cmp_gt_i32_e64 s15, 0, v107
	v_and_b32_e32 v20, v20, v106
	v_ashrrev_i32_e32 v27, 31, v27
	s_wait_alu 0xfffd
	v_xor_b32_e32 v26, vcc_lo, v26
	v_mad_u32_u24 v106, v21, 36, v81
	v_mul_u32_u24_e32 v21, 36, v21
	v_and_b32_e32 v20, v20, v108
	s_wait_alu 0xf1ff
	v_xor_b32_e32 v27, s15, v27
	ds_load_b32 v106, v106 offset:1056
	v_add_nc_u32_e32 v109, v81, v21
	v_and_b32_e32 v20, v20, v26
	; wave barrier
	s_delay_alu instid0(VALU_DEP_1) | instskip(NEXT) | instid1(VALU_DEP_1)
	v_and_b32_e32 v20, v20, v27
	v_mbcnt_lo_u32_b32 v107, v20, 0
	v_cmp_ne_u32_e64 s15, 0, v20
	s_delay_alu instid0(VALU_DEP_2)
	v_cmp_eq_u32_e32 vcc_lo, 0, v107
	s_and_b32 s16, s15, vcc_lo
	s_wait_alu 0xfffe
	s_and_saveexec_b32 s15, s16
	s_cbranch_execz .LBB118_95
; %bb.94:                               ;   in Loop: Header=BB118_72 Depth=2
	s_wait_dscnt 0x0
	v_bcnt_u32_b32 v20, v20, v106
	ds_store_b32 v109, v20 offset:1056
.LBB118_95:                             ;   in Loop: Header=BB118_72 Depth=2
	s_wait_alu 0xfffe
	s_or_b32 exec_lo, exec_lo, s15
	v_xor_b32_e32 v108, -1, v25
	; wave barrier
	s_delay_alu instid0(VALU_DEP_1) | instskip(NEXT) | instid1(VALU_DEP_1)
	v_and_b32_e32 v20, 0xff, v108
	v_lshrrev_b32_e32 v20, s30, v20
	s_delay_alu instid0(VALU_DEP_1) | instskip(NEXT) | instid1(VALU_DEP_1)
	v_and_b32_e32 v21, s31, v20
	v_and_b32_e32 v20, 1, v21
	v_lshlrev_b32_e32 v25, 30, v21
	v_lshlrev_b32_e32 v26, 29, v21
	;; [unrolled: 1-line block ×4, first 2 shown]
	v_add_co_u32 v20, s15, v20, -1
	s_wait_alu 0xf1ff
	v_cndmask_b32_e64 v110, 0, 1, s15
	v_not_b32_e32 v114, v25
	v_cmp_gt_i32_e64 s15, 0, v25
	v_not_b32_e32 v25, v26
	v_lshlrev_b32_e32 v112, 26, v21
	v_cmp_ne_u32_e32 vcc_lo, 0, v110
	v_ashrrev_i32_e32 v114, 31, v114
	v_lshlrev_b32_e32 v113, 25, v21
	v_ashrrev_i32_e32 v25, 31, v25
	v_lshlrev_b32_e32 v110, 24, v21
	s_wait_alu 0xfffd
	v_xor_b32_e32 v20, vcc_lo, v20
	v_cmp_gt_i32_e32 vcc_lo, 0, v26
	v_not_b32_e32 v26, v27
	s_wait_alu 0xf1ff
	v_xor_b32_e32 v114, s15, v114
	v_cmp_gt_i32_e64 s15, 0, v27
	v_and_b32_e32 v20, exec_lo, v20
	v_not_b32_e32 v27, v111
	v_ashrrev_i32_e32 v26, 31, v26
	s_wait_alu 0xfffd
	v_xor_b32_e32 v25, vcc_lo, v25
	v_cmp_gt_i32_e32 vcc_lo, 0, v111
	v_and_b32_e32 v20, v20, v114
	v_not_b32_e32 v111, v112
	v_ashrrev_i32_e32 v27, 31, v27
	s_wait_alu 0xf1ff
	v_xor_b32_e32 v26, s15, v26
	v_cmp_gt_i32_e64 s15, 0, v112
	v_and_b32_e32 v20, v20, v25
	v_not_b32_e32 v25, v113
	v_ashrrev_i32_e32 v111, 31, v111
	s_wait_alu 0xfffd
	v_xor_b32_e32 v27, vcc_lo, v27
	v_cmp_gt_i32_e32 vcc_lo, 0, v113
	v_and_b32_e32 v20, v20, v26
	v_not_b32_e32 v26, v110
	v_ashrrev_i32_e32 v25, 31, v25
	s_wait_alu 0xf1ff
	v_xor_b32_e32 v111, s15, v111
	v_cmp_gt_i32_e64 s15, 0, v110
	v_and_b32_e32 v20, v20, v27
	v_ashrrev_i32_e32 v26, 31, v26
	s_wait_alu 0xfffd
	v_xor_b32_e32 v25, vcc_lo, v25
	v_mad_u32_u24 v27, v21, 36, v81
	v_mul_u32_u24_e32 v21, 36, v21
	v_and_b32_e32 v20, v20, v111
	s_wait_alu 0xf1ff
	v_xor_b32_e32 v26, s15, v26
	ds_load_b32 v110, v27 offset:1056
	v_add_nc_u32_e32 v113, v81, v21
	v_and_b32_e32 v20, v20, v25
	; wave barrier
	s_delay_alu instid0(VALU_DEP_1) | instskip(NEXT) | instid1(VALU_DEP_1)
	v_and_b32_e32 v20, v20, v26
	v_mbcnt_lo_u32_b32 v111, v20, 0
	v_cmp_ne_u32_e64 s15, 0, v20
	s_delay_alu instid0(VALU_DEP_2)
	v_cmp_eq_u32_e32 vcc_lo, 0, v111
	s_and_b32 s16, s15, vcc_lo
	s_wait_alu 0xfffe
	s_and_saveexec_b32 s15, s16
	s_cbranch_execz .LBB118_97
; %bb.96:                               ;   in Loop: Header=BB118_72 Depth=2
	s_wait_dscnt 0x0
	v_bcnt_u32_b32 v20, v20, v110
	ds_store_b32 v113, v20 offset:1056
.LBB118_97:                             ;   in Loop: Header=BB118_72 Depth=2
	s_wait_alu 0xfffe
	s_or_b32 exec_lo, exec_lo, s15
	v_xor_b32_e32 v112, -1, v24
	; wave barrier
	s_delay_alu instid0(VALU_DEP_1) | instskip(NEXT) | instid1(VALU_DEP_1)
	v_and_b32_e32 v20, 0xff, v112
	v_lshrrev_b32_e32 v20, s30, v20
	s_delay_alu instid0(VALU_DEP_1) | instskip(NEXT) | instid1(VALU_DEP_1)
	v_and_b32_e32 v21, s31, v20
	v_and_b32_e32 v20, 1, v21
	v_lshlrev_b32_e32 v24, 30, v21
	v_lshlrev_b32_e32 v25, 29, v21
	;; [unrolled: 1-line block ×4, first 2 shown]
	v_add_co_u32 v20, s15, v20, -1
	s_wait_alu 0xf1ff
	v_cndmask_b32_e64 v27, 0, 1, s15
	v_not_b32_e32 v117, v24
	v_cmp_gt_i32_e64 s15, 0, v24
	v_not_b32_e32 v24, v25
	v_lshlrev_b32_e32 v115, 26, v21
	v_cmp_ne_u32_e32 vcc_lo, 0, v27
	v_ashrrev_i32_e32 v117, 31, v117
	v_lshlrev_b32_e32 v116, 25, v21
	v_ashrrev_i32_e32 v24, 31, v24
	v_lshlrev_b32_e32 v27, 24, v21
	s_wait_alu 0xfffd
	v_xor_b32_e32 v20, vcc_lo, v20
	v_cmp_gt_i32_e32 vcc_lo, 0, v25
	v_not_b32_e32 v25, v26
	s_wait_alu 0xf1ff
	v_xor_b32_e32 v117, s15, v117
	v_cmp_gt_i32_e64 s15, 0, v26
	v_and_b32_e32 v20, exec_lo, v20
	v_not_b32_e32 v26, v114
	v_ashrrev_i32_e32 v25, 31, v25
	s_wait_alu 0xfffd
	v_xor_b32_e32 v24, vcc_lo, v24
	v_cmp_gt_i32_e32 vcc_lo, 0, v114
	v_and_b32_e32 v20, v20, v117
	v_not_b32_e32 v114, v115
	v_ashrrev_i32_e32 v26, 31, v26
	s_wait_alu 0xf1ff
	v_xor_b32_e32 v25, s15, v25
	v_cmp_gt_i32_e64 s15, 0, v115
	v_and_b32_e32 v20, v20, v24
	v_not_b32_e32 v24, v116
	v_ashrrev_i32_e32 v114, 31, v114
	s_wait_alu 0xfffd
	v_xor_b32_e32 v26, vcc_lo, v26
	v_cmp_gt_i32_e32 vcc_lo, 0, v116
	v_and_b32_e32 v20, v20, v25
	v_not_b32_e32 v25, v27
	v_ashrrev_i32_e32 v24, 31, v24
	s_wait_alu 0xf1ff
	v_xor_b32_e32 v114, s15, v114
	v_cmp_gt_i32_e64 s15, 0, v27
	v_and_b32_e32 v20, v20, v26
	v_ashrrev_i32_e32 v25, 31, v25
	s_wait_alu 0xfffd
	v_xor_b32_e32 v24, vcc_lo, v24
	v_mad_u32_u24 v26, v21, 36, v81
	v_mul_u32_u24_e32 v21, 36, v21
	v_and_b32_e32 v20, v20, v114
	s_wait_alu 0xf1ff
	v_xor_b32_e32 v25, s15, v25
	ds_load_b32 v114, v26 offset:1056
	v_add_nc_u32_e32 v117, v81, v21
	v_and_b32_e32 v20, v20, v24
	; wave barrier
	s_delay_alu instid0(VALU_DEP_1) | instskip(NEXT) | instid1(VALU_DEP_1)
	v_and_b32_e32 v20, v20, v25
	v_mbcnt_lo_u32_b32 v115, v20, 0
	v_cmp_ne_u32_e64 s15, 0, v20
	s_delay_alu instid0(VALU_DEP_2)
	v_cmp_eq_u32_e32 vcc_lo, 0, v115
	s_and_b32 s16, s15, vcc_lo
	s_wait_alu 0xfffe
	s_and_saveexec_b32 s15, s16
	s_cbranch_execz .LBB118_99
; %bb.98:                               ;   in Loop: Header=BB118_72 Depth=2
	s_wait_dscnt 0x0
	v_bcnt_u32_b32 v20, v20, v114
	ds_store_b32 v117, v20 offset:1056
.LBB118_99:                             ;   in Loop: Header=BB118_72 Depth=2
	s_wait_alu 0xfffe
	s_or_b32 exec_lo, exec_lo, s15
	v_xor_b32_e32 v116, -1, v23
	; wave barrier
	s_delay_alu instid0(VALU_DEP_1) | instskip(NEXT) | instid1(VALU_DEP_1)
	v_and_b32_e32 v20, 0xff, v116
	v_lshrrev_b32_e32 v20, s30, v20
	s_delay_alu instid0(VALU_DEP_1) | instskip(NEXT) | instid1(VALU_DEP_1)
	v_and_b32_e32 v21, s31, v20
	v_and_b32_e32 v20, 1, v21
	v_lshlrev_b32_e32 v23, 30, v21
	v_lshlrev_b32_e32 v24, 29, v21
	;; [unrolled: 1-line block ×4, first 2 shown]
	v_add_co_u32 v20, s15, v20, -1
	s_wait_alu 0xf1ff
	v_cndmask_b32_e64 v26, 0, 1, s15
	v_not_b32_e32 v120, v23
	v_cmp_gt_i32_e64 s15, 0, v23
	v_not_b32_e32 v23, v24
	v_lshlrev_b32_e32 v118, 26, v21
	v_cmp_ne_u32_e32 vcc_lo, 0, v26
	v_ashrrev_i32_e32 v120, 31, v120
	v_lshlrev_b32_e32 v119, 25, v21
	v_ashrrev_i32_e32 v23, 31, v23
	v_lshlrev_b32_e32 v26, 24, v21
	s_wait_alu 0xfffd
	v_xor_b32_e32 v20, vcc_lo, v20
	v_cmp_gt_i32_e32 vcc_lo, 0, v24
	v_not_b32_e32 v24, v25
	s_wait_alu 0xf1ff
	v_xor_b32_e32 v120, s15, v120
	v_cmp_gt_i32_e64 s15, 0, v25
	v_and_b32_e32 v20, exec_lo, v20
	v_not_b32_e32 v25, v27
	v_ashrrev_i32_e32 v24, 31, v24
	s_wait_alu 0xfffd
	v_xor_b32_e32 v23, vcc_lo, v23
	v_cmp_gt_i32_e32 vcc_lo, 0, v27
	v_and_b32_e32 v20, v20, v120
	v_not_b32_e32 v27, v118
	v_ashrrev_i32_e32 v25, 31, v25
	s_wait_alu 0xf1ff
	v_xor_b32_e32 v24, s15, v24
	v_cmp_gt_i32_e64 s15, 0, v118
	v_and_b32_e32 v20, v20, v23
	v_not_b32_e32 v23, v119
	v_ashrrev_i32_e32 v27, 31, v27
	s_wait_alu 0xfffd
	v_xor_b32_e32 v25, vcc_lo, v25
	v_cmp_gt_i32_e32 vcc_lo, 0, v119
	v_and_b32_e32 v20, v20, v24
	v_not_b32_e32 v24, v26
	v_ashrrev_i32_e32 v23, 31, v23
	s_wait_alu 0xf1ff
	v_xor_b32_e32 v27, s15, v27
	v_cmp_gt_i32_e64 s15, 0, v26
	v_and_b32_e32 v20, v20, v25
	v_ashrrev_i32_e32 v24, 31, v24
	s_wait_alu 0xfffd
	v_xor_b32_e32 v23, vcc_lo, v23
	v_mad_u32_u24 v25, v21, 36, v81
	v_mul_u32_u24_e32 v21, 36, v21
	v_and_b32_e32 v20, v20, v27
	s_wait_alu 0xf1ff
	v_xor_b32_e32 v24, s15, v24
	ds_load_b32 v118, v25 offset:1056
	v_add_nc_u32_e32 v121, v81, v21
	v_and_b32_e32 v20, v20, v23
	; wave barrier
	s_delay_alu instid0(VALU_DEP_1) | instskip(NEXT) | instid1(VALU_DEP_1)
	v_and_b32_e32 v20, v20, v24
	v_mbcnt_lo_u32_b32 v119, v20, 0
	v_cmp_ne_u32_e64 s15, 0, v20
	s_delay_alu instid0(VALU_DEP_2)
	v_cmp_eq_u32_e32 vcc_lo, 0, v119
	s_and_b32 s16, s15, vcc_lo
	s_wait_alu 0xfffe
	s_and_saveexec_b32 s15, s16
	s_cbranch_execz .LBB118_101
; %bb.100:                              ;   in Loop: Header=BB118_72 Depth=2
	s_wait_dscnt 0x0
	v_bcnt_u32_b32 v20, v20, v118
	ds_store_b32 v121, v20 offset:1056
.LBB118_101:                            ;   in Loop: Header=BB118_72 Depth=2
	s_wait_alu 0xfffe
	s_or_b32 exec_lo, exec_lo, s15
	v_xor_b32_e32 v120, -1, v22
	; wave barrier
	s_delay_alu instid0(VALU_DEP_1) | instskip(NEXT) | instid1(VALU_DEP_1)
	v_and_b32_e32 v20, 0xff, v120
	v_lshrrev_b32_e32 v20, s30, v20
	s_delay_alu instid0(VALU_DEP_1) | instskip(NEXT) | instid1(VALU_DEP_1)
	v_and_b32_e32 v21, s31, v20
	v_and_b32_e32 v20, 1, v21
	v_lshlrev_b32_e32 v22, 30, v21
	v_lshlrev_b32_e32 v23, 29, v21
	;; [unrolled: 1-line block ×4, first 2 shown]
	v_add_co_u32 v20, s15, v20, -1
	s_wait_alu 0xf1ff
	v_cndmask_b32_e64 v25, 0, 1, s15
	v_not_b32_e32 v123, v22
	v_cmp_gt_i32_e64 s15, 0, v22
	v_not_b32_e32 v22, v23
	v_lshlrev_b32_e32 v27, 26, v21
	v_cmp_ne_u32_e32 vcc_lo, 0, v25
	v_ashrrev_i32_e32 v123, 31, v123
	v_lshlrev_b32_e32 v122, 25, v21
	v_ashrrev_i32_e32 v22, 31, v22
	v_lshlrev_b32_e32 v25, 24, v21
	s_wait_alu 0xfffd
	v_xor_b32_e32 v20, vcc_lo, v20
	v_cmp_gt_i32_e32 vcc_lo, 0, v23
	v_not_b32_e32 v23, v24
	s_wait_alu 0xf1ff
	v_xor_b32_e32 v123, s15, v123
	v_cmp_gt_i32_e64 s15, 0, v24
	v_and_b32_e32 v20, exec_lo, v20
	v_not_b32_e32 v24, v26
	v_ashrrev_i32_e32 v23, 31, v23
	s_wait_alu 0xfffd
	v_xor_b32_e32 v22, vcc_lo, v22
	v_cmp_gt_i32_e32 vcc_lo, 0, v26
	v_and_b32_e32 v20, v20, v123
	v_not_b32_e32 v26, v27
	v_ashrrev_i32_e32 v24, 31, v24
	s_wait_alu 0xf1ff
	v_xor_b32_e32 v23, s15, v23
	v_cmp_gt_i32_e64 s15, 0, v27
	v_and_b32_e32 v20, v20, v22
	v_not_b32_e32 v22, v122
	v_ashrrev_i32_e32 v26, 31, v26
	s_wait_alu 0xfffd
	v_xor_b32_e32 v24, vcc_lo, v24
	v_cmp_gt_i32_e32 vcc_lo, 0, v122
	v_and_b32_e32 v20, v20, v23
	v_not_b32_e32 v23, v25
	v_ashrrev_i32_e32 v22, 31, v22
	s_wait_alu 0xf1ff
	v_xor_b32_e32 v26, s15, v26
	v_cmp_gt_i32_e64 s15, 0, v25
	v_and_b32_e32 v20, v20, v24
	v_ashrrev_i32_e32 v23, 31, v23
	s_wait_alu 0xfffd
	v_xor_b32_e32 v22, vcc_lo, v22
	v_mad_u32_u24 v24, v21, 36, v81
	v_mul_u32_u24_e32 v21, 36, v21
	v_and_b32_e32 v20, v20, v26
	s_wait_alu 0xf1ff
	v_xor_b32_e32 v23, s15, v23
	ds_load_b32 v122, v24 offset:1056
	v_add_nc_u32_e32 v124, v81, v21
	v_and_b32_e32 v20, v20, v22
	; wave barrier
	s_delay_alu instid0(VALU_DEP_1) | instskip(NEXT) | instid1(VALU_DEP_1)
	v_and_b32_e32 v20, v20, v23
	v_mbcnt_lo_u32_b32 v123, v20, 0
	v_cmp_ne_u32_e64 s15, 0, v20
	s_delay_alu instid0(VALU_DEP_2)
	v_cmp_eq_u32_e32 vcc_lo, 0, v123
	s_and_b32 s16, s15, vcc_lo
	s_wait_alu 0xfffe
	s_and_saveexec_b32 s15, s16
	s_cbranch_execz .LBB118_103
; %bb.102:                              ;   in Loop: Header=BB118_72 Depth=2
	s_wait_dscnt 0x0
	v_bcnt_u32_b32 v20, v20, v122
	ds_store_b32 v124, v20 offset:1056
.LBB118_103:                            ;   in Loop: Header=BB118_72 Depth=2
	s_wait_alu 0xfffe
	s_or_b32 exec_lo, exec_lo, s15
	; wave barrier
	s_wait_loadcnt_dscnt 0x0
	s_barrier_signal -1
	s_barrier_wait -1
	global_inv scope:SCOPE_SE
	ds_load_2addr_b32 v[26:27], v94 offset1:1
	ds_load_2addr_b32 v[24:25], v95 offset1:1
	;; [unrolled: 1-line block ×4, first 2 shown]
	ds_load_b32 v125, v45 offset:1088
	s_wait_dscnt 0x3
	v_add3_u32 v126, v27, v26, v24
	s_wait_dscnt 0x2
	s_delay_alu instid0(VALU_DEP_1) | instskip(SKIP_1) | instid1(VALU_DEP_1)
	v_add3_u32 v126, v126, v25, v22
	s_wait_dscnt 0x1
	v_add3_u32 v126, v126, v23, v20
	s_wait_dscnt 0x0
	s_delay_alu instid0(VALU_DEP_1) | instskip(NEXT) | instid1(VALU_DEP_1)
	v_add3_u32 v125, v126, v21, v125
	v_mov_b32_dpp v126, v125 row_shr:1 row_mask:0xf bank_mask:0xf
	s_delay_alu instid0(VALU_DEP_1) | instskip(NEXT) | instid1(VALU_DEP_1)
	v_cndmask_b32_e64 v126, v126, 0, s0
	v_add_nc_u32_e32 v125, v126, v125
	s_delay_alu instid0(VALU_DEP_1) | instskip(NEXT) | instid1(VALU_DEP_1)
	v_mov_b32_dpp v126, v125 row_shr:2 row_mask:0xf bank_mask:0xf
	v_cndmask_b32_e64 v126, 0, v126, s1
	s_delay_alu instid0(VALU_DEP_1) | instskip(NEXT) | instid1(VALU_DEP_1)
	v_add_nc_u32_e32 v125, v125, v126
	v_mov_b32_dpp v126, v125 row_shr:4 row_mask:0xf bank_mask:0xf
	s_delay_alu instid0(VALU_DEP_1) | instskip(NEXT) | instid1(VALU_DEP_1)
	v_cndmask_b32_e64 v126, 0, v126, s9
	v_add_nc_u32_e32 v125, v125, v126
	s_delay_alu instid0(VALU_DEP_1) | instskip(NEXT) | instid1(VALU_DEP_1)
	v_mov_b32_dpp v126, v125 row_shr:8 row_mask:0xf bank_mask:0xf
	v_cndmask_b32_e64 v126, 0, v126, s10
	s_delay_alu instid0(VALU_DEP_1) | instskip(SKIP_3) | instid1(VALU_DEP_1)
	v_add_nc_u32_e32 v125, v125, v126
	ds_swizzle_b32 v126, v125 offset:swizzle(BROADCAST,32,15)
	s_wait_dscnt 0x0
	v_cndmask_b32_e64 v126, v126, 0, s11
	v_add_nc_u32_e32 v125, v125, v126
	s_and_saveexec_b32 s15, s3
; %bb.104:                              ;   in Loop: Header=BB118_72 Depth=2
	ds_store_b32 v38, v125 offset:1024
; %bb.105:                              ;   in Loop: Header=BB118_72 Depth=2
	s_wait_alu 0xfffe
	s_or_b32 exec_lo, exec_lo, s15
	s_wait_loadcnt_dscnt 0x0
	s_barrier_signal -1
	s_barrier_wait -1
	global_inv scope:SCOPE_SE
	s_and_saveexec_b32 s15, s4
	s_cbranch_execz .LBB118_107
; %bb.106:                              ;   in Loop: Header=BB118_72 Depth=2
	v_add_nc_u32_e32 v126, v45, v46
	ds_load_b32 v127, v126 offset:1024
	s_wait_dscnt 0x0
	v_mov_b32_dpp v128, v127 row_shr:1 row_mask:0xf bank_mask:0xf
	s_delay_alu instid0(VALU_DEP_1) | instskip(NEXT) | instid1(VALU_DEP_1)
	v_cndmask_b32_e64 v128, v128, 0, s12
	v_add_nc_u32_e32 v127, v128, v127
	s_delay_alu instid0(VALU_DEP_1) | instskip(NEXT) | instid1(VALU_DEP_1)
	v_mov_b32_dpp v128, v127 row_shr:2 row_mask:0xf bank_mask:0xf
	v_cndmask_b32_e64 v128, 0, v128, s13
	s_delay_alu instid0(VALU_DEP_1) | instskip(NEXT) | instid1(VALU_DEP_1)
	v_add_nc_u32_e32 v127, v127, v128
	v_mov_b32_dpp v128, v127 row_shr:4 row_mask:0xf bank_mask:0xf
	s_delay_alu instid0(VALU_DEP_1) | instskip(NEXT) | instid1(VALU_DEP_1)
	v_cndmask_b32_e64 v128, 0, v128, s14
	v_add_nc_u32_e32 v127, v127, v128
	ds_store_b32 v126, v127 offset:1024
.LBB118_107:                            ;   in Loop: Header=BB118_72 Depth=2
	s_wait_alu 0xfffe
	s_or_b32 exec_lo, exec_lo, s15
	v_mov_b32_e32 v126, 0
	s_wait_loadcnt_dscnt 0x0
	s_barrier_signal -1
	s_barrier_wait -1
	global_inv scope:SCOPE_SE
	s_and_saveexec_b32 s15, s5
; %bb.108:                              ;   in Loop: Header=BB118_72 Depth=2
	ds_load_b32 v126, v38 offset:1020
; %bb.109:                              ;   in Loop: Header=BB118_72 Depth=2
	s_wait_alu 0xfffe
	s_or_b32 exec_lo, exec_lo, s15
	s_wait_dscnt 0x0
	v_add_nc_u32_e32 v125, v126, v125
	ds_bpermute_b32 v125, v80, v125
	s_wait_dscnt 0x0
	v_cndmask_b32_e64 v125, v125, v126, s8
	s_delay_alu instid0(VALU_DEP_1) | instskip(NEXT) | instid1(VALU_DEP_1)
	v_cndmask_b32_e64 v125, v125, 0, s6
	v_add_nc_u32_e32 v26, v125, v26
	s_delay_alu instid0(VALU_DEP_1) | instskip(NEXT) | instid1(VALU_DEP_1)
	v_add_nc_u32_e32 v27, v26, v27
	v_add_nc_u32_e32 v24, v27, v24
	s_delay_alu instid0(VALU_DEP_1) | instskip(NEXT) | instid1(VALU_DEP_1)
	v_add_nc_u32_e32 v25, v24, v25
	;; [unrolled: 3-line block ×3, first 2 shown]
	v_add_nc_u32_e32 v20, v23, v20
	s_delay_alu instid0(VALU_DEP_1)
	v_add_nc_u32_e32 v21, v20, v21
	ds_store_2addr_b32 v93, v23, v20 offset1:1
	ds_store_2addr_b32 v94, v125, v26 offset1:1
	;; [unrolled: 1-line block ×4, first 2 shown]
	ds_store_b32 v45, v21 offset:1088
	s_wait_loadcnt_dscnt 0x0
	s_barrier_signal -1
	s_barrier_wait -1
	global_inv scope:SCOPE_SE
	ds_load_b32 v20, v97 offset:1056
	ds_load_b32 v21, v101 offset:1056
	;; [unrolled: 1-line block ×9, first 2 shown]
	v_mov_b32_e32 v22, 0x800
	s_and_saveexec_b32 s15, s7
; %bb.110:                              ;   in Loop: Header=BB118_72 Depth=2
	ds_load_b32 v22, v45 offset:1092
; %bb.111:                              ;   in Loop: Header=BB118_72 Depth=2
	s_wait_alu 0xfffe
	s_or_b32 exec_lo, exec_lo, s15
	s_wait_loadcnt_dscnt 0x0
	s_barrier_signal -1
	s_barrier_wait -1
	global_inv scope:SCOPE_SE
	s_and_saveexec_b32 s15, s2
	s_cbranch_execz .LBB118_113
; %bb.112:                              ;   in Loop: Header=BB118_72 Depth=2
	ds_load_b32 v27, v28
	s_wait_dscnt 0x0
	v_sub_nc_u32_e32 v26, v27, v26
	ds_store_b32 v28, v26
.LBB118_113:                            ;   in Loop: Header=BB118_72 Depth=2
	s_wait_alu 0xfffe
	s_or_b32 exec_lo, exec_lo, s15
	v_add_nc_u32_e32 v94, v20, v91
	v_add3_u32 v93, v99, v98, v21
	v_add3_u32 v91, v103, v102, v23
	;; [unrolled: 1-line block ×7, first 2 shown]
	v_cmp_lt_u32_e64 s20, v1, v2
	ds_store_b8 v94, v90 offset:1024
	ds_store_b8 v93, v92 offset:1024
	;; [unrolled: 1-line block ×8, first 2 shown]
	s_wait_loadcnt_dscnt 0x0
	s_barrier_signal -1
	s_barrier_wait -1
	global_inv scope:SCOPE_SE
	s_and_saveexec_b32 s15, s20
	s_cbranch_execnz .LBB118_150
; %bb.114:                              ;   in Loop: Header=BB118_72 Depth=2
	s_wait_alu 0xfffe
	s_or_b32 exec_lo, exec_lo, s15
	v_cmp_lt_u32_e64 s21, v29, v2
	s_and_saveexec_b32 s15, s21
	s_cbranch_execnz .LBB118_151
.LBB118_115:                            ;   in Loop: Header=BB118_72 Depth=2
	s_wait_alu 0xfffe
	s_or_b32 exec_lo, exec_lo, s15
	v_cmp_lt_u32_e64 s19, v30, v2
	s_and_saveexec_b32 s15, s19
	s_cbranch_execnz .LBB118_152
.LBB118_116:                            ;   in Loop: Header=BB118_72 Depth=2
	s_wait_alu 0xfffe
	s_or_b32 exec_lo, exec_lo, s15
	v_cmp_lt_u32_e64 s18, v31, v2
	s_and_saveexec_b32 s15, s18
	s_cbranch_execnz .LBB118_153
.LBB118_117:                            ;   in Loop: Header=BB118_72 Depth=2
	s_wait_alu 0xfffe
	s_or_b32 exec_lo, exec_lo, s15
	v_cmp_lt_u32_e64 s17, v34, v2
	s_and_saveexec_b32 s15, s17
	s_cbranch_execnz .LBB118_154
.LBB118_118:                            ;   in Loop: Header=BB118_72 Depth=2
	s_wait_alu 0xfffe
	s_or_b32 exec_lo, exec_lo, s15
	v_cmp_lt_u32_e64 s16, v35, v2
	s_and_saveexec_b32 s15, s16
	s_cbranch_execnz .LBB118_155
.LBB118_119:                            ;   in Loop: Header=BB118_72 Depth=2
	s_wait_alu 0xfffe
	s_or_b32 exec_lo, exec_lo, s15
	v_cmp_lt_u32_e64 s15, v36, v2
	s_and_saveexec_b32 s44, s15
	s_cbranch_execnz .LBB118_156
.LBB118_120:                            ;   in Loop: Header=BB118_72 Depth=2
	s_wait_alu 0xfffe
	s_or_b32 exec_lo, exec_lo, s44
	v_cmp_lt_u32_e32 vcc_lo, v37, v2
	s_and_saveexec_b32 s44, vcc_lo
	s_cbranch_execz .LBB118_122
.LBB118_121:                            ;   in Loop: Header=BB118_72 Depth=2
	ds_load_u8 v20, v1 offset:2816
	s_wait_dscnt 0x0
	v_and_b32_e32 v21, 0xff, v20
	v_xor_b32_e32 v20, -1, v20
	s_delay_alu instid0(VALU_DEP_2) | instskip(NEXT) | instid1(VALU_DEP_1)
	v_lshrrev_b32_e32 v21, s30, v21
	v_and_b32_e32 v21, s31, v21
	s_delay_alu instid0(VALU_DEP_1)
	v_lshlrev_b32_e32 v21, 2, v21
	ds_load_b32 v21, v21
	s_wait_dscnt 0x0
	v_add_nc_u32_e32 v21, v21, v37
	global_store_b8 v21, v20, s[38:39]
.LBB118_122:                            ;   in Loop: Header=BB118_72 Depth=2
	s_wait_alu 0xfffe
	s_or_b32 exec_lo, exec_lo, s44
	s_lshl_b64 s[48:49], s[22:23], 3
	s_wait_alu 0xfffe
	v_add_co_u32 v20, s22, v69, s48
	s_wait_alu 0xf1ff
	v_add_co_ci_u32_e64 v21, null, s49, v70, s22
	v_cmp_lt_u32_e64 s22, v68, v2
	s_and_saveexec_b32 s44, s22
	s_wait_alu 0xfffe
	s_xor_b32 s22, exec_lo, s44
	s_cbranch_execnz .LBB118_157
; %bb.123:                              ;   in Loop: Header=BB118_72 Depth=2
	s_wait_alu 0xfffe
	s_or_b32 exec_lo, exec_lo, s22
	s_delay_alu instid0(SALU_CYCLE_1)
	s_mov_b32 s44, exec_lo
	v_cmpx_lt_u32_e64 v71, v2
	s_cbranch_execnz .LBB118_158
.LBB118_124:                            ;   in Loop: Header=BB118_72 Depth=2
	s_wait_alu 0xfffe
	s_or_b32 exec_lo, exec_lo, s44
	s_delay_alu instid0(SALU_CYCLE_1)
	s_mov_b32 s44, exec_lo
	v_cmpx_lt_u32_e64 v72, v2
	s_cbranch_execnz .LBB118_159
.LBB118_125:                            ;   in Loop: Header=BB118_72 Depth=2
	s_wait_alu 0xfffe
	s_or_b32 exec_lo, exec_lo, s44
	s_delay_alu instid0(SALU_CYCLE_1)
	s_mov_b32 s44, exec_lo
	v_cmpx_lt_u32_e64 v73, v2
	s_cbranch_execnz .LBB118_160
.LBB118_126:                            ;   in Loop: Header=BB118_72 Depth=2
	s_wait_alu 0xfffe
	s_or_b32 exec_lo, exec_lo, s44
	s_delay_alu instid0(SALU_CYCLE_1)
	s_mov_b32 s44, exec_lo
	v_cmpx_lt_u32_e64 v74, v2
	s_cbranch_execnz .LBB118_161
.LBB118_127:                            ;   in Loop: Header=BB118_72 Depth=2
	s_wait_alu 0xfffe
	s_or_b32 exec_lo, exec_lo, s44
	s_delay_alu instid0(SALU_CYCLE_1)
	s_mov_b32 s44, exec_lo
	v_cmpx_lt_u32_e64 v75, v2
	s_cbranch_execnz .LBB118_162
.LBB118_128:                            ;   in Loop: Header=BB118_72 Depth=2
	s_wait_alu 0xfffe
	s_or_b32 exec_lo, exec_lo, s44
	s_delay_alu instid0(SALU_CYCLE_1)
	s_mov_b32 s44, exec_lo
	v_cmpx_lt_u32_e64 v76, v2
	s_cbranch_execnz .LBB118_163
.LBB118_129:                            ;   in Loop: Header=BB118_72 Depth=2
	s_wait_alu 0xfffe
	s_or_b32 exec_lo, exec_lo, s44
	s_delay_alu instid0(SALU_CYCLE_1)
	s_mov_b32 s44, exec_lo
	v_cmpx_lt_u32_e64 v77, v2
	s_cbranch_execnz .LBB118_164
.LBB118_130:                            ;   in Loop: Header=BB118_72 Depth=2
	s_wait_alu 0xfffe
	s_or_b32 exec_lo, exec_lo, s44
	s_and_saveexec_b32 s22, s20
	s_cbranch_execnz .LBB118_165
.LBB118_131:                            ;   in Loop: Header=BB118_72 Depth=2
	s_wait_alu 0xfffe
	s_or_b32 exec_lo, exec_lo, s22
	s_and_saveexec_b32 s22, s21
	s_cbranch_execnz .LBB118_166
.LBB118_132:                            ;   in Loop: Header=BB118_72 Depth=2
	s_wait_alu 0xfffe
	s_or_b32 exec_lo, exec_lo, s22
	s_and_saveexec_b32 s22, s19
	s_cbranch_execnz .LBB118_167
.LBB118_133:                            ;   in Loop: Header=BB118_72 Depth=2
	s_wait_alu 0xfffe
	s_or_b32 exec_lo, exec_lo, s22
	s_and_saveexec_b32 s22, s18
	s_cbranch_execnz .LBB118_168
.LBB118_134:                            ;   in Loop: Header=BB118_72 Depth=2
	s_wait_alu 0xfffe
	s_or_b32 exec_lo, exec_lo, s22
	s_and_saveexec_b32 s22, s17
	s_cbranch_execnz .LBB118_169
.LBB118_135:                            ;   in Loop: Header=BB118_72 Depth=2
	s_wait_alu 0xfffe
	s_or_b32 exec_lo, exec_lo, s22
	s_and_saveexec_b32 s22, s16
	s_cbranch_execnz .LBB118_170
.LBB118_136:                            ;   in Loop: Header=BB118_72 Depth=2
	s_wait_alu 0xfffe
	s_or_b32 exec_lo, exec_lo, s22
	s_and_saveexec_b32 s22, s15
	s_cbranch_execnz .LBB118_171
.LBB118_137:                            ;   in Loop: Header=BB118_72 Depth=2
	s_wait_alu 0xfffe
	s_or_b32 exec_lo, exec_lo, s22
	s_and_saveexec_b32 s22, vcc_lo
	s_cbranch_execz .LBB118_139
.LBB118_138:                            ;   in Loop: Header=BB118_72 Depth=2
	ds_load_u8 v2, v1 offset:2816
	s_wait_dscnt 0x0
	v_lshrrev_b32_e32 v2, s30, v2
	s_delay_alu instid0(VALU_DEP_1)
	v_and_b32_e32 v82, s31, v2
.LBB118_139:                            ;   in Loop: Header=BB118_72 Depth=2
	s_wait_alu 0xfffe
	s_or_b32 exec_lo, exec_lo, s22
	v_lshlrev_b32_e32 v2, 3, v94
	v_lshlrev_b32_e32 v20, 3, v93
	;; [unrolled: 1-line block ×3, first 2 shown]
	s_wait_loadcnt 0x0
	s_wait_storecnt 0x0
	s_barrier_signal -1
	s_barrier_wait -1
	global_inv scope:SCOPE_SE
	ds_store_b64 v2, v[18:19] offset:1024
	ds_store_b64 v20, v[16:17] offset:1024
	;; [unrolled: 1-line block ×3, first 2 shown]
	v_lshlrev_b32_e32 v2, 3, v27
	v_lshlrev_b32_e32 v20, 3, v26
	;; [unrolled: 1-line block ×5, first 2 shown]
	ds_store_b64 v2, v[12:13] offset:1024
	ds_store_b64 v20, v[10:11] offset:1024
	;; [unrolled: 1-line block ×5, first 2 shown]
	s_wait_loadcnt_dscnt 0x0
	s_barrier_signal -1
	s_barrier_wait -1
	global_inv scope:SCOPE_SE
	s_and_saveexec_b32 s22, s20
	s_cbranch_execnz .LBB118_172
; %bb.140:                              ;   in Loop: Header=BB118_72 Depth=2
	s_wait_alu 0xfffe
	s_or_b32 exec_lo, exec_lo, s22
	s_and_saveexec_b32 s22, s21
	s_cbranch_execnz .LBB118_173
.LBB118_141:                            ;   in Loop: Header=BB118_72 Depth=2
	s_wait_alu 0xfffe
	s_or_b32 exec_lo, exec_lo, s22
	s_and_saveexec_b32 s20, s19
	s_cbranch_execnz .LBB118_174
.LBB118_142:                            ;   in Loop: Header=BB118_72 Depth=2
	s_wait_alu 0xfffe
	s_or_b32 exec_lo, exec_lo, s20
	s_and_saveexec_b32 s19, s18
	s_cbranch_execnz .LBB118_175
.LBB118_143:                            ;   in Loop: Header=BB118_72 Depth=2
	s_wait_alu 0xfffe
	s_or_b32 exec_lo, exec_lo, s19
	s_and_saveexec_b32 s18, s17
	s_cbranch_execnz .LBB118_176
.LBB118_144:                            ;   in Loop: Header=BB118_72 Depth=2
	s_wait_alu 0xfffe
	s_or_b32 exec_lo, exec_lo, s18
	s_and_saveexec_b32 s17, s16
	s_cbranch_execnz .LBB118_177
.LBB118_145:                            ;   in Loop: Header=BB118_72 Depth=2
	s_wait_alu 0xfffe
	s_or_b32 exec_lo, exec_lo, s17
	s_and_saveexec_b32 s16, s15
	s_cbranch_execnz .LBB118_178
.LBB118_146:                            ;   in Loop: Header=BB118_72 Depth=2
	s_wait_alu 0xfffe
	s_or_b32 exec_lo, exec_lo, s16
	s_and_saveexec_b32 s15, vcc_lo
	s_cbranch_execz .LBB118_148
.LBB118_147:                            ;   in Loop: Header=BB118_72 Depth=2
	v_lshlrev_b32_e32 v2, 2, v82
	v_add_nc_u32_e32 v20, v1, v47
	ds_load_b32 v2, v2
	ds_load_b64 v[20:21], v20 offset:15360
	s_wait_dscnt 0x1
	v_add_nc_u32_e32 v2, v2, v37
	s_delay_alu instid0(VALU_DEP_1) | instskip(NEXT) | instid1(VALU_DEP_1)
	v_lshlrev_b64_e32 v[23:24], 3, v[2:3]
	v_add_co_u32 v23, vcc_lo, s24, v23
	s_wait_alu 0xfffd
	s_delay_alu instid0(VALU_DEP_2)
	v_add_co_ci_u32_e64 v24, null, s25, v24, vcc_lo
	s_wait_dscnt 0x0
	global_store_b64 v[23:24], v[20:21], off
.LBB118_148:                            ;   in Loop: Header=BB118_72 Depth=2
	s_wait_alu 0xfffe
	s_or_b32 exec_lo, exec_lo, s15
	s_wait_loadcnt 0x0
	s_wait_storecnt 0x0
	s_barrier_signal -1
	s_barrier_wait -1
	global_inv scope:SCOPE_SE
	s_and_saveexec_b32 s15, s2
	s_cbranch_execz .LBB118_71
; %bb.149:                              ;   in Loop: Header=BB118_72 Depth=2
	ds_load_b32 v2, v28
	s_wait_dscnt 0x0
	v_add_nc_u32_e32 v2, v2, v22
	ds_store_b32 v28, v2
	s_branch .LBB118_71
.LBB118_150:                            ;   in Loop: Header=BB118_72 Depth=2
	ds_load_u8 v20, v1 offset:1024
	s_wait_dscnt 0x0
	v_and_b32_e32 v21, 0xff, v20
	v_xor_b32_e32 v20, -1, v20
	s_delay_alu instid0(VALU_DEP_2) | instskip(NEXT) | instid1(VALU_DEP_1)
	v_lshrrev_b32_e32 v21, s30, v21
	v_and_b32_e32 v21, s31, v21
	s_delay_alu instid0(VALU_DEP_1)
	v_lshlrev_b32_e32 v21, 2, v21
	ds_load_b32 v21, v21
	s_wait_dscnt 0x0
	v_add_nc_u32_e32 v21, v21, v1
	global_store_b8 v21, v20, s[38:39]
	s_wait_alu 0xfffe
	s_or_b32 exec_lo, exec_lo, s15
	v_cmp_lt_u32_e64 s21, v29, v2
	s_and_saveexec_b32 s15, s21
	s_cbranch_execz .LBB118_115
.LBB118_151:                            ;   in Loop: Header=BB118_72 Depth=2
	ds_load_u8 v20, v1 offset:1280
	s_wait_dscnt 0x0
	v_and_b32_e32 v21, 0xff, v20
	v_xor_b32_e32 v20, -1, v20
	s_delay_alu instid0(VALU_DEP_2) | instskip(NEXT) | instid1(VALU_DEP_1)
	v_lshrrev_b32_e32 v21, s30, v21
	v_and_b32_e32 v21, s31, v21
	s_delay_alu instid0(VALU_DEP_1)
	v_lshlrev_b32_e32 v21, 2, v21
	ds_load_b32 v21, v21
	s_wait_dscnt 0x0
	v_add_nc_u32_e32 v21, v21, v29
	global_store_b8 v21, v20, s[38:39]
	s_wait_alu 0xfffe
	s_or_b32 exec_lo, exec_lo, s15
	v_cmp_lt_u32_e64 s19, v30, v2
	s_and_saveexec_b32 s15, s19
	s_cbranch_execz .LBB118_116
.LBB118_152:                            ;   in Loop: Header=BB118_72 Depth=2
	ds_load_u8 v20, v1 offset:1536
	s_wait_dscnt 0x0
	v_and_b32_e32 v21, 0xff, v20
	v_xor_b32_e32 v20, -1, v20
	s_delay_alu instid0(VALU_DEP_2) | instskip(NEXT) | instid1(VALU_DEP_1)
	v_lshrrev_b32_e32 v21, s30, v21
	v_and_b32_e32 v21, s31, v21
	s_delay_alu instid0(VALU_DEP_1)
	v_lshlrev_b32_e32 v21, 2, v21
	ds_load_b32 v21, v21
	s_wait_dscnt 0x0
	v_add_nc_u32_e32 v21, v21, v30
	global_store_b8 v21, v20, s[38:39]
	s_wait_alu 0xfffe
	s_or_b32 exec_lo, exec_lo, s15
	v_cmp_lt_u32_e64 s18, v31, v2
	s_and_saveexec_b32 s15, s18
	s_cbranch_execz .LBB118_117
.LBB118_153:                            ;   in Loop: Header=BB118_72 Depth=2
	ds_load_u8 v20, v1 offset:1792
	s_wait_dscnt 0x0
	v_and_b32_e32 v21, 0xff, v20
	v_xor_b32_e32 v20, -1, v20
	s_delay_alu instid0(VALU_DEP_2) | instskip(NEXT) | instid1(VALU_DEP_1)
	v_lshrrev_b32_e32 v21, s30, v21
	v_and_b32_e32 v21, s31, v21
	s_delay_alu instid0(VALU_DEP_1)
	v_lshlrev_b32_e32 v21, 2, v21
	ds_load_b32 v21, v21
	s_wait_dscnt 0x0
	v_add_nc_u32_e32 v21, v21, v31
	global_store_b8 v21, v20, s[38:39]
	s_wait_alu 0xfffe
	s_or_b32 exec_lo, exec_lo, s15
	v_cmp_lt_u32_e64 s17, v34, v2
	s_and_saveexec_b32 s15, s17
	s_cbranch_execz .LBB118_118
.LBB118_154:                            ;   in Loop: Header=BB118_72 Depth=2
	ds_load_u8 v20, v1 offset:2048
	s_wait_dscnt 0x0
	v_and_b32_e32 v21, 0xff, v20
	v_xor_b32_e32 v20, -1, v20
	s_delay_alu instid0(VALU_DEP_2) | instskip(NEXT) | instid1(VALU_DEP_1)
	v_lshrrev_b32_e32 v21, s30, v21
	v_and_b32_e32 v21, s31, v21
	s_delay_alu instid0(VALU_DEP_1)
	v_lshlrev_b32_e32 v21, 2, v21
	ds_load_b32 v21, v21
	s_wait_dscnt 0x0
	v_add_nc_u32_e32 v21, v21, v34
	global_store_b8 v21, v20, s[38:39]
	s_wait_alu 0xfffe
	s_or_b32 exec_lo, exec_lo, s15
	v_cmp_lt_u32_e64 s16, v35, v2
	s_and_saveexec_b32 s15, s16
	s_cbranch_execz .LBB118_119
.LBB118_155:                            ;   in Loop: Header=BB118_72 Depth=2
	ds_load_u8 v20, v1 offset:2304
	s_wait_dscnt 0x0
	v_and_b32_e32 v21, 0xff, v20
	v_xor_b32_e32 v20, -1, v20
	s_delay_alu instid0(VALU_DEP_2) | instskip(NEXT) | instid1(VALU_DEP_1)
	v_lshrrev_b32_e32 v21, s30, v21
	v_and_b32_e32 v21, s31, v21
	s_delay_alu instid0(VALU_DEP_1)
	v_lshlrev_b32_e32 v21, 2, v21
	ds_load_b32 v21, v21
	s_wait_dscnt 0x0
	v_add_nc_u32_e32 v21, v21, v35
	global_store_b8 v21, v20, s[38:39]
	s_wait_alu 0xfffe
	s_or_b32 exec_lo, exec_lo, s15
	v_cmp_lt_u32_e64 s15, v36, v2
	s_and_saveexec_b32 s44, s15
	s_cbranch_execz .LBB118_120
.LBB118_156:                            ;   in Loop: Header=BB118_72 Depth=2
	ds_load_u8 v20, v1 offset:2560
	s_wait_dscnt 0x0
	v_and_b32_e32 v21, 0xff, v20
	v_xor_b32_e32 v20, -1, v20
	s_delay_alu instid0(VALU_DEP_2) | instskip(NEXT) | instid1(VALU_DEP_1)
	v_lshrrev_b32_e32 v21, s30, v21
	v_and_b32_e32 v21, s31, v21
	s_delay_alu instid0(VALU_DEP_1)
	v_lshlrev_b32_e32 v21, 2, v21
	ds_load_b32 v21, v21
	s_wait_dscnt 0x0
	v_add_nc_u32_e32 v21, v21, v36
	global_store_b8 v21, v20, s[38:39]
	s_wait_alu 0xfffe
	s_or_b32 exec_lo, exec_lo, s44
	v_cmp_lt_u32_e32 vcc_lo, v37, v2
	s_and_saveexec_b32 s44, vcc_lo
	s_cbranch_execnz .LBB118_121
	s_branch .LBB118_122
.LBB118_157:                            ;   in Loop: Header=BB118_72 Depth=2
	global_load_b64 v[18:19], v[20:21], off
	s_wait_alu 0xfffe
	s_or_b32 exec_lo, exec_lo, s22
	s_delay_alu instid0(SALU_CYCLE_1)
	s_mov_b32 s44, exec_lo
	v_cmpx_lt_u32_e64 v71, v2
	s_cbranch_execz .LBB118_124
.LBB118_158:                            ;   in Loop: Header=BB118_72 Depth=2
	global_load_b64 v[16:17], v[20:21], off offset:256
	s_wait_alu 0xfffe
	s_or_b32 exec_lo, exec_lo, s44
	s_delay_alu instid0(SALU_CYCLE_1)
	s_mov_b32 s44, exec_lo
	v_cmpx_lt_u32_e64 v72, v2
	s_cbranch_execz .LBB118_125
.LBB118_159:                            ;   in Loop: Header=BB118_72 Depth=2
	global_load_b64 v[14:15], v[20:21], off offset:512
	s_wait_alu 0xfffe
	s_or_b32 exec_lo, exec_lo, s44
	s_delay_alu instid0(SALU_CYCLE_1)
	s_mov_b32 s44, exec_lo
	v_cmpx_lt_u32_e64 v73, v2
	s_cbranch_execz .LBB118_126
.LBB118_160:                            ;   in Loop: Header=BB118_72 Depth=2
	global_load_b64 v[12:13], v[20:21], off offset:768
	s_wait_alu 0xfffe
	s_or_b32 exec_lo, exec_lo, s44
	s_delay_alu instid0(SALU_CYCLE_1)
	s_mov_b32 s44, exec_lo
	v_cmpx_lt_u32_e64 v74, v2
	s_cbranch_execz .LBB118_127
.LBB118_161:                            ;   in Loop: Header=BB118_72 Depth=2
	global_load_b64 v[10:11], v[20:21], off offset:1024
	s_wait_alu 0xfffe
	s_or_b32 exec_lo, exec_lo, s44
	s_delay_alu instid0(SALU_CYCLE_1)
	s_mov_b32 s44, exec_lo
	v_cmpx_lt_u32_e64 v75, v2
	s_cbranch_execz .LBB118_128
.LBB118_162:                            ;   in Loop: Header=BB118_72 Depth=2
	global_load_b64 v[8:9], v[20:21], off offset:1280
	s_wait_alu 0xfffe
	s_or_b32 exec_lo, exec_lo, s44
	s_delay_alu instid0(SALU_CYCLE_1)
	s_mov_b32 s44, exec_lo
	v_cmpx_lt_u32_e64 v76, v2
	s_cbranch_execz .LBB118_129
.LBB118_163:                            ;   in Loop: Header=BB118_72 Depth=2
	global_load_b64 v[6:7], v[20:21], off offset:1536
	s_wait_alu 0xfffe
	s_or_b32 exec_lo, exec_lo, s44
	s_delay_alu instid0(SALU_CYCLE_1)
	s_mov_b32 s44, exec_lo
	v_cmpx_lt_u32_e64 v77, v2
	s_cbranch_execz .LBB118_130
.LBB118_164:                            ;   in Loop: Header=BB118_72 Depth=2
	global_load_b64 v[4:5], v[20:21], off offset:1792
	s_wait_alu 0xfffe
	s_or_b32 exec_lo, exec_lo, s44
	s_and_saveexec_b32 s22, s20
	s_cbranch_execz .LBB118_131
.LBB118_165:                            ;   in Loop: Header=BB118_72 Depth=2
	ds_load_u8 v2, v1 offset:1024
	s_wait_dscnt 0x0
	v_lshrrev_b32_e32 v2, s30, v2
	s_delay_alu instid0(VALU_DEP_1)
	v_and_b32_e32 v89, s31, v2
	s_wait_alu 0xfffe
	s_or_b32 exec_lo, exec_lo, s22
	s_and_saveexec_b32 s22, s21
	s_cbranch_execz .LBB118_132
.LBB118_166:                            ;   in Loop: Header=BB118_72 Depth=2
	ds_load_u8 v2, v1 offset:1280
	s_wait_dscnt 0x0
	v_lshrrev_b32_e32 v2, s30, v2
	s_delay_alu instid0(VALU_DEP_1)
	v_and_b32_e32 v88, s31, v2
	s_wait_alu 0xfffe
	s_or_b32 exec_lo, exec_lo, s22
	s_and_saveexec_b32 s22, s19
	s_cbranch_execz .LBB118_133
.LBB118_167:                            ;   in Loop: Header=BB118_72 Depth=2
	ds_load_u8 v2, v1 offset:1536
	s_wait_dscnt 0x0
	v_lshrrev_b32_e32 v2, s30, v2
	s_delay_alu instid0(VALU_DEP_1)
	v_and_b32_e32 v87, s31, v2
	s_wait_alu 0xfffe
	s_or_b32 exec_lo, exec_lo, s22
	s_and_saveexec_b32 s22, s18
	s_cbranch_execz .LBB118_134
.LBB118_168:                            ;   in Loop: Header=BB118_72 Depth=2
	ds_load_u8 v2, v1 offset:1792
	s_wait_dscnt 0x0
	v_lshrrev_b32_e32 v2, s30, v2
	s_delay_alu instid0(VALU_DEP_1)
	v_and_b32_e32 v86, s31, v2
	s_wait_alu 0xfffe
	s_or_b32 exec_lo, exec_lo, s22
	s_and_saveexec_b32 s22, s17
	s_cbranch_execz .LBB118_135
.LBB118_169:                            ;   in Loop: Header=BB118_72 Depth=2
	ds_load_u8 v2, v1 offset:2048
	s_wait_dscnt 0x0
	v_lshrrev_b32_e32 v2, s30, v2
	s_delay_alu instid0(VALU_DEP_1)
	v_and_b32_e32 v85, s31, v2
	s_wait_alu 0xfffe
	s_or_b32 exec_lo, exec_lo, s22
	s_and_saveexec_b32 s22, s16
	s_cbranch_execz .LBB118_136
.LBB118_170:                            ;   in Loop: Header=BB118_72 Depth=2
	ds_load_u8 v2, v1 offset:2304
	s_wait_dscnt 0x0
	v_lshrrev_b32_e32 v2, s30, v2
	s_delay_alu instid0(VALU_DEP_1)
	v_and_b32_e32 v84, s31, v2
	s_wait_alu 0xfffe
	s_or_b32 exec_lo, exec_lo, s22
	s_and_saveexec_b32 s22, s15
	s_cbranch_execz .LBB118_137
.LBB118_171:                            ;   in Loop: Header=BB118_72 Depth=2
	ds_load_u8 v2, v1 offset:2560
	s_wait_dscnt 0x0
	v_lshrrev_b32_e32 v2, s30, v2
	s_delay_alu instid0(VALU_DEP_1)
	v_and_b32_e32 v83, s31, v2
	s_wait_alu 0xfffe
	s_or_b32 exec_lo, exec_lo, s22
	s_and_saveexec_b32 s22, vcc_lo
	s_cbranch_execnz .LBB118_138
	s_branch .LBB118_139
.LBB118_172:                            ;   in Loop: Header=BB118_72 Depth=2
	v_lshlrev_b32_e32 v2, 2, v89
	v_add_nc_u32_e32 v20, v1, v47
	ds_load_b32 v2, v2
	ds_load_b64 v[20:21], v20 offset:1024
	s_wait_dscnt 0x1
	v_add_nc_u32_e32 v2, v2, v1
	s_delay_alu instid0(VALU_DEP_1) | instskip(NEXT) | instid1(VALU_DEP_1)
	v_lshlrev_b64_e32 v[23:24], 3, v[2:3]
	v_add_co_u32 v23, s20, s24, v23
	s_wait_alu 0xf1ff
	s_delay_alu instid0(VALU_DEP_2)
	v_add_co_ci_u32_e64 v24, null, s25, v24, s20
	s_wait_dscnt 0x0
	global_store_b64 v[23:24], v[20:21], off
	s_wait_alu 0xfffe
	s_or_b32 exec_lo, exec_lo, s22
	s_and_saveexec_b32 s22, s21
	s_cbranch_execz .LBB118_141
.LBB118_173:                            ;   in Loop: Header=BB118_72 Depth=2
	v_lshlrev_b32_e32 v2, 2, v88
	v_add_nc_u32_e32 v20, v1, v47
	ds_load_b32 v2, v2
	ds_load_b64 v[20:21], v20 offset:3072
	s_wait_dscnt 0x1
	v_add_nc_u32_e32 v2, v2, v29
	s_delay_alu instid0(VALU_DEP_1) | instskip(NEXT) | instid1(VALU_DEP_1)
	v_lshlrev_b64_e32 v[23:24], 3, v[2:3]
	v_add_co_u32 v23, s20, s24, v23
	s_wait_alu 0xf1ff
	s_delay_alu instid0(VALU_DEP_2)
	v_add_co_ci_u32_e64 v24, null, s25, v24, s20
	s_wait_dscnt 0x0
	global_store_b64 v[23:24], v[20:21], off
	s_wait_alu 0xfffe
	s_or_b32 exec_lo, exec_lo, s22
	s_and_saveexec_b32 s20, s19
	s_cbranch_execz .LBB118_142
.LBB118_174:                            ;   in Loop: Header=BB118_72 Depth=2
	v_lshlrev_b32_e32 v2, 2, v87
	v_add_nc_u32_e32 v20, v1, v47
	ds_load_b32 v2, v2
	ds_load_b64 v[20:21], v20 offset:5120
	s_wait_dscnt 0x1
	v_add_nc_u32_e32 v2, v2, v30
	s_delay_alu instid0(VALU_DEP_1) | instskip(NEXT) | instid1(VALU_DEP_1)
	v_lshlrev_b64_e32 v[23:24], 3, v[2:3]
	v_add_co_u32 v23, s19, s24, v23
	s_wait_alu 0xf1ff
	s_delay_alu instid0(VALU_DEP_2)
	v_add_co_ci_u32_e64 v24, null, s25, v24, s19
	s_wait_dscnt 0x0
	global_store_b64 v[23:24], v[20:21], off
	s_wait_alu 0xfffe
	s_or_b32 exec_lo, exec_lo, s20
	s_and_saveexec_b32 s19, s18
	s_cbranch_execz .LBB118_143
.LBB118_175:                            ;   in Loop: Header=BB118_72 Depth=2
	v_lshlrev_b32_e32 v2, 2, v86
	v_add_nc_u32_e32 v20, v1, v47
	ds_load_b32 v2, v2
	ds_load_b64 v[20:21], v20 offset:7168
	s_wait_dscnt 0x1
	v_add_nc_u32_e32 v2, v2, v31
	s_delay_alu instid0(VALU_DEP_1) | instskip(NEXT) | instid1(VALU_DEP_1)
	v_lshlrev_b64_e32 v[23:24], 3, v[2:3]
	v_add_co_u32 v23, s18, s24, v23
	s_wait_alu 0xf1ff
	s_delay_alu instid0(VALU_DEP_2)
	v_add_co_ci_u32_e64 v24, null, s25, v24, s18
	s_wait_dscnt 0x0
	global_store_b64 v[23:24], v[20:21], off
	s_wait_alu 0xfffe
	s_or_b32 exec_lo, exec_lo, s19
	s_and_saveexec_b32 s18, s17
	s_cbranch_execz .LBB118_144
.LBB118_176:                            ;   in Loop: Header=BB118_72 Depth=2
	v_lshlrev_b32_e32 v2, 2, v85
	v_add_nc_u32_e32 v20, v1, v47
	ds_load_b32 v2, v2
	ds_load_b64 v[20:21], v20 offset:9216
	s_wait_dscnt 0x1
	v_add_nc_u32_e32 v2, v2, v34
	s_delay_alu instid0(VALU_DEP_1) | instskip(NEXT) | instid1(VALU_DEP_1)
	v_lshlrev_b64_e32 v[23:24], 3, v[2:3]
	v_add_co_u32 v23, s17, s24, v23
	s_wait_alu 0xf1ff
	s_delay_alu instid0(VALU_DEP_2)
	v_add_co_ci_u32_e64 v24, null, s25, v24, s17
	s_wait_dscnt 0x0
	global_store_b64 v[23:24], v[20:21], off
	s_wait_alu 0xfffe
	s_or_b32 exec_lo, exec_lo, s18
	s_and_saveexec_b32 s17, s16
	s_cbranch_execz .LBB118_145
.LBB118_177:                            ;   in Loop: Header=BB118_72 Depth=2
	v_lshlrev_b32_e32 v2, 2, v84
	v_add_nc_u32_e32 v20, v1, v47
	ds_load_b32 v2, v2
	ds_load_b64 v[20:21], v20 offset:11264
	s_wait_dscnt 0x1
	v_add_nc_u32_e32 v2, v2, v35
	s_delay_alu instid0(VALU_DEP_1) | instskip(NEXT) | instid1(VALU_DEP_1)
	v_lshlrev_b64_e32 v[23:24], 3, v[2:3]
	v_add_co_u32 v23, s16, s24, v23
	s_wait_alu 0xf1ff
	s_delay_alu instid0(VALU_DEP_2)
	v_add_co_ci_u32_e64 v24, null, s25, v24, s16
	s_wait_dscnt 0x0
	global_store_b64 v[23:24], v[20:21], off
	s_wait_alu 0xfffe
	s_or_b32 exec_lo, exec_lo, s17
	s_and_saveexec_b32 s16, s15
	s_cbranch_execz .LBB118_146
.LBB118_178:                            ;   in Loop: Header=BB118_72 Depth=2
	v_lshlrev_b32_e32 v2, 2, v83
	v_add_nc_u32_e32 v20, v1, v47
	ds_load_b32 v2, v2
	ds_load_b64 v[20:21], v20 offset:13312
	s_wait_dscnt 0x1
	v_add_nc_u32_e32 v2, v2, v36
	s_delay_alu instid0(VALU_DEP_1) | instskip(NEXT) | instid1(VALU_DEP_1)
	v_lshlrev_b64_e32 v[23:24], 3, v[2:3]
	v_add_co_u32 v23, s15, s24, v23
	s_wait_alu 0xf1ff
	s_delay_alu instid0(VALU_DEP_2)
	v_add_co_ci_u32_e64 v24, null, s25, v24, s15
	s_wait_dscnt 0x0
	global_store_b64 v[23:24], v[20:21], off
	s_wait_alu 0xfffe
	s_or_b32 exec_lo, exec_lo, s16
	s_and_saveexec_b32 s15, vcc_lo
	s_cbranch_execnz .LBB118_147
	s_branch .LBB118_148
.LBB118_179:                            ;   in Loop: Header=BB118_72 Depth=2
	global_load_u8 v92, v[20:21], off offset:32
	s_wait_alu 0xfffe
	s_or_b32 exec_lo, exec_lo, s15
	s_delay_alu instid0(SALU_CYCLE_1)
	s_mov_b32 s15, exec_lo
	v_cmpx_gt_u32_e64 s42, v72
	s_cbranch_execz .LBB118_79
.LBB118_180:                            ;   in Loop: Header=BB118_72 Depth=2
	global_load_u8 v27, v[20:21], off offset:64
	s_wait_alu 0xfffe
	s_or_b32 exec_lo, exec_lo, s15
	s_delay_alu instid0(SALU_CYCLE_1)
	s_mov_b32 s15, exec_lo
	v_cmpx_gt_u32_e64 s42, v73
	s_cbranch_execz .LBB118_80
.LBB118_181:                            ;   in Loop: Header=BB118_72 Depth=2
	global_load_u8 v26, v[20:21], off offset:96
	s_wait_alu 0xfffe
	s_or_b32 exec_lo, exec_lo, s15
	s_delay_alu instid0(SALU_CYCLE_1)
	s_mov_b32 s15, exec_lo
	v_cmpx_gt_u32_e64 s42, v74
	s_cbranch_execz .LBB118_81
.LBB118_182:                            ;   in Loop: Header=BB118_72 Depth=2
	global_load_u8 v25, v[20:21], off offset:128
	s_wait_alu 0xfffe
	s_or_b32 exec_lo, exec_lo, s15
	s_delay_alu instid0(SALU_CYCLE_1)
	s_mov_b32 s15, exec_lo
	v_cmpx_gt_u32_e64 s42, v75
	s_cbranch_execz .LBB118_82
.LBB118_183:                            ;   in Loop: Header=BB118_72 Depth=2
	global_load_u8 v24, v[20:21], off offset:160
	s_wait_alu 0xfffe
	s_or_b32 exec_lo, exec_lo, s15
	s_delay_alu instid0(SALU_CYCLE_1)
	s_mov_b32 s15, exec_lo
	v_cmpx_gt_u32_e64 s42, v76
	s_cbranch_execnz .LBB118_83
	s_branch .LBB118_84
.LBB118_184:                            ;   in Loop: Header=BB118_20 Depth=1
	s_wait_loadcnt_dscnt 0x0
	s_barrier_signal -1
	s_mov_b32 s0, 0
	s_barrier_wait -1
.LBB118_185:                            ;   in Loop: Header=BB118_20 Depth=1
	s_wait_alu 0xfffe
	s_and_b32 vcc_lo, exec_lo, s0
	s_wait_alu 0xfffe
	s_cbranch_vccz .LBB118_349
; %bb.186:                              ;   in Loop: Header=BB118_20 Depth=1
	v_dual_mov_b32 v7, 0 :: v_dual_mov_b32 v10, 0
	v_dual_mov_b32 v9, 0 :: v_dual_mov_b32 v8, 0
	v_dual_mov_b32 v6, 0 :: v_dual_mov_b32 v5, 0
	v_mov_b32_e32 v4, 0
	v_mov_b32_e32 v2, 0
	s_mov_b32 s9, s47
	s_mov_b32 s22, s33
	s_barrier_signal -1
	s_barrier_wait -1
	global_inv scope:SCOPE_SE
	s_branch .LBB118_188
.LBB118_187:                            ;   in Loop: Header=BB118_188 Depth=2
	s_wait_alu 0xfffe
	s_or_b32 exec_lo, exec_lo, s0
	s_addk_co_i32 s9, 0xf800
	s_cmp_ge_u32 s10, s34
	s_mov_b32 s22, s10
	s_cbranch_scc1 .LBB118_224
.LBB118_188:                            ;   Parent Loop BB118_20 Depth=1
                                        ; =>  This Inner Loop Header: Depth=2
	s_wait_alu 0xfffe
	s_add_co_i32 s10, s22, 0x800
	s_mov_b32 s0, -1
	s_wait_alu 0xfffe
	s_cmp_gt_u32 s10, s34
                                        ; implicit-def: $vgpr11
                                        ; implicit-def: $vgpr12
                                        ; implicit-def: $vgpr13
                                        ; implicit-def: $vgpr14
                                        ; implicit-def: $vgpr15
                                        ; implicit-def: $vgpr16
                                        ; implicit-def: $vgpr17
                                        ; implicit-def: $vgpr18
	s_cbranch_scc1 .LBB118_190
; %bb.189:                              ;   in Loop: Header=BB118_188 Depth=2
	v_add_co_u32 v19, vcc_lo, v48, s22
	s_wait_alu 0xfffd
	v_add_co_ci_u32_e64 v20, null, 0, v49, vcc_lo
	s_mov_b32 s0, 0
	s_clause 0x7
	global_load_u8 v18, v[19:20], off offset:1792
	global_load_u8 v17, v[19:20], off offset:1536
	;; [unrolled: 1-line block ×7, first 2 shown]
	global_load_u8 v11, v[19:20], off
.LBB118_190:                            ;   in Loop: Header=BB118_188 Depth=2
	s_wait_alu 0xfffe
	s_and_not1_b32 vcc_lo, exec_lo, s0
	s_movk_i32 s0, 0x800
	s_wait_alu 0xfffe
	s_cbranch_vccnz .LBB118_201
; %bb.191:                              ;   in Loop: Header=BB118_188 Depth=2
	s_add_nc_u64 s[0:1], s[38:39], s[22:23]
	s_mov_b32 s11, exec_lo
	v_cmpx_gt_u32_e64 s9, v1
	s_cbranch_execnz .LBB118_217
; %bb.192:                              ;   in Loop: Header=BB118_188 Depth=2
	s_wait_alu 0xfffe
	s_or_b32 exec_lo, exec_lo, s11
	s_delay_alu instid0(SALU_CYCLE_1)
	s_mov_b32 s11, exec_lo
	v_cmpx_gt_u32_e64 s9, v29
	s_cbranch_execnz .LBB118_218
.LBB118_193:                            ;   in Loop: Header=BB118_188 Depth=2
	s_wait_alu 0xfffe
	s_or_b32 exec_lo, exec_lo, s11
	s_delay_alu instid0(SALU_CYCLE_1)
	s_mov_b32 s11, exec_lo
	v_cmpx_gt_u32_e64 s9, v30
	s_cbranch_execnz .LBB118_219
.LBB118_194:                            ;   in Loop: Header=BB118_188 Depth=2
	s_wait_alu 0xfffe
	s_or_b32 exec_lo, exec_lo, s11
	s_delay_alu instid0(SALU_CYCLE_1)
	s_mov_b32 s11, exec_lo
	v_cmpx_gt_u32_e64 s9, v31
	s_cbranch_execnz .LBB118_220
.LBB118_195:                            ;   in Loop: Header=BB118_188 Depth=2
	s_wait_alu 0xfffe
	s_or_b32 exec_lo, exec_lo, s11
	s_delay_alu instid0(SALU_CYCLE_1)
	s_mov_b32 s11, exec_lo
	v_cmpx_gt_u32_e64 s9, v34
	s_cbranch_execnz .LBB118_221
.LBB118_196:                            ;   in Loop: Header=BB118_188 Depth=2
	s_wait_alu 0xfffe
	s_or_b32 exec_lo, exec_lo, s11
	s_delay_alu instid0(SALU_CYCLE_1)
	s_mov_b32 s11, exec_lo
	v_cmpx_gt_u32_e64 s9, v35
	s_cbranch_execnz .LBB118_222
.LBB118_197:                            ;   in Loop: Header=BB118_188 Depth=2
	s_wait_alu 0xfffe
	s_or_b32 exec_lo, exec_lo, s11
	s_delay_alu instid0(SALU_CYCLE_1)
	s_mov_b32 s11, exec_lo
	v_cmpx_gt_u32_e64 s9, v36
	s_cbranch_execnz .LBB118_223
.LBB118_198:                            ;   in Loop: Header=BB118_188 Depth=2
	s_wait_alu 0xfffe
	s_or_b32 exec_lo, exec_lo, s11
	s_delay_alu instid0(SALU_CYCLE_1)
	s_mov_b32 s11, exec_lo
	v_cmpx_gt_u32_e64 s9, v37
	s_cbranch_execz .LBB118_200
.LBB118_199:                            ;   in Loop: Header=BB118_188 Depth=2
	s_wait_loadcnt 0x0
	v_add_co_u32 v11, s0, s0, v1
	s_wait_alu 0xf1ff
	v_add_co_ci_u32_e64 v12, null, s1, 0, s0
	global_load_u8 v2, v[11:12], off offset:1792
.LBB118_200:                            ;   in Loop: Header=BB118_188 Depth=2
	s_wait_alu 0xfffe
	s_or_b32 exec_lo, exec_lo, s11
	s_wait_loadcnt 0x0
	v_dual_mov_b32 v11, v7 :: v_dual_mov_b32 v12, v10
	v_dual_mov_b32 v13, v9 :: v_dual_mov_b32 v14, v8
	;; [unrolled: 1-line block ×4, first 2 shown]
	s_mov_b32 s0, s9
.LBB118_201:                            ;   in Loop: Header=BB118_188 Depth=2
	s_wait_loadcnt 0x5
	s_delay_alu instid0(VALU_DEP_1)
	v_dual_mov_b32 v2, v18 :: v_dual_mov_b32 v5, v16
	s_wait_loadcnt 0x2
	v_dual_mov_b32 v4, v17 :: v_dual_mov_b32 v9, v13
	s_wait_loadcnt 0x0
	v_dual_mov_b32 v6, v15 :: v_dual_mov_b32 v7, v11
	v_mov_b32_e32 v8, v14
	v_mov_b32_e32 v10, v12
	s_mov_b32 s1, exec_lo
	s_wait_alu 0xfffe
	v_cmpx_gt_u32_e64 s0, v1
	s_cbranch_execnz .LBB118_209
; %bb.202:                              ;   in Loop: Header=BB118_188 Depth=2
	s_or_b32 exec_lo, exec_lo, s1
	s_delay_alu instid0(SALU_CYCLE_1)
	s_mov_b32 s1, exec_lo
	v_cmpx_gt_u32_e64 s0, v29
	s_cbranch_execnz .LBB118_210
.LBB118_203:                            ;   in Loop: Header=BB118_188 Depth=2
	s_wait_alu 0xfffe
	s_or_b32 exec_lo, exec_lo, s1
	s_delay_alu instid0(SALU_CYCLE_1)
	s_mov_b32 s1, exec_lo
	v_cmpx_gt_u32_e64 s0, v30
	s_cbranch_execnz .LBB118_211
.LBB118_204:                            ;   in Loop: Header=BB118_188 Depth=2
	s_wait_alu 0xfffe
	s_or_b32 exec_lo, exec_lo, s1
	s_delay_alu instid0(SALU_CYCLE_1)
	s_mov_b32 s1, exec_lo
	v_cmpx_gt_u32_e64 s0, v31
	s_cbranch_execnz .LBB118_212
.LBB118_205:                            ;   in Loop: Header=BB118_188 Depth=2
	s_wait_alu 0xfffe
	s_or_b32 exec_lo, exec_lo, s1
	s_delay_alu instid0(SALU_CYCLE_1)
	s_mov_b32 s1, exec_lo
	v_cmpx_gt_u32_e64 s0, v34
	s_cbranch_execnz .LBB118_213
.LBB118_206:                            ;   in Loop: Header=BB118_188 Depth=2
	s_wait_alu 0xfffe
	s_or_b32 exec_lo, exec_lo, s1
	s_delay_alu instid0(SALU_CYCLE_1)
	s_mov_b32 s1, exec_lo
	v_cmpx_gt_u32_e64 s0, v35
	s_cbranch_execnz .LBB118_214
.LBB118_207:                            ;   in Loop: Header=BB118_188 Depth=2
	s_wait_alu 0xfffe
	s_or_b32 exec_lo, exec_lo, s1
	s_delay_alu instid0(SALU_CYCLE_1)
	s_mov_b32 s1, exec_lo
	v_cmpx_gt_u32_e64 s0, v36
	s_cbranch_execnz .LBB118_215
.LBB118_208:                            ;   in Loop: Header=BB118_188 Depth=2
	s_wait_alu 0xfffe
	s_or_b32 exec_lo, exec_lo, s1
	v_cmp_gt_u32_e32 vcc_lo, s0, v37
	s_and_saveexec_b32 s0, vcc_lo
	s_cbranch_execz .LBB118_187
	s_branch .LBB118_216
.LBB118_209:                            ;   in Loop: Header=BB118_188 Depth=2
	v_xor_b32_e32 v11, -1, v7
	s_delay_alu instid0(VALU_DEP_1) | instskip(NEXT) | instid1(VALU_DEP_1)
	v_and_b32_e32 v11, 0xff, v11
	v_lshrrev_b32_e32 v11, s30, v11
	s_delay_alu instid0(VALU_DEP_1) | instskip(NEXT) | instid1(VALU_DEP_1)
	v_and_b32_e32 v11, s31, v11
	v_lshl_or_b32 v11, v11, 4, v39
	ds_add_u32 v11, v61
	s_or_b32 exec_lo, exec_lo, s1
	s_delay_alu instid0(SALU_CYCLE_1)
	s_mov_b32 s1, exec_lo
	v_cmpx_gt_u32_e64 s0, v29
	s_cbranch_execz .LBB118_203
.LBB118_210:                            ;   in Loop: Header=BB118_188 Depth=2
	v_xor_b32_e32 v11, -1, v10
	s_delay_alu instid0(VALU_DEP_1) | instskip(NEXT) | instid1(VALU_DEP_1)
	v_and_b32_e32 v11, 0xff, v11
	v_lshrrev_b32_e32 v11, s30, v11
	s_delay_alu instid0(VALU_DEP_1) | instskip(NEXT) | instid1(VALU_DEP_1)
	v_and_b32_e32 v11, s31, v11
	v_lshl_or_b32 v11, v11, 4, v39
	ds_add_u32 v11, v61
	s_wait_alu 0xfffe
	s_or_b32 exec_lo, exec_lo, s1
	s_delay_alu instid0(SALU_CYCLE_1)
	s_mov_b32 s1, exec_lo
	v_cmpx_gt_u32_e64 s0, v30
	s_cbranch_execz .LBB118_204
.LBB118_211:                            ;   in Loop: Header=BB118_188 Depth=2
	v_xor_b32_e32 v11, -1, v9
	s_delay_alu instid0(VALU_DEP_1) | instskip(NEXT) | instid1(VALU_DEP_1)
	v_and_b32_e32 v11, 0xff, v11
	v_lshrrev_b32_e32 v11, s30, v11
	s_delay_alu instid0(VALU_DEP_1) | instskip(NEXT) | instid1(VALU_DEP_1)
	v_and_b32_e32 v11, s31, v11
	v_lshl_or_b32 v11, v11, 4, v39
	ds_add_u32 v11, v61
	s_wait_alu 0xfffe
	s_or_b32 exec_lo, exec_lo, s1
	s_delay_alu instid0(SALU_CYCLE_1)
	s_mov_b32 s1, exec_lo
	v_cmpx_gt_u32_e64 s0, v31
	s_cbranch_execz .LBB118_205
.LBB118_212:                            ;   in Loop: Header=BB118_188 Depth=2
	v_xor_b32_e32 v11, -1, v8
	s_delay_alu instid0(VALU_DEP_1) | instskip(NEXT) | instid1(VALU_DEP_1)
	v_and_b32_e32 v11, 0xff, v11
	v_lshrrev_b32_e32 v11, s30, v11
	s_delay_alu instid0(VALU_DEP_1) | instskip(NEXT) | instid1(VALU_DEP_1)
	v_and_b32_e32 v11, s31, v11
	v_lshl_or_b32 v11, v11, 4, v39
	ds_add_u32 v11, v61
	s_wait_alu 0xfffe
	s_or_b32 exec_lo, exec_lo, s1
	s_delay_alu instid0(SALU_CYCLE_1)
	s_mov_b32 s1, exec_lo
	v_cmpx_gt_u32_e64 s0, v34
	s_cbranch_execz .LBB118_206
.LBB118_213:                            ;   in Loop: Header=BB118_188 Depth=2
	v_xor_b32_e32 v11, -1, v6
	s_delay_alu instid0(VALU_DEP_1) | instskip(NEXT) | instid1(VALU_DEP_1)
	v_and_b32_e32 v11, 0xff, v11
	v_lshrrev_b32_e32 v11, s30, v11
	s_delay_alu instid0(VALU_DEP_1) | instskip(NEXT) | instid1(VALU_DEP_1)
	v_and_b32_e32 v11, s31, v11
	v_lshl_or_b32 v11, v11, 4, v39
	ds_add_u32 v11, v61
	s_wait_alu 0xfffe
	s_or_b32 exec_lo, exec_lo, s1
	s_delay_alu instid0(SALU_CYCLE_1)
	s_mov_b32 s1, exec_lo
	v_cmpx_gt_u32_e64 s0, v35
	s_cbranch_execz .LBB118_207
.LBB118_214:                            ;   in Loop: Header=BB118_188 Depth=2
	v_xor_b32_e32 v11, -1, v5
	s_delay_alu instid0(VALU_DEP_1) | instskip(NEXT) | instid1(VALU_DEP_1)
	v_and_b32_e32 v11, 0xff, v11
	v_lshrrev_b32_e32 v11, s30, v11
	s_delay_alu instid0(VALU_DEP_1) | instskip(NEXT) | instid1(VALU_DEP_1)
	v_and_b32_e32 v11, s31, v11
	v_lshl_or_b32 v11, v11, 4, v39
	ds_add_u32 v11, v61
	s_wait_alu 0xfffe
	s_or_b32 exec_lo, exec_lo, s1
	s_delay_alu instid0(SALU_CYCLE_1)
	s_mov_b32 s1, exec_lo
	v_cmpx_gt_u32_e64 s0, v36
	s_cbranch_execz .LBB118_208
.LBB118_215:                            ;   in Loop: Header=BB118_188 Depth=2
	v_xor_b32_e32 v11, -1, v4
	s_delay_alu instid0(VALU_DEP_1) | instskip(NEXT) | instid1(VALU_DEP_1)
	v_and_b32_e32 v11, 0xff, v11
	v_lshrrev_b32_e32 v11, s30, v11
	s_delay_alu instid0(VALU_DEP_1) | instskip(NEXT) | instid1(VALU_DEP_1)
	v_and_b32_e32 v11, s31, v11
	v_lshl_or_b32 v11, v11, 4, v39
	ds_add_u32 v11, v61
	s_wait_alu 0xfffe
	s_or_b32 exec_lo, exec_lo, s1
	v_cmp_gt_u32_e32 vcc_lo, s0, v37
	s_and_saveexec_b32 s0, vcc_lo
	s_cbranch_execz .LBB118_187
.LBB118_216:                            ;   in Loop: Header=BB118_188 Depth=2
	v_xor_b32_e32 v11, -1, v2
	s_delay_alu instid0(VALU_DEP_1) | instskip(NEXT) | instid1(VALU_DEP_1)
	v_and_b32_e32 v11, 0xff, v11
	v_lshrrev_b32_e32 v11, s30, v11
	s_delay_alu instid0(VALU_DEP_1) | instskip(NEXT) | instid1(VALU_DEP_1)
	v_and_b32_e32 v11, s31, v11
	v_lshl_or_b32 v11, v11, 4, v39
	ds_add_u32 v11, v61
	s_branch .LBB118_187
.LBB118_217:                            ;   in Loop: Header=BB118_188 Depth=2
	s_wait_loadcnt 0x0
	s_wait_alu 0xfffe
	v_add_co_u32 v11, s12, s0, v1
	s_wait_alu 0xf1ff
	v_add_co_ci_u32_e64 v12, null, s1, 0, s12
	global_load_u8 v7, v[11:12], off
	s_or_b32 exec_lo, exec_lo, s11
	s_delay_alu instid0(SALU_CYCLE_1)
	s_mov_b32 s11, exec_lo
	v_cmpx_gt_u32_e64 s9, v29
	s_cbranch_execz .LBB118_193
.LBB118_218:                            ;   in Loop: Header=BB118_188 Depth=2
	v_add_co_u32 v10, s12, s0, v1
	s_wait_loadcnt 0x0
	s_wait_alu 0xf1ff
	v_add_co_ci_u32_e64 v11, null, s1, 0, s12
	global_load_u8 v10, v[10:11], off offset:256
	s_wait_alu 0xfffe
	s_or_b32 exec_lo, exec_lo, s11
	s_delay_alu instid0(SALU_CYCLE_1)
	s_mov_b32 s11, exec_lo
	v_cmpx_gt_u32_e64 s9, v30
	s_cbranch_execz .LBB118_194
.LBB118_219:                            ;   in Loop: Header=BB118_188 Depth=2
	s_wait_loadcnt 0x0
	v_add_co_u32 v11, s12, s0, v1
	s_wait_alu 0xf1ff
	v_add_co_ci_u32_e64 v12, null, s1, 0, s12
	global_load_u8 v9, v[11:12], off offset:512
	s_wait_alu 0xfffe
	s_or_b32 exec_lo, exec_lo, s11
	s_delay_alu instid0(SALU_CYCLE_1)
	s_mov_b32 s11, exec_lo
	v_cmpx_gt_u32_e64 s9, v31
	s_cbranch_execz .LBB118_195
.LBB118_220:                            ;   in Loop: Header=BB118_188 Depth=2
	s_wait_loadcnt 0x0
	v_add_co_u32 v11, s12, s0, v1
	s_wait_alu 0xf1ff
	v_add_co_ci_u32_e64 v12, null, s1, 0, s12
	global_load_u8 v8, v[11:12], off offset:768
	s_wait_alu 0xfffe
	s_or_b32 exec_lo, exec_lo, s11
	s_delay_alu instid0(SALU_CYCLE_1)
	s_mov_b32 s11, exec_lo
	v_cmpx_gt_u32_e64 s9, v34
	s_cbranch_execz .LBB118_196
.LBB118_221:                            ;   in Loop: Header=BB118_188 Depth=2
	s_wait_loadcnt 0x0
	v_add_co_u32 v11, s12, s0, v1
	s_wait_alu 0xf1ff
	v_add_co_ci_u32_e64 v12, null, s1, 0, s12
	global_load_u8 v6, v[11:12], off offset:1024
	s_wait_alu 0xfffe
	s_or_b32 exec_lo, exec_lo, s11
	s_delay_alu instid0(SALU_CYCLE_1)
	s_mov_b32 s11, exec_lo
	v_cmpx_gt_u32_e64 s9, v35
	s_cbranch_execz .LBB118_197
.LBB118_222:                            ;   in Loop: Header=BB118_188 Depth=2
	s_wait_loadcnt 0x0
	v_add_co_u32 v11, s12, s0, v1
	s_wait_alu 0xf1ff
	v_add_co_ci_u32_e64 v12, null, s1, 0, s12
	global_load_u8 v5, v[11:12], off offset:1280
	s_wait_alu 0xfffe
	s_or_b32 exec_lo, exec_lo, s11
	s_delay_alu instid0(SALU_CYCLE_1)
	s_mov_b32 s11, exec_lo
	v_cmpx_gt_u32_e64 s9, v36
	s_cbranch_execz .LBB118_198
.LBB118_223:                            ;   in Loop: Header=BB118_188 Depth=2
	s_wait_loadcnt 0x0
	v_add_co_u32 v11, s12, s0, v1
	s_wait_alu 0xf1ff
	v_add_co_ci_u32_e64 v12, null, s1, 0, s12
	global_load_u8 v4, v[11:12], off offset:1536
	s_wait_alu 0xfffe
	s_or_b32 exec_lo, exec_lo, s11
	s_delay_alu instid0(SALU_CYCLE_1)
	s_mov_b32 s11, exec_lo
	v_cmpx_gt_u32_e64 s9, v37
	s_cbranch_execnz .LBB118_199
	s_branch .LBB118_200
.LBB118_224:                            ;   in Loop: Header=BB118_20 Depth=1
	v_mov_b32_e32 v2, 0
	s_wait_dscnt 0x0
	s_barrier_signal -1
	s_barrier_wait -1
	global_inv scope:SCOPE_SE
	s_and_saveexec_b32 s0, s2
	s_cbranch_execz .LBB118_226
; %bb.225:                              ;   in Loop: Header=BB118_20 Depth=1
	ds_load_2addr_b64 v[4:7], v40 offset1:1
	s_wait_dscnt 0x0
	v_add_nc_u32_e32 v2, v5, v4
	s_delay_alu instid0(VALU_DEP_1)
	v_add3_u32 v2, v2, v6, v7
.LBB118_226:                            ;   in Loop: Header=BB118_20 Depth=1
	s_wait_alu 0xfffe
	s_or_b32 exec_lo, exec_lo, s0
	s_delay_alu instid0(VALU_DEP_1)
	v_mov_b32_dpp v4, v2 row_shr:1 row_mask:0xf bank_mask:0xf
	v_cmp_eq_u32_e64 s0, 0, v62
	v_cmp_lt_u32_e64 s1, 1, v62
	v_cmp_lt_u32_e64 s9, 3, v62
	;; [unrolled: 1-line block ×3, first 2 shown]
	v_cmp_eq_u32_e64 s11, 0, v64
	s_wait_alu 0xf1ff
	v_cndmask_b32_e64 v4, v4, 0, s0
	s_delay_alu instid0(VALU_DEP_1) | instskip(NEXT) | instid1(VALU_DEP_1)
	v_add_nc_u32_e32 v2, v4, v2
	v_mov_b32_dpp v4, v2 row_shr:2 row_mask:0xf bank_mask:0xf
	s_delay_alu instid0(VALU_DEP_1) | instskip(NEXT) | instid1(VALU_DEP_1)
	v_cndmask_b32_e64 v4, 0, v4, s1
	v_add_nc_u32_e32 v2, v2, v4
	s_delay_alu instid0(VALU_DEP_1) | instskip(NEXT) | instid1(VALU_DEP_1)
	v_mov_b32_dpp v4, v2 row_shr:4 row_mask:0xf bank_mask:0xf
	v_cndmask_b32_e64 v4, 0, v4, s9
	s_delay_alu instid0(VALU_DEP_1) | instskip(NEXT) | instid1(VALU_DEP_1)
	v_add_nc_u32_e32 v2, v2, v4
	v_mov_b32_dpp v4, v2 row_shr:8 row_mask:0xf bank_mask:0xf
	s_delay_alu instid0(VALU_DEP_1) | instskip(NEXT) | instid1(VALU_DEP_1)
	v_cndmask_b32_e64 v4, 0, v4, s10
	v_add_nc_u32_e32 v2, v2, v4
	ds_swizzle_b32 v4, v2 offset:swizzle(BROADCAST,32,15)
	s_wait_dscnt 0x0
	v_and_b32_e32 v4, v63, v4
	s_delay_alu instid0(VALU_DEP_1)
	v_add_nc_u32_e32 v2, v2, v4
	s_and_saveexec_b32 s12, s3
; %bb.227:                              ;   in Loop: Header=BB118_20 Depth=1
	ds_store_b32 v41, v2
; %bb.228:                              ;   in Loop: Header=BB118_20 Depth=1
	s_wait_alu 0xfffe
	s_or_b32 exec_lo, exec_lo, s12
	s_wait_loadcnt_dscnt 0x0
	s_barrier_signal -1
	s_barrier_wait -1
	global_inv scope:SCOPE_SE
	s_and_saveexec_b32 s12, s4
	s_cbranch_execz .LBB118_230
; %bb.229:                              ;   in Loop: Header=BB118_20 Depth=1
	ds_load_b32 v4, v42
	v_cmp_ne_u32_e32 vcc_lo, 0, v65
	s_wait_dscnt 0x0
	v_mov_b32_dpp v5, v4 row_shr:1 row_mask:0xf bank_mask:0xf
	s_wait_alu 0xfffd
	s_delay_alu instid0(VALU_DEP_1) | instskip(SKIP_1) | instid1(VALU_DEP_2)
	v_cndmask_b32_e32 v5, 0, v5, vcc_lo
	v_cmp_lt_u32_e32 vcc_lo, 1, v65
	v_add_nc_u32_e32 v4, v5, v4
	s_delay_alu instid0(VALU_DEP_1) | instskip(SKIP_1) | instid1(VALU_DEP_1)
	v_mov_b32_dpp v5, v4 row_shr:2 row_mask:0xf bank_mask:0xf
	s_wait_alu 0xfffd
	v_cndmask_b32_e32 v5, 0, v5, vcc_lo
	v_cmp_lt_u32_e32 vcc_lo, 3, v65
	s_delay_alu instid0(VALU_DEP_2) | instskip(NEXT) | instid1(VALU_DEP_1)
	v_add_nc_u32_e32 v4, v4, v5
	v_mov_b32_dpp v5, v4 row_shr:4 row_mask:0xf bank_mask:0xf
	s_wait_alu 0xfffd
	s_delay_alu instid0(VALU_DEP_1) | instskip(NEXT) | instid1(VALU_DEP_1)
	v_cndmask_b32_e32 v5, 0, v5, vcc_lo
	v_add_nc_u32_e32 v4, v4, v5
	ds_store_b32 v42, v4
.LBB118_230:                            ;   in Loop: Header=BB118_20 Depth=1
	s_wait_alu 0xfffe
	s_or_b32 exec_lo, exec_lo, s12
	v_mov_b32_e32 v4, 0
	s_wait_loadcnt_dscnt 0x0
	s_barrier_signal -1
	s_barrier_wait -1
	global_inv scope:SCOPE_SE
	s_and_saveexec_b32 s12, s5
; %bb.231:                              ;   in Loop: Header=BB118_20 Depth=1
	ds_load_b32 v4, v43
; %bb.232:                              ;   in Loop: Header=BB118_20 Depth=1
	s_wait_alu 0xfffe
	s_or_b32 exec_lo, exec_lo, s12
	v_cmp_gt_i32_e32 vcc_lo, 0, v67
	s_wait_dscnt 0x0
	v_add_nc_u32_e32 v2, v4, v2
	s_wait_loadcnt 0x0
	s_barrier_signal -1
	s_barrier_wait -1
	s_wait_alu 0xfffd
	v_cndmask_b32_e32 v5, v67, v58, vcc_lo
	global_inv scope:SCOPE_SE
	v_lshlrev_b32_e32 v80, 2, v5
	ds_bpermute_b32 v2, v80, v2
	s_and_saveexec_b32 s12, s2
	s_cbranch_execz .LBB118_234
; %bb.233:                              ;   in Loop: Header=BB118_20 Depth=1
	s_wait_dscnt 0x0
	v_cndmask_b32_e64 v2, v2, v4, s8
	s_delay_alu instid0(VALU_DEP_1)
	v_add_nc_u32_e32 v2, s33, v2
	ds_store_b32 v28, v2
.LBB118_234:                            ;   in Loop: Header=BB118_20 Depth=1
	s_wait_alu 0xfffe
	s_or_b32 exec_lo, exec_lo, s12
	s_load_b64 s[12:13], s[28:29], 0x0
	v_add_co_u32 v81, vcc_lo, v50, v66
	s_wait_alu 0xfffd
	v_add_co_ci_u32_e64 v82, null, 0, v51, vcc_lo
	v_add_co_u32 v83, vcc_lo, v52, v58
	s_wait_alu 0xfffd
	v_add_co_ci_u32_e64 v84, null, 0, v53, vcc_lo
	s_mov_b32 s42, s47
                                        ; implicit-def: $vgpr6_vgpr7
                                        ; implicit-def: $vgpr8_vgpr9
                                        ; implicit-def: $vgpr10_vgpr11
                                        ; implicit-def: $vgpr12_vgpr13
                                        ; implicit-def: $vgpr14_vgpr15
                                        ; implicit-def: $vgpr16_vgpr17
                                        ; implicit-def: $vgpr18_vgpr19
                                        ; implicit-def: $vgpr86
                                        ; implicit-def: $vgpr87
                                        ; implicit-def: $vgpr88
                                        ; implicit-def: $vgpr89
                                        ; implicit-def: $vgpr90
                                        ; implicit-def: $vgpr91
                                        ; implicit-def: $vgpr92
                                        ; implicit-def: $vgpr93
	s_wait_kmcnt 0x0
	s_cmp_lt_u32 ttmp7, s13
	s_cselect_b32 s22, 14, 20
	s_cmp_lt_u32 ttmp9, s12
	s_wait_alu 0xfffe
	s_add_nc_u64 s[14:15], s[28:29], s[22:23]
	s_cselect_b32 s22, 12, 18
	s_load_u16 s14, s[14:15], 0x0
	s_add_nc_u64 s[12:13], s[28:29], s[22:23]
	s_mov_b32 s22, s33
	s_load_u16 s12, s[12:13], 0x0
	v_cmp_lt_u32_e64 s13, 1, v65
	s_wait_dscnt 0x0
	s_wait_kmcnt 0x0
	v_mad_u32_u24 v2, v44, s14, v0
	v_cmp_lt_u32_e64 s14, 3, v65
	s_delay_alu instid0(VALU_DEP_2) | instskip(SKIP_1) | instid1(VALU_DEP_2)
	v_mad_co_u64_u32 v[4:5], null, v2, s12, v[1:2]
	v_cmp_eq_u32_e64 s12, 0, v65
	v_lshrrev_b32_e32 v2, 3, v4
                                        ; implicit-def: $vgpr4_vgpr5
	s_delay_alu instid0(VALU_DEP_1)
	v_and_b32_e32 v85, 0x1ffffffc, v2
	s_branch .LBB118_236
.LBB118_235:                            ;   in Loop: Header=BB118_236 Depth=2
	s_wait_alu 0xfffe
	s_or_b32 exec_lo, exec_lo, s15
	s_addk_co_i32 s42, 0xf800
	s_cmp_lt_u32 s43, s34
	s_mov_b32 s22, s43
	s_cbranch_scc0 .LBB118_348
.LBB118_236:                            ;   Parent Loop BB118_20 Depth=1
                                        ; =>  This Inner Loop Header: Depth=2
	s_wait_alu 0xfffe
	s_add_co_i32 s43, s22, 0x800
	s_wait_alu 0xfffe
	s_cmp_gt_u32 s43, s34
	s_cbranch_scc1 .LBB118_238
; %bb.237:                              ;   in Loop: Header=BB118_236 Depth=2
	v_add_co_u32 v20, vcc_lo, v83, s22
	s_wait_alu 0xfffd
	v_add_co_ci_u32_e64 v21, null, 0, v84, vcc_lo
	s_mov_b32 s15, -1
	s_clause 0x6
	global_load_u8 v23, v[20:21], off offset:192
	global_load_u8 v24, v[20:21], off offset:160
	;; [unrolled: 1-line block ×6, first 2 shown]
	global_load_u8 v94, v[20:21], off
	s_movk_i32 s16, 0x800
                                        ; implicit-def: $vgpr22
	s_cbranch_execz .LBB118_239
	s_branch .LBB118_249
.LBB118_238:                            ;   in Loop: Header=BB118_236 Depth=2
	s_mov_b32 s15, 0
                                        ; implicit-def: $vgpr94
                                        ; implicit-def: $vgpr96
                                        ; implicit-def: $vgpr27
                                        ; implicit-def: $vgpr26
                                        ; implicit-def: $vgpr25
                                        ; implicit-def: $vgpr24
                                        ; implicit-def: $vgpr23
	s_movk_i32 s16, 0x800
                                        ; implicit-def: $vgpr22
.LBB118_239:                            ;   in Loop: Header=BB118_236 Depth=2
	v_add_co_u32 v20, vcc_lo, v83, s22
	s_wait_alu 0xfffd
	v_add_co_ci_u32_e64 v21, null, 0, v84, vcc_lo
	s_wait_loadcnt 0x0
	v_dual_mov_b32 v27, 0 :: v_dual_mov_b32 v94, 0
	v_dual_mov_b32 v26, 0 :: v_dual_mov_b32 v25, 0
	;; [unrolled: 1-line block ×3, first 2 shown]
	v_mov_b32_e32 v22, 0
	s_mov_b32 s15, exec_lo
	v_cmpx_gt_u32_e64 s42, v68
	s_cbranch_execz .LBB118_241
; %bb.240:                              ;   in Loop: Header=BB118_236 Depth=2
	global_load_u8 v94, v[20:21], off
	v_dual_mov_b32 v26, 0 :: v_dual_mov_b32 v25, 0
	v_dual_mov_b32 v24, 0 :: v_dual_mov_b32 v23, 0
	v_mov_b32_e32 v22, 0
.LBB118_241:                            ;   in Loop: Header=BB118_236 Depth=2
	s_wait_alu 0xfffe
	s_or_b32 exec_lo, exec_lo, s15
	v_mov_b32_e32 v96, v27
	s_mov_b32 s15, exec_lo
	v_cmpx_gt_u32_e64 s42, v71
	s_cbranch_execnz .LBB118_343
; %bb.242:                              ;   in Loop: Header=BB118_236 Depth=2
	s_wait_alu 0xfffe
	s_or_b32 exec_lo, exec_lo, s15
	s_delay_alu instid0(SALU_CYCLE_1)
	s_mov_b32 s15, exec_lo
	v_cmpx_gt_u32_e64 s42, v72
	s_cbranch_execnz .LBB118_344
.LBB118_243:                            ;   in Loop: Header=BB118_236 Depth=2
	s_wait_alu 0xfffe
	s_or_b32 exec_lo, exec_lo, s15
	s_delay_alu instid0(SALU_CYCLE_1)
	s_mov_b32 s15, exec_lo
	v_cmpx_gt_u32_e64 s42, v73
	s_cbranch_execnz .LBB118_345
.LBB118_244:                            ;   in Loop: Header=BB118_236 Depth=2
	s_wait_alu 0xfffe
	s_or_b32 exec_lo, exec_lo, s15
	s_delay_alu instid0(SALU_CYCLE_1)
	s_mov_b32 s15, exec_lo
	v_cmpx_gt_u32_e64 s42, v74
	s_cbranch_execnz .LBB118_346
.LBB118_245:                            ;   in Loop: Header=BB118_236 Depth=2
	s_wait_alu 0xfffe
	s_or_b32 exec_lo, exec_lo, s15
	s_delay_alu instid0(SALU_CYCLE_1)
	s_mov_b32 s15, exec_lo
	v_cmpx_gt_u32_e64 s42, v75
	s_cbranch_execnz .LBB118_347
.LBB118_246:                            ;   in Loop: Header=BB118_236 Depth=2
	s_wait_alu 0xfffe
	s_or_b32 exec_lo, exec_lo, s15
	s_delay_alu instid0(SALU_CYCLE_1)
	s_mov_b32 s15, exec_lo
	v_cmpx_gt_u32_e64 s42, v76
	s_cbranch_execz .LBB118_248
.LBB118_247:                            ;   in Loop: Header=BB118_236 Depth=2
	global_load_u8 v23, v[20:21], off offset:192
.LBB118_248:                            ;   in Loop: Header=BB118_236 Depth=2
	s_wait_alu 0xfffe
	s_or_b32 exec_lo, exec_lo, s15
	v_cmp_gt_u32_e64 s15, s42, v77
	s_sub_co_i32 s16, s34, s22
.LBB118_249:                            ;   in Loop: Header=BB118_236 Depth=2
	v_mov_b32_e32 v2, s42
	s_wait_alu 0xfffe
	s_and_saveexec_b32 s17, s15
	s_cbranch_execz .LBB118_251
; %bb.250:                              ;   in Loop: Header=BB118_236 Depth=2
	v_add_co_u32 v20, vcc_lo, v83, s22
	s_wait_alu 0xfffd
	v_add_co_ci_u32_e64 v21, null, s23, v84, vcc_lo
	v_mov_b32_e32 v2, s16
	global_load_u8 v22, v[20:21], off offset:224
.LBB118_251:                            ;   in Loop: Header=BB118_236 Depth=2
	s_wait_alu 0xfffe
	s_or_b32 exec_lo, exec_lo, s17
	s_wait_loadcnt 0x0
	v_xor_b32_e32 v94, -1, v94
	s_delay_alu instid0(VALU_DEP_1) | instskip(NEXT) | instid1(VALU_DEP_1)
	v_and_b32_e32 v20, 0xff, v94
	v_lshrrev_b32_e32 v20, s30, v20
	s_delay_alu instid0(VALU_DEP_1) | instskip(NEXT) | instid1(VALU_DEP_1)
	v_and_b32_e32 v21, s31, v20
	v_and_b32_e32 v20, 1, v21
	v_lshlrev_b32_e32 v95, 30, v21
	v_lshlrev_b32_e32 v97, 29, v21
	;; [unrolled: 1-line block ×4, first 2 shown]
	v_add_co_u32 v20, s15, v20, -1
	s_wait_alu 0xf1ff
	v_cndmask_b32_e64 v99, 0, 1, s15
	v_not_b32_e32 v103, v95
	v_cmp_gt_i32_e64 s15, 0, v95
	v_not_b32_e32 v95, v97
	v_lshlrev_b32_e32 v101, 26, v21
	v_cmp_ne_u32_e32 vcc_lo, 0, v99
	v_ashrrev_i32_e32 v103, 31, v103
	v_lshlrev_b32_e32 v102, 25, v21
	v_ashrrev_i32_e32 v95, 31, v95
	v_lshlrev_b32_e32 v99, 24, v21
	s_wait_alu 0xfffd
	v_xor_b32_e32 v20, vcc_lo, v20
	v_cmp_gt_i32_e32 vcc_lo, 0, v97
	v_not_b32_e32 v97, v98
	s_wait_alu 0xf1ff
	v_xor_b32_e32 v103, s15, v103
	v_cmp_gt_i32_e64 s15, 0, v98
	v_and_b32_e32 v20, exec_lo, v20
	v_not_b32_e32 v98, v100
	v_ashrrev_i32_e32 v97, 31, v97
	s_wait_alu 0xfffd
	v_xor_b32_e32 v95, vcc_lo, v95
	v_cmp_gt_i32_e32 vcc_lo, 0, v100
	v_and_b32_e32 v20, v20, v103
	v_not_b32_e32 v100, v101
	v_ashrrev_i32_e32 v98, 31, v98
	s_wait_alu 0xf1ff
	v_xor_b32_e32 v97, s15, v97
	v_cmp_gt_i32_e64 s15, 0, v101
	v_and_b32_e32 v20, v20, v95
	v_not_b32_e32 v95, v102
	v_ashrrev_i32_e32 v100, 31, v100
	s_wait_alu 0xfffd
	v_xor_b32_e32 v98, vcc_lo, v98
	v_cmp_gt_i32_e32 vcc_lo, 0, v102
	v_and_b32_e32 v20, v20, v97
	v_not_b32_e32 v97, v99
	v_ashrrev_i32_e32 v95, 31, v95
	s_wait_alu 0xf1ff
	v_xor_b32_e32 v100, s15, v100
	v_cmp_gt_i32_e64 s15, 0, v99
	v_and_b32_e32 v20, v20, v98
	v_ashrrev_i32_e32 v97, 31, v97
	s_wait_alu 0xfffd
	v_xor_b32_e32 v95, vcc_lo, v95
	v_mul_u32_u24_e32 v21, 36, v21
	v_add_nc_u32_e32 v99, 0x428, v45
	v_and_b32_e32 v20, v20, v100
	s_wait_alu 0xf1ff
	v_xor_b32_e32 v98, s15, v97
	v_add_nc_u32_e32 v97, 0x438, v45
	v_add_nc_u32_e32 v100, 0x430, v45
	;; [unrolled: 1-line block ×3, first 2 shown]
	v_and_b32_e32 v20, v20, v95
	ds_store_2addr_b32 v97, v3, v3 offset1:1
	v_and_b32_e32 v20, v20, v98
	v_add_nc_u32_e32 v98, 0x420, v45
	ds_store_2addr_b32 v98, v3, v3 offset1:1
	ds_store_2addr_b32 v99, v3, v3 offset1:1
	;; [unrolled: 1-line block ×3, first 2 shown]
	ds_store_b32 v45, v3 offset:1088
	v_mbcnt_lo_u32_b32 v95, v20, 0
	v_cmp_ne_u32_e64 s15, 0, v20
	s_wait_dscnt 0x0
	s_barrier_signal -1
	s_barrier_wait -1
	v_cmp_eq_u32_e32 vcc_lo, 0, v95
	global_inv scope:SCOPE_SE
	; wave barrier
	s_and_b32 s16, s15, vcc_lo
	s_wait_alu 0xfffe
	s_and_saveexec_b32 s15, s16
; %bb.252:                              ;   in Loop: Header=BB118_236 Depth=2
	v_bcnt_u32_b32 v20, v20, 0
	ds_store_b32 v101, v20 offset:1056
; %bb.253:                              ;   in Loop: Header=BB118_236 Depth=2
	s_wait_alu 0xfffe
	s_or_b32 exec_lo, exec_lo, s15
	v_xor_b32_e32 v96, -1, v96
	; wave barrier
	s_delay_alu instid0(VALU_DEP_1) | instskip(NEXT) | instid1(VALU_DEP_1)
	v_and_b32_e32 v20, 0xff, v96
	v_lshrrev_b32_e32 v20, s30, v20
	s_delay_alu instid0(VALU_DEP_1) | instskip(NEXT) | instid1(VALU_DEP_1)
	v_and_b32_e32 v21, s31, v20
	v_and_b32_e32 v20, 1, v21
	v_lshlrev_b32_e32 v102, 30, v21
	v_lshlrev_b32_e32 v103, 29, v21
	;; [unrolled: 1-line block ×4, first 2 shown]
	v_add_co_u32 v20, s15, v20, -1
	s_wait_alu 0xf1ff
	v_cndmask_b32_e64 v105, 0, 1, s15
	v_not_b32_e32 v109, v102
	v_cmp_gt_i32_e64 s15, 0, v102
	v_not_b32_e32 v102, v103
	v_lshlrev_b32_e32 v107, 26, v21
	v_cmp_ne_u32_e32 vcc_lo, 0, v105
	v_ashrrev_i32_e32 v109, 31, v109
	v_lshlrev_b32_e32 v108, 25, v21
	v_ashrrev_i32_e32 v102, 31, v102
	v_lshlrev_b32_e32 v105, 24, v21
	s_wait_alu 0xfffd
	v_xor_b32_e32 v20, vcc_lo, v20
	v_cmp_gt_i32_e32 vcc_lo, 0, v103
	v_not_b32_e32 v103, v104
	s_wait_alu 0xf1ff
	v_xor_b32_e32 v109, s15, v109
	v_cmp_gt_i32_e64 s15, 0, v104
	v_and_b32_e32 v20, exec_lo, v20
	v_not_b32_e32 v104, v106
	v_ashrrev_i32_e32 v103, 31, v103
	s_wait_alu 0xfffd
	v_xor_b32_e32 v102, vcc_lo, v102
	v_cmp_gt_i32_e32 vcc_lo, 0, v106
	v_and_b32_e32 v20, v20, v109
	v_not_b32_e32 v106, v107
	v_ashrrev_i32_e32 v104, 31, v104
	s_wait_alu 0xf1ff
	v_xor_b32_e32 v103, s15, v103
	v_cmp_gt_i32_e64 s15, 0, v107
	v_and_b32_e32 v20, v20, v102
	v_not_b32_e32 v102, v108
	v_ashrrev_i32_e32 v106, 31, v106
	s_wait_alu 0xfffd
	v_xor_b32_e32 v104, vcc_lo, v104
	v_cmp_gt_i32_e32 vcc_lo, 0, v108
	v_and_b32_e32 v20, v20, v103
	v_not_b32_e32 v103, v105
	v_ashrrev_i32_e32 v102, 31, v102
	s_wait_alu 0xf1ff
	v_xor_b32_e32 v106, s15, v106
	v_cmp_gt_i32_e64 s15, 0, v105
	v_and_b32_e32 v20, v20, v104
	v_ashrrev_i32_e32 v103, 31, v103
	s_wait_alu 0xfffd
	v_xor_b32_e32 v102, vcc_lo, v102
	v_mad_u32_u24 v104, v21, 36, v85
	v_mul_u32_u24_e32 v21, 36, v21
	v_and_b32_e32 v20, v20, v106
	s_wait_alu 0xf1ff
	v_xor_b32_e32 v103, s15, v103
	s_delay_alu instid0(VALU_DEP_3) | instskip(NEXT) | instid1(VALU_DEP_3)
	v_add_nc_u32_e32 v105, v85, v21
	v_and_b32_e32 v20, v20, v102
	ds_load_b32 v102, v104 offset:1056
	; wave barrier
	v_and_b32_e32 v20, v20, v103
	s_delay_alu instid0(VALU_DEP_1) | instskip(SKIP_1) | instid1(VALU_DEP_2)
	v_mbcnt_lo_u32_b32 v103, v20, 0
	v_cmp_ne_u32_e64 s15, 0, v20
	v_cmp_eq_u32_e32 vcc_lo, 0, v103
	s_and_b32 s16, s15, vcc_lo
	s_wait_alu 0xfffe
	s_and_saveexec_b32 s15, s16
	s_cbranch_execz .LBB118_255
; %bb.254:                              ;   in Loop: Header=BB118_236 Depth=2
	s_wait_dscnt 0x0
	v_bcnt_u32_b32 v20, v20, v102
	ds_store_b32 v105, v20 offset:1056
.LBB118_255:                            ;   in Loop: Header=BB118_236 Depth=2
	s_wait_alu 0xfffe
	s_or_b32 exec_lo, exec_lo, s15
	v_xor_b32_e32 v104, -1, v27
	; wave barrier
	s_delay_alu instid0(VALU_DEP_1) | instskip(NEXT) | instid1(VALU_DEP_1)
	v_and_b32_e32 v20, 0xff, v104
	v_lshrrev_b32_e32 v20, s30, v20
	s_delay_alu instid0(VALU_DEP_1) | instskip(NEXT) | instid1(VALU_DEP_1)
	v_and_b32_e32 v21, s31, v20
	v_and_b32_e32 v20, 1, v21
	v_lshlrev_b32_e32 v27, 30, v21
	v_lshlrev_b32_e32 v106, 29, v21
	;; [unrolled: 1-line block ×4, first 2 shown]
	v_add_co_u32 v20, s15, v20, -1
	s_wait_alu 0xf1ff
	v_cndmask_b32_e64 v108, 0, 1, s15
	v_not_b32_e32 v112, v27
	v_cmp_gt_i32_e64 s15, 0, v27
	v_not_b32_e32 v27, v106
	v_lshlrev_b32_e32 v110, 26, v21
	v_cmp_ne_u32_e32 vcc_lo, 0, v108
	v_ashrrev_i32_e32 v112, 31, v112
	v_lshlrev_b32_e32 v111, 25, v21
	v_ashrrev_i32_e32 v27, 31, v27
	v_lshlrev_b32_e32 v108, 24, v21
	s_wait_alu 0xfffd
	v_xor_b32_e32 v20, vcc_lo, v20
	v_cmp_gt_i32_e32 vcc_lo, 0, v106
	v_not_b32_e32 v106, v107
	s_wait_alu 0xf1ff
	v_xor_b32_e32 v112, s15, v112
	v_cmp_gt_i32_e64 s15, 0, v107
	v_and_b32_e32 v20, exec_lo, v20
	v_not_b32_e32 v107, v109
	v_ashrrev_i32_e32 v106, 31, v106
	s_wait_alu 0xfffd
	v_xor_b32_e32 v27, vcc_lo, v27
	v_cmp_gt_i32_e32 vcc_lo, 0, v109
	v_and_b32_e32 v20, v20, v112
	v_not_b32_e32 v109, v110
	v_ashrrev_i32_e32 v107, 31, v107
	s_wait_alu 0xf1ff
	v_xor_b32_e32 v106, s15, v106
	v_cmp_gt_i32_e64 s15, 0, v110
	v_and_b32_e32 v20, v20, v27
	v_not_b32_e32 v27, v111
	v_ashrrev_i32_e32 v109, 31, v109
	s_wait_alu 0xfffd
	v_xor_b32_e32 v107, vcc_lo, v107
	v_cmp_gt_i32_e32 vcc_lo, 0, v111
	v_and_b32_e32 v20, v20, v106
	v_not_b32_e32 v106, v108
	v_ashrrev_i32_e32 v27, 31, v27
	s_wait_alu 0xf1ff
	v_xor_b32_e32 v109, s15, v109
	v_cmp_gt_i32_e64 s15, 0, v108
	v_and_b32_e32 v20, v20, v107
	v_ashrrev_i32_e32 v106, 31, v106
	s_wait_alu 0xfffd
	v_xor_b32_e32 v27, vcc_lo, v27
	v_mad_u32_u24 v107, v21, 36, v85
	v_mul_u32_u24_e32 v21, 36, v21
	v_and_b32_e32 v20, v20, v109
	s_wait_alu 0xf1ff
	v_xor_b32_e32 v108, s15, v106
	ds_load_b32 v106, v107 offset:1056
	v_add_nc_u32_e32 v109, v85, v21
	v_and_b32_e32 v20, v20, v27
	; wave barrier
	s_delay_alu instid0(VALU_DEP_1) | instskip(NEXT) | instid1(VALU_DEP_1)
	v_and_b32_e32 v20, v20, v108
	v_mbcnt_lo_u32_b32 v107, v20, 0
	v_cmp_ne_u32_e64 s15, 0, v20
	s_delay_alu instid0(VALU_DEP_2)
	v_cmp_eq_u32_e32 vcc_lo, 0, v107
	s_and_b32 s16, s15, vcc_lo
	s_wait_alu 0xfffe
	s_and_saveexec_b32 s15, s16
	s_cbranch_execz .LBB118_257
; %bb.256:                              ;   in Loop: Header=BB118_236 Depth=2
	s_wait_dscnt 0x0
	v_bcnt_u32_b32 v20, v20, v106
	ds_store_b32 v109, v20 offset:1056
.LBB118_257:                            ;   in Loop: Header=BB118_236 Depth=2
	s_wait_alu 0xfffe
	s_or_b32 exec_lo, exec_lo, s15
	v_xor_b32_e32 v108, -1, v26
	; wave barrier
	s_delay_alu instid0(VALU_DEP_1) | instskip(NEXT) | instid1(VALU_DEP_1)
	v_and_b32_e32 v20, 0xff, v108
	v_lshrrev_b32_e32 v20, s30, v20
	s_delay_alu instid0(VALU_DEP_1) | instskip(NEXT) | instid1(VALU_DEP_1)
	v_and_b32_e32 v21, s31, v20
	v_and_b32_e32 v20, 1, v21
	v_lshlrev_b32_e32 v26, 30, v21
	v_lshlrev_b32_e32 v27, 29, v21
	;; [unrolled: 1-line block ×4, first 2 shown]
	v_add_co_u32 v20, s15, v20, -1
	s_wait_alu 0xf1ff
	v_cndmask_b32_e64 v111, 0, 1, s15
	v_not_b32_e32 v115, v26
	v_cmp_gt_i32_e64 s15, 0, v26
	v_not_b32_e32 v26, v27
	v_lshlrev_b32_e32 v113, 26, v21
	v_cmp_ne_u32_e32 vcc_lo, 0, v111
	v_ashrrev_i32_e32 v115, 31, v115
	v_lshlrev_b32_e32 v114, 25, v21
	v_ashrrev_i32_e32 v26, 31, v26
	v_lshlrev_b32_e32 v111, 24, v21
	s_wait_alu 0xfffd
	v_xor_b32_e32 v20, vcc_lo, v20
	v_cmp_gt_i32_e32 vcc_lo, 0, v27
	v_not_b32_e32 v27, v110
	s_wait_alu 0xf1ff
	v_xor_b32_e32 v115, s15, v115
	v_cmp_gt_i32_e64 s15, 0, v110
	v_and_b32_e32 v20, exec_lo, v20
	v_not_b32_e32 v110, v112
	v_ashrrev_i32_e32 v27, 31, v27
	s_wait_alu 0xfffd
	v_xor_b32_e32 v26, vcc_lo, v26
	v_cmp_gt_i32_e32 vcc_lo, 0, v112
	v_and_b32_e32 v20, v20, v115
	v_not_b32_e32 v112, v113
	v_ashrrev_i32_e32 v110, 31, v110
	s_wait_alu 0xf1ff
	v_xor_b32_e32 v27, s15, v27
	v_cmp_gt_i32_e64 s15, 0, v113
	v_and_b32_e32 v20, v20, v26
	v_not_b32_e32 v26, v114
	v_ashrrev_i32_e32 v112, 31, v112
	s_wait_alu 0xfffd
	v_xor_b32_e32 v110, vcc_lo, v110
	v_cmp_gt_i32_e32 vcc_lo, 0, v114
	v_and_b32_e32 v20, v20, v27
	v_not_b32_e32 v27, v111
	v_ashrrev_i32_e32 v26, 31, v26
	s_wait_alu 0xf1ff
	v_xor_b32_e32 v112, s15, v112
	v_cmp_gt_i32_e64 s15, 0, v111
	v_and_b32_e32 v20, v20, v110
	v_ashrrev_i32_e32 v27, 31, v27
	s_wait_alu 0xfffd
	v_xor_b32_e32 v26, vcc_lo, v26
	v_mad_u32_u24 v110, v21, 36, v85
	v_mul_u32_u24_e32 v21, 36, v21
	v_and_b32_e32 v20, v20, v112
	s_wait_alu 0xf1ff
	v_xor_b32_e32 v27, s15, v27
	ds_load_b32 v110, v110 offset:1056
	v_add_nc_u32_e32 v113, v85, v21
	v_and_b32_e32 v20, v20, v26
	; wave barrier
	s_delay_alu instid0(VALU_DEP_1) | instskip(NEXT) | instid1(VALU_DEP_1)
	v_and_b32_e32 v20, v20, v27
	v_mbcnt_lo_u32_b32 v111, v20, 0
	v_cmp_ne_u32_e64 s15, 0, v20
	s_delay_alu instid0(VALU_DEP_2)
	v_cmp_eq_u32_e32 vcc_lo, 0, v111
	s_and_b32 s16, s15, vcc_lo
	s_wait_alu 0xfffe
	s_and_saveexec_b32 s15, s16
	s_cbranch_execz .LBB118_259
; %bb.258:                              ;   in Loop: Header=BB118_236 Depth=2
	s_wait_dscnt 0x0
	v_bcnt_u32_b32 v20, v20, v110
	ds_store_b32 v113, v20 offset:1056
.LBB118_259:                            ;   in Loop: Header=BB118_236 Depth=2
	s_wait_alu 0xfffe
	s_or_b32 exec_lo, exec_lo, s15
	v_xor_b32_e32 v112, -1, v25
	; wave barrier
	s_delay_alu instid0(VALU_DEP_1) | instskip(NEXT) | instid1(VALU_DEP_1)
	v_and_b32_e32 v20, 0xff, v112
	v_lshrrev_b32_e32 v20, s30, v20
	s_delay_alu instid0(VALU_DEP_1) | instskip(NEXT) | instid1(VALU_DEP_1)
	v_and_b32_e32 v21, s31, v20
	v_and_b32_e32 v20, 1, v21
	v_lshlrev_b32_e32 v25, 30, v21
	v_lshlrev_b32_e32 v26, 29, v21
	;; [unrolled: 1-line block ×4, first 2 shown]
	v_add_co_u32 v20, s15, v20, -1
	s_wait_alu 0xf1ff
	v_cndmask_b32_e64 v114, 0, 1, s15
	v_not_b32_e32 v118, v25
	v_cmp_gt_i32_e64 s15, 0, v25
	v_not_b32_e32 v25, v26
	v_lshlrev_b32_e32 v116, 26, v21
	v_cmp_ne_u32_e32 vcc_lo, 0, v114
	v_ashrrev_i32_e32 v118, 31, v118
	v_lshlrev_b32_e32 v117, 25, v21
	v_ashrrev_i32_e32 v25, 31, v25
	v_lshlrev_b32_e32 v114, 24, v21
	s_wait_alu 0xfffd
	v_xor_b32_e32 v20, vcc_lo, v20
	v_cmp_gt_i32_e32 vcc_lo, 0, v26
	v_not_b32_e32 v26, v27
	s_wait_alu 0xf1ff
	v_xor_b32_e32 v118, s15, v118
	v_cmp_gt_i32_e64 s15, 0, v27
	v_and_b32_e32 v20, exec_lo, v20
	v_not_b32_e32 v27, v115
	v_ashrrev_i32_e32 v26, 31, v26
	s_wait_alu 0xfffd
	v_xor_b32_e32 v25, vcc_lo, v25
	v_cmp_gt_i32_e32 vcc_lo, 0, v115
	v_and_b32_e32 v20, v20, v118
	v_not_b32_e32 v115, v116
	v_ashrrev_i32_e32 v27, 31, v27
	s_wait_alu 0xf1ff
	v_xor_b32_e32 v26, s15, v26
	v_cmp_gt_i32_e64 s15, 0, v116
	v_and_b32_e32 v20, v20, v25
	v_not_b32_e32 v25, v117
	v_ashrrev_i32_e32 v115, 31, v115
	s_wait_alu 0xfffd
	v_xor_b32_e32 v27, vcc_lo, v27
	v_cmp_gt_i32_e32 vcc_lo, 0, v117
	v_and_b32_e32 v20, v20, v26
	v_not_b32_e32 v26, v114
	v_ashrrev_i32_e32 v25, 31, v25
	s_wait_alu 0xf1ff
	v_xor_b32_e32 v115, s15, v115
	v_cmp_gt_i32_e64 s15, 0, v114
	v_and_b32_e32 v20, v20, v27
	v_ashrrev_i32_e32 v26, 31, v26
	s_wait_alu 0xfffd
	v_xor_b32_e32 v25, vcc_lo, v25
	v_mad_u32_u24 v27, v21, 36, v85
	v_mul_u32_u24_e32 v21, 36, v21
	v_and_b32_e32 v20, v20, v115
	s_wait_alu 0xf1ff
	v_xor_b32_e32 v26, s15, v26
	ds_load_b32 v114, v27 offset:1056
	v_add_nc_u32_e32 v117, v85, v21
	v_and_b32_e32 v20, v20, v25
	; wave barrier
	s_delay_alu instid0(VALU_DEP_1) | instskip(NEXT) | instid1(VALU_DEP_1)
	v_and_b32_e32 v20, v20, v26
	v_mbcnt_lo_u32_b32 v115, v20, 0
	v_cmp_ne_u32_e64 s15, 0, v20
	s_delay_alu instid0(VALU_DEP_2)
	v_cmp_eq_u32_e32 vcc_lo, 0, v115
	s_and_b32 s16, s15, vcc_lo
	s_wait_alu 0xfffe
	s_and_saveexec_b32 s15, s16
	s_cbranch_execz .LBB118_261
; %bb.260:                              ;   in Loop: Header=BB118_236 Depth=2
	s_wait_dscnt 0x0
	v_bcnt_u32_b32 v20, v20, v114
	ds_store_b32 v117, v20 offset:1056
.LBB118_261:                            ;   in Loop: Header=BB118_236 Depth=2
	s_wait_alu 0xfffe
	s_or_b32 exec_lo, exec_lo, s15
	v_xor_b32_e32 v116, -1, v24
	; wave barrier
	s_delay_alu instid0(VALU_DEP_1) | instskip(NEXT) | instid1(VALU_DEP_1)
	v_and_b32_e32 v20, 0xff, v116
	v_lshrrev_b32_e32 v20, s30, v20
	s_delay_alu instid0(VALU_DEP_1) | instskip(NEXT) | instid1(VALU_DEP_1)
	v_and_b32_e32 v21, s31, v20
	v_and_b32_e32 v20, 1, v21
	v_lshlrev_b32_e32 v24, 30, v21
	v_lshlrev_b32_e32 v25, 29, v21
	;; [unrolled: 1-line block ×4, first 2 shown]
	v_add_co_u32 v20, s15, v20, -1
	s_wait_alu 0xf1ff
	v_cndmask_b32_e64 v27, 0, 1, s15
	v_not_b32_e32 v121, v24
	v_cmp_gt_i32_e64 s15, 0, v24
	v_not_b32_e32 v24, v25
	v_lshlrev_b32_e32 v119, 26, v21
	v_cmp_ne_u32_e32 vcc_lo, 0, v27
	v_ashrrev_i32_e32 v121, 31, v121
	v_lshlrev_b32_e32 v120, 25, v21
	v_ashrrev_i32_e32 v24, 31, v24
	v_lshlrev_b32_e32 v27, 24, v21
	s_wait_alu 0xfffd
	v_xor_b32_e32 v20, vcc_lo, v20
	v_cmp_gt_i32_e32 vcc_lo, 0, v25
	v_not_b32_e32 v25, v26
	s_wait_alu 0xf1ff
	v_xor_b32_e32 v121, s15, v121
	v_cmp_gt_i32_e64 s15, 0, v26
	v_and_b32_e32 v20, exec_lo, v20
	v_not_b32_e32 v26, v118
	v_ashrrev_i32_e32 v25, 31, v25
	s_wait_alu 0xfffd
	v_xor_b32_e32 v24, vcc_lo, v24
	v_cmp_gt_i32_e32 vcc_lo, 0, v118
	v_and_b32_e32 v20, v20, v121
	v_not_b32_e32 v118, v119
	v_ashrrev_i32_e32 v26, 31, v26
	s_wait_alu 0xf1ff
	v_xor_b32_e32 v25, s15, v25
	v_cmp_gt_i32_e64 s15, 0, v119
	v_and_b32_e32 v20, v20, v24
	v_not_b32_e32 v24, v120
	v_ashrrev_i32_e32 v118, 31, v118
	s_wait_alu 0xfffd
	v_xor_b32_e32 v26, vcc_lo, v26
	v_cmp_gt_i32_e32 vcc_lo, 0, v120
	v_and_b32_e32 v20, v20, v25
	v_not_b32_e32 v25, v27
	v_ashrrev_i32_e32 v24, 31, v24
	s_wait_alu 0xf1ff
	v_xor_b32_e32 v118, s15, v118
	v_cmp_gt_i32_e64 s15, 0, v27
	v_and_b32_e32 v20, v20, v26
	v_ashrrev_i32_e32 v25, 31, v25
	s_wait_alu 0xfffd
	v_xor_b32_e32 v24, vcc_lo, v24
	v_mad_u32_u24 v26, v21, 36, v85
	v_mul_u32_u24_e32 v21, 36, v21
	v_and_b32_e32 v20, v20, v118
	s_wait_alu 0xf1ff
	v_xor_b32_e32 v25, s15, v25
	ds_load_b32 v118, v26 offset:1056
	v_add_nc_u32_e32 v121, v85, v21
	v_and_b32_e32 v20, v20, v24
	; wave barrier
	s_delay_alu instid0(VALU_DEP_1) | instskip(NEXT) | instid1(VALU_DEP_1)
	v_and_b32_e32 v20, v20, v25
	v_mbcnt_lo_u32_b32 v119, v20, 0
	v_cmp_ne_u32_e64 s15, 0, v20
	s_delay_alu instid0(VALU_DEP_2)
	v_cmp_eq_u32_e32 vcc_lo, 0, v119
	s_and_b32 s16, s15, vcc_lo
	s_wait_alu 0xfffe
	s_and_saveexec_b32 s15, s16
	s_cbranch_execz .LBB118_263
; %bb.262:                              ;   in Loop: Header=BB118_236 Depth=2
	s_wait_dscnt 0x0
	v_bcnt_u32_b32 v20, v20, v118
	ds_store_b32 v121, v20 offset:1056
.LBB118_263:                            ;   in Loop: Header=BB118_236 Depth=2
	s_wait_alu 0xfffe
	s_or_b32 exec_lo, exec_lo, s15
	v_xor_b32_e32 v120, -1, v23
	; wave barrier
	s_delay_alu instid0(VALU_DEP_1) | instskip(NEXT) | instid1(VALU_DEP_1)
	v_and_b32_e32 v20, 0xff, v120
	v_lshrrev_b32_e32 v20, s30, v20
	s_delay_alu instid0(VALU_DEP_1) | instskip(NEXT) | instid1(VALU_DEP_1)
	v_and_b32_e32 v21, s31, v20
	v_and_b32_e32 v20, 1, v21
	v_lshlrev_b32_e32 v23, 30, v21
	v_lshlrev_b32_e32 v24, 29, v21
	;; [unrolled: 1-line block ×4, first 2 shown]
	v_add_co_u32 v20, s15, v20, -1
	s_wait_alu 0xf1ff
	v_cndmask_b32_e64 v26, 0, 1, s15
	v_not_b32_e32 v124, v23
	v_cmp_gt_i32_e64 s15, 0, v23
	v_not_b32_e32 v23, v24
	v_lshlrev_b32_e32 v122, 26, v21
	v_cmp_ne_u32_e32 vcc_lo, 0, v26
	v_ashrrev_i32_e32 v124, 31, v124
	v_lshlrev_b32_e32 v123, 25, v21
	v_ashrrev_i32_e32 v23, 31, v23
	v_lshlrev_b32_e32 v26, 24, v21
	s_wait_alu 0xfffd
	v_xor_b32_e32 v20, vcc_lo, v20
	v_cmp_gt_i32_e32 vcc_lo, 0, v24
	v_not_b32_e32 v24, v25
	s_wait_alu 0xf1ff
	v_xor_b32_e32 v124, s15, v124
	v_cmp_gt_i32_e64 s15, 0, v25
	v_and_b32_e32 v20, exec_lo, v20
	v_not_b32_e32 v25, v27
	v_ashrrev_i32_e32 v24, 31, v24
	s_wait_alu 0xfffd
	v_xor_b32_e32 v23, vcc_lo, v23
	v_cmp_gt_i32_e32 vcc_lo, 0, v27
	v_and_b32_e32 v20, v20, v124
	v_not_b32_e32 v27, v122
	v_ashrrev_i32_e32 v25, 31, v25
	s_wait_alu 0xf1ff
	v_xor_b32_e32 v24, s15, v24
	v_cmp_gt_i32_e64 s15, 0, v122
	v_and_b32_e32 v20, v20, v23
	v_not_b32_e32 v23, v123
	v_ashrrev_i32_e32 v27, 31, v27
	s_wait_alu 0xfffd
	v_xor_b32_e32 v25, vcc_lo, v25
	v_cmp_gt_i32_e32 vcc_lo, 0, v123
	v_and_b32_e32 v20, v20, v24
	v_not_b32_e32 v24, v26
	v_ashrrev_i32_e32 v23, 31, v23
	s_wait_alu 0xf1ff
	v_xor_b32_e32 v27, s15, v27
	v_cmp_gt_i32_e64 s15, 0, v26
	v_and_b32_e32 v20, v20, v25
	v_ashrrev_i32_e32 v24, 31, v24
	s_wait_alu 0xfffd
	v_xor_b32_e32 v23, vcc_lo, v23
	v_mad_u32_u24 v25, v21, 36, v85
	v_mul_u32_u24_e32 v21, 36, v21
	v_and_b32_e32 v20, v20, v27
	s_wait_alu 0xf1ff
	v_xor_b32_e32 v24, s15, v24
	ds_load_b32 v122, v25 offset:1056
	v_add_nc_u32_e32 v125, v85, v21
	v_and_b32_e32 v20, v20, v23
	; wave barrier
	s_delay_alu instid0(VALU_DEP_1) | instskip(NEXT) | instid1(VALU_DEP_1)
	v_and_b32_e32 v20, v20, v24
	v_mbcnt_lo_u32_b32 v123, v20, 0
	v_cmp_ne_u32_e64 s15, 0, v20
	s_delay_alu instid0(VALU_DEP_2)
	v_cmp_eq_u32_e32 vcc_lo, 0, v123
	s_and_b32 s16, s15, vcc_lo
	s_wait_alu 0xfffe
	s_and_saveexec_b32 s15, s16
	s_cbranch_execz .LBB118_265
; %bb.264:                              ;   in Loop: Header=BB118_236 Depth=2
	s_wait_dscnt 0x0
	v_bcnt_u32_b32 v20, v20, v122
	ds_store_b32 v125, v20 offset:1056
.LBB118_265:                            ;   in Loop: Header=BB118_236 Depth=2
	s_wait_alu 0xfffe
	s_or_b32 exec_lo, exec_lo, s15
	v_xor_b32_e32 v124, -1, v22
	; wave barrier
	s_delay_alu instid0(VALU_DEP_1) | instskip(NEXT) | instid1(VALU_DEP_1)
	v_and_b32_e32 v20, 0xff, v124
	v_lshrrev_b32_e32 v20, s30, v20
	s_delay_alu instid0(VALU_DEP_1) | instskip(NEXT) | instid1(VALU_DEP_1)
	v_and_b32_e32 v21, s31, v20
	v_and_b32_e32 v20, 1, v21
	v_lshlrev_b32_e32 v22, 30, v21
	v_lshlrev_b32_e32 v23, 29, v21
	;; [unrolled: 1-line block ×4, first 2 shown]
	v_add_co_u32 v20, s15, v20, -1
	s_wait_alu 0xf1ff
	v_cndmask_b32_e64 v25, 0, 1, s15
	v_not_b32_e32 v127, v22
	v_cmp_gt_i32_e64 s15, 0, v22
	v_not_b32_e32 v22, v23
	v_lshlrev_b32_e32 v27, 26, v21
	v_cmp_ne_u32_e32 vcc_lo, 0, v25
	v_ashrrev_i32_e32 v127, 31, v127
	v_lshlrev_b32_e32 v126, 25, v21
	v_ashrrev_i32_e32 v22, 31, v22
	v_lshlrev_b32_e32 v25, 24, v21
	s_wait_alu 0xfffd
	v_xor_b32_e32 v20, vcc_lo, v20
	v_cmp_gt_i32_e32 vcc_lo, 0, v23
	v_not_b32_e32 v23, v24
	s_wait_alu 0xf1ff
	v_xor_b32_e32 v127, s15, v127
	v_cmp_gt_i32_e64 s15, 0, v24
	v_and_b32_e32 v20, exec_lo, v20
	v_not_b32_e32 v24, v26
	v_ashrrev_i32_e32 v23, 31, v23
	s_wait_alu 0xfffd
	v_xor_b32_e32 v22, vcc_lo, v22
	v_cmp_gt_i32_e32 vcc_lo, 0, v26
	v_and_b32_e32 v20, v20, v127
	v_not_b32_e32 v26, v27
	v_ashrrev_i32_e32 v24, 31, v24
	s_wait_alu 0xf1ff
	v_xor_b32_e32 v23, s15, v23
	v_cmp_gt_i32_e64 s15, 0, v27
	v_and_b32_e32 v20, v20, v22
	v_not_b32_e32 v22, v126
	v_ashrrev_i32_e32 v26, 31, v26
	s_wait_alu 0xfffd
	v_xor_b32_e32 v24, vcc_lo, v24
	v_cmp_gt_i32_e32 vcc_lo, 0, v126
	v_and_b32_e32 v20, v20, v23
	v_not_b32_e32 v23, v25
	v_ashrrev_i32_e32 v22, 31, v22
	s_wait_alu 0xf1ff
	v_xor_b32_e32 v26, s15, v26
	v_cmp_gt_i32_e64 s15, 0, v25
	v_and_b32_e32 v20, v20, v24
	v_ashrrev_i32_e32 v23, 31, v23
	s_wait_alu 0xfffd
	v_xor_b32_e32 v22, vcc_lo, v22
	v_mad_u32_u24 v24, v21, 36, v85
	v_mul_u32_u24_e32 v21, 36, v21
	v_and_b32_e32 v20, v20, v26
	s_wait_alu 0xf1ff
	v_xor_b32_e32 v23, s15, v23
	ds_load_b32 v126, v24 offset:1056
	v_add_nc_u32_e32 v128, v85, v21
	v_and_b32_e32 v20, v20, v22
	; wave barrier
	s_delay_alu instid0(VALU_DEP_1) | instskip(NEXT) | instid1(VALU_DEP_1)
	v_and_b32_e32 v20, v20, v23
	v_mbcnt_lo_u32_b32 v127, v20, 0
	v_cmp_ne_u32_e64 s15, 0, v20
	s_delay_alu instid0(VALU_DEP_2)
	v_cmp_eq_u32_e32 vcc_lo, 0, v127
	s_and_b32 s16, s15, vcc_lo
	s_wait_alu 0xfffe
	s_and_saveexec_b32 s15, s16
	s_cbranch_execz .LBB118_267
; %bb.266:                              ;   in Loop: Header=BB118_236 Depth=2
	s_wait_dscnt 0x0
	v_bcnt_u32_b32 v20, v20, v126
	ds_store_b32 v128, v20 offset:1056
.LBB118_267:                            ;   in Loop: Header=BB118_236 Depth=2
	s_wait_alu 0xfffe
	s_or_b32 exec_lo, exec_lo, s15
	; wave barrier
	s_wait_loadcnt_dscnt 0x0
	s_barrier_signal -1
	s_barrier_wait -1
	global_inv scope:SCOPE_SE
	ds_load_2addr_b32 v[26:27], v98 offset1:1
	ds_load_2addr_b32 v[24:25], v99 offset1:1
	;; [unrolled: 1-line block ×4, first 2 shown]
	ds_load_b32 v129, v45 offset:1088
	s_wait_dscnt 0x3
	v_add3_u32 v130, v27, v26, v24
	s_wait_dscnt 0x2
	s_delay_alu instid0(VALU_DEP_1) | instskip(SKIP_1) | instid1(VALU_DEP_1)
	v_add3_u32 v130, v130, v25, v22
	s_wait_dscnt 0x1
	v_add3_u32 v130, v130, v23, v20
	s_wait_dscnt 0x0
	s_delay_alu instid0(VALU_DEP_1) | instskip(NEXT) | instid1(VALU_DEP_1)
	v_add3_u32 v129, v130, v21, v129
	v_mov_b32_dpp v130, v129 row_shr:1 row_mask:0xf bank_mask:0xf
	s_delay_alu instid0(VALU_DEP_1) | instskip(NEXT) | instid1(VALU_DEP_1)
	v_cndmask_b32_e64 v130, v130, 0, s0
	v_add_nc_u32_e32 v129, v130, v129
	s_delay_alu instid0(VALU_DEP_1) | instskip(NEXT) | instid1(VALU_DEP_1)
	v_mov_b32_dpp v130, v129 row_shr:2 row_mask:0xf bank_mask:0xf
	v_cndmask_b32_e64 v130, 0, v130, s1
	s_delay_alu instid0(VALU_DEP_1) | instskip(NEXT) | instid1(VALU_DEP_1)
	v_add_nc_u32_e32 v129, v129, v130
	v_mov_b32_dpp v130, v129 row_shr:4 row_mask:0xf bank_mask:0xf
	s_delay_alu instid0(VALU_DEP_1) | instskip(NEXT) | instid1(VALU_DEP_1)
	v_cndmask_b32_e64 v130, 0, v130, s9
	v_add_nc_u32_e32 v129, v129, v130
	s_delay_alu instid0(VALU_DEP_1) | instskip(NEXT) | instid1(VALU_DEP_1)
	v_mov_b32_dpp v130, v129 row_shr:8 row_mask:0xf bank_mask:0xf
	v_cndmask_b32_e64 v130, 0, v130, s10
	s_delay_alu instid0(VALU_DEP_1) | instskip(SKIP_3) | instid1(VALU_DEP_1)
	v_add_nc_u32_e32 v129, v129, v130
	ds_swizzle_b32 v130, v129 offset:swizzle(BROADCAST,32,15)
	s_wait_dscnt 0x0
	v_cndmask_b32_e64 v130, v130, 0, s11
	v_add_nc_u32_e32 v129, v129, v130
	s_and_saveexec_b32 s15, s3
; %bb.268:                              ;   in Loop: Header=BB118_236 Depth=2
	ds_store_b32 v38, v129 offset:1024
; %bb.269:                              ;   in Loop: Header=BB118_236 Depth=2
	s_wait_alu 0xfffe
	s_or_b32 exec_lo, exec_lo, s15
	s_wait_loadcnt_dscnt 0x0
	s_barrier_signal -1
	s_barrier_wait -1
	global_inv scope:SCOPE_SE
	s_and_saveexec_b32 s15, s4
	s_cbranch_execz .LBB118_271
; %bb.270:                              ;   in Loop: Header=BB118_236 Depth=2
	v_add_nc_u32_e32 v130, v45, v46
	ds_load_b32 v131, v130 offset:1024
	s_wait_dscnt 0x0
	v_mov_b32_dpp v132, v131 row_shr:1 row_mask:0xf bank_mask:0xf
	s_delay_alu instid0(VALU_DEP_1) | instskip(NEXT) | instid1(VALU_DEP_1)
	v_cndmask_b32_e64 v132, v132, 0, s12
	v_add_nc_u32_e32 v131, v132, v131
	s_delay_alu instid0(VALU_DEP_1) | instskip(NEXT) | instid1(VALU_DEP_1)
	v_mov_b32_dpp v132, v131 row_shr:2 row_mask:0xf bank_mask:0xf
	v_cndmask_b32_e64 v132, 0, v132, s13
	s_delay_alu instid0(VALU_DEP_1) | instskip(NEXT) | instid1(VALU_DEP_1)
	v_add_nc_u32_e32 v131, v131, v132
	v_mov_b32_dpp v132, v131 row_shr:4 row_mask:0xf bank_mask:0xf
	s_delay_alu instid0(VALU_DEP_1) | instskip(NEXT) | instid1(VALU_DEP_1)
	v_cndmask_b32_e64 v132, 0, v132, s14
	v_add_nc_u32_e32 v131, v131, v132
	ds_store_b32 v130, v131 offset:1024
.LBB118_271:                            ;   in Loop: Header=BB118_236 Depth=2
	s_wait_alu 0xfffe
	s_or_b32 exec_lo, exec_lo, s15
	v_mov_b32_e32 v130, 0
	s_wait_loadcnt_dscnt 0x0
	s_barrier_signal -1
	s_barrier_wait -1
	global_inv scope:SCOPE_SE
	s_and_saveexec_b32 s15, s5
; %bb.272:                              ;   in Loop: Header=BB118_236 Depth=2
	ds_load_b32 v130, v38 offset:1020
; %bb.273:                              ;   in Loop: Header=BB118_236 Depth=2
	s_wait_alu 0xfffe
	s_or_b32 exec_lo, exec_lo, s15
	s_wait_dscnt 0x0
	v_add_nc_u32_e32 v129, v130, v129
	ds_bpermute_b32 v129, v80, v129
	s_wait_dscnt 0x0
	v_cndmask_b32_e64 v129, v129, v130, s8
	s_delay_alu instid0(VALU_DEP_1) | instskip(NEXT) | instid1(VALU_DEP_1)
	v_cndmask_b32_e64 v129, v129, 0, s6
	v_add_nc_u32_e32 v26, v129, v26
	s_delay_alu instid0(VALU_DEP_1) | instskip(NEXT) | instid1(VALU_DEP_1)
	v_add_nc_u32_e32 v27, v26, v27
	v_add_nc_u32_e32 v24, v27, v24
	s_delay_alu instid0(VALU_DEP_1) | instskip(NEXT) | instid1(VALU_DEP_1)
	v_add_nc_u32_e32 v25, v24, v25
	;; [unrolled: 3-line block ×3, first 2 shown]
	v_add_nc_u32_e32 v20, v23, v20
	s_delay_alu instid0(VALU_DEP_1)
	v_add_nc_u32_e32 v21, v20, v21
	ds_store_2addr_b32 v97, v23, v20 offset1:1
	ds_store_2addr_b32 v98, v129, v26 offset1:1
	;; [unrolled: 1-line block ×4, first 2 shown]
	ds_store_b32 v45, v21 offset:1088
	s_wait_loadcnt_dscnt 0x0
	s_barrier_signal -1
	s_barrier_wait -1
	global_inv scope:SCOPE_SE
	ds_load_b32 v20, v101 offset:1056
	ds_load_b32 v21, v105 offset:1056
	;; [unrolled: 1-line block ×9, first 2 shown]
	v_mov_b32_e32 v22, 0x800
	s_and_saveexec_b32 s15, s7
; %bb.274:                              ;   in Loop: Header=BB118_236 Depth=2
	ds_load_b32 v22, v45 offset:1092
; %bb.275:                              ;   in Loop: Header=BB118_236 Depth=2
	s_wait_alu 0xfffe
	s_or_b32 exec_lo, exec_lo, s15
	s_wait_loadcnt_dscnt 0x0
	s_barrier_signal -1
	s_barrier_wait -1
	global_inv scope:SCOPE_SE
	s_and_saveexec_b32 s15, s2
	s_cbranch_execz .LBB118_277
; %bb.276:                              ;   in Loop: Header=BB118_236 Depth=2
	ds_load_b32 v27, v28
	s_wait_dscnt 0x0
	v_sub_nc_u32_e32 v26, v27, v26
	ds_store_b32 v28, v26
.LBB118_277:                            ;   in Loop: Header=BB118_236 Depth=2
	s_wait_alu 0xfffe
	s_or_b32 exec_lo, exec_lo, s15
	v_add_nc_u32_e32 v98, v20, v95
	v_add3_u32 v97, v103, v102, v21
	v_add3_u32 v95, v107, v106, v23
	;; [unrolled: 1-line block ×7, first 2 shown]
	v_cmp_lt_u32_e64 s20, v1, v2
	ds_store_b8 v98, v94 offset:1024
	ds_store_b8 v97, v96 offset:1024
	;; [unrolled: 1-line block ×8, first 2 shown]
	s_wait_loadcnt_dscnt 0x0
	s_barrier_signal -1
	s_barrier_wait -1
	global_inv scope:SCOPE_SE
	s_and_saveexec_b32 s15, s20
	s_cbranch_execnz .LBB118_314
; %bb.278:                              ;   in Loop: Header=BB118_236 Depth=2
	s_wait_alu 0xfffe
	s_or_b32 exec_lo, exec_lo, s15
	v_cmp_lt_u32_e64 s21, v29, v2
	s_and_saveexec_b32 s15, s21
	s_cbranch_execnz .LBB118_315
.LBB118_279:                            ;   in Loop: Header=BB118_236 Depth=2
	s_wait_alu 0xfffe
	s_or_b32 exec_lo, exec_lo, s15
	v_cmp_lt_u32_e64 s19, v30, v2
	s_and_saveexec_b32 s15, s19
	s_cbranch_execnz .LBB118_316
.LBB118_280:                            ;   in Loop: Header=BB118_236 Depth=2
	s_wait_alu 0xfffe
	s_or_b32 exec_lo, exec_lo, s15
	v_cmp_lt_u32_e64 s18, v31, v2
	s_and_saveexec_b32 s15, s18
	s_cbranch_execnz .LBB118_317
.LBB118_281:                            ;   in Loop: Header=BB118_236 Depth=2
	s_wait_alu 0xfffe
	s_or_b32 exec_lo, exec_lo, s15
	v_cmp_lt_u32_e64 s17, v34, v2
	s_and_saveexec_b32 s15, s17
	s_cbranch_execnz .LBB118_318
.LBB118_282:                            ;   in Loop: Header=BB118_236 Depth=2
	s_wait_alu 0xfffe
	s_or_b32 exec_lo, exec_lo, s15
	v_cmp_lt_u32_e64 s16, v35, v2
	s_and_saveexec_b32 s15, s16
	s_cbranch_execnz .LBB118_319
.LBB118_283:                            ;   in Loop: Header=BB118_236 Depth=2
	s_wait_alu 0xfffe
	s_or_b32 exec_lo, exec_lo, s15
	v_cmp_lt_u32_e64 s15, v36, v2
	s_and_saveexec_b32 s44, s15
	s_cbranch_execnz .LBB118_320
.LBB118_284:                            ;   in Loop: Header=BB118_236 Depth=2
	s_wait_alu 0xfffe
	s_or_b32 exec_lo, exec_lo, s44
	v_cmp_lt_u32_e32 vcc_lo, v37, v2
	s_and_saveexec_b32 s44, vcc_lo
	s_cbranch_execz .LBB118_286
.LBB118_285:                            ;   in Loop: Header=BB118_236 Depth=2
	ds_load_u8 v20, v1 offset:2816
	s_wait_dscnt 0x0
	v_and_b32_e32 v21, 0xff, v20
	v_xor_b32_e32 v20, -1, v20
	s_delay_alu instid0(VALU_DEP_2) | instskip(NEXT) | instid1(VALU_DEP_1)
	v_lshrrev_b32_e32 v21, s30, v21
	v_and_b32_e32 v21, s31, v21
	s_delay_alu instid0(VALU_DEP_1)
	v_lshlrev_b32_e32 v21, 2, v21
	ds_load_b32 v21, v21
	s_wait_dscnt 0x0
	v_add_nc_u32_e32 v21, v21, v37
	global_store_b8 v21, v20, s[40:41]
.LBB118_286:                            ;   in Loop: Header=BB118_236 Depth=2
	s_wait_alu 0xfffe
	s_or_b32 exec_lo, exec_lo, s44
	s_lshl_b64 s[48:49], s[22:23], 3
	s_wait_alu 0xfffe
	v_add_co_u32 v20, s22, v81, s48
	s_wait_alu 0xf1ff
	v_add_co_ci_u32_e64 v21, null, s49, v82, s22
	v_cmp_lt_u32_e64 s22, v68, v2
	s_and_saveexec_b32 s44, s22
	s_wait_alu 0xfffe
	s_xor_b32 s22, exec_lo, s44
	s_cbranch_execnz .LBB118_321
; %bb.287:                              ;   in Loop: Header=BB118_236 Depth=2
	s_wait_alu 0xfffe
	s_or_b32 exec_lo, exec_lo, s22
	s_delay_alu instid0(SALU_CYCLE_1)
	s_mov_b32 s44, exec_lo
	v_cmpx_lt_u32_e64 v71, v2
	s_cbranch_execnz .LBB118_322
.LBB118_288:                            ;   in Loop: Header=BB118_236 Depth=2
	s_wait_alu 0xfffe
	s_or_b32 exec_lo, exec_lo, s44
	s_delay_alu instid0(SALU_CYCLE_1)
	s_mov_b32 s44, exec_lo
	v_cmpx_lt_u32_e64 v72, v2
	s_cbranch_execnz .LBB118_323
.LBB118_289:                            ;   in Loop: Header=BB118_236 Depth=2
	s_wait_alu 0xfffe
	s_or_b32 exec_lo, exec_lo, s44
	s_delay_alu instid0(SALU_CYCLE_1)
	s_mov_b32 s44, exec_lo
	v_cmpx_lt_u32_e64 v73, v2
	s_cbranch_execnz .LBB118_324
.LBB118_290:                            ;   in Loop: Header=BB118_236 Depth=2
	s_wait_alu 0xfffe
	s_or_b32 exec_lo, exec_lo, s44
	s_delay_alu instid0(SALU_CYCLE_1)
	s_mov_b32 s44, exec_lo
	v_cmpx_lt_u32_e64 v74, v2
	s_cbranch_execnz .LBB118_325
.LBB118_291:                            ;   in Loop: Header=BB118_236 Depth=2
	s_wait_alu 0xfffe
	s_or_b32 exec_lo, exec_lo, s44
	s_delay_alu instid0(SALU_CYCLE_1)
	s_mov_b32 s44, exec_lo
	v_cmpx_lt_u32_e64 v75, v2
	s_cbranch_execnz .LBB118_326
.LBB118_292:                            ;   in Loop: Header=BB118_236 Depth=2
	s_wait_alu 0xfffe
	s_or_b32 exec_lo, exec_lo, s44
	s_delay_alu instid0(SALU_CYCLE_1)
	s_mov_b32 s44, exec_lo
	v_cmpx_lt_u32_e64 v76, v2
	s_cbranch_execnz .LBB118_327
.LBB118_293:                            ;   in Loop: Header=BB118_236 Depth=2
	s_wait_alu 0xfffe
	s_or_b32 exec_lo, exec_lo, s44
	s_delay_alu instid0(SALU_CYCLE_1)
	s_mov_b32 s44, exec_lo
	v_cmpx_lt_u32_e64 v77, v2
	s_cbranch_execnz .LBB118_328
.LBB118_294:                            ;   in Loop: Header=BB118_236 Depth=2
	s_wait_alu 0xfffe
	s_or_b32 exec_lo, exec_lo, s44
	s_and_saveexec_b32 s22, s20
	s_cbranch_execnz .LBB118_329
.LBB118_295:                            ;   in Loop: Header=BB118_236 Depth=2
	s_wait_alu 0xfffe
	s_or_b32 exec_lo, exec_lo, s22
	s_and_saveexec_b32 s22, s21
	s_cbranch_execnz .LBB118_330
.LBB118_296:                            ;   in Loop: Header=BB118_236 Depth=2
	s_wait_alu 0xfffe
	s_or_b32 exec_lo, exec_lo, s22
	s_and_saveexec_b32 s22, s19
	s_cbranch_execnz .LBB118_331
.LBB118_297:                            ;   in Loop: Header=BB118_236 Depth=2
	s_wait_alu 0xfffe
	s_or_b32 exec_lo, exec_lo, s22
	s_and_saveexec_b32 s22, s18
	s_cbranch_execnz .LBB118_332
.LBB118_298:                            ;   in Loop: Header=BB118_236 Depth=2
	s_wait_alu 0xfffe
	s_or_b32 exec_lo, exec_lo, s22
	s_and_saveexec_b32 s22, s17
	s_cbranch_execnz .LBB118_333
.LBB118_299:                            ;   in Loop: Header=BB118_236 Depth=2
	s_wait_alu 0xfffe
	s_or_b32 exec_lo, exec_lo, s22
	s_and_saveexec_b32 s22, s16
	s_cbranch_execnz .LBB118_334
.LBB118_300:                            ;   in Loop: Header=BB118_236 Depth=2
	s_wait_alu 0xfffe
	s_or_b32 exec_lo, exec_lo, s22
	s_and_saveexec_b32 s22, s15
	s_cbranch_execnz .LBB118_335
.LBB118_301:                            ;   in Loop: Header=BB118_236 Depth=2
	s_wait_alu 0xfffe
	s_or_b32 exec_lo, exec_lo, s22
	s_and_saveexec_b32 s22, vcc_lo
	s_cbranch_execz .LBB118_303
.LBB118_302:                            ;   in Loop: Header=BB118_236 Depth=2
	ds_load_u8 v2, v1 offset:2816
	s_wait_dscnt 0x0
	v_lshrrev_b32_e32 v2, s30, v2
	s_delay_alu instid0(VALU_DEP_1)
	v_and_b32_e32 v86, s31, v2
.LBB118_303:                            ;   in Loop: Header=BB118_236 Depth=2
	s_wait_alu 0xfffe
	s_or_b32 exec_lo, exec_lo, s22
	v_lshlrev_b32_e32 v2, 3, v98
	v_lshlrev_b32_e32 v20, 3, v97
	;; [unrolled: 1-line block ×3, first 2 shown]
	s_wait_loadcnt 0x0
	s_wait_storecnt 0x0
	s_barrier_signal -1
	s_barrier_wait -1
	global_inv scope:SCOPE_SE
	ds_store_b64 v2, v[18:19] offset:1024
	ds_store_b64 v20, v[16:17] offset:1024
	;; [unrolled: 1-line block ×3, first 2 shown]
	v_lshlrev_b32_e32 v2, 3, v27
	v_lshlrev_b32_e32 v20, 3, v26
	;; [unrolled: 1-line block ×5, first 2 shown]
	ds_store_b64 v2, v[12:13] offset:1024
	ds_store_b64 v20, v[10:11] offset:1024
	;; [unrolled: 1-line block ×5, first 2 shown]
	s_wait_loadcnt_dscnt 0x0
	s_barrier_signal -1
	s_barrier_wait -1
	global_inv scope:SCOPE_SE
	s_and_saveexec_b32 s22, s20
	s_cbranch_execnz .LBB118_336
; %bb.304:                              ;   in Loop: Header=BB118_236 Depth=2
	s_wait_alu 0xfffe
	s_or_b32 exec_lo, exec_lo, s22
	s_and_saveexec_b32 s22, s21
	s_cbranch_execnz .LBB118_337
.LBB118_305:                            ;   in Loop: Header=BB118_236 Depth=2
	s_wait_alu 0xfffe
	s_or_b32 exec_lo, exec_lo, s22
	s_and_saveexec_b32 s20, s19
	s_cbranch_execnz .LBB118_338
.LBB118_306:                            ;   in Loop: Header=BB118_236 Depth=2
	s_wait_alu 0xfffe
	s_or_b32 exec_lo, exec_lo, s20
	s_and_saveexec_b32 s19, s18
	s_cbranch_execnz .LBB118_339
.LBB118_307:                            ;   in Loop: Header=BB118_236 Depth=2
	s_wait_alu 0xfffe
	s_or_b32 exec_lo, exec_lo, s19
	s_and_saveexec_b32 s18, s17
	s_cbranch_execnz .LBB118_340
.LBB118_308:                            ;   in Loop: Header=BB118_236 Depth=2
	s_wait_alu 0xfffe
	s_or_b32 exec_lo, exec_lo, s18
	s_and_saveexec_b32 s17, s16
	s_cbranch_execnz .LBB118_341
.LBB118_309:                            ;   in Loop: Header=BB118_236 Depth=2
	s_wait_alu 0xfffe
	s_or_b32 exec_lo, exec_lo, s17
	s_and_saveexec_b32 s16, s15
	s_cbranch_execnz .LBB118_342
.LBB118_310:                            ;   in Loop: Header=BB118_236 Depth=2
	s_wait_alu 0xfffe
	s_or_b32 exec_lo, exec_lo, s16
	s_and_saveexec_b32 s15, vcc_lo
	s_cbranch_execz .LBB118_312
.LBB118_311:                            ;   in Loop: Header=BB118_236 Depth=2
	v_lshlrev_b32_e32 v2, 2, v86
	v_add_nc_u32_e32 v20, v1, v47
	ds_load_b32 v2, v2
	ds_load_b64 v[20:21], v20 offset:15360
	s_wait_dscnt 0x1
	v_add_nc_u32_e32 v2, v2, v37
	s_delay_alu instid0(VALU_DEP_1) | instskip(NEXT) | instid1(VALU_DEP_1)
	v_lshlrev_b64_e32 v[23:24], 3, v[2:3]
	v_add_co_u32 v23, vcc_lo, s26, v23
	s_wait_alu 0xfffd
	s_delay_alu instid0(VALU_DEP_2)
	v_add_co_ci_u32_e64 v24, null, s27, v24, vcc_lo
	s_wait_dscnt 0x0
	global_store_b64 v[23:24], v[20:21], off
.LBB118_312:                            ;   in Loop: Header=BB118_236 Depth=2
	s_wait_alu 0xfffe
	s_or_b32 exec_lo, exec_lo, s15
	s_wait_loadcnt 0x0
	s_wait_storecnt 0x0
	s_barrier_signal -1
	s_barrier_wait -1
	global_inv scope:SCOPE_SE
	s_and_saveexec_b32 s15, s2
	s_cbranch_execz .LBB118_235
; %bb.313:                              ;   in Loop: Header=BB118_236 Depth=2
	ds_load_b32 v2, v28
	s_wait_dscnt 0x0
	v_add_nc_u32_e32 v2, v2, v22
	ds_store_b32 v28, v2
	s_branch .LBB118_235
.LBB118_314:                            ;   in Loop: Header=BB118_236 Depth=2
	ds_load_u8 v20, v1 offset:1024
	s_wait_dscnt 0x0
	v_and_b32_e32 v21, 0xff, v20
	v_xor_b32_e32 v20, -1, v20
	s_delay_alu instid0(VALU_DEP_2) | instskip(NEXT) | instid1(VALU_DEP_1)
	v_lshrrev_b32_e32 v21, s30, v21
	v_and_b32_e32 v21, s31, v21
	s_delay_alu instid0(VALU_DEP_1)
	v_lshlrev_b32_e32 v21, 2, v21
	ds_load_b32 v21, v21
	s_wait_dscnt 0x0
	v_add_nc_u32_e32 v21, v21, v1
	global_store_b8 v21, v20, s[40:41]
	s_wait_alu 0xfffe
	s_or_b32 exec_lo, exec_lo, s15
	v_cmp_lt_u32_e64 s21, v29, v2
	s_and_saveexec_b32 s15, s21
	s_cbranch_execz .LBB118_279
.LBB118_315:                            ;   in Loop: Header=BB118_236 Depth=2
	ds_load_u8 v20, v1 offset:1280
	s_wait_dscnt 0x0
	v_and_b32_e32 v21, 0xff, v20
	v_xor_b32_e32 v20, -1, v20
	s_delay_alu instid0(VALU_DEP_2) | instskip(NEXT) | instid1(VALU_DEP_1)
	v_lshrrev_b32_e32 v21, s30, v21
	v_and_b32_e32 v21, s31, v21
	s_delay_alu instid0(VALU_DEP_1)
	v_lshlrev_b32_e32 v21, 2, v21
	ds_load_b32 v21, v21
	s_wait_dscnt 0x0
	v_add_nc_u32_e32 v21, v21, v29
	global_store_b8 v21, v20, s[40:41]
	s_wait_alu 0xfffe
	s_or_b32 exec_lo, exec_lo, s15
	v_cmp_lt_u32_e64 s19, v30, v2
	s_and_saveexec_b32 s15, s19
	s_cbranch_execz .LBB118_280
.LBB118_316:                            ;   in Loop: Header=BB118_236 Depth=2
	ds_load_u8 v20, v1 offset:1536
	s_wait_dscnt 0x0
	v_and_b32_e32 v21, 0xff, v20
	v_xor_b32_e32 v20, -1, v20
	s_delay_alu instid0(VALU_DEP_2) | instskip(NEXT) | instid1(VALU_DEP_1)
	v_lshrrev_b32_e32 v21, s30, v21
	v_and_b32_e32 v21, s31, v21
	s_delay_alu instid0(VALU_DEP_1)
	v_lshlrev_b32_e32 v21, 2, v21
	ds_load_b32 v21, v21
	s_wait_dscnt 0x0
	v_add_nc_u32_e32 v21, v21, v30
	global_store_b8 v21, v20, s[40:41]
	s_wait_alu 0xfffe
	s_or_b32 exec_lo, exec_lo, s15
	v_cmp_lt_u32_e64 s18, v31, v2
	s_and_saveexec_b32 s15, s18
	s_cbranch_execz .LBB118_281
.LBB118_317:                            ;   in Loop: Header=BB118_236 Depth=2
	ds_load_u8 v20, v1 offset:1792
	s_wait_dscnt 0x0
	v_and_b32_e32 v21, 0xff, v20
	v_xor_b32_e32 v20, -1, v20
	s_delay_alu instid0(VALU_DEP_2) | instskip(NEXT) | instid1(VALU_DEP_1)
	v_lshrrev_b32_e32 v21, s30, v21
	v_and_b32_e32 v21, s31, v21
	s_delay_alu instid0(VALU_DEP_1)
	v_lshlrev_b32_e32 v21, 2, v21
	ds_load_b32 v21, v21
	s_wait_dscnt 0x0
	v_add_nc_u32_e32 v21, v21, v31
	global_store_b8 v21, v20, s[40:41]
	s_wait_alu 0xfffe
	s_or_b32 exec_lo, exec_lo, s15
	v_cmp_lt_u32_e64 s17, v34, v2
	s_and_saveexec_b32 s15, s17
	s_cbranch_execz .LBB118_282
.LBB118_318:                            ;   in Loop: Header=BB118_236 Depth=2
	ds_load_u8 v20, v1 offset:2048
	s_wait_dscnt 0x0
	v_and_b32_e32 v21, 0xff, v20
	v_xor_b32_e32 v20, -1, v20
	s_delay_alu instid0(VALU_DEP_2) | instskip(NEXT) | instid1(VALU_DEP_1)
	v_lshrrev_b32_e32 v21, s30, v21
	v_and_b32_e32 v21, s31, v21
	s_delay_alu instid0(VALU_DEP_1)
	v_lshlrev_b32_e32 v21, 2, v21
	ds_load_b32 v21, v21
	s_wait_dscnt 0x0
	v_add_nc_u32_e32 v21, v21, v34
	global_store_b8 v21, v20, s[40:41]
	s_wait_alu 0xfffe
	s_or_b32 exec_lo, exec_lo, s15
	v_cmp_lt_u32_e64 s16, v35, v2
	s_and_saveexec_b32 s15, s16
	s_cbranch_execz .LBB118_283
.LBB118_319:                            ;   in Loop: Header=BB118_236 Depth=2
	ds_load_u8 v20, v1 offset:2304
	s_wait_dscnt 0x0
	v_and_b32_e32 v21, 0xff, v20
	v_xor_b32_e32 v20, -1, v20
	s_delay_alu instid0(VALU_DEP_2) | instskip(NEXT) | instid1(VALU_DEP_1)
	v_lshrrev_b32_e32 v21, s30, v21
	v_and_b32_e32 v21, s31, v21
	s_delay_alu instid0(VALU_DEP_1)
	v_lshlrev_b32_e32 v21, 2, v21
	ds_load_b32 v21, v21
	s_wait_dscnt 0x0
	v_add_nc_u32_e32 v21, v21, v35
	global_store_b8 v21, v20, s[40:41]
	s_wait_alu 0xfffe
	s_or_b32 exec_lo, exec_lo, s15
	v_cmp_lt_u32_e64 s15, v36, v2
	s_and_saveexec_b32 s44, s15
	s_cbranch_execz .LBB118_284
.LBB118_320:                            ;   in Loop: Header=BB118_236 Depth=2
	ds_load_u8 v20, v1 offset:2560
	s_wait_dscnt 0x0
	v_and_b32_e32 v21, 0xff, v20
	v_xor_b32_e32 v20, -1, v20
	s_delay_alu instid0(VALU_DEP_2) | instskip(NEXT) | instid1(VALU_DEP_1)
	v_lshrrev_b32_e32 v21, s30, v21
	v_and_b32_e32 v21, s31, v21
	s_delay_alu instid0(VALU_DEP_1)
	v_lshlrev_b32_e32 v21, 2, v21
	ds_load_b32 v21, v21
	s_wait_dscnt 0x0
	v_add_nc_u32_e32 v21, v21, v36
	global_store_b8 v21, v20, s[40:41]
	s_wait_alu 0xfffe
	s_or_b32 exec_lo, exec_lo, s44
	v_cmp_lt_u32_e32 vcc_lo, v37, v2
	s_and_saveexec_b32 s44, vcc_lo
	s_cbranch_execnz .LBB118_285
	s_branch .LBB118_286
.LBB118_321:                            ;   in Loop: Header=BB118_236 Depth=2
	global_load_b64 v[18:19], v[20:21], off
	s_wait_alu 0xfffe
	s_or_b32 exec_lo, exec_lo, s22
	s_delay_alu instid0(SALU_CYCLE_1)
	s_mov_b32 s44, exec_lo
	v_cmpx_lt_u32_e64 v71, v2
	s_cbranch_execz .LBB118_288
.LBB118_322:                            ;   in Loop: Header=BB118_236 Depth=2
	global_load_b64 v[16:17], v[20:21], off offset:256
	s_wait_alu 0xfffe
	s_or_b32 exec_lo, exec_lo, s44
	s_delay_alu instid0(SALU_CYCLE_1)
	s_mov_b32 s44, exec_lo
	v_cmpx_lt_u32_e64 v72, v2
	s_cbranch_execz .LBB118_289
.LBB118_323:                            ;   in Loop: Header=BB118_236 Depth=2
	global_load_b64 v[14:15], v[20:21], off offset:512
	s_wait_alu 0xfffe
	s_or_b32 exec_lo, exec_lo, s44
	s_delay_alu instid0(SALU_CYCLE_1)
	s_mov_b32 s44, exec_lo
	v_cmpx_lt_u32_e64 v73, v2
	s_cbranch_execz .LBB118_290
.LBB118_324:                            ;   in Loop: Header=BB118_236 Depth=2
	global_load_b64 v[12:13], v[20:21], off offset:768
	s_wait_alu 0xfffe
	s_or_b32 exec_lo, exec_lo, s44
	s_delay_alu instid0(SALU_CYCLE_1)
	s_mov_b32 s44, exec_lo
	v_cmpx_lt_u32_e64 v74, v2
	s_cbranch_execz .LBB118_291
.LBB118_325:                            ;   in Loop: Header=BB118_236 Depth=2
	global_load_b64 v[10:11], v[20:21], off offset:1024
	s_wait_alu 0xfffe
	s_or_b32 exec_lo, exec_lo, s44
	s_delay_alu instid0(SALU_CYCLE_1)
	s_mov_b32 s44, exec_lo
	v_cmpx_lt_u32_e64 v75, v2
	s_cbranch_execz .LBB118_292
.LBB118_326:                            ;   in Loop: Header=BB118_236 Depth=2
	global_load_b64 v[8:9], v[20:21], off offset:1280
	s_wait_alu 0xfffe
	s_or_b32 exec_lo, exec_lo, s44
	s_delay_alu instid0(SALU_CYCLE_1)
	s_mov_b32 s44, exec_lo
	v_cmpx_lt_u32_e64 v76, v2
	s_cbranch_execz .LBB118_293
.LBB118_327:                            ;   in Loop: Header=BB118_236 Depth=2
	global_load_b64 v[6:7], v[20:21], off offset:1536
	s_wait_alu 0xfffe
	s_or_b32 exec_lo, exec_lo, s44
	s_delay_alu instid0(SALU_CYCLE_1)
	s_mov_b32 s44, exec_lo
	v_cmpx_lt_u32_e64 v77, v2
	s_cbranch_execz .LBB118_294
.LBB118_328:                            ;   in Loop: Header=BB118_236 Depth=2
	global_load_b64 v[4:5], v[20:21], off offset:1792
	s_wait_alu 0xfffe
	s_or_b32 exec_lo, exec_lo, s44
	s_and_saveexec_b32 s22, s20
	s_cbranch_execz .LBB118_295
.LBB118_329:                            ;   in Loop: Header=BB118_236 Depth=2
	ds_load_u8 v2, v1 offset:1024
	s_wait_dscnt 0x0
	v_lshrrev_b32_e32 v2, s30, v2
	s_delay_alu instid0(VALU_DEP_1)
	v_and_b32_e32 v93, s31, v2
	s_wait_alu 0xfffe
	s_or_b32 exec_lo, exec_lo, s22
	s_and_saveexec_b32 s22, s21
	s_cbranch_execz .LBB118_296
.LBB118_330:                            ;   in Loop: Header=BB118_236 Depth=2
	ds_load_u8 v2, v1 offset:1280
	s_wait_dscnt 0x0
	v_lshrrev_b32_e32 v2, s30, v2
	s_delay_alu instid0(VALU_DEP_1)
	v_and_b32_e32 v92, s31, v2
	s_wait_alu 0xfffe
	s_or_b32 exec_lo, exec_lo, s22
	s_and_saveexec_b32 s22, s19
	s_cbranch_execz .LBB118_297
.LBB118_331:                            ;   in Loop: Header=BB118_236 Depth=2
	ds_load_u8 v2, v1 offset:1536
	s_wait_dscnt 0x0
	v_lshrrev_b32_e32 v2, s30, v2
	s_delay_alu instid0(VALU_DEP_1)
	v_and_b32_e32 v91, s31, v2
	s_wait_alu 0xfffe
	s_or_b32 exec_lo, exec_lo, s22
	s_and_saveexec_b32 s22, s18
	s_cbranch_execz .LBB118_298
.LBB118_332:                            ;   in Loop: Header=BB118_236 Depth=2
	ds_load_u8 v2, v1 offset:1792
	s_wait_dscnt 0x0
	v_lshrrev_b32_e32 v2, s30, v2
	s_delay_alu instid0(VALU_DEP_1)
	v_and_b32_e32 v90, s31, v2
	s_wait_alu 0xfffe
	s_or_b32 exec_lo, exec_lo, s22
	s_and_saveexec_b32 s22, s17
	s_cbranch_execz .LBB118_299
.LBB118_333:                            ;   in Loop: Header=BB118_236 Depth=2
	ds_load_u8 v2, v1 offset:2048
	s_wait_dscnt 0x0
	v_lshrrev_b32_e32 v2, s30, v2
	s_delay_alu instid0(VALU_DEP_1)
	v_and_b32_e32 v89, s31, v2
	s_wait_alu 0xfffe
	s_or_b32 exec_lo, exec_lo, s22
	s_and_saveexec_b32 s22, s16
	s_cbranch_execz .LBB118_300
.LBB118_334:                            ;   in Loop: Header=BB118_236 Depth=2
	ds_load_u8 v2, v1 offset:2304
	s_wait_dscnt 0x0
	v_lshrrev_b32_e32 v2, s30, v2
	s_delay_alu instid0(VALU_DEP_1)
	v_and_b32_e32 v88, s31, v2
	s_wait_alu 0xfffe
	s_or_b32 exec_lo, exec_lo, s22
	s_and_saveexec_b32 s22, s15
	s_cbranch_execz .LBB118_301
.LBB118_335:                            ;   in Loop: Header=BB118_236 Depth=2
	ds_load_u8 v2, v1 offset:2560
	s_wait_dscnt 0x0
	v_lshrrev_b32_e32 v2, s30, v2
	s_delay_alu instid0(VALU_DEP_1)
	v_and_b32_e32 v87, s31, v2
	s_wait_alu 0xfffe
	s_or_b32 exec_lo, exec_lo, s22
	s_and_saveexec_b32 s22, vcc_lo
	s_cbranch_execnz .LBB118_302
	s_branch .LBB118_303
.LBB118_336:                            ;   in Loop: Header=BB118_236 Depth=2
	v_lshlrev_b32_e32 v2, 2, v93
	v_add_nc_u32_e32 v20, v1, v47
	ds_load_b32 v2, v2
	ds_load_b64 v[20:21], v20 offset:1024
	s_wait_dscnt 0x1
	v_add_nc_u32_e32 v2, v2, v1
	s_delay_alu instid0(VALU_DEP_1) | instskip(NEXT) | instid1(VALU_DEP_1)
	v_lshlrev_b64_e32 v[23:24], 3, v[2:3]
	v_add_co_u32 v23, s20, s26, v23
	s_wait_alu 0xf1ff
	s_delay_alu instid0(VALU_DEP_2)
	v_add_co_ci_u32_e64 v24, null, s27, v24, s20
	s_wait_dscnt 0x0
	global_store_b64 v[23:24], v[20:21], off
	s_wait_alu 0xfffe
	s_or_b32 exec_lo, exec_lo, s22
	s_and_saveexec_b32 s22, s21
	s_cbranch_execz .LBB118_305
.LBB118_337:                            ;   in Loop: Header=BB118_236 Depth=2
	v_lshlrev_b32_e32 v2, 2, v92
	v_add_nc_u32_e32 v20, v1, v47
	ds_load_b32 v2, v2
	ds_load_b64 v[20:21], v20 offset:3072
	s_wait_dscnt 0x1
	v_add_nc_u32_e32 v2, v2, v29
	s_delay_alu instid0(VALU_DEP_1) | instskip(NEXT) | instid1(VALU_DEP_1)
	v_lshlrev_b64_e32 v[23:24], 3, v[2:3]
	v_add_co_u32 v23, s20, s26, v23
	s_wait_alu 0xf1ff
	s_delay_alu instid0(VALU_DEP_2)
	v_add_co_ci_u32_e64 v24, null, s27, v24, s20
	s_wait_dscnt 0x0
	global_store_b64 v[23:24], v[20:21], off
	s_wait_alu 0xfffe
	s_or_b32 exec_lo, exec_lo, s22
	s_and_saveexec_b32 s20, s19
	s_cbranch_execz .LBB118_306
.LBB118_338:                            ;   in Loop: Header=BB118_236 Depth=2
	v_lshlrev_b32_e32 v2, 2, v91
	v_add_nc_u32_e32 v20, v1, v47
	ds_load_b32 v2, v2
	ds_load_b64 v[20:21], v20 offset:5120
	s_wait_dscnt 0x1
	v_add_nc_u32_e32 v2, v2, v30
	s_delay_alu instid0(VALU_DEP_1) | instskip(NEXT) | instid1(VALU_DEP_1)
	v_lshlrev_b64_e32 v[23:24], 3, v[2:3]
	v_add_co_u32 v23, s19, s26, v23
	s_wait_alu 0xf1ff
	s_delay_alu instid0(VALU_DEP_2)
	v_add_co_ci_u32_e64 v24, null, s27, v24, s19
	s_wait_dscnt 0x0
	global_store_b64 v[23:24], v[20:21], off
	s_wait_alu 0xfffe
	s_or_b32 exec_lo, exec_lo, s20
	s_and_saveexec_b32 s19, s18
	s_cbranch_execz .LBB118_307
.LBB118_339:                            ;   in Loop: Header=BB118_236 Depth=2
	v_lshlrev_b32_e32 v2, 2, v90
	v_add_nc_u32_e32 v20, v1, v47
	ds_load_b32 v2, v2
	ds_load_b64 v[20:21], v20 offset:7168
	s_wait_dscnt 0x1
	v_add_nc_u32_e32 v2, v2, v31
	s_delay_alu instid0(VALU_DEP_1) | instskip(NEXT) | instid1(VALU_DEP_1)
	v_lshlrev_b64_e32 v[23:24], 3, v[2:3]
	v_add_co_u32 v23, s18, s26, v23
	s_wait_alu 0xf1ff
	s_delay_alu instid0(VALU_DEP_2)
	v_add_co_ci_u32_e64 v24, null, s27, v24, s18
	s_wait_dscnt 0x0
	global_store_b64 v[23:24], v[20:21], off
	s_wait_alu 0xfffe
	s_or_b32 exec_lo, exec_lo, s19
	s_and_saveexec_b32 s18, s17
	s_cbranch_execz .LBB118_308
.LBB118_340:                            ;   in Loop: Header=BB118_236 Depth=2
	v_lshlrev_b32_e32 v2, 2, v89
	v_add_nc_u32_e32 v20, v1, v47
	ds_load_b32 v2, v2
	ds_load_b64 v[20:21], v20 offset:9216
	s_wait_dscnt 0x1
	v_add_nc_u32_e32 v2, v2, v34
	s_delay_alu instid0(VALU_DEP_1) | instskip(NEXT) | instid1(VALU_DEP_1)
	v_lshlrev_b64_e32 v[23:24], 3, v[2:3]
	v_add_co_u32 v23, s17, s26, v23
	s_wait_alu 0xf1ff
	s_delay_alu instid0(VALU_DEP_2)
	v_add_co_ci_u32_e64 v24, null, s27, v24, s17
	s_wait_dscnt 0x0
	global_store_b64 v[23:24], v[20:21], off
	s_wait_alu 0xfffe
	s_or_b32 exec_lo, exec_lo, s18
	s_and_saveexec_b32 s17, s16
	s_cbranch_execz .LBB118_309
.LBB118_341:                            ;   in Loop: Header=BB118_236 Depth=2
	v_lshlrev_b32_e32 v2, 2, v88
	v_add_nc_u32_e32 v20, v1, v47
	ds_load_b32 v2, v2
	ds_load_b64 v[20:21], v20 offset:11264
	s_wait_dscnt 0x1
	v_add_nc_u32_e32 v2, v2, v35
	s_delay_alu instid0(VALU_DEP_1) | instskip(NEXT) | instid1(VALU_DEP_1)
	v_lshlrev_b64_e32 v[23:24], 3, v[2:3]
	v_add_co_u32 v23, s16, s26, v23
	s_wait_alu 0xf1ff
	s_delay_alu instid0(VALU_DEP_2)
	v_add_co_ci_u32_e64 v24, null, s27, v24, s16
	s_wait_dscnt 0x0
	global_store_b64 v[23:24], v[20:21], off
	s_wait_alu 0xfffe
	s_or_b32 exec_lo, exec_lo, s17
	s_and_saveexec_b32 s16, s15
	s_cbranch_execz .LBB118_310
.LBB118_342:                            ;   in Loop: Header=BB118_236 Depth=2
	v_lshlrev_b32_e32 v2, 2, v87
	v_add_nc_u32_e32 v20, v1, v47
	ds_load_b32 v2, v2
	ds_load_b64 v[20:21], v20 offset:13312
	s_wait_dscnt 0x1
	v_add_nc_u32_e32 v2, v2, v36
	s_delay_alu instid0(VALU_DEP_1) | instskip(NEXT) | instid1(VALU_DEP_1)
	v_lshlrev_b64_e32 v[23:24], 3, v[2:3]
	v_add_co_u32 v23, s15, s26, v23
	s_wait_alu 0xf1ff
	s_delay_alu instid0(VALU_DEP_2)
	v_add_co_ci_u32_e64 v24, null, s27, v24, s15
	s_wait_dscnt 0x0
	global_store_b64 v[23:24], v[20:21], off
	s_wait_alu 0xfffe
	s_or_b32 exec_lo, exec_lo, s16
	s_and_saveexec_b32 s15, vcc_lo
	s_cbranch_execnz .LBB118_311
	s_branch .LBB118_312
.LBB118_343:                            ;   in Loop: Header=BB118_236 Depth=2
	global_load_u8 v96, v[20:21], off offset:32
	s_wait_alu 0xfffe
	s_or_b32 exec_lo, exec_lo, s15
	s_delay_alu instid0(SALU_CYCLE_1)
	s_mov_b32 s15, exec_lo
	v_cmpx_gt_u32_e64 s42, v72
	s_cbranch_execz .LBB118_243
.LBB118_344:                            ;   in Loop: Header=BB118_236 Depth=2
	global_load_u8 v27, v[20:21], off offset:64
	s_wait_alu 0xfffe
	s_or_b32 exec_lo, exec_lo, s15
	s_delay_alu instid0(SALU_CYCLE_1)
	s_mov_b32 s15, exec_lo
	v_cmpx_gt_u32_e64 s42, v73
	s_cbranch_execz .LBB118_244
.LBB118_345:                            ;   in Loop: Header=BB118_236 Depth=2
	global_load_u8 v26, v[20:21], off offset:96
	s_wait_alu 0xfffe
	s_or_b32 exec_lo, exec_lo, s15
	s_delay_alu instid0(SALU_CYCLE_1)
	s_mov_b32 s15, exec_lo
	v_cmpx_gt_u32_e64 s42, v74
	s_cbranch_execz .LBB118_245
.LBB118_346:                            ;   in Loop: Header=BB118_236 Depth=2
	global_load_u8 v25, v[20:21], off offset:128
	s_wait_alu 0xfffe
	s_or_b32 exec_lo, exec_lo, s15
	s_delay_alu instid0(SALU_CYCLE_1)
	s_mov_b32 s15, exec_lo
	v_cmpx_gt_u32_e64 s42, v75
	s_cbranch_execz .LBB118_246
.LBB118_347:                            ;   in Loop: Header=BB118_236 Depth=2
	global_load_u8 v24, v[20:21], off offset:160
	s_wait_alu 0xfffe
	s_or_b32 exec_lo, exec_lo, s15
	s_delay_alu instid0(SALU_CYCLE_1)
	s_mov_b32 s15, exec_lo
	v_cmpx_gt_u32_e64 s42, v76
	s_cbranch_execnz .LBB118_247
	s_branch .LBB118_248
.LBB118_348:                            ;   in Loop: Header=BB118_20 Depth=1
	s_wait_loadcnt_dscnt 0x0
	s_barrier_signal -1
	s_barrier_wait -1
.LBB118_349:                            ;   in Loop: Header=BB118_20 Depth=1
	s_mov_b32 s0, 0
.LBB118_350:                            ;   in Loop: Header=BB118_20 Depth=1
	s_wait_alu 0xfffe
	s_and_not1_b32 vcc_lo, exec_lo, s0
	s_wait_alu 0xfffe
	s_cbranch_vccnz .LBB118_19
; %bb.351:                              ;   in Loop: Header=BB118_20 Depth=1
	s_and_b32 vcc_lo, exec_lo, s35
	s_mov_b32 s0, -1
	s_wait_alu 0xfffe
	s_cbranch_vccz .LBB118_515
; %bb.352:                              ;   in Loop: Header=BB118_20 Depth=1
	v_dual_mov_b32 v7, 0 :: v_dual_mov_b32 v10, 0
	v_dual_mov_b32 v9, 0 :: v_dual_mov_b32 v8, 0
	;; [unrolled: 1-line block ×3, first 2 shown]
	v_mov_b32_e32 v4, 0
	v_mov_b32_e32 v2, 0
	s_mov_b32 s9, s47
	s_mov_b32 s22, s33
	s_barrier_signal -1
	s_barrier_wait -1
	global_inv scope:SCOPE_SE
	s_branch .LBB118_354
.LBB118_353:                            ;   in Loop: Header=BB118_354 Depth=2
	s_wait_alu 0xfffe
	s_or_b32 exec_lo, exec_lo, s0
	s_addk_co_i32 s9, 0xf800
	s_cmp_ge_u32 s10, s34
	s_mov_b32 s22, s10
	s_cbranch_scc1 .LBB118_390
.LBB118_354:                            ;   Parent Loop BB118_20 Depth=1
                                        ; =>  This Inner Loop Header: Depth=2
	s_wait_alu 0xfffe
	s_add_co_i32 s10, s22, 0x800
	s_mov_b32 s0, -1
	s_wait_alu 0xfffe
	s_cmp_gt_u32 s10, s34
                                        ; implicit-def: $vgpr11
                                        ; implicit-def: $vgpr12
                                        ; implicit-def: $vgpr13
                                        ; implicit-def: $vgpr14
                                        ; implicit-def: $vgpr15
                                        ; implicit-def: $vgpr16
                                        ; implicit-def: $vgpr17
                                        ; implicit-def: $vgpr18
	s_cbranch_scc1 .LBB118_356
; %bb.355:                              ;   in Loop: Header=BB118_354 Depth=2
	v_add_co_u32 v19, vcc_lo, v54, s22
	s_wait_alu 0xfffd
	v_add_co_ci_u32_e64 v20, null, 0, v55, vcc_lo
	s_mov_b32 s0, 0
	s_clause 0x7
	global_load_u8 v18, v[19:20], off offset:1792
	global_load_u8 v17, v[19:20], off offset:1536
	global_load_u8 v16, v[19:20], off offset:1280
	global_load_u8 v15, v[19:20], off offset:1024
	global_load_u8 v14, v[19:20], off offset:768
	global_load_u8 v13, v[19:20], off offset:512
	global_load_u8 v12, v[19:20], off offset:256
	global_load_u8 v11, v[19:20], off
.LBB118_356:                            ;   in Loop: Header=BB118_354 Depth=2
	s_wait_alu 0xfffe
	s_and_not1_b32 vcc_lo, exec_lo, s0
	s_movk_i32 s0, 0x800
	s_wait_alu 0xfffe
	s_cbranch_vccnz .LBB118_367
; %bb.357:                              ;   in Loop: Header=BB118_354 Depth=2
	s_add_nc_u64 s[0:1], s[36:37], s[22:23]
	s_mov_b32 s11, exec_lo
	v_cmpx_gt_u32_e64 s9, v1
	s_cbranch_execnz .LBB118_383
; %bb.358:                              ;   in Loop: Header=BB118_354 Depth=2
	s_wait_alu 0xfffe
	s_or_b32 exec_lo, exec_lo, s11
	s_delay_alu instid0(SALU_CYCLE_1)
	s_mov_b32 s11, exec_lo
	v_cmpx_gt_u32_e64 s9, v29
	s_cbranch_execnz .LBB118_384
.LBB118_359:                            ;   in Loop: Header=BB118_354 Depth=2
	s_wait_alu 0xfffe
	s_or_b32 exec_lo, exec_lo, s11
	s_delay_alu instid0(SALU_CYCLE_1)
	s_mov_b32 s11, exec_lo
	v_cmpx_gt_u32_e64 s9, v30
	s_cbranch_execnz .LBB118_385
.LBB118_360:                            ;   in Loop: Header=BB118_354 Depth=2
	s_wait_alu 0xfffe
	s_or_b32 exec_lo, exec_lo, s11
	s_delay_alu instid0(SALU_CYCLE_1)
	s_mov_b32 s11, exec_lo
	v_cmpx_gt_u32_e64 s9, v31
	s_cbranch_execnz .LBB118_386
.LBB118_361:                            ;   in Loop: Header=BB118_354 Depth=2
	s_wait_alu 0xfffe
	s_or_b32 exec_lo, exec_lo, s11
	s_delay_alu instid0(SALU_CYCLE_1)
	s_mov_b32 s11, exec_lo
	v_cmpx_gt_u32_e64 s9, v34
	s_cbranch_execnz .LBB118_387
.LBB118_362:                            ;   in Loop: Header=BB118_354 Depth=2
	s_wait_alu 0xfffe
	s_or_b32 exec_lo, exec_lo, s11
	s_delay_alu instid0(SALU_CYCLE_1)
	s_mov_b32 s11, exec_lo
	v_cmpx_gt_u32_e64 s9, v35
	s_cbranch_execnz .LBB118_388
.LBB118_363:                            ;   in Loop: Header=BB118_354 Depth=2
	s_wait_alu 0xfffe
	s_or_b32 exec_lo, exec_lo, s11
	s_delay_alu instid0(SALU_CYCLE_1)
	s_mov_b32 s11, exec_lo
	v_cmpx_gt_u32_e64 s9, v36
	s_cbranch_execnz .LBB118_389
.LBB118_364:                            ;   in Loop: Header=BB118_354 Depth=2
	s_wait_alu 0xfffe
	s_or_b32 exec_lo, exec_lo, s11
	s_delay_alu instid0(SALU_CYCLE_1)
	s_mov_b32 s11, exec_lo
	v_cmpx_gt_u32_e64 s9, v37
	s_cbranch_execz .LBB118_366
.LBB118_365:                            ;   in Loop: Header=BB118_354 Depth=2
	s_wait_loadcnt 0x0
	v_add_co_u32 v11, s0, s0, v1
	s_wait_alu 0xf1ff
	v_add_co_ci_u32_e64 v12, null, s1, 0, s0
	global_load_u8 v2, v[11:12], off offset:1792
.LBB118_366:                            ;   in Loop: Header=BB118_354 Depth=2
	s_wait_alu 0xfffe
	s_or_b32 exec_lo, exec_lo, s11
	s_wait_loadcnt 0x0
	v_dual_mov_b32 v11, v7 :: v_dual_mov_b32 v12, v10
	v_dual_mov_b32 v13, v9 :: v_dual_mov_b32 v14, v8
	v_dual_mov_b32 v15, v6 :: v_dual_mov_b32 v16, v5
	v_dual_mov_b32 v17, v4 :: v_dual_mov_b32 v18, v2
	s_mov_b32 s0, s9
.LBB118_367:                            ;   in Loop: Header=BB118_354 Depth=2
	s_wait_loadcnt 0x5
	s_delay_alu instid0(VALU_DEP_1)
	v_dual_mov_b32 v2, v18 :: v_dual_mov_b32 v5, v16
	s_wait_loadcnt 0x2
	v_dual_mov_b32 v4, v17 :: v_dual_mov_b32 v9, v13
	s_wait_loadcnt 0x0
	v_dual_mov_b32 v6, v15 :: v_dual_mov_b32 v7, v11
	v_mov_b32_e32 v8, v14
	v_mov_b32_e32 v10, v12
	s_mov_b32 s1, exec_lo
	s_wait_alu 0xfffe
	v_cmpx_gt_u32_e64 s0, v1
	s_cbranch_execnz .LBB118_375
; %bb.368:                              ;   in Loop: Header=BB118_354 Depth=2
	s_or_b32 exec_lo, exec_lo, s1
	s_delay_alu instid0(SALU_CYCLE_1)
	s_mov_b32 s1, exec_lo
	v_cmpx_gt_u32_e64 s0, v29
	s_cbranch_execnz .LBB118_376
.LBB118_369:                            ;   in Loop: Header=BB118_354 Depth=2
	s_wait_alu 0xfffe
	s_or_b32 exec_lo, exec_lo, s1
	s_delay_alu instid0(SALU_CYCLE_1)
	s_mov_b32 s1, exec_lo
	v_cmpx_gt_u32_e64 s0, v30
	s_cbranch_execnz .LBB118_377
.LBB118_370:                            ;   in Loop: Header=BB118_354 Depth=2
	s_wait_alu 0xfffe
	s_or_b32 exec_lo, exec_lo, s1
	s_delay_alu instid0(SALU_CYCLE_1)
	s_mov_b32 s1, exec_lo
	v_cmpx_gt_u32_e64 s0, v31
	s_cbranch_execnz .LBB118_378
.LBB118_371:                            ;   in Loop: Header=BB118_354 Depth=2
	s_wait_alu 0xfffe
	s_or_b32 exec_lo, exec_lo, s1
	s_delay_alu instid0(SALU_CYCLE_1)
	s_mov_b32 s1, exec_lo
	v_cmpx_gt_u32_e64 s0, v34
	s_cbranch_execnz .LBB118_379
.LBB118_372:                            ;   in Loop: Header=BB118_354 Depth=2
	s_wait_alu 0xfffe
	s_or_b32 exec_lo, exec_lo, s1
	s_delay_alu instid0(SALU_CYCLE_1)
	s_mov_b32 s1, exec_lo
	v_cmpx_gt_u32_e64 s0, v35
	s_cbranch_execnz .LBB118_380
.LBB118_373:                            ;   in Loop: Header=BB118_354 Depth=2
	s_wait_alu 0xfffe
	s_or_b32 exec_lo, exec_lo, s1
	s_delay_alu instid0(SALU_CYCLE_1)
	s_mov_b32 s1, exec_lo
	v_cmpx_gt_u32_e64 s0, v36
	s_cbranch_execnz .LBB118_381
.LBB118_374:                            ;   in Loop: Header=BB118_354 Depth=2
	s_wait_alu 0xfffe
	s_or_b32 exec_lo, exec_lo, s1
	v_cmp_gt_u32_e32 vcc_lo, s0, v37
	s_and_saveexec_b32 s0, vcc_lo
	s_cbranch_execz .LBB118_353
	s_branch .LBB118_382
.LBB118_375:                            ;   in Loop: Header=BB118_354 Depth=2
	v_xor_b32_e32 v11, -1, v7
	s_delay_alu instid0(VALU_DEP_1) | instskip(NEXT) | instid1(VALU_DEP_1)
	v_and_b32_e32 v11, 0xff, v11
	v_lshrrev_b32_e32 v11, s45, v11
	s_delay_alu instid0(VALU_DEP_1) | instskip(NEXT) | instid1(VALU_DEP_1)
	v_and_b32_e32 v11, s31, v11
	v_lshl_or_b32 v11, v11, 4, v39
	ds_add_u32 v11, v61
	s_or_b32 exec_lo, exec_lo, s1
	s_delay_alu instid0(SALU_CYCLE_1)
	s_mov_b32 s1, exec_lo
	v_cmpx_gt_u32_e64 s0, v29
	s_cbranch_execz .LBB118_369
.LBB118_376:                            ;   in Loop: Header=BB118_354 Depth=2
	v_xor_b32_e32 v11, -1, v10
	s_delay_alu instid0(VALU_DEP_1) | instskip(NEXT) | instid1(VALU_DEP_1)
	v_and_b32_e32 v11, 0xff, v11
	v_lshrrev_b32_e32 v11, s45, v11
	s_delay_alu instid0(VALU_DEP_1) | instskip(NEXT) | instid1(VALU_DEP_1)
	v_and_b32_e32 v11, s31, v11
	v_lshl_or_b32 v11, v11, 4, v39
	ds_add_u32 v11, v61
	s_wait_alu 0xfffe
	s_or_b32 exec_lo, exec_lo, s1
	s_delay_alu instid0(SALU_CYCLE_1)
	s_mov_b32 s1, exec_lo
	v_cmpx_gt_u32_e64 s0, v30
	s_cbranch_execz .LBB118_370
.LBB118_377:                            ;   in Loop: Header=BB118_354 Depth=2
	v_xor_b32_e32 v11, -1, v9
	s_delay_alu instid0(VALU_DEP_1) | instskip(NEXT) | instid1(VALU_DEP_1)
	v_and_b32_e32 v11, 0xff, v11
	v_lshrrev_b32_e32 v11, s45, v11
	s_delay_alu instid0(VALU_DEP_1) | instskip(NEXT) | instid1(VALU_DEP_1)
	v_and_b32_e32 v11, s31, v11
	v_lshl_or_b32 v11, v11, 4, v39
	ds_add_u32 v11, v61
	s_wait_alu 0xfffe
	s_or_b32 exec_lo, exec_lo, s1
	s_delay_alu instid0(SALU_CYCLE_1)
	s_mov_b32 s1, exec_lo
	v_cmpx_gt_u32_e64 s0, v31
	s_cbranch_execz .LBB118_371
.LBB118_378:                            ;   in Loop: Header=BB118_354 Depth=2
	v_xor_b32_e32 v11, -1, v8
	s_delay_alu instid0(VALU_DEP_1) | instskip(NEXT) | instid1(VALU_DEP_1)
	v_and_b32_e32 v11, 0xff, v11
	v_lshrrev_b32_e32 v11, s45, v11
	s_delay_alu instid0(VALU_DEP_1) | instskip(NEXT) | instid1(VALU_DEP_1)
	v_and_b32_e32 v11, s31, v11
	v_lshl_or_b32 v11, v11, 4, v39
	ds_add_u32 v11, v61
	s_wait_alu 0xfffe
	s_or_b32 exec_lo, exec_lo, s1
	s_delay_alu instid0(SALU_CYCLE_1)
	s_mov_b32 s1, exec_lo
	v_cmpx_gt_u32_e64 s0, v34
	s_cbranch_execz .LBB118_372
.LBB118_379:                            ;   in Loop: Header=BB118_354 Depth=2
	v_xor_b32_e32 v11, -1, v6
	s_delay_alu instid0(VALU_DEP_1) | instskip(NEXT) | instid1(VALU_DEP_1)
	v_and_b32_e32 v11, 0xff, v11
	v_lshrrev_b32_e32 v11, s45, v11
	s_delay_alu instid0(VALU_DEP_1) | instskip(NEXT) | instid1(VALU_DEP_1)
	v_and_b32_e32 v11, s31, v11
	v_lshl_or_b32 v11, v11, 4, v39
	ds_add_u32 v11, v61
	s_wait_alu 0xfffe
	s_or_b32 exec_lo, exec_lo, s1
	s_delay_alu instid0(SALU_CYCLE_1)
	s_mov_b32 s1, exec_lo
	v_cmpx_gt_u32_e64 s0, v35
	s_cbranch_execz .LBB118_373
.LBB118_380:                            ;   in Loop: Header=BB118_354 Depth=2
	v_xor_b32_e32 v11, -1, v5
	s_delay_alu instid0(VALU_DEP_1) | instskip(NEXT) | instid1(VALU_DEP_1)
	v_and_b32_e32 v11, 0xff, v11
	v_lshrrev_b32_e32 v11, s45, v11
	s_delay_alu instid0(VALU_DEP_1) | instskip(NEXT) | instid1(VALU_DEP_1)
	v_and_b32_e32 v11, s31, v11
	v_lshl_or_b32 v11, v11, 4, v39
	ds_add_u32 v11, v61
	s_wait_alu 0xfffe
	s_or_b32 exec_lo, exec_lo, s1
	s_delay_alu instid0(SALU_CYCLE_1)
	s_mov_b32 s1, exec_lo
	v_cmpx_gt_u32_e64 s0, v36
	s_cbranch_execz .LBB118_374
.LBB118_381:                            ;   in Loop: Header=BB118_354 Depth=2
	v_xor_b32_e32 v11, -1, v4
	s_delay_alu instid0(VALU_DEP_1) | instskip(NEXT) | instid1(VALU_DEP_1)
	v_and_b32_e32 v11, 0xff, v11
	v_lshrrev_b32_e32 v11, s45, v11
	s_delay_alu instid0(VALU_DEP_1) | instskip(NEXT) | instid1(VALU_DEP_1)
	v_and_b32_e32 v11, s31, v11
	v_lshl_or_b32 v11, v11, 4, v39
	ds_add_u32 v11, v61
	s_wait_alu 0xfffe
	s_or_b32 exec_lo, exec_lo, s1
	v_cmp_gt_u32_e32 vcc_lo, s0, v37
	s_and_saveexec_b32 s0, vcc_lo
	s_cbranch_execz .LBB118_353
.LBB118_382:                            ;   in Loop: Header=BB118_354 Depth=2
	v_xor_b32_e32 v11, -1, v2
	s_delay_alu instid0(VALU_DEP_1) | instskip(NEXT) | instid1(VALU_DEP_1)
	v_and_b32_e32 v11, 0xff, v11
	v_lshrrev_b32_e32 v11, s45, v11
	s_delay_alu instid0(VALU_DEP_1) | instskip(NEXT) | instid1(VALU_DEP_1)
	v_and_b32_e32 v11, s31, v11
	v_lshl_or_b32 v11, v11, 4, v39
	ds_add_u32 v11, v61
	s_branch .LBB118_353
.LBB118_383:                            ;   in Loop: Header=BB118_354 Depth=2
	s_wait_loadcnt 0x0
	s_wait_alu 0xfffe
	v_add_co_u32 v11, s12, s0, v1
	s_wait_alu 0xf1ff
	v_add_co_ci_u32_e64 v12, null, s1, 0, s12
	global_load_u8 v7, v[11:12], off
	s_or_b32 exec_lo, exec_lo, s11
	s_delay_alu instid0(SALU_CYCLE_1)
	s_mov_b32 s11, exec_lo
	v_cmpx_gt_u32_e64 s9, v29
	s_cbranch_execz .LBB118_359
.LBB118_384:                            ;   in Loop: Header=BB118_354 Depth=2
	v_add_co_u32 v10, s12, s0, v1
	s_wait_loadcnt 0x0
	s_wait_alu 0xf1ff
	v_add_co_ci_u32_e64 v11, null, s1, 0, s12
	global_load_u8 v10, v[10:11], off offset:256
	s_wait_alu 0xfffe
	s_or_b32 exec_lo, exec_lo, s11
	s_delay_alu instid0(SALU_CYCLE_1)
	s_mov_b32 s11, exec_lo
	v_cmpx_gt_u32_e64 s9, v30
	s_cbranch_execz .LBB118_360
.LBB118_385:                            ;   in Loop: Header=BB118_354 Depth=2
	s_wait_loadcnt 0x0
	v_add_co_u32 v11, s12, s0, v1
	s_wait_alu 0xf1ff
	v_add_co_ci_u32_e64 v12, null, s1, 0, s12
	global_load_u8 v9, v[11:12], off offset:512
	s_wait_alu 0xfffe
	s_or_b32 exec_lo, exec_lo, s11
	s_delay_alu instid0(SALU_CYCLE_1)
	s_mov_b32 s11, exec_lo
	v_cmpx_gt_u32_e64 s9, v31
	s_cbranch_execz .LBB118_361
.LBB118_386:                            ;   in Loop: Header=BB118_354 Depth=2
	s_wait_loadcnt 0x0
	v_add_co_u32 v11, s12, s0, v1
	s_wait_alu 0xf1ff
	v_add_co_ci_u32_e64 v12, null, s1, 0, s12
	global_load_u8 v8, v[11:12], off offset:768
	s_wait_alu 0xfffe
	s_or_b32 exec_lo, exec_lo, s11
	s_delay_alu instid0(SALU_CYCLE_1)
	s_mov_b32 s11, exec_lo
	v_cmpx_gt_u32_e64 s9, v34
	s_cbranch_execz .LBB118_362
.LBB118_387:                            ;   in Loop: Header=BB118_354 Depth=2
	s_wait_loadcnt 0x0
	v_add_co_u32 v11, s12, s0, v1
	s_wait_alu 0xf1ff
	v_add_co_ci_u32_e64 v12, null, s1, 0, s12
	global_load_u8 v6, v[11:12], off offset:1024
	s_wait_alu 0xfffe
	s_or_b32 exec_lo, exec_lo, s11
	s_delay_alu instid0(SALU_CYCLE_1)
	s_mov_b32 s11, exec_lo
	v_cmpx_gt_u32_e64 s9, v35
	s_cbranch_execz .LBB118_363
.LBB118_388:                            ;   in Loop: Header=BB118_354 Depth=2
	s_wait_loadcnt 0x0
	v_add_co_u32 v11, s12, s0, v1
	s_wait_alu 0xf1ff
	v_add_co_ci_u32_e64 v12, null, s1, 0, s12
	global_load_u8 v5, v[11:12], off offset:1280
	s_wait_alu 0xfffe
	s_or_b32 exec_lo, exec_lo, s11
	s_delay_alu instid0(SALU_CYCLE_1)
	s_mov_b32 s11, exec_lo
	v_cmpx_gt_u32_e64 s9, v36
	s_cbranch_execz .LBB118_364
.LBB118_389:                            ;   in Loop: Header=BB118_354 Depth=2
	s_wait_loadcnt 0x0
	v_add_co_u32 v11, s12, s0, v1
	s_wait_alu 0xf1ff
	v_add_co_ci_u32_e64 v12, null, s1, 0, s12
	global_load_u8 v4, v[11:12], off offset:1536
	s_wait_alu 0xfffe
	s_or_b32 exec_lo, exec_lo, s11
	s_delay_alu instid0(SALU_CYCLE_1)
	s_mov_b32 s11, exec_lo
	v_cmpx_gt_u32_e64 s9, v37
	s_cbranch_execnz .LBB118_365
	s_branch .LBB118_366
.LBB118_390:                            ;   in Loop: Header=BB118_20 Depth=1
	v_mov_b32_e32 v2, 0
	s_wait_dscnt 0x0
	s_barrier_signal -1
	s_barrier_wait -1
	global_inv scope:SCOPE_SE
	s_and_saveexec_b32 s0, s2
	s_cbranch_execz .LBB118_392
; %bb.391:                              ;   in Loop: Header=BB118_20 Depth=1
	ds_load_2addr_b64 v[4:7], v40 offset1:1
	s_wait_dscnt 0x0
	v_add_nc_u32_e32 v2, v5, v4
	s_delay_alu instid0(VALU_DEP_1)
	v_add3_u32 v2, v2, v6, v7
.LBB118_392:                            ;   in Loop: Header=BB118_20 Depth=1
	s_wait_alu 0xfffe
	s_or_b32 exec_lo, exec_lo, s0
	s_delay_alu instid0(VALU_DEP_1)
	v_mov_b32_dpp v4, v2 row_shr:1 row_mask:0xf bank_mask:0xf
	v_cmp_eq_u32_e64 s0, 0, v62
	v_cmp_lt_u32_e64 s1, 1, v62
	v_cmp_lt_u32_e64 s9, 3, v62
	;; [unrolled: 1-line block ×3, first 2 shown]
	v_cmp_eq_u32_e64 s11, 0, v64
	s_wait_alu 0xf1ff
	v_cndmask_b32_e64 v4, v4, 0, s0
	s_delay_alu instid0(VALU_DEP_1) | instskip(NEXT) | instid1(VALU_DEP_1)
	v_add_nc_u32_e32 v2, v4, v2
	v_mov_b32_dpp v4, v2 row_shr:2 row_mask:0xf bank_mask:0xf
	s_delay_alu instid0(VALU_DEP_1) | instskip(NEXT) | instid1(VALU_DEP_1)
	v_cndmask_b32_e64 v4, 0, v4, s1
	v_add_nc_u32_e32 v2, v2, v4
	s_delay_alu instid0(VALU_DEP_1) | instskip(NEXT) | instid1(VALU_DEP_1)
	v_mov_b32_dpp v4, v2 row_shr:4 row_mask:0xf bank_mask:0xf
	v_cndmask_b32_e64 v4, 0, v4, s9
	s_delay_alu instid0(VALU_DEP_1) | instskip(NEXT) | instid1(VALU_DEP_1)
	v_add_nc_u32_e32 v2, v2, v4
	v_mov_b32_dpp v4, v2 row_shr:8 row_mask:0xf bank_mask:0xf
	s_delay_alu instid0(VALU_DEP_1) | instskip(NEXT) | instid1(VALU_DEP_1)
	v_cndmask_b32_e64 v4, 0, v4, s10
	v_add_nc_u32_e32 v2, v2, v4
	ds_swizzle_b32 v4, v2 offset:swizzle(BROADCAST,32,15)
	s_wait_dscnt 0x0
	v_and_b32_e32 v4, v63, v4
	s_delay_alu instid0(VALU_DEP_1)
	v_add_nc_u32_e32 v2, v2, v4
	s_and_saveexec_b32 s12, s3
; %bb.393:                              ;   in Loop: Header=BB118_20 Depth=1
	ds_store_b32 v41, v2
; %bb.394:                              ;   in Loop: Header=BB118_20 Depth=1
	s_wait_alu 0xfffe
	s_or_b32 exec_lo, exec_lo, s12
	s_wait_loadcnt_dscnt 0x0
	s_barrier_signal -1
	s_barrier_wait -1
	global_inv scope:SCOPE_SE
	s_and_saveexec_b32 s12, s4
	s_cbranch_execz .LBB118_396
; %bb.395:                              ;   in Loop: Header=BB118_20 Depth=1
	ds_load_b32 v4, v42
	v_cmp_ne_u32_e32 vcc_lo, 0, v65
	s_wait_dscnt 0x0
	v_mov_b32_dpp v5, v4 row_shr:1 row_mask:0xf bank_mask:0xf
	s_wait_alu 0xfffd
	s_delay_alu instid0(VALU_DEP_1) | instskip(SKIP_1) | instid1(VALU_DEP_2)
	v_cndmask_b32_e32 v5, 0, v5, vcc_lo
	v_cmp_lt_u32_e32 vcc_lo, 1, v65
	v_add_nc_u32_e32 v4, v5, v4
	s_delay_alu instid0(VALU_DEP_1) | instskip(SKIP_1) | instid1(VALU_DEP_1)
	v_mov_b32_dpp v5, v4 row_shr:2 row_mask:0xf bank_mask:0xf
	s_wait_alu 0xfffd
	v_cndmask_b32_e32 v5, 0, v5, vcc_lo
	v_cmp_lt_u32_e32 vcc_lo, 3, v65
	s_delay_alu instid0(VALU_DEP_2) | instskip(NEXT) | instid1(VALU_DEP_1)
	v_add_nc_u32_e32 v4, v4, v5
	v_mov_b32_dpp v5, v4 row_shr:4 row_mask:0xf bank_mask:0xf
	s_wait_alu 0xfffd
	s_delay_alu instid0(VALU_DEP_1) | instskip(NEXT) | instid1(VALU_DEP_1)
	v_cndmask_b32_e32 v5, 0, v5, vcc_lo
	v_add_nc_u32_e32 v4, v4, v5
	ds_store_b32 v42, v4
.LBB118_396:                            ;   in Loop: Header=BB118_20 Depth=1
	s_wait_alu 0xfffe
	s_or_b32 exec_lo, exec_lo, s12
	v_mov_b32_e32 v4, 0
	s_wait_loadcnt_dscnt 0x0
	s_barrier_signal -1
	s_barrier_wait -1
	global_inv scope:SCOPE_SE
	s_and_saveexec_b32 s12, s5
; %bb.397:                              ;   in Loop: Header=BB118_20 Depth=1
	ds_load_b32 v4, v43
; %bb.398:                              ;   in Loop: Header=BB118_20 Depth=1
	s_wait_alu 0xfffe
	s_or_b32 exec_lo, exec_lo, s12
	v_cmp_gt_i32_e32 vcc_lo, 0, v67
	s_wait_dscnt 0x0
	v_add_nc_u32_e32 v2, v4, v2
	s_wait_loadcnt 0x0
	s_barrier_signal -1
	s_barrier_wait -1
	s_wait_alu 0xfffd
	v_cndmask_b32_e32 v5, v67, v58, vcc_lo
	global_inv scope:SCOPE_SE
	v_lshlrev_b32_e32 v80, 2, v5
	ds_bpermute_b32 v2, v80, v2
	s_and_saveexec_b32 s12, s2
	s_cbranch_execz .LBB118_400
; %bb.399:                              ;   in Loop: Header=BB118_20 Depth=1
	s_wait_dscnt 0x0
	v_cndmask_b32_e64 v2, v2, v4, s8
	s_delay_alu instid0(VALU_DEP_1)
	v_add_nc_u32_e32 v2, s33, v2
	ds_store_b32 v28, v2
.LBB118_400:                            ;   in Loop: Header=BB118_20 Depth=1
	s_wait_alu 0xfffe
	s_or_b32 exec_lo, exec_lo, s12
	s_load_b64 s[12:13], s[28:29], 0x0
	v_add_co_u32 v81, vcc_lo, v56, v66
	s_wait_alu 0xfffd
	v_add_co_ci_u32_e64 v82, null, 0, v57, vcc_lo
	v_add_co_u32 v83, vcc_lo, v59, v58
	s_wait_alu 0xfffd
	v_add_co_ci_u32_e64 v84, null, 0, v60, vcc_lo
	s_mov_b32 s42, s47
                                        ; implicit-def: $vgpr6_vgpr7
                                        ; implicit-def: $vgpr8_vgpr9
                                        ; implicit-def: $vgpr10_vgpr11
                                        ; implicit-def: $vgpr12_vgpr13
                                        ; implicit-def: $vgpr14_vgpr15
                                        ; implicit-def: $vgpr16_vgpr17
                                        ; implicit-def: $vgpr18_vgpr19
                                        ; implicit-def: $vgpr86
                                        ; implicit-def: $vgpr87
                                        ; implicit-def: $vgpr88
                                        ; implicit-def: $vgpr89
                                        ; implicit-def: $vgpr90
                                        ; implicit-def: $vgpr91
                                        ; implicit-def: $vgpr92
                                        ; implicit-def: $vgpr93
	s_wait_kmcnt 0x0
	s_cmp_lt_u32 ttmp7, s13
	s_cselect_b32 s22, 14, 20
	s_cmp_lt_u32 ttmp9, s12
	s_wait_alu 0xfffe
	s_add_nc_u64 s[14:15], s[28:29], s[22:23]
	s_cselect_b32 s22, 12, 18
	s_load_u16 s14, s[14:15], 0x0
	s_add_nc_u64 s[12:13], s[28:29], s[22:23]
	s_mov_b32 s22, s33
	s_load_u16 s12, s[12:13], 0x0
	v_cmp_lt_u32_e64 s13, 1, v65
	s_wait_dscnt 0x0
	s_wait_kmcnt 0x0
	v_mad_u32_u24 v2, v44, s14, v0
	v_cmp_lt_u32_e64 s14, 3, v65
	s_delay_alu instid0(VALU_DEP_2) | instskip(SKIP_1) | instid1(VALU_DEP_2)
	v_mad_co_u64_u32 v[4:5], null, v2, s12, v[1:2]
	v_cmp_eq_u32_e64 s12, 0, v65
	v_lshrrev_b32_e32 v2, 3, v4
                                        ; implicit-def: $vgpr4_vgpr5
	s_delay_alu instid0(VALU_DEP_1)
	v_and_b32_e32 v85, 0x1ffffffc, v2
	s_branch .LBB118_402
.LBB118_401:                            ;   in Loop: Header=BB118_402 Depth=2
	s_wait_alu 0xfffe
	s_or_b32 exec_lo, exec_lo, s15
	s_addk_co_i32 s42, 0xf800
	s_cmp_lt_u32 s43, s34
	s_mov_b32 s22, s43
	s_cbranch_scc0 .LBB118_514
.LBB118_402:                            ;   Parent Loop BB118_20 Depth=1
                                        ; =>  This Inner Loop Header: Depth=2
	s_wait_alu 0xfffe
	s_add_co_i32 s43, s22, 0x800
	s_wait_alu 0xfffe
	s_cmp_gt_u32 s43, s34
	s_cbranch_scc1 .LBB118_404
; %bb.403:                              ;   in Loop: Header=BB118_402 Depth=2
	v_add_co_u32 v20, vcc_lo, v83, s22
	s_wait_alu 0xfffd
	v_add_co_ci_u32_e64 v21, null, 0, v84, vcc_lo
	s_mov_b32 s15, -1
	s_clause 0x6
	global_load_u8 v23, v[20:21], off offset:192
	global_load_u8 v24, v[20:21], off offset:160
	;; [unrolled: 1-line block ×6, first 2 shown]
	global_load_u8 v94, v[20:21], off
	s_movk_i32 s16, 0x800
                                        ; implicit-def: $vgpr22
	s_cbranch_execz .LBB118_405
	s_branch .LBB118_415
.LBB118_404:                            ;   in Loop: Header=BB118_402 Depth=2
	s_mov_b32 s15, 0
                                        ; implicit-def: $vgpr94
                                        ; implicit-def: $vgpr96
                                        ; implicit-def: $vgpr27
                                        ; implicit-def: $vgpr26
                                        ; implicit-def: $vgpr25
                                        ; implicit-def: $vgpr24
                                        ; implicit-def: $vgpr23
	s_movk_i32 s16, 0x800
                                        ; implicit-def: $vgpr22
.LBB118_405:                            ;   in Loop: Header=BB118_402 Depth=2
	v_add_co_u32 v20, vcc_lo, v83, s22
	s_wait_alu 0xfffd
	v_add_co_ci_u32_e64 v21, null, 0, v84, vcc_lo
	s_wait_loadcnt 0x0
	v_dual_mov_b32 v27, 0 :: v_dual_mov_b32 v94, 0
	v_dual_mov_b32 v26, 0 :: v_dual_mov_b32 v25, 0
	;; [unrolled: 1-line block ×3, first 2 shown]
	v_mov_b32_e32 v22, 0
	s_mov_b32 s15, exec_lo
	v_cmpx_gt_u32_e64 s42, v68
	s_cbranch_execz .LBB118_407
; %bb.406:                              ;   in Loop: Header=BB118_402 Depth=2
	global_load_u8 v94, v[20:21], off
	v_dual_mov_b32 v26, 0 :: v_dual_mov_b32 v25, 0
	v_dual_mov_b32 v24, 0 :: v_dual_mov_b32 v23, 0
	v_mov_b32_e32 v22, 0
.LBB118_407:                            ;   in Loop: Header=BB118_402 Depth=2
	s_wait_alu 0xfffe
	s_or_b32 exec_lo, exec_lo, s15
	v_mov_b32_e32 v96, v27
	s_mov_b32 s15, exec_lo
	v_cmpx_gt_u32_e64 s42, v71
	s_cbranch_execnz .LBB118_509
; %bb.408:                              ;   in Loop: Header=BB118_402 Depth=2
	s_wait_alu 0xfffe
	s_or_b32 exec_lo, exec_lo, s15
	s_delay_alu instid0(SALU_CYCLE_1)
	s_mov_b32 s15, exec_lo
	v_cmpx_gt_u32_e64 s42, v72
	s_cbranch_execnz .LBB118_510
.LBB118_409:                            ;   in Loop: Header=BB118_402 Depth=2
	s_wait_alu 0xfffe
	s_or_b32 exec_lo, exec_lo, s15
	s_delay_alu instid0(SALU_CYCLE_1)
	s_mov_b32 s15, exec_lo
	v_cmpx_gt_u32_e64 s42, v73
	s_cbranch_execnz .LBB118_511
.LBB118_410:                            ;   in Loop: Header=BB118_402 Depth=2
	s_wait_alu 0xfffe
	s_or_b32 exec_lo, exec_lo, s15
	s_delay_alu instid0(SALU_CYCLE_1)
	s_mov_b32 s15, exec_lo
	v_cmpx_gt_u32_e64 s42, v74
	s_cbranch_execnz .LBB118_512
.LBB118_411:                            ;   in Loop: Header=BB118_402 Depth=2
	s_wait_alu 0xfffe
	s_or_b32 exec_lo, exec_lo, s15
	s_delay_alu instid0(SALU_CYCLE_1)
	s_mov_b32 s15, exec_lo
	v_cmpx_gt_u32_e64 s42, v75
	s_cbranch_execnz .LBB118_513
.LBB118_412:                            ;   in Loop: Header=BB118_402 Depth=2
	s_wait_alu 0xfffe
	s_or_b32 exec_lo, exec_lo, s15
	s_delay_alu instid0(SALU_CYCLE_1)
	s_mov_b32 s15, exec_lo
	v_cmpx_gt_u32_e64 s42, v76
	s_cbranch_execz .LBB118_414
.LBB118_413:                            ;   in Loop: Header=BB118_402 Depth=2
	global_load_u8 v23, v[20:21], off offset:192
.LBB118_414:                            ;   in Loop: Header=BB118_402 Depth=2
	s_wait_alu 0xfffe
	s_or_b32 exec_lo, exec_lo, s15
	v_cmp_gt_u32_e64 s15, s42, v77
	s_sub_co_i32 s16, s34, s22
.LBB118_415:                            ;   in Loop: Header=BB118_402 Depth=2
	v_mov_b32_e32 v2, s42
	s_wait_alu 0xfffe
	s_and_saveexec_b32 s17, s15
	s_cbranch_execz .LBB118_417
; %bb.416:                              ;   in Loop: Header=BB118_402 Depth=2
	v_add_co_u32 v20, vcc_lo, v83, s22
	s_wait_alu 0xfffd
	v_add_co_ci_u32_e64 v21, null, s23, v84, vcc_lo
	v_mov_b32_e32 v2, s16
	global_load_u8 v22, v[20:21], off offset:224
.LBB118_417:                            ;   in Loop: Header=BB118_402 Depth=2
	s_wait_alu 0xfffe
	s_or_b32 exec_lo, exec_lo, s17
	s_wait_loadcnt 0x0
	v_xor_b32_e32 v94, -1, v94
	s_delay_alu instid0(VALU_DEP_1) | instskip(NEXT) | instid1(VALU_DEP_1)
	v_and_b32_e32 v20, 0xff, v94
	v_lshrrev_b32_e32 v20, s45, v20
	s_delay_alu instid0(VALU_DEP_1) | instskip(NEXT) | instid1(VALU_DEP_1)
	v_and_b32_e32 v21, s31, v20
	v_and_b32_e32 v20, 1, v21
	v_lshlrev_b32_e32 v95, 30, v21
	v_lshlrev_b32_e32 v97, 29, v21
	;; [unrolled: 1-line block ×4, first 2 shown]
	v_add_co_u32 v20, s15, v20, -1
	s_wait_alu 0xf1ff
	v_cndmask_b32_e64 v99, 0, 1, s15
	v_not_b32_e32 v103, v95
	v_cmp_gt_i32_e64 s15, 0, v95
	v_not_b32_e32 v95, v97
	v_lshlrev_b32_e32 v101, 26, v21
	v_cmp_ne_u32_e32 vcc_lo, 0, v99
	v_ashrrev_i32_e32 v103, 31, v103
	v_lshlrev_b32_e32 v102, 25, v21
	v_ashrrev_i32_e32 v95, 31, v95
	v_lshlrev_b32_e32 v99, 24, v21
	s_wait_alu 0xfffd
	v_xor_b32_e32 v20, vcc_lo, v20
	v_cmp_gt_i32_e32 vcc_lo, 0, v97
	v_not_b32_e32 v97, v98
	s_wait_alu 0xf1ff
	v_xor_b32_e32 v103, s15, v103
	v_cmp_gt_i32_e64 s15, 0, v98
	v_and_b32_e32 v20, exec_lo, v20
	v_not_b32_e32 v98, v100
	v_ashrrev_i32_e32 v97, 31, v97
	s_wait_alu 0xfffd
	v_xor_b32_e32 v95, vcc_lo, v95
	v_cmp_gt_i32_e32 vcc_lo, 0, v100
	v_and_b32_e32 v20, v20, v103
	v_not_b32_e32 v100, v101
	v_ashrrev_i32_e32 v98, 31, v98
	s_wait_alu 0xf1ff
	v_xor_b32_e32 v97, s15, v97
	v_cmp_gt_i32_e64 s15, 0, v101
	v_and_b32_e32 v20, v20, v95
	v_not_b32_e32 v95, v102
	v_ashrrev_i32_e32 v100, 31, v100
	s_wait_alu 0xfffd
	v_xor_b32_e32 v98, vcc_lo, v98
	v_cmp_gt_i32_e32 vcc_lo, 0, v102
	v_and_b32_e32 v20, v20, v97
	v_not_b32_e32 v97, v99
	v_ashrrev_i32_e32 v95, 31, v95
	s_wait_alu 0xf1ff
	v_xor_b32_e32 v100, s15, v100
	v_cmp_gt_i32_e64 s15, 0, v99
	v_and_b32_e32 v20, v20, v98
	v_ashrrev_i32_e32 v97, 31, v97
	s_wait_alu 0xfffd
	v_xor_b32_e32 v95, vcc_lo, v95
	v_mul_u32_u24_e32 v21, 36, v21
	v_add_nc_u32_e32 v99, 0x428, v45
	v_and_b32_e32 v20, v20, v100
	s_wait_alu 0xf1ff
	v_xor_b32_e32 v98, s15, v97
	v_add_nc_u32_e32 v97, 0x438, v45
	v_add_nc_u32_e32 v100, 0x430, v45
	;; [unrolled: 1-line block ×3, first 2 shown]
	v_and_b32_e32 v20, v20, v95
	ds_store_2addr_b32 v97, v3, v3 offset1:1
	v_and_b32_e32 v20, v20, v98
	v_add_nc_u32_e32 v98, 0x420, v45
	ds_store_2addr_b32 v98, v3, v3 offset1:1
	ds_store_2addr_b32 v99, v3, v3 offset1:1
	;; [unrolled: 1-line block ×3, first 2 shown]
	ds_store_b32 v45, v3 offset:1088
	v_mbcnt_lo_u32_b32 v95, v20, 0
	v_cmp_ne_u32_e64 s15, 0, v20
	s_wait_dscnt 0x0
	s_barrier_signal -1
	s_barrier_wait -1
	v_cmp_eq_u32_e32 vcc_lo, 0, v95
	global_inv scope:SCOPE_SE
	; wave barrier
	s_and_b32 s16, s15, vcc_lo
	s_wait_alu 0xfffe
	s_and_saveexec_b32 s15, s16
; %bb.418:                              ;   in Loop: Header=BB118_402 Depth=2
	v_bcnt_u32_b32 v20, v20, 0
	ds_store_b32 v101, v20 offset:1056
; %bb.419:                              ;   in Loop: Header=BB118_402 Depth=2
	s_wait_alu 0xfffe
	s_or_b32 exec_lo, exec_lo, s15
	v_xor_b32_e32 v96, -1, v96
	; wave barrier
	s_delay_alu instid0(VALU_DEP_1) | instskip(NEXT) | instid1(VALU_DEP_1)
	v_and_b32_e32 v20, 0xff, v96
	v_lshrrev_b32_e32 v20, s45, v20
	s_delay_alu instid0(VALU_DEP_1) | instskip(NEXT) | instid1(VALU_DEP_1)
	v_and_b32_e32 v21, s31, v20
	v_and_b32_e32 v20, 1, v21
	v_lshlrev_b32_e32 v102, 30, v21
	v_lshlrev_b32_e32 v103, 29, v21
	;; [unrolled: 1-line block ×4, first 2 shown]
	v_add_co_u32 v20, s15, v20, -1
	s_wait_alu 0xf1ff
	v_cndmask_b32_e64 v105, 0, 1, s15
	v_not_b32_e32 v109, v102
	v_cmp_gt_i32_e64 s15, 0, v102
	v_not_b32_e32 v102, v103
	v_lshlrev_b32_e32 v107, 26, v21
	v_cmp_ne_u32_e32 vcc_lo, 0, v105
	v_ashrrev_i32_e32 v109, 31, v109
	v_lshlrev_b32_e32 v108, 25, v21
	v_ashrrev_i32_e32 v102, 31, v102
	v_lshlrev_b32_e32 v105, 24, v21
	s_wait_alu 0xfffd
	v_xor_b32_e32 v20, vcc_lo, v20
	v_cmp_gt_i32_e32 vcc_lo, 0, v103
	v_not_b32_e32 v103, v104
	s_wait_alu 0xf1ff
	v_xor_b32_e32 v109, s15, v109
	v_cmp_gt_i32_e64 s15, 0, v104
	v_and_b32_e32 v20, exec_lo, v20
	v_not_b32_e32 v104, v106
	v_ashrrev_i32_e32 v103, 31, v103
	s_wait_alu 0xfffd
	v_xor_b32_e32 v102, vcc_lo, v102
	v_cmp_gt_i32_e32 vcc_lo, 0, v106
	v_and_b32_e32 v20, v20, v109
	v_not_b32_e32 v106, v107
	v_ashrrev_i32_e32 v104, 31, v104
	s_wait_alu 0xf1ff
	v_xor_b32_e32 v103, s15, v103
	v_cmp_gt_i32_e64 s15, 0, v107
	v_and_b32_e32 v20, v20, v102
	v_not_b32_e32 v102, v108
	v_ashrrev_i32_e32 v106, 31, v106
	s_wait_alu 0xfffd
	v_xor_b32_e32 v104, vcc_lo, v104
	v_cmp_gt_i32_e32 vcc_lo, 0, v108
	v_and_b32_e32 v20, v20, v103
	v_not_b32_e32 v103, v105
	v_ashrrev_i32_e32 v102, 31, v102
	s_wait_alu 0xf1ff
	v_xor_b32_e32 v106, s15, v106
	v_cmp_gt_i32_e64 s15, 0, v105
	v_and_b32_e32 v20, v20, v104
	v_ashrrev_i32_e32 v103, 31, v103
	s_wait_alu 0xfffd
	v_xor_b32_e32 v102, vcc_lo, v102
	v_mad_u32_u24 v104, v21, 36, v85
	v_mul_u32_u24_e32 v21, 36, v21
	v_and_b32_e32 v20, v20, v106
	s_wait_alu 0xf1ff
	v_xor_b32_e32 v103, s15, v103
	s_delay_alu instid0(VALU_DEP_3) | instskip(NEXT) | instid1(VALU_DEP_3)
	v_add_nc_u32_e32 v105, v85, v21
	v_and_b32_e32 v20, v20, v102
	ds_load_b32 v102, v104 offset:1056
	; wave barrier
	v_and_b32_e32 v20, v20, v103
	s_delay_alu instid0(VALU_DEP_1) | instskip(SKIP_1) | instid1(VALU_DEP_2)
	v_mbcnt_lo_u32_b32 v103, v20, 0
	v_cmp_ne_u32_e64 s15, 0, v20
	v_cmp_eq_u32_e32 vcc_lo, 0, v103
	s_and_b32 s16, s15, vcc_lo
	s_wait_alu 0xfffe
	s_and_saveexec_b32 s15, s16
	s_cbranch_execz .LBB118_421
; %bb.420:                              ;   in Loop: Header=BB118_402 Depth=2
	s_wait_dscnt 0x0
	v_bcnt_u32_b32 v20, v20, v102
	ds_store_b32 v105, v20 offset:1056
.LBB118_421:                            ;   in Loop: Header=BB118_402 Depth=2
	s_wait_alu 0xfffe
	s_or_b32 exec_lo, exec_lo, s15
	v_xor_b32_e32 v104, -1, v27
	; wave barrier
	s_delay_alu instid0(VALU_DEP_1) | instskip(NEXT) | instid1(VALU_DEP_1)
	v_and_b32_e32 v20, 0xff, v104
	v_lshrrev_b32_e32 v20, s45, v20
	s_delay_alu instid0(VALU_DEP_1) | instskip(NEXT) | instid1(VALU_DEP_1)
	v_and_b32_e32 v21, s31, v20
	v_and_b32_e32 v20, 1, v21
	v_lshlrev_b32_e32 v27, 30, v21
	v_lshlrev_b32_e32 v106, 29, v21
	;; [unrolled: 1-line block ×4, first 2 shown]
	v_add_co_u32 v20, s15, v20, -1
	s_wait_alu 0xf1ff
	v_cndmask_b32_e64 v108, 0, 1, s15
	v_not_b32_e32 v112, v27
	v_cmp_gt_i32_e64 s15, 0, v27
	v_not_b32_e32 v27, v106
	v_lshlrev_b32_e32 v110, 26, v21
	v_cmp_ne_u32_e32 vcc_lo, 0, v108
	v_ashrrev_i32_e32 v112, 31, v112
	v_lshlrev_b32_e32 v111, 25, v21
	v_ashrrev_i32_e32 v27, 31, v27
	v_lshlrev_b32_e32 v108, 24, v21
	s_wait_alu 0xfffd
	v_xor_b32_e32 v20, vcc_lo, v20
	v_cmp_gt_i32_e32 vcc_lo, 0, v106
	v_not_b32_e32 v106, v107
	s_wait_alu 0xf1ff
	v_xor_b32_e32 v112, s15, v112
	v_cmp_gt_i32_e64 s15, 0, v107
	v_and_b32_e32 v20, exec_lo, v20
	v_not_b32_e32 v107, v109
	v_ashrrev_i32_e32 v106, 31, v106
	s_wait_alu 0xfffd
	v_xor_b32_e32 v27, vcc_lo, v27
	v_cmp_gt_i32_e32 vcc_lo, 0, v109
	v_and_b32_e32 v20, v20, v112
	v_not_b32_e32 v109, v110
	v_ashrrev_i32_e32 v107, 31, v107
	s_wait_alu 0xf1ff
	v_xor_b32_e32 v106, s15, v106
	v_cmp_gt_i32_e64 s15, 0, v110
	v_and_b32_e32 v20, v20, v27
	v_not_b32_e32 v27, v111
	v_ashrrev_i32_e32 v109, 31, v109
	s_wait_alu 0xfffd
	v_xor_b32_e32 v107, vcc_lo, v107
	v_cmp_gt_i32_e32 vcc_lo, 0, v111
	v_and_b32_e32 v20, v20, v106
	v_not_b32_e32 v106, v108
	v_ashrrev_i32_e32 v27, 31, v27
	s_wait_alu 0xf1ff
	v_xor_b32_e32 v109, s15, v109
	v_cmp_gt_i32_e64 s15, 0, v108
	v_and_b32_e32 v20, v20, v107
	v_ashrrev_i32_e32 v106, 31, v106
	s_wait_alu 0xfffd
	v_xor_b32_e32 v27, vcc_lo, v27
	v_mad_u32_u24 v107, v21, 36, v85
	v_mul_u32_u24_e32 v21, 36, v21
	v_and_b32_e32 v20, v20, v109
	s_wait_alu 0xf1ff
	v_xor_b32_e32 v108, s15, v106
	ds_load_b32 v106, v107 offset:1056
	v_add_nc_u32_e32 v109, v85, v21
	v_and_b32_e32 v20, v20, v27
	; wave barrier
	s_delay_alu instid0(VALU_DEP_1) | instskip(NEXT) | instid1(VALU_DEP_1)
	v_and_b32_e32 v20, v20, v108
	v_mbcnt_lo_u32_b32 v107, v20, 0
	v_cmp_ne_u32_e64 s15, 0, v20
	s_delay_alu instid0(VALU_DEP_2)
	v_cmp_eq_u32_e32 vcc_lo, 0, v107
	s_and_b32 s16, s15, vcc_lo
	s_wait_alu 0xfffe
	s_and_saveexec_b32 s15, s16
	s_cbranch_execz .LBB118_423
; %bb.422:                              ;   in Loop: Header=BB118_402 Depth=2
	s_wait_dscnt 0x0
	v_bcnt_u32_b32 v20, v20, v106
	ds_store_b32 v109, v20 offset:1056
.LBB118_423:                            ;   in Loop: Header=BB118_402 Depth=2
	s_wait_alu 0xfffe
	s_or_b32 exec_lo, exec_lo, s15
	v_xor_b32_e32 v108, -1, v26
	; wave barrier
	s_delay_alu instid0(VALU_DEP_1) | instskip(NEXT) | instid1(VALU_DEP_1)
	v_and_b32_e32 v20, 0xff, v108
	v_lshrrev_b32_e32 v20, s45, v20
	s_delay_alu instid0(VALU_DEP_1) | instskip(NEXT) | instid1(VALU_DEP_1)
	v_and_b32_e32 v21, s31, v20
	v_and_b32_e32 v20, 1, v21
	v_lshlrev_b32_e32 v26, 30, v21
	v_lshlrev_b32_e32 v27, 29, v21
	;; [unrolled: 1-line block ×4, first 2 shown]
	v_add_co_u32 v20, s15, v20, -1
	s_wait_alu 0xf1ff
	v_cndmask_b32_e64 v111, 0, 1, s15
	v_not_b32_e32 v115, v26
	v_cmp_gt_i32_e64 s15, 0, v26
	v_not_b32_e32 v26, v27
	v_lshlrev_b32_e32 v113, 26, v21
	v_cmp_ne_u32_e32 vcc_lo, 0, v111
	v_ashrrev_i32_e32 v115, 31, v115
	v_lshlrev_b32_e32 v114, 25, v21
	v_ashrrev_i32_e32 v26, 31, v26
	v_lshlrev_b32_e32 v111, 24, v21
	s_wait_alu 0xfffd
	v_xor_b32_e32 v20, vcc_lo, v20
	v_cmp_gt_i32_e32 vcc_lo, 0, v27
	v_not_b32_e32 v27, v110
	s_wait_alu 0xf1ff
	v_xor_b32_e32 v115, s15, v115
	v_cmp_gt_i32_e64 s15, 0, v110
	v_and_b32_e32 v20, exec_lo, v20
	v_not_b32_e32 v110, v112
	v_ashrrev_i32_e32 v27, 31, v27
	s_wait_alu 0xfffd
	v_xor_b32_e32 v26, vcc_lo, v26
	v_cmp_gt_i32_e32 vcc_lo, 0, v112
	v_and_b32_e32 v20, v20, v115
	v_not_b32_e32 v112, v113
	v_ashrrev_i32_e32 v110, 31, v110
	s_wait_alu 0xf1ff
	v_xor_b32_e32 v27, s15, v27
	v_cmp_gt_i32_e64 s15, 0, v113
	v_and_b32_e32 v20, v20, v26
	v_not_b32_e32 v26, v114
	v_ashrrev_i32_e32 v112, 31, v112
	s_wait_alu 0xfffd
	v_xor_b32_e32 v110, vcc_lo, v110
	v_cmp_gt_i32_e32 vcc_lo, 0, v114
	v_and_b32_e32 v20, v20, v27
	v_not_b32_e32 v27, v111
	v_ashrrev_i32_e32 v26, 31, v26
	s_wait_alu 0xf1ff
	v_xor_b32_e32 v112, s15, v112
	v_cmp_gt_i32_e64 s15, 0, v111
	v_and_b32_e32 v20, v20, v110
	v_ashrrev_i32_e32 v27, 31, v27
	s_wait_alu 0xfffd
	v_xor_b32_e32 v26, vcc_lo, v26
	v_mad_u32_u24 v110, v21, 36, v85
	v_mul_u32_u24_e32 v21, 36, v21
	v_and_b32_e32 v20, v20, v112
	s_wait_alu 0xf1ff
	v_xor_b32_e32 v27, s15, v27
	ds_load_b32 v110, v110 offset:1056
	v_add_nc_u32_e32 v113, v85, v21
	v_and_b32_e32 v20, v20, v26
	; wave barrier
	s_delay_alu instid0(VALU_DEP_1) | instskip(NEXT) | instid1(VALU_DEP_1)
	v_and_b32_e32 v20, v20, v27
	v_mbcnt_lo_u32_b32 v111, v20, 0
	v_cmp_ne_u32_e64 s15, 0, v20
	s_delay_alu instid0(VALU_DEP_2)
	v_cmp_eq_u32_e32 vcc_lo, 0, v111
	s_and_b32 s16, s15, vcc_lo
	s_wait_alu 0xfffe
	s_and_saveexec_b32 s15, s16
	s_cbranch_execz .LBB118_425
; %bb.424:                              ;   in Loop: Header=BB118_402 Depth=2
	s_wait_dscnt 0x0
	v_bcnt_u32_b32 v20, v20, v110
	ds_store_b32 v113, v20 offset:1056
.LBB118_425:                            ;   in Loop: Header=BB118_402 Depth=2
	s_wait_alu 0xfffe
	s_or_b32 exec_lo, exec_lo, s15
	v_xor_b32_e32 v112, -1, v25
	; wave barrier
	s_delay_alu instid0(VALU_DEP_1) | instskip(NEXT) | instid1(VALU_DEP_1)
	v_and_b32_e32 v20, 0xff, v112
	v_lshrrev_b32_e32 v20, s45, v20
	s_delay_alu instid0(VALU_DEP_1) | instskip(NEXT) | instid1(VALU_DEP_1)
	v_and_b32_e32 v21, s31, v20
	v_and_b32_e32 v20, 1, v21
	v_lshlrev_b32_e32 v25, 30, v21
	v_lshlrev_b32_e32 v26, 29, v21
	;; [unrolled: 1-line block ×4, first 2 shown]
	v_add_co_u32 v20, s15, v20, -1
	s_wait_alu 0xf1ff
	v_cndmask_b32_e64 v114, 0, 1, s15
	v_not_b32_e32 v118, v25
	v_cmp_gt_i32_e64 s15, 0, v25
	v_not_b32_e32 v25, v26
	v_lshlrev_b32_e32 v116, 26, v21
	v_cmp_ne_u32_e32 vcc_lo, 0, v114
	v_ashrrev_i32_e32 v118, 31, v118
	v_lshlrev_b32_e32 v117, 25, v21
	v_ashrrev_i32_e32 v25, 31, v25
	v_lshlrev_b32_e32 v114, 24, v21
	s_wait_alu 0xfffd
	v_xor_b32_e32 v20, vcc_lo, v20
	v_cmp_gt_i32_e32 vcc_lo, 0, v26
	v_not_b32_e32 v26, v27
	s_wait_alu 0xf1ff
	v_xor_b32_e32 v118, s15, v118
	v_cmp_gt_i32_e64 s15, 0, v27
	v_and_b32_e32 v20, exec_lo, v20
	v_not_b32_e32 v27, v115
	v_ashrrev_i32_e32 v26, 31, v26
	s_wait_alu 0xfffd
	v_xor_b32_e32 v25, vcc_lo, v25
	v_cmp_gt_i32_e32 vcc_lo, 0, v115
	v_and_b32_e32 v20, v20, v118
	v_not_b32_e32 v115, v116
	v_ashrrev_i32_e32 v27, 31, v27
	s_wait_alu 0xf1ff
	v_xor_b32_e32 v26, s15, v26
	v_cmp_gt_i32_e64 s15, 0, v116
	v_and_b32_e32 v20, v20, v25
	v_not_b32_e32 v25, v117
	v_ashrrev_i32_e32 v115, 31, v115
	s_wait_alu 0xfffd
	v_xor_b32_e32 v27, vcc_lo, v27
	v_cmp_gt_i32_e32 vcc_lo, 0, v117
	v_and_b32_e32 v20, v20, v26
	v_not_b32_e32 v26, v114
	v_ashrrev_i32_e32 v25, 31, v25
	s_wait_alu 0xf1ff
	v_xor_b32_e32 v115, s15, v115
	v_cmp_gt_i32_e64 s15, 0, v114
	v_and_b32_e32 v20, v20, v27
	v_ashrrev_i32_e32 v26, 31, v26
	s_wait_alu 0xfffd
	v_xor_b32_e32 v25, vcc_lo, v25
	v_mad_u32_u24 v27, v21, 36, v85
	v_mul_u32_u24_e32 v21, 36, v21
	v_and_b32_e32 v20, v20, v115
	s_wait_alu 0xf1ff
	v_xor_b32_e32 v26, s15, v26
	ds_load_b32 v114, v27 offset:1056
	v_add_nc_u32_e32 v117, v85, v21
	v_and_b32_e32 v20, v20, v25
	; wave barrier
	s_delay_alu instid0(VALU_DEP_1) | instskip(NEXT) | instid1(VALU_DEP_1)
	v_and_b32_e32 v20, v20, v26
	v_mbcnt_lo_u32_b32 v115, v20, 0
	v_cmp_ne_u32_e64 s15, 0, v20
	s_delay_alu instid0(VALU_DEP_2)
	v_cmp_eq_u32_e32 vcc_lo, 0, v115
	s_and_b32 s16, s15, vcc_lo
	s_wait_alu 0xfffe
	s_and_saveexec_b32 s15, s16
	s_cbranch_execz .LBB118_427
; %bb.426:                              ;   in Loop: Header=BB118_402 Depth=2
	s_wait_dscnt 0x0
	v_bcnt_u32_b32 v20, v20, v114
	ds_store_b32 v117, v20 offset:1056
.LBB118_427:                            ;   in Loop: Header=BB118_402 Depth=2
	s_wait_alu 0xfffe
	s_or_b32 exec_lo, exec_lo, s15
	v_xor_b32_e32 v116, -1, v24
	; wave barrier
	s_delay_alu instid0(VALU_DEP_1) | instskip(NEXT) | instid1(VALU_DEP_1)
	v_and_b32_e32 v20, 0xff, v116
	v_lshrrev_b32_e32 v20, s45, v20
	s_delay_alu instid0(VALU_DEP_1) | instskip(NEXT) | instid1(VALU_DEP_1)
	v_and_b32_e32 v21, s31, v20
	v_and_b32_e32 v20, 1, v21
	v_lshlrev_b32_e32 v24, 30, v21
	v_lshlrev_b32_e32 v25, 29, v21
	v_lshlrev_b32_e32 v26, 28, v21
	v_lshlrev_b32_e32 v118, 27, v21
	v_add_co_u32 v20, s15, v20, -1
	s_wait_alu 0xf1ff
	v_cndmask_b32_e64 v27, 0, 1, s15
	v_not_b32_e32 v121, v24
	v_cmp_gt_i32_e64 s15, 0, v24
	v_not_b32_e32 v24, v25
	v_lshlrev_b32_e32 v119, 26, v21
	v_cmp_ne_u32_e32 vcc_lo, 0, v27
	v_ashrrev_i32_e32 v121, 31, v121
	v_lshlrev_b32_e32 v120, 25, v21
	v_ashrrev_i32_e32 v24, 31, v24
	v_lshlrev_b32_e32 v27, 24, v21
	s_wait_alu 0xfffd
	v_xor_b32_e32 v20, vcc_lo, v20
	v_cmp_gt_i32_e32 vcc_lo, 0, v25
	v_not_b32_e32 v25, v26
	s_wait_alu 0xf1ff
	v_xor_b32_e32 v121, s15, v121
	v_cmp_gt_i32_e64 s15, 0, v26
	v_and_b32_e32 v20, exec_lo, v20
	v_not_b32_e32 v26, v118
	v_ashrrev_i32_e32 v25, 31, v25
	s_wait_alu 0xfffd
	v_xor_b32_e32 v24, vcc_lo, v24
	v_cmp_gt_i32_e32 vcc_lo, 0, v118
	v_and_b32_e32 v20, v20, v121
	v_not_b32_e32 v118, v119
	v_ashrrev_i32_e32 v26, 31, v26
	s_wait_alu 0xf1ff
	v_xor_b32_e32 v25, s15, v25
	v_cmp_gt_i32_e64 s15, 0, v119
	v_and_b32_e32 v20, v20, v24
	v_not_b32_e32 v24, v120
	v_ashrrev_i32_e32 v118, 31, v118
	s_wait_alu 0xfffd
	v_xor_b32_e32 v26, vcc_lo, v26
	v_cmp_gt_i32_e32 vcc_lo, 0, v120
	v_and_b32_e32 v20, v20, v25
	v_not_b32_e32 v25, v27
	v_ashrrev_i32_e32 v24, 31, v24
	s_wait_alu 0xf1ff
	v_xor_b32_e32 v118, s15, v118
	v_cmp_gt_i32_e64 s15, 0, v27
	v_and_b32_e32 v20, v20, v26
	v_ashrrev_i32_e32 v25, 31, v25
	s_wait_alu 0xfffd
	v_xor_b32_e32 v24, vcc_lo, v24
	v_mad_u32_u24 v26, v21, 36, v85
	v_mul_u32_u24_e32 v21, 36, v21
	v_and_b32_e32 v20, v20, v118
	s_wait_alu 0xf1ff
	v_xor_b32_e32 v25, s15, v25
	ds_load_b32 v118, v26 offset:1056
	v_add_nc_u32_e32 v121, v85, v21
	v_and_b32_e32 v20, v20, v24
	; wave barrier
	s_delay_alu instid0(VALU_DEP_1) | instskip(NEXT) | instid1(VALU_DEP_1)
	v_and_b32_e32 v20, v20, v25
	v_mbcnt_lo_u32_b32 v119, v20, 0
	v_cmp_ne_u32_e64 s15, 0, v20
	s_delay_alu instid0(VALU_DEP_2)
	v_cmp_eq_u32_e32 vcc_lo, 0, v119
	s_and_b32 s16, s15, vcc_lo
	s_wait_alu 0xfffe
	s_and_saveexec_b32 s15, s16
	s_cbranch_execz .LBB118_429
; %bb.428:                              ;   in Loop: Header=BB118_402 Depth=2
	s_wait_dscnt 0x0
	v_bcnt_u32_b32 v20, v20, v118
	ds_store_b32 v121, v20 offset:1056
.LBB118_429:                            ;   in Loop: Header=BB118_402 Depth=2
	s_wait_alu 0xfffe
	s_or_b32 exec_lo, exec_lo, s15
	v_xor_b32_e32 v120, -1, v23
	; wave barrier
	s_delay_alu instid0(VALU_DEP_1) | instskip(NEXT) | instid1(VALU_DEP_1)
	v_and_b32_e32 v20, 0xff, v120
	v_lshrrev_b32_e32 v20, s45, v20
	s_delay_alu instid0(VALU_DEP_1) | instskip(NEXT) | instid1(VALU_DEP_1)
	v_and_b32_e32 v21, s31, v20
	v_and_b32_e32 v20, 1, v21
	v_lshlrev_b32_e32 v23, 30, v21
	v_lshlrev_b32_e32 v24, 29, v21
	;; [unrolled: 1-line block ×4, first 2 shown]
	v_add_co_u32 v20, s15, v20, -1
	s_wait_alu 0xf1ff
	v_cndmask_b32_e64 v26, 0, 1, s15
	v_not_b32_e32 v124, v23
	v_cmp_gt_i32_e64 s15, 0, v23
	v_not_b32_e32 v23, v24
	v_lshlrev_b32_e32 v122, 26, v21
	v_cmp_ne_u32_e32 vcc_lo, 0, v26
	v_ashrrev_i32_e32 v124, 31, v124
	v_lshlrev_b32_e32 v123, 25, v21
	v_ashrrev_i32_e32 v23, 31, v23
	v_lshlrev_b32_e32 v26, 24, v21
	s_wait_alu 0xfffd
	v_xor_b32_e32 v20, vcc_lo, v20
	v_cmp_gt_i32_e32 vcc_lo, 0, v24
	v_not_b32_e32 v24, v25
	s_wait_alu 0xf1ff
	v_xor_b32_e32 v124, s15, v124
	v_cmp_gt_i32_e64 s15, 0, v25
	v_and_b32_e32 v20, exec_lo, v20
	v_not_b32_e32 v25, v27
	v_ashrrev_i32_e32 v24, 31, v24
	s_wait_alu 0xfffd
	v_xor_b32_e32 v23, vcc_lo, v23
	v_cmp_gt_i32_e32 vcc_lo, 0, v27
	v_and_b32_e32 v20, v20, v124
	v_not_b32_e32 v27, v122
	v_ashrrev_i32_e32 v25, 31, v25
	s_wait_alu 0xf1ff
	v_xor_b32_e32 v24, s15, v24
	v_cmp_gt_i32_e64 s15, 0, v122
	v_and_b32_e32 v20, v20, v23
	v_not_b32_e32 v23, v123
	v_ashrrev_i32_e32 v27, 31, v27
	s_wait_alu 0xfffd
	v_xor_b32_e32 v25, vcc_lo, v25
	v_cmp_gt_i32_e32 vcc_lo, 0, v123
	v_and_b32_e32 v20, v20, v24
	v_not_b32_e32 v24, v26
	v_ashrrev_i32_e32 v23, 31, v23
	s_wait_alu 0xf1ff
	v_xor_b32_e32 v27, s15, v27
	v_cmp_gt_i32_e64 s15, 0, v26
	v_and_b32_e32 v20, v20, v25
	v_ashrrev_i32_e32 v24, 31, v24
	s_wait_alu 0xfffd
	v_xor_b32_e32 v23, vcc_lo, v23
	v_mad_u32_u24 v25, v21, 36, v85
	v_mul_u32_u24_e32 v21, 36, v21
	v_and_b32_e32 v20, v20, v27
	s_wait_alu 0xf1ff
	v_xor_b32_e32 v24, s15, v24
	ds_load_b32 v122, v25 offset:1056
	v_add_nc_u32_e32 v125, v85, v21
	v_and_b32_e32 v20, v20, v23
	; wave barrier
	s_delay_alu instid0(VALU_DEP_1) | instskip(NEXT) | instid1(VALU_DEP_1)
	v_and_b32_e32 v20, v20, v24
	v_mbcnt_lo_u32_b32 v123, v20, 0
	v_cmp_ne_u32_e64 s15, 0, v20
	s_delay_alu instid0(VALU_DEP_2)
	v_cmp_eq_u32_e32 vcc_lo, 0, v123
	s_and_b32 s16, s15, vcc_lo
	s_wait_alu 0xfffe
	s_and_saveexec_b32 s15, s16
	s_cbranch_execz .LBB118_431
; %bb.430:                              ;   in Loop: Header=BB118_402 Depth=2
	s_wait_dscnt 0x0
	v_bcnt_u32_b32 v20, v20, v122
	ds_store_b32 v125, v20 offset:1056
.LBB118_431:                            ;   in Loop: Header=BB118_402 Depth=2
	s_wait_alu 0xfffe
	s_or_b32 exec_lo, exec_lo, s15
	v_xor_b32_e32 v124, -1, v22
	; wave barrier
	s_delay_alu instid0(VALU_DEP_1) | instskip(NEXT) | instid1(VALU_DEP_1)
	v_and_b32_e32 v20, 0xff, v124
	v_lshrrev_b32_e32 v20, s45, v20
	s_delay_alu instid0(VALU_DEP_1) | instskip(NEXT) | instid1(VALU_DEP_1)
	v_and_b32_e32 v21, s31, v20
	v_and_b32_e32 v20, 1, v21
	v_lshlrev_b32_e32 v22, 30, v21
	v_lshlrev_b32_e32 v23, 29, v21
	;; [unrolled: 1-line block ×4, first 2 shown]
	v_add_co_u32 v20, s15, v20, -1
	s_wait_alu 0xf1ff
	v_cndmask_b32_e64 v25, 0, 1, s15
	v_not_b32_e32 v127, v22
	v_cmp_gt_i32_e64 s15, 0, v22
	v_not_b32_e32 v22, v23
	v_lshlrev_b32_e32 v27, 26, v21
	v_cmp_ne_u32_e32 vcc_lo, 0, v25
	v_ashrrev_i32_e32 v127, 31, v127
	v_lshlrev_b32_e32 v126, 25, v21
	v_ashrrev_i32_e32 v22, 31, v22
	v_lshlrev_b32_e32 v25, 24, v21
	s_wait_alu 0xfffd
	v_xor_b32_e32 v20, vcc_lo, v20
	v_cmp_gt_i32_e32 vcc_lo, 0, v23
	v_not_b32_e32 v23, v24
	s_wait_alu 0xf1ff
	v_xor_b32_e32 v127, s15, v127
	v_cmp_gt_i32_e64 s15, 0, v24
	v_and_b32_e32 v20, exec_lo, v20
	v_not_b32_e32 v24, v26
	v_ashrrev_i32_e32 v23, 31, v23
	s_wait_alu 0xfffd
	v_xor_b32_e32 v22, vcc_lo, v22
	v_cmp_gt_i32_e32 vcc_lo, 0, v26
	v_and_b32_e32 v20, v20, v127
	v_not_b32_e32 v26, v27
	v_ashrrev_i32_e32 v24, 31, v24
	s_wait_alu 0xf1ff
	v_xor_b32_e32 v23, s15, v23
	v_cmp_gt_i32_e64 s15, 0, v27
	v_and_b32_e32 v20, v20, v22
	v_not_b32_e32 v22, v126
	v_ashrrev_i32_e32 v26, 31, v26
	s_wait_alu 0xfffd
	v_xor_b32_e32 v24, vcc_lo, v24
	v_cmp_gt_i32_e32 vcc_lo, 0, v126
	v_and_b32_e32 v20, v20, v23
	v_not_b32_e32 v23, v25
	v_ashrrev_i32_e32 v22, 31, v22
	s_wait_alu 0xf1ff
	v_xor_b32_e32 v26, s15, v26
	v_cmp_gt_i32_e64 s15, 0, v25
	v_and_b32_e32 v20, v20, v24
	v_ashrrev_i32_e32 v23, 31, v23
	s_wait_alu 0xfffd
	v_xor_b32_e32 v22, vcc_lo, v22
	v_mad_u32_u24 v24, v21, 36, v85
	v_mul_u32_u24_e32 v21, 36, v21
	v_and_b32_e32 v20, v20, v26
	s_wait_alu 0xf1ff
	v_xor_b32_e32 v23, s15, v23
	ds_load_b32 v126, v24 offset:1056
	v_add_nc_u32_e32 v128, v85, v21
	v_and_b32_e32 v20, v20, v22
	; wave barrier
	s_delay_alu instid0(VALU_DEP_1) | instskip(NEXT) | instid1(VALU_DEP_1)
	v_and_b32_e32 v20, v20, v23
	v_mbcnt_lo_u32_b32 v127, v20, 0
	v_cmp_ne_u32_e64 s15, 0, v20
	s_delay_alu instid0(VALU_DEP_2)
	v_cmp_eq_u32_e32 vcc_lo, 0, v127
	s_and_b32 s16, s15, vcc_lo
	s_wait_alu 0xfffe
	s_and_saveexec_b32 s15, s16
	s_cbranch_execz .LBB118_433
; %bb.432:                              ;   in Loop: Header=BB118_402 Depth=2
	s_wait_dscnt 0x0
	v_bcnt_u32_b32 v20, v20, v126
	ds_store_b32 v128, v20 offset:1056
.LBB118_433:                            ;   in Loop: Header=BB118_402 Depth=2
	s_wait_alu 0xfffe
	s_or_b32 exec_lo, exec_lo, s15
	; wave barrier
	s_wait_loadcnt_dscnt 0x0
	s_barrier_signal -1
	s_barrier_wait -1
	global_inv scope:SCOPE_SE
	ds_load_2addr_b32 v[26:27], v98 offset1:1
	ds_load_2addr_b32 v[24:25], v99 offset1:1
	;; [unrolled: 1-line block ×4, first 2 shown]
	ds_load_b32 v129, v45 offset:1088
	s_wait_dscnt 0x3
	v_add3_u32 v130, v27, v26, v24
	s_wait_dscnt 0x2
	s_delay_alu instid0(VALU_DEP_1) | instskip(SKIP_1) | instid1(VALU_DEP_1)
	v_add3_u32 v130, v130, v25, v22
	s_wait_dscnt 0x1
	v_add3_u32 v130, v130, v23, v20
	s_wait_dscnt 0x0
	s_delay_alu instid0(VALU_DEP_1) | instskip(NEXT) | instid1(VALU_DEP_1)
	v_add3_u32 v129, v130, v21, v129
	v_mov_b32_dpp v130, v129 row_shr:1 row_mask:0xf bank_mask:0xf
	s_delay_alu instid0(VALU_DEP_1) | instskip(NEXT) | instid1(VALU_DEP_1)
	v_cndmask_b32_e64 v130, v130, 0, s0
	v_add_nc_u32_e32 v129, v130, v129
	s_delay_alu instid0(VALU_DEP_1) | instskip(NEXT) | instid1(VALU_DEP_1)
	v_mov_b32_dpp v130, v129 row_shr:2 row_mask:0xf bank_mask:0xf
	v_cndmask_b32_e64 v130, 0, v130, s1
	s_delay_alu instid0(VALU_DEP_1) | instskip(NEXT) | instid1(VALU_DEP_1)
	v_add_nc_u32_e32 v129, v129, v130
	v_mov_b32_dpp v130, v129 row_shr:4 row_mask:0xf bank_mask:0xf
	s_delay_alu instid0(VALU_DEP_1) | instskip(NEXT) | instid1(VALU_DEP_1)
	v_cndmask_b32_e64 v130, 0, v130, s9
	v_add_nc_u32_e32 v129, v129, v130
	s_delay_alu instid0(VALU_DEP_1) | instskip(NEXT) | instid1(VALU_DEP_1)
	v_mov_b32_dpp v130, v129 row_shr:8 row_mask:0xf bank_mask:0xf
	v_cndmask_b32_e64 v130, 0, v130, s10
	s_delay_alu instid0(VALU_DEP_1) | instskip(SKIP_3) | instid1(VALU_DEP_1)
	v_add_nc_u32_e32 v129, v129, v130
	ds_swizzle_b32 v130, v129 offset:swizzle(BROADCAST,32,15)
	s_wait_dscnt 0x0
	v_cndmask_b32_e64 v130, v130, 0, s11
	v_add_nc_u32_e32 v129, v129, v130
	s_and_saveexec_b32 s15, s3
; %bb.434:                              ;   in Loop: Header=BB118_402 Depth=2
	ds_store_b32 v38, v129 offset:1024
; %bb.435:                              ;   in Loop: Header=BB118_402 Depth=2
	s_wait_alu 0xfffe
	s_or_b32 exec_lo, exec_lo, s15
	s_wait_loadcnt_dscnt 0x0
	s_barrier_signal -1
	s_barrier_wait -1
	global_inv scope:SCOPE_SE
	s_and_saveexec_b32 s15, s4
	s_cbranch_execz .LBB118_437
; %bb.436:                              ;   in Loop: Header=BB118_402 Depth=2
	v_add_nc_u32_e32 v130, v45, v46
	ds_load_b32 v131, v130 offset:1024
	s_wait_dscnt 0x0
	v_mov_b32_dpp v132, v131 row_shr:1 row_mask:0xf bank_mask:0xf
	s_delay_alu instid0(VALU_DEP_1) | instskip(NEXT) | instid1(VALU_DEP_1)
	v_cndmask_b32_e64 v132, v132, 0, s12
	v_add_nc_u32_e32 v131, v132, v131
	s_delay_alu instid0(VALU_DEP_1) | instskip(NEXT) | instid1(VALU_DEP_1)
	v_mov_b32_dpp v132, v131 row_shr:2 row_mask:0xf bank_mask:0xf
	v_cndmask_b32_e64 v132, 0, v132, s13
	s_delay_alu instid0(VALU_DEP_1) | instskip(NEXT) | instid1(VALU_DEP_1)
	v_add_nc_u32_e32 v131, v131, v132
	v_mov_b32_dpp v132, v131 row_shr:4 row_mask:0xf bank_mask:0xf
	s_delay_alu instid0(VALU_DEP_1) | instskip(NEXT) | instid1(VALU_DEP_1)
	v_cndmask_b32_e64 v132, 0, v132, s14
	v_add_nc_u32_e32 v131, v131, v132
	ds_store_b32 v130, v131 offset:1024
.LBB118_437:                            ;   in Loop: Header=BB118_402 Depth=2
	s_wait_alu 0xfffe
	s_or_b32 exec_lo, exec_lo, s15
	v_mov_b32_e32 v130, 0
	s_wait_loadcnt_dscnt 0x0
	s_barrier_signal -1
	s_barrier_wait -1
	global_inv scope:SCOPE_SE
	s_and_saveexec_b32 s15, s5
; %bb.438:                              ;   in Loop: Header=BB118_402 Depth=2
	ds_load_b32 v130, v38 offset:1020
; %bb.439:                              ;   in Loop: Header=BB118_402 Depth=2
	s_wait_alu 0xfffe
	s_or_b32 exec_lo, exec_lo, s15
	s_wait_dscnt 0x0
	v_add_nc_u32_e32 v129, v130, v129
	ds_bpermute_b32 v129, v80, v129
	s_wait_dscnt 0x0
	v_cndmask_b32_e64 v129, v129, v130, s8
	s_delay_alu instid0(VALU_DEP_1) | instskip(NEXT) | instid1(VALU_DEP_1)
	v_cndmask_b32_e64 v129, v129, 0, s6
	v_add_nc_u32_e32 v26, v129, v26
	s_delay_alu instid0(VALU_DEP_1) | instskip(NEXT) | instid1(VALU_DEP_1)
	v_add_nc_u32_e32 v27, v26, v27
	v_add_nc_u32_e32 v24, v27, v24
	s_delay_alu instid0(VALU_DEP_1) | instskip(NEXT) | instid1(VALU_DEP_1)
	v_add_nc_u32_e32 v25, v24, v25
	;; [unrolled: 3-line block ×3, first 2 shown]
	v_add_nc_u32_e32 v20, v23, v20
	s_delay_alu instid0(VALU_DEP_1)
	v_add_nc_u32_e32 v21, v20, v21
	ds_store_2addr_b32 v97, v23, v20 offset1:1
	ds_store_2addr_b32 v98, v129, v26 offset1:1
	;; [unrolled: 1-line block ×4, first 2 shown]
	ds_store_b32 v45, v21 offset:1088
	s_wait_loadcnt_dscnt 0x0
	s_barrier_signal -1
	s_barrier_wait -1
	global_inv scope:SCOPE_SE
	ds_load_b32 v20, v101 offset:1056
	ds_load_b32 v21, v105 offset:1056
	;; [unrolled: 1-line block ×9, first 2 shown]
	v_mov_b32_e32 v22, 0x800
	s_and_saveexec_b32 s15, s7
; %bb.440:                              ;   in Loop: Header=BB118_402 Depth=2
	ds_load_b32 v22, v45 offset:1092
; %bb.441:                              ;   in Loop: Header=BB118_402 Depth=2
	s_wait_alu 0xfffe
	s_or_b32 exec_lo, exec_lo, s15
	s_wait_loadcnt_dscnt 0x0
	s_barrier_signal -1
	s_barrier_wait -1
	global_inv scope:SCOPE_SE
	s_and_saveexec_b32 s15, s2
	s_cbranch_execz .LBB118_443
; %bb.442:                              ;   in Loop: Header=BB118_402 Depth=2
	ds_load_b32 v27, v28
	s_wait_dscnt 0x0
	v_sub_nc_u32_e32 v26, v27, v26
	ds_store_b32 v28, v26
.LBB118_443:                            ;   in Loop: Header=BB118_402 Depth=2
	s_wait_alu 0xfffe
	s_or_b32 exec_lo, exec_lo, s15
	v_add_nc_u32_e32 v98, v20, v95
	v_add3_u32 v97, v103, v102, v21
	v_add3_u32 v95, v107, v106, v23
	v_add3_u32 v27, v111, v110, v24
	v_add3_u32 v26, v115, v114, v25
	v_add3_u32 v25, v119, v118, v99
	v_add3_u32 v24, v123, v122, v100
	v_add3_u32 v23, v127, v126, v101
	v_cmp_lt_u32_e64 s20, v1, v2
	ds_store_b8 v98, v94 offset:1024
	ds_store_b8 v97, v96 offset:1024
	;; [unrolled: 1-line block ×8, first 2 shown]
	s_wait_loadcnt_dscnt 0x0
	s_barrier_signal -1
	s_barrier_wait -1
	global_inv scope:SCOPE_SE
	s_and_saveexec_b32 s15, s20
	s_cbranch_execnz .LBB118_480
; %bb.444:                              ;   in Loop: Header=BB118_402 Depth=2
	s_wait_alu 0xfffe
	s_or_b32 exec_lo, exec_lo, s15
	v_cmp_lt_u32_e64 s21, v29, v2
	s_and_saveexec_b32 s15, s21
	s_cbranch_execnz .LBB118_481
.LBB118_445:                            ;   in Loop: Header=BB118_402 Depth=2
	s_wait_alu 0xfffe
	s_or_b32 exec_lo, exec_lo, s15
	v_cmp_lt_u32_e64 s19, v30, v2
	s_and_saveexec_b32 s15, s19
	s_cbranch_execnz .LBB118_482
.LBB118_446:                            ;   in Loop: Header=BB118_402 Depth=2
	s_wait_alu 0xfffe
	s_or_b32 exec_lo, exec_lo, s15
	v_cmp_lt_u32_e64 s18, v31, v2
	s_and_saveexec_b32 s15, s18
	s_cbranch_execnz .LBB118_483
.LBB118_447:                            ;   in Loop: Header=BB118_402 Depth=2
	s_wait_alu 0xfffe
	s_or_b32 exec_lo, exec_lo, s15
	v_cmp_lt_u32_e64 s17, v34, v2
	s_and_saveexec_b32 s15, s17
	s_cbranch_execnz .LBB118_484
.LBB118_448:                            ;   in Loop: Header=BB118_402 Depth=2
	s_wait_alu 0xfffe
	s_or_b32 exec_lo, exec_lo, s15
	v_cmp_lt_u32_e64 s16, v35, v2
	s_and_saveexec_b32 s15, s16
	s_cbranch_execnz .LBB118_485
.LBB118_449:                            ;   in Loop: Header=BB118_402 Depth=2
	s_wait_alu 0xfffe
	s_or_b32 exec_lo, exec_lo, s15
	v_cmp_lt_u32_e64 s15, v36, v2
	s_and_saveexec_b32 s44, s15
	s_cbranch_execnz .LBB118_486
.LBB118_450:                            ;   in Loop: Header=BB118_402 Depth=2
	s_wait_alu 0xfffe
	s_or_b32 exec_lo, exec_lo, s44
	v_cmp_lt_u32_e32 vcc_lo, v37, v2
	s_and_saveexec_b32 s44, vcc_lo
	s_cbranch_execz .LBB118_452
.LBB118_451:                            ;   in Loop: Header=BB118_402 Depth=2
	ds_load_u8 v20, v1 offset:2816
	s_wait_dscnt 0x0
	v_and_b32_e32 v21, 0xff, v20
	v_xor_b32_e32 v20, -1, v20
	s_delay_alu instid0(VALU_DEP_2) | instskip(NEXT) | instid1(VALU_DEP_1)
	v_lshrrev_b32_e32 v21, s45, v21
	v_and_b32_e32 v21, s31, v21
	s_delay_alu instid0(VALU_DEP_1)
	v_lshlrev_b32_e32 v21, 2, v21
	ds_load_b32 v21, v21
	s_wait_dscnt 0x0
	v_add_nc_u32_e32 v21, v21, v37
	global_store_b8 v21, v20, s[38:39]
.LBB118_452:                            ;   in Loop: Header=BB118_402 Depth=2
	s_wait_alu 0xfffe
	s_or_b32 exec_lo, exec_lo, s44
	s_lshl_b64 s[48:49], s[22:23], 3
	s_wait_alu 0xfffe
	v_add_co_u32 v20, s22, v81, s48
	s_wait_alu 0xf1ff
	v_add_co_ci_u32_e64 v21, null, s49, v82, s22
	v_cmp_lt_u32_e64 s22, v68, v2
	s_and_saveexec_b32 s44, s22
	s_wait_alu 0xfffe
	s_xor_b32 s22, exec_lo, s44
	s_cbranch_execnz .LBB118_487
; %bb.453:                              ;   in Loop: Header=BB118_402 Depth=2
	s_wait_alu 0xfffe
	s_or_b32 exec_lo, exec_lo, s22
	s_delay_alu instid0(SALU_CYCLE_1)
	s_mov_b32 s44, exec_lo
	v_cmpx_lt_u32_e64 v71, v2
	s_cbranch_execnz .LBB118_488
.LBB118_454:                            ;   in Loop: Header=BB118_402 Depth=2
	s_wait_alu 0xfffe
	s_or_b32 exec_lo, exec_lo, s44
	s_delay_alu instid0(SALU_CYCLE_1)
	s_mov_b32 s44, exec_lo
	v_cmpx_lt_u32_e64 v72, v2
	s_cbranch_execnz .LBB118_489
.LBB118_455:                            ;   in Loop: Header=BB118_402 Depth=2
	s_wait_alu 0xfffe
	s_or_b32 exec_lo, exec_lo, s44
	s_delay_alu instid0(SALU_CYCLE_1)
	s_mov_b32 s44, exec_lo
	v_cmpx_lt_u32_e64 v73, v2
	s_cbranch_execnz .LBB118_490
.LBB118_456:                            ;   in Loop: Header=BB118_402 Depth=2
	s_wait_alu 0xfffe
	s_or_b32 exec_lo, exec_lo, s44
	s_delay_alu instid0(SALU_CYCLE_1)
	s_mov_b32 s44, exec_lo
	v_cmpx_lt_u32_e64 v74, v2
	s_cbranch_execnz .LBB118_491
.LBB118_457:                            ;   in Loop: Header=BB118_402 Depth=2
	s_wait_alu 0xfffe
	s_or_b32 exec_lo, exec_lo, s44
	s_delay_alu instid0(SALU_CYCLE_1)
	s_mov_b32 s44, exec_lo
	v_cmpx_lt_u32_e64 v75, v2
	s_cbranch_execnz .LBB118_492
.LBB118_458:                            ;   in Loop: Header=BB118_402 Depth=2
	s_wait_alu 0xfffe
	s_or_b32 exec_lo, exec_lo, s44
	s_delay_alu instid0(SALU_CYCLE_1)
	s_mov_b32 s44, exec_lo
	v_cmpx_lt_u32_e64 v76, v2
	s_cbranch_execnz .LBB118_493
.LBB118_459:                            ;   in Loop: Header=BB118_402 Depth=2
	s_wait_alu 0xfffe
	s_or_b32 exec_lo, exec_lo, s44
	s_delay_alu instid0(SALU_CYCLE_1)
	s_mov_b32 s44, exec_lo
	v_cmpx_lt_u32_e64 v77, v2
	s_cbranch_execnz .LBB118_494
.LBB118_460:                            ;   in Loop: Header=BB118_402 Depth=2
	s_wait_alu 0xfffe
	s_or_b32 exec_lo, exec_lo, s44
	s_and_saveexec_b32 s22, s20
	s_cbranch_execnz .LBB118_495
.LBB118_461:                            ;   in Loop: Header=BB118_402 Depth=2
	s_wait_alu 0xfffe
	s_or_b32 exec_lo, exec_lo, s22
	s_and_saveexec_b32 s22, s21
	s_cbranch_execnz .LBB118_496
.LBB118_462:                            ;   in Loop: Header=BB118_402 Depth=2
	s_wait_alu 0xfffe
	s_or_b32 exec_lo, exec_lo, s22
	s_and_saveexec_b32 s22, s19
	s_cbranch_execnz .LBB118_497
.LBB118_463:                            ;   in Loop: Header=BB118_402 Depth=2
	s_wait_alu 0xfffe
	s_or_b32 exec_lo, exec_lo, s22
	s_and_saveexec_b32 s22, s18
	s_cbranch_execnz .LBB118_498
.LBB118_464:                            ;   in Loop: Header=BB118_402 Depth=2
	s_wait_alu 0xfffe
	s_or_b32 exec_lo, exec_lo, s22
	s_and_saveexec_b32 s22, s17
	s_cbranch_execnz .LBB118_499
.LBB118_465:                            ;   in Loop: Header=BB118_402 Depth=2
	s_wait_alu 0xfffe
	s_or_b32 exec_lo, exec_lo, s22
	s_and_saveexec_b32 s22, s16
	s_cbranch_execnz .LBB118_500
.LBB118_466:                            ;   in Loop: Header=BB118_402 Depth=2
	s_wait_alu 0xfffe
	s_or_b32 exec_lo, exec_lo, s22
	s_and_saveexec_b32 s22, s15
	s_cbranch_execnz .LBB118_501
.LBB118_467:                            ;   in Loop: Header=BB118_402 Depth=2
	s_wait_alu 0xfffe
	s_or_b32 exec_lo, exec_lo, s22
	s_and_saveexec_b32 s22, vcc_lo
	s_cbranch_execz .LBB118_469
.LBB118_468:                            ;   in Loop: Header=BB118_402 Depth=2
	ds_load_u8 v2, v1 offset:2816
	s_wait_dscnt 0x0
	v_lshrrev_b32_e32 v2, s45, v2
	s_delay_alu instid0(VALU_DEP_1)
	v_and_b32_e32 v86, s31, v2
.LBB118_469:                            ;   in Loop: Header=BB118_402 Depth=2
	s_wait_alu 0xfffe
	s_or_b32 exec_lo, exec_lo, s22
	v_lshlrev_b32_e32 v2, 3, v98
	v_lshlrev_b32_e32 v20, 3, v97
	;; [unrolled: 1-line block ×3, first 2 shown]
	s_wait_loadcnt 0x0
	s_wait_storecnt 0x0
	s_barrier_signal -1
	s_barrier_wait -1
	global_inv scope:SCOPE_SE
	ds_store_b64 v2, v[18:19] offset:1024
	ds_store_b64 v20, v[16:17] offset:1024
	ds_store_b64 v21, v[14:15] offset:1024
	v_lshlrev_b32_e32 v2, 3, v27
	v_lshlrev_b32_e32 v20, 3, v26
	;; [unrolled: 1-line block ×5, first 2 shown]
	ds_store_b64 v2, v[12:13] offset:1024
	ds_store_b64 v20, v[10:11] offset:1024
	;; [unrolled: 1-line block ×5, first 2 shown]
	s_wait_loadcnt_dscnt 0x0
	s_barrier_signal -1
	s_barrier_wait -1
	global_inv scope:SCOPE_SE
	s_and_saveexec_b32 s22, s20
	s_cbranch_execnz .LBB118_502
; %bb.470:                              ;   in Loop: Header=BB118_402 Depth=2
	s_wait_alu 0xfffe
	s_or_b32 exec_lo, exec_lo, s22
	s_and_saveexec_b32 s22, s21
	s_cbranch_execnz .LBB118_503
.LBB118_471:                            ;   in Loop: Header=BB118_402 Depth=2
	s_wait_alu 0xfffe
	s_or_b32 exec_lo, exec_lo, s22
	s_and_saveexec_b32 s20, s19
	s_cbranch_execnz .LBB118_504
.LBB118_472:                            ;   in Loop: Header=BB118_402 Depth=2
	s_wait_alu 0xfffe
	s_or_b32 exec_lo, exec_lo, s20
	s_and_saveexec_b32 s19, s18
	s_cbranch_execnz .LBB118_505
.LBB118_473:                            ;   in Loop: Header=BB118_402 Depth=2
	s_wait_alu 0xfffe
	s_or_b32 exec_lo, exec_lo, s19
	s_and_saveexec_b32 s18, s17
	s_cbranch_execnz .LBB118_506
.LBB118_474:                            ;   in Loop: Header=BB118_402 Depth=2
	s_wait_alu 0xfffe
	s_or_b32 exec_lo, exec_lo, s18
	s_and_saveexec_b32 s17, s16
	s_cbranch_execnz .LBB118_507
.LBB118_475:                            ;   in Loop: Header=BB118_402 Depth=2
	s_wait_alu 0xfffe
	s_or_b32 exec_lo, exec_lo, s17
	s_and_saveexec_b32 s16, s15
	s_cbranch_execnz .LBB118_508
.LBB118_476:                            ;   in Loop: Header=BB118_402 Depth=2
	s_wait_alu 0xfffe
	s_or_b32 exec_lo, exec_lo, s16
	s_and_saveexec_b32 s15, vcc_lo
	s_cbranch_execz .LBB118_478
.LBB118_477:                            ;   in Loop: Header=BB118_402 Depth=2
	v_lshlrev_b32_e32 v2, 2, v86
	v_add_nc_u32_e32 v20, v1, v47
	ds_load_b32 v2, v2
	ds_load_b64 v[20:21], v20 offset:15360
	s_wait_dscnt 0x1
	v_add_nc_u32_e32 v2, v2, v37
	s_delay_alu instid0(VALU_DEP_1) | instskip(NEXT) | instid1(VALU_DEP_1)
	v_lshlrev_b64_e32 v[23:24], 3, v[2:3]
	v_add_co_u32 v23, vcc_lo, s24, v23
	s_wait_alu 0xfffd
	s_delay_alu instid0(VALU_DEP_2)
	v_add_co_ci_u32_e64 v24, null, s25, v24, vcc_lo
	s_wait_dscnt 0x0
	global_store_b64 v[23:24], v[20:21], off
.LBB118_478:                            ;   in Loop: Header=BB118_402 Depth=2
	s_wait_alu 0xfffe
	s_or_b32 exec_lo, exec_lo, s15
	s_wait_loadcnt 0x0
	s_wait_storecnt 0x0
	s_barrier_signal -1
	s_barrier_wait -1
	global_inv scope:SCOPE_SE
	s_and_saveexec_b32 s15, s2
	s_cbranch_execz .LBB118_401
; %bb.479:                              ;   in Loop: Header=BB118_402 Depth=2
	ds_load_b32 v2, v28
	s_wait_dscnt 0x0
	v_add_nc_u32_e32 v2, v2, v22
	ds_store_b32 v28, v2
	s_branch .LBB118_401
.LBB118_480:                            ;   in Loop: Header=BB118_402 Depth=2
	ds_load_u8 v20, v1 offset:1024
	s_wait_dscnt 0x0
	v_and_b32_e32 v21, 0xff, v20
	v_xor_b32_e32 v20, -1, v20
	s_delay_alu instid0(VALU_DEP_2) | instskip(NEXT) | instid1(VALU_DEP_1)
	v_lshrrev_b32_e32 v21, s45, v21
	v_and_b32_e32 v21, s31, v21
	s_delay_alu instid0(VALU_DEP_1)
	v_lshlrev_b32_e32 v21, 2, v21
	ds_load_b32 v21, v21
	s_wait_dscnt 0x0
	v_add_nc_u32_e32 v21, v21, v1
	global_store_b8 v21, v20, s[38:39]
	s_wait_alu 0xfffe
	s_or_b32 exec_lo, exec_lo, s15
	v_cmp_lt_u32_e64 s21, v29, v2
	s_and_saveexec_b32 s15, s21
	s_cbranch_execz .LBB118_445
.LBB118_481:                            ;   in Loop: Header=BB118_402 Depth=2
	ds_load_u8 v20, v1 offset:1280
	s_wait_dscnt 0x0
	v_and_b32_e32 v21, 0xff, v20
	v_xor_b32_e32 v20, -1, v20
	s_delay_alu instid0(VALU_DEP_2) | instskip(NEXT) | instid1(VALU_DEP_1)
	v_lshrrev_b32_e32 v21, s45, v21
	v_and_b32_e32 v21, s31, v21
	s_delay_alu instid0(VALU_DEP_1)
	v_lshlrev_b32_e32 v21, 2, v21
	ds_load_b32 v21, v21
	s_wait_dscnt 0x0
	v_add_nc_u32_e32 v21, v21, v29
	global_store_b8 v21, v20, s[38:39]
	s_wait_alu 0xfffe
	s_or_b32 exec_lo, exec_lo, s15
	v_cmp_lt_u32_e64 s19, v30, v2
	s_and_saveexec_b32 s15, s19
	s_cbranch_execz .LBB118_446
.LBB118_482:                            ;   in Loop: Header=BB118_402 Depth=2
	ds_load_u8 v20, v1 offset:1536
	s_wait_dscnt 0x0
	v_and_b32_e32 v21, 0xff, v20
	v_xor_b32_e32 v20, -1, v20
	s_delay_alu instid0(VALU_DEP_2) | instskip(NEXT) | instid1(VALU_DEP_1)
	v_lshrrev_b32_e32 v21, s45, v21
	v_and_b32_e32 v21, s31, v21
	s_delay_alu instid0(VALU_DEP_1)
	v_lshlrev_b32_e32 v21, 2, v21
	ds_load_b32 v21, v21
	s_wait_dscnt 0x0
	v_add_nc_u32_e32 v21, v21, v30
	global_store_b8 v21, v20, s[38:39]
	s_wait_alu 0xfffe
	s_or_b32 exec_lo, exec_lo, s15
	v_cmp_lt_u32_e64 s18, v31, v2
	s_and_saveexec_b32 s15, s18
	s_cbranch_execz .LBB118_447
.LBB118_483:                            ;   in Loop: Header=BB118_402 Depth=2
	ds_load_u8 v20, v1 offset:1792
	s_wait_dscnt 0x0
	v_and_b32_e32 v21, 0xff, v20
	v_xor_b32_e32 v20, -1, v20
	s_delay_alu instid0(VALU_DEP_2) | instskip(NEXT) | instid1(VALU_DEP_1)
	v_lshrrev_b32_e32 v21, s45, v21
	v_and_b32_e32 v21, s31, v21
	s_delay_alu instid0(VALU_DEP_1)
	v_lshlrev_b32_e32 v21, 2, v21
	ds_load_b32 v21, v21
	s_wait_dscnt 0x0
	v_add_nc_u32_e32 v21, v21, v31
	global_store_b8 v21, v20, s[38:39]
	s_wait_alu 0xfffe
	s_or_b32 exec_lo, exec_lo, s15
	v_cmp_lt_u32_e64 s17, v34, v2
	s_and_saveexec_b32 s15, s17
	s_cbranch_execz .LBB118_448
.LBB118_484:                            ;   in Loop: Header=BB118_402 Depth=2
	ds_load_u8 v20, v1 offset:2048
	s_wait_dscnt 0x0
	v_and_b32_e32 v21, 0xff, v20
	v_xor_b32_e32 v20, -1, v20
	s_delay_alu instid0(VALU_DEP_2) | instskip(NEXT) | instid1(VALU_DEP_1)
	v_lshrrev_b32_e32 v21, s45, v21
	v_and_b32_e32 v21, s31, v21
	s_delay_alu instid0(VALU_DEP_1)
	v_lshlrev_b32_e32 v21, 2, v21
	ds_load_b32 v21, v21
	s_wait_dscnt 0x0
	v_add_nc_u32_e32 v21, v21, v34
	global_store_b8 v21, v20, s[38:39]
	s_wait_alu 0xfffe
	s_or_b32 exec_lo, exec_lo, s15
	v_cmp_lt_u32_e64 s16, v35, v2
	s_and_saveexec_b32 s15, s16
	s_cbranch_execz .LBB118_449
.LBB118_485:                            ;   in Loop: Header=BB118_402 Depth=2
	ds_load_u8 v20, v1 offset:2304
	s_wait_dscnt 0x0
	v_and_b32_e32 v21, 0xff, v20
	v_xor_b32_e32 v20, -1, v20
	s_delay_alu instid0(VALU_DEP_2) | instskip(NEXT) | instid1(VALU_DEP_1)
	v_lshrrev_b32_e32 v21, s45, v21
	v_and_b32_e32 v21, s31, v21
	s_delay_alu instid0(VALU_DEP_1)
	v_lshlrev_b32_e32 v21, 2, v21
	ds_load_b32 v21, v21
	s_wait_dscnt 0x0
	v_add_nc_u32_e32 v21, v21, v35
	global_store_b8 v21, v20, s[38:39]
	s_wait_alu 0xfffe
	s_or_b32 exec_lo, exec_lo, s15
	v_cmp_lt_u32_e64 s15, v36, v2
	s_and_saveexec_b32 s44, s15
	s_cbranch_execz .LBB118_450
.LBB118_486:                            ;   in Loop: Header=BB118_402 Depth=2
	ds_load_u8 v20, v1 offset:2560
	s_wait_dscnt 0x0
	v_and_b32_e32 v21, 0xff, v20
	v_xor_b32_e32 v20, -1, v20
	s_delay_alu instid0(VALU_DEP_2) | instskip(NEXT) | instid1(VALU_DEP_1)
	v_lshrrev_b32_e32 v21, s45, v21
	v_and_b32_e32 v21, s31, v21
	s_delay_alu instid0(VALU_DEP_1)
	v_lshlrev_b32_e32 v21, 2, v21
	ds_load_b32 v21, v21
	s_wait_dscnt 0x0
	v_add_nc_u32_e32 v21, v21, v36
	global_store_b8 v21, v20, s[38:39]
	s_wait_alu 0xfffe
	s_or_b32 exec_lo, exec_lo, s44
	v_cmp_lt_u32_e32 vcc_lo, v37, v2
	s_and_saveexec_b32 s44, vcc_lo
	s_cbranch_execnz .LBB118_451
	s_branch .LBB118_452
.LBB118_487:                            ;   in Loop: Header=BB118_402 Depth=2
	global_load_b64 v[18:19], v[20:21], off
	s_wait_alu 0xfffe
	s_or_b32 exec_lo, exec_lo, s22
	s_delay_alu instid0(SALU_CYCLE_1)
	s_mov_b32 s44, exec_lo
	v_cmpx_lt_u32_e64 v71, v2
	s_cbranch_execz .LBB118_454
.LBB118_488:                            ;   in Loop: Header=BB118_402 Depth=2
	global_load_b64 v[16:17], v[20:21], off offset:256
	s_wait_alu 0xfffe
	s_or_b32 exec_lo, exec_lo, s44
	s_delay_alu instid0(SALU_CYCLE_1)
	s_mov_b32 s44, exec_lo
	v_cmpx_lt_u32_e64 v72, v2
	s_cbranch_execz .LBB118_455
.LBB118_489:                            ;   in Loop: Header=BB118_402 Depth=2
	global_load_b64 v[14:15], v[20:21], off offset:512
	s_wait_alu 0xfffe
	s_or_b32 exec_lo, exec_lo, s44
	s_delay_alu instid0(SALU_CYCLE_1)
	s_mov_b32 s44, exec_lo
	v_cmpx_lt_u32_e64 v73, v2
	s_cbranch_execz .LBB118_456
.LBB118_490:                            ;   in Loop: Header=BB118_402 Depth=2
	global_load_b64 v[12:13], v[20:21], off offset:768
	s_wait_alu 0xfffe
	s_or_b32 exec_lo, exec_lo, s44
	s_delay_alu instid0(SALU_CYCLE_1)
	s_mov_b32 s44, exec_lo
	v_cmpx_lt_u32_e64 v74, v2
	s_cbranch_execz .LBB118_457
.LBB118_491:                            ;   in Loop: Header=BB118_402 Depth=2
	global_load_b64 v[10:11], v[20:21], off offset:1024
	s_wait_alu 0xfffe
	s_or_b32 exec_lo, exec_lo, s44
	s_delay_alu instid0(SALU_CYCLE_1)
	s_mov_b32 s44, exec_lo
	v_cmpx_lt_u32_e64 v75, v2
	s_cbranch_execz .LBB118_458
.LBB118_492:                            ;   in Loop: Header=BB118_402 Depth=2
	global_load_b64 v[8:9], v[20:21], off offset:1280
	s_wait_alu 0xfffe
	s_or_b32 exec_lo, exec_lo, s44
	s_delay_alu instid0(SALU_CYCLE_1)
	s_mov_b32 s44, exec_lo
	v_cmpx_lt_u32_e64 v76, v2
	s_cbranch_execz .LBB118_459
.LBB118_493:                            ;   in Loop: Header=BB118_402 Depth=2
	global_load_b64 v[6:7], v[20:21], off offset:1536
	s_wait_alu 0xfffe
	s_or_b32 exec_lo, exec_lo, s44
	s_delay_alu instid0(SALU_CYCLE_1)
	s_mov_b32 s44, exec_lo
	v_cmpx_lt_u32_e64 v77, v2
	s_cbranch_execz .LBB118_460
.LBB118_494:                            ;   in Loop: Header=BB118_402 Depth=2
	global_load_b64 v[4:5], v[20:21], off offset:1792
	s_wait_alu 0xfffe
	s_or_b32 exec_lo, exec_lo, s44
	s_and_saveexec_b32 s22, s20
	s_cbranch_execz .LBB118_461
.LBB118_495:                            ;   in Loop: Header=BB118_402 Depth=2
	ds_load_u8 v2, v1 offset:1024
	s_wait_dscnt 0x0
	v_lshrrev_b32_e32 v2, s45, v2
	s_delay_alu instid0(VALU_DEP_1)
	v_and_b32_e32 v93, s31, v2
	s_wait_alu 0xfffe
	s_or_b32 exec_lo, exec_lo, s22
	s_and_saveexec_b32 s22, s21
	s_cbranch_execz .LBB118_462
.LBB118_496:                            ;   in Loop: Header=BB118_402 Depth=2
	ds_load_u8 v2, v1 offset:1280
	s_wait_dscnt 0x0
	v_lshrrev_b32_e32 v2, s45, v2
	s_delay_alu instid0(VALU_DEP_1)
	v_and_b32_e32 v92, s31, v2
	s_wait_alu 0xfffe
	s_or_b32 exec_lo, exec_lo, s22
	s_and_saveexec_b32 s22, s19
	s_cbranch_execz .LBB118_463
.LBB118_497:                            ;   in Loop: Header=BB118_402 Depth=2
	ds_load_u8 v2, v1 offset:1536
	s_wait_dscnt 0x0
	v_lshrrev_b32_e32 v2, s45, v2
	s_delay_alu instid0(VALU_DEP_1)
	v_and_b32_e32 v91, s31, v2
	s_wait_alu 0xfffe
	s_or_b32 exec_lo, exec_lo, s22
	s_and_saveexec_b32 s22, s18
	s_cbranch_execz .LBB118_464
.LBB118_498:                            ;   in Loop: Header=BB118_402 Depth=2
	ds_load_u8 v2, v1 offset:1792
	s_wait_dscnt 0x0
	v_lshrrev_b32_e32 v2, s45, v2
	s_delay_alu instid0(VALU_DEP_1)
	v_and_b32_e32 v90, s31, v2
	s_wait_alu 0xfffe
	s_or_b32 exec_lo, exec_lo, s22
	s_and_saveexec_b32 s22, s17
	s_cbranch_execz .LBB118_465
.LBB118_499:                            ;   in Loop: Header=BB118_402 Depth=2
	ds_load_u8 v2, v1 offset:2048
	s_wait_dscnt 0x0
	v_lshrrev_b32_e32 v2, s45, v2
	s_delay_alu instid0(VALU_DEP_1)
	v_and_b32_e32 v89, s31, v2
	s_wait_alu 0xfffe
	s_or_b32 exec_lo, exec_lo, s22
	s_and_saveexec_b32 s22, s16
	s_cbranch_execz .LBB118_466
.LBB118_500:                            ;   in Loop: Header=BB118_402 Depth=2
	ds_load_u8 v2, v1 offset:2304
	s_wait_dscnt 0x0
	v_lshrrev_b32_e32 v2, s45, v2
	s_delay_alu instid0(VALU_DEP_1)
	v_and_b32_e32 v88, s31, v2
	s_wait_alu 0xfffe
	s_or_b32 exec_lo, exec_lo, s22
	s_and_saveexec_b32 s22, s15
	s_cbranch_execz .LBB118_467
.LBB118_501:                            ;   in Loop: Header=BB118_402 Depth=2
	ds_load_u8 v2, v1 offset:2560
	s_wait_dscnt 0x0
	v_lshrrev_b32_e32 v2, s45, v2
	s_delay_alu instid0(VALU_DEP_1)
	v_and_b32_e32 v87, s31, v2
	s_wait_alu 0xfffe
	s_or_b32 exec_lo, exec_lo, s22
	s_and_saveexec_b32 s22, vcc_lo
	s_cbranch_execnz .LBB118_468
	s_branch .LBB118_469
.LBB118_502:                            ;   in Loop: Header=BB118_402 Depth=2
	v_lshlrev_b32_e32 v2, 2, v93
	v_add_nc_u32_e32 v20, v1, v47
	ds_load_b32 v2, v2
	ds_load_b64 v[20:21], v20 offset:1024
	s_wait_dscnt 0x1
	v_add_nc_u32_e32 v2, v2, v1
	s_delay_alu instid0(VALU_DEP_1) | instskip(NEXT) | instid1(VALU_DEP_1)
	v_lshlrev_b64_e32 v[23:24], 3, v[2:3]
	v_add_co_u32 v23, s20, s24, v23
	s_wait_alu 0xf1ff
	s_delay_alu instid0(VALU_DEP_2)
	v_add_co_ci_u32_e64 v24, null, s25, v24, s20
	s_wait_dscnt 0x0
	global_store_b64 v[23:24], v[20:21], off
	s_wait_alu 0xfffe
	s_or_b32 exec_lo, exec_lo, s22
	s_and_saveexec_b32 s22, s21
	s_cbranch_execz .LBB118_471
.LBB118_503:                            ;   in Loop: Header=BB118_402 Depth=2
	v_lshlrev_b32_e32 v2, 2, v92
	v_add_nc_u32_e32 v20, v1, v47
	ds_load_b32 v2, v2
	ds_load_b64 v[20:21], v20 offset:3072
	s_wait_dscnt 0x1
	v_add_nc_u32_e32 v2, v2, v29
	s_delay_alu instid0(VALU_DEP_1) | instskip(NEXT) | instid1(VALU_DEP_1)
	v_lshlrev_b64_e32 v[23:24], 3, v[2:3]
	v_add_co_u32 v23, s20, s24, v23
	s_wait_alu 0xf1ff
	s_delay_alu instid0(VALU_DEP_2)
	v_add_co_ci_u32_e64 v24, null, s25, v24, s20
	s_wait_dscnt 0x0
	global_store_b64 v[23:24], v[20:21], off
	s_wait_alu 0xfffe
	s_or_b32 exec_lo, exec_lo, s22
	s_and_saveexec_b32 s20, s19
	s_cbranch_execz .LBB118_472
.LBB118_504:                            ;   in Loop: Header=BB118_402 Depth=2
	v_lshlrev_b32_e32 v2, 2, v91
	v_add_nc_u32_e32 v20, v1, v47
	ds_load_b32 v2, v2
	ds_load_b64 v[20:21], v20 offset:5120
	s_wait_dscnt 0x1
	v_add_nc_u32_e32 v2, v2, v30
	s_delay_alu instid0(VALU_DEP_1) | instskip(NEXT) | instid1(VALU_DEP_1)
	v_lshlrev_b64_e32 v[23:24], 3, v[2:3]
	v_add_co_u32 v23, s19, s24, v23
	s_wait_alu 0xf1ff
	s_delay_alu instid0(VALU_DEP_2)
	v_add_co_ci_u32_e64 v24, null, s25, v24, s19
	s_wait_dscnt 0x0
	global_store_b64 v[23:24], v[20:21], off
	s_wait_alu 0xfffe
	s_or_b32 exec_lo, exec_lo, s20
	s_and_saveexec_b32 s19, s18
	s_cbranch_execz .LBB118_473
.LBB118_505:                            ;   in Loop: Header=BB118_402 Depth=2
	v_lshlrev_b32_e32 v2, 2, v90
	v_add_nc_u32_e32 v20, v1, v47
	ds_load_b32 v2, v2
	ds_load_b64 v[20:21], v20 offset:7168
	s_wait_dscnt 0x1
	v_add_nc_u32_e32 v2, v2, v31
	s_delay_alu instid0(VALU_DEP_1) | instskip(NEXT) | instid1(VALU_DEP_1)
	v_lshlrev_b64_e32 v[23:24], 3, v[2:3]
	v_add_co_u32 v23, s18, s24, v23
	s_wait_alu 0xf1ff
	s_delay_alu instid0(VALU_DEP_2)
	v_add_co_ci_u32_e64 v24, null, s25, v24, s18
	s_wait_dscnt 0x0
	global_store_b64 v[23:24], v[20:21], off
	s_wait_alu 0xfffe
	s_or_b32 exec_lo, exec_lo, s19
	s_and_saveexec_b32 s18, s17
	s_cbranch_execz .LBB118_474
.LBB118_506:                            ;   in Loop: Header=BB118_402 Depth=2
	v_lshlrev_b32_e32 v2, 2, v89
	v_add_nc_u32_e32 v20, v1, v47
	ds_load_b32 v2, v2
	ds_load_b64 v[20:21], v20 offset:9216
	s_wait_dscnt 0x1
	v_add_nc_u32_e32 v2, v2, v34
	s_delay_alu instid0(VALU_DEP_1) | instskip(NEXT) | instid1(VALU_DEP_1)
	v_lshlrev_b64_e32 v[23:24], 3, v[2:3]
	v_add_co_u32 v23, s17, s24, v23
	s_wait_alu 0xf1ff
	s_delay_alu instid0(VALU_DEP_2)
	v_add_co_ci_u32_e64 v24, null, s25, v24, s17
	s_wait_dscnt 0x0
	global_store_b64 v[23:24], v[20:21], off
	s_wait_alu 0xfffe
	s_or_b32 exec_lo, exec_lo, s18
	s_and_saveexec_b32 s17, s16
	s_cbranch_execz .LBB118_475
.LBB118_507:                            ;   in Loop: Header=BB118_402 Depth=2
	v_lshlrev_b32_e32 v2, 2, v88
	v_add_nc_u32_e32 v20, v1, v47
	ds_load_b32 v2, v2
	ds_load_b64 v[20:21], v20 offset:11264
	s_wait_dscnt 0x1
	v_add_nc_u32_e32 v2, v2, v35
	s_delay_alu instid0(VALU_DEP_1) | instskip(NEXT) | instid1(VALU_DEP_1)
	v_lshlrev_b64_e32 v[23:24], 3, v[2:3]
	v_add_co_u32 v23, s16, s24, v23
	s_wait_alu 0xf1ff
	s_delay_alu instid0(VALU_DEP_2)
	v_add_co_ci_u32_e64 v24, null, s25, v24, s16
	s_wait_dscnt 0x0
	global_store_b64 v[23:24], v[20:21], off
	s_wait_alu 0xfffe
	s_or_b32 exec_lo, exec_lo, s17
	s_and_saveexec_b32 s16, s15
	s_cbranch_execz .LBB118_476
.LBB118_508:                            ;   in Loop: Header=BB118_402 Depth=2
	v_lshlrev_b32_e32 v2, 2, v87
	v_add_nc_u32_e32 v20, v1, v47
	ds_load_b32 v2, v2
	ds_load_b64 v[20:21], v20 offset:13312
	s_wait_dscnt 0x1
	v_add_nc_u32_e32 v2, v2, v36
	s_delay_alu instid0(VALU_DEP_1) | instskip(NEXT) | instid1(VALU_DEP_1)
	v_lshlrev_b64_e32 v[23:24], 3, v[2:3]
	v_add_co_u32 v23, s15, s24, v23
	s_wait_alu 0xf1ff
	s_delay_alu instid0(VALU_DEP_2)
	v_add_co_ci_u32_e64 v24, null, s25, v24, s15
	s_wait_dscnt 0x0
	global_store_b64 v[23:24], v[20:21], off
	s_wait_alu 0xfffe
	s_or_b32 exec_lo, exec_lo, s16
	s_and_saveexec_b32 s15, vcc_lo
	s_cbranch_execnz .LBB118_477
	s_branch .LBB118_478
.LBB118_509:                            ;   in Loop: Header=BB118_402 Depth=2
	global_load_u8 v96, v[20:21], off offset:32
	s_wait_alu 0xfffe
	s_or_b32 exec_lo, exec_lo, s15
	s_delay_alu instid0(SALU_CYCLE_1)
	s_mov_b32 s15, exec_lo
	v_cmpx_gt_u32_e64 s42, v72
	s_cbranch_execz .LBB118_409
.LBB118_510:                            ;   in Loop: Header=BB118_402 Depth=2
	global_load_u8 v27, v[20:21], off offset:64
	s_wait_alu 0xfffe
	s_or_b32 exec_lo, exec_lo, s15
	s_delay_alu instid0(SALU_CYCLE_1)
	s_mov_b32 s15, exec_lo
	v_cmpx_gt_u32_e64 s42, v73
	s_cbranch_execz .LBB118_410
.LBB118_511:                            ;   in Loop: Header=BB118_402 Depth=2
	global_load_u8 v26, v[20:21], off offset:96
	s_wait_alu 0xfffe
	s_or_b32 exec_lo, exec_lo, s15
	s_delay_alu instid0(SALU_CYCLE_1)
	s_mov_b32 s15, exec_lo
	v_cmpx_gt_u32_e64 s42, v74
	s_cbranch_execz .LBB118_411
.LBB118_512:                            ;   in Loop: Header=BB118_402 Depth=2
	global_load_u8 v25, v[20:21], off offset:128
	s_wait_alu 0xfffe
	s_or_b32 exec_lo, exec_lo, s15
	s_delay_alu instid0(SALU_CYCLE_1)
	s_mov_b32 s15, exec_lo
	v_cmpx_gt_u32_e64 s42, v75
	s_cbranch_execz .LBB118_412
.LBB118_513:                            ;   in Loop: Header=BB118_402 Depth=2
	global_load_u8 v24, v[20:21], off offset:160
	s_wait_alu 0xfffe
	s_or_b32 exec_lo, exec_lo, s15
	s_delay_alu instid0(SALU_CYCLE_1)
	s_mov_b32 s15, exec_lo
	v_cmpx_gt_u32_e64 s42, v76
	s_cbranch_execnz .LBB118_413
	s_branch .LBB118_414
.LBB118_514:                            ;   in Loop: Header=BB118_20 Depth=1
	s_wait_loadcnt_dscnt 0x0
	s_barrier_signal -1
	s_mov_b32 s0, 0
	s_barrier_wait -1
.LBB118_515:                            ;   in Loop: Header=BB118_20 Depth=1
	s_wait_alu 0xfffe
	s_and_b32 vcc_lo, exec_lo, s0
	s_wait_alu 0xfffe
	s_cbranch_vccz .LBB118_19
; %bb.516:                              ;   in Loop: Header=BB118_20 Depth=1
	v_dual_mov_b32 v7, 0 :: v_dual_mov_b32 v10, 0
	v_dual_mov_b32 v9, 0 :: v_dual_mov_b32 v8, 0
	v_dual_mov_b32 v6, 0 :: v_dual_mov_b32 v5, 0
	v_mov_b32_e32 v4, 0
	v_mov_b32_e32 v2, 0
	s_mov_b32 s9, s47
	s_mov_b32 s22, s33
	s_barrier_signal -1
	s_barrier_wait -1
	global_inv scope:SCOPE_SE
	s_branch .LBB118_518
.LBB118_517:                            ;   in Loop: Header=BB118_518 Depth=2
	s_wait_alu 0xfffe
	s_or_b32 exec_lo, exec_lo, s0
	s_addk_co_i32 s9, 0xf800
	s_cmp_ge_u32 s10, s34
	s_mov_b32 s22, s10
	s_cbranch_scc1 .LBB118_554
.LBB118_518:                            ;   Parent Loop BB118_20 Depth=1
                                        ; =>  This Inner Loop Header: Depth=2
	s_wait_alu 0xfffe
	s_add_co_i32 s10, s22, 0x800
	s_mov_b32 s0, -1
	s_wait_alu 0xfffe
	s_cmp_gt_u32 s10, s34
                                        ; implicit-def: $vgpr11
                                        ; implicit-def: $vgpr12
                                        ; implicit-def: $vgpr13
                                        ; implicit-def: $vgpr14
                                        ; implicit-def: $vgpr15
                                        ; implicit-def: $vgpr16
                                        ; implicit-def: $vgpr17
                                        ; implicit-def: $vgpr18
	s_cbranch_scc1 .LBB118_520
; %bb.519:                              ;   in Loop: Header=BB118_518 Depth=2
	v_add_co_u32 v19, vcc_lo, v54, s22
	s_wait_alu 0xfffd
	v_add_co_ci_u32_e64 v20, null, 0, v55, vcc_lo
	s_mov_b32 s0, 0
	s_clause 0x7
	global_load_u8 v18, v[19:20], off offset:1792
	global_load_u8 v17, v[19:20], off offset:1536
	global_load_u8 v16, v[19:20], off offset:1280
	global_load_u8 v15, v[19:20], off offset:1024
	global_load_u8 v14, v[19:20], off offset:768
	global_load_u8 v13, v[19:20], off offset:512
	global_load_u8 v12, v[19:20], off offset:256
	global_load_u8 v11, v[19:20], off
.LBB118_520:                            ;   in Loop: Header=BB118_518 Depth=2
	s_wait_alu 0xfffe
	s_and_not1_b32 vcc_lo, exec_lo, s0
	s_movk_i32 s0, 0x800
	s_wait_alu 0xfffe
	s_cbranch_vccnz .LBB118_531
; %bb.521:                              ;   in Loop: Header=BB118_518 Depth=2
	s_add_nc_u64 s[0:1], s[36:37], s[22:23]
	s_mov_b32 s11, exec_lo
	v_cmpx_gt_u32_e64 s9, v1
	s_cbranch_execnz .LBB118_547
; %bb.522:                              ;   in Loop: Header=BB118_518 Depth=2
	s_wait_alu 0xfffe
	s_or_b32 exec_lo, exec_lo, s11
	s_delay_alu instid0(SALU_CYCLE_1)
	s_mov_b32 s11, exec_lo
	v_cmpx_gt_u32_e64 s9, v29
	s_cbranch_execnz .LBB118_548
.LBB118_523:                            ;   in Loop: Header=BB118_518 Depth=2
	s_wait_alu 0xfffe
	s_or_b32 exec_lo, exec_lo, s11
	s_delay_alu instid0(SALU_CYCLE_1)
	s_mov_b32 s11, exec_lo
	v_cmpx_gt_u32_e64 s9, v30
	s_cbranch_execnz .LBB118_549
.LBB118_524:                            ;   in Loop: Header=BB118_518 Depth=2
	s_wait_alu 0xfffe
	s_or_b32 exec_lo, exec_lo, s11
	s_delay_alu instid0(SALU_CYCLE_1)
	s_mov_b32 s11, exec_lo
	v_cmpx_gt_u32_e64 s9, v31
	s_cbranch_execnz .LBB118_550
.LBB118_525:                            ;   in Loop: Header=BB118_518 Depth=2
	s_wait_alu 0xfffe
	s_or_b32 exec_lo, exec_lo, s11
	s_delay_alu instid0(SALU_CYCLE_1)
	s_mov_b32 s11, exec_lo
	v_cmpx_gt_u32_e64 s9, v34
	s_cbranch_execnz .LBB118_551
.LBB118_526:                            ;   in Loop: Header=BB118_518 Depth=2
	s_wait_alu 0xfffe
	s_or_b32 exec_lo, exec_lo, s11
	s_delay_alu instid0(SALU_CYCLE_1)
	s_mov_b32 s11, exec_lo
	v_cmpx_gt_u32_e64 s9, v35
	s_cbranch_execnz .LBB118_552
.LBB118_527:                            ;   in Loop: Header=BB118_518 Depth=2
	s_wait_alu 0xfffe
	s_or_b32 exec_lo, exec_lo, s11
	s_delay_alu instid0(SALU_CYCLE_1)
	s_mov_b32 s11, exec_lo
	v_cmpx_gt_u32_e64 s9, v36
	s_cbranch_execnz .LBB118_553
.LBB118_528:                            ;   in Loop: Header=BB118_518 Depth=2
	s_wait_alu 0xfffe
	s_or_b32 exec_lo, exec_lo, s11
	s_delay_alu instid0(SALU_CYCLE_1)
	s_mov_b32 s11, exec_lo
	v_cmpx_gt_u32_e64 s9, v37
	s_cbranch_execz .LBB118_530
.LBB118_529:                            ;   in Loop: Header=BB118_518 Depth=2
	s_wait_loadcnt 0x0
	v_add_co_u32 v11, s0, s0, v1
	s_wait_alu 0xf1ff
	v_add_co_ci_u32_e64 v12, null, s1, 0, s0
	global_load_u8 v2, v[11:12], off offset:1792
.LBB118_530:                            ;   in Loop: Header=BB118_518 Depth=2
	s_wait_alu 0xfffe
	s_or_b32 exec_lo, exec_lo, s11
	s_wait_loadcnt 0x0
	v_dual_mov_b32 v11, v7 :: v_dual_mov_b32 v12, v10
	v_dual_mov_b32 v13, v9 :: v_dual_mov_b32 v14, v8
	;; [unrolled: 1-line block ×4, first 2 shown]
	s_mov_b32 s0, s9
.LBB118_531:                            ;   in Loop: Header=BB118_518 Depth=2
	s_wait_loadcnt 0x5
	s_delay_alu instid0(VALU_DEP_1)
	v_dual_mov_b32 v2, v18 :: v_dual_mov_b32 v5, v16
	s_wait_loadcnt 0x2
	v_dual_mov_b32 v4, v17 :: v_dual_mov_b32 v9, v13
	s_wait_loadcnt 0x0
	v_dual_mov_b32 v6, v15 :: v_dual_mov_b32 v7, v11
	v_mov_b32_e32 v8, v14
	v_mov_b32_e32 v10, v12
	s_mov_b32 s1, exec_lo
	s_wait_alu 0xfffe
	v_cmpx_gt_u32_e64 s0, v1
	s_cbranch_execnz .LBB118_539
; %bb.532:                              ;   in Loop: Header=BB118_518 Depth=2
	s_or_b32 exec_lo, exec_lo, s1
	s_delay_alu instid0(SALU_CYCLE_1)
	s_mov_b32 s1, exec_lo
	v_cmpx_gt_u32_e64 s0, v29
	s_cbranch_execnz .LBB118_540
.LBB118_533:                            ;   in Loop: Header=BB118_518 Depth=2
	s_wait_alu 0xfffe
	s_or_b32 exec_lo, exec_lo, s1
	s_delay_alu instid0(SALU_CYCLE_1)
	s_mov_b32 s1, exec_lo
	v_cmpx_gt_u32_e64 s0, v30
	s_cbranch_execnz .LBB118_541
.LBB118_534:                            ;   in Loop: Header=BB118_518 Depth=2
	s_wait_alu 0xfffe
	s_or_b32 exec_lo, exec_lo, s1
	s_delay_alu instid0(SALU_CYCLE_1)
	s_mov_b32 s1, exec_lo
	v_cmpx_gt_u32_e64 s0, v31
	s_cbranch_execnz .LBB118_542
.LBB118_535:                            ;   in Loop: Header=BB118_518 Depth=2
	s_wait_alu 0xfffe
	s_or_b32 exec_lo, exec_lo, s1
	s_delay_alu instid0(SALU_CYCLE_1)
	s_mov_b32 s1, exec_lo
	v_cmpx_gt_u32_e64 s0, v34
	s_cbranch_execnz .LBB118_543
.LBB118_536:                            ;   in Loop: Header=BB118_518 Depth=2
	s_wait_alu 0xfffe
	s_or_b32 exec_lo, exec_lo, s1
	s_delay_alu instid0(SALU_CYCLE_1)
	s_mov_b32 s1, exec_lo
	v_cmpx_gt_u32_e64 s0, v35
	s_cbranch_execnz .LBB118_544
.LBB118_537:                            ;   in Loop: Header=BB118_518 Depth=2
	s_wait_alu 0xfffe
	s_or_b32 exec_lo, exec_lo, s1
	s_delay_alu instid0(SALU_CYCLE_1)
	s_mov_b32 s1, exec_lo
	v_cmpx_gt_u32_e64 s0, v36
	s_cbranch_execnz .LBB118_545
.LBB118_538:                            ;   in Loop: Header=BB118_518 Depth=2
	s_wait_alu 0xfffe
	s_or_b32 exec_lo, exec_lo, s1
	v_cmp_gt_u32_e32 vcc_lo, s0, v37
	s_and_saveexec_b32 s0, vcc_lo
	s_cbranch_execz .LBB118_517
	s_branch .LBB118_546
.LBB118_539:                            ;   in Loop: Header=BB118_518 Depth=2
	v_xor_b32_e32 v11, -1, v7
	s_delay_alu instid0(VALU_DEP_1) | instskip(NEXT) | instid1(VALU_DEP_1)
	v_and_b32_e32 v11, 0xff, v11
	v_lshrrev_b32_e32 v11, s45, v11
	s_delay_alu instid0(VALU_DEP_1) | instskip(NEXT) | instid1(VALU_DEP_1)
	v_and_b32_e32 v11, s31, v11
	v_lshl_or_b32 v11, v11, 4, v39
	ds_add_u32 v11, v61
	s_or_b32 exec_lo, exec_lo, s1
	s_delay_alu instid0(SALU_CYCLE_1)
	s_mov_b32 s1, exec_lo
	v_cmpx_gt_u32_e64 s0, v29
	s_cbranch_execz .LBB118_533
.LBB118_540:                            ;   in Loop: Header=BB118_518 Depth=2
	v_xor_b32_e32 v11, -1, v10
	s_delay_alu instid0(VALU_DEP_1) | instskip(NEXT) | instid1(VALU_DEP_1)
	v_and_b32_e32 v11, 0xff, v11
	v_lshrrev_b32_e32 v11, s45, v11
	s_delay_alu instid0(VALU_DEP_1) | instskip(NEXT) | instid1(VALU_DEP_1)
	v_and_b32_e32 v11, s31, v11
	v_lshl_or_b32 v11, v11, 4, v39
	ds_add_u32 v11, v61
	s_wait_alu 0xfffe
	s_or_b32 exec_lo, exec_lo, s1
	s_delay_alu instid0(SALU_CYCLE_1)
	s_mov_b32 s1, exec_lo
	v_cmpx_gt_u32_e64 s0, v30
	s_cbranch_execz .LBB118_534
.LBB118_541:                            ;   in Loop: Header=BB118_518 Depth=2
	v_xor_b32_e32 v11, -1, v9
	s_delay_alu instid0(VALU_DEP_1) | instskip(NEXT) | instid1(VALU_DEP_1)
	v_and_b32_e32 v11, 0xff, v11
	v_lshrrev_b32_e32 v11, s45, v11
	s_delay_alu instid0(VALU_DEP_1) | instskip(NEXT) | instid1(VALU_DEP_1)
	v_and_b32_e32 v11, s31, v11
	v_lshl_or_b32 v11, v11, 4, v39
	ds_add_u32 v11, v61
	s_wait_alu 0xfffe
	s_or_b32 exec_lo, exec_lo, s1
	s_delay_alu instid0(SALU_CYCLE_1)
	s_mov_b32 s1, exec_lo
	v_cmpx_gt_u32_e64 s0, v31
	s_cbranch_execz .LBB118_535
.LBB118_542:                            ;   in Loop: Header=BB118_518 Depth=2
	v_xor_b32_e32 v11, -1, v8
	s_delay_alu instid0(VALU_DEP_1) | instskip(NEXT) | instid1(VALU_DEP_1)
	v_and_b32_e32 v11, 0xff, v11
	v_lshrrev_b32_e32 v11, s45, v11
	s_delay_alu instid0(VALU_DEP_1) | instskip(NEXT) | instid1(VALU_DEP_1)
	v_and_b32_e32 v11, s31, v11
	v_lshl_or_b32 v11, v11, 4, v39
	ds_add_u32 v11, v61
	s_wait_alu 0xfffe
	s_or_b32 exec_lo, exec_lo, s1
	s_delay_alu instid0(SALU_CYCLE_1)
	s_mov_b32 s1, exec_lo
	v_cmpx_gt_u32_e64 s0, v34
	s_cbranch_execz .LBB118_536
.LBB118_543:                            ;   in Loop: Header=BB118_518 Depth=2
	v_xor_b32_e32 v11, -1, v6
	s_delay_alu instid0(VALU_DEP_1) | instskip(NEXT) | instid1(VALU_DEP_1)
	v_and_b32_e32 v11, 0xff, v11
	v_lshrrev_b32_e32 v11, s45, v11
	s_delay_alu instid0(VALU_DEP_1) | instskip(NEXT) | instid1(VALU_DEP_1)
	v_and_b32_e32 v11, s31, v11
	v_lshl_or_b32 v11, v11, 4, v39
	ds_add_u32 v11, v61
	s_wait_alu 0xfffe
	s_or_b32 exec_lo, exec_lo, s1
	s_delay_alu instid0(SALU_CYCLE_1)
	s_mov_b32 s1, exec_lo
	v_cmpx_gt_u32_e64 s0, v35
	s_cbranch_execz .LBB118_537
.LBB118_544:                            ;   in Loop: Header=BB118_518 Depth=2
	v_xor_b32_e32 v11, -1, v5
	s_delay_alu instid0(VALU_DEP_1) | instskip(NEXT) | instid1(VALU_DEP_1)
	v_and_b32_e32 v11, 0xff, v11
	v_lshrrev_b32_e32 v11, s45, v11
	s_delay_alu instid0(VALU_DEP_1) | instskip(NEXT) | instid1(VALU_DEP_1)
	v_and_b32_e32 v11, s31, v11
	v_lshl_or_b32 v11, v11, 4, v39
	ds_add_u32 v11, v61
	s_wait_alu 0xfffe
	s_or_b32 exec_lo, exec_lo, s1
	s_delay_alu instid0(SALU_CYCLE_1)
	s_mov_b32 s1, exec_lo
	v_cmpx_gt_u32_e64 s0, v36
	s_cbranch_execz .LBB118_538
.LBB118_545:                            ;   in Loop: Header=BB118_518 Depth=2
	v_xor_b32_e32 v11, -1, v4
	s_delay_alu instid0(VALU_DEP_1) | instskip(NEXT) | instid1(VALU_DEP_1)
	v_and_b32_e32 v11, 0xff, v11
	v_lshrrev_b32_e32 v11, s45, v11
	s_delay_alu instid0(VALU_DEP_1) | instskip(NEXT) | instid1(VALU_DEP_1)
	v_and_b32_e32 v11, s31, v11
	v_lshl_or_b32 v11, v11, 4, v39
	ds_add_u32 v11, v61
	s_wait_alu 0xfffe
	s_or_b32 exec_lo, exec_lo, s1
	v_cmp_gt_u32_e32 vcc_lo, s0, v37
	s_and_saveexec_b32 s0, vcc_lo
	s_cbranch_execz .LBB118_517
.LBB118_546:                            ;   in Loop: Header=BB118_518 Depth=2
	v_xor_b32_e32 v11, -1, v2
	s_delay_alu instid0(VALU_DEP_1) | instskip(NEXT) | instid1(VALU_DEP_1)
	v_and_b32_e32 v11, 0xff, v11
	v_lshrrev_b32_e32 v11, s45, v11
	s_delay_alu instid0(VALU_DEP_1) | instskip(NEXT) | instid1(VALU_DEP_1)
	v_and_b32_e32 v11, s31, v11
	v_lshl_or_b32 v11, v11, 4, v39
	ds_add_u32 v11, v61
	s_branch .LBB118_517
.LBB118_547:                            ;   in Loop: Header=BB118_518 Depth=2
	s_wait_loadcnt 0x0
	s_wait_alu 0xfffe
	v_add_co_u32 v11, s12, s0, v1
	s_wait_alu 0xf1ff
	v_add_co_ci_u32_e64 v12, null, s1, 0, s12
	global_load_u8 v7, v[11:12], off
	s_or_b32 exec_lo, exec_lo, s11
	s_delay_alu instid0(SALU_CYCLE_1)
	s_mov_b32 s11, exec_lo
	v_cmpx_gt_u32_e64 s9, v29
	s_cbranch_execz .LBB118_523
.LBB118_548:                            ;   in Loop: Header=BB118_518 Depth=2
	v_add_co_u32 v10, s12, s0, v1
	s_wait_loadcnt 0x0
	s_wait_alu 0xf1ff
	v_add_co_ci_u32_e64 v11, null, s1, 0, s12
	global_load_u8 v10, v[10:11], off offset:256
	s_wait_alu 0xfffe
	s_or_b32 exec_lo, exec_lo, s11
	s_delay_alu instid0(SALU_CYCLE_1)
	s_mov_b32 s11, exec_lo
	v_cmpx_gt_u32_e64 s9, v30
	s_cbranch_execz .LBB118_524
.LBB118_549:                            ;   in Loop: Header=BB118_518 Depth=2
	s_wait_loadcnt 0x0
	v_add_co_u32 v11, s12, s0, v1
	s_wait_alu 0xf1ff
	v_add_co_ci_u32_e64 v12, null, s1, 0, s12
	global_load_u8 v9, v[11:12], off offset:512
	s_wait_alu 0xfffe
	s_or_b32 exec_lo, exec_lo, s11
	s_delay_alu instid0(SALU_CYCLE_1)
	s_mov_b32 s11, exec_lo
	v_cmpx_gt_u32_e64 s9, v31
	s_cbranch_execz .LBB118_525
.LBB118_550:                            ;   in Loop: Header=BB118_518 Depth=2
	s_wait_loadcnt 0x0
	v_add_co_u32 v11, s12, s0, v1
	s_wait_alu 0xf1ff
	v_add_co_ci_u32_e64 v12, null, s1, 0, s12
	global_load_u8 v8, v[11:12], off offset:768
	s_wait_alu 0xfffe
	s_or_b32 exec_lo, exec_lo, s11
	s_delay_alu instid0(SALU_CYCLE_1)
	s_mov_b32 s11, exec_lo
	v_cmpx_gt_u32_e64 s9, v34
	s_cbranch_execz .LBB118_526
.LBB118_551:                            ;   in Loop: Header=BB118_518 Depth=2
	s_wait_loadcnt 0x0
	v_add_co_u32 v11, s12, s0, v1
	s_wait_alu 0xf1ff
	v_add_co_ci_u32_e64 v12, null, s1, 0, s12
	global_load_u8 v6, v[11:12], off offset:1024
	s_wait_alu 0xfffe
	s_or_b32 exec_lo, exec_lo, s11
	s_delay_alu instid0(SALU_CYCLE_1)
	s_mov_b32 s11, exec_lo
	v_cmpx_gt_u32_e64 s9, v35
	s_cbranch_execz .LBB118_527
.LBB118_552:                            ;   in Loop: Header=BB118_518 Depth=2
	s_wait_loadcnt 0x0
	v_add_co_u32 v11, s12, s0, v1
	s_wait_alu 0xf1ff
	v_add_co_ci_u32_e64 v12, null, s1, 0, s12
	global_load_u8 v5, v[11:12], off offset:1280
	s_wait_alu 0xfffe
	s_or_b32 exec_lo, exec_lo, s11
	s_delay_alu instid0(SALU_CYCLE_1)
	s_mov_b32 s11, exec_lo
	v_cmpx_gt_u32_e64 s9, v36
	s_cbranch_execz .LBB118_528
.LBB118_553:                            ;   in Loop: Header=BB118_518 Depth=2
	s_wait_loadcnt 0x0
	v_add_co_u32 v11, s12, s0, v1
	s_wait_alu 0xf1ff
	v_add_co_ci_u32_e64 v12, null, s1, 0, s12
	global_load_u8 v4, v[11:12], off offset:1536
	s_wait_alu 0xfffe
	s_or_b32 exec_lo, exec_lo, s11
	s_delay_alu instid0(SALU_CYCLE_1)
	s_mov_b32 s11, exec_lo
	v_cmpx_gt_u32_e64 s9, v37
	s_cbranch_execnz .LBB118_529
	s_branch .LBB118_530
.LBB118_554:                            ;   in Loop: Header=BB118_20 Depth=1
	v_mov_b32_e32 v2, 0
	s_wait_dscnt 0x0
	s_barrier_signal -1
	s_barrier_wait -1
	global_inv scope:SCOPE_SE
	s_and_saveexec_b32 s0, s2
	s_cbranch_execz .LBB118_556
; %bb.555:                              ;   in Loop: Header=BB118_20 Depth=1
	ds_load_2addr_b64 v[4:7], v40 offset1:1
	s_wait_dscnt 0x0
	v_add_nc_u32_e32 v2, v5, v4
	s_delay_alu instid0(VALU_DEP_1)
	v_add3_u32 v2, v2, v6, v7
.LBB118_556:                            ;   in Loop: Header=BB118_20 Depth=1
	s_wait_alu 0xfffe
	s_or_b32 exec_lo, exec_lo, s0
	s_delay_alu instid0(VALU_DEP_1)
	v_mov_b32_dpp v4, v2 row_shr:1 row_mask:0xf bank_mask:0xf
	v_cmp_eq_u32_e64 s0, 0, v62
	v_cmp_lt_u32_e64 s1, 1, v62
	v_cmp_lt_u32_e64 s9, 3, v62
	;; [unrolled: 1-line block ×3, first 2 shown]
	v_cmp_eq_u32_e64 s11, 0, v64
	s_wait_alu 0xf1ff
	v_cndmask_b32_e64 v4, v4, 0, s0
	s_delay_alu instid0(VALU_DEP_1) | instskip(NEXT) | instid1(VALU_DEP_1)
	v_add_nc_u32_e32 v2, v4, v2
	v_mov_b32_dpp v4, v2 row_shr:2 row_mask:0xf bank_mask:0xf
	s_delay_alu instid0(VALU_DEP_1) | instskip(NEXT) | instid1(VALU_DEP_1)
	v_cndmask_b32_e64 v4, 0, v4, s1
	v_add_nc_u32_e32 v2, v2, v4
	s_delay_alu instid0(VALU_DEP_1) | instskip(NEXT) | instid1(VALU_DEP_1)
	v_mov_b32_dpp v4, v2 row_shr:4 row_mask:0xf bank_mask:0xf
	v_cndmask_b32_e64 v4, 0, v4, s9
	s_delay_alu instid0(VALU_DEP_1) | instskip(NEXT) | instid1(VALU_DEP_1)
	v_add_nc_u32_e32 v2, v2, v4
	v_mov_b32_dpp v4, v2 row_shr:8 row_mask:0xf bank_mask:0xf
	s_delay_alu instid0(VALU_DEP_1) | instskip(NEXT) | instid1(VALU_DEP_1)
	v_cndmask_b32_e64 v4, 0, v4, s10
	v_add_nc_u32_e32 v2, v2, v4
	ds_swizzle_b32 v4, v2 offset:swizzle(BROADCAST,32,15)
	s_wait_dscnt 0x0
	v_and_b32_e32 v4, v63, v4
	s_delay_alu instid0(VALU_DEP_1)
	v_add_nc_u32_e32 v2, v2, v4
	s_and_saveexec_b32 s12, s3
; %bb.557:                              ;   in Loop: Header=BB118_20 Depth=1
	ds_store_b32 v41, v2
; %bb.558:                              ;   in Loop: Header=BB118_20 Depth=1
	s_wait_alu 0xfffe
	s_or_b32 exec_lo, exec_lo, s12
	s_wait_loadcnt_dscnt 0x0
	s_barrier_signal -1
	s_barrier_wait -1
	global_inv scope:SCOPE_SE
	s_and_saveexec_b32 s12, s4
	s_cbranch_execz .LBB118_560
; %bb.559:                              ;   in Loop: Header=BB118_20 Depth=1
	ds_load_b32 v4, v42
	v_cmp_ne_u32_e32 vcc_lo, 0, v65
	s_wait_dscnt 0x0
	v_mov_b32_dpp v5, v4 row_shr:1 row_mask:0xf bank_mask:0xf
	s_wait_alu 0xfffd
	s_delay_alu instid0(VALU_DEP_1) | instskip(SKIP_1) | instid1(VALU_DEP_2)
	v_cndmask_b32_e32 v5, 0, v5, vcc_lo
	v_cmp_lt_u32_e32 vcc_lo, 1, v65
	v_add_nc_u32_e32 v4, v5, v4
	s_delay_alu instid0(VALU_DEP_1) | instskip(SKIP_1) | instid1(VALU_DEP_1)
	v_mov_b32_dpp v5, v4 row_shr:2 row_mask:0xf bank_mask:0xf
	s_wait_alu 0xfffd
	v_cndmask_b32_e32 v5, 0, v5, vcc_lo
	v_cmp_lt_u32_e32 vcc_lo, 3, v65
	s_delay_alu instid0(VALU_DEP_2) | instskip(NEXT) | instid1(VALU_DEP_1)
	v_add_nc_u32_e32 v4, v4, v5
	v_mov_b32_dpp v5, v4 row_shr:4 row_mask:0xf bank_mask:0xf
	s_wait_alu 0xfffd
	s_delay_alu instid0(VALU_DEP_1) | instskip(NEXT) | instid1(VALU_DEP_1)
	v_cndmask_b32_e32 v5, 0, v5, vcc_lo
	v_add_nc_u32_e32 v4, v4, v5
	ds_store_b32 v42, v4
.LBB118_560:                            ;   in Loop: Header=BB118_20 Depth=1
	s_wait_alu 0xfffe
	s_or_b32 exec_lo, exec_lo, s12
	v_mov_b32_e32 v4, 0
	s_wait_loadcnt_dscnt 0x0
	s_barrier_signal -1
	s_barrier_wait -1
	global_inv scope:SCOPE_SE
	s_and_saveexec_b32 s12, s5
; %bb.561:                              ;   in Loop: Header=BB118_20 Depth=1
	ds_load_b32 v4, v43
; %bb.562:                              ;   in Loop: Header=BB118_20 Depth=1
	s_wait_alu 0xfffe
	s_or_b32 exec_lo, exec_lo, s12
	v_cmp_gt_i32_e32 vcc_lo, 0, v67
	s_wait_dscnt 0x0
	v_add_nc_u32_e32 v2, v4, v2
	s_wait_loadcnt 0x0
	s_barrier_signal -1
	s_barrier_wait -1
	s_wait_alu 0xfffd
	v_cndmask_b32_e32 v5, v67, v58, vcc_lo
	global_inv scope:SCOPE_SE
	v_lshlrev_b32_e32 v80, 2, v5
	ds_bpermute_b32 v2, v80, v2
	s_and_saveexec_b32 s12, s2
	s_cbranch_execz .LBB118_564
; %bb.563:                              ;   in Loop: Header=BB118_20 Depth=1
	s_wait_dscnt 0x0
	v_cndmask_b32_e64 v2, v2, v4, s8
	s_delay_alu instid0(VALU_DEP_1)
	v_add_nc_u32_e32 v2, s33, v2
	ds_store_b32 v28, v2
.LBB118_564:                            ;   in Loop: Header=BB118_20 Depth=1
	s_wait_alu 0xfffe
	s_or_b32 exec_lo, exec_lo, s12
	s_load_b64 s[12:13], s[28:29], 0x0
	v_add_co_u32 v81, vcc_lo, v56, v66
	s_wait_alu 0xfffd
	v_add_co_ci_u32_e64 v82, null, 0, v57, vcc_lo
	v_add_co_u32 v83, vcc_lo, v59, v58
	s_wait_alu 0xfffd
	v_add_co_ci_u32_e64 v84, null, 0, v60, vcc_lo
	s_mov_b32 s42, s47
                                        ; implicit-def: $vgpr6_vgpr7
                                        ; implicit-def: $vgpr8_vgpr9
                                        ; implicit-def: $vgpr10_vgpr11
                                        ; implicit-def: $vgpr12_vgpr13
                                        ; implicit-def: $vgpr14_vgpr15
                                        ; implicit-def: $vgpr16_vgpr17
                                        ; implicit-def: $vgpr18_vgpr19
                                        ; implicit-def: $vgpr86
                                        ; implicit-def: $vgpr87
                                        ; implicit-def: $vgpr88
                                        ; implicit-def: $vgpr89
                                        ; implicit-def: $vgpr90
                                        ; implicit-def: $vgpr91
                                        ; implicit-def: $vgpr92
                                        ; implicit-def: $vgpr93
	s_wait_kmcnt 0x0
	s_cmp_lt_u32 ttmp7, s13
	s_cselect_b32 s22, 14, 20
	s_cmp_lt_u32 ttmp9, s12
	s_wait_alu 0xfffe
	s_add_nc_u64 s[14:15], s[28:29], s[22:23]
	s_cselect_b32 s22, 12, 18
	s_load_u16 s14, s[14:15], 0x0
	s_add_nc_u64 s[12:13], s[28:29], s[22:23]
	s_mov_b32 s22, s33
	s_load_u16 s12, s[12:13], 0x0
	v_cmp_lt_u32_e64 s13, 1, v65
	s_wait_dscnt 0x0
	s_wait_kmcnt 0x0
	v_mad_u32_u24 v2, v44, s14, v0
	v_cmp_lt_u32_e64 s14, 3, v65
	s_delay_alu instid0(VALU_DEP_2) | instskip(SKIP_1) | instid1(VALU_DEP_2)
	v_mad_co_u64_u32 v[4:5], null, v2, s12, v[1:2]
	v_cmp_eq_u32_e64 s12, 0, v65
	v_lshrrev_b32_e32 v2, 3, v4
                                        ; implicit-def: $vgpr4_vgpr5
	s_delay_alu instid0(VALU_DEP_1)
	v_and_b32_e32 v85, 0x1ffffffc, v2
	s_branch .LBB118_566
.LBB118_565:                            ;   in Loop: Header=BB118_566 Depth=2
	s_wait_alu 0xfffe
	s_or_b32 exec_lo, exec_lo, s15
	s_addk_co_i32 s42, 0xf800
	s_cmp_lt_u32 s43, s34
	s_mov_b32 s22, s43
	s_cbranch_scc0 .LBB118_18
.LBB118_566:                            ;   Parent Loop BB118_20 Depth=1
                                        ; =>  This Inner Loop Header: Depth=2
	s_wait_alu 0xfffe
	s_add_co_i32 s43, s22, 0x800
	s_wait_alu 0xfffe
	s_cmp_gt_u32 s43, s34
	s_cbranch_scc1 .LBB118_568
; %bb.567:                              ;   in Loop: Header=BB118_566 Depth=2
	v_add_co_u32 v20, vcc_lo, v83, s22
	s_wait_alu 0xfffd
	v_add_co_ci_u32_e64 v21, null, 0, v84, vcc_lo
	s_mov_b32 s15, -1
	s_clause 0x6
	global_load_u8 v23, v[20:21], off offset:192
	global_load_u8 v24, v[20:21], off offset:160
	;; [unrolled: 1-line block ×6, first 2 shown]
	global_load_u8 v94, v[20:21], off
	s_movk_i32 s16, 0x800
                                        ; implicit-def: $vgpr22
	s_cbranch_execz .LBB118_569
	s_branch .LBB118_579
.LBB118_568:                            ;   in Loop: Header=BB118_566 Depth=2
	s_mov_b32 s15, 0
                                        ; implicit-def: $vgpr94
                                        ; implicit-def: $vgpr96
                                        ; implicit-def: $vgpr27
                                        ; implicit-def: $vgpr26
                                        ; implicit-def: $vgpr25
                                        ; implicit-def: $vgpr24
                                        ; implicit-def: $vgpr23
	s_movk_i32 s16, 0x800
                                        ; implicit-def: $vgpr22
.LBB118_569:                            ;   in Loop: Header=BB118_566 Depth=2
	v_add_co_u32 v20, vcc_lo, v83, s22
	s_wait_alu 0xfffd
	v_add_co_ci_u32_e64 v21, null, 0, v84, vcc_lo
	s_wait_loadcnt 0x0
	v_dual_mov_b32 v27, 0 :: v_dual_mov_b32 v94, 0
	v_dual_mov_b32 v26, 0 :: v_dual_mov_b32 v25, 0
	;; [unrolled: 1-line block ×3, first 2 shown]
	v_mov_b32_e32 v22, 0
	s_mov_b32 s15, exec_lo
	v_cmpx_gt_u32_e64 s42, v68
	s_cbranch_execz .LBB118_571
; %bb.570:                              ;   in Loop: Header=BB118_566 Depth=2
	global_load_u8 v94, v[20:21], off
	v_dual_mov_b32 v26, 0 :: v_dual_mov_b32 v25, 0
	v_dual_mov_b32 v24, 0 :: v_dual_mov_b32 v23, 0
	v_mov_b32_e32 v22, 0
.LBB118_571:                            ;   in Loop: Header=BB118_566 Depth=2
	s_wait_alu 0xfffe
	s_or_b32 exec_lo, exec_lo, s15
	v_mov_b32_e32 v96, v27
	s_mov_b32 s15, exec_lo
	v_cmpx_gt_u32_e64 s42, v71
	s_cbranch_execnz .LBB118_673
; %bb.572:                              ;   in Loop: Header=BB118_566 Depth=2
	s_wait_alu 0xfffe
	s_or_b32 exec_lo, exec_lo, s15
	s_delay_alu instid0(SALU_CYCLE_1)
	s_mov_b32 s15, exec_lo
	v_cmpx_gt_u32_e64 s42, v72
	s_cbranch_execnz .LBB118_674
.LBB118_573:                            ;   in Loop: Header=BB118_566 Depth=2
	s_wait_alu 0xfffe
	s_or_b32 exec_lo, exec_lo, s15
	s_delay_alu instid0(SALU_CYCLE_1)
	s_mov_b32 s15, exec_lo
	v_cmpx_gt_u32_e64 s42, v73
	s_cbranch_execnz .LBB118_675
.LBB118_574:                            ;   in Loop: Header=BB118_566 Depth=2
	s_wait_alu 0xfffe
	s_or_b32 exec_lo, exec_lo, s15
	s_delay_alu instid0(SALU_CYCLE_1)
	s_mov_b32 s15, exec_lo
	v_cmpx_gt_u32_e64 s42, v74
	s_cbranch_execnz .LBB118_676
.LBB118_575:                            ;   in Loop: Header=BB118_566 Depth=2
	s_wait_alu 0xfffe
	s_or_b32 exec_lo, exec_lo, s15
	s_delay_alu instid0(SALU_CYCLE_1)
	s_mov_b32 s15, exec_lo
	v_cmpx_gt_u32_e64 s42, v75
	s_cbranch_execnz .LBB118_677
.LBB118_576:                            ;   in Loop: Header=BB118_566 Depth=2
	s_wait_alu 0xfffe
	s_or_b32 exec_lo, exec_lo, s15
	s_delay_alu instid0(SALU_CYCLE_1)
	s_mov_b32 s15, exec_lo
	v_cmpx_gt_u32_e64 s42, v76
	s_cbranch_execz .LBB118_578
.LBB118_577:                            ;   in Loop: Header=BB118_566 Depth=2
	global_load_u8 v23, v[20:21], off offset:192
.LBB118_578:                            ;   in Loop: Header=BB118_566 Depth=2
	s_wait_alu 0xfffe
	s_or_b32 exec_lo, exec_lo, s15
	v_cmp_gt_u32_e64 s15, s42, v77
	s_sub_co_i32 s16, s34, s22
.LBB118_579:                            ;   in Loop: Header=BB118_566 Depth=2
	v_mov_b32_e32 v2, s42
	s_wait_alu 0xfffe
	s_and_saveexec_b32 s17, s15
	s_cbranch_execz .LBB118_581
; %bb.580:                              ;   in Loop: Header=BB118_566 Depth=2
	v_add_co_u32 v20, vcc_lo, v83, s22
	s_wait_alu 0xfffd
	v_add_co_ci_u32_e64 v21, null, s23, v84, vcc_lo
	v_mov_b32_e32 v2, s16
	global_load_u8 v22, v[20:21], off offset:224
.LBB118_581:                            ;   in Loop: Header=BB118_566 Depth=2
	s_wait_alu 0xfffe
	s_or_b32 exec_lo, exec_lo, s17
	s_wait_loadcnt 0x0
	v_xor_b32_e32 v94, -1, v94
	s_delay_alu instid0(VALU_DEP_1) | instskip(NEXT) | instid1(VALU_DEP_1)
	v_and_b32_e32 v20, 0xff, v94
	v_lshrrev_b32_e32 v20, s45, v20
	s_delay_alu instid0(VALU_DEP_1) | instskip(NEXT) | instid1(VALU_DEP_1)
	v_and_b32_e32 v21, s31, v20
	v_and_b32_e32 v20, 1, v21
	v_lshlrev_b32_e32 v95, 30, v21
	v_lshlrev_b32_e32 v97, 29, v21
	;; [unrolled: 1-line block ×4, first 2 shown]
	v_add_co_u32 v20, s15, v20, -1
	s_wait_alu 0xf1ff
	v_cndmask_b32_e64 v99, 0, 1, s15
	v_not_b32_e32 v103, v95
	v_cmp_gt_i32_e64 s15, 0, v95
	v_not_b32_e32 v95, v97
	v_lshlrev_b32_e32 v101, 26, v21
	v_cmp_ne_u32_e32 vcc_lo, 0, v99
	v_ashrrev_i32_e32 v103, 31, v103
	v_lshlrev_b32_e32 v102, 25, v21
	v_ashrrev_i32_e32 v95, 31, v95
	v_lshlrev_b32_e32 v99, 24, v21
	s_wait_alu 0xfffd
	v_xor_b32_e32 v20, vcc_lo, v20
	v_cmp_gt_i32_e32 vcc_lo, 0, v97
	v_not_b32_e32 v97, v98
	s_wait_alu 0xf1ff
	v_xor_b32_e32 v103, s15, v103
	v_cmp_gt_i32_e64 s15, 0, v98
	v_and_b32_e32 v20, exec_lo, v20
	v_not_b32_e32 v98, v100
	v_ashrrev_i32_e32 v97, 31, v97
	s_wait_alu 0xfffd
	v_xor_b32_e32 v95, vcc_lo, v95
	v_cmp_gt_i32_e32 vcc_lo, 0, v100
	v_and_b32_e32 v20, v20, v103
	v_not_b32_e32 v100, v101
	v_ashrrev_i32_e32 v98, 31, v98
	s_wait_alu 0xf1ff
	v_xor_b32_e32 v97, s15, v97
	v_cmp_gt_i32_e64 s15, 0, v101
	v_and_b32_e32 v20, v20, v95
	v_not_b32_e32 v95, v102
	v_ashrrev_i32_e32 v100, 31, v100
	s_wait_alu 0xfffd
	v_xor_b32_e32 v98, vcc_lo, v98
	v_cmp_gt_i32_e32 vcc_lo, 0, v102
	v_and_b32_e32 v20, v20, v97
	v_not_b32_e32 v97, v99
	v_ashrrev_i32_e32 v95, 31, v95
	s_wait_alu 0xf1ff
	v_xor_b32_e32 v100, s15, v100
	v_cmp_gt_i32_e64 s15, 0, v99
	v_and_b32_e32 v20, v20, v98
	v_ashrrev_i32_e32 v97, 31, v97
	s_wait_alu 0xfffd
	v_xor_b32_e32 v95, vcc_lo, v95
	v_mul_u32_u24_e32 v21, 36, v21
	v_add_nc_u32_e32 v99, 0x428, v45
	v_and_b32_e32 v20, v20, v100
	s_wait_alu 0xf1ff
	v_xor_b32_e32 v98, s15, v97
	v_add_nc_u32_e32 v97, 0x438, v45
	v_add_nc_u32_e32 v100, 0x430, v45
	;; [unrolled: 1-line block ×3, first 2 shown]
	v_and_b32_e32 v20, v20, v95
	ds_store_2addr_b32 v97, v3, v3 offset1:1
	v_and_b32_e32 v20, v20, v98
	v_add_nc_u32_e32 v98, 0x420, v45
	ds_store_2addr_b32 v98, v3, v3 offset1:1
	ds_store_2addr_b32 v99, v3, v3 offset1:1
	;; [unrolled: 1-line block ×3, first 2 shown]
	ds_store_b32 v45, v3 offset:1088
	v_mbcnt_lo_u32_b32 v95, v20, 0
	v_cmp_ne_u32_e64 s15, 0, v20
	s_wait_dscnt 0x0
	s_barrier_signal -1
	s_barrier_wait -1
	v_cmp_eq_u32_e32 vcc_lo, 0, v95
	global_inv scope:SCOPE_SE
	; wave barrier
	s_and_b32 s16, s15, vcc_lo
	s_wait_alu 0xfffe
	s_and_saveexec_b32 s15, s16
; %bb.582:                              ;   in Loop: Header=BB118_566 Depth=2
	v_bcnt_u32_b32 v20, v20, 0
	ds_store_b32 v101, v20 offset:1056
; %bb.583:                              ;   in Loop: Header=BB118_566 Depth=2
	s_wait_alu 0xfffe
	s_or_b32 exec_lo, exec_lo, s15
	v_xor_b32_e32 v96, -1, v96
	; wave barrier
	s_delay_alu instid0(VALU_DEP_1) | instskip(NEXT) | instid1(VALU_DEP_1)
	v_and_b32_e32 v20, 0xff, v96
	v_lshrrev_b32_e32 v20, s45, v20
	s_delay_alu instid0(VALU_DEP_1) | instskip(NEXT) | instid1(VALU_DEP_1)
	v_and_b32_e32 v21, s31, v20
	v_and_b32_e32 v20, 1, v21
	v_lshlrev_b32_e32 v102, 30, v21
	v_lshlrev_b32_e32 v103, 29, v21
	;; [unrolled: 1-line block ×4, first 2 shown]
	v_add_co_u32 v20, s15, v20, -1
	s_wait_alu 0xf1ff
	v_cndmask_b32_e64 v105, 0, 1, s15
	v_not_b32_e32 v109, v102
	v_cmp_gt_i32_e64 s15, 0, v102
	v_not_b32_e32 v102, v103
	v_lshlrev_b32_e32 v107, 26, v21
	v_cmp_ne_u32_e32 vcc_lo, 0, v105
	v_ashrrev_i32_e32 v109, 31, v109
	v_lshlrev_b32_e32 v108, 25, v21
	v_ashrrev_i32_e32 v102, 31, v102
	v_lshlrev_b32_e32 v105, 24, v21
	s_wait_alu 0xfffd
	v_xor_b32_e32 v20, vcc_lo, v20
	v_cmp_gt_i32_e32 vcc_lo, 0, v103
	v_not_b32_e32 v103, v104
	s_wait_alu 0xf1ff
	v_xor_b32_e32 v109, s15, v109
	v_cmp_gt_i32_e64 s15, 0, v104
	v_and_b32_e32 v20, exec_lo, v20
	v_not_b32_e32 v104, v106
	v_ashrrev_i32_e32 v103, 31, v103
	s_wait_alu 0xfffd
	v_xor_b32_e32 v102, vcc_lo, v102
	v_cmp_gt_i32_e32 vcc_lo, 0, v106
	v_and_b32_e32 v20, v20, v109
	v_not_b32_e32 v106, v107
	v_ashrrev_i32_e32 v104, 31, v104
	s_wait_alu 0xf1ff
	v_xor_b32_e32 v103, s15, v103
	v_cmp_gt_i32_e64 s15, 0, v107
	v_and_b32_e32 v20, v20, v102
	v_not_b32_e32 v102, v108
	v_ashrrev_i32_e32 v106, 31, v106
	s_wait_alu 0xfffd
	v_xor_b32_e32 v104, vcc_lo, v104
	v_cmp_gt_i32_e32 vcc_lo, 0, v108
	v_and_b32_e32 v20, v20, v103
	v_not_b32_e32 v103, v105
	v_ashrrev_i32_e32 v102, 31, v102
	s_wait_alu 0xf1ff
	v_xor_b32_e32 v106, s15, v106
	v_cmp_gt_i32_e64 s15, 0, v105
	v_and_b32_e32 v20, v20, v104
	v_ashrrev_i32_e32 v103, 31, v103
	s_wait_alu 0xfffd
	v_xor_b32_e32 v102, vcc_lo, v102
	v_mad_u32_u24 v104, v21, 36, v85
	v_mul_u32_u24_e32 v21, 36, v21
	v_and_b32_e32 v20, v20, v106
	s_wait_alu 0xf1ff
	v_xor_b32_e32 v103, s15, v103
	s_delay_alu instid0(VALU_DEP_3) | instskip(NEXT) | instid1(VALU_DEP_3)
	v_add_nc_u32_e32 v105, v85, v21
	v_and_b32_e32 v20, v20, v102
	ds_load_b32 v102, v104 offset:1056
	; wave barrier
	v_and_b32_e32 v20, v20, v103
	s_delay_alu instid0(VALU_DEP_1) | instskip(SKIP_1) | instid1(VALU_DEP_2)
	v_mbcnt_lo_u32_b32 v103, v20, 0
	v_cmp_ne_u32_e64 s15, 0, v20
	v_cmp_eq_u32_e32 vcc_lo, 0, v103
	s_and_b32 s16, s15, vcc_lo
	s_wait_alu 0xfffe
	s_and_saveexec_b32 s15, s16
	s_cbranch_execz .LBB118_585
; %bb.584:                              ;   in Loop: Header=BB118_566 Depth=2
	s_wait_dscnt 0x0
	v_bcnt_u32_b32 v20, v20, v102
	ds_store_b32 v105, v20 offset:1056
.LBB118_585:                            ;   in Loop: Header=BB118_566 Depth=2
	s_wait_alu 0xfffe
	s_or_b32 exec_lo, exec_lo, s15
	v_xor_b32_e32 v104, -1, v27
	; wave barrier
	s_delay_alu instid0(VALU_DEP_1) | instskip(NEXT) | instid1(VALU_DEP_1)
	v_and_b32_e32 v20, 0xff, v104
	v_lshrrev_b32_e32 v20, s45, v20
	s_delay_alu instid0(VALU_DEP_1) | instskip(NEXT) | instid1(VALU_DEP_1)
	v_and_b32_e32 v21, s31, v20
	v_and_b32_e32 v20, 1, v21
	v_lshlrev_b32_e32 v27, 30, v21
	v_lshlrev_b32_e32 v106, 29, v21
	;; [unrolled: 1-line block ×4, first 2 shown]
	v_add_co_u32 v20, s15, v20, -1
	s_wait_alu 0xf1ff
	v_cndmask_b32_e64 v108, 0, 1, s15
	v_not_b32_e32 v112, v27
	v_cmp_gt_i32_e64 s15, 0, v27
	v_not_b32_e32 v27, v106
	v_lshlrev_b32_e32 v110, 26, v21
	v_cmp_ne_u32_e32 vcc_lo, 0, v108
	v_ashrrev_i32_e32 v112, 31, v112
	v_lshlrev_b32_e32 v111, 25, v21
	v_ashrrev_i32_e32 v27, 31, v27
	v_lshlrev_b32_e32 v108, 24, v21
	s_wait_alu 0xfffd
	v_xor_b32_e32 v20, vcc_lo, v20
	v_cmp_gt_i32_e32 vcc_lo, 0, v106
	v_not_b32_e32 v106, v107
	s_wait_alu 0xf1ff
	v_xor_b32_e32 v112, s15, v112
	v_cmp_gt_i32_e64 s15, 0, v107
	v_and_b32_e32 v20, exec_lo, v20
	v_not_b32_e32 v107, v109
	v_ashrrev_i32_e32 v106, 31, v106
	s_wait_alu 0xfffd
	v_xor_b32_e32 v27, vcc_lo, v27
	v_cmp_gt_i32_e32 vcc_lo, 0, v109
	v_and_b32_e32 v20, v20, v112
	v_not_b32_e32 v109, v110
	v_ashrrev_i32_e32 v107, 31, v107
	s_wait_alu 0xf1ff
	v_xor_b32_e32 v106, s15, v106
	v_cmp_gt_i32_e64 s15, 0, v110
	v_and_b32_e32 v20, v20, v27
	v_not_b32_e32 v27, v111
	v_ashrrev_i32_e32 v109, 31, v109
	s_wait_alu 0xfffd
	v_xor_b32_e32 v107, vcc_lo, v107
	v_cmp_gt_i32_e32 vcc_lo, 0, v111
	v_and_b32_e32 v20, v20, v106
	v_not_b32_e32 v106, v108
	v_ashrrev_i32_e32 v27, 31, v27
	s_wait_alu 0xf1ff
	v_xor_b32_e32 v109, s15, v109
	v_cmp_gt_i32_e64 s15, 0, v108
	v_and_b32_e32 v20, v20, v107
	v_ashrrev_i32_e32 v106, 31, v106
	s_wait_alu 0xfffd
	v_xor_b32_e32 v27, vcc_lo, v27
	v_mad_u32_u24 v107, v21, 36, v85
	v_mul_u32_u24_e32 v21, 36, v21
	v_and_b32_e32 v20, v20, v109
	s_wait_alu 0xf1ff
	v_xor_b32_e32 v108, s15, v106
	ds_load_b32 v106, v107 offset:1056
	v_add_nc_u32_e32 v109, v85, v21
	v_and_b32_e32 v20, v20, v27
	; wave barrier
	s_delay_alu instid0(VALU_DEP_1) | instskip(NEXT) | instid1(VALU_DEP_1)
	v_and_b32_e32 v20, v20, v108
	v_mbcnt_lo_u32_b32 v107, v20, 0
	v_cmp_ne_u32_e64 s15, 0, v20
	s_delay_alu instid0(VALU_DEP_2)
	v_cmp_eq_u32_e32 vcc_lo, 0, v107
	s_and_b32 s16, s15, vcc_lo
	s_wait_alu 0xfffe
	s_and_saveexec_b32 s15, s16
	s_cbranch_execz .LBB118_587
; %bb.586:                              ;   in Loop: Header=BB118_566 Depth=2
	s_wait_dscnt 0x0
	v_bcnt_u32_b32 v20, v20, v106
	ds_store_b32 v109, v20 offset:1056
.LBB118_587:                            ;   in Loop: Header=BB118_566 Depth=2
	s_wait_alu 0xfffe
	s_or_b32 exec_lo, exec_lo, s15
	v_xor_b32_e32 v108, -1, v26
	; wave barrier
	s_delay_alu instid0(VALU_DEP_1) | instskip(NEXT) | instid1(VALU_DEP_1)
	v_and_b32_e32 v20, 0xff, v108
	v_lshrrev_b32_e32 v20, s45, v20
	s_delay_alu instid0(VALU_DEP_1) | instskip(NEXT) | instid1(VALU_DEP_1)
	v_and_b32_e32 v21, s31, v20
	v_and_b32_e32 v20, 1, v21
	v_lshlrev_b32_e32 v26, 30, v21
	v_lshlrev_b32_e32 v27, 29, v21
	;; [unrolled: 1-line block ×4, first 2 shown]
	v_add_co_u32 v20, s15, v20, -1
	s_wait_alu 0xf1ff
	v_cndmask_b32_e64 v111, 0, 1, s15
	v_not_b32_e32 v115, v26
	v_cmp_gt_i32_e64 s15, 0, v26
	v_not_b32_e32 v26, v27
	v_lshlrev_b32_e32 v113, 26, v21
	v_cmp_ne_u32_e32 vcc_lo, 0, v111
	v_ashrrev_i32_e32 v115, 31, v115
	v_lshlrev_b32_e32 v114, 25, v21
	v_ashrrev_i32_e32 v26, 31, v26
	v_lshlrev_b32_e32 v111, 24, v21
	s_wait_alu 0xfffd
	v_xor_b32_e32 v20, vcc_lo, v20
	v_cmp_gt_i32_e32 vcc_lo, 0, v27
	v_not_b32_e32 v27, v110
	s_wait_alu 0xf1ff
	v_xor_b32_e32 v115, s15, v115
	v_cmp_gt_i32_e64 s15, 0, v110
	v_and_b32_e32 v20, exec_lo, v20
	v_not_b32_e32 v110, v112
	v_ashrrev_i32_e32 v27, 31, v27
	s_wait_alu 0xfffd
	v_xor_b32_e32 v26, vcc_lo, v26
	v_cmp_gt_i32_e32 vcc_lo, 0, v112
	v_and_b32_e32 v20, v20, v115
	v_not_b32_e32 v112, v113
	v_ashrrev_i32_e32 v110, 31, v110
	s_wait_alu 0xf1ff
	v_xor_b32_e32 v27, s15, v27
	v_cmp_gt_i32_e64 s15, 0, v113
	v_and_b32_e32 v20, v20, v26
	v_not_b32_e32 v26, v114
	v_ashrrev_i32_e32 v112, 31, v112
	s_wait_alu 0xfffd
	v_xor_b32_e32 v110, vcc_lo, v110
	v_cmp_gt_i32_e32 vcc_lo, 0, v114
	v_and_b32_e32 v20, v20, v27
	v_not_b32_e32 v27, v111
	v_ashrrev_i32_e32 v26, 31, v26
	s_wait_alu 0xf1ff
	v_xor_b32_e32 v112, s15, v112
	v_cmp_gt_i32_e64 s15, 0, v111
	v_and_b32_e32 v20, v20, v110
	v_ashrrev_i32_e32 v27, 31, v27
	s_wait_alu 0xfffd
	v_xor_b32_e32 v26, vcc_lo, v26
	v_mad_u32_u24 v110, v21, 36, v85
	v_mul_u32_u24_e32 v21, 36, v21
	v_and_b32_e32 v20, v20, v112
	s_wait_alu 0xf1ff
	v_xor_b32_e32 v27, s15, v27
	ds_load_b32 v110, v110 offset:1056
	v_add_nc_u32_e32 v113, v85, v21
	v_and_b32_e32 v20, v20, v26
	; wave barrier
	s_delay_alu instid0(VALU_DEP_1) | instskip(NEXT) | instid1(VALU_DEP_1)
	v_and_b32_e32 v20, v20, v27
	v_mbcnt_lo_u32_b32 v111, v20, 0
	v_cmp_ne_u32_e64 s15, 0, v20
	s_delay_alu instid0(VALU_DEP_2)
	v_cmp_eq_u32_e32 vcc_lo, 0, v111
	s_and_b32 s16, s15, vcc_lo
	s_wait_alu 0xfffe
	s_and_saveexec_b32 s15, s16
	s_cbranch_execz .LBB118_589
; %bb.588:                              ;   in Loop: Header=BB118_566 Depth=2
	s_wait_dscnt 0x0
	v_bcnt_u32_b32 v20, v20, v110
	ds_store_b32 v113, v20 offset:1056
.LBB118_589:                            ;   in Loop: Header=BB118_566 Depth=2
	s_wait_alu 0xfffe
	s_or_b32 exec_lo, exec_lo, s15
	v_xor_b32_e32 v112, -1, v25
	; wave barrier
	s_delay_alu instid0(VALU_DEP_1) | instskip(NEXT) | instid1(VALU_DEP_1)
	v_and_b32_e32 v20, 0xff, v112
	v_lshrrev_b32_e32 v20, s45, v20
	s_delay_alu instid0(VALU_DEP_1) | instskip(NEXT) | instid1(VALU_DEP_1)
	v_and_b32_e32 v21, s31, v20
	v_and_b32_e32 v20, 1, v21
	v_lshlrev_b32_e32 v25, 30, v21
	v_lshlrev_b32_e32 v26, 29, v21
	;; [unrolled: 1-line block ×4, first 2 shown]
	v_add_co_u32 v20, s15, v20, -1
	s_wait_alu 0xf1ff
	v_cndmask_b32_e64 v114, 0, 1, s15
	v_not_b32_e32 v118, v25
	v_cmp_gt_i32_e64 s15, 0, v25
	v_not_b32_e32 v25, v26
	v_lshlrev_b32_e32 v116, 26, v21
	v_cmp_ne_u32_e32 vcc_lo, 0, v114
	v_ashrrev_i32_e32 v118, 31, v118
	v_lshlrev_b32_e32 v117, 25, v21
	v_ashrrev_i32_e32 v25, 31, v25
	v_lshlrev_b32_e32 v114, 24, v21
	s_wait_alu 0xfffd
	v_xor_b32_e32 v20, vcc_lo, v20
	v_cmp_gt_i32_e32 vcc_lo, 0, v26
	v_not_b32_e32 v26, v27
	s_wait_alu 0xf1ff
	v_xor_b32_e32 v118, s15, v118
	v_cmp_gt_i32_e64 s15, 0, v27
	v_and_b32_e32 v20, exec_lo, v20
	v_not_b32_e32 v27, v115
	v_ashrrev_i32_e32 v26, 31, v26
	s_wait_alu 0xfffd
	v_xor_b32_e32 v25, vcc_lo, v25
	v_cmp_gt_i32_e32 vcc_lo, 0, v115
	v_and_b32_e32 v20, v20, v118
	v_not_b32_e32 v115, v116
	v_ashrrev_i32_e32 v27, 31, v27
	s_wait_alu 0xf1ff
	v_xor_b32_e32 v26, s15, v26
	v_cmp_gt_i32_e64 s15, 0, v116
	v_and_b32_e32 v20, v20, v25
	v_not_b32_e32 v25, v117
	v_ashrrev_i32_e32 v115, 31, v115
	s_wait_alu 0xfffd
	v_xor_b32_e32 v27, vcc_lo, v27
	v_cmp_gt_i32_e32 vcc_lo, 0, v117
	v_and_b32_e32 v20, v20, v26
	v_not_b32_e32 v26, v114
	v_ashrrev_i32_e32 v25, 31, v25
	s_wait_alu 0xf1ff
	v_xor_b32_e32 v115, s15, v115
	v_cmp_gt_i32_e64 s15, 0, v114
	v_and_b32_e32 v20, v20, v27
	v_ashrrev_i32_e32 v26, 31, v26
	s_wait_alu 0xfffd
	v_xor_b32_e32 v25, vcc_lo, v25
	v_mad_u32_u24 v27, v21, 36, v85
	v_mul_u32_u24_e32 v21, 36, v21
	v_and_b32_e32 v20, v20, v115
	s_wait_alu 0xf1ff
	v_xor_b32_e32 v26, s15, v26
	ds_load_b32 v114, v27 offset:1056
	v_add_nc_u32_e32 v117, v85, v21
	v_and_b32_e32 v20, v20, v25
	; wave barrier
	s_delay_alu instid0(VALU_DEP_1) | instskip(NEXT) | instid1(VALU_DEP_1)
	v_and_b32_e32 v20, v20, v26
	v_mbcnt_lo_u32_b32 v115, v20, 0
	v_cmp_ne_u32_e64 s15, 0, v20
	s_delay_alu instid0(VALU_DEP_2)
	v_cmp_eq_u32_e32 vcc_lo, 0, v115
	s_and_b32 s16, s15, vcc_lo
	s_wait_alu 0xfffe
	s_and_saveexec_b32 s15, s16
	s_cbranch_execz .LBB118_591
; %bb.590:                              ;   in Loop: Header=BB118_566 Depth=2
	s_wait_dscnt 0x0
	v_bcnt_u32_b32 v20, v20, v114
	ds_store_b32 v117, v20 offset:1056
.LBB118_591:                            ;   in Loop: Header=BB118_566 Depth=2
	s_wait_alu 0xfffe
	s_or_b32 exec_lo, exec_lo, s15
	v_xor_b32_e32 v116, -1, v24
	; wave barrier
	s_delay_alu instid0(VALU_DEP_1) | instskip(NEXT) | instid1(VALU_DEP_1)
	v_and_b32_e32 v20, 0xff, v116
	v_lshrrev_b32_e32 v20, s45, v20
	s_delay_alu instid0(VALU_DEP_1) | instskip(NEXT) | instid1(VALU_DEP_1)
	v_and_b32_e32 v21, s31, v20
	v_and_b32_e32 v20, 1, v21
	v_lshlrev_b32_e32 v24, 30, v21
	v_lshlrev_b32_e32 v25, 29, v21
	;; [unrolled: 1-line block ×4, first 2 shown]
	v_add_co_u32 v20, s15, v20, -1
	s_wait_alu 0xf1ff
	v_cndmask_b32_e64 v27, 0, 1, s15
	v_not_b32_e32 v121, v24
	v_cmp_gt_i32_e64 s15, 0, v24
	v_not_b32_e32 v24, v25
	v_lshlrev_b32_e32 v119, 26, v21
	v_cmp_ne_u32_e32 vcc_lo, 0, v27
	v_ashrrev_i32_e32 v121, 31, v121
	v_lshlrev_b32_e32 v120, 25, v21
	v_ashrrev_i32_e32 v24, 31, v24
	v_lshlrev_b32_e32 v27, 24, v21
	s_wait_alu 0xfffd
	v_xor_b32_e32 v20, vcc_lo, v20
	v_cmp_gt_i32_e32 vcc_lo, 0, v25
	v_not_b32_e32 v25, v26
	s_wait_alu 0xf1ff
	v_xor_b32_e32 v121, s15, v121
	v_cmp_gt_i32_e64 s15, 0, v26
	v_and_b32_e32 v20, exec_lo, v20
	v_not_b32_e32 v26, v118
	v_ashrrev_i32_e32 v25, 31, v25
	s_wait_alu 0xfffd
	v_xor_b32_e32 v24, vcc_lo, v24
	v_cmp_gt_i32_e32 vcc_lo, 0, v118
	v_and_b32_e32 v20, v20, v121
	v_not_b32_e32 v118, v119
	v_ashrrev_i32_e32 v26, 31, v26
	s_wait_alu 0xf1ff
	v_xor_b32_e32 v25, s15, v25
	v_cmp_gt_i32_e64 s15, 0, v119
	v_and_b32_e32 v20, v20, v24
	v_not_b32_e32 v24, v120
	v_ashrrev_i32_e32 v118, 31, v118
	s_wait_alu 0xfffd
	v_xor_b32_e32 v26, vcc_lo, v26
	v_cmp_gt_i32_e32 vcc_lo, 0, v120
	v_and_b32_e32 v20, v20, v25
	v_not_b32_e32 v25, v27
	v_ashrrev_i32_e32 v24, 31, v24
	s_wait_alu 0xf1ff
	v_xor_b32_e32 v118, s15, v118
	v_cmp_gt_i32_e64 s15, 0, v27
	v_and_b32_e32 v20, v20, v26
	v_ashrrev_i32_e32 v25, 31, v25
	s_wait_alu 0xfffd
	v_xor_b32_e32 v24, vcc_lo, v24
	v_mad_u32_u24 v26, v21, 36, v85
	v_mul_u32_u24_e32 v21, 36, v21
	v_and_b32_e32 v20, v20, v118
	s_wait_alu 0xf1ff
	v_xor_b32_e32 v25, s15, v25
	ds_load_b32 v118, v26 offset:1056
	v_add_nc_u32_e32 v121, v85, v21
	v_and_b32_e32 v20, v20, v24
	; wave barrier
	s_delay_alu instid0(VALU_DEP_1) | instskip(NEXT) | instid1(VALU_DEP_1)
	v_and_b32_e32 v20, v20, v25
	v_mbcnt_lo_u32_b32 v119, v20, 0
	v_cmp_ne_u32_e64 s15, 0, v20
	s_delay_alu instid0(VALU_DEP_2)
	v_cmp_eq_u32_e32 vcc_lo, 0, v119
	s_and_b32 s16, s15, vcc_lo
	s_wait_alu 0xfffe
	s_and_saveexec_b32 s15, s16
	s_cbranch_execz .LBB118_593
; %bb.592:                              ;   in Loop: Header=BB118_566 Depth=2
	s_wait_dscnt 0x0
	v_bcnt_u32_b32 v20, v20, v118
	ds_store_b32 v121, v20 offset:1056
.LBB118_593:                            ;   in Loop: Header=BB118_566 Depth=2
	s_wait_alu 0xfffe
	s_or_b32 exec_lo, exec_lo, s15
	v_xor_b32_e32 v120, -1, v23
	; wave barrier
	s_delay_alu instid0(VALU_DEP_1) | instskip(NEXT) | instid1(VALU_DEP_1)
	v_and_b32_e32 v20, 0xff, v120
	v_lshrrev_b32_e32 v20, s45, v20
	s_delay_alu instid0(VALU_DEP_1) | instskip(NEXT) | instid1(VALU_DEP_1)
	v_and_b32_e32 v21, s31, v20
	v_and_b32_e32 v20, 1, v21
	v_lshlrev_b32_e32 v23, 30, v21
	v_lshlrev_b32_e32 v24, 29, v21
	;; [unrolled: 1-line block ×4, first 2 shown]
	v_add_co_u32 v20, s15, v20, -1
	s_wait_alu 0xf1ff
	v_cndmask_b32_e64 v26, 0, 1, s15
	v_not_b32_e32 v124, v23
	v_cmp_gt_i32_e64 s15, 0, v23
	v_not_b32_e32 v23, v24
	v_lshlrev_b32_e32 v122, 26, v21
	v_cmp_ne_u32_e32 vcc_lo, 0, v26
	v_ashrrev_i32_e32 v124, 31, v124
	v_lshlrev_b32_e32 v123, 25, v21
	v_ashrrev_i32_e32 v23, 31, v23
	v_lshlrev_b32_e32 v26, 24, v21
	s_wait_alu 0xfffd
	v_xor_b32_e32 v20, vcc_lo, v20
	v_cmp_gt_i32_e32 vcc_lo, 0, v24
	v_not_b32_e32 v24, v25
	s_wait_alu 0xf1ff
	v_xor_b32_e32 v124, s15, v124
	v_cmp_gt_i32_e64 s15, 0, v25
	v_and_b32_e32 v20, exec_lo, v20
	v_not_b32_e32 v25, v27
	v_ashrrev_i32_e32 v24, 31, v24
	s_wait_alu 0xfffd
	v_xor_b32_e32 v23, vcc_lo, v23
	v_cmp_gt_i32_e32 vcc_lo, 0, v27
	v_and_b32_e32 v20, v20, v124
	v_not_b32_e32 v27, v122
	v_ashrrev_i32_e32 v25, 31, v25
	s_wait_alu 0xf1ff
	v_xor_b32_e32 v24, s15, v24
	v_cmp_gt_i32_e64 s15, 0, v122
	v_and_b32_e32 v20, v20, v23
	v_not_b32_e32 v23, v123
	v_ashrrev_i32_e32 v27, 31, v27
	s_wait_alu 0xfffd
	v_xor_b32_e32 v25, vcc_lo, v25
	v_cmp_gt_i32_e32 vcc_lo, 0, v123
	v_and_b32_e32 v20, v20, v24
	v_not_b32_e32 v24, v26
	v_ashrrev_i32_e32 v23, 31, v23
	s_wait_alu 0xf1ff
	v_xor_b32_e32 v27, s15, v27
	v_cmp_gt_i32_e64 s15, 0, v26
	v_and_b32_e32 v20, v20, v25
	v_ashrrev_i32_e32 v24, 31, v24
	s_wait_alu 0xfffd
	v_xor_b32_e32 v23, vcc_lo, v23
	v_mad_u32_u24 v25, v21, 36, v85
	v_mul_u32_u24_e32 v21, 36, v21
	v_and_b32_e32 v20, v20, v27
	s_wait_alu 0xf1ff
	v_xor_b32_e32 v24, s15, v24
	ds_load_b32 v122, v25 offset:1056
	v_add_nc_u32_e32 v125, v85, v21
	v_and_b32_e32 v20, v20, v23
	; wave barrier
	s_delay_alu instid0(VALU_DEP_1) | instskip(NEXT) | instid1(VALU_DEP_1)
	v_and_b32_e32 v20, v20, v24
	v_mbcnt_lo_u32_b32 v123, v20, 0
	v_cmp_ne_u32_e64 s15, 0, v20
	s_delay_alu instid0(VALU_DEP_2)
	v_cmp_eq_u32_e32 vcc_lo, 0, v123
	s_and_b32 s16, s15, vcc_lo
	s_wait_alu 0xfffe
	s_and_saveexec_b32 s15, s16
	s_cbranch_execz .LBB118_595
; %bb.594:                              ;   in Loop: Header=BB118_566 Depth=2
	s_wait_dscnt 0x0
	v_bcnt_u32_b32 v20, v20, v122
	ds_store_b32 v125, v20 offset:1056
.LBB118_595:                            ;   in Loop: Header=BB118_566 Depth=2
	s_wait_alu 0xfffe
	s_or_b32 exec_lo, exec_lo, s15
	v_xor_b32_e32 v124, -1, v22
	; wave barrier
	s_delay_alu instid0(VALU_DEP_1) | instskip(NEXT) | instid1(VALU_DEP_1)
	v_and_b32_e32 v20, 0xff, v124
	v_lshrrev_b32_e32 v20, s45, v20
	s_delay_alu instid0(VALU_DEP_1) | instskip(NEXT) | instid1(VALU_DEP_1)
	v_and_b32_e32 v21, s31, v20
	v_and_b32_e32 v20, 1, v21
	v_lshlrev_b32_e32 v22, 30, v21
	v_lshlrev_b32_e32 v23, 29, v21
	;; [unrolled: 1-line block ×4, first 2 shown]
	v_add_co_u32 v20, s15, v20, -1
	s_wait_alu 0xf1ff
	v_cndmask_b32_e64 v25, 0, 1, s15
	v_not_b32_e32 v127, v22
	v_cmp_gt_i32_e64 s15, 0, v22
	v_not_b32_e32 v22, v23
	v_lshlrev_b32_e32 v27, 26, v21
	v_cmp_ne_u32_e32 vcc_lo, 0, v25
	v_ashrrev_i32_e32 v127, 31, v127
	v_lshlrev_b32_e32 v126, 25, v21
	v_ashrrev_i32_e32 v22, 31, v22
	v_lshlrev_b32_e32 v25, 24, v21
	s_wait_alu 0xfffd
	v_xor_b32_e32 v20, vcc_lo, v20
	v_cmp_gt_i32_e32 vcc_lo, 0, v23
	v_not_b32_e32 v23, v24
	s_wait_alu 0xf1ff
	v_xor_b32_e32 v127, s15, v127
	v_cmp_gt_i32_e64 s15, 0, v24
	v_and_b32_e32 v20, exec_lo, v20
	v_not_b32_e32 v24, v26
	v_ashrrev_i32_e32 v23, 31, v23
	s_wait_alu 0xfffd
	v_xor_b32_e32 v22, vcc_lo, v22
	v_cmp_gt_i32_e32 vcc_lo, 0, v26
	v_and_b32_e32 v20, v20, v127
	v_not_b32_e32 v26, v27
	v_ashrrev_i32_e32 v24, 31, v24
	s_wait_alu 0xf1ff
	v_xor_b32_e32 v23, s15, v23
	v_cmp_gt_i32_e64 s15, 0, v27
	v_and_b32_e32 v20, v20, v22
	v_not_b32_e32 v22, v126
	v_ashrrev_i32_e32 v26, 31, v26
	s_wait_alu 0xfffd
	v_xor_b32_e32 v24, vcc_lo, v24
	v_cmp_gt_i32_e32 vcc_lo, 0, v126
	v_and_b32_e32 v20, v20, v23
	v_not_b32_e32 v23, v25
	v_ashrrev_i32_e32 v22, 31, v22
	s_wait_alu 0xf1ff
	v_xor_b32_e32 v26, s15, v26
	v_cmp_gt_i32_e64 s15, 0, v25
	v_and_b32_e32 v20, v20, v24
	v_ashrrev_i32_e32 v23, 31, v23
	s_wait_alu 0xfffd
	v_xor_b32_e32 v22, vcc_lo, v22
	v_mad_u32_u24 v24, v21, 36, v85
	v_mul_u32_u24_e32 v21, 36, v21
	v_and_b32_e32 v20, v20, v26
	s_wait_alu 0xf1ff
	v_xor_b32_e32 v23, s15, v23
	ds_load_b32 v126, v24 offset:1056
	v_add_nc_u32_e32 v128, v85, v21
	v_and_b32_e32 v20, v20, v22
	; wave barrier
	s_delay_alu instid0(VALU_DEP_1) | instskip(NEXT) | instid1(VALU_DEP_1)
	v_and_b32_e32 v20, v20, v23
	v_mbcnt_lo_u32_b32 v127, v20, 0
	v_cmp_ne_u32_e64 s15, 0, v20
	s_delay_alu instid0(VALU_DEP_2)
	v_cmp_eq_u32_e32 vcc_lo, 0, v127
	s_and_b32 s16, s15, vcc_lo
	s_wait_alu 0xfffe
	s_and_saveexec_b32 s15, s16
	s_cbranch_execz .LBB118_597
; %bb.596:                              ;   in Loop: Header=BB118_566 Depth=2
	s_wait_dscnt 0x0
	v_bcnt_u32_b32 v20, v20, v126
	ds_store_b32 v128, v20 offset:1056
.LBB118_597:                            ;   in Loop: Header=BB118_566 Depth=2
	s_wait_alu 0xfffe
	s_or_b32 exec_lo, exec_lo, s15
	; wave barrier
	s_wait_loadcnt_dscnt 0x0
	s_barrier_signal -1
	s_barrier_wait -1
	global_inv scope:SCOPE_SE
	ds_load_2addr_b32 v[26:27], v98 offset1:1
	ds_load_2addr_b32 v[24:25], v99 offset1:1
	;; [unrolled: 1-line block ×4, first 2 shown]
	ds_load_b32 v129, v45 offset:1088
	s_wait_dscnt 0x3
	v_add3_u32 v130, v27, v26, v24
	s_wait_dscnt 0x2
	s_delay_alu instid0(VALU_DEP_1) | instskip(SKIP_1) | instid1(VALU_DEP_1)
	v_add3_u32 v130, v130, v25, v22
	s_wait_dscnt 0x1
	v_add3_u32 v130, v130, v23, v20
	s_wait_dscnt 0x0
	s_delay_alu instid0(VALU_DEP_1) | instskip(NEXT) | instid1(VALU_DEP_1)
	v_add3_u32 v129, v130, v21, v129
	v_mov_b32_dpp v130, v129 row_shr:1 row_mask:0xf bank_mask:0xf
	s_delay_alu instid0(VALU_DEP_1) | instskip(NEXT) | instid1(VALU_DEP_1)
	v_cndmask_b32_e64 v130, v130, 0, s0
	v_add_nc_u32_e32 v129, v130, v129
	s_delay_alu instid0(VALU_DEP_1) | instskip(NEXT) | instid1(VALU_DEP_1)
	v_mov_b32_dpp v130, v129 row_shr:2 row_mask:0xf bank_mask:0xf
	v_cndmask_b32_e64 v130, 0, v130, s1
	s_delay_alu instid0(VALU_DEP_1) | instskip(NEXT) | instid1(VALU_DEP_1)
	v_add_nc_u32_e32 v129, v129, v130
	v_mov_b32_dpp v130, v129 row_shr:4 row_mask:0xf bank_mask:0xf
	s_delay_alu instid0(VALU_DEP_1) | instskip(NEXT) | instid1(VALU_DEP_1)
	v_cndmask_b32_e64 v130, 0, v130, s9
	v_add_nc_u32_e32 v129, v129, v130
	s_delay_alu instid0(VALU_DEP_1) | instskip(NEXT) | instid1(VALU_DEP_1)
	v_mov_b32_dpp v130, v129 row_shr:8 row_mask:0xf bank_mask:0xf
	v_cndmask_b32_e64 v130, 0, v130, s10
	s_delay_alu instid0(VALU_DEP_1) | instskip(SKIP_3) | instid1(VALU_DEP_1)
	v_add_nc_u32_e32 v129, v129, v130
	ds_swizzle_b32 v130, v129 offset:swizzle(BROADCAST,32,15)
	s_wait_dscnt 0x0
	v_cndmask_b32_e64 v130, v130, 0, s11
	v_add_nc_u32_e32 v129, v129, v130
	s_and_saveexec_b32 s15, s3
; %bb.598:                              ;   in Loop: Header=BB118_566 Depth=2
	ds_store_b32 v38, v129 offset:1024
; %bb.599:                              ;   in Loop: Header=BB118_566 Depth=2
	s_wait_alu 0xfffe
	s_or_b32 exec_lo, exec_lo, s15
	s_wait_loadcnt_dscnt 0x0
	s_barrier_signal -1
	s_barrier_wait -1
	global_inv scope:SCOPE_SE
	s_and_saveexec_b32 s15, s4
	s_cbranch_execz .LBB118_601
; %bb.600:                              ;   in Loop: Header=BB118_566 Depth=2
	v_add_nc_u32_e32 v130, v45, v46
	ds_load_b32 v131, v130 offset:1024
	s_wait_dscnt 0x0
	v_mov_b32_dpp v132, v131 row_shr:1 row_mask:0xf bank_mask:0xf
	s_delay_alu instid0(VALU_DEP_1) | instskip(NEXT) | instid1(VALU_DEP_1)
	v_cndmask_b32_e64 v132, v132, 0, s12
	v_add_nc_u32_e32 v131, v132, v131
	s_delay_alu instid0(VALU_DEP_1) | instskip(NEXT) | instid1(VALU_DEP_1)
	v_mov_b32_dpp v132, v131 row_shr:2 row_mask:0xf bank_mask:0xf
	v_cndmask_b32_e64 v132, 0, v132, s13
	s_delay_alu instid0(VALU_DEP_1) | instskip(NEXT) | instid1(VALU_DEP_1)
	v_add_nc_u32_e32 v131, v131, v132
	v_mov_b32_dpp v132, v131 row_shr:4 row_mask:0xf bank_mask:0xf
	s_delay_alu instid0(VALU_DEP_1) | instskip(NEXT) | instid1(VALU_DEP_1)
	v_cndmask_b32_e64 v132, 0, v132, s14
	v_add_nc_u32_e32 v131, v131, v132
	ds_store_b32 v130, v131 offset:1024
.LBB118_601:                            ;   in Loop: Header=BB118_566 Depth=2
	s_wait_alu 0xfffe
	s_or_b32 exec_lo, exec_lo, s15
	v_mov_b32_e32 v130, 0
	s_wait_loadcnt_dscnt 0x0
	s_barrier_signal -1
	s_barrier_wait -1
	global_inv scope:SCOPE_SE
	s_and_saveexec_b32 s15, s5
; %bb.602:                              ;   in Loop: Header=BB118_566 Depth=2
	ds_load_b32 v130, v38 offset:1020
; %bb.603:                              ;   in Loop: Header=BB118_566 Depth=2
	s_wait_alu 0xfffe
	s_or_b32 exec_lo, exec_lo, s15
	s_wait_dscnt 0x0
	v_add_nc_u32_e32 v129, v130, v129
	ds_bpermute_b32 v129, v80, v129
	s_wait_dscnt 0x0
	v_cndmask_b32_e64 v129, v129, v130, s8
	s_delay_alu instid0(VALU_DEP_1) | instskip(NEXT) | instid1(VALU_DEP_1)
	v_cndmask_b32_e64 v129, v129, 0, s6
	v_add_nc_u32_e32 v26, v129, v26
	s_delay_alu instid0(VALU_DEP_1) | instskip(NEXT) | instid1(VALU_DEP_1)
	v_add_nc_u32_e32 v27, v26, v27
	v_add_nc_u32_e32 v24, v27, v24
	s_delay_alu instid0(VALU_DEP_1) | instskip(NEXT) | instid1(VALU_DEP_1)
	v_add_nc_u32_e32 v25, v24, v25
	v_add_nc_u32_e32 v22, v25, v22
	s_delay_alu instid0(VALU_DEP_1) | instskip(NEXT) | instid1(VALU_DEP_1)
	v_add_nc_u32_e32 v23, v22, v23
	v_add_nc_u32_e32 v20, v23, v20
	s_delay_alu instid0(VALU_DEP_1)
	v_add_nc_u32_e32 v21, v20, v21
	ds_store_2addr_b32 v97, v23, v20 offset1:1
	ds_store_2addr_b32 v98, v129, v26 offset1:1
	;; [unrolled: 1-line block ×4, first 2 shown]
	ds_store_b32 v45, v21 offset:1088
	s_wait_loadcnt_dscnt 0x0
	s_barrier_signal -1
	s_barrier_wait -1
	global_inv scope:SCOPE_SE
	ds_load_b32 v20, v101 offset:1056
	ds_load_b32 v21, v105 offset:1056
	;; [unrolled: 1-line block ×9, first 2 shown]
	v_mov_b32_e32 v22, 0x800
	s_and_saveexec_b32 s15, s7
; %bb.604:                              ;   in Loop: Header=BB118_566 Depth=2
	ds_load_b32 v22, v45 offset:1092
; %bb.605:                              ;   in Loop: Header=BB118_566 Depth=2
	s_wait_alu 0xfffe
	s_or_b32 exec_lo, exec_lo, s15
	s_wait_loadcnt_dscnt 0x0
	s_barrier_signal -1
	s_barrier_wait -1
	global_inv scope:SCOPE_SE
	s_and_saveexec_b32 s15, s2
	s_cbranch_execz .LBB118_607
; %bb.606:                              ;   in Loop: Header=BB118_566 Depth=2
	ds_load_b32 v27, v28
	s_wait_dscnt 0x0
	v_sub_nc_u32_e32 v26, v27, v26
	ds_store_b32 v28, v26
.LBB118_607:                            ;   in Loop: Header=BB118_566 Depth=2
	s_wait_alu 0xfffe
	s_or_b32 exec_lo, exec_lo, s15
	v_add_nc_u32_e32 v98, v20, v95
	v_add3_u32 v97, v103, v102, v21
	v_add3_u32 v95, v107, v106, v23
	;; [unrolled: 1-line block ×7, first 2 shown]
	v_cmp_lt_u32_e64 s19, v1, v2
	ds_store_b8 v98, v94 offset:1024
	ds_store_b8 v97, v96 offset:1024
	;; [unrolled: 1-line block ×8, first 2 shown]
	s_wait_loadcnt_dscnt 0x0
	s_barrier_signal -1
	s_barrier_wait -1
	global_inv scope:SCOPE_SE
	s_and_saveexec_b32 s15, s19
	s_cbranch_execnz .LBB118_644
; %bb.608:                              ;   in Loop: Header=BB118_566 Depth=2
	s_wait_alu 0xfffe
	s_or_b32 exec_lo, exec_lo, s15
	v_cmp_lt_u32_e64 s21, v29, v2
	s_and_saveexec_b32 s15, s21
	s_cbranch_execnz .LBB118_645
.LBB118_609:                            ;   in Loop: Header=BB118_566 Depth=2
	s_wait_alu 0xfffe
	s_or_b32 exec_lo, exec_lo, s15
	v_cmp_lt_u32_e64 s20, v30, v2
	s_and_saveexec_b32 s15, s20
	s_cbranch_execnz .LBB118_646
.LBB118_610:                            ;   in Loop: Header=BB118_566 Depth=2
	s_wait_alu 0xfffe
	s_or_b32 exec_lo, exec_lo, s15
	v_cmp_lt_u32_e64 s18, v31, v2
	s_and_saveexec_b32 s15, s18
	s_cbranch_execnz .LBB118_647
.LBB118_611:                            ;   in Loop: Header=BB118_566 Depth=2
	s_wait_alu 0xfffe
	s_or_b32 exec_lo, exec_lo, s15
	v_cmp_lt_u32_e64 s17, v34, v2
	s_and_saveexec_b32 s15, s17
	s_cbranch_execnz .LBB118_648
.LBB118_612:                            ;   in Loop: Header=BB118_566 Depth=2
	s_wait_alu 0xfffe
	s_or_b32 exec_lo, exec_lo, s15
	v_cmp_lt_u32_e64 s16, v35, v2
	s_and_saveexec_b32 s15, s16
	s_cbranch_execnz .LBB118_649
.LBB118_613:                            ;   in Loop: Header=BB118_566 Depth=2
	s_wait_alu 0xfffe
	s_or_b32 exec_lo, exec_lo, s15
	v_cmp_lt_u32_e64 s15, v36, v2
	s_and_saveexec_b32 s44, s15
	s_cbranch_execnz .LBB118_650
.LBB118_614:                            ;   in Loop: Header=BB118_566 Depth=2
	s_wait_alu 0xfffe
	s_or_b32 exec_lo, exec_lo, s44
	v_cmp_lt_u32_e32 vcc_lo, v37, v2
	s_and_saveexec_b32 s44, vcc_lo
	s_cbranch_execz .LBB118_616
.LBB118_615:                            ;   in Loop: Header=BB118_566 Depth=2
	ds_load_u8 v20, v1 offset:2816
	s_wait_dscnt 0x0
	v_and_b32_e32 v21, 0xff, v20
	v_xor_b32_e32 v20, -1, v20
	s_delay_alu instid0(VALU_DEP_2) | instskip(NEXT) | instid1(VALU_DEP_1)
	v_lshrrev_b32_e32 v21, s45, v21
	v_and_b32_e32 v21, s31, v21
	s_delay_alu instid0(VALU_DEP_1)
	v_lshlrev_b32_e32 v21, 2, v21
	ds_load_b32 v21, v21
	s_wait_dscnt 0x0
	v_add_nc_u32_e32 v21, v21, v37
	global_store_b8 v21, v20, s[40:41]
.LBB118_616:                            ;   in Loop: Header=BB118_566 Depth=2
	s_wait_alu 0xfffe
	s_or_b32 exec_lo, exec_lo, s44
	s_lshl_b64 s[48:49], s[22:23], 3
	s_wait_alu 0xfffe
	v_add_co_u32 v20, s22, v81, s48
	s_wait_alu 0xf1ff
	v_add_co_ci_u32_e64 v21, null, s49, v82, s22
	v_cmp_lt_u32_e64 s22, v68, v2
	s_and_saveexec_b32 s44, s22
	s_wait_alu 0xfffe
	s_xor_b32 s22, exec_lo, s44
	s_cbranch_execnz .LBB118_651
; %bb.617:                              ;   in Loop: Header=BB118_566 Depth=2
	s_wait_alu 0xfffe
	s_or_b32 exec_lo, exec_lo, s22
	s_delay_alu instid0(SALU_CYCLE_1)
	s_mov_b32 s44, exec_lo
	v_cmpx_lt_u32_e64 v71, v2
	s_cbranch_execnz .LBB118_652
.LBB118_618:                            ;   in Loop: Header=BB118_566 Depth=2
	s_wait_alu 0xfffe
	s_or_b32 exec_lo, exec_lo, s44
	s_delay_alu instid0(SALU_CYCLE_1)
	s_mov_b32 s44, exec_lo
	v_cmpx_lt_u32_e64 v72, v2
	s_cbranch_execnz .LBB118_653
.LBB118_619:                            ;   in Loop: Header=BB118_566 Depth=2
	s_wait_alu 0xfffe
	s_or_b32 exec_lo, exec_lo, s44
	s_delay_alu instid0(SALU_CYCLE_1)
	s_mov_b32 s44, exec_lo
	v_cmpx_lt_u32_e64 v73, v2
	s_cbranch_execnz .LBB118_654
.LBB118_620:                            ;   in Loop: Header=BB118_566 Depth=2
	s_wait_alu 0xfffe
	s_or_b32 exec_lo, exec_lo, s44
	s_delay_alu instid0(SALU_CYCLE_1)
	s_mov_b32 s44, exec_lo
	v_cmpx_lt_u32_e64 v74, v2
	s_cbranch_execnz .LBB118_655
.LBB118_621:                            ;   in Loop: Header=BB118_566 Depth=2
	s_wait_alu 0xfffe
	s_or_b32 exec_lo, exec_lo, s44
	s_delay_alu instid0(SALU_CYCLE_1)
	s_mov_b32 s44, exec_lo
	v_cmpx_lt_u32_e64 v75, v2
	s_cbranch_execnz .LBB118_656
.LBB118_622:                            ;   in Loop: Header=BB118_566 Depth=2
	s_wait_alu 0xfffe
	s_or_b32 exec_lo, exec_lo, s44
	s_delay_alu instid0(SALU_CYCLE_1)
	s_mov_b32 s44, exec_lo
	v_cmpx_lt_u32_e64 v76, v2
	s_cbranch_execnz .LBB118_657
.LBB118_623:                            ;   in Loop: Header=BB118_566 Depth=2
	s_wait_alu 0xfffe
	s_or_b32 exec_lo, exec_lo, s44
	s_delay_alu instid0(SALU_CYCLE_1)
	s_mov_b32 s44, exec_lo
	v_cmpx_lt_u32_e64 v77, v2
	s_cbranch_execnz .LBB118_658
.LBB118_624:                            ;   in Loop: Header=BB118_566 Depth=2
	s_wait_alu 0xfffe
	s_or_b32 exec_lo, exec_lo, s44
	s_and_saveexec_b32 s22, s19
	s_cbranch_execnz .LBB118_659
.LBB118_625:                            ;   in Loop: Header=BB118_566 Depth=2
	s_wait_alu 0xfffe
	s_or_b32 exec_lo, exec_lo, s22
	s_and_saveexec_b32 s22, s21
	s_cbranch_execnz .LBB118_660
.LBB118_626:                            ;   in Loop: Header=BB118_566 Depth=2
	s_wait_alu 0xfffe
	s_or_b32 exec_lo, exec_lo, s22
	s_and_saveexec_b32 s22, s20
	s_cbranch_execnz .LBB118_661
.LBB118_627:                            ;   in Loop: Header=BB118_566 Depth=2
	s_wait_alu 0xfffe
	s_or_b32 exec_lo, exec_lo, s22
	s_and_saveexec_b32 s22, s18
	s_cbranch_execnz .LBB118_662
.LBB118_628:                            ;   in Loop: Header=BB118_566 Depth=2
	s_wait_alu 0xfffe
	s_or_b32 exec_lo, exec_lo, s22
	s_and_saveexec_b32 s22, s17
	s_cbranch_execnz .LBB118_663
.LBB118_629:                            ;   in Loop: Header=BB118_566 Depth=2
	s_wait_alu 0xfffe
	s_or_b32 exec_lo, exec_lo, s22
	s_and_saveexec_b32 s22, s16
	s_cbranch_execnz .LBB118_664
.LBB118_630:                            ;   in Loop: Header=BB118_566 Depth=2
	s_wait_alu 0xfffe
	s_or_b32 exec_lo, exec_lo, s22
	s_and_saveexec_b32 s22, s15
	s_cbranch_execnz .LBB118_665
.LBB118_631:                            ;   in Loop: Header=BB118_566 Depth=2
	s_wait_alu 0xfffe
	s_or_b32 exec_lo, exec_lo, s22
	s_and_saveexec_b32 s22, vcc_lo
	s_cbranch_execz .LBB118_633
.LBB118_632:                            ;   in Loop: Header=BB118_566 Depth=2
	ds_load_u8 v2, v1 offset:2816
	s_wait_dscnt 0x0
	v_lshrrev_b32_e32 v2, s45, v2
	s_delay_alu instid0(VALU_DEP_1)
	v_and_b32_e32 v86, s31, v2
.LBB118_633:                            ;   in Loop: Header=BB118_566 Depth=2
	s_wait_alu 0xfffe
	s_or_b32 exec_lo, exec_lo, s22
	v_lshlrev_b32_e32 v2, 3, v98
	v_lshlrev_b32_e32 v20, 3, v97
	;; [unrolled: 1-line block ×3, first 2 shown]
	s_wait_loadcnt 0x0
	s_wait_storecnt 0x0
	s_barrier_signal -1
	s_barrier_wait -1
	global_inv scope:SCOPE_SE
	ds_store_b64 v2, v[18:19] offset:1024
	ds_store_b64 v20, v[16:17] offset:1024
	;; [unrolled: 1-line block ×3, first 2 shown]
	v_lshlrev_b32_e32 v2, 3, v27
	v_lshlrev_b32_e32 v20, 3, v26
	;; [unrolled: 1-line block ×5, first 2 shown]
	ds_store_b64 v2, v[12:13] offset:1024
	ds_store_b64 v20, v[10:11] offset:1024
	;; [unrolled: 1-line block ×5, first 2 shown]
	v_add_nc_u32_e32 v20, v1, v47
	s_wait_loadcnt_dscnt 0x0
	s_barrier_signal -1
	s_barrier_wait -1
	global_inv scope:SCOPE_SE
	s_and_saveexec_b32 s22, s19
	s_cbranch_execnz .LBB118_666
; %bb.634:                              ;   in Loop: Header=BB118_566 Depth=2
	s_wait_alu 0xfffe
	s_or_b32 exec_lo, exec_lo, s22
	s_and_saveexec_b32 s22, s21
	s_cbranch_execnz .LBB118_667
.LBB118_635:                            ;   in Loop: Header=BB118_566 Depth=2
	s_wait_alu 0xfffe
	s_or_b32 exec_lo, exec_lo, s22
	s_and_saveexec_b32 s21, s20
	s_cbranch_execnz .LBB118_668
.LBB118_636:                            ;   in Loop: Header=BB118_566 Depth=2
	s_wait_alu 0xfffe
	s_or_b32 exec_lo, exec_lo, s21
	s_and_saveexec_b32 s19, s18
	s_cbranch_execnz .LBB118_669
.LBB118_637:                            ;   in Loop: Header=BB118_566 Depth=2
	s_wait_alu 0xfffe
	s_or_b32 exec_lo, exec_lo, s19
	s_and_saveexec_b32 s18, s17
	s_cbranch_execnz .LBB118_670
.LBB118_638:                            ;   in Loop: Header=BB118_566 Depth=2
	s_wait_alu 0xfffe
	s_or_b32 exec_lo, exec_lo, s18
	s_and_saveexec_b32 s17, s16
	s_cbranch_execnz .LBB118_671
.LBB118_639:                            ;   in Loop: Header=BB118_566 Depth=2
	s_wait_alu 0xfffe
	s_or_b32 exec_lo, exec_lo, s17
	s_and_saveexec_b32 s16, s15
	s_cbranch_execnz .LBB118_672
.LBB118_640:                            ;   in Loop: Header=BB118_566 Depth=2
	s_wait_alu 0xfffe
	s_or_b32 exec_lo, exec_lo, s16
	s_and_saveexec_b32 s15, vcc_lo
	s_cbranch_execz .LBB118_642
.LBB118_641:                            ;   in Loop: Header=BB118_566 Depth=2
	v_lshlrev_b32_e32 v2, 2, v86
	ds_load_b32 v2, v2
	ds_load_b64 v[20:21], v20 offset:15360
	s_wait_dscnt 0x1
	v_add_nc_u32_e32 v2, v2, v37
	s_delay_alu instid0(VALU_DEP_1) | instskip(NEXT) | instid1(VALU_DEP_1)
	v_lshlrev_b64_e32 v[23:24], 3, v[2:3]
	v_add_co_u32 v23, vcc_lo, s26, v23
	s_wait_alu 0xfffd
	s_delay_alu instid0(VALU_DEP_2)
	v_add_co_ci_u32_e64 v24, null, s27, v24, vcc_lo
	s_wait_dscnt 0x0
	global_store_b64 v[23:24], v[20:21], off
.LBB118_642:                            ;   in Loop: Header=BB118_566 Depth=2
	s_wait_alu 0xfffe
	s_or_b32 exec_lo, exec_lo, s15
	s_wait_loadcnt 0x0
	s_wait_storecnt 0x0
	s_barrier_signal -1
	s_barrier_wait -1
	global_inv scope:SCOPE_SE
	s_and_saveexec_b32 s15, s2
	s_cbranch_execz .LBB118_565
; %bb.643:                              ;   in Loop: Header=BB118_566 Depth=2
	ds_load_b32 v2, v28
	s_wait_dscnt 0x0
	v_add_nc_u32_e32 v2, v2, v22
	ds_store_b32 v28, v2
	s_branch .LBB118_565
.LBB118_644:                            ;   in Loop: Header=BB118_566 Depth=2
	ds_load_u8 v20, v1 offset:1024
	s_wait_dscnt 0x0
	v_and_b32_e32 v21, 0xff, v20
	v_xor_b32_e32 v20, -1, v20
	s_delay_alu instid0(VALU_DEP_2) | instskip(NEXT) | instid1(VALU_DEP_1)
	v_lshrrev_b32_e32 v21, s45, v21
	v_and_b32_e32 v21, s31, v21
	s_delay_alu instid0(VALU_DEP_1)
	v_lshlrev_b32_e32 v21, 2, v21
	ds_load_b32 v21, v21
	s_wait_dscnt 0x0
	v_add_nc_u32_e32 v21, v21, v1
	global_store_b8 v21, v20, s[40:41]
	s_wait_alu 0xfffe
	s_or_b32 exec_lo, exec_lo, s15
	v_cmp_lt_u32_e64 s21, v29, v2
	s_and_saveexec_b32 s15, s21
	s_cbranch_execz .LBB118_609
.LBB118_645:                            ;   in Loop: Header=BB118_566 Depth=2
	ds_load_u8 v20, v1 offset:1280
	s_wait_dscnt 0x0
	v_and_b32_e32 v21, 0xff, v20
	v_xor_b32_e32 v20, -1, v20
	s_delay_alu instid0(VALU_DEP_2) | instskip(NEXT) | instid1(VALU_DEP_1)
	v_lshrrev_b32_e32 v21, s45, v21
	v_and_b32_e32 v21, s31, v21
	s_delay_alu instid0(VALU_DEP_1)
	v_lshlrev_b32_e32 v21, 2, v21
	ds_load_b32 v21, v21
	s_wait_dscnt 0x0
	v_add_nc_u32_e32 v21, v21, v29
	global_store_b8 v21, v20, s[40:41]
	s_wait_alu 0xfffe
	s_or_b32 exec_lo, exec_lo, s15
	v_cmp_lt_u32_e64 s20, v30, v2
	s_and_saveexec_b32 s15, s20
	s_cbranch_execz .LBB118_610
.LBB118_646:                            ;   in Loop: Header=BB118_566 Depth=2
	ds_load_u8 v20, v1 offset:1536
	s_wait_dscnt 0x0
	v_and_b32_e32 v21, 0xff, v20
	v_xor_b32_e32 v20, -1, v20
	s_delay_alu instid0(VALU_DEP_2) | instskip(NEXT) | instid1(VALU_DEP_1)
	v_lshrrev_b32_e32 v21, s45, v21
	v_and_b32_e32 v21, s31, v21
	s_delay_alu instid0(VALU_DEP_1)
	v_lshlrev_b32_e32 v21, 2, v21
	ds_load_b32 v21, v21
	s_wait_dscnt 0x0
	v_add_nc_u32_e32 v21, v21, v30
	global_store_b8 v21, v20, s[40:41]
	s_wait_alu 0xfffe
	s_or_b32 exec_lo, exec_lo, s15
	v_cmp_lt_u32_e64 s18, v31, v2
	s_and_saveexec_b32 s15, s18
	s_cbranch_execz .LBB118_611
.LBB118_647:                            ;   in Loop: Header=BB118_566 Depth=2
	ds_load_u8 v20, v1 offset:1792
	s_wait_dscnt 0x0
	v_and_b32_e32 v21, 0xff, v20
	v_xor_b32_e32 v20, -1, v20
	s_delay_alu instid0(VALU_DEP_2) | instskip(NEXT) | instid1(VALU_DEP_1)
	v_lshrrev_b32_e32 v21, s45, v21
	v_and_b32_e32 v21, s31, v21
	s_delay_alu instid0(VALU_DEP_1)
	v_lshlrev_b32_e32 v21, 2, v21
	ds_load_b32 v21, v21
	s_wait_dscnt 0x0
	v_add_nc_u32_e32 v21, v21, v31
	global_store_b8 v21, v20, s[40:41]
	s_wait_alu 0xfffe
	s_or_b32 exec_lo, exec_lo, s15
	v_cmp_lt_u32_e64 s17, v34, v2
	s_and_saveexec_b32 s15, s17
	s_cbranch_execz .LBB118_612
.LBB118_648:                            ;   in Loop: Header=BB118_566 Depth=2
	ds_load_u8 v20, v1 offset:2048
	s_wait_dscnt 0x0
	v_and_b32_e32 v21, 0xff, v20
	v_xor_b32_e32 v20, -1, v20
	s_delay_alu instid0(VALU_DEP_2) | instskip(NEXT) | instid1(VALU_DEP_1)
	v_lshrrev_b32_e32 v21, s45, v21
	v_and_b32_e32 v21, s31, v21
	s_delay_alu instid0(VALU_DEP_1)
	v_lshlrev_b32_e32 v21, 2, v21
	ds_load_b32 v21, v21
	s_wait_dscnt 0x0
	v_add_nc_u32_e32 v21, v21, v34
	global_store_b8 v21, v20, s[40:41]
	s_wait_alu 0xfffe
	s_or_b32 exec_lo, exec_lo, s15
	v_cmp_lt_u32_e64 s16, v35, v2
	s_and_saveexec_b32 s15, s16
	s_cbranch_execz .LBB118_613
.LBB118_649:                            ;   in Loop: Header=BB118_566 Depth=2
	ds_load_u8 v20, v1 offset:2304
	s_wait_dscnt 0x0
	v_and_b32_e32 v21, 0xff, v20
	v_xor_b32_e32 v20, -1, v20
	s_delay_alu instid0(VALU_DEP_2) | instskip(NEXT) | instid1(VALU_DEP_1)
	v_lshrrev_b32_e32 v21, s45, v21
	v_and_b32_e32 v21, s31, v21
	s_delay_alu instid0(VALU_DEP_1)
	v_lshlrev_b32_e32 v21, 2, v21
	ds_load_b32 v21, v21
	s_wait_dscnt 0x0
	v_add_nc_u32_e32 v21, v21, v35
	global_store_b8 v21, v20, s[40:41]
	s_wait_alu 0xfffe
	s_or_b32 exec_lo, exec_lo, s15
	v_cmp_lt_u32_e64 s15, v36, v2
	s_and_saveexec_b32 s44, s15
	s_cbranch_execz .LBB118_614
.LBB118_650:                            ;   in Loop: Header=BB118_566 Depth=2
	ds_load_u8 v20, v1 offset:2560
	s_wait_dscnt 0x0
	v_and_b32_e32 v21, 0xff, v20
	v_xor_b32_e32 v20, -1, v20
	s_delay_alu instid0(VALU_DEP_2) | instskip(NEXT) | instid1(VALU_DEP_1)
	v_lshrrev_b32_e32 v21, s45, v21
	v_and_b32_e32 v21, s31, v21
	s_delay_alu instid0(VALU_DEP_1)
	v_lshlrev_b32_e32 v21, 2, v21
	ds_load_b32 v21, v21
	s_wait_dscnt 0x0
	v_add_nc_u32_e32 v21, v21, v36
	global_store_b8 v21, v20, s[40:41]
	s_wait_alu 0xfffe
	s_or_b32 exec_lo, exec_lo, s44
	v_cmp_lt_u32_e32 vcc_lo, v37, v2
	s_and_saveexec_b32 s44, vcc_lo
	s_cbranch_execnz .LBB118_615
	s_branch .LBB118_616
.LBB118_651:                            ;   in Loop: Header=BB118_566 Depth=2
	global_load_b64 v[18:19], v[20:21], off
	s_wait_alu 0xfffe
	s_or_b32 exec_lo, exec_lo, s22
	s_delay_alu instid0(SALU_CYCLE_1)
	s_mov_b32 s44, exec_lo
	v_cmpx_lt_u32_e64 v71, v2
	s_cbranch_execz .LBB118_618
.LBB118_652:                            ;   in Loop: Header=BB118_566 Depth=2
	global_load_b64 v[16:17], v[20:21], off offset:256
	s_wait_alu 0xfffe
	s_or_b32 exec_lo, exec_lo, s44
	s_delay_alu instid0(SALU_CYCLE_1)
	s_mov_b32 s44, exec_lo
	v_cmpx_lt_u32_e64 v72, v2
	s_cbranch_execz .LBB118_619
.LBB118_653:                            ;   in Loop: Header=BB118_566 Depth=2
	global_load_b64 v[14:15], v[20:21], off offset:512
	s_wait_alu 0xfffe
	s_or_b32 exec_lo, exec_lo, s44
	s_delay_alu instid0(SALU_CYCLE_1)
	s_mov_b32 s44, exec_lo
	v_cmpx_lt_u32_e64 v73, v2
	s_cbranch_execz .LBB118_620
.LBB118_654:                            ;   in Loop: Header=BB118_566 Depth=2
	global_load_b64 v[12:13], v[20:21], off offset:768
	s_wait_alu 0xfffe
	s_or_b32 exec_lo, exec_lo, s44
	s_delay_alu instid0(SALU_CYCLE_1)
	s_mov_b32 s44, exec_lo
	v_cmpx_lt_u32_e64 v74, v2
	s_cbranch_execz .LBB118_621
.LBB118_655:                            ;   in Loop: Header=BB118_566 Depth=2
	global_load_b64 v[10:11], v[20:21], off offset:1024
	s_wait_alu 0xfffe
	s_or_b32 exec_lo, exec_lo, s44
	s_delay_alu instid0(SALU_CYCLE_1)
	s_mov_b32 s44, exec_lo
	v_cmpx_lt_u32_e64 v75, v2
	s_cbranch_execz .LBB118_622
.LBB118_656:                            ;   in Loop: Header=BB118_566 Depth=2
	global_load_b64 v[8:9], v[20:21], off offset:1280
	s_wait_alu 0xfffe
	s_or_b32 exec_lo, exec_lo, s44
	s_delay_alu instid0(SALU_CYCLE_1)
	s_mov_b32 s44, exec_lo
	v_cmpx_lt_u32_e64 v76, v2
	s_cbranch_execz .LBB118_623
.LBB118_657:                            ;   in Loop: Header=BB118_566 Depth=2
	global_load_b64 v[6:7], v[20:21], off offset:1536
	s_wait_alu 0xfffe
	s_or_b32 exec_lo, exec_lo, s44
	s_delay_alu instid0(SALU_CYCLE_1)
	s_mov_b32 s44, exec_lo
	v_cmpx_lt_u32_e64 v77, v2
	s_cbranch_execz .LBB118_624
.LBB118_658:                            ;   in Loop: Header=BB118_566 Depth=2
	global_load_b64 v[4:5], v[20:21], off offset:1792
	s_wait_alu 0xfffe
	s_or_b32 exec_lo, exec_lo, s44
	s_and_saveexec_b32 s22, s19
	s_cbranch_execz .LBB118_625
.LBB118_659:                            ;   in Loop: Header=BB118_566 Depth=2
	ds_load_u8 v2, v1 offset:1024
	s_wait_dscnt 0x0
	v_lshrrev_b32_e32 v2, s45, v2
	s_delay_alu instid0(VALU_DEP_1)
	v_and_b32_e32 v93, s31, v2
	s_wait_alu 0xfffe
	s_or_b32 exec_lo, exec_lo, s22
	s_and_saveexec_b32 s22, s21
	s_cbranch_execz .LBB118_626
.LBB118_660:                            ;   in Loop: Header=BB118_566 Depth=2
	ds_load_u8 v2, v1 offset:1280
	s_wait_dscnt 0x0
	v_lshrrev_b32_e32 v2, s45, v2
	s_delay_alu instid0(VALU_DEP_1)
	v_and_b32_e32 v92, s31, v2
	s_wait_alu 0xfffe
	s_or_b32 exec_lo, exec_lo, s22
	s_and_saveexec_b32 s22, s20
	s_cbranch_execz .LBB118_627
.LBB118_661:                            ;   in Loop: Header=BB118_566 Depth=2
	ds_load_u8 v2, v1 offset:1536
	s_wait_dscnt 0x0
	v_lshrrev_b32_e32 v2, s45, v2
	s_delay_alu instid0(VALU_DEP_1)
	v_and_b32_e32 v91, s31, v2
	s_wait_alu 0xfffe
	s_or_b32 exec_lo, exec_lo, s22
	s_and_saveexec_b32 s22, s18
	s_cbranch_execz .LBB118_628
.LBB118_662:                            ;   in Loop: Header=BB118_566 Depth=2
	ds_load_u8 v2, v1 offset:1792
	s_wait_dscnt 0x0
	v_lshrrev_b32_e32 v2, s45, v2
	s_delay_alu instid0(VALU_DEP_1)
	v_and_b32_e32 v90, s31, v2
	s_wait_alu 0xfffe
	s_or_b32 exec_lo, exec_lo, s22
	s_and_saveexec_b32 s22, s17
	s_cbranch_execz .LBB118_629
.LBB118_663:                            ;   in Loop: Header=BB118_566 Depth=2
	ds_load_u8 v2, v1 offset:2048
	s_wait_dscnt 0x0
	v_lshrrev_b32_e32 v2, s45, v2
	s_delay_alu instid0(VALU_DEP_1)
	v_and_b32_e32 v89, s31, v2
	s_wait_alu 0xfffe
	s_or_b32 exec_lo, exec_lo, s22
	s_and_saveexec_b32 s22, s16
	s_cbranch_execz .LBB118_630
.LBB118_664:                            ;   in Loop: Header=BB118_566 Depth=2
	ds_load_u8 v2, v1 offset:2304
	s_wait_dscnt 0x0
	v_lshrrev_b32_e32 v2, s45, v2
	s_delay_alu instid0(VALU_DEP_1)
	v_and_b32_e32 v88, s31, v2
	s_wait_alu 0xfffe
	s_or_b32 exec_lo, exec_lo, s22
	s_and_saveexec_b32 s22, s15
	s_cbranch_execz .LBB118_631
.LBB118_665:                            ;   in Loop: Header=BB118_566 Depth=2
	ds_load_u8 v2, v1 offset:2560
	s_wait_dscnt 0x0
	v_lshrrev_b32_e32 v2, s45, v2
	s_delay_alu instid0(VALU_DEP_1)
	v_and_b32_e32 v87, s31, v2
	s_wait_alu 0xfffe
	s_or_b32 exec_lo, exec_lo, s22
	s_and_saveexec_b32 s22, vcc_lo
	s_cbranch_execnz .LBB118_632
	s_branch .LBB118_633
.LBB118_666:                            ;   in Loop: Header=BB118_566 Depth=2
	v_lshlrev_b32_e32 v2, 2, v93
	ds_load_b32 v2, v2
	ds_load_b64 v[23:24], v20 offset:1024
	s_wait_dscnt 0x1
	v_add_nc_u32_e32 v2, v2, v1
	s_delay_alu instid0(VALU_DEP_1) | instskip(NEXT) | instid1(VALU_DEP_1)
	v_lshlrev_b64_e32 v[25:26], 3, v[2:3]
	v_add_co_u32 v25, s19, s26, v25
	s_wait_alu 0xf1ff
	s_delay_alu instid0(VALU_DEP_2)
	v_add_co_ci_u32_e64 v26, null, s27, v26, s19
	s_wait_dscnt 0x0
	global_store_b64 v[25:26], v[23:24], off
	s_wait_alu 0xfffe
	s_or_b32 exec_lo, exec_lo, s22
	s_and_saveexec_b32 s22, s21
	s_cbranch_execz .LBB118_635
.LBB118_667:                            ;   in Loop: Header=BB118_566 Depth=2
	v_lshlrev_b32_e32 v2, 2, v92
	ds_load_b32 v2, v2
	ds_load_b64 v[23:24], v20 offset:3072
	s_wait_dscnt 0x1
	v_add_nc_u32_e32 v2, v2, v29
	s_delay_alu instid0(VALU_DEP_1) | instskip(NEXT) | instid1(VALU_DEP_1)
	v_lshlrev_b64_e32 v[25:26], 3, v[2:3]
	v_add_co_u32 v25, s19, s26, v25
	s_wait_alu 0xf1ff
	s_delay_alu instid0(VALU_DEP_2)
	v_add_co_ci_u32_e64 v26, null, s27, v26, s19
	s_wait_dscnt 0x0
	global_store_b64 v[25:26], v[23:24], off
	s_wait_alu 0xfffe
	s_or_b32 exec_lo, exec_lo, s22
	s_and_saveexec_b32 s21, s20
	s_cbranch_execz .LBB118_636
.LBB118_668:                            ;   in Loop: Header=BB118_566 Depth=2
	v_lshlrev_b32_e32 v2, 2, v91
	ds_load_b32 v2, v2
	ds_load_b64 v[23:24], v20 offset:5120
	s_wait_dscnt 0x1
	v_add_nc_u32_e32 v2, v2, v30
	s_delay_alu instid0(VALU_DEP_1) | instskip(NEXT) | instid1(VALU_DEP_1)
	v_lshlrev_b64_e32 v[25:26], 3, v[2:3]
	v_add_co_u32 v25, s19, s26, v25
	s_wait_alu 0xf1ff
	s_delay_alu instid0(VALU_DEP_2)
	v_add_co_ci_u32_e64 v26, null, s27, v26, s19
	s_wait_dscnt 0x0
	global_store_b64 v[25:26], v[23:24], off
	s_wait_alu 0xfffe
	s_or_b32 exec_lo, exec_lo, s21
	s_and_saveexec_b32 s19, s18
	s_cbranch_execz .LBB118_637
.LBB118_669:                            ;   in Loop: Header=BB118_566 Depth=2
	v_lshlrev_b32_e32 v2, 2, v90
	ds_load_b32 v2, v2
	ds_load_b64 v[23:24], v20 offset:7168
	s_wait_dscnt 0x1
	v_add_nc_u32_e32 v2, v2, v31
	s_delay_alu instid0(VALU_DEP_1) | instskip(NEXT) | instid1(VALU_DEP_1)
	v_lshlrev_b64_e32 v[25:26], 3, v[2:3]
	v_add_co_u32 v25, s18, s26, v25
	s_wait_alu 0xf1ff
	s_delay_alu instid0(VALU_DEP_2)
	v_add_co_ci_u32_e64 v26, null, s27, v26, s18
	s_wait_dscnt 0x0
	global_store_b64 v[25:26], v[23:24], off
	s_wait_alu 0xfffe
	s_or_b32 exec_lo, exec_lo, s19
	s_and_saveexec_b32 s18, s17
	s_cbranch_execz .LBB118_638
.LBB118_670:                            ;   in Loop: Header=BB118_566 Depth=2
	v_lshlrev_b32_e32 v2, 2, v89
	ds_load_b32 v2, v2
	ds_load_b64 v[23:24], v20 offset:9216
	s_wait_dscnt 0x1
	v_add_nc_u32_e32 v2, v2, v34
	s_delay_alu instid0(VALU_DEP_1) | instskip(NEXT) | instid1(VALU_DEP_1)
	v_lshlrev_b64_e32 v[25:26], 3, v[2:3]
	v_add_co_u32 v25, s17, s26, v25
	s_wait_alu 0xf1ff
	s_delay_alu instid0(VALU_DEP_2)
	v_add_co_ci_u32_e64 v26, null, s27, v26, s17
	s_wait_dscnt 0x0
	global_store_b64 v[25:26], v[23:24], off
	s_wait_alu 0xfffe
	s_or_b32 exec_lo, exec_lo, s18
	s_and_saveexec_b32 s17, s16
	s_cbranch_execz .LBB118_639
.LBB118_671:                            ;   in Loop: Header=BB118_566 Depth=2
	v_lshlrev_b32_e32 v2, 2, v88
	ds_load_b32 v2, v2
	ds_load_b64 v[23:24], v20 offset:11264
	s_wait_dscnt 0x1
	v_add_nc_u32_e32 v2, v2, v35
	s_delay_alu instid0(VALU_DEP_1) | instskip(NEXT) | instid1(VALU_DEP_1)
	v_lshlrev_b64_e32 v[25:26], 3, v[2:3]
	v_add_co_u32 v25, s16, s26, v25
	s_wait_alu 0xf1ff
	s_delay_alu instid0(VALU_DEP_2)
	v_add_co_ci_u32_e64 v26, null, s27, v26, s16
	s_wait_dscnt 0x0
	global_store_b64 v[25:26], v[23:24], off
	s_wait_alu 0xfffe
	s_or_b32 exec_lo, exec_lo, s17
	s_and_saveexec_b32 s16, s15
	s_cbranch_execz .LBB118_640
.LBB118_672:                            ;   in Loop: Header=BB118_566 Depth=2
	v_lshlrev_b32_e32 v2, 2, v87
	ds_load_b32 v2, v2
	ds_load_b64 v[23:24], v20 offset:13312
	s_wait_dscnt 0x1
	v_add_nc_u32_e32 v2, v2, v36
	s_delay_alu instid0(VALU_DEP_1) | instskip(NEXT) | instid1(VALU_DEP_1)
	v_lshlrev_b64_e32 v[25:26], 3, v[2:3]
	v_add_co_u32 v25, s15, s26, v25
	s_wait_alu 0xf1ff
	s_delay_alu instid0(VALU_DEP_2)
	v_add_co_ci_u32_e64 v26, null, s27, v26, s15
	s_wait_dscnt 0x0
	global_store_b64 v[25:26], v[23:24], off
	s_wait_alu 0xfffe
	s_or_b32 exec_lo, exec_lo, s16
	s_and_saveexec_b32 s15, vcc_lo
	s_cbranch_execnz .LBB118_641
	s_branch .LBB118_642
.LBB118_673:                            ;   in Loop: Header=BB118_566 Depth=2
	global_load_u8 v96, v[20:21], off offset:32
	s_wait_alu 0xfffe
	s_or_b32 exec_lo, exec_lo, s15
	s_delay_alu instid0(SALU_CYCLE_1)
	s_mov_b32 s15, exec_lo
	v_cmpx_gt_u32_e64 s42, v72
	s_cbranch_execz .LBB118_573
.LBB118_674:                            ;   in Loop: Header=BB118_566 Depth=2
	global_load_u8 v27, v[20:21], off offset:64
	s_wait_alu 0xfffe
	s_or_b32 exec_lo, exec_lo, s15
	s_delay_alu instid0(SALU_CYCLE_1)
	s_mov_b32 s15, exec_lo
	v_cmpx_gt_u32_e64 s42, v73
	s_cbranch_execz .LBB118_574
.LBB118_675:                            ;   in Loop: Header=BB118_566 Depth=2
	global_load_u8 v26, v[20:21], off offset:96
	s_wait_alu 0xfffe
	s_or_b32 exec_lo, exec_lo, s15
	s_delay_alu instid0(SALU_CYCLE_1)
	s_mov_b32 s15, exec_lo
	v_cmpx_gt_u32_e64 s42, v74
	s_cbranch_execz .LBB118_575
.LBB118_676:                            ;   in Loop: Header=BB118_566 Depth=2
	global_load_u8 v25, v[20:21], off offset:128
	s_wait_alu 0xfffe
	s_or_b32 exec_lo, exec_lo, s15
	s_delay_alu instid0(SALU_CYCLE_1)
	s_mov_b32 s15, exec_lo
	v_cmpx_gt_u32_e64 s42, v75
	s_cbranch_execz .LBB118_576
.LBB118_677:                            ;   in Loop: Header=BB118_566 Depth=2
	global_load_u8 v24, v[20:21], off offset:160
	s_wait_alu 0xfffe
	s_or_b32 exec_lo, exec_lo, s15
	s_delay_alu instid0(SALU_CYCLE_1)
	s_mov_b32 s15, exec_lo
	v_cmpx_gt_u32_e64 s42, v76
	s_cbranch_execnz .LBB118_577
	s_branch .LBB118_578
.LBB118_678:
	s_endpgm
	.section	.rodata,"a",@progbits
	.p2align	6, 0x0
	.amdhsa_kernel _ZN7rocprim17ROCPRIM_400000_NS6detail17trampoline_kernelINS0_14default_configENS1_36segmented_radix_sort_config_selectorIhlEEZNS1_25segmented_radix_sort_implIS3_Lb1EPKhPhPKlPlN2at6native12_GLOBAL__N_18offset_tEEE10hipError_tPvRmT1_PNSt15iterator_traitsISK_E10value_typeET2_T3_PNSL_ISQ_E10value_typeET4_jRbjT5_SW_jjP12ihipStream_tbEUlT_E2_NS1_11comp_targetILNS1_3genE10ELNS1_11target_archE1201ELNS1_3gpuE5ELNS1_3repE0EEENS1_30default_config_static_selectorELNS0_4arch9wavefront6targetE0EEEvSK_
		.amdhsa_group_segment_fixed_size 17440
		.amdhsa_private_segment_fixed_size 0
		.amdhsa_kernarg_size 336
		.amdhsa_user_sgpr_count 2
		.amdhsa_user_sgpr_dispatch_ptr 0
		.amdhsa_user_sgpr_queue_ptr 0
		.amdhsa_user_sgpr_kernarg_segment_ptr 1
		.amdhsa_user_sgpr_dispatch_id 0
		.amdhsa_user_sgpr_private_segment_size 0
		.amdhsa_wavefront_size32 1
		.amdhsa_uses_dynamic_stack 0
		.amdhsa_enable_private_segment 0
		.amdhsa_system_sgpr_workgroup_id_x 1
		.amdhsa_system_sgpr_workgroup_id_y 1
		.amdhsa_system_sgpr_workgroup_id_z 0
		.amdhsa_system_sgpr_workgroup_info 0
		.amdhsa_system_vgpr_workitem_id 2
		.amdhsa_next_free_vgpr 197
		.amdhsa_next_free_sgpr 50
		.amdhsa_reserve_vcc 1
		.amdhsa_float_round_mode_32 0
		.amdhsa_float_round_mode_16_64 0
		.amdhsa_float_denorm_mode_32 3
		.amdhsa_float_denorm_mode_16_64 3
		.amdhsa_fp16_overflow 0
		.amdhsa_workgroup_processor_mode 1
		.amdhsa_memory_ordered 1
		.amdhsa_forward_progress 1
		.amdhsa_inst_pref_size 255
		.amdhsa_round_robin_scheduling 0
		.amdhsa_exception_fp_ieee_invalid_op 0
		.amdhsa_exception_fp_denorm_src 0
		.amdhsa_exception_fp_ieee_div_zero 0
		.amdhsa_exception_fp_ieee_overflow 0
		.amdhsa_exception_fp_ieee_underflow 0
		.amdhsa_exception_fp_ieee_inexact 0
		.amdhsa_exception_int_div_zero 0
	.end_amdhsa_kernel
	.section	.text._ZN7rocprim17ROCPRIM_400000_NS6detail17trampoline_kernelINS0_14default_configENS1_36segmented_radix_sort_config_selectorIhlEEZNS1_25segmented_radix_sort_implIS3_Lb1EPKhPhPKlPlN2at6native12_GLOBAL__N_18offset_tEEE10hipError_tPvRmT1_PNSt15iterator_traitsISK_E10value_typeET2_T3_PNSL_ISQ_E10value_typeET4_jRbjT5_SW_jjP12ihipStream_tbEUlT_E2_NS1_11comp_targetILNS1_3genE10ELNS1_11target_archE1201ELNS1_3gpuE5ELNS1_3repE0EEENS1_30default_config_static_selectorELNS0_4arch9wavefront6targetE0EEEvSK_,"axG",@progbits,_ZN7rocprim17ROCPRIM_400000_NS6detail17trampoline_kernelINS0_14default_configENS1_36segmented_radix_sort_config_selectorIhlEEZNS1_25segmented_radix_sort_implIS3_Lb1EPKhPhPKlPlN2at6native12_GLOBAL__N_18offset_tEEE10hipError_tPvRmT1_PNSt15iterator_traitsISK_E10value_typeET2_T3_PNSL_ISQ_E10value_typeET4_jRbjT5_SW_jjP12ihipStream_tbEUlT_E2_NS1_11comp_targetILNS1_3genE10ELNS1_11target_archE1201ELNS1_3gpuE5ELNS1_3repE0EEENS1_30default_config_static_selectorELNS0_4arch9wavefront6targetE0EEEvSK_,comdat
.Lfunc_end118:
	.size	_ZN7rocprim17ROCPRIM_400000_NS6detail17trampoline_kernelINS0_14default_configENS1_36segmented_radix_sort_config_selectorIhlEEZNS1_25segmented_radix_sort_implIS3_Lb1EPKhPhPKlPlN2at6native12_GLOBAL__N_18offset_tEEE10hipError_tPvRmT1_PNSt15iterator_traitsISK_E10value_typeET2_T3_PNSL_ISQ_E10value_typeET4_jRbjT5_SW_jjP12ihipStream_tbEUlT_E2_NS1_11comp_targetILNS1_3genE10ELNS1_11target_archE1201ELNS1_3gpuE5ELNS1_3repE0EEENS1_30default_config_static_selectorELNS0_4arch9wavefront6targetE0EEEvSK_, .Lfunc_end118-_ZN7rocprim17ROCPRIM_400000_NS6detail17trampoline_kernelINS0_14default_configENS1_36segmented_radix_sort_config_selectorIhlEEZNS1_25segmented_radix_sort_implIS3_Lb1EPKhPhPKlPlN2at6native12_GLOBAL__N_18offset_tEEE10hipError_tPvRmT1_PNSt15iterator_traitsISK_E10value_typeET2_T3_PNSL_ISQ_E10value_typeET4_jRbjT5_SW_jjP12ihipStream_tbEUlT_E2_NS1_11comp_targetILNS1_3genE10ELNS1_11target_archE1201ELNS1_3gpuE5ELNS1_3repE0EEENS1_30default_config_static_selectorELNS0_4arch9wavefront6targetE0EEEvSK_
                                        ; -- End function
	.set _ZN7rocprim17ROCPRIM_400000_NS6detail17trampoline_kernelINS0_14default_configENS1_36segmented_radix_sort_config_selectorIhlEEZNS1_25segmented_radix_sort_implIS3_Lb1EPKhPhPKlPlN2at6native12_GLOBAL__N_18offset_tEEE10hipError_tPvRmT1_PNSt15iterator_traitsISK_E10value_typeET2_T3_PNSL_ISQ_E10value_typeET4_jRbjT5_SW_jjP12ihipStream_tbEUlT_E2_NS1_11comp_targetILNS1_3genE10ELNS1_11target_archE1201ELNS1_3gpuE5ELNS1_3repE0EEENS1_30default_config_static_selectorELNS0_4arch9wavefront6targetE0EEEvSK_.num_vgpr, max(133, .L_ZN7rocprim17ROCPRIM_400000_NS6detail26segmented_warp_sort_helperINS1_20WarpSortHelperConfigILj8ELj4ELj256EEEhlLi256ELb1EvE4sortIPKhPhPKlPlEEvT_T0_T1_T2_jjjjRNS5_12storage_typeE.num_vgpr, .L_ZN7rocprim17ROCPRIM_400000_NS6detail40segmented_radix_sort_single_block_helperIhlLj256ELj8ELb1EE4sortIPKhPhPKlPlEEbT_T0_T1_T2_jjjjRNS3_12storage_typeE.num_vgpr)
	.set _ZN7rocprim17ROCPRIM_400000_NS6detail17trampoline_kernelINS0_14default_configENS1_36segmented_radix_sort_config_selectorIhlEEZNS1_25segmented_radix_sort_implIS3_Lb1EPKhPhPKlPlN2at6native12_GLOBAL__N_18offset_tEEE10hipError_tPvRmT1_PNSt15iterator_traitsISK_E10value_typeET2_T3_PNSL_ISQ_E10value_typeET4_jRbjT5_SW_jjP12ihipStream_tbEUlT_E2_NS1_11comp_targetILNS1_3genE10ELNS1_11target_archE1201ELNS1_3gpuE5ELNS1_3repE0EEENS1_30default_config_static_selectorELNS0_4arch9wavefront6targetE0EEEvSK_.num_agpr, max(0, .L_ZN7rocprim17ROCPRIM_400000_NS6detail26segmented_warp_sort_helperINS1_20WarpSortHelperConfigILj8ELj4ELj256EEEhlLi256ELb1EvE4sortIPKhPhPKlPlEEvT_T0_T1_T2_jjjjRNS5_12storage_typeE.num_agpr, .L_ZN7rocprim17ROCPRIM_400000_NS6detail40segmented_radix_sort_single_block_helperIhlLj256ELj8ELb1EE4sortIPKhPhPKlPlEEbT_T0_T1_T2_jjjjRNS3_12storage_typeE.num_agpr)
	.set _ZN7rocprim17ROCPRIM_400000_NS6detail17trampoline_kernelINS0_14default_configENS1_36segmented_radix_sort_config_selectorIhlEEZNS1_25segmented_radix_sort_implIS3_Lb1EPKhPhPKlPlN2at6native12_GLOBAL__N_18offset_tEEE10hipError_tPvRmT1_PNSt15iterator_traitsISK_E10value_typeET2_T3_PNSL_ISQ_E10value_typeET4_jRbjT5_SW_jjP12ihipStream_tbEUlT_E2_NS1_11comp_targetILNS1_3genE10ELNS1_11target_archE1201ELNS1_3gpuE5ELNS1_3repE0EEENS1_30default_config_static_selectorELNS0_4arch9wavefront6targetE0EEEvSK_.numbered_sgpr, max(50, .L_ZN7rocprim17ROCPRIM_400000_NS6detail26segmented_warp_sort_helperINS1_20WarpSortHelperConfigILj8ELj4ELj256EEEhlLi256ELb1EvE4sortIPKhPhPKlPlEEvT_T0_T1_T2_jjjjRNS5_12storage_typeE.numbered_sgpr, .L_ZN7rocprim17ROCPRIM_400000_NS6detail40segmented_radix_sort_single_block_helperIhlLj256ELj8ELb1EE4sortIPKhPhPKlPlEEbT_T0_T1_T2_jjjjRNS3_12storage_typeE.numbered_sgpr)
	.set _ZN7rocprim17ROCPRIM_400000_NS6detail17trampoline_kernelINS0_14default_configENS1_36segmented_radix_sort_config_selectorIhlEEZNS1_25segmented_radix_sort_implIS3_Lb1EPKhPhPKlPlN2at6native12_GLOBAL__N_18offset_tEEE10hipError_tPvRmT1_PNSt15iterator_traitsISK_E10value_typeET2_T3_PNSL_ISQ_E10value_typeET4_jRbjT5_SW_jjP12ihipStream_tbEUlT_E2_NS1_11comp_targetILNS1_3genE10ELNS1_11target_archE1201ELNS1_3gpuE5ELNS1_3repE0EEENS1_30default_config_static_selectorELNS0_4arch9wavefront6targetE0EEEvSK_.num_named_barrier, max(0, .L_ZN7rocprim17ROCPRIM_400000_NS6detail26segmented_warp_sort_helperINS1_20WarpSortHelperConfigILj8ELj4ELj256EEEhlLi256ELb1EvE4sortIPKhPhPKlPlEEvT_T0_T1_T2_jjjjRNS5_12storage_typeE.num_named_barrier, .L_ZN7rocprim17ROCPRIM_400000_NS6detail40segmented_radix_sort_single_block_helperIhlLj256ELj8ELb1EE4sortIPKhPhPKlPlEEbT_T0_T1_T2_jjjjRNS3_12storage_typeE.num_named_barrier)
	.set _ZN7rocprim17ROCPRIM_400000_NS6detail17trampoline_kernelINS0_14default_configENS1_36segmented_radix_sort_config_selectorIhlEEZNS1_25segmented_radix_sort_implIS3_Lb1EPKhPhPKlPlN2at6native12_GLOBAL__N_18offset_tEEE10hipError_tPvRmT1_PNSt15iterator_traitsISK_E10value_typeET2_T3_PNSL_ISQ_E10value_typeET4_jRbjT5_SW_jjP12ihipStream_tbEUlT_E2_NS1_11comp_targetILNS1_3genE10ELNS1_11target_archE1201ELNS1_3gpuE5ELNS1_3repE0EEENS1_30default_config_static_selectorELNS0_4arch9wavefront6targetE0EEEvSK_.private_seg_size, 0+max(.L_ZN7rocprim17ROCPRIM_400000_NS6detail26segmented_warp_sort_helperINS1_20WarpSortHelperConfigILj8ELj4ELj256EEEhlLi256ELb1EvE4sortIPKhPhPKlPlEEvT_T0_T1_T2_jjjjRNS5_12storage_typeE.private_seg_size, .L_ZN7rocprim17ROCPRIM_400000_NS6detail40segmented_radix_sort_single_block_helperIhlLj256ELj8ELb1EE4sortIPKhPhPKlPlEEbT_T0_T1_T2_jjjjRNS3_12storage_typeE.private_seg_size)
	.set _ZN7rocprim17ROCPRIM_400000_NS6detail17trampoline_kernelINS0_14default_configENS1_36segmented_radix_sort_config_selectorIhlEEZNS1_25segmented_radix_sort_implIS3_Lb1EPKhPhPKlPlN2at6native12_GLOBAL__N_18offset_tEEE10hipError_tPvRmT1_PNSt15iterator_traitsISK_E10value_typeET2_T3_PNSL_ISQ_E10value_typeET4_jRbjT5_SW_jjP12ihipStream_tbEUlT_E2_NS1_11comp_targetILNS1_3genE10ELNS1_11target_archE1201ELNS1_3gpuE5ELNS1_3repE0EEENS1_30default_config_static_selectorELNS0_4arch9wavefront6targetE0EEEvSK_.uses_vcc, or(1, .L_ZN7rocprim17ROCPRIM_400000_NS6detail26segmented_warp_sort_helperINS1_20WarpSortHelperConfigILj8ELj4ELj256EEEhlLi256ELb1EvE4sortIPKhPhPKlPlEEvT_T0_T1_T2_jjjjRNS5_12storage_typeE.uses_vcc, .L_ZN7rocprim17ROCPRIM_400000_NS6detail40segmented_radix_sort_single_block_helperIhlLj256ELj8ELb1EE4sortIPKhPhPKlPlEEbT_T0_T1_T2_jjjjRNS3_12storage_typeE.uses_vcc)
	.set _ZN7rocprim17ROCPRIM_400000_NS6detail17trampoline_kernelINS0_14default_configENS1_36segmented_radix_sort_config_selectorIhlEEZNS1_25segmented_radix_sort_implIS3_Lb1EPKhPhPKlPlN2at6native12_GLOBAL__N_18offset_tEEE10hipError_tPvRmT1_PNSt15iterator_traitsISK_E10value_typeET2_T3_PNSL_ISQ_E10value_typeET4_jRbjT5_SW_jjP12ihipStream_tbEUlT_E2_NS1_11comp_targetILNS1_3genE10ELNS1_11target_archE1201ELNS1_3gpuE5ELNS1_3repE0EEENS1_30default_config_static_selectorELNS0_4arch9wavefront6targetE0EEEvSK_.uses_flat_scratch, or(0, .L_ZN7rocprim17ROCPRIM_400000_NS6detail26segmented_warp_sort_helperINS1_20WarpSortHelperConfigILj8ELj4ELj256EEEhlLi256ELb1EvE4sortIPKhPhPKlPlEEvT_T0_T1_T2_jjjjRNS5_12storage_typeE.uses_flat_scratch, .L_ZN7rocprim17ROCPRIM_400000_NS6detail40segmented_radix_sort_single_block_helperIhlLj256ELj8ELb1EE4sortIPKhPhPKlPlEEbT_T0_T1_T2_jjjjRNS3_12storage_typeE.uses_flat_scratch)
	.set _ZN7rocprim17ROCPRIM_400000_NS6detail17trampoline_kernelINS0_14default_configENS1_36segmented_radix_sort_config_selectorIhlEEZNS1_25segmented_radix_sort_implIS3_Lb1EPKhPhPKlPlN2at6native12_GLOBAL__N_18offset_tEEE10hipError_tPvRmT1_PNSt15iterator_traitsISK_E10value_typeET2_T3_PNSL_ISQ_E10value_typeET4_jRbjT5_SW_jjP12ihipStream_tbEUlT_E2_NS1_11comp_targetILNS1_3genE10ELNS1_11target_archE1201ELNS1_3gpuE5ELNS1_3repE0EEENS1_30default_config_static_selectorELNS0_4arch9wavefront6targetE0EEEvSK_.has_dyn_sized_stack, or(0, .L_ZN7rocprim17ROCPRIM_400000_NS6detail26segmented_warp_sort_helperINS1_20WarpSortHelperConfigILj8ELj4ELj256EEEhlLi256ELb1EvE4sortIPKhPhPKlPlEEvT_T0_T1_T2_jjjjRNS5_12storage_typeE.has_dyn_sized_stack, .L_ZN7rocprim17ROCPRIM_400000_NS6detail40segmented_radix_sort_single_block_helperIhlLj256ELj8ELb1EE4sortIPKhPhPKlPlEEbT_T0_T1_T2_jjjjRNS3_12storage_typeE.has_dyn_sized_stack)
	.set _ZN7rocprim17ROCPRIM_400000_NS6detail17trampoline_kernelINS0_14default_configENS1_36segmented_radix_sort_config_selectorIhlEEZNS1_25segmented_radix_sort_implIS3_Lb1EPKhPhPKlPlN2at6native12_GLOBAL__N_18offset_tEEE10hipError_tPvRmT1_PNSt15iterator_traitsISK_E10value_typeET2_T3_PNSL_ISQ_E10value_typeET4_jRbjT5_SW_jjP12ihipStream_tbEUlT_E2_NS1_11comp_targetILNS1_3genE10ELNS1_11target_archE1201ELNS1_3gpuE5ELNS1_3repE0EEENS1_30default_config_static_selectorELNS0_4arch9wavefront6targetE0EEEvSK_.has_recursion, or(0, .L_ZN7rocprim17ROCPRIM_400000_NS6detail26segmented_warp_sort_helperINS1_20WarpSortHelperConfigILj8ELj4ELj256EEEhlLi256ELb1EvE4sortIPKhPhPKlPlEEvT_T0_T1_T2_jjjjRNS5_12storage_typeE.has_recursion, .L_ZN7rocprim17ROCPRIM_400000_NS6detail40segmented_radix_sort_single_block_helperIhlLj256ELj8ELb1EE4sortIPKhPhPKlPlEEbT_T0_T1_T2_jjjjRNS3_12storage_typeE.has_recursion)
	.set _ZN7rocprim17ROCPRIM_400000_NS6detail17trampoline_kernelINS0_14default_configENS1_36segmented_radix_sort_config_selectorIhlEEZNS1_25segmented_radix_sort_implIS3_Lb1EPKhPhPKlPlN2at6native12_GLOBAL__N_18offset_tEEE10hipError_tPvRmT1_PNSt15iterator_traitsISK_E10value_typeET2_T3_PNSL_ISQ_E10value_typeET4_jRbjT5_SW_jjP12ihipStream_tbEUlT_E2_NS1_11comp_targetILNS1_3genE10ELNS1_11target_archE1201ELNS1_3gpuE5ELNS1_3repE0EEENS1_30default_config_static_selectorELNS0_4arch9wavefront6targetE0EEEvSK_.has_indirect_call, or(0, .L_ZN7rocprim17ROCPRIM_400000_NS6detail26segmented_warp_sort_helperINS1_20WarpSortHelperConfigILj8ELj4ELj256EEEhlLi256ELb1EvE4sortIPKhPhPKlPlEEvT_T0_T1_T2_jjjjRNS5_12storage_typeE.has_indirect_call, .L_ZN7rocprim17ROCPRIM_400000_NS6detail40segmented_radix_sort_single_block_helperIhlLj256ELj8ELb1EE4sortIPKhPhPKlPlEEbT_T0_T1_T2_jjjjRNS3_12storage_typeE.has_indirect_call)
	.section	.AMDGPU.csdata,"",@progbits
; Kernel info:
; codeLenInByte = 42868
; TotalNumSgprs: 52
; NumVgprs: 197
; ScratchSize: 0
; MemoryBound: 0
; FloatMode: 240
; IeeeMode: 1
; LDSByteSize: 17440 bytes/workgroup (compile time only)
; SGPRBlocks: 0
; VGPRBlocks: 24
; NumSGPRsForWavesPerEU: 52
; NumVGPRsForWavesPerEU: 197
; Occupancy: 7
; WaveLimiterHint : 1
; COMPUTE_PGM_RSRC2:SCRATCH_EN: 0
; COMPUTE_PGM_RSRC2:USER_SGPR: 2
; COMPUTE_PGM_RSRC2:TRAP_HANDLER: 0
; COMPUTE_PGM_RSRC2:TGID_X_EN: 1
; COMPUTE_PGM_RSRC2:TGID_Y_EN: 1
; COMPUTE_PGM_RSRC2:TGID_Z_EN: 0
; COMPUTE_PGM_RSRC2:TIDIG_COMP_CNT: 2
	.section	.text._ZN7rocprim17ROCPRIM_400000_NS6detail17trampoline_kernelINS0_14default_configENS1_36segmented_radix_sort_config_selectorIhlEEZNS1_25segmented_radix_sort_implIS3_Lb1EPKhPhPKlPlN2at6native12_GLOBAL__N_18offset_tEEE10hipError_tPvRmT1_PNSt15iterator_traitsISK_E10value_typeET2_T3_PNSL_ISQ_E10value_typeET4_jRbjT5_SW_jjP12ihipStream_tbEUlT_E2_NS1_11comp_targetILNS1_3genE10ELNS1_11target_archE1200ELNS1_3gpuE4ELNS1_3repE0EEENS1_30default_config_static_selectorELNS0_4arch9wavefront6targetE0EEEvSK_,"axG",@progbits,_ZN7rocprim17ROCPRIM_400000_NS6detail17trampoline_kernelINS0_14default_configENS1_36segmented_radix_sort_config_selectorIhlEEZNS1_25segmented_radix_sort_implIS3_Lb1EPKhPhPKlPlN2at6native12_GLOBAL__N_18offset_tEEE10hipError_tPvRmT1_PNSt15iterator_traitsISK_E10value_typeET2_T3_PNSL_ISQ_E10value_typeET4_jRbjT5_SW_jjP12ihipStream_tbEUlT_E2_NS1_11comp_targetILNS1_3genE10ELNS1_11target_archE1200ELNS1_3gpuE4ELNS1_3repE0EEENS1_30default_config_static_selectorELNS0_4arch9wavefront6targetE0EEEvSK_,comdat
	.globl	_ZN7rocprim17ROCPRIM_400000_NS6detail17trampoline_kernelINS0_14default_configENS1_36segmented_radix_sort_config_selectorIhlEEZNS1_25segmented_radix_sort_implIS3_Lb1EPKhPhPKlPlN2at6native12_GLOBAL__N_18offset_tEEE10hipError_tPvRmT1_PNSt15iterator_traitsISK_E10value_typeET2_T3_PNSL_ISQ_E10value_typeET4_jRbjT5_SW_jjP12ihipStream_tbEUlT_E2_NS1_11comp_targetILNS1_3genE10ELNS1_11target_archE1200ELNS1_3gpuE4ELNS1_3repE0EEENS1_30default_config_static_selectorELNS0_4arch9wavefront6targetE0EEEvSK_ ; -- Begin function _ZN7rocprim17ROCPRIM_400000_NS6detail17trampoline_kernelINS0_14default_configENS1_36segmented_radix_sort_config_selectorIhlEEZNS1_25segmented_radix_sort_implIS3_Lb1EPKhPhPKlPlN2at6native12_GLOBAL__N_18offset_tEEE10hipError_tPvRmT1_PNSt15iterator_traitsISK_E10value_typeET2_T3_PNSL_ISQ_E10value_typeET4_jRbjT5_SW_jjP12ihipStream_tbEUlT_E2_NS1_11comp_targetILNS1_3genE10ELNS1_11target_archE1200ELNS1_3gpuE4ELNS1_3repE0EEENS1_30default_config_static_selectorELNS0_4arch9wavefront6targetE0EEEvSK_
	.p2align	8
	.type	_ZN7rocprim17ROCPRIM_400000_NS6detail17trampoline_kernelINS0_14default_configENS1_36segmented_radix_sort_config_selectorIhlEEZNS1_25segmented_radix_sort_implIS3_Lb1EPKhPhPKlPlN2at6native12_GLOBAL__N_18offset_tEEE10hipError_tPvRmT1_PNSt15iterator_traitsISK_E10value_typeET2_T3_PNSL_ISQ_E10value_typeET4_jRbjT5_SW_jjP12ihipStream_tbEUlT_E2_NS1_11comp_targetILNS1_3genE10ELNS1_11target_archE1200ELNS1_3gpuE4ELNS1_3repE0EEENS1_30default_config_static_selectorELNS0_4arch9wavefront6targetE0EEEvSK_,@function
_ZN7rocprim17ROCPRIM_400000_NS6detail17trampoline_kernelINS0_14default_configENS1_36segmented_radix_sort_config_selectorIhlEEZNS1_25segmented_radix_sort_implIS3_Lb1EPKhPhPKlPlN2at6native12_GLOBAL__N_18offset_tEEE10hipError_tPvRmT1_PNSt15iterator_traitsISK_E10value_typeET2_T3_PNSL_ISQ_E10value_typeET4_jRbjT5_SW_jjP12ihipStream_tbEUlT_E2_NS1_11comp_targetILNS1_3genE10ELNS1_11target_archE1200ELNS1_3gpuE4ELNS1_3repE0EEENS1_30default_config_static_selectorELNS0_4arch9wavefront6targetE0EEEvSK_: ; @_ZN7rocprim17ROCPRIM_400000_NS6detail17trampoline_kernelINS0_14default_configENS1_36segmented_radix_sort_config_selectorIhlEEZNS1_25segmented_radix_sort_implIS3_Lb1EPKhPhPKlPlN2at6native12_GLOBAL__N_18offset_tEEE10hipError_tPvRmT1_PNSt15iterator_traitsISK_E10value_typeET2_T3_PNSL_ISQ_E10value_typeET4_jRbjT5_SW_jjP12ihipStream_tbEUlT_E2_NS1_11comp_targetILNS1_3genE10ELNS1_11target_archE1200ELNS1_3gpuE4ELNS1_3repE0EEENS1_30default_config_static_selectorELNS0_4arch9wavefront6targetE0EEEvSK_
; %bb.0:
	.section	.rodata,"a",@progbits
	.p2align	6, 0x0
	.amdhsa_kernel _ZN7rocprim17ROCPRIM_400000_NS6detail17trampoline_kernelINS0_14default_configENS1_36segmented_radix_sort_config_selectorIhlEEZNS1_25segmented_radix_sort_implIS3_Lb1EPKhPhPKlPlN2at6native12_GLOBAL__N_18offset_tEEE10hipError_tPvRmT1_PNSt15iterator_traitsISK_E10value_typeET2_T3_PNSL_ISQ_E10value_typeET4_jRbjT5_SW_jjP12ihipStream_tbEUlT_E2_NS1_11comp_targetILNS1_3genE10ELNS1_11target_archE1200ELNS1_3gpuE4ELNS1_3repE0EEENS1_30default_config_static_selectorELNS0_4arch9wavefront6targetE0EEEvSK_
		.amdhsa_group_segment_fixed_size 0
		.amdhsa_private_segment_fixed_size 0
		.amdhsa_kernarg_size 80
		.amdhsa_user_sgpr_count 2
		.amdhsa_user_sgpr_dispatch_ptr 0
		.amdhsa_user_sgpr_queue_ptr 0
		.amdhsa_user_sgpr_kernarg_segment_ptr 1
		.amdhsa_user_sgpr_dispatch_id 0
		.amdhsa_user_sgpr_private_segment_size 0
		.amdhsa_wavefront_size32 1
		.amdhsa_uses_dynamic_stack 0
		.amdhsa_enable_private_segment 0
		.amdhsa_system_sgpr_workgroup_id_x 1
		.amdhsa_system_sgpr_workgroup_id_y 0
		.amdhsa_system_sgpr_workgroup_id_z 0
		.amdhsa_system_sgpr_workgroup_info 0
		.amdhsa_system_vgpr_workitem_id 0
		.amdhsa_next_free_vgpr 1
		.amdhsa_next_free_sgpr 1
		.amdhsa_reserve_vcc 0
		.amdhsa_float_round_mode_32 0
		.amdhsa_float_round_mode_16_64 0
		.amdhsa_float_denorm_mode_32 3
		.amdhsa_float_denorm_mode_16_64 3
		.amdhsa_fp16_overflow 0
		.amdhsa_workgroup_processor_mode 1
		.amdhsa_memory_ordered 1
		.amdhsa_forward_progress 1
		.amdhsa_inst_pref_size 0
		.amdhsa_round_robin_scheduling 0
		.amdhsa_exception_fp_ieee_invalid_op 0
		.amdhsa_exception_fp_denorm_src 0
		.amdhsa_exception_fp_ieee_div_zero 0
		.amdhsa_exception_fp_ieee_overflow 0
		.amdhsa_exception_fp_ieee_underflow 0
		.amdhsa_exception_fp_ieee_inexact 0
		.amdhsa_exception_int_div_zero 0
	.end_amdhsa_kernel
	.section	.text._ZN7rocprim17ROCPRIM_400000_NS6detail17trampoline_kernelINS0_14default_configENS1_36segmented_radix_sort_config_selectorIhlEEZNS1_25segmented_radix_sort_implIS3_Lb1EPKhPhPKlPlN2at6native12_GLOBAL__N_18offset_tEEE10hipError_tPvRmT1_PNSt15iterator_traitsISK_E10value_typeET2_T3_PNSL_ISQ_E10value_typeET4_jRbjT5_SW_jjP12ihipStream_tbEUlT_E2_NS1_11comp_targetILNS1_3genE10ELNS1_11target_archE1200ELNS1_3gpuE4ELNS1_3repE0EEENS1_30default_config_static_selectorELNS0_4arch9wavefront6targetE0EEEvSK_,"axG",@progbits,_ZN7rocprim17ROCPRIM_400000_NS6detail17trampoline_kernelINS0_14default_configENS1_36segmented_radix_sort_config_selectorIhlEEZNS1_25segmented_radix_sort_implIS3_Lb1EPKhPhPKlPlN2at6native12_GLOBAL__N_18offset_tEEE10hipError_tPvRmT1_PNSt15iterator_traitsISK_E10value_typeET2_T3_PNSL_ISQ_E10value_typeET4_jRbjT5_SW_jjP12ihipStream_tbEUlT_E2_NS1_11comp_targetILNS1_3genE10ELNS1_11target_archE1200ELNS1_3gpuE4ELNS1_3repE0EEENS1_30default_config_static_selectorELNS0_4arch9wavefront6targetE0EEEvSK_,comdat
.Lfunc_end119:
	.size	_ZN7rocprim17ROCPRIM_400000_NS6detail17trampoline_kernelINS0_14default_configENS1_36segmented_radix_sort_config_selectorIhlEEZNS1_25segmented_radix_sort_implIS3_Lb1EPKhPhPKlPlN2at6native12_GLOBAL__N_18offset_tEEE10hipError_tPvRmT1_PNSt15iterator_traitsISK_E10value_typeET2_T3_PNSL_ISQ_E10value_typeET4_jRbjT5_SW_jjP12ihipStream_tbEUlT_E2_NS1_11comp_targetILNS1_3genE10ELNS1_11target_archE1200ELNS1_3gpuE4ELNS1_3repE0EEENS1_30default_config_static_selectorELNS0_4arch9wavefront6targetE0EEEvSK_, .Lfunc_end119-_ZN7rocprim17ROCPRIM_400000_NS6detail17trampoline_kernelINS0_14default_configENS1_36segmented_radix_sort_config_selectorIhlEEZNS1_25segmented_radix_sort_implIS3_Lb1EPKhPhPKlPlN2at6native12_GLOBAL__N_18offset_tEEE10hipError_tPvRmT1_PNSt15iterator_traitsISK_E10value_typeET2_T3_PNSL_ISQ_E10value_typeET4_jRbjT5_SW_jjP12ihipStream_tbEUlT_E2_NS1_11comp_targetILNS1_3genE10ELNS1_11target_archE1200ELNS1_3gpuE4ELNS1_3repE0EEENS1_30default_config_static_selectorELNS0_4arch9wavefront6targetE0EEEvSK_
                                        ; -- End function
	.set _ZN7rocprim17ROCPRIM_400000_NS6detail17trampoline_kernelINS0_14default_configENS1_36segmented_radix_sort_config_selectorIhlEEZNS1_25segmented_radix_sort_implIS3_Lb1EPKhPhPKlPlN2at6native12_GLOBAL__N_18offset_tEEE10hipError_tPvRmT1_PNSt15iterator_traitsISK_E10value_typeET2_T3_PNSL_ISQ_E10value_typeET4_jRbjT5_SW_jjP12ihipStream_tbEUlT_E2_NS1_11comp_targetILNS1_3genE10ELNS1_11target_archE1200ELNS1_3gpuE4ELNS1_3repE0EEENS1_30default_config_static_selectorELNS0_4arch9wavefront6targetE0EEEvSK_.num_vgpr, 0
	.set _ZN7rocprim17ROCPRIM_400000_NS6detail17trampoline_kernelINS0_14default_configENS1_36segmented_radix_sort_config_selectorIhlEEZNS1_25segmented_radix_sort_implIS3_Lb1EPKhPhPKlPlN2at6native12_GLOBAL__N_18offset_tEEE10hipError_tPvRmT1_PNSt15iterator_traitsISK_E10value_typeET2_T3_PNSL_ISQ_E10value_typeET4_jRbjT5_SW_jjP12ihipStream_tbEUlT_E2_NS1_11comp_targetILNS1_3genE10ELNS1_11target_archE1200ELNS1_3gpuE4ELNS1_3repE0EEENS1_30default_config_static_selectorELNS0_4arch9wavefront6targetE0EEEvSK_.num_agpr, 0
	.set _ZN7rocprim17ROCPRIM_400000_NS6detail17trampoline_kernelINS0_14default_configENS1_36segmented_radix_sort_config_selectorIhlEEZNS1_25segmented_radix_sort_implIS3_Lb1EPKhPhPKlPlN2at6native12_GLOBAL__N_18offset_tEEE10hipError_tPvRmT1_PNSt15iterator_traitsISK_E10value_typeET2_T3_PNSL_ISQ_E10value_typeET4_jRbjT5_SW_jjP12ihipStream_tbEUlT_E2_NS1_11comp_targetILNS1_3genE10ELNS1_11target_archE1200ELNS1_3gpuE4ELNS1_3repE0EEENS1_30default_config_static_selectorELNS0_4arch9wavefront6targetE0EEEvSK_.numbered_sgpr, 0
	.set _ZN7rocprim17ROCPRIM_400000_NS6detail17trampoline_kernelINS0_14default_configENS1_36segmented_radix_sort_config_selectorIhlEEZNS1_25segmented_radix_sort_implIS3_Lb1EPKhPhPKlPlN2at6native12_GLOBAL__N_18offset_tEEE10hipError_tPvRmT1_PNSt15iterator_traitsISK_E10value_typeET2_T3_PNSL_ISQ_E10value_typeET4_jRbjT5_SW_jjP12ihipStream_tbEUlT_E2_NS1_11comp_targetILNS1_3genE10ELNS1_11target_archE1200ELNS1_3gpuE4ELNS1_3repE0EEENS1_30default_config_static_selectorELNS0_4arch9wavefront6targetE0EEEvSK_.num_named_barrier, 0
	.set _ZN7rocprim17ROCPRIM_400000_NS6detail17trampoline_kernelINS0_14default_configENS1_36segmented_radix_sort_config_selectorIhlEEZNS1_25segmented_radix_sort_implIS3_Lb1EPKhPhPKlPlN2at6native12_GLOBAL__N_18offset_tEEE10hipError_tPvRmT1_PNSt15iterator_traitsISK_E10value_typeET2_T3_PNSL_ISQ_E10value_typeET4_jRbjT5_SW_jjP12ihipStream_tbEUlT_E2_NS1_11comp_targetILNS1_3genE10ELNS1_11target_archE1200ELNS1_3gpuE4ELNS1_3repE0EEENS1_30default_config_static_selectorELNS0_4arch9wavefront6targetE0EEEvSK_.private_seg_size, 0
	.set _ZN7rocprim17ROCPRIM_400000_NS6detail17trampoline_kernelINS0_14default_configENS1_36segmented_radix_sort_config_selectorIhlEEZNS1_25segmented_radix_sort_implIS3_Lb1EPKhPhPKlPlN2at6native12_GLOBAL__N_18offset_tEEE10hipError_tPvRmT1_PNSt15iterator_traitsISK_E10value_typeET2_T3_PNSL_ISQ_E10value_typeET4_jRbjT5_SW_jjP12ihipStream_tbEUlT_E2_NS1_11comp_targetILNS1_3genE10ELNS1_11target_archE1200ELNS1_3gpuE4ELNS1_3repE0EEENS1_30default_config_static_selectorELNS0_4arch9wavefront6targetE0EEEvSK_.uses_vcc, 0
	.set _ZN7rocprim17ROCPRIM_400000_NS6detail17trampoline_kernelINS0_14default_configENS1_36segmented_radix_sort_config_selectorIhlEEZNS1_25segmented_radix_sort_implIS3_Lb1EPKhPhPKlPlN2at6native12_GLOBAL__N_18offset_tEEE10hipError_tPvRmT1_PNSt15iterator_traitsISK_E10value_typeET2_T3_PNSL_ISQ_E10value_typeET4_jRbjT5_SW_jjP12ihipStream_tbEUlT_E2_NS1_11comp_targetILNS1_3genE10ELNS1_11target_archE1200ELNS1_3gpuE4ELNS1_3repE0EEENS1_30default_config_static_selectorELNS0_4arch9wavefront6targetE0EEEvSK_.uses_flat_scratch, 0
	.set _ZN7rocprim17ROCPRIM_400000_NS6detail17trampoline_kernelINS0_14default_configENS1_36segmented_radix_sort_config_selectorIhlEEZNS1_25segmented_radix_sort_implIS3_Lb1EPKhPhPKlPlN2at6native12_GLOBAL__N_18offset_tEEE10hipError_tPvRmT1_PNSt15iterator_traitsISK_E10value_typeET2_T3_PNSL_ISQ_E10value_typeET4_jRbjT5_SW_jjP12ihipStream_tbEUlT_E2_NS1_11comp_targetILNS1_3genE10ELNS1_11target_archE1200ELNS1_3gpuE4ELNS1_3repE0EEENS1_30default_config_static_selectorELNS0_4arch9wavefront6targetE0EEEvSK_.has_dyn_sized_stack, 0
	.set _ZN7rocprim17ROCPRIM_400000_NS6detail17trampoline_kernelINS0_14default_configENS1_36segmented_radix_sort_config_selectorIhlEEZNS1_25segmented_radix_sort_implIS3_Lb1EPKhPhPKlPlN2at6native12_GLOBAL__N_18offset_tEEE10hipError_tPvRmT1_PNSt15iterator_traitsISK_E10value_typeET2_T3_PNSL_ISQ_E10value_typeET4_jRbjT5_SW_jjP12ihipStream_tbEUlT_E2_NS1_11comp_targetILNS1_3genE10ELNS1_11target_archE1200ELNS1_3gpuE4ELNS1_3repE0EEENS1_30default_config_static_selectorELNS0_4arch9wavefront6targetE0EEEvSK_.has_recursion, 0
	.set _ZN7rocprim17ROCPRIM_400000_NS6detail17trampoline_kernelINS0_14default_configENS1_36segmented_radix_sort_config_selectorIhlEEZNS1_25segmented_radix_sort_implIS3_Lb1EPKhPhPKlPlN2at6native12_GLOBAL__N_18offset_tEEE10hipError_tPvRmT1_PNSt15iterator_traitsISK_E10value_typeET2_T3_PNSL_ISQ_E10value_typeET4_jRbjT5_SW_jjP12ihipStream_tbEUlT_E2_NS1_11comp_targetILNS1_3genE10ELNS1_11target_archE1200ELNS1_3gpuE4ELNS1_3repE0EEENS1_30default_config_static_selectorELNS0_4arch9wavefront6targetE0EEEvSK_.has_indirect_call, 0
	.section	.AMDGPU.csdata,"",@progbits
; Kernel info:
; codeLenInByte = 0
; TotalNumSgprs: 0
; NumVgprs: 0
; ScratchSize: 0
; MemoryBound: 0
; FloatMode: 240
; IeeeMode: 1
; LDSByteSize: 0 bytes/workgroup (compile time only)
; SGPRBlocks: 0
; VGPRBlocks: 0
; NumSGPRsForWavesPerEU: 1
; NumVGPRsForWavesPerEU: 1
; Occupancy: 16
; WaveLimiterHint : 0
; COMPUTE_PGM_RSRC2:SCRATCH_EN: 0
; COMPUTE_PGM_RSRC2:USER_SGPR: 2
; COMPUTE_PGM_RSRC2:TRAP_HANDLER: 0
; COMPUTE_PGM_RSRC2:TGID_X_EN: 1
; COMPUTE_PGM_RSRC2:TGID_Y_EN: 0
; COMPUTE_PGM_RSRC2:TGID_Z_EN: 0
; COMPUTE_PGM_RSRC2:TIDIG_COMP_CNT: 0
	.section	.text._ZN7rocprim17ROCPRIM_400000_NS6detail17trampoline_kernelINS0_14default_configENS1_36segmented_radix_sort_config_selectorIhlEEZNS1_25segmented_radix_sort_implIS3_Lb1EPKhPhPKlPlN2at6native12_GLOBAL__N_18offset_tEEE10hipError_tPvRmT1_PNSt15iterator_traitsISK_E10value_typeET2_T3_PNSL_ISQ_E10value_typeET4_jRbjT5_SW_jjP12ihipStream_tbEUlT_E2_NS1_11comp_targetILNS1_3genE9ELNS1_11target_archE1100ELNS1_3gpuE3ELNS1_3repE0EEENS1_30default_config_static_selectorELNS0_4arch9wavefront6targetE0EEEvSK_,"axG",@progbits,_ZN7rocprim17ROCPRIM_400000_NS6detail17trampoline_kernelINS0_14default_configENS1_36segmented_radix_sort_config_selectorIhlEEZNS1_25segmented_radix_sort_implIS3_Lb1EPKhPhPKlPlN2at6native12_GLOBAL__N_18offset_tEEE10hipError_tPvRmT1_PNSt15iterator_traitsISK_E10value_typeET2_T3_PNSL_ISQ_E10value_typeET4_jRbjT5_SW_jjP12ihipStream_tbEUlT_E2_NS1_11comp_targetILNS1_3genE9ELNS1_11target_archE1100ELNS1_3gpuE3ELNS1_3repE0EEENS1_30default_config_static_selectorELNS0_4arch9wavefront6targetE0EEEvSK_,comdat
	.globl	_ZN7rocprim17ROCPRIM_400000_NS6detail17trampoline_kernelINS0_14default_configENS1_36segmented_radix_sort_config_selectorIhlEEZNS1_25segmented_radix_sort_implIS3_Lb1EPKhPhPKlPlN2at6native12_GLOBAL__N_18offset_tEEE10hipError_tPvRmT1_PNSt15iterator_traitsISK_E10value_typeET2_T3_PNSL_ISQ_E10value_typeET4_jRbjT5_SW_jjP12ihipStream_tbEUlT_E2_NS1_11comp_targetILNS1_3genE9ELNS1_11target_archE1100ELNS1_3gpuE3ELNS1_3repE0EEENS1_30default_config_static_selectorELNS0_4arch9wavefront6targetE0EEEvSK_ ; -- Begin function _ZN7rocprim17ROCPRIM_400000_NS6detail17trampoline_kernelINS0_14default_configENS1_36segmented_radix_sort_config_selectorIhlEEZNS1_25segmented_radix_sort_implIS3_Lb1EPKhPhPKlPlN2at6native12_GLOBAL__N_18offset_tEEE10hipError_tPvRmT1_PNSt15iterator_traitsISK_E10value_typeET2_T3_PNSL_ISQ_E10value_typeET4_jRbjT5_SW_jjP12ihipStream_tbEUlT_E2_NS1_11comp_targetILNS1_3genE9ELNS1_11target_archE1100ELNS1_3gpuE3ELNS1_3repE0EEENS1_30default_config_static_selectorELNS0_4arch9wavefront6targetE0EEEvSK_
	.p2align	8
	.type	_ZN7rocprim17ROCPRIM_400000_NS6detail17trampoline_kernelINS0_14default_configENS1_36segmented_radix_sort_config_selectorIhlEEZNS1_25segmented_radix_sort_implIS3_Lb1EPKhPhPKlPlN2at6native12_GLOBAL__N_18offset_tEEE10hipError_tPvRmT1_PNSt15iterator_traitsISK_E10value_typeET2_T3_PNSL_ISQ_E10value_typeET4_jRbjT5_SW_jjP12ihipStream_tbEUlT_E2_NS1_11comp_targetILNS1_3genE9ELNS1_11target_archE1100ELNS1_3gpuE3ELNS1_3repE0EEENS1_30default_config_static_selectorELNS0_4arch9wavefront6targetE0EEEvSK_,@function
_ZN7rocprim17ROCPRIM_400000_NS6detail17trampoline_kernelINS0_14default_configENS1_36segmented_radix_sort_config_selectorIhlEEZNS1_25segmented_radix_sort_implIS3_Lb1EPKhPhPKlPlN2at6native12_GLOBAL__N_18offset_tEEE10hipError_tPvRmT1_PNSt15iterator_traitsISK_E10value_typeET2_T3_PNSL_ISQ_E10value_typeET4_jRbjT5_SW_jjP12ihipStream_tbEUlT_E2_NS1_11comp_targetILNS1_3genE9ELNS1_11target_archE1100ELNS1_3gpuE3ELNS1_3repE0EEENS1_30default_config_static_selectorELNS0_4arch9wavefront6targetE0EEEvSK_: ; @_ZN7rocprim17ROCPRIM_400000_NS6detail17trampoline_kernelINS0_14default_configENS1_36segmented_radix_sort_config_selectorIhlEEZNS1_25segmented_radix_sort_implIS3_Lb1EPKhPhPKlPlN2at6native12_GLOBAL__N_18offset_tEEE10hipError_tPvRmT1_PNSt15iterator_traitsISK_E10value_typeET2_T3_PNSL_ISQ_E10value_typeET4_jRbjT5_SW_jjP12ihipStream_tbEUlT_E2_NS1_11comp_targetILNS1_3genE9ELNS1_11target_archE1100ELNS1_3gpuE3ELNS1_3repE0EEENS1_30default_config_static_selectorELNS0_4arch9wavefront6targetE0EEEvSK_
; %bb.0:
	.section	.rodata,"a",@progbits
	.p2align	6, 0x0
	.amdhsa_kernel _ZN7rocprim17ROCPRIM_400000_NS6detail17trampoline_kernelINS0_14default_configENS1_36segmented_radix_sort_config_selectorIhlEEZNS1_25segmented_radix_sort_implIS3_Lb1EPKhPhPKlPlN2at6native12_GLOBAL__N_18offset_tEEE10hipError_tPvRmT1_PNSt15iterator_traitsISK_E10value_typeET2_T3_PNSL_ISQ_E10value_typeET4_jRbjT5_SW_jjP12ihipStream_tbEUlT_E2_NS1_11comp_targetILNS1_3genE9ELNS1_11target_archE1100ELNS1_3gpuE3ELNS1_3repE0EEENS1_30default_config_static_selectorELNS0_4arch9wavefront6targetE0EEEvSK_
		.amdhsa_group_segment_fixed_size 0
		.amdhsa_private_segment_fixed_size 0
		.amdhsa_kernarg_size 80
		.amdhsa_user_sgpr_count 2
		.amdhsa_user_sgpr_dispatch_ptr 0
		.amdhsa_user_sgpr_queue_ptr 0
		.amdhsa_user_sgpr_kernarg_segment_ptr 1
		.amdhsa_user_sgpr_dispatch_id 0
		.amdhsa_user_sgpr_private_segment_size 0
		.amdhsa_wavefront_size32 1
		.amdhsa_uses_dynamic_stack 0
		.amdhsa_enable_private_segment 0
		.amdhsa_system_sgpr_workgroup_id_x 1
		.amdhsa_system_sgpr_workgroup_id_y 0
		.amdhsa_system_sgpr_workgroup_id_z 0
		.amdhsa_system_sgpr_workgroup_info 0
		.amdhsa_system_vgpr_workitem_id 0
		.amdhsa_next_free_vgpr 1
		.amdhsa_next_free_sgpr 1
		.amdhsa_reserve_vcc 0
		.amdhsa_float_round_mode_32 0
		.amdhsa_float_round_mode_16_64 0
		.amdhsa_float_denorm_mode_32 3
		.amdhsa_float_denorm_mode_16_64 3
		.amdhsa_fp16_overflow 0
		.amdhsa_workgroup_processor_mode 1
		.amdhsa_memory_ordered 1
		.amdhsa_forward_progress 1
		.amdhsa_inst_pref_size 0
		.amdhsa_round_robin_scheduling 0
		.amdhsa_exception_fp_ieee_invalid_op 0
		.amdhsa_exception_fp_denorm_src 0
		.amdhsa_exception_fp_ieee_div_zero 0
		.amdhsa_exception_fp_ieee_overflow 0
		.amdhsa_exception_fp_ieee_underflow 0
		.amdhsa_exception_fp_ieee_inexact 0
		.amdhsa_exception_int_div_zero 0
	.end_amdhsa_kernel
	.section	.text._ZN7rocprim17ROCPRIM_400000_NS6detail17trampoline_kernelINS0_14default_configENS1_36segmented_radix_sort_config_selectorIhlEEZNS1_25segmented_radix_sort_implIS3_Lb1EPKhPhPKlPlN2at6native12_GLOBAL__N_18offset_tEEE10hipError_tPvRmT1_PNSt15iterator_traitsISK_E10value_typeET2_T3_PNSL_ISQ_E10value_typeET4_jRbjT5_SW_jjP12ihipStream_tbEUlT_E2_NS1_11comp_targetILNS1_3genE9ELNS1_11target_archE1100ELNS1_3gpuE3ELNS1_3repE0EEENS1_30default_config_static_selectorELNS0_4arch9wavefront6targetE0EEEvSK_,"axG",@progbits,_ZN7rocprim17ROCPRIM_400000_NS6detail17trampoline_kernelINS0_14default_configENS1_36segmented_radix_sort_config_selectorIhlEEZNS1_25segmented_radix_sort_implIS3_Lb1EPKhPhPKlPlN2at6native12_GLOBAL__N_18offset_tEEE10hipError_tPvRmT1_PNSt15iterator_traitsISK_E10value_typeET2_T3_PNSL_ISQ_E10value_typeET4_jRbjT5_SW_jjP12ihipStream_tbEUlT_E2_NS1_11comp_targetILNS1_3genE9ELNS1_11target_archE1100ELNS1_3gpuE3ELNS1_3repE0EEENS1_30default_config_static_selectorELNS0_4arch9wavefront6targetE0EEEvSK_,comdat
.Lfunc_end120:
	.size	_ZN7rocprim17ROCPRIM_400000_NS6detail17trampoline_kernelINS0_14default_configENS1_36segmented_radix_sort_config_selectorIhlEEZNS1_25segmented_radix_sort_implIS3_Lb1EPKhPhPKlPlN2at6native12_GLOBAL__N_18offset_tEEE10hipError_tPvRmT1_PNSt15iterator_traitsISK_E10value_typeET2_T3_PNSL_ISQ_E10value_typeET4_jRbjT5_SW_jjP12ihipStream_tbEUlT_E2_NS1_11comp_targetILNS1_3genE9ELNS1_11target_archE1100ELNS1_3gpuE3ELNS1_3repE0EEENS1_30default_config_static_selectorELNS0_4arch9wavefront6targetE0EEEvSK_, .Lfunc_end120-_ZN7rocprim17ROCPRIM_400000_NS6detail17trampoline_kernelINS0_14default_configENS1_36segmented_radix_sort_config_selectorIhlEEZNS1_25segmented_radix_sort_implIS3_Lb1EPKhPhPKlPlN2at6native12_GLOBAL__N_18offset_tEEE10hipError_tPvRmT1_PNSt15iterator_traitsISK_E10value_typeET2_T3_PNSL_ISQ_E10value_typeET4_jRbjT5_SW_jjP12ihipStream_tbEUlT_E2_NS1_11comp_targetILNS1_3genE9ELNS1_11target_archE1100ELNS1_3gpuE3ELNS1_3repE0EEENS1_30default_config_static_selectorELNS0_4arch9wavefront6targetE0EEEvSK_
                                        ; -- End function
	.set _ZN7rocprim17ROCPRIM_400000_NS6detail17trampoline_kernelINS0_14default_configENS1_36segmented_radix_sort_config_selectorIhlEEZNS1_25segmented_radix_sort_implIS3_Lb1EPKhPhPKlPlN2at6native12_GLOBAL__N_18offset_tEEE10hipError_tPvRmT1_PNSt15iterator_traitsISK_E10value_typeET2_T3_PNSL_ISQ_E10value_typeET4_jRbjT5_SW_jjP12ihipStream_tbEUlT_E2_NS1_11comp_targetILNS1_3genE9ELNS1_11target_archE1100ELNS1_3gpuE3ELNS1_3repE0EEENS1_30default_config_static_selectorELNS0_4arch9wavefront6targetE0EEEvSK_.num_vgpr, 0
	.set _ZN7rocprim17ROCPRIM_400000_NS6detail17trampoline_kernelINS0_14default_configENS1_36segmented_radix_sort_config_selectorIhlEEZNS1_25segmented_radix_sort_implIS3_Lb1EPKhPhPKlPlN2at6native12_GLOBAL__N_18offset_tEEE10hipError_tPvRmT1_PNSt15iterator_traitsISK_E10value_typeET2_T3_PNSL_ISQ_E10value_typeET4_jRbjT5_SW_jjP12ihipStream_tbEUlT_E2_NS1_11comp_targetILNS1_3genE9ELNS1_11target_archE1100ELNS1_3gpuE3ELNS1_3repE0EEENS1_30default_config_static_selectorELNS0_4arch9wavefront6targetE0EEEvSK_.num_agpr, 0
	.set _ZN7rocprim17ROCPRIM_400000_NS6detail17trampoline_kernelINS0_14default_configENS1_36segmented_radix_sort_config_selectorIhlEEZNS1_25segmented_radix_sort_implIS3_Lb1EPKhPhPKlPlN2at6native12_GLOBAL__N_18offset_tEEE10hipError_tPvRmT1_PNSt15iterator_traitsISK_E10value_typeET2_T3_PNSL_ISQ_E10value_typeET4_jRbjT5_SW_jjP12ihipStream_tbEUlT_E2_NS1_11comp_targetILNS1_3genE9ELNS1_11target_archE1100ELNS1_3gpuE3ELNS1_3repE0EEENS1_30default_config_static_selectorELNS0_4arch9wavefront6targetE0EEEvSK_.numbered_sgpr, 0
	.set _ZN7rocprim17ROCPRIM_400000_NS6detail17trampoline_kernelINS0_14default_configENS1_36segmented_radix_sort_config_selectorIhlEEZNS1_25segmented_radix_sort_implIS3_Lb1EPKhPhPKlPlN2at6native12_GLOBAL__N_18offset_tEEE10hipError_tPvRmT1_PNSt15iterator_traitsISK_E10value_typeET2_T3_PNSL_ISQ_E10value_typeET4_jRbjT5_SW_jjP12ihipStream_tbEUlT_E2_NS1_11comp_targetILNS1_3genE9ELNS1_11target_archE1100ELNS1_3gpuE3ELNS1_3repE0EEENS1_30default_config_static_selectorELNS0_4arch9wavefront6targetE0EEEvSK_.num_named_barrier, 0
	.set _ZN7rocprim17ROCPRIM_400000_NS6detail17trampoline_kernelINS0_14default_configENS1_36segmented_radix_sort_config_selectorIhlEEZNS1_25segmented_radix_sort_implIS3_Lb1EPKhPhPKlPlN2at6native12_GLOBAL__N_18offset_tEEE10hipError_tPvRmT1_PNSt15iterator_traitsISK_E10value_typeET2_T3_PNSL_ISQ_E10value_typeET4_jRbjT5_SW_jjP12ihipStream_tbEUlT_E2_NS1_11comp_targetILNS1_3genE9ELNS1_11target_archE1100ELNS1_3gpuE3ELNS1_3repE0EEENS1_30default_config_static_selectorELNS0_4arch9wavefront6targetE0EEEvSK_.private_seg_size, 0
	.set _ZN7rocprim17ROCPRIM_400000_NS6detail17trampoline_kernelINS0_14default_configENS1_36segmented_radix_sort_config_selectorIhlEEZNS1_25segmented_radix_sort_implIS3_Lb1EPKhPhPKlPlN2at6native12_GLOBAL__N_18offset_tEEE10hipError_tPvRmT1_PNSt15iterator_traitsISK_E10value_typeET2_T3_PNSL_ISQ_E10value_typeET4_jRbjT5_SW_jjP12ihipStream_tbEUlT_E2_NS1_11comp_targetILNS1_3genE9ELNS1_11target_archE1100ELNS1_3gpuE3ELNS1_3repE0EEENS1_30default_config_static_selectorELNS0_4arch9wavefront6targetE0EEEvSK_.uses_vcc, 0
	.set _ZN7rocprim17ROCPRIM_400000_NS6detail17trampoline_kernelINS0_14default_configENS1_36segmented_radix_sort_config_selectorIhlEEZNS1_25segmented_radix_sort_implIS3_Lb1EPKhPhPKlPlN2at6native12_GLOBAL__N_18offset_tEEE10hipError_tPvRmT1_PNSt15iterator_traitsISK_E10value_typeET2_T3_PNSL_ISQ_E10value_typeET4_jRbjT5_SW_jjP12ihipStream_tbEUlT_E2_NS1_11comp_targetILNS1_3genE9ELNS1_11target_archE1100ELNS1_3gpuE3ELNS1_3repE0EEENS1_30default_config_static_selectorELNS0_4arch9wavefront6targetE0EEEvSK_.uses_flat_scratch, 0
	.set _ZN7rocprim17ROCPRIM_400000_NS6detail17trampoline_kernelINS0_14default_configENS1_36segmented_radix_sort_config_selectorIhlEEZNS1_25segmented_radix_sort_implIS3_Lb1EPKhPhPKlPlN2at6native12_GLOBAL__N_18offset_tEEE10hipError_tPvRmT1_PNSt15iterator_traitsISK_E10value_typeET2_T3_PNSL_ISQ_E10value_typeET4_jRbjT5_SW_jjP12ihipStream_tbEUlT_E2_NS1_11comp_targetILNS1_3genE9ELNS1_11target_archE1100ELNS1_3gpuE3ELNS1_3repE0EEENS1_30default_config_static_selectorELNS0_4arch9wavefront6targetE0EEEvSK_.has_dyn_sized_stack, 0
	.set _ZN7rocprim17ROCPRIM_400000_NS6detail17trampoline_kernelINS0_14default_configENS1_36segmented_radix_sort_config_selectorIhlEEZNS1_25segmented_radix_sort_implIS3_Lb1EPKhPhPKlPlN2at6native12_GLOBAL__N_18offset_tEEE10hipError_tPvRmT1_PNSt15iterator_traitsISK_E10value_typeET2_T3_PNSL_ISQ_E10value_typeET4_jRbjT5_SW_jjP12ihipStream_tbEUlT_E2_NS1_11comp_targetILNS1_3genE9ELNS1_11target_archE1100ELNS1_3gpuE3ELNS1_3repE0EEENS1_30default_config_static_selectorELNS0_4arch9wavefront6targetE0EEEvSK_.has_recursion, 0
	.set _ZN7rocprim17ROCPRIM_400000_NS6detail17trampoline_kernelINS0_14default_configENS1_36segmented_radix_sort_config_selectorIhlEEZNS1_25segmented_radix_sort_implIS3_Lb1EPKhPhPKlPlN2at6native12_GLOBAL__N_18offset_tEEE10hipError_tPvRmT1_PNSt15iterator_traitsISK_E10value_typeET2_T3_PNSL_ISQ_E10value_typeET4_jRbjT5_SW_jjP12ihipStream_tbEUlT_E2_NS1_11comp_targetILNS1_3genE9ELNS1_11target_archE1100ELNS1_3gpuE3ELNS1_3repE0EEENS1_30default_config_static_selectorELNS0_4arch9wavefront6targetE0EEEvSK_.has_indirect_call, 0
	.section	.AMDGPU.csdata,"",@progbits
; Kernel info:
; codeLenInByte = 0
; TotalNumSgprs: 0
; NumVgprs: 0
; ScratchSize: 0
; MemoryBound: 0
; FloatMode: 240
; IeeeMode: 1
; LDSByteSize: 0 bytes/workgroup (compile time only)
; SGPRBlocks: 0
; VGPRBlocks: 0
; NumSGPRsForWavesPerEU: 1
; NumVGPRsForWavesPerEU: 1
; Occupancy: 16
; WaveLimiterHint : 0
; COMPUTE_PGM_RSRC2:SCRATCH_EN: 0
; COMPUTE_PGM_RSRC2:USER_SGPR: 2
; COMPUTE_PGM_RSRC2:TRAP_HANDLER: 0
; COMPUTE_PGM_RSRC2:TGID_X_EN: 1
; COMPUTE_PGM_RSRC2:TGID_Y_EN: 0
; COMPUTE_PGM_RSRC2:TGID_Z_EN: 0
; COMPUTE_PGM_RSRC2:TIDIG_COMP_CNT: 0
	.section	.text._ZN7rocprim17ROCPRIM_400000_NS6detail17trampoline_kernelINS0_14default_configENS1_36segmented_radix_sort_config_selectorIhlEEZNS1_25segmented_radix_sort_implIS3_Lb1EPKhPhPKlPlN2at6native12_GLOBAL__N_18offset_tEEE10hipError_tPvRmT1_PNSt15iterator_traitsISK_E10value_typeET2_T3_PNSL_ISQ_E10value_typeET4_jRbjT5_SW_jjP12ihipStream_tbEUlT_E2_NS1_11comp_targetILNS1_3genE8ELNS1_11target_archE1030ELNS1_3gpuE2ELNS1_3repE0EEENS1_30default_config_static_selectorELNS0_4arch9wavefront6targetE0EEEvSK_,"axG",@progbits,_ZN7rocprim17ROCPRIM_400000_NS6detail17trampoline_kernelINS0_14default_configENS1_36segmented_radix_sort_config_selectorIhlEEZNS1_25segmented_radix_sort_implIS3_Lb1EPKhPhPKlPlN2at6native12_GLOBAL__N_18offset_tEEE10hipError_tPvRmT1_PNSt15iterator_traitsISK_E10value_typeET2_T3_PNSL_ISQ_E10value_typeET4_jRbjT5_SW_jjP12ihipStream_tbEUlT_E2_NS1_11comp_targetILNS1_3genE8ELNS1_11target_archE1030ELNS1_3gpuE2ELNS1_3repE0EEENS1_30default_config_static_selectorELNS0_4arch9wavefront6targetE0EEEvSK_,comdat
	.globl	_ZN7rocprim17ROCPRIM_400000_NS6detail17trampoline_kernelINS0_14default_configENS1_36segmented_radix_sort_config_selectorIhlEEZNS1_25segmented_radix_sort_implIS3_Lb1EPKhPhPKlPlN2at6native12_GLOBAL__N_18offset_tEEE10hipError_tPvRmT1_PNSt15iterator_traitsISK_E10value_typeET2_T3_PNSL_ISQ_E10value_typeET4_jRbjT5_SW_jjP12ihipStream_tbEUlT_E2_NS1_11comp_targetILNS1_3genE8ELNS1_11target_archE1030ELNS1_3gpuE2ELNS1_3repE0EEENS1_30default_config_static_selectorELNS0_4arch9wavefront6targetE0EEEvSK_ ; -- Begin function _ZN7rocprim17ROCPRIM_400000_NS6detail17trampoline_kernelINS0_14default_configENS1_36segmented_radix_sort_config_selectorIhlEEZNS1_25segmented_radix_sort_implIS3_Lb1EPKhPhPKlPlN2at6native12_GLOBAL__N_18offset_tEEE10hipError_tPvRmT1_PNSt15iterator_traitsISK_E10value_typeET2_T3_PNSL_ISQ_E10value_typeET4_jRbjT5_SW_jjP12ihipStream_tbEUlT_E2_NS1_11comp_targetILNS1_3genE8ELNS1_11target_archE1030ELNS1_3gpuE2ELNS1_3repE0EEENS1_30default_config_static_selectorELNS0_4arch9wavefront6targetE0EEEvSK_
	.p2align	8
	.type	_ZN7rocprim17ROCPRIM_400000_NS6detail17trampoline_kernelINS0_14default_configENS1_36segmented_radix_sort_config_selectorIhlEEZNS1_25segmented_radix_sort_implIS3_Lb1EPKhPhPKlPlN2at6native12_GLOBAL__N_18offset_tEEE10hipError_tPvRmT1_PNSt15iterator_traitsISK_E10value_typeET2_T3_PNSL_ISQ_E10value_typeET4_jRbjT5_SW_jjP12ihipStream_tbEUlT_E2_NS1_11comp_targetILNS1_3genE8ELNS1_11target_archE1030ELNS1_3gpuE2ELNS1_3repE0EEENS1_30default_config_static_selectorELNS0_4arch9wavefront6targetE0EEEvSK_,@function
_ZN7rocprim17ROCPRIM_400000_NS6detail17trampoline_kernelINS0_14default_configENS1_36segmented_radix_sort_config_selectorIhlEEZNS1_25segmented_radix_sort_implIS3_Lb1EPKhPhPKlPlN2at6native12_GLOBAL__N_18offset_tEEE10hipError_tPvRmT1_PNSt15iterator_traitsISK_E10value_typeET2_T3_PNSL_ISQ_E10value_typeET4_jRbjT5_SW_jjP12ihipStream_tbEUlT_E2_NS1_11comp_targetILNS1_3genE8ELNS1_11target_archE1030ELNS1_3gpuE2ELNS1_3repE0EEENS1_30default_config_static_selectorELNS0_4arch9wavefront6targetE0EEEvSK_: ; @_ZN7rocprim17ROCPRIM_400000_NS6detail17trampoline_kernelINS0_14default_configENS1_36segmented_radix_sort_config_selectorIhlEEZNS1_25segmented_radix_sort_implIS3_Lb1EPKhPhPKlPlN2at6native12_GLOBAL__N_18offset_tEEE10hipError_tPvRmT1_PNSt15iterator_traitsISK_E10value_typeET2_T3_PNSL_ISQ_E10value_typeET4_jRbjT5_SW_jjP12ihipStream_tbEUlT_E2_NS1_11comp_targetILNS1_3genE8ELNS1_11target_archE1030ELNS1_3gpuE2ELNS1_3repE0EEENS1_30default_config_static_selectorELNS0_4arch9wavefront6targetE0EEEvSK_
; %bb.0:
	.section	.rodata,"a",@progbits
	.p2align	6, 0x0
	.amdhsa_kernel _ZN7rocprim17ROCPRIM_400000_NS6detail17trampoline_kernelINS0_14default_configENS1_36segmented_radix_sort_config_selectorIhlEEZNS1_25segmented_radix_sort_implIS3_Lb1EPKhPhPKlPlN2at6native12_GLOBAL__N_18offset_tEEE10hipError_tPvRmT1_PNSt15iterator_traitsISK_E10value_typeET2_T3_PNSL_ISQ_E10value_typeET4_jRbjT5_SW_jjP12ihipStream_tbEUlT_E2_NS1_11comp_targetILNS1_3genE8ELNS1_11target_archE1030ELNS1_3gpuE2ELNS1_3repE0EEENS1_30default_config_static_selectorELNS0_4arch9wavefront6targetE0EEEvSK_
		.amdhsa_group_segment_fixed_size 0
		.amdhsa_private_segment_fixed_size 0
		.amdhsa_kernarg_size 80
		.amdhsa_user_sgpr_count 2
		.amdhsa_user_sgpr_dispatch_ptr 0
		.amdhsa_user_sgpr_queue_ptr 0
		.amdhsa_user_sgpr_kernarg_segment_ptr 1
		.amdhsa_user_sgpr_dispatch_id 0
		.amdhsa_user_sgpr_private_segment_size 0
		.amdhsa_wavefront_size32 1
		.amdhsa_uses_dynamic_stack 0
		.amdhsa_enable_private_segment 0
		.amdhsa_system_sgpr_workgroup_id_x 1
		.amdhsa_system_sgpr_workgroup_id_y 0
		.amdhsa_system_sgpr_workgroup_id_z 0
		.amdhsa_system_sgpr_workgroup_info 0
		.amdhsa_system_vgpr_workitem_id 0
		.amdhsa_next_free_vgpr 1
		.amdhsa_next_free_sgpr 1
		.amdhsa_reserve_vcc 0
		.amdhsa_float_round_mode_32 0
		.amdhsa_float_round_mode_16_64 0
		.amdhsa_float_denorm_mode_32 3
		.amdhsa_float_denorm_mode_16_64 3
		.amdhsa_fp16_overflow 0
		.amdhsa_workgroup_processor_mode 1
		.amdhsa_memory_ordered 1
		.amdhsa_forward_progress 1
		.amdhsa_inst_pref_size 0
		.amdhsa_round_robin_scheduling 0
		.amdhsa_exception_fp_ieee_invalid_op 0
		.amdhsa_exception_fp_denorm_src 0
		.amdhsa_exception_fp_ieee_div_zero 0
		.amdhsa_exception_fp_ieee_overflow 0
		.amdhsa_exception_fp_ieee_underflow 0
		.amdhsa_exception_fp_ieee_inexact 0
		.amdhsa_exception_int_div_zero 0
	.end_amdhsa_kernel
	.section	.text._ZN7rocprim17ROCPRIM_400000_NS6detail17trampoline_kernelINS0_14default_configENS1_36segmented_radix_sort_config_selectorIhlEEZNS1_25segmented_radix_sort_implIS3_Lb1EPKhPhPKlPlN2at6native12_GLOBAL__N_18offset_tEEE10hipError_tPvRmT1_PNSt15iterator_traitsISK_E10value_typeET2_T3_PNSL_ISQ_E10value_typeET4_jRbjT5_SW_jjP12ihipStream_tbEUlT_E2_NS1_11comp_targetILNS1_3genE8ELNS1_11target_archE1030ELNS1_3gpuE2ELNS1_3repE0EEENS1_30default_config_static_selectorELNS0_4arch9wavefront6targetE0EEEvSK_,"axG",@progbits,_ZN7rocprim17ROCPRIM_400000_NS6detail17trampoline_kernelINS0_14default_configENS1_36segmented_radix_sort_config_selectorIhlEEZNS1_25segmented_radix_sort_implIS3_Lb1EPKhPhPKlPlN2at6native12_GLOBAL__N_18offset_tEEE10hipError_tPvRmT1_PNSt15iterator_traitsISK_E10value_typeET2_T3_PNSL_ISQ_E10value_typeET4_jRbjT5_SW_jjP12ihipStream_tbEUlT_E2_NS1_11comp_targetILNS1_3genE8ELNS1_11target_archE1030ELNS1_3gpuE2ELNS1_3repE0EEENS1_30default_config_static_selectorELNS0_4arch9wavefront6targetE0EEEvSK_,comdat
.Lfunc_end121:
	.size	_ZN7rocprim17ROCPRIM_400000_NS6detail17trampoline_kernelINS0_14default_configENS1_36segmented_radix_sort_config_selectorIhlEEZNS1_25segmented_radix_sort_implIS3_Lb1EPKhPhPKlPlN2at6native12_GLOBAL__N_18offset_tEEE10hipError_tPvRmT1_PNSt15iterator_traitsISK_E10value_typeET2_T3_PNSL_ISQ_E10value_typeET4_jRbjT5_SW_jjP12ihipStream_tbEUlT_E2_NS1_11comp_targetILNS1_3genE8ELNS1_11target_archE1030ELNS1_3gpuE2ELNS1_3repE0EEENS1_30default_config_static_selectorELNS0_4arch9wavefront6targetE0EEEvSK_, .Lfunc_end121-_ZN7rocprim17ROCPRIM_400000_NS6detail17trampoline_kernelINS0_14default_configENS1_36segmented_radix_sort_config_selectorIhlEEZNS1_25segmented_radix_sort_implIS3_Lb1EPKhPhPKlPlN2at6native12_GLOBAL__N_18offset_tEEE10hipError_tPvRmT1_PNSt15iterator_traitsISK_E10value_typeET2_T3_PNSL_ISQ_E10value_typeET4_jRbjT5_SW_jjP12ihipStream_tbEUlT_E2_NS1_11comp_targetILNS1_3genE8ELNS1_11target_archE1030ELNS1_3gpuE2ELNS1_3repE0EEENS1_30default_config_static_selectorELNS0_4arch9wavefront6targetE0EEEvSK_
                                        ; -- End function
	.set _ZN7rocprim17ROCPRIM_400000_NS6detail17trampoline_kernelINS0_14default_configENS1_36segmented_radix_sort_config_selectorIhlEEZNS1_25segmented_radix_sort_implIS3_Lb1EPKhPhPKlPlN2at6native12_GLOBAL__N_18offset_tEEE10hipError_tPvRmT1_PNSt15iterator_traitsISK_E10value_typeET2_T3_PNSL_ISQ_E10value_typeET4_jRbjT5_SW_jjP12ihipStream_tbEUlT_E2_NS1_11comp_targetILNS1_3genE8ELNS1_11target_archE1030ELNS1_3gpuE2ELNS1_3repE0EEENS1_30default_config_static_selectorELNS0_4arch9wavefront6targetE0EEEvSK_.num_vgpr, 0
	.set _ZN7rocprim17ROCPRIM_400000_NS6detail17trampoline_kernelINS0_14default_configENS1_36segmented_radix_sort_config_selectorIhlEEZNS1_25segmented_radix_sort_implIS3_Lb1EPKhPhPKlPlN2at6native12_GLOBAL__N_18offset_tEEE10hipError_tPvRmT1_PNSt15iterator_traitsISK_E10value_typeET2_T3_PNSL_ISQ_E10value_typeET4_jRbjT5_SW_jjP12ihipStream_tbEUlT_E2_NS1_11comp_targetILNS1_3genE8ELNS1_11target_archE1030ELNS1_3gpuE2ELNS1_3repE0EEENS1_30default_config_static_selectorELNS0_4arch9wavefront6targetE0EEEvSK_.num_agpr, 0
	.set _ZN7rocprim17ROCPRIM_400000_NS6detail17trampoline_kernelINS0_14default_configENS1_36segmented_radix_sort_config_selectorIhlEEZNS1_25segmented_radix_sort_implIS3_Lb1EPKhPhPKlPlN2at6native12_GLOBAL__N_18offset_tEEE10hipError_tPvRmT1_PNSt15iterator_traitsISK_E10value_typeET2_T3_PNSL_ISQ_E10value_typeET4_jRbjT5_SW_jjP12ihipStream_tbEUlT_E2_NS1_11comp_targetILNS1_3genE8ELNS1_11target_archE1030ELNS1_3gpuE2ELNS1_3repE0EEENS1_30default_config_static_selectorELNS0_4arch9wavefront6targetE0EEEvSK_.numbered_sgpr, 0
	.set _ZN7rocprim17ROCPRIM_400000_NS6detail17trampoline_kernelINS0_14default_configENS1_36segmented_radix_sort_config_selectorIhlEEZNS1_25segmented_radix_sort_implIS3_Lb1EPKhPhPKlPlN2at6native12_GLOBAL__N_18offset_tEEE10hipError_tPvRmT1_PNSt15iterator_traitsISK_E10value_typeET2_T3_PNSL_ISQ_E10value_typeET4_jRbjT5_SW_jjP12ihipStream_tbEUlT_E2_NS1_11comp_targetILNS1_3genE8ELNS1_11target_archE1030ELNS1_3gpuE2ELNS1_3repE0EEENS1_30default_config_static_selectorELNS0_4arch9wavefront6targetE0EEEvSK_.num_named_barrier, 0
	.set _ZN7rocprim17ROCPRIM_400000_NS6detail17trampoline_kernelINS0_14default_configENS1_36segmented_radix_sort_config_selectorIhlEEZNS1_25segmented_radix_sort_implIS3_Lb1EPKhPhPKlPlN2at6native12_GLOBAL__N_18offset_tEEE10hipError_tPvRmT1_PNSt15iterator_traitsISK_E10value_typeET2_T3_PNSL_ISQ_E10value_typeET4_jRbjT5_SW_jjP12ihipStream_tbEUlT_E2_NS1_11comp_targetILNS1_3genE8ELNS1_11target_archE1030ELNS1_3gpuE2ELNS1_3repE0EEENS1_30default_config_static_selectorELNS0_4arch9wavefront6targetE0EEEvSK_.private_seg_size, 0
	.set _ZN7rocprim17ROCPRIM_400000_NS6detail17trampoline_kernelINS0_14default_configENS1_36segmented_radix_sort_config_selectorIhlEEZNS1_25segmented_radix_sort_implIS3_Lb1EPKhPhPKlPlN2at6native12_GLOBAL__N_18offset_tEEE10hipError_tPvRmT1_PNSt15iterator_traitsISK_E10value_typeET2_T3_PNSL_ISQ_E10value_typeET4_jRbjT5_SW_jjP12ihipStream_tbEUlT_E2_NS1_11comp_targetILNS1_3genE8ELNS1_11target_archE1030ELNS1_3gpuE2ELNS1_3repE0EEENS1_30default_config_static_selectorELNS0_4arch9wavefront6targetE0EEEvSK_.uses_vcc, 0
	.set _ZN7rocprim17ROCPRIM_400000_NS6detail17trampoline_kernelINS0_14default_configENS1_36segmented_radix_sort_config_selectorIhlEEZNS1_25segmented_radix_sort_implIS3_Lb1EPKhPhPKlPlN2at6native12_GLOBAL__N_18offset_tEEE10hipError_tPvRmT1_PNSt15iterator_traitsISK_E10value_typeET2_T3_PNSL_ISQ_E10value_typeET4_jRbjT5_SW_jjP12ihipStream_tbEUlT_E2_NS1_11comp_targetILNS1_3genE8ELNS1_11target_archE1030ELNS1_3gpuE2ELNS1_3repE0EEENS1_30default_config_static_selectorELNS0_4arch9wavefront6targetE0EEEvSK_.uses_flat_scratch, 0
	.set _ZN7rocprim17ROCPRIM_400000_NS6detail17trampoline_kernelINS0_14default_configENS1_36segmented_radix_sort_config_selectorIhlEEZNS1_25segmented_radix_sort_implIS3_Lb1EPKhPhPKlPlN2at6native12_GLOBAL__N_18offset_tEEE10hipError_tPvRmT1_PNSt15iterator_traitsISK_E10value_typeET2_T3_PNSL_ISQ_E10value_typeET4_jRbjT5_SW_jjP12ihipStream_tbEUlT_E2_NS1_11comp_targetILNS1_3genE8ELNS1_11target_archE1030ELNS1_3gpuE2ELNS1_3repE0EEENS1_30default_config_static_selectorELNS0_4arch9wavefront6targetE0EEEvSK_.has_dyn_sized_stack, 0
	.set _ZN7rocprim17ROCPRIM_400000_NS6detail17trampoline_kernelINS0_14default_configENS1_36segmented_radix_sort_config_selectorIhlEEZNS1_25segmented_radix_sort_implIS3_Lb1EPKhPhPKlPlN2at6native12_GLOBAL__N_18offset_tEEE10hipError_tPvRmT1_PNSt15iterator_traitsISK_E10value_typeET2_T3_PNSL_ISQ_E10value_typeET4_jRbjT5_SW_jjP12ihipStream_tbEUlT_E2_NS1_11comp_targetILNS1_3genE8ELNS1_11target_archE1030ELNS1_3gpuE2ELNS1_3repE0EEENS1_30default_config_static_selectorELNS0_4arch9wavefront6targetE0EEEvSK_.has_recursion, 0
	.set _ZN7rocprim17ROCPRIM_400000_NS6detail17trampoline_kernelINS0_14default_configENS1_36segmented_radix_sort_config_selectorIhlEEZNS1_25segmented_radix_sort_implIS3_Lb1EPKhPhPKlPlN2at6native12_GLOBAL__N_18offset_tEEE10hipError_tPvRmT1_PNSt15iterator_traitsISK_E10value_typeET2_T3_PNSL_ISQ_E10value_typeET4_jRbjT5_SW_jjP12ihipStream_tbEUlT_E2_NS1_11comp_targetILNS1_3genE8ELNS1_11target_archE1030ELNS1_3gpuE2ELNS1_3repE0EEENS1_30default_config_static_selectorELNS0_4arch9wavefront6targetE0EEEvSK_.has_indirect_call, 0
	.section	.AMDGPU.csdata,"",@progbits
; Kernel info:
; codeLenInByte = 0
; TotalNumSgprs: 0
; NumVgprs: 0
; ScratchSize: 0
; MemoryBound: 0
; FloatMode: 240
; IeeeMode: 1
; LDSByteSize: 0 bytes/workgroup (compile time only)
; SGPRBlocks: 0
; VGPRBlocks: 0
; NumSGPRsForWavesPerEU: 1
; NumVGPRsForWavesPerEU: 1
; Occupancy: 16
; WaveLimiterHint : 0
; COMPUTE_PGM_RSRC2:SCRATCH_EN: 0
; COMPUTE_PGM_RSRC2:USER_SGPR: 2
; COMPUTE_PGM_RSRC2:TRAP_HANDLER: 0
; COMPUTE_PGM_RSRC2:TGID_X_EN: 1
; COMPUTE_PGM_RSRC2:TGID_Y_EN: 0
; COMPUTE_PGM_RSRC2:TGID_Z_EN: 0
; COMPUTE_PGM_RSRC2:TIDIG_COMP_CNT: 0
	.section	.text._ZN7rocprim17ROCPRIM_400000_NS6detail17trampoline_kernelINS0_13select_configILj256ELj13ELNS0_17block_load_methodE3ELS4_3ELS4_3ELNS0_20block_scan_algorithmE0ELj4294967295EEENS1_25partition_config_selectorILNS1_17partition_subalgoE4EjNS0_10empty_typeEbEEZZNS1_14partition_implILS8_4ELb0ES6_15HIP_vector_typeIjLj2EENS0_17counting_iteratorIjlEEPS9_SG_NS0_5tupleIJPjSI_NS0_16reverse_iteratorISI_EEEEENSH_IJSG_SG_SG_EEES9_SI_JZNS1_25segmented_radix_sort_implINS0_14default_configELb0EPKhPhPKlPlN2at6native12_GLOBAL__N_18offset_tEEE10hipError_tPvRmT1_PNSt15iterator_traitsIS12_E10value_typeET2_T3_PNS13_IS18_E10value_typeET4_jRbjT5_S1E_jjP12ihipStream_tbEUljE_ZNSN_ISO_Lb0ESQ_SR_ST_SU_SY_EESZ_S10_S11_S12_S16_S17_S18_S1B_S1C_jS1D_jS1E_S1E_jjS1G_bEUljE0_EEESZ_S10_S11_S18_S1C_S1E_T6_T7_T9_mT8_S1G_bDpT10_ENKUlT_T0_E_clISt17integral_constantIbLb0EES1U_EEDaS1P_S1Q_EUlS1P_E_NS1_11comp_targetILNS1_3genE0ELNS1_11target_archE4294967295ELNS1_3gpuE0ELNS1_3repE0EEENS1_30default_config_static_selectorELNS0_4arch9wavefront6targetE0EEEvS12_,"axG",@progbits,_ZN7rocprim17ROCPRIM_400000_NS6detail17trampoline_kernelINS0_13select_configILj256ELj13ELNS0_17block_load_methodE3ELS4_3ELS4_3ELNS0_20block_scan_algorithmE0ELj4294967295EEENS1_25partition_config_selectorILNS1_17partition_subalgoE4EjNS0_10empty_typeEbEEZZNS1_14partition_implILS8_4ELb0ES6_15HIP_vector_typeIjLj2EENS0_17counting_iteratorIjlEEPS9_SG_NS0_5tupleIJPjSI_NS0_16reverse_iteratorISI_EEEEENSH_IJSG_SG_SG_EEES9_SI_JZNS1_25segmented_radix_sort_implINS0_14default_configELb0EPKhPhPKlPlN2at6native12_GLOBAL__N_18offset_tEEE10hipError_tPvRmT1_PNSt15iterator_traitsIS12_E10value_typeET2_T3_PNS13_IS18_E10value_typeET4_jRbjT5_S1E_jjP12ihipStream_tbEUljE_ZNSN_ISO_Lb0ESQ_SR_ST_SU_SY_EESZ_S10_S11_S12_S16_S17_S18_S1B_S1C_jS1D_jS1E_S1E_jjS1G_bEUljE0_EEESZ_S10_S11_S18_S1C_S1E_T6_T7_T9_mT8_S1G_bDpT10_ENKUlT_T0_E_clISt17integral_constantIbLb0EES1U_EEDaS1P_S1Q_EUlS1P_E_NS1_11comp_targetILNS1_3genE0ELNS1_11target_archE4294967295ELNS1_3gpuE0ELNS1_3repE0EEENS1_30default_config_static_selectorELNS0_4arch9wavefront6targetE0EEEvS12_,comdat
	.globl	_ZN7rocprim17ROCPRIM_400000_NS6detail17trampoline_kernelINS0_13select_configILj256ELj13ELNS0_17block_load_methodE3ELS4_3ELS4_3ELNS0_20block_scan_algorithmE0ELj4294967295EEENS1_25partition_config_selectorILNS1_17partition_subalgoE4EjNS0_10empty_typeEbEEZZNS1_14partition_implILS8_4ELb0ES6_15HIP_vector_typeIjLj2EENS0_17counting_iteratorIjlEEPS9_SG_NS0_5tupleIJPjSI_NS0_16reverse_iteratorISI_EEEEENSH_IJSG_SG_SG_EEES9_SI_JZNS1_25segmented_radix_sort_implINS0_14default_configELb0EPKhPhPKlPlN2at6native12_GLOBAL__N_18offset_tEEE10hipError_tPvRmT1_PNSt15iterator_traitsIS12_E10value_typeET2_T3_PNS13_IS18_E10value_typeET4_jRbjT5_S1E_jjP12ihipStream_tbEUljE_ZNSN_ISO_Lb0ESQ_SR_ST_SU_SY_EESZ_S10_S11_S12_S16_S17_S18_S1B_S1C_jS1D_jS1E_S1E_jjS1G_bEUljE0_EEESZ_S10_S11_S18_S1C_S1E_T6_T7_T9_mT8_S1G_bDpT10_ENKUlT_T0_E_clISt17integral_constantIbLb0EES1U_EEDaS1P_S1Q_EUlS1P_E_NS1_11comp_targetILNS1_3genE0ELNS1_11target_archE4294967295ELNS1_3gpuE0ELNS1_3repE0EEENS1_30default_config_static_selectorELNS0_4arch9wavefront6targetE0EEEvS12_ ; -- Begin function _ZN7rocprim17ROCPRIM_400000_NS6detail17trampoline_kernelINS0_13select_configILj256ELj13ELNS0_17block_load_methodE3ELS4_3ELS4_3ELNS0_20block_scan_algorithmE0ELj4294967295EEENS1_25partition_config_selectorILNS1_17partition_subalgoE4EjNS0_10empty_typeEbEEZZNS1_14partition_implILS8_4ELb0ES6_15HIP_vector_typeIjLj2EENS0_17counting_iteratorIjlEEPS9_SG_NS0_5tupleIJPjSI_NS0_16reverse_iteratorISI_EEEEENSH_IJSG_SG_SG_EEES9_SI_JZNS1_25segmented_radix_sort_implINS0_14default_configELb0EPKhPhPKlPlN2at6native12_GLOBAL__N_18offset_tEEE10hipError_tPvRmT1_PNSt15iterator_traitsIS12_E10value_typeET2_T3_PNS13_IS18_E10value_typeET4_jRbjT5_S1E_jjP12ihipStream_tbEUljE_ZNSN_ISO_Lb0ESQ_SR_ST_SU_SY_EESZ_S10_S11_S12_S16_S17_S18_S1B_S1C_jS1D_jS1E_S1E_jjS1G_bEUljE0_EEESZ_S10_S11_S18_S1C_S1E_T6_T7_T9_mT8_S1G_bDpT10_ENKUlT_T0_E_clISt17integral_constantIbLb0EES1U_EEDaS1P_S1Q_EUlS1P_E_NS1_11comp_targetILNS1_3genE0ELNS1_11target_archE4294967295ELNS1_3gpuE0ELNS1_3repE0EEENS1_30default_config_static_selectorELNS0_4arch9wavefront6targetE0EEEvS12_
	.p2align	8
	.type	_ZN7rocprim17ROCPRIM_400000_NS6detail17trampoline_kernelINS0_13select_configILj256ELj13ELNS0_17block_load_methodE3ELS4_3ELS4_3ELNS0_20block_scan_algorithmE0ELj4294967295EEENS1_25partition_config_selectorILNS1_17partition_subalgoE4EjNS0_10empty_typeEbEEZZNS1_14partition_implILS8_4ELb0ES6_15HIP_vector_typeIjLj2EENS0_17counting_iteratorIjlEEPS9_SG_NS0_5tupleIJPjSI_NS0_16reverse_iteratorISI_EEEEENSH_IJSG_SG_SG_EEES9_SI_JZNS1_25segmented_radix_sort_implINS0_14default_configELb0EPKhPhPKlPlN2at6native12_GLOBAL__N_18offset_tEEE10hipError_tPvRmT1_PNSt15iterator_traitsIS12_E10value_typeET2_T3_PNS13_IS18_E10value_typeET4_jRbjT5_S1E_jjP12ihipStream_tbEUljE_ZNSN_ISO_Lb0ESQ_SR_ST_SU_SY_EESZ_S10_S11_S12_S16_S17_S18_S1B_S1C_jS1D_jS1E_S1E_jjS1G_bEUljE0_EEESZ_S10_S11_S18_S1C_S1E_T6_T7_T9_mT8_S1G_bDpT10_ENKUlT_T0_E_clISt17integral_constantIbLb0EES1U_EEDaS1P_S1Q_EUlS1P_E_NS1_11comp_targetILNS1_3genE0ELNS1_11target_archE4294967295ELNS1_3gpuE0ELNS1_3repE0EEENS1_30default_config_static_selectorELNS0_4arch9wavefront6targetE0EEEvS12_,@function
_ZN7rocprim17ROCPRIM_400000_NS6detail17trampoline_kernelINS0_13select_configILj256ELj13ELNS0_17block_load_methodE3ELS4_3ELS4_3ELNS0_20block_scan_algorithmE0ELj4294967295EEENS1_25partition_config_selectorILNS1_17partition_subalgoE4EjNS0_10empty_typeEbEEZZNS1_14partition_implILS8_4ELb0ES6_15HIP_vector_typeIjLj2EENS0_17counting_iteratorIjlEEPS9_SG_NS0_5tupleIJPjSI_NS0_16reverse_iteratorISI_EEEEENSH_IJSG_SG_SG_EEES9_SI_JZNS1_25segmented_radix_sort_implINS0_14default_configELb0EPKhPhPKlPlN2at6native12_GLOBAL__N_18offset_tEEE10hipError_tPvRmT1_PNSt15iterator_traitsIS12_E10value_typeET2_T3_PNS13_IS18_E10value_typeET4_jRbjT5_S1E_jjP12ihipStream_tbEUljE_ZNSN_ISO_Lb0ESQ_SR_ST_SU_SY_EESZ_S10_S11_S12_S16_S17_S18_S1B_S1C_jS1D_jS1E_S1E_jjS1G_bEUljE0_EEESZ_S10_S11_S18_S1C_S1E_T6_T7_T9_mT8_S1G_bDpT10_ENKUlT_T0_E_clISt17integral_constantIbLb0EES1U_EEDaS1P_S1Q_EUlS1P_E_NS1_11comp_targetILNS1_3genE0ELNS1_11target_archE4294967295ELNS1_3gpuE0ELNS1_3repE0EEENS1_30default_config_static_selectorELNS0_4arch9wavefront6targetE0EEEvS12_: ; @_ZN7rocprim17ROCPRIM_400000_NS6detail17trampoline_kernelINS0_13select_configILj256ELj13ELNS0_17block_load_methodE3ELS4_3ELS4_3ELNS0_20block_scan_algorithmE0ELj4294967295EEENS1_25partition_config_selectorILNS1_17partition_subalgoE4EjNS0_10empty_typeEbEEZZNS1_14partition_implILS8_4ELb0ES6_15HIP_vector_typeIjLj2EENS0_17counting_iteratorIjlEEPS9_SG_NS0_5tupleIJPjSI_NS0_16reverse_iteratorISI_EEEEENSH_IJSG_SG_SG_EEES9_SI_JZNS1_25segmented_radix_sort_implINS0_14default_configELb0EPKhPhPKlPlN2at6native12_GLOBAL__N_18offset_tEEE10hipError_tPvRmT1_PNSt15iterator_traitsIS12_E10value_typeET2_T3_PNS13_IS18_E10value_typeET4_jRbjT5_S1E_jjP12ihipStream_tbEUljE_ZNSN_ISO_Lb0ESQ_SR_ST_SU_SY_EESZ_S10_S11_S12_S16_S17_S18_S1B_S1C_jS1D_jS1E_S1E_jjS1G_bEUljE0_EEESZ_S10_S11_S18_S1C_S1E_T6_T7_T9_mT8_S1G_bDpT10_ENKUlT_T0_E_clISt17integral_constantIbLb0EES1U_EEDaS1P_S1Q_EUlS1P_E_NS1_11comp_targetILNS1_3genE0ELNS1_11target_archE4294967295ELNS1_3gpuE0ELNS1_3repE0EEENS1_30default_config_static_selectorELNS0_4arch9wavefront6targetE0EEEvS12_
; %bb.0:
	.section	.rodata,"a",@progbits
	.p2align	6, 0x0
	.amdhsa_kernel _ZN7rocprim17ROCPRIM_400000_NS6detail17trampoline_kernelINS0_13select_configILj256ELj13ELNS0_17block_load_methodE3ELS4_3ELS4_3ELNS0_20block_scan_algorithmE0ELj4294967295EEENS1_25partition_config_selectorILNS1_17partition_subalgoE4EjNS0_10empty_typeEbEEZZNS1_14partition_implILS8_4ELb0ES6_15HIP_vector_typeIjLj2EENS0_17counting_iteratorIjlEEPS9_SG_NS0_5tupleIJPjSI_NS0_16reverse_iteratorISI_EEEEENSH_IJSG_SG_SG_EEES9_SI_JZNS1_25segmented_radix_sort_implINS0_14default_configELb0EPKhPhPKlPlN2at6native12_GLOBAL__N_18offset_tEEE10hipError_tPvRmT1_PNSt15iterator_traitsIS12_E10value_typeET2_T3_PNS13_IS18_E10value_typeET4_jRbjT5_S1E_jjP12ihipStream_tbEUljE_ZNSN_ISO_Lb0ESQ_SR_ST_SU_SY_EESZ_S10_S11_S12_S16_S17_S18_S1B_S1C_jS1D_jS1E_S1E_jjS1G_bEUljE0_EEESZ_S10_S11_S18_S1C_S1E_T6_T7_T9_mT8_S1G_bDpT10_ENKUlT_T0_E_clISt17integral_constantIbLb0EES1U_EEDaS1P_S1Q_EUlS1P_E_NS1_11comp_targetILNS1_3genE0ELNS1_11target_archE4294967295ELNS1_3gpuE0ELNS1_3repE0EEENS1_30default_config_static_selectorELNS0_4arch9wavefront6targetE0EEEvS12_
		.amdhsa_group_segment_fixed_size 0
		.amdhsa_private_segment_fixed_size 0
		.amdhsa_kernarg_size 176
		.amdhsa_user_sgpr_count 2
		.amdhsa_user_sgpr_dispatch_ptr 0
		.amdhsa_user_sgpr_queue_ptr 0
		.amdhsa_user_sgpr_kernarg_segment_ptr 1
		.amdhsa_user_sgpr_dispatch_id 0
		.amdhsa_user_sgpr_private_segment_size 0
		.amdhsa_wavefront_size32 1
		.amdhsa_uses_dynamic_stack 0
		.amdhsa_enable_private_segment 0
		.amdhsa_system_sgpr_workgroup_id_x 1
		.amdhsa_system_sgpr_workgroup_id_y 0
		.amdhsa_system_sgpr_workgroup_id_z 0
		.amdhsa_system_sgpr_workgroup_info 0
		.amdhsa_system_vgpr_workitem_id 0
		.amdhsa_next_free_vgpr 1
		.amdhsa_next_free_sgpr 1
		.amdhsa_reserve_vcc 0
		.amdhsa_float_round_mode_32 0
		.amdhsa_float_round_mode_16_64 0
		.amdhsa_float_denorm_mode_32 3
		.amdhsa_float_denorm_mode_16_64 3
		.amdhsa_fp16_overflow 0
		.amdhsa_workgroup_processor_mode 1
		.amdhsa_memory_ordered 1
		.amdhsa_forward_progress 1
		.amdhsa_inst_pref_size 0
		.amdhsa_round_robin_scheduling 0
		.amdhsa_exception_fp_ieee_invalid_op 0
		.amdhsa_exception_fp_denorm_src 0
		.amdhsa_exception_fp_ieee_div_zero 0
		.amdhsa_exception_fp_ieee_overflow 0
		.amdhsa_exception_fp_ieee_underflow 0
		.amdhsa_exception_fp_ieee_inexact 0
		.amdhsa_exception_int_div_zero 0
	.end_amdhsa_kernel
	.section	.text._ZN7rocprim17ROCPRIM_400000_NS6detail17trampoline_kernelINS0_13select_configILj256ELj13ELNS0_17block_load_methodE3ELS4_3ELS4_3ELNS0_20block_scan_algorithmE0ELj4294967295EEENS1_25partition_config_selectorILNS1_17partition_subalgoE4EjNS0_10empty_typeEbEEZZNS1_14partition_implILS8_4ELb0ES6_15HIP_vector_typeIjLj2EENS0_17counting_iteratorIjlEEPS9_SG_NS0_5tupleIJPjSI_NS0_16reverse_iteratorISI_EEEEENSH_IJSG_SG_SG_EEES9_SI_JZNS1_25segmented_radix_sort_implINS0_14default_configELb0EPKhPhPKlPlN2at6native12_GLOBAL__N_18offset_tEEE10hipError_tPvRmT1_PNSt15iterator_traitsIS12_E10value_typeET2_T3_PNS13_IS18_E10value_typeET4_jRbjT5_S1E_jjP12ihipStream_tbEUljE_ZNSN_ISO_Lb0ESQ_SR_ST_SU_SY_EESZ_S10_S11_S12_S16_S17_S18_S1B_S1C_jS1D_jS1E_S1E_jjS1G_bEUljE0_EEESZ_S10_S11_S18_S1C_S1E_T6_T7_T9_mT8_S1G_bDpT10_ENKUlT_T0_E_clISt17integral_constantIbLb0EES1U_EEDaS1P_S1Q_EUlS1P_E_NS1_11comp_targetILNS1_3genE0ELNS1_11target_archE4294967295ELNS1_3gpuE0ELNS1_3repE0EEENS1_30default_config_static_selectorELNS0_4arch9wavefront6targetE0EEEvS12_,"axG",@progbits,_ZN7rocprim17ROCPRIM_400000_NS6detail17trampoline_kernelINS0_13select_configILj256ELj13ELNS0_17block_load_methodE3ELS4_3ELS4_3ELNS0_20block_scan_algorithmE0ELj4294967295EEENS1_25partition_config_selectorILNS1_17partition_subalgoE4EjNS0_10empty_typeEbEEZZNS1_14partition_implILS8_4ELb0ES6_15HIP_vector_typeIjLj2EENS0_17counting_iteratorIjlEEPS9_SG_NS0_5tupleIJPjSI_NS0_16reverse_iteratorISI_EEEEENSH_IJSG_SG_SG_EEES9_SI_JZNS1_25segmented_radix_sort_implINS0_14default_configELb0EPKhPhPKlPlN2at6native12_GLOBAL__N_18offset_tEEE10hipError_tPvRmT1_PNSt15iterator_traitsIS12_E10value_typeET2_T3_PNS13_IS18_E10value_typeET4_jRbjT5_S1E_jjP12ihipStream_tbEUljE_ZNSN_ISO_Lb0ESQ_SR_ST_SU_SY_EESZ_S10_S11_S12_S16_S17_S18_S1B_S1C_jS1D_jS1E_S1E_jjS1G_bEUljE0_EEESZ_S10_S11_S18_S1C_S1E_T6_T7_T9_mT8_S1G_bDpT10_ENKUlT_T0_E_clISt17integral_constantIbLb0EES1U_EEDaS1P_S1Q_EUlS1P_E_NS1_11comp_targetILNS1_3genE0ELNS1_11target_archE4294967295ELNS1_3gpuE0ELNS1_3repE0EEENS1_30default_config_static_selectorELNS0_4arch9wavefront6targetE0EEEvS12_,comdat
.Lfunc_end122:
	.size	_ZN7rocprim17ROCPRIM_400000_NS6detail17trampoline_kernelINS0_13select_configILj256ELj13ELNS0_17block_load_methodE3ELS4_3ELS4_3ELNS0_20block_scan_algorithmE0ELj4294967295EEENS1_25partition_config_selectorILNS1_17partition_subalgoE4EjNS0_10empty_typeEbEEZZNS1_14partition_implILS8_4ELb0ES6_15HIP_vector_typeIjLj2EENS0_17counting_iteratorIjlEEPS9_SG_NS0_5tupleIJPjSI_NS0_16reverse_iteratorISI_EEEEENSH_IJSG_SG_SG_EEES9_SI_JZNS1_25segmented_radix_sort_implINS0_14default_configELb0EPKhPhPKlPlN2at6native12_GLOBAL__N_18offset_tEEE10hipError_tPvRmT1_PNSt15iterator_traitsIS12_E10value_typeET2_T3_PNS13_IS18_E10value_typeET4_jRbjT5_S1E_jjP12ihipStream_tbEUljE_ZNSN_ISO_Lb0ESQ_SR_ST_SU_SY_EESZ_S10_S11_S12_S16_S17_S18_S1B_S1C_jS1D_jS1E_S1E_jjS1G_bEUljE0_EEESZ_S10_S11_S18_S1C_S1E_T6_T7_T9_mT8_S1G_bDpT10_ENKUlT_T0_E_clISt17integral_constantIbLb0EES1U_EEDaS1P_S1Q_EUlS1P_E_NS1_11comp_targetILNS1_3genE0ELNS1_11target_archE4294967295ELNS1_3gpuE0ELNS1_3repE0EEENS1_30default_config_static_selectorELNS0_4arch9wavefront6targetE0EEEvS12_, .Lfunc_end122-_ZN7rocprim17ROCPRIM_400000_NS6detail17trampoline_kernelINS0_13select_configILj256ELj13ELNS0_17block_load_methodE3ELS4_3ELS4_3ELNS0_20block_scan_algorithmE0ELj4294967295EEENS1_25partition_config_selectorILNS1_17partition_subalgoE4EjNS0_10empty_typeEbEEZZNS1_14partition_implILS8_4ELb0ES6_15HIP_vector_typeIjLj2EENS0_17counting_iteratorIjlEEPS9_SG_NS0_5tupleIJPjSI_NS0_16reverse_iteratorISI_EEEEENSH_IJSG_SG_SG_EEES9_SI_JZNS1_25segmented_radix_sort_implINS0_14default_configELb0EPKhPhPKlPlN2at6native12_GLOBAL__N_18offset_tEEE10hipError_tPvRmT1_PNSt15iterator_traitsIS12_E10value_typeET2_T3_PNS13_IS18_E10value_typeET4_jRbjT5_S1E_jjP12ihipStream_tbEUljE_ZNSN_ISO_Lb0ESQ_SR_ST_SU_SY_EESZ_S10_S11_S12_S16_S17_S18_S1B_S1C_jS1D_jS1E_S1E_jjS1G_bEUljE0_EEESZ_S10_S11_S18_S1C_S1E_T6_T7_T9_mT8_S1G_bDpT10_ENKUlT_T0_E_clISt17integral_constantIbLb0EES1U_EEDaS1P_S1Q_EUlS1P_E_NS1_11comp_targetILNS1_3genE0ELNS1_11target_archE4294967295ELNS1_3gpuE0ELNS1_3repE0EEENS1_30default_config_static_selectorELNS0_4arch9wavefront6targetE0EEEvS12_
                                        ; -- End function
	.set _ZN7rocprim17ROCPRIM_400000_NS6detail17trampoline_kernelINS0_13select_configILj256ELj13ELNS0_17block_load_methodE3ELS4_3ELS4_3ELNS0_20block_scan_algorithmE0ELj4294967295EEENS1_25partition_config_selectorILNS1_17partition_subalgoE4EjNS0_10empty_typeEbEEZZNS1_14partition_implILS8_4ELb0ES6_15HIP_vector_typeIjLj2EENS0_17counting_iteratorIjlEEPS9_SG_NS0_5tupleIJPjSI_NS0_16reverse_iteratorISI_EEEEENSH_IJSG_SG_SG_EEES9_SI_JZNS1_25segmented_radix_sort_implINS0_14default_configELb0EPKhPhPKlPlN2at6native12_GLOBAL__N_18offset_tEEE10hipError_tPvRmT1_PNSt15iterator_traitsIS12_E10value_typeET2_T3_PNS13_IS18_E10value_typeET4_jRbjT5_S1E_jjP12ihipStream_tbEUljE_ZNSN_ISO_Lb0ESQ_SR_ST_SU_SY_EESZ_S10_S11_S12_S16_S17_S18_S1B_S1C_jS1D_jS1E_S1E_jjS1G_bEUljE0_EEESZ_S10_S11_S18_S1C_S1E_T6_T7_T9_mT8_S1G_bDpT10_ENKUlT_T0_E_clISt17integral_constantIbLb0EES1U_EEDaS1P_S1Q_EUlS1P_E_NS1_11comp_targetILNS1_3genE0ELNS1_11target_archE4294967295ELNS1_3gpuE0ELNS1_3repE0EEENS1_30default_config_static_selectorELNS0_4arch9wavefront6targetE0EEEvS12_.num_vgpr, 0
	.set _ZN7rocprim17ROCPRIM_400000_NS6detail17trampoline_kernelINS0_13select_configILj256ELj13ELNS0_17block_load_methodE3ELS4_3ELS4_3ELNS0_20block_scan_algorithmE0ELj4294967295EEENS1_25partition_config_selectorILNS1_17partition_subalgoE4EjNS0_10empty_typeEbEEZZNS1_14partition_implILS8_4ELb0ES6_15HIP_vector_typeIjLj2EENS0_17counting_iteratorIjlEEPS9_SG_NS0_5tupleIJPjSI_NS0_16reverse_iteratorISI_EEEEENSH_IJSG_SG_SG_EEES9_SI_JZNS1_25segmented_radix_sort_implINS0_14default_configELb0EPKhPhPKlPlN2at6native12_GLOBAL__N_18offset_tEEE10hipError_tPvRmT1_PNSt15iterator_traitsIS12_E10value_typeET2_T3_PNS13_IS18_E10value_typeET4_jRbjT5_S1E_jjP12ihipStream_tbEUljE_ZNSN_ISO_Lb0ESQ_SR_ST_SU_SY_EESZ_S10_S11_S12_S16_S17_S18_S1B_S1C_jS1D_jS1E_S1E_jjS1G_bEUljE0_EEESZ_S10_S11_S18_S1C_S1E_T6_T7_T9_mT8_S1G_bDpT10_ENKUlT_T0_E_clISt17integral_constantIbLb0EES1U_EEDaS1P_S1Q_EUlS1P_E_NS1_11comp_targetILNS1_3genE0ELNS1_11target_archE4294967295ELNS1_3gpuE0ELNS1_3repE0EEENS1_30default_config_static_selectorELNS0_4arch9wavefront6targetE0EEEvS12_.num_agpr, 0
	.set _ZN7rocprim17ROCPRIM_400000_NS6detail17trampoline_kernelINS0_13select_configILj256ELj13ELNS0_17block_load_methodE3ELS4_3ELS4_3ELNS0_20block_scan_algorithmE0ELj4294967295EEENS1_25partition_config_selectorILNS1_17partition_subalgoE4EjNS0_10empty_typeEbEEZZNS1_14partition_implILS8_4ELb0ES6_15HIP_vector_typeIjLj2EENS0_17counting_iteratorIjlEEPS9_SG_NS0_5tupleIJPjSI_NS0_16reverse_iteratorISI_EEEEENSH_IJSG_SG_SG_EEES9_SI_JZNS1_25segmented_radix_sort_implINS0_14default_configELb0EPKhPhPKlPlN2at6native12_GLOBAL__N_18offset_tEEE10hipError_tPvRmT1_PNSt15iterator_traitsIS12_E10value_typeET2_T3_PNS13_IS18_E10value_typeET4_jRbjT5_S1E_jjP12ihipStream_tbEUljE_ZNSN_ISO_Lb0ESQ_SR_ST_SU_SY_EESZ_S10_S11_S12_S16_S17_S18_S1B_S1C_jS1D_jS1E_S1E_jjS1G_bEUljE0_EEESZ_S10_S11_S18_S1C_S1E_T6_T7_T9_mT8_S1G_bDpT10_ENKUlT_T0_E_clISt17integral_constantIbLb0EES1U_EEDaS1P_S1Q_EUlS1P_E_NS1_11comp_targetILNS1_3genE0ELNS1_11target_archE4294967295ELNS1_3gpuE0ELNS1_3repE0EEENS1_30default_config_static_selectorELNS0_4arch9wavefront6targetE0EEEvS12_.numbered_sgpr, 0
	.set _ZN7rocprim17ROCPRIM_400000_NS6detail17trampoline_kernelINS0_13select_configILj256ELj13ELNS0_17block_load_methodE3ELS4_3ELS4_3ELNS0_20block_scan_algorithmE0ELj4294967295EEENS1_25partition_config_selectorILNS1_17partition_subalgoE4EjNS0_10empty_typeEbEEZZNS1_14partition_implILS8_4ELb0ES6_15HIP_vector_typeIjLj2EENS0_17counting_iteratorIjlEEPS9_SG_NS0_5tupleIJPjSI_NS0_16reverse_iteratorISI_EEEEENSH_IJSG_SG_SG_EEES9_SI_JZNS1_25segmented_radix_sort_implINS0_14default_configELb0EPKhPhPKlPlN2at6native12_GLOBAL__N_18offset_tEEE10hipError_tPvRmT1_PNSt15iterator_traitsIS12_E10value_typeET2_T3_PNS13_IS18_E10value_typeET4_jRbjT5_S1E_jjP12ihipStream_tbEUljE_ZNSN_ISO_Lb0ESQ_SR_ST_SU_SY_EESZ_S10_S11_S12_S16_S17_S18_S1B_S1C_jS1D_jS1E_S1E_jjS1G_bEUljE0_EEESZ_S10_S11_S18_S1C_S1E_T6_T7_T9_mT8_S1G_bDpT10_ENKUlT_T0_E_clISt17integral_constantIbLb0EES1U_EEDaS1P_S1Q_EUlS1P_E_NS1_11comp_targetILNS1_3genE0ELNS1_11target_archE4294967295ELNS1_3gpuE0ELNS1_3repE0EEENS1_30default_config_static_selectorELNS0_4arch9wavefront6targetE0EEEvS12_.num_named_barrier, 0
	.set _ZN7rocprim17ROCPRIM_400000_NS6detail17trampoline_kernelINS0_13select_configILj256ELj13ELNS0_17block_load_methodE3ELS4_3ELS4_3ELNS0_20block_scan_algorithmE0ELj4294967295EEENS1_25partition_config_selectorILNS1_17partition_subalgoE4EjNS0_10empty_typeEbEEZZNS1_14partition_implILS8_4ELb0ES6_15HIP_vector_typeIjLj2EENS0_17counting_iteratorIjlEEPS9_SG_NS0_5tupleIJPjSI_NS0_16reverse_iteratorISI_EEEEENSH_IJSG_SG_SG_EEES9_SI_JZNS1_25segmented_radix_sort_implINS0_14default_configELb0EPKhPhPKlPlN2at6native12_GLOBAL__N_18offset_tEEE10hipError_tPvRmT1_PNSt15iterator_traitsIS12_E10value_typeET2_T3_PNS13_IS18_E10value_typeET4_jRbjT5_S1E_jjP12ihipStream_tbEUljE_ZNSN_ISO_Lb0ESQ_SR_ST_SU_SY_EESZ_S10_S11_S12_S16_S17_S18_S1B_S1C_jS1D_jS1E_S1E_jjS1G_bEUljE0_EEESZ_S10_S11_S18_S1C_S1E_T6_T7_T9_mT8_S1G_bDpT10_ENKUlT_T0_E_clISt17integral_constantIbLb0EES1U_EEDaS1P_S1Q_EUlS1P_E_NS1_11comp_targetILNS1_3genE0ELNS1_11target_archE4294967295ELNS1_3gpuE0ELNS1_3repE0EEENS1_30default_config_static_selectorELNS0_4arch9wavefront6targetE0EEEvS12_.private_seg_size, 0
	.set _ZN7rocprim17ROCPRIM_400000_NS6detail17trampoline_kernelINS0_13select_configILj256ELj13ELNS0_17block_load_methodE3ELS4_3ELS4_3ELNS0_20block_scan_algorithmE0ELj4294967295EEENS1_25partition_config_selectorILNS1_17partition_subalgoE4EjNS0_10empty_typeEbEEZZNS1_14partition_implILS8_4ELb0ES6_15HIP_vector_typeIjLj2EENS0_17counting_iteratorIjlEEPS9_SG_NS0_5tupleIJPjSI_NS0_16reverse_iteratorISI_EEEEENSH_IJSG_SG_SG_EEES9_SI_JZNS1_25segmented_radix_sort_implINS0_14default_configELb0EPKhPhPKlPlN2at6native12_GLOBAL__N_18offset_tEEE10hipError_tPvRmT1_PNSt15iterator_traitsIS12_E10value_typeET2_T3_PNS13_IS18_E10value_typeET4_jRbjT5_S1E_jjP12ihipStream_tbEUljE_ZNSN_ISO_Lb0ESQ_SR_ST_SU_SY_EESZ_S10_S11_S12_S16_S17_S18_S1B_S1C_jS1D_jS1E_S1E_jjS1G_bEUljE0_EEESZ_S10_S11_S18_S1C_S1E_T6_T7_T9_mT8_S1G_bDpT10_ENKUlT_T0_E_clISt17integral_constantIbLb0EES1U_EEDaS1P_S1Q_EUlS1P_E_NS1_11comp_targetILNS1_3genE0ELNS1_11target_archE4294967295ELNS1_3gpuE0ELNS1_3repE0EEENS1_30default_config_static_selectorELNS0_4arch9wavefront6targetE0EEEvS12_.uses_vcc, 0
	.set _ZN7rocprim17ROCPRIM_400000_NS6detail17trampoline_kernelINS0_13select_configILj256ELj13ELNS0_17block_load_methodE3ELS4_3ELS4_3ELNS0_20block_scan_algorithmE0ELj4294967295EEENS1_25partition_config_selectorILNS1_17partition_subalgoE4EjNS0_10empty_typeEbEEZZNS1_14partition_implILS8_4ELb0ES6_15HIP_vector_typeIjLj2EENS0_17counting_iteratorIjlEEPS9_SG_NS0_5tupleIJPjSI_NS0_16reverse_iteratorISI_EEEEENSH_IJSG_SG_SG_EEES9_SI_JZNS1_25segmented_radix_sort_implINS0_14default_configELb0EPKhPhPKlPlN2at6native12_GLOBAL__N_18offset_tEEE10hipError_tPvRmT1_PNSt15iterator_traitsIS12_E10value_typeET2_T3_PNS13_IS18_E10value_typeET4_jRbjT5_S1E_jjP12ihipStream_tbEUljE_ZNSN_ISO_Lb0ESQ_SR_ST_SU_SY_EESZ_S10_S11_S12_S16_S17_S18_S1B_S1C_jS1D_jS1E_S1E_jjS1G_bEUljE0_EEESZ_S10_S11_S18_S1C_S1E_T6_T7_T9_mT8_S1G_bDpT10_ENKUlT_T0_E_clISt17integral_constantIbLb0EES1U_EEDaS1P_S1Q_EUlS1P_E_NS1_11comp_targetILNS1_3genE0ELNS1_11target_archE4294967295ELNS1_3gpuE0ELNS1_3repE0EEENS1_30default_config_static_selectorELNS0_4arch9wavefront6targetE0EEEvS12_.uses_flat_scratch, 0
	.set _ZN7rocprim17ROCPRIM_400000_NS6detail17trampoline_kernelINS0_13select_configILj256ELj13ELNS0_17block_load_methodE3ELS4_3ELS4_3ELNS0_20block_scan_algorithmE0ELj4294967295EEENS1_25partition_config_selectorILNS1_17partition_subalgoE4EjNS0_10empty_typeEbEEZZNS1_14partition_implILS8_4ELb0ES6_15HIP_vector_typeIjLj2EENS0_17counting_iteratorIjlEEPS9_SG_NS0_5tupleIJPjSI_NS0_16reverse_iteratorISI_EEEEENSH_IJSG_SG_SG_EEES9_SI_JZNS1_25segmented_radix_sort_implINS0_14default_configELb0EPKhPhPKlPlN2at6native12_GLOBAL__N_18offset_tEEE10hipError_tPvRmT1_PNSt15iterator_traitsIS12_E10value_typeET2_T3_PNS13_IS18_E10value_typeET4_jRbjT5_S1E_jjP12ihipStream_tbEUljE_ZNSN_ISO_Lb0ESQ_SR_ST_SU_SY_EESZ_S10_S11_S12_S16_S17_S18_S1B_S1C_jS1D_jS1E_S1E_jjS1G_bEUljE0_EEESZ_S10_S11_S18_S1C_S1E_T6_T7_T9_mT8_S1G_bDpT10_ENKUlT_T0_E_clISt17integral_constantIbLb0EES1U_EEDaS1P_S1Q_EUlS1P_E_NS1_11comp_targetILNS1_3genE0ELNS1_11target_archE4294967295ELNS1_3gpuE0ELNS1_3repE0EEENS1_30default_config_static_selectorELNS0_4arch9wavefront6targetE0EEEvS12_.has_dyn_sized_stack, 0
	.set _ZN7rocprim17ROCPRIM_400000_NS6detail17trampoline_kernelINS0_13select_configILj256ELj13ELNS0_17block_load_methodE3ELS4_3ELS4_3ELNS0_20block_scan_algorithmE0ELj4294967295EEENS1_25partition_config_selectorILNS1_17partition_subalgoE4EjNS0_10empty_typeEbEEZZNS1_14partition_implILS8_4ELb0ES6_15HIP_vector_typeIjLj2EENS0_17counting_iteratorIjlEEPS9_SG_NS0_5tupleIJPjSI_NS0_16reverse_iteratorISI_EEEEENSH_IJSG_SG_SG_EEES9_SI_JZNS1_25segmented_radix_sort_implINS0_14default_configELb0EPKhPhPKlPlN2at6native12_GLOBAL__N_18offset_tEEE10hipError_tPvRmT1_PNSt15iterator_traitsIS12_E10value_typeET2_T3_PNS13_IS18_E10value_typeET4_jRbjT5_S1E_jjP12ihipStream_tbEUljE_ZNSN_ISO_Lb0ESQ_SR_ST_SU_SY_EESZ_S10_S11_S12_S16_S17_S18_S1B_S1C_jS1D_jS1E_S1E_jjS1G_bEUljE0_EEESZ_S10_S11_S18_S1C_S1E_T6_T7_T9_mT8_S1G_bDpT10_ENKUlT_T0_E_clISt17integral_constantIbLb0EES1U_EEDaS1P_S1Q_EUlS1P_E_NS1_11comp_targetILNS1_3genE0ELNS1_11target_archE4294967295ELNS1_3gpuE0ELNS1_3repE0EEENS1_30default_config_static_selectorELNS0_4arch9wavefront6targetE0EEEvS12_.has_recursion, 0
	.set _ZN7rocprim17ROCPRIM_400000_NS6detail17trampoline_kernelINS0_13select_configILj256ELj13ELNS0_17block_load_methodE3ELS4_3ELS4_3ELNS0_20block_scan_algorithmE0ELj4294967295EEENS1_25partition_config_selectorILNS1_17partition_subalgoE4EjNS0_10empty_typeEbEEZZNS1_14partition_implILS8_4ELb0ES6_15HIP_vector_typeIjLj2EENS0_17counting_iteratorIjlEEPS9_SG_NS0_5tupleIJPjSI_NS0_16reverse_iteratorISI_EEEEENSH_IJSG_SG_SG_EEES9_SI_JZNS1_25segmented_radix_sort_implINS0_14default_configELb0EPKhPhPKlPlN2at6native12_GLOBAL__N_18offset_tEEE10hipError_tPvRmT1_PNSt15iterator_traitsIS12_E10value_typeET2_T3_PNS13_IS18_E10value_typeET4_jRbjT5_S1E_jjP12ihipStream_tbEUljE_ZNSN_ISO_Lb0ESQ_SR_ST_SU_SY_EESZ_S10_S11_S12_S16_S17_S18_S1B_S1C_jS1D_jS1E_S1E_jjS1G_bEUljE0_EEESZ_S10_S11_S18_S1C_S1E_T6_T7_T9_mT8_S1G_bDpT10_ENKUlT_T0_E_clISt17integral_constantIbLb0EES1U_EEDaS1P_S1Q_EUlS1P_E_NS1_11comp_targetILNS1_3genE0ELNS1_11target_archE4294967295ELNS1_3gpuE0ELNS1_3repE0EEENS1_30default_config_static_selectorELNS0_4arch9wavefront6targetE0EEEvS12_.has_indirect_call, 0
	.section	.AMDGPU.csdata,"",@progbits
; Kernel info:
; codeLenInByte = 0
; TotalNumSgprs: 0
; NumVgprs: 0
; ScratchSize: 0
; MemoryBound: 0
; FloatMode: 240
; IeeeMode: 1
; LDSByteSize: 0 bytes/workgroup (compile time only)
; SGPRBlocks: 0
; VGPRBlocks: 0
; NumSGPRsForWavesPerEU: 1
; NumVGPRsForWavesPerEU: 1
; Occupancy: 16
; WaveLimiterHint : 0
; COMPUTE_PGM_RSRC2:SCRATCH_EN: 0
; COMPUTE_PGM_RSRC2:USER_SGPR: 2
; COMPUTE_PGM_RSRC2:TRAP_HANDLER: 0
; COMPUTE_PGM_RSRC2:TGID_X_EN: 1
; COMPUTE_PGM_RSRC2:TGID_Y_EN: 0
; COMPUTE_PGM_RSRC2:TGID_Z_EN: 0
; COMPUTE_PGM_RSRC2:TIDIG_COMP_CNT: 0
	.section	.text._ZN7rocprim17ROCPRIM_400000_NS6detail17trampoline_kernelINS0_13select_configILj256ELj13ELNS0_17block_load_methodE3ELS4_3ELS4_3ELNS0_20block_scan_algorithmE0ELj4294967295EEENS1_25partition_config_selectorILNS1_17partition_subalgoE4EjNS0_10empty_typeEbEEZZNS1_14partition_implILS8_4ELb0ES6_15HIP_vector_typeIjLj2EENS0_17counting_iteratorIjlEEPS9_SG_NS0_5tupleIJPjSI_NS0_16reverse_iteratorISI_EEEEENSH_IJSG_SG_SG_EEES9_SI_JZNS1_25segmented_radix_sort_implINS0_14default_configELb0EPKhPhPKlPlN2at6native12_GLOBAL__N_18offset_tEEE10hipError_tPvRmT1_PNSt15iterator_traitsIS12_E10value_typeET2_T3_PNS13_IS18_E10value_typeET4_jRbjT5_S1E_jjP12ihipStream_tbEUljE_ZNSN_ISO_Lb0ESQ_SR_ST_SU_SY_EESZ_S10_S11_S12_S16_S17_S18_S1B_S1C_jS1D_jS1E_S1E_jjS1G_bEUljE0_EEESZ_S10_S11_S18_S1C_S1E_T6_T7_T9_mT8_S1G_bDpT10_ENKUlT_T0_E_clISt17integral_constantIbLb0EES1U_EEDaS1P_S1Q_EUlS1P_E_NS1_11comp_targetILNS1_3genE5ELNS1_11target_archE942ELNS1_3gpuE9ELNS1_3repE0EEENS1_30default_config_static_selectorELNS0_4arch9wavefront6targetE0EEEvS12_,"axG",@progbits,_ZN7rocprim17ROCPRIM_400000_NS6detail17trampoline_kernelINS0_13select_configILj256ELj13ELNS0_17block_load_methodE3ELS4_3ELS4_3ELNS0_20block_scan_algorithmE0ELj4294967295EEENS1_25partition_config_selectorILNS1_17partition_subalgoE4EjNS0_10empty_typeEbEEZZNS1_14partition_implILS8_4ELb0ES6_15HIP_vector_typeIjLj2EENS0_17counting_iteratorIjlEEPS9_SG_NS0_5tupleIJPjSI_NS0_16reverse_iteratorISI_EEEEENSH_IJSG_SG_SG_EEES9_SI_JZNS1_25segmented_radix_sort_implINS0_14default_configELb0EPKhPhPKlPlN2at6native12_GLOBAL__N_18offset_tEEE10hipError_tPvRmT1_PNSt15iterator_traitsIS12_E10value_typeET2_T3_PNS13_IS18_E10value_typeET4_jRbjT5_S1E_jjP12ihipStream_tbEUljE_ZNSN_ISO_Lb0ESQ_SR_ST_SU_SY_EESZ_S10_S11_S12_S16_S17_S18_S1B_S1C_jS1D_jS1E_S1E_jjS1G_bEUljE0_EEESZ_S10_S11_S18_S1C_S1E_T6_T7_T9_mT8_S1G_bDpT10_ENKUlT_T0_E_clISt17integral_constantIbLb0EES1U_EEDaS1P_S1Q_EUlS1P_E_NS1_11comp_targetILNS1_3genE5ELNS1_11target_archE942ELNS1_3gpuE9ELNS1_3repE0EEENS1_30default_config_static_selectorELNS0_4arch9wavefront6targetE0EEEvS12_,comdat
	.globl	_ZN7rocprim17ROCPRIM_400000_NS6detail17trampoline_kernelINS0_13select_configILj256ELj13ELNS0_17block_load_methodE3ELS4_3ELS4_3ELNS0_20block_scan_algorithmE0ELj4294967295EEENS1_25partition_config_selectorILNS1_17partition_subalgoE4EjNS0_10empty_typeEbEEZZNS1_14partition_implILS8_4ELb0ES6_15HIP_vector_typeIjLj2EENS0_17counting_iteratorIjlEEPS9_SG_NS0_5tupleIJPjSI_NS0_16reverse_iteratorISI_EEEEENSH_IJSG_SG_SG_EEES9_SI_JZNS1_25segmented_radix_sort_implINS0_14default_configELb0EPKhPhPKlPlN2at6native12_GLOBAL__N_18offset_tEEE10hipError_tPvRmT1_PNSt15iterator_traitsIS12_E10value_typeET2_T3_PNS13_IS18_E10value_typeET4_jRbjT5_S1E_jjP12ihipStream_tbEUljE_ZNSN_ISO_Lb0ESQ_SR_ST_SU_SY_EESZ_S10_S11_S12_S16_S17_S18_S1B_S1C_jS1D_jS1E_S1E_jjS1G_bEUljE0_EEESZ_S10_S11_S18_S1C_S1E_T6_T7_T9_mT8_S1G_bDpT10_ENKUlT_T0_E_clISt17integral_constantIbLb0EES1U_EEDaS1P_S1Q_EUlS1P_E_NS1_11comp_targetILNS1_3genE5ELNS1_11target_archE942ELNS1_3gpuE9ELNS1_3repE0EEENS1_30default_config_static_selectorELNS0_4arch9wavefront6targetE0EEEvS12_ ; -- Begin function _ZN7rocprim17ROCPRIM_400000_NS6detail17trampoline_kernelINS0_13select_configILj256ELj13ELNS0_17block_load_methodE3ELS4_3ELS4_3ELNS0_20block_scan_algorithmE0ELj4294967295EEENS1_25partition_config_selectorILNS1_17partition_subalgoE4EjNS0_10empty_typeEbEEZZNS1_14partition_implILS8_4ELb0ES6_15HIP_vector_typeIjLj2EENS0_17counting_iteratorIjlEEPS9_SG_NS0_5tupleIJPjSI_NS0_16reverse_iteratorISI_EEEEENSH_IJSG_SG_SG_EEES9_SI_JZNS1_25segmented_radix_sort_implINS0_14default_configELb0EPKhPhPKlPlN2at6native12_GLOBAL__N_18offset_tEEE10hipError_tPvRmT1_PNSt15iterator_traitsIS12_E10value_typeET2_T3_PNS13_IS18_E10value_typeET4_jRbjT5_S1E_jjP12ihipStream_tbEUljE_ZNSN_ISO_Lb0ESQ_SR_ST_SU_SY_EESZ_S10_S11_S12_S16_S17_S18_S1B_S1C_jS1D_jS1E_S1E_jjS1G_bEUljE0_EEESZ_S10_S11_S18_S1C_S1E_T6_T7_T9_mT8_S1G_bDpT10_ENKUlT_T0_E_clISt17integral_constantIbLb0EES1U_EEDaS1P_S1Q_EUlS1P_E_NS1_11comp_targetILNS1_3genE5ELNS1_11target_archE942ELNS1_3gpuE9ELNS1_3repE0EEENS1_30default_config_static_selectorELNS0_4arch9wavefront6targetE0EEEvS12_
	.p2align	8
	.type	_ZN7rocprim17ROCPRIM_400000_NS6detail17trampoline_kernelINS0_13select_configILj256ELj13ELNS0_17block_load_methodE3ELS4_3ELS4_3ELNS0_20block_scan_algorithmE0ELj4294967295EEENS1_25partition_config_selectorILNS1_17partition_subalgoE4EjNS0_10empty_typeEbEEZZNS1_14partition_implILS8_4ELb0ES6_15HIP_vector_typeIjLj2EENS0_17counting_iteratorIjlEEPS9_SG_NS0_5tupleIJPjSI_NS0_16reverse_iteratorISI_EEEEENSH_IJSG_SG_SG_EEES9_SI_JZNS1_25segmented_radix_sort_implINS0_14default_configELb0EPKhPhPKlPlN2at6native12_GLOBAL__N_18offset_tEEE10hipError_tPvRmT1_PNSt15iterator_traitsIS12_E10value_typeET2_T3_PNS13_IS18_E10value_typeET4_jRbjT5_S1E_jjP12ihipStream_tbEUljE_ZNSN_ISO_Lb0ESQ_SR_ST_SU_SY_EESZ_S10_S11_S12_S16_S17_S18_S1B_S1C_jS1D_jS1E_S1E_jjS1G_bEUljE0_EEESZ_S10_S11_S18_S1C_S1E_T6_T7_T9_mT8_S1G_bDpT10_ENKUlT_T0_E_clISt17integral_constantIbLb0EES1U_EEDaS1P_S1Q_EUlS1P_E_NS1_11comp_targetILNS1_3genE5ELNS1_11target_archE942ELNS1_3gpuE9ELNS1_3repE0EEENS1_30default_config_static_selectorELNS0_4arch9wavefront6targetE0EEEvS12_,@function
_ZN7rocprim17ROCPRIM_400000_NS6detail17trampoline_kernelINS0_13select_configILj256ELj13ELNS0_17block_load_methodE3ELS4_3ELS4_3ELNS0_20block_scan_algorithmE0ELj4294967295EEENS1_25partition_config_selectorILNS1_17partition_subalgoE4EjNS0_10empty_typeEbEEZZNS1_14partition_implILS8_4ELb0ES6_15HIP_vector_typeIjLj2EENS0_17counting_iteratorIjlEEPS9_SG_NS0_5tupleIJPjSI_NS0_16reverse_iteratorISI_EEEEENSH_IJSG_SG_SG_EEES9_SI_JZNS1_25segmented_radix_sort_implINS0_14default_configELb0EPKhPhPKlPlN2at6native12_GLOBAL__N_18offset_tEEE10hipError_tPvRmT1_PNSt15iterator_traitsIS12_E10value_typeET2_T3_PNS13_IS18_E10value_typeET4_jRbjT5_S1E_jjP12ihipStream_tbEUljE_ZNSN_ISO_Lb0ESQ_SR_ST_SU_SY_EESZ_S10_S11_S12_S16_S17_S18_S1B_S1C_jS1D_jS1E_S1E_jjS1G_bEUljE0_EEESZ_S10_S11_S18_S1C_S1E_T6_T7_T9_mT8_S1G_bDpT10_ENKUlT_T0_E_clISt17integral_constantIbLb0EES1U_EEDaS1P_S1Q_EUlS1P_E_NS1_11comp_targetILNS1_3genE5ELNS1_11target_archE942ELNS1_3gpuE9ELNS1_3repE0EEENS1_30default_config_static_selectorELNS0_4arch9wavefront6targetE0EEEvS12_: ; @_ZN7rocprim17ROCPRIM_400000_NS6detail17trampoline_kernelINS0_13select_configILj256ELj13ELNS0_17block_load_methodE3ELS4_3ELS4_3ELNS0_20block_scan_algorithmE0ELj4294967295EEENS1_25partition_config_selectorILNS1_17partition_subalgoE4EjNS0_10empty_typeEbEEZZNS1_14partition_implILS8_4ELb0ES6_15HIP_vector_typeIjLj2EENS0_17counting_iteratorIjlEEPS9_SG_NS0_5tupleIJPjSI_NS0_16reverse_iteratorISI_EEEEENSH_IJSG_SG_SG_EEES9_SI_JZNS1_25segmented_radix_sort_implINS0_14default_configELb0EPKhPhPKlPlN2at6native12_GLOBAL__N_18offset_tEEE10hipError_tPvRmT1_PNSt15iterator_traitsIS12_E10value_typeET2_T3_PNS13_IS18_E10value_typeET4_jRbjT5_S1E_jjP12ihipStream_tbEUljE_ZNSN_ISO_Lb0ESQ_SR_ST_SU_SY_EESZ_S10_S11_S12_S16_S17_S18_S1B_S1C_jS1D_jS1E_S1E_jjS1G_bEUljE0_EEESZ_S10_S11_S18_S1C_S1E_T6_T7_T9_mT8_S1G_bDpT10_ENKUlT_T0_E_clISt17integral_constantIbLb0EES1U_EEDaS1P_S1Q_EUlS1P_E_NS1_11comp_targetILNS1_3genE5ELNS1_11target_archE942ELNS1_3gpuE9ELNS1_3repE0EEENS1_30default_config_static_selectorELNS0_4arch9wavefront6targetE0EEEvS12_
; %bb.0:
	.section	.rodata,"a",@progbits
	.p2align	6, 0x0
	.amdhsa_kernel _ZN7rocprim17ROCPRIM_400000_NS6detail17trampoline_kernelINS0_13select_configILj256ELj13ELNS0_17block_load_methodE3ELS4_3ELS4_3ELNS0_20block_scan_algorithmE0ELj4294967295EEENS1_25partition_config_selectorILNS1_17partition_subalgoE4EjNS0_10empty_typeEbEEZZNS1_14partition_implILS8_4ELb0ES6_15HIP_vector_typeIjLj2EENS0_17counting_iteratorIjlEEPS9_SG_NS0_5tupleIJPjSI_NS0_16reverse_iteratorISI_EEEEENSH_IJSG_SG_SG_EEES9_SI_JZNS1_25segmented_radix_sort_implINS0_14default_configELb0EPKhPhPKlPlN2at6native12_GLOBAL__N_18offset_tEEE10hipError_tPvRmT1_PNSt15iterator_traitsIS12_E10value_typeET2_T3_PNS13_IS18_E10value_typeET4_jRbjT5_S1E_jjP12ihipStream_tbEUljE_ZNSN_ISO_Lb0ESQ_SR_ST_SU_SY_EESZ_S10_S11_S12_S16_S17_S18_S1B_S1C_jS1D_jS1E_S1E_jjS1G_bEUljE0_EEESZ_S10_S11_S18_S1C_S1E_T6_T7_T9_mT8_S1G_bDpT10_ENKUlT_T0_E_clISt17integral_constantIbLb0EES1U_EEDaS1P_S1Q_EUlS1P_E_NS1_11comp_targetILNS1_3genE5ELNS1_11target_archE942ELNS1_3gpuE9ELNS1_3repE0EEENS1_30default_config_static_selectorELNS0_4arch9wavefront6targetE0EEEvS12_
		.amdhsa_group_segment_fixed_size 0
		.amdhsa_private_segment_fixed_size 0
		.amdhsa_kernarg_size 176
		.amdhsa_user_sgpr_count 2
		.amdhsa_user_sgpr_dispatch_ptr 0
		.amdhsa_user_sgpr_queue_ptr 0
		.amdhsa_user_sgpr_kernarg_segment_ptr 1
		.amdhsa_user_sgpr_dispatch_id 0
		.amdhsa_user_sgpr_private_segment_size 0
		.amdhsa_wavefront_size32 1
		.amdhsa_uses_dynamic_stack 0
		.amdhsa_enable_private_segment 0
		.amdhsa_system_sgpr_workgroup_id_x 1
		.amdhsa_system_sgpr_workgroup_id_y 0
		.amdhsa_system_sgpr_workgroup_id_z 0
		.amdhsa_system_sgpr_workgroup_info 0
		.amdhsa_system_vgpr_workitem_id 0
		.amdhsa_next_free_vgpr 1
		.amdhsa_next_free_sgpr 1
		.amdhsa_reserve_vcc 0
		.amdhsa_float_round_mode_32 0
		.amdhsa_float_round_mode_16_64 0
		.amdhsa_float_denorm_mode_32 3
		.amdhsa_float_denorm_mode_16_64 3
		.amdhsa_fp16_overflow 0
		.amdhsa_workgroup_processor_mode 1
		.amdhsa_memory_ordered 1
		.amdhsa_forward_progress 1
		.amdhsa_inst_pref_size 0
		.amdhsa_round_robin_scheduling 0
		.amdhsa_exception_fp_ieee_invalid_op 0
		.amdhsa_exception_fp_denorm_src 0
		.amdhsa_exception_fp_ieee_div_zero 0
		.amdhsa_exception_fp_ieee_overflow 0
		.amdhsa_exception_fp_ieee_underflow 0
		.amdhsa_exception_fp_ieee_inexact 0
		.amdhsa_exception_int_div_zero 0
	.end_amdhsa_kernel
	.section	.text._ZN7rocprim17ROCPRIM_400000_NS6detail17trampoline_kernelINS0_13select_configILj256ELj13ELNS0_17block_load_methodE3ELS4_3ELS4_3ELNS0_20block_scan_algorithmE0ELj4294967295EEENS1_25partition_config_selectorILNS1_17partition_subalgoE4EjNS0_10empty_typeEbEEZZNS1_14partition_implILS8_4ELb0ES6_15HIP_vector_typeIjLj2EENS0_17counting_iteratorIjlEEPS9_SG_NS0_5tupleIJPjSI_NS0_16reverse_iteratorISI_EEEEENSH_IJSG_SG_SG_EEES9_SI_JZNS1_25segmented_radix_sort_implINS0_14default_configELb0EPKhPhPKlPlN2at6native12_GLOBAL__N_18offset_tEEE10hipError_tPvRmT1_PNSt15iterator_traitsIS12_E10value_typeET2_T3_PNS13_IS18_E10value_typeET4_jRbjT5_S1E_jjP12ihipStream_tbEUljE_ZNSN_ISO_Lb0ESQ_SR_ST_SU_SY_EESZ_S10_S11_S12_S16_S17_S18_S1B_S1C_jS1D_jS1E_S1E_jjS1G_bEUljE0_EEESZ_S10_S11_S18_S1C_S1E_T6_T7_T9_mT8_S1G_bDpT10_ENKUlT_T0_E_clISt17integral_constantIbLb0EES1U_EEDaS1P_S1Q_EUlS1P_E_NS1_11comp_targetILNS1_3genE5ELNS1_11target_archE942ELNS1_3gpuE9ELNS1_3repE0EEENS1_30default_config_static_selectorELNS0_4arch9wavefront6targetE0EEEvS12_,"axG",@progbits,_ZN7rocprim17ROCPRIM_400000_NS6detail17trampoline_kernelINS0_13select_configILj256ELj13ELNS0_17block_load_methodE3ELS4_3ELS4_3ELNS0_20block_scan_algorithmE0ELj4294967295EEENS1_25partition_config_selectorILNS1_17partition_subalgoE4EjNS0_10empty_typeEbEEZZNS1_14partition_implILS8_4ELb0ES6_15HIP_vector_typeIjLj2EENS0_17counting_iteratorIjlEEPS9_SG_NS0_5tupleIJPjSI_NS0_16reverse_iteratorISI_EEEEENSH_IJSG_SG_SG_EEES9_SI_JZNS1_25segmented_radix_sort_implINS0_14default_configELb0EPKhPhPKlPlN2at6native12_GLOBAL__N_18offset_tEEE10hipError_tPvRmT1_PNSt15iterator_traitsIS12_E10value_typeET2_T3_PNS13_IS18_E10value_typeET4_jRbjT5_S1E_jjP12ihipStream_tbEUljE_ZNSN_ISO_Lb0ESQ_SR_ST_SU_SY_EESZ_S10_S11_S12_S16_S17_S18_S1B_S1C_jS1D_jS1E_S1E_jjS1G_bEUljE0_EEESZ_S10_S11_S18_S1C_S1E_T6_T7_T9_mT8_S1G_bDpT10_ENKUlT_T0_E_clISt17integral_constantIbLb0EES1U_EEDaS1P_S1Q_EUlS1P_E_NS1_11comp_targetILNS1_3genE5ELNS1_11target_archE942ELNS1_3gpuE9ELNS1_3repE0EEENS1_30default_config_static_selectorELNS0_4arch9wavefront6targetE0EEEvS12_,comdat
.Lfunc_end123:
	.size	_ZN7rocprim17ROCPRIM_400000_NS6detail17trampoline_kernelINS0_13select_configILj256ELj13ELNS0_17block_load_methodE3ELS4_3ELS4_3ELNS0_20block_scan_algorithmE0ELj4294967295EEENS1_25partition_config_selectorILNS1_17partition_subalgoE4EjNS0_10empty_typeEbEEZZNS1_14partition_implILS8_4ELb0ES6_15HIP_vector_typeIjLj2EENS0_17counting_iteratorIjlEEPS9_SG_NS0_5tupleIJPjSI_NS0_16reverse_iteratorISI_EEEEENSH_IJSG_SG_SG_EEES9_SI_JZNS1_25segmented_radix_sort_implINS0_14default_configELb0EPKhPhPKlPlN2at6native12_GLOBAL__N_18offset_tEEE10hipError_tPvRmT1_PNSt15iterator_traitsIS12_E10value_typeET2_T3_PNS13_IS18_E10value_typeET4_jRbjT5_S1E_jjP12ihipStream_tbEUljE_ZNSN_ISO_Lb0ESQ_SR_ST_SU_SY_EESZ_S10_S11_S12_S16_S17_S18_S1B_S1C_jS1D_jS1E_S1E_jjS1G_bEUljE0_EEESZ_S10_S11_S18_S1C_S1E_T6_T7_T9_mT8_S1G_bDpT10_ENKUlT_T0_E_clISt17integral_constantIbLb0EES1U_EEDaS1P_S1Q_EUlS1P_E_NS1_11comp_targetILNS1_3genE5ELNS1_11target_archE942ELNS1_3gpuE9ELNS1_3repE0EEENS1_30default_config_static_selectorELNS0_4arch9wavefront6targetE0EEEvS12_, .Lfunc_end123-_ZN7rocprim17ROCPRIM_400000_NS6detail17trampoline_kernelINS0_13select_configILj256ELj13ELNS0_17block_load_methodE3ELS4_3ELS4_3ELNS0_20block_scan_algorithmE0ELj4294967295EEENS1_25partition_config_selectorILNS1_17partition_subalgoE4EjNS0_10empty_typeEbEEZZNS1_14partition_implILS8_4ELb0ES6_15HIP_vector_typeIjLj2EENS0_17counting_iteratorIjlEEPS9_SG_NS0_5tupleIJPjSI_NS0_16reverse_iteratorISI_EEEEENSH_IJSG_SG_SG_EEES9_SI_JZNS1_25segmented_radix_sort_implINS0_14default_configELb0EPKhPhPKlPlN2at6native12_GLOBAL__N_18offset_tEEE10hipError_tPvRmT1_PNSt15iterator_traitsIS12_E10value_typeET2_T3_PNS13_IS18_E10value_typeET4_jRbjT5_S1E_jjP12ihipStream_tbEUljE_ZNSN_ISO_Lb0ESQ_SR_ST_SU_SY_EESZ_S10_S11_S12_S16_S17_S18_S1B_S1C_jS1D_jS1E_S1E_jjS1G_bEUljE0_EEESZ_S10_S11_S18_S1C_S1E_T6_T7_T9_mT8_S1G_bDpT10_ENKUlT_T0_E_clISt17integral_constantIbLb0EES1U_EEDaS1P_S1Q_EUlS1P_E_NS1_11comp_targetILNS1_3genE5ELNS1_11target_archE942ELNS1_3gpuE9ELNS1_3repE0EEENS1_30default_config_static_selectorELNS0_4arch9wavefront6targetE0EEEvS12_
                                        ; -- End function
	.set _ZN7rocprim17ROCPRIM_400000_NS6detail17trampoline_kernelINS0_13select_configILj256ELj13ELNS0_17block_load_methodE3ELS4_3ELS4_3ELNS0_20block_scan_algorithmE0ELj4294967295EEENS1_25partition_config_selectorILNS1_17partition_subalgoE4EjNS0_10empty_typeEbEEZZNS1_14partition_implILS8_4ELb0ES6_15HIP_vector_typeIjLj2EENS0_17counting_iteratorIjlEEPS9_SG_NS0_5tupleIJPjSI_NS0_16reverse_iteratorISI_EEEEENSH_IJSG_SG_SG_EEES9_SI_JZNS1_25segmented_radix_sort_implINS0_14default_configELb0EPKhPhPKlPlN2at6native12_GLOBAL__N_18offset_tEEE10hipError_tPvRmT1_PNSt15iterator_traitsIS12_E10value_typeET2_T3_PNS13_IS18_E10value_typeET4_jRbjT5_S1E_jjP12ihipStream_tbEUljE_ZNSN_ISO_Lb0ESQ_SR_ST_SU_SY_EESZ_S10_S11_S12_S16_S17_S18_S1B_S1C_jS1D_jS1E_S1E_jjS1G_bEUljE0_EEESZ_S10_S11_S18_S1C_S1E_T6_T7_T9_mT8_S1G_bDpT10_ENKUlT_T0_E_clISt17integral_constantIbLb0EES1U_EEDaS1P_S1Q_EUlS1P_E_NS1_11comp_targetILNS1_3genE5ELNS1_11target_archE942ELNS1_3gpuE9ELNS1_3repE0EEENS1_30default_config_static_selectorELNS0_4arch9wavefront6targetE0EEEvS12_.num_vgpr, 0
	.set _ZN7rocprim17ROCPRIM_400000_NS6detail17trampoline_kernelINS0_13select_configILj256ELj13ELNS0_17block_load_methodE3ELS4_3ELS4_3ELNS0_20block_scan_algorithmE0ELj4294967295EEENS1_25partition_config_selectorILNS1_17partition_subalgoE4EjNS0_10empty_typeEbEEZZNS1_14partition_implILS8_4ELb0ES6_15HIP_vector_typeIjLj2EENS0_17counting_iteratorIjlEEPS9_SG_NS0_5tupleIJPjSI_NS0_16reverse_iteratorISI_EEEEENSH_IJSG_SG_SG_EEES9_SI_JZNS1_25segmented_radix_sort_implINS0_14default_configELb0EPKhPhPKlPlN2at6native12_GLOBAL__N_18offset_tEEE10hipError_tPvRmT1_PNSt15iterator_traitsIS12_E10value_typeET2_T3_PNS13_IS18_E10value_typeET4_jRbjT5_S1E_jjP12ihipStream_tbEUljE_ZNSN_ISO_Lb0ESQ_SR_ST_SU_SY_EESZ_S10_S11_S12_S16_S17_S18_S1B_S1C_jS1D_jS1E_S1E_jjS1G_bEUljE0_EEESZ_S10_S11_S18_S1C_S1E_T6_T7_T9_mT8_S1G_bDpT10_ENKUlT_T0_E_clISt17integral_constantIbLb0EES1U_EEDaS1P_S1Q_EUlS1P_E_NS1_11comp_targetILNS1_3genE5ELNS1_11target_archE942ELNS1_3gpuE9ELNS1_3repE0EEENS1_30default_config_static_selectorELNS0_4arch9wavefront6targetE0EEEvS12_.num_agpr, 0
	.set _ZN7rocprim17ROCPRIM_400000_NS6detail17trampoline_kernelINS0_13select_configILj256ELj13ELNS0_17block_load_methodE3ELS4_3ELS4_3ELNS0_20block_scan_algorithmE0ELj4294967295EEENS1_25partition_config_selectorILNS1_17partition_subalgoE4EjNS0_10empty_typeEbEEZZNS1_14partition_implILS8_4ELb0ES6_15HIP_vector_typeIjLj2EENS0_17counting_iteratorIjlEEPS9_SG_NS0_5tupleIJPjSI_NS0_16reverse_iteratorISI_EEEEENSH_IJSG_SG_SG_EEES9_SI_JZNS1_25segmented_radix_sort_implINS0_14default_configELb0EPKhPhPKlPlN2at6native12_GLOBAL__N_18offset_tEEE10hipError_tPvRmT1_PNSt15iterator_traitsIS12_E10value_typeET2_T3_PNS13_IS18_E10value_typeET4_jRbjT5_S1E_jjP12ihipStream_tbEUljE_ZNSN_ISO_Lb0ESQ_SR_ST_SU_SY_EESZ_S10_S11_S12_S16_S17_S18_S1B_S1C_jS1D_jS1E_S1E_jjS1G_bEUljE0_EEESZ_S10_S11_S18_S1C_S1E_T6_T7_T9_mT8_S1G_bDpT10_ENKUlT_T0_E_clISt17integral_constantIbLb0EES1U_EEDaS1P_S1Q_EUlS1P_E_NS1_11comp_targetILNS1_3genE5ELNS1_11target_archE942ELNS1_3gpuE9ELNS1_3repE0EEENS1_30default_config_static_selectorELNS0_4arch9wavefront6targetE0EEEvS12_.numbered_sgpr, 0
	.set _ZN7rocprim17ROCPRIM_400000_NS6detail17trampoline_kernelINS0_13select_configILj256ELj13ELNS0_17block_load_methodE3ELS4_3ELS4_3ELNS0_20block_scan_algorithmE0ELj4294967295EEENS1_25partition_config_selectorILNS1_17partition_subalgoE4EjNS0_10empty_typeEbEEZZNS1_14partition_implILS8_4ELb0ES6_15HIP_vector_typeIjLj2EENS0_17counting_iteratorIjlEEPS9_SG_NS0_5tupleIJPjSI_NS0_16reverse_iteratorISI_EEEEENSH_IJSG_SG_SG_EEES9_SI_JZNS1_25segmented_radix_sort_implINS0_14default_configELb0EPKhPhPKlPlN2at6native12_GLOBAL__N_18offset_tEEE10hipError_tPvRmT1_PNSt15iterator_traitsIS12_E10value_typeET2_T3_PNS13_IS18_E10value_typeET4_jRbjT5_S1E_jjP12ihipStream_tbEUljE_ZNSN_ISO_Lb0ESQ_SR_ST_SU_SY_EESZ_S10_S11_S12_S16_S17_S18_S1B_S1C_jS1D_jS1E_S1E_jjS1G_bEUljE0_EEESZ_S10_S11_S18_S1C_S1E_T6_T7_T9_mT8_S1G_bDpT10_ENKUlT_T0_E_clISt17integral_constantIbLb0EES1U_EEDaS1P_S1Q_EUlS1P_E_NS1_11comp_targetILNS1_3genE5ELNS1_11target_archE942ELNS1_3gpuE9ELNS1_3repE0EEENS1_30default_config_static_selectorELNS0_4arch9wavefront6targetE0EEEvS12_.num_named_barrier, 0
	.set _ZN7rocprim17ROCPRIM_400000_NS6detail17trampoline_kernelINS0_13select_configILj256ELj13ELNS0_17block_load_methodE3ELS4_3ELS4_3ELNS0_20block_scan_algorithmE0ELj4294967295EEENS1_25partition_config_selectorILNS1_17partition_subalgoE4EjNS0_10empty_typeEbEEZZNS1_14partition_implILS8_4ELb0ES6_15HIP_vector_typeIjLj2EENS0_17counting_iteratorIjlEEPS9_SG_NS0_5tupleIJPjSI_NS0_16reverse_iteratorISI_EEEEENSH_IJSG_SG_SG_EEES9_SI_JZNS1_25segmented_radix_sort_implINS0_14default_configELb0EPKhPhPKlPlN2at6native12_GLOBAL__N_18offset_tEEE10hipError_tPvRmT1_PNSt15iterator_traitsIS12_E10value_typeET2_T3_PNS13_IS18_E10value_typeET4_jRbjT5_S1E_jjP12ihipStream_tbEUljE_ZNSN_ISO_Lb0ESQ_SR_ST_SU_SY_EESZ_S10_S11_S12_S16_S17_S18_S1B_S1C_jS1D_jS1E_S1E_jjS1G_bEUljE0_EEESZ_S10_S11_S18_S1C_S1E_T6_T7_T9_mT8_S1G_bDpT10_ENKUlT_T0_E_clISt17integral_constantIbLb0EES1U_EEDaS1P_S1Q_EUlS1P_E_NS1_11comp_targetILNS1_3genE5ELNS1_11target_archE942ELNS1_3gpuE9ELNS1_3repE0EEENS1_30default_config_static_selectorELNS0_4arch9wavefront6targetE0EEEvS12_.private_seg_size, 0
	.set _ZN7rocprim17ROCPRIM_400000_NS6detail17trampoline_kernelINS0_13select_configILj256ELj13ELNS0_17block_load_methodE3ELS4_3ELS4_3ELNS0_20block_scan_algorithmE0ELj4294967295EEENS1_25partition_config_selectorILNS1_17partition_subalgoE4EjNS0_10empty_typeEbEEZZNS1_14partition_implILS8_4ELb0ES6_15HIP_vector_typeIjLj2EENS0_17counting_iteratorIjlEEPS9_SG_NS0_5tupleIJPjSI_NS0_16reverse_iteratorISI_EEEEENSH_IJSG_SG_SG_EEES9_SI_JZNS1_25segmented_radix_sort_implINS0_14default_configELb0EPKhPhPKlPlN2at6native12_GLOBAL__N_18offset_tEEE10hipError_tPvRmT1_PNSt15iterator_traitsIS12_E10value_typeET2_T3_PNS13_IS18_E10value_typeET4_jRbjT5_S1E_jjP12ihipStream_tbEUljE_ZNSN_ISO_Lb0ESQ_SR_ST_SU_SY_EESZ_S10_S11_S12_S16_S17_S18_S1B_S1C_jS1D_jS1E_S1E_jjS1G_bEUljE0_EEESZ_S10_S11_S18_S1C_S1E_T6_T7_T9_mT8_S1G_bDpT10_ENKUlT_T0_E_clISt17integral_constantIbLb0EES1U_EEDaS1P_S1Q_EUlS1P_E_NS1_11comp_targetILNS1_3genE5ELNS1_11target_archE942ELNS1_3gpuE9ELNS1_3repE0EEENS1_30default_config_static_selectorELNS0_4arch9wavefront6targetE0EEEvS12_.uses_vcc, 0
	.set _ZN7rocprim17ROCPRIM_400000_NS6detail17trampoline_kernelINS0_13select_configILj256ELj13ELNS0_17block_load_methodE3ELS4_3ELS4_3ELNS0_20block_scan_algorithmE0ELj4294967295EEENS1_25partition_config_selectorILNS1_17partition_subalgoE4EjNS0_10empty_typeEbEEZZNS1_14partition_implILS8_4ELb0ES6_15HIP_vector_typeIjLj2EENS0_17counting_iteratorIjlEEPS9_SG_NS0_5tupleIJPjSI_NS0_16reverse_iteratorISI_EEEEENSH_IJSG_SG_SG_EEES9_SI_JZNS1_25segmented_radix_sort_implINS0_14default_configELb0EPKhPhPKlPlN2at6native12_GLOBAL__N_18offset_tEEE10hipError_tPvRmT1_PNSt15iterator_traitsIS12_E10value_typeET2_T3_PNS13_IS18_E10value_typeET4_jRbjT5_S1E_jjP12ihipStream_tbEUljE_ZNSN_ISO_Lb0ESQ_SR_ST_SU_SY_EESZ_S10_S11_S12_S16_S17_S18_S1B_S1C_jS1D_jS1E_S1E_jjS1G_bEUljE0_EEESZ_S10_S11_S18_S1C_S1E_T6_T7_T9_mT8_S1G_bDpT10_ENKUlT_T0_E_clISt17integral_constantIbLb0EES1U_EEDaS1P_S1Q_EUlS1P_E_NS1_11comp_targetILNS1_3genE5ELNS1_11target_archE942ELNS1_3gpuE9ELNS1_3repE0EEENS1_30default_config_static_selectorELNS0_4arch9wavefront6targetE0EEEvS12_.uses_flat_scratch, 0
	.set _ZN7rocprim17ROCPRIM_400000_NS6detail17trampoline_kernelINS0_13select_configILj256ELj13ELNS0_17block_load_methodE3ELS4_3ELS4_3ELNS0_20block_scan_algorithmE0ELj4294967295EEENS1_25partition_config_selectorILNS1_17partition_subalgoE4EjNS0_10empty_typeEbEEZZNS1_14partition_implILS8_4ELb0ES6_15HIP_vector_typeIjLj2EENS0_17counting_iteratorIjlEEPS9_SG_NS0_5tupleIJPjSI_NS0_16reverse_iteratorISI_EEEEENSH_IJSG_SG_SG_EEES9_SI_JZNS1_25segmented_radix_sort_implINS0_14default_configELb0EPKhPhPKlPlN2at6native12_GLOBAL__N_18offset_tEEE10hipError_tPvRmT1_PNSt15iterator_traitsIS12_E10value_typeET2_T3_PNS13_IS18_E10value_typeET4_jRbjT5_S1E_jjP12ihipStream_tbEUljE_ZNSN_ISO_Lb0ESQ_SR_ST_SU_SY_EESZ_S10_S11_S12_S16_S17_S18_S1B_S1C_jS1D_jS1E_S1E_jjS1G_bEUljE0_EEESZ_S10_S11_S18_S1C_S1E_T6_T7_T9_mT8_S1G_bDpT10_ENKUlT_T0_E_clISt17integral_constantIbLb0EES1U_EEDaS1P_S1Q_EUlS1P_E_NS1_11comp_targetILNS1_3genE5ELNS1_11target_archE942ELNS1_3gpuE9ELNS1_3repE0EEENS1_30default_config_static_selectorELNS0_4arch9wavefront6targetE0EEEvS12_.has_dyn_sized_stack, 0
	.set _ZN7rocprim17ROCPRIM_400000_NS6detail17trampoline_kernelINS0_13select_configILj256ELj13ELNS0_17block_load_methodE3ELS4_3ELS4_3ELNS0_20block_scan_algorithmE0ELj4294967295EEENS1_25partition_config_selectorILNS1_17partition_subalgoE4EjNS0_10empty_typeEbEEZZNS1_14partition_implILS8_4ELb0ES6_15HIP_vector_typeIjLj2EENS0_17counting_iteratorIjlEEPS9_SG_NS0_5tupleIJPjSI_NS0_16reverse_iteratorISI_EEEEENSH_IJSG_SG_SG_EEES9_SI_JZNS1_25segmented_radix_sort_implINS0_14default_configELb0EPKhPhPKlPlN2at6native12_GLOBAL__N_18offset_tEEE10hipError_tPvRmT1_PNSt15iterator_traitsIS12_E10value_typeET2_T3_PNS13_IS18_E10value_typeET4_jRbjT5_S1E_jjP12ihipStream_tbEUljE_ZNSN_ISO_Lb0ESQ_SR_ST_SU_SY_EESZ_S10_S11_S12_S16_S17_S18_S1B_S1C_jS1D_jS1E_S1E_jjS1G_bEUljE0_EEESZ_S10_S11_S18_S1C_S1E_T6_T7_T9_mT8_S1G_bDpT10_ENKUlT_T0_E_clISt17integral_constantIbLb0EES1U_EEDaS1P_S1Q_EUlS1P_E_NS1_11comp_targetILNS1_3genE5ELNS1_11target_archE942ELNS1_3gpuE9ELNS1_3repE0EEENS1_30default_config_static_selectorELNS0_4arch9wavefront6targetE0EEEvS12_.has_recursion, 0
	.set _ZN7rocprim17ROCPRIM_400000_NS6detail17trampoline_kernelINS0_13select_configILj256ELj13ELNS0_17block_load_methodE3ELS4_3ELS4_3ELNS0_20block_scan_algorithmE0ELj4294967295EEENS1_25partition_config_selectorILNS1_17partition_subalgoE4EjNS0_10empty_typeEbEEZZNS1_14partition_implILS8_4ELb0ES6_15HIP_vector_typeIjLj2EENS0_17counting_iteratorIjlEEPS9_SG_NS0_5tupleIJPjSI_NS0_16reverse_iteratorISI_EEEEENSH_IJSG_SG_SG_EEES9_SI_JZNS1_25segmented_radix_sort_implINS0_14default_configELb0EPKhPhPKlPlN2at6native12_GLOBAL__N_18offset_tEEE10hipError_tPvRmT1_PNSt15iterator_traitsIS12_E10value_typeET2_T3_PNS13_IS18_E10value_typeET4_jRbjT5_S1E_jjP12ihipStream_tbEUljE_ZNSN_ISO_Lb0ESQ_SR_ST_SU_SY_EESZ_S10_S11_S12_S16_S17_S18_S1B_S1C_jS1D_jS1E_S1E_jjS1G_bEUljE0_EEESZ_S10_S11_S18_S1C_S1E_T6_T7_T9_mT8_S1G_bDpT10_ENKUlT_T0_E_clISt17integral_constantIbLb0EES1U_EEDaS1P_S1Q_EUlS1P_E_NS1_11comp_targetILNS1_3genE5ELNS1_11target_archE942ELNS1_3gpuE9ELNS1_3repE0EEENS1_30default_config_static_selectorELNS0_4arch9wavefront6targetE0EEEvS12_.has_indirect_call, 0
	.section	.AMDGPU.csdata,"",@progbits
; Kernel info:
; codeLenInByte = 0
; TotalNumSgprs: 0
; NumVgprs: 0
; ScratchSize: 0
; MemoryBound: 0
; FloatMode: 240
; IeeeMode: 1
; LDSByteSize: 0 bytes/workgroup (compile time only)
; SGPRBlocks: 0
; VGPRBlocks: 0
; NumSGPRsForWavesPerEU: 1
; NumVGPRsForWavesPerEU: 1
; Occupancy: 16
; WaveLimiterHint : 0
; COMPUTE_PGM_RSRC2:SCRATCH_EN: 0
; COMPUTE_PGM_RSRC2:USER_SGPR: 2
; COMPUTE_PGM_RSRC2:TRAP_HANDLER: 0
; COMPUTE_PGM_RSRC2:TGID_X_EN: 1
; COMPUTE_PGM_RSRC2:TGID_Y_EN: 0
; COMPUTE_PGM_RSRC2:TGID_Z_EN: 0
; COMPUTE_PGM_RSRC2:TIDIG_COMP_CNT: 0
	.section	.text._ZN7rocprim17ROCPRIM_400000_NS6detail17trampoline_kernelINS0_13select_configILj256ELj13ELNS0_17block_load_methodE3ELS4_3ELS4_3ELNS0_20block_scan_algorithmE0ELj4294967295EEENS1_25partition_config_selectorILNS1_17partition_subalgoE4EjNS0_10empty_typeEbEEZZNS1_14partition_implILS8_4ELb0ES6_15HIP_vector_typeIjLj2EENS0_17counting_iteratorIjlEEPS9_SG_NS0_5tupleIJPjSI_NS0_16reverse_iteratorISI_EEEEENSH_IJSG_SG_SG_EEES9_SI_JZNS1_25segmented_radix_sort_implINS0_14default_configELb0EPKhPhPKlPlN2at6native12_GLOBAL__N_18offset_tEEE10hipError_tPvRmT1_PNSt15iterator_traitsIS12_E10value_typeET2_T3_PNS13_IS18_E10value_typeET4_jRbjT5_S1E_jjP12ihipStream_tbEUljE_ZNSN_ISO_Lb0ESQ_SR_ST_SU_SY_EESZ_S10_S11_S12_S16_S17_S18_S1B_S1C_jS1D_jS1E_S1E_jjS1G_bEUljE0_EEESZ_S10_S11_S18_S1C_S1E_T6_T7_T9_mT8_S1G_bDpT10_ENKUlT_T0_E_clISt17integral_constantIbLb0EES1U_EEDaS1P_S1Q_EUlS1P_E_NS1_11comp_targetILNS1_3genE4ELNS1_11target_archE910ELNS1_3gpuE8ELNS1_3repE0EEENS1_30default_config_static_selectorELNS0_4arch9wavefront6targetE0EEEvS12_,"axG",@progbits,_ZN7rocprim17ROCPRIM_400000_NS6detail17trampoline_kernelINS0_13select_configILj256ELj13ELNS0_17block_load_methodE3ELS4_3ELS4_3ELNS0_20block_scan_algorithmE0ELj4294967295EEENS1_25partition_config_selectorILNS1_17partition_subalgoE4EjNS0_10empty_typeEbEEZZNS1_14partition_implILS8_4ELb0ES6_15HIP_vector_typeIjLj2EENS0_17counting_iteratorIjlEEPS9_SG_NS0_5tupleIJPjSI_NS0_16reverse_iteratorISI_EEEEENSH_IJSG_SG_SG_EEES9_SI_JZNS1_25segmented_radix_sort_implINS0_14default_configELb0EPKhPhPKlPlN2at6native12_GLOBAL__N_18offset_tEEE10hipError_tPvRmT1_PNSt15iterator_traitsIS12_E10value_typeET2_T3_PNS13_IS18_E10value_typeET4_jRbjT5_S1E_jjP12ihipStream_tbEUljE_ZNSN_ISO_Lb0ESQ_SR_ST_SU_SY_EESZ_S10_S11_S12_S16_S17_S18_S1B_S1C_jS1D_jS1E_S1E_jjS1G_bEUljE0_EEESZ_S10_S11_S18_S1C_S1E_T6_T7_T9_mT8_S1G_bDpT10_ENKUlT_T0_E_clISt17integral_constantIbLb0EES1U_EEDaS1P_S1Q_EUlS1P_E_NS1_11comp_targetILNS1_3genE4ELNS1_11target_archE910ELNS1_3gpuE8ELNS1_3repE0EEENS1_30default_config_static_selectorELNS0_4arch9wavefront6targetE0EEEvS12_,comdat
	.globl	_ZN7rocprim17ROCPRIM_400000_NS6detail17trampoline_kernelINS0_13select_configILj256ELj13ELNS0_17block_load_methodE3ELS4_3ELS4_3ELNS0_20block_scan_algorithmE0ELj4294967295EEENS1_25partition_config_selectorILNS1_17partition_subalgoE4EjNS0_10empty_typeEbEEZZNS1_14partition_implILS8_4ELb0ES6_15HIP_vector_typeIjLj2EENS0_17counting_iteratorIjlEEPS9_SG_NS0_5tupleIJPjSI_NS0_16reverse_iteratorISI_EEEEENSH_IJSG_SG_SG_EEES9_SI_JZNS1_25segmented_radix_sort_implINS0_14default_configELb0EPKhPhPKlPlN2at6native12_GLOBAL__N_18offset_tEEE10hipError_tPvRmT1_PNSt15iterator_traitsIS12_E10value_typeET2_T3_PNS13_IS18_E10value_typeET4_jRbjT5_S1E_jjP12ihipStream_tbEUljE_ZNSN_ISO_Lb0ESQ_SR_ST_SU_SY_EESZ_S10_S11_S12_S16_S17_S18_S1B_S1C_jS1D_jS1E_S1E_jjS1G_bEUljE0_EEESZ_S10_S11_S18_S1C_S1E_T6_T7_T9_mT8_S1G_bDpT10_ENKUlT_T0_E_clISt17integral_constantIbLb0EES1U_EEDaS1P_S1Q_EUlS1P_E_NS1_11comp_targetILNS1_3genE4ELNS1_11target_archE910ELNS1_3gpuE8ELNS1_3repE0EEENS1_30default_config_static_selectorELNS0_4arch9wavefront6targetE0EEEvS12_ ; -- Begin function _ZN7rocprim17ROCPRIM_400000_NS6detail17trampoline_kernelINS0_13select_configILj256ELj13ELNS0_17block_load_methodE3ELS4_3ELS4_3ELNS0_20block_scan_algorithmE0ELj4294967295EEENS1_25partition_config_selectorILNS1_17partition_subalgoE4EjNS0_10empty_typeEbEEZZNS1_14partition_implILS8_4ELb0ES6_15HIP_vector_typeIjLj2EENS0_17counting_iteratorIjlEEPS9_SG_NS0_5tupleIJPjSI_NS0_16reverse_iteratorISI_EEEEENSH_IJSG_SG_SG_EEES9_SI_JZNS1_25segmented_radix_sort_implINS0_14default_configELb0EPKhPhPKlPlN2at6native12_GLOBAL__N_18offset_tEEE10hipError_tPvRmT1_PNSt15iterator_traitsIS12_E10value_typeET2_T3_PNS13_IS18_E10value_typeET4_jRbjT5_S1E_jjP12ihipStream_tbEUljE_ZNSN_ISO_Lb0ESQ_SR_ST_SU_SY_EESZ_S10_S11_S12_S16_S17_S18_S1B_S1C_jS1D_jS1E_S1E_jjS1G_bEUljE0_EEESZ_S10_S11_S18_S1C_S1E_T6_T7_T9_mT8_S1G_bDpT10_ENKUlT_T0_E_clISt17integral_constantIbLb0EES1U_EEDaS1P_S1Q_EUlS1P_E_NS1_11comp_targetILNS1_3genE4ELNS1_11target_archE910ELNS1_3gpuE8ELNS1_3repE0EEENS1_30default_config_static_selectorELNS0_4arch9wavefront6targetE0EEEvS12_
	.p2align	8
	.type	_ZN7rocprim17ROCPRIM_400000_NS6detail17trampoline_kernelINS0_13select_configILj256ELj13ELNS0_17block_load_methodE3ELS4_3ELS4_3ELNS0_20block_scan_algorithmE0ELj4294967295EEENS1_25partition_config_selectorILNS1_17partition_subalgoE4EjNS0_10empty_typeEbEEZZNS1_14partition_implILS8_4ELb0ES6_15HIP_vector_typeIjLj2EENS0_17counting_iteratorIjlEEPS9_SG_NS0_5tupleIJPjSI_NS0_16reverse_iteratorISI_EEEEENSH_IJSG_SG_SG_EEES9_SI_JZNS1_25segmented_radix_sort_implINS0_14default_configELb0EPKhPhPKlPlN2at6native12_GLOBAL__N_18offset_tEEE10hipError_tPvRmT1_PNSt15iterator_traitsIS12_E10value_typeET2_T3_PNS13_IS18_E10value_typeET4_jRbjT5_S1E_jjP12ihipStream_tbEUljE_ZNSN_ISO_Lb0ESQ_SR_ST_SU_SY_EESZ_S10_S11_S12_S16_S17_S18_S1B_S1C_jS1D_jS1E_S1E_jjS1G_bEUljE0_EEESZ_S10_S11_S18_S1C_S1E_T6_T7_T9_mT8_S1G_bDpT10_ENKUlT_T0_E_clISt17integral_constantIbLb0EES1U_EEDaS1P_S1Q_EUlS1P_E_NS1_11comp_targetILNS1_3genE4ELNS1_11target_archE910ELNS1_3gpuE8ELNS1_3repE0EEENS1_30default_config_static_selectorELNS0_4arch9wavefront6targetE0EEEvS12_,@function
_ZN7rocprim17ROCPRIM_400000_NS6detail17trampoline_kernelINS0_13select_configILj256ELj13ELNS0_17block_load_methodE3ELS4_3ELS4_3ELNS0_20block_scan_algorithmE0ELj4294967295EEENS1_25partition_config_selectorILNS1_17partition_subalgoE4EjNS0_10empty_typeEbEEZZNS1_14partition_implILS8_4ELb0ES6_15HIP_vector_typeIjLj2EENS0_17counting_iteratorIjlEEPS9_SG_NS0_5tupleIJPjSI_NS0_16reverse_iteratorISI_EEEEENSH_IJSG_SG_SG_EEES9_SI_JZNS1_25segmented_radix_sort_implINS0_14default_configELb0EPKhPhPKlPlN2at6native12_GLOBAL__N_18offset_tEEE10hipError_tPvRmT1_PNSt15iterator_traitsIS12_E10value_typeET2_T3_PNS13_IS18_E10value_typeET4_jRbjT5_S1E_jjP12ihipStream_tbEUljE_ZNSN_ISO_Lb0ESQ_SR_ST_SU_SY_EESZ_S10_S11_S12_S16_S17_S18_S1B_S1C_jS1D_jS1E_S1E_jjS1G_bEUljE0_EEESZ_S10_S11_S18_S1C_S1E_T6_T7_T9_mT8_S1G_bDpT10_ENKUlT_T0_E_clISt17integral_constantIbLb0EES1U_EEDaS1P_S1Q_EUlS1P_E_NS1_11comp_targetILNS1_3genE4ELNS1_11target_archE910ELNS1_3gpuE8ELNS1_3repE0EEENS1_30default_config_static_selectorELNS0_4arch9wavefront6targetE0EEEvS12_: ; @_ZN7rocprim17ROCPRIM_400000_NS6detail17trampoline_kernelINS0_13select_configILj256ELj13ELNS0_17block_load_methodE3ELS4_3ELS4_3ELNS0_20block_scan_algorithmE0ELj4294967295EEENS1_25partition_config_selectorILNS1_17partition_subalgoE4EjNS0_10empty_typeEbEEZZNS1_14partition_implILS8_4ELb0ES6_15HIP_vector_typeIjLj2EENS0_17counting_iteratorIjlEEPS9_SG_NS0_5tupleIJPjSI_NS0_16reverse_iteratorISI_EEEEENSH_IJSG_SG_SG_EEES9_SI_JZNS1_25segmented_radix_sort_implINS0_14default_configELb0EPKhPhPKlPlN2at6native12_GLOBAL__N_18offset_tEEE10hipError_tPvRmT1_PNSt15iterator_traitsIS12_E10value_typeET2_T3_PNS13_IS18_E10value_typeET4_jRbjT5_S1E_jjP12ihipStream_tbEUljE_ZNSN_ISO_Lb0ESQ_SR_ST_SU_SY_EESZ_S10_S11_S12_S16_S17_S18_S1B_S1C_jS1D_jS1E_S1E_jjS1G_bEUljE0_EEESZ_S10_S11_S18_S1C_S1E_T6_T7_T9_mT8_S1G_bDpT10_ENKUlT_T0_E_clISt17integral_constantIbLb0EES1U_EEDaS1P_S1Q_EUlS1P_E_NS1_11comp_targetILNS1_3genE4ELNS1_11target_archE910ELNS1_3gpuE8ELNS1_3repE0EEENS1_30default_config_static_selectorELNS0_4arch9wavefront6targetE0EEEvS12_
; %bb.0:
	.section	.rodata,"a",@progbits
	.p2align	6, 0x0
	.amdhsa_kernel _ZN7rocprim17ROCPRIM_400000_NS6detail17trampoline_kernelINS0_13select_configILj256ELj13ELNS0_17block_load_methodE3ELS4_3ELS4_3ELNS0_20block_scan_algorithmE0ELj4294967295EEENS1_25partition_config_selectorILNS1_17partition_subalgoE4EjNS0_10empty_typeEbEEZZNS1_14partition_implILS8_4ELb0ES6_15HIP_vector_typeIjLj2EENS0_17counting_iteratorIjlEEPS9_SG_NS0_5tupleIJPjSI_NS0_16reverse_iteratorISI_EEEEENSH_IJSG_SG_SG_EEES9_SI_JZNS1_25segmented_radix_sort_implINS0_14default_configELb0EPKhPhPKlPlN2at6native12_GLOBAL__N_18offset_tEEE10hipError_tPvRmT1_PNSt15iterator_traitsIS12_E10value_typeET2_T3_PNS13_IS18_E10value_typeET4_jRbjT5_S1E_jjP12ihipStream_tbEUljE_ZNSN_ISO_Lb0ESQ_SR_ST_SU_SY_EESZ_S10_S11_S12_S16_S17_S18_S1B_S1C_jS1D_jS1E_S1E_jjS1G_bEUljE0_EEESZ_S10_S11_S18_S1C_S1E_T6_T7_T9_mT8_S1G_bDpT10_ENKUlT_T0_E_clISt17integral_constantIbLb0EES1U_EEDaS1P_S1Q_EUlS1P_E_NS1_11comp_targetILNS1_3genE4ELNS1_11target_archE910ELNS1_3gpuE8ELNS1_3repE0EEENS1_30default_config_static_selectorELNS0_4arch9wavefront6targetE0EEEvS12_
		.amdhsa_group_segment_fixed_size 0
		.amdhsa_private_segment_fixed_size 0
		.amdhsa_kernarg_size 176
		.amdhsa_user_sgpr_count 2
		.amdhsa_user_sgpr_dispatch_ptr 0
		.amdhsa_user_sgpr_queue_ptr 0
		.amdhsa_user_sgpr_kernarg_segment_ptr 1
		.amdhsa_user_sgpr_dispatch_id 0
		.amdhsa_user_sgpr_private_segment_size 0
		.amdhsa_wavefront_size32 1
		.amdhsa_uses_dynamic_stack 0
		.amdhsa_enable_private_segment 0
		.amdhsa_system_sgpr_workgroup_id_x 1
		.amdhsa_system_sgpr_workgroup_id_y 0
		.amdhsa_system_sgpr_workgroup_id_z 0
		.amdhsa_system_sgpr_workgroup_info 0
		.amdhsa_system_vgpr_workitem_id 0
		.amdhsa_next_free_vgpr 1
		.amdhsa_next_free_sgpr 1
		.amdhsa_reserve_vcc 0
		.amdhsa_float_round_mode_32 0
		.amdhsa_float_round_mode_16_64 0
		.amdhsa_float_denorm_mode_32 3
		.amdhsa_float_denorm_mode_16_64 3
		.amdhsa_fp16_overflow 0
		.amdhsa_workgroup_processor_mode 1
		.amdhsa_memory_ordered 1
		.amdhsa_forward_progress 1
		.amdhsa_inst_pref_size 0
		.amdhsa_round_robin_scheduling 0
		.amdhsa_exception_fp_ieee_invalid_op 0
		.amdhsa_exception_fp_denorm_src 0
		.amdhsa_exception_fp_ieee_div_zero 0
		.amdhsa_exception_fp_ieee_overflow 0
		.amdhsa_exception_fp_ieee_underflow 0
		.amdhsa_exception_fp_ieee_inexact 0
		.amdhsa_exception_int_div_zero 0
	.end_amdhsa_kernel
	.section	.text._ZN7rocprim17ROCPRIM_400000_NS6detail17trampoline_kernelINS0_13select_configILj256ELj13ELNS0_17block_load_methodE3ELS4_3ELS4_3ELNS0_20block_scan_algorithmE0ELj4294967295EEENS1_25partition_config_selectorILNS1_17partition_subalgoE4EjNS0_10empty_typeEbEEZZNS1_14partition_implILS8_4ELb0ES6_15HIP_vector_typeIjLj2EENS0_17counting_iteratorIjlEEPS9_SG_NS0_5tupleIJPjSI_NS0_16reverse_iteratorISI_EEEEENSH_IJSG_SG_SG_EEES9_SI_JZNS1_25segmented_radix_sort_implINS0_14default_configELb0EPKhPhPKlPlN2at6native12_GLOBAL__N_18offset_tEEE10hipError_tPvRmT1_PNSt15iterator_traitsIS12_E10value_typeET2_T3_PNS13_IS18_E10value_typeET4_jRbjT5_S1E_jjP12ihipStream_tbEUljE_ZNSN_ISO_Lb0ESQ_SR_ST_SU_SY_EESZ_S10_S11_S12_S16_S17_S18_S1B_S1C_jS1D_jS1E_S1E_jjS1G_bEUljE0_EEESZ_S10_S11_S18_S1C_S1E_T6_T7_T9_mT8_S1G_bDpT10_ENKUlT_T0_E_clISt17integral_constantIbLb0EES1U_EEDaS1P_S1Q_EUlS1P_E_NS1_11comp_targetILNS1_3genE4ELNS1_11target_archE910ELNS1_3gpuE8ELNS1_3repE0EEENS1_30default_config_static_selectorELNS0_4arch9wavefront6targetE0EEEvS12_,"axG",@progbits,_ZN7rocprim17ROCPRIM_400000_NS6detail17trampoline_kernelINS0_13select_configILj256ELj13ELNS0_17block_load_methodE3ELS4_3ELS4_3ELNS0_20block_scan_algorithmE0ELj4294967295EEENS1_25partition_config_selectorILNS1_17partition_subalgoE4EjNS0_10empty_typeEbEEZZNS1_14partition_implILS8_4ELb0ES6_15HIP_vector_typeIjLj2EENS0_17counting_iteratorIjlEEPS9_SG_NS0_5tupleIJPjSI_NS0_16reverse_iteratorISI_EEEEENSH_IJSG_SG_SG_EEES9_SI_JZNS1_25segmented_radix_sort_implINS0_14default_configELb0EPKhPhPKlPlN2at6native12_GLOBAL__N_18offset_tEEE10hipError_tPvRmT1_PNSt15iterator_traitsIS12_E10value_typeET2_T3_PNS13_IS18_E10value_typeET4_jRbjT5_S1E_jjP12ihipStream_tbEUljE_ZNSN_ISO_Lb0ESQ_SR_ST_SU_SY_EESZ_S10_S11_S12_S16_S17_S18_S1B_S1C_jS1D_jS1E_S1E_jjS1G_bEUljE0_EEESZ_S10_S11_S18_S1C_S1E_T6_T7_T9_mT8_S1G_bDpT10_ENKUlT_T0_E_clISt17integral_constantIbLb0EES1U_EEDaS1P_S1Q_EUlS1P_E_NS1_11comp_targetILNS1_3genE4ELNS1_11target_archE910ELNS1_3gpuE8ELNS1_3repE0EEENS1_30default_config_static_selectorELNS0_4arch9wavefront6targetE0EEEvS12_,comdat
.Lfunc_end124:
	.size	_ZN7rocprim17ROCPRIM_400000_NS6detail17trampoline_kernelINS0_13select_configILj256ELj13ELNS0_17block_load_methodE3ELS4_3ELS4_3ELNS0_20block_scan_algorithmE0ELj4294967295EEENS1_25partition_config_selectorILNS1_17partition_subalgoE4EjNS0_10empty_typeEbEEZZNS1_14partition_implILS8_4ELb0ES6_15HIP_vector_typeIjLj2EENS0_17counting_iteratorIjlEEPS9_SG_NS0_5tupleIJPjSI_NS0_16reverse_iteratorISI_EEEEENSH_IJSG_SG_SG_EEES9_SI_JZNS1_25segmented_radix_sort_implINS0_14default_configELb0EPKhPhPKlPlN2at6native12_GLOBAL__N_18offset_tEEE10hipError_tPvRmT1_PNSt15iterator_traitsIS12_E10value_typeET2_T3_PNS13_IS18_E10value_typeET4_jRbjT5_S1E_jjP12ihipStream_tbEUljE_ZNSN_ISO_Lb0ESQ_SR_ST_SU_SY_EESZ_S10_S11_S12_S16_S17_S18_S1B_S1C_jS1D_jS1E_S1E_jjS1G_bEUljE0_EEESZ_S10_S11_S18_S1C_S1E_T6_T7_T9_mT8_S1G_bDpT10_ENKUlT_T0_E_clISt17integral_constantIbLb0EES1U_EEDaS1P_S1Q_EUlS1P_E_NS1_11comp_targetILNS1_3genE4ELNS1_11target_archE910ELNS1_3gpuE8ELNS1_3repE0EEENS1_30default_config_static_selectorELNS0_4arch9wavefront6targetE0EEEvS12_, .Lfunc_end124-_ZN7rocprim17ROCPRIM_400000_NS6detail17trampoline_kernelINS0_13select_configILj256ELj13ELNS0_17block_load_methodE3ELS4_3ELS4_3ELNS0_20block_scan_algorithmE0ELj4294967295EEENS1_25partition_config_selectorILNS1_17partition_subalgoE4EjNS0_10empty_typeEbEEZZNS1_14partition_implILS8_4ELb0ES6_15HIP_vector_typeIjLj2EENS0_17counting_iteratorIjlEEPS9_SG_NS0_5tupleIJPjSI_NS0_16reverse_iteratorISI_EEEEENSH_IJSG_SG_SG_EEES9_SI_JZNS1_25segmented_radix_sort_implINS0_14default_configELb0EPKhPhPKlPlN2at6native12_GLOBAL__N_18offset_tEEE10hipError_tPvRmT1_PNSt15iterator_traitsIS12_E10value_typeET2_T3_PNS13_IS18_E10value_typeET4_jRbjT5_S1E_jjP12ihipStream_tbEUljE_ZNSN_ISO_Lb0ESQ_SR_ST_SU_SY_EESZ_S10_S11_S12_S16_S17_S18_S1B_S1C_jS1D_jS1E_S1E_jjS1G_bEUljE0_EEESZ_S10_S11_S18_S1C_S1E_T6_T7_T9_mT8_S1G_bDpT10_ENKUlT_T0_E_clISt17integral_constantIbLb0EES1U_EEDaS1P_S1Q_EUlS1P_E_NS1_11comp_targetILNS1_3genE4ELNS1_11target_archE910ELNS1_3gpuE8ELNS1_3repE0EEENS1_30default_config_static_selectorELNS0_4arch9wavefront6targetE0EEEvS12_
                                        ; -- End function
	.set _ZN7rocprim17ROCPRIM_400000_NS6detail17trampoline_kernelINS0_13select_configILj256ELj13ELNS0_17block_load_methodE3ELS4_3ELS4_3ELNS0_20block_scan_algorithmE0ELj4294967295EEENS1_25partition_config_selectorILNS1_17partition_subalgoE4EjNS0_10empty_typeEbEEZZNS1_14partition_implILS8_4ELb0ES6_15HIP_vector_typeIjLj2EENS0_17counting_iteratorIjlEEPS9_SG_NS0_5tupleIJPjSI_NS0_16reverse_iteratorISI_EEEEENSH_IJSG_SG_SG_EEES9_SI_JZNS1_25segmented_radix_sort_implINS0_14default_configELb0EPKhPhPKlPlN2at6native12_GLOBAL__N_18offset_tEEE10hipError_tPvRmT1_PNSt15iterator_traitsIS12_E10value_typeET2_T3_PNS13_IS18_E10value_typeET4_jRbjT5_S1E_jjP12ihipStream_tbEUljE_ZNSN_ISO_Lb0ESQ_SR_ST_SU_SY_EESZ_S10_S11_S12_S16_S17_S18_S1B_S1C_jS1D_jS1E_S1E_jjS1G_bEUljE0_EEESZ_S10_S11_S18_S1C_S1E_T6_T7_T9_mT8_S1G_bDpT10_ENKUlT_T0_E_clISt17integral_constantIbLb0EES1U_EEDaS1P_S1Q_EUlS1P_E_NS1_11comp_targetILNS1_3genE4ELNS1_11target_archE910ELNS1_3gpuE8ELNS1_3repE0EEENS1_30default_config_static_selectorELNS0_4arch9wavefront6targetE0EEEvS12_.num_vgpr, 0
	.set _ZN7rocprim17ROCPRIM_400000_NS6detail17trampoline_kernelINS0_13select_configILj256ELj13ELNS0_17block_load_methodE3ELS4_3ELS4_3ELNS0_20block_scan_algorithmE0ELj4294967295EEENS1_25partition_config_selectorILNS1_17partition_subalgoE4EjNS0_10empty_typeEbEEZZNS1_14partition_implILS8_4ELb0ES6_15HIP_vector_typeIjLj2EENS0_17counting_iteratorIjlEEPS9_SG_NS0_5tupleIJPjSI_NS0_16reverse_iteratorISI_EEEEENSH_IJSG_SG_SG_EEES9_SI_JZNS1_25segmented_radix_sort_implINS0_14default_configELb0EPKhPhPKlPlN2at6native12_GLOBAL__N_18offset_tEEE10hipError_tPvRmT1_PNSt15iterator_traitsIS12_E10value_typeET2_T3_PNS13_IS18_E10value_typeET4_jRbjT5_S1E_jjP12ihipStream_tbEUljE_ZNSN_ISO_Lb0ESQ_SR_ST_SU_SY_EESZ_S10_S11_S12_S16_S17_S18_S1B_S1C_jS1D_jS1E_S1E_jjS1G_bEUljE0_EEESZ_S10_S11_S18_S1C_S1E_T6_T7_T9_mT8_S1G_bDpT10_ENKUlT_T0_E_clISt17integral_constantIbLb0EES1U_EEDaS1P_S1Q_EUlS1P_E_NS1_11comp_targetILNS1_3genE4ELNS1_11target_archE910ELNS1_3gpuE8ELNS1_3repE0EEENS1_30default_config_static_selectorELNS0_4arch9wavefront6targetE0EEEvS12_.num_agpr, 0
	.set _ZN7rocprim17ROCPRIM_400000_NS6detail17trampoline_kernelINS0_13select_configILj256ELj13ELNS0_17block_load_methodE3ELS4_3ELS4_3ELNS0_20block_scan_algorithmE0ELj4294967295EEENS1_25partition_config_selectorILNS1_17partition_subalgoE4EjNS0_10empty_typeEbEEZZNS1_14partition_implILS8_4ELb0ES6_15HIP_vector_typeIjLj2EENS0_17counting_iteratorIjlEEPS9_SG_NS0_5tupleIJPjSI_NS0_16reverse_iteratorISI_EEEEENSH_IJSG_SG_SG_EEES9_SI_JZNS1_25segmented_radix_sort_implINS0_14default_configELb0EPKhPhPKlPlN2at6native12_GLOBAL__N_18offset_tEEE10hipError_tPvRmT1_PNSt15iterator_traitsIS12_E10value_typeET2_T3_PNS13_IS18_E10value_typeET4_jRbjT5_S1E_jjP12ihipStream_tbEUljE_ZNSN_ISO_Lb0ESQ_SR_ST_SU_SY_EESZ_S10_S11_S12_S16_S17_S18_S1B_S1C_jS1D_jS1E_S1E_jjS1G_bEUljE0_EEESZ_S10_S11_S18_S1C_S1E_T6_T7_T9_mT8_S1G_bDpT10_ENKUlT_T0_E_clISt17integral_constantIbLb0EES1U_EEDaS1P_S1Q_EUlS1P_E_NS1_11comp_targetILNS1_3genE4ELNS1_11target_archE910ELNS1_3gpuE8ELNS1_3repE0EEENS1_30default_config_static_selectorELNS0_4arch9wavefront6targetE0EEEvS12_.numbered_sgpr, 0
	.set _ZN7rocprim17ROCPRIM_400000_NS6detail17trampoline_kernelINS0_13select_configILj256ELj13ELNS0_17block_load_methodE3ELS4_3ELS4_3ELNS0_20block_scan_algorithmE0ELj4294967295EEENS1_25partition_config_selectorILNS1_17partition_subalgoE4EjNS0_10empty_typeEbEEZZNS1_14partition_implILS8_4ELb0ES6_15HIP_vector_typeIjLj2EENS0_17counting_iteratorIjlEEPS9_SG_NS0_5tupleIJPjSI_NS0_16reverse_iteratorISI_EEEEENSH_IJSG_SG_SG_EEES9_SI_JZNS1_25segmented_radix_sort_implINS0_14default_configELb0EPKhPhPKlPlN2at6native12_GLOBAL__N_18offset_tEEE10hipError_tPvRmT1_PNSt15iterator_traitsIS12_E10value_typeET2_T3_PNS13_IS18_E10value_typeET4_jRbjT5_S1E_jjP12ihipStream_tbEUljE_ZNSN_ISO_Lb0ESQ_SR_ST_SU_SY_EESZ_S10_S11_S12_S16_S17_S18_S1B_S1C_jS1D_jS1E_S1E_jjS1G_bEUljE0_EEESZ_S10_S11_S18_S1C_S1E_T6_T7_T9_mT8_S1G_bDpT10_ENKUlT_T0_E_clISt17integral_constantIbLb0EES1U_EEDaS1P_S1Q_EUlS1P_E_NS1_11comp_targetILNS1_3genE4ELNS1_11target_archE910ELNS1_3gpuE8ELNS1_3repE0EEENS1_30default_config_static_selectorELNS0_4arch9wavefront6targetE0EEEvS12_.num_named_barrier, 0
	.set _ZN7rocprim17ROCPRIM_400000_NS6detail17trampoline_kernelINS0_13select_configILj256ELj13ELNS0_17block_load_methodE3ELS4_3ELS4_3ELNS0_20block_scan_algorithmE0ELj4294967295EEENS1_25partition_config_selectorILNS1_17partition_subalgoE4EjNS0_10empty_typeEbEEZZNS1_14partition_implILS8_4ELb0ES6_15HIP_vector_typeIjLj2EENS0_17counting_iteratorIjlEEPS9_SG_NS0_5tupleIJPjSI_NS0_16reverse_iteratorISI_EEEEENSH_IJSG_SG_SG_EEES9_SI_JZNS1_25segmented_radix_sort_implINS0_14default_configELb0EPKhPhPKlPlN2at6native12_GLOBAL__N_18offset_tEEE10hipError_tPvRmT1_PNSt15iterator_traitsIS12_E10value_typeET2_T3_PNS13_IS18_E10value_typeET4_jRbjT5_S1E_jjP12ihipStream_tbEUljE_ZNSN_ISO_Lb0ESQ_SR_ST_SU_SY_EESZ_S10_S11_S12_S16_S17_S18_S1B_S1C_jS1D_jS1E_S1E_jjS1G_bEUljE0_EEESZ_S10_S11_S18_S1C_S1E_T6_T7_T9_mT8_S1G_bDpT10_ENKUlT_T0_E_clISt17integral_constantIbLb0EES1U_EEDaS1P_S1Q_EUlS1P_E_NS1_11comp_targetILNS1_3genE4ELNS1_11target_archE910ELNS1_3gpuE8ELNS1_3repE0EEENS1_30default_config_static_selectorELNS0_4arch9wavefront6targetE0EEEvS12_.private_seg_size, 0
	.set _ZN7rocprim17ROCPRIM_400000_NS6detail17trampoline_kernelINS0_13select_configILj256ELj13ELNS0_17block_load_methodE3ELS4_3ELS4_3ELNS0_20block_scan_algorithmE0ELj4294967295EEENS1_25partition_config_selectorILNS1_17partition_subalgoE4EjNS0_10empty_typeEbEEZZNS1_14partition_implILS8_4ELb0ES6_15HIP_vector_typeIjLj2EENS0_17counting_iteratorIjlEEPS9_SG_NS0_5tupleIJPjSI_NS0_16reverse_iteratorISI_EEEEENSH_IJSG_SG_SG_EEES9_SI_JZNS1_25segmented_radix_sort_implINS0_14default_configELb0EPKhPhPKlPlN2at6native12_GLOBAL__N_18offset_tEEE10hipError_tPvRmT1_PNSt15iterator_traitsIS12_E10value_typeET2_T3_PNS13_IS18_E10value_typeET4_jRbjT5_S1E_jjP12ihipStream_tbEUljE_ZNSN_ISO_Lb0ESQ_SR_ST_SU_SY_EESZ_S10_S11_S12_S16_S17_S18_S1B_S1C_jS1D_jS1E_S1E_jjS1G_bEUljE0_EEESZ_S10_S11_S18_S1C_S1E_T6_T7_T9_mT8_S1G_bDpT10_ENKUlT_T0_E_clISt17integral_constantIbLb0EES1U_EEDaS1P_S1Q_EUlS1P_E_NS1_11comp_targetILNS1_3genE4ELNS1_11target_archE910ELNS1_3gpuE8ELNS1_3repE0EEENS1_30default_config_static_selectorELNS0_4arch9wavefront6targetE0EEEvS12_.uses_vcc, 0
	.set _ZN7rocprim17ROCPRIM_400000_NS6detail17trampoline_kernelINS0_13select_configILj256ELj13ELNS0_17block_load_methodE3ELS4_3ELS4_3ELNS0_20block_scan_algorithmE0ELj4294967295EEENS1_25partition_config_selectorILNS1_17partition_subalgoE4EjNS0_10empty_typeEbEEZZNS1_14partition_implILS8_4ELb0ES6_15HIP_vector_typeIjLj2EENS0_17counting_iteratorIjlEEPS9_SG_NS0_5tupleIJPjSI_NS0_16reverse_iteratorISI_EEEEENSH_IJSG_SG_SG_EEES9_SI_JZNS1_25segmented_radix_sort_implINS0_14default_configELb0EPKhPhPKlPlN2at6native12_GLOBAL__N_18offset_tEEE10hipError_tPvRmT1_PNSt15iterator_traitsIS12_E10value_typeET2_T3_PNS13_IS18_E10value_typeET4_jRbjT5_S1E_jjP12ihipStream_tbEUljE_ZNSN_ISO_Lb0ESQ_SR_ST_SU_SY_EESZ_S10_S11_S12_S16_S17_S18_S1B_S1C_jS1D_jS1E_S1E_jjS1G_bEUljE0_EEESZ_S10_S11_S18_S1C_S1E_T6_T7_T9_mT8_S1G_bDpT10_ENKUlT_T0_E_clISt17integral_constantIbLb0EES1U_EEDaS1P_S1Q_EUlS1P_E_NS1_11comp_targetILNS1_3genE4ELNS1_11target_archE910ELNS1_3gpuE8ELNS1_3repE0EEENS1_30default_config_static_selectorELNS0_4arch9wavefront6targetE0EEEvS12_.uses_flat_scratch, 0
	.set _ZN7rocprim17ROCPRIM_400000_NS6detail17trampoline_kernelINS0_13select_configILj256ELj13ELNS0_17block_load_methodE3ELS4_3ELS4_3ELNS0_20block_scan_algorithmE0ELj4294967295EEENS1_25partition_config_selectorILNS1_17partition_subalgoE4EjNS0_10empty_typeEbEEZZNS1_14partition_implILS8_4ELb0ES6_15HIP_vector_typeIjLj2EENS0_17counting_iteratorIjlEEPS9_SG_NS0_5tupleIJPjSI_NS0_16reverse_iteratorISI_EEEEENSH_IJSG_SG_SG_EEES9_SI_JZNS1_25segmented_radix_sort_implINS0_14default_configELb0EPKhPhPKlPlN2at6native12_GLOBAL__N_18offset_tEEE10hipError_tPvRmT1_PNSt15iterator_traitsIS12_E10value_typeET2_T3_PNS13_IS18_E10value_typeET4_jRbjT5_S1E_jjP12ihipStream_tbEUljE_ZNSN_ISO_Lb0ESQ_SR_ST_SU_SY_EESZ_S10_S11_S12_S16_S17_S18_S1B_S1C_jS1D_jS1E_S1E_jjS1G_bEUljE0_EEESZ_S10_S11_S18_S1C_S1E_T6_T7_T9_mT8_S1G_bDpT10_ENKUlT_T0_E_clISt17integral_constantIbLb0EES1U_EEDaS1P_S1Q_EUlS1P_E_NS1_11comp_targetILNS1_3genE4ELNS1_11target_archE910ELNS1_3gpuE8ELNS1_3repE0EEENS1_30default_config_static_selectorELNS0_4arch9wavefront6targetE0EEEvS12_.has_dyn_sized_stack, 0
	.set _ZN7rocprim17ROCPRIM_400000_NS6detail17trampoline_kernelINS0_13select_configILj256ELj13ELNS0_17block_load_methodE3ELS4_3ELS4_3ELNS0_20block_scan_algorithmE0ELj4294967295EEENS1_25partition_config_selectorILNS1_17partition_subalgoE4EjNS0_10empty_typeEbEEZZNS1_14partition_implILS8_4ELb0ES6_15HIP_vector_typeIjLj2EENS0_17counting_iteratorIjlEEPS9_SG_NS0_5tupleIJPjSI_NS0_16reverse_iteratorISI_EEEEENSH_IJSG_SG_SG_EEES9_SI_JZNS1_25segmented_radix_sort_implINS0_14default_configELb0EPKhPhPKlPlN2at6native12_GLOBAL__N_18offset_tEEE10hipError_tPvRmT1_PNSt15iterator_traitsIS12_E10value_typeET2_T3_PNS13_IS18_E10value_typeET4_jRbjT5_S1E_jjP12ihipStream_tbEUljE_ZNSN_ISO_Lb0ESQ_SR_ST_SU_SY_EESZ_S10_S11_S12_S16_S17_S18_S1B_S1C_jS1D_jS1E_S1E_jjS1G_bEUljE0_EEESZ_S10_S11_S18_S1C_S1E_T6_T7_T9_mT8_S1G_bDpT10_ENKUlT_T0_E_clISt17integral_constantIbLb0EES1U_EEDaS1P_S1Q_EUlS1P_E_NS1_11comp_targetILNS1_3genE4ELNS1_11target_archE910ELNS1_3gpuE8ELNS1_3repE0EEENS1_30default_config_static_selectorELNS0_4arch9wavefront6targetE0EEEvS12_.has_recursion, 0
	.set _ZN7rocprim17ROCPRIM_400000_NS6detail17trampoline_kernelINS0_13select_configILj256ELj13ELNS0_17block_load_methodE3ELS4_3ELS4_3ELNS0_20block_scan_algorithmE0ELj4294967295EEENS1_25partition_config_selectorILNS1_17partition_subalgoE4EjNS0_10empty_typeEbEEZZNS1_14partition_implILS8_4ELb0ES6_15HIP_vector_typeIjLj2EENS0_17counting_iteratorIjlEEPS9_SG_NS0_5tupleIJPjSI_NS0_16reverse_iteratorISI_EEEEENSH_IJSG_SG_SG_EEES9_SI_JZNS1_25segmented_radix_sort_implINS0_14default_configELb0EPKhPhPKlPlN2at6native12_GLOBAL__N_18offset_tEEE10hipError_tPvRmT1_PNSt15iterator_traitsIS12_E10value_typeET2_T3_PNS13_IS18_E10value_typeET4_jRbjT5_S1E_jjP12ihipStream_tbEUljE_ZNSN_ISO_Lb0ESQ_SR_ST_SU_SY_EESZ_S10_S11_S12_S16_S17_S18_S1B_S1C_jS1D_jS1E_S1E_jjS1G_bEUljE0_EEESZ_S10_S11_S18_S1C_S1E_T6_T7_T9_mT8_S1G_bDpT10_ENKUlT_T0_E_clISt17integral_constantIbLb0EES1U_EEDaS1P_S1Q_EUlS1P_E_NS1_11comp_targetILNS1_3genE4ELNS1_11target_archE910ELNS1_3gpuE8ELNS1_3repE0EEENS1_30default_config_static_selectorELNS0_4arch9wavefront6targetE0EEEvS12_.has_indirect_call, 0
	.section	.AMDGPU.csdata,"",@progbits
; Kernel info:
; codeLenInByte = 0
; TotalNumSgprs: 0
; NumVgprs: 0
; ScratchSize: 0
; MemoryBound: 0
; FloatMode: 240
; IeeeMode: 1
; LDSByteSize: 0 bytes/workgroup (compile time only)
; SGPRBlocks: 0
; VGPRBlocks: 0
; NumSGPRsForWavesPerEU: 1
; NumVGPRsForWavesPerEU: 1
; Occupancy: 16
; WaveLimiterHint : 0
; COMPUTE_PGM_RSRC2:SCRATCH_EN: 0
; COMPUTE_PGM_RSRC2:USER_SGPR: 2
; COMPUTE_PGM_RSRC2:TRAP_HANDLER: 0
; COMPUTE_PGM_RSRC2:TGID_X_EN: 1
; COMPUTE_PGM_RSRC2:TGID_Y_EN: 0
; COMPUTE_PGM_RSRC2:TGID_Z_EN: 0
; COMPUTE_PGM_RSRC2:TIDIG_COMP_CNT: 0
	.section	.text._ZN7rocprim17ROCPRIM_400000_NS6detail17trampoline_kernelINS0_13select_configILj256ELj13ELNS0_17block_load_methodE3ELS4_3ELS4_3ELNS0_20block_scan_algorithmE0ELj4294967295EEENS1_25partition_config_selectorILNS1_17partition_subalgoE4EjNS0_10empty_typeEbEEZZNS1_14partition_implILS8_4ELb0ES6_15HIP_vector_typeIjLj2EENS0_17counting_iteratorIjlEEPS9_SG_NS0_5tupleIJPjSI_NS0_16reverse_iteratorISI_EEEEENSH_IJSG_SG_SG_EEES9_SI_JZNS1_25segmented_radix_sort_implINS0_14default_configELb0EPKhPhPKlPlN2at6native12_GLOBAL__N_18offset_tEEE10hipError_tPvRmT1_PNSt15iterator_traitsIS12_E10value_typeET2_T3_PNS13_IS18_E10value_typeET4_jRbjT5_S1E_jjP12ihipStream_tbEUljE_ZNSN_ISO_Lb0ESQ_SR_ST_SU_SY_EESZ_S10_S11_S12_S16_S17_S18_S1B_S1C_jS1D_jS1E_S1E_jjS1G_bEUljE0_EEESZ_S10_S11_S18_S1C_S1E_T6_T7_T9_mT8_S1G_bDpT10_ENKUlT_T0_E_clISt17integral_constantIbLb0EES1U_EEDaS1P_S1Q_EUlS1P_E_NS1_11comp_targetILNS1_3genE3ELNS1_11target_archE908ELNS1_3gpuE7ELNS1_3repE0EEENS1_30default_config_static_selectorELNS0_4arch9wavefront6targetE0EEEvS12_,"axG",@progbits,_ZN7rocprim17ROCPRIM_400000_NS6detail17trampoline_kernelINS0_13select_configILj256ELj13ELNS0_17block_load_methodE3ELS4_3ELS4_3ELNS0_20block_scan_algorithmE0ELj4294967295EEENS1_25partition_config_selectorILNS1_17partition_subalgoE4EjNS0_10empty_typeEbEEZZNS1_14partition_implILS8_4ELb0ES6_15HIP_vector_typeIjLj2EENS0_17counting_iteratorIjlEEPS9_SG_NS0_5tupleIJPjSI_NS0_16reverse_iteratorISI_EEEEENSH_IJSG_SG_SG_EEES9_SI_JZNS1_25segmented_radix_sort_implINS0_14default_configELb0EPKhPhPKlPlN2at6native12_GLOBAL__N_18offset_tEEE10hipError_tPvRmT1_PNSt15iterator_traitsIS12_E10value_typeET2_T3_PNS13_IS18_E10value_typeET4_jRbjT5_S1E_jjP12ihipStream_tbEUljE_ZNSN_ISO_Lb0ESQ_SR_ST_SU_SY_EESZ_S10_S11_S12_S16_S17_S18_S1B_S1C_jS1D_jS1E_S1E_jjS1G_bEUljE0_EEESZ_S10_S11_S18_S1C_S1E_T6_T7_T9_mT8_S1G_bDpT10_ENKUlT_T0_E_clISt17integral_constantIbLb0EES1U_EEDaS1P_S1Q_EUlS1P_E_NS1_11comp_targetILNS1_3genE3ELNS1_11target_archE908ELNS1_3gpuE7ELNS1_3repE0EEENS1_30default_config_static_selectorELNS0_4arch9wavefront6targetE0EEEvS12_,comdat
	.globl	_ZN7rocprim17ROCPRIM_400000_NS6detail17trampoline_kernelINS0_13select_configILj256ELj13ELNS0_17block_load_methodE3ELS4_3ELS4_3ELNS0_20block_scan_algorithmE0ELj4294967295EEENS1_25partition_config_selectorILNS1_17partition_subalgoE4EjNS0_10empty_typeEbEEZZNS1_14partition_implILS8_4ELb0ES6_15HIP_vector_typeIjLj2EENS0_17counting_iteratorIjlEEPS9_SG_NS0_5tupleIJPjSI_NS0_16reverse_iteratorISI_EEEEENSH_IJSG_SG_SG_EEES9_SI_JZNS1_25segmented_radix_sort_implINS0_14default_configELb0EPKhPhPKlPlN2at6native12_GLOBAL__N_18offset_tEEE10hipError_tPvRmT1_PNSt15iterator_traitsIS12_E10value_typeET2_T3_PNS13_IS18_E10value_typeET4_jRbjT5_S1E_jjP12ihipStream_tbEUljE_ZNSN_ISO_Lb0ESQ_SR_ST_SU_SY_EESZ_S10_S11_S12_S16_S17_S18_S1B_S1C_jS1D_jS1E_S1E_jjS1G_bEUljE0_EEESZ_S10_S11_S18_S1C_S1E_T6_T7_T9_mT8_S1G_bDpT10_ENKUlT_T0_E_clISt17integral_constantIbLb0EES1U_EEDaS1P_S1Q_EUlS1P_E_NS1_11comp_targetILNS1_3genE3ELNS1_11target_archE908ELNS1_3gpuE7ELNS1_3repE0EEENS1_30default_config_static_selectorELNS0_4arch9wavefront6targetE0EEEvS12_ ; -- Begin function _ZN7rocprim17ROCPRIM_400000_NS6detail17trampoline_kernelINS0_13select_configILj256ELj13ELNS0_17block_load_methodE3ELS4_3ELS4_3ELNS0_20block_scan_algorithmE0ELj4294967295EEENS1_25partition_config_selectorILNS1_17partition_subalgoE4EjNS0_10empty_typeEbEEZZNS1_14partition_implILS8_4ELb0ES6_15HIP_vector_typeIjLj2EENS0_17counting_iteratorIjlEEPS9_SG_NS0_5tupleIJPjSI_NS0_16reverse_iteratorISI_EEEEENSH_IJSG_SG_SG_EEES9_SI_JZNS1_25segmented_radix_sort_implINS0_14default_configELb0EPKhPhPKlPlN2at6native12_GLOBAL__N_18offset_tEEE10hipError_tPvRmT1_PNSt15iterator_traitsIS12_E10value_typeET2_T3_PNS13_IS18_E10value_typeET4_jRbjT5_S1E_jjP12ihipStream_tbEUljE_ZNSN_ISO_Lb0ESQ_SR_ST_SU_SY_EESZ_S10_S11_S12_S16_S17_S18_S1B_S1C_jS1D_jS1E_S1E_jjS1G_bEUljE0_EEESZ_S10_S11_S18_S1C_S1E_T6_T7_T9_mT8_S1G_bDpT10_ENKUlT_T0_E_clISt17integral_constantIbLb0EES1U_EEDaS1P_S1Q_EUlS1P_E_NS1_11comp_targetILNS1_3genE3ELNS1_11target_archE908ELNS1_3gpuE7ELNS1_3repE0EEENS1_30default_config_static_selectorELNS0_4arch9wavefront6targetE0EEEvS12_
	.p2align	8
	.type	_ZN7rocprim17ROCPRIM_400000_NS6detail17trampoline_kernelINS0_13select_configILj256ELj13ELNS0_17block_load_methodE3ELS4_3ELS4_3ELNS0_20block_scan_algorithmE0ELj4294967295EEENS1_25partition_config_selectorILNS1_17partition_subalgoE4EjNS0_10empty_typeEbEEZZNS1_14partition_implILS8_4ELb0ES6_15HIP_vector_typeIjLj2EENS0_17counting_iteratorIjlEEPS9_SG_NS0_5tupleIJPjSI_NS0_16reverse_iteratorISI_EEEEENSH_IJSG_SG_SG_EEES9_SI_JZNS1_25segmented_radix_sort_implINS0_14default_configELb0EPKhPhPKlPlN2at6native12_GLOBAL__N_18offset_tEEE10hipError_tPvRmT1_PNSt15iterator_traitsIS12_E10value_typeET2_T3_PNS13_IS18_E10value_typeET4_jRbjT5_S1E_jjP12ihipStream_tbEUljE_ZNSN_ISO_Lb0ESQ_SR_ST_SU_SY_EESZ_S10_S11_S12_S16_S17_S18_S1B_S1C_jS1D_jS1E_S1E_jjS1G_bEUljE0_EEESZ_S10_S11_S18_S1C_S1E_T6_T7_T9_mT8_S1G_bDpT10_ENKUlT_T0_E_clISt17integral_constantIbLb0EES1U_EEDaS1P_S1Q_EUlS1P_E_NS1_11comp_targetILNS1_3genE3ELNS1_11target_archE908ELNS1_3gpuE7ELNS1_3repE0EEENS1_30default_config_static_selectorELNS0_4arch9wavefront6targetE0EEEvS12_,@function
_ZN7rocprim17ROCPRIM_400000_NS6detail17trampoline_kernelINS0_13select_configILj256ELj13ELNS0_17block_load_methodE3ELS4_3ELS4_3ELNS0_20block_scan_algorithmE0ELj4294967295EEENS1_25partition_config_selectorILNS1_17partition_subalgoE4EjNS0_10empty_typeEbEEZZNS1_14partition_implILS8_4ELb0ES6_15HIP_vector_typeIjLj2EENS0_17counting_iteratorIjlEEPS9_SG_NS0_5tupleIJPjSI_NS0_16reverse_iteratorISI_EEEEENSH_IJSG_SG_SG_EEES9_SI_JZNS1_25segmented_radix_sort_implINS0_14default_configELb0EPKhPhPKlPlN2at6native12_GLOBAL__N_18offset_tEEE10hipError_tPvRmT1_PNSt15iterator_traitsIS12_E10value_typeET2_T3_PNS13_IS18_E10value_typeET4_jRbjT5_S1E_jjP12ihipStream_tbEUljE_ZNSN_ISO_Lb0ESQ_SR_ST_SU_SY_EESZ_S10_S11_S12_S16_S17_S18_S1B_S1C_jS1D_jS1E_S1E_jjS1G_bEUljE0_EEESZ_S10_S11_S18_S1C_S1E_T6_T7_T9_mT8_S1G_bDpT10_ENKUlT_T0_E_clISt17integral_constantIbLb0EES1U_EEDaS1P_S1Q_EUlS1P_E_NS1_11comp_targetILNS1_3genE3ELNS1_11target_archE908ELNS1_3gpuE7ELNS1_3repE0EEENS1_30default_config_static_selectorELNS0_4arch9wavefront6targetE0EEEvS12_: ; @_ZN7rocprim17ROCPRIM_400000_NS6detail17trampoline_kernelINS0_13select_configILj256ELj13ELNS0_17block_load_methodE3ELS4_3ELS4_3ELNS0_20block_scan_algorithmE0ELj4294967295EEENS1_25partition_config_selectorILNS1_17partition_subalgoE4EjNS0_10empty_typeEbEEZZNS1_14partition_implILS8_4ELb0ES6_15HIP_vector_typeIjLj2EENS0_17counting_iteratorIjlEEPS9_SG_NS0_5tupleIJPjSI_NS0_16reverse_iteratorISI_EEEEENSH_IJSG_SG_SG_EEES9_SI_JZNS1_25segmented_radix_sort_implINS0_14default_configELb0EPKhPhPKlPlN2at6native12_GLOBAL__N_18offset_tEEE10hipError_tPvRmT1_PNSt15iterator_traitsIS12_E10value_typeET2_T3_PNS13_IS18_E10value_typeET4_jRbjT5_S1E_jjP12ihipStream_tbEUljE_ZNSN_ISO_Lb0ESQ_SR_ST_SU_SY_EESZ_S10_S11_S12_S16_S17_S18_S1B_S1C_jS1D_jS1E_S1E_jjS1G_bEUljE0_EEESZ_S10_S11_S18_S1C_S1E_T6_T7_T9_mT8_S1G_bDpT10_ENKUlT_T0_E_clISt17integral_constantIbLb0EES1U_EEDaS1P_S1Q_EUlS1P_E_NS1_11comp_targetILNS1_3genE3ELNS1_11target_archE908ELNS1_3gpuE7ELNS1_3repE0EEENS1_30default_config_static_selectorELNS0_4arch9wavefront6targetE0EEEvS12_
; %bb.0:
	.section	.rodata,"a",@progbits
	.p2align	6, 0x0
	.amdhsa_kernel _ZN7rocprim17ROCPRIM_400000_NS6detail17trampoline_kernelINS0_13select_configILj256ELj13ELNS0_17block_load_methodE3ELS4_3ELS4_3ELNS0_20block_scan_algorithmE0ELj4294967295EEENS1_25partition_config_selectorILNS1_17partition_subalgoE4EjNS0_10empty_typeEbEEZZNS1_14partition_implILS8_4ELb0ES6_15HIP_vector_typeIjLj2EENS0_17counting_iteratorIjlEEPS9_SG_NS0_5tupleIJPjSI_NS0_16reverse_iteratorISI_EEEEENSH_IJSG_SG_SG_EEES9_SI_JZNS1_25segmented_radix_sort_implINS0_14default_configELb0EPKhPhPKlPlN2at6native12_GLOBAL__N_18offset_tEEE10hipError_tPvRmT1_PNSt15iterator_traitsIS12_E10value_typeET2_T3_PNS13_IS18_E10value_typeET4_jRbjT5_S1E_jjP12ihipStream_tbEUljE_ZNSN_ISO_Lb0ESQ_SR_ST_SU_SY_EESZ_S10_S11_S12_S16_S17_S18_S1B_S1C_jS1D_jS1E_S1E_jjS1G_bEUljE0_EEESZ_S10_S11_S18_S1C_S1E_T6_T7_T9_mT8_S1G_bDpT10_ENKUlT_T0_E_clISt17integral_constantIbLb0EES1U_EEDaS1P_S1Q_EUlS1P_E_NS1_11comp_targetILNS1_3genE3ELNS1_11target_archE908ELNS1_3gpuE7ELNS1_3repE0EEENS1_30default_config_static_selectorELNS0_4arch9wavefront6targetE0EEEvS12_
		.amdhsa_group_segment_fixed_size 0
		.amdhsa_private_segment_fixed_size 0
		.amdhsa_kernarg_size 176
		.amdhsa_user_sgpr_count 2
		.amdhsa_user_sgpr_dispatch_ptr 0
		.amdhsa_user_sgpr_queue_ptr 0
		.amdhsa_user_sgpr_kernarg_segment_ptr 1
		.amdhsa_user_sgpr_dispatch_id 0
		.amdhsa_user_sgpr_private_segment_size 0
		.amdhsa_wavefront_size32 1
		.amdhsa_uses_dynamic_stack 0
		.amdhsa_enable_private_segment 0
		.amdhsa_system_sgpr_workgroup_id_x 1
		.amdhsa_system_sgpr_workgroup_id_y 0
		.amdhsa_system_sgpr_workgroup_id_z 0
		.amdhsa_system_sgpr_workgroup_info 0
		.amdhsa_system_vgpr_workitem_id 0
		.amdhsa_next_free_vgpr 1
		.amdhsa_next_free_sgpr 1
		.amdhsa_reserve_vcc 0
		.amdhsa_float_round_mode_32 0
		.amdhsa_float_round_mode_16_64 0
		.amdhsa_float_denorm_mode_32 3
		.amdhsa_float_denorm_mode_16_64 3
		.amdhsa_fp16_overflow 0
		.amdhsa_workgroup_processor_mode 1
		.amdhsa_memory_ordered 1
		.amdhsa_forward_progress 1
		.amdhsa_inst_pref_size 0
		.amdhsa_round_robin_scheduling 0
		.amdhsa_exception_fp_ieee_invalid_op 0
		.amdhsa_exception_fp_denorm_src 0
		.amdhsa_exception_fp_ieee_div_zero 0
		.amdhsa_exception_fp_ieee_overflow 0
		.amdhsa_exception_fp_ieee_underflow 0
		.amdhsa_exception_fp_ieee_inexact 0
		.amdhsa_exception_int_div_zero 0
	.end_amdhsa_kernel
	.section	.text._ZN7rocprim17ROCPRIM_400000_NS6detail17trampoline_kernelINS0_13select_configILj256ELj13ELNS0_17block_load_methodE3ELS4_3ELS4_3ELNS0_20block_scan_algorithmE0ELj4294967295EEENS1_25partition_config_selectorILNS1_17partition_subalgoE4EjNS0_10empty_typeEbEEZZNS1_14partition_implILS8_4ELb0ES6_15HIP_vector_typeIjLj2EENS0_17counting_iteratorIjlEEPS9_SG_NS0_5tupleIJPjSI_NS0_16reverse_iteratorISI_EEEEENSH_IJSG_SG_SG_EEES9_SI_JZNS1_25segmented_radix_sort_implINS0_14default_configELb0EPKhPhPKlPlN2at6native12_GLOBAL__N_18offset_tEEE10hipError_tPvRmT1_PNSt15iterator_traitsIS12_E10value_typeET2_T3_PNS13_IS18_E10value_typeET4_jRbjT5_S1E_jjP12ihipStream_tbEUljE_ZNSN_ISO_Lb0ESQ_SR_ST_SU_SY_EESZ_S10_S11_S12_S16_S17_S18_S1B_S1C_jS1D_jS1E_S1E_jjS1G_bEUljE0_EEESZ_S10_S11_S18_S1C_S1E_T6_T7_T9_mT8_S1G_bDpT10_ENKUlT_T0_E_clISt17integral_constantIbLb0EES1U_EEDaS1P_S1Q_EUlS1P_E_NS1_11comp_targetILNS1_3genE3ELNS1_11target_archE908ELNS1_3gpuE7ELNS1_3repE0EEENS1_30default_config_static_selectorELNS0_4arch9wavefront6targetE0EEEvS12_,"axG",@progbits,_ZN7rocprim17ROCPRIM_400000_NS6detail17trampoline_kernelINS0_13select_configILj256ELj13ELNS0_17block_load_methodE3ELS4_3ELS4_3ELNS0_20block_scan_algorithmE0ELj4294967295EEENS1_25partition_config_selectorILNS1_17partition_subalgoE4EjNS0_10empty_typeEbEEZZNS1_14partition_implILS8_4ELb0ES6_15HIP_vector_typeIjLj2EENS0_17counting_iteratorIjlEEPS9_SG_NS0_5tupleIJPjSI_NS0_16reverse_iteratorISI_EEEEENSH_IJSG_SG_SG_EEES9_SI_JZNS1_25segmented_radix_sort_implINS0_14default_configELb0EPKhPhPKlPlN2at6native12_GLOBAL__N_18offset_tEEE10hipError_tPvRmT1_PNSt15iterator_traitsIS12_E10value_typeET2_T3_PNS13_IS18_E10value_typeET4_jRbjT5_S1E_jjP12ihipStream_tbEUljE_ZNSN_ISO_Lb0ESQ_SR_ST_SU_SY_EESZ_S10_S11_S12_S16_S17_S18_S1B_S1C_jS1D_jS1E_S1E_jjS1G_bEUljE0_EEESZ_S10_S11_S18_S1C_S1E_T6_T7_T9_mT8_S1G_bDpT10_ENKUlT_T0_E_clISt17integral_constantIbLb0EES1U_EEDaS1P_S1Q_EUlS1P_E_NS1_11comp_targetILNS1_3genE3ELNS1_11target_archE908ELNS1_3gpuE7ELNS1_3repE0EEENS1_30default_config_static_selectorELNS0_4arch9wavefront6targetE0EEEvS12_,comdat
.Lfunc_end125:
	.size	_ZN7rocprim17ROCPRIM_400000_NS6detail17trampoline_kernelINS0_13select_configILj256ELj13ELNS0_17block_load_methodE3ELS4_3ELS4_3ELNS0_20block_scan_algorithmE0ELj4294967295EEENS1_25partition_config_selectorILNS1_17partition_subalgoE4EjNS0_10empty_typeEbEEZZNS1_14partition_implILS8_4ELb0ES6_15HIP_vector_typeIjLj2EENS0_17counting_iteratorIjlEEPS9_SG_NS0_5tupleIJPjSI_NS0_16reverse_iteratorISI_EEEEENSH_IJSG_SG_SG_EEES9_SI_JZNS1_25segmented_radix_sort_implINS0_14default_configELb0EPKhPhPKlPlN2at6native12_GLOBAL__N_18offset_tEEE10hipError_tPvRmT1_PNSt15iterator_traitsIS12_E10value_typeET2_T3_PNS13_IS18_E10value_typeET4_jRbjT5_S1E_jjP12ihipStream_tbEUljE_ZNSN_ISO_Lb0ESQ_SR_ST_SU_SY_EESZ_S10_S11_S12_S16_S17_S18_S1B_S1C_jS1D_jS1E_S1E_jjS1G_bEUljE0_EEESZ_S10_S11_S18_S1C_S1E_T6_T7_T9_mT8_S1G_bDpT10_ENKUlT_T0_E_clISt17integral_constantIbLb0EES1U_EEDaS1P_S1Q_EUlS1P_E_NS1_11comp_targetILNS1_3genE3ELNS1_11target_archE908ELNS1_3gpuE7ELNS1_3repE0EEENS1_30default_config_static_selectorELNS0_4arch9wavefront6targetE0EEEvS12_, .Lfunc_end125-_ZN7rocprim17ROCPRIM_400000_NS6detail17trampoline_kernelINS0_13select_configILj256ELj13ELNS0_17block_load_methodE3ELS4_3ELS4_3ELNS0_20block_scan_algorithmE0ELj4294967295EEENS1_25partition_config_selectorILNS1_17partition_subalgoE4EjNS0_10empty_typeEbEEZZNS1_14partition_implILS8_4ELb0ES6_15HIP_vector_typeIjLj2EENS0_17counting_iteratorIjlEEPS9_SG_NS0_5tupleIJPjSI_NS0_16reverse_iteratorISI_EEEEENSH_IJSG_SG_SG_EEES9_SI_JZNS1_25segmented_radix_sort_implINS0_14default_configELb0EPKhPhPKlPlN2at6native12_GLOBAL__N_18offset_tEEE10hipError_tPvRmT1_PNSt15iterator_traitsIS12_E10value_typeET2_T3_PNS13_IS18_E10value_typeET4_jRbjT5_S1E_jjP12ihipStream_tbEUljE_ZNSN_ISO_Lb0ESQ_SR_ST_SU_SY_EESZ_S10_S11_S12_S16_S17_S18_S1B_S1C_jS1D_jS1E_S1E_jjS1G_bEUljE0_EEESZ_S10_S11_S18_S1C_S1E_T6_T7_T9_mT8_S1G_bDpT10_ENKUlT_T0_E_clISt17integral_constantIbLb0EES1U_EEDaS1P_S1Q_EUlS1P_E_NS1_11comp_targetILNS1_3genE3ELNS1_11target_archE908ELNS1_3gpuE7ELNS1_3repE0EEENS1_30default_config_static_selectorELNS0_4arch9wavefront6targetE0EEEvS12_
                                        ; -- End function
	.set _ZN7rocprim17ROCPRIM_400000_NS6detail17trampoline_kernelINS0_13select_configILj256ELj13ELNS0_17block_load_methodE3ELS4_3ELS4_3ELNS0_20block_scan_algorithmE0ELj4294967295EEENS1_25partition_config_selectorILNS1_17partition_subalgoE4EjNS0_10empty_typeEbEEZZNS1_14partition_implILS8_4ELb0ES6_15HIP_vector_typeIjLj2EENS0_17counting_iteratorIjlEEPS9_SG_NS0_5tupleIJPjSI_NS0_16reverse_iteratorISI_EEEEENSH_IJSG_SG_SG_EEES9_SI_JZNS1_25segmented_radix_sort_implINS0_14default_configELb0EPKhPhPKlPlN2at6native12_GLOBAL__N_18offset_tEEE10hipError_tPvRmT1_PNSt15iterator_traitsIS12_E10value_typeET2_T3_PNS13_IS18_E10value_typeET4_jRbjT5_S1E_jjP12ihipStream_tbEUljE_ZNSN_ISO_Lb0ESQ_SR_ST_SU_SY_EESZ_S10_S11_S12_S16_S17_S18_S1B_S1C_jS1D_jS1E_S1E_jjS1G_bEUljE0_EEESZ_S10_S11_S18_S1C_S1E_T6_T7_T9_mT8_S1G_bDpT10_ENKUlT_T0_E_clISt17integral_constantIbLb0EES1U_EEDaS1P_S1Q_EUlS1P_E_NS1_11comp_targetILNS1_3genE3ELNS1_11target_archE908ELNS1_3gpuE7ELNS1_3repE0EEENS1_30default_config_static_selectorELNS0_4arch9wavefront6targetE0EEEvS12_.num_vgpr, 0
	.set _ZN7rocprim17ROCPRIM_400000_NS6detail17trampoline_kernelINS0_13select_configILj256ELj13ELNS0_17block_load_methodE3ELS4_3ELS4_3ELNS0_20block_scan_algorithmE0ELj4294967295EEENS1_25partition_config_selectorILNS1_17partition_subalgoE4EjNS0_10empty_typeEbEEZZNS1_14partition_implILS8_4ELb0ES6_15HIP_vector_typeIjLj2EENS0_17counting_iteratorIjlEEPS9_SG_NS0_5tupleIJPjSI_NS0_16reverse_iteratorISI_EEEEENSH_IJSG_SG_SG_EEES9_SI_JZNS1_25segmented_radix_sort_implINS0_14default_configELb0EPKhPhPKlPlN2at6native12_GLOBAL__N_18offset_tEEE10hipError_tPvRmT1_PNSt15iterator_traitsIS12_E10value_typeET2_T3_PNS13_IS18_E10value_typeET4_jRbjT5_S1E_jjP12ihipStream_tbEUljE_ZNSN_ISO_Lb0ESQ_SR_ST_SU_SY_EESZ_S10_S11_S12_S16_S17_S18_S1B_S1C_jS1D_jS1E_S1E_jjS1G_bEUljE0_EEESZ_S10_S11_S18_S1C_S1E_T6_T7_T9_mT8_S1G_bDpT10_ENKUlT_T0_E_clISt17integral_constantIbLb0EES1U_EEDaS1P_S1Q_EUlS1P_E_NS1_11comp_targetILNS1_3genE3ELNS1_11target_archE908ELNS1_3gpuE7ELNS1_3repE0EEENS1_30default_config_static_selectorELNS0_4arch9wavefront6targetE0EEEvS12_.num_agpr, 0
	.set _ZN7rocprim17ROCPRIM_400000_NS6detail17trampoline_kernelINS0_13select_configILj256ELj13ELNS0_17block_load_methodE3ELS4_3ELS4_3ELNS0_20block_scan_algorithmE0ELj4294967295EEENS1_25partition_config_selectorILNS1_17partition_subalgoE4EjNS0_10empty_typeEbEEZZNS1_14partition_implILS8_4ELb0ES6_15HIP_vector_typeIjLj2EENS0_17counting_iteratorIjlEEPS9_SG_NS0_5tupleIJPjSI_NS0_16reverse_iteratorISI_EEEEENSH_IJSG_SG_SG_EEES9_SI_JZNS1_25segmented_radix_sort_implINS0_14default_configELb0EPKhPhPKlPlN2at6native12_GLOBAL__N_18offset_tEEE10hipError_tPvRmT1_PNSt15iterator_traitsIS12_E10value_typeET2_T3_PNS13_IS18_E10value_typeET4_jRbjT5_S1E_jjP12ihipStream_tbEUljE_ZNSN_ISO_Lb0ESQ_SR_ST_SU_SY_EESZ_S10_S11_S12_S16_S17_S18_S1B_S1C_jS1D_jS1E_S1E_jjS1G_bEUljE0_EEESZ_S10_S11_S18_S1C_S1E_T6_T7_T9_mT8_S1G_bDpT10_ENKUlT_T0_E_clISt17integral_constantIbLb0EES1U_EEDaS1P_S1Q_EUlS1P_E_NS1_11comp_targetILNS1_3genE3ELNS1_11target_archE908ELNS1_3gpuE7ELNS1_3repE0EEENS1_30default_config_static_selectorELNS0_4arch9wavefront6targetE0EEEvS12_.numbered_sgpr, 0
	.set _ZN7rocprim17ROCPRIM_400000_NS6detail17trampoline_kernelINS0_13select_configILj256ELj13ELNS0_17block_load_methodE3ELS4_3ELS4_3ELNS0_20block_scan_algorithmE0ELj4294967295EEENS1_25partition_config_selectorILNS1_17partition_subalgoE4EjNS0_10empty_typeEbEEZZNS1_14partition_implILS8_4ELb0ES6_15HIP_vector_typeIjLj2EENS0_17counting_iteratorIjlEEPS9_SG_NS0_5tupleIJPjSI_NS0_16reverse_iteratorISI_EEEEENSH_IJSG_SG_SG_EEES9_SI_JZNS1_25segmented_radix_sort_implINS0_14default_configELb0EPKhPhPKlPlN2at6native12_GLOBAL__N_18offset_tEEE10hipError_tPvRmT1_PNSt15iterator_traitsIS12_E10value_typeET2_T3_PNS13_IS18_E10value_typeET4_jRbjT5_S1E_jjP12ihipStream_tbEUljE_ZNSN_ISO_Lb0ESQ_SR_ST_SU_SY_EESZ_S10_S11_S12_S16_S17_S18_S1B_S1C_jS1D_jS1E_S1E_jjS1G_bEUljE0_EEESZ_S10_S11_S18_S1C_S1E_T6_T7_T9_mT8_S1G_bDpT10_ENKUlT_T0_E_clISt17integral_constantIbLb0EES1U_EEDaS1P_S1Q_EUlS1P_E_NS1_11comp_targetILNS1_3genE3ELNS1_11target_archE908ELNS1_3gpuE7ELNS1_3repE0EEENS1_30default_config_static_selectorELNS0_4arch9wavefront6targetE0EEEvS12_.num_named_barrier, 0
	.set _ZN7rocprim17ROCPRIM_400000_NS6detail17trampoline_kernelINS0_13select_configILj256ELj13ELNS0_17block_load_methodE3ELS4_3ELS4_3ELNS0_20block_scan_algorithmE0ELj4294967295EEENS1_25partition_config_selectorILNS1_17partition_subalgoE4EjNS0_10empty_typeEbEEZZNS1_14partition_implILS8_4ELb0ES6_15HIP_vector_typeIjLj2EENS0_17counting_iteratorIjlEEPS9_SG_NS0_5tupleIJPjSI_NS0_16reverse_iteratorISI_EEEEENSH_IJSG_SG_SG_EEES9_SI_JZNS1_25segmented_radix_sort_implINS0_14default_configELb0EPKhPhPKlPlN2at6native12_GLOBAL__N_18offset_tEEE10hipError_tPvRmT1_PNSt15iterator_traitsIS12_E10value_typeET2_T3_PNS13_IS18_E10value_typeET4_jRbjT5_S1E_jjP12ihipStream_tbEUljE_ZNSN_ISO_Lb0ESQ_SR_ST_SU_SY_EESZ_S10_S11_S12_S16_S17_S18_S1B_S1C_jS1D_jS1E_S1E_jjS1G_bEUljE0_EEESZ_S10_S11_S18_S1C_S1E_T6_T7_T9_mT8_S1G_bDpT10_ENKUlT_T0_E_clISt17integral_constantIbLb0EES1U_EEDaS1P_S1Q_EUlS1P_E_NS1_11comp_targetILNS1_3genE3ELNS1_11target_archE908ELNS1_3gpuE7ELNS1_3repE0EEENS1_30default_config_static_selectorELNS0_4arch9wavefront6targetE0EEEvS12_.private_seg_size, 0
	.set _ZN7rocprim17ROCPRIM_400000_NS6detail17trampoline_kernelINS0_13select_configILj256ELj13ELNS0_17block_load_methodE3ELS4_3ELS4_3ELNS0_20block_scan_algorithmE0ELj4294967295EEENS1_25partition_config_selectorILNS1_17partition_subalgoE4EjNS0_10empty_typeEbEEZZNS1_14partition_implILS8_4ELb0ES6_15HIP_vector_typeIjLj2EENS0_17counting_iteratorIjlEEPS9_SG_NS0_5tupleIJPjSI_NS0_16reverse_iteratorISI_EEEEENSH_IJSG_SG_SG_EEES9_SI_JZNS1_25segmented_radix_sort_implINS0_14default_configELb0EPKhPhPKlPlN2at6native12_GLOBAL__N_18offset_tEEE10hipError_tPvRmT1_PNSt15iterator_traitsIS12_E10value_typeET2_T3_PNS13_IS18_E10value_typeET4_jRbjT5_S1E_jjP12ihipStream_tbEUljE_ZNSN_ISO_Lb0ESQ_SR_ST_SU_SY_EESZ_S10_S11_S12_S16_S17_S18_S1B_S1C_jS1D_jS1E_S1E_jjS1G_bEUljE0_EEESZ_S10_S11_S18_S1C_S1E_T6_T7_T9_mT8_S1G_bDpT10_ENKUlT_T0_E_clISt17integral_constantIbLb0EES1U_EEDaS1P_S1Q_EUlS1P_E_NS1_11comp_targetILNS1_3genE3ELNS1_11target_archE908ELNS1_3gpuE7ELNS1_3repE0EEENS1_30default_config_static_selectorELNS0_4arch9wavefront6targetE0EEEvS12_.uses_vcc, 0
	.set _ZN7rocprim17ROCPRIM_400000_NS6detail17trampoline_kernelINS0_13select_configILj256ELj13ELNS0_17block_load_methodE3ELS4_3ELS4_3ELNS0_20block_scan_algorithmE0ELj4294967295EEENS1_25partition_config_selectorILNS1_17partition_subalgoE4EjNS0_10empty_typeEbEEZZNS1_14partition_implILS8_4ELb0ES6_15HIP_vector_typeIjLj2EENS0_17counting_iteratorIjlEEPS9_SG_NS0_5tupleIJPjSI_NS0_16reverse_iteratorISI_EEEEENSH_IJSG_SG_SG_EEES9_SI_JZNS1_25segmented_radix_sort_implINS0_14default_configELb0EPKhPhPKlPlN2at6native12_GLOBAL__N_18offset_tEEE10hipError_tPvRmT1_PNSt15iterator_traitsIS12_E10value_typeET2_T3_PNS13_IS18_E10value_typeET4_jRbjT5_S1E_jjP12ihipStream_tbEUljE_ZNSN_ISO_Lb0ESQ_SR_ST_SU_SY_EESZ_S10_S11_S12_S16_S17_S18_S1B_S1C_jS1D_jS1E_S1E_jjS1G_bEUljE0_EEESZ_S10_S11_S18_S1C_S1E_T6_T7_T9_mT8_S1G_bDpT10_ENKUlT_T0_E_clISt17integral_constantIbLb0EES1U_EEDaS1P_S1Q_EUlS1P_E_NS1_11comp_targetILNS1_3genE3ELNS1_11target_archE908ELNS1_3gpuE7ELNS1_3repE0EEENS1_30default_config_static_selectorELNS0_4arch9wavefront6targetE0EEEvS12_.uses_flat_scratch, 0
	.set _ZN7rocprim17ROCPRIM_400000_NS6detail17trampoline_kernelINS0_13select_configILj256ELj13ELNS0_17block_load_methodE3ELS4_3ELS4_3ELNS0_20block_scan_algorithmE0ELj4294967295EEENS1_25partition_config_selectorILNS1_17partition_subalgoE4EjNS0_10empty_typeEbEEZZNS1_14partition_implILS8_4ELb0ES6_15HIP_vector_typeIjLj2EENS0_17counting_iteratorIjlEEPS9_SG_NS0_5tupleIJPjSI_NS0_16reverse_iteratorISI_EEEEENSH_IJSG_SG_SG_EEES9_SI_JZNS1_25segmented_radix_sort_implINS0_14default_configELb0EPKhPhPKlPlN2at6native12_GLOBAL__N_18offset_tEEE10hipError_tPvRmT1_PNSt15iterator_traitsIS12_E10value_typeET2_T3_PNS13_IS18_E10value_typeET4_jRbjT5_S1E_jjP12ihipStream_tbEUljE_ZNSN_ISO_Lb0ESQ_SR_ST_SU_SY_EESZ_S10_S11_S12_S16_S17_S18_S1B_S1C_jS1D_jS1E_S1E_jjS1G_bEUljE0_EEESZ_S10_S11_S18_S1C_S1E_T6_T7_T9_mT8_S1G_bDpT10_ENKUlT_T0_E_clISt17integral_constantIbLb0EES1U_EEDaS1P_S1Q_EUlS1P_E_NS1_11comp_targetILNS1_3genE3ELNS1_11target_archE908ELNS1_3gpuE7ELNS1_3repE0EEENS1_30default_config_static_selectorELNS0_4arch9wavefront6targetE0EEEvS12_.has_dyn_sized_stack, 0
	.set _ZN7rocprim17ROCPRIM_400000_NS6detail17trampoline_kernelINS0_13select_configILj256ELj13ELNS0_17block_load_methodE3ELS4_3ELS4_3ELNS0_20block_scan_algorithmE0ELj4294967295EEENS1_25partition_config_selectorILNS1_17partition_subalgoE4EjNS0_10empty_typeEbEEZZNS1_14partition_implILS8_4ELb0ES6_15HIP_vector_typeIjLj2EENS0_17counting_iteratorIjlEEPS9_SG_NS0_5tupleIJPjSI_NS0_16reverse_iteratorISI_EEEEENSH_IJSG_SG_SG_EEES9_SI_JZNS1_25segmented_radix_sort_implINS0_14default_configELb0EPKhPhPKlPlN2at6native12_GLOBAL__N_18offset_tEEE10hipError_tPvRmT1_PNSt15iterator_traitsIS12_E10value_typeET2_T3_PNS13_IS18_E10value_typeET4_jRbjT5_S1E_jjP12ihipStream_tbEUljE_ZNSN_ISO_Lb0ESQ_SR_ST_SU_SY_EESZ_S10_S11_S12_S16_S17_S18_S1B_S1C_jS1D_jS1E_S1E_jjS1G_bEUljE0_EEESZ_S10_S11_S18_S1C_S1E_T6_T7_T9_mT8_S1G_bDpT10_ENKUlT_T0_E_clISt17integral_constantIbLb0EES1U_EEDaS1P_S1Q_EUlS1P_E_NS1_11comp_targetILNS1_3genE3ELNS1_11target_archE908ELNS1_3gpuE7ELNS1_3repE0EEENS1_30default_config_static_selectorELNS0_4arch9wavefront6targetE0EEEvS12_.has_recursion, 0
	.set _ZN7rocprim17ROCPRIM_400000_NS6detail17trampoline_kernelINS0_13select_configILj256ELj13ELNS0_17block_load_methodE3ELS4_3ELS4_3ELNS0_20block_scan_algorithmE0ELj4294967295EEENS1_25partition_config_selectorILNS1_17partition_subalgoE4EjNS0_10empty_typeEbEEZZNS1_14partition_implILS8_4ELb0ES6_15HIP_vector_typeIjLj2EENS0_17counting_iteratorIjlEEPS9_SG_NS0_5tupleIJPjSI_NS0_16reverse_iteratorISI_EEEEENSH_IJSG_SG_SG_EEES9_SI_JZNS1_25segmented_radix_sort_implINS0_14default_configELb0EPKhPhPKlPlN2at6native12_GLOBAL__N_18offset_tEEE10hipError_tPvRmT1_PNSt15iterator_traitsIS12_E10value_typeET2_T3_PNS13_IS18_E10value_typeET4_jRbjT5_S1E_jjP12ihipStream_tbEUljE_ZNSN_ISO_Lb0ESQ_SR_ST_SU_SY_EESZ_S10_S11_S12_S16_S17_S18_S1B_S1C_jS1D_jS1E_S1E_jjS1G_bEUljE0_EEESZ_S10_S11_S18_S1C_S1E_T6_T7_T9_mT8_S1G_bDpT10_ENKUlT_T0_E_clISt17integral_constantIbLb0EES1U_EEDaS1P_S1Q_EUlS1P_E_NS1_11comp_targetILNS1_3genE3ELNS1_11target_archE908ELNS1_3gpuE7ELNS1_3repE0EEENS1_30default_config_static_selectorELNS0_4arch9wavefront6targetE0EEEvS12_.has_indirect_call, 0
	.section	.AMDGPU.csdata,"",@progbits
; Kernel info:
; codeLenInByte = 0
; TotalNumSgprs: 0
; NumVgprs: 0
; ScratchSize: 0
; MemoryBound: 0
; FloatMode: 240
; IeeeMode: 1
; LDSByteSize: 0 bytes/workgroup (compile time only)
; SGPRBlocks: 0
; VGPRBlocks: 0
; NumSGPRsForWavesPerEU: 1
; NumVGPRsForWavesPerEU: 1
; Occupancy: 16
; WaveLimiterHint : 0
; COMPUTE_PGM_RSRC2:SCRATCH_EN: 0
; COMPUTE_PGM_RSRC2:USER_SGPR: 2
; COMPUTE_PGM_RSRC2:TRAP_HANDLER: 0
; COMPUTE_PGM_RSRC2:TGID_X_EN: 1
; COMPUTE_PGM_RSRC2:TGID_Y_EN: 0
; COMPUTE_PGM_RSRC2:TGID_Z_EN: 0
; COMPUTE_PGM_RSRC2:TIDIG_COMP_CNT: 0
	.section	.text._ZN7rocprim17ROCPRIM_400000_NS6detail17trampoline_kernelINS0_13select_configILj256ELj13ELNS0_17block_load_methodE3ELS4_3ELS4_3ELNS0_20block_scan_algorithmE0ELj4294967295EEENS1_25partition_config_selectorILNS1_17partition_subalgoE4EjNS0_10empty_typeEbEEZZNS1_14partition_implILS8_4ELb0ES6_15HIP_vector_typeIjLj2EENS0_17counting_iteratorIjlEEPS9_SG_NS0_5tupleIJPjSI_NS0_16reverse_iteratorISI_EEEEENSH_IJSG_SG_SG_EEES9_SI_JZNS1_25segmented_radix_sort_implINS0_14default_configELb0EPKhPhPKlPlN2at6native12_GLOBAL__N_18offset_tEEE10hipError_tPvRmT1_PNSt15iterator_traitsIS12_E10value_typeET2_T3_PNS13_IS18_E10value_typeET4_jRbjT5_S1E_jjP12ihipStream_tbEUljE_ZNSN_ISO_Lb0ESQ_SR_ST_SU_SY_EESZ_S10_S11_S12_S16_S17_S18_S1B_S1C_jS1D_jS1E_S1E_jjS1G_bEUljE0_EEESZ_S10_S11_S18_S1C_S1E_T6_T7_T9_mT8_S1G_bDpT10_ENKUlT_T0_E_clISt17integral_constantIbLb0EES1U_EEDaS1P_S1Q_EUlS1P_E_NS1_11comp_targetILNS1_3genE2ELNS1_11target_archE906ELNS1_3gpuE6ELNS1_3repE0EEENS1_30default_config_static_selectorELNS0_4arch9wavefront6targetE0EEEvS12_,"axG",@progbits,_ZN7rocprim17ROCPRIM_400000_NS6detail17trampoline_kernelINS0_13select_configILj256ELj13ELNS0_17block_load_methodE3ELS4_3ELS4_3ELNS0_20block_scan_algorithmE0ELj4294967295EEENS1_25partition_config_selectorILNS1_17partition_subalgoE4EjNS0_10empty_typeEbEEZZNS1_14partition_implILS8_4ELb0ES6_15HIP_vector_typeIjLj2EENS0_17counting_iteratorIjlEEPS9_SG_NS0_5tupleIJPjSI_NS0_16reverse_iteratorISI_EEEEENSH_IJSG_SG_SG_EEES9_SI_JZNS1_25segmented_radix_sort_implINS0_14default_configELb0EPKhPhPKlPlN2at6native12_GLOBAL__N_18offset_tEEE10hipError_tPvRmT1_PNSt15iterator_traitsIS12_E10value_typeET2_T3_PNS13_IS18_E10value_typeET4_jRbjT5_S1E_jjP12ihipStream_tbEUljE_ZNSN_ISO_Lb0ESQ_SR_ST_SU_SY_EESZ_S10_S11_S12_S16_S17_S18_S1B_S1C_jS1D_jS1E_S1E_jjS1G_bEUljE0_EEESZ_S10_S11_S18_S1C_S1E_T6_T7_T9_mT8_S1G_bDpT10_ENKUlT_T0_E_clISt17integral_constantIbLb0EES1U_EEDaS1P_S1Q_EUlS1P_E_NS1_11comp_targetILNS1_3genE2ELNS1_11target_archE906ELNS1_3gpuE6ELNS1_3repE0EEENS1_30default_config_static_selectorELNS0_4arch9wavefront6targetE0EEEvS12_,comdat
	.globl	_ZN7rocprim17ROCPRIM_400000_NS6detail17trampoline_kernelINS0_13select_configILj256ELj13ELNS0_17block_load_methodE3ELS4_3ELS4_3ELNS0_20block_scan_algorithmE0ELj4294967295EEENS1_25partition_config_selectorILNS1_17partition_subalgoE4EjNS0_10empty_typeEbEEZZNS1_14partition_implILS8_4ELb0ES6_15HIP_vector_typeIjLj2EENS0_17counting_iteratorIjlEEPS9_SG_NS0_5tupleIJPjSI_NS0_16reverse_iteratorISI_EEEEENSH_IJSG_SG_SG_EEES9_SI_JZNS1_25segmented_radix_sort_implINS0_14default_configELb0EPKhPhPKlPlN2at6native12_GLOBAL__N_18offset_tEEE10hipError_tPvRmT1_PNSt15iterator_traitsIS12_E10value_typeET2_T3_PNS13_IS18_E10value_typeET4_jRbjT5_S1E_jjP12ihipStream_tbEUljE_ZNSN_ISO_Lb0ESQ_SR_ST_SU_SY_EESZ_S10_S11_S12_S16_S17_S18_S1B_S1C_jS1D_jS1E_S1E_jjS1G_bEUljE0_EEESZ_S10_S11_S18_S1C_S1E_T6_T7_T9_mT8_S1G_bDpT10_ENKUlT_T0_E_clISt17integral_constantIbLb0EES1U_EEDaS1P_S1Q_EUlS1P_E_NS1_11comp_targetILNS1_3genE2ELNS1_11target_archE906ELNS1_3gpuE6ELNS1_3repE0EEENS1_30default_config_static_selectorELNS0_4arch9wavefront6targetE0EEEvS12_ ; -- Begin function _ZN7rocprim17ROCPRIM_400000_NS6detail17trampoline_kernelINS0_13select_configILj256ELj13ELNS0_17block_load_methodE3ELS4_3ELS4_3ELNS0_20block_scan_algorithmE0ELj4294967295EEENS1_25partition_config_selectorILNS1_17partition_subalgoE4EjNS0_10empty_typeEbEEZZNS1_14partition_implILS8_4ELb0ES6_15HIP_vector_typeIjLj2EENS0_17counting_iteratorIjlEEPS9_SG_NS0_5tupleIJPjSI_NS0_16reverse_iteratorISI_EEEEENSH_IJSG_SG_SG_EEES9_SI_JZNS1_25segmented_radix_sort_implINS0_14default_configELb0EPKhPhPKlPlN2at6native12_GLOBAL__N_18offset_tEEE10hipError_tPvRmT1_PNSt15iterator_traitsIS12_E10value_typeET2_T3_PNS13_IS18_E10value_typeET4_jRbjT5_S1E_jjP12ihipStream_tbEUljE_ZNSN_ISO_Lb0ESQ_SR_ST_SU_SY_EESZ_S10_S11_S12_S16_S17_S18_S1B_S1C_jS1D_jS1E_S1E_jjS1G_bEUljE0_EEESZ_S10_S11_S18_S1C_S1E_T6_T7_T9_mT8_S1G_bDpT10_ENKUlT_T0_E_clISt17integral_constantIbLb0EES1U_EEDaS1P_S1Q_EUlS1P_E_NS1_11comp_targetILNS1_3genE2ELNS1_11target_archE906ELNS1_3gpuE6ELNS1_3repE0EEENS1_30default_config_static_selectorELNS0_4arch9wavefront6targetE0EEEvS12_
	.p2align	8
	.type	_ZN7rocprim17ROCPRIM_400000_NS6detail17trampoline_kernelINS0_13select_configILj256ELj13ELNS0_17block_load_methodE3ELS4_3ELS4_3ELNS0_20block_scan_algorithmE0ELj4294967295EEENS1_25partition_config_selectorILNS1_17partition_subalgoE4EjNS0_10empty_typeEbEEZZNS1_14partition_implILS8_4ELb0ES6_15HIP_vector_typeIjLj2EENS0_17counting_iteratorIjlEEPS9_SG_NS0_5tupleIJPjSI_NS0_16reverse_iteratorISI_EEEEENSH_IJSG_SG_SG_EEES9_SI_JZNS1_25segmented_radix_sort_implINS0_14default_configELb0EPKhPhPKlPlN2at6native12_GLOBAL__N_18offset_tEEE10hipError_tPvRmT1_PNSt15iterator_traitsIS12_E10value_typeET2_T3_PNS13_IS18_E10value_typeET4_jRbjT5_S1E_jjP12ihipStream_tbEUljE_ZNSN_ISO_Lb0ESQ_SR_ST_SU_SY_EESZ_S10_S11_S12_S16_S17_S18_S1B_S1C_jS1D_jS1E_S1E_jjS1G_bEUljE0_EEESZ_S10_S11_S18_S1C_S1E_T6_T7_T9_mT8_S1G_bDpT10_ENKUlT_T0_E_clISt17integral_constantIbLb0EES1U_EEDaS1P_S1Q_EUlS1P_E_NS1_11comp_targetILNS1_3genE2ELNS1_11target_archE906ELNS1_3gpuE6ELNS1_3repE0EEENS1_30default_config_static_selectorELNS0_4arch9wavefront6targetE0EEEvS12_,@function
_ZN7rocprim17ROCPRIM_400000_NS6detail17trampoline_kernelINS0_13select_configILj256ELj13ELNS0_17block_load_methodE3ELS4_3ELS4_3ELNS0_20block_scan_algorithmE0ELj4294967295EEENS1_25partition_config_selectorILNS1_17partition_subalgoE4EjNS0_10empty_typeEbEEZZNS1_14partition_implILS8_4ELb0ES6_15HIP_vector_typeIjLj2EENS0_17counting_iteratorIjlEEPS9_SG_NS0_5tupleIJPjSI_NS0_16reverse_iteratorISI_EEEEENSH_IJSG_SG_SG_EEES9_SI_JZNS1_25segmented_radix_sort_implINS0_14default_configELb0EPKhPhPKlPlN2at6native12_GLOBAL__N_18offset_tEEE10hipError_tPvRmT1_PNSt15iterator_traitsIS12_E10value_typeET2_T3_PNS13_IS18_E10value_typeET4_jRbjT5_S1E_jjP12ihipStream_tbEUljE_ZNSN_ISO_Lb0ESQ_SR_ST_SU_SY_EESZ_S10_S11_S12_S16_S17_S18_S1B_S1C_jS1D_jS1E_S1E_jjS1G_bEUljE0_EEESZ_S10_S11_S18_S1C_S1E_T6_T7_T9_mT8_S1G_bDpT10_ENKUlT_T0_E_clISt17integral_constantIbLb0EES1U_EEDaS1P_S1Q_EUlS1P_E_NS1_11comp_targetILNS1_3genE2ELNS1_11target_archE906ELNS1_3gpuE6ELNS1_3repE0EEENS1_30default_config_static_selectorELNS0_4arch9wavefront6targetE0EEEvS12_: ; @_ZN7rocprim17ROCPRIM_400000_NS6detail17trampoline_kernelINS0_13select_configILj256ELj13ELNS0_17block_load_methodE3ELS4_3ELS4_3ELNS0_20block_scan_algorithmE0ELj4294967295EEENS1_25partition_config_selectorILNS1_17partition_subalgoE4EjNS0_10empty_typeEbEEZZNS1_14partition_implILS8_4ELb0ES6_15HIP_vector_typeIjLj2EENS0_17counting_iteratorIjlEEPS9_SG_NS0_5tupleIJPjSI_NS0_16reverse_iteratorISI_EEEEENSH_IJSG_SG_SG_EEES9_SI_JZNS1_25segmented_radix_sort_implINS0_14default_configELb0EPKhPhPKlPlN2at6native12_GLOBAL__N_18offset_tEEE10hipError_tPvRmT1_PNSt15iterator_traitsIS12_E10value_typeET2_T3_PNS13_IS18_E10value_typeET4_jRbjT5_S1E_jjP12ihipStream_tbEUljE_ZNSN_ISO_Lb0ESQ_SR_ST_SU_SY_EESZ_S10_S11_S12_S16_S17_S18_S1B_S1C_jS1D_jS1E_S1E_jjS1G_bEUljE0_EEESZ_S10_S11_S18_S1C_S1E_T6_T7_T9_mT8_S1G_bDpT10_ENKUlT_T0_E_clISt17integral_constantIbLb0EES1U_EEDaS1P_S1Q_EUlS1P_E_NS1_11comp_targetILNS1_3genE2ELNS1_11target_archE906ELNS1_3gpuE6ELNS1_3repE0EEENS1_30default_config_static_selectorELNS0_4arch9wavefront6targetE0EEEvS12_
; %bb.0:
	.section	.rodata,"a",@progbits
	.p2align	6, 0x0
	.amdhsa_kernel _ZN7rocprim17ROCPRIM_400000_NS6detail17trampoline_kernelINS0_13select_configILj256ELj13ELNS0_17block_load_methodE3ELS4_3ELS4_3ELNS0_20block_scan_algorithmE0ELj4294967295EEENS1_25partition_config_selectorILNS1_17partition_subalgoE4EjNS0_10empty_typeEbEEZZNS1_14partition_implILS8_4ELb0ES6_15HIP_vector_typeIjLj2EENS0_17counting_iteratorIjlEEPS9_SG_NS0_5tupleIJPjSI_NS0_16reverse_iteratorISI_EEEEENSH_IJSG_SG_SG_EEES9_SI_JZNS1_25segmented_radix_sort_implINS0_14default_configELb0EPKhPhPKlPlN2at6native12_GLOBAL__N_18offset_tEEE10hipError_tPvRmT1_PNSt15iterator_traitsIS12_E10value_typeET2_T3_PNS13_IS18_E10value_typeET4_jRbjT5_S1E_jjP12ihipStream_tbEUljE_ZNSN_ISO_Lb0ESQ_SR_ST_SU_SY_EESZ_S10_S11_S12_S16_S17_S18_S1B_S1C_jS1D_jS1E_S1E_jjS1G_bEUljE0_EEESZ_S10_S11_S18_S1C_S1E_T6_T7_T9_mT8_S1G_bDpT10_ENKUlT_T0_E_clISt17integral_constantIbLb0EES1U_EEDaS1P_S1Q_EUlS1P_E_NS1_11comp_targetILNS1_3genE2ELNS1_11target_archE906ELNS1_3gpuE6ELNS1_3repE0EEENS1_30default_config_static_selectorELNS0_4arch9wavefront6targetE0EEEvS12_
		.amdhsa_group_segment_fixed_size 0
		.amdhsa_private_segment_fixed_size 0
		.amdhsa_kernarg_size 176
		.amdhsa_user_sgpr_count 2
		.amdhsa_user_sgpr_dispatch_ptr 0
		.amdhsa_user_sgpr_queue_ptr 0
		.amdhsa_user_sgpr_kernarg_segment_ptr 1
		.amdhsa_user_sgpr_dispatch_id 0
		.amdhsa_user_sgpr_private_segment_size 0
		.amdhsa_wavefront_size32 1
		.amdhsa_uses_dynamic_stack 0
		.amdhsa_enable_private_segment 0
		.amdhsa_system_sgpr_workgroup_id_x 1
		.amdhsa_system_sgpr_workgroup_id_y 0
		.amdhsa_system_sgpr_workgroup_id_z 0
		.amdhsa_system_sgpr_workgroup_info 0
		.amdhsa_system_vgpr_workitem_id 0
		.amdhsa_next_free_vgpr 1
		.amdhsa_next_free_sgpr 1
		.amdhsa_reserve_vcc 0
		.amdhsa_float_round_mode_32 0
		.amdhsa_float_round_mode_16_64 0
		.amdhsa_float_denorm_mode_32 3
		.amdhsa_float_denorm_mode_16_64 3
		.amdhsa_fp16_overflow 0
		.amdhsa_workgroup_processor_mode 1
		.amdhsa_memory_ordered 1
		.amdhsa_forward_progress 1
		.amdhsa_inst_pref_size 0
		.amdhsa_round_robin_scheduling 0
		.amdhsa_exception_fp_ieee_invalid_op 0
		.amdhsa_exception_fp_denorm_src 0
		.amdhsa_exception_fp_ieee_div_zero 0
		.amdhsa_exception_fp_ieee_overflow 0
		.amdhsa_exception_fp_ieee_underflow 0
		.amdhsa_exception_fp_ieee_inexact 0
		.amdhsa_exception_int_div_zero 0
	.end_amdhsa_kernel
	.section	.text._ZN7rocprim17ROCPRIM_400000_NS6detail17trampoline_kernelINS0_13select_configILj256ELj13ELNS0_17block_load_methodE3ELS4_3ELS4_3ELNS0_20block_scan_algorithmE0ELj4294967295EEENS1_25partition_config_selectorILNS1_17partition_subalgoE4EjNS0_10empty_typeEbEEZZNS1_14partition_implILS8_4ELb0ES6_15HIP_vector_typeIjLj2EENS0_17counting_iteratorIjlEEPS9_SG_NS0_5tupleIJPjSI_NS0_16reverse_iteratorISI_EEEEENSH_IJSG_SG_SG_EEES9_SI_JZNS1_25segmented_radix_sort_implINS0_14default_configELb0EPKhPhPKlPlN2at6native12_GLOBAL__N_18offset_tEEE10hipError_tPvRmT1_PNSt15iterator_traitsIS12_E10value_typeET2_T3_PNS13_IS18_E10value_typeET4_jRbjT5_S1E_jjP12ihipStream_tbEUljE_ZNSN_ISO_Lb0ESQ_SR_ST_SU_SY_EESZ_S10_S11_S12_S16_S17_S18_S1B_S1C_jS1D_jS1E_S1E_jjS1G_bEUljE0_EEESZ_S10_S11_S18_S1C_S1E_T6_T7_T9_mT8_S1G_bDpT10_ENKUlT_T0_E_clISt17integral_constantIbLb0EES1U_EEDaS1P_S1Q_EUlS1P_E_NS1_11comp_targetILNS1_3genE2ELNS1_11target_archE906ELNS1_3gpuE6ELNS1_3repE0EEENS1_30default_config_static_selectorELNS0_4arch9wavefront6targetE0EEEvS12_,"axG",@progbits,_ZN7rocprim17ROCPRIM_400000_NS6detail17trampoline_kernelINS0_13select_configILj256ELj13ELNS0_17block_load_methodE3ELS4_3ELS4_3ELNS0_20block_scan_algorithmE0ELj4294967295EEENS1_25partition_config_selectorILNS1_17partition_subalgoE4EjNS0_10empty_typeEbEEZZNS1_14partition_implILS8_4ELb0ES6_15HIP_vector_typeIjLj2EENS0_17counting_iteratorIjlEEPS9_SG_NS0_5tupleIJPjSI_NS0_16reverse_iteratorISI_EEEEENSH_IJSG_SG_SG_EEES9_SI_JZNS1_25segmented_radix_sort_implINS0_14default_configELb0EPKhPhPKlPlN2at6native12_GLOBAL__N_18offset_tEEE10hipError_tPvRmT1_PNSt15iterator_traitsIS12_E10value_typeET2_T3_PNS13_IS18_E10value_typeET4_jRbjT5_S1E_jjP12ihipStream_tbEUljE_ZNSN_ISO_Lb0ESQ_SR_ST_SU_SY_EESZ_S10_S11_S12_S16_S17_S18_S1B_S1C_jS1D_jS1E_S1E_jjS1G_bEUljE0_EEESZ_S10_S11_S18_S1C_S1E_T6_T7_T9_mT8_S1G_bDpT10_ENKUlT_T0_E_clISt17integral_constantIbLb0EES1U_EEDaS1P_S1Q_EUlS1P_E_NS1_11comp_targetILNS1_3genE2ELNS1_11target_archE906ELNS1_3gpuE6ELNS1_3repE0EEENS1_30default_config_static_selectorELNS0_4arch9wavefront6targetE0EEEvS12_,comdat
.Lfunc_end126:
	.size	_ZN7rocprim17ROCPRIM_400000_NS6detail17trampoline_kernelINS0_13select_configILj256ELj13ELNS0_17block_load_methodE3ELS4_3ELS4_3ELNS0_20block_scan_algorithmE0ELj4294967295EEENS1_25partition_config_selectorILNS1_17partition_subalgoE4EjNS0_10empty_typeEbEEZZNS1_14partition_implILS8_4ELb0ES6_15HIP_vector_typeIjLj2EENS0_17counting_iteratorIjlEEPS9_SG_NS0_5tupleIJPjSI_NS0_16reverse_iteratorISI_EEEEENSH_IJSG_SG_SG_EEES9_SI_JZNS1_25segmented_radix_sort_implINS0_14default_configELb0EPKhPhPKlPlN2at6native12_GLOBAL__N_18offset_tEEE10hipError_tPvRmT1_PNSt15iterator_traitsIS12_E10value_typeET2_T3_PNS13_IS18_E10value_typeET4_jRbjT5_S1E_jjP12ihipStream_tbEUljE_ZNSN_ISO_Lb0ESQ_SR_ST_SU_SY_EESZ_S10_S11_S12_S16_S17_S18_S1B_S1C_jS1D_jS1E_S1E_jjS1G_bEUljE0_EEESZ_S10_S11_S18_S1C_S1E_T6_T7_T9_mT8_S1G_bDpT10_ENKUlT_T0_E_clISt17integral_constantIbLb0EES1U_EEDaS1P_S1Q_EUlS1P_E_NS1_11comp_targetILNS1_3genE2ELNS1_11target_archE906ELNS1_3gpuE6ELNS1_3repE0EEENS1_30default_config_static_selectorELNS0_4arch9wavefront6targetE0EEEvS12_, .Lfunc_end126-_ZN7rocprim17ROCPRIM_400000_NS6detail17trampoline_kernelINS0_13select_configILj256ELj13ELNS0_17block_load_methodE3ELS4_3ELS4_3ELNS0_20block_scan_algorithmE0ELj4294967295EEENS1_25partition_config_selectorILNS1_17partition_subalgoE4EjNS0_10empty_typeEbEEZZNS1_14partition_implILS8_4ELb0ES6_15HIP_vector_typeIjLj2EENS0_17counting_iteratorIjlEEPS9_SG_NS0_5tupleIJPjSI_NS0_16reverse_iteratorISI_EEEEENSH_IJSG_SG_SG_EEES9_SI_JZNS1_25segmented_radix_sort_implINS0_14default_configELb0EPKhPhPKlPlN2at6native12_GLOBAL__N_18offset_tEEE10hipError_tPvRmT1_PNSt15iterator_traitsIS12_E10value_typeET2_T3_PNS13_IS18_E10value_typeET4_jRbjT5_S1E_jjP12ihipStream_tbEUljE_ZNSN_ISO_Lb0ESQ_SR_ST_SU_SY_EESZ_S10_S11_S12_S16_S17_S18_S1B_S1C_jS1D_jS1E_S1E_jjS1G_bEUljE0_EEESZ_S10_S11_S18_S1C_S1E_T6_T7_T9_mT8_S1G_bDpT10_ENKUlT_T0_E_clISt17integral_constantIbLb0EES1U_EEDaS1P_S1Q_EUlS1P_E_NS1_11comp_targetILNS1_3genE2ELNS1_11target_archE906ELNS1_3gpuE6ELNS1_3repE0EEENS1_30default_config_static_selectorELNS0_4arch9wavefront6targetE0EEEvS12_
                                        ; -- End function
	.set _ZN7rocprim17ROCPRIM_400000_NS6detail17trampoline_kernelINS0_13select_configILj256ELj13ELNS0_17block_load_methodE3ELS4_3ELS4_3ELNS0_20block_scan_algorithmE0ELj4294967295EEENS1_25partition_config_selectorILNS1_17partition_subalgoE4EjNS0_10empty_typeEbEEZZNS1_14partition_implILS8_4ELb0ES6_15HIP_vector_typeIjLj2EENS0_17counting_iteratorIjlEEPS9_SG_NS0_5tupleIJPjSI_NS0_16reverse_iteratorISI_EEEEENSH_IJSG_SG_SG_EEES9_SI_JZNS1_25segmented_radix_sort_implINS0_14default_configELb0EPKhPhPKlPlN2at6native12_GLOBAL__N_18offset_tEEE10hipError_tPvRmT1_PNSt15iterator_traitsIS12_E10value_typeET2_T3_PNS13_IS18_E10value_typeET4_jRbjT5_S1E_jjP12ihipStream_tbEUljE_ZNSN_ISO_Lb0ESQ_SR_ST_SU_SY_EESZ_S10_S11_S12_S16_S17_S18_S1B_S1C_jS1D_jS1E_S1E_jjS1G_bEUljE0_EEESZ_S10_S11_S18_S1C_S1E_T6_T7_T9_mT8_S1G_bDpT10_ENKUlT_T0_E_clISt17integral_constantIbLb0EES1U_EEDaS1P_S1Q_EUlS1P_E_NS1_11comp_targetILNS1_3genE2ELNS1_11target_archE906ELNS1_3gpuE6ELNS1_3repE0EEENS1_30default_config_static_selectorELNS0_4arch9wavefront6targetE0EEEvS12_.num_vgpr, 0
	.set _ZN7rocprim17ROCPRIM_400000_NS6detail17trampoline_kernelINS0_13select_configILj256ELj13ELNS0_17block_load_methodE3ELS4_3ELS4_3ELNS0_20block_scan_algorithmE0ELj4294967295EEENS1_25partition_config_selectorILNS1_17partition_subalgoE4EjNS0_10empty_typeEbEEZZNS1_14partition_implILS8_4ELb0ES6_15HIP_vector_typeIjLj2EENS0_17counting_iteratorIjlEEPS9_SG_NS0_5tupleIJPjSI_NS0_16reverse_iteratorISI_EEEEENSH_IJSG_SG_SG_EEES9_SI_JZNS1_25segmented_radix_sort_implINS0_14default_configELb0EPKhPhPKlPlN2at6native12_GLOBAL__N_18offset_tEEE10hipError_tPvRmT1_PNSt15iterator_traitsIS12_E10value_typeET2_T3_PNS13_IS18_E10value_typeET4_jRbjT5_S1E_jjP12ihipStream_tbEUljE_ZNSN_ISO_Lb0ESQ_SR_ST_SU_SY_EESZ_S10_S11_S12_S16_S17_S18_S1B_S1C_jS1D_jS1E_S1E_jjS1G_bEUljE0_EEESZ_S10_S11_S18_S1C_S1E_T6_T7_T9_mT8_S1G_bDpT10_ENKUlT_T0_E_clISt17integral_constantIbLb0EES1U_EEDaS1P_S1Q_EUlS1P_E_NS1_11comp_targetILNS1_3genE2ELNS1_11target_archE906ELNS1_3gpuE6ELNS1_3repE0EEENS1_30default_config_static_selectorELNS0_4arch9wavefront6targetE0EEEvS12_.num_agpr, 0
	.set _ZN7rocprim17ROCPRIM_400000_NS6detail17trampoline_kernelINS0_13select_configILj256ELj13ELNS0_17block_load_methodE3ELS4_3ELS4_3ELNS0_20block_scan_algorithmE0ELj4294967295EEENS1_25partition_config_selectorILNS1_17partition_subalgoE4EjNS0_10empty_typeEbEEZZNS1_14partition_implILS8_4ELb0ES6_15HIP_vector_typeIjLj2EENS0_17counting_iteratorIjlEEPS9_SG_NS0_5tupleIJPjSI_NS0_16reverse_iteratorISI_EEEEENSH_IJSG_SG_SG_EEES9_SI_JZNS1_25segmented_radix_sort_implINS0_14default_configELb0EPKhPhPKlPlN2at6native12_GLOBAL__N_18offset_tEEE10hipError_tPvRmT1_PNSt15iterator_traitsIS12_E10value_typeET2_T3_PNS13_IS18_E10value_typeET4_jRbjT5_S1E_jjP12ihipStream_tbEUljE_ZNSN_ISO_Lb0ESQ_SR_ST_SU_SY_EESZ_S10_S11_S12_S16_S17_S18_S1B_S1C_jS1D_jS1E_S1E_jjS1G_bEUljE0_EEESZ_S10_S11_S18_S1C_S1E_T6_T7_T9_mT8_S1G_bDpT10_ENKUlT_T0_E_clISt17integral_constantIbLb0EES1U_EEDaS1P_S1Q_EUlS1P_E_NS1_11comp_targetILNS1_3genE2ELNS1_11target_archE906ELNS1_3gpuE6ELNS1_3repE0EEENS1_30default_config_static_selectorELNS0_4arch9wavefront6targetE0EEEvS12_.numbered_sgpr, 0
	.set _ZN7rocprim17ROCPRIM_400000_NS6detail17trampoline_kernelINS0_13select_configILj256ELj13ELNS0_17block_load_methodE3ELS4_3ELS4_3ELNS0_20block_scan_algorithmE0ELj4294967295EEENS1_25partition_config_selectorILNS1_17partition_subalgoE4EjNS0_10empty_typeEbEEZZNS1_14partition_implILS8_4ELb0ES6_15HIP_vector_typeIjLj2EENS0_17counting_iteratorIjlEEPS9_SG_NS0_5tupleIJPjSI_NS0_16reverse_iteratorISI_EEEEENSH_IJSG_SG_SG_EEES9_SI_JZNS1_25segmented_radix_sort_implINS0_14default_configELb0EPKhPhPKlPlN2at6native12_GLOBAL__N_18offset_tEEE10hipError_tPvRmT1_PNSt15iterator_traitsIS12_E10value_typeET2_T3_PNS13_IS18_E10value_typeET4_jRbjT5_S1E_jjP12ihipStream_tbEUljE_ZNSN_ISO_Lb0ESQ_SR_ST_SU_SY_EESZ_S10_S11_S12_S16_S17_S18_S1B_S1C_jS1D_jS1E_S1E_jjS1G_bEUljE0_EEESZ_S10_S11_S18_S1C_S1E_T6_T7_T9_mT8_S1G_bDpT10_ENKUlT_T0_E_clISt17integral_constantIbLb0EES1U_EEDaS1P_S1Q_EUlS1P_E_NS1_11comp_targetILNS1_3genE2ELNS1_11target_archE906ELNS1_3gpuE6ELNS1_3repE0EEENS1_30default_config_static_selectorELNS0_4arch9wavefront6targetE0EEEvS12_.num_named_barrier, 0
	.set _ZN7rocprim17ROCPRIM_400000_NS6detail17trampoline_kernelINS0_13select_configILj256ELj13ELNS0_17block_load_methodE3ELS4_3ELS4_3ELNS0_20block_scan_algorithmE0ELj4294967295EEENS1_25partition_config_selectorILNS1_17partition_subalgoE4EjNS0_10empty_typeEbEEZZNS1_14partition_implILS8_4ELb0ES6_15HIP_vector_typeIjLj2EENS0_17counting_iteratorIjlEEPS9_SG_NS0_5tupleIJPjSI_NS0_16reverse_iteratorISI_EEEEENSH_IJSG_SG_SG_EEES9_SI_JZNS1_25segmented_radix_sort_implINS0_14default_configELb0EPKhPhPKlPlN2at6native12_GLOBAL__N_18offset_tEEE10hipError_tPvRmT1_PNSt15iterator_traitsIS12_E10value_typeET2_T3_PNS13_IS18_E10value_typeET4_jRbjT5_S1E_jjP12ihipStream_tbEUljE_ZNSN_ISO_Lb0ESQ_SR_ST_SU_SY_EESZ_S10_S11_S12_S16_S17_S18_S1B_S1C_jS1D_jS1E_S1E_jjS1G_bEUljE0_EEESZ_S10_S11_S18_S1C_S1E_T6_T7_T9_mT8_S1G_bDpT10_ENKUlT_T0_E_clISt17integral_constantIbLb0EES1U_EEDaS1P_S1Q_EUlS1P_E_NS1_11comp_targetILNS1_3genE2ELNS1_11target_archE906ELNS1_3gpuE6ELNS1_3repE0EEENS1_30default_config_static_selectorELNS0_4arch9wavefront6targetE0EEEvS12_.private_seg_size, 0
	.set _ZN7rocprim17ROCPRIM_400000_NS6detail17trampoline_kernelINS0_13select_configILj256ELj13ELNS0_17block_load_methodE3ELS4_3ELS4_3ELNS0_20block_scan_algorithmE0ELj4294967295EEENS1_25partition_config_selectorILNS1_17partition_subalgoE4EjNS0_10empty_typeEbEEZZNS1_14partition_implILS8_4ELb0ES6_15HIP_vector_typeIjLj2EENS0_17counting_iteratorIjlEEPS9_SG_NS0_5tupleIJPjSI_NS0_16reverse_iteratorISI_EEEEENSH_IJSG_SG_SG_EEES9_SI_JZNS1_25segmented_radix_sort_implINS0_14default_configELb0EPKhPhPKlPlN2at6native12_GLOBAL__N_18offset_tEEE10hipError_tPvRmT1_PNSt15iterator_traitsIS12_E10value_typeET2_T3_PNS13_IS18_E10value_typeET4_jRbjT5_S1E_jjP12ihipStream_tbEUljE_ZNSN_ISO_Lb0ESQ_SR_ST_SU_SY_EESZ_S10_S11_S12_S16_S17_S18_S1B_S1C_jS1D_jS1E_S1E_jjS1G_bEUljE0_EEESZ_S10_S11_S18_S1C_S1E_T6_T7_T9_mT8_S1G_bDpT10_ENKUlT_T0_E_clISt17integral_constantIbLb0EES1U_EEDaS1P_S1Q_EUlS1P_E_NS1_11comp_targetILNS1_3genE2ELNS1_11target_archE906ELNS1_3gpuE6ELNS1_3repE0EEENS1_30default_config_static_selectorELNS0_4arch9wavefront6targetE0EEEvS12_.uses_vcc, 0
	.set _ZN7rocprim17ROCPRIM_400000_NS6detail17trampoline_kernelINS0_13select_configILj256ELj13ELNS0_17block_load_methodE3ELS4_3ELS4_3ELNS0_20block_scan_algorithmE0ELj4294967295EEENS1_25partition_config_selectorILNS1_17partition_subalgoE4EjNS0_10empty_typeEbEEZZNS1_14partition_implILS8_4ELb0ES6_15HIP_vector_typeIjLj2EENS0_17counting_iteratorIjlEEPS9_SG_NS0_5tupleIJPjSI_NS0_16reverse_iteratorISI_EEEEENSH_IJSG_SG_SG_EEES9_SI_JZNS1_25segmented_radix_sort_implINS0_14default_configELb0EPKhPhPKlPlN2at6native12_GLOBAL__N_18offset_tEEE10hipError_tPvRmT1_PNSt15iterator_traitsIS12_E10value_typeET2_T3_PNS13_IS18_E10value_typeET4_jRbjT5_S1E_jjP12ihipStream_tbEUljE_ZNSN_ISO_Lb0ESQ_SR_ST_SU_SY_EESZ_S10_S11_S12_S16_S17_S18_S1B_S1C_jS1D_jS1E_S1E_jjS1G_bEUljE0_EEESZ_S10_S11_S18_S1C_S1E_T6_T7_T9_mT8_S1G_bDpT10_ENKUlT_T0_E_clISt17integral_constantIbLb0EES1U_EEDaS1P_S1Q_EUlS1P_E_NS1_11comp_targetILNS1_3genE2ELNS1_11target_archE906ELNS1_3gpuE6ELNS1_3repE0EEENS1_30default_config_static_selectorELNS0_4arch9wavefront6targetE0EEEvS12_.uses_flat_scratch, 0
	.set _ZN7rocprim17ROCPRIM_400000_NS6detail17trampoline_kernelINS0_13select_configILj256ELj13ELNS0_17block_load_methodE3ELS4_3ELS4_3ELNS0_20block_scan_algorithmE0ELj4294967295EEENS1_25partition_config_selectorILNS1_17partition_subalgoE4EjNS0_10empty_typeEbEEZZNS1_14partition_implILS8_4ELb0ES6_15HIP_vector_typeIjLj2EENS0_17counting_iteratorIjlEEPS9_SG_NS0_5tupleIJPjSI_NS0_16reverse_iteratorISI_EEEEENSH_IJSG_SG_SG_EEES9_SI_JZNS1_25segmented_radix_sort_implINS0_14default_configELb0EPKhPhPKlPlN2at6native12_GLOBAL__N_18offset_tEEE10hipError_tPvRmT1_PNSt15iterator_traitsIS12_E10value_typeET2_T3_PNS13_IS18_E10value_typeET4_jRbjT5_S1E_jjP12ihipStream_tbEUljE_ZNSN_ISO_Lb0ESQ_SR_ST_SU_SY_EESZ_S10_S11_S12_S16_S17_S18_S1B_S1C_jS1D_jS1E_S1E_jjS1G_bEUljE0_EEESZ_S10_S11_S18_S1C_S1E_T6_T7_T9_mT8_S1G_bDpT10_ENKUlT_T0_E_clISt17integral_constantIbLb0EES1U_EEDaS1P_S1Q_EUlS1P_E_NS1_11comp_targetILNS1_3genE2ELNS1_11target_archE906ELNS1_3gpuE6ELNS1_3repE0EEENS1_30default_config_static_selectorELNS0_4arch9wavefront6targetE0EEEvS12_.has_dyn_sized_stack, 0
	.set _ZN7rocprim17ROCPRIM_400000_NS6detail17trampoline_kernelINS0_13select_configILj256ELj13ELNS0_17block_load_methodE3ELS4_3ELS4_3ELNS0_20block_scan_algorithmE0ELj4294967295EEENS1_25partition_config_selectorILNS1_17partition_subalgoE4EjNS0_10empty_typeEbEEZZNS1_14partition_implILS8_4ELb0ES6_15HIP_vector_typeIjLj2EENS0_17counting_iteratorIjlEEPS9_SG_NS0_5tupleIJPjSI_NS0_16reverse_iteratorISI_EEEEENSH_IJSG_SG_SG_EEES9_SI_JZNS1_25segmented_radix_sort_implINS0_14default_configELb0EPKhPhPKlPlN2at6native12_GLOBAL__N_18offset_tEEE10hipError_tPvRmT1_PNSt15iterator_traitsIS12_E10value_typeET2_T3_PNS13_IS18_E10value_typeET4_jRbjT5_S1E_jjP12ihipStream_tbEUljE_ZNSN_ISO_Lb0ESQ_SR_ST_SU_SY_EESZ_S10_S11_S12_S16_S17_S18_S1B_S1C_jS1D_jS1E_S1E_jjS1G_bEUljE0_EEESZ_S10_S11_S18_S1C_S1E_T6_T7_T9_mT8_S1G_bDpT10_ENKUlT_T0_E_clISt17integral_constantIbLb0EES1U_EEDaS1P_S1Q_EUlS1P_E_NS1_11comp_targetILNS1_3genE2ELNS1_11target_archE906ELNS1_3gpuE6ELNS1_3repE0EEENS1_30default_config_static_selectorELNS0_4arch9wavefront6targetE0EEEvS12_.has_recursion, 0
	.set _ZN7rocprim17ROCPRIM_400000_NS6detail17trampoline_kernelINS0_13select_configILj256ELj13ELNS0_17block_load_methodE3ELS4_3ELS4_3ELNS0_20block_scan_algorithmE0ELj4294967295EEENS1_25partition_config_selectorILNS1_17partition_subalgoE4EjNS0_10empty_typeEbEEZZNS1_14partition_implILS8_4ELb0ES6_15HIP_vector_typeIjLj2EENS0_17counting_iteratorIjlEEPS9_SG_NS0_5tupleIJPjSI_NS0_16reverse_iteratorISI_EEEEENSH_IJSG_SG_SG_EEES9_SI_JZNS1_25segmented_radix_sort_implINS0_14default_configELb0EPKhPhPKlPlN2at6native12_GLOBAL__N_18offset_tEEE10hipError_tPvRmT1_PNSt15iterator_traitsIS12_E10value_typeET2_T3_PNS13_IS18_E10value_typeET4_jRbjT5_S1E_jjP12ihipStream_tbEUljE_ZNSN_ISO_Lb0ESQ_SR_ST_SU_SY_EESZ_S10_S11_S12_S16_S17_S18_S1B_S1C_jS1D_jS1E_S1E_jjS1G_bEUljE0_EEESZ_S10_S11_S18_S1C_S1E_T6_T7_T9_mT8_S1G_bDpT10_ENKUlT_T0_E_clISt17integral_constantIbLb0EES1U_EEDaS1P_S1Q_EUlS1P_E_NS1_11comp_targetILNS1_3genE2ELNS1_11target_archE906ELNS1_3gpuE6ELNS1_3repE0EEENS1_30default_config_static_selectorELNS0_4arch9wavefront6targetE0EEEvS12_.has_indirect_call, 0
	.section	.AMDGPU.csdata,"",@progbits
; Kernel info:
; codeLenInByte = 0
; TotalNumSgprs: 0
; NumVgprs: 0
; ScratchSize: 0
; MemoryBound: 0
; FloatMode: 240
; IeeeMode: 1
; LDSByteSize: 0 bytes/workgroup (compile time only)
; SGPRBlocks: 0
; VGPRBlocks: 0
; NumSGPRsForWavesPerEU: 1
; NumVGPRsForWavesPerEU: 1
; Occupancy: 16
; WaveLimiterHint : 0
; COMPUTE_PGM_RSRC2:SCRATCH_EN: 0
; COMPUTE_PGM_RSRC2:USER_SGPR: 2
; COMPUTE_PGM_RSRC2:TRAP_HANDLER: 0
; COMPUTE_PGM_RSRC2:TGID_X_EN: 1
; COMPUTE_PGM_RSRC2:TGID_Y_EN: 0
; COMPUTE_PGM_RSRC2:TGID_Z_EN: 0
; COMPUTE_PGM_RSRC2:TIDIG_COMP_CNT: 0
	.section	.text._ZN7rocprim17ROCPRIM_400000_NS6detail17trampoline_kernelINS0_13select_configILj256ELj13ELNS0_17block_load_methodE3ELS4_3ELS4_3ELNS0_20block_scan_algorithmE0ELj4294967295EEENS1_25partition_config_selectorILNS1_17partition_subalgoE4EjNS0_10empty_typeEbEEZZNS1_14partition_implILS8_4ELb0ES6_15HIP_vector_typeIjLj2EENS0_17counting_iteratorIjlEEPS9_SG_NS0_5tupleIJPjSI_NS0_16reverse_iteratorISI_EEEEENSH_IJSG_SG_SG_EEES9_SI_JZNS1_25segmented_radix_sort_implINS0_14default_configELb0EPKhPhPKlPlN2at6native12_GLOBAL__N_18offset_tEEE10hipError_tPvRmT1_PNSt15iterator_traitsIS12_E10value_typeET2_T3_PNS13_IS18_E10value_typeET4_jRbjT5_S1E_jjP12ihipStream_tbEUljE_ZNSN_ISO_Lb0ESQ_SR_ST_SU_SY_EESZ_S10_S11_S12_S16_S17_S18_S1B_S1C_jS1D_jS1E_S1E_jjS1G_bEUljE0_EEESZ_S10_S11_S18_S1C_S1E_T6_T7_T9_mT8_S1G_bDpT10_ENKUlT_T0_E_clISt17integral_constantIbLb0EES1U_EEDaS1P_S1Q_EUlS1P_E_NS1_11comp_targetILNS1_3genE10ELNS1_11target_archE1200ELNS1_3gpuE4ELNS1_3repE0EEENS1_30default_config_static_selectorELNS0_4arch9wavefront6targetE0EEEvS12_,"axG",@progbits,_ZN7rocprim17ROCPRIM_400000_NS6detail17trampoline_kernelINS0_13select_configILj256ELj13ELNS0_17block_load_methodE3ELS4_3ELS4_3ELNS0_20block_scan_algorithmE0ELj4294967295EEENS1_25partition_config_selectorILNS1_17partition_subalgoE4EjNS0_10empty_typeEbEEZZNS1_14partition_implILS8_4ELb0ES6_15HIP_vector_typeIjLj2EENS0_17counting_iteratorIjlEEPS9_SG_NS0_5tupleIJPjSI_NS0_16reverse_iteratorISI_EEEEENSH_IJSG_SG_SG_EEES9_SI_JZNS1_25segmented_radix_sort_implINS0_14default_configELb0EPKhPhPKlPlN2at6native12_GLOBAL__N_18offset_tEEE10hipError_tPvRmT1_PNSt15iterator_traitsIS12_E10value_typeET2_T3_PNS13_IS18_E10value_typeET4_jRbjT5_S1E_jjP12ihipStream_tbEUljE_ZNSN_ISO_Lb0ESQ_SR_ST_SU_SY_EESZ_S10_S11_S12_S16_S17_S18_S1B_S1C_jS1D_jS1E_S1E_jjS1G_bEUljE0_EEESZ_S10_S11_S18_S1C_S1E_T6_T7_T9_mT8_S1G_bDpT10_ENKUlT_T0_E_clISt17integral_constantIbLb0EES1U_EEDaS1P_S1Q_EUlS1P_E_NS1_11comp_targetILNS1_3genE10ELNS1_11target_archE1200ELNS1_3gpuE4ELNS1_3repE0EEENS1_30default_config_static_selectorELNS0_4arch9wavefront6targetE0EEEvS12_,comdat
	.globl	_ZN7rocprim17ROCPRIM_400000_NS6detail17trampoline_kernelINS0_13select_configILj256ELj13ELNS0_17block_load_methodE3ELS4_3ELS4_3ELNS0_20block_scan_algorithmE0ELj4294967295EEENS1_25partition_config_selectorILNS1_17partition_subalgoE4EjNS0_10empty_typeEbEEZZNS1_14partition_implILS8_4ELb0ES6_15HIP_vector_typeIjLj2EENS0_17counting_iteratorIjlEEPS9_SG_NS0_5tupleIJPjSI_NS0_16reverse_iteratorISI_EEEEENSH_IJSG_SG_SG_EEES9_SI_JZNS1_25segmented_radix_sort_implINS0_14default_configELb0EPKhPhPKlPlN2at6native12_GLOBAL__N_18offset_tEEE10hipError_tPvRmT1_PNSt15iterator_traitsIS12_E10value_typeET2_T3_PNS13_IS18_E10value_typeET4_jRbjT5_S1E_jjP12ihipStream_tbEUljE_ZNSN_ISO_Lb0ESQ_SR_ST_SU_SY_EESZ_S10_S11_S12_S16_S17_S18_S1B_S1C_jS1D_jS1E_S1E_jjS1G_bEUljE0_EEESZ_S10_S11_S18_S1C_S1E_T6_T7_T9_mT8_S1G_bDpT10_ENKUlT_T0_E_clISt17integral_constantIbLb0EES1U_EEDaS1P_S1Q_EUlS1P_E_NS1_11comp_targetILNS1_3genE10ELNS1_11target_archE1200ELNS1_3gpuE4ELNS1_3repE0EEENS1_30default_config_static_selectorELNS0_4arch9wavefront6targetE0EEEvS12_ ; -- Begin function _ZN7rocprim17ROCPRIM_400000_NS6detail17trampoline_kernelINS0_13select_configILj256ELj13ELNS0_17block_load_methodE3ELS4_3ELS4_3ELNS0_20block_scan_algorithmE0ELj4294967295EEENS1_25partition_config_selectorILNS1_17partition_subalgoE4EjNS0_10empty_typeEbEEZZNS1_14partition_implILS8_4ELb0ES6_15HIP_vector_typeIjLj2EENS0_17counting_iteratorIjlEEPS9_SG_NS0_5tupleIJPjSI_NS0_16reverse_iteratorISI_EEEEENSH_IJSG_SG_SG_EEES9_SI_JZNS1_25segmented_radix_sort_implINS0_14default_configELb0EPKhPhPKlPlN2at6native12_GLOBAL__N_18offset_tEEE10hipError_tPvRmT1_PNSt15iterator_traitsIS12_E10value_typeET2_T3_PNS13_IS18_E10value_typeET4_jRbjT5_S1E_jjP12ihipStream_tbEUljE_ZNSN_ISO_Lb0ESQ_SR_ST_SU_SY_EESZ_S10_S11_S12_S16_S17_S18_S1B_S1C_jS1D_jS1E_S1E_jjS1G_bEUljE0_EEESZ_S10_S11_S18_S1C_S1E_T6_T7_T9_mT8_S1G_bDpT10_ENKUlT_T0_E_clISt17integral_constantIbLb0EES1U_EEDaS1P_S1Q_EUlS1P_E_NS1_11comp_targetILNS1_3genE10ELNS1_11target_archE1200ELNS1_3gpuE4ELNS1_3repE0EEENS1_30default_config_static_selectorELNS0_4arch9wavefront6targetE0EEEvS12_
	.p2align	8
	.type	_ZN7rocprim17ROCPRIM_400000_NS6detail17trampoline_kernelINS0_13select_configILj256ELj13ELNS0_17block_load_methodE3ELS4_3ELS4_3ELNS0_20block_scan_algorithmE0ELj4294967295EEENS1_25partition_config_selectorILNS1_17partition_subalgoE4EjNS0_10empty_typeEbEEZZNS1_14partition_implILS8_4ELb0ES6_15HIP_vector_typeIjLj2EENS0_17counting_iteratorIjlEEPS9_SG_NS0_5tupleIJPjSI_NS0_16reverse_iteratorISI_EEEEENSH_IJSG_SG_SG_EEES9_SI_JZNS1_25segmented_radix_sort_implINS0_14default_configELb0EPKhPhPKlPlN2at6native12_GLOBAL__N_18offset_tEEE10hipError_tPvRmT1_PNSt15iterator_traitsIS12_E10value_typeET2_T3_PNS13_IS18_E10value_typeET4_jRbjT5_S1E_jjP12ihipStream_tbEUljE_ZNSN_ISO_Lb0ESQ_SR_ST_SU_SY_EESZ_S10_S11_S12_S16_S17_S18_S1B_S1C_jS1D_jS1E_S1E_jjS1G_bEUljE0_EEESZ_S10_S11_S18_S1C_S1E_T6_T7_T9_mT8_S1G_bDpT10_ENKUlT_T0_E_clISt17integral_constantIbLb0EES1U_EEDaS1P_S1Q_EUlS1P_E_NS1_11comp_targetILNS1_3genE10ELNS1_11target_archE1200ELNS1_3gpuE4ELNS1_3repE0EEENS1_30default_config_static_selectorELNS0_4arch9wavefront6targetE0EEEvS12_,@function
_ZN7rocprim17ROCPRIM_400000_NS6detail17trampoline_kernelINS0_13select_configILj256ELj13ELNS0_17block_load_methodE3ELS4_3ELS4_3ELNS0_20block_scan_algorithmE0ELj4294967295EEENS1_25partition_config_selectorILNS1_17partition_subalgoE4EjNS0_10empty_typeEbEEZZNS1_14partition_implILS8_4ELb0ES6_15HIP_vector_typeIjLj2EENS0_17counting_iteratorIjlEEPS9_SG_NS0_5tupleIJPjSI_NS0_16reverse_iteratorISI_EEEEENSH_IJSG_SG_SG_EEES9_SI_JZNS1_25segmented_radix_sort_implINS0_14default_configELb0EPKhPhPKlPlN2at6native12_GLOBAL__N_18offset_tEEE10hipError_tPvRmT1_PNSt15iterator_traitsIS12_E10value_typeET2_T3_PNS13_IS18_E10value_typeET4_jRbjT5_S1E_jjP12ihipStream_tbEUljE_ZNSN_ISO_Lb0ESQ_SR_ST_SU_SY_EESZ_S10_S11_S12_S16_S17_S18_S1B_S1C_jS1D_jS1E_S1E_jjS1G_bEUljE0_EEESZ_S10_S11_S18_S1C_S1E_T6_T7_T9_mT8_S1G_bDpT10_ENKUlT_T0_E_clISt17integral_constantIbLb0EES1U_EEDaS1P_S1Q_EUlS1P_E_NS1_11comp_targetILNS1_3genE10ELNS1_11target_archE1200ELNS1_3gpuE4ELNS1_3repE0EEENS1_30default_config_static_selectorELNS0_4arch9wavefront6targetE0EEEvS12_: ; @_ZN7rocprim17ROCPRIM_400000_NS6detail17trampoline_kernelINS0_13select_configILj256ELj13ELNS0_17block_load_methodE3ELS4_3ELS4_3ELNS0_20block_scan_algorithmE0ELj4294967295EEENS1_25partition_config_selectorILNS1_17partition_subalgoE4EjNS0_10empty_typeEbEEZZNS1_14partition_implILS8_4ELb0ES6_15HIP_vector_typeIjLj2EENS0_17counting_iteratorIjlEEPS9_SG_NS0_5tupleIJPjSI_NS0_16reverse_iteratorISI_EEEEENSH_IJSG_SG_SG_EEES9_SI_JZNS1_25segmented_radix_sort_implINS0_14default_configELb0EPKhPhPKlPlN2at6native12_GLOBAL__N_18offset_tEEE10hipError_tPvRmT1_PNSt15iterator_traitsIS12_E10value_typeET2_T3_PNS13_IS18_E10value_typeET4_jRbjT5_S1E_jjP12ihipStream_tbEUljE_ZNSN_ISO_Lb0ESQ_SR_ST_SU_SY_EESZ_S10_S11_S12_S16_S17_S18_S1B_S1C_jS1D_jS1E_S1E_jjS1G_bEUljE0_EEESZ_S10_S11_S18_S1C_S1E_T6_T7_T9_mT8_S1G_bDpT10_ENKUlT_T0_E_clISt17integral_constantIbLb0EES1U_EEDaS1P_S1Q_EUlS1P_E_NS1_11comp_targetILNS1_3genE10ELNS1_11target_archE1200ELNS1_3gpuE4ELNS1_3repE0EEENS1_30default_config_static_selectorELNS0_4arch9wavefront6targetE0EEEvS12_
; %bb.0:
	s_clause 0x6
	s_load_b32 s6, s[0:1], 0x80
	s_load_b128 s[24:27], s[0:1], 0x58
	s_load_b64 s[34:35], s[0:1], 0x10
	s_load_b64 s[2:3], s[0:1], 0x68
	s_load_b32 s7, s[0:1], 0x8
	s_load_b64 s[42:43], s[0:1], 0xa8
	s_load_b256 s[16:23], s[0:1], 0x88
	s_mov_b32 s5, 0
	s_mul_i32 s40, ttmp9, 0xd00
	s_wait_kmcnt 0x0
	s_mul_i32 s4, s6, 0xd00
	s_load_b128 s[28:31], s[26:27], 0x0
	s_add_co_i32 s8, s4, s34
	s_add_co_i32 s6, s6, -1
	s_sub_co_i32 s33, s2, s8
	s_add_nc_u64 s[4:5], s[34:35], s[4:5]
	s_addk_co_i32 s33, 0xd00
	s_cmp_eq_u32 ttmp9, s6
	v_cmp_gt_u64_e64 s2, s[2:3], s[4:5]
	s_cselect_b32 s15, -1, 0
	s_cmp_lg_u32 ttmp9, s6
	s_mov_b32 s5, -1
	s_cselect_b32 s3, -1, 0
	s_add_co_i32 s4, s7, s40
	s_wait_alu 0xfffe
	s_or_b32 s3, s3, s2
	s_add_co_i32 s4, s4, s34
	s_wait_alu 0xfffe
	s_and_b32 vcc_lo, exec_lo, s3
	v_add_nc_u32_e32 v1, s4, v0
	s_cbranch_vccz .LBB127_2
; %bb.1:
	s_delay_alu instid0(VALU_DEP_1)
	v_add_nc_u32_e32 v2, 0x100, v1
	v_lshlrev_b32_e32 v10, 2, v0
	v_add_nc_u32_e32 v3, 0x200, v1
	v_add_nc_u32_e32 v4, 0x300, v1
	;; [unrolled: 1-line block ×11, first 2 shown]
	ds_store_2addr_stride64_b32 v10, v1, v2 offset1:4
	ds_store_2addr_stride64_b32 v10, v3, v4 offset0:8 offset1:12
	ds_store_2addr_stride64_b32 v10, v5, v6 offset0:16 offset1:20
	ds_store_2addr_stride64_b32 v10, v7, v8 offset0:24 offset1:28
	ds_store_2addr_stride64_b32 v10, v9, v11 offset0:32 offset1:36
	ds_store_2addr_stride64_b32 v10, v12, v13 offset0:40 offset1:44
	ds_store_b32 v10, v14 offset:12288
	s_wait_dscnt 0x0
	s_barrier_signal -1
	s_mov_b32 s5, 0
	s_barrier_wait -1
.LBB127_2:
	v_cmp_gt_u32_e64 s2, s33, v0
	v_or_b32_e32 v38, 0x100, v0
	v_or_b32_e32 v37, 0x200, v0
	;; [unrolled: 1-line block ×12, first 2 shown]
	s_wait_alu 0xfffe
	s_and_not1_b32 vcc_lo, exec_lo, s5
	s_cbranch_vccnz .LBB127_4
; %bb.3:
	v_cmp_gt_u32_e32 vcc_lo, s33, v38
	v_add_nc_u32_e32 v3, s4, v37
	v_add_nc_u32_e32 v2, s4, v38
	v_cndmask_b32_e64 v1, 0, v1, s2
	v_lshlrev_b32_e32 v14, 2, v0
	s_delay_alu instid0(VALU_DEP_3)
	v_cndmask_b32_e32 v2, 0, v2, vcc_lo
	v_cmp_gt_u32_e32 vcc_lo, s33, v37
	s_wait_alu 0xfffd
	v_cndmask_b32_e32 v3, 0, v3, vcc_lo
	v_cmp_gt_u32_e32 vcc_lo, s33, v36
	v_add_nc_u32_e32 v5, s4, v35
	v_add_nc_u32_e32 v4, s4, v36
	s_wait_alu 0xfffd
	s_delay_alu instid0(VALU_DEP_1)
	v_cndmask_b32_e32 v4, 0, v4, vcc_lo
	v_cmp_gt_u32_e32 vcc_lo, s33, v35
	s_wait_alu 0xfffd
	v_cndmask_b32_e32 v5, 0, v5, vcc_lo
	v_cmp_gt_u32_e32 vcc_lo, s33, v34
	v_add_nc_u32_e32 v7, s4, v33
	v_add_nc_u32_e32 v6, s4, v34
	s_wait_alu 0xfffd
	s_delay_alu instid0(VALU_DEP_1)
	;; [unrolled: 9-line block ×5, first 2 shown]
	v_cndmask_b32_e32 v12, 0, v12, vcc_lo
	v_cmp_gt_u32_e32 vcc_lo, s33, v27
	s_wait_alu 0xfffd
	v_cndmask_b32_e32 v13, 0, v13, vcc_lo
	ds_store_2addr_stride64_b32 v14, v1, v2 offset1:4
	ds_store_2addr_stride64_b32 v14, v3, v4 offset0:8 offset1:12
	ds_store_2addr_stride64_b32 v14, v5, v6 offset0:16 offset1:20
	;; [unrolled: 1-line block ×5, first 2 shown]
	ds_store_b32 v14, v13 offset:12288
	s_wait_dscnt 0x0
	s_barrier_signal -1
	s_barrier_wait -1
.LBB127_4:
	v_mul_u32_u24_e32 v41, 13, v0
	s_clause 0x1
	s_load_b128 s[36:39], s[0:1], 0x28
	s_load_b64 s[26:27], s[0:1], 0x38
	global_inv scope:SCOPE_SE
	v_cndmask_b32_e64 v39, 0, 1, s3
	s_and_not1_b32 vcc_lo, exec_lo, s3
	v_lshlrev_b32_e32 v1, 2, v41
	ds_load_2addr_b32 v[19:20], v1 offset1:1
	ds_load_2addr_b32 v[17:18], v1 offset0:2 offset1:3
	ds_load_2addr_b32 v[15:16], v1 offset0:4 offset1:5
	;; [unrolled: 1-line block ×5, first 2 shown]
	ds_load_b32 v40, v1 offset:48
	s_wait_loadcnt_dscnt 0x0
	s_barrier_signal -1
	s_barrier_wait -1
	global_inv scope:SCOPE_SE
	s_wait_alu 0xfffe
	s_cbranch_vccnz .LBB127_32
; %bb.5:
	v_add_nc_u32_e32 v1, s17, v19
	v_add_nc_u32_e32 v2, s19, v19
	s_mov_b32 s44, 0
	s_mov_b32 s41, 0
	s_mov_b32 s3, exec_lo
	v_mul_lo_u32 v1, v1, s16
	v_mul_lo_u32 v2, v2, s18
	s_delay_alu instid0(VALU_DEP_1) | instskip(NEXT) | instid1(VALU_DEP_1)
	v_sub_nc_u32_e32 v1, v1, v2
	v_cmp_lt_u32_e32 vcc_lo, s20, v1
	v_cmpx_ge_u32_e64 s20, v1
	s_cbranch_execz .LBB127_7
; %bb.6:
	v_add_nc_u32_e32 v1, s22, v19
	v_add_nc_u32_e32 v2, s42, v19
	s_delay_alu instid0(VALU_DEP_2) | instskip(NEXT) | instid1(VALU_DEP_2)
	v_mul_lo_u32 v1, v1, s21
	v_mul_lo_u32 v2, v2, s23
	s_delay_alu instid0(VALU_DEP_1) | instskip(NEXT) | instid1(VALU_DEP_1)
	v_sub_nc_u32_e32 v1, v1, v2
	v_cmp_lt_u32_e64 s2, s43, v1
	s_and_b32 s41, s2, exec_lo
.LBB127_7:
	s_wait_alu 0xfffe
	s_or_b32 exec_lo, exec_lo, s3
	v_add_nc_u32_e32 v1, s17, v20
	v_add_nc_u32_e32 v2, s19, v20
	s_mov_b32 s4, exec_lo
	s_delay_alu instid0(VALU_DEP_2) | instskip(NEXT) | instid1(VALU_DEP_2)
	v_mul_lo_u32 v1, v1, s16
	v_mul_lo_u32 v2, v2, s18
	s_delay_alu instid0(VALU_DEP_1) | instskip(NEXT) | instid1(VALU_DEP_1)
	v_sub_nc_u32_e32 v1, v1, v2
	v_cmp_lt_u32_e64 s2, s20, v1
	v_cmpx_ge_u32_e64 s20, v1
	s_cbranch_execz .LBB127_9
; %bb.8:
	v_add_nc_u32_e32 v1, s22, v20
	v_add_nc_u32_e32 v2, s42, v20
	s_delay_alu instid0(VALU_DEP_2) | instskip(NEXT) | instid1(VALU_DEP_2)
	v_mul_lo_u32 v1, v1, s21
	v_mul_lo_u32 v2, v2, s23
	s_delay_alu instid0(VALU_DEP_1) | instskip(NEXT) | instid1(VALU_DEP_1)
	v_sub_nc_u32_e32 v1, v1, v2
	v_cmp_lt_u32_e64 s3, s43, v1
	s_and_b32 s44, s3, exec_lo
.LBB127_9:
	s_wait_alu 0xfffe
	s_or_b32 exec_lo, exec_lo, s4
	v_add_nc_u32_e32 v1, s17, v17
	v_add_nc_u32_e32 v2, s19, v17
	s_mov_b32 s46, 0
	s_mov_b32 s45, 0
	s_mov_b32 s5, exec_lo
	v_mul_lo_u32 v1, v1, s16
	v_mul_lo_u32 v2, v2, s18
	s_delay_alu instid0(VALU_DEP_1) | instskip(NEXT) | instid1(VALU_DEP_1)
	v_sub_nc_u32_e32 v1, v1, v2
	v_cmp_lt_u32_e64 s3, s20, v1
	v_cmpx_ge_u32_e64 s20, v1
	s_cbranch_execz .LBB127_11
; %bb.10:
	v_add_nc_u32_e32 v1, s22, v17
	v_add_nc_u32_e32 v2, s42, v17
	s_delay_alu instid0(VALU_DEP_2) | instskip(NEXT) | instid1(VALU_DEP_2)
	v_mul_lo_u32 v1, v1, s21
	v_mul_lo_u32 v2, v2, s23
	s_delay_alu instid0(VALU_DEP_1) | instskip(NEXT) | instid1(VALU_DEP_1)
	v_sub_nc_u32_e32 v1, v1, v2
	v_cmp_lt_u32_e64 s4, s43, v1
	s_and_b32 s45, s4, exec_lo
.LBB127_11:
	s_wait_alu 0xfffe
	s_or_b32 exec_lo, exec_lo, s5
	v_add_nc_u32_e32 v1, s17, v18
	v_add_nc_u32_e32 v2, s19, v18
	s_mov_b32 s6, exec_lo
	s_delay_alu instid0(VALU_DEP_2) | instskip(NEXT) | instid1(VALU_DEP_2)
	v_mul_lo_u32 v1, v1, s16
	v_mul_lo_u32 v2, v2, s18
	s_delay_alu instid0(VALU_DEP_1) | instskip(NEXT) | instid1(VALU_DEP_1)
	v_sub_nc_u32_e32 v1, v1, v2
	v_cmp_lt_u32_e64 s4, s20, v1
	v_cmpx_ge_u32_e64 s20, v1
	s_cbranch_execz .LBB127_13
; %bb.12:
	v_add_nc_u32_e32 v1, s22, v18
	v_add_nc_u32_e32 v2, s42, v18
	s_delay_alu instid0(VALU_DEP_2) | instskip(NEXT) | instid1(VALU_DEP_2)
	v_mul_lo_u32 v1, v1, s21
	v_mul_lo_u32 v2, v2, s23
	s_delay_alu instid0(VALU_DEP_1) | instskip(NEXT) | instid1(VALU_DEP_1)
	v_sub_nc_u32_e32 v1, v1, v2
	v_cmp_lt_u32_e64 s5, s43, v1
	s_and_b32 s46, s5, exec_lo
.LBB127_13:
	s_or_b32 exec_lo, exec_lo, s6
	v_add_nc_u32_e32 v1, s17, v15
	v_add_nc_u32_e32 v2, s19, v15
	s_mov_b32 s48, 0
	s_mov_b32 s47, 0
	s_mov_b32 s7, exec_lo
	v_mul_lo_u32 v1, v1, s16
	v_mul_lo_u32 v2, v2, s18
	s_delay_alu instid0(VALU_DEP_1) | instskip(NEXT) | instid1(VALU_DEP_1)
	v_sub_nc_u32_e32 v1, v1, v2
	v_cmp_lt_u32_e64 s5, s20, v1
	v_cmpx_ge_u32_e64 s20, v1
	s_cbranch_execz .LBB127_15
; %bb.14:
	v_add_nc_u32_e32 v1, s22, v15
	v_add_nc_u32_e32 v2, s42, v15
	s_delay_alu instid0(VALU_DEP_2) | instskip(NEXT) | instid1(VALU_DEP_2)
	v_mul_lo_u32 v1, v1, s21
	v_mul_lo_u32 v2, v2, s23
	s_delay_alu instid0(VALU_DEP_1) | instskip(NEXT) | instid1(VALU_DEP_1)
	v_sub_nc_u32_e32 v1, v1, v2
	v_cmp_lt_u32_e64 s6, s43, v1
	s_and_b32 s47, s6, exec_lo
.LBB127_15:
	s_or_b32 exec_lo, exec_lo, s7
	v_add_nc_u32_e32 v1, s17, v16
	v_add_nc_u32_e32 v2, s19, v16
	s_mov_b32 s8, exec_lo
	s_delay_alu instid0(VALU_DEP_2) | instskip(NEXT) | instid1(VALU_DEP_2)
	v_mul_lo_u32 v1, v1, s16
	v_mul_lo_u32 v2, v2, s18
	s_delay_alu instid0(VALU_DEP_1) | instskip(NEXT) | instid1(VALU_DEP_1)
	v_sub_nc_u32_e32 v1, v1, v2
	v_cmp_lt_u32_e64 s6, s20, v1
	v_cmpx_ge_u32_e64 s20, v1
	s_cbranch_execz .LBB127_17
; %bb.16:
	v_add_nc_u32_e32 v1, s22, v16
	v_add_nc_u32_e32 v2, s42, v16
	s_delay_alu instid0(VALU_DEP_2) | instskip(NEXT) | instid1(VALU_DEP_2)
	v_mul_lo_u32 v1, v1, s21
	v_mul_lo_u32 v2, v2, s23
	s_delay_alu instid0(VALU_DEP_1) | instskip(NEXT) | instid1(VALU_DEP_1)
	v_sub_nc_u32_e32 v1, v1, v2
	v_cmp_lt_u32_e64 s7, s43, v1
	s_and_b32 s48, s7, exec_lo
.LBB127_17:
	s_or_b32 exec_lo, exec_lo, s8
	v_add_nc_u32_e32 v1, s17, v13
	v_add_nc_u32_e32 v2, s19, v13
	s_mov_b32 s50, 0
	s_mov_b32 s49, 0
	s_mov_b32 s9, exec_lo
	v_mul_lo_u32 v1, v1, s16
	v_mul_lo_u32 v2, v2, s18
	s_delay_alu instid0(VALU_DEP_1) | instskip(NEXT) | instid1(VALU_DEP_1)
	v_sub_nc_u32_e32 v1, v1, v2
	v_cmp_lt_u32_e64 s7, s20, v1
	v_cmpx_ge_u32_e64 s20, v1
	s_cbranch_execz .LBB127_19
; %bb.18:
	v_add_nc_u32_e32 v1, s22, v13
	v_add_nc_u32_e32 v2, s42, v13
	s_delay_alu instid0(VALU_DEP_2) | instskip(NEXT) | instid1(VALU_DEP_2)
	v_mul_lo_u32 v1, v1, s21
	v_mul_lo_u32 v2, v2, s23
	s_delay_alu instid0(VALU_DEP_1) | instskip(NEXT) | instid1(VALU_DEP_1)
	v_sub_nc_u32_e32 v1, v1, v2
	v_cmp_lt_u32_e64 s8, s43, v1
	s_and_b32 s49, s8, exec_lo
.LBB127_19:
	;; [unrolled: 47-line block ×5, first 2 shown]
	s_or_b32 exec_lo, exec_lo, s57
	v_cndmask_b32_e64 v2, 0, 1, s2
	s_wait_alu 0xf1ff
	v_cndmask_b32_e64 v4, 0, 1, s4
	s_wait_alu 0xfffd
	v_cndmask_b32_e64 v1, 0, 1, vcc_lo
	v_cndmask_b32_e64 v3, 0, 1, s3
	v_cndmask_b32_e64 v6, 0, 1, s6
	v_lshlrev_b16 v2, 8, v2
	v_lshlrev_b16 v4, 8, v4
	v_cndmask_b32_e64 v8, 0, 1, s8
	v_cndmask_b32_e64 v22, 0, 1, s10
	;; [unrolled: 1-line block ×3, first 2 shown]
	v_or_b32_e32 v1, v1, v2
	v_or_b32_e32 v2, v3, v4
	v_cndmask_b32_e64 v51, 0, 1, s41
	v_cndmask_b32_e64 v5, 0, 1, s5
	;; [unrolled: 1-line block ×3, first 2 shown]
	v_and_b32_e32 v1, 0xffff, v1
	v_lshlrev_b32_e32 v2, 16, v2
	v_cndmask_b32_e64 v21, 0, 1, s9
	v_cndmask_b32_e64 v23, 0, 1, s11
	;; [unrolled: 1-line block ×8, first 2 shown]
	v_or_b32_e32 v42, v1, v2
	v_lshlrev_b16 v1, 8, v6
	v_lshlrev_b16 v2, 8, v8
	;; [unrolled: 1-line block ×5, first 2 shown]
	v_cndmask_b32_e64 v26, 0, 1, s53
	v_cndmask_b32_e64 v44, 0, 1, s50
	;; [unrolled: 1-line block ×5, first 2 shown]
	v_or_b32_e32 v1, v5, v1
	v_or_b32_e32 v2, v7, v2
	;; [unrolled: 1-line block ×5, first 2 shown]
	v_lshlrev_b16 v4, 8, v4
	v_lshlrev_b16 v8, 8, v49
	v_lshlrev_b16 v21, 8, v46
	v_lshlrev_b16 v22, 8, v43
	v_lshlrev_b16 v23, 8, v24
	v_or_b32_e32 v4, v50, v4
	v_or_b32_e32 v3, v3, v8
	;; [unrolled: 1-line block ×5, first 2 shown]
	v_and_b32_e32 v1, 0xffff, v1
	v_lshlrev_b32_e32 v2, 16, v2
	v_and_b32_e32 v5, 0xffff, v5
	v_lshlrev_b32_e32 v6, 16, v6
	v_and_b32_e32 v7, 0xffff, v7
	v_lshlrev_b32_e32 v4, 16, v4
	v_and_b32_e32 v3, 0xffff, v3
	v_lshlrev_b32_e32 v8, 16, v8
	v_and_b32_e32 v21, 0xffff, v21
	v_lshlrev_b32_e32 v22, 16, v22
	v_cndmask_b32_e64 v45, 0, 1, s54
	v_cndmask_b32_e64 v48, 0, 1, s56
	v_or_b32_e32 v44, v1, v2
	v_or_b32_e32 v47, v5, v6
	;; [unrolled: 1-line block ×5, first 2 shown]
	s_load_b64 s[4:5], s[0:1], 0x78
	s_and_b32 vcc_lo, exec_lo, s51
	s_wait_alu 0xfffe
	s_cbranch_vccnz .LBB127_33
	s_branch .LBB127_110
.LBB127_32:
                                        ; implicit-def: $vgpr48
                                        ; implicit-def: $vgpr45
                                        ; implicit-def: $vgpr46
                                        ; implicit-def: $vgpr43
                                        ; implicit-def: $vgpr49
                                        ; implicit-def: $vgpr47
                                        ; implicit-def: $vgpr44
                                        ; implicit-def: $vgpr42
	s_load_b64 s[4:5], s[0:1], 0x78
	s_cbranch_execz .LBB127_110
.LBB127_33:
	v_dual_mov_b32 v2, 0 :: v_dual_mov_b32 v1, 0
	s_mov_b32 s1, exec_lo
	v_cmpx_gt_u32_e64 s33, v41
	s_cbranch_execz .LBB127_37
; %bb.34:
	v_add_nc_u32_e32 v1, s17, v19
	v_add_nc_u32_e32 v2, s19, v19
	s_mov_b32 s3, 0
	s_mov_b32 s2, exec_lo
	s_delay_alu instid0(VALU_DEP_2) | instskip(NEXT) | instid1(VALU_DEP_2)
	v_mul_lo_u32 v1, v1, s16
	v_mul_lo_u32 v2, v2, s18
	s_delay_alu instid0(VALU_DEP_1) | instskip(NEXT) | instid1(VALU_DEP_1)
	v_sub_nc_u32_e32 v1, v1, v2
	v_cmp_lt_u32_e32 vcc_lo, s20, v1
	v_cmpx_ge_u32_e64 s20, v1
	s_cbranch_execz .LBB127_36
; %bb.35:
	v_add_nc_u32_e32 v1, s22, v19
	v_add_nc_u32_e32 v2, s42, v19
	s_delay_alu instid0(VALU_DEP_2) | instskip(NEXT) | instid1(VALU_DEP_2)
	v_mul_lo_u32 v1, v1, s21
	v_mul_lo_u32 v2, v2, s23
	s_delay_alu instid0(VALU_DEP_1) | instskip(NEXT) | instid1(VALU_DEP_1)
	v_sub_nc_u32_e32 v1, v1, v2
	v_cmp_lt_u32_e64 s0, s43, v1
	s_and_b32 s3, s0, exec_lo
.LBB127_36:
	s_wait_alu 0xfffe
	s_or_b32 exec_lo, exec_lo, s2
	v_cndmask_b32_e64 v2, 0, 1, s3
	s_wait_alu 0xfffd
	v_cndmask_b32_e64 v1, 0, 1, vcc_lo
.LBB127_37:
	s_or_b32 exec_lo, exec_lo, s1
	s_delay_alu instid0(VALU_DEP_2) | instskip(SKIP_1) | instid1(VALU_DEP_3)
	v_lshlrev_b16 v2, 8, v2
	v_add_nc_u32_e32 v3, 1, v41
	v_and_b32_e32 v6, 0xff, v1
	v_lshlrev_b16 v1, 8, 0
                                        ; implicit-def: $vgpr5
                                        ; implicit-def: $vgpr8
                                        ; implicit-def: $vgpr4
	s_delay_alu instid0(VALU_DEP_4) | instskip(NEXT) | instid1(VALU_DEP_4)
	v_and_b32_e32 v2, 0xffff, v2
	v_cmp_le_u32_e32 vcc_lo, s33, v3
                                        ; implicit-def: $vgpr3
	s_delay_alu instid0(VALU_DEP_2) | instskip(SKIP_2) | instid1(SALU_CYCLE_1)
	v_lshrrev_b32_e32 v21, 8, v2
	v_and_b32_e32 v7, 0xff, v2
                                        ; implicit-def: $vgpr2
	s_and_saveexec_b32 s0, vcc_lo
	s_xor_b32 s0, exec_lo, s0
	s_cbranch_execz .LBB127_39
; %bb.38:
	v_lshlrev_b16 v2, 8, v21
	v_and_b32_e32 v4, 0xffff, v1
                                        ; implicit-def: $vgpr21
	v_mov_b32_e32 v5, 0
	s_delay_alu instid0(VALU_DEP_3) | instskip(SKIP_1) | instid1(VALU_DEP_2)
	v_or_b32_e32 v3, v7, v2
	v_mov_b32_e32 v2, 0
                                        ; implicit-def: $vgpr7
	v_and_b32_e32 v8, 0xffff, v3
	v_and_b32_e32 v3, 0xffff, v1
                                        ; implicit-def: $vgpr1
.LBB127_39:
	s_and_not1_saveexec_b32 s1, s0
	s_cbranch_execz .LBB127_43
; %bb.40:
	v_add_nc_u32_e32 v2, s17, v20
	v_add_nc_u32_e32 v3, s19, v20
	s_mov_b32 s2, 0
	s_mov_b32 s3, exec_lo
	s_delay_alu instid0(VALU_DEP_2) | instskip(NEXT) | instid1(VALU_DEP_2)
	v_mul_lo_u32 v2, v2, s16
	v_mul_lo_u32 v3, v3, s18
	s_delay_alu instid0(VALU_DEP_1) | instskip(NEXT) | instid1(VALU_DEP_1)
	v_sub_nc_u32_e32 v2, v2, v3
	v_cmp_lt_u32_e32 vcc_lo, s20, v2
	v_cmpx_ge_u32_e64 s20, v2
	s_cbranch_execz .LBB127_42
; %bb.41:
	v_add_nc_u32_e32 v2, s22, v20
	v_add_nc_u32_e32 v3, s42, v20
	s_delay_alu instid0(VALU_DEP_2) | instskip(NEXT) | instid1(VALU_DEP_2)
	v_mul_lo_u32 v2, v2, s21
	v_mul_lo_u32 v3, v3, s23
	s_delay_alu instid0(VALU_DEP_1) | instskip(NEXT) | instid1(VALU_DEP_1)
	v_sub_nc_u32_e32 v2, v2, v3
	v_cmp_lt_u32_e64 s0, s43, v2
	s_and_b32 s2, s0, exec_lo
.LBB127_42:
	s_wait_alu 0xfffe
	s_or_b32 exec_lo, exec_lo, s3
	s_wait_alu 0xfffd
	v_cndmask_b32_e64 v2, 0, 1, vcc_lo
	v_lshlrev_b16 v3, 8, v21
	v_dual_mov_b32 v5, 0 :: v_dual_and_b32 v4, 0xffff, v1
	s_delay_alu instid0(VALU_DEP_3) | instskip(NEXT) | instid1(VALU_DEP_3)
	v_lshlrev_b16 v2, 8, v2
	v_or_b32_e32 v3, v7, v3
	v_cndmask_b32_e64 v7, 0, 1, s2
	s_delay_alu instid0(VALU_DEP_3) | instskip(NEXT) | instid1(VALU_DEP_3)
	v_or_b32_e32 v6, v6, v2
	v_dual_mov_b32 v2, 0 :: v_dual_and_b32 v3, 0xffff, v3
	s_delay_alu instid0(VALU_DEP_2) | instskip(NEXT) | instid1(VALU_DEP_2)
	v_and_b32_e32 v6, 0xffff, v6
	v_lshl_or_b32 v8, v7, 16, v3
	v_and_b32_e32 v3, 0xffff, v1
.LBB127_43:
	s_or_b32 exec_lo, exec_lo, s1
	v_add_nc_u32_e32 v1, 2, v41
	v_and_b32_e32 v21, 0xff, v6
	v_lshrrev_b32_e32 v22, 8, v6
                                        ; implicit-def: $vgpr7
	s_delay_alu instid0(VALU_DEP_3) | instskip(SKIP_1) | instid1(SALU_CYCLE_1)
	v_cmp_le_u32_e32 vcc_lo, s33, v1
                                        ; implicit-def: $vgpr1
	s_and_saveexec_b32 s0, vcc_lo
	s_xor_b32 s0, exec_lo, s0
	s_cbranch_execz .LBB127_45
; %bb.44:
	v_lshlrev_b16 v1, 8, v22
	v_perm_b32 v4, v4, v4, 0x3060504
                                        ; implicit-def: $vgpr22
	s_delay_alu instid0(VALU_DEP_2) | instskip(SKIP_1) | instid1(VALU_DEP_2)
	v_or_b32_e32 v1, v21, v1
	v_and_b32_e32 v21, 0xff0000, v8
	v_and_b32_e32 v1, 0xffff, v1
	s_delay_alu instid0(VALU_DEP_1) | instskip(NEXT) | instid1(VALU_DEP_3)
	v_and_or_b32 v7, 0xff000000, v6, v1
	v_perm_b32 v1, v8, v21, 0x3020504
                                        ; implicit-def: $vgpr21
                                        ; implicit-def: $vgpr6
                                        ; implicit-def: $vgpr8
.LBB127_45:
	s_and_not1_saveexec_b32 s1, s0
	s_cbranch_execz .LBB127_49
; %bb.46:
	v_add_nc_u32_e32 v1, s17, v17
	v_add_nc_u32_e32 v7, s19, v17
	s_mov_b32 s2, 0
	s_mov_b32 s3, exec_lo
	s_delay_alu instid0(VALU_DEP_2) | instskip(NEXT) | instid1(VALU_DEP_2)
	v_mul_lo_u32 v1, v1, s16
	v_mul_lo_u32 v7, v7, s18
	s_delay_alu instid0(VALU_DEP_1) | instskip(NEXT) | instid1(VALU_DEP_1)
	v_sub_nc_u32_e32 v1, v1, v7
	v_cmp_lt_u32_e32 vcc_lo, s20, v1
	v_cmpx_ge_u32_e64 s20, v1
	s_cbranch_execz .LBB127_48
; %bb.47:
	v_add_nc_u32_e32 v1, s22, v17
	v_add_nc_u32_e32 v7, s42, v17
	s_delay_alu instid0(VALU_DEP_2) | instskip(NEXT) | instid1(VALU_DEP_2)
	v_mul_lo_u32 v1, v1, s21
	v_mul_lo_u32 v7, v7, s23
	s_delay_alu instid0(VALU_DEP_1) | instskip(NEXT) | instid1(VALU_DEP_1)
	v_sub_nc_u32_e32 v1, v1, v7
	v_cmp_lt_u32_e64 s0, s43, v1
	s_and_b32 s2, s0, exec_lo
.LBB127_48:
	s_wait_alu 0xfffe
	s_or_b32 exec_lo, exec_lo, s3
	v_lshrrev_b32_e32 v6, 24, v6
	v_cndmask_b32_e64 v7, 0, 1, s2
	v_lshrrev_b32_e32 v23, 8, v8
	v_lshrrev_b32_e32 v24, 16, v8
	s_wait_alu 0xfffd
	v_cndmask_b32_e64 v1, 0, 1, vcc_lo
	v_lshlrev_b16 v22, 8, v22
	v_lshlrev_b16 v6, 8, v6
	v_and_b32_e32 v8, 0xff, v8
	v_lshlrev_b16 v23, 8, v23
	v_lshlrev_b16 v7, 8, v7
	v_and_b32_e32 v24, 0xff, v24
	v_or_b32_e32 v21, v21, v22
	v_or_b32_e32 v1, v1, v6
	;; [unrolled: 1-line block ×3, first 2 shown]
	s_delay_alu instid0(VALU_DEP_4) | instskip(NEXT) | instid1(VALU_DEP_4)
	v_or_b32_e32 v7, v24, v7
	v_and_b32_e32 v8, 0xffff, v21
	s_delay_alu instid0(VALU_DEP_4) | instskip(NEXT) | instid1(VALU_DEP_4)
	v_lshlrev_b32_e32 v1, 16, v1
	v_and_b32_e32 v6, 0xffff, v6
	s_delay_alu instid0(VALU_DEP_4) | instskip(NEXT) | instid1(VALU_DEP_3)
	v_lshlrev_b32_e32 v21, 16, v7
	v_or_b32_e32 v7, v8, v1
	s_delay_alu instid0(VALU_DEP_2)
	v_or_b32_e32 v1, v6, v21
.LBB127_49:
	s_or_b32 exec_lo, exec_lo, s1
	v_add_nc_u32_e32 v6, 3, v41
	v_lshrrev_b32_e32 v8, 24, v5
	v_lshrrev_b32_e32 v21, 16, v5
	v_lshrrev_b32_e32 v5, 8, v5
                                        ; implicit-def: $vgpr42
	s_delay_alu instid0(VALU_DEP_4) | instskip(SKIP_1) | instid1(SALU_CYCLE_1)
	v_cmp_le_u32_e32 vcc_lo, s33, v6
                                        ; implicit-def: $vgpr6
	s_and_saveexec_b32 s0, vcc_lo
	s_xor_b32 s0, exec_lo, s0
	s_cbranch_execz .LBB127_51
; %bb.50:
	v_lshlrev_b16 v6, 8, v8
	v_and_b32_e32 v8, 0xff, v21
	v_lshlrev_b16 v5, 8, v5
	v_perm_b32 v4, v4, v4, 0x3060504
	v_perm_b32 v3, v3, v3, 0x3060504
                                        ; implicit-def: $vgpr21
	s_delay_alu instid0(VALU_DEP_4) | instskip(SKIP_2) | instid1(VALU_DEP_3)
	v_or_b32_e32 v6, v8, v6
	v_and_b32_e32 v8, 0xff0000, v7
	v_and_b32_e32 v5, 0xffff, v5
	v_lshlrev_b32_e32 v6, 16, v6
	s_delay_alu instid0(VALU_DEP_3) | instskip(NEXT) | instid1(VALU_DEP_2)
	v_perm_b32 v42, v7, v8, 0x3020504
                                        ; implicit-def: $vgpr7
                                        ; implicit-def: $vgpr8
	v_or_b32_e32 v6, v5, v6
                                        ; implicit-def: $vgpr5
.LBB127_51:
	s_and_not1_saveexec_b32 s1, s0
	s_cbranch_execz .LBB127_55
; %bb.52:
	v_add_nc_u32_e32 v6, s17, v18
	v_add_nc_u32_e32 v22, s19, v18
	s_mov_b32 s2, 0
	s_mov_b32 s3, exec_lo
	s_delay_alu instid0(VALU_DEP_2) | instskip(NEXT) | instid1(VALU_DEP_2)
	v_mul_lo_u32 v6, v6, s16
	v_mul_lo_u32 v22, v22, s18
	s_delay_alu instid0(VALU_DEP_1) | instskip(NEXT) | instid1(VALU_DEP_1)
	v_sub_nc_u32_e32 v6, v6, v22
	v_cmp_lt_u32_e32 vcc_lo, s20, v6
	v_cmpx_ge_u32_e64 s20, v6
	s_cbranch_execz .LBB127_54
; %bb.53:
	v_add_nc_u32_e32 v6, s22, v18
	v_add_nc_u32_e32 v22, s42, v18
	s_delay_alu instid0(VALU_DEP_2) | instskip(NEXT) | instid1(VALU_DEP_2)
	v_mul_lo_u32 v6, v6, s21
	v_mul_lo_u32 v22, v22, s23
	s_delay_alu instid0(VALU_DEP_1) | instskip(NEXT) | instid1(VALU_DEP_1)
	v_sub_nc_u32_e32 v6, v6, v22
	v_cmp_lt_u32_e64 s0, s43, v6
	s_and_b32 s2, s0, exec_lo
.LBB127_54:
	s_wait_alu 0xfffe
	s_or_b32 exec_lo, exec_lo, s3
	v_lshrrev_b32_e32 v6, 8, v7
	s_wait_alu 0xfffd
	v_cndmask_b32_e64 v22, 0, 1, vcc_lo
	v_lshrrev_b32_e32 v23, 16, v7
	v_cndmask_b32_e64 v24, 0, 1, s2
	v_and_b32_e32 v7, 0xff, v7
	v_lshlrev_b16 v6, 8, v6
	v_lshlrev_b16 v22, 8, v22
	v_and_b32_e32 v23, 0xff, v23
	v_lshlrev_b16 v8, 8, v8
	v_and_b32_e32 v21, 0xff, v21
	v_lshlrev_b16 v5, 8, v5
	v_or_b32_e32 v6, v7, v6
	v_or_b32_e32 v7, v23, v22
	s_delay_alu instid0(VALU_DEP_4) | instskip(NEXT) | instid1(VALU_DEP_4)
	v_or_b32_e32 v8, v21, v8
	v_or_b32_e32 v5, v24, v5
	s_delay_alu instid0(VALU_DEP_4) | instskip(NEXT) | instid1(VALU_DEP_4)
	v_and_b32_e32 v6, 0xffff, v6
	v_lshlrev_b32_e32 v7, 16, v7
	s_delay_alu instid0(VALU_DEP_4) | instskip(NEXT) | instid1(VALU_DEP_4)
	v_lshlrev_b32_e32 v8, 16, v8
	v_and_b32_e32 v5, 0xffff, v5
	s_delay_alu instid0(VALU_DEP_3) | instskip(NEXT) | instid1(VALU_DEP_2)
	v_or_b32_e32 v42, v6, v7
	v_or_b32_e32 v6, v5, v8
.LBB127_55:
	s_or_b32 exec_lo, exec_lo, s1
	v_add_nc_u32_e32 v5, 4, v41
	v_lshrrev_b32_e32 v21, 8, v4
	v_lshrrev_b32_e32 v22, 16, v4
	;; [unrolled: 1-line block ×4, first 2 shown]
	v_cmp_le_u32_e32 vcc_lo, s33, v5
	v_lshrrev_b32_e32 v8, 16, v6
                                        ; implicit-def: $vgpr4
                                        ; implicit-def: $vgpr5
	s_and_saveexec_b32 s0, vcc_lo
	s_delay_alu instid0(SALU_CYCLE_1)
	s_xor_b32 s0, exec_lo, s0
	s_cbranch_execz .LBB127_57
; %bb.56:
	v_lshlrev_b16 v4, 8, v23
	v_and_b32_e32 v5, 0xff, v22
	v_lshlrev_b16 v21, 8, v21
	v_lshlrev_b16 v7, 8, v7
	v_and_b32_e32 v8, 0xff, v8
	v_perm_b32 v3, v3, v3, 0x3060504
	v_or_b32_e32 v4, v5, v4
	v_and_b32_e32 v5, 0xffff, v21
                                        ; implicit-def: $vgpr21
                                        ; implicit-def: $vgpr22
                                        ; implicit-def: $vgpr23
	s_delay_alu instid0(VALU_DEP_4) | instskip(NEXT) | instid1(VALU_DEP_3)
	v_or_b32_e32 v7, v8, v7
	v_lshlrev_b32_e32 v8, 16, v4
	s_delay_alu instid0(VALU_DEP_2) | instskip(NEXT) | instid1(VALU_DEP_2)
	v_perm_b32 v4, v7, v6, 0x5040c00
                                        ; implicit-def: $vgpr6
                                        ; implicit-def: $vgpr7
	v_or_b32_e32 v5, v5, v8
                                        ; implicit-def: $vgpr8
.LBB127_57:
	s_and_not1_saveexec_b32 s1, s0
	s_cbranch_execz .LBB127_61
; %bb.58:
	v_add_nc_u32_e32 v4, s17, v15
	v_add_nc_u32_e32 v5, s19, v15
	s_mov_b32 s2, 0
	s_mov_b32 s3, exec_lo
	s_delay_alu instid0(VALU_DEP_2) | instskip(NEXT) | instid1(VALU_DEP_2)
	v_mul_lo_u32 v4, v4, s16
	v_mul_lo_u32 v5, v5, s18
	s_delay_alu instid0(VALU_DEP_1) | instskip(NEXT) | instid1(VALU_DEP_1)
	v_sub_nc_u32_e32 v4, v4, v5
	v_cmp_lt_u32_e32 vcc_lo, s20, v4
	v_cmpx_ge_u32_e64 s20, v4
	s_cbranch_execz .LBB127_60
; %bb.59:
	v_add_nc_u32_e32 v4, s22, v15
	v_add_nc_u32_e32 v5, s42, v15
	s_delay_alu instid0(VALU_DEP_2) | instskip(NEXT) | instid1(VALU_DEP_2)
	v_mul_lo_u32 v4, v4, s21
	v_mul_lo_u32 v5, v5, s23
	s_delay_alu instid0(VALU_DEP_1) | instskip(NEXT) | instid1(VALU_DEP_1)
	v_sub_nc_u32_e32 v4, v4, v5
	v_cmp_lt_u32_e64 s0, s43, v4
	s_and_b32 s2, s0, exec_lo
.LBB127_60:
	s_wait_alu 0xfffe
	s_or_b32 exec_lo, exec_lo, s3
	v_cndmask_b32_e64 v4, 0, 1, s2
	s_wait_alu 0xfffd
	v_cndmask_b32_e64 v5, 0, 1, vcc_lo
	v_lshlrev_b16 v23, 8, v23
	v_and_b32_e32 v22, 0xff, v22
	v_lshlrev_b16 v21, 8, v21
	v_lshlrev_b16 v4, 8, v4
	v_and_b32_e32 v6, 0xff, v6
	v_lshlrev_b16 v7, 8, v7
	v_and_b32_e32 v8, 0xff, v8
	v_or_b32_e32 v22, v22, v23
	v_or_b32_e32 v5, v5, v21
	;; [unrolled: 1-line block ×3, first 2 shown]
	s_delay_alu instid0(VALU_DEP_4) | instskip(NEXT) | instid1(VALU_DEP_4)
	v_or_b32_e32 v6, v8, v7
	v_lshlrev_b32_e32 v7, 16, v22
	s_delay_alu instid0(VALU_DEP_4) | instskip(NEXT) | instid1(VALU_DEP_4)
	v_and_b32_e32 v5, 0xffff, v5
	v_and_b32_e32 v4, 0xffff, v4
	s_delay_alu instid0(VALU_DEP_4) | instskip(NEXT) | instid1(VALU_DEP_3)
	v_lshlrev_b32_e32 v6, 16, v6
	v_or_b32_e32 v5, v5, v7
	s_delay_alu instid0(VALU_DEP_2)
	v_or_b32_e32 v4, v4, v6
.LBB127_61:
	s_or_b32 exec_lo, exec_lo, s1
	v_add_nc_u32_e32 v6, 5, v41
	s_delay_alu instid0(VALU_DEP_2)
	v_lshrrev_b32_e32 v21, 16, v5
	v_lshrrev_b32_e32 v23, 24, v5
	v_and_b32_e32 v8, 0xff, v4
	v_lshrrev_b32_e32 v22, 8, v4
	v_cmp_le_u32_e32 vcc_lo, s33, v6
                                        ; implicit-def: $vgpr6
                                        ; implicit-def: $vgpr7
	s_and_saveexec_b32 s0, vcc_lo
	s_delay_alu instid0(SALU_CYCLE_1)
	s_xor_b32 s0, exec_lo, s0
	s_cbranch_execz .LBB127_63
; %bb.62:
	v_lshlrev_b16 v6, 8, v22
	v_lshlrev_b16 v7, 8, v23
	v_and_b32_e32 v21, 0xff, v21
	v_perm_b32 v3, v3, v3, 0x3060504
                                        ; implicit-def: $vgpr23
                                        ; implicit-def: $vgpr22
	s_delay_alu instid0(VALU_DEP_4) | instskip(NEXT) | instid1(VALU_DEP_3)
	v_or_b32_e32 v6, v8, v6
                                        ; implicit-def: $vgpr8
	v_or_b32_e32 v7, v21, v7
                                        ; implicit-def: $vgpr21
	s_delay_alu instid0(VALU_DEP_2) | instskip(NEXT) | instid1(VALU_DEP_2)
	v_and_b32_e32 v6, 0xffff, v6
	v_perm_b32 v7, v7, v5, 0x5040c00
                                        ; implicit-def: $vgpr5
	s_delay_alu instid0(VALU_DEP_2)
	v_and_or_b32 v6, 0xff000000, v4, v6
                                        ; implicit-def: $vgpr4
.LBB127_63:
	s_and_not1_saveexec_b32 s1, s0
	s_cbranch_execz .LBB127_67
; %bb.64:
	v_add_nc_u32_e32 v6, s17, v16
	v_add_nc_u32_e32 v7, s19, v16
	s_mov_b32 s2, 0
	s_mov_b32 s3, exec_lo
	s_delay_alu instid0(VALU_DEP_2) | instskip(NEXT) | instid1(VALU_DEP_2)
	v_mul_lo_u32 v6, v6, s16
	v_mul_lo_u32 v7, v7, s18
	s_delay_alu instid0(VALU_DEP_1) | instskip(NEXT) | instid1(VALU_DEP_1)
	v_sub_nc_u32_e32 v6, v6, v7
	v_cmp_lt_u32_e32 vcc_lo, s20, v6
	v_cmpx_ge_u32_e64 s20, v6
	s_cbranch_execz .LBB127_66
; %bb.65:
	v_add_nc_u32_e32 v6, s22, v16
	v_add_nc_u32_e32 v7, s42, v16
	s_delay_alu instid0(VALU_DEP_2) | instskip(NEXT) | instid1(VALU_DEP_2)
	v_mul_lo_u32 v6, v6, s21
	v_mul_lo_u32 v7, v7, s23
	s_delay_alu instid0(VALU_DEP_1) | instskip(NEXT) | instid1(VALU_DEP_1)
	v_sub_nc_u32_e32 v6, v6, v7
	v_cmp_lt_u32_e64 s0, s43, v6
	s_and_b32 s2, s0, exec_lo
.LBB127_66:
	s_wait_alu 0xfffe
	s_or_b32 exec_lo, exec_lo, s3
	s_wait_alu 0xfffd
	v_cndmask_b32_e64 v6, 0, 1, vcc_lo
	v_lshrrev_b32_e32 v4, 24, v4
	v_cndmask_b32_e64 v7, 0, 1, s2
	v_lshlrev_b16 v23, 8, v23
	v_and_b32_e32 v21, 0xff, v21
	v_lshlrev_b16 v6, 8, v6
	v_lshlrev_b16 v22, 8, v22
	v_and_b32_e32 v5, 0xff, v5
	v_lshlrev_b16 v4, 8, v4
	v_or_b32_e32 v21, v21, v23
	s_delay_alu instid0(VALU_DEP_4) | instskip(NEXT) | instid1(VALU_DEP_4)
	v_or_b32_e32 v8, v8, v22
	v_or_b32_e32 v5, v5, v6
	s_delay_alu instid0(VALU_DEP_4) | instskip(NEXT) | instid1(VALU_DEP_4)
	v_or_b32_e32 v4, v7, v4
	v_lshlrev_b32_e32 v6, 16, v21
	s_delay_alu instid0(VALU_DEP_4) | instskip(NEXT) | instid1(VALU_DEP_4)
	v_and_b32_e32 v8, 0xffff, v8
	v_and_b32_e32 v5, 0xffff, v5
	s_delay_alu instid0(VALU_DEP_4) | instskip(NEXT) | instid1(VALU_DEP_2)
	v_lshlrev_b32_e32 v4, 16, v4
	v_or_b32_e32 v7, v5, v6
	s_delay_alu instid0(VALU_DEP_2)
	v_or_b32_e32 v6, v8, v4
.LBB127_67:
	s_or_b32 exec_lo, exec_lo, s1
	v_add_nc_u32_e32 v4, 6, v41
	s_delay_alu instid0(VALU_DEP_3) | instskip(NEXT) | instid1(VALU_DEP_2)
	v_lshrrev_b32_e32 v8, 8, v7
                                        ; implicit-def: $vgpr43
                                        ; implicit-def: $vgpr5
	v_cmp_le_u32_e32 vcc_lo, s33, v4
	v_and_b32_e32 v4, 0xff, v7
	s_and_saveexec_b32 s0, vcc_lo
	s_delay_alu instid0(SALU_CYCLE_1)
	s_xor_b32 s0, exec_lo, s0
	s_cbranch_execz .LBB127_69
; %bb.68:
	v_lshlrev_b16 v5, 8, v8
	v_perm_b32 v3, v3, v3, 0x3060504
                                        ; implicit-def: $vgpr8
	s_delay_alu instid0(VALU_DEP_2) | instskip(SKIP_1) | instid1(VALU_DEP_2)
	v_or_b32_e32 v4, v4, v5
	v_and_b32_e32 v5, 0xff0000, v6
	v_and_b32_e32 v4, 0xffff, v4
	s_delay_alu instid0(VALU_DEP_2) | instskip(NEXT) | instid1(VALU_DEP_2)
	v_perm_b32 v43, v6, v5, 0x3020504
                                        ; implicit-def: $vgpr6
	v_and_or_b32 v5, 0xff000000, v7, v4
                                        ; implicit-def: $vgpr4
                                        ; implicit-def: $vgpr7
.LBB127_69:
	s_and_not1_saveexec_b32 s1, s0
	s_cbranch_execz .LBB127_73
; %bb.70:
	v_add_nc_u32_e32 v5, s17, v13
	v_add_nc_u32_e32 v21, s19, v13
	s_mov_b32 s2, 0
	s_mov_b32 s3, exec_lo
	s_delay_alu instid0(VALU_DEP_2) | instskip(NEXT) | instid1(VALU_DEP_2)
	v_mul_lo_u32 v5, v5, s16
	v_mul_lo_u32 v21, v21, s18
	s_delay_alu instid0(VALU_DEP_1) | instskip(NEXT) | instid1(VALU_DEP_1)
	v_sub_nc_u32_e32 v5, v5, v21
	v_cmp_lt_u32_e32 vcc_lo, s20, v5
	v_cmpx_ge_u32_e64 s20, v5
	s_cbranch_execz .LBB127_72
; %bb.71:
	v_add_nc_u32_e32 v5, s22, v13
	v_add_nc_u32_e32 v21, s42, v13
	s_delay_alu instid0(VALU_DEP_2) | instskip(NEXT) | instid1(VALU_DEP_2)
	v_mul_lo_u32 v5, v5, s21
	v_mul_lo_u32 v21, v21, s23
	s_delay_alu instid0(VALU_DEP_1) | instskip(NEXT) | instid1(VALU_DEP_1)
	v_sub_nc_u32_e32 v5, v5, v21
	v_cmp_lt_u32_e64 s0, s43, v5
	s_and_b32 s2, s0, exec_lo
.LBB127_72:
	s_wait_alu 0xfffe
	s_or_b32 exec_lo, exec_lo, s3
	v_lshrrev_b32_e32 v7, 24, v7
	v_cndmask_b32_e64 v21, 0, 1, s2
	v_lshrrev_b32_e32 v22, 8, v6
	v_lshrrev_b32_e32 v23, 16, v6
	s_wait_alu 0xfffd
	v_cndmask_b32_e64 v5, 0, 1, vcc_lo
	v_lshlrev_b16 v8, 8, v8
	v_lshlrev_b16 v7, 8, v7
	v_and_b32_e32 v6, 0xff, v6
	v_lshlrev_b16 v22, 8, v22
	v_lshlrev_b16 v21, 8, v21
	v_and_b32_e32 v23, 0xff, v23
	v_or_b32_e32 v4, v4, v8
	v_or_b32_e32 v5, v5, v7
	;; [unrolled: 1-line block ×3, first 2 shown]
	s_delay_alu instid0(VALU_DEP_4) | instskip(NEXT) | instid1(VALU_DEP_4)
	v_or_b32_e32 v7, v23, v21
	v_and_b32_e32 v4, 0xffff, v4
	s_delay_alu instid0(VALU_DEP_4) | instskip(NEXT) | instid1(VALU_DEP_4)
	v_lshlrev_b32_e32 v5, 16, v5
	v_and_b32_e32 v6, 0xffff, v6
	s_delay_alu instid0(VALU_DEP_4) | instskip(NEXT) | instid1(VALU_DEP_3)
	v_lshlrev_b32_e32 v7, 16, v7
	v_or_b32_e32 v5, v4, v5
	s_delay_alu instid0(VALU_DEP_2)
	v_or_b32_e32 v43, v6, v7
.LBB127_73:
	s_or_b32 exec_lo, exec_lo, s1
	v_add_nc_u32_e32 v4, 7, v41
	v_lshrrev_b32_e32 v6, 8, v3
	v_lshrrev_b32_e32 v7, 16, v3
	;; [unrolled: 1-line block ×3, first 2 shown]
                                        ; implicit-def: $vgpr44
	s_delay_alu instid0(VALU_DEP_4) | instskip(SKIP_1) | instid1(SALU_CYCLE_1)
	v_cmp_le_u32_e32 vcc_lo, s33, v4
                                        ; implicit-def: $vgpr4
	s_and_saveexec_b32 s0, vcc_lo
	s_xor_b32 s0, exec_lo, s0
	s_cbranch_execz .LBB127_75
; %bb.74:
	v_lshlrev_b16 v3, 8, v3
	v_and_b32_e32 v4, 0xff, v7
                                        ; implicit-def: $vgpr7
	s_delay_alu instid0(VALU_DEP_1) | instskip(SKIP_2) | instid1(VALU_DEP_3)
	v_or_b32_e32 v3, v4, v3
	v_lshlrev_b16 v4, 8, v6
	v_and_b32_e32 v6, 0xff0000, v5
	v_lshlrev_b32_e32 v3, 16, v3
	s_delay_alu instid0(VALU_DEP_3) | instskip(NEXT) | instid1(VALU_DEP_3)
	v_and_b32_e32 v4, 0xffff, v4
	v_perm_b32 v44, v5, v6, 0x3020504
                                        ; implicit-def: $vgpr5
                                        ; implicit-def: $vgpr6
	s_delay_alu instid0(VALU_DEP_2)
	v_or_b32_e32 v4, v4, v3
                                        ; implicit-def: $vgpr3
.LBB127_75:
	s_and_not1_saveexec_b32 s1, s0
	s_cbranch_execz .LBB127_79
; %bb.76:
	v_add_nc_u32_e32 v4, s17, v14
	v_add_nc_u32_e32 v8, s19, v14
	s_mov_b32 s2, 0
	s_mov_b32 s3, exec_lo
	s_delay_alu instid0(VALU_DEP_2) | instskip(NEXT) | instid1(VALU_DEP_2)
	v_mul_lo_u32 v4, v4, s16
	v_mul_lo_u32 v8, v8, s18
	s_delay_alu instid0(VALU_DEP_1) | instskip(NEXT) | instid1(VALU_DEP_1)
	v_sub_nc_u32_e32 v4, v4, v8
	v_cmp_lt_u32_e32 vcc_lo, s20, v4
	v_cmpx_ge_u32_e64 s20, v4
	s_cbranch_execz .LBB127_78
; %bb.77:
	v_add_nc_u32_e32 v4, s22, v14
	v_add_nc_u32_e32 v8, s42, v14
	s_delay_alu instid0(VALU_DEP_2) | instskip(NEXT) | instid1(VALU_DEP_2)
	v_mul_lo_u32 v4, v4, s21
	v_mul_lo_u32 v8, v8, s23
	s_delay_alu instid0(VALU_DEP_1) | instskip(NEXT) | instid1(VALU_DEP_1)
	v_sub_nc_u32_e32 v4, v4, v8
	v_cmp_lt_u32_e64 s0, s43, v4
	s_and_b32 s2, s0, exec_lo
.LBB127_78:
	s_wait_alu 0xfffe
	s_or_b32 exec_lo, exec_lo, s3
	v_lshrrev_b32_e32 v4, 8, v5
	s_wait_alu 0xfffd
	v_cndmask_b32_e64 v8, 0, 1, vcc_lo
	v_lshrrev_b32_e32 v21, 16, v5
	v_cndmask_b32_e64 v22, 0, 1, s2
	v_and_b32_e32 v5, 0xff, v5
	v_lshlrev_b16 v4, 8, v4
	v_lshlrev_b16 v8, 8, v8
	v_and_b32_e32 v21, 0xff, v21
	v_lshlrev_b16 v3, 8, v3
	v_and_b32_e32 v7, 0xff, v7
	v_lshlrev_b16 v6, 8, v6
	v_or_b32_e32 v4, v5, v4
	v_or_b32_e32 v5, v21, v8
	s_delay_alu instid0(VALU_DEP_4) | instskip(NEXT) | instid1(VALU_DEP_4)
	v_or_b32_e32 v3, v7, v3
	v_or_b32_e32 v6, v22, v6
	s_delay_alu instid0(VALU_DEP_4) | instskip(NEXT) | instid1(VALU_DEP_4)
	v_and_b32_e32 v4, 0xffff, v4
	v_lshlrev_b32_e32 v5, 16, v5
	s_delay_alu instid0(VALU_DEP_4) | instskip(NEXT) | instid1(VALU_DEP_4)
	v_lshlrev_b32_e32 v3, 16, v3
	v_and_b32_e32 v6, 0xffff, v6
	s_delay_alu instid0(VALU_DEP_3) | instskip(NEXT) | instid1(VALU_DEP_2)
	v_or_b32_e32 v44, v4, v5
	v_or_b32_e32 v4, v6, v3
.LBB127_79:
	s_or_b32 exec_lo, exec_lo, s1
	v_add_nc_u32_e32 v3, 8, v41
	s_delay_alu instid0(VALU_DEP_2)
	v_lshrrev_b32_e32 v5, 16, v4
	v_lshrrev_b32_e32 v6, 24, v4
	;; [unrolled: 1-line block ×4, first 2 shown]
	v_cmp_le_u32_e32 vcc_lo, s33, v3
	v_lshrrev_b32_e32 v7, 8, v2
                                        ; implicit-def: $vgpr2
                                        ; implicit-def: $vgpr3
	s_and_saveexec_b32 s0, vcc_lo
	s_delay_alu instid0(SALU_CYCLE_1)
	s_xor_b32 s0, exec_lo, s0
	s_cbranch_execz .LBB127_81
; %bb.80:
	v_lshlrev_b16 v2, 8, v8
	v_and_b32_e32 v3, 0xff, v21
	v_lshlrev_b16 v7, 8, v7
	v_lshlrev_b16 v6, 8, v6
	v_perm_b32 v1, v1, v1, 0x3060504
                                        ; implicit-def: $vgpr8
                                        ; implicit-def: $vgpr21
	s_delay_alu instid0(VALU_DEP_4) | instskip(SKIP_2) | instid1(VALU_DEP_3)
	v_or_b32_e32 v2, v3, v2
	v_and_b32_e32 v3, 0xff, v5
	v_and_b32_e32 v5, 0xffff, v7
                                        ; implicit-def: $vgpr7
	v_lshlrev_b32_e32 v2, 16, v2
	s_delay_alu instid0(VALU_DEP_3) | instskip(NEXT) | instid1(VALU_DEP_2)
	v_or_b32_e32 v6, v3, v6
	v_or_b32_e32 v3, v5, v2
	s_delay_alu instid0(VALU_DEP_2)
	v_perm_b32 v2, v6, v4, 0x5040c00
                                        ; implicit-def: $vgpr4
                                        ; implicit-def: $vgpr5
                                        ; implicit-def: $vgpr6
.LBB127_81:
	s_and_not1_saveexec_b32 s1, s0
	s_cbranch_execz .LBB127_85
; %bb.82:
	v_add_nc_u32_e32 v2, s17, v11
	v_add_nc_u32_e32 v3, s19, v11
	s_mov_b32 s2, 0
	s_mov_b32 s3, exec_lo
	s_delay_alu instid0(VALU_DEP_2) | instskip(NEXT) | instid1(VALU_DEP_2)
	v_mul_lo_u32 v2, v2, s16
	v_mul_lo_u32 v3, v3, s18
	s_delay_alu instid0(VALU_DEP_1) | instskip(NEXT) | instid1(VALU_DEP_1)
	v_sub_nc_u32_e32 v2, v2, v3
	v_cmp_lt_u32_e32 vcc_lo, s20, v2
	v_cmpx_ge_u32_e64 s20, v2
	s_cbranch_execz .LBB127_84
; %bb.83:
	v_add_nc_u32_e32 v2, s22, v11
	v_add_nc_u32_e32 v3, s42, v11
	s_delay_alu instid0(VALU_DEP_2) | instskip(NEXT) | instid1(VALU_DEP_2)
	v_mul_lo_u32 v2, v2, s21
	v_mul_lo_u32 v3, v3, s23
	s_delay_alu instid0(VALU_DEP_1) | instskip(NEXT) | instid1(VALU_DEP_1)
	v_sub_nc_u32_e32 v2, v2, v3
	v_cmp_lt_u32_e64 s0, s43, v2
	s_and_b32 s2, s0, exec_lo
.LBB127_84:
	s_wait_alu 0xfffe
	s_or_b32 exec_lo, exec_lo, s3
	v_cndmask_b32_e64 v2, 0, 1, s2
	s_wait_alu 0xfffd
	v_cndmask_b32_e64 v3, 0, 1, vcc_lo
	v_lshlrev_b16 v8, 8, v8
	v_and_b32_e32 v21, 0xff, v21
	v_lshlrev_b16 v7, 8, v7
	v_lshlrev_b16 v2, 8, v2
	v_and_b32_e32 v4, 0xff, v4
	v_lshlrev_b16 v6, 8, v6
	v_and_b32_e32 v5, 0xff, v5
	v_or_b32_e32 v8, v21, v8
	v_or_b32_e32 v3, v3, v7
	;; [unrolled: 1-line block ×3, first 2 shown]
	s_delay_alu instid0(VALU_DEP_4) | instskip(NEXT) | instid1(VALU_DEP_4)
	v_or_b32_e32 v4, v5, v6
	v_lshlrev_b32_e32 v5, 16, v8
	s_delay_alu instid0(VALU_DEP_4) | instskip(NEXT) | instid1(VALU_DEP_4)
	v_and_b32_e32 v3, 0xffff, v3
	v_and_b32_e32 v2, 0xffff, v2
	s_delay_alu instid0(VALU_DEP_4) | instskip(NEXT) | instid1(VALU_DEP_3)
	v_lshlrev_b32_e32 v4, 16, v4
	v_or_b32_e32 v3, v3, v5
	s_delay_alu instid0(VALU_DEP_2)
	v_or_b32_e32 v2, v2, v4
.LBB127_85:
	s_or_b32 exec_lo, exec_lo, s1
	v_add_nc_u32_e32 v4, 9, v41
	s_delay_alu instid0(VALU_DEP_2)
	v_lshrrev_b32_e32 v6, 8, v2
	v_lshrrev_b32_e32 v21, 24, v3
	v_lshrrev_b32_e32 v8, 16, v3
	v_and_b32_e32 v7, 0xff, v2
	v_cmp_le_u32_e32 vcc_lo, s33, v4
                                        ; implicit-def: $vgpr4
                                        ; implicit-def: $vgpr5
	s_and_saveexec_b32 s0, vcc_lo
	s_delay_alu instid0(SALU_CYCLE_1)
	s_xor_b32 s0, exec_lo, s0
	s_cbranch_execz .LBB127_87
; %bb.86:
	v_lshlrev_b16 v4, 8, v6
	v_lshlrev_b16 v5, 8, v21
	v_and_b32_e32 v6, 0xff, v8
	v_perm_b32 v1, v1, v1, 0x3060504
                                        ; implicit-def: $vgpr21
                                        ; implicit-def: $vgpr8
	s_delay_alu instid0(VALU_DEP_4) | instskip(NEXT) | instid1(VALU_DEP_3)
	v_or_b32_e32 v4, v7, v4
                                        ; implicit-def: $vgpr7
	v_or_b32_e32 v5, v6, v5
                                        ; implicit-def: $vgpr6
	s_delay_alu instid0(VALU_DEP_2) | instskip(NEXT) | instid1(VALU_DEP_2)
	v_and_b32_e32 v4, 0xffff, v4
	v_perm_b32 v5, v5, v3, 0x5040c00
                                        ; implicit-def: $vgpr3
	s_delay_alu instid0(VALU_DEP_2)
	v_and_or_b32 v4, 0xff000000, v2, v4
                                        ; implicit-def: $vgpr2
.LBB127_87:
	s_and_not1_saveexec_b32 s1, s0
	s_cbranch_execz .LBB127_91
; %bb.88:
	v_add_nc_u32_e32 v4, s17, v12
	v_add_nc_u32_e32 v5, s19, v12
	s_mov_b32 s2, 0
	s_mov_b32 s3, exec_lo
	s_delay_alu instid0(VALU_DEP_2) | instskip(NEXT) | instid1(VALU_DEP_2)
	v_mul_lo_u32 v4, v4, s16
	v_mul_lo_u32 v5, v5, s18
	s_delay_alu instid0(VALU_DEP_1) | instskip(NEXT) | instid1(VALU_DEP_1)
	v_sub_nc_u32_e32 v4, v4, v5
	v_cmp_lt_u32_e32 vcc_lo, s20, v4
	v_cmpx_ge_u32_e64 s20, v4
	s_cbranch_execz .LBB127_90
; %bb.89:
	v_add_nc_u32_e32 v4, s22, v12
	v_add_nc_u32_e32 v5, s42, v12
	s_delay_alu instid0(VALU_DEP_2) | instskip(NEXT) | instid1(VALU_DEP_2)
	v_mul_lo_u32 v4, v4, s21
	v_mul_lo_u32 v5, v5, s23
	s_delay_alu instid0(VALU_DEP_1) | instskip(NEXT) | instid1(VALU_DEP_1)
	v_sub_nc_u32_e32 v4, v4, v5
	v_cmp_lt_u32_e64 s0, s43, v4
	s_and_b32 s2, s0, exec_lo
.LBB127_90:
	s_wait_alu 0xfffe
	s_or_b32 exec_lo, exec_lo, s3
	s_wait_alu 0xfffd
	v_cndmask_b32_e64 v4, 0, 1, vcc_lo
	v_lshrrev_b32_e32 v2, 24, v2
	v_cndmask_b32_e64 v5, 0, 1, s2
	v_lshlrev_b16 v21, 8, v21
	v_and_b32_e32 v8, 0xff, v8
	v_lshlrev_b16 v4, 8, v4
	v_lshlrev_b16 v6, 8, v6
	v_and_b32_e32 v3, 0xff, v3
	v_lshlrev_b16 v2, 8, v2
	v_or_b32_e32 v8, v8, v21
	s_delay_alu instid0(VALU_DEP_4) | instskip(NEXT) | instid1(VALU_DEP_4)
	v_or_b32_e32 v6, v7, v6
	v_or_b32_e32 v3, v3, v4
	s_delay_alu instid0(VALU_DEP_4) | instskip(NEXT) | instid1(VALU_DEP_4)
	v_or_b32_e32 v2, v5, v2
	v_lshlrev_b32_e32 v4, 16, v8
	s_delay_alu instid0(VALU_DEP_4) | instskip(NEXT) | instid1(VALU_DEP_4)
	v_and_b32_e32 v6, 0xffff, v6
	v_and_b32_e32 v3, 0xffff, v3
	s_delay_alu instid0(VALU_DEP_4) | instskip(NEXT) | instid1(VALU_DEP_2)
	v_lshlrev_b32_e32 v2, 16, v2
	v_or_b32_e32 v5, v3, v4
	s_delay_alu instid0(VALU_DEP_2)
	v_or_b32_e32 v4, v6, v2
.LBB127_91:
	s_or_b32 exec_lo, exec_lo, s1
	v_add_nc_u32_e32 v2, 10, v41
	s_delay_alu instid0(VALU_DEP_3) | instskip(SKIP_1) | instid1(VALU_DEP_3)
	v_and_b32_e32 v3, 0xff, v5
	v_lshrrev_b32_e32 v6, 8, v5
                                        ; implicit-def: $vgpr46
	v_cmp_le_u32_e32 vcc_lo, s33, v2
                                        ; implicit-def: $vgpr2
	s_and_saveexec_b32 s0, vcc_lo
	s_delay_alu instid0(SALU_CYCLE_1)
	s_xor_b32 s0, exec_lo, s0
	s_cbranch_execz .LBB127_93
; %bb.92:
	v_lshlrev_b16 v2, 8, v6
	v_perm_b32 v1, v1, v1, 0x3060504
                                        ; implicit-def: $vgpr6
	s_delay_alu instid0(VALU_DEP_2) | instskip(SKIP_1) | instid1(VALU_DEP_2)
	v_or_b32_e32 v2, v3, v2
	v_and_b32_e32 v3, 0xff0000, v4
	v_and_b32_e32 v2, 0xffff, v2
	s_delay_alu instid0(VALU_DEP_2) | instskip(NEXT) | instid1(VALU_DEP_2)
	v_perm_b32 v46, v4, v3, 0x3020504
                                        ; implicit-def: $vgpr3
                                        ; implicit-def: $vgpr4
	v_and_or_b32 v2, 0xff000000, v5, v2
                                        ; implicit-def: $vgpr5
.LBB127_93:
	s_and_not1_saveexec_b32 s1, s0
	s_cbranch_execz .LBB127_97
; %bb.94:
	v_add_nc_u32_e32 v2, s17, v9
	v_add_nc_u32_e32 v7, s19, v9
	s_mov_b32 s2, 0
	s_mov_b32 s3, exec_lo
	s_delay_alu instid0(VALU_DEP_2) | instskip(NEXT) | instid1(VALU_DEP_2)
	v_mul_lo_u32 v2, v2, s16
	v_mul_lo_u32 v7, v7, s18
	s_delay_alu instid0(VALU_DEP_1) | instskip(NEXT) | instid1(VALU_DEP_1)
	v_sub_nc_u32_e32 v2, v2, v7
	v_cmp_lt_u32_e32 vcc_lo, s20, v2
	v_cmpx_ge_u32_e64 s20, v2
	s_cbranch_execz .LBB127_96
; %bb.95:
	v_add_nc_u32_e32 v2, s22, v9
	v_add_nc_u32_e32 v7, s42, v9
	s_delay_alu instid0(VALU_DEP_2) | instskip(NEXT) | instid1(VALU_DEP_2)
	v_mul_lo_u32 v2, v2, s21
	v_mul_lo_u32 v7, v7, s23
	s_delay_alu instid0(VALU_DEP_1) | instskip(NEXT) | instid1(VALU_DEP_1)
	v_sub_nc_u32_e32 v2, v2, v7
	v_cmp_lt_u32_e64 s0, s43, v2
	s_and_b32 s2, s0, exec_lo
.LBB127_96:
	s_wait_alu 0xfffe
	s_or_b32 exec_lo, exec_lo, s3
	v_lshrrev_b32_e32 v5, 24, v5
	v_cndmask_b32_e64 v7, 0, 1, s2
	v_lshrrev_b32_e32 v8, 8, v4
	v_lshrrev_b32_e32 v21, 16, v4
	s_wait_alu 0xfffd
	v_cndmask_b32_e64 v2, 0, 1, vcc_lo
	v_lshlrev_b16 v6, 8, v6
	v_lshlrev_b16 v5, 8, v5
	v_and_b32_e32 v4, 0xff, v4
	v_lshlrev_b16 v8, 8, v8
	v_lshlrev_b16 v7, 8, v7
	v_and_b32_e32 v21, 0xff, v21
	v_or_b32_e32 v3, v3, v6
	v_or_b32_e32 v2, v2, v5
	;; [unrolled: 1-line block ×3, first 2 shown]
	s_delay_alu instid0(VALU_DEP_4) | instskip(NEXT) | instid1(VALU_DEP_4)
	v_or_b32_e32 v5, v21, v7
	v_and_b32_e32 v3, 0xffff, v3
	s_delay_alu instid0(VALU_DEP_4) | instskip(NEXT) | instid1(VALU_DEP_4)
	v_lshlrev_b32_e32 v2, 16, v2
	v_and_b32_e32 v4, 0xffff, v4
	s_delay_alu instid0(VALU_DEP_4) | instskip(NEXT) | instid1(VALU_DEP_3)
	v_lshlrev_b32_e32 v5, 16, v5
	v_or_b32_e32 v2, v3, v2
	s_delay_alu instid0(VALU_DEP_2)
	v_or_b32_e32 v46, v4, v5
.LBB127_97:
	s_or_b32 exec_lo, exec_lo, s1
	v_add_nc_u32_e32 v3, 11, v41
	v_mov_b32_e32 v45, 0
	s_mov_b32 s0, exec_lo
                                        ; implicit-def: $vgpr47
	s_delay_alu instid0(VALU_DEP_2)
	v_cmpx_le_u32_e64 s33, v3
	s_xor_b32 s0, exec_lo, s0
; %bb.98:
	v_and_b32_e32 v3, 0xff0000, v2
	v_perm_b32 v1, v1, v1, 0x3060504
	s_delay_alu instid0(VALU_DEP_2)
	v_perm_b32 v47, v2, v3, 0x3020504
                                        ; implicit-def: $vgpr2
; %bb.99:
	s_and_not1_saveexec_b32 s1, s0
	s_cbranch_execz .LBB127_103
; %bb.100:
	v_add_nc_u32_e32 v3, s17, v10
	v_add_nc_u32_e32 v4, s19, v10
	s_mov_b32 s2, 0
	s_mov_b32 s3, exec_lo
	s_delay_alu instid0(VALU_DEP_2) | instskip(NEXT) | instid1(VALU_DEP_2)
	v_mul_lo_u32 v3, v3, s16
	v_mul_lo_u32 v4, v4, s18
	s_delay_alu instid0(VALU_DEP_1) | instskip(NEXT) | instid1(VALU_DEP_1)
	v_sub_nc_u32_e32 v3, v3, v4
	v_cmp_lt_u32_e32 vcc_lo, s20, v3
	v_cmpx_ge_u32_e64 s20, v3
	s_cbranch_execz .LBB127_102
; %bb.101:
	v_add_nc_u32_e32 v3, s22, v10
	v_add_nc_u32_e32 v4, s42, v10
	s_delay_alu instid0(VALU_DEP_2) | instskip(NEXT) | instid1(VALU_DEP_2)
	v_mul_lo_u32 v3, v3, s21
	v_mul_lo_u32 v4, v4, s23
	s_delay_alu instid0(VALU_DEP_1) | instskip(NEXT) | instid1(VALU_DEP_1)
	v_sub_nc_u32_e32 v3, v3, v4
	v_cmp_lt_u32_e64 s0, s43, v3
	s_and_b32 s2, s0, exec_lo
.LBB127_102:
	s_wait_alu 0xfffe
	s_or_b32 exec_lo, exec_lo, s3
	v_lshrrev_b32_e32 v3, 8, v2
	s_wait_alu 0xfffd
	v_cndmask_b32_e64 v4, 0, 1, vcc_lo
	v_lshrrev_b32_e32 v5, 16, v2
	v_and_b32_e32 v2, 0xff, v2
	v_cndmask_b32_e64 v45, 0, 1, s2
	v_lshlrev_b16 v3, 8, v3
	v_lshlrev_b16 v4, 8, v4
	v_and_b32_e32 v5, 0xff, v5
	s_delay_alu instid0(VALU_DEP_3) | instskip(NEXT) | instid1(VALU_DEP_2)
	v_or_b32_e32 v2, v2, v3
	v_or_b32_e32 v3, v5, v4
	s_delay_alu instid0(VALU_DEP_2) | instskip(NEXT) | instid1(VALU_DEP_2)
	v_and_b32_e32 v2, 0xffff, v2
	v_lshlrev_b32_e32 v3, 16, v3
	s_delay_alu instid0(VALU_DEP_1)
	v_or_b32_e32 v47, v2, v3
.LBB127_103:
	s_or_b32 exec_lo, exec_lo, s1
	v_add_nc_u32_e32 v4, 12, v41
	v_lshrrev_b32_e32 v2, 8, v1
	v_lshrrev_b32_e32 v3, 16, v1
	;; [unrolled: 1-line block ×3, first 2 shown]
	s_mov_b32 s0, exec_lo
                                        ; implicit-def: $vgpr49
	v_cmpx_le_u32_e64 s33, v4
	s_xor_b32 s0, exec_lo, s0
	s_cbranch_execz .LBB127_105
; %bb.104:
	v_lshlrev_b16 v1, 8, v1
	v_and_b32_e32 v3, 0xff, v3
	v_lshlrev_b16 v2, 8, v2
	s_delay_alu instid0(VALU_DEP_2) | instskip(NEXT) | instid1(VALU_DEP_2)
	v_or_b32_e32 v1, v3, v1
	v_and_b32_e32 v2, 0xffff, v2
                                        ; implicit-def: $vgpr3
	s_delay_alu instid0(VALU_DEP_2) | instskip(NEXT) | instid1(VALU_DEP_1)
	v_lshlrev_b32_e32 v1, 16, v1
	v_or_b32_e32 v49, v2, v1
                                        ; implicit-def: $vgpr1
                                        ; implicit-def: $vgpr2
.LBB127_105:
	s_or_saveexec_b32 s1, s0
	v_mov_b32_e32 v48, 0
	s_xor_b32 exec_lo, exec_lo, s1
	s_cbranch_execz .LBB127_109
; %bb.106:
	v_add_nc_u32_e32 v4, s17, v40
	v_add_nc_u32_e32 v5, s19, v40
	s_mov_b32 s2, 0
	s_mov_b32 s3, exec_lo
	s_delay_alu instid0(VALU_DEP_2) | instskip(NEXT) | instid1(VALU_DEP_2)
	v_mul_lo_u32 v4, v4, s16
	v_mul_lo_u32 v5, v5, s18
	s_delay_alu instid0(VALU_DEP_1) | instskip(NEXT) | instid1(VALU_DEP_1)
	v_sub_nc_u32_e32 v4, v4, v5
	v_cmp_lt_u32_e32 vcc_lo, s20, v4
	v_cmpx_ge_u32_e64 s20, v4
	s_cbranch_execz .LBB127_108
; %bb.107:
	v_add_nc_u32_e32 v4, s22, v40
	v_add_nc_u32_e32 v5, s42, v40
	s_delay_alu instid0(VALU_DEP_2) | instskip(NEXT) | instid1(VALU_DEP_2)
	v_mul_lo_u32 v4, v4, s21
	v_mul_lo_u32 v5, v5, s23
	s_delay_alu instid0(VALU_DEP_1) | instskip(NEXT) | instid1(VALU_DEP_1)
	v_sub_nc_u32_e32 v4, v4, v5
	v_cmp_lt_u32_e64 s0, s43, v4
	s_and_b32 s2, s0, exec_lo
.LBB127_108:
	s_wait_alu 0xfffe
	s_or_b32 exec_lo, exec_lo, s3
	s_wait_alu 0xfffd
	v_cndmask_b32_e64 v4, 0, 1, vcc_lo
	v_lshlrev_b16 v1, 8, v1
	v_and_b32_e32 v3, 0xff, v3
	v_lshlrev_b16 v2, 8, v2
	v_cndmask_b32_e64 v48, 0, 1, s2
	s_delay_alu instid0(VALU_DEP_3) | instskip(NEXT) | instid1(VALU_DEP_3)
	v_or_b32_e32 v1, v3, v1
	v_or_b32_e32 v2, v4, v2
	s_delay_alu instid0(VALU_DEP_2) | instskip(NEXT) | instid1(VALU_DEP_2)
	v_lshlrev_b32_e32 v1, 16, v1
	v_and_b32_e32 v2, 0xffff, v2
	s_delay_alu instid0(VALU_DEP_1)
	v_or_b32_e32 v49, v2, v1
.LBB127_109:
	s_or_b32 exec_lo, exec_lo, s1
.LBB127_110:
	v_and_b32_e32 v72, 0xff, v42
	s_delay_alu instid0(VALU_DEP_2)
	v_bfe_u32 v73, v49, 8, 8
	v_bfe_u32 v70, v42, 8, 8
	;; [unrolled: 1-line block ×4, first 2 shown]
	v_lshrrev_b32_e32 v55, 24, v49
	v_lshrrev_b32_e32 v54, 24, v42
	v_and_b32_e32 v68, 0xff, v43
	v_and_b32_e32 v66, 0xff, v44
	v_bfe_u32 v67, v43, 8, 8
	v_add3_u32 v1, v70, v72, v69
	v_add3_u32 v2, v71, v73, v55
	v_bfe_u32 v64, v44, 8, 8
	v_bfe_u32 v65, v43, 16, 8
	;; [unrolled: 1-line block ×3, first 2 shown]
	v_lshrrev_b32_e32 v53, 24, v43
	v_add3_u32 v1, v1, v54, v66
	v_add3_u32 v2, v2, v68, v67
	v_lshrrev_b32_e32 v52, 24, v44
	v_and_b32_e32 v63, 0xff, v46
	v_and_b32_e32 v61, 0xff, v47
	v_bfe_u32 v62, v46, 8, 8
	v_add3_u32 v1, v1, v64, v59
	v_add3_u32 v2, v2, v65, v53
	v_bfe_u32 v58, v47, 8, 8
	v_bfe_u32 v60, v46, 16, 8
	;; [unrolled: 1-line block ×3, first 2 shown]
	v_lshrrev_b32_e32 v51, 24, v46
	v_add3_u32 v1, v1, v52, v61
	v_add3_u32 v2, v2, v63, v62
	v_mbcnt_lo_u32_b32 v74, -1, 0
	v_lshrrev_b32_e32 v50, 24, v47
	v_and_b32_e32 v57, 0xff, v45
	v_and_b32_e32 v3, 0xff, v49
	;; [unrolled: 1-line block ×3, first 2 shown]
	v_add3_u32 v1, v1, v58, v56
	v_add3_u32 v2, v2, v60, v51
	v_and_b32_e32 v76, 15, v74
	v_and_b32_e32 v78, 16, v74
	v_lshrrev_b32_e32 v75, 5, v0
	v_add3_u32 v79, v1, v50, v3
	v_add3_u32 v80, v2, v57, v4
	v_cmp_eq_u32_e64 s1, 0, v76
	v_cmp_lt_u32_e64 s0, 1, v76
	v_cmp_lt_u32_e64 s2, 3, v76
	v_or_b32_e32 v77, 31, v0
	s_cmp_lg_u32 ttmp9, 0
	s_mov_b32 s3, -1
	v_cmp_lt_u32_e32 vcc_lo, 7, v76
	s_cbranch_scc0 .LBB127_131
; %bb.111:
	v_mov_b32_dpp v2, v79 row_shr:1 row_mask:0xf bank_mask:0xf
	v_mov_b32_dpp v1, v80 row_shr:1 row_mask:0xf bank_mask:0xf
	s_mov_b32 s3, exec_lo
	s_delay_alu instid0(VALU_DEP_2) | instskip(NEXT) | instid1(VALU_DEP_2)
	v_add_nc_u32_e32 v2, v2, v79
	v_add_nc_u32_e32 v1, v1, v80
	s_delay_alu instid0(VALU_DEP_2) | instskip(NEXT) | instid1(VALU_DEP_2)
	v_cndmask_b32_e64 v2, v2, v79, s1
	v_cndmask_b32_e64 v1, v1, v80, s1
	s_delay_alu instid0(VALU_DEP_2) | instskip(NEXT) | instid1(VALU_DEP_2)
	v_mov_b32_dpp v4, v2 row_shr:2 row_mask:0xf bank_mask:0xf
	v_mov_b32_dpp v3, v1 row_shr:2 row_mask:0xf bank_mask:0xf
	s_delay_alu instid0(VALU_DEP_2) | instskip(NEXT) | instid1(VALU_DEP_1)
	v_add_nc_u32_e32 v4, v2, v4
	v_cndmask_b32_e64 v2, v2, v4, s0
	s_delay_alu instid0(VALU_DEP_1) | instskip(NEXT) | instid1(VALU_DEP_1)
	v_mov_b32_dpp v4, v2 row_shr:4 row_mask:0xf bank_mask:0xf
	v_add_nc_u32_e32 v4, v2, v4
	s_wait_alu 0xf1ff
	s_delay_alu instid0(VALU_DEP_1) | instskip(NEXT) | instid1(VALU_DEP_1)
	v_cndmask_b32_e64 v2, v2, v4, s2
	v_mov_b32_dpp v4, v2 row_shr:8 row_mask:0xf bank_mask:0xf
	s_delay_alu instid0(VALU_DEP_1) | instskip(SKIP_1) | instid1(VALU_DEP_1)
	v_add_nc_u32_e32 v4, v2, v4
	s_wait_alu 0xfffd
	v_dual_cndmask_b32 v2, v2, v4 :: v_dual_add_nc_u32 v3, v1, v3
	s_delay_alu instid0(VALU_DEP_1) | instskip(SKIP_2) | instid1(VALU_DEP_1)
	v_cndmask_b32_e64 v1, v1, v3, s0
	ds_swizzle_b32 v4, v2 offset:swizzle(BROADCAST,32,15)
	v_mov_b32_dpp v3, v1 row_shr:4 row_mask:0xf bank_mask:0xf
	v_add_nc_u32_e32 v3, v1, v3
	s_delay_alu instid0(VALU_DEP_1) | instskip(NEXT) | instid1(VALU_DEP_1)
	v_cndmask_b32_e64 v1, v1, v3, s2
	v_mov_b32_dpp v3, v1 row_shr:8 row_mask:0xf bank_mask:0xf
	s_wait_dscnt 0x0
	v_add_nc_u32_e32 v4, v2, v4
	s_delay_alu instid0(VALU_DEP_2) | instskip(NEXT) | instid1(VALU_DEP_1)
	v_add_nc_u32_e32 v3, v1, v3
	v_cndmask_b32_e32 v1, v1, v3, vcc_lo
	v_cmp_eq_u32_e32 vcc_lo, 0, v78
	ds_swizzle_b32 v3, v1 offset:swizzle(BROADCAST,32,15)
	s_wait_dscnt 0x0
	v_add_nc_u32_e32 v3, v1, v3
	v_cmpx_eq_u32_e64 v0, v77
; %bb.112:
	s_wait_alu 0xfffd
	s_delay_alu instid0(VALU_DEP_2)
	v_dual_cndmask_b32 v6, v3, v1 :: v_dual_lshlrev_b32 v7, 3, v75
	v_cndmask_b32_e32 v5, v4, v2, vcc_lo
	ds_store_b64 v7, v[5:6]
; %bb.113:
	s_wait_alu 0xfffe
	s_or_b32 exec_lo, exec_lo, s3
	s_delay_alu instid0(SALU_CYCLE_1)
	s_mov_b32 s3, exec_lo
	s_wait_loadcnt_dscnt 0x0
	s_barrier_signal -1
	s_barrier_wait -1
	global_inv scope:SCOPE_SE
	v_cmpx_gt_u32_e32 8, v0
	s_cbranch_execz .LBB127_115
; %bb.114:
	v_lshlrev_b32_e32 v7, 3, v0
	v_and_b32_e32 v22, 7, v74
	ds_load_b64 v[5:6], v7
	v_cmp_eq_u32_e64 s2, 0, v22
	s_wait_dscnt 0x0
	v_mov_b32_dpp v8, v5 row_shr:1 row_mask:0xf bank_mask:0xf
	v_mov_b32_dpp v21, v6 row_shr:1 row_mask:0xf bank_mask:0xf
	s_delay_alu instid0(VALU_DEP_2) | instskip(NEXT) | instid1(VALU_DEP_2)
	v_add_nc_u32_e32 v8, v8, v5
	v_add_nc_u32_e32 v21, v21, v6
	s_wait_alu 0xf1ff
	s_delay_alu instid0(VALU_DEP_2) | instskip(NEXT) | instid1(VALU_DEP_2)
	v_cndmask_b32_e64 v5, v8, v5, s2
	v_cndmask_b32_e64 v6, v21, v6, s2
	v_cmp_lt_u32_e64 s2, 1, v22
	s_delay_alu instid0(VALU_DEP_3) | instskip(NEXT) | instid1(VALU_DEP_3)
	v_mov_b32_dpp v8, v5 row_shr:2 row_mask:0xf bank_mask:0xf
	v_mov_b32_dpp v21, v6 row_shr:2 row_mask:0xf bank_mask:0xf
	s_delay_alu instid0(VALU_DEP_2) | instskip(NEXT) | instid1(VALU_DEP_2)
	v_add_nc_u32_e32 v8, v5, v8
	v_add_nc_u32_e32 v21, v6, v21
	s_wait_alu 0xf1ff
	s_delay_alu instid0(VALU_DEP_2) | instskip(NEXT) | instid1(VALU_DEP_2)
	v_cndmask_b32_e64 v5, v5, v8, s2
	v_cndmask_b32_e64 v6, v6, v21, s2
	v_cmp_lt_u32_e64 s2, 3, v22
	s_delay_alu instid0(VALU_DEP_3) | instskip(NEXT) | instid1(VALU_DEP_3)
	v_mov_b32_dpp v8, v5 row_shr:4 row_mask:0xf bank_mask:0xf
	v_mov_b32_dpp v21, v6 row_shr:4 row_mask:0xf bank_mask:0xf
	s_wait_alu 0xf1ff
	s_delay_alu instid0(VALU_DEP_2) | instskip(NEXT) | instid1(VALU_DEP_2)
	v_cndmask_b32_e64 v8, 0, v8, s2
	v_cndmask_b32_e64 v21, 0, v21, s2
	s_delay_alu instid0(VALU_DEP_2) | instskip(NEXT) | instid1(VALU_DEP_2)
	v_add_nc_u32_e32 v5, v8, v5
	v_add_nc_u32_e32 v6, v21, v6
	ds_store_b64 v7, v[5:6]
.LBB127_115:
	s_wait_alu 0xfffe
	s_or_b32 exec_lo, exec_lo, s3
	v_dual_cndmask_b32 v1, v3, v1 :: v_dual_cndmask_b32 v2, v4, v2
	s_mov_b32 s3, exec_lo
	v_cmp_gt_u32_e32 vcc_lo, 32, v0
	s_wait_loadcnt_dscnt 0x0
	s_barrier_signal -1
	s_barrier_wait -1
	global_inv scope:SCOPE_SE
                                        ; implicit-def: $vgpr21
	v_cmpx_lt_u32_e32 31, v0
	s_cbranch_execz .LBB127_117
; %bb.116:
	v_lshl_add_u32 v3, v75, 3, -8
	ds_load_b64 v[21:22], v3
	s_wait_dscnt 0x0
	v_add_nc_u32_e32 v1, v22, v1
	v_add_nc_u32_e32 v2, v21, v2
.LBB127_117:
	s_wait_alu 0xfffe
	s_or_b32 exec_lo, exec_lo, s3
	v_sub_co_u32 v3, s2, v74, 1
	s_delay_alu instid0(VALU_DEP_1) | instskip(SKIP_1) | instid1(VALU_DEP_1)
	v_cmp_gt_i32_e64 s3, 0, v3
	s_wait_alu 0xf1ff
	v_cndmask_b32_e64 v3, v3, v74, s3
	s_delay_alu instid0(VALU_DEP_1)
	v_lshlrev_b32_e32 v3, 2, v3
	ds_bpermute_b32 v81, v3, v2
	ds_bpermute_b32 v82, v3, v1
	s_and_saveexec_b32 s3, vcc_lo
	s_cbranch_execz .LBB127_136
; %bb.118:
	v_mov_b32_e32 v4, 0
	ds_load_b64 v[1:2], v4 offset:56
	s_and_saveexec_b32 s6, s2
	s_cbranch_execz .LBB127_120
; %bb.119:
	s_add_co_i32 s8, ttmp9, 32
	s_mov_b32 s9, 0
	s_wait_alu 0xfffe
	s_lshl_b64 s[8:9], s[8:9], 4
	s_wait_kmcnt 0x0
	s_wait_alu 0xfffe
	s_add_nc_u64 s[8:9], s[4:5], s[8:9]
	v_mov_b32_e32 v3, 1
	s_wait_alu 0xfffe
	v_dual_mov_b32 v5, s8 :: v_dual_mov_b32 v6, s9
	s_wait_dscnt 0x0
	;;#ASMSTART
	global_store_b128 v[5:6], v[1:4] off scope:SCOPE_DEV	
s_wait_storecnt 0x0
	;;#ASMEND
.LBB127_120:
	s_wait_alu 0xfffe
	s_or_b32 exec_lo, exec_lo, s6
	v_xad_u32 v23, v74, -1, ttmp9
	s_mov_b32 s7, 0
	s_mov_b32 s6, exec_lo
	s_delay_alu instid0(VALU_DEP_1) | instskip(NEXT) | instid1(VALU_DEP_1)
	v_add_nc_u32_e32 v3, 32, v23
	v_lshlrev_b64_e32 v[3:4], 4, v[3:4]
	s_wait_kmcnt 0x0
	s_delay_alu instid0(VALU_DEP_1) | instskip(SKIP_1) | instid1(VALU_DEP_2)
	v_add_co_u32 v3, vcc_lo, s4, v3
	s_wait_alu 0xfffd
	v_add_co_ci_u32_e64 v4, null, s5, v4, vcc_lo
	;;#ASMSTART
	global_load_b128 v[5:8], v[3:4] off scope:SCOPE_DEV	
s_wait_loadcnt 0x0
	;;#ASMEND
	v_and_b32_e32 v8, 0xff, v7
	s_delay_alu instid0(VALU_DEP_1)
	v_cmpx_eq_u16_e32 0, v8
	s_cbranch_execz .LBB127_123
.LBB127_121:                            ; =>This Inner Loop Header: Depth=1
	;;#ASMSTART
	global_load_b128 v[5:8], v[3:4] off scope:SCOPE_DEV	
s_wait_loadcnt 0x0
	;;#ASMEND
	v_and_b32_e32 v8, 0xff, v7
	s_delay_alu instid0(VALU_DEP_1)
	v_cmp_ne_u16_e32 vcc_lo, 0, v8
	s_wait_alu 0xfffe
	s_or_b32 s7, vcc_lo, s7
	s_wait_alu 0xfffe
	s_and_not1_b32 exec_lo, exec_lo, s7
	s_cbranch_execnz .LBB127_121
; %bb.122:
	s_or_b32 exec_lo, exec_lo, s7
.LBB127_123:
	s_wait_alu 0xfffe
	s_or_b32 exec_lo, exec_lo, s6
	v_cmp_ne_u32_e32 vcc_lo, 31, v74
	v_lshlrev_b32_e64 v84, v74, -1
	v_add_nc_u32_e32 v86, 2, v74
	v_add_nc_u32_e32 v88, 4, v74
	;; [unrolled: 1-line block ×3, first 2 shown]
	s_wait_alu 0xfffd
	v_add_co_ci_u32_e64 v3, null, 0, v74, vcc_lo
	v_lshl_or_b32 v91, v74, 2, 64
	v_add_nc_u32_e32 v92, 16, v74
	s_delay_alu instid0(VALU_DEP_3)
	v_lshlrev_b32_e32 v83, 2, v3
	v_and_b32_e32 v3, 0xff, v7
	ds_bpermute_b32 v4, v83, v6
	v_cmp_eq_u16_e32 vcc_lo, 2, v3
	s_wait_alu 0xfffd
	v_and_b32_e32 v8, vcc_lo, v84
	v_cmp_gt_u32_e32 vcc_lo, 30, v74
	s_delay_alu instid0(VALU_DEP_2) | instskip(SKIP_2) | instid1(VALU_DEP_2)
	v_or_b32_e32 v8, 0x80000000, v8
	s_wait_alu 0xfffd
	v_cndmask_b32_e64 v24, 0, 2, vcc_lo
	v_ctz_i32_b32_e32 v8, v8
	s_delay_alu instid0(VALU_DEP_2) | instskip(SKIP_2) | instid1(VALU_DEP_3)
	v_add_lshl_u32 v85, v24, v74, 2
	s_wait_dscnt 0x0
	v_add_nc_u32_e32 v4, v4, v6
	v_cmp_lt_u32_e32 vcc_lo, v74, v8
	s_wait_alu 0xfffd
	s_delay_alu instid0(VALU_DEP_2) | instskip(SKIP_3) | instid1(VALU_DEP_1)
	v_cndmask_b32_e32 v4, v6, v4, vcc_lo
	ds_bpermute_b32 v3, v83, v5
	s_wait_dscnt 0x0
	v_add_nc_u32_e32 v3, v3, v5
	v_cndmask_b32_e32 v3, v5, v3, vcc_lo
	ds_bpermute_b32 v5, v85, v4
	v_cmp_gt_u32_e32 vcc_lo, 28, v74
	ds_bpermute_b32 v6, v85, v3
	s_wait_alu 0xfffd
	v_cndmask_b32_e64 v24, 0, 4, vcc_lo
	v_cmp_gt_u32_e32 vcc_lo, v86, v8
	s_delay_alu instid0(VALU_DEP_2)
	v_add_lshl_u32 v87, v24, v74, 2
	s_wait_dscnt 0x1
	v_add_nc_u32_e32 v5, v4, v5
	s_wait_dscnt 0x0
	v_add_nc_u32_e32 v6, v3, v6
	s_wait_alu 0xfffd
	s_delay_alu instid0(VALU_DEP_1)
	v_dual_cndmask_b32 v4, v5, v4 :: v_dual_cndmask_b32 v3, v6, v3
	ds_bpermute_b32 v5, v87, v4
	v_cmp_gt_u32_e32 vcc_lo, 24, v74
	ds_bpermute_b32 v6, v87, v3
	s_wait_alu 0xfffd
	v_cndmask_b32_e64 v24, 0, 8, vcc_lo
	v_cmp_gt_u32_e32 vcc_lo, v88, v8
	s_delay_alu instid0(VALU_DEP_2)
	v_add_lshl_u32 v89, v24, v74, 2
	s_wait_dscnt 0x1
	v_dual_mov_b32 v24, 0 :: v_dual_add_nc_u32 v5, v4, v5
	s_wait_dscnt 0x0
	v_add_nc_u32_e32 v6, v3, v6
	s_wait_alu 0xfffd
	s_delay_alu instid0(VALU_DEP_1)
	v_dual_cndmask_b32 v4, v5, v4 :: v_dual_cndmask_b32 v3, v6, v3
	ds_bpermute_b32 v5, v89, v4
	v_cmp_gt_u32_e32 vcc_lo, v90, v8
	ds_bpermute_b32 v6, v89, v3
	s_wait_dscnt 0x1
	v_add_nc_u32_e32 v5, v4, v5
	s_wait_dscnt 0x0
	v_add_nc_u32_e32 v6, v3, v6
	s_wait_alu 0xfffd
	s_delay_alu instid0(VALU_DEP_1)
	v_dual_cndmask_b32 v4, v5, v4 :: v_dual_cndmask_b32 v3, v6, v3
	ds_bpermute_b32 v6, v91, v4
	v_cmp_le_u32_e32 vcc_lo, v92, v8
	ds_bpermute_b32 v5, v91, v3
	s_wait_dscnt 0x0
	s_wait_alu 0xfffd
	v_dual_cndmask_b32 v6, 0, v6 :: v_dual_cndmask_b32 v5, 0, v5
	s_delay_alu instid0(VALU_DEP_1) | instskip(NEXT) | instid1(VALU_DEP_2)
	v_add_nc_u32_e32 v6, v6, v4
	v_add_nc_u32_e32 v5, v5, v3
	s_branch .LBB127_127
.LBB127_124:                            ;   in Loop: Header=BB127_127 Depth=1
	s_or_b32 exec_lo, exec_lo, s7
.LBB127_125:                            ;   in Loop: Header=BB127_127 Depth=1
	s_wait_alu 0xfffe
	s_or_b32 exec_lo, exec_lo, s6
	ds_bpermute_b32 v8, v83, v5
	ds_bpermute_b32 v25, v83, v6
	v_subrev_nc_u32_e32 v23, 32, v23
	s_mov_b32 s6, 0
	s_wait_dscnt 0x1
	v_add_nc_u32_e32 v8, v8, v5
	v_and_b32_e32 v26, 0xff, v7
	s_wait_dscnt 0x0
	v_add_nc_u32_e32 v25, v25, v6
	s_delay_alu instid0(VALU_DEP_2) | instskip(SKIP_2) | instid1(VALU_DEP_1)
	v_cmp_eq_u16_e32 vcc_lo, 2, v26
	s_wait_alu 0xfffd
	v_and_or_b32 v26, vcc_lo, v84, 0x80000000
	v_ctz_i32_b32_e32 v26, v26
	s_delay_alu instid0(VALU_DEP_1)
	v_cmp_lt_u32_e32 vcc_lo, v74, v26
	s_wait_alu 0xfffd
	v_dual_cndmask_b32 v6, v6, v25 :: v_dual_cndmask_b32 v5, v5, v8
	v_cmp_gt_u32_e32 vcc_lo, v86, v26
	ds_bpermute_b32 v25, v85, v6
	ds_bpermute_b32 v8, v85, v5
	s_wait_dscnt 0x1
	v_add_nc_u32_e32 v25, v6, v25
	s_wait_dscnt 0x0
	v_add_nc_u32_e32 v8, v5, v8
	s_wait_alu 0xfffd
	s_delay_alu instid0(VALU_DEP_1)
	v_dual_cndmask_b32 v6, v25, v6 :: v_dual_cndmask_b32 v5, v8, v5
	v_cmp_gt_u32_e32 vcc_lo, v88, v26
	ds_bpermute_b32 v25, v87, v6
	ds_bpermute_b32 v8, v87, v5
	s_wait_dscnt 0x1
	v_add_nc_u32_e32 v25, v6, v25
	s_wait_dscnt 0x0
	v_add_nc_u32_e32 v8, v5, v8
	s_wait_alu 0xfffd
	s_delay_alu instid0(VALU_DEP_1)
	;; [unrolled: 10-line block ×3, first 2 shown]
	v_dual_cndmask_b32 v6, v25, v6 :: v_dual_cndmask_b32 v5, v8, v5
	v_cmp_le_u32_e32 vcc_lo, v92, v26
	ds_bpermute_b32 v25, v91, v6
	ds_bpermute_b32 v8, v91, v5
	s_wait_dscnt 0x0
	s_wait_alu 0xfffd
	v_dual_cndmask_b32 v25, 0, v25 :: v_dual_cndmask_b32 v8, 0, v8
	s_delay_alu instid0(VALU_DEP_1) | instskip(NEXT) | instid1(VALU_DEP_2)
	v_add3_u32 v6, v6, v4, v25
	v_add3_u32 v5, v5, v3, v8
.LBB127_126:                            ;   in Loop: Header=BB127_127 Depth=1
	s_wait_alu 0xfffe
	s_and_b32 vcc_lo, exec_lo, s6
	s_wait_alu 0xfffe
	s_cbranch_vccnz .LBB127_132
.LBB127_127:                            ; =>This Loop Header: Depth=1
                                        ;     Child Loop BB127_130 Depth 2
	v_and_b32_e32 v3, 0xff, v7
	s_mov_b32 s6, -1
                                        ; implicit-def: $vgpr7
	s_delay_alu instid0(VALU_DEP_1)
	v_cmp_ne_u16_e32 vcc_lo, 2, v3
	v_dual_mov_b32 v3, v5 :: v_dual_mov_b32 v4, v6
                                        ; implicit-def: $vgpr5_vgpr6
	s_cmp_lg_u32 vcc_lo, exec_lo
	s_cbranch_scc1 .LBB127_126
; %bb.128:                              ;   in Loop: Header=BB127_127 Depth=1
	v_lshlrev_b64_e32 v[5:6], 4, v[23:24]
	s_mov_b32 s6, exec_lo
	s_delay_alu instid0(VALU_DEP_1) | instskip(SKIP_1) | instid1(VALU_DEP_2)
	v_add_co_u32 v25, vcc_lo, s4, v5
	s_wait_alu 0xfffd
	v_add_co_ci_u32_e64 v26, null, s5, v6, vcc_lo
	;;#ASMSTART
	global_load_b128 v[5:8], v[25:26] off scope:SCOPE_DEV	
s_wait_loadcnt 0x0
	;;#ASMEND
	v_and_b32_e32 v8, 0xff, v7
	s_delay_alu instid0(VALU_DEP_1)
	v_cmpx_eq_u16_e32 0, v8
	s_cbranch_execz .LBB127_125
; %bb.129:                              ;   in Loop: Header=BB127_127 Depth=1
	s_mov_b32 s7, 0
.LBB127_130:                            ;   Parent Loop BB127_127 Depth=1
                                        ; =>  This Inner Loop Header: Depth=2
	;;#ASMSTART
	global_load_b128 v[5:8], v[25:26] off scope:SCOPE_DEV	
s_wait_loadcnt 0x0
	;;#ASMEND
	v_and_b32_e32 v8, 0xff, v7
	s_delay_alu instid0(VALU_DEP_1)
	v_cmp_ne_u16_e32 vcc_lo, 0, v8
	s_wait_alu 0xfffe
	s_or_b32 s7, vcc_lo, s7
	s_wait_alu 0xfffe
	s_and_not1_b32 exec_lo, exec_lo, s7
	s_cbranch_execnz .LBB127_130
	s_branch .LBB127_124
.LBB127_131:
                                        ; implicit-def: $vgpr81
                                        ; implicit-def: $vgpr3
                                        ; implicit-def: $vgpr82
	s_wait_alu 0xfffe
	s_and_b32 vcc_lo, exec_lo, s3
	s_wait_alu 0xfffe
	s_cbranch_vccnz .LBB127_137
	s_branch .LBB127_146
.LBB127_132:
	s_and_saveexec_b32 s6, s2
	s_cbranch_execnz .LBB127_374
; %bb.133:
	s_wait_alu 0xfffe
	s_or_b32 exec_lo, exec_lo, s6
	s_and_saveexec_b32 s6, s2
	s_cbranch_execnz .LBB127_375
.LBB127_134:
	s_wait_alu 0xfffe
	s_or_b32 exec_lo, exec_lo, s6
	v_cmp_eq_u32_e32 vcc_lo, 0, v0
	s_and_b32 exec_lo, exec_lo, vcc_lo
.LBB127_135:
	v_mov_b32_e32 v1, 0
	ds_store_b64 v1, v[3:4] offset:56
.LBB127_136:
	s_wait_alu 0xfffe
	s_or_b32 exec_lo, exec_lo, s3
	s_wait_dscnt 0x0
	v_cndmask_b32_e64 v8, v82, v22, s2
	v_mov_b32_e32 v1, 0
	s_wait_loadcnt 0x0
	s_barrier_signal -1
	s_barrier_wait -1
	global_inv scope:SCOPE_SE
	ds_load_b64 v[5:6], v1 offset:56
	s_wait_loadcnt_dscnt 0x0
	s_barrier_signal -1
	s_barrier_wait -1
	global_inv scope:SCOPE_SE
	v_cndmask_b32_e64 v7, v81, v21, s2
	v_cmp_eq_u32_e32 vcc_lo, 0, v0
	v_add_nc_u32_e32 v8, v6, v8
	ds_load_b128 v[1:4], v1 offset:13312
	v_add_nc_u32_e32 v7, v5, v7
	s_wait_alu 0xfffd
	s_delay_alu instid0(VALU_DEP_1)
	v_dual_cndmask_b32 v81, v8, v6 :: v_dual_cndmask_b32 v82, v7, v5
	s_branch .LBB127_146
.LBB127_137:
	s_wait_dscnt 0x0
	v_mov_b32_dpp v2, v80 row_shr:1 row_mask:0xf bank_mask:0xf
	v_cmp_lt_u32_e32 vcc_lo, 3, v76
	v_mov_b32_dpp v1, v79 row_shr:1 row_mask:0xf bank_mask:0xf
	s_delay_alu instid0(VALU_DEP_3) | instskip(NEXT) | instid1(VALU_DEP_1)
	v_add_nc_u32_e32 v2, v2, v80
	v_cndmask_b32_e64 v2, v2, v80, s1
	s_delay_alu instid0(VALU_DEP_1) | instskip(NEXT) | instid1(VALU_DEP_1)
	v_mov_b32_dpp v4, v2 row_shr:2 row_mask:0xf bank_mask:0xf
	v_add_nc_u32_e32 v4, v2, v4
	s_delay_alu instid0(VALU_DEP_1) | instskip(NEXT) | instid1(VALU_DEP_1)
	v_cndmask_b32_e64 v2, v2, v4, s0
	v_mov_b32_dpp v4, v2 row_shr:4 row_mask:0xf bank_mask:0xf
	s_delay_alu instid0(VALU_DEP_1) | instskip(SKIP_1) | instid1(VALU_DEP_1)
	v_add_nc_u32_e32 v4, v2, v4
	s_wait_alu 0xfffd
	v_dual_cndmask_b32 v2, v2, v4 :: v_dual_add_nc_u32 v1, v1, v79
	s_delay_alu instid0(VALU_DEP_1) | instskip(SKIP_1) | instid1(VALU_DEP_2)
	v_cndmask_b32_e64 v1, v1, v79, s1
	s_mov_b32 s1, exec_lo
	v_mov_b32_dpp v4, v2 row_shr:8 row_mask:0xf bank_mask:0xf
	s_delay_alu instid0(VALU_DEP_2) | instskip(NEXT) | instid1(VALU_DEP_1)
	v_mov_b32_dpp v3, v1 row_shr:2 row_mask:0xf bank_mask:0xf
	v_add_nc_u32_e32 v3, v1, v3
	s_delay_alu instid0(VALU_DEP_1) | instskip(NEXT) | instid1(VALU_DEP_1)
	v_cndmask_b32_e64 v1, v1, v3, s0
	v_mov_b32_dpp v3, v1 row_shr:4 row_mask:0xf bank_mask:0xf
	s_delay_alu instid0(VALU_DEP_1) | instskip(NEXT) | instid1(VALU_DEP_1)
	v_add_nc_u32_e32 v3, v1, v3
	v_cndmask_b32_e32 v3, v1, v3, vcc_lo
	v_cmp_lt_u32_e32 vcc_lo, 7, v76
	s_delay_alu instid0(VALU_DEP_2) | instskip(NEXT) | instid1(VALU_DEP_1)
	v_mov_b32_dpp v1, v3 row_shr:8 row_mask:0xf bank_mask:0xf
	v_add_nc_u32_e32 v5, v3, v1
	v_add_nc_u32_e32 v1, v2, v4
	s_wait_alu 0xfffd
	s_delay_alu instid0(VALU_DEP_1) | instskip(NEXT) | instid1(VALU_DEP_3)
	v_cndmask_b32_e32 v1, v2, v1, vcc_lo
	v_cndmask_b32_e32 v2, v3, v5, vcc_lo
	v_cmp_eq_u32_e32 vcc_lo, 0, v78
	ds_swizzle_b32 v3, v1 offset:swizzle(BROADCAST,32,15)
	ds_swizzle_b32 v4, v2 offset:swizzle(BROADCAST,32,15)
	s_wait_dscnt 0x1
	v_add_nc_u32_e32 v3, v1, v3
	s_wait_dscnt 0x0
	v_add_nc_u32_e32 v4, v2, v4
	v_cmpx_eq_u32_e64 v0, v77
; %bb.138:
	s_wait_alu 0xfffd
	s_delay_alu instid0(VALU_DEP_2)
	v_dual_cndmask_b32 v5, v4, v2 :: v_dual_cndmask_b32 v6, v3, v1
	v_lshlrev_b32_e32 v7, 3, v75
	ds_store_b64 v7, v[5:6]
; %bb.139:
	s_wait_alu 0xfffe
	s_or_b32 exec_lo, exec_lo, s1
	s_delay_alu instid0(SALU_CYCLE_1)
	s_mov_b32 s1, exec_lo
	s_wait_loadcnt_dscnt 0x0
	s_barrier_signal -1
	s_barrier_wait -1
	global_inv scope:SCOPE_SE
	v_cmpx_gt_u32_e32 8, v0
	s_cbranch_execz .LBB127_141
; %bb.140:
	v_lshlrev_b32_e32 v7, 3, v0
	v_and_b32_e32 v22, 7, v74
	ds_load_b64 v[5:6], v7
	v_cmp_eq_u32_e64 s0, 0, v22
	s_wait_dscnt 0x0
	v_mov_b32_dpp v8, v5 row_shr:1 row_mask:0xf bank_mask:0xf
	v_mov_b32_dpp v21, v6 row_shr:1 row_mask:0xf bank_mask:0xf
	s_delay_alu instid0(VALU_DEP_2) | instskip(NEXT) | instid1(VALU_DEP_2)
	v_add_nc_u32_e32 v8, v8, v5
	v_add_nc_u32_e32 v21, v21, v6
	s_wait_alu 0xf1ff
	s_delay_alu instid0(VALU_DEP_2) | instskip(NEXT) | instid1(VALU_DEP_2)
	v_cndmask_b32_e64 v5, v8, v5, s0
	v_cndmask_b32_e64 v6, v21, v6, s0
	v_cmp_lt_u32_e64 s0, 1, v22
	s_delay_alu instid0(VALU_DEP_3) | instskip(NEXT) | instid1(VALU_DEP_3)
	v_mov_b32_dpp v8, v5 row_shr:2 row_mask:0xf bank_mask:0xf
	v_mov_b32_dpp v21, v6 row_shr:2 row_mask:0xf bank_mask:0xf
	s_delay_alu instid0(VALU_DEP_2) | instskip(NEXT) | instid1(VALU_DEP_2)
	v_add_nc_u32_e32 v8, v5, v8
	v_add_nc_u32_e32 v21, v6, v21
	s_wait_alu 0xf1ff
	s_delay_alu instid0(VALU_DEP_2) | instskip(NEXT) | instid1(VALU_DEP_2)
	v_cndmask_b32_e64 v5, v5, v8, s0
	v_cndmask_b32_e64 v6, v6, v21, s0
	v_cmp_lt_u32_e64 s0, 3, v22
	s_delay_alu instid0(VALU_DEP_3) | instskip(NEXT) | instid1(VALU_DEP_3)
	v_mov_b32_dpp v8, v5 row_shr:4 row_mask:0xf bank_mask:0xf
	v_mov_b32_dpp v21, v6 row_shr:4 row_mask:0xf bank_mask:0xf
	s_wait_alu 0xf1ff
	s_delay_alu instid0(VALU_DEP_2) | instskip(NEXT) | instid1(VALU_DEP_2)
	v_cndmask_b32_e64 v8, 0, v8, s0
	v_cndmask_b32_e64 v21, 0, v21, s0
	s_delay_alu instid0(VALU_DEP_2) | instskip(NEXT) | instid1(VALU_DEP_2)
	v_add_nc_u32_e32 v5, v8, v5
	v_add_nc_u32_e32 v6, v21, v6
	ds_store_b64 v7, v[5:6]
.LBB127_141:
	s_wait_alu 0xfffe
	s_or_b32 exec_lo, exec_lo, s1
	v_dual_mov_b32 v7, 0 :: v_dual_mov_b32 v6, 0
	v_mov_b32_e32 v5, 0
	s_mov_b32 s1, exec_lo
	s_wait_loadcnt_dscnt 0x0
	s_barrier_signal -1
	s_barrier_wait -1
	global_inv scope:SCOPE_SE
	v_cmpx_lt_u32_e32 31, v0
; %bb.142:
	v_lshl_add_u32 v5, v75, 3, -8
	ds_load_b64 v[5:6], v5
; %bb.143:
	s_wait_alu 0xfffe
	s_or_b32 exec_lo, exec_lo, s1
	v_sub_co_u32 v8, s0, v74, 1
	v_dual_cndmask_b32 v2, v4, v2 :: v_dual_cndmask_b32 v1, v3, v1
	v_cmp_eq_u32_e32 vcc_lo, 0, v0
	s_delay_alu instid0(VALU_DEP_3) | instskip(SKIP_1) | instid1(VALU_DEP_3)
	v_cmp_gt_i32_e64 s1, 0, v8
	s_wait_dscnt 0x0
	v_add_nc_u32_e32 v2, v5, v2
	v_add_nc_u32_e32 v1, v6, v1
	s_wait_alu 0xf1ff
	v_cndmask_b32_e64 v4, v8, v74, s1
	s_delay_alu instid0(VALU_DEP_1)
	v_lshlrev_b32_e32 v3, 2, v4
	ds_bpermute_b32 v8, v3, v2
	ds_bpermute_b32 v21, v3, v1
	ds_load_b64 v[1:2], v7 offset:56
	s_and_saveexec_b32 s1, vcc_lo
	s_cbranch_execz .LBB127_145
; %bb.144:
	s_wait_kmcnt 0x0
	s_add_nc_u64 s[2:3], s[4:5], 0x200
	v_dual_mov_b32 v3, 2 :: v_dual_mov_b32 v4, 0
	s_wait_alu 0xfffe
	v_dual_mov_b32 v23, s3 :: v_dual_mov_b32 v22, s2
	s_wait_dscnt 0x0
	;;#ASMSTART
	global_store_b128 v[22:23], v[1:4] off scope:SCOPE_DEV	
s_wait_storecnt 0x0
	;;#ASMEND
.LBB127_145:
	s_wait_alu 0xfffe
	s_or_b32 exec_lo, exec_lo, s1
	s_wait_dscnt 0x1
	v_cndmask_b32_e64 v3, v21, v6, s0
	v_cndmask_b32_e64 v5, v8, v5, s0
	v_mov_b32_e32 v4, 0
	s_wait_loadcnt_dscnt 0x0
	s_barrier_signal -1
	v_cndmask_b32_e64 v81, v3, 0, vcc_lo
	v_cndmask_b32_e64 v82, v5, 0, vcc_lo
	v_mov_b32_e32 v3, 0
	s_barrier_wait -1
	global_inv scope:SCOPE_SE
.LBB127_146:
	v_lshrrev_b32_e32 v77, 8, v49
	s_delay_alu instid0(VALU_DEP_2)
	v_add_nc_u32_e32 v73, v81, v73
	s_wait_dscnt 0x0
	v_sub_nc_u32_e32 v81, v81, v4
	v_lshlrev_b32_e32 v84, 1, v1
	v_lshrrev_b32_e32 v75, 16, v49
	v_and_b32_e32 v77, 1, v77
	v_add_nc_u32_e32 v71, v73, v71
	v_add_nc_u32_e32 v81, v81, v1
	v_add3_u32 v87, v84, v2, v41
	v_and_b32_e32 v75, 1, v75
	v_cmp_eq_u32_e32 vcc_lo, 1, v77
	v_add_nc_u32_e32 v72, v82, v72
	v_sub_nc_u32_e32 v82, v82, v3
	v_sub_nc_u32_e32 v73, v73, v4
	v_lshrrev_b32_e32 v76, 8, v42
	v_lshrrev_b32_e32 v74, 16, v42
	v_and_b32_e32 v42, 1, v42
	v_add_nc_u32_e32 v41, v82, v81
	v_add_nc_u32_e32 v73, v73, v1
	v_and_b32_e32 v76, 1, v76
	s_wait_kmcnt 0x0
	v_add_co_u32 v5, s0, s28, v3
	v_sub_nc_u32_e32 v41, v87, v41
	s_wait_alu 0xf1ff
	v_add_co_ci_u32_e64 v6, null, s29, 0, s0
	v_sub_co_u32 v80, s0, s30, v1
	s_wait_alu 0xfffd
	v_cndmask_b32_e32 v41, v41, v81, vcc_lo
	v_cmp_eq_u32_e32 vcc_lo, 1, v75
	v_add_nc_u32_e32 v78, v71, v55
	v_sub_nc_u32_e32 v71, v71, v4
	s_wait_alu 0xf1ff
	v_sub_co_ci_u32_e64 v83, null, s31, 0, s0
	v_and_b32_e32 v55, 1, v55
	v_and_b32_e32 v74, 1, v74
	v_add_nc_u32_e32 v71, v71, v1
	v_add_nc_u32_e32 v70, v72, v70
	v_sub_nc_u32_e32 v72, v72, v3
	v_lshrrev_b32_e32 v26, 8, v43
	v_lshrrev_b32_e32 v25, 16, v43
	v_and_b32_e32 v43, 1, v43
	v_lshrrev_b32_e32 v23, 16, v44
	v_add_nc_u32_e32 v88, v73, v72
	v_and_b32_e32 v26, 1, v26
	v_lshrrev_b32_e32 v24, 8, v44
	v_and_b32_e32 v44, 1, v44
	v_lshrrev_b32_e32 v8, 16, v46
	v_sub_nc_u32_e32 v88, v87, v88
	v_lshrrev_b32_e32 v22, 8, v46
	v_and_b32_e32 v24, 1, v24
	v_lshrrev_b32_e32 v21, 8, v47
	v_and_b32_e32 v8, 1, v8
	v_add_nc_u32_e32 v88, 1, v88
	v_and_b32_e32 v22, 1, v22
	v_lshrrev_b32_e32 v7, 16, v47
	s_mov_b32 s41, 0
	s_wait_alu 0xfffd
	v_cndmask_b32_e32 v73, v88, v73, vcc_lo
	v_cmp_eq_u32_e32 vcc_lo, 1, v42
	v_add_nc_u32_e32 v68, v78, v68
	v_and_b32_e32 v7, 1, v7
	s_wait_alu 0xfffd
	v_cndmask_b32_e32 v81, v41, v82, vcc_lo
	v_cmp_eq_u32_e32 vcc_lo, 1, v76
	v_add_nc_u32_e32 v69, v70, v69
	v_sub_nc_u32_e32 v70, v70, v3
	v_sub_nc_u32_e32 v76, v78, v4
	s_wait_alu 0xfffd
	v_dual_cndmask_b32 v72, v73, v72 :: v_dual_add_nc_u32 v67, v68, v67
	v_add_co_u32 v41, vcc_lo, v80, v4
	v_add_nc_u32_e32 v75, v71, v70
	s_wait_alu 0xfffd
	v_add_co_ci_u32_e64 v42, null, 0, v83, vcc_lo
	v_cmp_eq_u32_e32 vcc_lo, 1, v55
	v_add_nc_u32_e32 v79, v69, v54
	v_sub_nc_u32_e32 v73, v87, v75
	v_sub_nc_u32_e32 v69, v69, v3
	;; [unrolled: 1-line block ×3, first 2 shown]
	v_lshlrev_b32_e32 v75, 2, v81
	v_lshlrev_b32_e32 v72, 2, v72
	v_add_nc_u32_e32 v73, 2, v73
	ds_store_b32 v75, v19
	ds_store_b32 v72, v20
	s_wait_alu 0xfffd
	v_dual_cndmask_b32 v55, v73, v71 :: v_dual_add_nc_u32 v68, v68, v1
	v_add_nc_u32_e32 v71, v76, v1
	v_cmp_eq_u32_e32 vcc_lo, 1, v74
	v_and_b32_e32 v54, 1, v54
	s_delay_alu instid0(VALU_DEP_3) | instskip(SKIP_4) | instid1(VALU_DEP_3)
	v_add_nc_u32_e32 v73, v69, v71
	s_wait_alu 0xfffd
	v_cndmask_b32_e32 v55, v55, v70, vcc_lo
	v_sub_nc_u32_e32 v70, v79, v3
	v_cmp_eq_u32_e32 vcc_lo, 1, v43
	v_lshlrev_b32_e32 v19, 2, v55
	s_delay_alu instid0(VALU_DEP_3)
	v_add_nc_u32_e32 v20, v70, v68
	v_sub_nc_u32_e32 v55, v87, v73
	ds_store_b32 v19, v17
	v_sub_nc_u32_e32 v20, v87, v20
	v_add_nc_u32_e32 v55, 3, v55
	v_and_b32_e32 v19, 1, v25
	s_wait_alu 0xfffd
	s_delay_alu instid0(VALU_DEP_2) | instskip(SKIP_2) | instid1(VALU_DEP_2)
	v_dual_cndmask_b32 v43, v55, v71 :: v_dual_add_nc_u32 v20, 4, v20
	v_cmp_eq_u32_e32 vcc_lo, 1, v26
	s_wait_alu 0xfffd
	v_cndmask_b32_e32 v20, v20, v68, vcc_lo
	v_cmp_eq_u32_e32 vcc_lo, 1, v54
	s_wait_alu 0xfffd
	v_cndmask_b32_e32 v26, v43, v69, vcc_lo
	v_cmp_eq_u32_e32 vcc_lo, 1, v44
	v_add_nc_u32_e32 v65, v67, v65
	v_sub_nc_u32_e32 v67, v67, v4
	s_delay_alu instid0(VALU_DEP_4)
	v_lshlrev_b32_e32 v17, 2, v26
	s_wait_alu 0xfffd
	v_cndmask_b32_e32 v20, v20, v70, vcc_lo
	v_cmp_eq_u32_e32 vcc_lo, 1, v19
	v_add_nc_u32_e32 v67, v67, v1
	v_add_nc_u32_e32 v66, v79, v66
	;; [unrolled: 1-line block ×3, first 2 shown]
	v_sub_nc_u32_e32 v26, v65, v4
	v_lshlrev_b32_e32 v20, 2, v20
	ds_store_b32 v17, v18
	ds_store_b32 v20, v15
	v_add_nc_u32_e32 v64, v66, v64
	v_sub_nc_u32_e32 v66, v66, v3
	v_add_nc_u32_e32 v26, v26, v1
	v_add_nc_u32_e32 v63, v85, v63
	v_and_b32_e32 v20, 1, v53
	s_delay_alu instid0(VALU_DEP_4) | instskip(NEXT) | instid1(VALU_DEP_1)
	v_add_nc_u32_e32 v55, v66, v67
	v_sub_nc_u32_e32 v43, v87, v55
	s_delay_alu instid0(VALU_DEP_1) | instskip(SKIP_2) | instid1(VALU_DEP_2)
	v_add_nc_u32_e32 v25, 5, v43
	v_sub_nc_u32_e32 v43, v85, v4
	s_wait_alu 0xfffd
	v_cndmask_b32_e32 v19, v25, v67, vcc_lo
	v_cmp_eq_u32_e32 vcc_lo, 1, v24
	s_delay_alu instid0(VALU_DEP_3) | instskip(SKIP_1) | instid1(VALU_DEP_3)
	v_add_nc_u32_e32 v43, v43, v1
	s_wait_alu 0xfffd
	v_cndmask_b32_e32 v19, v19, v66, vcc_lo
	v_add_nc_u32_e32 v59, v64, v59
	v_sub_nc_u32_e32 v25, v64, v3
	v_cmp_eq_u32_e32 vcc_lo, 1, v20
	v_and_b32_e32 v20, 1, v52
	v_lshlrev_b32_e32 v15, 2, v19
	v_sub_nc_u32_e32 v24, v59, v3
	v_add_nc_u32_e32 v44, v25, v26
	v_add_nc_u32_e32 v86, v59, v52
	v_and_b32_e32 v19, 1, v23
	v_sub_nc_u32_e32 v23, v63, v4
	v_add_nc_u32_e32 v17, v24, v43
	v_sub_nc_u32_e32 v18, v87, v44
	v_and_b32_e32 v44, 1, v46
	v_sub_nc_u32_e32 v46, v86, v3
	v_add_nc_u32_e32 v23, v23, v1
	v_sub_nc_u32_e32 v17, v87, v17
	v_add_nc_u32_e32 v18, 6, v18
	v_add_nc_u32_e32 v61, v86, v61
	s_wait_alu 0xfffd
	s_delay_alu instid0(VALU_DEP_2)
	v_dual_cndmask_b32 v18, v18, v26 :: v_dual_add_nc_u32 v17, 7, v17
	v_cmp_eq_u32_e32 vcc_lo, 1, v44
	v_add_nc_u32_e32 v26, v46, v23
	v_add_nc_u32_e32 v58, v61, v58
	s_wait_alu 0xfffd
	v_cndmask_b32_e32 v17, v17, v43, vcc_lo
	v_cmp_eq_u32_e32 vcc_lo, 1, v19
	v_sub_nc_u32_e32 v19, v87, v26
	s_wait_alu 0xfffd
	v_cndmask_b32_e32 v18, v18, v25, vcc_lo
	v_cmp_eq_u32_e32 vcc_lo, 1, v20
	v_add_nc_u32_e32 v62, v63, v62
	v_add_nc_u32_e32 v19, 8, v19
	v_sub_nc_u32_e32 v25, v61, v3
	s_wait_alu 0xfffd
	v_dual_cndmask_b32 v17, v17, v24 :: v_dual_lshlrev_b32 v18, 2, v18
	v_sub_nc_u32_e32 v20, v62, v4
	v_and_b32_e32 v24, 1, v47
	v_cmp_eq_u32_e32 vcc_lo, 1, v22
	s_delay_alu instid0(VALU_DEP_4) | instskip(NEXT) | instid1(VALU_DEP_4)
	v_lshlrev_b32_e32 v17, 2, v17
	v_add_nc_u32_e32 v20, v20, v1
	ds_store_b32 v15, v16
	ds_store_b32 v18, v13
	;; [unrolled: 1-line block ×3, first 2 shown]
	s_wait_alu 0xfffd
	v_cndmask_b32_e32 v19, v19, v23, vcc_lo
	v_cmp_eq_u32_e32 vcc_lo, 1, v24
	v_add_nc_u32_e32 v60, v62, v60
	v_add_nc_u32_e32 v22, v25, v20
	v_sub_nc_u32_e32 v17, v58, v3
	v_and_b32_e32 v15, 1, v21
	s_wait_alu 0xfffd
	v_cndmask_b32_e32 v19, v19, v46, vcc_lo
	v_sub_nc_u32_e32 v16, v60, v4
	v_sub_nc_u32_e32 v13, v87, v22
	v_cmp_eq_u32_e32 vcc_lo, 1, v8
	v_add_nc_u32_e32 v89, v60, v51
	v_lshlrev_b32_e32 v14, 2, v19
	v_add_nc_u32_e32 v16, v16, v1
	v_add_nc_u32_e32 v13, 9, v13
	s_delay_alu instid0(VALU_DEP_4)
	v_sub_nc_u32_e32 v18, v89, v4
	ds_store_b32 v14, v11
	v_add_nc_u32_e32 v19, v17, v16
	s_wait_alu 0xfffd
	v_cndmask_b32_e32 v8, v13, v20, vcc_lo
	v_cmp_eq_u32_e32 vcc_lo, 1, v15
	v_and_b32_e32 v15, 1, v51
	v_and_b32_e32 v20, 1, v45
	v_sub_nc_u32_e32 v14, v87, v19
	v_add_nc_u32_e32 v18, v18, v1
	s_wait_alu 0xfffd
	v_cndmask_b32_e32 v8, v8, v25, vcc_lo
	v_cmp_eq_u32_e32 vcc_lo, 1, v15
	v_add_nc_u32_e32 v57, v89, v57
	v_add_nc_u32_e32 v14, 10, v14
	v_and_b32_e32 v15, 1, v50
	v_lshlrev_b32_e32 v8, 2, v8
	s_delay_alu instid0(VALU_DEP_4)
	v_sub_nc_u32_e32 v19, v57, v4
	s_wait_alu 0xfffd
	v_cndmask_b32_e32 v14, v14, v16, vcc_lo
	v_cmp_eq_u32_e32 vcc_lo, 1, v20
	v_add_nc_u32_e32 v56, v58, v56
	v_add_nc_u32_e32 v19, v19, v1
	s_delay_alu instid0(VALU_DEP_2) | instskip(NEXT) | instid1(VALU_DEP_1)
	v_sub_nc_u32_e32 v13, v56, v3
	v_add_nc_u32_e32 v11, v13, v18
	s_delay_alu instid0(VALU_DEP_1) | instskip(NEXT) | instid1(VALU_DEP_1)
	v_sub_nc_u32_e32 v11, v87, v11
	v_add_nc_u32_e32 v11, 11, v11
	s_wait_alu 0xfffd
	s_delay_alu instid0(VALU_DEP_1) | instskip(SKIP_2) | instid1(VALU_DEP_2)
	v_cndmask_b32_e32 v11, v11, v18, vcc_lo
	v_add_nc_u32_e32 v77, v56, v50
	v_cmp_eq_u32_e32 vcc_lo, 1, v7
	v_sub_nc_u32_e32 v3, v77, v3
	s_wait_alu 0xfffd
	v_cndmask_b32_e32 v7, v14, v17, vcc_lo
	v_cmp_eq_u32_e32 vcc_lo, 1, v15
	v_and_b32_e32 v15, 1, v49
	v_add_nc_u32_e32 v16, v3, v19
	s_delay_alu instid0(VALU_DEP_4) | instskip(SKIP_4) | instid1(VALU_DEP_3)
	v_lshlrev_b32_e32 v7, 2, v7
	s_wait_alu 0xfffd
	v_cndmask_b32_e32 v11, v11, v13, vcc_lo
	v_and_b32_e32 v13, 1, v48
	v_sub_nc_u32_e32 v14, v87, v16
	v_lshlrev_b32_e32 v11, 2, v11
	s_delay_alu instid0(VALU_DEP_3)
	v_cmp_eq_u32_e32 vcc_lo, 1, v13
	ds_store_b32 v8, v12
	ds_store_b32 v7, v9
	;; [unrolled: 1-line block ×3, first 2 shown]
	v_add_nc_u32_e32 v14, 12, v14
	v_add_co_u32 v7, s0, v2, v84
	s_wait_alu 0xf1ff
	v_add_co_ci_u32_e64 v8, null, 0, 0, s0
	s_wait_alu 0xfffd
	v_cndmask_b32_e32 v13, v14, v19, vcc_lo
	v_cmp_eq_u32_e32 vcc_lo, 1, v15
	s_wait_alu 0xfffe
	s_add_nc_u64 s[0:1], s[34:35], s[40:41]
	v_lshlrev_b64_e32 v[9:10], 2, v[5:6]
	v_add_nc_u32_e32 v12, v1, v2
	s_wait_alu 0xfffd
	v_cndmask_b32_e32 v3, v13, v3, vcc_lo
	v_add_co_u32 v7, vcc_lo, v7, v41
	s_wait_alu 0xfffd
	v_add_co_ci_u32_e64 v8, null, v8, v42, vcc_lo
	s_delay_alu instid0(VALU_DEP_3)
	v_lshlrev_b32_e32 v3, 2, v3
	ds_store_b32 v3, v40
	v_add_co_u32 v3, vcc_lo, v7, v5
	s_wait_alu 0xfffd
	v_add_co_ci_u32_e64 v7, null, v8, v6, vcc_lo
	s_wait_loadcnt_dscnt 0x0
	s_wait_alu 0xfffe
	v_sub_co_u32 v3, vcc_lo, s0, v3
	s_wait_alu 0xfffd
	v_sub_co_ci_u32_e64 v11, null, s1, v7, vcc_lo
	v_lshlrev_b64_e32 v[7:8], 2, v[41:42]
	v_add_co_u32 v9, s0, s36, v9
	s_wait_alu 0xf1ff
	v_add_co_ci_u32_e64 v10, null, s37, v10, s0
	s_mov_b32 s0, -1
	v_add_co_u32 v7, vcc_lo, s38, v7
	s_wait_alu 0xfffd
	v_add_co_ci_u32_e64 v8, null, s39, v8, vcc_lo
	v_cmp_ne_u32_e32 vcc_lo, 1, v39
	s_barrier_signal -1
	s_barrier_wait -1
	global_inv scope:SCOPE_SE
	s_cbranch_vccz .LBB127_150
; %bb.147:
	s_wait_alu 0xfffe
	s_and_b32 vcc_lo, exec_lo, s0
	s_wait_alu 0xfffe
	s_cbranch_vccnz .LBB127_255
.LBB127_148:
	v_cmp_eq_u32_e32 vcc_lo, 0, v0
	s_and_b32 s0, vcc_lo, s15
	s_wait_alu 0xfffe
	s_and_saveexec_b32 s1, s0
	s_cbranch_execnz .LBB127_373
.LBB127_149:
	s_endpgm
.LBB127_150:
	s_mov_b32 s0, exec_lo
	v_cmpx_ge_u32_e64 v0, v1
	s_wait_alu 0xfffe
	s_xor_b32 s0, exec_lo, s0
	s_cbranch_execz .LBB127_156
; %bb.151:
	s_mov_b32 s1, exec_lo
	v_cmpx_ge_u32_e64 v0, v12
	s_wait_alu 0xfffe
	s_xor_b32 s1, exec_lo, s1
	s_cbranch_execz .LBB127_153
; %bb.152:
	v_lshlrev_b32_e32 v13, 2, v0
	ds_load_b32 v15, v13
	v_add_co_u32 v13, vcc_lo, v3, v0
	s_wait_alu 0xfffd
	v_add_co_ci_u32_e64 v14, null, 0, v11, vcc_lo
	s_delay_alu instid0(VALU_DEP_1) | instskip(NEXT) | instid1(VALU_DEP_1)
	v_lshlrev_b64_e32 v[13:14], 2, v[13:14]
	v_sub_co_u32 v13, vcc_lo, s26, v13
	s_wait_alu 0xfffd
	s_delay_alu instid0(VALU_DEP_2)
	v_sub_co_ci_u32_e64 v14, null, s27, v14, vcc_lo
	s_wait_dscnt 0x0
	global_store_b32 v[13:14], v15, off offset:-4
.LBB127_153:
	s_wait_alu 0xfffe
	s_and_not1_saveexec_b32 s1, s1
	s_cbranch_execz .LBB127_155
; %bb.154:
	v_lshlrev_b32_e32 v13, 2, v0
	v_readfirstlane_b32 s2, v7
	v_readfirstlane_b32 s3, v8
	ds_load_b32 v14, v13
	s_wait_dscnt 0x0
	global_store_b32 v13, v14, s[2:3]
.LBB127_155:
	s_wait_alu 0xfffe
	s_or_b32 exec_lo, exec_lo, s1
.LBB127_156:
	s_wait_alu 0xfffe
	s_and_not1_saveexec_b32 s0, s0
	s_cbranch_execz .LBB127_158
; %bb.157:
	v_lshlrev_b32_e32 v13, 2, v0
	v_readfirstlane_b32 s2, v9
	v_readfirstlane_b32 s3, v10
	ds_load_b32 v14, v13
	s_wait_dscnt 0x0
	global_store_b32 v13, v14, s[2:3]
.LBB127_158:
	s_wait_alu 0xfffe
	s_or_b32 exec_lo, exec_lo, s0
	s_delay_alu instid0(SALU_CYCLE_1)
	s_mov_b32 s0, exec_lo
	v_cmpx_ge_u32_e64 v38, v1
	s_wait_alu 0xfffe
	s_xor_b32 s0, exec_lo, s0
	s_cbranch_execz .LBB127_164
; %bb.159:
	s_mov_b32 s1, exec_lo
	v_cmpx_ge_u32_e64 v38, v12
	s_wait_alu 0xfffe
	s_xor_b32 s1, exec_lo, s1
	s_cbranch_execz .LBB127_161
; %bb.160:
	v_lshlrev_b32_e32 v13, 2, v0
	ds_load_b32 v15, v13 offset:1024
	v_add_co_u32 v13, vcc_lo, v3, v0
	s_wait_alu 0xfffd
	v_add_co_ci_u32_e64 v14, null, 0, v11, vcc_lo
	s_delay_alu instid0(VALU_DEP_1) | instskip(NEXT) | instid1(VALU_DEP_1)
	v_lshlrev_b64_e32 v[13:14], 2, v[13:14]
	v_sub_co_u32 v13, vcc_lo, s26, v13
	s_wait_alu 0xfffd
	s_delay_alu instid0(VALU_DEP_2)
	v_sub_co_ci_u32_e64 v14, null, s27, v14, vcc_lo
	s_wait_dscnt 0x0
	global_store_b32 v[13:14], v15, off offset:-1028
.LBB127_161:
	s_wait_alu 0xfffe
	s_and_not1_saveexec_b32 s1, s1
	s_cbranch_execz .LBB127_163
; %bb.162:
	v_lshlrev_b32_e32 v13, 2, v0
	v_readfirstlane_b32 s2, v7
	v_readfirstlane_b32 s3, v8
	ds_load_b32 v14, v13 offset:1024
	s_wait_dscnt 0x0
	global_store_b32 v13, v14, s[2:3] offset:1024
.LBB127_163:
	s_wait_alu 0xfffe
	s_or_b32 exec_lo, exec_lo, s1
.LBB127_164:
	s_wait_alu 0xfffe
	s_and_not1_saveexec_b32 s0, s0
	s_cbranch_execz .LBB127_166
; %bb.165:
	v_lshlrev_b32_e32 v13, 2, v0
	v_readfirstlane_b32 s2, v9
	v_readfirstlane_b32 s3, v10
	ds_load_b32 v14, v13 offset:1024
	s_wait_dscnt 0x0
	global_store_b32 v13, v14, s[2:3] offset:1024
.LBB127_166:
	s_wait_alu 0xfffe
	s_or_b32 exec_lo, exec_lo, s0
	s_delay_alu instid0(SALU_CYCLE_1)
	s_mov_b32 s0, exec_lo
	v_cmpx_ge_u32_e64 v37, v1
	s_wait_alu 0xfffe
	s_xor_b32 s0, exec_lo, s0
	s_cbranch_execz .LBB127_172
; %bb.167:
	s_mov_b32 s1, exec_lo
	v_cmpx_ge_u32_e64 v37, v12
	s_wait_alu 0xfffe
	s_xor_b32 s1, exec_lo, s1
	s_cbranch_execz .LBB127_169
; %bb.168:
	v_lshlrev_b32_e32 v13, 2, v0
	ds_load_b32 v15, v13 offset:2048
	v_add_co_u32 v13, vcc_lo, v3, v0
	s_wait_alu 0xfffd
	v_add_co_ci_u32_e64 v14, null, 0, v11, vcc_lo
	s_delay_alu instid0(VALU_DEP_1) | instskip(NEXT) | instid1(VALU_DEP_1)
	v_lshlrev_b64_e32 v[13:14], 2, v[13:14]
	v_sub_co_u32 v13, vcc_lo, s26, v13
	s_wait_alu 0xfffd
	s_delay_alu instid0(VALU_DEP_2)
	v_sub_co_ci_u32_e64 v14, null, s27, v14, vcc_lo
	s_wait_dscnt 0x0
	global_store_b32 v[13:14], v15, off offset:-2052
.LBB127_169:
	s_wait_alu 0xfffe
	s_and_not1_saveexec_b32 s1, s1
	s_cbranch_execz .LBB127_171
; %bb.170:
	v_lshlrev_b32_e32 v13, 2, v0
	v_readfirstlane_b32 s2, v7
	v_readfirstlane_b32 s3, v8
	ds_load_b32 v14, v13 offset:2048
	s_wait_dscnt 0x0
	global_store_b32 v13, v14, s[2:3] offset:2048
.LBB127_171:
	s_wait_alu 0xfffe
	s_or_b32 exec_lo, exec_lo, s1
.LBB127_172:
	s_wait_alu 0xfffe
	s_and_not1_saveexec_b32 s0, s0
	s_cbranch_execz .LBB127_174
; %bb.173:
	v_lshlrev_b32_e32 v13, 2, v0
	v_readfirstlane_b32 s2, v9
	v_readfirstlane_b32 s3, v10
	ds_load_b32 v14, v13 offset:2048
	s_wait_dscnt 0x0
	global_store_b32 v13, v14, s[2:3] offset:2048
.LBB127_174:
	;; [unrolled: 54-line block ×12, first 2 shown]
	s_wait_alu 0xfffe
	s_or_b32 exec_lo, exec_lo, s0
	s_branch .LBB127_148
.LBB127_255:
	s_mov_b32 s0, exec_lo
	v_cmpx_gt_u32_e64 s33, v0
	s_cbranch_execz .LBB127_264
; %bb.256:
	s_mov_b32 s1, exec_lo
	v_cmpx_ge_u32_e64 v0, v1
	s_wait_alu 0xfffe
	s_xor_b32 s1, exec_lo, s1
	s_cbranch_execz .LBB127_262
; %bb.257:
	s_mov_b32 s2, exec_lo
	v_cmpx_ge_u32_e64 v0, v12
	s_wait_alu 0xfffe
	s_xor_b32 s2, exec_lo, s2
	s_cbranch_execz .LBB127_259
; %bb.258:
	v_lshlrev_b32_e32 v13, 2, v0
	ds_load_b32 v15, v13
	v_add_co_u32 v13, vcc_lo, v3, v0
	s_wait_alu 0xfffd
	v_add_co_ci_u32_e64 v14, null, 0, v11, vcc_lo
	s_delay_alu instid0(VALU_DEP_1) | instskip(NEXT) | instid1(VALU_DEP_1)
	v_lshlrev_b64_e32 v[13:14], 2, v[13:14]
	v_sub_co_u32 v13, vcc_lo, s26, v13
	s_wait_alu 0xfffd
	s_delay_alu instid0(VALU_DEP_2)
	v_sub_co_ci_u32_e64 v14, null, s27, v14, vcc_lo
	s_wait_dscnt 0x0
	global_store_b32 v[13:14], v15, off offset:-4
.LBB127_259:
	s_wait_alu 0xfffe
	s_and_not1_saveexec_b32 s2, s2
	s_cbranch_execz .LBB127_261
; %bb.260:
	v_lshlrev_b32_e32 v13, 2, v0
	v_readfirstlane_b32 s4, v7
	v_readfirstlane_b32 s5, v8
	ds_load_b32 v14, v13
	s_wait_dscnt 0x0
	global_store_b32 v13, v14, s[4:5]
.LBB127_261:
	s_wait_alu 0xfffe
	s_or_b32 exec_lo, exec_lo, s2
.LBB127_262:
	s_wait_alu 0xfffe
	s_and_not1_saveexec_b32 s1, s1
	s_cbranch_execz .LBB127_264
; %bb.263:
	v_lshlrev_b32_e32 v13, 2, v0
	v_readfirstlane_b32 s2, v9
	v_readfirstlane_b32 s3, v10
	ds_load_b32 v14, v13
	s_wait_dscnt 0x0
	global_store_b32 v13, v14, s[2:3]
.LBB127_264:
	s_wait_alu 0xfffe
	s_or_b32 exec_lo, exec_lo, s0
	s_delay_alu instid0(SALU_CYCLE_1)
	s_mov_b32 s0, exec_lo
	v_cmpx_gt_u32_e64 s33, v38
	s_cbranch_execz .LBB127_273
; %bb.265:
	s_mov_b32 s1, exec_lo
	v_cmpx_ge_u32_e64 v38, v1
	s_wait_alu 0xfffe
	s_xor_b32 s1, exec_lo, s1
	s_cbranch_execz .LBB127_271
; %bb.266:
	s_mov_b32 s2, exec_lo
	v_cmpx_ge_u32_e64 v38, v12
	s_wait_alu 0xfffe
	s_xor_b32 s2, exec_lo, s2
	s_cbranch_execz .LBB127_268
; %bb.267:
	v_lshlrev_b32_e32 v13, 2, v0
	ds_load_b32 v15, v13 offset:1024
	v_add_co_u32 v13, vcc_lo, v3, v0
	s_wait_alu 0xfffd
	v_add_co_ci_u32_e64 v14, null, 0, v11, vcc_lo
	s_delay_alu instid0(VALU_DEP_1) | instskip(NEXT) | instid1(VALU_DEP_1)
	v_lshlrev_b64_e32 v[13:14], 2, v[13:14]
	v_sub_co_u32 v13, vcc_lo, s26, v13
	s_wait_alu 0xfffd
	s_delay_alu instid0(VALU_DEP_2)
	v_sub_co_ci_u32_e64 v14, null, s27, v14, vcc_lo
	s_wait_dscnt 0x0
	global_store_b32 v[13:14], v15, off offset:-1028
.LBB127_268:
	s_wait_alu 0xfffe
	s_and_not1_saveexec_b32 s2, s2
	s_cbranch_execz .LBB127_270
; %bb.269:
	v_lshlrev_b32_e32 v13, 2, v0
	v_readfirstlane_b32 s4, v7
	v_readfirstlane_b32 s5, v8
	ds_load_b32 v14, v13 offset:1024
	s_wait_dscnt 0x0
	global_store_b32 v13, v14, s[4:5] offset:1024
.LBB127_270:
	s_wait_alu 0xfffe
	s_or_b32 exec_lo, exec_lo, s2
.LBB127_271:
	s_wait_alu 0xfffe
	s_and_not1_saveexec_b32 s1, s1
	s_cbranch_execz .LBB127_273
; %bb.272:
	v_lshlrev_b32_e32 v13, 2, v0
	v_readfirstlane_b32 s2, v9
	v_readfirstlane_b32 s3, v10
	ds_load_b32 v14, v13 offset:1024
	s_wait_dscnt 0x0
	global_store_b32 v13, v14, s[2:3] offset:1024
.LBB127_273:
	s_wait_alu 0xfffe
	s_or_b32 exec_lo, exec_lo, s0
	s_delay_alu instid0(SALU_CYCLE_1)
	s_mov_b32 s0, exec_lo
	v_cmpx_gt_u32_e64 s33, v37
	s_cbranch_execz .LBB127_282
; %bb.274:
	s_mov_b32 s1, exec_lo
	v_cmpx_ge_u32_e64 v37, v1
	s_wait_alu 0xfffe
	s_xor_b32 s1, exec_lo, s1
	s_cbranch_execz .LBB127_280
; %bb.275:
	s_mov_b32 s2, exec_lo
	v_cmpx_ge_u32_e64 v37, v12
	s_wait_alu 0xfffe
	s_xor_b32 s2, exec_lo, s2
	s_cbranch_execz .LBB127_277
; %bb.276:
	v_lshlrev_b32_e32 v13, 2, v0
	ds_load_b32 v15, v13 offset:2048
	v_add_co_u32 v13, vcc_lo, v3, v0
	s_wait_alu 0xfffd
	v_add_co_ci_u32_e64 v14, null, 0, v11, vcc_lo
	s_delay_alu instid0(VALU_DEP_1) | instskip(NEXT) | instid1(VALU_DEP_1)
	v_lshlrev_b64_e32 v[13:14], 2, v[13:14]
	v_sub_co_u32 v13, vcc_lo, s26, v13
	s_wait_alu 0xfffd
	s_delay_alu instid0(VALU_DEP_2)
	v_sub_co_ci_u32_e64 v14, null, s27, v14, vcc_lo
	s_wait_dscnt 0x0
	global_store_b32 v[13:14], v15, off offset:-2052
.LBB127_277:
	s_wait_alu 0xfffe
	s_and_not1_saveexec_b32 s2, s2
	s_cbranch_execz .LBB127_279
; %bb.278:
	v_lshlrev_b32_e32 v13, 2, v0
	v_readfirstlane_b32 s4, v7
	v_readfirstlane_b32 s5, v8
	ds_load_b32 v14, v13 offset:2048
	s_wait_dscnt 0x0
	global_store_b32 v13, v14, s[4:5] offset:2048
.LBB127_279:
	s_wait_alu 0xfffe
	s_or_b32 exec_lo, exec_lo, s2
.LBB127_280:
	s_wait_alu 0xfffe
	s_and_not1_saveexec_b32 s1, s1
	s_cbranch_execz .LBB127_282
; %bb.281:
	v_lshlrev_b32_e32 v13, 2, v0
	v_readfirstlane_b32 s2, v9
	v_readfirstlane_b32 s3, v10
	ds_load_b32 v14, v13 offset:2048
	s_wait_dscnt 0x0
	global_store_b32 v13, v14, s[2:3] offset:2048
.LBB127_282:
	;; [unrolled: 58-line block ×11, first 2 shown]
	s_wait_alu 0xfffe
	s_or_b32 exec_lo, exec_lo, s0
	s_delay_alu instid0(SALU_CYCLE_1)
	s_mov_b32 s0, exec_lo
	v_cmpx_gt_u32_e64 s33, v27
	s_cbranch_execz .LBB127_372
; %bb.364:
	s_mov_b32 s1, exec_lo
	v_cmpx_ge_u32_e64 v27, v1
	s_wait_alu 0xfffe
	s_xor_b32 s1, exec_lo, s1
	s_cbranch_execz .LBB127_370
; %bb.365:
	s_mov_b32 s2, exec_lo
	v_cmpx_ge_u32_e64 v27, v12
	s_wait_alu 0xfffe
	s_xor_b32 s2, exec_lo, s2
	s_cbranch_execz .LBB127_367
; %bb.366:
	v_lshlrev_b32_e32 v7, 2, v0
	ds_load_b32 v9, v7 offset:12288
	v_add_co_u32 v7, vcc_lo, v3, v0
	s_wait_alu 0xfffd
	v_add_co_ci_u32_e64 v8, null, 0, v11, vcc_lo
	s_delay_alu instid0(VALU_DEP_1) | instskip(NEXT) | instid1(VALU_DEP_1)
	v_lshlrev_b64_e32 v[7:8], 2, v[7:8]
	v_sub_co_u32 v7, vcc_lo, s26, v7
	s_wait_alu 0xfffd
	s_delay_alu instid0(VALU_DEP_2)
	v_sub_co_ci_u32_e64 v8, null, s27, v8, vcc_lo
	s_wait_dscnt 0x0
	global_store_b32 v[7:8], v9, off offset:-12292
                                        ; implicit-def: $vgpr7_vgpr8
.LBB127_367:
	s_wait_alu 0xfffe
	s_and_not1_saveexec_b32 s2, s2
	s_cbranch_execz .LBB127_369
; %bb.368:
	v_lshlrev_b32_e32 v3, 2, v0
	v_readfirstlane_b32 s4, v7
	v_readfirstlane_b32 s5, v8
	ds_load_b32 v9, v3 offset:12288
	s_wait_dscnt 0x0
	global_store_b32 v3, v9, s[4:5] offset:12288
.LBB127_369:
	s_wait_alu 0xfffe
	s_or_b32 exec_lo, exec_lo, s2
                                        ; implicit-def: $vgpr9_vgpr10
.LBB127_370:
	s_wait_alu 0xfffe
	s_and_not1_saveexec_b32 s1, s1
	s_cbranch_execz .LBB127_372
; %bb.371:
	v_lshlrev_b32_e32 v3, 2, v0
	v_readfirstlane_b32 s2, v9
	v_readfirstlane_b32 s3, v10
	ds_load_b32 v7, v3 offset:12288
	s_wait_dscnt 0x0
	global_store_b32 v3, v7, s[2:3] offset:12288
.LBB127_372:
	s_wait_alu 0xfffe
	s_or_b32 exec_lo, exec_lo, s0
	v_cmp_eq_u32_e32 vcc_lo, 0, v0
	s_and_b32 s0, vcc_lo, s15
	s_wait_alu 0xfffe
	s_and_saveexec_b32 s1, s0
	s_cbranch_execz .LBB127_149
.LBB127_373:
	v_add_co_u32 v0, s0, s30, v2
	s_wait_alu 0xf1ff
	v_add_co_ci_u32_e64 v3, null, s31, 0, s0
	v_mov_b32_e32 v7, 0
	s_delay_alu instid0(VALU_DEP_3) | instskip(SKIP_1) | instid1(VALU_DEP_3)
	v_add_co_u32 v2, vcc_lo, v0, v4
	s_wait_alu 0xfffd
	v_add_co_ci_u32_e64 v3, null, 0, v3, vcc_lo
	v_add_co_u32 v0, vcc_lo, v5, v1
	s_wait_alu 0xfffd
	v_add_co_ci_u32_e64 v1, null, 0, v6, vcc_lo
	global_store_b128 v7, v[0:3], s[24:25]
	s_endpgm
.LBB127_374:
	s_add_co_i32 s8, ttmp9, 32
	s_mov_b32 s9, 0
	v_dual_mov_b32 v7, 2 :: v_dual_add_nc_u32 v6, v4, v2
	s_wait_alu 0xfffe
	s_lshl_b64 s[8:9], s[8:9], 4
	v_dual_mov_b32 v8, 0 :: v_dual_add_nc_u32 v5, v3, v1
	s_wait_alu 0xfffe
	s_add_nc_u64 s[8:9], s[4:5], s[8:9]
	s_wait_alu 0xfffe
	v_dual_mov_b32 v24, s9 :: v_dual_mov_b32 v23, s8
	;;#ASMSTART
	global_store_b128 v[23:24], v[5:8] off scope:SCOPE_DEV	
s_wait_storecnt 0x0
	;;#ASMEND
	s_or_b32 exec_lo, exec_lo, s6
	s_and_saveexec_b32 s6, s2
	s_cbranch_execz .LBB127_134
.LBB127_375:
	v_mov_b32_e32 v5, 0
	ds_store_b128 v5, v[1:4] offset:13312
	s_wait_alu 0xfffe
	s_or_b32 exec_lo, exec_lo, s6
	v_cmp_eq_u32_e32 vcc_lo, 0, v0
	s_and_b32 exec_lo, exec_lo, vcc_lo
	s_cbranch_execnz .LBB127_135
	s_branch .LBB127_136
	.section	.rodata,"a",@progbits
	.p2align	6, 0x0
	.amdhsa_kernel _ZN7rocprim17ROCPRIM_400000_NS6detail17trampoline_kernelINS0_13select_configILj256ELj13ELNS0_17block_load_methodE3ELS4_3ELS4_3ELNS0_20block_scan_algorithmE0ELj4294967295EEENS1_25partition_config_selectorILNS1_17partition_subalgoE4EjNS0_10empty_typeEbEEZZNS1_14partition_implILS8_4ELb0ES6_15HIP_vector_typeIjLj2EENS0_17counting_iteratorIjlEEPS9_SG_NS0_5tupleIJPjSI_NS0_16reverse_iteratorISI_EEEEENSH_IJSG_SG_SG_EEES9_SI_JZNS1_25segmented_radix_sort_implINS0_14default_configELb0EPKhPhPKlPlN2at6native12_GLOBAL__N_18offset_tEEE10hipError_tPvRmT1_PNSt15iterator_traitsIS12_E10value_typeET2_T3_PNS13_IS18_E10value_typeET4_jRbjT5_S1E_jjP12ihipStream_tbEUljE_ZNSN_ISO_Lb0ESQ_SR_ST_SU_SY_EESZ_S10_S11_S12_S16_S17_S18_S1B_S1C_jS1D_jS1E_S1E_jjS1G_bEUljE0_EEESZ_S10_S11_S18_S1C_S1E_T6_T7_T9_mT8_S1G_bDpT10_ENKUlT_T0_E_clISt17integral_constantIbLb0EES1U_EEDaS1P_S1Q_EUlS1P_E_NS1_11comp_targetILNS1_3genE10ELNS1_11target_archE1200ELNS1_3gpuE4ELNS1_3repE0EEENS1_30default_config_static_selectorELNS0_4arch9wavefront6targetE0EEEvS12_
		.amdhsa_group_segment_fixed_size 13328
		.amdhsa_private_segment_fixed_size 0
		.amdhsa_kernarg_size 176
		.amdhsa_user_sgpr_count 2
		.amdhsa_user_sgpr_dispatch_ptr 0
		.amdhsa_user_sgpr_queue_ptr 0
		.amdhsa_user_sgpr_kernarg_segment_ptr 1
		.amdhsa_user_sgpr_dispatch_id 0
		.amdhsa_user_sgpr_private_segment_size 0
		.amdhsa_wavefront_size32 1
		.amdhsa_uses_dynamic_stack 0
		.amdhsa_enable_private_segment 0
		.amdhsa_system_sgpr_workgroup_id_x 1
		.amdhsa_system_sgpr_workgroup_id_y 0
		.amdhsa_system_sgpr_workgroup_id_z 0
		.amdhsa_system_sgpr_workgroup_info 0
		.amdhsa_system_vgpr_workitem_id 0
		.amdhsa_next_free_vgpr 93
		.amdhsa_next_free_sgpr 58
		.amdhsa_reserve_vcc 1
		.amdhsa_float_round_mode_32 0
		.amdhsa_float_round_mode_16_64 0
		.amdhsa_float_denorm_mode_32 3
		.amdhsa_float_denorm_mode_16_64 3
		.amdhsa_fp16_overflow 0
		.amdhsa_workgroup_processor_mode 1
		.amdhsa_memory_ordered 1
		.amdhsa_forward_progress 1
		.amdhsa_inst_pref_size 148
		.amdhsa_round_robin_scheduling 0
		.amdhsa_exception_fp_ieee_invalid_op 0
		.amdhsa_exception_fp_denorm_src 0
		.amdhsa_exception_fp_ieee_div_zero 0
		.amdhsa_exception_fp_ieee_overflow 0
		.amdhsa_exception_fp_ieee_underflow 0
		.amdhsa_exception_fp_ieee_inexact 0
		.amdhsa_exception_int_div_zero 0
	.end_amdhsa_kernel
	.section	.text._ZN7rocprim17ROCPRIM_400000_NS6detail17trampoline_kernelINS0_13select_configILj256ELj13ELNS0_17block_load_methodE3ELS4_3ELS4_3ELNS0_20block_scan_algorithmE0ELj4294967295EEENS1_25partition_config_selectorILNS1_17partition_subalgoE4EjNS0_10empty_typeEbEEZZNS1_14partition_implILS8_4ELb0ES6_15HIP_vector_typeIjLj2EENS0_17counting_iteratorIjlEEPS9_SG_NS0_5tupleIJPjSI_NS0_16reverse_iteratorISI_EEEEENSH_IJSG_SG_SG_EEES9_SI_JZNS1_25segmented_radix_sort_implINS0_14default_configELb0EPKhPhPKlPlN2at6native12_GLOBAL__N_18offset_tEEE10hipError_tPvRmT1_PNSt15iterator_traitsIS12_E10value_typeET2_T3_PNS13_IS18_E10value_typeET4_jRbjT5_S1E_jjP12ihipStream_tbEUljE_ZNSN_ISO_Lb0ESQ_SR_ST_SU_SY_EESZ_S10_S11_S12_S16_S17_S18_S1B_S1C_jS1D_jS1E_S1E_jjS1G_bEUljE0_EEESZ_S10_S11_S18_S1C_S1E_T6_T7_T9_mT8_S1G_bDpT10_ENKUlT_T0_E_clISt17integral_constantIbLb0EES1U_EEDaS1P_S1Q_EUlS1P_E_NS1_11comp_targetILNS1_3genE10ELNS1_11target_archE1200ELNS1_3gpuE4ELNS1_3repE0EEENS1_30default_config_static_selectorELNS0_4arch9wavefront6targetE0EEEvS12_,"axG",@progbits,_ZN7rocprim17ROCPRIM_400000_NS6detail17trampoline_kernelINS0_13select_configILj256ELj13ELNS0_17block_load_methodE3ELS4_3ELS4_3ELNS0_20block_scan_algorithmE0ELj4294967295EEENS1_25partition_config_selectorILNS1_17partition_subalgoE4EjNS0_10empty_typeEbEEZZNS1_14partition_implILS8_4ELb0ES6_15HIP_vector_typeIjLj2EENS0_17counting_iteratorIjlEEPS9_SG_NS0_5tupleIJPjSI_NS0_16reverse_iteratorISI_EEEEENSH_IJSG_SG_SG_EEES9_SI_JZNS1_25segmented_radix_sort_implINS0_14default_configELb0EPKhPhPKlPlN2at6native12_GLOBAL__N_18offset_tEEE10hipError_tPvRmT1_PNSt15iterator_traitsIS12_E10value_typeET2_T3_PNS13_IS18_E10value_typeET4_jRbjT5_S1E_jjP12ihipStream_tbEUljE_ZNSN_ISO_Lb0ESQ_SR_ST_SU_SY_EESZ_S10_S11_S12_S16_S17_S18_S1B_S1C_jS1D_jS1E_S1E_jjS1G_bEUljE0_EEESZ_S10_S11_S18_S1C_S1E_T6_T7_T9_mT8_S1G_bDpT10_ENKUlT_T0_E_clISt17integral_constantIbLb0EES1U_EEDaS1P_S1Q_EUlS1P_E_NS1_11comp_targetILNS1_3genE10ELNS1_11target_archE1200ELNS1_3gpuE4ELNS1_3repE0EEENS1_30default_config_static_selectorELNS0_4arch9wavefront6targetE0EEEvS12_,comdat
.Lfunc_end127:
	.size	_ZN7rocprim17ROCPRIM_400000_NS6detail17trampoline_kernelINS0_13select_configILj256ELj13ELNS0_17block_load_methodE3ELS4_3ELS4_3ELNS0_20block_scan_algorithmE0ELj4294967295EEENS1_25partition_config_selectorILNS1_17partition_subalgoE4EjNS0_10empty_typeEbEEZZNS1_14partition_implILS8_4ELb0ES6_15HIP_vector_typeIjLj2EENS0_17counting_iteratorIjlEEPS9_SG_NS0_5tupleIJPjSI_NS0_16reverse_iteratorISI_EEEEENSH_IJSG_SG_SG_EEES9_SI_JZNS1_25segmented_radix_sort_implINS0_14default_configELb0EPKhPhPKlPlN2at6native12_GLOBAL__N_18offset_tEEE10hipError_tPvRmT1_PNSt15iterator_traitsIS12_E10value_typeET2_T3_PNS13_IS18_E10value_typeET4_jRbjT5_S1E_jjP12ihipStream_tbEUljE_ZNSN_ISO_Lb0ESQ_SR_ST_SU_SY_EESZ_S10_S11_S12_S16_S17_S18_S1B_S1C_jS1D_jS1E_S1E_jjS1G_bEUljE0_EEESZ_S10_S11_S18_S1C_S1E_T6_T7_T9_mT8_S1G_bDpT10_ENKUlT_T0_E_clISt17integral_constantIbLb0EES1U_EEDaS1P_S1Q_EUlS1P_E_NS1_11comp_targetILNS1_3genE10ELNS1_11target_archE1200ELNS1_3gpuE4ELNS1_3repE0EEENS1_30default_config_static_selectorELNS0_4arch9wavefront6targetE0EEEvS12_, .Lfunc_end127-_ZN7rocprim17ROCPRIM_400000_NS6detail17trampoline_kernelINS0_13select_configILj256ELj13ELNS0_17block_load_methodE3ELS4_3ELS4_3ELNS0_20block_scan_algorithmE0ELj4294967295EEENS1_25partition_config_selectorILNS1_17partition_subalgoE4EjNS0_10empty_typeEbEEZZNS1_14partition_implILS8_4ELb0ES6_15HIP_vector_typeIjLj2EENS0_17counting_iteratorIjlEEPS9_SG_NS0_5tupleIJPjSI_NS0_16reverse_iteratorISI_EEEEENSH_IJSG_SG_SG_EEES9_SI_JZNS1_25segmented_radix_sort_implINS0_14default_configELb0EPKhPhPKlPlN2at6native12_GLOBAL__N_18offset_tEEE10hipError_tPvRmT1_PNSt15iterator_traitsIS12_E10value_typeET2_T3_PNS13_IS18_E10value_typeET4_jRbjT5_S1E_jjP12ihipStream_tbEUljE_ZNSN_ISO_Lb0ESQ_SR_ST_SU_SY_EESZ_S10_S11_S12_S16_S17_S18_S1B_S1C_jS1D_jS1E_S1E_jjS1G_bEUljE0_EEESZ_S10_S11_S18_S1C_S1E_T6_T7_T9_mT8_S1G_bDpT10_ENKUlT_T0_E_clISt17integral_constantIbLb0EES1U_EEDaS1P_S1Q_EUlS1P_E_NS1_11comp_targetILNS1_3genE10ELNS1_11target_archE1200ELNS1_3gpuE4ELNS1_3repE0EEENS1_30default_config_static_selectorELNS0_4arch9wavefront6targetE0EEEvS12_
                                        ; -- End function
	.set _ZN7rocprim17ROCPRIM_400000_NS6detail17trampoline_kernelINS0_13select_configILj256ELj13ELNS0_17block_load_methodE3ELS4_3ELS4_3ELNS0_20block_scan_algorithmE0ELj4294967295EEENS1_25partition_config_selectorILNS1_17partition_subalgoE4EjNS0_10empty_typeEbEEZZNS1_14partition_implILS8_4ELb0ES6_15HIP_vector_typeIjLj2EENS0_17counting_iteratorIjlEEPS9_SG_NS0_5tupleIJPjSI_NS0_16reverse_iteratorISI_EEEEENSH_IJSG_SG_SG_EEES9_SI_JZNS1_25segmented_radix_sort_implINS0_14default_configELb0EPKhPhPKlPlN2at6native12_GLOBAL__N_18offset_tEEE10hipError_tPvRmT1_PNSt15iterator_traitsIS12_E10value_typeET2_T3_PNS13_IS18_E10value_typeET4_jRbjT5_S1E_jjP12ihipStream_tbEUljE_ZNSN_ISO_Lb0ESQ_SR_ST_SU_SY_EESZ_S10_S11_S12_S16_S17_S18_S1B_S1C_jS1D_jS1E_S1E_jjS1G_bEUljE0_EEESZ_S10_S11_S18_S1C_S1E_T6_T7_T9_mT8_S1G_bDpT10_ENKUlT_T0_E_clISt17integral_constantIbLb0EES1U_EEDaS1P_S1Q_EUlS1P_E_NS1_11comp_targetILNS1_3genE10ELNS1_11target_archE1200ELNS1_3gpuE4ELNS1_3repE0EEENS1_30default_config_static_selectorELNS0_4arch9wavefront6targetE0EEEvS12_.num_vgpr, 93
	.set _ZN7rocprim17ROCPRIM_400000_NS6detail17trampoline_kernelINS0_13select_configILj256ELj13ELNS0_17block_load_methodE3ELS4_3ELS4_3ELNS0_20block_scan_algorithmE0ELj4294967295EEENS1_25partition_config_selectorILNS1_17partition_subalgoE4EjNS0_10empty_typeEbEEZZNS1_14partition_implILS8_4ELb0ES6_15HIP_vector_typeIjLj2EENS0_17counting_iteratorIjlEEPS9_SG_NS0_5tupleIJPjSI_NS0_16reverse_iteratorISI_EEEEENSH_IJSG_SG_SG_EEES9_SI_JZNS1_25segmented_radix_sort_implINS0_14default_configELb0EPKhPhPKlPlN2at6native12_GLOBAL__N_18offset_tEEE10hipError_tPvRmT1_PNSt15iterator_traitsIS12_E10value_typeET2_T3_PNS13_IS18_E10value_typeET4_jRbjT5_S1E_jjP12ihipStream_tbEUljE_ZNSN_ISO_Lb0ESQ_SR_ST_SU_SY_EESZ_S10_S11_S12_S16_S17_S18_S1B_S1C_jS1D_jS1E_S1E_jjS1G_bEUljE0_EEESZ_S10_S11_S18_S1C_S1E_T6_T7_T9_mT8_S1G_bDpT10_ENKUlT_T0_E_clISt17integral_constantIbLb0EES1U_EEDaS1P_S1Q_EUlS1P_E_NS1_11comp_targetILNS1_3genE10ELNS1_11target_archE1200ELNS1_3gpuE4ELNS1_3repE0EEENS1_30default_config_static_selectorELNS0_4arch9wavefront6targetE0EEEvS12_.num_agpr, 0
	.set _ZN7rocprim17ROCPRIM_400000_NS6detail17trampoline_kernelINS0_13select_configILj256ELj13ELNS0_17block_load_methodE3ELS4_3ELS4_3ELNS0_20block_scan_algorithmE0ELj4294967295EEENS1_25partition_config_selectorILNS1_17partition_subalgoE4EjNS0_10empty_typeEbEEZZNS1_14partition_implILS8_4ELb0ES6_15HIP_vector_typeIjLj2EENS0_17counting_iteratorIjlEEPS9_SG_NS0_5tupleIJPjSI_NS0_16reverse_iteratorISI_EEEEENSH_IJSG_SG_SG_EEES9_SI_JZNS1_25segmented_radix_sort_implINS0_14default_configELb0EPKhPhPKlPlN2at6native12_GLOBAL__N_18offset_tEEE10hipError_tPvRmT1_PNSt15iterator_traitsIS12_E10value_typeET2_T3_PNS13_IS18_E10value_typeET4_jRbjT5_S1E_jjP12ihipStream_tbEUljE_ZNSN_ISO_Lb0ESQ_SR_ST_SU_SY_EESZ_S10_S11_S12_S16_S17_S18_S1B_S1C_jS1D_jS1E_S1E_jjS1G_bEUljE0_EEESZ_S10_S11_S18_S1C_S1E_T6_T7_T9_mT8_S1G_bDpT10_ENKUlT_T0_E_clISt17integral_constantIbLb0EES1U_EEDaS1P_S1Q_EUlS1P_E_NS1_11comp_targetILNS1_3genE10ELNS1_11target_archE1200ELNS1_3gpuE4ELNS1_3repE0EEENS1_30default_config_static_selectorELNS0_4arch9wavefront6targetE0EEEvS12_.numbered_sgpr, 58
	.set _ZN7rocprim17ROCPRIM_400000_NS6detail17trampoline_kernelINS0_13select_configILj256ELj13ELNS0_17block_load_methodE3ELS4_3ELS4_3ELNS0_20block_scan_algorithmE0ELj4294967295EEENS1_25partition_config_selectorILNS1_17partition_subalgoE4EjNS0_10empty_typeEbEEZZNS1_14partition_implILS8_4ELb0ES6_15HIP_vector_typeIjLj2EENS0_17counting_iteratorIjlEEPS9_SG_NS0_5tupleIJPjSI_NS0_16reverse_iteratorISI_EEEEENSH_IJSG_SG_SG_EEES9_SI_JZNS1_25segmented_radix_sort_implINS0_14default_configELb0EPKhPhPKlPlN2at6native12_GLOBAL__N_18offset_tEEE10hipError_tPvRmT1_PNSt15iterator_traitsIS12_E10value_typeET2_T3_PNS13_IS18_E10value_typeET4_jRbjT5_S1E_jjP12ihipStream_tbEUljE_ZNSN_ISO_Lb0ESQ_SR_ST_SU_SY_EESZ_S10_S11_S12_S16_S17_S18_S1B_S1C_jS1D_jS1E_S1E_jjS1G_bEUljE0_EEESZ_S10_S11_S18_S1C_S1E_T6_T7_T9_mT8_S1G_bDpT10_ENKUlT_T0_E_clISt17integral_constantIbLb0EES1U_EEDaS1P_S1Q_EUlS1P_E_NS1_11comp_targetILNS1_3genE10ELNS1_11target_archE1200ELNS1_3gpuE4ELNS1_3repE0EEENS1_30default_config_static_selectorELNS0_4arch9wavefront6targetE0EEEvS12_.num_named_barrier, 0
	.set _ZN7rocprim17ROCPRIM_400000_NS6detail17trampoline_kernelINS0_13select_configILj256ELj13ELNS0_17block_load_methodE3ELS4_3ELS4_3ELNS0_20block_scan_algorithmE0ELj4294967295EEENS1_25partition_config_selectorILNS1_17partition_subalgoE4EjNS0_10empty_typeEbEEZZNS1_14partition_implILS8_4ELb0ES6_15HIP_vector_typeIjLj2EENS0_17counting_iteratorIjlEEPS9_SG_NS0_5tupleIJPjSI_NS0_16reverse_iteratorISI_EEEEENSH_IJSG_SG_SG_EEES9_SI_JZNS1_25segmented_radix_sort_implINS0_14default_configELb0EPKhPhPKlPlN2at6native12_GLOBAL__N_18offset_tEEE10hipError_tPvRmT1_PNSt15iterator_traitsIS12_E10value_typeET2_T3_PNS13_IS18_E10value_typeET4_jRbjT5_S1E_jjP12ihipStream_tbEUljE_ZNSN_ISO_Lb0ESQ_SR_ST_SU_SY_EESZ_S10_S11_S12_S16_S17_S18_S1B_S1C_jS1D_jS1E_S1E_jjS1G_bEUljE0_EEESZ_S10_S11_S18_S1C_S1E_T6_T7_T9_mT8_S1G_bDpT10_ENKUlT_T0_E_clISt17integral_constantIbLb0EES1U_EEDaS1P_S1Q_EUlS1P_E_NS1_11comp_targetILNS1_3genE10ELNS1_11target_archE1200ELNS1_3gpuE4ELNS1_3repE0EEENS1_30default_config_static_selectorELNS0_4arch9wavefront6targetE0EEEvS12_.private_seg_size, 0
	.set _ZN7rocprim17ROCPRIM_400000_NS6detail17trampoline_kernelINS0_13select_configILj256ELj13ELNS0_17block_load_methodE3ELS4_3ELS4_3ELNS0_20block_scan_algorithmE0ELj4294967295EEENS1_25partition_config_selectorILNS1_17partition_subalgoE4EjNS0_10empty_typeEbEEZZNS1_14partition_implILS8_4ELb0ES6_15HIP_vector_typeIjLj2EENS0_17counting_iteratorIjlEEPS9_SG_NS0_5tupleIJPjSI_NS0_16reverse_iteratorISI_EEEEENSH_IJSG_SG_SG_EEES9_SI_JZNS1_25segmented_radix_sort_implINS0_14default_configELb0EPKhPhPKlPlN2at6native12_GLOBAL__N_18offset_tEEE10hipError_tPvRmT1_PNSt15iterator_traitsIS12_E10value_typeET2_T3_PNS13_IS18_E10value_typeET4_jRbjT5_S1E_jjP12ihipStream_tbEUljE_ZNSN_ISO_Lb0ESQ_SR_ST_SU_SY_EESZ_S10_S11_S12_S16_S17_S18_S1B_S1C_jS1D_jS1E_S1E_jjS1G_bEUljE0_EEESZ_S10_S11_S18_S1C_S1E_T6_T7_T9_mT8_S1G_bDpT10_ENKUlT_T0_E_clISt17integral_constantIbLb0EES1U_EEDaS1P_S1Q_EUlS1P_E_NS1_11comp_targetILNS1_3genE10ELNS1_11target_archE1200ELNS1_3gpuE4ELNS1_3repE0EEENS1_30default_config_static_selectorELNS0_4arch9wavefront6targetE0EEEvS12_.uses_vcc, 1
	.set _ZN7rocprim17ROCPRIM_400000_NS6detail17trampoline_kernelINS0_13select_configILj256ELj13ELNS0_17block_load_methodE3ELS4_3ELS4_3ELNS0_20block_scan_algorithmE0ELj4294967295EEENS1_25partition_config_selectorILNS1_17partition_subalgoE4EjNS0_10empty_typeEbEEZZNS1_14partition_implILS8_4ELb0ES6_15HIP_vector_typeIjLj2EENS0_17counting_iteratorIjlEEPS9_SG_NS0_5tupleIJPjSI_NS0_16reverse_iteratorISI_EEEEENSH_IJSG_SG_SG_EEES9_SI_JZNS1_25segmented_radix_sort_implINS0_14default_configELb0EPKhPhPKlPlN2at6native12_GLOBAL__N_18offset_tEEE10hipError_tPvRmT1_PNSt15iterator_traitsIS12_E10value_typeET2_T3_PNS13_IS18_E10value_typeET4_jRbjT5_S1E_jjP12ihipStream_tbEUljE_ZNSN_ISO_Lb0ESQ_SR_ST_SU_SY_EESZ_S10_S11_S12_S16_S17_S18_S1B_S1C_jS1D_jS1E_S1E_jjS1G_bEUljE0_EEESZ_S10_S11_S18_S1C_S1E_T6_T7_T9_mT8_S1G_bDpT10_ENKUlT_T0_E_clISt17integral_constantIbLb0EES1U_EEDaS1P_S1Q_EUlS1P_E_NS1_11comp_targetILNS1_3genE10ELNS1_11target_archE1200ELNS1_3gpuE4ELNS1_3repE0EEENS1_30default_config_static_selectorELNS0_4arch9wavefront6targetE0EEEvS12_.uses_flat_scratch, 0
	.set _ZN7rocprim17ROCPRIM_400000_NS6detail17trampoline_kernelINS0_13select_configILj256ELj13ELNS0_17block_load_methodE3ELS4_3ELS4_3ELNS0_20block_scan_algorithmE0ELj4294967295EEENS1_25partition_config_selectorILNS1_17partition_subalgoE4EjNS0_10empty_typeEbEEZZNS1_14partition_implILS8_4ELb0ES6_15HIP_vector_typeIjLj2EENS0_17counting_iteratorIjlEEPS9_SG_NS0_5tupleIJPjSI_NS0_16reverse_iteratorISI_EEEEENSH_IJSG_SG_SG_EEES9_SI_JZNS1_25segmented_radix_sort_implINS0_14default_configELb0EPKhPhPKlPlN2at6native12_GLOBAL__N_18offset_tEEE10hipError_tPvRmT1_PNSt15iterator_traitsIS12_E10value_typeET2_T3_PNS13_IS18_E10value_typeET4_jRbjT5_S1E_jjP12ihipStream_tbEUljE_ZNSN_ISO_Lb0ESQ_SR_ST_SU_SY_EESZ_S10_S11_S12_S16_S17_S18_S1B_S1C_jS1D_jS1E_S1E_jjS1G_bEUljE0_EEESZ_S10_S11_S18_S1C_S1E_T6_T7_T9_mT8_S1G_bDpT10_ENKUlT_T0_E_clISt17integral_constantIbLb0EES1U_EEDaS1P_S1Q_EUlS1P_E_NS1_11comp_targetILNS1_3genE10ELNS1_11target_archE1200ELNS1_3gpuE4ELNS1_3repE0EEENS1_30default_config_static_selectorELNS0_4arch9wavefront6targetE0EEEvS12_.has_dyn_sized_stack, 0
	.set _ZN7rocprim17ROCPRIM_400000_NS6detail17trampoline_kernelINS0_13select_configILj256ELj13ELNS0_17block_load_methodE3ELS4_3ELS4_3ELNS0_20block_scan_algorithmE0ELj4294967295EEENS1_25partition_config_selectorILNS1_17partition_subalgoE4EjNS0_10empty_typeEbEEZZNS1_14partition_implILS8_4ELb0ES6_15HIP_vector_typeIjLj2EENS0_17counting_iteratorIjlEEPS9_SG_NS0_5tupleIJPjSI_NS0_16reverse_iteratorISI_EEEEENSH_IJSG_SG_SG_EEES9_SI_JZNS1_25segmented_radix_sort_implINS0_14default_configELb0EPKhPhPKlPlN2at6native12_GLOBAL__N_18offset_tEEE10hipError_tPvRmT1_PNSt15iterator_traitsIS12_E10value_typeET2_T3_PNS13_IS18_E10value_typeET4_jRbjT5_S1E_jjP12ihipStream_tbEUljE_ZNSN_ISO_Lb0ESQ_SR_ST_SU_SY_EESZ_S10_S11_S12_S16_S17_S18_S1B_S1C_jS1D_jS1E_S1E_jjS1G_bEUljE0_EEESZ_S10_S11_S18_S1C_S1E_T6_T7_T9_mT8_S1G_bDpT10_ENKUlT_T0_E_clISt17integral_constantIbLb0EES1U_EEDaS1P_S1Q_EUlS1P_E_NS1_11comp_targetILNS1_3genE10ELNS1_11target_archE1200ELNS1_3gpuE4ELNS1_3repE0EEENS1_30default_config_static_selectorELNS0_4arch9wavefront6targetE0EEEvS12_.has_recursion, 0
	.set _ZN7rocprim17ROCPRIM_400000_NS6detail17trampoline_kernelINS0_13select_configILj256ELj13ELNS0_17block_load_methodE3ELS4_3ELS4_3ELNS0_20block_scan_algorithmE0ELj4294967295EEENS1_25partition_config_selectorILNS1_17partition_subalgoE4EjNS0_10empty_typeEbEEZZNS1_14partition_implILS8_4ELb0ES6_15HIP_vector_typeIjLj2EENS0_17counting_iteratorIjlEEPS9_SG_NS0_5tupleIJPjSI_NS0_16reverse_iteratorISI_EEEEENSH_IJSG_SG_SG_EEES9_SI_JZNS1_25segmented_radix_sort_implINS0_14default_configELb0EPKhPhPKlPlN2at6native12_GLOBAL__N_18offset_tEEE10hipError_tPvRmT1_PNSt15iterator_traitsIS12_E10value_typeET2_T3_PNS13_IS18_E10value_typeET4_jRbjT5_S1E_jjP12ihipStream_tbEUljE_ZNSN_ISO_Lb0ESQ_SR_ST_SU_SY_EESZ_S10_S11_S12_S16_S17_S18_S1B_S1C_jS1D_jS1E_S1E_jjS1G_bEUljE0_EEESZ_S10_S11_S18_S1C_S1E_T6_T7_T9_mT8_S1G_bDpT10_ENKUlT_T0_E_clISt17integral_constantIbLb0EES1U_EEDaS1P_S1Q_EUlS1P_E_NS1_11comp_targetILNS1_3genE10ELNS1_11target_archE1200ELNS1_3gpuE4ELNS1_3repE0EEENS1_30default_config_static_selectorELNS0_4arch9wavefront6targetE0EEEvS12_.has_indirect_call, 0
	.section	.AMDGPU.csdata,"",@progbits
; Kernel info:
; codeLenInByte = 18900
; TotalNumSgprs: 60
; NumVgprs: 93
; ScratchSize: 0
; MemoryBound: 0
; FloatMode: 240
; IeeeMode: 1
; LDSByteSize: 13328 bytes/workgroup (compile time only)
; SGPRBlocks: 0
; VGPRBlocks: 11
; NumSGPRsForWavesPerEU: 60
; NumVGPRsForWavesPerEU: 93
; Occupancy: 16
; WaveLimiterHint : 1
; COMPUTE_PGM_RSRC2:SCRATCH_EN: 0
; COMPUTE_PGM_RSRC2:USER_SGPR: 2
; COMPUTE_PGM_RSRC2:TRAP_HANDLER: 0
; COMPUTE_PGM_RSRC2:TGID_X_EN: 1
; COMPUTE_PGM_RSRC2:TGID_Y_EN: 0
; COMPUTE_PGM_RSRC2:TGID_Z_EN: 0
; COMPUTE_PGM_RSRC2:TIDIG_COMP_CNT: 0
	.section	.text._ZN7rocprim17ROCPRIM_400000_NS6detail17trampoline_kernelINS0_13select_configILj256ELj13ELNS0_17block_load_methodE3ELS4_3ELS4_3ELNS0_20block_scan_algorithmE0ELj4294967295EEENS1_25partition_config_selectorILNS1_17partition_subalgoE4EjNS0_10empty_typeEbEEZZNS1_14partition_implILS8_4ELb0ES6_15HIP_vector_typeIjLj2EENS0_17counting_iteratorIjlEEPS9_SG_NS0_5tupleIJPjSI_NS0_16reverse_iteratorISI_EEEEENSH_IJSG_SG_SG_EEES9_SI_JZNS1_25segmented_radix_sort_implINS0_14default_configELb0EPKhPhPKlPlN2at6native12_GLOBAL__N_18offset_tEEE10hipError_tPvRmT1_PNSt15iterator_traitsIS12_E10value_typeET2_T3_PNS13_IS18_E10value_typeET4_jRbjT5_S1E_jjP12ihipStream_tbEUljE_ZNSN_ISO_Lb0ESQ_SR_ST_SU_SY_EESZ_S10_S11_S12_S16_S17_S18_S1B_S1C_jS1D_jS1E_S1E_jjS1G_bEUljE0_EEESZ_S10_S11_S18_S1C_S1E_T6_T7_T9_mT8_S1G_bDpT10_ENKUlT_T0_E_clISt17integral_constantIbLb0EES1U_EEDaS1P_S1Q_EUlS1P_E_NS1_11comp_targetILNS1_3genE9ELNS1_11target_archE1100ELNS1_3gpuE3ELNS1_3repE0EEENS1_30default_config_static_selectorELNS0_4arch9wavefront6targetE0EEEvS12_,"axG",@progbits,_ZN7rocprim17ROCPRIM_400000_NS6detail17trampoline_kernelINS0_13select_configILj256ELj13ELNS0_17block_load_methodE3ELS4_3ELS4_3ELNS0_20block_scan_algorithmE0ELj4294967295EEENS1_25partition_config_selectorILNS1_17partition_subalgoE4EjNS0_10empty_typeEbEEZZNS1_14partition_implILS8_4ELb0ES6_15HIP_vector_typeIjLj2EENS0_17counting_iteratorIjlEEPS9_SG_NS0_5tupleIJPjSI_NS0_16reverse_iteratorISI_EEEEENSH_IJSG_SG_SG_EEES9_SI_JZNS1_25segmented_radix_sort_implINS0_14default_configELb0EPKhPhPKlPlN2at6native12_GLOBAL__N_18offset_tEEE10hipError_tPvRmT1_PNSt15iterator_traitsIS12_E10value_typeET2_T3_PNS13_IS18_E10value_typeET4_jRbjT5_S1E_jjP12ihipStream_tbEUljE_ZNSN_ISO_Lb0ESQ_SR_ST_SU_SY_EESZ_S10_S11_S12_S16_S17_S18_S1B_S1C_jS1D_jS1E_S1E_jjS1G_bEUljE0_EEESZ_S10_S11_S18_S1C_S1E_T6_T7_T9_mT8_S1G_bDpT10_ENKUlT_T0_E_clISt17integral_constantIbLb0EES1U_EEDaS1P_S1Q_EUlS1P_E_NS1_11comp_targetILNS1_3genE9ELNS1_11target_archE1100ELNS1_3gpuE3ELNS1_3repE0EEENS1_30default_config_static_selectorELNS0_4arch9wavefront6targetE0EEEvS12_,comdat
	.globl	_ZN7rocprim17ROCPRIM_400000_NS6detail17trampoline_kernelINS0_13select_configILj256ELj13ELNS0_17block_load_methodE3ELS4_3ELS4_3ELNS0_20block_scan_algorithmE0ELj4294967295EEENS1_25partition_config_selectorILNS1_17partition_subalgoE4EjNS0_10empty_typeEbEEZZNS1_14partition_implILS8_4ELb0ES6_15HIP_vector_typeIjLj2EENS0_17counting_iteratorIjlEEPS9_SG_NS0_5tupleIJPjSI_NS0_16reverse_iteratorISI_EEEEENSH_IJSG_SG_SG_EEES9_SI_JZNS1_25segmented_radix_sort_implINS0_14default_configELb0EPKhPhPKlPlN2at6native12_GLOBAL__N_18offset_tEEE10hipError_tPvRmT1_PNSt15iterator_traitsIS12_E10value_typeET2_T3_PNS13_IS18_E10value_typeET4_jRbjT5_S1E_jjP12ihipStream_tbEUljE_ZNSN_ISO_Lb0ESQ_SR_ST_SU_SY_EESZ_S10_S11_S12_S16_S17_S18_S1B_S1C_jS1D_jS1E_S1E_jjS1G_bEUljE0_EEESZ_S10_S11_S18_S1C_S1E_T6_T7_T9_mT8_S1G_bDpT10_ENKUlT_T0_E_clISt17integral_constantIbLb0EES1U_EEDaS1P_S1Q_EUlS1P_E_NS1_11comp_targetILNS1_3genE9ELNS1_11target_archE1100ELNS1_3gpuE3ELNS1_3repE0EEENS1_30default_config_static_selectorELNS0_4arch9wavefront6targetE0EEEvS12_ ; -- Begin function _ZN7rocprim17ROCPRIM_400000_NS6detail17trampoline_kernelINS0_13select_configILj256ELj13ELNS0_17block_load_methodE3ELS4_3ELS4_3ELNS0_20block_scan_algorithmE0ELj4294967295EEENS1_25partition_config_selectorILNS1_17partition_subalgoE4EjNS0_10empty_typeEbEEZZNS1_14partition_implILS8_4ELb0ES6_15HIP_vector_typeIjLj2EENS0_17counting_iteratorIjlEEPS9_SG_NS0_5tupleIJPjSI_NS0_16reverse_iteratorISI_EEEEENSH_IJSG_SG_SG_EEES9_SI_JZNS1_25segmented_radix_sort_implINS0_14default_configELb0EPKhPhPKlPlN2at6native12_GLOBAL__N_18offset_tEEE10hipError_tPvRmT1_PNSt15iterator_traitsIS12_E10value_typeET2_T3_PNS13_IS18_E10value_typeET4_jRbjT5_S1E_jjP12ihipStream_tbEUljE_ZNSN_ISO_Lb0ESQ_SR_ST_SU_SY_EESZ_S10_S11_S12_S16_S17_S18_S1B_S1C_jS1D_jS1E_S1E_jjS1G_bEUljE0_EEESZ_S10_S11_S18_S1C_S1E_T6_T7_T9_mT8_S1G_bDpT10_ENKUlT_T0_E_clISt17integral_constantIbLb0EES1U_EEDaS1P_S1Q_EUlS1P_E_NS1_11comp_targetILNS1_3genE9ELNS1_11target_archE1100ELNS1_3gpuE3ELNS1_3repE0EEENS1_30default_config_static_selectorELNS0_4arch9wavefront6targetE0EEEvS12_
	.p2align	8
	.type	_ZN7rocprim17ROCPRIM_400000_NS6detail17trampoline_kernelINS0_13select_configILj256ELj13ELNS0_17block_load_methodE3ELS4_3ELS4_3ELNS0_20block_scan_algorithmE0ELj4294967295EEENS1_25partition_config_selectorILNS1_17partition_subalgoE4EjNS0_10empty_typeEbEEZZNS1_14partition_implILS8_4ELb0ES6_15HIP_vector_typeIjLj2EENS0_17counting_iteratorIjlEEPS9_SG_NS0_5tupleIJPjSI_NS0_16reverse_iteratorISI_EEEEENSH_IJSG_SG_SG_EEES9_SI_JZNS1_25segmented_radix_sort_implINS0_14default_configELb0EPKhPhPKlPlN2at6native12_GLOBAL__N_18offset_tEEE10hipError_tPvRmT1_PNSt15iterator_traitsIS12_E10value_typeET2_T3_PNS13_IS18_E10value_typeET4_jRbjT5_S1E_jjP12ihipStream_tbEUljE_ZNSN_ISO_Lb0ESQ_SR_ST_SU_SY_EESZ_S10_S11_S12_S16_S17_S18_S1B_S1C_jS1D_jS1E_S1E_jjS1G_bEUljE0_EEESZ_S10_S11_S18_S1C_S1E_T6_T7_T9_mT8_S1G_bDpT10_ENKUlT_T0_E_clISt17integral_constantIbLb0EES1U_EEDaS1P_S1Q_EUlS1P_E_NS1_11comp_targetILNS1_3genE9ELNS1_11target_archE1100ELNS1_3gpuE3ELNS1_3repE0EEENS1_30default_config_static_selectorELNS0_4arch9wavefront6targetE0EEEvS12_,@function
_ZN7rocprim17ROCPRIM_400000_NS6detail17trampoline_kernelINS0_13select_configILj256ELj13ELNS0_17block_load_methodE3ELS4_3ELS4_3ELNS0_20block_scan_algorithmE0ELj4294967295EEENS1_25partition_config_selectorILNS1_17partition_subalgoE4EjNS0_10empty_typeEbEEZZNS1_14partition_implILS8_4ELb0ES6_15HIP_vector_typeIjLj2EENS0_17counting_iteratorIjlEEPS9_SG_NS0_5tupleIJPjSI_NS0_16reverse_iteratorISI_EEEEENSH_IJSG_SG_SG_EEES9_SI_JZNS1_25segmented_radix_sort_implINS0_14default_configELb0EPKhPhPKlPlN2at6native12_GLOBAL__N_18offset_tEEE10hipError_tPvRmT1_PNSt15iterator_traitsIS12_E10value_typeET2_T3_PNS13_IS18_E10value_typeET4_jRbjT5_S1E_jjP12ihipStream_tbEUljE_ZNSN_ISO_Lb0ESQ_SR_ST_SU_SY_EESZ_S10_S11_S12_S16_S17_S18_S1B_S1C_jS1D_jS1E_S1E_jjS1G_bEUljE0_EEESZ_S10_S11_S18_S1C_S1E_T6_T7_T9_mT8_S1G_bDpT10_ENKUlT_T0_E_clISt17integral_constantIbLb0EES1U_EEDaS1P_S1Q_EUlS1P_E_NS1_11comp_targetILNS1_3genE9ELNS1_11target_archE1100ELNS1_3gpuE3ELNS1_3repE0EEENS1_30default_config_static_selectorELNS0_4arch9wavefront6targetE0EEEvS12_: ; @_ZN7rocprim17ROCPRIM_400000_NS6detail17trampoline_kernelINS0_13select_configILj256ELj13ELNS0_17block_load_methodE3ELS4_3ELS4_3ELNS0_20block_scan_algorithmE0ELj4294967295EEENS1_25partition_config_selectorILNS1_17partition_subalgoE4EjNS0_10empty_typeEbEEZZNS1_14partition_implILS8_4ELb0ES6_15HIP_vector_typeIjLj2EENS0_17counting_iteratorIjlEEPS9_SG_NS0_5tupleIJPjSI_NS0_16reverse_iteratorISI_EEEEENSH_IJSG_SG_SG_EEES9_SI_JZNS1_25segmented_radix_sort_implINS0_14default_configELb0EPKhPhPKlPlN2at6native12_GLOBAL__N_18offset_tEEE10hipError_tPvRmT1_PNSt15iterator_traitsIS12_E10value_typeET2_T3_PNS13_IS18_E10value_typeET4_jRbjT5_S1E_jjP12ihipStream_tbEUljE_ZNSN_ISO_Lb0ESQ_SR_ST_SU_SY_EESZ_S10_S11_S12_S16_S17_S18_S1B_S1C_jS1D_jS1E_S1E_jjS1G_bEUljE0_EEESZ_S10_S11_S18_S1C_S1E_T6_T7_T9_mT8_S1G_bDpT10_ENKUlT_T0_E_clISt17integral_constantIbLb0EES1U_EEDaS1P_S1Q_EUlS1P_E_NS1_11comp_targetILNS1_3genE9ELNS1_11target_archE1100ELNS1_3gpuE3ELNS1_3repE0EEENS1_30default_config_static_selectorELNS0_4arch9wavefront6targetE0EEEvS12_
; %bb.0:
	.section	.rodata,"a",@progbits
	.p2align	6, 0x0
	.amdhsa_kernel _ZN7rocprim17ROCPRIM_400000_NS6detail17trampoline_kernelINS0_13select_configILj256ELj13ELNS0_17block_load_methodE3ELS4_3ELS4_3ELNS0_20block_scan_algorithmE0ELj4294967295EEENS1_25partition_config_selectorILNS1_17partition_subalgoE4EjNS0_10empty_typeEbEEZZNS1_14partition_implILS8_4ELb0ES6_15HIP_vector_typeIjLj2EENS0_17counting_iteratorIjlEEPS9_SG_NS0_5tupleIJPjSI_NS0_16reverse_iteratorISI_EEEEENSH_IJSG_SG_SG_EEES9_SI_JZNS1_25segmented_radix_sort_implINS0_14default_configELb0EPKhPhPKlPlN2at6native12_GLOBAL__N_18offset_tEEE10hipError_tPvRmT1_PNSt15iterator_traitsIS12_E10value_typeET2_T3_PNS13_IS18_E10value_typeET4_jRbjT5_S1E_jjP12ihipStream_tbEUljE_ZNSN_ISO_Lb0ESQ_SR_ST_SU_SY_EESZ_S10_S11_S12_S16_S17_S18_S1B_S1C_jS1D_jS1E_S1E_jjS1G_bEUljE0_EEESZ_S10_S11_S18_S1C_S1E_T6_T7_T9_mT8_S1G_bDpT10_ENKUlT_T0_E_clISt17integral_constantIbLb0EES1U_EEDaS1P_S1Q_EUlS1P_E_NS1_11comp_targetILNS1_3genE9ELNS1_11target_archE1100ELNS1_3gpuE3ELNS1_3repE0EEENS1_30default_config_static_selectorELNS0_4arch9wavefront6targetE0EEEvS12_
		.amdhsa_group_segment_fixed_size 0
		.amdhsa_private_segment_fixed_size 0
		.amdhsa_kernarg_size 176
		.amdhsa_user_sgpr_count 2
		.amdhsa_user_sgpr_dispatch_ptr 0
		.amdhsa_user_sgpr_queue_ptr 0
		.amdhsa_user_sgpr_kernarg_segment_ptr 1
		.amdhsa_user_sgpr_dispatch_id 0
		.amdhsa_user_sgpr_private_segment_size 0
		.amdhsa_wavefront_size32 1
		.amdhsa_uses_dynamic_stack 0
		.amdhsa_enable_private_segment 0
		.amdhsa_system_sgpr_workgroup_id_x 1
		.amdhsa_system_sgpr_workgroup_id_y 0
		.amdhsa_system_sgpr_workgroup_id_z 0
		.amdhsa_system_sgpr_workgroup_info 0
		.amdhsa_system_vgpr_workitem_id 0
		.amdhsa_next_free_vgpr 1
		.amdhsa_next_free_sgpr 1
		.amdhsa_reserve_vcc 0
		.amdhsa_float_round_mode_32 0
		.amdhsa_float_round_mode_16_64 0
		.amdhsa_float_denorm_mode_32 3
		.amdhsa_float_denorm_mode_16_64 3
		.amdhsa_fp16_overflow 0
		.amdhsa_workgroup_processor_mode 1
		.amdhsa_memory_ordered 1
		.amdhsa_forward_progress 1
		.amdhsa_inst_pref_size 0
		.amdhsa_round_robin_scheduling 0
		.amdhsa_exception_fp_ieee_invalid_op 0
		.amdhsa_exception_fp_denorm_src 0
		.amdhsa_exception_fp_ieee_div_zero 0
		.amdhsa_exception_fp_ieee_overflow 0
		.amdhsa_exception_fp_ieee_underflow 0
		.amdhsa_exception_fp_ieee_inexact 0
		.amdhsa_exception_int_div_zero 0
	.end_amdhsa_kernel
	.section	.text._ZN7rocprim17ROCPRIM_400000_NS6detail17trampoline_kernelINS0_13select_configILj256ELj13ELNS0_17block_load_methodE3ELS4_3ELS4_3ELNS0_20block_scan_algorithmE0ELj4294967295EEENS1_25partition_config_selectorILNS1_17partition_subalgoE4EjNS0_10empty_typeEbEEZZNS1_14partition_implILS8_4ELb0ES6_15HIP_vector_typeIjLj2EENS0_17counting_iteratorIjlEEPS9_SG_NS0_5tupleIJPjSI_NS0_16reverse_iteratorISI_EEEEENSH_IJSG_SG_SG_EEES9_SI_JZNS1_25segmented_radix_sort_implINS0_14default_configELb0EPKhPhPKlPlN2at6native12_GLOBAL__N_18offset_tEEE10hipError_tPvRmT1_PNSt15iterator_traitsIS12_E10value_typeET2_T3_PNS13_IS18_E10value_typeET4_jRbjT5_S1E_jjP12ihipStream_tbEUljE_ZNSN_ISO_Lb0ESQ_SR_ST_SU_SY_EESZ_S10_S11_S12_S16_S17_S18_S1B_S1C_jS1D_jS1E_S1E_jjS1G_bEUljE0_EEESZ_S10_S11_S18_S1C_S1E_T6_T7_T9_mT8_S1G_bDpT10_ENKUlT_T0_E_clISt17integral_constantIbLb0EES1U_EEDaS1P_S1Q_EUlS1P_E_NS1_11comp_targetILNS1_3genE9ELNS1_11target_archE1100ELNS1_3gpuE3ELNS1_3repE0EEENS1_30default_config_static_selectorELNS0_4arch9wavefront6targetE0EEEvS12_,"axG",@progbits,_ZN7rocprim17ROCPRIM_400000_NS6detail17trampoline_kernelINS0_13select_configILj256ELj13ELNS0_17block_load_methodE3ELS4_3ELS4_3ELNS0_20block_scan_algorithmE0ELj4294967295EEENS1_25partition_config_selectorILNS1_17partition_subalgoE4EjNS0_10empty_typeEbEEZZNS1_14partition_implILS8_4ELb0ES6_15HIP_vector_typeIjLj2EENS0_17counting_iteratorIjlEEPS9_SG_NS0_5tupleIJPjSI_NS0_16reverse_iteratorISI_EEEEENSH_IJSG_SG_SG_EEES9_SI_JZNS1_25segmented_radix_sort_implINS0_14default_configELb0EPKhPhPKlPlN2at6native12_GLOBAL__N_18offset_tEEE10hipError_tPvRmT1_PNSt15iterator_traitsIS12_E10value_typeET2_T3_PNS13_IS18_E10value_typeET4_jRbjT5_S1E_jjP12ihipStream_tbEUljE_ZNSN_ISO_Lb0ESQ_SR_ST_SU_SY_EESZ_S10_S11_S12_S16_S17_S18_S1B_S1C_jS1D_jS1E_S1E_jjS1G_bEUljE0_EEESZ_S10_S11_S18_S1C_S1E_T6_T7_T9_mT8_S1G_bDpT10_ENKUlT_T0_E_clISt17integral_constantIbLb0EES1U_EEDaS1P_S1Q_EUlS1P_E_NS1_11comp_targetILNS1_3genE9ELNS1_11target_archE1100ELNS1_3gpuE3ELNS1_3repE0EEENS1_30default_config_static_selectorELNS0_4arch9wavefront6targetE0EEEvS12_,comdat
.Lfunc_end128:
	.size	_ZN7rocprim17ROCPRIM_400000_NS6detail17trampoline_kernelINS0_13select_configILj256ELj13ELNS0_17block_load_methodE3ELS4_3ELS4_3ELNS0_20block_scan_algorithmE0ELj4294967295EEENS1_25partition_config_selectorILNS1_17partition_subalgoE4EjNS0_10empty_typeEbEEZZNS1_14partition_implILS8_4ELb0ES6_15HIP_vector_typeIjLj2EENS0_17counting_iteratorIjlEEPS9_SG_NS0_5tupleIJPjSI_NS0_16reverse_iteratorISI_EEEEENSH_IJSG_SG_SG_EEES9_SI_JZNS1_25segmented_radix_sort_implINS0_14default_configELb0EPKhPhPKlPlN2at6native12_GLOBAL__N_18offset_tEEE10hipError_tPvRmT1_PNSt15iterator_traitsIS12_E10value_typeET2_T3_PNS13_IS18_E10value_typeET4_jRbjT5_S1E_jjP12ihipStream_tbEUljE_ZNSN_ISO_Lb0ESQ_SR_ST_SU_SY_EESZ_S10_S11_S12_S16_S17_S18_S1B_S1C_jS1D_jS1E_S1E_jjS1G_bEUljE0_EEESZ_S10_S11_S18_S1C_S1E_T6_T7_T9_mT8_S1G_bDpT10_ENKUlT_T0_E_clISt17integral_constantIbLb0EES1U_EEDaS1P_S1Q_EUlS1P_E_NS1_11comp_targetILNS1_3genE9ELNS1_11target_archE1100ELNS1_3gpuE3ELNS1_3repE0EEENS1_30default_config_static_selectorELNS0_4arch9wavefront6targetE0EEEvS12_, .Lfunc_end128-_ZN7rocprim17ROCPRIM_400000_NS6detail17trampoline_kernelINS0_13select_configILj256ELj13ELNS0_17block_load_methodE3ELS4_3ELS4_3ELNS0_20block_scan_algorithmE0ELj4294967295EEENS1_25partition_config_selectorILNS1_17partition_subalgoE4EjNS0_10empty_typeEbEEZZNS1_14partition_implILS8_4ELb0ES6_15HIP_vector_typeIjLj2EENS0_17counting_iteratorIjlEEPS9_SG_NS0_5tupleIJPjSI_NS0_16reverse_iteratorISI_EEEEENSH_IJSG_SG_SG_EEES9_SI_JZNS1_25segmented_radix_sort_implINS0_14default_configELb0EPKhPhPKlPlN2at6native12_GLOBAL__N_18offset_tEEE10hipError_tPvRmT1_PNSt15iterator_traitsIS12_E10value_typeET2_T3_PNS13_IS18_E10value_typeET4_jRbjT5_S1E_jjP12ihipStream_tbEUljE_ZNSN_ISO_Lb0ESQ_SR_ST_SU_SY_EESZ_S10_S11_S12_S16_S17_S18_S1B_S1C_jS1D_jS1E_S1E_jjS1G_bEUljE0_EEESZ_S10_S11_S18_S1C_S1E_T6_T7_T9_mT8_S1G_bDpT10_ENKUlT_T0_E_clISt17integral_constantIbLb0EES1U_EEDaS1P_S1Q_EUlS1P_E_NS1_11comp_targetILNS1_3genE9ELNS1_11target_archE1100ELNS1_3gpuE3ELNS1_3repE0EEENS1_30default_config_static_selectorELNS0_4arch9wavefront6targetE0EEEvS12_
                                        ; -- End function
	.set _ZN7rocprim17ROCPRIM_400000_NS6detail17trampoline_kernelINS0_13select_configILj256ELj13ELNS0_17block_load_methodE3ELS4_3ELS4_3ELNS0_20block_scan_algorithmE0ELj4294967295EEENS1_25partition_config_selectorILNS1_17partition_subalgoE4EjNS0_10empty_typeEbEEZZNS1_14partition_implILS8_4ELb0ES6_15HIP_vector_typeIjLj2EENS0_17counting_iteratorIjlEEPS9_SG_NS0_5tupleIJPjSI_NS0_16reverse_iteratorISI_EEEEENSH_IJSG_SG_SG_EEES9_SI_JZNS1_25segmented_radix_sort_implINS0_14default_configELb0EPKhPhPKlPlN2at6native12_GLOBAL__N_18offset_tEEE10hipError_tPvRmT1_PNSt15iterator_traitsIS12_E10value_typeET2_T3_PNS13_IS18_E10value_typeET4_jRbjT5_S1E_jjP12ihipStream_tbEUljE_ZNSN_ISO_Lb0ESQ_SR_ST_SU_SY_EESZ_S10_S11_S12_S16_S17_S18_S1B_S1C_jS1D_jS1E_S1E_jjS1G_bEUljE0_EEESZ_S10_S11_S18_S1C_S1E_T6_T7_T9_mT8_S1G_bDpT10_ENKUlT_T0_E_clISt17integral_constantIbLb0EES1U_EEDaS1P_S1Q_EUlS1P_E_NS1_11comp_targetILNS1_3genE9ELNS1_11target_archE1100ELNS1_3gpuE3ELNS1_3repE0EEENS1_30default_config_static_selectorELNS0_4arch9wavefront6targetE0EEEvS12_.num_vgpr, 0
	.set _ZN7rocprim17ROCPRIM_400000_NS6detail17trampoline_kernelINS0_13select_configILj256ELj13ELNS0_17block_load_methodE3ELS4_3ELS4_3ELNS0_20block_scan_algorithmE0ELj4294967295EEENS1_25partition_config_selectorILNS1_17partition_subalgoE4EjNS0_10empty_typeEbEEZZNS1_14partition_implILS8_4ELb0ES6_15HIP_vector_typeIjLj2EENS0_17counting_iteratorIjlEEPS9_SG_NS0_5tupleIJPjSI_NS0_16reverse_iteratorISI_EEEEENSH_IJSG_SG_SG_EEES9_SI_JZNS1_25segmented_radix_sort_implINS0_14default_configELb0EPKhPhPKlPlN2at6native12_GLOBAL__N_18offset_tEEE10hipError_tPvRmT1_PNSt15iterator_traitsIS12_E10value_typeET2_T3_PNS13_IS18_E10value_typeET4_jRbjT5_S1E_jjP12ihipStream_tbEUljE_ZNSN_ISO_Lb0ESQ_SR_ST_SU_SY_EESZ_S10_S11_S12_S16_S17_S18_S1B_S1C_jS1D_jS1E_S1E_jjS1G_bEUljE0_EEESZ_S10_S11_S18_S1C_S1E_T6_T7_T9_mT8_S1G_bDpT10_ENKUlT_T0_E_clISt17integral_constantIbLb0EES1U_EEDaS1P_S1Q_EUlS1P_E_NS1_11comp_targetILNS1_3genE9ELNS1_11target_archE1100ELNS1_3gpuE3ELNS1_3repE0EEENS1_30default_config_static_selectorELNS0_4arch9wavefront6targetE0EEEvS12_.num_agpr, 0
	.set _ZN7rocprim17ROCPRIM_400000_NS6detail17trampoline_kernelINS0_13select_configILj256ELj13ELNS0_17block_load_methodE3ELS4_3ELS4_3ELNS0_20block_scan_algorithmE0ELj4294967295EEENS1_25partition_config_selectorILNS1_17partition_subalgoE4EjNS0_10empty_typeEbEEZZNS1_14partition_implILS8_4ELb0ES6_15HIP_vector_typeIjLj2EENS0_17counting_iteratorIjlEEPS9_SG_NS0_5tupleIJPjSI_NS0_16reverse_iteratorISI_EEEEENSH_IJSG_SG_SG_EEES9_SI_JZNS1_25segmented_radix_sort_implINS0_14default_configELb0EPKhPhPKlPlN2at6native12_GLOBAL__N_18offset_tEEE10hipError_tPvRmT1_PNSt15iterator_traitsIS12_E10value_typeET2_T3_PNS13_IS18_E10value_typeET4_jRbjT5_S1E_jjP12ihipStream_tbEUljE_ZNSN_ISO_Lb0ESQ_SR_ST_SU_SY_EESZ_S10_S11_S12_S16_S17_S18_S1B_S1C_jS1D_jS1E_S1E_jjS1G_bEUljE0_EEESZ_S10_S11_S18_S1C_S1E_T6_T7_T9_mT8_S1G_bDpT10_ENKUlT_T0_E_clISt17integral_constantIbLb0EES1U_EEDaS1P_S1Q_EUlS1P_E_NS1_11comp_targetILNS1_3genE9ELNS1_11target_archE1100ELNS1_3gpuE3ELNS1_3repE0EEENS1_30default_config_static_selectorELNS0_4arch9wavefront6targetE0EEEvS12_.numbered_sgpr, 0
	.set _ZN7rocprim17ROCPRIM_400000_NS6detail17trampoline_kernelINS0_13select_configILj256ELj13ELNS0_17block_load_methodE3ELS4_3ELS4_3ELNS0_20block_scan_algorithmE0ELj4294967295EEENS1_25partition_config_selectorILNS1_17partition_subalgoE4EjNS0_10empty_typeEbEEZZNS1_14partition_implILS8_4ELb0ES6_15HIP_vector_typeIjLj2EENS0_17counting_iteratorIjlEEPS9_SG_NS0_5tupleIJPjSI_NS0_16reverse_iteratorISI_EEEEENSH_IJSG_SG_SG_EEES9_SI_JZNS1_25segmented_radix_sort_implINS0_14default_configELb0EPKhPhPKlPlN2at6native12_GLOBAL__N_18offset_tEEE10hipError_tPvRmT1_PNSt15iterator_traitsIS12_E10value_typeET2_T3_PNS13_IS18_E10value_typeET4_jRbjT5_S1E_jjP12ihipStream_tbEUljE_ZNSN_ISO_Lb0ESQ_SR_ST_SU_SY_EESZ_S10_S11_S12_S16_S17_S18_S1B_S1C_jS1D_jS1E_S1E_jjS1G_bEUljE0_EEESZ_S10_S11_S18_S1C_S1E_T6_T7_T9_mT8_S1G_bDpT10_ENKUlT_T0_E_clISt17integral_constantIbLb0EES1U_EEDaS1P_S1Q_EUlS1P_E_NS1_11comp_targetILNS1_3genE9ELNS1_11target_archE1100ELNS1_3gpuE3ELNS1_3repE0EEENS1_30default_config_static_selectorELNS0_4arch9wavefront6targetE0EEEvS12_.num_named_barrier, 0
	.set _ZN7rocprim17ROCPRIM_400000_NS6detail17trampoline_kernelINS0_13select_configILj256ELj13ELNS0_17block_load_methodE3ELS4_3ELS4_3ELNS0_20block_scan_algorithmE0ELj4294967295EEENS1_25partition_config_selectorILNS1_17partition_subalgoE4EjNS0_10empty_typeEbEEZZNS1_14partition_implILS8_4ELb0ES6_15HIP_vector_typeIjLj2EENS0_17counting_iteratorIjlEEPS9_SG_NS0_5tupleIJPjSI_NS0_16reverse_iteratorISI_EEEEENSH_IJSG_SG_SG_EEES9_SI_JZNS1_25segmented_radix_sort_implINS0_14default_configELb0EPKhPhPKlPlN2at6native12_GLOBAL__N_18offset_tEEE10hipError_tPvRmT1_PNSt15iterator_traitsIS12_E10value_typeET2_T3_PNS13_IS18_E10value_typeET4_jRbjT5_S1E_jjP12ihipStream_tbEUljE_ZNSN_ISO_Lb0ESQ_SR_ST_SU_SY_EESZ_S10_S11_S12_S16_S17_S18_S1B_S1C_jS1D_jS1E_S1E_jjS1G_bEUljE0_EEESZ_S10_S11_S18_S1C_S1E_T6_T7_T9_mT8_S1G_bDpT10_ENKUlT_T0_E_clISt17integral_constantIbLb0EES1U_EEDaS1P_S1Q_EUlS1P_E_NS1_11comp_targetILNS1_3genE9ELNS1_11target_archE1100ELNS1_3gpuE3ELNS1_3repE0EEENS1_30default_config_static_selectorELNS0_4arch9wavefront6targetE0EEEvS12_.private_seg_size, 0
	.set _ZN7rocprim17ROCPRIM_400000_NS6detail17trampoline_kernelINS0_13select_configILj256ELj13ELNS0_17block_load_methodE3ELS4_3ELS4_3ELNS0_20block_scan_algorithmE0ELj4294967295EEENS1_25partition_config_selectorILNS1_17partition_subalgoE4EjNS0_10empty_typeEbEEZZNS1_14partition_implILS8_4ELb0ES6_15HIP_vector_typeIjLj2EENS0_17counting_iteratorIjlEEPS9_SG_NS0_5tupleIJPjSI_NS0_16reverse_iteratorISI_EEEEENSH_IJSG_SG_SG_EEES9_SI_JZNS1_25segmented_radix_sort_implINS0_14default_configELb0EPKhPhPKlPlN2at6native12_GLOBAL__N_18offset_tEEE10hipError_tPvRmT1_PNSt15iterator_traitsIS12_E10value_typeET2_T3_PNS13_IS18_E10value_typeET4_jRbjT5_S1E_jjP12ihipStream_tbEUljE_ZNSN_ISO_Lb0ESQ_SR_ST_SU_SY_EESZ_S10_S11_S12_S16_S17_S18_S1B_S1C_jS1D_jS1E_S1E_jjS1G_bEUljE0_EEESZ_S10_S11_S18_S1C_S1E_T6_T7_T9_mT8_S1G_bDpT10_ENKUlT_T0_E_clISt17integral_constantIbLb0EES1U_EEDaS1P_S1Q_EUlS1P_E_NS1_11comp_targetILNS1_3genE9ELNS1_11target_archE1100ELNS1_3gpuE3ELNS1_3repE0EEENS1_30default_config_static_selectorELNS0_4arch9wavefront6targetE0EEEvS12_.uses_vcc, 0
	.set _ZN7rocprim17ROCPRIM_400000_NS6detail17trampoline_kernelINS0_13select_configILj256ELj13ELNS0_17block_load_methodE3ELS4_3ELS4_3ELNS0_20block_scan_algorithmE0ELj4294967295EEENS1_25partition_config_selectorILNS1_17partition_subalgoE4EjNS0_10empty_typeEbEEZZNS1_14partition_implILS8_4ELb0ES6_15HIP_vector_typeIjLj2EENS0_17counting_iteratorIjlEEPS9_SG_NS0_5tupleIJPjSI_NS0_16reverse_iteratorISI_EEEEENSH_IJSG_SG_SG_EEES9_SI_JZNS1_25segmented_radix_sort_implINS0_14default_configELb0EPKhPhPKlPlN2at6native12_GLOBAL__N_18offset_tEEE10hipError_tPvRmT1_PNSt15iterator_traitsIS12_E10value_typeET2_T3_PNS13_IS18_E10value_typeET4_jRbjT5_S1E_jjP12ihipStream_tbEUljE_ZNSN_ISO_Lb0ESQ_SR_ST_SU_SY_EESZ_S10_S11_S12_S16_S17_S18_S1B_S1C_jS1D_jS1E_S1E_jjS1G_bEUljE0_EEESZ_S10_S11_S18_S1C_S1E_T6_T7_T9_mT8_S1G_bDpT10_ENKUlT_T0_E_clISt17integral_constantIbLb0EES1U_EEDaS1P_S1Q_EUlS1P_E_NS1_11comp_targetILNS1_3genE9ELNS1_11target_archE1100ELNS1_3gpuE3ELNS1_3repE0EEENS1_30default_config_static_selectorELNS0_4arch9wavefront6targetE0EEEvS12_.uses_flat_scratch, 0
	.set _ZN7rocprim17ROCPRIM_400000_NS6detail17trampoline_kernelINS0_13select_configILj256ELj13ELNS0_17block_load_methodE3ELS4_3ELS4_3ELNS0_20block_scan_algorithmE0ELj4294967295EEENS1_25partition_config_selectorILNS1_17partition_subalgoE4EjNS0_10empty_typeEbEEZZNS1_14partition_implILS8_4ELb0ES6_15HIP_vector_typeIjLj2EENS0_17counting_iteratorIjlEEPS9_SG_NS0_5tupleIJPjSI_NS0_16reverse_iteratorISI_EEEEENSH_IJSG_SG_SG_EEES9_SI_JZNS1_25segmented_radix_sort_implINS0_14default_configELb0EPKhPhPKlPlN2at6native12_GLOBAL__N_18offset_tEEE10hipError_tPvRmT1_PNSt15iterator_traitsIS12_E10value_typeET2_T3_PNS13_IS18_E10value_typeET4_jRbjT5_S1E_jjP12ihipStream_tbEUljE_ZNSN_ISO_Lb0ESQ_SR_ST_SU_SY_EESZ_S10_S11_S12_S16_S17_S18_S1B_S1C_jS1D_jS1E_S1E_jjS1G_bEUljE0_EEESZ_S10_S11_S18_S1C_S1E_T6_T7_T9_mT8_S1G_bDpT10_ENKUlT_T0_E_clISt17integral_constantIbLb0EES1U_EEDaS1P_S1Q_EUlS1P_E_NS1_11comp_targetILNS1_3genE9ELNS1_11target_archE1100ELNS1_3gpuE3ELNS1_3repE0EEENS1_30default_config_static_selectorELNS0_4arch9wavefront6targetE0EEEvS12_.has_dyn_sized_stack, 0
	.set _ZN7rocprim17ROCPRIM_400000_NS6detail17trampoline_kernelINS0_13select_configILj256ELj13ELNS0_17block_load_methodE3ELS4_3ELS4_3ELNS0_20block_scan_algorithmE0ELj4294967295EEENS1_25partition_config_selectorILNS1_17partition_subalgoE4EjNS0_10empty_typeEbEEZZNS1_14partition_implILS8_4ELb0ES6_15HIP_vector_typeIjLj2EENS0_17counting_iteratorIjlEEPS9_SG_NS0_5tupleIJPjSI_NS0_16reverse_iteratorISI_EEEEENSH_IJSG_SG_SG_EEES9_SI_JZNS1_25segmented_radix_sort_implINS0_14default_configELb0EPKhPhPKlPlN2at6native12_GLOBAL__N_18offset_tEEE10hipError_tPvRmT1_PNSt15iterator_traitsIS12_E10value_typeET2_T3_PNS13_IS18_E10value_typeET4_jRbjT5_S1E_jjP12ihipStream_tbEUljE_ZNSN_ISO_Lb0ESQ_SR_ST_SU_SY_EESZ_S10_S11_S12_S16_S17_S18_S1B_S1C_jS1D_jS1E_S1E_jjS1G_bEUljE0_EEESZ_S10_S11_S18_S1C_S1E_T6_T7_T9_mT8_S1G_bDpT10_ENKUlT_T0_E_clISt17integral_constantIbLb0EES1U_EEDaS1P_S1Q_EUlS1P_E_NS1_11comp_targetILNS1_3genE9ELNS1_11target_archE1100ELNS1_3gpuE3ELNS1_3repE0EEENS1_30default_config_static_selectorELNS0_4arch9wavefront6targetE0EEEvS12_.has_recursion, 0
	.set _ZN7rocprim17ROCPRIM_400000_NS6detail17trampoline_kernelINS0_13select_configILj256ELj13ELNS0_17block_load_methodE3ELS4_3ELS4_3ELNS0_20block_scan_algorithmE0ELj4294967295EEENS1_25partition_config_selectorILNS1_17partition_subalgoE4EjNS0_10empty_typeEbEEZZNS1_14partition_implILS8_4ELb0ES6_15HIP_vector_typeIjLj2EENS0_17counting_iteratorIjlEEPS9_SG_NS0_5tupleIJPjSI_NS0_16reverse_iteratorISI_EEEEENSH_IJSG_SG_SG_EEES9_SI_JZNS1_25segmented_radix_sort_implINS0_14default_configELb0EPKhPhPKlPlN2at6native12_GLOBAL__N_18offset_tEEE10hipError_tPvRmT1_PNSt15iterator_traitsIS12_E10value_typeET2_T3_PNS13_IS18_E10value_typeET4_jRbjT5_S1E_jjP12ihipStream_tbEUljE_ZNSN_ISO_Lb0ESQ_SR_ST_SU_SY_EESZ_S10_S11_S12_S16_S17_S18_S1B_S1C_jS1D_jS1E_S1E_jjS1G_bEUljE0_EEESZ_S10_S11_S18_S1C_S1E_T6_T7_T9_mT8_S1G_bDpT10_ENKUlT_T0_E_clISt17integral_constantIbLb0EES1U_EEDaS1P_S1Q_EUlS1P_E_NS1_11comp_targetILNS1_3genE9ELNS1_11target_archE1100ELNS1_3gpuE3ELNS1_3repE0EEENS1_30default_config_static_selectorELNS0_4arch9wavefront6targetE0EEEvS12_.has_indirect_call, 0
	.section	.AMDGPU.csdata,"",@progbits
; Kernel info:
; codeLenInByte = 0
; TotalNumSgprs: 0
; NumVgprs: 0
; ScratchSize: 0
; MemoryBound: 0
; FloatMode: 240
; IeeeMode: 1
; LDSByteSize: 0 bytes/workgroup (compile time only)
; SGPRBlocks: 0
; VGPRBlocks: 0
; NumSGPRsForWavesPerEU: 1
; NumVGPRsForWavesPerEU: 1
; Occupancy: 16
; WaveLimiterHint : 0
; COMPUTE_PGM_RSRC2:SCRATCH_EN: 0
; COMPUTE_PGM_RSRC2:USER_SGPR: 2
; COMPUTE_PGM_RSRC2:TRAP_HANDLER: 0
; COMPUTE_PGM_RSRC2:TGID_X_EN: 1
; COMPUTE_PGM_RSRC2:TGID_Y_EN: 0
; COMPUTE_PGM_RSRC2:TGID_Z_EN: 0
; COMPUTE_PGM_RSRC2:TIDIG_COMP_CNT: 0
	.section	.text._ZN7rocprim17ROCPRIM_400000_NS6detail17trampoline_kernelINS0_13select_configILj256ELj13ELNS0_17block_load_methodE3ELS4_3ELS4_3ELNS0_20block_scan_algorithmE0ELj4294967295EEENS1_25partition_config_selectorILNS1_17partition_subalgoE4EjNS0_10empty_typeEbEEZZNS1_14partition_implILS8_4ELb0ES6_15HIP_vector_typeIjLj2EENS0_17counting_iteratorIjlEEPS9_SG_NS0_5tupleIJPjSI_NS0_16reverse_iteratorISI_EEEEENSH_IJSG_SG_SG_EEES9_SI_JZNS1_25segmented_radix_sort_implINS0_14default_configELb0EPKhPhPKlPlN2at6native12_GLOBAL__N_18offset_tEEE10hipError_tPvRmT1_PNSt15iterator_traitsIS12_E10value_typeET2_T3_PNS13_IS18_E10value_typeET4_jRbjT5_S1E_jjP12ihipStream_tbEUljE_ZNSN_ISO_Lb0ESQ_SR_ST_SU_SY_EESZ_S10_S11_S12_S16_S17_S18_S1B_S1C_jS1D_jS1E_S1E_jjS1G_bEUljE0_EEESZ_S10_S11_S18_S1C_S1E_T6_T7_T9_mT8_S1G_bDpT10_ENKUlT_T0_E_clISt17integral_constantIbLb0EES1U_EEDaS1P_S1Q_EUlS1P_E_NS1_11comp_targetILNS1_3genE8ELNS1_11target_archE1030ELNS1_3gpuE2ELNS1_3repE0EEENS1_30default_config_static_selectorELNS0_4arch9wavefront6targetE0EEEvS12_,"axG",@progbits,_ZN7rocprim17ROCPRIM_400000_NS6detail17trampoline_kernelINS0_13select_configILj256ELj13ELNS0_17block_load_methodE3ELS4_3ELS4_3ELNS0_20block_scan_algorithmE0ELj4294967295EEENS1_25partition_config_selectorILNS1_17partition_subalgoE4EjNS0_10empty_typeEbEEZZNS1_14partition_implILS8_4ELb0ES6_15HIP_vector_typeIjLj2EENS0_17counting_iteratorIjlEEPS9_SG_NS0_5tupleIJPjSI_NS0_16reverse_iteratorISI_EEEEENSH_IJSG_SG_SG_EEES9_SI_JZNS1_25segmented_radix_sort_implINS0_14default_configELb0EPKhPhPKlPlN2at6native12_GLOBAL__N_18offset_tEEE10hipError_tPvRmT1_PNSt15iterator_traitsIS12_E10value_typeET2_T3_PNS13_IS18_E10value_typeET4_jRbjT5_S1E_jjP12ihipStream_tbEUljE_ZNSN_ISO_Lb0ESQ_SR_ST_SU_SY_EESZ_S10_S11_S12_S16_S17_S18_S1B_S1C_jS1D_jS1E_S1E_jjS1G_bEUljE0_EEESZ_S10_S11_S18_S1C_S1E_T6_T7_T9_mT8_S1G_bDpT10_ENKUlT_T0_E_clISt17integral_constantIbLb0EES1U_EEDaS1P_S1Q_EUlS1P_E_NS1_11comp_targetILNS1_3genE8ELNS1_11target_archE1030ELNS1_3gpuE2ELNS1_3repE0EEENS1_30default_config_static_selectorELNS0_4arch9wavefront6targetE0EEEvS12_,comdat
	.globl	_ZN7rocprim17ROCPRIM_400000_NS6detail17trampoline_kernelINS0_13select_configILj256ELj13ELNS0_17block_load_methodE3ELS4_3ELS4_3ELNS0_20block_scan_algorithmE0ELj4294967295EEENS1_25partition_config_selectorILNS1_17partition_subalgoE4EjNS0_10empty_typeEbEEZZNS1_14partition_implILS8_4ELb0ES6_15HIP_vector_typeIjLj2EENS0_17counting_iteratorIjlEEPS9_SG_NS0_5tupleIJPjSI_NS0_16reverse_iteratorISI_EEEEENSH_IJSG_SG_SG_EEES9_SI_JZNS1_25segmented_radix_sort_implINS0_14default_configELb0EPKhPhPKlPlN2at6native12_GLOBAL__N_18offset_tEEE10hipError_tPvRmT1_PNSt15iterator_traitsIS12_E10value_typeET2_T3_PNS13_IS18_E10value_typeET4_jRbjT5_S1E_jjP12ihipStream_tbEUljE_ZNSN_ISO_Lb0ESQ_SR_ST_SU_SY_EESZ_S10_S11_S12_S16_S17_S18_S1B_S1C_jS1D_jS1E_S1E_jjS1G_bEUljE0_EEESZ_S10_S11_S18_S1C_S1E_T6_T7_T9_mT8_S1G_bDpT10_ENKUlT_T0_E_clISt17integral_constantIbLb0EES1U_EEDaS1P_S1Q_EUlS1P_E_NS1_11comp_targetILNS1_3genE8ELNS1_11target_archE1030ELNS1_3gpuE2ELNS1_3repE0EEENS1_30default_config_static_selectorELNS0_4arch9wavefront6targetE0EEEvS12_ ; -- Begin function _ZN7rocprim17ROCPRIM_400000_NS6detail17trampoline_kernelINS0_13select_configILj256ELj13ELNS0_17block_load_methodE3ELS4_3ELS4_3ELNS0_20block_scan_algorithmE0ELj4294967295EEENS1_25partition_config_selectorILNS1_17partition_subalgoE4EjNS0_10empty_typeEbEEZZNS1_14partition_implILS8_4ELb0ES6_15HIP_vector_typeIjLj2EENS0_17counting_iteratorIjlEEPS9_SG_NS0_5tupleIJPjSI_NS0_16reverse_iteratorISI_EEEEENSH_IJSG_SG_SG_EEES9_SI_JZNS1_25segmented_radix_sort_implINS0_14default_configELb0EPKhPhPKlPlN2at6native12_GLOBAL__N_18offset_tEEE10hipError_tPvRmT1_PNSt15iterator_traitsIS12_E10value_typeET2_T3_PNS13_IS18_E10value_typeET4_jRbjT5_S1E_jjP12ihipStream_tbEUljE_ZNSN_ISO_Lb0ESQ_SR_ST_SU_SY_EESZ_S10_S11_S12_S16_S17_S18_S1B_S1C_jS1D_jS1E_S1E_jjS1G_bEUljE0_EEESZ_S10_S11_S18_S1C_S1E_T6_T7_T9_mT8_S1G_bDpT10_ENKUlT_T0_E_clISt17integral_constantIbLb0EES1U_EEDaS1P_S1Q_EUlS1P_E_NS1_11comp_targetILNS1_3genE8ELNS1_11target_archE1030ELNS1_3gpuE2ELNS1_3repE0EEENS1_30default_config_static_selectorELNS0_4arch9wavefront6targetE0EEEvS12_
	.p2align	8
	.type	_ZN7rocprim17ROCPRIM_400000_NS6detail17trampoline_kernelINS0_13select_configILj256ELj13ELNS0_17block_load_methodE3ELS4_3ELS4_3ELNS0_20block_scan_algorithmE0ELj4294967295EEENS1_25partition_config_selectorILNS1_17partition_subalgoE4EjNS0_10empty_typeEbEEZZNS1_14partition_implILS8_4ELb0ES6_15HIP_vector_typeIjLj2EENS0_17counting_iteratorIjlEEPS9_SG_NS0_5tupleIJPjSI_NS0_16reverse_iteratorISI_EEEEENSH_IJSG_SG_SG_EEES9_SI_JZNS1_25segmented_radix_sort_implINS0_14default_configELb0EPKhPhPKlPlN2at6native12_GLOBAL__N_18offset_tEEE10hipError_tPvRmT1_PNSt15iterator_traitsIS12_E10value_typeET2_T3_PNS13_IS18_E10value_typeET4_jRbjT5_S1E_jjP12ihipStream_tbEUljE_ZNSN_ISO_Lb0ESQ_SR_ST_SU_SY_EESZ_S10_S11_S12_S16_S17_S18_S1B_S1C_jS1D_jS1E_S1E_jjS1G_bEUljE0_EEESZ_S10_S11_S18_S1C_S1E_T6_T7_T9_mT8_S1G_bDpT10_ENKUlT_T0_E_clISt17integral_constantIbLb0EES1U_EEDaS1P_S1Q_EUlS1P_E_NS1_11comp_targetILNS1_3genE8ELNS1_11target_archE1030ELNS1_3gpuE2ELNS1_3repE0EEENS1_30default_config_static_selectorELNS0_4arch9wavefront6targetE0EEEvS12_,@function
_ZN7rocprim17ROCPRIM_400000_NS6detail17trampoline_kernelINS0_13select_configILj256ELj13ELNS0_17block_load_methodE3ELS4_3ELS4_3ELNS0_20block_scan_algorithmE0ELj4294967295EEENS1_25partition_config_selectorILNS1_17partition_subalgoE4EjNS0_10empty_typeEbEEZZNS1_14partition_implILS8_4ELb0ES6_15HIP_vector_typeIjLj2EENS0_17counting_iteratorIjlEEPS9_SG_NS0_5tupleIJPjSI_NS0_16reverse_iteratorISI_EEEEENSH_IJSG_SG_SG_EEES9_SI_JZNS1_25segmented_radix_sort_implINS0_14default_configELb0EPKhPhPKlPlN2at6native12_GLOBAL__N_18offset_tEEE10hipError_tPvRmT1_PNSt15iterator_traitsIS12_E10value_typeET2_T3_PNS13_IS18_E10value_typeET4_jRbjT5_S1E_jjP12ihipStream_tbEUljE_ZNSN_ISO_Lb0ESQ_SR_ST_SU_SY_EESZ_S10_S11_S12_S16_S17_S18_S1B_S1C_jS1D_jS1E_S1E_jjS1G_bEUljE0_EEESZ_S10_S11_S18_S1C_S1E_T6_T7_T9_mT8_S1G_bDpT10_ENKUlT_T0_E_clISt17integral_constantIbLb0EES1U_EEDaS1P_S1Q_EUlS1P_E_NS1_11comp_targetILNS1_3genE8ELNS1_11target_archE1030ELNS1_3gpuE2ELNS1_3repE0EEENS1_30default_config_static_selectorELNS0_4arch9wavefront6targetE0EEEvS12_: ; @_ZN7rocprim17ROCPRIM_400000_NS6detail17trampoline_kernelINS0_13select_configILj256ELj13ELNS0_17block_load_methodE3ELS4_3ELS4_3ELNS0_20block_scan_algorithmE0ELj4294967295EEENS1_25partition_config_selectorILNS1_17partition_subalgoE4EjNS0_10empty_typeEbEEZZNS1_14partition_implILS8_4ELb0ES6_15HIP_vector_typeIjLj2EENS0_17counting_iteratorIjlEEPS9_SG_NS0_5tupleIJPjSI_NS0_16reverse_iteratorISI_EEEEENSH_IJSG_SG_SG_EEES9_SI_JZNS1_25segmented_radix_sort_implINS0_14default_configELb0EPKhPhPKlPlN2at6native12_GLOBAL__N_18offset_tEEE10hipError_tPvRmT1_PNSt15iterator_traitsIS12_E10value_typeET2_T3_PNS13_IS18_E10value_typeET4_jRbjT5_S1E_jjP12ihipStream_tbEUljE_ZNSN_ISO_Lb0ESQ_SR_ST_SU_SY_EESZ_S10_S11_S12_S16_S17_S18_S1B_S1C_jS1D_jS1E_S1E_jjS1G_bEUljE0_EEESZ_S10_S11_S18_S1C_S1E_T6_T7_T9_mT8_S1G_bDpT10_ENKUlT_T0_E_clISt17integral_constantIbLb0EES1U_EEDaS1P_S1Q_EUlS1P_E_NS1_11comp_targetILNS1_3genE8ELNS1_11target_archE1030ELNS1_3gpuE2ELNS1_3repE0EEENS1_30default_config_static_selectorELNS0_4arch9wavefront6targetE0EEEvS12_
; %bb.0:
	.section	.rodata,"a",@progbits
	.p2align	6, 0x0
	.amdhsa_kernel _ZN7rocprim17ROCPRIM_400000_NS6detail17trampoline_kernelINS0_13select_configILj256ELj13ELNS0_17block_load_methodE3ELS4_3ELS4_3ELNS0_20block_scan_algorithmE0ELj4294967295EEENS1_25partition_config_selectorILNS1_17partition_subalgoE4EjNS0_10empty_typeEbEEZZNS1_14partition_implILS8_4ELb0ES6_15HIP_vector_typeIjLj2EENS0_17counting_iteratorIjlEEPS9_SG_NS0_5tupleIJPjSI_NS0_16reverse_iteratorISI_EEEEENSH_IJSG_SG_SG_EEES9_SI_JZNS1_25segmented_radix_sort_implINS0_14default_configELb0EPKhPhPKlPlN2at6native12_GLOBAL__N_18offset_tEEE10hipError_tPvRmT1_PNSt15iterator_traitsIS12_E10value_typeET2_T3_PNS13_IS18_E10value_typeET4_jRbjT5_S1E_jjP12ihipStream_tbEUljE_ZNSN_ISO_Lb0ESQ_SR_ST_SU_SY_EESZ_S10_S11_S12_S16_S17_S18_S1B_S1C_jS1D_jS1E_S1E_jjS1G_bEUljE0_EEESZ_S10_S11_S18_S1C_S1E_T6_T7_T9_mT8_S1G_bDpT10_ENKUlT_T0_E_clISt17integral_constantIbLb0EES1U_EEDaS1P_S1Q_EUlS1P_E_NS1_11comp_targetILNS1_3genE8ELNS1_11target_archE1030ELNS1_3gpuE2ELNS1_3repE0EEENS1_30default_config_static_selectorELNS0_4arch9wavefront6targetE0EEEvS12_
		.amdhsa_group_segment_fixed_size 0
		.amdhsa_private_segment_fixed_size 0
		.amdhsa_kernarg_size 176
		.amdhsa_user_sgpr_count 2
		.amdhsa_user_sgpr_dispatch_ptr 0
		.amdhsa_user_sgpr_queue_ptr 0
		.amdhsa_user_sgpr_kernarg_segment_ptr 1
		.amdhsa_user_sgpr_dispatch_id 0
		.amdhsa_user_sgpr_private_segment_size 0
		.amdhsa_wavefront_size32 1
		.amdhsa_uses_dynamic_stack 0
		.amdhsa_enable_private_segment 0
		.amdhsa_system_sgpr_workgroup_id_x 1
		.amdhsa_system_sgpr_workgroup_id_y 0
		.amdhsa_system_sgpr_workgroup_id_z 0
		.amdhsa_system_sgpr_workgroup_info 0
		.amdhsa_system_vgpr_workitem_id 0
		.amdhsa_next_free_vgpr 1
		.amdhsa_next_free_sgpr 1
		.amdhsa_reserve_vcc 0
		.amdhsa_float_round_mode_32 0
		.amdhsa_float_round_mode_16_64 0
		.amdhsa_float_denorm_mode_32 3
		.amdhsa_float_denorm_mode_16_64 3
		.amdhsa_fp16_overflow 0
		.amdhsa_workgroup_processor_mode 1
		.amdhsa_memory_ordered 1
		.amdhsa_forward_progress 1
		.amdhsa_inst_pref_size 0
		.amdhsa_round_robin_scheduling 0
		.amdhsa_exception_fp_ieee_invalid_op 0
		.amdhsa_exception_fp_denorm_src 0
		.amdhsa_exception_fp_ieee_div_zero 0
		.amdhsa_exception_fp_ieee_overflow 0
		.amdhsa_exception_fp_ieee_underflow 0
		.amdhsa_exception_fp_ieee_inexact 0
		.amdhsa_exception_int_div_zero 0
	.end_amdhsa_kernel
	.section	.text._ZN7rocprim17ROCPRIM_400000_NS6detail17trampoline_kernelINS0_13select_configILj256ELj13ELNS0_17block_load_methodE3ELS4_3ELS4_3ELNS0_20block_scan_algorithmE0ELj4294967295EEENS1_25partition_config_selectorILNS1_17partition_subalgoE4EjNS0_10empty_typeEbEEZZNS1_14partition_implILS8_4ELb0ES6_15HIP_vector_typeIjLj2EENS0_17counting_iteratorIjlEEPS9_SG_NS0_5tupleIJPjSI_NS0_16reverse_iteratorISI_EEEEENSH_IJSG_SG_SG_EEES9_SI_JZNS1_25segmented_radix_sort_implINS0_14default_configELb0EPKhPhPKlPlN2at6native12_GLOBAL__N_18offset_tEEE10hipError_tPvRmT1_PNSt15iterator_traitsIS12_E10value_typeET2_T3_PNS13_IS18_E10value_typeET4_jRbjT5_S1E_jjP12ihipStream_tbEUljE_ZNSN_ISO_Lb0ESQ_SR_ST_SU_SY_EESZ_S10_S11_S12_S16_S17_S18_S1B_S1C_jS1D_jS1E_S1E_jjS1G_bEUljE0_EEESZ_S10_S11_S18_S1C_S1E_T6_T7_T9_mT8_S1G_bDpT10_ENKUlT_T0_E_clISt17integral_constantIbLb0EES1U_EEDaS1P_S1Q_EUlS1P_E_NS1_11comp_targetILNS1_3genE8ELNS1_11target_archE1030ELNS1_3gpuE2ELNS1_3repE0EEENS1_30default_config_static_selectorELNS0_4arch9wavefront6targetE0EEEvS12_,"axG",@progbits,_ZN7rocprim17ROCPRIM_400000_NS6detail17trampoline_kernelINS0_13select_configILj256ELj13ELNS0_17block_load_methodE3ELS4_3ELS4_3ELNS0_20block_scan_algorithmE0ELj4294967295EEENS1_25partition_config_selectorILNS1_17partition_subalgoE4EjNS0_10empty_typeEbEEZZNS1_14partition_implILS8_4ELb0ES6_15HIP_vector_typeIjLj2EENS0_17counting_iteratorIjlEEPS9_SG_NS0_5tupleIJPjSI_NS0_16reverse_iteratorISI_EEEEENSH_IJSG_SG_SG_EEES9_SI_JZNS1_25segmented_radix_sort_implINS0_14default_configELb0EPKhPhPKlPlN2at6native12_GLOBAL__N_18offset_tEEE10hipError_tPvRmT1_PNSt15iterator_traitsIS12_E10value_typeET2_T3_PNS13_IS18_E10value_typeET4_jRbjT5_S1E_jjP12ihipStream_tbEUljE_ZNSN_ISO_Lb0ESQ_SR_ST_SU_SY_EESZ_S10_S11_S12_S16_S17_S18_S1B_S1C_jS1D_jS1E_S1E_jjS1G_bEUljE0_EEESZ_S10_S11_S18_S1C_S1E_T6_T7_T9_mT8_S1G_bDpT10_ENKUlT_T0_E_clISt17integral_constantIbLb0EES1U_EEDaS1P_S1Q_EUlS1P_E_NS1_11comp_targetILNS1_3genE8ELNS1_11target_archE1030ELNS1_3gpuE2ELNS1_3repE0EEENS1_30default_config_static_selectorELNS0_4arch9wavefront6targetE0EEEvS12_,comdat
.Lfunc_end129:
	.size	_ZN7rocprim17ROCPRIM_400000_NS6detail17trampoline_kernelINS0_13select_configILj256ELj13ELNS0_17block_load_methodE3ELS4_3ELS4_3ELNS0_20block_scan_algorithmE0ELj4294967295EEENS1_25partition_config_selectorILNS1_17partition_subalgoE4EjNS0_10empty_typeEbEEZZNS1_14partition_implILS8_4ELb0ES6_15HIP_vector_typeIjLj2EENS0_17counting_iteratorIjlEEPS9_SG_NS0_5tupleIJPjSI_NS0_16reverse_iteratorISI_EEEEENSH_IJSG_SG_SG_EEES9_SI_JZNS1_25segmented_radix_sort_implINS0_14default_configELb0EPKhPhPKlPlN2at6native12_GLOBAL__N_18offset_tEEE10hipError_tPvRmT1_PNSt15iterator_traitsIS12_E10value_typeET2_T3_PNS13_IS18_E10value_typeET4_jRbjT5_S1E_jjP12ihipStream_tbEUljE_ZNSN_ISO_Lb0ESQ_SR_ST_SU_SY_EESZ_S10_S11_S12_S16_S17_S18_S1B_S1C_jS1D_jS1E_S1E_jjS1G_bEUljE0_EEESZ_S10_S11_S18_S1C_S1E_T6_T7_T9_mT8_S1G_bDpT10_ENKUlT_T0_E_clISt17integral_constantIbLb0EES1U_EEDaS1P_S1Q_EUlS1P_E_NS1_11comp_targetILNS1_3genE8ELNS1_11target_archE1030ELNS1_3gpuE2ELNS1_3repE0EEENS1_30default_config_static_selectorELNS0_4arch9wavefront6targetE0EEEvS12_, .Lfunc_end129-_ZN7rocprim17ROCPRIM_400000_NS6detail17trampoline_kernelINS0_13select_configILj256ELj13ELNS0_17block_load_methodE3ELS4_3ELS4_3ELNS0_20block_scan_algorithmE0ELj4294967295EEENS1_25partition_config_selectorILNS1_17partition_subalgoE4EjNS0_10empty_typeEbEEZZNS1_14partition_implILS8_4ELb0ES6_15HIP_vector_typeIjLj2EENS0_17counting_iteratorIjlEEPS9_SG_NS0_5tupleIJPjSI_NS0_16reverse_iteratorISI_EEEEENSH_IJSG_SG_SG_EEES9_SI_JZNS1_25segmented_radix_sort_implINS0_14default_configELb0EPKhPhPKlPlN2at6native12_GLOBAL__N_18offset_tEEE10hipError_tPvRmT1_PNSt15iterator_traitsIS12_E10value_typeET2_T3_PNS13_IS18_E10value_typeET4_jRbjT5_S1E_jjP12ihipStream_tbEUljE_ZNSN_ISO_Lb0ESQ_SR_ST_SU_SY_EESZ_S10_S11_S12_S16_S17_S18_S1B_S1C_jS1D_jS1E_S1E_jjS1G_bEUljE0_EEESZ_S10_S11_S18_S1C_S1E_T6_T7_T9_mT8_S1G_bDpT10_ENKUlT_T0_E_clISt17integral_constantIbLb0EES1U_EEDaS1P_S1Q_EUlS1P_E_NS1_11comp_targetILNS1_3genE8ELNS1_11target_archE1030ELNS1_3gpuE2ELNS1_3repE0EEENS1_30default_config_static_selectorELNS0_4arch9wavefront6targetE0EEEvS12_
                                        ; -- End function
	.set _ZN7rocprim17ROCPRIM_400000_NS6detail17trampoline_kernelINS0_13select_configILj256ELj13ELNS0_17block_load_methodE3ELS4_3ELS4_3ELNS0_20block_scan_algorithmE0ELj4294967295EEENS1_25partition_config_selectorILNS1_17partition_subalgoE4EjNS0_10empty_typeEbEEZZNS1_14partition_implILS8_4ELb0ES6_15HIP_vector_typeIjLj2EENS0_17counting_iteratorIjlEEPS9_SG_NS0_5tupleIJPjSI_NS0_16reverse_iteratorISI_EEEEENSH_IJSG_SG_SG_EEES9_SI_JZNS1_25segmented_radix_sort_implINS0_14default_configELb0EPKhPhPKlPlN2at6native12_GLOBAL__N_18offset_tEEE10hipError_tPvRmT1_PNSt15iterator_traitsIS12_E10value_typeET2_T3_PNS13_IS18_E10value_typeET4_jRbjT5_S1E_jjP12ihipStream_tbEUljE_ZNSN_ISO_Lb0ESQ_SR_ST_SU_SY_EESZ_S10_S11_S12_S16_S17_S18_S1B_S1C_jS1D_jS1E_S1E_jjS1G_bEUljE0_EEESZ_S10_S11_S18_S1C_S1E_T6_T7_T9_mT8_S1G_bDpT10_ENKUlT_T0_E_clISt17integral_constantIbLb0EES1U_EEDaS1P_S1Q_EUlS1P_E_NS1_11comp_targetILNS1_3genE8ELNS1_11target_archE1030ELNS1_3gpuE2ELNS1_3repE0EEENS1_30default_config_static_selectorELNS0_4arch9wavefront6targetE0EEEvS12_.num_vgpr, 0
	.set _ZN7rocprim17ROCPRIM_400000_NS6detail17trampoline_kernelINS0_13select_configILj256ELj13ELNS0_17block_load_methodE3ELS4_3ELS4_3ELNS0_20block_scan_algorithmE0ELj4294967295EEENS1_25partition_config_selectorILNS1_17partition_subalgoE4EjNS0_10empty_typeEbEEZZNS1_14partition_implILS8_4ELb0ES6_15HIP_vector_typeIjLj2EENS0_17counting_iteratorIjlEEPS9_SG_NS0_5tupleIJPjSI_NS0_16reverse_iteratorISI_EEEEENSH_IJSG_SG_SG_EEES9_SI_JZNS1_25segmented_radix_sort_implINS0_14default_configELb0EPKhPhPKlPlN2at6native12_GLOBAL__N_18offset_tEEE10hipError_tPvRmT1_PNSt15iterator_traitsIS12_E10value_typeET2_T3_PNS13_IS18_E10value_typeET4_jRbjT5_S1E_jjP12ihipStream_tbEUljE_ZNSN_ISO_Lb0ESQ_SR_ST_SU_SY_EESZ_S10_S11_S12_S16_S17_S18_S1B_S1C_jS1D_jS1E_S1E_jjS1G_bEUljE0_EEESZ_S10_S11_S18_S1C_S1E_T6_T7_T9_mT8_S1G_bDpT10_ENKUlT_T0_E_clISt17integral_constantIbLb0EES1U_EEDaS1P_S1Q_EUlS1P_E_NS1_11comp_targetILNS1_3genE8ELNS1_11target_archE1030ELNS1_3gpuE2ELNS1_3repE0EEENS1_30default_config_static_selectorELNS0_4arch9wavefront6targetE0EEEvS12_.num_agpr, 0
	.set _ZN7rocprim17ROCPRIM_400000_NS6detail17trampoline_kernelINS0_13select_configILj256ELj13ELNS0_17block_load_methodE3ELS4_3ELS4_3ELNS0_20block_scan_algorithmE0ELj4294967295EEENS1_25partition_config_selectorILNS1_17partition_subalgoE4EjNS0_10empty_typeEbEEZZNS1_14partition_implILS8_4ELb0ES6_15HIP_vector_typeIjLj2EENS0_17counting_iteratorIjlEEPS9_SG_NS0_5tupleIJPjSI_NS0_16reverse_iteratorISI_EEEEENSH_IJSG_SG_SG_EEES9_SI_JZNS1_25segmented_radix_sort_implINS0_14default_configELb0EPKhPhPKlPlN2at6native12_GLOBAL__N_18offset_tEEE10hipError_tPvRmT1_PNSt15iterator_traitsIS12_E10value_typeET2_T3_PNS13_IS18_E10value_typeET4_jRbjT5_S1E_jjP12ihipStream_tbEUljE_ZNSN_ISO_Lb0ESQ_SR_ST_SU_SY_EESZ_S10_S11_S12_S16_S17_S18_S1B_S1C_jS1D_jS1E_S1E_jjS1G_bEUljE0_EEESZ_S10_S11_S18_S1C_S1E_T6_T7_T9_mT8_S1G_bDpT10_ENKUlT_T0_E_clISt17integral_constantIbLb0EES1U_EEDaS1P_S1Q_EUlS1P_E_NS1_11comp_targetILNS1_3genE8ELNS1_11target_archE1030ELNS1_3gpuE2ELNS1_3repE0EEENS1_30default_config_static_selectorELNS0_4arch9wavefront6targetE0EEEvS12_.numbered_sgpr, 0
	.set _ZN7rocprim17ROCPRIM_400000_NS6detail17trampoline_kernelINS0_13select_configILj256ELj13ELNS0_17block_load_methodE3ELS4_3ELS4_3ELNS0_20block_scan_algorithmE0ELj4294967295EEENS1_25partition_config_selectorILNS1_17partition_subalgoE4EjNS0_10empty_typeEbEEZZNS1_14partition_implILS8_4ELb0ES6_15HIP_vector_typeIjLj2EENS0_17counting_iteratorIjlEEPS9_SG_NS0_5tupleIJPjSI_NS0_16reverse_iteratorISI_EEEEENSH_IJSG_SG_SG_EEES9_SI_JZNS1_25segmented_radix_sort_implINS0_14default_configELb0EPKhPhPKlPlN2at6native12_GLOBAL__N_18offset_tEEE10hipError_tPvRmT1_PNSt15iterator_traitsIS12_E10value_typeET2_T3_PNS13_IS18_E10value_typeET4_jRbjT5_S1E_jjP12ihipStream_tbEUljE_ZNSN_ISO_Lb0ESQ_SR_ST_SU_SY_EESZ_S10_S11_S12_S16_S17_S18_S1B_S1C_jS1D_jS1E_S1E_jjS1G_bEUljE0_EEESZ_S10_S11_S18_S1C_S1E_T6_T7_T9_mT8_S1G_bDpT10_ENKUlT_T0_E_clISt17integral_constantIbLb0EES1U_EEDaS1P_S1Q_EUlS1P_E_NS1_11comp_targetILNS1_3genE8ELNS1_11target_archE1030ELNS1_3gpuE2ELNS1_3repE0EEENS1_30default_config_static_selectorELNS0_4arch9wavefront6targetE0EEEvS12_.num_named_barrier, 0
	.set _ZN7rocprim17ROCPRIM_400000_NS6detail17trampoline_kernelINS0_13select_configILj256ELj13ELNS0_17block_load_methodE3ELS4_3ELS4_3ELNS0_20block_scan_algorithmE0ELj4294967295EEENS1_25partition_config_selectorILNS1_17partition_subalgoE4EjNS0_10empty_typeEbEEZZNS1_14partition_implILS8_4ELb0ES6_15HIP_vector_typeIjLj2EENS0_17counting_iteratorIjlEEPS9_SG_NS0_5tupleIJPjSI_NS0_16reverse_iteratorISI_EEEEENSH_IJSG_SG_SG_EEES9_SI_JZNS1_25segmented_radix_sort_implINS0_14default_configELb0EPKhPhPKlPlN2at6native12_GLOBAL__N_18offset_tEEE10hipError_tPvRmT1_PNSt15iterator_traitsIS12_E10value_typeET2_T3_PNS13_IS18_E10value_typeET4_jRbjT5_S1E_jjP12ihipStream_tbEUljE_ZNSN_ISO_Lb0ESQ_SR_ST_SU_SY_EESZ_S10_S11_S12_S16_S17_S18_S1B_S1C_jS1D_jS1E_S1E_jjS1G_bEUljE0_EEESZ_S10_S11_S18_S1C_S1E_T6_T7_T9_mT8_S1G_bDpT10_ENKUlT_T0_E_clISt17integral_constantIbLb0EES1U_EEDaS1P_S1Q_EUlS1P_E_NS1_11comp_targetILNS1_3genE8ELNS1_11target_archE1030ELNS1_3gpuE2ELNS1_3repE0EEENS1_30default_config_static_selectorELNS0_4arch9wavefront6targetE0EEEvS12_.private_seg_size, 0
	.set _ZN7rocprim17ROCPRIM_400000_NS6detail17trampoline_kernelINS0_13select_configILj256ELj13ELNS0_17block_load_methodE3ELS4_3ELS4_3ELNS0_20block_scan_algorithmE0ELj4294967295EEENS1_25partition_config_selectorILNS1_17partition_subalgoE4EjNS0_10empty_typeEbEEZZNS1_14partition_implILS8_4ELb0ES6_15HIP_vector_typeIjLj2EENS0_17counting_iteratorIjlEEPS9_SG_NS0_5tupleIJPjSI_NS0_16reverse_iteratorISI_EEEEENSH_IJSG_SG_SG_EEES9_SI_JZNS1_25segmented_radix_sort_implINS0_14default_configELb0EPKhPhPKlPlN2at6native12_GLOBAL__N_18offset_tEEE10hipError_tPvRmT1_PNSt15iterator_traitsIS12_E10value_typeET2_T3_PNS13_IS18_E10value_typeET4_jRbjT5_S1E_jjP12ihipStream_tbEUljE_ZNSN_ISO_Lb0ESQ_SR_ST_SU_SY_EESZ_S10_S11_S12_S16_S17_S18_S1B_S1C_jS1D_jS1E_S1E_jjS1G_bEUljE0_EEESZ_S10_S11_S18_S1C_S1E_T6_T7_T9_mT8_S1G_bDpT10_ENKUlT_T0_E_clISt17integral_constantIbLb0EES1U_EEDaS1P_S1Q_EUlS1P_E_NS1_11comp_targetILNS1_3genE8ELNS1_11target_archE1030ELNS1_3gpuE2ELNS1_3repE0EEENS1_30default_config_static_selectorELNS0_4arch9wavefront6targetE0EEEvS12_.uses_vcc, 0
	.set _ZN7rocprim17ROCPRIM_400000_NS6detail17trampoline_kernelINS0_13select_configILj256ELj13ELNS0_17block_load_methodE3ELS4_3ELS4_3ELNS0_20block_scan_algorithmE0ELj4294967295EEENS1_25partition_config_selectorILNS1_17partition_subalgoE4EjNS0_10empty_typeEbEEZZNS1_14partition_implILS8_4ELb0ES6_15HIP_vector_typeIjLj2EENS0_17counting_iteratorIjlEEPS9_SG_NS0_5tupleIJPjSI_NS0_16reverse_iteratorISI_EEEEENSH_IJSG_SG_SG_EEES9_SI_JZNS1_25segmented_radix_sort_implINS0_14default_configELb0EPKhPhPKlPlN2at6native12_GLOBAL__N_18offset_tEEE10hipError_tPvRmT1_PNSt15iterator_traitsIS12_E10value_typeET2_T3_PNS13_IS18_E10value_typeET4_jRbjT5_S1E_jjP12ihipStream_tbEUljE_ZNSN_ISO_Lb0ESQ_SR_ST_SU_SY_EESZ_S10_S11_S12_S16_S17_S18_S1B_S1C_jS1D_jS1E_S1E_jjS1G_bEUljE0_EEESZ_S10_S11_S18_S1C_S1E_T6_T7_T9_mT8_S1G_bDpT10_ENKUlT_T0_E_clISt17integral_constantIbLb0EES1U_EEDaS1P_S1Q_EUlS1P_E_NS1_11comp_targetILNS1_3genE8ELNS1_11target_archE1030ELNS1_3gpuE2ELNS1_3repE0EEENS1_30default_config_static_selectorELNS0_4arch9wavefront6targetE0EEEvS12_.uses_flat_scratch, 0
	.set _ZN7rocprim17ROCPRIM_400000_NS6detail17trampoline_kernelINS0_13select_configILj256ELj13ELNS0_17block_load_methodE3ELS4_3ELS4_3ELNS0_20block_scan_algorithmE0ELj4294967295EEENS1_25partition_config_selectorILNS1_17partition_subalgoE4EjNS0_10empty_typeEbEEZZNS1_14partition_implILS8_4ELb0ES6_15HIP_vector_typeIjLj2EENS0_17counting_iteratorIjlEEPS9_SG_NS0_5tupleIJPjSI_NS0_16reverse_iteratorISI_EEEEENSH_IJSG_SG_SG_EEES9_SI_JZNS1_25segmented_radix_sort_implINS0_14default_configELb0EPKhPhPKlPlN2at6native12_GLOBAL__N_18offset_tEEE10hipError_tPvRmT1_PNSt15iterator_traitsIS12_E10value_typeET2_T3_PNS13_IS18_E10value_typeET4_jRbjT5_S1E_jjP12ihipStream_tbEUljE_ZNSN_ISO_Lb0ESQ_SR_ST_SU_SY_EESZ_S10_S11_S12_S16_S17_S18_S1B_S1C_jS1D_jS1E_S1E_jjS1G_bEUljE0_EEESZ_S10_S11_S18_S1C_S1E_T6_T7_T9_mT8_S1G_bDpT10_ENKUlT_T0_E_clISt17integral_constantIbLb0EES1U_EEDaS1P_S1Q_EUlS1P_E_NS1_11comp_targetILNS1_3genE8ELNS1_11target_archE1030ELNS1_3gpuE2ELNS1_3repE0EEENS1_30default_config_static_selectorELNS0_4arch9wavefront6targetE0EEEvS12_.has_dyn_sized_stack, 0
	.set _ZN7rocprim17ROCPRIM_400000_NS6detail17trampoline_kernelINS0_13select_configILj256ELj13ELNS0_17block_load_methodE3ELS4_3ELS4_3ELNS0_20block_scan_algorithmE0ELj4294967295EEENS1_25partition_config_selectorILNS1_17partition_subalgoE4EjNS0_10empty_typeEbEEZZNS1_14partition_implILS8_4ELb0ES6_15HIP_vector_typeIjLj2EENS0_17counting_iteratorIjlEEPS9_SG_NS0_5tupleIJPjSI_NS0_16reverse_iteratorISI_EEEEENSH_IJSG_SG_SG_EEES9_SI_JZNS1_25segmented_radix_sort_implINS0_14default_configELb0EPKhPhPKlPlN2at6native12_GLOBAL__N_18offset_tEEE10hipError_tPvRmT1_PNSt15iterator_traitsIS12_E10value_typeET2_T3_PNS13_IS18_E10value_typeET4_jRbjT5_S1E_jjP12ihipStream_tbEUljE_ZNSN_ISO_Lb0ESQ_SR_ST_SU_SY_EESZ_S10_S11_S12_S16_S17_S18_S1B_S1C_jS1D_jS1E_S1E_jjS1G_bEUljE0_EEESZ_S10_S11_S18_S1C_S1E_T6_T7_T9_mT8_S1G_bDpT10_ENKUlT_T0_E_clISt17integral_constantIbLb0EES1U_EEDaS1P_S1Q_EUlS1P_E_NS1_11comp_targetILNS1_3genE8ELNS1_11target_archE1030ELNS1_3gpuE2ELNS1_3repE0EEENS1_30default_config_static_selectorELNS0_4arch9wavefront6targetE0EEEvS12_.has_recursion, 0
	.set _ZN7rocprim17ROCPRIM_400000_NS6detail17trampoline_kernelINS0_13select_configILj256ELj13ELNS0_17block_load_methodE3ELS4_3ELS4_3ELNS0_20block_scan_algorithmE0ELj4294967295EEENS1_25partition_config_selectorILNS1_17partition_subalgoE4EjNS0_10empty_typeEbEEZZNS1_14partition_implILS8_4ELb0ES6_15HIP_vector_typeIjLj2EENS0_17counting_iteratorIjlEEPS9_SG_NS0_5tupleIJPjSI_NS0_16reverse_iteratorISI_EEEEENSH_IJSG_SG_SG_EEES9_SI_JZNS1_25segmented_radix_sort_implINS0_14default_configELb0EPKhPhPKlPlN2at6native12_GLOBAL__N_18offset_tEEE10hipError_tPvRmT1_PNSt15iterator_traitsIS12_E10value_typeET2_T3_PNS13_IS18_E10value_typeET4_jRbjT5_S1E_jjP12ihipStream_tbEUljE_ZNSN_ISO_Lb0ESQ_SR_ST_SU_SY_EESZ_S10_S11_S12_S16_S17_S18_S1B_S1C_jS1D_jS1E_S1E_jjS1G_bEUljE0_EEESZ_S10_S11_S18_S1C_S1E_T6_T7_T9_mT8_S1G_bDpT10_ENKUlT_T0_E_clISt17integral_constantIbLb0EES1U_EEDaS1P_S1Q_EUlS1P_E_NS1_11comp_targetILNS1_3genE8ELNS1_11target_archE1030ELNS1_3gpuE2ELNS1_3repE0EEENS1_30default_config_static_selectorELNS0_4arch9wavefront6targetE0EEEvS12_.has_indirect_call, 0
	.section	.AMDGPU.csdata,"",@progbits
; Kernel info:
; codeLenInByte = 0
; TotalNumSgprs: 0
; NumVgprs: 0
; ScratchSize: 0
; MemoryBound: 0
; FloatMode: 240
; IeeeMode: 1
; LDSByteSize: 0 bytes/workgroup (compile time only)
; SGPRBlocks: 0
; VGPRBlocks: 0
; NumSGPRsForWavesPerEU: 1
; NumVGPRsForWavesPerEU: 1
; Occupancy: 16
; WaveLimiterHint : 0
; COMPUTE_PGM_RSRC2:SCRATCH_EN: 0
; COMPUTE_PGM_RSRC2:USER_SGPR: 2
; COMPUTE_PGM_RSRC2:TRAP_HANDLER: 0
; COMPUTE_PGM_RSRC2:TGID_X_EN: 1
; COMPUTE_PGM_RSRC2:TGID_Y_EN: 0
; COMPUTE_PGM_RSRC2:TGID_Z_EN: 0
; COMPUTE_PGM_RSRC2:TIDIG_COMP_CNT: 0
	.section	.text._ZN7rocprim17ROCPRIM_400000_NS6detail17trampoline_kernelINS0_13select_configILj256ELj13ELNS0_17block_load_methodE3ELS4_3ELS4_3ELNS0_20block_scan_algorithmE0ELj4294967295EEENS1_25partition_config_selectorILNS1_17partition_subalgoE4EjNS0_10empty_typeEbEEZZNS1_14partition_implILS8_4ELb0ES6_15HIP_vector_typeIjLj2EENS0_17counting_iteratorIjlEEPS9_SG_NS0_5tupleIJPjSI_NS0_16reverse_iteratorISI_EEEEENSH_IJSG_SG_SG_EEES9_SI_JZNS1_25segmented_radix_sort_implINS0_14default_configELb0EPKhPhPKlPlN2at6native12_GLOBAL__N_18offset_tEEE10hipError_tPvRmT1_PNSt15iterator_traitsIS12_E10value_typeET2_T3_PNS13_IS18_E10value_typeET4_jRbjT5_S1E_jjP12ihipStream_tbEUljE_ZNSN_ISO_Lb0ESQ_SR_ST_SU_SY_EESZ_S10_S11_S12_S16_S17_S18_S1B_S1C_jS1D_jS1E_S1E_jjS1G_bEUljE0_EEESZ_S10_S11_S18_S1C_S1E_T6_T7_T9_mT8_S1G_bDpT10_ENKUlT_T0_E_clISt17integral_constantIbLb1EES1U_EEDaS1P_S1Q_EUlS1P_E_NS1_11comp_targetILNS1_3genE0ELNS1_11target_archE4294967295ELNS1_3gpuE0ELNS1_3repE0EEENS1_30default_config_static_selectorELNS0_4arch9wavefront6targetE0EEEvS12_,"axG",@progbits,_ZN7rocprim17ROCPRIM_400000_NS6detail17trampoline_kernelINS0_13select_configILj256ELj13ELNS0_17block_load_methodE3ELS4_3ELS4_3ELNS0_20block_scan_algorithmE0ELj4294967295EEENS1_25partition_config_selectorILNS1_17partition_subalgoE4EjNS0_10empty_typeEbEEZZNS1_14partition_implILS8_4ELb0ES6_15HIP_vector_typeIjLj2EENS0_17counting_iteratorIjlEEPS9_SG_NS0_5tupleIJPjSI_NS0_16reverse_iteratorISI_EEEEENSH_IJSG_SG_SG_EEES9_SI_JZNS1_25segmented_radix_sort_implINS0_14default_configELb0EPKhPhPKlPlN2at6native12_GLOBAL__N_18offset_tEEE10hipError_tPvRmT1_PNSt15iterator_traitsIS12_E10value_typeET2_T3_PNS13_IS18_E10value_typeET4_jRbjT5_S1E_jjP12ihipStream_tbEUljE_ZNSN_ISO_Lb0ESQ_SR_ST_SU_SY_EESZ_S10_S11_S12_S16_S17_S18_S1B_S1C_jS1D_jS1E_S1E_jjS1G_bEUljE0_EEESZ_S10_S11_S18_S1C_S1E_T6_T7_T9_mT8_S1G_bDpT10_ENKUlT_T0_E_clISt17integral_constantIbLb1EES1U_EEDaS1P_S1Q_EUlS1P_E_NS1_11comp_targetILNS1_3genE0ELNS1_11target_archE4294967295ELNS1_3gpuE0ELNS1_3repE0EEENS1_30default_config_static_selectorELNS0_4arch9wavefront6targetE0EEEvS12_,comdat
	.globl	_ZN7rocprim17ROCPRIM_400000_NS6detail17trampoline_kernelINS0_13select_configILj256ELj13ELNS0_17block_load_methodE3ELS4_3ELS4_3ELNS0_20block_scan_algorithmE0ELj4294967295EEENS1_25partition_config_selectorILNS1_17partition_subalgoE4EjNS0_10empty_typeEbEEZZNS1_14partition_implILS8_4ELb0ES6_15HIP_vector_typeIjLj2EENS0_17counting_iteratorIjlEEPS9_SG_NS0_5tupleIJPjSI_NS0_16reverse_iteratorISI_EEEEENSH_IJSG_SG_SG_EEES9_SI_JZNS1_25segmented_radix_sort_implINS0_14default_configELb0EPKhPhPKlPlN2at6native12_GLOBAL__N_18offset_tEEE10hipError_tPvRmT1_PNSt15iterator_traitsIS12_E10value_typeET2_T3_PNS13_IS18_E10value_typeET4_jRbjT5_S1E_jjP12ihipStream_tbEUljE_ZNSN_ISO_Lb0ESQ_SR_ST_SU_SY_EESZ_S10_S11_S12_S16_S17_S18_S1B_S1C_jS1D_jS1E_S1E_jjS1G_bEUljE0_EEESZ_S10_S11_S18_S1C_S1E_T6_T7_T9_mT8_S1G_bDpT10_ENKUlT_T0_E_clISt17integral_constantIbLb1EES1U_EEDaS1P_S1Q_EUlS1P_E_NS1_11comp_targetILNS1_3genE0ELNS1_11target_archE4294967295ELNS1_3gpuE0ELNS1_3repE0EEENS1_30default_config_static_selectorELNS0_4arch9wavefront6targetE0EEEvS12_ ; -- Begin function _ZN7rocprim17ROCPRIM_400000_NS6detail17trampoline_kernelINS0_13select_configILj256ELj13ELNS0_17block_load_methodE3ELS4_3ELS4_3ELNS0_20block_scan_algorithmE0ELj4294967295EEENS1_25partition_config_selectorILNS1_17partition_subalgoE4EjNS0_10empty_typeEbEEZZNS1_14partition_implILS8_4ELb0ES6_15HIP_vector_typeIjLj2EENS0_17counting_iteratorIjlEEPS9_SG_NS0_5tupleIJPjSI_NS0_16reverse_iteratorISI_EEEEENSH_IJSG_SG_SG_EEES9_SI_JZNS1_25segmented_radix_sort_implINS0_14default_configELb0EPKhPhPKlPlN2at6native12_GLOBAL__N_18offset_tEEE10hipError_tPvRmT1_PNSt15iterator_traitsIS12_E10value_typeET2_T3_PNS13_IS18_E10value_typeET4_jRbjT5_S1E_jjP12ihipStream_tbEUljE_ZNSN_ISO_Lb0ESQ_SR_ST_SU_SY_EESZ_S10_S11_S12_S16_S17_S18_S1B_S1C_jS1D_jS1E_S1E_jjS1G_bEUljE0_EEESZ_S10_S11_S18_S1C_S1E_T6_T7_T9_mT8_S1G_bDpT10_ENKUlT_T0_E_clISt17integral_constantIbLb1EES1U_EEDaS1P_S1Q_EUlS1P_E_NS1_11comp_targetILNS1_3genE0ELNS1_11target_archE4294967295ELNS1_3gpuE0ELNS1_3repE0EEENS1_30default_config_static_selectorELNS0_4arch9wavefront6targetE0EEEvS12_
	.p2align	8
	.type	_ZN7rocprim17ROCPRIM_400000_NS6detail17trampoline_kernelINS0_13select_configILj256ELj13ELNS0_17block_load_methodE3ELS4_3ELS4_3ELNS0_20block_scan_algorithmE0ELj4294967295EEENS1_25partition_config_selectorILNS1_17partition_subalgoE4EjNS0_10empty_typeEbEEZZNS1_14partition_implILS8_4ELb0ES6_15HIP_vector_typeIjLj2EENS0_17counting_iteratorIjlEEPS9_SG_NS0_5tupleIJPjSI_NS0_16reverse_iteratorISI_EEEEENSH_IJSG_SG_SG_EEES9_SI_JZNS1_25segmented_radix_sort_implINS0_14default_configELb0EPKhPhPKlPlN2at6native12_GLOBAL__N_18offset_tEEE10hipError_tPvRmT1_PNSt15iterator_traitsIS12_E10value_typeET2_T3_PNS13_IS18_E10value_typeET4_jRbjT5_S1E_jjP12ihipStream_tbEUljE_ZNSN_ISO_Lb0ESQ_SR_ST_SU_SY_EESZ_S10_S11_S12_S16_S17_S18_S1B_S1C_jS1D_jS1E_S1E_jjS1G_bEUljE0_EEESZ_S10_S11_S18_S1C_S1E_T6_T7_T9_mT8_S1G_bDpT10_ENKUlT_T0_E_clISt17integral_constantIbLb1EES1U_EEDaS1P_S1Q_EUlS1P_E_NS1_11comp_targetILNS1_3genE0ELNS1_11target_archE4294967295ELNS1_3gpuE0ELNS1_3repE0EEENS1_30default_config_static_selectorELNS0_4arch9wavefront6targetE0EEEvS12_,@function
_ZN7rocprim17ROCPRIM_400000_NS6detail17trampoline_kernelINS0_13select_configILj256ELj13ELNS0_17block_load_methodE3ELS4_3ELS4_3ELNS0_20block_scan_algorithmE0ELj4294967295EEENS1_25partition_config_selectorILNS1_17partition_subalgoE4EjNS0_10empty_typeEbEEZZNS1_14partition_implILS8_4ELb0ES6_15HIP_vector_typeIjLj2EENS0_17counting_iteratorIjlEEPS9_SG_NS0_5tupleIJPjSI_NS0_16reverse_iteratorISI_EEEEENSH_IJSG_SG_SG_EEES9_SI_JZNS1_25segmented_radix_sort_implINS0_14default_configELb0EPKhPhPKlPlN2at6native12_GLOBAL__N_18offset_tEEE10hipError_tPvRmT1_PNSt15iterator_traitsIS12_E10value_typeET2_T3_PNS13_IS18_E10value_typeET4_jRbjT5_S1E_jjP12ihipStream_tbEUljE_ZNSN_ISO_Lb0ESQ_SR_ST_SU_SY_EESZ_S10_S11_S12_S16_S17_S18_S1B_S1C_jS1D_jS1E_S1E_jjS1G_bEUljE0_EEESZ_S10_S11_S18_S1C_S1E_T6_T7_T9_mT8_S1G_bDpT10_ENKUlT_T0_E_clISt17integral_constantIbLb1EES1U_EEDaS1P_S1Q_EUlS1P_E_NS1_11comp_targetILNS1_3genE0ELNS1_11target_archE4294967295ELNS1_3gpuE0ELNS1_3repE0EEENS1_30default_config_static_selectorELNS0_4arch9wavefront6targetE0EEEvS12_: ; @_ZN7rocprim17ROCPRIM_400000_NS6detail17trampoline_kernelINS0_13select_configILj256ELj13ELNS0_17block_load_methodE3ELS4_3ELS4_3ELNS0_20block_scan_algorithmE0ELj4294967295EEENS1_25partition_config_selectorILNS1_17partition_subalgoE4EjNS0_10empty_typeEbEEZZNS1_14partition_implILS8_4ELb0ES6_15HIP_vector_typeIjLj2EENS0_17counting_iteratorIjlEEPS9_SG_NS0_5tupleIJPjSI_NS0_16reverse_iteratorISI_EEEEENSH_IJSG_SG_SG_EEES9_SI_JZNS1_25segmented_radix_sort_implINS0_14default_configELb0EPKhPhPKlPlN2at6native12_GLOBAL__N_18offset_tEEE10hipError_tPvRmT1_PNSt15iterator_traitsIS12_E10value_typeET2_T3_PNS13_IS18_E10value_typeET4_jRbjT5_S1E_jjP12ihipStream_tbEUljE_ZNSN_ISO_Lb0ESQ_SR_ST_SU_SY_EESZ_S10_S11_S12_S16_S17_S18_S1B_S1C_jS1D_jS1E_S1E_jjS1G_bEUljE0_EEESZ_S10_S11_S18_S1C_S1E_T6_T7_T9_mT8_S1G_bDpT10_ENKUlT_T0_E_clISt17integral_constantIbLb1EES1U_EEDaS1P_S1Q_EUlS1P_E_NS1_11comp_targetILNS1_3genE0ELNS1_11target_archE4294967295ELNS1_3gpuE0ELNS1_3repE0EEENS1_30default_config_static_selectorELNS0_4arch9wavefront6targetE0EEEvS12_
; %bb.0:
	.section	.rodata,"a",@progbits
	.p2align	6, 0x0
	.amdhsa_kernel _ZN7rocprim17ROCPRIM_400000_NS6detail17trampoline_kernelINS0_13select_configILj256ELj13ELNS0_17block_load_methodE3ELS4_3ELS4_3ELNS0_20block_scan_algorithmE0ELj4294967295EEENS1_25partition_config_selectorILNS1_17partition_subalgoE4EjNS0_10empty_typeEbEEZZNS1_14partition_implILS8_4ELb0ES6_15HIP_vector_typeIjLj2EENS0_17counting_iteratorIjlEEPS9_SG_NS0_5tupleIJPjSI_NS0_16reverse_iteratorISI_EEEEENSH_IJSG_SG_SG_EEES9_SI_JZNS1_25segmented_radix_sort_implINS0_14default_configELb0EPKhPhPKlPlN2at6native12_GLOBAL__N_18offset_tEEE10hipError_tPvRmT1_PNSt15iterator_traitsIS12_E10value_typeET2_T3_PNS13_IS18_E10value_typeET4_jRbjT5_S1E_jjP12ihipStream_tbEUljE_ZNSN_ISO_Lb0ESQ_SR_ST_SU_SY_EESZ_S10_S11_S12_S16_S17_S18_S1B_S1C_jS1D_jS1E_S1E_jjS1G_bEUljE0_EEESZ_S10_S11_S18_S1C_S1E_T6_T7_T9_mT8_S1G_bDpT10_ENKUlT_T0_E_clISt17integral_constantIbLb1EES1U_EEDaS1P_S1Q_EUlS1P_E_NS1_11comp_targetILNS1_3genE0ELNS1_11target_archE4294967295ELNS1_3gpuE0ELNS1_3repE0EEENS1_30default_config_static_selectorELNS0_4arch9wavefront6targetE0EEEvS12_
		.amdhsa_group_segment_fixed_size 0
		.amdhsa_private_segment_fixed_size 0
		.amdhsa_kernarg_size 184
		.amdhsa_user_sgpr_count 2
		.amdhsa_user_sgpr_dispatch_ptr 0
		.amdhsa_user_sgpr_queue_ptr 0
		.amdhsa_user_sgpr_kernarg_segment_ptr 1
		.amdhsa_user_sgpr_dispatch_id 0
		.amdhsa_user_sgpr_private_segment_size 0
		.amdhsa_wavefront_size32 1
		.amdhsa_uses_dynamic_stack 0
		.amdhsa_enable_private_segment 0
		.amdhsa_system_sgpr_workgroup_id_x 1
		.amdhsa_system_sgpr_workgroup_id_y 0
		.amdhsa_system_sgpr_workgroup_id_z 0
		.amdhsa_system_sgpr_workgroup_info 0
		.amdhsa_system_vgpr_workitem_id 0
		.amdhsa_next_free_vgpr 1
		.amdhsa_next_free_sgpr 1
		.amdhsa_reserve_vcc 0
		.amdhsa_float_round_mode_32 0
		.amdhsa_float_round_mode_16_64 0
		.amdhsa_float_denorm_mode_32 3
		.amdhsa_float_denorm_mode_16_64 3
		.amdhsa_fp16_overflow 0
		.amdhsa_workgroup_processor_mode 1
		.amdhsa_memory_ordered 1
		.amdhsa_forward_progress 1
		.amdhsa_inst_pref_size 0
		.amdhsa_round_robin_scheduling 0
		.amdhsa_exception_fp_ieee_invalid_op 0
		.amdhsa_exception_fp_denorm_src 0
		.amdhsa_exception_fp_ieee_div_zero 0
		.amdhsa_exception_fp_ieee_overflow 0
		.amdhsa_exception_fp_ieee_underflow 0
		.amdhsa_exception_fp_ieee_inexact 0
		.amdhsa_exception_int_div_zero 0
	.end_amdhsa_kernel
	.section	.text._ZN7rocprim17ROCPRIM_400000_NS6detail17trampoline_kernelINS0_13select_configILj256ELj13ELNS0_17block_load_methodE3ELS4_3ELS4_3ELNS0_20block_scan_algorithmE0ELj4294967295EEENS1_25partition_config_selectorILNS1_17partition_subalgoE4EjNS0_10empty_typeEbEEZZNS1_14partition_implILS8_4ELb0ES6_15HIP_vector_typeIjLj2EENS0_17counting_iteratorIjlEEPS9_SG_NS0_5tupleIJPjSI_NS0_16reverse_iteratorISI_EEEEENSH_IJSG_SG_SG_EEES9_SI_JZNS1_25segmented_radix_sort_implINS0_14default_configELb0EPKhPhPKlPlN2at6native12_GLOBAL__N_18offset_tEEE10hipError_tPvRmT1_PNSt15iterator_traitsIS12_E10value_typeET2_T3_PNS13_IS18_E10value_typeET4_jRbjT5_S1E_jjP12ihipStream_tbEUljE_ZNSN_ISO_Lb0ESQ_SR_ST_SU_SY_EESZ_S10_S11_S12_S16_S17_S18_S1B_S1C_jS1D_jS1E_S1E_jjS1G_bEUljE0_EEESZ_S10_S11_S18_S1C_S1E_T6_T7_T9_mT8_S1G_bDpT10_ENKUlT_T0_E_clISt17integral_constantIbLb1EES1U_EEDaS1P_S1Q_EUlS1P_E_NS1_11comp_targetILNS1_3genE0ELNS1_11target_archE4294967295ELNS1_3gpuE0ELNS1_3repE0EEENS1_30default_config_static_selectorELNS0_4arch9wavefront6targetE0EEEvS12_,"axG",@progbits,_ZN7rocprim17ROCPRIM_400000_NS6detail17trampoline_kernelINS0_13select_configILj256ELj13ELNS0_17block_load_methodE3ELS4_3ELS4_3ELNS0_20block_scan_algorithmE0ELj4294967295EEENS1_25partition_config_selectorILNS1_17partition_subalgoE4EjNS0_10empty_typeEbEEZZNS1_14partition_implILS8_4ELb0ES6_15HIP_vector_typeIjLj2EENS0_17counting_iteratorIjlEEPS9_SG_NS0_5tupleIJPjSI_NS0_16reverse_iteratorISI_EEEEENSH_IJSG_SG_SG_EEES9_SI_JZNS1_25segmented_radix_sort_implINS0_14default_configELb0EPKhPhPKlPlN2at6native12_GLOBAL__N_18offset_tEEE10hipError_tPvRmT1_PNSt15iterator_traitsIS12_E10value_typeET2_T3_PNS13_IS18_E10value_typeET4_jRbjT5_S1E_jjP12ihipStream_tbEUljE_ZNSN_ISO_Lb0ESQ_SR_ST_SU_SY_EESZ_S10_S11_S12_S16_S17_S18_S1B_S1C_jS1D_jS1E_S1E_jjS1G_bEUljE0_EEESZ_S10_S11_S18_S1C_S1E_T6_T7_T9_mT8_S1G_bDpT10_ENKUlT_T0_E_clISt17integral_constantIbLb1EES1U_EEDaS1P_S1Q_EUlS1P_E_NS1_11comp_targetILNS1_3genE0ELNS1_11target_archE4294967295ELNS1_3gpuE0ELNS1_3repE0EEENS1_30default_config_static_selectorELNS0_4arch9wavefront6targetE0EEEvS12_,comdat
.Lfunc_end130:
	.size	_ZN7rocprim17ROCPRIM_400000_NS6detail17trampoline_kernelINS0_13select_configILj256ELj13ELNS0_17block_load_methodE3ELS4_3ELS4_3ELNS0_20block_scan_algorithmE0ELj4294967295EEENS1_25partition_config_selectorILNS1_17partition_subalgoE4EjNS0_10empty_typeEbEEZZNS1_14partition_implILS8_4ELb0ES6_15HIP_vector_typeIjLj2EENS0_17counting_iteratorIjlEEPS9_SG_NS0_5tupleIJPjSI_NS0_16reverse_iteratorISI_EEEEENSH_IJSG_SG_SG_EEES9_SI_JZNS1_25segmented_radix_sort_implINS0_14default_configELb0EPKhPhPKlPlN2at6native12_GLOBAL__N_18offset_tEEE10hipError_tPvRmT1_PNSt15iterator_traitsIS12_E10value_typeET2_T3_PNS13_IS18_E10value_typeET4_jRbjT5_S1E_jjP12ihipStream_tbEUljE_ZNSN_ISO_Lb0ESQ_SR_ST_SU_SY_EESZ_S10_S11_S12_S16_S17_S18_S1B_S1C_jS1D_jS1E_S1E_jjS1G_bEUljE0_EEESZ_S10_S11_S18_S1C_S1E_T6_T7_T9_mT8_S1G_bDpT10_ENKUlT_T0_E_clISt17integral_constantIbLb1EES1U_EEDaS1P_S1Q_EUlS1P_E_NS1_11comp_targetILNS1_3genE0ELNS1_11target_archE4294967295ELNS1_3gpuE0ELNS1_3repE0EEENS1_30default_config_static_selectorELNS0_4arch9wavefront6targetE0EEEvS12_, .Lfunc_end130-_ZN7rocprim17ROCPRIM_400000_NS6detail17trampoline_kernelINS0_13select_configILj256ELj13ELNS0_17block_load_methodE3ELS4_3ELS4_3ELNS0_20block_scan_algorithmE0ELj4294967295EEENS1_25partition_config_selectorILNS1_17partition_subalgoE4EjNS0_10empty_typeEbEEZZNS1_14partition_implILS8_4ELb0ES6_15HIP_vector_typeIjLj2EENS0_17counting_iteratorIjlEEPS9_SG_NS0_5tupleIJPjSI_NS0_16reverse_iteratorISI_EEEEENSH_IJSG_SG_SG_EEES9_SI_JZNS1_25segmented_radix_sort_implINS0_14default_configELb0EPKhPhPKlPlN2at6native12_GLOBAL__N_18offset_tEEE10hipError_tPvRmT1_PNSt15iterator_traitsIS12_E10value_typeET2_T3_PNS13_IS18_E10value_typeET4_jRbjT5_S1E_jjP12ihipStream_tbEUljE_ZNSN_ISO_Lb0ESQ_SR_ST_SU_SY_EESZ_S10_S11_S12_S16_S17_S18_S1B_S1C_jS1D_jS1E_S1E_jjS1G_bEUljE0_EEESZ_S10_S11_S18_S1C_S1E_T6_T7_T9_mT8_S1G_bDpT10_ENKUlT_T0_E_clISt17integral_constantIbLb1EES1U_EEDaS1P_S1Q_EUlS1P_E_NS1_11comp_targetILNS1_3genE0ELNS1_11target_archE4294967295ELNS1_3gpuE0ELNS1_3repE0EEENS1_30default_config_static_selectorELNS0_4arch9wavefront6targetE0EEEvS12_
                                        ; -- End function
	.set _ZN7rocprim17ROCPRIM_400000_NS6detail17trampoline_kernelINS0_13select_configILj256ELj13ELNS0_17block_load_methodE3ELS4_3ELS4_3ELNS0_20block_scan_algorithmE0ELj4294967295EEENS1_25partition_config_selectorILNS1_17partition_subalgoE4EjNS0_10empty_typeEbEEZZNS1_14partition_implILS8_4ELb0ES6_15HIP_vector_typeIjLj2EENS0_17counting_iteratorIjlEEPS9_SG_NS0_5tupleIJPjSI_NS0_16reverse_iteratorISI_EEEEENSH_IJSG_SG_SG_EEES9_SI_JZNS1_25segmented_radix_sort_implINS0_14default_configELb0EPKhPhPKlPlN2at6native12_GLOBAL__N_18offset_tEEE10hipError_tPvRmT1_PNSt15iterator_traitsIS12_E10value_typeET2_T3_PNS13_IS18_E10value_typeET4_jRbjT5_S1E_jjP12ihipStream_tbEUljE_ZNSN_ISO_Lb0ESQ_SR_ST_SU_SY_EESZ_S10_S11_S12_S16_S17_S18_S1B_S1C_jS1D_jS1E_S1E_jjS1G_bEUljE0_EEESZ_S10_S11_S18_S1C_S1E_T6_T7_T9_mT8_S1G_bDpT10_ENKUlT_T0_E_clISt17integral_constantIbLb1EES1U_EEDaS1P_S1Q_EUlS1P_E_NS1_11comp_targetILNS1_3genE0ELNS1_11target_archE4294967295ELNS1_3gpuE0ELNS1_3repE0EEENS1_30default_config_static_selectorELNS0_4arch9wavefront6targetE0EEEvS12_.num_vgpr, 0
	.set _ZN7rocprim17ROCPRIM_400000_NS6detail17trampoline_kernelINS0_13select_configILj256ELj13ELNS0_17block_load_methodE3ELS4_3ELS4_3ELNS0_20block_scan_algorithmE0ELj4294967295EEENS1_25partition_config_selectorILNS1_17partition_subalgoE4EjNS0_10empty_typeEbEEZZNS1_14partition_implILS8_4ELb0ES6_15HIP_vector_typeIjLj2EENS0_17counting_iteratorIjlEEPS9_SG_NS0_5tupleIJPjSI_NS0_16reverse_iteratorISI_EEEEENSH_IJSG_SG_SG_EEES9_SI_JZNS1_25segmented_radix_sort_implINS0_14default_configELb0EPKhPhPKlPlN2at6native12_GLOBAL__N_18offset_tEEE10hipError_tPvRmT1_PNSt15iterator_traitsIS12_E10value_typeET2_T3_PNS13_IS18_E10value_typeET4_jRbjT5_S1E_jjP12ihipStream_tbEUljE_ZNSN_ISO_Lb0ESQ_SR_ST_SU_SY_EESZ_S10_S11_S12_S16_S17_S18_S1B_S1C_jS1D_jS1E_S1E_jjS1G_bEUljE0_EEESZ_S10_S11_S18_S1C_S1E_T6_T7_T9_mT8_S1G_bDpT10_ENKUlT_T0_E_clISt17integral_constantIbLb1EES1U_EEDaS1P_S1Q_EUlS1P_E_NS1_11comp_targetILNS1_3genE0ELNS1_11target_archE4294967295ELNS1_3gpuE0ELNS1_3repE0EEENS1_30default_config_static_selectorELNS0_4arch9wavefront6targetE0EEEvS12_.num_agpr, 0
	.set _ZN7rocprim17ROCPRIM_400000_NS6detail17trampoline_kernelINS0_13select_configILj256ELj13ELNS0_17block_load_methodE3ELS4_3ELS4_3ELNS0_20block_scan_algorithmE0ELj4294967295EEENS1_25partition_config_selectorILNS1_17partition_subalgoE4EjNS0_10empty_typeEbEEZZNS1_14partition_implILS8_4ELb0ES6_15HIP_vector_typeIjLj2EENS0_17counting_iteratorIjlEEPS9_SG_NS0_5tupleIJPjSI_NS0_16reverse_iteratorISI_EEEEENSH_IJSG_SG_SG_EEES9_SI_JZNS1_25segmented_radix_sort_implINS0_14default_configELb0EPKhPhPKlPlN2at6native12_GLOBAL__N_18offset_tEEE10hipError_tPvRmT1_PNSt15iterator_traitsIS12_E10value_typeET2_T3_PNS13_IS18_E10value_typeET4_jRbjT5_S1E_jjP12ihipStream_tbEUljE_ZNSN_ISO_Lb0ESQ_SR_ST_SU_SY_EESZ_S10_S11_S12_S16_S17_S18_S1B_S1C_jS1D_jS1E_S1E_jjS1G_bEUljE0_EEESZ_S10_S11_S18_S1C_S1E_T6_T7_T9_mT8_S1G_bDpT10_ENKUlT_T0_E_clISt17integral_constantIbLb1EES1U_EEDaS1P_S1Q_EUlS1P_E_NS1_11comp_targetILNS1_3genE0ELNS1_11target_archE4294967295ELNS1_3gpuE0ELNS1_3repE0EEENS1_30default_config_static_selectorELNS0_4arch9wavefront6targetE0EEEvS12_.numbered_sgpr, 0
	.set _ZN7rocprim17ROCPRIM_400000_NS6detail17trampoline_kernelINS0_13select_configILj256ELj13ELNS0_17block_load_methodE3ELS4_3ELS4_3ELNS0_20block_scan_algorithmE0ELj4294967295EEENS1_25partition_config_selectorILNS1_17partition_subalgoE4EjNS0_10empty_typeEbEEZZNS1_14partition_implILS8_4ELb0ES6_15HIP_vector_typeIjLj2EENS0_17counting_iteratorIjlEEPS9_SG_NS0_5tupleIJPjSI_NS0_16reverse_iteratorISI_EEEEENSH_IJSG_SG_SG_EEES9_SI_JZNS1_25segmented_radix_sort_implINS0_14default_configELb0EPKhPhPKlPlN2at6native12_GLOBAL__N_18offset_tEEE10hipError_tPvRmT1_PNSt15iterator_traitsIS12_E10value_typeET2_T3_PNS13_IS18_E10value_typeET4_jRbjT5_S1E_jjP12ihipStream_tbEUljE_ZNSN_ISO_Lb0ESQ_SR_ST_SU_SY_EESZ_S10_S11_S12_S16_S17_S18_S1B_S1C_jS1D_jS1E_S1E_jjS1G_bEUljE0_EEESZ_S10_S11_S18_S1C_S1E_T6_T7_T9_mT8_S1G_bDpT10_ENKUlT_T0_E_clISt17integral_constantIbLb1EES1U_EEDaS1P_S1Q_EUlS1P_E_NS1_11comp_targetILNS1_3genE0ELNS1_11target_archE4294967295ELNS1_3gpuE0ELNS1_3repE0EEENS1_30default_config_static_selectorELNS0_4arch9wavefront6targetE0EEEvS12_.num_named_barrier, 0
	.set _ZN7rocprim17ROCPRIM_400000_NS6detail17trampoline_kernelINS0_13select_configILj256ELj13ELNS0_17block_load_methodE3ELS4_3ELS4_3ELNS0_20block_scan_algorithmE0ELj4294967295EEENS1_25partition_config_selectorILNS1_17partition_subalgoE4EjNS0_10empty_typeEbEEZZNS1_14partition_implILS8_4ELb0ES6_15HIP_vector_typeIjLj2EENS0_17counting_iteratorIjlEEPS9_SG_NS0_5tupleIJPjSI_NS0_16reverse_iteratorISI_EEEEENSH_IJSG_SG_SG_EEES9_SI_JZNS1_25segmented_radix_sort_implINS0_14default_configELb0EPKhPhPKlPlN2at6native12_GLOBAL__N_18offset_tEEE10hipError_tPvRmT1_PNSt15iterator_traitsIS12_E10value_typeET2_T3_PNS13_IS18_E10value_typeET4_jRbjT5_S1E_jjP12ihipStream_tbEUljE_ZNSN_ISO_Lb0ESQ_SR_ST_SU_SY_EESZ_S10_S11_S12_S16_S17_S18_S1B_S1C_jS1D_jS1E_S1E_jjS1G_bEUljE0_EEESZ_S10_S11_S18_S1C_S1E_T6_T7_T9_mT8_S1G_bDpT10_ENKUlT_T0_E_clISt17integral_constantIbLb1EES1U_EEDaS1P_S1Q_EUlS1P_E_NS1_11comp_targetILNS1_3genE0ELNS1_11target_archE4294967295ELNS1_3gpuE0ELNS1_3repE0EEENS1_30default_config_static_selectorELNS0_4arch9wavefront6targetE0EEEvS12_.private_seg_size, 0
	.set _ZN7rocprim17ROCPRIM_400000_NS6detail17trampoline_kernelINS0_13select_configILj256ELj13ELNS0_17block_load_methodE3ELS4_3ELS4_3ELNS0_20block_scan_algorithmE0ELj4294967295EEENS1_25partition_config_selectorILNS1_17partition_subalgoE4EjNS0_10empty_typeEbEEZZNS1_14partition_implILS8_4ELb0ES6_15HIP_vector_typeIjLj2EENS0_17counting_iteratorIjlEEPS9_SG_NS0_5tupleIJPjSI_NS0_16reverse_iteratorISI_EEEEENSH_IJSG_SG_SG_EEES9_SI_JZNS1_25segmented_radix_sort_implINS0_14default_configELb0EPKhPhPKlPlN2at6native12_GLOBAL__N_18offset_tEEE10hipError_tPvRmT1_PNSt15iterator_traitsIS12_E10value_typeET2_T3_PNS13_IS18_E10value_typeET4_jRbjT5_S1E_jjP12ihipStream_tbEUljE_ZNSN_ISO_Lb0ESQ_SR_ST_SU_SY_EESZ_S10_S11_S12_S16_S17_S18_S1B_S1C_jS1D_jS1E_S1E_jjS1G_bEUljE0_EEESZ_S10_S11_S18_S1C_S1E_T6_T7_T9_mT8_S1G_bDpT10_ENKUlT_T0_E_clISt17integral_constantIbLb1EES1U_EEDaS1P_S1Q_EUlS1P_E_NS1_11comp_targetILNS1_3genE0ELNS1_11target_archE4294967295ELNS1_3gpuE0ELNS1_3repE0EEENS1_30default_config_static_selectorELNS0_4arch9wavefront6targetE0EEEvS12_.uses_vcc, 0
	.set _ZN7rocprim17ROCPRIM_400000_NS6detail17trampoline_kernelINS0_13select_configILj256ELj13ELNS0_17block_load_methodE3ELS4_3ELS4_3ELNS0_20block_scan_algorithmE0ELj4294967295EEENS1_25partition_config_selectorILNS1_17partition_subalgoE4EjNS0_10empty_typeEbEEZZNS1_14partition_implILS8_4ELb0ES6_15HIP_vector_typeIjLj2EENS0_17counting_iteratorIjlEEPS9_SG_NS0_5tupleIJPjSI_NS0_16reverse_iteratorISI_EEEEENSH_IJSG_SG_SG_EEES9_SI_JZNS1_25segmented_radix_sort_implINS0_14default_configELb0EPKhPhPKlPlN2at6native12_GLOBAL__N_18offset_tEEE10hipError_tPvRmT1_PNSt15iterator_traitsIS12_E10value_typeET2_T3_PNS13_IS18_E10value_typeET4_jRbjT5_S1E_jjP12ihipStream_tbEUljE_ZNSN_ISO_Lb0ESQ_SR_ST_SU_SY_EESZ_S10_S11_S12_S16_S17_S18_S1B_S1C_jS1D_jS1E_S1E_jjS1G_bEUljE0_EEESZ_S10_S11_S18_S1C_S1E_T6_T7_T9_mT8_S1G_bDpT10_ENKUlT_T0_E_clISt17integral_constantIbLb1EES1U_EEDaS1P_S1Q_EUlS1P_E_NS1_11comp_targetILNS1_3genE0ELNS1_11target_archE4294967295ELNS1_3gpuE0ELNS1_3repE0EEENS1_30default_config_static_selectorELNS0_4arch9wavefront6targetE0EEEvS12_.uses_flat_scratch, 0
	.set _ZN7rocprim17ROCPRIM_400000_NS6detail17trampoline_kernelINS0_13select_configILj256ELj13ELNS0_17block_load_methodE3ELS4_3ELS4_3ELNS0_20block_scan_algorithmE0ELj4294967295EEENS1_25partition_config_selectorILNS1_17partition_subalgoE4EjNS0_10empty_typeEbEEZZNS1_14partition_implILS8_4ELb0ES6_15HIP_vector_typeIjLj2EENS0_17counting_iteratorIjlEEPS9_SG_NS0_5tupleIJPjSI_NS0_16reverse_iteratorISI_EEEEENSH_IJSG_SG_SG_EEES9_SI_JZNS1_25segmented_radix_sort_implINS0_14default_configELb0EPKhPhPKlPlN2at6native12_GLOBAL__N_18offset_tEEE10hipError_tPvRmT1_PNSt15iterator_traitsIS12_E10value_typeET2_T3_PNS13_IS18_E10value_typeET4_jRbjT5_S1E_jjP12ihipStream_tbEUljE_ZNSN_ISO_Lb0ESQ_SR_ST_SU_SY_EESZ_S10_S11_S12_S16_S17_S18_S1B_S1C_jS1D_jS1E_S1E_jjS1G_bEUljE0_EEESZ_S10_S11_S18_S1C_S1E_T6_T7_T9_mT8_S1G_bDpT10_ENKUlT_T0_E_clISt17integral_constantIbLb1EES1U_EEDaS1P_S1Q_EUlS1P_E_NS1_11comp_targetILNS1_3genE0ELNS1_11target_archE4294967295ELNS1_3gpuE0ELNS1_3repE0EEENS1_30default_config_static_selectorELNS0_4arch9wavefront6targetE0EEEvS12_.has_dyn_sized_stack, 0
	.set _ZN7rocprim17ROCPRIM_400000_NS6detail17trampoline_kernelINS0_13select_configILj256ELj13ELNS0_17block_load_methodE3ELS4_3ELS4_3ELNS0_20block_scan_algorithmE0ELj4294967295EEENS1_25partition_config_selectorILNS1_17partition_subalgoE4EjNS0_10empty_typeEbEEZZNS1_14partition_implILS8_4ELb0ES6_15HIP_vector_typeIjLj2EENS0_17counting_iteratorIjlEEPS9_SG_NS0_5tupleIJPjSI_NS0_16reverse_iteratorISI_EEEEENSH_IJSG_SG_SG_EEES9_SI_JZNS1_25segmented_radix_sort_implINS0_14default_configELb0EPKhPhPKlPlN2at6native12_GLOBAL__N_18offset_tEEE10hipError_tPvRmT1_PNSt15iterator_traitsIS12_E10value_typeET2_T3_PNS13_IS18_E10value_typeET4_jRbjT5_S1E_jjP12ihipStream_tbEUljE_ZNSN_ISO_Lb0ESQ_SR_ST_SU_SY_EESZ_S10_S11_S12_S16_S17_S18_S1B_S1C_jS1D_jS1E_S1E_jjS1G_bEUljE0_EEESZ_S10_S11_S18_S1C_S1E_T6_T7_T9_mT8_S1G_bDpT10_ENKUlT_T0_E_clISt17integral_constantIbLb1EES1U_EEDaS1P_S1Q_EUlS1P_E_NS1_11comp_targetILNS1_3genE0ELNS1_11target_archE4294967295ELNS1_3gpuE0ELNS1_3repE0EEENS1_30default_config_static_selectorELNS0_4arch9wavefront6targetE0EEEvS12_.has_recursion, 0
	.set _ZN7rocprim17ROCPRIM_400000_NS6detail17trampoline_kernelINS0_13select_configILj256ELj13ELNS0_17block_load_methodE3ELS4_3ELS4_3ELNS0_20block_scan_algorithmE0ELj4294967295EEENS1_25partition_config_selectorILNS1_17partition_subalgoE4EjNS0_10empty_typeEbEEZZNS1_14partition_implILS8_4ELb0ES6_15HIP_vector_typeIjLj2EENS0_17counting_iteratorIjlEEPS9_SG_NS0_5tupleIJPjSI_NS0_16reverse_iteratorISI_EEEEENSH_IJSG_SG_SG_EEES9_SI_JZNS1_25segmented_radix_sort_implINS0_14default_configELb0EPKhPhPKlPlN2at6native12_GLOBAL__N_18offset_tEEE10hipError_tPvRmT1_PNSt15iterator_traitsIS12_E10value_typeET2_T3_PNS13_IS18_E10value_typeET4_jRbjT5_S1E_jjP12ihipStream_tbEUljE_ZNSN_ISO_Lb0ESQ_SR_ST_SU_SY_EESZ_S10_S11_S12_S16_S17_S18_S1B_S1C_jS1D_jS1E_S1E_jjS1G_bEUljE0_EEESZ_S10_S11_S18_S1C_S1E_T6_T7_T9_mT8_S1G_bDpT10_ENKUlT_T0_E_clISt17integral_constantIbLb1EES1U_EEDaS1P_S1Q_EUlS1P_E_NS1_11comp_targetILNS1_3genE0ELNS1_11target_archE4294967295ELNS1_3gpuE0ELNS1_3repE0EEENS1_30default_config_static_selectorELNS0_4arch9wavefront6targetE0EEEvS12_.has_indirect_call, 0
	.section	.AMDGPU.csdata,"",@progbits
; Kernel info:
; codeLenInByte = 0
; TotalNumSgprs: 0
; NumVgprs: 0
; ScratchSize: 0
; MemoryBound: 0
; FloatMode: 240
; IeeeMode: 1
; LDSByteSize: 0 bytes/workgroup (compile time only)
; SGPRBlocks: 0
; VGPRBlocks: 0
; NumSGPRsForWavesPerEU: 1
; NumVGPRsForWavesPerEU: 1
; Occupancy: 16
; WaveLimiterHint : 0
; COMPUTE_PGM_RSRC2:SCRATCH_EN: 0
; COMPUTE_PGM_RSRC2:USER_SGPR: 2
; COMPUTE_PGM_RSRC2:TRAP_HANDLER: 0
; COMPUTE_PGM_RSRC2:TGID_X_EN: 1
; COMPUTE_PGM_RSRC2:TGID_Y_EN: 0
; COMPUTE_PGM_RSRC2:TGID_Z_EN: 0
; COMPUTE_PGM_RSRC2:TIDIG_COMP_CNT: 0
	.section	.text._ZN7rocprim17ROCPRIM_400000_NS6detail17trampoline_kernelINS0_13select_configILj256ELj13ELNS0_17block_load_methodE3ELS4_3ELS4_3ELNS0_20block_scan_algorithmE0ELj4294967295EEENS1_25partition_config_selectorILNS1_17partition_subalgoE4EjNS0_10empty_typeEbEEZZNS1_14partition_implILS8_4ELb0ES6_15HIP_vector_typeIjLj2EENS0_17counting_iteratorIjlEEPS9_SG_NS0_5tupleIJPjSI_NS0_16reverse_iteratorISI_EEEEENSH_IJSG_SG_SG_EEES9_SI_JZNS1_25segmented_radix_sort_implINS0_14default_configELb0EPKhPhPKlPlN2at6native12_GLOBAL__N_18offset_tEEE10hipError_tPvRmT1_PNSt15iterator_traitsIS12_E10value_typeET2_T3_PNS13_IS18_E10value_typeET4_jRbjT5_S1E_jjP12ihipStream_tbEUljE_ZNSN_ISO_Lb0ESQ_SR_ST_SU_SY_EESZ_S10_S11_S12_S16_S17_S18_S1B_S1C_jS1D_jS1E_S1E_jjS1G_bEUljE0_EEESZ_S10_S11_S18_S1C_S1E_T6_T7_T9_mT8_S1G_bDpT10_ENKUlT_T0_E_clISt17integral_constantIbLb1EES1U_EEDaS1P_S1Q_EUlS1P_E_NS1_11comp_targetILNS1_3genE5ELNS1_11target_archE942ELNS1_3gpuE9ELNS1_3repE0EEENS1_30default_config_static_selectorELNS0_4arch9wavefront6targetE0EEEvS12_,"axG",@progbits,_ZN7rocprim17ROCPRIM_400000_NS6detail17trampoline_kernelINS0_13select_configILj256ELj13ELNS0_17block_load_methodE3ELS4_3ELS4_3ELNS0_20block_scan_algorithmE0ELj4294967295EEENS1_25partition_config_selectorILNS1_17partition_subalgoE4EjNS0_10empty_typeEbEEZZNS1_14partition_implILS8_4ELb0ES6_15HIP_vector_typeIjLj2EENS0_17counting_iteratorIjlEEPS9_SG_NS0_5tupleIJPjSI_NS0_16reverse_iteratorISI_EEEEENSH_IJSG_SG_SG_EEES9_SI_JZNS1_25segmented_radix_sort_implINS0_14default_configELb0EPKhPhPKlPlN2at6native12_GLOBAL__N_18offset_tEEE10hipError_tPvRmT1_PNSt15iterator_traitsIS12_E10value_typeET2_T3_PNS13_IS18_E10value_typeET4_jRbjT5_S1E_jjP12ihipStream_tbEUljE_ZNSN_ISO_Lb0ESQ_SR_ST_SU_SY_EESZ_S10_S11_S12_S16_S17_S18_S1B_S1C_jS1D_jS1E_S1E_jjS1G_bEUljE0_EEESZ_S10_S11_S18_S1C_S1E_T6_T7_T9_mT8_S1G_bDpT10_ENKUlT_T0_E_clISt17integral_constantIbLb1EES1U_EEDaS1P_S1Q_EUlS1P_E_NS1_11comp_targetILNS1_3genE5ELNS1_11target_archE942ELNS1_3gpuE9ELNS1_3repE0EEENS1_30default_config_static_selectorELNS0_4arch9wavefront6targetE0EEEvS12_,comdat
	.globl	_ZN7rocprim17ROCPRIM_400000_NS6detail17trampoline_kernelINS0_13select_configILj256ELj13ELNS0_17block_load_methodE3ELS4_3ELS4_3ELNS0_20block_scan_algorithmE0ELj4294967295EEENS1_25partition_config_selectorILNS1_17partition_subalgoE4EjNS0_10empty_typeEbEEZZNS1_14partition_implILS8_4ELb0ES6_15HIP_vector_typeIjLj2EENS0_17counting_iteratorIjlEEPS9_SG_NS0_5tupleIJPjSI_NS0_16reverse_iteratorISI_EEEEENSH_IJSG_SG_SG_EEES9_SI_JZNS1_25segmented_radix_sort_implINS0_14default_configELb0EPKhPhPKlPlN2at6native12_GLOBAL__N_18offset_tEEE10hipError_tPvRmT1_PNSt15iterator_traitsIS12_E10value_typeET2_T3_PNS13_IS18_E10value_typeET4_jRbjT5_S1E_jjP12ihipStream_tbEUljE_ZNSN_ISO_Lb0ESQ_SR_ST_SU_SY_EESZ_S10_S11_S12_S16_S17_S18_S1B_S1C_jS1D_jS1E_S1E_jjS1G_bEUljE0_EEESZ_S10_S11_S18_S1C_S1E_T6_T7_T9_mT8_S1G_bDpT10_ENKUlT_T0_E_clISt17integral_constantIbLb1EES1U_EEDaS1P_S1Q_EUlS1P_E_NS1_11comp_targetILNS1_3genE5ELNS1_11target_archE942ELNS1_3gpuE9ELNS1_3repE0EEENS1_30default_config_static_selectorELNS0_4arch9wavefront6targetE0EEEvS12_ ; -- Begin function _ZN7rocprim17ROCPRIM_400000_NS6detail17trampoline_kernelINS0_13select_configILj256ELj13ELNS0_17block_load_methodE3ELS4_3ELS4_3ELNS0_20block_scan_algorithmE0ELj4294967295EEENS1_25partition_config_selectorILNS1_17partition_subalgoE4EjNS0_10empty_typeEbEEZZNS1_14partition_implILS8_4ELb0ES6_15HIP_vector_typeIjLj2EENS0_17counting_iteratorIjlEEPS9_SG_NS0_5tupleIJPjSI_NS0_16reverse_iteratorISI_EEEEENSH_IJSG_SG_SG_EEES9_SI_JZNS1_25segmented_radix_sort_implINS0_14default_configELb0EPKhPhPKlPlN2at6native12_GLOBAL__N_18offset_tEEE10hipError_tPvRmT1_PNSt15iterator_traitsIS12_E10value_typeET2_T3_PNS13_IS18_E10value_typeET4_jRbjT5_S1E_jjP12ihipStream_tbEUljE_ZNSN_ISO_Lb0ESQ_SR_ST_SU_SY_EESZ_S10_S11_S12_S16_S17_S18_S1B_S1C_jS1D_jS1E_S1E_jjS1G_bEUljE0_EEESZ_S10_S11_S18_S1C_S1E_T6_T7_T9_mT8_S1G_bDpT10_ENKUlT_T0_E_clISt17integral_constantIbLb1EES1U_EEDaS1P_S1Q_EUlS1P_E_NS1_11comp_targetILNS1_3genE5ELNS1_11target_archE942ELNS1_3gpuE9ELNS1_3repE0EEENS1_30default_config_static_selectorELNS0_4arch9wavefront6targetE0EEEvS12_
	.p2align	8
	.type	_ZN7rocprim17ROCPRIM_400000_NS6detail17trampoline_kernelINS0_13select_configILj256ELj13ELNS0_17block_load_methodE3ELS4_3ELS4_3ELNS0_20block_scan_algorithmE0ELj4294967295EEENS1_25partition_config_selectorILNS1_17partition_subalgoE4EjNS0_10empty_typeEbEEZZNS1_14partition_implILS8_4ELb0ES6_15HIP_vector_typeIjLj2EENS0_17counting_iteratorIjlEEPS9_SG_NS0_5tupleIJPjSI_NS0_16reverse_iteratorISI_EEEEENSH_IJSG_SG_SG_EEES9_SI_JZNS1_25segmented_radix_sort_implINS0_14default_configELb0EPKhPhPKlPlN2at6native12_GLOBAL__N_18offset_tEEE10hipError_tPvRmT1_PNSt15iterator_traitsIS12_E10value_typeET2_T3_PNS13_IS18_E10value_typeET4_jRbjT5_S1E_jjP12ihipStream_tbEUljE_ZNSN_ISO_Lb0ESQ_SR_ST_SU_SY_EESZ_S10_S11_S12_S16_S17_S18_S1B_S1C_jS1D_jS1E_S1E_jjS1G_bEUljE0_EEESZ_S10_S11_S18_S1C_S1E_T6_T7_T9_mT8_S1G_bDpT10_ENKUlT_T0_E_clISt17integral_constantIbLb1EES1U_EEDaS1P_S1Q_EUlS1P_E_NS1_11comp_targetILNS1_3genE5ELNS1_11target_archE942ELNS1_3gpuE9ELNS1_3repE0EEENS1_30default_config_static_selectorELNS0_4arch9wavefront6targetE0EEEvS12_,@function
_ZN7rocprim17ROCPRIM_400000_NS6detail17trampoline_kernelINS0_13select_configILj256ELj13ELNS0_17block_load_methodE3ELS4_3ELS4_3ELNS0_20block_scan_algorithmE0ELj4294967295EEENS1_25partition_config_selectorILNS1_17partition_subalgoE4EjNS0_10empty_typeEbEEZZNS1_14partition_implILS8_4ELb0ES6_15HIP_vector_typeIjLj2EENS0_17counting_iteratorIjlEEPS9_SG_NS0_5tupleIJPjSI_NS0_16reverse_iteratorISI_EEEEENSH_IJSG_SG_SG_EEES9_SI_JZNS1_25segmented_radix_sort_implINS0_14default_configELb0EPKhPhPKlPlN2at6native12_GLOBAL__N_18offset_tEEE10hipError_tPvRmT1_PNSt15iterator_traitsIS12_E10value_typeET2_T3_PNS13_IS18_E10value_typeET4_jRbjT5_S1E_jjP12ihipStream_tbEUljE_ZNSN_ISO_Lb0ESQ_SR_ST_SU_SY_EESZ_S10_S11_S12_S16_S17_S18_S1B_S1C_jS1D_jS1E_S1E_jjS1G_bEUljE0_EEESZ_S10_S11_S18_S1C_S1E_T6_T7_T9_mT8_S1G_bDpT10_ENKUlT_T0_E_clISt17integral_constantIbLb1EES1U_EEDaS1P_S1Q_EUlS1P_E_NS1_11comp_targetILNS1_3genE5ELNS1_11target_archE942ELNS1_3gpuE9ELNS1_3repE0EEENS1_30default_config_static_selectorELNS0_4arch9wavefront6targetE0EEEvS12_: ; @_ZN7rocprim17ROCPRIM_400000_NS6detail17trampoline_kernelINS0_13select_configILj256ELj13ELNS0_17block_load_methodE3ELS4_3ELS4_3ELNS0_20block_scan_algorithmE0ELj4294967295EEENS1_25partition_config_selectorILNS1_17partition_subalgoE4EjNS0_10empty_typeEbEEZZNS1_14partition_implILS8_4ELb0ES6_15HIP_vector_typeIjLj2EENS0_17counting_iteratorIjlEEPS9_SG_NS0_5tupleIJPjSI_NS0_16reverse_iteratorISI_EEEEENSH_IJSG_SG_SG_EEES9_SI_JZNS1_25segmented_radix_sort_implINS0_14default_configELb0EPKhPhPKlPlN2at6native12_GLOBAL__N_18offset_tEEE10hipError_tPvRmT1_PNSt15iterator_traitsIS12_E10value_typeET2_T3_PNS13_IS18_E10value_typeET4_jRbjT5_S1E_jjP12ihipStream_tbEUljE_ZNSN_ISO_Lb0ESQ_SR_ST_SU_SY_EESZ_S10_S11_S12_S16_S17_S18_S1B_S1C_jS1D_jS1E_S1E_jjS1G_bEUljE0_EEESZ_S10_S11_S18_S1C_S1E_T6_T7_T9_mT8_S1G_bDpT10_ENKUlT_T0_E_clISt17integral_constantIbLb1EES1U_EEDaS1P_S1Q_EUlS1P_E_NS1_11comp_targetILNS1_3genE5ELNS1_11target_archE942ELNS1_3gpuE9ELNS1_3repE0EEENS1_30default_config_static_selectorELNS0_4arch9wavefront6targetE0EEEvS12_
; %bb.0:
	.section	.rodata,"a",@progbits
	.p2align	6, 0x0
	.amdhsa_kernel _ZN7rocprim17ROCPRIM_400000_NS6detail17trampoline_kernelINS0_13select_configILj256ELj13ELNS0_17block_load_methodE3ELS4_3ELS4_3ELNS0_20block_scan_algorithmE0ELj4294967295EEENS1_25partition_config_selectorILNS1_17partition_subalgoE4EjNS0_10empty_typeEbEEZZNS1_14partition_implILS8_4ELb0ES6_15HIP_vector_typeIjLj2EENS0_17counting_iteratorIjlEEPS9_SG_NS0_5tupleIJPjSI_NS0_16reverse_iteratorISI_EEEEENSH_IJSG_SG_SG_EEES9_SI_JZNS1_25segmented_radix_sort_implINS0_14default_configELb0EPKhPhPKlPlN2at6native12_GLOBAL__N_18offset_tEEE10hipError_tPvRmT1_PNSt15iterator_traitsIS12_E10value_typeET2_T3_PNS13_IS18_E10value_typeET4_jRbjT5_S1E_jjP12ihipStream_tbEUljE_ZNSN_ISO_Lb0ESQ_SR_ST_SU_SY_EESZ_S10_S11_S12_S16_S17_S18_S1B_S1C_jS1D_jS1E_S1E_jjS1G_bEUljE0_EEESZ_S10_S11_S18_S1C_S1E_T6_T7_T9_mT8_S1G_bDpT10_ENKUlT_T0_E_clISt17integral_constantIbLb1EES1U_EEDaS1P_S1Q_EUlS1P_E_NS1_11comp_targetILNS1_3genE5ELNS1_11target_archE942ELNS1_3gpuE9ELNS1_3repE0EEENS1_30default_config_static_selectorELNS0_4arch9wavefront6targetE0EEEvS12_
		.amdhsa_group_segment_fixed_size 0
		.amdhsa_private_segment_fixed_size 0
		.amdhsa_kernarg_size 184
		.amdhsa_user_sgpr_count 2
		.amdhsa_user_sgpr_dispatch_ptr 0
		.amdhsa_user_sgpr_queue_ptr 0
		.amdhsa_user_sgpr_kernarg_segment_ptr 1
		.amdhsa_user_sgpr_dispatch_id 0
		.amdhsa_user_sgpr_private_segment_size 0
		.amdhsa_wavefront_size32 1
		.amdhsa_uses_dynamic_stack 0
		.amdhsa_enable_private_segment 0
		.amdhsa_system_sgpr_workgroup_id_x 1
		.amdhsa_system_sgpr_workgroup_id_y 0
		.amdhsa_system_sgpr_workgroup_id_z 0
		.amdhsa_system_sgpr_workgroup_info 0
		.amdhsa_system_vgpr_workitem_id 0
		.amdhsa_next_free_vgpr 1
		.amdhsa_next_free_sgpr 1
		.amdhsa_reserve_vcc 0
		.amdhsa_float_round_mode_32 0
		.amdhsa_float_round_mode_16_64 0
		.amdhsa_float_denorm_mode_32 3
		.amdhsa_float_denorm_mode_16_64 3
		.amdhsa_fp16_overflow 0
		.amdhsa_workgroup_processor_mode 1
		.amdhsa_memory_ordered 1
		.amdhsa_forward_progress 1
		.amdhsa_inst_pref_size 0
		.amdhsa_round_robin_scheduling 0
		.amdhsa_exception_fp_ieee_invalid_op 0
		.amdhsa_exception_fp_denorm_src 0
		.amdhsa_exception_fp_ieee_div_zero 0
		.amdhsa_exception_fp_ieee_overflow 0
		.amdhsa_exception_fp_ieee_underflow 0
		.amdhsa_exception_fp_ieee_inexact 0
		.amdhsa_exception_int_div_zero 0
	.end_amdhsa_kernel
	.section	.text._ZN7rocprim17ROCPRIM_400000_NS6detail17trampoline_kernelINS0_13select_configILj256ELj13ELNS0_17block_load_methodE3ELS4_3ELS4_3ELNS0_20block_scan_algorithmE0ELj4294967295EEENS1_25partition_config_selectorILNS1_17partition_subalgoE4EjNS0_10empty_typeEbEEZZNS1_14partition_implILS8_4ELb0ES6_15HIP_vector_typeIjLj2EENS0_17counting_iteratorIjlEEPS9_SG_NS0_5tupleIJPjSI_NS0_16reverse_iteratorISI_EEEEENSH_IJSG_SG_SG_EEES9_SI_JZNS1_25segmented_radix_sort_implINS0_14default_configELb0EPKhPhPKlPlN2at6native12_GLOBAL__N_18offset_tEEE10hipError_tPvRmT1_PNSt15iterator_traitsIS12_E10value_typeET2_T3_PNS13_IS18_E10value_typeET4_jRbjT5_S1E_jjP12ihipStream_tbEUljE_ZNSN_ISO_Lb0ESQ_SR_ST_SU_SY_EESZ_S10_S11_S12_S16_S17_S18_S1B_S1C_jS1D_jS1E_S1E_jjS1G_bEUljE0_EEESZ_S10_S11_S18_S1C_S1E_T6_T7_T9_mT8_S1G_bDpT10_ENKUlT_T0_E_clISt17integral_constantIbLb1EES1U_EEDaS1P_S1Q_EUlS1P_E_NS1_11comp_targetILNS1_3genE5ELNS1_11target_archE942ELNS1_3gpuE9ELNS1_3repE0EEENS1_30default_config_static_selectorELNS0_4arch9wavefront6targetE0EEEvS12_,"axG",@progbits,_ZN7rocprim17ROCPRIM_400000_NS6detail17trampoline_kernelINS0_13select_configILj256ELj13ELNS0_17block_load_methodE3ELS4_3ELS4_3ELNS0_20block_scan_algorithmE0ELj4294967295EEENS1_25partition_config_selectorILNS1_17partition_subalgoE4EjNS0_10empty_typeEbEEZZNS1_14partition_implILS8_4ELb0ES6_15HIP_vector_typeIjLj2EENS0_17counting_iteratorIjlEEPS9_SG_NS0_5tupleIJPjSI_NS0_16reverse_iteratorISI_EEEEENSH_IJSG_SG_SG_EEES9_SI_JZNS1_25segmented_radix_sort_implINS0_14default_configELb0EPKhPhPKlPlN2at6native12_GLOBAL__N_18offset_tEEE10hipError_tPvRmT1_PNSt15iterator_traitsIS12_E10value_typeET2_T3_PNS13_IS18_E10value_typeET4_jRbjT5_S1E_jjP12ihipStream_tbEUljE_ZNSN_ISO_Lb0ESQ_SR_ST_SU_SY_EESZ_S10_S11_S12_S16_S17_S18_S1B_S1C_jS1D_jS1E_S1E_jjS1G_bEUljE0_EEESZ_S10_S11_S18_S1C_S1E_T6_T7_T9_mT8_S1G_bDpT10_ENKUlT_T0_E_clISt17integral_constantIbLb1EES1U_EEDaS1P_S1Q_EUlS1P_E_NS1_11comp_targetILNS1_3genE5ELNS1_11target_archE942ELNS1_3gpuE9ELNS1_3repE0EEENS1_30default_config_static_selectorELNS0_4arch9wavefront6targetE0EEEvS12_,comdat
.Lfunc_end131:
	.size	_ZN7rocprim17ROCPRIM_400000_NS6detail17trampoline_kernelINS0_13select_configILj256ELj13ELNS0_17block_load_methodE3ELS4_3ELS4_3ELNS0_20block_scan_algorithmE0ELj4294967295EEENS1_25partition_config_selectorILNS1_17partition_subalgoE4EjNS0_10empty_typeEbEEZZNS1_14partition_implILS8_4ELb0ES6_15HIP_vector_typeIjLj2EENS0_17counting_iteratorIjlEEPS9_SG_NS0_5tupleIJPjSI_NS0_16reverse_iteratorISI_EEEEENSH_IJSG_SG_SG_EEES9_SI_JZNS1_25segmented_radix_sort_implINS0_14default_configELb0EPKhPhPKlPlN2at6native12_GLOBAL__N_18offset_tEEE10hipError_tPvRmT1_PNSt15iterator_traitsIS12_E10value_typeET2_T3_PNS13_IS18_E10value_typeET4_jRbjT5_S1E_jjP12ihipStream_tbEUljE_ZNSN_ISO_Lb0ESQ_SR_ST_SU_SY_EESZ_S10_S11_S12_S16_S17_S18_S1B_S1C_jS1D_jS1E_S1E_jjS1G_bEUljE0_EEESZ_S10_S11_S18_S1C_S1E_T6_T7_T9_mT8_S1G_bDpT10_ENKUlT_T0_E_clISt17integral_constantIbLb1EES1U_EEDaS1P_S1Q_EUlS1P_E_NS1_11comp_targetILNS1_3genE5ELNS1_11target_archE942ELNS1_3gpuE9ELNS1_3repE0EEENS1_30default_config_static_selectorELNS0_4arch9wavefront6targetE0EEEvS12_, .Lfunc_end131-_ZN7rocprim17ROCPRIM_400000_NS6detail17trampoline_kernelINS0_13select_configILj256ELj13ELNS0_17block_load_methodE3ELS4_3ELS4_3ELNS0_20block_scan_algorithmE0ELj4294967295EEENS1_25partition_config_selectorILNS1_17partition_subalgoE4EjNS0_10empty_typeEbEEZZNS1_14partition_implILS8_4ELb0ES6_15HIP_vector_typeIjLj2EENS0_17counting_iteratorIjlEEPS9_SG_NS0_5tupleIJPjSI_NS0_16reverse_iteratorISI_EEEEENSH_IJSG_SG_SG_EEES9_SI_JZNS1_25segmented_radix_sort_implINS0_14default_configELb0EPKhPhPKlPlN2at6native12_GLOBAL__N_18offset_tEEE10hipError_tPvRmT1_PNSt15iterator_traitsIS12_E10value_typeET2_T3_PNS13_IS18_E10value_typeET4_jRbjT5_S1E_jjP12ihipStream_tbEUljE_ZNSN_ISO_Lb0ESQ_SR_ST_SU_SY_EESZ_S10_S11_S12_S16_S17_S18_S1B_S1C_jS1D_jS1E_S1E_jjS1G_bEUljE0_EEESZ_S10_S11_S18_S1C_S1E_T6_T7_T9_mT8_S1G_bDpT10_ENKUlT_T0_E_clISt17integral_constantIbLb1EES1U_EEDaS1P_S1Q_EUlS1P_E_NS1_11comp_targetILNS1_3genE5ELNS1_11target_archE942ELNS1_3gpuE9ELNS1_3repE0EEENS1_30default_config_static_selectorELNS0_4arch9wavefront6targetE0EEEvS12_
                                        ; -- End function
	.set _ZN7rocprim17ROCPRIM_400000_NS6detail17trampoline_kernelINS0_13select_configILj256ELj13ELNS0_17block_load_methodE3ELS4_3ELS4_3ELNS0_20block_scan_algorithmE0ELj4294967295EEENS1_25partition_config_selectorILNS1_17partition_subalgoE4EjNS0_10empty_typeEbEEZZNS1_14partition_implILS8_4ELb0ES6_15HIP_vector_typeIjLj2EENS0_17counting_iteratorIjlEEPS9_SG_NS0_5tupleIJPjSI_NS0_16reverse_iteratorISI_EEEEENSH_IJSG_SG_SG_EEES9_SI_JZNS1_25segmented_radix_sort_implINS0_14default_configELb0EPKhPhPKlPlN2at6native12_GLOBAL__N_18offset_tEEE10hipError_tPvRmT1_PNSt15iterator_traitsIS12_E10value_typeET2_T3_PNS13_IS18_E10value_typeET4_jRbjT5_S1E_jjP12ihipStream_tbEUljE_ZNSN_ISO_Lb0ESQ_SR_ST_SU_SY_EESZ_S10_S11_S12_S16_S17_S18_S1B_S1C_jS1D_jS1E_S1E_jjS1G_bEUljE0_EEESZ_S10_S11_S18_S1C_S1E_T6_T7_T9_mT8_S1G_bDpT10_ENKUlT_T0_E_clISt17integral_constantIbLb1EES1U_EEDaS1P_S1Q_EUlS1P_E_NS1_11comp_targetILNS1_3genE5ELNS1_11target_archE942ELNS1_3gpuE9ELNS1_3repE0EEENS1_30default_config_static_selectorELNS0_4arch9wavefront6targetE0EEEvS12_.num_vgpr, 0
	.set _ZN7rocprim17ROCPRIM_400000_NS6detail17trampoline_kernelINS0_13select_configILj256ELj13ELNS0_17block_load_methodE3ELS4_3ELS4_3ELNS0_20block_scan_algorithmE0ELj4294967295EEENS1_25partition_config_selectorILNS1_17partition_subalgoE4EjNS0_10empty_typeEbEEZZNS1_14partition_implILS8_4ELb0ES6_15HIP_vector_typeIjLj2EENS0_17counting_iteratorIjlEEPS9_SG_NS0_5tupleIJPjSI_NS0_16reverse_iteratorISI_EEEEENSH_IJSG_SG_SG_EEES9_SI_JZNS1_25segmented_radix_sort_implINS0_14default_configELb0EPKhPhPKlPlN2at6native12_GLOBAL__N_18offset_tEEE10hipError_tPvRmT1_PNSt15iterator_traitsIS12_E10value_typeET2_T3_PNS13_IS18_E10value_typeET4_jRbjT5_S1E_jjP12ihipStream_tbEUljE_ZNSN_ISO_Lb0ESQ_SR_ST_SU_SY_EESZ_S10_S11_S12_S16_S17_S18_S1B_S1C_jS1D_jS1E_S1E_jjS1G_bEUljE0_EEESZ_S10_S11_S18_S1C_S1E_T6_T7_T9_mT8_S1G_bDpT10_ENKUlT_T0_E_clISt17integral_constantIbLb1EES1U_EEDaS1P_S1Q_EUlS1P_E_NS1_11comp_targetILNS1_3genE5ELNS1_11target_archE942ELNS1_3gpuE9ELNS1_3repE0EEENS1_30default_config_static_selectorELNS0_4arch9wavefront6targetE0EEEvS12_.num_agpr, 0
	.set _ZN7rocprim17ROCPRIM_400000_NS6detail17trampoline_kernelINS0_13select_configILj256ELj13ELNS0_17block_load_methodE3ELS4_3ELS4_3ELNS0_20block_scan_algorithmE0ELj4294967295EEENS1_25partition_config_selectorILNS1_17partition_subalgoE4EjNS0_10empty_typeEbEEZZNS1_14partition_implILS8_4ELb0ES6_15HIP_vector_typeIjLj2EENS0_17counting_iteratorIjlEEPS9_SG_NS0_5tupleIJPjSI_NS0_16reverse_iteratorISI_EEEEENSH_IJSG_SG_SG_EEES9_SI_JZNS1_25segmented_radix_sort_implINS0_14default_configELb0EPKhPhPKlPlN2at6native12_GLOBAL__N_18offset_tEEE10hipError_tPvRmT1_PNSt15iterator_traitsIS12_E10value_typeET2_T3_PNS13_IS18_E10value_typeET4_jRbjT5_S1E_jjP12ihipStream_tbEUljE_ZNSN_ISO_Lb0ESQ_SR_ST_SU_SY_EESZ_S10_S11_S12_S16_S17_S18_S1B_S1C_jS1D_jS1E_S1E_jjS1G_bEUljE0_EEESZ_S10_S11_S18_S1C_S1E_T6_T7_T9_mT8_S1G_bDpT10_ENKUlT_T0_E_clISt17integral_constantIbLb1EES1U_EEDaS1P_S1Q_EUlS1P_E_NS1_11comp_targetILNS1_3genE5ELNS1_11target_archE942ELNS1_3gpuE9ELNS1_3repE0EEENS1_30default_config_static_selectorELNS0_4arch9wavefront6targetE0EEEvS12_.numbered_sgpr, 0
	.set _ZN7rocprim17ROCPRIM_400000_NS6detail17trampoline_kernelINS0_13select_configILj256ELj13ELNS0_17block_load_methodE3ELS4_3ELS4_3ELNS0_20block_scan_algorithmE0ELj4294967295EEENS1_25partition_config_selectorILNS1_17partition_subalgoE4EjNS0_10empty_typeEbEEZZNS1_14partition_implILS8_4ELb0ES6_15HIP_vector_typeIjLj2EENS0_17counting_iteratorIjlEEPS9_SG_NS0_5tupleIJPjSI_NS0_16reverse_iteratorISI_EEEEENSH_IJSG_SG_SG_EEES9_SI_JZNS1_25segmented_radix_sort_implINS0_14default_configELb0EPKhPhPKlPlN2at6native12_GLOBAL__N_18offset_tEEE10hipError_tPvRmT1_PNSt15iterator_traitsIS12_E10value_typeET2_T3_PNS13_IS18_E10value_typeET4_jRbjT5_S1E_jjP12ihipStream_tbEUljE_ZNSN_ISO_Lb0ESQ_SR_ST_SU_SY_EESZ_S10_S11_S12_S16_S17_S18_S1B_S1C_jS1D_jS1E_S1E_jjS1G_bEUljE0_EEESZ_S10_S11_S18_S1C_S1E_T6_T7_T9_mT8_S1G_bDpT10_ENKUlT_T0_E_clISt17integral_constantIbLb1EES1U_EEDaS1P_S1Q_EUlS1P_E_NS1_11comp_targetILNS1_3genE5ELNS1_11target_archE942ELNS1_3gpuE9ELNS1_3repE0EEENS1_30default_config_static_selectorELNS0_4arch9wavefront6targetE0EEEvS12_.num_named_barrier, 0
	.set _ZN7rocprim17ROCPRIM_400000_NS6detail17trampoline_kernelINS0_13select_configILj256ELj13ELNS0_17block_load_methodE3ELS4_3ELS4_3ELNS0_20block_scan_algorithmE0ELj4294967295EEENS1_25partition_config_selectorILNS1_17partition_subalgoE4EjNS0_10empty_typeEbEEZZNS1_14partition_implILS8_4ELb0ES6_15HIP_vector_typeIjLj2EENS0_17counting_iteratorIjlEEPS9_SG_NS0_5tupleIJPjSI_NS0_16reverse_iteratorISI_EEEEENSH_IJSG_SG_SG_EEES9_SI_JZNS1_25segmented_radix_sort_implINS0_14default_configELb0EPKhPhPKlPlN2at6native12_GLOBAL__N_18offset_tEEE10hipError_tPvRmT1_PNSt15iterator_traitsIS12_E10value_typeET2_T3_PNS13_IS18_E10value_typeET4_jRbjT5_S1E_jjP12ihipStream_tbEUljE_ZNSN_ISO_Lb0ESQ_SR_ST_SU_SY_EESZ_S10_S11_S12_S16_S17_S18_S1B_S1C_jS1D_jS1E_S1E_jjS1G_bEUljE0_EEESZ_S10_S11_S18_S1C_S1E_T6_T7_T9_mT8_S1G_bDpT10_ENKUlT_T0_E_clISt17integral_constantIbLb1EES1U_EEDaS1P_S1Q_EUlS1P_E_NS1_11comp_targetILNS1_3genE5ELNS1_11target_archE942ELNS1_3gpuE9ELNS1_3repE0EEENS1_30default_config_static_selectorELNS0_4arch9wavefront6targetE0EEEvS12_.private_seg_size, 0
	.set _ZN7rocprim17ROCPRIM_400000_NS6detail17trampoline_kernelINS0_13select_configILj256ELj13ELNS0_17block_load_methodE3ELS4_3ELS4_3ELNS0_20block_scan_algorithmE0ELj4294967295EEENS1_25partition_config_selectorILNS1_17partition_subalgoE4EjNS0_10empty_typeEbEEZZNS1_14partition_implILS8_4ELb0ES6_15HIP_vector_typeIjLj2EENS0_17counting_iteratorIjlEEPS9_SG_NS0_5tupleIJPjSI_NS0_16reverse_iteratorISI_EEEEENSH_IJSG_SG_SG_EEES9_SI_JZNS1_25segmented_radix_sort_implINS0_14default_configELb0EPKhPhPKlPlN2at6native12_GLOBAL__N_18offset_tEEE10hipError_tPvRmT1_PNSt15iterator_traitsIS12_E10value_typeET2_T3_PNS13_IS18_E10value_typeET4_jRbjT5_S1E_jjP12ihipStream_tbEUljE_ZNSN_ISO_Lb0ESQ_SR_ST_SU_SY_EESZ_S10_S11_S12_S16_S17_S18_S1B_S1C_jS1D_jS1E_S1E_jjS1G_bEUljE0_EEESZ_S10_S11_S18_S1C_S1E_T6_T7_T9_mT8_S1G_bDpT10_ENKUlT_T0_E_clISt17integral_constantIbLb1EES1U_EEDaS1P_S1Q_EUlS1P_E_NS1_11comp_targetILNS1_3genE5ELNS1_11target_archE942ELNS1_3gpuE9ELNS1_3repE0EEENS1_30default_config_static_selectorELNS0_4arch9wavefront6targetE0EEEvS12_.uses_vcc, 0
	.set _ZN7rocprim17ROCPRIM_400000_NS6detail17trampoline_kernelINS0_13select_configILj256ELj13ELNS0_17block_load_methodE3ELS4_3ELS4_3ELNS0_20block_scan_algorithmE0ELj4294967295EEENS1_25partition_config_selectorILNS1_17partition_subalgoE4EjNS0_10empty_typeEbEEZZNS1_14partition_implILS8_4ELb0ES6_15HIP_vector_typeIjLj2EENS0_17counting_iteratorIjlEEPS9_SG_NS0_5tupleIJPjSI_NS0_16reverse_iteratorISI_EEEEENSH_IJSG_SG_SG_EEES9_SI_JZNS1_25segmented_radix_sort_implINS0_14default_configELb0EPKhPhPKlPlN2at6native12_GLOBAL__N_18offset_tEEE10hipError_tPvRmT1_PNSt15iterator_traitsIS12_E10value_typeET2_T3_PNS13_IS18_E10value_typeET4_jRbjT5_S1E_jjP12ihipStream_tbEUljE_ZNSN_ISO_Lb0ESQ_SR_ST_SU_SY_EESZ_S10_S11_S12_S16_S17_S18_S1B_S1C_jS1D_jS1E_S1E_jjS1G_bEUljE0_EEESZ_S10_S11_S18_S1C_S1E_T6_T7_T9_mT8_S1G_bDpT10_ENKUlT_T0_E_clISt17integral_constantIbLb1EES1U_EEDaS1P_S1Q_EUlS1P_E_NS1_11comp_targetILNS1_3genE5ELNS1_11target_archE942ELNS1_3gpuE9ELNS1_3repE0EEENS1_30default_config_static_selectorELNS0_4arch9wavefront6targetE0EEEvS12_.uses_flat_scratch, 0
	.set _ZN7rocprim17ROCPRIM_400000_NS6detail17trampoline_kernelINS0_13select_configILj256ELj13ELNS0_17block_load_methodE3ELS4_3ELS4_3ELNS0_20block_scan_algorithmE0ELj4294967295EEENS1_25partition_config_selectorILNS1_17partition_subalgoE4EjNS0_10empty_typeEbEEZZNS1_14partition_implILS8_4ELb0ES6_15HIP_vector_typeIjLj2EENS0_17counting_iteratorIjlEEPS9_SG_NS0_5tupleIJPjSI_NS0_16reverse_iteratorISI_EEEEENSH_IJSG_SG_SG_EEES9_SI_JZNS1_25segmented_radix_sort_implINS0_14default_configELb0EPKhPhPKlPlN2at6native12_GLOBAL__N_18offset_tEEE10hipError_tPvRmT1_PNSt15iterator_traitsIS12_E10value_typeET2_T3_PNS13_IS18_E10value_typeET4_jRbjT5_S1E_jjP12ihipStream_tbEUljE_ZNSN_ISO_Lb0ESQ_SR_ST_SU_SY_EESZ_S10_S11_S12_S16_S17_S18_S1B_S1C_jS1D_jS1E_S1E_jjS1G_bEUljE0_EEESZ_S10_S11_S18_S1C_S1E_T6_T7_T9_mT8_S1G_bDpT10_ENKUlT_T0_E_clISt17integral_constantIbLb1EES1U_EEDaS1P_S1Q_EUlS1P_E_NS1_11comp_targetILNS1_3genE5ELNS1_11target_archE942ELNS1_3gpuE9ELNS1_3repE0EEENS1_30default_config_static_selectorELNS0_4arch9wavefront6targetE0EEEvS12_.has_dyn_sized_stack, 0
	.set _ZN7rocprim17ROCPRIM_400000_NS6detail17trampoline_kernelINS0_13select_configILj256ELj13ELNS0_17block_load_methodE3ELS4_3ELS4_3ELNS0_20block_scan_algorithmE0ELj4294967295EEENS1_25partition_config_selectorILNS1_17partition_subalgoE4EjNS0_10empty_typeEbEEZZNS1_14partition_implILS8_4ELb0ES6_15HIP_vector_typeIjLj2EENS0_17counting_iteratorIjlEEPS9_SG_NS0_5tupleIJPjSI_NS0_16reverse_iteratorISI_EEEEENSH_IJSG_SG_SG_EEES9_SI_JZNS1_25segmented_radix_sort_implINS0_14default_configELb0EPKhPhPKlPlN2at6native12_GLOBAL__N_18offset_tEEE10hipError_tPvRmT1_PNSt15iterator_traitsIS12_E10value_typeET2_T3_PNS13_IS18_E10value_typeET4_jRbjT5_S1E_jjP12ihipStream_tbEUljE_ZNSN_ISO_Lb0ESQ_SR_ST_SU_SY_EESZ_S10_S11_S12_S16_S17_S18_S1B_S1C_jS1D_jS1E_S1E_jjS1G_bEUljE0_EEESZ_S10_S11_S18_S1C_S1E_T6_T7_T9_mT8_S1G_bDpT10_ENKUlT_T0_E_clISt17integral_constantIbLb1EES1U_EEDaS1P_S1Q_EUlS1P_E_NS1_11comp_targetILNS1_3genE5ELNS1_11target_archE942ELNS1_3gpuE9ELNS1_3repE0EEENS1_30default_config_static_selectorELNS0_4arch9wavefront6targetE0EEEvS12_.has_recursion, 0
	.set _ZN7rocprim17ROCPRIM_400000_NS6detail17trampoline_kernelINS0_13select_configILj256ELj13ELNS0_17block_load_methodE3ELS4_3ELS4_3ELNS0_20block_scan_algorithmE0ELj4294967295EEENS1_25partition_config_selectorILNS1_17partition_subalgoE4EjNS0_10empty_typeEbEEZZNS1_14partition_implILS8_4ELb0ES6_15HIP_vector_typeIjLj2EENS0_17counting_iteratorIjlEEPS9_SG_NS0_5tupleIJPjSI_NS0_16reverse_iteratorISI_EEEEENSH_IJSG_SG_SG_EEES9_SI_JZNS1_25segmented_radix_sort_implINS0_14default_configELb0EPKhPhPKlPlN2at6native12_GLOBAL__N_18offset_tEEE10hipError_tPvRmT1_PNSt15iterator_traitsIS12_E10value_typeET2_T3_PNS13_IS18_E10value_typeET4_jRbjT5_S1E_jjP12ihipStream_tbEUljE_ZNSN_ISO_Lb0ESQ_SR_ST_SU_SY_EESZ_S10_S11_S12_S16_S17_S18_S1B_S1C_jS1D_jS1E_S1E_jjS1G_bEUljE0_EEESZ_S10_S11_S18_S1C_S1E_T6_T7_T9_mT8_S1G_bDpT10_ENKUlT_T0_E_clISt17integral_constantIbLb1EES1U_EEDaS1P_S1Q_EUlS1P_E_NS1_11comp_targetILNS1_3genE5ELNS1_11target_archE942ELNS1_3gpuE9ELNS1_3repE0EEENS1_30default_config_static_selectorELNS0_4arch9wavefront6targetE0EEEvS12_.has_indirect_call, 0
	.section	.AMDGPU.csdata,"",@progbits
; Kernel info:
; codeLenInByte = 0
; TotalNumSgprs: 0
; NumVgprs: 0
; ScratchSize: 0
; MemoryBound: 0
; FloatMode: 240
; IeeeMode: 1
; LDSByteSize: 0 bytes/workgroup (compile time only)
; SGPRBlocks: 0
; VGPRBlocks: 0
; NumSGPRsForWavesPerEU: 1
; NumVGPRsForWavesPerEU: 1
; Occupancy: 16
; WaveLimiterHint : 0
; COMPUTE_PGM_RSRC2:SCRATCH_EN: 0
; COMPUTE_PGM_RSRC2:USER_SGPR: 2
; COMPUTE_PGM_RSRC2:TRAP_HANDLER: 0
; COMPUTE_PGM_RSRC2:TGID_X_EN: 1
; COMPUTE_PGM_RSRC2:TGID_Y_EN: 0
; COMPUTE_PGM_RSRC2:TGID_Z_EN: 0
; COMPUTE_PGM_RSRC2:TIDIG_COMP_CNT: 0
	.section	.text._ZN7rocprim17ROCPRIM_400000_NS6detail17trampoline_kernelINS0_13select_configILj256ELj13ELNS0_17block_load_methodE3ELS4_3ELS4_3ELNS0_20block_scan_algorithmE0ELj4294967295EEENS1_25partition_config_selectorILNS1_17partition_subalgoE4EjNS0_10empty_typeEbEEZZNS1_14partition_implILS8_4ELb0ES6_15HIP_vector_typeIjLj2EENS0_17counting_iteratorIjlEEPS9_SG_NS0_5tupleIJPjSI_NS0_16reverse_iteratorISI_EEEEENSH_IJSG_SG_SG_EEES9_SI_JZNS1_25segmented_radix_sort_implINS0_14default_configELb0EPKhPhPKlPlN2at6native12_GLOBAL__N_18offset_tEEE10hipError_tPvRmT1_PNSt15iterator_traitsIS12_E10value_typeET2_T3_PNS13_IS18_E10value_typeET4_jRbjT5_S1E_jjP12ihipStream_tbEUljE_ZNSN_ISO_Lb0ESQ_SR_ST_SU_SY_EESZ_S10_S11_S12_S16_S17_S18_S1B_S1C_jS1D_jS1E_S1E_jjS1G_bEUljE0_EEESZ_S10_S11_S18_S1C_S1E_T6_T7_T9_mT8_S1G_bDpT10_ENKUlT_T0_E_clISt17integral_constantIbLb1EES1U_EEDaS1P_S1Q_EUlS1P_E_NS1_11comp_targetILNS1_3genE4ELNS1_11target_archE910ELNS1_3gpuE8ELNS1_3repE0EEENS1_30default_config_static_selectorELNS0_4arch9wavefront6targetE0EEEvS12_,"axG",@progbits,_ZN7rocprim17ROCPRIM_400000_NS6detail17trampoline_kernelINS0_13select_configILj256ELj13ELNS0_17block_load_methodE3ELS4_3ELS4_3ELNS0_20block_scan_algorithmE0ELj4294967295EEENS1_25partition_config_selectorILNS1_17partition_subalgoE4EjNS0_10empty_typeEbEEZZNS1_14partition_implILS8_4ELb0ES6_15HIP_vector_typeIjLj2EENS0_17counting_iteratorIjlEEPS9_SG_NS0_5tupleIJPjSI_NS0_16reverse_iteratorISI_EEEEENSH_IJSG_SG_SG_EEES9_SI_JZNS1_25segmented_radix_sort_implINS0_14default_configELb0EPKhPhPKlPlN2at6native12_GLOBAL__N_18offset_tEEE10hipError_tPvRmT1_PNSt15iterator_traitsIS12_E10value_typeET2_T3_PNS13_IS18_E10value_typeET4_jRbjT5_S1E_jjP12ihipStream_tbEUljE_ZNSN_ISO_Lb0ESQ_SR_ST_SU_SY_EESZ_S10_S11_S12_S16_S17_S18_S1B_S1C_jS1D_jS1E_S1E_jjS1G_bEUljE0_EEESZ_S10_S11_S18_S1C_S1E_T6_T7_T9_mT8_S1G_bDpT10_ENKUlT_T0_E_clISt17integral_constantIbLb1EES1U_EEDaS1P_S1Q_EUlS1P_E_NS1_11comp_targetILNS1_3genE4ELNS1_11target_archE910ELNS1_3gpuE8ELNS1_3repE0EEENS1_30default_config_static_selectorELNS0_4arch9wavefront6targetE0EEEvS12_,comdat
	.globl	_ZN7rocprim17ROCPRIM_400000_NS6detail17trampoline_kernelINS0_13select_configILj256ELj13ELNS0_17block_load_methodE3ELS4_3ELS4_3ELNS0_20block_scan_algorithmE0ELj4294967295EEENS1_25partition_config_selectorILNS1_17partition_subalgoE4EjNS0_10empty_typeEbEEZZNS1_14partition_implILS8_4ELb0ES6_15HIP_vector_typeIjLj2EENS0_17counting_iteratorIjlEEPS9_SG_NS0_5tupleIJPjSI_NS0_16reverse_iteratorISI_EEEEENSH_IJSG_SG_SG_EEES9_SI_JZNS1_25segmented_radix_sort_implINS0_14default_configELb0EPKhPhPKlPlN2at6native12_GLOBAL__N_18offset_tEEE10hipError_tPvRmT1_PNSt15iterator_traitsIS12_E10value_typeET2_T3_PNS13_IS18_E10value_typeET4_jRbjT5_S1E_jjP12ihipStream_tbEUljE_ZNSN_ISO_Lb0ESQ_SR_ST_SU_SY_EESZ_S10_S11_S12_S16_S17_S18_S1B_S1C_jS1D_jS1E_S1E_jjS1G_bEUljE0_EEESZ_S10_S11_S18_S1C_S1E_T6_T7_T9_mT8_S1G_bDpT10_ENKUlT_T0_E_clISt17integral_constantIbLb1EES1U_EEDaS1P_S1Q_EUlS1P_E_NS1_11comp_targetILNS1_3genE4ELNS1_11target_archE910ELNS1_3gpuE8ELNS1_3repE0EEENS1_30default_config_static_selectorELNS0_4arch9wavefront6targetE0EEEvS12_ ; -- Begin function _ZN7rocprim17ROCPRIM_400000_NS6detail17trampoline_kernelINS0_13select_configILj256ELj13ELNS0_17block_load_methodE3ELS4_3ELS4_3ELNS0_20block_scan_algorithmE0ELj4294967295EEENS1_25partition_config_selectorILNS1_17partition_subalgoE4EjNS0_10empty_typeEbEEZZNS1_14partition_implILS8_4ELb0ES6_15HIP_vector_typeIjLj2EENS0_17counting_iteratorIjlEEPS9_SG_NS0_5tupleIJPjSI_NS0_16reverse_iteratorISI_EEEEENSH_IJSG_SG_SG_EEES9_SI_JZNS1_25segmented_radix_sort_implINS0_14default_configELb0EPKhPhPKlPlN2at6native12_GLOBAL__N_18offset_tEEE10hipError_tPvRmT1_PNSt15iterator_traitsIS12_E10value_typeET2_T3_PNS13_IS18_E10value_typeET4_jRbjT5_S1E_jjP12ihipStream_tbEUljE_ZNSN_ISO_Lb0ESQ_SR_ST_SU_SY_EESZ_S10_S11_S12_S16_S17_S18_S1B_S1C_jS1D_jS1E_S1E_jjS1G_bEUljE0_EEESZ_S10_S11_S18_S1C_S1E_T6_T7_T9_mT8_S1G_bDpT10_ENKUlT_T0_E_clISt17integral_constantIbLb1EES1U_EEDaS1P_S1Q_EUlS1P_E_NS1_11comp_targetILNS1_3genE4ELNS1_11target_archE910ELNS1_3gpuE8ELNS1_3repE0EEENS1_30default_config_static_selectorELNS0_4arch9wavefront6targetE0EEEvS12_
	.p2align	8
	.type	_ZN7rocprim17ROCPRIM_400000_NS6detail17trampoline_kernelINS0_13select_configILj256ELj13ELNS0_17block_load_methodE3ELS4_3ELS4_3ELNS0_20block_scan_algorithmE0ELj4294967295EEENS1_25partition_config_selectorILNS1_17partition_subalgoE4EjNS0_10empty_typeEbEEZZNS1_14partition_implILS8_4ELb0ES6_15HIP_vector_typeIjLj2EENS0_17counting_iteratorIjlEEPS9_SG_NS0_5tupleIJPjSI_NS0_16reverse_iteratorISI_EEEEENSH_IJSG_SG_SG_EEES9_SI_JZNS1_25segmented_radix_sort_implINS0_14default_configELb0EPKhPhPKlPlN2at6native12_GLOBAL__N_18offset_tEEE10hipError_tPvRmT1_PNSt15iterator_traitsIS12_E10value_typeET2_T3_PNS13_IS18_E10value_typeET4_jRbjT5_S1E_jjP12ihipStream_tbEUljE_ZNSN_ISO_Lb0ESQ_SR_ST_SU_SY_EESZ_S10_S11_S12_S16_S17_S18_S1B_S1C_jS1D_jS1E_S1E_jjS1G_bEUljE0_EEESZ_S10_S11_S18_S1C_S1E_T6_T7_T9_mT8_S1G_bDpT10_ENKUlT_T0_E_clISt17integral_constantIbLb1EES1U_EEDaS1P_S1Q_EUlS1P_E_NS1_11comp_targetILNS1_3genE4ELNS1_11target_archE910ELNS1_3gpuE8ELNS1_3repE0EEENS1_30default_config_static_selectorELNS0_4arch9wavefront6targetE0EEEvS12_,@function
_ZN7rocprim17ROCPRIM_400000_NS6detail17trampoline_kernelINS0_13select_configILj256ELj13ELNS0_17block_load_methodE3ELS4_3ELS4_3ELNS0_20block_scan_algorithmE0ELj4294967295EEENS1_25partition_config_selectorILNS1_17partition_subalgoE4EjNS0_10empty_typeEbEEZZNS1_14partition_implILS8_4ELb0ES6_15HIP_vector_typeIjLj2EENS0_17counting_iteratorIjlEEPS9_SG_NS0_5tupleIJPjSI_NS0_16reverse_iteratorISI_EEEEENSH_IJSG_SG_SG_EEES9_SI_JZNS1_25segmented_radix_sort_implINS0_14default_configELb0EPKhPhPKlPlN2at6native12_GLOBAL__N_18offset_tEEE10hipError_tPvRmT1_PNSt15iterator_traitsIS12_E10value_typeET2_T3_PNS13_IS18_E10value_typeET4_jRbjT5_S1E_jjP12ihipStream_tbEUljE_ZNSN_ISO_Lb0ESQ_SR_ST_SU_SY_EESZ_S10_S11_S12_S16_S17_S18_S1B_S1C_jS1D_jS1E_S1E_jjS1G_bEUljE0_EEESZ_S10_S11_S18_S1C_S1E_T6_T7_T9_mT8_S1G_bDpT10_ENKUlT_T0_E_clISt17integral_constantIbLb1EES1U_EEDaS1P_S1Q_EUlS1P_E_NS1_11comp_targetILNS1_3genE4ELNS1_11target_archE910ELNS1_3gpuE8ELNS1_3repE0EEENS1_30default_config_static_selectorELNS0_4arch9wavefront6targetE0EEEvS12_: ; @_ZN7rocprim17ROCPRIM_400000_NS6detail17trampoline_kernelINS0_13select_configILj256ELj13ELNS0_17block_load_methodE3ELS4_3ELS4_3ELNS0_20block_scan_algorithmE0ELj4294967295EEENS1_25partition_config_selectorILNS1_17partition_subalgoE4EjNS0_10empty_typeEbEEZZNS1_14partition_implILS8_4ELb0ES6_15HIP_vector_typeIjLj2EENS0_17counting_iteratorIjlEEPS9_SG_NS0_5tupleIJPjSI_NS0_16reverse_iteratorISI_EEEEENSH_IJSG_SG_SG_EEES9_SI_JZNS1_25segmented_radix_sort_implINS0_14default_configELb0EPKhPhPKlPlN2at6native12_GLOBAL__N_18offset_tEEE10hipError_tPvRmT1_PNSt15iterator_traitsIS12_E10value_typeET2_T3_PNS13_IS18_E10value_typeET4_jRbjT5_S1E_jjP12ihipStream_tbEUljE_ZNSN_ISO_Lb0ESQ_SR_ST_SU_SY_EESZ_S10_S11_S12_S16_S17_S18_S1B_S1C_jS1D_jS1E_S1E_jjS1G_bEUljE0_EEESZ_S10_S11_S18_S1C_S1E_T6_T7_T9_mT8_S1G_bDpT10_ENKUlT_T0_E_clISt17integral_constantIbLb1EES1U_EEDaS1P_S1Q_EUlS1P_E_NS1_11comp_targetILNS1_3genE4ELNS1_11target_archE910ELNS1_3gpuE8ELNS1_3repE0EEENS1_30default_config_static_selectorELNS0_4arch9wavefront6targetE0EEEvS12_
; %bb.0:
	.section	.rodata,"a",@progbits
	.p2align	6, 0x0
	.amdhsa_kernel _ZN7rocprim17ROCPRIM_400000_NS6detail17trampoline_kernelINS0_13select_configILj256ELj13ELNS0_17block_load_methodE3ELS4_3ELS4_3ELNS0_20block_scan_algorithmE0ELj4294967295EEENS1_25partition_config_selectorILNS1_17partition_subalgoE4EjNS0_10empty_typeEbEEZZNS1_14partition_implILS8_4ELb0ES6_15HIP_vector_typeIjLj2EENS0_17counting_iteratorIjlEEPS9_SG_NS0_5tupleIJPjSI_NS0_16reverse_iteratorISI_EEEEENSH_IJSG_SG_SG_EEES9_SI_JZNS1_25segmented_radix_sort_implINS0_14default_configELb0EPKhPhPKlPlN2at6native12_GLOBAL__N_18offset_tEEE10hipError_tPvRmT1_PNSt15iterator_traitsIS12_E10value_typeET2_T3_PNS13_IS18_E10value_typeET4_jRbjT5_S1E_jjP12ihipStream_tbEUljE_ZNSN_ISO_Lb0ESQ_SR_ST_SU_SY_EESZ_S10_S11_S12_S16_S17_S18_S1B_S1C_jS1D_jS1E_S1E_jjS1G_bEUljE0_EEESZ_S10_S11_S18_S1C_S1E_T6_T7_T9_mT8_S1G_bDpT10_ENKUlT_T0_E_clISt17integral_constantIbLb1EES1U_EEDaS1P_S1Q_EUlS1P_E_NS1_11comp_targetILNS1_3genE4ELNS1_11target_archE910ELNS1_3gpuE8ELNS1_3repE0EEENS1_30default_config_static_selectorELNS0_4arch9wavefront6targetE0EEEvS12_
		.amdhsa_group_segment_fixed_size 0
		.amdhsa_private_segment_fixed_size 0
		.amdhsa_kernarg_size 184
		.amdhsa_user_sgpr_count 2
		.amdhsa_user_sgpr_dispatch_ptr 0
		.amdhsa_user_sgpr_queue_ptr 0
		.amdhsa_user_sgpr_kernarg_segment_ptr 1
		.amdhsa_user_sgpr_dispatch_id 0
		.amdhsa_user_sgpr_private_segment_size 0
		.amdhsa_wavefront_size32 1
		.amdhsa_uses_dynamic_stack 0
		.amdhsa_enable_private_segment 0
		.amdhsa_system_sgpr_workgroup_id_x 1
		.amdhsa_system_sgpr_workgroup_id_y 0
		.amdhsa_system_sgpr_workgroup_id_z 0
		.amdhsa_system_sgpr_workgroup_info 0
		.amdhsa_system_vgpr_workitem_id 0
		.amdhsa_next_free_vgpr 1
		.amdhsa_next_free_sgpr 1
		.amdhsa_reserve_vcc 0
		.amdhsa_float_round_mode_32 0
		.amdhsa_float_round_mode_16_64 0
		.amdhsa_float_denorm_mode_32 3
		.amdhsa_float_denorm_mode_16_64 3
		.amdhsa_fp16_overflow 0
		.amdhsa_workgroup_processor_mode 1
		.amdhsa_memory_ordered 1
		.amdhsa_forward_progress 1
		.amdhsa_inst_pref_size 0
		.amdhsa_round_robin_scheduling 0
		.amdhsa_exception_fp_ieee_invalid_op 0
		.amdhsa_exception_fp_denorm_src 0
		.amdhsa_exception_fp_ieee_div_zero 0
		.amdhsa_exception_fp_ieee_overflow 0
		.amdhsa_exception_fp_ieee_underflow 0
		.amdhsa_exception_fp_ieee_inexact 0
		.amdhsa_exception_int_div_zero 0
	.end_amdhsa_kernel
	.section	.text._ZN7rocprim17ROCPRIM_400000_NS6detail17trampoline_kernelINS0_13select_configILj256ELj13ELNS0_17block_load_methodE3ELS4_3ELS4_3ELNS0_20block_scan_algorithmE0ELj4294967295EEENS1_25partition_config_selectorILNS1_17partition_subalgoE4EjNS0_10empty_typeEbEEZZNS1_14partition_implILS8_4ELb0ES6_15HIP_vector_typeIjLj2EENS0_17counting_iteratorIjlEEPS9_SG_NS0_5tupleIJPjSI_NS0_16reverse_iteratorISI_EEEEENSH_IJSG_SG_SG_EEES9_SI_JZNS1_25segmented_radix_sort_implINS0_14default_configELb0EPKhPhPKlPlN2at6native12_GLOBAL__N_18offset_tEEE10hipError_tPvRmT1_PNSt15iterator_traitsIS12_E10value_typeET2_T3_PNS13_IS18_E10value_typeET4_jRbjT5_S1E_jjP12ihipStream_tbEUljE_ZNSN_ISO_Lb0ESQ_SR_ST_SU_SY_EESZ_S10_S11_S12_S16_S17_S18_S1B_S1C_jS1D_jS1E_S1E_jjS1G_bEUljE0_EEESZ_S10_S11_S18_S1C_S1E_T6_T7_T9_mT8_S1G_bDpT10_ENKUlT_T0_E_clISt17integral_constantIbLb1EES1U_EEDaS1P_S1Q_EUlS1P_E_NS1_11comp_targetILNS1_3genE4ELNS1_11target_archE910ELNS1_3gpuE8ELNS1_3repE0EEENS1_30default_config_static_selectorELNS0_4arch9wavefront6targetE0EEEvS12_,"axG",@progbits,_ZN7rocprim17ROCPRIM_400000_NS6detail17trampoline_kernelINS0_13select_configILj256ELj13ELNS0_17block_load_methodE3ELS4_3ELS4_3ELNS0_20block_scan_algorithmE0ELj4294967295EEENS1_25partition_config_selectorILNS1_17partition_subalgoE4EjNS0_10empty_typeEbEEZZNS1_14partition_implILS8_4ELb0ES6_15HIP_vector_typeIjLj2EENS0_17counting_iteratorIjlEEPS9_SG_NS0_5tupleIJPjSI_NS0_16reverse_iteratorISI_EEEEENSH_IJSG_SG_SG_EEES9_SI_JZNS1_25segmented_radix_sort_implINS0_14default_configELb0EPKhPhPKlPlN2at6native12_GLOBAL__N_18offset_tEEE10hipError_tPvRmT1_PNSt15iterator_traitsIS12_E10value_typeET2_T3_PNS13_IS18_E10value_typeET4_jRbjT5_S1E_jjP12ihipStream_tbEUljE_ZNSN_ISO_Lb0ESQ_SR_ST_SU_SY_EESZ_S10_S11_S12_S16_S17_S18_S1B_S1C_jS1D_jS1E_S1E_jjS1G_bEUljE0_EEESZ_S10_S11_S18_S1C_S1E_T6_T7_T9_mT8_S1G_bDpT10_ENKUlT_T0_E_clISt17integral_constantIbLb1EES1U_EEDaS1P_S1Q_EUlS1P_E_NS1_11comp_targetILNS1_3genE4ELNS1_11target_archE910ELNS1_3gpuE8ELNS1_3repE0EEENS1_30default_config_static_selectorELNS0_4arch9wavefront6targetE0EEEvS12_,comdat
.Lfunc_end132:
	.size	_ZN7rocprim17ROCPRIM_400000_NS6detail17trampoline_kernelINS0_13select_configILj256ELj13ELNS0_17block_load_methodE3ELS4_3ELS4_3ELNS0_20block_scan_algorithmE0ELj4294967295EEENS1_25partition_config_selectorILNS1_17partition_subalgoE4EjNS0_10empty_typeEbEEZZNS1_14partition_implILS8_4ELb0ES6_15HIP_vector_typeIjLj2EENS0_17counting_iteratorIjlEEPS9_SG_NS0_5tupleIJPjSI_NS0_16reverse_iteratorISI_EEEEENSH_IJSG_SG_SG_EEES9_SI_JZNS1_25segmented_radix_sort_implINS0_14default_configELb0EPKhPhPKlPlN2at6native12_GLOBAL__N_18offset_tEEE10hipError_tPvRmT1_PNSt15iterator_traitsIS12_E10value_typeET2_T3_PNS13_IS18_E10value_typeET4_jRbjT5_S1E_jjP12ihipStream_tbEUljE_ZNSN_ISO_Lb0ESQ_SR_ST_SU_SY_EESZ_S10_S11_S12_S16_S17_S18_S1B_S1C_jS1D_jS1E_S1E_jjS1G_bEUljE0_EEESZ_S10_S11_S18_S1C_S1E_T6_T7_T9_mT8_S1G_bDpT10_ENKUlT_T0_E_clISt17integral_constantIbLb1EES1U_EEDaS1P_S1Q_EUlS1P_E_NS1_11comp_targetILNS1_3genE4ELNS1_11target_archE910ELNS1_3gpuE8ELNS1_3repE0EEENS1_30default_config_static_selectorELNS0_4arch9wavefront6targetE0EEEvS12_, .Lfunc_end132-_ZN7rocprim17ROCPRIM_400000_NS6detail17trampoline_kernelINS0_13select_configILj256ELj13ELNS0_17block_load_methodE3ELS4_3ELS4_3ELNS0_20block_scan_algorithmE0ELj4294967295EEENS1_25partition_config_selectorILNS1_17partition_subalgoE4EjNS0_10empty_typeEbEEZZNS1_14partition_implILS8_4ELb0ES6_15HIP_vector_typeIjLj2EENS0_17counting_iteratorIjlEEPS9_SG_NS0_5tupleIJPjSI_NS0_16reverse_iteratorISI_EEEEENSH_IJSG_SG_SG_EEES9_SI_JZNS1_25segmented_radix_sort_implINS0_14default_configELb0EPKhPhPKlPlN2at6native12_GLOBAL__N_18offset_tEEE10hipError_tPvRmT1_PNSt15iterator_traitsIS12_E10value_typeET2_T3_PNS13_IS18_E10value_typeET4_jRbjT5_S1E_jjP12ihipStream_tbEUljE_ZNSN_ISO_Lb0ESQ_SR_ST_SU_SY_EESZ_S10_S11_S12_S16_S17_S18_S1B_S1C_jS1D_jS1E_S1E_jjS1G_bEUljE0_EEESZ_S10_S11_S18_S1C_S1E_T6_T7_T9_mT8_S1G_bDpT10_ENKUlT_T0_E_clISt17integral_constantIbLb1EES1U_EEDaS1P_S1Q_EUlS1P_E_NS1_11comp_targetILNS1_3genE4ELNS1_11target_archE910ELNS1_3gpuE8ELNS1_3repE0EEENS1_30default_config_static_selectorELNS0_4arch9wavefront6targetE0EEEvS12_
                                        ; -- End function
	.set _ZN7rocprim17ROCPRIM_400000_NS6detail17trampoline_kernelINS0_13select_configILj256ELj13ELNS0_17block_load_methodE3ELS4_3ELS4_3ELNS0_20block_scan_algorithmE0ELj4294967295EEENS1_25partition_config_selectorILNS1_17partition_subalgoE4EjNS0_10empty_typeEbEEZZNS1_14partition_implILS8_4ELb0ES6_15HIP_vector_typeIjLj2EENS0_17counting_iteratorIjlEEPS9_SG_NS0_5tupleIJPjSI_NS0_16reverse_iteratorISI_EEEEENSH_IJSG_SG_SG_EEES9_SI_JZNS1_25segmented_radix_sort_implINS0_14default_configELb0EPKhPhPKlPlN2at6native12_GLOBAL__N_18offset_tEEE10hipError_tPvRmT1_PNSt15iterator_traitsIS12_E10value_typeET2_T3_PNS13_IS18_E10value_typeET4_jRbjT5_S1E_jjP12ihipStream_tbEUljE_ZNSN_ISO_Lb0ESQ_SR_ST_SU_SY_EESZ_S10_S11_S12_S16_S17_S18_S1B_S1C_jS1D_jS1E_S1E_jjS1G_bEUljE0_EEESZ_S10_S11_S18_S1C_S1E_T6_T7_T9_mT8_S1G_bDpT10_ENKUlT_T0_E_clISt17integral_constantIbLb1EES1U_EEDaS1P_S1Q_EUlS1P_E_NS1_11comp_targetILNS1_3genE4ELNS1_11target_archE910ELNS1_3gpuE8ELNS1_3repE0EEENS1_30default_config_static_selectorELNS0_4arch9wavefront6targetE0EEEvS12_.num_vgpr, 0
	.set _ZN7rocprim17ROCPRIM_400000_NS6detail17trampoline_kernelINS0_13select_configILj256ELj13ELNS0_17block_load_methodE3ELS4_3ELS4_3ELNS0_20block_scan_algorithmE0ELj4294967295EEENS1_25partition_config_selectorILNS1_17partition_subalgoE4EjNS0_10empty_typeEbEEZZNS1_14partition_implILS8_4ELb0ES6_15HIP_vector_typeIjLj2EENS0_17counting_iteratorIjlEEPS9_SG_NS0_5tupleIJPjSI_NS0_16reverse_iteratorISI_EEEEENSH_IJSG_SG_SG_EEES9_SI_JZNS1_25segmented_radix_sort_implINS0_14default_configELb0EPKhPhPKlPlN2at6native12_GLOBAL__N_18offset_tEEE10hipError_tPvRmT1_PNSt15iterator_traitsIS12_E10value_typeET2_T3_PNS13_IS18_E10value_typeET4_jRbjT5_S1E_jjP12ihipStream_tbEUljE_ZNSN_ISO_Lb0ESQ_SR_ST_SU_SY_EESZ_S10_S11_S12_S16_S17_S18_S1B_S1C_jS1D_jS1E_S1E_jjS1G_bEUljE0_EEESZ_S10_S11_S18_S1C_S1E_T6_T7_T9_mT8_S1G_bDpT10_ENKUlT_T0_E_clISt17integral_constantIbLb1EES1U_EEDaS1P_S1Q_EUlS1P_E_NS1_11comp_targetILNS1_3genE4ELNS1_11target_archE910ELNS1_3gpuE8ELNS1_3repE0EEENS1_30default_config_static_selectorELNS0_4arch9wavefront6targetE0EEEvS12_.num_agpr, 0
	.set _ZN7rocprim17ROCPRIM_400000_NS6detail17trampoline_kernelINS0_13select_configILj256ELj13ELNS0_17block_load_methodE3ELS4_3ELS4_3ELNS0_20block_scan_algorithmE0ELj4294967295EEENS1_25partition_config_selectorILNS1_17partition_subalgoE4EjNS0_10empty_typeEbEEZZNS1_14partition_implILS8_4ELb0ES6_15HIP_vector_typeIjLj2EENS0_17counting_iteratorIjlEEPS9_SG_NS0_5tupleIJPjSI_NS0_16reverse_iteratorISI_EEEEENSH_IJSG_SG_SG_EEES9_SI_JZNS1_25segmented_radix_sort_implINS0_14default_configELb0EPKhPhPKlPlN2at6native12_GLOBAL__N_18offset_tEEE10hipError_tPvRmT1_PNSt15iterator_traitsIS12_E10value_typeET2_T3_PNS13_IS18_E10value_typeET4_jRbjT5_S1E_jjP12ihipStream_tbEUljE_ZNSN_ISO_Lb0ESQ_SR_ST_SU_SY_EESZ_S10_S11_S12_S16_S17_S18_S1B_S1C_jS1D_jS1E_S1E_jjS1G_bEUljE0_EEESZ_S10_S11_S18_S1C_S1E_T6_T7_T9_mT8_S1G_bDpT10_ENKUlT_T0_E_clISt17integral_constantIbLb1EES1U_EEDaS1P_S1Q_EUlS1P_E_NS1_11comp_targetILNS1_3genE4ELNS1_11target_archE910ELNS1_3gpuE8ELNS1_3repE0EEENS1_30default_config_static_selectorELNS0_4arch9wavefront6targetE0EEEvS12_.numbered_sgpr, 0
	.set _ZN7rocprim17ROCPRIM_400000_NS6detail17trampoline_kernelINS0_13select_configILj256ELj13ELNS0_17block_load_methodE3ELS4_3ELS4_3ELNS0_20block_scan_algorithmE0ELj4294967295EEENS1_25partition_config_selectorILNS1_17partition_subalgoE4EjNS0_10empty_typeEbEEZZNS1_14partition_implILS8_4ELb0ES6_15HIP_vector_typeIjLj2EENS0_17counting_iteratorIjlEEPS9_SG_NS0_5tupleIJPjSI_NS0_16reverse_iteratorISI_EEEEENSH_IJSG_SG_SG_EEES9_SI_JZNS1_25segmented_radix_sort_implINS0_14default_configELb0EPKhPhPKlPlN2at6native12_GLOBAL__N_18offset_tEEE10hipError_tPvRmT1_PNSt15iterator_traitsIS12_E10value_typeET2_T3_PNS13_IS18_E10value_typeET4_jRbjT5_S1E_jjP12ihipStream_tbEUljE_ZNSN_ISO_Lb0ESQ_SR_ST_SU_SY_EESZ_S10_S11_S12_S16_S17_S18_S1B_S1C_jS1D_jS1E_S1E_jjS1G_bEUljE0_EEESZ_S10_S11_S18_S1C_S1E_T6_T7_T9_mT8_S1G_bDpT10_ENKUlT_T0_E_clISt17integral_constantIbLb1EES1U_EEDaS1P_S1Q_EUlS1P_E_NS1_11comp_targetILNS1_3genE4ELNS1_11target_archE910ELNS1_3gpuE8ELNS1_3repE0EEENS1_30default_config_static_selectorELNS0_4arch9wavefront6targetE0EEEvS12_.num_named_barrier, 0
	.set _ZN7rocprim17ROCPRIM_400000_NS6detail17trampoline_kernelINS0_13select_configILj256ELj13ELNS0_17block_load_methodE3ELS4_3ELS4_3ELNS0_20block_scan_algorithmE0ELj4294967295EEENS1_25partition_config_selectorILNS1_17partition_subalgoE4EjNS0_10empty_typeEbEEZZNS1_14partition_implILS8_4ELb0ES6_15HIP_vector_typeIjLj2EENS0_17counting_iteratorIjlEEPS9_SG_NS0_5tupleIJPjSI_NS0_16reverse_iteratorISI_EEEEENSH_IJSG_SG_SG_EEES9_SI_JZNS1_25segmented_radix_sort_implINS0_14default_configELb0EPKhPhPKlPlN2at6native12_GLOBAL__N_18offset_tEEE10hipError_tPvRmT1_PNSt15iterator_traitsIS12_E10value_typeET2_T3_PNS13_IS18_E10value_typeET4_jRbjT5_S1E_jjP12ihipStream_tbEUljE_ZNSN_ISO_Lb0ESQ_SR_ST_SU_SY_EESZ_S10_S11_S12_S16_S17_S18_S1B_S1C_jS1D_jS1E_S1E_jjS1G_bEUljE0_EEESZ_S10_S11_S18_S1C_S1E_T6_T7_T9_mT8_S1G_bDpT10_ENKUlT_T0_E_clISt17integral_constantIbLb1EES1U_EEDaS1P_S1Q_EUlS1P_E_NS1_11comp_targetILNS1_3genE4ELNS1_11target_archE910ELNS1_3gpuE8ELNS1_3repE0EEENS1_30default_config_static_selectorELNS0_4arch9wavefront6targetE0EEEvS12_.private_seg_size, 0
	.set _ZN7rocprim17ROCPRIM_400000_NS6detail17trampoline_kernelINS0_13select_configILj256ELj13ELNS0_17block_load_methodE3ELS4_3ELS4_3ELNS0_20block_scan_algorithmE0ELj4294967295EEENS1_25partition_config_selectorILNS1_17partition_subalgoE4EjNS0_10empty_typeEbEEZZNS1_14partition_implILS8_4ELb0ES6_15HIP_vector_typeIjLj2EENS0_17counting_iteratorIjlEEPS9_SG_NS0_5tupleIJPjSI_NS0_16reverse_iteratorISI_EEEEENSH_IJSG_SG_SG_EEES9_SI_JZNS1_25segmented_radix_sort_implINS0_14default_configELb0EPKhPhPKlPlN2at6native12_GLOBAL__N_18offset_tEEE10hipError_tPvRmT1_PNSt15iterator_traitsIS12_E10value_typeET2_T3_PNS13_IS18_E10value_typeET4_jRbjT5_S1E_jjP12ihipStream_tbEUljE_ZNSN_ISO_Lb0ESQ_SR_ST_SU_SY_EESZ_S10_S11_S12_S16_S17_S18_S1B_S1C_jS1D_jS1E_S1E_jjS1G_bEUljE0_EEESZ_S10_S11_S18_S1C_S1E_T6_T7_T9_mT8_S1G_bDpT10_ENKUlT_T0_E_clISt17integral_constantIbLb1EES1U_EEDaS1P_S1Q_EUlS1P_E_NS1_11comp_targetILNS1_3genE4ELNS1_11target_archE910ELNS1_3gpuE8ELNS1_3repE0EEENS1_30default_config_static_selectorELNS0_4arch9wavefront6targetE0EEEvS12_.uses_vcc, 0
	.set _ZN7rocprim17ROCPRIM_400000_NS6detail17trampoline_kernelINS0_13select_configILj256ELj13ELNS0_17block_load_methodE3ELS4_3ELS4_3ELNS0_20block_scan_algorithmE0ELj4294967295EEENS1_25partition_config_selectorILNS1_17partition_subalgoE4EjNS0_10empty_typeEbEEZZNS1_14partition_implILS8_4ELb0ES6_15HIP_vector_typeIjLj2EENS0_17counting_iteratorIjlEEPS9_SG_NS0_5tupleIJPjSI_NS0_16reverse_iteratorISI_EEEEENSH_IJSG_SG_SG_EEES9_SI_JZNS1_25segmented_radix_sort_implINS0_14default_configELb0EPKhPhPKlPlN2at6native12_GLOBAL__N_18offset_tEEE10hipError_tPvRmT1_PNSt15iterator_traitsIS12_E10value_typeET2_T3_PNS13_IS18_E10value_typeET4_jRbjT5_S1E_jjP12ihipStream_tbEUljE_ZNSN_ISO_Lb0ESQ_SR_ST_SU_SY_EESZ_S10_S11_S12_S16_S17_S18_S1B_S1C_jS1D_jS1E_S1E_jjS1G_bEUljE0_EEESZ_S10_S11_S18_S1C_S1E_T6_T7_T9_mT8_S1G_bDpT10_ENKUlT_T0_E_clISt17integral_constantIbLb1EES1U_EEDaS1P_S1Q_EUlS1P_E_NS1_11comp_targetILNS1_3genE4ELNS1_11target_archE910ELNS1_3gpuE8ELNS1_3repE0EEENS1_30default_config_static_selectorELNS0_4arch9wavefront6targetE0EEEvS12_.uses_flat_scratch, 0
	.set _ZN7rocprim17ROCPRIM_400000_NS6detail17trampoline_kernelINS0_13select_configILj256ELj13ELNS0_17block_load_methodE3ELS4_3ELS4_3ELNS0_20block_scan_algorithmE0ELj4294967295EEENS1_25partition_config_selectorILNS1_17partition_subalgoE4EjNS0_10empty_typeEbEEZZNS1_14partition_implILS8_4ELb0ES6_15HIP_vector_typeIjLj2EENS0_17counting_iteratorIjlEEPS9_SG_NS0_5tupleIJPjSI_NS0_16reverse_iteratorISI_EEEEENSH_IJSG_SG_SG_EEES9_SI_JZNS1_25segmented_radix_sort_implINS0_14default_configELb0EPKhPhPKlPlN2at6native12_GLOBAL__N_18offset_tEEE10hipError_tPvRmT1_PNSt15iterator_traitsIS12_E10value_typeET2_T3_PNS13_IS18_E10value_typeET4_jRbjT5_S1E_jjP12ihipStream_tbEUljE_ZNSN_ISO_Lb0ESQ_SR_ST_SU_SY_EESZ_S10_S11_S12_S16_S17_S18_S1B_S1C_jS1D_jS1E_S1E_jjS1G_bEUljE0_EEESZ_S10_S11_S18_S1C_S1E_T6_T7_T9_mT8_S1G_bDpT10_ENKUlT_T0_E_clISt17integral_constantIbLb1EES1U_EEDaS1P_S1Q_EUlS1P_E_NS1_11comp_targetILNS1_3genE4ELNS1_11target_archE910ELNS1_3gpuE8ELNS1_3repE0EEENS1_30default_config_static_selectorELNS0_4arch9wavefront6targetE0EEEvS12_.has_dyn_sized_stack, 0
	.set _ZN7rocprim17ROCPRIM_400000_NS6detail17trampoline_kernelINS0_13select_configILj256ELj13ELNS0_17block_load_methodE3ELS4_3ELS4_3ELNS0_20block_scan_algorithmE0ELj4294967295EEENS1_25partition_config_selectorILNS1_17partition_subalgoE4EjNS0_10empty_typeEbEEZZNS1_14partition_implILS8_4ELb0ES6_15HIP_vector_typeIjLj2EENS0_17counting_iteratorIjlEEPS9_SG_NS0_5tupleIJPjSI_NS0_16reverse_iteratorISI_EEEEENSH_IJSG_SG_SG_EEES9_SI_JZNS1_25segmented_radix_sort_implINS0_14default_configELb0EPKhPhPKlPlN2at6native12_GLOBAL__N_18offset_tEEE10hipError_tPvRmT1_PNSt15iterator_traitsIS12_E10value_typeET2_T3_PNS13_IS18_E10value_typeET4_jRbjT5_S1E_jjP12ihipStream_tbEUljE_ZNSN_ISO_Lb0ESQ_SR_ST_SU_SY_EESZ_S10_S11_S12_S16_S17_S18_S1B_S1C_jS1D_jS1E_S1E_jjS1G_bEUljE0_EEESZ_S10_S11_S18_S1C_S1E_T6_T7_T9_mT8_S1G_bDpT10_ENKUlT_T0_E_clISt17integral_constantIbLb1EES1U_EEDaS1P_S1Q_EUlS1P_E_NS1_11comp_targetILNS1_3genE4ELNS1_11target_archE910ELNS1_3gpuE8ELNS1_3repE0EEENS1_30default_config_static_selectorELNS0_4arch9wavefront6targetE0EEEvS12_.has_recursion, 0
	.set _ZN7rocprim17ROCPRIM_400000_NS6detail17trampoline_kernelINS0_13select_configILj256ELj13ELNS0_17block_load_methodE3ELS4_3ELS4_3ELNS0_20block_scan_algorithmE0ELj4294967295EEENS1_25partition_config_selectorILNS1_17partition_subalgoE4EjNS0_10empty_typeEbEEZZNS1_14partition_implILS8_4ELb0ES6_15HIP_vector_typeIjLj2EENS0_17counting_iteratorIjlEEPS9_SG_NS0_5tupleIJPjSI_NS0_16reverse_iteratorISI_EEEEENSH_IJSG_SG_SG_EEES9_SI_JZNS1_25segmented_radix_sort_implINS0_14default_configELb0EPKhPhPKlPlN2at6native12_GLOBAL__N_18offset_tEEE10hipError_tPvRmT1_PNSt15iterator_traitsIS12_E10value_typeET2_T3_PNS13_IS18_E10value_typeET4_jRbjT5_S1E_jjP12ihipStream_tbEUljE_ZNSN_ISO_Lb0ESQ_SR_ST_SU_SY_EESZ_S10_S11_S12_S16_S17_S18_S1B_S1C_jS1D_jS1E_S1E_jjS1G_bEUljE0_EEESZ_S10_S11_S18_S1C_S1E_T6_T7_T9_mT8_S1G_bDpT10_ENKUlT_T0_E_clISt17integral_constantIbLb1EES1U_EEDaS1P_S1Q_EUlS1P_E_NS1_11comp_targetILNS1_3genE4ELNS1_11target_archE910ELNS1_3gpuE8ELNS1_3repE0EEENS1_30default_config_static_selectorELNS0_4arch9wavefront6targetE0EEEvS12_.has_indirect_call, 0
	.section	.AMDGPU.csdata,"",@progbits
; Kernel info:
; codeLenInByte = 0
; TotalNumSgprs: 0
; NumVgprs: 0
; ScratchSize: 0
; MemoryBound: 0
; FloatMode: 240
; IeeeMode: 1
; LDSByteSize: 0 bytes/workgroup (compile time only)
; SGPRBlocks: 0
; VGPRBlocks: 0
; NumSGPRsForWavesPerEU: 1
; NumVGPRsForWavesPerEU: 1
; Occupancy: 16
; WaveLimiterHint : 0
; COMPUTE_PGM_RSRC2:SCRATCH_EN: 0
; COMPUTE_PGM_RSRC2:USER_SGPR: 2
; COMPUTE_PGM_RSRC2:TRAP_HANDLER: 0
; COMPUTE_PGM_RSRC2:TGID_X_EN: 1
; COMPUTE_PGM_RSRC2:TGID_Y_EN: 0
; COMPUTE_PGM_RSRC2:TGID_Z_EN: 0
; COMPUTE_PGM_RSRC2:TIDIG_COMP_CNT: 0
	.section	.text._ZN7rocprim17ROCPRIM_400000_NS6detail17trampoline_kernelINS0_13select_configILj256ELj13ELNS0_17block_load_methodE3ELS4_3ELS4_3ELNS0_20block_scan_algorithmE0ELj4294967295EEENS1_25partition_config_selectorILNS1_17partition_subalgoE4EjNS0_10empty_typeEbEEZZNS1_14partition_implILS8_4ELb0ES6_15HIP_vector_typeIjLj2EENS0_17counting_iteratorIjlEEPS9_SG_NS0_5tupleIJPjSI_NS0_16reverse_iteratorISI_EEEEENSH_IJSG_SG_SG_EEES9_SI_JZNS1_25segmented_radix_sort_implINS0_14default_configELb0EPKhPhPKlPlN2at6native12_GLOBAL__N_18offset_tEEE10hipError_tPvRmT1_PNSt15iterator_traitsIS12_E10value_typeET2_T3_PNS13_IS18_E10value_typeET4_jRbjT5_S1E_jjP12ihipStream_tbEUljE_ZNSN_ISO_Lb0ESQ_SR_ST_SU_SY_EESZ_S10_S11_S12_S16_S17_S18_S1B_S1C_jS1D_jS1E_S1E_jjS1G_bEUljE0_EEESZ_S10_S11_S18_S1C_S1E_T6_T7_T9_mT8_S1G_bDpT10_ENKUlT_T0_E_clISt17integral_constantIbLb1EES1U_EEDaS1P_S1Q_EUlS1P_E_NS1_11comp_targetILNS1_3genE3ELNS1_11target_archE908ELNS1_3gpuE7ELNS1_3repE0EEENS1_30default_config_static_selectorELNS0_4arch9wavefront6targetE0EEEvS12_,"axG",@progbits,_ZN7rocprim17ROCPRIM_400000_NS6detail17trampoline_kernelINS0_13select_configILj256ELj13ELNS0_17block_load_methodE3ELS4_3ELS4_3ELNS0_20block_scan_algorithmE0ELj4294967295EEENS1_25partition_config_selectorILNS1_17partition_subalgoE4EjNS0_10empty_typeEbEEZZNS1_14partition_implILS8_4ELb0ES6_15HIP_vector_typeIjLj2EENS0_17counting_iteratorIjlEEPS9_SG_NS0_5tupleIJPjSI_NS0_16reverse_iteratorISI_EEEEENSH_IJSG_SG_SG_EEES9_SI_JZNS1_25segmented_radix_sort_implINS0_14default_configELb0EPKhPhPKlPlN2at6native12_GLOBAL__N_18offset_tEEE10hipError_tPvRmT1_PNSt15iterator_traitsIS12_E10value_typeET2_T3_PNS13_IS18_E10value_typeET4_jRbjT5_S1E_jjP12ihipStream_tbEUljE_ZNSN_ISO_Lb0ESQ_SR_ST_SU_SY_EESZ_S10_S11_S12_S16_S17_S18_S1B_S1C_jS1D_jS1E_S1E_jjS1G_bEUljE0_EEESZ_S10_S11_S18_S1C_S1E_T6_T7_T9_mT8_S1G_bDpT10_ENKUlT_T0_E_clISt17integral_constantIbLb1EES1U_EEDaS1P_S1Q_EUlS1P_E_NS1_11comp_targetILNS1_3genE3ELNS1_11target_archE908ELNS1_3gpuE7ELNS1_3repE0EEENS1_30default_config_static_selectorELNS0_4arch9wavefront6targetE0EEEvS12_,comdat
	.globl	_ZN7rocprim17ROCPRIM_400000_NS6detail17trampoline_kernelINS0_13select_configILj256ELj13ELNS0_17block_load_methodE3ELS4_3ELS4_3ELNS0_20block_scan_algorithmE0ELj4294967295EEENS1_25partition_config_selectorILNS1_17partition_subalgoE4EjNS0_10empty_typeEbEEZZNS1_14partition_implILS8_4ELb0ES6_15HIP_vector_typeIjLj2EENS0_17counting_iteratorIjlEEPS9_SG_NS0_5tupleIJPjSI_NS0_16reverse_iteratorISI_EEEEENSH_IJSG_SG_SG_EEES9_SI_JZNS1_25segmented_radix_sort_implINS0_14default_configELb0EPKhPhPKlPlN2at6native12_GLOBAL__N_18offset_tEEE10hipError_tPvRmT1_PNSt15iterator_traitsIS12_E10value_typeET2_T3_PNS13_IS18_E10value_typeET4_jRbjT5_S1E_jjP12ihipStream_tbEUljE_ZNSN_ISO_Lb0ESQ_SR_ST_SU_SY_EESZ_S10_S11_S12_S16_S17_S18_S1B_S1C_jS1D_jS1E_S1E_jjS1G_bEUljE0_EEESZ_S10_S11_S18_S1C_S1E_T6_T7_T9_mT8_S1G_bDpT10_ENKUlT_T0_E_clISt17integral_constantIbLb1EES1U_EEDaS1P_S1Q_EUlS1P_E_NS1_11comp_targetILNS1_3genE3ELNS1_11target_archE908ELNS1_3gpuE7ELNS1_3repE0EEENS1_30default_config_static_selectorELNS0_4arch9wavefront6targetE0EEEvS12_ ; -- Begin function _ZN7rocprim17ROCPRIM_400000_NS6detail17trampoline_kernelINS0_13select_configILj256ELj13ELNS0_17block_load_methodE3ELS4_3ELS4_3ELNS0_20block_scan_algorithmE0ELj4294967295EEENS1_25partition_config_selectorILNS1_17partition_subalgoE4EjNS0_10empty_typeEbEEZZNS1_14partition_implILS8_4ELb0ES6_15HIP_vector_typeIjLj2EENS0_17counting_iteratorIjlEEPS9_SG_NS0_5tupleIJPjSI_NS0_16reverse_iteratorISI_EEEEENSH_IJSG_SG_SG_EEES9_SI_JZNS1_25segmented_radix_sort_implINS0_14default_configELb0EPKhPhPKlPlN2at6native12_GLOBAL__N_18offset_tEEE10hipError_tPvRmT1_PNSt15iterator_traitsIS12_E10value_typeET2_T3_PNS13_IS18_E10value_typeET4_jRbjT5_S1E_jjP12ihipStream_tbEUljE_ZNSN_ISO_Lb0ESQ_SR_ST_SU_SY_EESZ_S10_S11_S12_S16_S17_S18_S1B_S1C_jS1D_jS1E_S1E_jjS1G_bEUljE0_EEESZ_S10_S11_S18_S1C_S1E_T6_T7_T9_mT8_S1G_bDpT10_ENKUlT_T0_E_clISt17integral_constantIbLb1EES1U_EEDaS1P_S1Q_EUlS1P_E_NS1_11comp_targetILNS1_3genE3ELNS1_11target_archE908ELNS1_3gpuE7ELNS1_3repE0EEENS1_30default_config_static_selectorELNS0_4arch9wavefront6targetE0EEEvS12_
	.p2align	8
	.type	_ZN7rocprim17ROCPRIM_400000_NS6detail17trampoline_kernelINS0_13select_configILj256ELj13ELNS0_17block_load_methodE3ELS4_3ELS4_3ELNS0_20block_scan_algorithmE0ELj4294967295EEENS1_25partition_config_selectorILNS1_17partition_subalgoE4EjNS0_10empty_typeEbEEZZNS1_14partition_implILS8_4ELb0ES6_15HIP_vector_typeIjLj2EENS0_17counting_iteratorIjlEEPS9_SG_NS0_5tupleIJPjSI_NS0_16reverse_iteratorISI_EEEEENSH_IJSG_SG_SG_EEES9_SI_JZNS1_25segmented_radix_sort_implINS0_14default_configELb0EPKhPhPKlPlN2at6native12_GLOBAL__N_18offset_tEEE10hipError_tPvRmT1_PNSt15iterator_traitsIS12_E10value_typeET2_T3_PNS13_IS18_E10value_typeET4_jRbjT5_S1E_jjP12ihipStream_tbEUljE_ZNSN_ISO_Lb0ESQ_SR_ST_SU_SY_EESZ_S10_S11_S12_S16_S17_S18_S1B_S1C_jS1D_jS1E_S1E_jjS1G_bEUljE0_EEESZ_S10_S11_S18_S1C_S1E_T6_T7_T9_mT8_S1G_bDpT10_ENKUlT_T0_E_clISt17integral_constantIbLb1EES1U_EEDaS1P_S1Q_EUlS1P_E_NS1_11comp_targetILNS1_3genE3ELNS1_11target_archE908ELNS1_3gpuE7ELNS1_3repE0EEENS1_30default_config_static_selectorELNS0_4arch9wavefront6targetE0EEEvS12_,@function
_ZN7rocprim17ROCPRIM_400000_NS6detail17trampoline_kernelINS0_13select_configILj256ELj13ELNS0_17block_load_methodE3ELS4_3ELS4_3ELNS0_20block_scan_algorithmE0ELj4294967295EEENS1_25partition_config_selectorILNS1_17partition_subalgoE4EjNS0_10empty_typeEbEEZZNS1_14partition_implILS8_4ELb0ES6_15HIP_vector_typeIjLj2EENS0_17counting_iteratorIjlEEPS9_SG_NS0_5tupleIJPjSI_NS0_16reverse_iteratorISI_EEEEENSH_IJSG_SG_SG_EEES9_SI_JZNS1_25segmented_radix_sort_implINS0_14default_configELb0EPKhPhPKlPlN2at6native12_GLOBAL__N_18offset_tEEE10hipError_tPvRmT1_PNSt15iterator_traitsIS12_E10value_typeET2_T3_PNS13_IS18_E10value_typeET4_jRbjT5_S1E_jjP12ihipStream_tbEUljE_ZNSN_ISO_Lb0ESQ_SR_ST_SU_SY_EESZ_S10_S11_S12_S16_S17_S18_S1B_S1C_jS1D_jS1E_S1E_jjS1G_bEUljE0_EEESZ_S10_S11_S18_S1C_S1E_T6_T7_T9_mT8_S1G_bDpT10_ENKUlT_T0_E_clISt17integral_constantIbLb1EES1U_EEDaS1P_S1Q_EUlS1P_E_NS1_11comp_targetILNS1_3genE3ELNS1_11target_archE908ELNS1_3gpuE7ELNS1_3repE0EEENS1_30default_config_static_selectorELNS0_4arch9wavefront6targetE0EEEvS12_: ; @_ZN7rocprim17ROCPRIM_400000_NS6detail17trampoline_kernelINS0_13select_configILj256ELj13ELNS0_17block_load_methodE3ELS4_3ELS4_3ELNS0_20block_scan_algorithmE0ELj4294967295EEENS1_25partition_config_selectorILNS1_17partition_subalgoE4EjNS0_10empty_typeEbEEZZNS1_14partition_implILS8_4ELb0ES6_15HIP_vector_typeIjLj2EENS0_17counting_iteratorIjlEEPS9_SG_NS0_5tupleIJPjSI_NS0_16reverse_iteratorISI_EEEEENSH_IJSG_SG_SG_EEES9_SI_JZNS1_25segmented_radix_sort_implINS0_14default_configELb0EPKhPhPKlPlN2at6native12_GLOBAL__N_18offset_tEEE10hipError_tPvRmT1_PNSt15iterator_traitsIS12_E10value_typeET2_T3_PNS13_IS18_E10value_typeET4_jRbjT5_S1E_jjP12ihipStream_tbEUljE_ZNSN_ISO_Lb0ESQ_SR_ST_SU_SY_EESZ_S10_S11_S12_S16_S17_S18_S1B_S1C_jS1D_jS1E_S1E_jjS1G_bEUljE0_EEESZ_S10_S11_S18_S1C_S1E_T6_T7_T9_mT8_S1G_bDpT10_ENKUlT_T0_E_clISt17integral_constantIbLb1EES1U_EEDaS1P_S1Q_EUlS1P_E_NS1_11comp_targetILNS1_3genE3ELNS1_11target_archE908ELNS1_3gpuE7ELNS1_3repE0EEENS1_30default_config_static_selectorELNS0_4arch9wavefront6targetE0EEEvS12_
; %bb.0:
	.section	.rodata,"a",@progbits
	.p2align	6, 0x0
	.amdhsa_kernel _ZN7rocprim17ROCPRIM_400000_NS6detail17trampoline_kernelINS0_13select_configILj256ELj13ELNS0_17block_load_methodE3ELS4_3ELS4_3ELNS0_20block_scan_algorithmE0ELj4294967295EEENS1_25partition_config_selectorILNS1_17partition_subalgoE4EjNS0_10empty_typeEbEEZZNS1_14partition_implILS8_4ELb0ES6_15HIP_vector_typeIjLj2EENS0_17counting_iteratorIjlEEPS9_SG_NS0_5tupleIJPjSI_NS0_16reverse_iteratorISI_EEEEENSH_IJSG_SG_SG_EEES9_SI_JZNS1_25segmented_radix_sort_implINS0_14default_configELb0EPKhPhPKlPlN2at6native12_GLOBAL__N_18offset_tEEE10hipError_tPvRmT1_PNSt15iterator_traitsIS12_E10value_typeET2_T3_PNS13_IS18_E10value_typeET4_jRbjT5_S1E_jjP12ihipStream_tbEUljE_ZNSN_ISO_Lb0ESQ_SR_ST_SU_SY_EESZ_S10_S11_S12_S16_S17_S18_S1B_S1C_jS1D_jS1E_S1E_jjS1G_bEUljE0_EEESZ_S10_S11_S18_S1C_S1E_T6_T7_T9_mT8_S1G_bDpT10_ENKUlT_T0_E_clISt17integral_constantIbLb1EES1U_EEDaS1P_S1Q_EUlS1P_E_NS1_11comp_targetILNS1_3genE3ELNS1_11target_archE908ELNS1_3gpuE7ELNS1_3repE0EEENS1_30default_config_static_selectorELNS0_4arch9wavefront6targetE0EEEvS12_
		.amdhsa_group_segment_fixed_size 0
		.amdhsa_private_segment_fixed_size 0
		.amdhsa_kernarg_size 184
		.amdhsa_user_sgpr_count 2
		.amdhsa_user_sgpr_dispatch_ptr 0
		.amdhsa_user_sgpr_queue_ptr 0
		.amdhsa_user_sgpr_kernarg_segment_ptr 1
		.amdhsa_user_sgpr_dispatch_id 0
		.amdhsa_user_sgpr_private_segment_size 0
		.amdhsa_wavefront_size32 1
		.amdhsa_uses_dynamic_stack 0
		.amdhsa_enable_private_segment 0
		.amdhsa_system_sgpr_workgroup_id_x 1
		.amdhsa_system_sgpr_workgroup_id_y 0
		.amdhsa_system_sgpr_workgroup_id_z 0
		.amdhsa_system_sgpr_workgroup_info 0
		.amdhsa_system_vgpr_workitem_id 0
		.amdhsa_next_free_vgpr 1
		.amdhsa_next_free_sgpr 1
		.amdhsa_reserve_vcc 0
		.amdhsa_float_round_mode_32 0
		.amdhsa_float_round_mode_16_64 0
		.amdhsa_float_denorm_mode_32 3
		.amdhsa_float_denorm_mode_16_64 3
		.amdhsa_fp16_overflow 0
		.amdhsa_workgroup_processor_mode 1
		.amdhsa_memory_ordered 1
		.amdhsa_forward_progress 1
		.amdhsa_inst_pref_size 0
		.amdhsa_round_robin_scheduling 0
		.amdhsa_exception_fp_ieee_invalid_op 0
		.amdhsa_exception_fp_denorm_src 0
		.amdhsa_exception_fp_ieee_div_zero 0
		.amdhsa_exception_fp_ieee_overflow 0
		.amdhsa_exception_fp_ieee_underflow 0
		.amdhsa_exception_fp_ieee_inexact 0
		.amdhsa_exception_int_div_zero 0
	.end_amdhsa_kernel
	.section	.text._ZN7rocprim17ROCPRIM_400000_NS6detail17trampoline_kernelINS0_13select_configILj256ELj13ELNS0_17block_load_methodE3ELS4_3ELS4_3ELNS0_20block_scan_algorithmE0ELj4294967295EEENS1_25partition_config_selectorILNS1_17partition_subalgoE4EjNS0_10empty_typeEbEEZZNS1_14partition_implILS8_4ELb0ES6_15HIP_vector_typeIjLj2EENS0_17counting_iteratorIjlEEPS9_SG_NS0_5tupleIJPjSI_NS0_16reverse_iteratorISI_EEEEENSH_IJSG_SG_SG_EEES9_SI_JZNS1_25segmented_radix_sort_implINS0_14default_configELb0EPKhPhPKlPlN2at6native12_GLOBAL__N_18offset_tEEE10hipError_tPvRmT1_PNSt15iterator_traitsIS12_E10value_typeET2_T3_PNS13_IS18_E10value_typeET4_jRbjT5_S1E_jjP12ihipStream_tbEUljE_ZNSN_ISO_Lb0ESQ_SR_ST_SU_SY_EESZ_S10_S11_S12_S16_S17_S18_S1B_S1C_jS1D_jS1E_S1E_jjS1G_bEUljE0_EEESZ_S10_S11_S18_S1C_S1E_T6_T7_T9_mT8_S1G_bDpT10_ENKUlT_T0_E_clISt17integral_constantIbLb1EES1U_EEDaS1P_S1Q_EUlS1P_E_NS1_11comp_targetILNS1_3genE3ELNS1_11target_archE908ELNS1_3gpuE7ELNS1_3repE0EEENS1_30default_config_static_selectorELNS0_4arch9wavefront6targetE0EEEvS12_,"axG",@progbits,_ZN7rocprim17ROCPRIM_400000_NS6detail17trampoline_kernelINS0_13select_configILj256ELj13ELNS0_17block_load_methodE3ELS4_3ELS4_3ELNS0_20block_scan_algorithmE0ELj4294967295EEENS1_25partition_config_selectorILNS1_17partition_subalgoE4EjNS0_10empty_typeEbEEZZNS1_14partition_implILS8_4ELb0ES6_15HIP_vector_typeIjLj2EENS0_17counting_iteratorIjlEEPS9_SG_NS0_5tupleIJPjSI_NS0_16reverse_iteratorISI_EEEEENSH_IJSG_SG_SG_EEES9_SI_JZNS1_25segmented_radix_sort_implINS0_14default_configELb0EPKhPhPKlPlN2at6native12_GLOBAL__N_18offset_tEEE10hipError_tPvRmT1_PNSt15iterator_traitsIS12_E10value_typeET2_T3_PNS13_IS18_E10value_typeET4_jRbjT5_S1E_jjP12ihipStream_tbEUljE_ZNSN_ISO_Lb0ESQ_SR_ST_SU_SY_EESZ_S10_S11_S12_S16_S17_S18_S1B_S1C_jS1D_jS1E_S1E_jjS1G_bEUljE0_EEESZ_S10_S11_S18_S1C_S1E_T6_T7_T9_mT8_S1G_bDpT10_ENKUlT_T0_E_clISt17integral_constantIbLb1EES1U_EEDaS1P_S1Q_EUlS1P_E_NS1_11comp_targetILNS1_3genE3ELNS1_11target_archE908ELNS1_3gpuE7ELNS1_3repE0EEENS1_30default_config_static_selectorELNS0_4arch9wavefront6targetE0EEEvS12_,comdat
.Lfunc_end133:
	.size	_ZN7rocprim17ROCPRIM_400000_NS6detail17trampoline_kernelINS0_13select_configILj256ELj13ELNS0_17block_load_methodE3ELS4_3ELS4_3ELNS0_20block_scan_algorithmE0ELj4294967295EEENS1_25partition_config_selectorILNS1_17partition_subalgoE4EjNS0_10empty_typeEbEEZZNS1_14partition_implILS8_4ELb0ES6_15HIP_vector_typeIjLj2EENS0_17counting_iteratorIjlEEPS9_SG_NS0_5tupleIJPjSI_NS0_16reverse_iteratorISI_EEEEENSH_IJSG_SG_SG_EEES9_SI_JZNS1_25segmented_radix_sort_implINS0_14default_configELb0EPKhPhPKlPlN2at6native12_GLOBAL__N_18offset_tEEE10hipError_tPvRmT1_PNSt15iterator_traitsIS12_E10value_typeET2_T3_PNS13_IS18_E10value_typeET4_jRbjT5_S1E_jjP12ihipStream_tbEUljE_ZNSN_ISO_Lb0ESQ_SR_ST_SU_SY_EESZ_S10_S11_S12_S16_S17_S18_S1B_S1C_jS1D_jS1E_S1E_jjS1G_bEUljE0_EEESZ_S10_S11_S18_S1C_S1E_T6_T7_T9_mT8_S1G_bDpT10_ENKUlT_T0_E_clISt17integral_constantIbLb1EES1U_EEDaS1P_S1Q_EUlS1P_E_NS1_11comp_targetILNS1_3genE3ELNS1_11target_archE908ELNS1_3gpuE7ELNS1_3repE0EEENS1_30default_config_static_selectorELNS0_4arch9wavefront6targetE0EEEvS12_, .Lfunc_end133-_ZN7rocprim17ROCPRIM_400000_NS6detail17trampoline_kernelINS0_13select_configILj256ELj13ELNS0_17block_load_methodE3ELS4_3ELS4_3ELNS0_20block_scan_algorithmE0ELj4294967295EEENS1_25partition_config_selectorILNS1_17partition_subalgoE4EjNS0_10empty_typeEbEEZZNS1_14partition_implILS8_4ELb0ES6_15HIP_vector_typeIjLj2EENS0_17counting_iteratorIjlEEPS9_SG_NS0_5tupleIJPjSI_NS0_16reverse_iteratorISI_EEEEENSH_IJSG_SG_SG_EEES9_SI_JZNS1_25segmented_radix_sort_implINS0_14default_configELb0EPKhPhPKlPlN2at6native12_GLOBAL__N_18offset_tEEE10hipError_tPvRmT1_PNSt15iterator_traitsIS12_E10value_typeET2_T3_PNS13_IS18_E10value_typeET4_jRbjT5_S1E_jjP12ihipStream_tbEUljE_ZNSN_ISO_Lb0ESQ_SR_ST_SU_SY_EESZ_S10_S11_S12_S16_S17_S18_S1B_S1C_jS1D_jS1E_S1E_jjS1G_bEUljE0_EEESZ_S10_S11_S18_S1C_S1E_T6_T7_T9_mT8_S1G_bDpT10_ENKUlT_T0_E_clISt17integral_constantIbLb1EES1U_EEDaS1P_S1Q_EUlS1P_E_NS1_11comp_targetILNS1_3genE3ELNS1_11target_archE908ELNS1_3gpuE7ELNS1_3repE0EEENS1_30default_config_static_selectorELNS0_4arch9wavefront6targetE0EEEvS12_
                                        ; -- End function
	.set _ZN7rocprim17ROCPRIM_400000_NS6detail17trampoline_kernelINS0_13select_configILj256ELj13ELNS0_17block_load_methodE3ELS4_3ELS4_3ELNS0_20block_scan_algorithmE0ELj4294967295EEENS1_25partition_config_selectorILNS1_17partition_subalgoE4EjNS0_10empty_typeEbEEZZNS1_14partition_implILS8_4ELb0ES6_15HIP_vector_typeIjLj2EENS0_17counting_iteratorIjlEEPS9_SG_NS0_5tupleIJPjSI_NS0_16reverse_iteratorISI_EEEEENSH_IJSG_SG_SG_EEES9_SI_JZNS1_25segmented_radix_sort_implINS0_14default_configELb0EPKhPhPKlPlN2at6native12_GLOBAL__N_18offset_tEEE10hipError_tPvRmT1_PNSt15iterator_traitsIS12_E10value_typeET2_T3_PNS13_IS18_E10value_typeET4_jRbjT5_S1E_jjP12ihipStream_tbEUljE_ZNSN_ISO_Lb0ESQ_SR_ST_SU_SY_EESZ_S10_S11_S12_S16_S17_S18_S1B_S1C_jS1D_jS1E_S1E_jjS1G_bEUljE0_EEESZ_S10_S11_S18_S1C_S1E_T6_T7_T9_mT8_S1G_bDpT10_ENKUlT_T0_E_clISt17integral_constantIbLb1EES1U_EEDaS1P_S1Q_EUlS1P_E_NS1_11comp_targetILNS1_3genE3ELNS1_11target_archE908ELNS1_3gpuE7ELNS1_3repE0EEENS1_30default_config_static_selectorELNS0_4arch9wavefront6targetE0EEEvS12_.num_vgpr, 0
	.set _ZN7rocprim17ROCPRIM_400000_NS6detail17trampoline_kernelINS0_13select_configILj256ELj13ELNS0_17block_load_methodE3ELS4_3ELS4_3ELNS0_20block_scan_algorithmE0ELj4294967295EEENS1_25partition_config_selectorILNS1_17partition_subalgoE4EjNS0_10empty_typeEbEEZZNS1_14partition_implILS8_4ELb0ES6_15HIP_vector_typeIjLj2EENS0_17counting_iteratorIjlEEPS9_SG_NS0_5tupleIJPjSI_NS0_16reverse_iteratorISI_EEEEENSH_IJSG_SG_SG_EEES9_SI_JZNS1_25segmented_radix_sort_implINS0_14default_configELb0EPKhPhPKlPlN2at6native12_GLOBAL__N_18offset_tEEE10hipError_tPvRmT1_PNSt15iterator_traitsIS12_E10value_typeET2_T3_PNS13_IS18_E10value_typeET4_jRbjT5_S1E_jjP12ihipStream_tbEUljE_ZNSN_ISO_Lb0ESQ_SR_ST_SU_SY_EESZ_S10_S11_S12_S16_S17_S18_S1B_S1C_jS1D_jS1E_S1E_jjS1G_bEUljE0_EEESZ_S10_S11_S18_S1C_S1E_T6_T7_T9_mT8_S1G_bDpT10_ENKUlT_T0_E_clISt17integral_constantIbLb1EES1U_EEDaS1P_S1Q_EUlS1P_E_NS1_11comp_targetILNS1_3genE3ELNS1_11target_archE908ELNS1_3gpuE7ELNS1_3repE0EEENS1_30default_config_static_selectorELNS0_4arch9wavefront6targetE0EEEvS12_.num_agpr, 0
	.set _ZN7rocprim17ROCPRIM_400000_NS6detail17trampoline_kernelINS0_13select_configILj256ELj13ELNS0_17block_load_methodE3ELS4_3ELS4_3ELNS0_20block_scan_algorithmE0ELj4294967295EEENS1_25partition_config_selectorILNS1_17partition_subalgoE4EjNS0_10empty_typeEbEEZZNS1_14partition_implILS8_4ELb0ES6_15HIP_vector_typeIjLj2EENS0_17counting_iteratorIjlEEPS9_SG_NS0_5tupleIJPjSI_NS0_16reverse_iteratorISI_EEEEENSH_IJSG_SG_SG_EEES9_SI_JZNS1_25segmented_radix_sort_implINS0_14default_configELb0EPKhPhPKlPlN2at6native12_GLOBAL__N_18offset_tEEE10hipError_tPvRmT1_PNSt15iterator_traitsIS12_E10value_typeET2_T3_PNS13_IS18_E10value_typeET4_jRbjT5_S1E_jjP12ihipStream_tbEUljE_ZNSN_ISO_Lb0ESQ_SR_ST_SU_SY_EESZ_S10_S11_S12_S16_S17_S18_S1B_S1C_jS1D_jS1E_S1E_jjS1G_bEUljE0_EEESZ_S10_S11_S18_S1C_S1E_T6_T7_T9_mT8_S1G_bDpT10_ENKUlT_T0_E_clISt17integral_constantIbLb1EES1U_EEDaS1P_S1Q_EUlS1P_E_NS1_11comp_targetILNS1_3genE3ELNS1_11target_archE908ELNS1_3gpuE7ELNS1_3repE0EEENS1_30default_config_static_selectorELNS0_4arch9wavefront6targetE0EEEvS12_.numbered_sgpr, 0
	.set _ZN7rocprim17ROCPRIM_400000_NS6detail17trampoline_kernelINS0_13select_configILj256ELj13ELNS0_17block_load_methodE3ELS4_3ELS4_3ELNS0_20block_scan_algorithmE0ELj4294967295EEENS1_25partition_config_selectorILNS1_17partition_subalgoE4EjNS0_10empty_typeEbEEZZNS1_14partition_implILS8_4ELb0ES6_15HIP_vector_typeIjLj2EENS0_17counting_iteratorIjlEEPS9_SG_NS0_5tupleIJPjSI_NS0_16reverse_iteratorISI_EEEEENSH_IJSG_SG_SG_EEES9_SI_JZNS1_25segmented_radix_sort_implINS0_14default_configELb0EPKhPhPKlPlN2at6native12_GLOBAL__N_18offset_tEEE10hipError_tPvRmT1_PNSt15iterator_traitsIS12_E10value_typeET2_T3_PNS13_IS18_E10value_typeET4_jRbjT5_S1E_jjP12ihipStream_tbEUljE_ZNSN_ISO_Lb0ESQ_SR_ST_SU_SY_EESZ_S10_S11_S12_S16_S17_S18_S1B_S1C_jS1D_jS1E_S1E_jjS1G_bEUljE0_EEESZ_S10_S11_S18_S1C_S1E_T6_T7_T9_mT8_S1G_bDpT10_ENKUlT_T0_E_clISt17integral_constantIbLb1EES1U_EEDaS1P_S1Q_EUlS1P_E_NS1_11comp_targetILNS1_3genE3ELNS1_11target_archE908ELNS1_3gpuE7ELNS1_3repE0EEENS1_30default_config_static_selectorELNS0_4arch9wavefront6targetE0EEEvS12_.num_named_barrier, 0
	.set _ZN7rocprim17ROCPRIM_400000_NS6detail17trampoline_kernelINS0_13select_configILj256ELj13ELNS0_17block_load_methodE3ELS4_3ELS4_3ELNS0_20block_scan_algorithmE0ELj4294967295EEENS1_25partition_config_selectorILNS1_17partition_subalgoE4EjNS0_10empty_typeEbEEZZNS1_14partition_implILS8_4ELb0ES6_15HIP_vector_typeIjLj2EENS0_17counting_iteratorIjlEEPS9_SG_NS0_5tupleIJPjSI_NS0_16reverse_iteratorISI_EEEEENSH_IJSG_SG_SG_EEES9_SI_JZNS1_25segmented_radix_sort_implINS0_14default_configELb0EPKhPhPKlPlN2at6native12_GLOBAL__N_18offset_tEEE10hipError_tPvRmT1_PNSt15iterator_traitsIS12_E10value_typeET2_T3_PNS13_IS18_E10value_typeET4_jRbjT5_S1E_jjP12ihipStream_tbEUljE_ZNSN_ISO_Lb0ESQ_SR_ST_SU_SY_EESZ_S10_S11_S12_S16_S17_S18_S1B_S1C_jS1D_jS1E_S1E_jjS1G_bEUljE0_EEESZ_S10_S11_S18_S1C_S1E_T6_T7_T9_mT8_S1G_bDpT10_ENKUlT_T0_E_clISt17integral_constantIbLb1EES1U_EEDaS1P_S1Q_EUlS1P_E_NS1_11comp_targetILNS1_3genE3ELNS1_11target_archE908ELNS1_3gpuE7ELNS1_3repE0EEENS1_30default_config_static_selectorELNS0_4arch9wavefront6targetE0EEEvS12_.private_seg_size, 0
	.set _ZN7rocprim17ROCPRIM_400000_NS6detail17trampoline_kernelINS0_13select_configILj256ELj13ELNS0_17block_load_methodE3ELS4_3ELS4_3ELNS0_20block_scan_algorithmE0ELj4294967295EEENS1_25partition_config_selectorILNS1_17partition_subalgoE4EjNS0_10empty_typeEbEEZZNS1_14partition_implILS8_4ELb0ES6_15HIP_vector_typeIjLj2EENS0_17counting_iteratorIjlEEPS9_SG_NS0_5tupleIJPjSI_NS0_16reverse_iteratorISI_EEEEENSH_IJSG_SG_SG_EEES9_SI_JZNS1_25segmented_radix_sort_implINS0_14default_configELb0EPKhPhPKlPlN2at6native12_GLOBAL__N_18offset_tEEE10hipError_tPvRmT1_PNSt15iterator_traitsIS12_E10value_typeET2_T3_PNS13_IS18_E10value_typeET4_jRbjT5_S1E_jjP12ihipStream_tbEUljE_ZNSN_ISO_Lb0ESQ_SR_ST_SU_SY_EESZ_S10_S11_S12_S16_S17_S18_S1B_S1C_jS1D_jS1E_S1E_jjS1G_bEUljE0_EEESZ_S10_S11_S18_S1C_S1E_T6_T7_T9_mT8_S1G_bDpT10_ENKUlT_T0_E_clISt17integral_constantIbLb1EES1U_EEDaS1P_S1Q_EUlS1P_E_NS1_11comp_targetILNS1_3genE3ELNS1_11target_archE908ELNS1_3gpuE7ELNS1_3repE0EEENS1_30default_config_static_selectorELNS0_4arch9wavefront6targetE0EEEvS12_.uses_vcc, 0
	.set _ZN7rocprim17ROCPRIM_400000_NS6detail17trampoline_kernelINS0_13select_configILj256ELj13ELNS0_17block_load_methodE3ELS4_3ELS4_3ELNS0_20block_scan_algorithmE0ELj4294967295EEENS1_25partition_config_selectorILNS1_17partition_subalgoE4EjNS0_10empty_typeEbEEZZNS1_14partition_implILS8_4ELb0ES6_15HIP_vector_typeIjLj2EENS0_17counting_iteratorIjlEEPS9_SG_NS0_5tupleIJPjSI_NS0_16reverse_iteratorISI_EEEEENSH_IJSG_SG_SG_EEES9_SI_JZNS1_25segmented_radix_sort_implINS0_14default_configELb0EPKhPhPKlPlN2at6native12_GLOBAL__N_18offset_tEEE10hipError_tPvRmT1_PNSt15iterator_traitsIS12_E10value_typeET2_T3_PNS13_IS18_E10value_typeET4_jRbjT5_S1E_jjP12ihipStream_tbEUljE_ZNSN_ISO_Lb0ESQ_SR_ST_SU_SY_EESZ_S10_S11_S12_S16_S17_S18_S1B_S1C_jS1D_jS1E_S1E_jjS1G_bEUljE0_EEESZ_S10_S11_S18_S1C_S1E_T6_T7_T9_mT8_S1G_bDpT10_ENKUlT_T0_E_clISt17integral_constantIbLb1EES1U_EEDaS1P_S1Q_EUlS1P_E_NS1_11comp_targetILNS1_3genE3ELNS1_11target_archE908ELNS1_3gpuE7ELNS1_3repE0EEENS1_30default_config_static_selectorELNS0_4arch9wavefront6targetE0EEEvS12_.uses_flat_scratch, 0
	.set _ZN7rocprim17ROCPRIM_400000_NS6detail17trampoline_kernelINS0_13select_configILj256ELj13ELNS0_17block_load_methodE3ELS4_3ELS4_3ELNS0_20block_scan_algorithmE0ELj4294967295EEENS1_25partition_config_selectorILNS1_17partition_subalgoE4EjNS0_10empty_typeEbEEZZNS1_14partition_implILS8_4ELb0ES6_15HIP_vector_typeIjLj2EENS0_17counting_iteratorIjlEEPS9_SG_NS0_5tupleIJPjSI_NS0_16reverse_iteratorISI_EEEEENSH_IJSG_SG_SG_EEES9_SI_JZNS1_25segmented_radix_sort_implINS0_14default_configELb0EPKhPhPKlPlN2at6native12_GLOBAL__N_18offset_tEEE10hipError_tPvRmT1_PNSt15iterator_traitsIS12_E10value_typeET2_T3_PNS13_IS18_E10value_typeET4_jRbjT5_S1E_jjP12ihipStream_tbEUljE_ZNSN_ISO_Lb0ESQ_SR_ST_SU_SY_EESZ_S10_S11_S12_S16_S17_S18_S1B_S1C_jS1D_jS1E_S1E_jjS1G_bEUljE0_EEESZ_S10_S11_S18_S1C_S1E_T6_T7_T9_mT8_S1G_bDpT10_ENKUlT_T0_E_clISt17integral_constantIbLb1EES1U_EEDaS1P_S1Q_EUlS1P_E_NS1_11comp_targetILNS1_3genE3ELNS1_11target_archE908ELNS1_3gpuE7ELNS1_3repE0EEENS1_30default_config_static_selectorELNS0_4arch9wavefront6targetE0EEEvS12_.has_dyn_sized_stack, 0
	.set _ZN7rocprim17ROCPRIM_400000_NS6detail17trampoline_kernelINS0_13select_configILj256ELj13ELNS0_17block_load_methodE3ELS4_3ELS4_3ELNS0_20block_scan_algorithmE0ELj4294967295EEENS1_25partition_config_selectorILNS1_17partition_subalgoE4EjNS0_10empty_typeEbEEZZNS1_14partition_implILS8_4ELb0ES6_15HIP_vector_typeIjLj2EENS0_17counting_iteratorIjlEEPS9_SG_NS0_5tupleIJPjSI_NS0_16reverse_iteratorISI_EEEEENSH_IJSG_SG_SG_EEES9_SI_JZNS1_25segmented_radix_sort_implINS0_14default_configELb0EPKhPhPKlPlN2at6native12_GLOBAL__N_18offset_tEEE10hipError_tPvRmT1_PNSt15iterator_traitsIS12_E10value_typeET2_T3_PNS13_IS18_E10value_typeET4_jRbjT5_S1E_jjP12ihipStream_tbEUljE_ZNSN_ISO_Lb0ESQ_SR_ST_SU_SY_EESZ_S10_S11_S12_S16_S17_S18_S1B_S1C_jS1D_jS1E_S1E_jjS1G_bEUljE0_EEESZ_S10_S11_S18_S1C_S1E_T6_T7_T9_mT8_S1G_bDpT10_ENKUlT_T0_E_clISt17integral_constantIbLb1EES1U_EEDaS1P_S1Q_EUlS1P_E_NS1_11comp_targetILNS1_3genE3ELNS1_11target_archE908ELNS1_3gpuE7ELNS1_3repE0EEENS1_30default_config_static_selectorELNS0_4arch9wavefront6targetE0EEEvS12_.has_recursion, 0
	.set _ZN7rocprim17ROCPRIM_400000_NS6detail17trampoline_kernelINS0_13select_configILj256ELj13ELNS0_17block_load_methodE3ELS4_3ELS4_3ELNS0_20block_scan_algorithmE0ELj4294967295EEENS1_25partition_config_selectorILNS1_17partition_subalgoE4EjNS0_10empty_typeEbEEZZNS1_14partition_implILS8_4ELb0ES6_15HIP_vector_typeIjLj2EENS0_17counting_iteratorIjlEEPS9_SG_NS0_5tupleIJPjSI_NS0_16reverse_iteratorISI_EEEEENSH_IJSG_SG_SG_EEES9_SI_JZNS1_25segmented_radix_sort_implINS0_14default_configELb0EPKhPhPKlPlN2at6native12_GLOBAL__N_18offset_tEEE10hipError_tPvRmT1_PNSt15iterator_traitsIS12_E10value_typeET2_T3_PNS13_IS18_E10value_typeET4_jRbjT5_S1E_jjP12ihipStream_tbEUljE_ZNSN_ISO_Lb0ESQ_SR_ST_SU_SY_EESZ_S10_S11_S12_S16_S17_S18_S1B_S1C_jS1D_jS1E_S1E_jjS1G_bEUljE0_EEESZ_S10_S11_S18_S1C_S1E_T6_T7_T9_mT8_S1G_bDpT10_ENKUlT_T0_E_clISt17integral_constantIbLb1EES1U_EEDaS1P_S1Q_EUlS1P_E_NS1_11comp_targetILNS1_3genE3ELNS1_11target_archE908ELNS1_3gpuE7ELNS1_3repE0EEENS1_30default_config_static_selectorELNS0_4arch9wavefront6targetE0EEEvS12_.has_indirect_call, 0
	.section	.AMDGPU.csdata,"",@progbits
; Kernel info:
; codeLenInByte = 0
; TotalNumSgprs: 0
; NumVgprs: 0
; ScratchSize: 0
; MemoryBound: 0
; FloatMode: 240
; IeeeMode: 1
; LDSByteSize: 0 bytes/workgroup (compile time only)
; SGPRBlocks: 0
; VGPRBlocks: 0
; NumSGPRsForWavesPerEU: 1
; NumVGPRsForWavesPerEU: 1
; Occupancy: 16
; WaveLimiterHint : 0
; COMPUTE_PGM_RSRC2:SCRATCH_EN: 0
; COMPUTE_PGM_RSRC2:USER_SGPR: 2
; COMPUTE_PGM_RSRC2:TRAP_HANDLER: 0
; COMPUTE_PGM_RSRC2:TGID_X_EN: 1
; COMPUTE_PGM_RSRC2:TGID_Y_EN: 0
; COMPUTE_PGM_RSRC2:TGID_Z_EN: 0
; COMPUTE_PGM_RSRC2:TIDIG_COMP_CNT: 0
	.section	.text._ZN7rocprim17ROCPRIM_400000_NS6detail17trampoline_kernelINS0_13select_configILj256ELj13ELNS0_17block_load_methodE3ELS4_3ELS4_3ELNS0_20block_scan_algorithmE0ELj4294967295EEENS1_25partition_config_selectorILNS1_17partition_subalgoE4EjNS0_10empty_typeEbEEZZNS1_14partition_implILS8_4ELb0ES6_15HIP_vector_typeIjLj2EENS0_17counting_iteratorIjlEEPS9_SG_NS0_5tupleIJPjSI_NS0_16reverse_iteratorISI_EEEEENSH_IJSG_SG_SG_EEES9_SI_JZNS1_25segmented_radix_sort_implINS0_14default_configELb0EPKhPhPKlPlN2at6native12_GLOBAL__N_18offset_tEEE10hipError_tPvRmT1_PNSt15iterator_traitsIS12_E10value_typeET2_T3_PNS13_IS18_E10value_typeET4_jRbjT5_S1E_jjP12ihipStream_tbEUljE_ZNSN_ISO_Lb0ESQ_SR_ST_SU_SY_EESZ_S10_S11_S12_S16_S17_S18_S1B_S1C_jS1D_jS1E_S1E_jjS1G_bEUljE0_EEESZ_S10_S11_S18_S1C_S1E_T6_T7_T9_mT8_S1G_bDpT10_ENKUlT_T0_E_clISt17integral_constantIbLb1EES1U_EEDaS1P_S1Q_EUlS1P_E_NS1_11comp_targetILNS1_3genE2ELNS1_11target_archE906ELNS1_3gpuE6ELNS1_3repE0EEENS1_30default_config_static_selectorELNS0_4arch9wavefront6targetE0EEEvS12_,"axG",@progbits,_ZN7rocprim17ROCPRIM_400000_NS6detail17trampoline_kernelINS0_13select_configILj256ELj13ELNS0_17block_load_methodE3ELS4_3ELS4_3ELNS0_20block_scan_algorithmE0ELj4294967295EEENS1_25partition_config_selectorILNS1_17partition_subalgoE4EjNS0_10empty_typeEbEEZZNS1_14partition_implILS8_4ELb0ES6_15HIP_vector_typeIjLj2EENS0_17counting_iteratorIjlEEPS9_SG_NS0_5tupleIJPjSI_NS0_16reverse_iteratorISI_EEEEENSH_IJSG_SG_SG_EEES9_SI_JZNS1_25segmented_radix_sort_implINS0_14default_configELb0EPKhPhPKlPlN2at6native12_GLOBAL__N_18offset_tEEE10hipError_tPvRmT1_PNSt15iterator_traitsIS12_E10value_typeET2_T3_PNS13_IS18_E10value_typeET4_jRbjT5_S1E_jjP12ihipStream_tbEUljE_ZNSN_ISO_Lb0ESQ_SR_ST_SU_SY_EESZ_S10_S11_S12_S16_S17_S18_S1B_S1C_jS1D_jS1E_S1E_jjS1G_bEUljE0_EEESZ_S10_S11_S18_S1C_S1E_T6_T7_T9_mT8_S1G_bDpT10_ENKUlT_T0_E_clISt17integral_constantIbLb1EES1U_EEDaS1P_S1Q_EUlS1P_E_NS1_11comp_targetILNS1_3genE2ELNS1_11target_archE906ELNS1_3gpuE6ELNS1_3repE0EEENS1_30default_config_static_selectorELNS0_4arch9wavefront6targetE0EEEvS12_,comdat
	.globl	_ZN7rocprim17ROCPRIM_400000_NS6detail17trampoline_kernelINS0_13select_configILj256ELj13ELNS0_17block_load_methodE3ELS4_3ELS4_3ELNS0_20block_scan_algorithmE0ELj4294967295EEENS1_25partition_config_selectorILNS1_17partition_subalgoE4EjNS0_10empty_typeEbEEZZNS1_14partition_implILS8_4ELb0ES6_15HIP_vector_typeIjLj2EENS0_17counting_iteratorIjlEEPS9_SG_NS0_5tupleIJPjSI_NS0_16reverse_iteratorISI_EEEEENSH_IJSG_SG_SG_EEES9_SI_JZNS1_25segmented_radix_sort_implINS0_14default_configELb0EPKhPhPKlPlN2at6native12_GLOBAL__N_18offset_tEEE10hipError_tPvRmT1_PNSt15iterator_traitsIS12_E10value_typeET2_T3_PNS13_IS18_E10value_typeET4_jRbjT5_S1E_jjP12ihipStream_tbEUljE_ZNSN_ISO_Lb0ESQ_SR_ST_SU_SY_EESZ_S10_S11_S12_S16_S17_S18_S1B_S1C_jS1D_jS1E_S1E_jjS1G_bEUljE0_EEESZ_S10_S11_S18_S1C_S1E_T6_T7_T9_mT8_S1G_bDpT10_ENKUlT_T0_E_clISt17integral_constantIbLb1EES1U_EEDaS1P_S1Q_EUlS1P_E_NS1_11comp_targetILNS1_3genE2ELNS1_11target_archE906ELNS1_3gpuE6ELNS1_3repE0EEENS1_30default_config_static_selectorELNS0_4arch9wavefront6targetE0EEEvS12_ ; -- Begin function _ZN7rocprim17ROCPRIM_400000_NS6detail17trampoline_kernelINS0_13select_configILj256ELj13ELNS0_17block_load_methodE3ELS4_3ELS4_3ELNS0_20block_scan_algorithmE0ELj4294967295EEENS1_25partition_config_selectorILNS1_17partition_subalgoE4EjNS0_10empty_typeEbEEZZNS1_14partition_implILS8_4ELb0ES6_15HIP_vector_typeIjLj2EENS0_17counting_iteratorIjlEEPS9_SG_NS0_5tupleIJPjSI_NS0_16reverse_iteratorISI_EEEEENSH_IJSG_SG_SG_EEES9_SI_JZNS1_25segmented_radix_sort_implINS0_14default_configELb0EPKhPhPKlPlN2at6native12_GLOBAL__N_18offset_tEEE10hipError_tPvRmT1_PNSt15iterator_traitsIS12_E10value_typeET2_T3_PNS13_IS18_E10value_typeET4_jRbjT5_S1E_jjP12ihipStream_tbEUljE_ZNSN_ISO_Lb0ESQ_SR_ST_SU_SY_EESZ_S10_S11_S12_S16_S17_S18_S1B_S1C_jS1D_jS1E_S1E_jjS1G_bEUljE0_EEESZ_S10_S11_S18_S1C_S1E_T6_T7_T9_mT8_S1G_bDpT10_ENKUlT_T0_E_clISt17integral_constantIbLb1EES1U_EEDaS1P_S1Q_EUlS1P_E_NS1_11comp_targetILNS1_3genE2ELNS1_11target_archE906ELNS1_3gpuE6ELNS1_3repE0EEENS1_30default_config_static_selectorELNS0_4arch9wavefront6targetE0EEEvS12_
	.p2align	8
	.type	_ZN7rocprim17ROCPRIM_400000_NS6detail17trampoline_kernelINS0_13select_configILj256ELj13ELNS0_17block_load_methodE3ELS4_3ELS4_3ELNS0_20block_scan_algorithmE0ELj4294967295EEENS1_25partition_config_selectorILNS1_17partition_subalgoE4EjNS0_10empty_typeEbEEZZNS1_14partition_implILS8_4ELb0ES6_15HIP_vector_typeIjLj2EENS0_17counting_iteratorIjlEEPS9_SG_NS0_5tupleIJPjSI_NS0_16reverse_iteratorISI_EEEEENSH_IJSG_SG_SG_EEES9_SI_JZNS1_25segmented_radix_sort_implINS0_14default_configELb0EPKhPhPKlPlN2at6native12_GLOBAL__N_18offset_tEEE10hipError_tPvRmT1_PNSt15iterator_traitsIS12_E10value_typeET2_T3_PNS13_IS18_E10value_typeET4_jRbjT5_S1E_jjP12ihipStream_tbEUljE_ZNSN_ISO_Lb0ESQ_SR_ST_SU_SY_EESZ_S10_S11_S12_S16_S17_S18_S1B_S1C_jS1D_jS1E_S1E_jjS1G_bEUljE0_EEESZ_S10_S11_S18_S1C_S1E_T6_T7_T9_mT8_S1G_bDpT10_ENKUlT_T0_E_clISt17integral_constantIbLb1EES1U_EEDaS1P_S1Q_EUlS1P_E_NS1_11comp_targetILNS1_3genE2ELNS1_11target_archE906ELNS1_3gpuE6ELNS1_3repE0EEENS1_30default_config_static_selectorELNS0_4arch9wavefront6targetE0EEEvS12_,@function
_ZN7rocprim17ROCPRIM_400000_NS6detail17trampoline_kernelINS0_13select_configILj256ELj13ELNS0_17block_load_methodE3ELS4_3ELS4_3ELNS0_20block_scan_algorithmE0ELj4294967295EEENS1_25partition_config_selectorILNS1_17partition_subalgoE4EjNS0_10empty_typeEbEEZZNS1_14partition_implILS8_4ELb0ES6_15HIP_vector_typeIjLj2EENS0_17counting_iteratorIjlEEPS9_SG_NS0_5tupleIJPjSI_NS0_16reverse_iteratorISI_EEEEENSH_IJSG_SG_SG_EEES9_SI_JZNS1_25segmented_radix_sort_implINS0_14default_configELb0EPKhPhPKlPlN2at6native12_GLOBAL__N_18offset_tEEE10hipError_tPvRmT1_PNSt15iterator_traitsIS12_E10value_typeET2_T3_PNS13_IS18_E10value_typeET4_jRbjT5_S1E_jjP12ihipStream_tbEUljE_ZNSN_ISO_Lb0ESQ_SR_ST_SU_SY_EESZ_S10_S11_S12_S16_S17_S18_S1B_S1C_jS1D_jS1E_S1E_jjS1G_bEUljE0_EEESZ_S10_S11_S18_S1C_S1E_T6_T7_T9_mT8_S1G_bDpT10_ENKUlT_T0_E_clISt17integral_constantIbLb1EES1U_EEDaS1P_S1Q_EUlS1P_E_NS1_11comp_targetILNS1_3genE2ELNS1_11target_archE906ELNS1_3gpuE6ELNS1_3repE0EEENS1_30default_config_static_selectorELNS0_4arch9wavefront6targetE0EEEvS12_: ; @_ZN7rocprim17ROCPRIM_400000_NS6detail17trampoline_kernelINS0_13select_configILj256ELj13ELNS0_17block_load_methodE3ELS4_3ELS4_3ELNS0_20block_scan_algorithmE0ELj4294967295EEENS1_25partition_config_selectorILNS1_17partition_subalgoE4EjNS0_10empty_typeEbEEZZNS1_14partition_implILS8_4ELb0ES6_15HIP_vector_typeIjLj2EENS0_17counting_iteratorIjlEEPS9_SG_NS0_5tupleIJPjSI_NS0_16reverse_iteratorISI_EEEEENSH_IJSG_SG_SG_EEES9_SI_JZNS1_25segmented_radix_sort_implINS0_14default_configELb0EPKhPhPKlPlN2at6native12_GLOBAL__N_18offset_tEEE10hipError_tPvRmT1_PNSt15iterator_traitsIS12_E10value_typeET2_T3_PNS13_IS18_E10value_typeET4_jRbjT5_S1E_jjP12ihipStream_tbEUljE_ZNSN_ISO_Lb0ESQ_SR_ST_SU_SY_EESZ_S10_S11_S12_S16_S17_S18_S1B_S1C_jS1D_jS1E_S1E_jjS1G_bEUljE0_EEESZ_S10_S11_S18_S1C_S1E_T6_T7_T9_mT8_S1G_bDpT10_ENKUlT_T0_E_clISt17integral_constantIbLb1EES1U_EEDaS1P_S1Q_EUlS1P_E_NS1_11comp_targetILNS1_3genE2ELNS1_11target_archE906ELNS1_3gpuE6ELNS1_3repE0EEENS1_30default_config_static_selectorELNS0_4arch9wavefront6targetE0EEEvS12_
; %bb.0:
	.section	.rodata,"a",@progbits
	.p2align	6, 0x0
	.amdhsa_kernel _ZN7rocprim17ROCPRIM_400000_NS6detail17trampoline_kernelINS0_13select_configILj256ELj13ELNS0_17block_load_methodE3ELS4_3ELS4_3ELNS0_20block_scan_algorithmE0ELj4294967295EEENS1_25partition_config_selectorILNS1_17partition_subalgoE4EjNS0_10empty_typeEbEEZZNS1_14partition_implILS8_4ELb0ES6_15HIP_vector_typeIjLj2EENS0_17counting_iteratorIjlEEPS9_SG_NS0_5tupleIJPjSI_NS0_16reverse_iteratorISI_EEEEENSH_IJSG_SG_SG_EEES9_SI_JZNS1_25segmented_radix_sort_implINS0_14default_configELb0EPKhPhPKlPlN2at6native12_GLOBAL__N_18offset_tEEE10hipError_tPvRmT1_PNSt15iterator_traitsIS12_E10value_typeET2_T3_PNS13_IS18_E10value_typeET4_jRbjT5_S1E_jjP12ihipStream_tbEUljE_ZNSN_ISO_Lb0ESQ_SR_ST_SU_SY_EESZ_S10_S11_S12_S16_S17_S18_S1B_S1C_jS1D_jS1E_S1E_jjS1G_bEUljE0_EEESZ_S10_S11_S18_S1C_S1E_T6_T7_T9_mT8_S1G_bDpT10_ENKUlT_T0_E_clISt17integral_constantIbLb1EES1U_EEDaS1P_S1Q_EUlS1P_E_NS1_11comp_targetILNS1_3genE2ELNS1_11target_archE906ELNS1_3gpuE6ELNS1_3repE0EEENS1_30default_config_static_selectorELNS0_4arch9wavefront6targetE0EEEvS12_
		.amdhsa_group_segment_fixed_size 0
		.amdhsa_private_segment_fixed_size 0
		.amdhsa_kernarg_size 184
		.amdhsa_user_sgpr_count 2
		.amdhsa_user_sgpr_dispatch_ptr 0
		.amdhsa_user_sgpr_queue_ptr 0
		.amdhsa_user_sgpr_kernarg_segment_ptr 1
		.amdhsa_user_sgpr_dispatch_id 0
		.amdhsa_user_sgpr_private_segment_size 0
		.amdhsa_wavefront_size32 1
		.amdhsa_uses_dynamic_stack 0
		.amdhsa_enable_private_segment 0
		.amdhsa_system_sgpr_workgroup_id_x 1
		.amdhsa_system_sgpr_workgroup_id_y 0
		.amdhsa_system_sgpr_workgroup_id_z 0
		.amdhsa_system_sgpr_workgroup_info 0
		.amdhsa_system_vgpr_workitem_id 0
		.amdhsa_next_free_vgpr 1
		.amdhsa_next_free_sgpr 1
		.amdhsa_reserve_vcc 0
		.amdhsa_float_round_mode_32 0
		.amdhsa_float_round_mode_16_64 0
		.amdhsa_float_denorm_mode_32 3
		.amdhsa_float_denorm_mode_16_64 3
		.amdhsa_fp16_overflow 0
		.amdhsa_workgroup_processor_mode 1
		.amdhsa_memory_ordered 1
		.amdhsa_forward_progress 1
		.amdhsa_inst_pref_size 0
		.amdhsa_round_robin_scheduling 0
		.amdhsa_exception_fp_ieee_invalid_op 0
		.amdhsa_exception_fp_denorm_src 0
		.amdhsa_exception_fp_ieee_div_zero 0
		.amdhsa_exception_fp_ieee_overflow 0
		.amdhsa_exception_fp_ieee_underflow 0
		.amdhsa_exception_fp_ieee_inexact 0
		.amdhsa_exception_int_div_zero 0
	.end_amdhsa_kernel
	.section	.text._ZN7rocprim17ROCPRIM_400000_NS6detail17trampoline_kernelINS0_13select_configILj256ELj13ELNS0_17block_load_methodE3ELS4_3ELS4_3ELNS0_20block_scan_algorithmE0ELj4294967295EEENS1_25partition_config_selectorILNS1_17partition_subalgoE4EjNS0_10empty_typeEbEEZZNS1_14partition_implILS8_4ELb0ES6_15HIP_vector_typeIjLj2EENS0_17counting_iteratorIjlEEPS9_SG_NS0_5tupleIJPjSI_NS0_16reverse_iteratorISI_EEEEENSH_IJSG_SG_SG_EEES9_SI_JZNS1_25segmented_radix_sort_implINS0_14default_configELb0EPKhPhPKlPlN2at6native12_GLOBAL__N_18offset_tEEE10hipError_tPvRmT1_PNSt15iterator_traitsIS12_E10value_typeET2_T3_PNS13_IS18_E10value_typeET4_jRbjT5_S1E_jjP12ihipStream_tbEUljE_ZNSN_ISO_Lb0ESQ_SR_ST_SU_SY_EESZ_S10_S11_S12_S16_S17_S18_S1B_S1C_jS1D_jS1E_S1E_jjS1G_bEUljE0_EEESZ_S10_S11_S18_S1C_S1E_T6_T7_T9_mT8_S1G_bDpT10_ENKUlT_T0_E_clISt17integral_constantIbLb1EES1U_EEDaS1P_S1Q_EUlS1P_E_NS1_11comp_targetILNS1_3genE2ELNS1_11target_archE906ELNS1_3gpuE6ELNS1_3repE0EEENS1_30default_config_static_selectorELNS0_4arch9wavefront6targetE0EEEvS12_,"axG",@progbits,_ZN7rocprim17ROCPRIM_400000_NS6detail17trampoline_kernelINS0_13select_configILj256ELj13ELNS0_17block_load_methodE3ELS4_3ELS4_3ELNS0_20block_scan_algorithmE0ELj4294967295EEENS1_25partition_config_selectorILNS1_17partition_subalgoE4EjNS0_10empty_typeEbEEZZNS1_14partition_implILS8_4ELb0ES6_15HIP_vector_typeIjLj2EENS0_17counting_iteratorIjlEEPS9_SG_NS0_5tupleIJPjSI_NS0_16reverse_iteratorISI_EEEEENSH_IJSG_SG_SG_EEES9_SI_JZNS1_25segmented_radix_sort_implINS0_14default_configELb0EPKhPhPKlPlN2at6native12_GLOBAL__N_18offset_tEEE10hipError_tPvRmT1_PNSt15iterator_traitsIS12_E10value_typeET2_T3_PNS13_IS18_E10value_typeET4_jRbjT5_S1E_jjP12ihipStream_tbEUljE_ZNSN_ISO_Lb0ESQ_SR_ST_SU_SY_EESZ_S10_S11_S12_S16_S17_S18_S1B_S1C_jS1D_jS1E_S1E_jjS1G_bEUljE0_EEESZ_S10_S11_S18_S1C_S1E_T6_T7_T9_mT8_S1G_bDpT10_ENKUlT_T0_E_clISt17integral_constantIbLb1EES1U_EEDaS1P_S1Q_EUlS1P_E_NS1_11comp_targetILNS1_3genE2ELNS1_11target_archE906ELNS1_3gpuE6ELNS1_3repE0EEENS1_30default_config_static_selectorELNS0_4arch9wavefront6targetE0EEEvS12_,comdat
.Lfunc_end134:
	.size	_ZN7rocprim17ROCPRIM_400000_NS6detail17trampoline_kernelINS0_13select_configILj256ELj13ELNS0_17block_load_methodE3ELS4_3ELS4_3ELNS0_20block_scan_algorithmE0ELj4294967295EEENS1_25partition_config_selectorILNS1_17partition_subalgoE4EjNS0_10empty_typeEbEEZZNS1_14partition_implILS8_4ELb0ES6_15HIP_vector_typeIjLj2EENS0_17counting_iteratorIjlEEPS9_SG_NS0_5tupleIJPjSI_NS0_16reverse_iteratorISI_EEEEENSH_IJSG_SG_SG_EEES9_SI_JZNS1_25segmented_radix_sort_implINS0_14default_configELb0EPKhPhPKlPlN2at6native12_GLOBAL__N_18offset_tEEE10hipError_tPvRmT1_PNSt15iterator_traitsIS12_E10value_typeET2_T3_PNS13_IS18_E10value_typeET4_jRbjT5_S1E_jjP12ihipStream_tbEUljE_ZNSN_ISO_Lb0ESQ_SR_ST_SU_SY_EESZ_S10_S11_S12_S16_S17_S18_S1B_S1C_jS1D_jS1E_S1E_jjS1G_bEUljE0_EEESZ_S10_S11_S18_S1C_S1E_T6_T7_T9_mT8_S1G_bDpT10_ENKUlT_T0_E_clISt17integral_constantIbLb1EES1U_EEDaS1P_S1Q_EUlS1P_E_NS1_11comp_targetILNS1_3genE2ELNS1_11target_archE906ELNS1_3gpuE6ELNS1_3repE0EEENS1_30default_config_static_selectorELNS0_4arch9wavefront6targetE0EEEvS12_, .Lfunc_end134-_ZN7rocprim17ROCPRIM_400000_NS6detail17trampoline_kernelINS0_13select_configILj256ELj13ELNS0_17block_load_methodE3ELS4_3ELS4_3ELNS0_20block_scan_algorithmE0ELj4294967295EEENS1_25partition_config_selectorILNS1_17partition_subalgoE4EjNS0_10empty_typeEbEEZZNS1_14partition_implILS8_4ELb0ES6_15HIP_vector_typeIjLj2EENS0_17counting_iteratorIjlEEPS9_SG_NS0_5tupleIJPjSI_NS0_16reverse_iteratorISI_EEEEENSH_IJSG_SG_SG_EEES9_SI_JZNS1_25segmented_radix_sort_implINS0_14default_configELb0EPKhPhPKlPlN2at6native12_GLOBAL__N_18offset_tEEE10hipError_tPvRmT1_PNSt15iterator_traitsIS12_E10value_typeET2_T3_PNS13_IS18_E10value_typeET4_jRbjT5_S1E_jjP12ihipStream_tbEUljE_ZNSN_ISO_Lb0ESQ_SR_ST_SU_SY_EESZ_S10_S11_S12_S16_S17_S18_S1B_S1C_jS1D_jS1E_S1E_jjS1G_bEUljE0_EEESZ_S10_S11_S18_S1C_S1E_T6_T7_T9_mT8_S1G_bDpT10_ENKUlT_T0_E_clISt17integral_constantIbLb1EES1U_EEDaS1P_S1Q_EUlS1P_E_NS1_11comp_targetILNS1_3genE2ELNS1_11target_archE906ELNS1_3gpuE6ELNS1_3repE0EEENS1_30default_config_static_selectorELNS0_4arch9wavefront6targetE0EEEvS12_
                                        ; -- End function
	.set _ZN7rocprim17ROCPRIM_400000_NS6detail17trampoline_kernelINS0_13select_configILj256ELj13ELNS0_17block_load_methodE3ELS4_3ELS4_3ELNS0_20block_scan_algorithmE0ELj4294967295EEENS1_25partition_config_selectorILNS1_17partition_subalgoE4EjNS0_10empty_typeEbEEZZNS1_14partition_implILS8_4ELb0ES6_15HIP_vector_typeIjLj2EENS0_17counting_iteratorIjlEEPS9_SG_NS0_5tupleIJPjSI_NS0_16reverse_iteratorISI_EEEEENSH_IJSG_SG_SG_EEES9_SI_JZNS1_25segmented_radix_sort_implINS0_14default_configELb0EPKhPhPKlPlN2at6native12_GLOBAL__N_18offset_tEEE10hipError_tPvRmT1_PNSt15iterator_traitsIS12_E10value_typeET2_T3_PNS13_IS18_E10value_typeET4_jRbjT5_S1E_jjP12ihipStream_tbEUljE_ZNSN_ISO_Lb0ESQ_SR_ST_SU_SY_EESZ_S10_S11_S12_S16_S17_S18_S1B_S1C_jS1D_jS1E_S1E_jjS1G_bEUljE0_EEESZ_S10_S11_S18_S1C_S1E_T6_T7_T9_mT8_S1G_bDpT10_ENKUlT_T0_E_clISt17integral_constantIbLb1EES1U_EEDaS1P_S1Q_EUlS1P_E_NS1_11comp_targetILNS1_3genE2ELNS1_11target_archE906ELNS1_3gpuE6ELNS1_3repE0EEENS1_30default_config_static_selectorELNS0_4arch9wavefront6targetE0EEEvS12_.num_vgpr, 0
	.set _ZN7rocprim17ROCPRIM_400000_NS6detail17trampoline_kernelINS0_13select_configILj256ELj13ELNS0_17block_load_methodE3ELS4_3ELS4_3ELNS0_20block_scan_algorithmE0ELj4294967295EEENS1_25partition_config_selectorILNS1_17partition_subalgoE4EjNS0_10empty_typeEbEEZZNS1_14partition_implILS8_4ELb0ES6_15HIP_vector_typeIjLj2EENS0_17counting_iteratorIjlEEPS9_SG_NS0_5tupleIJPjSI_NS0_16reverse_iteratorISI_EEEEENSH_IJSG_SG_SG_EEES9_SI_JZNS1_25segmented_radix_sort_implINS0_14default_configELb0EPKhPhPKlPlN2at6native12_GLOBAL__N_18offset_tEEE10hipError_tPvRmT1_PNSt15iterator_traitsIS12_E10value_typeET2_T3_PNS13_IS18_E10value_typeET4_jRbjT5_S1E_jjP12ihipStream_tbEUljE_ZNSN_ISO_Lb0ESQ_SR_ST_SU_SY_EESZ_S10_S11_S12_S16_S17_S18_S1B_S1C_jS1D_jS1E_S1E_jjS1G_bEUljE0_EEESZ_S10_S11_S18_S1C_S1E_T6_T7_T9_mT8_S1G_bDpT10_ENKUlT_T0_E_clISt17integral_constantIbLb1EES1U_EEDaS1P_S1Q_EUlS1P_E_NS1_11comp_targetILNS1_3genE2ELNS1_11target_archE906ELNS1_3gpuE6ELNS1_3repE0EEENS1_30default_config_static_selectorELNS0_4arch9wavefront6targetE0EEEvS12_.num_agpr, 0
	.set _ZN7rocprim17ROCPRIM_400000_NS6detail17trampoline_kernelINS0_13select_configILj256ELj13ELNS0_17block_load_methodE3ELS4_3ELS4_3ELNS0_20block_scan_algorithmE0ELj4294967295EEENS1_25partition_config_selectorILNS1_17partition_subalgoE4EjNS0_10empty_typeEbEEZZNS1_14partition_implILS8_4ELb0ES6_15HIP_vector_typeIjLj2EENS0_17counting_iteratorIjlEEPS9_SG_NS0_5tupleIJPjSI_NS0_16reverse_iteratorISI_EEEEENSH_IJSG_SG_SG_EEES9_SI_JZNS1_25segmented_radix_sort_implINS0_14default_configELb0EPKhPhPKlPlN2at6native12_GLOBAL__N_18offset_tEEE10hipError_tPvRmT1_PNSt15iterator_traitsIS12_E10value_typeET2_T3_PNS13_IS18_E10value_typeET4_jRbjT5_S1E_jjP12ihipStream_tbEUljE_ZNSN_ISO_Lb0ESQ_SR_ST_SU_SY_EESZ_S10_S11_S12_S16_S17_S18_S1B_S1C_jS1D_jS1E_S1E_jjS1G_bEUljE0_EEESZ_S10_S11_S18_S1C_S1E_T6_T7_T9_mT8_S1G_bDpT10_ENKUlT_T0_E_clISt17integral_constantIbLb1EES1U_EEDaS1P_S1Q_EUlS1P_E_NS1_11comp_targetILNS1_3genE2ELNS1_11target_archE906ELNS1_3gpuE6ELNS1_3repE0EEENS1_30default_config_static_selectorELNS0_4arch9wavefront6targetE0EEEvS12_.numbered_sgpr, 0
	.set _ZN7rocprim17ROCPRIM_400000_NS6detail17trampoline_kernelINS0_13select_configILj256ELj13ELNS0_17block_load_methodE3ELS4_3ELS4_3ELNS0_20block_scan_algorithmE0ELj4294967295EEENS1_25partition_config_selectorILNS1_17partition_subalgoE4EjNS0_10empty_typeEbEEZZNS1_14partition_implILS8_4ELb0ES6_15HIP_vector_typeIjLj2EENS0_17counting_iteratorIjlEEPS9_SG_NS0_5tupleIJPjSI_NS0_16reverse_iteratorISI_EEEEENSH_IJSG_SG_SG_EEES9_SI_JZNS1_25segmented_radix_sort_implINS0_14default_configELb0EPKhPhPKlPlN2at6native12_GLOBAL__N_18offset_tEEE10hipError_tPvRmT1_PNSt15iterator_traitsIS12_E10value_typeET2_T3_PNS13_IS18_E10value_typeET4_jRbjT5_S1E_jjP12ihipStream_tbEUljE_ZNSN_ISO_Lb0ESQ_SR_ST_SU_SY_EESZ_S10_S11_S12_S16_S17_S18_S1B_S1C_jS1D_jS1E_S1E_jjS1G_bEUljE0_EEESZ_S10_S11_S18_S1C_S1E_T6_T7_T9_mT8_S1G_bDpT10_ENKUlT_T0_E_clISt17integral_constantIbLb1EES1U_EEDaS1P_S1Q_EUlS1P_E_NS1_11comp_targetILNS1_3genE2ELNS1_11target_archE906ELNS1_3gpuE6ELNS1_3repE0EEENS1_30default_config_static_selectorELNS0_4arch9wavefront6targetE0EEEvS12_.num_named_barrier, 0
	.set _ZN7rocprim17ROCPRIM_400000_NS6detail17trampoline_kernelINS0_13select_configILj256ELj13ELNS0_17block_load_methodE3ELS4_3ELS4_3ELNS0_20block_scan_algorithmE0ELj4294967295EEENS1_25partition_config_selectorILNS1_17partition_subalgoE4EjNS0_10empty_typeEbEEZZNS1_14partition_implILS8_4ELb0ES6_15HIP_vector_typeIjLj2EENS0_17counting_iteratorIjlEEPS9_SG_NS0_5tupleIJPjSI_NS0_16reverse_iteratorISI_EEEEENSH_IJSG_SG_SG_EEES9_SI_JZNS1_25segmented_radix_sort_implINS0_14default_configELb0EPKhPhPKlPlN2at6native12_GLOBAL__N_18offset_tEEE10hipError_tPvRmT1_PNSt15iterator_traitsIS12_E10value_typeET2_T3_PNS13_IS18_E10value_typeET4_jRbjT5_S1E_jjP12ihipStream_tbEUljE_ZNSN_ISO_Lb0ESQ_SR_ST_SU_SY_EESZ_S10_S11_S12_S16_S17_S18_S1B_S1C_jS1D_jS1E_S1E_jjS1G_bEUljE0_EEESZ_S10_S11_S18_S1C_S1E_T6_T7_T9_mT8_S1G_bDpT10_ENKUlT_T0_E_clISt17integral_constantIbLb1EES1U_EEDaS1P_S1Q_EUlS1P_E_NS1_11comp_targetILNS1_3genE2ELNS1_11target_archE906ELNS1_3gpuE6ELNS1_3repE0EEENS1_30default_config_static_selectorELNS0_4arch9wavefront6targetE0EEEvS12_.private_seg_size, 0
	.set _ZN7rocprim17ROCPRIM_400000_NS6detail17trampoline_kernelINS0_13select_configILj256ELj13ELNS0_17block_load_methodE3ELS4_3ELS4_3ELNS0_20block_scan_algorithmE0ELj4294967295EEENS1_25partition_config_selectorILNS1_17partition_subalgoE4EjNS0_10empty_typeEbEEZZNS1_14partition_implILS8_4ELb0ES6_15HIP_vector_typeIjLj2EENS0_17counting_iteratorIjlEEPS9_SG_NS0_5tupleIJPjSI_NS0_16reverse_iteratorISI_EEEEENSH_IJSG_SG_SG_EEES9_SI_JZNS1_25segmented_radix_sort_implINS0_14default_configELb0EPKhPhPKlPlN2at6native12_GLOBAL__N_18offset_tEEE10hipError_tPvRmT1_PNSt15iterator_traitsIS12_E10value_typeET2_T3_PNS13_IS18_E10value_typeET4_jRbjT5_S1E_jjP12ihipStream_tbEUljE_ZNSN_ISO_Lb0ESQ_SR_ST_SU_SY_EESZ_S10_S11_S12_S16_S17_S18_S1B_S1C_jS1D_jS1E_S1E_jjS1G_bEUljE0_EEESZ_S10_S11_S18_S1C_S1E_T6_T7_T9_mT8_S1G_bDpT10_ENKUlT_T0_E_clISt17integral_constantIbLb1EES1U_EEDaS1P_S1Q_EUlS1P_E_NS1_11comp_targetILNS1_3genE2ELNS1_11target_archE906ELNS1_3gpuE6ELNS1_3repE0EEENS1_30default_config_static_selectorELNS0_4arch9wavefront6targetE0EEEvS12_.uses_vcc, 0
	.set _ZN7rocprim17ROCPRIM_400000_NS6detail17trampoline_kernelINS0_13select_configILj256ELj13ELNS0_17block_load_methodE3ELS4_3ELS4_3ELNS0_20block_scan_algorithmE0ELj4294967295EEENS1_25partition_config_selectorILNS1_17partition_subalgoE4EjNS0_10empty_typeEbEEZZNS1_14partition_implILS8_4ELb0ES6_15HIP_vector_typeIjLj2EENS0_17counting_iteratorIjlEEPS9_SG_NS0_5tupleIJPjSI_NS0_16reverse_iteratorISI_EEEEENSH_IJSG_SG_SG_EEES9_SI_JZNS1_25segmented_radix_sort_implINS0_14default_configELb0EPKhPhPKlPlN2at6native12_GLOBAL__N_18offset_tEEE10hipError_tPvRmT1_PNSt15iterator_traitsIS12_E10value_typeET2_T3_PNS13_IS18_E10value_typeET4_jRbjT5_S1E_jjP12ihipStream_tbEUljE_ZNSN_ISO_Lb0ESQ_SR_ST_SU_SY_EESZ_S10_S11_S12_S16_S17_S18_S1B_S1C_jS1D_jS1E_S1E_jjS1G_bEUljE0_EEESZ_S10_S11_S18_S1C_S1E_T6_T7_T9_mT8_S1G_bDpT10_ENKUlT_T0_E_clISt17integral_constantIbLb1EES1U_EEDaS1P_S1Q_EUlS1P_E_NS1_11comp_targetILNS1_3genE2ELNS1_11target_archE906ELNS1_3gpuE6ELNS1_3repE0EEENS1_30default_config_static_selectorELNS0_4arch9wavefront6targetE0EEEvS12_.uses_flat_scratch, 0
	.set _ZN7rocprim17ROCPRIM_400000_NS6detail17trampoline_kernelINS0_13select_configILj256ELj13ELNS0_17block_load_methodE3ELS4_3ELS4_3ELNS0_20block_scan_algorithmE0ELj4294967295EEENS1_25partition_config_selectorILNS1_17partition_subalgoE4EjNS0_10empty_typeEbEEZZNS1_14partition_implILS8_4ELb0ES6_15HIP_vector_typeIjLj2EENS0_17counting_iteratorIjlEEPS9_SG_NS0_5tupleIJPjSI_NS0_16reverse_iteratorISI_EEEEENSH_IJSG_SG_SG_EEES9_SI_JZNS1_25segmented_radix_sort_implINS0_14default_configELb0EPKhPhPKlPlN2at6native12_GLOBAL__N_18offset_tEEE10hipError_tPvRmT1_PNSt15iterator_traitsIS12_E10value_typeET2_T3_PNS13_IS18_E10value_typeET4_jRbjT5_S1E_jjP12ihipStream_tbEUljE_ZNSN_ISO_Lb0ESQ_SR_ST_SU_SY_EESZ_S10_S11_S12_S16_S17_S18_S1B_S1C_jS1D_jS1E_S1E_jjS1G_bEUljE0_EEESZ_S10_S11_S18_S1C_S1E_T6_T7_T9_mT8_S1G_bDpT10_ENKUlT_T0_E_clISt17integral_constantIbLb1EES1U_EEDaS1P_S1Q_EUlS1P_E_NS1_11comp_targetILNS1_3genE2ELNS1_11target_archE906ELNS1_3gpuE6ELNS1_3repE0EEENS1_30default_config_static_selectorELNS0_4arch9wavefront6targetE0EEEvS12_.has_dyn_sized_stack, 0
	.set _ZN7rocprim17ROCPRIM_400000_NS6detail17trampoline_kernelINS0_13select_configILj256ELj13ELNS0_17block_load_methodE3ELS4_3ELS4_3ELNS0_20block_scan_algorithmE0ELj4294967295EEENS1_25partition_config_selectorILNS1_17partition_subalgoE4EjNS0_10empty_typeEbEEZZNS1_14partition_implILS8_4ELb0ES6_15HIP_vector_typeIjLj2EENS0_17counting_iteratorIjlEEPS9_SG_NS0_5tupleIJPjSI_NS0_16reverse_iteratorISI_EEEEENSH_IJSG_SG_SG_EEES9_SI_JZNS1_25segmented_radix_sort_implINS0_14default_configELb0EPKhPhPKlPlN2at6native12_GLOBAL__N_18offset_tEEE10hipError_tPvRmT1_PNSt15iterator_traitsIS12_E10value_typeET2_T3_PNS13_IS18_E10value_typeET4_jRbjT5_S1E_jjP12ihipStream_tbEUljE_ZNSN_ISO_Lb0ESQ_SR_ST_SU_SY_EESZ_S10_S11_S12_S16_S17_S18_S1B_S1C_jS1D_jS1E_S1E_jjS1G_bEUljE0_EEESZ_S10_S11_S18_S1C_S1E_T6_T7_T9_mT8_S1G_bDpT10_ENKUlT_T0_E_clISt17integral_constantIbLb1EES1U_EEDaS1P_S1Q_EUlS1P_E_NS1_11comp_targetILNS1_3genE2ELNS1_11target_archE906ELNS1_3gpuE6ELNS1_3repE0EEENS1_30default_config_static_selectorELNS0_4arch9wavefront6targetE0EEEvS12_.has_recursion, 0
	.set _ZN7rocprim17ROCPRIM_400000_NS6detail17trampoline_kernelINS0_13select_configILj256ELj13ELNS0_17block_load_methodE3ELS4_3ELS4_3ELNS0_20block_scan_algorithmE0ELj4294967295EEENS1_25partition_config_selectorILNS1_17partition_subalgoE4EjNS0_10empty_typeEbEEZZNS1_14partition_implILS8_4ELb0ES6_15HIP_vector_typeIjLj2EENS0_17counting_iteratorIjlEEPS9_SG_NS0_5tupleIJPjSI_NS0_16reverse_iteratorISI_EEEEENSH_IJSG_SG_SG_EEES9_SI_JZNS1_25segmented_radix_sort_implINS0_14default_configELb0EPKhPhPKlPlN2at6native12_GLOBAL__N_18offset_tEEE10hipError_tPvRmT1_PNSt15iterator_traitsIS12_E10value_typeET2_T3_PNS13_IS18_E10value_typeET4_jRbjT5_S1E_jjP12ihipStream_tbEUljE_ZNSN_ISO_Lb0ESQ_SR_ST_SU_SY_EESZ_S10_S11_S12_S16_S17_S18_S1B_S1C_jS1D_jS1E_S1E_jjS1G_bEUljE0_EEESZ_S10_S11_S18_S1C_S1E_T6_T7_T9_mT8_S1G_bDpT10_ENKUlT_T0_E_clISt17integral_constantIbLb1EES1U_EEDaS1P_S1Q_EUlS1P_E_NS1_11comp_targetILNS1_3genE2ELNS1_11target_archE906ELNS1_3gpuE6ELNS1_3repE0EEENS1_30default_config_static_selectorELNS0_4arch9wavefront6targetE0EEEvS12_.has_indirect_call, 0
	.section	.AMDGPU.csdata,"",@progbits
; Kernel info:
; codeLenInByte = 0
; TotalNumSgprs: 0
; NumVgprs: 0
; ScratchSize: 0
; MemoryBound: 0
; FloatMode: 240
; IeeeMode: 1
; LDSByteSize: 0 bytes/workgroup (compile time only)
; SGPRBlocks: 0
; VGPRBlocks: 0
; NumSGPRsForWavesPerEU: 1
; NumVGPRsForWavesPerEU: 1
; Occupancy: 16
; WaveLimiterHint : 0
; COMPUTE_PGM_RSRC2:SCRATCH_EN: 0
; COMPUTE_PGM_RSRC2:USER_SGPR: 2
; COMPUTE_PGM_RSRC2:TRAP_HANDLER: 0
; COMPUTE_PGM_RSRC2:TGID_X_EN: 1
; COMPUTE_PGM_RSRC2:TGID_Y_EN: 0
; COMPUTE_PGM_RSRC2:TGID_Z_EN: 0
; COMPUTE_PGM_RSRC2:TIDIG_COMP_CNT: 0
	.section	.text._ZN7rocprim17ROCPRIM_400000_NS6detail17trampoline_kernelINS0_13select_configILj256ELj13ELNS0_17block_load_methodE3ELS4_3ELS4_3ELNS0_20block_scan_algorithmE0ELj4294967295EEENS1_25partition_config_selectorILNS1_17partition_subalgoE4EjNS0_10empty_typeEbEEZZNS1_14partition_implILS8_4ELb0ES6_15HIP_vector_typeIjLj2EENS0_17counting_iteratorIjlEEPS9_SG_NS0_5tupleIJPjSI_NS0_16reverse_iteratorISI_EEEEENSH_IJSG_SG_SG_EEES9_SI_JZNS1_25segmented_radix_sort_implINS0_14default_configELb0EPKhPhPKlPlN2at6native12_GLOBAL__N_18offset_tEEE10hipError_tPvRmT1_PNSt15iterator_traitsIS12_E10value_typeET2_T3_PNS13_IS18_E10value_typeET4_jRbjT5_S1E_jjP12ihipStream_tbEUljE_ZNSN_ISO_Lb0ESQ_SR_ST_SU_SY_EESZ_S10_S11_S12_S16_S17_S18_S1B_S1C_jS1D_jS1E_S1E_jjS1G_bEUljE0_EEESZ_S10_S11_S18_S1C_S1E_T6_T7_T9_mT8_S1G_bDpT10_ENKUlT_T0_E_clISt17integral_constantIbLb1EES1U_EEDaS1P_S1Q_EUlS1P_E_NS1_11comp_targetILNS1_3genE10ELNS1_11target_archE1200ELNS1_3gpuE4ELNS1_3repE0EEENS1_30default_config_static_selectorELNS0_4arch9wavefront6targetE0EEEvS12_,"axG",@progbits,_ZN7rocprim17ROCPRIM_400000_NS6detail17trampoline_kernelINS0_13select_configILj256ELj13ELNS0_17block_load_methodE3ELS4_3ELS4_3ELNS0_20block_scan_algorithmE0ELj4294967295EEENS1_25partition_config_selectorILNS1_17partition_subalgoE4EjNS0_10empty_typeEbEEZZNS1_14partition_implILS8_4ELb0ES6_15HIP_vector_typeIjLj2EENS0_17counting_iteratorIjlEEPS9_SG_NS0_5tupleIJPjSI_NS0_16reverse_iteratorISI_EEEEENSH_IJSG_SG_SG_EEES9_SI_JZNS1_25segmented_radix_sort_implINS0_14default_configELb0EPKhPhPKlPlN2at6native12_GLOBAL__N_18offset_tEEE10hipError_tPvRmT1_PNSt15iterator_traitsIS12_E10value_typeET2_T3_PNS13_IS18_E10value_typeET4_jRbjT5_S1E_jjP12ihipStream_tbEUljE_ZNSN_ISO_Lb0ESQ_SR_ST_SU_SY_EESZ_S10_S11_S12_S16_S17_S18_S1B_S1C_jS1D_jS1E_S1E_jjS1G_bEUljE0_EEESZ_S10_S11_S18_S1C_S1E_T6_T7_T9_mT8_S1G_bDpT10_ENKUlT_T0_E_clISt17integral_constantIbLb1EES1U_EEDaS1P_S1Q_EUlS1P_E_NS1_11comp_targetILNS1_3genE10ELNS1_11target_archE1200ELNS1_3gpuE4ELNS1_3repE0EEENS1_30default_config_static_selectorELNS0_4arch9wavefront6targetE0EEEvS12_,comdat
	.globl	_ZN7rocprim17ROCPRIM_400000_NS6detail17trampoline_kernelINS0_13select_configILj256ELj13ELNS0_17block_load_methodE3ELS4_3ELS4_3ELNS0_20block_scan_algorithmE0ELj4294967295EEENS1_25partition_config_selectorILNS1_17partition_subalgoE4EjNS0_10empty_typeEbEEZZNS1_14partition_implILS8_4ELb0ES6_15HIP_vector_typeIjLj2EENS0_17counting_iteratorIjlEEPS9_SG_NS0_5tupleIJPjSI_NS0_16reverse_iteratorISI_EEEEENSH_IJSG_SG_SG_EEES9_SI_JZNS1_25segmented_radix_sort_implINS0_14default_configELb0EPKhPhPKlPlN2at6native12_GLOBAL__N_18offset_tEEE10hipError_tPvRmT1_PNSt15iterator_traitsIS12_E10value_typeET2_T3_PNS13_IS18_E10value_typeET4_jRbjT5_S1E_jjP12ihipStream_tbEUljE_ZNSN_ISO_Lb0ESQ_SR_ST_SU_SY_EESZ_S10_S11_S12_S16_S17_S18_S1B_S1C_jS1D_jS1E_S1E_jjS1G_bEUljE0_EEESZ_S10_S11_S18_S1C_S1E_T6_T7_T9_mT8_S1G_bDpT10_ENKUlT_T0_E_clISt17integral_constantIbLb1EES1U_EEDaS1P_S1Q_EUlS1P_E_NS1_11comp_targetILNS1_3genE10ELNS1_11target_archE1200ELNS1_3gpuE4ELNS1_3repE0EEENS1_30default_config_static_selectorELNS0_4arch9wavefront6targetE0EEEvS12_ ; -- Begin function _ZN7rocprim17ROCPRIM_400000_NS6detail17trampoline_kernelINS0_13select_configILj256ELj13ELNS0_17block_load_methodE3ELS4_3ELS4_3ELNS0_20block_scan_algorithmE0ELj4294967295EEENS1_25partition_config_selectorILNS1_17partition_subalgoE4EjNS0_10empty_typeEbEEZZNS1_14partition_implILS8_4ELb0ES6_15HIP_vector_typeIjLj2EENS0_17counting_iteratorIjlEEPS9_SG_NS0_5tupleIJPjSI_NS0_16reverse_iteratorISI_EEEEENSH_IJSG_SG_SG_EEES9_SI_JZNS1_25segmented_radix_sort_implINS0_14default_configELb0EPKhPhPKlPlN2at6native12_GLOBAL__N_18offset_tEEE10hipError_tPvRmT1_PNSt15iterator_traitsIS12_E10value_typeET2_T3_PNS13_IS18_E10value_typeET4_jRbjT5_S1E_jjP12ihipStream_tbEUljE_ZNSN_ISO_Lb0ESQ_SR_ST_SU_SY_EESZ_S10_S11_S12_S16_S17_S18_S1B_S1C_jS1D_jS1E_S1E_jjS1G_bEUljE0_EEESZ_S10_S11_S18_S1C_S1E_T6_T7_T9_mT8_S1G_bDpT10_ENKUlT_T0_E_clISt17integral_constantIbLb1EES1U_EEDaS1P_S1Q_EUlS1P_E_NS1_11comp_targetILNS1_3genE10ELNS1_11target_archE1200ELNS1_3gpuE4ELNS1_3repE0EEENS1_30default_config_static_selectorELNS0_4arch9wavefront6targetE0EEEvS12_
	.p2align	8
	.type	_ZN7rocprim17ROCPRIM_400000_NS6detail17trampoline_kernelINS0_13select_configILj256ELj13ELNS0_17block_load_methodE3ELS4_3ELS4_3ELNS0_20block_scan_algorithmE0ELj4294967295EEENS1_25partition_config_selectorILNS1_17partition_subalgoE4EjNS0_10empty_typeEbEEZZNS1_14partition_implILS8_4ELb0ES6_15HIP_vector_typeIjLj2EENS0_17counting_iteratorIjlEEPS9_SG_NS0_5tupleIJPjSI_NS0_16reverse_iteratorISI_EEEEENSH_IJSG_SG_SG_EEES9_SI_JZNS1_25segmented_radix_sort_implINS0_14default_configELb0EPKhPhPKlPlN2at6native12_GLOBAL__N_18offset_tEEE10hipError_tPvRmT1_PNSt15iterator_traitsIS12_E10value_typeET2_T3_PNS13_IS18_E10value_typeET4_jRbjT5_S1E_jjP12ihipStream_tbEUljE_ZNSN_ISO_Lb0ESQ_SR_ST_SU_SY_EESZ_S10_S11_S12_S16_S17_S18_S1B_S1C_jS1D_jS1E_S1E_jjS1G_bEUljE0_EEESZ_S10_S11_S18_S1C_S1E_T6_T7_T9_mT8_S1G_bDpT10_ENKUlT_T0_E_clISt17integral_constantIbLb1EES1U_EEDaS1P_S1Q_EUlS1P_E_NS1_11comp_targetILNS1_3genE10ELNS1_11target_archE1200ELNS1_3gpuE4ELNS1_3repE0EEENS1_30default_config_static_selectorELNS0_4arch9wavefront6targetE0EEEvS12_,@function
_ZN7rocprim17ROCPRIM_400000_NS6detail17trampoline_kernelINS0_13select_configILj256ELj13ELNS0_17block_load_methodE3ELS4_3ELS4_3ELNS0_20block_scan_algorithmE0ELj4294967295EEENS1_25partition_config_selectorILNS1_17partition_subalgoE4EjNS0_10empty_typeEbEEZZNS1_14partition_implILS8_4ELb0ES6_15HIP_vector_typeIjLj2EENS0_17counting_iteratorIjlEEPS9_SG_NS0_5tupleIJPjSI_NS0_16reverse_iteratorISI_EEEEENSH_IJSG_SG_SG_EEES9_SI_JZNS1_25segmented_radix_sort_implINS0_14default_configELb0EPKhPhPKlPlN2at6native12_GLOBAL__N_18offset_tEEE10hipError_tPvRmT1_PNSt15iterator_traitsIS12_E10value_typeET2_T3_PNS13_IS18_E10value_typeET4_jRbjT5_S1E_jjP12ihipStream_tbEUljE_ZNSN_ISO_Lb0ESQ_SR_ST_SU_SY_EESZ_S10_S11_S12_S16_S17_S18_S1B_S1C_jS1D_jS1E_S1E_jjS1G_bEUljE0_EEESZ_S10_S11_S18_S1C_S1E_T6_T7_T9_mT8_S1G_bDpT10_ENKUlT_T0_E_clISt17integral_constantIbLb1EES1U_EEDaS1P_S1Q_EUlS1P_E_NS1_11comp_targetILNS1_3genE10ELNS1_11target_archE1200ELNS1_3gpuE4ELNS1_3repE0EEENS1_30default_config_static_selectorELNS0_4arch9wavefront6targetE0EEEvS12_: ; @_ZN7rocprim17ROCPRIM_400000_NS6detail17trampoline_kernelINS0_13select_configILj256ELj13ELNS0_17block_load_methodE3ELS4_3ELS4_3ELNS0_20block_scan_algorithmE0ELj4294967295EEENS1_25partition_config_selectorILNS1_17partition_subalgoE4EjNS0_10empty_typeEbEEZZNS1_14partition_implILS8_4ELb0ES6_15HIP_vector_typeIjLj2EENS0_17counting_iteratorIjlEEPS9_SG_NS0_5tupleIJPjSI_NS0_16reverse_iteratorISI_EEEEENSH_IJSG_SG_SG_EEES9_SI_JZNS1_25segmented_radix_sort_implINS0_14default_configELb0EPKhPhPKlPlN2at6native12_GLOBAL__N_18offset_tEEE10hipError_tPvRmT1_PNSt15iterator_traitsIS12_E10value_typeET2_T3_PNS13_IS18_E10value_typeET4_jRbjT5_S1E_jjP12ihipStream_tbEUljE_ZNSN_ISO_Lb0ESQ_SR_ST_SU_SY_EESZ_S10_S11_S12_S16_S17_S18_S1B_S1C_jS1D_jS1E_S1E_jjS1G_bEUljE0_EEESZ_S10_S11_S18_S1C_S1E_T6_T7_T9_mT8_S1G_bDpT10_ENKUlT_T0_E_clISt17integral_constantIbLb1EES1U_EEDaS1P_S1Q_EUlS1P_E_NS1_11comp_targetILNS1_3genE10ELNS1_11target_archE1200ELNS1_3gpuE4ELNS1_3repE0EEENS1_30default_config_static_selectorELNS0_4arch9wavefront6targetE0EEEvS12_
; %bb.0:
	s_endpgm
	.section	.rodata,"a",@progbits
	.p2align	6, 0x0
	.amdhsa_kernel _ZN7rocprim17ROCPRIM_400000_NS6detail17trampoline_kernelINS0_13select_configILj256ELj13ELNS0_17block_load_methodE3ELS4_3ELS4_3ELNS0_20block_scan_algorithmE0ELj4294967295EEENS1_25partition_config_selectorILNS1_17partition_subalgoE4EjNS0_10empty_typeEbEEZZNS1_14partition_implILS8_4ELb0ES6_15HIP_vector_typeIjLj2EENS0_17counting_iteratorIjlEEPS9_SG_NS0_5tupleIJPjSI_NS0_16reverse_iteratorISI_EEEEENSH_IJSG_SG_SG_EEES9_SI_JZNS1_25segmented_radix_sort_implINS0_14default_configELb0EPKhPhPKlPlN2at6native12_GLOBAL__N_18offset_tEEE10hipError_tPvRmT1_PNSt15iterator_traitsIS12_E10value_typeET2_T3_PNS13_IS18_E10value_typeET4_jRbjT5_S1E_jjP12ihipStream_tbEUljE_ZNSN_ISO_Lb0ESQ_SR_ST_SU_SY_EESZ_S10_S11_S12_S16_S17_S18_S1B_S1C_jS1D_jS1E_S1E_jjS1G_bEUljE0_EEESZ_S10_S11_S18_S1C_S1E_T6_T7_T9_mT8_S1G_bDpT10_ENKUlT_T0_E_clISt17integral_constantIbLb1EES1U_EEDaS1P_S1Q_EUlS1P_E_NS1_11comp_targetILNS1_3genE10ELNS1_11target_archE1200ELNS1_3gpuE4ELNS1_3repE0EEENS1_30default_config_static_selectorELNS0_4arch9wavefront6targetE0EEEvS12_
		.amdhsa_group_segment_fixed_size 0
		.amdhsa_private_segment_fixed_size 0
		.amdhsa_kernarg_size 184
		.amdhsa_user_sgpr_count 2
		.amdhsa_user_sgpr_dispatch_ptr 0
		.amdhsa_user_sgpr_queue_ptr 0
		.amdhsa_user_sgpr_kernarg_segment_ptr 1
		.amdhsa_user_sgpr_dispatch_id 0
		.amdhsa_user_sgpr_private_segment_size 0
		.amdhsa_wavefront_size32 1
		.amdhsa_uses_dynamic_stack 0
		.amdhsa_enable_private_segment 0
		.amdhsa_system_sgpr_workgroup_id_x 1
		.amdhsa_system_sgpr_workgroup_id_y 0
		.amdhsa_system_sgpr_workgroup_id_z 0
		.amdhsa_system_sgpr_workgroup_info 0
		.amdhsa_system_vgpr_workitem_id 0
		.amdhsa_next_free_vgpr 1
		.amdhsa_next_free_sgpr 1
		.amdhsa_reserve_vcc 0
		.amdhsa_float_round_mode_32 0
		.amdhsa_float_round_mode_16_64 0
		.amdhsa_float_denorm_mode_32 3
		.amdhsa_float_denorm_mode_16_64 3
		.amdhsa_fp16_overflow 0
		.amdhsa_workgroup_processor_mode 1
		.amdhsa_memory_ordered 1
		.amdhsa_forward_progress 1
		.amdhsa_inst_pref_size 1
		.amdhsa_round_robin_scheduling 0
		.amdhsa_exception_fp_ieee_invalid_op 0
		.amdhsa_exception_fp_denorm_src 0
		.amdhsa_exception_fp_ieee_div_zero 0
		.amdhsa_exception_fp_ieee_overflow 0
		.amdhsa_exception_fp_ieee_underflow 0
		.amdhsa_exception_fp_ieee_inexact 0
		.amdhsa_exception_int_div_zero 0
	.end_amdhsa_kernel
	.section	.text._ZN7rocprim17ROCPRIM_400000_NS6detail17trampoline_kernelINS0_13select_configILj256ELj13ELNS0_17block_load_methodE3ELS4_3ELS4_3ELNS0_20block_scan_algorithmE0ELj4294967295EEENS1_25partition_config_selectorILNS1_17partition_subalgoE4EjNS0_10empty_typeEbEEZZNS1_14partition_implILS8_4ELb0ES6_15HIP_vector_typeIjLj2EENS0_17counting_iteratorIjlEEPS9_SG_NS0_5tupleIJPjSI_NS0_16reverse_iteratorISI_EEEEENSH_IJSG_SG_SG_EEES9_SI_JZNS1_25segmented_radix_sort_implINS0_14default_configELb0EPKhPhPKlPlN2at6native12_GLOBAL__N_18offset_tEEE10hipError_tPvRmT1_PNSt15iterator_traitsIS12_E10value_typeET2_T3_PNS13_IS18_E10value_typeET4_jRbjT5_S1E_jjP12ihipStream_tbEUljE_ZNSN_ISO_Lb0ESQ_SR_ST_SU_SY_EESZ_S10_S11_S12_S16_S17_S18_S1B_S1C_jS1D_jS1E_S1E_jjS1G_bEUljE0_EEESZ_S10_S11_S18_S1C_S1E_T6_T7_T9_mT8_S1G_bDpT10_ENKUlT_T0_E_clISt17integral_constantIbLb1EES1U_EEDaS1P_S1Q_EUlS1P_E_NS1_11comp_targetILNS1_3genE10ELNS1_11target_archE1200ELNS1_3gpuE4ELNS1_3repE0EEENS1_30default_config_static_selectorELNS0_4arch9wavefront6targetE0EEEvS12_,"axG",@progbits,_ZN7rocprim17ROCPRIM_400000_NS6detail17trampoline_kernelINS0_13select_configILj256ELj13ELNS0_17block_load_methodE3ELS4_3ELS4_3ELNS0_20block_scan_algorithmE0ELj4294967295EEENS1_25partition_config_selectorILNS1_17partition_subalgoE4EjNS0_10empty_typeEbEEZZNS1_14partition_implILS8_4ELb0ES6_15HIP_vector_typeIjLj2EENS0_17counting_iteratorIjlEEPS9_SG_NS0_5tupleIJPjSI_NS0_16reverse_iteratorISI_EEEEENSH_IJSG_SG_SG_EEES9_SI_JZNS1_25segmented_radix_sort_implINS0_14default_configELb0EPKhPhPKlPlN2at6native12_GLOBAL__N_18offset_tEEE10hipError_tPvRmT1_PNSt15iterator_traitsIS12_E10value_typeET2_T3_PNS13_IS18_E10value_typeET4_jRbjT5_S1E_jjP12ihipStream_tbEUljE_ZNSN_ISO_Lb0ESQ_SR_ST_SU_SY_EESZ_S10_S11_S12_S16_S17_S18_S1B_S1C_jS1D_jS1E_S1E_jjS1G_bEUljE0_EEESZ_S10_S11_S18_S1C_S1E_T6_T7_T9_mT8_S1G_bDpT10_ENKUlT_T0_E_clISt17integral_constantIbLb1EES1U_EEDaS1P_S1Q_EUlS1P_E_NS1_11comp_targetILNS1_3genE10ELNS1_11target_archE1200ELNS1_3gpuE4ELNS1_3repE0EEENS1_30default_config_static_selectorELNS0_4arch9wavefront6targetE0EEEvS12_,comdat
.Lfunc_end135:
	.size	_ZN7rocprim17ROCPRIM_400000_NS6detail17trampoline_kernelINS0_13select_configILj256ELj13ELNS0_17block_load_methodE3ELS4_3ELS4_3ELNS0_20block_scan_algorithmE0ELj4294967295EEENS1_25partition_config_selectorILNS1_17partition_subalgoE4EjNS0_10empty_typeEbEEZZNS1_14partition_implILS8_4ELb0ES6_15HIP_vector_typeIjLj2EENS0_17counting_iteratorIjlEEPS9_SG_NS0_5tupleIJPjSI_NS0_16reverse_iteratorISI_EEEEENSH_IJSG_SG_SG_EEES9_SI_JZNS1_25segmented_radix_sort_implINS0_14default_configELb0EPKhPhPKlPlN2at6native12_GLOBAL__N_18offset_tEEE10hipError_tPvRmT1_PNSt15iterator_traitsIS12_E10value_typeET2_T3_PNS13_IS18_E10value_typeET4_jRbjT5_S1E_jjP12ihipStream_tbEUljE_ZNSN_ISO_Lb0ESQ_SR_ST_SU_SY_EESZ_S10_S11_S12_S16_S17_S18_S1B_S1C_jS1D_jS1E_S1E_jjS1G_bEUljE0_EEESZ_S10_S11_S18_S1C_S1E_T6_T7_T9_mT8_S1G_bDpT10_ENKUlT_T0_E_clISt17integral_constantIbLb1EES1U_EEDaS1P_S1Q_EUlS1P_E_NS1_11comp_targetILNS1_3genE10ELNS1_11target_archE1200ELNS1_3gpuE4ELNS1_3repE0EEENS1_30default_config_static_selectorELNS0_4arch9wavefront6targetE0EEEvS12_, .Lfunc_end135-_ZN7rocprim17ROCPRIM_400000_NS6detail17trampoline_kernelINS0_13select_configILj256ELj13ELNS0_17block_load_methodE3ELS4_3ELS4_3ELNS0_20block_scan_algorithmE0ELj4294967295EEENS1_25partition_config_selectorILNS1_17partition_subalgoE4EjNS0_10empty_typeEbEEZZNS1_14partition_implILS8_4ELb0ES6_15HIP_vector_typeIjLj2EENS0_17counting_iteratorIjlEEPS9_SG_NS0_5tupleIJPjSI_NS0_16reverse_iteratorISI_EEEEENSH_IJSG_SG_SG_EEES9_SI_JZNS1_25segmented_radix_sort_implINS0_14default_configELb0EPKhPhPKlPlN2at6native12_GLOBAL__N_18offset_tEEE10hipError_tPvRmT1_PNSt15iterator_traitsIS12_E10value_typeET2_T3_PNS13_IS18_E10value_typeET4_jRbjT5_S1E_jjP12ihipStream_tbEUljE_ZNSN_ISO_Lb0ESQ_SR_ST_SU_SY_EESZ_S10_S11_S12_S16_S17_S18_S1B_S1C_jS1D_jS1E_S1E_jjS1G_bEUljE0_EEESZ_S10_S11_S18_S1C_S1E_T6_T7_T9_mT8_S1G_bDpT10_ENKUlT_T0_E_clISt17integral_constantIbLb1EES1U_EEDaS1P_S1Q_EUlS1P_E_NS1_11comp_targetILNS1_3genE10ELNS1_11target_archE1200ELNS1_3gpuE4ELNS1_3repE0EEENS1_30default_config_static_selectorELNS0_4arch9wavefront6targetE0EEEvS12_
                                        ; -- End function
	.set _ZN7rocprim17ROCPRIM_400000_NS6detail17trampoline_kernelINS0_13select_configILj256ELj13ELNS0_17block_load_methodE3ELS4_3ELS4_3ELNS0_20block_scan_algorithmE0ELj4294967295EEENS1_25partition_config_selectorILNS1_17partition_subalgoE4EjNS0_10empty_typeEbEEZZNS1_14partition_implILS8_4ELb0ES6_15HIP_vector_typeIjLj2EENS0_17counting_iteratorIjlEEPS9_SG_NS0_5tupleIJPjSI_NS0_16reverse_iteratorISI_EEEEENSH_IJSG_SG_SG_EEES9_SI_JZNS1_25segmented_radix_sort_implINS0_14default_configELb0EPKhPhPKlPlN2at6native12_GLOBAL__N_18offset_tEEE10hipError_tPvRmT1_PNSt15iterator_traitsIS12_E10value_typeET2_T3_PNS13_IS18_E10value_typeET4_jRbjT5_S1E_jjP12ihipStream_tbEUljE_ZNSN_ISO_Lb0ESQ_SR_ST_SU_SY_EESZ_S10_S11_S12_S16_S17_S18_S1B_S1C_jS1D_jS1E_S1E_jjS1G_bEUljE0_EEESZ_S10_S11_S18_S1C_S1E_T6_T7_T9_mT8_S1G_bDpT10_ENKUlT_T0_E_clISt17integral_constantIbLb1EES1U_EEDaS1P_S1Q_EUlS1P_E_NS1_11comp_targetILNS1_3genE10ELNS1_11target_archE1200ELNS1_3gpuE4ELNS1_3repE0EEENS1_30default_config_static_selectorELNS0_4arch9wavefront6targetE0EEEvS12_.num_vgpr, 0
	.set _ZN7rocprim17ROCPRIM_400000_NS6detail17trampoline_kernelINS0_13select_configILj256ELj13ELNS0_17block_load_methodE3ELS4_3ELS4_3ELNS0_20block_scan_algorithmE0ELj4294967295EEENS1_25partition_config_selectorILNS1_17partition_subalgoE4EjNS0_10empty_typeEbEEZZNS1_14partition_implILS8_4ELb0ES6_15HIP_vector_typeIjLj2EENS0_17counting_iteratorIjlEEPS9_SG_NS0_5tupleIJPjSI_NS0_16reverse_iteratorISI_EEEEENSH_IJSG_SG_SG_EEES9_SI_JZNS1_25segmented_radix_sort_implINS0_14default_configELb0EPKhPhPKlPlN2at6native12_GLOBAL__N_18offset_tEEE10hipError_tPvRmT1_PNSt15iterator_traitsIS12_E10value_typeET2_T3_PNS13_IS18_E10value_typeET4_jRbjT5_S1E_jjP12ihipStream_tbEUljE_ZNSN_ISO_Lb0ESQ_SR_ST_SU_SY_EESZ_S10_S11_S12_S16_S17_S18_S1B_S1C_jS1D_jS1E_S1E_jjS1G_bEUljE0_EEESZ_S10_S11_S18_S1C_S1E_T6_T7_T9_mT8_S1G_bDpT10_ENKUlT_T0_E_clISt17integral_constantIbLb1EES1U_EEDaS1P_S1Q_EUlS1P_E_NS1_11comp_targetILNS1_3genE10ELNS1_11target_archE1200ELNS1_3gpuE4ELNS1_3repE0EEENS1_30default_config_static_selectorELNS0_4arch9wavefront6targetE0EEEvS12_.num_agpr, 0
	.set _ZN7rocprim17ROCPRIM_400000_NS6detail17trampoline_kernelINS0_13select_configILj256ELj13ELNS0_17block_load_methodE3ELS4_3ELS4_3ELNS0_20block_scan_algorithmE0ELj4294967295EEENS1_25partition_config_selectorILNS1_17partition_subalgoE4EjNS0_10empty_typeEbEEZZNS1_14partition_implILS8_4ELb0ES6_15HIP_vector_typeIjLj2EENS0_17counting_iteratorIjlEEPS9_SG_NS0_5tupleIJPjSI_NS0_16reverse_iteratorISI_EEEEENSH_IJSG_SG_SG_EEES9_SI_JZNS1_25segmented_radix_sort_implINS0_14default_configELb0EPKhPhPKlPlN2at6native12_GLOBAL__N_18offset_tEEE10hipError_tPvRmT1_PNSt15iterator_traitsIS12_E10value_typeET2_T3_PNS13_IS18_E10value_typeET4_jRbjT5_S1E_jjP12ihipStream_tbEUljE_ZNSN_ISO_Lb0ESQ_SR_ST_SU_SY_EESZ_S10_S11_S12_S16_S17_S18_S1B_S1C_jS1D_jS1E_S1E_jjS1G_bEUljE0_EEESZ_S10_S11_S18_S1C_S1E_T6_T7_T9_mT8_S1G_bDpT10_ENKUlT_T0_E_clISt17integral_constantIbLb1EES1U_EEDaS1P_S1Q_EUlS1P_E_NS1_11comp_targetILNS1_3genE10ELNS1_11target_archE1200ELNS1_3gpuE4ELNS1_3repE0EEENS1_30default_config_static_selectorELNS0_4arch9wavefront6targetE0EEEvS12_.numbered_sgpr, 0
	.set _ZN7rocprim17ROCPRIM_400000_NS6detail17trampoline_kernelINS0_13select_configILj256ELj13ELNS0_17block_load_methodE3ELS4_3ELS4_3ELNS0_20block_scan_algorithmE0ELj4294967295EEENS1_25partition_config_selectorILNS1_17partition_subalgoE4EjNS0_10empty_typeEbEEZZNS1_14partition_implILS8_4ELb0ES6_15HIP_vector_typeIjLj2EENS0_17counting_iteratorIjlEEPS9_SG_NS0_5tupleIJPjSI_NS0_16reverse_iteratorISI_EEEEENSH_IJSG_SG_SG_EEES9_SI_JZNS1_25segmented_radix_sort_implINS0_14default_configELb0EPKhPhPKlPlN2at6native12_GLOBAL__N_18offset_tEEE10hipError_tPvRmT1_PNSt15iterator_traitsIS12_E10value_typeET2_T3_PNS13_IS18_E10value_typeET4_jRbjT5_S1E_jjP12ihipStream_tbEUljE_ZNSN_ISO_Lb0ESQ_SR_ST_SU_SY_EESZ_S10_S11_S12_S16_S17_S18_S1B_S1C_jS1D_jS1E_S1E_jjS1G_bEUljE0_EEESZ_S10_S11_S18_S1C_S1E_T6_T7_T9_mT8_S1G_bDpT10_ENKUlT_T0_E_clISt17integral_constantIbLb1EES1U_EEDaS1P_S1Q_EUlS1P_E_NS1_11comp_targetILNS1_3genE10ELNS1_11target_archE1200ELNS1_3gpuE4ELNS1_3repE0EEENS1_30default_config_static_selectorELNS0_4arch9wavefront6targetE0EEEvS12_.num_named_barrier, 0
	.set _ZN7rocprim17ROCPRIM_400000_NS6detail17trampoline_kernelINS0_13select_configILj256ELj13ELNS0_17block_load_methodE3ELS4_3ELS4_3ELNS0_20block_scan_algorithmE0ELj4294967295EEENS1_25partition_config_selectorILNS1_17partition_subalgoE4EjNS0_10empty_typeEbEEZZNS1_14partition_implILS8_4ELb0ES6_15HIP_vector_typeIjLj2EENS0_17counting_iteratorIjlEEPS9_SG_NS0_5tupleIJPjSI_NS0_16reverse_iteratorISI_EEEEENSH_IJSG_SG_SG_EEES9_SI_JZNS1_25segmented_radix_sort_implINS0_14default_configELb0EPKhPhPKlPlN2at6native12_GLOBAL__N_18offset_tEEE10hipError_tPvRmT1_PNSt15iterator_traitsIS12_E10value_typeET2_T3_PNS13_IS18_E10value_typeET4_jRbjT5_S1E_jjP12ihipStream_tbEUljE_ZNSN_ISO_Lb0ESQ_SR_ST_SU_SY_EESZ_S10_S11_S12_S16_S17_S18_S1B_S1C_jS1D_jS1E_S1E_jjS1G_bEUljE0_EEESZ_S10_S11_S18_S1C_S1E_T6_T7_T9_mT8_S1G_bDpT10_ENKUlT_T0_E_clISt17integral_constantIbLb1EES1U_EEDaS1P_S1Q_EUlS1P_E_NS1_11comp_targetILNS1_3genE10ELNS1_11target_archE1200ELNS1_3gpuE4ELNS1_3repE0EEENS1_30default_config_static_selectorELNS0_4arch9wavefront6targetE0EEEvS12_.private_seg_size, 0
	.set _ZN7rocprim17ROCPRIM_400000_NS6detail17trampoline_kernelINS0_13select_configILj256ELj13ELNS0_17block_load_methodE3ELS4_3ELS4_3ELNS0_20block_scan_algorithmE0ELj4294967295EEENS1_25partition_config_selectorILNS1_17partition_subalgoE4EjNS0_10empty_typeEbEEZZNS1_14partition_implILS8_4ELb0ES6_15HIP_vector_typeIjLj2EENS0_17counting_iteratorIjlEEPS9_SG_NS0_5tupleIJPjSI_NS0_16reverse_iteratorISI_EEEEENSH_IJSG_SG_SG_EEES9_SI_JZNS1_25segmented_radix_sort_implINS0_14default_configELb0EPKhPhPKlPlN2at6native12_GLOBAL__N_18offset_tEEE10hipError_tPvRmT1_PNSt15iterator_traitsIS12_E10value_typeET2_T3_PNS13_IS18_E10value_typeET4_jRbjT5_S1E_jjP12ihipStream_tbEUljE_ZNSN_ISO_Lb0ESQ_SR_ST_SU_SY_EESZ_S10_S11_S12_S16_S17_S18_S1B_S1C_jS1D_jS1E_S1E_jjS1G_bEUljE0_EEESZ_S10_S11_S18_S1C_S1E_T6_T7_T9_mT8_S1G_bDpT10_ENKUlT_T0_E_clISt17integral_constantIbLb1EES1U_EEDaS1P_S1Q_EUlS1P_E_NS1_11comp_targetILNS1_3genE10ELNS1_11target_archE1200ELNS1_3gpuE4ELNS1_3repE0EEENS1_30default_config_static_selectorELNS0_4arch9wavefront6targetE0EEEvS12_.uses_vcc, 0
	.set _ZN7rocprim17ROCPRIM_400000_NS6detail17trampoline_kernelINS0_13select_configILj256ELj13ELNS0_17block_load_methodE3ELS4_3ELS4_3ELNS0_20block_scan_algorithmE0ELj4294967295EEENS1_25partition_config_selectorILNS1_17partition_subalgoE4EjNS0_10empty_typeEbEEZZNS1_14partition_implILS8_4ELb0ES6_15HIP_vector_typeIjLj2EENS0_17counting_iteratorIjlEEPS9_SG_NS0_5tupleIJPjSI_NS0_16reverse_iteratorISI_EEEEENSH_IJSG_SG_SG_EEES9_SI_JZNS1_25segmented_radix_sort_implINS0_14default_configELb0EPKhPhPKlPlN2at6native12_GLOBAL__N_18offset_tEEE10hipError_tPvRmT1_PNSt15iterator_traitsIS12_E10value_typeET2_T3_PNS13_IS18_E10value_typeET4_jRbjT5_S1E_jjP12ihipStream_tbEUljE_ZNSN_ISO_Lb0ESQ_SR_ST_SU_SY_EESZ_S10_S11_S12_S16_S17_S18_S1B_S1C_jS1D_jS1E_S1E_jjS1G_bEUljE0_EEESZ_S10_S11_S18_S1C_S1E_T6_T7_T9_mT8_S1G_bDpT10_ENKUlT_T0_E_clISt17integral_constantIbLb1EES1U_EEDaS1P_S1Q_EUlS1P_E_NS1_11comp_targetILNS1_3genE10ELNS1_11target_archE1200ELNS1_3gpuE4ELNS1_3repE0EEENS1_30default_config_static_selectorELNS0_4arch9wavefront6targetE0EEEvS12_.uses_flat_scratch, 0
	.set _ZN7rocprim17ROCPRIM_400000_NS6detail17trampoline_kernelINS0_13select_configILj256ELj13ELNS0_17block_load_methodE3ELS4_3ELS4_3ELNS0_20block_scan_algorithmE0ELj4294967295EEENS1_25partition_config_selectorILNS1_17partition_subalgoE4EjNS0_10empty_typeEbEEZZNS1_14partition_implILS8_4ELb0ES6_15HIP_vector_typeIjLj2EENS0_17counting_iteratorIjlEEPS9_SG_NS0_5tupleIJPjSI_NS0_16reverse_iteratorISI_EEEEENSH_IJSG_SG_SG_EEES9_SI_JZNS1_25segmented_radix_sort_implINS0_14default_configELb0EPKhPhPKlPlN2at6native12_GLOBAL__N_18offset_tEEE10hipError_tPvRmT1_PNSt15iterator_traitsIS12_E10value_typeET2_T3_PNS13_IS18_E10value_typeET4_jRbjT5_S1E_jjP12ihipStream_tbEUljE_ZNSN_ISO_Lb0ESQ_SR_ST_SU_SY_EESZ_S10_S11_S12_S16_S17_S18_S1B_S1C_jS1D_jS1E_S1E_jjS1G_bEUljE0_EEESZ_S10_S11_S18_S1C_S1E_T6_T7_T9_mT8_S1G_bDpT10_ENKUlT_T0_E_clISt17integral_constantIbLb1EES1U_EEDaS1P_S1Q_EUlS1P_E_NS1_11comp_targetILNS1_3genE10ELNS1_11target_archE1200ELNS1_3gpuE4ELNS1_3repE0EEENS1_30default_config_static_selectorELNS0_4arch9wavefront6targetE0EEEvS12_.has_dyn_sized_stack, 0
	.set _ZN7rocprim17ROCPRIM_400000_NS6detail17trampoline_kernelINS0_13select_configILj256ELj13ELNS0_17block_load_methodE3ELS4_3ELS4_3ELNS0_20block_scan_algorithmE0ELj4294967295EEENS1_25partition_config_selectorILNS1_17partition_subalgoE4EjNS0_10empty_typeEbEEZZNS1_14partition_implILS8_4ELb0ES6_15HIP_vector_typeIjLj2EENS0_17counting_iteratorIjlEEPS9_SG_NS0_5tupleIJPjSI_NS0_16reverse_iteratorISI_EEEEENSH_IJSG_SG_SG_EEES9_SI_JZNS1_25segmented_radix_sort_implINS0_14default_configELb0EPKhPhPKlPlN2at6native12_GLOBAL__N_18offset_tEEE10hipError_tPvRmT1_PNSt15iterator_traitsIS12_E10value_typeET2_T3_PNS13_IS18_E10value_typeET4_jRbjT5_S1E_jjP12ihipStream_tbEUljE_ZNSN_ISO_Lb0ESQ_SR_ST_SU_SY_EESZ_S10_S11_S12_S16_S17_S18_S1B_S1C_jS1D_jS1E_S1E_jjS1G_bEUljE0_EEESZ_S10_S11_S18_S1C_S1E_T6_T7_T9_mT8_S1G_bDpT10_ENKUlT_T0_E_clISt17integral_constantIbLb1EES1U_EEDaS1P_S1Q_EUlS1P_E_NS1_11comp_targetILNS1_3genE10ELNS1_11target_archE1200ELNS1_3gpuE4ELNS1_3repE0EEENS1_30default_config_static_selectorELNS0_4arch9wavefront6targetE0EEEvS12_.has_recursion, 0
	.set _ZN7rocprim17ROCPRIM_400000_NS6detail17trampoline_kernelINS0_13select_configILj256ELj13ELNS0_17block_load_methodE3ELS4_3ELS4_3ELNS0_20block_scan_algorithmE0ELj4294967295EEENS1_25partition_config_selectorILNS1_17partition_subalgoE4EjNS0_10empty_typeEbEEZZNS1_14partition_implILS8_4ELb0ES6_15HIP_vector_typeIjLj2EENS0_17counting_iteratorIjlEEPS9_SG_NS0_5tupleIJPjSI_NS0_16reverse_iteratorISI_EEEEENSH_IJSG_SG_SG_EEES9_SI_JZNS1_25segmented_radix_sort_implINS0_14default_configELb0EPKhPhPKlPlN2at6native12_GLOBAL__N_18offset_tEEE10hipError_tPvRmT1_PNSt15iterator_traitsIS12_E10value_typeET2_T3_PNS13_IS18_E10value_typeET4_jRbjT5_S1E_jjP12ihipStream_tbEUljE_ZNSN_ISO_Lb0ESQ_SR_ST_SU_SY_EESZ_S10_S11_S12_S16_S17_S18_S1B_S1C_jS1D_jS1E_S1E_jjS1G_bEUljE0_EEESZ_S10_S11_S18_S1C_S1E_T6_T7_T9_mT8_S1G_bDpT10_ENKUlT_T0_E_clISt17integral_constantIbLb1EES1U_EEDaS1P_S1Q_EUlS1P_E_NS1_11comp_targetILNS1_3genE10ELNS1_11target_archE1200ELNS1_3gpuE4ELNS1_3repE0EEENS1_30default_config_static_selectorELNS0_4arch9wavefront6targetE0EEEvS12_.has_indirect_call, 0
	.section	.AMDGPU.csdata,"",@progbits
; Kernel info:
; codeLenInByte = 4
; TotalNumSgprs: 0
; NumVgprs: 0
; ScratchSize: 0
; MemoryBound: 0
; FloatMode: 240
; IeeeMode: 1
; LDSByteSize: 0 bytes/workgroup (compile time only)
; SGPRBlocks: 0
; VGPRBlocks: 0
; NumSGPRsForWavesPerEU: 1
; NumVGPRsForWavesPerEU: 1
; Occupancy: 16
; WaveLimiterHint : 0
; COMPUTE_PGM_RSRC2:SCRATCH_EN: 0
; COMPUTE_PGM_RSRC2:USER_SGPR: 2
; COMPUTE_PGM_RSRC2:TRAP_HANDLER: 0
; COMPUTE_PGM_RSRC2:TGID_X_EN: 1
; COMPUTE_PGM_RSRC2:TGID_Y_EN: 0
; COMPUTE_PGM_RSRC2:TGID_Z_EN: 0
; COMPUTE_PGM_RSRC2:TIDIG_COMP_CNT: 0
	.section	.text._ZN7rocprim17ROCPRIM_400000_NS6detail17trampoline_kernelINS0_13select_configILj256ELj13ELNS0_17block_load_methodE3ELS4_3ELS4_3ELNS0_20block_scan_algorithmE0ELj4294967295EEENS1_25partition_config_selectorILNS1_17partition_subalgoE4EjNS0_10empty_typeEbEEZZNS1_14partition_implILS8_4ELb0ES6_15HIP_vector_typeIjLj2EENS0_17counting_iteratorIjlEEPS9_SG_NS0_5tupleIJPjSI_NS0_16reverse_iteratorISI_EEEEENSH_IJSG_SG_SG_EEES9_SI_JZNS1_25segmented_radix_sort_implINS0_14default_configELb0EPKhPhPKlPlN2at6native12_GLOBAL__N_18offset_tEEE10hipError_tPvRmT1_PNSt15iterator_traitsIS12_E10value_typeET2_T3_PNS13_IS18_E10value_typeET4_jRbjT5_S1E_jjP12ihipStream_tbEUljE_ZNSN_ISO_Lb0ESQ_SR_ST_SU_SY_EESZ_S10_S11_S12_S16_S17_S18_S1B_S1C_jS1D_jS1E_S1E_jjS1G_bEUljE0_EEESZ_S10_S11_S18_S1C_S1E_T6_T7_T9_mT8_S1G_bDpT10_ENKUlT_T0_E_clISt17integral_constantIbLb1EES1U_EEDaS1P_S1Q_EUlS1P_E_NS1_11comp_targetILNS1_3genE9ELNS1_11target_archE1100ELNS1_3gpuE3ELNS1_3repE0EEENS1_30default_config_static_selectorELNS0_4arch9wavefront6targetE0EEEvS12_,"axG",@progbits,_ZN7rocprim17ROCPRIM_400000_NS6detail17trampoline_kernelINS0_13select_configILj256ELj13ELNS0_17block_load_methodE3ELS4_3ELS4_3ELNS0_20block_scan_algorithmE0ELj4294967295EEENS1_25partition_config_selectorILNS1_17partition_subalgoE4EjNS0_10empty_typeEbEEZZNS1_14partition_implILS8_4ELb0ES6_15HIP_vector_typeIjLj2EENS0_17counting_iteratorIjlEEPS9_SG_NS0_5tupleIJPjSI_NS0_16reverse_iteratorISI_EEEEENSH_IJSG_SG_SG_EEES9_SI_JZNS1_25segmented_radix_sort_implINS0_14default_configELb0EPKhPhPKlPlN2at6native12_GLOBAL__N_18offset_tEEE10hipError_tPvRmT1_PNSt15iterator_traitsIS12_E10value_typeET2_T3_PNS13_IS18_E10value_typeET4_jRbjT5_S1E_jjP12ihipStream_tbEUljE_ZNSN_ISO_Lb0ESQ_SR_ST_SU_SY_EESZ_S10_S11_S12_S16_S17_S18_S1B_S1C_jS1D_jS1E_S1E_jjS1G_bEUljE0_EEESZ_S10_S11_S18_S1C_S1E_T6_T7_T9_mT8_S1G_bDpT10_ENKUlT_T0_E_clISt17integral_constantIbLb1EES1U_EEDaS1P_S1Q_EUlS1P_E_NS1_11comp_targetILNS1_3genE9ELNS1_11target_archE1100ELNS1_3gpuE3ELNS1_3repE0EEENS1_30default_config_static_selectorELNS0_4arch9wavefront6targetE0EEEvS12_,comdat
	.globl	_ZN7rocprim17ROCPRIM_400000_NS6detail17trampoline_kernelINS0_13select_configILj256ELj13ELNS0_17block_load_methodE3ELS4_3ELS4_3ELNS0_20block_scan_algorithmE0ELj4294967295EEENS1_25partition_config_selectorILNS1_17partition_subalgoE4EjNS0_10empty_typeEbEEZZNS1_14partition_implILS8_4ELb0ES6_15HIP_vector_typeIjLj2EENS0_17counting_iteratorIjlEEPS9_SG_NS0_5tupleIJPjSI_NS0_16reverse_iteratorISI_EEEEENSH_IJSG_SG_SG_EEES9_SI_JZNS1_25segmented_radix_sort_implINS0_14default_configELb0EPKhPhPKlPlN2at6native12_GLOBAL__N_18offset_tEEE10hipError_tPvRmT1_PNSt15iterator_traitsIS12_E10value_typeET2_T3_PNS13_IS18_E10value_typeET4_jRbjT5_S1E_jjP12ihipStream_tbEUljE_ZNSN_ISO_Lb0ESQ_SR_ST_SU_SY_EESZ_S10_S11_S12_S16_S17_S18_S1B_S1C_jS1D_jS1E_S1E_jjS1G_bEUljE0_EEESZ_S10_S11_S18_S1C_S1E_T6_T7_T9_mT8_S1G_bDpT10_ENKUlT_T0_E_clISt17integral_constantIbLb1EES1U_EEDaS1P_S1Q_EUlS1P_E_NS1_11comp_targetILNS1_3genE9ELNS1_11target_archE1100ELNS1_3gpuE3ELNS1_3repE0EEENS1_30default_config_static_selectorELNS0_4arch9wavefront6targetE0EEEvS12_ ; -- Begin function _ZN7rocprim17ROCPRIM_400000_NS6detail17trampoline_kernelINS0_13select_configILj256ELj13ELNS0_17block_load_methodE3ELS4_3ELS4_3ELNS0_20block_scan_algorithmE0ELj4294967295EEENS1_25partition_config_selectorILNS1_17partition_subalgoE4EjNS0_10empty_typeEbEEZZNS1_14partition_implILS8_4ELb0ES6_15HIP_vector_typeIjLj2EENS0_17counting_iteratorIjlEEPS9_SG_NS0_5tupleIJPjSI_NS0_16reverse_iteratorISI_EEEEENSH_IJSG_SG_SG_EEES9_SI_JZNS1_25segmented_radix_sort_implINS0_14default_configELb0EPKhPhPKlPlN2at6native12_GLOBAL__N_18offset_tEEE10hipError_tPvRmT1_PNSt15iterator_traitsIS12_E10value_typeET2_T3_PNS13_IS18_E10value_typeET4_jRbjT5_S1E_jjP12ihipStream_tbEUljE_ZNSN_ISO_Lb0ESQ_SR_ST_SU_SY_EESZ_S10_S11_S12_S16_S17_S18_S1B_S1C_jS1D_jS1E_S1E_jjS1G_bEUljE0_EEESZ_S10_S11_S18_S1C_S1E_T6_T7_T9_mT8_S1G_bDpT10_ENKUlT_T0_E_clISt17integral_constantIbLb1EES1U_EEDaS1P_S1Q_EUlS1P_E_NS1_11comp_targetILNS1_3genE9ELNS1_11target_archE1100ELNS1_3gpuE3ELNS1_3repE0EEENS1_30default_config_static_selectorELNS0_4arch9wavefront6targetE0EEEvS12_
	.p2align	8
	.type	_ZN7rocprim17ROCPRIM_400000_NS6detail17trampoline_kernelINS0_13select_configILj256ELj13ELNS0_17block_load_methodE3ELS4_3ELS4_3ELNS0_20block_scan_algorithmE0ELj4294967295EEENS1_25partition_config_selectorILNS1_17partition_subalgoE4EjNS0_10empty_typeEbEEZZNS1_14partition_implILS8_4ELb0ES6_15HIP_vector_typeIjLj2EENS0_17counting_iteratorIjlEEPS9_SG_NS0_5tupleIJPjSI_NS0_16reverse_iteratorISI_EEEEENSH_IJSG_SG_SG_EEES9_SI_JZNS1_25segmented_radix_sort_implINS0_14default_configELb0EPKhPhPKlPlN2at6native12_GLOBAL__N_18offset_tEEE10hipError_tPvRmT1_PNSt15iterator_traitsIS12_E10value_typeET2_T3_PNS13_IS18_E10value_typeET4_jRbjT5_S1E_jjP12ihipStream_tbEUljE_ZNSN_ISO_Lb0ESQ_SR_ST_SU_SY_EESZ_S10_S11_S12_S16_S17_S18_S1B_S1C_jS1D_jS1E_S1E_jjS1G_bEUljE0_EEESZ_S10_S11_S18_S1C_S1E_T6_T7_T9_mT8_S1G_bDpT10_ENKUlT_T0_E_clISt17integral_constantIbLb1EES1U_EEDaS1P_S1Q_EUlS1P_E_NS1_11comp_targetILNS1_3genE9ELNS1_11target_archE1100ELNS1_3gpuE3ELNS1_3repE0EEENS1_30default_config_static_selectorELNS0_4arch9wavefront6targetE0EEEvS12_,@function
_ZN7rocprim17ROCPRIM_400000_NS6detail17trampoline_kernelINS0_13select_configILj256ELj13ELNS0_17block_load_methodE3ELS4_3ELS4_3ELNS0_20block_scan_algorithmE0ELj4294967295EEENS1_25partition_config_selectorILNS1_17partition_subalgoE4EjNS0_10empty_typeEbEEZZNS1_14partition_implILS8_4ELb0ES6_15HIP_vector_typeIjLj2EENS0_17counting_iteratorIjlEEPS9_SG_NS0_5tupleIJPjSI_NS0_16reverse_iteratorISI_EEEEENSH_IJSG_SG_SG_EEES9_SI_JZNS1_25segmented_radix_sort_implINS0_14default_configELb0EPKhPhPKlPlN2at6native12_GLOBAL__N_18offset_tEEE10hipError_tPvRmT1_PNSt15iterator_traitsIS12_E10value_typeET2_T3_PNS13_IS18_E10value_typeET4_jRbjT5_S1E_jjP12ihipStream_tbEUljE_ZNSN_ISO_Lb0ESQ_SR_ST_SU_SY_EESZ_S10_S11_S12_S16_S17_S18_S1B_S1C_jS1D_jS1E_S1E_jjS1G_bEUljE0_EEESZ_S10_S11_S18_S1C_S1E_T6_T7_T9_mT8_S1G_bDpT10_ENKUlT_T0_E_clISt17integral_constantIbLb1EES1U_EEDaS1P_S1Q_EUlS1P_E_NS1_11comp_targetILNS1_3genE9ELNS1_11target_archE1100ELNS1_3gpuE3ELNS1_3repE0EEENS1_30default_config_static_selectorELNS0_4arch9wavefront6targetE0EEEvS12_: ; @_ZN7rocprim17ROCPRIM_400000_NS6detail17trampoline_kernelINS0_13select_configILj256ELj13ELNS0_17block_load_methodE3ELS4_3ELS4_3ELNS0_20block_scan_algorithmE0ELj4294967295EEENS1_25partition_config_selectorILNS1_17partition_subalgoE4EjNS0_10empty_typeEbEEZZNS1_14partition_implILS8_4ELb0ES6_15HIP_vector_typeIjLj2EENS0_17counting_iteratorIjlEEPS9_SG_NS0_5tupleIJPjSI_NS0_16reverse_iteratorISI_EEEEENSH_IJSG_SG_SG_EEES9_SI_JZNS1_25segmented_radix_sort_implINS0_14default_configELb0EPKhPhPKlPlN2at6native12_GLOBAL__N_18offset_tEEE10hipError_tPvRmT1_PNSt15iterator_traitsIS12_E10value_typeET2_T3_PNS13_IS18_E10value_typeET4_jRbjT5_S1E_jjP12ihipStream_tbEUljE_ZNSN_ISO_Lb0ESQ_SR_ST_SU_SY_EESZ_S10_S11_S12_S16_S17_S18_S1B_S1C_jS1D_jS1E_S1E_jjS1G_bEUljE0_EEESZ_S10_S11_S18_S1C_S1E_T6_T7_T9_mT8_S1G_bDpT10_ENKUlT_T0_E_clISt17integral_constantIbLb1EES1U_EEDaS1P_S1Q_EUlS1P_E_NS1_11comp_targetILNS1_3genE9ELNS1_11target_archE1100ELNS1_3gpuE3ELNS1_3repE0EEENS1_30default_config_static_selectorELNS0_4arch9wavefront6targetE0EEEvS12_
; %bb.0:
	.section	.rodata,"a",@progbits
	.p2align	6, 0x0
	.amdhsa_kernel _ZN7rocprim17ROCPRIM_400000_NS6detail17trampoline_kernelINS0_13select_configILj256ELj13ELNS0_17block_load_methodE3ELS4_3ELS4_3ELNS0_20block_scan_algorithmE0ELj4294967295EEENS1_25partition_config_selectorILNS1_17partition_subalgoE4EjNS0_10empty_typeEbEEZZNS1_14partition_implILS8_4ELb0ES6_15HIP_vector_typeIjLj2EENS0_17counting_iteratorIjlEEPS9_SG_NS0_5tupleIJPjSI_NS0_16reverse_iteratorISI_EEEEENSH_IJSG_SG_SG_EEES9_SI_JZNS1_25segmented_radix_sort_implINS0_14default_configELb0EPKhPhPKlPlN2at6native12_GLOBAL__N_18offset_tEEE10hipError_tPvRmT1_PNSt15iterator_traitsIS12_E10value_typeET2_T3_PNS13_IS18_E10value_typeET4_jRbjT5_S1E_jjP12ihipStream_tbEUljE_ZNSN_ISO_Lb0ESQ_SR_ST_SU_SY_EESZ_S10_S11_S12_S16_S17_S18_S1B_S1C_jS1D_jS1E_S1E_jjS1G_bEUljE0_EEESZ_S10_S11_S18_S1C_S1E_T6_T7_T9_mT8_S1G_bDpT10_ENKUlT_T0_E_clISt17integral_constantIbLb1EES1U_EEDaS1P_S1Q_EUlS1P_E_NS1_11comp_targetILNS1_3genE9ELNS1_11target_archE1100ELNS1_3gpuE3ELNS1_3repE0EEENS1_30default_config_static_selectorELNS0_4arch9wavefront6targetE0EEEvS12_
		.amdhsa_group_segment_fixed_size 0
		.amdhsa_private_segment_fixed_size 0
		.amdhsa_kernarg_size 184
		.amdhsa_user_sgpr_count 2
		.amdhsa_user_sgpr_dispatch_ptr 0
		.amdhsa_user_sgpr_queue_ptr 0
		.amdhsa_user_sgpr_kernarg_segment_ptr 1
		.amdhsa_user_sgpr_dispatch_id 0
		.amdhsa_user_sgpr_private_segment_size 0
		.amdhsa_wavefront_size32 1
		.amdhsa_uses_dynamic_stack 0
		.amdhsa_enable_private_segment 0
		.amdhsa_system_sgpr_workgroup_id_x 1
		.amdhsa_system_sgpr_workgroup_id_y 0
		.amdhsa_system_sgpr_workgroup_id_z 0
		.amdhsa_system_sgpr_workgroup_info 0
		.amdhsa_system_vgpr_workitem_id 0
		.amdhsa_next_free_vgpr 1
		.amdhsa_next_free_sgpr 1
		.amdhsa_reserve_vcc 0
		.amdhsa_float_round_mode_32 0
		.amdhsa_float_round_mode_16_64 0
		.amdhsa_float_denorm_mode_32 3
		.amdhsa_float_denorm_mode_16_64 3
		.amdhsa_fp16_overflow 0
		.amdhsa_workgroup_processor_mode 1
		.amdhsa_memory_ordered 1
		.amdhsa_forward_progress 1
		.amdhsa_inst_pref_size 0
		.amdhsa_round_robin_scheduling 0
		.amdhsa_exception_fp_ieee_invalid_op 0
		.amdhsa_exception_fp_denorm_src 0
		.amdhsa_exception_fp_ieee_div_zero 0
		.amdhsa_exception_fp_ieee_overflow 0
		.amdhsa_exception_fp_ieee_underflow 0
		.amdhsa_exception_fp_ieee_inexact 0
		.amdhsa_exception_int_div_zero 0
	.end_amdhsa_kernel
	.section	.text._ZN7rocprim17ROCPRIM_400000_NS6detail17trampoline_kernelINS0_13select_configILj256ELj13ELNS0_17block_load_methodE3ELS4_3ELS4_3ELNS0_20block_scan_algorithmE0ELj4294967295EEENS1_25partition_config_selectorILNS1_17partition_subalgoE4EjNS0_10empty_typeEbEEZZNS1_14partition_implILS8_4ELb0ES6_15HIP_vector_typeIjLj2EENS0_17counting_iteratorIjlEEPS9_SG_NS0_5tupleIJPjSI_NS0_16reverse_iteratorISI_EEEEENSH_IJSG_SG_SG_EEES9_SI_JZNS1_25segmented_radix_sort_implINS0_14default_configELb0EPKhPhPKlPlN2at6native12_GLOBAL__N_18offset_tEEE10hipError_tPvRmT1_PNSt15iterator_traitsIS12_E10value_typeET2_T3_PNS13_IS18_E10value_typeET4_jRbjT5_S1E_jjP12ihipStream_tbEUljE_ZNSN_ISO_Lb0ESQ_SR_ST_SU_SY_EESZ_S10_S11_S12_S16_S17_S18_S1B_S1C_jS1D_jS1E_S1E_jjS1G_bEUljE0_EEESZ_S10_S11_S18_S1C_S1E_T6_T7_T9_mT8_S1G_bDpT10_ENKUlT_T0_E_clISt17integral_constantIbLb1EES1U_EEDaS1P_S1Q_EUlS1P_E_NS1_11comp_targetILNS1_3genE9ELNS1_11target_archE1100ELNS1_3gpuE3ELNS1_3repE0EEENS1_30default_config_static_selectorELNS0_4arch9wavefront6targetE0EEEvS12_,"axG",@progbits,_ZN7rocprim17ROCPRIM_400000_NS6detail17trampoline_kernelINS0_13select_configILj256ELj13ELNS0_17block_load_methodE3ELS4_3ELS4_3ELNS0_20block_scan_algorithmE0ELj4294967295EEENS1_25partition_config_selectorILNS1_17partition_subalgoE4EjNS0_10empty_typeEbEEZZNS1_14partition_implILS8_4ELb0ES6_15HIP_vector_typeIjLj2EENS0_17counting_iteratorIjlEEPS9_SG_NS0_5tupleIJPjSI_NS0_16reverse_iteratorISI_EEEEENSH_IJSG_SG_SG_EEES9_SI_JZNS1_25segmented_radix_sort_implINS0_14default_configELb0EPKhPhPKlPlN2at6native12_GLOBAL__N_18offset_tEEE10hipError_tPvRmT1_PNSt15iterator_traitsIS12_E10value_typeET2_T3_PNS13_IS18_E10value_typeET4_jRbjT5_S1E_jjP12ihipStream_tbEUljE_ZNSN_ISO_Lb0ESQ_SR_ST_SU_SY_EESZ_S10_S11_S12_S16_S17_S18_S1B_S1C_jS1D_jS1E_S1E_jjS1G_bEUljE0_EEESZ_S10_S11_S18_S1C_S1E_T6_T7_T9_mT8_S1G_bDpT10_ENKUlT_T0_E_clISt17integral_constantIbLb1EES1U_EEDaS1P_S1Q_EUlS1P_E_NS1_11comp_targetILNS1_3genE9ELNS1_11target_archE1100ELNS1_3gpuE3ELNS1_3repE0EEENS1_30default_config_static_selectorELNS0_4arch9wavefront6targetE0EEEvS12_,comdat
.Lfunc_end136:
	.size	_ZN7rocprim17ROCPRIM_400000_NS6detail17trampoline_kernelINS0_13select_configILj256ELj13ELNS0_17block_load_methodE3ELS4_3ELS4_3ELNS0_20block_scan_algorithmE0ELj4294967295EEENS1_25partition_config_selectorILNS1_17partition_subalgoE4EjNS0_10empty_typeEbEEZZNS1_14partition_implILS8_4ELb0ES6_15HIP_vector_typeIjLj2EENS0_17counting_iteratorIjlEEPS9_SG_NS0_5tupleIJPjSI_NS0_16reverse_iteratorISI_EEEEENSH_IJSG_SG_SG_EEES9_SI_JZNS1_25segmented_radix_sort_implINS0_14default_configELb0EPKhPhPKlPlN2at6native12_GLOBAL__N_18offset_tEEE10hipError_tPvRmT1_PNSt15iterator_traitsIS12_E10value_typeET2_T3_PNS13_IS18_E10value_typeET4_jRbjT5_S1E_jjP12ihipStream_tbEUljE_ZNSN_ISO_Lb0ESQ_SR_ST_SU_SY_EESZ_S10_S11_S12_S16_S17_S18_S1B_S1C_jS1D_jS1E_S1E_jjS1G_bEUljE0_EEESZ_S10_S11_S18_S1C_S1E_T6_T7_T9_mT8_S1G_bDpT10_ENKUlT_T0_E_clISt17integral_constantIbLb1EES1U_EEDaS1P_S1Q_EUlS1P_E_NS1_11comp_targetILNS1_3genE9ELNS1_11target_archE1100ELNS1_3gpuE3ELNS1_3repE0EEENS1_30default_config_static_selectorELNS0_4arch9wavefront6targetE0EEEvS12_, .Lfunc_end136-_ZN7rocprim17ROCPRIM_400000_NS6detail17trampoline_kernelINS0_13select_configILj256ELj13ELNS0_17block_load_methodE3ELS4_3ELS4_3ELNS0_20block_scan_algorithmE0ELj4294967295EEENS1_25partition_config_selectorILNS1_17partition_subalgoE4EjNS0_10empty_typeEbEEZZNS1_14partition_implILS8_4ELb0ES6_15HIP_vector_typeIjLj2EENS0_17counting_iteratorIjlEEPS9_SG_NS0_5tupleIJPjSI_NS0_16reverse_iteratorISI_EEEEENSH_IJSG_SG_SG_EEES9_SI_JZNS1_25segmented_radix_sort_implINS0_14default_configELb0EPKhPhPKlPlN2at6native12_GLOBAL__N_18offset_tEEE10hipError_tPvRmT1_PNSt15iterator_traitsIS12_E10value_typeET2_T3_PNS13_IS18_E10value_typeET4_jRbjT5_S1E_jjP12ihipStream_tbEUljE_ZNSN_ISO_Lb0ESQ_SR_ST_SU_SY_EESZ_S10_S11_S12_S16_S17_S18_S1B_S1C_jS1D_jS1E_S1E_jjS1G_bEUljE0_EEESZ_S10_S11_S18_S1C_S1E_T6_T7_T9_mT8_S1G_bDpT10_ENKUlT_T0_E_clISt17integral_constantIbLb1EES1U_EEDaS1P_S1Q_EUlS1P_E_NS1_11comp_targetILNS1_3genE9ELNS1_11target_archE1100ELNS1_3gpuE3ELNS1_3repE0EEENS1_30default_config_static_selectorELNS0_4arch9wavefront6targetE0EEEvS12_
                                        ; -- End function
	.set _ZN7rocprim17ROCPRIM_400000_NS6detail17trampoline_kernelINS0_13select_configILj256ELj13ELNS0_17block_load_methodE3ELS4_3ELS4_3ELNS0_20block_scan_algorithmE0ELj4294967295EEENS1_25partition_config_selectorILNS1_17partition_subalgoE4EjNS0_10empty_typeEbEEZZNS1_14partition_implILS8_4ELb0ES6_15HIP_vector_typeIjLj2EENS0_17counting_iteratorIjlEEPS9_SG_NS0_5tupleIJPjSI_NS0_16reverse_iteratorISI_EEEEENSH_IJSG_SG_SG_EEES9_SI_JZNS1_25segmented_radix_sort_implINS0_14default_configELb0EPKhPhPKlPlN2at6native12_GLOBAL__N_18offset_tEEE10hipError_tPvRmT1_PNSt15iterator_traitsIS12_E10value_typeET2_T3_PNS13_IS18_E10value_typeET4_jRbjT5_S1E_jjP12ihipStream_tbEUljE_ZNSN_ISO_Lb0ESQ_SR_ST_SU_SY_EESZ_S10_S11_S12_S16_S17_S18_S1B_S1C_jS1D_jS1E_S1E_jjS1G_bEUljE0_EEESZ_S10_S11_S18_S1C_S1E_T6_T7_T9_mT8_S1G_bDpT10_ENKUlT_T0_E_clISt17integral_constantIbLb1EES1U_EEDaS1P_S1Q_EUlS1P_E_NS1_11comp_targetILNS1_3genE9ELNS1_11target_archE1100ELNS1_3gpuE3ELNS1_3repE0EEENS1_30default_config_static_selectorELNS0_4arch9wavefront6targetE0EEEvS12_.num_vgpr, 0
	.set _ZN7rocprim17ROCPRIM_400000_NS6detail17trampoline_kernelINS0_13select_configILj256ELj13ELNS0_17block_load_methodE3ELS4_3ELS4_3ELNS0_20block_scan_algorithmE0ELj4294967295EEENS1_25partition_config_selectorILNS1_17partition_subalgoE4EjNS0_10empty_typeEbEEZZNS1_14partition_implILS8_4ELb0ES6_15HIP_vector_typeIjLj2EENS0_17counting_iteratorIjlEEPS9_SG_NS0_5tupleIJPjSI_NS0_16reverse_iteratorISI_EEEEENSH_IJSG_SG_SG_EEES9_SI_JZNS1_25segmented_radix_sort_implINS0_14default_configELb0EPKhPhPKlPlN2at6native12_GLOBAL__N_18offset_tEEE10hipError_tPvRmT1_PNSt15iterator_traitsIS12_E10value_typeET2_T3_PNS13_IS18_E10value_typeET4_jRbjT5_S1E_jjP12ihipStream_tbEUljE_ZNSN_ISO_Lb0ESQ_SR_ST_SU_SY_EESZ_S10_S11_S12_S16_S17_S18_S1B_S1C_jS1D_jS1E_S1E_jjS1G_bEUljE0_EEESZ_S10_S11_S18_S1C_S1E_T6_T7_T9_mT8_S1G_bDpT10_ENKUlT_T0_E_clISt17integral_constantIbLb1EES1U_EEDaS1P_S1Q_EUlS1P_E_NS1_11comp_targetILNS1_3genE9ELNS1_11target_archE1100ELNS1_3gpuE3ELNS1_3repE0EEENS1_30default_config_static_selectorELNS0_4arch9wavefront6targetE0EEEvS12_.num_agpr, 0
	.set _ZN7rocprim17ROCPRIM_400000_NS6detail17trampoline_kernelINS0_13select_configILj256ELj13ELNS0_17block_load_methodE3ELS4_3ELS4_3ELNS0_20block_scan_algorithmE0ELj4294967295EEENS1_25partition_config_selectorILNS1_17partition_subalgoE4EjNS0_10empty_typeEbEEZZNS1_14partition_implILS8_4ELb0ES6_15HIP_vector_typeIjLj2EENS0_17counting_iteratorIjlEEPS9_SG_NS0_5tupleIJPjSI_NS0_16reverse_iteratorISI_EEEEENSH_IJSG_SG_SG_EEES9_SI_JZNS1_25segmented_radix_sort_implINS0_14default_configELb0EPKhPhPKlPlN2at6native12_GLOBAL__N_18offset_tEEE10hipError_tPvRmT1_PNSt15iterator_traitsIS12_E10value_typeET2_T3_PNS13_IS18_E10value_typeET4_jRbjT5_S1E_jjP12ihipStream_tbEUljE_ZNSN_ISO_Lb0ESQ_SR_ST_SU_SY_EESZ_S10_S11_S12_S16_S17_S18_S1B_S1C_jS1D_jS1E_S1E_jjS1G_bEUljE0_EEESZ_S10_S11_S18_S1C_S1E_T6_T7_T9_mT8_S1G_bDpT10_ENKUlT_T0_E_clISt17integral_constantIbLb1EES1U_EEDaS1P_S1Q_EUlS1P_E_NS1_11comp_targetILNS1_3genE9ELNS1_11target_archE1100ELNS1_3gpuE3ELNS1_3repE0EEENS1_30default_config_static_selectorELNS0_4arch9wavefront6targetE0EEEvS12_.numbered_sgpr, 0
	.set _ZN7rocprim17ROCPRIM_400000_NS6detail17trampoline_kernelINS0_13select_configILj256ELj13ELNS0_17block_load_methodE3ELS4_3ELS4_3ELNS0_20block_scan_algorithmE0ELj4294967295EEENS1_25partition_config_selectorILNS1_17partition_subalgoE4EjNS0_10empty_typeEbEEZZNS1_14partition_implILS8_4ELb0ES6_15HIP_vector_typeIjLj2EENS0_17counting_iteratorIjlEEPS9_SG_NS0_5tupleIJPjSI_NS0_16reverse_iteratorISI_EEEEENSH_IJSG_SG_SG_EEES9_SI_JZNS1_25segmented_radix_sort_implINS0_14default_configELb0EPKhPhPKlPlN2at6native12_GLOBAL__N_18offset_tEEE10hipError_tPvRmT1_PNSt15iterator_traitsIS12_E10value_typeET2_T3_PNS13_IS18_E10value_typeET4_jRbjT5_S1E_jjP12ihipStream_tbEUljE_ZNSN_ISO_Lb0ESQ_SR_ST_SU_SY_EESZ_S10_S11_S12_S16_S17_S18_S1B_S1C_jS1D_jS1E_S1E_jjS1G_bEUljE0_EEESZ_S10_S11_S18_S1C_S1E_T6_T7_T9_mT8_S1G_bDpT10_ENKUlT_T0_E_clISt17integral_constantIbLb1EES1U_EEDaS1P_S1Q_EUlS1P_E_NS1_11comp_targetILNS1_3genE9ELNS1_11target_archE1100ELNS1_3gpuE3ELNS1_3repE0EEENS1_30default_config_static_selectorELNS0_4arch9wavefront6targetE0EEEvS12_.num_named_barrier, 0
	.set _ZN7rocprim17ROCPRIM_400000_NS6detail17trampoline_kernelINS0_13select_configILj256ELj13ELNS0_17block_load_methodE3ELS4_3ELS4_3ELNS0_20block_scan_algorithmE0ELj4294967295EEENS1_25partition_config_selectorILNS1_17partition_subalgoE4EjNS0_10empty_typeEbEEZZNS1_14partition_implILS8_4ELb0ES6_15HIP_vector_typeIjLj2EENS0_17counting_iteratorIjlEEPS9_SG_NS0_5tupleIJPjSI_NS0_16reverse_iteratorISI_EEEEENSH_IJSG_SG_SG_EEES9_SI_JZNS1_25segmented_radix_sort_implINS0_14default_configELb0EPKhPhPKlPlN2at6native12_GLOBAL__N_18offset_tEEE10hipError_tPvRmT1_PNSt15iterator_traitsIS12_E10value_typeET2_T3_PNS13_IS18_E10value_typeET4_jRbjT5_S1E_jjP12ihipStream_tbEUljE_ZNSN_ISO_Lb0ESQ_SR_ST_SU_SY_EESZ_S10_S11_S12_S16_S17_S18_S1B_S1C_jS1D_jS1E_S1E_jjS1G_bEUljE0_EEESZ_S10_S11_S18_S1C_S1E_T6_T7_T9_mT8_S1G_bDpT10_ENKUlT_T0_E_clISt17integral_constantIbLb1EES1U_EEDaS1P_S1Q_EUlS1P_E_NS1_11comp_targetILNS1_3genE9ELNS1_11target_archE1100ELNS1_3gpuE3ELNS1_3repE0EEENS1_30default_config_static_selectorELNS0_4arch9wavefront6targetE0EEEvS12_.private_seg_size, 0
	.set _ZN7rocprim17ROCPRIM_400000_NS6detail17trampoline_kernelINS0_13select_configILj256ELj13ELNS0_17block_load_methodE3ELS4_3ELS4_3ELNS0_20block_scan_algorithmE0ELj4294967295EEENS1_25partition_config_selectorILNS1_17partition_subalgoE4EjNS0_10empty_typeEbEEZZNS1_14partition_implILS8_4ELb0ES6_15HIP_vector_typeIjLj2EENS0_17counting_iteratorIjlEEPS9_SG_NS0_5tupleIJPjSI_NS0_16reverse_iteratorISI_EEEEENSH_IJSG_SG_SG_EEES9_SI_JZNS1_25segmented_radix_sort_implINS0_14default_configELb0EPKhPhPKlPlN2at6native12_GLOBAL__N_18offset_tEEE10hipError_tPvRmT1_PNSt15iterator_traitsIS12_E10value_typeET2_T3_PNS13_IS18_E10value_typeET4_jRbjT5_S1E_jjP12ihipStream_tbEUljE_ZNSN_ISO_Lb0ESQ_SR_ST_SU_SY_EESZ_S10_S11_S12_S16_S17_S18_S1B_S1C_jS1D_jS1E_S1E_jjS1G_bEUljE0_EEESZ_S10_S11_S18_S1C_S1E_T6_T7_T9_mT8_S1G_bDpT10_ENKUlT_T0_E_clISt17integral_constantIbLb1EES1U_EEDaS1P_S1Q_EUlS1P_E_NS1_11comp_targetILNS1_3genE9ELNS1_11target_archE1100ELNS1_3gpuE3ELNS1_3repE0EEENS1_30default_config_static_selectorELNS0_4arch9wavefront6targetE0EEEvS12_.uses_vcc, 0
	.set _ZN7rocprim17ROCPRIM_400000_NS6detail17trampoline_kernelINS0_13select_configILj256ELj13ELNS0_17block_load_methodE3ELS4_3ELS4_3ELNS0_20block_scan_algorithmE0ELj4294967295EEENS1_25partition_config_selectorILNS1_17partition_subalgoE4EjNS0_10empty_typeEbEEZZNS1_14partition_implILS8_4ELb0ES6_15HIP_vector_typeIjLj2EENS0_17counting_iteratorIjlEEPS9_SG_NS0_5tupleIJPjSI_NS0_16reverse_iteratorISI_EEEEENSH_IJSG_SG_SG_EEES9_SI_JZNS1_25segmented_radix_sort_implINS0_14default_configELb0EPKhPhPKlPlN2at6native12_GLOBAL__N_18offset_tEEE10hipError_tPvRmT1_PNSt15iterator_traitsIS12_E10value_typeET2_T3_PNS13_IS18_E10value_typeET4_jRbjT5_S1E_jjP12ihipStream_tbEUljE_ZNSN_ISO_Lb0ESQ_SR_ST_SU_SY_EESZ_S10_S11_S12_S16_S17_S18_S1B_S1C_jS1D_jS1E_S1E_jjS1G_bEUljE0_EEESZ_S10_S11_S18_S1C_S1E_T6_T7_T9_mT8_S1G_bDpT10_ENKUlT_T0_E_clISt17integral_constantIbLb1EES1U_EEDaS1P_S1Q_EUlS1P_E_NS1_11comp_targetILNS1_3genE9ELNS1_11target_archE1100ELNS1_3gpuE3ELNS1_3repE0EEENS1_30default_config_static_selectorELNS0_4arch9wavefront6targetE0EEEvS12_.uses_flat_scratch, 0
	.set _ZN7rocprim17ROCPRIM_400000_NS6detail17trampoline_kernelINS0_13select_configILj256ELj13ELNS0_17block_load_methodE3ELS4_3ELS4_3ELNS0_20block_scan_algorithmE0ELj4294967295EEENS1_25partition_config_selectorILNS1_17partition_subalgoE4EjNS0_10empty_typeEbEEZZNS1_14partition_implILS8_4ELb0ES6_15HIP_vector_typeIjLj2EENS0_17counting_iteratorIjlEEPS9_SG_NS0_5tupleIJPjSI_NS0_16reverse_iteratorISI_EEEEENSH_IJSG_SG_SG_EEES9_SI_JZNS1_25segmented_radix_sort_implINS0_14default_configELb0EPKhPhPKlPlN2at6native12_GLOBAL__N_18offset_tEEE10hipError_tPvRmT1_PNSt15iterator_traitsIS12_E10value_typeET2_T3_PNS13_IS18_E10value_typeET4_jRbjT5_S1E_jjP12ihipStream_tbEUljE_ZNSN_ISO_Lb0ESQ_SR_ST_SU_SY_EESZ_S10_S11_S12_S16_S17_S18_S1B_S1C_jS1D_jS1E_S1E_jjS1G_bEUljE0_EEESZ_S10_S11_S18_S1C_S1E_T6_T7_T9_mT8_S1G_bDpT10_ENKUlT_T0_E_clISt17integral_constantIbLb1EES1U_EEDaS1P_S1Q_EUlS1P_E_NS1_11comp_targetILNS1_3genE9ELNS1_11target_archE1100ELNS1_3gpuE3ELNS1_3repE0EEENS1_30default_config_static_selectorELNS0_4arch9wavefront6targetE0EEEvS12_.has_dyn_sized_stack, 0
	.set _ZN7rocprim17ROCPRIM_400000_NS6detail17trampoline_kernelINS0_13select_configILj256ELj13ELNS0_17block_load_methodE3ELS4_3ELS4_3ELNS0_20block_scan_algorithmE0ELj4294967295EEENS1_25partition_config_selectorILNS1_17partition_subalgoE4EjNS0_10empty_typeEbEEZZNS1_14partition_implILS8_4ELb0ES6_15HIP_vector_typeIjLj2EENS0_17counting_iteratorIjlEEPS9_SG_NS0_5tupleIJPjSI_NS0_16reverse_iteratorISI_EEEEENSH_IJSG_SG_SG_EEES9_SI_JZNS1_25segmented_radix_sort_implINS0_14default_configELb0EPKhPhPKlPlN2at6native12_GLOBAL__N_18offset_tEEE10hipError_tPvRmT1_PNSt15iterator_traitsIS12_E10value_typeET2_T3_PNS13_IS18_E10value_typeET4_jRbjT5_S1E_jjP12ihipStream_tbEUljE_ZNSN_ISO_Lb0ESQ_SR_ST_SU_SY_EESZ_S10_S11_S12_S16_S17_S18_S1B_S1C_jS1D_jS1E_S1E_jjS1G_bEUljE0_EEESZ_S10_S11_S18_S1C_S1E_T6_T7_T9_mT8_S1G_bDpT10_ENKUlT_T0_E_clISt17integral_constantIbLb1EES1U_EEDaS1P_S1Q_EUlS1P_E_NS1_11comp_targetILNS1_3genE9ELNS1_11target_archE1100ELNS1_3gpuE3ELNS1_3repE0EEENS1_30default_config_static_selectorELNS0_4arch9wavefront6targetE0EEEvS12_.has_recursion, 0
	.set _ZN7rocprim17ROCPRIM_400000_NS6detail17trampoline_kernelINS0_13select_configILj256ELj13ELNS0_17block_load_methodE3ELS4_3ELS4_3ELNS0_20block_scan_algorithmE0ELj4294967295EEENS1_25partition_config_selectorILNS1_17partition_subalgoE4EjNS0_10empty_typeEbEEZZNS1_14partition_implILS8_4ELb0ES6_15HIP_vector_typeIjLj2EENS0_17counting_iteratorIjlEEPS9_SG_NS0_5tupleIJPjSI_NS0_16reverse_iteratorISI_EEEEENSH_IJSG_SG_SG_EEES9_SI_JZNS1_25segmented_radix_sort_implINS0_14default_configELb0EPKhPhPKlPlN2at6native12_GLOBAL__N_18offset_tEEE10hipError_tPvRmT1_PNSt15iterator_traitsIS12_E10value_typeET2_T3_PNS13_IS18_E10value_typeET4_jRbjT5_S1E_jjP12ihipStream_tbEUljE_ZNSN_ISO_Lb0ESQ_SR_ST_SU_SY_EESZ_S10_S11_S12_S16_S17_S18_S1B_S1C_jS1D_jS1E_S1E_jjS1G_bEUljE0_EEESZ_S10_S11_S18_S1C_S1E_T6_T7_T9_mT8_S1G_bDpT10_ENKUlT_T0_E_clISt17integral_constantIbLb1EES1U_EEDaS1P_S1Q_EUlS1P_E_NS1_11comp_targetILNS1_3genE9ELNS1_11target_archE1100ELNS1_3gpuE3ELNS1_3repE0EEENS1_30default_config_static_selectorELNS0_4arch9wavefront6targetE0EEEvS12_.has_indirect_call, 0
	.section	.AMDGPU.csdata,"",@progbits
; Kernel info:
; codeLenInByte = 0
; TotalNumSgprs: 0
; NumVgprs: 0
; ScratchSize: 0
; MemoryBound: 0
; FloatMode: 240
; IeeeMode: 1
; LDSByteSize: 0 bytes/workgroup (compile time only)
; SGPRBlocks: 0
; VGPRBlocks: 0
; NumSGPRsForWavesPerEU: 1
; NumVGPRsForWavesPerEU: 1
; Occupancy: 16
; WaveLimiterHint : 0
; COMPUTE_PGM_RSRC2:SCRATCH_EN: 0
; COMPUTE_PGM_RSRC2:USER_SGPR: 2
; COMPUTE_PGM_RSRC2:TRAP_HANDLER: 0
; COMPUTE_PGM_RSRC2:TGID_X_EN: 1
; COMPUTE_PGM_RSRC2:TGID_Y_EN: 0
; COMPUTE_PGM_RSRC2:TGID_Z_EN: 0
; COMPUTE_PGM_RSRC2:TIDIG_COMP_CNT: 0
	.section	.text._ZN7rocprim17ROCPRIM_400000_NS6detail17trampoline_kernelINS0_13select_configILj256ELj13ELNS0_17block_load_methodE3ELS4_3ELS4_3ELNS0_20block_scan_algorithmE0ELj4294967295EEENS1_25partition_config_selectorILNS1_17partition_subalgoE4EjNS0_10empty_typeEbEEZZNS1_14partition_implILS8_4ELb0ES6_15HIP_vector_typeIjLj2EENS0_17counting_iteratorIjlEEPS9_SG_NS0_5tupleIJPjSI_NS0_16reverse_iteratorISI_EEEEENSH_IJSG_SG_SG_EEES9_SI_JZNS1_25segmented_radix_sort_implINS0_14default_configELb0EPKhPhPKlPlN2at6native12_GLOBAL__N_18offset_tEEE10hipError_tPvRmT1_PNSt15iterator_traitsIS12_E10value_typeET2_T3_PNS13_IS18_E10value_typeET4_jRbjT5_S1E_jjP12ihipStream_tbEUljE_ZNSN_ISO_Lb0ESQ_SR_ST_SU_SY_EESZ_S10_S11_S12_S16_S17_S18_S1B_S1C_jS1D_jS1E_S1E_jjS1G_bEUljE0_EEESZ_S10_S11_S18_S1C_S1E_T6_T7_T9_mT8_S1G_bDpT10_ENKUlT_T0_E_clISt17integral_constantIbLb1EES1U_EEDaS1P_S1Q_EUlS1P_E_NS1_11comp_targetILNS1_3genE8ELNS1_11target_archE1030ELNS1_3gpuE2ELNS1_3repE0EEENS1_30default_config_static_selectorELNS0_4arch9wavefront6targetE0EEEvS12_,"axG",@progbits,_ZN7rocprim17ROCPRIM_400000_NS6detail17trampoline_kernelINS0_13select_configILj256ELj13ELNS0_17block_load_methodE3ELS4_3ELS4_3ELNS0_20block_scan_algorithmE0ELj4294967295EEENS1_25partition_config_selectorILNS1_17partition_subalgoE4EjNS0_10empty_typeEbEEZZNS1_14partition_implILS8_4ELb0ES6_15HIP_vector_typeIjLj2EENS0_17counting_iteratorIjlEEPS9_SG_NS0_5tupleIJPjSI_NS0_16reverse_iteratorISI_EEEEENSH_IJSG_SG_SG_EEES9_SI_JZNS1_25segmented_radix_sort_implINS0_14default_configELb0EPKhPhPKlPlN2at6native12_GLOBAL__N_18offset_tEEE10hipError_tPvRmT1_PNSt15iterator_traitsIS12_E10value_typeET2_T3_PNS13_IS18_E10value_typeET4_jRbjT5_S1E_jjP12ihipStream_tbEUljE_ZNSN_ISO_Lb0ESQ_SR_ST_SU_SY_EESZ_S10_S11_S12_S16_S17_S18_S1B_S1C_jS1D_jS1E_S1E_jjS1G_bEUljE0_EEESZ_S10_S11_S18_S1C_S1E_T6_T7_T9_mT8_S1G_bDpT10_ENKUlT_T0_E_clISt17integral_constantIbLb1EES1U_EEDaS1P_S1Q_EUlS1P_E_NS1_11comp_targetILNS1_3genE8ELNS1_11target_archE1030ELNS1_3gpuE2ELNS1_3repE0EEENS1_30default_config_static_selectorELNS0_4arch9wavefront6targetE0EEEvS12_,comdat
	.globl	_ZN7rocprim17ROCPRIM_400000_NS6detail17trampoline_kernelINS0_13select_configILj256ELj13ELNS0_17block_load_methodE3ELS4_3ELS4_3ELNS0_20block_scan_algorithmE0ELj4294967295EEENS1_25partition_config_selectorILNS1_17partition_subalgoE4EjNS0_10empty_typeEbEEZZNS1_14partition_implILS8_4ELb0ES6_15HIP_vector_typeIjLj2EENS0_17counting_iteratorIjlEEPS9_SG_NS0_5tupleIJPjSI_NS0_16reverse_iteratorISI_EEEEENSH_IJSG_SG_SG_EEES9_SI_JZNS1_25segmented_radix_sort_implINS0_14default_configELb0EPKhPhPKlPlN2at6native12_GLOBAL__N_18offset_tEEE10hipError_tPvRmT1_PNSt15iterator_traitsIS12_E10value_typeET2_T3_PNS13_IS18_E10value_typeET4_jRbjT5_S1E_jjP12ihipStream_tbEUljE_ZNSN_ISO_Lb0ESQ_SR_ST_SU_SY_EESZ_S10_S11_S12_S16_S17_S18_S1B_S1C_jS1D_jS1E_S1E_jjS1G_bEUljE0_EEESZ_S10_S11_S18_S1C_S1E_T6_T7_T9_mT8_S1G_bDpT10_ENKUlT_T0_E_clISt17integral_constantIbLb1EES1U_EEDaS1P_S1Q_EUlS1P_E_NS1_11comp_targetILNS1_3genE8ELNS1_11target_archE1030ELNS1_3gpuE2ELNS1_3repE0EEENS1_30default_config_static_selectorELNS0_4arch9wavefront6targetE0EEEvS12_ ; -- Begin function _ZN7rocprim17ROCPRIM_400000_NS6detail17trampoline_kernelINS0_13select_configILj256ELj13ELNS0_17block_load_methodE3ELS4_3ELS4_3ELNS0_20block_scan_algorithmE0ELj4294967295EEENS1_25partition_config_selectorILNS1_17partition_subalgoE4EjNS0_10empty_typeEbEEZZNS1_14partition_implILS8_4ELb0ES6_15HIP_vector_typeIjLj2EENS0_17counting_iteratorIjlEEPS9_SG_NS0_5tupleIJPjSI_NS0_16reverse_iteratorISI_EEEEENSH_IJSG_SG_SG_EEES9_SI_JZNS1_25segmented_radix_sort_implINS0_14default_configELb0EPKhPhPKlPlN2at6native12_GLOBAL__N_18offset_tEEE10hipError_tPvRmT1_PNSt15iterator_traitsIS12_E10value_typeET2_T3_PNS13_IS18_E10value_typeET4_jRbjT5_S1E_jjP12ihipStream_tbEUljE_ZNSN_ISO_Lb0ESQ_SR_ST_SU_SY_EESZ_S10_S11_S12_S16_S17_S18_S1B_S1C_jS1D_jS1E_S1E_jjS1G_bEUljE0_EEESZ_S10_S11_S18_S1C_S1E_T6_T7_T9_mT8_S1G_bDpT10_ENKUlT_T0_E_clISt17integral_constantIbLb1EES1U_EEDaS1P_S1Q_EUlS1P_E_NS1_11comp_targetILNS1_3genE8ELNS1_11target_archE1030ELNS1_3gpuE2ELNS1_3repE0EEENS1_30default_config_static_selectorELNS0_4arch9wavefront6targetE0EEEvS12_
	.p2align	8
	.type	_ZN7rocprim17ROCPRIM_400000_NS6detail17trampoline_kernelINS0_13select_configILj256ELj13ELNS0_17block_load_methodE3ELS4_3ELS4_3ELNS0_20block_scan_algorithmE0ELj4294967295EEENS1_25partition_config_selectorILNS1_17partition_subalgoE4EjNS0_10empty_typeEbEEZZNS1_14partition_implILS8_4ELb0ES6_15HIP_vector_typeIjLj2EENS0_17counting_iteratorIjlEEPS9_SG_NS0_5tupleIJPjSI_NS0_16reverse_iteratorISI_EEEEENSH_IJSG_SG_SG_EEES9_SI_JZNS1_25segmented_radix_sort_implINS0_14default_configELb0EPKhPhPKlPlN2at6native12_GLOBAL__N_18offset_tEEE10hipError_tPvRmT1_PNSt15iterator_traitsIS12_E10value_typeET2_T3_PNS13_IS18_E10value_typeET4_jRbjT5_S1E_jjP12ihipStream_tbEUljE_ZNSN_ISO_Lb0ESQ_SR_ST_SU_SY_EESZ_S10_S11_S12_S16_S17_S18_S1B_S1C_jS1D_jS1E_S1E_jjS1G_bEUljE0_EEESZ_S10_S11_S18_S1C_S1E_T6_T7_T9_mT8_S1G_bDpT10_ENKUlT_T0_E_clISt17integral_constantIbLb1EES1U_EEDaS1P_S1Q_EUlS1P_E_NS1_11comp_targetILNS1_3genE8ELNS1_11target_archE1030ELNS1_3gpuE2ELNS1_3repE0EEENS1_30default_config_static_selectorELNS0_4arch9wavefront6targetE0EEEvS12_,@function
_ZN7rocprim17ROCPRIM_400000_NS6detail17trampoline_kernelINS0_13select_configILj256ELj13ELNS0_17block_load_methodE3ELS4_3ELS4_3ELNS0_20block_scan_algorithmE0ELj4294967295EEENS1_25partition_config_selectorILNS1_17partition_subalgoE4EjNS0_10empty_typeEbEEZZNS1_14partition_implILS8_4ELb0ES6_15HIP_vector_typeIjLj2EENS0_17counting_iteratorIjlEEPS9_SG_NS0_5tupleIJPjSI_NS0_16reverse_iteratorISI_EEEEENSH_IJSG_SG_SG_EEES9_SI_JZNS1_25segmented_radix_sort_implINS0_14default_configELb0EPKhPhPKlPlN2at6native12_GLOBAL__N_18offset_tEEE10hipError_tPvRmT1_PNSt15iterator_traitsIS12_E10value_typeET2_T3_PNS13_IS18_E10value_typeET4_jRbjT5_S1E_jjP12ihipStream_tbEUljE_ZNSN_ISO_Lb0ESQ_SR_ST_SU_SY_EESZ_S10_S11_S12_S16_S17_S18_S1B_S1C_jS1D_jS1E_S1E_jjS1G_bEUljE0_EEESZ_S10_S11_S18_S1C_S1E_T6_T7_T9_mT8_S1G_bDpT10_ENKUlT_T0_E_clISt17integral_constantIbLb1EES1U_EEDaS1P_S1Q_EUlS1P_E_NS1_11comp_targetILNS1_3genE8ELNS1_11target_archE1030ELNS1_3gpuE2ELNS1_3repE0EEENS1_30default_config_static_selectorELNS0_4arch9wavefront6targetE0EEEvS12_: ; @_ZN7rocprim17ROCPRIM_400000_NS6detail17trampoline_kernelINS0_13select_configILj256ELj13ELNS0_17block_load_methodE3ELS4_3ELS4_3ELNS0_20block_scan_algorithmE0ELj4294967295EEENS1_25partition_config_selectorILNS1_17partition_subalgoE4EjNS0_10empty_typeEbEEZZNS1_14partition_implILS8_4ELb0ES6_15HIP_vector_typeIjLj2EENS0_17counting_iteratorIjlEEPS9_SG_NS0_5tupleIJPjSI_NS0_16reverse_iteratorISI_EEEEENSH_IJSG_SG_SG_EEES9_SI_JZNS1_25segmented_radix_sort_implINS0_14default_configELb0EPKhPhPKlPlN2at6native12_GLOBAL__N_18offset_tEEE10hipError_tPvRmT1_PNSt15iterator_traitsIS12_E10value_typeET2_T3_PNS13_IS18_E10value_typeET4_jRbjT5_S1E_jjP12ihipStream_tbEUljE_ZNSN_ISO_Lb0ESQ_SR_ST_SU_SY_EESZ_S10_S11_S12_S16_S17_S18_S1B_S1C_jS1D_jS1E_S1E_jjS1G_bEUljE0_EEESZ_S10_S11_S18_S1C_S1E_T6_T7_T9_mT8_S1G_bDpT10_ENKUlT_T0_E_clISt17integral_constantIbLb1EES1U_EEDaS1P_S1Q_EUlS1P_E_NS1_11comp_targetILNS1_3genE8ELNS1_11target_archE1030ELNS1_3gpuE2ELNS1_3repE0EEENS1_30default_config_static_selectorELNS0_4arch9wavefront6targetE0EEEvS12_
; %bb.0:
	.section	.rodata,"a",@progbits
	.p2align	6, 0x0
	.amdhsa_kernel _ZN7rocprim17ROCPRIM_400000_NS6detail17trampoline_kernelINS0_13select_configILj256ELj13ELNS0_17block_load_methodE3ELS4_3ELS4_3ELNS0_20block_scan_algorithmE0ELj4294967295EEENS1_25partition_config_selectorILNS1_17partition_subalgoE4EjNS0_10empty_typeEbEEZZNS1_14partition_implILS8_4ELb0ES6_15HIP_vector_typeIjLj2EENS0_17counting_iteratorIjlEEPS9_SG_NS0_5tupleIJPjSI_NS0_16reverse_iteratorISI_EEEEENSH_IJSG_SG_SG_EEES9_SI_JZNS1_25segmented_radix_sort_implINS0_14default_configELb0EPKhPhPKlPlN2at6native12_GLOBAL__N_18offset_tEEE10hipError_tPvRmT1_PNSt15iterator_traitsIS12_E10value_typeET2_T3_PNS13_IS18_E10value_typeET4_jRbjT5_S1E_jjP12ihipStream_tbEUljE_ZNSN_ISO_Lb0ESQ_SR_ST_SU_SY_EESZ_S10_S11_S12_S16_S17_S18_S1B_S1C_jS1D_jS1E_S1E_jjS1G_bEUljE0_EEESZ_S10_S11_S18_S1C_S1E_T6_T7_T9_mT8_S1G_bDpT10_ENKUlT_T0_E_clISt17integral_constantIbLb1EES1U_EEDaS1P_S1Q_EUlS1P_E_NS1_11comp_targetILNS1_3genE8ELNS1_11target_archE1030ELNS1_3gpuE2ELNS1_3repE0EEENS1_30default_config_static_selectorELNS0_4arch9wavefront6targetE0EEEvS12_
		.amdhsa_group_segment_fixed_size 0
		.amdhsa_private_segment_fixed_size 0
		.amdhsa_kernarg_size 184
		.amdhsa_user_sgpr_count 2
		.amdhsa_user_sgpr_dispatch_ptr 0
		.amdhsa_user_sgpr_queue_ptr 0
		.amdhsa_user_sgpr_kernarg_segment_ptr 1
		.amdhsa_user_sgpr_dispatch_id 0
		.amdhsa_user_sgpr_private_segment_size 0
		.amdhsa_wavefront_size32 1
		.amdhsa_uses_dynamic_stack 0
		.amdhsa_enable_private_segment 0
		.amdhsa_system_sgpr_workgroup_id_x 1
		.amdhsa_system_sgpr_workgroup_id_y 0
		.amdhsa_system_sgpr_workgroup_id_z 0
		.amdhsa_system_sgpr_workgroup_info 0
		.amdhsa_system_vgpr_workitem_id 0
		.amdhsa_next_free_vgpr 1
		.amdhsa_next_free_sgpr 1
		.amdhsa_reserve_vcc 0
		.amdhsa_float_round_mode_32 0
		.amdhsa_float_round_mode_16_64 0
		.amdhsa_float_denorm_mode_32 3
		.amdhsa_float_denorm_mode_16_64 3
		.amdhsa_fp16_overflow 0
		.amdhsa_workgroup_processor_mode 1
		.amdhsa_memory_ordered 1
		.amdhsa_forward_progress 1
		.amdhsa_inst_pref_size 0
		.amdhsa_round_robin_scheduling 0
		.amdhsa_exception_fp_ieee_invalid_op 0
		.amdhsa_exception_fp_denorm_src 0
		.amdhsa_exception_fp_ieee_div_zero 0
		.amdhsa_exception_fp_ieee_overflow 0
		.amdhsa_exception_fp_ieee_underflow 0
		.amdhsa_exception_fp_ieee_inexact 0
		.amdhsa_exception_int_div_zero 0
	.end_amdhsa_kernel
	.section	.text._ZN7rocprim17ROCPRIM_400000_NS6detail17trampoline_kernelINS0_13select_configILj256ELj13ELNS0_17block_load_methodE3ELS4_3ELS4_3ELNS0_20block_scan_algorithmE0ELj4294967295EEENS1_25partition_config_selectorILNS1_17partition_subalgoE4EjNS0_10empty_typeEbEEZZNS1_14partition_implILS8_4ELb0ES6_15HIP_vector_typeIjLj2EENS0_17counting_iteratorIjlEEPS9_SG_NS0_5tupleIJPjSI_NS0_16reverse_iteratorISI_EEEEENSH_IJSG_SG_SG_EEES9_SI_JZNS1_25segmented_radix_sort_implINS0_14default_configELb0EPKhPhPKlPlN2at6native12_GLOBAL__N_18offset_tEEE10hipError_tPvRmT1_PNSt15iterator_traitsIS12_E10value_typeET2_T3_PNS13_IS18_E10value_typeET4_jRbjT5_S1E_jjP12ihipStream_tbEUljE_ZNSN_ISO_Lb0ESQ_SR_ST_SU_SY_EESZ_S10_S11_S12_S16_S17_S18_S1B_S1C_jS1D_jS1E_S1E_jjS1G_bEUljE0_EEESZ_S10_S11_S18_S1C_S1E_T6_T7_T9_mT8_S1G_bDpT10_ENKUlT_T0_E_clISt17integral_constantIbLb1EES1U_EEDaS1P_S1Q_EUlS1P_E_NS1_11comp_targetILNS1_3genE8ELNS1_11target_archE1030ELNS1_3gpuE2ELNS1_3repE0EEENS1_30default_config_static_selectorELNS0_4arch9wavefront6targetE0EEEvS12_,"axG",@progbits,_ZN7rocprim17ROCPRIM_400000_NS6detail17trampoline_kernelINS0_13select_configILj256ELj13ELNS0_17block_load_methodE3ELS4_3ELS4_3ELNS0_20block_scan_algorithmE0ELj4294967295EEENS1_25partition_config_selectorILNS1_17partition_subalgoE4EjNS0_10empty_typeEbEEZZNS1_14partition_implILS8_4ELb0ES6_15HIP_vector_typeIjLj2EENS0_17counting_iteratorIjlEEPS9_SG_NS0_5tupleIJPjSI_NS0_16reverse_iteratorISI_EEEEENSH_IJSG_SG_SG_EEES9_SI_JZNS1_25segmented_radix_sort_implINS0_14default_configELb0EPKhPhPKlPlN2at6native12_GLOBAL__N_18offset_tEEE10hipError_tPvRmT1_PNSt15iterator_traitsIS12_E10value_typeET2_T3_PNS13_IS18_E10value_typeET4_jRbjT5_S1E_jjP12ihipStream_tbEUljE_ZNSN_ISO_Lb0ESQ_SR_ST_SU_SY_EESZ_S10_S11_S12_S16_S17_S18_S1B_S1C_jS1D_jS1E_S1E_jjS1G_bEUljE0_EEESZ_S10_S11_S18_S1C_S1E_T6_T7_T9_mT8_S1G_bDpT10_ENKUlT_T0_E_clISt17integral_constantIbLb1EES1U_EEDaS1P_S1Q_EUlS1P_E_NS1_11comp_targetILNS1_3genE8ELNS1_11target_archE1030ELNS1_3gpuE2ELNS1_3repE0EEENS1_30default_config_static_selectorELNS0_4arch9wavefront6targetE0EEEvS12_,comdat
.Lfunc_end137:
	.size	_ZN7rocprim17ROCPRIM_400000_NS6detail17trampoline_kernelINS0_13select_configILj256ELj13ELNS0_17block_load_methodE3ELS4_3ELS4_3ELNS0_20block_scan_algorithmE0ELj4294967295EEENS1_25partition_config_selectorILNS1_17partition_subalgoE4EjNS0_10empty_typeEbEEZZNS1_14partition_implILS8_4ELb0ES6_15HIP_vector_typeIjLj2EENS0_17counting_iteratorIjlEEPS9_SG_NS0_5tupleIJPjSI_NS0_16reverse_iteratorISI_EEEEENSH_IJSG_SG_SG_EEES9_SI_JZNS1_25segmented_radix_sort_implINS0_14default_configELb0EPKhPhPKlPlN2at6native12_GLOBAL__N_18offset_tEEE10hipError_tPvRmT1_PNSt15iterator_traitsIS12_E10value_typeET2_T3_PNS13_IS18_E10value_typeET4_jRbjT5_S1E_jjP12ihipStream_tbEUljE_ZNSN_ISO_Lb0ESQ_SR_ST_SU_SY_EESZ_S10_S11_S12_S16_S17_S18_S1B_S1C_jS1D_jS1E_S1E_jjS1G_bEUljE0_EEESZ_S10_S11_S18_S1C_S1E_T6_T7_T9_mT8_S1G_bDpT10_ENKUlT_T0_E_clISt17integral_constantIbLb1EES1U_EEDaS1P_S1Q_EUlS1P_E_NS1_11comp_targetILNS1_3genE8ELNS1_11target_archE1030ELNS1_3gpuE2ELNS1_3repE0EEENS1_30default_config_static_selectorELNS0_4arch9wavefront6targetE0EEEvS12_, .Lfunc_end137-_ZN7rocprim17ROCPRIM_400000_NS6detail17trampoline_kernelINS0_13select_configILj256ELj13ELNS0_17block_load_methodE3ELS4_3ELS4_3ELNS0_20block_scan_algorithmE0ELj4294967295EEENS1_25partition_config_selectorILNS1_17partition_subalgoE4EjNS0_10empty_typeEbEEZZNS1_14partition_implILS8_4ELb0ES6_15HIP_vector_typeIjLj2EENS0_17counting_iteratorIjlEEPS9_SG_NS0_5tupleIJPjSI_NS0_16reverse_iteratorISI_EEEEENSH_IJSG_SG_SG_EEES9_SI_JZNS1_25segmented_radix_sort_implINS0_14default_configELb0EPKhPhPKlPlN2at6native12_GLOBAL__N_18offset_tEEE10hipError_tPvRmT1_PNSt15iterator_traitsIS12_E10value_typeET2_T3_PNS13_IS18_E10value_typeET4_jRbjT5_S1E_jjP12ihipStream_tbEUljE_ZNSN_ISO_Lb0ESQ_SR_ST_SU_SY_EESZ_S10_S11_S12_S16_S17_S18_S1B_S1C_jS1D_jS1E_S1E_jjS1G_bEUljE0_EEESZ_S10_S11_S18_S1C_S1E_T6_T7_T9_mT8_S1G_bDpT10_ENKUlT_T0_E_clISt17integral_constantIbLb1EES1U_EEDaS1P_S1Q_EUlS1P_E_NS1_11comp_targetILNS1_3genE8ELNS1_11target_archE1030ELNS1_3gpuE2ELNS1_3repE0EEENS1_30default_config_static_selectorELNS0_4arch9wavefront6targetE0EEEvS12_
                                        ; -- End function
	.set _ZN7rocprim17ROCPRIM_400000_NS6detail17trampoline_kernelINS0_13select_configILj256ELj13ELNS0_17block_load_methodE3ELS4_3ELS4_3ELNS0_20block_scan_algorithmE0ELj4294967295EEENS1_25partition_config_selectorILNS1_17partition_subalgoE4EjNS0_10empty_typeEbEEZZNS1_14partition_implILS8_4ELb0ES6_15HIP_vector_typeIjLj2EENS0_17counting_iteratorIjlEEPS9_SG_NS0_5tupleIJPjSI_NS0_16reverse_iteratorISI_EEEEENSH_IJSG_SG_SG_EEES9_SI_JZNS1_25segmented_radix_sort_implINS0_14default_configELb0EPKhPhPKlPlN2at6native12_GLOBAL__N_18offset_tEEE10hipError_tPvRmT1_PNSt15iterator_traitsIS12_E10value_typeET2_T3_PNS13_IS18_E10value_typeET4_jRbjT5_S1E_jjP12ihipStream_tbEUljE_ZNSN_ISO_Lb0ESQ_SR_ST_SU_SY_EESZ_S10_S11_S12_S16_S17_S18_S1B_S1C_jS1D_jS1E_S1E_jjS1G_bEUljE0_EEESZ_S10_S11_S18_S1C_S1E_T6_T7_T9_mT8_S1G_bDpT10_ENKUlT_T0_E_clISt17integral_constantIbLb1EES1U_EEDaS1P_S1Q_EUlS1P_E_NS1_11comp_targetILNS1_3genE8ELNS1_11target_archE1030ELNS1_3gpuE2ELNS1_3repE0EEENS1_30default_config_static_selectorELNS0_4arch9wavefront6targetE0EEEvS12_.num_vgpr, 0
	.set _ZN7rocprim17ROCPRIM_400000_NS6detail17trampoline_kernelINS0_13select_configILj256ELj13ELNS0_17block_load_methodE3ELS4_3ELS4_3ELNS0_20block_scan_algorithmE0ELj4294967295EEENS1_25partition_config_selectorILNS1_17partition_subalgoE4EjNS0_10empty_typeEbEEZZNS1_14partition_implILS8_4ELb0ES6_15HIP_vector_typeIjLj2EENS0_17counting_iteratorIjlEEPS9_SG_NS0_5tupleIJPjSI_NS0_16reverse_iteratorISI_EEEEENSH_IJSG_SG_SG_EEES9_SI_JZNS1_25segmented_radix_sort_implINS0_14default_configELb0EPKhPhPKlPlN2at6native12_GLOBAL__N_18offset_tEEE10hipError_tPvRmT1_PNSt15iterator_traitsIS12_E10value_typeET2_T3_PNS13_IS18_E10value_typeET4_jRbjT5_S1E_jjP12ihipStream_tbEUljE_ZNSN_ISO_Lb0ESQ_SR_ST_SU_SY_EESZ_S10_S11_S12_S16_S17_S18_S1B_S1C_jS1D_jS1E_S1E_jjS1G_bEUljE0_EEESZ_S10_S11_S18_S1C_S1E_T6_T7_T9_mT8_S1G_bDpT10_ENKUlT_T0_E_clISt17integral_constantIbLb1EES1U_EEDaS1P_S1Q_EUlS1P_E_NS1_11comp_targetILNS1_3genE8ELNS1_11target_archE1030ELNS1_3gpuE2ELNS1_3repE0EEENS1_30default_config_static_selectorELNS0_4arch9wavefront6targetE0EEEvS12_.num_agpr, 0
	.set _ZN7rocprim17ROCPRIM_400000_NS6detail17trampoline_kernelINS0_13select_configILj256ELj13ELNS0_17block_load_methodE3ELS4_3ELS4_3ELNS0_20block_scan_algorithmE0ELj4294967295EEENS1_25partition_config_selectorILNS1_17partition_subalgoE4EjNS0_10empty_typeEbEEZZNS1_14partition_implILS8_4ELb0ES6_15HIP_vector_typeIjLj2EENS0_17counting_iteratorIjlEEPS9_SG_NS0_5tupleIJPjSI_NS0_16reverse_iteratorISI_EEEEENSH_IJSG_SG_SG_EEES9_SI_JZNS1_25segmented_radix_sort_implINS0_14default_configELb0EPKhPhPKlPlN2at6native12_GLOBAL__N_18offset_tEEE10hipError_tPvRmT1_PNSt15iterator_traitsIS12_E10value_typeET2_T3_PNS13_IS18_E10value_typeET4_jRbjT5_S1E_jjP12ihipStream_tbEUljE_ZNSN_ISO_Lb0ESQ_SR_ST_SU_SY_EESZ_S10_S11_S12_S16_S17_S18_S1B_S1C_jS1D_jS1E_S1E_jjS1G_bEUljE0_EEESZ_S10_S11_S18_S1C_S1E_T6_T7_T9_mT8_S1G_bDpT10_ENKUlT_T0_E_clISt17integral_constantIbLb1EES1U_EEDaS1P_S1Q_EUlS1P_E_NS1_11comp_targetILNS1_3genE8ELNS1_11target_archE1030ELNS1_3gpuE2ELNS1_3repE0EEENS1_30default_config_static_selectorELNS0_4arch9wavefront6targetE0EEEvS12_.numbered_sgpr, 0
	.set _ZN7rocprim17ROCPRIM_400000_NS6detail17trampoline_kernelINS0_13select_configILj256ELj13ELNS0_17block_load_methodE3ELS4_3ELS4_3ELNS0_20block_scan_algorithmE0ELj4294967295EEENS1_25partition_config_selectorILNS1_17partition_subalgoE4EjNS0_10empty_typeEbEEZZNS1_14partition_implILS8_4ELb0ES6_15HIP_vector_typeIjLj2EENS0_17counting_iteratorIjlEEPS9_SG_NS0_5tupleIJPjSI_NS0_16reverse_iteratorISI_EEEEENSH_IJSG_SG_SG_EEES9_SI_JZNS1_25segmented_radix_sort_implINS0_14default_configELb0EPKhPhPKlPlN2at6native12_GLOBAL__N_18offset_tEEE10hipError_tPvRmT1_PNSt15iterator_traitsIS12_E10value_typeET2_T3_PNS13_IS18_E10value_typeET4_jRbjT5_S1E_jjP12ihipStream_tbEUljE_ZNSN_ISO_Lb0ESQ_SR_ST_SU_SY_EESZ_S10_S11_S12_S16_S17_S18_S1B_S1C_jS1D_jS1E_S1E_jjS1G_bEUljE0_EEESZ_S10_S11_S18_S1C_S1E_T6_T7_T9_mT8_S1G_bDpT10_ENKUlT_T0_E_clISt17integral_constantIbLb1EES1U_EEDaS1P_S1Q_EUlS1P_E_NS1_11comp_targetILNS1_3genE8ELNS1_11target_archE1030ELNS1_3gpuE2ELNS1_3repE0EEENS1_30default_config_static_selectorELNS0_4arch9wavefront6targetE0EEEvS12_.num_named_barrier, 0
	.set _ZN7rocprim17ROCPRIM_400000_NS6detail17trampoline_kernelINS0_13select_configILj256ELj13ELNS0_17block_load_methodE3ELS4_3ELS4_3ELNS0_20block_scan_algorithmE0ELj4294967295EEENS1_25partition_config_selectorILNS1_17partition_subalgoE4EjNS0_10empty_typeEbEEZZNS1_14partition_implILS8_4ELb0ES6_15HIP_vector_typeIjLj2EENS0_17counting_iteratorIjlEEPS9_SG_NS0_5tupleIJPjSI_NS0_16reverse_iteratorISI_EEEEENSH_IJSG_SG_SG_EEES9_SI_JZNS1_25segmented_radix_sort_implINS0_14default_configELb0EPKhPhPKlPlN2at6native12_GLOBAL__N_18offset_tEEE10hipError_tPvRmT1_PNSt15iterator_traitsIS12_E10value_typeET2_T3_PNS13_IS18_E10value_typeET4_jRbjT5_S1E_jjP12ihipStream_tbEUljE_ZNSN_ISO_Lb0ESQ_SR_ST_SU_SY_EESZ_S10_S11_S12_S16_S17_S18_S1B_S1C_jS1D_jS1E_S1E_jjS1G_bEUljE0_EEESZ_S10_S11_S18_S1C_S1E_T6_T7_T9_mT8_S1G_bDpT10_ENKUlT_T0_E_clISt17integral_constantIbLb1EES1U_EEDaS1P_S1Q_EUlS1P_E_NS1_11comp_targetILNS1_3genE8ELNS1_11target_archE1030ELNS1_3gpuE2ELNS1_3repE0EEENS1_30default_config_static_selectorELNS0_4arch9wavefront6targetE0EEEvS12_.private_seg_size, 0
	.set _ZN7rocprim17ROCPRIM_400000_NS6detail17trampoline_kernelINS0_13select_configILj256ELj13ELNS0_17block_load_methodE3ELS4_3ELS4_3ELNS0_20block_scan_algorithmE0ELj4294967295EEENS1_25partition_config_selectorILNS1_17partition_subalgoE4EjNS0_10empty_typeEbEEZZNS1_14partition_implILS8_4ELb0ES6_15HIP_vector_typeIjLj2EENS0_17counting_iteratorIjlEEPS9_SG_NS0_5tupleIJPjSI_NS0_16reverse_iteratorISI_EEEEENSH_IJSG_SG_SG_EEES9_SI_JZNS1_25segmented_radix_sort_implINS0_14default_configELb0EPKhPhPKlPlN2at6native12_GLOBAL__N_18offset_tEEE10hipError_tPvRmT1_PNSt15iterator_traitsIS12_E10value_typeET2_T3_PNS13_IS18_E10value_typeET4_jRbjT5_S1E_jjP12ihipStream_tbEUljE_ZNSN_ISO_Lb0ESQ_SR_ST_SU_SY_EESZ_S10_S11_S12_S16_S17_S18_S1B_S1C_jS1D_jS1E_S1E_jjS1G_bEUljE0_EEESZ_S10_S11_S18_S1C_S1E_T6_T7_T9_mT8_S1G_bDpT10_ENKUlT_T0_E_clISt17integral_constantIbLb1EES1U_EEDaS1P_S1Q_EUlS1P_E_NS1_11comp_targetILNS1_3genE8ELNS1_11target_archE1030ELNS1_3gpuE2ELNS1_3repE0EEENS1_30default_config_static_selectorELNS0_4arch9wavefront6targetE0EEEvS12_.uses_vcc, 0
	.set _ZN7rocprim17ROCPRIM_400000_NS6detail17trampoline_kernelINS0_13select_configILj256ELj13ELNS0_17block_load_methodE3ELS4_3ELS4_3ELNS0_20block_scan_algorithmE0ELj4294967295EEENS1_25partition_config_selectorILNS1_17partition_subalgoE4EjNS0_10empty_typeEbEEZZNS1_14partition_implILS8_4ELb0ES6_15HIP_vector_typeIjLj2EENS0_17counting_iteratorIjlEEPS9_SG_NS0_5tupleIJPjSI_NS0_16reverse_iteratorISI_EEEEENSH_IJSG_SG_SG_EEES9_SI_JZNS1_25segmented_radix_sort_implINS0_14default_configELb0EPKhPhPKlPlN2at6native12_GLOBAL__N_18offset_tEEE10hipError_tPvRmT1_PNSt15iterator_traitsIS12_E10value_typeET2_T3_PNS13_IS18_E10value_typeET4_jRbjT5_S1E_jjP12ihipStream_tbEUljE_ZNSN_ISO_Lb0ESQ_SR_ST_SU_SY_EESZ_S10_S11_S12_S16_S17_S18_S1B_S1C_jS1D_jS1E_S1E_jjS1G_bEUljE0_EEESZ_S10_S11_S18_S1C_S1E_T6_T7_T9_mT8_S1G_bDpT10_ENKUlT_T0_E_clISt17integral_constantIbLb1EES1U_EEDaS1P_S1Q_EUlS1P_E_NS1_11comp_targetILNS1_3genE8ELNS1_11target_archE1030ELNS1_3gpuE2ELNS1_3repE0EEENS1_30default_config_static_selectorELNS0_4arch9wavefront6targetE0EEEvS12_.uses_flat_scratch, 0
	.set _ZN7rocprim17ROCPRIM_400000_NS6detail17trampoline_kernelINS0_13select_configILj256ELj13ELNS0_17block_load_methodE3ELS4_3ELS4_3ELNS0_20block_scan_algorithmE0ELj4294967295EEENS1_25partition_config_selectorILNS1_17partition_subalgoE4EjNS0_10empty_typeEbEEZZNS1_14partition_implILS8_4ELb0ES6_15HIP_vector_typeIjLj2EENS0_17counting_iteratorIjlEEPS9_SG_NS0_5tupleIJPjSI_NS0_16reverse_iteratorISI_EEEEENSH_IJSG_SG_SG_EEES9_SI_JZNS1_25segmented_radix_sort_implINS0_14default_configELb0EPKhPhPKlPlN2at6native12_GLOBAL__N_18offset_tEEE10hipError_tPvRmT1_PNSt15iterator_traitsIS12_E10value_typeET2_T3_PNS13_IS18_E10value_typeET4_jRbjT5_S1E_jjP12ihipStream_tbEUljE_ZNSN_ISO_Lb0ESQ_SR_ST_SU_SY_EESZ_S10_S11_S12_S16_S17_S18_S1B_S1C_jS1D_jS1E_S1E_jjS1G_bEUljE0_EEESZ_S10_S11_S18_S1C_S1E_T6_T7_T9_mT8_S1G_bDpT10_ENKUlT_T0_E_clISt17integral_constantIbLb1EES1U_EEDaS1P_S1Q_EUlS1P_E_NS1_11comp_targetILNS1_3genE8ELNS1_11target_archE1030ELNS1_3gpuE2ELNS1_3repE0EEENS1_30default_config_static_selectorELNS0_4arch9wavefront6targetE0EEEvS12_.has_dyn_sized_stack, 0
	.set _ZN7rocprim17ROCPRIM_400000_NS6detail17trampoline_kernelINS0_13select_configILj256ELj13ELNS0_17block_load_methodE3ELS4_3ELS4_3ELNS0_20block_scan_algorithmE0ELj4294967295EEENS1_25partition_config_selectorILNS1_17partition_subalgoE4EjNS0_10empty_typeEbEEZZNS1_14partition_implILS8_4ELb0ES6_15HIP_vector_typeIjLj2EENS0_17counting_iteratorIjlEEPS9_SG_NS0_5tupleIJPjSI_NS0_16reverse_iteratorISI_EEEEENSH_IJSG_SG_SG_EEES9_SI_JZNS1_25segmented_radix_sort_implINS0_14default_configELb0EPKhPhPKlPlN2at6native12_GLOBAL__N_18offset_tEEE10hipError_tPvRmT1_PNSt15iterator_traitsIS12_E10value_typeET2_T3_PNS13_IS18_E10value_typeET4_jRbjT5_S1E_jjP12ihipStream_tbEUljE_ZNSN_ISO_Lb0ESQ_SR_ST_SU_SY_EESZ_S10_S11_S12_S16_S17_S18_S1B_S1C_jS1D_jS1E_S1E_jjS1G_bEUljE0_EEESZ_S10_S11_S18_S1C_S1E_T6_T7_T9_mT8_S1G_bDpT10_ENKUlT_T0_E_clISt17integral_constantIbLb1EES1U_EEDaS1P_S1Q_EUlS1P_E_NS1_11comp_targetILNS1_3genE8ELNS1_11target_archE1030ELNS1_3gpuE2ELNS1_3repE0EEENS1_30default_config_static_selectorELNS0_4arch9wavefront6targetE0EEEvS12_.has_recursion, 0
	.set _ZN7rocprim17ROCPRIM_400000_NS6detail17trampoline_kernelINS0_13select_configILj256ELj13ELNS0_17block_load_methodE3ELS4_3ELS4_3ELNS0_20block_scan_algorithmE0ELj4294967295EEENS1_25partition_config_selectorILNS1_17partition_subalgoE4EjNS0_10empty_typeEbEEZZNS1_14partition_implILS8_4ELb0ES6_15HIP_vector_typeIjLj2EENS0_17counting_iteratorIjlEEPS9_SG_NS0_5tupleIJPjSI_NS0_16reverse_iteratorISI_EEEEENSH_IJSG_SG_SG_EEES9_SI_JZNS1_25segmented_radix_sort_implINS0_14default_configELb0EPKhPhPKlPlN2at6native12_GLOBAL__N_18offset_tEEE10hipError_tPvRmT1_PNSt15iterator_traitsIS12_E10value_typeET2_T3_PNS13_IS18_E10value_typeET4_jRbjT5_S1E_jjP12ihipStream_tbEUljE_ZNSN_ISO_Lb0ESQ_SR_ST_SU_SY_EESZ_S10_S11_S12_S16_S17_S18_S1B_S1C_jS1D_jS1E_S1E_jjS1G_bEUljE0_EEESZ_S10_S11_S18_S1C_S1E_T6_T7_T9_mT8_S1G_bDpT10_ENKUlT_T0_E_clISt17integral_constantIbLb1EES1U_EEDaS1P_S1Q_EUlS1P_E_NS1_11comp_targetILNS1_3genE8ELNS1_11target_archE1030ELNS1_3gpuE2ELNS1_3repE0EEENS1_30default_config_static_selectorELNS0_4arch9wavefront6targetE0EEEvS12_.has_indirect_call, 0
	.section	.AMDGPU.csdata,"",@progbits
; Kernel info:
; codeLenInByte = 0
; TotalNumSgprs: 0
; NumVgprs: 0
; ScratchSize: 0
; MemoryBound: 0
; FloatMode: 240
; IeeeMode: 1
; LDSByteSize: 0 bytes/workgroup (compile time only)
; SGPRBlocks: 0
; VGPRBlocks: 0
; NumSGPRsForWavesPerEU: 1
; NumVGPRsForWavesPerEU: 1
; Occupancy: 16
; WaveLimiterHint : 0
; COMPUTE_PGM_RSRC2:SCRATCH_EN: 0
; COMPUTE_PGM_RSRC2:USER_SGPR: 2
; COMPUTE_PGM_RSRC2:TRAP_HANDLER: 0
; COMPUTE_PGM_RSRC2:TGID_X_EN: 1
; COMPUTE_PGM_RSRC2:TGID_Y_EN: 0
; COMPUTE_PGM_RSRC2:TGID_Z_EN: 0
; COMPUTE_PGM_RSRC2:TIDIG_COMP_CNT: 0
	.section	.text._ZN7rocprim17ROCPRIM_400000_NS6detail17trampoline_kernelINS0_13select_configILj256ELj13ELNS0_17block_load_methodE3ELS4_3ELS4_3ELNS0_20block_scan_algorithmE0ELj4294967295EEENS1_25partition_config_selectorILNS1_17partition_subalgoE4EjNS0_10empty_typeEbEEZZNS1_14partition_implILS8_4ELb0ES6_15HIP_vector_typeIjLj2EENS0_17counting_iteratorIjlEEPS9_SG_NS0_5tupleIJPjSI_NS0_16reverse_iteratorISI_EEEEENSH_IJSG_SG_SG_EEES9_SI_JZNS1_25segmented_radix_sort_implINS0_14default_configELb0EPKhPhPKlPlN2at6native12_GLOBAL__N_18offset_tEEE10hipError_tPvRmT1_PNSt15iterator_traitsIS12_E10value_typeET2_T3_PNS13_IS18_E10value_typeET4_jRbjT5_S1E_jjP12ihipStream_tbEUljE_ZNSN_ISO_Lb0ESQ_SR_ST_SU_SY_EESZ_S10_S11_S12_S16_S17_S18_S1B_S1C_jS1D_jS1E_S1E_jjS1G_bEUljE0_EEESZ_S10_S11_S18_S1C_S1E_T6_T7_T9_mT8_S1G_bDpT10_ENKUlT_T0_E_clISt17integral_constantIbLb1EES1T_IbLb0EEEEDaS1P_S1Q_EUlS1P_E_NS1_11comp_targetILNS1_3genE0ELNS1_11target_archE4294967295ELNS1_3gpuE0ELNS1_3repE0EEENS1_30default_config_static_selectorELNS0_4arch9wavefront6targetE0EEEvS12_,"axG",@progbits,_ZN7rocprim17ROCPRIM_400000_NS6detail17trampoline_kernelINS0_13select_configILj256ELj13ELNS0_17block_load_methodE3ELS4_3ELS4_3ELNS0_20block_scan_algorithmE0ELj4294967295EEENS1_25partition_config_selectorILNS1_17partition_subalgoE4EjNS0_10empty_typeEbEEZZNS1_14partition_implILS8_4ELb0ES6_15HIP_vector_typeIjLj2EENS0_17counting_iteratorIjlEEPS9_SG_NS0_5tupleIJPjSI_NS0_16reverse_iteratorISI_EEEEENSH_IJSG_SG_SG_EEES9_SI_JZNS1_25segmented_radix_sort_implINS0_14default_configELb0EPKhPhPKlPlN2at6native12_GLOBAL__N_18offset_tEEE10hipError_tPvRmT1_PNSt15iterator_traitsIS12_E10value_typeET2_T3_PNS13_IS18_E10value_typeET4_jRbjT5_S1E_jjP12ihipStream_tbEUljE_ZNSN_ISO_Lb0ESQ_SR_ST_SU_SY_EESZ_S10_S11_S12_S16_S17_S18_S1B_S1C_jS1D_jS1E_S1E_jjS1G_bEUljE0_EEESZ_S10_S11_S18_S1C_S1E_T6_T7_T9_mT8_S1G_bDpT10_ENKUlT_T0_E_clISt17integral_constantIbLb1EES1T_IbLb0EEEEDaS1P_S1Q_EUlS1P_E_NS1_11comp_targetILNS1_3genE0ELNS1_11target_archE4294967295ELNS1_3gpuE0ELNS1_3repE0EEENS1_30default_config_static_selectorELNS0_4arch9wavefront6targetE0EEEvS12_,comdat
	.globl	_ZN7rocprim17ROCPRIM_400000_NS6detail17trampoline_kernelINS0_13select_configILj256ELj13ELNS0_17block_load_methodE3ELS4_3ELS4_3ELNS0_20block_scan_algorithmE0ELj4294967295EEENS1_25partition_config_selectorILNS1_17partition_subalgoE4EjNS0_10empty_typeEbEEZZNS1_14partition_implILS8_4ELb0ES6_15HIP_vector_typeIjLj2EENS0_17counting_iteratorIjlEEPS9_SG_NS0_5tupleIJPjSI_NS0_16reverse_iteratorISI_EEEEENSH_IJSG_SG_SG_EEES9_SI_JZNS1_25segmented_radix_sort_implINS0_14default_configELb0EPKhPhPKlPlN2at6native12_GLOBAL__N_18offset_tEEE10hipError_tPvRmT1_PNSt15iterator_traitsIS12_E10value_typeET2_T3_PNS13_IS18_E10value_typeET4_jRbjT5_S1E_jjP12ihipStream_tbEUljE_ZNSN_ISO_Lb0ESQ_SR_ST_SU_SY_EESZ_S10_S11_S12_S16_S17_S18_S1B_S1C_jS1D_jS1E_S1E_jjS1G_bEUljE0_EEESZ_S10_S11_S18_S1C_S1E_T6_T7_T9_mT8_S1G_bDpT10_ENKUlT_T0_E_clISt17integral_constantIbLb1EES1T_IbLb0EEEEDaS1P_S1Q_EUlS1P_E_NS1_11comp_targetILNS1_3genE0ELNS1_11target_archE4294967295ELNS1_3gpuE0ELNS1_3repE0EEENS1_30default_config_static_selectorELNS0_4arch9wavefront6targetE0EEEvS12_ ; -- Begin function _ZN7rocprim17ROCPRIM_400000_NS6detail17trampoline_kernelINS0_13select_configILj256ELj13ELNS0_17block_load_methodE3ELS4_3ELS4_3ELNS0_20block_scan_algorithmE0ELj4294967295EEENS1_25partition_config_selectorILNS1_17partition_subalgoE4EjNS0_10empty_typeEbEEZZNS1_14partition_implILS8_4ELb0ES6_15HIP_vector_typeIjLj2EENS0_17counting_iteratorIjlEEPS9_SG_NS0_5tupleIJPjSI_NS0_16reverse_iteratorISI_EEEEENSH_IJSG_SG_SG_EEES9_SI_JZNS1_25segmented_radix_sort_implINS0_14default_configELb0EPKhPhPKlPlN2at6native12_GLOBAL__N_18offset_tEEE10hipError_tPvRmT1_PNSt15iterator_traitsIS12_E10value_typeET2_T3_PNS13_IS18_E10value_typeET4_jRbjT5_S1E_jjP12ihipStream_tbEUljE_ZNSN_ISO_Lb0ESQ_SR_ST_SU_SY_EESZ_S10_S11_S12_S16_S17_S18_S1B_S1C_jS1D_jS1E_S1E_jjS1G_bEUljE0_EEESZ_S10_S11_S18_S1C_S1E_T6_T7_T9_mT8_S1G_bDpT10_ENKUlT_T0_E_clISt17integral_constantIbLb1EES1T_IbLb0EEEEDaS1P_S1Q_EUlS1P_E_NS1_11comp_targetILNS1_3genE0ELNS1_11target_archE4294967295ELNS1_3gpuE0ELNS1_3repE0EEENS1_30default_config_static_selectorELNS0_4arch9wavefront6targetE0EEEvS12_
	.p2align	8
	.type	_ZN7rocprim17ROCPRIM_400000_NS6detail17trampoline_kernelINS0_13select_configILj256ELj13ELNS0_17block_load_methodE3ELS4_3ELS4_3ELNS0_20block_scan_algorithmE0ELj4294967295EEENS1_25partition_config_selectorILNS1_17partition_subalgoE4EjNS0_10empty_typeEbEEZZNS1_14partition_implILS8_4ELb0ES6_15HIP_vector_typeIjLj2EENS0_17counting_iteratorIjlEEPS9_SG_NS0_5tupleIJPjSI_NS0_16reverse_iteratorISI_EEEEENSH_IJSG_SG_SG_EEES9_SI_JZNS1_25segmented_radix_sort_implINS0_14default_configELb0EPKhPhPKlPlN2at6native12_GLOBAL__N_18offset_tEEE10hipError_tPvRmT1_PNSt15iterator_traitsIS12_E10value_typeET2_T3_PNS13_IS18_E10value_typeET4_jRbjT5_S1E_jjP12ihipStream_tbEUljE_ZNSN_ISO_Lb0ESQ_SR_ST_SU_SY_EESZ_S10_S11_S12_S16_S17_S18_S1B_S1C_jS1D_jS1E_S1E_jjS1G_bEUljE0_EEESZ_S10_S11_S18_S1C_S1E_T6_T7_T9_mT8_S1G_bDpT10_ENKUlT_T0_E_clISt17integral_constantIbLb1EES1T_IbLb0EEEEDaS1P_S1Q_EUlS1P_E_NS1_11comp_targetILNS1_3genE0ELNS1_11target_archE4294967295ELNS1_3gpuE0ELNS1_3repE0EEENS1_30default_config_static_selectorELNS0_4arch9wavefront6targetE0EEEvS12_,@function
_ZN7rocprim17ROCPRIM_400000_NS6detail17trampoline_kernelINS0_13select_configILj256ELj13ELNS0_17block_load_methodE3ELS4_3ELS4_3ELNS0_20block_scan_algorithmE0ELj4294967295EEENS1_25partition_config_selectorILNS1_17partition_subalgoE4EjNS0_10empty_typeEbEEZZNS1_14partition_implILS8_4ELb0ES6_15HIP_vector_typeIjLj2EENS0_17counting_iteratorIjlEEPS9_SG_NS0_5tupleIJPjSI_NS0_16reverse_iteratorISI_EEEEENSH_IJSG_SG_SG_EEES9_SI_JZNS1_25segmented_radix_sort_implINS0_14default_configELb0EPKhPhPKlPlN2at6native12_GLOBAL__N_18offset_tEEE10hipError_tPvRmT1_PNSt15iterator_traitsIS12_E10value_typeET2_T3_PNS13_IS18_E10value_typeET4_jRbjT5_S1E_jjP12ihipStream_tbEUljE_ZNSN_ISO_Lb0ESQ_SR_ST_SU_SY_EESZ_S10_S11_S12_S16_S17_S18_S1B_S1C_jS1D_jS1E_S1E_jjS1G_bEUljE0_EEESZ_S10_S11_S18_S1C_S1E_T6_T7_T9_mT8_S1G_bDpT10_ENKUlT_T0_E_clISt17integral_constantIbLb1EES1T_IbLb0EEEEDaS1P_S1Q_EUlS1P_E_NS1_11comp_targetILNS1_3genE0ELNS1_11target_archE4294967295ELNS1_3gpuE0ELNS1_3repE0EEENS1_30default_config_static_selectorELNS0_4arch9wavefront6targetE0EEEvS12_: ; @_ZN7rocprim17ROCPRIM_400000_NS6detail17trampoline_kernelINS0_13select_configILj256ELj13ELNS0_17block_load_methodE3ELS4_3ELS4_3ELNS0_20block_scan_algorithmE0ELj4294967295EEENS1_25partition_config_selectorILNS1_17partition_subalgoE4EjNS0_10empty_typeEbEEZZNS1_14partition_implILS8_4ELb0ES6_15HIP_vector_typeIjLj2EENS0_17counting_iteratorIjlEEPS9_SG_NS0_5tupleIJPjSI_NS0_16reverse_iteratorISI_EEEEENSH_IJSG_SG_SG_EEES9_SI_JZNS1_25segmented_radix_sort_implINS0_14default_configELb0EPKhPhPKlPlN2at6native12_GLOBAL__N_18offset_tEEE10hipError_tPvRmT1_PNSt15iterator_traitsIS12_E10value_typeET2_T3_PNS13_IS18_E10value_typeET4_jRbjT5_S1E_jjP12ihipStream_tbEUljE_ZNSN_ISO_Lb0ESQ_SR_ST_SU_SY_EESZ_S10_S11_S12_S16_S17_S18_S1B_S1C_jS1D_jS1E_S1E_jjS1G_bEUljE0_EEESZ_S10_S11_S18_S1C_S1E_T6_T7_T9_mT8_S1G_bDpT10_ENKUlT_T0_E_clISt17integral_constantIbLb1EES1T_IbLb0EEEEDaS1P_S1Q_EUlS1P_E_NS1_11comp_targetILNS1_3genE0ELNS1_11target_archE4294967295ELNS1_3gpuE0ELNS1_3repE0EEENS1_30default_config_static_selectorELNS0_4arch9wavefront6targetE0EEEvS12_
; %bb.0:
	.section	.rodata,"a",@progbits
	.p2align	6, 0x0
	.amdhsa_kernel _ZN7rocprim17ROCPRIM_400000_NS6detail17trampoline_kernelINS0_13select_configILj256ELj13ELNS0_17block_load_methodE3ELS4_3ELS4_3ELNS0_20block_scan_algorithmE0ELj4294967295EEENS1_25partition_config_selectorILNS1_17partition_subalgoE4EjNS0_10empty_typeEbEEZZNS1_14partition_implILS8_4ELb0ES6_15HIP_vector_typeIjLj2EENS0_17counting_iteratorIjlEEPS9_SG_NS0_5tupleIJPjSI_NS0_16reverse_iteratorISI_EEEEENSH_IJSG_SG_SG_EEES9_SI_JZNS1_25segmented_radix_sort_implINS0_14default_configELb0EPKhPhPKlPlN2at6native12_GLOBAL__N_18offset_tEEE10hipError_tPvRmT1_PNSt15iterator_traitsIS12_E10value_typeET2_T3_PNS13_IS18_E10value_typeET4_jRbjT5_S1E_jjP12ihipStream_tbEUljE_ZNSN_ISO_Lb0ESQ_SR_ST_SU_SY_EESZ_S10_S11_S12_S16_S17_S18_S1B_S1C_jS1D_jS1E_S1E_jjS1G_bEUljE0_EEESZ_S10_S11_S18_S1C_S1E_T6_T7_T9_mT8_S1G_bDpT10_ENKUlT_T0_E_clISt17integral_constantIbLb1EES1T_IbLb0EEEEDaS1P_S1Q_EUlS1P_E_NS1_11comp_targetILNS1_3genE0ELNS1_11target_archE4294967295ELNS1_3gpuE0ELNS1_3repE0EEENS1_30default_config_static_selectorELNS0_4arch9wavefront6targetE0EEEvS12_
		.amdhsa_group_segment_fixed_size 0
		.amdhsa_private_segment_fixed_size 0
		.amdhsa_kernarg_size 176
		.amdhsa_user_sgpr_count 2
		.amdhsa_user_sgpr_dispatch_ptr 0
		.amdhsa_user_sgpr_queue_ptr 0
		.amdhsa_user_sgpr_kernarg_segment_ptr 1
		.amdhsa_user_sgpr_dispatch_id 0
		.amdhsa_user_sgpr_private_segment_size 0
		.amdhsa_wavefront_size32 1
		.amdhsa_uses_dynamic_stack 0
		.amdhsa_enable_private_segment 0
		.amdhsa_system_sgpr_workgroup_id_x 1
		.amdhsa_system_sgpr_workgroup_id_y 0
		.amdhsa_system_sgpr_workgroup_id_z 0
		.amdhsa_system_sgpr_workgroup_info 0
		.amdhsa_system_vgpr_workitem_id 0
		.amdhsa_next_free_vgpr 1
		.amdhsa_next_free_sgpr 1
		.amdhsa_reserve_vcc 0
		.amdhsa_float_round_mode_32 0
		.amdhsa_float_round_mode_16_64 0
		.amdhsa_float_denorm_mode_32 3
		.amdhsa_float_denorm_mode_16_64 3
		.amdhsa_fp16_overflow 0
		.amdhsa_workgroup_processor_mode 1
		.amdhsa_memory_ordered 1
		.amdhsa_forward_progress 1
		.amdhsa_inst_pref_size 0
		.amdhsa_round_robin_scheduling 0
		.amdhsa_exception_fp_ieee_invalid_op 0
		.amdhsa_exception_fp_denorm_src 0
		.amdhsa_exception_fp_ieee_div_zero 0
		.amdhsa_exception_fp_ieee_overflow 0
		.amdhsa_exception_fp_ieee_underflow 0
		.amdhsa_exception_fp_ieee_inexact 0
		.amdhsa_exception_int_div_zero 0
	.end_amdhsa_kernel
	.section	.text._ZN7rocprim17ROCPRIM_400000_NS6detail17trampoline_kernelINS0_13select_configILj256ELj13ELNS0_17block_load_methodE3ELS4_3ELS4_3ELNS0_20block_scan_algorithmE0ELj4294967295EEENS1_25partition_config_selectorILNS1_17partition_subalgoE4EjNS0_10empty_typeEbEEZZNS1_14partition_implILS8_4ELb0ES6_15HIP_vector_typeIjLj2EENS0_17counting_iteratorIjlEEPS9_SG_NS0_5tupleIJPjSI_NS0_16reverse_iteratorISI_EEEEENSH_IJSG_SG_SG_EEES9_SI_JZNS1_25segmented_radix_sort_implINS0_14default_configELb0EPKhPhPKlPlN2at6native12_GLOBAL__N_18offset_tEEE10hipError_tPvRmT1_PNSt15iterator_traitsIS12_E10value_typeET2_T3_PNS13_IS18_E10value_typeET4_jRbjT5_S1E_jjP12ihipStream_tbEUljE_ZNSN_ISO_Lb0ESQ_SR_ST_SU_SY_EESZ_S10_S11_S12_S16_S17_S18_S1B_S1C_jS1D_jS1E_S1E_jjS1G_bEUljE0_EEESZ_S10_S11_S18_S1C_S1E_T6_T7_T9_mT8_S1G_bDpT10_ENKUlT_T0_E_clISt17integral_constantIbLb1EES1T_IbLb0EEEEDaS1P_S1Q_EUlS1P_E_NS1_11comp_targetILNS1_3genE0ELNS1_11target_archE4294967295ELNS1_3gpuE0ELNS1_3repE0EEENS1_30default_config_static_selectorELNS0_4arch9wavefront6targetE0EEEvS12_,"axG",@progbits,_ZN7rocprim17ROCPRIM_400000_NS6detail17trampoline_kernelINS0_13select_configILj256ELj13ELNS0_17block_load_methodE3ELS4_3ELS4_3ELNS0_20block_scan_algorithmE0ELj4294967295EEENS1_25partition_config_selectorILNS1_17partition_subalgoE4EjNS0_10empty_typeEbEEZZNS1_14partition_implILS8_4ELb0ES6_15HIP_vector_typeIjLj2EENS0_17counting_iteratorIjlEEPS9_SG_NS0_5tupleIJPjSI_NS0_16reverse_iteratorISI_EEEEENSH_IJSG_SG_SG_EEES9_SI_JZNS1_25segmented_radix_sort_implINS0_14default_configELb0EPKhPhPKlPlN2at6native12_GLOBAL__N_18offset_tEEE10hipError_tPvRmT1_PNSt15iterator_traitsIS12_E10value_typeET2_T3_PNS13_IS18_E10value_typeET4_jRbjT5_S1E_jjP12ihipStream_tbEUljE_ZNSN_ISO_Lb0ESQ_SR_ST_SU_SY_EESZ_S10_S11_S12_S16_S17_S18_S1B_S1C_jS1D_jS1E_S1E_jjS1G_bEUljE0_EEESZ_S10_S11_S18_S1C_S1E_T6_T7_T9_mT8_S1G_bDpT10_ENKUlT_T0_E_clISt17integral_constantIbLb1EES1T_IbLb0EEEEDaS1P_S1Q_EUlS1P_E_NS1_11comp_targetILNS1_3genE0ELNS1_11target_archE4294967295ELNS1_3gpuE0ELNS1_3repE0EEENS1_30default_config_static_selectorELNS0_4arch9wavefront6targetE0EEEvS12_,comdat
.Lfunc_end138:
	.size	_ZN7rocprim17ROCPRIM_400000_NS6detail17trampoline_kernelINS0_13select_configILj256ELj13ELNS0_17block_load_methodE3ELS4_3ELS4_3ELNS0_20block_scan_algorithmE0ELj4294967295EEENS1_25partition_config_selectorILNS1_17partition_subalgoE4EjNS0_10empty_typeEbEEZZNS1_14partition_implILS8_4ELb0ES6_15HIP_vector_typeIjLj2EENS0_17counting_iteratorIjlEEPS9_SG_NS0_5tupleIJPjSI_NS0_16reverse_iteratorISI_EEEEENSH_IJSG_SG_SG_EEES9_SI_JZNS1_25segmented_radix_sort_implINS0_14default_configELb0EPKhPhPKlPlN2at6native12_GLOBAL__N_18offset_tEEE10hipError_tPvRmT1_PNSt15iterator_traitsIS12_E10value_typeET2_T3_PNS13_IS18_E10value_typeET4_jRbjT5_S1E_jjP12ihipStream_tbEUljE_ZNSN_ISO_Lb0ESQ_SR_ST_SU_SY_EESZ_S10_S11_S12_S16_S17_S18_S1B_S1C_jS1D_jS1E_S1E_jjS1G_bEUljE0_EEESZ_S10_S11_S18_S1C_S1E_T6_T7_T9_mT8_S1G_bDpT10_ENKUlT_T0_E_clISt17integral_constantIbLb1EES1T_IbLb0EEEEDaS1P_S1Q_EUlS1P_E_NS1_11comp_targetILNS1_3genE0ELNS1_11target_archE4294967295ELNS1_3gpuE0ELNS1_3repE0EEENS1_30default_config_static_selectorELNS0_4arch9wavefront6targetE0EEEvS12_, .Lfunc_end138-_ZN7rocprim17ROCPRIM_400000_NS6detail17trampoline_kernelINS0_13select_configILj256ELj13ELNS0_17block_load_methodE3ELS4_3ELS4_3ELNS0_20block_scan_algorithmE0ELj4294967295EEENS1_25partition_config_selectorILNS1_17partition_subalgoE4EjNS0_10empty_typeEbEEZZNS1_14partition_implILS8_4ELb0ES6_15HIP_vector_typeIjLj2EENS0_17counting_iteratorIjlEEPS9_SG_NS0_5tupleIJPjSI_NS0_16reverse_iteratorISI_EEEEENSH_IJSG_SG_SG_EEES9_SI_JZNS1_25segmented_radix_sort_implINS0_14default_configELb0EPKhPhPKlPlN2at6native12_GLOBAL__N_18offset_tEEE10hipError_tPvRmT1_PNSt15iterator_traitsIS12_E10value_typeET2_T3_PNS13_IS18_E10value_typeET4_jRbjT5_S1E_jjP12ihipStream_tbEUljE_ZNSN_ISO_Lb0ESQ_SR_ST_SU_SY_EESZ_S10_S11_S12_S16_S17_S18_S1B_S1C_jS1D_jS1E_S1E_jjS1G_bEUljE0_EEESZ_S10_S11_S18_S1C_S1E_T6_T7_T9_mT8_S1G_bDpT10_ENKUlT_T0_E_clISt17integral_constantIbLb1EES1T_IbLb0EEEEDaS1P_S1Q_EUlS1P_E_NS1_11comp_targetILNS1_3genE0ELNS1_11target_archE4294967295ELNS1_3gpuE0ELNS1_3repE0EEENS1_30default_config_static_selectorELNS0_4arch9wavefront6targetE0EEEvS12_
                                        ; -- End function
	.set _ZN7rocprim17ROCPRIM_400000_NS6detail17trampoline_kernelINS0_13select_configILj256ELj13ELNS0_17block_load_methodE3ELS4_3ELS4_3ELNS0_20block_scan_algorithmE0ELj4294967295EEENS1_25partition_config_selectorILNS1_17partition_subalgoE4EjNS0_10empty_typeEbEEZZNS1_14partition_implILS8_4ELb0ES6_15HIP_vector_typeIjLj2EENS0_17counting_iteratorIjlEEPS9_SG_NS0_5tupleIJPjSI_NS0_16reverse_iteratorISI_EEEEENSH_IJSG_SG_SG_EEES9_SI_JZNS1_25segmented_radix_sort_implINS0_14default_configELb0EPKhPhPKlPlN2at6native12_GLOBAL__N_18offset_tEEE10hipError_tPvRmT1_PNSt15iterator_traitsIS12_E10value_typeET2_T3_PNS13_IS18_E10value_typeET4_jRbjT5_S1E_jjP12ihipStream_tbEUljE_ZNSN_ISO_Lb0ESQ_SR_ST_SU_SY_EESZ_S10_S11_S12_S16_S17_S18_S1B_S1C_jS1D_jS1E_S1E_jjS1G_bEUljE0_EEESZ_S10_S11_S18_S1C_S1E_T6_T7_T9_mT8_S1G_bDpT10_ENKUlT_T0_E_clISt17integral_constantIbLb1EES1T_IbLb0EEEEDaS1P_S1Q_EUlS1P_E_NS1_11comp_targetILNS1_3genE0ELNS1_11target_archE4294967295ELNS1_3gpuE0ELNS1_3repE0EEENS1_30default_config_static_selectorELNS0_4arch9wavefront6targetE0EEEvS12_.num_vgpr, 0
	.set _ZN7rocprim17ROCPRIM_400000_NS6detail17trampoline_kernelINS0_13select_configILj256ELj13ELNS0_17block_load_methodE3ELS4_3ELS4_3ELNS0_20block_scan_algorithmE0ELj4294967295EEENS1_25partition_config_selectorILNS1_17partition_subalgoE4EjNS0_10empty_typeEbEEZZNS1_14partition_implILS8_4ELb0ES6_15HIP_vector_typeIjLj2EENS0_17counting_iteratorIjlEEPS9_SG_NS0_5tupleIJPjSI_NS0_16reverse_iteratorISI_EEEEENSH_IJSG_SG_SG_EEES9_SI_JZNS1_25segmented_radix_sort_implINS0_14default_configELb0EPKhPhPKlPlN2at6native12_GLOBAL__N_18offset_tEEE10hipError_tPvRmT1_PNSt15iterator_traitsIS12_E10value_typeET2_T3_PNS13_IS18_E10value_typeET4_jRbjT5_S1E_jjP12ihipStream_tbEUljE_ZNSN_ISO_Lb0ESQ_SR_ST_SU_SY_EESZ_S10_S11_S12_S16_S17_S18_S1B_S1C_jS1D_jS1E_S1E_jjS1G_bEUljE0_EEESZ_S10_S11_S18_S1C_S1E_T6_T7_T9_mT8_S1G_bDpT10_ENKUlT_T0_E_clISt17integral_constantIbLb1EES1T_IbLb0EEEEDaS1P_S1Q_EUlS1P_E_NS1_11comp_targetILNS1_3genE0ELNS1_11target_archE4294967295ELNS1_3gpuE0ELNS1_3repE0EEENS1_30default_config_static_selectorELNS0_4arch9wavefront6targetE0EEEvS12_.num_agpr, 0
	.set _ZN7rocprim17ROCPRIM_400000_NS6detail17trampoline_kernelINS0_13select_configILj256ELj13ELNS0_17block_load_methodE3ELS4_3ELS4_3ELNS0_20block_scan_algorithmE0ELj4294967295EEENS1_25partition_config_selectorILNS1_17partition_subalgoE4EjNS0_10empty_typeEbEEZZNS1_14partition_implILS8_4ELb0ES6_15HIP_vector_typeIjLj2EENS0_17counting_iteratorIjlEEPS9_SG_NS0_5tupleIJPjSI_NS0_16reverse_iteratorISI_EEEEENSH_IJSG_SG_SG_EEES9_SI_JZNS1_25segmented_radix_sort_implINS0_14default_configELb0EPKhPhPKlPlN2at6native12_GLOBAL__N_18offset_tEEE10hipError_tPvRmT1_PNSt15iterator_traitsIS12_E10value_typeET2_T3_PNS13_IS18_E10value_typeET4_jRbjT5_S1E_jjP12ihipStream_tbEUljE_ZNSN_ISO_Lb0ESQ_SR_ST_SU_SY_EESZ_S10_S11_S12_S16_S17_S18_S1B_S1C_jS1D_jS1E_S1E_jjS1G_bEUljE0_EEESZ_S10_S11_S18_S1C_S1E_T6_T7_T9_mT8_S1G_bDpT10_ENKUlT_T0_E_clISt17integral_constantIbLb1EES1T_IbLb0EEEEDaS1P_S1Q_EUlS1P_E_NS1_11comp_targetILNS1_3genE0ELNS1_11target_archE4294967295ELNS1_3gpuE0ELNS1_3repE0EEENS1_30default_config_static_selectorELNS0_4arch9wavefront6targetE0EEEvS12_.numbered_sgpr, 0
	.set _ZN7rocprim17ROCPRIM_400000_NS6detail17trampoline_kernelINS0_13select_configILj256ELj13ELNS0_17block_load_methodE3ELS4_3ELS4_3ELNS0_20block_scan_algorithmE0ELj4294967295EEENS1_25partition_config_selectorILNS1_17partition_subalgoE4EjNS0_10empty_typeEbEEZZNS1_14partition_implILS8_4ELb0ES6_15HIP_vector_typeIjLj2EENS0_17counting_iteratorIjlEEPS9_SG_NS0_5tupleIJPjSI_NS0_16reverse_iteratorISI_EEEEENSH_IJSG_SG_SG_EEES9_SI_JZNS1_25segmented_radix_sort_implINS0_14default_configELb0EPKhPhPKlPlN2at6native12_GLOBAL__N_18offset_tEEE10hipError_tPvRmT1_PNSt15iterator_traitsIS12_E10value_typeET2_T3_PNS13_IS18_E10value_typeET4_jRbjT5_S1E_jjP12ihipStream_tbEUljE_ZNSN_ISO_Lb0ESQ_SR_ST_SU_SY_EESZ_S10_S11_S12_S16_S17_S18_S1B_S1C_jS1D_jS1E_S1E_jjS1G_bEUljE0_EEESZ_S10_S11_S18_S1C_S1E_T6_T7_T9_mT8_S1G_bDpT10_ENKUlT_T0_E_clISt17integral_constantIbLb1EES1T_IbLb0EEEEDaS1P_S1Q_EUlS1P_E_NS1_11comp_targetILNS1_3genE0ELNS1_11target_archE4294967295ELNS1_3gpuE0ELNS1_3repE0EEENS1_30default_config_static_selectorELNS0_4arch9wavefront6targetE0EEEvS12_.num_named_barrier, 0
	.set _ZN7rocprim17ROCPRIM_400000_NS6detail17trampoline_kernelINS0_13select_configILj256ELj13ELNS0_17block_load_methodE3ELS4_3ELS4_3ELNS0_20block_scan_algorithmE0ELj4294967295EEENS1_25partition_config_selectorILNS1_17partition_subalgoE4EjNS0_10empty_typeEbEEZZNS1_14partition_implILS8_4ELb0ES6_15HIP_vector_typeIjLj2EENS0_17counting_iteratorIjlEEPS9_SG_NS0_5tupleIJPjSI_NS0_16reverse_iteratorISI_EEEEENSH_IJSG_SG_SG_EEES9_SI_JZNS1_25segmented_radix_sort_implINS0_14default_configELb0EPKhPhPKlPlN2at6native12_GLOBAL__N_18offset_tEEE10hipError_tPvRmT1_PNSt15iterator_traitsIS12_E10value_typeET2_T3_PNS13_IS18_E10value_typeET4_jRbjT5_S1E_jjP12ihipStream_tbEUljE_ZNSN_ISO_Lb0ESQ_SR_ST_SU_SY_EESZ_S10_S11_S12_S16_S17_S18_S1B_S1C_jS1D_jS1E_S1E_jjS1G_bEUljE0_EEESZ_S10_S11_S18_S1C_S1E_T6_T7_T9_mT8_S1G_bDpT10_ENKUlT_T0_E_clISt17integral_constantIbLb1EES1T_IbLb0EEEEDaS1P_S1Q_EUlS1P_E_NS1_11comp_targetILNS1_3genE0ELNS1_11target_archE4294967295ELNS1_3gpuE0ELNS1_3repE0EEENS1_30default_config_static_selectorELNS0_4arch9wavefront6targetE0EEEvS12_.private_seg_size, 0
	.set _ZN7rocprim17ROCPRIM_400000_NS6detail17trampoline_kernelINS0_13select_configILj256ELj13ELNS0_17block_load_methodE3ELS4_3ELS4_3ELNS0_20block_scan_algorithmE0ELj4294967295EEENS1_25partition_config_selectorILNS1_17partition_subalgoE4EjNS0_10empty_typeEbEEZZNS1_14partition_implILS8_4ELb0ES6_15HIP_vector_typeIjLj2EENS0_17counting_iteratorIjlEEPS9_SG_NS0_5tupleIJPjSI_NS0_16reverse_iteratorISI_EEEEENSH_IJSG_SG_SG_EEES9_SI_JZNS1_25segmented_radix_sort_implINS0_14default_configELb0EPKhPhPKlPlN2at6native12_GLOBAL__N_18offset_tEEE10hipError_tPvRmT1_PNSt15iterator_traitsIS12_E10value_typeET2_T3_PNS13_IS18_E10value_typeET4_jRbjT5_S1E_jjP12ihipStream_tbEUljE_ZNSN_ISO_Lb0ESQ_SR_ST_SU_SY_EESZ_S10_S11_S12_S16_S17_S18_S1B_S1C_jS1D_jS1E_S1E_jjS1G_bEUljE0_EEESZ_S10_S11_S18_S1C_S1E_T6_T7_T9_mT8_S1G_bDpT10_ENKUlT_T0_E_clISt17integral_constantIbLb1EES1T_IbLb0EEEEDaS1P_S1Q_EUlS1P_E_NS1_11comp_targetILNS1_3genE0ELNS1_11target_archE4294967295ELNS1_3gpuE0ELNS1_3repE0EEENS1_30default_config_static_selectorELNS0_4arch9wavefront6targetE0EEEvS12_.uses_vcc, 0
	.set _ZN7rocprim17ROCPRIM_400000_NS6detail17trampoline_kernelINS0_13select_configILj256ELj13ELNS0_17block_load_methodE3ELS4_3ELS4_3ELNS0_20block_scan_algorithmE0ELj4294967295EEENS1_25partition_config_selectorILNS1_17partition_subalgoE4EjNS0_10empty_typeEbEEZZNS1_14partition_implILS8_4ELb0ES6_15HIP_vector_typeIjLj2EENS0_17counting_iteratorIjlEEPS9_SG_NS0_5tupleIJPjSI_NS0_16reverse_iteratorISI_EEEEENSH_IJSG_SG_SG_EEES9_SI_JZNS1_25segmented_radix_sort_implINS0_14default_configELb0EPKhPhPKlPlN2at6native12_GLOBAL__N_18offset_tEEE10hipError_tPvRmT1_PNSt15iterator_traitsIS12_E10value_typeET2_T3_PNS13_IS18_E10value_typeET4_jRbjT5_S1E_jjP12ihipStream_tbEUljE_ZNSN_ISO_Lb0ESQ_SR_ST_SU_SY_EESZ_S10_S11_S12_S16_S17_S18_S1B_S1C_jS1D_jS1E_S1E_jjS1G_bEUljE0_EEESZ_S10_S11_S18_S1C_S1E_T6_T7_T9_mT8_S1G_bDpT10_ENKUlT_T0_E_clISt17integral_constantIbLb1EES1T_IbLb0EEEEDaS1P_S1Q_EUlS1P_E_NS1_11comp_targetILNS1_3genE0ELNS1_11target_archE4294967295ELNS1_3gpuE0ELNS1_3repE0EEENS1_30default_config_static_selectorELNS0_4arch9wavefront6targetE0EEEvS12_.uses_flat_scratch, 0
	.set _ZN7rocprim17ROCPRIM_400000_NS6detail17trampoline_kernelINS0_13select_configILj256ELj13ELNS0_17block_load_methodE3ELS4_3ELS4_3ELNS0_20block_scan_algorithmE0ELj4294967295EEENS1_25partition_config_selectorILNS1_17partition_subalgoE4EjNS0_10empty_typeEbEEZZNS1_14partition_implILS8_4ELb0ES6_15HIP_vector_typeIjLj2EENS0_17counting_iteratorIjlEEPS9_SG_NS0_5tupleIJPjSI_NS0_16reverse_iteratorISI_EEEEENSH_IJSG_SG_SG_EEES9_SI_JZNS1_25segmented_radix_sort_implINS0_14default_configELb0EPKhPhPKlPlN2at6native12_GLOBAL__N_18offset_tEEE10hipError_tPvRmT1_PNSt15iterator_traitsIS12_E10value_typeET2_T3_PNS13_IS18_E10value_typeET4_jRbjT5_S1E_jjP12ihipStream_tbEUljE_ZNSN_ISO_Lb0ESQ_SR_ST_SU_SY_EESZ_S10_S11_S12_S16_S17_S18_S1B_S1C_jS1D_jS1E_S1E_jjS1G_bEUljE0_EEESZ_S10_S11_S18_S1C_S1E_T6_T7_T9_mT8_S1G_bDpT10_ENKUlT_T0_E_clISt17integral_constantIbLb1EES1T_IbLb0EEEEDaS1P_S1Q_EUlS1P_E_NS1_11comp_targetILNS1_3genE0ELNS1_11target_archE4294967295ELNS1_3gpuE0ELNS1_3repE0EEENS1_30default_config_static_selectorELNS0_4arch9wavefront6targetE0EEEvS12_.has_dyn_sized_stack, 0
	.set _ZN7rocprim17ROCPRIM_400000_NS6detail17trampoline_kernelINS0_13select_configILj256ELj13ELNS0_17block_load_methodE3ELS4_3ELS4_3ELNS0_20block_scan_algorithmE0ELj4294967295EEENS1_25partition_config_selectorILNS1_17partition_subalgoE4EjNS0_10empty_typeEbEEZZNS1_14partition_implILS8_4ELb0ES6_15HIP_vector_typeIjLj2EENS0_17counting_iteratorIjlEEPS9_SG_NS0_5tupleIJPjSI_NS0_16reverse_iteratorISI_EEEEENSH_IJSG_SG_SG_EEES9_SI_JZNS1_25segmented_radix_sort_implINS0_14default_configELb0EPKhPhPKlPlN2at6native12_GLOBAL__N_18offset_tEEE10hipError_tPvRmT1_PNSt15iterator_traitsIS12_E10value_typeET2_T3_PNS13_IS18_E10value_typeET4_jRbjT5_S1E_jjP12ihipStream_tbEUljE_ZNSN_ISO_Lb0ESQ_SR_ST_SU_SY_EESZ_S10_S11_S12_S16_S17_S18_S1B_S1C_jS1D_jS1E_S1E_jjS1G_bEUljE0_EEESZ_S10_S11_S18_S1C_S1E_T6_T7_T9_mT8_S1G_bDpT10_ENKUlT_T0_E_clISt17integral_constantIbLb1EES1T_IbLb0EEEEDaS1P_S1Q_EUlS1P_E_NS1_11comp_targetILNS1_3genE0ELNS1_11target_archE4294967295ELNS1_3gpuE0ELNS1_3repE0EEENS1_30default_config_static_selectorELNS0_4arch9wavefront6targetE0EEEvS12_.has_recursion, 0
	.set _ZN7rocprim17ROCPRIM_400000_NS6detail17trampoline_kernelINS0_13select_configILj256ELj13ELNS0_17block_load_methodE3ELS4_3ELS4_3ELNS0_20block_scan_algorithmE0ELj4294967295EEENS1_25partition_config_selectorILNS1_17partition_subalgoE4EjNS0_10empty_typeEbEEZZNS1_14partition_implILS8_4ELb0ES6_15HIP_vector_typeIjLj2EENS0_17counting_iteratorIjlEEPS9_SG_NS0_5tupleIJPjSI_NS0_16reverse_iteratorISI_EEEEENSH_IJSG_SG_SG_EEES9_SI_JZNS1_25segmented_radix_sort_implINS0_14default_configELb0EPKhPhPKlPlN2at6native12_GLOBAL__N_18offset_tEEE10hipError_tPvRmT1_PNSt15iterator_traitsIS12_E10value_typeET2_T3_PNS13_IS18_E10value_typeET4_jRbjT5_S1E_jjP12ihipStream_tbEUljE_ZNSN_ISO_Lb0ESQ_SR_ST_SU_SY_EESZ_S10_S11_S12_S16_S17_S18_S1B_S1C_jS1D_jS1E_S1E_jjS1G_bEUljE0_EEESZ_S10_S11_S18_S1C_S1E_T6_T7_T9_mT8_S1G_bDpT10_ENKUlT_T0_E_clISt17integral_constantIbLb1EES1T_IbLb0EEEEDaS1P_S1Q_EUlS1P_E_NS1_11comp_targetILNS1_3genE0ELNS1_11target_archE4294967295ELNS1_3gpuE0ELNS1_3repE0EEENS1_30default_config_static_selectorELNS0_4arch9wavefront6targetE0EEEvS12_.has_indirect_call, 0
	.section	.AMDGPU.csdata,"",@progbits
; Kernel info:
; codeLenInByte = 0
; TotalNumSgprs: 0
; NumVgprs: 0
; ScratchSize: 0
; MemoryBound: 0
; FloatMode: 240
; IeeeMode: 1
; LDSByteSize: 0 bytes/workgroup (compile time only)
; SGPRBlocks: 0
; VGPRBlocks: 0
; NumSGPRsForWavesPerEU: 1
; NumVGPRsForWavesPerEU: 1
; Occupancy: 16
; WaveLimiterHint : 0
; COMPUTE_PGM_RSRC2:SCRATCH_EN: 0
; COMPUTE_PGM_RSRC2:USER_SGPR: 2
; COMPUTE_PGM_RSRC2:TRAP_HANDLER: 0
; COMPUTE_PGM_RSRC2:TGID_X_EN: 1
; COMPUTE_PGM_RSRC2:TGID_Y_EN: 0
; COMPUTE_PGM_RSRC2:TGID_Z_EN: 0
; COMPUTE_PGM_RSRC2:TIDIG_COMP_CNT: 0
	.section	.text._ZN7rocprim17ROCPRIM_400000_NS6detail17trampoline_kernelINS0_13select_configILj256ELj13ELNS0_17block_load_methodE3ELS4_3ELS4_3ELNS0_20block_scan_algorithmE0ELj4294967295EEENS1_25partition_config_selectorILNS1_17partition_subalgoE4EjNS0_10empty_typeEbEEZZNS1_14partition_implILS8_4ELb0ES6_15HIP_vector_typeIjLj2EENS0_17counting_iteratorIjlEEPS9_SG_NS0_5tupleIJPjSI_NS0_16reverse_iteratorISI_EEEEENSH_IJSG_SG_SG_EEES9_SI_JZNS1_25segmented_radix_sort_implINS0_14default_configELb0EPKhPhPKlPlN2at6native12_GLOBAL__N_18offset_tEEE10hipError_tPvRmT1_PNSt15iterator_traitsIS12_E10value_typeET2_T3_PNS13_IS18_E10value_typeET4_jRbjT5_S1E_jjP12ihipStream_tbEUljE_ZNSN_ISO_Lb0ESQ_SR_ST_SU_SY_EESZ_S10_S11_S12_S16_S17_S18_S1B_S1C_jS1D_jS1E_S1E_jjS1G_bEUljE0_EEESZ_S10_S11_S18_S1C_S1E_T6_T7_T9_mT8_S1G_bDpT10_ENKUlT_T0_E_clISt17integral_constantIbLb1EES1T_IbLb0EEEEDaS1P_S1Q_EUlS1P_E_NS1_11comp_targetILNS1_3genE5ELNS1_11target_archE942ELNS1_3gpuE9ELNS1_3repE0EEENS1_30default_config_static_selectorELNS0_4arch9wavefront6targetE0EEEvS12_,"axG",@progbits,_ZN7rocprim17ROCPRIM_400000_NS6detail17trampoline_kernelINS0_13select_configILj256ELj13ELNS0_17block_load_methodE3ELS4_3ELS4_3ELNS0_20block_scan_algorithmE0ELj4294967295EEENS1_25partition_config_selectorILNS1_17partition_subalgoE4EjNS0_10empty_typeEbEEZZNS1_14partition_implILS8_4ELb0ES6_15HIP_vector_typeIjLj2EENS0_17counting_iteratorIjlEEPS9_SG_NS0_5tupleIJPjSI_NS0_16reverse_iteratorISI_EEEEENSH_IJSG_SG_SG_EEES9_SI_JZNS1_25segmented_radix_sort_implINS0_14default_configELb0EPKhPhPKlPlN2at6native12_GLOBAL__N_18offset_tEEE10hipError_tPvRmT1_PNSt15iterator_traitsIS12_E10value_typeET2_T3_PNS13_IS18_E10value_typeET4_jRbjT5_S1E_jjP12ihipStream_tbEUljE_ZNSN_ISO_Lb0ESQ_SR_ST_SU_SY_EESZ_S10_S11_S12_S16_S17_S18_S1B_S1C_jS1D_jS1E_S1E_jjS1G_bEUljE0_EEESZ_S10_S11_S18_S1C_S1E_T6_T7_T9_mT8_S1G_bDpT10_ENKUlT_T0_E_clISt17integral_constantIbLb1EES1T_IbLb0EEEEDaS1P_S1Q_EUlS1P_E_NS1_11comp_targetILNS1_3genE5ELNS1_11target_archE942ELNS1_3gpuE9ELNS1_3repE0EEENS1_30default_config_static_selectorELNS0_4arch9wavefront6targetE0EEEvS12_,comdat
	.globl	_ZN7rocprim17ROCPRIM_400000_NS6detail17trampoline_kernelINS0_13select_configILj256ELj13ELNS0_17block_load_methodE3ELS4_3ELS4_3ELNS0_20block_scan_algorithmE0ELj4294967295EEENS1_25partition_config_selectorILNS1_17partition_subalgoE4EjNS0_10empty_typeEbEEZZNS1_14partition_implILS8_4ELb0ES6_15HIP_vector_typeIjLj2EENS0_17counting_iteratorIjlEEPS9_SG_NS0_5tupleIJPjSI_NS0_16reverse_iteratorISI_EEEEENSH_IJSG_SG_SG_EEES9_SI_JZNS1_25segmented_radix_sort_implINS0_14default_configELb0EPKhPhPKlPlN2at6native12_GLOBAL__N_18offset_tEEE10hipError_tPvRmT1_PNSt15iterator_traitsIS12_E10value_typeET2_T3_PNS13_IS18_E10value_typeET4_jRbjT5_S1E_jjP12ihipStream_tbEUljE_ZNSN_ISO_Lb0ESQ_SR_ST_SU_SY_EESZ_S10_S11_S12_S16_S17_S18_S1B_S1C_jS1D_jS1E_S1E_jjS1G_bEUljE0_EEESZ_S10_S11_S18_S1C_S1E_T6_T7_T9_mT8_S1G_bDpT10_ENKUlT_T0_E_clISt17integral_constantIbLb1EES1T_IbLb0EEEEDaS1P_S1Q_EUlS1P_E_NS1_11comp_targetILNS1_3genE5ELNS1_11target_archE942ELNS1_3gpuE9ELNS1_3repE0EEENS1_30default_config_static_selectorELNS0_4arch9wavefront6targetE0EEEvS12_ ; -- Begin function _ZN7rocprim17ROCPRIM_400000_NS6detail17trampoline_kernelINS0_13select_configILj256ELj13ELNS0_17block_load_methodE3ELS4_3ELS4_3ELNS0_20block_scan_algorithmE0ELj4294967295EEENS1_25partition_config_selectorILNS1_17partition_subalgoE4EjNS0_10empty_typeEbEEZZNS1_14partition_implILS8_4ELb0ES6_15HIP_vector_typeIjLj2EENS0_17counting_iteratorIjlEEPS9_SG_NS0_5tupleIJPjSI_NS0_16reverse_iteratorISI_EEEEENSH_IJSG_SG_SG_EEES9_SI_JZNS1_25segmented_radix_sort_implINS0_14default_configELb0EPKhPhPKlPlN2at6native12_GLOBAL__N_18offset_tEEE10hipError_tPvRmT1_PNSt15iterator_traitsIS12_E10value_typeET2_T3_PNS13_IS18_E10value_typeET4_jRbjT5_S1E_jjP12ihipStream_tbEUljE_ZNSN_ISO_Lb0ESQ_SR_ST_SU_SY_EESZ_S10_S11_S12_S16_S17_S18_S1B_S1C_jS1D_jS1E_S1E_jjS1G_bEUljE0_EEESZ_S10_S11_S18_S1C_S1E_T6_T7_T9_mT8_S1G_bDpT10_ENKUlT_T0_E_clISt17integral_constantIbLb1EES1T_IbLb0EEEEDaS1P_S1Q_EUlS1P_E_NS1_11comp_targetILNS1_3genE5ELNS1_11target_archE942ELNS1_3gpuE9ELNS1_3repE0EEENS1_30default_config_static_selectorELNS0_4arch9wavefront6targetE0EEEvS12_
	.p2align	8
	.type	_ZN7rocprim17ROCPRIM_400000_NS6detail17trampoline_kernelINS0_13select_configILj256ELj13ELNS0_17block_load_methodE3ELS4_3ELS4_3ELNS0_20block_scan_algorithmE0ELj4294967295EEENS1_25partition_config_selectorILNS1_17partition_subalgoE4EjNS0_10empty_typeEbEEZZNS1_14partition_implILS8_4ELb0ES6_15HIP_vector_typeIjLj2EENS0_17counting_iteratorIjlEEPS9_SG_NS0_5tupleIJPjSI_NS0_16reverse_iteratorISI_EEEEENSH_IJSG_SG_SG_EEES9_SI_JZNS1_25segmented_radix_sort_implINS0_14default_configELb0EPKhPhPKlPlN2at6native12_GLOBAL__N_18offset_tEEE10hipError_tPvRmT1_PNSt15iterator_traitsIS12_E10value_typeET2_T3_PNS13_IS18_E10value_typeET4_jRbjT5_S1E_jjP12ihipStream_tbEUljE_ZNSN_ISO_Lb0ESQ_SR_ST_SU_SY_EESZ_S10_S11_S12_S16_S17_S18_S1B_S1C_jS1D_jS1E_S1E_jjS1G_bEUljE0_EEESZ_S10_S11_S18_S1C_S1E_T6_T7_T9_mT8_S1G_bDpT10_ENKUlT_T0_E_clISt17integral_constantIbLb1EES1T_IbLb0EEEEDaS1P_S1Q_EUlS1P_E_NS1_11comp_targetILNS1_3genE5ELNS1_11target_archE942ELNS1_3gpuE9ELNS1_3repE0EEENS1_30default_config_static_selectorELNS0_4arch9wavefront6targetE0EEEvS12_,@function
_ZN7rocprim17ROCPRIM_400000_NS6detail17trampoline_kernelINS0_13select_configILj256ELj13ELNS0_17block_load_methodE3ELS4_3ELS4_3ELNS0_20block_scan_algorithmE0ELj4294967295EEENS1_25partition_config_selectorILNS1_17partition_subalgoE4EjNS0_10empty_typeEbEEZZNS1_14partition_implILS8_4ELb0ES6_15HIP_vector_typeIjLj2EENS0_17counting_iteratorIjlEEPS9_SG_NS0_5tupleIJPjSI_NS0_16reverse_iteratorISI_EEEEENSH_IJSG_SG_SG_EEES9_SI_JZNS1_25segmented_radix_sort_implINS0_14default_configELb0EPKhPhPKlPlN2at6native12_GLOBAL__N_18offset_tEEE10hipError_tPvRmT1_PNSt15iterator_traitsIS12_E10value_typeET2_T3_PNS13_IS18_E10value_typeET4_jRbjT5_S1E_jjP12ihipStream_tbEUljE_ZNSN_ISO_Lb0ESQ_SR_ST_SU_SY_EESZ_S10_S11_S12_S16_S17_S18_S1B_S1C_jS1D_jS1E_S1E_jjS1G_bEUljE0_EEESZ_S10_S11_S18_S1C_S1E_T6_T7_T9_mT8_S1G_bDpT10_ENKUlT_T0_E_clISt17integral_constantIbLb1EES1T_IbLb0EEEEDaS1P_S1Q_EUlS1P_E_NS1_11comp_targetILNS1_3genE5ELNS1_11target_archE942ELNS1_3gpuE9ELNS1_3repE0EEENS1_30default_config_static_selectorELNS0_4arch9wavefront6targetE0EEEvS12_: ; @_ZN7rocprim17ROCPRIM_400000_NS6detail17trampoline_kernelINS0_13select_configILj256ELj13ELNS0_17block_load_methodE3ELS4_3ELS4_3ELNS0_20block_scan_algorithmE0ELj4294967295EEENS1_25partition_config_selectorILNS1_17partition_subalgoE4EjNS0_10empty_typeEbEEZZNS1_14partition_implILS8_4ELb0ES6_15HIP_vector_typeIjLj2EENS0_17counting_iteratorIjlEEPS9_SG_NS0_5tupleIJPjSI_NS0_16reverse_iteratorISI_EEEEENSH_IJSG_SG_SG_EEES9_SI_JZNS1_25segmented_radix_sort_implINS0_14default_configELb0EPKhPhPKlPlN2at6native12_GLOBAL__N_18offset_tEEE10hipError_tPvRmT1_PNSt15iterator_traitsIS12_E10value_typeET2_T3_PNS13_IS18_E10value_typeET4_jRbjT5_S1E_jjP12ihipStream_tbEUljE_ZNSN_ISO_Lb0ESQ_SR_ST_SU_SY_EESZ_S10_S11_S12_S16_S17_S18_S1B_S1C_jS1D_jS1E_S1E_jjS1G_bEUljE0_EEESZ_S10_S11_S18_S1C_S1E_T6_T7_T9_mT8_S1G_bDpT10_ENKUlT_T0_E_clISt17integral_constantIbLb1EES1T_IbLb0EEEEDaS1P_S1Q_EUlS1P_E_NS1_11comp_targetILNS1_3genE5ELNS1_11target_archE942ELNS1_3gpuE9ELNS1_3repE0EEENS1_30default_config_static_selectorELNS0_4arch9wavefront6targetE0EEEvS12_
; %bb.0:
	.section	.rodata,"a",@progbits
	.p2align	6, 0x0
	.amdhsa_kernel _ZN7rocprim17ROCPRIM_400000_NS6detail17trampoline_kernelINS0_13select_configILj256ELj13ELNS0_17block_load_methodE3ELS4_3ELS4_3ELNS0_20block_scan_algorithmE0ELj4294967295EEENS1_25partition_config_selectorILNS1_17partition_subalgoE4EjNS0_10empty_typeEbEEZZNS1_14partition_implILS8_4ELb0ES6_15HIP_vector_typeIjLj2EENS0_17counting_iteratorIjlEEPS9_SG_NS0_5tupleIJPjSI_NS0_16reverse_iteratorISI_EEEEENSH_IJSG_SG_SG_EEES9_SI_JZNS1_25segmented_radix_sort_implINS0_14default_configELb0EPKhPhPKlPlN2at6native12_GLOBAL__N_18offset_tEEE10hipError_tPvRmT1_PNSt15iterator_traitsIS12_E10value_typeET2_T3_PNS13_IS18_E10value_typeET4_jRbjT5_S1E_jjP12ihipStream_tbEUljE_ZNSN_ISO_Lb0ESQ_SR_ST_SU_SY_EESZ_S10_S11_S12_S16_S17_S18_S1B_S1C_jS1D_jS1E_S1E_jjS1G_bEUljE0_EEESZ_S10_S11_S18_S1C_S1E_T6_T7_T9_mT8_S1G_bDpT10_ENKUlT_T0_E_clISt17integral_constantIbLb1EES1T_IbLb0EEEEDaS1P_S1Q_EUlS1P_E_NS1_11comp_targetILNS1_3genE5ELNS1_11target_archE942ELNS1_3gpuE9ELNS1_3repE0EEENS1_30default_config_static_selectorELNS0_4arch9wavefront6targetE0EEEvS12_
		.amdhsa_group_segment_fixed_size 0
		.amdhsa_private_segment_fixed_size 0
		.amdhsa_kernarg_size 176
		.amdhsa_user_sgpr_count 2
		.amdhsa_user_sgpr_dispatch_ptr 0
		.amdhsa_user_sgpr_queue_ptr 0
		.amdhsa_user_sgpr_kernarg_segment_ptr 1
		.amdhsa_user_sgpr_dispatch_id 0
		.amdhsa_user_sgpr_private_segment_size 0
		.amdhsa_wavefront_size32 1
		.amdhsa_uses_dynamic_stack 0
		.amdhsa_enable_private_segment 0
		.amdhsa_system_sgpr_workgroup_id_x 1
		.amdhsa_system_sgpr_workgroup_id_y 0
		.amdhsa_system_sgpr_workgroup_id_z 0
		.amdhsa_system_sgpr_workgroup_info 0
		.amdhsa_system_vgpr_workitem_id 0
		.amdhsa_next_free_vgpr 1
		.amdhsa_next_free_sgpr 1
		.amdhsa_reserve_vcc 0
		.amdhsa_float_round_mode_32 0
		.amdhsa_float_round_mode_16_64 0
		.amdhsa_float_denorm_mode_32 3
		.amdhsa_float_denorm_mode_16_64 3
		.amdhsa_fp16_overflow 0
		.amdhsa_workgroup_processor_mode 1
		.amdhsa_memory_ordered 1
		.amdhsa_forward_progress 1
		.amdhsa_inst_pref_size 0
		.amdhsa_round_robin_scheduling 0
		.amdhsa_exception_fp_ieee_invalid_op 0
		.amdhsa_exception_fp_denorm_src 0
		.amdhsa_exception_fp_ieee_div_zero 0
		.amdhsa_exception_fp_ieee_overflow 0
		.amdhsa_exception_fp_ieee_underflow 0
		.amdhsa_exception_fp_ieee_inexact 0
		.amdhsa_exception_int_div_zero 0
	.end_amdhsa_kernel
	.section	.text._ZN7rocprim17ROCPRIM_400000_NS6detail17trampoline_kernelINS0_13select_configILj256ELj13ELNS0_17block_load_methodE3ELS4_3ELS4_3ELNS0_20block_scan_algorithmE0ELj4294967295EEENS1_25partition_config_selectorILNS1_17partition_subalgoE4EjNS0_10empty_typeEbEEZZNS1_14partition_implILS8_4ELb0ES6_15HIP_vector_typeIjLj2EENS0_17counting_iteratorIjlEEPS9_SG_NS0_5tupleIJPjSI_NS0_16reverse_iteratorISI_EEEEENSH_IJSG_SG_SG_EEES9_SI_JZNS1_25segmented_radix_sort_implINS0_14default_configELb0EPKhPhPKlPlN2at6native12_GLOBAL__N_18offset_tEEE10hipError_tPvRmT1_PNSt15iterator_traitsIS12_E10value_typeET2_T3_PNS13_IS18_E10value_typeET4_jRbjT5_S1E_jjP12ihipStream_tbEUljE_ZNSN_ISO_Lb0ESQ_SR_ST_SU_SY_EESZ_S10_S11_S12_S16_S17_S18_S1B_S1C_jS1D_jS1E_S1E_jjS1G_bEUljE0_EEESZ_S10_S11_S18_S1C_S1E_T6_T7_T9_mT8_S1G_bDpT10_ENKUlT_T0_E_clISt17integral_constantIbLb1EES1T_IbLb0EEEEDaS1P_S1Q_EUlS1P_E_NS1_11comp_targetILNS1_3genE5ELNS1_11target_archE942ELNS1_3gpuE9ELNS1_3repE0EEENS1_30default_config_static_selectorELNS0_4arch9wavefront6targetE0EEEvS12_,"axG",@progbits,_ZN7rocprim17ROCPRIM_400000_NS6detail17trampoline_kernelINS0_13select_configILj256ELj13ELNS0_17block_load_methodE3ELS4_3ELS4_3ELNS0_20block_scan_algorithmE0ELj4294967295EEENS1_25partition_config_selectorILNS1_17partition_subalgoE4EjNS0_10empty_typeEbEEZZNS1_14partition_implILS8_4ELb0ES6_15HIP_vector_typeIjLj2EENS0_17counting_iteratorIjlEEPS9_SG_NS0_5tupleIJPjSI_NS0_16reverse_iteratorISI_EEEEENSH_IJSG_SG_SG_EEES9_SI_JZNS1_25segmented_radix_sort_implINS0_14default_configELb0EPKhPhPKlPlN2at6native12_GLOBAL__N_18offset_tEEE10hipError_tPvRmT1_PNSt15iterator_traitsIS12_E10value_typeET2_T3_PNS13_IS18_E10value_typeET4_jRbjT5_S1E_jjP12ihipStream_tbEUljE_ZNSN_ISO_Lb0ESQ_SR_ST_SU_SY_EESZ_S10_S11_S12_S16_S17_S18_S1B_S1C_jS1D_jS1E_S1E_jjS1G_bEUljE0_EEESZ_S10_S11_S18_S1C_S1E_T6_T7_T9_mT8_S1G_bDpT10_ENKUlT_T0_E_clISt17integral_constantIbLb1EES1T_IbLb0EEEEDaS1P_S1Q_EUlS1P_E_NS1_11comp_targetILNS1_3genE5ELNS1_11target_archE942ELNS1_3gpuE9ELNS1_3repE0EEENS1_30default_config_static_selectorELNS0_4arch9wavefront6targetE0EEEvS12_,comdat
.Lfunc_end139:
	.size	_ZN7rocprim17ROCPRIM_400000_NS6detail17trampoline_kernelINS0_13select_configILj256ELj13ELNS0_17block_load_methodE3ELS4_3ELS4_3ELNS0_20block_scan_algorithmE0ELj4294967295EEENS1_25partition_config_selectorILNS1_17partition_subalgoE4EjNS0_10empty_typeEbEEZZNS1_14partition_implILS8_4ELb0ES6_15HIP_vector_typeIjLj2EENS0_17counting_iteratorIjlEEPS9_SG_NS0_5tupleIJPjSI_NS0_16reverse_iteratorISI_EEEEENSH_IJSG_SG_SG_EEES9_SI_JZNS1_25segmented_radix_sort_implINS0_14default_configELb0EPKhPhPKlPlN2at6native12_GLOBAL__N_18offset_tEEE10hipError_tPvRmT1_PNSt15iterator_traitsIS12_E10value_typeET2_T3_PNS13_IS18_E10value_typeET4_jRbjT5_S1E_jjP12ihipStream_tbEUljE_ZNSN_ISO_Lb0ESQ_SR_ST_SU_SY_EESZ_S10_S11_S12_S16_S17_S18_S1B_S1C_jS1D_jS1E_S1E_jjS1G_bEUljE0_EEESZ_S10_S11_S18_S1C_S1E_T6_T7_T9_mT8_S1G_bDpT10_ENKUlT_T0_E_clISt17integral_constantIbLb1EES1T_IbLb0EEEEDaS1P_S1Q_EUlS1P_E_NS1_11comp_targetILNS1_3genE5ELNS1_11target_archE942ELNS1_3gpuE9ELNS1_3repE0EEENS1_30default_config_static_selectorELNS0_4arch9wavefront6targetE0EEEvS12_, .Lfunc_end139-_ZN7rocprim17ROCPRIM_400000_NS6detail17trampoline_kernelINS0_13select_configILj256ELj13ELNS0_17block_load_methodE3ELS4_3ELS4_3ELNS0_20block_scan_algorithmE0ELj4294967295EEENS1_25partition_config_selectorILNS1_17partition_subalgoE4EjNS0_10empty_typeEbEEZZNS1_14partition_implILS8_4ELb0ES6_15HIP_vector_typeIjLj2EENS0_17counting_iteratorIjlEEPS9_SG_NS0_5tupleIJPjSI_NS0_16reverse_iteratorISI_EEEEENSH_IJSG_SG_SG_EEES9_SI_JZNS1_25segmented_radix_sort_implINS0_14default_configELb0EPKhPhPKlPlN2at6native12_GLOBAL__N_18offset_tEEE10hipError_tPvRmT1_PNSt15iterator_traitsIS12_E10value_typeET2_T3_PNS13_IS18_E10value_typeET4_jRbjT5_S1E_jjP12ihipStream_tbEUljE_ZNSN_ISO_Lb0ESQ_SR_ST_SU_SY_EESZ_S10_S11_S12_S16_S17_S18_S1B_S1C_jS1D_jS1E_S1E_jjS1G_bEUljE0_EEESZ_S10_S11_S18_S1C_S1E_T6_T7_T9_mT8_S1G_bDpT10_ENKUlT_T0_E_clISt17integral_constantIbLb1EES1T_IbLb0EEEEDaS1P_S1Q_EUlS1P_E_NS1_11comp_targetILNS1_3genE5ELNS1_11target_archE942ELNS1_3gpuE9ELNS1_3repE0EEENS1_30default_config_static_selectorELNS0_4arch9wavefront6targetE0EEEvS12_
                                        ; -- End function
	.set _ZN7rocprim17ROCPRIM_400000_NS6detail17trampoline_kernelINS0_13select_configILj256ELj13ELNS0_17block_load_methodE3ELS4_3ELS4_3ELNS0_20block_scan_algorithmE0ELj4294967295EEENS1_25partition_config_selectorILNS1_17partition_subalgoE4EjNS0_10empty_typeEbEEZZNS1_14partition_implILS8_4ELb0ES6_15HIP_vector_typeIjLj2EENS0_17counting_iteratorIjlEEPS9_SG_NS0_5tupleIJPjSI_NS0_16reverse_iteratorISI_EEEEENSH_IJSG_SG_SG_EEES9_SI_JZNS1_25segmented_radix_sort_implINS0_14default_configELb0EPKhPhPKlPlN2at6native12_GLOBAL__N_18offset_tEEE10hipError_tPvRmT1_PNSt15iterator_traitsIS12_E10value_typeET2_T3_PNS13_IS18_E10value_typeET4_jRbjT5_S1E_jjP12ihipStream_tbEUljE_ZNSN_ISO_Lb0ESQ_SR_ST_SU_SY_EESZ_S10_S11_S12_S16_S17_S18_S1B_S1C_jS1D_jS1E_S1E_jjS1G_bEUljE0_EEESZ_S10_S11_S18_S1C_S1E_T6_T7_T9_mT8_S1G_bDpT10_ENKUlT_T0_E_clISt17integral_constantIbLb1EES1T_IbLb0EEEEDaS1P_S1Q_EUlS1P_E_NS1_11comp_targetILNS1_3genE5ELNS1_11target_archE942ELNS1_3gpuE9ELNS1_3repE0EEENS1_30default_config_static_selectorELNS0_4arch9wavefront6targetE0EEEvS12_.num_vgpr, 0
	.set _ZN7rocprim17ROCPRIM_400000_NS6detail17trampoline_kernelINS0_13select_configILj256ELj13ELNS0_17block_load_methodE3ELS4_3ELS4_3ELNS0_20block_scan_algorithmE0ELj4294967295EEENS1_25partition_config_selectorILNS1_17partition_subalgoE4EjNS0_10empty_typeEbEEZZNS1_14partition_implILS8_4ELb0ES6_15HIP_vector_typeIjLj2EENS0_17counting_iteratorIjlEEPS9_SG_NS0_5tupleIJPjSI_NS0_16reverse_iteratorISI_EEEEENSH_IJSG_SG_SG_EEES9_SI_JZNS1_25segmented_radix_sort_implINS0_14default_configELb0EPKhPhPKlPlN2at6native12_GLOBAL__N_18offset_tEEE10hipError_tPvRmT1_PNSt15iterator_traitsIS12_E10value_typeET2_T3_PNS13_IS18_E10value_typeET4_jRbjT5_S1E_jjP12ihipStream_tbEUljE_ZNSN_ISO_Lb0ESQ_SR_ST_SU_SY_EESZ_S10_S11_S12_S16_S17_S18_S1B_S1C_jS1D_jS1E_S1E_jjS1G_bEUljE0_EEESZ_S10_S11_S18_S1C_S1E_T6_T7_T9_mT8_S1G_bDpT10_ENKUlT_T0_E_clISt17integral_constantIbLb1EES1T_IbLb0EEEEDaS1P_S1Q_EUlS1P_E_NS1_11comp_targetILNS1_3genE5ELNS1_11target_archE942ELNS1_3gpuE9ELNS1_3repE0EEENS1_30default_config_static_selectorELNS0_4arch9wavefront6targetE0EEEvS12_.num_agpr, 0
	.set _ZN7rocprim17ROCPRIM_400000_NS6detail17trampoline_kernelINS0_13select_configILj256ELj13ELNS0_17block_load_methodE3ELS4_3ELS4_3ELNS0_20block_scan_algorithmE0ELj4294967295EEENS1_25partition_config_selectorILNS1_17partition_subalgoE4EjNS0_10empty_typeEbEEZZNS1_14partition_implILS8_4ELb0ES6_15HIP_vector_typeIjLj2EENS0_17counting_iteratorIjlEEPS9_SG_NS0_5tupleIJPjSI_NS0_16reverse_iteratorISI_EEEEENSH_IJSG_SG_SG_EEES9_SI_JZNS1_25segmented_radix_sort_implINS0_14default_configELb0EPKhPhPKlPlN2at6native12_GLOBAL__N_18offset_tEEE10hipError_tPvRmT1_PNSt15iterator_traitsIS12_E10value_typeET2_T3_PNS13_IS18_E10value_typeET4_jRbjT5_S1E_jjP12ihipStream_tbEUljE_ZNSN_ISO_Lb0ESQ_SR_ST_SU_SY_EESZ_S10_S11_S12_S16_S17_S18_S1B_S1C_jS1D_jS1E_S1E_jjS1G_bEUljE0_EEESZ_S10_S11_S18_S1C_S1E_T6_T7_T9_mT8_S1G_bDpT10_ENKUlT_T0_E_clISt17integral_constantIbLb1EES1T_IbLb0EEEEDaS1P_S1Q_EUlS1P_E_NS1_11comp_targetILNS1_3genE5ELNS1_11target_archE942ELNS1_3gpuE9ELNS1_3repE0EEENS1_30default_config_static_selectorELNS0_4arch9wavefront6targetE0EEEvS12_.numbered_sgpr, 0
	.set _ZN7rocprim17ROCPRIM_400000_NS6detail17trampoline_kernelINS0_13select_configILj256ELj13ELNS0_17block_load_methodE3ELS4_3ELS4_3ELNS0_20block_scan_algorithmE0ELj4294967295EEENS1_25partition_config_selectorILNS1_17partition_subalgoE4EjNS0_10empty_typeEbEEZZNS1_14partition_implILS8_4ELb0ES6_15HIP_vector_typeIjLj2EENS0_17counting_iteratorIjlEEPS9_SG_NS0_5tupleIJPjSI_NS0_16reverse_iteratorISI_EEEEENSH_IJSG_SG_SG_EEES9_SI_JZNS1_25segmented_radix_sort_implINS0_14default_configELb0EPKhPhPKlPlN2at6native12_GLOBAL__N_18offset_tEEE10hipError_tPvRmT1_PNSt15iterator_traitsIS12_E10value_typeET2_T3_PNS13_IS18_E10value_typeET4_jRbjT5_S1E_jjP12ihipStream_tbEUljE_ZNSN_ISO_Lb0ESQ_SR_ST_SU_SY_EESZ_S10_S11_S12_S16_S17_S18_S1B_S1C_jS1D_jS1E_S1E_jjS1G_bEUljE0_EEESZ_S10_S11_S18_S1C_S1E_T6_T7_T9_mT8_S1G_bDpT10_ENKUlT_T0_E_clISt17integral_constantIbLb1EES1T_IbLb0EEEEDaS1P_S1Q_EUlS1P_E_NS1_11comp_targetILNS1_3genE5ELNS1_11target_archE942ELNS1_3gpuE9ELNS1_3repE0EEENS1_30default_config_static_selectorELNS0_4arch9wavefront6targetE0EEEvS12_.num_named_barrier, 0
	.set _ZN7rocprim17ROCPRIM_400000_NS6detail17trampoline_kernelINS0_13select_configILj256ELj13ELNS0_17block_load_methodE3ELS4_3ELS4_3ELNS0_20block_scan_algorithmE0ELj4294967295EEENS1_25partition_config_selectorILNS1_17partition_subalgoE4EjNS0_10empty_typeEbEEZZNS1_14partition_implILS8_4ELb0ES6_15HIP_vector_typeIjLj2EENS0_17counting_iteratorIjlEEPS9_SG_NS0_5tupleIJPjSI_NS0_16reverse_iteratorISI_EEEEENSH_IJSG_SG_SG_EEES9_SI_JZNS1_25segmented_radix_sort_implINS0_14default_configELb0EPKhPhPKlPlN2at6native12_GLOBAL__N_18offset_tEEE10hipError_tPvRmT1_PNSt15iterator_traitsIS12_E10value_typeET2_T3_PNS13_IS18_E10value_typeET4_jRbjT5_S1E_jjP12ihipStream_tbEUljE_ZNSN_ISO_Lb0ESQ_SR_ST_SU_SY_EESZ_S10_S11_S12_S16_S17_S18_S1B_S1C_jS1D_jS1E_S1E_jjS1G_bEUljE0_EEESZ_S10_S11_S18_S1C_S1E_T6_T7_T9_mT8_S1G_bDpT10_ENKUlT_T0_E_clISt17integral_constantIbLb1EES1T_IbLb0EEEEDaS1P_S1Q_EUlS1P_E_NS1_11comp_targetILNS1_3genE5ELNS1_11target_archE942ELNS1_3gpuE9ELNS1_3repE0EEENS1_30default_config_static_selectorELNS0_4arch9wavefront6targetE0EEEvS12_.private_seg_size, 0
	.set _ZN7rocprim17ROCPRIM_400000_NS6detail17trampoline_kernelINS0_13select_configILj256ELj13ELNS0_17block_load_methodE3ELS4_3ELS4_3ELNS0_20block_scan_algorithmE0ELj4294967295EEENS1_25partition_config_selectorILNS1_17partition_subalgoE4EjNS0_10empty_typeEbEEZZNS1_14partition_implILS8_4ELb0ES6_15HIP_vector_typeIjLj2EENS0_17counting_iteratorIjlEEPS9_SG_NS0_5tupleIJPjSI_NS0_16reverse_iteratorISI_EEEEENSH_IJSG_SG_SG_EEES9_SI_JZNS1_25segmented_radix_sort_implINS0_14default_configELb0EPKhPhPKlPlN2at6native12_GLOBAL__N_18offset_tEEE10hipError_tPvRmT1_PNSt15iterator_traitsIS12_E10value_typeET2_T3_PNS13_IS18_E10value_typeET4_jRbjT5_S1E_jjP12ihipStream_tbEUljE_ZNSN_ISO_Lb0ESQ_SR_ST_SU_SY_EESZ_S10_S11_S12_S16_S17_S18_S1B_S1C_jS1D_jS1E_S1E_jjS1G_bEUljE0_EEESZ_S10_S11_S18_S1C_S1E_T6_T7_T9_mT8_S1G_bDpT10_ENKUlT_T0_E_clISt17integral_constantIbLb1EES1T_IbLb0EEEEDaS1P_S1Q_EUlS1P_E_NS1_11comp_targetILNS1_3genE5ELNS1_11target_archE942ELNS1_3gpuE9ELNS1_3repE0EEENS1_30default_config_static_selectorELNS0_4arch9wavefront6targetE0EEEvS12_.uses_vcc, 0
	.set _ZN7rocprim17ROCPRIM_400000_NS6detail17trampoline_kernelINS0_13select_configILj256ELj13ELNS0_17block_load_methodE3ELS4_3ELS4_3ELNS0_20block_scan_algorithmE0ELj4294967295EEENS1_25partition_config_selectorILNS1_17partition_subalgoE4EjNS0_10empty_typeEbEEZZNS1_14partition_implILS8_4ELb0ES6_15HIP_vector_typeIjLj2EENS0_17counting_iteratorIjlEEPS9_SG_NS0_5tupleIJPjSI_NS0_16reverse_iteratorISI_EEEEENSH_IJSG_SG_SG_EEES9_SI_JZNS1_25segmented_radix_sort_implINS0_14default_configELb0EPKhPhPKlPlN2at6native12_GLOBAL__N_18offset_tEEE10hipError_tPvRmT1_PNSt15iterator_traitsIS12_E10value_typeET2_T3_PNS13_IS18_E10value_typeET4_jRbjT5_S1E_jjP12ihipStream_tbEUljE_ZNSN_ISO_Lb0ESQ_SR_ST_SU_SY_EESZ_S10_S11_S12_S16_S17_S18_S1B_S1C_jS1D_jS1E_S1E_jjS1G_bEUljE0_EEESZ_S10_S11_S18_S1C_S1E_T6_T7_T9_mT8_S1G_bDpT10_ENKUlT_T0_E_clISt17integral_constantIbLb1EES1T_IbLb0EEEEDaS1P_S1Q_EUlS1P_E_NS1_11comp_targetILNS1_3genE5ELNS1_11target_archE942ELNS1_3gpuE9ELNS1_3repE0EEENS1_30default_config_static_selectorELNS0_4arch9wavefront6targetE0EEEvS12_.uses_flat_scratch, 0
	.set _ZN7rocprim17ROCPRIM_400000_NS6detail17trampoline_kernelINS0_13select_configILj256ELj13ELNS0_17block_load_methodE3ELS4_3ELS4_3ELNS0_20block_scan_algorithmE0ELj4294967295EEENS1_25partition_config_selectorILNS1_17partition_subalgoE4EjNS0_10empty_typeEbEEZZNS1_14partition_implILS8_4ELb0ES6_15HIP_vector_typeIjLj2EENS0_17counting_iteratorIjlEEPS9_SG_NS0_5tupleIJPjSI_NS0_16reverse_iteratorISI_EEEEENSH_IJSG_SG_SG_EEES9_SI_JZNS1_25segmented_radix_sort_implINS0_14default_configELb0EPKhPhPKlPlN2at6native12_GLOBAL__N_18offset_tEEE10hipError_tPvRmT1_PNSt15iterator_traitsIS12_E10value_typeET2_T3_PNS13_IS18_E10value_typeET4_jRbjT5_S1E_jjP12ihipStream_tbEUljE_ZNSN_ISO_Lb0ESQ_SR_ST_SU_SY_EESZ_S10_S11_S12_S16_S17_S18_S1B_S1C_jS1D_jS1E_S1E_jjS1G_bEUljE0_EEESZ_S10_S11_S18_S1C_S1E_T6_T7_T9_mT8_S1G_bDpT10_ENKUlT_T0_E_clISt17integral_constantIbLb1EES1T_IbLb0EEEEDaS1P_S1Q_EUlS1P_E_NS1_11comp_targetILNS1_3genE5ELNS1_11target_archE942ELNS1_3gpuE9ELNS1_3repE0EEENS1_30default_config_static_selectorELNS0_4arch9wavefront6targetE0EEEvS12_.has_dyn_sized_stack, 0
	.set _ZN7rocprim17ROCPRIM_400000_NS6detail17trampoline_kernelINS0_13select_configILj256ELj13ELNS0_17block_load_methodE3ELS4_3ELS4_3ELNS0_20block_scan_algorithmE0ELj4294967295EEENS1_25partition_config_selectorILNS1_17partition_subalgoE4EjNS0_10empty_typeEbEEZZNS1_14partition_implILS8_4ELb0ES6_15HIP_vector_typeIjLj2EENS0_17counting_iteratorIjlEEPS9_SG_NS0_5tupleIJPjSI_NS0_16reverse_iteratorISI_EEEEENSH_IJSG_SG_SG_EEES9_SI_JZNS1_25segmented_radix_sort_implINS0_14default_configELb0EPKhPhPKlPlN2at6native12_GLOBAL__N_18offset_tEEE10hipError_tPvRmT1_PNSt15iterator_traitsIS12_E10value_typeET2_T3_PNS13_IS18_E10value_typeET4_jRbjT5_S1E_jjP12ihipStream_tbEUljE_ZNSN_ISO_Lb0ESQ_SR_ST_SU_SY_EESZ_S10_S11_S12_S16_S17_S18_S1B_S1C_jS1D_jS1E_S1E_jjS1G_bEUljE0_EEESZ_S10_S11_S18_S1C_S1E_T6_T7_T9_mT8_S1G_bDpT10_ENKUlT_T0_E_clISt17integral_constantIbLb1EES1T_IbLb0EEEEDaS1P_S1Q_EUlS1P_E_NS1_11comp_targetILNS1_3genE5ELNS1_11target_archE942ELNS1_3gpuE9ELNS1_3repE0EEENS1_30default_config_static_selectorELNS0_4arch9wavefront6targetE0EEEvS12_.has_recursion, 0
	.set _ZN7rocprim17ROCPRIM_400000_NS6detail17trampoline_kernelINS0_13select_configILj256ELj13ELNS0_17block_load_methodE3ELS4_3ELS4_3ELNS0_20block_scan_algorithmE0ELj4294967295EEENS1_25partition_config_selectorILNS1_17partition_subalgoE4EjNS0_10empty_typeEbEEZZNS1_14partition_implILS8_4ELb0ES6_15HIP_vector_typeIjLj2EENS0_17counting_iteratorIjlEEPS9_SG_NS0_5tupleIJPjSI_NS0_16reverse_iteratorISI_EEEEENSH_IJSG_SG_SG_EEES9_SI_JZNS1_25segmented_radix_sort_implINS0_14default_configELb0EPKhPhPKlPlN2at6native12_GLOBAL__N_18offset_tEEE10hipError_tPvRmT1_PNSt15iterator_traitsIS12_E10value_typeET2_T3_PNS13_IS18_E10value_typeET4_jRbjT5_S1E_jjP12ihipStream_tbEUljE_ZNSN_ISO_Lb0ESQ_SR_ST_SU_SY_EESZ_S10_S11_S12_S16_S17_S18_S1B_S1C_jS1D_jS1E_S1E_jjS1G_bEUljE0_EEESZ_S10_S11_S18_S1C_S1E_T6_T7_T9_mT8_S1G_bDpT10_ENKUlT_T0_E_clISt17integral_constantIbLb1EES1T_IbLb0EEEEDaS1P_S1Q_EUlS1P_E_NS1_11comp_targetILNS1_3genE5ELNS1_11target_archE942ELNS1_3gpuE9ELNS1_3repE0EEENS1_30default_config_static_selectorELNS0_4arch9wavefront6targetE0EEEvS12_.has_indirect_call, 0
	.section	.AMDGPU.csdata,"",@progbits
; Kernel info:
; codeLenInByte = 0
; TotalNumSgprs: 0
; NumVgprs: 0
; ScratchSize: 0
; MemoryBound: 0
; FloatMode: 240
; IeeeMode: 1
; LDSByteSize: 0 bytes/workgroup (compile time only)
; SGPRBlocks: 0
; VGPRBlocks: 0
; NumSGPRsForWavesPerEU: 1
; NumVGPRsForWavesPerEU: 1
; Occupancy: 16
; WaveLimiterHint : 0
; COMPUTE_PGM_RSRC2:SCRATCH_EN: 0
; COMPUTE_PGM_RSRC2:USER_SGPR: 2
; COMPUTE_PGM_RSRC2:TRAP_HANDLER: 0
; COMPUTE_PGM_RSRC2:TGID_X_EN: 1
; COMPUTE_PGM_RSRC2:TGID_Y_EN: 0
; COMPUTE_PGM_RSRC2:TGID_Z_EN: 0
; COMPUTE_PGM_RSRC2:TIDIG_COMP_CNT: 0
	.section	.text._ZN7rocprim17ROCPRIM_400000_NS6detail17trampoline_kernelINS0_13select_configILj256ELj13ELNS0_17block_load_methodE3ELS4_3ELS4_3ELNS0_20block_scan_algorithmE0ELj4294967295EEENS1_25partition_config_selectorILNS1_17partition_subalgoE4EjNS0_10empty_typeEbEEZZNS1_14partition_implILS8_4ELb0ES6_15HIP_vector_typeIjLj2EENS0_17counting_iteratorIjlEEPS9_SG_NS0_5tupleIJPjSI_NS0_16reverse_iteratorISI_EEEEENSH_IJSG_SG_SG_EEES9_SI_JZNS1_25segmented_radix_sort_implINS0_14default_configELb0EPKhPhPKlPlN2at6native12_GLOBAL__N_18offset_tEEE10hipError_tPvRmT1_PNSt15iterator_traitsIS12_E10value_typeET2_T3_PNS13_IS18_E10value_typeET4_jRbjT5_S1E_jjP12ihipStream_tbEUljE_ZNSN_ISO_Lb0ESQ_SR_ST_SU_SY_EESZ_S10_S11_S12_S16_S17_S18_S1B_S1C_jS1D_jS1E_S1E_jjS1G_bEUljE0_EEESZ_S10_S11_S18_S1C_S1E_T6_T7_T9_mT8_S1G_bDpT10_ENKUlT_T0_E_clISt17integral_constantIbLb1EES1T_IbLb0EEEEDaS1P_S1Q_EUlS1P_E_NS1_11comp_targetILNS1_3genE4ELNS1_11target_archE910ELNS1_3gpuE8ELNS1_3repE0EEENS1_30default_config_static_selectorELNS0_4arch9wavefront6targetE0EEEvS12_,"axG",@progbits,_ZN7rocprim17ROCPRIM_400000_NS6detail17trampoline_kernelINS0_13select_configILj256ELj13ELNS0_17block_load_methodE3ELS4_3ELS4_3ELNS0_20block_scan_algorithmE0ELj4294967295EEENS1_25partition_config_selectorILNS1_17partition_subalgoE4EjNS0_10empty_typeEbEEZZNS1_14partition_implILS8_4ELb0ES6_15HIP_vector_typeIjLj2EENS0_17counting_iteratorIjlEEPS9_SG_NS0_5tupleIJPjSI_NS0_16reverse_iteratorISI_EEEEENSH_IJSG_SG_SG_EEES9_SI_JZNS1_25segmented_radix_sort_implINS0_14default_configELb0EPKhPhPKlPlN2at6native12_GLOBAL__N_18offset_tEEE10hipError_tPvRmT1_PNSt15iterator_traitsIS12_E10value_typeET2_T3_PNS13_IS18_E10value_typeET4_jRbjT5_S1E_jjP12ihipStream_tbEUljE_ZNSN_ISO_Lb0ESQ_SR_ST_SU_SY_EESZ_S10_S11_S12_S16_S17_S18_S1B_S1C_jS1D_jS1E_S1E_jjS1G_bEUljE0_EEESZ_S10_S11_S18_S1C_S1E_T6_T7_T9_mT8_S1G_bDpT10_ENKUlT_T0_E_clISt17integral_constantIbLb1EES1T_IbLb0EEEEDaS1P_S1Q_EUlS1P_E_NS1_11comp_targetILNS1_3genE4ELNS1_11target_archE910ELNS1_3gpuE8ELNS1_3repE0EEENS1_30default_config_static_selectorELNS0_4arch9wavefront6targetE0EEEvS12_,comdat
	.globl	_ZN7rocprim17ROCPRIM_400000_NS6detail17trampoline_kernelINS0_13select_configILj256ELj13ELNS0_17block_load_methodE3ELS4_3ELS4_3ELNS0_20block_scan_algorithmE0ELj4294967295EEENS1_25partition_config_selectorILNS1_17partition_subalgoE4EjNS0_10empty_typeEbEEZZNS1_14partition_implILS8_4ELb0ES6_15HIP_vector_typeIjLj2EENS0_17counting_iteratorIjlEEPS9_SG_NS0_5tupleIJPjSI_NS0_16reverse_iteratorISI_EEEEENSH_IJSG_SG_SG_EEES9_SI_JZNS1_25segmented_radix_sort_implINS0_14default_configELb0EPKhPhPKlPlN2at6native12_GLOBAL__N_18offset_tEEE10hipError_tPvRmT1_PNSt15iterator_traitsIS12_E10value_typeET2_T3_PNS13_IS18_E10value_typeET4_jRbjT5_S1E_jjP12ihipStream_tbEUljE_ZNSN_ISO_Lb0ESQ_SR_ST_SU_SY_EESZ_S10_S11_S12_S16_S17_S18_S1B_S1C_jS1D_jS1E_S1E_jjS1G_bEUljE0_EEESZ_S10_S11_S18_S1C_S1E_T6_T7_T9_mT8_S1G_bDpT10_ENKUlT_T0_E_clISt17integral_constantIbLb1EES1T_IbLb0EEEEDaS1P_S1Q_EUlS1P_E_NS1_11comp_targetILNS1_3genE4ELNS1_11target_archE910ELNS1_3gpuE8ELNS1_3repE0EEENS1_30default_config_static_selectorELNS0_4arch9wavefront6targetE0EEEvS12_ ; -- Begin function _ZN7rocprim17ROCPRIM_400000_NS6detail17trampoline_kernelINS0_13select_configILj256ELj13ELNS0_17block_load_methodE3ELS4_3ELS4_3ELNS0_20block_scan_algorithmE0ELj4294967295EEENS1_25partition_config_selectorILNS1_17partition_subalgoE4EjNS0_10empty_typeEbEEZZNS1_14partition_implILS8_4ELb0ES6_15HIP_vector_typeIjLj2EENS0_17counting_iteratorIjlEEPS9_SG_NS0_5tupleIJPjSI_NS0_16reverse_iteratorISI_EEEEENSH_IJSG_SG_SG_EEES9_SI_JZNS1_25segmented_radix_sort_implINS0_14default_configELb0EPKhPhPKlPlN2at6native12_GLOBAL__N_18offset_tEEE10hipError_tPvRmT1_PNSt15iterator_traitsIS12_E10value_typeET2_T3_PNS13_IS18_E10value_typeET4_jRbjT5_S1E_jjP12ihipStream_tbEUljE_ZNSN_ISO_Lb0ESQ_SR_ST_SU_SY_EESZ_S10_S11_S12_S16_S17_S18_S1B_S1C_jS1D_jS1E_S1E_jjS1G_bEUljE0_EEESZ_S10_S11_S18_S1C_S1E_T6_T7_T9_mT8_S1G_bDpT10_ENKUlT_T0_E_clISt17integral_constantIbLb1EES1T_IbLb0EEEEDaS1P_S1Q_EUlS1P_E_NS1_11comp_targetILNS1_3genE4ELNS1_11target_archE910ELNS1_3gpuE8ELNS1_3repE0EEENS1_30default_config_static_selectorELNS0_4arch9wavefront6targetE0EEEvS12_
	.p2align	8
	.type	_ZN7rocprim17ROCPRIM_400000_NS6detail17trampoline_kernelINS0_13select_configILj256ELj13ELNS0_17block_load_methodE3ELS4_3ELS4_3ELNS0_20block_scan_algorithmE0ELj4294967295EEENS1_25partition_config_selectorILNS1_17partition_subalgoE4EjNS0_10empty_typeEbEEZZNS1_14partition_implILS8_4ELb0ES6_15HIP_vector_typeIjLj2EENS0_17counting_iteratorIjlEEPS9_SG_NS0_5tupleIJPjSI_NS0_16reverse_iteratorISI_EEEEENSH_IJSG_SG_SG_EEES9_SI_JZNS1_25segmented_radix_sort_implINS0_14default_configELb0EPKhPhPKlPlN2at6native12_GLOBAL__N_18offset_tEEE10hipError_tPvRmT1_PNSt15iterator_traitsIS12_E10value_typeET2_T3_PNS13_IS18_E10value_typeET4_jRbjT5_S1E_jjP12ihipStream_tbEUljE_ZNSN_ISO_Lb0ESQ_SR_ST_SU_SY_EESZ_S10_S11_S12_S16_S17_S18_S1B_S1C_jS1D_jS1E_S1E_jjS1G_bEUljE0_EEESZ_S10_S11_S18_S1C_S1E_T6_T7_T9_mT8_S1G_bDpT10_ENKUlT_T0_E_clISt17integral_constantIbLb1EES1T_IbLb0EEEEDaS1P_S1Q_EUlS1P_E_NS1_11comp_targetILNS1_3genE4ELNS1_11target_archE910ELNS1_3gpuE8ELNS1_3repE0EEENS1_30default_config_static_selectorELNS0_4arch9wavefront6targetE0EEEvS12_,@function
_ZN7rocprim17ROCPRIM_400000_NS6detail17trampoline_kernelINS0_13select_configILj256ELj13ELNS0_17block_load_methodE3ELS4_3ELS4_3ELNS0_20block_scan_algorithmE0ELj4294967295EEENS1_25partition_config_selectorILNS1_17partition_subalgoE4EjNS0_10empty_typeEbEEZZNS1_14partition_implILS8_4ELb0ES6_15HIP_vector_typeIjLj2EENS0_17counting_iteratorIjlEEPS9_SG_NS0_5tupleIJPjSI_NS0_16reverse_iteratorISI_EEEEENSH_IJSG_SG_SG_EEES9_SI_JZNS1_25segmented_radix_sort_implINS0_14default_configELb0EPKhPhPKlPlN2at6native12_GLOBAL__N_18offset_tEEE10hipError_tPvRmT1_PNSt15iterator_traitsIS12_E10value_typeET2_T3_PNS13_IS18_E10value_typeET4_jRbjT5_S1E_jjP12ihipStream_tbEUljE_ZNSN_ISO_Lb0ESQ_SR_ST_SU_SY_EESZ_S10_S11_S12_S16_S17_S18_S1B_S1C_jS1D_jS1E_S1E_jjS1G_bEUljE0_EEESZ_S10_S11_S18_S1C_S1E_T6_T7_T9_mT8_S1G_bDpT10_ENKUlT_T0_E_clISt17integral_constantIbLb1EES1T_IbLb0EEEEDaS1P_S1Q_EUlS1P_E_NS1_11comp_targetILNS1_3genE4ELNS1_11target_archE910ELNS1_3gpuE8ELNS1_3repE0EEENS1_30default_config_static_selectorELNS0_4arch9wavefront6targetE0EEEvS12_: ; @_ZN7rocprim17ROCPRIM_400000_NS6detail17trampoline_kernelINS0_13select_configILj256ELj13ELNS0_17block_load_methodE3ELS4_3ELS4_3ELNS0_20block_scan_algorithmE0ELj4294967295EEENS1_25partition_config_selectorILNS1_17partition_subalgoE4EjNS0_10empty_typeEbEEZZNS1_14partition_implILS8_4ELb0ES6_15HIP_vector_typeIjLj2EENS0_17counting_iteratorIjlEEPS9_SG_NS0_5tupleIJPjSI_NS0_16reverse_iteratorISI_EEEEENSH_IJSG_SG_SG_EEES9_SI_JZNS1_25segmented_radix_sort_implINS0_14default_configELb0EPKhPhPKlPlN2at6native12_GLOBAL__N_18offset_tEEE10hipError_tPvRmT1_PNSt15iterator_traitsIS12_E10value_typeET2_T3_PNS13_IS18_E10value_typeET4_jRbjT5_S1E_jjP12ihipStream_tbEUljE_ZNSN_ISO_Lb0ESQ_SR_ST_SU_SY_EESZ_S10_S11_S12_S16_S17_S18_S1B_S1C_jS1D_jS1E_S1E_jjS1G_bEUljE0_EEESZ_S10_S11_S18_S1C_S1E_T6_T7_T9_mT8_S1G_bDpT10_ENKUlT_T0_E_clISt17integral_constantIbLb1EES1T_IbLb0EEEEDaS1P_S1Q_EUlS1P_E_NS1_11comp_targetILNS1_3genE4ELNS1_11target_archE910ELNS1_3gpuE8ELNS1_3repE0EEENS1_30default_config_static_selectorELNS0_4arch9wavefront6targetE0EEEvS12_
; %bb.0:
	.section	.rodata,"a",@progbits
	.p2align	6, 0x0
	.amdhsa_kernel _ZN7rocprim17ROCPRIM_400000_NS6detail17trampoline_kernelINS0_13select_configILj256ELj13ELNS0_17block_load_methodE3ELS4_3ELS4_3ELNS0_20block_scan_algorithmE0ELj4294967295EEENS1_25partition_config_selectorILNS1_17partition_subalgoE4EjNS0_10empty_typeEbEEZZNS1_14partition_implILS8_4ELb0ES6_15HIP_vector_typeIjLj2EENS0_17counting_iteratorIjlEEPS9_SG_NS0_5tupleIJPjSI_NS0_16reverse_iteratorISI_EEEEENSH_IJSG_SG_SG_EEES9_SI_JZNS1_25segmented_radix_sort_implINS0_14default_configELb0EPKhPhPKlPlN2at6native12_GLOBAL__N_18offset_tEEE10hipError_tPvRmT1_PNSt15iterator_traitsIS12_E10value_typeET2_T3_PNS13_IS18_E10value_typeET4_jRbjT5_S1E_jjP12ihipStream_tbEUljE_ZNSN_ISO_Lb0ESQ_SR_ST_SU_SY_EESZ_S10_S11_S12_S16_S17_S18_S1B_S1C_jS1D_jS1E_S1E_jjS1G_bEUljE0_EEESZ_S10_S11_S18_S1C_S1E_T6_T7_T9_mT8_S1G_bDpT10_ENKUlT_T0_E_clISt17integral_constantIbLb1EES1T_IbLb0EEEEDaS1P_S1Q_EUlS1P_E_NS1_11comp_targetILNS1_3genE4ELNS1_11target_archE910ELNS1_3gpuE8ELNS1_3repE0EEENS1_30default_config_static_selectorELNS0_4arch9wavefront6targetE0EEEvS12_
		.amdhsa_group_segment_fixed_size 0
		.amdhsa_private_segment_fixed_size 0
		.amdhsa_kernarg_size 176
		.amdhsa_user_sgpr_count 2
		.amdhsa_user_sgpr_dispatch_ptr 0
		.amdhsa_user_sgpr_queue_ptr 0
		.amdhsa_user_sgpr_kernarg_segment_ptr 1
		.amdhsa_user_sgpr_dispatch_id 0
		.amdhsa_user_sgpr_private_segment_size 0
		.amdhsa_wavefront_size32 1
		.amdhsa_uses_dynamic_stack 0
		.amdhsa_enable_private_segment 0
		.amdhsa_system_sgpr_workgroup_id_x 1
		.amdhsa_system_sgpr_workgroup_id_y 0
		.amdhsa_system_sgpr_workgroup_id_z 0
		.amdhsa_system_sgpr_workgroup_info 0
		.amdhsa_system_vgpr_workitem_id 0
		.amdhsa_next_free_vgpr 1
		.amdhsa_next_free_sgpr 1
		.amdhsa_reserve_vcc 0
		.amdhsa_float_round_mode_32 0
		.amdhsa_float_round_mode_16_64 0
		.amdhsa_float_denorm_mode_32 3
		.amdhsa_float_denorm_mode_16_64 3
		.amdhsa_fp16_overflow 0
		.amdhsa_workgroup_processor_mode 1
		.amdhsa_memory_ordered 1
		.amdhsa_forward_progress 1
		.amdhsa_inst_pref_size 0
		.amdhsa_round_robin_scheduling 0
		.amdhsa_exception_fp_ieee_invalid_op 0
		.amdhsa_exception_fp_denorm_src 0
		.amdhsa_exception_fp_ieee_div_zero 0
		.amdhsa_exception_fp_ieee_overflow 0
		.amdhsa_exception_fp_ieee_underflow 0
		.amdhsa_exception_fp_ieee_inexact 0
		.amdhsa_exception_int_div_zero 0
	.end_amdhsa_kernel
	.section	.text._ZN7rocprim17ROCPRIM_400000_NS6detail17trampoline_kernelINS0_13select_configILj256ELj13ELNS0_17block_load_methodE3ELS4_3ELS4_3ELNS0_20block_scan_algorithmE0ELj4294967295EEENS1_25partition_config_selectorILNS1_17partition_subalgoE4EjNS0_10empty_typeEbEEZZNS1_14partition_implILS8_4ELb0ES6_15HIP_vector_typeIjLj2EENS0_17counting_iteratorIjlEEPS9_SG_NS0_5tupleIJPjSI_NS0_16reverse_iteratorISI_EEEEENSH_IJSG_SG_SG_EEES9_SI_JZNS1_25segmented_radix_sort_implINS0_14default_configELb0EPKhPhPKlPlN2at6native12_GLOBAL__N_18offset_tEEE10hipError_tPvRmT1_PNSt15iterator_traitsIS12_E10value_typeET2_T3_PNS13_IS18_E10value_typeET4_jRbjT5_S1E_jjP12ihipStream_tbEUljE_ZNSN_ISO_Lb0ESQ_SR_ST_SU_SY_EESZ_S10_S11_S12_S16_S17_S18_S1B_S1C_jS1D_jS1E_S1E_jjS1G_bEUljE0_EEESZ_S10_S11_S18_S1C_S1E_T6_T7_T9_mT8_S1G_bDpT10_ENKUlT_T0_E_clISt17integral_constantIbLb1EES1T_IbLb0EEEEDaS1P_S1Q_EUlS1P_E_NS1_11comp_targetILNS1_3genE4ELNS1_11target_archE910ELNS1_3gpuE8ELNS1_3repE0EEENS1_30default_config_static_selectorELNS0_4arch9wavefront6targetE0EEEvS12_,"axG",@progbits,_ZN7rocprim17ROCPRIM_400000_NS6detail17trampoline_kernelINS0_13select_configILj256ELj13ELNS0_17block_load_methodE3ELS4_3ELS4_3ELNS0_20block_scan_algorithmE0ELj4294967295EEENS1_25partition_config_selectorILNS1_17partition_subalgoE4EjNS0_10empty_typeEbEEZZNS1_14partition_implILS8_4ELb0ES6_15HIP_vector_typeIjLj2EENS0_17counting_iteratorIjlEEPS9_SG_NS0_5tupleIJPjSI_NS0_16reverse_iteratorISI_EEEEENSH_IJSG_SG_SG_EEES9_SI_JZNS1_25segmented_radix_sort_implINS0_14default_configELb0EPKhPhPKlPlN2at6native12_GLOBAL__N_18offset_tEEE10hipError_tPvRmT1_PNSt15iterator_traitsIS12_E10value_typeET2_T3_PNS13_IS18_E10value_typeET4_jRbjT5_S1E_jjP12ihipStream_tbEUljE_ZNSN_ISO_Lb0ESQ_SR_ST_SU_SY_EESZ_S10_S11_S12_S16_S17_S18_S1B_S1C_jS1D_jS1E_S1E_jjS1G_bEUljE0_EEESZ_S10_S11_S18_S1C_S1E_T6_T7_T9_mT8_S1G_bDpT10_ENKUlT_T0_E_clISt17integral_constantIbLb1EES1T_IbLb0EEEEDaS1P_S1Q_EUlS1P_E_NS1_11comp_targetILNS1_3genE4ELNS1_11target_archE910ELNS1_3gpuE8ELNS1_3repE0EEENS1_30default_config_static_selectorELNS0_4arch9wavefront6targetE0EEEvS12_,comdat
.Lfunc_end140:
	.size	_ZN7rocprim17ROCPRIM_400000_NS6detail17trampoline_kernelINS0_13select_configILj256ELj13ELNS0_17block_load_methodE3ELS4_3ELS4_3ELNS0_20block_scan_algorithmE0ELj4294967295EEENS1_25partition_config_selectorILNS1_17partition_subalgoE4EjNS0_10empty_typeEbEEZZNS1_14partition_implILS8_4ELb0ES6_15HIP_vector_typeIjLj2EENS0_17counting_iteratorIjlEEPS9_SG_NS0_5tupleIJPjSI_NS0_16reverse_iteratorISI_EEEEENSH_IJSG_SG_SG_EEES9_SI_JZNS1_25segmented_radix_sort_implINS0_14default_configELb0EPKhPhPKlPlN2at6native12_GLOBAL__N_18offset_tEEE10hipError_tPvRmT1_PNSt15iterator_traitsIS12_E10value_typeET2_T3_PNS13_IS18_E10value_typeET4_jRbjT5_S1E_jjP12ihipStream_tbEUljE_ZNSN_ISO_Lb0ESQ_SR_ST_SU_SY_EESZ_S10_S11_S12_S16_S17_S18_S1B_S1C_jS1D_jS1E_S1E_jjS1G_bEUljE0_EEESZ_S10_S11_S18_S1C_S1E_T6_T7_T9_mT8_S1G_bDpT10_ENKUlT_T0_E_clISt17integral_constantIbLb1EES1T_IbLb0EEEEDaS1P_S1Q_EUlS1P_E_NS1_11comp_targetILNS1_3genE4ELNS1_11target_archE910ELNS1_3gpuE8ELNS1_3repE0EEENS1_30default_config_static_selectorELNS0_4arch9wavefront6targetE0EEEvS12_, .Lfunc_end140-_ZN7rocprim17ROCPRIM_400000_NS6detail17trampoline_kernelINS0_13select_configILj256ELj13ELNS0_17block_load_methodE3ELS4_3ELS4_3ELNS0_20block_scan_algorithmE0ELj4294967295EEENS1_25partition_config_selectorILNS1_17partition_subalgoE4EjNS0_10empty_typeEbEEZZNS1_14partition_implILS8_4ELb0ES6_15HIP_vector_typeIjLj2EENS0_17counting_iteratorIjlEEPS9_SG_NS0_5tupleIJPjSI_NS0_16reverse_iteratorISI_EEEEENSH_IJSG_SG_SG_EEES9_SI_JZNS1_25segmented_radix_sort_implINS0_14default_configELb0EPKhPhPKlPlN2at6native12_GLOBAL__N_18offset_tEEE10hipError_tPvRmT1_PNSt15iterator_traitsIS12_E10value_typeET2_T3_PNS13_IS18_E10value_typeET4_jRbjT5_S1E_jjP12ihipStream_tbEUljE_ZNSN_ISO_Lb0ESQ_SR_ST_SU_SY_EESZ_S10_S11_S12_S16_S17_S18_S1B_S1C_jS1D_jS1E_S1E_jjS1G_bEUljE0_EEESZ_S10_S11_S18_S1C_S1E_T6_T7_T9_mT8_S1G_bDpT10_ENKUlT_T0_E_clISt17integral_constantIbLb1EES1T_IbLb0EEEEDaS1P_S1Q_EUlS1P_E_NS1_11comp_targetILNS1_3genE4ELNS1_11target_archE910ELNS1_3gpuE8ELNS1_3repE0EEENS1_30default_config_static_selectorELNS0_4arch9wavefront6targetE0EEEvS12_
                                        ; -- End function
	.set _ZN7rocprim17ROCPRIM_400000_NS6detail17trampoline_kernelINS0_13select_configILj256ELj13ELNS0_17block_load_methodE3ELS4_3ELS4_3ELNS0_20block_scan_algorithmE0ELj4294967295EEENS1_25partition_config_selectorILNS1_17partition_subalgoE4EjNS0_10empty_typeEbEEZZNS1_14partition_implILS8_4ELb0ES6_15HIP_vector_typeIjLj2EENS0_17counting_iteratorIjlEEPS9_SG_NS0_5tupleIJPjSI_NS0_16reverse_iteratorISI_EEEEENSH_IJSG_SG_SG_EEES9_SI_JZNS1_25segmented_radix_sort_implINS0_14default_configELb0EPKhPhPKlPlN2at6native12_GLOBAL__N_18offset_tEEE10hipError_tPvRmT1_PNSt15iterator_traitsIS12_E10value_typeET2_T3_PNS13_IS18_E10value_typeET4_jRbjT5_S1E_jjP12ihipStream_tbEUljE_ZNSN_ISO_Lb0ESQ_SR_ST_SU_SY_EESZ_S10_S11_S12_S16_S17_S18_S1B_S1C_jS1D_jS1E_S1E_jjS1G_bEUljE0_EEESZ_S10_S11_S18_S1C_S1E_T6_T7_T9_mT8_S1G_bDpT10_ENKUlT_T0_E_clISt17integral_constantIbLb1EES1T_IbLb0EEEEDaS1P_S1Q_EUlS1P_E_NS1_11comp_targetILNS1_3genE4ELNS1_11target_archE910ELNS1_3gpuE8ELNS1_3repE0EEENS1_30default_config_static_selectorELNS0_4arch9wavefront6targetE0EEEvS12_.num_vgpr, 0
	.set _ZN7rocprim17ROCPRIM_400000_NS6detail17trampoline_kernelINS0_13select_configILj256ELj13ELNS0_17block_load_methodE3ELS4_3ELS4_3ELNS0_20block_scan_algorithmE0ELj4294967295EEENS1_25partition_config_selectorILNS1_17partition_subalgoE4EjNS0_10empty_typeEbEEZZNS1_14partition_implILS8_4ELb0ES6_15HIP_vector_typeIjLj2EENS0_17counting_iteratorIjlEEPS9_SG_NS0_5tupleIJPjSI_NS0_16reverse_iteratorISI_EEEEENSH_IJSG_SG_SG_EEES9_SI_JZNS1_25segmented_radix_sort_implINS0_14default_configELb0EPKhPhPKlPlN2at6native12_GLOBAL__N_18offset_tEEE10hipError_tPvRmT1_PNSt15iterator_traitsIS12_E10value_typeET2_T3_PNS13_IS18_E10value_typeET4_jRbjT5_S1E_jjP12ihipStream_tbEUljE_ZNSN_ISO_Lb0ESQ_SR_ST_SU_SY_EESZ_S10_S11_S12_S16_S17_S18_S1B_S1C_jS1D_jS1E_S1E_jjS1G_bEUljE0_EEESZ_S10_S11_S18_S1C_S1E_T6_T7_T9_mT8_S1G_bDpT10_ENKUlT_T0_E_clISt17integral_constantIbLb1EES1T_IbLb0EEEEDaS1P_S1Q_EUlS1P_E_NS1_11comp_targetILNS1_3genE4ELNS1_11target_archE910ELNS1_3gpuE8ELNS1_3repE0EEENS1_30default_config_static_selectorELNS0_4arch9wavefront6targetE0EEEvS12_.num_agpr, 0
	.set _ZN7rocprim17ROCPRIM_400000_NS6detail17trampoline_kernelINS0_13select_configILj256ELj13ELNS0_17block_load_methodE3ELS4_3ELS4_3ELNS0_20block_scan_algorithmE0ELj4294967295EEENS1_25partition_config_selectorILNS1_17partition_subalgoE4EjNS0_10empty_typeEbEEZZNS1_14partition_implILS8_4ELb0ES6_15HIP_vector_typeIjLj2EENS0_17counting_iteratorIjlEEPS9_SG_NS0_5tupleIJPjSI_NS0_16reverse_iteratorISI_EEEEENSH_IJSG_SG_SG_EEES9_SI_JZNS1_25segmented_radix_sort_implINS0_14default_configELb0EPKhPhPKlPlN2at6native12_GLOBAL__N_18offset_tEEE10hipError_tPvRmT1_PNSt15iterator_traitsIS12_E10value_typeET2_T3_PNS13_IS18_E10value_typeET4_jRbjT5_S1E_jjP12ihipStream_tbEUljE_ZNSN_ISO_Lb0ESQ_SR_ST_SU_SY_EESZ_S10_S11_S12_S16_S17_S18_S1B_S1C_jS1D_jS1E_S1E_jjS1G_bEUljE0_EEESZ_S10_S11_S18_S1C_S1E_T6_T7_T9_mT8_S1G_bDpT10_ENKUlT_T0_E_clISt17integral_constantIbLb1EES1T_IbLb0EEEEDaS1P_S1Q_EUlS1P_E_NS1_11comp_targetILNS1_3genE4ELNS1_11target_archE910ELNS1_3gpuE8ELNS1_3repE0EEENS1_30default_config_static_selectorELNS0_4arch9wavefront6targetE0EEEvS12_.numbered_sgpr, 0
	.set _ZN7rocprim17ROCPRIM_400000_NS6detail17trampoline_kernelINS0_13select_configILj256ELj13ELNS0_17block_load_methodE3ELS4_3ELS4_3ELNS0_20block_scan_algorithmE0ELj4294967295EEENS1_25partition_config_selectorILNS1_17partition_subalgoE4EjNS0_10empty_typeEbEEZZNS1_14partition_implILS8_4ELb0ES6_15HIP_vector_typeIjLj2EENS0_17counting_iteratorIjlEEPS9_SG_NS0_5tupleIJPjSI_NS0_16reverse_iteratorISI_EEEEENSH_IJSG_SG_SG_EEES9_SI_JZNS1_25segmented_radix_sort_implINS0_14default_configELb0EPKhPhPKlPlN2at6native12_GLOBAL__N_18offset_tEEE10hipError_tPvRmT1_PNSt15iterator_traitsIS12_E10value_typeET2_T3_PNS13_IS18_E10value_typeET4_jRbjT5_S1E_jjP12ihipStream_tbEUljE_ZNSN_ISO_Lb0ESQ_SR_ST_SU_SY_EESZ_S10_S11_S12_S16_S17_S18_S1B_S1C_jS1D_jS1E_S1E_jjS1G_bEUljE0_EEESZ_S10_S11_S18_S1C_S1E_T6_T7_T9_mT8_S1G_bDpT10_ENKUlT_T0_E_clISt17integral_constantIbLb1EES1T_IbLb0EEEEDaS1P_S1Q_EUlS1P_E_NS1_11comp_targetILNS1_3genE4ELNS1_11target_archE910ELNS1_3gpuE8ELNS1_3repE0EEENS1_30default_config_static_selectorELNS0_4arch9wavefront6targetE0EEEvS12_.num_named_barrier, 0
	.set _ZN7rocprim17ROCPRIM_400000_NS6detail17trampoline_kernelINS0_13select_configILj256ELj13ELNS0_17block_load_methodE3ELS4_3ELS4_3ELNS0_20block_scan_algorithmE0ELj4294967295EEENS1_25partition_config_selectorILNS1_17partition_subalgoE4EjNS0_10empty_typeEbEEZZNS1_14partition_implILS8_4ELb0ES6_15HIP_vector_typeIjLj2EENS0_17counting_iteratorIjlEEPS9_SG_NS0_5tupleIJPjSI_NS0_16reverse_iteratorISI_EEEEENSH_IJSG_SG_SG_EEES9_SI_JZNS1_25segmented_radix_sort_implINS0_14default_configELb0EPKhPhPKlPlN2at6native12_GLOBAL__N_18offset_tEEE10hipError_tPvRmT1_PNSt15iterator_traitsIS12_E10value_typeET2_T3_PNS13_IS18_E10value_typeET4_jRbjT5_S1E_jjP12ihipStream_tbEUljE_ZNSN_ISO_Lb0ESQ_SR_ST_SU_SY_EESZ_S10_S11_S12_S16_S17_S18_S1B_S1C_jS1D_jS1E_S1E_jjS1G_bEUljE0_EEESZ_S10_S11_S18_S1C_S1E_T6_T7_T9_mT8_S1G_bDpT10_ENKUlT_T0_E_clISt17integral_constantIbLb1EES1T_IbLb0EEEEDaS1P_S1Q_EUlS1P_E_NS1_11comp_targetILNS1_3genE4ELNS1_11target_archE910ELNS1_3gpuE8ELNS1_3repE0EEENS1_30default_config_static_selectorELNS0_4arch9wavefront6targetE0EEEvS12_.private_seg_size, 0
	.set _ZN7rocprim17ROCPRIM_400000_NS6detail17trampoline_kernelINS0_13select_configILj256ELj13ELNS0_17block_load_methodE3ELS4_3ELS4_3ELNS0_20block_scan_algorithmE0ELj4294967295EEENS1_25partition_config_selectorILNS1_17partition_subalgoE4EjNS0_10empty_typeEbEEZZNS1_14partition_implILS8_4ELb0ES6_15HIP_vector_typeIjLj2EENS0_17counting_iteratorIjlEEPS9_SG_NS0_5tupleIJPjSI_NS0_16reverse_iteratorISI_EEEEENSH_IJSG_SG_SG_EEES9_SI_JZNS1_25segmented_radix_sort_implINS0_14default_configELb0EPKhPhPKlPlN2at6native12_GLOBAL__N_18offset_tEEE10hipError_tPvRmT1_PNSt15iterator_traitsIS12_E10value_typeET2_T3_PNS13_IS18_E10value_typeET4_jRbjT5_S1E_jjP12ihipStream_tbEUljE_ZNSN_ISO_Lb0ESQ_SR_ST_SU_SY_EESZ_S10_S11_S12_S16_S17_S18_S1B_S1C_jS1D_jS1E_S1E_jjS1G_bEUljE0_EEESZ_S10_S11_S18_S1C_S1E_T6_T7_T9_mT8_S1G_bDpT10_ENKUlT_T0_E_clISt17integral_constantIbLb1EES1T_IbLb0EEEEDaS1P_S1Q_EUlS1P_E_NS1_11comp_targetILNS1_3genE4ELNS1_11target_archE910ELNS1_3gpuE8ELNS1_3repE0EEENS1_30default_config_static_selectorELNS0_4arch9wavefront6targetE0EEEvS12_.uses_vcc, 0
	.set _ZN7rocprim17ROCPRIM_400000_NS6detail17trampoline_kernelINS0_13select_configILj256ELj13ELNS0_17block_load_methodE3ELS4_3ELS4_3ELNS0_20block_scan_algorithmE0ELj4294967295EEENS1_25partition_config_selectorILNS1_17partition_subalgoE4EjNS0_10empty_typeEbEEZZNS1_14partition_implILS8_4ELb0ES6_15HIP_vector_typeIjLj2EENS0_17counting_iteratorIjlEEPS9_SG_NS0_5tupleIJPjSI_NS0_16reverse_iteratorISI_EEEEENSH_IJSG_SG_SG_EEES9_SI_JZNS1_25segmented_radix_sort_implINS0_14default_configELb0EPKhPhPKlPlN2at6native12_GLOBAL__N_18offset_tEEE10hipError_tPvRmT1_PNSt15iterator_traitsIS12_E10value_typeET2_T3_PNS13_IS18_E10value_typeET4_jRbjT5_S1E_jjP12ihipStream_tbEUljE_ZNSN_ISO_Lb0ESQ_SR_ST_SU_SY_EESZ_S10_S11_S12_S16_S17_S18_S1B_S1C_jS1D_jS1E_S1E_jjS1G_bEUljE0_EEESZ_S10_S11_S18_S1C_S1E_T6_T7_T9_mT8_S1G_bDpT10_ENKUlT_T0_E_clISt17integral_constantIbLb1EES1T_IbLb0EEEEDaS1P_S1Q_EUlS1P_E_NS1_11comp_targetILNS1_3genE4ELNS1_11target_archE910ELNS1_3gpuE8ELNS1_3repE0EEENS1_30default_config_static_selectorELNS0_4arch9wavefront6targetE0EEEvS12_.uses_flat_scratch, 0
	.set _ZN7rocprim17ROCPRIM_400000_NS6detail17trampoline_kernelINS0_13select_configILj256ELj13ELNS0_17block_load_methodE3ELS4_3ELS4_3ELNS0_20block_scan_algorithmE0ELj4294967295EEENS1_25partition_config_selectorILNS1_17partition_subalgoE4EjNS0_10empty_typeEbEEZZNS1_14partition_implILS8_4ELb0ES6_15HIP_vector_typeIjLj2EENS0_17counting_iteratorIjlEEPS9_SG_NS0_5tupleIJPjSI_NS0_16reverse_iteratorISI_EEEEENSH_IJSG_SG_SG_EEES9_SI_JZNS1_25segmented_radix_sort_implINS0_14default_configELb0EPKhPhPKlPlN2at6native12_GLOBAL__N_18offset_tEEE10hipError_tPvRmT1_PNSt15iterator_traitsIS12_E10value_typeET2_T3_PNS13_IS18_E10value_typeET4_jRbjT5_S1E_jjP12ihipStream_tbEUljE_ZNSN_ISO_Lb0ESQ_SR_ST_SU_SY_EESZ_S10_S11_S12_S16_S17_S18_S1B_S1C_jS1D_jS1E_S1E_jjS1G_bEUljE0_EEESZ_S10_S11_S18_S1C_S1E_T6_T7_T9_mT8_S1G_bDpT10_ENKUlT_T0_E_clISt17integral_constantIbLb1EES1T_IbLb0EEEEDaS1P_S1Q_EUlS1P_E_NS1_11comp_targetILNS1_3genE4ELNS1_11target_archE910ELNS1_3gpuE8ELNS1_3repE0EEENS1_30default_config_static_selectorELNS0_4arch9wavefront6targetE0EEEvS12_.has_dyn_sized_stack, 0
	.set _ZN7rocprim17ROCPRIM_400000_NS6detail17trampoline_kernelINS0_13select_configILj256ELj13ELNS0_17block_load_methodE3ELS4_3ELS4_3ELNS0_20block_scan_algorithmE0ELj4294967295EEENS1_25partition_config_selectorILNS1_17partition_subalgoE4EjNS0_10empty_typeEbEEZZNS1_14partition_implILS8_4ELb0ES6_15HIP_vector_typeIjLj2EENS0_17counting_iteratorIjlEEPS9_SG_NS0_5tupleIJPjSI_NS0_16reverse_iteratorISI_EEEEENSH_IJSG_SG_SG_EEES9_SI_JZNS1_25segmented_radix_sort_implINS0_14default_configELb0EPKhPhPKlPlN2at6native12_GLOBAL__N_18offset_tEEE10hipError_tPvRmT1_PNSt15iterator_traitsIS12_E10value_typeET2_T3_PNS13_IS18_E10value_typeET4_jRbjT5_S1E_jjP12ihipStream_tbEUljE_ZNSN_ISO_Lb0ESQ_SR_ST_SU_SY_EESZ_S10_S11_S12_S16_S17_S18_S1B_S1C_jS1D_jS1E_S1E_jjS1G_bEUljE0_EEESZ_S10_S11_S18_S1C_S1E_T6_T7_T9_mT8_S1G_bDpT10_ENKUlT_T0_E_clISt17integral_constantIbLb1EES1T_IbLb0EEEEDaS1P_S1Q_EUlS1P_E_NS1_11comp_targetILNS1_3genE4ELNS1_11target_archE910ELNS1_3gpuE8ELNS1_3repE0EEENS1_30default_config_static_selectorELNS0_4arch9wavefront6targetE0EEEvS12_.has_recursion, 0
	.set _ZN7rocprim17ROCPRIM_400000_NS6detail17trampoline_kernelINS0_13select_configILj256ELj13ELNS0_17block_load_methodE3ELS4_3ELS4_3ELNS0_20block_scan_algorithmE0ELj4294967295EEENS1_25partition_config_selectorILNS1_17partition_subalgoE4EjNS0_10empty_typeEbEEZZNS1_14partition_implILS8_4ELb0ES6_15HIP_vector_typeIjLj2EENS0_17counting_iteratorIjlEEPS9_SG_NS0_5tupleIJPjSI_NS0_16reverse_iteratorISI_EEEEENSH_IJSG_SG_SG_EEES9_SI_JZNS1_25segmented_radix_sort_implINS0_14default_configELb0EPKhPhPKlPlN2at6native12_GLOBAL__N_18offset_tEEE10hipError_tPvRmT1_PNSt15iterator_traitsIS12_E10value_typeET2_T3_PNS13_IS18_E10value_typeET4_jRbjT5_S1E_jjP12ihipStream_tbEUljE_ZNSN_ISO_Lb0ESQ_SR_ST_SU_SY_EESZ_S10_S11_S12_S16_S17_S18_S1B_S1C_jS1D_jS1E_S1E_jjS1G_bEUljE0_EEESZ_S10_S11_S18_S1C_S1E_T6_T7_T9_mT8_S1G_bDpT10_ENKUlT_T0_E_clISt17integral_constantIbLb1EES1T_IbLb0EEEEDaS1P_S1Q_EUlS1P_E_NS1_11comp_targetILNS1_3genE4ELNS1_11target_archE910ELNS1_3gpuE8ELNS1_3repE0EEENS1_30default_config_static_selectorELNS0_4arch9wavefront6targetE0EEEvS12_.has_indirect_call, 0
	.section	.AMDGPU.csdata,"",@progbits
; Kernel info:
; codeLenInByte = 0
; TotalNumSgprs: 0
; NumVgprs: 0
; ScratchSize: 0
; MemoryBound: 0
; FloatMode: 240
; IeeeMode: 1
; LDSByteSize: 0 bytes/workgroup (compile time only)
; SGPRBlocks: 0
; VGPRBlocks: 0
; NumSGPRsForWavesPerEU: 1
; NumVGPRsForWavesPerEU: 1
; Occupancy: 16
; WaveLimiterHint : 0
; COMPUTE_PGM_RSRC2:SCRATCH_EN: 0
; COMPUTE_PGM_RSRC2:USER_SGPR: 2
; COMPUTE_PGM_RSRC2:TRAP_HANDLER: 0
; COMPUTE_PGM_RSRC2:TGID_X_EN: 1
; COMPUTE_PGM_RSRC2:TGID_Y_EN: 0
; COMPUTE_PGM_RSRC2:TGID_Z_EN: 0
; COMPUTE_PGM_RSRC2:TIDIG_COMP_CNT: 0
	.section	.text._ZN7rocprim17ROCPRIM_400000_NS6detail17trampoline_kernelINS0_13select_configILj256ELj13ELNS0_17block_load_methodE3ELS4_3ELS4_3ELNS0_20block_scan_algorithmE0ELj4294967295EEENS1_25partition_config_selectorILNS1_17partition_subalgoE4EjNS0_10empty_typeEbEEZZNS1_14partition_implILS8_4ELb0ES6_15HIP_vector_typeIjLj2EENS0_17counting_iteratorIjlEEPS9_SG_NS0_5tupleIJPjSI_NS0_16reverse_iteratorISI_EEEEENSH_IJSG_SG_SG_EEES9_SI_JZNS1_25segmented_radix_sort_implINS0_14default_configELb0EPKhPhPKlPlN2at6native12_GLOBAL__N_18offset_tEEE10hipError_tPvRmT1_PNSt15iterator_traitsIS12_E10value_typeET2_T3_PNS13_IS18_E10value_typeET4_jRbjT5_S1E_jjP12ihipStream_tbEUljE_ZNSN_ISO_Lb0ESQ_SR_ST_SU_SY_EESZ_S10_S11_S12_S16_S17_S18_S1B_S1C_jS1D_jS1E_S1E_jjS1G_bEUljE0_EEESZ_S10_S11_S18_S1C_S1E_T6_T7_T9_mT8_S1G_bDpT10_ENKUlT_T0_E_clISt17integral_constantIbLb1EES1T_IbLb0EEEEDaS1P_S1Q_EUlS1P_E_NS1_11comp_targetILNS1_3genE3ELNS1_11target_archE908ELNS1_3gpuE7ELNS1_3repE0EEENS1_30default_config_static_selectorELNS0_4arch9wavefront6targetE0EEEvS12_,"axG",@progbits,_ZN7rocprim17ROCPRIM_400000_NS6detail17trampoline_kernelINS0_13select_configILj256ELj13ELNS0_17block_load_methodE3ELS4_3ELS4_3ELNS0_20block_scan_algorithmE0ELj4294967295EEENS1_25partition_config_selectorILNS1_17partition_subalgoE4EjNS0_10empty_typeEbEEZZNS1_14partition_implILS8_4ELb0ES6_15HIP_vector_typeIjLj2EENS0_17counting_iteratorIjlEEPS9_SG_NS0_5tupleIJPjSI_NS0_16reverse_iteratorISI_EEEEENSH_IJSG_SG_SG_EEES9_SI_JZNS1_25segmented_radix_sort_implINS0_14default_configELb0EPKhPhPKlPlN2at6native12_GLOBAL__N_18offset_tEEE10hipError_tPvRmT1_PNSt15iterator_traitsIS12_E10value_typeET2_T3_PNS13_IS18_E10value_typeET4_jRbjT5_S1E_jjP12ihipStream_tbEUljE_ZNSN_ISO_Lb0ESQ_SR_ST_SU_SY_EESZ_S10_S11_S12_S16_S17_S18_S1B_S1C_jS1D_jS1E_S1E_jjS1G_bEUljE0_EEESZ_S10_S11_S18_S1C_S1E_T6_T7_T9_mT8_S1G_bDpT10_ENKUlT_T0_E_clISt17integral_constantIbLb1EES1T_IbLb0EEEEDaS1P_S1Q_EUlS1P_E_NS1_11comp_targetILNS1_3genE3ELNS1_11target_archE908ELNS1_3gpuE7ELNS1_3repE0EEENS1_30default_config_static_selectorELNS0_4arch9wavefront6targetE0EEEvS12_,comdat
	.globl	_ZN7rocprim17ROCPRIM_400000_NS6detail17trampoline_kernelINS0_13select_configILj256ELj13ELNS0_17block_load_methodE3ELS4_3ELS4_3ELNS0_20block_scan_algorithmE0ELj4294967295EEENS1_25partition_config_selectorILNS1_17partition_subalgoE4EjNS0_10empty_typeEbEEZZNS1_14partition_implILS8_4ELb0ES6_15HIP_vector_typeIjLj2EENS0_17counting_iteratorIjlEEPS9_SG_NS0_5tupleIJPjSI_NS0_16reverse_iteratorISI_EEEEENSH_IJSG_SG_SG_EEES9_SI_JZNS1_25segmented_radix_sort_implINS0_14default_configELb0EPKhPhPKlPlN2at6native12_GLOBAL__N_18offset_tEEE10hipError_tPvRmT1_PNSt15iterator_traitsIS12_E10value_typeET2_T3_PNS13_IS18_E10value_typeET4_jRbjT5_S1E_jjP12ihipStream_tbEUljE_ZNSN_ISO_Lb0ESQ_SR_ST_SU_SY_EESZ_S10_S11_S12_S16_S17_S18_S1B_S1C_jS1D_jS1E_S1E_jjS1G_bEUljE0_EEESZ_S10_S11_S18_S1C_S1E_T6_T7_T9_mT8_S1G_bDpT10_ENKUlT_T0_E_clISt17integral_constantIbLb1EES1T_IbLb0EEEEDaS1P_S1Q_EUlS1P_E_NS1_11comp_targetILNS1_3genE3ELNS1_11target_archE908ELNS1_3gpuE7ELNS1_3repE0EEENS1_30default_config_static_selectorELNS0_4arch9wavefront6targetE0EEEvS12_ ; -- Begin function _ZN7rocprim17ROCPRIM_400000_NS6detail17trampoline_kernelINS0_13select_configILj256ELj13ELNS0_17block_load_methodE3ELS4_3ELS4_3ELNS0_20block_scan_algorithmE0ELj4294967295EEENS1_25partition_config_selectorILNS1_17partition_subalgoE4EjNS0_10empty_typeEbEEZZNS1_14partition_implILS8_4ELb0ES6_15HIP_vector_typeIjLj2EENS0_17counting_iteratorIjlEEPS9_SG_NS0_5tupleIJPjSI_NS0_16reverse_iteratorISI_EEEEENSH_IJSG_SG_SG_EEES9_SI_JZNS1_25segmented_radix_sort_implINS0_14default_configELb0EPKhPhPKlPlN2at6native12_GLOBAL__N_18offset_tEEE10hipError_tPvRmT1_PNSt15iterator_traitsIS12_E10value_typeET2_T3_PNS13_IS18_E10value_typeET4_jRbjT5_S1E_jjP12ihipStream_tbEUljE_ZNSN_ISO_Lb0ESQ_SR_ST_SU_SY_EESZ_S10_S11_S12_S16_S17_S18_S1B_S1C_jS1D_jS1E_S1E_jjS1G_bEUljE0_EEESZ_S10_S11_S18_S1C_S1E_T6_T7_T9_mT8_S1G_bDpT10_ENKUlT_T0_E_clISt17integral_constantIbLb1EES1T_IbLb0EEEEDaS1P_S1Q_EUlS1P_E_NS1_11comp_targetILNS1_3genE3ELNS1_11target_archE908ELNS1_3gpuE7ELNS1_3repE0EEENS1_30default_config_static_selectorELNS0_4arch9wavefront6targetE0EEEvS12_
	.p2align	8
	.type	_ZN7rocprim17ROCPRIM_400000_NS6detail17trampoline_kernelINS0_13select_configILj256ELj13ELNS0_17block_load_methodE3ELS4_3ELS4_3ELNS0_20block_scan_algorithmE0ELj4294967295EEENS1_25partition_config_selectorILNS1_17partition_subalgoE4EjNS0_10empty_typeEbEEZZNS1_14partition_implILS8_4ELb0ES6_15HIP_vector_typeIjLj2EENS0_17counting_iteratorIjlEEPS9_SG_NS0_5tupleIJPjSI_NS0_16reverse_iteratorISI_EEEEENSH_IJSG_SG_SG_EEES9_SI_JZNS1_25segmented_radix_sort_implINS0_14default_configELb0EPKhPhPKlPlN2at6native12_GLOBAL__N_18offset_tEEE10hipError_tPvRmT1_PNSt15iterator_traitsIS12_E10value_typeET2_T3_PNS13_IS18_E10value_typeET4_jRbjT5_S1E_jjP12ihipStream_tbEUljE_ZNSN_ISO_Lb0ESQ_SR_ST_SU_SY_EESZ_S10_S11_S12_S16_S17_S18_S1B_S1C_jS1D_jS1E_S1E_jjS1G_bEUljE0_EEESZ_S10_S11_S18_S1C_S1E_T6_T7_T9_mT8_S1G_bDpT10_ENKUlT_T0_E_clISt17integral_constantIbLb1EES1T_IbLb0EEEEDaS1P_S1Q_EUlS1P_E_NS1_11comp_targetILNS1_3genE3ELNS1_11target_archE908ELNS1_3gpuE7ELNS1_3repE0EEENS1_30default_config_static_selectorELNS0_4arch9wavefront6targetE0EEEvS12_,@function
_ZN7rocprim17ROCPRIM_400000_NS6detail17trampoline_kernelINS0_13select_configILj256ELj13ELNS0_17block_load_methodE3ELS4_3ELS4_3ELNS0_20block_scan_algorithmE0ELj4294967295EEENS1_25partition_config_selectorILNS1_17partition_subalgoE4EjNS0_10empty_typeEbEEZZNS1_14partition_implILS8_4ELb0ES6_15HIP_vector_typeIjLj2EENS0_17counting_iteratorIjlEEPS9_SG_NS0_5tupleIJPjSI_NS0_16reverse_iteratorISI_EEEEENSH_IJSG_SG_SG_EEES9_SI_JZNS1_25segmented_radix_sort_implINS0_14default_configELb0EPKhPhPKlPlN2at6native12_GLOBAL__N_18offset_tEEE10hipError_tPvRmT1_PNSt15iterator_traitsIS12_E10value_typeET2_T3_PNS13_IS18_E10value_typeET4_jRbjT5_S1E_jjP12ihipStream_tbEUljE_ZNSN_ISO_Lb0ESQ_SR_ST_SU_SY_EESZ_S10_S11_S12_S16_S17_S18_S1B_S1C_jS1D_jS1E_S1E_jjS1G_bEUljE0_EEESZ_S10_S11_S18_S1C_S1E_T6_T7_T9_mT8_S1G_bDpT10_ENKUlT_T0_E_clISt17integral_constantIbLb1EES1T_IbLb0EEEEDaS1P_S1Q_EUlS1P_E_NS1_11comp_targetILNS1_3genE3ELNS1_11target_archE908ELNS1_3gpuE7ELNS1_3repE0EEENS1_30default_config_static_selectorELNS0_4arch9wavefront6targetE0EEEvS12_: ; @_ZN7rocprim17ROCPRIM_400000_NS6detail17trampoline_kernelINS0_13select_configILj256ELj13ELNS0_17block_load_methodE3ELS4_3ELS4_3ELNS0_20block_scan_algorithmE0ELj4294967295EEENS1_25partition_config_selectorILNS1_17partition_subalgoE4EjNS0_10empty_typeEbEEZZNS1_14partition_implILS8_4ELb0ES6_15HIP_vector_typeIjLj2EENS0_17counting_iteratorIjlEEPS9_SG_NS0_5tupleIJPjSI_NS0_16reverse_iteratorISI_EEEEENSH_IJSG_SG_SG_EEES9_SI_JZNS1_25segmented_radix_sort_implINS0_14default_configELb0EPKhPhPKlPlN2at6native12_GLOBAL__N_18offset_tEEE10hipError_tPvRmT1_PNSt15iterator_traitsIS12_E10value_typeET2_T3_PNS13_IS18_E10value_typeET4_jRbjT5_S1E_jjP12ihipStream_tbEUljE_ZNSN_ISO_Lb0ESQ_SR_ST_SU_SY_EESZ_S10_S11_S12_S16_S17_S18_S1B_S1C_jS1D_jS1E_S1E_jjS1G_bEUljE0_EEESZ_S10_S11_S18_S1C_S1E_T6_T7_T9_mT8_S1G_bDpT10_ENKUlT_T0_E_clISt17integral_constantIbLb1EES1T_IbLb0EEEEDaS1P_S1Q_EUlS1P_E_NS1_11comp_targetILNS1_3genE3ELNS1_11target_archE908ELNS1_3gpuE7ELNS1_3repE0EEENS1_30default_config_static_selectorELNS0_4arch9wavefront6targetE0EEEvS12_
; %bb.0:
	.section	.rodata,"a",@progbits
	.p2align	6, 0x0
	.amdhsa_kernel _ZN7rocprim17ROCPRIM_400000_NS6detail17trampoline_kernelINS0_13select_configILj256ELj13ELNS0_17block_load_methodE3ELS4_3ELS4_3ELNS0_20block_scan_algorithmE0ELj4294967295EEENS1_25partition_config_selectorILNS1_17partition_subalgoE4EjNS0_10empty_typeEbEEZZNS1_14partition_implILS8_4ELb0ES6_15HIP_vector_typeIjLj2EENS0_17counting_iteratorIjlEEPS9_SG_NS0_5tupleIJPjSI_NS0_16reverse_iteratorISI_EEEEENSH_IJSG_SG_SG_EEES9_SI_JZNS1_25segmented_radix_sort_implINS0_14default_configELb0EPKhPhPKlPlN2at6native12_GLOBAL__N_18offset_tEEE10hipError_tPvRmT1_PNSt15iterator_traitsIS12_E10value_typeET2_T3_PNS13_IS18_E10value_typeET4_jRbjT5_S1E_jjP12ihipStream_tbEUljE_ZNSN_ISO_Lb0ESQ_SR_ST_SU_SY_EESZ_S10_S11_S12_S16_S17_S18_S1B_S1C_jS1D_jS1E_S1E_jjS1G_bEUljE0_EEESZ_S10_S11_S18_S1C_S1E_T6_T7_T9_mT8_S1G_bDpT10_ENKUlT_T0_E_clISt17integral_constantIbLb1EES1T_IbLb0EEEEDaS1P_S1Q_EUlS1P_E_NS1_11comp_targetILNS1_3genE3ELNS1_11target_archE908ELNS1_3gpuE7ELNS1_3repE0EEENS1_30default_config_static_selectorELNS0_4arch9wavefront6targetE0EEEvS12_
		.amdhsa_group_segment_fixed_size 0
		.amdhsa_private_segment_fixed_size 0
		.amdhsa_kernarg_size 176
		.amdhsa_user_sgpr_count 2
		.amdhsa_user_sgpr_dispatch_ptr 0
		.amdhsa_user_sgpr_queue_ptr 0
		.amdhsa_user_sgpr_kernarg_segment_ptr 1
		.amdhsa_user_sgpr_dispatch_id 0
		.amdhsa_user_sgpr_private_segment_size 0
		.amdhsa_wavefront_size32 1
		.amdhsa_uses_dynamic_stack 0
		.amdhsa_enable_private_segment 0
		.amdhsa_system_sgpr_workgroup_id_x 1
		.amdhsa_system_sgpr_workgroup_id_y 0
		.amdhsa_system_sgpr_workgroup_id_z 0
		.amdhsa_system_sgpr_workgroup_info 0
		.amdhsa_system_vgpr_workitem_id 0
		.amdhsa_next_free_vgpr 1
		.amdhsa_next_free_sgpr 1
		.amdhsa_reserve_vcc 0
		.amdhsa_float_round_mode_32 0
		.amdhsa_float_round_mode_16_64 0
		.amdhsa_float_denorm_mode_32 3
		.amdhsa_float_denorm_mode_16_64 3
		.amdhsa_fp16_overflow 0
		.amdhsa_workgroup_processor_mode 1
		.amdhsa_memory_ordered 1
		.amdhsa_forward_progress 1
		.amdhsa_inst_pref_size 0
		.amdhsa_round_robin_scheduling 0
		.amdhsa_exception_fp_ieee_invalid_op 0
		.amdhsa_exception_fp_denorm_src 0
		.amdhsa_exception_fp_ieee_div_zero 0
		.amdhsa_exception_fp_ieee_overflow 0
		.amdhsa_exception_fp_ieee_underflow 0
		.amdhsa_exception_fp_ieee_inexact 0
		.amdhsa_exception_int_div_zero 0
	.end_amdhsa_kernel
	.section	.text._ZN7rocprim17ROCPRIM_400000_NS6detail17trampoline_kernelINS0_13select_configILj256ELj13ELNS0_17block_load_methodE3ELS4_3ELS4_3ELNS0_20block_scan_algorithmE0ELj4294967295EEENS1_25partition_config_selectorILNS1_17partition_subalgoE4EjNS0_10empty_typeEbEEZZNS1_14partition_implILS8_4ELb0ES6_15HIP_vector_typeIjLj2EENS0_17counting_iteratorIjlEEPS9_SG_NS0_5tupleIJPjSI_NS0_16reverse_iteratorISI_EEEEENSH_IJSG_SG_SG_EEES9_SI_JZNS1_25segmented_radix_sort_implINS0_14default_configELb0EPKhPhPKlPlN2at6native12_GLOBAL__N_18offset_tEEE10hipError_tPvRmT1_PNSt15iterator_traitsIS12_E10value_typeET2_T3_PNS13_IS18_E10value_typeET4_jRbjT5_S1E_jjP12ihipStream_tbEUljE_ZNSN_ISO_Lb0ESQ_SR_ST_SU_SY_EESZ_S10_S11_S12_S16_S17_S18_S1B_S1C_jS1D_jS1E_S1E_jjS1G_bEUljE0_EEESZ_S10_S11_S18_S1C_S1E_T6_T7_T9_mT8_S1G_bDpT10_ENKUlT_T0_E_clISt17integral_constantIbLb1EES1T_IbLb0EEEEDaS1P_S1Q_EUlS1P_E_NS1_11comp_targetILNS1_3genE3ELNS1_11target_archE908ELNS1_3gpuE7ELNS1_3repE0EEENS1_30default_config_static_selectorELNS0_4arch9wavefront6targetE0EEEvS12_,"axG",@progbits,_ZN7rocprim17ROCPRIM_400000_NS6detail17trampoline_kernelINS0_13select_configILj256ELj13ELNS0_17block_load_methodE3ELS4_3ELS4_3ELNS0_20block_scan_algorithmE0ELj4294967295EEENS1_25partition_config_selectorILNS1_17partition_subalgoE4EjNS0_10empty_typeEbEEZZNS1_14partition_implILS8_4ELb0ES6_15HIP_vector_typeIjLj2EENS0_17counting_iteratorIjlEEPS9_SG_NS0_5tupleIJPjSI_NS0_16reverse_iteratorISI_EEEEENSH_IJSG_SG_SG_EEES9_SI_JZNS1_25segmented_radix_sort_implINS0_14default_configELb0EPKhPhPKlPlN2at6native12_GLOBAL__N_18offset_tEEE10hipError_tPvRmT1_PNSt15iterator_traitsIS12_E10value_typeET2_T3_PNS13_IS18_E10value_typeET4_jRbjT5_S1E_jjP12ihipStream_tbEUljE_ZNSN_ISO_Lb0ESQ_SR_ST_SU_SY_EESZ_S10_S11_S12_S16_S17_S18_S1B_S1C_jS1D_jS1E_S1E_jjS1G_bEUljE0_EEESZ_S10_S11_S18_S1C_S1E_T6_T7_T9_mT8_S1G_bDpT10_ENKUlT_T0_E_clISt17integral_constantIbLb1EES1T_IbLb0EEEEDaS1P_S1Q_EUlS1P_E_NS1_11comp_targetILNS1_3genE3ELNS1_11target_archE908ELNS1_3gpuE7ELNS1_3repE0EEENS1_30default_config_static_selectorELNS0_4arch9wavefront6targetE0EEEvS12_,comdat
.Lfunc_end141:
	.size	_ZN7rocprim17ROCPRIM_400000_NS6detail17trampoline_kernelINS0_13select_configILj256ELj13ELNS0_17block_load_methodE3ELS4_3ELS4_3ELNS0_20block_scan_algorithmE0ELj4294967295EEENS1_25partition_config_selectorILNS1_17partition_subalgoE4EjNS0_10empty_typeEbEEZZNS1_14partition_implILS8_4ELb0ES6_15HIP_vector_typeIjLj2EENS0_17counting_iteratorIjlEEPS9_SG_NS0_5tupleIJPjSI_NS0_16reverse_iteratorISI_EEEEENSH_IJSG_SG_SG_EEES9_SI_JZNS1_25segmented_radix_sort_implINS0_14default_configELb0EPKhPhPKlPlN2at6native12_GLOBAL__N_18offset_tEEE10hipError_tPvRmT1_PNSt15iterator_traitsIS12_E10value_typeET2_T3_PNS13_IS18_E10value_typeET4_jRbjT5_S1E_jjP12ihipStream_tbEUljE_ZNSN_ISO_Lb0ESQ_SR_ST_SU_SY_EESZ_S10_S11_S12_S16_S17_S18_S1B_S1C_jS1D_jS1E_S1E_jjS1G_bEUljE0_EEESZ_S10_S11_S18_S1C_S1E_T6_T7_T9_mT8_S1G_bDpT10_ENKUlT_T0_E_clISt17integral_constantIbLb1EES1T_IbLb0EEEEDaS1P_S1Q_EUlS1P_E_NS1_11comp_targetILNS1_3genE3ELNS1_11target_archE908ELNS1_3gpuE7ELNS1_3repE0EEENS1_30default_config_static_selectorELNS0_4arch9wavefront6targetE0EEEvS12_, .Lfunc_end141-_ZN7rocprim17ROCPRIM_400000_NS6detail17trampoline_kernelINS0_13select_configILj256ELj13ELNS0_17block_load_methodE3ELS4_3ELS4_3ELNS0_20block_scan_algorithmE0ELj4294967295EEENS1_25partition_config_selectorILNS1_17partition_subalgoE4EjNS0_10empty_typeEbEEZZNS1_14partition_implILS8_4ELb0ES6_15HIP_vector_typeIjLj2EENS0_17counting_iteratorIjlEEPS9_SG_NS0_5tupleIJPjSI_NS0_16reverse_iteratorISI_EEEEENSH_IJSG_SG_SG_EEES9_SI_JZNS1_25segmented_radix_sort_implINS0_14default_configELb0EPKhPhPKlPlN2at6native12_GLOBAL__N_18offset_tEEE10hipError_tPvRmT1_PNSt15iterator_traitsIS12_E10value_typeET2_T3_PNS13_IS18_E10value_typeET4_jRbjT5_S1E_jjP12ihipStream_tbEUljE_ZNSN_ISO_Lb0ESQ_SR_ST_SU_SY_EESZ_S10_S11_S12_S16_S17_S18_S1B_S1C_jS1D_jS1E_S1E_jjS1G_bEUljE0_EEESZ_S10_S11_S18_S1C_S1E_T6_T7_T9_mT8_S1G_bDpT10_ENKUlT_T0_E_clISt17integral_constantIbLb1EES1T_IbLb0EEEEDaS1P_S1Q_EUlS1P_E_NS1_11comp_targetILNS1_3genE3ELNS1_11target_archE908ELNS1_3gpuE7ELNS1_3repE0EEENS1_30default_config_static_selectorELNS0_4arch9wavefront6targetE0EEEvS12_
                                        ; -- End function
	.set _ZN7rocprim17ROCPRIM_400000_NS6detail17trampoline_kernelINS0_13select_configILj256ELj13ELNS0_17block_load_methodE3ELS4_3ELS4_3ELNS0_20block_scan_algorithmE0ELj4294967295EEENS1_25partition_config_selectorILNS1_17partition_subalgoE4EjNS0_10empty_typeEbEEZZNS1_14partition_implILS8_4ELb0ES6_15HIP_vector_typeIjLj2EENS0_17counting_iteratorIjlEEPS9_SG_NS0_5tupleIJPjSI_NS0_16reverse_iteratorISI_EEEEENSH_IJSG_SG_SG_EEES9_SI_JZNS1_25segmented_radix_sort_implINS0_14default_configELb0EPKhPhPKlPlN2at6native12_GLOBAL__N_18offset_tEEE10hipError_tPvRmT1_PNSt15iterator_traitsIS12_E10value_typeET2_T3_PNS13_IS18_E10value_typeET4_jRbjT5_S1E_jjP12ihipStream_tbEUljE_ZNSN_ISO_Lb0ESQ_SR_ST_SU_SY_EESZ_S10_S11_S12_S16_S17_S18_S1B_S1C_jS1D_jS1E_S1E_jjS1G_bEUljE0_EEESZ_S10_S11_S18_S1C_S1E_T6_T7_T9_mT8_S1G_bDpT10_ENKUlT_T0_E_clISt17integral_constantIbLb1EES1T_IbLb0EEEEDaS1P_S1Q_EUlS1P_E_NS1_11comp_targetILNS1_3genE3ELNS1_11target_archE908ELNS1_3gpuE7ELNS1_3repE0EEENS1_30default_config_static_selectorELNS0_4arch9wavefront6targetE0EEEvS12_.num_vgpr, 0
	.set _ZN7rocprim17ROCPRIM_400000_NS6detail17trampoline_kernelINS0_13select_configILj256ELj13ELNS0_17block_load_methodE3ELS4_3ELS4_3ELNS0_20block_scan_algorithmE0ELj4294967295EEENS1_25partition_config_selectorILNS1_17partition_subalgoE4EjNS0_10empty_typeEbEEZZNS1_14partition_implILS8_4ELb0ES6_15HIP_vector_typeIjLj2EENS0_17counting_iteratorIjlEEPS9_SG_NS0_5tupleIJPjSI_NS0_16reverse_iteratorISI_EEEEENSH_IJSG_SG_SG_EEES9_SI_JZNS1_25segmented_radix_sort_implINS0_14default_configELb0EPKhPhPKlPlN2at6native12_GLOBAL__N_18offset_tEEE10hipError_tPvRmT1_PNSt15iterator_traitsIS12_E10value_typeET2_T3_PNS13_IS18_E10value_typeET4_jRbjT5_S1E_jjP12ihipStream_tbEUljE_ZNSN_ISO_Lb0ESQ_SR_ST_SU_SY_EESZ_S10_S11_S12_S16_S17_S18_S1B_S1C_jS1D_jS1E_S1E_jjS1G_bEUljE0_EEESZ_S10_S11_S18_S1C_S1E_T6_T7_T9_mT8_S1G_bDpT10_ENKUlT_T0_E_clISt17integral_constantIbLb1EES1T_IbLb0EEEEDaS1P_S1Q_EUlS1P_E_NS1_11comp_targetILNS1_3genE3ELNS1_11target_archE908ELNS1_3gpuE7ELNS1_3repE0EEENS1_30default_config_static_selectorELNS0_4arch9wavefront6targetE0EEEvS12_.num_agpr, 0
	.set _ZN7rocprim17ROCPRIM_400000_NS6detail17trampoline_kernelINS0_13select_configILj256ELj13ELNS0_17block_load_methodE3ELS4_3ELS4_3ELNS0_20block_scan_algorithmE0ELj4294967295EEENS1_25partition_config_selectorILNS1_17partition_subalgoE4EjNS0_10empty_typeEbEEZZNS1_14partition_implILS8_4ELb0ES6_15HIP_vector_typeIjLj2EENS0_17counting_iteratorIjlEEPS9_SG_NS0_5tupleIJPjSI_NS0_16reverse_iteratorISI_EEEEENSH_IJSG_SG_SG_EEES9_SI_JZNS1_25segmented_radix_sort_implINS0_14default_configELb0EPKhPhPKlPlN2at6native12_GLOBAL__N_18offset_tEEE10hipError_tPvRmT1_PNSt15iterator_traitsIS12_E10value_typeET2_T3_PNS13_IS18_E10value_typeET4_jRbjT5_S1E_jjP12ihipStream_tbEUljE_ZNSN_ISO_Lb0ESQ_SR_ST_SU_SY_EESZ_S10_S11_S12_S16_S17_S18_S1B_S1C_jS1D_jS1E_S1E_jjS1G_bEUljE0_EEESZ_S10_S11_S18_S1C_S1E_T6_T7_T9_mT8_S1G_bDpT10_ENKUlT_T0_E_clISt17integral_constantIbLb1EES1T_IbLb0EEEEDaS1P_S1Q_EUlS1P_E_NS1_11comp_targetILNS1_3genE3ELNS1_11target_archE908ELNS1_3gpuE7ELNS1_3repE0EEENS1_30default_config_static_selectorELNS0_4arch9wavefront6targetE0EEEvS12_.numbered_sgpr, 0
	.set _ZN7rocprim17ROCPRIM_400000_NS6detail17trampoline_kernelINS0_13select_configILj256ELj13ELNS0_17block_load_methodE3ELS4_3ELS4_3ELNS0_20block_scan_algorithmE0ELj4294967295EEENS1_25partition_config_selectorILNS1_17partition_subalgoE4EjNS0_10empty_typeEbEEZZNS1_14partition_implILS8_4ELb0ES6_15HIP_vector_typeIjLj2EENS0_17counting_iteratorIjlEEPS9_SG_NS0_5tupleIJPjSI_NS0_16reverse_iteratorISI_EEEEENSH_IJSG_SG_SG_EEES9_SI_JZNS1_25segmented_radix_sort_implINS0_14default_configELb0EPKhPhPKlPlN2at6native12_GLOBAL__N_18offset_tEEE10hipError_tPvRmT1_PNSt15iterator_traitsIS12_E10value_typeET2_T3_PNS13_IS18_E10value_typeET4_jRbjT5_S1E_jjP12ihipStream_tbEUljE_ZNSN_ISO_Lb0ESQ_SR_ST_SU_SY_EESZ_S10_S11_S12_S16_S17_S18_S1B_S1C_jS1D_jS1E_S1E_jjS1G_bEUljE0_EEESZ_S10_S11_S18_S1C_S1E_T6_T7_T9_mT8_S1G_bDpT10_ENKUlT_T0_E_clISt17integral_constantIbLb1EES1T_IbLb0EEEEDaS1P_S1Q_EUlS1P_E_NS1_11comp_targetILNS1_3genE3ELNS1_11target_archE908ELNS1_3gpuE7ELNS1_3repE0EEENS1_30default_config_static_selectorELNS0_4arch9wavefront6targetE0EEEvS12_.num_named_barrier, 0
	.set _ZN7rocprim17ROCPRIM_400000_NS6detail17trampoline_kernelINS0_13select_configILj256ELj13ELNS0_17block_load_methodE3ELS4_3ELS4_3ELNS0_20block_scan_algorithmE0ELj4294967295EEENS1_25partition_config_selectorILNS1_17partition_subalgoE4EjNS0_10empty_typeEbEEZZNS1_14partition_implILS8_4ELb0ES6_15HIP_vector_typeIjLj2EENS0_17counting_iteratorIjlEEPS9_SG_NS0_5tupleIJPjSI_NS0_16reverse_iteratorISI_EEEEENSH_IJSG_SG_SG_EEES9_SI_JZNS1_25segmented_radix_sort_implINS0_14default_configELb0EPKhPhPKlPlN2at6native12_GLOBAL__N_18offset_tEEE10hipError_tPvRmT1_PNSt15iterator_traitsIS12_E10value_typeET2_T3_PNS13_IS18_E10value_typeET4_jRbjT5_S1E_jjP12ihipStream_tbEUljE_ZNSN_ISO_Lb0ESQ_SR_ST_SU_SY_EESZ_S10_S11_S12_S16_S17_S18_S1B_S1C_jS1D_jS1E_S1E_jjS1G_bEUljE0_EEESZ_S10_S11_S18_S1C_S1E_T6_T7_T9_mT8_S1G_bDpT10_ENKUlT_T0_E_clISt17integral_constantIbLb1EES1T_IbLb0EEEEDaS1P_S1Q_EUlS1P_E_NS1_11comp_targetILNS1_3genE3ELNS1_11target_archE908ELNS1_3gpuE7ELNS1_3repE0EEENS1_30default_config_static_selectorELNS0_4arch9wavefront6targetE0EEEvS12_.private_seg_size, 0
	.set _ZN7rocprim17ROCPRIM_400000_NS6detail17trampoline_kernelINS0_13select_configILj256ELj13ELNS0_17block_load_methodE3ELS4_3ELS4_3ELNS0_20block_scan_algorithmE0ELj4294967295EEENS1_25partition_config_selectorILNS1_17partition_subalgoE4EjNS0_10empty_typeEbEEZZNS1_14partition_implILS8_4ELb0ES6_15HIP_vector_typeIjLj2EENS0_17counting_iteratorIjlEEPS9_SG_NS0_5tupleIJPjSI_NS0_16reverse_iteratorISI_EEEEENSH_IJSG_SG_SG_EEES9_SI_JZNS1_25segmented_radix_sort_implINS0_14default_configELb0EPKhPhPKlPlN2at6native12_GLOBAL__N_18offset_tEEE10hipError_tPvRmT1_PNSt15iterator_traitsIS12_E10value_typeET2_T3_PNS13_IS18_E10value_typeET4_jRbjT5_S1E_jjP12ihipStream_tbEUljE_ZNSN_ISO_Lb0ESQ_SR_ST_SU_SY_EESZ_S10_S11_S12_S16_S17_S18_S1B_S1C_jS1D_jS1E_S1E_jjS1G_bEUljE0_EEESZ_S10_S11_S18_S1C_S1E_T6_T7_T9_mT8_S1G_bDpT10_ENKUlT_T0_E_clISt17integral_constantIbLb1EES1T_IbLb0EEEEDaS1P_S1Q_EUlS1P_E_NS1_11comp_targetILNS1_3genE3ELNS1_11target_archE908ELNS1_3gpuE7ELNS1_3repE0EEENS1_30default_config_static_selectorELNS0_4arch9wavefront6targetE0EEEvS12_.uses_vcc, 0
	.set _ZN7rocprim17ROCPRIM_400000_NS6detail17trampoline_kernelINS0_13select_configILj256ELj13ELNS0_17block_load_methodE3ELS4_3ELS4_3ELNS0_20block_scan_algorithmE0ELj4294967295EEENS1_25partition_config_selectorILNS1_17partition_subalgoE4EjNS0_10empty_typeEbEEZZNS1_14partition_implILS8_4ELb0ES6_15HIP_vector_typeIjLj2EENS0_17counting_iteratorIjlEEPS9_SG_NS0_5tupleIJPjSI_NS0_16reverse_iteratorISI_EEEEENSH_IJSG_SG_SG_EEES9_SI_JZNS1_25segmented_radix_sort_implINS0_14default_configELb0EPKhPhPKlPlN2at6native12_GLOBAL__N_18offset_tEEE10hipError_tPvRmT1_PNSt15iterator_traitsIS12_E10value_typeET2_T3_PNS13_IS18_E10value_typeET4_jRbjT5_S1E_jjP12ihipStream_tbEUljE_ZNSN_ISO_Lb0ESQ_SR_ST_SU_SY_EESZ_S10_S11_S12_S16_S17_S18_S1B_S1C_jS1D_jS1E_S1E_jjS1G_bEUljE0_EEESZ_S10_S11_S18_S1C_S1E_T6_T7_T9_mT8_S1G_bDpT10_ENKUlT_T0_E_clISt17integral_constantIbLb1EES1T_IbLb0EEEEDaS1P_S1Q_EUlS1P_E_NS1_11comp_targetILNS1_3genE3ELNS1_11target_archE908ELNS1_3gpuE7ELNS1_3repE0EEENS1_30default_config_static_selectorELNS0_4arch9wavefront6targetE0EEEvS12_.uses_flat_scratch, 0
	.set _ZN7rocprim17ROCPRIM_400000_NS6detail17trampoline_kernelINS0_13select_configILj256ELj13ELNS0_17block_load_methodE3ELS4_3ELS4_3ELNS0_20block_scan_algorithmE0ELj4294967295EEENS1_25partition_config_selectorILNS1_17partition_subalgoE4EjNS0_10empty_typeEbEEZZNS1_14partition_implILS8_4ELb0ES6_15HIP_vector_typeIjLj2EENS0_17counting_iteratorIjlEEPS9_SG_NS0_5tupleIJPjSI_NS0_16reverse_iteratorISI_EEEEENSH_IJSG_SG_SG_EEES9_SI_JZNS1_25segmented_radix_sort_implINS0_14default_configELb0EPKhPhPKlPlN2at6native12_GLOBAL__N_18offset_tEEE10hipError_tPvRmT1_PNSt15iterator_traitsIS12_E10value_typeET2_T3_PNS13_IS18_E10value_typeET4_jRbjT5_S1E_jjP12ihipStream_tbEUljE_ZNSN_ISO_Lb0ESQ_SR_ST_SU_SY_EESZ_S10_S11_S12_S16_S17_S18_S1B_S1C_jS1D_jS1E_S1E_jjS1G_bEUljE0_EEESZ_S10_S11_S18_S1C_S1E_T6_T7_T9_mT8_S1G_bDpT10_ENKUlT_T0_E_clISt17integral_constantIbLb1EES1T_IbLb0EEEEDaS1P_S1Q_EUlS1P_E_NS1_11comp_targetILNS1_3genE3ELNS1_11target_archE908ELNS1_3gpuE7ELNS1_3repE0EEENS1_30default_config_static_selectorELNS0_4arch9wavefront6targetE0EEEvS12_.has_dyn_sized_stack, 0
	.set _ZN7rocprim17ROCPRIM_400000_NS6detail17trampoline_kernelINS0_13select_configILj256ELj13ELNS0_17block_load_methodE3ELS4_3ELS4_3ELNS0_20block_scan_algorithmE0ELj4294967295EEENS1_25partition_config_selectorILNS1_17partition_subalgoE4EjNS0_10empty_typeEbEEZZNS1_14partition_implILS8_4ELb0ES6_15HIP_vector_typeIjLj2EENS0_17counting_iteratorIjlEEPS9_SG_NS0_5tupleIJPjSI_NS0_16reverse_iteratorISI_EEEEENSH_IJSG_SG_SG_EEES9_SI_JZNS1_25segmented_radix_sort_implINS0_14default_configELb0EPKhPhPKlPlN2at6native12_GLOBAL__N_18offset_tEEE10hipError_tPvRmT1_PNSt15iterator_traitsIS12_E10value_typeET2_T3_PNS13_IS18_E10value_typeET4_jRbjT5_S1E_jjP12ihipStream_tbEUljE_ZNSN_ISO_Lb0ESQ_SR_ST_SU_SY_EESZ_S10_S11_S12_S16_S17_S18_S1B_S1C_jS1D_jS1E_S1E_jjS1G_bEUljE0_EEESZ_S10_S11_S18_S1C_S1E_T6_T7_T9_mT8_S1G_bDpT10_ENKUlT_T0_E_clISt17integral_constantIbLb1EES1T_IbLb0EEEEDaS1P_S1Q_EUlS1P_E_NS1_11comp_targetILNS1_3genE3ELNS1_11target_archE908ELNS1_3gpuE7ELNS1_3repE0EEENS1_30default_config_static_selectorELNS0_4arch9wavefront6targetE0EEEvS12_.has_recursion, 0
	.set _ZN7rocprim17ROCPRIM_400000_NS6detail17trampoline_kernelINS0_13select_configILj256ELj13ELNS0_17block_load_methodE3ELS4_3ELS4_3ELNS0_20block_scan_algorithmE0ELj4294967295EEENS1_25partition_config_selectorILNS1_17partition_subalgoE4EjNS0_10empty_typeEbEEZZNS1_14partition_implILS8_4ELb0ES6_15HIP_vector_typeIjLj2EENS0_17counting_iteratorIjlEEPS9_SG_NS0_5tupleIJPjSI_NS0_16reverse_iteratorISI_EEEEENSH_IJSG_SG_SG_EEES9_SI_JZNS1_25segmented_radix_sort_implINS0_14default_configELb0EPKhPhPKlPlN2at6native12_GLOBAL__N_18offset_tEEE10hipError_tPvRmT1_PNSt15iterator_traitsIS12_E10value_typeET2_T3_PNS13_IS18_E10value_typeET4_jRbjT5_S1E_jjP12ihipStream_tbEUljE_ZNSN_ISO_Lb0ESQ_SR_ST_SU_SY_EESZ_S10_S11_S12_S16_S17_S18_S1B_S1C_jS1D_jS1E_S1E_jjS1G_bEUljE0_EEESZ_S10_S11_S18_S1C_S1E_T6_T7_T9_mT8_S1G_bDpT10_ENKUlT_T0_E_clISt17integral_constantIbLb1EES1T_IbLb0EEEEDaS1P_S1Q_EUlS1P_E_NS1_11comp_targetILNS1_3genE3ELNS1_11target_archE908ELNS1_3gpuE7ELNS1_3repE0EEENS1_30default_config_static_selectorELNS0_4arch9wavefront6targetE0EEEvS12_.has_indirect_call, 0
	.section	.AMDGPU.csdata,"",@progbits
; Kernel info:
; codeLenInByte = 0
; TotalNumSgprs: 0
; NumVgprs: 0
; ScratchSize: 0
; MemoryBound: 0
; FloatMode: 240
; IeeeMode: 1
; LDSByteSize: 0 bytes/workgroup (compile time only)
; SGPRBlocks: 0
; VGPRBlocks: 0
; NumSGPRsForWavesPerEU: 1
; NumVGPRsForWavesPerEU: 1
; Occupancy: 16
; WaveLimiterHint : 0
; COMPUTE_PGM_RSRC2:SCRATCH_EN: 0
; COMPUTE_PGM_RSRC2:USER_SGPR: 2
; COMPUTE_PGM_RSRC2:TRAP_HANDLER: 0
; COMPUTE_PGM_RSRC2:TGID_X_EN: 1
; COMPUTE_PGM_RSRC2:TGID_Y_EN: 0
; COMPUTE_PGM_RSRC2:TGID_Z_EN: 0
; COMPUTE_PGM_RSRC2:TIDIG_COMP_CNT: 0
	.section	.text._ZN7rocprim17ROCPRIM_400000_NS6detail17trampoline_kernelINS0_13select_configILj256ELj13ELNS0_17block_load_methodE3ELS4_3ELS4_3ELNS0_20block_scan_algorithmE0ELj4294967295EEENS1_25partition_config_selectorILNS1_17partition_subalgoE4EjNS0_10empty_typeEbEEZZNS1_14partition_implILS8_4ELb0ES6_15HIP_vector_typeIjLj2EENS0_17counting_iteratorIjlEEPS9_SG_NS0_5tupleIJPjSI_NS0_16reverse_iteratorISI_EEEEENSH_IJSG_SG_SG_EEES9_SI_JZNS1_25segmented_radix_sort_implINS0_14default_configELb0EPKhPhPKlPlN2at6native12_GLOBAL__N_18offset_tEEE10hipError_tPvRmT1_PNSt15iterator_traitsIS12_E10value_typeET2_T3_PNS13_IS18_E10value_typeET4_jRbjT5_S1E_jjP12ihipStream_tbEUljE_ZNSN_ISO_Lb0ESQ_SR_ST_SU_SY_EESZ_S10_S11_S12_S16_S17_S18_S1B_S1C_jS1D_jS1E_S1E_jjS1G_bEUljE0_EEESZ_S10_S11_S18_S1C_S1E_T6_T7_T9_mT8_S1G_bDpT10_ENKUlT_T0_E_clISt17integral_constantIbLb1EES1T_IbLb0EEEEDaS1P_S1Q_EUlS1P_E_NS1_11comp_targetILNS1_3genE2ELNS1_11target_archE906ELNS1_3gpuE6ELNS1_3repE0EEENS1_30default_config_static_selectorELNS0_4arch9wavefront6targetE0EEEvS12_,"axG",@progbits,_ZN7rocprim17ROCPRIM_400000_NS6detail17trampoline_kernelINS0_13select_configILj256ELj13ELNS0_17block_load_methodE3ELS4_3ELS4_3ELNS0_20block_scan_algorithmE0ELj4294967295EEENS1_25partition_config_selectorILNS1_17partition_subalgoE4EjNS0_10empty_typeEbEEZZNS1_14partition_implILS8_4ELb0ES6_15HIP_vector_typeIjLj2EENS0_17counting_iteratorIjlEEPS9_SG_NS0_5tupleIJPjSI_NS0_16reverse_iteratorISI_EEEEENSH_IJSG_SG_SG_EEES9_SI_JZNS1_25segmented_radix_sort_implINS0_14default_configELb0EPKhPhPKlPlN2at6native12_GLOBAL__N_18offset_tEEE10hipError_tPvRmT1_PNSt15iterator_traitsIS12_E10value_typeET2_T3_PNS13_IS18_E10value_typeET4_jRbjT5_S1E_jjP12ihipStream_tbEUljE_ZNSN_ISO_Lb0ESQ_SR_ST_SU_SY_EESZ_S10_S11_S12_S16_S17_S18_S1B_S1C_jS1D_jS1E_S1E_jjS1G_bEUljE0_EEESZ_S10_S11_S18_S1C_S1E_T6_T7_T9_mT8_S1G_bDpT10_ENKUlT_T0_E_clISt17integral_constantIbLb1EES1T_IbLb0EEEEDaS1P_S1Q_EUlS1P_E_NS1_11comp_targetILNS1_3genE2ELNS1_11target_archE906ELNS1_3gpuE6ELNS1_3repE0EEENS1_30default_config_static_selectorELNS0_4arch9wavefront6targetE0EEEvS12_,comdat
	.globl	_ZN7rocprim17ROCPRIM_400000_NS6detail17trampoline_kernelINS0_13select_configILj256ELj13ELNS0_17block_load_methodE3ELS4_3ELS4_3ELNS0_20block_scan_algorithmE0ELj4294967295EEENS1_25partition_config_selectorILNS1_17partition_subalgoE4EjNS0_10empty_typeEbEEZZNS1_14partition_implILS8_4ELb0ES6_15HIP_vector_typeIjLj2EENS0_17counting_iteratorIjlEEPS9_SG_NS0_5tupleIJPjSI_NS0_16reverse_iteratorISI_EEEEENSH_IJSG_SG_SG_EEES9_SI_JZNS1_25segmented_radix_sort_implINS0_14default_configELb0EPKhPhPKlPlN2at6native12_GLOBAL__N_18offset_tEEE10hipError_tPvRmT1_PNSt15iterator_traitsIS12_E10value_typeET2_T3_PNS13_IS18_E10value_typeET4_jRbjT5_S1E_jjP12ihipStream_tbEUljE_ZNSN_ISO_Lb0ESQ_SR_ST_SU_SY_EESZ_S10_S11_S12_S16_S17_S18_S1B_S1C_jS1D_jS1E_S1E_jjS1G_bEUljE0_EEESZ_S10_S11_S18_S1C_S1E_T6_T7_T9_mT8_S1G_bDpT10_ENKUlT_T0_E_clISt17integral_constantIbLb1EES1T_IbLb0EEEEDaS1P_S1Q_EUlS1P_E_NS1_11comp_targetILNS1_3genE2ELNS1_11target_archE906ELNS1_3gpuE6ELNS1_3repE0EEENS1_30default_config_static_selectorELNS0_4arch9wavefront6targetE0EEEvS12_ ; -- Begin function _ZN7rocprim17ROCPRIM_400000_NS6detail17trampoline_kernelINS0_13select_configILj256ELj13ELNS0_17block_load_methodE3ELS4_3ELS4_3ELNS0_20block_scan_algorithmE0ELj4294967295EEENS1_25partition_config_selectorILNS1_17partition_subalgoE4EjNS0_10empty_typeEbEEZZNS1_14partition_implILS8_4ELb0ES6_15HIP_vector_typeIjLj2EENS0_17counting_iteratorIjlEEPS9_SG_NS0_5tupleIJPjSI_NS0_16reverse_iteratorISI_EEEEENSH_IJSG_SG_SG_EEES9_SI_JZNS1_25segmented_radix_sort_implINS0_14default_configELb0EPKhPhPKlPlN2at6native12_GLOBAL__N_18offset_tEEE10hipError_tPvRmT1_PNSt15iterator_traitsIS12_E10value_typeET2_T3_PNS13_IS18_E10value_typeET4_jRbjT5_S1E_jjP12ihipStream_tbEUljE_ZNSN_ISO_Lb0ESQ_SR_ST_SU_SY_EESZ_S10_S11_S12_S16_S17_S18_S1B_S1C_jS1D_jS1E_S1E_jjS1G_bEUljE0_EEESZ_S10_S11_S18_S1C_S1E_T6_T7_T9_mT8_S1G_bDpT10_ENKUlT_T0_E_clISt17integral_constantIbLb1EES1T_IbLb0EEEEDaS1P_S1Q_EUlS1P_E_NS1_11comp_targetILNS1_3genE2ELNS1_11target_archE906ELNS1_3gpuE6ELNS1_3repE0EEENS1_30default_config_static_selectorELNS0_4arch9wavefront6targetE0EEEvS12_
	.p2align	8
	.type	_ZN7rocprim17ROCPRIM_400000_NS6detail17trampoline_kernelINS0_13select_configILj256ELj13ELNS0_17block_load_methodE3ELS4_3ELS4_3ELNS0_20block_scan_algorithmE0ELj4294967295EEENS1_25partition_config_selectorILNS1_17partition_subalgoE4EjNS0_10empty_typeEbEEZZNS1_14partition_implILS8_4ELb0ES6_15HIP_vector_typeIjLj2EENS0_17counting_iteratorIjlEEPS9_SG_NS0_5tupleIJPjSI_NS0_16reverse_iteratorISI_EEEEENSH_IJSG_SG_SG_EEES9_SI_JZNS1_25segmented_radix_sort_implINS0_14default_configELb0EPKhPhPKlPlN2at6native12_GLOBAL__N_18offset_tEEE10hipError_tPvRmT1_PNSt15iterator_traitsIS12_E10value_typeET2_T3_PNS13_IS18_E10value_typeET4_jRbjT5_S1E_jjP12ihipStream_tbEUljE_ZNSN_ISO_Lb0ESQ_SR_ST_SU_SY_EESZ_S10_S11_S12_S16_S17_S18_S1B_S1C_jS1D_jS1E_S1E_jjS1G_bEUljE0_EEESZ_S10_S11_S18_S1C_S1E_T6_T7_T9_mT8_S1G_bDpT10_ENKUlT_T0_E_clISt17integral_constantIbLb1EES1T_IbLb0EEEEDaS1P_S1Q_EUlS1P_E_NS1_11comp_targetILNS1_3genE2ELNS1_11target_archE906ELNS1_3gpuE6ELNS1_3repE0EEENS1_30default_config_static_selectorELNS0_4arch9wavefront6targetE0EEEvS12_,@function
_ZN7rocprim17ROCPRIM_400000_NS6detail17trampoline_kernelINS0_13select_configILj256ELj13ELNS0_17block_load_methodE3ELS4_3ELS4_3ELNS0_20block_scan_algorithmE0ELj4294967295EEENS1_25partition_config_selectorILNS1_17partition_subalgoE4EjNS0_10empty_typeEbEEZZNS1_14partition_implILS8_4ELb0ES6_15HIP_vector_typeIjLj2EENS0_17counting_iteratorIjlEEPS9_SG_NS0_5tupleIJPjSI_NS0_16reverse_iteratorISI_EEEEENSH_IJSG_SG_SG_EEES9_SI_JZNS1_25segmented_radix_sort_implINS0_14default_configELb0EPKhPhPKlPlN2at6native12_GLOBAL__N_18offset_tEEE10hipError_tPvRmT1_PNSt15iterator_traitsIS12_E10value_typeET2_T3_PNS13_IS18_E10value_typeET4_jRbjT5_S1E_jjP12ihipStream_tbEUljE_ZNSN_ISO_Lb0ESQ_SR_ST_SU_SY_EESZ_S10_S11_S12_S16_S17_S18_S1B_S1C_jS1D_jS1E_S1E_jjS1G_bEUljE0_EEESZ_S10_S11_S18_S1C_S1E_T6_T7_T9_mT8_S1G_bDpT10_ENKUlT_T0_E_clISt17integral_constantIbLb1EES1T_IbLb0EEEEDaS1P_S1Q_EUlS1P_E_NS1_11comp_targetILNS1_3genE2ELNS1_11target_archE906ELNS1_3gpuE6ELNS1_3repE0EEENS1_30default_config_static_selectorELNS0_4arch9wavefront6targetE0EEEvS12_: ; @_ZN7rocprim17ROCPRIM_400000_NS6detail17trampoline_kernelINS0_13select_configILj256ELj13ELNS0_17block_load_methodE3ELS4_3ELS4_3ELNS0_20block_scan_algorithmE0ELj4294967295EEENS1_25partition_config_selectorILNS1_17partition_subalgoE4EjNS0_10empty_typeEbEEZZNS1_14partition_implILS8_4ELb0ES6_15HIP_vector_typeIjLj2EENS0_17counting_iteratorIjlEEPS9_SG_NS0_5tupleIJPjSI_NS0_16reverse_iteratorISI_EEEEENSH_IJSG_SG_SG_EEES9_SI_JZNS1_25segmented_radix_sort_implINS0_14default_configELb0EPKhPhPKlPlN2at6native12_GLOBAL__N_18offset_tEEE10hipError_tPvRmT1_PNSt15iterator_traitsIS12_E10value_typeET2_T3_PNS13_IS18_E10value_typeET4_jRbjT5_S1E_jjP12ihipStream_tbEUljE_ZNSN_ISO_Lb0ESQ_SR_ST_SU_SY_EESZ_S10_S11_S12_S16_S17_S18_S1B_S1C_jS1D_jS1E_S1E_jjS1G_bEUljE0_EEESZ_S10_S11_S18_S1C_S1E_T6_T7_T9_mT8_S1G_bDpT10_ENKUlT_T0_E_clISt17integral_constantIbLb1EES1T_IbLb0EEEEDaS1P_S1Q_EUlS1P_E_NS1_11comp_targetILNS1_3genE2ELNS1_11target_archE906ELNS1_3gpuE6ELNS1_3repE0EEENS1_30default_config_static_selectorELNS0_4arch9wavefront6targetE0EEEvS12_
; %bb.0:
	.section	.rodata,"a",@progbits
	.p2align	6, 0x0
	.amdhsa_kernel _ZN7rocprim17ROCPRIM_400000_NS6detail17trampoline_kernelINS0_13select_configILj256ELj13ELNS0_17block_load_methodE3ELS4_3ELS4_3ELNS0_20block_scan_algorithmE0ELj4294967295EEENS1_25partition_config_selectorILNS1_17partition_subalgoE4EjNS0_10empty_typeEbEEZZNS1_14partition_implILS8_4ELb0ES6_15HIP_vector_typeIjLj2EENS0_17counting_iteratorIjlEEPS9_SG_NS0_5tupleIJPjSI_NS0_16reverse_iteratorISI_EEEEENSH_IJSG_SG_SG_EEES9_SI_JZNS1_25segmented_radix_sort_implINS0_14default_configELb0EPKhPhPKlPlN2at6native12_GLOBAL__N_18offset_tEEE10hipError_tPvRmT1_PNSt15iterator_traitsIS12_E10value_typeET2_T3_PNS13_IS18_E10value_typeET4_jRbjT5_S1E_jjP12ihipStream_tbEUljE_ZNSN_ISO_Lb0ESQ_SR_ST_SU_SY_EESZ_S10_S11_S12_S16_S17_S18_S1B_S1C_jS1D_jS1E_S1E_jjS1G_bEUljE0_EEESZ_S10_S11_S18_S1C_S1E_T6_T7_T9_mT8_S1G_bDpT10_ENKUlT_T0_E_clISt17integral_constantIbLb1EES1T_IbLb0EEEEDaS1P_S1Q_EUlS1P_E_NS1_11comp_targetILNS1_3genE2ELNS1_11target_archE906ELNS1_3gpuE6ELNS1_3repE0EEENS1_30default_config_static_selectorELNS0_4arch9wavefront6targetE0EEEvS12_
		.amdhsa_group_segment_fixed_size 0
		.amdhsa_private_segment_fixed_size 0
		.amdhsa_kernarg_size 176
		.amdhsa_user_sgpr_count 2
		.amdhsa_user_sgpr_dispatch_ptr 0
		.amdhsa_user_sgpr_queue_ptr 0
		.amdhsa_user_sgpr_kernarg_segment_ptr 1
		.amdhsa_user_sgpr_dispatch_id 0
		.amdhsa_user_sgpr_private_segment_size 0
		.amdhsa_wavefront_size32 1
		.amdhsa_uses_dynamic_stack 0
		.amdhsa_enable_private_segment 0
		.amdhsa_system_sgpr_workgroup_id_x 1
		.amdhsa_system_sgpr_workgroup_id_y 0
		.amdhsa_system_sgpr_workgroup_id_z 0
		.amdhsa_system_sgpr_workgroup_info 0
		.amdhsa_system_vgpr_workitem_id 0
		.amdhsa_next_free_vgpr 1
		.amdhsa_next_free_sgpr 1
		.amdhsa_reserve_vcc 0
		.amdhsa_float_round_mode_32 0
		.amdhsa_float_round_mode_16_64 0
		.amdhsa_float_denorm_mode_32 3
		.amdhsa_float_denorm_mode_16_64 3
		.amdhsa_fp16_overflow 0
		.amdhsa_workgroup_processor_mode 1
		.amdhsa_memory_ordered 1
		.amdhsa_forward_progress 1
		.amdhsa_inst_pref_size 0
		.amdhsa_round_robin_scheduling 0
		.amdhsa_exception_fp_ieee_invalid_op 0
		.amdhsa_exception_fp_denorm_src 0
		.amdhsa_exception_fp_ieee_div_zero 0
		.amdhsa_exception_fp_ieee_overflow 0
		.amdhsa_exception_fp_ieee_underflow 0
		.amdhsa_exception_fp_ieee_inexact 0
		.amdhsa_exception_int_div_zero 0
	.end_amdhsa_kernel
	.section	.text._ZN7rocprim17ROCPRIM_400000_NS6detail17trampoline_kernelINS0_13select_configILj256ELj13ELNS0_17block_load_methodE3ELS4_3ELS4_3ELNS0_20block_scan_algorithmE0ELj4294967295EEENS1_25partition_config_selectorILNS1_17partition_subalgoE4EjNS0_10empty_typeEbEEZZNS1_14partition_implILS8_4ELb0ES6_15HIP_vector_typeIjLj2EENS0_17counting_iteratorIjlEEPS9_SG_NS0_5tupleIJPjSI_NS0_16reverse_iteratorISI_EEEEENSH_IJSG_SG_SG_EEES9_SI_JZNS1_25segmented_radix_sort_implINS0_14default_configELb0EPKhPhPKlPlN2at6native12_GLOBAL__N_18offset_tEEE10hipError_tPvRmT1_PNSt15iterator_traitsIS12_E10value_typeET2_T3_PNS13_IS18_E10value_typeET4_jRbjT5_S1E_jjP12ihipStream_tbEUljE_ZNSN_ISO_Lb0ESQ_SR_ST_SU_SY_EESZ_S10_S11_S12_S16_S17_S18_S1B_S1C_jS1D_jS1E_S1E_jjS1G_bEUljE0_EEESZ_S10_S11_S18_S1C_S1E_T6_T7_T9_mT8_S1G_bDpT10_ENKUlT_T0_E_clISt17integral_constantIbLb1EES1T_IbLb0EEEEDaS1P_S1Q_EUlS1P_E_NS1_11comp_targetILNS1_3genE2ELNS1_11target_archE906ELNS1_3gpuE6ELNS1_3repE0EEENS1_30default_config_static_selectorELNS0_4arch9wavefront6targetE0EEEvS12_,"axG",@progbits,_ZN7rocprim17ROCPRIM_400000_NS6detail17trampoline_kernelINS0_13select_configILj256ELj13ELNS0_17block_load_methodE3ELS4_3ELS4_3ELNS0_20block_scan_algorithmE0ELj4294967295EEENS1_25partition_config_selectorILNS1_17partition_subalgoE4EjNS0_10empty_typeEbEEZZNS1_14partition_implILS8_4ELb0ES6_15HIP_vector_typeIjLj2EENS0_17counting_iteratorIjlEEPS9_SG_NS0_5tupleIJPjSI_NS0_16reverse_iteratorISI_EEEEENSH_IJSG_SG_SG_EEES9_SI_JZNS1_25segmented_radix_sort_implINS0_14default_configELb0EPKhPhPKlPlN2at6native12_GLOBAL__N_18offset_tEEE10hipError_tPvRmT1_PNSt15iterator_traitsIS12_E10value_typeET2_T3_PNS13_IS18_E10value_typeET4_jRbjT5_S1E_jjP12ihipStream_tbEUljE_ZNSN_ISO_Lb0ESQ_SR_ST_SU_SY_EESZ_S10_S11_S12_S16_S17_S18_S1B_S1C_jS1D_jS1E_S1E_jjS1G_bEUljE0_EEESZ_S10_S11_S18_S1C_S1E_T6_T7_T9_mT8_S1G_bDpT10_ENKUlT_T0_E_clISt17integral_constantIbLb1EES1T_IbLb0EEEEDaS1P_S1Q_EUlS1P_E_NS1_11comp_targetILNS1_3genE2ELNS1_11target_archE906ELNS1_3gpuE6ELNS1_3repE0EEENS1_30default_config_static_selectorELNS0_4arch9wavefront6targetE0EEEvS12_,comdat
.Lfunc_end142:
	.size	_ZN7rocprim17ROCPRIM_400000_NS6detail17trampoline_kernelINS0_13select_configILj256ELj13ELNS0_17block_load_methodE3ELS4_3ELS4_3ELNS0_20block_scan_algorithmE0ELj4294967295EEENS1_25partition_config_selectorILNS1_17partition_subalgoE4EjNS0_10empty_typeEbEEZZNS1_14partition_implILS8_4ELb0ES6_15HIP_vector_typeIjLj2EENS0_17counting_iteratorIjlEEPS9_SG_NS0_5tupleIJPjSI_NS0_16reverse_iteratorISI_EEEEENSH_IJSG_SG_SG_EEES9_SI_JZNS1_25segmented_radix_sort_implINS0_14default_configELb0EPKhPhPKlPlN2at6native12_GLOBAL__N_18offset_tEEE10hipError_tPvRmT1_PNSt15iterator_traitsIS12_E10value_typeET2_T3_PNS13_IS18_E10value_typeET4_jRbjT5_S1E_jjP12ihipStream_tbEUljE_ZNSN_ISO_Lb0ESQ_SR_ST_SU_SY_EESZ_S10_S11_S12_S16_S17_S18_S1B_S1C_jS1D_jS1E_S1E_jjS1G_bEUljE0_EEESZ_S10_S11_S18_S1C_S1E_T6_T7_T9_mT8_S1G_bDpT10_ENKUlT_T0_E_clISt17integral_constantIbLb1EES1T_IbLb0EEEEDaS1P_S1Q_EUlS1P_E_NS1_11comp_targetILNS1_3genE2ELNS1_11target_archE906ELNS1_3gpuE6ELNS1_3repE0EEENS1_30default_config_static_selectorELNS0_4arch9wavefront6targetE0EEEvS12_, .Lfunc_end142-_ZN7rocprim17ROCPRIM_400000_NS6detail17trampoline_kernelINS0_13select_configILj256ELj13ELNS0_17block_load_methodE3ELS4_3ELS4_3ELNS0_20block_scan_algorithmE0ELj4294967295EEENS1_25partition_config_selectorILNS1_17partition_subalgoE4EjNS0_10empty_typeEbEEZZNS1_14partition_implILS8_4ELb0ES6_15HIP_vector_typeIjLj2EENS0_17counting_iteratorIjlEEPS9_SG_NS0_5tupleIJPjSI_NS0_16reverse_iteratorISI_EEEEENSH_IJSG_SG_SG_EEES9_SI_JZNS1_25segmented_radix_sort_implINS0_14default_configELb0EPKhPhPKlPlN2at6native12_GLOBAL__N_18offset_tEEE10hipError_tPvRmT1_PNSt15iterator_traitsIS12_E10value_typeET2_T3_PNS13_IS18_E10value_typeET4_jRbjT5_S1E_jjP12ihipStream_tbEUljE_ZNSN_ISO_Lb0ESQ_SR_ST_SU_SY_EESZ_S10_S11_S12_S16_S17_S18_S1B_S1C_jS1D_jS1E_S1E_jjS1G_bEUljE0_EEESZ_S10_S11_S18_S1C_S1E_T6_T7_T9_mT8_S1G_bDpT10_ENKUlT_T0_E_clISt17integral_constantIbLb1EES1T_IbLb0EEEEDaS1P_S1Q_EUlS1P_E_NS1_11comp_targetILNS1_3genE2ELNS1_11target_archE906ELNS1_3gpuE6ELNS1_3repE0EEENS1_30default_config_static_selectorELNS0_4arch9wavefront6targetE0EEEvS12_
                                        ; -- End function
	.set _ZN7rocprim17ROCPRIM_400000_NS6detail17trampoline_kernelINS0_13select_configILj256ELj13ELNS0_17block_load_methodE3ELS4_3ELS4_3ELNS0_20block_scan_algorithmE0ELj4294967295EEENS1_25partition_config_selectorILNS1_17partition_subalgoE4EjNS0_10empty_typeEbEEZZNS1_14partition_implILS8_4ELb0ES6_15HIP_vector_typeIjLj2EENS0_17counting_iteratorIjlEEPS9_SG_NS0_5tupleIJPjSI_NS0_16reverse_iteratorISI_EEEEENSH_IJSG_SG_SG_EEES9_SI_JZNS1_25segmented_radix_sort_implINS0_14default_configELb0EPKhPhPKlPlN2at6native12_GLOBAL__N_18offset_tEEE10hipError_tPvRmT1_PNSt15iterator_traitsIS12_E10value_typeET2_T3_PNS13_IS18_E10value_typeET4_jRbjT5_S1E_jjP12ihipStream_tbEUljE_ZNSN_ISO_Lb0ESQ_SR_ST_SU_SY_EESZ_S10_S11_S12_S16_S17_S18_S1B_S1C_jS1D_jS1E_S1E_jjS1G_bEUljE0_EEESZ_S10_S11_S18_S1C_S1E_T6_T7_T9_mT8_S1G_bDpT10_ENKUlT_T0_E_clISt17integral_constantIbLb1EES1T_IbLb0EEEEDaS1P_S1Q_EUlS1P_E_NS1_11comp_targetILNS1_3genE2ELNS1_11target_archE906ELNS1_3gpuE6ELNS1_3repE0EEENS1_30default_config_static_selectorELNS0_4arch9wavefront6targetE0EEEvS12_.num_vgpr, 0
	.set _ZN7rocprim17ROCPRIM_400000_NS6detail17trampoline_kernelINS0_13select_configILj256ELj13ELNS0_17block_load_methodE3ELS4_3ELS4_3ELNS0_20block_scan_algorithmE0ELj4294967295EEENS1_25partition_config_selectorILNS1_17partition_subalgoE4EjNS0_10empty_typeEbEEZZNS1_14partition_implILS8_4ELb0ES6_15HIP_vector_typeIjLj2EENS0_17counting_iteratorIjlEEPS9_SG_NS0_5tupleIJPjSI_NS0_16reverse_iteratorISI_EEEEENSH_IJSG_SG_SG_EEES9_SI_JZNS1_25segmented_radix_sort_implINS0_14default_configELb0EPKhPhPKlPlN2at6native12_GLOBAL__N_18offset_tEEE10hipError_tPvRmT1_PNSt15iterator_traitsIS12_E10value_typeET2_T3_PNS13_IS18_E10value_typeET4_jRbjT5_S1E_jjP12ihipStream_tbEUljE_ZNSN_ISO_Lb0ESQ_SR_ST_SU_SY_EESZ_S10_S11_S12_S16_S17_S18_S1B_S1C_jS1D_jS1E_S1E_jjS1G_bEUljE0_EEESZ_S10_S11_S18_S1C_S1E_T6_T7_T9_mT8_S1G_bDpT10_ENKUlT_T0_E_clISt17integral_constantIbLb1EES1T_IbLb0EEEEDaS1P_S1Q_EUlS1P_E_NS1_11comp_targetILNS1_3genE2ELNS1_11target_archE906ELNS1_3gpuE6ELNS1_3repE0EEENS1_30default_config_static_selectorELNS0_4arch9wavefront6targetE0EEEvS12_.num_agpr, 0
	.set _ZN7rocprim17ROCPRIM_400000_NS6detail17trampoline_kernelINS0_13select_configILj256ELj13ELNS0_17block_load_methodE3ELS4_3ELS4_3ELNS0_20block_scan_algorithmE0ELj4294967295EEENS1_25partition_config_selectorILNS1_17partition_subalgoE4EjNS0_10empty_typeEbEEZZNS1_14partition_implILS8_4ELb0ES6_15HIP_vector_typeIjLj2EENS0_17counting_iteratorIjlEEPS9_SG_NS0_5tupleIJPjSI_NS0_16reverse_iteratorISI_EEEEENSH_IJSG_SG_SG_EEES9_SI_JZNS1_25segmented_radix_sort_implINS0_14default_configELb0EPKhPhPKlPlN2at6native12_GLOBAL__N_18offset_tEEE10hipError_tPvRmT1_PNSt15iterator_traitsIS12_E10value_typeET2_T3_PNS13_IS18_E10value_typeET4_jRbjT5_S1E_jjP12ihipStream_tbEUljE_ZNSN_ISO_Lb0ESQ_SR_ST_SU_SY_EESZ_S10_S11_S12_S16_S17_S18_S1B_S1C_jS1D_jS1E_S1E_jjS1G_bEUljE0_EEESZ_S10_S11_S18_S1C_S1E_T6_T7_T9_mT8_S1G_bDpT10_ENKUlT_T0_E_clISt17integral_constantIbLb1EES1T_IbLb0EEEEDaS1P_S1Q_EUlS1P_E_NS1_11comp_targetILNS1_3genE2ELNS1_11target_archE906ELNS1_3gpuE6ELNS1_3repE0EEENS1_30default_config_static_selectorELNS0_4arch9wavefront6targetE0EEEvS12_.numbered_sgpr, 0
	.set _ZN7rocprim17ROCPRIM_400000_NS6detail17trampoline_kernelINS0_13select_configILj256ELj13ELNS0_17block_load_methodE3ELS4_3ELS4_3ELNS0_20block_scan_algorithmE0ELj4294967295EEENS1_25partition_config_selectorILNS1_17partition_subalgoE4EjNS0_10empty_typeEbEEZZNS1_14partition_implILS8_4ELb0ES6_15HIP_vector_typeIjLj2EENS0_17counting_iteratorIjlEEPS9_SG_NS0_5tupleIJPjSI_NS0_16reverse_iteratorISI_EEEEENSH_IJSG_SG_SG_EEES9_SI_JZNS1_25segmented_radix_sort_implINS0_14default_configELb0EPKhPhPKlPlN2at6native12_GLOBAL__N_18offset_tEEE10hipError_tPvRmT1_PNSt15iterator_traitsIS12_E10value_typeET2_T3_PNS13_IS18_E10value_typeET4_jRbjT5_S1E_jjP12ihipStream_tbEUljE_ZNSN_ISO_Lb0ESQ_SR_ST_SU_SY_EESZ_S10_S11_S12_S16_S17_S18_S1B_S1C_jS1D_jS1E_S1E_jjS1G_bEUljE0_EEESZ_S10_S11_S18_S1C_S1E_T6_T7_T9_mT8_S1G_bDpT10_ENKUlT_T0_E_clISt17integral_constantIbLb1EES1T_IbLb0EEEEDaS1P_S1Q_EUlS1P_E_NS1_11comp_targetILNS1_3genE2ELNS1_11target_archE906ELNS1_3gpuE6ELNS1_3repE0EEENS1_30default_config_static_selectorELNS0_4arch9wavefront6targetE0EEEvS12_.num_named_barrier, 0
	.set _ZN7rocprim17ROCPRIM_400000_NS6detail17trampoline_kernelINS0_13select_configILj256ELj13ELNS0_17block_load_methodE3ELS4_3ELS4_3ELNS0_20block_scan_algorithmE0ELj4294967295EEENS1_25partition_config_selectorILNS1_17partition_subalgoE4EjNS0_10empty_typeEbEEZZNS1_14partition_implILS8_4ELb0ES6_15HIP_vector_typeIjLj2EENS0_17counting_iteratorIjlEEPS9_SG_NS0_5tupleIJPjSI_NS0_16reverse_iteratorISI_EEEEENSH_IJSG_SG_SG_EEES9_SI_JZNS1_25segmented_radix_sort_implINS0_14default_configELb0EPKhPhPKlPlN2at6native12_GLOBAL__N_18offset_tEEE10hipError_tPvRmT1_PNSt15iterator_traitsIS12_E10value_typeET2_T3_PNS13_IS18_E10value_typeET4_jRbjT5_S1E_jjP12ihipStream_tbEUljE_ZNSN_ISO_Lb0ESQ_SR_ST_SU_SY_EESZ_S10_S11_S12_S16_S17_S18_S1B_S1C_jS1D_jS1E_S1E_jjS1G_bEUljE0_EEESZ_S10_S11_S18_S1C_S1E_T6_T7_T9_mT8_S1G_bDpT10_ENKUlT_T0_E_clISt17integral_constantIbLb1EES1T_IbLb0EEEEDaS1P_S1Q_EUlS1P_E_NS1_11comp_targetILNS1_3genE2ELNS1_11target_archE906ELNS1_3gpuE6ELNS1_3repE0EEENS1_30default_config_static_selectorELNS0_4arch9wavefront6targetE0EEEvS12_.private_seg_size, 0
	.set _ZN7rocprim17ROCPRIM_400000_NS6detail17trampoline_kernelINS0_13select_configILj256ELj13ELNS0_17block_load_methodE3ELS4_3ELS4_3ELNS0_20block_scan_algorithmE0ELj4294967295EEENS1_25partition_config_selectorILNS1_17partition_subalgoE4EjNS0_10empty_typeEbEEZZNS1_14partition_implILS8_4ELb0ES6_15HIP_vector_typeIjLj2EENS0_17counting_iteratorIjlEEPS9_SG_NS0_5tupleIJPjSI_NS0_16reverse_iteratorISI_EEEEENSH_IJSG_SG_SG_EEES9_SI_JZNS1_25segmented_radix_sort_implINS0_14default_configELb0EPKhPhPKlPlN2at6native12_GLOBAL__N_18offset_tEEE10hipError_tPvRmT1_PNSt15iterator_traitsIS12_E10value_typeET2_T3_PNS13_IS18_E10value_typeET4_jRbjT5_S1E_jjP12ihipStream_tbEUljE_ZNSN_ISO_Lb0ESQ_SR_ST_SU_SY_EESZ_S10_S11_S12_S16_S17_S18_S1B_S1C_jS1D_jS1E_S1E_jjS1G_bEUljE0_EEESZ_S10_S11_S18_S1C_S1E_T6_T7_T9_mT8_S1G_bDpT10_ENKUlT_T0_E_clISt17integral_constantIbLb1EES1T_IbLb0EEEEDaS1P_S1Q_EUlS1P_E_NS1_11comp_targetILNS1_3genE2ELNS1_11target_archE906ELNS1_3gpuE6ELNS1_3repE0EEENS1_30default_config_static_selectorELNS0_4arch9wavefront6targetE0EEEvS12_.uses_vcc, 0
	.set _ZN7rocprim17ROCPRIM_400000_NS6detail17trampoline_kernelINS0_13select_configILj256ELj13ELNS0_17block_load_methodE3ELS4_3ELS4_3ELNS0_20block_scan_algorithmE0ELj4294967295EEENS1_25partition_config_selectorILNS1_17partition_subalgoE4EjNS0_10empty_typeEbEEZZNS1_14partition_implILS8_4ELb0ES6_15HIP_vector_typeIjLj2EENS0_17counting_iteratorIjlEEPS9_SG_NS0_5tupleIJPjSI_NS0_16reverse_iteratorISI_EEEEENSH_IJSG_SG_SG_EEES9_SI_JZNS1_25segmented_radix_sort_implINS0_14default_configELb0EPKhPhPKlPlN2at6native12_GLOBAL__N_18offset_tEEE10hipError_tPvRmT1_PNSt15iterator_traitsIS12_E10value_typeET2_T3_PNS13_IS18_E10value_typeET4_jRbjT5_S1E_jjP12ihipStream_tbEUljE_ZNSN_ISO_Lb0ESQ_SR_ST_SU_SY_EESZ_S10_S11_S12_S16_S17_S18_S1B_S1C_jS1D_jS1E_S1E_jjS1G_bEUljE0_EEESZ_S10_S11_S18_S1C_S1E_T6_T7_T9_mT8_S1G_bDpT10_ENKUlT_T0_E_clISt17integral_constantIbLb1EES1T_IbLb0EEEEDaS1P_S1Q_EUlS1P_E_NS1_11comp_targetILNS1_3genE2ELNS1_11target_archE906ELNS1_3gpuE6ELNS1_3repE0EEENS1_30default_config_static_selectorELNS0_4arch9wavefront6targetE0EEEvS12_.uses_flat_scratch, 0
	.set _ZN7rocprim17ROCPRIM_400000_NS6detail17trampoline_kernelINS0_13select_configILj256ELj13ELNS0_17block_load_methodE3ELS4_3ELS4_3ELNS0_20block_scan_algorithmE0ELj4294967295EEENS1_25partition_config_selectorILNS1_17partition_subalgoE4EjNS0_10empty_typeEbEEZZNS1_14partition_implILS8_4ELb0ES6_15HIP_vector_typeIjLj2EENS0_17counting_iteratorIjlEEPS9_SG_NS0_5tupleIJPjSI_NS0_16reverse_iteratorISI_EEEEENSH_IJSG_SG_SG_EEES9_SI_JZNS1_25segmented_radix_sort_implINS0_14default_configELb0EPKhPhPKlPlN2at6native12_GLOBAL__N_18offset_tEEE10hipError_tPvRmT1_PNSt15iterator_traitsIS12_E10value_typeET2_T3_PNS13_IS18_E10value_typeET4_jRbjT5_S1E_jjP12ihipStream_tbEUljE_ZNSN_ISO_Lb0ESQ_SR_ST_SU_SY_EESZ_S10_S11_S12_S16_S17_S18_S1B_S1C_jS1D_jS1E_S1E_jjS1G_bEUljE0_EEESZ_S10_S11_S18_S1C_S1E_T6_T7_T9_mT8_S1G_bDpT10_ENKUlT_T0_E_clISt17integral_constantIbLb1EES1T_IbLb0EEEEDaS1P_S1Q_EUlS1P_E_NS1_11comp_targetILNS1_3genE2ELNS1_11target_archE906ELNS1_3gpuE6ELNS1_3repE0EEENS1_30default_config_static_selectorELNS0_4arch9wavefront6targetE0EEEvS12_.has_dyn_sized_stack, 0
	.set _ZN7rocprim17ROCPRIM_400000_NS6detail17trampoline_kernelINS0_13select_configILj256ELj13ELNS0_17block_load_methodE3ELS4_3ELS4_3ELNS0_20block_scan_algorithmE0ELj4294967295EEENS1_25partition_config_selectorILNS1_17partition_subalgoE4EjNS0_10empty_typeEbEEZZNS1_14partition_implILS8_4ELb0ES6_15HIP_vector_typeIjLj2EENS0_17counting_iteratorIjlEEPS9_SG_NS0_5tupleIJPjSI_NS0_16reverse_iteratorISI_EEEEENSH_IJSG_SG_SG_EEES9_SI_JZNS1_25segmented_radix_sort_implINS0_14default_configELb0EPKhPhPKlPlN2at6native12_GLOBAL__N_18offset_tEEE10hipError_tPvRmT1_PNSt15iterator_traitsIS12_E10value_typeET2_T3_PNS13_IS18_E10value_typeET4_jRbjT5_S1E_jjP12ihipStream_tbEUljE_ZNSN_ISO_Lb0ESQ_SR_ST_SU_SY_EESZ_S10_S11_S12_S16_S17_S18_S1B_S1C_jS1D_jS1E_S1E_jjS1G_bEUljE0_EEESZ_S10_S11_S18_S1C_S1E_T6_T7_T9_mT8_S1G_bDpT10_ENKUlT_T0_E_clISt17integral_constantIbLb1EES1T_IbLb0EEEEDaS1P_S1Q_EUlS1P_E_NS1_11comp_targetILNS1_3genE2ELNS1_11target_archE906ELNS1_3gpuE6ELNS1_3repE0EEENS1_30default_config_static_selectorELNS0_4arch9wavefront6targetE0EEEvS12_.has_recursion, 0
	.set _ZN7rocprim17ROCPRIM_400000_NS6detail17trampoline_kernelINS0_13select_configILj256ELj13ELNS0_17block_load_methodE3ELS4_3ELS4_3ELNS0_20block_scan_algorithmE0ELj4294967295EEENS1_25partition_config_selectorILNS1_17partition_subalgoE4EjNS0_10empty_typeEbEEZZNS1_14partition_implILS8_4ELb0ES6_15HIP_vector_typeIjLj2EENS0_17counting_iteratorIjlEEPS9_SG_NS0_5tupleIJPjSI_NS0_16reverse_iteratorISI_EEEEENSH_IJSG_SG_SG_EEES9_SI_JZNS1_25segmented_radix_sort_implINS0_14default_configELb0EPKhPhPKlPlN2at6native12_GLOBAL__N_18offset_tEEE10hipError_tPvRmT1_PNSt15iterator_traitsIS12_E10value_typeET2_T3_PNS13_IS18_E10value_typeET4_jRbjT5_S1E_jjP12ihipStream_tbEUljE_ZNSN_ISO_Lb0ESQ_SR_ST_SU_SY_EESZ_S10_S11_S12_S16_S17_S18_S1B_S1C_jS1D_jS1E_S1E_jjS1G_bEUljE0_EEESZ_S10_S11_S18_S1C_S1E_T6_T7_T9_mT8_S1G_bDpT10_ENKUlT_T0_E_clISt17integral_constantIbLb1EES1T_IbLb0EEEEDaS1P_S1Q_EUlS1P_E_NS1_11comp_targetILNS1_3genE2ELNS1_11target_archE906ELNS1_3gpuE6ELNS1_3repE0EEENS1_30default_config_static_selectorELNS0_4arch9wavefront6targetE0EEEvS12_.has_indirect_call, 0
	.section	.AMDGPU.csdata,"",@progbits
; Kernel info:
; codeLenInByte = 0
; TotalNumSgprs: 0
; NumVgprs: 0
; ScratchSize: 0
; MemoryBound: 0
; FloatMode: 240
; IeeeMode: 1
; LDSByteSize: 0 bytes/workgroup (compile time only)
; SGPRBlocks: 0
; VGPRBlocks: 0
; NumSGPRsForWavesPerEU: 1
; NumVGPRsForWavesPerEU: 1
; Occupancy: 16
; WaveLimiterHint : 0
; COMPUTE_PGM_RSRC2:SCRATCH_EN: 0
; COMPUTE_PGM_RSRC2:USER_SGPR: 2
; COMPUTE_PGM_RSRC2:TRAP_HANDLER: 0
; COMPUTE_PGM_RSRC2:TGID_X_EN: 1
; COMPUTE_PGM_RSRC2:TGID_Y_EN: 0
; COMPUTE_PGM_RSRC2:TGID_Z_EN: 0
; COMPUTE_PGM_RSRC2:TIDIG_COMP_CNT: 0
	.section	.text._ZN7rocprim17ROCPRIM_400000_NS6detail17trampoline_kernelINS0_13select_configILj256ELj13ELNS0_17block_load_methodE3ELS4_3ELS4_3ELNS0_20block_scan_algorithmE0ELj4294967295EEENS1_25partition_config_selectorILNS1_17partition_subalgoE4EjNS0_10empty_typeEbEEZZNS1_14partition_implILS8_4ELb0ES6_15HIP_vector_typeIjLj2EENS0_17counting_iteratorIjlEEPS9_SG_NS0_5tupleIJPjSI_NS0_16reverse_iteratorISI_EEEEENSH_IJSG_SG_SG_EEES9_SI_JZNS1_25segmented_radix_sort_implINS0_14default_configELb0EPKhPhPKlPlN2at6native12_GLOBAL__N_18offset_tEEE10hipError_tPvRmT1_PNSt15iterator_traitsIS12_E10value_typeET2_T3_PNS13_IS18_E10value_typeET4_jRbjT5_S1E_jjP12ihipStream_tbEUljE_ZNSN_ISO_Lb0ESQ_SR_ST_SU_SY_EESZ_S10_S11_S12_S16_S17_S18_S1B_S1C_jS1D_jS1E_S1E_jjS1G_bEUljE0_EEESZ_S10_S11_S18_S1C_S1E_T6_T7_T9_mT8_S1G_bDpT10_ENKUlT_T0_E_clISt17integral_constantIbLb1EES1T_IbLb0EEEEDaS1P_S1Q_EUlS1P_E_NS1_11comp_targetILNS1_3genE10ELNS1_11target_archE1200ELNS1_3gpuE4ELNS1_3repE0EEENS1_30default_config_static_selectorELNS0_4arch9wavefront6targetE0EEEvS12_,"axG",@progbits,_ZN7rocprim17ROCPRIM_400000_NS6detail17trampoline_kernelINS0_13select_configILj256ELj13ELNS0_17block_load_methodE3ELS4_3ELS4_3ELNS0_20block_scan_algorithmE0ELj4294967295EEENS1_25partition_config_selectorILNS1_17partition_subalgoE4EjNS0_10empty_typeEbEEZZNS1_14partition_implILS8_4ELb0ES6_15HIP_vector_typeIjLj2EENS0_17counting_iteratorIjlEEPS9_SG_NS0_5tupleIJPjSI_NS0_16reverse_iteratorISI_EEEEENSH_IJSG_SG_SG_EEES9_SI_JZNS1_25segmented_radix_sort_implINS0_14default_configELb0EPKhPhPKlPlN2at6native12_GLOBAL__N_18offset_tEEE10hipError_tPvRmT1_PNSt15iterator_traitsIS12_E10value_typeET2_T3_PNS13_IS18_E10value_typeET4_jRbjT5_S1E_jjP12ihipStream_tbEUljE_ZNSN_ISO_Lb0ESQ_SR_ST_SU_SY_EESZ_S10_S11_S12_S16_S17_S18_S1B_S1C_jS1D_jS1E_S1E_jjS1G_bEUljE0_EEESZ_S10_S11_S18_S1C_S1E_T6_T7_T9_mT8_S1G_bDpT10_ENKUlT_T0_E_clISt17integral_constantIbLb1EES1T_IbLb0EEEEDaS1P_S1Q_EUlS1P_E_NS1_11comp_targetILNS1_3genE10ELNS1_11target_archE1200ELNS1_3gpuE4ELNS1_3repE0EEENS1_30default_config_static_selectorELNS0_4arch9wavefront6targetE0EEEvS12_,comdat
	.globl	_ZN7rocprim17ROCPRIM_400000_NS6detail17trampoline_kernelINS0_13select_configILj256ELj13ELNS0_17block_load_methodE3ELS4_3ELS4_3ELNS0_20block_scan_algorithmE0ELj4294967295EEENS1_25partition_config_selectorILNS1_17partition_subalgoE4EjNS0_10empty_typeEbEEZZNS1_14partition_implILS8_4ELb0ES6_15HIP_vector_typeIjLj2EENS0_17counting_iteratorIjlEEPS9_SG_NS0_5tupleIJPjSI_NS0_16reverse_iteratorISI_EEEEENSH_IJSG_SG_SG_EEES9_SI_JZNS1_25segmented_radix_sort_implINS0_14default_configELb0EPKhPhPKlPlN2at6native12_GLOBAL__N_18offset_tEEE10hipError_tPvRmT1_PNSt15iterator_traitsIS12_E10value_typeET2_T3_PNS13_IS18_E10value_typeET4_jRbjT5_S1E_jjP12ihipStream_tbEUljE_ZNSN_ISO_Lb0ESQ_SR_ST_SU_SY_EESZ_S10_S11_S12_S16_S17_S18_S1B_S1C_jS1D_jS1E_S1E_jjS1G_bEUljE0_EEESZ_S10_S11_S18_S1C_S1E_T6_T7_T9_mT8_S1G_bDpT10_ENKUlT_T0_E_clISt17integral_constantIbLb1EES1T_IbLb0EEEEDaS1P_S1Q_EUlS1P_E_NS1_11comp_targetILNS1_3genE10ELNS1_11target_archE1200ELNS1_3gpuE4ELNS1_3repE0EEENS1_30default_config_static_selectorELNS0_4arch9wavefront6targetE0EEEvS12_ ; -- Begin function _ZN7rocprim17ROCPRIM_400000_NS6detail17trampoline_kernelINS0_13select_configILj256ELj13ELNS0_17block_load_methodE3ELS4_3ELS4_3ELNS0_20block_scan_algorithmE0ELj4294967295EEENS1_25partition_config_selectorILNS1_17partition_subalgoE4EjNS0_10empty_typeEbEEZZNS1_14partition_implILS8_4ELb0ES6_15HIP_vector_typeIjLj2EENS0_17counting_iteratorIjlEEPS9_SG_NS0_5tupleIJPjSI_NS0_16reverse_iteratorISI_EEEEENSH_IJSG_SG_SG_EEES9_SI_JZNS1_25segmented_radix_sort_implINS0_14default_configELb0EPKhPhPKlPlN2at6native12_GLOBAL__N_18offset_tEEE10hipError_tPvRmT1_PNSt15iterator_traitsIS12_E10value_typeET2_T3_PNS13_IS18_E10value_typeET4_jRbjT5_S1E_jjP12ihipStream_tbEUljE_ZNSN_ISO_Lb0ESQ_SR_ST_SU_SY_EESZ_S10_S11_S12_S16_S17_S18_S1B_S1C_jS1D_jS1E_S1E_jjS1G_bEUljE0_EEESZ_S10_S11_S18_S1C_S1E_T6_T7_T9_mT8_S1G_bDpT10_ENKUlT_T0_E_clISt17integral_constantIbLb1EES1T_IbLb0EEEEDaS1P_S1Q_EUlS1P_E_NS1_11comp_targetILNS1_3genE10ELNS1_11target_archE1200ELNS1_3gpuE4ELNS1_3repE0EEENS1_30default_config_static_selectorELNS0_4arch9wavefront6targetE0EEEvS12_
	.p2align	8
	.type	_ZN7rocprim17ROCPRIM_400000_NS6detail17trampoline_kernelINS0_13select_configILj256ELj13ELNS0_17block_load_methodE3ELS4_3ELS4_3ELNS0_20block_scan_algorithmE0ELj4294967295EEENS1_25partition_config_selectorILNS1_17partition_subalgoE4EjNS0_10empty_typeEbEEZZNS1_14partition_implILS8_4ELb0ES6_15HIP_vector_typeIjLj2EENS0_17counting_iteratorIjlEEPS9_SG_NS0_5tupleIJPjSI_NS0_16reverse_iteratorISI_EEEEENSH_IJSG_SG_SG_EEES9_SI_JZNS1_25segmented_radix_sort_implINS0_14default_configELb0EPKhPhPKlPlN2at6native12_GLOBAL__N_18offset_tEEE10hipError_tPvRmT1_PNSt15iterator_traitsIS12_E10value_typeET2_T3_PNS13_IS18_E10value_typeET4_jRbjT5_S1E_jjP12ihipStream_tbEUljE_ZNSN_ISO_Lb0ESQ_SR_ST_SU_SY_EESZ_S10_S11_S12_S16_S17_S18_S1B_S1C_jS1D_jS1E_S1E_jjS1G_bEUljE0_EEESZ_S10_S11_S18_S1C_S1E_T6_T7_T9_mT8_S1G_bDpT10_ENKUlT_T0_E_clISt17integral_constantIbLb1EES1T_IbLb0EEEEDaS1P_S1Q_EUlS1P_E_NS1_11comp_targetILNS1_3genE10ELNS1_11target_archE1200ELNS1_3gpuE4ELNS1_3repE0EEENS1_30default_config_static_selectorELNS0_4arch9wavefront6targetE0EEEvS12_,@function
_ZN7rocprim17ROCPRIM_400000_NS6detail17trampoline_kernelINS0_13select_configILj256ELj13ELNS0_17block_load_methodE3ELS4_3ELS4_3ELNS0_20block_scan_algorithmE0ELj4294967295EEENS1_25partition_config_selectorILNS1_17partition_subalgoE4EjNS0_10empty_typeEbEEZZNS1_14partition_implILS8_4ELb0ES6_15HIP_vector_typeIjLj2EENS0_17counting_iteratorIjlEEPS9_SG_NS0_5tupleIJPjSI_NS0_16reverse_iteratorISI_EEEEENSH_IJSG_SG_SG_EEES9_SI_JZNS1_25segmented_radix_sort_implINS0_14default_configELb0EPKhPhPKlPlN2at6native12_GLOBAL__N_18offset_tEEE10hipError_tPvRmT1_PNSt15iterator_traitsIS12_E10value_typeET2_T3_PNS13_IS18_E10value_typeET4_jRbjT5_S1E_jjP12ihipStream_tbEUljE_ZNSN_ISO_Lb0ESQ_SR_ST_SU_SY_EESZ_S10_S11_S12_S16_S17_S18_S1B_S1C_jS1D_jS1E_S1E_jjS1G_bEUljE0_EEESZ_S10_S11_S18_S1C_S1E_T6_T7_T9_mT8_S1G_bDpT10_ENKUlT_T0_E_clISt17integral_constantIbLb1EES1T_IbLb0EEEEDaS1P_S1Q_EUlS1P_E_NS1_11comp_targetILNS1_3genE10ELNS1_11target_archE1200ELNS1_3gpuE4ELNS1_3repE0EEENS1_30default_config_static_selectorELNS0_4arch9wavefront6targetE0EEEvS12_: ; @_ZN7rocprim17ROCPRIM_400000_NS6detail17trampoline_kernelINS0_13select_configILj256ELj13ELNS0_17block_load_methodE3ELS4_3ELS4_3ELNS0_20block_scan_algorithmE0ELj4294967295EEENS1_25partition_config_selectorILNS1_17partition_subalgoE4EjNS0_10empty_typeEbEEZZNS1_14partition_implILS8_4ELb0ES6_15HIP_vector_typeIjLj2EENS0_17counting_iteratorIjlEEPS9_SG_NS0_5tupleIJPjSI_NS0_16reverse_iteratorISI_EEEEENSH_IJSG_SG_SG_EEES9_SI_JZNS1_25segmented_radix_sort_implINS0_14default_configELb0EPKhPhPKlPlN2at6native12_GLOBAL__N_18offset_tEEE10hipError_tPvRmT1_PNSt15iterator_traitsIS12_E10value_typeET2_T3_PNS13_IS18_E10value_typeET4_jRbjT5_S1E_jjP12ihipStream_tbEUljE_ZNSN_ISO_Lb0ESQ_SR_ST_SU_SY_EESZ_S10_S11_S12_S16_S17_S18_S1B_S1C_jS1D_jS1E_S1E_jjS1G_bEUljE0_EEESZ_S10_S11_S18_S1C_S1E_T6_T7_T9_mT8_S1G_bDpT10_ENKUlT_T0_E_clISt17integral_constantIbLb1EES1T_IbLb0EEEEDaS1P_S1Q_EUlS1P_E_NS1_11comp_targetILNS1_3genE10ELNS1_11target_archE1200ELNS1_3gpuE4ELNS1_3repE0EEENS1_30default_config_static_selectorELNS0_4arch9wavefront6targetE0EEEvS12_
; %bb.0:
	s_endpgm
	.section	.rodata,"a",@progbits
	.p2align	6, 0x0
	.amdhsa_kernel _ZN7rocprim17ROCPRIM_400000_NS6detail17trampoline_kernelINS0_13select_configILj256ELj13ELNS0_17block_load_methodE3ELS4_3ELS4_3ELNS0_20block_scan_algorithmE0ELj4294967295EEENS1_25partition_config_selectorILNS1_17partition_subalgoE4EjNS0_10empty_typeEbEEZZNS1_14partition_implILS8_4ELb0ES6_15HIP_vector_typeIjLj2EENS0_17counting_iteratorIjlEEPS9_SG_NS0_5tupleIJPjSI_NS0_16reverse_iteratorISI_EEEEENSH_IJSG_SG_SG_EEES9_SI_JZNS1_25segmented_radix_sort_implINS0_14default_configELb0EPKhPhPKlPlN2at6native12_GLOBAL__N_18offset_tEEE10hipError_tPvRmT1_PNSt15iterator_traitsIS12_E10value_typeET2_T3_PNS13_IS18_E10value_typeET4_jRbjT5_S1E_jjP12ihipStream_tbEUljE_ZNSN_ISO_Lb0ESQ_SR_ST_SU_SY_EESZ_S10_S11_S12_S16_S17_S18_S1B_S1C_jS1D_jS1E_S1E_jjS1G_bEUljE0_EEESZ_S10_S11_S18_S1C_S1E_T6_T7_T9_mT8_S1G_bDpT10_ENKUlT_T0_E_clISt17integral_constantIbLb1EES1T_IbLb0EEEEDaS1P_S1Q_EUlS1P_E_NS1_11comp_targetILNS1_3genE10ELNS1_11target_archE1200ELNS1_3gpuE4ELNS1_3repE0EEENS1_30default_config_static_selectorELNS0_4arch9wavefront6targetE0EEEvS12_
		.amdhsa_group_segment_fixed_size 0
		.amdhsa_private_segment_fixed_size 0
		.amdhsa_kernarg_size 176
		.amdhsa_user_sgpr_count 2
		.amdhsa_user_sgpr_dispatch_ptr 0
		.amdhsa_user_sgpr_queue_ptr 0
		.amdhsa_user_sgpr_kernarg_segment_ptr 1
		.amdhsa_user_sgpr_dispatch_id 0
		.amdhsa_user_sgpr_private_segment_size 0
		.amdhsa_wavefront_size32 1
		.amdhsa_uses_dynamic_stack 0
		.amdhsa_enable_private_segment 0
		.amdhsa_system_sgpr_workgroup_id_x 1
		.amdhsa_system_sgpr_workgroup_id_y 0
		.amdhsa_system_sgpr_workgroup_id_z 0
		.amdhsa_system_sgpr_workgroup_info 0
		.amdhsa_system_vgpr_workitem_id 0
		.amdhsa_next_free_vgpr 1
		.amdhsa_next_free_sgpr 1
		.amdhsa_reserve_vcc 0
		.amdhsa_float_round_mode_32 0
		.amdhsa_float_round_mode_16_64 0
		.amdhsa_float_denorm_mode_32 3
		.amdhsa_float_denorm_mode_16_64 3
		.amdhsa_fp16_overflow 0
		.amdhsa_workgroup_processor_mode 1
		.amdhsa_memory_ordered 1
		.amdhsa_forward_progress 1
		.amdhsa_inst_pref_size 1
		.amdhsa_round_robin_scheduling 0
		.amdhsa_exception_fp_ieee_invalid_op 0
		.amdhsa_exception_fp_denorm_src 0
		.amdhsa_exception_fp_ieee_div_zero 0
		.amdhsa_exception_fp_ieee_overflow 0
		.amdhsa_exception_fp_ieee_underflow 0
		.amdhsa_exception_fp_ieee_inexact 0
		.amdhsa_exception_int_div_zero 0
	.end_amdhsa_kernel
	.section	.text._ZN7rocprim17ROCPRIM_400000_NS6detail17trampoline_kernelINS0_13select_configILj256ELj13ELNS0_17block_load_methodE3ELS4_3ELS4_3ELNS0_20block_scan_algorithmE0ELj4294967295EEENS1_25partition_config_selectorILNS1_17partition_subalgoE4EjNS0_10empty_typeEbEEZZNS1_14partition_implILS8_4ELb0ES6_15HIP_vector_typeIjLj2EENS0_17counting_iteratorIjlEEPS9_SG_NS0_5tupleIJPjSI_NS0_16reverse_iteratorISI_EEEEENSH_IJSG_SG_SG_EEES9_SI_JZNS1_25segmented_radix_sort_implINS0_14default_configELb0EPKhPhPKlPlN2at6native12_GLOBAL__N_18offset_tEEE10hipError_tPvRmT1_PNSt15iterator_traitsIS12_E10value_typeET2_T3_PNS13_IS18_E10value_typeET4_jRbjT5_S1E_jjP12ihipStream_tbEUljE_ZNSN_ISO_Lb0ESQ_SR_ST_SU_SY_EESZ_S10_S11_S12_S16_S17_S18_S1B_S1C_jS1D_jS1E_S1E_jjS1G_bEUljE0_EEESZ_S10_S11_S18_S1C_S1E_T6_T7_T9_mT8_S1G_bDpT10_ENKUlT_T0_E_clISt17integral_constantIbLb1EES1T_IbLb0EEEEDaS1P_S1Q_EUlS1P_E_NS1_11comp_targetILNS1_3genE10ELNS1_11target_archE1200ELNS1_3gpuE4ELNS1_3repE0EEENS1_30default_config_static_selectorELNS0_4arch9wavefront6targetE0EEEvS12_,"axG",@progbits,_ZN7rocprim17ROCPRIM_400000_NS6detail17trampoline_kernelINS0_13select_configILj256ELj13ELNS0_17block_load_methodE3ELS4_3ELS4_3ELNS0_20block_scan_algorithmE0ELj4294967295EEENS1_25partition_config_selectorILNS1_17partition_subalgoE4EjNS0_10empty_typeEbEEZZNS1_14partition_implILS8_4ELb0ES6_15HIP_vector_typeIjLj2EENS0_17counting_iteratorIjlEEPS9_SG_NS0_5tupleIJPjSI_NS0_16reverse_iteratorISI_EEEEENSH_IJSG_SG_SG_EEES9_SI_JZNS1_25segmented_radix_sort_implINS0_14default_configELb0EPKhPhPKlPlN2at6native12_GLOBAL__N_18offset_tEEE10hipError_tPvRmT1_PNSt15iterator_traitsIS12_E10value_typeET2_T3_PNS13_IS18_E10value_typeET4_jRbjT5_S1E_jjP12ihipStream_tbEUljE_ZNSN_ISO_Lb0ESQ_SR_ST_SU_SY_EESZ_S10_S11_S12_S16_S17_S18_S1B_S1C_jS1D_jS1E_S1E_jjS1G_bEUljE0_EEESZ_S10_S11_S18_S1C_S1E_T6_T7_T9_mT8_S1G_bDpT10_ENKUlT_T0_E_clISt17integral_constantIbLb1EES1T_IbLb0EEEEDaS1P_S1Q_EUlS1P_E_NS1_11comp_targetILNS1_3genE10ELNS1_11target_archE1200ELNS1_3gpuE4ELNS1_3repE0EEENS1_30default_config_static_selectorELNS0_4arch9wavefront6targetE0EEEvS12_,comdat
.Lfunc_end143:
	.size	_ZN7rocprim17ROCPRIM_400000_NS6detail17trampoline_kernelINS0_13select_configILj256ELj13ELNS0_17block_load_methodE3ELS4_3ELS4_3ELNS0_20block_scan_algorithmE0ELj4294967295EEENS1_25partition_config_selectorILNS1_17partition_subalgoE4EjNS0_10empty_typeEbEEZZNS1_14partition_implILS8_4ELb0ES6_15HIP_vector_typeIjLj2EENS0_17counting_iteratorIjlEEPS9_SG_NS0_5tupleIJPjSI_NS0_16reverse_iteratorISI_EEEEENSH_IJSG_SG_SG_EEES9_SI_JZNS1_25segmented_radix_sort_implINS0_14default_configELb0EPKhPhPKlPlN2at6native12_GLOBAL__N_18offset_tEEE10hipError_tPvRmT1_PNSt15iterator_traitsIS12_E10value_typeET2_T3_PNS13_IS18_E10value_typeET4_jRbjT5_S1E_jjP12ihipStream_tbEUljE_ZNSN_ISO_Lb0ESQ_SR_ST_SU_SY_EESZ_S10_S11_S12_S16_S17_S18_S1B_S1C_jS1D_jS1E_S1E_jjS1G_bEUljE0_EEESZ_S10_S11_S18_S1C_S1E_T6_T7_T9_mT8_S1G_bDpT10_ENKUlT_T0_E_clISt17integral_constantIbLb1EES1T_IbLb0EEEEDaS1P_S1Q_EUlS1P_E_NS1_11comp_targetILNS1_3genE10ELNS1_11target_archE1200ELNS1_3gpuE4ELNS1_3repE0EEENS1_30default_config_static_selectorELNS0_4arch9wavefront6targetE0EEEvS12_, .Lfunc_end143-_ZN7rocprim17ROCPRIM_400000_NS6detail17trampoline_kernelINS0_13select_configILj256ELj13ELNS0_17block_load_methodE3ELS4_3ELS4_3ELNS0_20block_scan_algorithmE0ELj4294967295EEENS1_25partition_config_selectorILNS1_17partition_subalgoE4EjNS0_10empty_typeEbEEZZNS1_14partition_implILS8_4ELb0ES6_15HIP_vector_typeIjLj2EENS0_17counting_iteratorIjlEEPS9_SG_NS0_5tupleIJPjSI_NS0_16reverse_iteratorISI_EEEEENSH_IJSG_SG_SG_EEES9_SI_JZNS1_25segmented_radix_sort_implINS0_14default_configELb0EPKhPhPKlPlN2at6native12_GLOBAL__N_18offset_tEEE10hipError_tPvRmT1_PNSt15iterator_traitsIS12_E10value_typeET2_T3_PNS13_IS18_E10value_typeET4_jRbjT5_S1E_jjP12ihipStream_tbEUljE_ZNSN_ISO_Lb0ESQ_SR_ST_SU_SY_EESZ_S10_S11_S12_S16_S17_S18_S1B_S1C_jS1D_jS1E_S1E_jjS1G_bEUljE0_EEESZ_S10_S11_S18_S1C_S1E_T6_T7_T9_mT8_S1G_bDpT10_ENKUlT_T0_E_clISt17integral_constantIbLb1EES1T_IbLb0EEEEDaS1P_S1Q_EUlS1P_E_NS1_11comp_targetILNS1_3genE10ELNS1_11target_archE1200ELNS1_3gpuE4ELNS1_3repE0EEENS1_30default_config_static_selectorELNS0_4arch9wavefront6targetE0EEEvS12_
                                        ; -- End function
	.set _ZN7rocprim17ROCPRIM_400000_NS6detail17trampoline_kernelINS0_13select_configILj256ELj13ELNS0_17block_load_methodE3ELS4_3ELS4_3ELNS0_20block_scan_algorithmE0ELj4294967295EEENS1_25partition_config_selectorILNS1_17partition_subalgoE4EjNS0_10empty_typeEbEEZZNS1_14partition_implILS8_4ELb0ES6_15HIP_vector_typeIjLj2EENS0_17counting_iteratorIjlEEPS9_SG_NS0_5tupleIJPjSI_NS0_16reverse_iteratorISI_EEEEENSH_IJSG_SG_SG_EEES9_SI_JZNS1_25segmented_radix_sort_implINS0_14default_configELb0EPKhPhPKlPlN2at6native12_GLOBAL__N_18offset_tEEE10hipError_tPvRmT1_PNSt15iterator_traitsIS12_E10value_typeET2_T3_PNS13_IS18_E10value_typeET4_jRbjT5_S1E_jjP12ihipStream_tbEUljE_ZNSN_ISO_Lb0ESQ_SR_ST_SU_SY_EESZ_S10_S11_S12_S16_S17_S18_S1B_S1C_jS1D_jS1E_S1E_jjS1G_bEUljE0_EEESZ_S10_S11_S18_S1C_S1E_T6_T7_T9_mT8_S1G_bDpT10_ENKUlT_T0_E_clISt17integral_constantIbLb1EES1T_IbLb0EEEEDaS1P_S1Q_EUlS1P_E_NS1_11comp_targetILNS1_3genE10ELNS1_11target_archE1200ELNS1_3gpuE4ELNS1_3repE0EEENS1_30default_config_static_selectorELNS0_4arch9wavefront6targetE0EEEvS12_.num_vgpr, 0
	.set _ZN7rocprim17ROCPRIM_400000_NS6detail17trampoline_kernelINS0_13select_configILj256ELj13ELNS0_17block_load_methodE3ELS4_3ELS4_3ELNS0_20block_scan_algorithmE0ELj4294967295EEENS1_25partition_config_selectorILNS1_17partition_subalgoE4EjNS0_10empty_typeEbEEZZNS1_14partition_implILS8_4ELb0ES6_15HIP_vector_typeIjLj2EENS0_17counting_iteratorIjlEEPS9_SG_NS0_5tupleIJPjSI_NS0_16reverse_iteratorISI_EEEEENSH_IJSG_SG_SG_EEES9_SI_JZNS1_25segmented_radix_sort_implINS0_14default_configELb0EPKhPhPKlPlN2at6native12_GLOBAL__N_18offset_tEEE10hipError_tPvRmT1_PNSt15iterator_traitsIS12_E10value_typeET2_T3_PNS13_IS18_E10value_typeET4_jRbjT5_S1E_jjP12ihipStream_tbEUljE_ZNSN_ISO_Lb0ESQ_SR_ST_SU_SY_EESZ_S10_S11_S12_S16_S17_S18_S1B_S1C_jS1D_jS1E_S1E_jjS1G_bEUljE0_EEESZ_S10_S11_S18_S1C_S1E_T6_T7_T9_mT8_S1G_bDpT10_ENKUlT_T0_E_clISt17integral_constantIbLb1EES1T_IbLb0EEEEDaS1P_S1Q_EUlS1P_E_NS1_11comp_targetILNS1_3genE10ELNS1_11target_archE1200ELNS1_3gpuE4ELNS1_3repE0EEENS1_30default_config_static_selectorELNS0_4arch9wavefront6targetE0EEEvS12_.num_agpr, 0
	.set _ZN7rocprim17ROCPRIM_400000_NS6detail17trampoline_kernelINS0_13select_configILj256ELj13ELNS0_17block_load_methodE3ELS4_3ELS4_3ELNS0_20block_scan_algorithmE0ELj4294967295EEENS1_25partition_config_selectorILNS1_17partition_subalgoE4EjNS0_10empty_typeEbEEZZNS1_14partition_implILS8_4ELb0ES6_15HIP_vector_typeIjLj2EENS0_17counting_iteratorIjlEEPS9_SG_NS0_5tupleIJPjSI_NS0_16reverse_iteratorISI_EEEEENSH_IJSG_SG_SG_EEES9_SI_JZNS1_25segmented_radix_sort_implINS0_14default_configELb0EPKhPhPKlPlN2at6native12_GLOBAL__N_18offset_tEEE10hipError_tPvRmT1_PNSt15iterator_traitsIS12_E10value_typeET2_T3_PNS13_IS18_E10value_typeET4_jRbjT5_S1E_jjP12ihipStream_tbEUljE_ZNSN_ISO_Lb0ESQ_SR_ST_SU_SY_EESZ_S10_S11_S12_S16_S17_S18_S1B_S1C_jS1D_jS1E_S1E_jjS1G_bEUljE0_EEESZ_S10_S11_S18_S1C_S1E_T6_T7_T9_mT8_S1G_bDpT10_ENKUlT_T0_E_clISt17integral_constantIbLb1EES1T_IbLb0EEEEDaS1P_S1Q_EUlS1P_E_NS1_11comp_targetILNS1_3genE10ELNS1_11target_archE1200ELNS1_3gpuE4ELNS1_3repE0EEENS1_30default_config_static_selectorELNS0_4arch9wavefront6targetE0EEEvS12_.numbered_sgpr, 0
	.set _ZN7rocprim17ROCPRIM_400000_NS6detail17trampoline_kernelINS0_13select_configILj256ELj13ELNS0_17block_load_methodE3ELS4_3ELS4_3ELNS0_20block_scan_algorithmE0ELj4294967295EEENS1_25partition_config_selectorILNS1_17partition_subalgoE4EjNS0_10empty_typeEbEEZZNS1_14partition_implILS8_4ELb0ES6_15HIP_vector_typeIjLj2EENS0_17counting_iteratorIjlEEPS9_SG_NS0_5tupleIJPjSI_NS0_16reverse_iteratorISI_EEEEENSH_IJSG_SG_SG_EEES9_SI_JZNS1_25segmented_radix_sort_implINS0_14default_configELb0EPKhPhPKlPlN2at6native12_GLOBAL__N_18offset_tEEE10hipError_tPvRmT1_PNSt15iterator_traitsIS12_E10value_typeET2_T3_PNS13_IS18_E10value_typeET4_jRbjT5_S1E_jjP12ihipStream_tbEUljE_ZNSN_ISO_Lb0ESQ_SR_ST_SU_SY_EESZ_S10_S11_S12_S16_S17_S18_S1B_S1C_jS1D_jS1E_S1E_jjS1G_bEUljE0_EEESZ_S10_S11_S18_S1C_S1E_T6_T7_T9_mT8_S1G_bDpT10_ENKUlT_T0_E_clISt17integral_constantIbLb1EES1T_IbLb0EEEEDaS1P_S1Q_EUlS1P_E_NS1_11comp_targetILNS1_3genE10ELNS1_11target_archE1200ELNS1_3gpuE4ELNS1_3repE0EEENS1_30default_config_static_selectorELNS0_4arch9wavefront6targetE0EEEvS12_.num_named_barrier, 0
	.set _ZN7rocprim17ROCPRIM_400000_NS6detail17trampoline_kernelINS0_13select_configILj256ELj13ELNS0_17block_load_methodE3ELS4_3ELS4_3ELNS0_20block_scan_algorithmE0ELj4294967295EEENS1_25partition_config_selectorILNS1_17partition_subalgoE4EjNS0_10empty_typeEbEEZZNS1_14partition_implILS8_4ELb0ES6_15HIP_vector_typeIjLj2EENS0_17counting_iteratorIjlEEPS9_SG_NS0_5tupleIJPjSI_NS0_16reverse_iteratorISI_EEEEENSH_IJSG_SG_SG_EEES9_SI_JZNS1_25segmented_radix_sort_implINS0_14default_configELb0EPKhPhPKlPlN2at6native12_GLOBAL__N_18offset_tEEE10hipError_tPvRmT1_PNSt15iterator_traitsIS12_E10value_typeET2_T3_PNS13_IS18_E10value_typeET4_jRbjT5_S1E_jjP12ihipStream_tbEUljE_ZNSN_ISO_Lb0ESQ_SR_ST_SU_SY_EESZ_S10_S11_S12_S16_S17_S18_S1B_S1C_jS1D_jS1E_S1E_jjS1G_bEUljE0_EEESZ_S10_S11_S18_S1C_S1E_T6_T7_T9_mT8_S1G_bDpT10_ENKUlT_T0_E_clISt17integral_constantIbLb1EES1T_IbLb0EEEEDaS1P_S1Q_EUlS1P_E_NS1_11comp_targetILNS1_3genE10ELNS1_11target_archE1200ELNS1_3gpuE4ELNS1_3repE0EEENS1_30default_config_static_selectorELNS0_4arch9wavefront6targetE0EEEvS12_.private_seg_size, 0
	.set _ZN7rocprim17ROCPRIM_400000_NS6detail17trampoline_kernelINS0_13select_configILj256ELj13ELNS0_17block_load_methodE3ELS4_3ELS4_3ELNS0_20block_scan_algorithmE0ELj4294967295EEENS1_25partition_config_selectorILNS1_17partition_subalgoE4EjNS0_10empty_typeEbEEZZNS1_14partition_implILS8_4ELb0ES6_15HIP_vector_typeIjLj2EENS0_17counting_iteratorIjlEEPS9_SG_NS0_5tupleIJPjSI_NS0_16reverse_iteratorISI_EEEEENSH_IJSG_SG_SG_EEES9_SI_JZNS1_25segmented_radix_sort_implINS0_14default_configELb0EPKhPhPKlPlN2at6native12_GLOBAL__N_18offset_tEEE10hipError_tPvRmT1_PNSt15iterator_traitsIS12_E10value_typeET2_T3_PNS13_IS18_E10value_typeET4_jRbjT5_S1E_jjP12ihipStream_tbEUljE_ZNSN_ISO_Lb0ESQ_SR_ST_SU_SY_EESZ_S10_S11_S12_S16_S17_S18_S1B_S1C_jS1D_jS1E_S1E_jjS1G_bEUljE0_EEESZ_S10_S11_S18_S1C_S1E_T6_T7_T9_mT8_S1G_bDpT10_ENKUlT_T0_E_clISt17integral_constantIbLb1EES1T_IbLb0EEEEDaS1P_S1Q_EUlS1P_E_NS1_11comp_targetILNS1_3genE10ELNS1_11target_archE1200ELNS1_3gpuE4ELNS1_3repE0EEENS1_30default_config_static_selectorELNS0_4arch9wavefront6targetE0EEEvS12_.uses_vcc, 0
	.set _ZN7rocprim17ROCPRIM_400000_NS6detail17trampoline_kernelINS0_13select_configILj256ELj13ELNS0_17block_load_methodE3ELS4_3ELS4_3ELNS0_20block_scan_algorithmE0ELj4294967295EEENS1_25partition_config_selectorILNS1_17partition_subalgoE4EjNS0_10empty_typeEbEEZZNS1_14partition_implILS8_4ELb0ES6_15HIP_vector_typeIjLj2EENS0_17counting_iteratorIjlEEPS9_SG_NS0_5tupleIJPjSI_NS0_16reverse_iteratorISI_EEEEENSH_IJSG_SG_SG_EEES9_SI_JZNS1_25segmented_radix_sort_implINS0_14default_configELb0EPKhPhPKlPlN2at6native12_GLOBAL__N_18offset_tEEE10hipError_tPvRmT1_PNSt15iterator_traitsIS12_E10value_typeET2_T3_PNS13_IS18_E10value_typeET4_jRbjT5_S1E_jjP12ihipStream_tbEUljE_ZNSN_ISO_Lb0ESQ_SR_ST_SU_SY_EESZ_S10_S11_S12_S16_S17_S18_S1B_S1C_jS1D_jS1E_S1E_jjS1G_bEUljE0_EEESZ_S10_S11_S18_S1C_S1E_T6_T7_T9_mT8_S1G_bDpT10_ENKUlT_T0_E_clISt17integral_constantIbLb1EES1T_IbLb0EEEEDaS1P_S1Q_EUlS1P_E_NS1_11comp_targetILNS1_3genE10ELNS1_11target_archE1200ELNS1_3gpuE4ELNS1_3repE0EEENS1_30default_config_static_selectorELNS0_4arch9wavefront6targetE0EEEvS12_.uses_flat_scratch, 0
	.set _ZN7rocprim17ROCPRIM_400000_NS6detail17trampoline_kernelINS0_13select_configILj256ELj13ELNS0_17block_load_methodE3ELS4_3ELS4_3ELNS0_20block_scan_algorithmE0ELj4294967295EEENS1_25partition_config_selectorILNS1_17partition_subalgoE4EjNS0_10empty_typeEbEEZZNS1_14partition_implILS8_4ELb0ES6_15HIP_vector_typeIjLj2EENS0_17counting_iteratorIjlEEPS9_SG_NS0_5tupleIJPjSI_NS0_16reverse_iteratorISI_EEEEENSH_IJSG_SG_SG_EEES9_SI_JZNS1_25segmented_radix_sort_implINS0_14default_configELb0EPKhPhPKlPlN2at6native12_GLOBAL__N_18offset_tEEE10hipError_tPvRmT1_PNSt15iterator_traitsIS12_E10value_typeET2_T3_PNS13_IS18_E10value_typeET4_jRbjT5_S1E_jjP12ihipStream_tbEUljE_ZNSN_ISO_Lb0ESQ_SR_ST_SU_SY_EESZ_S10_S11_S12_S16_S17_S18_S1B_S1C_jS1D_jS1E_S1E_jjS1G_bEUljE0_EEESZ_S10_S11_S18_S1C_S1E_T6_T7_T9_mT8_S1G_bDpT10_ENKUlT_T0_E_clISt17integral_constantIbLb1EES1T_IbLb0EEEEDaS1P_S1Q_EUlS1P_E_NS1_11comp_targetILNS1_3genE10ELNS1_11target_archE1200ELNS1_3gpuE4ELNS1_3repE0EEENS1_30default_config_static_selectorELNS0_4arch9wavefront6targetE0EEEvS12_.has_dyn_sized_stack, 0
	.set _ZN7rocprim17ROCPRIM_400000_NS6detail17trampoline_kernelINS0_13select_configILj256ELj13ELNS0_17block_load_methodE3ELS4_3ELS4_3ELNS0_20block_scan_algorithmE0ELj4294967295EEENS1_25partition_config_selectorILNS1_17partition_subalgoE4EjNS0_10empty_typeEbEEZZNS1_14partition_implILS8_4ELb0ES6_15HIP_vector_typeIjLj2EENS0_17counting_iteratorIjlEEPS9_SG_NS0_5tupleIJPjSI_NS0_16reverse_iteratorISI_EEEEENSH_IJSG_SG_SG_EEES9_SI_JZNS1_25segmented_radix_sort_implINS0_14default_configELb0EPKhPhPKlPlN2at6native12_GLOBAL__N_18offset_tEEE10hipError_tPvRmT1_PNSt15iterator_traitsIS12_E10value_typeET2_T3_PNS13_IS18_E10value_typeET4_jRbjT5_S1E_jjP12ihipStream_tbEUljE_ZNSN_ISO_Lb0ESQ_SR_ST_SU_SY_EESZ_S10_S11_S12_S16_S17_S18_S1B_S1C_jS1D_jS1E_S1E_jjS1G_bEUljE0_EEESZ_S10_S11_S18_S1C_S1E_T6_T7_T9_mT8_S1G_bDpT10_ENKUlT_T0_E_clISt17integral_constantIbLb1EES1T_IbLb0EEEEDaS1P_S1Q_EUlS1P_E_NS1_11comp_targetILNS1_3genE10ELNS1_11target_archE1200ELNS1_3gpuE4ELNS1_3repE0EEENS1_30default_config_static_selectorELNS0_4arch9wavefront6targetE0EEEvS12_.has_recursion, 0
	.set _ZN7rocprim17ROCPRIM_400000_NS6detail17trampoline_kernelINS0_13select_configILj256ELj13ELNS0_17block_load_methodE3ELS4_3ELS4_3ELNS0_20block_scan_algorithmE0ELj4294967295EEENS1_25partition_config_selectorILNS1_17partition_subalgoE4EjNS0_10empty_typeEbEEZZNS1_14partition_implILS8_4ELb0ES6_15HIP_vector_typeIjLj2EENS0_17counting_iteratorIjlEEPS9_SG_NS0_5tupleIJPjSI_NS0_16reverse_iteratorISI_EEEEENSH_IJSG_SG_SG_EEES9_SI_JZNS1_25segmented_radix_sort_implINS0_14default_configELb0EPKhPhPKlPlN2at6native12_GLOBAL__N_18offset_tEEE10hipError_tPvRmT1_PNSt15iterator_traitsIS12_E10value_typeET2_T3_PNS13_IS18_E10value_typeET4_jRbjT5_S1E_jjP12ihipStream_tbEUljE_ZNSN_ISO_Lb0ESQ_SR_ST_SU_SY_EESZ_S10_S11_S12_S16_S17_S18_S1B_S1C_jS1D_jS1E_S1E_jjS1G_bEUljE0_EEESZ_S10_S11_S18_S1C_S1E_T6_T7_T9_mT8_S1G_bDpT10_ENKUlT_T0_E_clISt17integral_constantIbLb1EES1T_IbLb0EEEEDaS1P_S1Q_EUlS1P_E_NS1_11comp_targetILNS1_3genE10ELNS1_11target_archE1200ELNS1_3gpuE4ELNS1_3repE0EEENS1_30default_config_static_selectorELNS0_4arch9wavefront6targetE0EEEvS12_.has_indirect_call, 0
	.section	.AMDGPU.csdata,"",@progbits
; Kernel info:
; codeLenInByte = 4
; TotalNumSgprs: 0
; NumVgprs: 0
; ScratchSize: 0
; MemoryBound: 0
; FloatMode: 240
; IeeeMode: 1
; LDSByteSize: 0 bytes/workgroup (compile time only)
; SGPRBlocks: 0
; VGPRBlocks: 0
; NumSGPRsForWavesPerEU: 1
; NumVGPRsForWavesPerEU: 1
; Occupancy: 16
; WaveLimiterHint : 0
; COMPUTE_PGM_RSRC2:SCRATCH_EN: 0
; COMPUTE_PGM_RSRC2:USER_SGPR: 2
; COMPUTE_PGM_RSRC2:TRAP_HANDLER: 0
; COMPUTE_PGM_RSRC2:TGID_X_EN: 1
; COMPUTE_PGM_RSRC2:TGID_Y_EN: 0
; COMPUTE_PGM_RSRC2:TGID_Z_EN: 0
; COMPUTE_PGM_RSRC2:TIDIG_COMP_CNT: 0
	.section	.text._ZN7rocprim17ROCPRIM_400000_NS6detail17trampoline_kernelINS0_13select_configILj256ELj13ELNS0_17block_load_methodE3ELS4_3ELS4_3ELNS0_20block_scan_algorithmE0ELj4294967295EEENS1_25partition_config_selectorILNS1_17partition_subalgoE4EjNS0_10empty_typeEbEEZZNS1_14partition_implILS8_4ELb0ES6_15HIP_vector_typeIjLj2EENS0_17counting_iteratorIjlEEPS9_SG_NS0_5tupleIJPjSI_NS0_16reverse_iteratorISI_EEEEENSH_IJSG_SG_SG_EEES9_SI_JZNS1_25segmented_radix_sort_implINS0_14default_configELb0EPKhPhPKlPlN2at6native12_GLOBAL__N_18offset_tEEE10hipError_tPvRmT1_PNSt15iterator_traitsIS12_E10value_typeET2_T3_PNS13_IS18_E10value_typeET4_jRbjT5_S1E_jjP12ihipStream_tbEUljE_ZNSN_ISO_Lb0ESQ_SR_ST_SU_SY_EESZ_S10_S11_S12_S16_S17_S18_S1B_S1C_jS1D_jS1E_S1E_jjS1G_bEUljE0_EEESZ_S10_S11_S18_S1C_S1E_T6_T7_T9_mT8_S1G_bDpT10_ENKUlT_T0_E_clISt17integral_constantIbLb1EES1T_IbLb0EEEEDaS1P_S1Q_EUlS1P_E_NS1_11comp_targetILNS1_3genE9ELNS1_11target_archE1100ELNS1_3gpuE3ELNS1_3repE0EEENS1_30default_config_static_selectorELNS0_4arch9wavefront6targetE0EEEvS12_,"axG",@progbits,_ZN7rocprim17ROCPRIM_400000_NS6detail17trampoline_kernelINS0_13select_configILj256ELj13ELNS0_17block_load_methodE3ELS4_3ELS4_3ELNS0_20block_scan_algorithmE0ELj4294967295EEENS1_25partition_config_selectorILNS1_17partition_subalgoE4EjNS0_10empty_typeEbEEZZNS1_14partition_implILS8_4ELb0ES6_15HIP_vector_typeIjLj2EENS0_17counting_iteratorIjlEEPS9_SG_NS0_5tupleIJPjSI_NS0_16reverse_iteratorISI_EEEEENSH_IJSG_SG_SG_EEES9_SI_JZNS1_25segmented_radix_sort_implINS0_14default_configELb0EPKhPhPKlPlN2at6native12_GLOBAL__N_18offset_tEEE10hipError_tPvRmT1_PNSt15iterator_traitsIS12_E10value_typeET2_T3_PNS13_IS18_E10value_typeET4_jRbjT5_S1E_jjP12ihipStream_tbEUljE_ZNSN_ISO_Lb0ESQ_SR_ST_SU_SY_EESZ_S10_S11_S12_S16_S17_S18_S1B_S1C_jS1D_jS1E_S1E_jjS1G_bEUljE0_EEESZ_S10_S11_S18_S1C_S1E_T6_T7_T9_mT8_S1G_bDpT10_ENKUlT_T0_E_clISt17integral_constantIbLb1EES1T_IbLb0EEEEDaS1P_S1Q_EUlS1P_E_NS1_11comp_targetILNS1_3genE9ELNS1_11target_archE1100ELNS1_3gpuE3ELNS1_3repE0EEENS1_30default_config_static_selectorELNS0_4arch9wavefront6targetE0EEEvS12_,comdat
	.globl	_ZN7rocprim17ROCPRIM_400000_NS6detail17trampoline_kernelINS0_13select_configILj256ELj13ELNS0_17block_load_methodE3ELS4_3ELS4_3ELNS0_20block_scan_algorithmE0ELj4294967295EEENS1_25partition_config_selectorILNS1_17partition_subalgoE4EjNS0_10empty_typeEbEEZZNS1_14partition_implILS8_4ELb0ES6_15HIP_vector_typeIjLj2EENS0_17counting_iteratorIjlEEPS9_SG_NS0_5tupleIJPjSI_NS0_16reverse_iteratorISI_EEEEENSH_IJSG_SG_SG_EEES9_SI_JZNS1_25segmented_radix_sort_implINS0_14default_configELb0EPKhPhPKlPlN2at6native12_GLOBAL__N_18offset_tEEE10hipError_tPvRmT1_PNSt15iterator_traitsIS12_E10value_typeET2_T3_PNS13_IS18_E10value_typeET4_jRbjT5_S1E_jjP12ihipStream_tbEUljE_ZNSN_ISO_Lb0ESQ_SR_ST_SU_SY_EESZ_S10_S11_S12_S16_S17_S18_S1B_S1C_jS1D_jS1E_S1E_jjS1G_bEUljE0_EEESZ_S10_S11_S18_S1C_S1E_T6_T7_T9_mT8_S1G_bDpT10_ENKUlT_T0_E_clISt17integral_constantIbLb1EES1T_IbLb0EEEEDaS1P_S1Q_EUlS1P_E_NS1_11comp_targetILNS1_3genE9ELNS1_11target_archE1100ELNS1_3gpuE3ELNS1_3repE0EEENS1_30default_config_static_selectorELNS0_4arch9wavefront6targetE0EEEvS12_ ; -- Begin function _ZN7rocprim17ROCPRIM_400000_NS6detail17trampoline_kernelINS0_13select_configILj256ELj13ELNS0_17block_load_methodE3ELS4_3ELS4_3ELNS0_20block_scan_algorithmE0ELj4294967295EEENS1_25partition_config_selectorILNS1_17partition_subalgoE4EjNS0_10empty_typeEbEEZZNS1_14partition_implILS8_4ELb0ES6_15HIP_vector_typeIjLj2EENS0_17counting_iteratorIjlEEPS9_SG_NS0_5tupleIJPjSI_NS0_16reverse_iteratorISI_EEEEENSH_IJSG_SG_SG_EEES9_SI_JZNS1_25segmented_radix_sort_implINS0_14default_configELb0EPKhPhPKlPlN2at6native12_GLOBAL__N_18offset_tEEE10hipError_tPvRmT1_PNSt15iterator_traitsIS12_E10value_typeET2_T3_PNS13_IS18_E10value_typeET4_jRbjT5_S1E_jjP12ihipStream_tbEUljE_ZNSN_ISO_Lb0ESQ_SR_ST_SU_SY_EESZ_S10_S11_S12_S16_S17_S18_S1B_S1C_jS1D_jS1E_S1E_jjS1G_bEUljE0_EEESZ_S10_S11_S18_S1C_S1E_T6_T7_T9_mT8_S1G_bDpT10_ENKUlT_T0_E_clISt17integral_constantIbLb1EES1T_IbLb0EEEEDaS1P_S1Q_EUlS1P_E_NS1_11comp_targetILNS1_3genE9ELNS1_11target_archE1100ELNS1_3gpuE3ELNS1_3repE0EEENS1_30default_config_static_selectorELNS0_4arch9wavefront6targetE0EEEvS12_
	.p2align	8
	.type	_ZN7rocprim17ROCPRIM_400000_NS6detail17trampoline_kernelINS0_13select_configILj256ELj13ELNS0_17block_load_methodE3ELS4_3ELS4_3ELNS0_20block_scan_algorithmE0ELj4294967295EEENS1_25partition_config_selectorILNS1_17partition_subalgoE4EjNS0_10empty_typeEbEEZZNS1_14partition_implILS8_4ELb0ES6_15HIP_vector_typeIjLj2EENS0_17counting_iteratorIjlEEPS9_SG_NS0_5tupleIJPjSI_NS0_16reverse_iteratorISI_EEEEENSH_IJSG_SG_SG_EEES9_SI_JZNS1_25segmented_radix_sort_implINS0_14default_configELb0EPKhPhPKlPlN2at6native12_GLOBAL__N_18offset_tEEE10hipError_tPvRmT1_PNSt15iterator_traitsIS12_E10value_typeET2_T3_PNS13_IS18_E10value_typeET4_jRbjT5_S1E_jjP12ihipStream_tbEUljE_ZNSN_ISO_Lb0ESQ_SR_ST_SU_SY_EESZ_S10_S11_S12_S16_S17_S18_S1B_S1C_jS1D_jS1E_S1E_jjS1G_bEUljE0_EEESZ_S10_S11_S18_S1C_S1E_T6_T7_T9_mT8_S1G_bDpT10_ENKUlT_T0_E_clISt17integral_constantIbLb1EES1T_IbLb0EEEEDaS1P_S1Q_EUlS1P_E_NS1_11comp_targetILNS1_3genE9ELNS1_11target_archE1100ELNS1_3gpuE3ELNS1_3repE0EEENS1_30default_config_static_selectorELNS0_4arch9wavefront6targetE0EEEvS12_,@function
_ZN7rocprim17ROCPRIM_400000_NS6detail17trampoline_kernelINS0_13select_configILj256ELj13ELNS0_17block_load_methodE3ELS4_3ELS4_3ELNS0_20block_scan_algorithmE0ELj4294967295EEENS1_25partition_config_selectorILNS1_17partition_subalgoE4EjNS0_10empty_typeEbEEZZNS1_14partition_implILS8_4ELb0ES6_15HIP_vector_typeIjLj2EENS0_17counting_iteratorIjlEEPS9_SG_NS0_5tupleIJPjSI_NS0_16reverse_iteratorISI_EEEEENSH_IJSG_SG_SG_EEES9_SI_JZNS1_25segmented_radix_sort_implINS0_14default_configELb0EPKhPhPKlPlN2at6native12_GLOBAL__N_18offset_tEEE10hipError_tPvRmT1_PNSt15iterator_traitsIS12_E10value_typeET2_T3_PNS13_IS18_E10value_typeET4_jRbjT5_S1E_jjP12ihipStream_tbEUljE_ZNSN_ISO_Lb0ESQ_SR_ST_SU_SY_EESZ_S10_S11_S12_S16_S17_S18_S1B_S1C_jS1D_jS1E_S1E_jjS1G_bEUljE0_EEESZ_S10_S11_S18_S1C_S1E_T6_T7_T9_mT8_S1G_bDpT10_ENKUlT_T0_E_clISt17integral_constantIbLb1EES1T_IbLb0EEEEDaS1P_S1Q_EUlS1P_E_NS1_11comp_targetILNS1_3genE9ELNS1_11target_archE1100ELNS1_3gpuE3ELNS1_3repE0EEENS1_30default_config_static_selectorELNS0_4arch9wavefront6targetE0EEEvS12_: ; @_ZN7rocprim17ROCPRIM_400000_NS6detail17trampoline_kernelINS0_13select_configILj256ELj13ELNS0_17block_load_methodE3ELS4_3ELS4_3ELNS0_20block_scan_algorithmE0ELj4294967295EEENS1_25partition_config_selectorILNS1_17partition_subalgoE4EjNS0_10empty_typeEbEEZZNS1_14partition_implILS8_4ELb0ES6_15HIP_vector_typeIjLj2EENS0_17counting_iteratorIjlEEPS9_SG_NS0_5tupleIJPjSI_NS0_16reverse_iteratorISI_EEEEENSH_IJSG_SG_SG_EEES9_SI_JZNS1_25segmented_radix_sort_implINS0_14default_configELb0EPKhPhPKlPlN2at6native12_GLOBAL__N_18offset_tEEE10hipError_tPvRmT1_PNSt15iterator_traitsIS12_E10value_typeET2_T3_PNS13_IS18_E10value_typeET4_jRbjT5_S1E_jjP12ihipStream_tbEUljE_ZNSN_ISO_Lb0ESQ_SR_ST_SU_SY_EESZ_S10_S11_S12_S16_S17_S18_S1B_S1C_jS1D_jS1E_S1E_jjS1G_bEUljE0_EEESZ_S10_S11_S18_S1C_S1E_T6_T7_T9_mT8_S1G_bDpT10_ENKUlT_T0_E_clISt17integral_constantIbLb1EES1T_IbLb0EEEEDaS1P_S1Q_EUlS1P_E_NS1_11comp_targetILNS1_3genE9ELNS1_11target_archE1100ELNS1_3gpuE3ELNS1_3repE0EEENS1_30default_config_static_selectorELNS0_4arch9wavefront6targetE0EEEvS12_
; %bb.0:
	.section	.rodata,"a",@progbits
	.p2align	6, 0x0
	.amdhsa_kernel _ZN7rocprim17ROCPRIM_400000_NS6detail17trampoline_kernelINS0_13select_configILj256ELj13ELNS0_17block_load_methodE3ELS4_3ELS4_3ELNS0_20block_scan_algorithmE0ELj4294967295EEENS1_25partition_config_selectorILNS1_17partition_subalgoE4EjNS0_10empty_typeEbEEZZNS1_14partition_implILS8_4ELb0ES6_15HIP_vector_typeIjLj2EENS0_17counting_iteratorIjlEEPS9_SG_NS0_5tupleIJPjSI_NS0_16reverse_iteratorISI_EEEEENSH_IJSG_SG_SG_EEES9_SI_JZNS1_25segmented_radix_sort_implINS0_14default_configELb0EPKhPhPKlPlN2at6native12_GLOBAL__N_18offset_tEEE10hipError_tPvRmT1_PNSt15iterator_traitsIS12_E10value_typeET2_T3_PNS13_IS18_E10value_typeET4_jRbjT5_S1E_jjP12ihipStream_tbEUljE_ZNSN_ISO_Lb0ESQ_SR_ST_SU_SY_EESZ_S10_S11_S12_S16_S17_S18_S1B_S1C_jS1D_jS1E_S1E_jjS1G_bEUljE0_EEESZ_S10_S11_S18_S1C_S1E_T6_T7_T9_mT8_S1G_bDpT10_ENKUlT_T0_E_clISt17integral_constantIbLb1EES1T_IbLb0EEEEDaS1P_S1Q_EUlS1P_E_NS1_11comp_targetILNS1_3genE9ELNS1_11target_archE1100ELNS1_3gpuE3ELNS1_3repE0EEENS1_30default_config_static_selectorELNS0_4arch9wavefront6targetE0EEEvS12_
		.amdhsa_group_segment_fixed_size 0
		.amdhsa_private_segment_fixed_size 0
		.amdhsa_kernarg_size 176
		.amdhsa_user_sgpr_count 2
		.amdhsa_user_sgpr_dispatch_ptr 0
		.amdhsa_user_sgpr_queue_ptr 0
		.amdhsa_user_sgpr_kernarg_segment_ptr 1
		.amdhsa_user_sgpr_dispatch_id 0
		.amdhsa_user_sgpr_private_segment_size 0
		.amdhsa_wavefront_size32 1
		.amdhsa_uses_dynamic_stack 0
		.amdhsa_enable_private_segment 0
		.amdhsa_system_sgpr_workgroup_id_x 1
		.amdhsa_system_sgpr_workgroup_id_y 0
		.amdhsa_system_sgpr_workgroup_id_z 0
		.amdhsa_system_sgpr_workgroup_info 0
		.amdhsa_system_vgpr_workitem_id 0
		.amdhsa_next_free_vgpr 1
		.amdhsa_next_free_sgpr 1
		.amdhsa_reserve_vcc 0
		.amdhsa_float_round_mode_32 0
		.amdhsa_float_round_mode_16_64 0
		.amdhsa_float_denorm_mode_32 3
		.amdhsa_float_denorm_mode_16_64 3
		.amdhsa_fp16_overflow 0
		.amdhsa_workgroup_processor_mode 1
		.amdhsa_memory_ordered 1
		.amdhsa_forward_progress 1
		.amdhsa_inst_pref_size 0
		.amdhsa_round_robin_scheduling 0
		.amdhsa_exception_fp_ieee_invalid_op 0
		.amdhsa_exception_fp_denorm_src 0
		.amdhsa_exception_fp_ieee_div_zero 0
		.amdhsa_exception_fp_ieee_overflow 0
		.amdhsa_exception_fp_ieee_underflow 0
		.amdhsa_exception_fp_ieee_inexact 0
		.amdhsa_exception_int_div_zero 0
	.end_amdhsa_kernel
	.section	.text._ZN7rocprim17ROCPRIM_400000_NS6detail17trampoline_kernelINS0_13select_configILj256ELj13ELNS0_17block_load_methodE3ELS4_3ELS4_3ELNS0_20block_scan_algorithmE0ELj4294967295EEENS1_25partition_config_selectorILNS1_17partition_subalgoE4EjNS0_10empty_typeEbEEZZNS1_14partition_implILS8_4ELb0ES6_15HIP_vector_typeIjLj2EENS0_17counting_iteratorIjlEEPS9_SG_NS0_5tupleIJPjSI_NS0_16reverse_iteratorISI_EEEEENSH_IJSG_SG_SG_EEES9_SI_JZNS1_25segmented_radix_sort_implINS0_14default_configELb0EPKhPhPKlPlN2at6native12_GLOBAL__N_18offset_tEEE10hipError_tPvRmT1_PNSt15iterator_traitsIS12_E10value_typeET2_T3_PNS13_IS18_E10value_typeET4_jRbjT5_S1E_jjP12ihipStream_tbEUljE_ZNSN_ISO_Lb0ESQ_SR_ST_SU_SY_EESZ_S10_S11_S12_S16_S17_S18_S1B_S1C_jS1D_jS1E_S1E_jjS1G_bEUljE0_EEESZ_S10_S11_S18_S1C_S1E_T6_T7_T9_mT8_S1G_bDpT10_ENKUlT_T0_E_clISt17integral_constantIbLb1EES1T_IbLb0EEEEDaS1P_S1Q_EUlS1P_E_NS1_11comp_targetILNS1_3genE9ELNS1_11target_archE1100ELNS1_3gpuE3ELNS1_3repE0EEENS1_30default_config_static_selectorELNS0_4arch9wavefront6targetE0EEEvS12_,"axG",@progbits,_ZN7rocprim17ROCPRIM_400000_NS6detail17trampoline_kernelINS0_13select_configILj256ELj13ELNS0_17block_load_methodE3ELS4_3ELS4_3ELNS0_20block_scan_algorithmE0ELj4294967295EEENS1_25partition_config_selectorILNS1_17partition_subalgoE4EjNS0_10empty_typeEbEEZZNS1_14partition_implILS8_4ELb0ES6_15HIP_vector_typeIjLj2EENS0_17counting_iteratorIjlEEPS9_SG_NS0_5tupleIJPjSI_NS0_16reverse_iteratorISI_EEEEENSH_IJSG_SG_SG_EEES9_SI_JZNS1_25segmented_radix_sort_implINS0_14default_configELb0EPKhPhPKlPlN2at6native12_GLOBAL__N_18offset_tEEE10hipError_tPvRmT1_PNSt15iterator_traitsIS12_E10value_typeET2_T3_PNS13_IS18_E10value_typeET4_jRbjT5_S1E_jjP12ihipStream_tbEUljE_ZNSN_ISO_Lb0ESQ_SR_ST_SU_SY_EESZ_S10_S11_S12_S16_S17_S18_S1B_S1C_jS1D_jS1E_S1E_jjS1G_bEUljE0_EEESZ_S10_S11_S18_S1C_S1E_T6_T7_T9_mT8_S1G_bDpT10_ENKUlT_T0_E_clISt17integral_constantIbLb1EES1T_IbLb0EEEEDaS1P_S1Q_EUlS1P_E_NS1_11comp_targetILNS1_3genE9ELNS1_11target_archE1100ELNS1_3gpuE3ELNS1_3repE0EEENS1_30default_config_static_selectorELNS0_4arch9wavefront6targetE0EEEvS12_,comdat
.Lfunc_end144:
	.size	_ZN7rocprim17ROCPRIM_400000_NS6detail17trampoline_kernelINS0_13select_configILj256ELj13ELNS0_17block_load_methodE3ELS4_3ELS4_3ELNS0_20block_scan_algorithmE0ELj4294967295EEENS1_25partition_config_selectorILNS1_17partition_subalgoE4EjNS0_10empty_typeEbEEZZNS1_14partition_implILS8_4ELb0ES6_15HIP_vector_typeIjLj2EENS0_17counting_iteratorIjlEEPS9_SG_NS0_5tupleIJPjSI_NS0_16reverse_iteratorISI_EEEEENSH_IJSG_SG_SG_EEES9_SI_JZNS1_25segmented_radix_sort_implINS0_14default_configELb0EPKhPhPKlPlN2at6native12_GLOBAL__N_18offset_tEEE10hipError_tPvRmT1_PNSt15iterator_traitsIS12_E10value_typeET2_T3_PNS13_IS18_E10value_typeET4_jRbjT5_S1E_jjP12ihipStream_tbEUljE_ZNSN_ISO_Lb0ESQ_SR_ST_SU_SY_EESZ_S10_S11_S12_S16_S17_S18_S1B_S1C_jS1D_jS1E_S1E_jjS1G_bEUljE0_EEESZ_S10_S11_S18_S1C_S1E_T6_T7_T9_mT8_S1G_bDpT10_ENKUlT_T0_E_clISt17integral_constantIbLb1EES1T_IbLb0EEEEDaS1P_S1Q_EUlS1P_E_NS1_11comp_targetILNS1_3genE9ELNS1_11target_archE1100ELNS1_3gpuE3ELNS1_3repE0EEENS1_30default_config_static_selectorELNS0_4arch9wavefront6targetE0EEEvS12_, .Lfunc_end144-_ZN7rocprim17ROCPRIM_400000_NS6detail17trampoline_kernelINS0_13select_configILj256ELj13ELNS0_17block_load_methodE3ELS4_3ELS4_3ELNS0_20block_scan_algorithmE0ELj4294967295EEENS1_25partition_config_selectorILNS1_17partition_subalgoE4EjNS0_10empty_typeEbEEZZNS1_14partition_implILS8_4ELb0ES6_15HIP_vector_typeIjLj2EENS0_17counting_iteratorIjlEEPS9_SG_NS0_5tupleIJPjSI_NS0_16reverse_iteratorISI_EEEEENSH_IJSG_SG_SG_EEES9_SI_JZNS1_25segmented_radix_sort_implINS0_14default_configELb0EPKhPhPKlPlN2at6native12_GLOBAL__N_18offset_tEEE10hipError_tPvRmT1_PNSt15iterator_traitsIS12_E10value_typeET2_T3_PNS13_IS18_E10value_typeET4_jRbjT5_S1E_jjP12ihipStream_tbEUljE_ZNSN_ISO_Lb0ESQ_SR_ST_SU_SY_EESZ_S10_S11_S12_S16_S17_S18_S1B_S1C_jS1D_jS1E_S1E_jjS1G_bEUljE0_EEESZ_S10_S11_S18_S1C_S1E_T6_T7_T9_mT8_S1G_bDpT10_ENKUlT_T0_E_clISt17integral_constantIbLb1EES1T_IbLb0EEEEDaS1P_S1Q_EUlS1P_E_NS1_11comp_targetILNS1_3genE9ELNS1_11target_archE1100ELNS1_3gpuE3ELNS1_3repE0EEENS1_30default_config_static_selectorELNS0_4arch9wavefront6targetE0EEEvS12_
                                        ; -- End function
	.set _ZN7rocprim17ROCPRIM_400000_NS6detail17trampoline_kernelINS0_13select_configILj256ELj13ELNS0_17block_load_methodE3ELS4_3ELS4_3ELNS0_20block_scan_algorithmE0ELj4294967295EEENS1_25partition_config_selectorILNS1_17partition_subalgoE4EjNS0_10empty_typeEbEEZZNS1_14partition_implILS8_4ELb0ES6_15HIP_vector_typeIjLj2EENS0_17counting_iteratorIjlEEPS9_SG_NS0_5tupleIJPjSI_NS0_16reverse_iteratorISI_EEEEENSH_IJSG_SG_SG_EEES9_SI_JZNS1_25segmented_radix_sort_implINS0_14default_configELb0EPKhPhPKlPlN2at6native12_GLOBAL__N_18offset_tEEE10hipError_tPvRmT1_PNSt15iterator_traitsIS12_E10value_typeET2_T3_PNS13_IS18_E10value_typeET4_jRbjT5_S1E_jjP12ihipStream_tbEUljE_ZNSN_ISO_Lb0ESQ_SR_ST_SU_SY_EESZ_S10_S11_S12_S16_S17_S18_S1B_S1C_jS1D_jS1E_S1E_jjS1G_bEUljE0_EEESZ_S10_S11_S18_S1C_S1E_T6_T7_T9_mT8_S1G_bDpT10_ENKUlT_T0_E_clISt17integral_constantIbLb1EES1T_IbLb0EEEEDaS1P_S1Q_EUlS1P_E_NS1_11comp_targetILNS1_3genE9ELNS1_11target_archE1100ELNS1_3gpuE3ELNS1_3repE0EEENS1_30default_config_static_selectorELNS0_4arch9wavefront6targetE0EEEvS12_.num_vgpr, 0
	.set _ZN7rocprim17ROCPRIM_400000_NS6detail17trampoline_kernelINS0_13select_configILj256ELj13ELNS0_17block_load_methodE3ELS4_3ELS4_3ELNS0_20block_scan_algorithmE0ELj4294967295EEENS1_25partition_config_selectorILNS1_17partition_subalgoE4EjNS0_10empty_typeEbEEZZNS1_14partition_implILS8_4ELb0ES6_15HIP_vector_typeIjLj2EENS0_17counting_iteratorIjlEEPS9_SG_NS0_5tupleIJPjSI_NS0_16reverse_iteratorISI_EEEEENSH_IJSG_SG_SG_EEES9_SI_JZNS1_25segmented_radix_sort_implINS0_14default_configELb0EPKhPhPKlPlN2at6native12_GLOBAL__N_18offset_tEEE10hipError_tPvRmT1_PNSt15iterator_traitsIS12_E10value_typeET2_T3_PNS13_IS18_E10value_typeET4_jRbjT5_S1E_jjP12ihipStream_tbEUljE_ZNSN_ISO_Lb0ESQ_SR_ST_SU_SY_EESZ_S10_S11_S12_S16_S17_S18_S1B_S1C_jS1D_jS1E_S1E_jjS1G_bEUljE0_EEESZ_S10_S11_S18_S1C_S1E_T6_T7_T9_mT8_S1G_bDpT10_ENKUlT_T0_E_clISt17integral_constantIbLb1EES1T_IbLb0EEEEDaS1P_S1Q_EUlS1P_E_NS1_11comp_targetILNS1_3genE9ELNS1_11target_archE1100ELNS1_3gpuE3ELNS1_3repE0EEENS1_30default_config_static_selectorELNS0_4arch9wavefront6targetE0EEEvS12_.num_agpr, 0
	.set _ZN7rocprim17ROCPRIM_400000_NS6detail17trampoline_kernelINS0_13select_configILj256ELj13ELNS0_17block_load_methodE3ELS4_3ELS4_3ELNS0_20block_scan_algorithmE0ELj4294967295EEENS1_25partition_config_selectorILNS1_17partition_subalgoE4EjNS0_10empty_typeEbEEZZNS1_14partition_implILS8_4ELb0ES6_15HIP_vector_typeIjLj2EENS0_17counting_iteratorIjlEEPS9_SG_NS0_5tupleIJPjSI_NS0_16reverse_iteratorISI_EEEEENSH_IJSG_SG_SG_EEES9_SI_JZNS1_25segmented_radix_sort_implINS0_14default_configELb0EPKhPhPKlPlN2at6native12_GLOBAL__N_18offset_tEEE10hipError_tPvRmT1_PNSt15iterator_traitsIS12_E10value_typeET2_T3_PNS13_IS18_E10value_typeET4_jRbjT5_S1E_jjP12ihipStream_tbEUljE_ZNSN_ISO_Lb0ESQ_SR_ST_SU_SY_EESZ_S10_S11_S12_S16_S17_S18_S1B_S1C_jS1D_jS1E_S1E_jjS1G_bEUljE0_EEESZ_S10_S11_S18_S1C_S1E_T6_T7_T9_mT8_S1G_bDpT10_ENKUlT_T0_E_clISt17integral_constantIbLb1EES1T_IbLb0EEEEDaS1P_S1Q_EUlS1P_E_NS1_11comp_targetILNS1_3genE9ELNS1_11target_archE1100ELNS1_3gpuE3ELNS1_3repE0EEENS1_30default_config_static_selectorELNS0_4arch9wavefront6targetE0EEEvS12_.numbered_sgpr, 0
	.set _ZN7rocprim17ROCPRIM_400000_NS6detail17trampoline_kernelINS0_13select_configILj256ELj13ELNS0_17block_load_methodE3ELS4_3ELS4_3ELNS0_20block_scan_algorithmE0ELj4294967295EEENS1_25partition_config_selectorILNS1_17partition_subalgoE4EjNS0_10empty_typeEbEEZZNS1_14partition_implILS8_4ELb0ES6_15HIP_vector_typeIjLj2EENS0_17counting_iteratorIjlEEPS9_SG_NS0_5tupleIJPjSI_NS0_16reverse_iteratorISI_EEEEENSH_IJSG_SG_SG_EEES9_SI_JZNS1_25segmented_radix_sort_implINS0_14default_configELb0EPKhPhPKlPlN2at6native12_GLOBAL__N_18offset_tEEE10hipError_tPvRmT1_PNSt15iterator_traitsIS12_E10value_typeET2_T3_PNS13_IS18_E10value_typeET4_jRbjT5_S1E_jjP12ihipStream_tbEUljE_ZNSN_ISO_Lb0ESQ_SR_ST_SU_SY_EESZ_S10_S11_S12_S16_S17_S18_S1B_S1C_jS1D_jS1E_S1E_jjS1G_bEUljE0_EEESZ_S10_S11_S18_S1C_S1E_T6_T7_T9_mT8_S1G_bDpT10_ENKUlT_T0_E_clISt17integral_constantIbLb1EES1T_IbLb0EEEEDaS1P_S1Q_EUlS1P_E_NS1_11comp_targetILNS1_3genE9ELNS1_11target_archE1100ELNS1_3gpuE3ELNS1_3repE0EEENS1_30default_config_static_selectorELNS0_4arch9wavefront6targetE0EEEvS12_.num_named_barrier, 0
	.set _ZN7rocprim17ROCPRIM_400000_NS6detail17trampoline_kernelINS0_13select_configILj256ELj13ELNS0_17block_load_methodE3ELS4_3ELS4_3ELNS0_20block_scan_algorithmE0ELj4294967295EEENS1_25partition_config_selectorILNS1_17partition_subalgoE4EjNS0_10empty_typeEbEEZZNS1_14partition_implILS8_4ELb0ES6_15HIP_vector_typeIjLj2EENS0_17counting_iteratorIjlEEPS9_SG_NS0_5tupleIJPjSI_NS0_16reverse_iteratorISI_EEEEENSH_IJSG_SG_SG_EEES9_SI_JZNS1_25segmented_radix_sort_implINS0_14default_configELb0EPKhPhPKlPlN2at6native12_GLOBAL__N_18offset_tEEE10hipError_tPvRmT1_PNSt15iterator_traitsIS12_E10value_typeET2_T3_PNS13_IS18_E10value_typeET4_jRbjT5_S1E_jjP12ihipStream_tbEUljE_ZNSN_ISO_Lb0ESQ_SR_ST_SU_SY_EESZ_S10_S11_S12_S16_S17_S18_S1B_S1C_jS1D_jS1E_S1E_jjS1G_bEUljE0_EEESZ_S10_S11_S18_S1C_S1E_T6_T7_T9_mT8_S1G_bDpT10_ENKUlT_T0_E_clISt17integral_constantIbLb1EES1T_IbLb0EEEEDaS1P_S1Q_EUlS1P_E_NS1_11comp_targetILNS1_3genE9ELNS1_11target_archE1100ELNS1_3gpuE3ELNS1_3repE0EEENS1_30default_config_static_selectorELNS0_4arch9wavefront6targetE0EEEvS12_.private_seg_size, 0
	.set _ZN7rocprim17ROCPRIM_400000_NS6detail17trampoline_kernelINS0_13select_configILj256ELj13ELNS0_17block_load_methodE3ELS4_3ELS4_3ELNS0_20block_scan_algorithmE0ELj4294967295EEENS1_25partition_config_selectorILNS1_17partition_subalgoE4EjNS0_10empty_typeEbEEZZNS1_14partition_implILS8_4ELb0ES6_15HIP_vector_typeIjLj2EENS0_17counting_iteratorIjlEEPS9_SG_NS0_5tupleIJPjSI_NS0_16reverse_iteratorISI_EEEEENSH_IJSG_SG_SG_EEES9_SI_JZNS1_25segmented_radix_sort_implINS0_14default_configELb0EPKhPhPKlPlN2at6native12_GLOBAL__N_18offset_tEEE10hipError_tPvRmT1_PNSt15iterator_traitsIS12_E10value_typeET2_T3_PNS13_IS18_E10value_typeET4_jRbjT5_S1E_jjP12ihipStream_tbEUljE_ZNSN_ISO_Lb0ESQ_SR_ST_SU_SY_EESZ_S10_S11_S12_S16_S17_S18_S1B_S1C_jS1D_jS1E_S1E_jjS1G_bEUljE0_EEESZ_S10_S11_S18_S1C_S1E_T6_T7_T9_mT8_S1G_bDpT10_ENKUlT_T0_E_clISt17integral_constantIbLb1EES1T_IbLb0EEEEDaS1P_S1Q_EUlS1P_E_NS1_11comp_targetILNS1_3genE9ELNS1_11target_archE1100ELNS1_3gpuE3ELNS1_3repE0EEENS1_30default_config_static_selectorELNS0_4arch9wavefront6targetE0EEEvS12_.uses_vcc, 0
	.set _ZN7rocprim17ROCPRIM_400000_NS6detail17trampoline_kernelINS0_13select_configILj256ELj13ELNS0_17block_load_methodE3ELS4_3ELS4_3ELNS0_20block_scan_algorithmE0ELj4294967295EEENS1_25partition_config_selectorILNS1_17partition_subalgoE4EjNS0_10empty_typeEbEEZZNS1_14partition_implILS8_4ELb0ES6_15HIP_vector_typeIjLj2EENS0_17counting_iteratorIjlEEPS9_SG_NS0_5tupleIJPjSI_NS0_16reverse_iteratorISI_EEEEENSH_IJSG_SG_SG_EEES9_SI_JZNS1_25segmented_radix_sort_implINS0_14default_configELb0EPKhPhPKlPlN2at6native12_GLOBAL__N_18offset_tEEE10hipError_tPvRmT1_PNSt15iterator_traitsIS12_E10value_typeET2_T3_PNS13_IS18_E10value_typeET4_jRbjT5_S1E_jjP12ihipStream_tbEUljE_ZNSN_ISO_Lb0ESQ_SR_ST_SU_SY_EESZ_S10_S11_S12_S16_S17_S18_S1B_S1C_jS1D_jS1E_S1E_jjS1G_bEUljE0_EEESZ_S10_S11_S18_S1C_S1E_T6_T7_T9_mT8_S1G_bDpT10_ENKUlT_T0_E_clISt17integral_constantIbLb1EES1T_IbLb0EEEEDaS1P_S1Q_EUlS1P_E_NS1_11comp_targetILNS1_3genE9ELNS1_11target_archE1100ELNS1_3gpuE3ELNS1_3repE0EEENS1_30default_config_static_selectorELNS0_4arch9wavefront6targetE0EEEvS12_.uses_flat_scratch, 0
	.set _ZN7rocprim17ROCPRIM_400000_NS6detail17trampoline_kernelINS0_13select_configILj256ELj13ELNS0_17block_load_methodE3ELS4_3ELS4_3ELNS0_20block_scan_algorithmE0ELj4294967295EEENS1_25partition_config_selectorILNS1_17partition_subalgoE4EjNS0_10empty_typeEbEEZZNS1_14partition_implILS8_4ELb0ES6_15HIP_vector_typeIjLj2EENS0_17counting_iteratorIjlEEPS9_SG_NS0_5tupleIJPjSI_NS0_16reverse_iteratorISI_EEEEENSH_IJSG_SG_SG_EEES9_SI_JZNS1_25segmented_radix_sort_implINS0_14default_configELb0EPKhPhPKlPlN2at6native12_GLOBAL__N_18offset_tEEE10hipError_tPvRmT1_PNSt15iterator_traitsIS12_E10value_typeET2_T3_PNS13_IS18_E10value_typeET4_jRbjT5_S1E_jjP12ihipStream_tbEUljE_ZNSN_ISO_Lb0ESQ_SR_ST_SU_SY_EESZ_S10_S11_S12_S16_S17_S18_S1B_S1C_jS1D_jS1E_S1E_jjS1G_bEUljE0_EEESZ_S10_S11_S18_S1C_S1E_T6_T7_T9_mT8_S1G_bDpT10_ENKUlT_T0_E_clISt17integral_constantIbLb1EES1T_IbLb0EEEEDaS1P_S1Q_EUlS1P_E_NS1_11comp_targetILNS1_3genE9ELNS1_11target_archE1100ELNS1_3gpuE3ELNS1_3repE0EEENS1_30default_config_static_selectorELNS0_4arch9wavefront6targetE0EEEvS12_.has_dyn_sized_stack, 0
	.set _ZN7rocprim17ROCPRIM_400000_NS6detail17trampoline_kernelINS0_13select_configILj256ELj13ELNS0_17block_load_methodE3ELS4_3ELS4_3ELNS0_20block_scan_algorithmE0ELj4294967295EEENS1_25partition_config_selectorILNS1_17partition_subalgoE4EjNS0_10empty_typeEbEEZZNS1_14partition_implILS8_4ELb0ES6_15HIP_vector_typeIjLj2EENS0_17counting_iteratorIjlEEPS9_SG_NS0_5tupleIJPjSI_NS0_16reverse_iteratorISI_EEEEENSH_IJSG_SG_SG_EEES9_SI_JZNS1_25segmented_radix_sort_implINS0_14default_configELb0EPKhPhPKlPlN2at6native12_GLOBAL__N_18offset_tEEE10hipError_tPvRmT1_PNSt15iterator_traitsIS12_E10value_typeET2_T3_PNS13_IS18_E10value_typeET4_jRbjT5_S1E_jjP12ihipStream_tbEUljE_ZNSN_ISO_Lb0ESQ_SR_ST_SU_SY_EESZ_S10_S11_S12_S16_S17_S18_S1B_S1C_jS1D_jS1E_S1E_jjS1G_bEUljE0_EEESZ_S10_S11_S18_S1C_S1E_T6_T7_T9_mT8_S1G_bDpT10_ENKUlT_T0_E_clISt17integral_constantIbLb1EES1T_IbLb0EEEEDaS1P_S1Q_EUlS1P_E_NS1_11comp_targetILNS1_3genE9ELNS1_11target_archE1100ELNS1_3gpuE3ELNS1_3repE0EEENS1_30default_config_static_selectorELNS0_4arch9wavefront6targetE0EEEvS12_.has_recursion, 0
	.set _ZN7rocprim17ROCPRIM_400000_NS6detail17trampoline_kernelINS0_13select_configILj256ELj13ELNS0_17block_load_methodE3ELS4_3ELS4_3ELNS0_20block_scan_algorithmE0ELj4294967295EEENS1_25partition_config_selectorILNS1_17partition_subalgoE4EjNS0_10empty_typeEbEEZZNS1_14partition_implILS8_4ELb0ES6_15HIP_vector_typeIjLj2EENS0_17counting_iteratorIjlEEPS9_SG_NS0_5tupleIJPjSI_NS0_16reverse_iteratorISI_EEEEENSH_IJSG_SG_SG_EEES9_SI_JZNS1_25segmented_radix_sort_implINS0_14default_configELb0EPKhPhPKlPlN2at6native12_GLOBAL__N_18offset_tEEE10hipError_tPvRmT1_PNSt15iterator_traitsIS12_E10value_typeET2_T3_PNS13_IS18_E10value_typeET4_jRbjT5_S1E_jjP12ihipStream_tbEUljE_ZNSN_ISO_Lb0ESQ_SR_ST_SU_SY_EESZ_S10_S11_S12_S16_S17_S18_S1B_S1C_jS1D_jS1E_S1E_jjS1G_bEUljE0_EEESZ_S10_S11_S18_S1C_S1E_T6_T7_T9_mT8_S1G_bDpT10_ENKUlT_T0_E_clISt17integral_constantIbLb1EES1T_IbLb0EEEEDaS1P_S1Q_EUlS1P_E_NS1_11comp_targetILNS1_3genE9ELNS1_11target_archE1100ELNS1_3gpuE3ELNS1_3repE0EEENS1_30default_config_static_selectorELNS0_4arch9wavefront6targetE0EEEvS12_.has_indirect_call, 0
	.section	.AMDGPU.csdata,"",@progbits
; Kernel info:
; codeLenInByte = 0
; TotalNumSgprs: 0
; NumVgprs: 0
; ScratchSize: 0
; MemoryBound: 0
; FloatMode: 240
; IeeeMode: 1
; LDSByteSize: 0 bytes/workgroup (compile time only)
; SGPRBlocks: 0
; VGPRBlocks: 0
; NumSGPRsForWavesPerEU: 1
; NumVGPRsForWavesPerEU: 1
; Occupancy: 16
; WaveLimiterHint : 0
; COMPUTE_PGM_RSRC2:SCRATCH_EN: 0
; COMPUTE_PGM_RSRC2:USER_SGPR: 2
; COMPUTE_PGM_RSRC2:TRAP_HANDLER: 0
; COMPUTE_PGM_RSRC2:TGID_X_EN: 1
; COMPUTE_PGM_RSRC2:TGID_Y_EN: 0
; COMPUTE_PGM_RSRC2:TGID_Z_EN: 0
; COMPUTE_PGM_RSRC2:TIDIG_COMP_CNT: 0
	.section	.text._ZN7rocprim17ROCPRIM_400000_NS6detail17trampoline_kernelINS0_13select_configILj256ELj13ELNS0_17block_load_methodE3ELS4_3ELS4_3ELNS0_20block_scan_algorithmE0ELj4294967295EEENS1_25partition_config_selectorILNS1_17partition_subalgoE4EjNS0_10empty_typeEbEEZZNS1_14partition_implILS8_4ELb0ES6_15HIP_vector_typeIjLj2EENS0_17counting_iteratorIjlEEPS9_SG_NS0_5tupleIJPjSI_NS0_16reverse_iteratorISI_EEEEENSH_IJSG_SG_SG_EEES9_SI_JZNS1_25segmented_radix_sort_implINS0_14default_configELb0EPKhPhPKlPlN2at6native12_GLOBAL__N_18offset_tEEE10hipError_tPvRmT1_PNSt15iterator_traitsIS12_E10value_typeET2_T3_PNS13_IS18_E10value_typeET4_jRbjT5_S1E_jjP12ihipStream_tbEUljE_ZNSN_ISO_Lb0ESQ_SR_ST_SU_SY_EESZ_S10_S11_S12_S16_S17_S18_S1B_S1C_jS1D_jS1E_S1E_jjS1G_bEUljE0_EEESZ_S10_S11_S18_S1C_S1E_T6_T7_T9_mT8_S1G_bDpT10_ENKUlT_T0_E_clISt17integral_constantIbLb1EES1T_IbLb0EEEEDaS1P_S1Q_EUlS1P_E_NS1_11comp_targetILNS1_3genE8ELNS1_11target_archE1030ELNS1_3gpuE2ELNS1_3repE0EEENS1_30default_config_static_selectorELNS0_4arch9wavefront6targetE0EEEvS12_,"axG",@progbits,_ZN7rocprim17ROCPRIM_400000_NS6detail17trampoline_kernelINS0_13select_configILj256ELj13ELNS0_17block_load_methodE3ELS4_3ELS4_3ELNS0_20block_scan_algorithmE0ELj4294967295EEENS1_25partition_config_selectorILNS1_17partition_subalgoE4EjNS0_10empty_typeEbEEZZNS1_14partition_implILS8_4ELb0ES6_15HIP_vector_typeIjLj2EENS0_17counting_iteratorIjlEEPS9_SG_NS0_5tupleIJPjSI_NS0_16reverse_iteratorISI_EEEEENSH_IJSG_SG_SG_EEES9_SI_JZNS1_25segmented_radix_sort_implINS0_14default_configELb0EPKhPhPKlPlN2at6native12_GLOBAL__N_18offset_tEEE10hipError_tPvRmT1_PNSt15iterator_traitsIS12_E10value_typeET2_T3_PNS13_IS18_E10value_typeET4_jRbjT5_S1E_jjP12ihipStream_tbEUljE_ZNSN_ISO_Lb0ESQ_SR_ST_SU_SY_EESZ_S10_S11_S12_S16_S17_S18_S1B_S1C_jS1D_jS1E_S1E_jjS1G_bEUljE0_EEESZ_S10_S11_S18_S1C_S1E_T6_T7_T9_mT8_S1G_bDpT10_ENKUlT_T0_E_clISt17integral_constantIbLb1EES1T_IbLb0EEEEDaS1P_S1Q_EUlS1P_E_NS1_11comp_targetILNS1_3genE8ELNS1_11target_archE1030ELNS1_3gpuE2ELNS1_3repE0EEENS1_30default_config_static_selectorELNS0_4arch9wavefront6targetE0EEEvS12_,comdat
	.globl	_ZN7rocprim17ROCPRIM_400000_NS6detail17trampoline_kernelINS0_13select_configILj256ELj13ELNS0_17block_load_methodE3ELS4_3ELS4_3ELNS0_20block_scan_algorithmE0ELj4294967295EEENS1_25partition_config_selectorILNS1_17partition_subalgoE4EjNS0_10empty_typeEbEEZZNS1_14partition_implILS8_4ELb0ES6_15HIP_vector_typeIjLj2EENS0_17counting_iteratorIjlEEPS9_SG_NS0_5tupleIJPjSI_NS0_16reverse_iteratorISI_EEEEENSH_IJSG_SG_SG_EEES9_SI_JZNS1_25segmented_radix_sort_implINS0_14default_configELb0EPKhPhPKlPlN2at6native12_GLOBAL__N_18offset_tEEE10hipError_tPvRmT1_PNSt15iterator_traitsIS12_E10value_typeET2_T3_PNS13_IS18_E10value_typeET4_jRbjT5_S1E_jjP12ihipStream_tbEUljE_ZNSN_ISO_Lb0ESQ_SR_ST_SU_SY_EESZ_S10_S11_S12_S16_S17_S18_S1B_S1C_jS1D_jS1E_S1E_jjS1G_bEUljE0_EEESZ_S10_S11_S18_S1C_S1E_T6_T7_T9_mT8_S1G_bDpT10_ENKUlT_T0_E_clISt17integral_constantIbLb1EES1T_IbLb0EEEEDaS1P_S1Q_EUlS1P_E_NS1_11comp_targetILNS1_3genE8ELNS1_11target_archE1030ELNS1_3gpuE2ELNS1_3repE0EEENS1_30default_config_static_selectorELNS0_4arch9wavefront6targetE0EEEvS12_ ; -- Begin function _ZN7rocprim17ROCPRIM_400000_NS6detail17trampoline_kernelINS0_13select_configILj256ELj13ELNS0_17block_load_methodE3ELS4_3ELS4_3ELNS0_20block_scan_algorithmE0ELj4294967295EEENS1_25partition_config_selectorILNS1_17partition_subalgoE4EjNS0_10empty_typeEbEEZZNS1_14partition_implILS8_4ELb0ES6_15HIP_vector_typeIjLj2EENS0_17counting_iteratorIjlEEPS9_SG_NS0_5tupleIJPjSI_NS0_16reverse_iteratorISI_EEEEENSH_IJSG_SG_SG_EEES9_SI_JZNS1_25segmented_radix_sort_implINS0_14default_configELb0EPKhPhPKlPlN2at6native12_GLOBAL__N_18offset_tEEE10hipError_tPvRmT1_PNSt15iterator_traitsIS12_E10value_typeET2_T3_PNS13_IS18_E10value_typeET4_jRbjT5_S1E_jjP12ihipStream_tbEUljE_ZNSN_ISO_Lb0ESQ_SR_ST_SU_SY_EESZ_S10_S11_S12_S16_S17_S18_S1B_S1C_jS1D_jS1E_S1E_jjS1G_bEUljE0_EEESZ_S10_S11_S18_S1C_S1E_T6_T7_T9_mT8_S1G_bDpT10_ENKUlT_T0_E_clISt17integral_constantIbLb1EES1T_IbLb0EEEEDaS1P_S1Q_EUlS1P_E_NS1_11comp_targetILNS1_3genE8ELNS1_11target_archE1030ELNS1_3gpuE2ELNS1_3repE0EEENS1_30default_config_static_selectorELNS0_4arch9wavefront6targetE0EEEvS12_
	.p2align	8
	.type	_ZN7rocprim17ROCPRIM_400000_NS6detail17trampoline_kernelINS0_13select_configILj256ELj13ELNS0_17block_load_methodE3ELS4_3ELS4_3ELNS0_20block_scan_algorithmE0ELj4294967295EEENS1_25partition_config_selectorILNS1_17partition_subalgoE4EjNS0_10empty_typeEbEEZZNS1_14partition_implILS8_4ELb0ES6_15HIP_vector_typeIjLj2EENS0_17counting_iteratorIjlEEPS9_SG_NS0_5tupleIJPjSI_NS0_16reverse_iteratorISI_EEEEENSH_IJSG_SG_SG_EEES9_SI_JZNS1_25segmented_radix_sort_implINS0_14default_configELb0EPKhPhPKlPlN2at6native12_GLOBAL__N_18offset_tEEE10hipError_tPvRmT1_PNSt15iterator_traitsIS12_E10value_typeET2_T3_PNS13_IS18_E10value_typeET4_jRbjT5_S1E_jjP12ihipStream_tbEUljE_ZNSN_ISO_Lb0ESQ_SR_ST_SU_SY_EESZ_S10_S11_S12_S16_S17_S18_S1B_S1C_jS1D_jS1E_S1E_jjS1G_bEUljE0_EEESZ_S10_S11_S18_S1C_S1E_T6_T7_T9_mT8_S1G_bDpT10_ENKUlT_T0_E_clISt17integral_constantIbLb1EES1T_IbLb0EEEEDaS1P_S1Q_EUlS1P_E_NS1_11comp_targetILNS1_3genE8ELNS1_11target_archE1030ELNS1_3gpuE2ELNS1_3repE0EEENS1_30default_config_static_selectorELNS0_4arch9wavefront6targetE0EEEvS12_,@function
_ZN7rocprim17ROCPRIM_400000_NS6detail17trampoline_kernelINS0_13select_configILj256ELj13ELNS0_17block_load_methodE3ELS4_3ELS4_3ELNS0_20block_scan_algorithmE0ELj4294967295EEENS1_25partition_config_selectorILNS1_17partition_subalgoE4EjNS0_10empty_typeEbEEZZNS1_14partition_implILS8_4ELb0ES6_15HIP_vector_typeIjLj2EENS0_17counting_iteratorIjlEEPS9_SG_NS0_5tupleIJPjSI_NS0_16reverse_iteratorISI_EEEEENSH_IJSG_SG_SG_EEES9_SI_JZNS1_25segmented_radix_sort_implINS0_14default_configELb0EPKhPhPKlPlN2at6native12_GLOBAL__N_18offset_tEEE10hipError_tPvRmT1_PNSt15iterator_traitsIS12_E10value_typeET2_T3_PNS13_IS18_E10value_typeET4_jRbjT5_S1E_jjP12ihipStream_tbEUljE_ZNSN_ISO_Lb0ESQ_SR_ST_SU_SY_EESZ_S10_S11_S12_S16_S17_S18_S1B_S1C_jS1D_jS1E_S1E_jjS1G_bEUljE0_EEESZ_S10_S11_S18_S1C_S1E_T6_T7_T9_mT8_S1G_bDpT10_ENKUlT_T0_E_clISt17integral_constantIbLb1EES1T_IbLb0EEEEDaS1P_S1Q_EUlS1P_E_NS1_11comp_targetILNS1_3genE8ELNS1_11target_archE1030ELNS1_3gpuE2ELNS1_3repE0EEENS1_30default_config_static_selectorELNS0_4arch9wavefront6targetE0EEEvS12_: ; @_ZN7rocprim17ROCPRIM_400000_NS6detail17trampoline_kernelINS0_13select_configILj256ELj13ELNS0_17block_load_methodE3ELS4_3ELS4_3ELNS0_20block_scan_algorithmE0ELj4294967295EEENS1_25partition_config_selectorILNS1_17partition_subalgoE4EjNS0_10empty_typeEbEEZZNS1_14partition_implILS8_4ELb0ES6_15HIP_vector_typeIjLj2EENS0_17counting_iteratorIjlEEPS9_SG_NS0_5tupleIJPjSI_NS0_16reverse_iteratorISI_EEEEENSH_IJSG_SG_SG_EEES9_SI_JZNS1_25segmented_radix_sort_implINS0_14default_configELb0EPKhPhPKlPlN2at6native12_GLOBAL__N_18offset_tEEE10hipError_tPvRmT1_PNSt15iterator_traitsIS12_E10value_typeET2_T3_PNS13_IS18_E10value_typeET4_jRbjT5_S1E_jjP12ihipStream_tbEUljE_ZNSN_ISO_Lb0ESQ_SR_ST_SU_SY_EESZ_S10_S11_S12_S16_S17_S18_S1B_S1C_jS1D_jS1E_S1E_jjS1G_bEUljE0_EEESZ_S10_S11_S18_S1C_S1E_T6_T7_T9_mT8_S1G_bDpT10_ENKUlT_T0_E_clISt17integral_constantIbLb1EES1T_IbLb0EEEEDaS1P_S1Q_EUlS1P_E_NS1_11comp_targetILNS1_3genE8ELNS1_11target_archE1030ELNS1_3gpuE2ELNS1_3repE0EEENS1_30default_config_static_selectorELNS0_4arch9wavefront6targetE0EEEvS12_
; %bb.0:
	.section	.rodata,"a",@progbits
	.p2align	6, 0x0
	.amdhsa_kernel _ZN7rocprim17ROCPRIM_400000_NS6detail17trampoline_kernelINS0_13select_configILj256ELj13ELNS0_17block_load_methodE3ELS4_3ELS4_3ELNS0_20block_scan_algorithmE0ELj4294967295EEENS1_25partition_config_selectorILNS1_17partition_subalgoE4EjNS0_10empty_typeEbEEZZNS1_14partition_implILS8_4ELb0ES6_15HIP_vector_typeIjLj2EENS0_17counting_iteratorIjlEEPS9_SG_NS0_5tupleIJPjSI_NS0_16reverse_iteratorISI_EEEEENSH_IJSG_SG_SG_EEES9_SI_JZNS1_25segmented_radix_sort_implINS0_14default_configELb0EPKhPhPKlPlN2at6native12_GLOBAL__N_18offset_tEEE10hipError_tPvRmT1_PNSt15iterator_traitsIS12_E10value_typeET2_T3_PNS13_IS18_E10value_typeET4_jRbjT5_S1E_jjP12ihipStream_tbEUljE_ZNSN_ISO_Lb0ESQ_SR_ST_SU_SY_EESZ_S10_S11_S12_S16_S17_S18_S1B_S1C_jS1D_jS1E_S1E_jjS1G_bEUljE0_EEESZ_S10_S11_S18_S1C_S1E_T6_T7_T9_mT8_S1G_bDpT10_ENKUlT_T0_E_clISt17integral_constantIbLb1EES1T_IbLb0EEEEDaS1P_S1Q_EUlS1P_E_NS1_11comp_targetILNS1_3genE8ELNS1_11target_archE1030ELNS1_3gpuE2ELNS1_3repE0EEENS1_30default_config_static_selectorELNS0_4arch9wavefront6targetE0EEEvS12_
		.amdhsa_group_segment_fixed_size 0
		.amdhsa_private_segment_fixed_size 0
		.amdhsa_kernarg_size 176
		.amdhsa_user_sgpr_count 2
		.amdhsa_user_sgpr_dispatch_ptr 0
		.amdhsa_user_sgpr_queue_ptr 0
		.amdhsa_user_sgpr_kernarg_segment_ptr 1
		.amdhsa_user_sgpr_dispatch_id 0
		.amdhsa_user_sgpr_private_segment_size 0
		.amdhsa_wavefront_size32 1
		.amdhsa_uses_dynamic_stack 0
		.amdhsa_enable_private_segment 0
		.amdhsa_system_sgpr_workgroup_id_x 1
		.amdhsa_system_sgpr_workgroup_id_y 0
		.amdhsa_system_sgpr_workgroup_id_z 0
		.amdhsa_system_sgpr_workgroup_info 0
		.amdhsa_system_vgpr_workitem_id 0
		.amdhsa_next_free_vgpr 1
		.amdhsa_next_free_sgpr 1
		.amdhsa_reserve_vcc 0
		.amdhsa_float_round_mode_32 0
		.amdhsa_float_round_mode_16_64 0
		.amdhsa_float_denorm_mode_32 3
		.amdhsa_float_denorm_mode_16_64 3
		.amdhsa_fp16_overflow 0
		.amdhsa_workgroup_processor_mode 1
		.amdhsa_memory_ordered 1
		.amdhsa_forward_progress 1
		.amdhsa_inst_pref_size 0
		.amdhsa_round_robin_scheduling 0
		.amdhsa_exception_fp_ieee_invalid_op 0
		.amdhsa_exception_fp_denorm_src 0
		.amdhsa_exception_fp_ieee_div_zero 0
		.amdhsa_exception_fp_ieee_overflow 0
		.amdhsa_exception_fp_ieee_underflow 0
		.amdhsa_exception_fp_ieee_inexact 0
		.amdhsa_exception_int_div_zero 0
	.end_amdhsa_kernel
	.section	.text._ZN7rocprim17ROCPRIM_400000_NS6detail17trampoline_kernelINS0_13select_configILj256ELj13ELNS0_17block_load_methodE3ELS4_3ELS4_3ELNS0_20block_scan_algorithmE0ELj4294967295EEENS1_25partition_config_selectorILNS1_17partition_subalgoE4EjNS0_10empty_typeEbEEZZNS1_14partition_implILS8_4ELb0ES6_15HIP_vector_typeIjLj2EENS0_17counting_iteratorIjlEEPS9_SG_NS0_5tupleIJPjSI_NS0_16reverse_iteratorISI_EEEEENSH_IJSG_SG_SG_EEES9_SI_JZNS1_25segmented_radix_sort_implINS0_14default_configELb0EPKhPhPKlPlN2at6native12_GLOBAL__N_18offset_tEEE10hipError_tPvRmT1_PNSt15iterator_traitsIS12_E10value_typeET2_T3_PNS13_IS18_E10value_typeET4_jRbjT5_S1E_jjP12ihipStream_tbEUljE_ZNSN_ISO_Lb0ESQ_SR_ST_SU_SY_EESZ_S10_S11_S12_S16_S17_S18_S1B_S1C_jS1D_jS1E_S1E_jjS1G_bEUljE0_EEESZ_S10_S11_S18_S1C_S1E_T6_T7_T9_mT8_S1G_bDpT10_ENKUlT_T0_E_clISt17integral_constantIbLb1EES1T_IbLb0EEEEDaS1P_S1Q_EUlS1P_E_NS1_11comp_targetILNS1_3genE8ELNS1_11target_archE1030ELNS1_3gpuE2ELNS1_3repE0EEENS1_30default_config_static_selectorELNS0_4arch9wavefront6targetE0EEEvS12_,"axG",@progbits,_ZN7rocprim17ROCPRIM_400000_NS6detail17trampoline_kernelINS0_13select_configILj256ELj13ELNS0_17block_load_methodE3ELS4_3ELS4_3ELNS0_20block_scan_algorithmE0ELj4294967295EEENS1_25partition_config_selectorILNS1_17partition_subalgoE4EjNS0_10empty_typeEbEEZZNS1_14partition_implILS8_4ELb0ES6_15HIP_vector_typeIjLj2EENS0_17counting_iteratorIjlEEPS9_SG_NS0_5tupleIJPjSI_NS0_16reverse_iteratorISI_EEEEENSH_IJSG_SG_SG_EEES9_SI_JZNS1_25segmented_radix_sort_implINS0_14default_configELb0EPKhPhPKlPlN2at6native12_GLOBAL__N_18offset_tEEE10hipError_tPvRmT1_PNSt15iterator_traitsIS12_E10value_typeET2_T3_PNS13_IS18_E10value_typeET4_jRbjT5_S1E_jjP12ihipStream_tbEUljE_ZNSN_ISO_Lb0ESQ_SR_ST_SU_SY_EESZ_S10_S11_S12_S16_S17_S18_S1B_S1C_jS1D_jS1E_S1E_jjS1G_bEUljE0_EEESZ_S10_S11_S18_S1C_S1E_T6_T7_T9_mT8_S1G_bDpT10_ENKUlT_T0_E_clISt17integral_constantIbLb1EES1T_IbLb0EEEEDaS1P_S1Q_EUlS1P_E_NS1_11comp_targetILNS1_3genE8ELNS1_11target_archE1030ELNS1_3gpuE2ELNS1_3repE0EEENS1_30default_config_static_selectorELNS0_4arch9wavefront6targetE0EEEvS12_,comdat
.Lfunc_end145:
	.size	_ZN7rocprim17ROCPRIM_400000_NS6detail17trampoline_kernelINS0_13select_configILj256ELj13ELNS0_17block_load_methodE3ELS4_3ELS4_3ELNS0_20block_scan_algorithmE0ELj4294967295EEENS1_25partition_config_selectorILNS1_17partition_subalgoE4EjNS0_10empty_typeEbEEZZNS1_14partition_implILS8_4ELb0ES6_15HIP_vector_typeIjLj2EENS0_17counting_iteratorIjlEEPS9_SG_NS0_5tupleIJPjSI_NS0_16reverse_iteratorISI_EEEEENSH_IJSG_SG_SG_EEES9_SI_JZNS1_25segmented_radix_sort_implINS0_14default_configELb0EPKhPhPKlPlN2at6native12_GLOBAL__N_18offset_tEEE10hipError_tPvRmT1_PNSt15iterator_traitsIS12_E10value_typeET2_T3_PNS13_IS18_E10value_typeET4_jRbjT5_S1E_jjP12ihipStream_tbEUljE_ZNSN_ISO_Lb0ESQ_SR_ST_SU_SY_EESZ_S10_S11_S12_S16_S17_S18_S1B_S1C_jS1D_jS1E_S1E_jjS1G_bEUljE0_EEESZ_S10_S11_S18_S1C_S1E_T6_T7_T9_mT8_S1G_bDpT10_ENKUlT_T0_E_clISt17integral_constantIbLb1EES1T_IbLb0EEEEDaS1P_S1Q_EUlS1P_E_NS1_11comp_targetILNS1_3genE8ELNS1_11target_archE1030ELNS1_3gpuE2ELNS1_3repE0EEENS1_30default_config_static_selectorELNS0_4arch9wavefront6targetE0EEEvS12_, .Lfunc_end145-_ZN7rocprim17ROCPRIM_400000_NS6detail17trampoline_kernelINS0_13select_configILj256ELj13ELNS0_17block_load_methodE3ELS4_3ELS4_3ELNS0_20block_scan_algorithmE0ELj4294967295EEENS1_25partition_config_selectorILNS1_17partition_subalgoE4EjNS0_10empty_typeEbEEZZNS1_14partition_implILS8_4ELb0ES6_15HIP_vector_typeIjLj2EENS0_17counting_iteratorIjlEEPS9_SG_NS0_5tupleIJPjSI_NS0_16reverse_iteratorISI_EEEEENSH_IJSG_SG_SG_EEES9_SI_JZNS1_25segmented_radix_sort_implINS0_14default_configELb0EPKhPhPKlPlN2at6native12_GLOBAL__N_18offset_tEEE10hipError_tPvRmT1_PNSt15iterator_traitsIS12_E10value_typeET2_T3_PNS13_IS18_E10value_typeET4_jRbjT5_S1E_jjP12ihipStream_tbEUljE_ZNSN_ISO_Lb0ESQ_SR_ST_SU_SY_EESZ_S10_S11_S12_S16_S17_S18_S1B_S1C_jS1D_jS1E_S1E_jjS1G_bEUljE0_EEESZ_S10_S11_S18_S1C_S1E_T6_T7_T9_mT8_S1G_bDpT10_ENKUlT_T0_E_clISt17integral_constantIbLb1EES1T_IbLb0EEEEDaS1P_S1Q_EUlS1P_E_NS1_11comp_targetILNS1_3genE8ELNS1_11target_archE1030ELNS1_3gpuE2ELNS1_3repE0EEENS1_30default_config_static_selectorELNS0_4arch9wavefront6targetE0EEEvS12_
                                        ; -- End function
	.set _ZN7rocprim17ROCPRIM_400000_NS6detail17trampoline_kernelINS0_13select_configILj256ELj13ELNS0_17block_load_methodE3ELS4_3ELS4_3ELNS0_20block_scan_algorithmE0ELj4294967295EEENS1_25partition_config_selectorILNS1_17partition_subalgoE4EjNS0_10empty_typeEbEEZZNS1_14partition_implILS8_4ELb0ES6_15HIP_vector_typeIjLj2EENS0_17counting_iteratorIjlEEPS9_SG_NS0_5tupleIJPjSI_NS0_16reverse_iteratorISI_EEEEENSH_IJSG_SG_SG_EEES9_SI_JZNS1_25segmented_radix_sort_implINS0_14default_configELb0EPKhPhPKlPlN2at6native12_GLOBAL__N_18offset_tEEE10hipError_tPvRmT1_PNSt15iterator_traitsIS12_E10value_typeET2_T3_PNS13_IS18_E10value_typeET4_jRbjT5_S1E_jjP12ihipStream_tbEUljE_ZNSN_ISO_Lb0ESQ_SR_ST_SU_SY_EESZ_S10_S11_S12_S16_S17_S18_S1B_S1C_jS1D_jS1E_S1E_jjS1G_bEUljE0_EEESZ_S10_S11_S18_S1C_S1E_T6_T7_T9_mT8_S1G_bDpT10_ENKUlT_T0_E_clISt17integral_constantIbLb1EES1T_IbLb0EEEEDaS1P_S1Q_EUlS1P_E_NS1_11comp_targetILNS1_3genE8ELNS1_11target_archE1030ELNS1_3gpuE2ELNS1_3repE0EEENS1_30default_config_static_selectorELNS0_4arch9wavefront6targetE0EEEvS12_.num_vgpr, 0
	.set _ZN7rocprim17ROCPRIM_400000_NS6detail17trampoline_kernelINS0_13select_configILj256ELj13ELNS0_17block_load_methodE3ELS4_3ELS4_3ELNS0_20block_scan_algorithmE0ELj4294967295EEENS1_25partition_config_selectorILNS1_17partition_subalgoE4EjNS0_10empty_typeEbEEZZNS1_14partition_implILS8_4ELb0ES6_15HIP_vector_typeIjLj2EENS0_17counting_iteratorIjlEEPS9_SG_NS0_5tupleIJPjSI_NS0_16reverse_iteratorISI_EEEEENSH_IJSG_SG_SG_EEES9_SI_JZNS1_25segmented_radix_sort_implINS0_14default_configELb0EPKhPhPKlPlN2at6native12_GLOBAL__N_18offset_tEEE10hipError_tPvRmT1_PNSt15iterator_traitsIS12_E10value_typeET2_T3_PNS13_IS18_E10value_typeET4_jRbjT5_S1E_jjP12ihipStream_tbEUljE_ZNSN_ISO_Lb0ESQ_SR_ST_SU_SY_EESZ_S10_S11_S12_S16_S17_S18_S1B_S1C_jS1D_jS1E_S1E_jjS1G_bEUljE0_EEESZ_S10_S11_S18_S1C_S1E_T6_T7_T9_mT8_S1G_bDpT10_ENKUlT_T0_E_clISt17integral_constantIbLb1EES1T_IbLb0EEEEDaS1P_S1Q_EUlS1P_E_NS1_11comp_targetILNS1_3genE8ELNS1_11target_archE1030ELNS1_3gpuE2ELNS1_3repE0EEENS1_30default_config_static_selectorELNS0_4arch9wavefront6targetE0EEEvS12_.num_agpr, 0
	.set _ZN7rocprim17ROCPRIM_400000_NS6detail17trampoline_kernelINS0_13select_configILj256ELj13ELNS0_17block_load_methodE3ELS4_3ELS4_3ELNS0_20block_scan_algorithmE0ELj4294967295EEENS1_25partition_config_selectorILNS1_17partition_subalgoE4EjNS0_10empty_typeEbEEZZNS1_14partition_implILS8_4ELb0ES6_15HIP_vector_typeIjLj2EENS0_17counting_iteratorIjlEEPS9_SG_NS0_5tupleIJPjSI_NS0_16reverse_iteratorISI_EEEEENSH_IJSG_SG_SG_EEES9_SI_JZNS1_25segmented_radix_sort_implINS0_14default_configELb0EPKhPhPKlPlN2at6native12_GLOBAL__N_18offset_tEEE10hipError_tPvRmT1_PNSt15iterator_traitsIS12_E10value_typeET2_T3_PNS13_IS18_E10value_typeET4_jRbjT5_S1E_jjP12ihipStream_tbEUljE_ZNSN_ISO_Lb0ESQ_SR_ST_SU_SY_EESZ_S10_S11_S12_S16_S17_S18_S1B_S1C_jS1D_jS1E_S1E_jjS1G_bEUljE0_EEESZ_S10_S11_S18_S1C_S1E_T6_T7_T9_mT8_S1G_bDpT10_ENKUlT_T0_E_clISt17integral_constantIbLb1EES1T_IbLb0EEEEDaS1P_S1Q_EUlS1P_E_NS1_11comp_targetILNS1_3genE8ELNS1_11target_archE1030ELNS1_3gpuE2ELNS1_3repE0EEENS1_30default_config_static_selectorELNS0_4arch9wavefront6targetE0EEEvS12_.numbered_sgpr, 0
	.set _ZN7rocprim17ROCPRIM_400000_NS6detail17trampoline_kernelINS0_13select_configILj256ELj13ELNS0_17block_load_methodE3ELS4_3ELS4_3ELNS0_20block_scan_algorithmE0ELj4294967295EEENS1_25partition_config_selectorILNS1_17partition_subalgoE4EjNS0_10empty_typeEbEEZZNS1_14partition_implILS8_4ELb0ES6_15HIP_vector_typeIjLj2EENS0_17counting_iteratorIjlEEPS9_SG_NS0_5tupleIJPjSI_NS0_16reverse_iteratorISI_EEEEENSH_IJSG_SG_SG_EEES9_SI_JZNS1_25segmented_radix_sort_implINS0_14default_configELb0EPKhPhPKlPlN2at6native12_GLOBAL__N_18offset_tEEE10hipError_tPvRmT1_PNSt15iterator_traitsIS12_E10value_typeET2_T3_PNS13_IS18_E10value_typeET4_jRbjT5_S1E_jjP12ihipStream_tbEUljE_ZNSN_ISO_Lb0ESQ_SR_ST_SU_SY_EESZ_S10_S11_S12_S16_S17_S18_S1B_S1C_jS1D_jS1E_S1E_jjS1G_bEUljE0_EEESZ_S10_S11_S18_S1C_S1E_T6_T7_T9_mT8_S1G_bDpT10_ENKUlT_T0_E_clISt17integral_constantIbLb1EES1T_IbLb0EEEEDaS1P_S1Q_EUlS1P_E_NS1_11comp_targetILNS1_3genE8ELNS1_11target_archE1030ELNS1_3gpuE2ELNS1_3repE0EEENS1_30default_config_static_selectorELNS0_4arch9wavefront6targetE0EEEvS12_.num_named_barrier, 0
	.set _ZN7rocprim17ROCPRIM_400000_NS6detail17trampoline_kernelINS0_13select_configILj256ELj13ELNS0_17block_load_methodE3ELS4_3ELS4_3ELNS0_20block_scan_algorithmE0ELj4294967295EEENS1_25partition_config_selectorILNS1_17partition_subalgoE4EjNS0_10empty_typeEbEEZZNS1_14partition_implILS8_4ELb0ES6_15HIP_vector_typeIjLj2EENS0_17counting_iteratorIjlEEPS9_SG_NS0_5tupleIJPjSI_NS0_16reverse_iteratorISI_EEEEENSH_IJSG_SG_SG_EEES9_SI_JZNS1_25segmented_radix_sort_implINS0_14default_configELb0EPKhPhPKlPlN2at6native12_GLOBAL__N_18offset_tEEE10hipError_tPvRmT1_PNSt15iterator_traitsIS12_E10value_typeET2_T3_PNS13_IS18_E10value_typeET4_jRbjT5_S1E_jjP12ihipStream_tbEUljE_ZNSN_ISO_Lb0ESQ_SR_ST_SU_SY_EESZ_S10_S11_S12_S16_S17_S18_S1B_S1C_jS1D_jS1E_S1E_jjS1G_bEUljE0_EEESZ_S10_S11_S18_S1C_S1E_T6_T7_T9_mT8_S1G_bDpT10_ENKUlT_T0_E_clISt17integral_constantIbLb1EES1T_IbLb0EEEEDaS1P_S1Q_EUlS1P_E_NS1_11comp_targetILNS1_3genE8ELNS1_11target_archE1030ELNS1_3gpuE2ELNS1_3repE0EEENS1_30default_config_static_selectorELNS0_4arch9wavefront6targetE0EEEvS12_.private_seg_size, 0
	.set _ZN7rocprim17ROCPRIM_400000_NS6detail17trampoline_kernelINS0_13select_configILj256ELj13ELNS0_17block_load_methodE3ELS4_3ELS4_3ELNS0_20block_scan_algorithmE0ELj4294967295EEENS1_25partition_config_selectorILNS1_17partition_subalgoE4EjNS0_10empty_typeEbEEZZNS1_14partition_implILS8_4ELb0ES6_15HIP_vector_typeIjLj2EENS0_17counting_iteratorIjlEEPS9_SG_NS0_5tupleIJPjSI_NS0_16reverse_iteratorISI_EEEEENSH_IJSG_SG_SG_EEES9_SI_JZNS1_25segmented_radix_sort_implINS0_14default_configELb0EPKhPhPKlPlN2at6native12_GLOBAL__N_18offset_tEEE10hipError_tPvRmT1_PNSt15iterator_traitsIS12_E10value_typeET2_T3_PNS13_IS18_E10value_typeET4_jRbjT5_S1E_jjP12ihipStream_tbEUljE_ZNSN_ISO_Lb0ESQ_SR_ST_SU_SY_EESZ_S10_S11_S12_S16_S17_S18_S1B_S1C_jS1D_jS1E_S1E_jjS1G_bEUljE0_EEESZ_S10_S11_S18_S1C_S1E_T6_T7_T9_mT8_S1G_bDpT10_ENKUlT_T0_E_clISt17integral_constantIbLb1EES1T_IbLb0EEEEDaS1P_S1Q_EUlS1P_E_NS1_11comp_targetILNS1_3genE8ELNS1_11target_archE1030ELNS1_3gpuE2ELNS1_3repE0EEENS1_30default_config_static_selectorELNS0_4arch9wavefront6targetE0EEEvS12_.uses_vcc, 0
	.set _ZN7rocprim17ROCPRIM_400000_NS6detail17trampoline_kernelINS0_13select_configILj256ELj13ELNS0_17block_load_methodE3ELS4_3ELS4_3ELNS0_20block_scan_algorithmE0ELj4294967295EEENS1_25partition_config_selectorILNS1_17partition_subalgoE4EjNS0_10empty_typeEbEEZZNS1_14partition_implILS8_4ELb0ES6_15HIP_vector_typeIjLj2EENS0_17counting_iteratorIjlEEPS9_SG_NS0_5tupleIJPjSI_NS0_16reverse_iteratorISI_EEEEENSH_IJSG_SG_SG_EEES9_SI_JZNS1_25segmented_radix_sort_implINS0_14default_configELb0EPKhPhPKlPlN2at6native12_GLOBAL__N_18offset_tEEE10hipError_tPvRmT1_PNSt15iterator_traitsIS12_E10value_typeET2_T3_PNS13_IS18_E10value_typeET4_jRbjT5_S1E_jjP12ihipStream_tbEUljE_ZNSN_ISO_Lb0ESQ_SR_ST_SU_SY_EESZ_S10_S11_S12_S16_S17_S18_S1B_S1C_jS1D_jS1E_S1E_jjS1G_bEUljE0_EEESZ_S10_S11_S18_S1C_S1E_T6_T7_T9_mT8_S1G_bDpT10_ENKUlT_T0_E_clISt17integral_constantIbLb1EES1T_IbLb0EEEEDaS1P_S1Q_EUlS1P_E_NS1_11comp_targetILNS1_3genE8ELNS1_11target_archE1030ELNS1_3gpuE2ELNS1_3repE0EEENS1_30default_config_static_selectorELNS0_4arch9wavefront6targetE0EEEvS12_.uses_flat_scratch, 0
	.set _ZN7rocprim17ROCPRIM_400000_NS6detail17trampoline_kernelINS0_13select_configILj256ELj13ELNS0_17block_load_methodE3ELS4_3ELS4_3ELNS0_20block_scan_algorithmE0ELj4294967295EEENS1_25partition_config_selectorILNS1_17partition_subalgoE4EjNS0_10empty_typeEbEEZZNS1_14partition_implILS8_4ELb0ES6_15HIP_vector_typeIjLj2EENS0_17counting_iteratorIjlEEPS9_SG_NS0_5tupleIJPjSI_NS0_16reverse_iteratorISI_EEEEENSH_IJSG_SG_SG_EEES9_SI_JZNS1_25segmented_radix_sort_implINS0_14default_configELb0EPKhPhPKlPlN2at6native12_GLOBAL__N_18offset_tEEE10hipError_tPvRmT1_PNSt15iterator_traitsIS12_E10value_typeET2_T3_PNS13_IS18_E10value_typeET4_jRbjT5_S1E_jjP12ihipStream_tbEUljE_ZNSN_ISO_Lb0ESQ_SR_ST_SU_SY_EESZ_S10_S11_S12_S16_S17_S18_S1B_S1C_jS1D_jS1E_S1E_jjS1G_bEUljE0_EEESZ_S10_S11_S18_S1C_S1E_T6_T7_T9_mT8_S1G_bDpT10_ENKUlT_T0_E_clISt17integral_constantIbLb1EES1T_IbLb0EEEEDaS1P_S1Q_EUlS1P_E_NS1_11comp_targetILNS1_3genE8ELNS1_11target_archE1030ELNS1_3gpuE2ELNS1_3repE0EEENS1_30default_config_static_selectorELNS0_4arch9wavefront6targetE0EEEvS12_.has_dyn_sized_stack, 0
	.set _ZN7rocprim17ROCPRIM_400000_NS6detail17trampoline_kernelINS0_13select_configILj256ELj13ELNS0_17block_load_methodE3ELS4_3ELS4_3ELNS0_20block_scan_algorithmE0ELj4294967295EEENS1_25partition_config_selectorILNS1_17partition_subalgoE4EjNS0_10empty_typeEbEEZZNS1_14partition_implILS8_4ELb0ES6_15HIP_vector_typeIjLj2EENS0_17counting_iteratorIjlEEPS9_SG_NS0_5tupleIJPjSI_NS0_16reverse_iteratorISI_EEEEENSH_IJSG_SG_SG_EEES9_SI_JZNS1_25segmented_radix_sort_implINS0_14default_configELb0EPKhPhPKlPlN2at6native12_GLOBAL__N_18offset_tEEE10hipError_tPvRmT1_PNSt15iterator_traitsIS12_E10value_typeET2_T3_PNS13_IS18_E10value_typeET4_jRbjT5_S1E_jjP12ihipStream_tbEUljE_ZNSN_ISO_Lb0ESQ_SR_ST_SU_SY_EESZ_S10_S11_S12_S16_S17_S18_S1B_S1C_jS1D_jS1E_S1E_jjS1G_bEUljE0_EEESZ_S10_S11_S18_S1C_S1E_T6_T7_T9_mT8_S1G_bDpT10_ENKUlT_T0_E_clISt17integral_constantIbLb1EES1T_IbLb0EEEEDaS1P_S1Q_EUlS1P_E_NS1_11comp_targetILNS1_3genE8ELNS1_11target_archE1030ELNS1_3gpuE2ELNS1_3repE0EEENS1_30default_config_static_selectorELNS0_4arch9wavefront6targetE0EEEvS12_.has_recursion, 0
	.set _ZN7rocprim17ROCPRIM_400000_NS6detail17trampoline_kernelINS0_13select_configILj256ELj13ELNS0_17block_load_methodE3ELS4_3ELS4_3ELNS0_20block_scan_algorithmE0ELj4294967295EEENS1_25partition_config_selectorILNS1_17partition_subalgoE4EjNS0_10empty_typeEbEEZZNS1_14partition_implILS8_4ELb0ES6_15HIP_vector_typeIjLj2EENS0_17counting_iteratorIjlEEPS9_SG_NS0_5tupleIJPjSI_NS0_16reverse_iteratorISI_EEEEENSH_IJSG_SG_SG_EEES9_SI_JZNS1_25segmented_radix_sort_implINS0_14default_configELb0EPKhPhPKlPlN2at6native12_GLOBAL__N_18offset_tEEE10hipError_tPvRmT1_PNSt15iterator_traitsIS12_E10value_typeET2_T3_PNS13_IS18_E10value_typeET4_jRbjT5_S1E_jjP12ihipStream_tbEUljE_ZNSN_ISO_Lb0ESQ_SR_ST_SU_SY_EESZ_S10_S11_S12_S16_S17_S18_S1B_S1C_jS1D_jS1E_S1E_jjS1G_bEUljE0_EEESZ_S10_S11_S18_S1C_S1E_T6_T7_T9_mT8_S1G_bDpT10_ENKUlT_T0_E_clISt17integral_constantIbLb1EES1T_IbLb0EEEEDaS1P_S1Q_EUlS1P_E_NS1_11comp_targetILNS1_3genE8ELNS1_11target_archE1030ELNS1_3gpuE2ELNS1_3repE0EEENS1_30default_config_static_selectorELNS0_4arch9wavefront6targetE0EEEvS12_.has_indirect_call, 0
	.section	.AMDGPU.csdata,"",@progbits
; Kernel info:
; codeLenInByte = 0
; TotalNumSgprs: 0
; NumVgprs: 0
; ScratchSize: 0
; MemoryBound: 0
; FloatMode: 240
; IeeeMode: 1
; LDSByteSize: 0 bytes/workgroup (compile time only)
; SGPRBlocks: 0
; VGPRBlocks: 0
; NumSGPRsForWavesPerEU: 1
; NumVGPRsForWavesPerEU: 1
; Occupancy: 16
; WaveLimiterHint : 0
; COMPUTE_PGM_RSRC2:SCRATCH_EN: 0
; COMPUTE_PGM_RSRC2:USER_SGPR: 2
; COMPUTE_PGM_RSRC2:TRAP_HANDLER: 0
; COMPUTE_PGM_RSRC2:TGID_X_EN: 1
; COMPUTE_PGM_RSRC2:TGID_Y_EN: 0
; COMPUTE_PGM_RSRC2:TGID_Z_EN: 0
; COMPUTE_PGM_RSRC2:TIDIG_COMP_CNT: 0
	.section	.text._ZN7rocprim17ROCPRIM_400000_NS6detail17trampoline_kernelINS0_13select_configILj256ELj13ELNS0_17block_load_methodE3ELS4_3ELS4_3ELNS0_20block_scan_algorithmE0ELj4294967295EEENS1_25partition_config_selectorILNS1_17partition_subalgoE4EjNS0_10empty_typeEbEEZZNS1_14partition_implILS8_4ELb0ES6_15HIP_vector_typeIjLj2EENS0_17counting_iteratorIjlEEPS9_SG_NS0_5tupleIJPjSI_NS0_16reverse_iteratorISI_EEEEENSH_IJSG_SG_SG_EEES9_SI_JZNS1_25segmented_radix_sort_implINS0_14default_configELb0EPKhPhPKlPlN2at6native12_GLOBAL__N_18offset_tEEE10hipError_tPvRmT1_PNSt15iterator_traitsIS12_E10value_typeET2_T3_PNS13_IS18_E10value_typeET4_jRbjT5_S1E_jjP12ihipStream_tbEUljE_ZNSN_ISO_Lb0ESQ_SR_ST_SU_SY_EESZ_S10_S11_S12_S16_S17_S18_S1B_S1C_jS1D_jS1E_S1E_jjS1G_bEUljE0_EEESZ_S10_S11_S18_S1C_S1E_T6_T7_T9_mT8_S1G_bDpT10_ENKUlT_T0_E_clISt17integral_constantIbLb0EES1T_IbLb1EEEEDaS1P_S1Q_EUlS1P_E_NS1_11comp_targetILNS1_3genE0ELNS1_11target_archE4294967295ELNS1_3gpuE0ELNS1_3repE0EEENS1_30default_config_static_selectorELNS0_4arch9wavefront6targetE0EEEvS12_,"axG",@progbits,_ZN7rocprim17ROCPRIM_400000_NS6detail17trampoline_kernelINS0_13select_configILj256ELj13ELNS0_17block_load_methodE3ELS4_3ELS4_3ELNS0_20block_scan_algorithmE0ELj4294967295EEENS1_25partition_config_selectorILNS1_17partition_subalgoE4EjNS0_10empty_typeEbEEZZNS1_14partition_implILS8_4ELb0ES6_15HIP_vector_typeIjLj2EENS0_17counting_iteratorIjlEEPS9_SG_NS0_5tupleIJPjSI_NS0_16reverse_iteratorISI_EEEEENSH_IJSG_SG_SG_EEES9_SI_JZNS1_25segmented_radix_sort_implINS0_14default_configELb0EPKhPhPKlPlN2at6native12_GLOBAL__N_18offset_tEEE10hipError_tPvRmT1_PNSt15iterator_traitsIS12_E10value_typeET2_T3_PNS13_IS18_E10value_typeET4_jRbjT5_S1E_jjP12ihipStream_tbEUljE_ZNSN_ISO_Lb0ESQ_SR_ST_SU_SY_EESZ_S10_S11_S12_S16_S17_S18_S1B_S1C_jS1D_jS1E_S1E_jjS1G_bEUljE0_EEESZ_S10_S11_S18_S1C_S1E_T6_T7_T9_mT8_S1G_bDpT10_ENKUlT_T0_E_clISt17integral_constantIbLb0EES1T_IbLb1EEEEDaS1P_S1Q_EUlS1P_E_NS1_11comp_targetILNS1_3genE0ELNS1_11target_archE4294967295ELNS1_3gpuE0ELNS1_3repE0EEENS1_30default_config_static_selectorELNS0_4arch9wavefront6targetE0EEEvS12_,comdat
	.globl	_ZN7rocprim17ROCPRIM_400000_NS6detail17trampoline_kernelINS0_13select_configILj256ELj13ELNS0_17block_load_methodE3ELS4_3ELS4_3ELNS0_20block_scan_algorithmE0ELj4294967295EEENS1_25partition_config_selectorILNS1_17partition_subalgoE4EjNS0_10empty_typeEbEEZZNS1_14partition_implILS8_4ELb0ES6_15HIP_vector_typeIjLj2EENS0_17counting_iteratorIjlEEPS9_SG_NS0_5tupleIJPjSI_NS0_16reverse_iteratorISI_EEEEENSH_IJSG_SG_SG_EEES9_SI_JZNS1_25segmented_radix_sort_implINS0_14default_configELb0EPKhPhPKlPlN2at6native12_GLOBAL__N_18offset_tEEE10hipError_tPvRmT1_PNSt15iterator_traitsIS12_E10value_typeET2_T3_PNS13_IS18_E10value_typeET4_jRbjT5_S1E_jjP12ihipStream_tbEUljE_ZNSN_ISO_Lb0ESQ_SR_ST_SU_SY_EESZ_S10_S11_S12_S16_S17_S18_S1B_S1C_jS1D_jS1E_S1E_jjS1G_bEUljE0_EEESZ_S10_S11_S18_S1C_S1E_T6_T7_T9_mT8_S1G_bDpT10_ENKUlT_T0_E_clISt17integral_constantIbLb0EES1T_IbLb1EEEEDaS1P_S1Q_EUlS1P_E_NS1_11comp_targetILNS1_3genE0ELNS1_11target_archE4294967295ELNS1_3gpuE0ELNS1_3repE0EEENS1_30default_config_static_selectorELNS0_4arch9wavefront6targetE0EEEvS12_ ; -- Begin function _ZN7rocprim17ROCPRIM_400000_NS6detail17trampoline_kernelINS0_13select_configILj256ELj13ELNS0_17block_load_methodE3ELS4_3ELS4_3ELNS0_20block_scan_algorithmE0ELj4294967295EEENS1_25partition_config_selectorILNS1_17partition_subalgoE4EjNS0_10empty_typeEbEEZZNS1_14partition_implILS8_4ELb0ES6_15HIP_vector_typeIjLj2EENS0_17counting_iteratorIjlEEPS9_SG_NS0_5tupleIJPjSI_NS0_16reverse_iteratorISI_EEEEENSH_IJSG_SG_SG_EEES9_SI_JZNS1_25segmented_radix_sort_implINS0_14default_configELb0EPKhPhPKlPlN2at6native12_GLOBAL__N_18offset_tEEE10hipError_tPvRmT1_PNSt15iterator_traitsIS12_E10value_typeET2_T3_PNS13_IS18_E10value_typeET4_jRbjT5_S1E_jjP12ihipStream_tbEUljE_ZNSN_ISO_Lb0ESQ_SR_ST_SU_SY_EESZ_S10_S11_S12_S16_S17_S18_S1B_S1C_jS1D_jS1E_S1E_jjS1G_bEUljE0_EEESZ_S10_S11_S18_S1C_S1E_T6_T7_T9_mT8_S1G_bDpT10_ENKUlT_T0_E_clISt17integral_constantIbLb0EES1T_IbLb1EEEEDaS1P_S1Q_EUlS1P_E_NS1_11comp_targetILNS1_3genE0ELNS1_11target_archE4294967295ELNS1_3gpuE0ELNS1_3repE0EEENS1_30default_config_static_selectorELNS0_4arch9wavefront6targetE0EEEvS12_
	.p2align	8
	.type	_ZN7rocprim17ROCPRIM_400000_NS6detail17trampoline_kernelINS0_13select_configILj256ELj13ELNS0_17block_load_methodE3ELS4_3ELS4_3ELNS0_20block_scan_algorithmE0ELj4294967295EEENS1_25partition_config_selectorILNS1_17partition_subalgoE4EjNS0_10empty_typeEbEEZZNS1_14partition_implILS8_4ELb0ES6_15HIP_vector_typeIjLj2EENS0_17counting_iteratorIjlEEPS9_SG_NS0_5tupleIJPjSI_NS0_16reverse_iteratorISI_EEEEENSH_IJSG_SG_SG_EEES9_SI_JZNS1_25segmented_radix_sort_implINS0_14default_configELb0EPKhPhPKlPlN2at6native12_GLOBAL__N_18offset_tEEE10hipError_tPvRmT1_PNSt15iterator_traitsIS12_E10value_typeET2_T3_PNS13_IS18_E10value_typeET4_jRbjT5_S1E_jjP12ihipStream_tbEUljE_ZNSN_ISO_Lb0ESQ_SR_ST_SU_SY_EESZ_S10_S11_S12_S16_S17_S18_S1B_S1C_jS1D_jS1E_S1E_jjS1G_bEUljE0_EEESZ_S10_S11_S18_S1C_S1E_T6_T7_T9_mT8_S1G_bDpT10_ENKUlT_T0_E_clISt17integral_constantIbLb0EES1T_IbLb1EEEEDaS1P_S1Q_EUlS1P_E_NS1_11comp_targetILNS1_3genE0ELNS1_11target_archE4294967295ELNS1_3gpuE0ELNS1_3repE0EEENS1_30default_config_static_selectorELNS0_4arch9wavefront6targetE0EEEvS12_,@function
_ZN7rocprim17ROCPRIM_400000_NS6detail17trampoline_kernelINS0_13select_configILj256ELj13ELNS0_17block_load_methodE3ELS4_3ELS4_3ELNS0_20block_scan_algorithmE0ELj4294967295EEENS1_25partition_config_selectorILNS1_17partition_subalgoE4EjNS0_10empty_typeEbEEZZNS1_14partition_implILS8_4ELb0ES6_15HIP_vector_typeIjLj2EENS0_17counting_iteratorIjlEEPS9_SG_NS0_5tupleIJPjSI_NS0_16reverse_iteratorISI_EEEEENSH_IJSG_SG_SG_EEES9_SI_JZNS1_25segmented_radix_sort_implINS0_14default_configELb0EPKhPhPKlPlN2at6native12_GLOBAL__N_18offset_tEEE10hipError_tPvRmT1_PNSt15iterator_traitsIS12_E10value_typeET2_T3_PNS13_IS18_E10value_typeET4_jRbjT5_S1E_jjP12ihipStream_tbEUljE_ZNSN_ISO_Lb0ESQ_SR_ST_SU_SY_EESZ_S10_S11_S12_S16_S17_S18_S1B_S1C_jS1D_jS1E_S1E_jjS1G_bEUljE0_EEESZ_S10_S11_S18_S1C_S1E_T6_T7_T9_mT8_S1G_bDpT10_ENKUlT_T0_E_clISt17integral_constantIbLb0EES1T_IbLb1EEEEDaS1P_S1Q_EUlS1P_E_NS1_11comp_targetILNS1_3genE0ELNS1_11target_archE4294967295ELNS1_3gpuE0ELNS1_3repE0EEENS1_30default_config_static_selectorELNS0_4arch9wavefront6targetE0EEEvS12_: ; @_ZN7rocprim17ROCPRIM_400000_NS6detail17trampoline_kernelINS0_13select_configILj256ELj13ELNS0_17block_load_methodE3ELS4_3ELS4_3ELNS0_20block_scan_algorithmE0ELj4294967295EEENS1_25partition_config_selectorILNS1_17partition_subalgoE4EjNS0_10empty_typeEbEEZZNS1_14partition_implILS8_4ELb0ES6_15HIP_vector_typeIjLj2EENS0_17counting_iteratorIjlEEPS9_SG_NS0_5tupleIJPjSI_NS0_16reverse_iteratorISI_EEEEENSH_IJSG_SG_SG_EEES9_SI_JZNS1_25segmented_radix_sort_implINS0_14default_configELb0EPKhPhPKlPlN2at6native12_GLOBAL__N_18offset_tEEE10hipError_tPvRmT1_PNSt15iterator_traitsIS12_E10value_typeET2_T3_PNS13_IS18_E10value_typeET4_jRbjT5_S1E_jjP12ihipStream_tbEUljE_ZNSN_ISO_Lb0ESQ_SR_ST_SU_SY_EESZ_S10_S11_S12_S16_S17_S18_S1B_S1C_jS1D_jS1E_S1E_jjS1G_bEUljE0_EEESZ_S10_S11_S18_S1C_S1E_T6_T7_T9_mT8_S1G_bDpT10_ENKUlT_T0_E_clISt17integral_constantIbLb0EES1T_IbLb1EEEEDaS1P_S1Q_EUlS1P_E_NS1_11comp_targetILNS1_3genE0ELNS1_11target_archE4294967295ELNS1_3gpuE0ELNS1_3repE0EEENS1_30default_config_static_selectorELNS0_4arch9wavefront6targetE0EEEvS12_
; %bb.0:
	.section	.rodata,"a",@progbits
	.p2align	6, 0x0
	.amdhsa_kernel _ZN7rocprim17ROCPRIM_400000_NS6detail17trampoline_kernelINS0_13select_configILj256ELj13ELNS0_17block_load_methodE3ELS4_3ELS4_3ELNS0_20block_scan_algorithmE0ELj4294967295EEENS1_25partition_config_selectorILNS1_17partition_subalgoE4EjNS0_10empty_typeEbEEZZNS1_14partition_implILS8_4ELb0ES6_15HIP_vector_typeIjLj2EENS0_17counting_iteratorIjlEEPS9_SG_NS0_5tupleIJPjSI_NS0_16reverse_iteratorISI_EEEEENSH_IJSG_SG_SG_EEES9_SI_JZNS1_25segmented_radix_sort_implINS0_14default_configELb0EPKhPhPKlPlN2at6native12_GLOBAL__N_18offset_tEEE10hipError_tPvRmT1_PNSt15iterator_traitsIS12_E10value_typeET2_T3_PNS13_IS18_E10value_typeET4_jRbjT5_S1E_jjP12ihipStream_tbEUljE_ZNSN_ISO_Lb0ESQ_SR_ST_SU_SY_EESZ_S10_S11_S12_S16_S17_S18_S1B_S1C_jS1D_jS1E_S1E_jjS1G_bEUljE0_EEESZ_S10_S11_S18_S1C_S1E_T6_T7_T9_mT8_S1G_bDpT10_ENKUlT_T0_E_clISt17integral_constantIbLb0EES1T_IbLb1EEEEDaS1P_S1Q_EUlS1P_E_NS1_11comp_targetILNS1_3genE0ELNS1_11target_archE4294967295ELNS1_3gpuE0ELNS1_3repE0EEENS1_30default_config_static_selectorELNS0_4arch9wavefront6targetE0EEEvS12_
		.amdhsa_group_segment_fixed_size 0
		.amdhsa_private_segment_fixed_size 0
		.amdhsa_kernarg_size 184
		.amdhsa_user_sgpr_count 2
		.amdhsa_user_sgpr_dispatch_ptr 0
		.amdhsa_user_sgpr_queue_ptr 0
		.amdhsa_user_sgpr_kernarg_segment_ptr 1
		.amdhsa_user_sgpr_dispatch_id 0
		.amdhsa_user_sgpr_private_segment_size 0
		.amdhsa_wavefront_size32 1
		.amdhsa_uses_dynamic_stack 0
		.amdhsa_enable_private_segment 0
		.amdhsa_system_sgpr_workgroup_id_x 1
		.amdhsa_system_sgpr_workgroup_id_y 0
		.amdhsa_system_sgpr_workgroup_id_z 0
		.amdhsa_system_sgpr_workgroup_info 0
		.amdhsa_system_vgpr_workitem_id 0
		.amdhsa_next_free_vgpr 1
		.amdhsa_next_free_sgpr 1
		.amdhsa_reserve_vcc 0
		.amdhsa_float_round_mode_32 0
		.amdhsa_float_round_mode_16_64 0
		.amdhsa_float_denorm_mode_32 3
		.amdhsa_float_denorm_mode_16_64 3
		.amdhsa_fp16_overflow 0
		.amdhsa_workgroup_processor_mode 1
		.amdhsa_memory_ordered 1
		.amdhsa_forward_progress 1
		.amdhsa_inst_pref_size 0
		.amdhsa_round_robin_scheduling 0
		.amdhsa_exception_fp_ieee_invalid_op 0
		.amdhsa_exception_fp_denorm_src 0
		.amdhsa_exception_fp_ieee_div_zero 0
		.amdhsa_exception_fp_ieee_overflow 0
		.amdhsa_exception_fp_ieee_underflow 0
		.amdhsa_exception_fp_ieee_inexact 0
		.amdhsa_exception_int_div_zero 0
	.end_amdhsa_kernel
	.section	.text._ZN7rocprim17ROCPRIM_400000_NS6detail17trampoline_kernelINS0_13select_configILj256ELj13ELNS0_17block_load_methodE3ELS4_3ELS4_3ELNS0_20block_scan_algorithmE0ELj4294967295EEENS1_25partition_config_selectorILNS1_17partition_subalgoE4EjNS0_10empty_typeEbEEZZNS1_14partition_implILS8_4ELb0ES6_15HIP_vector_typeIjLj2EENS0_17counting_iteratorIjlEEPS9_SG_NS0_5tupleIJPjSI_NS0_16reverse_iteratorISI_EEEEENSH_IJSG_SG_SG_EEES9_SI_JZNS1_25segmented_radix_sort_implINS0_14default_configELb0EPKhPhPKlPlN2at6native12_GLOBAL__N_18offset_tEEE10hipError_tPvRmT1_PNSt15iterator_traitsIS12_E10value_typeET2_T3_PNS13_IS18_E10value_typeET4_jRbjT5_S1E_jjP12ihipStream_tbEUljE_ZNSN_ISO_Lb0ESQ_SR_ST_SU_SY_EESZ_S10_S11_S12_S16_S17_S18_S1B_S1C_jS1D_jS1E_S1E_jjS1G_bEUljE0_EEESZ_S10_S11_S18_S1C_S1E_T6_T7_T9_mT8_S1G_bDpT10_ENKUlT_T0_E_clISt17integral_constantIbLb0EES1T_IbLb1EEEEDaS1P_S1Q_EUlS1P_E_NS1_11comp_targetILNS1_3genE0ELNS1_11target_archE4294967295ELNS1_3gpuE0ELNS1_3repE0EEENS1_30default_config_static_selectorELNS0_4arch9wavefront6targetE0EEEvS12_,"axG",@progbits,_ZN7rocprim17ROCPRIM_400000_NS6detail17trampoline_kernelINS0_13select_configILj256ELj13ELNS0_17block_load_methodE3ELS4_3ELS4_3ELNS0_20block_scan_algorithmE0ELj4294967295EEENS1_25partition_config_selectorILNS1_17partition_subalgoE4EjNS0_10empty_typeEbEEZZNS1_14partition_implILS8_4ELb0ES6_15HIP_vector_typeIjLj2EENS0_17counting_iteratorIjlEEPS9_SG_NS0_5tupleIJPjSI_NS0_16reverse_iteratorISI_EEEEENSH_IJSG_SG_SG_EEES9_SI_JZNS1_25segmented_radix_sort_implINS0_14default_configELb0EPKhPhPKlPlN2at6native12_GLOBAL__N_18offset_tEEE10hipError_tPvRmT1_PNSt15iterator_traitsIS12_E10value_typeET2_T3_PNS13_IS18_E10value_typeET4_jRbjT5_S1E_jjP12ihipStream_tbEUljE_ZNSN_ISO_Lb0ESQ_SR_ST_SU_SY_EESZ_S10_S11_S12_S16_S17_S18_S1B_S1C_jS1D_jS1E_S1E_jjS1G_bEUljE0_EEESZ_S10_S11_S18_S1C_S1E_T6_T7_T9_mT8_S1G_bDpT10_ENKUlT_T0_E_clISt17integral_constantIbLb0EES1T_IbLb1EEEEDaS1P_S1Q_EUlS1P_E_NS1_11comp_targetILNS1_3genE0ELNS1_11target_archE4294967295ELNS1_3gpuE0ELNS1_3repE0EEENS1_30default_config_static_selectorELNS0_4arch9wavefront6targetE0EEEvS12_,comdat
.Lfunc_end146:
	.size	_ZN7rocprim17ROCPRIM_400000_NS6detail17trampoline_kernelINS0_13select_configILj256ELj13ELNS0_17block_load_methodE3ELS4_3ELS4_3ELNS0_20block_scan_algorithmE0ELj4294967295EEENS1_25partition_config_selectorILNS1_17partition_subalgoE4EjNS0_10empty_typeEbEEZZNS1_14partition_implILS8_4ELb0ES6_15HIP_vector_typeIjLj2EENS0_17counting_iteratorIjlEEPS9_SG_NS0_5tupleIJPjSI_NS0_16reverse_iteratorISI_EEEEENSH_IJSG_SG_SG_EEES9_SI_JZNS1_25segmented_radix_sort_implINS0_14default_configELb0EPKhPhPKlPlN2at6native12_GLOBAL__N_18offset_tEEE10hipError_tPvRmT1_PNSt15iterator_traitsIS12_E10value_typeET2_T3_PNS13_IS18_E10value_typeET4_jRbjT5_S1E_jjP12ihipStream_tbEUljE_ZNSN_ISO_Lb0ESQ_SR_ST_SU_SY_EESZ_S10_S11_S12_S16_S17_S18_S1B_S1C_jS1D_jS1E_S1E_jjS1G_bEUljE0_EEESZ_S10_S11_S18_S1C_S1E_T6_T7_T9_mT8_S1G_bDpT10_ENKUlT_T0_E_clISt17integral_constantIbLb0EES1T_IbLb1EEEEDaS1P_S1Q_EUlS1P_E_NS1_11comp_targetILNS1_3genE0ELNS1_11target_archE4294967295ELNS1_3gpuE0ELNS1_3repE0EEENS1_30default_config_static_selectorELNS0_4arch9wavefront6targetE0EEEvS12_, .Lfunc_end146-_ZN7rocprim17ROCPRIM_400000_NS6detail17trampoline_kernelINS0_13select_configILj256ELj13ELNS0_17block_load_methodE3ELS4_3ELS4_3ELNS0_20block_scan_algorithmE0ELj4294967295EEENS1_25partition_config_selectorILNS1_17partition_subalgoE4EjNS0_10empty_typeEbEEZZNS1_14partition_implILS8_4ELb0ES6_15HIP_vector_typeIjLj2EENS0_17counting_iteratorIjlEEPS9_SG_NS0_5tupleIJPjSI_NS0_16reverse_iteratorISI_EEEEENSH_IJSG_SG_SG_EEES9_SI_JZNS1_25segmented_radix_sort_implINS0_14default_configELb0EPKhPhPKlPlN2at6native12_GLOBAL__N_18offset_tEEE10hipError_tPvRmT1_PNSt15iterator_traitsIS12_E10value_typeET2_T3_PNS13_IS18_E10value_typeET4_jRbjT5_S1E_jjP12ihipStream_tbEUljE_ZNSN_ISO_Lb0ESQ_SR_ST_SU_SY_EESZ_S10_S11_S12_S16_S17_S18_S1B_S1C_jS1D_jS1E_S1E_jjS1G_bEUljE0_EEESZ_S10_S11_S18_S1C_S1E_T6_T7_T9_mT8_S1G_bDpT10_ENKUlT_T0_E_clISt17integral_constantIbLb0EES1T_IbLb1EEEEDaS1P_S1Q_EUlS1P_E_NS1_11comp_targetILNS1_3genE0ELNS1_11target_archE4294967295ELNS1_3gpuE0ELNS1_3repE0EEENS1_30default_config_static_selectorELNS0_4arch9wavefront6targetE0EEEvS12_
                                        ; -- End function
	.set _ZN7rocprim17ROCPRIM_400000_NS6detail17trampoline_kernelINS0_13select_configILj256ELj13ELNS0_17block_load_methodE3ELS4_3ELS4_3ELNS0_20block_scan_algorithmE0ELj4294967295EEENS1_25partition_config_selectorILNS1_17partition_subalgoE4EjNS0_10empty_typeEbEEZZNS1_14partition_implILS8_4ELb0ES6_15HIP_vector_typeIjLj2EENS0_17counting_iteratorIjlEEPS9_SG_NS0_5tupleIJPjSI_NS0_16reverse_iteratorISI_EEEEENSH_IJSG_SG_SG_EEES9_SI_JZNS1_25segmented_radix_sort_implINS0_14default_configELb0EPKhPhPKlPlN2at6native12_GLOBAL__N_18offset_tEEE10hipError_tPvRmT1_PNSt15iterator_traitsIS12_E10value_typeET2_T3_PNS13_IS18_E10value_typeET4_jRbjT5_S1E_jjP12ihipStream_tbEUljE_ZNSN_ISO_Lb0ESQ_SR_ST_SU_SY_EESZ_S10_S11_S12_S16_S17_S18_S1B_S1C_jS1D_jS1E_S1E_jjS1G_bEUljE0_EEESZ_S10_S11_S18_S1C_S1E_T6_T7_T9_mT8_S1G_bDpT10_ENKUlT_T0_E_clISt17integral_constantIbLb0EES1T_IbLb1EEEEDaS1P_S1Q_EUlS1P_E_NS1_11comp_targetILNS1_3genE0ELNS1_11target_archE4294967295ELNS1_3gpuE0ELNS1_3repE0EEENS1_30default_config_static_selectorELNS0_4arch9wavefront6targetE0EEEvS12_.num_vgpr, 0
	.set _ZN7rocprim17ROCPRIM_400000_NS6detail17trampoline_kernelINS0_13select_configILj256ELj13ELNS0_17block_load_methodE3ELS4_3ELS4_3ELNS0_20block_scan_algorithmE0ELj4294967295EEENS1_25partition_config_selectorILNS1_17partition_subalgoE4EjNS0_10empty_typeEbEEZZNS1_14partition_implILS8_4ELb0ES6_15HIP_vector_typeIjLj2EENS0_17counting_iteratorIjlEEPS9_SG_NS0_5tupleIJPjSI_NS0_16reverse_iteratorISI_EEEEENSH_IJSG_SG_SG_EEES9_SI_JZNS1_25segmented_radix_sort_implINS0_14default_configELb0EPKhPhPKlPlN2at6native12_GLOBAL__N_18offset_tEEE10hipError_tPvRmT1_PNSt15iterator_traitsIS12_E10value_typeET2_T3_PNS13_IS18_E10value_typeET4_jRbjT5_S1E_jjP12ihipStream_tbEUljE_ZNSN_ISO_Lb0ESQ_SR_ST_SU_SY_EESZ_S10_S11_S12_S16_S17_S18_S1B_S1C_jS1D_jS1E_S1E_jjS1G_bEUljE0_EEESZ_S10_S11_S18_S1C_S1E_T6_T7_T9_mT8_S1G_bDpT10_ENKUlT_T0_E_clISt17integral_constantIbLb0EES1T_IbLb1EEEEDaS1P_S1Q_EUlS1P_E_NS1_11comp_targetILNS1_3genE0ELNS1_11target_archE4294967295ELNS1_3gpuE0ELNS1_3repE0EEENS1_30default_config_static_selectorELNS0_4arch9wavefront6targetE0EEEvS12_.num_agpr, 0
	.set _ZN7rocprim17ROCPRIM_400000_NS6detail17trampoline_kernelINS0_13select_configILj256ELj13ELNS0_17block_load_methodE3ELS4_3ELS4_3ELNS0_20block_scan_algorithmE0ELj4294967295EEENS1_25partition_config_selectorILNS1_17partition_subalgoE4EjNS0_10empty_typeEbEEZZNS1_14partition_implILS8_4ELb0ES6_15HIP_vector_typeIjLj2EENS0_17counting_iteratorIjlEEPS9_SG_NS0_5tupleIJPjSI_NS0_16reverse_iteratorISI_EEEEENSH_IJSG_SG_SG_EEES9_SI_JZNS1_25segmented_radix_sort_implINS0_14default_configELb0EPKhPhPKlPlN2at6native12_GLOBAL__N_18offset_tEEE10hipError_tPvRmT1_PNSt15iterator_traitsIS12_E10value_typeET2_T3_PNS13_IS18_E10value_typeET4_jRbjT5_S1E_jjP12ihipStream_tbEUljE_ZNSN_ISO_Lb0ESQ_SR_ST_SU_SY_EESZ_S10_S11_S12_S16_S17_S18_S1B_S1C_jS1D_jS1E_S1E_jjS1G_bEUljE0_EEESZ_S10_S11_S18_S1C_S1E_T6_T7_T9_mT8_S1G_bDpT10_ENKUlT_T0_E_clISt17integral_constantIbLb0EES1T_IbLb1EEEEDaS1P_S1Q_EUlS1P_E_NS1_11comp_targetILNS1_3genE0ELNS1_11target_archE4294967295ELNS1_3gpuE0ELNS1_3repE0EEENS1_30default_config_static_selectorELNS0_4arch9wavefront6targetE0EEEvS12_.numbered_sgpr, 0
	.set _ZN7rocprim17ROCPRIM_400000_NS6detail17trampoline_kernelINS0_13select_configILj256ELj13ELNS0_17block_load_methodE3ELS4_3ELS4_3ELNS0_20block_scan_algorithmE0ELj4294967295EEENS1_25partition_config_selectorILNS1_17partition_subalgoE4EjNS0_10empty_typeEbEEZZNS1_14partition_implILS8_4ELb0ES6_15HIP_vector_typeIjLj2EENS0_17counting_iteratorIjlEEPS9_SG_NS0_5tupleIJPjSI_NS0_16reverse_iteratorISI_EEEEENSH_IJSG_SG_SG_EEES9_SI_JZNS1_25segmented_radix_sort_implINS0_14default_configELb0EPKhPhPKlPlN2at6native12_GLOBAL__N_18offset_tEEE10hipError_tPvRmT1_PNSt15iterator_traitsIS12_E10value_typeET2_T3_PNS13_IS18_E10value_typeET4_jRbjT5_S1E_jjP12ihipStream_tbEUljE_ZNSN_ISO_Lb0ESQ_SR_ST_SU_SY_EESZ_S10_S11_S12_S16_S17_S18_S1B_S1C_jS1D_jS1E_S1E_jjS1G_bEUljE0_EEESZ_S10_S11_S18_S1C_S1E_T6_T7_T9_mT8_S1G_bDpT10_ENKUlT_T0_E_clISt17integral_constantIbLb0EES1T_IbLb1EEEEDaS1P_S1Q_EUlS1P_E_NS1_11comp_targetILNS1_3genE0ELNS1_11target_archE4294967295ELNS1_3gpuE0ELNS1_3repE0EEENS1_30default_config_static_selectorELNS0_4arch9wavefront6targetE0EEEvS12_.num_named_barrier, 0
	.set _ZN7rocprim17ROCPRIM_400000_NS6detail17trampoline_kernelINS0_13select_configILj256ELj13ELNS0_17block_load_methodE3ELS4_3ELS4_3ELNS0_20block_scan_algorithmE0ELj4294967295EEENS1_25partition_config_selectorILNS1_17partition_subalgoE4EjNS0_10empty_typeEbEEZZNS1_14partition_implILS8_4ELb0ES6_15HIP_vector_typeIjLj2EENS0_17counting_iteratorIjlEEPS9_SG_NS0_5tupleIJPjSI_NS0_16reverse_iteratorISI_EEEEENSH_IJSG_SG_SG_EEES9_SI_JZNS1_25segmented_radix_sort_implINS0_14default_configELb0EPKhPhPKlPlN2at6native12_GLOBAL__N_18offset_tEEE10hipError_tPvRmT1_PNSt15iterator_traitsIS12_E10value_typeET2_T3_PNS13_IS18_E10value_typeET4_jRbjT5_S1E_jjP12ihipStream_tbEUljE_ZNSN_ISO_Lb0ESQ_SR_ST_SU_SY_EESZ_S10_S11_S12_S16_S17_S18_S1B_S1C_jS1D_jS1E_S1E_jjS1G_bEUljE0_EEESZ_S10_S11_S18_S1C_S1E_T6_T7_T9_mT8_S1G_bDpT10_ENKUlT_T0_E_clISt17integral_constantIbLb0EES1T_IbLb1EEEEDaS1P_S1Q_EUlS1P_E_NS1_11comp_targetILNS1_3genE0ELNS1_11target_archE4294967295ELNS1_3gpuE0ELNS1_3repE0EEENS1_30default_config_static_selectorELNS0_4arch9wavefront6targetE0EEEvS12_.private_seg_size, 0
	.set _ZN7rocprim17ROCPRIM_400000_NS6detail17trampoline_kernelINS0_13select_configILj256ELj13ELNS0_17block_load_methodE3ELS4_3ELS4_3ELNS0_20block_scan_algorithmE0ELj4294967295EEENS1_25partition_config_selectorILNS1_17partition_subalgoE4EjNS0_10empty_typeEbEEZZNS1_14partition_implILS8_4ELb0ES6_15HIP_vector_typeIjLj2EENS0_17counting_iteratorIjlEEPS9_SG_NS0_5tupleIJPjSI_NS0_16reverse_iteratorISI_EEEEENSH_IJSG_SG_SG_EEES9_SI_JZNS1_25segmented_radix_sort_implINS0_14default_configELb0EPKhPhPKlPlN2at6native12_GLOBAL__N_18offset_tEEE10hipError_tPvRmT1_PNSt15iterator_traitsIS12_E10value_typeET2_T3_PNS13_IS18_E10value_typeET4_jRbjT5_S1E_jjP12ihipStream_tbEUljE_ZNSN_ISO_Lb0ESQ_SR_ST_SU_SY_EESZ_S10_S11_S12_S16_S17_S18_S1B_S1C_jS1D_jS1E_S1E_jjS1G_bEUljE0_EEESZ_S10_S11_S18_S1C_S1E_T6_T7_T9_mT8_S1G_bDpT10_ENKUlT_T0_E_clISt17integral_constantIbLb0EES1T_IbLb1EEEEDaS1P_S1Q_EUlS1P_E_NS1_11comp_targetILNS1_3genE0ELNS1_11target_archE4294967295ELNS1_3gpuE0ELNS1_3repE0EEENS1_30default_config_static_selectorELNS0_4arch9wavefront6targetE0EEEvS12_.uses_vcc, 0
	.set _ZN7rocprim17ROCPRIM_400000_NS6detail17trampoline_kernelINS0_13select_configILj256ELj13ELNS0_17block_load_methodE3ELS4_3ELS4_3ELNS0_20block_scan_algorithmE0ELj4294967295EEENS1_25partition_config_selectorILNS1_17partition_subalgoE4EjNS0_10empty_typeEbEEZZNS1_14partition_implILS8_4ELb0ES6_15HIP_vector_typeIjLj2EENS0_17counting_iteratorIjlEEPS9_SG_NS0_5tupleIJPjSI_NS0_16reverse_iteratorISI_EEEEENSH_IJSG_SG_SG_EEES9_SI_JZNS1_25segmented_radix_sort_implINS0_14default_configELb0EPKhPhPKlPlN2at6native12_GLOBAL__N_18offset_tEEE10hipError_tPvRmT1_PNSt15iterator_traitsIS12_E10value_typeET2_T3_PNS13_IS18_E10value_typeET4_jRbjT5_S1E_jjP12ihipStream_tbEUljE_ZNSN_ISO_Lb0ESQ_SR_ST_SU_SY_EESZ_S10_S11_S12_S16_S17_S18_S1B_S1C_jS1D_jS1E_S1E_jjS1G_bEUljE0_EEESZ_S10_S11_S18_S1C_S1E_T6_T7_T9_mT8_S1G_bDpT10_ENKUlT_T0_E_clISt17integral_constantIbLb0EES1T_IbLb1EEEEDaS1P_S1Q_EUlS1P_E_NS1_11comp_targetILNS1_3genE0ELNS1_11target_archE4294967295ELNS1_3gpuE0ELNS1_3repE0EEENS1_30default_config_static_selectorELNS0_4arch9wavefront6targetE0EEEvS12_.uses_flat_scratch, 0
	.set _ZN7rocprim17ROCPRIM_400000_NS6detail17trampoline_kernelINS0_13select_configILj256ELj13ELNS0_17block_load_methodE3ELS4_3ELS4_3ELNS0_20block_scan_algorithmE0ELj4294967295EEENS1_25partition_config_selectorILNS1_17partition_subalgoE4EjNS0_10empty_typeEbEEZZNS1_14partition_implILS8_4ELb0ES6_15HIP_vector_typeIjLj2EENS0_17counting_iteratorIjlEEPS9_SG_NS0_5tupleIJPjSI_NS0_16reverse_iteratorISI_EEEEENSH_IJSG_SG_SG_EEES9_SI_JZNS1_25segmented_radix_sort_implINS0_14default_configELb0EPKhPhPKlPlN2at6native12_GLOBAL__N_18offset_tEEE10hipError_tPvRmT1_PNSt15iterator_traitsIS12_E10value_typeET2_T3_PNS13_IS18_E10value_typeET4_jRbjT5_S1E_jjP12ihipStream_tbEUljE_ZNSN_ISO_Lb0ESQ_SR_ST_SU_SY_EESZ_S10_S11_S12_S16_S17_S18_S1B_S1C_jS1D_jS1E_S1E_jjS1G_bEUljE0_EEESZ_S10_S11_S18_S1C_S1E_T6_T7_T9_mT8_S1G_bDpT10_ENKUlT_T0_E_clISt17integral_constantIbLb0EES1T_IbLb1EEEEDaS1P_S1Q_EUlS1P_E_NS1_11comp_targetILNS1_3genE0ELNS1_11target_archE4294967295ELNS1_3gpuE0ELNS1_3repE0EEENS1_30default_config_static_selectorELNS0_4arch9wavefront6targetE0EEEvS12_.has_dyn_sized_stack, 0
	.set _ZN7rocprim17ROCPRIM_400000_NS6detail17trampoline_kernelINS0_13select_configILj256ELj13ELNS0_17block_load_methodE3ELS4_3ELS4_3ELNS0_20block_scan_algorithmE0ELj4294967295EEENS1_25partition_config_selectorILNS1_17partition_subalgoE4EjNS0_10empty_typeEbEEZZNS1_14partition_implILS8_4ELb0ES6_15HIP_vector_typeIjLj2EENS0_17counting_iteratorIjlEEPS9_SG_NS0_5tupleIJPjSI_NS0_16reverse_iteratorISI_EEEEENSH_IJSG_SG_SG_EEES9_SI_JZNS1_25segmented_radix_sort_implINS0_14default_configELb0EPKhPhPKlPlN2at6native12_GLOBAL__N_18offset_tEEE10hipError_tPvRmT1_PNSt15iterator_traitsIS12_E10value_typeET2_T3_PNS13_IS18_E10value_typeET4_jRbjT5_S1E_jjP12ihipStream_tbEUljE_ZNSN_ISO_Lb0ESQ_SR_ST_SU_SY_EESZ_S10_S11_S12_S16_S17_S18_S1B_S1C_jS1D_jS1E_S1E_jjS1G_bEUljE0_EEESZ_S10_S11_S18_S1C_S1E_T6_T7_T9_mT8_S1G_bDpT10_ENKUlT_T0_E_clISt17integral_constantIbLb0EES1T_IbLb1EEEEDaS1P_S1Q_EUlS1P_E_NS1_11comp_targetILNS1_3genE0ELNS1_11target_archE4294967295ELNS1_3gpuE0ELNS1_3repE0EEENS1_30default_config_static_selectorELNS0_4arch9wavefront6targetE0EEEvS12_.has_recursion, 0
	.set _ZN7rocprim17ROCPRIM_400000_NS6detail17trampoline_kernelINS0_13select_configILj256ELj13ELNS0_17block_load_methodE3ELS4_3ELS4_3ELNS0_20block_scan_algorithmE0ELj4294967295EEENS1_25partition_config_selectorILNS1_17partition_subalgoE4EjNS0_10empty_typeEbEEZZNS1_14partition_implILS8_4ELb0ES6_15HIP_vector_typeIjLj2EENS0_17counting_iteratorIjlEEPS9_SG_NS0_5tupleIJPjSI_NS0_16reverse_iteratorISI_EEEEENSH_IJSG_SG_SG_EEES9_SI_JZNS1_25segmented_radix_sort_implINS0_14default_configELb0EPKhPhPKlPlN2at6native12_GLOBAL__N_18offset_tEEE10hipError_tPvRmT1_PNSt15iterator_traitsIS12_E10value_typeET2_T3_PNS13_IS18_E10value_typeET4_jRbjT5_S1E_jjP12ihipStream_tbEUljE_ZNSN_ISO_Lb0ESQ_SR_ST_SU_SY_EESZ_S10_S11_S12_S16_S17_S18_S1B_S1C_jS1D_jS1E_S1E_jjS1G_bEUljE0_EEESZ_S10_S11_S18_S1C_S1E_T6_T7_T9_mT8_S1G_bDpT10_ENKUlT_T0_E_clISt17integral_constantIbLb0EES1T_IbLb1EEEEDaS1P_S1Q_EUlS1P_E_NS1_11comp_targetILNS1_3genE0ELNS1_11target_archE4294967295ELNS1_3gpuE0ELNS1_3repE0EEENS1_30default_config_static_selectorELNS0_4arch9wavefront6targetE0EEEvS12_.has_indirect_call, 0
	.section	.AMDGPU.csdata,"",@progbits
; Kernel info:
; codeLenInByte = 0
; TotalNumSgprs: 0
; NumVgprs: 0
; ScratchSize: 0
; MemoryBound: 0
; FloatMode: 240
; IeeeMode: 1
; LDSByteSize: 0 bytes/workgroup (compile time only)
; SGPRBlocks: 0
; VGPRBlocks: 0
; NumSGPRsForWavesPerEU: 1
; NumVGPRsForWavesPerEU: 1
; Occupancy: 16
; WaveLimiterHint : 0
; COMPUTE_PGM_RSRC2:SCRATCH_EN: 0
; COMPUTE_PGM_RSRC2:USER_SGPR: 2
; COMPUTE_PGM_RSRC2:TRAP_HANDLER: 0
; COMPUTE_PGM_RSRC2:TGID_X_EN: 1
; COMPUTE_PGM_RSRC2:TGID_Y_EN: 0
; COMPUTE_PGM_RSRC2:TGID_Z_EN: 0
; COMPUTE_PGM_RSRC2:TIDIG_COMP_CNT: 0
	.section	.text._ZN7rocprim17ROCPRIM_400000_NS6detail17trampoline_kernelINS0_13select_configILj256ELj13ELNS0_17block_load_methodE3ELS4_3ELS4_3ELNS0_20block_scan_algorithmE0ELj4294967295EEENS1_25partition_config_selectorILNS1_17partition_subalgoE4EjNS0_10empty_typeEbEEZZNS1_14partition_implILS8_4ELb0ES6_15HIP_vector_typeIjLj2EENS0_17counting_iteratorIjlEEPS9_SG_NS0_5tupleIJPjSI_NS0_16reverse_iteratorISI_EEEEENSH_IJSG_SG_SG_EEES9_SI_JZNS1_25segmented_radix_sort_implINS0_14default_configELb0EPKhPhPKlPlN2at6native12_GLOBAL__N_18offset_tEEE10hipError_tPvRmT1_PNSt15iterator_traitsIS12_E10value_typeET2_T3_PNS13_IS18_E10value_typeET4_jRbjT5_S1E_jjP12ihipStream_tbEUljE_ZNSN_ISO_Lb0ESQ_SR_ST_SU_SY_EESZ_S10_S11_S12_S16_S17_S18_S1B_S1C_jS1D_jS1E_S1E_jjS1G_bEUljE0_EEESZ_S10_S11_S18_S1C_S1E_T6_T7_T9_mT8_S1G_bDpT10_ENKUlT_T0_E_clISt17integral_constantIbLb0EES1T_IbLb1EEEEDaS1P_S1Q_EUlS1P_E_NS1_11comp_targetILNS1_3genE5ELNS1_11target_archE942ELNS1_3gpuE9ELNS1_3repE0EEENS1_30default_config_static_selectorELNS0_4arch9wavefront6targetE0EEEvS12_,"axG",@progbits,_ZN7rocprim17ROCPRIM_400000_NS6detail17trampoline_kernelINS0_13select_configILj256ELj13ELNS0_17block_load_methodE3ELS4_3ELS4_3ELNS0_20block_scan_algorithmE0ELj4294967295EEENS1_25partition_config_selectorILNS1_17partition_subalgoE4EjNS0_10empty_typeEbEEZZNS1_14partition_implILS8_4ELb0ES6_15HIP_vector_typeIjLj2EENS0_17counting_iteratorIjlEEPS9_SG_NS0_5tupleIJPjSI_NS0_16reverse_iteratorISI_EEEEENSH_IJSG_SG_SG_EEES9_SI_JZNS1_25segmented_radix_sort_implINS0_14default_configELb0EPKhPhPKlPlN2at6native12_GLOBAL__N_18offset_tEEE10hipError_tPvRmT1_PNSt15iterator_traitsIS12_E10value_typeET2_T3_PNS13_IS18_E10value_typeET4_jRbjT5_S1E_jjP12ihipStream_tbEUljE_ZNSN_ISO_Lb0ESQ_SR_ST_SU_SY_EESZ_S10_S11_S12_S16_S17_S18_S1B_S1C_jS1D_jS1E_S1E_jjS1G_bEUljE0_EEESZ_S10_S11_S18_S1C_S1E_T6_T7_T9_mT8_S1G_bDpT10_ENKUlT_T0_E_clISt17integral_constantIbLb0EES1T_IbLb1EEEEDaS1P_S1Q_EUlS1P_E_NS1_11comp_targetILNS1_3genE5ELNS1_11target_archE942ELNS1_3gpuE9ELNS1_3repE0EEENS1_30default_config_static_selectorELNS0_4arch9wavefront6targetE0EEEvS12_,comdat
	.globl	_ZN7rocprim17ROCPRIM_400000_NS6detail17trampoline_kernelINS0_13select_configILj256ELj13ELNS0_17block_load_methodE3ELS4_3ELS4_3ELNS0_20block_scan_algorithmE0ELj4294967295EEENS1_25partition_config_selectorILNS1_17partition_subalgoE4EjNS0_10empty_typeEbEEZZNS1_14partition_implILS8_4ELb0ES6_15HIP_vector_typeIjLj2EENS0_17counting_iteratorIjlEEPS9_SG_NS0_5tupleIJPjSI_NS0_16reverse_iteratorISI_EEEEENSH_IJSG_SG_SG_EEES9_SI_JZNS1_25segmented_radix_sort_implINS0_14default_configELb0EPKhPhPKlPlN2at6native12_GLOBAL__N_18offset_tEEE10hipError_tPvRmT1_PNSt15iterator_traitsIS12_E10value_typeET2_T3_PNS13_IS18_E10value_typeET4_jRbjT5_S1E_jjP12ihipStream_tbEUljE_ZNSN_ISO_Lb0ESQ_SR_ST_SU_SY_EESZ_S10_S11_S12_S16_S17_S18_S1B_S1C_jS1D_jS1E_S1E_jjS1G_bEUljE0_EEESZ_S10_S11_S18_S1C_S1E_T6_T7_T9_mT8_S1G_bDpT10_ENKUlT_T0_E_clISt17integral_constantIbLb0EES1T_IbLb1EEEEDaS1P_S1Q_EUlS1P_E_NS1_11comp_targetILNS1_3genE5ELNS1_11target_archE942ELNS1_3gpuE9ELNS1_3repE0EEENS1_30default_config_static_selectorELNS0_4arch9wavefront6targetE0EEEvS12_ ; -- Begin function _ZN7rocprim17ROCPRIM_400000_NS6detail17trampoline_kernelINS0_13select_configILj256ELj13ELNS0_17block_load_methodE3ELS4_3ELS4_3ELNS0_20block_scan_algorithmE0ELj4294967295EEENS1_25partition_config_selectorILNS1_17partition_subalgoE4EjNS0_10empty_typeEbEEZZNS1_14partition_implILS8_4ELb0ES6_15HIP_vector_typeIjLj2EENS0_17counting_iteratorIjlEEPS9_SG_NS0_5tupleIJPjSI_NS0_16reverse_iteratorISI_EEEEENSH_IJSG_SG_SG_EEES9_SI_JZNS1_25segmented_radix_sort_implINS0_14default_configELb0EPKhPhPKlPlN2at6native12_GLOBAL__N_18offset_tEEE10hipError_tPvRmT1_PNSt15iterator_traitsIS12_E10value_typeET2_T3_PNS13_IS18_E10value_typeET4_jRbjT5_S1E_jjP12ihipStream_tbEUljE_ZNSN_ISO_Lb0ESQ_SR_ST_SU_SY_EESZ_S10_S11_S12_S16_S17_S18_S1B_S1C_jS1D_jS1E_S1E_jjS1G_bEUljE0_EEESZ_S10_S11_S18_S1C_S1E_T6_T7_T9_mT8_S1G_bDpT10_ENKUlT_T0_E_clISt17integral_constantIbLb0EES1T_IbLb1EEEEDaS1P_S1Q_EUlS1P_E_NS1_11comp_targetILNS1_3genE5ELNS1_11target_archE942ELNS1_3gpuE9ELNS1_3repE0EEENS1_30default_config_static_selectorELNS0_4arch9wavefront6targetE0EEEvS12_
	.p2align	8
	.type	_ZN7rocprim17ROCPRIM_400000_NS6detail17trampoline_kernelINS0_13select_configILj256ELj13ELNS0_17block_load_methodE3ELS4_3ELS4_3ELNS0_20block_scan_algorithmE0ELj4294967295EEENS1_25partition_config_selectorILNS1_17partition_subalgoE4EjNS0_10empty_typeEbEEZZNS1_14partition_implILS8_4ELb0ES6_15HIP_vector_typeIjLj2EENS0_17counting_iteratorIjlEEPS9_SG_NS0_5tupleIJPjSI_NS0_16reverse_iteratorISI_EEEEENSH_IJSG_SG_SG_EEES9_SI_JZNS1_25segmented_radix_sort_implINS0_14default_configELb0EPKhPhPKlPlN2at6native12_GLOBAL__N_18offset_tEEE10hipError_tPvRmT1_PNSt15iterator_traitsIS12_E10value_typeET2_T3_PNS13_IS18_E10value_typeET4_jRbjT5_S1E_jjP12ihipStream_tbEUljE_ZNSN_ISO_Lb0ESQ_SR_ST_SU_SY_EESZ_S10_S11_S12_S16_S17_S18_S1B_S1C_jS1D_jS1E_S1E_jjS1G_bEUljE0_EEESZ_S10_S11_S18_S1C_S1E_T6_T7_T9_mT8_S1G_bDpT10_ENKUlT_T0_E_clISt17integral_constantIbLb0EES1T_IbLb1EEEEDaS1P_S1Q_EUlS1P_E_NS1_11comp_targetILNS1_3genE5ELNS1_11target_archE942ELNS1_3gpuE9ELNS1_3repE0EEENS1_30default_config_static_selectorELNS0_4arch9wavefront6targetE0EEEvS12_,@function
_ZN7rocprim17ROCPRIM_400000_NS6detail17trampoline_kernelINS0_13select_configILj256ELj13ELNS0_17block_load_methodE3ELS4_3ELS4_3ELNS0_20block_scan_algorithmE0ELj4294967295EEENS1_25partition_config_selectorILNS1_17partition_subalgoE4EjNS0_10empty_typeEbEEZZNS1_14partition_implILS8_4ELb0ES6_15HIP_vector_typeIjLj2EENS0_17counting_iteratorIjlEEPS9_SG_NS0_5tupleIJPjSI_NS0_16reverse_iteratorISI_EEEEENSH_IJSG_SG_SG_EEES9_SI_JZNS1_25segmented_radix_sort_implINS0_14default_configELb0EPKhPhPKlPlN2at6native12_GLOBAL__N_18offset_tEEE10hipError_tPvRmT1_PNSt15iterator_traitsIS12_E10value_typeET2_T3_PNS13_IS18_E10value_typeET4_jRbjT5_S1E_jjP12ihipStream_tbEUljE_ZNSN_ISO_Lb0ESQ_SR_ST_SU_SY_EESZ_S10_S11_S12_S16_S17_S18_S1B_S1C_jS1D_jS1E_S1E_jjS1G_bEUljE0_EEESZ_S10_S11_S18_S1C_S1E_T6_T7_T9_mT8_S1G_bDpT10_ENKUlT_T0_E_clISt17integral_constantIbLb0EES1T_IbLb1EEEEDaS1P_S1Q_EUlS1P_E_NS1_11comp_targetILNS1_3genE5ELNS1_11target_archE942ELNS1_3gpuE9ELNS1_3repE0EEENS1_30default_config_static_selectorELNS0_4arch9wavefront6targetE0EEEvS12_: ; @_ZN7rocprim17ROCPRIM_400000_NS6detail17trampoline_kernelINS0_13select_configILj256ELj13ELNS0_17block_load_methodE3ELS4_3ELS4_3ELNS0_20block_scan_algorithmE0ELj4294967295EEENS1_25partition_config_selectorILNS1_17partition_subalgoE4EjNS0_10empty_typeEbEEZZNS1_14partition_implILS8_4ELb0ES6_15HIP_vector_typeIjLj2EENS0_17counting_iteratorIjlEEPS9_SG_NS0_5tupleIJPjSI_NS0_16reverse_iteratorISI_EEEEENSH_IJSG_SG_SG_EEES9_SI_JZNS1_25segmented_radix_sort_implINS0_14default_configELb0EPKhPhPKlPlN2at6native12_GLOBAL__N_18offset_tEEE10hipError_tPvRmT1_PNSt15iterator_traitsIS12_E10value_typeET2_T3_PNS13_IS18_E10value_typeET4_jRbjT5_S1E_jjP12ihipStream_tbEUljE_ZNSN_ISO_Lb0ESQ_SR_ST_SU_SY_EESZ_S10_S11_S12_S16_S17_S18_S1B_S1C_jS1D_jS1E_S1E_jjS1G_bEUljE0_EEESZ_S10_S11_S18_S1C_S1E_T6_T7_T9_mT8_S1G_bDpT10_ENKUlT_T0_E_clISt17integral_constantIbLb0EES1T_IbLb1EEEEDaS1P_S1Q_EUlS1P_E_NS1_11comp_targetILNS1_3genE5ELNS1_11target_archE942ELNS1_3gpuE9ELNS1_3repE0EEENS1_30default_config_static_selectorELNS0_4arch9wavefront6targetE0EEEvS12_
; %bb.0:
	.section	.rodata,"a",@progbits
	.p2align	6, 0x0
	.amdhsa_kernel _ZN7rocprim17ROCPRIM_400000_NS6detail17trampoline_kernelINS0_13select_configILj256ELj13ELNS0_17block_load_methodE3ELS4_3ELS4_3ELNS0_20block_scan_algorithmE0ELj4294967295EEENS1_25partition_config_selectorILNS1_17partition_subalgoE4EjNS0_10empty_typeEbEEZZNS1_14partition_implILS8_4ELb0ES6_15HIP_vector_typeIjLj2EENS0_17counting_iteratorIjlEEPS9_SG_NS0_5tupleIJPjSI_NS0_16reverse_iteratorISI_EEEEENSH_IJSG_SG_SG_EEES9_SI_JZNS1_25segmented_radix_sort_implINS0_14default_configELb0EPKhPhPKlPlN2at6native12_GLOBAL__N_18offset_tEEE10hipError_tPvRmT1_PNSt15iterator_traitsIS12_E10value_typeET2_T3_PNS13_IS18_E10value_typeET4_jRbjT5_S1E_jjP12ihipStream_tbEUljE_ZNSN_ISO_Lb0ESQ_SR_ST_SU_SY_EESZ_S10_S11_S12_S16_S17_S18_S1B_S1C_jS1D_jS1E_S1E_jjS1G_bEUljE0_EEESZ_S10_S11_S18_S1C_S1E_T6_T7_T9_mT8_S1G_bDpT10_ENKUlT_T0_E_clISt17integral_constantIbLb0EES1T_IbLb1EEEEDaS1P_S1Q_EUlS1P_E_NS1_11comp_targetILNS1_3genE5ELNS1_11target_archE942ELNS1_3gpuE9ELNS1_3repE0EEENS1_30default_config_static_selectorELNS0_4arch9wavefront6targetE0EEEvS12_
		.amdhsa_group_segment_fixed_size 0
		.amdhsa_private_segment_fixed_size 0
		.amdhsa_kernarg_size 184
		.amdhsa_user_sgpr_count 2
		.amdhsa_user_sgpr_dispatch_ptr 0
		.amdhsa_user_sgpr_queue_ptr 0
		.amdhsa_user_sgpr_kernarg_segment_ptr 1
		.amdhsa_user_sgpr_dispatch_id 0
		.amdhsa_user_sgpr_private_segment_size 0
		.amdhsa_wavefront_size32 1
		.amdhsa_uses_dynamic_stack 0
		.amdhsa_enable_private_segment 0
		.amdhsa_system_sgpr_workgroup_id_x 1
		.amdhsa_system_sgpr_workgroup_id_y 0
		.amdhsa_system_sgpr_workgroup_id_z 0
		.amdhsa_system_sgpr_workgroup_info 0
		.amdhsa_system_vgpr_workitem_id 0
		.amdhsa_next_free_vgpr 1
		.amdhsa_next_free_sgpr 1
		.amdhsa_reserve_vcc 0
		.amdhsa_float_round_mode_32 0
		.amdhsa_float_round_mode_16_64 0
		.amdhsa_float_denorm_mode_32 3
		.amdhsa_float_denorm_mode_16_64 3
		.amdhsa_fp16_overflow 0
		.amdhsa_workgroup_processor_mode 1
		.amdhsa_memory_ordered 1
		.amdhsa_forward_progress 1
		.amdhsa_inst_pref_size 0
		.amdhsa_round_robin_scheduling 0
		.amdhsa_exception_fp_ieee_invalid_op 0
		.amdhsa_exception_fp_denorm_src 0
		.amdhsa_exception_fp_ieee_div_zero 0
		.amdhsa_exception_fp_ieee_overflow 0
		.amdhsa_exception_fp_ieee_underflow 0
		.amdhsa_exception_fp_ieee_inexact 0
		.amdhsa_exception_int_div_zero 0
	.end_amdhsa_kernel
	.section	.text._ZN7rocprim17ROCPRIM_400000_NS6detail17trampoline_kernelINS0_13select_configILj256ELj13ELNS0_17block_load_methodE3ELS4_3ELS4_3ELNS0_20block_scan_algorithmE0ELj4294967295EEENS1_25partition_config_selectorILNS1_17partition_subalgoE4EjNS0_10empty_typeEbEEZZNS1_14partition_implILS8_4ELb0ES6_15HIP_vector_typeIjLj2EENS0_17counting_iteratorIjlEEPS9_SG_NS0_5tupleIJPjSI_NS0_16reverse_iteratorISI_EEEEENSH_IJSG_SG_SG_EEES9_SI_JZNS1_25segmented_radix_sort_implINS0_14default_configELb0EPKhPhPKlPlN2at6native12_GLOBAL__N_18offset_tEEE10hipError_tPvRmT1_PNSt15iterator_traitsIS12_E10value_typeET2_T3_PNS13_IS18_E10value_typeET4_jRbjT5_S1E_jjP12ihipStream_tbEUljE_ZNSN_ISO_Lb0ESQ_SR_ST_SU_SY_EESZ_S10_S11_S12_S16_S17_S18_S1B_S1C_jS1D_jS1E_S1E_jjS1G_bEUljE0_EEESZ_S10_S11_S18_S1C_S1E_T6_T7_T9_mT8_S1G_bDpT10_ENKUlT_T0_E_clISt17integral_constantIbLb0EES1T_IbLb1EEEEDaS1P_S1Q_EUlS1P_E_NS1_11comp_targetILNS1_3genE5ELNS1_11target_archE942ELNS1_3gpuE9ELNS1_3repE0EEENS1_30default_config_static_selectorELNS0_4arch9wavefront6targetE0EEEvS12_,"axG",@progbits,_ZN7rocprim17ROCPRIM_400000_NS6detail17trampoline_kernelINS0_13select_configILj256ELj13ELNS0_17block_load_methodE3ELS4_3ELS4_3ELNS0_20block_scan_algorithmE0ELj4294967295EEENS1_25partition_config_selectorILNS1_17partition_subalgoE4EjNS0_10empty_typeEbEEZZNS1_14partition_implILS8_4ELb0ES6_15HIP_vector_typeIjLj2EENS0_17counting_iteratorIjlEEPS9_SG_NS0_5tupleIJPjSI_NS0_16reverse_iteratorISI_EEEEENSH_IJSG_SG_SG_EEES9_SI_JZNS1_25segmented_radix_sort_implINS0_14default_configELb0EPKhPhPKlPlN2at6native12_GLOBAL__N_18offset_tEEE10hipError_tPvRmT1_PNSt15iterator_traitsIS12_E10value_typeET2_T3_PNS13_IS18_E10value_typeET4_jRbjT5_S1E_jjP12ihipStream_tbEUljE_ZNSN_ISO_Lb0ESQ_SR_ST_SU_SY_EESZ_S10_S11_S12_S16_S17_S18_S1B_S1C_jS1D_jS1E_S1E_jjS1G_bEUljE0_EEESZ_S10_S11_S18_S1C_S1E_T6_T7_T9_mT8_S1G_bDpT10_ENKUlT_T0_E_clISt17integral_constantIbLb0EES1T_IbLb1EEEEDaS1P_S1Q_EUlS1P_E_NS1_11comp_targetILNS1_3genE5ELNS1_11target_archE942ELNS1_3gpuE9ELNS1_3repE0EEENS1_30default_config_static_selectorELNS0_4arch9wavefront6targetE0EEEvS12_,comdat
.Lfunc_end147:
	.size	_ZN7rocprim17ROCPRIM_400000_NS6detail17trampoline_kernelINS0_13select_configILj256ELj13ELNS0_17block_load_methodE3ELS4_3ELS4_3ELNS0_20block_scan_algorithmE0ELj4294967295EEENS1_25partition_config_selectorILNS1_17partition_subalgoE4EjNS0_10empty_typeEbEEZZNS1_14partition_implILS8_4ELb0ES6_15HIP_vector_typeIjLj2EENS0_17counting_iteratorIjlEEPS9_SG_NS0_5tupleIJPjSI_NS0_16reverse_iteratorISI_EEEEENSH_IJSG_SG_SG_EEES9_SI_JZNS1_25segmented_radix_sort_implINS0_14default_configELb0EPKhPhPKlPlN2at6native12_GLOBAL__N_18offset_tEEE10hipError_tPvRmT1_PNSt15iterator_traitsIS12_E10value_typeET2_T3_PNS13_IS18_E10value_typeET4_jRbjT5_S1E_jjP12ihipStream_tbEUljE_ZNSN_ISO_Lb0ESQ_SR_ST_SU_SY_EESZ_S10_S11_S12_S16_S17_S18_S1B_S1C_jS1D_jS1E_S1E_jjS1G_bEUljE0_EEESZ_S10_S11_S18_S1C_S1E_T6_T7_T9_mT8_S1G_bDpT10_ENKUlT_T0_E_clISt17integral_constantIbLb0EES1T_IbLb1EEEEDaS1P_S1Q_EUlS1P_E_NS1_11comp_targetILNS1_3genE5ELNS1_11target_archE942ELNS1_3gpuE9ELNS1_3repE0EEENS1_30default_config_static_selectorELNS0_4arch9wavefront6targetE0EEEvS12_, .Lfunc_end147-_ZN7rocprim17ROCPRIM_400000_NS6detail17trampoline_kernelINS0_13select_configILj256ELj13ELNS0_17block_load_methodE3ELS4_3ELS4_3ELNS0_20block_scan_algorithmE0ELj4294967295EEENS1_25partition_config_selectorILNS1_17partition_subalgoE4EjNS0_10empty_typeEbEEZZNS1_14partition_implILS8_4ELb0ES6_15HIP_vector_typeIjLj2EENS0_17counting_iteratorIjlEEPS9_SG_NS0_5tupleIJPjSI_NS0_16reverse_iteratorISI_EEEEENSH_IJSG_SG_SG_EEES9_SI_JZNS1_25segmented_radix_sort_implINS0_14default_configELb0EPKhPhPKlPlN2at6native12_GLOBAL__N_18offset_tEEE10hipError_tPvRmT1_PNSt15iterator_traitsIS12_E10value_typeET2_T3_PNS13_IS18_E10value_typeET4_jRbjT5_S1E_jjP12ihipStream_tbEUljE_ZNSN_ISO_Lb0ESQ_SR_ST_SU_SY_EESZ_S10_S11_S12_S16_S17_S18_S1B_S1C_jS1D_jS1E_S1E_jjS1G_bEUljE0_EEESZ_S10_S11_S18_S1C_S1E_T6_T7_T9_mT8_S1G_bDpT10_ENKUlT_T0_E_clISt17integral_constantIbLb0EES1T_IbLb1EEEEDaS1P_S1Q_EUlS1P_E_NS1_11comp_targetILNS1_3genE5ELNS1_11target_archE942ELNS1_3gpuE9ELNS1_3repE0EEENS1_30default_config_static_selectorELNS0_4arch9wavefront6targetE0EEEvS12_
                                        ; -- End function
	.set _ZN7rocprim17ROCPRIM_400000_NS6detail17trampoline_kernelINS0_13select_configILj256ELj13ELNS0_17block_load_methodE3ELS4_3ELS4_3ELNS0_20block_scan_algorithmE0ELj4294967295EEENS1_25partition_config_selectorILNS1_17partition_subalgoE4EjNS0_10empty_typeEbEEZZNS1_14partition_implILS8_4ELb0ES6_15HIP_vector_typeIjLj2EENS0_17counting_iteratorIjlEEPS9_SG_NS0_5tupleIJPjSI_NS0_16reverse_iteratorISI_EEEEENSH_IJSG_SG_SG_EEES9_SI_JZNS1_25segmented_radix_sort_implINS0_14default_configELb0EPKhPhPKlPlN2at6native12_GLOBAL__N_18offset_tEEE10hipError_tPvRmT1_PNSt15iterator_traitsIS12_E10value_typeET2_T3_PNS13_IS18_E10value_typeET4_jRbjT5_S1E_jjP12ihipStream_tbEUljE_ZNSN_ISO_Lb0ESQ_SR_ST_SU_SY_EESZ_S10_S11_S12_S16_S17_S18_S1B_S1C_jS1D_jS1E_S1E_jjS1G_bEUljE0_EEESZ_S10_S11_S18_S1C_S1E_T6_T7_T9_mT8_S1G_bDpT10_ENKUlT_T0_E_clISt17integral_constantIbLb0EES1T_IbLb1EEEEDaS1P_S1Q_EUlS1P_E_NS1_11comp_targetILNS1_3genE5ELNS1_11target_archE942ELNS1_3gpuE9ELNS1_3repE0EEENS1_30default_config_static_selectorELNS0_4arch9wavefront6targetE0EEEvS12_.num_vgpr, 0
	.set _ZN7rocprim17ROCPRIM_400000_NS6detail17trampoline_kernelINS0_13select_configILj256ELj13ELNS0_17block_load_methodE3ELS4_3ELS4_3ELNS0_20block_scan_algorithmE0ELj4294967295EEENS1_25partition_config_selectorILNS1_17partition_subalgoE4EjNS0_10empty_typeEbEEZZNS1_14partition_implILS8_4ELb0ES6_15HIP_vector_typeIjLj2EENS0_17counting_iteratorIjlEEPS9_SG_NS0_5tupleIJPjSI_NS0_16reverse_iteratorISI_EEEEENSH_IJSG_SG_SG_EEES9_SI_JZNS1_25segmented_radix_sort_implINS0_14default_configELb0EPKhPhPKlPlN2at6native12_GLOBAL__N_18offset_tEEE10hipError_tPvRmT1_PNSt15iterator_traitsIS12_E10value_typeET2_T3_PNS13_IS18_E10value_typeET4_jRbjT5_S1E_jjP12ihipStream_tbEUljE_ZNSN_ISO_Lb0ESQ_SR_ST_SU_SY_EESZ_S10_S11_S12_S16_S17_S18_S1B_S1C_jS1D_jS1E_S1E_jjS1G_bEUljE0_EEESZ_S10_S11_S18_S1C_S1E_T6_T7_T9_mT8_S1G_bDpT10_ENKUlT_T0_E_clISt17integral_constantIbLb0EES1T_IbLb1EEEEDaS1P_S1Q_EUlS1P_E_NS1_11comp_targetILNS1_3genE5ELNS1_11target_archE942ELNS1_3gpuE9ELNS1_3repE0EEENS1_30default_config_static_selectorELNS0_4arch9wavefront6targetE0EEEvS12_.num_agpr, 0
	.set _ZN7rocprim17ROCPRIM_400000_NS6detail17trampoline_kernelINS0_13select_configILj256ELj13ELNS0_17block_load_methodE3ELS4_3ELS4_3ELNS0_20block_scan_algorithmE0ELj4294967295EEENS1_25partition_config_selectorILNS1_17partition_subalgoE4EjNS0_10empty_typeEbEEZZNS1_14partition_implILS8_4ELb0ES6_15HIP_vector_typeIjLj2EENS0_17counting_iteratorIjlEEPS9_SG_NS0_5tupleIJPjSI_NS0_16reverse_iteratorISI_EEEEENSH_IJSG_SG_SG_EEES9_SI_JZNS1_25segmented_radix_sort_implINS0_14default_configELb0EPKhPhPKlPlN2at6native12_GLOBAL__N_18offset_tEEE10hipError_tPvRmT1_PNSt15iterator_traitsIS12_E10value_typeET2_T3_PNS13_IS18_E10value_typeET4_jRbjT5_S1E_jjP12ihipStream_tbEUljE_ZNSN_ISO_Lb0ESQ_SR_ST_SU_SY_EESZ_S10_S11_S12_S16_S17_S18_S1B_S1C_jS1D_jS1E_S1E_jjS1G_bEUljE0_EEESZ_S10_S11_S18_S1C_S1E_T6_T7_T9_mT8_S1G_bDpT10_ENKUlT_T0_E_clISt17integral_constantIbLb0EES1T_IbLb1EEEEDaS1P_S1Q_EUlS1P_E_NS1_11comp_targetILNS1_3genE5ELNS1_11target_archE942ELNS1_3gpuE9ELNS1_3repE0EEENS1_30default_config_static_selectorELNS0_4arch9wavefront6targetE0EEEvS12_.numbered_sgpr, 0
	.set _ZN7rocprim17ROCPRIM_400000_NS6detail17trampoline_kernelINS0_13select_configILj256ELj13ELNS0_17block_load_methodE3ELS4_3ELS4_3ELNS0_20block_scan_algorithmE0ELj4294967295EEENS1_25partition_config_selectorILNS1_17partition_subalgoE4EjNS0_10empty_typeEbEEZZNS1_14partition_implILS8_4ELb0ES6_15HIP_vector_typeIjLj2EENS0_17counting_iteratorIjlEEPS9_SG_NS0_5tupleIJPjSI_NS0_16reverse_iteratorISI_EEEEENSH_IJSG_SG_SG_EEES9_SI_JZNS1_25segmented_radix_sort_implINS0_14default_configELb0EPKhPhPKlPlN2at6native12_GLOBAL__N_18offset_tEEE10hipError_tPvRmT1_PNSt15iterator_traitsIS12_E10value_typeET2_T3_PNS13_IS18_E10value_typeET4_jRbjT5_S1E_jjP12ihipStream_tbEUljE_ZNSN_ISO_Lb0ESQ_SR_ST_SU_SY_EESZ_S10_S11_S12_S16_S17_S18_S1B_S1C_jS1D_jS1E_S1E_jjS1G_bEUljE0_EEESZ_S10_S11_S18_S1C_S1E_T6_T7_T9_mT8_S1G_bDpT10_ENKUlT_T0_E_clISt17integral_constantIbLb0EES1T_IbLb1EEEEDaS1P_S1Q_EUlS1P_E_NS1_11comp_targetILNS1_3genE5ELNS1_11target_archE942ELNS1_3gpuE9ELNS1_3repE0EEENS1_30default_config_static_selectorELNS0_4arch9wavefront6targetE0EEEvS12_.num_named_barrier, 0
	.set _ZN7rocprim17ROCPRIM_400000_NS6detail17trampoline_kernelINS0_13select_configILj256ELj13ELNS0_17block_load_methodE3ELS4_3ELS4_3ELNS0_20block_scan_algorithmE0ELj4294967295EEENS1_25partition_config_selectorILNS1_17partition_subalgoE4EjNS0_10empty_typeEbEEZZNS1_14partition_implILS8_4ELb0ES6_15HIP_vector_typeIjLj2EENS0_17counting_iteratorIjlEEPS9_SG_NS0_5tupleIJPjSI_NS0_16reverse_iteratorISI_EEEEENSH_IJSG_SG_SG_EEES9_SI_JZNS1_25segmented_radix_sort_implINS0_14default_configELb0EPKhPhPKlPlN2at6native12_GLOBAL__N_18offset_tEEE10hipError_tPvRmT1_PNSt15iterator_traitsIS12_E10value_typeET2_T3_PNS13_IS18_E10value_typeET4_jRbjT5_S1E_jjP12ihipStream_tbEUljE_ZNSN_ISO_Lb0ESQ_SR_ST_SU_SY_EESZ_S10_S11_S12_S16_S17_S18_S1B_S1C_jS1D_jS1E_S1E_jjS1G_bEUljE0_EEESZ_S10_S11_S18_S1C_S1E_T6_T7_T9_mT8_S1G_bDpT10_ENKUlT_T0_E_clISt17integral_constantIbLb0EES1T_IbLb1EEEEDaS1P_S1Q_EUlS1P_E_NS1_11comp_targetILNS1_3genE5ELNS1_11target_archE942ELNS1_3gpuE9ELNS1_3repE0EEENS1_30default_config_static_selectorELNS0_4arch9wavefront6targetE0EEEvS12_.private_seg_size, 0
	.set _ZN7rocprim17ROCPRIM_400000_NS6detail17trampoline_kernelINS0_13select_configILj256ELj13ELNS0_17block_load_methodE3ELS4_3ELS4_3ELNS0_20block_scan_algorithmE0ELj4294967295EEENS1_25partition_config_selectorILNS1_17partition_subalgoE4EjNS0_10empty_typeEbEEZZNS1_14partition_implILS8_4ELb0ES6_15HIP_vector_typeIjLj2EENS0_17counting_iteratorIjlEEPS9_SG_NS0_5tupleIJPjSI_NS0_16reverse_iteratorISI_EEEEENSH_IJSG_SG_SG_EEES9_SI_JZNS1_25segmented_radix_sort_implINS0_14default_configELb0EPKhPhPKlPlN2at6native12_GLOBAL__N_18offset_tEEE10hipError_tPvRmT1_PNSt15iterator_traitsIS12_E10value_typeET2_T3_PNS13_IS18_E10value_typeET4_jRbjT5_S1E_jjP12ihipStream_tbEUljE_ZNSN_ISO_Lb0ESQ_SR_ST_SU_SY_EESZ_S10_S11_S12_S16_S17_S18_S1B_S1C_jS1D_jS1E_S1E_jjS1G_bEUljE0_EEESZ_S10_S11_S18_S1C_S1E_T6_T7_T9_mT8_S1G_bDpT10_ENKUlT_T0_E_clISt17integral_constantIbLb0EES1T_IbLb1EEEEDaS1P_S1Q_EUlS1P_E_NS1_11comp_targetILNS1_3genE5ELNS1_11target_archE942ELNS1_3gpuE9ELNS1_3repE0EEENS1_30default_config_static_selectorELNS0_4arch9wavefront6targetE0EEEvS12_.uses_vcc, 0
	.set _ZN7rocprim17ROCPRIM_400000_NS6detail17trampoline_kernelINS0_13select_configILj256ELj13ELNS0_17block_load_methodE3ELS4_3ELS4_3ELNS0_20block_scan_algorithmE0ELj4294967295EEENS1_25partition_config_selectorILNS1_17partition_subalgoE4EjNS0_10empty_typeEbEEZZNS1_14partition_implILS8_4ELb0ES6_15HIP_vector_typeIjLj2EENS0_17counting_iteratorIjlEEPS9_SG_NS0_5tupleIJPjSI_NS0_16reverse_iteratorISI_EEEEENSH_IJSG_SG_SG_EEES9_SI_JZNS1_25segmented_radix_sort_implINS0_14default_configELb0EPKhPhPKlPlN2at6native12_GLOBAL__N_18offset_tEEE10hipError_tPvRmT1_PNSt15iterator_traitsIS12_E10value_typeET2_T3_PNS13_IS18_E10value_typeET4_jRbjT5_S1E_jjP12ihipStream_tbEUljE_ZNSN_ISO_Lb0ESQ_SR_ST_SU_SY_EESZ_S10_S11_S12_S16_S17_S18_S1B_S1C_jS1D_jS1E_S1E_jjS1G_bEUljE0_EEESZ_S10_S11_S18_S1C_S1E_T6_T7_T9_mT8_S1G_bDpT10_ENKUlT_T0_E_clISt17integral_constantIbLb0EES1T_IbLb1EEEEDaS1P_S1Q_EUlS1P_E_NS1_11comp_targetILNS1_3genE5ELNS1_11target_archE942ELNS1_3gpuE9ELNS1_3repE0EEENS1_30default_config_static_selectorELNS0_4arch9wavefront6targetE0EEEvS12_.uses_flat_scratch, 0
	.set _ZN7rocprim17ROCPRIM_400000_NS6detail17trampoline_kernelINS0_13select_configILj256ELj13ELNS0_17block_load_methodE3ELS4_3ELS4_3ELNS0_20block_scan_algorithmE0ELj4294967295EEENS1_25partition_config_selectorILNS1_17partition_subalgoE4EjNS0_10empty_typeEbEEZZNS1_14partition_implILS8_4ELb0ES6_15HIP_vector_typeIjLj2EENS0_17counting_iteratorIjlEEPS9_SG_NS0_5tupleIJPjSI_NS0_16reverse_iteratorISI_EEEEENSH_IJSG_SG_SG_EEES9_SI_JZNS1_25segmented_radix_sort_implINS0_14default_configELb0EPKhPhPKlPlN2at6native12_GLOBAL__N_18offset_tEEE10hipError_tPvRmT1_PNSt15iterator_traitsIS12_E10value_typeET2_T3_PNS13_IS18_E10value_typeET4_jRbjT5_S1E_jjP12ihipStream_tbEUljE_ZNSN_ISO_Lb0ESQ_SR_ST_SU_SY_EESZ_S10_S11_S12_S16_S17_S18_S1B_S1C_jS1D_jS1E_S1E_jjS1G_bEUljE0_EEESZ_S10_S11_S18_S1C_S1E_T6_T7_T9_mT8_S1G_bDpT10_ENKUlT_T0_E_clISt17integral_constantIbLb0EES1T_IbLb1EEEEDaS1P_S1Q_EUlS1P_E_NS1_11comp_targetILNS1_3genE5ELNS1_11target_archE942ELNS1_3gpuE9ELNS1_3repE0EEENS1_30default_config_static_selectorELNS0_4arch9wavefront6targetE0EEEvS12_.has_dyn_sized_stack, 0
	.set _ZN7rocprim17ROCPRIM_400000_NS6detail17trampoline_kernelINS0_13select_configILj256ELj13ELNS0_17block_load_methodE3ELS4_3ELS4_3ELNS0_20block_scan_algorithmE0ELj4294967295EEENS1_25partition_config_selectorILNS1_17partition_subalgoE4EjNS0_10empty_typeEbEEZZNS1_14partition_implILS8_4ELb0ES6_15HIP_vector_typeIjLj2EENS0_17counting_iteratorIjlEEPS9_SG_NS0_5tupleIJPjSI_NS0_16reverse_iteratorISI_EEEEENSH_IJSG_SG_SG_EEES9_SI_JZNS1_25segmented_radix_sort_implINS0_14default_configELb0EPKhPhPKlPlN2at6native12_GLOBAL__N_18offset_tEEE10hipError_tPvRmT1_PNSt15iterator_traitsIS12_E10value_typeET2_T3_PNS13_IS18_E10value_typeET4_jRbjT5_S1E_jjP12ihipStream_tbEUljE_ZNSN_ISO_Lb0ESQ_SR_ST_SU_SY_EESZ_S10_S11_S12_S16_S17_S18_S1B_S1C_jS1D_jS1E_S1E_jjS1G_bEUljE0_EEESZ_S10_S11_S18_S1C_S1E_T6_T7_T9_mT8_S1G_bDpT10_ENKUlT_T0_E_clISt17integral_constantIbLb0EES1T_IbLb1EEEEDaS1P_S1Q_EUlS1P_E_NS1_11comp_targetILNS1_3genE5ELNS1_11target_archE942ELNS1_3gpuE9ELNS1_3repE0EEENS1_30default_config_static_selectorELNS0_4arch9wavefront6targetE0EEEvS12_.has_recursion, 0
	.set _ZN7rocprim17ROCPRIM_400000_NS6detail17trampoline_kernelINS0_13select_configILj256ELj13ELNS0_17block_load_methodE3ELS4_3ELS4_3ELNS0_20block_scan_algorithmE0ELj4294967295EEENS1_25partition_config_selectorILNS1_17partition_subalgoE4EjNS0_10empty_typeEbEEZZNS1_14partition_implILS8_4ELb0ES6_15HIP_vector_typeIjLj2EENS0_17counting_iteratorIjlEEPS9_SG_NS0_5tupleIJPjSI_NS0_16reverse_iteratorISI_EEEEENSH_IJSG_SG_SG_EEES9_SI_JZNS1_25segmented_radix_sort_implINS0_14default_configELb0EPKhPhPKlPlN2at6native12_GLOBAL__N_18offset_tEEE10hipError_tPvRmT1_PNSt15iterator_traitsIS12_E10value_typeET2_T3_PNS13_IS18_E10value_typeET4_jRbjT5_S1E_jjP12ihipStream_tbEUljE_ZNSN_ISO_Lb0ESQ_SR_ST_SU_SY_EESZ_S10_S11_S12_S16_S17_S18_S1B_S1C_jS1D_jS1E_S1E_jjS1G_bEUljE0_EEESZ_S10_S11_S18_S1C_S1E_T6_T7_T9_mT8_S1G_bDpT10_ENKUlT_T0_E_clISt17integral_constantIbLb0EES1T_IbLb1EEEEDaS1P_S1Q_EUlS1P_E_NS1_11comp_targetILNS1_3genE5ELNS1_11target_archE942ELNS1_3gpuE9ELNS1_3repE0EEENS1_30default_config_static_selectorELNS0_4arch9wavefront6targetE0EEEvS12_.has_indirect_call, 0
	.section	.AMDGPU.csdata,"",@progbits
; Kernel info:
; codeLenInByte = 0
; TotalNumSgprs: 0
; NumVgprs: 0
; ScratchSize: 0
; MemoryBound: 0
; FloatMode: 240
; IeeeMode: 1
; LDSByteSize: 0 bytes/workgroup (compile time only)
; SGPRBlocks: 0
; VGPRBlocks: 0
; NumSGPRsForWavesPerEU: 1
; NumVGPRsForWavesPerEU: 1
; Occupancy: 16
; WaveLimiterHint : 0
; COMPUTE_PGM_RSRC2:SCRATCH_EN: 0
; COMPUTE_PGM_RSRC2:USER_SGPR: 2
; COMPUTE_PGM_RSRC2:TRAP_HANDLER: 0
; COMPUTE_PGM_RSRC2:TGID_X_EN: 1
; COMPUTE_PGM_RSRC2:TGID_Y_EN: 0
; COMPUTE_PGM_RSRC2:TGID_Z_EN: 0
; COMPUTE_PGM_RSRC2:TIDIG_COMP_CNT: 0
	.section	.text._ZN7rocprim17ROCPRIM_400000_NS6detail17trampoline_kernelINS0_13select_configILj256ELj13ELNS0_17block_load_methodE3ELS4_3ELS4_3ELNS0_20block_scan_algorithmE0ELj4294967295EEENS1_25partition_config_selectorILNS1_17partition_subalgoE4EjNS0_10empty_typeEbEEZZNS1_14partition_implILS8_4ELb0ES6_15HIP_vector_typeIjLj2EENS0_17counting_iteratorIjlEEPS9_SG_NS0_5tupleIJPjSI_NS0_16reverse_iteratorISI_EEEEENSH_IJSG_SG_SG_EEES9_SI_JZNS1_25segmented_radix_sort_implINS0_14default_configELb0EPKhPhPKlPlN2at6native12_GLOBAL__N_18offset_tEEE10hipError_tPvRmT1_PNSt15iterator_traitsIS12_E10value_typeET2_T3_PNS13_IS18_E10value_typeET4_jRbjT5_S1E_jjP12ihipStream_tbEUljE_ZNSN_ISO_Lb0ESQ_SR_ST_SU_SY_EESZ_S10_S11_S12_S16_S17_S18_S1B_S1C_jS1D_jS1E_S1E_jjS1G_bEUljE0_EEESZ_S10_S11_S18_S1C_S1E_T6_T7_T9_mT8_S1G_bDpT10_ENKUlT_T0_E_clISt17integral_constantIbLb0EES1T_IbLb1EEEEDaS1P_S1Q_EUlS1P_E_NS1_11comp_targetILNS1_3genE4ELNS1_11target_archE910ELNS1_3gpuE8ELNS1_3repE0EEENS1_30default_config_static_selectorELNS0_4arch9wavefront6targetE0EEEvS12_,"axG",@progbits,_ZN7rocprim17ROCPRIM_400000_NS6detail17trampoline_kernelINS0_13select_configILj256ELj13ELNS0_17block_load_methodE3ELS4_3ELS4_3ELNS0_20block_scan_algorithmE0ELj4294967295EEENS1_25partition_config_selectorILNS1_17partition_subalgoE4EjNS0_10empty_typeEbEEZZNS1_14partition_implILS8_4ELb0ES6_15HIP_vector_typeIjLj2EENS0_17counting_iteratorIjlEEPS9_SG_NS0_5tupleIJPjSI_NS0_16reverse_iteratorISI_EEEEENSH_IJSG_SG_SG_EEES9_SI_JZNS1_25segmented_radix_sort_implINS0_14default_configELb0EPKhPhPKlPlN2at6native12_GLOBAL__N_18offset_tEEE10hipError_tPvRmT1_PNSt15iterator_traitsIS12_E10value_typeET2_T3_PNS13_IS18_E10value_typeET4_jRbjT5_S1E_jjP12ihipStream_tbEUljE_ZNSN_ISO_Lb0ESQ_SR_ST_SU_SY_EESZ_S10_S11_S12_S16_S17_S18_S1B_S1C_jS1D_jS1E_S1E_jjS1G_bEUljE0_EEESZ_S10_S11_S18_S1C_S1E_T6_T7_T9_mT8_S1G_bDpT10_ENKUlT_T0_E_clISt17integral_constantIbLb0EES1T_IbLb1EEEEDaS1P_S1Q_EUlS1P_E_NS1_11comp_targetILNS1_3genE4ELNS1_11target_archE910ELNS1_3gpuE8ELNS1_3repE0EEENS1_30default_config_static_selectorELNS0_4arch9wavefront6targetE0EEEvS12_,comdat
	.globl	_ZN7rocprim17ROCPRIM_400000_NS6detail17trampoline_kernelINS0_13select_configILj256ELj13ELNS0_17block_load_methodE3ELS4_3ELS4_3ELNS0_20block_scan_algorithmE0ELj4294967295EEENS1_25partition_config_selectorILNS1_17partition_subalgoE4EjNS0_10empty_typeEbEEZZNS1_14partition_implILS8_4ELb0ES6_15HIP_vector_typeIjLj2EENS0_17counting_iteratorIjlEEPS9_SG_NS0_5tupleIJPjSI_NS0_16reverse_iteratorISI_EEEEENSH_IJSG_SG_SG_EEES9_SI_JZNS1_25segmented_radix_sort_implINS0_14default_configELb0EPKhPhPKlPlN2at6native12_GLOBAL__N_18offset_tEEE10hipError_tPvRmT1_PNSt15iterator_traitsIS12_E10value_typeET2_T3_PNS13_IS18_E10value_typeET4_jRbjT5_S1E_jjP12ihipStream_tbEUljE_ZNSN_ISO_Lb0ESQ_SR_ST_SU_SY_EESZ_S10_S11_S12_S16_S17_S18_S1B_S1C_jS1D_jS1E_S1E_jjS1G_bEUljE0_EEESZ_S10_S11_S18_S1C_S1E_T6_T7_T9_mT8_S1G_bDpT10_ENKUlT_T0_E_clISt17integral_constantIbLb0EES1T_IbLb1EEEEDaS1P_S1Q_EUlS1P_E_NS1_11comp_targetILNS1_3genE4ELNS1_11target_archE910ELNS1_3gpuE8ELNS1_3repE0EEENS1_30default_config_static_selectorELNS0_4arch9wavefront6targetE0EEEvS12_ ; -- Begin function _ZN7rocprim17ROCPRIM_400000_NS6detail17trampoline_kernelINS0_13select_configILj256ELj13ELNS0_17block_load_methodE3ELS4_3ELS4_3ELNS0_20block_scan_algorithmE0ELj4294967295EEENS1_25partition_config_selectorILNS1_17partition_subalgoE4EjNS0_10empty_typeEbEEZZNS1_14partition_implILS8_4ELb0ES6_15HIP_vector_typeIjLj2EENS0_17counting_iteratorIjlEEPS9_SG_NS0_5tupleIJPjSI_NS0_16reverse_iteratorISI_EEEEENSH_IJSG_SG_SG_EEES9_SI_JZNS1_25segmented_radix_sort_implINS0_14default_configELb0EPKhPhPKlPlN2at6native12_GLOBAL__N_18offset_tEEE10hipError_tPvRmT1_PNSt15iterator_traitsIS12_E10value_typeET2_T3_PNS13_IS18_E10value_typeET4_jRbjT5_S1E_jjP12ihipStream_tbEUljE_ZNSN_ISO_Lb0ESQ_SR_ST_SU_SY_EESZ_S10_S11_S12_S16_S17_S18_S1B_S1C_jS1D_jS1E_S1E_jjS1G_bEUljE0_EEESZ_S10_S11_S18_S1C_S1E_T6_T7_T9_mT8_S1G_bDpT10_ENKUlT_T0_E_clISt17integral_constantIbLb0EES1T_IbLb1EEEEDaS1P_S1Q_EUlS1P_E_NS1_11comp_targetILNS1_3genE4ELNS1_11target_archE910ELNS1_3gpuE8ELNS1_3repE0EEENS1_30default_config_static_selectorELNS0_4arch9wavefront6targetE0EEEvS12_
	.p2align	8
	.type	_ZN7rocprim17ROCPRIM_400000_NS6detail17trampoline_kernelINS0_13select_configILj256ELj13ELNS0_17block_load_methodE3ELS4_3ELS4_3ELNS0_20block_scan_algorithmE0ELj4294967295EEENS1_25partition_config_selectorILNS1_17partition_subalgoE4EjNS0_10empty_typeEbEEZZNS1_14partition_implILS8_4ELb0ES6_15HIP_vector_typeIjLj2EENS0_17counting_iteratorIjlEEPS9_SG_NS0_5tupleIJPjSI_NS0_16reverse_iteratorISI_EEEEENSH_IJSG_SG_SG_EEES9_SI_JZNS1_25segmented_radix_sort_implINS0_14default_configELb0EPKhPhPKlPlN2at6native12_GLOBAL__N_18offset_tEEE10hipError_tPvRmT1_PNSt15iterator_traitsIS12_E10value_typeET2_T3_PNS13_IS18_E10value_typeET4_jRbjT5_S1E_jjP12ihipStream_tbEUljE_ZNSN_ISO_Lb0ESQ_SR_ST_SU_SY_EESZ_S10_S11_S12_S16_S17_S18_S1B_S1C_jS1D_jS1E_S1E_jjS1G_bEUljE0_EEESZ_S10_S11_S18_S1C_S1E_T6_T7_T9_mT8_S1G_bDpT10_ENKUlT_T0_E_clISt17integral_constantIbLb0EES1T_IbLb1EEEEDaS1P_S1Q_EUlS1P_E_NS1_11comp_targetILNS1_3genE4ELNS1_11target_archE910ELNS1_3gpuE8ELNS1_3repE0EEENS1_30default_config_static_selectorELNS0_4arch9wavefront6targetE0EEEvS12_,@function
_ZN7rocprim17ROCPRIM_400000_NS6detail17trampoline_kernelINS0_13select_configILj256ELj13ELNS0_17block_load_methodE3ELS4_3ELS4_3ELNS0_20block_scan_algorithmE0ELj4294967295EEENS1_25partition_config_selectorILNS1_17partition_subalgoE4EjNS0_10empty_typeEbEEZZNS1_14partition_implILS8_4ELb0ES6_15HIP_vector_typeIjLj2EENS0_17counting_iteratorIjlEEPS9_SG_NS0_5tupleIJPjSI_NS0_16reverse_iteratorISI_EEEEENSH_IJSG_SG_SG_EEES9_SI_JZNS1_25segmented_radix_sort_implINS0_14default_configELb0EPKhPhPKlPlN2at6native12_GLOBAL__N_18offset_tEEE10hipError_tPvRmT1_PNSt15iterator_traitsIS12_E10value_typeET2_T3_PNS13_IS18_E10value_typeET4_jRbjT5_S1E_jjP12ihipStream_tbEUljE_ZNSN_ISO_Lb0ESQ_SR_ST_SU_SY_EESZ_S10_S11_S12_S16_S17_S18_S1B_S1C_jS1D_jS1E_S1E_jjS1G_bEUljE0_EEESZ_S10_S11_S18_S1C_S1E_T6_T7_T9_mT8_S1G_bDpT10_ENKUlT_T0_E_clISt17integral_constantIbLb0EES1T_IbLb1EEEEDaS1P_S1Q_EUlS1P_E_NS1_11comp_targetILNS1_3genE4ELNS1_11target_archE910ELNS1_3gpuE8ELNS1_3repE0EEENS1_30default_config_static_selectorELNS0_4arch9wavefront6targetE0EEEvS12_: ; @_ZN7rocprim17ROCPRIM_400000_NS6detail17trampoline_kernelINS0_13select_configILj256ELj13ELNS0_17block_load_methodE3ELS4_3ELS4_3ELNS0_20block_scan_algorithmE0ELj4294967295EEENS1_25partition_config_selectorILNS1_17partition_subalgoE4EjNS0_10empty_typeEbEEZZNS1_14partition_implILS8_4ELb0ES6_15HIP_vector_typeIjLj2EENS0_17counting_iteratorIjlEEPS9_SG_NS0_5tupleIJPjSI_NS0_16reverse_iteratorISI_EEEEENSH_IJSG_SG_SG_EEES9_SI_JZNS1_25segmented_radix_sort_implINS0_14default_configELb0EPKhPhPKlPlN2at6native12_GLOBAL__N_18offset_tEEE10hipError_tPvRmT1_PNSt15iterator_traitsIS12_E10value_typeET2_T3_PNS13_IS18_E10value_typeET4_jRbjT5_S1E_jjP12ihipStream_tbEUljE_ZNSN_ISO_Lb0ESQ_SR_ST_SU_SY_EESZ_S10_S11_S12_S16_S17_S18_S1B_S1C_jS1D_jS1E_S1E_jjS1G_bEUljE0_EEESZ_S10_S11_S18_S1C_S1E_T6_T7_T9_mT8_S1G_bDpT10_ENKUlT_T0_E_clISt17integral_constantIbLb0EES1T_IbLb1EEEEDaS1P_S1Q_EUlS1P_E_NS1_11comp_targetILNS1_3genE4ELNS1_11target_archE910ELNS1_3gpuE8ELNS1_3repE0EEENS1_30default_config_static_selectorELNS0_4arch9wavefront6targetE0EEEvS12_
; %bb.0:
	.section	.rodata,"a",@progbits
	.p2align	6, 0x0
	.amdhsa_kernel _ZN7rocprim17ROCPRIM_400000_NS6detail17trampoline_kernelINS0_13select_configILj256ELj13ELNS0_17block_load_methodE3ELS4_3ELS4_3ELNS0_20block_scan_algorithmE0ELj4294967295EEENS1_25partition_config_selectorILNS1_17partition_subalgoE4EjNS0_10empty_typeEbEEZZNS1_14partition_implILS8_4ELb0ES6_15HIP_vector_typeIjLj2EENS0_17counting_iteratorIjlEEPS9_SG_NS0_5tupleIJPjSI_NS0_16reverse_iteratorISI_EEEEENSH_IJSG_SG_SG_EEES9_SI_JZNS1_25segmented_radix_sort_implINS0_14default_configELb0EPKhPhPKlPlN2at6native12_GLOBAL__N_18offset_tEEE10hipError_tPvRmT1_PNSt15iterator_traitsIS12_E10value_typeET2_T3_PNS13_IS18_E10value_typeET4_jRbjT5_S1E_jjP12ihipStream_tbEUljE_ZNSN_ISO_Lb0ESQ_SR_ST_SU_SY_EESZ_S10_S11_S12_S16_S17_S18_S1B_S1C_jS1D_jS1E_S1E_jjS1G_bEUljE0_EEESZ_S10_S11_S18_S1C_S1E_T6_T7_T9_mT8_S1G_bDpT10_ENKUlT_T0_E_clISt17integral_constantIbLb0EES1T_IbLb1EEEEDaS1P_S1Q_EUlS1P_E_NS1_11comp_targetILNS1_3genE4ELNS1_11target_archE910ELNS1_3gpuE8ELNS1_3repE0EEENS1_30default_config_static_selectorELNS0_4arch9wavefront6targetE0EEEvS12_
		.amdhsa_group_segment_fixed_size 0
		.amdhsa_private_segment_fixed_size 0
		.amdhsa_kernarg_size 184
		.amdhsa_user_sgpr_count 2
		.amdhsa_user_sgpr_dispatch_ptr 0
		.amdhsa_user_sgpr_queue_ptr 0
		.amdhsa_user_sgpr_kernarg_segment_ptr 1
		.amdhsa_user_sgpr_dispatch_id 0
		.amdhsa_user_sgpr_private_segment_size 0
		.amdhsa_wavefront_size32 1
		.amdhsa_uses_dynamic_stack 0
		.amdhsa_enable_private_segment 0
		.amdhsa_system_sgpr_workgroup_id_x 1
		.amdhsa_system_sgpr_workgroup_id_y 0
		.amdhsa_system_sgpr_workgroup_id_z 0
		.amdhsa_system_sgpr_workgroup_info 0
		.amdhsa_system_vgpr_workitem_id 0
		.amdhsa_next_free_vgpr 1
		.amdhsa_next_free_sgpr 1
		.amdhsa_reserve_vcc 0
		.amdhsa_float_round_mode_32 0
		.amdhsa_float_round_mode_16_64 0
		.amdhsa_float_denorm_mode_32 3
		.amdhsa_float_denorm_mode_16_64 3
		.amdhsa_fp16_overflow 0
		.amdhsa_workgroup_processor_mode 1
		.amdhsa_memory_ordered 1
		.amdhsa_forward_progress 1
		.amdhsa_inst_pref_size 0
		.amdhsa_round_robin_scheduling 0
		.amdhsa_exception_fp_ieee_invalid_op 0
		.amdhsa_exception_fp_denorm_src 0
		.amdhsa_exception_fp_ieee_div_zero 0
		.amdhsa_exception_fp_ieee_overflow 0
		.amdhsa_exception_fp_ieee_underflow 0
		.amdhsa_exception_fp_ieee_inexact 0
		.amdhsa_exception_int_div_zero 0
	.end_amdhsa_kernel
	.section	.text._ZN7rocprim17ROCPRIM_400000_NS6detail17trampoline_kernelINS0_13select_configILj256ELj13ELNS0_17block_load_methodE3ELS4_3ELS4_3ELNS0_20block_scan_algorithmE0ELj4294967295EEENS1_25partition_config_selectorILNS1_17partition_subalgoE4EjNS0_10empty_typeEbEEZZNS1_14partition_implILS8_4ELb0ES6_15HIP_vector_typeIjLj2EENS0_17counting_iteratorIjlEEPS9_SG_NS0_5tupleIJPjSI_NS0_16reverse_iteratorISI_EEEEENSH_IJSG_SG_SG_EEES9_SI_JZNS1_25segmented_radix_sort_implINS0_14default_configELb0EPKhPhPKlPlN2at6native12_GLOBAL__N_18offset_tEEE10hipError_tPvRmT1_PNSt15iterator_traitsIS12_E10value_typeET2_T3_PNS13_IS18_E10value_typeET4_jRbjT5_S1E_jjP12ihipStream_tbEUljE_ZNSN_ISO_Lb0ESQ_SR_ST_SU_SY_EESZ_S10_S11_S12_S16_S17_S18_S1B_S1C_jS1D_jS1E_S1E_jjS1G_bEUljE0_EEESZ_S10_S11_S18_S1C_S1E_T6_T7_T9_mT8_S1G_bDpT10_ENKUlT_T0_E_clISt17integral_constantIbLb0EES1T_IbLb1EEEEDaS1P_S1Q_EUlS1P_E_NS1_11comp_targetILNS1_3genE4ELNS1_11target_archE910ELNS1_3gpuE8ELNS1_3repE0EEENS1_30default_config_static_selectorELNS0_4arch9wavefront6targetE0EEEvS12_,"axG",@progbits,_ZN7rocprim17ROCPRIM_400000_NS6detail17trampoline_kernelINS0_13select_configILj256ELj13ELNS0_17block_load_methodE3ELS4_3ELS4_3ELNS0_20block_scan_algorithmE0ELj4294967295EEENS1_25partition_config_selectorILNS1_17partition_subalgoE4EjNS0_10empty_typeEbEEZZNS1_14partition_implILS8_4ELb0ES6_15HIP_vector_typeIjLj2EENS0_17counting_iteratorIjlEEPS9_SG_NS0_5tupleIJPjSI_NS0_16reverse_iteratorISI_EEEEENSH_IJSG_SG_SG_EEES9_SI_JZNS1_25segmented_radix_sort_implINS0_14default_configELb0EPKhPhPKlPlN2at6native12_GLOBAL__N_18offset_tEEE10hipError_tPvRmT1_PNSt15iterator_traitsIS12_E10value_typeET2_T3_PNS13_IS18_E10value_typeET4_jRbjT5_S1E_jjP12ihipStream_tbEUljE_ZNSN_ISO_Lb0ESQ_SR_ST_SU_SY_EESZ_S10_S11_S12_S16_S17_S18_S1B_S1C_jS1D_jS1E_S1E_jjS1G_bEUljE0_EEESZ_S10_S11_S18_S1C_S1E_T6_T7_T9_mT8_S1G_bDpT10_ENKUlT_T0_E_clISt17integral_constantIbLb0EES1T_IbLb1EEEEDaS1P_S1Q_EUlS1P_E_NS1_11comp_targetILNS1_3genE4ELNS1_11target_archE910ELNS1_3gpuE8ELNS1_3repE0EEENS1_30default_config_static_selectorELNS0_4arch9wavefront6targetE0EEEvS12_,comdat
.Lfunc_end148:
	.size	_ZN7rocprim17ROCPRIM_400000_NS6detail17trampoline_kernelINS0_13select_configILj256ELj13ELNS0_17block_load_methodE3ELS4_3ELS4_3ELNS0_20block_scan_algorithmE0ELj4294967295EEENS1_25partition_config_selectorILNS1_17partition_subalgoE4EjNS0_10empty_typeEbEEZZNS1_14partition_implILS8_4ELb0ES6_15HIP_vector_typeIjLj2EENS0_17counting_iteratorIjlEEPS9_SG_NS0_5tupleIJPjSI_NS0_16reverse_iteratorISI_EEEEENSH_IJSG_SG_SG_EEES9_SI_JZNS1_25segmented_radix_sort_implINS0_14default_configELb0EPKhPhPKlPlN2at6native12_GLOBAL__N_18offset_tEEE10hipError_tPvRmT1_PNSt15iterator_traitsIS12_E10value_typeET2_T3_PNS13_IS18_E10value_typeET4_jRbjT5_S1E_jjP12ihipStream_tbEUljE_ZNSN_ISO_Lb0ESQ_SR_ST_SU_SY_EESZ_S10_S11_S12_S16_S17_S18_S1B_S1C_jS1D_jS1E_S1E_jjS1G_bEUljE0_EEESZ_S10_S11_S18_S1C_S1E_T6_T7_T9_mT8_S1G_bDpT10_ENKUlT_T0_E_clISt17integral_constantIbLb0EES1T_IbLb1EEEEDaS1P_S1Q_EUlS1P_E_NS1_11comp_targetILNS1_3genE4ELNS1_11target_archE910ELNS1_3gpuE8ELNS1_3repE0EEENS1_30default_config_static_selectorELNS0_4arch9wavefront6targetE0EEEvS12_, .Lfunc_end148-_ZN7rocprim17ROCPRIM_400000_NS6detail17trampoline_kernelINS0_13select_configILj256ELj13ELNS0_17block_load_methodE3ELS4_3ELS4_3ELNS0_20block_scan_algorithmE0ELj4294967295EEENS1_25partition_config_selectorILNS1_17partition_subalgoE4EjNS0_10empty_typeEbEEZZNS1_14partition_implILS8_4ELb0ES6_15HIP_vector_typeIjLj2EENS0_17counting_iteratorIjlEEPS9_SG_NS0_5tupleIJPjSI_NS0_16reverse_iteratorISI_EEEEENSH_IJSG_SG_SG_EEES9_SI_JZNS1_25segmented_radix_sort_implINS0_14default_configELb0EPKhPhPKlPlN2at6native12_GLOBAL__N_18offset_tEEE10hipError_tPvRmT1_PNSt15iterator_traitsIS12_E10value_typeET2_T3_PNS13_IS18_E10value_typeET4_jRbjT5_S1E_jjP12ihipStream_tbEUljE_ZNSN_ISO_Lb0ESQ_SR_ST_SU_SY_EESZ_S10_S11_S12_S16_S17_S18_S1B_S1C_jS1D_jS1E_S1E_jjS1G_bEUljE0_EEESZ_S10_S11_S18_S1C_S1E_T6_T7_T9_mT8_S1G_bDpT10_ENKUlT_T0_E_clISt17integral_constantIbLb0EES1T_IbLb1EEEEDaS1P_S1Q_EUlS1P_E_NS1_11comp_targetILNS1_3genE4ELNS1_11target_archE910ELNS1_3gpuE8ELNS1_3repE0EEENS1_30default_config_static_selectorELNS0_4arch9wavefront6targetE0EEEvS12_
                                        ; -- End function
	.set _ZN7rocprim17ROCPRIM_400000_NS6detail17trampoline_kernelINS0_13select_configILj256ELj13ELNS0_17block_load_methodE3ELS4_3ELS4_3ELNS0_20block_scan_algorithmE0ELj4294967295EEENS1_25partition_config_selectorILNS1_17partition_subalgoE4EjNS0_10empty_typeEbEEZZNS1_14partition_implILS8_4ELb0ES6_15HIP_vector_typeIjLj2EENS0_17counting_iteratorIjlEEPS9_SG_NS0_5tupleIJPjSI_NS0_16reverse_iteratorISI_EEEEENSH_IJSG_SG_SG_EEES9_SI_JZNS1_25segmented_radix_sort_implINS0_14default_configELb0EPKhPhPKlPlN2at6native12_GLOBAL__N_18offset_tEEE10hipError_tPvRmT1_PNSt15iterator_traitsIS12_E10value_typeET2_T3_PNS13_IS18_E10value_typeET4_jRbjT5_S1E_jjP12ihipStream_tbEUljE_ZNSN_ISO_Lb0ESQ_SR_ST_SU_SY_EESZ_S10_S11_S12_S16_S17_S18_S1B_S1C_jS1D_jS1E_S1E_jjS1G_bEUljE0_EEESZ_S10_S11_S18_S1C_S1E_T6_T7_T9_mT8_S1G_bDpT10_ENKUlT_T0_E_clISt17integral_constantIbLb0EES1T_IbLb1EEEEDaS1P_S1Q_EUlS1P_E_NS1_11comp_targetILNS1_3genE4ELNS1_11target_archE910ELNS1_3gpuE8ELNS1_3repE0EEENS1_30default_config_static_selectorELNS0_4arch9wavefront6targetE0EEEvS12_.num_vgpr, 0
	.set _ZN7rocprim17ROCPRIM_400000_NS6detail17trampoline_kernelINS0_13select_configILj256ELj13ELNS0_17block_load_methodE3ELS4_3ELS4_3ELNS0_20block_scan_algorithmE0ELj4294967295EEENS1_25partition_config_selectorILNS1_17partition_subalgoE4EjNS0_10empty_typeEbEEZZNS1_14partition_implILS8_4ELb0ES6_15HIP_vector_typeIjLj2EENS0_17counting_iteratorIjlEEPS9_SG_NS0_5tupleIJPjSI_NS0_16reverse_iteratorISI_EEEEENSH_IJSG_SG_SG_EEES9_SI_JZNS1_25segmented_radix_sort_implINS0_14default_configELb0EPKhPhPKlPlN2at6native12_GLOBAL__N_18offset_tEEE10hipError_tPvRmT1_PNSt15iterator_traitsIS12_E10value_typeET2_T3_PNS13_IS18_E10value_typeET4_jRbjT5_S1E_jjP12ihipStream_tbEUljE_ZNSN_ISO_Lb0ESQ_SR_ST_SU_SY_EESZ_S10_S11_S12_S16_S17_S18_S1B_S1C_jS1D_jS1E_S1E_jjS1G_bEUljE0_EEESZ_S10_S11_S18_S1C_S1E_T6_T7_T9_mT8_S1G_bDpT10_ENKUlT_T0_E_clISt17integral_constantIbLb0EES1T_IbLb1EEEEDaS1P_S1Q_EUlS1P_E_NS1_11comp_targetILNS1_3genE4ELNS1_11target_archE910ELNS1_3gpuE8ELNS1_3repE0EEENS1_30default_config_static_selectorELNS0_4arch9wavefront6targetE0EEEvS12_.num_agpr, 0
	.set _ZN7rocprim17ROCPRIM_400000_NS6detail17trampoline_kernelINS0_13select_configILj256ELj13ELNS0_17block_load_methodE3ELS4_3ELS4_3ELNS0_20block_scan_algorithmE0ELj4294967295EEENS1_25partition_config_selectorILNS1_17partition_subalgoE4EjNS0_10empty_typeEbEEZZNS1_14partition_implILS8_4ELb0ES6_15HIP_vector_typeIjLj2EENS0_17counting_iteratorIjlEEPS9_SG_NS0_5tupleIJPjSI_NS0_16reverse_iteratorISI_EEEEENSH_IJSG_SG_SG_EEES9_SI_JZNS1_25segmented_radix_sort_implINS0_14default_configELb0EPKhPhPKlPlN2at6native12_GLOBAL__N_18offset_tEEE10hipError_tPvRmT1_PNSt15iterator_traitsIS12_E10value_typeET2_T3_PNS13_IS18_E10value_typeET4_jRbjT5_S1E_jjP12ihipStream_tbEUljE_ZNSN_ISO_Lb0ESQ_SR_ST_SU_SY_EESZ_S10_S11_S12_S16_S17_S18_S1B_S1C_jS1D_jS1E_S1E_jjS1G_bEUljE0_EEESZ_S10_S11_S18_S1C_S1E_T6_T7_T9_mT8_S1G_bDpT10_ENKUlT_T0_E_clISt17integral_constantIbLb0EES1T_IbLb1EEEEDaS1P_S1Q_EUlS1P_E_NS1_11comp_targetILNS1_3genE4ELNS1_11target_archE910ELNS1_3gpuE8ELNS1_3repE0EEENS1_30default_config_static_selectorELNS0_4arch9wavefront6targetE0EEEvS12_.numbered_sgpr, 0
	.set _ZN7rocprim17ROCPRIM_400000_NS6detail17trampoline_kernelINS0_13select_configILj256ELj13ELNS0_17block_load_methodE3ELS4_3ELS4_3ELNS0_20block_scan_algorithmE0ELj4294967295EEENS1_25partition_config_selectorILNS1_17partition_subalgoE4EjNS0_10empty_typeEbEEZZNS1_14partition_implILS8_4ELb0ES6_15HIP_vector_typeIjLj2EENS0_17counting_iteratorIjlEEPS9_SG_NS0_5tupleIJPjSI_NS0_16reverse_iteratorISI_EEEEENSH_IJSG_SG_SG_EEES9_SI_JZNS1_25segmented_radix_sort_implINS0_14default_configELb0EPKhPhPKlPlN2at6native12_GLOBAL__N_18offset_tEEE10hipError_tPvRmT1_PNSt15iterator_traitsIS12_E10value_typeET2_T3_PNS13_IS18_E10value_typeET4_jRbjT5_S1E_jjP12ihipStream_tbEUljE_ZNSN_ISO_Lb0ESQ_SR_ST_SU_SY_EESZ_S10_S11_S12_S16_S17_S18_S1B_S1C_jS1D_jS1E_S1E_jjS1G_bEUljE0_EEESZ_S10_S11_S18_S1C_S1E_T6_T7_T9_mT8_S1G_bDpT10_ENKUlT_T0_E_clISt17integral_constantIbLb0EES1T_IbLb1EEEEDaS1P_S1Q_EUlS1P_E_NS1_11comp_targetILNS1_3genE4ELNS1_11target_archE910ELNS1_3gpuE8ELNS1_3repE0EEENS1_30default_config_static_selectorELNS0_4arch9wavefront6targetE0EEEvS12_.num_named_barrier, 0
	.set _ZN7rocprim17ROCPRIM_400000_NS6detail17trampoline_kernelINS0_13select_configILj256ELj13ELNS0_17block_load_methodE3ELS4_3ELS4_3ELNS0_20block_scan_algorithmE0ELj4294967295EEENS1_25partition_config_selectorILNS1_17partition_subalgoE4EjNS0_10empty_typeEbEEZZNS1_14partition_implILS8_4ELb0ES6_15HIP_vector_typeIjLj2EENS0_17counting_iteratorIjlEEPS9_SG_NS0_5tupleIJPjSI_NS0_16reverse_iteratorISI_EEEEENSH_IJSG_SG_SG_EEES9_SI_JZNS1_25segmented_radix_sort_implINS0_14default_configELb0EPKhPhPKlPlN2at6native12_GLOBAL__N_18offset_tEEE10hipError_tPvRmT1_PNSt15iterator_traitsIS12_E10value_typeET2_T3_PNS13_IS18_E10value_typeET4_jRbjT5_S1E_jjP12ihipStream_tbEUljE_ZNSN_ISO_Lb0ESQ_SR_ST_SU_SY_EESZ_S10_S11_S12_S16_S17_S18_S1B_S1C_jS1D_jS1E_S1E_jjS1G_bEUljE0_EEESZ_S10_S11_S18_S1C_S1E_T6_T7_T9_mT8_S1G_bDpT10_ENKUlT_T0_E_clISt17integral_constantIbLb0EES1T_IbLb1EEEEDaS1P_S1Q_EUlS1P_E_NS1_11comp_targetILNS1_3genE4ELNS1_11target_archE910ELNS1_3gpuE8ELNS1_3repE0EEENS1_30default_config_static_selectorELNS0_4arch9wavefront6targetE0EEEvS12_.private_seg_size, 0
	.set _ZN7rocprim17ROCPRIM_400000_NS6detail17trampoline_kernelINS0_13select_configILj256ELj13ELNS0_17block_load_methodE3ELS4_3ELS4_3ELNS0_20block_scan_algorithmE0ELj4294967295EEENS1_25partition_config_selectorILNS1_17partition_subalgoE4EjNS0_10empty_typeEbEEZZNS1_14partition_implILS8_4ELb0ES6_15HIP_vector_typeIjLj2EENS0_17counting_iteratorIjlEEPS9_SG_NS0_5tupleIJPjSI_NS0_16reverse_iteratorISI_EEEEENSH_IJSG_SG_SG_EEES9_SI_JZNS1_25segmented_radix_sort_implINS0_14default_configELb0EPKhPhPKlPlN2at6native12_GLOBAL__N_18offset_tEEE10hipError_tPvRmT1_PNSt15iterator_traitsIS12_E10value_typeET2_T3_PNS13_IS18_E10value_typeET4_jRbjT5_S1E_jjP12ihipStream_tbEUljE_ZNSN_ISO_Lb0ESQ_SR_ST_SU_SY_EESZ_S10_S11_S12_S16_S17_S18_S1B_S1C_jS1D_jS1E_S1E_jjS1G_bEUljE0_EEESZ_S10_S11_S18_S1C_S1E_T6_T7_T9_mT8_S1G_bDpT10_ENKUlT_T0_E_clISt17integral_constantIbLb0EES1T_IbLb1EEEEDaS1P_S1Q_EUlS1P_E_NS1_11comp_targetILNS1_3genE4ELNS1_11target_archE910ELNS1_3gpuE8ELNS1_3repE0EEENS1_30default_config_static_selectorELNS0_4arch9wavefront6targetE0EEEvS12_.uses_vcc, 0
	.set _ZN7rocprim17ROCPRIM_400000_NS6detail17trampoline_kernelINS0_13select_configILj256ELj13ELNS0_17block_load_methodE3ELS4_3ELS4_3ELNS0_20block_scan_algorithmE0ELj4294967295EEENS1_25partition_config_selectorILNS1_17partition_subalgoE4EjNS0_10empty_typeEbEEZZNS1_14partition_implILS8_4ELb0ES6_15HIP_vector_typeIjLj2EENS0_17counting_iteratorIjlEEPS9_SG_NS0_5tupleIJPjSI_NS0_16reverse_iteratorISI_EEEEENSH_IJSG_SG_SG_EEES9_SI_JZNS1_25segmented_radix_sort_implINS0_14default_configELb0EPKhPhPKlPlN2at6native12_GLOBAL__N_18offset_tEEE10hipError_tPvRmT1_PNSt15iterator_traitsIS12_E10value_typeET2_T3_PNS13_IS18_E10value_typeET4_jRbjT5_S1E_jjP12ihipStream_tbEUljE_ZNSN_ISO_Lb0ESQ_SR_ST_SU_SY_EESZ_S10_S11_S12_S16_S17_S18_S1B_S1C_jS1D_jS1E_S1E_jjS1G_bEUljE0_EEESZ_S10_S11_S18_S1C_S1E_T6_T7_T9_mT8_S1G_bDpT10_ENKUlT_T0_E_clISt17integral_constantIbLb0EES1T_IbLb1EEEEDaS1P_S1Q_EUlS1P_E_NS1_11comp_targetILNS1_3genE4ELNS1_11target_archE910ELNS1_3gpuE8ELNS1_3repE0EEENS1_30default_config_static_selectorELNS0_4arch9wavefront6targetE0EEEvS12_.uses_flat_scratch, 0
	.set _ZN7rocprim17ROCPRIM_400000_NS6detail17trampoline_kernelINS0_13select_configILj256ELj13ELNS0_17block_load_methodE3ELS4_3ELS4_3ELNS0_20block_scan_algorithmE0ELj4294967295EEENS1_25partition_config_selectorILNS1_17partition_subalgoE4EjNS0_10empty_typeEbEEZZNS1_14partition_implILS8_4ELb0ES6_15HIP_vector_typeIjLj2EENS0_17counting_iteratorIjlEEPS9_SG_NS0_5tupleIJPjSI_NS0_16reverse_iteratorISI_EEEEENSH_IJSG_SG_SG_EEES9_SI_JZNS1_25segmented_radix_sort_implINS0_14default_configELb0EPKhPhPKlPlN2at6native12_GLOBAL__N_18offset_tEEE10hipError_tPvRmT1_PNSt15iterator_traitsIS12_E10value_typeET2_T3_PNS13_IS18_E10value_typeET4_jRbjT5_S1E_jjP12ihipStream_tbEUljE_ZNSN_ISO_Lb0ESQ_SR_ST_SU_SY_EESZ_S10_S11_S12_S16_S17_S18_S1B_S1C_jS1D_jS1E_S1E_jjS1G_bEUljE0_EEESZ_S10_S11_S18_S1C_S1E_T6_T7_T9_mT8_S1G_bDpT10_ENKUlT_T0_E_clISt17integral_constantIbLb0EES1T_IbLb1EEEEDaS1P_S1Q_EUlS1P_E_NS1_11comp_targetILNS1_3genE4ELNS1_11target_archE910ELNS1_3gpuE8ELNS1_3repE0EEENS1_30default_config_static_selectorELNS0_4arch9wavefront6targetE0EEEvS12_.has_dyn_sized_stack, 0
	.set _ZN7rocprim17ROCPRIM_400000_NS6detail17trampoline_kernelINS0_13select_configILj256ELj13ELNS0_17block_load_methodE3ELS4_3ELS4_3ELNS0_20block_scan_algorithmE0ELj4294967295EEENS1_25partition_config_selectorILNS1_17partition_subalgoE4EjNS0_10empty_typeEbEEZZNS1_14partition_implILS8_4ELb0ES6_15HIP_vector_typeIjLj2EENS0_17counting_iteratorIjlEEPS9_SG_NS0_5tupleIJPjSI_NS0_16reverse_iteratorISI_EEEEENSH_IJSG_SG_SG_EEES9_SI_JZNS1_25segmented_radix_sort_implINS0_14default_configELb0EPKhPhPKlPlN2at6native12_GLOBAL__N_18offset_tEEE10hipError_tPvRmT1_PNSt15iterator_traitsIS12_E10value_typeET2_T3_PNS13_IS18_E10value_typeET4_jRbjT5_S1E_jjP12ihipStream_tbEUljE_ZNSN_ISO_Lb0ESQ_SR_ST_SU_SY_EESZ_S10_S11_S12_S16_S17_S18_S1B_S1C_jS1D_jS1E_S1E_jjS1G_bEUljE0_EEESZ_S10_S11_S18_S1C_S1E_T6_T7_T9_mT8_S1G_bDpT10_ENKUlT_T0_E_clISt17integral_constantIbLb0EES1T_IbLb1EEEEDaS1P_S1Q_EUlS1P_E_NS1_11comp_targetILNS1_3genE4ELNS1_11target_archE910ELNS1_3gpuE8ELNS1_3repE0EEENS1_30default_config_static_selectorELNS0_4arch9wavefront6targetE0EEEvS12_.has_recursion, 0
	.set _ZN7rocprim17ROCPRIM_400000_NS6detail17trampoline_kernelINS0_13select_configILj256ELj13ELNS0_17block_load_methodE3ELS4_3ELS4_3ELNS0_20block_scan_algorithmE0ELj4294967295EEENS1_25partition_config_selectorILNS1_17partition_subalgoE4EjNS0_10empty_typeEbEEZZNS1_14partition_implILS8_4ELb0ES6_15HIP_vector_typeIjLj2EENS0_17counting_iteratorIjlEEPS9_SG_NS0_5tupleIJPjSI_NS0_16reverse_iteratorISI_EEEEENSH_IJSG_SG_SG_EEES9_SI_JZNS1_25segmented_radix_sort_implINS0_14default_configELb0EPKhPhPKlPlN2at6native12_GLOBAL__N_18offset_tEEE10hipError_tPvRmT1_PNSt15iterator_traitsIS12_E10value_typeET2_T3_PNS13_IS18_E10value_typeET4_jRbjT5_S1E_jjP12ihipStream_tbEUljE_ZNSN_ISO_Lb0ESQ_SR_ST_SU_SY_EESZ_S10_S11_S12_S16_S17_S18_S1B_S1C_jS1D_jS1E_S1E_jjS1G_bEUljE0_EEESZ_S10_S11_S18_S1C_S1E_T6_T7_T9_mT8_S1G_bDpT10_ENKUlT_T0_E_clISt17integral_constantIbLb0EES1T_IbLb1EEEEDaS1P_S1Q_EUlS1P_E_NS1_11comp_targetILNS1_3genE4ELNS1_11target_archE910ELNS1_3gpuE8ELNS1_3repE0EEENS1_30default_config_static_selectorELNS0_4arch9wavefront6targetE0EEEvS12_.has_indirect_call, 0
	.section	.AMDGPU.csdata,"",@progbits
; Kernel info:
; codeLenInByte = 0
; TotalNumSgprs: 0
; NumVgprs: 0
; ScratchSize: 0
; MemoryBound: 0
; FloatMode: 240
; IeeeMode: 1
; LDSByteSize: 0 bytes/workgroup (compile time only)
; SGPRBlocks: 0
; VGPRBlocks: 0
; NumSGPRsForWavesPerEU: 1
; NumVGPRsForWavesPerEU: 1
; Occupancy: 16
; WaveLimiterHint : 0
; COMPUTE_PGM_RSRC2:SCRATCH_EN: 0
; COMPUTE_PGM_RSRC2:USER_SGPR: 2
; COMPUTE_PGM_RSRC2:TRAP_HANDLER: 0
; COMPUTE_PGM_RSRC2:TGID_X_EN: 1
; COMPUTE_PGM_RSRC2:TGID_Y_EN: 0
; COMPUTE_PGM_RSRC2:TGID_Z_EN: 0
; COMPUTE_PGM_RSRC2:TIDIG_COMP_CNT: 0
	.section	.text._ZN7rocprim17ROCPRIM_400000_NS6detail17trampoline_kernelINS0_13select_configILj256ELj13ELNS0_17block_load_methodE3ELS4_3ELS4_3ELNS0_20block_scan_algorithmE0ELj4294967295EEENS1_25partition_config_selectorILNS1_17partition_subalgoE4EjNS0_10empty_typeEbEEZZNS1_14partition_implILS8_4ELb0ES6_15HIP_vector_typeIjLj2EENS0_17counting_iteratorIjlEEPS9_SG_NS0_5tupleIJPjSI_NS0_16reverse_iteratorISI_EEEEENSH_IJSG_SG_SG_EEES9_SI_JZNS1_25segmented_radix_sort_implINS0_14default_configELb0EPKhPhPKlPlN2at6native12_GLOBAL__N_18offset_tEEE10hipError_tPvRmT1_PNSt15iterator_traitsIS12_E10value_typeET2_T3_PNS13_IS18_E10value_typeET4_jRbjT5_S1E_jjP12ihipStream_tbEUljE_ZNSN_ISO_Lb0ESQ_SR_ST_SU_SY_EESZ_S10_S11_S12_S16_S17_S18_S1B_S1C_jS1D_jS1E_S1E_jjS1G_bEUljE0_EEESZ_S10_S11_S18_S1C_S1E_T6_T7_T9_mT8_S1G_bDpT10_ENKUlT_T0_E_clISt17integral_constantIbLb0EES1T_IbLb1EEEEDaS1P_S1Q_EUlS1P_E_NS1_11comp_targetILNS1_3genE3ELNS1_11target_archE908ELNS1_3gpuE7ELNS1_3repE0EEENS1_30default_config_static_selectorELNS0_4arch9wavefront6targetE0EEEvS12_,"axG",@progbits,_ZN7rocprim17ROCPRIM_400000_NS6detail17trampoline_kernelINS0_13select_configILj256ELj13ELNS0_17block_load_methodE3ELS4_3ELS4_3ELNS0_20block_scan_algorithmE0ELj4294967295EEENS1_25partition_config_selectorILNS1_17partition_subalgoE4EjNS0_10empty_typeEbEEZZNS1_14partition_implILS8_4ELb0ES6_15HIP_vector_typeIjLj2EENS0_17counting_iteratorIjlEEPS9_SG_NS0_5tupleIJPjSI_NS0_16reverse_iteratorISI_EEEEENSH_IJSG_SG_SG_EEES9_SI_JZNS1_25segmented_radix_sort_implINS0_14default_configELb0EPKhPhPKlPlN2at6native12_GLOBAL__N_18offset_tEEE10hipError_tPvRmT1_PNSt15iterator_traitsIS12_E10value_typeET2_T3_PNS13_IS18_E10value_typeET4_jRbjT5_S1E_jjP12ihipStream_tbEUljE_ZNSN_ISO_Lb0ESQ_SR_ST_SU_SY_EESZ_S10_S11_S12_S16_S17_S18_S1B_S1C_jS1D_jS1E_S1E_jjS1G_bEUljE0_EEESZ_S10_S11_S18_S1C_S1E_T6_T7_T9_mT8_S1G_bDpT10_ENKUlT_T0_E_clISt17integral_constantIbLb0EES1T_IbLb1EEEEDaS1P_S1Q_EUlS1P_E_NS1_11comp_targetILNS1_3genE3ELNS1_11target_archE908ELNS1_3gpuE7ELNS1_3repE0EEENS1_30default_config_static_selectorELNS0_4arch9wavefront6targetE0EEEvS12_,comdat
	.globl	_ZN7rocprim17ROCPRIM_400000_NS6detail17trampoline_kernelINS0_13select_configILj256ELj13ELNS0_17block_load_methodE3ELS4_3ELS4_3ELNS0_20block_scan_algorithmE0ELj4294967295EEENS1_25partition_config_selectorILNS1_17partition_subalgoE4EjNS0_10empty_typeEbEEZZNS1_14partition_implILS8_4ELb0ES6_15HIP_vector_typeIjLj2EENS0_17counting_iteratorIjlEEPS9_SG_NS0_5tupleIJPjSI_NS0_16reverse_iteratorISI_EEEEENSH_IJSG_SG_SG_EEES9_SI_JZNS1_25segmented_radix_sort_implINS0_14default_configELb0EPKhPhPKlPlN2at6native12_GLOBAL__N_18offset_tEEE10hipError_tPvRmT1_PNSt15iterator_traitsIS12_E10value_typeET2_T3_PNS13_IS18_E10value_typeET4_jRbjT5_S1E_jjP12ihipStream_tbEUljE_ZNSN_ISO_Lb0ESQ_SR_ST_SU_SY_EESZ_S10_S11_S12_S16_S17_S18_S1B_S1C_jS1D_jS1E_S1E_jjS1G_bEUljE0_EEESZ_S10_S11_S18_S1C_S1E_T6_T7_T9_mT8_S1G_bDpT10_ENKUlT_T0_E_clISt17integral_constantIbLb0EES1T_IbLb1EEEEDaS1P_S1Q_EUlS1P_E_NS1_11comp_targetILNS1_3genE3ELNS1_11target_archE908ELNS1_3gpuE7ELNS1_3repE0EEENS1_30default_config_static_selectorELNS0_4arch9wavefront6targetE0EEEvS12_ ; -- Begin function _ZN7rocprim17ROCPRIM_400000_NS6detail17trampoline_kernelINS0_13select_configILj256ELj13ELNS0_17block_load_methodE3ELS4_3ELS4_3ELNS0_20block_scan_algorithmE0ELj4294967295EEENS1_25partition_config_selectorILNS1_17partition_subalgoE4EjNS0_10empty_typeEbEEZZNS1_14partition_implILS8_4ELb0ES6_15HIP_vector_typeIjLj2EENS0_17counting_iteratorIjlEEPS9_SG_NS0_5tupleIJPjSI_NS0_16reverse_iteratorISI_EEEEENSH_IJSG_SG_SG_EEES9_SI_JZNS1_25segmented_radix_sort_implINS0_14default_configELb0EPKhPhPKlPlN2at6native12_GLOBAL__N_18offset_tEEE10hipError_tPvRmT1_PNSt15iterator_traitsIS12_E10value_typeET2_T3_PNS13_IS18_E10value_typeET4_jRbjT5_S1E_jjP12ihipStream_tbEUljE_ZNSN_ISO_Lb0ESQ_SR_ST_SU_SY_EESZ_S10_S11_S12_S16_S17_S18_S1B_S1C_jS1D_jS1E_S1E_jjS1G_bEUljE0_EEESZ_S10_S11_S18_S1C_S1E_T6_T7_T9_mT8_S1G_bDpT10_ENKUlT_T0_E_clISt17integral_constantIbLb0EES1T_IbLb1EEEEDaS1P_S1Q_EUlS1P_E_NS1_11comp_targetILNS1_3genE3ELNS1_11target_archE908ELNS1_3gpuE7ELNS1_3repE0EEENS1_30default_config_static_selectorELNS0_4arch9wavefront6targetE0EEEvS12_
	.p2align	8
	.type	_ZN7rocprim17ROCPRIM_400000_NS6detail17trampoline_kernelINS0_13select_configILj256ELj13ELNS0_17block_load_methodE3ELS4_3ELS4_3ELNS0_20block_scan_algorithmE0ELj4294967295EEENS1_25partition_config_selectorILNS1_17partition_subalgoE4EjNS0_10empty_typeEbEEZZNS1_14partition_implILS8_4ELb0ES6_15HIP_vector_typeIjLj2EENS0_17counting_iteratorIjlEEPS9_SG_NS0_5tupleIJPjSI_NS0_16reverse_iteratorISI_EEEEENSH_IJSG_SG_SG_EEES9_SI_JZNS1_25segmented_radix_sort_implINS0_14default_configELb0EPKhPhPKlPlN2at6native12_GLOBAL__N_18offset_tEEE10hipError_tPvRmT1_PNSt15iterator_traitsIS12_E10value_typeET2_T3_PNS13_IS18_E10value_typeET4_jRbjT5_S1E_jjP12ihipStream_tbEUljE_ZNSN_ISO_Lb0ESQ_SR_ST_SU_SY_EESZ_S10_S11_S12_S16_S17_S18_S1B_S1C_jS1D_jS1E_S1E_jjS1G_bEUljE0_EEESZ_S10_S11_S18_S1C_S1E_T6_T7_T9_mT8_S1G_bDpT10_ENKUlT_T0_E_clISt17integral_constantIbLb0EES1T_IbLb1EEEEDaS1P_S1Q_EUlS1P_E_NS1_11comp_targetILNS1_3genE3ELNS1_11target_archE908ELNS1_3gpuE7ELNS1_3repE0EEENS1_30default_config_static_selectorELNS0_4arch9wavefront6targetE0EEEvS12_,@function
_ZN7rocprim17ROCPRIM_400000_NS6detail17trampoline_kernelINS0_13select_configILj256ELj13ELNS0_17block_load_methodE3ELS4_3ELS4_3ELNS0_20block_scan_algorithmE0ELj4294967295EEENS1_25partition_config_selectorILNS1_17partition_subalgoE4EjNS0_10empty_typeEbEEZZNS1_14partition_implILS8_4ELb0ES6_15HIP_vector_typeIjLj2EENS0_17counting_iteratorIjlEEPS9_SG_NS0_5tupleIJPjSI_NS0_16reverse_iteratorISI_EEEEENSH_IJSG_SG_SG_EEES9_SI_JZNS1_25segmented_radix_sort_implINS0_14default_configELb0EPKhPhPKlPlN2at6native12_GLOBAL__N_18offset_tEEE10hipError_tPvRmT1_PNSt15iterator_traitsIS12_E10value_typeET2_T3_PNS13_IS18_E10value_typeET4_jRbjT5_S1E_jjP12ihipStream_tbEUljE_ZNSN_ISO_Lb0ESQ_SR_ST_SU_SY_EESZ_S10_S11_S12_S16_S17_S18_S1B_S1C_jS1D_jS1E_S1E_jjS1G_bEUljE0_EEESZ_S10_S11_S18_S1C_S1E_T6_T7_T9_mT8_S1G_bDpT10_ENKUlT_T0_E_clISt17integral_constantIbLb0EES1T_IbLb1EEEEDaS1P_S1Q_EUlS1P_E_NS1_11comp_targetILNS1_3genE3ELNS1_11target_archE908ELNS1_3gpuE7ELNS1_3repE0EEENS1_30default_config_static_selectorELNS0_4arch9wavefront6targetE0EEEvS12_: ; @_ZN7rocprim17ROCPRIM_400000_NS6detail17trampoline_kernelINS0_13select_configILj256ELj13ELNS0_17block_load_methodE3ELS4_3ELS4_3ELNS0_20block_scan_algorithmE0ELj4294967295EEENS1_25partition_config_selectorILNS1_17partition_subalgoE4EjNS0_10empty_typeEbEEZZNS1_14partition_implILS8_4ELb0ES6_15HIP_vector_typeIjLj2EENS0_17counting_iteratorIjlEEPS9_SG_NS0_5tupleIJPjSI_NS0_16reverse_iteratorISI_EEEEENSH_IJSG_SG_SG_EEES9_SI_JZNS1_25segmented_radix_sort_implINS0_14default_configELb0EPKhPhPKlPlN2at6native12_GLOBAL__N_18offset_tEEE10hipError_tPvRmT1_PNSt15iterator_traitsIS12_E10value_typeET2_T3_PNS13_IS18_E10value_typeET4_jRbjT5_S1E_jjP12ihipStream_tbEUljE_ZNSN_ISO_Lb0ESQ_SR_ST_SU_SY_EESZ_S10_S11_S12_S16_S17_S18_S1B_S1C_jS1D_jS1E_S1E_jjS1G_bEUljE0_EEESZ_S10_S11_S18_S1C_S1E_T6_T7_T9_mT8_S1G_bDpT10_ENKUlT_T0_E_clISt17integral_constantIbLb0EES1T_IbLb1EEEEDaS1P_S1Q_EUlS1P_E_NS1_11comp_targetILNS1_3genE3ELNS1_11target_archE908ELNS1_3gpuE7ELNS1_3repE0EEENS1_30default_config_static_selectorELNS0_4arch9wavefront6targetE0EEEvS12_
; %bb.0:
	.section	.rodata,"a",@progbits
	.p2align	6, 0x0
	.amdhsa_kernel _ZN7rocprim17ROCPRIM_400000_NS6detail17trampoline_kernelINS0_13select_configILj256ELj13ELNS0_17block_load_methodE3ELS4_3ELS4_3ELNS0_20block_scan_algorithmE0ELj4294967295EEENS1_25partition_config_selectorILNS1_17partition_subalgoE4EjNS0_10empty_typeEbEEZZNS1_14partition_implILS8_4ELb0ES6_15HIP_vector_typeIjLj2EENS0_17counting_iteratorIjlEEPS9_SG_NS0_5tupleIJPjSI_NS0_16reverse_iteratorISI_EEEEENSH_IJSG_SG_SG_EEES9_SI_JZNS1_25segmented_radix_sort_implINS0_14default_configELb0EPKhPhPKlPlN2at6native12_GLOBAL__N_18offset_tEEE10hipError_tPvRmT1_PNSt15iterator_traitsIS12_E10value_typeET2_T3_PNS13_IS18_E10value_typeET4_jRbjT5_S1E_jjP12ihipStream_tbEUljE_ZNSN_ISO_Lb0ESQ_SR_ST_SU_SY_EESZ_S10_S11_S12_S16_S17_S18_S1B_S1C_jS1D_jS1E_S1E_jjS1G_bEUljE0_EEESZ_S10_S11_S18_S1C_S1E_T6_T7_T9_mT8_S1G_bDpT10_ENKUlT_T0_E_clISt17integral_constantIbLb0EES1T_IbLb1EEEEDaS1P_S1Q_EUlS1P_E_NS1_11comp_targetILNS1_3genE3ELNS1_11target_archE908ELNS1_3gpuE7ELNS1_3repE0EEENS1_30default_config_static_selectorELNS0_4arch9wavefront6targetE0EEEvS12_
		.amdhsa_group_segment_fixed_size 0
		.amdhsa_private_segment_fixed_size 0
		.amdhsa_kernarg_size 184
		.amdhsa_user_sgpr_count 2
		.amdhsa_user_sgpr_dispatch_ptr 0
		.amdhsa_user_sgpr_queue_ptr 0
		.amdhsa_user_sgpr_kernarg_segment_ptr 1
		.amdhsa_user_sgpr_dispatch_id 0
		.amdhsa_user_sgpr_private_segment_size 0
		.amdhsa_wavefront_size32 1
		.amdhsa_uses_dynamic_stack 0
		.amdhsa_enable_private_segment 0
		.amdhsa_system_sgpr_workgroup_id_x 1
		.amdhsa_system_sgpr_workgroup_id_y 0
		.amdhsa_system_sgpr_workgroup_id_z 0
		.amdhsa_system_sgpr_workgroup_info 0
		.amdhsa_system_vgpr_workitem_id 0
		.amdhsa_next_free_vgpr 1
		.amdhsa_next_free_sgpr 1
		.amdhsa_reserve_vcc 0
		.amdhsa_float_round_mode_32 0
		.amdhsa_float_round_mode_16_64 0
		.amdhsa_float_denorm_mode_32 3
		.amdhsa_float_denorm_mode_16_64 3
		.amdhsa_fp16_overflow 0
		.amdhsa_workgroup_processor_mode 1
		.amdhsa_memory_ordered 1
		.amdhsa_forward_progress 1
		.amdhsa_inst_pref_size 0
		.amdhsa_round_robin_scheduling 0
		.amdhsa_exception_fp_ieee_invalid_op 0
		.amdhsa_exception_fp_denorm_src 0
		.amdhsa_exception_fp_ieee_div_zero 0
		.amdhsa_exception_fp_ieee_overflow 0
		.amdhsa_exception_fp_ieee_underflow 0
		.amdhsa_exception_fp_ieee_inexact 0
		.amdhsa_exception_int_div_zero 0
	.end_amdhsa_kernel
	.section	.text._ZN7rocprim17ROCPRIM_400000_NS6detail17trampoline_kernelINS0_13select_configILj256ELj13ELNS0_17block_load_methodE3ELS4_3ELS4_3ELNS0_20block_scan_algorithmE0ELj4294967295EEENS1_25partition_config_selectorILNS1_17partition_subalgoE4EjNS0_10empty_typeEbEEZZNS1_14partition_implILS8_4ELb0ES6_15HIP_vector_typeIjLj2EENS0_17counting_iteratorIjlEEPS9_SG_NS0_5tupleIJPjSI_NS0_16reverse_iteratorISI_EEEEENSH_IJSG_SG_SG_EEES9_SI_JZNS1_25segmented_radix_sort_implINS0_14default_configELb0EPKhPhPKlPlN2at6native12_GLOBAL__N_18offset_tEEE10hipError_tPvRmT1_PNSt15iterator_traitsIS12_E10value_typeET2_T3_PNS13_IS18_E10value_typeET4_jRbjT5_S1E_jjP12ihipStream_tbEUljE_ZNSN_ISO_Lb0ESQ_SR_ST_SU_SY_EESZ_S10_S11_S12_S16_S17_S18_S1B_S1C_jS1D_jS1E_S1E_jjS1G_bEUljE0_EEESZ_S10_S11_S18_S1C_S1E_T6_T7_T9_mT8_S1G_bDpT10_ENKUlT_T0_E_clISt17integral_constantIbLb0EES1T_IbLb1EEEEDaS1P_S1Q_EUlS1P_E_NS1_11comp_targetILNS1_3genE3ELNS1_11target_archE908ELNS1_3gpuE7ELNS1_3repE0EEENS1_30default_config_static_selectorELNS0_4arch9wavefront6targetE0EEEvS12_,"axG",@progbits,_ZN7rocprim17ROCPRIM_400000_NS6detail17trampoline_kernelINS0_13select_configILj256ELj13ELNS0_17block_load_methodE3ELS4_3ELS4_3ELNS0_20block_scan_algorithmE0ELj4294967295EEENS1_25partition_config_selectorILNS1_17partition_subalgoE4EjNS0_10empty_typeEbEEZZNS1_14partition_implILS8_4ELb0ES6_15HIP_vector_typeIjLj2EENS0_17counting_iteratorIjlEEPS9_SG_NS0_5tupleIJPjSI_NS0_16reverse_iteratorISI_EEEEENSH_IJSG_SG_SG_EEES9_SI_JZNS1_25segmented_radix_sort_implINS0_14default_configELb0EPKhPhPKlPlN2at6native12_GLOBAL__N_18offset_tEEE10hipError_tPvRmT1_PNSt15iterator_traitsIS12_E10value_typeET2_T3_PNS13_IS18_E10value_typeET4_jRbjT5_S1E_jjP12ihipStream_tbEUljE_ZNSN_ISO_Lb0ESQ_SR_ST_SU_SY_EESZ_S10_S11_S12_S16_S17_S18_S1B_S1C_jS1D_jS1E_S1E_jjS1G_bEUljE0_EEESZ_S10_S11_S18_S1C_S1E_T6_T7_T9_mT8_S1G_bDpT10_ENKUlT_T0_E_clISt17integral_constantIbLb0EES1T_IbLb1EEEEDaS1P_S1Q_EUlS1P_E_NS1_11comp_targetILNS1_3genE3ELNS1_11target_archE908ELNS1_3gpuE7ELNS1_3repE0EEENS1_30default_config_static_selectorELNS0_4arch9wavefront6targetE0EEEvS12_,comdat
.Lfunc_end149:
	.size	_ZN7rocprim17ROCPRIM_400000_NS6detail17trampoline_kernelINS0_13select_configILj256ELj13ELNS0_17block_load_methodE3ELS4_3ELS4_3ELNS0_20block_scan_algorithmE0ELj4294967295EEENS1_25partition_config_selectorILNS1_17partition_subalgoE4EjNS0_10empty_typeEbEEZZNS1_14partition_implILS8_4ELb0ES6_15HIP_vector_typeIjLj2EENS0_17counting_iteratorIjlEEPS9_SG_NS0_5tupleIJPjSI_NS0_16reverse_iteratorISI_EEEEENSH_IJSG_SG_SG_EEES9_SI_JZNS1_25segmented_radix_sort_implINS0_14default_configELb0EPKhPhPKlPlN2at6native12_GLOBAL__N_18offset_tEEE10hipError_tPvRmT1_PNSt15iterator_traitsIS12_E10value_typeET2_T3_PNS13_IS18_E10value_typeET4_jRbjT5_S1E_jjP12ihipStream_tbEUljE_ZNSN_ISO_Lb0ESQ_SR_ST_SU_SY_EESZ_S10_S11_S12_S16_S17_S18_S1B_S1C_jS1D_jS1E_S1E_jjS1G_bEUljE0_EEESZ_S10_S11_S18_S1C_S1E_T6_T7_T9_mT8_S1G_bDpT10_ENKUlT_T0_E_clISt17integral_constantIbLb0EES1T_IbLb1EEEEDaS1P_S1Q_EUlS1P_E_NS1_11comp_targetILNS1_3genE3ELNS1_11target_archE908ELNS1_3gpuE7ELNS1_3repE0EEENS1_30default_config_static_selectorELNS0_4arch9wavefront6targetE0EEEvS12_, .Lfunc_end149-_ZN7rocprim17ROCPRIM_400000_NS6detail17trampoline_kernelINS0_13select_configILj256ELj13ELNS0_17block_load_methodE3ELS4_3ELS4_3ELNS0_20block_scan_algorithmE0ELj4294967295EEENS1_25partition_config_selectorILNS1_17partition_subalgoE4EjNS0_10empty_typeEbEEZZNS1_14partition_implILS8_4ELb0ES6_15HIP_vector_typeIjLj2EENS0_17counting_iteratorIjlEEPS9_SG_NS0_5tupleIJPjSI_NS0_16reverse_iteratorISI_EEEEENSH_IJSG_SG_SG_EEES9_SI_JZNS1_25segmented_radix_sort_implINS0_14default_configELb0EPKhPhPKlPlN2at6native12_GLOBAL__N_18offset_tEEE10hipError_tPvRmT1_PNSt15iterator_traitsIS12_E10value_typeET2_T3_PNS13_IS18_E10value_typeET4_jRbjT5_S1E_jjP12ihipStream_tbEUljE_ZNSN_ISO_Lb0ESQ_SR_ST_SU_SY_EESZ_S10_S11_S12_S16_S17_S18_S1B_S1C_jS1D_jS1E_S1E_jjS1G_bEUljE0_EEESZ_S10_S11_S18_S1C_S1E_T6_T7_T9_mT8_S1G_bDpT10_ENKUlT_T0_E_clISt17integral_constantIbLb0EES1T_IbLb1EEEEDaS1P_S1Q_EUlS1P_E_NS1_11comp_targetILNS1_3genE3ELNS1_11target_archE908ELNS1_3gpuE7ELNS1_3repE0EEENS1_30default_config_static_selectorELNS0_4arch9wavefront6targetE0EEEvS12_
                                        ; -- End function
	.set _ZN7rocprim17ROCPRIM_400000_NS6detail17trampoline_kernelINS0_13select_configILj256ELj13ELNS0_17block_load_methodE3ELS4_3ELS4_3ELNS0_20block_scan_algorithmE0ELj4294967295EEENS1_25partition_config_selectorILNS1_17partition_subalgoE4EjNS0_10empty_typeEbEEZZNS1_14partition_implILS8_4ELb0ES6_15HIP_vector_typeIjLj2EENS0_17counting_iteratorIjlEEPS9_SG_NS0_5tupleIJPjSI_NS0_16reverse_iteratorISI_EEEEENSH_IJSG_SG_SG_EEES9_SI_JZNS1_25segmented_radix_sort_implINS0_14default_configELb0EPKhPhPKlPlN2at6native12_GLOBAL__N_18offset_tEEE10hipError_tPvRmT1_PNSt15iterator_traitsIS12_E10value_typeET2_T3_PNS13_IS18_E10value_typeET4_jRbjT5_S1E_jjP12ihipStream_tbEUljE_ZNSN_ISO_Lb0ESQ_SR_ST_SU_SY_EESZ_S10_S11_S12_S16_S17_S18_S1B_S1C_jS1D_jS1E_S1E_jjS1G_bEUljE0_EEESZ_S10_S11_S18_S1C_S1E_T6_T7_T9_mT8_S1G_bDpT10_ENKUlT_T0_E_clISt17integral_constantIbLb0EES1T_IbLb1EEEEDaS1P_S1Q_EUlS1P_E_NS1_11comp_targetILNS1_3genE3ELNS1_11target_archE908ELNS1_3gpuE7ELNS1_3repE0EEENS1_30default_config_static_selectorELNS0_4arch9wavefront6targetE0EEEvS12_.num_vgpr, 0
	.set _ZN7rocprim17ROCPRIM_400000_NS6detail17trampoline_kernelINS0_13select_configILj256ELj13ELNS0_17block_load_methodE3ELS4_3ELS4_3ELNS0_20block_scan_algorithmE0ELj4294967295EEENS1_25partition_config_selectorILNS1_17partition_subalgoE4EjNS0_10empty_typeEbEEZZNS1_14partition_implILS8_4ELb0ES6_15HIP_vector_typeIjLj2EENS0_17counting_iteratorIjlEEPS9_SG_NS0_5tupleIJPjSI_NS0_16reverse_iteratorISI_EEEEENSH_IJSG_SG_SG_EEES9_SI_JZNS1_25segmented_radix_sort_implINS0_14default_configELb0EPKhPhPKlPlN2at6native12_GLOBAL__N_18offset_tEEE10hipError_tPvRmT1_PNSt15iterator_traitsIS12_E10value_typeET2_T3_PNS13_IS18_E10value_typeET4_jRbjT5_S1E_jjP12ihipStream_tbEUljE_ZNSN_ISO_Lb0ESQ_SR_ST_SU_SY_EESZ_S10_S11_S12_S16_S17_S18_S1B_S1C_jS1D_jS1E_S1E_jjS1G_bEUljE0_EEESZ_S10_S11_S18_S1C_S1E_T6_T7_T9_mT8_S1G_bDpT10_ENKUlT_T0_E_clISt17integral_constantIbLb0EES1T_IbLb1EEEEDaS1P_S1Q_EUlS1P_E_NS1_11comp_targetILNS1_3genE3ELNS1_11target_archE908ELNS1_3gpuE7ELNS1_3repE0EEENS1_30default_config_static_selectorELNS0_4arch9wavefront6targetE0EEEvS12_.num_agpr, 0
	.set _ZN7rocprim17ROCPRIM_400000_NS6detail17trampoline_kernelINS0_13select_configILj256ELj13ELNS0_17block_load_methodE3ELS4_3ELS4_3ELNS0_20block_scan_algorithmE0ELj4294967295EEENS1_25partition_config_selectorILNS1_17partition_subalgoE4EjNS0_10empty_typeEbEEZZNS1_14partition_implILS8_4ELb0ES6_15HIP_vector_typeIjLj2EENS0_17counting_iteratorIjlEEPS9_SG_NS0_5tupleIJPjSI_NS0_16reverse_iteratorISI_EEEEENSH_IJSG_SG_SG_EEES9_SI_JZNS1_25segmented_radix_sort_implINS0_14default_configELb0EPKhPhPKlPlN2at6native12_GLOBAL__N_18offset_tEEE10hipError_tPvRmT1_PNSt15iterator_traitsIS12_E10value_typeET2_T3_PNS13_IS18_E10value_typeET4_jRbjT5_S1E_jjP12ihipStream_tbEUljE_ZNSN_ISO_Lb0ESQ_SR_ST_SU_SY_EESZ_S10_S11_S12_S16_S17_S18_S1B_S1C_jS1D_jS1E_S1E_jjS1G_bEUljE0_EEESZ_S10_S11_S18_S1C_S1E_T6_T7_T9_mT8_S1G_bDpT10_ENKUlT_T0_E_clISt17integral_constantIbLb0EES1T_IbLb1EEEEDaS1P_S1Q_EUlS1P_E_NS1_11comp_targetILNS1_3genE3ELNS1_11target_archE908ELNS1_3gpuE7ELNS1_3repE0EEENS1_30default_config_static_selectorELNS0_4arch9wavefront6targetE0EEEvS12_.numbered_sgpr, 0
	.set _ZN7rocprim17ROCPRIM_400000_NS6detail17trampoline_kernelINS0_13select_configILj256ELj13ELNS0_17block_load_methodE3ELS4_3ELS4_3ELNS0_20block_scan_algorithmE0ELj4294967295EEENS1_25partition_config_selectorILNS1_17partition_subalgoE4EjNS0_10empty_typeEbEEZZNS1_14partition_implILS8_4ELb0ES6_15HIP_vector_typeIjLj2EENS0_17counting_iteratorIjlEEPS9_SG_NS0_5tupleIJPjSI_NS0_16reverse_iteratorISI_EEEEENSH_IJSG_SG_SG_EEES9_SI_JZNS1_25segmented_radix_sort_implINS0_14default_configELb0EPKhPhPKlPlN2at6native12_GLOBAL__N_18offset_tEEE10hipError_tPvRmT1_PNSt15iterator_traitsIS12_E10value_typeET2_T3_PNS13_IS18_E10value_typeET4_jRbjT5_S1E_jjP12ihipStream_tbEUljE_ZNSN_ISO_Lb0ESQ_SR_ST_SU_SY_EESZ_S10_S11_S12_S16_S17_S18_S1B_S1C_jS1D_jS1E_S1E_jjS1G_bEUljE0_EEESZ_S10_S11_S18_S1C_S1E_T6_T7_T9_mT8_S1G_bDpT10_ENKUlT_T0_E_clISt17integral_constantIbLb0EES1T_IbLb1EEEEDaS1P_S1Q_EUlS1P_E_NS1_11comp_targetILNS1_3genE3ELNS1_11target_archE908ELNS1_3gpuE7ELNS1_3repE0EEENS1_30default_config_static_selectorELNS0_4arch9wavefront6targetE0EEEvS12_.num_named_barrier, 0
	.set _ZN7rocprim17ROCPRIM_400000_NS6detail17trampoline_kernelINS0_13select_configILj256ELj13ELNS0_17block_load_methodE3ELS4_3ELS4_3ELNS0_20block_scan_algorithmE0ELj4294967295EEENS1_25partition_config_selectorILNS1_17partition_subalgoE4EjNS0_10empty_typeEbEEZZNS1_14partition_implILS8_4ELb0ES6_15HIP_vector_typeIjLj2EENS0_17counting_iteratorIjlEEPS9_SG_NS0_5tupleIJPjSI_NS0_16reverse_iteratorISI_EEEEENSH_IJSG_SG_SG_EEES9_SI_JZNS1_25segmented_radix_sort_implINS0_14default_configELb0EPKhPhPKlPlN2at6native12_GLOBAL__N_18offset_tEEE10hipError_tPvRmT1_PNSt15iterator_traitsIS12_E10value_typeET2_T3_PNS13_IS18_E10value_typeET4_jRbjT5_S1E_jjP12ihipStream_tbEUljE_ZNSN_ISO_Lb0ESQ_SR_ST_SU_SY_EESZ_S10_S11_S12_S16_S17_S18_S1B_S1C_jS1D_jS1E_S1E_jjS1G_bEUljE0_EEESZ_S10_S11_S18_S1C_S1E_T6_T7_T9_mT8_S1G_bDpT10_ENKUlT_T0_E_clISt17integral_constantIbLb0EES1T_IbLb1EEEEDaS1P_S1Q_EUlS1P_E_NS1_11comp_targetILNS1_3genE3ELNS1_11target_archE908ELNS1_3gpuE7ELNS1_3repE0EEENS1_30default_config_static_selectorELNS0_4arch9wavefront6targetE0EEEvS12_.private_seg_size, 0
	.set _ZN7rocprim17ROCPRIM_400000_NS6detail17trampoline_kernelINS0_13select_configILj256ELj13ELNS0_17block_load_methodE3ELS4_3ELS4_3ELNS0_20block_scan_algorithmE0ELj4294967295EEENS1_25partition_config_selectorILNS1_17partition_subalgoE4EjNS0_10empty_typeEbEEZZNS1_14partition_implILS8_4ELb0ES6_15HIP_vector_typeIjLj2EENS0_17counting_iteratorIjlEEPS9_SG_NS0_5tupleIJPjSI_NS0_16reverse_iteratorISI_EEEEENSH_IJSG_SG_SG_EEES9_SI_JZNS1_25segmented_radix_sort_implINS0_14default_configELb0EPKhPhPKlPlN2at6native12_GLOBAL__N_18offset_tEEE10hipError_tPvRmT1_PNSt15iterator_traitsIS12_E10value_typeET2_T3_PNS13_IS18_E10value_typeET4_jRbjT5_S1E_jjP12ihipStream_tbEUljE_ZNSN_ISO_Lb0ESQ_SR_ST_SU_SY_EESZ_S10_S11_S12_S16_S17_S18_S1B_S1C_jS1D_jS1E_S1E_jjS1G_bEUljE0_EEESZ_S10_S11_S18_S1C_S1E_T6_T7_T9_mT8_S1G_bDpT10_ENKUlT_T0_E_clISt17integral_constantIbLb0EES1T_IbLb1EEEEDaS1P_S1Q_EUlS1P_E_NS1_11comp_targetILNS1_3genE3ELNS1_11target_archE908ELNS1_3gpuE7ELNS1_3repE0EEENS1_30default_config_static_selectorELNS0_4arch9wavefront6targetE0EEEvS12_.uses_vcc, 0
	.set _ZN7rocprim17ROCPRIM_400000_NS6detail17trampoline_kernelINS0_13select_configILj256ELj13ELNS0_17block_load_methodE3ELS4_3ELS4_3ELNS0_20block_scan_algorithmE0ELj4294967295EEENS1_25partition_config_selectorILNS1_17partition_subalgoE4EjNS0_10empty_typeEbEEZZNS1_14partition_implILS8_4ELb0ES6_15HIP_vector_typeIjLj2EENS0_17counting_iteratorIjlEEPS9_SG_NS0_5tupleIJPjSI_NS0_16reverse_iteratorISI_EEEEENSH_IJSG_SG_SG_EEES9_SI_JZNS1_25segmented_radix_sort_implINS0_14default_configELb0EPKhPhPKlPlN2at6native12_GLOBAL__N_18offset_tEEE10hipError_tPvRmT1_PNSt15iterator_traitsIS12_E10value_typeET2_T3_PNS13_IS18_E10value_typeET4_jRbjT5_S1E_jjP12ihipStream_tbEUljE_ZNSN_ISO_Lb0ESQ_SR_ST_SU_SY_EESZ_S10_S11_S12_S16_S17_S18_S1B_S1C_jS1D_jS1E_S1E_jjS1G_bEUljE0_EEESZ_S10_S11_S18_S1C_S1E_T6_T7_T9_mT8_S1G_bDpT10_ENKUlT_T0_E_clISt17integral_constantIbLb0EES1T_IbLb1EEEEDaS1P_S1Q_EUlS1P_E_NS1_11comp_targetILNS1_3genE3ELNS1_11target_archE908ELNS1_3gpuE7ELNS1_3repE0EEENS1_30default_config_static_selectorELNS0_4arch9wavefront6targetE0EEEvS12_.uses_flat_scratch, 0
	.set _ZN7rocprim17ROCPRIM_400000_NS6detail17trampoline_kernelINS0_13select_configILj256ELj13ELNS0_17block_load_methodE3ELS4_3ELS4_3ELNS0_20block_scan_algorithmE0ELj4294967295EEENS1_25partition_config_selectorILNS1_17partition_subalgoE4EjNS0_10empty_typeEbEEZZNS1_14partition_implILS8_4ELb0ES6_15HIP_vector_typeIjLj2EENS0_17counting_iteratorIjlEEPS9_SG_NS0_5tupleIJPjSI_NS0_16reverse_iteratorISI_EEEEENSH_IJSG_SG_SG_EEES9_SI_JZNS1_25segmented_radix_sort_implINS0_14default_configELb0EPKhPhPKlPlN2at6native12_GLOBAL__N_18offset_tEEE10hipError_tPvRmT1_PNSt15iterator_traitsIS12_E10value_typeET2_T3_PNS13_IS18_E10value_typeET4_jRbjT5_S1E_jjP12ihipStream_tbEUljE_ZNSN_ISO_Lb0ESQ_SR_ST_SU_SY_EESZ_S10_S11_S12_S16_S17_S18_S1B_S1C_jS1D_jS1E_S1E_jjS1G_bEUljE0_EEESZ_S10_S11_S18_S1C_S1E_T6_T7_T9_mT8_S1G_bDpT10_ENKUlT_T0_E_clISt17integral_constantIbLb0EES1T_IbLb1EEEEDaS1P_S1Q_EUlS1P_E_NS1_11comp_targetILNS1_3genE3ELNS1_11target_archE908ELNS1_3gpuE7ELNS1_3repE0EEENS1_30default_config_static_selectorELNS0_4arch9wavefront6targetE0EEEvS12_.has_dyn_sized_stack, 0
	.set _ZN7rocprim17ROCPRIM_400000_NS6detail17trampoline_kernelINS0_13select_configILj256ELj13ELNS0_17block_load_methodE3ELS4_3ELS4_3ELNS0_20block_scan_algorithmE0ELj4294967295EEENS1_25partition_config_selectorILNS1_17partition_subalgoE4EjNS0_10empty_typeEbEEZZNS1_14partition_implILS8_4ELb0ES6_15HIP_vector_typeIjLj2EENS0_17counting_iteratorIjlEEPS9_SG_NS0_5tupleIJPjSI_NS0_16reverse_iteratorISI_EEEEENSH_IJSG_SG_SG_EEES9_SI_JZNS1_25segmented_radix_sort_implINS0_14default_configELb0EPKhPhPKlPlN2at6native12_GLOBAL__N_18offset_tEEE10hipError_tPvRmT1_PNSt15iterator_traitsIS12_E10value_typeET2_T3_PNS13_IS18_E10value_typeET4_jRbjT5_S1E_jjP12ihipStream_tbEUljE_ZNSN_ISO_Lb0ESQ_SR_ST_SU_SY_EESZ_S10_S11_S12_S16_S17_S18_S1B_S1C_jS1D_jS1E_S1E_jjS1G_bEUljE0_EEESZ_S10_S11_S18_S1C_S1E_T6_T7_T9_mT8_S1G_bDpT10_ENKUlT_T0_E_clISt17integral_constantIbLb0EES1T_IbLb1EEEEDaS1P_S1Q_EUlS1P_E_NS1_11comp_targetILNS1_3genE3ELNS1_11target_archE908ELNS1_3gpuE7ELNS1_3repE0EEENS1_30default_config_static_selectorELNS0_4arch9wavefront6targetE0EEEvS12_.has_recursion, 0
	.set _ZN7rocprim17ROCPRIM_400000_NS6detail17trampoline_kernelINS0_13select_configILj256ELj13ELNS0_17block_load_methodE3ELS4_3ELS4_3ELNS0_20block_scan_algorithmE0ELj4294967295EEENS1_25partition_config_selectorILNS1_17partition_subalgoE4EjNS0_10empty_typeEbEEZZNS1_14partition_implILS8_4ELb0ES6_15HIP_vector_typeIjLj2EENS0_17counting_iteratorIjlEEPS9_SG_NS0_5tupleIJPjSI_NS0_16reverse_iteratorISI_EEEEENSH_IJSG_SG_SG_EEES9_SI_JZNS1_25segmented_radix_sort_implINS0_14default_configELb0EPKhPhPKlPlN2at6native12_GLOBAL__N_18offset_tEEE10hipError_tPvRmT1_PNSt15iterator_traitsIS12_E10value_typeET2_T3_PNS13_IS18_E10value_typeET4_jRbjT5_S1E_jjP12ihipStream_tbEUljE_ZNSN_ISO_Lb0ESQ_SR_ST_SU_SY_EESZ_S10_S11_S12_S16_S17_S18_S1B_S1C_jS1D_jS1E_S1E_jjS1G_bEUljE0_EEESZ_S10_S11_S18_S1C_S1E_T6_T7_T9_mT8_S1G_bDpT10_ENKUlT_T0_E_clISt17integral_constantIbLb0EES1T_IbLb1EEEEDaS1P_S1Q_EUlS1P_E_NS1_11comp_targetILNS1_3genE3ELNS1_11target_archE908ELNS1_3gpuE7ELNS1_3repE0EEENS1_30default_config_static_selectorELNS0_4arch9wavefront6targetE0EEEvS12_.has_indirect_call, 0
	.section	.AMDGPU.csdata,"",@progbits
; Kernel info:
; codeLenInByte = 0
; TotalNumSgprs: 0
; NumVgprs: 0
; ScratchSize: 0
; MemoryBound: 0
; FloatMode: 240
; IeeeMode: 1
; LDSByteSize: 0 bytes/workgroup (compile time only)
; SGPRBlocks: 0
; VGPRBlocks: 0
; NumSGPRsForWavesPerEU: 1
; NumVGPRsForWavesPerEU: 1
; Occupancy: 16
; WaveLimiterHint : 0
; COMPUTE_PGM_RSRC2:SCRATCH_EN: 0
; COMPUTE_PGM_RSRC2:USER_SGPR: 2
; COMPUTE_PGM_RSRC2:TRAP_HANDLER: 0
; COMPUTE_PGM_RSRC2:TGID_X_EN: 1
; COMPUTE_PGM_RSRC2:TGID_Y_EN: 0
; COMPUTE_PGM_RSRC2:TGID_Z_EN: 0
; COMPUTE_PGM_RSRC2:TIDIG_COMP_CNT: 0
	.section	.text._ZN7rocprim17ROCPRIM_400000_NS6detail17trampoline_kernelINS0_13select_configILj256ELj13ELNS0_17block_load_methodE3ELS4_3ELS4_3ELNS0_20block_scan_algorithmE0ELj4294967295EEENS1_25partition_config_selectorILNS1_17partition_subalgoE4EjNS0_10empty_typeEbEEZZNS1_14partition_implILS8_4ELb0ES6_15HIP_vector_typeIjLj2EENS0_17counting_iteratorIjlEEPS9_SG_NS0_5tupleIJPjSI_NS0_16reverse_iteratorISI_EEEEENSH_IJSG_SG_SG_EEES9_SI_JZNS1_25segmented_radix_sort_implINS0_14default_configELb0EPKhPhPKlPlN2at6native12_GLOBAL__N_18offset_tEEE10hipError_tPvRmT1_PNSt15iterator_traitsIS12_E10value_typeET2_T3_PNS13_IS18_E10value_typeET4_jRbjT5_S1E_jjP12ihipStream_tbEUljE_ZNSN_ISO_Lb0ESQ_SR_ST_SU_SY_EESZ_S10_S11_S12_S16_S17_S18_S1B_S1C_jS1D_jS1E_S1E_jjS1G_bEUljE0_EEESZ_S10_S11_S18_S1C_S1E_T6_T7_T9_mT8_S1G_bDpT10_ENKUlT_T0_E_clISt17integral_constantIbLb0EES1T_IbLb1EEEEDaS1P_S1Q_EUlS1P_E_NS1_11comp_targetILNS1_3genE2ELNS1_11target_archE906ELNS1_3gpuE6ELNS1_3repE0EEENS1_30default_config_static_selectorELNS0_4arch9wavefront6targetE0EEEvS12_,"axG",@progbits,_ZN7rocprim17ROCPRIM_400000_NS6detail17trampoline_kernelINS0_13select_configILj256ELj13ELNS0_17block_load_methodE3ELS4_3ELS4_3ELNS0_20block_scan_algorithmE0ELj4294967295EEENS1_25partition_config_selectorILNS1_17partition_subalgoE4EjNS0_10empty_typeEbEEZZNS1_14partition_implILS8_4ELb0ES6_15HIP_vector_typeIjLj2EENS0_17counting_iteratorIjlEEPS9_SG_NS0_5tupleIJPjSI_NS0_16reverse_iteratorISI_EEEEENSH_IJSG_SG_SG_EEES9_SI_JZNS1_25segmented_radix_sort_implINS0_14default_configELb0EPKhPhPKlPlN2at6native12_GLOBAL__N_18offset_tEEE10hipError_tPvRmT1_PNSt15iterator_traitsIS12_E10value_typeET2_T3_PNS13_IS18_E10value_typeET4_jRbjT5_S1E_jjP12ihipStream_tbEUljE_ZNSN_ISO_Lb0ESQ_SR_ST_SU_SY_EESZ_S10_S11_S12_S16_S17_S18_S1B_S1C_jS1D_jS1E_S1E_jjS1G_bEUljE0_EEESZ_S10_S11_S18_S1C_S1E_T6_T7_T9_mT8_S1G_bDpT10_ENKUlT_T0_E_clISt17integral_constantIbLb0EES1T_IbLb1EEEEDaS1P_S1Q_EUlS1P_E_NS1_11comp_targetILNS1_3genE2ELNS1_11target_archE906ELNS1_3gpuE6ELNS1_3repE0EEENS1_30default_config_static_selectorELNS0_4arch9wavefront6targetE0EEEvS12_,comdat
	.globl	_ZN7rocprim17ROCPRIM_400000_NS6detail17trampoline_kernelINS0_13select_configILj256ELj13ELNS0_17block_load_methodE3ELS4_3ELS4_3ELNS0_20block_scan_algorithmE0ELj4294967295EEENS1_25partition_config_selectorILNS1_17partition_subalgoE4EjNS0_10empty_typeEbEEZZNS1_14partition_implILS8_4ELb0ES6_15HIP_vector_typeIjLj2EENS0_17counting_iteratorIjlEEPS9_SG_NS0_5tupleIJPjSI_NS0_16reverse_iteratorISI_EEEEENSH_IJSG_SG_SG_EEES9_SI_JZNS1_25segmented_radix_sort_implINS0_14default_configELb0EPKhPhPKlPlN2at6native12_GLOBAL__N_18offset_tEEE10hipError_tPvRmT1_PNSt15iterator_traitsIS12_E10value_typeET2_T3_PNS13_IS18_E10value_typeET4_jRbjT5_S1E_jjP12ihipStream_tbEUljE_ZNSN_ISO_Lb0ESQ_SR_ST_SU_SY_EESZ_S10_S11_S12_S16_S17_S18_S1B_S1C_jS1D_jS1E_S1E_jjS1G_bEUljE0_EEESZ_S10_S11_S18_S1C_S1E_T6_T7_T9_mT8_S1G_bDpT10_ENKUlT_T0_E_clISt17integral_constantIbLb0EES1T_IbLb1EEEEDaS1P_S1Q_EUlS1P_E_NS1_11comp_targetILNS1_3genE2ELNS1_11target_archE906ELNS1_3gpuE6ELNS1_3repE0EEENS1_30default_config_static_selectorELNS0_4arch9wavefront6targetE0EEEvS12_ ; -- Begin function _ZN7rocprim17ROCPRIM_400000_NS6detail17trampoline_kernelINS0_13select_configILj256ELj13ELNS0_17block_load_methodE3ELS4_3ELS4_3ELNS0_20block_scan_algorithmE0ELj4294967295EEENS1_25partition_config_selectorILNS1_17partition_subalgoE4EjNS0_10empty_typeEbEEZZNS1_14partition_implILS8_4ELb0ES6_15HIP_vector_typeIjLj2EENS0_17counting_iteratorIjlEEPS9_SG_NS0_5tupleIJPjSI_NS0_16reverse_iteratorISI_EEEEENSH_IJSG_SG_SG_EEES9_SI_JZNS1_25segmented_radix_sort_implINS0_14default_configELb0EPKhPhPKlPlN2at6native12_GLOBAL__N_18offset_tEEE10hipError_tPvRmT1_PNSt15iterator_traitsIS12_E10value_typeET2_T3_PNS13_IS18_E10value_typeET4_jRbjT5_S1E_jjP12ihipStream_tbEUljE_ZNSN_ISO_Lb0ESQ_SR_ST_SU_SY_EESZ_S10_S11_S12_S16_S17_S18_S1B_S1C_jS1D_jS1E_S1E_jjS1G_bEUljE0_EEESZ_S10_S11_S18_S1C_S1E_T6_T7_T9_mT8_S1G_bDpT10_ENKUlT_T0_E_clISt17integral_constantIbLb0EES1T_IbLb1EEEEDaS1P_S1Q_EUlS1P_E_NS1_11comp_targetILNS1_3genE2ELNS1_11target_archE906ELNS1_3gpuE6ELNS1_3repE0EEENS1_30default_config_static_selectorELNS0_4arch9wavefront6targetE0EEEvS12_
	.p2align	8
	.type	_ZN7rocprim17ROCPRIM_400000_NS6detail17trampoline_kernelINS0_13select_configILj256ELj13ELNS0_17block_load_methodE3ELS4_3ELS4_3ELNS0_20block_scan_algorithmE0ELj4294967295EEENS1_25partition_config_selectorILNS1_17partition_subalgoE4EjNS0_10empty_typeEbEEZZNS1_14partition_implILS8_4ELb0ES6_15HIP_vector_typeIjLj2EENS0_17counting_iteratorIjlEEPS9_SG_NS0_5tupleIJPjSI_NS0_16reverse_iteratorISI_EEEEENSH_IJSG_SG_SG_EEES9_SI_JZNS1_25segmented_radix_sort_implINS0_14default_configELb0EPKhPhPKlPlN2at6native12_GLOBAL__N_18offset_tEEE10hipError_tPvRmT1_PNSt15iterator_traitsIS12_E10value_typeET2_T3_PNS13_IS18_E10value_typeET4_jRbjT5_S1E_jjP12ihipStream_tbEUljE_ZNSN_ISO_Lb0ESQ_SR_ST_SU_SY_EESZ_S10_S11_S12_S16_S17_S18_S1B_S1C_jS1D_jS1E_S1E_jjS1G_bEUljE0_EEESZ_S10_S11_S18_S1C_S1E_T6_T7_T9_mT8_S1G_bDpT10_ENKUlT_T0_E_clISt17integral_constantIbLb0EES1T_IbLb1EEEEDaS1P_S1Q_EUlS1P_E_NS1_11comp_targetILNS1_3genE2ELNS1_11target_archE906ELNS1_3gpuE6ELNS1_3repE0EEENS1_30default_config_static_selectorELNS0_4arch9wavefront6targetE0EEEvS12_,@function
_ZN7rocprim17ROCPRIM_400000_NS6detail17trampoline_kernelINS0_13select_configILj256ELj13ELNS0_17block_load_methodE3ELS4_3ELS4_3ELNS0_20block_scan_algorithmE0ELj4294967295EEENS1_25partition_config_selectorILNS1_17partition_subalgoE4EjNS0_10empty_typeEbEEZZNS1_14partition_implILS8_4ELb0ES6_15HIP_vector_typeIjLj2EENS0_17counting_iteratorIjlEEPS9_SG_NS0_5tupleIJPjSI_NS0_16reverse_iteratorISI_EEEEENSH_IJSG_SG_SG_EEES9_SI_JZNS1_25segmented_radix_sort_implINS0_14default_configELb0EPKhPhPKlPlN2at6native12_GLOBAL__N_18offset_tEEE10hipError_tPvRmT1_PNSt15iterator_traitsIS12_E10value_typeET2_T3_PNS13_IS18_E10value_typeET4_jRbjT5_S1E_jjP12ihipStream_tbEUljE_ZNSN_ISO_Lb0ESQ_SR_ST_SU_SY_EESZ_S10_S11_S12_S16_S17_S18_S1B_S1C_jS1D_jS1E_S1E_jjS1G_bEUljE0_EEESZ_S10_S11_S18_S1C_S1E_T6_T7_T9_mT8_S1G_bDpT10_ENKUlT_T0_E_clISt17integral_constantIbLb0EES1T_IbLb1EEEEDaS1P_S1Q_EUlS1P_E_NS1_11comp_targetILNS1_3genE2ELNS1_11target_archE906ELNS1_3gpuE6ELNS1_3repE0EEENS1_30default_config_static_selectorELNS0_4arch9wavefront6targetE0EEEvS12_: ; @_ZN7rocprim17ROCPRIM_400000_NS6detail17trampoline_kernelINS0_13select_configILj256ELj13ELNS0_17block_load_methodE3ELS4_3ELS4_3ELNS0_20block_scan_algorithmE0ELj4294967295EEENS1_25partition_config_selectorILNS1_17partition_subalgoE4EjNS0_10empty_typeEbEEZZNS1_14partition_implILS8_4ELb0ES6_15HIP_vector_typeIjLj2EENS0_17counting_iteratorIjlEEPS9_SG_NS0_5tupleIJPjSI_NS0_16reverse_iteratorISI_EEEEENSH_IJSG_SG_SG_EEES9_SI_JZNS1_25segmented_radix_sort_implINS0_14default_configELb0EPKhPhPKlPlN2at6native12_GLOBAL__N_18offset_tEEE10hipError_tPvRmT1_PNSt15iterator_traitsIS12_E10value_typeET2_T3_PNS13_IS18_E10value_typeET4_jRbjT5_S1E_jjP12ihipStream_tbEUljE_ZNSN_ISO_Lb0ESQ_SR_ST_SU_SY_EESZ_S10_S11_S12_S16_S17_S18_S1B_S1C_jS1D_jS1E_S1E_jjS1G_bEUljE0_EEESZ_S10_S11_S18_S1C_S1E_T6_T7_T9_mT8_S1G_bDpT10_ENKUlT_T0_E_clISt17integral_constantIbLb0EES1T_IbLb1EEEEDaS1P_S1Q_EUlS1P_E_NS1_11comp_targetILNS1_3genE2ELNS1_11target_archE906ELNS1_3gpuE6ELNS1_3repE0EEENS1_30default_config_static_selectorELNS0_4arch9wavefront6targetE0EEEvS12_
; %bb.0:
	.section	.rodata,"a",@progbits
	.p2align	6, 0x0
	.amdhsa_kernel _ZN7rocprim17ROCPRIM_400000_NS6detail17trampoline_kernelINS0_13select_configILj256ELj13ELNS0_17block_load_methodE3ELS4_3ELS4_3ELNS0_20block_scan_algorithmE0ELj4294967295EEENS1_25partition_config_selectorILNS1_17partition_subalgoE4EjNS0_10empty_typeEbEEZZNS1_14partition_implILS8_4ELb0ES6_15HIP_vector_typeIjLj2EENS0_17counting_iteratorIjlEEPS9_SG_NS0_5tupleIJPjSI_NS0_16reverse_iteratorISI_EEEEENSH_IJSG_SG_SG_EEES9_SI_JZNS1_25segmented_radix_sort_implINS0_14default_configELb0EPKhPhPKlPlN2at6native12_GLOBAL__N_18offset_tEEE10hipError_tPvRmT1_PNSt15iterator_traitsIS12_E10value_typeET2_T3_PNS13_IS18_E10value_typeET4_jRbjT5_S1E_jjP12ihipStream_tbEUljE_ZNSN_ISO_Lb0ESQ_SR_ST_SU_SY_EESZ_S10_S11_S12_S16_S17_S18_S1B_S1C_jS1D_jS1E_S1E_jjS1G_bEUljE0_EEESZ_S10_S11_S18_S1C_S1E_T6_T7_T9_mT8_S1G_bDpT10_ENKUlT_T0_E_clISt17integral_constantIbLb0EES1T_IbLb1EEEEDaS1P_S1Q_EUlS1P_E_NS1_11comp_targetILNS1_3genE2ELNS1_11target_archE906ELNS1_3gpuE6ELNS1_3repE0EEENS1_30default_config_static_selectorELNS0_4arch9wavefront6targetE0EEEvS12_
		.amdhsa_group_segment_fixed_size 0
		.amdhsa_private_segment_fixed_size 0
		.amdhsa_kernarg_size 184
		.amdhsa_user_sgpr_count 2
		.amdhsa_user_sgpr_dispatch_ptr 0
		.amdhsa_user_sgpr_queue_ptr 0
		.amdhsa_user_sgpr_kernarg_segment_ptr 1
		.amdhsa_user_sgpr_dispatch_id 0
		.amdhsa_user_sgpr_private_segment_size 0
		.amdhsa_wavefront_size32 1
		.amdhsa_uses_dynamic_stack 0
		.amdhsa_enable_private_segment 0
		.amdhsa_system_sgpr_workgroup_id_x 1
		.amdhsa_system_sgpr_workgroup_id_y 0
		.amdhsa_system_sgpr_workgroup_id_z 0
		.amdhsa_system_sgpr_workgroup_info 0
		.amdhsa_system_vgpr_workitem_id 0
		.amdhsa_next_free_vgpr 1
		.amdhsa_next_free_sgpr 1
		.amdhsa_reserve_vcc 0
		.amdhsa_float_round_mode_32 0
		.amdhsa_float_round_mode_16_64 0
		.amdhsa_float_denorm_mode_32 3
		.amdhsa_float_denorm_mode_16_64 3
		.amdhsa_fp16_overflow 0
		.amdhsa_workgroup_processor_mode 1
		.amdhsa_memory_ordered 1
		.amdhsa_forward_progress 1
		.amdhsa_inst_pref_size 0
		.amdhsa_round_robin_scheduling 0
		.amdhsa_exception_fp_ieee_invalid_op 0
		.amdhsa_exception_fp_denorm_src 0
		.amdhsa_exception_fp_ieee_div_zero 0
		.amdhsa_exception_fp_ieee_overflow 0
		.amdhsa_exception_fp_ieee_underflow 0
		.amdhsa_exception_fp_ieee_inexact 0
		.amdhsa_exception_int_div_zero 0
	.end_amdhsa_kernel
	.section	.text._ZN7rocprim17ROCPRIM_400000_NS6detail17trampoline_kernelINS0_13select_configILj256ELj13ELNS0_17block_load_methodE3ELS4_3ELS4_3ELNS0_20block_scan_algorithmE0ELj4294967295EEENS1_25partition_config_selectorILNS1_17partition_subalgoE4EjNS0_10empty_typeEbEEZZNS1_14partition_implILS8_4ELb0ES6_15HIP_vector_typeIjLj2EENS0_17counting_iteratorIjlEEPS9_SG_NS0_5tupleIJPjSI_NS0_16reverse_iteratorISI_EEEEENSH_IJSG_SG_SG_EEES9_SI_JZNS1_25segmented_radix_sort_implINS0_14default_configELb0EPKhPhPKlPlN2at6native12_GLOBAL__N_18offset_tEEE10hipError_tPvRmT1_PNSt15iterator_traitsIS12_E10value_typeET2_T3_PNS13_IS18_E10value_typeET4_jRbjT5_S1E_jjP12ihipStream_tbEUljE_ZNSN_ISO_Lb0ESQ_SR_ST_SU_SY_EESZ_S10_S11_S12_S16_S17_S18_S1B_S1C_jS1D_jS1E_S1E_jjS1G_bEUljE0_EEESZ_S10_S11_S18_S1C_S1E_T6_T7_T9_mT8_S1G_bDpT10_ENKUlT_T0_E_clISt17integral_constantIbLb0EES1T_IbLb1EEEEDaS1P_S1Q_EUlS1P_E_NS1_11comp_targetILNS1_3genE2ELNS1_11target_archE906ELNS1_3gpuE6ELNS1_3repE0EEENS1_30default_config_static_selectorELNS0_4arch9wavefront6targetE0EEEvS12_,"axG",@progbits,_ZN7rocprim17ROCPRIM_400000_NS6detail17trampoline_kernelINS0_13select_configILj256ELj13ELNS0_17block_load_methodE3ELS4_3ELS4_3ELNS0_20block_scan_algorithmE0ELj4294967295EEENS1_25partition_config_selectorILNS1_17partition_subalgoE4EjNS0_10empty_typeEbEEZZNS1_14partition_implILS8_4ELb0ES6_15HIP_vector_typeIjLj2EENS0_17counting_iteratorIjlEEPS9_SG_NS0_5tupleIJPjSI_NS0_16reverse_iteratorISI_EEEEENSH_IJSG_SG_SG_EEES9_SI_JZNS1_25segmented_radix_sort_implINS0_14default_configELb0EPKhPhPKlPlN2at6native12_GLOBAL__N_18offset_tEEE10hipError_tPvRmT1_PNSt15iterator_traitsIS12_E10value_typeET2_T3_PNS13_IS18_E10value_typeET4_jRbjT5_S1E_jjP12ihipStream_tbEUljE_ZNSN_ISO_Lb0ESQ_SR_ST_SU_SY_EESZ_S10_S11_S12_S16_S17_S18_S1B_S1C_jS1D_jS1E_S1E_jjS1G_bEUljE0_EEESZ_S10_S11_S18_S1C_S1E_T6_T7_T9_mT8_S1G_bDpT10_ENKUlT_T0_E_clISt17integral_constantIbLb0EES1T_IbLb1EEEEDaS1P_S1Q_EUlS1P_E_NS1_11comp_targetILNS1_3genE2ELNS1_11target_archE906ELNS1_3gpuE6ELNS1_3repE0EEENS1_30default_config_static_selectorELNS0_4arch9wavefront6targetE0EEEvS12_,comdat
.Lfunc_end150:
	.size	_ZN7rocprim17ROCPRIM_400000_NS6detail17trampoline_kernelINS0_13select_configILj256ELj13ELNS0_17block_load_methodE3ELS4_3ELS4_3ELNS0_20block_scan_algorithmE0ELj4294967295EEENS1_25partition_config_selectorILNS1_17partition_subalgoE4EjNS0_10empty_typeEbEEZZNS1_14partition_implILS8_4ELb0ES6_15HIP_vector_typeIjLj2EENS0_17counting_iteratorIjlEEPS9_SG_NS0_5tupleIJPjSI_NS0_16reverse_iteratorISI_EEEEENSH_IJSG_SG_SG_EEES9_SI_JZNS1_25segmented_radix_sort_implINS0_14default_configELb0EPKhPhPKlPlN2at6native12_GLOBAL__N_18offset_tEEE10hipError_tPvRmT1_PNSt15iterator_traitsIS12_E10value_typeET2_T3_PNS13_IS18_E10value_typeET4_jRbjT5_S1E_jjP12ihipStream_tbEUljE_ZNSN_ISO_Lb0ESQ_SR_ST_SU_SY_EESZ_S10_S11_S12_S16_S17_S18_S1B_S1C_jS1D_jS1E_S1E_jjS1G_bEUljE0_EEESZ_S10_S11_S18_S1C_S1E_T6_T7_T9_mT8_S1G_bDpT10_ENKUlT_T0_E_clISt17integral_constantIbLb0EES1T_IbLb1EEEEDaS1P_S1Q_EUlS1P_E_NS1_11comp_targetILNS1_3genE2ELNS1_11target_archE906ELNS1_3gpuE6ELNS1_3repE0EEENS1_30default_config_static_selectorELNS0_4arch9wavefront6targetE0EEEvS12_, .Lfunc_end150-_ZN7rocprim17ROCPRIM_400000_NS6detail17trampoline_kernelINS0_13select_configILj256ELj13ELNS0_17block_load_methodE3ELS4_3ELS4_3ELNS0_20block_scan_algorithmE0ELj4294967295EEENS1_25partition_config_selectorILNS1_17partition_subalgoE4EjNS0_10empty_typeEbEEZZNS1_14partition_implILS8_4ELb0ES6_15HIP_vector_typeIjLj2EENS0_17counting_iteratorIjlEEPS9_SG_NS0_5tupleIJPjSI_NS0_16reverse_iteratorISI_EEEEENSH_IJSG_SG_SG_EEES9_SI_JZNS1_25segmented_radix_sort_implINS0_14default_configELb0EPKhPhPKlPlN2at6native12_GLOBAL__N_18offset_tEEE10hipError_tPvRmT1_PNSt15iterator_traitsIS12_E10value_typeET2_T3_PNS13_IS18_E10value_typeET4_jRbjT5_S1E_jjP12ihipStream_tbEUljE_ZNSN_ISO_Lb0ESQ_SR_ST_SU_SY_EESZ_S10_S11_S12_S16_S17_S18_S1B_S1C_jS1D_jS1E_S1E_jjS1G_bEUljE0_EEESZ_S10_S11_S18_S1C_S1E_T6_T7_T9_mT8_S1G_bDpT10_ENKUlT_T0_E_clISt17integral_constantIbLb0EES1T_IbLb1EEEEDaS1P_S1Q_EUlS1P_E_NS1_11comp_targetILNS1_3genE2ELNS1_11target_archE906ELNS1_3gpuE6ELNS1_3repE0EEENS1_30default_config_static_selectorELNS0_4arch9wavefront6targetE0EEEvS12_
                                        ; -- End function
	.set _ZN7rocprim17ROCPRIM_400000_NS6detail17trampoline_kernelINS0_13select_configILj256ELj13ELNS0_17block_load_methodE3ELS4_3ELS4_3ELNS0_20block_scan_algorithmE0ELj4294967295EEENS1_25partition_config_selectorILNS1_17partition_subalgoE4EjNS0_10empty_typeEbEEZZNS1_14partition_implILS8_4ELb0ES6_15HIP_vector_typeIjLj2EENS0_17counting_iteratorIjlEEPS9_SG_NS0_5tupleIJPjSI_NS0_16reverse_iteratorISI_EEEEENSH_IJSG_SG_SG_EEES9_SI_JZNS1_25segmented_radix_sort_implINS0_14default_configELb0EPKhPhPKlPlN2at6native12_GLOBAL__N_18offset_tEEE10hipError_tPvRmT1_PNSt15iterator_traitsIS12_E10value_typeET2_T3_PNS13_IS18_E10value_typeET4_jRbjT5_S1E_jjP12ihipStream_tbEUljE_ZNSN_ISO_Lb0ESQ_SR_ST_SU_SY_EESZ_S10_S11_S12_S16_S17_S18_S1B_S1C_jS1D_jS1E_S1E_jjS1G_bEUljE0_EEESZ_S10_S11_S18_S1C_S1E_T6_T7_T9_mT8_S1G_bDpT10_ENKUlT_T0_E_clISt17integral_constantIbLb0EES1T_IbLb1EEEEDaS1P_S1Q_EUlS1P_E_NS1_11comp_targetILNS1_3genE2ELNS1_11target_archE906ELNS1_3gpuE6ELNS1_3repE0EEENS1_30default_config_static_selectorELNS0_4arch9wavefront6targetE0EEEvS12_.num_vgpr, 0
	.set _ZN7rocprim17ROCPRIM_400000_NS6detail17trampoline_kernelINS0_13select_configILj256ELj13ELNS0_17block_load_methodE3ELS4_3ELS4_3ELNS0_20block_scan_algorithmE0ELj4294967295EEENS1_25partition_config_selectorILNS1_17partition_subalgoE4EjNS0_10empty_typeEbEEZZNS1_14partition_implILS8_4ELb0ES6_15HIP_vector_typeIjLj2EENS0_17counting_iteratorIjlEEPS9_SG_NS0_5tupleIJPjSI_NS0_16reverse_iteratorISI_EEEEENSH_IJSG_SG_SG_EEES9_SI_JZNS1_25segmented_radix_sort_implINS0_14default_configELb0EPKhPhPKlPlN2at6native12_GLOBAL__N_18offset_tEEE10hipError_tPvRmT1_PNSt15iterator_traitsIS12_E10value_typeET2_T3_PNS13_IS18_E10value_typeET4_jRbjT5_S1E_jjP12ihipStream_tbEUljE_ZNSN_ISO_Lb0ESQ_SR_ST_SU_SY_EESZ_S10_S11_S12_S16_S17_S18_S1B_S1C_jS1D_jS1E_S1E_jjS1G_bEUljE0_EEESZ_S10_S11_S18_S1C_S1E_T6_T7_T9_mT8_S1G_bDpT10_ENKUlT_T0_E_clISt17integral_constantIbLb0EES1T_IbLb1EEEEDaS1P_S1Q_EUlS1P_E_NS1_11comp_targetILNS1_3genE2ELNS1_11target_archE906ELNS1_3gpuE6ELNS1_3repE0EEENS1_30default_config_static_selectorELNS0_4arch9wavefront6targetE0EEEvS12_.num_agpr, 0
	.set _ZN7rocprim17ROCPRIM_400000_NS6detail17trampoline_kernelINS0_13select_configILj256ELj13ELNS0_17block_load_methodE3ELS4_3ELS4_3ELNS0_20block_scan_algorithmE0ELj4294967295EEENS1_25partition_config_selectorILNS1_17partition_subalgoE4EjNS0_10empty_typeEbEEZZNS1_14partition_implILS8_4ELb0ES6_15HIP_vector_typeIjLj2EENS0_17counting_iteratorIjlEEPS9_SG_NS0_5tupleIJPjSI_NS0_16reverse_iteratorISI_EEEEENSH_IJSG_SG_SG_EEES9_SI_JZNS1_25segmented_radix_sort_implINS0_14default_configELb0EPKhPhPKlPlN2at6native12_GLOBAL__N_18offset_tEEE10hipError_tPvRmT1_PNSt15iterator_traitsIS12_E10value_typeET2_T3_PNS13_IS18_E10value_typeET4_jRbjT5_S1E_jjP12ihipStream_tbEUljE_ZNSN_ISO_Lb0ESQ_SR_ST_SU_SY_EESZ_S10_S11_S12_S16_S17_S18_S1B_S1C_jS1D_jS1E_S1E_jjS1G_bEUljE0_EEESZ_S10_S11_S18_S1C_S1E_T6_T7_T9_mT8_S1G_bDpT10_ENKUlT_T0_E_clISt17integral_constantIbLb0EES1T_IbLb1EEEEDaS1P_S1Q_EUlS1P_E_NS1_11comp_targetILNS1_3genE2ELNS1_11target_archE906ELNS1_3gpuE6ELNS1_3repE0EEENS1_30default_config_static_selectorELNS0_4arch9wavefront6targetE0EEEvS12_.numbered_sgpr, 0
	.set _ZN7rocprim17ROCPRIM_400000_NS6detail17trampoline_kernelINS0_13select_configILj256ELj13ELNS0_17block_load_methodE3ELS4_3ELS4_3ELNS0_20block_scan_algorithmE0ELj4294967295EEENS1_25partition_config_selectorILNS1_17partition_subalgoE4EjNS0_10empty_typeEbEEZZNS1_14partition_implILS8_4ELb0ES6_15HIP_vector_typeIjLj2EENS0_17counting_iteratorIjlEEPS9_SG_NS0_5tupleIJPjSI_NS0_16reverse_iteratorISI_EEEEENSH_IJSG_SG_SG_EEES9_SI_JZNS1_25segmented_radix_sort_implINS0_14default_configELb0EPKhPhPKlPlN2at6native12_GLOBAL__N_18offset_tEEE10hipError_tPvRmT1_PNSt15iterator_traitsIS12_E10value_typeET2_T3_PNS13_IS18_E10value_typeET4_jRbjT5_S1E_jjP12ihipStream_tbEUljE_ZNSN_ISO_Lb0ESQ_SR_ST_SU_SY_EESZ_S10_S11_S12_S16_S17_S18_S1B_S1C_jS1D_jS1E_S1E_jjS1G_bEUljE0_EEESZ_S10_S11_S18_S1C_S1E_T6_T7_T9_mT8_S1G_bDpT10_ENKUlT_T0_E_clISt17integral_constantIbLb0EES1T_IbLb1EEEEDaS1P_S1Q_EUlS1P_E_NS1_11comp_targetILNS1_3genE2ELNS1_11target_archE906ELNS1_3gpuE6ELNS1_3repE0EEENS1_30default_config_static_selectorELNS0_4arch9wavefront6targetE0EEEvS12_.num_named_barrier, 0
	.set _ZN7rocprim17ROCPRIM_400000_NS6detail17trampoline_kernelINS0_13select_configILj256ELj13ELNS0_17block_load_methodE3ELS4_3ELS4_3ELNS0_20block_scan_algorithmE0ELj4294967295EEENS1_25partition_config_selectorILNS1_17partition_subalgoE4EjNS0_10empty_typeEbEEZZNS1_14partition_implILS8_4ELb0ES6_15HIP_vector_typeIjLj2EENS0_17counting_iteratorIjlEEPS9_SG_NS0_5tupleIJPjSI_NS0_16reverse_iteratorISI_EEEEENSH_IJSG_SG_SG_EEES9_SI_JZNS1_25segmented_radix_sort_implINS0_14default_configELb0EPKhPhPKlPlN2at6native12_GLOBAL__N_18offset_tEEE10hipError_tPvRmT1_PNSt15iterator_traitsIS12_E10value_typeET2_T3_PNS13_IS18_E10value_typeET4_jRbjT5_S1E_jjP12ihipStream_tbEUljE_ZNSN_ISO_Lb0ESQ_SR_ST_SU_SY_EESZ_S10_S11_S12_S16_S17_S18_S1B_S1C_jS1D_jS1E_S1E_jjS1G_bEUljE0_EEESZ_S10_S11_S18_S1C_S1E_T6_T7_T9_mT8_S1G_bDpT10_ENKUlT_T0_E_clISt17integral_constantIbLb0EES1T_IbLb1EEEEDaS1P_S1Q_EUlS1P_E_NS1_11comp_targetILNS1_3genE2ELNS1_11target_archE906ELNS1_3gpuE6ELNS1_3repE0EEENS1_30default_config_static_selectorELNS0_4arch9wavefront6targetE0EEEvS12_.private_seg_size, 0
	.set _ZN7rocprim17ROCPRIM_400000_NS6detail17trampoline_kernelINS0_13select_configILj256ELj13ELNS0_17block_load_methodE3ELS4_3ELS4_3ELNS0_20block_scan_algorithmE0ELj4294967295EEENS1_25partition_config_selectorILNS1_17partition_subalgoE4EjNS0_10empty_typeEbEEZZNS1_14partition_implILS8_4ELb0ES6_15HIP_vector_typeIjLj2EENS0_17counting_iteratorIjlEEPS9_SG_NS0_5tupleIJPjSI_NS0_16reverse_iteratorISI_EEEEENSH_IJSG_SG_SG_EEES9_SI_JZNS1_25segmented_radix_sort_implINS0_14default_configELb0EPKhPhPKlPlN2at6native12_GLOBAL__N_18offset_tEEE10hipError_tPvRmT1_PNSt15iterator_traitsIS12_E10value_typeET2_T3_PNS13_IS18_E10value_typeET4_jRbjT5_S1E_jjP12ihipStream_tbEUljE_ZNSN_ISO_Lb0ESQ_SR_ST_SU_SY_EESZ_S10_S11_S12_S16_S17_S18_S1B_S1C_jS1D_jS1E_S1E_jjS1G_bEUljE0_EEESZ_S10_S11_S18_S1C_S1E_T6_T7_T9_mT8_S1G_bDpT10_ENKUlT_T0_E_clISt17integral_constantIbLb0EES1T_IbLb1EEEEDaS1P_S1Q_EUlS1P_E_NS1_11comp_targetILNS1_3genE2ELNS1_11target_archE906ELNS1_3gpuE6ELNS1_3repE0EEENS1_30default_config_static_selectorELNS0_4arch9wavefront6targetE0EEEvS12_.uses_vcc, 0
	.set _ZN7rocprim17ROCPRIM_400000_NS6detail17trampoline_kernelINS0_13select_configILj256ELj13ELNS0_17block_load_methodE3ELS4_3ELS4_3ELNS0_20block_scan_algorithmE0ELj4294967295EEENS1_25partition_config_selectorILNS1_17partition_subalgoE4EjNS0_10empty_typeEbEEZZNS1_14partition_implILS8_4ELb0ES6_15HIP_vector_typeIjLj2EENS0_17counting_iteratorIjlEEPS9_SG_NS0_5tupleIJPjSI_NS0_16reverse_iteratorISI_EEEEENSH_IJSG_SG_SG_EEES9_SI_JZNS1_25segmented_radix_sort_implINS0_14default_configELb0EPKhPhPKlPlN2at6native12_GLOBAL__N_18offset_tEEE10hipError_tPvRmT1_PNSt15iterator_traitsIS12_E10value_typeET2_T3_PNS13_IS18_E10value_typeET4_jRbjT5_S1E_jjP12ihipStream_tbEUljE_ZNSN_ISO_Lb0ESQ_SR_ST_SU_SY_EESZ_S10_S11_S12_S16_S17_S18_S1B_S1C_jS1D_jS1E_S1E_jjS1G_bEUljE0_EEESZ_S10_S11_S18_S1C_S1E_T6_T7_T9_mT8_S1G_bDpT10_ENKUlT_T0_E_clISt17integral_constantIbLb0EES1T_IbLb1EEEEDaS1P_S1Q_EUlS1P_E_NS1_11comp_targetILNS1_3genE2ELNS1_11target_archE906ELNS1_3gpuE6ELNS1_3repE0EEENS1_30default_config_static_selectorELNS0_4arch9wavefront6targetE0EEEvS12_.uses_flat_scratch, 0
	.set _ZN7rocprim17ROCPRIM_400000_NS6detail17trampoline_kernelINS0_13select_configILj256ELj13ELNS0_17block_load_methodE3ELS4_3ELS4_3ELNS0_20block_scan_algorithmE0ELj4294967295EEENS1_25partition_config_selectorILNS1_17partition_subalgoE4EjNS0_10empty_typeEbEEZZNS1_14partition_implILS8_4ELb0ES6_15HIP_vector_typeIjLj2EENS0_17counting_iteratorIjlEEPS9_SG_NS0_5tupleIJPjSI_NS0_16reverse_iteratorISI_EEEEENSH_IJSG_SG_SG_EEES9_SI_JZNS1_25segmented_radix_sort_implINS0_14default_configELb0EPKhPhPKlPlN2at6native12_GLOBAL__N_18offset_tEEE10hipError_tPvRmT1_PNSt15iterator_traitsIS12_E10value_typeET2_T3_PNS13_IS18_E10value_typeET4_jRbjT5_S1E_jjP12ihipStream_tbEUljE_ZNSN_ISO_Lb0ESQ_SR_ST_SU_SY_EESZ_S10_S11_S12_S16_S17_S18_S1B_S1C_jS1D_jS1E_S1E_jjS1G_bEUljE0_EEESZ_S10_S11_S18_S1C_S1E_T6_T7_T9_mT8_S1G_bDpT10_ENKUlT_T0_E_clISt17integral_constantIbLb0EES1T_IbLb1EEEEDaS1P_S1Q_EUlS1P_E_NS1_11comp_targetILNS1_3genE2ELNS1_11target_archE906ELNS1_3gpuE6ELNS1_3repE0EEENS1_30default_config_static_selectorELNS0_4arch9wavefront6targetE0EEEvS12_.has_dyn_sized_stack, 0
	.set _ZN7rocprim17ROCPRIM_400000_NS6detail17trampoline_kernelINS0_13select_configILj256ELj13ELNS0_17block_load_methodE3ELS4_3ELS4_3ELNS0_20block_scan_algorithmE0ELj4294967295EEENS1_25partition_config_selectorILNS1_17partition_subalgoE4EjNS0_10empty_typeEbEEZZNS1_14partition_implILS8_4ELb0ES6_15HIP_vector_typeIjLj2EENS0_17counting_iteratorIjlEEPS9_SG_NS0_5tupleIJPjSI_NS0_16reverse_iteratorISI_EEEEENSH_IJSG_SG_SG_EEES9_SI_JZNS1_25segmented_radix_sort_implINS0_14default_configELb0EPKhPhPKlPlN2at6native12_GLOBAL__N_18offset_tEEE10hipError_tPvRmT1_PNSt15iterator_traitsIS12_E10value_typeET2_T3_PNS13_IS18_E10value_typeET4_jRbjT5_S1E_jjP12ihipStream_tbEUljE_ZNSN_ISO_Lb0ESQ_SR_ST_SU_SY_EESZ_S10_S11_S12_S16_S17_S18_S1B_S1C_jS1D_jS1E_S1E_jjS1G_bEUljE0_EEESZ_S10_S11_S18_S1C_S1E_T6_T7_T9_mT8_S1G_bDpT10_ENKUlT_T0_E_clISt17integral_constantIbLb0EES1T_IbLb1EEEEDaS1P_S1Q_EUlS1P_E_NS1_11comp_targetILNS1_3genE2ELNS1_11target_archE906ELNS1_3gpuE6ELNS1_3repE0EEENS1_30default_config_static_selectorELNS0_4arch9wavefront6targetE0EEEvS12_.has_recursion, 0
	.set _ZN7rocprim17ROCPRIM_400000_NS6detail17trampoline_kernelINS0_13select_configILj256ELj13ELNS0_17block_load_methodE3ELS4_3ELS4_3ELNS0_20block_scan_algorithmE0ELj4294967295EEENS1_25partition_config_selectorILNS1_17partition_subalgoE4EjNS0_10empty_typeEbEEZZNS1_14partition_implILS8_4ELb0ES6_15HIP_vector_typeIjLj2EENS0_17counting_iteratorIjlEEPS9_SG_NS0_5tupleIJPjSI_NS0_16reverse_iteratorISI_EEEEENSH_IJSG_SG_SG_EEES9_SI_JZNS1_25segmented_radix_sort_implINS0_14default_configELb0EPKhPhPKlPlN2at6native12_GLOBAL__N_18offset_tEEE10hipError_tPvRmT1_PNSt15iterator_traitsIS12_E10value_typeET2_T3_PNS13_IS18_E10value_typeET4_jRbjT5_S1E_jjP12ihipStream_tbEUljE_ZNSN_ISO_Lb0ESQ_SR_ST_SU_SY_EESZ_S10_S11_S12_S16_S17_S18_S1B_S1C_jS1D_jS1E_S1E_jjS1G_bEUljE0_EEESZ_S10_S11_S18_S1C_S1E_T6_T7_T9_mT8_S1G_bDpT10_ENKUlT_T0_E_clISt17integral_constantIbLb0EES1T_IbLb1EEEEDaS1P_S1Q_EUlS1P_E_NS1_11comp_targetILNS1_3genE2ELNS1_11target_archE906ELNS1_3gpuE6ELNS1_3repE0EEENS1_30default_config_static_selectorELNS0_4arch9wavefront6targetE0EEEvS12_.has_indirect_call, 0
	.section	.AMDGPU.csdata,"",@progbits
; Kernel info:
; codeLenInByte = 0
; TotalNumSgprs: 0
; NumVgprs: 0
; ScratchSize: 0
; MemoryBound: 0
; FloatMode: 240
; IeeeMode: 1
; LDSByteSize: 0 bytes/workgroup (compile time only)
; SGPRBlocks: 0
; VGPRBlocks: 0
; NumSGPRsForWavesPerEU: 1
; NumVGPRsForWavesPerEU: 1
; Occupancy: 16
; WaveLimiterHint : 0
; COMPUTE_PGM_RSRC2:SCRATCH_EN: 0
; COMPUTE_PGM_RSRC2:USER_SGPR: 2
; COMPUTE_PGM_RSRC2:TRAP_HANDLER: 0
; COMPUTE_PGM_RSRC2:TGID_X_EN: 1
; COMPUTE_PGM_RSRC2:TGID_Y_EN: 0
; COMPUTE_PGM_RSRC2:TGID_Z_EN: 0
; COMPUTE_PGM_RSRC2:TIDIG_COMP_CNT: 0
	.section	.text._ZN7rocprim17ROCPRIM_400000_NS6detail17trampoline_kernelINS0_13select_configILj256ELj13ELNS0_17block_load_methodE3ELS4_3ELS4_3ELNS0_20block_scan_algorithmE0ELj4294967295EEENS1_25partition_config_selectorILNS1_17partition_subalgoE4EjNS0_10empty_typeEbEEZZNS1_14partition_implILS8_4ELb0ES6_15HIP_vector_typeIjLj2EENS0_17counting_iteratorIjlEEPS9_SG_NS0_5tupleIJPjSI_NS0_16reverse_iteratorISI_EEEEENSH_IJSG_SG_SG_EEES9_SI_JZNS1_25segmented_radix_sort_implINS0_14default_configELb0EPKhPhPKlPlN2at6native12_GLOBAL__N_18offset_tEEE10hipError_tPvRmT1_PNSt15iterator_traitsIS12_E10value_typeET2_T3_PNS13_IS18_E10value_typeET4_jRbjT5_S1E_jjP12ihipStream_tbEUljE_ZNSN_ISO_Lb0ESQ_SR_ST_SU_SY_EESZ_S10_S11_S12_S16_S17_S18_S1B_S1C_jS1D_jS1E_S1E_jjS1G_bEUljE0_EEESZ_S10_S11_S18_S1C_S1E_T6_T7_T9_mT8_S1G_bDpT10_ENKUlT_T0_E_clISt17integral_constantIbLb0EES1T_IbLb1EEEEDaS1P_S1Q_EUlS1P_E_NS1_11comp_targetILNS1_3genE10ELNS1_11target_archE1200ELNS1_3gpuE4ELNS1_3repE0EEENS1_30default_config_static_selectorELNS0_4arch9wavefront6targetE0EEEvS12_,"axG",@progbits,_ZN7rocprim17ROCPRIM_400000_NS6detail17trampoline_kernelINS0_13select_configILj256ELj13ELNS0_17block_load_methodE3ELS4_3ELS4_3ELNS0_20block_scan_algorithmE0ELj4294967295EEENS1_25partition_config_selectorILNS1_17partition_subalgoE4EjNS0_10empty_typeEbEEZZNS1_14partition_implILS8_4ELb0ES6_15HIP_vector_typeIjLj2EENS0_17counting_iteratorIjlEEPS9_SG_NS0_5tupleIJPjSI_NS0_16reverse_iteratorISI_EEEEENSH_IJSG_SG_SG_EEES9_SI_JZNS1_25segmented_radix_sort_implINS0_14default_configELb0EPKhPhPKlPlN2at6native12_GLOBAL__N_18offset_tEEE10hipError_tPvRmT1_PNSt15iterator_traitsIS12_E10value_typeET2_T3_PNS13_IS18_E10value_typeET4_jRbjT5_S1E_jjP12ihipStream_tbEUljE_ZNSN_ISO_Lb0ESQ_SR_ST_SU_SY_EESZ_S10_S11_S12_S16_S17_S18_S1B_S1C_jS1D_jS1E_S1E_jjS1G_bEUljE0_EEESZ_S10_S11_S18_S1C_S1E_T6_T7_T9_mT8_S1G_bDpT10_ENKUlT_T0_E_clISt17integral_constantIbLb0EES1T_IbLb1EEEEDaS1P_S1Q_EUlS1P_E_NS1_11comp_targetILNS1_3genE10ELNS1_11target_archE1200ELNS1_3gpuE4ELNS1_3repE0EEENS1_30default_config_static_selectorELNS0_4arch9wavefront6targetE0EEEvS12_,comdat
	.globl	_ZN7rocprim17ROCPRIM_400000_NS6detail17trampoline_kernelINS0_13select_configILj256ELj13ELNS0_17block_load_methodE3ELS4_3ELS4_3ELNS0_20block_scan_algorithmE0ELj4294967295EEENS1_25partition_config_selectorILNS1_17partition_subalgoE4EjNS0_10empty_typeEbEEZZNS1_14partition_implILS8_4ELb0ES6_15HIP_vector_typeIjLj2EENS0_17counting_iteratorIjlEEPS9_SG_NS0_5tupleIJPjSI_NS0_16reverse_iteratorISI_EEEEENSH_IJSG_SG_SG_EEES9_SI_JZNS1_25segmented_radix_sort_implINS0_14default_configELb0EPKhPhPKlPlN2at6native12_GLOBAL__N_18offset_tEEE10hipError_tPvRmT1_PNSt15iterator_traitsIS12_E10value_typeET2_T3_PNS13_IS18_E10value_typeET4_jRbjT5_S1E_jjP12ihipStream_tbEUljE_ZNSN_ISO_Lb0ESQ_SR_ST_SU_SY_EESZ_S10_S11_S12_S16_S17_S18_S1B_S1C_jS1D_jS1E_S1E_jjS1G_bEUljE0_EEESZ_S10_S11_S18_S1C_S1E_T6_T7_T9_mT8_S1G_bDpT10_ENKUlT_T0_E_clISt17integral_constantIbLb0EES1T_IbLb1EEEEDaS1P_S1Q_EUlS1P_E_NS1_11comp_targetILNS1_3genE10ELNS1_11target_archE1200ELNS1_3gpuE4ELNS1_3repE0EEENS1_30default_config_static_selectorELNS0_4arch9wavefront6targetE0EEEvS12_ ; -- Begin function _ZN7rocprim17ROCPRIM_400000_NS6detail17trampoline_kernelINS0_13select_configILj256ELj13ELNS0_17block_load_methodE3ELS4_3ELS4_3ELNS0_20block_scan_algorithmE0ELj4294967295EEENS1_25partition_config_selectorILNS1_17partition_subalgoE4EjNS0_10empty_typeEbEEZZNS1_14partition_implILS8_4ELb0ES6_15HIP_vector_typeIjLj2EENS0_17counting_iteratorIjlEEPS9_SG_NS0_5tupleIJPjSI_NS0_16reverse_iteratorISI_EEEEENSH_IJSG_SG_SG_EEES9_SI_JZNS1_25segmented_radix_sort_implINS0_14default_configELb0EPKhPhPKlPlN2at6native12_GLOBAL__N_18offset_tEEE10hipError_tPvRmT1_PNSt15iterator_traitsIS12_E10value_typeET2_T3_PNS13_IS18_E10value_typeET4_jRbjT5_S1E_jjP12ihipStream_tbEUljE_ZNSN_ISO_Lb0ESQ_SR_ST_SU_SY_EESZ_S10_S11_S12_S16_S17_S18_S1B_S1C_jS1D_jS1E_S1E_jjS1G_bEUljE0_EEESZ_S10_S11_S18_S1C_S1E_T6_T7_T9_mT8_S1G_bDpT10_ENKUlT_T0_E_clISt17integral_constantIbLb0EES1T_IbLb1EEEEDaS1P_S1Q_EUlS1P_E_NS1_11comp_targetILNS1_3genE10ELNS1_11target_archE1200ELNS1_3gpuE4ELNS1_3repE0EEENS1_30default_config_static_selectorELNS0_4arch9wavefront6targetE0EEEvS12_
	.p2align	8
	.type	_ZN7rocprim17ROCPRIM_400000_NS6detail17trampoline_kernelINS0_13select_configILj256ELj13ELNS0_17block_load_methodE3ELS4_3ELS4_3ELNS0_20block_scan_algorithmE0ELj4294967295EEENS1_25partition_config_selectorILNS1_17partition_subalgoE4EjNS0_10empty_typeEbEEZZNS1_14partition_implILS8_4ELb0ES6_15HIP_vector_typeIjLj2EENS0_17counting_iteratorIjlEEPS9_SG_NS0_5tupleIJPjSI_NS0_16reverse_iteratorISI_EEEEENSH_IJSG_SG_SG_EEES9_SI_JZNS1_25segmented_radix_sort_implINS0_14default_configELb0EPKhPhPKlPlN2at6native12_GLOBAL__N_18offset_tEEE10hipError_tPvRmT1_PNSt15iterator_traitsIS12_E10value_typeET2_T3_PNS13_IS18_E10value_typeET4_jRbjT5_S1E_jjP12ihipStream_tbEUljE_ZNSN_ISO_Lb0ESQ_SR_ST_SU_SY_EESZ_S10_S11_S12_S16_S17_S18_S1B_S1C_jS1D_jS1E_S1E_jjS1G_bEUljE0_EEESZ_S10_S11_S18_S1C_S1E_T6_T7_T9_mT8_S1G_bDpT10_ENKUlT_T0_E_clISt17integral_constantIbLb0EES1T_IbLb1EEEEDaS1P_S1Q_EUlS1P_E_NS1_11comp_targetILNS1_3genE10ELNS1_11target_archE1200ELNS1_3gpuE4ELNS1_3repE0EEENS1_30default_config_static_selectorELNS0_4arch9wavefront6targetE0EEEvS12_,@function
_ZN7rocprim17ROCPRIM_400000_NS6detail17trampoline_kernelINS0_13select_configILj256ELj13ELNS0_17block_load_methodE3ELS4_3ELS4_3ELNS0_20block_scan_algorithmE0ELj4294967295EEENS1_25partition_config_selectorILNS1_17partition_subalgoE4EjNS0_10empty_typeEbEEZZNS1_14partition_implILS8_4ELb0ES6_15HIP_vector_typeIjLj2EENS0_17counting_iteratorIjlEEPS9_SG_NS0_5tupleIJPjSI_NS0_16reverse_iteratorISI_EEEEENSH_IJSG_SG_SG_EEES9_SI_JZNS1_25segmented_radix_sort_implINS0_14default_configELb0EPKhPhPKlPlN2at6native12_GLOBAL__N_18offset_tEEE10hipError_tPvRmT1_PNSt15iterator_traitsIS12_E10value_typeET2_T3_PNS13_IS18_E10value_typeET4_jRbjT5_S1E_jjP12ihipStream_tbEUljE_ZNSN_ISO_Lb0ESQ_SR_ST_SU_SY_EESZ_S10_S11_S12_S16_S17_S18_S1B_S1C_jS1D_jS1E_S1E_jjS1G_bEUljE0_EEESZ_S10_S11_S18_S1C_S1E_T6_T7_T9_mT8_S1G_bDpT10_ENKUlT_T0_E_clISt17integral_constantIbLb0EES1T_IbLb1EEEEDaS1P_S1Q_EUlS1P_E_NS1_11comp_targetILNS1_3genE10ELNS1_11target_archE1200ELNS1_3gpuE4ELNS1_3repE0EEENS1_30default_config_static_selectorELNS0_4arch9wavefront6targetE0EEEvS12_: ; @_ZN7rocprim17ROCPRIM_400000_NS6detail17trampoline_kernelINS0_13select_configILj256ELj13ELNS0_17block_load_methodE3ELS4_3ELS4_3ELNS0_20block_scan_algorithmE0ELj4294967295EEENS1_25partition_config_selectorILNS1_17partition_subalgoE4EjNS0_10empty_typeEbEEZZNS1_14partition_implILS8_4ELb0ES6_15HIP_vector_typeIjLj2EENS0_17counting_iteratorIjlEEPS9_SG_NS0_5tupleIJPjSI_NS0_16reverse_iteratorISI_EEEEENSH_IJSG_SG_SG_EEES9_SI_JZNS1_25segmented_radix_sort_implINS0_14default_configELb0EPKhPhPKlPlN2at6native12_GLOBAL__N_18offset_tEEE10hipError_tPvRmT1_PNSt15iterator_traitsIS12_E10value_typeET2_T3_PNS13_IS18_E10value_typeET4_jRbjT5_S1E_jjP12ihipStream_tbEUljE_ZNSN_ISO_Lb0ESQ_SR_ST_SU_SY_EESZ_S10_S11_S12_S16_S17_S18_S1B_S1C_jS1D_jS1E_S1E_jjS1G_bEUljE0_EEESZ_S10_S11_S18_S1C_S1E_T6_T7_T9_mT8_S1G_bDpT10_ENKUlT_T0_E_clISt17integral_constantIbLb0EES1T_IbLb1EEEEDaS1P_S1Q_EUlS1P_E_NS1_11comp_targetILNS1_3genE10ELNS1_11target_archE1200ELNS1_3gpuE4ELNS1_3repE0EEENS1_30default_config_static_selectorELNS0_4arch9wavefront6targetE0EEEvS12_
; %bb.0:
	s_clause 0x7
	s_load_b64 s[34:35], s[0:1], 0x10
	s_load_b128 s[28:31], s[0:1], 0x28
	s_load_b64 s[14:15], s[0:1], 0x38
	s_load_b128 s[24:27], s[0:1], 0x58
	s_load_b64 s[4:5], s[0:1], 0x68
	s_load_b64 s[36:37], s[0:1], 0x78
	;; [unrolled: 1-line block ×3, first 2 shown]
	s_load_b256 s[16:23], s[0:1], 0x90
	v_cmp_eq_u32_e64 s2, 0, v0
	s_and_saveexec_b32 s3, s2
	s_cbranch_execz .LBB151_4
; %bb.1:
	s_mov_b32 s7, exec_lo
	s_mov_b32 s6, exec_lo
	v_mbcnt_lo_u32_b32 v1, s7, 0
                                        ; implicit-def: $vgpr2
	s_delay_alu instid0(VALU_DEP_1)
	v_cmpx_eq_u32_e32 0, v1
	s_cbranch_execz .LBB151_3
; %bb.2:
	s_load_b64 s[8:9], s[0:1], 0x88
	s_bcnt1_i32_b32 s7, s7
	s_wait_alu 0xfffe
	v_dual_mov_b32 v2, 0 :: v_dual_mov_b32 v3, s7
	s_wait_kmcnt 0x0
	global_atomic_add_u32 v2, v2, v3, s[8:9] th:TH_ATOMIC_RETURN scope:SCOPE_DEV
.LBB151_3:
	s_or_b32 exec_lo, exec_lo, s6
	s_wait_loadcnt 0x0
	v_readfirstlane_b32 s6, v2
	s_wait_alu 0xf1ff
	s_delay_alu instid0(VALU_DEP_1)
	v_dual_mov_b32 v2, 0 :: v_dual_add_nc_u32 v1, s6, v1
	ds_store_b32 v2, v1
.LBB151_4:
	s_or_b32 exec_lo, exec_lo, s3
	v_mov_b32_e32 v1, 0
	s_clause 0x1
	s_load_b32 s3, s[0:1], 0x8
	s_load_b32 s0, s[0:1], 0x80
	s_wait_dscnt 0x0
	s_barrier_signal -1
	s_barrier_wait -1
	global_inv scope:SCOPE_SE
	ds_load_b32 v5, v1
	s_wait_loadcnt_dscnt 0x0
	s_barrier_signal -1
	s_barrier_wait -1
	global_inv scope:SCOPE_SE
	s_wait_kmcnt 0x0
	global_load_b128 v[1:4], v1, s[26:27]
	s_mov_b32 s1, 0
	s_add_co_i32 s3, s3, s34
	s_add_co_i32 s6, s0, -1
	s_mulk_i32 s0, 0xd00
	s_delay_alu instid0(SALU_CYCLE_1)
	s_add_co_i32 s7, s0, s34
	s_add_nc_u64 s[0:1], s[34:35], s[0:1]
	v_readfirstlane_b32 s33, v5
	v_cmp_gt_u64_e64 s0, s[4:5], s[0:1]
	s_wait_alu 0xfffe
	s_sub_co_i32 s27, s4, s7
	v_cmp_ne_u32_e32 vcc_lo, s6, v5
	v_mul_lo_u32 v43, 0xd00, v5
	s_addk_co_i32 s27, 0xd00
	s_cmp_eq_u32 s33, s6
	s_mov_b32 s4, -1
	s_cselect_b32 s26, -1, 0
	s_or_b32 s1, s0, vcc_lo
	s_wait_alu 0xfffe
	s_and_b32 vcc_lo, exec_lo, s1
	s_cbranch_vccz .LBB151_6
; %bb.5:
	v_add3_u32 v5, v43, s3, v0
	v_lshlrev_b32_e32 v14, 2, v0
	s_mov_b32 s4, 0
	s_delay_alu instid0(VALU_DEP_2)
	v_add_nc_u32_e32 v6, 0x100, v5
	v_add_nc_u32_e32 v7, 0x200, v5
	;; [unrolled: 1-line block ×12, first 2 shown]
	ds_store_2addr_stride64_b32 v14, v5, v6 offset1:4
	ds_store_2addr_stride64_b32 v14, v7, v8 offset0:8 offset1:12
	ds_store_2addr_stride64_b32 v14, v9, v10 offset0:16 offset1:20
	;; [unrolled: 1-line block ×5, first 2 shown]
	ds_store_b32 v14, v18 offset:12288
	s_wait_loadcnt_dscnt 0x0
	s_barrier_signal -1
	s_barrier_wait -1
.LBB151_6:
	v_cmp_gt_u32_e64 s0, s27, v0
	v_or_b32_e32 v42, 0x100, v0
	v_or_b32_e32 v41, 0x200, v0
	;; [unrolled: 1-line block ×12, first 2 shown]
	s_wait_alu 0xfffe
	s_and_not1_b32 vcc_lo, exec_lo, s4
	s_cbranch_vccnz .LBB151_8
; %bb.7:
	v_add_nc_u32_e32 v5, s3, v43
	v_cmp_gt_u32_e32 vcc_lo, s27, v42
	s_delay_alu instid0(VALU_DEP_2) | instskip(NEXT) | instid1(VALU_DEP_1)
	v_add_nc_u32_e32 v7, v5, v42
	v_dual_cndmask_b32 v7, 0, v7 :: v_dual_add_nc_u32 v8, v5, v41
	v_cmp_gt_u32_e32 vcc_lo, s27, v41
	s_wait_alu 0xfffd
	s_delay_alu instid0(VALU_DEP_2)
	v_cndmask_b32_e32 v8, 0, v8, vcc_lo
	v_cmp_gt_u32_e32 vcc_lo, s27, v40
	v_add_nc_u32_e32 v17, v5, v32
	v_add_nc_u32_e32 v14, v5, v35
	;; [unrolled: 1-line block ×9, first 2 shown]
	s_wait_alu 0xfffd
	v_cndmask_b32_e32 v9, 0, v9, vcc_lo
	v_cmp_gt_u32_e32 vcc_lo, s27, v39
	v_cndmask_b32_e64 v6, 0, v6, s0
	s_wait_alu 0xfffd
	v_cndmask_b32_e32 v10, 0, v10, vcc_lo
	v_cmp_gt_u32_e32 vcc_lo, s27, v38
	v_add_nc_u32_e32 v12, v5, v37
	v_add_nc_u32_e32 v5, v5, v31
	s_wait_alu 0xfffd
	v_cndmask_b32_e32 v11, 0, v11, vcc_lo
	v_cmp_gt_u32_e32 vcc_lo, s27, v37
	s_wait_alu 0xfffd
	v_cndmask_b32_e32 v12, 0, v12, vcc_lo
	v_cmp_gt_u32_e32 vcc_lo, s27, v36
	;; [unrolled: 3-line block ×7, first 2 shown]
	s_wait_alu 0xfffd
	v_dual_cndmask_b32 v5, 0, v5 :: v_dual_lshlrev_b32 v18, 2, v0
	ds_store_2addr_stride64_b32 v18, v6, v7 offset1:4
	ds_store_2addr_stride64_b32 v18, v8, v9 offset0:8 offset1:12
	ds_store_2addr_stride64_b32 v18, v10, v11 offset0:16 offset1:20
	;; [unrolled: 1-line block ×5, first 2 shown]
	ds_store_b32 v18, v5 offset:12288
	s_wait_loadcnt_dscnt 0x0
	s_barrier_signal -1
	s_barrier_wait -1
.LBB151_8:
	v_mul_u32_u24_e32 v46, 13, v0
	s_wait_loadcnt 0x0
	global_inv scope:SCOPE_SE
	v_cndmask_b32_e64 v44, 0, 1, s1
	s_and_not1_b32 vcc_lo, exec_lo, s1
	v_lshlrev_b32_e32 v5, 2, v46
	ds_load_2addr_b32 v[23:24], v5 offset1:1
	ds_load_2addr_b32 v[21:22], v5 offset0:2 offset1:3
	ds_load_2addr_b32 v[19:20], v5 offset0:4 offset1:5
	;; [unrolled: 1-line block ×5, first 2 shown]
	ds_load_b32 v45, v5 offset:48
	s_wait_loadcnt_dscnt 0x0
	s_barrier_signal -1
	s_barrier_wait -1
	global_inv scope:SCOPE_SE
	s_wait_alu 0xfffe
	s_cbranch_vccnz .LBB151_36
; %bb.9:
	v_add_nc_u32_e32 v5, s17, v23
	v_add_nc_u32_e32 v6, s19, v23
	s_mov_b32 s41, 0
	s_mov_b32 s40, 0
	s_mov_b32 s1, exec_lo
	v_mul_lo_u32 v5, v5, s16
	v_mul_lo_u32 v6, v6, s18
	s_delay_alu instid0(VALU_DEP_1) | instskip(NEXT) | instid1(VALU_DEP_1)
	v_sub_nc_u32_e32 v5, v5, v6
	v_cmp_lt_u32_e32 vcc_lo, s20, v5
	v_cmpx_ge_u32_e64 s20, v5
	s_cbranch_execz .LBB151_11
; %bb.10:
	v_add_nc_u32_e32 v5, s22, v23
	v_add_nc_u32_e32 v6, s38, v23
	s_delay_alu instid0(VALU_DEP_2) | instskip(NEXT) | instid1(VALU_DEP_2)
	v_mul_lo_u32 v5, v5, s21
	v_mul_lo_u32 v6, v6, s23
	s_delay_alu instid0(VALU_DEP_1) | instskip(NEXT) | instid1(VALU_DEP_1)
	v_sub_nc_u32_e32 v5, v5, v6
	v_cmp_lt_u32_e64 s0, s39, v5
	s_and_b32 s40, s0, exec_lo
.LBB151_11:
	s_wait_alu 0xfffe
	s_or_b32 exec_lo, exec_lo, s1
	v_add_nc_u32_e32 v5, s17, v24
	v_add_nc_u32_e32 v6, s19, v24
	s_mov_b32 s3, exec_lo
	s_delay_alu instid0(VALU_DEP_2) | instskip(NEXT) | instid1(VALU_DEP_2)
	v_mul_lo_u32 v5, v5, s16
	v_mul_lo_u32 v6, v6, s18
	s_delay_alu instid0(VALU_DEP_1) | instskip(NEXT) | instid1(VALU_DEP_1)
	v_sub_nc_u32_e32 v5, v5, v6
	v_cmp_lt_u32_e64 s0, s20, v5
	v_cmpx_ge_u32_e64 s20, v5
	s_cbranch_execz .LBB151_13
; %bb.12:
	v_add_nc_u32_e32 v5, s22, v24
	v_add_nc_u32_e32 v6, s38, v24
	s_delay_alu instid0(VALU_DEP_2) | instskip(NEXT) | instid1(VALU_DEP_2)
	v_mul_lo_u32 v5, v5, s21
	v_mul_lo_u32 v6, v6, s23
	s_delay_alu instid0(VALU_DEP_1) | instskip(NEXT) | instid1(VALU_DEP_1)
	v_sub_nc_u32_e32 v5, v5, v6
	v_cmp_lt_u32_e64 s1, s39, v5
	s_and_b32 s41, s1, exec_lo
.LBB151_13:
	s_wait_alu 0xfffe
	s_or_b32 exec_lo, exec_lo, s3
	v_add_nc_u32_e32 v5, s17, v21
	v_add_nc_u32_e32 v6, s19, v21
	s_mov_b32 s43, 0
	s_mov_b32 s42, 0
	s_mov_b32 s4, exec_lo
	v_mul_lo_u32 v5, v5, s16
	v_mul_lo_u32 v6, v6, s18
	s_delay_alu instid0(VALU_DEP_1) | instskip(NEXT) | instid1(VALU_DEP_1)
	v_sub_nc_u32_e32 v5, v5, v6
	v_cmp_lt_u32_e64 s1, s20, v5
	v_cmpx_ge_u32_e64 s20, v5
	s_cbranch_execz .LBB151_15
; %bb.14:
	v_add_nc_u32_e32 v5, s22, v21
	v_add_nc_u32_e32 v6, s38, v21
	s_delay_alu instid0(VALU_DEP_2) | instskip(NEXT) | instid1(VALU_DEP_2)
	v_mul_lo_u32 v5, v5, s21
	v_mul_lo_u32 v6, v6, s23
	s_delay_alu instid0(VALU_DEP_1) | instskip(NEXT) | instid1(VALU_DEP_1)
	v_sub_nc_u32_e32 v5, v5, v6
	v_cmp_lt_u32_e64 s3, s39, v5
	s_and_b32 s42, s3, exec_lo
.LBB151_15:
	s_wait_alu 0xfffe
	s_or_b32 exec_lo, exec_lo, s4
	v_add_nc_u32_e32 v5, s17, v22
	v_add_nc_u32_e32 v6, s19, v22
	s_mov_b32 s5, exec_lo
	s_delay_alu instid0(VALU_DEP_2) | instskip(NEXT) | instid1(VALU_DEP_2)
	v_mul_lo_u32 v5, v5, s16
	v_mul_lo_u32 v6, v6, s18
	s_delay_alu instid0(VALU_DEP_1) | instskip(NEXT) | instid1(VALU_DEP_1)
	v_sub_nc_u32_e32 v5, v5, v6
	v_cmp_lt_u32_e64 s3, s20, v5
	v_cmpx_ge_u32_e64 s20, v5
	s_cbranch_execz .LBB151_17
; %bb.16:
	v_add_nc_u32_e32 v5, s22, v22
	v_add_nc_u32_e32 v6, s38, v22
	s_delay_alu instid0(VALU_DEP_2) | instskip(NEXT) | instid1(VALU_DEP_2)
	v_mul_lo_u32 v5, v5, s21
	v_mul_lo_u32 v6, v6, s23
	s_delay_alu instid0(VALU_DEP_1) | instskip(NEXT) | instid1(VALU_DEP_1)
	v_sub_nc_u32_e32 v5, v5, v6
	v_cmp_lt_u32_e64 s4, s39, v5
	s_and_b32 s43, s4, exec_lo
.LBB151_17:
	s_wait_alu 0xfffe
	s_or_b32 exec_lo, exec_lo, s5
	v_add_nc_u32_e32 v5, s17, v19
	v_add_nc_u32_e32 v6, s19, v19
	s_mov_b32 s45, 0
	s_mov_b32 s44, 0
	s_mov_b32 s6, exec_lo
	v_mul_lo_u32 v5, v5, s16
	v_mul_lo_u32 v6, v6, s18
	s_delay_alu instid0(VALU_DEP_1) | instskip(NEXT) | instid1(VALU_DEP_1)
	v_sub_nc_u32_e32 v5, v5, v6
	v_cmp_lt_u32_e64 s4, s20, v5
	v_cmpx_ge_u32_e64 s20, v5
	s_cbranch_execz .LBB151_19
; %bb.18:
	v_add_nc_u32_e32 v5, s22, v19
	v_add_nc_u32_e32 v6, s38, v19
	s_delay_alu instid0(VALU_DEP_2) | instskip(NEXT) | instid1(VALU_DEP_2)
	v_mul_lo_u32 v5, v5, s21
	v_mul_lo_u32 v6, v6, s23
	s_delay_alu instid0(VALU_DEP_1) | instskip(NEXT) | instid1(VALU_DEP_1)
	v_sub_nc_u32_e32 v5, v5, v6
	v_cmp_lt_u32_e64 s5, s39, v5
	s_and_b32 s44, s5, exec_lo
.LBB151_19:
	s_wait_alu 0xfffe
	s_or_b32 exec_lo, exec_lo, s6
	v_add_nc_u32_e32 v5, s17, v20
	v_add_nc_u32_e32 v6, s19, v20
	s_mov_b32 s7, exec_lo
	s_delay_alu instid0(VALU_DEP_2) | instskip(NEXT) | instid1(VALU_DEP_2)
	v_mul_lo_u32 v5, v5, s16
	v_mul_lo_u32 v6, v6, s18
	s_delay_alu instid0(VALU_DEP_1) | instskip(NEXT) | instid1(VALU_DEP_1)
	v_sub_nc_u32_e32 v5, v5, v6
	v_cmp_lt_u32_e64 s5, s20, v5
	v_cmpx_ge_u32_e64 s20, v5
	s_cbranch_execz .LBB151_21
; %bb.20:
	v_add_nc_u32_e32 v5, s22, v20
	v_add_nc_u32_e32 v6, s38, v20
	s_delay_alu instid0(VALU_DEP_2) | instskip(NEXT) | instid1(VALU_DEP_2)
	v_mul_lo_u32 v5, v5, s21
	v_mul_lo_u32 v6, v6, s23
	s_delay_alu instid0(VALU_DEP_1) | instskip(NEXT) | instid1(VALU_DEP_1)
	v_sub_nc_u32_e32 v5, v5, v6
	v_cmp_lt_u32_e64 s6, s39, v5
	s_and_b32 s45, s6, exec_lo
.LBB151_21:
	s_wait_alu 0xfffe
	s_or_b32 exec_lo, exec_lo, s7
	v_add_nc_u32_e32 v5, s17, v17
	v_add_nc_u32_e32 v6, s19, v17
	s_mov_b32 s47, 0
	s_mov_b32 s46, 0
	s_mov_b32 s8, exec_lo
	v_mul_lo_u32 v5, v5, s16
	v_mul_lo_u32 v6, v6, s18
	s_delay_alu instid0(VALU_DEP_1) | instskip(NEXT) | instid1(VALU_DEP_1)
	v_sub_nc_u32_e32 v5, v5, v6
	v_cmp_lt_u32_e64 s6, s20, v5
	v_cmpx_ge_u32_e64 s20, v5
	s_cbranch_execz .LBB151_23
; %bb.22:
	v_add_nc_u32_e32 v5, s22, v17
	v_add_nc_u32_e32 v6, s38, v17
	s_delay_alu instid0(VALU_DEP_2) | instskip(NEXT) | instid1(VALU_DEP_2)
	v_mul_lo_u32 v5, v5, s21
	v_mul_lo_u32 v6, v6, s23
	s_delay_alu instid0(VALU_DEP_1) | instskip(NEXT) | instid1(VALU_DEP_1)
	v_sub_nc_u32_e32 v5, v5, v6
	v_cmp_lt_u32_e64 s7, s39, v5
	s_and_b32 s46, s7, exec_lo
.LBB151_23:
	s_or_b32 exec_lo, exec_lo, s8
	v_add_nc_u32_e32 v5, s17, v18
	v_add_nc_u32_e32 v6, s19, v18
	s_mov_b32 s9, exec_lo
	s_delay_alu instid0(VALU_DEP_2) | instskip(NEXT) | instid1(VALU_DEP_2)
	v_mul_lo_u32 v5, v5, s16
	v_mul_lo_u32 v6, v6, s18
	s_delay_alu instid0(VALU_DEP_1) | instskip(NEXT) | instid1(VALU_DEP_1)
	v_sub_nc_u32_e32 v5, v5, v6
	v_cmp_lt_u32_e64 s7, s20, v5
	v_cmpx_ge_u32_e64 s20, v5
	s_cbranch_execz .LBB151_25
; %bb.24:
	v_add_nc_u32_e32 v5, s22, v18
	v_add_nc_u32_e32 v6, s38, v18
	s_delay_alu instid0(VALU_DEP_2) | instskip(NEXT) | instid1(VALU_DEP_2)
	v_mul_lo_u32 v5, v5, s21
	v_mul_lo_u32 v6, v6, s23
	s_delay_alu instid0(VALU_DEP_1) | instskip(NEXT) | instid1(VALU_DEP_1)
	v_sub_nc_u32_e32 v5, v5, v6
	v_cmp_lt_u32_e64 s8, s39, v5
	s_and_b32 s47, s8, exec_lo
.LBB151_25:
	s_or_b32 exec_lo, exec_lo, s9
	v_add_nc_u32_e32 v5, s17, v15
	v_add_nc_u32_e32 v6, s19, v15
	s_mov_b32 s50, 0
	s_mov_b32 s49, 0
	s_mov_b32 s10, exec_lo
	v_mul_lo_u32 v5, v5, s16
	v_mul_lo_u32 v6, v6, s18
	s_delay_alu instid0(VALU_DEP_1) | instskip(NEXT) | instid1(VALU_DEP_1)
	v_sub_nc_u32_e32 v5, v5, v6
	v_cmp_lt_u32_e64 s8, s20, v5
	v_cmpx_ge_u32_e64 s20, v5
	s_cbranch_execz .LBB151_27
; %bb.26:
	v_add_nc_u32_e32 v5, s22, v15
	v_add_nc_u32_e32 v6, s38, v15
	s_delay_alu instid0(VALU_DEP_2) | instskip(NEXT) | instid1(VALU_DEP_2)
	v_mul_lo_u32 v5, v5, s21
	v_mul_lo_u32 v6, v6, s23
	s_delay_alu instid0(VALU_DEP_1) | instskip(NEXT) | instid1(VALU_DEP_1)
	v_sub_nc_u32_e32 v5, v5, v6
	v_cmp_lt_u32_e64 s9, s39, v5
	s_and_b32 s49, s9, exec_lo
.LBB151_27:
	s_or_b32 exec_lo, exec_lo, s10
	v_add_nc_u32_e32 v5, s17, v16
	v_add_nc_u32_e32 v6, s19, v16
	s_mov_b32 s11, exec_lo
	s_delay_alu instid0(VALU_DEP_2) | instskip(NEXT) | instid1(VALU_DEP_2)
	v_mul_lo_u32 v5, v5, s16
	v_mul_lo_u32 v6, v6, s18
	s_delay_alu instid0(VALU_DEP_1) | instskip(NEXT) | instid1(VALU_DEP_1)
	v_sub_nc_u32_e32 v5, v5, v6
	v_cmp_lt_u32_e64 s9, s20, v5
	v_cmpx_ge_u32_e64 s20, v5
	s_cbranch_execz .LBB151_29
; %bb.28:
	v_add_nc_u32_e32 v5, s22, v16
	v_add_nc_u32_e32 v6, s38, v16
	s_delay_alu instid0(VALU_DEP_2) | instskip(NEXT) | instid1(VALU_DEP_2)
	v_mul_lo_u32 v5, v5, s21
	v_mul_lo_u32 v6, v6, s23
	s_delay_alu instid0(VALU_DEP_1) | instskip(NEXT) | instid1(VALU_DEP_1)
	v_sub_nc_u32_e32 v5, v5, v6
	v_cmp_lt_u32_e64 s10, s39, v5
	s_and_b32 s50, s10, exec_lo
.LBB151_29:
	s_or_b32 exec_lo, exec_lo, s11
	v_add_nc_u32_e32 v5, s17, v13
	v_add_nc_u32_e32 v6, s19, v13
	s_mov_b32 s51, 0
	s_mov_b32 s52, 0
	s_mov_b32 s12, exec_lo
	v_mul_lo_u32 v5, v5, s16
	v_mul_lo_u32 v6, v6, s18
	s_delay_alu instid0(VALU_DEP_1) | instskip(NEXT) | instid1(VALU_DEP_1)
	v_sub_nc_u32_e32 v5, v5, v6
	v_cmp_lt_u32_e64 s10, s20, v5
	;; [unrolled: 47-line block ×3, first 2 shown]
	v_cmpx_ge_u32_e64 s20, v5
	s_cbranch_execz .LBB151_35
; %bb.34:
	v_add_nc_u32_e32 v5, s22, v45
	v_add_nc_u32_e32 v6, s38, v45
	s_delay_alu instid0(VALU_DEP_2) | instskip(NEXT) | instid1(VALU_DEP_2)
	v_mul_lo_u32 v5, v5, s21
	v_mul_lo_u32 v6, v6, s23
	s_delay_alu instid0(VALU_DEP_1) | instskip(NEXT) | instid1(VALU_DEP_1)
	v_sub_nc_u32_e32 v5, v5, v6
	v_cmp_lt_u32_e64 s13, s39, v5
	s_and_b32 s53, s13, exec_lo
.LBB151_35:
	s_or_b32 exec_lo, exec_lo, s54
	v_cndmask_b32_e64 v6, 0, 1, s0
	v_cndmask_b32_e64 v8, 0, 1, s3
	s_wait_alu 0xfffd
	v_cndmask_b32_e64 v5, 0, 1, vcc_lo
	v_cndmask_b32_e64 v7, 0, 1, s1
	v_cndmask_b32_e64 v10, 0, 1, s5
	v_lshlrev_b16 v6, 8, v6
	v_lshlrev_b16 v8, 8, v8
	s_wait_alu 0xf1ff
	v_cndmask_b32_e64 v12, 0, 1, s7
	v_cndmask_b32_e64 v26, 0, 1, s9
	;; [unrolled: 1-line block ×3, first 2 shown]
	v_or_b32_e32 v5, v5, v6
	v_or_b32_e32 v6, v7, v8
	v_cndmask_b32_e64 v56, 0, 1, s40
	v_cndmask_b32_e64 v9, 0, 1, s4
	;; [unrolled: 1-line block ×3, first 2 shown]
	v_and_b32_e32 v5, 0xffff, v5
	v_lshlrev_b32_e32 v6, 16, v6
	v_cndmask_b32_e64 v25, 0, 1, s8
	v_cndmask_b32_e64 v27, 0, 1, s10
	;; [unrolled: 1-line block ×8, first 2 shown]
	v_or_b32_e32 v47, v5, v6
	v_lshlrev_b16 v5, 8, v10
	v_lshlrev_b16 v6, 8, v12
	;; [unrolled: 1-line block ×5, first 2 shown]
	v_cndmask_b32_e64 v30, 0, 1, s50
	v_cndmask_b32_e64 v49, 0, 1, s47
	;; [unrolled: 1-line block ×5, first 2 shown]
	v_or_b32_e32 v5, v9, v5
	v_or_b32_e32 v6, v11, v6
	;; [unrolled: 1-line block ×5, first 2 shown]
	v_lshlrev_b16 v8, 8, v8
	v_lshlrev_b16 v12, 8, v54
	;; [unrolled: 1-line block ×5, first 2 shown]
	v_or_b32_e32 v8, v55, v8
	v_or_b32_e32 v7, v7, v12
	;; [unrolled: 1-line block ×5, first 2 shown]
	v_and_b32_e32 v5, 0xffff, v5
	v_lshlrev_b32_e32 v6, 16, v6
	v_and_b32_e32 v9, 0xffff, v9
	v_lshlrev_b32_e32 v10, 16, v10
	;; [unrolled: 2-line block ×5, first 2 shown]
	v_cndmask_b32_e64 v50, 0, 1, s51
	v_cndmask_b32_e64 v53, 0, 1, s53
	v_or_b32_e32 v49, v5, v6
	v_or_b32_e32 v52, v9, v10
	;; [unrolled: 1-line block ×5, first 2 shown]
	s_and_b32 vcc_lo, exec_lo, s48
	s_wait_alu 0xfffe
	s_cbranch_vccnz .LBB151_37
	s_branch .LBB151_114
.LBB151_36:
                                        ; implicit-def: $vgpr53
                                        ; implicit-def: $vgpr50
                                        ; implicit-def: $vgpr51
                                        ; implicit-def: $vgpr48
                                        ; implicit-def: $vgpr54
                                        ; implicit-def: $vgpr52
                                        ; implicit-def: $vgpr49
                                        ; implicit-def: $vgpr47
	s_cbranch_execz .LBB151_114
.LBB151_37:
	v_dual_mov_b32 v6, 0 :: v_dual_mov_b32 v5, 0
	s_mov_b32 s1, exec_lo
	v_cmpx_gt_u32_e64 s27, v46
	s_cbranch_execz .LBB151_41
; %bb.38:
	v_add_nc_u32_e32 v5, s17, v23
	v_add_nc_u32_e32 v6, s19, v23
	s_mov_b32 s4, 0
	s_mov_b32 s3, exec_lo
	s_delay_alu instid0(VALU_DEP_2) | instskip(NEXT) | instid1(VALU_DEP_2)
	v_mul_lo_u32 v5, v5, s16
	v_mul_lo_u32 v6, v6, s18
	s_delay_alu instid0(VALU_DEP_1) | instskip(NEXT) | instid1(VALU_DEP_1)
	v_sub_nc_u32_e32 v5, v5, v6
	v_cmp_lt_u32_e32 vcc_lo, s20, v5
	v_cmpx_ge_u32_e64 s20, v5
	s_cbranch_execz .LBB151_40
; %bb.39:
	v_add_nc_u32_e32 v5, s22, v23
	v_add_nc_u32_e32 v6, s38, v23
	s_delay_alu instid0(VALU_DEP_2) | instskip(NEXT) | instid1(VALU_DEP_2)
	v_mul_lo_u32 v5, v5, s21
	v_mul_lo_u32 v6, v6, s23
	s_delay_alu instid0(VALU_DEP_1) | instskip(NEXT) | instid1(VALU_DEP_1)
	v_sub_nc_u32_e32 v5, v5, v6
	v_cmp_lt_u32_e64 s0, s39, v5
	s_and_b32 s4, s0, exec_lo
.LBB151_40:
	s_wait_alu 0xfffe
	s_or_b32 exec_lo, exec_lo, s3
	v_cndmask_b32_e64 v6, 0, 1, s4
	s_wait_alu 0xfffd
	v_cndmask_b32_e64 v5, 0, 1, vcc_lo
.LBB151_41:
	s_wait_alu 0xfffe
	s_or_b32 exec_lo, exec_lo, s1
	v_lshlrev_b16 v6, 8, v6
	v_add_nc_u32_e32 v7, 1, v46
	v_and_b32_e32 v10, 0xff, v5
	v_lshlrev_b16 v5, 8, 0
                                        ; implicit-def: $vgpr9
                                        ; implicit-def: $vgpr12
                                        ; implicit-def: $vgpr8
	s_delay_alu instid0(VALU_DEP_4) | instskip(NEXT) | instid1(VALU_DEP_4)
	v_and_b32_e32 v6, 0xffff, v6
	v_cmp_le_u32_e32 vcc_lo, s27, v7
                                        ; implicit-def: $vgpr7
	s_delay_alu instid0(VALU_DEP_2)
	v_lshrrev_b32_e32 v25, 8, v6
	v_and_b32_e32 v11, 0xff, v6
                                        ; implicit-def: $vgpr6
	s_and_saveexec_b32 s0, vcc_lo
	s_wait_alu 0xfffe
	s_xor_b32 s0, exec_lo, s0
	s_cbranch_execz .LBB151_43
; %bb.42:
	v_lshlrev_b16 v6, 8, v25
	v_and_b32_e32 v8, 0xffff, v5
                                        ; implicit-def: $vgpr25
	v_mov_b32_e32 v9, 0
	s_delay_alu instid0(VALU_DEP_3) | instskip(SKIP_1) | instid1(VALU_DEP_2)
	v_or_b32_e32 v7, v11, v6
	v_mov_b32_e32 v6, 0
                                        ; implicit-def: $vgpr11
	v_and_b32_e32 v12, 0xffff, v7
	v_and_b32_e32 v7, 0xffff, v5
                                        ; implicit-def: $vgpr5
.LBB151_43:
	s_wait_alu 0xfffe
	s_and_not1_saveexec_b32 s1, s0
	s_cbranch_execz .LBB151_47
; %bb.44:
	v_add_nc_u32_e32 v6, s17, v24
	v_add_nc_u32_e32 v7, s19, v24
	s_mov_b32 s3, 0
	s_mov_b32 s4, exec_lo
	s_delay_alu instid0(VALU_DEP_2) | instskip(NEXT) | instid1(VALU_DEP_2)
	v_mul_lo_u32 v6, v6, s16
	v_mul_lo_u32 v7, v7, s18
	s_delay_alu instid0(VALU_DEP_1) | instskip(NEXT) | instid1(VALU_DEP_1)
	v_sub_nc_u32_e32 v6, v6, v7
	v_cmp_lt_u32_e32 vcc_lo, s20, v6
	v_cmpx_ge_u32_e64 s20, v6
	s_cbranch_execz .LBB151_46
; %bb.45:
	v_add_nc_u32_e32 v6, s22, v24
	v_add_nc_u32_e32 v7, s38, v24
	s_delay_alu instid0(VALU_DEP_2) | instskip(NEXT) | instid1(VALU_DEP_2)
	v_mul_lo_u32 v6, v6, s21
	v_mul_lo_u32 v7, v7, s23
	s_delay_alu instid0(VALU_DEP_1) | instskip(NEXT) | instid1(VALU_DEP_1)
	v_sub_nc_u32_e32 v6, v6, v7
	v_cmp_lt_u32_e64 s0, s39, v6
	s_and_b32 s3, s0, exec_lo
.LBB151_46:
	s_wait_alu 0xfffe
	s_or_b32 exec_lo, exec_lo, s4
	s_wait_alu 0xfffd
	v_cndmask_b32_e64 v6, 0, 1, vcc_lo
	v_lshlrev_b16 v7, 8, v25
	v_dual_mov_b32 v9, 0 :: v_dual_and_b32 v8, 0xffff, v5
	s_delay_alu instid0(VALU_DEP_3) | instskip(NEXT) | instid1(VALU_DEP_3)
	v_lshlrev_b16 v6, 8, v6
	v_or_b32_e32 v7, v11, v7
	v_cndmask_b32_e64 v11, 0, 1, s3
	s_delay_alu instid0(VALU_DEP_3) | instskip(NEXT) | instid1(VALU_DEP_3)
	v_or_b32_e32 v10, v10, v6
	v_dual_mov_b32 v6, 0 :: v_dual_and_b32 v7, 0xffff, v7
	s_delay_alu instid0(VALU_DEP_2) | instskip(NEXT) | instid1(VALU_DEP_2)
	v_and_b32_e32 v10, 0xffff, v10
	v_lshl_or_b32 v12, v11, 16, v7
	v_and_b32_e32 v7, 0xffff, v5
.LBB151_47:
	s_wait_alu 0xfffe
	s_or_b32 exec_lo, exec_lo, s1
	v_add_nc_u32_e32 v5, 2, v46
	v_and_b32_e32 v25, 0xff, v10
	v_lshrrev_b32_e32 v26, 8, v10
                                        ; implicit-def: $vgpr11
	s_delay_alu instid0(VALU_DEP_3)
	v_cmp_le_u32_e32 vcc_lo, s27, v5
                                        ; implicit-def: $vgpr5
	s_and_saveexec_b32 s0, vcc_lo
	s_wait_alu 0xfffe
	s_xor_b32 s0, exec_lo, s0
	s_cbranch_execz .LBB151_49
; %bb.48:
	v_lshlrev_b16 v5, 8, v26
	v_perm_b32 v8, v8, v8, 0x3060504
                                        ; implicit-def: $vgpr26
	s_delay_alu instid0(VALU_DEP_2) | instskip(SKIP_1) | instid1(VALU_DEP_2)
	v_or_b32_e32 v5, v25, v5
	v_and_b32_e32 v25, 0xff0000, v12
	v_and_b32_e32 v5, 0xffff, v5
	s_delay_alu instid0(VALU_DEP_1) | instskip(NEXT) | instid1(VALU_DEP_3)
	v_and_or_b32 v11, 0xff000000, v10, v5
	v_perm_b32 v5, v12, v25, 0x3020504
                                        ; implicit-def: $vgpr25
                                        ; implicit-def: $vgpr10
                                        ; implicit-def: $vgpr12
.LBB151_49:
	s_wait_alu 0xfffe
	s_and_not1_saveexec_b32 s1, s0
	s_cbranch_execz .LBB151_53
; %bb.50:
	v_add_nc_u32_e32 v5, s17, v21
	v_add_nc_u32_e32 v11, s19, v21
	s_mov_b32 s3, 0
	s_mov_b32 s4, exec_lo
	s_delay_alu instid0(VALU_DEP_2) | instskip(NEXT) | instid1(VALU_DEP_2)
	v_mul_lo_u32 v5, v5, s16
	v_mul_lo_u32 v11, v11, s18
	s_delay_alu instid0(VALU_DEP_1) | instskip(NEXT) | instid1(VALU_DEP_1)
	v_sub_nc_u32_e32 v5, v5, v11
	v_cmp_lt_u32_e32 vcc_lo, s20, v5
	v_cmpx_ge_u32_e64 s20, v5
	s_cbranch_execz .LBB151_52
; %bb.51:
	v_add_nc_u32_e32 v5, s22, v21
	v_add_nc_u32_e32 v11, s38, v21
	s_delay_alu instid0(VALU_DEP_2) | instskip(NEXT) | instid1(VALU_DEP_2)
	v_mul_lo_u32 v5, v5, s21
	v_mul_lo_u32 v11, v11, s23
	s_delay_alu instid0(VALU_DEP_1) | instskip(NEXT) | instid1(VALU_DEP_1)
	v_sub_nc_u32_e32 v5, v5, v11
	v_cmp_lt_u32_e64 s0, s39, v5
	s_and_b32 s3, s0, exec_lo
.LBB151_52:
	s_wait_alu 0xfffe
	s_or_b32 exec_lo, exec_lo, s4
	v_lshrrev_b32_e32 v10, 24, v10
	v_cndmask_b32_e64 v11, 0, 1, s3
	v_lshrrev_b32_e32 v27, 8, v12
	v_lshrrev_b32_e32 v28, 16, v12
	s_wait_alu 0xfffd
	v_cndmask_b32_e64 v5, 0, 1, vcc_lo
	v_lshlrev_b16 v26, 8, v26
	v_lshlrev_b16 v10, 8, v10
	v_and_b32_e32 v12, 0xff, v12
	v_lshlrev_b16 v27, 8, v27
	v_lshlrev_b16 v11, 8, v11
	v_and_b32_e32 v28, 0xff, v28
	v_or_b32_e32 v25, v25, v26
	v_or_b32_e32 v5, v5, v10
	;; [unrolled: 1-line block ×3, first 2 shown]
	s_delay_alu instid0(VALU_DEP_4) | instskip(NEXT) | instid1(VALU_DEP_4)
	v_or_b32_e32 v11, v28, v11
	v_and_b32_e32 v12, 0xffff, v25
	s_delay_alu instid0(VALU_DEP_4) | instskip(NEXT) | instid1(VALU_DEP_4)
	v_lshlrev_b32_e32 v5, 16, v5
	v_and_b32_e32 v10, 0xffff, v10
	s_delay_alu instid0(VALU_DEP_4) | instskip(NEXT) | instid1(VALU_DEP_3)
	v_lshlrev_b32_e32 v25, 16, v11
	v_or_b32_e32 v11, v12, v5
	s_delay_alu instid0(VALU_DEP_2)
	v_or_b32_e32 v5, v10, v25
.LBB151_53:
	s_wait_alu 0xfffe
	s_or_b32 exec_lo, exec_lo, s1
	v_add_nc_u32_e32 v10, 3, v46
	v_lshrrev_b32_e32 v12, 24, v9
	v_lshrrev_b32_e32 v25, 16, v9
	;; [unrolled: 1-line block ×3, first 2 shown]
                                        ; implicit-def: $vgpr47
	s_delay_alu instid0(VALU_DEP_4)
	v_cmp_le_u32_e32 vcc_lo, s27, v10
                                        ; implicit-def: $vgpr10
	s_and_saveexec_b32 s0, vcc_lo
	s_wait_alu 0xfffe
	s_xor_b32 s0, exec_lo, s0
	s_cbranch_execz .LBB151_55
; %bb.54:
	v_lshlrev_b16 v10, 8, v12
	v_and_b32_e32 v12, 0xff, v25
	v_lshlrev_b16 v9, 8, v9
	v_perm_b32 v8, v8, v8, 0x3060504
	v_perm_b32 v7, v7, v7, 0x3060504
                                        ; implicit-def: $vgpr25
	s_delay_alu instid0(VALU_DEP_4) | instskip(SKIP_2) | instid1(VALU_DEP_3)
	v_or_b32_e32 v10, v12, v10
	v_and_b32_e32 v12, 0xff0000, v11
	v_and_b32_e32 v9, 0xffff, v9
	v_lshlrev_b32_e32 v10, 16, v10
	s_delay_alu instid0(VALU_DEP_3) | instskip(NEXT) | instid1(VALU_DEP_2)
	v_perm_b32 v47, v11, v12, 0x3020504
                                        ; implicit-def: $vgpr11
                                        ; implicit-def: $vgpr12
	v_or_b32_e32 v10, v9, v10
                                        ; implicit-def: $vgpr9
.LBB151_55:
	s_wait_alu 0xfffe
	s_and_not1_saveexec_b32 s1, s0
	s_cbranch_execz .LBB151_59
; %bb.56:
	v_add_nc_u32_e32 v10, s17, v22
	v_add_nc_u32_e32 v26, s19, v22
	s_mov_b32 s3, 0
	s_mov_b32 s4, exec_lo
	s_delay_alu instid0(VALU_DEP_2) | instskip(NEXT) | instid1(VALU_DEP_2)
	v_mul_lo_u32 v10, v10, s16
	v_mul_lo_u32 v26, v26, s18
	s_delay_alu instid0(VALU_DEP_1) | instskip(NEXT) | instid1(VALU_DEP_1)
	v_sub_nc_u32_e32 v10, v10, v26
	v_cmp_lt_u32_e32 vcc_lo, s20, v10
	v_cmpx_ge_u32_e64 s20, v10
	s_cbranch_execz .LBB151_58
; %bb.57:
	v_add_nc_u32_e32 v10, s22, v22
	v_add_nc_u32_e32 v26, s38, v22
	s_delay_alu instid0(VALU_DEP_2) | instskip(NEXT) | instid1(VALU_DEP_2)
	v_mul_lo_u32 v10, v10, s21
	v_mul_lo_u32 v26, v26, s23
	s_delay_alu instid0(VALU_DEP_1) | instskip(NEXT) | instid1(VALU_DEP_1)
	v_sub_nc_u32_e32 v10, v10, v26
	v_cmp_lt_u32_e64 s0, s39, v10
	s_and_b32 s3, s0, exec_lo
.LBB151_58:
	s_wait_alu 0xfffe
	s_or_b32 exec_lo, exec_lo, s4
	v_lshrrev_b32_e32 v10, 8, v11
	s_wait_alu 0xfffd
	v_cndmask_b32_e64 v26, 0, 1, vcc_lo
	v_lshrrev_b32_e32 v27, 16, v11
	v_cndmask_b32_e64 v28, 0, 1, s3
	v_and_b32_e32 v11, 0xff, v11
	v_lshlrev_b16 v10, 8, v10
	v_lshlrev_b16 v26, 8, v26
	v_and_b32_e32 v27, 0xff, v27
	v_lshlrev_b16 v12, 8, v12
	v_and_b32_e32 v25, 0xff, v25
	v_lshlrev_b16 v9, 8, v9
	v_or_b32_e32 v10, v11, v10
	v_or_b32_e32 v11, v27, v26
	s_delay_alu instid0(VALU_DEP_4) | instskip(NEXT) | instid1(VALU_DEP_4)
	v_or_b32_e32 v12, v25, v12
	v_or_b32_e32 v9, v28, v9
	s_delay_alu instid0(VALU_DEP_4) | instskip(NEXT) | instid1(VALU_DEP_4)
	v_and_b32_e32 v10, 0xffff, v10
	v_lshlrev_b32_e32 v11, 16, v11
	s_delay_alu instid0(VALU_DEP_4) | instskip(NEXT) | instid1(VALU_DEP_4)
	v_lshlrev_b32_e32 v12, 16, v12
	v_and_b32_e32 v9, 0xffff, v9
	s_delay_alu instid0(VALU_DEP_3) | instskip(NEXT) | instid1(VALU_DEP_2)
	v_or_b32_e32 v47, v10, v11
	v_or_b32_e32 v10, v9, v12
.LBB151_59:
	s_wait_alu 0xfffe
	s_or_b32 exec_lo, exec_lo, s1
	v_add_nc_u32_e32 v9, 4, v46
	v_lshrrev_b32_e32 v25, 8, v8
	v_lshrrev_b32_e32 v26, 16, v8
	;; [unrolled: 1-line block ×4, first 2 shown]
	v_cmp_le_u32_e32 vcc_lo, s27, v9
	v_lshrrev_b32_e32 v12, 16, v10
                                        ; implicit-def: $vgpr8
                                        ; implicit-def: $vgpr9
	s_and_saveexec_b32 s0, vcc_lo
	s_wait_alu 0xfffe
	s_xor_b32 s0, exec_lo, s0
	s_cbranch_execz .LBB151_61
; %bb.60:
	v_lshlrev_b16 v8, 8, v27
	v_and_b32_e32 v9, 0xff, v26
	v_lshlrev_b16 v25, 8, v25
	v_lshlrev_b16 v11, 8, v11
	v_and_b32_e32 v12, 0xff, v12
	v_perm_b32 v7, v7, v7, 0x3060504
	v_or_b32_e32 v8, v9, v8
	v_and_b32_e32 v9, 0xffff, v25
                                        ; implicit-def: $vgpr25
                                        ; implicit-def: $vgpr26
                                        ; implicit-def: $vgpr27
	s_delay_alu instid0(VALU_DEP_4) | instskip(NEXT) | instid1(VALU_DEP_3)
	v_or_b32_e32 v11, v12, v11
	v_lshlrev_b32_e32 v12, 16, v8
	s_delay_alu instid0(VALU_DEP_2) | instskip(NEXT) | instid1(VALU_DEP_2)
	v_perm_b32 v8, v11, v10, 0x5040c00
                                        ; implicit-def: $vgpr10
                                        ; implicit-def: $vgpr11
	v_or_b32_e32 v9, v9, v12
                                        ; implicit-def: $vgpr12
.LBB151_61:
	s_wait_alu 0xfffe
	s_and_not1_saveexec_b32 s1, s0
	s_cbranch_execz .LBB151_65
; %bb.62:
	v_add_nc_u32_e32 v8, s17, v19
	v_add_nc_u32_e32 v9, s19, v19
	s_mov_b32 s3, 0
	s_mov_b32 s4, exec_lo
	s_delay_alu instid0(VALU_DEP_2) | instskip(NEXT) | instid1(VALU_DEP_2)
	v_mul_lo_u32 v8, v8, s16
	v_mul_lo_u32 v9, v9, s18
	s_delay_alu instid0(VALU_DEP_1) | instskip(NEXT) | instid1(VALU_DEP_1)
	v_sub_nc_u32_e32 v8, v8, v9
	v_cmp_lt_u32_e32 vcc_lo, s20, v8
	v_cmpx_ge_u32_e64 s20, v8
	s_cbranch_execz .LBB151_64
; %bb.63:
	v_add_nc_u32_e32 v8, s22, v19
	v_add_nc_u32_e32 v9, s38, v19
	s_delay_alu instid0(VALU_DEP_2) | instskip(NEXT) | instid1(VALU_DEP_2)
	v_mul_lo_u32 v8, v8, s21
	v_mul_lo_u32 v9, v9, s23
	s_delay_alu instid0(VALU_DEP_1) | instskip(NEXT) | instid1(VALU_DEP_1)
	v_sub_nc_u32_e32 v8, v8, v9
	v_cmp_lt_u32_e64 s0, s39, v8
	s_and_b32 s3, s0, exec_lo
.LBB151_64:
	s_wait_alu 0xfffe
	s_or_b32 exec_lo, exec_lo, s4
	v_cndmask_b32_e64 v8, 0, 1, s3
	s_wait_alu 0xfffd
	v_cndmask_b32_e64 v9, 0, 1, vcc_lo
	v_lshlrev_b16 v27, 8, v27
	v_and_b32_e32 v26, 0xff, v26
	v_lshlrev_b16 v25, 8, v25
	v_lshlrev_b16 v8, 8, v8
	v_and_b32_e32 v10, 0xff, v10
	v_lshlrev_b16 v11, 8, v11
	v_and_b32_e32 v12, 0xff, v12
	v_or_b32_e32 v26, v26, v27
	v_or_b32_e32 v9, v9, v25
	v_or_b32_e32 v8, v10, v8
	s_delay_alu instid0(VALU_DEP_4) | instskip(NEXT) | instid1(VALU_DEP_4)
	v_or_b32_e32 v10, v12, v11
	v_lshlrev_b32_e32 v11, 16, v26
	s_delay_alu instid0(VALU_DEP_4) | instskip(NEXT) | instid1(VALU_DEP_4)
	v_and_b32_e32 v9, 0xffff, v9
	v_and_b32_e32 v8, 0xffff, v8
	s_delay_alu instid0(VALU_DEP_4) | instskip(NEXT) | instid1(VALU_DEP_3)
	v_lshlrev_b32_e32 v10, 16, v10
	v_or_b32_e32 v9, v9, v11
	s_delay_alu instid0(VALU_DEP_2)
	v_or_b32_e32 v8, v8, v10
.LBB151_65:
	s_wait_alu 0xfffe
	s_or_b32 exec_lo, exec_lo, s1
	v_add_nc_u32_e32 v10, 5, v46
	v_lshrrev_b32_e32 v25, 16, v9
	v_lshrrev_b32_e32 v27, 24, v9
	v_and_b32_e32 v12, 0xff, v8
	v_lshrrev_b32_e32 v26, 8, v8
	v_cmp_le_u32_e32 vcc_lo, s27, v10
                                        ; implicit-def: $vgpr10
                                        ; implicit-def: $vgpr11
	s_and_saveexec_b32 s0, vcc_lo
	s_wait_alu 0xfffe
	s_xor_b32 s0, exec_lo, s0
	s_cbranch_execz .LBB151_67
; %bb.66:
	v_lshlrev_b16 v10, 8, v26
	v_lshlrev_b16 v11, 8, v27
	v_and_b32_e32 v25, 0xff, v25
	v_perm_b32 v7, v7, v7, 0x3060504
                                        ; implicit-def: $vgpr27
                                        ; implicit-def: $vgpr26
	s_delay_alu instid0(VALU_DEP_4) | instskip(NEXT) | instid1(VALU_DEP_3)
	v_or_b32_e32 v10, v12, v10
                                        ; implicit-def: $vgpr12
	v_or_b32_e32 v11, v25, v11
                                        ; implicit-def: $vgpr25
	s_delay_alu instid0(VALU_DEP_2) | instskip(NEXT) | instid1(VALU_DEP_2)
	v_and_b32_e32 v10, 0xffff, v10
	v_perm_b32 v11, v11, v9, 0x5040c00
                                        ; implicit-def: $vgpr9
	s_delay_alu instid0(VALU_DEP_2)
	v_and_or_b32 v10, 0xff000000, v8, v10
                                        ; implicit-def: $vgpr8
.LBB151_67:
	s_wait_alu 0xfffe
	s_and_not1_saveexec_b32 s1, s0
	s_cbranch_execz .LBB151_71
; %bb.68:
	v_add_nc_u32_e32 v10, s17, v20
	v_add_nc_u32_e32 v11, s19, v20
	s_mov_b32 s3, 0
	s_mov_b32 s4, exec_lo
	s_delay_alu instid0(VALU_DEP_2) | instskip(NEXT) | instid1(VALU_DEP_2)
	v_mul_lo_u32 v10, v10, s16
	v_mul_lo_u32 v11, v11, s18
	s_delay_alu instid0(VALU_DEP_1) | instskip(NEXT) | instid1(VALU_DEP_1)
	v_sub_nc_u32_e32 v10, v10, v11
	v_cmp_lt_u32_e32 vcc_lo, s20, v10
	v_cmpx_ge_u32_e64 s20, v10
	s_cbranch_execz .LBB151_70
; %bb.69:
	v_add_nc_u32_e32 v10, s22, v20
	v_add_nc_u32_e32 v11, s38, v20
	s_delay_alu instid0(VALU_DEP_2) | instskip(NEXT) | instid1(VALU_DEP_2)
	v_mul_lo_u32 v10, v10, s21
	v_mul_lo_u32 v11, v11, s23
	s_delay_alu instid0(VALU_DEP_1) | instskip(NEXT) | instid1(VALU_DEP_1)
	v_sub_nc_u32_e32 v10, v10, v11
	v_cmp_lt_u32_e64 s0, s39, v10
	s_and_b32 s3, s0, exec_lo
.LBB151_70:
	s_wait_alu 0xfffe
	s_or_b32 exec_lo, exec_lo, s4
	s_wait_alu 0xfffd
	v_cndmask_b32_e64 v10, 0, 1, vcc_lo
	v_lshrrev_b32_e32 v8, 24, v8
	v_cndmask_b32_e64 v11, 0, 1, s3
	v_lshlrev_b16 v27, 8, v27
	v_and_b32_e32 v25, 0xff, v25
	v_lshlrev_b16 v10, 8, v10
	v_lshlrev_b16 v26, 8, v26
	v_and_b32_e32 v9, 0xff, v9
	v_lshlrev_b16 v8, 8, v8
	v_or_b32_e32 v25, v25, v27
	s_delay_alu instid0(VALU_DEP_4) | instskip(NEXT) | instid1(VALU_DEP_4)
	v_or_b32_e32 v12, v12, v26
	v_or_b32_e32 v9, v9, v10
	s_delay_alu instid0(VALU_DEP_4) | instskip(NEXT) | instid1(VALU_DEP_4)
	v_or_b32_e32 v8, v11, v8
	v_lshlrev_b32_e32 v10, 16, v25
	s_delay_alu instid0(VALU_DEP_4) | instskip(NEXT) | instid1(VALU_DEP_4)
	v_and_b32_e32 v12, 0xffff, v12
	v_and_b32_e32 v9, 0xffff, v9
	s_delay_alu instid0(VALU_DEP_4) | instskip(NEXT) | instid1(VALU_DEP_2)
	v_lshlrev_b32_e32 v8, 16, v8
	v_or_b32_e32 v11, v9, v10
	s_delay_alu instid0(VALU_DEP_2)
	v_or_b32_e32 v10, v12, v8
.LBB151_71:
	s_wait_alu 0xfffe
	s_or_b32 exec_lo, exec_lo, s1
	v_add_nc_u32_e32 v8, 6, v46
	v_lshrrev_b32_e32 v12, 8, v11
                                        ; implicit-def: $vgpr48
                                        ; implicit-def: $vgpr9
	s_delay_alu instid0(VALU_DEP_2)
	v_cmp_le_u32_e32 vcc_lo, s27, v8
	v_and_b32_e32 v8, 0xff, v11
	s_and_saveexec_b32 s0, vcc_lo
	s_wait_alu 0xfffe
	s_xor_b32 s0, exec_lo, s0
	s_cbranch_execz .LBB151_73
; %bb.72:
	v_lshlrev_b16 v9, 8, v12
	v_perm_b32 v7, v7, v7, 0x3060504
                                        ; implicit-def: $vgpr12
	s_delay_alu instid0(VALU_DEP_2) | instskip(SKIP_1) | instid1(VALU_DEP_2)
	v_or_b32_e32 v8, v8, v9
	v_and_b32_e32 v9, 0xff0000, v10
	v_and_b32_e32 v8, 0xffff, v8
	s_delay_alu instid0(VALU_DEP_2) | instskip(NEXT) | instid1(VALU_DEP_2)
	v_perm_b32 v48, v10, v9, 0x3020504
                                        ; implicit-def: $vgpr10
	v_and_or_b32 v9, 0xff000000, v11, v8
                                        ; implicit-def: $vgpr8
                                        ; implicit-def: $vgpr11
.LBB151_73:
	s_wait_alu 0xfffe
	s_and_not1_saveexec_b32 s1, s0
	s_cbranch_execz .LBB151_77
; %bb.74:
	v_add_nc_u32_e32 v9, s17, v17
	v_add_nc_u32_e32 v25, s19, v17
	s_mov_b32 s3, 0
	s_mov_b32 s4, exec_lo
	s_delay_alu instid0(VALU_DEP_2) | instskip(NEXT) | instid1(VALU_DEP_2)
	v_mul_lo_u32 v9, v9, s16
	v_mul_lo_u32 v25, v25, s18
	s_delay_alu instid0(VALU_DEP_1) | instskip(NEXT) | instid1(VALU_DEP_1)
	v_sub_nc_u32_e32 v9, v9, v25
	v_cmp_lt_u32_e32 vcc_lo, s20, v9
	v_cmpx_ge_u32_e64 s20, v9
	s_cbranch_execz .LBB151_76
; %bb.75:
	v_add_nc_u32_e32 v9, s22, v17
	v_add_nc_u32_e32 v25, s38, v17
	s_delay_alu instid0(VALU_DEP_2) | instskip(NEXT) | instid1(VALU_DEP_2)
	v_mul_lo_u32 v9, v9, s21
	v_mul_lo_u32 v25, v25, s23
	s_delay_alu instid0(VALU_DEP_1) | instskip(NEXT) | instid1(VALU_DEP_1)
	v_sub_nc_u32_e32 v9, v9, v25
	v_cmp_lt_u32_e64 s0, s39, v9
	s_and_b32 s3, s0, exec_lo
.LBB151_76:
	s_wait_alu 0xfffe
	s_or_b32 exec_lo, exec_lo, s4
	v_lshrrev_b32_e32 v11, 24, v11
	v_cndmask_b32_e64 v25, 0, 1, s3
	v_lshrrev_b32_e32 v26, 8, v10
	v_lshrrev_b32_e32 v27, 16, v10
	s_wait_alu 0xfffd
	v_cndmask_b32_e64 v9, 0, 1, vcc_lo
	v_lshlrev_b16 v12, 8, v12
	v_lshlrev_b16 v11, 8, v11
	v_and_b32_e32 v10, 0xff, v10
	v_lshlrev_b16 v26, 8, v26
	v_lshlrev_b16 v25, 8, v25
	v_and_b32_e32 v27, 0xff, v27
	v_or_b32_e32 v8, v8, v12
	v_or_b32_e32 v9, v9, v11
	;; [unrolled: 1-line block ×3, first 2 shown]
	s_delay_alu instid0(VALU_DEP_4) | instskip(NEXT) | instid1(VALU_DEP_4)
	v_or_b32_e32 v11, v27, v25
	v_and_b32_e32 v8, 0xffff, v8
	s_delay_alu instid0(VALU_DEP_4) | instskip(NEXT) | instid1(VALU_DEP_4)
	v_lshlrev_b32_e32 v9, 16, v9
	v_and_b32_e32 v10, 0xffff, v10
	s_delay_alu instid0(VALU_DEP_4) | instskip(NEXT) | instid1(VALU_DEP_3)
	v_lshlrev_b32_e32 v11, 16, v11
	v_or_b32_e32 v9, v8, v9
	s_delay_alu instid0(VALU_DEP_2)
	v_or_b32_e32 v48, v10, v11
.LBB151_77:
	s_wait_alu 0xfffe
	s_or_b32 exec_lo, exec_lo, s1
	v_add_nc_u32_e32 v8, 7, v46
	v_lshrrev_b32_e32 v10, 8, v7
	v_lshrrev_b32_e32 v11, 16, v7
	;; [unrolled: 1-line block ×3, first 2 shown]
                                        ; implicit-def: $vgpr49
	s_delay_alu instid0(VALU_DEP_4)
	v_cmp_le_u32_e32 vcc_lo, s27, v8
                                        ; implicit-def: $vgpr8
	s_and_saveexec_b32 s0, vcc_lo
	s_wait_alu 0xfffe
	s_xor_b32 s0, exec_lo, s0
	s_cbranch_execz .LBB151_79
; %bb.78:
	v_lshlrev_b16 v7, 8, v7
	v_and_b32_e32 v8, 0xff, v11
                                        ; implicit-def: $vgpr11
	s_delay_alu instid0(VALU_DEP_1) | instskip(SKIP_2) | instid1(VALU_DEP_3)
	v_or_b32_e32 v7, v8, v7
	v_lshlrev_b16 v8, 8, v10
	v_and_b32_e32 v10, 0xff0000, v9
	v_lshlrev_b32_e32 v7, 16, v7
	s_delay_alu instid0(VALU_DEP_3) | instskip(NEXT) | instid1(VALU_DEP_3)
	v_and_b32_e32 v8, 0xffff, v8
	v_perm_b32 v49, v9, v10, 0x3020504
                                        ; implicit-def: $vgpr9
                                        ; implicit-def: $vgpr10
	s_delay_alu instid0(VALU_DEP_2)
	v_or_b32_e32 v8, v8, v7
                                        ; implicit-def: $vgpr7
.LBB151_79:
	s_wait_alu 0xfffe
	s_and_not1_saveexec_b32 s1, s0
	s_cbranch_execz .LBB151_83
; %bb.80:
	v_add_nc_u32_e32 v8, s17, v18
	v_add_nc_u32_e32 v12, s19, v18
	s_mov_b32 s3, 0
	s_mov_b32 s4, exec_lo
	s_delay_alu instid0(VALU_DEP_2) | instskip(NEXT) | instid1(VALU_DEP_2)
	v_mul_lo_u32 v8, v8, s16
	v_mul_lo_u32 v12, v12, s18
	s_delay_alu instid0(VALU_DEP_1) | instskip(NEXT) | instid1(VALU_DEP_1)
	v_sub_nc_u32_e32 v8, v8, v12
	v_cmp_lt_u32_e32 vcc_lo, s20, v8
	v_cmpx_ge_u32_e64 s20, v8
	s_cbranch_execz .LBB151_82
; %bb.81:
	v_add_nc_u32_e32 v8, s22, v18
	v_add_nc_u32_e32 v12, s38, v18
	s_delay_alu instid0(VALU_DEP_2) | instskip(NEXT) | instid1(VALU_DEP_2)
	v_mul_lo_u32 v8, v8, s21
	v_mul_lo_u32 v12, v12, s23
	s_delay_alu instid0(VALU_DEP_1) | instskip(NEXT) | instid1(VALU_DEP_1)
	v_sub_nc_u32_e32 v8, v8, v12
	v_cmp_lt_u32_e64 s0, s39, v8
	s_and_b32 s3, s0, exec_lo
.LBB151_82:
	s_wait_alu 0xfffe
	s_or_b32 exec_lo, exec_lo, s4
	v_lshrrev_b32_e32 v8, 8, v9
	s_wait_alu 0xfffd
	v_cndmask_b32_e64 v12, 0, 1, vcc_lo
	v_lshrrev_b32_e32 v25, 16, v9
	v_cndmask_b32_e64 v26, 0, 1, s3
	v_and_b32_e32 v9, 0xff, v9
	v_lshlrev_b16 v8, 8, v8
	v_lshlrev_b16 v12, 8, v12
	v_and_b32_e32 v25, 0xff, v25
	v_lshlrev_b16 v7, 8, v7
	v_and_b32_e32 v11, 0xff, v11
	v_lshlrev_b16 v10, 8, v10
	v_or_b32_e32 v8, v9, v8
	v_or_b32_e32 v9, v25, v12
	s_delay_alu instid0(VALU_DEP_4) | instskip(NEXT) | instid1(VALU_DEP_4)
	v_or_b32_e32 v7, v11, v7
	v_or_b32_e32 v10, v26, v10
	s_delay_alu instid0(VALU_DEP_4) | instskip(NEXT) | instid1(VALU_DEP_4)
	v_and_b32_e32 v8, 0xffff, v8
	v_lshlrev_b32_e32 v9, 16, v9
	s_delay_alu instid0(VALU_DEP_4) | instskip(NEXT) | instid1(VALU_DEP_4)
	v_lshlrev_b32_e32 v7, 16, v7
	v_and_b32_e32 v10, 0xffff, v10
	s_delay_alu instid0(VALU_DEP_3) | instskip(NEXT) | instid1(VALU_DEP_2)
	v_or_b32_e32 v49, v8, v9
	v_or_b32_e32 v8, v10, v7
.LBB151_83:
	s_wait_alu 0xfffe
	s_or_b32 exec_lo, exec_lo, s1
	v_add_nc_u32_e32 v7, 8, v46
	s_delay_alu instid0(VALU_DEP_2)
	v_lshrrev_b32_e32 v9, 16, v8
	v_lshrrev_b32_e32 v10, 24, v8
	;; [unrolled: 1-line block ×4, first 2 shown]
	v_cmp_le_u32_e32 vcc_lo, s27, v7
	v_lshrrev_b32_e32 v11, 8, v6
                                        ; implicit-def: $vgpr6
                                        ; implicit-def: $vgpr7
	s_and_saveexec_b32 s0, vcc_lo
	s_wait_alu 0xfffe
	s_xor_b32 s0, exec_lo, s0
	s_cbranch_execz .LBB151_85
; %bb.84:
	v_lshlrev_b16 v6, 8, v12
	v_and_b32_e32 v7, 0xff, v25
	v_lshlrev_b16 v11, 8, v11
	v_lshlrev_b16 v10, 8, v10
	v_perm_b32 v5, v5, v5, 0x3060504
                                        ; implicit-def: $vgpr12
                                        ; implicit-def: $vgpr25
	s_delay_alu instid0(VALU_DEP_4) | instskip(SKIP_2) | instid1(VALU_DEP_3)
	v_or_b32_e32 v6, v7, v6
	v_and_b32_e32 v7, 0xff, v9
	v_and_b32_e32 v9, 0xffff, v11
                                        ; implicit-def: $vgpr11
	v_lshlrev_b32_e32 v6, 16, v6
	s_delay_alu instid0(VALU_DEP_3) | instskip(NEXT) | instid1(VALU_DEP_2)
	v_or_b32_e32 v10, v7, v10
	v_or_b32_e32 v7, v9, v6
	s_delay_alu instid0(VALU_DEP_2)
	v_perm_b32 v6, v10, v8, 0x5040c00
                                        ; implicit-def: $vgpr8
                                        ; implicit-def: $vgpr9
                                        ; implicit-def: $vgpr10
.LBB151_85:
	s_wait_alu 0xfffe
	s_and_not1_saveexec_b32 s1, s0
	s_cbranch_execz .LBB151_89
; %bb.86:
	v_add_nc_u32_e32 v6, s17, v15
	v_add_nc_u32_e32 v7, s19, v15
	s_mov_b32 s3, 0
	s_mov_b32 s4, exec_lo
	s_delay_alu instid0(VALU_DEP_2) | instskip(NEXT) | instid1(VALU_DEP_2)
	v_mul_lo_u32 v6, v6, s16
	v_mul_lo_u32 v7, v7, s18
	s_delay_alu instid0(VALU_DEP_1) | instskip(NEXT) | instid1(VALU_DEP_1)
	v_sub_nc_u32_e32 v6, v6, v7
	v_cmp_lt_u32_e32 vcc_lo, s20, v6
	v_cmpx_ge_u32_e64 s20, v6
	s_cbranch_execz .LBB151_88
; %bb.87:
	v_add_nc_u32_e32 v6, s22, v15
	v_add_nc_u32_e32 v7, s38, v15
	s_delay_alu instid0(VALU_DEP_2) | instskip(NEXT) | instid1(VALU_DEP_2)
	v_mul_lo_u32 v6, v6, s21
	v_mul_lo_u32 v7, v7, s23
	s_delay_alu instid0(VALU_DEP_1) | instskip(NEXT) | instid1(VALU_DEP_1)
	v_sub_nc_u32_e32 v6, v6, v7
	v_cmp_lt_u32_e64 s0, s39, v6
	s_and_b32 s3, s0, exec_lo
.LBB151_88:
	s_wait_alu 0xfffe
	s_or_b32 exec_lo, exec_lo, s4
	v_cndmask_b32_e64 v6, 0, 1, s3
	s_wait_alu 0xfffd
	v_cndmask_b32_e64 v7, 0, 1, vcc_lo
	v_lshlrev_b16 v12, 8, v12
	v_and_b32_e32 v25, 0xff, v25
	v_lshlrev_b16 v11, 8, v11
	v_lshlrev_b16 v6, 8, v6
	v_and_b32_e32 v8, 0xff, v8
	v_lshlrev_b16 v10, 8, v10
	v_and_b32_e32 v9, 0xff, v9
	v_or_b32_e32 v12, v25, v12
	v_or_b32_e32 v7, v7, v11
	;; [unrolled: 1-line block ×3, first 2 shown]
	s_delay_alu instid0(VALU_DEP_4) | instskip(NEXT) | instid1(VALU_DEP_4)
	v_or_b32_e32 v8, v9, v10
	v_lshlrev_b32_e32 v9, 16, v12
	s_delay_alu instid0(VALU_DEP_4) | instskip(NEXT) | instid1(VALU_DEP_4)
	v_and_b32_e32 v7, 0xffff, v7
	v_and_b32_e32 v6, 0xffff, v6
	s_delay_alu instid0(VALU_DEP_4) | instskip(NEXT) | instid1(VALU_DEP_3)
	v_lshlrev_b32_e32 v8, 16, v8
	v_or_b32_e32 v7, v7, v9
	s_delay_alu instid0(VALU_DEP_2)
	v_or_b32_e32 v6, v6, v8
.LBB151_89:
	s_wait_alu 0xfffe
	s_or_b32 exec_lo, exec_lo, s1
	v_add_nc_u32_e32 v8, 9, v46
	s_delay_alu instid0(VALU_DEP_2)
	v_lshrrev_b32_e32 v10, 8, v6
	v_lshrrev_b32_e32 v25, 24, v7
	;; [unrolled: 1-line block ×3, first 2 shown]
	v_and_b32_e32 v11, 0xff, v6
	v_cmp_le_u32_e32 vcc_lo, s27, v8
                                        ; implicit-def: $vgpr8
                                        ; implicit-def: $vgpr9
	s_and_saveexec_b32 s0, vcc_lo
	s_wait_alu 0xfffe
	s_xor_b32 s0, exec_lo, s0
	s_cbranch_execz .LBB151_91
; %bb.90:
	v_lshlrev_b16 v8, 8, v10
	v_lshlrev_b16 v9, 8, v25
	v_and_b32_e32 v10, 0xff, v12
	v_perm_b32 v5, v5, v5, 0x3060504
                                        ; implicit-def: $vgpr25
                                        ; implicit-def: $vgpr12
	s_delay_alu instid0(VALU_DEP_4) | instskip(NEXT) | instid1(VALU_DEP_3)
	v_or_b32_e32 v8, v11, v8
                                        ; implicit-def: $vgpr11
	v_or_b32_e32 v9, v10, v9
                                        ; implicit-def: $vgpr10
	s_delay_alu instid0(VALU_DEP_2) | instskip(NEXT) | instid1(VALU_DEP_2)
	v_and_b32_e32 v8, 0xffff, v8
	v_perm_b32 v9, v9, v7, 0x5040c00
                                        ; implicit-def: $vgpr7
	s_delay_alu instid0(VALU_DEP_2)
	v_and_or_b32 v8, 0xff000000, v6, v8
                                        ; implicit-def: $vgpr6
.LBB151_91:
	s_wait_alu 0xfffe
	s_and_not1_saveexec_b32 s1, s0
	s_cbranch_execz .LBB151_95
; %bb.92:
	v_add_nc_u32_e32 v8, s17, v16
	v_add_nc_u32_e32 v9, s19, v16
	s_mov_b32 s3, 0
	s_mov_b32 s4, exec_lo
	s_delay_alu instid0(VALU_DEP_2) | instskip(NEXT) | instid1(VALU_DEP_2)
	v_mul_lo_u32 v8, v8, s16
	v_mul_lo_u32 v9, v9, s18
	s_delay_alu instid0(VALU_DEP_1) | instskip(NEXT) | instid1(VALU_DEP_1)
	v_sub_nc_u32_e32 v8, v8, v9
	v_cmp_lt_u32_e32 vcc_lo, s20, v8
	v_cmpx_ge_u32_e64 s20, v8
	s_cbranch_execz .LBB151_94
; %bb.93:
	v_add_nc_u32_e32 v8, s22, v16
	v_add_nc_u32_e32 v9, s38, v16
	s_delay_alu instid0(VALU_DEP_2) | instskip(NEXT) | instid1(VALU_DEP_2)
	v_mul_lo_u32 v8, v8, s21
	v_mul_lo_u32 v9, v9, s23
	s_delay_alu instid0(VALU_DEP_1) | instskip(NEXT) | instid1(VALU_DEP_1)
	v_sub_nc_u32_e32 v8, v8, v9
	v_cmp_lt_u32_e64 s0, s39, v8
	s_and_b32 s3, s0, exec_lo
.LBB151_94:
	s_wait_alu 0xfffe
	s_or_b32 exec_lo, exec_lo, s4
	s_wait_alu 0xfffd
	v_cndmask_b32_e64 v8, 0, 1, vcc_lo
	v_lshrrev_b32_e32 v6, 24, v6
	v_cndmask_b32_e64 v9, 0, 1, s3
	v_lshlrev_b16 v25, 8, v25
	v_and_b32_e32 v12, 0xff, v12
	v_lshlrev_b16 v8, 8, v8
	v_lshlrev_b16 v10, 8, v10
	v_and_b32_e32 v7, 0xff, v7
	v_lshlrev_b16 v6, 8, v6
	v_or_b32_e32 v12, v12, v25
	s_delay_alu instid0(VALU_DEP_4) | instskip(NEXT) | instid1(VALU_DEP_4)
	v_or_b32_e32 v10, v11, v10
	v_or_b32_e32 v7, v7, v8
	s_delay_alu instid0(VALU_DEP_4) | instskip(NEXT) | instid1(VALU_DEP_4)
	v_or_b32_e32 v6, v9, v6
	v_lshlrev_b32_e32 v8, 16, v12
	s_delay_alu instid0(VALU_DEP_4) | instskip(NEXT) | instid1(VALU_DEP_4)
	v_and_b32_e32 v10, 0xffff, v10
	v_and_b32_e32 v7, 0xffff, v7
	s_delay_alu instid0(VALU_DEP_4) | instskip(NEXT) | instid1(VALU_DEP_2)
	v_lshlrev_b32_e32 v6, 16, v6
	v_or_b32_e32 v9, v7, v8
	s_delay_alu instid0(VALU_DEP_2)
	v_or_b32_e32 v8, v10, v6
.LBB151_95:
	s_wait_alu 0xfffe
	s_or_b32 exec_lo, exec_lo, s1
	v_add_nc_u32_e32 v6, 10, v46
	v_and_b32_e32 v7, 0xff, v9
	v_lshrrev_b32_e32 v10, 8, v9
                                        ; implicit-def: $vgpr51
	s_delay_alu instid0(VALU_DEP_3)
	v_cmp_le_u32_e32 vcc_lo, s27, v6
                                        ; implicit-def: $vgpr6
	s_and_saveexec_b32 s0, vcc_lo
	s_wait_alu 0xfffe
	s_xor_b32 s0, exec_lo, s0
	s_cbranch_execz .LBB151_97
; %bb.96:
	v_lshlrev_b16 v6, 8, v10
	v_perm_b32 v5, v5, v5, 0x3060504
                                        ; implicit-def: $vgpr10
	s_delay_alu instid0(VALU_DEP_2) | instskip(SKIP_1) | instid1(VALU_DEP_2)
	v_or_b32_e32 v6, v7, v6
	v_and_b32_e32 v7, 0xff0000, v8
	v_and_b32_e32 v6, 0xffff, v6
	s_delay_alu instid0(VALU_DEP_2) | instskip(NEXT) | instid1(VALU_DEP_2)
	v_perm_b32 v51, v8, v7, 0x3020504
                                        ; implicit-def: $vgpr7
                                        ; implicit-def: $vgpr8
	v_and_or_b32 v6, 0xff000000, v9, v6
                                        ; implicit-def: $vgpr9
.LBB151_97:
	s_wait_alu 0xfffe
	s_and_not1_saveexec_b32 s1, s0
	s_cbranch_execz .LBB151_101
; %bb.98:
	v_add_nc_u32_e32 v6, s17, v13
	v_add_nc_u32_e32 v11, s19, v13
	s_mov_b32 s3, 0
	s_mov_b32 s4, exec_lo
	s_delay_alu instid0(VALU_DEP_2) | instskip(NEXT) | instid1(VALU_DEP_2)
	v_mul_lo_u32 v6, v6, s16
	v_mul_lo_u32 v11, v11, s18
	s_delay_alu instid0(VALU_DEP_1) | instskip(NEXT) | instid1(VALU_DEP_1)
	v_sub_nc_u32_e32 v6, v6, v11
	v_cmp_lt_u32_e32 vcc_lo, s20, v6
	v_cmpx_ge_u32_e64 s20, v6
	s_cbranch_execz .LBB151_100
; %bb.99:
	v_add_nc_u32_e32 v6, s22, v13
	v_add_nc_u32_e32 v11, s38, v13
	s_delay_alu instid0(VALU_DEP_2) | instskip(NEXT) | instid1(VALU_DEP_2)
	v_mul_lo_u32 v6, v6, s21
	v_mul_lo_u32 v11, v11, s23
	s_delay_alu instid0(VALU_DEP_1) | instskip(NEXT) | instid1(VALU_DEP_1)
	v_sub_nc_u32_e32 v6, v6, v11
	v_cmp_lt_u32_e64 s0, s39, v6
	s_and_b32 s3, s0, exec_lo
.LBB151_100:
	s_wait_alu 0xfffe
	s_or_b32 exec_lo, exec_lo, s4
	v_lshrrev_b32_e32 v9, 24, v9
	v_cndmask_b32_e64 v11, 0, 1, s3
	v_lshrrev_b32_e32 v12, 8, v8
	v_lshrrev_b32_e32 v25, 16, v8
	s_wait_alu 0xfffd
	v_cndmask_b32_e64 v6, 0, 1, vcc_lo
	v_lshlrev_b16 v10, 8, v10
	v_lshlrev_b16 v9, 8, v9
	v_and_b32_e32 v8, 0xff, v8
	v_lshlrev_b16 v12, 8, v12
	v_lshlrev_b16 v11, 8, v11
	v_and_b32_e32 v25, 0xff, v25
	v_or_b32_e32 v7, v7, v10
	v_or_b32_e32 v6, v6, v9
	v_or_b32_e32 v8, v8, v12
	s_delay_alu instid0(VALU_DEP_4) | instskip(NEXT) | instid1(VALU_DEP_4)
	v_or_b32_e32 v9, v25, v11
	v_and_b32_e32 v7, 0xffff, v7
	s_delay_alu instid0(VALU_DEP_4) | instskip(NEXT) | instid1(VALU_DEP_4)
	v_lshlrev_b32_e32 v6, 16, v6
	v_and_b32_e32 v8, 0xffff, v8
	s_delay_alu instid0(VALU_DEP_4) | instskip(NEXT) | instid1(VALU_DEP_3)
	v_lshlrev_b32_e32 v9, 16, v9
	v_or_b32_e32 v6, v7, v6
	s_delay_alu instid0(VALU_DEP_2)
	v_or_b32_e32 v51, v8, v9
.LBB151_101:
	s_wait_alu 0xfffe
	s_or_b32 exec_lo, exec_lo, s1
	v_dual_mov_b32 v50, 0 :: v_dual_add_nc_u32 v7, 11, v46
	s_mov_b32 s0, exec_lo
                                        ; implicit-def: $vgpr52
	s_delay_alu instid0(VALU_DEP_1)
	v_cmpx_le_u32_e64 s27, v7
	s_wait_alu 0xfffe
	s_xor_b32 s0, exec_lo, s0
; %bb.102:
	v_and_b32_e32 v7, 0xff0000, v6
	v_perm_b32 v5, v5, v5, 0x3060504
	s_delay_alu instid0(VALU_DEP_2)
	v_perm_b32 v52, v6, v7, 0x3020504
                                        ; implicit-def: $vgpr6
; %bb.103:
	s_wait_alu 0xfffe
	s_and_not1_saveexec_b32 s1, s0
	s_cbranch_execz .LBB151_107
; %bb.104:
	v_add_nc_u32_e32 v7, s17, v14
	v_add_nc_u32_e32 v8, s19, v14
	s_mov_b32 s3, 0
	s_mov_b32 s4, exec_lo
	s_delay_alu instid0(VALU_DEP_2) | instskip(NEXT) | instid1(VALU_DEP_2)
	v_mul_lo_u32 v7, v7, s16
	v_mul_lo_u32 v8, v8, s18
	s_delay_alu instid0(VALU_DEP_1) | instskip(NEXT) | instid1(VALU_DEP_1)
	v_sub_nc_u32_e32 v7, v7, v8
	v_cmp_lt_u32_e32 vcc_lo, s20, v7
	v_cmpx_ge_u32_e64 s20, v7
	s_cbranch_execz .LBB151_106
; %bb.105:
	v_add_nc_u32_e32 v7, s22, v14
	v_add_nc_u32_e32 v8, s38, v14
	s_delay_alu instid0(VALU_DEP_2) | instskip(NEXT) | instid1(VALU_DEP_2)
	v_mul_lo_u32 v7, v7, s21
	v_mul_lo_u32 v8, v8, s23
	s_delay_alu instid0(VALU_DEP_1) | instskip(NEXT) | instid1(VALU_DEP_1)
	v_sub_nc_u32_e32 v7, v7, v8
	v_cmp_lt_u32_e64 s0, s39, v7
	s_and_b32 s3, s0, exec_lo
.LBB151_106:
	s_wait_alu 0xfffe
	s_or_b32 exec_lo, exec_lo, s4
	v_lshrrev_b32_e32 v7, 8, v6
	s_wait_alu 0xfffd
	v_cndmask_b32_e64 v8, 0, 1, vcc_lo
	v_lshrrev_b32_e32 v9, 16, v6
	v_and_b32_e32 v6, 0xff, v6
	v_cndmask_b32_e64 v50, 0, 1, s3
	v_lshlrev_b16 v7, 8, v7
	v_lshlrev_b16 v8, 8, v8
	v_and_b32_e32 v9, 0xff, v9
	s_delay_alu instid0(VALU_DEP_3) | instskip(NEXT) | instid1(VALU_DEP_2)
	v_or_b32_e32 v6, v6, v7
	v_or_b32_e32 v7, v9, v8
	s_delay_alu instid0(VALU_DEP_2) | instskip(NEXT) | instid1(VALU_DEP_2)
	v_and_b32_e32 v6, 0xffff, v6
	v_lshlrev_b32_e32 v7, 16, v7
	s_delay_alu instid0(VALU_DEP_1)
	v_or_b32_e32 v52, v6, v7
.LBB151_107:
	s_wait_alu 0xfffe
	s_or_b32 exec_lo, exec_lo, s1
	v_add_nc_u32_e32 v8, 12, v46
	v_lshrrev_b32_e32 v6, 8, v5
	v_lshrrev_b32_e32 v7, 16, v5
	;; [unrolled: 1-line block ×3, first 2 shown]
	s_mov_b32 s0, exec_lo
                                        ; implicit-def: $vgpr54
	v_cmpx_le_u32_e64 s27, v8
	s_wait_alu 0xfffe
	s_xor_b32 s0, exec_lo, s0
	s_cbranch_execz .LBB151_109
; %bb.108:
	v_lshlrev_b16 v5, 8, v5
	v_and_b32_e32 v7, 0xff, v7
	v_lshlrev_b16 v6, 8, v6
	s_delay_alu instid0(VALU_DEP_2) | instskip(NEXT) | instid1(VALU_DEP_2)
	v_or_b32_e32 v5, v7, v5
	v_and_b32_e32 v6, 0xffff, v6
                                        ; implicit-def: $vgpr7
	s_delay_alu instid0(VALU_DEP_2) | instskip(NEXT) | instid1(VALU_DEP_1)
	v_lshlrev_b32_e32 v5, 16, v5
	v_or_b32_e32 v54, v6, v5
                                        ; implicit-def: $vgpr5
                                        ; implicit-def: $vgpr6
.LBB151_109:
	s_wait_alu 0xfffe
	s_or_saveexec_b32 s1, s0
	v_mov_b32_e32 v53, 0
	s_wait_alu 0xfffe
	s_xor_b32 exec_lo, exec_lo, s1
	s_cbranch_execz .LBB151_113
; %bb.110:
	v_add_nc_u32_e32 v8, s17, v45
	v_add_nc_u32_e32 v9, s19, v45
	s_mov_b32 s3, 0
	s_mov_b32 s4, exec_lo
	s_delay_alu instid0(VALU_DEP_2) | instskip(NEXT) | instid1(VALU_DEP_2)
	v_mul_lo_u32 v8, v8, s16
	v_mul_lo_u32 v9, v9, s18
	s_delay_alu instid0(VALU_DEP_1) | instskip(NEXT) | instid1(VALU_DEP_1)
	v_sub_nc_u32_e32 v8, v8, v9
	v_cmp_lt_u32_e32 vcc_lo, s20, v8
	v_cmpx_ge_u32_e64 s20, v8
	s_cbranch_execz .LBB151_112
; %bb.111:
	v_add_nc_u32_e32 v8, s22, v45
	v_add_nc_u32_e32 v9, s38, v45
	s_delay_alu instid0(VALU_DEP_2) | instskip(NEXT) | instid1(VALU_DEP_2)
	v_mul_lo_u32 v8, v8, s21
	v_mul_lo_u32 v9, v9, s23
	s_delay_alu instid0(VALU_DEP_1) | instskip(NEXT) | instid1(VALU_DEP_1)
	v_sub_nc_u32_e32 v8, v8, v9
	v_cmp_lt_u32_e64 s0, s39, v8
	s_and_b32 s3, s0, exec_lo
.LBB151_112:
	s_wait_alu 0xfffe
	s_or_b32 exec_lo, exec_lo, s4
	s_wait_alu 0xfffd
	v_cndmask_b32_e64 v8, 0, 1, vcc_lo
	v_lshlrev_b16 v5, 8, v5
	v_and_b32_e32 v7, 0xff, v7
	v_lshlrev_b16 v6, 8, v6
	v_cndmask_b32_e64 v53, 0, 1, s3
	s_delay_alu instid0(VALU_DEP_3) | instskip(NEXT) | instid1(VALU_DEP_3)
	v_or_b32_e32 v5, v7, v5
	v_or_b32_e32 v6, v8, v6
	s_delay_alu instid0(VALU_DEP_2) | instskip(NEXT) | instid1(VALU_DEP_2)
	v_lshlrev_b32_e32 v5, 16, v5
	v_and_b32_e32 v6, 0xffff, v6
	s_delay_alu instid0(VALU_DEP_1)
	v_or_b32_e32 v54, v6, v5
.LBB151_113:
	s_or_b32 exec_lo, exec_lo, s1
.LBB151_114:
	v_and_b32_e32 v77, 0xff, v47
	s_delay_alu instid0(VALU_DEP_2)
	v_bfe_u32 v78, v54, 8, 8
	v_bfe_u32 v74, v47, 8, 8
	;; [unrolled: 1-line block ×4, first 2 shown]
	v_lshrrev_b32_e32 v60, 24, v54
	v_lshrrev_b32_e32 v59, 24, v47
	v_and_b32_e32 v73, 0xff, v48
	v_and_b32_e32 v71, 0xff, v49
	v_bfe_u32 v72, v48, 8, 8
	v_add3_u32 v5, v74, v77, v76
	v_add3_u32 v6, v75, v78, v60
	v_bfe_u32 v69, v49, 8, 8
	v_bfe_u32 v70, v48, 16, 8
	;; [unrolled: 1-line block ×3, first 2 shown]
	v_lshrrev_b32_e32 v58, 24, v48
	v_add3_u32 v5, v5, v59, v71
	v_add3_u32 v6, v6, v73, v72
	v_lshrrev_b32_e32 v57, 24, v49
	v_and_b32_e32 v68, 0xff, v51
	v_and_b32_e32 v66, 0xff, v52
	v_bfe_u32 v67, v51, 8, 8
	v_add3_u32 v5, v5, v69, v65
	v_add3_u32 v6, v6, v70, v58
	v_bfe_u32 v63, v52, 8, 8
	v_bfe_u32 v64, v51, 16, 8
	;; [unrolled: 1-line block ×3, first 2 shown]
	v_lshrrev_b32_e32 v56, 24, v51
	v_add3_u32 v5, v5, v57, v66
	v_add3_u32 v6, v6, v68, v67
	v_mbcnt_lo_u32_b32 v79, -1, 0
	v_lshrrev_b32_e32 v55, 24, v52
	v_and_b32_e32 v61, 0xff, v50
	v_and_b32_e32 v7, 0xff, v54
	;; [unrolled: 1-line block ×3, first 2 shown]
	v_add3_u32 v5, v5, v63, v62
	v_add3_u32 v6, v6, v64, v56
	v_and_b32_e32 v81, 15, v79
	v_and_b32_e32 v83, 16, v79
	v_lshrrev_b32_e32 v80, 5, v0
	v_add3_u32 v84, v5, v55, v7
	v_add3_u32 v85, v6, v61, v8
	v_cmp_eq_u32_e64 s1, 0, v81
	v_cmp_lt_u32_e64 s0, 1, v81
	v_cmp_lt_u32_e64 s3, 3, v81
	v_or_b32_e32 v82, 31, v0
	s_cmp_lg_u32 s33, 0
	s_mov_b32 s4, -1
	v_cmp_lt_u32_e32 vcc_lo, 7, v81
	s_cbranch_scc0 .LBB151_135
; %bb.115:
	v_mov_b32_dpp v6, v84 row_shr:1 row_mask:0xf bank_mask:0xf
	v_mov_b32_dpp v5, v85 row_shr:1 row_mask:0xf bank_mask:0xf
	s_mov_b32 s4, exec_lo
	s_delay_alu instid0(VALU_DEP_2) | instskip(SKIP_1) | instid1(VALU_DEP_1)
	v_add_nc_u32_e32 v6, v6, v84
	s_wait_alu 0xf1ff
	v_cndmask_b32_e64 v6, v6, v84, s1
	s_delay_alu instid0(VALU_DEP_1) | instskip(NEXT) | instid1(VALU_DEP_1)
	v_mov_b32_dpp v8, v6 row_shr:2 row_mask:0xf bank_mask:0xf
	v_add_nc_u32_e32 v8, v6, v8
	s_delay_alu instid0(VALU_DEP_1) | instskip(NEXT) | instid1(VALU_DEP_1)
	v_cndmask_b32_e64 v6, v6, v8, s0
	v_mov_b32_dpp v8, v6 row_shr:4 row_mask:0xf bank_mask:0xf
	s_delay_alu instid0(VALU_DEP_1) | instskip(NEXT) | instid1(VALU_DEP_1)
	v_add_nc_u32_e32 v8, v6, v8
	v_cndmask_b32_e64 v6, v6, v8, s3
	s_delay_alu instid0(VALU_DEP_1) | instskip(NEXT) | instid1(VALU_DEP_1)
	v_mov_b32_dpp v8, v6 row_shr:8 row_mask:0xf bank_mask:0xf
	v_add_nc_u32_e32 v8, v6, v8
	s_wait_alu 0xfffd
	s_delay_alu instid0(VALU_DEP_1) | instskip(NEXT) | instid1(VALU_DEP_1)
	v_dual_cndmask_b32 v6, v6, v8 :: v_dual_add_nc_u32 v5, v5, v85
	v_cndmask_b32_e64 v5, v5, v85, s1
	ds_swizzle_b32 v8, v6 offset:swizzle(BROADCAST,32,15)
	v_mov_b32_dpp v7, v5 row_shr:2 row_mask:0xf bank_mask:0xf
	s_delay_alu instid0(VALU_DEP_1) | instskip(NEXT) | instid1(VALU_DEP_1)
	v_add_nc_u32_e32 v7, v5, v7
	v_cndmask_b32_e64 v5, v5, v7, s0
	s_delay_alu instid0(VALU_DEP_1) | instskip(SKIP_2) | instid1(VALU_DEP_2)
	v_mov_b32_dpp v7, v5 row_shr:4 row_mask:0xf bank_mask:0xf
	s_wait_dscnt 0x0
	v_add_nc_u32_e32 v8, v6, v8
	v_add_nc_u32_e32 v7, v5, v7
	s_delay_alu instid0(VALU_DEP_1) | instskip(NEXT) | instid1(VALU_DEP_1)
	v_cndmask_b32_e64 v5, v5, v7, s3
	v_mov_b32_dpp v7, v5 row_shr:8 row_mask:0xf bank_mask:0xf
	s_delay_alu instid0(VALU_DEP_1) | instskip(NEXT) | instid1(VALU_DEP_1)
	v_add_nc_u32_e32 v7, v5, v7
	v_cndmask_b32_e32 v5, v5, v7, vcc_lo
	v_cmp_eq_u32_e32 vcc_lo, 0, v83
	ds_swizzle_b32 v7, v5 offset:swizzle(BROADCAST,32,15)
	s_wait_dscnt 0x0
	v_add_nc_u32_e32 v7, v5, v7
	v_cmpx_eq_u32_e64 v0, v82
; %bb.116:
	s_wait_alu 0xfffd
	s_delay_alu instid0(VALU_DEP_2)
	v_dual_cndmask_b32 v10, v7, v5 :: v_dual_lshlrev_b32 v11, 3, v80
	v_cndmask_b32_e32 v9, v8, v6, vcc_lo
	ds_store_b64 v11, v[9:10]
; %bb.117:
	s_wait_alu 0xfffe
	s_or_b32 exec_lo, exec_lo, s4
	s_delay_alu instid0(SALU_CYCLE_1)
	s_mov_b32 s4, exec_lo
	s_wait_loadcnt_dscnt 0x0
	s_barrier_signal -1
	s_barrier_wait -1
	global_inv scope:SCOPE_SE
	v_cmpx_gt_u32_e32 8, v0
	s_cbranch_execz .LBB151_119
; %bb.118:
	v_lshlrev_b32_e32 v11, 3, v0
	v_and_b32_e32 v26, 7, v79
	ds_load_b64 v[9:10], v11
	v_cmp_eq_u32_e64 s3, 0, v26
	s_wait_dscnt 0x0
	v_mov_b32_dpp v12, v9 row_shr:1 row_mask:0xf bank_mask:0xf
	v_mov_b32_dpp v25, v10 row_shr:1 row_mask:0xf bank_mask:0xf
	s_delay_alu instid0(VALU_DEP_2) | instskip(NEXT) | instid1(VALU_DEP_2)
	v_add_nc_u32_e32 v12, v12, v9
	v_add_nc_u32_e32 v25, v25, v10
	s_wait_alu 0xf1ff
	s_delay_alu instid0(VALU_DEP_2) | instskip(NEXT) | instid1(VALU_DEP_2)
	v_cndmask_b32_e64 v9, v12, v9, s3
	v_cndmask_b32_e64 v10, v25, v10, s3
	v_cmp_lt_u32_e64 s3, 1, v26
	s_delay_alu instid0(VALU_DEP_3) | instskip(NEXT) | instid1(VALU_DEP_3)
	v_mov_b32_dpp v12, v9 row_shr:2 row_mask:0xf bank_mask:0xf
	v_mov_b32_dpp v25, v10 row_shr:2 row_mask:0xf bank_mask:0xf
	s_delay_alu instid0(VALU_DEP_2) | instskip(NEXT) | instid1(VALU_DEP_2)
	v_add_nc_u32_e32 v12, v9, v12
	v_add_nc_u32_e32 v25, v10, v25
	s_wait_alu 0xf1ff
	s_delay_alu instid0(VALU_DEP_2) | instskip(NEXT) | instid1(VALU_DEP_2)
	v_cndmask_b32_e64 v9, v9, v12, s3
	v_cndmask_b32_e64 v10, v10, v25, s3
	v_cmp_lt_u32_e64 s3, 3, v26
	s_delay_alu instid0(VALU_DEP_3) | instskip(NEXT) | instid1(VALU_DEP_3)
	v_mov_b32_dpp v12, v9 row_shr:4 row_mask:0xf bank_mask:0xf
	v_mov_b32_dpp v25, v10 row_shr:4 row_mask:0xf bank_mask:0xf
	s_wait_alu 0xf1ff
	s_delay_alu instid0(VALU_DEP_2) | instskip(NEXT) | instid1(VALU_DEP_2)
	v_cndmask_b32_e64 v12, 0, v12, s3
	v_cndmask_b32_e64 v25, 0, v25, s3
	s_delay_alu instid0(VALU_DEP_2) | instskip(NEXT) | instid1(VALU_DEP_2)
	v_add_nc_u32_e32 v9, v12, v9
	v_add_nc_u32_e32 v10, v25, v10
	ds_store_b64 v11, v[9:10]
.LBB151_119:
	s_wait_alu 0xfffe
	s_or_b32 exec_lo, exec_lo, s4
	v_dual_cndmask_b32 v5, v7, v5 :: v_dual_cndmask_b32 v6, v8, v6
	s_mov_b32 s4, exec_lo
	v_cmp_gt_u32_e32 vcc_lo, 32, v0
	s_wait_loadcnt_dscnt 0x0
	s_barrier_signal -1
	s_barrier_wait -1
	global_inv scope:SCOPE_SE
                                        ; implicit-def: $vgpr25
	v_cmpx_lt_u32_e32 31, v0
	s_cbranch_execz .LBB151_121
; %bb.120:
	v_lshl_add_u32 v7, v80, 3, -8
	ds_load_b64 v[25:26], v7
	s_wait_dscnt 0x0
	v_add_nc_u32_e32 v5, v26, v5
	v_add_nc_u32_e32 v6, v25, v6
.LBB151_121:
	s_wait_alu 0xfffe
	s_or_b32 exec_lo, exec_lo, s4
	v_sub_co_u32 v7, s3, v79, 1
	s_delay_alu instid0(VALU_DEP_1) | instskip(SKIP_1) | instid1(VALU_DEP_1)
	v_cmp_gt_i32_e64 s4, 0, v7
	s_wait_alu 0xf1ff
	v_cndmask_b32_e64 v7, v7, v79, s4
	s_delay_alu instid0(VALU_DEP_1)
	v_lshlrev_b32_e32 v7, 2, v7
	ds_bpermute_b32 v86, v7, v6
	ds_bpermute_b32 v87, v7, v5
	s_and_saveexec_b32 s4, vcc_lo
	s_cbranch_execz .LBB151_140
; %bb.122:
	v_mov_b32_e32 v8, 0
	ds_load_b64 v[5:6], v8 offset:56
	s_and_saveexec_b32 s5, s3
	s_cbranch_execz .LBB151_124
; %bb.123:
	s_add_co_i32 s6, s33, 32
	s_mov_b32 s7, 0
	s_wait_alu 0xfffe
	s_lshl_b64 s[6:7], s[6:7], 4
	s_wait_alu 0xfffe
	s_add_nc_u64 s[6:7], s[36:37], s[6:7]
	s_wait_alu 0xfffe
	v_dual_mov_b32 v7, 1 :: v_dual_mov_b32 v10, s7
	v_mov_b32_e32 v9, s6
	s_wait_dscnt 0x0
	;;#ASMSTART
	global_store_b128 v[9:10], v[5:8] off scope:SCOPE_DEV	
s_wait_storecnt 0x0
	;;#ASMEND
.LBB151_124:
	s_wait_alu 0xfffe
	s_or_b32 exec_lo, exec_lo, s5
	v_xad_u32 v27, v79, -1, s33
	s_mov_b32 s6, 0
	s_mov_b32 s5, exec_lo
	s_delay_alu instid0(VALU_DEP_1) | instskip(NEXT) | instid1(VALU_DEP_1)
	v_add_nc_u32_e32 v7, 32, v27
	v_lshlrev_b64_e32 v[7:8], 4, v[7:8]
	s_delay_alu instid0(VALU_DEP_1) | instskip(SKIP_1) | instid1(VALU_DEP_2)
	v_add_co_u32 v7, vcc_lo, s36, v7
	s_wait_alu 0xfffd
	v_add_co_ci_u32_e64 v8, null, s37, v8, vcc_lo
	;;#ASMSTART
	global_load_b128 v[9:12], v[7:8] off scope:SCOPE_DEV	
s_wait_loadcnt 0x0
	;;#ASMEND
	v_and_b32_e32 v12, 0xff, v11
	s_delay_alu instid0(VALU_DEP_1)
	v_cmpx_eq_u16_e32 0, v12
	s_cbranch_execz .LBB151_127
.LBB151_125:                            ; =>This Inner Loop Header: Depth=1
	;;#ASMSTART
	global_load_b128 v[9:12], v[7:8] off scope:SCOPE_DEV	
s_wait_loadcnt 0x0
	;;#ASMEND
	v_and_b32_e32 v12, 0xff, v11
	s_delay_alu instid0(VALU_DEP_1)
	v_cmp_ne_u16_e32 vcc_lo, 0, v12
	s_wait_alu 0xfffe
	s_or_b32 s6, vcc_lo, s6
	s_wait_alu 0xfffe
	s_and_not1_b32 exec_lo, exec_lo, s6
	s_cbranch_execnz .LBB151_125
; %bb.126:
	s_or_b32 exec_lo, exec_lo, s6
.LBB151_127:
	s_wait_alu 0xfffe
	s_or_b32 exec_lo, exec_lo, s5
	v_cmp_ne_u32_e32 vcc_lo, 31, v79
	v_lshlrev_b32_e64 v89, v79, -1
	v_add_nc_u32_e32 v91, 2, v79
	v_add_nc_u32_e32 v93, 4, v79
	;; [unrolled: 1-line block ×3, first 2 shown]
	s_wait_alu 0xfffd
	v_add_co_ci_u32_e64 v7, null, 0, v79, vcc_lo
	v_lshl_or_b32 v96, v79, 2, 64
	v_add_nc_u32_e32 v97, 16, v79
	s_delay_alu instid0(VALU_DEP_3) | instskip(SKIP_4) | instid1(VALU_DEP_1)
	v_lshlrev_b32_e32 v88, 2, v7
	ds_bpermute_b32 v8, v88, v10
	s_wait_dscnt 0x0
	v_add_nc_u32_e32 v8, v8, v10
	v_and_b32_e32 v7, 0xff, v11
	v_cmp_eq_u16_e32 vcc_lo, 2, v7
	ds_bpermute_b32 v7, v88, v9
	s_wait_dscnt 0x0
	v_add_nc_u32_e32 v7, v7, v9
	s_wait_alu 0xfffd
	v_and_b32_e32 v12, vcc_lo, v89
	v_cmp_gt_u32_e32 vcc_lo, 30, v79
	s_delay_alu instid0(VALU_DEP_2) | instskip(SKIP_2) | instid1(VALU_DEP_2)
	v_or_b32_e32 v12, 0x80000000, v12
	s_wait_alu 0xfffd
	v_cndmask_b32_e64 v28, 0, 2, vcc_lo
	v_ctz_i32_b32_e32 v12, v12
	s_delay_alu instid0(VALU_DEP_2) | instskip(NEXT) | instid1(VALU_DEP_2)
	v_add_lshl_u32 v90, v28, v79, 2
	v_cmp_lt_u32_e32 vcc_lo, v79, v12
	s_wait_alu 0xfffd
	v_dual_cndmask_b32 v8, v10, v8 :: v_dual_cndmask_b32 v7, v9, v7
	v_cmp_gt_u32_e32 vcc_lo, 28, v79
	ds_bpermute_b32 v9, v90, v8
	ds_bpermute_b32 v10, v90, v7
	s_wait_alu 0xfffd
	v_cndmask_b32_e64 v28, 0, 4, vcc_lo
	v_cmp_gt_u32_e32 vcc_lo, v91, v12
	s_delay_alu instid0(VALU_DEP_2)
	v_add_lshl_u32 v92, v28, v79, 2
	s_wait_dscnt 0x1
	v_add_nc_u32_e32 v9, v8, v9
	s_wait_dscnt 0x0
	v_add_nc_u32_e32 v10, v7, v10
	s_wait_alu 0xfffd
	s_delay_alu instid0(VALU_DEP_1)
	v_dual_cndmask_b32 v8, v9, v8 :: v_dual_cndmask_b32 v7, v10, v7
	v_cmp_gt_u32_e32 vcc_lo, 24, v79
	ds_bpermute_b32 v9, v92, v8
	ds_bpermute_b32 v10, v92, v7
	s_wait_alu 0xfffd
	v_cndmask_b32_e64 v28, 0, 8, vcc_lo
	v_cmp_gt_u32_e32 vcc_lo, v93, v12
	s_delay_alu instid0(VALU_DEP_2)
	v_add_lshl_u32 v94, v28, v79, 2
	s_wait_dscnt 0x1
	v_dual_mov_b32 v28, 0 :: v_dual_add_nc_u32 v9, v8, v9
	s_wait_dscnt 0x0
	v_add_nc_u32_e32 v10, v7, v10
	s_wait_alu 0xfffd
	s_delay_alu instid0(VALU_DEP_1)
	v_dual_cndmask_b32 v8, v9, v8 :: v_dual_cndmask_b32 v7, v10, v7
	v_cmp_gt_u32_e32 vcc_lo, v95, v12
	ds_bpermute_b32 v9, v94, v8
	ds_bpermute_b32 v10, v94, v7
	s_wait_dscnt 0x1
	v_add_nc_u32_e32 v9, v8, v9
	s_wait_dscnt 0x0
	v_add_nc_u32_e32 v10, v7, v10
	s_wait_alu 0xfffd
	s_delay_alu instid0(VALU_DEP_1)
	v_dual_cndmask_b32 v8, v9, v8 :: v_dual_cndmask_b32 v7, v10, v7
	v_cmp_le_u32_e32 vcc_lo, v97, v12
	ds_bpermute_b32 v10, v96, v8
	ds_bpermute_b32 v9, v96, v7
	s_wait_dscnt 0x0
	s_wait_alu 0xfffd
	v_dual_cndmask_b32 v10, 0, v10 :: v_dual_cndmask_b32 v9, 0, v9
	s_delay_alu instid0(VALU_DEP_1) | instskip(NEXT) | instid1(VALU_DEP_2)
	v_add_nc_u32_e32 v10, v10, v8
	v_add_nc_u32_e32 v9, v9, v7
	s_branch .LBB151_131
.LBB151_128:                            ;   in Loop: Header=BB151_131 Depth=1
	s_or_b32 exec_lo, exec_lo, s6
.LBB151_129:                            ;   in Loop: Header=BB151_131 Depth=1
	s_wait_alu 0xfffe
	s_or_b32 exec_lo, exec_lo, s5
	ds_bpermute_b32 v12, v88, v9
	ds_bpermute_b32 v29, v88, v10
	v_subrev_nc_u32_e32 v27, 32, v27
	s_mov_b32 s5, 0
	s_wait_dscnt 0x1
	v_add_nc_u32_e32 v12, v12, v9
	v_and_b32_e32 v30, 0xff, v11
	s_wait_dscnt 0x0
	v_add_nc_u32_e32 v29, v29, v10
	s_delay_alu instid0(VALU_DEP_2) | instskip(SKIP_2) | instid1(VALU_DEP_1)
	v_cmp_eq_u16_e32 vcc_lo, 2, v30
	s_wait_alu 0xfffd
	v_and_or_b32 v30, vcc_lo, v89, 0x80000000
	v_ctz_i32_b32_e32 v30, v30
	s_delay_alu instid0(VALU_DEP_1)
	v_cmp_lt_u32_e32 vcc_lo, v79, v30
	s_wait_alu 0xfffd
	v_dual_cndmask_b32 v10, v10, v29 :: v_dual_cndmask_b32 v9, v9, v12
	v_cmp_gt_u32_e32 vcc_lo, v91, v30
	ds_bpermute_b32 v29, v90, v10
	ds_bpermute_b32 v12, v90, v9
	s_wait_dscnt 0x1
	v_add_nc_u32_e32 v29, v10, v29
	s_wait_dscnt 0x0
	v_add_nc_u32_e32 v12, v9, v12
	s_wait_alu 0xfffd
	s_delay_alu instid0(VALU_DEP_1)
	v_dual_cndmask_b32 v10, v29, v10 :: v_dual_cndmask_b32 v9, v12, v9
	v_cmp_gt_u32_e32 vcc_lo, v93, v30
	ds_bpermute_b32 v29, v92, v10
	ds_bpermute_b32 v12, v92, v9
	s_wait_dscnt 0x1
	v_add_nc_u32_e32 v29, v10, v29
	s_wait_dscnt 0x0
	v_add_nc_u32_e32 v12, v9, v12
	s_wait_alu 0xfffd
	s_delay_alu instid0(VALU_DEP_1)
	;; [unrolled: 10-line block ×3, first 2 shown]
	v_dual_cndmask_b32 v10, v29, v10 :: v_dual_cndmask_b32 v9, v12, v9
	v_cmp_le_u32_e32 vcc_lo, v97, v30
	ds_bpermute_b32 v29, v96, v10
	ds_bpermute_b32 v12, v96, v9
	s_wait_dscnt 0x0
	s_wait_alu 0xfffd
	v_dual_cndmask_b32 v29, 0, v29 :: v_dual_cndmask_b32 v12, 0, v12
	s_delay_alu instid0(VALU_DEP_1) | instskip(NEXT) | instid1(VALU_DEP_2)
	v_add3_u32 v10, v10, v8, v29
	v_add3_u32 v9, v9, v7, v12
.LBB151_130:                            ;   in Loop: Header=BB151_131 Depth=1
	s_wait_alu 0xfffe
	s_and_b32 vcc_lo, exec_lo, s5
	s_wait_alu 0xfffe
	s_cbranch_vccnz .LBB151_136
.LBB151_131:                            ; =>This Loop Header: Depth=1
                                        ;     Child Loop BB151_134 Depth 2
	v_and_b32_e32 v7, 0xff, v11
	s_mov_b32 s5, -1
                                        ; implicit-def: $vgpr11
	s_delay_alu instid0(VALU_DEP_1)
	v_cmp_ne_u16_e32 vcc_lo, 2, v7
	v_dual_mov_b32 v7, v9 :: v_dual_mov_b32 v8, v10
                                        ; implicit-def: $vgpr9_vgpr10
	s_cmp_lg_u32 vcc_lo, exec_lo
	s_cbranch_scc1 .LBB151_130
; %bb.132:                              ;   in Loop: Header=BB151_131 Depth=1
	v_lshlrev_b64_e32 v[9:10], 4, v[27:28]
	s_mov_b32 s5, exec_lo
	s_delay_alu instid0(VALU_DEP_1) | instskip(SKIP_1) | instid1(VALU_DEP_2)
	v_add_co_u32 v29, vcc_lo, s36, v9
	s_wait_alu 0xfffd
	v_add_co_ci_u32_e64 v30, null, s37, v10, vcc_lo
	;;#ASMSTART
	global_load_b128 v[9:12], v[29:30] off scope:SCOPE_DEV	
s_wait_loadcnt 0x0
	;;#ASMEND
	v_and_b32_e32 v12, 0xff, v11
	s_delay_alu instid0(VALU_DEP_1)
	v_cmpx_eq_u16_e32 0, v12
	s_cbranch_execz .LBB151_129
; %bb.133:                              ;   in Loop: Header=BB151_131 Depth=1
	s_mov_b32 s6, 0
.LBB151_134:                            ;   Parent Loop BB151_131 Depth=1
                                        ; =>  This Inner Loop Header: Depth=2
	;;#ASMSTART
	global_load_b128 v[9:12], v[29:30] off scope:SCOPE_DEV	
s_wait_loadcnt 0x0
	;;#ASMEND
	v_and_b32_e32 v12, 0xff, v11
	s_delay_alu instid0(VALU_DEP_1)
	v_cmp_ne_u16_e32 vcc_lo, 0, v12
	s_wait_alu 0xfffe
	s_or_b32 s6, vcc_lo, s6
	s_wait_alu 0xfffe
	s_and_not1_b32 exec_lo, exec_lo, s6
	s_cbranch_execnz .LBB151_134
	s_branch .LBB151_128
.LBB151_135:
                                        ; implicit-def: $vgpr29
                                        ; implicit-def: $vgpr7
                                        ; implicit-def: $vgpr86
	s_wait_alu 0xfffe
	s_and_b32 vcc_lo, exec_lo, s4
	s_wait_alu 0xfffe
	s_cbranch_vccnz .LBB151_141
	s_branch .LBB151_150
.LBB151_136:
	s_and_saveexec_b32 s5, s3
	s_cbranch_execnz .LBB151_378
; %bb.137:
	s_wait_alu 0xfffe
	s_or_b32 exec_lo, exec_lo, s5
	s_and_saveexec_b32 s5, s3
	s_cbranch_execnz .LBB151_379
.LBB151_138:
	s_wait_alu 0xfffe
	s_or_b32 exec_lo, exec_lo, s5
	s_delay_alu instid0(SALU_CYCLE_1)
	s_and_b32 exec_lo, exec_lo, s2
.LBB151_139:
	v_mov_b32_e32 v5, 0
	ds_store_b64 v5, v[7:8] offset:56
.LBB151_140:
	s_wait_alu 0xfffe
	s_or_b32 exec_lo, exec_lo, s4
	s_wait_dscnt 0x1
	v_cndmask_b32_e64 v12, v86, v25, s3
	v_mov_b32_e32 v5, 0
	s_wait_loadcnt_dscnt 0x0
	s_barrier_signal -1
	s_barrier_wait -1
	global_inv scope:SCOPE_SE
	ds_load_b64 v[9:10], v5 offset:56
	s_wait_loadcnt_dscnt 0x0
	s_barrier_signal -1
	s_barrier_wait -1
	global_inv scope:SCOPE_SE
	v_cndmask_b32_e64 v11, v87, v26, s3
	v_add_nc_u32_e32 v12, v9, v12
	ds_load_b128 v[5:8], v5 offset:13312
	v_add_nc_u32_e32 v11, v10, v11
	v_cndmask_b32_e64 v86, v12, v9, s2
	s_delay_alu instid0(VALU_DEP_2)
	v_cndmask_b32_e64 v29, v11, v10, s2
	s_branch .LBB151_150
.LBB151_141:
	s_wait_dscnt 0x0
	v_mov_b32_dpp v5, v84 row_shr:1 row_mask:0xf bank_mask:0xf
	v_cmp_lt_u32_e32 vcc_lo, 3, v81
	v_mov_b32_dpp v6, v85 row_shr:1 row_mask:0xf bank_mask:0xf
	s_delay_alu instid0(VALU_DEP_3) | instskip(NEXT) | instid1(VALU_DEP_1)
	v_add_nc_u32_e32 v5, v5, v84
	v_cndmask_b32_e64 v5, v5, v84, s1
	s_delay_alu instid0(VALU_DEP_1) | instskip(NEXT) | instid1(VALU_DEP_1)
	v_mov_b32_dpp v7, v5 row_shr:2 row_mask:0xf bank_mask:0xf
	v_add_nc_u32_e32 v7, v5, v7
	s_delay_alu instid0(VALU_DEP_1) | instskip(NEXT) | instid1(VALU_DEP_1)
	v_cndmask_b32_e64 v5, v5, v7, s0
	v_mov_b32_dpp v7, v5 row_shr:4 row_mask:0xf bank_mask:0xf
	s_delay_alu instid0(VALU_DEP_1) | instskip(SKIP_1) | instid1(VALU_DEP_1)
	v_add_nc_u32_e32 v7, v5, v7
	s_wait_alu 0xfffd
	v_dual_cndmask_b32 v7, v5, v7 :: v_dual_add_nc_u32 v6, v6, v85
	s_delay_alu instid0(VALU_DEP_1) | instskip(SKIP_1) | instid1(VALU_DEP_2)
	v_cndmask_b32_e64 v6, v6, v85, s1
	s_mov_b32 s1, exec_lo
	v_mov_b32_dpp v5, v7 row_shr:8 row_mask:0xf bank_mask:0xf
	s_delay_alu instid0(VALU_DEP_2) | instskip(NEXT) | instid1(VALU_DEP_2)
	v_mov_b32_dpp v8, v6 row_shr:2 row_mask:0xf bank_mask:0xf
	v_add_nc_u32_e32 v9, v7, v5
	s_delay_alu instid0(VALU_DEP_2) | instskip(NEXT) | instid1(VALU_DEP_1)
	v_add_nc_u32_e32 v8, v6, v8
	v_cndmask_b32_e64 v6, v6, v8, s0
	s_delay_alu instid0(VALU_DEP_1) | instskip(NEXT) | instid1(VALU_DEP_1)
	v_mov_b32_dpp v8, v6 row_shr:4 row_mask:0xf bank_mask:0xf
	v_add_nc_u32_e32 v8, v6, v8
	s_delay_alu instid0(VALU_DEP_1) | instskip(SKIP_1) | instid1(VALU_DEP_2)
	v_cndmask_b32_e32 v6, v6, v8, vcc_lo
	v_cmp_lt_u32_e32 vcc_lo, 7, v81
	v_mov_b32_dpp v8, v6 row_shr:8 row_mask:0xf bank_mask:0xf
	s_delay_alu instid0(VALU_DEP_1) | instskip(SKIP_1) | instid1(VALU_DEP_1)
	v_add_nc_u32_e32 v5, v6, v8
	s_wait_alu 0xfffd
	v_cndmask_b32_e32 v5, v6, v5, vcc_lo
	v_cndmask_b32_e32 v6, v7, v9, vcc_lo
	v_cmp_eq_u32_e32 vcc_lo, 0, v83
	ds_swizzle_b32 v7, v5 offset:swizzle(BROADCAST,32,15)
	ds_swizzle_b32 v8, v6 offset:swizzle(BROADCAST,32,15)
	s_wait_dscnt 0x1
	v_add_nc_u32_e32 v7, v5, v7
	s_wait_dscnt 0x0
	v_add_nc_u32_e32 v8, v6, v8
	v_cmpx_eq_u32_e64 v0, v82
; %bb.142:
	s_wait_alu 0xfffd
	s_delay_alu instid0(VALU_DEP_2)
	v_dual_cndmask_b32 v9, v8, v6 :: v_dual_cndmask_b32 v10, v7, v5
	v_lshlrev_b32_e32 v11, 3, v80
	ds_store_b64 v11, v[9:10]
; %bb.143:
	s_wait_alu 0xfffe
	s_or_b32 exec_lo, exec_lo, s1
	s_delay_alu instid0(SALU_CYCLE_1)
	s_mov_b32 s1, exec_lo
	s_wait_loadcnt_dscnt 0x0
	s_barrier_signal -1
	s_barrier_wait -1
	global_inv scope:SCOPE_SE
	v_cmpx_gt_u32_e32 8, v0
	s_cbranch_execz .LBB151_145
; %bb.144:
	v_lshlrev_b32_e32 v11, 3, v0
	v_and_b32_e32 v26, 7, v79
	ds_load_b64 v[9:10], v11
	v_cmp_eq_u32_e64 s0, 0, v26
	s_wait_dscnt 0x0
	v_mov_b32_dpp v12, v9 row_shr:1 row_mask:0xf bank_mask:0xf
	v_mov_b32_dpp v25, v10 row_shr:1 row_mask:0xf bank_mask:0xf
	s_delay_alu instid0(VALU_DEP_2) | instskip(NEXT) | instid1(VALU_DEP_2)
	v_add_nc_u32_e32 v12, v12, v9
	v_add_nc_u32_e32 v25, v25, v10
	s_wait_alu 0xf1ff
	s_delay_alu instid0(VALU_DEP_2) | instskip(NEXT) | instid1(VALU_DEP_2)
	v_cndmask_b32_e64 v9, v12, v9, s0
	v_cndmask_b32_e64 v10, v25, v10, s0
	v_cmp_lt_u32_e64 s0, 1, v26
	s_delay_alu instid0(VALU_DEP_3) | instskip(NEXT) | instid1(VALU_DEP_3)
	v_mov_b32_dpp v12, v9 row_shr:2 row_mask:0xf bank_mask:0xf
	v_mov_b32_dpp v25, v10 row_shr:2 row_mask:0xf bank_mask:0xf
	s_delay_alu instid0(VALU_DEP_2) | instskip(NEXT) | instid1(VALU_DEP_2)
	v_add_nc_u32_e32 v12, v9, v12
	v_add_nc_u32_e32 v25, v10, v25
	s_wait_alu 0xf1ff
	s_delay_alu instid0(VALU_DEP_2) | instskip(NEXT) | instid1(VALU_DEP_2)
	v_cndmask_b32_e64 v9, v9, v12, s0
	v_cndmask_b32_e64 v10, v10, v25, s0
	v_cmp_lt_u32_e64 s0, 3, v26
	s_delay_alu instid0(VALU_DEP_3) | instskip(NEXT) | instid1(VALU_DEP_3)
	v_mov_b32_dpp v12, v9 row_shr:4 row_mask:0xf bank_mask:0xf
	v_mov_b32_dpp v25, v10 row_shr:4 row_mask:0xf bank_mask:0xf
	s_wait_alu 0xf1ff
	s_delay_alu instid0(VALU_DEP_2) | instskip(NEXT) | instid1(VALU_DEP_2)
	v_cndmask_b32_e64 v12, 0, v12, s0
	v_cndmask_b32_e64 v25, 0, v25, s0
	s_delay_alu instid0(VALU_DEP_2) | instskip(NEXT) | instid1(VALU_DEP_2)
	v_add_nc_u32_e32 v9, v12, v9
	v_add_nc_u32_e32 v10, v25, v10
	ds_store_b64 v11, v[9:10]
.LBB151_145:
	s_wait_alu 0xfffe
	s_or_b32 exec_lo, exec_lo, s1
	v_dual_mov_b32 v11, 0 :: v_dual_mov_b32 v10, 0
	v_mov_b32_e32 v9, 0
	s_mov_b32 s1, exec_lo
	s_wait_loadcnt_dscnt 0x0
	s_barrier_signal -1
	s_barrier_wait -1
	global_inv scope:SCOPE_SE
	v_cmpx_lt_u32_e32 31, v0
; %bb.146:
	v_lshl_add_u32 v9, v80, 3, -8
	ds_load_b64 v[9:10], v9
; %bb.147:
	s_wait_alu 0xfffe
	s_or_b32 exec_lo, exec_lo, s1
	v_sub_co_u32 v12, s0, v79, 1
	v_dual_cndmask_b32 v6, v8, v6 :: v_dual_cndmask_b32 v5, v7, v5
	s_delay_alu instid0(VALU_DEP_2) | instskip(SKIP_1) | instid1(VALU_DEP_2)
	v_cmp_gt_i32_e64 s1, 0, v12
	s_wait_dscnt 0x0
	v_add_nc_u32_e32 v6, v9, v6
	s_delay_alu instid0(VALU_DEP_3) | instskip(SKIP_2) | instid1(VALU_DEP_1)
	v_add_nc_u32_e32 v5, v10, v5
	s_wait_alu 0xf1ff
	v_cndmask_b32_e64 v8, v12, v79, s1
	v_lshlrev_b32_e32 v7, 2, v8
	ds_bpermute_b32 v12, v7, v6
	ds_bpermute_b32 v25, v7, v5
	ds_load_b64 v[5:6], v11 offset:56
	s_and_saveexec_b32 s1, s2
	s_cbranch_execz .LBB151_149
; %bb.148:
	s_add_nc_u64 s[4:5], s[36:37], 0x200
	v_dual_mov_b32 v7, 2 :: v_dual_mov_b32 v8, 0
	s_wait_alu 0xfffe
	v_dual_mov_b32 v27, s5 :: v_dual_mov_b32 v26, s4
	s_wait_dscnt 0x0
	;;#ASMSTART
	global_store_b128 v[26:27], v[5:8] off scope:SCOPE_DEV	
s_wait_storecnt 0x0
	;;#ASMEND
.LBB151_149:
	s_wait_alu 0xfffe
	s_or_b32 exec_lo, exec_lo, s1
	s_wait_dscnt 0x1
	v_cndmask_b32_e64 v7, v25, v10, s0
	v_cndmask_b32_e64 v9, v12, v9, s0
	v_mov_b32_e32 v8, 0
	s_wait_loadcnt_dscnt 0x0
	s_barrier_signal -1
	v_cndmask_b32_e64 v29, v7, 0, s2
	v_cndmask_b32_e64 v86, v9, 0, s2
	v_mov_b32_e32 v7, 0
	s_barrier_wait -1
	global_inv scope:SCOPE_SE
.LBB151_150:
	v_lshrrev_b32_e32 v81, 8, v54
	s_wait_dscnt 0x0
	v_add_co_u32 v1, vcc_lo, v1, v7
	s_wait_alu 0xfffd
	v_add_co_ci_u32_e64 v2, null, 0, v2, vcc_lo
	v_and_b32_e32 v81, 1, v81
	v_sub_co_u32 v84, vcc_lo, v3, v5
	s_wait_alu 0xfffd
	v_subrev_co_ci_u32_e64 v85, null, 0, v4, vcc_lo
	s_delay_alu instid0(VALU_DEP_3)
	v_cmp_eq_u32_e32 vcc_lo, 1, v81
	v_add_nc_u32_e32 v78, v29, v78
	v_sub_nc_u32_e32 v29, v29, v8
	v_lshlrev_b32_e32 v87, 1, v5
	v_lshrrev_b32_e32 v79, 16, v54
	v_lshrrev_b32_e32 v80, 8, v47
	v_add_nc_u32_e32 v75, v78, v75
	v_sub_nc_u32_e32 v78, v78, v8
	v_add_nc_u32_e32 v29, v29, v5
	v_add3_u32 v90, v87, v6, v46
	v_and_b32_e32 v79, 1, v79
	v_lshrrev_b32_e32 v30, 16, v47
	v_add_nc_u32_e32 v78, v78, v5
	v_add_nc_u32_e32 v77, v86, v77
	v_sub_nc_u32_e32 v86, v86, v7
	v_and_b32_e32 v47, 1, v47
	v_and_b32_e32 v80, 1, v80
	;; [unrolled: 1-line block ×3, first 2 shown]
	v_add_nc_u32_e32 v74, v77, v74
	v_sub_nc_u32_e32 v77, v77, v7
	v_add_nc_u32_e32 v46, v86, v29
	v_lshrrev_b32_e32 v28, 8, v48
	v_lshrrev_b32_e32 v27, 16, v48
	v_and_b32_e32 v48, 1, v48
	v_add_nc_u32_e32 v91, v78, v77
	v_sub_nc_u32_e32 v46, v90, v46
	v_and_b32_e32 v28, 1, v28
	v_lshrrev_b32_e32 v25, 16, v49
	v_lshrrev_b32_e32 v26, 8, v49
	v_sub_nc_u32_e32 v91, v90, v91
	s_wait_alu 0xfffd
	v_cndmask_b32_e32 v29, v46, v29, vcc_lo
	v_cmp_eq_u32_e32 vcc_lo, 1, v79
	v_lshrrev_b32_e32 v12, 8, v51
	v_and_b32_e32 v26, 1, v26
	v_add_nc_u32_e32 v91, 1, v91
	v_lshrrev_b32_e32 v10, 16, v51
	v_lshrrev_b32_e32 v11, 8, v52
	v_and_b32_e32 v12, 1, v12
	v_lshrrev_b32_e32 v9, 16, v52
	s_wait_alu 0xfffd
	v_cndmask_b32_e32 v46, v91, v78, vcc_lo
	v_cmp_eq_u32_e32 vcc_lo, 1, v47
	v_add_nc_u32_e32 v82, v75, v60
	v_sub_nc_u32_e32 v75, v75, v8
	v_and_b32_e32 v60, 1, v60
	v_and_b32_e32 v10, 1, v10
	s_wait_alu 0xfffd
	v_cndmask_b32_e32 v29, v29, v86, vcc_lo
	v_cmp_eq_u32_e32 vcc_lo, 1, v80
	v_add_nc_u32_e32 v75, v75, v5
	v_sub_nc_u32_e32 v80, v82, v8
	v_and_b32_e32 v11, 1, v11
	v_lshlrev_b32_e32 v29, 2, v29
	s_wait_alu 0xfffd
	v_cndmask_b32_e32 v77, v46, v77, vcc_lo
	v_add_nc_u32_e32 v76, v74, v76
	v_sub_nc_u32_e32 v74, v74, v7
	v_add_co_u32 v46, vcc_lo, v84, v8
	s_wait_alu 0xfffd
	v_add_co_ci_u32_e64 v47, null, 0, v85, vcc_lo
	s_delay_alu instid0(VALU_DEP_3)
	v_add_nc_u32_e32 v79, v75, v74
	v_cmp_eq_u32_e32 vcc_lo, 1, v60
	v_add_nc_u32_e32 v83, v76, v59
	v_lshlrev_b32_e32 v77, 2, v77
	ds_store_b32 v29, v23
	ds_store_b32 v77, v24
	v_sub_nc_u32_e32 v79, v90, v79
	v_and_b32_e32 v9, 1, v9
	s_delay_alu instid0(VALU_DEP_2) | instskip(SKIP_1) | instid1(VALU_DEP_1)
	v_add_nc_u32_e32 v79, 2, v79
	s_wait_alu 0xfffd
	v_dual_cndmask_b32 v60, v79, v75 :: v_dual_add_nc_u32 v73, v82, v73
	s_delay_alu instid0(VALU_DEP_1)
	v_add_nc_u32_e32 v72, v73, v72
	v_sub_nc_u32_e32 v75, v76, v7
	v_sub_nc_u32_e32 v73, v73, v8
	v_add_nc_u32_e32 v76, v80, v5
	v_cmp_eq_u32_e32 vcc_lo, 1, v30
	s_wait_alu 0xfffd
	s_delay_alu instid0(VALU_DEP_3)
	v_dual_cndmask_b32 v30, v60, v74 :: v_dual_add_nc_u32 v73, v73, v5
	v_sub_nc_u32_e32 v60, v83, v7
	v_add_nc_u32_e32 v74, v75, v76
	v_cmp_eq_u32_e32 vcc_lo, 1, v48
	v_and_b32_e32 v48, 1, v49
	v_lshlrev_b32_e32 v23, 2, v30
	v_add_nc_u32_e32 v24, v60, v73
	v_sub_nc_u32_e32 v29, v90, v74
	v_and_b32_e32 v30, 1, v59
	v_sub_nc_u32_e32 v59, v72, v8
	ds_store_b32 v23, v21
	v_sub_nc_u32_e32 v24, v90, v24
	v_add_nc_u32_e32 v29, 3, v29
	v_and_b32_e32 v23, 1, v27
	v_add_nc_u32_e32 v59, v59, v5
	s_delay_alu instid0(VALU_DEP_4)
	v_add_nc_u32_e32 v24, 4, v24
	s_wait_alu 0xfffd
	v_cndmask_b32_e32 v29, v29, v76, vcc_lo
	v_cmp_eq_u32_e32 vcc_lo, 1, v28
	s_wait_alu 0xfffd
	v_dual_cndmask_b32 v24, v24, v73 :: v_dual_add_nc_u32 v71, v83, v71
	s_delay_alu instid0(VALU_DEP_1) | instskip(SKIP_2) | instid1(VALU_DEP_3)
	v_add_nc_u32_e32 v69, v71, v69
	v_sub_nc_u32_e32 v71, v71, v7
	v_cmp_eq_u32_e32 vcc_lo, 1, v30
	v_add_nc_u32_e32 v65, v69, v65
	s_delay_alu instid0(VALU_DEP_3)
	v_add_nc_u32_e32 v49, v71, v59
	s_wait_alu 0xfffd
	v_cndmask_b32_e32 v28, v29, v75, vcc_lo
	v_cmp_eq_u32_e32 vcc_lo, 1, v48
	v_add_nc_u32_e32 v89, v65, v57
	v_sub_nc_u32_e32 v29, v90, v49
	s_delay_alu instid0(VALU_DEP_4)
	v_lshlrev_b32_e32 v21, 2, v28
	s_wait_alu 0xfffd
	v_cndmask_b32_e32 v24, v24, v60, vcc_lo
	v_cmp_eq_u32_e32 vcc_lo, 1, v23
	v_sub_nc_u32_e32 v48, v89, v7
	v_add_nc_u32_e32 v27, 5, v29
	v_add_nc_u32_e32 v66, v89, v66
	v_lshlrev_b32_e32 v24, 2, v24
	ds_store_b32 v21, v22
	ds_store_b32 v24, v19
	s_wait_alu 0xfffd
	v_cndmask_b32_e32 v23, v27, v59, vcc_lo
	v_cmp_eq_u32_e32 vcc_lo, 1, v26
	v_sub_nc_u32_e32 v27, v69, v7
	v_sub_nc_u32_e32 v26, v65, v7
	v_and_b32_e32 v24, 1, v58
	v_add_nc_u32_e32 v63, v66, v63
	s_wait_alu 0xfffd
	v_dual_cndmask_b32 v23, v23, v71 :: v_dual_add_nc_u32 v70, v72, v70
	s_delay_alu instid0(VALU_DEP_3) | instskip(SKIP_1) | instid1(VALU_DEP_3)
	v_cmp_eq_u32_e32 vcc_lo, 1, v24
	v_and_b32_e32 v24, 1, v57
	v_lshlrev_b32_e32 v19, 2, v23
	s_delay_alu instid0(VALU_DEP_4) | instskip(SKIP_3) | instid1(VALU_DEP_4)
	v_add_nc_u32_e32 v88, v70, v58
	v_sub_nc_u32_e32 v28, v70, v8
	v_and_b32_e32 v23, 1, v25
	v_add_nc_u32_e32 v62, v63, v62
	v_sub_nc_u32_e32 v29, v88, v8
	s_delay_alu instid0(VALU_DEP_4) | instskip(SKIP_1) | instid1(VALU_DEP_4)
	v_add_nc_u32_e32 v28, v28, v5
	v_add_nc_u32_e32 v68, v88, v68
	;; [unrolled: 1-line block ×3, first 2 shown]
	s_delay_alu instid0(VALU_DEP_4) | instskip(NEXT) | instid1(VALU_DEP_4)
	v_add_nc_u32_e32 v29, v29, v5
	v_add_nc_u32_e32 v30, v27, v28
	s_delay_alu instid0(VALU_DEP_4) | instskip(SKIP_1) | instid1(VALU_DEP_4)
	v_sub_nc_u32_e32 v25, v68, v8
	v_add_nc_u32_e32 v67, v68, v67
	v_add_nc_u32_e32 v21, v26, v29
	s_delay_alu instid0(VALU_DEP_4)
	v_sub_nc_u32_e32 v22, v90, v30
	v_and_b32_e32 v30, 1, v51
	v_add_nc_u32_e32 v25, v25, v5
	v_add_nc_u32_e32 v64, v67, v64
	v_sub_nc_u32_e32 v21, v90, v21
	v_add_nc_u32_e32 v22, 6, v22
	s_delay_alu instid0(VALU_DEP_3) | instskip(SKIP_1) | instid1(VALU_DEP_2)
	v_add_nc_u32_e32 v92, v64, v56
	s_wait_alu 0xfffd
	v_dual_cndmask_b32 v22, v22, v28 :: v_dual_add_nc_u32 v21, 7, v21
	v_cmp_eq_u32_e32 vcc_lo, 1, v30
	v_add_nc_u32_e32 v28, v48, v25
	v_add_nc_u32_e32 v61, v92, v61
	s_wait_alu 0xfffd
	v_cndmask_b32_e32 v21, v21, v29, vcc_lo
	v_cmp_eq_u32_e32 vcc_lo, 1, v23
	v_sub_nc_u32_e32 v23, v90, v28
	s_wait_alu 0xfffd
	v_cndmask_b32_e32 v22, v22, v27, vcc_lo
	v_cmp_eq_u32_e32 vcc_lo, 1, v24
	v_sub_nc_u32_e32 v24, v67, v8
	v_add_nc_u32_e32 v23, 8, v23
	v_sub_nc_u32_e32 v27, v66, v7
	v_lshlrev_b32_e32 v22, 2, v22
	s_wait_alu 0xfffd
	v_dual_cndmask_b32 v21, v21, v26 :: v_dual_add_nc_u32 v24, v24, v5
	v_cmp_eq_u32_e32 vcc_lo, 1, v12
	v_and_b32_e32 v26, 1, v52
	s_delay_alu instid0(VALU_DEP_3)
	v_lshlrev_b32_e32 v21, 2, v21
	ds_store_b32 v19, v20
	ds_store_b32 v22, v17
	;; [unrolled: 1-line block ×3, first 2 shown]
	s_wait_alu 0xfffd
	v_cndmask_b32_e32 v12, v23, v25, vcc_lo
	v_add_nc_u32_e32 v23, v27, v24
	v_cmp_eq_u32_e32 vcc_lo, 1, v26
	v_sub_nc_u32_e32 v18, v64, v8
	v_sub_nc_u32_e32 v19, v63, v7
	;; [unrolled: 1-line block ×4, first 2 shown]
	s_wait_alu 0xfffd
	v_cndmask_b32_e32 v12, v12, v48, vcc_lo
	v_add_nc_u32_e32 v18, v18, v5
	v_cmp_eq_u32_e32 vcc_lo, 1, v10
	v_add_nc_u32_e32 v20, v20, v5
	v_add_nc_u32_e32 v17, 9, v17
	v_lshlrev_b32_e32 v12, 2, v12
	v_add_nc_u32_e32 v21, v19, v18
	v_and_b32_e32 v22, 1, v50
	s_wait_alu 0xfffd
	v_cndmask_b32_e32 v10, v17, v24, vcc_lo
	v_sub_nc_u32_e32 v17, v62, v7
	ds_store_b32 v12, v15
	v_cmp_eq_u32_e32 vcc_lo, 1, v11
	v_sub_nc_u32_e32 v12, v90, v21
	v_and_b32_e32 v15, 1, v56
	v_add_nc_u32_e32 v11, v17, v20
	v_sub_nc_u32_e32 v21, v61, v8
	s_wait_alu 0xfffd
	v_cndmask_b32_e32 v10, v10, v27, vcc_lo
	v_add_nc_u32_e32 v12, 10, v12
	v_cmp_eq_u32_e32 vcc_lo, 1, v15
	v_sub_nc_u32_e32 v11, v90, v11
	v_sub_nc_u32_e32 v7, v78, v7
	v_add_nc_u32_e32 v21, v21, v5
	s_wait_alu 0xfffd
	v_dual_cndmask_b32 v12, v12, v18 :: v_dual_and_b32 v15, 1, v55
	v_add_nc_u32_e32 v11, 11, v11
	v_cmp_eq_u32_e32 vcc_lo, 1, v22
	v_add_nc_u32_e32 v18, v7, v21
	s_wait_alu 0xfffd
	s_delay_alu instid0(VALU_DEP_3)
	v_dual_cndmask_b32 v11, v11, v20 :: v_dual_lshlrev_b32 v10, 2, v10
	v_cmp_eq_u32_e32 vcc_lo, 1, v9
	s_wait_alu 0xfffd
	v_cndmask_b32_e32 v9, v12, v19, vcc_lo
	v_cmp_eq_u32_e32 vcc_lo, 1, v15
	v_sub_nc_u32_e32 v12, v90, v18
	v_and_b32_e32 v15, 1, v53
	s_delay_alu instid0(VALU_DEP_4) | instskip(SKIP_1) | instid1(VALU_DEP_3)
	v_lshlrev_b32_e32 v9, 2, v9
	s_wait_alu 0xfffd
	v_dual_cndmask_b32 v11, v11, v17 :: v_dual_add_nc_u32 v12, 12, v12
	v_and_b32_e32 v17, 1, v54
	v_cmp_eq_u32_e32 vcc_lo, 1, v15
	s_delay_alu instid0(VALU_DEP_3)
	v_lshlrev_b32_e32 v11, 2, v11
	ds_store_b32 v10, v16
	ds_store_b32 v9, v13
	;; [unrolled: 1-line block ×3, first 2 shown]
	s_wait_alu 0xfffd
	v_cndmask_b32_e32 v12, v12, v21, vcc_lo
	v_cmp_eq_u32_e32 vcc_lo, 1, v17
	v_add_co_u32 v9, s0, v6, v87
	s_wait_alu 0xf1ff
	v_add_co_ci_u32_e64 v10, null, 0, 0, s0
	s_wait_alu 0xfffd
	v_cndmask_b32_e32 v7, v12, v7, vcc_lo
	v_add_co_u32 v9, vcc_lo, v9, v46
	s_wait_alu 0xfffd
	v_add_co_ci_u32_e64 v10, null, v10, v47, vcc_lo
	s_delay_alu instid0(VALU_DEP_3)
	v_lshlrev_b32_e32 v7, 2, v7
	v_add_co_u32 v11, s0, s34, v43
	v_add_co_u32 v9, vcc_lo, v9, v1
	s_wait_alu 0xf1ff
	v_add_co_ci_u32_e64 v12, null, s35, 0, s0
	s_wait_alu 0xfffd
	v_add_co_ci_u32_e64 v10, null, v10, v2, vcc_lo
	ds_store_b32 v7, v45
	v_sub_co_u32 v7, vcc_lo, v11, v9
	s_wait_alu 0xfffd
	v_sub_co_ci_u32_e64 v13, null, v12, v10, vcc_lo
	v_lshlrev_b64_e32 v[9:10], 2, v[46:47]
	v_lshlrev_b64_e32 v[11:12], 2, v[1:2]
	v_add_nc_u32_e32 v14, v5, v6
	s_wait_loadcnt_dscnt 0x0
	s_barrier_signal -1
	s_barrier_wait -1
	v_add_co_u32 v9, vcc_lo, s30, v9
	s_wait_alu 0xfffd
	v_add_co_ci_u32_e64 v10, null, s31, v10, vcc_lo
	v_cmp_ne_u32_e32 vcc_lo, 1, v44
	v_add_co_u32 v11, s0, s28, v11
	s_wait_alu 0xf1ff
	v_add_co_ci_u32_e64 v12, null, s29, v12, s0
	s_mov_b32 s0, -1
	global_inv scope:SCOPE_SE
	s_cbranch_vccz .LBB151_154
; %bb.151:
	s_wait_alu 0xfffe
	s_and_b32 vcc_lo, exec_lo, s0
	s_wait_alu 0xfffe
	s_cbranch_vccnz .LBB151_259
.LBB151_152:
	s_and_b32 s0, s2, s26
	s_wait_alu 0xfffe
	s_and_saveexec_b32 s1, s0
	s_cbranch_execnz .LBB151_377
.LBB151_153:
	s_nop 0
	s_sendmsg sendmsg(MSG_DEALLOC_VGPRS)
	s_endpgm
.LBB151_154:
	s_mov_b32 s0, exec_lo
	v_cmpx_ge_u32_e64 v0, v5
	s_wait_alu 0xfffe
	s_xor_b32 s0, exec_lo, s0
	s_cbranch_execz .LBB151_160
; %bb.155:
	s_mov_b32 s1, exec_lo
	v_cmpx_ge_u32_e64 v0, v14
	s_wait_alu 0xfffe
	s_xor_b32 s1, exec_lo, s1
	s_cbranch_execz .LBB151_157
; %bb.156:
	v_lshlrev_b32_e32 v15, 2, v0
	ds_load_b32 v17, v15
	v_add_co_u32 v15, vcc_lo, v7, v0
	s_wait_alu 0xfffd
	v_add_co_ci_u32_e64 v16, null, 0, v13, vcc_lo
	s_delay_alu instid0(VALU_DEP_1) | instskip(NEXT) | instid1(VALU_DEP_1)
	v_lshlrev_b64_e32 v[15:16], 2, v[15:16]
	v_sub_co_u32 v15, vcc_lo, s14, v15
	s_wait_alu 0xfffd
	s_delay_alu instid0(VALU_DEP_2)
	v_sub_co_ci_u32_e64 v16, null, s15, v16, vcc_lo
	s_wait_dscnt 0x0
	global_store_b32 v[15:16], v17, off offset:-4
.LBB151_157:
	s_wait_alu 0xfffe
	s_and_not1_saveexec_b32 s1, s1
	s_cbranch_execz .LBB151_159
; %bb.158:
	v_lshlrev_b32_e32 v15, 2, v0
	v_readfirstlane_b32 s4, v9
	v_readfirstlane_b32 s5, v10
	ds_load_b32 v16, v15
	s_wait_dscnt 0x0
	global_store_b32 v15, v16, s[4:5]
.LBB151_159:
	s_wait_alu 0xfffe
	s_or_b32 exec_lo, exec_lo, s1
.LBB151_160:
	s_wait_alu 0xfffe
	s_and_not1_saveexec_b32 s0, s0
	s_cbranch_execz .LBB151_162
; %bb.161:
	v_lshlrev_b32_e32 v15, 2, v0
	v_readfirstlane_b32 s4, v11
	v_readfirstlane_b32 s5, v12
	ds_load_b32 v16, v15
	s_wait_dscnt 0x0
	global_store_b32 v15, v16, s[4:5]
.LBB151_162:
	s_wait_alu 0xfffe
	s_or_b32 exec_lo, exec_lo, s0
	s_delay_alu instid0(SALU_CYCLE_1)
	s_mov_b32 s0, exec_lo
	v_cmpx_ge_u32_e64 v42, v5
	s_wait_alu 0xfffe
	s_xor_b32 s0, exec_lo, s0
	s_cbranch_execz .LBB151_168
; %bb.163:
	s_mov_b32 s1, exec_lo
	v_cmpx_ge_u32_e64 v42, v14
	s_wait_alu 0xfffe
	s_xor_b32 s1, exec_lo, s1
	s_cbranch_execz .LBB151_165
; %bb.164:
	v_lshlrev_b32_e32 v15, 2, v0
	ds_load_b32 v17, v15 offset:1024
	v_add_co_u32 v15, vcc_lo, v7, v0
	s_wait_alu 0xfffd
	v_add_co_ci_u32_e64 v16, null, 0, v13, vcc_lo
	s_delay_alu instid0(VALU_DEP_1) | instskip(NEXT) | instid1(VALU_DEP_1)
	v_lshlrev_b64_e32 v[15:16], 2, v[15:16]
	v_sub_co_u32 v15, vcc_lo, s14, v15
	s_wait_alu 0xfffd
	s_delay_alu instid0(VALU_DEP_2)
	v_sub_co_ci_u32_e64 v16, null, s15, v16, vcc_lo
	s_wait_dscnt 0x0
	global_store_b32 v[15:16], v17, off offset:-1028
.LBB151_165:
	s_wait_alu 0xfffe
	s_and_not1_saveexec_b32 s1, s1
	s_cbranch_execz .LBB151_167
; %bb.166:
	v_lshlrev_b32_e32 v15, 2, v0
	v_readfirstlane_b32 s4, v9
	v_readfirstlane_b32 s5, v10
	ds_load_b32 v16, v15 offset:1024
	s_wait_dscnt 0x0
	global_store_b32 v15, v16, s[4:5] offset:1024
.LBB151_167:
	s_wait_alu 0xfffe
	s_or_b32 exec_lo, exec_lo, s1
.LBB151_168:
	s_wait_alu 0xfffe
	s_and_not1_saveexec_b32 s0, s0
	s_cbranch_execz .LBB151_170
; %bb.169:
	v_lshlrev_b32_e32 v15, 2, v0
	v_readfirstlane_b32 s4, v11
	v_readfirstlane_b32 s5, v12
	ds_load_b32 v16, v15 offset:1024
	s_wait_dscnt 0x0
	global_store_b32 v15, v16, s[4:5] offset:1024
.LBB151_170:
	s_wait_alu 0xfffe
	s_or_b32 exec_lo, exec_lo, s0
	s_delay_alu instid0(SALU_CYCLE_1)
	s_mov_b32 s0, exec_lo
	v_cmpx_ge_u32_e64 v41, v5
	s_wait_alu 0xfffe
	s_xor_b32 s0, exec_lo, s0
	s_cbranch_execz .LBB151_176
; %bb.171:
	s_mov_b32 s1, exec_lo
	v_cmpx_ge_u32_e64 v41, v14
	s_wait_alu 0xfffe
	s_xor_b32 s1, exec_lo, s1
	s_cbranch_execz .LBB151_173
; %bb.172:
	v_lshlrev_b32_e32 v15, 2, v0
	ds_load_b32 v17, v15 offset:2048
	v_add_co_u32 v15, vcc_lo, v7, v0
	s_wait_alu 0xfffd
	v_add_co_ci_u32_e64 v16, null, 0, v13, vcc_lo
	s_delay_alu instid0(VALU_DEP_1) | instskip(NEXT) | instid1(VALU_DEP_1)
	v_lshlrev_b64_e32 v[15:16], 2, v[15:16]
	v_sub_co_u32 v15, vcc_lo, s14, v15
	s_wait_alu 0xfffd
	s_delay_alu instid0(VALU_DEP_2)
	v_sub_co_ci_u32_e64 v16, null, s15, v16, vcc_lo
	s_wait_dscnt 0x0
	global_store_b32 v[15:16], v17, off offset:-2052
.LBB151_173:
	s_wait_alu 0xfffe
	s_and_not1_saveexec_b32 s1, s1
	s_cbranch_execz .LBB151_175
; %bb.174:
	v_lshlrev_b32_e32 v15, 2, v0
	v_readfirstlane_b32 s4, v9
	v_readfirstlane_b32 s5, v10
	ds_load_b32 v16, v15 offset:2048
	s_wait_dscnt 0x0
	global_store_b32 v15, v16, s[4:5] offset:2048
.LBB151_175:
	s_wait_alu 0xfffe
	s_or_b32 exec_lo, exec_lo, s1
.LBB151_176:
	s_wait_alu 0xfffe
	s_and_not1_saveexec_b32 s0, s0
	s_cbranch_execz .LBB151_178
; %bb.177:
	v_lshlrev_b32_e32 v15, 2, v0
	v_readfirstlane_b32 s4, v11
	v_readfirstlane_b32 s5, v12
	ds_load_b32 v16, v15 offset:2048
	s_wait_dscnt 0x0
	global_store_b32 v15, v16, s[4:5] offset:2048
.LBB151_178:
	;; [unrolled: 54-line block ×12, first 2 shown]
	s_wait_alu 0xfffe
	s_or_b32 exec_lo, exec_lo, s0
	s_branch .LBB151_152
.LBB151_259:
	s_mov_b32 s0, exec_lo
	v_cmpx_gt_u32_e64 s27, v0
	s_cbranch_execz .LBB151_268
; %bb.260:
	s_mov_b32 s1, exec_lo
	v_cmpx_ge_u32_e64 v0, v5
	s_wait_alu 0xfffe
	s_xor_b32 s1, exec_lo, s1
	s_cbranch_execz .LBB151_266
; %bb.261:
	s_mov_b32 s3, exec_lo
	v_cmpx_ge_u32_e64 v0, v14
	s_wait_alu 0xfffe
	s_xor_b32 s3, exec_lo, s3
	s_cbranch_execz .LBB151_263
; %bb.262:
	v_lshlrev_b32_e32 v15, 2, v0
	ds_load_b32 v17, v15
	v_add_co_u32 v15, vcc_lo, v7, v0
	s_wait_alu 0xfffd
	v_add_co_ci_u32_e64 v16, null, 0, v13, vcc_lo
	s_delay_alu instid0(VALU_DEP_1) | instskip(NEXT) | instid1(VALU_DEP_1)
	v_lshlrev_b64_e32 v[15:16], 2, v[15:16]
	v_sub_co_u32 v15, vcc_lo, s14, v15
	s_wait_alu 0xfffd
	s_delay_alu instid0(VALU_DEP_2)
	v_sub_co_ci_u32_e64 v16, null, s15, v16, vcc_lo
	s_wait_dscnt 0x0
	global_store_b32 v[15:16], v17, off offset:-4
.LBB151_263:
	s_wait_alu 0xfffe
	s_and_not1_saveexec_b32 s3, s3
	s_cbranch_execz .LBB151_265
; %bb.264:
	v_lshlrev_b32_e32 v15, 2, v0
	v_readfirstlane_b32 s4, v9
	v_readfirstlane_b32 s5, v10
	ds_load_b32 v16, v15
	s_wait_dscnt 0x0
	global_store_b32 v15, v16, s[4:5]
.LBB151_265:
	s_wait_alu 0xfffe
	s_or_b32 exec_lo, exec_lo, s3
.LBB151_266:
	s_wait_alu 0xfffe
	s_and_not1_saveexec_b32 s1, s1
	s_cbranch_execz .LBB151_268
; %bb.267:
	v_lshlrev_b32_e32 v15, 2, v0
	v_readfirstlane_b32 s4, v11
	v_readfirstlane_b32 s5, v12
	ds_load_b32 v16, v15
	s_wait_dscnt 0x0
	global_store_b32 v15, v16, s[4:5]
.LBB151_268:
	s_wait_alu 0xfffe
	s_or_b32 exec_lo, exec_lo, s0
	s_delay_alu instid0(SALU_CYCLE_1)
	s_mov_b32 s0, exec_lo
	v_cmpx_gt_u32_e64 s27, v42
	s_cbranch_execz .LBB151_277
; %bb.269:
	s_mov_b32 s1, exec_lo
	v_cmpx_ge_u32_e64 v42, v5
	s_wait_alu 0xfffe
	s_xor_b32 s1, exec_lo, s1
	s_cbranch_execz .LBB151_275
; %bb.270:
	s_mov_b32 s3, exec_lo
	v_cmpx_ge_u32_e64 v42, v14
	s_wait_alu 0xfffe
	s_xor_b32 s3, exec_lo, s3
	s_cbranch_execz .LBB151_272
; %bb.271:
	v_lshlrev_b32_e32 v15, 2, v0
	ds_load_b32 v17, v15 offset:1024
	v_add_co_u32 v15, vcc_lo, v7, v0
	s_wait_alu 0xfffd
	v_add_co_ci_u32_e64 v16, null, 0, v13, vcc_lo
	s_delay_alu instid0(VALU_DEP_1) | instskip(NEXT) | instid1(VALU_DEP_1)
	v_lshlrev_b64_e32 v[15:16], 2, v[15:16]
	v_sub_co_u32 v15, vcc_lo, s14, v15
	s_wait_alu 0xfffd
	s_delay_alu instid0(VALU_DEP_2)
	v_sub_co_ci_u32_e64 v16, null, s15, v16, vcc_lo
	s_wait_dscnt 0x0
	global_store_b32 v[15:16], v17, off offset:-1028
.LBB151_272:
	s_wait_alu 0xfffe
	s_and_not1_saveexec_b32 s3, s3
	s_cbranch_execz .LBB151_274
; %bb.273:
	v_lshlrev_b32_e32 v15, 2, v0
	v_readfirstlane_b32 s4, v9
	v_readfirstlane_b32 s5, v10
	ds_load_b32 v16, v15 offset:1024
	s_wait_dscnt 0x0
	global_store_b32 v15, v16, s[4:5] offset:1024
.LBB151_274:
	s_wait_alu 0xfffe
	s_or_b32 exec_lo, exec_lo, s3
.LBB151_275:
	s_wait_alu 0xfffe
	s_and_not1_saveexec_b32 s1, s1
	s_cbranch_execz .LBB151_277
; %bb.276:
	v_lshlrev_b32_e32 v15, 2, v0
	v_readfirstlane_b32 s4, v11
	v_readfirstlane_b32 s5, v12
	ds_load_b32 v16, v15 offset:1024
	s_wait_dscnt 0x0
	global_store_b32 v15, v16, s[4:5] offset:1024
.LBB151_277:
	s_wait_alu 0xfffe
	s_or_b32 exec_lo, exec_lo, s0
	s_delay_alu instid0(SALU_CYCLE_1)
	s_mov_b32 s0, exec_lo
	v_cmpx_gt_u32_e64 s27, v41
	s_cbranch_execz .LBB151_286
; %bb.278:
	s_mov_b32 s1, exec_lo
	v_cmpx_ge_u32_e64 v41, v5
	s_wait_alu 0xfffe
	s_xor_b32 s1, exec_lo, s1
	s_cbranch_execz .LBB151_284
; %bb.279:
	s_mov_b32 s3, exec_lo
	v_cmpx_ge_u32_e64 v41, v14
	s_wait_alu 0xfffe
	s_xor_b32 s3, exec_lo, s3
	s_cbranch_execz .LBB151_281
; %bb.280:
	v_lshlrev_b32_e32 v15, 2, v0
	ds_load_b32 v17, v15 offset:2048
	v_add_co_u32 v15, vcc_lo, v7, v0
	s_wait_alu 0xfffd
	v_add_co_ci_u32_e64 v16, null, 0, v13, vcc_lo
	s_delay_alu instid0(VALU_DEP_1) | instskip(NEXT) | instid1(VALU_DEP_1)
	v_lshlrev_b64_e32 v[15:16], 2, v[15:16]
	v_sub_co_u32 v15, vcc_lo, s14, v15
	s_wait_alu 0xfffd
	s_delay_alu instid0(VALU_DEP_2)
	v_sub_co_ci_u32_e64 v16, null, s15, v16, vcc_lo
	s_wait_dscnt 0x0
	global_store_b32 v[15:16], v17, off offset:-2052
.LBB151_281:
	s_wait_alu 0xfffe
	s_and_not1_saveexec_b32 s3, s3
	s_cbranch_execz .LBB151_283
; %bb.282:
	v_lshlrev_b32_e32 v15, 2, v0
	v_readfirstlane_b32 s4, v9
	v_readfirstlane_b32 s5, v10
	ds_load_b32 v16, v15 offset:2048
	s_wait_dscnt 0x0
	global_store_b32 v15, v16, s[4:5] offset:2048
.LBB151_283:
	s_wait_alu 0xfffe
	s_or_b32 exec_lo, exec_lo, s3
.LBB151_284:
	s_wait_alu 0xfffe
	s_and_not1_saveexec_b32 s1, s1
	s_cbranch_execz .LBB151_286
; %bb.285:
	v_lshlrev_b32_e32 v15, 2, v0
	v_readfirstlane_b32 s4, v11
	v_readfirstlane_b32 s5, v12
	ds_load_b32 v16, v15 offset:2048
	s_wait_dscnt 0x0
	global_store_b32 v15, v16, s[4:5] offset:2048
.LBB151_286:
	;; [unrolled: 58-line block ×11, first 2 shown]
	s_wait_alu 0xfffe
	s_or_b32 exec_lo, exec_lo, s0
	s_delay_alu instid0(SALU_CYCLE_1)
	s_mov_b32 s0, exec_lo
	v_cmpx_gt_u32_e64 s27, v31
	s_cbranch_execz .LBB151_376
; %bb.368:
	s_mov_b32 s1, exec_lo
	v_cmpx_ge_u32_e64 v31, v5
	s_wait_alu 0xfffe
	s_xor_b32 s1, exec_lo, s1
	s_cbranch_execz .LBB151_374
; %bb.369:
	s_mov_b32 s3, exec_lo
	v_cmpx_ge_u32_e64 v31, v14
	s_wait_alu 0xfffe
	s_xor_b32 s3, exec_lo, s3
	s_cbranch_execz .LBB151_371
; %bb.370:
	v_lshlrev_b32_e32 v9, 2, v0
	ds_load_b32 v11, v9 offset:12288
	v_add_co_u32 v9, vcc_lo, v7, v0
	s_wait_alu 0xfffd
	v_add_co_ci_u32_e64 v10, null, 0, v13, vcc_lo
                                        ; implicit-def: $vgpr0
	s_delay_alu instid0(VALU_DEP_1) | instskip(NEXT) | instid1(VALU_DEP_1)
	v_lshlrev_b64_e32 v[9:10], 2, v[9:10]
	v_sub_co_u32 v9, vcc_lo, s14, v9
	s_wait_alu 0xfffd
	s_delay_alu instid0(VALU_DEP_2)
	v_sub_co_ci_u32_e64 v10, null, s15, v10, vcc_lo
	s_wait_dscnt 0x0
	global_store_b32 v[9:10], v11, off offset:-12292
                                        ; implicit-def: $vgpr9_vgpr10
.LBB151_371:
	s_wait_alu 0xfffe
	s_and_not1_saveexec_b32 s3, s3
	s_cbranch_execz .LBB151_373
; %bb.372:
	v_lshlrev_b32_e32 v0, 2, v0
	v_readfirstlane_b32 s4, v9
	v_readfirstlane_b32 s5, v10
	ds_load_b32 v7, v0 offset:12288
	s_wait_dscnt 0x0
	global_store_b32 v0, v7, s[4:5] offset:12288
.LBB151_373:
	s_wait_alu 0xfffe
	s_or_b32 exec_lo, exec_lo, s3
                                        ; implicit-def: $vgpr0
                                        ; implicit-def: $vgpr11_vgpr12
.LBB151_374:
	s_wait_alu 0xfffe
	s_and_not1_saveexec_b32 s1, s1
	s_cbranch_execz .LBB151_376
; %bb.375:
	v_lshlrev_b32_e32 v0, 2, v0
	v_readfirstlane_b32 s4, v11
	v_readfirstlane_b32 s5, v12
	ds_load_b32 v7, v0 offset:12288
	s_wait_dscnt 0x0
	global_store_b32 v0, v7, s[4:5] offset:12288
.LBB151_376:
	s_wait_alu 0xfffe
	s_or_b32 exec_lo, exec_lo, s0
	s_and_b32 s0, s2, s26
	s_wait_alu 0xfffe
	s_and_saveexec_b32 s1, s0
	s_cbranch_execz .LBB151_153
.LBB151_377:
	v_add_co_u32 v0, vcc_lo, v3, v6
	s_wait_alu 0xfffd
	v_add_co_ci_u32_e64 v4, null, 0, v4, vcc_lo
	v_mov_b32_e32 v6, 0
	s_delay_alu instid0(VALU_DEP_3) | instskip(SKIP_1) | instid1(VALU_DEP_3)
	v_add_co_u32 v3, vcc_lo, v0, v8
	s_wait_alu 0xfffd
	v_add_co_ci_u32_e64 v4, null, 0, v4, vcc_lo
	v_add_co_u32 v1, vcc_lo, v1, v5
	s_wait_alu 0xfffd
	v_add_co_ci_u32_e64 v2, null, 0, v2, vcc_lo
	global_store_b128 v6, v[1:4], s[24:25]
	s_nop 0
	s_sendmsg sendmsg(MSG_DEALLOC_VGPRS)
	s_endpgm
.LBB151_378:
	s_add_co_i32 s6, s33, 32
	s_mov_b32 s7, 0
	v_dual_mov_b32 v11, 2 :: v_dual_add_nc_u32 v10, v8, v6
	s_wait_alu 0xfffe
	s_lshl_b64 s[6:7], s[6:7], 4
	v_dual_mov_b32 v12, 0 :: v_dual_add_nc_u32 v9, v7, v5
	s_wait_alu 0xfffe
	s_add_nc_u64 s[6:7], s[36:37], s[6:7]
	s_wait_alu 0xfffe
	v_dual_mov_b32 v28, s7 :: v_dual_mov_b32 v27, s6
	;;#ASMSTART
	global_store_b128 v[27:28], v[9:12] off scope:SCOPE_DEV	
s_wait_storecnt 0x0
	;;#ASMEND
	s_or_b32 exec_lo, exec_lo, s5
	s_and_saveexec_b32 s5, s3
	s_cbranch_execz .LBB151_138
.LBB151_379:
	v_mov_b32_e32 v9, 0
	ds_store_b128 v9, v[5:8] offset:13312
	s_wait_alu 0xfffe
	s_or_b32 exec_lo, exec_lo, s5
	s_delay_alu instid0(SALU_CYCLE_1)
	s_and_b32 exec_lo, exec_lo, s2
	s_cbranch_execnz .LBB151_139
	s_branch .LBB151_140
	.section	.rodata,"a",@progbits
	.p2align	6, 0x0
	.amdhsa_kernel _ZN7rocprim17ROCPRIM_400000_NS6detail17trampoline_kernelINS0_13select_configILj256ELj13ELNS0_17block_load_methodE3ELS4_3ELS4_3ELNS0_20block_scan_algorithmE0ELj4294967295EEENS1_25partition_config_selectorILNS1_17partition_subalgoE4EjNS0_10empty_typeEbEEZZNS1_14partition_implILS8_4ELb0ES6_15HIP_vector_typeIjLj2EENS0_17counting_iteratorIjlEEPS9_SG_NS0_5tupleIJPjSI_NS0_16reverse_iteratorISI_EEEEENSH_IJSG_SG_SG_EEES9_SI_JZNS1_25segmented_radix_sort_implINS0_14default_configELb0EPKhPhPKlPlN2at6native12_GLOBAL__N_18offset_tEEE10hipError_tPvRmT1_PNSt15iterator_traitsIS12_E10value_typeET2_T3_PNS13_IS18_E10value_typeET4_jRbjT5_S1E_jjP12ihipStream_tbEUljE_ZNSN_ISO_Lb0ESQ_SR_ST_SU_SY_EESZ_S10_S11_S12_S16_S17_S18_S1B_S1C_jS1D_jS1E_S1E_jjS1G_bEUljE0_EEESZ_S10_S11_S18_S1C_S1E_T6_T7_T9_mT8_S1G_bDpT10_ENKUlT_T0_E_clISt17integral_constantIbLb0EES1T_IbLb1EEEEDaS1P_S1Q_EUlS1P_E_NS1_11comp_targetILNS1_3genE10ELNS1_11target_archE1200ELNS1_3gpuE4ELNS1_3repE0EEENS1_30default_config_static_selectorELNS0_4arch9wavefront6targetE0EEEvS12_
		.amdhsa_group_segment_fixed_size 13328
		.amdhsa_private_segment_fixed_size 0
		.amdhsa_kernarg_size 184
		.amdhsa_user_sgpr_count 2
		.amdhsa_user_sgpr_dispatch_ptr 0
		.amdhsa_user_sgpr_queue_ptr 0
		.amdhsa_user_sgpr_kernarg_segment_ptr 1
		.amdhsa_user_sgpr_dispatch_id 0
		.amdhsa_user_sgpr_private_segment_size 0
		.amdhsa_wavefront_size32 1
		.amdhsa_uses_dynamic_stack 0
		.amdhsa_enable_private_segment 0
		.amdhsa_system_sgpr_workgroup_id_x 1
		.amdhsa_system_sgpr_workgroup_id_y 0
		.amdhsa_system_sgpr_workgroup_id_z 0
		.amdhsa_system_sgpr_workgroup_info 0
		.amdhsa_system_vgpr_workitem_id 0
		.amdhsa_next_free_vgpr 98
		.amdhsa_next_free_sgpr 55
		.amdhsa_reserve_vcc 1
		.amdhsa_float_round_mode_32 0
		.amdhsa_float_round_mode_16_64 0
		.amdhsa_float_denorm_mode_32 3
		.amdhsa_float_denorm_mode_16_64 3
		.amdhsa_fp16_overflow 0
		.amdhsa_workgroup_processor_mode 1
		.amdhsa_memory_ordered 1
		.amdhsa_forward_progress 1
		.amdhsa_inst_pref_size 151
		.amdhsa_round_robin_scheduling 0
		.amdhsa_exception_fp_ieee_invalid_op 0
		.amdhsa_exception_fp_denorm_src 0
		.amdhsa_exception_fp_ieee_div_zero 0
		.amdhsa_exception_fp_ieee_overflow 0
		.amdhsa_exception_fp_ieee_underflow 0
		.amdhsa_exception_fp_ieee_inexact 0
		.amdhsa_exception_int_div_zero 0
	.end_amdhsa_kernel
	.section	.text._ZN7rocprim17ROCPRIM_400000_NS6detail17trampoline_kernelINS0_13select_configILj256ELj13ELNS0_17block_load_methodE3ELS4_3ELS4_3ELNS0_20block_scan_algorithmE0ELj4294967295EEENS1_25partition_config_selectorILNS1_17partition_subalgoE4EjNS0_10empty_typeEbEEZZNS1_14partition_implILS8_4ELb0ES6_15HIP_vector_typeIjLj2EENS0_17counting_iteratorIjlEEPS9_SG_NS0_5tupleIJPjSI_NS0_16reverse_iteratorISI_EEEEENSH_IJSG_SG_SG_EEES9_SI_JZNS1_25segmented_radix_sort_implINS0_14default_configELb0EPKhPhPKlPlN2at6native12_GLOBAL__N_18offset_tEEE10hipError_tPvRmT1_PNSt15iterator_traitsIS12_E10value_typeET2_T3_PNS13_IS18_E10value_typeET4_jRbjT5_S1E_jjP12ihipStream_tbEUljE_ZNSN_ISO_Lb0ESQ_SR_ST_SU_SY_EESZ_S10_S11_S12_S16_S17_S18_S1B_S1C_jS1D_jS1E_S1E_jjS1G_bEUljE0_EEESZ_S10_S11_S18_S1C_S1E_T6_T7_T9_mT8_S1G_bDpT10_ENKUlT_T0_E_clISt17integral_constantIbLb0EES1T_IbLb1EEEEDaS1P_S1Q_EUlS1P_E_NS1_11comp_targetILNS1_3genE10ELNS1_11target_archE1200ELNS1_3gpuE4ELNS1_3repE0EEENS1_30default_config_static_selectorELNS0_4arch9wavefront6targetE0EEEvS12_,"axG",@progbits,_ZN7rocprim17ROCPRIM_400000_NS6detail17trampoline_kernelINS0_13select_configILj256ELj13ELNS0_17block_load_methodE3ELS4_3ELS4_3ELNS0_20block_scan_algorithmE0ELj4294967295EEENS1_25partition_config_selectorILNS1_17partition_subalgoE4EjNS0_10empty_typeEbEEZZNS1_14partition_implILS8_4ELb0ES6_15HIP_vector_typeIjLj2EENS0_17counting_iteratorIjlEEPS9_SG_NS0_5tupleIJPjSI_NS0_16reverse_iteratorISI_EEEEENSH_IJSG_SG_SG_EEES9_SI_JZNS1_25segmented_radix_sort_implINS0_14default_configELb0EPKhPhPKlPlN2at6native12_GLOBAL__N_18offset_tEEE10hipError_tPvRmT1_PNSt15iterator_traitsIS12_E10value_typeET2_T3_PNS13_IS18_E10value_typeET4_jRbjT5_S1E_jjP12ihipStream_tbEUljE_ZNSN_ISO_Lb0ESQ_SR_ST_SU_SY_EESZ_S10_S11_S12_S16_S17_S18_S1B_S1C_jS1D_jS1E_S1E_jjS1G_bEUljE0_EEESZ_S10_S11_S18_S1C_S1E_T6_T7_T9_mT8_S1G_bDpT10_ENKUlT_T0_E_clISt17integral_constantIbLb0EES1T_IbLb1EEEEDaS1P_S1Q_EUlS1P_E_NS1_11comp_targetILNS1_3genE10ELNS1_11target_archE1200ELNS1_3gpuE4ELNS1_3repE0EEENS1_30default_config_static_selectorELNS0_4arch9wavefront6targetE0EEEvS12_,comdat
.Lfunc_end151:
	.size	_ZN7rocprim17ROCPRIM_400000_NS6detail17trampoline_kernelINS0_13select_configILj256ELj13ELNS0_17block_load_methodE3ELS4_3ELS4_3ELNS0_20block_scan_algorithmE0ELj4294967295EEENS1_25partition_config_selectorILNS1_17partition_subalgoE4EjNS0_10empty_typeEbEEZZNS1_14partition_implILS8_4ELb0ES6_15HIP_vector_typeIjLj2EENS0_17counting_iteratorIjlEEPS9_SG_NS0_5tupleIJPjSI_NS0_16reverse_iteratorISI_EEEEENSH_IJSG_SG_SG_EEES9_SI_JZNS1_25segmented_radix_sort_implINS0_14default_configELb0EPKhPhPKlPlN2at6native12_GLOBAL__N_18offset_tEEE10hipError_tPvRmT1_PNSt15iterator_traitsIS12_E10value_typeET2_T3_PNS13_IS18_E10value_typeET4_jRbjT5_S1E_jjP12ihipStream_tbEUljE_ZNSN_ISO_Lb0ESQ_SR_ST_SU_SY_EESZ_S10_S11_S12_S16_S17_S18_S1B_S1C_jS1D_jS1E_S1E_jjS1G_bEUljE0_EEESZ_S10_S11_S18_S1C_S1E_T6_T7_T9_mT8_S1G_bDpT10_ENKUlT_T0_E_clISt17integral_constantIbLb0EES1T_IbLb1EEEEDaS1P_S1Q_EUlS1P_E_NS1_11comp_targetILNS1_3genE10ELNS1_11target_archE1200ELNS1_3gpuE4ELNS1_3repE0EEENS1_30default_config_static_selectorELNS0_4arch9wavefront6targetE0EEEvS12_, .Lfunc_end151-_ZN7rocprim17ROCPRIM_400000_NS6detail17trampoline_kernelINS0_13select_configILj256ELj13ELNS0_17block_load_methodE3ELS4_3ELS4_3ELNS0_20block_scan_algorithmE0ELj4294967295EEENS1_25partition_config_selectorILNS1_17partition_subalgoE4EjNS0_10empty_typeEbEEZZNS1_14partition_implILS8_4ELb0ES6_15HIP_vector_typeIjLj2EENS0_17counting_iteratorIjlEEPS9_SG_NS0_5tupleIJPjSI_NS0_16reverse_iteratorISI_EEEEENSH_IJSG_SG_SG_EEES9_SI_JZNS1_25segmented_radix_sort_implINS0_14default_configELb0EPKhPhPKlPlN2at6native12_GLOBAL__N_18offset_tEEE10hipError_tPvRmT1_PNSt15iterator_traitsIS12_E10value_typeET2_T3_PNS13_IS18_E10value_typeET4_jRbjT5_S1E_jjP12ihipStream_tbEUljE_ZNSN_ISO_Lb0ESQ_SR_ST_SU_SY_EESZ_S10_S11_S12_S16_S17_S18_S1B_S1C_jS1D_jS1E_S1E_jjS1G_bEUljE0_EEESZ_S10_S11_S18_S1C_S1E_T6_T7_T9_mT8_S1G_bDpT10_ENKUlT_T0_E_clISt17integral_constantIbLb0EES1T_IbLb1EEEEDaS1P_S1Q_EUlS1P_E_NS1_11comp_targetILNS1_3genE10ELNS1_11target_archE1200ELNS1_3gpuE4ELNS1_3repE0EEENS1_30default_config_static_selectorELNS0_4arch9wavefront6targetE0EEEvS12_
                                        ; -- End function
	.set _ZN7rocprim17ROCPRIM_400000_NS6detail17trampoline_kernelINS0_13select_configILj256ELj13ELNS0_17block_load_methodE3ELS4_3ELS4_3ELNS0_20block_scan_algorithmE0ELj4294967295EEENS1_25partition_config_selectorILNS1_17partition_subalgoE4EjNS0_10empty_typeEbEEZZNS1_14partition_implILS8_4ELb0ES6_15HIP_vector_typeIjLj2EENS0_17counting_iteratorIjlEEPS9_SG_NS0_5tupleIJPjSI_NS0_16reverse_iteratorISI_EEEEENSH_IJSG_SG_SG_EEES9_SI_JZNS1_25segmented_radix_sort_implINS0_14default_configELb0EPKhPhPKlPlN2at6native12_GLOBAL__N_18offset_tEEE10hipError_tPvRmT1_PNSt15iterator_traitsIS12_E10value_typeET2_T3_PNS13_IS18_E10value_typeET4_jRbjT5_S1E_jjP12ihipStream_tbEUljE_ZNSN_ISO_Lb0ESQ_SR_ST_SU_SY_EESZ_S10_S11_S12_S16_S17_S18_S1B_S1C_jS1D_jS1E_S1E_jjS1G_bEUljE0_EEESZ_S10_S11_S18_S1C_S1E_T6_T7_T9_mT8_S1G_bDpT10_ENKUlT_T0_E_clISt17integral_constantIbLb0EES1T_IbLb1EEEEDaS1P_S1Q_EUlS1P_E_NS1_11comp_targetILNS1_3genE10ELNS1_11target_archE1200ELNS1_3gpuE4ELNS1_3repE0EEENS1_30default_config_static_selectorELNS0_4arch9wavefront6targetE0EEEvS12_.num_vgpr, 98
	.set _ZN7rocprim17ROCPRIM_400000_NS6detail17trampoline_kernelINS0_13select_configILj256ELj13ELNS0_17block_load_methodE3ELS4_3ELS4_3ELNS0_20block_scan_algorithmE0ELj4294967295EEENS1_25partition_config_selectorILNS1_17partition_subalgoE4EjNS0_10empty_typeEbEEZZNS1_14partition_implILS8_4ELb0ES6_15HIP_vector_typeIjLj2EENS0_17counting_iteratorIjlEEPS9_SG_NS0_5tupleIJPjSI_NS0_16reverse_iteratorISI_EEEEENSH_IJSG_SG_SG_EEES9_SI_JZNS1_25segmented_radix_sort_implINS0_14default_configELb0EPKhPhPKlPlN2at6native12_GLOBAL__N_18offset_tEEE10hipError_tPvRmT1_PNSt15iterator_traitsIS12_E10value_typeET2_T3_PNS13_IS18_E10value_typeET4_jRbjT5_S1E_jjP12ihipStream_tbEUljE_ZNSN_ISO_Lb0ESQ_SR_ST_SU_SY_EESZ_S10_S11_S12_S16_S17_S18_S1B_S1C_jS1D_jS1E_S1E_jjS1G_bEUljE0_EEESZ_S10_S11_S18_S1C_S1E_T6_T7_T9_mT8_S1G_bDpT10_ENKUlT_T0_E_clISt17integral_constantIbLb0EES1T_IbLb1EEEEDaS1P_S1Q_EUlS1P_E_NS1_11comp_targetILNS1_3genE10ELNS1_11target_archE1200ELNS1_3gpuE4ELNS1_3repE0EEENS1_30default_config_static_selectorELNS0_4arch9wavefront6targetE0EEEvS12_.num_agpr, 0
	.set _ZN7rocprim17ROCPRIM_400000_NS6detail17trampoline_kernelINS0_13select_configILj256ELj13ELNS0_17block_load_methodE3ELS4_3ELS4_3ELNS0_20block_scan_algorithmE0ELj4294967295EEENS1_25partition_config_selectorILNS1_17partition_subalgoE4EjNS0_10empty_typeEbEEZZNS1_14partition_implILS8_4ELb0ES6_15HIP_vector_typeIjLj2EENS0_17counting_iteratorIjlEEPS9_SG_NS0_5tupleIJPjSI_NS0_16reverse_iteratorISI_EEEEENSH_IJSG_SG_SG_EEES9_SI_JZNS1_25segmented_radix_sort_implINS0_14default_configELb0EPKhPhPKlPlN2at6native12_GLOBAL__N_18offset_tEEE10hipError_tPvRmT1_PNSt15iterator_traitsIS12_E10value_typeET2_T3_PNS13_IS18_E10value_typeET4_jRbjT5_S1E_jjP12ihipStream_tbEUljE_ZNSN_ISO_Lb0ESQ_SR_ST_SU_SY_EESZ_S10_S11_S12_S16_S17_S18_S1B_S1C_jS1D_jS1E_S1E_jjS1G_bEUljE0_EEESZ_S10_S11_S18_S1C_S1E_T6_T7_T9_mT8_S1G_bDpT10_ENKUlT_T0_E_clISt17integral_constantIbLb0EES1T_IbLb1EEEEDaS1P_S1Q_EUlS1P_E_NS1_11comp_targetILNS1_3genE10ELNS1_11target_archE1200ELNS1_3gpuE4ELNS1_3repE0EEENS1_30default_config_static_selectorELNS0_4arch9wavefront6targetE0EEEvS12_.numbered_sgpr, 55
	.set _ZN7rocprim17ROCPRIM_400000_NS6detail17trampoline_kernelINS0_13select_configILj256ELj13ELNS0_17block_load_methodE3ELS4_3ELS4_3ELNS0_20block_scan_algorithmE0ELj4294967295EEENS1_25partition_config_selectorILNS1_17partition_subalgoE4EjNS0_10empty_typeEbEEZZNS1_14partition_implILS8_4ELb0ES6_15HIP_vector_typeIjLj2EENS0_17counting_iteratorIjlEEPS9_SG_NS0_5tupleIJPjSI_NS0_16reverse_iteratorISI_EEEEENSH_IJSG_SG_SG_EEES9_SI_JZNS1_25segmented_radix_sort_implINS0_14default_configELb0EPKhPhPKlPlN2at6native12_GLOBAL__N_18offset_tEEE10hipError_tPvRmT1_PNSt15iterator_traitsIS12_E10value_typeET2_T3_PNS13_IS18_E10value_typeET4_jRbjT5_S1E_jjP12ihipStream_tbEUljE_ZNSN_ISO_Lb0ESQ_SR_ST_SU_SY_EESZ_S10_S11_S12_S16_S17_S18_S1B_S1C_jS1D_jS1E_S1E_jjS1G_bEUljE0_EEESZ_S10_S11_S18_S1C_S1E_T6_T7_T9_mT8_S1G_bDpT10_ENKUlT_T0_E_clISt17integral_constantIbLb0EES1T_IbLb1EEEEDaS1P_S1Q_EUlS1P_E_NS1_11comp_targetILNS1_3genE10ELNS1_11target_archE1200ELNS1_3gpuE4ELNS1_3repE0EEENS1_30default_config_static_selectorELNS0_4arch9wavefront6targetE0EEEvS12_.num_named_barrier, 0
	.set _ZN7rocprim17ROCPRIM_400000_NS6detail17trampoline_kernelINS0_13select_configILj256ELj13ELNS0_17block_load_methodE3ELS4_3ELS4_3ELNS0_20block_scan_algorithmE0ELj4294967295EEENS1_25partition_config_selectorILNS1_17partition_subalgoE4EjNS0_10empty_typeEbEEZZNS1_14partition_implILS8_4ELb0ES6_15HIP_vector_typeIjLj2EENS0_17counting_iteratorIjlEEPS9_SG_NS0_5tupleIJPjSI_NS0_16reverse_iteratorISI_EEEEENSH_IJSG_SG_SG_EEES9_SI_JZNS1_25segmented_radix_sort_implINS0_14default_configELb0EPKhPhPKlPlN2at6native12_GLOBAL__N_18offset_tEEE10hipError_tPvRmT1_PNSt15iterator_traitsIS12_E10value_typeET2_T3_PNS13_IS18_E10value_typeET4_jRbjT5_S1E_jjP12ihipStream_tbEUljE_ZNSN_ISO_Lb0ESQ_SR_ST_SU_SY_EESZ_S10_S11_S12_S16_S17_S18_S1B_S1C_jS1D_jS1E_S1E_jjS1G_bEUljE0_EEESZ_S10_S11_S18_S1C_S1E_T6_T7_T9_mT8_S1G_bDpT10_ENKUlT_T0_E_clISt17integral_constantIbLb0EES1T_IbLb1EEEEDaS1P_S1Q_EUlS1P_E_NS1_11comp_targetILNS1_3genE10ELNS1_11target_archE1200ELNS1_3gpuE4ELNS1_3repE0EEENS1_30default_config_static_selectorELNS0_4arch9wavefront6targetE0EEEvS12_.private_seg_size, 0
	.set _ZN7rocprim17ROCPRIM_400000_NS6detail17trampoline_kernelINS0_13select_configILj256ELj13ELNS0_17block_load_methodE3ELS4_3ELS4_3ELNS0_20block_scan_algorithmE0ELj4294967295EEENS1_25partition_config_selectorILNS1_17partition_subalgoE4EjNS0_10empty_typeEbEEZZNS1_14partition_implILS8_4ELb0ES6_15HIP_vector_typeIjLj2EENS0_17counting_iteratorIjlEEPS9_SG_NS0_5tupleIJPjSI_NS0_16reverse_iteratorISI_EEEEENSH_IJSG_SG_SG_EEES9_SI_JZNS1_25segmented_radix_sort_implINS0_14default_configELb0EPKhPhPKlPlN2at6native12_GLOBAL__N_18offset_tEEE10hipError_tPvRmT1_PNSt15iterator_traitsIS12_E10value_typeET2_T3_PNS13_IS18_E10value_typeET4_jRbjT5_S1E_jjP12ihipStream_tbEUljE_ZNSN_ISO_Lb0ESQ_SR_ST_SU_SY_EESZ_S10_S11_S12_S16_S17_S18_S1B_S1C_jS1D_jS1E_S1E_jjS1G_bEUljE0_EEESZ_S10_S11_S18_S1C_S1E_T6_T7_T9_mT8_S1G_bDpT10_ENKUlT_T0_E_clISt17integral_constantIbLb0EES1T_IbLb1EEEEDaS1P_S1Q_EUlS1P_E_NS1_11comp_targetILNS1_3genE10ELNS1_11target_archE1200ELNS1_3gpuE4ELNS1_3repE0EEENS1_30default_config_static_selectorELNS0_4arch9wavefront6targetE0EEEvS12_.uses_vcc, 1
	.set _ZN7rocprim17ROCPRIM_400000_NS6detail17trampoline_kernelINS0_13select_configILj256ELj13ELNS0_17block_load_methodE3ELS4_3ELS4_3ELNS0_20block_scan_algorithmE0ELj4294967295EEENS1_25partition_config_selectorILNS1_17partition_subalgoE4EjNS0_10empty_typeEbEEZZNS1_14partition_implILS8_4ELb0ES6_15HIP_vector_typeIjLj2EENS0_17counting_iteratorIjlEEPS9_SG_NS0_5tupleIJPjSI_NS0_16reverse_iteratorISI_EEEEENSH_IJSG_SG_SG_EEES9_SI_JZNS1_25segmented_radix_sort_implINS0_14default_configELb0EPKhPhPKlPlN2at6native12_GLOBAL__N_18offset_tEEE10hipError_tPvRmT1_PNSt15iterator_traitsIS12_E10value_typeET2_T3_PNS13_IS18_E10value_typeET4_jRbjT5_S1E_jjP12ihipStream_tbEUljE_ZNSN_ISO_Lb0ESQ_SR_ST_SU_SY_EESZ_S10_S11_S12_S16_S17_S18_S1B_S1C_jS1D_jS1E_S1E_jjS1G_bEUljE0_EEESZ_S10_S11_S18_S1C_S1E_T6_T7_T9_mT8_S1G_bDpT10_ENKUlT_T0_E_clISt17integral_constantIbLb0EES1T_IbLb1EEEEDaS1P_S1Q_EUlS1P_E_NS1_11comp_targetILNS1_3genE10ELNS1_11target_archE1200ELNS1_3gpuE4ELNS1_3repE0EEENS1_30default_config_static_selectorELNS0_4arch9wavefront6targetE0EEEvS12_.uses_flat_scratch, 0
	.set _ZN7rocprim17ROCPRIM_400000_NS6detail17trampoline_kernelINS0_13select_configILj256ELj13ELNS0_17block_load_methodE3ELS4_3ELS4_3ELNS0_20block_scan_algorithmE0ELj4294967295EEENS1_25partition_config_selectorILNS1_17partition_subalgoE4EjNS0_10empty_typeEbEEZZNS1_14partition_implILS8_4ELb0ES6_15HIP_vector_typeIjLj2EENS0_17counting_iteratorIjlEEPS9_SG_NS0_5tupleIJPjSI_NS0_16reverse_iteratorISI_EEEEENSH_IJSG_SG_SG_EEES9_SI_JZNS1_25segmented_radix_sort_implINS0_14default_configELb0EPKhPhPKlPlN2at6native12_GLOBAL__N_18offset_tEEE10hipError_tPvRmT1_PNSt15iterator_traitsIS12_E10value_typeET2_T3_PNS13_IS18_E10value_typeET4_jRbjT5_S1E_jjP12ihipStream_tbEUljE_ZNSN_ISO_Lb0ESQ_SR_ST_SU_SY_EESZ_S10_S11_S12_S16_S17_S18_S1B_S1C_jS1D_jS1E_S1E_jjS1G_bEUljE0_EEESZ_S10_S11_S18_S1C_S1E_T6_T7_T9_mT8_S1G_bDpT10_ENKUlT_T0_E_clISt17integral_constantIbLb0EES1T_IbLb1EEEEDaS1P_S1Q_EUlS1P_E_NS1_11comp_targetILNS1_3genE10ELNS1_11target_archE1200ELNS1_3gpuE4ELNS1_3repE0EEENS1_30default_config_static_selectorELNS0_4arch9wavefront6targetE0EEEvS12_.has_dyn_sized_stack, 0
	.set _ZN7rocprim17ROCPRIM_400000_NS6detail17trampoline_kernelINS0_13select_configILj256ELj13ELNS0_17block_load_methodE3ELS4_3ELS4_3ELNS0_20block_scan_algorithmE0ELj4294967295EEENS1_25partition_config_selectorILNS1_17partition_subalgoE4EjNS0_10empty_typeEbEEZZNS1_14partition_implILS8_4ELb0ES6_15HIP_vector_typeIjLj2EENS0_17counting_iteratorIjlEEPS9_SG_NS0_5tupleIJPjSI_NS0_16reverse_iteratorISI_EEEEENSH_IJSG_SG_SG_EEES9_SI_JZNS1_25segmented_radix_sort_implINS0_14default_configELb0EPKhPhPKlPlN2at6native12_GLOBAL__N_18offset_tEEE10hipError_tPvRmT1_PNSt15iterator_traitsIS12_E10value_typeET2_T3_PNS13_IS18_E10value_typeET4_jRbjT5_S1E_jjP12ihipStream_tbEUljE_ZNSN_ISO_Lb0ESQ_SR_ST_SU_SY_EESZ_S10_S11_S12_S16_S17_S18_S1B_S1C_jS1D_jS1E_S1E_jjS1G_bEUljE0_EEESZ_S10_S11_S18_S1C_S1E_T6_T7_T9_mT8_S1G_bDpT10_ENKUlT_T0_E_clISt17integral_constantIbLb0EES1T_IbLb1EEEEDaS1P_S1Q_EUlS1P_E_NS1_11comp_targetILNS1_3genE10ELNS1_11target_archE1200ELNS1_3gpuE4ELNS1_3repE0EEENS1_30default_config_static_selectorELNS0_4arch9wavefront6targetE0EEEvS12_.has_recursion, 0
	.set _ZN7rocprim17ROCPRIM_400000_NS6detail17trampoline_kernelINS0_13select_configILj256ELj13ELNS0_17block_load_methodE3ELS4_3ELS4_3ELNS0_20block_scan_algorithmE0ELj4294967295EEENS1_25partition_config_selectorILNS1_17partition_subalgoE4EjNS0_10empty_typeEbEEZZNS1_14partition_implILS8_4ELb0ES6_15HIP_vector_typeIjLj2EENS0_17counting_iteratorIjlEEPS9_SG_NS0_5tupleIJPjSI_NS0_16reverse_iteratorISI_EEEEENSH_IJSG_SG_SG_EEES9_SI_JZNS1_25segmented_radix_sort_implINS0_14default_configELb0EPKhPhPKlPlN2at6native12_GLOBAL__N_18offset_tEEE10hipError_tPvRmT1_PNSt15iterator_traitsIS12_E10value_typeET2_T3_PNS13_IS18_E10value_typeET4_jRbjT5_S1E_jjP12ihipStream_tbEUljE_ZNSN_ISO_Lb0ESQ_SR_ST_SU_SY_EESZ_S10_S11_S12_S16_S17_S18_S1B_S1C_jS1D_jS1E_S1E_jjS1G_bEUljE0_EEESZ_S10_S11_S18_S1C_S1E_T6_T7_T9_mT8_S1G_bDpT10_ENKUlT_T0_E_clISt17integral_constantIbLb0EES1T_IbLb1EEEEDaS1P_S1Q_EUlS1P_E_NS1_11comp_targetILNS1_3genE10ELNS1_11target_archE1200ELNS1_3gpuE4ELNS1_3repE0EEENS1_30default_config_static_selectorELNS0_4arch9wavefront6targetE0EEEvS12_.has_indirect_call, 0
	.section	.AMDGPU.csdata,"",@progbits
; Kernel info:
; codeLenInByte = 19208
; TotalNumSgprs: 57
; NumVgprs: 98
; ScratchSize: 0
; MemoryBound: 0
; FloatMode: 240
; IeeeMode: 1
; LDSByteSize: 13328 bytes/workgroup (compile time only)
; SGPRBlocks: 0
; VGPRBlocks: 12
; NumSGPRsForWavesPerEU: 57
; NumVGPRsForWavesPerEU: 98
; Occupancy: 12
; WaveLimiterHint : 1
; COMPUTE_PGM_RSRC2:SCRATCH_EN: 0
; COMPUTE_PGM_RSRC2:USER_SGPR: 2
; COMPUTE_PGM_RSRC2:TRAP_HANDLER: 0
; COMPUTE_PGM_RSRC2:TGID_X_EN: 1
; COMPUTE_PGM_RSRC2:TGID_Y_EN: 0
; COMPUTE_PGM_RSRC2:TGID_Z_EN: 0
; COMPUTE_PGM_RSRC2:TIDIG_COMP_CNT: 0
	.section	.text._ZN7rocprim17ROCPRIM_400000_NS6detail17trampoline_kernelINS0_13select_configILj256ELj13ELNS0_17block_load_methodE3ELS4_3ELS4_3ELNS0_20block_scan_algorithmE0ELj4294967295EEENS1_25partition_config_selectorILNS1_17partition_subalgoE4EjNS0_10empty_typeEbEEZZNS1_14partition_implILS8_4ELb0ES6_15HIP_vector_typeIjLj2EENS0_17counting_iteratorIjlEEPS9_SG_NS0_5tupleIJPjSI_NS0_16reverse_iteratorISI_EEEEENSH_IJSG_SG_SG_EEES9_SI_JZNS1_25segmented_radix_sort_implINS0_14default_configELb0EPKhPhPKlPlN2at6native12_GLOBAL__N_18offset_tEEE10hipError_tPvRmT1_PNSt15iterator_traitsIS12_E10value_typeET2_T3_PNS13_IS18_E10value_typeET4_jRbjT5_S1E_jjP12ihipStream_tbEUljE_ZNSN_ISO_Lb0ESQ_SR_ST_SU_SY_EESZ_S10_S11_S12_S16_S17_S18_S1B_S1C_jS1D_jS1E_S1E_jjS1G_bEUljE0_EEESZ_S10_S11_S18_S1C_S1E_T6_T7_T9_mT8_S1G_bDpT10_ENKUlT_T0_E_clISt17integral_constantIbLb0EES1T_IbLb1EEEEDaS1P_S1Q_EUlS1P_E_NS1_11comp_targetILNS1_3genE9ELNS1_11target_archE1100ELNS1_3gpuE3ELNS1_3repE0EEENS1_30default_config_static_selectorELNS0_4arch9wavefront6targetE0EEEvS12_,"axG",@progbits,_ZN7rocprim17ROCPRIM_400000_NS6detail17trampoline_kernelINS0_13select_configILj256ELj13ELNS0_17block_load_methodE3ELS4_3ELS4_3ELNS0_20block_scan_algorithmE0ELj4294967295EEENS1_25partition_config_selectorILNS1_17partition_subalgoE4EjNS0_10empty_typeEbEEZZNS1_14partition_implILS8_4ELb0ES6_15HIP_vector_typeIjLj2EENS0_17counting_iteratorIjlEEPS9_SG_NS0_5tupleIJPjSI_NS0_16reverse_iteratorISI_EEEEENSH_IJSG_SG_SG_EEES9_SI_JZNS1_25segmented_radix_sort_implINS0_14default_configELb0EPKhPhPKlPlN2at6native12_GLOBAL__N_18offset_tEEE10hipError_tPvRmT1_PNSt15iterator_traitsIS12_E10value_typeET2_T3_PNS13_IS18_E10value_typeET4_jRbjT5_S1E_jjP12ihipStream_tbEUljE_ZNSN_ISO_Lb0ESQ_SR_ST_SU_SY_EESZ_S10_S11_S12_S16_S17_S18_S1B_S1C_jS1D_jS1E_S1E_jjS1G_bEUljE0_EEESZ_S10_S11_S18_S1C_S1E_T6_T7_T9_mT8_S1G_bDpT10_ENKUlT_T0_E_clISt17integral_constantIbLb0EES1T_IbLb1EEEEDaS1P_S1Q_EUlS1P_E_NS1_11comp_targetILNS1_3genE9ELNS1_11target_archE1100ELNS1_3gpuE3ELNS1_3repE0EEENS1_30default_config_static_selectorELNS0_4arch9wavefront6targetE0EEEvS12_,comdat
	.globl	_ZN7rocprim17ROCPRIM_400000_NS6detail17trampoline_kernelINS0_13select_configILj256ELj13ELNS0_17block_load_methodE3ELS4_3ELS4_3ELNS0_20block_scan_algorithmE0ELj4294967295EEENS1_25partition_config_selectorILNS1_17partition_subalgoE4EjNS0_10empty_typeEbEEZZNS1_14partition_implILS8_4ELb0ES6_15HIP_vector_typeIjLj2EENS0_17counting_iteratorIjlEEPS9_SG_NS0_5tupleIJPjSI_NS0_16reverse_iteratorISI_EEEEENSH_IJSG_SG_SG_EEES9_SI_JZNS1_25segmented_radix_sort_implINS0_14default_configELb0EPKhPhPKlPlN2at6native12_GLOBAL__N_18offset_tEEE10hipError_tPvRmT1_PNSt15iterator_traitsIS12_E10value_typeET2_T3_PNS13_IS18_E10value_typeET4_jRbjT5_S1E_jjP12ihipStream_tbEUljE_ZNSN_ISO_Lb0ESQ_SR_ST_SU_SY_EESZ_S10_S11_S12_S16_S17_S18_S1B_S1C_jS1D_jS1E_S1E_jjS1G_bEUljE0_EEESZ_S10_S11_S18_S1C_S1E_T6_T7_T9_mT8_S1G_bDpT10_ENKUlT_T0_E_clISt17integral_constantIbLb0EES1T_IbLb1EEEEDaS1P_S1Q_EUlS1P_E_NS1_11comp_targetILNS1_3genE9ELNS1_11target_archE1100ELNS1_3gpuE3ELNS1_3repE0EEENS1_30default_config_static_selectorELNS0_4arch9wavefront6targetE0EEEvS12_ ; -- Begin function _ZN7rocprim17ROCPRIM_400000_NS6detail17trampoline_kernelINS0_13select_configILj256ELj13ELNS0_17block_load_methodE3ELS4_3ELS4_3ELNS0_20block_scan_algorithmE0ELj4294967295EEENS1_25partition_config_selectorILNS1_17partition_subalgoE4EjNS0_10empty_typeEbEEZZNS1_14partition_implILS8_4ELb0ES6_15HIP_vector_typeIjLj2EENS0_17counting_iteratorIjlEEPS9_SG_NS0_5tupleIJPjSI_NS0_16reverse_iteratorISI_EEEEENSH_IJSG_SG_SG_EEES9_SI_JZNS1_25segmented_radix_sort_implINS0_14default_configELb0EPKhPhPKlPlN2at6native12_GLOBAL__N_18offset_tEEE10hipError_tPvRmT1_PNSt15iterator_traitsIS12_E10value_typeET2_T3_PNS13_IS18_E10value_typeET4_jRbjT5_S1E_jjP12ihipStream_tbEUljE_ZNSN_ISO_Lb0ESQ_SR_ST_SU_SY_EESZ_S10_S11_S12_S16_S17_S18_S1B_S1C_jS1D_jS1E_S1E_jjS1G_bEUljE0_EEESZ_S10_S11_S18_S1C_S1E_T6_T7_T9_mT8_S1G_bDpT10_ENKUlT_T0_E_clISt17integral_constantIbLb0EES1T_IbLb1EEEEDaS1P_S1Q_EUlS1P_E_NS1_11comp_targetILNS1_3genE9ELNS1_11target_archE1100ELNS1_3gpuE3ELNS1_3repE0EEENS1_30default_config_static_selectorELNS0_4arch9wavefront6targetE0EEEvS12_
	.p2align	8
	.type	_ZN7rocprim17ROCPRIM_400000_NS6detail17trampoline_kernelINS0_13select_configILj256ELj13ELNS0_17block_load_methodE3ELS4_3ELS4_3ELNS0_20block_scan_algorithmE0ELj4294967295EEENS1_25partition_config_selectorILNS1_17partition_subalgoE4EjNS0_10empty_typeEbEEZZNS1_14partition_implILS8_4ELb0ES6_15HIP_vector_typeIjLj2EENS0_17counting_iteratorIjlEEPS9_SG_NS0_5tupleIJPjSI_NS0_16reverse_iteratorISI_EEEEENSH_IJSG_SG_SG_EEES9_SI_JZNS1_25segmented_radix_sort_implINS0_14default_configELb0EPKhPhPKlPlN2at6native12_GLOBAL__N_18offset_tEEE10hipError_tPvRmT1_PNSt15iterator_traitsIS12_E10value_typeET2_T3_PNS13_IS18_E10value_typeET4_jRbjT5_S1E_jjP12ihipStream_tbEUljE_ZNSN_ISO_Lb0ESQ_SR_ST_SU_SY_EESZ_S10_S11_S12_S16_S17_S18_S1B_S1C_jS1D_jS1E_S1E_jjS1G_bEUljE0_EEESZ_S10_S11_S18_S1C_S1E_T6_T7_T9_mT8_S1G_bDpT10_ENKUlT_T0_E_clISt17integral_constantIbLb0EES1T_IbLb1EEEEDaS1P_S1Q_EUlS1P_E_NS1_11comp_targetILNS1_3genE9ELNS1_11target_archE1100ELNS1_3gpuE3ELNS1_3repE0EEENS1_30default_config_static_selectorELNS0_4arch9wavefront6targetE0EEEvS12_,@function
_ZN7rocprim17ROCPRIM_400000_NS6detail17trampoline_kernelINS0_13select_configILj256ELj13ELNS0_17block_load_methodE3ELS4_3ELS4_3ELNS0_20block_scan_algorithmE0ELj4294967295EEENS1_25partition_config_selectorILNS1_17partition_subalgoE4EjNS0_10empty_typeEbEEZZNS1_14partition_implILS8_4ELb0ES6_15HIP_vector_typeIjLj2EENS0_17counting_iteratorIjlEEPS9_SG_NS0_5tupleIJPjSI_NS0_16reverse_iteratorISI_EEEEENSH_IJSG_SG_SG_EEES9_SI_JZNS1_25segmented_radix_sort_implINS0_14default_configELb0EPKhPhPKlPlN2at6native12_GLOBAL__N_18offset_tEEE10hipError_tPvRmT1_PNSt15iterator_traitsIS12_E10value_typeET2_T3_PNS13_IS18_E10value_typeET4_jRbjT5_S1E_jjP12ihipStream_tbEUljE_ZNSN_ISO_Lb0ESQ_SR_ST_SU_SY_EESZ_S10_S11_S12_S16_S17_S18_S1B_S1C_jS1D_jS1E_S1E_jjS1G_bEUljE0_EEESZ_S10_S11_S18_S1C_S1E_T6_T7_T9_mT8_S1G_bDpT10_ENKUlT_T0_E_clISt17integral_constantIbLb0EES1T_IbLb1EEEEDaS1P_S1Q_EUlS1P_E_NS1_11comp_targetILNS1_3genE9ELNS1_11target_archE1100ELNS1_3gpuE3ELNS1_3repE0EEENS1_30default_config_static_selectorELNS0_4arch9wavefront6targetE0EEEvS12_: ; @_ZN7rocprim17ROCPRIM_400000_NS6detail17trampoline_kernelINS0_13select_configILj256ELj13ELNS0_17block_load_methodE3ELS4_3ELS4_3ELNS0_20block_scan_algorithmE0ELj4294967295EEENS1_25partition_config_selectorILNS1_17partition_subalgoE4EjNS0_10empty_typeEbEEZZNS1_14partition_implILS8_4ELb0ES6_15HIP_vector_typeIjLj2EENS0_17counting_iteratorIjlEEPS9_SG_NS0_5tupleIJPjSI_NS0_16reverse_iteratorISI_EEEEENSH_IJSG_SG_SG_EEES9_SI_JZNS1_25segmented_radix_sort_implINS0_14default_configELb0EPKhPhPKlPlN2at6native12_GLOBAL__N_18offset_tEEE10hipError_tPvRmT1_PNSt15iterator_traitsIS12_E10value_typeET2_T3_PNS13_IS18_E10value_typeET4_jRbjT5_S1E_jjP12ihipStream_tbEUljE_ZNSN_ISO_Lb0ESQ_SR_ST_SU_SY_EESZ_S10_S11_S12_S16_S17_S18_S1B_S1C_jS1D_jS1E_S1E_jjS1G_bEUljE0_EEESZ_S10_S11_S18_S1C_S1E_T6_T7_T9_mT8_S1G_bDpT10_ENKUlT_T0_E_clISt17integral_constantIbLb0EES1T_IbLb1EEEEDaS1P_S1Q_EUlS1P_E_NS1_11comp_targetILNS1_3genE9ELNS1_11target_archE1100ELNS1_3gpuE3ELNS1_3repE0EEENS1_30default_config_static_selectorELNS0_4arch9wavefront6targetE0EEEvS12_
; %bb.0:
	.section	.rodata,"a",@progbits
	.p2align	6, 0x0
	.amdhsa_kernel _ZN7rocprim17ROCPRIM_400000_NS6detail17trampoline_kernelINS0_13select_configILj256ELj13ELNS0_17block_load_methodE3ELS4_3ELS4_3ELNS0_20block_scan_algorithmE0ELj4294967295EEENS1_25partition_config_selectorILNS1_17partition_subalgoE4EjNS0_10empty_typeEbEEZZNS1_14partition_implILS8_4ELb0ES6_15HIP_vector_typeIjLj2EENS0_17counting_iteratorIjlEEPS9_SG_NS0_5tupleIJPjSI_NS0_16reverse_iteratorISI_EEEEENSH_IJSG_SG_SG_EEES9_SI_JZNS1_25segmented_radix_sort_implINS0_14default_configELb0EPKhPhPKlPlN2at6native12_GLOBAL__N_18offset_tEEE10hipError_tPvRmT1_PNSt15iterator_traitsIS12_E10value_typeET2_T3_PNS13_IS18_E10value_typeET4_jRbjT5_S1E_jjP12ihipStream_tbEUljE_ZNSN_ISO_Lb0ESQ_SR_ST_SU_SY_EESZ_S10_S11_S12_S16_S17_S18_S1B_S1C_jS1D_jS1E_S1E_jjS1G_bEUljE0_EEESZ_S10_S11_S18_S1C_S1E_T6_T7_T9_mT8_S1G_bDpT10_ENKUlT_T0_E_clISt17integral_constantIbLb0EES1T_IbLb1EEEEDaS1P_S1Q_EUlS1P_E_NS1_11comp_targetILNS1_3genE9ELNS1_11target_archE1100ELNS1_3gpuE3ELNS1_3repE0EEENS1_30default_config_static_selectorELNS0_4arch9wavefront6targetE0EEEvS12_
		.amdhsa_group_segment_fixed_size 0
		.amdhsa_private_segment_fixed_size 0
		.amdhsa_kernarg_size 184
		.amdhsa_user_sgpr_count 2
		.amdhsa_user_sgpr_dispatch_ptr 0
		.amdhsa_user_sgpr_queue_ptr 0
		.amdhsa_user_sgpr_kernarg_segment_ptr 1
		.amdhsa_user_sgpr_dispatch_id 0
		.amdhsa_user_sgpr_private_segment_size 0
		.amdhsa_wavefront_size32 1
		.amdhsa_uses_dynamic_stack 0
		.amdhsa_enable_private_segment 0
		.amdhsa_system_sgpr_workgroup_id_x 1
		.amdhsa_system_sgpr_workgroup_id_y 0
		.amdhsa_system_sgpr_workgroup_id_z 0
		.amdhsa_system_sgpr_workgroup_info 0
		.amdhsa_system_vgpr_workitem_id 0
		.amdhsa_next_free_vgpr 1
		.amdhsa_next_free_sgpr 1
		.amdhsa_reserve_vcc 0
		.amdhsa_float_round_mode_32 0
		.amdhsa_float_round_mode_16_64 0
		.amdhsa_float_denorm_mode_32 3
		.amdhsa_float_denorm_mode_16_64 3
		.amdhsa_fp16_overflow 0
		.amdhsa_workgroup_processor_mode 1
		.amdhsa_memory_ordered 1
		.amdhsa_forward_progress 1
		.amdhsa_inst_pref_size 0
		.amdhsa_round_robin_scheduling 0
		.amdhsa_exception_fp_ieee_invalid_op 0
		.amdhsa_exception_fp_denorm_src 0
		.amdhsa_exception_fp_ieee_div_zero 0
		.amdhsa_exception_fp_ieee_overflow 0
		.amdhsa_exception_fp_ieee_underflow 0
		.amdhsa_exception_fp_ieee_inexact 0
		.amdhsa_exception_int_div_zero 0
	.end_amdhsa_kernel
	.section	.text._ZN7rocprim17ROCPRIM_400000_NS6detail17trampoline_kernelINS0_13select_configILj256ELj13ELNS0_17block_load_methodE3ELS4_3ELS4_3ELNS0_20block_scan_algorithmE0ELj4294967295EEENS1_25partition_config_selectorILNS1_17partition_subalgoE4EjNS0_10empty_typeEbEEZZNS1_14partition_implILS8_4ELb0ES6_15HIP_vector_typeIjLj2EENS0_17counting_iteratorIjlEEPS9_SG_NS0_5tupleIJPjSI_NS0_16reverse_iteratorISI_EEEEENSH_IJSG_SG_SG_EEES9_SI_JZNS1_25segmented_radix_sort_implINS0_14default_configELb0EPKhPhPKlPlN2at6native12_GLOBAL__N_18offset_tEEE10hipError_tPvRmT1_PNSt15iterator_traitsIS12_E10value_typeET2_T3_PNS13_IS18_E10value_typeET4_jRbjT5_S1E_jjP12ihipStream_tbEUljE_ZNSN_ISO_Lb0ESQ_SR_ST_SU_SY_EESZ_S10_S11_S12_S16_S17_S18_S1B_S1C_jS1D_jS1E_S1E_jjS1G_bEUljE0_EEESZ_S10_S11_S18_S1C_S1E_T6_T7_T9_mT8_S1G_bDpT10_ENKUlT_T0_E_clISt17integral_constantIbLb0EES1T_IbLb1EEEEDaS1P_S1Q_EUlS1P_E_NS1_11comp_targetILNS1_3genE9ELNS1_11target_archE1100ELNS1_3gpuE3ELNS1_3repE0EEENS1_30default_config_static_selectorELNS0_4arch9wavefront6targetE0EEEvS12_,"axG",@progbits,_ZN7rocprim17ROCPRIM_400000_NS6detail17trampoline_kernelINS0_13select_configILj256ELj13ELNS0_17block_load_methodE3ELS4_3ELS4_3ELNS0_20block_scan_algorithmE0ELj4294967295EEENS1_25partition_config_selectorILNS1_17partition_subalgoE4EjNS0_10empty_typeEbEEZZNS1_14partition_implILS8_4ELb0ES6_15HIP_vector_typeIjLj2EENS0_17counting_iteratorIjlEEPS9_SG_NS0_5tupleIJPjSI_NS0_16reverse_iteratorISI_EEEEENSH_IJSG_SG_SG_EEES9_SI_JZNS1_25segmented_radix_sort_implINS0_14default_configELb0EPKhPhPKlPlN2at6native12_GLOBAL__N_18offset_tEEE10hipError_tPvRmT1_PNSt15iterator_traitsIS12_E10value_typeET2_T3_PNS13_IS18_E10value_typeET4_jRbjT5_S1E_jjP12ihipStream_tbEUljE_ZNSN_ISO_Lb0ESQ_SR_ST_SU_SY_EESZ_S10_S11_S12_S16_S17_S18_S1B_S1C_jS1D_jS1E_S1E_jjS1G_bEUljE0_EEESZ_S10_S11_S18_S1C_S1E_T6_T7_T9_mT8_S1G_bDpT10_ENKUlT_T0_E_clISt17integral_constantIbLb0EES1T_IbLb1EEEEDaS1P_S1Q_EUlS1P_E_NS1_11comp_targetILNS1_3genE9ELNS1_11target_archE1100ELNS1_3gpuE3ELNS1_3repE0EEENS1_30default_config_static_selectorELNS0_4arch9wavefront6targetE0EEEvS12_,comdat
.Lfunc_end152:
	.size	_ZN7rocprim17ROCPRIM_400000_NS6detail17trampoline_kernelINS0_13select_configILj256ELj13ELNS0_17block_load_methodE3ELS4_3ELS4_3ELNS0_20block_scan_algorithmE0ELj4294967295EEENS1_25partition_config_selectorILNS1_17partition_subalgoE4EjNS0_10empty_typeEbEEZZNS1_14partition_implILS8_4ELb0ES6_15HIP_vector_typeIjLj2EENS0_17counting_iteratorIjlEEPS9_SG_NS0_5tupleIJPjSI_NS0_16reverse_iteratorISI_EEEEENSH_IJSG_SG_SG_EEES9_SI_JZNS1_25segmented_radix_sort_implINS0_14default_configELb0EPKhPhPKlPlN2at6native12_GLOBAL__N_18offset_tEEE10hipError_tPvRmT1_PNSt15iterator_traitsIS12_E10value_typeET2_T3_PNS13_IS18_E10value_typeET4_jRbjT5_S1E_jjP12ihipStream_tbEUljE_ZNSN_ISO_Lb0ESQ_SR_ST_SU_SY_EESZ_S10_S11_S12_S16_S17_S18_S1B_S1C_jS1D_jS1E_S1E_jjS1G_bEUljE0_EEESZ_S10_S11_S18_S1C_S1E_T6_T7_T9_mT8_S1G_bDpT10_ENKUlT_T0_E_clISt17integral_constantIbLb0EES1T_IbLb1EEEEDaS1P_S1Q_EUlS1P_E_NS1_11comp_targetILNS1_3genE9ELNS1_11target_archE1100ELNS1_3gpuE3ELNS1_3repE0EEENS1_30default_config_static_selectorELNS0_4arch9wavefront6targetE0EEEvS12_, .Lfunc_end152-_ZN7rocprim17ROCPRIM_400000_NS6detail17trampoline_kernelINS0_13select_configILj256ELj13ELNS0_17block_load_methodE3ELS4_3ELS4_3ELNS0_20block_scan_algorithmE0ELj4294967295EEENS1_25partition_config_selectorILNS1_17partition_subalgoE4EjNS0_10empty_typeEbEEZZNS1_14partition_implILS8_4ELb0ES6_15HIP_vector_typeIjLj2EENS0_17counting_iteratorIjlEEPS9_SG_NS0_5tupleIJPjSI_NS0_16reverse_iteratorISI_EEEEENSH_IJSG_SG_SG_EEES9_SI_JZNS1_25segmented_radix_sort_implINS0_14default_configELb0EPKhPhPKlPlN2at6native12_GLOBAL__N_18offset_tEEE10hipError_tPvRmT1_PNSt15iterator_traitsIS12_E10value_typeET2_T3_PNS13_IS18_E10value_typeET4_jRbjT5_S1E_jjP12ihipStream_tbEUljE_ZNSN_ISO_Lb0ESQ_SR_ST_SU_SY_EESZ_S10_S11_S12_S16_S17_S18_S1B_S1C_jS1D_jS1E_S1E_jjS1G_bEUljE0_EEESZ_S10_S11_S18_S1C_S1E_T6_T7_T9_mT8_S1G_bDpT10_ENKUlT_T0_E_clISt17integral_constantIbLb0EES1T_IbLb1EEEEDaS1P_S1Q_EUlS1P_E_NS1_11comp_targetILNS1_3genE9ELNS1_11target_archE1100ELNS1_3gpuE3ELNS1_3repE0EEENS1_30default_config_static_selectorELNS0_4arch9wavefront6targetE0EEEvS12_
                                        ; -- End function
	.set _ZN7rocprim17ROCPRIM_400000_NS6detail17trampoline_kernelINS0_13select_configILj256ELj13ELNS0_17block_load_methodE3ELS4_3ELS4_3ELNS0_20block_scan_algorithmE0ELj4294967295EEENS1_25partition_config_selectorILNS1_17partition_subalgoE4EjNS0_10empty_typeEbEEZZNS1_14partition_implILS8_4ELb0ES6_15HIP_vector_typeIjLj2EENS0_17counting_iteratorIjlEEPS9_SG_NS0_5tupleIJPjSI_NS0_16reverse_iteratorISI_EEEEENSH_IJSG_SG_SG_EEES9_SI_JZNS1_25segmented_radix_sort_implINS0_14default_configELb0EPKhPhPKlPlN2at6native12_GLOBAL__N_18offset_tEEE10hipError_tPvRmT1_PNSt15iterator_traitsIS12_E10value_typeET2_T3_PNS13_IS18_E10value_typeET4_jRbjT5_S1E_jjP12ihipStream_tbEUljE_ZNSN_ISO_Lb0ESQ_SR_ST_SU_SY_EESZ_S10_S11_S12_S16_S17_S18_S1B_S1C_jS1D_jS1E_S1E_jjS1G_bEUljE0_EEESZ_S10_S11_S18_S1C_S1E_T6_T7_T9_mT8_S1G_bDpT10_ENKUlT_T0_E_clISt17integral_constantIbLb0EES1T_IbLb1EEEEDaS1P_S1Q_EUlS1P_E_NS1_11comp_targetILNS1_3genE9ELNS1_11target_archE1100ELNS1_3gpuE3ELNS1_3repE0EEENS1_30default_config_static_selectorELNS0_4arch9wavefront6targetE0EEEvS12_.num_vgpr, 0
	.set _ZN7rocprim17ROCPRIM_400000_NS6detail17trampoline_kernelINS0_13select_configILj256ELj13ELNS0_17block_load_methodE3ELS4_3ELS4_3ELNS0_20block_scan_algorithmE0ELj4294967295EEENS1_25partition_config_selectorILNS1_17partition_subalgoE4EjNS0_10empty_typeEbEEZZNS1_14partition_implILS8_4ELb0ES6_15HIP_vector_typeIjLj2EENS0_17counting_iteratorIjlEEPS9_SG_NS0_5tupleIJPjSI_NS0_16reverse_iteratorISI_EEEEENSH_IJSG_SG_SG_EEES9_SI_JZNS1_25segmented_radix_sort_implINS0_14default_configELb0EPKhPhPKlPlN2at6native12_GLOBAL__N_18offset_tEEE10hipError_tPvRmT1_PNSt15iterator_traitsIS12_E10value_typeET2_T3_PNS13_IS18_E10value_typeET4_jRbjT5_S1E_jjP12ihipStream_tbEUljE_ZNSN_ISO_Lb0ESQ_SR_ST_SU_SY_EESZ_S10_S11_S12_S16_S17_S18_S1B_S1C_jS1D_jS1E_S1E_jjS1G_bEUljE0_EEESZ_S10_S11_S18_S1C_S1E_T6_T7_T9_mT8_S1G_bDpT10_ENKUlT_T0_E_clISt17integral_constantIbLb0EES1T_IbLb1EEEEDaS1P_S1Q_EUlS1P_E_NS1_11comp_targetILNS1_3genE9ELNS1_11target_archE1100ELNS1_3gpuE3ELNS1_3repE0EEENS1_30default_config_static_selectorELNS0_4arch9wavefront6targetE0EEEvS12_.num_agpr, 0
	.set _ZN7rocprim17ROCPRIM_400000_NS6detail17trampoline_kernelINS0_13select_configILj256ELj13ELNS0_17block_load_methodE3ELS4_3ELS4_3ELNS0_20block_scan_algorithmE0ELj4294967295EEENS1_25partition_config_selectorILNS1_17partition_subalgoE4EjNS0_10empty_typeEbEEZZNS1_14partition_implILS8_4ELb0ES6_15HIP_vector_typeIjLj2EENS0_17counting_iteratorIjlEEPS9_SG_NS0_5tupleIJPjSI_NS0_16reverse_iteratorISI_EEEEENSH_IJSG_SG_SG_EEES9_SI_JZNS1_25segmented_radix_sort_implINS0_14default_configELb0EPKhPhPKlPlN2at6native12_GLOBAL__N_18offset_tEEE10hipError_tPvRmT1_PNSt15iterator_traitsIS12_E10value_typeET2_T3_PNS13_IS18_E10value_typeET4_jRbjT5_S1E_jjP12ihipStream_tbEUljE_ZNSN_ISO_Lb0ESQ_SR_ST_SU_SY_EESZ_S10_S11_S12_S16_S17_S18_S1B_S1C_jS1D_jS1E_S1E_jjS1G_bEUljE0_EEESZ_S10_S11_S18_S1C_S1E_T6_T7_T9_mT8_S1G_bDpT10_ENKUlT_T0_E_clISt17integral_constantIbLb0EES1T_IbLb1EEEEDaS1P_S1Q_EUlS1P_E_NS1_11comp_targetILNS1_3genE9ELNS1_11target_archE1100ELNS1_3gpuE3ELNS1_3repE0EEENS1_30default_config_static_selectorELNS0_4arch9wavefront6targetE0EEEvS12_.numbered_sgpr, 0
	.set _ZN7rocprim17ROCPRIM_400000_NS6detail17trampoline_kernelINS0_13select_configILj256ELj13ELNS0_17block_load_methodE3ELS4_3ELS4_3ELNS0_20block_scan_algorithmE0ELj4294967295EEENS1_25partition_config_selectorILNS1_17partition_subalgoE4EjNS0_10empty_typeEbEEZZNS1_14partition_implILS8_4ELb0ES6_15HIP_vector_typeIjLj2EENS0_17counting_iteratorIjlEEPS9_SG_NS0_5tupleIJPjSI_NS0_16reverse_iteratorISI_EEEEENSH_IJSG_SG_SG_EEES9_SI_JZNS1_25segmented_radix_sort_implINS0_14default_configELb0EPKhPhPKlPlN2at6native12_GLOBAL__N_18offset_tEEE10hipError_tPvRmT1_PNSt15iterator_traitsIS12_E10value_typeET2_T3_PNS13_IS18_E10value_typeET4_jRbjT5_S1E_jjP12ihipStream_tbEUljE_ZNSN_ISO_Lb0ESQ_SR_ST_SU_SY_EESZ_S10_S11_S12_S16_S17_S18_S1B_S1C_jS1D_jS1E_S1E_jjS1G_bEUljE0_EEESZ_S10_S11_S18_S1C_S1E_T6_T7_T9_mT8_S1G_bDpT10_ENKUlT_T0_E_clISt17integral_constantIbLb0EES1T_IbLb1EEEEDaS1P_S1Q_EUlS1P_E_NS1_11comp_targetILNS1_3genE9ELNS1_11target_archE1100ELNS1_3gpuE3ELNS1_3repE0EEENS1_30default_config_static_selectorELNS0_4arch9wavefront6targetE0EEEvS12_.num_named_barrier, 0
	.set _ZN7rocprim17ROCPRIM_400000_NS6detail17trampoline_kernelINS0_13select_configILj256ELj13ELNS0_17block_load_methodE3ELS4_3ELS4_3ELNS0_20block_scan_algorithmE0ELj4294967295EEENS1_25partition_config_selectorILNS1_17partition_subalgoE4EjNS0_10empty_typeEbEEZZNS1_14partition_implILS8_4ELb0ES6_15HIP_vector_typeIjLj2EENS0_17counting_iteratorIjlEEPS9_SG_NS0_5tupleIJPjSI_NS0_16reverse_iteratorISI_EEEEENSH_IJSG_SG_SG_EEES9_SI_JZNS1_25segmented_radix_sort_implINS0_14default_configELb0EPKhPhPKlPlN2at6native12_GLOBAL__N_18offset_tEEE10hipError_tPvRmT1_PNSt15iterator_traitsIS12_E10value_typeET2_T3_PNS13_IS18_E10value_typeET4_jRbjT5_S1E_jjP12ihipStream_tbEUljE_ZNSN_ISO_Lb0ESQ_SR_ST_SU_SY_EESZ_S10_S11_S12_S16_S17_S18_S1B_S1C_jS1D_jS1E_S1E_jjS1G_bEUljE0_EEESZ_S10_S11_S18_S1C_S1E_T6_T7_T9_mT8_S1G_bDpT10_ENKUlT_T0_E_clISt17integral_constantIbLb0EES1T_IbLb1EEEEDaS1P_S1Q_EUlS1P_E_NS1_11comp_targetILNS1_3genE9ELNS1_11target_archE1100ELNS1_3gpuE3ELNS1_3repE0EEENS1_30default_config_static_selectorELNS0_4arch9wavefront6targetE0EEEvS12_.private_seg_size, 0
	.set _ZN7rocprim17ROCPRIM_400000_NS6detail17trampoline_kernelINS0_13select_configILj256ELj13ELNS0_17block_load_methodE3ELS4_3ELS4_3ELNS0_20block_scan_algorithmE0ELj4294967295EEENS1_25partition_config_selectorILNS1_17partition_subalgoE4EjNS0_10empty_typeEbEEZZNS1_14partition_implILS8_4ELb0ES6_15HIP_vector_typeIjLj2EENS0_17counting_iteratorIjlEEPS9_SG_NS0_5tupleIJPjSI_NS0_16reverse_iteratorISI_EEEEENSH_IJSG_SG_SG_EEES9_SI_JZNS1_25segmented_radix_sort_implINS0_14default_configELb0EPKhPhPKlPlN2at6native12_GLOBAL__N_18offset_tEEE10hipError_tPvRmT1_PNSt15iterator_traitsIS12_E10value_typeET2_T3_PNS13_IS18_E10value_typeET4_jRbjT5_S1E_jjP12ihipStream_tbEUljE_ZNSN_ISO_Lb0ESQ_SR_ST_SU_SY_EESZ_S10_S11_S12_S16_S17_S18_S1B_S1C_jS1D_jS1E_S1E_jjS1G_bEUljE0_EEESZ_S10_S11_S18_S1C_S1E_T6_T7_T9_mT8_S1G_bDpT10_ENKUlT_T0_E_clISt17integral_constantIbLb0EES1T_IbLb1EEEEDaS1P_S1Q_EUlS1P_E_NS1_11comp_targetILNS1_3genE9ELNS1_11target_archE1100ELNS1_3gpuE3ELNS1_3repE0EEENS1_30default_config_static_selectorELNS0_4arch9wavefront6targetE0EEEvS12_.uses_vcc, 0
	.set _ZN7rocprim17ROCPRIM_400000_NS6detail17trampoline_kernelINS0_13select_configILj256ELj13ELNS0_17block_load_methodE3ELS4_3ELS4_3ELNS0_20block_scan_algorithmE0ELj4294967295EEENS1_25partition_config_selectorILNS1_17partition_subalgoE4EjNS0_10empty_typeEbEEZZNS1_14partition_implILS8_4ELb0ES6_15HIP_vector_typeIjLj2EENS0_17counting_iteratorIjlEEPS9_SG_NS0_5tupleIJPjSI_NS0_16reverse_iteratorISI_EEEEENSH_IJSG_SG_SG_EEES9_SI_JZNS1_25segmented_radix_sort_implINS0_14default_configELb0EPKhPhPKlPlN2at6native12_GLOBAL__N_18offset_tEEE10hipError_tPvRmT1_PNSt15iterator_traitsIS12_E10value_typeET2_T3_PNS13_IS18_E10value_typeET4_jRbjT5_S1E_jjP12ihipStream_tbEUljE_ZNSN_ISO_Lb0ESQ_SR_ST_SU_SY_EESZ_S10_S11_S12_S16_S17_S18_S1B_S1C_jS1D_jS1E_S1E_jjS1G_bEUljE0_EEESZ_S10_S11_S18_S1C_S1E_T6_T7_T9_mT8_S1G_bDpT10_ENKUlT_T0_E_clISt17integral_constantIbLb0EES1T_IbLb1EEEEDaS1P_S1Q_EUlS1P_E_NS1_11comp_targetILNS1_3genE9ELNS1_11target_archE1100ELNS1_3gpuE3ELNS1_3repE0EEENS1_30default_config_static_selectorELNS0_4arch9wavefront6targetE0EEEvS12_.uses_flat_scratch, 0
	.set _ZN7rocprim17ROCPRIM_400000_NS6detail17trampoline_kernelINS0_13select_configILj256ELj13ELNS0_17block_load_methodE3ELS4_3ELS4_3ELNS0_20block_scan_algorithmE0ELj4294967295EEENS1_25partition_config_selectorILNS1_17partition_subalgoE4EjNS0_10empty_typeEbEEZZNS1_14partition_implILS8_4ELb0ES6_15HIP_vector_typeIjLj2EENS0_17counting_iteratorIjlEEPS9_SG_NS0_5tupleIJPjSI_NS0_16reverse_iteratorISI_EEEEENSH_IJSG_SG_SG_EEES9_SI_JZNS1_25segmented_radix_sort_implINS0_14default_configELb0EPKhPhPKlPlN2at6native12_GLOBAL__N_18offset_tEEE10hipError_tPvRmT1_PNSt15iterator_traitsIS12_E10value_typeET2_T3_PNS13_IS18_E10value_typeET4_jRbjT5_S1E_jjP12ihipStream_tbEUljE_ZNSN_ISO_Lb0ESQ_SR_ST_SU_SY_EESZ_S10_S11_S12_S16_S17_S18_S1B_S1C_jS1D_jS1E_S1E_jjS1G_bEUljE0_EEESZ_S10_S11_S18_S1C_S1E_T6_T7_T9_mT8_S1G_bDpT10_ENKUlT_T0_E_clISt17integral_constantIbLb0EES1T_IbLb1EEEEDaS1P_S1Q_EUlS1P_E_NS1_11comp_targetILNS1_3genE9ELNS1_11target_archE1100ELNS1_3gpuE3ELNS1_3repE0EEENS1_30default_config_static_selectorELNS0_4arch9wavefront6targetE0EEEvS12_.has_dyn_sized_stack, 0
	.set _ZN7rocprim17ROCPRIM_400000_NS6detail17trampoline_kernelINS0_13select_configILj256ELj13ELNS0_17block_load_methodE3ELS4_3ELS4_3ELNS0_20block_scan_algorithmE0ELj4294967295EEENS1_25partition_config_selectorILNS1_17partition_subalgoE4EjNS0_10empty_typeEbEEZZNS1_14partition_implILS8_4ELb0ES6_15HIP_vector_typeIjLj2EENS0_17counting_iteratorIjlEEPS9_SG_NS0_5tupleIJPjSI_NS0_16reverse_iteratorISI_EEEEENSH_IJSG_SG_SG_EEES9_SI_JZNS1_25segmented_radix_sort_implINS0_14default_configELb0EPKhPhPKlPlN2at6native12_GLOBAL__N_18offset_tEEE10hipError_tPvRmT1_PNSt15iterator_traitsIS12_E10value_typeET2_T3_PNS13_IS18_E10value_typeET4_jRbjT5_S1E_jjP12ihipStream_tbEUljE_ZNSN_ISO_Lb0ESQ_SR_ST_SU_SY_EESZ_S10_S11_S12_S16_S17_S18_S1B_S1C_jS1D_jS1E_S1E_jjS1G_bEUljE0_EEESZ_S10_S11_S18_S1C_S1E_T6_T7_T9_mT8_S1G_bDpT10_ENKUlT_T0_E_clISt17integral_constantIbLb0EES1T_IbLb1EEEEDaS1P_S1Q_EUlS1P_E_NS1_11comp_targetILNS1_3genE9ELNS1_11target_archE1100ELNS1_3gpuE3ELNS1_3repE0EEENS1_30default_config_static_selectorELNS0_4arch9wavefront6targetE0EEEvS12_.has_recursion, 0
	.set _ZN7rocprim17ROCPRIM_400000_NS6detail17trampoline_kernelINS0_13select_configILj256ELj13ELNS0_17block_load_methodE3ELS4_3ELS4_3ELNS0_20block_scan_algorithmE0ELj4294967295EEENS1_25partition_config_selectorILNS1_17partition_subalgoE4EjNS0_10empty_typeEbEEZZNS1_14partition_implILS8_4ELb0ES6_15HIP_vector_typeIjLj2EENS0_17counting_iteratorIjlEEPS9_SG_NS0_5tupleIJPjSI_NS0_16reverse_iteratorISI_EEEEENSH_IJSG_SG_SG_EEES9_SI_JZNS1_25segmented_radix_sort_implINS0_14default_configELb0EPKhPhPKlPlN2at6native12_GLOBAL__N_18offset_tEEE10hipError_tPvRmT1_PNSt15iterator_traitsIS12_E10value_typeET2_T3_PNS13_IS18_E10value_typeET4_jRbjT5_S1E_jjP12ihipStream_tbEUljE_ZNSN_ISO_Lb0ESQ_SR_ST_SU_SY_EESZ_S10_S11_S12_S16_S17_S18_S1B_S1C_jS1D_jS1E_S1E_jjS1G_bEUljE0_EEESZ_S10_S11_S18_S1C_S1E_T6_T7_T9_mT8_S1G_bDpT10_ENKUlT_T0_E_clISt17integral_constantIbLb0EES1T_IbLb1EEEEDaS1P_S1Q_EUlS1P_E_NS1_11comp_targetILNS1_3genE9ELNS1_11target_archE1100ELNS1_3gpuE3ELNS1_3repE0EEENS1_30default_config_static_selectorELNS0_4arch9wavefront6targetE0EEEvS12_.has_indirect_call, 0
	.section	.AMDGPU.csdata,"",@progbits
; Kernel info:
; codeLenInByte = 0
; TotalNumSgprs: 0
; NumVgprs: 0
; ScratchSize: 0
; MemoryBound: 0
; FloatMode: 240
; IeeeMode: 1
; LDSByteSize: 0 bytes/workgroup (compile time only)
; SGPRBlocks: 0
; VGPRBlocks: 0
; NumSGPRsForWavesPerEU: 1
; NumVGPRsForWavesPerEU: 1
; Occupancy: 16
; WaveLimiterHint : 0
; COMPUTE_PGM_RSRC2:SCRATCH_EN: 0
; COMPUTE_PGM_RSRC2:USER_SGPR: 2
; COMPUTE_PGM_RSRC2:TRAP_HANDLER: 0
; COMPUTE_PGM_RSRC2:TGID_X_EN: 1
; COMPUTE_PGM_RSRC2:TGID_Y_EN: 0
; COMPUTE_PGM_RSRC2:TGID_Z_EN: 0
; COMPUTE_PGM_RSRC2:TIDIG_COMP_CNT: 0
	.section	.text._ZN7rocprim17ROCPRIM_400000_NS6detail17trampoline_kernelINS0_13select_configILj256ELj13ELNS0_17block_load_methodE3ELS4_3ELS4_3ELNS0_20block_scan_algorithmE0ELj4294967295EEENS1_25partition_config_selectorILNS1_17partition_subalgoE4EjNS0_10empty_typeEbEEZZNS1_14partition_implILS8_4ELb0ES6_15HIP_vector_typeIjLj2EENS0_17counting_iteratorIjlEEPS9_SG_NS0_5tupleIJPjSI_NS0_16reverse_iteratorISI_EEEEENSH_IJSG_SG_SG_EEES9_SI_JZNS1_25segmented_radix_sort_implINS0_14default_configELb0EPKhPhPKlPlN2at6native12_GLOBAL__N_18offset_tEEE10hipError_tPvRmT1_PNSt15iterator_traitsIS12_E10value_typeET2_T3_PNS13_IS18_E10value_typeET4_jRbjT5_S1E_jjP12ihipStream_tbEUljE_ZNSN_ISO_Lb0ESQ_SR_ST_SU_SY_EESZ_S10_S11_S12_S16_S17_S18_S1B_S1C_jS1D_jS1E_S1E_jjS1G_bEUljE0_EEESZ_S10_S11_S18_S1C_S1E_T6_T7_T9_mT8_S1G_bDpT10_ENKUlT_T0_E_clISt17integral_constantIbLb0EES1T_IbLb1EEEEDaS1P_S1Q_EUlS1P_E_NS1_11comp_targetILNS1_3genE8ELNS1_11target_archE1030ELNS1_3gpuE2ELNS1_3repE0EEENS1_30default_config_static_selectorELNS0_4arch9wavefront6targetE0EEEvS12_,"axG",@progbits,_ZN7rocprim17ROCPRIM_400000_NS6detail17trampoline_kernelINS0_13select_configILj256ELj13ELNS0_17block_load_methodE3ELS4_3ELS4_3ELNS0_20block_scan_algorithmE0ELj4294967295EEENS1_25partition_config_selectorILNS1_17partition_subalgoE4EjNS0_10empty_typeEbEEZZNS1_14partition_implILS8_4ELb0ES6_15HIP_vector_typeIjLj2EENS0_17counting_iteratorIjlEEPS9_SG_NS0_5tupleIJPjSI_NS0_16reverse_iteratorISI_EEEEENSH_IJSG_SG_SG_EEES9_SI_JZNS1_25segmented_radix_sort_implINS0_14default_configELb0EPKhPhPKlPlN2at6native12_GLOBAL__N_18offset_tEEE10hipError_tPvRmT1_PNSt15iterator_traitsIS12_E10value_typeET2_T3_PNS13_IS18_E10value_typeET4_jRbjT5_S1E_jjP12ihipStream_tbEUljE_ZNSN_ISO_Lb0ESQ_SR_ST_SU_SY_EESZ_S10_S11_S12_S16_S17_S18_S1B_S1C_jS1D_jS1E_S1E_jjS1G_bEUljE0_EEESZ_S10_S11_S18_S1C_S1E_T6_T7_T9_mT8_S1G_bDpT10_ENKUlT_T0_E_clISt17integral_constantIbLb0EES1T_IbLb1EEEEDaS1P_S1Q_EUlS1P_E_NS1_11comp_targetILNS1_3genE8ELNS1_11target_archE1030ELNS1_3gpuE2ELNS1_3repE0EEENS1_30default_config_static_selectorELNS0_4arch9wavefront6targetE0EEEvS12_,comdat
	.globl	_ZN7rocprim17ROCPRIM_400000_NS6detail17trampoline_kernelINS0_13select_configILj256ELj13ELNS0_17block_load_methodE3ELS4_3ELS4_3ELNS0_20block_scan_algorithmE0ELj4294967295EEENS1_25partition_config_selectorILNS1_17partition_subalgoE4EjNS0_10empty_typeEbEEZZNS1_14partition_implILS8_4ELb0ES6_15HIP_vector_typeIjLj2EENS0_17counting_iteratorIjlEEPS9_SG_NS0_5tupleIJPjSI_NS0_16reverse_iteratorISI_EEEEENSH_IJSG_SG_SG_EEES9_SI_JZNS1_25segmented_radix_sort_implINS0_14default_configELb0EPKhPhPKlPlN2at6native12_GLOBAL__N_18offset_tEEE10hipError_tPvRmT1_PNSt15iterator_traitsIS12_E10value_typeET2_T3_PNS13_IS18_E10value_typeET4_jRbjT5_S1E_jjP12ihipStream_tbEUljE_ZNSN_ISO_Lb0ESQ_SR_ST_SU_SY_EESZ_S10_S11_S12_S16_S17_S18_S1B_S1C_jS1D_jS1E_S1E_jjS1G_bEUljE0_EEESZ_S10_S11_S18_S1C_S1E_T6_T7_T9_mT8_S1G_bDpT10_ENKUlT_T0_E_clISt17integral_constantIbLb0EES1T_IbLb1EEEEDaS1P_S1Q_EUlS1P_E_NS1_11comp_targetILNS1_3genE8ELNS1_11target_archE1030ELNS1_3gpuE2ELNS1_3repE0EEENS1_30default_config_static_selectorELNS0_4arch9wavefront6targetE0EEEvS12_ ; -- Begin function _ZN7rocprim17ROCPRIM_400000_NS6detail17trampoline_kernelINS0_13select_configILj256ELj13ELNS0_17block_load_methodE3ELS4_3ELS4_3ELNS0_20block_scan_algorithmE0ELj4294967295EEENS1_25partition_config_selectorILNS1_17partition_subalgoE4EjNS0_10empty_typeEbEEZZNS1_14partition_implILS8_4ELb0ES6_15HIP_vector_typeIjLj2EENS0_17counting_iteratorIjlEEPS9_SG_NS0_5tupleIJPjSI_NS0_16reverse_iteratorISI_EEEEENSH_IJSG_SG_SG_EEES9_SI_JZNS1_25segmented_radix_sort_implINS0_14default_configELb0EPKhPhPKlPlN2at6native12_GLOBAL__N_18offset_tEEE10hipError_tPvRmT1_PNSt15iterator_traitsIS12_E10value_typeET2_T3_PNS13_IS18_E10value_typeET4_jRbjT5_S1E_jjP12ihipStream_tbEUljE_ZNSN_ISO_Lb0ESQ_SR_ST_SU_SY_EESZ_S10_S11_S12_S16_S17_S18_S1B_S1C_jS1D_jS1E_S1E_jjS1G_bEUljE0_EEESZ_S10_S11_S18_S1C_S1E_T6_T7_T9_mT8_S1G_bDpT10_ENKUlT_T0_E_clISt17integral_constantIbLb0EES1T_IbLb1EEEEDaS1P_S1Q_EUlS1P_E_NS1_11comp_targetILNS1_3genE8ELNS1_11target_archE1030ELNS1_3gpuE2ELNS1_3repE0EEENS1_30default_config_static_selectorELNS0_4arch9wavefront6targetE0EEEvS12_
	.p2align	8
	.type	_ZN7rocprim17ROCPRIM_400000_NS6detail17trampoline_kernelINS0_13select_configILj256ELj13ELNS0_17block_load_methodE3ELS4_3ELS4_3ELNS0_20block_scan_algorithmE0ELj4294967295EEENS1_25partition_config_selectorILNS1_17partition_subalgoE4EjNS0_10empty_typeEbEEZZNS1_14partition_implILS8_4ELb0ES6_15HIP_vector_typeIjLj2EENS0_17counting_iteratorIjlEEPS9_SG_NS0_5tupleIJPjSI_NS0_16reverse_iteratorISI_EEEEENSH_IJSG_SG_SG_EEES9_SI_JZNS1_25segmented_radix_sort_implINS0_14default_configELb0EPKhPhPKlPlN2at6native12_GLOBAL__N_18offset_tEEE10hipError_tPvRmT1_PNSt15iterator_traitsIS12_E10value_typeET2_T3_PNS13_IS18_E10value_typeET4_jRbjT5_S1E_jjP12ihipStream_tbEUljE_ZNSN_ISO_Lb0ESQ_SR_ST_SU_SY_EESZ_S10_S11_S12_S16_S17_S18_S1B_S1C_jS1D_jS1E_S1E_jjS1G_bEUljE0_EEESZ_S10_S11_S18_S1C_S1E_T6_T7_T9_mT8_S1G_bDpT10_ENKUlT_T0_E_clISt17integral_constantIbLb0EES1T_IbLb1EEEEDaS1P_S1Q_EUlS1P_E_NS1_11comp_targetILNS1_3genE8ELNS1_11target_archE1030ELNS1_3gpuE2ELNS1_3repE0EEENS1_30default_config_static_selectorELNS0_4arch9wavefront6targetE0EEEvS12_,@function
_ZN7rocprim17ROCPRIM_400000_NS6detail17trampoline_kernelINS0_13select_configILj256ELj13ELNS0_17block_load_methodE3ELS4_3ELS4_3ELNS0_20block_scan_algorithmE0ELj4294967295EEENS1_25partition_config_selectorILNS1_17partition_subalgoE4EjNS0_10empty_typeEbEEZZNS1_14partition_implILS8_4ELb0ES6_15HIP_vector_typeIjLj2EENS0_17counting_iteratorIjlEEPS9_SG_NS0_5tupleIJPjSI_NS0_16reverse_iteratorISI_EEEEENSH_IJSG_SG_SG_EEES9_SI_JZNS1_25segmented_radix_sort_implINS0_14default_configELb0EPKhPhPKlPlN2at6native12_GLOBAL__N_18offset_tEEE10hipError_tPvRmT1_PNSt15iterator_traitsIS12_E10value_typeET2_T3_PNS13_IS18_E10value_typeET4_jRbjT5_S1E_jjP12ihipStream_tbEUljE_ZNSN_ISO_Lb0ESQ_SR_ST_SU_SY_EESZ_S10_S11_S12_S16_S17_S18_S1B_S1C_jS1D_jS1E_S1E_jjS1G_bEUljE0_EEESZ_S10_S11_S18_S1C_S1E_T6_T7_T9_mT8_S1G_bDpT10_ENKUlT_T0_E_clISt17integral_constantIbLb0EES1T_IbLb1EEEEDaS1P_S1Q_EUlS1P_E_NS1_11comp_targetILNS1_3genE8ELNS1_11target_archE1030ELNS1_3gpuE2ELNS1_3repE0EEENS1_30default_config_static_selectorELNS0_4arch9wavefront6targetE0EEEvS12_: ; @_ZN7rocprim17ROCPRIM_400000_NS6detail17trampoline_kernelINS0_13select_configILj256ELj13ELNS0_17block_load_methodE3ELS4_3ELS4_3ELNS0_20block_scan_algorithmE0ELj4294967295EEENS1_25partition_config_selectorILNS1_17partition_subalgoE4EjNS0_10empty_typeEbEEZZNS1_14partition_implILS8_4ELb0ES6_15HIP_vector_typeIjLj2EENS0_17counting_iteratorIjlEEPS9_SG_NS0_5tupleIJPjSI_NS0_16reverse_iteratorISI_EEEEENSH_IJSG_SG_SG_EEES9_SI_JZNS1_25segmented_radix_sort_implINS0_14default_configELb0EPKhPhPKlPlN2at6native12_GLOBAL__N_18offset_tEEE10hipError_tPvRmT1_PNSt15iterator_traitsIS12_E10value_typeET2_T3_PNS13_IS18_E10value_typeET4_jRbjT5_S1E_jjP12ihipStream_tbEUljE_ZNSN_ISO_Lb0ESQ_SR_ST_SU_SY_EESZ_S10_S11_S12_S16_S17_S18_S1B_S1C_jS1D_jS1E_S1E_jjS1G_bEUljE0_EEESZ_S10_S11_S18_S1C_S1E_T6_T7_T9_mT8_S1G_bDpT10_ENKUlT_T0_E_clISt17integral_constantIbLb0EES1T_IbLb1EEEEDaS1P_S1Q_EUlS1P_E_NS1_11comp_targetILNS1_3genE8ELNS1_11target_archE1030ELNS1_3gpuE2ELNS1_3repE0EEENS1_30default_config_static_selectorELNS0_4arch9wavefront6targetE0EEEvS12_
; %bb.0:
	.section	.rodata,"a",@progbits
	.p2align	6, 0x0
	.amdhsa_kernel _ZN7rocprim17ROCPRIM_400000_NS6detail17trampoline_kernelINS0_13select_configILj256ELj13ELNS0_17block_load_methodE3ELS4_3ELS4_3ELNS0_20block_scan_algorithmE0ELj4294967295EEENS1_25partition_config_selectorILNS1_17partition_subalgoE4EjNS0_10empty_typeEbEEZZNS1_14partition_implILS8_4ELb0ES6_15HIP_vector_typeIjLj2EENS0_17counting_iteratorIjlEEPS9_SG_NS0_5tupleIJPjSI_NS0_16reverse_iteratorISI_EEEEENSH_IJSG_SG_SG_EEES9_SI_JZNS1_25segmented_radix_sort_implINS0_14default_configELb0EPKhPhPKlPlN2at6native12_GLOBAL__N_18offset_tEEE10hipError_tPvRmT1_PNSt15iterator_traitsIS12_E10value_typeET2_T3_PNS13_IS18_E10value_typeET4_jRbjT5_S1E_jjP12ihipStream_tbEUljE_ZNSN_ISO_Lb0ESQ_SR_ST_SU_SY_EESZ_S10_S11_S12_S16_S17_S18_S1B_S1C_jS1D_jS1E_S1E_jjS1G_bEUljE0_EEESZ_S10_S11_S18_S1C_S1E_T6_T7_T9_mT8_S1G_bDpT10_ENKUlT_T0_E_clISt17integral_constantIbLb0EES1T_IbLb1EEEEDaS1P_S1Q_EUlS1P_E_NS1_11comp_targetILNS1_3genE8ELNS1_11target_archE1030ELNS1_3gpuE2ELNS1_3repE0EEENS1_30default_config_static_selectorELNS0_4arch9wavefront6targetE0EEEvS12_
		.amdhsa_group_segment_fixed_size 0
		.amdhsa_private_segment_fixed_size 0
		.amdhsa_kernarg_size 184
		.amdhsa_user_sgpr_count 2
		.amdhsa_user_sgpr_dispatch_ptr 0
		.amdhsa_user_sgpr_queue_ptr 0
		.amdhsa_user_sgpr_kernarg_segment_ptr 1
		.amdhsa_user_sgpr_dispatch_id 0
		.amdhsa_user_sgpr_private_segment_size 0
		.amdhsa_wavefront_size32 1
		.amdhsa_uses_dynamic_stack 0
		.amdhsa_enable_private_segment 0
		.amdhsa_system_sgpr_workgroup_id_x 1
		.amdhsa_system_sgpr_workgroup_id_y 0
		.amdhsa_system_sgpr_workgroup_id_z 0
		.amdhsa_system_sgpr_workgroup_info 0
		.amdhsa_system_vgpr_workitem_id 0
		.amdhsa_next_free_vgpr 1
		.amdhsa_next_free_sgpr 1
		.amdhsa_reserve_vcc 0
		.amdhsa_float_round_mode_32 0
		.amdhsa_float_round_mode_16_64 0
		.amdhsa_float_denorm_mode_32 3
		.amdhsa_float_denorm_mode_16_64 3
		.amdhsa_fp16_overflow 0
		.amdhsa_workgroup_processor_mode 1
		.amdhsa_memory_ordered 1
		.amdhsa_forward_progress 1
		.amdhsa_inst_pref_size 0
		.amdhsa_round_robin_scheduling 0
		.amdhsa_exception_fp_ieee_invalid_op 0
		.amdhsa_exception_fp_denorm_src 0
		.amdhsa_exception_fp_ieee_div_zero 0
		.amdhsa_exception_fp_ieee_overflow 0
		.amdhsa_exception_fp_ieee_underflow 0
		.amdhsa_exception_fp_ieee_inexact 0
		.amdhsa_exception_int_div_zero 0
	.end_amdhsa_kernel
	.section	.text._ZN7rocprim17ROCPRIM_400000_NS6detail17trampoline_kernelINS0_13select_configILj256ELj13ELNS0_17block_load_methodE3ELS4_3ELS4_3ELNS0_20block_scan_algorithmE0ELj4294967295EEENS1_25partition_config_selectorILNS1_17partition_subalgoE4EjNS0_10empty_typeEbEEZZNS1_14partition_implILS8_4ELb0ES6_15HIP_vector_typeIjLj2EENS0_17counting_iteratorIjlEEPS9_SG_NS0_5tupleIJPjSI_NS0_16reverse_iteratorISI_EEEEENSH_IJSG_SG_SG_EEES9_SI_JZNS1_25segmented_radix_sort_implINS0_14default_configELb0EPKhPhPKlPlN2at6native12_GLOBAL__N_18offset_tEEE10hipError_tPvRmT1_PNSt15iterator_traitsIS12_E10value_typeET2_T3_PNS13_IS18_E10value_typeET4_jRbjT5_S1E_jjP12ihipStream_tbEUljE_ZNSN_ISO_Lb0ESQ_SR_ST_SU_SY_EESZ_S10_S11_S12_S16_S17_S18_S1B_S1C_jS1D_jS1E_S1E_jjS1G_bEUljE0_EEESZ_S10_S11_S18_S1C_S1E_T6_T7_T9_mT8_S1G_bDpT10_ENKUlT_T0_E_clISt17integral_constantIbLb0EES1T_IbLb1EEEEDaS1P_S1Q_EUlS1P_E_NS1_11comp_targetILNS1_3genE8ELNS1_11target_archE1030ELNS1_3gpuE2ELNS1_3repE0EEENS1_30default_config_static_selectorELNS0_4arch9wavefront6targetE0EEEvS12_,"axG",@progbits,_ZN7rocprim17ROCPRIM_400000_NS6detail17trampoline_kernelINS0_13select_configILj256ELj13ELNS0_17block_load_methodE3ELS4_3ELS4_3ELNS0_20block_scan_algorithmE0ELj4294967295EEENS1_25partition_config_selectorILNS1_17partition_subalgoE4EjNS0_10empty_typeEbEEZZNS1_14partition_implILS8_4ELb0ES6_15HIP_vector_typeIjLj2EENS0_17counting_iteratorIjlEEPS9_SG_NS0_5tupleIJPjSI_NS0_16reverse_iteratorISI_EEEEENSH_IJSG_SG_SG_EEES9_SI_JZNS1_25segmented_radix_sort_implINS0_14default_configELb0EPKhPhPKlPlN2at6native12_GLOBAL__N_18offset_tEEE10hipError_tPvRmT1_PNSt15iterator_traitsIS12_E10value_typeET2_T3_PNS13_IS18_E10value_typeET4_jRbjT5_S1E_jjP12ihipStream_tbEUljE_ZNSN_ISO_Lb0ESQ_SR_ST_SU_SY_EESZ_S10_S11_S12_S16_S17_S18_S1B_S1C_jS1D_jS1E_S1E_jjS1G_bEUljE0_EEESZ_S10_S11_S18_S1C_S1E_T6_T7_T9_mT8_S1G_bDpT10_ENKUlT_T0_E_clISt17integral_constantIbLb0EES1T_IbLb1EEEEDaS1P_S1Q_EUlS1P_E_NS1_11comp_targetILNS1_3genE8ELNS1_11target_archE1030ELNS1_3gpuE2ELNS1_3repE0EEENS1_30default_config_static_selectorELNS0_4arch9wavefront6targetE0EEEvS12_,comdat
.Lfunc_end153:
	.size	_ZN7rocprim17ROCPRIM_400000_NS6detail17trampoline_kernelINS0_13select_configILj256ELj13ELNS0_17block_load_methodE3ELS4_3ELS4_3ELNS0_20block_scan_algorithmE0ELj4294967295EEENS1_25partition_config_selectorILNS1_17partition_subalgoE4EjNS0_10empty_typeEbEEZZNS1_14partition_implILS8_4ELb0ES6_15HIP_vector_typeIjLj2EENS0_17counting_iteratorIjlEEPS9_SG_NS0_5tupleIJPjSI_NS0_16reverse_iteratorISI_EEEEENSH_IJSG_SG_SG_EEES9_SI_JZNS1_25segmented_radix_sort_implINS0_14default_configELb0EPKhPhPKlPlN2at6native12_GLOBAL__N_18offset_tEEE10hipError_tPvRmT1_PNSt15iterator_traitsIS12_E10value_typeET2_T3_PNS13_IS18_E10value_typeET4_jRbjT5_S1E_jjP12ihipStream_tbEUljE_ZNSN_ISO_Lb0ESQ_SR_ST_SU_SY_EESZ_S10_S11_S12_S16_S17_S18_S1B_S1C_jS1D_jS1E_S1E_jjS1G_bEUljE0_EEESZ_S10_S11_S18_S1C_S1E_T6_T7_T9_mT8_S1G_bDpT10_ENKUlT_T0_E_clISt17integral_constantIbLb0EES1T_IbLb1EEEEDaS1P_S1Q_EUlS1P_E_NS1_11comp_targetILNS1_3genE8ELNS1_11target_archE1030ELNS1_3gpuE2ELNS1_3repE0EEENS1_30default_config_static_selectorELNS0_4arch9wavefront6targetE0EEEvS12_, .Lfunc_end153-_ZN7rocprim17ROCPRIM_400000_NS6detail17trampoline_kernelINS0_13select_configILj256ELj13ELNS0_17block_load_methodE3ELS4_3ELS4_3ELNS0_20block_scan_algorithmE0ELj4294967295EEENS1_25partition_config_selectorILNS1_17partition_subalgoE4EjNS0_10empty_typeEbEEZZNS1_14partition_implILS8_4ELb0ES6_15HIP_vector_typeIjLj2EENS0_17counting_iteratorIjlEEPS9_SG_NS0_5tupleIJPjSI_NS0_16reverse_iteratorISI_EEEEENSH_IJSG_SG_SG_EEES9_SI_JZNS1_25segmented_radix_sort_implINS0_14default_configELb0EPKhPhPKlPlN2at6native12_GLOBAL__N_18offset_tEEE10hipError_tPvRmT1_PNSt15iterator_traitsIS12_E10value_typeET2_T3_PNS13_IS18_E10value_typeET4_jRbjT5_S1E_jjP12ihipStream_tbEUljE_ZNSN_ISO_Lb0ESQ_SR_ST_SU_SY_EESZ_S10_S11_S12_S16_S17_S18_S1B_S1C_jS1D_jS1E_S1E_jjS1G_bEUljE0_EEESZ_S10_S11_S18_S1C_S1E_T6_T7_T9_mT8_S1G_bDpT10_ENKUlT_T0_E_clISt17integral_constantIbLb0EES1T_IbLb1EEEEDaS1P_S1Q_EUlS1P_E_NS1_11comp_targetILNS1_3genE8ELNS1_11target_archE1030ELNS1_3gpuE2ELNS1_3repE0EEENS1_30default_config_static_selectorELNS0_4arch9wavefront6targetE0EEEvS12_
                                        ; -- End function
	.set _ZN7rocprim17ROCPRIM_400000_NS6detail17trampoline_kernelINS0_13select_configILj256ELj13ELNS0_17block_load_methodE3ELS4_3ELS4_3ELNS0_20block_scan_algorithmE0ELj4294967295EEENS1_25partition_config_selectorILNS1_17partition_subalgoE4EjNS0_10empty_typeEbEEZZNS1_14partition_implILS8_4ELb0ES6_15HIP_vector_typeIjLj2EENS0_17counting_iteratorIjlEEPS9_SG_NS0_5tupleIJPjSI_NS0_16reverse_iteratorISI_EEEEENSH_IJSG_SG_SG_EEES9_SI_JZNS1_25segmented_radix_sort_implINS0_14default_configELb0EPKhPhPKlPlN2at6native12_GLOBAL__N_18offset_tEEE10hipError_tPvRmT1_PNSt15iterator_traitsIS12_E10value_typeET2_T3_PNS13_IS18_E10value_typeET4_jRbjT5_S1E_jjP12ihipStream_tbEUljE_ZNSN_ISO_Lb0ESQ_SR_ST_SU_SY_EESZ_S10_S11_S12_S16_S17_S18_S1B_S1C_jS1D_jS1E_S1E_jjS1G_bEUljE0_EEESZ_S10_S11_S18_S1C_S1E_T6_T7_T9_mT8_S1G_bDpT10_ENKUlT_T0_E_clISt17integral_constantIbLb0EES1T_IbLb1EEEEDaS1P_S1Q_EUlS1P_E_NS1_11comp_targetILNS1_3genE8ELNS1_11target_archE1030ELNS1_3gpuE2ELNS1_3repE0EEENS1_30default_config_static_selectorELNS0_4arch9wavefront6targetE0EEEvS12_.num_vgpr, 0
	.set _ZN7rocprim17ROCPRIM_400000_NS6detail17trampoline_kernelINS0_13select_configILj256ELj13ELNS0_17block_load_methodE3ELS4_3ELS4_3ELNS0_20block_scan_algorithmE0ELj4294967295EEENS1_25partition_config_selectorILNS1_17partition_subalgoE4EjNS0_10empty_typeEbEEZZNS1_14partition_implILS8_4ELb0ES6_15HIP_vector_typeIjLj2EENS0_17counting_iteratorIjlEEPS9_SG_NS0_5tupleIJPjSI_NS0_16reverse_iteratorISI_EEEEENSH_IJSG_SG_SG_EEES9_SI_JZNS1_25segmented_radix_sort_implINS0_14default_configELb0EPKhPhPKlPlN2at6native12_GLOBAL__N_18offset_tEEE10hipError_tPvRmT1_PNSt15iterator_traitsIS12_E10value_typeET2_T3_PNS13_IS18_E10value_typeET4_jRbjT5_S1E_jjP12ihipStream_tbEUljE_ZNSN_ISO_Lb0ESQ_SR_ST_SU_SY_EESZ_S10_S11_S12_S16_S17_S18_S1B_S1C_jS1D_jS1E_S1E_jjS1G_bEUljE0_EEESZ_S10_S11_S18_S1C_S1E_T6_T7_T9_mT8_S1G_bDpT10_ENKUlT_T0_E_clISt17integral_constantIbLb0EES1T_IbLb1EEEEDaS1P_S1Q_EUlS1P_E_NS1_11comp_targetILNS1_3genE8ELNS1_11target_archE1030ELNS1_3gpuE2ELNS1_3repE0EEENS1_30default_config_static_selectorELNS0_4arch9wavefront6targetE0EEEvS12_.num_agpr, 0
	.set _ZN7rocprim17ROCPRIM_400000_NS6detail17trampoline_kernelINS0_13select_configILj256ELj13ELNS0_17block_load_methodE3ELS4_3ELS4_3ELNS0_20block_scan_algorithmE0ELj4294967295EEENS1_25partition_config_selectorILNS1_17partition_subalgoE4EjNS0_10empty_typeEbEEZZNS1_14partition_implILS8_4ELb0ES6_15HIP_vector_typeIjLj2EENS0_17counting_iteratorIjlEEPS9_SG_NS0_5tupleIJPjSI_NS0_16reverse_iteratorISI_EEEEENSH_IJSG_SG_SG_EEES9_SI_JZNS1_25segmented_radix_sort_implINS0_14default_configELb0EPKhPhPKlPlN2at6native12_GLOBAL__N_18offset_tEEE10hipError_tPvRmT1_PNSt15iterator_traitsIS12_E10value_typeET2_T3_PNS13_IS18_E10value_typeET4_jRbjT5_S1E_jjP12ihipStream_tbEUljE_ZNSN_ISO_Lb0ESQ_SR_ST_SU_SY_EESZ_S10_S11_S12_S16_S17_S18_S1B_S1C_jS1D_jS1E_S1E_jjS1G_bEUljE0_EEESZ_S10_S11_S18_S1C_S1E_T6_T7_T9_mT8_S1G_bDpT10_ENKUlT_T0_E_clISt17integral_constantIbLb0EES1T_IbLb1EEEEDaS1P_S1Q_EUlS1P_E_NS1_11comp_targetILNS1_3genE8ELNS1_11target_archE1030ELNS1_3gpuE2ELNS1_3repE0EEENS1_30default_config_static_selectorELNS0_4arch9wavefront6targetE0EEEvS12_.numbered_sgpr, 0
	.set _ZN7rocprim17ROCPRIM_400000_NS6detail17trampoline_kernelINS0_13select_configILj256ELj13ELNS0_17block_load_methodE3ELS4_3ELS4_3ELNS0_20block_scan_algorithmE0ELj4294967295EEENS1_25partition_config_selectorILNS1_17partition_subalgoE4EjNS0_10empty_typeEbEEZZNS1_14partition_implILS8_4ELb0ES6_15HIP_vector_typeIjLj2EENS0_17counting_iteratorIjlEEPS9_SG_NS0_5tupleIJPjSI_NS0_16reverse_iteratorISI_EEEEENSH_IJSG_SG_SG_EEES9_SI_JZNS1_25segmented_radix_sort_implINS0_14default_configELb0EPKhPhPKlPlN2at6native12_GLOBAL__N_18offset_tEEE10hipError_tPvRmT1_PNSt15iterator_traitsIS12_E10value_typeET2_T3_PNS13_IS18_E10value_typeET4_jRbjT5_S1E_jjP12ihipStream_tbEUljE_ZNSN_ISO_Lb0ESQ_SR_ST_SU_SY_EESZ_S10_S11_S12_S16_S17_S18_S1B_S1C_jS1D_jS1E_S1E_jjS1G_bEUljE0_EEESZ_S10_S11_S18_S1C_S1E_T6_T7_T9_mT8_S1G_bDpT10_ENKUlT_T0_E_clISt17integral_constantIbLb0EES1T_IbLb1EEEEDaS1P_S1Q_EUlS1P_E_NS1_11comp_targetILNS1_3genE8ELNS1_11target_archE1030ELNS1_3gpuE2ELNS1_3repE0EEENS1_30default_config_static_selectorELNS0_4arch9wavefront6targetE0EEEvS12_.num_named_barrier, 0
	.set _ZN7rocprim17ROCPRIM_400000_NS6detail17trampoline_kernelINS0_13select_configILj256ELj13ELNS0_17block_load_methodE3ELS4_3ELS4_3ELNS0_20block_scan_algorithmE0ELj4294967295EEENS1_25partition_config_selectorILNS1_17partition_subalgoE4EjNS0_10empty_typeEbEEZZNS1_14partition_implILS8_4ELb0ES6_15HIP_vector_typeIjLj2EENS0_17counting_iteratorIjlEEPS9_SG_NS0_5tupleIJPjSI_NS0_16reverse_iteratorISI_EEEEENSH_IJSG_SG_SG_EEES9_SI_JZNS1_25segmented_radix_sort_implINS0_14default_configELb0EPKhPhPKlPlN2at6native12_GLOBAL__N_18offset_tEEE10hipError_tPvRmT1_PNSt15iterator_traitsIS12_E10value_typeET2_T3_PNS13_IS18_E10value_typeET4_jRbjT5_S1E_jjP12ihipStream_tbEUljE_ZNSN_ISO_Lb0ESQ_SR_ST_SU_SY_EESZ_S10_S11_S12_S16_S17_S18_S1B_S1C_jS1D_jS1E_S1E_jjS1G_bEUljE0_EEESZ_S10_S11_S18_S1C_S1E_T6_T7_T9_mT8_S1G_bDpT10_ENKUlT_T0_E_clISt17integral_constantIbLb0EES1T_IbLb1EEEEDaS1P_S1Q_EUlS1P_E_NS1_11comp_targetILNS1_3genE8ELNS1_11target_archE1030ELNS1_3gpuE2ELNS1_3repE0EEENS1_30default_config_static_selectorELNS0_4arch9wavefront6targetE0EEEvS12_.private_seg_size, 0
	.set _ZN7rocprim17ROCPRIM_400000_NS6detail17trampoline_kernelINS0_13select_configILj256ELj13ELNS0_17block_load_methodE3ELS4_3ELS4_3ELNS0_20block_scan_algorithmE0ELj4294967295EEENS1_25partition_config_selectorILNS1_17partition_subalgoE4EjNS0_10empty_typeEbEEZZNS1_14partition_implILS8_4ELb0ES6_15HIP_vector_typeIjLj2EENS0_17counting_iteratorIjlEEPS9_SG_NS0_5tupleIJPjSI_NS0_16reverse_iteratorISI_EEEEENSH_IJSG_SG_SG_EEES9_SI_JZNS1_25segmented_radix_sort_implINS0_14default_configELb0EPKhPhPKlPlN2at6native12_GLOBAL__N_18offset_tEEE10hipError_tPvRmT1_PNSt15iterator_traitsIS12_E10value_typeET2_T3_PNS13_IS18_E10value_typeET4_jRbjT5_S1E_jjP12ihipStream_tbEUljE_ZNSN_ISO_Lb0ESQ_SR_ST_SU_SY_EESZ_S10_S11_S12_S16_S17_S18_S1B_S1C_jS1D_jS1E_S1E_jjS1G_bEUljE0_EEESZ_S10_S11_S18_S1C_S1E_T6_T7_T9_mT8_S1G_bDpT10_ENKUlT_T0_E_clISt17integral_constantIbLb0EES1T_IbLb1EEEEDaS1P_S1Q_EUlS1P_E_NS1_11comp_targetILNS1_3genE8ELNS1_11target_archE1030ELNS1_3gpuE2ELNS1_3repE0EEENS1_30default_config_static_selectorELNS0_4arch9wavefront6targetE0EEEvS12_.uses_vcc, 0
	.set _ZN7rocprim17ROCPRIM_400000_NS6detail17trampoline_kernelINS0_13select_configILj256ELj13ELNS0_17block_load_methodE3ELS4_3ELS4_3ELNS0_20block_scan_algorithmE0ELj4294967295EEENS1_25partition_config_selectorILNS1_17partition_subalgoE4EjNS0_10empty_typeEbEEZZNS1_14partition_implILS8_4ELb0ES6_15HIP_vector_typeIjLj2EENS0_17counting_iteratorIjlEEPS9_SG_NS0_5tupleIJPjSI_NS0_16reverse_iteratorISI_EEEEENSH_IJSG_SG_SG_EEES9_SI_JZNS1_25segmented_radix_sort_implINS0_14default_configELb0EPKhPhPKlPlN2at6native12_GLOBAL__N_18offset_tEEE10hipError_tPvRmT1_PNSt15iterator_traitsIS12_E10value_typeET2_T3_PNS13_IS18_E10value_typeET4_jRbjT5_S1E_jjP12ihipStream_tbEUljE_ZNSN_ISO_Lb0ESQ_SR_ST_SU_SY_EESZ_S10_S11_S12_S16_S17_S18_S1B_S1C_jS1D_jS1E_S1E_jjS1G_bEUljE0_EEESZ_S10_S11_S18_S1C_S1E_T6_T7_T9_mT8_S1G_bDpT10_ENKUlT_T0_E_clISt17integral_constantIbLb0EES1T_IbLb1EEEEDaS1P_S1Q_EUlS1P_E_NS1_11comp_targetILNS1_3genE8ELNS1_11target_archE1030ELNS1_3gpuE2ELNS1_3repE0EEENS1_30default_config_static_selectorELNS0_4arch9wavefront6targetE0EEEvS12_.uses_flat_scratch, 0
	.set _ZN7rocprim17ROCPRIM_400000_NS6detail17trampoline_kernelINS0_13select_configILj256ELj13ELNS0_17block_load_methodE3ELS4_3ELS4_3ELNS0_20block_scan_algorithmE0ELj4294967295EEENS1_25partition_config_selectorILNS1_17partition_subalgoE4EjNS0_10empty_typeEbEEZZNS1_14partition_implILS8_4ELb0ES6_15HIP_vector_typeIjLj2EENS0_17counting_iteratorIjlEEPS9_SG_NS0_5tupleIJPjSI_NS0_16reverse_iteratorISI_EEEEENSH_IJSG_SG_SG_EEES9_SI_JZNS1_25segmented_radix_sort_implINS0_14default_configELb0EPKhPhPKlPlN2at6native12_GLOBAL__N_18offset_tEEE10hipError_tPvRmT1_PNSt15iterator_traitsIS12_E10value_typeET2_T3_PNS13_IS18_E10value_typeET4_jRbjT5_S1E_jjP12ihipStream_tbEUljE_ZNSN_ISO_Lb0ESQ_SR_ST_SU_SY_EESZ_S10_S11_S12_S16_S17_S18_S1B_S1C_jS1D_jS1E_S1E_jjS1G_bEUljE0_EEESZ_S10_S11_S18_S1C_S1E_T6_T7_T9_mT8_S1G_bDpT10_ENKUlT_T0_E_clISt17integral_constantIbLb0EES1T_IbLb1EEEEDaS1P_S1Q_EUlS1P_E_NS1_11comp_targetILNS1_3genE8ELNS1_11target_archE1030ELNS1_3gpuE2ELNS1_3repE0EEENS1_30default_config_static_selectorELNS0_4arch9wavefront6targetE0EEEvS12_.has_dyn_sized_stack, 0
	.set _ZN7rocprim17ROCPRIM_400000_NS6detail17trampoline_kernelINS0_13select_configILj256ELj13ELNS0_17block_load_methodE3ELS4_3ELS4_3ELNS0_20block_scan_algorithmE0ELj4294967295EEENS1_25partition_config_selectorILNS1_17partition_subalgoE4EjNS0_10empty_typeEbEEZZNS1_14partition_implILS8_4ELb0ES6_15HIP_vector_typeIjLj2EENS0_17counting_iteratorIjlEEPS9_SG_NS0_5tupleIJPjSI_NS0_16reverse_iteratorISI_EEEEENSH_IJSG_SG_SG_EEES9_SI_JZNS1_25segmented_radix_sort_implINS0_14default_configELb0EPKhPhPKlPlN2at6native12_GLOBAL__N_18offset_tEEE10hipError_tPvRmT1_PNSt15iterator_traitsIS12_E10value_typeET2_T3_PNS13_IS18_E10value_typeET4_jRbjT5_S1E_jjP12ihipStream_tbEUljE_ZNSN_ISO_Lb0ESQ_SR_ST_SU_SY_EESZ_S10_S11_S12_S16_S17_S18_S1B_S1C_jS1D_jS1E_S1E_jjS1G_bEUljE0_EEESZ_S10_S11_S18_S1C_S1E_T6_T7_T9_mT8_S1G_bDpT10_ENKUlT_T0_E_clISt17integral_constantIbLb0EES1T_IbLb1EEEEDaS1P_S1Q_EUlS1P_E_NS1_11comp_targetILNS1_3genE8ELNS1_11target_archE1030ELNS1_3gpuE2ELNS1_3repE0EEENS1_30default_config_static_selectorELNS0_4arch9wavefront6targetE0EEEvS12_.has_recursion, 0
	.set _ZN7rocprim17ROCPRIM_400000_NS6detail17trampoline_kernelINS0_13select_configILj256ELj13ELNS0_17block_load_methodE3ELS4_3ELS4_3ELNS0_20block_scan_algorithmE0ELj4294967295EEENS1_25partition_config_selectorILNS1_17partition_subalgoE4EjNS0_10empty_typeEbEEZZNS1_14partition_implILS8_4ELb0ES6_15HIP_vector_typeIjLj2EENS0_17counting_iteratorIjlEEPS9_SG_NS0_5tupleIJPjSI_NS0_16reverse_iteratorISI_EEEEENSH_IJSG_SG_SG_EEES9_SI_JZNS1_25segmented_radix_sort_implINS0_14default_configELb0EPKhPhPKlPlN2at6native12_GLOBAL__N_18offset_tEEE10hipError_tPvRmT1_PNSt15iterator_traitsIS12_E10value_typeET2_T3_PNS13_IS18_E10value_typeET4_jRbjT5_S1E_jjP12ihipStream_tbEUljE_ZNSN_ISO_Lb0ESQ_SR_ST_SU_SY_EESZ_S10_S11_S12_S16_S17_S18_S1B_S1C_jS1D_jS1E_S1E_jjS1G_bEUljE0_EEESZ_S10_S11_S18_S1C_S1E_T6_T7_T9_mT8_S1G_bDpT10_ENKUlT_T0_E_clISt17integral_constantIbLb0EES1T_IbLb1EEEEDaS1P_S1Q_EUlS1P_E_NS1_11comp_targetILNS1_3genE8ELNS1_11target_archE1030ELNS1_3gpuE2ELNS1_3repE0EEENS1_30default_config_static_selectorELNS0_4arch9wavefront6targetE0EEEvS12_.has_indirect_call, 0
	.section	.AMDGPU.csdata,"",@progbits
; Kernel info:
; codeLenInByte = 0
; TotalNumSgprs: 0
; NumVgprs: 0
; ScratchSize: 0
; MemoryBound: 0
; FloatMode: 240
; IeeeMode: 1
; LDSByteSize: 0 bytes/workgroup (compile time only)
; SGPRBlocks: 0
; VGPRBlocks: 0
; NumSGPRsForWavesPerEU: 1
; NumVGPRsForWavesPerEU: 1
; Occupancy: 16
; WaveLimiterHint : 0
; COMPUTE_PGM_RSRC2:SCRATCH_EN: 0
; COMPUTE_PGM_RSRC2:USER_SGPR: 2
; COMPUTE_PGM_RSRC2:TRAP_HANDLER: 0
; COMPUTE_PGM_RSRC2:TGID_X_EN: 1
; COMPUTE_PGM_RSRC2:TGID_Y_EN: 0
; COMPUTE_PGM_RSRC2:TGID_Z_EN: 0
; COMPUTE_PGM_RSRC2:TIDIG_COMP_CNT: 0
	.section	.text._ZN7rocprim17ROCPRIM_400000_NS6detail17trampoline_kernelINS0_13select_configILj256ELj13ELNS0_17block_load_methodE3ELS4_3ELS4_3ELNS0_20block_scan_algorithmE0ELj4294967295EEENS1_25partition_config_selectorILNS1_17partition_subalgoE3EjNS0_10empty_typeEbEEZZNS1_14partition_implILS8_3ELb0ES6_jNS0_17counting_iteratorIjlEEPS9_SE_NS0_5tupleIJPjSE_EEENSF_IJSE_SE_EEES9_SG_JZNS1_25segmented_radix_sort_implINS0_14default_configELb0EPKhPhPKlPlN2at6native12_GLOBAL__N_18offset_tEEE10hipError_tPvRmT1_PNSt15iterator_traitsISY_E10value_typeET2_T3_PNSZ_IS14_E10value_typeET4_jRbjT5_S1A_jjP12ihipStream_tbEUljE_EEESV_SW_SX_S14_S18_S1A_T6_T7_T9_mT8_S1C_bDpT10_ENKUlT_T0_E_clISt17integral_constantIbLb0EES1P_EEDaS1K_S1L_EUlS1K_E_NS1_11comp_targetILNS1_3genE0ELNS1_11target_archE4294967295ELNS1_3gpuE0ELNS1_3repE0EEENS1_30default_config_static_selectorELNS0_4arch9wavefront6targetE0EEEvSY_,"axG",@progbits,_ZN7rocprim17ROCPRIM_400000_NS6detail17trampoline_kernelINS0_13select_configILj256ELj13ELNS0_17block_load_methodE3ELS4_3ELS4_3ELNS0_20block_scan_algorithmE0ELj4294967295EEENS1_25partition_config_selectorILNS1_17partition_subalgoE3EjNS0_10empty_typeEbEEZZNS1_14partition_implILS8_3ELb0ES6_jNS0_17counting_iteratorIjlEEPS9_SE_NS0_5tupleIJPjSE_EEENSF_IJSE_SE_EEES9_SG_JZNS1_25segmented_radix_sort_implINS0_14default_configELb0EPKhPhPKlPlN2at6native12_GLOBAL__N_18offset_tEEE10hipError_tPvRmT1_PNSt15iterator_traitsISY_E10value_typeET2_T3_PNSZ_IS14_E10value_typeET4_jRbjT5_S1A_jjP12ihipStream_tbEUljE_EEESV_SW_SX_S14_S18_S1A_T6_T7_T9_mT8_S1C_bDpT10_ENKUlT_T0_E_clISt17integral_constantIbLb0EES1P_EEDaS1K_S1L_EUlS1K_E_NS1_11comp_targetILNS1_3genE0ELNS1_11target_archE4294967295ELNS1_3gpuE0ELNS1_3repE0EEENS1_30default_config_static_selectorELNS0_4arch9wavefront6targetE0EEEvSY_,comdat
	.globl	_ZN7rocprim17ROCPRIM_400000_NS6detail17trampoline_kernelINS0_13select_configILj256ELj13ELNS0_17block_load_methodE3ELS4_3ELS4_3ELNS0_20block_scan_algorithmE0ELj4294967295EEENS1_25partition_config_selectorILNS1_17partition_subalgoE3EjNS0_10empty_typeEbEEZZNS1_14partition_implILS8_3ELb0ES6_jNS0_17counting_iteratorIjlEEPS9_SE_NS0_5tupleIJPjSE_EEENSF_IJSE_SE_EEES9_SG_JZNS1_25segmented_radix_sort_implINS0_14default_configELb0EPKhPhPKlPlN2at6native12_GLOBAL__N_18offset_tEEE10hipError_tPvRmT1_PNSt15iterator_traitsISY_E10value_typeET2_T3_PNSZ_IS14_E10value_typeET4_jRbjT5_S1A_jjP12ihipStream_tbEUljE_EEESV_SW_SX_S14_S18_S1A_T6_T7_T9_mT8_S1C_bDpT10_ENKUlT_T0_E_clISt17integral_constantIbLb0EES1P_EEDaS1K_S1L_EUlS1K_E_NS1_11comp_targetILNS1_3genE0ELNS1_11target_archE4294967295ELNS1_3gpuE0ELNS1_3repE0EEENS1_30default_config_static_selectorELNS0_4arch9wavefront6targetE0EEEvSY_ ; -- Begin function _ZN7rocprim17ROCPRIM_400000_NS6detail17trampoline_kernelINS0_13select_configILj256ELj13ELNS0_17block_load_methodE3ELS4_3ELS4_3ELNS0_20block_scan_algorithmE0ELj4294967295EEENS1_25partition_config_selectorILNS1_17partition_subalgoE3EjNS0_10empty_typeEbEEZZNS1_14partition_implILS8_3ELb0ES6_jNS0_17counting_iteratorIjlEEPS9_SE_NS0_5tupleIJPjSE_EEENSF_IJSE_SE_EEES9_SG_JZNS1_25segmented_radix_sort_implINS0_14default_configELb0EPKhPhPKlPlN2at6native12_GLOBAL__N_18offset_tEEE10hipError_tPvRmT1_PNSt15iterator_traitsISY_E10value_typeET2_T3_PNSZ_IS14_E10value_typeET4_jRbjT5_S1A_jjP12ihipStream_tbEUljE_EEESV_SW_SX_S14_S18_S1A_T6_T7_T9_mT8_S1C_bDpT10_ENKUlT_T0_E_clISt17integral_constantIbLb0EES1P_EEDaS1K_S1L_EUlS1K_E_NS1_11comp_targetILNS1_3genE0ELNS1_11target_archE4294967295ELNS1_3gpuE0ELNS1_3repE0EEENS1_30default_config_static_selectorELNS0_4arch9wavefront6targetE0EEEvSY_
	.p2align	8
	.type	_ZN7rocprim17ROCPRIM_400000_NS6detail17trampoline_kernelINS0_13select_configILj256ELj13ELNS0_17block_load_methodE3ELS4_3ELS4_3ELNS0_20block_scan_algorithmE0ELj4294967295EEENS1_25partition_config_selectorILNS1_17partition_subalgoE3EjNS0_10empty_typeEbEEZZNS1_14partition_implILS8_3ELb0ES6_jNS0_17counting_iteratorIjlEEPS9_SE_NS0_5tupleIJPjSE_EEENSF_IJSE_SE_EEES9_SG_JZNS1_25segmented_radix_sort_implINS0_14default_configELb0EPKhPhPKlPlN2at6native12_GLOBAL__N_18offset_tEEE10hipError_tPvRmT1_PNSt15iterator_traitsISY_E10value_typeET2_T3_PNSZ_IS14_E10value_typeET4_jRbjT5_S1A_jjP12ihipStream_tbEUljE_EEESV_SW_SX_S14_S18_S1A_T6_T7_T9_mT8_S1C_bDpT10_ENKUlT_T0_E_clISt17integral_constantIbLb0EES1P_EEDaS1K_S1L_EUlS1K_E_NS1_11comp_targetILNS1_3genE0ELNS1_11target_archE4294967295ELNS1_3gpuE0ELNS1_3repE0EEENS1_30default_config_static_selectorELNS0_4arch9wavefront6targetE0EEEvSY_,@function
_ZN7rocprim17ROCPRIM_400000_NS6detail17trampoline_kernelINS0_13select_configILj256ELj13ELNS0_17block_load_methodE3ELS4_3ELS4_3ELNS0_20block_scan_algorithmE0ELj4294967295EEENS1_25partition_config_selectorILNS1_17partition_subalgoE3EjNS0_10empty_typeEbEEZZNS1_14partition_implILS8_3ELb0ES6_jNS0_17counting_iteratorIjlEEPS9_SE_NS0_5tupleIJPjSE_EEENSF_IJSE_SE_EEES9_SG_JZNS1_25segmented_radix_sort_implINS0_14default_configELb0EPKhPhPKlPlN2at6native12_GLOBAL__N_18offset_tEEE10hipError_tPvRmT1_PNSt15iterator_traitsISY_E10value_typeET2_T3_PNSZ_IS14_E10value_typeET4_jRbjT5_S1A_jjP12ihipStream_tbEUljE_EEESV_SW_SX_S14_S18_S1A_T6_T7_T9_mT8_S1C_bDpT10_ENKUlT_T0_E_clISt17integral_constantIbLb0EES1P_EEDaS1K_S1L_EUlS1K_E_NS1_11comp_targetILNS1_3genE0ELNS1_11target_archE4294967295ELNS1_3gpuE0ELNS1_3repE0EEENS1_30default_config_static_selectorELNS0_4arch9wavefront6targetE0EEEvSY_: ; @_ZN7rocprim17ROCPRIM_400000_NS6detail17trampoline_kernelINS0_13select_configILj256ELj13ELNS0_17block_load_methodE3ELS4_3ELS4_3ELNS0_20block_scan_algorithmE0ELj4294967295EEENS1_25partition_config_selectorILNS1_17partition_subalgoE3EjNS0_10empty_typeEbEEZZNS1_14partition_implILS8_3ELb0ES6_jNS0_17counting_iteratorIjlEEPS9_SE_NS0_5tupleIJPjSE_EEENSF_IJSE_SE_EEES9_SG_JZNS1_25segmented_radix_sort_implINS0_14default_configELb0EPKhPhPKlPlN2at6native12_GLOBAL__N_18offset_tEEE10hipError_tPvRmT1_PNSt15iterator_traitsISY_E10value_typeET2_T3_PNSZ_IS14_E10value_typeET4_jRbjT5_S1A_jjP12ihipStream_tbEUljE_EEESV_SW_SX_S14_S18_S1A_T6_T7_T9_mT8_S1C_bDpT10_ENKUlT_T0_E_clISt17integral_constantIbLb0EES1P_EEDaS1K_S1L_EUlS1K_E_NS1_11comp_targetILNS1_3genE0ELNS1_11target_archE4294967295ELNS1_3gpuE0ELNS1_3repE0EEENS1_30default_config_static_selectorELNS0_4arch9wavefront6targetE0EEEvSY_
; %bb.0:
	.section	.rodata,"a",@progbits
	.p2align	6, 0x0
	.amdhsa_kernel _ZN7rocprim17ROCPRIM_400000_NS6detail17trampoline_kernelINS0_13select_configILj256ELj13ELNS0_17block_load_methodE3ELS4_3ELS4_3ELNS0_20block_scan_algorithmE0ELj4294967295EEENS1_25partition_config_selectorILNS1_17partition_subalgoE3EjNS0_10empty_typeEbEEZZNS1_14partition_implILS8_3ELb0ES6_jNS0_17counting_iteratorIjlEEPS9_SE_NS0_5tupleIJPjSE_EEENSF_IJSE_SE_EEES9_SG_JZNS1_25segmented_radix_sort_implINS0_14default_configELb0EPKhPhPKlPlN2at6native12_GLOBAL__N_18offset_tEEE10hipError_tPvRmT1_PNSt15iterator_traitsISY_E10value_typeET2_T3_PNSZ_IS14_E10value_typeET4_jRbjT5_S1A_jjP12ihipStream_tbEUljE_EEESV_SW_SX_S14_S18_S1A_T6_T7_T9_mT8_S1C_bDpT10_ENKUlT_T0_E_clISt17integral_constantIbLb0EES1P_EEDaS1K_S1L_EUlS1K_E_NS1_11comp_targetILNS1_3genE0ELNS1_11target_archE4294967295ELNS1_3gpuE0ELNS1_3repE0EEENS1_30default_config_static_selectorELNS0_4arch9wavefront6targetE0EEEvSY_
		.amdhsa_group_segment_fixed_size 0
		.amdhsa_private_segment_fixed_size 0
		.amdhsa_kernarg_size 144
		.amdhsa_user_sgpr_count 2
		.amdhsa_user_sgpr_dispatch_ptr 0
		.amdhsa_user_sgpr_queue_ptr 0
		.amdhsa_user_sgpr_kernarg_segment_ptr 1
		.amdhsa_user_sgpr_dispatch_id 0
		.amdhsa_user_sgpr_private_segment_size 0
		.amdhsa_wavefront_size32 1
		.amdhsa_uses_dynamic_stack 0
		.amdhsa_enable_private_segment 0
		.amdhsa_system_sgpr_workgroup_id_x 1
		.amdhsa_system_sgpr_workgroup_id_y 0
		.amdhsa_system_sgpr_workgroup_id_z 0
		.amdhsa_system_sgpr_workgroup_info 0
		.amdhsa_system_vgpr_workitem_id 0
		.amdhsa_next_free_vgpr 1
		.amdhsa_next_free_sgpr 1
		.amdhsa_reserve_vcc 0
		.amdhsa_float_round_mode_32 0
		.amdhsa_float_round_mode_16_64 0
		.amdhsa_float_denorm_mode_32 3
		.amdhsa_float_denorm_mode_16_64 3
		.amdhsa_fp16_overflow 0
		.amdhsa_workgroup_processor_mode 1
		.amdhsa_memory_ordered 1
		.amdhsa_forward_progress 1
		.amdhsa_inst_pref_size 0
		.amdhsa_round_robin_scheduling 0
		.amdhsa_exception_fp_ieee_invalid_op 0
		.amdhsa_exception_fp_denorm_src 0
		.amdhsa_exception_fp_ieee_div_zero 0
		.amdhsa_exception_fp_ieee_overflow 0
		.amdhsa_exception_fp_ieee_underflow 0
		.amdhsa_exception_fp_ieee_inexact 0
		.amdhsa_exception_int_div_zero 0
	.end_amdhsa_kernel
	.section	.text._ZN7rocprim17ROCPRIM_400000_NS6detail17trampoline_kernelINS0_13select_configILj256ELj13ELNS0_17block_load_methodE3ELS4_3ELS4_3ELNS0_20block_scan_algorithmE0ELj4294967295EEENS1_25partition_config_selectorILNS1_17partition_subalgoE3EjNS0_10empty_typeEbEEZZNS1_14partition_implILS8_3ELb0ES6_jNS0_17counting_iteratorIjlEEPS9_SE_NS0_5tupleIJPjSE_EEENSF_IJSE_SE_EEES9_SG_JZNS1_25segmented_radix_sort_implINS0_14default_configELb0EPKhPhPKlPlN2at6native12_GLOBAL__N_18offset_tEEE10hipError_tPvRmT1_PNSt15iterator_traitsISY_E10value_typeET2_T3_PNSZ_IS14_E10value_typeET4_jRbjT5_S1A_jjP12ihipStream_tbEUljE_EEESV_SW_SX_S14_S18_S1A_T6_T7_T9_mT8_S1C_bDpT10_ENKUlT_T0_E_clISt17integral_constantIbLb0EES1P_EEDaS1K_S1L_EUlS1K_E_NS1_11comp_targetILNS1_3genE0ELNS1_11target_archE4294967295ELNS1_3gpuE0ELNS1_3repE0EEENS1_30default_config_static_selectorELNS0_4arch9wavefront6targetE0EEEvSY_,"axG",@progbits,_ZN7rocprim17ROCPRIM_400000_NS6detail17trampoline_kernelINS0_13select_configILj256ELj13ELNS0_17block_load_methodE3ELS4_3ELS4_3ELNS0_20block_scan_algorithmE0ELj4294967295EEENS1_25partition_config_selectorILNS1_17partition_subalgoE3EjNS0_10empty_typeEbEEZZNS1_14partition_implILS8_3ELb0ES6_jNS0_17counting_iteratorIjlEEPS9_SE_NS0_5tupleIJPjSE_EEENSF_IJSE_SE_EEES9_SG_JZNS1_25segmented_radix_sort_implINS0_14default_configELb0EPKhPhPKlPlN2at6native12_GLOBAL__N_18offset_tEEE10hipError_tPvRmT1_PNSt15iterator_traitsISY_E10value_typeET2_T3_PNSZ_IS14_E10value_typeET4_jRbjT5_S1A_jjP12ihipStream_tbEUljE_EEESV_SW_SX_S14_S18_S1A_T6_T7_T9_mT8_S1C_bDpT10_ENKUlT_T0_E_clISt17integral_constantIbLb0EES1P_EEDaS1K_S1L_EUlS1K_E_NS1_11comp_targetILNS1_3genE0ELNS1_11target_archE4294967295ELNS1_3gpuE0ELNS1_3repE0EEENS1_30default_config_static_selectorELNS0_4arch9wavefront6targetE0EEEvSY_,comdat
.Lfunc_end154:
	.size	_ZN7rocprim17ROCPRIM_400000_NS6detail17trampoline_kernelINS0_13select_configILj256ELj13ELNS0_17block_load_methodE3ELS4_3ELS4_3ELNS0_20block_scan_algorithmE0ELj4294967295EEENS1_25partition_config_selectorILNS1_17partition_subalgoE3EjNS0_10empty_typeEbEEZZNS1_14partition_implILS8_3ELb0ES6_jNS0_17counting_iteratorIjlEEPS9_SE_NS0_5tupleIJPjSE_EEENSF_IJSE_SE_EEES9_SG_JZNS1_25segmented_radix_sort_implINS0_14default_configELb0EPKhPhPKlPlN2at6native12_GLOBAL__N_18offset_tEEE10hipError_tPvRmT1_PNSt15iterator_traitsISY_E10value_typeET2_T3_PNSZ_IS14_E10value_typeET4_jRbjT5_S1A_jjP12ihipStream_tbEUljE_EEESV_SW_SX_S14_S18_S1A_T6_T7_T9_mT8_S1C_bDpT10_ENKUlT_T0_E_clISt17integral_constantIbLb0EES1P_EEDaS1K_S1L_EUlS1K_E_NS1_11comp_targetILNS1_3genE0ELNS1_11target_archE4294967295ELNS1_3gpuE0ELNS1_3repE0EEENS1_30default_config_static_selectorELNS0_4arch9wavefront6targetE0EEEvSY_, .Lfunc_end154-_ZN7rocprim17ROCPRIM_400000_NS6detail17trampoline_kernelINS0_13select_configILj256ELj13ELNS0_17block_load_methodE3ELS4_3ELS4_3ELNS0_20block_scan_algorithmE0ELj4294967295EEENS1_25partition_config_selectorILNS1_17partition_subalgoE3EjNS0_10empty_typeEbEEZZNS1_14partition_implILS8_3ELb0ES6_jNS0_17counting_iteratorIjlEEPS9_SE_NS0_5tupleIJPjSE_EEENSF_IJSE_SE_EEES9_SG_JZNS1_25segmented_radix_sort_implINS0_14default_configELb0EPKhPhPKlPlN2at6native12_GLOBAL__N_18offset_tEEE10hipError_tPvRmT1_PNSt15iterator_traitsISY_E10value_typeET2_T3_PNSZ_IS14_E10value_typeET4_jRbjT5_S1A_jjP12ihipStream_tbEUljE_EEESV_SW_SX_S14_S18_S1A_T6_T7_T9_mT8_S1C_bDpT10_ENKUlT_T0_E_clISt17integral_constantIbLb0EES1P_EEDaS1K_S1L_EUlS1K_E_NS1_11comp_targetILNS1_3genE0ELNS1_11target_archE4294967295ELNS1_3gpuE0ELNS1_3repE0EEENS1_30default_config_static_selectorELNS0_4arch9wavefront6targetE0EEEvSY_
                                        ; -- End function
	.set _ZN7rocprim17ROCPRIM_400000_NS6detail17trampoline_kernelINS0_13select_configILj256ELj13ELNS0_17block_load_methodE3ELS4_3ELS4_3ELNS0_20block_scan_algorithmE0ELj4294967295EEENS1_25partition_config_selectorILNS1_17partition_subalgoE3EjNS0_10empty_typeEbEEZZNS1_14partition_implILS8_3ELb0ES6_jNS0_17counting_iteratorIjlEEPS9_SE_NS0_5tupleIJPjSE_EEENSF_IJSE_SE_EEES9_SG_JZNS1_25segmented_radix_sort_implINS0_14default_configELb0EPKhPhPKlPlN2at6native12_GLOBAL__N_18offset_tEEE10hipError_tPvRmT1_PNSt15iterator_traitsISY_E10value_typeET2_T3_PNSZ_IS14_E10value_typeET4_jRbjT5_S1A_jjP12ihipStream_tbEUljE_EEESV_SW_SX_S14_S18_S1A_T6_T7_T9_mT8_S1C_bDpT10_ENKUlT_T0_E_clISt17integral_constantIbLb0EES1P_EEDaS1K_S1L_EUlS1K_E_NS1_11comp_targetILNS1_3genE0ELNS1_11target_archE4294967295ELNS1_3gpuE0ELNS1_3repE0EEENS1_30default_config_static_selectorELNS0_4arch9wavefront6targetE0EEEvSY_.num_vgpr, 0
	.set _ZN7rocprim17ROCPRIM_400000_NS6detail17trampoline_kernelINS0_13select_configILj256ELj13ELNS0_17block_load_methodE3ELS4_3ELS4_3ELNS0_20block_scan_algorithmE0ELj4294967295EEENS1_25partition_config_selectorILNS1_17partition_subalgoE3EjNS0_10empty_typeEbEEZZNS1_14partition_implILS8_3ELb0ES6_jNS0_17counting_iteratorIjlEEPS9_SE_NS0_5tupleIJPjSE_EEENSF_IJSE_SE_EEES9_SG_JZNS1_25segmented_radix_sort_implINS0_14default_configELb0EPKhPhPKlPlN2at6native12_GLOBAL__N_18offset_tEEE10hipError_tPvRmT1_PNSt15iterator_traitsISY_E10value_typeET2_T3_PNSZ_IS14_E10value_typeET4_jRbjT5_S1A_jjP12ihipStream_tbEUljE_EEESV_SW_SX_S14_S18_S1A_T6_T7_T9_mT8_S1C_bDpT10_ENKUlT_T0_E_clISt17integral_constantIbLb0EES1P_EEDaS1K_S1L_EUlS1K_E_NS1_11comp_targetILNS1_3genE0ELNS1_11target_archE4294967295ELNS1_3gpuE0ELNS1_3repE0EEENS1_30default_config_static_selectorELNS0_4arch9wavefront6targetE0EEEvSY_.num_agpr, 0
	.set _ZN7rocprim17ROCPRIM_400000_NS6detail17trampoline_kernelINS0_13select_configILj256ELj13ELNS0_17block_load_methodE3ELS4_3ELS4_3ELNS0_20block_scan_algorithmE0ELj4294967295EEENS1_25partition_config_selectorILNS1_17partition_subalgoE3EjNS0_10empty_typeEbEEZZNS1_14partition_implILS8_3ELb0ES6_jNS0_17counting_iteratorIjlEEPS9_SE_NS0_5tupleIJPjSE_EEENSF_IJSE_SE_EEES9_SG_JZNS1_25segmented_radix_sort_implINS0_14default_configELb0EPKhPhPKlPlN2at6native12_GLOBAL__N_18offset_tEEE10hipError_tPvRmT1_PNSt15iterator_traitsISY_E10value_typeET2_T3_PNSZ_IS14_E10value_typeET4_jRbjT5_S1A_jjP12ihipStream_tbEUljE_EEESV_SW_SX_S14_S18_S1A_T6_T7_T9_mT8_S1C_bDpT10_ENKUlT_T0_E_clISt17integral_constantIbLb0EES1P_EEDaS1K_S1L_EUlS1K_E_NS1_11comp_targetILNS1_3genE0ELNS1_11target_archE4294967295ELNS1_3gpuE0ELNS1_3repE0EEENS1_30default_config_static_selectorELNS0_4arch9wavefront6targetE0EEEvSY_.numbered_sgpr, 0
	.set _ZN7rocprim17ROCPRIM_400000_NS6detail17trampoline_kernelINS0_13select_configILj256ELj13ELNS0_17block_load_methodE3ELS4_3ELS4_3ELNS0_20block_scan_algorithmE0ELj4294967295EEENS1_25partition_config_selectorILNS1_17partition_subalgoE3EjNS0_10empty_typeEbEEZZNS1_14partition_implILS8_3ELb0ES6_jNS0_17counting_iteratorIjlEEPS9_SE_NS0_5tupleIJPjSE_EEENSF_IJSE_SE_EEES9_SG_JZNS1_25segmented_radix_sort_implINS0_14default_configELb0EPKhPhPKlPlN2at6native12_GLOBAL__N_18offset_tEEE10hipError_tPvRmT1_PNSt15iterator_traitsISY_E10value_typeET2_T3_PNSZ_IS14_E10value_typeET4_jRbjT5_S1A_jjP12ihipStream_tbEUljE_EEESV_SW_SX_S14_S18_S1A_T6_T7_T9_mT8_S1C_bDpT10_ENKUlT_T0_E_clISt17integral_constantIbLb0EES1P_EEDaS1K_S1L_EUlS1K_E_NS1_11comp_targetILNS1_3genE0ELNS1_11target_archE4294967295ELNS1_3gpuE0ELNS1_3repE0EEENS1_30default_config_static_selectorELNS0_4arch9wavefront6targetE0EEEvSY_.num_named_barrier, 0
	.set _ZN7rocprim17ROCPRIM_400000_NS6detail17trampoline_kernelINS0_13select_configILj256ELj13ELNS0_17block_load_methodE3ELS4_3ELS4_3ELNS0_20block_scan_algorithmE0ELj4294967295EEENS1_25partition_config_selectorILNS1_17partition_subalgoE3EjNS0_10empty_typeEbEEZZNS1_14partition_implILS8_3ELb0ES6_jNS0_17counting_iteratorIjlEEPS9_SE_NS0_5tupleIJPjSE_EEENSF_IJSE_SE_EEES9_SG_JZNS1_25segmented_radix_sort_implINS0_14default_configELb0EPKhPhPKlPlN2at6native12_GLOBAL__N_18offset_tEEE10hipError_tPvRmT1_PNSt15iterator_traitsISY_E10value_typeET2_T3_PNSZ_IS14_E10value_typeET4_jRbjT5_S1A_jjP12ihipStream_tbEUljE_EEESV_SW_SX_S14_S18_S1A_T6_T7_T9_mT8_S1C_bDpT10_ENKUlT_T0_E_clISt17integral_constantIbLb0EES1P_EEDaS1K_S1L_EUlS1K_E_NS1_11comp_targetILNS1_3genE0ELNS1_11target_archE4294967295ELNS1_3gpuE0ELNS1_3repE0EEENS1_30default_config_static_selectorELNS0_4arch9wavefront6targetE0EEEvSY_.private_seg_size, 0
	.set _ZN7rocprim17ROCPRIM_400000_NS6detail17trampoline_kernelINS0_13select_configILj256ELj13ELNS0_17block_load_methodE3ELS4_3ELS4_3ELNS0_20block_scan_algorithmE0ELj4294967295EEENS1_25partition_config_selectorILNS1_17partition_subalgoE3EjNS0_10empty_typeEbEEZZNS1_14partition_implILS8_3ELb0ES6_jNS0_17counting_iteratorIjlEEPS9_SE_NS0_5tupleIJPjSE_EEENSF_IJSE_SE_EEES9_SG_JZNS1_25segmented_radix_sort_implINS0_14default_configELb0EPKhPhPKlPlN2at6native12_GLOBAL__N_18offset_tEEE10hipError_tPvRmT1_PNSt15iterator_traitsISY_E10value_typeET2_T3_PNSZ_IS14_E10value_typeET4_jRbjT5_S1A_jjP12ihipStream_tbEUljE_EEESV_SW_SX_S14_S18_S1A_T6_T7_T9_mT8_S1C_bDpT10_ENKUlT_T0_E_clISt17integral_constantIbLb0EES1P_EEDaS1K_S1L_EUlS1K_E_NS1_11comp_targetILNS1_3genE0ELNS1_11target_archE4294967295ELNS1_3gpuE0ELNS1_3repE0EEENS1_30default_config_static_selectorELNS0_4arch9wavefront6targetE0EEEvSY_.uses_vcc, 0
	.set _ZN7rocprim17ROCPRIM_400000_NS6detail17trampoline_kernelINS0_13select_configILj256ELj13ELNS0_17block_load_methodE3ELS4_3ELS4_3ELNS0_20block_scan_algorithmE0ELj4294967295EEENS1_25partition_config_selectorILNS1_17partition_subalgoE3EjNS0_10empty_typeEbEEZZNS1_14partition_implILS8_3ELb0ES6_jNS0_17counting_iteratorIjlEEPS9_SE_NS0_5tupleIJPjSE_EEENSF_IJSE_SE_EEES9_SG_JZNS1_25segmented_radix_sort_implINS0_14default_configELb0EPKhPhPKlPlN2at6native12_GLOBAL__N_18offset_tEEE10hipError_tPvRmT1_PNSt15iterator_traitsISY_E10value_typeET2_T3_PNSZ_IS14_E10value_typeET4_jRbjT5_S1A_jjP12ihipStream_tbEUljE_EEESV_SW_SX_S14_S18_S1A_T6_T7_T9_mT8_S1C_bDpT10_ENKUlT_T0_E_clISt17integral_constantIbLb0EES1P_EEDaS1K_S1L_EUlS1K_E_NS1_11comp_targetILNS1_3genE0ELNS1_11target_archE4294967295ELNS1_3gpuE0ELNS1_3repE0EEENS1_30default_config_static_selectorELNS0_4arch9wavefront6targetE0EEEvSY_.uses_flat_scratch, 0
	.set _ZN7rocprim17ROCPRIM_400000_NS6detail17trampoline_kernelINS0_13select_configILj256ELj13ELNS0_17block_load_methodE3ELS4_3ELS4_3ELNS0_20block_scan_algorithmE0ELj4294967295EEENS1_25partition_config_selectorILNS1_17partition_subalgoE3EjNS0_10empty_typeEbEEZZNS1_14partition_implILS8_3ELb0ES6_jNS0_17counting_iteratorIjlEEPS9_SE_NS0_5tupleIJPjSE_EEENSF_IJSE_SE_EEES9_SG_JZNS1_25segmented_radix_sort_implINS0_14default_configELb0EPKhPhPKlPlN2at6native12_GLOBAL__N_18offset_tEEE10hipError_tPvRmT1_PNSt15iterator_traitsISY_E10value_typeET2_T3_PNSZ_IS14_E10value_typeET4_jRbjT5_S1A_jjP12ihipStream_tbEUljE_EEESV_SW_SX_S14_S18_S1A_T6_T7_T9_mT8_S1C_bDpT10_ENKUlT_T0_E_clISt17integral_constantIbLb0EES1P_EEDaS1K_S1L_EUlS1K_E_NS1_11comp_targetILNS1_3genE0ELNS1_11target_archE4294967295ELNS1_3gpuE0ELNS1_3repE0EEENS1_30default_config_static_selectorELNS0_4arch9wavefront6targetE0EEEvSY_.has_dyn_sized_stack, 0
	.set _ZN7rocprim17ROCPRIM_400000_NS6detail17trampoline_kernelINS0_13select_configILj256ELj13ELNS0_17block_load_methodE3ELS4_3ELS4_3ELNS0_20block_scan_algorithmE0ELj4294967295EEENS1_25partition_config_selectorILNS1_17partition_subalgoE3EjNS0_10empty_typeEbEEZZNS1_14partition_implILS8_3ELb0ES6_jNS0_17counting_iteratorIjlEEPS9_SE_NS0_5tupleIJPjSE_EEENSF_IJSE_SE_EEES9_SG_JZNS1_25segmented_radix_sort_implINS0_14default_configELb0EPKhPhPKlPlN2at6native12_GLOBAL__N_18offset_tEEE10hipError_tPvRmT1_PNSt15iterator_traitsISY_E10value_typeET2_T3_PNSZ_IS14_E10value_typeET4_jRbjT5_S1A_jjP12ihipStream_tbEUljE_EEESV_SW_SX_S14_S18_S1A_T6_T7_T9_mT8_S1C_bDpT10_ENKUlT_T0_E_clISt17integral_constantIbLb0EES1P_EEDaS1K_S1L_EUlS1K_E_NS1_11comp_targetILNS1_3genE0ELNS1_11target_archE4294967295ELNS1_3gpuE0ELNS1_3repE0EEENS1_30default_config_static_selectorELNS0_4arch9wavefront6targetE0EEEvSY_.has_recursion, 0
	.set _ZN7rocprim17ROCPRIM_400000_NS6detail17trampoline_kernelINS0_13select_configILj256ELj13ELNS0_17block_load_methodE3ELS4_3ELS4_3ELNS0_20block_scan_algorithmE0ELj4294967295EEENS1_25partition_config_selectorILNS1_17partition_subalgoE3EjNS0_10empty_typeEbEEZZNS1_14partition_implILS8_3ELb0ES6_jNS0_17counting_iteratorIjlEEPS9_SE_NS0_5tupleIJPjSE_EEENSF_IJSE_SE_EEES9_SG_JZNS1_25segmented_radix_sort_implINS0_14default_configELb0EPKhPhPKlPlN2at6native12_GLOBAL__N_18offset_tEEE10hipError_tPvRmT1_PNSt15iterator_traitsISY_E10value_typeET2_T3_PNSZ_IS14_E10value_typeET4_jRbjT5_S1A_jjP12ihipStream_tbEUljE_EEESV_SW_SX_S14_S18_S1A_T6_T7_T9_mT8_S1C_bDpT10_ENKUlT_T0_E_clISt17integral_constantIbLb0EES1P_EEDaS1K_S1L_EUlS1K_E_NS1_11comp_targetILNS1_3genE0ELNS1_11target_archE4294967295ELNS1_3gpuE0ELNS1_3repE0EEENS1_30default_config_static_selectorELNS0_4arch9wavefront6targetE0EEEvSY_.has_indirect_call, 0
	.section	.AMDGPU.csdata,"",@progbits
; Kernel info:
; codeLenInByte = 0
; TotalNumSgprs: 0
; NumVgprs: 0
; ScratchSize: 0
; MemoryBound: 0
; FloatMode: 240
; IeeeMode: 1
; LDSByteSize: 0 bytes/workgroup (compile time only)
; SGPRBlocks: 0
; VGPRBlocks: 0
; NumSGPRsForWavesPerEU: 1
; NumVGPRsForWavesPerEU: 1
; Occupancy: 16
; WaveLimiterHint : 0
; COMPUTE_PGM_RSRC2:SCRATCH_EN: 0
; COMPUTE_PGM_RSRC2:USER_SGPR: 2
; COMPUTE_PGM_RSRC2:TRAP_HANDLER: 0
; COMPUTE_PGM_RSRC2:TGID_X_EN: 1
; COMPUTE_PGM_RSRC2:TGID_Y_EN: 0
; COMPUTE_PGM_RSRC2:TGID_Z_EN: 0
; COMPUTE_PGM_RSRC2:TIDIG_COMP_CNT: 0
	.section	.text._ZN7rocprim17ROCPRIM_400000_NS6detail17trampoline_kernelINS0_13select_configILj256ELj13ELNS0_17block_load_methodE3ELS4_3ELS4_3ELNS0_20block_scan_algorithmE0ELj4294967295EEENS1_25partition_config_selectorILNS1_17partition_subalgoE3EjNS0_10empty_typeEbEEZZNS1_14partition_implILS8_3ELb0ES6_jNS0_17counting_iteratorIjlEEPS9_SE_NS0_5tupleIJPjSE_EEENSF_IJSE_SE_EEES9_SG_JZNS1_25segmented_radix_sort_implINS0_14default_configELb0EPKhPhPKlPlN2at6native12_GLOBAL__N_18offset_tEEE10hipError_tPvRmT1_PNSt15iterator_traitsISY_E10value_typeET2_T3_PNSZ_IS14_E10value_typeET4_jRbjT5_S1A_jjP12ihipStream_tbEUljE_EEESV_SW_SX_S14_S18_S1A_T6_T7_T9_mT8_S1C_bDpT10_ENKUlT_T0_E_clISt17integral_constantIbLb0EES1P_EEDaS1K_S1L_EUlS1K_E_NS1_11comp_targetILNS1_3genE5ELNS1_11target_archE942ELNS1_3gpuE9ELNS1_3repE0EEENS1_30default_config_static_selectorELNS0_4arch9wavefront6targetE0EEEvSY_,"axG",@progbits,_ZN7rocprim17ROCPRIM_400000_NS6detail17trampoline_kernelINS0_13select_configILj256ELj13ELNS0_17block_load_methodE3ELS4_3ELS4_3ELNS0_20block_scan_algorithmE0ELj4294967295EEENS1_25partition_config_selectorILNS1_17partition_subalgoE3EjNS0_10empty_typeEbEEZZNS1_14partition_implILS8_3ELb0ES6_jNS0_17counting_iteratorIjlEEPS9_SE_NS0_5tupleIJPjSE_EEENSF_IJSE_SE_EEES9_SG_JZNS1_25segmented_radix_sort_implINS0_14default_configELb0EPKhPhPKlPlN2at6native12_GLOBAL__N_18offset_tEEE10hipError_tPvRmT1_PNSt15iterator_traitsISY_E10value_typeET2_T3_PNSZ_IS14_E10value_typeET4_jRbjT5_S1A_jjP12ihipStream_tbEUljE_EEESV_SW_SX_S14_S18_S1A_T6_T7_T9_mT8_S1C_bDpT10_ENKUlT_T0_E_clISt17integral_constantIbLb0EES1P_EEDaS1K_S1L_EUlS1K_E_NS1_11comp_targetILNS1_3genE5ELNS1_11target_archE942ELNS1_3gpuE9ELNS1_3repE0EEENS1_30default_config_static_selectorELNS0_4arch9wavefront6targetE0EEEvSY_,comdat
	.globl	_ZN7rocprim17ROCPRIM_400000_NS6detail17trampoline_kernelINS0_13select_configILj256ELj13ELNS0_17block_load_methodE3ELS4_3ELS4_3ELNS0_20block_scan_algorithmE0ELj4294967295EEENS1_25partition_config_selectorILNS1_17partition_subalgoE3EjNS0_10empty_typeEbEEZZNS1_14partition_implILS8_3ELb0ES6_jNS0_17counting_iteratorIjlEEPS9_SE_NS0_5tupleIJPjSE_EEENSF_IJSE_SE_EEES9_SG_JZNS1_25segmented_radix_sort_implINS0_14default_configELb0EPKhPhPKlPlN2at6native12_GLOBAL__N_18offset_tEEE10hipError_tPvRmT1_PNSt15iterator_traitsISY_E10value_typeET2_T3_PNSZ_IS14_E10value_typeET4_jRbjT5_S1A_jjP12ihipStream_tbEUljE_EEESV_SW_SX_S14_S18_S1A_T6_T7_T9_mT8_S1C_bDpT10_ENKUlT_T0_E_clISt17integral_constantIbLb0EES1P_EEDaS1K_S1L_EUlS1K_E_NS1_11comp_targetILNS1_3genE5ELNS1_11target_archE942ELNS1_3gpuE9ELNS1_3repE0EEENS1_30default_config_static_selectorELNS0_4arch9wavefront6targetE0EEEvSY_ ; -- Begin function _ZN7rocprim17ROCPRIM_400000_NS6detail17trampoline_kernelINS0_13select_configILj256ELj13ELNS0_17block_load_methodE3ELS4_3ELS4_3ELNS0_20block_scan_algorithmE0ELj4294967295EEENS1_25partition_config_selectorILNS1_17partition_subalgoE3EjNS0_10empty_typeEbEEZZNS1_14partition_implILS8_3ELb0ES6_jNS0_17counting_iteratorIjlEEPS9_SE_NS0_5tupleIJPjSE_EEENSF_IJSE_SE_EEES9_SG_JZNS1_25segmented_radix_sort_implINS0_14default_configELb0EPKhPhPKlPlN2at6native12_GLOBAL__N_18offset_tEEE10hipError_tPvRmT1_PNSt15iterator_traitsISY_E10value_typeET2_T3_PNSZ_IS14_E10value_typeET4_jRbjT5_S1A_jjP12ihipStream_tbEUljE_EEESV_SW_SX_S14_S18_S1A_T6_T7_T9_mT8_S1C_bDpT10_ENKUlT_T0_E_clISt17integral_constantIbLb0EES1P_EEDaS1K_S1L_EUlS1K_E_NS1_11comp_targetILNS1_3genE5ELNS1_11target_archE942ELNS1_3gpuE9ELNS1_3repE0EEENS1_30default_config_static_selectorELNS0_4arch9wavefront6targetE0EEEvSY_
	.p2align	8
	.type	_ZN7rocprim17ROCPRIM_400000_NS6detail17trampoline_kernelINS0_13select_configILj256ELj13ELNS0_17block_load_methodE3ELS4_3ELS4_3ELNS0_20block_scan_algorithmE0ELj4294967295EEENS1_25partition_config_selectorILNS1_17partition_subalgoE3EjNS0_10empty_typeEbEEZZNS1_14partition_implILS8_3ELb0ES6_jNS0_17counting_iteratorIjlEEPS9_SE_NS0_5tupleIJPjSE_EEENSF_IJSE_SE_EEES9_SG_JZNS1_25segmented_radix_sort_implINS0_14default_configELb0EPKhPhPKlPlN2at6native12_GLOBAL__N_18offset_tEEE10hipError_tPvRmT1_PNSt15iterator_traitsISY_E10value_typeET2_T3_PNSZ_IS14_E10value_typeET4_jRbjT5_S1A_jjP12ihipStream_tbEUljE_EEESV_SW_SX_S14_S18_S1A_T6_T7_T9_mT8_S1C_bDpT10_ENKUlT_T0_E_clISt17integral_constantIbLb0EES1P_EEDaS1K_S1L_EUlS1K_E_NS1_11comp_targetILNS1_3genE5ELNS1_11target_archE942ELNS1_3gpuE9ELNS1_3repE0EEENS1_30default_config_static_selectorELNS0_4arch9wavefront6targetE0EEEvSY_,@function
_ZN7rocprim17ROCPRIM_400000_NS6detail17trampoline_kernelINS0_13select_configILj256ELj13ELNS0_17block_load_methodE3ELS4_3ELS4_3ELNS0_20block_scan_algorithmE0ELj4294967295EEENS1_25partition_config_selectorILNS1_17partition_subalgoE3EjNS0_10empty_typeEbEEZZNS1_14partition_implILS8_3ELb0ES6_jNS0_17counting_iteratorIjlEEPS9_SE_NS0_5tupleIJPjSE_EEENSF_IJSE_SE_EEES9_SG_JZNS1_25segmented_radix_sort_implINS0_14default_configELb0EPKhPhPKlPlN2at6native12_GLOBAL__N_18offset_tEEE10hipError_tPvRmT1_PNSt15iterator_traitsISY_E10value_typeET2_T3_PNSZ_IS14_E10value_typeET4_jRbjT5_S1A_jjP12ihipStream_tbEUljE_EEESV_SW_SX_S14_S18_S1A_T6_T7_T9_mT8_S1C_bDpT10_ENKUlT_T0_E_clISt17integral_constantIbLb0EES1P_EEDaS1K_S1L_EUlS1K_E_NS1_11comp_targetILNS1_3genE5ELNS1_11target_archE942ELNS1_3gpuE9ELNS1_3repE0EEENS1_30default_config_static_selectorELNS0_4arch9wavefront6targetE0EEEvSY_: ; @_ZN7rocprim17ROCPRIM_400000_NS6detail17trampoline_kernelINS0_13select_configILj256ELj13ELNS0_17block_load_methodE3ELS4_3ELS4_3ELNS0_20block_scan_algorithmE0ELj4294967295EEENS1_25partition_config_selectorILNS1_17partition_subalgoE3EjNS0_10empty_typeEbEEZZNS1_14partition_implILS8_3ELb0ES6_jNS0_17counting_iteratorIjlEEPS9_SE_NS0_5tupleIJPjSE_EEENSF_IJSE_SE_EEES9_SG_JZNS1_25segmented_radix_sort_implINS0_14default_configELb0EPKhPhPKlPlN2at6native12_GLOBAL__N_18offset_tEEE10hipError_tPvRmT1_PNSt15iterator_traitsISY_E10value_typeET2_T3_PNSZ_IS14_E10value_typeET4_jRbjT5_S1A_jjP12ihipStream_tbEUljE_EEESV_SW_SX_S14_S18_S1A_T6_T7_T9_mT8_S1C_bDpT10_ENKUlT_T0_E_clISt17integral_constantIbLb0EES1P_EEDaS1K_S1L_EUlS1K_E_NS1_11comp_targetILNS1_3genE5ELNS1_11target_archE942ELNS1_3gpuE9ELNS1_3repE0EEENS1_30default_config_static_selectorELNS0_4arch9wavefront6targetE0EEEvSY_
; %bb.0:
	.section	.rodata,"a",@progbits
	.p2align	6, 0x0
	.amdhsa_kernel _ZN7rocprim17ROCPRIM_400000_NS6detail17trampoline_kernelINS0_13select_configILj256ELj13ELNS0_17block_load_methodE3ELS4_3ELS4_3ELNS0_20block_scan_algorithmE0ELj4294967295EEENS1_25partition_config_selectorILNS1_17partition_subalgoE3EjNS0_10empty_typeEbEEZZNS1_14partition_implILS8_3ELb0ES6_jNS0_17counting_iteratorIjlEEPS9_SE_NS0_5tupleIJPjSE_EEENSF_IJSE_SE_EEES9_SG_JZNS1_25segmented_radix_sort_implINS0_14default_configELb0EPKhPhPKlPlN2at6native12_GLOBAL__N_18offset_tEEE10hipError_tPvRmT1_PNSt15iterator_traitsISY_E10value_typeET2_T3_PNSZ_IS14_E10value_typeET4_jRbjT5_S1A_jjP12ihipStream_tbEUljE_EEESV_SW_SX_S14_S18_S1A_T6_T7_T9_mT8_S1C_bDpT10_ENKUlT_T0_E_clISt17integral_constantIbLb0EES1P_EEDaS1K_S1L_EUlS1K_E_NS1_11comp_targetILNS1_3genE5ELNS1_11target_archE942ELNS1_3gpuE9ELNS1_3repE0EEENS1_30default_config_static_selectorELNS0_4arch9wavefront6targetE0EEEvSY_
		.amdhsa_group_segment_fixed_size 0
		.amdhsa_private_segment_fixed_size 0
		.amdhsa_kernarg_size 144
		.amdhsa_user_sgpr_count 2
		.amdhsa_user_sgpr_dispatch_ptr 0
		.amdhsa_user_sgpr_queue_ptr 0
		.amdhsa_user_sgpr_kernarg_segment_ptr 1
		.amdhsa_user_sgpr_dispatch_id 0
		.amdhsa_user_sgpr_private_segment_size 0
		.amdhsa_wavefront_size32 1
		.amdhsa_uses_dynamic_stack 0
		.amdhsa_enable_private_segment 0
		.amdhsa_system_sgpr_workgroup_id_x 1
		.amdhsa_system_sgpr_workgroup_id_y 0
		.amdhsa_system_sgpr_workgroup_id_z 0
		.amdhsa_system_sgpr_workgroup_info 0
		.amdhsa_system_vgpr_workitem_id 0
		.amdhsa_next_free_vgpr 1
		.amdhsa_next_free_sgpr 1
		.amdhsa_reserve_vcc 0
		.amdhsa_float_round_mode_32 0
		.amdhsa_float_round_mode_16_64 0
		.amdhsa_float_denorm_mode_32 3
		.amdhsa_float_denorm_mode_16_64 3
		.amdhsa_fp16_overflow 0
		.amdhsa_workgroup_processor_mode 1
		.amdhsa_memory_ordered 1
		.amdhsa_forward_progress 1
		.amdhsa_inst_pref_size 0
		.amdhsa_round_robin_scheduling 0
		.amdhsa_exception_fp_ieee_invalid_op 0
		.amdhsa_exception_fp_denorm_src 0
		.amdhsa_exception_fp_ieee_div_zero 0
		.amdhsa_exception_fp_ieee_overflow 0
		.amdhsa_exception_fp_ieee_underflow 0
		.amdhsa_exception_fp_ieee_inexact 0
		.amdhsa_exception_int_div_zero 0
	.end_amdhsa_kernel
	.section	.text._ZN7rocprim17ROCPRIM_400000_NS6detail17trampoline_kernelINS0_13select_configILj256ELj13ELNS0_17block_load_methodE3ELS4_3ELS4_3ELNS0_20block_scan_algorithmE0ELj4294967295EEENS1_25partition_config_selectorILNS1_17partition_subalgoE3EjNS0_10empty_typeEbEEZZNS1_14partition_implILS8_3ELb0ES6_jNS0_17counting_iteratorIjlEEPS9_SE_NS0_5tupleIJPjSE_EEENSF_IJSE_SE_EEES9_SG_JZNS1_25segmented_radix_sort_implINS0_14default_configELb0EPKhPhPKlPlN2at6native12_GLOBAL__N_18offset_tEEE10hipError_tPvRmT1_PNSt15iterator_traitsISY_E10value_typeET2_T3_PNSZ_IS14_E10value_typeET4_jRbjT5_S1A_jjP12ihipStream_tbEUljE_EEESV_SW_SX_S14_S18_S1A_T6_T7_T9_mT8_S1C_bDpT10_ENKUlT_T0_E_clISt17integral_constantIbLb0EES1P_EEDaS1K_S1L_EUlS1K_E_NS1_11comp_targetILNS1_3genE5ELNS1_11target_archE942ELNS1_3gpuE9ELNS1_3repE0EEENS1_30default_config_static_selectorELNS0_4arch9wavefront6targetE0EEEvSY_,"axG",@progbits,_ZN7rocprim17ROCPRIM_400000_NS6detail17trampoline_kernelINS0_13select_configILj256ELj13ELNS0_17block_load_methodE3ELS4_3ELS4_3ELNS0_20block_scan_algorithmE0ELj4294967295EEENS1_25partition_config_selectorILNS1_17partition_subalgoE3EjNS0_10empty_typeEbEEZZNS1_14partition_implILS8_3ELb0ES6_jNS0_17counting_iteratorIjlEEPS9_SE_NS0_5tupleIJPjSE_EEENSF_IJSE_SE_EEES9_SG_JZNS1_25segmented_radix_sort_implINS0_14default_configELb0EPKhPhPKlPlN2at6native12_GLOBAL__N_18offset_tEEE10hipError_tPvRmT1_PNSt15iterator_traitsISY_E10value_typeET2_T3_PNSZ_IS14_E10value_typeET4_jRbjT5_S1A_jjP12ihipStream_tbEUljE_EEESV_SW_SX_S14_S18_S1A_T6_T7_T9_mT8_S1C_bDpT10_ENKUlT_T0_E_clISt17integral_constantIbLb0EES1P_EEDaS1K_S1L_EUlS1K_E_NS1_11comp_targetILNS1_3genE5ELNS1_11target_archE942ELNS1_3gpuE9ELNS1_3repE0EEENS1_30default_config_static_selectorELNS0_4arch9wavefront6targetE0EEEvSY_,comdat
.Lfunc_end155:
	.size	_ZN7rocprim17ROCPRIM_400000_NS6detail17trampoline_kernelINS0_13select_configILj256ELj13ELNS0_17block_load_methodE3ELS4_3ELS4_3ELNS0_20block_scan_algorithmE0ELj4294967295EEENS1_25partition_config_selectorILNS1_17partition_subalgoE3EjNS0_10empty_typeEbEEZZNS1_14partition_implILS8_3ELb0ES6_jNS0_17counting_iteratorIjlEEPS9_SE_NS0_5tupleIJPjSE_EEENSF_IJSE_SE_EEES9_SG_JZNS1_25segmented_radix_sort_implINS0_14default_configELb0EPKhPhPKlPlN2at6native12_GLOBAL__N_18offset_tEEE10hipError_tPvRmT1_PNSt15iterator_traitsISY_E10value_typeET2_T3_PNSZ_IS14_E10value_typeET4_jRbjT5_S1A_jjP12ihipStream_tbEUljE_EEESV_SW_SX_S14_S18_S1A_T6_T7_T9_mT8_S1C_bDpT10_ENKUlT_T0_E_clISt17integral_constantIbLb0EES1P_EEDaS1K_S1L_EUlS1K_E_NS1_11comp_targetILNS1_3genE5ELNS1_11target_archE942ELNS1_3gpuE9ELNS1_3repE0EEENS1_30default_config_static_selectorELNS0_4arch9wavefront6targetE0EEEvSY_, .Lfunc_end155-_ZN7rocprim17ROCPRIM_400000_NS6detail17trampoline_kernelINS0_13select_configILj256ELj13ELNS0_17block_load_methodE3ELS4_3ELS4_3ELNS0_20block_scan_algorithmE0ELj4294967295EEENS1_25partition_config_selectorILNS1_17partition_subalgoE3EjNS0_10empty_typeEbEEZZNS1_14partition_implILS8_3ELb0ES6_jNS0_17counting_iteratorIjlEEPS9_SE_NS0_5tupleIJPjSE_EEENSF_IJSE_SE_EEES9_SG_JZNS1_25segmented_radix_sort_implINS0_14default_configELb0EPKhPhPKlPlN2at6native12_GLOBAL__N_18offset_tEEE10hipError_tPvRmT1_PNSt15iterator_traitsISY_E10value_typeET2_T3_PNSZ_IS14_E10value_typeET4_jRbjT5_S1A_jjP12ihipStream_tbEUljE_EEESV_SW_SX_S14_S18_S1A_T6_T7_T9_mT8_S1C_bDpT10_ENKUlT_T0_E_clISt17integral_constantIbLb0EES1P_EEDaS1K_S1L_EUlS1K_E_NS1_11comp_targetILNS1_3genE5ELNS1_11target_archE942ELNS1_3gpuE9ELNS1_3repE0EEENS1_30default_config_static_selectorELNS0_4arch9wavefront6targetE0EEEvSY_
                                        ; -- End function
	.set _ZN7rocprim17ROCPRIM_400000_NS6detail17trampoline_kernelINS0_13select_configILj256ELj13ELNS0_17block_load_methodE3ELS4_3ELS4_3ELNS0_20block_scan_algorithmE0ELj4294967295EEENS1_25partition_config_selectorILNS1_17partition_subalgoE3EjNS0_10empty_typeEbEEZZNS1_14partition_implILS8_3ELb0ES6_jNS0_17counting_iteratorIjlEEPS9_SE_NS0_5tupleIJPjSE_EEENSF_IJSE_SE_EEES9_SG_JZNS1_25segmented_radix_sort_implINS0_14default_configELb0EPKhPhPKlPlN2at6native12_GLOBAL__N_18offset_tEEE10hipError_tPvRmT1_PNSt15iterator_traitsISY_E10value_typeET2_T3_PNSZ_IS14_E10value_typeET4_jRbjT5_S1A_jjP12ihipStream_tbEUljE_EEESV_SW_SX_S14_S18_S1A_T6_T7_T9_mT8_S1C_bDpT10_ENKUlT_T0_E_clISt17integral_constantIbLb0EES1P_EEDaS1K_S1L_EUlS1K_E_NS1_11comp_targetILNS1_3genE5ELNS1_11target_archE942ELNS1_3gpuE9ELNS1_3repE0EEENS1_30default_config_static_selectorELNS0_4arch9wavefront6targetE0EEEvSY_.num_vgpr, 0
	.set _ZN7rocprim17ROCPRIM_400000_NS6detail17trampoline_kernelINS0_13select_configILj256ELj13ELNS0_17block_load_methodE3ELS4_3ELS4_3ELNS0_20block_scan_algorithmE0ELj4294967295EEENS1_25partition_config_selectorILNS1_17partition_subalgoE3EjNS0_10empty_typeEbEEZZNS1_14partition_implILS8_3ELb0ES6_jNS0_17counting_iteratorIjlEEPS9_SE_NS0_5tupleIJPjSE_EEENSF_IJSE_SE_EEES9_SG_JZNS1_25segmented_radix_sort_implINS0_14default_configELb0EPKhPhPKlPlN2at6native12_GLOBAL__N_18offset_tEEE10hipError_tPvRmT1_PNSt15iterator_traitsISY_E10value_typeET2_T3_PNSZ_IS14_E10value_typeET4_jRbjT5_S1A_jjP12ihipStream_tbEUljE_EEESV_SW_SX_S14_S18_S1A_T6_T7_T9_mT8_S1C_bDpT10_ENKUlT_T0_E_clISt17integral_constantIbLb0EES1P_EEDaS1K_S1L_EUlS1K_E_NS1_11comp_targetILNS1_3genE5ELNS1_11target_archE942ELNS1_3gpuE9ELNS1_3repE0EEENS1_30default_config_static_selectorELNS0_4arch9wavefront6targetE0EEEvSY_.num_agpr, 0
	.set _ZN7rocprim17ROCPRIM_400000_NS6detail17trampoline_kernelINS0_13select_configILj256ELj13ELNS0_17block_load_methodE3ELS4_3ELS4_3ELNS0_20block_scan_algorithmE0ELj4294967295EEENS1_25partition_config_selectorILNS1_17partition_subalgoE3EjNS0_10empty_typeEbEEZZNS1_14partition_implILS8_3ELb0ES6_jNS0_17counting_iteratorIjlEEPS9_SE_NS0_5tupleIJPjSE_EEENSF_IJSE_SE_EEES9_SG_JZNS1_25segmented_radix_sort_implINS0_14default_configELb0EPKhPhPKlPlN2at6native12_GLOBAL__N_18offset_tEEE10hipError_tPvRmT1_PNSt15iterator_traitsISY_E10value_typeET2_T3_PNSZ_IS14_E10value_typeET4_jRbjT5_S1A_jjP12ihipStream_tbEUljE_EEESV_SW_SX_S14_S18_S1A_T6_T7_T9_mT8_S1C_bDpT10_ENKUlT_T0_E_clISt17integral_constantIbLb0EES1P_EEDaS1K_S1L_EUlS1K_E_NS1_11comp_targetILNS1_3genE5ELNS1_11target_archE942ELNS1_3gpuE9ELNS1_3repE0EEENS1_30default_config_static_selectorELNS0_4arch9wavefront6targetE0EEEvSY_.numbered_sgpr, 0
	.set _ZN7rocprim17ROCPRIM_400000_NS6detail17trampoline_kernelINS0_13select_configILj256ELj13ELNS0_17block_load_methodE3ELS4_3ELS4_3ELNS0_20block_scan_algorithmE0ELj4294967295EEENS1_25partition_config_selectorILNS1_17partition_subalgoE3EjNS0_10empty_typeEbEEZZNS1_14partition_implILS8_3ELb0ES6_jNS0_17counting_iteratorIjlEEPS9_SE_NS0_5tupleIJPjSE_EEENSF_IJSE_SE_EEES9_SG_JZNS1_25segmented_radix_sort_implINS0_14default_configELb0EPKhPhPKlPlN2at6native12_GLOBAL__N_18offset_tEEE10hipError_tPvRmT1_PNSt15iterator_traitsISY_E10value_typeET2_T3_PNSZ_IS14_E10value_typeET4_jRbjT5_S1A_jjP12ihipStream_tbEUljE_EEESV_SW_SX_S14_S18_S1A_T6_T7_T9_mT8_S1C_bDpT10_ENKUlT_T0_E_clISt17integral_constantIbLb0EES1P_EEDaS1K_S1L_EUlS1K_E_NS1_11comp_targetILNS1_3genE5ELNS1_11target_archE942ELNS1_3gpuE9ELNS1_3repE0EEENS1_30default_config_static_selectorELNS0_4arch9wavefront6targetE0EEEvSY_.num_named_barrier, 0
	.set _ZN7rocprim17ROCPRIM_400000_NS6detail17trampoline_kernelINS0_13select_configILj256ELj13ELNS0_17block_load_methodE3ELS4_3ELS4_3ELNS0_20block_scan_algorithmE0ELj4294967295EEENS1_25partition_config_selectorILNS1_17partition_subalgoE3EjNS0_10empty_typeEbEEZZNS1_14partition_implILS8_3ELb0ES6_jNS0_17counting_iteratorIjlEEPS9_SE_NS0_5tupleIJPjSE_EEENSF_IJSE_SE_EEES9_SG_JZNS1_25segmented_radix_sort_implINS0_14default_configELb0EPKhPhPKlPlN2at6native12_GLOBAL__N_18offset_tEEE10hipError_tPvRmT1_PNSt15iterator_traitsISY_E10value_typeET2_T3_PNSZ_IS14_E10value_typeET4_jRbjT5_S1A_jjP12ihipStream_tbEUljE_EEESV_SW_SX_S14_S18_S1A_T6_T7_T9_mT8_S1C_bDpT10_ENKUlT_T0_E_clISt17integral_constantIbLb0EES1P_EEDaS1K_S1L_EUlS1K_E_NS1_11comp_targetILNS1_3genE5ELNS1_11target_archE942ELNS1_3gpuE9ELNS1_3repE0EEENS1_30default_config_static_selectorELNS0_4arch9wavefront6targetE0EEEvSY_.private_seg_size, 0
	.set _ZN7rocprim17ROCPRIM_400000_NS6detail17trampoline_kernelINS0_13select_configILj256ELj13ELNS0_17block_load_methodE3ELS4_3ELS4_3ELNS0_20block_scan_algorithmE0ELj4294967295EEENS1_25partition_config_selectorILNS1_17partition_subalgoE3EjNS0_10empty_typeEbEEZZNS1_14partition_implILS8_3ELb0ES6_jNS0_17counting_iteratorIjlEEPS9_SE_NS0_5tupleIJPjSE_EEENSF_IJSE_SE_EEES9_SG_JZNS1_25segmented_radix_sort_implINS0_14default_configELb0EPKhPhPKlPlN2at6native12_GLOBAL__N_18offset_tEEE10hipError_tPvRmT1_PNSt15iterator_traitsISY_E10value_typeET2_T3_PNSZ_IS14_E10value_typeET4_jRbjT5_S1A_jjP12ihipStream_tbEUljE_EEESV_SW_SX_S14_S18_S1A_T6_T7_T9_mT8_S1C_bDpT10_ENKUlT_T0_E_clISt17integral_constantIbLb0EES1P_EEDaS1K_S1L_EUlS1K_E_NS1_11comp_targetILNS1_3genE5ELNS1_11target_archE942ELNS1_3gpuE9ELNS1_3repE0EEENS1_30default_config_static_selectorELNS0_4arch9wavefront6targetE0EEEvSY_.uses_vcc, 0
	.set _ZN7rocprim17ROCPRIM_400000_NS6detail17trampoline_kernelINS0_13select_configILj256ELj13ELNS0_17block_load_methodE3ELS4_3ELS4_3ELNS0_20block_scan_algorithmE0ELj4294967295EEENS1_25partition_config_selectorILNS1_17partition_subalgoE3EjNS0_10empty_typeEbEEZZNS1_14partition_implILS8_3ELb0ES6_jNS0_17counting_iteratorIjlEEPS9_SE_NS0_5tupleIJPjSE_EEENSF_IJSE_SE_EEES9_SG_JZNS1_25segmented_radix_sort_implINS0_14default_configELb0EPKhPhPKlPlN2at6native12_GLOBAL__N_18offset_tEEE10hipError_tPvRmT1_PNSt15iterator_traitsISY_E10value_typeET2_T3_PNSZ_IS14_E10value_typeET4_jRbjT5_S1A_jjP12ihipStream_tbEUljE_EEESV_SW_SX_S14_S18_S1A_T6_T7_T9_mT8_S1C_bDpT10_ENKUlT_T0_E_clISt17integral_constantIbLb0EES1P_EEDaS1K_S1L_EUlS1K_E_NS1_11comp_targetILNS1_3genE5ELNS1_11target_archE942ELNS1_3gpuE9ELNS1_3repE0EEENS1_30default_config_static_selectorELNS0_4arch9wavefront6targetE0EEEvSY_.uses_flat_scratch, 0
	.set _ZN7rocprim17ROCPRIM_400000_NS6detail17trampoline_kernelINS0_13select_configILj256ELj13ELNS0_17block_load_methodE3ELS4_3ELS4_3ELNS0_20block_scan_algorithmE0ELj4294967295EEENS1_25partition_config_selectorILNS1_17partition_subalgoE3EjNS0_10empty_typeEbEEZZNS1_14partition_implILS8_3ELb0ES6_jNS0_17counting_iteratorIjlEEPS9_SE_NS0_5tupleIJPjSE_EEENSF_IJSE_SE_EEES9_SG_JZNS1_25segmented_radix_sort_implINS0_14default_configELb0EPKhPhPKlPlN2at6native12_GLOBAL__N_18offset_tEEE10hipError_tPvRmT1_PNSt15iterator_traitsISY_E10value_typeET2_T3_PNSZ_IS14_E10value_typeET4_jRbjT5_S1A_jjP12ihipStream_tbEUljE_EEESV_SW_SX_S14_S18_S1A_T6_T7_T9_mT8_S1C_bDpT10_ENKUlT_T0_E_clISt17integral_constantIbLb0EES1P_EEDaS1K_S1L_EUlS1K_E_NS1_11comp_targetILNS1_3genE5ELNS1_11target_archE942ELNS1_3gpuE9ELNS1_3repE0EEENS1_30default_config_static_selectorELNS0_4arch9wavefront6targetE0EEEvSY_.has_dyn_sized_stack, 0
	.set _ZN7rocprim17ROCPRIM_400000_NS6detail17trampoline_kernelINS0_13select_configILj256ELj13ELNS0_17block_load_methodE3ELS4_3ELS4_3ELNS0_20block_scan_algorithmE0ELj4294967295EEENS1_25partition_config_selectorILNS1_17partition_subalgoE3EjNS0_10empty_typeEbEEZZNS1_14partition_implILS8_3ELb0ES6_jNS0_17counting_iteratorIjlEEPS9_SE_NS0_5tupleIJPjSE_EEENSF_IJSE_SE_EEES9_SG_JZNS1_25segmented_radix_sort_implINS0_14default_configELb0EPKhPhPKlPlN2at6native12_GLOBAL__N_18offset_tEEE10hipError_tPvRmT1_PNSt15iterator_traitsISY_E10value_typeET2_T3_PNSZ_IS14_E10value_typeET4_jRbjT5_S1A_jjP12ihipStream_tbEUljE_EEESV_SW_SX_S14_S18_S1A_T6_T7_T9_mT8_S1C_bDpT10_ENKUlT_T0_E_clISt17integral_constantIbLb0EES1P_EEDaS1K_S1L_EUlS1K_E_NS1_11comp_targetILNS1_3genE5ELNS1_11target_archE942ELNS1_3gpuE9ELNS1_3repE0EEENS1_30default_config_static_selectorELNS0_4arch9wavefront6targetE0EEEvSY_.has_recursion, 0
	.set _ZN7rocprim17ROCPRIM_400000_NS6detail17trampoline_kernelINS0_13select_configILj256ELj13ELNS0_17block_load_methodE3ELS4_3ELS4_3ELNS0_20block_scan_algorithmE0ELj4294967295EEENS1_25partition_config_selectorILNS1_17partition_subalgoE3EjNS0_10empty_typeEbEEZZNS1_14partition_implILS8_3ELb0ES6_jNS0_17counting_iteratorIjlEEPS9_SE_NS0_5tupleIJPjSE_EEENSF_IJSE_SE_EEES9_SG_JZNS1_25segmented_radix_sort_implINS0_14default_configELb0EPKhPhPKlPlN2at6native12_GLOBAL__N_18offset_tEEE10hipError_tPvRmT1_PNSt15iterator_traitsISY_E10value_typeET2_T3_PNSZ_IS14_E10value_typeET4_jRbjT5_S1A_jjP12ihipStream_tbEUljE_EEESV_SW_SX_S14_S18_S1A_T6_T7_T9_mT8_S1C_bDpT10_ENKUlT_T0_E_clISt17integral_constantIbLb0EES1P_EEDaS1K_S1L_EUlS1K_E_NS1_11comp_targetILNS1_3genE5ELNS1_11target_archE942ELNS1_3gpuE9ELNS1_3repE0EEENS1_30default_config_static_selectorELNS0_4arch9wavefront6targetE0EEEvSY_.has_indirect_call, 0
	.section	.AMDGPU.csdata,"",@progbits
; Kernel info:
; codeLenInByte = 0
; TotalNumSgprs: 0
; NumVgprs: 0
; ScratchSize: 0
; MemoryBound: 0
; FloatMode: 240
; IeeeMode: 1
; LDSByteSize: 0 bytes/workgroup (compile time only)
; SGPRBlocks: 0
; VGPRBlocks: 0
; NumSGPRsForWavesPerEU: 1
; NumVGPRsForWavesPerEU: 1
; Occupancy: 16
; WaveLimiterHint : 0
; COMPUTE_PGM_RSRC2:SCRATCH_EN: 0
; COMPUTE_PGM_RSRC2:USER_SGPR: 2
; COMPUTE_PGM_RSRC2:TRAP_HANDLER: 0
; COMPUTE_PGM_RSRC2:TGID_X_EN: 1
; COMPUTE_PGM_RSRC2:TGID_Y_EN: 0
; COMPUTE_PGM_RSRC2:TGID_Z_EN: 0
; COMPUTE_PGM_RSRC2:TIDIG_COMP_CNT: 0
	.section	.text._ZN7rocprim17ROCPRIM_400000_NS6detail17trampoline_kernelINS0_13select_configILj256ELj13ELNS0_17block_load_methodE3ELS4_3ELS4_3ELNS0_20block_scan_algorithmE0ELj4294967295EEENS1_25partition_config_selectorILNS1_17partition_subalgoE3EjNS0_10empty_typeEbEEZZNS1_14partition_implILS8_3ELb0ES6_jNS0_17counting_iteratorIjlEEPS9_SE_NS0_5tupleIJPjSE_EEENSF_IJSE_SE_EEES9_SG_JZNS1_25segmented_radix_sort_implINS0_14default_configELb0EPKhPhPKlPlN2at6native12_GLOBAL__N_18offset_tEEE10hipError_tPvRmT1_PNSt15iterator_traitsISY_E10value_typeET2_T3_PNSZ_IS14_E10value_typeET4_jRbjT5_S1A_jjP12ihipStream_tbEUljE_EEESV_SW_SX_S14_S18_S1A_T6_T7_T9_mT8_S1C_bDpT10_ENKUlT_T0_E_clISt17integral_constantIbLb0EES1P_EEDaS1K_S1L_EUlS1K_E_NS1_11comp_targetILNS1_3genE4ELNS1_11target_archE910ELNS1_3gpuE8ELNS1_3repE0EEENS1_30default_config_static_selectorELNS0_4arch9wavefront6targetE0EEEvSY_,"axG",@progbits,_ZN7rocprim17ROCPRIM_400000_NS6detail17trampoline_kernelINS0_13select_configILj256ELj13ELNS0_17block_load_methodE3ELS4_3ELS4_3ELNS0_20block_scan_algorithmE0ELj4294967295EEENS1_25partition_config_selectorILNS1_17partition_subalgoE3EjNS0_10empty_typeEbEEZZNS1_14partition_implILS8_3ELb0ES6_jNS0_17counting_iteratorIjlEEPS9_SE_NS0_5tupleIJPjSE_EEENSF_IJSE_SE_EEES9_SG_JZNS1_25segmented_radix_sort_implINS0_14default_configELb0EPKhPhPKlPlN2at6native12_GLOBAL__N_18offset_tEEE10hipError_tPvRmT1_PNSt15iterator_traitsISY_E10value_typeET2_T3_PNSZ_IS14_E10value_typeET4_jRbjT5_S1A_jjP12ihipStream_tbEUljE_EEESV_SW_SX_S14_S18_S1A_T6_T7_T9_mT8_S1C_bDpT10_ENKUlT_T0_E_clISt17integral_constantIbLb0EES1P_EEDaS1K_S1L_EUlS1K_E_NS1_11comp_targetILNS1_3genE4ELNS1_11target_archE910ELNS1_3gpuE8ELNS1_3repE0EEENS1_30default_config_static_selectorELNS0_4arch9wavefront6targetE0EEEvSY_,comdat
	.globl	_ZN7rocprim17ROCPRIM_400000_NS6detail17trampoline_kernelINS0_13select_configILj256ELj13ELNS0_17block_load_methodE3ELS4_3ELS4_3ELNS0_20block_scan_algorithmE0ELj4294967295EEENS1_25partition_config_selectorILNS1_17partition_subalgoE3EjNS0_10empty_typeEbEEZZNS1_14partition_implILS8_3ELb0ES6_jNS0_17counting_iteratorIjlEEPS9_SE_NS0_5tupleIJPjSE_EEENSF_IJSE_SE_EEES9_SG_JZNS1_25segmented_radix_sort_implINS0_14default_configELb0EPKhPhPKlPlN2at6native12_GLOBAL__N_18offset_tEEE10hipError_tPvRmT1_PNSt15iterator_traitsISY_E10value_typeET2_T3_PNSZ_IS14_E10value_typeET4_jRbjT5_S1A_jjP12ihipStream_tbEUljE_EEESV_SW_SX_S14_S18_S1A_T6_T7_T9_mT8_S1C_bDpT10_ENKUlT_T0_E_clISt17integral_constantIbLb0EES1P_EEDaS1K_S1L_EUlS1K_E_NS1_11comp_targetILNS1_3genE4ELNS1_11target_archE910ELNS1_3gpuE8ELNS1_3repE0EEENS1_30default_config_static_selectorELNS0_4arch9wavefront6targetE0EEEvSY_ ; -- Begin function _ZN7rocprim17ROCPRIM_400000_NS6detail17trampoline_kernelINS0_13select_configILj256ELj13ELNS0_17block_load_methodE3ELS4_3ELS4_3ELNS0_20block_scan_algorithmE0ELj4294967295EEENS1_25partition_config_selectorILNS1_17partition_subalgoE3EjNS0_10empty_typeEbEEZZNS1_14partition_implILS8_3ELb0ES6_jNS0_17counting_iteratorIjlEEPS9_SE_NS0_5tupleIJPjSE_EEENSF_IJSE_SE_EEES9_SG_JZNS1_25segmented_radix_sort_implINS0_14default_configELb0EPKhPhPKlPlN2at6native12_GLOBAL__N_18offset_tEEE10hipError_tPvRmT1_PNSt15iterator_traitsISY_E10value_typeET2_T3_PNSZ_IS14_E10value_typeET4_jRbjT5_S1A_jjP12ihipStream_tbEUljE_EEESV_SW_SX_S14_S18_S1A_T6_T7_T9_mT8_S1C_bDpT10_ENKUlT_T0_E_clISt17integral_constantIbLb0EES1P_EEDaS1K_S1L_EUlS1K_E_NS1_11comp_targetILNS1_3genE4ELNS1_11target_archE910ELNS1_3gpuE8ELNS1_3repE0EEENS1_30default_config_static_selectorELNS0_4arch9wavefront6targetE0EEEvSY_
	.p2align	8
	.type	_ZN7rocprim17ROCPRIM_400000_NS6detail17trampoline_kernelINS0_13select_configILj256ELj13ELNS0_17block_load_methodE3ELS4_3ELS4_3ELNS0_20block_scan_algorithmE0ELj4294967295EEENS1_25partition_config_selectorILNS1_17partition_subalgoE3EjNS0_10empty_typeEbEEZZNS1_14partition_implILS8_3ELb0ES6_jNS0_17counting_iteratorIjlEEPS9_SE_NS0_5tupleIJPjSE_EEENSF_IJSE_SE_EEES9_SG_JZNS1_25segmented_radix_sort_implINS0_14default_configELb0EPKhPhPKlPlN2at6native12_GLOBAL__N_18offset_tEEE10hipError_tPvRmT1_PNSt15iterator_traitsISY_E10value_typeET2_T3_PNSZ_IS14_E10value_typeET4_jRbjT5_S1A_jjP12ihipStream_tbEUljE_EEESV_SW_SX_S14_S18_S1A_T6_T7_T9_mT8_S1C_bDpT10_ENKUlT_T0_E_clISt17integral_constantIbLb0EES1P_EEDaS1K_S1L_EUlS1K_E_NS1_11comp_targetILNS1_3genE4ELNS1_11target_archE910ELNS1_3gpuE8ELNS1_3repE0EEENS1_30default_config_static_selectorELNS0_4arch9wavefront6targetE0EEEvSY_,@function
_ZN7rocprim17ROCPRIM_400000_NS6detail17trampoline_kernelINS0_13select_configILj256ELj13ELNS0_17block_load_methodE3ELS4_3ELS4_3ELNS0_20block_scan_algorithmE0ELj4294967295EEENS1_25partition_config_selectorILNS1_17partition_subalgoE3EjNS0_10empty_typeEbEEZZNS1_14partition_implILS8_3ELb0ES6_jNS0_17counting_iteratorIjlEEPS9_SE_NS0_5tupleIJPjSE_EEENSF_IJSE_SE_EEES9_SG_JZNS1_25segmented_radix_sort_implINS0_14default_configELb0EPKhPhPKlPlN2at6native12_GLOBAL__N_18offset_tEEE10hipError_tPvRmT1_PNSt15iterator_traitsISY_E10value_typeET2_T3_PNSZ_IS14_E10value_typeET4_jRbjT5_S1A_jjP12ihipStream_tbEUljE_EEESV_SW_SX_S14_S18_S1A_T6_T7_T9_mT8_S1C_bDpT10_ENKUlT_T0_E_clISt17integral_constantIbLb0EES1P_EEDaS1K_S1L_EUlS1K_E_NS1_11comp_targetILNS1_3genE4ELNS1_11target_archE910ELNS1_3gpuE8ELNS1_3repE0EEENS1_30default_config_static_selectorELNS0_4arch9wavefront6targetE0EEEvSY_: ; @_ZN7rocprim17ROCPRIM_400000_NS6detail17trampoline_kernelINS0_13select_configILj256ELj13ELNS0_17block_load_methodE3ELS4_3ELS4_3ELNS0_20block_scan_algorithmE0ELj4294967295EEENS1_25partition_config_selectorILNS1_17partition_subalgoE3EjNS0_10empty_typeEbEEZZNS1_14partition_implILS8_3ELb0ES6_jNS0_17counting_iteratorIjlEEPS9_SE_NS0_5tupleIJPjSE_EEENSF_IJSE_SE_EEES9_SG_JZNS1_25segmented_radix_sort_implINS0_14default_configELb0EPKhPhPKlPlN2at6native12_GLOBAL__N_18offset_tEEE10hipError_tPvRmT1_PNSt15iterator_traitsISY_E10value_typeET2_T3_PNSZ_IS14_E10value_typeET4_jRbjT5_S1A_jjP12ihipStream_tbEUljE_EEESV_SW_SX_S14_S18_S1A_T6_T7_T9_mT8_S1C_bDpT10_ENKUlT_T0_E_clISt17integral_constantIbLb0EES1P_EEDaS1K_S1L_EUlS1K_E_NS1_11comp_targetILNS1_3genE4ELNS1_11target_archE910ELNS1_3gpuE8ELNS1_3repE0EEENS1_30default_config_static_selectorELNS0_4arch9wavefront6targetE0EEEvSY_
; %bb.0:
	.section	.rodata,"a",@progbits
	.p2align	6, 0x0
	.amdhsa_kernel _ZN7rocprim17ROCPRIM_400000_NS6detail17trampoline_kernelINS0_13select_configILj256ELj13ELNS0_17block_load_methodE3ELS4_3ELS4_3ELNS0_20block_scan_algorithmE0ELj4294967295EEENS1_25partition_config_selectorILNS1_17partition_subalgoE3EjNS0_10empty_typeEbEEZZNS1_14partition_implILS8_3ELb0ES6_jNS0_17counting_iteratorIjlEEPS9_SE_NS0_5tupleIJPjSE_EEENSF_IJSE_SE_EEES9_SG_JZNS1_25segmented_radix_sort_implINS0_14default_configELb0EPKhPhPKlPlN2at6native12_GLOBAL__N_18offset_tEEE10hipError_tPvRmT1_PNSt15iterator_traitsISY_E10value_typeET2_T3_PNSZ_IS14_E10value_typeET4_jRbjT5_S1A_jjP12ihipStream_tbEUljE_EEESV_SW_SX_S14_S18_S1A_T6_T7_T9_mT8_S1C_bDpT10_ENKUlT_T0_E_clISt17integral_constantIbLb0EES1P_EEDaS1K_S1L_EUlS1K_E_NS1_11comp_targetILNS1_3genE4ELNS1_11target_archE910ELNS1_3gpuE8ELNS1_3repE0EEENS1_30default_config_static_selectorELNS0_4arch9wavefront6targetE0EEEvSY_
		.amdhsa_group_segment_fixed_size 0
		.amdhsa_private_segment_fixed_size 0
		.amdhsa_kernarg_size 144
		.amdhsa_user_sgpr_count 2
		.amdhsa_user_sgpr_dispatch_ptr 0
		.amdhsa_user_sgpr_queue_ptr 0
		.amdhsa_user_sgpr_kernarg_segment_ptr 1
		.amdhsa_user_sgpr_dispatch_id 0
		.amdhsa_user_sgpr_private_segment_size 0
		.amdhsa_wavefront_size32 1
		.amdhsa_uses_dynamic_stack 0
		.amdhsa_enable_private_segment 0
		.amdhsa_system_sgpr_workgroup_id_x 1
		.amdhsa_system_sgpr_workgroup_id_y 0
		.amdhsa_system_sgpr_workgroup_id_z 0
		.amdhsa_system_sgpr_workgroup_info 0
		.amdhsa_system_vgpr_workitem_id 0
		.amdhsa_next_free_vgpr 1
		.amdhsa_next_free_sgpr 1
		.amdhsa_reserve_vcc 0
		.amdhsa_float_round_mode_32 0
		.amdhsa_float_round_mode_16_64 0
		.amdhsa_float_denorm_mode_32 3
		.amdhsa_float_denorm_mode_16_64 3
		.amdhsa_fp16_overflow 0
		.amdhsa_workgroup_processor_mode 1
		.amdhsa_memory_ordered 1
		.amdhsa_forward_progress 1
		.amdhsa_inst_pref_size 0
		.amdhsa_round_robin_scheduling 0
		.amdhsa_exception_fp_ieee_invalid_op 0
		.amdhsa_exception_fp_denorm_src 0
		.amdhsa_exception_fp_ieee_div_zero 0
		.amdhsa_exception_fp_ieee_overflow 0
		.amdhsa_exception_fp_ieee_underflow 0
		.amdhsa_exception_fp_ieee_inexact 0
		.amdhsa_exception_int_div_zero 0
	.end_amdhsa_kernel
	.section	.text._ZN7rocprim17ROCPRIM_400000_NS6detail17trampoline_kernelINS0_13select_configILj256ELj13ELNS0_17block_load_methodE3ELS4_3ELS4_3ELNS0_20block_scan_algorithmE0ELj4294967295EEENS1_25partition_config_selectorILNS1_17partition_subalgoE3EjNS0_10empty_typeEbEEZZNS1_14partition_implILS8_3ELb0ES6_jNS0_17counting_iteratorIjlEEPS9_SE_NS0_5tupleIJPjSE_EEENSF_IJSE_SE_EEES9_SG_JZNS1_25segmented_radix_sort_implINS0_14default_configELb0EPKhPhPKlPlN2at6native12_GLOBAL__N_18offset_tEEE10hipError_tPvRmT1_PNSt15iterator_traitsISY_E10value_typeET2_T3_PNSZ_IS14_E10value_typeET4_jRbjT5_S1A_jjP12ihipStream_tbEUljE_EEESV_SW_SX_S14_S18_S1A_T6_T7_T9_mT8_S1C_bDpT10_ENKUlT_T0_E_clISt17integral_constantIbLb0EES1P_EEDaS1K_S1L_EUlS1K_E_NS1_11comp_targetILNS1_3genE4ELNS1_11target_archE910ELNS1_3gpuE8ELNS1_3repE0EEENS1_30default_config_static_selectorELNS0_4arch9wavefront6targetE0EEEvSY_,"axG",@progbits,_ZN7rocprim17ROCPRIM_400000_NS6detail17trampoline_kernelINS0_13select_configILj256ELj13ELNS0_17block_load_methodE3ELS4_3ELS4_3ELNS0_20block_scan_algorithmE0ELj4294967295EEENS1_25partition_config_selectorILNS1_17partition_subalgoE3EjNS0_10empty_typeEbEEZZNS1_14partition_implILS8_3ELb0ES6_jNS0_17counting_iteratorIjlEEPS9_SE_NS0_5tupleIJPjSE_EEENSF_IJSE_SE_EEES9_SG_JZNS1_25segmented_radix_sort_implINS0_14default_configELb0EPKhPhPKlPlN2at6native12_GLOBAL__N_18offset_tEEE10hipError_tPvRmT1_PNSt15iterator_traitsISY_E10value_typeET2_T3_PNSZ_IS14_E10value_typeET4_jRbjT5_S1A_jjP12ihipStream_tbEUljE_EEESV_SW_SX_S14_S18_S1A_T6_T7_T9_mT8_S1C_bDpT10_ENKUlT_T0_E_clISt17integral_constantIbLb0EES1P_EEDaS1K_S1L_EUlS1K_E_NS1_11comp_targetILNS1_3genE4ELNS1_11target_archE910ELNS1_3gpuE8ELNS1_3repE0EEENS1_30default_config_static_selectorELNS0_4arch9wavefront6targetE0EEEvSY_,comdat
.Lfunc_end156:
	.size	_ZN7rocprim17ROCPRIM_400000_NS6detail17trampoline_kernelINS0_13select_configILj256ELj13ELNS0_17block_load_methodE3ELS4_3ELS4_3ELNS0_20block_scan_algorithmE0ELj4294967295EEENS1_25partition_config_selectorILNS1_17partition_subalgoE3EjNS0_10empty_typeEbEEZZNS1_14partition_implILS8_3ELb0ES6_jNS0_17counting_iteratorIjlEEPS9_SE_NS0_5tupleIJPjSE_EEENSF_IJSE_SE_EEES9_SG_JZNS1_25segmented_radix_sort_implINS0_14default_configELb0EPKhPhPKlPlN2at6native12_GLOBAL__N_18offset_tEEE10hipError_tPvRmT1_PNSt15iterator_traitsISY_E10value_typeET2_T3_PNSZ_IS14_E10value_typeET4_jRbjT5_S1A_jjP12ihipStream_tbEUljE_EEESV_SW_SX_S14_S18_S1A_T6_T7_T9_mT8_S1C_bDpT10_ENKUlT_T0_E_clISt17integral_constantIbLb0EES1P_EEDaS1K_S1L_EUlS1K_E_NS1_11comp_targetILNS1_3genE4ELNS1_11target_archE910ELNS1_3gpuE8ELNS1_3repE0EEENS1_30default_config_static_selectorELNS0_4arch9wavefront6targetE0EEEvSY_, .Lfunc_end156-_ZN7rocprim17ROCPRIM_400000_NS6detail17trampoline_kernelINS0_13select_configILj256ELj13ELNS0_17block_load_methodE3ELS4_3ELS4_3ELNS0_20block_scan_algorithmE0ELj4294967295EEENS1_25partition_config_selectorILNS1_17partition_subalgoE3EjNS0_10empty_typeEbEEZZNS1_14partition_implILS8_3ELb0ES6_jNS0_17counting_iteratorIjlEEPS9_SE_NS0_5tupleIJPjSE_EEENSF_IJSE_SE_EEES9_SG_JZNS1_25segmented_radix_sort_implINS0_14default_configELb0EPKhPhPKlPlN2at6native12_GLOBAL__N_18offset_tEEE10hipError_tPvRmT1_PNSt15iterator_traitsISY_E10value_typeET2_T3_PNSZ_IS14_E10value_typeET4_jRbjT5_S1A_jjP12ihipStream_tbEUljE_EEESV_SW_SX_S14_S18_S1A_T6_T7_T9_mT8_S1C_bDpT10_ENKUlT_T0_E_clISt17integral_constantIbLb0EES1P_EEDaS1K_S1L_EUlS1K_E_NS1_11comp_targetILNS1_3genE4ELNS1_11target_archE910ELNS1_3gpuE8ELNS1_3repE0EEENS1_30default_config_static_selectorELNS0_4arch9wavefront6targetE0EEEvSY_
                                        ; -- End function
	.set _ZN7rocprim17ROCPRIM_400000_NS6detail17trampoline_kernelINS0_13select_configILj256ELj13ELNS0_17block_load_methodE3ELS4_3ELS4_3ELNS0_20block_scan_algorithmE0ELj4294967295EEENS1_25partition_config_selectorILNS1_17partition_subalgoE3EjNS0_10empty_typeEbEEZZNS1_14partition_implILS8_3ELb0ES6_jNS0_17counting_iteratorIjlEEPS9_SE_NS0_5tupleIJPjSE_EEENSF_IJSE_SE_EEES9_SG_JZNS1_25segmented_radix_sort_implINS0_14default_configELb0EPKhPhPKlPlN2at6native12_GLOBAL__N_18offset_tEEE10hipError_tPvRmT1_PNSt15iterator_traitsISY_E10value_typeET2_T3_PNSZ_IS14_E10value_typeET4_jRbjT5_S1A_jjP12ihipStream_tbEUljE_EEESV_SW_SX_S14_S18_S1A_T6_T7_T9_mT8_S1C_bDpT10_ENKUlT_T0_E_clISt17integral_constantIbLb0EES1P_EEDaS1K_S1L_EUlS1K_E_NS1_11comp_targetILNS1_3genE4ELNS1_11target_archE910ELNS1_3gpuE8ELNS1_3repE0EEENS1_30default_config_static_selectorELNS0_4arch9wavefront6targetE0EEEvSY_.num_vgpr, 0
	.set _ZN7rocprim17ROCPRIM_400000_NS6detail17trampoline_kernelINS0_13select_configILj256ELj13ELNS0_17block_load_methodE3ELS4_3ELS4_3ELNS0_20block_scan_algorithmE0ELj4294967295EEENS1_25partition_config_selectorILNS1_17partition_subalgoE3EjNS0_10empty_typeEbEEZZNS1_14partition_implILS8_3ELb0ES6_jNS0_17counting_iteratorIjlEEPS9_SE_NS0_5tupleIJPjSE_EEENSF_IJSE_SE_EEES9_SG_JZNS1_25segmented_radix_sort_implINS0_14default_configELb0EPKhPhPKlPlN2at6native12_GLOBAL__N_18offset_tEEE10hipError_tPvRmT1_PNSt15iterator_traitsISY_E10value_typeET2_T3_PNSZ_IS14_E10value_typeET4_jRbjT5_S1A_jjP12ihipStream_tbEUljE_EEESV_SW_SX_S14_S18_S1A_T6_T7_T9_mT8_S1C_bDpT10_ENKUlT_T0_E_clISt17integral_constantIbLb0EES1P_EEDaS1K_S1L_EUlS1K_E_NS1_11comp_targetILNS1_3genE4ELNS1_11target_archE910ELNS1_3gpuE8ELNS1_3repE0EEENS1_30default_config_static_selectorELNS0_4arch9wavefront6targetE0EEEvSY_.num_agpr, 0
	.set _ZN7rocprim17ROCPRIM_400000_NS6detail17trampoline_kernelINS0_13select_configILj256ELj13ELNS0_17block_load_methodE3ELS4_3ELS4_3ELNS0_20block_scan_algorithmE0ELj4294967295EEENS1_25partition_config_selectorILNS1_17partition_subalgoE3EjNS0_10empty_typeEbEEZZNS1_14partition_implILS8_3ELb0ES6_jNS0_17counting_iteratorIjlEEPS9_SE_NS0_5tupleIJPjSE_EEENSF_IJSE_SE_EEES9_SG_JZNS1_25segmented_radix_sort_implINS0_14default_configELb0EPKhPhPKlPlN2at6native12_GLOBAL__N_18offset_tEEE10hipError_tPvRmT1_PNSt15iterator_traitsISY_E10value_typeET2_T3_PNSZ_IS14_E10value_typeET4_jRbjT5_S1A_jjP12ihipStream_tbEUljE_EEESV_SW_SX_S14_S18_S1A_T6_T7_T9_mT8_S1C_bDpT10_ENKUlT_T0_E_clISt17integral_constantIbLb0EES1P_EEDaS1K_S1L_EUlS1K_E_NS1_11comp_targetILNS1_3genE4ELNS1_11target_archE910ELNS1_3gpuE8ELNS1_3repE0EEENS1_30default_config_static_selectorELNS0_4arch9wavefront6targetE0EEEvSY_.numbered_sgpr, 0
	.set _ZN7rocprim17ROCPRIM_400000_NS6detail17trampoline_kernelINS0_13select_configILj256ELj13ELNS0_17block_load_methodE3ELS4_3ELS4_3ELNS0_20block_scan_algorithmE0ELj4294967295EEENS1_25partition_config_selectorILNS1_17partition_subalgoE3EjNS0_10empty_typeEbEEZZNS1_14partition_implILS8_3ELb0ES6_jNS0_17counting_iteratorIjlEEPS9_SE_NS0_5tupleIJPjSE_EEENSF_IJSE_SE_EEES9_SG_JZNS1_25segmented_radix_sort_implINS0_14default_configELb0EPKhPhPKlPlN2at6native12_GLOBAL__N_18offset_tEEE10hipError_tPvRmT1_PNSt15iterator_traitsISY_E10value_typeET2_T3_PNSZ_IS14_E10value_typeET4_jRbjT5_S1A_jjP12ihipStream_tbEUljE_EEESV_SW_SX_S14_S18_S1A_T6_T7_T9_mT8_S1C_bDpT10_ENKUlT_T0_E_clISt17integral_constantIbLb0EES1P_EEDaS1K_S1L_EUlS1K_E_NS1_11comp_targetILNS1_3genE4ELNS1_11target_archE910ELNS1_3gpuE8ELNS1_3repE0EEENS1_30default_config_static_selectorELNS0_4arch9wavefront6targetE0EEEvSY_.num_named_barrier, 0
	.set _ZN7rocprim17ROCPRIM_400000_NS6detail17trampoline_kernelINS0_13select_configILj256ELj13ELNS0_17block_load_methodE3ELS4_3ELS4_3ELNS0_20block_scan_algorithmE0ELj4294967295EEENS1_25partition_config_selectorILNS1_17partition_subalgoE3EjNS0_10empty_typeEbEEZZNS1_14partition_implILS8_3ELb0ES6_jNS0_17counting_iteratorIjlEEPS9_SE_NS0_5tupleIJPjSE_EEENSF_IJSE_SE_EEES9_SG_JZNS1_25segmented_radix_sort_implINS0_14default_configELb0EPKhPhPKlPlN2at6native12_GLOBAL__N_18offset_tEEE10hipError_tPvRmT1_PNSt15iterator_traitsISY_E10value_typeET2_T3_PNSZ_IS14_E10value_typeET4_jRbjT5_S1A_jjP12ihipStream_tbEUljE_EEESV_SW_SX_S14_S18_S1A_T6_T7_T9_mT8_S1C_bDpT10_ENKUlT_T0_E_clISt17integral_constantIbLb0EES1P_EEDaS1K_S1L_EUlS1K_E_NS1_11comp_targetILNS1_3genE4ELNS1_11target_archE910ELNS1_3gpuE8ELNS1_3repE0EEENS1_30default_config_static_selectorELNS0_4arch9wavefront6targetE0EEEvSY_.private_seg_size, 0
	.set _ZN7rocprim17ROCPRIM_400000_NS6detail17trampoline_kernelINS0_13select_configILj256ELj13ELNS0_17block_load_methodE3ELS4_3ELS4_3ELNS0_20block_scan_algorithmE0ELj4294967295EEENS1_25partition_config_selectorILNS1_17partition_subalgoE3EjNS0_10empty_typeEbEEZZNS1_14partition_implILS8_3ELb0ES6_jNS0_17counting_iteratorIjlEEPS9_SE_NS0_5tupleIJPjSE_EEENSF_IJSE_SE_EEES9_SG_JZNS1_25segmented_radix_sort_implINS0_14default_configELb0EPKhPhPKlPlN2at6native12_GLOBAL__N_18offset_tEEE10hipError_tPvRmT1_PNSt15iterator_traitsISY_E10value_typeET2_T3_PNSZ_IS14_E10value_typeET4_jRbjT5_S1A_jjP12ihipStream_tbEUljE_EEESV_SW_SX_S14_S18_S1A_T6_T7_T9_mT8_S1C_bDpT10_ENKUlT_T0_E_clISt17integral_constantIbLb0EES1P_EEDaS1K_S1L_EUlS1K_E_NS1_11comp_targetILNS1_3genE4ELNS1_11target_archE910ELNS1_3gpuE8ELNS1_3repE0EEENS1_30default_config_static_selectorELNS0_4arch9wavefront6targetE0EEEvSY_.uses_vcc, 0
	.set _ZN7rocprim17ROCPRIM_400000_NS6detail17trampoline_kernelINS0_13select_configILj256ELj13ELNS0_17block_load_methodE3ELS4_3ELS4_3ELNS0_20block_scan_algorithmE0ELj4294967295EEENS1_25partition_config_selectorILNS1_17partition_subalgoE3EjNS0_10empty_typeEbEEZZNS1_14partition_implILS8_3ELb0ES6_jNS0_17counting_iteratorIjlEEPS9_SE_NS0_5tupleIJPjSE_EEENSF_IJSE_SE_EEES9_SG_JZNS1_25segmented_radix_sort_implINS0_14default_configELb0EPKhPhPKlPlN2at6native12_GLOBAL__N_18offset_tEEE10hipError_tPvRmT1_PNSt15iterator_traitsISY_E10value_typeET2_T3_PNSZ_IS14_E10value_typeET4_jRbjT5_S1A_jjP12ihipStream_tbEUljE_EEESV_SW_SX_S14_S18_S1A_T6_T7_T9_mT8_S1C_bDpT10_ENKUlT_T0_E_clISt17integral_constantIbLb0EES1P_EEDaS1K_S1L_EUlS1K_E_NS1_11comp_targetILNS1_3genE4ELNS1_11target_archE910ELNS1_3gpuE8ELNS1_3repE0EEENS1_30default_config_static_selectorELNS0_4arch9wavefront6targetE0EEEvSY_.uses_flat_scratch, 0
	.set _ZN7rocprim17ROCPRIM_400000_NS6detail17trampoline_kernelINS0_13select_configILj256ELj13ELNS0_17block_load_methodE3ELS4_3ELS4_3ELNS0_20block_scan_algorithmE0ELj4294967295EEENS1_25partition_config_selectorILNS1_17partition_subalgoE3EjNS0_10empty_typeEbEEZZNS1_14partition_implILS8_3ELb0ES6_jNS0_17counting_iteratorIjlEEPS9_SE_NS0_5tupleIJPjSE_EEENSF_IJSE_SE_EEES9_SG_JZNS1_25segmented_radix_sort_implINS0_14default_configELb0EPKhPhPKlPlN2at6native12_GLOBAL__N_18offset_tEEE10hipError_tPvRmT1_PNSt15iterator_traitsISY_E10value_typeET2_T3_PNSZ_IS14_E10value_typeET4_jRbjT5_S1A_jjP12ihipStream_tbEUljE_EEESV_SW_SX_S14_S18_S1A_T6_T7_T9_mT8_S1C_bDpT10_ENKUlT_T0_E_clISt17integral_constantIbLb0EES1P_EEDaS1K_S1L_EUlS1K_E_NS1_11comp_targetILNS1_3genE4ELNS1_11target_archE910ELNS1_3gpuE8ELNS1_3repE0EEENS1_30default_config_static_selectorELNS0_4arch9wavefront6targetE0EEEvSY_.has_dyn_sized_stack, 0
	.set _ZN7rocprim17ROCPRIM_400000_NS6detail17trampoline_kernelINS0_13select_configILj256ELj13ELNS0_17block_load_methodE3ELS4_3ELS4_3ELNS0_20block_scan_algorithmE0ELj4294967295EEENS1_25partition_config_selectorILNS1_17partition_subalgoE3EjNS0_10empty_typeEbEEZZNS1_14partition_implILS8_3ELb0ES6_jNS0_17counting_iteratorIjlEEPS9_SE_NS0_5tupleIJPjSE_EEENSF_IJSE_SE_EEES9_SG_JZNS1_25segmented_radix_sort_implINS0_14default_configELb0EPKhPhPKlPlN2at6native12_GLOBAL__N_18offset_tEEE10hipError_tPvRmT1_PNSt15iterator_traitsISY_E10value_typeET2_T3_PNSZ_IS14_E10value_typeET4_jRbjT5_S1A_jjP12ihipStream_tbEUljE_EEESV_SW_SX_S14_S18_S1A_T6_T7_T9_mT8_S1C_bDpT10_ENKUlT_T0_E_clISt17integral_constantIbLb0EES1P_EEDaS1K_S1L_EUlS1K_E_NS1_11comp_targetILNS1_3genE4ELNS1_11target_archE910ELNS1_3gpuE8ELNS1_3repE0EEENS1_30default_config_static_selectorELNS0_4arch9wavefront6targetE0EEEvSY_.has_recursion, 0
	.set _ZN7rocprim17ROCPRIM_400000_NS6detail17trampoline_kernelINS0_13select_configILj256ELj13ELNS0_17block_load_methodE3ELS4_3ELS4_3ELNS0_20block_scan_algorithmE0ELj4294967295EEENS1_25partition_config_selectorILNS1_17partition_subalgoE3EjNS0_10empty_typeEbEEZZNS1_14partition_implILS8_3ELb0ES6_jNS0_17counting_iteratorIjlEEPS9_SE_NS0_5tupleIJPjSE_EEENSF_IJSE_SE_EEES9_SG_JZNS1_25segmented_radix_sort_implINS0_14default_configELb0EPKhPhPKlPlN2at6native12_GLOBAL__N_18offset_tEEE10hipError_tPvRmT1_PNSt15iterator_traitsISY_E10value_typeET2_T3_PNSZ_IS14_E10value_typeET4_jRbjT5_S1A_jjP12ihipStream_tbEUljE_EEESV_SW_SX_S14_S18_S1A_T6_T7_T9_mT8_S1C_bDpT10_ENKUlT_T0_E_clISt17integral_constantIbLb0EES1P_EEDaS1K_S1L_EUlS1K_E_NS1_11comp_targetILNS1_3genE4ELNS1_11target_archE910ELNS1_3gpuE8ELNS1_3repE0EEENS1_30default_config_static_selectorELNS0_4arch9wavefront6targetE0EEEvSY_.has_indirect_call, 0
	.section	.AMDGPU.csdata,"",@progbits
; Kernel info:
; codeLenInByte = 0
; TotalNumSgprs: 0
; NumVgprs: 0
; ScratchSize: 0
; MemoryBound: 0
; FloatMode: 240
; IeeeMode: 1
; LDSByteSize: 0 bytes/workgroup (compile time only)
; SGPRBlocks: 0
; VGPRBlocks: 0
; NumSGPRsForWavesPerEU: 1
; NumVGPRsForWavesPerEU: 1
; Occupancy: 16
; WaveLimiterHint : 0
; COMPUTE_PGM_RSRC2:SCRATCH_EN: 0
; COMPUTE_PGM_RSRC2:USER_SGPR: 2
; COMPUTE_PGM_RSRC2:TRAP_HANDLER: 0
; COMPUTE_PGM_RSRC2:TGID_X_EN: 1
; COMPUTE_PGM_RSRC2:TGID_Y_EN: 0
; COMPUTE_PGM_RSRC2:TGID_Z_EN: 0
; COMPUTE_PGM_RSRC2:TIDIG_COMP_CNT: 0
	.section	.text._ZN7rocprim17ROCPRIM_400000_NS6detail17trampoline_kernelINS0_13select_configILj256ELj13ELNS0_17block_load_methodE3ELS4_3ELS4_3ELNS0_20block_scan_algorithmE0ELj4294967295EEENS1_25partition_config_selectorILNS1_17partition_subalgoE3EjNS0_10empty_typeEbEEZZNS1_14partition_implILS8_3ELb0ES6_jNS0_17counting_iteratorIjlEEPS9_SE_NS0_5tupleIJPjSE_EEENSF_IJSE_SE_EEES9_SG_JZNS1_25segmented_radix_sort_implINS0_14default_configELb0EPKhPhPKlPlN2at6native12_GLOBAL__N_18offset_tEEE10hipError_tPvRmT1_PNSt15iterator_traitsISY_E10value_typeET2_T3_PNSZ_IS14_E10value_typeET4_jRbjT5_S1A_jjP12ihipStream_tbEUljE_EEESV_SW_SX_S14_S18_S1A_T6_T7_T9_mT8_S1C_bDpT10_ENKUlT_T0_E_clISt17integral_constantIbLb0EES1P_EEDaS1K_S1L_EUlS1K_E_NS1_11comp_targetILNS1_3genE3ELNS1_11target_archE908ELNS1_3gpuE7ELNS1_3repE0EEENS1_30default_config_static_selectorELNS0_4arch9wavefront6targetE0EEEvSY_,"axG",@progbits,_ZN7rocprim17ROCPRIM_400000_NS6detail17trampoline_kernelINS0_13select_configILj256ELj13ELNS0_17block_load_methodE3ELS4_3ELS4_3ELNS0_20block_scan_algorithmE0ELj4294967295EEENS1_25partition_config_selectorILNS1_17partition_subalgoE3EjNS0_10empty_typeEbEEZZNS1_14partition_implILS8_3ELb0ES6_jNS0_17counting_iteratorIjlEEPS9_SE_NS0_5tupleIJPjSE_EEENSF_IJSE_SE_EEES9_SG_JZNS1_25segmented_radix_sort_implINS0_14default_configELb0EPKhPhPKlPlN2at6native12_GLOBAL__N_18offset_tEEE10hipError_tPvRmT1_PNSt15iterator_traitsISY_E10value_typeET2_T3_PNSZ_IS14_E10value_typeET4_jRbjT5_S1A_jjP12ihipStream_tbEUljE_EEESV_SW_SX_S14_S18_S1A_T6_T7_T9_mT8_S1C_bDpT10_ENKUlT_T0_E_clISt17integral_constantIbLb0EES1P_EEDaS1K_S1L_EUlS1K_E_NS1_11comp_targetILNS1_3genE3ELNS1_11target_archE908ELNS1_3gpuE7ELNS1_3repE0EEENS1_30default_config_static_selectorELNS0_4arch9wavefront6targetE0EEEvSY_,comdat
	.globl	_ZN7rocprim17ROCPRIM_400000_NS6detail17trampoline_kernelINS0_13select_configILj256ELj13ELNS0_17block_load_methodE3ELS4_3ELS4_3ELNS0_20block_scan_algorithmE0ELj4294967295EEENS1_25partition_config_selectorILNS1_17partition_subalgoE3EjNS0_10empty_typeEbEEZZNS1_14partition_implILS8_3ELb0ES6_jNS0_17counting_iteratorIjlEEPS9_SE_NS0_5tupleIJPjSE_EEENSF_IJSE_SE_EEES9_SG_JZNS1_25segmented_radix_sort_implINS0_14default_configELb0EPKhPhPKlPlN2at6native12_GLOBAL__N_18offset_tEEE10hipError_tPvRmT1_PNSt15iterator_traitsISY_E10value_typeET2_T3_PNSZ_IS14_E10value_typeET4_jRbjT5_S1A_jjP12ihipStream_tbEUljE_EEESV_SW_SX_S14_S18_S1A_T6_T7_T9_mT8_S1C_bDpT10_ENKUlT_T0_E_clISt17integral_constantIbLb0EES1P_EEDaS1K_S1L_EUlS1K_E_NS1_11comp_targetILNS1_3genE3ELNS1_11target_archE908ELNS1_3gpuE7ELNS1_3repE0EEENS1_30default_config_static_selectorELNS0_4arch9wavefront6targetE0EEEvSY_ ; -- Begin function _ZN7rocprim17ROCPRIM_400000_NS6detail17trampoline_kernelINS0_13select_configILj256ELj13ELNS0_17block_load_methodE3ELS4_3ELS4_3ELNS0_20block_scan_algorithmE0ELj4294967295EEENS1_25partition_config_selectorILNS1_17partition_subalgoE3EjNS0_10empty_typeEbEEZZNS1_14partition_implILS8_3ELb0ES6_jNS0_17counting_iteratorIjlEEPS9_SE_NS0_5tupleIJPjSE_EEENSF_IJSE_SE_EEES9_SG_JZNS1_25segmented_radix_sort_implINS0_14default_configELb0EPKhPhPKlPlN2at6native12_GLOBAL__N_18offset_tEEE10hipError_tPvRmT1_PNSt15iterator_traitsISY_E10value_typeET2_T3_PNSZ_IS14_E10value_typeET4_jRbjT5_S1A_jjP12ihipStream_tbEUljE_EEESV_SW_SX_S14_S18_S1A_T6_T7_T9_mT8_S1C_bDpT10_ENKUlT_T0_E_clISt17integral_constantIbLb0EES1P_EEDaS1K_S1L_EUlS1K_E_NS1_11comp_targetILNS1_3genE3ELNS1_11target_archE908ELNS1_3gpuE7ELNS1_3repE0EEENS1_30default_config_static_selectorELNS0_4arch9wavefront6targetE0EEEvSY_
	.p2align	8
	.type	_ZN7rocprim17ROCPRIM_400000_NS6detail17trampoline_kernelINS0_13select_configILj256ELj13ELNS0_17block_load_methodE3ELS4_3ELS4_3ELNS0_20block_scan_algorithmE0ELj4294967295EEENS1_25partition_config_selectorILNS1_17partition_subalgoE3EjNS0_10empty_typeEbEEZZNS1_14partition_implILS8_3ELb0ES6_jNS0_17counting_iteratorIjlEEPS9_SE_NS0_5tupleIJPjSE_EEENSF_IJSE_SE_EEES9_SG_JZNS1_25segmented_radix_sort_implINS0_14default_configELb0EPKhPhPKlPlN2at6native12_GLOBAL__N_18offset_tEEE10hipError_tPvRmT1_PNSt15iterator_traitsISY_E10value_typeET2_T3_PNSZ_IS14_E10value_typeET4_jRbjT5_S1A_jjP12ihipStream_tbEUljE_EEESV_SW_SX_S14_S18_S1A_T6_T7_T9_mT8_S1C_bDpT10_ENKUlT_T0_E_clISt17integral_constantIbLb0EES1P_EEDaS1K_S1L_EUlS1K_E_NS1_11comp_targetILNS1_3genE3ELNS1_11target_archE908ELNS1_3gpuE7ELNS1_3repE0EEENS1_30default_config_static_selectorELNS0_4arch9wavefront6targetE0EEEvSY_,@function
_ZN7rocprim17ROCPRIM_400000_NS6detail17trampoline_kernelINS0_13select_configILj256ELj13ELNS0_17block_load_methodE3ELS4_3ELS4_3ELNS0_20block_scan_algorithmE0ELj4294967295EEENS1_25partition_config_selectorILNS1_17partition_subalgoE3EjNS0_10empty_typeEbEEZZNS1_14partition_implILS8_3ELb0ES6_jNS0_17counting_iteratorIjlEEPS9_SE_NS0_5tupleIJPjSE_EEENSF_IJSE_SE_EEES9_SG_JZNS1_25segmented_radix_sort_implINS0_14default_configELb0EPKhPhPKlPlN2at6native12_GLOBAL__N_18offset_tEEE10hipError_tPvRmT1_PNSt15iterator_traitsISY_E10value_typeET2_T3_PNSZ_IS14_E10value_typeET4_jRbjT5_S1A_jjP12ihipStream_tbEUljE_EEESV_SW_SX_S14_S18_S1A_T6_T7_T9_mT8_S1C_bDpT10_ENKUlT_T0_E_clISt17integral_constantIbLb0EES1P_EEDaS1K_S1L_EUlS1K_E_NS1_11comp_targetILNS1_3genE3ELNS1_11target_archE908ELNS1_3gpuE7ELNS1_3repE0EEENS1_30default_config_static_selectorELNS0_4arch9wavefront6targetE0EEEvSY_: ; @_ZN7rocprim17ROCPRIM_400000_NS6detail17trampoline_kernelINS0_13select_configILj256ELj13ELNS0_17block_load_methodE3ELS4_3ELS4_3ELNS0_20block_scan_algorithmE0ELj4294967295EEENS1_25partition_config_selectorILNS1_17partition_subalgoE3EjNS0_10empty_typeEbEEZZNS1_14partition_implILS8_3ELb0ES6_jNS0_17counting_iteratorIjlEEPS9_SE_NS0_5tupleIJPjSE_EEENSF_IJSE_SE_EEES9_SG_JZNS1_25segmented_radix_sort_implINS0_14default_configELb0EPKhPhPKlPlN2at6native12_GLOBAL__N_18offset_tEEE10hipError_tPvRmT1_PNSt15iterator_traitsISY_E10value_typeET2_T3_PNSZ_IS14_E10value_typeET4_jRbjT5_S1A_jjP12ihipStream_tbEUljE_EEESV_SW_SX_S14_S18_S1A_T6_T7_T9_mT8_S1C_bDpT10_ENKUlT_T0_E_clISt17integral_constantIbLb0EES1P_EEDaS1K_S1L_EUlS1K_E_NS1_11comp_targetILNS1_3genE3ELNS1_11target_archE908ELNS1_3gpuE7ELNS1_3repE0EEENS1_30default_config_static_selectorELNS0_4arch9wavefront6targetE0EEEvSY_
; %bb.0:
	.section	.rodata,"a",@progbits
	.p2align	6, 0x0
	.amdhsa_kernel _ZN7rocprim17ROCPRIM_400000_NS6detail17trampoline_kernelINS0_13select_configILj256ELj13ELNS0_17block_load_methodE3ELS4_3ELS4_3ELNS0_20block_scan_algorithmE0ELj4294967295EEENS1_25partition_config_selectorILNS1_17partition_subalgoE3EjNS0_10empty_typeEbEEZZNS1_14partition_implILS8_3ELb0ES6_jNS0_17counting_iteratorIjlEEPS9_SE_NS0_5tupleIJPjSE_EEENSF_IJSE_SE_EEES9_SG_JZNS1_25segmented_radix_sort_implINS0_14default_configELb0EPKhPhPKlPlN2at6native12_GLOBAL__N_18offset_tEEE10hipError_tPvRmT1_PNSt15iterator_traitsISY_E10value_typeET2_T3_PNSZ_IS14_E10value_typeET4_jRbjT5_S1A_jjP12ihipStream_tbEUljE_EEESV_SW_SX_S14_S18_S1A_T6_T7_T9_mT8_S1C_bDpT10_ENKUlT_T0_E_clISt17integral_constantIbLb0EES1P_EEDaS1K_S1L_EUlS1K_E_NS1_11comp_targetILNS1_3genE3ELNS1_11target_archE908ELNS1_3gpuE7ELNS1_3repE0EEENS1_30default_config_static_selectorELNS0_4arch9wavefront6targetE0EEEvSY_
		.amdhsa_group_segment_fixed_size 0
		.amdhsa_private_segment_fixed_size 0
		.amdhsa_kernarg_size 144
		.amdhsa_user_sgpr_count 2
		.amdhsa_user_sgpr_dispatch_ptr 0
		.amdhsa_user_sgpr_queue_ptr 0
		.amdhsa_user_sgpr_kernarg_segment_ptr 1
		.amdhsa_user_sgpr_dispatch_id 0
		.amdhsa_user_sgpr_private_segment_size 0
		.amdhsa_wavefront_size32 1
		.amdhsa_uses_dynamic_stack 0
		.amdhsa_enable_private_segment 0
		.amdhsa_system_sgpr_workgroup_id_x 1
		.amdhsa_system_sgpr_workgroup_id_y 0
		.amdhsa_system_sgpr_workgroup_id_z 0
		.amdhsa_system_sgpr_workgroup_info 0
		.amdhsa_system_vgpr_workitem_id 0
		.amdhsa_next_free_vgpr 1
		.amdhsa_next_free_sgpr 1
		.amdhsa_reserve_vcc 0
		.amdhsa_float_round_mode_32 0
		.amdhsa_float_round_mode_16_64 0
		.amdhsa_float_denorm_mode_32 3
		.amdhsa_float_denorm_mode_16_64 3
		.amdhsa_fp16_overflow 0
		.amdhsa_workgroup_processor_mode 1
		.amdhsa_memory_ordered 1
		.amdhsa_forward_progress 1
		.amdhsa_inst_pref_size 0
		.amdhsa_round_robin_scheduling 0
		.amdhsa_exception_fp_ieee_invalid_op 0
		.amdhsa_exception_fp_denorm_src 0
		.amdhsa_exception_fp_ieee_div_zero 0
		.amdhsa_exception_fp_ieee_overflow 0
		.amdhsa_exception_fp_ieee_underflow 0
		.amdhsa_exception_fp_ieee_inexact 0
		.amdhsa_exception_int_div_zero 0
	.end_amdhsa_kernel
	.section	.text._ZN7rocprim17ROCPRIM_400000_NS6detail17trampoline_kernelINS0_13select_configILj256ELj13ELNS0_17block_load_methodE3ELS4_3ELS4_3ELNS0_20block_scan_algorithmE0ELj4294967295EEENS1_25partition_config_selectorILNS1_17partition_subalgoE3EjNS0_10empty_typeEbEEZZNS1_14partition_implILS8_3ELb0ES6_jNS0_17counting_iteratorIjlEEPS9_SE_NS0_5tupleIJPjSE_EEENSF_IJSE_SE_EEES9_SG_JZNS1_25segmented_radix_sort_implINS0_14default_configELb0EPKhPhPKlPlN2at6native12_GLOBAL__N_18offset_tEEE10hipError_tPvRmT1_PNSt15iterator_traitsISY_E10value_typeET2_T3_PNSZ_IS14_E10value_typeET4_jRbjT5_S1A_jjP12ihipStream_tbEUljE_EEESV_SW_SX_S14_S18_S1A_T6_T7_T9_mT8_S1C_bDpT10_ENKUlT_T0_E_clISt17integral_constantIbLb0EES1P_EEDaS1K_S1L_EUlS1K_E_NS1_11comp_targetILNS1_3genE3ELNS1_11target_archE908ELNS1_3gpuE7ELNS1_3repE0EEENS1_30default_config_static_selectorELNS0_4arch9wavefront6targetE0EEEvSY_,"axG",@progbits,_ZN7rocprim17ROCPRIM_400000_NS6detail17trampoline_kernelINS0_13select_configILj256ELj13ELNS0_17block_load_methodE3ELS4_3ELS4_3ELNS0_20block_scan_algorithmE0ELj4294967295EEENS1_25partition_config_selectorILNS1_17partition_subalgoE3EjNS0_10empty_typeEbEEZZNS1_14partition_implILS8_3ELb0ES6_jNS0_17counting_iteratorIjlEEPS9_SE_NS0_5tupleIJPjSE_EEENSF_IJSE_SE_EEES9_SG_JZNS1_25segmented_radix_sort_implINS0_14default_configELb0EPKhPhPKlPlN2at6native12_GLOBAL__N_18offset_tEEE10hipError_tPvRmT1_PNSt15iterator_traitsISY_E10value_typeET2_T3_PNSZ_IS14_E10value_typeET4_jRbjT5_S1A_jjP12ihipStream_tbEUljE_EEESV_SW_SX_S14_S18_S1A_T6_T7_T9_mT8_S1C_bDpT10_ENKUlT_T0_E_clISt17integral_constantIbLb0EES1P_EEDaS1K_S1L_EUlS1K_E_NS1_11comp_targetILNS1_3genE3ELNS1_11target_archE908ELNS1_3gpuE7ELNS1_3repE0EEENS1_30default_config_static_selectorELNS0_4arch9wavefront6targetE0EEEvSY_,comdat
.Lfunc_end157:
	.size	_ZN7rocprim17ROCPRIM_400000_NS6detail17trampoline_kernelINS0_13select_configILj256ELj13ELNS0_17block_load_methodE3ELS4_3ELS4_3ELNS0_20block_scan_algorithmE0ELj4294967295EEENS1_25partition_config_selectorILNS1_17partition_subalgoE3EjNS0_10empty_typeEbEEZZNS1_14partition_implILS8_3ELb0ES6_jNS0_17counting_iteratorIjlEEPS9_SE_NS0_5tupleIJPjSE_EEENSF_IJSE_SE_EEES9_SG_JZNS1_25segmented_radix_sort_implINS0_14default_configELb0EPKhPhPKlPlN2at6native12_GLOBAL__N_18offset_tEEE10hipError_tPvRmT1_PNSt15iterator_traitsISY_E10value_typeET2_T3_PNSZ_IS14_E10value_typeET4_jRbjT5_S1A_jjP12ihipStream_tbEUljE_EEESV_SW_SX_S14_S18_S1A_T6_T7_T9_mT8_S1C_bDpT10_ENKUlT_T0_E_clISt17integral_constantIbLb0EES1P_EEDaS1K_S1L_EUlS1K_E_NS1_11comp_targetILNS1_3genE3ELNS1_11target_archE908ELNS1_3gpuE7ELNS1_3repE0EEENS1_30default_config_static_selectorELNS0_4arch9wavefront6targetE0EEEvSY_, .Lfunc_end157-_ZN7rocprim17ROCPRIM_400000_NS6detail17trampoline_kernelINS0_13select_configILj256ELj13ELNS0_17block_load_methodE3ELS4_3ELS4_3ELNS0_20block_scan_algorithmE0ELj4294967295EEENS1_25partition_config_selectorILNS1_17partition_subalgoE3EjNS0_10empty_typeEbEEZZNS1_14partition_implILS8_3ELb0ES6_jNS0_17counting_iteratorIjlEEPS9_SE_NS0_5tupleIJPjSE_EEENSF_IJSE_SE_EEES9_SG_JZNS1_25segmented_radix_sort_implINS0_14default_configELb0EPKhPhPKlPlN2at6native12_GLOBAL__N_18offset_tEEE10hipError_tPvRmT1_PNSt15iterator_traitsISY_E10value_typeET2_T3_PNSZ_IS14_E10value_typeET4_jRbjT5_S1A_jjP12ihipStream_tbEUljE_EEESV_SW_SX_S14_S18_S1A_T6_T7_T9_mT8_S1C_bDpT10_ENKUlT_T0_E_clISt17integral_constantIbLb0EES1P_EEDaS1K_S1L_EUlS1K_E_NS1_11comp_targetILNS1_3genE3ELNS1_11target_archE908ELNS1_3gpuE7ELNS1_3repE0EEENS1_30default_config_static_selectorELNS0_4arch9wavefront6targetE0EEEvSY_
                                        ; -- End function
	.set _ZN7rocprim17ROCPRIM_400000_NS6detail17trampoline_kernelINS0_13select_configILj256ELj13ELNS0_17block_load_methodE3ELS4_3ELS4_3ELNS0_20block_scan_algorithmE0ELj4294967295EEENS1_25partition_config_selectorILNS1_17partition_subalgoE3EjNS0_10empty_typeEbEEZZNS1_14partition_implILS8_3ELb0ES6_jNS0_17counting_iteratorIjlEEPS9_SE_NS0_5tupleIJPjSE_EEENSF_IJSE_SE_EEES9_SG_JZNS1_25segmented_radix_sort_implINS0_14default_configELb0EPKhPhPKlPlN2at6native12_GLOBAL__N_18offset_tEEE10hipError_tPvRmT1_PNSt15iterator_traitsISY_E10value_typeET2_T3_PNSZ_IS14_E10value_typeET4_jRbjT5_S1A_jjP12ihipStream_tbEUljE_EEESV_SW_SX_S14_S18_S1A_T6_T7_T9_mT8_S1C_bDpT10_ENKUlT_T0_E_clISt17integral_constantIbLb0EES1P_EEDaS1K_S1L_EUlS1K_E_NS1_11comp_targetILNS1_3genE3ELNS1_11target_archE908ELNS1_3gpuE7ELNS1_3repE0EEENS1_30default_config_static_selectorELNS0_4arch9wavefront6targetE0EEEvSY_.num_vgpr, 0
	.set _ZN7rocprim17ROCPRIM_400000_NS6detail17trampoline_kernelINS0_13select_configILj256ELj13ELNS0_17block_load_methodE3ELS4_3ELS4_3ELNS0_20block_scan_algorithmE0ELj4294967295EEENS1_25partition_config_selectorILNS1_17partition_subalgoE3EjNS0_10empty_typeEbEEZZNS1_14partition_implILS8_3ELb0ES6_jNS0_17counting_iteratorIjlEEPS9_SE_NS0_5tupleIJPjSE_EEENSF_IJSE_SE_EEES9_SG_JZNS1_25segmented_radix_sort_implINS0_14default_configELb0EPKhPhPKlPlN2at6native12_GLOBAL__N_18offset_tEEE10hipError_tPvRmT1_PNSt15iterator_traitsISY_E10value_typeET2_T3_PNSZ_IS14_E10value_typeET4_jRbjT5_S1A_jjP12ihipStream_tbEUljE_EEESV_SW_SX_S14_S18_S1A_T6_T7_T9_mT8_S1C_bDpT10_ENKUlT_T0_E_clISt17integral_constantIbLb0EES1P_EEDaS1K_S1L_EUlS1K_E_NS1_11comp_targetILNS1_3genE3ELNS1_11target_archE908ELNS1_3gpuE7ELNS1_3repE0EEENS1_30default_config_static_selectorELNS0_4arch9wavefront6targetE0EEEvSY_.num_agpr, 0
	.set _ZN7rocprim17ROCPRIM_400000_NS6detail17trampoline_kernelINS0_13select_configILj256ELj13ELNS0_17block_load_methodE3ELS4_3ELS4_3ELNS0_20block_scan_algorithmE0ELj4294967295EEENS1_25partition_config_selectorILNS1_17partition_subalgoE3EjNS0_10empty_typeEbEEZZNS1_14partition_implILS8_3ELb0ES6_jNS0_17counting_iteratorIjlEEPS9_SE_NS0_5tupleIJPjSE_EEENSF_IJSE_SE_EEES9_SG_JZNS1_25segmented_radix_sort_implINS0_14default_configELb0EPKhPhPKlPlN2at6native12_GLOBAL__N_18offset_tEEE10hipError_tPvRmT1_PNSt15iterator_traitsISY_E10value_typeET2_T3_PNSZ_IS14_E10value_typeET4_jRbjT5_S1A_jjP12ihipStream_tbEUljE_EEESV_SW_SX_S14_S18_S1A_T6_T7_T9_mT8_S1C_bDpT10_ENKUlT_T0_E_clISt17integral_constantIbLb0EES1P_EEDaS1K_S1L_EUlS1K_E_NS1_11comp_targetILNS1_3genE3ELNS1_11target_archE908ELNS1_3gpuE7ELNS1_3repE0EEENS1_30default_config_static_selectorELNS0_4arch9wavefront6targetE0EEEvSY_.numbered_sgpr, 0
	.set _ZN7rocprim17ROCPRIM_400000_NS6detail17trampoline_kernelINS0_13select_configILj256ELj13ELNS0_17block_load_methodE3ELS4_3ELS4_3ELNS0_20block_scan_algorithmE0ELj4294967295EEENS1_25partition_config_selectorILNS1_17partition_subalgoE3EjNS0_10empty_typeEbEEZZNS1_14partition_implILS8_3ELb0ES6_jNS0_17counting_iteratorIjlEEPS9_SE_NS0_5tupleIJPjSE_EEENSF_IJSE_SE_EEES9_SG_JZNS1_25segmented_radix_sort_implINS0_14default_configELb0EPKhPhPKlPlN2at6native12_GLOBAL__N_18offset_tEEE10hipError_tPvRmT1_PNSt15iterator_traitsISY_E10value_typeET2_T3_PNSZ_IS14_E10value_typeET4_jRbjT5_S1A_jjP12ihipStream_tbEUljE_EEESV_SW_SX_S14_S18_S1A_T6_T7_T9_mT8_S1C_bDpT10_ENKUlT_T0_E_clISt17integral_constantIbLb0EES1P_EEDaS1K_S1L_EUlS1K_E_NS1_11comp_targetILNS1_3genE3ELNS1_11target_archE908ELNS1_3gpuE7ELNS1_3repE0EEENS1_30default_config_static_selectorELNS0_4arch9wavefront6targetE0EEEvSY_.num_named_barrier, 0
	.set _ZN7rocprim17ROCPRIM_400000_NS6detail17trampoline_kernelINS0_13select_configILj256ELj13ELNS0_17block_load_methodE3ELS4_3ELS4_3ELNS0_20block_scan_algorithmE0ELj4294967295EEENS1_25partition_config_selectorILNS1_17partition_subalgoE3EjNS0_10empty_typeEbEEZZNS1_14partition_implILS8_3ELb0ES6_jNS0_17counting_iteratorIjlEEPS9_SE_NS0_5tupleIJPjSE_EEENSF_IJSE_SE_EEES9_SG_JZNS1_25segmented_radix_sort_implINS0_14default_configELb0EPKhPhPKlPlN2at6native12_GLOBAL__N_18offset_tEEE10hipError_tPvRmT1_PNSt15iterator_traitsISY_E10value_typeET2_T3_PNSZ_IS14_E10value_typeET4_jRbjT5_S1A_jjP12ihipStream_tbEUljE_EEESV_SW_SX_S14_S18_S1A_T6_T7_T9_mT8_S1C_bDpT10_ENKUlT_T0_E_clISt17integral_constantIbLb0EES1P_EEDaS1K_S1L_EUlS1K_E_NS1_11comp_targetILNS1_3genE3ELNS1_11target_archE908ELNS1_3gpuE7ELNS1_3repE0EEENS1_30default_config_static_selectorELNS0_4arch9wavefront6targetE0EEEvSY_.private_seg_size, 0
	.set _ZN7rocprim17ROCPRIM_400000_NS6detail17trampoline_kernelINS0_13select_configILj256ELj13ELNS0_17block_load_methodE3ELS4_3ELS4_3ELNS0_20block_scan_algorithmE0ELj4294967295EEENS1_25partition_config_selectorILNS1_17partition_subalgoE3EjNS0_10empty_typeEbEEZZNS1_14partition_implILS8_3ELb0ES6_jNS0_17counting_iteratorIjlEEPS9_SE_NS0_5tupleIJPjSE_EEENSF_IJSE_SE_EEES9_SG_JZNS1_25segmented_radix_sort_implINS0_14default_configELb0EPKhPhPKlPlN2at6native12_GLOBAL__N_18offset_tEEE10hipError_tPvRmT1_PNSt15iterator_traitsISY_E10value_typeET2_T3_PNSZ_IS14_E10value_typeET4_jRbjT5_S1A_jjP12ihipStream_tbEUljE_EEESV_SW_SX_S14_S18_S1A_T6_T7_T9_mT8_S1C_bDpT10_ENKUlT_T0_E_clISt17integral_constantIbLb0EES1P_EEDaS1K_S1L_EUlS1K_E_NS1_11comp_targetILNS1_3genE3ELNS1_11target_archE908ELNS1_3gpuE7ELNS1_3repE0EEENS1_30default_config_static_selectorELNS0_4arch9wavefront6targetE0EEEvSY_.uses_vcc, 0
	.set _ZN7rocprim17ROCPRIM_400000_NS6detail17trampoline_kernelINS0_13select_configILj256ELj13ELNS0_17block_load_methodE3ELS4_3ELS4_3ELNS0_20block_scan_algorithmE0ELj4294967295EEENS1_25partition_config_selectorILNS1_17partition_subalgoE3EjNS0_10empty_typeEbEEZZNS1_14partition_implILS8_3ELb0ES6_jNS0_17counting_iteratorIjlEEPS9_SE_NS0_5tupleIJPjSE_EEENSF_IJSE_SE_EEES9_SG_JZNS1_25segmented_radix_sort_implINS0_14default_configELb0EPKhPhPKlPlN2at6native12_GLOBAL__N_18offset_tEEE10hipError_tPvRmT1_PNSt15iterator_traitsISY_E10value_typeET2_T3_PNSZ_IS14_E10value_typeET4_jRbjT5_S1A_jjP12ihipStream_tbEUljE_EEESV_SW_SX_S14_S18_S1A_T6_T7_T9_mT8_S1C_bDpT10_ENKUlT_T0_E_clISt17integral_constantIbLb0EES1P_EEDaS1K_S1L_EUlS1K_E_NS1_11comp_targetILNS1_3genE3ELNS1_11target_archE908ELNS1_3gpuE7ELNS1_3repE0EEENS1_30default_config_static_selectorELNS0_4arch9wavefront6targetE0EEEvSY_.uses_flat_scratch, 0
	.set _ZN7rocprim17ROCPRIM_400000_NS6detail17trampoline_kernelINS0_13select_configILj256ELj13ELNS0_17block_load_methodE3ELS4_3ELS4_3ELNS0_20block_scan_algorithmE0ELj4294967295EEENS1_25partition_config_selectorILNS1_17partition_subalgoE3EjNS0_10empty_typeEbEEZZNS1_14partition_implILS8_3ELb0ES6_jNS0_17counting_iteratorIjlEEPS9_SE_NS0_5tupleIJPjSE_EEENSF_IJSE_SE_EEES9_SG_JZNS1_25segmented_radix_sort_implINS0_14default_configELb0EPKhPhPKlPlN2at6native12_GLOBAL__N_18offset_tEEE10hipError_tPvRmT1_PNSt15iterator_traitsISY_E10value_typeET2_T3_PNSZ_IS14_E10value_typeET4_jRbjT5_S1A_jjP12ihipStream_tbEUljE_EEESV_SW_SX_S14_S18_S1A_T6_T7_T9_mT8_S1C_bDpT10_ENKUlT_T0_E_clISt17integral_constantIbLb0EES1P_EEDaS1K_S1L_EUlS1K_E_NS1_11comp_targetILNS1_3genE3ELNS1_11target_archE908ELNS1_3gpuE7ELNS1_3repE0EEENS1_30default_config_static_selectorELNS0_4arch9wavefront6targetE0EEEvSY_.has_dyn_sized_stack, 0
	.set _ZN7rocprim17ROCPRIM_400000_NS6detail17trampoline_kernelINS0_13select_configILj256ELj13ELNS0_17block_load_methodE3ELS4_3ELS4_3ELNS0_20block_scan_algorithmE0ELj4294967295EEENS1_25partition_config_selectorILNS1_17partition_subalgoE3EjNS0_10empty_typeEbEEZZNS1_14partition_implILS8_3ELb0ES6_jNS0_17counting_iteratorIjlEEPS9_SE_NS0_5tupleIJPjSE_EEENSF_IJSE_SE_EEES9_SG_JZNS1_25segmented_radix_sort_implINS0_14default_configELb0EPKhPhPKlPlN2at6native12_GLOBAL__N_18offset_tEEE10hipError_tPvRmT1_PNSt15iterator_traitsISY_E10value_typeET2_T3_PNSZ_IS14_E10value_typeET4_jRbjT5_S1A_jjP12ihipStream_tbEUljE_EEESV_SW_SX_S14_S18_S1A_T6_T7_T9_mT8_S1C_bDpT10_ENKUlT_T0_E_clISt17integral_constantIbLb0EES1P_EEDaS1K_S1L_EUlS1K_E_NS1_11comp_targetILNS1_3genE3ELNS1_11target_archE908ELNS1_3gpuE7ELNS1_3repE0EEENS1_30default_config_static_selectorELNS0_4arch9wavefront6targetE0EEEvSY_.has_recursion, 0
	.set _ZN7rocprim17ROCPRIM_400000_NS6detail17trampoline_kernelINS0_13select_configILj256ELj13ELNS0_17block_load_methodE3ELS4_3ELS4_3ELNS0_20block_scan_algorithmE0ELj4294967295EEENS1_25partition_config_selectorILNS1_17partition_subalgoE3EjNS0_10empty_typeEbEEZZNS1_14partition_implILS8_3ELb0ES6_jNS0_17counting_iteratorIjlEEPS9_SE_NS0_5tupleIJPjSE_EEENSF_IJSE_SE_EEES9_SG_JZNS1_25segmented_radix_sort_implINS0_14default_configELb0EPKhPhPKlPlN2at6native12_GLOBAL__N_18offset_tEEE10hipError_tPvRmT1_PNSt15iterator_traitsISY_E10value_typeET2_T3_PNSZ_IS14_E10value_typeET4_jRbjT5_S1A_jjP12ihipStream_tbEUljE_EEESV_SW_SX_S14_S18_S1A_T6_T7_T9_mT8_S1C_bDpT10_ENKUlT_T0_E_clISt17integral_constantIbLb0EES1P_EEDaS1K_S1L_EUlS1K_E_NS1_11comp_targetILNS1_3genE3ELNS1_11target_archE908ELNS1_3gpuE7ELNS1_3repE0EEENS1_30default_config_static_selectorELNS0_4arch9wavefront6targetE0EEEvSY_.has_indirect_call, 0
	.section	.AMDGPU.csdata,"",@progbits
; Kernel info:
; codeLenInByte = 0
; TotalNumSgprs: 0
; NumVgprs: 0
; ScratchSize: 0
; MemoryBound: 0
; FloatMode: 240
; IeeeMode: 1
; LDSByteSize: 0 bytes/workgroup (compile time only)
; SGPRBlocks: 0
; VGPRBlocks: 0
; NumSGPRsForWavesPerEU: 1
; NumVGPRsForWavesPerEU: 1
; Occupancy: 16
; WaveLimiterHint : 0
; COMPUTE_PGM_RSRC2:SCRATCH_EN: 0
; COMPUTE_PGM_RSRC2:USER_SGPR: 2
; COMPUTE_PGM_RSRC2:TRAP_HANDLER: 0
; COMPUTE_PGM_RSRC2:TGID_X_EN: 1
; COMPUTE_PGM_RSRC2:TGID_Y_EN: 0
; COMPUTE_PGM_RSRC2:TGID_Z_EN: 0
; COMPUTE_PGM_RSRC2:TIDIG_COMP_CNT: 0
	.section	.text._ZN7rocprim17ROCPRIM_400000_NS6detail17trampoline_kernelINS0_13select_configILj256ELj13ELNS0_17block_load_methodE3ELS4_3ELS4_3ELNS0_20block_scan_algorithmE0ELj4294967295EEENS1_25partition_config_selectorILNS1_17partition_subalgoE3EjNS0_10empty_typeEbEEZZNS1_14partition_implILS8_3ELb0ES6_jNS0_17counting_iteratorIjlEEPS9_SE_NS0_5tupleIJPjSE_EEENSF_IJSE_SE_EEES9_SG_JZNS1_25segmented_radix_sort_implINS0_14default_configELb0EPKhPhPKlPlN2at6native12_GLOBAL__N_18offset_tEEE10hipError_tPvRmT1_PNSt15iterator_traitsISY_E10value_typeET2_T3_PNSZ_IS14_E10value_typeET4_jRbjT5_S1A_jjP12ihipStream_tbEUljE_EEESV_SW_SX_S14_S18_S1A_T6_T7_T9_mT8_S1C_bDpT10_ENKUlT_T0_E_clISt17integral_constantIbLb0EES1P_EEDaS1K_S1L_EUlS1K_E_NS1_11comp_targetILNS1_3genE2ELNS1_11target_archE906ELNS1_3gpuE6ELNS1_3repE0EEENS1_30default_config_static_selectorELNS0_4arch9wavefront6targetE0EEEvSY_,"axG",@progbits,_ZN7rocprim17ROCPRIM_400000_NS6detail17trampoline_kernelINS0_13select_configILj256ELj13ELNS0_17block_load_methodE3ELS4_3ELS4_3ELNS0_20block_scan_algorithmE0ELj4294967295EEENS1_25partition_config_selectorILNS1_17partition_subalgoE3EjNS0_10empty_typeEbEEZZNS1_14partition_implILS8_3ELb0ES6_jNS0_17counting_iteratorIjlEEPS9_SE_NS0_5tupleIJPjSE_EEENSF_IJSE_SE_EEES9_SG_JZNS1_25segmented_radix_sort_implINS0_14default_configELb0EPKhPhPKlPlN2at6native12_GLOBAL__N_18offset_tEEE10hipError_tPvRmT1_PNSt15iterator_traitsISY_E10value_typeET2_T3_PNSZ_IS14_E10value_typeET4_jRbjT5_S1A_jjP12ihipStream_tbEUljE_EEESV_SW_SX_S14_S18_S1A_T6_T7_T9_mT8_S1C_bDpT10_ENKUlT_T0_E_clISt17integral_constantIbLb0EES1P_EEDaS1K_S1L_EUlS1K_E_NS1_11comp_targetILNS1_3genE2ELNS1_11target_archE906ELNS1_3gpuE6ELNS1_3repE0EEENS1_30default_config_static_selectorELNS0_4arch9wavefront6targetE0EEEvSY_,comdat
	.globl	_ZN7rocprim17ROCPRIM_400000_NS6detail17trampoline_kernelINS0_13select_configILj256ELj13ELNS0_17block_load_methodE3ELS4_3ELS4_3ELNS0_20block_scan_algorithmE0ELj4294967295EEENS1_25partition_config_selectorILNS1_17partition_subalgoE3EjNS0_10empty_typeEbEEZZNS1_14partition_implILS8_3ELb0ES6_jNS0_17counting_iteratorIjlEEPS9_SE_NS0_5tupleIJPjSE_EEENSF_IJSE_SE_EEES9_SG_JZNS1_25segmented_radix_sort_implINS0_14default_configELb0EPKhPhPKlPlN2at6native12_GLOBAL__N_18offset_tEEE10hipError_tPvRmT1_PNSt15iterator_traitsISY_E10value_typeET2_T3_PNSZ_IS14_E10value_typeET4_jRbjT5_S1A_jjP12ihipStream_tbEUljE_EEESV_SW_SX_S14_S18_S1A_T6_T7_T9_mT8_S1C_bDpT10_ENKUlT_T0_E_clISt17integral_constantIbLb0EES1P_EEDaS1K_S1L_EUlS1K_E_NS1_11comp_targetILNS1_3genE2ELNS1_11target_archE906ELNS1_3gpuE6ELNS1_3repE0EEENS1_30default_config_static_selectorELNS0_4arch9wavefront6targetE0EEEvSY_ ; -- Begin function _ZN7rocprim17ROCPRIM_400000_NS6detail17trampoline_kernelINS0_13select_configILj256ELj13ELNS0_17block_load_methodE3ELS4_3ELS4_3ELNS0_20block_scan_algorithmE0ELj4294967295EEENS1_25partition_config_selectorILNS1_17partition_subalgoE3EjNS0_10empty_typeEbEEZZNS1_14partition_implILS8_3ELb0ES6_jNS0_17counting_iteratorIjlEEPS9_SE_NS0_5tupleIJPjSE_EEENSF_IJSE_SE_EEES9_SG_JZNS1_25segmented_radix_sort_implINS0_14default_configELb0EPKhPhPKlPlN2at6native12_GLOBAL__N_18offset_tEEE10hipError_tPvRmT1_PNSt15iterator_traitsISY_E10value_typeET2_T3_PNSZ_IS14_E10value_typeET4_jRbjT5_S1A_jjP12ihipStream_tbEUljE_EEESV_SW_SX_S14_S18_S1A_T6_T7_T9_mT8_S1C_bDpT10_ENKUlT_T0_E_clISt17integral_constantIbLb0EES1P_EEDaS1K_S1L_EUlS1K_E_NS1_11comp_targetILNS1_3genE2ELNS1_11target_archE906ELNS1_3gpuE6ELNS1_3repE0EEENS1_30default_config_static_selectorELNS0_4arch9wavefront6targetE0EEEvSY_
	.p2align	8
	.type	_ZN7rocprim17ROCPRIM_400000_NS6detail17trampoline_kernelINS0_13select_configILj256ELj13ELNS0_17block_load_methodE3ELS4_3ELS4_3ELNS0_20block_scan_algorithmE0ELj4294967295EEENS1_25partition_config_selectorILNS1_17partition_subalgoE3EjNS0_10empty_typeEbEEZZNS1_14partition_implILS8_3ELb0ES6_jNS0_17counting_iteratorIjlEEPS9_SE_NS0_5tupleIJPjSE_EEENSF_IJSE_SE_EEES9_SG_JZNS1_25segmented_radix_sort_implINS0_14default_configELb0EPKhPhPKlPlN2at6native12_GLOBAL__N_18offset_tEEE10hipError_tPvRmT1_PNSt15iterator_traitsISY_E10value_typeET2_T3_PNSZ_IS14_E10value_typeET4_jRbjT5_S1A_jjP12ihipStream_tbEUljE_EEESV_SW_SX_S14_S18_S1A_T6_T7_T9_mT8_S1C_bDpT10_ENKUlT_T0_E_clISt17integral_constantIbLb0EES1P_EEDaS1K_S1L_EUlS1K_E_NS1_11comp_targetILNS1_3genE2ELNS1_11target_archE906ELNS1_3gpuE6ELNS1_3repE0EEENS1_30default_config_static_selectorELNS0_4arch9wavefront6targetE0EEEvSY_,@function
_ZN7rocprim17ROCPRIM_400000_NS6detail17trampoline_kernelINS0_13select_configILj256ELj13ELNS0_17block_load_methodE3ELS4_3ELS4_3ELNS0_20block_scan_algorithmE0ELj4294967295EEENS1_25partition_config_selectorILNS1_17partition_subalgoE3EjNS0_10empty_typeEbEEZZNS1_14partition_implILS8_3ELb0ES6_jNS0_17counting_iteratorIjlEEPS9_SE_NS0_5tupleIJPjSE_EEENSF_IJSE_SE_EEES9_SG_JZNS1_25segmented_radix_sort_implINS0_14default_configELb0EPKhPhPKlPlN2at6native12_GLOBAL__N_18offset_tEEE10hipError_tPvRmT1_PNSt15iterator_traitsISY_E10value_typeET2_T3_PNSZ_IS14_E10value_typeET4_jRbjT5_S1A_jjP12ihipStream_tbEUljE_EEESV_SW_SX_S14_S18_S1A_T6_T7_T9_mT8_S1C_bDpT10_ENKUlT_T0_E_clISt17integral_constantIbLb0EES1P_EEDaS1K_S1L_EUlS1K_E_NS1_11comp_targetILNS1_3genE2ELNS1_11target_archE906ELNS1_3gpuE6ELNS1_3repE0EEENS1_30default_config_static_selectorELNS0_4arch9wavefront6targetE0EEEvSY_: ; @_ZN7rocprim17ROCPRIM_400000_NS6detail17trampoline_kernelINS0_13select_configILj256ELj13ELNS0_17block_load_methodE3ELS4_3ELS4_3ELNS0_20block_scan_algorithmE0ELj4294967295EEENS1_25partition_config_selectorILNS1_17partition_subalgoE3EjNS0_10empty_typeEbEEZZNS1_14partition_implILS8_3ELb0ES6_jNS0_17counting_iteratorIjlEEPS9_SE_NS0_5tupleIJPjSE_EEENSF_IJSE_SE_EEES9_SG_JZNS1_25segmented_radix_sort_implINS0_14default_configELb0EPKhPhPKlPlN2at6native12_GLOBAL__N_18offset_tEEE10hipError_tPvRmT1_PNSt15iterator_traitsISY_E10value_typeET2_T3_PNSZ_IS14_E10value_typeET4_jRbjT5_S1A_jjP12ihipStream_tbEUljE_EEESV_SW_SX_S14_S18_S1A_T6_T7_T9_mT8_S1C_bDpT10_ENKUlT_T0_E_clISt17integral_constantIbLb0EES1P_EEDaS1K_S1L_EUlS1K_E_NS1_11comp_targetILNS1_3genE2ELNS1_11target_archE906ELNS1_3gpuE6ELNS1_3repE0EEENS1_30default_config_static_selectorELNS0_4arch9wavefront6targetE0EEEvSY_
; %bb.0:
	.section	.rodata,"a",@progbits
	.p2align	6, 0x0
	.amdhsa_kernel _ZN7rocprim17ROCPRIM_400000_NS6detail17trampoline_kernelINS0_13select_configILj256ELj13ELNS0_17block_load_methodE3ELS4_3ELS4_3ELNS0_20block_scan_algorithmE0ELj4294967295EEENS1_25partition_config_selectorILNS1_17partition_subalgoE3EjNS0_10empty_typeEbEEZZNS1_14partition_implILS8_3ELb0ES6_jNS0_17counting_iteratorIjlEEPS9_SE_NS0_5tupleIJPjSE_EEENSF_IJSE_SE_EEES9_SG_JZNS1_25segmented_radix_sort_implINS0_14default_configELb0EPKhPhPKlPlN2at6native12_GLOBAL__N_18offset_tEEE10hipError_tPvRmT1_PNSt15iterator_traitsISY_E10value_typeET2_T3_PNSZ_IS14_E10value_typeET4_jRbjT5_S1A_jjP12ihipStream_tbEUljE_EEESV_SW_SX_S14_S18_S1A_T6_T7_T9_mT8_S1C_bDpT10_ENKUlT_T0_E_clISt17integral_constantIbLb0EES1P_EEDaS1K_S1L_EUlS1K_E_NS1_11comp_targetILNS1_3genE2ELNS1_11target_archE906ELNS1_3gpuE6ELNS1_3repE0EEENS1_30default_config_static_selectorELNS0_4arch9wavefront6targetE0EEEvSY_
		.amdhsa_group_segment_fixed_size 0
		.amdhsa_private_segment_fixed_size 0
		.amdhsa_kernarg_size 144
		.amdhsa_user_sgpr_count 2
		.amdhsa_user_sgpr_dispatch_ptr 0
		.amdhsa_user_sgpr_queue_ptr 0
		.amdhsa_user_sgpr_kernarg_segment_ptr 1
		.amdhsa_user_sgpr_dispatch_id 0
		.amdhsa_user_sgpr_private_segment_size 0
		.amdhsa_wavefront_size32 1
		.amdhsa_uses_dynamic_stack 0
		.amdhsa_enable_private_segment 0
		.amdhsa_system_sgpr_workgroup_id_x 1
		.amdhsa_system_sgpr_workgroup_id_y 0
		.amdhsa_system_sgpr_workgroup_id_z 0
		.amdhsa_system_sgpr_workgroup_info 0
		.amdhsa_system_vgpr_workitem_id 0
		.amdhsa_next_free_vgpr 1
		.amdhsa_next_free_sgpr 1
		.amdhsa_reserve_vcc 0
		.amdhsa_float_round_mode_32 0
		.amdhsa_float_round_mode_16_64 0
		.amdhsa_float_denorm_mode_32 3
		.amdhsa_float_denorm_mode_16_64 3
		.amdhsa_fp16_overflow 0
		.amdhsa_workgroup_processor_mode 1
		.amdhsa_memory_ordered 1
		.amdhsa_forward_progress 1
		.amdhsa_inst_pref_size 0
		.amdhsa_round_robin_scheduling 0
		.amdhsa_exception_fp_ieee_invalid_op 0
		.amdhsa_exception_fp_denorm_src 0
		.amdhsa_exception_fp_ieee_div_zero 0
		.amdhsa_exception_fp_ieee_overflow 0
		.amdhsa_exception_fp_ieee_underflow 0
		.amdhsa_exception_fp_ieee_inexact 0
		.amdhsa_exception_int_div_zero 0
	.end_amdhsa_kernel
	.section	.text._ZN7rocprim17ROCPRIM_400000_NS6detail17trampoline_kernelINS0_13select_configILj256ELj13ELNS0_17block_load_methodE3ELS4_3ELS4_3ELNS0_20block_scan_algorithmE0ELj4294967295EEENS1_25partition_config_selectorILNS1_17partition_subalgoE3EjNS0_10empty_typeEbEEZZNS1_14partition_implILS8_3ELb0ES6_jNS0_17counting_iteratorIjlEEPS9_SE_NS0_5tupleIJPjSE_EEENSF_IJSE_SE_EEES9_SG_JZNS1_25segmented_radix_sort_implINS0_14default_configELb0EPKhPhPKlPlN2at6native12_GLOBAL__N_18offset_tEEE10hipError_tPvRmT1_PNSt15iterator_traitsISY_E10value_typeET2_T3_PNSZ_IS14_E10value_typeET4_jRbjT5_S1A_jjP12ihipStream_tbEUljE_EEESV_SW_SX_S14_S18_S1A_T6_T7_T9_mT8_S1C_bDpT10_ENKUlT_T0_E_clISt17integral_constantIbLb0EES1P_EEDaS1K_S1L_EUlS1K_E_NS1_11comp_targetILNS1_3genE2ELNS1_11target_archE906ELNS1_3gpuE6ELNS1_3repE0EEENS1_30default_config_static_selectorELNS0_4arch9wavefront6targetE0EEEvSY_,"axG",@progbits,_ZN7rocprim17ROCPRIM_400000_NS6detail17trampoline_kernelINS0_13select_configILj256ELj13ELNS0_17block_load_methodE3ELS4_3ELS4_3ELNS0_20block_scan_algorithmE0ELj4294967295EEENS1_25partition_config_selectorILNS1_17partition_subalgoE3EjNS0_10empty_typeEbEEZZNS1_14partition_implILS8_3ELb0ES6_jNS0_17counting_iteratorIjlEEPS9_SE_NS0_5tupleIJPjSE_EEENSF_IJSE_SE_EEES9_SG_JZNS1_25segmented_radix_sort_implINS0_14default_configELb0EPKhPhPKlPlN2at6native12_GLOBAL__N_18offset_tEEE10hipError_tPvRmT1_PNSt15iterator_traitsISY_E10value_typeET2_T3_PNSZ_IS14_E10value_typeET4_jRbjT5_S1A_jjP12ihipStream_tbEUljE_EEESV_SW_SX_S14_S18_S1A_T6_T7_T9_mT8_S1C_bDpT10_ENKUlT_T0_E_clISt17integral_constantIbLb0EES1P_EEDaS1K_S1L_EUlS1K_E_NS1_11comp_targetILNS1_3genE2ELNS1_11target_archE906ELNS1_3gpuE6ELNS1_3repE0EEENS1_30default_config_static_selectorELNS0_4arch9wavefront6targetE0EEEvSY_,comdat
.Lfunc_end158:
	.size	_ZN7rocprim17ROCPRIM_400000_NS6detail17trampoline_kernelINS0_13select_configILj256ELj13ELNS0_17block_load_methodE3ELS4_3ELS4_3ELNS0_20block_scan_algorithmE0ELj4294967295EEENS1_25partition_config_selectorILNS1_17partition_subalgoE3EjNS0_10empty_typeEbEEZZNS1_14partition_implILS8_3ELb0ES6_jNS0_17counting_iteratorIjlEEPS9_SE_NS0_5tupleIJPjSE_EEENSF_IJSE_SE_EEES9_SG_JZNS1_25segmented_radix_sort_implINS0_14default_configELb0EPKhPhPKlPlN2at6native12_GLOBAL__N_18offset_tEEE10hipError_tPvRmT1_PNSt15iterator_traitsISY_E10value_typeET2_T3_PNSZ_IS14_E10value_typeET4_jRbjT5_S1A_jjP12ihipStream_tbEUljE_EEESV_SW_SX_S14_S18_S1A_T6_T7_T9_mT8_S1C_bDpT10_ENKUlT_T0_E_clISt17integral_constantIbLb0EES1P_EEDaS1K_S1L_EUlS1K_E_NS1_11comp_targetILNS1_3genE2ELNS1_11target_archE906ELNS1_3gpuE6ELNS1_3repE0EEENS1_30default_config_static_selectorELNS0_4arch9wavefront6targetE0EEEvSY_, .Lfunc_end158-_ZN7rocprim17ROCPRIM_400000_NS6detail17trampoline_kernelINS0_13select_configILj256ELj13ELNS0_17block_load_methodE3ELS4_3ELS4_3ELNS0_20block_scan_algorithmE0ELj4294967295EEENS1_25partition_config_selectorILNS1_17partition_subalgoE3EjNS0_10empty_typeEbEEZZNS1_14partition_implILS8_3ELb0ES6_jNS0_17counting_iteratorIjlEEPS9_SE_NS0_5tupleIJPjSE_EEENSF_IJSE_SE_EEES9_SG_JZNS1_25segmented_radix_sort_implINS0_14default_configELb0EPKhPhPKlPlN2at6native12_GLOBAL__N_18offset_tEEE10hipError_tPvRmT1_PNSt15iterator_traitsISY_E10value_typeET2_T3_PNSZ_IS14_E10value_typeET4_jRbjT5_S1A_jjP12ihipStream_tbEUljE_EEESV_SW_SX_S14_S18_S1A_T6_T7_T9_mT8_S1C_bDpT10_ENKUlT_T0_E_clISt17integral_constantIbLb0EES1P_EEDaS1K_S1L_EUlS1K_E_NS1_11comp_targetILNS1_3genE2ELNS1_11target_archE906ELNS1_3gpuE6ELNS1_3repE0EEENS1_30default_config_static_selectorELNS0_4arch9wavefront6targetE0EEEvSY_
                                        ; -- End function
	.set _ZN7rocprim17ROCPRIM_400000_NS6detail17trampoline_kernelINS0_13select_configILj256ELj13ELNS0_17block_load_methodE3ELS4_3ELS4_3ELNS0_20block_scan_algorithmE0ELj4294967295EEENS1_25partition_config_selectorILNS1_17partition_subalgoE3EjNS0_10empty_typeEbEEZZNS1_14partition_implILS8_3ELb0ES6_jNS0_17counting_iteratorIjlEEPS9_SE_NS0_5tupleIJPjSE_EEENSF_IJSE_SE_EEES9_SG_JZNS1_25segmented_radix_sort_implINS0_14default_configELb0EPKhPhPKlPlN2at6native12_GLOBAL__N_18offset_tEEE10hipError_tPvRmT1_PNSt15iterator_traitsISY_E10value_typeET2_T3_PNSZ_IS14_E10value_typeET4_jRbjT5_S1A_jjP12ihipStream_tbEUljE_EEESV_SW_SX_S14_S18_S1A_T6_T7_T9_mT8_S1C_bDpT10_ENKUlT_T0_E_clISt17integral_constantIbLb0EES1P_EEDaS1K_S1L_EUlS1K_E_NS1_11comp_targetILNS1_3genE2ELNS1_11target_archE906ELNS1_3gpuE6ELNS1_3repE0EEENS1_30default_config_static_selectorELNS0_4arch9wavefront6targetE0EEEvSY_.num_vgpr, 0
	.set _ZN7rocprim17ROCPRIM_400000_NS6detail17trampoline_kernelINS0_13select_configILj256ELj13ELNS0_17block_load_methodE3ELS4_3ELS4_3ELNS0_20block_scan_algorithmE0ELj4294967295EEENS1_25partition_config_selectorILNS1_17partition_subalgoE3EjNS0_10empty_typeEbEEZZNS1_14partition_implILS8_3ELb0ES6_jNS0_17counting_iteratorIjlEEPS9_SE_NS0_5tupleIJPjSE_EEENSF_IJSE_SE_EEES9_SG_JZNS1_25segmented_radix_sort_implINS0_14default_configELb0EPKhPhPKlPlN2at6native12_GLOBAL__N_18offset_tEEE10hipError_tPvRmT1_PNSt15iterator_traitsISY_E10value_typeET2_T3_PNSZ_IS14_E10value_typeET4_jRbjT5_S1A_jjP12ihipStream_tbEUljE_EEESV_SW_SX_S14_S18_S1A_T6_T7_T9_mT8_S1C_bDpT10_ENKUlT_T0_E_clISt17integral_constantIbLb0EES1P_EEDaS1K_S1L_EUlS1K_E_NS1_11comp_targetILNS1_3genE2ELNS1_11target_archE906ELNS1_3gpuE6ELNS1_3repE0EEENS1_30default_config_static_selectorELNS0_4arch9wavefront6targetE0EEEvSY_.num_agpr, 0
	.set _ZN7rocprim17ROCPRIM_400000_NS6detail17trampoline_kernelINS0_13select_configILj256ELj13ELNS0_17block_load_methodE3ELS4_3ELS4_3ELNS0_20block_scan_algorithmE0ELj4294967295EEENS1_25partition_config_selectorILNS1_17partition_subalgoE3EjNS0_10empty_typeEbEEZZNS1_14partition_implILS8_3ELb0ES6_jNS0_17counting_iteratorIjlEEPS9_SE_NS0_5tupleIJPjSE_EEENSF_IJSE_SE_EEES9_SG_JZNS1_25segmented_radix_sort_implINS0_14default_configELb0EPKhPhPKlPlN2at6native12_GLOBAL__N_18offset_tEEE10hipError_tPvRmT1_PNSt15iterator_traitsISY_E10value_typeET2_T3_PNSZ_IS14_E10value_typeET4_jRbjT5_S1A_jjP12ihipStream_tbEUljE_EEESV_SW_SX_S14_S18_S1A_T6_T7_T9_mT8_S1C_bDpT10_ENKUlT_T0_E_clISt17integral_constantIbLb0EES1P_EEDaS1K_S1L_EUlS1K_E_NS1_11comp_targetILNS1_3genE2ELNS1_11target_archE906ELNS1_3gpuE6ELNS1_3repE0EEENS1_30default_config_static_selectorELNS0_4arch9wavefront6targetE0EEEvSY_.numbered_sgpr, 0
	.set _ZN7rocprim17ROCPRIM_400000_NS6detail17trampoline_kernelINS0_13select_configILj256ELj13ELNS0_17block_load_methodE3ELS4_3ELS4_3ELNS0_20block_scan_algorithmE0ELj4294967295EEENS1_25partition_config_selectorILNS1_17partition_subalgoE3EjNS0_10empty_typeEbEEZZNS1_14partition_implILS8_3ELb0ES6_jNS0_17counting_iteratorIjlEEPS9_SE_NS0_5tupleIJPjSE_EEENSF_IJSE_SE_EEES9_SG_JZNS1_25segmented_radix_sort_implINS0_14default_configELb0EPKhPhPKlPlN2at6native12_GLOBAL__N_18offset_tEEE10hipError_tPvRmT1_PNSt15iterator_traitsISY_E10value_typeET2_T3_PNSZ_IS14_E10value_typeET4_jRbjT5_S1A_jjP12ihipStream_tbEUljE_EEESV_SW_SX_S14_S18_S1A_T6_T7_T9_mT8_S1C_bDpT10_ENKUlT_T0_E_clISt17integral_constantIbLb0EES1P_EEDaS1K_S1L_EUlS1K_E_NS1_11comp_targetILNS1_3genE2ELNS1_11target_archE906ELNS1_3gpuE6ELNS1_3repE0EEENS1_30default_config_static_selectorELNS0_4arch9wavefront6targetE0EEEvSY_.num_named_barrier, 0
	.set _ZN7rocprim17ROCPRIM_400000_NS6detail17trampoline_kernelINS0_13select_configILj256ELj13ELNS0_17block_load_methodE3ELS4_3ELS4_3ELNS0_20block_scan_algorithmE0ELj4294967295EEENS1_25partition_config_selectorILNS1_17partition_subalgoE3EjNS0_10empty_typeEbEEZZNS1_14partition_implILS8_3ELb0ES6_jNS0_17counting_iteratorIjlEEPS9_SE_NS0_5tupleIJPjSE_EEENSF_IJSE_SE_EEES9_SG_JZNS1_25segmented_radix_sort_implINS0_14default_configELb0EPKhPhPKlPlN2at6native12_GLOBAL__N_18offset_tEEE10hipError_tPvRmT1_PNSt15iterator_traitsISY_E10value_typeET2_T3_PNSZ_IS14_E10value_typeET4_jRbjT5_S1A_jjP12ihipStream_tbEUljE_EEESV_SW_SX_S14_S18_S1A_T6_T7_T9_mT8_S1C_bDpT10_ENKUlT_T0_E_clISt17integral_constantIbLb0EES1P_EEDaS1K_S1L_EUlS1K_E_NS1_11comp_targetILNS1_3genE2ELNS1_11target_archE906ELNS1_3gpuE6ELNS1_3repE0EEENS1_30default_config_static_selectorELNS0_4arch9wavefront6targetE0EEEvSY_.private_seg_size, 0
	.set _ZN7rocprim17ROCPRIM_400000_NS6detail17trampoline_kernelINS0_13select_configILj256ELj13ELNS0_17block_load_methodE3ELS4_3ELS4_3ELNS0_20block_scan_algorithmE0ELj4294967295EEENS1_25partition_config_selectorILNS1_17partition_subalgoE3EjNS0_10empty_typeEbEEZZNS1_14partition_implILS8_3ELb0ES6_jNS0_17counting_iteratorIjlEEPS9_SE_NS0_5tupleIJPjSE_EEENSF_IJSE_SE_EEES9_SG_JZNS1_25segmented_radix_sort_implINS0_14default_configELb0EPKhPhPKlPlN2at6native12_GLOBAL__N_18offset_tEEE10hipError_tPvRmT1_PNSt15iterator_traitsISY_E10value_typeET2_T3_PNSZ_IS14_E10value_typeET4_jRbjT5_S1A_jjP12ihipStream_tbEUljE_EEESV_SW_SX_S14_S18_S1A_T6_T7_T9_mT8_S1C_bDpT10_ENKUlT_T0_E_clISt17integral_constantIbLb0EES1P_EEDaS1K_S1L_EUlS1K_E_NS1_11comp_targetILNS1_3genE2ELNS1_11target_archE906ELNS1_3gpuE6ELNS1_3repE0EEENS1_30default_config_static_selectorELNS0_4arch9wavefront6targetE0EEEvSY_.uses_vcc, 0
	.set _ZN7rocprim17ROCPRIM_400000_NS6detail17trampoline_kernelINS0_13select_configILj256ELj13ELNS0_17block_load_methodE3ELS4_3ELS4_3ELNS0_20block_scan_algorithmE0ELj4294967295EEENS1_25partition_config_selectorILNS1_17partition_subalgoE3EjNS0_10empty_typeEbEEZZNS1_14partition_implILS8_3ELb0ES6_jNS0_17counting_iteratorIjlEEPS9_SE_NS0_5tupleIJPjSE_EEENSF_IJSE_SE_EEES9_SG_JZNS1_25segmented_radix_sort_implINS0_14default_configELb0EPKhPhPKlPlN2at6native12_GLOBAL__N_18offset_tEEE10hipError_tPvRmT1_PNSt15iterator_traitsISY_E10value_typeET2_T3_PNSZ_IS14_E10value_typeET4_jRbjT5_S1A_jjP12ihipStream_tbEUljE_EEESV_SW_SX_S14_S18_S1A_T6_T7_T9_mT8_S1C_bDpT10_ENKUlT_T0_E_clISt17integral_constantIbLb0EES1P_EEDaS1K_S1L_EUlS1K_E_NS1_11comp_targetILNS1_3genE2ELNS1_11target_archE906ELNS1_3gpuE6ELNS1_3repE0EEENS1_30default_config_static_selectorELNS0_4arch9wavefront6targetE0EEEvSY_.uses_flat_scratch, 0
	.set _ZN7rocprim17ROCPRIM_400000_NS6detail17trampoline_kernelINS0_13select_configILj256ELj13ELNS0_17block_load_methodE3ELS4_3ELS4_3ELNS0_20block_scan_algorithmE0ELj4294967295EEENS1_25partition_config_selectorILNS1_17partition_subalgoE3EjNS0_10empty_typeEbEEZZNS1_14partition_implILS8_3ELb0ES6_jNS0_17counting_iteratorIjlEEPS9_SE_NS0_5tupleIJPjSE_EEENSF_IJSE_SE_EEES9_SG_JZNS1_25segmented_radix_sort_implINS0_14default_configELb0EPKhPhPKlPlN2at6native12_GLOBAL__N_18offset_tEEE10hipError_tPvRmT1_PNSt15iterator_traitsISY_E10value_typeET2_T3_PNSZ_IS14_E10value_typeET4_jRbjT5_S1A_jjP12ihipStream_tbEUljE_EEESV_SW_SX_S14_S18_S1A_T6_T7_T9_mT8_S1C_bDpT10_ENKUlT_T0_E_clISt17integral_constantIbLb0EES1P_EEDaS1K_S1L_EUlS1K_E_NS1_11comp_targetILNS1_3genE2ELNS1_11target_archE906ELNS1_3gpuE6ELNS1_3repE0EEENS1_30default_config_static_selectorELNS0_4arch9wavefront6targetE0EEEvSY_.has_dyn_sized_stack, 0
	.set _ZN7rocprim17ROCPRIM_400000_NS6detail17trampoline_kernelINS0_13select_configILj256ELj13ELNS0_17block_load_methodE3ELS4_3ELS4_3ELNS0_20block_scan_algorithmE0ELj4294967295EEENS1_25partition_config_selectorILNS1_17partition_subalgoE3EjNS0_10empty_typeEbEEZZNS1_14partition_implILS8_3ELb0ES6_jNS0_17counting_iteratorIjlEEPS9_SE_NS0_5tupleIJPjSE_EEENSF_IJSE_SE_EEES9_SG_JZNS1_25segmented_radix_sort_implINS0_14default_configELb0EPKhPhPKlPlN2at6native12_GLOBAL__N_18offset_tEEE10hipError_tPvRmT1_PNSt15iterator_traitsISY_E10value_typeET2_T3_PNSZ_IS14_E10value_typeET4_jRbjT5_S1A_jjP12ihipStream_tbEUljE_EEESV_SW_SX_S14_S18_S1A_T6_T7_T9_mT8_S1C_bDpT10_ENKUlT_T0_E_clISt17integral_constantIbLb0EES1P_EEDaS1K_S1L_EUlS1K_E_NS1_11comp_targetILNS1_3genE2ELNS1_11target_archE906ELNS1_3gpuE6ELNS1_3repE0EEENS1_30default_config_static_selectorELNS0_4arch9wavefront6targetE0EEEvSY_.has_recursion, 0
	.set _ZN7rocprim17ROCPRIM_400000_NS6detail17trampoline_kernelINS0_13select_configILj256ELj13ELNS0_17block_load_methodE3ELS4_3ELS4_3ELNS0_20block_scan_algorithmE0ELj4294967295EEENS1_25partition_config_selectorILNS1_17partition_subalgoE3EjNS0_10empty_typeEbEEZZNS1_14partition_implILS8_3ELb0ES6_jNS0_17counting_iteratorIjlEEPS9_SE_NS0_5tupleIJPjSE_EEENSF_IJSE_SE_EEES9_SG_JZNS1_25segmented_radix_sort_implINS0_14default_configELb0EPKhPhPKlPlN2at6native12_GLOBAL__N_18offset_tEEE10hipError_tPvRmT1_PNSt15iterator_traitsISY_E10value_typeET2_T3_PNSZ_IS14_E10value_typeET4_jRbjT5_S1A_jjP12ihipStream_tbEUljE_EEESV_SW_SX_S14_S18_S1A_T6_T7_T9_mT8_S1C_bDpT10_ENKUlT_T0_E_clISt17integral_constantIbLb0EES1P_EEDaS1K_S1L_EUlS1K_E_NS1_11comp_targetILNS1_3genE2ELNS1_11target_archE906ELNS1_3gpuE6ELNS1_3repE0EEENS1_30default_config_static_selectorELNS0_4arch9wavefront6targetE0EEEvSY_.has_indirect_call, 0
	.section	.AMDGPU.csdata,"",@progbits
; Kernel info:
; codeLenInByte = 0
; TotalNumSgprs: 0
; NumVgprs: 0
; ScratchSize: 0
; MemoryBound: 0
; FloatMode: 240
; IeeeMode: 1
; LDSByteSize: 0 bytes/workgroup (compile time only)
; SGPRBlocks: 0
; VGPRBlocks: 0
; NumSGPRsForWavesPerEU: 1
; NumVGPRsForWavesPerEU: 1
; Occupancy: 16
; WaveLimiterHint : 0
; COMPUTE_PGM_RSRC2:SCRATCH_EN: 0
; COMPUTE_PGM_RSRC2:USER_SGPR: 2
; COMPUTE_PGM_RSRC2:TRAP_HANDLER: 0
; COMPUTE_PGM_RSRC2:TGID_X_EN: 1
; COMPUTE_PGM_RSRC2:TGID_Y_EN: 0
; COMPUTE_PGM_RSRC2:TGID_Z_EN: 0
; COMPUTE_PGM_RSRC2:TIDIG_COMP_CNT: 0
	.section	.text._ZN7rocprim17ROCPRIM_400000_NS6detail17trampoline_kernelINS0_13select_configILj256ELj13ELNS0_17block_load_methodE3ELS4_3ELS4_3ELNS0_20block_scan_algorithmE0ELj4294967295EEENS1_25partition_config_selectorILNS1_17partition_subalgoE3EjNS0_10empty_typeEbEEZZNS1_14partition_implILS8_3ELb0ES6_jNS0_17counting_iteratorIjlEEPS9_SE_NS0_5tupleIJPjSE_EEENSF_IJSE_SE_EEES9_SG_JZNS1_25segmented_radix_sort_implINS0_14default_configELb0EPKhPhPKlPlN2at6native12_GLOBAL__N_18offset_tEEE10hipError_tPvRmT1_PNSt15iterator_traitsISY_E10value_typeET2_T3_PNSZ_IS14_E10value_typeET4_jRbjT5_S1A_jjP12ihipStream_tbEUljE_EEESV_SW_SX_S14_S18_S1A_T6_T7_T9_mT8_S1C_bDpT10_ENKUlT_T0_E_clISt17integral_constantIbLb0EES1P_EEDaS1K_S1L_EUlS1K_E_NS1_11comp_targetILNS1_3genE10ELNS1_11target_archE1200ELNS1_3gpuE4ELNS1_3repE0EEENS1_30default_config_static_selectorELNS0_4arch9wavefront6targetE0EEEvSY_,"axG",@progbits,_ZN7rocprim17ROCPRIM_400000_NS6detail17trampoline_kernelINS0_13select_configILj256ELj13ELNS0_17block_load_methodE3ELS4_3ELS4_3ELNS0_20block_scan_algorithmE0ELj4294967295EEENS1_25partition_config_selectorILNS1_17partition_subalgoE3EjNS0_10empty_typeEbEEZZNS1_14partition_implILS8_3ELb0ES6_jNS0_17counting_iteratorIjlEEPS9_SE_NS0_5tupleIJPjSE_EEENSF_IJSE_SE_EEES9_SG_JZNS1_25segmented_radix_sort_implINS0_14default_configELb0EPKhPhPKlPlN2at6native12_GLOBAL__N_18offset_tEEE10hipError_tPvRmT1_PNSt15iterator_traitsISY_E10value_typeET2_T3_PNSZ_IS14_E10value_typeET4_jRbjT5_S1A_jjP12ihipStream_tbEUljE_EEESV_SW_SX_S14_S18_S1A_T6_T7_T9_mT8_S1C_bDpT10_ENKUlT_T0_E_clISt17integral_constantIbLb0EES1P_EEDaS1K_S1L_EUlS1K_E_NS1_11comp_targetILNS1_3genE10ELNS1_11target_archE1200ELNS1_3gpuE4ELNS1_3repE0EEENS1_30default_config_static_selectorELNS0_4arch9wavefront6targetE0EEEvSY_,comdat
	.globl	_ZN7rocprim17ROCPRIM_400000_NS6detail17trampoline_kernelINS0_13select_configILj256ELj13ELNS0_17block_load_methodE3ELS4_3ELS4_3ELNS0_20block_scan_algorithmE0ELj4294967295EEENS1_25partition_config_selectorILNS1_17partition_subalgoE3EjNS0_10empty_typeEbEEZZNS1_14partition_implILS8_3ELb0ES6_jNS0_17counting_iteratorIjlEEPS9_SE_NS0_5tupleIJPjSE_EEENSF_IJSE_SE_EEES9_SG_JZNS1_25segmented_radix_sort_implINS0_14default_configELb0EPKhPhPKlPlN2at6native12_GLOBAL__N_18offset_tEEE10hipError_tPvRmT1_PNSt15iterator_traitsISY_E10value_typeET2_T3_PNSZ_IS14_E10value_typeET4_jRbjT5_S1A_jjP12ihipStream_tbEUljE_EEESV_SW_SX_S14_S18_S1A_T6_T7_T9_mT8_S1C_bDpT10_ENKUlT_T0_E_clISt17integral_constantIbLb0EES1P_EEDaS1K_S1L_EUlS1K_E_NS1_11comp_targetILNS1_3genE10ELNS1_11target_archE1200ELNS1_3gpuE4ELNS1_3repE0EEENS1_30default_config_static_selectorELNS0_4arch9wavefront6targetE0EEEvSY_ ; -- Begin function _ZN7rocprim17ROCPRIM_400000_NS6detail17trampoline_kernelINS0_13select_configILj256ELj13ELNS0_17block_load_methodE3ELS4_3ELS4_3ELNS0_20block_scan_algorithmE0ELj4294967295EEENS1_25partition_config_selectorILNS1_17partition_subalgoE3EjNS0_10empty_typeEbEEZZNS1_14partition_implILS8_3ELb0ES6_jNS0_17counting_iteratorIjlEEPS9_SE_NS0_5tupleIJPjSE_EEENSF_IJSE_SE_EEES9_SG_JZNS1_25segmented_radix_sort_implINS0_14default_configELb0EPKhPhPKlPlN2at6native12_GLOBAL__N_18offset_tEEE10hipError_tPvRmT1_PNSt15iterator_traitsISY_E10value_typeET2_T3_PNSZ_IS14_E10value_typeET4_jRbjT5_S1A_jjP12ihipStream_tbEUljE_EEESV_SW_SX_S14_S18_S1A_T6_T7_T9_mT8_S1C_bDpT10_ENKUlT_T0_E_clISt17integral_constantIbLb0EES1P_EEDaS1K_S1L_EUlS1K_E_NS1_11comp_targetILNS1_3genE10ELNS1_11target_archE1200ELNS1_3gpuE4ELNS1_3repE0EEENS1_30default_config_static_selectorELNS0_4arch9wavefront6targetE0EEEvSY_
	.p2align	8
	.type	_ZN7rocprim17ROCPRIM_400000_NS6detail17trampoline_kernelINS0_13select_configILj256ELj13ELNS0_17block_load_methodE3ELS4_3ELS4_3ELNS0_20block_scan_algorithmE0ELj4294967295EEENS1_25partition_config_selectorILNS1_17partition_subalgoE3EjNS0_10empty_typeEbEEZZNS1_14partition_implILS8_3ELb0ES6_jNS0_17counting_iteratorIjlEEPS9_SE_NS0_5tupleIJPjSE_EEENSF_IJSE_SE_EEES9_SG_JZNS1_25segmented_radix_sort_implINS0_14default_configELb0EPKhPhPKlPlN2at6native12_GLOBAL__N_18offset_tEEE10hipError_tPvRmT1_PNSt15iterator_traitsISY_E10value_typeET2_T3_PNSZ_IS14_E10value_typeET4_jRbjT5_S1A_jjP12ihipStream_tbEUljE_EEESV_SW_SX_S14_S18_S1A_T6_T7_T9_mT8_S1C_bDpT10_ENKUlT_T0_E_clISt17integral_constantIbLb0EES1P_EEDaS1K_S1L_EUlS1K_E_NS1_11comp_targetILNS1_3genE10ELNS1_11target_archE1200ELNS1_3gpuE4ELNS1_3repE0EEENS1_30default_config_static_selectorELNS0_4arch9wavefront6targetE0EEEvSY_,@function
_ZN7rocprim17ROCPRIM_400000_NS6detail17trampoline_kernelINS0_13select_configILj256ELj13ELNS0_17block_load_methodE3ELS4_3ELS4_3ELNS0_20block_scan_algorithmE0ELj4294967295EEENS1_25partition_config_selectorILNS1_17partition_subalgoE3EjNS0_10empty_typeEbEEZZNS1_14partition_implILS8_3ELb0ES6_jNS0_17counting_iteratorIjlEEPS9_SE_NS0_5tupleIJPjSE_EEENSF_IJSE_SE_EEES9_SG_JZNS1_25segmented_radix_sort_implINS0_14default_configELb0EPKhPhPKlPlN2at6native12_GLOBAL__N_18offset_tEEE10hipError_tPvRmT1_PNSt15iterator_traitsISY_E10value_typeET2_T3_PNSZ_IS14_E10value_typeET4_jRbjT5_S1A_jjP12ihipStream_tbEUljE_EEESV_SW_SX_S14_S18_S1A_T6_T7_T9_mT8_S1C_bDpT10_ENKUlT_T0_E_clISt17integral_constantIbLb0EES1P_EEDaS1K_S1L_EUlS1K_E_NS1_11comp_targetILNS1_3genE10ELNS1_11target_archE1200ELNS1_3gpuE4ELNS1_3repE0EEENS1_30default_config_static_selectorELNS0_4arch9wavefront6targetE0EEEvSY_: ; @_ZN7rocprim17ROCPRIM_400000_NS6detail17trampoline_kernelINS0_13select_configILj256ELj13ELNS0_17block_load_methodE3ELS4_3ELS4_3ELNS0_20block_scan_algorithmE0ELj4294967295EEENS1_25partition_config_selectorILNS1_17partition_subalgoE3EjNS0_10empty_typeEbEEZZNS1_14partition_implILS8_3ELb0ES6_jNS0_17counting_iteratorIjlEEPS9_SE_NS0_5tupleIJPjSE_EEENSF_IJSE_SE_EEES9_SG_JZNS1_25segmented_radix_sort_implINS0_14default_configELb0EPKhPhPKlPlN2at6native12_GLOBAL__N_18offset_tEEE10hipError_tPvRmT1_PNSt15iterator_traitsISY_E10value_typeET2_T3_PNSZ_IS14_E10value_typeET4_jRbjT5_S1A_jjP12ihipStream_tbEUljE_EEESV_SW_SX_S14_S18_S1A_T6_T7_T9_mT8_S1C_bDpT10_ENKUlT_T0_E_clISt17integral_constantIbLb0EES1P_EEDaS1K_S1L_EUlS1K_E_NS1_11comp_targetILNS1_3genE10ELNS1_11target_archE1200ELNS1_3gpuE4ELNS1_3repE0EEENS1_30default_config_static_selectorELNS0_4arch9wavefront6targetE0EEEvSY_
; %bb.0:
	s_clause 0x6
	s_load_b32 s2, s[0:1], 0x70
	s_load_b128 s[8:11], s[0:1], 0x48
	s_load_b64 s[12:13], s[0:1], 0x10
	s_load_b64 s[14:15], s[0:1], 0x58
	s_load_b32 s20, s[0:1], 0x8
	s_load_b32 s3, s[0:1], 0x88
	s_load_b128 s[4:7], s[0:1], 0x78
	s_mov_b32 s17, 0
	v_lshlrev_b32_e32 v42, 2, v0
	s_wait_kmcnt 0x0
	s_mul_i32 s16, s2, 0xd00
	s_load_b64 s[18:19], s[10:11], 0x0
	s_add_co_i32 s10, s16, s12
	s_add_co_i32 s2, s2, -1
	s_sub_co_i32 s23, s14, s10
	s_add_nc_u64 s[10:11], s[12:13], s[16:17]
	s_addk_co_i32 s23, 0xd00
	s_cmp_eq_u32 ttmp9, s2
	s_mul_i32 s16, ttmp9, 0xd00
	s_cselect_b32 s22, -1, 0
	s_cmp_lg_u32 ttmp9, s2
	v_cmp_gt_u64_e64 s10, s[14:15], s[10:11]
	s_cselect_b32 s2, -1, 0
	s_add_co_i32 s11, s20, s16
	s_mov_b32 s17, -1
	s_wait_alu 0xfffe
	s_add_co_i32 s11, s11, s12
	s_wait_alu 0xfffe
	v_add_nc_u32_e32 v1, s11, v0
	s_or_b32 s10, s2, s10
	s_wait_alu 0xfffe
	s_and_b32 vcc_lo, exec_lo, s10
	s_cbranch_vccz .LBB159_2
; %bb.1:
	v_add_nc_u32_e32 v2, 0x100, v1
	v_add_nc_u32_e32 v3, 0x200, v1
	;; [unrolled: 1-line block ×12, first 2 shown]
	ds_store_2addr_stride64_b32 v42, v1, v2 offset1:4
	ds_store_2addr_stride64_b32 v42, v3, v4 offset0:8 offset1:12
	ds_store_2addr_stride64_b32 v42, v5, v6 offset0:16 offset1:20
	;; [unrolled: 1-line block ×5, first 2 shown]
	ds_store_b32 v42, v13 offset:12288
	s_wait_dscnt 0x0
	s_barrier_signal -1
	s_mov_b32 s17, 0
	s_barrier_wait -1
.LBB159_2:
	v_cmp_gt_u32_e64 s2, s23, v0
	v_or_b32_e32 v41, 0x100, v0
	v_or_b32_e32 v40, 0x200, v0
	;; [unrolled: 1-line block ×12, first 2 shown]
	s_and_not1_b32 vcc_lo, exec_lo, s17
	s_cbranch_vccnz .LBB159_4
; %bb.3:
	v_cmp_gt_u32_e32 vcc_lo, s23, v41
	v_add_nc_u32_e32 v3, s11, v40
	v_add_nc_u32_e32 v2, s11, v41
	v_cndmask_b32_e64 v1, 0, v1, s2
	s_delay_alu instid0(VALU_DEP_2)
	v_cndmask_b32_e32 v2, 0, v2, vcc_lo
	v_cmp_gt_u32_e32 vcc_lo, s23, v40
	s_wait_alu 0xfffd
	v_cndmask_b32_e32 v3, 0, v3, vcc_lo
	v_cmp_gt_u32_e32 vcc_lo, s23, v39
	v_add_nc_u32_e32 v5, s11, v38
	v_add_nc_u32_e32 v4, s11, v39
	s_wait_alu 0xfffd
	s_delay_alu instid0(VALU_DEP_1)
	v_cndmask_b32_e32 v4, 0, v4, vcc_lo
	v_cmp_gt_u32_e32 vcc_lo, s23, v38
	s_wait_alu 0xfffd
	v_cndmask_b32_e32 v5, 0, v5, vcc_lo
	v_cmp_gt_u32_e32 vcc_lo, s23, v37
	v_add_nc_u32_e32 v7, s11, v36
	v_add_nc_u32_e32 v6, s11, v37
	s_wait_alu 0xfffd
	s_delay_alu instid0(VALU_DEP_1)
	;; [unrolled: 9-line block ×5, first 2 shown]
	v_cndmask_b32_e32 v12, 0, v12, vcc_lo
	v_cmp_gt_u32_e32 vcc_lo, s23, v30
	s_wait_alu 0xfffd
	v_cndmask_b32_e32 v13, 0, v13, vcc_lo
	ds_store_2addr_stride64_b32 v42, v1, v2 offset1:4
	ds_store_2addr_stride64_b32 v42, v3, v4 offset0:8 offset1:12
	ds_store_2addr_stride64_b32 v42, v5, v6 offset0:16 offset1:20
	;; [unrolled: 1-line block ×5, first 2 shown]
	ds_store_b32 v42, v13 offset:12288
	s_wait_dscnt 0x0
	s_barrier_signal -1
	s_barrier_wait -1
.LBB159_4:
	v_mul_u32_u24_e32 v45, 13, v0
	global_inv scope:SCOPE_SE
	v_cndmask_b32_e64 v43, 0, 1, s10
	s_and_not1_b32 vcc_lo, exec_lo, s10
	v_lshlrev_b32_e32 v1, 2, v45
	ds_load_2addr_b32 v[26:27], v1 offset0:2 offset1:3
	ds_load_2addr_b32 v[22:23], v1 offset0:6 offset1:7
	;; [unrolled: 1-line block ×3, first 2 shown]
	ds_load_2addr_b32 v[28:29], v1 offset1:1
	ds_load_2addr_b32 v[18:19], v1 offset0:10 offset1:11
	ds_load_b32 v44, v1 offset:48
	ds_load_2addr_b32 v[20:21], v1 offset0:8 offset1:9
	s_wait_loadcnt_dscnt 0x0
	s_barrier_signal -1
	s_barrier_wait -1
	global_inv scope:SCOPE_SE
	s_wait_alu 0xfffe
	s_cbranch_vccnz .LBB159_6
; %bb.5:
	v_add_nc_u32_e32 v1, s5, v27
	v_add_nc_u32_e32 v2, s7, v27
	;; [unrolled: 1-line block ×5, first 2 shown]
	v_mul_lo_u32 v1, v1, s4
	v_mul_lo_u32 v2, v2, s6
	v_add_nc_u32_e32 v8, s7, v26
	v_add_nc_u32_e32 v3, s5, v29
	;; [unrolled: 1-line block ×3, first 2 shown]
	v_mul_lo_u32 v5, v5, s4
	v_mul_lo_u32 v4, v4, s4
	v_add_nc_u32_e32 v9, s5, v24
	v_mul_lo_u32 v3, v3, s4
	v_sub_nc_u32_e32 v1, v1, v2
	v_mul_lo_u32 v2, v7, s6
	v_mul_lo_u32 v7, v8, s6
	;; [unrolled: 1-line block ×3, first 2 shown]
	v_add_nc_u32_e32 v8, s5, v25
	v_add_nc_u32_e32 v10, s7, v24
	v_mul_lo_u32 v9, v9, s4
	v_cmp_lt_u32_e32 vcc_lo, s3, v1
	v_add_nc_u32_e32 v14, s7, v19
	v_sub_nc_u32_e32 v2, v4, v2
	v_sub_nc_u32_e32 v4, v5, v7
	v_add_nc_u32_e32 v5, s7, v25
	v_sub_nc_u32_e32 v3, v3, v6
	v_add_nc_u32_e32 v6, s5, v23
	v_add_nc_u32_e32 v7, s7, v23
	v_mul_lo_u32 v8, v8, s4
	v_mul_lo_u32 v5, v5, s6
	;; [unrolled: 1-line block ×5, first 2 shown]
	s_wait_alu 0xfffd
	v_cndmask_b32_e64 v1, 0, 1, vcc_lo
	v_cmp_lt_u32_e32 vcc_lo, s3, v3
	v_mul_lo_u32 v14, v14, s6
	v_add_nc_u32_e32 v15, s7, v21
	v_sub_nc_u32_e32 v5, v8, v5
	v_add_nc_u32_e32 v8, s7, v22
	s_wait_alu 0xfffd
	v_cndmask_b32_e64 v3, 0, 1, vcc_lo
	v_sub_nc_u32_e32 v6, v6, v7
	v_mul_lo_u32 v15, v15, s6
	v_cmp_lt_u32_e32 vcc_lo, s3, v5
	v_mul_lo_u32 v7, v8, s6
	v_sub_nc_u32_e32 v8, v9, v10
	v_add_nc_u32_e32 v9, s5, v19
	v_add_nc_u32_e32 v10, s5, v21
	s_wait_alu 0xfffd
	v_cndmask_b32_e64 v5, 0, 1, vcc_lo
	v_cmp_lt_u32_e32 vcc_lo, s3, v6
	v_add_nc_u32_e32 v11, s5, v22
	v_mul_lo_u32 v9, v9, s4
	v_mul_lo_u32 v10, v10, s4
	v_add_nc_u32_e32 v12, s5, v20
	s_wait_alu 0xfffd
	v_cndmask_b32_e64 v6, 0, 1, vcc_lo
	v_mul_lo_u32 v11, v11, s4
	v_add_nc_u32_e32 v16, s7, v20
	v_lshlrev_b16 v3, 8, v3
	v_add_nc_u32_e32 v13, s5, v18
	v_sub_nc_u32_e32 v9, v9, v14
	v_sub_nc_u32_e32 v10, v10, v15
	v_add_nc_u32_e32 v17, s7, v18
	v_mul_lo_u32 v12, v12, s4
	v_mul_lo_u32 v16, v16, s6
	v_cmp_lt_u32_e32 vcc_lo, s3, v9
	v_sub_nc_u32_e32 v7, v11, v7
	v_lshrrev_b32_e32 v3, 8, v3
	v_mul_lo_u32 v11, v13, s4
	v_mul_lo_u32 v13, v17, s6
	s_wait_alu 0xfffd
	v_cndmask_b32_e64 v9, 0, 1, vcc_lo
	v_cmp_lt_u32_e32 vcc_lo, s3, v2
	v_sub_nc_u32_e32 v12, v12, v16
	v_lshlrev_b16 v3, 8, v3
	v_lshlrev_b16 v1, 8, v1
	;; [unrolled: 1-line block ×3, first 2 shown]
	s_wait_alu 0xfffd
	v_cndmask_b32_e64 v2, 0, 1, vcc_lo
	v_cmp_lt_u32_e32 vcc_lo, s3, v10
	v_sub_nc_u32_e32 v11, v11, v13
	v_add_nc_u32_e32 v14, s5, v44
	v_add_nc_u32_e32 v15, s7, v44
	v_or_b32_e32 v2, v2, v3
	s_wait_alu 0xfffd
	v_cndmask_b32_e64 v10, 0, 1, vcc_lo
	v_cmp_lt_u32_e32 vcc_lo, s3, v4
	v_lshlrev_b16 v3, 8, v9
	v_lshrrev_b32_e32 v5, 8, v5
	v_lshrrev_b32_e32 v1, 8, v1
	v_lshlrev_b16 v9, 8, v10
	s_wait_alu 0xfffd
	v_cndmask_b32_e64 v4, 0, 1, vcc_lo
	v_cmp_lt_u32_e32 vcc_lo, s3, v8
	v_lshrrev_b32_e32 v3, 8, v3
	v_mul_lo_u32 v14, v14, s4
	v_lshrrev_b32_e32 v9, 8, v9
	v_mul_lo_u32 v15, v15, s6
	s_wait_alu 0xfffd
	v_cndmask_b32_e64 v8, 0, 1, vcc_lo
	v_cmp_lt_u32_e32 vcc_lo, s3, v7
	v_lshlrev_b16 v6, 8, v6
	v_lshlrev_b16 v1, 8, v1
	;; [unrolled: 1-line block ×4, first 2 shown]
	s_wait_alu 0xfffd
	v_cndmask_b32_e64 v7, 0, 1, vcc_lo
	v_cmp_lt_u32_e32 vcc_lo, s3, v12
	v_lshlrev_b16 v3, 8, v3
	v_sub_nc_u32_e32 v10, v14, v15
	v_or_b32_e32 v1, v4, v1
	v_or_b32_e32 v4, v8, v5
	s_wait_alu 0xfffd
	v_cndmask_b32_e64 v12, 0, 1, vcc_lo
	v_cmp_lt_u32_e32 vcc_lo, s3, v11
	v_or_b32_e32 v5, v7, v6
	v_and_b32_e32 v2, 0xffff, v2
	v_lshlrev_b32_e32 v1, 16, v1
	v_or_b32_e32 v6, v12, v9
	s_wait_alu 0xfffd
	v_cndmask_b32_e64 v11, 0, 1, vcc_lo
	v_and_b32_e32 v4, 0xffff, v4
	v_lshlrev_b32_e32 v5, 16, v5
	v_cmp_lt_u32_e32 vcc_lo, s3, v10
	v_and_b32_e32 v6, 0xffff, v6
	v_or_b32_e32 v3, v11, v3
	v_or_b32_e32 v51, v2, v1
	;; [unrolled: 1-line block ×3, first 2 shown]
	s_wait_alu 0xfffd
	v_cndmask_b32_e64 v46, 0, 1, vcc_lo
	v_lshlrev_b32_e32 v3, 16, v3
	s_delay_alu instid0(VALU_DEP_1)
	v_or_b32_e32 v47, v6, v3
	s_clause 0x1
	s_load_b64 s[10:11], s[0:1], 0x28
	s_load_b64 s[20:21], s[0:1], 0x68
	s_cbranch_execz .LBB159_7
	s_branch .LBB159_34
.LBB159_6:
                                        ; implicit-def: $vgpr46
                                        ; implicit-def: $vgpr47
                                        ; implicit-def: $vgpr49
                                        ; implicit-def: $vgpr51
	s_clause 0x1
	s_load_b64 s[10:11], s[0:1], 0x28
	s_load_b64 s[20:21], s[0:1], 0x68
.LBB159_7:
	v_dual_mov_b32 v2, 0 :: v_dual_mov_b32 v1, 0
	s_mov_b32 s0, exec_lo
	v_cmpx_gt_u32_e64 s23, v45
	s_cbranch_execz .LBB159_9
; %bb.8:
	v_add_nc_u32_e32 v1, s5, v28
	v_add_nc_u32_e32 v3, s7, v28
	s_delay_alu instid0(VALU_DEP_2) | instskip(NEXT) | instid1(VALU_DEP_2)
	v_mul_lo_u32 v1, v1, s4
	v_mul_lo_u32 v3, v3, s6
	s_delay_alu instid0(VALU_DEP_1) | instskip(NEXT) | instid1(VALU_DEP_1)
	v_sub_nc_u32_e32 v1, v1, v3
	v_cmp_lt_u32_e32 vcc_lo, s3, v1
	s_wait_alu 0xfffd
	v_cndmask_b32_e64 v1, 0, 1, vcc_lo
.LBB159_9:
	s_or_b32 exec_lo, exec_lo, s0
	v_add_nc_u32_e32 v3, 1, v45
	s_mov_b32 s0, exec_lo
	s_delay_alu instid0(VALU_DEP_1)
	v_cmpx_gt_u32_e64 s23, v3
	s_cbranch_execz .LBB159_11
; %bb.10:
	v_add_nc_u32_e32 v2, s5, v29
	v_add_nc_u32_e32 v3, s7, v29
	s_delay_alu instid0(VALU_DEP_2) | instskip(NEXT) | instid1(VALU_DEP_2)
	v_mul_lo_u32 v2, v2, s4
	v_mul_lo_u32 v3, v3, s6
	s_delay_alu instid0(VALU_DEP_1) | instskip(NEXT) | instid1(VALU_DEP_1)
	v_sub_nc_u32_e32 v2, v2, v3
	v_cmp_lt_u32_e32 vcc_lo, s3, v2
	s_wait_alu 0xfffd
	v_cndmask_b32_e64 v2, 0, 1, vcc_lo
.LBB159_11:
	s_or_b32 exec_lo, exec_lo, s0
	v_dual_mov_b32 v4, 0 :: v_dual_add_nc_u32 v3, 2, v45
	s_delay_alu instid0(VALU_DEP_1)
	v_cmp_gt_u32_e32 vcc_lo, s23, v3
	v_mov_b32_e32 v3, 0
	s_and_saveexec_b32 s0, vcc_lo
	s_cbranch_execz .LBB159_13
; %bb.12:
	v_add_nc_u32_e32 v3, s5, v26
	v_add_nc_u32_e32 v5, s7, v26
	s_delay_alu instid0(VALU_DEP_2) | instskip(NEXT) | instid1(VALU_DEP_2)
	v_mul_lo_u32 v3, v3, s4
	v_mul_lo_u32 v5, v5, s6
	s_delay_alu instid0(VALU_DEP_1) | instskip(NEXT) | instid1(VALU_DEP_1)
	v_sub_nc_u32_e32 v3, v3, v5
	v_cmp_lt_u32_e32 vcc_lo, s3, v3
	s_wait_alu 0xfffd
	v_cndmask_b32_e64 v3, 0, 1, vcc_lo
.LBB159_13:
	s_or_b32 exec_lo, exec_lo, s0
	v_add_nc_u32_e32 v5, 3, v45
	s_mov_b32 s0, exec_lo
	s_delay_alu instid0(VALU_DEP_1)
	v_cmpx_gt_u32_e64 s23, v5
	s_cbranch_execz .LBB159_15
; %bb.14:
	v_add_nc_u32_e32 v4, s5, v27
	v_add_nc_u32_e32 v5, s7, v27
	s_delay_alu instid0(VALU_DEP_2) | instskip(NEXT) | instid1(VALU_DEP_2)
	v_mul_lo_u32 v4, v4, s4
	v_mul_lo_u32 v5, v5, s6
	s_delay_alu instid0(VALU_DEP_1) | instskip(NEXT) | instid1(VALU_DEP_1)
	v_sub_nc_u32_e32 v4, v4, v5
	v_cmp_lt_u32_e32 vcc_lo, s3, v4
	s_wait_alu 0xfffd
	v_cndmask_b32_e64 v4, 0, 1, vcc_lo
.LBB159_15:
	s_or_b32 exec_lo, exec_lo, s0
	v_dual_mov_b32 v6, 0 :: v_dual_add_nc_u32 v5, 4, v45
	s_delay_alu instid0(VALU_DEP_1)
	v_cmp_gt_u32_e32 vcc_lo, s23, v5
	v_mov_b32_e32 v5, 0
	s_and_saveexec_b32 s0, vcc_lo
	;; [unrolled: 37-line block ×5, first 2 shown]
	s_cbranch_execz .LBB159_29
; %bb.28:
	v_add_nc_u32_e32 v11, s5, v18
	v_add_nc_u32_e32 v13, s7, v18
	s_delay_alu instid0(VALU_DEP_2) | instskip(NEXT) | instid1(VALU_DEP_2)
	v_mul_lo_u32 v11, v11, s4
	v_mul_lo_u32 v13, v13, s6
	s_delay_alu instid0(VALU_DEP_1) | instskip(NEXT) | instid1(VALU_DEP_1)
	v_sub_nc_u32_e32 v11, v11, v13
	v_cmp_lt_u32_e32 vcc_lo, s3, v11
	s_wait_alu 0xfffd
	v_cndmask_b32_e64 v11, 0, 1, vcc_lo
.LBB159_29:
	s_or_b32 exec_lo, exec_lo, s0
	v_add_nc_u32_e32 v13, 11, v45
	s_mov_b32 s0, exec_lo
	s_delay_alu instid0(VALU_DEP_1)
	v_cmpx_gt_u32_e64 s23, v13
	s_cbranch_execz .LBB159_31
; %bb.30:
	v_add_nc_u32_e32 v12, s5, v19
	v_add_nc_u32_e32 v13, s7, v19
	s_delay_alu instid0(VALU_DEP_2) | instskip(NEXT) | instid1(VALU_DEP_2)
	v_mul_lo_u32 v12, v12, s4
	v_mul_lo_u32 v13, v13, s6
	s_delay_alu instid0(VALU_DEP_1) | instskip(NEXT) | instid1(VALU_DEP_1)
	v_sub_nc_u32_e32 v12, v12, v13
	v_cmp_lt_u32_e32 vcc_lo, s3, v12
	s_wait_alu 0xfffd
	v_cndmask_b32_e64 v12, 0, 1, vcc_lo
.LBB159_31:
	s_or_b32 exec_lo, exec_lo, s0
	v_dual_mov_b32 v46, 0 :: v_dual_add_nc_u32 v13, 12, v45
	s_mov_b32 s0, exec_lo
	s_delay_alu instid0(VALU_DEP_1)
	v_cmpx_gt_u32_e64 s23, v13
	s_cbranch_execz .LBB159_33
; %bb.32:
	v_add_nc_u32_e32 v13, s5, v44
	v_add_nc_u32_e32 v14, s7, v44
	s_delay_alu instid0(VALU_DEP_2) | instskip(NEXT) | instid1(VALU_DEP_2)
	v_mul_lo_u32 v13, v13, s4
	v_mul_lo_u32 v14, v14, s6
	s_delay_alu instid0(VALU_DEP_1) | instskip(NEXT) | instid1(VALU_DEP_1)
	v_sub_nc_u32_e32 v13, v13, v14
	v_cmp_lt_u32_e32 vcc_lo, s3, v13
	s_wait_alu 0xfffd
	v_cndmask_b32_e64 v46, 0, 1, vcc_lo
.LBB159_33:
	s_or_b32 exec_lo, exec_lo, s0
	v_lshlrev_b16 v2, 8, v2
	v_lshlrev_b16 v4, 8, v4
	;; [unrolled: 1-line block ×5, first 2 shown]
	v_or_b32_e32 v1, v1, v2
	v_lshlrev_b16 v2, 8, v12
	v_or_b32_e32 v3, v3, v4
	v_or_b32_e32 v4, v5, v6
	;; [unrolled: 1-line block ×5, first 2 shown]
	v_and_b32_e32 v1, 0xffff, v1
	v_lshlrev_b32_e32 v3, 16, v3
	v_and_b32_e32 v4, 0xffff, v4
	v_lshlrev_b32_e32 v5, 16, v5
	;; [unrolled: 2-line block ×3, first 2 shown]
	v_or_b32_e32 v51, v1, v3
	s_delay_alu instid0(VALU_DEP_4) | instskip(NEXT) | instid1(VALU_DEP_3)
	v_or_b32_e32 v49, v4, v5
	v_or_b32_e32 v47, v6, v2
.LBB159_34:
	s_delay_alu instid0(VALU_DEP_3)
	v_and_b32_e32 v53, 0xff, v51
	v_bfe_u32 v54, v51, 8, 8
	v_bfe_u32 v55, v51, 16, 8
	v_lshrrev_b32_e32 v52, 24, v51
	v_and_b32_e32 v56, 0xff, v49
	v_bfe_u32 v57, v49, 8, 8
	v_bfe_u32 v58, v49, 16, 8
	v_add3_u32 v1, v54, v53, v55
	v_lshrrev_b32_e32 v50, 24, v49
	v_and_b32_e32 v59, 0xff, v47
	v_bfe_u32 v60, v47, 8, 8
	v_mbcnt_lo_u32_b32 v62, -1, 0
	v_add3_u32 v1, v1, v52, v56
	v_bfe_u32 v61, v47, 16, 8
	v_lshrrev_b32_e32 v48, 24, v47
	v_and_b32_e32 v2, 0xff, v46
	v_and_b32_e32 v3, 15, v62
	v_add3_u32 v1, v1, v57, v58
	v_or_b32_e32 v4, 31, v0
	v_and_b32_e32 v5, 16, v62
	v_lshrrev_b32_e32 v63, 5, v0
	v_cmp_eq_u32_e64 s5, 0, v3
	v_add3_u32 v1, v1, v50, v59
	v_cmp_lt_u32_e64 s4, 1, v3
	v_cmp_lt_u32_e64 s3, 3, v3
	;; [unrolled: 1-line block ×3, first 2 shown]
	v_cmp_eq_u32_e64 s1, 0, v5
	v_add3_u32 v1, v1, v60, v61
	v_cmp_eq_u32_e64 s0, v0, v4
	s_cmp_lg_u32 ttmp9, 0
	s_mov_b32 s6, -1
	v_add3_u32 v64, v1, v48, v2
	s_cbranch_scc0 .LBB159_55
; %bb.35:
	s_delay_alu instid0(VALU_DEP_1) | instskip(SKIP_1) | instid1(VALU_DEP_1)
	v_mov_b32_dpp v1, v64 row_shr:1 row_mask:0xf bank_mask:0xf
	s_wait_alu 0xf1ff
	v_cndmask_b32_e64 v1, v1, 0, s5
	s_delay_alu instid0(VALU_DEP_1) | instskip(NEXT) | instid1(VALU_DEP_1)
	v_add_nc_u32_e32 v1, v1, v64
	v_mov_b32_dpp v2, v1 row_shr:2 row_mask:0xf bank_mask:0xf
	s_delay_alu instid0(VALU_DEP_1) | instskip(NEXT) | instid1(VALU_DEP_1)
	v_cndmask_b32_e64 v2, 0, v2, s4
	v_add_nc_u32_e32 v1, v1, v2
	s_delay_alu instid0(VALU_DEP_1) | instskip(NEXT) | instid1(VALU_DEP_1)
	v_mov_b32_dpp v2, v1 row_shr:4 row_mask:0xf bank_mask:0xf
	v_cndmask_b32_e64 v2, 0, v2, s3
	s_delay_alu instid0(VALU_DEP_1) | instskip(NEXT) | instid1(VALU_DEP_1)
	v_add_nc_u32_e32 v1, v1, v2
	v_mov_b32_dpp v2, v1 row_shr:8 row_mask:0xf bank_mask:0xf
	s_delay_alu instid0(VALU_DEP_1) | instskip(NEXT) | instid1(VALU_DEP_1)
	v_cndmask_b32_e64 v2, 0, v2, s2
	v_add_nc_u32_e32 v1, v1, v2
	ds_swizzle_b32 v2, v1 offset:swizzle(BROADCAST,32,15)
	s_wait_dscnt 0x0
	v_cndmask_b32_e64 v2, v2, 0, s1
	s_delay_alu instid0(VALU_DEP_1)
	v_add_nc_u32_e32 v1, v1, v2
	s_and_saveexec_b32 s6, s0
; %bb.36:
	v_lshlrev_b32_e32 v2, 2, v63
	ds_store_b32 v2, v1
; %bb.37:
	s_wait_alu 0xfffe
	s_or_b32 exec_lo, exec_lo, s6
	s_delay_alu instid0(SALU_CYCLE_1)
	s_mov_b32 s6, exec_lo
	s_wait_loadcnt_dscnt 0x0
	s_barrier_signal -1
	s_barrier_wait -1
	global_inv scope:SCOPE_SE
	v_cmpx_gt_u32_e32 8, v0
	s_cbranch_execz .LBB159_39
; %bb.38:
	ds_load_b32 v2, v42
	s_wait_dscnt 0x0
	v_mov_b32_dpp v4, v2 row_shr:1 row_mask:0xf bank_mask:0xf
	v_and_b32_e32 v3, 7, v62
	s_delay_alu instid0(VALU_DEP_1) | instskip(SKIP_1) | instid1(VALU_DEP_3)
	v_cmp_ne_u32_e32 vcc_lo, 0, v3
	s_wait_alu 0xfffd
	v_cndmask_b32_e32 v4, 0, v4, vcc_lo
	v_cmp_lt_u32_e32 vcc_lo, 1, v3
	s_delay_alu instid0(VALU_DEP_2) | instskip(NEXT) | instid1(VALU_DEP_1)
	v_add_nc_u32_e32 v2, v4, v2
	v_mov_b32_dpp v4, v2 row_shr:2 row_mask:0xf bank_mask:0xf
	s_wait_alu 0xfffd
	s_delay_alu instid0(VALU_DEP_1) | instskip(SKIP_1) | instid1(VALU_DEP_2)
	v_cndmask_b32_e32 v4, 0, v4, vcc_lo
	v_cmp_lt_u32_e32 vcc_lo, 3, v3
	v_add_nc_u32_e32 v2, v2, v4
	s_delay_alu instid0(VALU_DEP_1) | instskip(SKIP_1) | instid1(VALU_DEP_1)
	v_mov_b32_dpp v4, v2 row_shr:4 row_mask:0xf bank_mask:0xf
	s_wait_alu 0xfffd
	v_cndmask_b32_e32 v3, 0, v4, vcc_lo
	s_delay_alu instid0(VALU_DEP_1)
	v_add_nc_u32_e32 v2, v2, v3
	ds_store_b32 v42, v2
.LBB159_39:
	s_wait_alu 0xfffe
	s_or_b32 exec_lo, exec_lo, s6
	s_delay_alu instid0(SALU_CYCLE_1)
	s_mov_b32 s7, exec_lo
	v_cmp_gt_u32_e32 vcc_lo, 32, v0
	s_wait_loadcnt_dscnt 0x0
	s_barrier_signal -1
	s_barrier_wait -1
	global_inv scope:SCOPE_SE
                                        ; implicit-def: $vgpr9
	v_cmpx_lt_u32_e32 31, v0
	s_cbranch_execz .LBB159_41
; %bb.40:
	v_lshl_add_u32 v2, v63, 2, -4
	ds_load_b32 v9, v2
	s_wait_dscnt 0x0
	v_add_nc_u32_e32 v1, v9, v1
.LBB159_41:
	s_wait_alu 0xfffe
	s_or_b32 exec_lo, exec_lo, s7
	v_sub_co_u32 v2, s6, v62, 1
	s_delay_alu instid0(VALU_DEP_1) | instskip(SKIP_1) | instid1(VALU_DEP_1)
	v_cmp_gt_i32_e64 s7, 0, v2
	s_wait_alu 0xf1ff
	v_cndmask_b32_e64 v2, v2, v62, s7
	s_delay_alu instid0(VALU_DEP_1)
	v_lshlrev_b32_e32 v2, 2, v2
	ds_bpermute_b32 v10, v2, v1
	s_and_saveexec_b32 s7, vcc_lo
	s_cbranch_execz .LBB159_60
; %bb.42:
	v_mov_b32_e32 v5, 0
	ds_load_b32 v1, v5 offset:28
	s_and_saveexec_b32 s17, s6
	s_cbranch_execz .LBB159_44
; %bb.43:
	s_add_co_i32 s24, ttmp9, 32
	s_mov_b32 s25, 0
	v_mov_b32_e32 v2, 1
	s_lshl_b64 s[24:25], s[24:25], 3
	s_wait_kmcnt 0x0
	s_add_nc_u64 s[24:25], s[20:21], s[24:25]
	s_wait_dscnt 0x0
	global_store_b64 v5, v[1:2], s[24:25] scope:SCOPE_DEV
.LBB159_44:
	s_or_b32 exec_lo, exec_lo, s17
	v_xad_u32 v3, v62, -1, ttmp9
	s_mov_b32 s24, 0
	s_mov_b32 s17, exec_lo
	s_delay_alu instid0(VALU_DEP_1) | instskip(NEXT) | instid1(VALU_DEP_1)
	v_add_nc_u32_e32 v4, 32, v3
	v_lshlrev_b64_e32 v[4:5], 3, v[4:5]
	s_wait_kmcnt 0x0
	s_delay_alu instid0(VALU_DEP_1) | instskip(SKIP_1) | instid1(VALU_DEP_2)
	v_add_co_u32 v7, vcc_lo, s20, v4
	s_wait_alu 0xfffd
	v_add_co_ci_u32_e64 v8, null, s21, v5, vcc_lo
	global_load_b64 v[5:6], v[7:8], off scope:SCOPE_DEV
	s_wait_loadcnt 0x0
	v_and_b32_e32 v2, 0xff, v6
	s_delay_alu instid0(VALU_DEP_1)
	v_cmpx_eq_u16_e32 0, v2
	s_cbranch_execz .LBB159_47
.LBB159_45:                             ; =>This Inner Loop Header: Depth=1
	global_load_b64 v[5:6], v[7:8], off scope:SCOPE_DEV
	s_wait_loadcnt 0x0
	v_and_b32_e32 v2, 0xff, v6
	s_delay_alu instid0(VALU_DEP_1) | instskip(SKIP_1) | instid1(SALU_CYCLE_1)
	v_cmp_ne_u16_e32 vcc_lo, 0, v2
	s_or_b32 s24, vcc_lo, s24
	s_and_not1_b32 exec_lo, exec_lo, s24
	s_cbranch_execnz .LBB159_45
; %bb.46:
	s_or_b32 exec_lo, exec_lo, s24
.LBB159_47:
	s_delay_alu instid0(SALU_CYCLE_1)
	s_or_b32 exec_lo, exec_lo, s17
	v_cmp_ne_u32_e32 vcc_lo, 31, v62
	v_lshlrev_b32_e64 v12, v62, -1
	v_add_nc_u32_e32 v14, 2, v62
	v_add_nc_u32_e32 v16, 4, v62
	;; [unrolled: 1-line block ×3, first 2 shown]
	s_wait_alu 0xfffd
	v_add_co_ci_u32_e64 v2, null, 0, v62, vcc_lo
	v_lshl_or_b32 v66, v62, 2, 64
	v_add_nc_u32_e32 v67, 16, v62
	s_delay_alu instid0(VALU_DEP_3)
	v_lshlrev_b32_e32 v11, 2, v2
	v_and_b32_e32 v2, 0xff, v6
	ds_bpermute_b32 v4, v11, v5
	v_cmp_eq_u16_e32 vcc_lo, 2, v2
	s_wait_alu 0xfffd
	v_and_or_b32 v2, vcc_lo, v12, 0x80000000
	v_cmp_gt_u32_e32 vcc_lo, 30, v62
	s_delay_alu instid0(VALU_DEP_2) | instskip(SKIP_2) | instid1(VALU_DEP_2)
	v_ctz_i32_b32_e32 v2, v2
	s_wait_alu 0xfffd
	v_cndmask_b32_e64 v7, 0, 2, vcc_lo
	v_cmp_lt_u32_e32 vcc_lo, v62, v2
	s_delay_alu instid0(VALU_DEP_2) | instskip(SKIP_4) | instid1(VALU_DEP_2)
	v_add_lshl_u32 v13, v7, v62, 2
	s_wait_dscnt 0x0
	s_wait_alu 0xfffd
	v_cndmask_b32_e32 v4, 0, v4, vcc_lo
	v_cmp_gt_u32_e32 vcc_lo, 28, v62
	v_add_nc_u32_e32 v4, v4, v5
	s_wait_alu 0xfffd
	v_cndmask_b32_e64 v7, 0, 4, vcc_lo
	v_cmp_le_u32_e32 vcc_lo, v14, v2
	ds_bpermute_b32 v5, v13, v4
	v_add_lshl_u32 v15, v7, v62, 2
	s_wait_dscnt 0x0
	s_wait_alu 0xfffd
	v_cndmask_b32_e32 v5, 0, v5, vcc_lo
	v_cmp_gt_u32_e32 vcc_lo, 24, v62
	s_delay_alu instid0(VALU_DEP_2)
	v_add_nc_u32_e32 v4, v4, v5
	s_wait_alu 0xfffd
	v_cndmask_b32_e64 v7, 0, 8, vcc_lo
	v_cmp_le_u32_e32 vcc_lo, v16, v2
	ds_bpermute_b32 v5, v15, v4
	v_add_lshl_u32 v17, v7, v62, 2
	s_wait_dscnt 0x0
	s_wait_alu 0xfffd
	v_cndmask_b32_e32 v5, 0, v5, vcc_lo
	v_cmp_le_u32_e32 vcc_lo, v65, v2
	s_delay_alu instid0(VALU_DEP_2)
	v_add_nc_u32_e32 v4, v4, v5
	ds_bpermute_b32 v5, v17, v4
	s_wait_dscnt 0x0
	s_wait_alu 0xfffd
	v_cndmask_b32_e32 v5, 0, v5, vcc_lo
	v_cmp_le_u32_e32 vcc_lo, v67, v2
	s_delay_alu instid0(VALU_DEP_2) | instskip(SKIP_4) | instid1(VALU_DEP_1)
	v_add_nc_u32_e32 v4, v4, v5
	ds_bpermute_b32 v5, v66, v4
	s_wait_dscnt 0x0
	s_wait_alu 0xfffd
	v_cndmask_b32_e32 v2, 0, v5, vcc_lo
	v_dual_mov_b32 v4, 0 :: v_dual_add_nc_u32 v5, v4, v2
	s_branch .LBB159_51
.LBB159_48:                             ;   in Loop: Header=BB159_51 Depth=1
	s_or_b32 exec_lo, exec_lo, s24
.LBB159_49:                             ;   in Loop: Header=BB159_51 Depth=1
	s_delay_alu instid0(SALU_CYCLE_1) | instskip(SKIP_4) | instid1(VALU_DEP_2)
	s_or_b32 exec_lo, exec_lo, s17
	ds_bpermute_b32 v8, v11, v5
	v_and_b32_e32 v7, 0xff, v6
	v_subrev_nc_u32_e32 v3, 32, v3
	s_mov_b32 s17, 0
	v_cmp_eq_u16_e32 vcc_lo, 2, v7
	s_wait_alu 0xfffd
	v_and_or_b32 v7, vcc_lo, v12, 0x80000000
	s_delay_alu instid0(VALU_DEP_1) | instskip(NEXT) | instid1(VALU_DEP_1)
	v_ctz_i32_b32_e32 v7, v7
	v_cmp_lt_u32_e32 vcc_lo, v62, v7
	s_wait_dscnt 0x0
	s_wait_alu 0xfffd
	v_cndmask_b32_e32 v8, 0, v8, vcc_lo
	v_cmp_le_u32_e32 vcc_lo, v14, v7
	s_delay_alu instid0(VALU_DEP_2)
	v_add_nc_u32_e32 v5, v8, v5
	ds_bpermute_b32 v8, v13, v5
	s_wait_dscnt 0x0
	s_wait_alu 0xfffd
	v_cndmask_b32_e32 v8, 0, v8, vcc_lo
	v_cmp_le_u32_e32 vcc_lo, v16, v7
	s_delay_alu instid0(VALU_DEP_2)
	v_add_nc_u32_e32 v5, v5, v8
	ds_bpermute_b32 v8, v15, v5
	s_wait_dscnt 0x0
	s_wait_alu 0xfffd
	v_cndmask_b32_e32 v8, 0, v8, vcc_lo
	v_cmp_le_u32_e32 vcc_lo, v65, v7
	s_delay_alu instid0(VALU_DEP_2)
	v_add_nc_u32_e32 v5, v5, v8
	ds_bpermute_b32 v8, v17, v5
	s_wait_dscnt 0x0
	s_wait_alu 0xfffd
	v_cndmask_b32_e32 v8, 0, v8, vcc_lo
	v_cmp_le_u32_e32 vcc_lo, v67, v7
	s_delay_alu instid0(VALU_DEP_2) | instskip(SKIP_4) | instid1(VALU_DEP_1)
	v_add_nc_u32_e32 v5, v5, v8
	ds_bpermute_b32 v8, v66, v5
	s_wait_dscnt 0x0
	s_wait_alu 0xfffd
	v_cndmask_b32_e32 v7, 0, v8, vcc_lo
	v_add3_u32 v5, v7, v2, v5
.LBB159_50:                             ;   in Loop: Header=BB159_51 Depth=1
	s_and_b32 vcc_lo, exec_lo, s17
	s_wait_alu 0xfffe
	s_cbranch_vccnz .LBB159_56
.LBB159_51:                             ; =>This Loop Header: Depth=1
                                        ;     Child Loop BB159_54 Depth 2
	v_and_b32_e32 v2, 0xff, v6
	s_mov_b32 s17, -1
                                        ; implicit-def: $vgpr6
	s_delay_alu instid0(VALU_DEP_1)
	v_cmp_ne_u16_e32 vcc_lo, 2, v2
	v_mov_b32_e32 v2, v5
                                        ; implicit-def: $vgpr5
	s_cmp_lg_u32 vcc_lo, exec_lo
	s_cbranch_scc1 .LBB159_50
; %bb.52:                               ;   in Loop: Header=BB159_51 Depth=1
	v_lshlrev_b64_e32 v[5:6], 3, v[3:4]
	s_mov_b32 s17, exec_lo
	s_delay_alu instid0(VALU_DEP_1) | instskip(SKIP_1) | instid1(VALU_DEP_2)
	v_add_co_u32 v7, vcc_lo, s20, v5
	s_wait_alu 0xfffd
	v_add_co_ci_u32_e64 v8, null, s21, v6, vcc_lo
	global_load_b64 v[5:6], v[7:8], off scope:SCOPE_DEV
	s_wait_loadcnt 0x0
	v_and_b32_e32 v68, 0xff, v6
	s_delay_alu instid0(VALU_DEP_1)
	v_cmpx_eq_u16_e32 0, v68
	s_cbranch_execz .LBB159_49
; %bb.53:                               ;   in Loop: Header=BB159_51 Depth=1
	s_mov_b32 s24, 0
.LBB159_54:                             ;   Parent Loop BB159_51 Depth=1
                                        ; =>  This Inner Loop Header: Depth=2
	global_load_b64 v[5:6], v[7:8], off scope:SCOPE_DEV
	s_wait_loadcnt 0x0
	v_and_b32_e32 v68, 0xff, v6
	s_delay_alu instid0(VALU_DEP_1) | instskip(SKIP_1) | instid1(SALU_CYCLE_1)
	v_cmp_ne_u16_e32 vcc_lo, 0, v68
	s_or_b32 s24, vcc_lo, s24
	s_and_not1_b32 exec_lo, exec_lo, s24
	s_cbranch_execnz .LBB159_54
	s_branch .LBB159_48
.LBB159_55:
                                        ; implicit-def: $vgpr17
                                        ; implicit-def: $vgpr1_vgpr2_vgpr3_vgpr4_vgpr5_vgpr6_vgpr7_vgpr8_vgpr9_vgpr10_vgpr11_vgpr12_vgpr13_vgpr14_vgpr15_vgpr16
	s_wait_alu 0xfffe
	s_and_b32 vcc_lo, exec_lo, s6
	s_wait_alu 0xfffe
	s_cbranch_vccnz .LBB159_61
	s_branch .LBB159_70
.LBB159_56:
	s_and_saveexec_b32 s17, s6
	s_cbranch_execz .LBB159_58
; %bb.57:
	s_add_co_i32 s24, ttmp9, 32
	s_mov_b32 s25, 0
	v_dual_mov_b32 v4, 2 :: v_dual_add_nc_u32 v3, v2, v1
	v_mov_b32_e32 v5, 0
	s_lshl_b64 s[24:25], s[24:25], 3
	s_delay_alu instid0(SALU_CYCLE_1)
	s_add_nc_u64 s[24:25], s[20:21], s[24:25]
	global_store_b64 v5, v[3:4], s[24:25] scope:SCOPE_DEV
	ds_store_b64 v5, v[1:2] offset:13312
.LBB159_58:
	s_or_b32 exec_lo, exec_lo, s17
	v_cmp_eq_u32_e32 vcc_lo, 0, v0
	s_and_b32 exec_lo, exec_lo, vcc_lo
; %bb.59:
	v_mov_b32_e32 v1, 0
	ds_store_b32 v1, v2 offset:28
.LBB159_60:
	s_wait_alu 0xfffe
	s_or_b32 exec_lo, exec_lo, s7
	s_wait_dscnt 0x0
	v_cndmask_b32_e64 v2, v10, v9, s6
	v_cmp_ne_u32_e32 vcc_lo, 0, v0
	v_mov_b32_e32 v11, 0
	s_wait_loadcnt 0x0
	s_wait_storecnt 0x0
	s_barrier_signal -1
	s_barrier_wait -1
	global_inv scope:SCOPE_SE
	s_wait_alu 0xfffd
	v_cndmask_b32_e32 v2, 0, v2, vcc_lo
	ds_load_b32 v1, v11 offset:28
	s_wait_loadcnt_dscnt 0x0
	s_barrier_signal -1
	s_barrier_wait -1
	global_inv scope:SCOPE_SE
	ds_load_b64 v[16:17], v11 offset:13312
	v_add_nc_u32_e32 v1, v1, v2
	s_delay_alu instid0(VALU_DEP_1) | instskip(NEXT) | instid1(VALU_DEP_1)
	v_add_nc_u32_e32 v2, v1, v53
	v_add_nc_u32_e32 v3, v2, v54
	s_delay_alu instid0(VALU_DEP_1) | instskip(NEXT) | instid1(VALU_DEP_1)
	v_add_nc_u32_e32 v4, v3, v55
	;; [unrolled: 3-line block ×6, first 2 shown]
	v_add_nc_u32_e32 v13, v12, v48
	s_branch .LBB159_70
.LBB159_61:
	v_mov_b32_dpp v1, v64 row_shr:1 row_mask:0xf bank_mask:0xf
	s_delay_alu instid0(VALU_DEP_1) | instskip(NEXT) | instid1(VALU_DEP_1)
	v_cndmask_b32_e64 v1, v1, 0, s5
	v_add_nc_u32_e32 v1, v1, v64
	s_delay_alu instid0(VALU_DEP_1) | instskip(NEXT) | instid1(VALU_DEP_1)
	v_mov_b32_dpp v2, v1 row_shr:2 row_mask:0xf bank_mask:0xf
	v_cndmask_b32_e64 v2, 0, v2, s4
	s_delay_alu instid0(VALU_DEP_1) | instskip(NEXT) | instid1(VALU_DEP_1)
	v_add_nc_u32_e32 v1, v1, v2
	v_mov_b32_dpp v2, v1 row_shr:4 row_mask:0xf bank_mask:0xf
	s_delay_alu instid0(VALU_DEP_1) | instskip(NEXT) | instid1(VALU_DEP_1)
	v_cndmask_b32_e64 v2, 0, v2, s3
	v_add_nc_u32_e32 v1, v1, v2
	s_delay_alu instid0(VALU_DEP_1) | instskip(NEXT) | instid1(VALU_DEP_1)
	v_mov_b32_dpp v2, v1 row_shr:8 row_mask:0xf bank_mask:0xf
	v_cndmask_b32_e64 v2, 0, v2, s2
	s_delay_alu instid0(VALU_DEP_1) | instskip(SKIP_3) | instid1(VALU_DEP_1)
	v_add_nc_u32_e32 v1, v1, v2
	ds_swizzle_b32 v2, v1 offset:swizzle(BROADCAST,32,15)
	s_wait_dscnt 0x0
	v_cndmask_b32_e64 v2, v2, 0, s1
	v_add_nc_u32_e32 v1, v1, v2
	s_and_saveexec_b32 s1, s0
; %bb.62:
	v_lshlrev_b32_e32 v2, 2, v63
	ds_store_b32 v2, v1
; %bb.63:
	s_wait_alu 0xfffe
	s_or_b32 exec_lo, exec_lo, s1
	s_delay_alu instid0(SALU_CYCLE_1)
	s_mov_b32 s0, exec_lo
	s_wait_loadcnt_dscnt 0x0
	s_barrier_signal -1
	s_barrier_wait -1
	global_inv scope:SCOPE_SE
	v_cmpx_gt_u32_e32 8, v0
	s_cbranch_execz .LBB159_65
; %bb.64:
	ds_load_b32 v2, v42
	s_wait_dscnt 0x0
	v_mov_b32_dpp v4, v2 row_shr:1 row_mask:0xf bank_mask:0xf
	v_and_b32_e32 v3, 7, v62
	s_delay_alu instid0(VALU_DEP_1) | instskip(SKIP_1) | instid1(VALU_DEP_3)
	v_cmp_ne_u32_e32 vcc_lo, 0, v3
	s_wait_alu 0xfffd
	v_cndmask_b32_e32 v4, 0, v4, vcc_lo
	v_cmp_lt_u32_e32 vcc_lo, 1, v3
	s_delay_alu instid0(VALU_DEP_2) | instskip(NEXT) | instid1(VALU_DEP_1)
	v_add_nc_u32_e32 v2, v4, v2
	v_mov_b32_dpp v4, v2 row_shr:2 row_mask:0xf bank_mask:0xf
	s_wait_alu 0xfffd
	s_delay_alu instid0(VALU_DEP_1) | instskip(SKIP_1) | instid1(VALU_DEP_2)
	v_cndmask_b32_e32 v4, 0, v4, vcc_lo
	v_cmp_lt_u32_e32 vcc_lo, 3, v3
	v_add_nc_u32_e32 v2, v2, v4
	s_delay_alu instid0(VALU_DEP_1) | instskip(SKIP_1) | instid1(VALU_DEP_1)
	v_mov_b32_dpp v4, v2 row_shr:4 row_mask:0xf bank_mask:0xf
	s_wait_alu 0xfffd
	v_cndmask_b32_e32 v3, 0, v4, vcc_lo
	s_delay_alu instid0(VALU_DEP_1)
	v_add_nc_u32_e32 v2, v2, v3
	ds_store_b32 v42, v2
.LBB159_65:
	s_wait_alu 0xfffe
	s_or_b32 exec_lo, exec_lo, s0
	v_dual_mov_b32 v3, 0 :: v_dual_mov_b32 v2, 0
	s_mov_b32 s0, exec_lo
	s_wait_loadcnt_dscnt 0x0
	s_barrier_signal -1
	s_barrier_wait -1
	global_inv scope:SCOPE_SE
	v_cmpx_lt_u32_e32 31, v0
; %bb.66:
	v_lshl_add_u32 v2, v63, 2, -4
	ds_load_b32 v2, v2
; %bb.67:
	s_wait_alu 0xfffe
	s_or_b32 exec_lo, exec_lo, s0
	v_sub_co_u32 v4, vcc_lo, v62, 1
	s_wait_dscnt 0x0
	v_add_nc_u32_e32 v1, v2, v1
	ds_load_b32 v16, v3 offset:28
	v_cmp_gt_i32_e64 s0, 0, v4
	s_wait_alu 0xf1ff
	s_delay_alu instid0(VALU_DEP_1) | instskip(SKIP_1) | instid1(VALU_DEP_2)
	v_cndmask_b32_e64 v4, v4, v62, s0
	v_cmp_eq_u32_e64 s0, 0, v0
	v_lshlrev_b32_e32 v4, 2, v4
	ds_bpermute_b32 v1, v4, v1
	s_and_saveexec_b32 s1, s0
	s_cbranch_execz .LBB159_69
; %bb.68:
	v_mov_b32_e32 v3, 0
	v_mov_b32_e32 v17, 2
	s_wait_dscnt 0x1
	s_wait_kmcnt 0x0
	global_store_b64 v3, v[16:17], s[20:21] offset:256 scope:SCOPE_DEV
.LBB159_69:
	s_wait_alu 0xfffe
	s_or_b32 exec_lo, exec_lo, s1
	s_wait_dscnt 0x0
	s_wait_alu 0xfffd
	v_cndmask_b32_e32 v1, v1, v2, vcc_lo
	s_wait_loadcnt 0x0
	s_wait_storecnt 0x0
	s_barrier_signal -1
	s_barrier_wait -1
	global_inv scope:SCOPE_SE
	v_cndmask_b32_e64 v1, v1, 0, s0
	s_delay_alu instid0(VALU_DEP_1) | instskip(NEXT) | instid1(VALU_DEP_1)
	v_dual_mov_b32 v17, 0 :: v_dual_add_nc_u32 v2, v1, v53
	v_add_nc_u32_e32 v3, v2, v54
	s_delay_alu instid0(VALU_DEP_1) | instskip(NEXT) | instid1(VALU_DEP_1)
	v_add_nc_u32_e32 v4, v3, v55
	v_add_nc_u32_e32 v5, v4, v52
	s_delay_alu instid0(VALU_DEP_1) | instskip(NEXT) | instid1(VALU_DEP_1)
	v_add_nc_u32_e32 v6, v5, v56
	;; [unrolled: 3-line block ×5, first 2 shown]
	v_add_nc_u32_e32 v13, v12, v48
.LBB159_70:
	v_lshrrev_b32_e32 v56, 8, v51
	v_lshrrev_b32_e32 v55, 16, v51
	s_wait_dscnt 0x0
	v_sub_nc_u32_e32 v1, v1, v17
	v_and_b32_e32 v51, 1, v51
	v_sub_nc_u32_e32 v3, v3, v17
	v_add_nc_u32_e32 v45, v16, v45
	v_sub_nc_u32_e32 v2, v2, v17
	v_sub_nc_u32_e32 v4, v4, v17
	v_cmp_eq_u32_e32 vcc_lo, 1, v51
	v_and_b32_e32 v51, 1, v55
	v_sub_nc_u32_e32 v57, v45, v1
	v_and_b32_e32 v56, 1, v56
	v_sub_nc_u32_e32 v55, v45, v2
	v_lshrrev_b32_e32 v54, 8, v49
	v_lshrrev_b32_e32 v53, 16, v49
	s_wait_alu 0xfffd
	v_cndmask_b32_e32 v1, v57, v1, vcc_lo
	v_sub_nc_u32_e32 v57, v45, v3
	v_add_nc_u32_e32 v55, 1, v55
	v_cmp_eq_u32_e32 vcc_lo, 1, v56
	v_and_b32_e32 v52, 1, v52
	v_lshlrev_b32_e32 v1, 2, v1
	v_add_nc_u32_e32 v57, 2, v57
	v_lshrrev_b32_e32 v15, 8, v47
	v_lshrrev_b32_e32 v14, 16, v47
	ds_store_b32 v1, v28
	s_wait_alu 0xfffd
	v_cndmask_b32_e32 v1, v55, v2, vcc_lo
	v_cmp_eq_u32_e32 vcc_lo, 1, v51
	s_wait_alu 0xfffd
	s_delay_alu instid0(VALU_DEP_2)
	v_dual_cndmask_b32 v2, v57, v3 :: v_dual_lshlrev_b32 v1, 2, v1
	v_sub_nc_u32_e32 v58, v45, v4
	v_cmp_eq_u32_e32 vcc_lo, 1, v52
	ds_store_b32 v1, v29
	v_lshlrev_b32_e32 v2, 2, v2
	v_add_nc_u32_e32 v58, 3, v58
	s_wait_alu 0xfffd
	s_delay_alu instid0(VALU_DEP_1) | instskip(SKIP_2) | instid1(VALU_DEP_3)
	v_cndmask_b32_e32 v3, v58, v4, vcc_lo
	v_sub_nc_u32_e32 v4, v5, v17
	v_sub_nc_u32_e32 v5, v6, v17
	v_lshlrev_b32_e32 v3, 2, v3
	s_delay_alu instid0(VALU_DEP_3) | instskip(NEXT) | instid1(VALU_DEP_3)
	v_sub_nc_u32_e32 v1, v45, v4
	v_sub_nc_u32_e32 v6, v45, v5
	ds_store_b32 v2, v26
	ds_store_b32 v3, v27
	v_and_b32_e32 v2, 1, v49
	v_add_nc_u32_e32 v1, 4, v1
	v_add_nc_u32_e32 v3, 5, v6
	v_sub_nc_u32_e32 v6, v7, v17
	v_and_b32_e32 v7, 1, v54
	v_cmp_eq_u32_e32 vcc_lo, 1, v2
	v_sub_nc_u32_e32 v2, v8, v17
	s_wait_alu 0xfffd
	v_dual_cndmask_b32 v1, v1, v4 :: v_dual_and_b32 v8, 1, v50
	v_sub_nc_u32_e32 v4, v45, v6
	v_cmp_eq_u32_e32 vcc_lo, 1, v7
	v_and_b32_e32 v7, 1, v53
	s_delay_alu instid0(VALU_DEP_4)
	v_lshlrev_b32_e32 v1, 2, v1
	s_wait_alu 0xfffd
	v_dual_cndmask_b32 v3, v3, v5 :: v_dual_add_nc_u32 v4, 6, v4
	v_sub_nc_u32_e32 v5, v45, v2
	v_cmp_eq_u32_e32 vcc_lo, 1, v7
	v_sub_nc_u32_e32 v7, v13, v17
	s_delay_alu instid0(VALU_DEP_4)
	v_lshlrev_b32_e32 v3, 2, v3
	s_wait_alu 0xfffd
	v_dual_cndmask_b32 v4, v4, v6 :: v_dual_add_nc_u32 v5, 7, v5
	v_cmp_eq_u32_e32 vcc_lo, 1, v8
	v_sub_nc_u32_e32 v6, v9, v17
	ds_store_b32 v1, v24
	ds_store_b32 v3, v25
	s_wait_alu 0xfffd
	v_dual_cndmask_b32 v2, v5, v2 :: v_dual_lshlrev_b32 v3, 2, v4
	v_and_b32_e32 v5, 1, v47
	v_sub_nc_u32_e32 v1, v45, v6
	v_sub_nc_u32_e32 v4, v10, v17
	v_and_b32_e32 v10, 1, v48
	s_delay_alu instid0(VALU_DEP_4) | instskip(SKIP_2) | instid1(VALU_DEP_2)
	v_cmp_eq_u32_e32 vcc_lo, 1, v5
	v_sub_nc_u32_e32 v5, v12, v17
	v_add_nc_u32_e32 v1, 8, v1
	v_sub_nc_u32_e32 v9, v45, v5
	s_wait_alu 0xfffd
	s_delay_alu instid0(VALU_DEP_2)
	v_dual_cndmask_b32 v1, v1, v6 :: v_dual_and_b32 v6, 1, v15
	s_wait_kmcnt 0x0
	v_add_co_u32 v15, s0, s18, v17
	v_add_nc_u32_e32 v9, 11, v9
	v_lshlrev_b32_e32 v2, 2, v2
	ds_store_b32 v3, v22
	ds_store_b32 v2, v23
	v_sub_nc_u32_e32 v3, v11, v17
	v_sub_nc_u32_e32 v2, v45, v4
	v_cmp_eq_u32_e32 vcc_lo, 1, v6
	v_and_b32_e32 v11, 1, v46
	v_lshlrev_b32_e32 v1, 2, v1
	v_sub_nc_u32_e32 v8, v45, v3
	v_add_nc_u32_e32 v2, 9, v2
	s_wait_alu 0xf1ff
	v_add_co_ci_u32_e64 v17, null, s19, 0, s0
	s_delay_alu instid0(VALU_DEP_3) | instskip(SKIP_4) | instid1(VALU_DEP_3)
	v_add_nc_u32_e32 v6, 10, v8
	v_and_b32_e32 v8, 1, v14
	s_wait_alu 0xfffd
	v_cndmask_b32_e32 v2, v2, v4, vcc_lo
	v_sub_nc_u32_e32 v4, v45, v7
	v_cmp_eq_u32_e32 vcc_lo, 1, v8
	s_delay_alu instid0(VALU_DEP_3) | instskip(SKIP_1) | instid1(VALU_DEP_3)
	v_lshlrev_b32_e32 v2, 2, v2
	s_wait_alu 0xfffd
	v_dual_cndmask_b32 v3, v6, v3 :: v_dual_add_nc_u32 v4, 12, v4
	v_cmp_eq_u32_e32 vcc_lo, 1, v10
	s_delay_alu instid0(VALU_DEP_2) | instskip(SKIP_4) | instid1(VALU_DEP_2)
	v_lshlrev_b32_e32 v3, 2, v3
	s_wait_alu 0xfffd
	v_cndmask_b32_e32 v5, v9, v5, vcc_lo
	v_cmp_eq_u32_e32 vcc_lo, 1, v11
	s_wait_alu 0xfffd
	v_dual_cndmask_b32 v4, v4, v7 :: v_dual_lshlrev_b32 v5, 2, v5
	v_cmp_ne_u32_e32 vcc_lo, 1, v43
	s_delay_alu instid0(VALU_DEP_2)
	v_lshlrev_b32_e32 v4, 2, v4
	ds_store_b32 v1, v20
	ds_store_b32 v2, v21
	;; [unrolled: 1-line block ×5, first 2 shown]
	s_wait_loadcnt_dscnt 0x0
	s_barrier_signal -1
	s_barrier_wait -1
	global_inv scope:SCOPE_SE
	ds_load_2addr_stride64_b32 v[11:12], v42 offset1:4
	ds_load_2addr_stride64_b32 v[9:10], v42 offset0:8 offset1:12
	ds_load_2addr_stride64_b32 v[7:8], v42 offset0:16 offset1:20
	;; [unrolled: 1-line block ×5, first 2 shown]
	ds_load_b32 v18, v42 offset:12288
	s_cbranch_vccnz .LBB159_124
; %bb.71:
	s_mov_b32 s17, 0
	v_sub_co_u32 v13, vcc_lo, v15, s12
	s_sub_nc_u64 s[0:1], s[14:15], s[16:17]
	s_wait_alu 0xfffd
	v_subrev_co_ci_u32_e64 v14, null, s13, v17, vcc_lo
	s_wait_alu 0xfffe
	v_add_co_u32 v19, s0, s0, v16
	s_wait_alu 0xf1ff
	v_add_co_ci_u32_e64 v20, null, s1, 0, s0
	s_mov_b32 s0, exec_lo
	v_add_co_u32 v19, vcc_lo, v19, v13
	s_wait_alu 0xfffd
	v_add_co_ci_u32_e64 v20, null, v20, v14, vcc_lo
                                        ; implicit-def: $vgpr13_vgpr14
	v_cmpx_ge_u32_e64 v0, v16
	s_wait_alu 0xfffe
	s_xor_b32 s0, exec_lo, s0
; %bb.72:
	v_not_b32_e32 v13, v0
	s_delay_alu instid0(VALU_DEP_1) | instskip(SKIP_2) | instid1(VALU_DEP_2)
	v_ashrrev_i32_e32 v14, 31, v13
	v_add_co_u32 v13, vcc_lo, v19, v13
	s_wait_alu 0xfffd
	v_add_co_ci_u32_e64 v14, null, v20, v14, vcc_lo
; %bb.73:
	s_wait_alu 0xfffe
	s_and_not1_saveexec_b32 s0, s0
; %bb.74:
	v_add_co_u32 v13, vcc_lo, v15, v0
	s_wait_alu 0xfffd
	v_add_co_ci_u32_e64 v14, null, 0, v17, vcc_lo
; %bb.75:
	s_wait_alu 0xfffe
	s_or_b32 exec_lo, exec_lo, s0
	s_delay_alu instid0(VALU_DEP_1) | instskip(SKIP_1) | instid1(VALU_DEP_1)
	v_lshlrev_b64_e32 v[13:14], 2, v[13:14]
	s_mov_b32 s0, exec_lo
	v_add_co_u32 v13, vcc_lo, s10, v13
	s_wait_alu 0xfffd
	s_delay_alu instid0(VALU_DEP_2)
	v_add_co_ci_u32_e64 v14, null, s11, v14, vcc_lo
	s_wait_dscnt 0x6
	global_store_b32 v[13:14], v11, off
                                        ; implicit-def: $vgpr13_vgpr14
	v_cmpx_ge_u32_e64 v41, v16
	s_wait_alu 0xfffe
	s_xor_b32 s0, exec_lo, s0
; %bb.76:
	v_xor_b32_e32 v13, 0xfffffeff, v0
	s_delay_alu instid0(VALU_DEP_1) | instskip(SKIP_2) | instid1(VALU_DEP_2)
	v_ashrrev_i32_e32 v14, 31, v13
	v_add_co_u32 v13, vcc_lo, v19, v13
	s_wait_alu 0xfffd
	v_add_co_ci_u32_e64 v14, null, v20, v14, vcc_lo
; %bb.77:
	s_wait_alu 0xfffe
	s_and_not1_saveexec_b32 s0, s0
; %bb.78:
	v_add_co_u32 v13, vcc_lo, v15, v41
	s_wait_alu 0xfffd
	v_add_co_ci_u32_e64 v14, null, 0, v17, vcc_lo
; %bb.79:
	s_wait_alu 0xfffe
	s_or_b32 exec_lo, exec_lo, s0
	s_delay_alu instid0(VALU_DEP_1) | instskip(SKIP_1) | instid1(VALU_DEP_1)
	v_lshlrev_b64_e32 v[13:14], 2, v[13:14]
	s_mov_b32 s0, exec_lo
	v_add_co_u32 v13, vcc_lo, s10, v13
	s_wait_alu 0xfffd
	s_delay_alu instid0(VALU_DEP_2)
	v_add_co_ci_u32_e64 v14, null, s11, v14, vcc_lo
	global_store_b32 v[13:14], v12, off
                                        ; implicit-def: $vgpr13_vgpr14
	v_cmpx_ge_u32_e64 v40, v16
	s_wait_alu 0xfffe
	s_xor_b32 s0, exec_lo, s0
; %bb.80:
	v_xor_b32_e32 v13, 0xfffffdff, v0
	s_delay_alu instid0(VALU_DEP_1) | instskip(SKIP_2) | instid1(VALU_DEP_2)
	v_ashrrev_i32_e32 v14, 31, v13
	v_add_co_u32 v13, vcc_lo, v19, v13
	s_wait_alu 0xfffd
	v_add_co_ci_u32_e64 v14, null, v20, v14, vcc_lo
; %bb.81:
	s_wait_alu 0xfffe
	s_and_not1_saveexec_b32 s0, s0
; %bb.82:
	v_add_co_u32 v13, vcc_lo, v15, v40
	s_wait_alu 0xfffd
	v_add_co_ci_u32_e64 v14, null, 0, v17, vcc_lo
; %bb.83:
	s_wait_alu 0xfffe
	s_or_b32 exec_lo, exec_lo, s0
	s_delay_alu instid0(VALU_DEP_1) | instskip(SKIP_1) | instid1(VALU_DEP_1)
	v_lshlrev_b64_e32 v[13:14], 2, v[13:14]
	s_mov_b32 s0, exec_lo
	v_add_co_u32 v13, vcc_lo, s10, v13
	s_wait_alu 0xfffd
	s_delay_alu instid0(VALU_DEP_2)
	v_add_co_ci_u32_e64 v14, null, s11, v14, vcc_lo
	s_wait_dscnt 0x5
	global_store_b32 v[13:14], v9, off
                                        ; implicit-def: $vgpr13_vgpr14
	v_cmpx_ge_u32_e64 v39, v16
	s_wait_alu 0xfffe
	s_xor_b32 s0, exec_lo, s0
; %bb.84:
	v_xor_b32_e32 v13, 0xfffffcff, v0
	s_delay_alu instid0(VALU_DEP_1) | instskip(SKIP_2) | instid1(VALU_DEP_2)
	v_ashrrev_i32_e32 v14, 31, v13
	v_add_co_u32 v13, vcc_lo, v19, v13
	s_wait_alu 0xfffd
	v_add_co_ci_u32_e64 v14, null, v20, v14, vcc_lo
; %bb.85:
	s_wait_alu 0xfffe
	s_and_not1_saveexec_b32 s0, s0
; %bb.86:
	v_add_co_u32 v13, vcc_lo, v15, v39
	s_wait_alu 0xfffd
	v_add_co_ci_u32_e64 v14, null, 0, v17, vcc_lo
; %bb.87:
	s_wait_alu 0xfffe
	s_or_b32 exec_lo, exec_lo, s0
	s_delay_alu instid0(VALU_DEP_1) | instskip(SKIP_1) | instid1(VALU_DEP_1)
	v_lshlrev_b64_e32 v[13:14], 2, v[13:14]
	s_mov_b32 s0, exec_lo
	v_add_co_u32 v13, vcc_lo, s10, v13
	s_wait_alu 0xfffd
	s_delay_alu instid0(VALU_DEP_2)
	v_add_co_ci_u32_e64 v14, null, s11, v14, vcc_lo
	global_store_b32 v[13:14], v10, off
                                        ; implicit-def: $vgpr13_vgpr14
	v_cmpx_ge_u32_e64 v38, v16
	s_wait_alu 0xfffe
	s_xor_b32 s0, exec_lo, s0
; %bb.88:
	v_xor_b32_e32 v13, 0xfffffbff, v0
	;; [unrolled: 59-line block ×6, first 2 shown]
	s_delay_alu instid0(VALU_DEP_1) | instskip(SKIP_2) | instid1(VALU_DEP_2)
	v_ashrrev_i32_e32 v14, 31, v13
	v_add_co_u32 v13, vcc_lo, v19, v13
	s_wait_alu 0xfffd
	v_add_co_ci_u32_e64 v14, null, v20, v14, vcc_lo
; %bb.121:
	s_wait_alu 0xfffe
	s_and_not1_saveexec_b32 s0, s0
; %bb.122:
	v_add_co_u32 v13, vcc_lo, v15, v30
	s_wait_alu 0xfffd
	v_add_co_ci_u32_e64 v14, null, 0, v17, vcc_lo
; %bb.123:
	s_wait_alu 0xfffe
	s_or_b32 exec_lo, exec_lo, s0
	s_mov_b32 s0, -1
	s_branch .LBB159_204
.LBB159_124:
	s_mov_b32 s0, 0
                                        ; implicit-def: $vgpr13_vgpr14
	s_cbranch_execz .LBB159_204
; %bb.125:
	s_mov_b32 s17, 0
	s_delay_alu instid0(SALU_CYCLE_1)
	s_add_nc_u64 s[2:3], s[12:13], s[16:17]
	s_wait_alu 0xfffe
	s_sub_nc_u64 s[2:3], s[14:15], s[2:3]
	s_wait_alu 0xfffe
	v_add_co_u32 v13, s1, s2, v16
	s_wait_alu 0xf1ff
	v_add_co_ci_u32_e64 v14, null, s3, 0, s1
	s_mov_b32 s1, exec_lo
	v_add_co_u32 v19, vcc_lo, v13, v15
	s_wait_alu 0xfffd
	v_add_co_ci_u32_e64 v20, null, v14, v17, vcc_lo
	v_cmpx_gt_u32_e64 s23, v0
	s_cbranch_execz .LBB159_161
; %bb.126:
	s_mov_b32 s2, exec_lo
                                        ; implicit-def: $vgpr13_vgpr14
	v_cmpx_ge_u32_e64 v0, v16
	s_wait_alu 0xfffe
	s_xor_b32 s2, exec_lo, s2
; %bb.127:
	v_not_b32_e32 v13, v0
	s_delay_alu instid0(VALU_DEP_1) | instskip(SKIP_2) | instid1(VALU_DEP_2)
	v_ashrrev_i32_e32 v14, 31, v13
	v_add_co_u32 v13, vcc_lo, v19, v13
	s_wait_alu 0xfffd
	v_add_co_ci_u32_e64 v14, null, v20, v14, vcc_lo
; %bb.128:
	s_wait_alu 0xfffe
	s_and_not1_saveexec_b32 s2, s2
; %bb.129:
	v_add_co_u32 v13, vcc_lo, v15, v0
	s_wait_alu 0xfffd
	v_add_co_ci_u32_e64 v14, null, 0, v17, vcc_lo
; %bb.130:
	s_wait_alu 0xfffe
	s_or_b32 exec_lo, exec_lo, s2
	s_delay_alu instid0(VALU_DEP_1) | instskip(NEXT) | instid1(VALU_DEP_1)
	v_lshlrev_b64_e32 v[13:14], 2, v[13:14]
	v_add_co_u32 v13, vcc_lo, s10, v13
	s_wait_alu 0xfffd
	s_delay_alu instid0(VALU_DEP_2) | instskip(SKIP_3) | instid1(SALU_CYCLE_1)
	v_add_co_ci_u32_e64 v14, null, s11, v14, vcc_lo
	s_wait_dscnt 0x6
	global_store_b32 v[13:14], v11, off
	s_or_b32 exec_lo, exec_lo, s1
	s_mov_b32 s1, exec_lo
	v_cmpx_gt_u32_e64 s23, v41
	s_cbranch_execnz .LBB159_162
.LBB159_131:
	s_wait_alu 0xfffe
	s_or_b32 exec_lo, exec_lo, s1
	s_delay_alu instid0(SALU_CYCLE_1)
	s_mov_b32 s1, exec_lo
	v_cmpx_gt_u32_e64 s23, v40
	s_cbranch_execz .LBB159_167
.LBB159_132:
	s_mov_b32 s2, exec_lo
                                        ; implicit-def: $vgpr11_vgpr12
	v_cmpx_ge_u32_e64 v40, v16
	s_wait_alu 0xfffe
	s_xor_b32 s2, exec_lo, s2
	s_cbranch_execz .LBB159_134
; %bb.133:
	s_wait_dscnt 0x6
	v_xor_b32_e32 v11, 0xfffffdff, v0
                                        ; implicit-def: $vgpr40
	s_delay_alu instid0(VALU_DEP_1) | instskip(SKIP_2) | instid1(VALU_DEP_2)
	v_ashrrev_i32_e32 v12, 31, v11
	v_add_co_u32 v11, vcc_lo, v19, v11
	s_wait_alu 0xfffd
	v_add_co_ci_u32_e64 v12, null, v20, v12, vcc_lo
.LBB159_134:
	s_wait_alu 0xfffe
	s_and_not1_saveexec_b32 s2, s2
	s_cbranch_execz .LBB159_136
; %bb.135:
	s_wait_dscnt 0x6
	v_add_co_u32 v11, vcc_lo, v15, v40
	s_wait_alu 0xfffd
	v_add_co_ci_u32_e64 v12, null, 0, v17, vcc_lo
.LBB159_136:
	s_wait_alu 0xfffe
	s_or_b32 exec_lo, exec_lo, s2
	s_wait_dscnt 0x6
	s_delay_alu instid0(VALU_DEP_1) | instskip(NEXT) | instid1(VALU_DEP_1)
	v_lshlrev_b64_e32 v[11:12], 2, v[11:12]
	v_add_co_u32 v11, vcc_lo, s10, v11
	s_wait_alu 0xfffd
	s_delay_alu instid0(VALU_DEP_2) | instskip(SKIP_3) | instid1(SALU_CYCLE_1)
	v_add_co_ci_u32_e64 v12, null, s11, v12, vcc_lo
	s_wait_dscnt 0x5
	global_store_b32 v[11:12], v9, off
	s_or_b32 exec_lo, exec_lo, s1
	s_mov_b32 s1, exec_lo
	v_cmpx_gt_u32_e64 s23, v39
	s_cbranch_execnz .LBB159_168
.LBB159_137:
	s_wait_alu 0xfffe
	s_or_b32 exec_lo, exec_lo, s1
	s_delay_alu instid0(SALU_CYCLE_1)
	s_mov_b32 s1, exec_lo
	v_cmpx_gt_u32_e64 s23, v38
	s_cbranch_execz .LBB159_173
.LBB159_138:
	s_mov_b32 s2, exec_lo
                                        ; implicit-def: $vgpr9_vgpr10
	v_cmpx_ge_u32_e64 v38, v16
	s_wait_alu 0xfffe
	s_xor_b32 s2, exec_lo, s2
	s_cbranch_execz .LBB159_140
; %bb.139:
	s_wait_dscnt 0x5
	v_xor_b32_e32 v9, 0xfffffbff, v0
                                        ; implicit-def: $vgpr38
	s_delay_alu instid0(VALU_DEP_1) | instskip(SKIP_2) | instid1(VALU_DEP_2)
	v_ashrrev_i32_e32 v10, 31, v9
	v_add_co_u32 v9, vcc_lo, v19, v9
	s_wait_alu 0xfffd
	v_add_co_ci_u32_e64 v10, null, v20, v10, vcc_lo
.LBB159_140:
	s_wait_alu 0xfffe
	s_and_not1_saveexec_b32 s2, s2
	s_cbranch_execz .LBB159_142
; %bb.141:
	s_wait_dscnt 0x5
	v_add_co_u32 v9, vcc_lo, v15, v38
	s_wait_alu 0xfffd
	v_add_co_ci_u32_e64 v10, null, 0, v17, vcc_lo
.LBB159_142:
	s_wait_alu 0xfffe
	s_or_b32 exec_lo, exec_lo, s2
	s_wait_dscnt 0x5
	s_delay_alu instid0(VALU_DEP_1) | instskip(NEXT) | instid1(VALU_DEP_1)
	v_lshlrev_b64_e32 v[9:10], 2, v[9:10]
	v_add_co_u32 v9, vcc_lo, s10, v9
	s_wait_alu 0xfffd
	s_delay_alu instid0(VALU_DEP_2) | instskip(SKIP_3) | instid1(SALU_CYCLE_1)
	v_add_co_ci_u32_e64 v10, null, s11, v10, vcc_lo
	s_wait_dscnt 0x4
	global_store_b32 v[9:10], v7, off
	s_or_b32 exec_lo, exec_lo, s1
	s_mov_b32 s1, exec_lo
	v_cmpx_gt_u32_e64 s23, v37
	s_cbranch_execnz .LBB159_174
.LBB159_143:
	s_wait_alu 0xfffe
	s_or_b32 exec_lo, exec_lo, s1
	s_delay_alu instid0(SALU_CYCLE_1)
	s_mov_b32 s1, exec_lo
	v_cmpx_gt_u32_e64 s23, v36
	s_cbranch_execz .LBB159_179
.LBB159_144:
	s_mov_b32 s2, exec_lo
                                        ; implicit-def: $vgpr7_vgpr8
	v_cmpx_ge_u32_e64 v36, v16
	s_wait_alu 0xfffe
	s_xor_b32 s2, exec_lo, s2
	s_cbranch_execz .LBB159_146
; %bb.145:
	s_wait_dscnt 0x4
	v_xor_b32_e32 v7, 0xfffff9ff, v0
                                        ; implicit-def: $vgpr36
	s_delay_alu instid0(VALU_DEP_1) | instskip(SKIP_2) | instid1(VALU_DEP_2)
	v_ashrrev_i32_e32 v8, 31, v7
	v_add_co_u32 v7, vcc_lo, v19, v7
	s_wait_alu 0xfffd
	v_add_co_ci_u32_e64 v8, null, v20, v8, vcc_lo
.LBB159_146:
	s_wait_alu 0xfffe
	s_and_not1_saveexec_b32 s2, s2
	s_cbranch_execz .LBB159_148
; %bb.147:
	s_wait_dscnt 0x4
	v_add_co_u32 v7, vcc_lo, v15, v36
	s_wait_alu 0xfffd
	v_add_co_ci_u32_e64 v8, null, 0, v17, vcc_lo
.LBB159_148:
	s_wait_alu 0xfffe
	s_or_b32 exec_lo, exec_lo, s2
	s_wait_dscnt 0x4
	s_delay_alu instid0(VALU_DEP_1) | instskip(NEXT) | instid1(VALU_DEP_1)
	v_lshlrev_b64_e32 v[7:8], 2, v[7:8]
	v_add_co_u32 v7, vcc_lo, s10, v7
	s_wait_alu 0xfffd
	s_delay_alu instid0(VALU_DEP_2) | instskip(SKIP_3) | instid1(SALU_CYCLE_1)
	v_add_co_ci_u32_e64 v8, null, s11, v8, vcc_lo
	s_wait_dscnt 0x3
	global_store_b32 v[7:8], v5, off
	s_or_b32 exec_lo, exec_lo, s1
	s_mov_b32 s1, exec_lo
	v_cmpx_gt_u32_e64 s23, v35
	s_cbranch_execnz .LBB159_180
.LBB159_149:
	s_wait_alu 0xfffe
	s_or_b32 exec_lo, exec_lo, s1
	s_delay_alu instid0(SALU_CYCLE_1)
	s_mov_b32 s1, exec_lo
	v_cmpx_gt_u32_e64 s23, v34
	s_cbranch_execz .LBB159_185
.LBB159_150:
	s_mov_b32 s2, exec_lo
                                        ; implicit-def: $vgpr5_vgpr6
	v_cmpx_ge_u32_e64 v34, v16
	s_wait_alu 0xfffe
	s_xor_b32 s2, exec_lo, s2
	s_cbranch_execz .LBB159_152
; %bb.151:
	s_wait_dscnt 0x3
	v_xor_b32_e32 v5, 0xfffff7ff, v0
                                        ; implicit-def: $vgpr34
	s_delay_alu instid0(VALU_DEP_1) | instskip(SKIP_2) | instid1(VALU_DEP_2)
	v_ashrrev_i32_e32 v6, 31, v5
	v_add_co_u32 v5, vcc_lo, v19, v5
	s_wait_alu 0xfffd
	v_add_co_ci_u32_e64 v6, null, v20, v6, vcc_lo
.LBB159_152:
	s_wait_alu 0xfffe
	s_and_not1_saveexec_b32 s2, s2
	s_cbranch_execz .LBB159_154
; %bb.153:
	s_wait_dscnt 0x3
	v_add_co_u32 v5, vcc_lo, v15, v34
	s_wait_alu 0xfffd
	v_add_co_ci_u32_e64 v6, null, 0, v17, vcc_lo
.LBB159_154:
	s_wait_alu 0xfffe
	s_or_b32 exec_lo, exec_lo, s2
	s_wait_dscnt 0x3
	s_delay_alu instid0(VALU_DEP_1) | instskip(NEXT) | instid1(VALU_DEP_1)
	v_lshlrev_b64_e32 v[5:6], 2, v[5:6]
	v_add_co_u32 v5, vcc_lo, s10, v5
	s_wait_alu 0xfffd
	s_delay_alu instid0(VALU_DEP_2) | instskip(SKIP_3) | instid1(SALU_CYCLE_1)
	v_add_co_ci_u32_e64 v6, null, s11, v6, vcc_lo
	s_wait_dscnt 0x2
	global_store_b32 v[5:6], v3, off
	s_or_b32 exec_lo, exec_lo, s1
	s_mov_b32 s1, exec_lo
	v_cmpx_gt_u32_e64 s23, v33
	s_cbranch_execnz .LBB159_186
.LBB159_155:
	s_wait_alu 0xfffe
	s_or_b32 exec_lo, exec_lo, s1
	s_delay_alu instid0(SALU_CYCLE_1)
	s_mov_b32 s1, exec_lo
	v_cmpx_gt_u32_e64 s23, v32
	s_cbranch_execz .LBB159_191
.LBB159_156:
	s_mov_b32 s2, exec_lo
                                        ; implicit-def: $vgpr3_vgpr4
	v_cmpx_ge_u32_e64 v32, v16
	s_wait_alu 0xfffe
	s_xor_b32 s2, exec_lo, s2
	s_cbranch_execz .LBB159_158
; %bb.157:
	s_wait_dscnt 0x2
	v_xor_b32_e32 v3, 0xfffff5ff, v0
                                        ; implicit-def: $vgpr32
	s_delay_alu instid0(VALU_DEP_1) | instskip(SKIP_2) | instid1(VALU_DEP_2)
	v_ashrrev_i32_e32 v4, 31, v3
	v_add_co_u32 v3, vcc_lo, v19, v3
	s_wait_alu 0xfffd
	v_add_co_ci_u32_e64 v4, null, v20, v4, vcc_lo
.LBB159_158:
	s_wait_alu 0xfffe
	s_and_not1_saveexec_b32 s2, s2
	s_cbranch_execz .LBB159_160
; %bb.159:
	s_wait_dscnt 0x2
	v_add_co_u32 v3, vcc_lo, v15, v32
	s_wait_alu 0xfffd
	v_add_co_ci_u32_e64 v4, null, 0, v17, vcc_lo
.LBB159_160:
	s_wait_alu 0xfffe
	s_or_b32 exec_lo, exec_lo, s2
	s_wait_dscnt 0x2
	s_delay_alu instid0(VALU_DEP_1) | instskip(NEXT) | instid1(VALU_DEP_1)
	v_lshlrev_b64_e32 v[3:4], 2, v[3:4]
	v_add_co_u32 v3, vcc_lo, s10, v3
	s_wait_alu 0xfffd
	s_delay_alu instid0(VALU_DEP_2) | instskip(SKIP_3) | instid1(SALU_CYCLE_1)
	v_add_co_ci_u32_e64 v4, null, s11, v4, vcc_lo
	s_wait_dscnt 0x1
	global_store_b32 v[3:4], v1, off
	s_or_b32 exec_lo, exec_lo, s1
	s_mov_b32 s1, exec_lo
	v_cmpx_gt_u32_e64 s23, v31
	s_cbranch_execz .LBB159_197
	s_branch .LBB159_192
.LBB159_161:
	s_wait_alu 0xfffe
	s_or_b32 exec_lo, exec_lo, s1
	s_delay_alu instid0(SALU_CYCLE_1)
	s_mov_b32 s1, exec_lo
	v_cmpx_gt_u32_e64 s23, v41
	s_cbranch_execz .LBB159_131
.LBB159_162:
	s_mov_b32 s2, exec_lo
                                        ; implicit-def: $vgpr13_vgpr14
	v_cmpx_ge_u32_e64 v41, v16
	s_wait_alu 0xfffe
	s_xor_b32 s2, exec_lo, s2
	s_cbranch_execz .LBB159_164
; %bb.163:
	s_wait_dscnt 0x6
	v_xor_b32_e32 v11, 0xfffffeff, v0
                                        ; implicit-def: $vgpr41
	s_delay_alu instid0(VALU_DEP_1) | instskip(SKIP_2) | instid1(VALU_DEP_2)
	v_ashrrev_i32_e32 v14, 31, v11
	v_add_co_u32 v13, vcc_lo, v19, v11
	s_wait_alu 0xfffd
	v_add_co_ci_u32_e64 v14, null, v20, v14, vcc_lo
.LBB159_164:
	s_wait_alu 0xfffe
	s_and_not1_saveexec_b32 s2, s2
; %bb.165:
	v_add_co_u32 v13, vcc_lo, v15, v41
	s_wait_alu 0xfffd
	v_add_co_ci_u32_e64 v14, null, 0, v17, vcc_lo
; %bb.166:
	s_wait_alu 0xfffe
	s_or_b32 exec_lo, exec_lo, s2
	s_delay_alu instid0(VALU_DEP_1) | instskip(NEXT) | instid1(VALU_DEP_1)
	v_lshlrev_b64_e32 v[13:14], 2, v[13:14]
	v_add_co_u32 v13, vcc_lo, s10, v13
	s_wait_alu 0xfffd
	s_delay_alu instid0(VALU_DEP_2) | instskip(SKIP_3) | instid1(SALU_CYCLE_1)
	v_add_co_ci_u32_e64 v14, null, s11, v14, vcc_lo
	s_wait_dscnt 0x6
	global_store_b32 v[13:14], v12, off
	s_or_b32 exec_lo, exec_lo, s1
	s_mov_b32 s1, exec_lo
	v_cmpx_gt_u32_e64 s23, v40
	s_cbranch_execnz .LBB159_132
.LBB159_167:
	s_wait_alu 0xfffe
	s_or_b32 exec_lo, exec_lo, s1
	s_delay_alu instid0(SALU_CYCLE_1)
	s_mov_b32 s1, exec_lo
	v_cmpx_gt_u32_e64 s23, v39
	s_cbranch_execz .LBB159_137
.LBB159_168:
	s_mov_b32 s2, exec_lo
                                        ; implicit-def: $vgpr11_vgpr12
	v_cmpx_ge_u32_e64 v39, v16
	s_wait_alu 0xfffe
	s_xor_b32 s2, exec_lo, s2
	s_cbranch_execz .LBB159_170
; %bb.169:
	s_wait_dscnt 0x5
	v_xor_b32_e32 v9, 0xfffffcff, v0
                                        ; implicit-def: $vgpr39
	s_delay_alu instid0(VALU_DEP_1) | instskip(SKIP_2) | instid1(VALU_DEP_2)
	v_ashrrev_i32_e32 v12, 31, v9
	v_add_co_u32 v11, vcc_lo, v19, v9
	s_wait_alu 0xfffd
	v_add_co_ci_u32_e64 v12, null, v20, v12, vcc_lo
.LBB159_170:
	s_wait_alu 0xfffe
	s_and_not1_saveexec_b32 s2, s2
	s_cbranch_execz .LBB159_172
; %bb.171:
	s_wait_dscnt 0x6
	v_add_co_u32 v11, vcc_lo, v15, v39
	s_wait_alu 0xfffd
	v_add_co_ci_u32_e64 v12, null, 0, v17, vcc_lo
.LBB159_172:
	s_wait_alu 0xfffe
	s_or_b32 exec_lo, exec_lo, s2
	s_wait_dscnt 0x6
	s_delay_alu instid0(VALU_DEP_1) | instskip(NEXT) | instid1(VALU_DEP_1)
	v_lshlrev_b64_e32 v[11:12], 2, v[11:12]
	v_add_co_u32 v11, vcc_lo, s10, v11
	s_wait_alu 0xfffd
	s_delay_alu instid0(VALU_DEP_2) | instskip(SKIP_3) | instid1(SALU_CYCLE_1)
	v_add_co_ci_u32_e64 v12, null, s11, v12, vcc_lo
	s_wait_dscnt 0x5
	global_store_b32 v[11:12], v10, off
	s_or_b32 exec_lo, exec_lo, s1
	s_mov_b32 s1, exec_lo
	v_cmpx_gt_u32_e64 s23, v38
	s_cbranch_execnz .LBB159_138
.LBB159_173:
	s_wait_alu 0xfffe
	s_or_b32 exec_lo, exec_lo, s1
	s_delay_alu instid0(SALU_CYCLE_1)
	s_mov_b32 s1, exec_lo
	v_cmpx_gt_u32_e64 s23, v37
	s_cbranch_execz .LBB159_143
.LBB159_174:
	s_mov_b32 s2, exec_lo
                                        ; implicit-def: $vgpr9_vgpr10
	v_cmpx_ge_u32_e64 v37, v16
	s_wait_alu 0xfffe
	s_xor_b32 s2, exec_lo, s2
	s_cbranch_execz .LBB159_176
; %bb.175:
	s_wait_dscnt 0x4
	v_xor_b32_e32 v7, 0xfffffaff, v0
                                        ; implicit-def: $vgpr37
	s_delay_alu instid0(VALU_DEP_1) | instskip(SKIP_2) | instid1(VALU_DEP_2)
	v_ashrrev_i32_e32 v10, 31, v7
	v_add_co_u32 v9, vcc_lo, v19, v7
	s_wait_alu 0xfffd
	v_add_co_ci_u32_e64 v10, null, v20, v10, vcc_lo
.LBB159_176:
	s_wait_alu 0xfffe
	s_and_not1_saveexec_b32 s2, s2
	s_cbranch_execz .LBB159_178
; %bb.177:
	s_wait_dscnt 0x5
	v_add_co_u32 v9, vcc_lo, v15, v37
	s_wait_alu 0xfffd
	v_add_co_ci_u32_e64 v10, null, 0, v17, vcc_lo
.LBB159_178:
	s_wait_alu 0xfffe
	s_or_b32 exec_lo, exec_lo, s2
	s_wait_dscnt 0x5
	s_delay_alu instid0(VALU_DEP_1) | instskip(NEXT) | instid1(VALU_DEP_1)
	v_lshlrev_b64_e32 v[9:10], 2, v[9:10]
	v_add_co_u32 v9, vcc_lo, s10, v9
	s_wait_alu 0xfffd
	s_delay_alu instid0(VALU_DEP_2) | instskip(SKIP_3) | instid1(SALU_CYCLE_1)
	v_add_co_ci_u32_e64 v10, null, s11, v10, vcc_lo
	s_wait_dscnt 0x4
	global_store_b32 v[9:10], v8, off
	s_or_b32 exec_lo, exec_lo, s1
	s_mov_b32 s1, exec_lo
	v_cmpx_gt_u32_e64 s23, v36
	s_cbranch_execnz .LBB159_144
.LBB159_179:
	s_wait_alu 0xfffe
	s_or_b32 exec_lo, exec_lo, s1
	s_delay_alu instid0(SALU_CYCLE_1)
	s_mov_b32 s1, exec_lo
	v_cmpx_gt_u32_e64 s23, v35
	s_cbranch_execz .LBB159_149
.LBB159_180:
	s_mov_b32 s2, exec_lo
                                        ; implicit-def: $vgpr7_vgpr8
	v_cmpx_ge_u32_e64 v35, v16
	s_wait_alu 0xfffe
	s_xor_b32 s2, exec_lo, s2
	s_cbranch_execz .LBB159_182
; %bb.181:
	s_wait_dscnt 0x3
	v_xor_b32_e32 v5, 0xfffff8ff, v0
                                        ; implicit-def: $vgpr35
	s_delay_alu instid0(VALU_DEP_1) | instskip(SKIP_2) | instid1(VALU_DEP_2)
	v_ashrrev_i32_e32 v8, 31, v5
	v_add_co_u32 v7, vcc_lo, v19, v5
	s_wait_alu 0xfffd
	v_add_co_ci_u32_e64 v8, null, v20, v8, vcc_lo
.LBB159_182:
	s_wait_alu 0xfffe
	s_and_not1_saveexec_b32 s2, s2
	s_cbranch_execz .LBB159_184
; %bb.183:
	s_wait_dscnt 0x4
	v_add_co_u32 v7, vcc_lo, v15, v35
	s_wait_alu 0xfffd
	v_add_co_ci_u32_e64 v8, null, 0, v17, vcc_lo
.LBB159_184:
	s_wait_alu 0xfffe
	s_or_b32 exec_lo, exec_lo, s2
	s_wait_dscnt 0x4
	s_delay_alu instid0(VALU_DEP_1) | instskip(NEXT) | instid1(VALU_DEP_1)
	v_lshlrev_b64_e32 v[7:8], 2, v[7:8]
	v_add_co_u32 v7, vcc_lo, s10, v7
	s_wait_alu 0xfffd
	s_delay_alu instid0(VALU_DEP_2) | instskip(SKIP_3) | instid1(SALU_CYCLE_1)
	v_add_co_ci_u32_e64 v8, null, s11, v8, vcc_lo
	s_wait_dscnt 0x3
	global_store_b32 v[7:8], v6, off
	s_or_b32 exec_lo, exec_lo, s1
	s_mov_b32 s1, exec_lo
	v_cmpx_gt_u32_e64 s23, v34
	s_cbranch_execnz .LBB159_150
.LBB159_185:
	s_wait_alu 0xfffe
	s_or_b32 exec_lo, exec_lo, s1
	s_delay_alu instid0(SALU_CYCLE_1)
	s_mov_b32 s1, exec_lo
	v_cmpx_gt_u32_e64 s23, v33
	s_cbranch_execz .LBB159_155
.LBB159_186:
	s_mov_b32 s2, exec_lo
                                        ; implicit-def: $vgpr5_vgpr6
	v_cmpx_ge_u32_e64 v33, v16
	s_wait_alu 0xfffe
	s_xor_b32 s2, exec_lo, s2
	s_cbranch_execz .LBB159_188
; %bb.187:
	s_wait_dscnt 0x2
	v_xor_b32_e32 v3, 0xfffff6ff, v0
                                        ; implicit-def: $vgpr33
	s_delay_alu instid0(VALU_DEP_1) | instskip(SKIP_2) | instid1(VALU_DEP_2)
	v_ashrrev_i32_e32 v6, 31, v3
	v_add_co_u32 v5, vcc_lo, v19, v3
	s_wait_alu 0xfffd
	v_add_co_ci_u32_e64 v6, null, v20, v6, vcc_lo
.LBB159_188:
	s_wait_alu 0xfffe
	s_and_not1_saveexec_b32 s2, s2
	s_cbranch_execz .LBB159_190
; %bb.189:
	s_wait_dscnt 0x3
	v_add_co_u32 v5, vcc_lo, v15, v33
	s_wait_alu 0xfffd
	v_add_co_ci_u32_e64 v6, null, 0, v17, vcc_lo
.LBB159_190:
	s_wait_alu 0xfffe
	s_or_b32 exec_lo, exec_lo, s2
	s_wait_dscnt 0x3
	s_delay_alu instid0(VALU_DEP_1) | instskip(NEXT) | instid1(VALU_DEP_1)
	v_lshlrev_b64_e32 v[5:6], 2, v[5:6]
	v_add_co_u32 v5, vcc_lo, s10, v5
	s_wait_alu 0xfffd
	s_delay_alu instid0(VALU_DEP_2) | instskip(SKIP_3) | instid1(SALU_CYCLE_1)
	v_add_co_ci_u32_e64 v6, null, s11, v6, vcc_lo
	s_wait_dscnt 0x2
	global_store_b32 v[5:6], v4, off
	s_or_b32 exec_lo, exec_lo, s1
	s_mov_b32 s1, exec_lo
	v_cmpx_gt_u32_e64 s23, v32
	s_cbranch_execnz .LBB159_156
.LBB159_191:
	s_wait_alu 0xfffe
	s_or_b32 exec_lo, exec_lo, s1
	s_delay_alu instid0(SALU_CYCLE_1)
	s_mov_b32 s1, exec_lo
	v_cmpx_gt_u32_e64 s23, v31
	s_cbranch_execz .LBB159_197
.LBB159_192:
	s_mov_b32 s2, exec_lo
                                        ; implicit-def: $vgpr3_vgpr4
	v_cmpx_ge_u32_e64 v31, v16
	s_wait_alu 0xfffe
	s_xor_b32 s2, exec_lo, s2
	s_cbranch_execz .LBB159_194
; %bb.193:
	s_wait_dscnt 0x1
	v_xor_b32_e32 v1, 0xfffff4ff, v0
                                        ; implicit-def: $vgpr31
	s_delay_alu instid0(VALU_DEP_1) | instskip(SKIP_2) | instid1(VALU_DEP_2)
	v_ashrrev_i32_e32 v4, 31, v1
	v_add_co_u32 v3, vcc_lo, v19, v1
	s_wait_alu 0xfffd
	v_add_co_ci_u32_e64 v4, null, v20, v4, vcc_lo
.LBB159_194:
	s_wait_alu 0xfffe
	s_and_not1_saveexec_b32 s2, s2
	s_cbranch_execz .LBB159_196
; %bb.195:
	s_wait_dscnt 0x2
	v_add_co_u32 v3, vcc_lo, v15, v31
	s_wait_alu 0xfffd
	v_add_co_ci_u32_e64 v4, null, 0, v17, vcc_lo
.LBB159_196:
	s_wait_alu 0xfffe
	s_or_b32 exec_lo, exec_lo, s2
	s_wait_dscnt 0x2
	s_delay_alu instid0(VALU_DEP_1) | instskip(NEXT) | instid1(VALU_DEP_1)
	v_lshlrev_b64_e32 v[3:4], 2, v[3:4]
	v_add_co_u32 v3, vcc_lo, s10, v3
	s_wait_alu 0xfffd
	s_delay_alu instid0(VALU_DEP_2)
	v_add_co_ci_u32_e64 v4, null, s11, v4, vcc_lo
	s_wait_dscnt 0x1
	global_store_b32 v[3:4], v2, off
.LBB159_197:
	s_wait_alu 0xfffe
	s_or_b32 exec_lo, exec_lo, s1
	s_delay_alu instid0(SALU_CYCLE_1)
	s_mov_b32 s1, exec_lo
                                        ; implicit-def: $vgpr13_vgpr14
	v_cmpx_gt_u32_e64 s23, v30
	s_cbranch_execz .LBB159_203
; %bb.198:
	s_mov_b32 s2, exec_lo
                                        ; implicit-def: $vgpr13_vgpr14
	v_cmpx_ge_u32_e64 v30, v16
	s_wait_alu 0xfffe
	s_xor_b32 s2, exec_lo, s2
	s_cbranch_execz .LBB159_200
; %bb.199:
	s_wait_dscnt 0x1
	v_xor_b32_e32 v1, 0xfffff3ff, v0
                                        ; implicit-def: $vgpr30
	s_delay_alu instid0(VALU_DEP_1) | instskip(SKIP_2) | instid1(VALU_DEP_2)
	v_ashrrev_i32_e32 v2, 31, v1
	v_add_co_u32 v13, vcc_lo, v19, v1
	s_wait_alu 0xfffd
	v_add_co_ci_u32_e64 v14, null, v20, v2, vcc_lo
.LBB159_200:
	s_wait_alu 0xfffe
	s_and_not1_saveexec_b32 s2, s2
; %bb.201:
	v_add_co_u32 v13, vcc_lo, v15, v30
	s_wait_alu 0xfffd
	v_add_co_ci_u32_e64 v14, null, 0, v17, vcc_lo
; %bb.202:
	s_wait_alu 0xfffe
	s_or_b32 exec_lo, exec_lo, s2
	s_delay_alu instid0(SALU_CYCLE_1)
	s_or_b32 s0, s0, exec_lo
.LBB159_203:
	s_wait_alu 0xfffe
	s_or_b32 exec_lo, exec_lo, s1
.LBB159_204:
	s_wait_alu 0xfffe
	s_and_saveexec_b32 s1, s0
	s_cbranch_execz .LBB159_206
; %bb.205:
	s_wait_dscnt 0x1
	v_lshlrev_b64_e32 v[1:2], 2, v[13:14]
	s_delay_alu instid0(VALU_DEP_1) | instskip(SKIP_1) | instid1(VALU_DEP_2)
	v_add_co_u32 v1, vcc_lo, s10, v1
	s_wait_alu 0xfffd
	v_add_co_ci_u32_e64 v2, null, s11, v2, vcc_lo
	s_wait_dscnt 0x0
	global_store_b32 v[1:2], v18, off
.LBB159_206:
	s_wait_alu 0xfffe
	s_or_b32 exec_lo, exec_lo, s1
	v_cmp_eq_u32_e32 vcc_lo, 0, v0
	s_and_b32 s0, vcc_lo, s22
	s_wait_alu 0xfffe
	s_and_saveexec_b32 s1, s0
	s_cbranch_execz .LBB159_208
; %bb.207:
	v_add_co_u32 v0, vcc_lo, v15, v16
	s_wait_dscnt 0x1
	v_mov_b32_e32 v2, 0
	s_wait_alu 0xfffd
	v_add_co_ci_u32_e64 v1, null, 0, v17, vcc_lo
	global_store_b64 v2, v[0:1], s[8:9]
.LBB159_208:
	s_endpgm
	.section	.rodata,"a",@progbits
	.p2align	6, 0x0
	.amdhsa_kernel _ZN7rocprim17ROCPRIM_400000_NS6detail17trampoline_kernelINS0_13select_configILj256ELj13ELNS0_17block_load_methodE3ELS4_3ELS4_3ELNS0_20block_scan_algorithmE0ELj4294967295EEENS1_25partition_config_selectorILNS1_17partition_subalgoE3EjNS0_10empty_typeEbEEZZNS1_14partition_implILS8_3ELb0ES6_jNS0_17counting_iteratorIjlEEPS9_SE_NS0_5tupleIJPjSE_EEENSF_IJSE_SE_EEES9_SG_JZNS1_25segmented_radix_sort_implINS0_14default_configELb0EPKhPhPKlPlN2at6native12_GLOBAL__N_18offset_tEEE10hipError_tPvRmT1_PNSt15iterator_traitsISY_E10value_typeET2_T3_PNSZ_IS14_E10value_typeET4_jRbjT5_S1A_jjP12ihipStream_tbEUljE_EEESV_SW_SX_S14_S18_S1A_T6_T7_T9_mT8_S1C_bDpT10_ENKUlT_T0_E_clISt17integral_constantIbLb0EES1P_EEDaS1K_S1L_EUlS1K_E_NS1_11comp_targetILNS1_3genE10ELNS1_11target_archE1200ELNS1_3gpuE4ELNS1_3repE0EEENS1_30default_config_static_selectorELNS0_4arch9wavefront6targetE0EEEvSY_
		.amdhsa_group_segment_fixed_size 13320
		.amdhsa_private_segment_fixed_size 0
		.amdhsa_kernarg_size 144
		.amdhsa_user_sgpr_count 2
		.amdhsa_user_sgpr_dispatch_ptr 0
		.amdhsa_user_sgpr_queue_ptr 0
		.amdhsa_user_sgpr_kernarg_segment_ptr 1
		.amdhsa_user_sgpr_dispatch_id 0
		.amdhsa_user_sgpr_private_segment_size 0
		.amdhsa_wavefront_size32 1
		.amdhsa_uses_dynamic_stack 0
		.amdhsa_enable_private_segment 0
		.amdhsa_system_sgpr_workgroup_id_x 1
		.amdhsa_system_sgpr_workgroup_id_y 0
		.amdhsa_system_sgpr_workgroup_id_z 0
		.amdhsa_system_sgpr_workgroup_info 0
		.amdhsa_system_vgpr_workitem_id 0
		.amdhsa_next_free_vgpr 69
		.amdhsa_next_free_sgpr 26
		.amdhsa_reserve_vcc 1
		.amdhsa_float_round_mode_32 0
		.amdhsa_float_round_mode_16_64 0
		.amdhsa_float_denorm_mode_32 3
		.amdhsa_float_denorm_mode_16_64 3
		.amdhsa_fp16_overflow 0
		.amdhsa_workgroup_processor_mode 1
		.amdhsa_memory_ordered 1
		.amdhsa_forward_progress 1
		.amdhsa_inst_pref_size 84
		.amdhsa_round_robin_scheduling 0
		.amdhsa_exception_fp_ieee_invalid_op 0
		.amdhsa_exception_fp_denorm_src 0
		.amdhsa_exception_fp_ieee_div_zero 0
		.amdhsa_exception_fp_ieee_overflow 0
		.amdhsa_exception_fp_ieee_underflow 0
		.amdhsa_exception_fp_ieee_inexact 0
		.amdhsa_exception_int_div_zero 0
	.end_amdhsa_kernel
	.section	.text._ZN7rocprim17ROCPRIM_400000_NS6detail17trampoline_kernelINS0_13select_configILj256ELj13ELNS0_17block_load_methodE3ELS4_3ELS4_3ELNS0_20block_scan_algorithmE0ELj4294967295EEENS1_25partition_config_selectorILNS1_17partition_subalgoE3EjNS0_10empty_typeEbEEZZNS1_14partition_implILS8_3ELb0ES6_jNS0_17counting_iteratorIjlEEPS9_SE_NS0_5tupleIJPjSE_EEENSF_IJSE_SE_EEES9_SG_JZNS1_25segmented_radix_sort_implINS0_14default_configELb0EPKhPhPKlPlN2at6native12_GLOBAL__N_18offset_tEEE10hipError_tPvRmT1_PNSt15iterator_traitsISY_E10value_typeET2_T3_PNSZ_IS14_E10value_typeET4_jRbjT5_S1A_jjP12ihipStream_tbEUljE_EEESV_SW_SX_S14_S18_S1A_T6_T7_T9_mT8_S1C_bDpT10_ENKUlT_T0_E_clISt17integral_constantIbLb0EES1P_EEDaS1K_S1L_EUlS1K_E_NS1_11comp_targetILNS1_3genE10ELNS1_11target_archE1200ELNS1_3gpuE4ELNS1_3repE0EEENS1_30default_config_static_selectorELNS0_4arch9wavefront6targetE0EEEvSY_,"axG",@progbits,_ZN7rocprim17ROCPRIM_400000_NS6detail17trampoline_kernelINS0_13select_configILj256ELj13ELNS0_17block_load_methodE3ELS4_3ELS4_3ELNS0_20block_scan_algorithmE0ELj4294967295EEENS1_25partition_config_selectorILNS1_17partition_subalgoE3EjNS0_10empty_typeEbEEZZNS1_14partition_implILS8_3ELb0ES6_jNS0_17counting_iteratorIjlEEPS9_SE_NS0_5tupleIJPjSE_EEENSF_IJSE_SE_EEES9_SG_JZNS1_25segmented_radix_sort_implINS0_14default_configELb0EPKhPhPKlPlN2at6native12_GLOBAL__N_18offset_tEEE10hipError_tPvRmT1_PNSt15iterator_traitsISY_E10value_typeET2_T3_PNSZ_IS14_E10value_typeET4_jRbjT5_S1A_jjP12ihipStream_tbEUljE_EEESV_SW_SX_S14_S18_S1A_T6_T7_T9_mT8_S1C_bDpT10_ENKUlT_T0_E_clISt17integral_constantIbLb0EES1P_EEDaS1K_S1L_EUlS1K_E_NS1_11comp_targetILNS1_3genE10ELNS1_11target_archE1200ELNS1_3gpuE4ELNS1_3repE0EEENS1_30default_config_static_selectorELNS0_4arch9wavefront6targetE0EEEvSY_,comdat
.Lfunc_end159:
	.size	_ZN7rocprim17ROCPRIM_400000_NS6detail17trampoline_kernelINS0_13select_configILj256ELj13ELNS0_17block_load_methodE3ELS4_3ELS4_3ELNS0_20block_scan_algorithmE0ELj4294967295EEENS1_25partition_config_selectorILNS1_17partition_subalgoE3EjNS0_10empty_typeEbEEZZNS1_14partition_implILS8_3ELb0ES6_jNS0_17counting_iteratorIjlEEPS9_SE_NS0_5tupleIJPjSE_EEENSF_IJSE_SE_EEES9_SG_JZNS1_25segmented_radix_sort_implINS0_14default_configELb0EPKhPhPKlPlN2at6native12_GLOBAL__N_18offset_tEEE10hipError_tPvRmT1_PNSt15iterator_traitsISY_E10value_typeET2_T3_PNSZ_IS14_E10value_typeET4_jRbjT5_S1A_jjP12ihipStream_tbEUljE_EEESV_SW_SX_S14_S18_S1A_T6_T7_T9_mT8_S1C_bDpT10_ENKUlT_T0_E_clISt17integral_constantIbLb0EES1P_EEDaS1K_S1L_EUlS1K_E_NS1_11comp_targetILNS1_3genE10ELNS1_11target_archE1200ELNS1_3gpuE4ELNS1_3repE0EEENS1_30default_config_static_selectorELNS0_4arch9wavefront6targetE0EEEvSY_, .Lfunc_end159-_ZN7rocprim17ROCPRIM_400000_NS6detail17trampoline_kernelINS0_13select_configILj256ELj13ELNS0_17block_load_methodE3ELS4_3ELS4_3ELNS0_20block_scan_algorithmE0ELj4294967295EEENS1_25partition_config_selectorILNS1_17partition_subalgoE3EjNS0_10empty_typeEbEEZZNS1_14partition_implILS8_3ELb0ES6_jNS0_17counting_iteratorIjlEEPS9_SE_NS0_5tupleIJPjSE_EEENSF_IJSE_SE_EEES9_SG_JZNS1_25segmented_radix_sort_implINS0_14default_configELb0EPKhPhPKlPlN2at6native12_GLOBAL__N_18offset_tEEE10hipError_tPvRmT1_PNSt15iterator_traitsISY_E10value_typeET2_T3_PNSZ_IS14_E10value_typeET4_jRbjT5_S1A_jjP12ihipStream_tbEUljE_EEESV_SW_SX_S14_S18_S1A_T6_T7_T9_mT8_S1C_bDpT10_ENKUlT_T0_E_clISt17integral_constantIbLb0EES1P_EEDaS1K_S1L_EUlS1K_E_NS1_11comp_targetILNS1_3genE10ELNS1_11target_archE1200ELNS1_3gpuE4ELNS1_3repE0EEENS1_30default_config_static_selectorELNS0_4arch9wavefront6targetE0EEEvSY_
                                        ; -- End function
	.set _ZN7rocprim17ROCPRIM_400000_NS6detail17trampoline_kernelINS0_13select_configILj256ELj13ELNS0_17block_load_methodE3ELS4_3ELS4_3ELNS0_20block_scan_algorithmE0ELj4294967295EEENS1_25partition_config_selectorILNS1_17partition_subalgoE3EjNS0_10empty_typeEbEEZZNS1_14partition_implILS8_3ELb0ES6_jNS0_17counting_iteratorIjlEEPS9_SE_NS0_5tupleIJPjSE_EEENSF_IJSE_SE_EEES9_SG_JZNS1_25segmented_radix_sort_implINS0_14default_configELb0EPKhPhPKlPlN2at6native12_GLOBAL__N_18offset_tEEE10hipError_tPvRmT1_PNSt15iterator_traitsISY_E10value_typeET2_T3_PNSZ_IS14_E10value_typeET4_jRbjT5_S1A_jjP12ihipStream_tbEUljE_EEESV_SW_SX_S14_S18_S1A_T6_T7_T9_mT8_S1C_bDpT10_ENKUlT_T0_E_clISt17integral_constantIbLb0EES1P_EEDaS1K_S1L_EUlS1K_E_NS1_11comp_targetILNS1_3genE10ELNS1_11target_archE1200ELNS1_3gpuE4ELNS1_3repE0EEENS1_30default_config_static_selectorELNS0_4arch9wavefront6targetE0EEEvSY_.num_vgpr, 69
	.set _ZN7rocprim17ROCPRIM_400000_NS6detail17trampoline_kernelINS0_13select_configILj256ELj13ELNS0_17block_load_methodE3ELS4_3ELS4_3ELNS0_20block_scan_algorithmE0ELj4294967295EEENS1_25partition_config_selectorILNS1_17partition_subalgoE3EjNS0_10empty_typeEbEEZZNS1_14partition_implILS8_3ELb0ES6_jNS0_17counting_iteratorIjlEEPS9_SE_NS0_5tupleIJPjSE_EEENSF_IJSE_SE_EEES9_SG_JZNS1_25segmented_radix_sort_implINS0_14default_configELb0EPKhPhPKlPlN2at6native12_GLOBAL__N_18offset_tEEE10hipError_tPvRmT1_PNSt15iterator_traitsISY_E10value_typeET2_T3_PNSZ_IS14_E10value_typeET4_jRbjT5_S1A_jjP12ihipStream_tbEUljE_EEESV_SW_SX_S14_S18_S1A_T6_T7_T9_mT8_S1C_bDpT10_ENKUlT_T0_E_clISt17integral_constantIbLb0EES1P_EEDaS1K_S1L_EUlS1K_E_NS1_11comp_targetILNS1_3genE10ELNS1_11target_archE1200ELNS1_3gpuE4ELNS1_3repE0EEENS1_30default_config_static_selectorELNS0_4arch9wavefront6targetE0EEEvSY_.num_agpr, 0
	.set _ZN7rocprim17ROCPRIM_400000_NS6detail17trampoline_kernelINS0_13select_configILj256ELj13ELNS0_17block_load_methodE3ELS4_3ELS4_3ELNS0_20block_scan_algorithmE0ELj4294967295EEENS1_25partition_config_selectorILNS1_17partition_subalgoE3EjNS0_10empty_typeEbEEZZNS1_14partition_implILS8_3ELb0ES6_jNS0_17counting_iteratorIjlEEPS9_SE_NS0_5tupleIJPjSE_EEENSF_IJSE_SE_EEES9_SG_JZNS1_25segmented_radix_sort_implINS0_14default_configELb0EPKhPhPKlPlN2at6native12_GLOBAL__N_18offset_tEEE10hipError_tPvRmT1_PNSt15iterator_traitsISY_E10value_typeET2_T3_PNSZ_IS14_E10value_typeET4_jRbjT5_S1A_jjP12ihipStream_tbEUljE_EEESV_SW_SX_S14_S18_S1A_T6_T7_T9_mT8_S1C_bDpT10_ENKUlT_T0_E_clISt17integral_constantIbLb0EES1P_EEDaS1K_S1L_EUlS1K_E_NS1_11comp_targetILNS1_3genE10ELNS1_11target_archE1200ELNS1_3gpuE4ELNS1_3repE0EEENS1_30default_config_static_selectorELNS0_4arch9wavefront6targetE0EEEvSY_.numbered_sgpr, 26
	.set _ZN7rocprim17ROCPRIM_400000_NS6detail17trampoline_kernelINS0_13select_configILj256ELj13ELNS0_17block_load_methodE3ELS4_3ELS4_3ELNS0_20block_scan_algorithmE0ELj4294967295EEENS1_25partition_config_selectorILNS1_17partition_subalgoE3EjNS0_10empty_typeEbEEZZNS1_14partition_implILS8_3ELb0ES6_jNS0_17counting_iteratorIjlEEPS9_SE_NS0_5tupleIJPjSE_EEENSF_IJSE_SE_EEES9_SG_JZNS1_25segmented_radix_sort_implINS0_14default_configELb0EPKhPhPKlPlN2at6native12_GLOBAL__N_18offset_tEEE10hipError_tPvRmT1_PNSt15iterator_traitsISY_E10value_typeET2_T3_PNSZ_IS14_E10value_typeET4_jRbjT5_S1A_jjP12ihipStream_tbEUljE_EEESV_SW_SX_S14_S18_S1A_T6_T7_T9_mT8_S1C_bDpT10_ENKUlT_T0_E_clISt17integral_constantIbLb0EES1P_EEDaS1K_S1L_EUlS1K_E_NS1_11comp_targetILNS1_3genE10ELNS1_11target_archE1200ELNS1_3gpuE4ELNS1_3repE0EEENS1_30default_config_static_selectorELNS0_4arch9wavefront6targetE0EEEvSY_.num_named_barrier, 0
	.set _ZN7rocprim17ROCPRIM_400000_NS6detail17trampoline_kernelINS0_13select_configILj256ELj13ELNS0_17block_load_methodE3ELS4_3ELS4_3ELNS0_20block_scan_algorithmE0ELj4294967295EEENS1_25partition_config_selectorILNS1_17partition_subalgoE3EjNS0_10empty_typeEbEEZZNS1_14partition_implILS8_3ELb0ES6_jNS0_17counting_iteratorIjlEEPS9_SE_NS0_5tupleIJPjSE_EEENSF_IJSE_SE_EEES9_SG_JZNS1_25segmented_radix_sort_implINS0_14default_configELb0EPKhPhPKlPlN2at6native12_GLOBAL__N_18offset_tEEE10hipError_tPvRmT1_PNSt15iterator_traitsISY_E10value_typeET2_T3_PNSZ_IS14_E10value_typeET4_jRbjT5_S1A_jjP12ihipStream_tbEUljE_EEESV_SW_SX_S14_S18_S1A_T6_T7_T9_mT8_S1C_bDpT10_ENKUlT_T0_E_clISt17integral_constantIbLb0EES1P_EEDaS1K_S1L_EUlS1K_E_NS1_11comp_targetILNS1_3genE10ELNS1_11target_archE1200ELNS1_3gpuE4ELNS1_3repE0EEENS1_30default_config_static_selectorELNS0_4arch9wavefront6targetE0EEEvSY_.private_seg_size, 0
	.set _ZN7rocprim17ROCPRIM_400000_NS6detail17trampoline_kernelINS0_13select_configILj256ELj13ELNS0_17block_load_methodE3ELS4_3ELS4_3ELNS0_20block_scan_algorithmE0ELj4294967295EEENS1_25partition_config_selectorILNS1_17partition_subalgoE3EjNS0_10empty_typeEbEEZZNS1_14partition_implILS8_3ELb0ES6_jNS0_17counting_iteratorIjlEEPS9_SE_NS0_5tupleIJPjSE_EEENSF_IJSE_SE_EEES9_SG_JZNS1_25segmented_radix_sort_implINS0_14default_configELb0EPKhPhPKlPlN2at6native12_GLOBAL__N_18offset_tEEE10hipError_tPvRmT1_PNSt15iterator_traitsISY_E10value_typeET2_T3_PNSZ_IS14_E10value_typeET4_jRbjT5_S1A_jjP12ihipStream_tbEUljE_EEESV_SW_SX_S14_S18_S1A_T6_T7_T9_mT8_S1C_bDpT10_ENKUlT_T0_E_clISt17integral_constantIbLb0EES1P_EEDaS1K_S1L_EUlS1K_E_NS1_11comp_targetILNS1_3genE10ELNS1_11target_archE1200ELNS1_3gpuE4ELNS1_3repE0EEENS1_30default_config_static_selectorELNS0_4arch9wavefront6targetE0EEEvSY_.uses_vcc, 1
	.set _ZN7rocprim17ROCPRIM_400000_NS6detail17trampoline_kernelINS0_13select_configILj256ELj13ELNS0_17block_load_methodE3ELS4_3ELS4_3ELNS0_20block_scan_algorithmE0ELj4294967295EEENS1_25partition_config_selectorILNS1_17partition_subalgoE3EjNS0_10empty_typeEbEEZZNS1_14partition_implILS8_3ELb0ES6_jNS0_17counting_iteratorIjlEEPS9_SE_NS0_5tupleIJPjSE_EEENSF_IJSE_SE_EEES9_SG_JZNS1_25segmented_radix_sort_implINS0_14default_configELb0EPKhPhPKlPlN2at6native12_GLOBAL__N_18offset_tEEE10hipError_tPvRmT1_PNSt15iterator_traitsISY_E10value_typeET2_T3_PNSZ_IS14_E10value_typeET4_jRbjT5_S1A_jjP12ihipStream_tbEUljE_EEESV_SW_SX_S14_S18_S1A_T6_T7_T9_mT8_S1C_bDpT10_ENKUlT_T0_E_clISt17integral_constantIbLb0EES1P_EEDaS1K_S1L_EUlS1K_E_NS1_11comp_targetILNS1_3genE10ELNS1_11target_archE1200ELNS1_3gpuE4ELNS1_3repE0EEENS1_30default_config_static_selectorELNS0_4arch9wavefront6targetE0EEEvSY_.uses_flat_scratch, 0
	.set _ZN7rocprim17ROCPRIM_400000_NS6detail17trampoline_kernelINS0_13select_configILj256ELj13ELNS0_17block_load_methodE3ELS4_3ELS4_3ELNS0_20block_scan_algorithmE0ELj4294967295EEENS1_25partition_config_selectorILNS1_17partition_subalgoE3EjNS0_10empty_typeEbEEZZNS1_14partition_implILS8_3ELb0ES6_jNS0_17counting_iteratorIjlEEPS9_SE_NS0_5tupleIJPjSE_EEENSF_IJSE_SE_EEES9_SG_JZNS1_25segmented_radix_sort_implINS0_14default_configELb0EPKhPhPKlPlN2at6native12_GLOBAL__N_18offset_tEEE10hipError_tPvRmT1_PNSt15iterator_traitsISY_E10value_typeET2_T3_PNSZ_IS14_E10value_typeET4_jRbjT5_S1A_jjP12ihipStream_tbEUljE_EEESV_SW_SX_S14_S18_S1A_T6_T7_T9_mT8_S1C_bDpT10_ENKUlT_T0_E_clISt17integral_constantIbLb0EES1P_EEDaS1K_S1L_EUlS1K_E_NS1_11comp_targetILNS1_3genE10ELNS1_11target_archE1200ELNS1_3gpuE4ELNS1_3repE0EEENS1_30default_config_static_selectorELNS0_4arch9wavefront6targetE0EEEvSY_.has_dyn_sized_stack, 0
	.set _ZN7rocprim17ROCPRIM_400000_NS6detail17trampoline_kernelINS0_13select_configILj256ELj13ELNS0_17block_load_methodE3ELS4_3ELS4_3ELNS0_20block_scan_algorithmE0ELj4294967295EEENS1_25partition_config_selectorILNS1_17partition_subalgoE3EjNS0_10empty_typeEbEEZZNS1_14partition_implILS8_3ELb0ES6_jNS0_17counting_iteratorIjlEEPS9_SE_NS0_5tupleIJPjSE_EEENSF_IJSE_SE_EEES9_SG_JZNS1_25segmented_radix_sort_implINS0_14default_configELb0EPKhPhPKlPlN2at6native12_GLOBAL__N_18offset_tEEE10hipError_tPvRmT1_PNSt15iterator_traitsISY_E10value_typeET2_T3_PNSZ_IS14_E10value_typeET4_jRbjT5_S1A_jjP12ihipStream_tbEUljE_EEESV_SW_SX_S14_S18_S1A_T6_T7_T9_mT8_S1C_bDpT10_ENKUlT_T0_E_clISt17integral_constantIbLb0EES1P_EEDaS1K_S1L_EUlS1K_E_NS1_11comp_targetILNS1_3genE10ELNS1_11target_archE1200ELNS1_3gpuE4ELNS1_3repE0EEENS1_30default_config_static_selectorELNS0_4arch9wavefront6targetE0EEEvSY_.has_recursion, 0
	.set _ZN7rocprim17ROCPRIM_400000_NS6detail17trampoline_kernelINS0_13select_configILj256ELj13ELNS0_17block_load_methodE3ELS4_3ELS4_3ELNS0_20block_scan_algorithmE0ELj4294967295EEENS1_25partition_config_selectorILNS1_17partition_subalgoE3EjNS0_10empty_typeEbEEZZNS1_14partition_implILS8_3ELb0ES6_jNS0_17counting_iteratorIjlEEPS9_SE_NS0_5tupleIJPjSE_EEENSF_IJSE_SE_EEES9_SG_JZNS1_25segmented_radix_sort_implINS0_14default_configELb0EPKhPhPKlPlN2at6native12_GLOBAL__N_18offset_tEEE10hipError_tPvRmT1_PNSt15iterator_traitsISY_E10value_typeET2_T3_PNSZ_IS14_E10value_typeET4_jRbjT5_S1A_jjP12ihipStream_tbEUljE_EEESV_SW_SX_S14_S18_S1A_T6_T7_T9_mT8_S1C_bDpT10_ENKUlT_T0_E_clISt17integral_constantIbLb0EES1P_EEDaS1K_S1L_EUlS1K_E_NS1_11comp_targetILNS1_3genE10ELNS1_11target_archE1200ELNS1_3gpuE4ELNS1_3repE0EEENS1_30default_config_static_selectorELNS0_4arch9wavefront6targetE0EEEvSY_.has_indirect_call, 0
	.section	.AMDGPU.csdata,"",@progbits
; Kernel info:
; codeLenInByte = 10676
; TotalNumSgprs: 28
; NumVgprs: 69
; ScratchSize: 0
; MemoryBound: 0
; FloatMode: 240
; IeeeMode: 1
; LDSByteSize: 13320 bytes/workgroup (compile time only)
; SGPRBlocks: 0
; VGPRBlocks: 8
; NumSGPRsForWavesPerEU: 28
; NumVGPRsForWavesPerEU: 69
; Occupancy: 16
; WaveLimiterHint : 0
; COMPUTE_PGM_RSRC2:SCRATCH_EN: 0
; COMPUTE_PGM_RSRC2:USER_SGPR: 2
; COMPUTE_PGM_RSRC2:TRAP_HANDLER: 0
; COMPUTE_PGM_RSRC2:TGID_X_EN: 1
; COMPUTE_PGM_RSRC2:TGID_Y_EN: 0
; COMPUTE_PGM_RSRC2:TGID_Z_EN: 0
; COMPUTE_PGM_RSRC2:TIDIG_COMP_CNT: 0
	.section	.text._ZN7rocprim17ROCPRIM_400000_NS6detail17trampoline_kernelINS0_13select_configILj256ELj13ELNS0_17block_load_methodE3ELS4_3ELS4_3ELNS0_20block_scan_algorithmE0ELj4294967295EEENS1_25partition_config_selectorILNS1_17partition_subalgoE3EjNS0_10empty_typeEbEEZZNS1_14partition_implILS8_3ELb0ES6_jNS0_17counting_iteratorIjlEEPS9_SE_NS0_5tupleIJPjSE_EEENSF_IJSE_SE_EEES9_SG_JZNS1_25segmented_radix_sort_implINS0_14default_configELb0EPKhPhPKlPlN2at6native12_GLOBAL__N_18offset_tEEE10hipError_tPvRmT1_PNSt15iterator_traitsISY_E10value_typeET2_T3_PNSZ_IS14_E10value_typeET4_jRbjT5_S1A_jjP12ihipStream_tbEUljE_EEESV_SW_SX_S14_S18_S1A_T6_T7_T9_mT8_S1C_bDpT10_ENKUlT_T0_E_clISt17integral_constantIbLb0EES1P_EEDaS1K_S1L_EUlS1K_E_NS1_11comp_targetILNS1_3genE9ELNS1_11target_archE1100ELNS1_3gpuE3ELNS1_3repE0EEENS1_30default_config_static_selectorELNS0_4arch9wavefront6targetE0EEEvSY_,"axG",@progbits,_ZN7rocprim17ROCPRIM_400000_NS6detail17trampoline_kernelINS0_13select_configILj256ELj13ELNS0_17block_load_methodE3ELS4_3ELS4_3ELNS0_20block_scan_algorithmE0ELj4294967295EEENS1_25partition_config_selectorILNS1_17partition_subalgoE3EjNS0_10empty_typeEbEEZZNS1_14partition_implILS8_3ELb0ES6_jNS0_17counting_iteratorIjlEEPS9_SE_NS0_5tupleIJPjSE_EEENSF_IJSE_SE_EEES9_SG_JZNS1_25segmented_radix_sort_implINS0_14default_configELb0EPKhPhPKlPlN2at6native12_GLOBAL__N_18offset_tEEE10hipError_tPvRmT1_PNSt15iterator_traitsISY_E10value_typeET2_T3_PNSZ_IS14_E10value_typeET4_jRbjT5_S1A_jjP12ihipStream_tbEUljE_EEESV_SW_SX_S14_S18_S1A_T6_T7_T9_mT8_S1C_bDpT10_ENKUlT_T0_E_clISt17integral_constantIbLb0EES1P_EEDaS1K_S1L_EUlS1K_E_NS1_11comp_targetILNS1_3genE9ELNS1_11target_archE1100ELNS1_3gpuE3ELNS1_3repE0EEENS1_30default_config_static_selectorELNS0_4arch9wavefront6targetE0EEEvSY_,comdat
	.globl	_ZN7rocprim17ROCPRIM_400000_NS6detail17trampoline_kernelINS0_13select_configILj256ELj13ELNS0_17block_load_methodE3ELS4_3ELS4_3ELNS0_20block_scan_algorithmE0ELj4294967295EEENS1_25partition_config_selectorILNS1_17partition_subalgoE3EjNS0_10empty_typeEbEEZZNS1_14partition_implILS8_3ELb0ES6_jNS0_17counting_iteratorIjlEEPS9_SE_NS0_5tupleIJPjSE_EEENSF_IJSE_SE_EEES9_SG_JZNS1_25segmented_radix_sort_implINS0_14default_configELb0EPKhPhPKlPlN2at6native12_GLOBAL__N_18offset_tEEE10hipError_tPvRmT1_PNSt15iterator_traitsISY_E10value_typeET2_T3_PNSZ_IS14_E10value_typeET4_jRbjT5_S1A_jjP12ihipStream_tbEUljE_EEESV_SW_SX_S14_S18_S1A_T6_T7_T9_mT8_S1C_bDpT10_ENKUlT_T0_E_clISt17integral_constantIbLb0EES1P_EEDaS1K_S1L_EUlS1K_E_NS1_11comp_targetILNS1_3genE9ELNS1_11target_archE1100ELNS1_3gpuE3ELNS1_3repE0EEENS1_30default_config_static_selectorELNS0_4arch9wavefront6targetE0EEEvSY_ ; -- Begin function _ZN7rocprim17ROCPRIM_400000_NS6detail17trampoline_kernelINS0_13select_configILj256ELj13ELNS0_17block_load_methodE3ELS4_3ELS4_3ELNS0_20block_scan_algorithmE0ELj4294967295EEENS1_25partition_config_selectorILNS1_17partition_subalgoE3EjNS0_10empty_typeEbEEZZNS1_14partition_implILS8_3ELb0ES6_jNS0_17counting_iteratorIjlEEPS9_SE_NS0_5tupleIJPjSE_EEENSF_IJSE_SE_EEES9_SG_JZNS1_25segmented_radix_sort_implINS0_14default_configELb0EPKhPhPKlPlN2at6native12_GLOBAL__N_18offset_tEEE10hipError_tPvRmT1_PNSt15iterator_traitsISY_E10value_typeET2_T3_PNSZ_IS14_E10value_typeET4_jRbjT5_S1A_jjP12ihipStream_tbEUljE_EEESV_SW_SX_S14_S18_S1A_T6_T7_T9_mT8_S1C_bDpT10_ENKUlT_T0_E_clISt17integral_constantIbLb0EES1P_EEDaS1K_S1L_EUlS1K_E_NS1_11comp_targetILNS1_3genE9ELNS1_11target_archE1100ELNS1_3gpuE3ELNS1_3repE0EEENS1_30default_config_static_selectorELNS0_4arch9wavefront6targetE0EEEvSY_
	.p2align	8
	.type	_ZN7rocprim17ROCPRIM_400000_NS6detail17trampoline_kernelINS0_13select_configILj256ELj13ELNS0_17block_load_methodE3ELS4_3ELS4_3ELNS0_20block_scan_algorithmE0ELj4294967295EEENS1_25partition_config_selectorILNS1_17partition_subalgoE3EjNS0_10empty_typeEbEEZZNS1_14partition_implILS8_3ELb0ES6_jNS0_17counting_iteratorIjlEEPS9_SE_NS0_5tupleIJPjSE_EEENSF_IJSE_SE_EEES9_SG_JZNS1_25segmented_radix_sort_implINS0_14default_configELb0EPKhPhPKlPlN2at6native12_GLOBAL__N_18offset_tEEE10hipError_tPvRmT1_PNSt15iterator_traitsISY_E10value_typeET2_T3_PNSZ_IS14_E10value_typeET4_jRbjT5_S1A_jjP12ihipStream_tbEUljE_EEESV_SW_SX_S14_S18_S1A_T6_T7_T9_mT8_S1C_bDpT10_ENKUlT_T0_E_clISt17integral_constantIbLb0EES1P_EEDaS1K_S1L_EUlS1K_E_NS1_11comp_targetILNS1_3genE9ELNS1_11target_archE1100ELNS1_3gpuE3ELNS1_3repE0EEENS1_30default_config_static_selectorELNS0_4arch9wavefront6targetE0EEEvSY_,@function
_ZN7rocprim17ROCPRIM_400000_NS6detail17trampoline_kernelINS0_13select_configILj256ELj13ELNS0_17block_load_methodE3ELS4_3ELS4_3ELNS0_20block_scan_algorithmE0ELj4294967295EEENS1_25partition_config_selectorILNS1_17partition_subalgoE3EjNS0_10empty_typeEbEEZZNS1_14partition_implILS8_3ELb0ES6_jNS0_17counting_iteratorIjlEEPS9_SE_NS0_5tupleIJPjSE_EEENSF_IJSE_SE_EEES9_SG_JZNS1_25segmented_radix_sort_implINS0_14default_configELb0EPKhPhPKlPlN2at6native12_GLOBAL__N_18offset_tEEE10hipError_tPvRmT1_PNSt15iterator_traitsISY_E10value_typeET2_T3_PNSZ_IS14_E10value_typeET4_jRbjT5_S1A_jjP12ihipStream_tbEUljE_EEESV_SW_SX_S14_S18_S1A_T6_T7_T9_mT8_S1C_bDpT10_ENKUlT_T0_E_clISt17integral_constantIbLb0EES1P_EEDaS1K_S1L_EUlS1K_E_NS1_11comp_targetILNS1_3genE9ELNS1_11target_archE1100ELNS1_3gpuE3ELNS1_3repE0EEENS1_30default_config_static_selectorELNS0_4arch9wavefront6targetE0EEEvSY_: ; @_ZN7rocprim17ROCPRIM_400000_NS6detail17trampoline_kernelINS0_13select_configILj256ELj13ELNS0_17block_load_methodE3ELS4_3ELS4_3ELNS0_20block_scan_algorithmE0ELj4294967295EEENS1_25partition_config_selectorILNS1_17partition_subalgoE3EjNS0_10empty_typeEbEEZZNS1_14partition_implILS8_3ELb0ES6_jNS0_17counting_iteratorIjlEEPS9_SE_NS0_5tupleIJPjSE_EEENSF_IJSE_SE_EEES9_SG_JZNS1_25segmented_radix_sort_implINS0_14default_configELb0EPKhPhPKlPlN2at6native12_GLOBAL__N_18offset_tEEE10hipError_tPvRmT1_PNSt15iterator_traitsISY_E10value_typeET2_T3_PNSZ_IS14_E10value_typeET4_jRbjT5_S1A_jjP12ihipStream_tbEUljE_EEESV_SW_SX_S14_S18_S1A_T6_T7_T9_mT8_S1C_bDpT10_ENKUlT_T0_E_clISt17integral_constantIbLb0EES1P_EEDaS1K_S1L_EUlS1K_E_NS1_11comp_targetILNS1_3genE9ELNS1_11target_archE1100ELNS1_3gpuE3ELNS1_3repE0EEENS1_30default_config_static_selectorELNS0_4arch9wavefront6targetE0EEEvSY_
; %bb.0:
	.section	.rodata,"a",@progbits
	.p2align	6, 0x0
	.amdhsa_kernel _ZN7rocprim17ROCPRIM_400000_NS6detail17trampoline_kernelINS0_13select_configILj256ELj13ELNS0_17block_load_methodE3ELS4_3ELS4_3ELNS0_20block_scan_algorithmE0ELj4294967295EEENS1_25partition_config_selectorILNS1_17partition_subalgoE3EjNS0_10empty_typeEbEEZZNS1_14partition_implILS8_3ELb0ES6_jNS0_17counting_iteratorIjlEEPS9_SE_NS0_5tupleIJPjSE_EEENSF_IJSE_SE_EEES9_SG_JZNS1_25segmented_radix_sort_implINS0_14default_configELb0EPKhPhPKlPlN2at6native12_GLOBAL__N_18offset_tEEE10hipError_tPvRmT1_PNSt15iterator_traitsISY_E10value_typeET2_T3_PNSZ_IS14_E10value_typeET4_jRbjT5_S1A_jjP12ihipStream_tbEUljE_EEESV_SW_SX_S14_S18_S1A_T6_T7_T9_mT8_S1C_bDpT10_ENKUlT_T0_E_clISt17integral_constantIbLb0EES1P_EEDaS1K_S1L_EUlS1K_E_NS1_11comp_targetILNS1_3genE9ELNS1_11target_archE1100ELNS1_3gpuE3ELNS1_3repE0EEENS1_30default_config_static_selectorELNS0_4arch9wavefront6targetE0EEEvSY_
		.amdhsa_group_segment_fixed_size 0
		.amdhsa_private_segment_fixed_size 0
		.amdhsa_kernarg_size 144
		.amdhsa_user_sgpr_count 2
		.amdhsa_user_sgpr_dispatch_ptr 0
		.amdhsa_user_sgpr_queue_ptr 0
		.amdhsa_user_sgpr_kernarg_segment_ptr 1
		.amdhsa_user_sgpr_dispatch_id 0
		.amdhsa_user_sgpr_private_segment_size 0
		.amdhsa_wavefront_size32 1
		.amdhsa_uses_dynamic_stack 0
		.amdhsa_enable_private_segment 0
		.amdhsa_system_sgpr_workgroup_id_x 1
		.amdhsa_system_sgpr_workgroup_id_y 0
		.amdhsa_system_sgpr_workgroup_id_z 0
		.amdhsa_system_sgpr_workgroup_info 0
		.amdhsa_system_vgpr_workitem_id 0
		.amdhsa_next_free_vgpr 1
		.amdhsa_next_free_sgpr 1
		.amdhsa_reserve_vcc 0
		.amdhsa_float_round_mode_32 0
		.amdhsa_float_round_mode_16_64 0
		.amdhsa_float_denorm_mode_32 3
		.amdhsa_float_denorm_mode_16_64 3
		.amdhsa_fp16_overflow 0
		.amdhsa_workgroup_processor_mode 1
		.amdhsa_memory_ordered 1
		.amdhsa_forward_progress 1
		.amdhsa_inst_pref_size 0
		.amdhsa_round_robin_scheduling 0
		.amdhsa_exception_fp_ieee_invalid_op 0
		.amdhsa_exception_fp_denorm_src 0
		.amdhsa_exception_fp_ieee_div_zero 0
		.amdhsa_exception_fp_ieee_overflow 0
		.amdhsa_exception_fp_ieee_underflow 0
		.amdhsa_exception_fp_ieee_inexact 0
		.amdhsa_exception_int_div_zero 0
	.end_amdhsa_kernel
	.section	.text._ZN7rocprim17ROCPRIM_400000_NS6detail17trampoline_kernelINS0_13select_configILj256ELj13ELNS0_17block_load_methodE3ELS4_3ELS4_3ELNS0_20block_scan_algorithmE0ELj4294967295EEENS1_25partition_config_selectorILNS1_17partition_subalgoE3EjNS0_10empty_typeEbEEZZNS1_14partition_implILS8_3ELb0ES6_jNS0_17counting_iteratorIjlEEPS9_SE_NS0_5tupleIJPjSE_EEENSF_IJSE_SE_EEES9_SG_JZNS1_25segmented_radix_sort_implINS0_14default_configELb0EPKhPhPKlPlN2at6native12_GLOBAL__N_18offset_tEEE10hipError_tPvRmT1_PNSt15iterator_traitsISY_E10value_typeET2_T3_PNSZ_IS14_E10value_typeET4_jRbjT5_S1A_jjP12ihipStream_tbEUljE_EEESV_SW_SX_S14_S18_S1A_T6_T7_T9_mT8_S1C_bDpT10_ENKUlT_T0_E_clISt17integral_constantIbLb0EES1P_EEDaS1K_S1L_EUlS1K_E_NS1_11comp_targetILNS1_3genE9ELNS1_11target_archE1100ELNS1_3gpuE3ELNS1_3repE0EEENS1_30default_config_static_selectorELNS0_4arch9wavefront6targetE0EEEvSY_,"axG",@progbits,_ZN7rocprim17ROCPRIM_400000_NS6detail17trampoline_kernelINS0_13select_configILj256ELj13ELNS0_17block_load_methodE3ELS4_3ELS4_3ELNS0_20block_scan_algorithmE0ELj4294967295EEENS1_25partition_config_selectorILNS1_17partition_subalgoE3EjNS0_10empty_typeEbEEZZNS1_14partition_implILS8_3ELb0ES6_jNS0_17counting_iteratorIjlEEPS9_SE_NS0_5tupleIJPjSE_EEENSF_IJSE_SE_EEES9_SG_JZNS1_25segmented_radix_sort_implINS0_14default_configELb0EPKhPhPKlPlN2at6native12_GLOBAL__N_18offset_tEEE10hipError_tPvRmT1_PNSt15iterator_traitsISY_E10value_typeET2_T3_PNSZ_IS14_E10value_typeET4_jRbjT5_S1A_jjP12ihipStream_tbEUljE_EEESV_SW_SX_S14_S18_S1A_T6_T7_T9_mT8_S1C_bDpT10_ENKUlT_T0_E_clISt17integral_constantIbLb0EES1P_EEDaS1K_S1L_EUlS1K_E_NS1_11comp_targetILNS1_3genE9ELNS1_11target_archE1100ELNS1_3gpuE3ELNS1_3repE0EEENS1_30default_config_static_selectorELNS0_4arch9wavefront6targetE0EEEvSY_,comdat
.Lfunc_end160:
	.size	_ZN7rocprim17ROCPRIM_400000_NS6detail17trampoline_kernelINS0_13select_configILj256ELj13ELNS0_17block_load_methodE3ELS4_3ELS4_3ELNS0_20block_scan_algorithmE0ELj4294967295EEENS1_25partition_config_selectorILNS1_17partition_subalgoE3EjNS0_10empty_typeEbEEZZNS1_14partition_implILS8_3ELb0ES6_jNS0_17counting_iteratorIjlEEPS9_SE_NS0_5tupleIJPjSE_EEENSF_IJSE_SE_EEES9_SG_JZNS1_25segmented_radix_sort_implINS0_14default_configELb0EPKhPhPKlPlN2at6native12_GLOBAL__N_18offset_tEEE10hipError_tPvRmT1_PNSt15iterator_traitsISY_E10value_typeET2_T3_PNSZ_IS14_E10value_typeET4_jRbjT5_S1A_jjP12ihipStream_tbEUljE_EEESV_SW_SX_S14_S18_S1A_T6_T7_T9_mT8_S1C_bDpT10_ENKUlT_T0_E_clISt17integral_constantIbLb0EES1P_EEDaS1K_S1L_EUlS1K_E_NS1_11comp_targetILNS1_3genE9ELNS1_11target_archE1100ELNS1_3gpuE3ELNS1_3repE0EEENS1_30default_config_static_selectorELNS0_4arch9wavefront6targetE0EEEvSY_, .Lfunc_end160-_ZN7rocprim17ROCPRIM_400000_NS6detail17trampoline_kernelINS0_13select_configILj256ELj13ELNS0_17block_load_methodE3ELS4_3ELS4_3ELNS0_20block_scan_algorithmE0ELj4294967295EEENS1_25partition_config_selectorILNS1_17partition_subalgoE3EjNS0_10empty_typeEbEEZZNS1_14partition_implILS8_3ELb0ES6_jNS0_17counting_iteratorIjlEEPS9_SE_NS0_5tupleIJPjSE_EEENSF_IJSE_SE_EEES9_SG_JZNS1_25segmented_radix_sort_implINS0_14default_configELb0EPKhPhPKlPlN2at6native12_GLOBAL__N_18offset_tEEE10hipError_tPvRmT1_PNSt15iterator_traitsISY_E10value_typeET2_T3_PNSZ_IS14_E10value_typeET4_jRbjT5_S1A_jjP12ihipStream_tbEUljE_EEESV_SW_SX_S14_S18_S1A_T6_T7_T9_mT8_S1C_bDpT10_ENKUlT_T0_E_clISt17integral_constantIbLb0EES1P_EEDaS1K_S1L_EUlS1K_E_NS1_11comp_targetILNS1_3genE9ELNS1_11target_archE1100ELNS1_3gpuE3ELNS1_3repE0EEENS1_30default_config_static_selectorELNS0_4arch9wavefront6targetE0EEEvSY_
                                        ; -- End function
	.set _ZN7rocprim17ROCPRIM_400000_NS6detail17trampoline_kernelINS0_13select_configILj256ELj13ELNS0_17block_load_methodE3ELS4_3ELS4_3ELNS0_20block_scan_algorithmE0ELj4294967295EEENS1_25partition_config_selectorILNS1_17partition_subalgoE3EjNS0_10empty_typeEbEEZZNS1_14partition_implILS8_3ELb0ES6_jNS0_17counting_iteratorIjlEEPS9_SE_NS0_5tupleIJPjSE_EEENSF_IJSE_SE_EEES9_SG_JZNS1_25segmented_radix_sort_implINS0_14default_configELb0EPKhPhPKlPlN2at6native12_GLOBAL__N_18offset_tEEE10hipError_tPvRmT1_PNSt15iterator_traitsISY_E10value_typeET2_T3_PNSZ_IS14_E10value_typeET4_jRbjT5_S1A_jjP12ihipStream_tbEUljE_EEESV_SW_SX_S14_S18_S1A_T6_T7_T9_mT8_S1C_bDpT10_ENKUlT_T0_E_clISt17integral_constantIbLb0EES1P_EEDaS1K_S1L_EUlS1K_E_NS1_11comp_targetILNS1_3genE9ELNS1_11target_archE1100ELNS1_3gpuE3ELNS1_3repE0EEENS1_30default_config_static_selectorELNS0_4arch9wavefront6targetE0EEEvSY_.num_vgpr, 0
	.set _ZN7rocprim17ROCPRIM_400000_NS6detail17trampoline_kernelINS0_13select_configILj256ELj13ELNS0_17block_load_methodE3ELS4_3ELS4_3ELNS0_20block_scan_algorithmE0ELj4294967295EEENS1_25partition_config_selectorILNS1_17partition_subalgoE3EjNS0_10empty_typeEbEEZZNS1_14partition_implILS8_3ELb0ES6_jNS0_17counting_iteratorIjlEEPS9_SE_NS0_5tupleIJPjSE_EEENSF_IJSE_SE_EEES9_SG_JZNS1_25segmented_radix_sort_implINS0_14default_configELb0EPKhPhPKlPlN2at6native12_GLOBAL__N_18offset_tEEE10hipError_tPvRmT1_PNSt15iterator_traitsISY_E10value_typeET2_T3_PNSZ_IS14_E10value_typeET4_jRbjT5_S1A_jjP12ihipStream_tbEUljE_EEESV_SW_SX_S14_S18_S1A_T6_T7_T9_mT8_S1C_bDpT10_ENKUlT_T0_E_clISt17integral_constantIbLb0EES1P_EEDaS1K_S1L_EUlS1K_E_NS1_11comp_targetILNS1_3genE9ELNS1_11target_archE1100ELNS1_3gpuE3ELNS1_3repE0EEENS1_30default_config_static_selectorELNS0_4arch9wavefront6targetE0EEEvSY_.num_agpr, 0
	.set _ZN7rocprim17ROCPRIM_400000_NS6detail17trampoline_kernelINS0_13select_configILj256ELj13ELNS0_17block_load_methodE3ELS4_3ELS4_3ELNS0_20block_scan_algorithmE0ELj4294967295EEENS1_25partition_config_selectorILNS1_17partition_subalgoE3EjNS0_10empty_typeEbEEZZNS1_14partition_implILS8_3ELb0ES6_jNS0_17counting_iteratorIjlEEPS9_SE_NS0_5tupleIJPjSE_EEENSF_IJSE_SE_EEES9_SG_JZNS1_25segmented_radix_sort_implINS0_14default_configELb0EPKhPhPKlPlN2at6native12_GLOBAL__N_18offset_tEEE10hipError_tPvRmT1_PNSt15iterator_traitsISY_E10value_typeET2_T3_PNSZ_IS14_E10value_typeET4_jRbjT5_S1A_jjP12ihipStream_tbEUljE_EEESV_SW_SX_S14_S18_S1A_T6_T7_T9_mT8_S1C_bDpT10_ENKUlT_T0_E_clISt17integral_constantIbLb0EES1P_EEDaS1K_S1L_EUlS1K_E_NS1_11comp_targetILNS1_3genE9ELNS1_11target_archE1100ELNS1_3gpuE3ELNS1_3repE0EEENS1_30default_config_static_selectorELNS0_4arch9wavefront6targetE0EEEvSY_.numbered_sgpr, 0
	.set _ZN7rocprim17ROCPRIM_400000_NS6detail17trampoline_kernelINS0_13select_configILj256ELj13ELNS0_17block_load_methodE3ELS4_3ELS4_3ELNS0_20block_scan_algorithmE0ELj4294967295EEENS1_25partition_config_selectorILNS1_17partition_subalgoE3EjNS0_10empty_typeEbEEZZNS1_14partition_implILS8_3ELb0ES6_jNS0_17counting_iteratorIjlEEPS9_SE_NS0_5tupleIJPjSE_EEENSF_IJSE_SE_EEES9_SG_JZNS1_25segmented_radix_sort_implINS0_14default_configELb0EPKhPhPKlPlN2at6native12_GLOBAL__N_18offset_tEEE10hipError_tPvRmT1_PNSt15iterator_traitsISY_E10value_typeET2_T3_PNSZ_IS14_E10value_typeET4_jRbjT5_S1A_jjP12ihipStream_tbEUljE_EEESV_SW_SX_S14_S18_S1A_T6_T7_T9_mT8_S1C_bDpT10_ENKUlT_T0_E_clISt17integral_constantIbLb0EES1P_EEDaS1K_S1L_EUlS1K_E_NS1_11comp_targetILNS1_3genE9ELNS1_11target_archE1100ELNS1_3gpuE3ELNS1_3repE0EEENS1_30default_config_static_selectorELNS0_4arch9wavefront6targetE0EEEvSY_.num_named_barrier, 0
	.set _ZN7rocprim17ROCPRIM_400000_NS6detail17trampoline_kernelINS0_13select_configILj256ELj13ELNS0_17block_load_methodE3ELS4_3ELS4_3ELNS0_20block_scan_algorithmE0ELj4294967295EEENS1_25partition_config_selectorILNS1_17partition_subalgoE3EjNS0_10empty_typeEbEEZZNS1_14partition_implILS8_3ELb0ES6_jNS0_17counting_iteratorIjlEEPS9_SE_NS0_5tupleIJPjSE_EEENSF_IJSE_SE_EEES9_SG_JZNS1_25segmented_radix_sort_implINS0_14default_configELb0EPKhPhPKlPlN2at6native12_GLOBAL__N_18offset_tEEE10hipError_tPvRmT1_PNSt15iterator_traitsISY_E10value_typeET2_T3_PNSZ_IS14_E10value_typeET4_jRbjT5_S1A_jjP12ihipStream_tbEUljE_EEESV_SW_SX_S14_S18_S1A_T6_T7_T9_mT8_S1C_bDpT10_ENKUlT_T0_E_clISt17integral_constantIbLb0EES1P_EEDaS1K_S1L_EUlS1K_E_NS1_11comp_targetILNS1_3genE9ELNS1_11target_archE1100ELNS1_3gpuE3ELNS1_3repE0EEENS1_30default_config_static_selectorELNS0_4arch9wavefront6targetE0EEEvSY_.private_seg_size, 0
	.set _ZN7rocprim17ROCPRIM_400000_NS6detail17trampoline_kernelINS0_13select_configILj256ELj13ELNS0_17block_load_methodE3ELS4_3ELS4_3ELNS0_20block_scan_algorithmE0ELj4294967295EEENS1_25partition_config_selectorILNS1_17partition_subalgoE3EjNS0_10empty_typeEbEEZZNS1_14partition_implILS8_3ELb0ES6_jNS0_17counting_iteratorIjlEEPS9_SE_NS0_5tupleIJPjSE_EEENSF_IJSE_SE_EEES9_SG_JZNS1_25segmented_radix_sort_implINS0_14default_configELb0EPKhPhPKlPlN2at6native12_GLOBAL__N_18offset_tEEE10hipError_tPvRmT1_PNSt15iterator_traitsISY_E10value_typeET2_T3_PNSZ_IS14_E10value_typeET4_jRbjT5_S1A_jjP12ihipStream_tbEUljE_EEESV_SW_SX_S14_S18_S1A_T6_T7_T9_mT8_S1C_bDpT10_ENKUlT_T0_E_clISt17integral_constantIbLb0EES1P_EEDaS1K_S1L_EUlS1K_E_NS1_11comp_targetILNS1_3genE9ELNS1_11target_archE1100ELNS1_3gpuE3ELNS1_3repE0EEENS1_30default_config_static_selectorELNS0_4arch9wavefront6targetE0EEEvSY_.uses_vcc, 0
	.set _ZN7rocprim17ROCPRIM_400000_NS6detail17trampoline_kernelINS0_13select_configILj256ELj13ELNS0_17block_load_methodE3ELS4_3ELS4_3ELNS0_20block_scan_algorithmE0ELj4294967295EEENS1_25partition_config_selectorILNS1_17partition_subalgoE3EjNS0_10empty_typeEbEEZZNS1_14partition_implILS8_3ELb0ES6_jNS0_17counting_iteratorIjlEEPS9_SE_NS0_5tupleIJPjSE_EEENSF_IJSE_SE_EEES9_SG_JZNS1_25segmented_radix_sort_implINS0_14default_configELb0EPKhPhPKlPlN2at6native12_GLOBAL__N_18offset_tEEE10hipError_tPvRmT1_PNSt15iterator_traitsISY_E10value_typeET2_T3_PNSZ_IS14_E10value_typeET4_jRbjT5_S1A_jjP12ihipStream_tbEUljE_EEESV_SW_SX_S14_S18_S1A_T6_T7_T9_mT8_S1C_bDpT10_ENKUlT_T0_E_clISt17integral_constantIbLb0EES1P_EEDaS1K_S1L_EUlS1K_E_NS1_11comp_targetILNS1_3genE9ELNS1_11target_archE1100ELNS1_3gpuE3ELNS1_3repE0EEENS1_30default_config_static_selectorELNS0_4arch9wavefront6targetE0EEEvSY_.uses_flat_scratch, 0
	.set _ZN7rocprim17ROCPRIM_400000_NS6detail17trampoline_kernelINS0_13select_configILj256ELj13ELNS0_17block_load_methodE3ELS4_3ELS4_3ELNS0_20block_scan_algorithmE0ELj4294967295EEENS1_25partition_config_selectorILNS1_17partition_subalgoE3EjNS0_10empty_typeEbEEZZNS1_14partition_implILS8_3ELb0ES6_jNS0_17counting_iteratorIjlEEPS9_SE_NS0_5tupleIJPjSE_EEENSF_IJSE_SE_EEES9_SG_JZNS1_25segmented_radix_sort_implINS0_14default_configELb0EPKhPhPKlPlN2at6native12_GLOBAL__N_18offset_tEEE10hipError_tPvRmT1_PNSt15iterator_traitsISY_E10value_typeET2_T3_PNSZ_IS14_E10value_typeET4_jRbjT5_S1A_jjP12ihipStream_tbEUljE_EEESV_SW_SX_S14_S18_S1A_T6_T7_T9_mT8_S1C_bDpT10_ENKUlT_T0_E_clISt17integral_constantIbLb0EES1P_EEDaS1K_S1L_EUlS1K_E_NS1_11comp_targetILNS1_3genE9ELNS1_11target_archE1100ELNS1_3gpuE3ELNS1_3repE0EEENS1_30default_config_static_selectorELNS0_4arch9wavefront6targetE0EEEvSY_.has_dyn_sized_stack, 0
	.set _ZN7rocprim17ROCPRIM_400000_NS6detail17trampoline_kernelINS0_13select_configILj256ELj13ELNS0_17block_load_methodE3ELS4_3ELS4_3ELNS0_20block_scan_algorithmE0ELj4294967295EEENS1_25partition_config_selectorILNS1_17partition_subalgoE3EjNS0_10empty_typeEbEEZZNS1_14partition_implILS8_3ELb0ES6_jNS0_17counting_iteratorIjlEEPS9_SE_NS0_5tupleIJPjSE_EEENSF_IJSE_SE_EEES9_SG_JZNS1_25segmented_radix_sort_implINS0_14default_configELb0EPKhPhPKlPlN2at6native12_GLOBAL__N_18offset_tEEE10hipError_tPvRmT1_PNSt15iterator_traitsISY_E10value_typeET2_T3_PNSZ_IS14_E10value_typeET4_jRbjT5_S1A_jjP12ihipStream_tbEUljE_EEESV_SW_SX_S14_S18_S1A_T6_T7_T9_mT8_S1C_bDpT10_ENKUlT_T0_E_clISt17integral_constantIbLb0EES1P_EEDaS1K_S1L_EUlS1K_E_NS1_11comp_targetILNS1_3genE9ELNS1_11target_archE1100ELNS1_3gpuE3ELNS1_3repE0EEENS1_30default_config_static_selectorELNS0_4arch9wavefront6targetE0EEEvSY_.has_recursion, 0
	.set _ZN7rocprim17ROCPRIM_400000_NS6detail17trampoline_kernelINS0_13select_configILj256ELj13ELNS0_17block_load_methodE3ELS4_3ELS4_3ELNS0_20block_scan_algorithmE0ELj4294967295EEENS1_25partition_config_selectorILNS1_17partition_subalgoE3EjNS0_10empty_typeEbEEZZNS1_14partition_implILS8_3ELb0ES6_jNS0_17counting_iteratorIjlEEPS9_SE_NS0_5tupleIJPjSE_EEENSF_IJSE_SE_EEES9_SG_JZNS1_25segmented_radix_sort_implINS0_14default_configELb0EPKhPhPKlPlN2at6native12_GLOBAL__N_18offset_tEEE10hipError_tPvRmT1_PNSt15iterator_traitsISY_E10value_typeET2_T3_PNSZ_IS14_E10value_typeET4_jRbjT5_S1A_jjP12ihipStream_tbEUljE_EEESV_SW_SX_S14_S18_S1A_T6_T7_T9_mT8_S1C_bDpT10_ENKUlT_T0_E_clISt17integral_constantIbLb0EES1P_EEDaS1K_S1L_EUlS1K_E_NS1_11comp_targetILNS1_3genE9ELNS1_11target_archE1100ELNS1_3gpuE3ELNS1_3repE0EEENS1_30default_config_static_selectorELNS0_4arch9wavefront6targetE0EEEvSY_.has_indirect_call, 0
	.section	.AMDGPU.csdata,"",@progbits
; Kernel info:
; codeLenInByte = 0
; TotalNumSgprs: 0
; NumVgprs: 0
; ScratchSize: 0
; MemoryBound: 0
; FloatMode: 240
; IeeeMode: 1
; LDSByteSize: 0 bytes/workgroup (compile time only)
; SGPRBlocks: 0
; VGPRBlocks: 0
; NumSGPRsForWavesPerEU: 1
; NumVGPRsForWavesPerEU: 1
; Occupancy: 16
; WaveLimiterHint : 0
; COMPUTE_PGM_RSRC2:SCRATCH_EN: 0
; COMPUTE_PGM_RSRC2:USER_SGPR: 2
; COMPUTE_PGM_RSRC2:TRAP_HANDLER: 0
; COMPUTE_PGM_RSRC2:TGID_X_EN: 1
; COMPUTE_PGM_RSRC2:TGID_Y_EN: 0
; COMPUTE_PGM_RSRC2:TGID_Z_EN: 0
; COMPUTE_PGM_RSRC2:TIDIG_COMP_CNT: 0
	.section	.text._ZN7rocprim17ROCPRIM_400000_NS6detail17trampoline_kernelINS0_13select_configILj256ELj13ELNS0_17block_load_methodE3ELS4_3ELS4_3ELNS0_20block_scan_algorithmE0ELj4294967295EEENS1_25partition_config_selectorILNS1_17partition_subalgoE3EjNS0_10empty_typeEbEEZZNS1_14partition_implILS8_3ELb0ES6_jNS0_17counting_iteratorIjlEEPS9_SE_NS0_5tupleIJPjSE_EEENSF_IJSE_SE_EEES9_SG_JZNS1_25segmented_radix_sort_implINS0_14default_configELb0EPKhPhPKlPlN2at6native12_GLOBAL__N_18offset_tEEE10hipError_tPvRmT1_PNSt15iterator_traitsISY_E10value_typeET2_T3_PNSZ_IS14_E10value_typeET4_jRbjT5_S1A_jjP12ihipStream_tbEUljE_EEESV_SW_SX_S14_S18_S1A_T6_T7_T9_mT8_S1C_bDpT10_ENKUlT_T0_E_clISt17integral_constantIbLb0EES1P_EEDaS1K_S1L_EUlS1K_E_NS1_11comp_targetILNS1_3genE8ELNS1_11target_archE1030ELNS1_3gpuE2ELNS1_3repE0EEENS1_30default_config_static_selectorELNS0_4arch9wavefront6targetE0EEEvSY_,"axG",@progbits,_ZN7rocprim17ROCPRIM_400000_NS6detail17trampoline_kernelINS0_13select_configILj256ELj13ELNS0_17block_load_methodE3ELS4_3ELS4_3ELNS0_20block_scan_algorithmE0ELj4294967295EEENS1_25partition_config_selectorILNS1_17partition_subalgoE3EjNS0_10empty_typeEbEEZZNS1_14partition_implILS8_3ELb0ES6_jNS0_17counting_iteratorIjlEEPS9_SE_NS0_5tupleIJPjSE_EEENSF_IJSE_SE_EEES9_SG_JZNS1_25segmented_radix_sort_implINS0_14default_configELb0EPKhPhPKlPlN2at6native12_GLOBAL__N_18offset_tEEE10hipError_tPvRmT1_PNSt15iterator_traitsISY_E10value_typeET2_T3_PNSZ_IS14_E10value_typeET4_jRbjT5_S1A_jjP12ihipStream_tbEUljE_EEESV_SW_SX_S14_S18_S1A_T6_T7_T9_mT8_S1C_bDpT10_ENKUlT_T0_E_clISt17integral_constantIbLb0EES1P_EEDaS1K_S1L_EUlS1K_E_NS1_11comp_targetILNS1_3genE8ELNS1_11target_archE1030ELNS1_3gpuE2ELNS1_3repE0EEENS1_30default_config_static_selectorELNS0_4arch9wavefront6targetE0EEEvSY_,comdat
	.globl	_ZN7rocprim17ROCPRIM_400000_NS6detail17trampoline_kernelINS0_13select_configILj256ELj13ELNS0_17block_load_methodE3ELS4_3ELS4_3ELNS0_20block_scan_algorithmE0ELj4294967295EEENS1_25partition_config_selectorILNS1_17partition_subalgoE3EjNS0_10empty_typeEbEEZZNS1_14partition_implILS8_3ELb0ES6_jNS0_17counting_iteratorIjlEEPS9_SE_NS0_5tupleIJPjSE_EEENSF_IJSE_SE_EEES9_SG_JZNS1_25segmented_radix_sort_implINS0_14default_configELb0EPKhPhPKlPlN2at6native12_GLOBAL__N_18offset_tEEE10hipError_tPvRmT1_PNSt15iterator_traitsISY_E10value_typeET2_T3_PNSZ_IS14_E10value_typeET4_jRbjT5_S1A_jjP12ihipStream_tbEUljE_EEESV_SW_SX_S14_S18_S1A_T6_T7_T9_mT8_S1C_bDpT10_ENKUlT_T0_E_clISt17integral_constantIbLb0EES1P_EEDaS1K_S1L_EUlS1K_E_NS1_11comp_targetILNS1_3genE8ELNS1_11target_archE1030ELNS1_3gpuE2ELNS1_3repE0EEENS1_30default_config_static_selectorELNS0_4arch9wavefront6targetE0EEEvSY_ ; -- Begin function _ZN7rocprim17ROCPRIM_400000_NS6detail17trampoline_kernelINS0_13select_configILj256ELj13ELNS0_17block_load_methodE3ELS4_3ELS4_3ELNS0_20block_scan_algorithmE0ELj4294967295EEENS1_25partition_config_selectorILNS1_17partition_subalgoE3EjNS0_10empty_typeEbEEZZNS1_14partition_implILS8_3ELb0ES6_jNS0_17counting_iteratorIjlEEPS9_SE_NS0_5tupleIJPjSE_EEENSF_IJSE_SE_EEES9_SG_JZNS1_25segmented_radix_sort_implINS0_14default_configELb0EPKhPhPKlPlN2at6native12_GLOBAL__N_18offset_tEEE10hipError_tPvRmT1_PNSt15iterator_traitsISY_E10value_typeET2_T3_PNSZ_IS14_E10value_typeET4_jRbjT5_S1A_jjP12ihipStream_tbEUljE_EEESV_SW_SX_S14_S18_S1A_T6_T7_T9_mT8_S1C_bDpT10_ENKUlT_T0_E_clISt17integral_constantIbLb0EES1P_EEDaS1K_S1L_EUlS1K_E_NS1_11comp_targetILNS1_3genE8ELNS1_11target_archE1030ELNS1_3gpuE2ELNS1_3repE0EEENS1_30default_config_static_selectorELNS0_4arch9wavefront6targetE0EEEvSY_
	.p2align	8
	.type	_ZN7rocprim17ROCPRIM_400000_NS6detail17trampoline_kernelINS0_13select_configILj256ELj13ELNS0_17block_load_methodE3ELS4_3ELS4_3ELNS0_20block_scan_algorithmE0ELj4294967295EEENS1_25partition_config_selectorILNS1_17partition_subalgoE3EjNS0_10empty_typeEbEEZZNS1_14partition_implILS8_3ELb0ES6_jNS0_17counting_iteratorIjlEEPS9_SE_NS0_5tupleIJPjSE_EEENSF_IJSE_SE_EEES9_SG_JZNS1_25segmented_radix_sort_implINS0_14default_configELb0EPKhPhPKlPlN2at6native12_GLOBAL__N_18offset_tEEE10hipError_tPvRmT1_PNSt15iterator_traitsISY_E10value_typeET2_T3_PNSZ_IS14_E10value_typeET4_jRbjT5_S1A_jjP12ihipStream_tbEUljE_EEESV_SW_SX_S14_S18_S1A_T6_T7_T9_mT8_S1C_bDpT10_ENKUlT_T0_E_clISt17integral_constantIbLb0EES1P_EEDaS1K_S1L_EUlS1K_E_NS1_11comp_targetILNS1_3genE8ELNS1_11target_archE1030ELNS1_3gpuE2ELNS1_3repE0EEENS1_30default_config_static_selectorELNS0_4arch9wavefront6targetE0EEEvSY_,@function
_ZN7rocprim17ROCPRIM_400000_NS6detail17trampoline_kernelINS0_13select_configILj256ELj13ELNS0_17block_load_methodE3ELS4_3ELS4_3ELNS0_20block_scan_algorithmE0ELj4294967295EEENS1_25partition_config_selectorILNS1_17partition_subalgoE3EjNS0_10empty_typeEbEEZZNS1_14partition_implILS8_3ELb0ES6_jNS0_17counting_iteratorIjlEEPS9_SE_NS0_5tupleIJPjSE_EEENSF_IJSE_SE_EEES9_SG_JZNS1_25segmented_radix_sort_implINS0_14default_configELb0EPKhPhPKlPlN2at6native12_GLOBAL__N_18offset_tEEE10hipError_tPvRmT1_PNSt15iterator_traitsISY_E10value_typeET2_T3_PNSZ_IS14_E10value_typeET4_jRbjT5_S1A_jjP12ihipStream_tbEUljE_EEESV_SW_SX_S14_S18_S1A_T6_T7_T9_mT8_S1C_bDpT10_ENKUlT_T0_E_clISt17integral_constantIbLb0EES1P_EEDaS1K_S1L_EUlS1K_E_NS1_11comp_targetILNS1_3genE8ELNS1_11target_archE1030ELNS1_3gpuE2ELNS1_3repE0EEENS1_30default_config_static_selectorELNS0_4arch9wavefront6targetE0EEEvSY_: ; @_ZN7rocprim17ROCPRIM_400000_NS6detail17trampoline_kernelINS0_13select_configILj256ELj13ELNS0_17block_load_methodE3ELS4_3ELS4_3ELNS0_20block_scan_algorithmE0ELj4294967295EEENS1_25partition_config_selectorILNS1_17partition_subalgoE3EjNS0_10empty_typeEbEEZZNS1_14partition_implILS8_3ELb0ES6_jNS0_17counting_iteratorIjlEEPS9_SE_NS0_5tupleIJPjSE_EEENSF_IJSE_SE_EEES9_SG_JZNS1_25segmented_radix_sort_implINS0_14default_configELb0EPKhPhPKlPlN2at6native12_GLOBAL__N_18offset_tEEE10hipError_tPvRmT1_PNSt15iterator_traitsISY_E10value_typeET2_T3_PNSZ_IS14_E10value_typeET4_jRbjT5_S1A_jjP12ihipStream_tbEUljE_EEESV_SW_SX_S14_S18_S1A_T6_T7_T9_mT8_S1C_bDpT10_ENKUlT_T0_E_clISt17integral_constantIbLb0EES1P_EEDaS1K_S1L_EUlS1K_E_NS1_11comp_targetILNS1_3genE8ELNS1_11target_archE1030ELNS1_3gpuE2ELNS1_3repE0EEENS1_30default_config_static_selectorELNS0_4arch9wavefront6targetE0EEEvSY_
; %bb.0:
	.section	.rodata,"a",@progbits
	.p2align	6, 0x0
	.amdhsa_kernel _ZN7rocprim17ROCPRIM_400000_NS6detail17trampoline_kernelINS0_13select_configILj256ELj13ELNS0_17block_load_methodE3ELS4_3ELS4_3ELNS0_20block_scan_algorithmE0ELj4294967295EEENS1_25partition_config_selectorILNS1_17partition_subalgoE3EjNS0_10empty_typeEbEEZZNS1_14partition_implILS8_3ELb0ES6_jNS0_17counting_iteratorIjlEEPS9_SE_NS0_5tupleIJPjSE_EEENSF_IJSE_SE_EEES9_SG_JZNS1_25segmented_radix_sort_implINS0_14default_configELb0EPKhPhPKlPlN2at6native12_GLOBAL__N_18offset_tEEE10hipError_tPvRmT1_PNSt15iterator_traitsISY_E10value_typeET2_T3_PNSZ_IS14_E10value_typeET4_jRbjT5_S1A_jjP12ihipStream_tbEUljE_EEESV_SW_SX_S14_S18_S1A_T6_T7_T9_mT8_S1C_bDpT10_ENKUlT_T0_E_clISt17integral_constantIbLb0EES1P_EEDaS1K_S1L_EUlS1K_E_NS1_11comp_targetILNS1_3genE8ELNS1_11target_archE1030ELNS1_3gpuE2ELNS1_3repE0EEENS1_30default_config_static_selectorELNS0_4arch9wavefront6targetE0EEEvSY_
		.amdhsa_group_segment_fixed_size 0
		.amdhsa_private_segment_fixed_size 0
		.amdhsa_kernarg_size 144
		.amdhsa_user_sgpr_count 2
		.amdhsa_user_sgpr_dispatch_ptr 0
		.amdhsa_user_sgpr_queue_ptr 0
		.amdhsa_user_sgpr_kernarg_segment_ptr 1
		.amdhsa_user_sgpr_dispatch_id 0
		.amdhsa_user_sgpr_private_segment_size 0
		.amdhsa_wavefront_size32 1
		.amdhsa_uses_dynamic_stack 0
		.amdhsa_enable_private_segment 0
		.amdhsa_system_sgpr_workgroup_id_x 1
		.amdhsa_system_sgpr_workgroup_id_y 0
		.amdhsa_system_sgpr_workgroup_id_z 0
		.amdhsa_system_sgpr_workgroup_info 0
		.amdhsa_system_vgpr_workitem_id 0
		.amdhsa_next_free_vgpr 1
		.amdhsa_next_free_sgpr 1
		.amdhsa_reserve_vcc 0
		.amdhsa_float_round_mode_32 0
		.amdhsa_float_round_mode_16_64 0
		.amdhsa_float_denorm_mode_32 3
		.amdhsa_float_denorm_mode_16_64 3
		.amdhsa_fp16_overflow 0
		.amdhsa_workgroup_processor_mode 1
		.amdhsa_memory_ordered 1
		.amdhsa_forward_progress 1
		.amdhsa_inst_pref_size 0
		.amdhsa_round_robin_scheduling 0
		.amdhsa_exception_fp_ieee_invalid_op 0
		.amdhsa_exception_fp_denorm_src 0
		.amdhsa_exception_fp_ieee_div_zero 0
		.amdhsa_exception_fp_ieee_overflow 0
		.amdhsa_exception_fp_ieee_underflow 0
		.amdhsa_exception_fp_ieee_inexact 0
		.amdhsa_exception_int_div_zero 0
	.end_amdhsa_kernel
	.section	.text._ZN7rocprim17ROCPRIM_400000_NS6detail17trampoline_kernelINS0_13select_configILj256ELj13ELNS0_17block_load_methodE3ELS4_3ELS4_3ELNS0_20block_scan_algorithmE0ELj4294967295EEENS1_25partition_config_selectorILNS1_17partition_subalgoE3EjNS0_10empty_typeEbEEZZNS1_14partition_implILS8_3ELb0ES6_jNS0_17counting_iteratorIjlEEPS9_SE_NS0_5tupleIJPjSE_EEENSF_IJSE_SE_EEES9_SG_JZNS1_25segmented_radix_sort_implINS0_14default_configELb0EPKhPhPKlPlN2at6native12_GLOBAL__N_18offset_tEEE10hipError_tPvRmT1_PNSt15iterator_traitsISY_E10value_typeET2_T3_PNSZ_IS14_E10value_typeET4_jRbjT5_S1A_jjP12ihipStream_tbEUljE_EEESV_SW_SX_S14_S18_S1A_T6_T7_T9_mT8_S1C_bDpT10_ENKUlT_T0_E_clISt17integral_constantIbLb0EES1P_EEDaS1K_S1L_EUlS1K_E_NS1_11comp_targetILNS1_3genE8ELNS1_11target_archE1030ELNS1_3gpuE2ELNS1_3repE0EEENS1_30default_config_static_selectorELNS0_4arch9wavefront6targetE0EEEvSY_,"axG",@progbits,_ZN7rocprim17ROCPRIM_400000_NS6detail17trampoline_kernelINS0_13select_configILj256ELj13ELNS0_17block_load_methodE3ELS4_3ELS4_3ELNS0_20block_scan_algorithmE0ELj4294967295EEENS1_25partition_config_selectorILNS1_17partition_subalgoE3EjNS0_10empty_typeEbEEZZNS1_14partition_implILS8_3ELb0ES6_jNS0_17counting_iteratorIjlEEPS9_SE_NS0_5tupleIJPjSE_EEENSF_IJSE_SE_EEES9_SG_JZNS1_25segmented_radix_sort_implINS0_14default_configELb0EPKhPhPKlPlN2at6native12_GLOBAL__N_18offset_tEEE10hipError_tPvRmT1_PNSt15iterator_traitsISY_E10value_typeET2_T3_PNSZ_IS14_E10value_typeET4_jRbjT5_S1A_jjP12ihipStream_tbEUljE_EEESV_SW_SX_S14_S18_S1A_T6_T7_T9_mT8_S1C_bDpT10_ENKUlT_T0_E_clISt17integral_constantIbLb0EES1P_EEDaS1K_S1L_EUlS1K_E_NS1_11comp_targetILNS1_3genE8ELNS1_11target_archE1030ELNS1_3gpuE2ELNS1_3repE0EEENS1_30default_config_static_selectorELNS0_4arch9wavefront6targetE0EEEvSY_,comdat
.Lfunc_end161:
	.size	_ZN7rocprim17ROCPRIM_400000_NS6detail17trampoline_kernelINS0_13select_configILj256ELj13ELNS0_17block_load_methodE3ELS4_3ELS4_3ELNS0_20block_scan_algorithmE0ELj4294967295EEENS1_25partition_config_selectorILNS1_17partition_subalgoE3EjNS0_10empty_typeEbEEZZNS1_14partition_implILS8_3ELb0ES6_jNS0_17counting_iteratorIjlEEPS9_SE_NS0_5tupleIJPjSE_EEENSF_IJSE_SE_EEES9_SG_JZNS1_25segmented_radix_sort_implINS0_14default_configELb0EPKhPhPKlPlN2at6native12_GLOBAL__N_18offset_tEEE10hipError_tPvRmT1_PNSt15iterator_traitsISY_E10value_typeET2_T3_PNSZ_IS14_E10value_typeET4_jRbjT5_S1A_jjP12ihipStream_tbEUljE_EEESV_SW_SX_S14_S18_S1A_T6_T7_T9_mT8_S1C_bDpT10_ENKUlT_T0_E_clISt17integral_constantIbLb0EES1P_EEDaS1K_S1L_EUlS1K_E_NS1_11comp_targetILNS1_3genE8ELNS1_11target_archE1030ELNS1_3gpuE2ELNS1_3repE0EEENS1_30default_config_static_selectorELNS0_4arch9wavefront6targetE0EEEvSY_, .Lfunc_end161-_ZN7rocprim17ROCPRIM_400000_NS6detail17trampoline_kernelINS0_13select_configILj256ELj13ELNS0_17block_load_methodE3ELS4_3ELS4_3ELNS0_20block_scan_algorithmE0ELj4294967295EEENS1_25partition_config_selectorILNS1_17partition_subalgoE3EjNS0_10empty_typeEbEEZZNS1_14partition_implILS8_3ELb0ES6_jNS0_17counting_iteratorIjlEEPS9_SE_NS0_5tupleIJPjSE_EEENSF_IJSE_SE_EEES9_SG_JZNS1_25segmented_radix_sort_implINS0_14default_configELb0EPKhPhPKlPlN2at6native12_GLOBAL__N_18offset_tEEE10hipError_tPvRmT1_PNSt15iterator_traitsISY_E10value_typeET2_T3_PNSZ_IS14_E10value_typeET4_jRbjT5_S1A_jjP12ihipStream_tbEUljE_EEESV_SW_SX_S14_S18_S1A_T6_T7_T9_mT8_S1C_bDpT10_ENKUlT_T0_E_clISt17integral_constantIbLb0EES1P_EEDaS1K_S1L_EUlS1K_E_NS1_11comp_targetILNS1_3genE8ELNS1_11target_archE1030ELNS1_3gpuE2ELNS1_3repE0EEENS1_30default_config_static_selectorELNS0_4arch9wavefront6targetE0EEEvSY_
                                        ; -- End function
	.set _ZN7rocprim17ROCPRIM_400000_NS6detail17trampoline_kernelINS0_13select_configILj256ELj13ELNS0_17block_load_methodE3ELS4_3ELS4_3ELNS0_20block_scan_algorithmE0ELj4294967295EEENS1_25partition_config_selectorILNS1_17partition_subalgoE3EjNS0_10empty_typeEbEEZZNS1_14partition_implILS8_3ELb0ES6_jNS0_17counting_iteratorIjlEEPS9_SE_NS0_5tupleIJPjSE_EEENSF_IJSE_SE_EEES9_SG_JZNS1_25segmented_radix_sort_implINS0_14default_configELb0EPKhPhPKlPlN2at6native12_GLOBAL__N_18offset_tEEE10hipError_tPvRmT1_PNSt15iterator_traitsISY_E10value_typeET2_T3_PNSZ_IS14_E10value_typeET4_jRbjT5_S1A_jjP12ihipStream_tbEUljE_EEESV_SW_SX_S14_S18_S1A_T6_T7_T9_mT8_S1C_bDpT10_ENKUlT_T0_E_clISt17integral_constantIbLb0EES1P_EEDaS1K_S1L_EUlS1K_E_NS1_11comp_targetILNS1_3genE8ELNS1_11target_archE1030ELNS1_3gpuE2ELNS1_3repE0EEENS1_30default_config_static_selectorELNS0_4arch9wavefront6targetE0EEEvSY_.num_vgpr, 0
	.set _ZN7rocprim17ROCPRIM_400000_NS6detail17trampoline_kernelINS0_13select_configILj256ELj13ELNS0_17block_load_methodE3ELS4_3ELS4_3ELNS0_20block_scan_algorithmE0ELj4294967295EEENS1_25partition_config_selectorILNS1_17partition_subalgoE3EjNS0_10empty_typeEbEEZZNS1_14partition_implILS8_3ELb0ES6_jNS0_17counting_iteratorIjlEEPS9_SE_NS0_5tupleIJPjSE_EEENSF_IJSE_SE_EEES9_SG_JZNS1_25segmented_radix_sort_implINS0_14default_configELb0EPKhPhPKlPlN2at6native12_GLOBAL__N_18offset_tEEE10hipError_tPvRmT1_PNSt15iterator_traitsISY_E10value_typeET2_T3_PNSZ_IS14_E10value_typeET4_jRbjT5_S1A_jjP12ihipStream_tbEUljE_EEESV_SW_SX_S14_S18_S1A_T6_T7_T9_mT8_S1C_bDpT10_ENKUlT_T0_E_clISt17integral_constantIbLb0EES1P_EEDaS1K_S1L_EUlS1K_E_NS1_11comp_targetILNS1_3genE8ELNS1_11target_archE1030ELNS1_3gpuE2ELNS1_3repE0EEENS1_30default_config_static_selectorELNS0_4arch9wavefront6targetE0EEEvSY_.num_agpr, 0
	.set _ZN7rocprim17ROCPRIM_400000_NS6detail17trampoline_kernelINS0_13select_configILj256ELj13ELNS0_17block_load_methodE3ELS4_3ELS4_3ELNS0_20block_scan_algorithmE0ELj4294967295EEENS1_25partition_config_selectorILNS1_17partition_subalgoE3EjNS0_10empty_typeEbEEZZNS1_14partition_implILS8_3ELb0ES6_jNS0_17counting_iteratorIjlEEPS9_SE_NS0_5tupleIJPjSE_EEENSF_IJSE_SE_EEES9_SG_JZNS1_25segmented_radix_sort_implINS0_14default_configELb0EPKhPhPKlPlN2at6native12_GLOBAL__N_18offset_tEEE10hipError_tPvRmT1_PNSt15iterator_traitsISY_E10value_typeET2_T3_PNSZ_IS14_E10value_typeET4_jRbjT5_S1A_jjP12ihipStream_tbEUljE_EEESV_SW_SX_S14_S18_S1A_T6_T7_T9_mT8_S1C_bDpT10_ENKUlT_T0_E_clISt17integral_constantIbLb0EES1P_EEDaS1K_S1L_EUlS1K_E_NS1_11comp_targetILNS1_3genE8ELNS1_11target_archE1030ELNS1_3gpuE2ELNS1_3repE0EEENS1_30default_config_static_selectorELNS0_4arch9wavefront6targetE0EEEvSY_.numbered_sgpr, 0
	.set _ZN7rocprim17ROCPRIM_400000_NS6detail17trampoline_kernelINS0_13select_configILj256ELj13ELNS0_17block_load_methodE3ELS4_3ELS4_3ELNS0_20block_scan_algorithmE0ELj4294967295EEENS1_25partition_config_selectorILNS1_17partition_subalgoE3EjNS0_10empty_typeEbEEZZNS1_14partition_implILS8_3ELb0ES6_jNS0_17counting_iteratorIjlEEPS9_SE_NS0_5tupleIJPjSE_EEENSF_IJSE_SE_EEES9_SG_JZNS1_25segmented_radix_sort_implINS0_14default_configELb0EPKhPhPKlPlN2at6native12_GLOBAL__N_18offset_tEEE10hipError_tPvRmT1_PNSt15iterator_traitsISY_E10value_typeET2_T3_PNSZ_IS14_E10value_typeET4_jRbjT5_S1A_jjP12ihipStream_tbEUljE_EEESV_SW_SX_S14_S18_S1A_T6_T7_T9_mT8_S1C_bDpT10_ENKUlT_T0_E_clISt17integral_constantIbLb0EES1P_EEDaS1K_S1L_EUlS1K_E_NS1_11comp_targetILNS1_3genE8ELNS1_11target_archE1030ELNS1_3gpuE2ELNS1_3repE0EEENS1_30default_config_static_selectorELNS0_4arch9wavefront6targetE0EEEvSY_.num_named_barrier, 0
	.set _ZN7rocprim17ROCPRIM_400000_NS6detail17trampoline_kernelINS0_13select_configILj256ELj13ELNS0_17block_load_methodE3ELS4_3ELS4_3ELNS0_20block_scan_algorithmE0ELj4294967295EEENS1_25partition_config_selectorILNS1_17partition_subalgoE3EjNS0_10empty_typeEbEEZZNS1_14partition_implILS8_3ELb0ES6_jNS0_17counting_iteratorIjlEEPS9_SE_NS0_5tupleIJPjSE_EEENSF_IJSE_SE_EEES9_SG_JZNS1_25segmented_radix_sort_implINS0_14default_configELb0EPKhPhPKlPlN2at6native12_GLOBAL__N_18offset_tEEE10hipError_tPvRmT1_PNSt15iterator_traitsISY_E10value_typeET2_T3_PNSZ_IS14_E10value_typeET4_jRbjT5_S1A_jjP12ihipStream_tbEUljE_EEESV_SW_SX_S14_S18_S1A_T6_T7_T9_mT8_S1C_bDpT10_ENKUlT_T0_E_clISt17integral_constantIbLb0EES1P_EEDaS1K_S1L_EUlS1K_E_NS1_11comp_targetILNS1_3genE8ELNS1_11target_archE1030ELNS1_3gpuE2ELNS1_3repE0EEENS1_30default_config_static_selectorELNS0_4arch9wavefront6targetE0EEEvSY_.private_seg_size, 0
	.set _ZN7rocprim17ROCPRIM_400000_NS6detail17trampoline_kernelINS0_13select_configILj256ELj13ELNS0_17block_load_methodE3ELS4_3ELS4_3ELNS0_20block_scan_algorithmE0ELj4294967295EEENS1_25partition_config_selectorILNS1_17partition_subalgoE3EjNS0_10empty_typeEbEEZZNS1_14partition_implILS8_3ELb0ES6_jNS0_17counting_iteratorIjlEEPS9_SE_NS0_5tupleIJPjSE_EEENSF_IJSE_SE_EEES9_SG_JZNS1_25segmented_radix_sort_implINS0_14default_configELb0EPKhPhPKlPlN2at6native12_GLOBAL__N_18offset_tEEE10hipError_tPvRmT1_PNSt15iterator_traitsISY_E10value_typeET2_T3_PNSZ_IS14_E10value_typeET4_jRbjT5_S1A_jjP12ihipStream_tbEUljE_EEESV_SW_SX_S14_S18_S1A_T6_T7_T9_mT8_S1C_bDpT10_ENKUlT_T0_E_clISt17integral_constantIbLb0EES1P_EEDaS1K_S1L_EUlS1K_E_NS1_11comp_targetILNS1_3genE8ELNS1_11target_archE1030ELNS1_3gpuE2ELNS1_3repE0EEENS1_30default_config_static_selectorELNS0_4arch9wavefront6targetE0EEEvSY_.uses_vcc, 0
	.set _ZN7rocprim17ROCPRIM_400000_NS6detail17trampoline_kernelINS0_13select_configILj256ELj13ELNS0_17block_load_methodE3ELS4_3ELS4_3ELNS0_20block_scan_algorithmE0ELj4294967295EEENS1_25partition_config_selectorILNS1_17partition_subalgoE3EjNS0_10empty_typeEbEEZZNS1_14partition_implILS8_3ELb0ES6_jNS0_17counting_iteratorIjlEEPS9_SE_NS0_5tupleIJPjSE_EEENSF_IJSE_SE_EEES9_SG_JZNS1_25segmented_radix_sort_implINS0_14default_configELb0EPKhPhPKlPlN2at6native12_GLOBAL__N_18offset_tEEE10hipError_tPvRmT1_PNSt15iterator_traitsISY_E10value_typeET2_T3_PNSZ_IS14_E10value_typeET4_jRbjT5_S1A_jjP12ihipStream_tbEUljE_EEESV_SW_SX_S14_S18_S1A_T6_T7_T9_mT8_S1C_bDpT10_ENKUlT_T0_E_clISt17integral_constantIbLb0EES1P_EEDaS1K_S1L_EUlS1K_E_NS1_11comp_targetILNS1_3genE8ELNS1_11target_archE1030ELNS1_3gpuE2ELNS1_3repE0EEENS1_30default_config_static_selectorELNS0_4arch9wavefront6targetE0EEEvSY_.uses_flat_scratch, 0
	.set _ZN7rocprim17ROCPRIM_400000_NS6detail17trampoline_kernelINS0_13select_configILj256ELj13ELNS0_17block_load_methodE3ELS4_3ELS4_3ELNS0_20block_scan_algorithmE0ELj4294967295EEENS1_25partition_config_selectorILNS1_17partition_subalgoE3EjNS0_10empty_typeEbEEZZNS1_14partition_implILS8_3ELb0ES6_jNS0_17counting_iteratorIjlEEPS9_SE_NS0_5tupleIJPjSE_EEENSF_IJSE_SE_EEES9_SG_JZNS1_25segmented_radix_sort_implINS0_14default_configELb0EPKhPhPKlPlN2at6native12_GLOBAL__N_18offset_tEEE10hipError_tPvRmT1_PNSt15iterator_traitsISY_E10value_typeET2_T3_PNSZ_IS14_E10value_typeET4_jRbjT5_S1A_jjP12ihipStream_tbEUljE_EEESV_SW_SX_S14_S18_S1A_T6_T7_T9_mT8_S1C_bDpT10_ENKUlT_T0_E_clISt17integral_constantIbLb0EES1P_EEDaS1K_S1L_EUlS1K_E_NS1_11comp_targetILNS1_3genE8ELNS1_11target_archE1030ELNS1_3gpuE2ELNS1_3repE0EEENS1_30default_config_static_selectorELNS0_4arch9wavefront6targetE0EEEvSY_.has_dyn_sized_stack, 0
	.set _ZN7rocprim17ROCPRIM_400000_NS6detail17trampoline_kernelINS0_13select_configILj256ELj13ELNS0_17block_load_methodE3ELS4_3ELS4_3ELNS0_20block_scan_algorithmE0ELj4294967295EEENS1_25partition_config_selectorILNS1_17partition_subalgoE3EjNS0_10empty_typeEbEEZZNS1_14partition_implILS8_3ELb0ES6_jNS0_17counting_iteratorIjlEEPS9_SE_NS0_5tupleIJPjSE_EEENSF_IJSE_SE_EEES9_SG_JZNS1_25segmented_radix_sort_implINS0_14default_configELb0EPKhPhPKlPlN2at6native12_GLOBAL__N_18offset_tEEE10hipError_tPvRmT1_PNSt15iterator_traitsISY_E10value_typeET2_T3_PNSZ_IS14_E10value_typeET4_jRbjT5_S1A_jjP12ihipStream_tbEUljE_EEESV_SW_SX_S14_S18_S1A_T6_T7_T9_mT8_S1C_bDpT10_ENKUlT_T0_E_clISt17integral_constantIbLb0EES1P_EEDaS1K_S1L_EUlS1K_E_NS1_11comp_targetILNS1_3genE8ELNS1_11target_archE1030ELNS1_3gpuE2ELNS1_3repE0EEENS1_30default_config_static_selectorELNS0_4arch9wavefront6targetE0EEEvSY_.has_recursion, 0
	.set _ZN7rocprim17ROCPRIM_400000_NS6detail17trampoline_kernelINS0_13select_configILj256ELj13ELNS0_17block_load_methodE3ELS4_3ELS4_3ELNS0_20block_scan_algorithmE0ELj4294967295EEENS1_25partition_config_selectorILNS1_17partition_subalgoE3EjNS0_10empty_typeEbEEZZNS1_14partition_implILS8_3ELb0ES6_jNS0_17counting_iteratorIjlEEPS9_SE_NS0_5tupleIJPjSE_EEENSF_IJSE_SE_EEES9_SG_JZNS1_25segmented_radix_sort_implINS0_14default_configELb0EPKhPhPKlPlN2at6native12_GLOBAL__N_18offset_tEEE10hipError_tPvRmT1_PNSt15iterator_traitsISY_E10value_typeET2_T3_PNSZ_IS14_E10value_typeET4_jRbjT5_S1A_jjP12ihipStream_tbEUljE_EEESV_SW_SX_S14_S18_S1A_T6_T7_T9_mT8_S1C_bDpT10_ENKUlT_T0_E_clISt17integral_constantIbLb0EES1P_EEDaS1K_S1L_EUlS1K_E_NS1_11comp_targetILNS1_3genE8ELNS1_11target_archE1030ELNS1_3gpuE2ELNS1_3repE0EEENS1_30default_config_static_selectorELNS0_4arch9wavefront6targetE0EEEvSY_.has_indirect_call, 0
	.section	.AMDGPU.csdata,"",@progbits
; Kernel info:
; codeLenInByte = 0
; TotalNumSgprs: 0
; NumVgprs: 0
; ScratchSize: 0
; MemoryBound: 0
; FloatMode: 240
; IeeeMode: 1
; LDSByteSize: 0 bytes/workgroup (compile time only)
; SGPRBlocks: 0
; VGPRBlocks: 0
; NumSGPRsForWavesPerEU: 1
; NumVGPRsForWavesPerEU: 1
; Occupancy: 16
; WaveLimiterHint : 0
; COMPUTE_PGM_RSRC2:SCRATCH_EN: 0
; COMPUTE_PGM_RSRC2:USER_SGPR: 2
; COMPUTE_PGM_RSRC2:TRAP_HANDLER: 0
; COMPUTE_PGM_RSRC2:TGID_X_EN: 1
; COMPUTE_PGM_RSRC2:TGID_Y_EN: 0
; COMPUTE_PGM_RSRC2:TGID_Z_EN: 0
; COMPUTE_PGM_RSRC2:TIDIG_COMP_CNT: 0
	.section	.text._ZN7rocprim17ROCPRIM_400000_NS6detail17trampoline_kernelINS0_13select_configILj256ELj13ELNS0_17block_load_methodE3ELS4_3ELS4_3ELNS0_20block_scan_algorithmE0ELj4294967295EEENS1_25partition_config_selectorILNS1_17partition_subalgoE3EjNS0_10empty_typeEbEEZZNS1_14partition_implILS8_3ELb0ES6_jNS0_17counting_iteratorIjlEEPS9_SE_NS0_5tupleIJPjSE_EEENSF_IJSE_SE_EEES9_SG_JZNS1_25segmented_radix_sort_implINS0_14default_configELb0EPKhPhPKlPlN2at6native12_GLOBAL__N_18offset_tEEE10hipError_tPvRmT1_PNSt15iterator_traitsISY_E10value_typeET2_T3_PNSZ_IS14_E10value_typeET4_jRbjT5_S1A_jjP12ihipStream_tbEUljE_EEESV_SW_SX_S14_S18_S1A_T6_T7_T9_mT8_S1C_bDpT10_ENKUlT_T0_E_clISt17integral_constantIbLb1EES1P_EEDaS1K_S1L_EUlS1K_E_NS1_11comp_targetILNS1_3genE0ELNS1_11target_archE4294967295ELNS1_3gpuE0ELNS1_3repE0EEENS1_30default_config_static_selectorELNS0_4arch9wavefront6targetE0EEEvSY_,"axG",@progbits,_ZN7rocprim17ROCPRIM_400000_NS6detail17trampoline_kernelINS0_13select_configILj256ELj13ELNS0_17block_load_methodE3ELS4_3ELS4_3ELNS0_20block_scan_algorithmE0ELj4294967295EEENS1_25partition_config_selectorILNS1_17partition_subalgoE3EjNS0_10empty_typeEbEEZZNS1_14partition_implILS8_3ELb0ES6_jNS0_17counting_iteratorIjlEEPS9_SE_NS0_5tupleIJPjSE_EEENSF_IJSE_SE_EEES9_SG_JZNS1_25segmented_radix_sort_implINS0_14default_configELb0EPKhPhPKlPlN2at6native12_GLOBAL__N_18offset_tEEE10hipError_tPvRmT1_PNSt15iterator_traitsISY_E10value_typeET2_T3_PNSZ_IS14_E10value_typeET4_jRbjT5_S1A_jjP12ihipStream_tbEUljE_EEESV_SW_SX_S14_S18_S1A_T6_T7_T9_mT8_S1C_bDpT10_ENKUlT_T0_E_clISt17integral_constantIbLb1EES1P_EEDaS1K_S1L_EUlS1K_E_NS1_11comp_targetILNS1_3genE0ELNS1_11target_archE4294967295ELNS1_3gpuE0ELNS1_3repE0EEENS1_30default_config_static_selectorELNS0_4arch9wavefront6targetE0EEEvSY_,comdat
	.globl	_ZN7rocprim17ROCPRIM_400000_NS6detail17trampoline_kernelINS0_13select_configILj256ELj13ELNS0_17block_load_methodE3ELS4_3ELS4_3ELNS0_20block_scan_algorithmE0ELj4294967295EEENS1_25partition_config_selectorILNS1_17partition_subalgoE3EjNS0_10empty_typeEbEEZZNS1_14partition_implILS8_3ELb0ES6_jNS0_17counting_iteratorIjlEEPS9_SE_NS0_5tupleIJPjSE_EEENSF_IJSE_SE_EEES9_SG_JZNS1_25segmented_radix_sort_implINS0_14default_configELb0EPKhPhPKlPlN2at6native12_GLOBAL__N_18offset_tEEE10hipError_tPvRmT1_PNSt15iterator_traitsISY_E10value_typeET2_T3_PNSZ_IS14_E10value_typeET4_jRbjT5_S1A_jjP12ihipStream_tbEUljE_EEESV_SW_SX_S14_S18_S1A_T6_T7_T9_mT8_S1C_bDpT10_ENKUlT_T0_E_clISt17integral_constantIbLb1EES1P_EEDaS1K_S1L_EUlS1K_E_NS1_11comp_targetILNS1_3genE0ELNS1_11target_archE4294967295ELNS1_3gpuE0ELNS1_3repE0EEENS1_30default_config_static_selectorELNS0_4arch9wavefront6targetE0EEEvSY_ ; -- Begin function _ZN7rocprim17ROCPRIM_400000_NS6detail17trampoline_kernelINS0_13select_configILj256ELj13ELNS0_17block_load_methodE3ELS4_3ELS4_3ELNS0_20block_scan_algorithmE0ELj4294967295EEENS1_25partition_config_selectorILNS1_17partition_subalgoE3EjNS0_10empty_typeEbEEZZNS1_14partition_implILS8_3ELb0ES6_jNS0_17counting_iteratorIjlEEPS9_SE_NS0_5tupleIJPjSE_EEENSF_IJSE_SE_EEES9_SG_JZNS1_25segmented_radix_sort_implINS0_14default_configELb0EPKhPhPKlPlN2at6native12_GLOBAL__N_18offset_tEEE10hipError_tPvRmT1_PNSt15iterator_traitsISY_E10value_typeET2_T3_PNSZ_IS14_E10value_typeET4_jRbjT5_S1A_jjP12ihipStream_tbEUljE_EEESV_SW_SX_S14_S18_S1A_T6_T7_T9_mT8_S1C_bDpT10_ENKUlT_T0_E_clISt17integral_constantIbLb1EES1P_EEDaS1K_S1L_EUlS1K_E_NS1_11comp_targetILNS1_3genE0ELNS1_11target_archE4294967295ELNS1_3gpuE0ELNS1_3repE0EEENS1_30default_config_static_selectorELNS0_4arch9wavefront6targetE0EEEvSY_
	.p2align	8
	.type	_ZN7rocprim17ROCPRIM_400000_NS6detail17trampoline_kernelINS0_13select_configILj256ELj13ELNS0_17block_load_methodE3ELS4_3ELS4_3ELNS0_20block_scan_algorithmE0ELj4294967295EEENS1_25partition_config_selectorILNS1_17partition_subalgoE3EjNS0_10empty_typeEbEEZZNS1_14partition_implILS8_3ELb0ES6_jNS0_17counting_iteratorIjlEEPS9_SE_NS0_5tupleIJPjSE_EEENSF_IJSE_SE_EEES9_SG_JZNS1_25segmented_radix_sort_implINS0_14default_configELb0EPKhPhPKlPlN2at6native12_GLOBAL__N_18offset_tEEE10hipError_tPvRmT1_PNSt15iterator_traitsISY_E10value_typeET2_T3_PNSZ_IS14_E10value_typeET4_jRbjT5_S1A_jjP12ihipStream_tbEUljE_EEESV_SW_SX_S14_S18_S1A_T6_T7_T9_mT8_S1C_bDpT10_ENKUlT_T0_E_clISt17integral_constantIbLb1EES1P_EEDaS1K_S1L_EUlS1K_E_NS1_11comp_targetILNS1_3genE0ELNS1_11target_archE4294967295ELNS1_3gpuE0ELNS1_3repE0EEENS1_30default_config_static_selectorELNS0_4arch9wavefront6targetE0EEEvSY_,@function
_ZN7rocprim17ROCPRIM_400000_NS6detail17trampoline_kernelINS0_13select_configILj256ELj13ELNS0_17block_load_methodE3ELS4_3ELS4_3ELNS0_20block_scan_algorithmE0ELj4294967295EEENS1_25partition_config_selectorILNS1_17partition_subalgoE3EjNS0_10empty_typeEbEEZZNS1_14partition_implILS8_3ELb0ES6_jNS0_17counting_iteratorIjlEEPS9_SE_NS0_5tupleIJPjSE_EEENSF_IJSE_SE_EEES9_SG_JZNS1_25segmented_radix_sort_implINS0_14default_configELb0EPKhPhPKlPlN2at6native12_GLOBAL__N_18offset_tEEE10hipError_tPvRmT1_PNSt15iterator_traitsISY_E10value_typeET2_T3_PNSZ_IS14_E10value_typeET4_jRbjT5_S1A_jjP12ihipStream_tbEUljE_EEESV_SW_SX_S14_S18_S1A_T6_T7_T9_mT8_S1C_bDpT10_ENKUlT_T0_E_clISt17integral_constantIbLb1EES1P_EEDaS1K_S1L_EUlS1K_E_NS1_11comp_targetILNS1_3genE0ELNS1_11target_archE4294967295ELNS1_3gpuE0ELNS1_3repE0EEENS1_30default_config_static_selectorELNS0_4arch9wavefront6targetE0EEEvSY_: ; @_ZN7rocprim17ROCPRIM_400000_NS6detail17trampoline_kernelINS0_13select_configILj256ELj13ELNS0_17block_load_methodE3ELS4_3ELS4_3ELNS0_20block_scan_algorithmE0ELj4294967295EEENS1_25partition_config_selectorILNS1_17partition_subalgoE3EjNS0_10empty_typeEbEEZZNS1_14partition_implILS8_3ELb0ES6_jNS0_17counting_iteratorIjlEEPS9_SE_NS0_5tupleIJPjSE_EEENSF_IJSE_SE_EEES9_SG_JZNS1_25segmented_radix_sort_implINS0_14default_configELb0EPKhPhPKlPlN2at6native12_GLOBAL__N_18offset_tEEE10hipError_tPvRmT1_PNSt15iterator_traitsISY_E10value_typeET2_T3_PNSZ_IS14_E10value_typeET4_jRbjT5_S1A_jjP12ihipStream_tbEUljE_EEESV_SW_SX_S14_S18_S1A_T6_T7_T9_mT8_S1C_bDpT10_ENKUlT_T0_E_clISt17integral_constantIbLb1EES1P_EEDaS1K_S1L_EUlS1K_E_NS1_11comp_targetILNS1_3genE0ELNS1_11target_archE4294967295ELNS1_3gpuE0ELNS1_3repE0EEENS1_30default_config_static_selectorELNS0_4arch9wavefront6targetE0EEEvSY_
; %bb.0:
	.section	.rodata,"a",@progbits
	.p2align	6, 0x0
	.amdhsa_kernel _ZN7rocprim17ROCPRIM_400000_NS6detail17trampoline_kernelINS0_13select_configILj256ELj13ELNS0_17block_load_methodE3ELS4_3ELS4_3ELNS0_20block_scan_algorithmE0ELj4294967295EEENS1_25partition_config_selectorILNS1_17partition_subalgoE3EjNS0_10empty_typeEbEEZZNS1_14partition_implILS8_3ELb0ES6_jNS0_17counting_iteratorIjlEEPS9_SE_NS0_5tupleIJPjSE_EEENSF_IJSE_SE_EEES9_SG_JZNS1_25segmented_radix_sort_implINS0_14default_configELb0EPKhPhPKlPlN2at6native12_GLOBAL__N_18offset_tEEE10hipError_tPvRmT1_PNSt15iterator_traitsISY_E10value_typeET2_T3_PNSZ_IS14_E10value_typeET4_jRbjT5_S1A_jjP12ihipStream_tbEUljE_EEESV_SW_SX_S14_S18_S1A_T6_T7_T9_mT8_S1C_bDpT10_ENKUlT_T0_E_clISt17integral_constantIbLb1EES1P_EEDaS1K_S1L_EUlS1K_E_NS1_11comp_targetILNS1_3genE0ELNS1_11target_archE4294967295ELNS1_3gpuE0ELNS1_3repE0EEENS1_30default_config_static_selectorELNS0_4arch9wavefront6targetE0EEEvSY_
		.amdhsa_group_segment_fixed_size 0
		.amdhsa_private_segment_fixed_size 0
		.amdhsa_kernarg_size 152
		.amdhsa_user_sgpr_count 2
		.amdhsa_user_sgpr_dispatch_ptr 0
		.amdhsa_user_sgpr_queue_ptr 0
		.amdhsa_user_sgpr_kernarg_segment_ptr 1
		.amdhsa_user_sgpr_dispatch_id 0
		.amdhsa_user_sgpr_private_segment_size 0
		.amdhsa_wavefront_size32 1
		.amdhsa_uses_dynamic_stack 0
		.amdhsa_enable_private_segment 0
		.amdhsa_system_sgpr_workgroup_id_x 1
		.amdhsa_system_sgpr_workgroup_id_y 0
		.amdhsa_system_sgpr_workgroup_id_z 0
		.amdhsa_system_sgpr_workgroup_info 0
		.amdhsa_system_vgpr_workitem_id 0
		.amdhsa_next_free_vgpr 1
		.amdhsa_next_free_sgpr 1
		.amdhsa_reserve_vcc 0
		.amdhsa_float_round_mode_32 0
		.amdhsa_float_round_mode_16_64 0
		.amdhsa_float_denorm_mode_32 3
		.amdhsa_float_denorm_mode_16_64 3
		.amdhsa_fp16_overflow 0
		.amdhsa_workgroup_processor_mode 1
		.amdhsa_memory_ordered 1
		.amdhsa_forward_progress 1
		.amdhsa_inst_pref_size 0
		.amdhsa_round_robin_scheduling 0
		.amdhsa_exception_fp_ieee_invalid_op 0
		.amdhsa_exception_fp_denorm_src 0
		.amdhsa_exception_fp_ieee_div_zero 0
		.amdhsa_exception_fp_ieee_overflow 0
		.amdhsa_exception_fp_ieee_underflow 0
		.amdhsa_exception_fp_ieee_inexact 0
		.amdhsa_exception_int_div_zero 0
	.end_amdhsa_kernel
	.section	.text._ZN7rocprim17ROCPRIM_400000_NS6detail17trampoline_kernelINS0_13select_configILj256ELj13ELNS0_17block_load_methodE3ELS4_3ELS4_3ELNS0_20block_scan_algorithmE0ELj4294967295EEENS1_25partition_config_selectorILNS1_17partition_subalgoE3EjNS0_10empty_typeEbEEZZNS1_14partition_implILS8_3ELb0ES6_jNS0_17counting_iteratorIjlEEPS9_SE_NS0_5tupleIJPjSE_EEENSF_IJSE_SE_EEES9_SG_JZNS1_25segmented_radix_sort_implINS0_14default_configELb0EPKhPhPKlPlN2at6native12_GLOBAL__N_18offset_tEEE10hipError_tPvRmT1_PNSt15iterator_traitsISY_E10value_typeET2_T3_PNSZ_IS14_E10value_typeET4_jRbjT5_S1A_jjP12ihipStream_tbEUljE_EEESV_SW_SX_S14_S18_S1A_T6_T7_T9_mT8_S1C_bDpT10_ENKUlT_T0_E_clISt17integral_constantIbLb1EES1P_EEDaS1K_S1L_EUlS1K_E_NS1_11comp_targetILNS1_3genE0ELNS1_11target_archE4294967295ELNS1_3gpuE0ELNS1_3repE0EEENS1_30default_config_static_selectorELNS0_4arch9wavefront6targetE0EEEvSY_,"axG",@progbits,_ZN7rocprim17ROCPRIM_400000_NS6detail17trampoline_kernelINS0_13select_configILj256ELj13ELNS0_17block_load_methodE3ELS4_3ELS4_3ELNS0_20block_scan_algorithmE0ELj4294967295EEENS1_25partition_config_selectorILNS1_17partition_subalgoE3EjNS0_10empty_typeEbEEZZNS1_14partition_implILS8_3ELb0ES6_jNS0_17counting_iteratorIjlEEPS9_SE_NS0_5tupleIJPjSE_EEENSF_IJSE_SE_EEES9_SG_JZNS1_25segmented_radix_sort_implINS0_14default_configELb0EPKhPhPKlPlN2at6native12_GLOBAL__N_18offset_tEEE10hipError_tPvRmT1_PNSt15iterator_traitsISY_E10value_typeET2_T3_PNSZ_IS14_E10value_typeET4_jRbjT5_S1A_jjP12ihipStream_tbEUljE_EEESV_SW_SX_S14_S18_S1A_T6_T7_T9_mT8_S1C_bDpT10_ENKUlT_T0_E_clISt17integral_constantIbLb1EES1P_EEDaS1K_S1L_EUlS1K_E_NS1_11comp_targetILNS1_3genE0ELNS1_11target_archE4294967295ELNS1_3gpuE0ELNS1_3repE0EEENS1_30default_config_static_selectorELNS0_4arch9wavefront6targetE0EEEvSY_,comdat
.Lfunc_end162:
	.size	_ZN7rocprim17ROCPRIM_400000_NS6detail17trampoline_kernelINS0_13select_configILj256ELj13ELNS0_17block_load_methodE3ELS4_3ELS4_3ELNS0_20block_scan_algorithmE0ELj4294967295EEENS1_25partition_config_selectorILNS1_17partition_subalgoE3EjNS0_10empty_typeEbEEZZNS1_14partition_implILS8_3ELb0ES6_jNS0_17counting_iteratorIjlEEPS9_SE_NS0_5tupleIJPjSE_EEENSF_IJSE_SE_EEES9_SG_JZNS1_25segmented_radix_sort_implINS0_14default_configELb0EPKhPhPKlPlN2at6native12_GLOBAL__N_18offset_tEEE10hipError_tPvRmT1_PNSt15iterator_traitsISY_E10value_typeET2_T3_PNSZ_IS14_E10value_typeET4_jRbjT5_S1A_jjP12ihipStream_tbEUljE_EEESV_SW_SX_S14_S18_S1A_T6_T7_T9_mT8_S1C_bDpT10_ENKUlT_T0_E_clISt17integral_constantIbLb1EES1P_EEDaS1K_S1L_EUlS1K_E_NS1_11comp_targetILNS1_3genE0ELNS1_11target_archE4294967295ELNS1_3gpuE0ELNS1_3repE0EEENS1_30default_config_static_selectorELNS0_4arch9wavefront6targetE0EEEvSY_, .Lfunc_end162-_ZN7rocprim17ROCPRIM_400000_NS6detail17trampoline_kernelINS0_13select_configILj256ELj13ELNS0_17block_load_methodE3ELS4_3ELS4_3ELNS0_20block_scan_algorithmE0ELj4294967295EEENS1_25partition_config_selectorILNS1_17partition_subalgoE3EjNS0_10empty_typeEbEEZZNS1_14partition_implILS8_3ELb0ES6_jNS0_17counting_iteratorIjlEEPS9_SE_NS0_5tupleIJPjSE_EEENSF_IJSE_SE_EEES9_SG_JZNS1_25segmented_radix_sort_implINS0_14default_configELb0EPKhPhPKlPlN2at6native12_GLOBAL__N_18offset_tEEE10hipError_tPvRmT1_PNSt15iterator_traitsISY_E10value_typeET2_T3_PNSZ_IS14_E10value_typeET4_jRbjT5_S1A_jjP12ihipStream_tbEUljE_EEESV_SW_SX_S14_S18_S1A_T6_T7_T9_mT8_S1C_bDpT10_ENKUlT_T0_E_clISt17integral_constantIbLb1EES1P_EEDaS1K_S1L_EUlS1K_E_NS1_11comp_targetILNS1_3genE0ELNS1_11target_archE4294967295ELNS1_3gpuE0ELNS1_3repE0EEENS1_30default_config_static_selectorELNS0_4arch9wavefront6targetE0EEEvSY_
                                        ; -- End function
	.set _ZN7rocprim17ROCPRIM_400000_NS6detail17trampoline_kernelINS0_13select_configILj256ELj13ELNS0_17block_load_methodE3ELS4_3ELS4_3ELNS0_20block_scan_algorithmE0ELj4294967295EEENS1_25partition_config_selectorILNS1_17partition_subalgoE3EjNS0_10empty_typeEbEEZZNS1_14partition_implILS8_3ELb0ES6_jNS0_17counting_iteratorIjlEEPS9_SE_NS0_5tupleIJPjSE_EEENSF_IJSE_SE_EEES9_SG_JZNS1_25segmented_radix_sort_implINS0_14default_configELb0EPKhPhPKlPlN2at6native12_GLOBAL__N_18offset_tEEE10hipError_tPvRmT1_PNSt15iterator_traitsISY_E10value_typeET2_T3_PNSZ_IS14_E10value_typeET4_jRbjT5_S1A_jjP12ihipStream_tbEUljE_EEESV_SW_SX_S14_S18_S1A_T6_T7_T9_mT8_S1C_bDpT10_ENKUlT_T0_E_clISt17integral_constantIbLb1EES1P_EEDaS1K_S1L_EUlS1K_E_NS1_11comp_targetILNS1_3genE0ELNS1_11target_archE4294967295ELNS1_3gpuE0ELNS1_3repE0EEENS1_30default_config_static_selectorELNS0_4arch9wavefront6targetE0EEEvSY_.num_vgpr, 0
	.set _ZN7rocprim17ROCPRIM_400000_NS6detail17trampoline_kernelINS0_13select_configILj256ELj13ELNS0_17block_load_methodE3ELS4_3ELS4_3ELNS0_20block_scan_algorithmE0ELj4294967295EEENS1_25partition_config_selectorILNS1_17partition_subalgoE3EjNS0_10empty_typeEbEEZZNS1_14partition_implILS8_3ELb0ES6_jNS0_17counting_iteratorIjlEEPS9_SE_NS0_5tupleIJPjSE_EEENSF_IJSE_SE_EEES9_SG_JZNS1_25segmented_radix_sort_implINS0_14default_configELb0EPKhPhPKlPlN2at6native12_GLOBAL__N_18offset_tEEE10hipError_tPvRmT1_PNSt15iterator_traitsISY_E10value_typeET2_T3_PNSZ_IS14_E10value_typeET4_jRbjT5_S1A_jjP12ihipStream_tbEUljE_EEESV_SW_SX_S14_S18_S1A_T6_T7_T9_mT8_S1C_bDpT10_ENKUlT_T0_E_clISt17integral_constantIbLb1EES1P_EEDaS1K_S1L_EUlS1K_E_NS1_11comp_targetILNS1_3genE0ELNS1_11target_archE4294967295ELNS1_3gpuE0ELNS1_3repE0EEENS1_30default_config_static_selectorELNS0_4arch9wavefront6targetE0EEEvSY_.num_agpr, 0
	.set _ZN7rocprim17ROCPRIM_400000_NS6detail17trampoline_kernelINS0_13select_configILj256ELj13ELNS0_17block_load_methodE3ELS4_3ELS4_3ELNS0_20block_scan_algorithmE0ELj4294967295EEENS1_25partition_config_selectorILNS1_17partition_subalgoE3EjNS0_10empty_typeEbEEZZNS1_14partition_implILS8_3ELb0ES6_jNS0_17counting_iteratorIjlEEPS9_SE_NS0_5tupleIJPjSE_EEENSF_IJSE_SE_EEES9_SG_JZNS1_25segmented_radix_sort_implINS0_14default_configELb0EPKhPhPKlPlN2at6native12_GLOBAL__N_18offset_tEEE10hipError_tPvRmT1_PNSt15iterator_traitsISY_E10value_typeET2_T3_PNSZ_IS14_E10value_typeET4_jRbjT5_S1A_jjP12ihipStream_tbEUljE_EEESV_SW_SX_S14_S18_S1A_T6_T7_T9_mT8_S1C_bDpT10_ENKUlT_T0_E_clISt17integral_constantIbLb1EES1P_EEDaS1K_S1L_EUlS1K_E_NS1_11comp_targetILNS1_3genE0ELNS1_11target_archE4294967295ELNS1_3gpuE0ELNS1_3repE0EEENS1_30default_config_static_selectorELNS0_4arch9wavefront6targetE0EEEvSY_.numbered_sgpr, 0
	.set _ZN7rocprim17ROCPRIM_400000_NS6detail17trampoline_kernelINS0_13select_configILj256ELj13ELNS0_17block_load_methodE3ELS4_3ELS4_3ELNS0_20block_scan_algorithmE0ELj4294967295EEENS1_25partition_config_selectorILNS1_17partition_subalgoE3EjNS0_10empty_typeEbEEZZNS1_14partition_implILS8_3ELb0ES6_jNS0_17counting_iteratorIjlEEPS9_SE_NS0_5tupleIJPjSE_EEENSF_IJSE_SE_EEES9_SG_JZNS1_25segmented_radix_sort_implINS0_14default_configELb0EPKhPhPKlPlN2at6native12_GLOBAL__N_18offset_tEEE10hipError_tPvRmT1_PNSt15iterator_traitsISY_E10value_typeET2_T3_PNSZ_IS14_E10value_typeET4_jRbjT5_S1A_jjP12ihipStream_tbEUljE_EEESV_SW_SX_S14_S18_S1A_T6_T7_T9_mT8_S1C_bDpT10_ENKUlT_T0_E_clISt17integral_constantIbLb1EES1P_EEDaS1K_S1L_EUlS1K_E_NS1_11comp_targetILNS1_3genE0ELNS1_11target_archE4294967295ELNS1_3gpuE0ELNS1_3repE0EEENS1_30default_config_static_selectorELNS0_4arch9wavefront6targetE0EEEvSY_.num_named_barrier, 0
	.set _ZN7rocprim17ROCPRIM_400000_NS6detail17trampoline_kernelINS0_13select_configILj256ELj13ELNS0_17block_load_methodE3ELS4_3ELS4_3ELNS0_20block_scan_algorithmE0ELj4294967295EEENS1_25partition_config_selectorILNS1_17partition_subalgoE3EjNS0_10empty_typeEbEEZZNS1_14partition_implILS8_3ELb0ES6_jNS0_17counting_iteratorIjlEEPS9_SE_NS0_5tupleIJPjSE_EEENSF_IJSE_SE_EEES9_SG_JZNS1_25segmented_radix_sort_implINS0_14default_configELb0EPKhPhPKlPlN2at6native12_GLOBAL__N_18offset_tEEE10hipError_tPvRmT1_PNSt15iterator_traitsISY_E10value_typeET2_T3_PNSZ_IS14_E10value_typeET4_jRbjT5_S1A_jjP12ihipStream_tbEUljE_EEESV_SW_SX_S14_S18_S1A_T6_T7_T9_mT8_S1C_bDpT10_ENKUlT_T0_E_clISt17integral_constantIbLb1EES1P_EEDaS1K_S1L_EUlS1K_E_NS1_11comp_targetILNS1_3genE0ELNS1_11target_archE4294967295ELNS1_3gpuE0ELNS1_3repE0EEENS1_30default_config_static_selectorELNS0_4arch9wavefront6targetE0EEEvSY_.private_seg_size, 0
	.set _ZN7rocprim17ROCPRIM_400000_NS6detail17trampoline_kernelINS0_13select_configILj256ELj13ELNS0_17block_load_methodE3ELS4_3ELS4_3ELNS0_20block_scan_algorithmE0ELj4294967295EEENS1_25partition_config_selectorILNS1_17partition_subalgoE3EjNS0_10empty_typeEbEEZZNS1_14partition_implILS8_3ELb0ES6_jNS0_17counting_iteratorIjlEEPS9_SE_NS0_5tupleIJPjSE_EEENSF_IJSE_SE_EEES9_SG_JZNS1_25segmented_radix_sort_implINS0_14default_configELb0EPKhPhPKlPlN2at6native12_GLOBAL__N_18offset_tEEE10hipError_tPvRmT1_PNSt15iterator_traitsISY_E10value_typeET2_T3_PNSZ_IS14_E10value_typeET4_jRbjT5_S1A_jjP12ihipStream_tbEUljE_EEESV_SW_SX_S14_S18_S1A_T6_T7_T9_mT8_S1C_bDpT10_ENKUlT_T0_E_clISt17integral_constantIbLb1EES1P_EEDaS1K_S1L_EUlS1K_E_NS1_11comp_targetILNS1_3genE0ELNS1_11target_archE4294967295ELNS1_3gpuE0ELNS1_3repE0EEENS1_30default_config_static_selectorELNS0_4arch9wavefront6targetE0EEEvSY_.uses_vcc, 0
	.set _ZN7rocprim17ROCPRIM_400000_NS6detail17trampoline_kernelINS0_13select_configILj256ELj13ELNS0_17block_load_methodE3ELS4_3ELS4_3ELNS0_20block_scan_algorithmE0ELj4294967295EEENS1_25partition_config_selectorILNS1_17partition_subalgoE3EjNS0_10empty_typeEbEEZZNS1_14partition_implILS8_3ELb0ES6_jNS0_17counting_iteratorIjlEEPS9_SE_NS0_5tupleIJPjSE_EEENSF_IJSE_SE_EEES9_SG_JZNS1_25segmented_radix_sort_implINS0_14default_configELb0EPKhPhPKlPlN2at6native12_GLOBAL__N_18offset_tEEE10hipError_tPvRmT1_PNSt15iterator_traitsISY_E10value_typeET2_T3_PNSZ_IS14_E10value_typeET4_jRbjT5_S1A_jjP12ihipStream_tbEUljE_EEESV_SW_SX_S14_S18_S1A_T6_T7_T9_mT8_S1C_bDpT10_ENKUlT_T0_E_clISt17integral_constantIbLb1EES1P_EEDaS1K_S1L_EUlS1K_E_NS1_11comp_targetILNS1_3genE0ELNS1_11target_archE4294967295ELNS1_3gpuE0ELNS1_3repE0EEENS1_30default_config_static_selectorELNS0_4arch9wavefront6targetE0EEEvSY_.uses_flat_scratch, 0
	.set _ZN7rocprim17ROCPRIM_400000_NS6detail17trampoline_kernelINS0_13select_configILj256ELj13ELNS0_17block_load_methodE3ELS4_3ELS4_3ELNS0_20block_scan_algorithmE0ELj4294967295EEENS1_25partition_config_selectorILNS1_17partition_subalgoE3EjNS0_10empty_typeEbEEZZNS1_14partition_implILS8_3ELb0ES6_jNS0_17counting_iteratorIjlEEPS9_SE_NS0_5tupleIJPjSE_EEENSF_IJSE_SE_EEES9_SG_JZNS1_25segmented_radix_sort_implINS0_14default_configELb0EPKhPhPKlPlN2at6native12_GLOBAL__N_18offset_tEEE10hipError_tPvRmT1_PNSt15iterator_traitsISY_E10value_typeET2_T3_PNSZ_IS14_E10value_typeET4_jRbjT5_S1A_jjP12ihipStream_tbEUljE_EEESV_SW_SX_S14_S18_S1A_T6_T7_T9_mT8_S1C_bDpT10_ENKUlT_T0_E_clISt17integral_constantIbLb1EES1P_EEDaS1K_S1L_EUlS1K_E_NS1_11comp_targetILNS1_3genE0ELNS1_11target_archE4294967295ELNS1_3gpuE0ELNS1_3repE0EEENS1_30default_config_static_selectorELNS0_4arch9wavefront6targetE0EEEvSY_.has_dyn_sized_stack, 0
	.set _ZN7rocprim17ROCPRIM_400000_NS6detail17trampoline_kernelINS0_13select_configILj256ELj13ELNS0_17block_load_methodE3ELS4_3ELS4_3ELNS0_20block_scan_algorithmE0ELj4294967295EEENS1_25partition_config_selectorILNS1_17partition_subalgoE3EjNS0_10empty_typeEbEEZZNS1_14partition_implILS8_3ELb0ES6_jNS0_17counting_iteratorIjlEEPS9_SE_NS0_5tupleIJPjSE_EEENSF_IJSE_SE_EEES9_SG_JZNS1_25segmented_radix_sort_implINS0_14default_configELb0EPKhPhPKlPlN2at6native12_GLOBAL__N_18offset_tEEE10hipError_tPvRmT1_PNSt15iterator_traitsISY_E10value_typeET2_T3_PNSZ_IS14_E10value_typeET4_jRbjT5_S1A_jjP12ihipStream_tbEUljE_EEESV_SW_SX_S14_S18_S1A_T6_T7_T9_mT8_S1C_bDpT10_ENKUlT_T0_E_clISt17integral_constantIbLb1EES1P_EEDaS1K_S1L_EUlS1K_E_NS1_11comp_targetILNS1_3genE0ELNS1_11target_archE4294967295ELNS1_3gpuE0ELNS1_3repE0EEENS1_30default_config_static_selectorELNS0_4arch9wavefront6targetE0EEEvSY_.has_recursion, 0
	.set _ZN7rocprim17ROCPRIM_400000_NS6detail17trampoline_kernelINS0_13select_configILj256ELj13ELNS0_17block_load_methodE3ELS4_3ELS4_3ELNS0_20block_scan_algorithmE0ELj4294967295EEENS1_25partition_config_selectorILNS1_17partition_subalgoE3EjNS0_10empty_typeEbEEZZNS1_14partition_implILS8_3ELb0ES6_jNS0_17counting_iteratorIjlEEPS9_SE_NS0_5tupleIJPjSE_EEENSF_IJSE_SE_EEES9_SG_JZNS1_25segmented_radix_sort_implINS0_14default_configELb0EPKhPhPKlPlN2at6native12_GLOBAL__N_18offset_tEEE10hipError_tPvRmT1_PNSt15iterator_traitsISY_E10value_typeET2_T3_PNSZ_IS14_E10value_typeET4_jRbjT5_S1A_jjP12ihipStream_tbEUljE_EEESV_SW_SX_S14_S18_S1A_T6_T7_T9_mT8_S1C_bDpT10_ENKUlT_T0_E_clISt17integral_constantIbLb1EES1P_EEDaS1K_S1L_EUlS1K_E_NS1_11comp_targetILNS1_3genE0ELNS1_11target_archE4294967295ELNS1_3gpuE0ELNS1_3repE0EEENS1_30default_config_static_selectorELNS0_4arch9wavefront6targetE0EEEvSY_.has_indirect_call, 0
	.section	.AMDGPU.csdata,"",@progbits
; Kernel info:
; codeLenInByte = 0
; TotalNumSgprs: 0
; NumVgprs: 0
; ScratchSize: 0
; MemoryBound: 0
; FloatMode: 240
; IeeeMode: 1
; LDSByteSize: 0 bytes/workgroup (compile time only)
; SGPRBlocks: 0
; VGPRBlocks: 0
; NumSGPRsForWavesPerEU: 1
; NumVGPRsForWavesPerEU: 1
; Occupancy: 16
; WaveLimiterHint : 0
; COMPUTE_PGM_RSRC2:SCRATCH_EN: 0
; COMPUTE_PGM_RSRC2:USER_SGPR: 2
; COMPUTE_PGM_RSRC2:TRAP_HANDLER: 0
; COMPUTE_PGM_RSRC2:TGID_X_EN: 1
; COMPUTE_PGM_RSRC2:TGID_Y_EN: 0
; COMPUTE_PGM_RSRC2:TGID_Z_EN: 0
; COMPUTE_PGM_RSRC2:TIDIG_COMP_CNT: 0
	.section	.text._ZN7rocprim17ROCPRIM_400000_NS6detail17trampoline_kernelINS0_13select_configILj256ELj13ELNS0_17block_load_methodE3ELS4_3ELS4_3ELNS0_20block_scan_algorithmE0ELj4294967295EEENS1_25partition_config_selectorILNS1_17partition_subalgoE3EjNS0_10empty_typeEbEEZZNS1_14partition_implILS8_3ELb0ES6_jNS0_17counting_iteratorIjlEEPS9_SE_NS0_5tupleIJPjSE_EEENSF_IJSE_SE_EEES9_SG_JZNS1_25segmented_radix_sort_implINS0_14default_configELb0EPKhPhPKlPlN2at6native12_GLOBAL__N_18offset_tEEE10hipError_tPvRmT1_PNSt15iterator_traitsISY_E10value_typeET2_T3_PNSZ_IS14_E10value_typeET4_jRbjT5_S1A_jjP12ihipStream_tbEUljE_EEESV_SW_SX_S14_S18_S1A_T6_T7_T9_mT8_S1C_bDpT10_ENKUlT_T0_E_clISt17integral_constantIbLb1EES1P_EEDaS1K_S1L_EUlS1K_E_NS1_11comp_targetILNS1_3genE5ELNS1_11target_archE942ELNS1_3gpuE9ELNS1_3repE0EEENS1_30default_config_static_selectorELNS0_4arch9wavefront6targetE0EEEvSY_,"axG",@progbits,_ZN7rocprim17ROCPRIM_400000_NS6detail17trampoline_kernelINS0_13select_configILj256ELj13ELNS0_17block_load_methodE3ELS4_3ELS4_3ELNS0_20block_scan_algorithmE0ELj4294967295EEENS1_25partition_config_selectorILNS1_17partition_subalgoE3EjNS0_10empty_typeEbEEZZNS1_14partition_implILS8_3ELb0ES6_jNS0_17counting_iteratorIjlEEPS9_SE_NS0_5tupleIJPjSE_EEENSF_IJSE_SE_EEES9_SG_JZNS1_25segmented_radix_sort_implINS0_14default_configELb0EPKhPhPKlPlN2at6native12_GLOBAL__N_18offset_tEEE10hipError_tPvRmT1_PNSt15iterator_traitsISY_E10value_typeET2_T3_PNSZ_IS14_E10value_typeET4_jRbjT5_S1A_jjP12ihipStream_tbEUljE_EEESV_SW_SX_S14_S18_S1A_T6_T7_T9_mT8_S1C_bDpT10_ENKUlT_T0_E_clISt17integral_constantIbLb1EES1P_EEDaS1K_S1L_EUlS1K_E_NS1_11comp_targetILNS1_3genE5ELNS1_11target_archE942ELNS1_3gpuE9ELNS1_3repE0EEENS1_30default_config_static_selectorELNS0_4arch9wavefront6targetE0EEEvSY_,comdat
	.globl	_ZN7rocprim17ROCPRIM_400000_NS6detail17trampoline_kernelINS0_13select_configILj256ELj13ELNS0_17block_load_methodE3ELS4_3ELS4_3ELNS0_20block_scan_algorithmE0ELj4294967295EEENS1_25partition_config_selectorILNS1_17partition_subalgoE3EjNS0_10empty_typeEbEEZZNS1_14partition_implILS8_3ELb0ES6_jNS0_17counting_iteratorIjlEEPS9_SE_NS0_5tupleIJPjSE_EEENSF_IJSE_SE_EEES9_SG_JZNS1_25segmented_radix_sort_implINS0_14default_configELb0EPKhPhPKlPlN2at6native12_GLOBAL__N_18offset_tEEE10hipError_tPvRmT1_PNSt15iterator_traitsISY_E10value_typeET2_T3_PNSZ_IS14_E10value_typeET4_jRbjT5_S1A_jjP12ihipStream_tbEUljE_EEESV_SW_SX_S14_S18_S1A_T6_T7_T9_mT8_S1C_bDpT10_ENKUlT_T0_E_clISt17integral_constantIbLb1EES1P_EEDaS1K_S1L_EUlS1K_E_NS1_11comp_targetILNS1_3genE5ELNS1_11target_archE942ELNS1_3gpuE9ELNS1_3repE0EEENS1_30default_config_static_selectorELNS0_4arch9wavefront6targetE0EEEvSY_ ; -- Begin function _ZN7rocprim17ROCPRIM_400000_NS6detail17trampoline_kernelINS0_13select_configILj256ELj13ELNS0_17block_load_methodE3ELS4_3ELS4_3ELNS0_20block_scan_algorithmE0ELj4294967295EEENS1_25partition_config_selectorILNS1_17partition_subalgoE3EjNS0_10empty_typeEbEEZZNS1_14partition_implILS8_3ELb0ES6_jNS0_17counting_iteratorIjlEEPS9_SE_NS0_5tupleIJPjSE_EEENSF_IJSE_SE_EEES9_SG_JZNS1_25segmented_radix_sort_implINS0_14default_configELb0EPKhPhPKlPlN2at6native12_GLOBAL__N_18offset_tEEE10hipError_tPvRmT1_PNSt15iterator_traitsISY_E10value_typeET2_T3_PNSZ_IS14_E10value_typeET4_jRbjT5_S1A_jjP12ihipStream_tbEUljE_EEESV_SW_SX_S14_S18_S1A_T6_T7_T9_mT8_S1C_bDpT10_ENKUlT_T0_E_clISt17integral_constantIbLb1EES1P_EEDaS1K_S1L_EUlS1K_E_NS1_11comp_targetILNS1_3genE5ELNS1_11target_archE942ELNS1_3gpuE9ELNS1_3repE0EEENS1_30default_config_static_selectorELNS0_4arch9wavefront6targetE0EEEvSY_
	.p2align	8
	.type	_ZN7rocprim17ROCPRIM_400000_NS6detail17trampoline_kernelINS0_13select_configILj256ELj13ELNS0_17block_load_methodE3ELS4_3ELS4_3ELNS0_20block_scan_algorithmE0ELj4294967295EEENS1_25partition_config_selectorILNS1_17partition_subalgoE3EjNS0_10empty_typeEbEEZZNS1_14partition_implILS8_3ELb0ES6_jNS0_17counting_iteratorIjlEEPS9_SE_NS0_5tupleIJPjSE_EEENSF_IJSE_SE_EEES9_SG_JZNS1_25segmented_radix_sort_implINS0_14default_configELb0EPKhPhPKlPlN2at6native12_GLOBAL__N_18offset_tEEE10hipError_tPvRmT1_PNSt15iterator_traitsISY_E10value_typeET2_T3_PNSZ_IS14_E10value_typeET4_jRbjT5_S1A_jjP12ihipStream_tbEUljE_EEESV_SW_SX_S14_S18_S1A_T6_T7_T9_mT8_S1C_bDpT10_ENKUlT_T0_E_clISt17integral_constantIbLb1EES1P_EEDaS1K_S1L_EUlS1K_E_NS1_11comp_targetILNS1_3genE5ELNS1_11target_archE942ELNS1_3gpuE9ELNS1_3repE0EEENS1_30default_config_static_selectorELNS0_4arch9wavefront6targetE0EEEvSY_,@function
_ZN7rocprim17ROCPRIM_400000_NS6detail17trampoline_kernelINS0_13select_configILj256ELj13ELNS0_17block_load_methodE3ELS4_3ELS4_3ELNS0_20block_scan_algorithmE0ELj4294967295EEENS1_25partition_config_selectorILNS1_17partition_subalgoE3EjNS0_10empty_typeEbEEZZNS1_14partition_implILS8_3ELb0ES6_jNS0_17counting_iteratorIjlEEPS9_SE_NS0_5tupleIJPjSE_EEENSF_IJSE_SE_EEES9_SG_JZNS1_25segmented_radix_sort_implINS0_14default_configELb0EPKhPhPKlPlN2at6native12_GLOBAL__N_18offset_tEEE10hipError_tPvRmT1_PNSt15iterator_traitsISY_E10value_typeET2_T3_PNSZ_IS14_E10value_typeET4_jRbjT5_S1A_jjP12ihipStream_tbEUljE_EEESV_SW_SX_S14_S18_S1A_T6_T7_T9_mT8_S1C_bDpT10_ENKUlT_T0_E_clISt17integral_constantIbLb1EES1P_EEDaS1K_S1L_EUlS1K_E_NS1_11comp_targetILNS1_3genE5ELNS1_11target_archE942ELNS1_3gpuE9ELNS1_3repE0EEENS1_30default_config_static_selectorELNS0_4arch9wavefront6targetE0EEEvSY_: ; @_ZN7rocprim17ROCPRIM_400000_NS6detail17trampoline_kernelINS0_13select_configILj256ELj13ELNS0_17block_load_methodE3ELS4_3ELS4_3ELNS0_20block_scan_algorithmE0ELj4294967295EEENS1_25partition_config_selectorILNS1_17partition_subalgoE3EjNS0_10empty_typeEbEEZZNS1_14partition_implILS8_3ELb0ES6_jNS0_17counting_iteratorIjlEEPS9_SE_NS0_5tupleIJPjSE_EEENSF_IJSE_SE_EEES9_SG_JZNS1_25segmented_radix_sort_implINS0_14default_configELb0EPKhPhPKlPlN2at6native12_GLOBAL__N_18offset_tEEE10hipError_tPvRmT1_PNSt15iterator_traitsISY_E10value_typeET2_T3_PNSZ_IS14_E10value_typeET4_jRbjT5_S1A_jjP12ihipStream_tbEUljE_EEESV_SW_SX_S14_S18_S1A_T6_T7_T9_mT8_S1C_bDpT10_ENKUlT_T0_E_clISt17integral_constantIbLb1EES1P_EEDaS1K_S1L_EUlS1K_E_NS1_11comp_targetILNS1_3genE5ELNS1_11target_archE942ELNS1_3gpuE9ELNS1_3repE0EEENS1_30default_config_static_selectorELNS0_4arch9wavefront6targetE0EEEvSY_
; %bb.0:
	.section	.rodata,"a",@progbits
	.p2align	6, 0x0
	.amdhsa_kernel _ZN7rocprim17ROCPRIM_400000_NS6detail17trampoline_kernelINS0_13select_configILj256ELj13ELNS0_17block_load_methodE3ELS4_3ELS4_3ELNS0_20block_scan_algorithmE0ELj4294967295EEENS1_25partition_config_selectorILNS1_17partition_subalgoE3EjNS0_10empty_typeEbEEZZNS1_14partition_implILS8_3ELb0ES6_jNS0_17counting_iteratorIjlEEPS9_SE_NS0_5tupleIJPjSE_EEENSF_IJSE_SE_EEES9_SG_JZNS1_25segmented_radix_sort_implINS0_14default_configELb0EPKhPhPKlPlN2at6native12_GLOBAL__N_18offset_tEEE10hipError_tPvRmT1_PNSt15iterator_traitsISY_E10value_typeET2_T3_PNSZ_IS14_E10value_typeET4_jRbjT5_S1A_jjP12ihipStream_tbEUljE_EEESV_SW_SX_S14_S18_S1A_T6_T7_T9_mT8_S1C_bDpT10_ENKUlT_T0_E_clISt17integral_constantIbLb1EES1P_EEDaS1K_S1L_EUlS1K_E_NS1_11comp_targetILNS1_3genE5ELNS1_11target_archE942ELNS1_3gpuE9ELNS1_3repE0EEENS1_30default_config_static_selectorELNS0_4arch9wavefront6targetE0EEEvSY_
		.amdhsa_group_segment_fixed_size 0
		.amdhsa_private_segment_fixed_size 0
		.amdhsa_kernarg_size 152
		.amdhsa_user_sgpr_count 2
		.amdhsa_user_sgpr_dispatch_ptr 0
		.amdhsa_user_sgpr_queue_ptr 0
		.amdhsa_user_sgpr_kernarg_segment_ptr 1
		.amdhsa_user_sgpr_dispatch_id 0
		.amdhsa_user_sgpr_private_segment_size 0
		.amdhsa_wavefront_size32 1
		.amdhsa_uses_dynamic_stack 0
		.amdhsa_enable_private_segment 0
		.amdhsa_system_sgpr_workgroup_id_x 1
		.amdhsa_system_sgpr_workgroup_id_y 0
		.amdhsa_system_sgpr_workgroup_id_z 0
		.amdhsa_system_sgpr_workgroup_info 0
		.amdhsa_system_vgpr_workitem_id 0
		.amdhsa_next_free_vgpr 1
		.amdhsa_next_free_sgpr 1
		.amdhsa_reserve_vcc 0
		.amdhsa_float_round_mode_32 0
		.amdhsa_float_round_mode_16_64 0
		.amdhsa_float_denorm_mode_32 3
		.amdhsa_float_denorm_mode_16_64 3
		.amdhsa_fp16_overflow 0
		.amdhsa_workgroup_processor_mode 1
		.amdhsa_memory_ordered 1
		.amdhsa_forward_progress 1
		.amdhsa_inst_pref_size 0
		.amdhsa_round_robin_scheduling 0
		.amdhsa_exception_fp_ieee_invalid_op 0
		.amdhsa_exception_fp_denorm_src 0
		.amdhsa_exception_fp_ieee_div_zero 0
		.amdhsa_exception_fp_ieee_overflow 0
		.amdhsa_exception_fp_ieee_underflow 0
		.amdhsa_exception_fp_ieee_inexact 0
		.amdhsa_exception_int_div_zero 0
	.end_amdhsa_kernel
	.section	.text._ZN7rocprim17ROCPRIM_400000_NS6detail17trampoline_kernelINS0_13select_configILj256ELj13ELNS0_17block_load_methodE3ELS4_3ELS4_3ELNS0_20block_scan_algorithmE0ELj4294967295EEENS1_25partition_config_selectorILNS1_17partition_subalgoE3EjNS0_10empty_typeEbEEZZNS1_14partition_implILS8_3ELb0ES6_jNS0_17counting_iteratorIjlEEPS9_SE_NS0_5tupleIJPjSE_EEENSF_IJSE_SE_EEES9_SG_JZNS1_25segmented_radix_sort_implINS0_14default_configELb0EPKhPhPKlPlN2at6native12_GLOBAL__N_18offset_tEEE10hipError_tPvRmT1_PNSt15iterator_traitsISY_E10value_typeET2_T3_PNSZ_IS14_E10value_typeET4_jRbjT5_S1A_jjP12ihipStream_tbEUljE_EEESV_SW_SX_S14_S18_S1A_T6_T7_T9_mT8_S1C_bDpT10_ENKUlT_T0_E_clISt17integral_constantIbLb1EES1P_EEDaS1K_S1L_EUlS1K_E_NS1_11comp_targetILNS1_3genE5ELNS1_11target_archE942ELNS1_3gpuE9ELNS1_3repE0EEENS1_30default_config_static_selectorELNS0_4arch9wavefront6targetE0EEEvSY_,"axG",@progbits,_ZN7rocprim17ROCPRIM_400000_NS6detail17trampoline_kernelINS0_13select_configILj256ELj13ELNS0_17block_load_methodE3ELS4_3ELS4_3ELNS0_20block_scan_algorithmE0ELj4294967295EEENS1_25partition_config_selectorILNS1_17partition_subalgoE3EjNS0_10empty_typeEbEEZZNS1_14partition_implILS8_3ELb0ES6_jNS0_17counting_iteratorIjlEEPS9_SE_NS0_5tupleIJPjSE_EEENSF_IJSE_SE_EEES9_SG_JZNS1_25segmented_radix_sort_implINS0_14default_configELb0EPKhPhPKlPlN2at6native12_GLOBAL__N_18offset_tEEE10hipError_tPvRmT1_PNSt15iterator_traitsISY_E10value_typeET2_T3_PNSZ_IS14_E10value_typeET4_jRbjT5_S1A_jjP12ihipStream_tbEUljE_EEESV_SW_SX_S14_S18_S1A_T6_T7_T9_mT8_S1C_bDpT10_ENKUlT_T0_E_clISt17integral_constantIbLb1EES1P_EEDaS1K_S1L_EUlS1K_E_NS1_11comp_targetILNS1_3genE5ELNS1_11target_archE942ELNS1_3gpuE9ELNS1_3repE0EEENS1_30default_config_static_selectorELNS0_4arch9wavefront6targetE0EEEvSY_,comdat
.Lfunc_end163:
	.size	_ZN7rocprim17ROCPRIM_400000_NS6detail17trampoline_kernelINS0_13select_configILj256ELj13ELNS0_17block_load_methodE3ELS4_3ELS4_3ELNS0_20block_scan_algorithmE0ELj4294967295EEENS1_25partition_config_selectorILNS1_17partition_subalgoE3EjNS0_10empty_typeEbEEZZNS1_14partition_implILS8_3ELb0ES6_jNS0_17counting_iteratorIjlEEPS9_SE_NS0_5tupleIJPjSE_EEENSF_IJSE_SE_EEES9_SG_JZNS1_25segmented_radix_sort_implINS0_14default_configELb0EPKhPhPKlPlN2at6native12_GLOBAL__N_18offset_tEEE10hipError_tPvRmT1_PNSt15iterator_traitsISY_E10value_typeET2_T3_PNSZ_IS14_E10value_typeET4_jRbjT5_S1A_jjP12ihipStream_tbEUljE_EEESV_SW_SX_S14_S18_S1A_T6_T7_T9_mT8_S1C_bDpT10_ENKUlT_T0_E_clISt17integral_constantIbLb1EES1P_EEDaS1K_S1L_EUlS1K_E_NS1_11comp_targetILNS1_3genE5ELNS1_11target_archE942ELNS1_3gpuE9ELNS1_3repE0EEENS1_30default_config_static_selectorELNS0_4arch9wavefront6targetE0EEEvSY_, .Lfunc_end163-_ZN7rocprim17ROCPRIM_400000_NS6detail17trampoline_kernelINS0_13select_configILj256ELj13ELNS0_17block_load_methodE3ELS4_3ELS4_3ELNS0_20block_scan_algorithmE0ELj4294967295EEENS1_25partition_config_selectorILNS1_17partition_subalgoE3EjNS0_10empty_typeEbEEZZNS1_14partition_implILS8_3ELb0ES6_jNS0_17counting_iteratorIjlEEPS9_SE_NS0_5tupleIJPjSE_EEENSF_IJSE_SE_EEES9_SG_JZNS1_25segmented_radix_sort_implINS0_14default_configELb0EPKhPhPKlPlN2at6native12_GLOBAL__N_18offset_tEEE10hipError_tPvRmT1_PNSt15iterator_traitsISY_E10value_typeET2_T3_PNSZ_IS14_E10value_typeET4_jRbjT5_S1A_jjP12ihipStream_tbEUljE_EEESV_SW_SX_S14_S18_S1A_T6_T7_T9_mT8_S1C_bDpT10_ENKUlT_T0_E_clISt17integral_constantIbLb1EES1P_EEDaS1K_S1L_EUlS1K_E_NS1_11comp_targetILNS1_3genE5ELNS1_11target_archE942ELNS1_3gpuE9ELNS1_3repE0EEENS1_30default_config_static_selectorELNS0_4arch9wavefront6targetE0EEEvSY_
                                        ; -- End function
	.set _ZN7rocprim17ROCPRIM_400000_NS6detail17trampoline_kernelINS0_13select_configILj256ELj13ELNS0_17block_load_methodE3ELS4_3ELS4_3ELNS0_20block_scan_algorithmE0ELj4294967295EEENS1_25partition_config_selectorILNS1_17partition_subalgoE3EjNS0_10empty_typeEbEEZZNS1_14partition_implILS8_3ELb0ES6_jNS0_17counting_iteratorIjlEEPS9_SE_NS0_5tupleIJPjSE_EEENSF_IJSE_SE_EEES9_SG_JZNS1_25segmented_radix_sort_implINS0_14default_configELb0EPKhPhPKlPlN2at6native12_GLOBAL__N_18offset_tEEE10hipError_tPvRmT1_PNSt15iterator_traitsISY_E10value_typeET2_T3_PNSZ_IS14_E10value_typeET4_jRbjT5_S1A_jjP12ihipStream_tbEUljE_EEESV_SW_SX_S14_S18_S1A_T6_T7_T9_mT8_S1C_bDpT10_ENKUlT_T0_E_clISt17integral_constantIbLb1EES1P_EEDaS1K_S1L_EUlS1K_E_NS1_11comp_targetILNS1_3genE5ELNS1_11target_archE942ELNS1_3gpuE9ELNS1_3repE0EEENS1_30default_config_static_selectorELNS0_4arch9wavefront6targetE0EEEvSY_.num_vgpr, 0
	.set _ZN7rocprim17ROCPRIM_400000_NS6detail17trampoline_kernelINS0_13select_configILj256ELj13ELNS0_17block_load_methodE3ELS4_3ELS4_3ELNS0_20block_scan_algorithmE0ELj4294967295EEENS1_25partition_config_selectorILNS1_17partition_subalgoE3EjNS0_10empty_typeEbEEZZNS1_14partition_implILS8_3ELb0ES6_jNS0_17counting_iteratorIjlEEPS9_SE_NS0_5tupleIJPjSE_EEENSF_IJSE_SE_EEES9_SG_JZNS1_25segmented_radix_sort_implINS0_14default_configELb0EPKhPhPKlPlN2at6native12_GLOBAL__N_18offset_tEEE10hipError_tPvRmT1_PNSt15iterator_traitsISY_E10value_typeET2_T3_PNSZ_IS14_E10value_typeET4_jRbjT5_S1A_jjP12ihipStream_tbEUljE_EEESV_SW_SX_S14_S18_S1A_T6_T7_T9_mT8_S1C_bDpT10_ENKUlT_T0_E_clISt17integral_constantIbLb1EES1P_EEDaS1K_S1L_EUlS1K_E_NS1_11comp_targetILNS1_3genE5ELNS1_11target_archE942ELNS1_3gpuE9ELNS1_3repE0EEENS1_30default_config_static_selectorELNS0_4arch9wavefront6targetE0EEEvSY_.num_agpr, 0
	.set _ZN7rocprim17ROCPRIM_400000_NS6detail17trampoline_kernelINS0_13select_configILj256ELj13ELNS0_17block_load_methodE3ELS4_3ELS4_3ELNS0_20block_scan_algorithmE0ELj4294967295EEENS1_25partition_config_selectorILNS1_17partition_subalgoE3EjNS0_10empty_typeEbEEZZNS1_14partition_implILS8_3ELb0ES6_jNS0_17counting_iteratorIjlEEPS9_SE_NS0_5tupleIJPjSE_EEENSF_IJSE_SE_EEES9_SG_JZNS1_25segmented_radix_sort_implINS0_14default_configELb0EPKhPhPKlPlN2at6native12_GLOBAL__N_18offset_tEEE10hipError_tPvRmT1_PNSt15iterator_traitsISY_E10value_typeET2_T3_PNSZ_IS14_E10value_typeET4_jRbjT5_S1A_jjP12ihipStream_tbEUljE_EEESV_SW_SX_S14_S18_S1A_T6_T7_T9_mT8_S1C_bDpT10_ENKUlT_T0_E_clISt17integral_constantIbLb1EES1P_EEDaS1K_S1L_EUlS1K_E_NS1_11comp_targetILNS1_3genE5ELNS1_11target_archE942ELNS1_3gpuE9ELNS1_3repE0EEENS1_30default_config_static_selectorELNS0_4arch9wavefront6targetE0EEEvSY_.numbered_sgpr, 0
	.set _ZN7rocprim17ROCPRIM_400000_NS6detail17trampoline_kernelINS0_13select_configILj256ELj13ELNS0_17block_load_methodE3ELS4_3ELS4_3ELNS0_20block_scan_algorithmE0ELj4294967295EEENS1_25partition_config_selectorILNS1_17partition_subalgoE3EjNS0_10empty_typeEbEEZZNS1_14partition_implILS8_3ELb0ES6_jNS0_17counting_iteratorIjlEEPS9_SE_NS0_5tupleIJPjSE_EEENSF_IJSE_SE_EEES9_SG_JZNS1_25segmented_radix_sort_implINS0_14default_configELb0EPKhPhPKlPlN2at6native12_GLOBAL__N_18offset_tEEE10hipError_tPvRmT1_PNSt15iterator_traitsISY_E10value_typeET2_T3_PNSZ_IS14_E10value_typeET4_jRbjT5_S1A_jjP12ihipStream_tbEUljE_EEESV_SW_SX_S14_S18_S1A_T6_T7_T9_mT8_S1C_bDpT10_ENKUlT_T0_E_clISt17integral_constantIbLb1EES1P_EEDaS1K_S1L_EUlS1K_E_NS1_11comp_targetILNS1_3genE5ELNS1_11target_archE942ELNS1_3gpuE9ELNS1_3repE0EEENS1_30default_config_static_selectorELNS0_4arch9wavefront6targetE0EEEvSY_.num_named_barrier, 0
	.set _ZN7rocprim17ROCPRIM_400000_NS6detail17trampoline_kernelINS0_13select_configILj256ELj13ELNS0_17block_load_methodE3ELS4_3ELS4_3ELNS0_20block_scan_algorithmE0ELj4294967295EEENS1_25partition_config_selectorILNS1_17partition_subalgoE3EjNS0_10empty_typeEbEEZZNS1_14partition_implILS8_3ELb0ES6_jNS0_17counting_iteratorIjlEEPS9_SE_NS0_5tupleIJPjSE_EEENSF_IJSE_SE_EEES9_SG_JZNS1_25segmented_radix_sort_implINS0_14default_configELb0EPKhPhPKlPlN2at6native12_GLOBAL__N_18offset_tEEE10hipError_tPvRmT1_PNSt15iterator_traitsISY_E10value_typeET2_T3_PNSZ_IS14_E10value_typeET4_jRbjT5_S1A_jjP12ihipStream_tbEUljE_EEESV_SW_SX_S14_S18_S1A_T6_T7_T9_mT8_S1C_bDpT10_ENKUlT_T0_E_clISt17integral_constantIbLb1EES1P_EEDaS1K_S1L_EUlS1K_E_NS1_11comp_targetILNS1_3genE5ELNS1_11target_archE942ELNS1_3gpuE9ELNS1_3repE0EEENS1_30default_config_static_selectorELNS0_4arch9wavefront6targetE0EEEvSY_.private_seg_size, 0
	.set _ZN7rocprim17ROCPRIM_400000_NS6detail17trampoline_kernelINS0_13select_configILj256ELj13ELNS0_17block_load_methodE3ELS4_3ELS4_3ELNS0_20block_scan_algorithmE0ELj4294967295EEENS1_25partition_config_selectorILNS1_17partition_subalgoE3EjNS0_10empty_typeEbEEZZNS1_14partition_implILS8_3ELb0ES6_jNS0_17counting_iteratorIjlEEPS9_SE_NS0_5tupleIJPjSE_EEENSF_IJSE_SE_EEES9_SG_JZNS1_25segmented_radix_sort_implINS0_14default_configELb0EPKhPhPKlPlN2at6native12_GLOBAL__N_18offset_tEEE10hipError_tPvRmT1_PNSt15iterator_traitsISY_E10value_typeET2_T3_PNSZ_IS14_E10value_typeET4_jRbjT5_S1A_jjP12ihipStream_tbEUljE_EEESV_SW_SX_S14_S18_S1A_T6_T7_T9_mT8_S1C_bDpT10_ENKUlT_T0_E_clISt17integral_constantIbLb1EES1P_EEDaS1K_S1L_EUlS1K_E_NS1_11comp_targetILNS1_3genE5ELNS1_11target_archE942ELNS1_3gpuE9ELNS1_3repE0EEENS1_30default_config_static_selectorELNS0_4arch9wavefront6targetE0EEEvSY_.uses_vcc, 0
	.set _ZN7rocprim17ROCPRIM_400000_NS6detail17trampoline_kernelINS0_13select_configILj256ELj13ELNS0_17block_load_methodE3ELS4_3ELS4_3ELNS0_20block_scan_algorithmE0ELj4294967295EEENS1_25partition_config_selectorILNS1_17partition_subalgoE3EjNS0_10empty_typeEbEEZZNS1_14partition_implILS8_3ELb0ES6_jNS0_17counting_iteratorIjlEEPS9_SE_NS0_5tupleIJPjSE_EEENSF_IJSE_SE_EEES9_SG_JZNS1_25segmented_radix_sort_implINS0_14default_configELb0EPKhPhPKlPlN2at6native12_GLOBAL__N_18offset_tEEE10hipError_tPvRmT1_PNSt15iterator_traitsISY_E10value_typeET2_T3_PNSZ_IS14_E10value_typeET4_jRbjT5_S1A_jjP12ihipStream_tbEUljE_EEESV_SW_SX_S14_S18_S1A_T6_T7_T9_mT8_S1C_bDpT10_ENKUlT_T0_E_clISt17integral_constantIbLb1EES1P_EEDaS1K_S1L_EUlS1K_E_NS1_11comp_targetILNS1_3genE5ELNS1_11target_archE942ELNS1_3gpuE9ELNS1_3repE0EEENS1_30default_config_static_selectorELNS0_4arch9wavefront6targetE0EEEvSY_.uses_flat_scratch, 0
	.set _ZN7rocprim17ROCPRIM_400000_NS6detail17trampoline_kernelINS0_13select_configILj256ELj13ELNS0_17block_load_methodE3ELS4_3ELS4_3ELNS0_20block_scan_algorithmE0ELj4294967295EEENS1_25partition_config_selectorILNS1_17partition_subalgoE3EjNS0_10empty_typeEbEEZZNS1_14partition_implILS8_3ELb0ES6_jNS0_17counting_iteratorIjlEEPS9_SE_NS0_5tupleIJPjSE_EEENSF_IJSE_SE_EEES9_SG_JZNS1_25segmented_radix_sort_implINS0_14default_configELb0EPKhPhPKlPlN2at6native12_GLOBAL__N_18offset_tEEE10hipError_tPvRmT1_PNSt15iterator_traitsISY_E10value_typeET2_T3_PNSZ_IS14_E10value_typeET4_jRbjT5_S1A_jjP12ihipStream_tbEUljE_EEESV_SW_SX_S14_S18_S1A_T6_T7_T9_mT8_S1C_bDpT10_ENKUlT_T0_E_clISt17integral_constantIbLb1EES1P_EEDaS1K_S1L_EUlS1K_E_NS1_11comp_targetILNS1_3genE5ELNS1_11target_archE942ELNS1_3gpuE9ELNS1_3repE0EEENS1_30default_config_static_selectorELNS0_4arch9wavefront6targetE0EEEvSY_.has_dyn_sized_stack, 0
	.set _ZN7rocprim17ROCPRIM_400000_NS6detail17trampoline_kernelINS0_13select_configILj256ELj13ELNS0_17block_load_methodE3ELS4_3ELS4_3ELNS0_20block_scan_algorithmE0ELj4294967295EEENS1_25partition_config_selectorILNS1_17partition_subalgoE3EjNS0_10empty_typeEbEEZZNS1_14partition_implILS8_3ELb0ES6_jNS0_17counting_iteratorIjlEEPS9_SE_NS0_5tupleIJPjSE_EEENSF_IJSE_SE_EEES9_SG_JZNS1_25segmented_radix_sort_implINS0_14default_configELb0EPKhPhPKlPlN2at6native12_GLOBAL__N_18offset_tEEE10hipError_tPvRmT1_PNSt15iterator_traitsISY_E10value_typeET2_T3_PNSZ_IS14_E10value_typeET4_jRbjT5_S1A_jjP12ihipStream_tbEUljE_EEESV_SW_SX_S14_S18_S1A_T6_T7_T9_mT8_S1C_bDpT10_ENKUlT_T0_E_clISt17integral_constantIbLb1EES1P_EEDaS1K_S1L_EUlS1K_E_NS1_11comp_targetILNS1_3genE5ELNS1_11target_archE942ELNS1_3gpuE9ELNS1_3repE0EEENS1_30default_config_static_selectorELNS0_4arch9wavefront6targetE0EEEvSY_.has_recursion, 0
	.set _ZN7rocprim17ROCPRIM_400000_NS6detail17trampoline_kernelINS0_13select_configILj256ELj13ELNS0_17block_load_methodE3ELS4_3ELS4_3ELNS0_20block_scan_algorithmE0ELj4294967295EEENS1_25partition_config_selectorILNS1_17partition_subalgoE3EjNS0_10empty_typeEbEEZZNS1_14partition_implILS8_3ELb0ES6_jNS0_17counting_iteratorIjlEEPS9_SE_NS0_5tupleIJPjSE_EEENSF_IJSE_SE_EEES9_SG_JZNS1_25segmented_radix_sort_implINS0_14default_configELb0EPKhPhPKlPlN2at6native12_GLOBAL__N_18offset_tEEE10hipError_tPvRmT1_PNSt15iterator_traitsISY_E10value_typeET2_T3_PNSZ_IS14_E10value_typeET4_jRbjT5_S1A_jjP12ihipStream_tbEUljE_EEESV_SW_SX_S14_S18_S1A_T6_T7_T9_mT8_S1C_bDpT10_ENKUlT_T0_E_clISt17integral_constantIbLb1EES1P_EEDaS1K_S1L_EUlS1K_E_NS1_11comp_targetILNS1_3genE5ELNS1_11target_archE942ELNS1_3gpuE9ELNS1_3repE0EEENS1_30default_config_static_selectorELNS0_4arch9wavefront6targetE0EEEvSY_.has_indirect_call, 0
	.section	.AMDGPU.csdata,"",@progbits
; Kernel info:
; codeLenInByte = 0
; TotalNumSgprs: 0
; NumVgprs: 0
; ScratchSize: 0
; MemoryBound: 0
; FloatMode: 240
; IeeeMode: 1
; LDSByteSize: 0 bytes/workgroup (compile time only)
; SGPRBlocks: 0
; VGPRBlocks: 0
; NumSGPRsForWavesPerEU: 1
; NumVGPRsForWavesPerEU: 1
; Occupancy: 16
; WaveLimiterHint : 0
; COMPUTE_PGM_RSRC2:SCRATCH_EN: 0
; COMPUTE_PGM_RSRC2:USER_SGPR: 2
; COMPUTE_PGM_RSRC2:TRAP_HANDLER: 0
; COMPUTE_PGM_RSRC2:TGID_X_EN: 1
; COMPUTE_PGM_RSRC2:TGID_Y_EN: 0
; COMPUTE_PGM_RSRC2:TGID_Z_EN: 0
; COMPUTE_PGM_RSRC2:TIDIG_COMP_CNT: 0
	.section	.text._ZN7rocprim17ROCPRIM_400000_NS6detail17trampoline_kernelINS0_13select_configILj256ELj13ELNS0_17block_load_methodE3ELS4_3ELS4_3ELNS0_20block_scan_algorithmE0ELj4294967295EEENS1_25partition_config_selectorILNS1_17partition_subalgoE3EjNS0_10empty_typeEbEEZZNS1_14partition_implILS8_3ELb0ES6_jNS0_17counting_iteratorIjlEEPS9_SE_NS0_5tupleIJPjSE_EEENSF_IJSE_SE_EEES9_SG_JZNS1_25segmented_radix_sort_implINS0_14default_configELb0EPKhPhPKlPlN2at6native12_GLOBAL__N_18offset_tEEE10hipError_tPvRmT1_PNSt15iterator_traitsISY_E10value_typeET2_T3_PNSZ_IS14_E10value_typeET4_jRbjT5_S1A_jjP12ihipStream_tbEUljE_EEESV_SW_SX_S14_S18_S1A_T6_T7_T9_mT8_S1C_bDpT10_ENKUlT_T0_E_clISt17integral_constantIbLb1EES1P_EEDaS1K_S1L_EUlS1K_E_NS1_11comp_targetILNS1_3genE4ELNS1_11target_archE910ELNS1_3gpuE8ELNS1_3repE0EEENS1_30default_config_static_selectorELNS0_4arch9wavefront6targetE0EEEvSY_,"axG",@progbits,_ZN7rocprim17ROCPRIM_400000_NS6detail17trampoline_kernelINS0_13select_configILj256ELj13ELNS0_17block_load_methodE3ELS4_3ELS4_3ELNS0_20block_scan_algorithmE0ELj4294967295EEENS1_25partition_config_selectorILNS1_17partition_subalgoE3EjNS0_10empty_typeEbEEZZNS1_14partition_implILS8_3ELb0ES6_jNS0_17counting_iteratorIjlEEPS9_SE_NS0_5tupleIJPjSE_EEENSF_IJSE_SE_EEES9_SG_JZNS1_25segmented_radix_sort_implINS0_14default_configELb0EPKhPhPKlPlN2at6native12_GLOBAL__N_18offset_tEEE10hipError_tPvRmT1_PNSt15iterator_traitsISY_E10value_typeET2_T3_PNSZ_IS14_E10value_typeET4_jRbjT5_S1A_jjP12ihipStream_tbEUljE_EEESV_SW_SX_S14_S18_S1A_T6_T7_T9_mT8_S1C_bDpT10_ENKUlT_T0_E_clISt17integral_constantIbLb1EES1P_EEDaS1K_S1L_EUlS1K_E_NS1_11comp_targetILNS1_3genE4ELNS1_11target_archE910ELNS1_3gpuE8ELNS1_3repE0EEENS1_30default_config_static_selectorELNS0_4arch9wavefront6targetE0EEEvSY_,comdat
	.globl	_ZN7rocprim17ROCPRIM_400000_NS6detail17trampoline_kernelINS0_13select_configILj256ELj13ELNS0_17block_load_methodE3ELS4_3ELS4_3ELNS0_20block_scan_algorithmE0ELj4294967295EEENS1_25partition_config_selectorILNS1_17partition_subalgoE3EjNS0_10empty_typeEbEEZZNS1_14partition_implILS8_3ELb0ES6_jNS0_17counting_iteratorIjlEEPS9_SE_NS0_5tupleIJPjSE_EEENSF_IJSE_SE_EEES9_SG_JZNS1_25segmented_radix_sort_implINS0_14default_configELb0EPKhPhPKlPlN2at6native12_GLOBAL__N_18offset_tEEE10hipError_tPvRmT1_PNSt15iterator_traitsISY_E10value_typeET2_T3_PNSZ_IS14_E10value_typeET4_jRbjT5_S1A_jjP12ihipStream_tbEUljE_EEESV_SW_SX_S14_S18_S1A_T6_T7_T9_mT8_S1C_bDpT10_ENKUlT_T0_E_clISt17integral_constantIbLb1EES1P_EEDaS1K_S1L_EUlS1K_E_NS1_11comp_targetILNS1_3genE4ELNS1_11target_archE910ELNS1_3gpuE8ELNS1_3repE0EEENS1_30default_config_static_selectorELNS0_4arch9wavefront6targetE0EEEvSY_ ; -- Begin function _ZN7rocprim17ROCPRIM_400000_NS6detail17trampoline_kernelINS0_13select_configILj256ELj13ELNS0_17block_load_methodE3ELS4_3ELS4_3ELNS0_20block_scan_algorithmE0ELj4294967295EEENS1_25partition_config_selectorILNS1_17partition_subalgoE3EjNS0_10empty_typeEbEEZZNS1_14partition_implILS8_3ELb0ES6_jNS0_17counting_iteratorIjlEEPS9_SE_NS0_5tupleIJPjSE_EEENSF_IJSE_SE_EEES9_SG_JZNS1_25segmented_radix_sort_implINS0_14default_configELb0EPKhPhPKlPlN2at6native12_GLOBAL__N_18offset_tEEE10hipError_tPvRmT1_PNSt15iterator_traitsISY_E10value_typeET2_T3_PNSZ_IS14_E10value_typeET4_jRbjT5_S1A_jjP12ihipStream_tbEUljE_EEESV_SW_SX_S14_S18_S1A_T6_T7_T9_mT8_S1C_bDpT10_ENKUlT_T0_E_clISt17integral_constantIbLb1EES1P_EEDaS1K_S1L_EUlS1K_E_NS1_11comp_targetILNS1_3genE4ELNS1_11target_archE910ELNS1_3gpuE8ELNS1_3repE0EEENS1_30default_config_static_selectorELNS0_4arch9wavefront6targetE0EEEvSY_
	.p2align	8
	.type	_ZN7rocprim17ROCPRIM_400000_NS6detail17trampoline_kernelINS0_13select_configILj256ELj13ELNS0_17block_load_methodE3ELS4_3ELS4_3ELNS0_20block_scan_algorithmE0ELj4294967295EEENS1_25partition_config_selectorILNS1_17partition_subalgoE3EjNS0_10empty_typeEbEEZZNS1_14partition_implILS8_3ELb0ES6_jNS0_17counting_iteratorIjlEEPS9_SE_NS0_5tupleIJPjSE_EEENSF_IJSE_SE_EEES9_SG_JZNS1_25segmented_radix_sort_implINS0_14default_configELb0EPKhPhPKlPlN2at6native12_GLOBAL__N_18offset_tEEE10hipError_tPvRmT1_PNSt15iterator_traitsISY_E10value_typeET2_T3_PNSZ_IS14_E10value_typeET4_jRbjT5_S1A_jjP12ihipStream_tbEUljE_EEESV_SW_SX_S14_S18_S1A_T6_T7_T9_mT8_S1C_bDpT10_ENKUlT_T0_E_clISt17integral_constantIbLb1EES1P_EEDaS1K_S1L_EUlS1K_E_NS1_11comp_targetILNS1_3genE4ELNS1_11target_archE910ELNS1_3gpuE8ELNS1_3repE0EEENS1_30default_config_static_selectorELNS0_4arch9wavefront6targetE0EEEvSY_,@function
_ZN7rocprim17ROCPRIM_400000_NS6detail17trampoline_kernelINS0_13select_configILj256ELj13ELNS0_17block_load_methodE3ELS4_3ELS4_3ELNS0_20block_scan_algorithmE0ELj4294967295EEENS1_25partition_config_selectorILNS1_17partition_subalgoE3EjNS0_10empty_typeEbEEZZNS1_14partition_implILS8_3ELb0ES6_jNS0_17counting_iteratorIjlEEPS9_SE_NS0_5tupleIJPjSE_EEENSF_IJSE_SE_EEES9_SG_JZNS1_25segmented_radix_sort_implINS0_14default_configELb0EPKhPhPKlPlN2at6native12_GLOBAL__N_18offset_tEEE10hipError_tPvRmT1_PNSt15iterator_traitsISY_E10value_typeET2_T3_PNSZ_IS14_E10value_typeET4_jRbjT5_S1A_jjP12ihipStream_tbEUljE_EEESV_SW_SX_S14_S18_S1A_T6_T7_T9_mT8_S1C_bDpT10_ENKUlT_T0_E_clISt17integral_constantIbLb1EES1P_EEDaS1K_S1L_EUlS1K_E_NS1_11comp_targetILNS1_3genE4ELNS1_11target_archE910ELNS1_3gpuE8ELNS1_3repE0EEENS1_30default_config_static_selectorELNS0_4arch9wavefront6targetE0EEEvSY_: ; @_ZN7rocprim17ROCPRIM_400000_NS6detail17trampoline_kernelINS0_13select_configILj256ELj13ELNS0_17block_load_methodE3ELS4_3ELS4_3ELNS0_20block_scan_algorithmE0ELj4294967295EEENS1_25partition_config_selectorILNS1_17partition_subalgoE3EjNS0_10empty_typeEbEEZZNS1_14partition_implILS8_3ELb0ES6_jNS0_17counting_iteratorIjlEEPS9_SE_NS0_5tupleIJPjSE_EEENSF_IJSE_SE_EEES9_SG_JZNS1_25segmented_radix_sort_implINS0_14default_configELb0EPKhPhPKlPlN2at6native12_GLOBAL__N_18offset_tEEE10hipError_tPvRmT1_PNSt15iterator_traitsISY_E10value_typeET2_T3_PNSZ_IS14_E10value_typeET4_jRbjT5_S1A_jjP12ihipStream_tbEUljE_EEESV_SW_SX_S14_S18_S1A_T6_T7_T9_mT8_S1C_bDpT10_ENKUlT_T0_E_clISt17integral_constantIbLb1EES1P_EEDaS1K_S1L_EUlS1K_E_NS1_11comp_targetILNS1_3genE4ELNS1_11target_archE910ELNS1_3gpuE8ELNS1_3repE0EEENS1_30default_config_static_selectorELNS0_4arch9wavefront6targetE0EEEvSY_
; %bb.0:
	.section	.rodata,"a",@progbits
	.p2align	6, 0x0
	.amdhsa_kernel _ZN7rocprim17ROCPRIM_400000_NS6detail17trampoline_kernelINS0_13select_configILj256ELj13ELNS0_17block_load_methodE3ELS4_3ELS4_3ELNS0_20block_scan_algorithmE0ELj4294967295EEENS1_25partition_config_selectorILNS1_17partition_subalgoE3EjNS0_10empty_typeEbEEZZNS1_14partition_implILS8_3ELb0ES6_jNS0_17counting_iteratorIjlEEPS9_SE_NS0_5tupleIJPjSE_EEENSF_IJSE_SE_EEES9_SG_JZNS1_25segmented_radix_sort_implINS0_14default_configELb0EPKhPhPKlPlN2at6native12_GLOBAL__N_18offset_tEEE10hipError_tPvRmT1_PNSt15iterator_traitsISY_E10value_typeET2_T3_PNSZ_IS14_E10value_typeET4_jRbjT5_S1A_jjP12ihipStream_tbEUljE_EEESV_SW_SX_S14_S18_S1A_T6_T7_T9_mT8_S1C_bDpT10_ENKUlT_T0_E_clISt17integral_constantIbLb1EES1P_EEDaS1K_S1L_EUlS1K_E_NS1_11comp_targetILNS1_3genE4ELNS1_11target_archE910ELNS1_3gpuE8ELNS1_3repE0EEENS1_30default_config_static_selectorELNS0_4arch9wavefront6targetE0EEEvSY_
		.amdhsa_group_segment_fixed_size 0
		.amdhsa_private_segment_fixed_size 0
		.amdhsa_kernarg_size 152
		.amdhsa_user_sgpr_count 2
		.amdhsa_user_sgpr_dispatch_ptr 0
		.amdhsa_user_sgpr_queue_ptr 0
		.amdhsa_user_sgpr_kernarg_segment_ptr 1
		.amdhsa_user_sgpr_dispatch_id 0
		.amdhsa_user_sgpr_private_segment_size 0
		.amdhsa_wavefront_size32 1
		.amdhsa_uses_dynamic_stack 0
		.amdhsa_enable_private_segment 0
		.amdhsa_system_sgpr_workgroup_id_x 1
		.amdhsa_system_sgpr_workgroup_id_y 0
		.amdhsa_system_sgpr_workgroup_id_z 0
		.amdhsa_system_sgpr_workgroup_info 0
		.amdhsa_system_vgpr_workitem_id 0
		.amdhsa_next_free_vgpr 1
		.amdhsa_next_free_sgpr 1
		.amdhsa_reserve_vcc 0
		.amdhsa_float_round_mode_32 0
		.amdhsa_float_round_mode_16_64 0
		.amdhsa_float_denorm_mode_32 3
		.amdhsa_float_denorm_mode_16_64 3
		.amdhsa_fp16_overflow 0
		.amdhsa_workgroup_processor_mode 1
		.amdhsa_memory_ordered 1
		.amdhsa_forward_progress 1
		.amdhsa_inst_pref_size 0
		.amdhsa_round_robin_scheduling 0
		.amdhsa_exception_fp_ieee_invalid_op 0
		.amdhsa_exception_fp_denorm_src 0
		.amdhsa_exception_fp_ieee_div_zero 0
		.amdhsa_exception_fp_ieee_overflow 0
		.amdhsa_exception_fp_ieee_underflow 0
		.amdhsa_exception_fp_ieee_inexact 0
		.amdhsa_exception_int_div_zero 0
	.end_amdhsa_kernel
	.section	.text._ZN7rocprim17ROCPRIM_400000_NS6detail17trampoline_kernelINS0_13select_configILj256ELj13ELNS0_17block_load_methodE3ELS4_3ELS4_3ELNS0_20block_scan_algorithmE0ELj4294967295EEENS1_25partition_config_selectorILNS1_17partition_subalgoE3EjNS0_10empty_typeEbEEZZNS1_14partition_implILS8_3ELb0ES6_jNS0_17counting_iteratorIjlEEPS9_SE_NS0_5tupleIJPjSE_EEENSF_IJSE_SE_EEES9_SG_JZNS1_25segmented_radix_sort_implINS0_14default_configELb0EPKhPhPKlPlN2at6native12_GLOBAL__N_18offset_tEEE10hipError_tPvRmT1_PNSt15iterator_traitsISY_E10value_typeET2_T3_PNSZ_IS14_E10value_typeET4_jRbjT5_S1A_jjP12ihipStream_tbEUljE_EEESV_SW_SX_S14_S18_S1A_T6_T7_T9_mT8_S1C_bDpT10_ENKUlT_T0_E_clISt17integral_constantIbLb1EES1P_EEDaS1K_S1L_EUlS1K_E_NS1_11comp_targetILNS1_3genE4ELNS1_11target_archE910ELNS1_3gpuE8ELNS1_3repE0EEENS1_30default_config_static_selectorELNS0_4arch9wavefront6targetE0EEEvSY_,"axG",@progbits,_ZN7rocprim17ROCPRIM_400000_NS6detail17trampoline_kernelINS0_13select_configILj256ELj13ELNS0_17block_load_methodE3ELS4_3ELS4_3ELNS0_20block_scan_algorithmE0ELj4294967295EEENS1_25partition_config_selectorILNS1_17partition_subalgoE3EjNS0_10empty_typeEbEEZZNS1_14partition_implILS8_3ELb0ES6_jNS0_17counting_iteratorIjlEEPS9_SE_NS0_5tupleIJPjSE_EEENSF_IJSE_SE_EEES9_SG_JZNS1_25segmented_radix_sort_implINS0_14default_configELb0EPKhPhPKlPlN2at6native12_GLOBAL__N_18offset_tEEE10hipError_tPvRmT1_PNSt15iterator_traitsISY_E10value_typeET2_T3_PNSZ_IS14_E10value_typeET4_jRbjT5_S1A_jjP12ihipStream_tbEUljE_EEESV_SW_SX_S14_S18_S1A_T6_T7_T9_mT8_S1C_bDpT10_ENKUlT_T0_E_clISt17integral_constantIbLb1EES1P_EEDaS1K_S1L_EUlS1K_E_NS1_11comp_targetILNS1_3genE4ELNS1_11target_archE910ELNS1_3gpuE8ELNS1_3repE0EEENS1_30default_config_static_selectorELNS0_4arch9wavefront6targetE0EEEvSY_,comdat
.Lfunc_end164:
	.size	_ZN7rocprim17ROCPRIM_400000_NS6detail17trampoline_kernelINS0_13select_configILj256ELj13ELNS0_17block_load_methodE3ELS4_3ELS4_3ELNS0_20block_scan_algorithmE0ELj4294967295EEENS1_25partition_config_selectorILNS1_17partition_subalgoE3EjNS0_10empty_typeEbEEZZNS1_14partition_implILS8_3ELb0ES6_jNS0_17counting_iteratorIjlEEPS9_SE_NS0_5tupleIJPjSE_EEENSF_IJSE_SE_EEES9_SG_JZNS1_25segmented_radix_sort_implINS0_14default_configELb0EPKhPhPKlPlN2at6native12_GLOBAL__N_18offset_tEEE10hipError_tPvRmT1_PNSt15iterator_traitsISY_E10value_typeET2_T3_PNSZ_IS14_E10value_typeET4_jRbjT5_S1A_jjP12ihipStream_tbEUljE_EEESV_SW_SX_S14_S18_S1A_T6_T7_T9_mT8_S1C_bDpT10_ENKUlT_T0_E_clISt17integral_constantIbLb1EES1P_EEDaS1K_S1L_EUlS1K_E_NS1_11comp_targetILNS1_3genE4ELNS1_11target_archE910ELNS1_3gpuE8ELNS1_3repE0EEENS1_30default_config_static_selectorELNS0_4arch9wavefront6targetE0EEEvSY_, .Lfunc_end164-_ZN7rocprim17ROCPRIM_400000_NS6detail17trampoline_kernelINS0_13select_configILj256ELj13ELNS0_17block_load_methodE3ELS4_3ELS4_3ELNS0_20block_scan_algorithmE0ELj4294967295EEENS1_25partition_config_selectorILNS1_17partition_subalgoE3EjNS0_10empty_typeEbEEZZNS1_14partition_implILS8_3ELb0ES6_jNS0_17counting_iteratorIjlEEPS9_SE_NS0_5tupleIJPjSE_EEENSF_IJSE_SE_EEES9_SG_JZNS1_25segmented_radix_sort_implINS0_14default_configELb0EPKhPhPKlPlN2at6native12_GLOBAL__N_18offset_tEEE10hipError_tPvRmT1_PNSt15iterator_traitsISY_E10value_typeET2_T3_PNSZ_IS14_E10value_typeET4_jRbjT5_S1A_jjP12ihipStream_tbEUljE_EEESV_SW_SX_S14_S18_S1A_T6_T7_T9_mT8_S1C_bDpT10_ENKUlT_T0_E_clISt17integral_constantIbLb1EES1P_EEDaS1K_S1L_EUlS1K_E_NS1_11comp_targetILNS1_3genE4ELNS1_11target_archE910ELNS1_3gpuE8ELNS1_3repE0EEENS1_30default_config_static_selectorELNS0_4arch9wavefront6targetE0EEEvSY_
                                        ; -- End function
	.set _ZN7rocprim17ROCPRIM_400000_NS6detail17trampoline_kernelINS0_13select_configILj256ELj13ELNS0_17block_load_methodE3ELS4_3ELS4_3ELNS0_20block_scan_algorithmE0ELj4294967295EEENS1_25partition_config_selectorILNS1_17partition_subalgoE3EjNS0_10empty_typeEbEEZZNS1_14partition_implILS8_3ELb0ES6_jNS0_17counting_iteratorIjlEEPS9_SE_NS0_5tupleIJPjSE_EEENSF_IJSE_SE_EEES9_SG_JZNS1_25segmented_radix_sort_implINS0_14default_configELb0EPKhPhPKlPlN2at6native12_GLOBAL__N_18offset_tEEE10hipError_tPvRmT1_PNSt15iterator_traitsISY_E10value_typeET2_T3_PNSZ_IS14_E10value_typeET4_jRbjT5_S1A_jjP12ihipStream_tbEUljE_EEESV_SW_SX_S14_S18_S1A_T6_T7_T9_mT8_S1C_bDpT10_ENKUlT_T0_E_clISt17integral_constantIbLb1EES1P_EEDaS1K_S1L_EUlS1K_E_NS1_11comp_targetILNS1_3genE4ELNS1_11target_archE910ELNS1_3gpuE8ELNS1_3repE0EEENS1_30default_config_static_selectorELNS0_4arch9wavefront6targetE0EEEvSY_.num_vgpr, 0
	.set _ZN7rocprim17ROCPRIM_400000_NS6detail17trampoline_kernelINS0_13select_configILj256ELj13ELNS0_17block_load_methodE3ELS4_3ELS4_3ELNS0_20block_scan_algorithmE0ELj4294967295EEENS1_25partition_config_selectorILNS1_17partition_subalgoE3EjNS0_10empty_typeEbEEZZNS1_14partition_implILS8_3ELb0ES6_jNS0_17counting_iteratorIjlEEPS9_SE_NS0_5tupleIJPjSE_EEENSF_IJSE_SE_EEES9_SG_JZNS1_25segmented_radix_sort_implINS0_14default_configELb0EPKhPhPKlPlN2at6native12_GLOBAL__N_18offset_tEEE10hipError_tPvRmT1_PNSt15iterator_traitsISY_E10value_typeET2_T3_PNSZ_IS14_E10value_typeET4_jRbjT5_S1A_jjP12ihipStream_tbEUljE_EEESV_SW_SX_S14_S18_S1A_T6_T7_T9_mT8_S1C_bDpT10_ENKUlT_T0_E_clISt17integral_constantIbLb1EES1P_EEDaS1K_S1L_EUlS1K_E_NS1_11comp_targetILNS1_3genE4ELNS1_11target_archE910ELNS1_3gpuE8ELNS1_3repE0EEENS1_30default_config_static_selectorELNS0_4arch9wavefront6targetE0EEEvSY_.num_agpr, 0
	.set _ZN7rocprim17ROCPRIM_400000_NS6detail17trampoline_kernelINS0_13select_configILj256ELj13ELNS0_17block_load_methodE3ELS4_3ELS4_3ELNS0_20block_scan_algorithmE0ELj4294967295EEENS1_25partition_config_selectorILNS1_17partition_subalgoE3EjNS0_10empty_typeEbEEZZNS1_14partition_implILS8_3ELb0ES6_jNS0_17counting_iteratorIjlEEPS9_SE_NS0_5tupleIJPjSE_EEENSF_IJSE_SE_EEES9_SG_JZNS1_25segmented_radix_sort_implINS0_14default_configELb0EPKhPhPKlPlN2at6native12_GLOBAL__N_18offset_tEEE10hipError_tPvRmT1_PNSt15iterator_traitsISY_E10value_typeET2_T3_PNSZ_IS14_E10value_typeET4_jRbjT5_S1A_jjP12ihipStream_tbEUljE_EEESV_SW_SX_S14_S18_S1A_T6_T7_T9_mT8_S1C_bDpT10_ENKUlT_T0_E_clISt17integral_constantIbLb1EES1P_EEDaS1K_S1L_EUlS1K_E_NS1_11comp_targetILNS1_3genE4ELNS1_11target_archE910ELNS1_3gpuE8ELNS1_3repE0EEENS1_30default_config_static_selectorELNS0_4arch9wavefront6targetE0EEEvSY_.numbered_sgpr, 0
	.set _ZN7rocprim17ROCPRIM_400000_NS6detail17trampoline_kernelINS0_13select_configILj256ELj13ELNS0_17block_load_methodE3ELS4_3ELS4_3ELNS0_20block_scan_algorithmE0ELj4294967295EEENS1_25partition_config_selectorILNS1_17partition_subalgoE3EjNS0_10empty_typeEbEEZZNS1_14partition_implILS8_3ELb0ES6_jNS0_17counting_iteratorIjlEEPS9_SE_NS0_5tupleIJPjSE_EEENSF_IJSE_SE_EEES9_SG_JZNS1_25segmented_radix_sort_implINS0_14default_configELb0EPKhPhPKlPlN2at6native12_GLOBAL__N_18offset_tEEE10hipError_tPvRmT1_PNSt15iterator_traitsISY_E10value_typeET2_T3_PNSZ_IS14_E10value_typeET4_jRbjT5_S1A_jjP12ihipStream_tbEUljE_EEESV_SW_SX_S14_S18_S1A_T6_T7_T9_mT8_S1C_bDpT10_ENKUlT_T0_E_clISt17integral_constantIbLb1EES1P_EEDaS1K_S1L_EUlS1K_E_NS1_11comp_targetILNS1_3genE4ELNS1_11target_archE910ELNS1_3gpuE8ELNS1_3repE0EEENS1_30default_config_static_selectorELNS0_4arch9wavefront6targetE0EEEvSY_.num_named_barrier, 0
	.set _ZN7rocprim17ROCPRIM_400000_NS6detail17trampoline_kernelINS0_13select_configILj256ELj13ELNS0_17block_load_methodE3ELS4_3ELS4_3ELNS0_20block_scan_algorithmE0ELj4294967295EEENS1_25partition_config_selectorILNS1_17partition_subalgoE3EjNS0_10empty_typeEbEEZZNS1_14partition_implILS8_3ELb0ES6_jNS0_17counting_iteratorIjlEEPS9_SE_NS0_5tupleIJPjSE_EEENSF_IJSE_SE_EEES9_SG_JZNS1_25segmented_radix_sort_implINS0_14default_configELb0EPKhPhPKlPlN2at6native12_GLOBAL__N_18offset_tEEE10hipError_tPvRmT1_PNSt15iterator_traitsISY_E10value_typeET2_T3_PNSZ_IS14_E10value_typeET4_jRbjT5_S1A_jjP12ihipStream_tbEUljE_EEESV_SW_SX_S14_S18_S1A_T6_T7_T9_mT8_S1C_bDpT10_ENKUlT_T0_E_clISt17integral_constantIbLb1EES1P_EEDaS1K_S1L_EUlS1K_E_NS1_11comp_targetILNS1_3genE4ELNS1_11target_archE910ELNS1_3gpuE8ELNS1_3repE0EEENS1_30default_config_static_selectorELNS0_4arch9wavefront6targetE0EEEvSY_.private_seg_size, 0
	.set _ZN7rocprim17ROCPRIM_400000_NS6detail17trampoline_kernelINS0_13select_configILj256ELj13ELNS0_17block_load_methodE3ELS4_3ELS4_3ELNS0_20block_scan_algorithmE0ELj4294967295EEENS1_25partition_config_selectorILNS1_17partition_subalgoE3EjNS0_10empty_typeEbEEZZNS1_14partition_implILS8_3ELb0ES6_jNS0_17counting_iteratorIjlEEPS9_SE_NS0_5tupleIJPjSE_EEENSF_IJSE_SE_EEES9_SG_JZNS1_25segmented_radix_sort_implINS0_14default_configELb0EPKhPhPKlPlN2at6native12_GLOBAL__N_18offset_tEEE10hipError_tPvRmT1_PNSt15iterator_traitsISY_E10value_typeET2_T3_PNSZ_IS14_E10value_typeET4_jRbjT5_S1A_jjP12ihipStream_tbEUljE_EEESV_SW_SX_S14_S18_S1A_T6_T7_T9_mT8_S1C_bDpT10_ENKUlT_T0_E_clISt17integral_constantIbLb1EES1P_EEDaS1K_S1L_EUlS1K_E_NS1_11comp_targetILNS1_3genE4ELNS1_11target_archE910ELNS1_3gpuE8ELNS1_3repE0EEENS1_30default_config_static_selectorELNS0_4arch9wavefront6targetE0EEEvSY_.uses_vcc, 0
	.set _ZN7rocprim17ROCPRIM_400000_NS6detail17trampoline_kernelINS0_13select_configILj256ELj13ELNS0_17block_load_methodE3ELS4_3ELS4_3ELNS0_20block_scan_algorithmE0ELj4294967295EEENS1_25partition_config_selectorILNS1_17partition_subalgoE3EjNS0_10empty_typeEbEEZZNS1_14partition_implILS8_3ELb0ES6_jNS0_17counting_iteratorIjlEEPS9_SE_NS0_5tupleIJPjSE_EEENSF_IJSE_SE_EEES9_SG_JZNS1_25segmented_radix_sort_implINS0_14default_configELb0EPKhPhPKlPlN2at6native12_GLOBAL__N_18offset_tEEE10hipError_tPvRmT1_PNSt15iterator_traitsISY_E10value_typeET2_T3_PNSZ_IS14_E10value_typeET4_jRbjT5_S1A_jjP12ihipStream_tbEUljE_EEESV_SW_SX_S14_S18_S1A_T6_T7_T9_mT8_S1C_bDpT10_ENKUlT_T0_E_clISt17integral_constantIbLb1EES1P_EEDaS1K_S1L_EUlS1K_E_NS1_11comp_targetILNS1_3genE4ELNS1_11target_archE910ELNS1_3gpuE8ELNS1_3repE0EEENS1_30default_config_static_selectorELNS0_4arch9wavefront6targetE0EEEvSY_.uses_flat_scratch, 0
	.set _ZN7rocprim17ROCPRIM_400000_NS6detail17trampoline_kernelINS0_13select_configILj256ELj13ELNS0_17block_load_methodE3ELS4_3ELS4_3ELNS0_20block_scan_algorithmE0ELj4294967295EEENS1_25partition_config_selectorILNS1_17partition_subalgoE3EjNS0_10empty_typeEbEEZZNS1_14partition_implILS8_3ELb0ES6_jNS0_17counting_iteratorIjlEEPS9_SE_NS0_5tupleIJPjSE_EEENSF_IJSE_SE_EEES9_SG_JZNS1_25segmented_radix_sort_implINS0_14default_configELb0EPKhPhPKlPlN2at6native12_GLOBAL__N_18offset_tEEE10hipError_tPvRmT1_PNSt15iterator_traitsISY_E10value_typeET2_T3_PNSZ_IS14_E10value_typeET4_jRbjT5_S1A_jjP12ihipStream_tbEUljE_EEESV_SW_SX_S14_S18_S1A_T6_T7_T9_mT8_S1C_bDpT10_ENKUlT_T0_E_clISt17integral_constantIbLb1EES1P_EEDaS1K_S1L_EUlS1K_E_NS1_11comp_targetILNS1_3genE4ELNS1_11target_archE910ELNS1_3gpuE8ELNS1_3repE0EEENS1_30default_config_static_selectorELNS0_4arch9wavefront6targetE0EEEvSY_.has_dyn_sized_stack, 0
	.set _ZN7rocprim17ROCPRIM_400000_NS6detail17trampoline_kernelINS0_13select_configILj256ELj13ELNS0_17block_load_methodE3ELS4_3ELS4_3ELNS0_20block_scan_algorithmE0ELj4294967295EEENS1_25partition_config_selectorILNS1_17partition_subalgoE3EjNS0_10empty_typeEbEEZZNS1_14partition_implILS8_3ELb0ES6_jNS0_17counting_iteratorIjlEEPS9_SE_NS0_5tupleIJPjSE_EEENSF_IJSE_SE_EEES9_SG_JZNS1_25segmented_radix_sort_implINS0_14default_configELb0EPKhPhPKlPlN2at6native12_GLOBAL__N_18offset_tEEE10hipError_tPvRmT1_PNSt15iterator_traitsISY_E10value_typeET2_T3_PNSZ_IS14_E10value_typeET4_jRbjT5_S1A_jjP12ihipStream_tbEUljE_EEESV_SW_SX_S14_S18_S1A_T6_T7_T9_mT8_S1C_bDpT10_ENKUlT_T0_E_clISt17integral_constantIbLb1EES1P_EEDaS1K_S1L_EUlS1K_E_NS1_11comp_targetILNS1_3genE4ELNS1_11target_archE910ELNS1_3gpuE8ELNS1_3repE0EEENS1_30default_config_static_selectorELNS0_4arch9wavefront6targetE0EEEvSY_.has_recursion, 0
	.set _ZN7rocprim17ROCPRIM_400000_NS6detail17trampoline_kernelINS0_13select_configILj256ELj13ELNS0_17block_load_methodE3ELS4_3ELS4_3ELNS0_20block_scan_algorithmE0ELj4294967295EEENS1_25partition_config_selectorILNS1_17partition_subalgoE3EjNS0_10empty_typeEbEEZZNS1_14partition_implILS8_3ELb0ES6_jNS0_17counting_iteratorIjlEEPS9_SE_NS0_5tupleIJPjSE_EEENSF_IJSE_SE_EEES9_SG_JZNS1_25segmented_radix_sort_implINS0_14default_configELb0EPKhPhPKlPlN2at6native12_GLOBAL__N_18offset_tEEE10hipError_tPvRmT1_PNSt15iterator_traitsISY_E10value_typeET2_T3_PNSZ_IS14_E10value_typeET4_jRbjT5_S1A_jjP12ihipStream_tbEUljE_EEESV_SW_SX_S14_S18_S1A_T6_T7_T9_mT8_S1C_bDpT10_ENKUlT_T0_E_clISt17integral_constantIbLb1EES1P_EEDaS1K_S1L_EUlS1K_E_NS1_11comp_targetILNS1_3genE4ELNS1_11target_archE910ELNS1_3gpuE8ELNS1_3repE0EEENS1_30default_config_static_selectorELNS0_4arch9wavefront6targetE0EEEvSY_.has_indirect_call, 0
	.section	.AMDGPU.csdata,"",@progbits
; Kernel info:
; codeLenInByte = 0
; TotalNumSgprs: 0
; NumVgprs: 0
; ScratchSize: 0
; MemoryBound: 0
; FloatMode: 240
; IeeeMode: 1
; LDSByteSize: 0 bytes/workgroup (compile time only)
; SGPRBlocks: 0
; VGPRBlocks: 0
; NumSGPRsForWavesPerEU: 1
; NumVGPRsForWavesPerEU: 1
; Occupancy: 16
; WaveLimiterHint : 0
; COMPUTE_PGM_RSRC2:SCRATCH_EN: 0
; COMPUTE_PGM_RSRC2:USER_SGPR: 2
; COMPUTE_PGM_RSRC2:TRAP_HANDLER: 0
; COMPUTE_PGM_RSRC2:TGID_X_EN: 1
; COMPUTE_PGM_RSRC2:TGID_Y_EN: 0
; COMPUTE_PGM_RSRC2:TGID_Z_EN: 0
; COMPUTE_PGM_RSRC2:TIDIG_COMP_CNT: 0
	.section	.text._ZN7rocprim17ROCPRIM_400000_NS6detail17trampoline_kernelINS0_13select_configILj256ELj13ELNS0_17block_load_methodE3ELS4_3ELS4_3ELNS0_20block_scan_algorithmE0ELj4294967295EEENS1_25partition_config_selectorILNS1_17partition_subalgoE3EjNS0_10empty_typeEbEEZZNS1_14partition_implILS8_3ELb0ES6_jNS0_17counting_iteratorIjlEEPS9_SE_NS0_5tupleIJPjSE_EEENSF_IJSE_SE_EEES9_SG_JZNS1_25segmented_radix_sort_implINS0_14default_configELb0EPKhPhPKlPlN2at6native12_GLOBAL__N_18offset_tEEE10hipError_tPvRmT1_PNSt15iterator_traitsISY_E10value_typeET2_T3_PNSZ_IS14_E10value_typeET4_jRbjT5_S1A_jjP12ihipStream_tbEUljE_EEESV_SW_SX_S14_S18_S1A_T6_T7_T9_mT8_S1C_bDpT10_ENKUlT_T0_E_clISt17integral_constantIbLb1EES1P_EEDaS1K_S1L_EUlS1K_E_NS1_11comp_targetILNS1_3genE3ELNS1_11target_archE908ELNS1_3gpuE7ELNS1_3repE0EEENS1_30default_config_static_selectorELNS0_4arch9wavefront6targetE0EEEvSY_,"axG",@progbits,_ZN7rocprim17ROCPRIM_400000_NS6detail17trampoline_kernelINS0_13select_configILj256ELj13ELNS0_17block_load_methodE3ELS4_3ELS4_3ELNS0_20block_scan_algorithmE0ELj4294967295EEENS1_25partition_config_selectorILNS1_17partition_subalgoE3EjNS0_10empty_typeEbEEZZNS1_14partition_implILS8_3ELb0ES6_jNS0_17counting_iteratorIjlEEPS9_SE_NS0_5tupleIJPjSE_EEENSF_IJSE_SE_EEES9_SG_JZNS1_25segmented_radix_sort_implINS0_14default_configELb0EPKhPhPKlPlN2at6native12_GLOBAL__N_18offset_tEEE10hipError_tPvRmT1_PNSt15iterator_traitsISY_E10value_typeET2_T3_PNSZ_IS14_E10value_typeET4_jRbjT5_S1A_jjP12ihipStream_tbEUljE_EEESV_SW_SX_S14_S18_S1A_T6_T7_T9_mT8_S1C_bDpT10_ENKUlT_T0_E_clISt17integral_constantIbLb1EES1P_EEDaS1K_S1L_EUlS1K_E_NS1_11comp_targetILNS1_3genE3ELNS1_11target_archE908ELNS1_3gpuE7ELNS1_3repE0EEENS1_30default_config_static_selectorELNS0_4arch9wavefront6targetE0EEEvSY_,comdat
	.globl	_ZN7rocprim17ROCPRIM_400000_NS6detail17trampoline_kernelINS0_13select_configILj256ELj13ELNS0_17block_load_methodE3ELS4_3ELS4_3ELNS0_20block_scan_algorithmE0ELj4294967295EEENS1_25partition_config_selectorILNS1_17partition_subalgoE3EjNS0_10empty_typeEbEEZZNS1_14partition_implILS8_3ELb0ES6_jNS0_17counting_iteratorIjlEEPS9_SE_NS0_5tupleIJPjSE_EEENSF_IJSE_SE_EEES9_SG_JZNS1_25segmented_radix_sort_implINS0_14default_configELb0EPKhPhPKlPlN2at6native12_GLOBAL__N_18offset_tEEE10hipError_tPvRmT1_PNSt15iterator_traitsISY_E10value_typeET2_T3_PNSZ_IS14_E10value_typeET4_jRbjT5_S1A_jjP12ihipStream_tbEUljE_EEESV_SW_SX_S14_S18_S1A_T6_T7_T9_mT8_S1C_bDpT10_ENKUlT_T0_E_clISt17integral_constantIbLb1EES1P_EEDaS1K_S1L_EUlS1K_E_NS1_11comp_targetILNS1_3genE3ELNS1_11target_archE908ELNS1_3gpuE7ELNS1_3repE0EEENS1_30default_config_static_selectorELNS0_4arch9wavefront6targetE0EEEvSY_ ; -- Begin function _ZN7rocprim17ROCPRIM_400000_NS6detail17trampoline_kernelINS0_13select_configILj256ELj13ELNS0_17block_load_methodE3ELS4_3ELS4_3ELNS0_20block_scan_algorithmE0ELj4294967295EEENS1_25partition_config_selectorILNS1_17partition_subalgoE3EjNS0_10empty_typeEbEEZZNS1_14partition_implILS8_3ELb0ES6_jNS0_17counting_iteratorIjlEEPS9_SE_NS0_5tupleIJPjSE_EEENSF_IJSE_SE_EEES9_SG_JZNS1_25segmented_radix_sort_implINS0_14default_configELb0EPKhPhPKlPlN2at6native12_GLOBAL__N_18offset_tEEE10hipError_tPvRmT1_PNSt15iterator_traitsISY_E10value_typeET2_T3_PNSZ_IS14_E10value_typeET4_jRbjT5_S1A_jjP12ihipStream_tbEUljE_EEESV_SW_SX_S14_S18_S1A_T6_T7_T9_mT8_S1C_bDpT10_ENKUlT_T0_E_clISt17integral_constantIbLb1EES1P_EEDaS1K_S1L_EUlS1K_E_NS1_11comp_targetILNS1_3genE3ELNS1_11target_archE908ELNS1_3gpuE7ELNS1_3repE0EEENS1_30default_config_static_selectorELNS0_4arch9wavefront6targetE0EEEvSY_
	.p2align	8
	.type	_ZN7rocprim17ROCPRIM_400000_NS6detail17trampoline_kernelINS0_13select_configILj256ELj13ELNS0_17block_load_methodE3ELS4_3ELS4_3ELNS0_20block_scan_algorithmE0ELj4294967295EEENS1_25partition_config_selectorILNS1_17partition_subalgoE3EjNS0_10empty_typeEbEEZZNS1_14partition_implILS8_3ELb0ES6_jNS0_17counting_iteratorIjlEEPS9_SE_NS0_5tupleIJPjSE_EEENSF_IJSE_SE_EEES9_SG_JZNS1_25segmented_radix_sort_implINS0_14default_configELb0EPKhPhPKlPlN2at6native12_GLOBAL__N_18offset_tEEE10hipError_tPvRmT1_PNSt15iterator_traitsISY_E10value_typeET2_T3_PNSZ_IS14_E10value_typeET4_jRbjT5_S1A_jjP12ihipStream_tbEUljE_EEESV_SW_SX_S14_S18_S1A_T6_T7_T9_mT8_S1C_bDpT10_ENKUlT_T0_E_clISt17integral_constantIbLb1EES1P_EEDaS1K_S1L_EUlS1K_E_NS1_11comp_targetILNS1_3genE3ELNS1_11target_archE908ELNS1_3gpuE7ELNS1_3repE0EEENS1_30default_config_static_selectorELNS0_4arch9wavefront6targetE0EEEvSY_,@function
_ZN7rocprim17ROCPRIM_400000_NS6detail17trampoline_kernelINS0_13select_configILj256ELj13ELNS0_17block_load_methodE3ELS4_3ELS4_3ELNS0_20block_scan_algorithmE0ELj4294967295EEENS1_25partition_config_selectorILNS1_17partition_subalgoE3EjNS0_10empty_typeEbEEZZNS1_14partition_implILS8_3ELb0ES6_jNS0_17counting_iteratorIjlEEPS9_SE_NS0_5tupleIJPjSE_EEENSF_IJSE_SE_EEES9_SG_JZNS1_25segmented_radix_sort_implINS0_14default_configELb0EPKhPhPKlPlN2at6native12_GLOBAL__N_18offset_tEEE10hipError_tPvRmT1_PNSt15iterator_traitsISY_E10value_typeET2_T3_PNSZ_IS14_E10value_typeET4_jRbjT5_S1A_jjP12ihipStream_tbEUljE_EEESV_SW_SX_S14_S18_S1A_T6_T7_T9_mT8_S1C_bDpT10_ENKUlT_T0_E_clISt17integral_constantIbLb1EES1P_EEDaS1K_S1L_EUlS1K_E_NS1_11comp_targetILNS1_3genE3ELNS1_11target_archE908ELNS1_3gpuE7ELNS1_3repE0EEENS1_30default_config_static_selectorELNS0_4arch9wavefront6targetE0EEEvSY_: ; @_ZN7rocprim17ROCPRIM_400000_NS6detail17trampoline_kernelINS0_13select_configILj256ELj13ELNS0_17block_load_methodE3ELS4_3ELS4_3ELNS0_20block_scan_algorithmE0ELj4294967295EEENS1_25partition_config_selectorILNS1_17partition_subalgoE3EjNS0_10empty_typeEbEEZZNS1_14partition_implILS8_3ELb0ES6_jNS0_17counting_iteratorIjlEEPS9_SE_NS0_5tupleIJPjSE_EEENSF_IJSE_SE_EEES9_SG_JZNS1_25segmented_radix_sort_implINS0_14default_configELb0EPKhPhPKlPlN2at6native12_GLOBAL__N_18offset_tEEE10hipError_tPvRmT1_PNSt15iterator_traitsISY_E10value_typeET2_T3_PNSZ_IS14_E10value_typeET4_jRbjT5_S1A_jjP12ihipStream_tbEUljE_EEESV_SW_SX_S14_S18_S1A_T6_T7_T9_mT8_S1C_bDpT10_ENKUlT_T0_E_clISt17integral_constantIbLb1EES1P_EEDaS1K_S1L_EUlS1K_E_NS1_11comp_targetILNS1_3genE3ELNS1_11target_archE908ELNS1_3gpuE7ELNS1_3repE0EEENS1_30default_config_static_selectorELNS0_4arch9wavefront6targetE0EEEvSY_
; %bb.0:
	.section	.rodata,"a",@progbits
	.p2align	6, 0x0
	.amdhsa_kernel _ZN7rocprim17ROCPRIM_400000_NS6detail17trampoline_kernelINS0_13select_configILj256ELj13ELNS0_17block_load_methodE3ELS4_3ELS4_3ELNS0_20block_scan_algorithmE0ELj4294967295EEENS1_25partition_config_selectorILNS1_17partition_subalgoE3EjNS0_10empty_typeEbEEZZNS1_14partition_implILS8_3ELb0ES6_jNS0_17counting_iteratorIjlEEPS9_SE_NS0_5tupleIJPjSE_EEENSF_IJSE_SE_EEES9_SG_JZNS1_25segmented_radix_sort_implINS0_14default_configELb0EPKhPhPKlPlN2at6native12_GLOBAL__N_18offset_tEEE10hipError_tPvRmT1_PNSt15iterator_traitsISY_E10value_typeET2_T3_PNSZ_IS14_E10value_typeET4_jRbjT5_S1A_jjP12ihipStream_tbEUljE_EEESV_SW_SX_S14_S18_S1A_T6_T7_T9_mT8_S1C_bDpT10_ENKUlT_T0_E_clISt17integral_constantIbLb1EES1P_EEDaS1K_S1L_EUlS1K_E_NS1_11comp_targetILNS1_3genE3ELNS1_11target_archE908ELNS1_3gpuE7ELNS1_3repE0EEENS1_30default_config_static_selectorELNS0_4arch9wavefront6targetE0EEEvSY_
		.amdhsa_group_segment_fixed_size 0
		.amdhsa_private_segment_fixed_size 0
		.amdhsa_kernarg_size 152
		.amdhsa_user_sgpr_count 2
		.amdhsa_user_sgpr_dispatch_ptr 0
		.amdhsa_user_sgpr_queue_ptr 0
		.amdhsa_user_sgpr_kernarg_segment_ptr 1
		.amdhsa_user_sgpr_dispatch_id 0
		.amdhsa_user_sgpr_private_segment_size 0
		.amdhsa_wavefront_size32 1
		.amdhsa_uses_dynamic_stack 0
		.amdhsa_enable_private_segment 0
		.amdhsa_system_sgpr_workgroup_id_x 1
		.amdhsa_system_sgpr_workgroup_id_y 0
		.amdhsa_system_sgpr_workgroup_id_z 0
		.amdhsa_system_sgpr_workgroup_info 0
		.amdhsa_system_vgpr_workitem_id 0
		.amdhsa_next_free_vgpr 1
		.amdhsa_next_free_sgpr 1
		.amdhsa_reserve_vcc 0
		.amdhsa_float_round_mode_32 0
		.amdhsa_float_round_mode_16_64 0
		.amdhsa_float_denorm_mode_32 3
		.amdhsa_float_denorm_mode_16_64 3
		.amdhsa_fp16_overflow 0
		.amdhsa_workgroup_processor_mode 1
		.amdhsa_memory_ordered 1
		.amdhsa_forward_progress 1
		.amdhsa_inst_pref_size 0
		.amdhsa_round_robin_scheduling 0
		.amdhsa_exception_fp_ieee_invalid_op 0
		.amdhsa_exception_fp_denorm_src 0
		.amdhsa_exception_fp_ieee_div_zero 0
		.amdhsa_exception_fp_ieee_overflow 0
		.amdhsa_exception_fp_ieee_underflow 0
		.amdhsa_exception_fp_ieee_inexact 0
		.amdhsa_exception_int_div_zero 0
	.end_amdhsa_kernel
	.section	.text._ZN7rocprim17ROCPRIM_400000_NS6detail17trampoline_kernelINS0_13select_configILj256ELj13ELNS0_17block_load_methodE3ELS4_3ELS4_3ELNS0_20block_scan_algorithmE0ELj4294967295EEENS1_25partition_config_selectorILNS1_17partition_subalgoE3EjNS0_10empty_typeEbEEZZNS1_14partition_implILS8_3ELb0ES6_jNS0_17counting_iteratorIjlEEPS9_SE_NS0_5tupleIJPjSE_EEENSF_IJSE_SE_EEES9_SG_JZNS1_25segmented_radix_sort_implINS0_14default_configELb0EPKhPhPKlPlN2at6native12_GLOBAL__N_18offset_tEEE10hipError_tPvRmT1_PNSt15iterator_traitsISY_E10value_typeET2_T3_PNSZ_IS14_E10value_typeET4_jRbjT5_S1A_jjP12ihipStream_tbEUljE_EEESV_SW_SX_S14_S18_S1A_T6_T7_T9_mT8_S1C_bDpT10_ENKUlT_T0_E_clISt17integral_constantIbLb1EES1P_EEDaS1K_S1L_EUlS1K_E_NS1_11comp_targetILNS1_3genE3ELNS1_11target_archE908ELNS1_3gpuE7ELNS1_3repE0EEENS1_30default_config_static_selectorELNS0_4arch9wavefront6targetE0EEEvSY_,"axG",@progbits,_ZN7rocprim17ROCPRIM_400000_NS6detail17trampoline_kernelINS0_13select_configILj256ELj13ELNS0_17block_load_methodE3ELS4_3ELS4_3ELNS0_20block_scan_algorithmE0ELj4294967295EEENS1_25partition_config_selectorILNS1_17partition_subalgoE3EjNS0_10empty_typeEbEEZZNS1_14partition_implILS8_3ELb0ES6_jNS0_17counting_iteratorIjlEEPS9_SE_NS0_5tupleIJPjSE_EEENSF_IJSE_SE_EEES9_SG_JZNS1_25segmented_radix_sort_implINS0_14default_configELb0EPKhPhPKlPlN2at6native12_GLOBAL__N_18offset_tEEE10hipError_tPvRmT1_PNSt15iterator_traitsISY_E10value_typeET2_T3_PNSZ_IS14_E10value_typeET4_jRbjT5_S1A_jjP12ihipStream_tbEUljE_EEESV_SW_SX_S14_S18_S1A_T6_T7_T9_mT8_S1C_bDpT10_ENKUlT_T0_E_clISt17integral_constantIbLb1EES1P_EEDaS1K_S1L_EUlS1K_E_NS1_11comp_targetILNS1_3genE3ELNS1_11target_archE908ELNS1_3gpuE7ELNS1_3repE0EEENS1_30default_config_static_selectorELNS0_4arch9wavefront6targetE0EEEvSY_,comdat
.Lfunc_end165:
	.size	_ZN7rocprim17ROCPRIM_400000_NS6detail17trampoline_kernelINS0_13select_configILj256ELj13ELNS0_17block_load_methodE3ELS4_3ELS4_3ELNS0_20block_scan_algorithmE0ELj4294967295EEENS1_25partition_config_selectorILNS1_17partition_subalgoE3EjNS0_10empty_typeEbEEZZNS1_14partition_implILS8_3ELb0ES6_jNS0_17counting_iteratorIjlEEPS9_SE_NS0_5tupleIJPjSE_EEENSF_IJSE_SE_EEES9_SG_JZNS1_25segmented_radix_sort_implINS0_14default_configELb0EPKhPhPKlPlN2at6native12_GLOBAL__N_18offset_tEEE10hipError_tPvRmT1_PNSt15iterator_traitsISY_E10value_typeET2_T3_PNSZ_IS14_E10value_typeET4_jRbjT5_S1A_jjP12ihipStream_tbEUljE_EEESV_SW_SX_S14_S18_S1A_T6_T7_T9_mT8_S1C_bDpT10_ENKUlT_T0_E_clISt17integral_constantIbLb1EES1P_EEDaS1K_S1L_EUlS1K_E_NS1_11comp_targetILNS1_3genE3ELNS1_11target_archE908ELNS1_3gpuE7ELNS1_3repE0EEENS1_30default_config_static_selectorELNS0_4arch9wavefront6targetE0EEEvSY_, .Lfunc_end165-_ZN7rocprim17ROCPRIM_400000_NS6detail17trampoline_kernelINS0_13select_configILj256ELj13ELNS0_17block_load_methodE3ELS4_3ELS4_3ELNS0_20block_scan_algorithmE0ELj4294967295EEENS1_25partition_config_selectorILNS1_17partition_subalgoE3EjNS0_10empty_typeEbEEZZNS1_14partition_implILS8_3ELb0ES6_jNS0_17counting_iteratorIjlEEPS9_SE_NS0_5tupleIJPjSE_EEENSF_IJSE_SE_EEES9_SG_JZNS1_25segmented_radix_sort_implINS0_14default_configELb0EPKhPhPKlPlN2at6native12_GLOBAL__N_18offset_tEEE10hipError_tPvRmT1_PNSt15iterator_traitsISY_E10value_typeET2_T3_PNSZ_IS14_E10value_typeET4_jRbjT5_S1A_jjP12ihipStream_tbEUljE_EEESV_SW_SX_S14_S18_S1A_T6_T7_T9_mT8_S1C_bDpT10_ENKUlT_T0_E_clISt17integral_constantIbLb1EES1P_EEDaS1K_S1L_EUlS1K_E_NS1_11comp_targetILNS1_3genE3ELNS1_11target_archE908ELNS1_3gpuE7ELNS1_3repE0EEENS1_30default_config_static_selectorELNS0_4arch9wavefront6targetE0EEEvSY_
                                        ; -- End function
	.set _ZN7rocprim17ROCPRIM_400000_NS6detail17trampoline_kernelINS0_13select_configILj256ELj13ELNS0_17block_load_methodE3ELS4_3ELS4_3ELNS0_20block_scan_algorithmE0ELj4294967295EEENS1_25partition_config_selectorILNS1_17partition_subalgoE3EjNS0_10empty_typeEbEEZZNS1_14partition_implILS8_3ELb0ES6_jNS0_17counting_iteratorIjlEEPS9_SE_NS0_5tupleIJPjSE_EEENSF_IJSE_SE_EEES9_SG_JZNS1_25segmented_radix_sort_implINS0_14default_configELb0EPKhPhPKlPlN2at6native12_GLOBAL__N_18offset_tEEE10hipError_tPvRmT1_PNSt15iterator_traitsISY_E10value_typeET2_T3_PNSZ_IS14_E10value_typeET4_jRbjT5_S1A_jjP12ihipStream_tbEUljE_EEESV_SW_SX_S14_S18_S1A_T6_T7_T9_mT8_S1C_bDpT10_ENKUlT_T0_E_clISt17integral_constantIbLb1EES1P_EEDaS1K_S1L_EUlS1K_E_NS1_11comp_targetILNS1_3genE3ELNS1_11target_archE908ELNS1_3gpuE7ELNS1_3repE0EEENS1_30default_config_static_selectorELNS0_4arch9wavefront6targetE0EEEvSY_.num_vgpr, 0
	.set _ZN7rocprim17ROCPRIM_400000_NS6detail17trampoline_kernelINS0_13select_configILj256ELj13ELNS0_17block_load_methodE3ELS4_3ELS4_3ELNS0_20block_scan_algorithmE0ELj4294967295EEENS1_25partition_config_selectorILNS1_17partition_subalgoE3EjNS0_10empty_typeEbEEZZNS1_14partition_implILS8_3ELb0ES6_jNS0_17counting_iteratorIjlEEPS9_SE_NS0_5tupleIJPjSE_EEENSF_IJSE_SE_EEES9_SG_JZNS1_25segmented_radix_sort_implINS0_14default_configELb0EPKhPhPKlPlN2at6native12_GLOBAL__N_18offset_tEEE10hipError_tPvRmT1_PNSt15iterator_traitsISY_E10value_typeET2_T3_PNSZ_IS14_E10value_typeET4_jRbjT5_S1A_jjP12ihipStream_tbEUljE_EEESV_SW_SX_S14_S18_S1A_T6_T7_T9_mT8_S1C_bDpT10_ENKUlT_T0_E_clISt17integral_constantIbLb1EES1P_EEDaS1K_S1L_EUlS1K_E_NS1_11comp_targetILNS1_3genE3ELNS1_11target_archE908ELNS1_3gpuE7ELNS1_3repE0EEENS1_30default_config_static_selectorELNS0_4arch9wavefront6targetE0EEEvSY_.num_agpr, 0
	.set _ZN7rocprim17ROCPRIM_400000_NS6detail17trampoline_kernelINS0_13select_configILj256ELj13ELNS0_17block_load_methodE3ELS4_3ELS4_3ELNS0_20block_scan_algorithmE0ELj4294967295EEENS1_25partition_config_selectorILNS1_17partition_subalgoE3EjNS0_10empty_typeEbEEZZNS1_14partition_implILS8_3ELb0ES6_jNS0_17counting_iteratorIjlEEPS9_SE_NS0_5tupleIJPjSE_EEENSF_IJSE_SE_EEES9_SG_JZNS1_25segmented_radix_sort_implINS0_14default_configELb0EPKhPhPKlPlN2at6native12_GLOBAL__N_18offset_tEEE10hipError_tPvRmT1_PNSt15iterator_traitsISY_E10value_typeET2_T3_PNSZ_IS14_E10value_typeET4_jRbjT5_S1A_jjP12ihipStream_tbEUljE_EEESV_SW_SX_S14_S18_S1A_T6_T7_T9_mT8_S1C_bDpT10_ENKUlT_T0_E_clISt17integral_constantIbLb1EES1P_EEDaS1K_S1L_EUlS1K_E_NS1_11comp_targetILNS1_3genE3ELNS1_11target_archE908ELNS1_3gpuE7ELNS1_3repE0EEENS1_30default_config_static_selectorELNS0_4arch9wavefront6targetE0EEEvSY_.numbered_sgpr, 0
	.set _ZN7rocprim17ROCPRIM_400000_NS6detail17trampoline_kernelINS0_13select_configILj256ELj13ELNS0_17block_load_methodE3ELS4_3ELS4_3ELNS0_20block_scan_algorithmE0ELj4294967295EEENS1_25partition_config_selectorILNS1_17partition_subalgoE3EjNS0_10empty_typeEbEEZZNS1_14partition_implILS8_3ELb0ES6_jNS0_17counting_iteratorIjlEEPS9_SE_NS0_5tupleIJPjSE_EEENSF_IJSE_SE_EEES9_SG_JZNS1_25segmented_radix_sort_implINS0_14default_configELb0EPKhPhPKlPlN2at6native12_GLOBAL__N_18offset_tEEE10hipError_tPvRmT1_PNSt15iterator_traitsISY_E10value_typeET2_T3_PNSZ_IS14_E10value_typeET4_jRbjT5_S1A_jjP12ihipStream_tbEUljE_EEESV_SW_SX_S14_S18_S1A_T6_T7_T9_mT8_S1C_bDpT10_ENKUlT_T0_E_clISt17integral_constantIbLb1EES1P_EEDaS1K_S1L_EUlS1K_E_NS1_11comp_targetILNS1_3genE3ELNS1_11target_archE908ELNS1_3gpuE7ELNS1_3repE0EEENS1_30default_config_static_selectorELNS0_4arch9wavefront6targetE0EEEvSY_.num_named_barrier, 0
	.set _ZN7rocprim17ROCPRIM_400000_NS6detail17trampoline_kernelINS0_13select_configILj256ELj13ELNS0_17block_load_methodE3ELS4_3ELS4_3ELNS0_20block_scan_algorithmE0ELj4294967295EEENS1_25partition_config_selectorILNS1_17partition_subalgoE3EjNS0_10empty_typeEbEEZZNS1_14partition_implILS8_3ELb0ES6_jNS0_17counting_iteratorIjlEEPS9_SE_NS0_5tupleIJPjSE_EEENSF_IJSE_SE_EEES9_SG_JZNS1_25segmented_radix_sort_implINS0_14default_configELb0EPKhPhPKlPlN2at6native12_GLOBAL__N_18offset_tEEE10hipError_tPvRmT1_PNSt15iterator_traitsISY_E10value_typeET2_T3_PNSZ_IS14_E10value_typeET4_jRbjT5_S1A_jjP12ihipStream_tbEUljE_EEESV_SW_SX_S14_S18_S1A_T6_T7_T9_mT8_S1C_bDpT10_ENKUlT_T0_E_clISt17integral_constantIbLb1EES1P_EEDaS1K_S1L_EUlS1K_E_NS1_11comp_targetILNS1_3genE3ELNS1_11target_archE908ELNS1_3gpuE7ELNS1_3repE0EEENS1_30default_config_static_selectorELNS0_4arch9wavefront6targetE0EEEvSY_.private_seg_size, 0
	.set _ZN7rocprim17ROCPRIM_400000_NS6detail17trampoline_kernelINS0_13select_configILj256ELj13ELNS0_17block_load_methodE3ELS4_3ELS4_3ELNS0_20block_scan_algorithmE0ELj4294967295EEENS1_25partition_config_selectorILNS1_17partition_subalgoE3EjNS0_10empty_typeEbEEZZNS1_14partition_implILS8_3ELb0ES6_jNS0_17counting_iteratorIjlEEPS9_SE_NS0_5tupleIJPjSE_EEENSF_IJSE_SE_EEES9_SG_JZNS1_25segmented_radix_sort_implINS0_14default_configELb0EPKhPhPKlPlN2at6native12_GLOBAL__N_18offset_tEEE10hipError_tPvRmT1_PNSt15iterator_traitsISY_E10value_typeET2_T3_PNSZ_IS14_E10value_typeET4_jRbjT5_S1A_jjP12ihipStream_tbEUljE_EEESV_SW_SX_S14_S18_S1A_T6_T7_T9_mT8_S1C_bDpT10_ENKUlT_T0_E_clISt17integral_constantIbLb1EES1P_EEDaS1K_S1L_EUlS1K_E_NS1_11comp_targetILNS1_3genE3ELNS1_11target_archE908ELNS1_3gpuE7ELNS1_3repE0EEENS1_30default_config_static_selectorELNS0_4arch9wavefront6targetE0EEEvSY_.uses_vcc, 0
	.set _ZN7rocprim17ROCPRIM_400000_NS6detail17trampoline_kernelINS0_13select_configILj256ELj13ELNS0_17block_load_methodE3ELS4_3ELS4_3ELNS0_20block_scan_algorithmE0ELj4294967295EEENS1_25partition_config_selectorILNS1_17partition_subalgoE3EjNS0_10empty_typeEbEEZZNS1_14partition_implILS8_3ELb0ES6_jNS0_17counting_iteratorIjlEEPS9_SE_NS0_5tupleIJPjSE_EEENSF_IJSE_SE_EEES9_SG_JZNS1_25segmented_radix_sort_implINS0_14default_configELb0EPKhPhPKlPlN2at6native12_GLOBAL__N_18offset_tEEE10hipError_tPvRmT1_PNSt15iterator_traitsISY_E10value_typeET2_T3_PNSZ_IS14_E10value_typeET4_jRbjT5_S1A_jjP12ihipStream_tbEUljE_EEESV_SW_SX_S14_S18_S1A_T6_T7_T9_mT8_S1C_bDpT10_ENKUlT_T0_E_clISt17integral_constantIbLb1EES1P_EEDaS1K_S1L_EUlS1K_E_NS1_11comp_targetILNS1_3genE3ELNS1_11target_archE908ELNS1_3gpuE7ELNS1_3repE0EEENS1_30default_config_static_selectorELNS0_4arch9wavefront6targetE0EEEvSY_.uses_flat_scratch, 0
	.set _ZN7rocprim17ROCPRIM_400000_NS6detail17trampoline_kernelINS0_13select_configILj256ELj13ELNS0_17block_load_methodE3ELS4_3ELS4_3ELNS0_20block_scan_algorithmE0ELj4294967295EEENS1_25partition_config_selectorILNS1_17partition_subalgoE3EjNS0_10empty_typeEbEEZZNS1_14partition_implILS8_3ELb0ES6_jNS0_17counting_iteratorIjlEEPS9_SE_NS0_5tupleIJPjSE_EEENSF_IJSE_SE_EEES9_SG_JZNS1_25segmented_radix_sort_implINS0_14default_configELb0EPKhPhPKlPlN2at6native12_GLOBAL__N_18offset_tEEE10hipError_tPvRmT1_PNSt15iterator_traitsISY_E10value_typeET2_T3_PNSZ_IS14_E10value_typeET4_jRbjT5_S1A_jjP12ihipStream_tbEUljE_EEESV_SW_SX_S14_S18_S1A_T6_T7_T9_mT8_S1C_bDpT10_ENKUlT_T0_E_clISt17integral_constantIbLb1EES1P_EEDaS1K_S1L_EUlS1K_E_NS1_11comp_targetILNS1_3genE3ELNS1_11target_archE908ELNS1_3gpuE7ELNS1_3repE0EEENS1_30default_config_static_selectorELNS0_4arch9wavefront6targetE0EEEvSY_.has_dyn_sized_stack, 0
	.set _ZN7rocprim17ROCPRIM_400000_NS6detail17trampoline_kernelINS0_13select_configILj256ELj13ELNS0_17block_load_methodE3ELS4_3ELS4_3ELNS0_20block_scan_algorithmE0ELj4294967295EEENS1_25partition_config_selectorILNS1_17partition_subalgoE3EjNS0_10empty_typeEbEEZZNS1_14partition_implILS8_3ELb0ES6_jNS0_17counting_iteratorIjlEEPS9_SE_NS0_5tupleIJPjSE_EEENSF_IJSE_SE_EEES9_SG_JZNS1_25segmented_radix_sort_implINS0_14default_configELb0EPKhPhPKlPlN2at6native12_GLOBAL__N_18offset_tEEE10hipError_tPvRmT1_PNSt15iterator_traitsISY_E10value_typeET2_T3_PNSZ_IS14_E10value_typeET4_jRbjT5_S1A_jjP12ihipStream_tbEUljE_EEESV_SW_SX_S14_S18_S1A_T6_T7_T9_mT8_S1C_bDpT10_ENKUlT_T0_E_clISt17integral_constantIbLb1EES1P_EEDaS1K_S1L_EUlS1K_E_NS1_11comp_targetILNS1_3genE3ELNS1_11target_archE908ELNS1_3gpuE7ELNS1_3repE0EEENS1_30default_config_static_selectorELNS0_4arch9wavefront6targetE0EEEvSY_.has_recursion, 0
	.set _ZN7rocprim17ROCPRIM_400000_NS6detail17trampoline_kernelINS0_13select_configILj256ELj13ELNS0_17block_load_methodE3ELS4_3ELS4_3ELNS0_20block_scan_algorithmE0ELj4294967295EEENS1_25partition_config_selectorILNS1_17partition_subalgoE3EjNS0_10empty_typeEbEEZZNS1_14partition_implILS8_3ELb0ES6_jNS0_17counting_iteratorIjlEEPS9_SE_NS0_5tupleIJPjSE_EEENSF_IJSE_SE_EEES9_SG_JZNS1_25segmented_radix_sort_implINS0_14default_configELb0EPKhPhPKlPlN2at6native12_GLOBAL__N_18offset_tEEE10hipError_tPvRmT1_PNSt15iterator_traitsISY_E10value_typeET2_T3_PNSZ_IS14_E10value_typeET4_jRbjT5_S1A_jjP12ihipStream_tbEUljE_EEESV_SW_SX_S14_S18_S1A_T6_T7_T9_mT8_S1C_bDpT10_ENKUlT_T0_E_clISt17integral_constantIbLb1EES1P_EEDaS1K_S1L_EUlS1K_E_NS1_11comp_targetILNS1_3genE3ELNS1_11target_archE908ELNS1_3gpuE7ELNS1_3repE0EEENS1_30default_config_static_selectorELNS0_4arch9wavefront6targetE0EEEvSY_.has_indirect_call, 0
	.section	.AMDGPU.csdata,"",@progbits
; Kernel info:
; codeLenInByte = 0
; TotalNumSgprs: 0
; NumVgprs: 0
; ScratchSize: 0
; MemoryBound: 0
; FloatMode: 240
; IeeeMode: 1
; LDSByteSize: 0 bytes/workgroup (compile time only)
; SGPRBlocks: 0
; VGPRBlocks: 0
; NumSGPRsForWavesPerEU: 1
; NumVGPRsForWavesPerEU: 1
; Occupancy: 16
; WaveLimiterHint : 0
; COMPUTE_PGM_RSRC2:SCRATCH_EN: 0
; COMPUTE_PGM_RSRC2:USER_SGPR: 2
; COMPUTE_PGM_RSRC2:TRAP_HANDLER: 0
; COMPUTE_PGM_RSRC2:TGID_X_EN: 1
; COMPUTE_PGM_RSRC2:TGID_Y_EN: 0
; COMPUTE_PGM_RSRC2:TGID_Z_EN: 0
; COMPUTE_PGM_RSRC2:TIDIG_COMP_CNT: 0
	.section	.text._ZN7rocprim17ROCPRIM_400000_NS6detail17trampoline_kernelINS0_13select_configILj256ELj13ELNS0_17block_load_methodE3ELS4_3ELS4_3ELNS0_20block_scan_algorithmE0ELj4294967295EEENS1_25partition_config_selectorILNS1_17partition_subalgoE3EjNS0_10empty_typeEbEEZZNS1_14partition_implILS8_3ELb0ES6_jNS0_17counting_iteratorIjlEEPS9_SE_NS0_5tupleIJPjSE_EEENSF_IJSE_SE_EEES9_SG_JZNS1_25segmented_radix_sort_implINS0_14default_configELb0EPKhPhPKlPlN2at6native12_GLOBAL__N_18offset_tEEE10hipError_tPvRmT1_PNSt15iterator_traitsISY_E10value_typeET2_T3_PNSZ_IS14_E10value_typeET4_jRbjT5_S1A_jjP12ihipStream_tbEUljE_EEESV_SW_SX_S14_S18_S1A_T6_T7_T9_mT8_S1C_bDpT10_ENKUlT_T0_E_clISt17integral_constantIbLb1EES1P_EEDaS1K_S1L_EUlS1K_E_NS1_11comp_targetILNS1_3genE2ELNS1_11target_archE906ELNS1_3gpuE6ELNS1_3repE0EEENS1_30default_config_static_selectorELNS0_4arch9wavefront6targetE0EEEvSY_,"axG",@progbits,_ZN7rocprim17ROCPRIM_400000_NS6detail17trampoline_kernelINS0_13select_configILj256ELj13ELNS0_17block_load_methodE3ELS4_3ELS4_3ELNS0_20block_scan_algorithmE0ELj4294967295EEENS1_25partition_config_selectorILNS1_17partition_subalgoE3EjNS0_10empty_typeEbEEZZNS1_14partition_implILS8_3ELb0ES6_jNS0_17counting_iteratorIjlEEPS9_SE_NS0_5tupleIJPjSE_EEENSF_IJSE_SE_EEES9_SG_JZNS1_25segmented_radix_sort_implINS0_14default_configELb0EPKhPhPKlPlN2at6native12_GLOBAL__N_18offset_tEEE10hipError_tPvRmT1_PNSt15iterator_traitsISY_E10value_typeET2_T3_PNSZ_IS14_E10value_typeET4_jRbjT5_S1A_jjP12ihipStream_tbEUljE_EEESV_SW_SX_S14_S18_S1A_T6_T7_T9_mT8_S1C_bDpT10_ENKUlT_T0_E_clISt17integral_constantIbLb1EES1P_EEDaS1K_S1L_EUlS1K_E_NS1_11comp_targetILNS1_3genE2ELNS1_11target_archE906ELNS1_3gpuE6ELNS1_3repE0EEENS1_30default_config_static_selectorELNS0_4arch9wavefront6targetE0EEEvSY_,comdat
	.globl	_ZN7rocprim17ROCPRIM_400000_NS6detail17trampoline_kernelINS0_13select_configILj256ELj13ELNS0_17block_load_methodE3ELS4_3ELS4_3ELNS0_20block_scan_algorithmE0ELj4294967295EEENS1_25partition_config_selectorILNS1_17partition_subalgoE3EjNS0_10empty_typeEbEEZZNS1_14partition_implILS8_3ELb0ES6_jNS0_17counting_iteratorIjlEEPS9_SE_NS0_5tupleIJPjSE_EEENSF_IJSE_SE_EEES9_SG_JZNS1_25segmented_radix_sort_implINS0_14default_configELb0EPKhPhPKlPlN2at6native12_GLOBAL__N_18offset_tEEE10hipError_tPvRmT1_PNSt15iterator_traitsISY_E10value_typeET2_T3_PNSZ_IS14_E10value_typeET4_jRbjT5_S1A_jjP12ihipStream_tbEUljE_EEESV_SW_SX_S14_S18_S1A_T6_T7_T9_mT8_S1C_bDpT10_ENKUlT_T0_E_clISt17integral_constantIbLb1EES1P_EEDaS1K_S1L_EUlS1K_E_NS1_11comp_targetILNS1_3genE2ELNS1_11target_archE906ELNS1_3gpuE6ELNS1_3repE0EEENS1_30default_config_static_selectorELNS0_4arch9wavefront6targetE0EEEvSY_ ; -- Begin function _ZN7rocprim17ROCPRIM_400000_NS6detail17trampoline_kernelINS0_13select_configILj256ELj13ELNS0_17block_load_methodE3ELS4_3ELS4_3ELNS0_20block_scan_algorithmE0ELj4294967295EEENS1_25partition_config_selectorILNS1_17partition_subalgoE3EjNS0_10empty_typeEbEEZZNS1_14partition_implILS8_3ELb0ES6_jNS0_17counting_iteratorIjlEEPS9_SE_NS0_5tupleIJPjSE_EEENSF_IJSE_SE_EEES9_SG_JZNS1_25segmented_radix_sort_implINS0_14default_configELb0EPKhPhPKlPlN2at6native12_GLOBAL__N_18offset_tEEE10hipError_tPvRmT1_PNSt15iterator_traitsISY_E10value_typeET2_T3_PNSZ_IS14_E10value_typeET4_jRbjT5_S1A_jjP12ihipStream_tbEUljE_EEESV_SW_SX_S14_S18_S1A_T6_T7_T9_mT8_S1C_bDpT10_ENKUlT_T0_E_clISt17integral_constantIbLb1EES1P_EEDaS1K_S1L_EUlS1K_E_NS1_11comp_targetILNS1_3genE2ELNS1_11target_archE906ELNS1_3gpuE6ELNS1_3repE0EEENS1_30default_config_static_selectorELNS0_4arch9wavefront6targetE0EEEvSY_
	.p2align	8
	.type	_ZN7rocprim17ROCPRIM_400000_NS6detail17trampoline_kernelINS0_13select_configILj256ELj13ELNS0_17block_load_methodE3ELS4_3ELS4_3ELNS0_20block_scan_algorithmE0ELj4294967295EEENS1_25partition_config_selectorILNS1_17partition_subalgoE3EjNS0_10empty_typeEbEEZZNS1_14partition_implILS8_3ELb0ES6_jNS0_17counting_iteratorIjlEEPS9_SE_NS0_5tupleIJPjSE_EEENSF_IJSE_SE_EEES9_SG_JZNS1_25segmented_radix_sort_implINS0_14default_configELb0EPKhPhPKlPlN2at6native12_GLOBAL__N_18offset_tEEE10hipError_tPvRmT1_PNSt15iterator_traitsISY_E10value_typeET2_T3_PNSZ_IS14_E10value_typeET4_jRbjT5_S1A_jjP12ihipStream_tbEUljE_EEESV_SW_SX_S14_S18_S1A_T6_T7_T9_mT8_S1C_bDpT10_ENKUlT_T0_E_clISt17integral_constantIbLb1EES1P_EEDaS1K_S1L_EUlS1K_E_NS1_11comp_targetILNS1_3genE2ELNS1_11target_archE906ELNS1_3gpuE6ELNS1_3repE0EEENS1_30default_config_static_selectorELNS0_4arch9wavefront6targetE0EEEvSY_,@function
_ZN7rocprim17ROCPRIM_400000_NS6detail17trampoline_kernelINS0_13select_configILj256ELj13ELNS0_17block_load_methodE3ELS4_3ELS4_3ELNS0_20block_scan_algorithmE0ELj4294967295EEENS1_25partition_config_selectorILNS1_17partition_subalgoE3EjNS0_10empty_typeEbEEZZNS1_14partition_implILS8_3ELb0ES6_jNS0_17counting_iteratorIjlEEPS9_SE_NS0_5tupleIJPjSE_EEENSF_IJSE_SE_EEES9_SG_JZNS1_25segmented_radix_sort_implINS0_14default_configELb0EPKhPhPKlPlN2at6native12_GLOBAL__N_18offset_tEEE10hipError_tPvRmT1_PNSt15iterator_traitsISY_E10value_typeET2_T3_PNSZ_IS14_E10value_typeET4_jRbjT5_S1A_jjP12ihipStream_tbEUljE_EEESV_SW_SX_S14_S18_S1A_T6_T7_T9_mT8_S1C_bDpT10_ENKUlT_T0_E_clISt17integral_constantIbLb1EES1P_EEDaS1K_S1L_EUlS1K_E_NS1_11comp_targetILNS1_3genE2ELNS1_11target_archE906ELNS1_3gpuE6ELNS1_3repE0EEENS1_30default_config_static_selectorELNS0_4arch9wavefront6targetE0EEEvSY_: ; @_ZN7rocprim17ROCPRIM_400000_NS6detail17trampoline_kernelINS0_13select_configILj256ELj13ELNS0_17block_load_methodE3ELS4_3ELS4_3ELNS0_20block_scan_algorithmE0ELj4294967295EEENS1_25partition_config_selectorILNS1_17partition_subalgoE3EjNS0_10empty_typeEbEEZZNS1_14partition_implILS8_3ELb0ES6_jNS0_17counting_iteratorIjlEEPS9_SE_NS0_5tupleIJPjSE_EEENSF_IJSE_SE_EEES9_SG_JZNS1_25segmented_radix_sort_implINS0_14default_configELb0EPKhPhPKlPlN2at6native12_GLOBAL__N_18offset_tEEE10hipError_tPvRmT1_PNSt15iterator_traitsISY_E10value_typeET2_T3_PNSZ_IS14_E10value_typeET4_jRbjT5_S1A_jjP12ihipStream_tbEUljE_EEESV_SW_SX_S14_S18_S1A_T6_T7_T9_mT8_S1C_bDpT10_ENKUlT_T0_E_clISt17integral_constantIbLb1EES1P_EEDaS1K_S1L_EUlS1K_E_NS1_11comp_targetILNS1_3genE2ELNS1_11target_archE906ELNS1_3gpuE6ELNS1_3repE0EEENS1_30default_config_static_selectorELNS0_4arch9wavefront6targetE0EEEvSY_
; %bb.0:
	.section	.rodata,"a",@progbits
	.p2align	6, 0x0
	.amdhsa_kernel _ZN7rocprim17ROCPRIM_400000_NS6detail17trampoline_kernelINS0_13select_configILj256ELj13ELNS0_17block_load_methodE3ELS4_3ELS4_3ELNS0_20block_scan_algorithmE0ELj4294967295EEENS1_25partition_config_selectorILNS1_17partition_subalgoE3EjNS0_10empty_typeEbEEZZNS1_14partition_implILS8_3ELb0ES6_jNS0_17counting_iteratorIjlEEPS9_SE_NS0_5tupleIJPjSE_EEENSF_IJSE_SE_EEES9_SG_JZNS1_25segmented_radix_sort_implINS0_14default_configELb0EPKhPhPKlPlN2at6native12_GLOBAL__N_18offset_tEEE10hipError_tPvRmT1_PNSt15iterator_traitsISY_E10value_typeET2_T3_PNSZ_IS14_E10value_typeET4_jRbjT5_S1A_jjP12ihipStream_tbEUljE_EEESV_SW_SX_S14_S18_S1A_T6_T7_T9_mT8_S1C_bDpT10_ENKUlT_T0_E_clISt17integral_constantIbLb1EES1P_EEDaS1K_S1L_EUlS1K_E_NS1_11comp_targetILNS1_3genE2ELNS1_11target_archE906ELNS1_3gpuE6ELNS1_3repE0EEENS1_30default_config_static_selectorELNS0_4arch9wavefront6targetE0EEEvSY_
		.amdhsa_group_segment_fixed_size 0
		.amdhsa_private_segment_fixed_size 0
		.amdhsa_kernarg_size 152
		.amdhsa_user_sgpr_count 2
		.amdhsa_user_sgpr_dispatch_ptr 0
		.amdhsa_user_sgpr_queue_ptr 0
		.amdhsa_user_sgpr_kernarg_segment_ptr 1
		.amdhsa_user_sgpr_dispatch_id 0
		.amdhsa_user_sgpr_private_segment_size 0
		.amdhsa_wavefront_size32 1
		.amdhsa_uses_dynamic_stack 0
		.amdhsa_enable_private_segment 0
		.amdhsa_system_sgpr_workgroup_id_x 1
		.amdhsa_system_sgpr_workgroup_id_y 0
		.amdhsa_system_sgpr_workgroup_id_z 0
		.amdhsa_system_sgpr_workgroup_info 0
		.amdhsa_system_vgpr_workitem_id 0
		.amdhsa_next_free_vgpr 1
		.amdhsa_next_free_sgpr 1
		.amdhsa_reserve_vcc 0
		.amdhsa_float_round_mode_32 0
		.amdhsa_float_round_mode_16_64 0
		.amdhsa_float_denorm_mode_32 3
		.amdhsa_float_denorm_mode_16_64 3
		.amdhsa_fp16_overflow 0
		.amdhsa_workgroup_processor_mode 1
		.amdhsa_memory_ordered 1
		.amdhsa_forward_progress 1
		.amdhsa_inst_pref_size 0
		.amdhsa_round_robin_scheduling 0
		.amdhsa_exception_fp_ieee_invalid_op 0
		.amdhsa_exception_fp_denorm_src 0
		.amdhsa_exception_fp_ieee_div_zero 0
		.amdhsa_exception_fp_ieee_overflow 0
		.amdhsa_exception_fp_ieee_underflow 0
		.amdhsa_exception_fp_ieee_inexact 0
		.amdhsa_exception_int_div_zero 0
	.end_amdhsa_kernel
	.section	.text._ZN7rocprim17ROCPRIM_400000_NS6detail17trampoline_kernelINS0_13select_configILj256ELj13ELNS0_17block_load_methodE3ELS4_3ELS4_3ELNS0_20block_scan_algorithmE0ELj4294967295EEENS1_25partition_config_selectorILNS1_17partition_subalgoE3EjNS0_10empty_typeEbEEZZNS1_14partition_implILS8_3ELb0ES6_jNS0_17counting_iteratorIjlEEPS9_SE_NS0_5tupleIJPjSE_EEENSF_IJSE_SE_EEES9_SG_JZNS1_25segmented_radix_sort_implINS0_14default_configELb0EPKhPhPKlPlN2at6native12_GLOBAL__N_18offset_tEEE10hipError_tPvRmT1_PNSt15iterator_traitsISY_E10value_typeET2_T3_PNSZ_IS14_E10value_typeET4_jRbjT5_S1A_jjP12ihipStream_tbEUljE_EEESV_SW_SX_S14_S18_S1A_T6_T7_T9_mT8_S1C_bDpT10_ENKUlT_T0_E_clISt17integral_constantIbLb1EES1P_EEDaS1K_S1L_EUlS1K_E_NS1_11comp_targetILNS1_3genE2ELNS1_11target_archE906ELNS1_3gpuE6ELNS1_3repE0EEENS1_30default_config_static_selectorELNS0_4arch9wavefront6targetE0EEEvSY_,"axG",@progbits,_ZN7rocprim17ROCPRIM_400000_NS6detail17trampoline_kernelINS0_13select_configILj256ELj13ELNS0_17block_load_methodE3ELS4_3ELS4_3ELNS0_20block_scan_algorithmE0ELj4294967295EEENS1_25partition_config_selectorILNS1_17partition_subalgoE3EjNS0_10empty_typeEbEEZZNS1_14partition_implILS8_3ELb0ES6_jNS0_17counting_iteratorIjlEEPS9_SE_NS0_5tupleIJPjSE_EEENSF_IJSE_SE_EEES9_SG_JZNS1_25segmented_radix_sort_implINS0_14default_configELb0EPKhPhPKlPlN2at6native12_GLOBAL__N_18offset_tEEE10hipError_tPvRmT1_PNSt15iterator_traitsISY_E10value_typeET2_T3_PNSZ_IS14_E10value_typeET4_jRbjT5_S1A_jjP12ihipStream_tbEUljE_EEESV_SW_SX_S14_S18_S1A_T6_T7_T9_mT8_S1C_bDpT10_ENKUlT_T0_E_clISt17integral_constantIbLb1EES1P_EEDaS1K_S1L_EUlS1K_E_NS1_11comp_targetILNS1_3genE2ELNS1_11target_archE906ELNS1_3gpuE6ELNS1_3repE0EEENS1_30default_config_static_selectorELNS0_4arch9wavefront6targetE0EEEvSY_,comdat
.Lfunc_end166:
	.size	_ZN7rocprim17ROCPRIM_400000_NS6detail17trampoline_kernelINS0_13select_configILj256ELj13ELNS0_17block_load_methodE3ELS4_3ELS4_3ELNS0_20block_scan_algorithmE0ELj4294967295EEENS1_25partition_config_selectorILNS1_17partition_subalgoE3EjNS0_10empty_typeEbEEZZNS1_14partition_implILS8_3ELb0ES6_jNS0_17counting_iteratorIjlEEPS9_SE_NS0_5tupleIJPjSE_EEENSF_IJSE_SE_EEES9_SG_JZNS1_25segmented_radix_sort_implINS0_14default_configELb0EPKhPhPKlPlN2at6native12_GLOBAL__N_18offset_tEEE10hipError_tPvRmT1_PNSt15iterator_traitsISY_E10value_typeET2_T3_PNSZ_IS14_E10value_typeET4_jRbjT5_S1A_jjP12ihipStream_tbEUljE_EEESV_SW_SX_S14_S18_S1A_T6_T7_T9_mT8_S1C_bDpT10_ENKUlT_T0_E_clISt17integral_constantIbLb1EES1P_EEDaS1K_S1L_EUlS1K_E_NS1_11comp_targetILNS1_3genE2ELNS1_11target_archE906ELNS1_3gpuE6ELNS1_3repE0EEENS1_30default_config_static_selectorELNS0_4arch9wavefront6targetE0EEEvSY_, .Lfunc_end166-_ZN7rocprim17ROCPRIM_400000_NS6detail17trampoline_kernelINS0_13select_configILj256ELj13ELNS0_17block_load_methodE3ELS4_3ELS4_3ELNS0_20block_scan_algorithmE0ELj4294967295EEENS1_25partition_config_selectorILNS1_17partition_subalgoE3EjNS0_10empty_typeEbEEZZNS1_14partition_implILS8_3ELb0ES6_jNS0_17counting_iteratorIjlEEPS9_SE_NS0_5tupleIJPjSE_EEENSF_IJSE_SE_EEES9_SG_JZNS1_25segmented_radix_sort_implINS0_14default_configELb0EPKhPhPKlPlN2at6native12_GLOBAL__N_18offset_tEEE10hipError_tPvRmT1_PNSt15iterator_traitsISY_E10value_typeET2_T3_PNSZ_IS14_E10value_typeET4_jRbjT5_S1A_jjP12ihipStream_tbEUljE_EEESV_SW_SX_S14_S18_S1A_T6_T7_T9_mT8_S1C_bDpT10_ENKUlT_T0_E_clISt17integral_constantIbLb1EES1P_EEDaS1K_S1L_EUlS1K_E_NS1_11comp_targetILNS1_3genE2ELNS1_11target_archE906ELNS1_3gpuE6ELNS1_3repE0EEENS1_30default_config_static_selectorELNS0_4arch9wavefront6targetE0EEEvSY_
                                        ; -- End function
	.set _ZN7rocprim17ROCPRIM_400000_NS6detail17trampoline_kernelINS0_13select_configILj256ELj13ELNS0_17block_load_methodE3ELS4_3ELS4_3ELNS0_20block_scan_algorithmE0ELj4294967295EEENS1_25partition_config_selectorILNS1_17partition_subalgoE3EjNS0_10empty_typeEbEEZZNS1_14partition_implILS8_3ELb0ES6_jNS0_17counting_iteratorIjlEEPS9_SE_NS0_5tupleIJPjSE_EEENSF_IJSE_SE_EEES9_SG_JZNS1_25segmented_radix_sort_implINS0_14default_configELb0EPKhPhPKlPlN2at6native12_GLOBAL__N_18offset_tEEE10hipError_tPvRmT1_PNSt15iterator_traitsISY_E10value_typeET2_T3_PNSZ_IS14_E10value_typeET4_jRbjT5_S1A_jjP12ihipStream_tbEUljE_EEESV_SW_SX_S14_S18_S1A_T6_T7_T9_mT8_S1C_bDpT10_ENKUlT_T0_E_clISt17integral_constantIbLb1EES1P_EEDaS1K_S1L_EUlS1K_E_NS1_11comp_targetILNS1_3genE2ELNS1_11target_archE906ELNS1_3gpuE6ELNS1_3repE0EEENS1_30default_config_static_selectorELNS0_4arch9wavefront6targetE0EEEvSY_.num_vgpr, 0
	.set _ZN7rocprim17ROCPRIM_400000_NS6detail17trampoline_kernelINS0_13select_configILj256ELj13ELNS0_17block_load_methodE3ELS4_3ELS4_3ELNS0_20block_scan_algorithmE0ELj4294967295EEENS1_25partition_config_selectorILNS1_17partition_subalgoE3EjNS0_10empty_typeEbEEZZNS1_14partition_implILS8_3ELb0ES6_jNS0_17counting_iteratorIjlEEPS9_SE_NS0_5tupleIJPjSE_EEENSF_IJSE_SE_EEES9_SG_JZNS1_25segmented_radix_sort_implINS0_14default_configELb0EPKhPhPKlPlN2at6native12_GLOBAL__N_18offset_tEEE10hipError_tPvRmT1_PNSt15iterator_traitsISY_E10value_typeET2_T3_PNSZ_IS14_E10value_typeET4_jRbjT5_S1A_jjP12ihipStream_tbEUljE_EEESV_SW_SX_S14_S18_S1A_T6_T7_T9_mT8_S1C_bDpT10_ENKUlT_T0_E_clISt17integral_constantIbLb1EES1P_EEDaS1K_S1L_EUlS1K_E_NS1_11comp_targetILNS1_3genE2ELNS1_11target_archE906ELNS1_3gpuE6ELNS1_3repE0EEENS1_30default_config_static_selectorELNS0_4arch9wavefront6targetE0EEEvSY_.num_agpr, 0
	.set _ZN7rocprim17ROCPRIM_400000_NS6detail17trampoline_kernelINS0_13select_configILj256ELj13ELNS0_17block_load_methodE3ELS4_3ELS4_3ELNS0_20block_scan_algorithmE0ELj4294967295EEENS1_25partition_config_selectorILNS1_17partition_subalgoE3EjNS0_10empty_typeEbEEZZNS1_14partition_implILS8_3ELb0ES6_jNS0_17counting_iteratorIjlEEPS9_SE_NS0_5tupleIJPjSE_EEENSF_IJSE_SE_EEES9_SG_JZNS1_25segmented_radix_sort_implINS0_14default_configELb0EPKhPhPKlPlN2at6native12_GLOBAL__N_18offset_tEEE10hipError_tPvRmT1_PNSt15iterator_traitsISY_E10value_typeET2_T3_PNSZ_IS14_E10value_typeET4_jRbjT5_S1A_jjP12ihipStream_tbEUljE_EEESV_SW_SX_S14_S18_S1A_T6_T7_T9_mT8_S1C_bDpT10_ENKUlT_T0_E_clISt17integral_constantIbLb1EES1P_EEDaS1K_S1L_EUlS1K_E_NS1_11comp_targetILNS1_3genE2ELNS1_11target_archE906ELNS1_3gpuE6ELNS1_3repE0EEENS1_30default_config_static_selectorELNS0_4arch9wavefront6targetE0EEEvSY_.numbered_sgpr, 0
	.set _ZN7rocprim17ROCPRIM_400000_NS6detail17trampoline_kernelINS0_13select_configILj256ELj13ELNS0_17block_load_methodE3ELS4_3ELS4_3ELNS0_20block_scan_algorithmE0ELj4294967295EEENS1_25partition_config_selectorILNS1_17partition_subalgoE3EjNS0_10empty_typeEbEEZZNS1_14partition_implILS8_3ELb0ES6_jNS0_17counting_iteratorIjlEEPS9_SE_NS0_5tupleIJPjSE_EEENSF_IJSE_SE_EEES9_SG_JZNS1_25segmented_radix_sort_implINS0_14default_configELb0EPKhPhPKlPlN2at6native12_GLOBAL__N_18offset_tEEE10hipError_tPvRmT1_PNSt15iterator_traitsISY_E10value_typeET2_T3_PNSZ_IS14_E10value_typeET4_jRbjT5_S1A_jjP12ihipStream_tbEUljE_EEESV_SW_SX_S14_S18_S1A_T6_T7_T9_mT8_S1C_bDpT10_ENKUlT_T0_E_clISt17integral_constantIbLb1EES1P_EEDaS1K_S1L_EUlS1K_E_NS1_11comp_targetILNS1_3genE2ELNS1_11target_archE906ELNS1_3gpuE6ELNS1_3repE0EEENS1_30default_config_static_selectorELNS0_4arch9wavefront6targetE0EEEvSY_.num_named_barrier, 0
	.set _ZN7rocprim17ROCPRIM_400000_NS6detail17trampoline_kernelINS0_13select_configILj256ELj13ELNS0_17block_load_methodE3ELS4_3ELS4_3ELNS0_20block_scan_algorithmE0ELj4294967295EEENS1_25partition_config_selectorILNS1_17partition_subalgoE3EjNS0_10empty_typeEbEEZZNS1_14partition_implILS8_3ELb0ES6_jNS0_17counting_iteratorIjlEEPS9_SE_NS0_5tupleIJPjSE_EEENSF_IJSE_SE_EEES9_SG_JZNS1_25segmented_radix_sort_implINS0_14default_configELb0EPKhPhPKlPlN2at6native12_GLOBAL__N_18offset_tEEE10hipError_tPvRmT1_PNSt15iterator_traitsISY_E10value_typeET2_T3_PNSZ_IS14_E10value_typeET4_jRbjT5_S1A_jjP12ihipStream_tbEUljE_EEESV_SW_SX_S14_S18_S1A_T6_T7_T9_mT8_S1C_bDpT10_ENKUlT_T0_E_clISt17integral_constantIbLb1EES1P_EEDaS1K_S1L_EUlS1K_E_NS1_11comp_targetILNS1_3genE2ELNS1_11target_archE906ELNS1_3gpuE6ELNS1_3repE0EEENS1_30default_config_static_selectorELNS0_4arch9wavefront6targetE0EEEvSY_.private_seg_size, 0
	.set _ZN7rocprim17ROCPRIM_400000_NS6detail17trampoline_kernelINS0_13select_configILj256ELj13ELNS0_17block_load_methodE3ELS4_3ELS4_3ELNS0_20block_scan_algorithmE0ELj4294967295EEENS1_25partition_config_selectorILNS1_17partition_subalgoE3EjNS0_10empty_typeEbEEZZNS1_14partition_implILS8_3ELb0ES6_jNS0_17counting_iteratorIjlEEPS9_SE_NS0_5tupleIJPjSE_EEENSF_IJSE_SE_EEES9_SG_JZNS1_25segmented_radix_sort_implINS0_14default_configELb0EPKhPhPKlPlN2at6native12_GLOBAL__N_18offset_tEEE10hipError_tPvRmT1_PNSt15iterator_traitsISY_E10value_typeET2_T3_PNSZ_IS14_E10value_typeET4_jRbjT5_S1A_jjP12ihipStream_tbEUljE_EEESV_SW_SX_S14_S18_S1A_T6_T7_T9_mT8_S1C_bDpT10_ENKUlT_T0_E_clISt17integral_constantIbLb1EES1P_EEDaS1K_S1L_EUlS1K_E_NS1_11comp_targetILNS1_3genE2ELNS1_11target_archE906ELNS1_3gpuE6ELNS1_3repE0EEENS1_30default_config_static_selectorELNS0_4arch9wavefront6targetE0EEEvSY_.uses_vcc, 0
	.set _ZN7rocprim17ROCPRIM_400000_NS6detail17trampoline_kernelINS0_13select_configILj256ELj13ELNS0_17block_load_methodE3ELS4_3ELS4_3ELNS0_20block_scan_algorithmE0ELj4294967295EEENS1_25partition_config_selectorILNS1_17partition_subalgoE3EjNS0_10empty_typeEbEEZZNS1_14partition_implILS8_3ELb0ES6_jNS0_17counting_iteratorIjlEEPS9_SE_NS0_5tupleIJPjSE_EEENSF_IJSE_SE_EEES9_SG_JZNS1_25segmented_radix_sort_implINS0_14default_configELb0EPKhPhPKlPlN2at6native12_GLOBAL__N_18offset_tEEE10hipError_tPvRmT1_PNSt15iterator_traitsISY_E10value_typeET2_T3_PNSZ_IS14_E10value_typeET4_jRbjT5_S1A_jjP12ihipStream_tbEUljE_EEESV_SW_SX_S14_S18_S1A_T6_T7_T9_mT8_S1C_bDpT10_ENKUlT_T0_E_clISt17integral_constantIbLb1EES1P_EEDaS1K_S1L_EUlS1K_E_NS1_11comp_targetILNS1_3genE2ELNS1_11target_archE906ELNS1_3gpuE6ELNS1_3repE0EEENS1_30default_config_static_selectorELNS0_4arch9wavefront6targetE0EEEvSY_.uses_flat_scratch, 0
	.set _ZN7rocprim17ROCPRIM_400000_NS6detail17trampoline_kernelINS0_13select_configILj256ELj13ELNS0_17block_load_methodE3ELS4_3ELS4_3ELNS0_20block_scan_algorithmE0ELj4294967295EEENS1_25partition_config_selectorILNS1_17partition_subalgoE3EjNS0_10empty_typeEbEEZZNS1_14partition_implILS8_3ELb0ES6_jNS0_17counting_iteratorIjlEEPS9_SE_NS0_5tupleIJPjSE_EEENSF_IJSE_SE_EEES9_SG_JZNS1_25segmented_radix_sort_implINS0_14default_configELb0EPKhPhPKlPlN2at6native12_GLOBAL__N_18offset_tEEE10hipError_tPvRmT1_PNSt15iterator_traitsISY_E10value_typeET2_T3_PNSZ_IS14_E10value_typeET4_jRbjT5_S1A_jjP12ihipStream_tbEUljE_EEESV_SW_SX_S14_S18_S1A_T6_T7_T9_mT8_S1C_bDpT10_ENKUlT_T0_E_clISt17integral_constantIbLb1EES1P_EEDaS1K_S1L_EUlS1K_E_NS1_11comp_targetILNS1_3genE2ELNS1_11target_archE906ELNS1_3gpuE6ELNS1_3repE0EEENS1_30default_config_static_selectorELNS0_4arch9wavefront6targetE0EEEvSY_.has_dyn_sized_stack, 0
	.set _ZN7rocprim17ROCPRIM_400000_NS6detail17trampoline_kernelINS0_13select_configILj256ELj13ELNS0_17block_load_methodE3ELS4_3ELS4_3ELNS0_20block_scan_algorithmE0ELj4294967295EEENS1_25partition_config_selectorILNS1_17partition_subalgoE3EjNS0_10empty_typeEbEEZZNS1_14partition_implILS8_3ELb0ES6_jNS0_17counting_iteratorIjlEEPS9_SE_NS0_5tupleIJPjSE_EEENSF_IJSE_SE_EEES9_SG_JZNS1_25segmented_radix_sort_implINS0_14default_configELb0EPKhPhPKlPlN2at6native12_GLOBAL__N_18offset_tEEE10hipError_tPvRmT1_PNSt15iterator_traitsISY_E10value_typeET2_T3_PNSZ_IS14_E10value_typeET4_jRbjT5_S1A_jjP12ihipStream_tbEUljE_EEESV_SW_SX_S14_S18_S1A_T6_T7_T9_mT8_S1C_bDpT10_ENKUlT_T0_E_clISt17integral_constantIbLb1EES1P_EEDaS1K_S1L_EUlS1K_E_NS1_11comp_targetILNS1_3genE2ELNS1_11target_archE906ELNS1_3gpuE6ELNS1_3repE0EEENS1_30default_config_static_selectorELNS0_4arch9wavefront6targetE0EEEvSY_.has_recursion, 0
	.set _ZN7rocprim17ROCPRIM_400000_NS6detail17trampoline_kernelINS0_13select_configILj256ELj13ELNS0_17block_load_methodE3ELS4_3ELS4_3ELNS0_20block_scan_algorithmE0ELj4294967295EEENS1_25partition_config_selectorILNS1_17partition_subalgoE3EjNS0_10empty_typeEbEEZZNS1_14partition_implILS8_3ELb0ES6_jNS0_17counting_iteratorIjlEEPS9_SE_NS0_5tupleIJPjSE_EEENSF_IJSE_SE_EEES9_SG_JZNS1_25segmented_radix_sort_implINS0_14default_configELb0EPKhPhPKlPlN2at6native12_GLOBAL__N_18offset_tEEE10hipError_tPvRmT1_PNSt15iterator_traitsISY_E10value_typeET2_T3_PNSZ_IS14_E10value_typeET4_jRbjT5_S1A_jjP12ihipStream_tbEUljE_EEESV_SW_SX_S14_S18_S1A_T6_T7_T9_mT8_S1C_bDpT10_ENKUlT_T0_E_clISt17integral_constantIbLb1EES1P_EEDaS1K_S1L_EUlS1K_E_NS1_11comp_targetILNS1_3genE2ELNS1_11target_archE906ELNS1_3gpuE6ELNS1_3repE0EEENS1_30default_config_static_selectorELNS0_4arch9wavefront6targetE0EEEvSY_.has_indirect_call, 0
	.section	.AMDGPU.csdata,"",@progbits
; Kernel info:
; codeLenInByte = 0
; TotalNumSgprs: 0
; NumVgprs: 0
; ScratchSize: 0
; MemoryBound: 0
; FloatMode: 240
; IeeeMode: 1
; LDSByteSize: 0 bytes/workgroup (compile time only)
; SGPRBlocks: 0
; VGPRBlocks: 0
; NumSGPRsForWavesPerEU: 1
; NumVGPRsForWavesPerEU: 1
; Occupancy: 16
; WaveLimiterHint : 0
; COMPUTE_PGM_RSRC2:SCRATCH_EN: 0
; COMPUTE_PGM_RSRC2:USER_SGPR: 2
; COMPUTE_PGM_RSRC2:TRAP_HANDLER: 0
; COMPUTE_PGM_RSRC2:TGID_X_EN: 1
; COMPUTE_PGM_RSRC2:TGID_Y_EN: 0
; COMPUTE_PGM_RSRC2:TGID_Z_EN: 0
; COMPUTE_PGM_RSRC2:TIDIG_COMP_CNT: 0
	.section	.text._ZN7rocprim17ROCPRIM_400000_NS6detail17trampoline_kernelINS0_13select_configILj256ELj13ELNS0_17block_load_methodE3ELS4_3ELS4_3ELNS0_20block_scan_algorithmE0ELj4294967295EEENS1_25partition_config_selectorILNS1_17partition_subalgoE3EjNS0_10empty_typeEbEEZZNS1_14partition_implILS8_3ELb0ES6_jNS0_17counting_iteratorIjlEEPS9_SE_NS0_5tupleIJPjSE_EEENSF_IJSE_SE_EEES9_SG_JZNS1_25segmented_radix_sort_implINS0_14default_configELb0EPKhPhPKlPlN2at6native12_GLOBAL__N_18offset_tEEE10hipError_tPvRmT1_PNSt15iterator_traitsISY_E10value_typeET2_T3_PNSZ_IS14_E10value_typeET4_jRbjT5_S1A_jjP12ihipStream_tbEUljE_EEESV_SW_SX_S14_S18_S1A_T6_T7_T9_mT8_S1C_bDpT10_ENKUlT_T0_E_clISt17integral_constantIbLb1EES1P_EEDaS1K_S1L_EUlS1K_E_NS1_11comp_targetILNS1_3genE10ELNS1_11target_archE1200ELNS1_3gpuE4ELNS1_3repE0EEENS1_30default_config_static_selectorELNS0_4arch9wavefront6targetE0EEEvSY_,"axG",@progbits,_ZN7rocprim17ROCPRIM_400000_NS6detail17trampoline_kernelINS0_13select_configILj256ELj13ELNS0_17block_load_methodE3ELS4_3ELS4_3ELNS0_20block_scan_algorithmE0ELj4294967295EEENS1_25partition_config_selectorILNS1_17partition_subalgoE3EjNS0_10empty_typeEbEEZZNS1_14partition_implILS8_3ELb0ES6_jNS0_17counting_iteratorIjlEEPS9_SE_NS0_5tupleIJPjSE_EEENSF_IJSE_SE_EEES9_SG_JZNS1_25segmented_radix_sort_implINS0_14default_configELb0EPKhPhPKlPlN2at6native12_GLOBAL__N_18offset_tEEE10hipError_tPvRmT1_PNSt15iterator_traitsISY_E10value_typeET2_T3_PNSZ_IS14_E10value_typeET4_jRbjT5_S1A_jjP12ihipStream_tbEUljE_EEESV_SW_SX_S14_S18_S1A_T6_T7_T9_mT8_S1C_bDpT10_ENKUlT_T0_E_clISt17integral_constantIbLb1EES1P_EEDaS1K_S1L_EUlS1K_E_NS1_11comp_targetILNS1_3genE10ELNS1_11target_archE1200ELNS1_3gpuE4ELNS1_3repE0EEENS1_30default_config_static_selectorELNS0_4arch9wavefront6targetE0EEEvSY_,comdat
	.globl	_ZN7rocprim17ROCPRIM_400000_NS6detail17trampoline_kernelINS0_13select_configILj256ELj13ELNS0_17block_load_methodE3ELS4_3ELS4_3ELNS0_20block_scan_algorithmE0ELj4294967295EEENS1_25partition_config_selectorILNS1_17partition_subalgoE3EjNS0_10empty_typeEbEEZZNS1_14partition_implILS8_3ELb0ES6_jNS0_17counting_iteratorIjlEEPS9_SE_NS0_5tupleIJPjSE_EEENSF_IJSE_SE_EEES9_SG_JZNS1_25segmented_radix_sort_implINS0_14default_configELb0EPKhPhPKlPlN2at6native12_GLOBAL__N_18offset_tEEE10hipError_tPvRmT1_PNSt15iterator_traitsISY_E10value_typeET2_T3_PNSZ_IS14_E10value_typeET4_jRbjT5_S1A_jjP12ihipStream_tbEUljE_EEESV_SW_SX_S14_S18_S1A_T6_T7_T9_mT8_S1C_bDpT10_ENKUlT_T0_E_clISt17integral_constantIbLb1EES1P_EEDaS1K_S1L_EUlS1K_E_NS1_11comp_targetILNS1_3genE10ELNS1_11target_archE1200ELNS1_3gpuE4ELNS1_3repE0EEENS1_30default_config_static_selectorELNS0_4arch9wavefront6targetE0EEEvSY_ ; -- Begin function _ZN7rocprim17ROCPRIM_400000_NS6detail17trampoline_kernelINS0_13select_configILj256ELj13ELNS0_17block_load_methodE3ELS4_3ELS4_3ELNS0_20block_scan_algorithmE0ELj4294967295EEENS1_25partition_config_selectorILNS1_17partition_subalgoE3EjNS0_10empty_typeEbEEZZNS1_14partition_implILS8_3ELb0ES6_jNS0_17counting_iteratorIjlEEPS9_SE_NS0_5tupleIJPjSE_EEENSF_IJSE_SE_EEES9_SG_JZNS1_25segmented_radix_sort_implINS0_14default_configELb0EPKhPhPKlPlN2at6native12_GLOBAL__N_18offset_tEEE10hipError_tPvRmT1_PNSt15iterator_traitsISY_E10value_typeET2_T3_PNSZ_IS14_E10value_typeET4_jRbjT5_S1A_jjP12ihipStream_tbEUljE_EEESV_SW_SX_S14_S18_S1A_T6_T7_T9_mT8_S1C_bDpT10_ENKUlT_T0_E_clISt17integral_constantIbLb1EES1P_EEDaS1K_S1L_EUlS1K_E_NS1_11comp_targetILNS1_3genE10ELNS1_11target_archE1200ELNS1_3gpuE4ELNS1_3repE0EEENS1_30default_config_static_selectorELNS0_4arch9wavefront6targetE0EEEvSY_
	.p2align	8
	.type	_ZN7rocprim17ROCPRIM_400000_NS6detail17trampoline_kernelINS0_13select_configILj256ELj13ELNS0_17block_load_methodE3ELS4_3ELS4_3ELNS0_20block_scan_algorithmE0ELj4294967295EEENS1_25partition_config_selectorILNS1_17partition_subalgoE3EjNS0_10empty_typeEbEEZZNS1_14partition_implILS8_3ELb0ES6_jNS0_17counting_iteratorIjlEEPS9_SE_NS0_5tupleIJPjSE_EEENSF_IJSE_SE_EEES9_SG_JZNS1_25segmented_radix_sort_implINS0_14default_configELb0EPKhPhPKlPlN2at6native12_GLOBAL__N_18offset_tEEE10hipError_tPvRmT1_PNSt15iterator_traitsISY_E10value_typeET2_T3_PNSZ_IS14_E10value_typeET4_jRbjT5_S1A_jjP12ihipStream_tbEUljE_EEESV_SW_SX_S14_S18_S1A_T6_T7_T9_mT8_S1C_bDpT10_ENKUlT_T0_E_clISt17integral_constantIbLb1EES1P_EEDaS1K_S1L_EUlS1K_E_NS1_11comp_targetILNS1_3genE10ELNS1_11target_archE1200ELNS1_3gpuE4ELNS1_3repE0EEENS1_30default_config_static_selectorELNS0_4arch9wavefront6targetE0EEEvSY_,@function
_ZN7rocprim17ROCPRIM_400000_NS6detail17trampoline_kernelINS0_13select_configILj256ELj13ELNS0_17block_load_methodE3ELS4_3ELS4_3ELNS0_20block_scan_algorithmE0ELj4294967295EEENS1_25partition_config_selectorILNS1_17partition_subalgoE3EjNS0_10empty_typeEbEEZZNS1_14partition_implILS8_3ELb0ES6_jNS0_17counting_iteratorIjlEEPS9_SE_NS0_5tupleIJPjSE_EEENSF_IJSE_SE_EEES9_SG_JZNS1_25segmented_radix_sort_implINS0_14default_configELb0EPKhPhPKlPlN2at6native12_GLOBAL__N_18offset_tEEE10hipError_tPvRmT1_PNSt15iterator_traitsISY_E10value_typeET2_T3_PNSZ_IS14_E10value_typeET4_jRbjT5_S1A_jjP12ihipStream_tbEUljE_EEESV_SW_SX_S14_S18_S1A_T6_T7_T9_mT8_S1C_bDpT10_ENKUlT_T0_E_clISt17integral_constantIbLb1EES1P_EEDaS1K_S1L_EUlS1K_E_NS1_11comp_targetILNS1_3genE10ELNS1_11target_archE1200ELNS1_3gpuE4ELNS1_3repE0EEENS1_30default_config_static_selectorELNS0_4arch9wavefront6targetE0EEEvSY_: ; @_ZN7rocprim17ROCPRIM_400000_NS6detail17trampoline_kernelINS0_13select_configILj256ELj13ELNS0_17block_load_methodE3ELS4_3ELS4_3ELNS0_20block_scan_algorithmE0ELj4294967295EEENS1_25partition_config_selectorILNS1_17partition_subalgoE3EjNS0_10empty_typeEbEEZZNS1_14partition_implILS8_3ELb0ES6_jNS0_17counting_iteratorIjlEEPS9_SE_NS0_5tupleIJPjSE_EEENSF_IJSE_SE_EEES9_SG_JZNS1_25segmented_radix_sort_implINS0_14default_configELb0EPKhPhPKlPlN2at6native12_GLOBAL__N_18offset_tEEE10hipError_tPvRmT1_PNSt15iterator_traitsISY_E10value_typeET2_T3_PNSZ_IS14_E10value_typeET4_jRbjT5_S1A_jjP12ihipStream_tbEUljE_EEESV_SW_SX_S14_S18_S1A_T6_T7_T9_mT8_S1C_bDpT10_ENKUlT_T0_E_clISt17integral_constantIbLb1EES1P_EEDaS1K_S1L_EUlS1K_E_NS1_11comp_targetILNS1_3genE10ELNS1_11target_archE1200ELNS1_3gpuE4ELNS1_3repE0EEENS1_30default_config_static_selectorELNS0_4arch9wavefront6targetE0EEEvSY_
; %bb.0:
	s_endpgm
	.section	.rodata,"a",@progbits
	.p2align	6, 0x0
	.amdhsa_kernel _ZN7rocprim17ROCPRIM_400000_NS6detail17trampoline_kernelINS0_13select_configILj256ELj13ELNS0_17block_load_methodE3ELS4_3ELS4_3ELNS0_20block_scan_algorithmE0ELj4294967295EEENS1_25partition_config_selectorILNS1_17partition_subalgoE3EjNS0_10empty_typeEbEEZZNS1_14partition_implILS8_3ELb0ES6_jNS0_17counting_iteratorIjlEEPS9_SE_NS0_5tupleIJPjSE_EEENSF_IJSE_SE_EEES9_SG_JZNS1_25segmented_radix_sort_implINS0_14default_configELb0EPKhPhPKlPlN2at6native12_GLOBAL__N_18offset_tEEE10hipError_tPvRmT1_PNSt15iterator_traitsISY_E10value_typeET2_T3_PNSZ_IS14_E10value_typeET4_jRbjT5_S1A_jjP12ihipStream_tbEUljE_EEESV_SW_SX_S14_S18_S1A_T6_T7_T9_mT8_S1C_bDpT10_ENKUlT_T0_E_clISt17integral_constantIbLb1EES1P_EEDaS1K_S1L_EUlS1K_E_NS1_11comp_targetILNS1_3genE10ELNS1_11target_archE1200ELNS1_3gpuE4ELNS1_3repE0EEENS1_30default_config_static_selectorELNS0_4arch9wavefront6targetE0EEEvSY_
		.amdhsa_group_segment_fixed_size 0
		.amdhsa_private_segment_fixed_size 0
		.amdhsa_kernarg_size 152
		.amdhsa_user_sgpr_count 2
		.amdhsa_user_sgpr_dispatch_ptr 0
		.amdhsa_user_sgpr_queue_ptr 0
		.amdhsa_user_sgpr_kernarg_segment_ptr 1
		.amdhsa_user_sgpr_dispatch_id 0
		.amdhsa_user_sgpr_private_segment_size 0
		.amdhsa_wavefront_size32 1
		.amdhsa_uses_dynamic_stack 0
		.amdhsa_enable_private_segment 0
		.amdhsa_system_sgpr_workgroup_id_x 1
		.amdhsa_system_sgpr_workgroup_id_y 0
		.amdhsa_system_sgpr_workgroup_id_z 0
		.amdhsa_system_sgpr_workgroup_info 0
		.amdhsa_system_vgpr_workitem_id 0
		.amdhsa_next_free_vgpr 1
		.amdhsa_next_free_sgpr 1
		.amdhsa_reserve_vcc 0
		.amdhsa_float_round_mode_32 0
		.amdhsa_float_round_mode_16_64 0
		.amdhsa_float_denorm_mode_32 3
		.amdhsa_float_denorm_mode_16_64 3
		.amdhsa_fp16_overflow 0
		.amdhsa_workgroup_processor_mode 1
		.amdhsa_memory_ordered 1
		.amdhsa_forward_progress 1
		.amdhsa_inst_pref_size 1
		.amdhsa_round_robin_scheduling 0
		.amdhsa_exception_fp_ieee_invalid_op 0
		.amdhsa_exception_fp_denorm_src 0
		.amdhsa_exception_fp_ieee_div_zero 0
		.amdhsa_exception_fp_ieee_overflow 0
		.amdhsa_exception_fp_ieee_underflow 0
		.amdhsa_exception_fp_ieee_inexact 0
		.amdhsa_exception_int_div_zero 0
	.end_amdhsa_kernel
	.section	.text._ZN7rocprim17ROCPRIM_400000_NS6detail17trampoline_kernelINS0_13select_configILj256ELj13ELNS0_17block_load_methodE3ELS4_3ELS4_3ELNS0_20block_scan_algorithmE0ELj4294967295EEENS1_25partition_config_selectorILNS1_17partition_subalgoE3EjNS0_10empty_typeEbEEZZNS1_14partition_implILS8_3ELb0ES6_jNS0_17counting_iteratorIjlEEPS9_SE_NS0_5tupleIJPjSE_EEENSF_IJSE_SE_EEES9_SG_JZNS1_25segmented_radix_sort_implINS0_14default_configELb0EPKhPhPKlPlN2at6native12_GLOBAL__N_18offset_tEEE10hipError_tPvRmT1_PNSt15iterator_traitsISY_E10value_typeET2_T3_PNSZ_IS14_E10value_typeET4_jRbjT5_S1A_jjP12ihipStream_tbEUljE_EEESV_SW_SX_S14_S18_S1A_T6_T7_T9_mT8_S1C_bDpT10_ENKUlT_T0_E_clISt17integral_constantIbLb1EES1P_EEDaS1K_S1L_EUlS1K_E_NS1_11comp_targetILNS1_3genE10ELNS1_11target_archE1200ELNS1_3gpuE4ELNS1_3repE0EEENS1_30default_config_static_selectorELNS0_4arch9wavefront6targetE0EEEvSY_,"axG",@progbits,_ZN7rocprim17ROCPRIM_400000_NS6detail17trampoline_kernelINS0_13select_configILj256ELj13ELNS0_17block_load_methodE3ELS4_3ELS4_3ELNS0_20block_scan_algorithmE0ELj4294967295EEENS1_25partition_config_selectorILNS1_17partition_subalgoE3EjNS0_10empty_typeEbEEZZNS1_14partition_implILS8_3ELb0ES6_jNS0_17counting_iteratorIjlEEPS9_SE_NS0_5tupleIJPjSE_EEENSF_IJSE_SE_EEES9_SG_JZNS1_25segmented_radix_sort_implINS0_14default_configELb0EPKhPhPKlPlN2at6native12_GLOBAL__N_18offset_tEEE10hipError_tPvRmT1_PNSt15iterator_traitsISY_E10value_typeET2_T3_PNSZ_IS14_E10value_typeET4_jRbjT5_S1A_jjP12ihipStream_tbEUljE_EEESV_SW_SX_S14_S18_S1A_T6_T7_T9_mT8_S1C_bDpT10_ENKUlT_T0_E_clISt17integral_constantIbLb1EES1P_EEDaS1K_S1L_EUlS1K_E_NS1_11comp_targetILNS1_3genE10ELNS1_11target_archE1200ELNS1_3gpuE4ELNS1_3repE0EEENS1_30default_config_static_selectorELNS0_4arch9wavefront6targetE0EEEvSY_,comdat
.Lfunc_end167:
	.size	_ZN7rocprim17ROCPRIM_400000_NS6detail17trampoline_kernelINS0_13select_configILj256ELj13ELNS0_17block_load_methodE3ELS4_3ELS4_3ELNS0_20block_scan_algorithmE0ELj4294967295EEENS1_25partition_config_selectorILNS1_17partition_subalgoE3EjNS0_10empty_typeEbEEZZNS1_14partition_implILS8_3ELb0ES6_jNS0_17counting_iteratorIjlEEPS9_SE_NS0_5tupleIJPjSE_EEENSF_IJSE_SE_EEES9_SG_JZNS1_25segmented_radix_sort_implINS0_14default_configELb0EPKhPhPKlPlN2at6native12_GLOBAL__N_18offset_tEEE10hipError_tPvRmT1_PNSt15iterator_traitsISY_E10value_typeET2_T3_PNSZ_IS14_E10value_typeET4_jRbjT5_S1A_jjP12ihipStream_tbEUljE_EEESV_SW_SX_S14_S18_S1A_T6_T7_T9_mT8_S1C_bDpT10_ENKUlT_T0_E_clISt17integral_constantIbLb1EES1P_EEDaS1K_S1L_EUlS1K_E_NS1_11comp_targetILNS1_3genE10ELNS1_11target_archE1200ELNS1_3gpuE4ELNS1_3repE0EEENS1_30default_config_static_selectorELNS0_4arch9wavefront6targetE0EEEvSY_, .Lfunc_end167-_ZN7rocprim17ROCPRIM_400000_NS6detail17trampoline_kernelINS0_13select_configILj256ELj13ELNS0_17block_load_methodE3ELS4_3ELS4_3ELNS0_20block_scan_algorithmE0ELj4294967295EEENS1_25partition_config_selectorILNS1_17partition_subalgoE3EjNS0_10empty_typeEbEEZZNS1_14partition_implILS8_3ELb0ES6_jNS0_17counting_iteratorIjlEEPS9_SE_NS0_5tupleIJPjSE_EEENSF_IJSE_SE_EEES9_SG_JZNS1_25segmented_radix_sort_implINS0_14default_configELb0EPKhPhPKlPlN2at6native12_GLOBAL__N_18offset_tEEE10hipError_tPvRmT1_PNSt15iterator_traitsISY_E10value_typeET2_T3_PNSZ_IS14_E10value_typeET4_jRbjT5_S1A_jjP12ihipStream_tbEUljE_EEESV_SW_SX_S14_S18_S1A_T6_T7_T9_mT8_S1C_bDpT10_ENKUlT_T0_E_clISt17integral_constantIbLb1EES1P_EEDaS1K_S1L_EUlS1K_E_NS1_11comp_targetILNS1_3genE10ELNS1_11target_archE1200ELNS1_3gpuE4ELNS1_3repE0EEENS1_30default_config_static_selectorELNS0_4arch9wavefront6targetE0EEEvSY_
                                        ; -- End function
	.set _ZN7rocprim17ROCPRIM_400000_NS6detail17trampoline_kernelINS0_13select_configILj256ELj13ELNS0_17block_load_methodE3ELS4_3ELS4_3ELNS0_20block_scan_algorithmE0ELj4294967295EEENS1_25partition_config_selectorILNS1_17partition_subalgoE3EjNS0_10empty_typeEbEEZZNS1_14partition_implILS8_3ELb0ES6_jNS0_17counting_iteratorIjlEEPS9_SE_NS0_5tupleIJPjSE_EEENSF_IJSE_SE_EEES9_SG_JZNS1_25segmented_radix_sort_implINS0_14default_configELb0EPKhPhPKlPlN2at6native12_GLOBAL__N_18offset_tEEE10hipError_tPvRmT1_PNSt15iterator_traitsISY_E10value_typeET2_T3_PNSZ_IS14_E10value_typeET4_jRbjT5_S1A_jjP12ihipStream_tbEUljE_EEESV_SW_SX_S14_S18_S1A_T6_T7_T9_mT8_S1C_bDpT10_ENKUlT_T0_E_clISt17integral_constantIbLb1EES1P_EEDaS1K_S1L_EUlS1K_E_NS1_11comp_targetILNS1_3genE10ELNS1_11target_archE1200ELNS1_3gpuE4ELNS1_3repE0EEENS1_30default_config_static_selectorELNS0_4arch9wavefront6targetE0EEEvSY_.num_vgpr, 0
	.set _ZN7rocprim17ROCPRIM_400000_NS6detail17trampoline_kernelINS0_13select_configILj256ELj13ELNS0_17block_load_methodE3ELS4_3ELS4_3ELNS0_20block_scan_algorithmE0ELj4294967295EEENS1_25partition_config_selectorILNS1_17partition_subalgoE3EjNS0_10empty_typeEbEEZZNS1_14partition_implILS8_3ELb0ES6_jNS0_17counting_iteratorIjlEEPS9_SE_NS0_5tupleIJPjSE_EEENSF_IJSE_SE_EEES9_SG_JZNS1_25segmented_radix_sort_implINS0_14default_configELb0EPKhPhPKlPlN2at6native12_GLOBAL__N_18offset_tEEE10hipError_tPvRmT1_PNSt15iterator_traitsISY_E10value_typeET2_T3_PNSZ_IS14_E10value_typeET4_jRbjT5_S1A_jjP12ihipStream_tbEUljE_EEESV_SW_SX_S14_S18_S1A_T6_T7_T9_mT8_S1C_bDpT10_ENKUlT_T0_E_clISt17integral_constantIbLb1EES1P_EEDaS1K_S1L_EUlS1K_E_NS1_11comp_targetILNS1_3genE10ELNS1_11target_archE1200ELNS1_3gpuE4ELNS1_3repE0EEENS1_30default_config_static_selectorELNS0_4arch9wavefront6targetE0EEEvSY_.num_agpr, 0
	.set _ZN7rocprim17ROCPRIM_400000_NS6detail17trampoline_kernelINS0_13select_configILj256ELj13ELNS0_17block_load_methodE3ELS4_3ELS4_3ELNS0_20block_scan_algorithmE0ELj4294967295EEENS1_25partition_config_selectorILNS1_17partition_subalgoE3EjNS0_10empty_typeEbEEZZNS1_14partition_implILS8_3ELb0ES6_jNS0_17counting_iteratorIjlEEPS9_SE_NS0_5tupleIJPjSE_EEENSF_IJSE_SE_EEES9_SG_JZNS1_25segmented_radix_sort_implINS0_14default_configELb0EPKhPhPKlPlN2at6native12_GLOBAL__N_18offset_tEEE10hipError_tPvRmT1_PNSt15iterator_traitsISY_E10value_typeET2_T3_PNSZ_IS14_E10value_typeET4_jRbjT5_S1A_jjP12ihipStream_tbEUljE_EEESV_SW_SX_S14_S18_S1A_T6_T7_T9_mT8_S1C_bDpT10_ENKUlT_T0_E_clISt17integral_constantIbLb1EES1P_EEDaS1K_S1L_EUlS1K_E_NS1_11comp_targetILNS1_3genE10ELNS1_11target_archE1200ELNS1_3gpuE4ELNS1_3repE0EEENS1_30default_config_static_selectorELNS0_4arch9wavefront6targetE0EEEvSY_.numbered_sgpr, 0
	.set _ZN7rocprim17ROCPRIM_400000_NS6detail17trampoline_kernelINS0_13select_configILj256ELj13ELNS0_17block_load_methodE3ELS4_3ELS4_3ELNS0_20block_scan_algorithmE0ELj4294967295EEENS1_25partition_config_selectorILNS1_17partition_subalgoE3EjNS0_10empty_typeEbEEZZNS1_14partition_implILS8_3ELb0ES6_jNS0_17counting_iteratorIjlEEPS9_SE_NS0_5tupleIJPjSE_EEENSF_IJSE_SE_EEES9_SG_JZNS1_25segmented_radix_sort_implINS0_14default_configELb0EPKhPhPKlPlN2at6native12_GLOBAL__N_18offset_tEEE10hipError_tPvRmT1_PNSt15iterator_traitsISY_E10value_typeET2_T3_PNSZ_IS14_E10value_typeET4_jRbjT5_S1A_jjP12ihipStream_tbEUljE_EEESV_SW_SX_S14_S18_S1A_T6_T7_T9_mT8_S1C_bDpT10_ENKUlT_T0_E_clISt17integral_constantIbLb1EES1P_EEDaS1K_S1L_EUlS1K_E_NS1_11comp_targetILNS1_3genE10ELNS1_11target_archE1200ELNS1_3gpuE4ELNS1_3repE0EEENS1_30default_config_static_selectorELNS0_4arch9wavefront6targetE0EEEvSY_.num_named_barrier, 0
	.set _ZN7rocprim17ROCPRIM_400000_NS6detail17trampoline_kernelINS0_13select_configILj256ELj13ELNS0_17block_load_methodE3ELS4_3ELS4_3ELNS0_20block_scan_algorithmE0ELj4294967295EEENS1_25partition_config_selectorILNS1_17partition_subalgoE3EjNS0_10empty_typeEbEEZZNS1_14partition_implILS8_3ELb0ES6_jNS0_17counting_iteratorIjlEEPS9_SE_NS0_5tupleIJPjSE_EEENSF_IJSE_SE_EEES9_SG_JZNS1_25segmented_radix_sort_implINS0_14default_configELb0EPKhPhPKlPlN2at6native12_GLOBAL__N_18offset_tEEE10hipError_tPvRmT1_PNSt15iterator_traitsISY_E10value_typeET2_T3_PNSZ_IS14_E10value_typeET4_jRbjT5_S1A_jjP12ihipStream_tbEUljE_EEESV_SW_SX_S14_S18_S1A_T6_T7_T9_mT8_S1C_bDpT10_ENKUlT_T0_E_clISt17integral_constantIbLb1EES1P_EEDaS1K_S1L_EUlS1K_E_NS1_11comp_targetILNS1_3genE10ELNS1_11target_archE1200ELNS1_3gpuE4ELNS1_3repE0EEENS1_30default_config_static_selectorELNS0_4arch9wavefront6targetE0EEEvSY_.private_seg_size, 0
	.set _ZN7rocprim17ROCPRIM_400000_NS6detail17trampoline_kernelINS0_13select_configILj256ELj13ELNS0_17block_load_methodE3ELS4_3ELS4_3ELNS0_20block_scan_algorithmE0ELj4294967295EEENS1_25partition_config_selectorILNS1_17partition_subalgoE3EjNS0_10empty_typeEbEEZZNS1_14partition_implILS8_3ELb0ES6_jNS0_17counting_iteratorIjlEEPS9_SE_NS0_5tupleIJPjSE_EEENSF_IJSE_SE_EEES9_SG_JZNS1_25segmented_radix_sort_implINS0_14default_configELb0EPKhPhPKlPlN2at6native12_GLOBAL__N_18offset_tEEE10hipError_tPvRmT1_PNSt15iterator_traitsISY_E10value_typeET2_T3_PNSZ_IS14_E10value_typeET4_jRbjT5_S1A_jjP12ihipStream_tbEUljE_EEESV_SW_SX_S14_S18_S1A_T6_T7_T9_mT8_S1C_bDpT10_ENKUlT_T0_E_clISt17integral_constantIbLb1EES1P_EEDaS1K_S1L_EUlS1K_E_NS1_11comp_targetILNS1_3genE10ELNS1_11target_archE1200ELNS1_3gpuE4ELNS1_3repE0EEENS1_30default_config_static_selectorELNS0_4arch9wavefront6targetE0EEEvSY_.uses_vcc, 0
	.set _ZN7rocprim17ROCPRIM_400000_NS6detail17trampoline_kernelINS0_13select_configILj256ELj13ELNS0_17block_load_methodE3ELS4_3ELS4_3ELNS0_20block_scan_algorithmE0ELj4294967295EEENS1_25partition_config_selectorILNS1_17partition_subalgoE3EjNS0_10empty_typeEbEEZZNS1_14partition_implILS8_3ELb0ES6_jNS0_17counting_iteratorIjlEEPS9_SE_NS0_5tupleIJPjSE_EEENSF_IJSE_SE_EEES9_SG_JZNS1_25segmented_radix_sort_implINS0_14default_configELb0EPKhPhPKlPlN2at6native12_GLOBAL__N_18offset_tEEE10hipError_tPvRmT1_PNSt15iterator_traitsISY_E10value_typeET2_T3_PNSZ_IS14_E10value_typeET4_jRbjT5_S1A_jjP12ihipStream_tbEUljE_EEESV_SW_SX_S14_S18_S1A_T6_T7_T9_mT8_S1C_bDpT10_ENKUlT_T0_E_clISt17integral_constantIbLb1EES1P_EEDaS1K_S1L_EUlS1K_E_NS1_11comp_targetILNS1_3genE10ELNS1_11target_archE1200ELNS1_3gpuE4ELNS1_3repE0EEENS1_30default_config_static_selectorELNS0_4arch9wavefront6targetE0EEEvSY_.uses_flat_scratch, 0
	.set _ZN7rocprim17ROCPRIM_400000_NS6detail17trampoline_kernelINS0_13select_configILj256ELj13ELNS0_17block_load_methodE3ELS4_3ELS4_3ELNS0_20block_scan_algorithmE0ELj4294967295EEENS1_25partition_config_selectorILNS1_17partition_subalgoE3EjNS0_10empty_typeEbEEZZNS1_14partition_implILS8_3ELb0ES6_jNS0_17counting_iteratorIjlEEPS9_SE_NS0_5tupleIJPjSE_EEENSF_IJSE_SE_EEES9_SG_JZNS1_25segmented_radix_sort_implINS0_14default_configELb0EPKhPhPKlPlN2at6native12_GLOBAL__N_18offset_tEEE10hipError_tPvRmT1_PNSt15iterator_traitsISY_E10value_typeET2_T3_PNSZ_IS14_E10value_typeET4_jRbjT5_S1A_jjP12ihipStream_tbEUljE_EEESV_SW_SX_S14_S18_S1A_T6_T7_T9_mT8_S1C_bDpT10_ENKUlT_T0_E_clISt17integral_constantIbLb1EES1P_EEDaS1K_S1L_EUlS1K_E_NS1_11comp_targetILNS1_3genE10ELNS1_11target_archE1200ELNS1_3gpuE4ELNS1_3repE0EEENS1_30default_config_static_selectorELNS0_4arch9wavefront6targetE0EEEvSY_.has_dyn_sized_stack, 0
	.set _ZN7rocprim17ROCPRIM_400000_NS6detail17trampoline_kernelINS0_13select_configILj256ELj13ELNS0_17block_load_methodE3ELS4_3ELS4_3ELNS0_20block_scan_algorithmE0ELj4294967295EEENS1_25partition_config_selectorILNS1_17partition_subalgoE3EjNS0_10empty_typeEbEEZZNS1_14partition_implILS8_3ELb0ES6_jNS0_17counting_iteratorIjlEEPS9_SE_NS0_5tupleIJPjSE_EEENSF_IJSE_SE_EEES9_SG_JZNS1_25segmented_radix_sort_implINS0_14default_configELb0EPKhPhPKlPlN2at6native12_GLOBAL__N_18offset_tEEE10hipError_tPvRmT1_PNSt15iterator_traitsISY_E10value_typeET2_T3_PNSZ_IS14_E10value_typeET4_jRbjT5_S1A_jjP12ihipStream_tbEUljE_EEESV_SW_SX_S14_S18_S1A_T6_T7_T9_mT8_S1C_bDpT10_ENKUlT_T0_E_clISt17integral_constantIbLb1EES1P_EEDaS1K_S1L_EUlS1K_E_NS1_11comp_targetILNS1_3genE10ELNS1_11target_archE1200ELNS1_3gpuE4ELNS1_3repE0EEENS1_30default_config_static_selectorELNS0_4arch9wavefront6targetE0EEEvSY_.has_recursion, 0
	.set _ZN7rocprim17ROCPRIM_400000_NS6detail17trampoline_kernelINS0_13select_configILj256ELj13ELNS0_17block_load_methodE3ELS4_3ELS4_3ELNS0_20block_scan_algorithmE0ELj4294967295EEENS1_25partition_config_selectorILNS1_17partition_subalgoE3EjNS0_10empty_typeEbEEZZNS1_14partition_implILS8_3ELb0ES6_jNS0_17counting_iteratorIjlEEPS9_SE_NS0_5tupleIJPjSE_EEENSF_IJSE_SE_EEES9_SG_JZNS1_25segmented_radix_sort_implINS0_14default_configELb0EPKhPhPKlPlN2at6native12_GLOBAL__N_18offset_tEEE10hipError_tPvRmT1_PNSt15iterator_traitsISY_E10value_typeET2_T3_PNSZ_IS14_E10value_typeET4_jRbjT5_S1A_jjP12ihipStream_tbEUljE_EEESV_SW_SX_S14_S18_S1A_T6_T7_T9_mT8_S1C_bDpT10_ENKUlT_T0_E_clISt17integral_constantIbLb1EES1P_EEDaS1K_S1L_EUlS1K_E_NS1_11comp_targetILNS1_3genE10ELNS1_11target_archE1200ELNS1_3gpuE4ELNS1_3repE0EEENS1_30default_config_static_selectorELNS0_4arch9wavefront6targetE0EEEvSY_.has_indirect_call, 0
	.section	.AMDGPU.csdata,"",@progbits
; Kernel info:
; codeLenInByte = 4
; TotalNumSgprs: 0
; NumVgprs: 0
; ScratchSize: 0
; MemoryBound: 0
; FloatMode: 240
; IeeeMode: 1
; LDSByteSize: 0 bytes/workgroup (compile time only)
; SGPRBlocks: 0
; VGPRBlocks: 0
; NumSGPRsForWavesPerEU: 1
; NumVGPRsForWavesPerEU: 1
; Occupancy: 16
; WaveLimiterHint : 0
; COMPUTE_PGM_RSRC2:SCRATCH_EN: 0
; COMPUTE_PGM_RSRC2:USER_SGPR: 2
; COMPUTE_PGM_RSRC2:TRAP_HANDLER: 0
; COMPUTE_PGM_RSRC2:TGID_X_EN: 1
; COMPUTE_PGM_RSRC2:TGID_Y_EN: 0
; COMPUTE_PGM_RSRC2:TGID_Z_EN: 0
; COMPUTE_PGM_RSRC2:TIDIG_COMP_CNT: 0
	.section	.text._ZN7rocprim17ROCPRIM_400000_NS6detail17trampoline_kernelINS0_13select_configILj256ELj13ELNS0_17block_load_methodE3ELS4_3ELS4_3ELNS0_20block_scan_algorithmE0ELj4294967295EEENS1_25partition_config_selectorILNS1_17partition_subalgoE3EjNS0_10empty_typeEbEEZZNS1_14partition_implILS8_3ELb0ES6_jNS0_17counting_iteratorIjlEEPS9_SE_NS0_5tupleIJPjSE_EEENSF_IJSE_SE_EEES9_SG_JZNS1_25segmented_radix_sort_implINS0_14default_configELb0EPKhPhPKlPlN2at6native12_GLOBAL__N_18offset_tEEE10hipError_tPvRmT1_PNSt15iterator_traitsISY_E10value_typeET2_T3_PNSZ_IS14_E10value_typeET4_jRbjT5_S1A_jjP12ihipStream_tbEUljE_EEESV_SW_SX_S14_S18_S1A_T6_T7_T9_mT8_S1C_bDpT10_ENKUlT_T0_E_clISt17integral_constantIbLb1EES1P_EEDaS1K_S1L_EUlS1K_E_NS1_11comp_targetILNS1_3genE9ELNS1_11target_archE1100ELNS1_3gpuE3ELNS1_3repE0EEENS1_30default_config_static_selectorELNS0_4arch9wavefront6targetE0EEEvSY_,"axG",@progbits,_ZN7rocprim17ROCPRIM_400000_NS6detail17trampoline_kernelINS0_13select_configILj256ELj13ELNS0_17block_load_methodE3ELS4_3ELS4_3ELNS0_20block_scan_algorithmE0ELj4294967295EEENS1_25partition_config_selectorILNS1_17partition_subalgoE3EjNS0_10empty_typeEbEEZZNS1_14partition_implILS8_3ELb0ES6_jNS0_17counting_iteratorIjlEEPS9_SE_NS0_5tupleIJPjSE_EEENSF_IJSE_SE_EEES9_SG_JZNS1_25segmented_radix_sort_implINS0_14default_configELb0EPKhPhPKlPlN2at6native12_GLOBAL__N_18offset_tEEE10hipError_tPvRmT1_PNSt15iterator_traitsISY_E10value_typeET2_T3_PNSZ_IS14_E10value_typeET4_jRbjT5_S1A_jjP12ihipStream_tbEUljE_EEESV_SW_SX_S14_S18_S1A_T6_T7_T9_mT8_S1C_bDpT10_ENKUlT_T0_E_clISt17integral_constantIbLb1EES1P_EEDaS1K_S1L_EUlS1K_E_NS1_11comp_targetILNS1_3genE9ELNS1_11target_archE1100ELNS1_3gpuE3ELNS1_3repE0EEENS1_30default_config_static_selectorELNS0_4arch9wavefront6targetE0EEEvSY_,comdat
	.globl	_ZN7rocprim17ROCPRIM_400000_NS6detail17trampoline_kernelINS0_13select_configILj256ELj13ELNS0_17block_load_methodE3ELS4_3ELS4_3ELNS0_20block_scan_algorithmE0ELj4294967295EEENS1_25partition_config_selectorILNS1_17partition_subalgoE3EjNS0_10empty_typeEbEEZZNS1_14partition_implILS8_3ELb0ES6_jNS0_17counting_iteratorIjlEEPS9_SE_NS0_5tupleIJPjSE_EEENSF_IJSE_SE_EEES9_SG_JZNS1_25segmented_radix_sort_implINS0_14default_configELb0EPKhPhPKlPlN2at6native12_GLOBAL__N_18offset_tEEE10hipError_tPvRmT1_PNSt15iterator_traitsISY_E10value_typeET2_T3_PNSZ_IS14_E10value_typeET4_jRbjT5_S1A_jjP12ihipStream_tbEUljE_EEESV_SW_SX_S14_S18_S1A_T6_T7_T9_mT8_S1C_bDpT10_ENKUlT_T0_E_clISt17integral_constantIbLb1EES1P_EEDaS1K_S1L_EUlS1K_E_NS1_11comp_targetILNS1_3genE9ELNS1_11target_archE1100ELNS1_3gpuE3ELNS1_3repE0EEENS1_30default_config_static_selectorELNS0_4arch9wavefront6targetE0EEEvSY_ ; -- Begin function _ZN7rocprim17ROCPRIM_400000_NS6detail17trampoline_kernelINS0_13select_configILj256ELj13ELNS0_17block_load_methodE3ELS4_3ELS4_3ELNS0_20block_scan_algorithmE0ELj4294967295EEENS1_25partition_config_selectorILNS1_17partition_subalgoE3EjNS0_10empty_typeEbEEZZNS1_14partition_implILS8_3ELb0ES6_jNS0_17counting_iteratorIjlEEPS9_SE_NS0_5tupleIJPjSE_EEENSF_IJSE_SE_EEES9_SG_JZNS1_25segmented_radix_sort_implINS0_14default_configELb0EPKhPhPKlPlN2at6native12_GLOBAL__N_18offset_tEEE10hipError_tPvRmT1_PNSt15iterator_traitsISY_E10value_typeET2_T3_PNSZ_IS14_E10value_typeET4_jRbjT5_S1A_jjP12ihipStream_tbEUljE_EEESV_SW_SX_S14_S18_S1A_T6_T7_T9_mT8_S1C_bDpT10_ENKUlT_T0_E_clISt17integral_constantIbLb1EES1P_EEDaS1K_S1L_EUlS1K_E_NS1_11comp_targetILNS1_3genE9ELNS1_11target_archE1100ELNS1_3gpuE3ELNS1_3repE0EEENS1_30default_config_static_selectorELNS0_4arch9wavefront6targetE0EEEvSY_
	.p2align	8
	.type	_ZN7rocprim17ROCPRIM_400000_NS6detail17trampoline_kernelINS0_13select_configILj256ELj13ELNS0_17block_load_methodE3ELS4_3ELS4_3ELNS0_20block_scan_algorithmE0ELj4294967295EEENS1_25partition_config_selectorILNS1_17partition_subalgoE3EjNS0_10empty_typeEbEEZZNS1_14partition_implILS8_3ELb0ES6_jNS0_17counting_iteratorIjlEEPS9_SE_NS0_5tupleIJPjSE_EEENSF_IJSE_SE_EEES9_SG_JZNS1_25segmented_radix_sort_implINS0_14default_configELb0EPKhPhPKlPlN2at6native12_GLOBAL__N_18offset_tEEE10hipError_tPvRmT1_PNSt15iterator_traitsISY_E10value_typeET2_T3_PNSZ_IS14_E10value_typeET4_jRbjT5_S1A_jjP12ihipStream_tbEUljE_EEESV_SW_SX_S14_S18_S1A_T6_T7_T9_mT8_S1C_bDpT10_ENKUlT_T0_E_clISt17integral_constantIbLb1EES1P_EEDaS1K_S1L_EUlS1K_E_NS1_11comp_targetILNS1_3genE9ELNS1_11target_archE1100ELNS1_3gpuE3ELNS1_3repE0EEENS1_30default_config_static_selectorELNS0_4arch9wavefront6targetE0EEEvSY_,@function
_ZN7rocprim17ROCPRIM_400000_NS6detail17trampoline_kernelINS0_13select_configILj256ELj13ELNS0_17block_load_methodE3ELS4_3ELS4_3ELNS0_20block_scan_algorithmE0ELj4294967295EEENS1_25partition_config_selectorILNS1_17partition_subalgoE3EjNS0_10empty_typeEbEEZZNS1_14partition_implILS8_3ELb0ES6_jNS0_17counting_iteratorIjlEEPS9_SE_NS0_5tupleIJPjSE_EEENSF_IJSE_SE_EEES9_SG_JZNS1_25segmented_radix_sort_implINS0_14default_configELb0EPKhPhPKlPlN2at6native12_GLOBAL__N_18offset_tEEE10hipError_tPvRmT1_PNSt15iterator_traitsISY_E10value_typeET2_T3_PNSZ_IS14_E10value_typeET4_jRbjT5_S1A_jjP12ihipStream_tbEUljE_EEESV_SW_SX_S14_S18_S1A_T6_T7_T9_mT8_S1C_bDpT10_ENKUlT_T0_E_clISt17integral_constantIbLb1EES1P_EEDaS1K_S1L_EUlS1K_E_NS1_11comp_targetILNS1_3genE9ELNS1_11target_archE1100ELNS1_3gpuE3ELNS1_3repE0EEENS1_30default_config_static_selectorELNS0_4arch9wavefront6targetE0EEEvSY_: ; @_ZN7rocprim17ROCPRIM_400000_NS6detail17trampoline_kernelINS0_13select_configILj256ELj13ELNS0_17block_load_methodE3ELS4_3ELS4_3ELNS0_20block_scan_algorithmE0ELj4294967295EEENS1_25partition_config_selectorILNS1_17partition_subalgoE3EjNS0_10empty_typeEbEEZZNS1_14partition_implILS8_3ELb0ES6_jNS0_17counting_iteratorIjlEEPS9_SE_NS0_5tupleIJPjSE_EEENSF_IJSE_SE_EEES9_SG_JZNS1_25segmented_radix_sort_implINS0_14default_configELb0EPKhPhPKlPlN2at6native12_GLOBAL__N_18offset_tEEE10hipError_tPvRmT1_PNSt15iterator_traitsISY_E10value_typeET2_T3_PNSZ_IS14_E10value_typeET4_jRbjT5_S1A_jjP12ihipStream_tbEUljE_EEESV_SW_SX_S14_S18_S1A_T6_T7_T9_mT8_S1C_bDpT10_ENKUlT_T0_E_clISt17integral_constantIbLb1EES1P_EEDaS1K_S1L_EUlS1K_E_NS1_11comp_targetILNS1_3genE9ELNS1_11target_archE1100ELNS1_3gpuE3ELNS1_3repE0EEENS1_30default_config_static_selectorELNS0_4arch9wavefront6targetE0EEEvSY_
; %bb.0:
	.section	.rodata,"a",@progbits
	.p2align	6, 0x0
	.amdhsa_kernel _ZN7rocprim17ROCPRIM_400000_NS6detail17trampoline_kernelINS0_13select_configILj256ELj13ELNS0_17block_load_methodE3ELS4_3ELS4_3ELNS0_20block_scan_algorithmE0ELj4294967295EEENS1_25partition_config_selectorILNS1_17partition_subalgoE3EjNS0_10empty_typeEbEEZZNS1_14partition_implILS8_3ELb0ES6_jNS0_17counting_iteratorIjlEEPS9_SE_NS0_5tupleIJPjSE_EEENSF_IJSE_SE_EEES9_SG_JZNS1_25segmented_radix_sort_implINS0_14default_configELb0EPKhPhPKlPlN2at6native12_GLOBAL__N_18offset_tEEE10hipError_tPvRmT1_PNSt15iterator_traitsISY_E10value_typeET2_T3_PNSZ_IS14_E10value_typeET4_jRbjT5_S1A_jjP12ihipStream_tbEUljE_EEESV_SW_SX_S14_S18_S1A_T6_T7_T9_mT8_S1C_bDpT10_ENKUlT_T0_E_clISt17integral_constantIbLb1EES1P_EEDaS1K_S1L_EUlS1K_E_NS1_11comp_targetILNS1_3genE9ELNS1_11target_archE1100ELNS1_3gpuE3ELNS1_3repE0EEENS1_30default_config_static_selectorELNS0_4arch9wavefront6targetE0EEEvSY_
		.amdhsa_group_segment_fixed_size 0
		.amdhsa_private_segment_fixed_size 0
		.amdhsa_kernarg_size 152
		.amdhsa_user_sgpr_count 2
		.amdhsa_user_sgpr_dispatch_ptr 0
		.amdhsa_user_sgpr_queue_ptr 0
		.amdhsa_user_sgpr_kernarg_segment_ptr 1
		.amdhsa_user_sgpr_dispatch_id 0
		.amdhsa_user_sgpr_private_segment_size 0
		.amdhsa_wavefront_size32 1
		.amdhsa_uses_dynamic_stack 0
		.amdhsa_enable_private_segment 0
		.amdhsa_system_sgpr_workgroup_id_x 1
		.amdhsa_system_sgpr_workgroup_id_y 0
		.amdhsa_system_sgpr_workgroup_id_z 0
		.amdhsa_system_sgpr_workgroup_info 0
		.amdhsa_system_vgpr_workitem_id 0
		.amdhsa_next_free_vgpr 1
		.amdhsa_next_free_sgpr 1
		.amdhsa_reserve_vcc 0
		.amdhsa_float_round_mode_32 0
		.amdhsa_float_round_mode_16_64 0
		.amdhsa_float_denorm_mode_32 3
		.amdhsa_float_denorm_mode_16_64 3
		.amdhsa_fp16_overflow 0
		.amdhsa_workgroup_processor_mode 1
		.amdhsa_memory_ordered 1
		.amdhsa_forward_progress 1
		.amdhsa_inst_pref_size 0
		.amdhsa_round_robin_scheduling 0
		.amdhsa_exception_fp_ieee_invalid_op 0
		.amdhsa_exception_fp_denorm_src 0
		.amdhsa_exception_fp_ieee_div_zero 0
		.amdhsa_exception_fp_ieee_overflow 0
		.amdhsa_exception_fp_ieee_underflow 0
		.amdhsa_exception_fp_ieee_inexact 0
		.amdhsa_exception_int_div_zero 0
	.end_amdhsa_kernel
	.section	.text._ZN7rocprim17ROCPRIM_400000_NS6detail17trampoline_kernelINS0_13select_configILj256ELj13ELNS0_17block_load_methodE3ELS4_3ELS4_3ELNS0_20block_scan_algorithmE0ELj4294967295EEENS1_25partition_config_selectorILNS1_17partition_subalgoE3EjNS0_10empty_typeEbEEZZNS1_14partition_implILS8_3ELb0ES6_jNS0_17counting_iteratorIjlEEPS9_SE_NS0_5tupleIJPjSE_EEENSF_IJSE_SE_EEES9_SG_JZNS1_25segmented_radix_sort_implINS0_14default_configELb0EPKhPhPKlPlN2at6native12_GLOBAL__N_18offset_tEEE10hipError_tPvRmT1_PNSt15iterator_traitsISY_E10value_typeET2_T3_PNSZ_IS14_E10value_typeET4_jRbjT5_S1A_jjP12ihipStream_tbEUljE_EEESV_SW_SX_S14_S18_S1A_T6_T7_T9_mT8_S1C_bDpT10_ENKUlT_T0_E_clISt17integral_constantIbLb1EES1P_EEDaS1K_S1L_EUlS1K_E_NS1_11comp_targetILNS1_3genE9ELNS1_11target_archE1100ELNS1_3gpuE3ELNS1_3repE0EEENS1_30default_config_static_selectorELNS0_4arch9wavefront6targetE0EEEvSY_,"axG",@progbits,_ZN7rocprim17ROCPRIM_400000_NS6detail17trampoline_kernelINS0_13select_configILj256ELj13ELNS0_17block_load_methodE3ELS4_3ELS4_3ELNS0_20block_scan_algorithmE0ELj4294967295EEENS1_25partition_config_selectorILNS1_17partition_subalgoE3EjNS0_10empty_typeEbEEZZNS1_14partition_implILS8_3ELb0ES6_jNS0_17counting_iteratorIjlEEPS9_SE_NS0_5tupleIJPjSE_EEENSF_IJSE_SE_EEES9_SG_JZNS1_25segmented_radix_sort_implINS0_14default_configELb0EPKhPhPKlPlN2at6native12_GLOBAL__N_18offset_tEEE10hipError_tPvRmT1_PNSt15iterator_traitsISY_E10value_typeET2_T3_PNSZ_IS14_E10value_typeET4_jRbjT5_S1A_jjP12ihipStream_tbEUljE_EEESV_SW_SX_S14_S18_S1A_T6_T7_T9_mT8_S1C_bDpT10_ENKUlT_T0_E_clISt17integral_constantIbLb1EES1P_EEDaS1K_S1L_EUlS1K_E_NS1_11comp_targetILNS1_3genE9ELNS1_11target_archE1100ELNS1_3gpuE3ELNS1_3repE0EEENS1_30default_config_static_selectorELNS0_4arch9wavefront6targetE0EEEvSY_,comdat
.Lfunc_end168:
	.size	_ZN7rocprim17ROCPRIM_400000_NS6detail17trampoline_kernelINS0_13select_configILj256ELj13ELNS0_17block_load_methodE3ELS4_3ELS4_3ELNS0_20block_scan_algorithmE0ELj4294967295EEENS1_25partition_config_selectorILNS1_17partition_subalgoE3EjNS0_10empty_typeEbEEZZNS1_14partition_implILS8_3ELb0ES6_jNS0_17counting_iteratorIjlEEPS9_SE_NS0_5tupleIJPjSE_EEENSF_IJSE_SE_EEES9_SG_JZNS1_25segmented_radix_sort_implINS0_14default_configELb0EPKhPhPKlPlN2at6native12_GLOBAL__N_18offset_tEEE10hipError_tPvRmT1_PNSt15iterator_traitsISY_E10value_typeET2_T3_PNSZ_IS14_E10value_typeET4_jRbjT5_S1A_jjP12ihipStream_tbEUljE_EEESV_SW_SX_S14_S18_S1A_T6_T7_T9_mT8_S1C_bDpT10_ENKUlT_T0_E_clISt17integral_constantIbLb1EES1P_EEDaS1K_S1L_EUlS1K_E_NS1_11comp_targetILNS1_3genE9ELNS1_11target_archE1100ELNS1_3gpuE3ELNS1_3repE0EEENS1_30default_config_static_selectorELNS0_4arch9wavefront6targetE0EEEvSY_, .Lfunc_end168-_ZN7rocprim17ROCPRIM_400000_NS6detail17trampoline_kernelINS0_13select_configILj256ELj13ELNS0_17block_load_methodE3ELS4_3ELS4_3ELNS0_20block_scan_algorithmE0ELj4294967295EEENS1_25partition_config_selectorILNS1_17partition_subalgoE3EjNS0_10empty_typeEbEEZZNS1_14partition_implILS8_3ELb0ES6_jNS0_17counting_iteratorIjlEEPS9_SE_NS0_5tupleIJPjSE_EEENSF_IJSE_SE_EEES9_SG_JZNS1_25segmented_radix_sort_implINS0_14default_configELb0EPKhPhPKlPlN2at6native12_GLOBAL__N_18offset_tEEE10hipError_tPvRmT1_PNSt15iterator_traitsISY_E10value_typeET2_T3_PNSZ_IS14_E10value_typeET4_jRbjT5_S1A_jjP12ihipStream_tbEUljE_EEESV_SW_SX_S14_S18_S1A_T6_T7_T9_mT8_S1C_bDpT10_ENKUlT_T0_E_clISt17integral_constantIbLb1EES1P_EEDaS1K_S1L_EUlS1K_E_NS1_11comp_targetILNS1_3genE9ELNS1_11target_archE1100ELNS1_3gpuE3ELNS1_3repE0EEENS1_30default_config_static_selectorELNS0_4arch9wavefront6targetE0EEEvSY_
                                        ; -- End function
	.set _ZN7rocprim17ROCPRIM_400000_NS6detail17trampoline_kernelINS0_13select_configILj256ELj13ELNS0_17block_load_methodE3ELS4_3ELS4_3ELNS0_20block_scan_algorithmE0ELj4294967295EEENS1_25partition_config_selectorILNS1_17partition_subalgoE3EjNS0_10empty_typeEbEEZZNS1_14partition_implILS8_3ELb0ES6_jNS0_17counting_iteratorIjlEEPS9_SE_NS0_5tupleIJPjSE_EEENSF_IJSE_SE_EEES9_SG_JZNS1_25segmented_radix_sort_implINS0_14default_configELb0EPKhPhPKlPlN2at6native12_GLOBAL__N_18offset_tEEE10hipError_tPvRmT1_PNSt15iterator_traitsISY_E10value_typeET2_T3_PNSZ_IS14_E10value_typeET4_jRbjT5_S1A_jjP12ihipStream_tbEUljE_EEESV_SW_SX_S14_S18_S1A_T6_T7_T9_mT8_S1C_bDpT10_ENKUlT_T0_E_clISt17integral_constantIbLb1EES1P_EEDaS1K_S1L_EUlS1K_E_NS1_11comp_targetILNS1_3genE9ELNS1_11target_archE1100ELNS1_3gpuE3ELNS1_3repE0EEENS1_30default_config_static_selectorELNS0_4arch9wavefront6targetE0EEEvSY_.num_vgpr, 0
	.set _ZN7rocprim17ROCPRIM_400000_NS6detail17trampoline_kernelINS0_13select_configILj256ELj13ELNS0_17block_load_methodE3ELS4_3ELS4_3ELNS0_20block_scan_algorithmE0ELj4294967295EEENS1_25partition_config_selectorILNS1_17partition_subalgoE3EjNS0_10empty_typeEbEEZZNS1_14partition_implILS8_3ELb0ES6_jNS0_17counting_iteratorIjlEEPS9_SE_NS0_5tupleIJPjSE_EEENSF_IJSE_SE_EEES9_SG_JZNS1_25segmented_radix_sort_implINS0_14default_configELb0EPKhPhPKlPlN2at6native12_GLOBAL__N_18offset_tEEE10hipError_tPvRmT1_PNSt15iterator_traitsISY_E10value_typeET2_T3_PNSZ_IS14_E10value_typeET4_jRbjT5_S1A_jjP12ihipStream_tbEUljE_EEESV_SW_SX_S14_S18_S1A_T6_T7_T9_mT8_S1C_bDpT10_ENKUlT_T0_E_clISt17integral_constantIbLb1EES1P_EEDaS1K_S1L_EUlS1K_E_NS1_11comp_targetILNS1_3genE9ELNS1_11target_archE1100ELNS1_3gpuE3ELNS1_3repE0EEENS1_30default_config_static_selectorELNS0_4arch9wavefront6targetE0EEEvSY_.num_agpr, 0
	.set _ZN7rocprim17ROCPRIM_400000_NS6detail17trampoline_kernelINS0_13select_configILj256ELj13ELNS0_17block_load_methodE3ELS4_3ELS4_3ELNS0_20block_scan_algorithmE0ELj4294967295EEENS1_25partition_config_selectorILNS1_17partition_subalgoE3EjNS0_10empty_typeEbEEZZNS1_14partition_implILS8_3ELb0ES6_jNS0_17counting_iteratorIjlEEPS9_SE_NS0_5tupleIJPjSE_EEENSF_IJSE_SE_EEES9_SG_JZNS1_25segmented_radix_sort_implINS0_14default_configELb0EPKhPhPKlPlN2at6native12_GLOBAL__N_18offset_tEEE10hipError_tPvRmT1_PNSt15iterator_traitsISY_E10value_typeET2_T3_PNSZ_IS14_E10value_typeET4_jRbjT5_S1A_jjP12ihipStream_tbEUljE_EEESV_SW_SX_S14_S18_S1A_T6_T7_T9_mT8_S1C_bDpT10_ENKUlT_T0_E_clISt17integral_constantIbLb1EES1P_EEDaS1K_S1L_EUlS1K_E_NS1_11comp_targetILNS1_3genE9ELNS1_11target_archE1100ELNS1_3gpuE3ELNS1_3repE0EEENS1_30default_config_static_selectorELNS0_4arch9wavefront6targetE0EEEvSY_.numbered_sgpr, 0
	.set _ZN7rocprim17ROCPRIM_400000_NS6detail17trampoline_kernelINS0_13select_configILj256ELj13ELNS0_17block_load_methodE3ELS4_3ELS4_3ELNS0_20block_scan_algorithmE0ELj4294967295EEENS1_25partition_config_selectorILNS1_17partition_subalgoE3EjNS0_10empty_typeEbEEZZNS1_14partition_implILS8_3ELb0ES6_jNS0_17counting_iteratorIjlEEPS9_SE_NS0_5tupleIJPjSE_EEENSF_IJSE_SE_EEES9_SG_JZNS1_25segmented_radix_sort_implINS0_14default_configELb0EPKhPhPKlPlN2at6native12_GLOBAL__N_18offset_tEEE10hipError_tPvRmT1_PNSt15iterator_traitsISY_E10value_typeET2_T3_PNSZ_IS14_E10value_typeET4_jRbjT5_S1A_jjP12ihipStream_tbEUljE_EEESV_SW_SX_S14_S18_S1A_T6_T7_T9_mT8_S1C_bDpT10_ENKUlT_T0_E_clISt17integral_constantIbLb1EES1P_EEDaS1K_S1L_EUlS1K_E_NS1_11comp_targetILNS1_3genE9ELNS1_11target_archE1100ELNS1_3gpuE3ELNS1_3repE0EEENS1_30default_config_static_selectorELNS0_4arch9wavefront6targetE0EEEvSY_.num_named_barrier, 0
	.set _ZN7rocprim17ROCPRIM_400000_NS6detail17trampoline_kernelINS0_13select_configILj256ELj13ELNS0_17block_load_methodE3ELS4_3ELS4_3ELNS0_20block_scan_algorithmE0ELj4294967295EEENS1_25partition_config_selectorILNS1_17partition_subalgoE3EjNS0_10empty_typeEbEEZZNS1_14partition_implILS8_3ELb0ES6_jNS0_17counting_iteratorIjlEEPS9_SE_NS0_5tupleIJPjSE_EEENSF_IJSE_SE_EEES9_SG_JZNS1_25segmented_radix_sort_implINS0_14default_configELb0EPKhPhPKlPlN2at6native12_GLOBAL__N_18offset_tEEE10hipError_tPvRmT1_PNSt15iterator_traitsISY_E10value_typeET2_T3_PNSZ_IS14_E10value_typeET4_jRbjT5_S1A_jjP12ihipStream_tbEUljE_EEESV_SW_SX_S14_S18_S1A_T6_T7_T9_mT8_S1C_bDpT10_ENKUlT_T0_E_clISt17integral_constantIbLb1EES1P_EEDaS1K_S1L_EUlS1K_E_NS1_11comp_targetILNS1_3genE9ELNS1_11target_archE1100ELNS1_3gpuE3ELNS1_3repE0EEENS1_30default_config_static_selectorELNS0_4arch9wavefront6targetE0EEEvSY_.private_seg_size, 0
	.set _ZN7rocprim17ROCPRIM_400000_NS6detail17trampoline_kernelINS0_13select_configILj256ELj13ELNS0_17block_load_methodE3ELS4_3ELS4_3ELNS0_20block_scan_algorithmE0ELj4294967295EEENS1_25partition_config_selectorILNS1_17partition_subalgoE3EjNS0_10empty_typeEbEEZZNS1_14partition_implILS8_3ELb0ES6_jNS0_17counting_iteratorIjlEEPS9_SE_NS0_5tupleIJPjSE_EEENSF_IJSE_SE_EEES9_SG_JZNS1_25segmented_radix_sort_implINS0_14default_configELb0EPKhPhPKlPlN2at6native12_GLOBAL__N_18offset_tEEE10hipError_tPvRmT1_PNSt15iterator_traitsISY_E10value_typeET2_T3_PNSZ_IS14_E10value_typeET4_jRbjT5_S1A_jjP12ihipStream_tbEUljE_EEESV_SW_SX_S14_S18_S1A_T6_T7_T9_mT8_S1C_bDpT10_ENKUlT_T0_E_clISt17integral_constantIbLb1EES1P_EEDaS1K_S1L_EUlS1K_E_NS1_11comp_targetILNS1_3genE9ELNS1_11target_archE1100ELNS1_3gpuE3ELNS1_3repE0EEENS1_30default_config_static_selectorELNS0_4arch9wavefront6targetE0EEEvSY_.uses_vcc, 0
	.set _ZN7rocprim17ROCPRIM_400000_NS6detail17trampoline_kernelINS0_13select_configILj256ELj13ELNS0_17block_load_methodE3ELS4_3ELS4_3ELNS0_20block_scan_algorithmE0ELj4294967295EEENS1_25partition_config_selectorILNS1_17partition_subalgoE3EjNS0_10empty_typeEbEEZZNS1_14partition_implILS8_3ELb0ES6_jNS0_17counting_iteratorIjlEEPS9_SE_NS0_5tupleIJPjSE_EEENSF_IJSE_SE_EEES9_SG_JZNS1_25segmented_radix_sort_implINS0_14default_configELb0EPKhPhPKlPlN2at6native12_GLOBAL__N_18offset_tEEE10hipError_tPvRmT1_PNSt15iterator_traitsISY_E10value_typeET2_T3_PNSZ_IS14_E10value_typeET4_jRbjT5_S1A_jjP12ihipStream_tbEUljE_EEESV_SW_SX_S14_S18_S1A_T6_T7_T9_mT8_S1C_bDpT10_ENKUlT_T0_E_clISt17integral_constantIbLb1EES1P_EEDaS1K_S1L_EUlS1K_E_NS1_11comp_targetILNS1_3genE9ELNS1_11target_archE1100ELNS1_3gpuE3ELNS1_3repE0EEENS1_30default_config_static_selectorELNS0_4arch9wavefront6targetE0EEEvSY_.uses_flat_scratch, 0
	.set _ZN7rocprim17ROCPRIM_400000_NS6detail17trampoline_kernelINS0_13select_configILj256ELj13ELNS0_17block_load_methodE3ELS4_3ELS4_3ELNS0_20block_scan_algorithmE0ELj4294967295EEENS1_25partition_config_selectorILNS1_17partition_subalgoE3EjNS0_10empty_typeEbEEZZNS1_14partition_implILS8_3ELb0ES6_jNS0_17counting_iteratorIjlEEPS9_SE_NS0_5tupleIJPjSE_EEENSF_IJSE_SE_EEES9_SG_JZNS1_25segmented_radix_sort_implINS0_14default_configELb0EPKhPhPKlPlN2at6native12_GLOBAL__N_18offset_tEEE10hipError_tPvRmT1_PNSt15iterator_traitsISY_E10value_typeET2_T3_PNSZ_IS14_E10value_typeET4_jRbjT5_S1A_jjP12ihipStream_tbEUljE_EEESV_SW_SX_S14_S18_S1A_T6_T7_T9_mT8_S1C_bDpT10_ENKUlT_T0_E_clISt17integral_constantIbLb1EES1P_EEDaS1K_S1L_EUlS1K_E_NS1_11comp_targetILNS1_3genE9ELNS1_11target_archE1100ELNS1_3gpuE3ELNS1_3repE0EEENS1_30default_config_static_selectorELNS0_4arch9wavefront6targetE0EEEvSY_.has_dyn_sized_stack, 0
	.set _ZN7rocprim17ROCPRIM_400000_NS6detail17trampoline_kernelINS0_13select_configILj256ELj13ELNS0_17block_load_methodE3ELS4_3ELS4_3ELNS0_20block_scan_algorithmE0ELj4294967295EEENS1_25partition_config_selectorILNS1_17partition_subalgoE3EjNS0_10empty_typeEbEEZZNS1_14partition_implILS8_3ELb0ES6_jNS0_17counting_iteratorIjlEEPS9_SE_NS0_5tupleIJPjSE_EEENSF_IJSE_SE_EEES9_SG_JZNS1_25segmented_radix_sort_implINS0_14default_configELb0EPKhPhPKlPlN2at6native12_GLOBAL__N_18offset_tEEE10hipError_tPvRmT1_PNSt15iterator_traitsISY_E10value_typeET2_T3_PNSZ_IS14_E10value_typeET4_jRbjT5_S1A_jjP12ihipStream_tbEUljE_EEESV_SW_SX_S14_S18_S1A_T6_T7_T9_mT8_S1C_bDpT10_ENKUlT_T0_E_clISt17integral_constantIbLb1EES1P_EEDaS1K_S1L_EUlS1K_E_NS1_11comp_targetILNS1_3genE9ELNS1_11target_archE1100ELNS1_3gpuE3ELNS1_3repE0EEENS1_30default_config_static_selectorELNS0_4arch9wavefront6targetE0EEEvSY_.has_recursion, 0
	.set _ZN7rocprim17ROCPRIM_400000_NS6detail17trampoline_kernelINS0_13select_configILj256ELj13ELNS0_17block_load_methodE3ELS4_3ELS4_3ELNS0_20block_scan_algorithmE0ELj4294967295EEENS1_25partition_config_selectorILNS1_17partition_subalgoE3EjNS0_10empty_typeEbEEZZNS1_14partition_implILS8_3ELb0ES6_jNS0_17counting_iteratorIjlEEPS9_SE_NS0_5tupleIJPjSE_EEENSF_IJSE_SE_EEES9_SG_JZNS1_25segmented_radix_sort_implINS0_14default_configELb0EPKhPhPKlPlN2at6native12_GLOBAL__N_18offset_tEEE10hipError_tPvRmT1_PNSt15iterator_traitsISY_E10value_typeET2_T3_PNSZ_IS14_E10value_typeET4_jRbjT5_S1A_jjP12ihipStream_tbEUljE_EEESV_SW_SX_S14_S18_S1A_T6_T7_T9_mT8_S1C_bDpT10_ENKUlT_T0_E_clISt17integral_constantIbLb1EES1P_EEDaS1K_S1L_EUlS1K_E_NS1_11comp_targetILNS1_3genE9ELNS1_11target_archE1100ELNS1_3gpuE3ELNS1_3repE0EEENS1_30default_config_static_selectorELNS0_4arch9wavefront6targetE0EEEvSY_.has_indirect_call, 0
	.section	.AMDGPU.csdata,"",@progbits
; Kernel info:
; codeLenInByte = 0
; TotalNumSgprs: 0
; NumVgprs: 0
; ScratchSize: 0
; MemoryBound: 0
; FloatMode: 240
; IeeeMode: 1
; LDSByteSize: 0 bytes/workgroup (compile time only)
; SGPRBlocks: 0
; VGPRBlocks: 0
; NumSGPRsForWavesPerEU: 1
; NumVGPRsForWavesPerEU: 1
; Occupancy: 16
; WaveLimiterHint : 0
; COMPUTE_PGM_RSRC2:SCRATCH_EN: 0
; COMPUTE_PGM_RSRC2:USER_SGPR: 2
; COMPUTE_PGM_RSRC2:TRAP_HANDLER: 0
; COMPUTE_PGM_RSRC2:TGID_X_EN: 1
; COMPUTE_PGM_RSRC2:TGID_Y_EN: 0
; COMPUTE_PGM_RSRC2:TGID_Z_EN: 0
; COMPUTE_PGM_RSRC2:TIDIG_COMP_CNT: 0
	.section	.text._ZN7rocprim17ROCPRIM_400000_NS6detail17trampoline_kernelINS0_13select_configILj256ELj13ELNS0_17block_load_methodE3ELS4_3ELS4_3ELNS0_20block_scan_algorithmE0ELj4294967295EEENS1_25partition_config_selectorILNS1_17partition_subalgoE3EjNS0_10empty_typeEbEEZZNS1_14partition_implILS8_3ELb0ES6_jNS0_17counting_iteratorIjlEEPS9_SE_NS0_5tupleIJPjSE_EEENSF_IJSE_SE_EEES9_SG_JZNS1_25segmented_radix_sort_implINS0_14default_configELb0EPKhPhPKlPlN2at6native12_GLOBAL__N_18offset_tEEE10hipError_tPvRmT1_PNSt15iterator_traitsISY_E10value_typeET2_T3_PNSZ_IS14_E10value_typeET4_jRbjT5_S1A_jjP12ihipStream_tbEUljE_EEESV_SW_SX_S14_S18_S1A_T6_T7_T9_mT8_S1C_bDpT10_ENKUlT_T0_E_clISt17integral_constantIbLb1EES1P_EEDaS1K_S1L_EUlS1K_E_NS1_11comp_targetILNS1_3genE8ELNS1_11target_archE1030ELNS1_3gpuE2ELNS1_3repE0EEENS1_30default_config_static_selectorELNS0_4arch9wavefront6targetE0EEEvSY_,"axG",@progbits,_ZN7rocprim17ROCPRIM_400000_NS6detail17trampoline_kernelINS0_13select_configILj256ELj13ELNS0_17block_load_methodE3ELS4_3ELS4_3ELNS0_20block_scan_algorithmE0ELj4294967295EEENS1_25partition_config_selectorILNS1_17partition_subalgoE3EjNS0_10empty_typeEbEEZZNS1_14partition_implILS8_3ELb0ES6_jNS0_17counting_iteratorIjlEEPS9_SE_NS0_5tupleIJPjSE_EEENSF_IJSE_SE_EEES9_SG_JZNS1_25segmented_radix_sort_implINS0_14default_configELb0EPKhPhPKlPlN2at6native12_GLOBAL__N_18offset_tEEE10hipError_tPvRmT1_PNSt15iterator_traitsISY_E10value_typeET2_T3_PNSZ_IS14_E10value_typeET4_jRbjT5_S1A_jjP12ihipStream_tbEUljE_EEESV_SW_SX_S14_S18_S1A_T6_T7_T9_mT8_S1C_bDpT10_ENKUlT_T0_E_clISt17integral_constantIbLb1EES1P_EEDaS1K_S1L_EUlS1K_E_NS1_11comp_targetILNS1_3genE8ELNS1_11target_archE1030ELNS1_3gpuE2ELNS1_3repE0EEENS1_30default_config_static_selectorELNS0_4arch9wavefront6targetE0EEEvSY_,comdat
	.globl	_ZN7rocprim17ROCPRIM_400000_NS6detail17trampoline_kernelINS0_13select_configILj256ELj13ELNS0_17block_load_methodE3ELS4_3ELS4_3ELNS0_20block_scan_algorithmE0ELj4294967295EEENS1_25partition_config_selectorILNS1_17partition_subalgoE3EjNS0_10empty_typeEbEEZZNS1_14partition_implILS8_3ELb0ES6_jNS0_17counting_iteratorIjlEEPS9_SE_NS0_5tupleIJPjSE_EEENSF_IJSE_SE_EEES9_SG_JZNS1_25segmented_radix_sort_implINS0_14default_configELb0EPKhPhPKlPlN2at6native12_GLOBAL__N_18offset_tEEE10hipError_tPvRmT1_PNSt15iterator_traitsISY_E10value_typeET2_T3_PNSZ_IS14_E10value_typeET4_jRbjT5_S1A_jjP12ihipStream_tbEUljE_EEESV_SW_SX_S14_S18_S1A_T6_T7_T9_mT8_S1C_bDpT10_ENKUlT_T0_E_clISt17integral_constantIbLb1EES1P_EEDaS1K_S1L_EUlS1K_E_NS1_11comp_targetILNS1_3genE8ELNS1_11target_archE1030ELNS1_3gpuE2ELNS1_3repE0EEENS1_30default_config_static_selectorELNS0_4arch9wavefront6targetE0EEEvSY_ ; -- Begin function _ZN7rocprim17ROCPRIM_400000_NS6detail17trampoline_kernelINS0_13select_configILj256ELj13ELNS0_17block_load_methodE3ELS4_3ELS4_3ELNS0_20block_scan_algorithmE0ELj4294967295EEENS1_25partition_config_selectorILNS1_17partition_subalgoE3EjNS0_10empty_typeEbEEZZNS1_14partition_implILS8_3ELb0ES6_jNS0_17counting_iteratorIjlEEPS9_SE_NS0_5tupleIJPjSE_EEENSF_IJSE_SE_EEES9_SG_JZNS1_25segmented_radix_sort_implINS0_14default_configELb0EPKhPhPKlPlN2at6native12_GLOBAL__N_18offset_tEEE10hipError_tPvRmT1_PNSt15iterator_traitsISY_E10value_typeET2_T3_PNSZ_IS14_E10value_typeET4_jRbjT5_S1A_jjP12ihipStream_tbEUljE_EEESV_SW_SX_S14_S18_S1A_T6_T7_T9_mT8_S1C_bDpT10_ENKUlT_T0_E_clISt17integral_constantIbLb1EES1P_EEDaS1K_S1L_EUlS1K_E_NS1_11comp_targetILNS1_3genE8ELNS1_11target_archE1030ELNS1_3gpuE2ELNS1_3repE0EEENS1_30default_config_static_selectorELNS0_4arch9wavefront6targetE0EEEvSY_
	.p2align	8
	.type	_ZN7rocprim17ROCPRIM_400000_NS6detail17trampoline_kernelINS0_13select_configILj256ELj13ELNS0_17block_load_methodE3ELS4_3ELS4_3ELNS0_20block_scan_algorithmE0ELj4294967295EEENS1_25partition_config_selectorILNS1_17partition_subalgoE3EjNS0_10empty_typeEbEEZZNS1_14partition_implILS8_3ELb0ES6_jNS0_17counting_iteratorIjlEEPS9_SE_NS0_5tupleIJPjSE_EEENSF_IJSE_SE_EEES9_SG_JZNS1_25segmented_radix_sort_implINS0_14default_configELb0EPKhPhPKlPlN2at6native12_GLOBAL__N_18offset_tEEE10hipError_tPvRmT1_PNSt15iterator_traitsISY_E10value_typeET2_T3_PNSZ_IS14_E10value_typeET4_jRbjT5_S1A_jjP12ihipStream_tbEUljE_EEESV_SW_SX_S14_S18_S1A_T6_T7_T9_mT8_S1C_bDpT10_ENKUlT_T0_E_clISt17integral_constantIbLb1EES1P_EEDaS1K_S1L_EUlS1K_E_NS1_11comp_targetILNS1_3genE8ELNS1_11target_archE1030ELNS1_3gpuE2ELNS1_3repE0EEENS1_30default_config_static_selectorELNS0_4arch9wavefront6targetE0EEEvSY_,@function
_ZN7rocprim17ROCPRIM_400000_NS6detail17trampoline_kernelINS0_13select_configILj256ELj13ELNS0_17block_load_methodE3ELS4_3ELS4_3ELNS0_20block_scan_algorithmE0ELj4294967295EEENS1_25partition_config_selectorILNS1_17partition_subalgoE3EjNS0_10empty_typeEbEEZZNS1_14partition_implILS8_3ELb0ES6_jNS0_17counting_iteratorIjlEEPS9_SE_NS0_5tupleIJPjSE_EEENSF_IJSE_SE_EEES9_SG_JZNS1_25segmented_radix_sort_implINS0_14default_configELb0EPKhPhPKlPlN2at6native12_GLOBAL__N_18offset_tEEE10hipError_tPvRmT1_PNSt15iterator_traitsISY_E10value_typeET2_T3_PNSZ_IS14_E10value_typeET4_jRbjT5_S1A_jjP12ihipStream_tbEUljE_EEESV_SW_SX_S14_S18_S1A_T6_T7_T9_mT8_S1C_bDpT10_ENKUlT_T0_E_clISt17integral_constantIbLb1EES1P_EEDaS1K_S1L_EUlS1K_E_NS1_11comp_targetILNS1_3genE8ELNS1_11target_archE1030ELNS1_3gpuE2ELNS1_3repE0EEENS1_30default_config_static_selectorELNS0_4arch9wavefront6targetE0EEEvSY_: ; @_ZN7rocprim17ROCPRIM_400000_NS6detail17trampoline_kernelINS0_13select_configILj256ELj13ELNS0_17block_load_methodE3ELS4_3ELS4_3ELNS0_20block_scan_algorithmE0ELj4294967295EEENS1_25partition_config_selectorILNS1_17partition_subalgoE3EjNS0_10empty_typeEbEEZZNS1_14partition_implILS8_3ELb0ES6_jNS0_17counting_iteratorIjlEEPS9_SE_NS0_5tupleIJPjSE_EEENSF_IJSE_SE_EEES9_SG_JZNS1_25segmented_radix_sort_implINS0_14default_configELb0EPKhPhPKlPlN2at6native12_GLOBAL__N_18offset_tEEE10hipError_tPvRmT1_PNSt15iterator_traitsISY_E10value_typeET2_T3_PNSZ_IS14_E10value_typeET4_jRbjT5_S1A_jjP12ihipStream_tbEUljE_EEESV_SW_SX_S14_S18_S1A_T6_T7_T9_mT8_S1C_bDpT10_ENKUlT_T0_E_clISt17integral_constantIbLb1EES1P_EEDaS1K_S1L_EUlS1K_E_NS1_11comp_targetILNS1_3genE8ELNS1_11target_archE1030ELNS1_3gpuE2ELNS1_3repE0EEENS1_30default_config_static_selectorELNS0_4arch9wavefront6targetE0EEEvSY_
; %bb.0:
	.section	.rodata,"a",@progbits
	.p2align	6, 0x0
	.amdhsa_kernel _ZN7rocprim17ROCPRIM_400000_NS6detail17trampoline_kernelINS0_13select_configILj256ELj13ELNS0_17block_load_methodE3ELS4_3ELS4_3ELNS0_20block_scan_algorithmE0ELj4294967295EEENS1_25partition_config_selectorILNS1_17partition_subalgoE3EjNS0_10empty_typeEbEEZZNS1_14partition_implILS8_3ELb0ES6_jNS0_17counting_iteratorIjlEEPS9_SE_NS0_5tupleIJPjSE_EEENSF_IJSE_SE_EEES9_SG_JZNS1_25segmented_radix_sort_implINS0_14default_configELb0EPKhPhPKlPlN2at6native12_GLOBAL__N_18offset_tEEE10hipError_tPvRmT1_PNSt15iterator_traitsISY_E10value_typeET2_T3_PNSZ_IS14_E10value_typeET4_jRbjT5_S1A_jjP12ihipStream_tbEUljE_EEESV_SW_SX_S14_S18_S1A_T6_T7_T9_mT8_S1C_bDpT10_ENKUlT_T0_E_clISt17integral_constantIbLb1EES1P_EEDaS1K_S1L_EUlS1K_E_NS1_11comp_targetILNS1_3genE8ELNS1_11target_archE1030ELNS1_3gpuE2ELNS1_3repE0EEENS1_30default_config_static_selectorELNS0_4arch9wavefront6targetE0EEEvSY_
		.amdhsa_group_segment_fixed_size 0
		.amdhsa_private_segment_fixed_size 0
		.amdhsa_kernarg_size 152
		.amdhsa_user_sgpr_count 2
		.amdhsa_user_sgpr_dispatch_ptr 0
		.amdhsa_user_sgpr_queue_ptr 0
		.amdhsa_user_sgpr_kernarg_segment_ptr 1
		.amdhsa_user_sgpr_dispatch_id 0
		.amdhsa_user_sgpr_private_segment_size 0
		.amdhsa_wavefront_size32 1
		.amdhsa_uses_dynamic_stack 0
		.amdhsa_enable_private_segment 0
		.amdhsa_system_sgpr_workgroup_id_x 1
		.amdhsa_system_sgpr_workgroup_id_y 0
		.amdhsa_system_sgpr_workgroup_id_z 0
		.amdhsa_system_sgpr_workgroup_info 0
		.amdhsa_system_vgpr_workitem_id 0
		.amdhsa_next_free_vgpr 1
		.amdhsa_next_free_sgpr 1
		.amdhsa_reserve_vcc 0
		.amdhsa_float_round_mode_32 0
		.amdhsa_float_round_mode_16_64 0
		.amdhsa_float_denorm_mode_32 3
		.amdhsa_float_denorm_mode_16_64 3
		.amdhsa_fp16_overflow 0
		.amdhsa_workgroup_processor_mode 1
		.amdhsa_memory_ordered 1
		.amdhsa_forward_progress 1
		.amdhsa_inst_pref_size 0
		.amdhsa_round_robin_scheduling 0
		.amdhsa_exception_fp_ieee_invalid_op 0
		.amdhsa_exception_fp_denorm_src 0
		.amdhsa_exception_fp_ieee_div_zero 0
		.amdhsa_exception_fp_ieee_overflow 0
		.amdhsa_exception_fp_ieee_underflow 0
		.amdhsa_exception_fp_ieee_inexact 0
		.amdhsa_exception_int_div_zero 0
	.end_amdhsa_kernel
	.section	.text._ZN7rocprim17ROCPRIM_400000_NS6detail17trampoline_kernelINS0_13select_configILj256ELj13ELNS0_17block_load_methodE3ELS4_3ELS4_3ELNS0_20block_scan_algorithmE0ELj4294967295EEENS1_25partition_config_selectorILNS1_17partition_subalgoE3EjNS0_10empty_typeEbEEZZNS1_14partition_implILS8_3ELb0ES6_jNS0_17counting_iteratorIjlEEPS9_SE_NS0_5tupleIJPjSE_EEENSF_IJSE_SE_EEES9_SG_JZNS1_25segmented_radix_sort_implINS0_14default_configELb0EPKhPhPKlPlN2at6native12_GLOBAL__N_18offset_tEEE10hipError_tPvRmT1_PNSt15iterator_traitsISY_E10value_typeET2_T3_PNSZ_IS14_E10value_typeET4_jRbjT5_S1A_jjP12ihipStream_tbEUljE_EEESV_SW_SX_S14_S18_S1A_T6_T7_T9_mT8_S1C_bDpT10_ENKUlT_T0_E_clISt17integral_constantIbLb1EES1P_EEDaS1K_S1L_EUlS1K_E_NS1_11comp_targetILNS1_3genE8ELNS1_11target_archE1030ELNS1_3gpuE2ELNS1_3repE0EEENS1_30default_config_static_selectorELNS0_4arch9wavefront6targetE0EEEvSY_,"axG",@progbits,_ZN7rocprim17ROCPRIM_400000_NS6detail17trampoline_kernelINS0_13select_configILj256ELj13ELNS0_17block_load_methodE3ELS4_3ELS4_3ELNS0_20block_scan_algorithmE0ELj4294967295EEENS1_25partition_config_selectorILNS1_17partition_subalgoE3EjNS0_10empty_typeEbEEZZNS1_14partition_implILS8_3ELb0ES6_jNS0_17counting_iteratorIjlEEPS9_SE_NS0_5tupleIJPjSE_EEENSF_IJSE_SE_EEES9_SG_JZNS1_25segmented_radix_sort_implINS0_14default_configELb0EPKhPhPKlPlN2at6native12_GLOBAL__N_18offset_tEEE10hipError_tPvRmT1_PNSt15iterator_traitsISY_E10value_typeET2_T3_PNSZ_IS14_E10value_typeET4_jRbjT5_S1A_jjP12ihipStream_tbEUljE_EEESV_SW_SX_S14_S18_S1A_T6_T7_T9_mT8_S1C_bDpT10_ENKUlT_T0_E_clISt17integral_constantIbLb1EES1P_EEDaS1K_S1L_EUlS1K_E_NS1_11comp_targetILNS1_3genE8ELNS1_11target_archE1030ELNS1_3gpuE2ELNS1_3repE0EEENS1_30default_config_static_selectorELNS0_4arch9wavefront6targetE0EEEvSY_,comdat
.Lfunc_end169:
	.size	_ZN7rocprim17ROCPRIM_400000_NS6detail17trampoline_kernelINS0_13select_configILj256ELj13ELNS0_17block_load_methodE3ELS4_3ELS4_3ELNS0_20block_scan_algorithmE0ELj4294967295EEENS1_25partition_config_selectorILNS1_17partition_subalgoE3EjNS0_10empty_typeEbEEZZNS1_14partition_implILS8_3ELb0ES6_jNS0_17counting_iteratorIjlEEPS9_SE_NS0_5tupleIJPjSE_EEENSF_IJSE_SE_EEES9_SG_JZNS1_25segmented_radix_sort_implINS0_14default_configELb0EPKhPhPKlPlN2at6native12_GLOBAL__N_18offset_tEEE10hipError_tPvRmT1_PNSt15iterator_traitsISY_E10value_typeET2_T3_PNSZ_IS14_E10value_typeET4_jRbjT5_S1A_jjP12ihipStream_tbEUljE_EEESV_SW_SX_S14_S18_S1A_T6_T7_T9_mT8_S1C_bDpT10_ENKUlT_T0_E_clISt17integral_constantIbLb1EES1P_EEDaS1K_S1L_EUlS1K_E_NS1_11comp_targetILNS1_3genE8ELNS1_11target_archE1030ELNS1_3gpuE2ELNS1_3repE0EEENS1_30default_config_static_selectorELNS0_4arch9wavefront6targetE0EEEvSY_, .Lfunc_end169-_ZN7rocprim17ROCPRIM_400000_NS6detail17trampoline_kernelINS0_13select_configILj256ELj13ELNS0_17block_load_methodE3ELS4_3ELS4_3ELNS0_20block_scan_algorithmE0ELj4294967295EEENS1_25partition_config_selectorILNS1_17partition_subalgoE3EjNS0_10empty_typeEbEEZZNS1_14partition_implILS8_3ELb0ES6_jNS0_17counting_iteratorIjlEEPS9_SE_NS0_5tupleIJPjSE_EEENSF_IJSE_SE_EEES9_SG_JZNS1_25segmented_radix_sort_implINS0_14default_configELb0EPKhPhPKlPlN2at6native12_GLOBAL__N_18offset_tEEE10hipError_tPvRmT1_PNSt15iterator_traitsISY_E10value_typeET2_T3_PNSZ_IS14_E10value_typeET4_jRbjT5_S1A_jjP12ihipStream_tbEUljE_EEESV_SW_SX_S14_S18_S1A_T6_T7_T9_mT8_S1C_bDpT10_ENKUlT_T0_E_clISt17integral_constantIbLb1EES1P_EEDaS1K_S1L_EUlS1K_E_NS1_11comp_targetILNS1_3genE8ELNS1_11target_archE1030ELNS1_3gpuE2ELNS1_3repE0EEENS1_30default_config_static_selectorELNS0_4arch9wavefront6targetE0EEEvSY_
                                        ; -- End function
	.set _ZN7rocprim17ROCPRIM_400000_NS6detail17trampoline_kernelINS0_13select_configILj256ELj13ELNS0_17block_load_methodE3ELS4_3ELS4_3ELNS0_20block_scan_algorithmE0ELj4294967295EEENS1_25partition_config_selectorILNS1_17partition_subalgoE3EjNS0_10empty_typeEbEEZZNS1_14partition_implILS8_3ELb0ES6_jNS0_17counting_iteratorIjlEEPS9_SE_NS0_5tupleIJPjSE_EEENSF_IJSE_SE_EEES9_SG_JZNS1_25segmented_radix_sort_implINS0_14default_configELb0EPKhPhPKlPlN2at6native12_GLOBAL__N_18offset_tEEE10hipError_tPvRmT1_PNSt15iterator_traitsISY_E10value_typeET2_T3_PNSZ_IS14_E10value_typeET4_jRbjT5_S1A_jjP12ihipStream_tbEUljE_EEESV_SW_SX_S14_S18_S1A_T6_T7_T9_mT8_S1C_bDpT10_ENKUlT_T0_E_clISt17integral_constantIbLb1EES1P_EEDaS1K_S1L_EUlS1K_E_NS1_11comp_targetILNS1_3genE8ELNS1_11target_archE1030ELNS1_3gpuE2ELNS1_3repE0EEENS1_30default_config_static_selectorELNS0_4arch9wavefront6targetE0EEEvSY_.num_vgpr, 0
	.set _ZN7rocprim17ROCPRIM_400000_NS6detail17trampoline_kernelINS0_13select_configILj256ELj13ELNS0_17block_load_methodE3ELS4_3ELS4_3ELNS0_20block_scan_algorithmE0ELj4294967295EEENS1_25partition_config_selectorILNS1_17partition_subalgoE3EjNS0_10empty_typeEbEEZZNS1_14partition_implILS8_3ELb0ES6_jNS0_17counting_iteratorIjlEEPS9_SE_NS0_5tupleIJPjSE_EEENSF_IJSE_SE_EEES9_SG_JZNS1_25segmented_radix_sort_implINS0_14default_configELb0EPKhPhPKlPlN2at6native12_GLOBAL__N_18offset_tEEE10hipError_tPvRmT1_PNSt15iterator_traitsISY_E10value_typeET2_T3_PNSZ_IS14_E10value_typeET4_jRbjT5_S1A_jjP12ihipStream_tbEUljE_EEESV_SW_SX_S14_S18_S1A_T6_T7_T9_mT8_S1C_bDpT10_ENKUlT_T0_E_clISt17integral_constantIbLb1EES1P_EEDaS1K_S1L_EUlS1K_E_NS1_11comp_targetILNS1_3genE8ELNS1_11target_archE1030ELNS1_3gpuE2ELNS1_3repE0EEENS1_30default_config_static_selectorELNS0_4arch9wavefront6targetE0EEEvSY_.num_agpr, 0
	.set _ZN7rocprim17ROCPRIM_400000_NS6detail17trampoline_kernelINS0_13select_configILj256ELj13ELNS0_17block_load_methodE3ELS4_3ELS4_3ELNS0_20block_scan_algorithmE0ELj4294967295EEENS1_25partition_config_selectorILNS1_17partition_subalgoE3EjNS0_10empty_typeEbEEZZNS1_14partition_implILS8_3ELb0ES6_jNS0_17counting_iteratorIjlEEPS9_SE_NS0_5tupleIJPjSE_EEENSF_IJSE_SE_EEES9_SG_JZNS1_25segmented_radix_sort_implINS0_14default_configELb0EPKhPhPKlPlN2at6native12_GLOBAL__N_18offset_tEEE10hipError_tPvRmT1_PNSt15iterator_traitsISY_E10value_typeET2_T3_PNSZ_IS14_E10value_typeET4_jRbjT5_S1A_jjP12ihipStream_tbEUljE_EEESV_SW_SX_S14_S18_S1A_T6_T7_T9_mT8_S1C_bDpT10_ENKUlT_T0_E_clISt17integral_constantIbLb1EES1P_EEDaS1K_S1L_EUlS1K_E_NS1_11comp_targetILNS1_3genE8ELNS1_11target_archE1030ELNS1_3gpuE2ELNS1_3repE0EEENS1_30default_config_static_selectorELNS0_4arch9wavefront6targetE0EEEvSY_.numbered_sgpr, 0
	.set _ZN7rocprim17ROCPRIM_400000_NS6detail17trampoline_kernelINS0_13select_configILj256ELj13ELNS0_17block_load_methodE3ELS4_3ELS4_3ELNS0_20block_scan_algorithmE0ELj4294967295EEENS1_25partition_config_selectorILNS1_17partition_subalgoE3EjNS0_10empty_typeEbEEZZNS1_14partition_implILS8_3ELb0ES6_jNS0_17counting_iteratorIjlEEPS9_SE_NS0_5tupleIJPjSE_EEENSF_IJSE_SE_EEES9_SG_JZNS1_25segmented_radix_sort_implINS0_14default_configELb0EPKhPhPKlPlN2at6native12_GLOBAL__N_18offset_tEEE10hipError_tPvRmT1_PNSt15iterator_traitsISY_E10value_typeET2_T3_PNSZ_IS14_E10value_typeET4_jRbjT5_S1A_jjP12ihipStream_tbEUljE_EEESV_SW_SX_S14_S18_S1A_T6_T7_T9_mT8_S1C_bDpT10_ENKUlT_T0_E_clISt17integral_constantIbLb1EES1P_EEDaS1K_S1L_EUlS1K_E_NS1_11comp_targetILNS1_3genE8ELNS1_11target_archE1030ELNS1_3gpuE2ELNS1_3repE0EEENS1_30default_config_static_selectorELNS0_4arch9wavefront6targetE0EEEvSY_.num_named_barrier, 0
	.set _ZN7rocprim17ROCPRIM_400000_NS6detail17trampoline_kernelINS0_13select_configILj256ELj13ELNS0_17block_load_methodE3ELS4_3ELS4_3ELNS0_20block_scan_algorithmE0ELj4294967295EEENS1_25partition_config_selectorILNS1_17partition_subalgoE3EjNS0_10empty_typeEbEEZZNS1_14partition_implILS8_3ELb0ES6_jNS0_17counting_iteratorIjlEEPS9_SE_NS0_5tupleIJPjSE_EEENSF_IJSE_SE_EEES9_SG_JZNS1_25segmented_radix_sort_implINS0_14default_configELb0EPKhPhPKlPlN2at6native12_GLOBAL__N_18offset_tEEE10hipError_tPvRmT1_PNSt15iterator_traitsISY_E10value_typeET2_T3_PNSZ_IS14_E10value_typeET4_jRbjT5_S1A_jjP12ihipStream_tbEUljE_EEESV_SW_SX_S14_S18_S1A_T6_T7_T9_mT8_S1C_bDpT10_ENKUlT_T0_E_clISt17integral_constantIbLb1EES1P_EEDaS1K_S1L_EUlS1K_E_NS1_11comp_targetILNS1_3genE8ELNS1_11target_archE1030ELNS1_3gpuE2ELNS1_3repE0EEENS1_30default_config_static_selectorELNS0_4arch9wavefront6targetE0EEEvSY_.private_seg_size, 0
	.set _ZN7rocprim17ROCPRIM_400000_NS6detail17trampoline_kernelINS0_13select_configILj256ELj13ELNS0_17block_load_methodE3ELS4_3ELS4_3ELNS0_20block_scan_algorithmE0ELj4294967295EEENS1_25partition_config_selectorILNS1_17partition_subalgoE3EjNS0_10empty_typeEbEEZZNS1_14partition_implILS8_3ELb0ES6_jNS0_17counting_iteratorIjlEEPS9_SE_NS0_5tupleIJPjSE_EEENSF_IJSE_SE_EEES9_SG_JZNS1_25segmented_radix_sort_implINS0_14default_configELb0EPKhPhPKlPlN2at6native12_GLOBAL__N_18offset_tEEE10hipError_tPvRmT1_PNSt15iterator_traitsISY_E10value_typeET2_T3_PNSZ_IS14_E10value_typeET4_jRbjT5_S1A_jjP12ihipStream_tbEUljE_EEESV_SW_SX_S14_S18_S1A_T6_T7_T9_mT8_S1C_bDpT10_ENKUlT_T0_E_clISt17integral_constantIbLb1EES1P_EEDaS1K_S1L_EUlS1K_E_NS1_11comp_targetILNS1_3genE8ELNS1_11target_archE1030ELNS1_3gpuE2ELNS1_3repE0EEENS1_30default_config_static_selectorELNS0_4arch9wavefront6targetE0EEEvSY_.uses_vcc, 0
	.set _ZN7rocprim17ROCPRIM_400000_NS6detail17trampoline_kernelINS0_13select_configILj256ELj13ELNS0_17block_load_methodE3ELS4_3ELS4_3ELNS0_20block_scan_algorithmE0ELj4294967295EEENS1_25partition_config_selectorILNS1_17partition_subalgoE3EjNS0_10empty_typeEbEEZZNS1_14partition_implILS8_3ELb0ES6_jNS0_17counting_iteratorIjlEEPS9_SE_NS0_5tupleIJPjSE_EEENSF_IJSE_SE_EEES9_SG_JZNS1_25segmented_radix_sort_implINS0_14default_configELb0EPKhPhPKlPlN2at6native12_GLOBAL__N_18offset_tEEE10hipError_tPvRmT1_PNSt15iterator_traitsISY_E10value_typeET2_T3_PNSZ_IS14_E10value_typeET4_jRbjT5_S1A_jjP12ihipStream_tbEUljE_EEESV_SW_SX_S14_S18_S1A_T6_T7_T9_mT8_S1C_bDpT10_ENKUlT_T0_E_clISt17integral_constantIbLb1EES1P_EEDaS1K_S1L_EUlS1K_E_NS1_11comp_targetILNS1_3genE8ELNS1_11target_archE1030ELNS1_3gpuE2ELNS1_3repE0EEENS1_30default_config_static_selectorELNS0_4arch9wavefront6targetE0EEEvSY_.uses_flat_scratch, 0
	.set _ZN7rocprim17ROCPRIM_400000_NS6detail17trampoline_kernelINS0_13select_configILj256ELj13ELNS0_17block_load_methodE3ELS4_3ELS4_3ELNS0_20block_scan_algorithmE0ELj4294967295EEENS1_25partition_config_selectorILNS1_17partition_subalgoE3EjNS0_10empty_typeEbEEZZNS1_14partition_implILS8_3ELb0ES6_jNS0_17counting_iteratorIjlEEPS9_SE_NS0_5tupleIJPjSE_EEENSF_IJSE_SE_EEES9_SG_JZNS1_25segmented_radix_sort_implINS0_14default_configELb0EPKhPhPKlPlN2at6native12_GLOBAL__N_18offset_tEEE10hipError_tPvRmT1_PNSt15iterator_traitsISY_E10value_typeET2_T3_PNSZ_IS14_E10value_typeET4_jRbjT5_S1A_jjP12ihipStream_tbEUljE_EEESV_SW_SX_S14_S18_S1A_T6_T7_T9_mT8_S1C_bDpT10_ENKUlT_T0_E_clISt17integral_constantIbLb1EES1P_EEDaS1K_S1L_EUlS1K_E_NS1_11comp_targetILNS1_3genE8ELNS1_11target_archE1030ELNS1_3gpuE2ELNS1_3repE0EEENS1_30default_config_static_selectorELNS0_4arch9wavefront6targetE0EEEvSY_.has_dyn_sized_stack, 0
	.set _ZN7rocprim17ROCPRIM_400000_NS6detail17trampoline_kernelINS0_13select_configILj256ELj13ELNS0_17block_load_methodE3ELS4_3ELS4_3ELNS0_20block_scan_algorithmE0ELj4294967295EEENS1_25partition_config_selectorILNS1_17partition_subalgoE3EjNS0_10empty_typeEbEEZZNS1_14partition_implILS8_3ELb0ES6_jNS0_17counting_iteratorIjlEEPS9_SE_NS0_5tupleIJPjSE_EEENSF_IJSE_SE_EEES9_SG_JZNS1_25segmented_radix_sort_implINS0_14default_configELb0EPKhPhPKlPlN2at6native12_GLOBAL__N_18offset_tEEE10hipError_tPvRmT1_PNSt15iterator_traitsISY_E10value_typeET2_T3_PNSZ_IS14_E10value_typeET4_jRbjT5_S1A_jjP12ihipStream_tbEUljE_EEESV_SW_SX_S14_S18_S1A_T6_T7_T9_mT8_S1C_bDpT10_ENKUlT_T0_E_clISt17integral_constantIbLb1EES1P_EEDaS1K_S1L_EUlS1K_E_NS1_11comp_targetILNS1_3genE8ELNS1_11target_archE1030ELNS1_3gpuE2ELNS1_3repE0EEENS1_30default_config_static_selectorELNS0_4arch9wavefront6targetE0EEEvSY_.has_recursion, 0
	.set _ZN7rocprim17ROCPRIM_400000_NS6detail17trampoline_kernelINS0_13select_configILj256ELj13ELNS0_17block_load_methodE3ELS4_3ELS4_3ELNS0_20block_scan_algorithmE0ELj4294967295EEENS1_25partition_config_selectorILNS1_17partition_subalgoE3EjNS0_10empty_typeEbEEZZNS1_14partition_implILS8_3ELb0ES6_jNS0_17counting_iteratorIjlEEPS9_SE_NS0_5tupleIJPjSE_EEENSF_IJSE_SE_EEES9_SG_JZNS1_25segmented_radix_sort_implINS0_14default_configELb0EPKhPhPKlPlN2at6native12_GLOBAL__N_18offset_tEEE10hipError_tPvRmT1_PNSt15iterator_traitsISY_E10value_typeET2_T3_PNSZ_IS14_E10value_typeET4_jRbjT5_S1A_jjP12ihipStream_tbEUljE_EEESV_SW_SX_S14_S18_S1A_T6_T7_T9_mT8_S1C_bDpT10_ENKUlT_T0_E_clISt17integral_constantIbLb1EES1P_EEDaS1K_S1L_EUlS1K_E_NS1_11comp_targetILNS1_3genE8ELNS1_11target_archE1030ELNS1_3gpuE2ELNS1_3repE0EEENS1_30default_config_static_selectorELNS0_4arch9wavefront6targetE0EEEvSY_.has_indirect_call, 0
	.section	.AMDGPU.csdata,"",@progbits
; Kernel info:
; codeLenInByte = 0
; TotalNumSgprs: 0
; NumVgprs: 0
; ScratchSize: 0
; MemoryBound: 0
; FloatMode: 240
; IeeeMode: 1
; LDSByteSize: 0 bytes/workgroup (compile time only)
; SGPRBlocks: 0
; VGPRBlocks: 0
; NumSGPRsForWavesPerEU: 1
; NumVGPRsForWavesPerEU: 1
; Occupancy: 16
; WaveLimiterHint : 0
; COMPUTE_PGM_RSRC2:SCRATCH_EN: 0
; COMPUTE_PGM_RSRC2:USER_SGPR: 2
; COMPUTE_PGM_RSRC2:TRAP_HANDLER: 0
; COMPUTE_PGM_RSRC2:TGID_X_EN: 1
; COMPUTE_PGM_RSRC2:TGID_Y_EN: 0
; COMPUTE_PGM_RSRC2:TGID_Z_EN: 0
; COMPUTE_PGM_RSRC2:TIDIG_COMP_CNT: 0
	.section	.text._ZN7rocprim17ROCPRIM_400000_NS6detail17trampoline_kernelINS0_13select_configILj256ELj13ELNS0_17block_load_methodE3ELS4_3ELS4_3ELNS0_20block_scan_algorithmE0ELj4294967295EEENS1_25partition_config_selectorILNS1_17partition_subalgoE3EjNS0_10empty_typeEbEEZZNS1_14partition_implILS8_3ELb0ES6_jNS0_17counting_iteratorIjlEEPS9_SE_NS0_5tupleIJPjSE_EEENSF_IJSE_SE_EEES9_SG_JZNS1_25segmented_radix_sort_implINS0_14default_configELb0EPKhPhPKlPlN2at6native12_GLOBAL__N_18offset_tEEE10hipError_tPvRmT1_PNSt15iterator_traitsISY_E10value_typeET2_T3_PNSZ_IS14_E10value_typeET4_jRbjT5_S1A_jjP12ihipStream_tbEUljE_EEESV_SW_SX_S14_S18_S1A_T6_T7_T9_mT8_S1C_bDpT10_ENKUlT_T0_E_clISt17integral_constantIbLb1EES1O_IbLb0EEEEDaS1K_S1L_EUlS1K_E_NS1_11comp_targetILNS1_3genE0ELNS1_11target_archE4294967295ELNS1_3gpuE0ELNS1_3repE0EEENS1_30default_config_static_selectorELNS0_4arch9wavefront6targetE0EEEvSY_,"axG",@progbits,_ZN7rocprim17ROCPRIM_400000_NS6detail17trampoline_kernelINS0_13select_configILj256ELj13ELNS0_17block_load_methodE3ELS4_3ELS4_3ELNS0_20block_scan_algorithmE0ELj4294967295EEENS1_25partition_config_selectorILNS1_17partition_subalgoE3EjNS0_10empty_typeEbEEZZNS1_14partition_implILS8_3ELb0ES6_jNS0_17counting_iteratorIjlEEPS9_SE_NS0_5tupleIJPjSE_EEENSF_IJSE_SE_EEES9_SG_JZNS1_25segmented_radix_sort_implINS0_14default_configELb0EPKhPhPKlPlN2at6native12_GLOBAL__N_18offset_tEEE10hipError_tPvRmT1_PNSt15iterator_traitsISY_E10value_typeET2_T3_PNSZ_IS14_E10value_typeET4_jRbjT5_S1A_jjP12ihipStream_tbEUljE_EEESV_SW_SX_S14_S18_S1A_T6_T7_T9_mT8_S1C_bDpT10_ENKUlT_T0_E_clISt17integral_constantIbLb1EES1O_IbLb0EEEEDaS1K_S1L_EUlS1K_E_NS1_11comp_targetILNS1_3genE0ELNS1_11target_archE4294967295ELNS1_3gpuE0ELNS1_3repE0EEENS1_30default_config_static_selectorELNS0_4arch9wavefront6targetE0EEEvSY_,comdat
	.globl	_ZN7rocprim17ROCPRIM_400000_NS6detail17trampoline_kernelINS0_13select_configILj256ELj13ELNS0_17block_load_methodE3ELS4_3ELS4_3ELNS0_20block_scan_algorithmE0ELj4294967295EEENS1_25partition_config_selectorILNS1_17partition_subalgoE3EjNS0_10empty_typeEbEEZZNS1_14partition_implILS8_3ELb0ES6_jNS0_17counting_iteratorIjlEEPS9_SE_NS0_5tupleIJPjSE_EEENSF_IJSE_SE_EEES9_SG_JZNS1_25segmented_radix_sort_implINS0_14default_configELb0EPKhPhPKlPlN2at6native12_GLOBAL__N_18offset_tEEE10hipError_tPvRmT1_PNSt15iterator_traitsISY_E10value_typeET2_T3_PNSZ_IS14_E10value_typeET4_jRbjT5_S1A_jjP12ihipStream_tbEUljE_EEESV_SW_SX_S14_S18_S1A_T6_T7_T9_mT8_S1C_bDpT10_ENKUlT_T0_E_clISt17integral_constantIbLb1EES1O_IbLb0EEEEDaS1K_S1L_EUlS1K_E_NS1_11comp_targetILNS1_3genE0ELNS1_11target_archE4294967295ELNS1_3gpuE0ELNS1_3repE0EEENS1_30default_config_static_selectorELNS0_4arch9wavefront6targetE0EEEvSY_ ; -- Begin function _ZN7rocprim17ROCPRIM_400000_NS6detail17trampoline_kernelINS0_13select_configILj256ELj13ELNS0_17block_load_methodE3ELS4_3ELS4_3ELNS0_20block_scan_algorithmE0ELj4294967295EEENS1_25partition_config_selectorILNS1_17partition_subalgoE3EjNS0_10empty_typeEbEEZZNS1_14partition_implILS8_3ELb0ES6_jNS0_17counting_iteratorIjlEEPS9_SE_NS0_5tupleIJPjSE_EEENSF_IJSE_SE_EEES9_SG_JZNS1_25segmented_radix_sort_implINS0_14default_configELb0EPKhPhPKlPlN2at6native12_GLOBAL__N_18offset_tEEE10hipError_tPvRmT1_PNSt15iterator_traitsISY_E10value_typeET2_T3_PNSZ_IS14_E10value_typeET4_jRbjT5_S1A_jjP12ihipStream_tbEUljE_EEESV_SW_SX_S14_S18_S1A_T6_T7_T9_mT8_S1C_bDpT10_ENKUlT_T0_E_clISt17integral_constantIbLb1EES1O_IbLb0EEEEDaS1K_S1L_EUlS1K_E_NS1_11comp_targetILNS1_3genE0ELNS1_11target_archE4294967295ELNS1_3gpuE0ELNS1_3repE0EEENS1_30default_config_static_selectorELNS0_4arch9wavefront6targetE0EEEvSY_
	.p2align	8
	.type	_ZN7rocprim17ROCPRIM_400000_NS6detail17trampoline_kernelINS0_13select_configILj256ELj13ELNS0_17block_load_methodE3ELS4_3ELS4_3ELNS0_20block_scan_algorithmE0ELj4294967295EEENS1_25partition_config_selectorILNS1_17partition_subalgoE3EjNS0_10empty_typeEbEEZZNS1_14partition_implILS8_3ELb0ES6_jNS0_17counting_iteratorIjlEEPS9_SE_NS0_5tupleIJPjSE_EEENSF_IJSE_SE_EEES9_SG_JZNS1_25segmented_radix_sort_implINS0_14default_configELb0EPKhPhPKlPlN2at6native12_GLOBAL__N_18offset_tEEE10hipError_tPvRmT1_PNSt15iterator_traitsISY_E10value_typeET2_T3_PNSZ_IS14_E10value_typeET4_jRbjT5_S1A_jjP12ihipStream_tbEUljE_EEESV_SW_SX_S14_S18_S1A_T6_T7_T9_mT8_S1C_bDpT10_ENKUlT_T0_E_clISt17integral_constantIbLb1EES1O_IbLb0EEEEDaS1K_S1L_EUlS1K_E_NS1_11comp_targetILNS1_3genE0ELNS1_11target_archE4294967295ELNS1_3gpuE0ELNS1_3repE0EEENS1_30default_config_static_selectorELNS0_4arch9wavefront6targetE0EEEvSY_,@function
_ZN7rocprim17ROCPRIM_400000_NS6detail17trampoline_kernelINS0_13select_configILj256ELj13ELNS0_17block_load_methodE3ELS4_3ELS4_3ELNS0_20block_scan_algorithmE0ELj4294967295EEENS1_25partition_config_selectorILNS1_17partition_subalgoE3EjNS0_10empty_typeEbEEZZNS1_14partition_implILS8_3ELb0ES6_jNS0_17counting_iteratorIjlEEPS9_SE_NS0_5tupleIJPjSE_EEENSF_IJSE_SE_EEES9_SG_JZNS1_25segmented_radix_sort_implINS0_14default_configELb0EPKhPhPKlPlN2at6native12_GLOBAL__N_18offset_tEEE10hipError_tPvRmT1_PNSt15iterator_traitsISY_E10value_typeET2_T3_PNSZ_IS14_E10value_typeET4_jRbjT5_S1A_jjP12ihipStream_tbEUljE_EEESV_SW_SX_S14_S18_S1A_T6_T7_T9_mT8_S1C_bDpT10_ENKUlT_T0_E_clISt17integral_constantIbLb1EES1O_IbLb0EEEEDaS1K_S1L_EUlS1K_E_NS1_11comp_targetILNS1_3genE0ELNS1_11target_archE4294967295ELNS1_3gpuE0ELNS1_3repE0EEENS1_30default_config_static_selectorELNS0_4arch9wavefront6targetE0EEEvSY_: ; @_ZN7rocprim17ROCPRIM_400000_NS6detail17trampoline_kernelINS0_13select_configILj256ELj13ELNS0_17block_load_methodE3ELS4_3ELS4_3ELNS0_20block_scan_algorithmE0ELj4294967295EEENS1_25partition_config_selectorILNS1_17partition_subalgoE3EjNS0_10empty_typeEbEEZZNS1_14partition_implILS8_3ELb0ES6_jNS0_17counting_iteratorIjlEEPS9_SE_NS0_5tupleIJPjSE_EEENSF_IJSE_SE_EEES9_SG_JZNS1_25segmented_radix_sort_implINS0_14default_configELb0EPKhPhPKlPlN2at6native12_GLOBAL__N_18offset_tEEE10hipError_tPvRmT1_PNSt15iterator_traitsISY_E10value_typeET2_T3_PNSZ_IS14_E10value_typeET4_jRbjT5_S1A_jjP12ihipStream_tbEUljE_EEESV_SW_SX_S14_S18_S1A_T6_T7_T9_mT8_S1C_bDpT10_ENKUlT_T0_E_clISt17integral_constantIbLb1EES1O_IbLb0EEEEDaS1K_S1L_EUlS1K_E_NS1_11comp_targetILNS1_3genE0ELNS1_11target_archE4294967295ELNS1_3gpuE0ELNS1_3repE0EEENS1_30default_config_static_selectorELNS0_4arch9wavefront6targetE0EEEvSY_
; %bb.0:
	.section	.rodata,"a",@progbits
	.p2align	6, 0x0
	.amdhsa_kernel _ZN7rocprim17ROCPRIM_400000_NS6detail17trampoline_kernelINS0_13select_configILj256ELj13ELNS0_17block_load_methodE3ELS4_3ELS4_3ELNS0_20block_scan_algorithmE0ELj4294967295EEENS1_25partition_config_selectorILNS1_17partition_subalgoE3EjNS0_10empty_typeEbEEZZNS1_14partition_implILS8_3ELb0ES6_jNS0_17counting_iteratorIjlEEPS9_SE_NS0_5tupleIJPjSE_EEENSF_IJSE_SE_EEES9_SG_JZNS1_25segmented_radix_sort_implINS0_14default_configELb0EPKhPhPKlPlN2at6native12_GLOBAL__N_18offset_tEEE10hipError_tPvRmT1_PNSt15iterator_traitsISY_E10value_typeET2_T3_PNSZ_IS14_E10value_typeET4_jRbjT5_S1A_jjP12ihipStream_tbEUljE_EEESV_SW_SX_S14_S18_S1A_T6_T7_T9_mT8_S1C_bDpT10_ENKUlT_T0_E_clISt17integral_constantIbLb1EES1O_IbLb0EEEEDaS1K_S1L_EUlS1K_E_NS1_11comp_targetILNS1_3genE0ELNS1_11target_archE4294967295ELNS1_3gpuE0ELNS1_3repE0EEENS1_30default_config_static_selectorELNS0_4arch9wavefront6targetE0EEEvSY_
		.amdhsa_group_segment_fixed_size 0
		.amdhsa_private_segment_fixed_size 0
		.amdhsa_kernarg_size 144
		.amdhsa_user_sgpr_count 2
		.amdhsa_user_sgpr_dispatch_ptr 0
		.amdhsa_user_sgpr_queue_ptr 0
		.amdhsa_user_sgpr_kernarg_segment_ptr 1
		.amdhsa_user_sgpr_dispatch_id 0
		.amdhsa_user_sgpr_private_segment_size 0
		.amdhsa_wavefront_size32 1
		.amdhsa_uses_dynamic_stack 0
		.amdhsa_enable_private_segment 0
		.amdhsa_system_sgpr_workgroup_id_x 1
		.amdhsa_system_sgpr_workgroup_id_y 0
		.amdhsa_system_sgpr_workgroup_id_z 0
		.amdhsa_system_sgpr_workgroup_info 0
		.amdhsa_system_vgpr_workitem_id 0
		.amdhsa_next_free_vgpr 1
		.amdhsa_next_free_sgpr 1
		.amdhsa_reserve_vcc 0
		.amdhsa_float_round_mode_32 0
		.amdhsa_float_round_mode_16_64 0
		.amdhsa_float_denorm_mode_32 3
		.amdhsa_float_denorm_mode_16_64 3
		.amdhsa_fp16_overflow 0
		.amdhsa_workgroup_processor_mode 1
		.amdhsa_memory_ordered 1
		.amdhsa_forward_progress 1
		.amdhsa_inst_pref_size 0
		.amdhsa_round_robin_scheduling 0
		.amdhsa_exception_fp_ieee_invalid_op 0
		.amdhsa_exception_fp_denorm_src 0
		.amdhsa_exception_fp_ieee_div_zero 0
		.amdhsa_exception_fp_ieee_overflow 0
		.amdhsa_exception_fp_ieee_underflow 0
		.amdhsa_exception_fp_ieee_inexact 0
		.amdhsa_exception_int_div_zero 0
	.end_amdhsa_kernel
	.section	.text._ZN7rocprim17ROCPRIM_400000_NS6detail17trampoline_kernelINS0_13select_configILj256ELj13ELNS0_17block_load_methodE3ELS4_3ELS4_3ELNS0_20block_scan_algorithmE0ELj4294967295EEENS1_25partition_config_selectorILNS1_17partition_subalgoE3EjNS0_10empty_typeEbEEZZNS1_14partition_implILS8_3ELb0ES6_jNS0_17counting_iteratorIjlEEPS9_SE_NS0_5tupleIJPjSE_EEENSF_IJSE_SE_EEES9_SG_JZNS1_25segmented_radix_sort_implINS0_14default_configELb0EPKhPhPKlPlN2at6native12_GLOBAL__N_18offset_tEEE10hipError_tPvRmT1_PNSt15iterator_traitsISY_E10value_typeET2_T3_PNSZ_IS14_E10value_typeET4_jRbjT5_S1A_jjP12ihipStream_tbEUljE_EEESV_SW_SX_S14_S18_S1A_T6_T7_T9_mT8_S1C_bDpT10_ENKUlT_T0_E_clISt17integral_constantIbLb1EES1O_IbLb0EEEEDaS1K_S1L_EUlS1K_E_NS1_11comp_targetILNS1_3genE0ELNS1_11target_archE4294967295ELNS1_3gpuE0ELNS1_3repE0EEENS1_30default_config_static_selectorELNS0_4arch9wavefront6targetE0EEEvSY_,"axG",@progbits,_ZN7rocprim17ROCPRIM_400000_NS6detail17trampoline_kernelINS0_13select_configILj256ELj13ELNS0_17block_load_methodE3ELS4_3ELS4_3ELNS0_20block_scan_algorithmE0ELj4294967295EEENS1_25partition_config_selectorILNS1_17partition_subalgoE3EjNS0_10empty_typeEbEEZZNS1_14partition_implILS8_3ELb0ES6_jNS0_17counting_iteratorIjlEEPS9_SE_NS0_5tupleIJPjSE_EEENSF_IJSE_SE_EEES9_SG_JZNS1_25segmented_radix_sort_implINS0_14default_configELb0EPKhPhPKlPlN2at6native12_GLOBAL__N_18offset_tEEE10hipError_tPvRmT1_PNSt15iterator_traitsISY_E10value_typeET2_T3_PNSZ_IS14_E10value_typeET4_jRbjT5_S1A_jjP12ihipStream_tbEUljE_EEESV_SW_SX_S14_S18_S1A_T6_T7_T9_mT8_S1C_bDpT10_ENKUlT_T0_E_clISt17integral_constantIbLb1EES1O_IbLb0EEEEDaS1K_S1L_EUlS1K_E_NS1_11comp_targetILNS1_3genE0ELNS1_11target_archE4294967295ELNS1_3gpuE0ELNS1_3repE0EEENS1_30default_config_static_selectorELNS0_4arch9wavefront6targetE0EEEvSY_,comdat
.Lfunc_end170:
	.size	_ZN7rocprim17ROCPRIM_400000_NS6detail17trampoline_kernelINS0_13select_configILj256ELj13ELNS0_17block_load_methodE3ELS4_3ELS4_3ELNS0_20block_scan_algorithmE0ELj4294967295EEENS1_25partition_config_selectorILNS1_17partition_subalgoE3EjNS0_10empty_typeEbEEZZNS1_14partition_implILS8_3ELb0ES6_jNS0_17counting_iteratorIjlEEPS9_SE_NS0_5tupleIJPjSE_EEENSF_IJSE_SE_EEES9_SG_JZNS1_25segmented_radix_sort_implINS0_14default_configELb0EPKhPhPKlPlN2at6native12_GLOBAL__N_18offset_tEEE10hipError_tPvRmT1_PNSt15iterator_traitsISY_E10value_typeET2_T3_PNSZ_IS14_E10value_typeET4_jRbjT5_S1A_jjP12ihipStream_tbEUljE_EEESV_SW_SX_S14_S18_S1A_T6_T7_T9_mT8_S1C_bDpT10_ENKUlT_T0_E_clISt17integral_constantIbLb1EES1O_IbLb0EEEEDaS1K_S1L_EUlS1K_E_NS1_11comp_targetILNS1_3genE0ELNS1_11target_archE4294967295ELNS1_3gpuE0ELNS1_3repE0EEENS1_30default_config_static_selectorELNS0_4arch9wavefront6targetE0EEEvSY_, .Lfunc_end170-_ZN7rocprim17ROCPRIM_400000_NS6detail17trampoline_kernelINS0_13select_configILj256ELj13ELNS0_17block_load_methodE3ELS4_3ELS4_3ELNS0_20block_scan_algorithmE0ELj4294967295EEENS1_25partition_config_selectorILNS1_17partition_subalgoE3EjNS0_10empty_typeEbEEZZNS1_14partition_implILS8_3ELb0ES6_jNS0_17counting_iteratorIjlEEPS9_SE_NS0_5tupleIJPjSE_EEENSF_IJSE_SE_EEES9_SG_JZNS1_25segmented_radix_sort_implINS0_14default_configELb0EPKhPhPKlPlN2at6native12_GLOBAL__N_18offset_tEEE10hipError_tPvRmT1_PNSt15iterator_traitsISY_E10value_typeET2_T3_PNSZ_IS14_E10value_typeET4_jRbjT5_S1A_jjP12ihipStream_tbEUljE_EEESV_SW_SX_S14_S18_S1A_T6_T7_T9_mT8_S1C_bDpT10_ENKUlT_T0_E_clISt17integral_constantIbLb1EES1O_IbLb0EEEEDaS1K_S1L_EUlS1K_E_NS1_11comp_targetILNS1_3genE0ELNS1_11target_archE4294967295ELNS1_3gpuE0ELNS1_3repE0EEENS1_30default_config_static_selectorELNS0_4arch9wavefront6targetE0EEEvSY_
                                        ; -- End function
	.set _ZN7rocprim17ROCPRIM_400000_NS6detail17trampoline_kernelINS0_13select_configILj256ELj13ELNS0_17block_load_methodE3ELS4_3ELS4_3ELNS0_20block_scan_algorithmE0ELj4294967295EEENS1_25partition_config_selectorILNS1_17partition_subalgoE3EjNS0_10empty_typeEbEEZZNS1_14partition_implILS8_3ELb0ES6_jNS0_17counting_iteratorIjlEEPS9_SE_NS0_5tupleIJPjSE_EEENSF_IJSE_SE_EEES9_SG_JZNS1_25segmented_radix_sort_implINS0_14default_configELb0EPKhPhPKlPlN2at6native12_GLOBAL__N_18offset_tEEE10hipError_tPvRmT1_PNSt15iterator_traitsISY_E10value_typeET2_T3_PNSZ_IS14_E10value_typeET4_jRbjT5_S1A_jjP12ihipStream_tbEUljE_EEESV_SW_SX_S14_S18_S1A_T6_T7_T9_mT8_S1C_bDpT10_ENKUlT_T0_E_clISt17integral_constantIbLb1EES1O_IbLb0EEEEDaS1K_S1L_EUlS1K_E_NS1_11comp_targetILNS1_3genE0ELNS1_11target_archE4294967295ELNS1_3gpuE0ELNS1_3repE0EEENS1_30default_config_static_selectorELNS0_4arch9wavefront6targetE0EEEvSY_.num_vgpr, 0
	.set _ZN7rocprim17ROCPRIM_400000_NS6detail17trampoline_kernelINS0_13select_configILj256ELj13ELNS0_17block_load_methodE3ELS4_3ELS4_3ELNS0_20block_scan_algorithmE0ELj4294967295EEENS1_25partition_config_selectorILNS1_17partition_subalgoE3EjNS0_10empty_typeEbEEZZNS1_14partition_implILS8_3ELb0ES6_jNS0_17counting_iteratorIjlEEPS9_SE_NS0_5tupleIJPjSE_EEENSF_IJSE_SE_EEES9_SG_JZNS1_25segmented_radix_sort_implINS0_14default_configELb0EPKhPhPKlPlN2at6native12_GLOBAL__N_18offset_tEEE10hipError_tPvRmT1_PNSt15iterator_traitsISY_E10value_typeET2_T3_PNSZ_IS14_E10value_typeET4_jRbjT5_S1A_jjP12ihipStream_tbEUljE_EEESV_SW_SX_S14_S18_S1A_T6_T7_T9_mT8_S1C_bDpT10_ENKUlT_T0_E_clISt17integral_constantIbLb1EES1O_IbLb0EEEEDaS1K_S1L_EUlS1K_E_NS1_11comp_targetILNS1_3genE0ELNS1_11target_archE4294967295ELNS1_3gpuE0ELNS1_3repE0EEENS1_30default_config_static_selectorELNS0_4arch9wavefront6targetE0EEEvSY_.num_agpr, 0
	.set _ZN7rocprim17ROCPRIM_400000_NS6detail17trampoline_kernelINS0_13select_configILj256ELj13ELNS0_17block_load_methodE3ELS4_3ELS4_3ELNS0_20block_scan_algorithmE0ELj4294967295EEENS1_25partition_config_selectorILNS1_17partition_subalgoE3EjNS0_10empty_typeEbEEZZNS1_14partition_implILS8_3ELb0ES6_jNS0_17counting_iteratorIjlEEPS9_SE_NS0_5tupleIJPjSE_EEENSF_IJSE_SE_EEES9_SG_JZNS1_25segmented_radix_sort_implINS0_14default_configELb0EPKhPhPKlPlN2at6native12_GLOBAL__N_18offset_tEEE10hipError_tPvRmT1_PNSt15iterator_traitsISY_E10value_typeET2_T3_PNSZ_IS14_E10value_typeET4_jRbjT5_S1A_jjP12ihipStream_tbEUljE_EEESV_SW_SX_S14_S18_S1A_T6_T7_T9_mT8_S1C_bDpT10_ENKUlT_T0_E_clISt17integral_constantIbLb1EES1O_IbLb0EEEEDaS1K_S1L_EUlS1K_E_NS1_11comp_targetILNS1_3genE0ELNS1_11target_archE4294967295ELNS1_3gpuE0ELNS1_3repE0EEENS1_30default_config_static_selectorELNS0_4arch9wavefront6targetE0EEEvSY_.numbered_sgpr, 0
	.set _ZN7rocprim17ROCPRIM_400000_NS6detail17trampoline_kernelINS0_13select_configILj256ELj13ELNS0_17block_load_methodE3ELS4_3ELS4_3ELNS0_20block_scan_algorithmE0ELj4294967295EEENS1_25partition_config_selectorILNS1_17partition_subalgoE3EjNS0_10empty_typeEbEEZZNS1_14partition_implILS8_3ELb0ES6_jNS0_17counting_iteratorIjlEEPS9_SE_NS0_5tupleIJPjSE_EEENSF_IJSE_SE_EEES9_SG_JZNS1_25segmented_radix_sort_implINS0_14default_configELb0EPKhPhPKlPlN2at6native12_GLOBAL__N_18offset_tEEE10hipError_tPvRmT1_PNSt15iterator_traitsISY_E10value_typeET2_T3_PNSZ_IS14_E10value_typeET4_jRbjT5_S1A_jjP12ihipStream_tbEUljE_EEESV_SW_SX_S14_S18_S1A_T6_T7_T9_mT8_S1C_bDpT10_ENKUlT_T0_E_clISt17integral_constantIbLb1EES1O_IbLb0EEEEDaS1K_S1L_EUlS1K_E_NS1_11comp_targetILNS1_3genE0ELNS1_11target_archE4294967295ELNS1_3gpuE0ELNS1_3repE0EEENS1_30default_config_static_selectorELNS0_4arch9wavefront6targetE0EEEvSY_.num_named_barrier, 0
	.set _ZN7rocprim17ROCPRIM_400000_NS6detail17trampoline_kernelINS0_13select_configILj256ELj13ELNS0_17block_load_methodE3ELS4_3ELS4_3ELNS0_20block_scan_algorithmE0ELj4294967295EEENS1_25partition_config_selectorILNS1_17partition_subalgoE3EjNS0_10empty_typeEbEEZZNS1_14partition_implILS8_3ELb0ES6_jNS0_17counting_iteratorIjlEEPS9_SE_NS0_5tupleIJPjSE_EEENSF_IJSE_SE_EEES9_SG_JZNS1_25segmented_radix_sort_implINS0_14default_configELb0EPKhPhPKlPlN2at6native12_GLOBAL__N_18offset_tEEE10hipError_tPvRmT1_PNSt15iterator_traitsISY_E10value_typeET2_T3_PNSZ_IS14_E10value_typeET4_jRbjT5_S1A_jjP12ihipStream_tbEUljE_EEESV_SW_SX_S14_S18_S1A_T6_T7_T9_mT8_S1C_bDpT10_ENKUlT_T0_E_clISt17integral_constantIbLb1EES1O_IbLb0EEEEDaS1K_S1L_EUlS1K_E_NS1_11comp_targetILNS1_3genE0ELNS1_11target_archE4294967295ELNS1_3gpuE0ELNS1_3repE0EEENS1_30default_config_static_selectorELNS0_4arch9wavefront6targetE0EEEvSY_.private_seg_size, 0
	.set _ZN7rocprim17ROCPRIM_400000_NS6detail17trampoline_kernelINS0_13select_configILj256ELj13ELNS0_17block_load_methodE3ELS4_3ELS4_3ELNS0_20block_scan_algorithmE0ELj4294967295EEENS1_25partition_config_selectorILNS1_17partition_subalgoE3EjNS0_10empty_typeEbEEZZNS1_14partition_implILS8_3ELb0ES6_jNS0_17counting_iteratorIjlEEPS9_SE_NS0_5tupleIJPjSE_EEENSF_IJSE_SE_EEES9_SG_JZNS1_25segmented_radix_sort_implINS0_14default_configELb0EPKhPhPKlPlN2at6native12_GLOBAL__N_18offset_tEEE10hipError_tPvRmT1_PNSt15iterator_traitsISY_E10value_typeET2_T3_PNSZ_IS14_E10value_typeET4_jRbjT5_S1A_jjP12ihipStream_tbEUljE_EEESV_SW_SX_S14_S18_S1A_T6_T7_T9_mT8_S1C_bDpT10_ENKUlT_T0_E_clISt17integral_constantIbLb1EES1O_IbLb0EEEEDaS1K_S1L_EUlS1K_E_NS1_11comp_targetILNS1_3genE0ELNS1_11target_archE4294967295ELNS1_3gpuE0ELNS1_3repE0EEENS1_30default_config_static_selectorELNS0_4arch9wavefront6targetE0EEEvSY_.uses_vcc, 0
	.set _ZN7rocprim17ROCPRIM_400000_NS6detail17trampoline_kernelINS0_13select_configILj256ELj13ELNS0_17block_load_methodE3ELS4_3ELS4_3ELNS0_20block_scan_algorithmE0ELj4294967295EEENS1_25partition_config_selectorILNS1_17partition_subalgoE3EjNS0_10empty_typeEbEEZZNS1_14partition_implILS8_3ELb0ES6_jNS0_17counting_iteratorIjlEEPS9_SE_NS0_5tupleIJPjSE_EEENSF_IJSE_SE_EEES9_SG_JZNS1_25segmented_radix_sort_implINS0_14default_configELb0EPKhPhPKlPlN2at6native12_GLOBAL__N_18offset_tEEE10hipError_tPvRmT1_PNSt15iterator_traitsISY_E10value_typeET2_T3_PNSZ_IS14_E10value_typeET4_jRbjT5_S1A_jjP12ihipStream_tbEUljE_EEESV_SW_SX_S14_S18_S1A_T6_T7_T9_mT8_S1C_bDpT10_ENKUlT_T0_E_clISt17integral_constantIbLb1EES1O_IbLb0EEEEDaS1K_S1L_EUlS1K_E_NS1_11comp_targetILNS1_3genE0ELNS1_11target_archE4294967295ELNS1_3gpuE0ELNS1_3repE0EEENS1_30default_config_static_selectorELNS0_4arch9wavefront6targetE0EEEvSY_.uses_flat_scratch, 0
	.set _ZN7rocprim17ROCPRIM_400000_NS6detail17trampoline_kernelINS0_13select_configILj256ELj13ELNS0_17block_load_methodE3ELS4_3ELS4_3ELNS0_20block_scan_algorithmE0ELj4294967295EEENS1_25partition_config_selectorILNS1_17partition_subalgoE3EjNS0_10empty_typeEbEEZZNS1_14partition_implILS8_3ELb0ES6_jNS0_17counting_iteratorIjlEEPS9_SE_NS0_5tupleIJPjSE_EEENSF_IJSE_SE_EEES9_SG_JZNS1_25segmented_radix_sort_implINS0_14default_configELb0EPKhPhPKlPlN2at6native12_GLOBAL__N_18offset_tEEE10hipError_tPvRmT1_PNSt15iterator_traitsISY_E10value_typeET2_T3_PNSZ_IS14_E10value_typeET4_jRbjT5_S1A_jjP12ihipStream_tbEUljE_EEESV_SW_SX_S14_S18_S1A_T6_T7_T9_mT8_S1C_bDpT10_ENKUlT_T0_E_clISt17integral_constantIbLb1EES1O_IbLb0EEEEDaS1K_S1L_EUlS1K_E_NS1_11comp_targetILNS1_3genE0ELNS1_11target_archE4294967295ELNS1_3gpuE0ELNS1_3repE0EEENS1_30default_config_static_selectorELNS0_4arch9wavefront6targetE0EEEvSY_.has_dyn_sized_stack, 0
	.set _ZN7rocprim17ROCPRIM_400000_NS6detail17trampoline_kernelINS0_13select_configILj256ELj13ELNS0_17block_load_methodE3ELS4_3ELS4_3ELNS0_20block_scan_algorithmE0ELj4294967295EEENS1_25partition_config_selectorILNS1_17partition_subalgoE3EjNS0_10empty_typeEbEEZZNS1_14partition_implILS8_3ELb0ES6_jNS0_17counting_iteratorIjlEEPS9_SE_NS0_5tupleIJPjSE_EEENSF_IJSE_SE_EEES9_SG_JZNS1_25segmented_radix_sort_implINS0_14default_configELb0EPKhPhPKlPlN2at6native12_GLOBAL__N_18offset_tEEE10hipError_tPvRmT1_PNSt15iterator_traitsISY_E10value_typeET2_T3_PNSZ_IS14_E10value_typeET4_jRbjT5_S1A_jjP12ihipStream_tbEUljE_EEESV_SW_SX_S14_S18_S1A_T6_T7_T9_mT8_S1C_bDpT10_ENKUlT_T0_E_clISt17integral_constantIbLb1EES1O_IbLb0EEEEDaS1K_S1L_EUlS1K_E_NS1_11comp_targetILNS1_3genE0ELNS1_11target_archE4294967295ELNS1_3gpuE0ELNS1_3repE0EEENS1_30default_config_static_selectorELNS0_4arch9wavefront6targetE0EEEvSY_.has_recursion, 0
	.set _ZN7rocprim17ROCPRIM_400000_NS6detail17trampoline_kernelINS0_13select_configILj256ELj13ELNS0_17block_load_methodE3ELS4_3ELS4_3ELNS0_20block_scan_algorithmE0ELj4294967295EEENS1_25partition_config_selectorILNS1_17partition_subalgoE3EjNS0_10empty_typeEbEEZZNS1_14partition_implILS8_3ELb0ES6_jNS0_17counting_iteratorIjlEEPS9_SE_NS0_5tupleIJPjSE_EEENSF_IJSE_SE_EEES9_SG_JZNS1_25segmented_radix_sort_implINS0_14default_configELb0EPKhPhPKlPlN2at6native12_GLOBAL__N_18offset_tEEE10hipError_tPvRmT1_PNSt15iterator_traitsISY_E10value_typeET2_T3_PNSZ_IS14_E10value_typeET4_jRbjT5_S1A_jjP12ihipStream_tbEUljE_EEESV_SW_SX_S14_S18_S1A_T6_T7_T9_mT8_S1C_bDpT10_ENKUlT_T0_E_clISt17integral_constantIbLb1EES1O_IbLb0EEEEDaS1K_S1L_EUlS1K_E_NS1_11comp_targetILNS1_3genE0ELNS1_11target_archE4294967295ELNS1_3gpuE0ELNS1_3repE0EEENS1_30default_config_static_selectorELNS0_4arch9wavefront6targetE0EEEvSY_.has_indirect_call, 0
	.section	.AMDGPU.csdata,"",@progbits
; Kernel info:
; codeLenInByte = 0
; TotalNumSgprs: 0
; NumVgprs: 0
; ScratchSize: 0
; MemoryBound: 0
; FloatMode: 240
; IeeeMode: 1
; LDSByteSize: 0 bytes/workgroup (compile time only)
; SGPRBlocks: 0
; VGPRBlocks: 0
; NumSGPRsForWavesPerEU: 1
; NumVGPRsForWavesPerEU: 1
; Occupancy: 16
; WaveLimiterHint : 0
; COMPUTE_PGM_RSRC2:SCRATCH_EN: 0
; COMPUTE_PGM_RSRC2:USER_SGPR: 2
; COMPUTE_PGM_RSRC2:TRAP_HANDLER: 0
; COMPUTE_PGM_RSRC2:TGID_X_EN: 1
; COMPUTE_PGM_RSRC2:TGID_Y_EN: 0
; COMPUTE_PGM_RSRC2:TGID_Z_EN: 0
; COMPUTE_PGM_RSRC2:TIDIG_COMP_CNT: 0
	.section	.text._ZN7rocprim17ROCPRIM_400000_NS6detail17trampoline_kernelINS0_13select_configILj256ELj13ELNS0_17block_load_methodE3ELS4_3ELS4_3ELNS0_20block_scan_algorithmE0ELj4294967295EEENS1_25partition_config_selectorILNS1_17partition_subalgoE3EjNS0_10empty_typeEbEEZZNS1_14partition_implILS8_3ELb0ES6_jNS0_17counting_iteratorIjlEEPS9_SE_NS0_5tupleIJPjSE_EEENSF_IJSE_SE_EEES9_SG_JZNS1_25segmented_radix_sort_implINS0_14default_configELb0EPKhPhPKlPlN2at6native12_GLOBAL__N_18offset_tEEE10hipError_tPvRmT1_PNSt15iterator_traitsISY_E10value_typeET2_T3_PNSZ_IS14_E10value_typeET4_jRbjT5_S1A_jjP12ihipStream_tbEUljE_EEESV_SW_SX_S14_S18_S1A_T6_T7_T9_mT8_S1C_bDpT10_ENKUlT_T0_E_clISt17integral_constantIbLb1EES1O_IbLb0EEEEDaS1K_S1L_EUlS1K_E_NS1_11comp_targetILNS1_3genE5ELNS1_11target_archE942ELNS1_3gpuE9ELNS1_3repE0EEENS1_30default_config_static_selectorELNS0_4arch9wavefront6targetE0EEEvSY_,"axG",@progbits,_ZN7rocprim17ROCPRIM_400000_NS6detail17trampoline_kernelINS0_13select_configILj256ELj13ELNS0_17block_load_methodE3ELS4_3ELS4_3ELNS0_20block_scan_algorithmE0ELj4294967295EEENS1_25partition_config_selectorILNS1_17partition_subalgoE3EjNS0_10empty_typeEbEEZZNS1_14partition_implILS8_3ELb0ES6_jNS0_17counting_iteratorIjlEEPS9_SE_NS0_5tupleIJPjSE_EEENSF_IJSE_SE_EEES9_SG_JZNS1_25segmented_radix_sort_implINS0_14default_configELb0EPKhPhPKlPlN2at6native12_GLOBAL__N_18offset_tEEE10hipError_tPvRmT1_PNSt15iterator_traitsISY_E10value_typeET2_T3_PNSZ_IS14_E10value_typeET4_jRbjT5_S1A_jjP12ihipStream_tbEUljE_EEESV_SW_SX_S14_S18_S1A_T6_T7_T9_mT8_S1C_bDpT10_ENKUlT_T0_E_clISt17integral_constantIbLb1EES1O_IbLb0EEEEDaS1K_S1L_EUlS1K_E_NS1_11comp_targetILNS1_3genE5ELNS1_11target_archE942ELNS1_3gpuE9ELNS1_3repE0EEENS1_30default_config_static_selectorELNS0_4arch9wavefront6targetE0EEEvSY_,comdat
	.globl	_ZN7rocprim17ROCPRIM_400000_NS6detail17trampoline_kernelINS0_13select_configILj256ELj13ELNS0_17block_load_methodE3ELS4_3ELS4_3ELNS0_20block_scan_algorithmE0ELj4294967295EEENS1_25partition_config_selectorILNS1_17partition_subalgoE3EjNS0_10empty_typeEbEEZZNS1_14partition_implILS8_3ELb0ES6_jNS0_17counting_iteratorIjlEEPS9_SE_NS0_5tupleIJPjSE_EEENSF_IJSE_SE_EEES9_SG_JZNS1_25segmented_radix_sort_implINS0_14default_configELb0EPKhPhPKlPlN2at6native12_GLOBAL__N_18offset_tEEE10hipError_tPvRmT1_PNSt15iterator_traitsISY_E10value_typeET2_T3_PNSZ_IS14_E10value_typeET4_jRbjT5_S1A_jjP12ihipStream_tbEUljE_EEESV_SW_SX_S14_S18_S1A_T6_T7_T9_mT8_S1C_bDpT10_ENKUlT_T0_E_clISt17integral_constantIbLb1EES1O_IbLb0EEEEDaS1K_S1L_EUlS1K_E_NS1_11comp_targetILNS1_3genE5ELNS1_11target_archE942ELNS1_3gpuE9ELNS1_3repE0EEENS1_30default_config_static_selectorELNS0_4arch9wavefront6targetE0EEEvSY_ ; -- Begin function _ZN7rocprim17ROCPRIM_400000_NS6detail17trampoline_kernelINS0_13select_configILj256ELj13ELNS0_17block_load_methodE3ELS4_3ELS4_3ELNS0_20block_scan_algorithmE0ELj4294967295EEENS1_25partition_config_selectorILNS1_17partition_subalgoE3EjNS0_10empty_typeEbEEZZNS1_14partition_implILS8_3ELb0ES6_jNS0_17counting_iteratorIjlEEPS9_SE_NS0_5tupleIJPjSE_EEENSF_IJSE_SE_EEES9_SG_JZNS1_25segmented_radix_sort_implINS0_14default_configELb0EPKhPhPKlPlN2at6native12_GLOBAL__N_18offset_tEEE10hipError_tPvRmT1_PNSt15iterator_traitsISY_E10value_typeET2_T3_PNSZ_IS14_E10value_typeET4_jRbjT5_S1A_jjP12ihipStream_tbEUljE_EEESV_SW_SX_S14_S18_S1A_T6_T7_T9_mT8_S1C_bDpT10_ENKUlT_T0_E_clISt17integral_constantIbLb1EES1O_IbLb0EEEEDaS1K_S1L_EUlS1K_E_NS1_11comp_targetILNS1_3genE5ELNS1_11target_archE942ELNS1_3gpuE9ELNS1_3repE0EEENS1_30default_config_static_selectorELNS0_4arch9wavefront6targetE0EEEvSY_
	.p2align	8
	.type	_ZN7rocprim17ROCPRIM_400000_NS6detail17trampoline_kernelINS0_13select_configILj256ELj13ELNS0_17block_load_methodE3ELS4_3ELS4_3ELNS0_20block_scan_algorithmE0ELj4294967295EEENS1_25partition_config_selectorILNS1_17partition_subalgoE3EjNS0_10empty_typeEbEEZZNS1_14partition_implILS8_3ELb0ES6_jNS0_17counting_iteratorIjlEEPS9_SE_NS0_5tupleIJPjSE_EEENSF_IJSE_SE_EEES9_SG_JZNS1_25segmented_radix_sort_implINS0_14default_configELb0EPKhPhPKlPlN2at6native12_GLOBAL__N_18offset_tEEE10hipError_tPvRmT1_PNSt15iterator_traitsISY_E10value_typeET2_T3_PNSZ_IS14_E10value_typeET4_jRbjT5_S1A_jjP12ihipStream_tbEUljE_EEESV_SW_SX_S14_S18_S1A_T6_T7_T9_mT8_S1C_bDpT10_ENKUlT_T0_E_clISt17integral_constantIbLb1EES1O_IbLb0EEEEDaS1K_S1L_EUlS1K_E_NS1_11comp_targetILNS1_3genE5ELNS1_11target_archE942ELNS1_3gpuE9ELNS1_3repE0EEENS1_30default_config_static_selectorELNS0_4arch9wavefront6targetE0EEEvSY_,@function
_ZN7rocprim17ROCPRIM_400000_NS6detail17trampoline_kernelINS0_13select_configILj256ELj13ELNS0_17block_load_methodE3ELS4_3ELS4_3ELNS0_20block_scan_algorithmE0ELj4294967295EEENS1_25partition_config_selectorILNS1_17partition_subalgoE3EjNS0_10empty_typeEbEEZZNS1_14partition_implILS8_3ELb0ES6_jNS0_17counting_iteratorIjlEEPS9_SE_NS0_5tupleIJPjSE_EEENSF_IJSE_SE_EEES9_SG_JZNS1_25segmented_radix_sort_implINS0_14default_configELb0EPKhPhPKlPlN2at6native12_GLOBAL__N_18offset_tEEE10hipError_tPvRmT1_PNSt15iterator_traitsISY_E10value_typeET2_T3_PNSZ_IS14_E10value_typeET4_jRbjT5_S1A_jjP12ihipStream_tbEUljE_EEESV_SW_SX_S14_S18_S1A_T6_T7_T9_mT8_S1C_bDpT10_ENKUlT_T0_E_clISt17integral_constantIbLb1EES1O_IbLb0EEEEDaS1K_S1L_EUlS1K_E_NS1_11comp_targetILNS1_3genE5ELNS1_11target_archE942ELNS1_3gpuE9ELNS1_3repE0EEENS1_30default_config_static_selectorELNS0_4arch9wavefront6targetE0EEEvSY_: ; @_ZN7rocprim17ROCPRIM_400000_NS6detail17trampoline_kernelINS0_13select_configILj256ELj13ELNS0_17block_load_methodE3ELS4_3ELS4_3ELNS0_20block_scan_algorithmE0ELj4294967295EEENS1_25partition_config_selectorILNS1_17partition_subalgoE3EjNS0_10empty_typeEbEEZZNS1_14partition_implILS8_3ELb0ES6_jNS0_17counting_iteratorIjlEEPS9_SE_NS0_5tupleIJPjSE_EEENSF_IJSE_SE_EEES9_SG_JZNS1_25segmented_radix_sort_implINS0_14default_configELb0EPKhPhPKlPlN2at6native12_GLOBAL__N_18offset_tEEE10hipError_tPvRmT1_PNSt15iterator_traitsISY_E10value_typeET2_T3_PNSZ_IS14_E10value_typeET4_jRbjT5_S1A_jjP12ihipStream_tbEUljE_EEESV_SW_SX_S14_S18_S1A_T6_T7_T9_mT8_S1C_bDpT10_ENKUlT_T0_E_clISt17integral_constantIbLb1EES1O_IbLb0EEEEDaS1K_S1L_EUlS1K_E_NS1_11comp_targetILNS1_3genE5ELNS1_11target_archE942ELNS1_3gpuE9ELNS1_3repE0EEENS1_30default_config_static_selectorELNS0_4arch9wavefront6targetE0EEEvSY_
; %bb.0:
	.section	.rodata,"a",@progbits
	.p2align	6, 0x0
	.amdhsa_kernel _ZN7rocprim17ROCPRIM_400000_NS6detail17trampoline_kernelINS0_13select_configILj256ELj13ELNS0_17block_load_methodE3ELS4_3ELS4_3ELNS0_20block_scan_algorithmE0ELj4294967295EEENS1_25partition_config_selectorILNS1_17partition_subalgoE3EjNS0_10empty_typeEbEEZZNS1_14partition_implILS8_3ELb0ES6_jNS0_17counting_iteratorIjlEEPS9_SE_NS0_5tupleIJPjSE_EEENSF_IJSE_SE_EEES9_SG_JZNS1_25segmented_radix_sort_implINS0_14default_configELb0EPKhPhPKlPlN2at6native12_GLOBAL__N_18offset_tEEE10hipError_tPvRmT1_PNSt15iterator_traitsISY_E10value_typeET2_T3_PNSZ_IS14_E10value_typeET4_jRbjT5_S1A_jjP12ihipStream_tbEUljE_EEESV_SW_SX_S14_S18_S1A_T6_T7_T9_mT8_S1C_bDpT10_ENKUlT_T0_E_clISt17integral_constantIbLb1EES1O_IbLb0EEEEDaS1K_S1L_EUlS1K_E_NS1_11comp_targetILNS1_3genE5ELNS1_11target_archE942ELNS1_3gpuE9ELNS1_3repE0EEENS1_30default_config_static_selectorELNS0_4arch9wavefront6targetE0EEEvSY_
		.amdhsa_group_segment_fixed_size 0
		.amdhsa_private_segment_fixed_size 0
		.amdhsa_kernarg_size 144
		.amdhsa_user_sgpr_count 2
		.amdhsa_user_sgpr_dispatch_ptr 0
		.amdhsa_user_sgpr_queue_ptr 0
		.amdhsa_user_sgpr_kernarg_segment_ptr 1
		.amdhsa_user_sgpr_dispatch_id 0
		.amdhsa_user_sgpr_private_segment_size 0
		.amdhsa_wavefront_size32 1
		.amdhsa_uses_dynamic_stack 0
		.amdhsa_enable_private_segment 0
		.amdhsa_system_sgpr_workgroup_id_x 1
		.amdhsa_system_sgpr_workgroup_id_y 0
		.amdhsa_system_sgpr_workgroup_id_z 0
		.amdhsa_system_sgpr_workgroup_info 0
		.amdhsa_system_vgpr_workitem_id 0
		.amdhsa_next_free_vgpr 1
		.amdhsa_next_free_sgpr 1
		.amdhsa_reserve_vcc 0
		.amdhsa_float_round_mode_32 0
		.amdhsa_float_round_mode_16_64 0
		.amdhsa_float_denorm_mode_32 3
		.amdhsa_float_denorm_mode_16_64 3
		.amdhsa_fp16_overflow 0
		.amdhsa_workgroup_processor_mode 1
		.amdhsa_memory_ordered 1
		.amdhsa_forward_progress 1
		.amdhsa_inst_pref_size 0
		.amdhsa_round_robin_scheduling 0
		.amdhsa_exception_fp_ieee_invalid_op 0
		.amdhsa_exception_fp_denorm_src 0
		.amdhsa_exception_fp_ieee_div_zero 0
		.amdhsa_exception_fp_ieee_overflow 0
		.amdhsa_exception_fp_ieee_underflow 0
		.amdhsa_exception_fp_ieee_inexact 0
		.amdhsa_exception_int_div_zero 0
	.end_amdhsa_kernel
	.section	.text._ZN7rocprim17ROCPRIM_400000_NS6detail17trampoline_kernelINS0_13select_configILj256ELj13ELNS0_17block_load_methodE3ELS4_3ELS4_3ELNS0_20block_scan_algorithmE0ELj4294967295EEENS1_25partition_config_selectorILNS1_17partition_subalgoE3EjNS0_10empty_typeEbEEZZNS1_14partition_implILS8_3ELb0ES6_jNS0_17counting_iteratorIjlEEPS9_SE_NS0_5tupleIJPjSE_EEENSF_IJSE_SE_EEES9_SG_JZNS1_25segmented_radix_sort_implINS0_14default_configELb0EPKhPhPKlPlN2at6native12_GLOBAL__N_18offset_tEEE10hipError_tPvRmT1_PNSt15iterator_traitsISY_E10value_typeET2_T3_PNSZ_IS14_E10value_typeET4_jRbjT5_S1A_jjP12ihipStream_tbEUljE_EEESV_SW_SX_S14_S18_S1A_T6_T7_T9_mT8_S1C_bDpT10_ENKUlT_T0_E_clISt17integral_constantIbLb1EES1O_IbLb0EEEEDaS1K_S1L_EUlS1K_E_NS1_11comp_targetILNS1_3genE5ELNS1_11target_archE942ELNS1_3gpuE9ELNS1_3repE0EEENS1_30default_config_static_selectorELNS0_4arch9wavefront6targetE0EEEvSY_,"axG",@progbits,_ZN7rocprim17ROCPRIM_400000_NS6detail17trampoline_kernelINS0_13select_configILj256ELj13ELNS0_17block_load_methodE3ELS4_3ELS4_3ELNS0_20block_scan_algorithmE0ELj4294967295EEENS1_25partition_config_selectorILNS1_17partition_subalgoE3EjNS0_10empty_typeEbEEZZNS1_14partition_implILS8_3ELb0ES6_jNS0_17counting_iteratorIjlEEPS9_SE_NS0_5tupleIJPjSE_EEENSF_IJSE_SE_EEES9_SG_JZNS1_25segmented_radix_sort_implINS0_14default_configELb0EPKhPhPKlPlN2at6native12_GLOBAL__N_18offset_tEEE10hipError_tPvRmT1_PNSt15iterator_traitsISY_E10value_typeET2_T3_PNSZ_IS14_E10value_typeET4_jRbjT5_S1A_jjP12ihipStream_tbEUljE_EEESV_SW_SX_S14_S18_S1A_T6_T7_T9_mT8_S1C_bDpT10_ENKUlT_T0_E_clISt17integral_constantIbLb1EES1O_IbLb0EEEEDaS1K_S1L_EUlS1K_E_NS1_11comp_targetILNS1_3genE5ELNS1_11target_archE942ELNS1_3gpuE9ELNS1_3repE0EEENS1_30default_config_static_selectorELNS0_4arch9wavefront6targetE0EEEvSY_,comdat
.Lfunc_end171:
	.size	_ZN7rocprim17ROCPRIM_400000_NS6detail17trampoline_kernelINS0_13select_configILj256ELj13ELNS0_17block_load_methodE3ELS4_3ELS4_3ELNS0_20block_scan_algorithmE0ELj4294967295EEENS1_25partition_config_selectorILNS1_17partition_subalgoE3EjNS0_10empty_typeEbEEZZNS1_14partition_implILS8_3ELb0ES6_jNS0_17counting_iteratorIjlEEPS9_SE_NS0_5tupleIJPjSE_EEENSF_IJSE_SE_EEES9_SG_JZNS1_25segmented_radix_sort_implINS0_14default_configELb0EPKhPhPKlPlN2at6native12_GLOBAL__N_18offset_tEEE10hipError_tPvRmT1_PNSt15iterator_traitsISY_E10value_typeET2_T3_PNSZ_IS14_E10value_typeET4_jRbjT5_S1A_jjP12ihipStream_tbEUljE_EEESV_SW_SX_S14_S18_S1A_T6_T7_T9_mT8_S1C_bDpT10_ENKUlT_T0_E_clISt17integral_constantIbLb1EES1O_IbLb0EEEEDaS1K_S1L_EUlS1K_E_NS1_11comp_targetILNS1_3genE5ELNS1_11target_archE942ELNS1_3gpuE9ELNS1_3repE0EEENS1_30default_config_static_selectorELNS0_4arch9wavefront6targetE0EEEvSY_, .Lfunc_end171-_ZN7rocprim17ROCPRIM_400000_NS6detail17trampoline_kernelINS0_13select_configILj256ELj13ELNS0_17block_load_methodE3ELS4_3ELS4_3ELNS0_20block_scan_algorithmE0ELj4294967295EEENS1_25partition_config_selectorILNS1_17partition_subalgoE3EjNS0_10empty_typeEbEEZZNS1_14partition_implILS8_3ELb0ES6_jNS0_17counting_iteratorIjlEEPS9_SE_NS0_5tupleIJPjSE_EEENSF_IJSE_SE_EEES9_SG_JZNS1_25segmented_radix_sort_implINS0_14default_configELb0EPKhPhPKlPlN2at6native12_GLOBAL__N_18offset_tEEE10hipError_tPvRmT1_PNSt15iterator_traitsISY_E10value_typeET2_T3_PNSZ_IS14_E10value_typeET4_jRbjT5_S1A_jjP12ihipStream_tbEUljE_EEESV_SW_SX_S14_S18_S1A_T6_T7_T9_mT8_S1C_bDpT10_ENKUlT_T0_E_clISt17integral_constantIbLb1EES1O_IbLb0EEEEDaS1K_S1L_EUlS1K_E_NS1_11comp_targetILNS1_3genE5ELNS1_11target_archE942ELNS1_3gpuE9ELNS1_3repE0EEENS1_30default_config_static_selectorELNS0_4arch9wavefront6targetE0EEEvSY_
                                        ; -- End function
	.set _ZN7rocprim17ROCPRIM_400000_NS6detail17trampoline_kernelINS0_13select_configILj256ELj13ELNS0_17block_load_methodE3ELS4_3ELS4_3ELNS0_20block_scan_algorithmE0ELj4294967295EEENS1_25partition_config_selectorILNS1_17partition_subalgoE3EjNS0_10empty_typeEbEEZZNS1_14partition_implILS8_3ELb0ES6_jNS0_17counting_iteratorIjlEEPS9_SE_NS0_5tupleIJPjSE_EEENSF_IJSE_SE_EEES9_SG_JZNS1_25segmented_radix_sort_implINS0_14default_configELb0EPKhPhPKlPlN2at6native12_GLOBAL__N_18offset_tEEE10hipError_tPvRmT1_PNSt15iterator_traitsISY_E10value_typeET2_T3_PNSZ_IS14_E10value_typeET4_jRbjT5_S1A_jjP12ihipStream_tbEUljE_EEESV_SW_SX_S14_S18_S1A_T6_T7_T9_mT8_S1C_bDpT10_ENKUlT_T0_E_clISt17integral_constantIbLb1EES1O_IbLb0EEEEDaS1K_S1L_EUlS1K_E_NS1_11comp_targetILNS1_3genE5ELNS1_11target_archE942ELNS1_3gpuE9ELNS1_3repE0EEENS1_30default_config_static_selectorELNS0_4arch9wavefront6targetE0EEEvSY_.num_vgpr, 0
	.set _ZN7rocprim17ROCPRIM_400000_NS6detail17trampoline_kernelINS0_13select_configILj256ELj13ELNS0_17block_load_methodE3ELS4_3ELS4_3ELNS0_20block_scan_algorithmE0ELj4294967295EEENS1_25partition_config_selectorILNS1_17partition_subalgoE3EjNS0_10empty_typeEbEEZZNS1_14partition_implILS8_3ELb0ES6_jNS0_17counting_iteratorIjlEEPS9_SE_NS0_5tupleIJPjSE_EEENSF_IJSE_SE_EEES9_SG_JZNS1_25segmented_radix_sort_implINS0_14default_configELb0EPKhPhPKlPlN2at6native12_GLOBAL__N_18offset_tEEE10hipError_tPvRmT1_PNSt15iterator_traitsISY_E10value_typeET2_T3_PNSZ_IS14_E10value_typeET4_jRbjT5_S1A_jjP12ihipStream_tbEUljE_EEESV_SW_SX_S14_S18_S1A_T6_T7_T9_mT8_S1C_bDpT10_ENKUlT_T0_E_clISt17integral_constantIbLb1EES1O_IbLb0EEEEDaS1K_S1L_EUlS1K_E_NS1_11comp_targetILNS1_3genE5ELNS1_11target_archE942ELNS1_3gpuE9ELNS1_3repE0EEENS1_30default_config_static_selectorELNS0_4arch9wavefront6targetE0EEEvSY_.num_agpr, 0
	.set _ZN7rocprim17ROCPRIM_400000_NS6detail17trampoline_kernelINS0_13select_configILj256ELj13ELNS0_17block_load_methodE3ELS4_3ELS4_3ELNS0_20block_scan_algorithmE0ELj4294967295EEENS1_25partition_config_selectorILNS1_17partition_subalgoE3EjNS0_10empty_typeEbEEZZNS1_14partition_implILS8_3ELb0ES6_jNS0_17counting_iteratorIjlEEPS9_SE_NS0_5tupleIJPjSE_EEENSF_IJSE_SE_EEES9_SG_JZNS1_25segmented_radix_sort_implINS0_14default_configELb0EPKhPhPKlPlN2at6native12_GLOBAL__N_18offset_tEEE10hipError_tPvRmT1_PNSt15iterator_traitsISY_E10value_typeET2_T3_PNSZ_IS14_E10value_typeET4_jRbjT5_S1A_jjP12ihipStream_tbEUljE_EEESV_SW_SX_S14_S18_S1A_T6_T7_T9_mT8_S1C_bDpT10_ENKUlT_T0_E_clISt17integral_constantIbLb1EES1O_IbLb0EEEEDaS1K_S1L_EUlS1K_E_NS1_11comp_targetILNS1_3genE5ELNS1_11target_archE942ELNS1_3gpuE9ELNS1_3repE0EEENS1_30default_config_static_selectorELNS0_4arch9wavefront6targetE0EEEvSY_.numbered_sgpr, 0
	.set _ZN7rocprim17ROCPRIM_400000_NS6detail17trampoline_kernelINS0_13select_configILj256ELj13ELNS0_17block_load_methodE3ELS4_3ELS4_3ELNS0_20block_scan_algorithmE0ELj4294967295EEENS1_25partition_config_selectorILNS1_17partition_subalgoE3EjNS0_10empty_typeEbEEZZNS1_14partition_implILS8_3ELb0ES6_jNS0_17counting_iteratorIjlEEPS9_SE_NS0_5tupleIJPjSE_EEENSF_IJSE_SE_EEES9_SG_JZNS1_25segmented_radix_sort_implINS0_14default_configELb0EPKhPhPKlPlN2at6native12_GLOBAL__N_18offset_tEEE10hipError_tPvRmT1_PNSt15iterator_traitsISY_E10value_typeET2_T3_PNSZ_IS14_E10value_typeET4_jRbjT5_S1A_jjP12ihipStream_tbEUljE_EEESV_SW_SX_S14_S18_S1A_T6_T7_T9_mT8_S1C_bDpT10_ENKUlT_T0_E_clISt17integral_constantIbLb1EES1O_IbLb0EEEEDaS1K_S1L_EUlS1K_E_NS1_11comp_targetILNS1_3genE5ELNS1_11target_archE942ELNS1_3gpuE9ELNS1_3repE0EEENS1_30default_config_static_selectorELNS0_4arch9wavefront6targetE0EEEvSY_.num_named_barrier, 0
	.set _ZN7rocprim17ROCPRIM_400000_NS6detail17trampoline_kernelINS0_13select_configILj256ELj13ELNS0_17block_load_methodE3ELS4_3ELS4_3ELNS0_20block_scan_algorithmE0ELj4294967295EEENS1_25partition_config_selectorILNS1_17partition_subalgoE3EjNS0_10empty_typeEbEEZZNS1_14partition_implILS8_3ELb0ES6_jNS0_17counting_iteratorIjlEEPS9_SE_NS0_5tupleIJPjSE_EEENSF_IJSE_SE_EEES9_SG_JZNS1_25segmented_radix_sort_implINS0_14default_configELb0EPKhPhPKlPlN2at6native12_GLOBAL__N_18offset_tEEE10hipError_tPvRmT1_PNSt15iterator_traitsISY_E10value_typeET2_T3_PNSZ_IS14_E10value_typeET4_jRbjT5_S1A_jjP12ihipStream_tbEUljE_EEESV_SW_SX_S14_S18_S1A_T6_T7_T9_mT8_S1C_bDpT10_ENKUlT_T0_E_clISt17integral_constantIbLb1EES1O_IbLb0EEEEDaS1K_S1L_EUlS1K_E_NS1_11comp_targetILNS1_3genE5ELNS1_11target_archE942ELNS1_3gpuE9ELNS1_3repE0EEENS1_30default_config_static_selectorELNS0_4arch9wavefront6targetE0EEEvSY_.private_seg_size, 0
	.set _ZN7rocprim17ROCPRIM_400000_NS6detail17trampoline_kernelINS0_13select_configILj256ELj13ELNS0_17block_load_methodE3ELS4_3ELS4_3ELNS0_20block_scan_algorithmE0ELj4294967295EEENS1_25partition_config_selectorILNS1_17partition_subalgoE3EjNS0_10empty_typeEbEEZZNS1_14partition_implILS8_3ELb0ES6_jNS0_17counting_iteratorIjlEEPS9_SE_NS0_5tupleIJPjSE_EEENSF_IJSE_SE_EEES9_SG_JZNS1_25segmented_radix_sort_implINS0_14default_configELb0EPKhPhPKlPlN2at6native12_GLOBAL__N_18offset_tEEE10hipError_tPvRmT1_PNSt15iterator_traitsISY_E10value_typeET2_T3_PNSZ_IS14_E10value_typeET4_jRbjT5_S1A_jjP12ihipStream_tbEUljE_EEESV_SW_SX_S14_S18_S1A_T6_T7_T9_mT8_S1C_bDpT10_ENKUlT_T0_E_clISt17integral_constantIbLb1EES1O_IbLb0EEEEDaS1K_S1L_EUlS1K_E_NS1_11comp_targetILNS1_3genE5ELNS1_11target_archE942ELNS1_3gpuE9ELNS1_3repE0EEENS1_30default_config_static_selectorELNS0_4arch9wavefront6targetE0EEEvSY_.uses_vcc, 0
	.set _ZN7rocprim17ROCPRIM_400000_NS6detail17trampoline_kernelINS0_13select_configILj256ELj13ELNS0_17block_load_methodE3ELS4_3ELS4_3ELNS0_20block_scan_algorithmE0ELj4294967295EEENS1_25partition_config_selectorILNS1_17partition_subalgoE3EjNS0_10empty_typeEbEEZZNS1_14partition_implILS8_3ELb0ES6_jNS0_17counting_iteratorIjlEEPS9_SE_NS0_5tupleIJPjSE_EEENSF_IJSE_SE_EEES9_SG_JZNS1_25segmented_radix_sort_implINS0_14default_configELb0EPKhPhPKlPlN2at6native12_GLOBAL__N_18offset_tEEE10hipError_tPvRmT1_PNSt15iterator_traitsISY_E10value_typeET2_T3_PNSZ_IS14_E10value_typeET4_jRbjT5_S1A_jjP12ihipStream_tbEUljE_EEESV_SW_SX_S14_S18_S1A_T6_T7_T9_mT8_S1C_bDpT10_ENKUlT_T0_E_clISt17integral_constantIbLb1EES1O_IbLb0EEEEDaS1K_S1L_EUlS1K_E_NS1_11comp_targetILNS1_3genE5ELNS1_11target_archE942ELNS1_3gpuE9ELNS1_3repE0EEENS1_30default_config_static_selectorELNS0_4arch9wavefront6targetE0EEEvSY_.uses_flat_scratch, 0
	.set _ZN7rocprim17ROCPRIM_400000_NS6detail17trampoline_kernelINS0_13select_configILj256ELj13ELNS0_17block_load_methodE3ELS4_3ELS4_3ELNS0_20block_scan_algorithmE0ELj4294967295EEENS1_25partition_config_selectorILNS1_17partition_subalgoE3EjNS0_10empty_typeEbEEZZNS1_14partition_implILS8_3ELb0ES6_jNS0_17counting_iteratorIjlEEPS9_SE_NS0_5tupleIJPjSE_EEENSF_IJSE_SE_EEES9_SG_JZNS1_25segmented_radix_sort_implINS0_14default_configELb0EPKhPhPKlPlN2at6native12_GLOBAL__N_18offset_tEEE10hipError_tPvRmT1_PNSt15iterator_traitsISY_E10value_typeET2_T3_PNSZ_IS14_E10value_typeET4_jRbjT5_S1A_jjP12ihipStream_tbEUljE_EEESV_SW_SX_S14_S18_S1A_T6_T7_T9_mT8_S1C_bDpT10_ENKUlT_T0_E_clISt17integral_constantIbLb1EES1O_IbLb0EEEEDaS1K_S1L_EUlS1K_E_NS1_11comp_targetILNS1_3genE5ELNS1_11target_archE942ELNS1_3gpuE9ELNS1_3repE0EEENS1_30default_config_static_selectorELNS0_4arch9wavefront6targetE0EEEvSY_.has_dyn_sized_stack, 0
	.set _ZN7rocprim17ROCPRIM_400000_NS6detail17trampoline_kernelINS0_13select_configILj256ELj13ELNS0_17block_load_methodE3ELS4_3ELS4_3ELNS0_20block_scan_algorithmE0ELj4294967295EEENS1_25partition_config_selectorILNS1_17partition_subalgoE3EjNS0_10empty_typeEbEEZZNS1_14partition_implILS8_3ELb0ES6_jNS0_17counting_iteratorIjlEEPS9_SE_NS0_5tupleIJPjSE_EEENSF_IJSE_SE_EEES9_SG_JZNS1_25segmented_radix_sort_implINS0_14default_configELb0EPKhPhPKlPlN2at6native12_GLOBAL__N_18offset_tEEE10hipError_tPvRmT1_PNSt15iterator_traitsISY_E10value_typeET2_T3_PNSZ_IS14_E10value_typeET4_jRbjT5_S1A_jjP12ihipStream_tbEUljE_EEESV_SW_SX_S14_S18_S1A_T6_T7_T9_mT8_S1C_bDpT10_ENKUlT_T0_E_clISt17integral_constantIbLb1EES1O_IbLb0EEEEDaS1K_S1L_EUlS1K_E_NS1_11comp_targetILNS1_3genE5ELNS1_11target_archE942ELNS1_3gpuE9ELNS1_3repE0EEENS1_30default_config_static_selectorELNS0_4arch9wavefront6targetE0EEEvSY_.has_recursion, 0
	.set _ZN7rocprim17ROCPRIM_400000_NS6detail17trampoline_kernelINS0_13select_configILj256ELj13ELNS0_17block_load_methodE3ELS4_3ELS4_3ELNS0_20block_scan_algorithmE0ELj4294967295EEENS1_25partition_config_selectorILNS1_17partition_subalgoE3EjNS0_10empty_typeEbEEZZNS1_14partition_implILS8_3ELb0ES6_jNS0_17counting_iteratorIjlEEPS9_SE_NS0_5tupleIJPjSE_EEENSF_IJSE_SE_EEES9_SG_JZNS1_25segmented_radix_sort_implINS0_14default_configELb0EPKhPhPKlPlN2at6native12_GLOBAL__N_18offset_tEEE10hipError_tPvRmT1_PNSt15iterator_traitsISY_E10value_typeET2_T3_PNSZ_IS14_E10value_typeET4_jRbjT5_S1A_jjP12ihipStream_tbEUljE_EEESV_SW_SX_S14_S18_S1A_T6_T7_T9_mT8_S1C_bDpT10_ENKUlT_T0_E_clISt17integral_constantIbLb1EES1O_IbLb0EEEEDaS1K_S1L_EUlS1K_E_NS1_11comp_targetILNS1_3genE5ELNS1_11target_archE942ELNS1_3gpuE9ELNS1_3repE0EEENS1_30default_config_static_selectorELNS0_4arch9wavefront6targetE0EEEvSY_.has_indirect_call, 0
	.section	.AMDGPU.csdata,"",@progbits
; Kernel info:
; codeLenInByte = 0
; TotalNumSgprs: 0
; NumVgprs: 0
; ScratchSize: 0
; MemoryBound: 0
; FloatMode: 240
; IeeeMode: 1
; LDSByteSize: 0 bytes/workgroup (compile time only)
; SGPRBlocks: 0
; VGPRBlocks: 0
; NumSGPRsForWavesPerEU: 1
; NumVGPRsForWavesPerEU: 1
; Occupancy: 16
; WaveLimiterHint : 0
; COMPUTE_PGM_RSRC2:SCRATCH_EN: 0
; COMPUTE_PGM_RSRC2:USER_SGPR: 2
; COMPUTE_PGM_RSRC2:TRAP_HANDLER: 0
; COMPUTE_PGM_RSRC2:TGID_X_EN: 1
; COMPUTE_PGM_RSRC2:TGID_Y_EN: 0
; COMPUTE_PGM_RSRC2:TGID_Z_EN: 0
; COMPUTE_PGM_RSRC2:TIDIG_COMP_CNT: 0
	.section	.text._ZN7rocprim17ROCPRIM_400000_NS6detail17trampoline_kernelINS0_13select_configILj256ELj13ELNS0_17block_load_methodE3ELS4_3ELS4_3ELNS0_20block_scan_algorithmE0ELj4294967295EEENS1_25partition_config_selectorILNS1_17partition_subalgoE3EjNS0_10empty_typeEbEEZZNS1_14partition_implILS8_3ELb0ES6_jNS0_17counting_iteratorIjlEEPS9_SE_NS0_5tupleIJPjSE_EEENSF_IJSE_SE_EEES9_SG_JZNS1_25segmented_radix_sort_implINS0_14default_configELb0EPKhPhPKlPlN2at6native12_GLOBAL__N_18offset_tEEE10hipError_tPvRmT1_PNSt15iterator_traitsISY_E10value_typeET2_T3_PNSZ_IS14_E10value_typeET4_jRbjT5_S1A_jjP12ihipStream_tbEUljE_EEESV_SW_SX_S14_S18_S1A_T6_T7_T9_mT8_S1C_bDpT10_ENKUlT_T0_E_clISt17integral_constantIbLb1EES1O_IbLb0EEEEDaS1K_S1L_EUlS1K_E_NS1_11comp_targetILNS1_3genE4ELNS1_11target_archE910ELNS1_3gpuE8ELNS1_3repE0EEENS1_30default_config_static_selectorELNS0_4arch9wavefront6targetE0EEEvSY_,"axG",@progbits,_ZN7rocprim17ROCPRIM_400000_NS6detail17trampoline_kernelINS0_13select_configILj256ELj13ELNS0_17block_load_methodE3ELS4_3ELS4_3ELNS0_20block_scan_algorithmE0ELj4294967295EEENS1_25partition_config_selectorILNS1_17partition_subalgoE3EjNS0_10empty_typeEbEEZZNS1_14partition_implILS8_3ELb0ES6_jNS0_17counting_iteratorIjlEEPS9_SE_NS0_5tupleIJPjSE_EEENSF_IJSE_SE_EEES9_SG_JZNS1_25segmented_radix_sort_implINS0_14default_configELb0EPKhPhPKlPlN2at6native12_GLOBAL__N_18offset_tEEE10hipError_tPvRmT1_PNSt15iterator_traitsISY_E10value_typeET2_T3_PNSZ_IS14_E10value_typeET4_jRbjT5_S1A_jjP12ihipStream_tbEUljE_EEESV_SW_SX_S14_S18_S1A_T6_T7_T9_mT8_S1C_bDpT10_ENKUlT_T0_E_clISt17integral_constantIbLb1EES1O_IbLb0EEEEDaS1K_S1L_EUlS1K_E_NS1_11comp_targetILNS1_3genE4ELNS1_11target_archE910ELNS1_3gpuE8ELNS1_3repE0EEENS1_30default_config_static_selectorELNS0_4arch9wavefront6targetE0EEEvSY_,comdat
	.globl	_ZN7rocprim17ROCPRIM_400000_NS6detail17trampoline_kernelINS0_13select_configILj256ELj13ELNS0_17block_load_methodE3ELS4_3ELS4_3ELNS0_20block_scan_algorithmE0ELj4294967295EEENS1_25partition_config_selectorILNS1_17partition_subalgoE3EjNS0_10empty_typeEbEEZZNS1_14partition_implILS8_3ELb0ES6_jNS0_17counting_iteratorIjlEEPS9_SE_NS0_5tupleIJPjSE_EEENSF_IJSE_SE_EEES9_SG_JZNS1_25segmented_radix_sort_implINS0_14default_configELb0EPKhPhPKlPlN2at6native12_GLOBAL__N_18offset_tEEE10hipError_tPvRmT1_PNSt15iterator_traitsISY_E10value_typeET2_T3_PNSZ_IS14_E10value_typeET4_jRbjT5_S1A_jjP12ihipStream_tbEUljE_EEESV_SW_SX_S14_S18_S1A_T6_T7_T9_mT8_S1C_bDpT10_ENKUlT_T0_E_clISt17integral_constantIbLb1EES1O_IbLb0EEEEDaS1K_S1L_EUlS1K_E_NS1_11comp_targetILNS1_3genE4ELNS1_11target_archE910ELNS1_3gpuE8ELNS1_3repE0EEENS1_30default_config_static_selectorELNS0_4arch9wavefront6targetE0EEEvSY_ ; -- Begin function _ZN7rocprim17ROCPRIM_400000_NS6detail17trampoline_kernelINS0_13select_configILj256ELj13ELNS0_17block_load_methodE3ELS4_3ELS4_3ELNS0_20block_scan_algorithmE0ELj4294967295EEENS1_25partition_config_selectorILNS1_17partition_subalgoE3EjNS0_10empty_typeEbEEZZNS1_14partition_implILS8_3ELb0ES6_jNS0_17counting_iteratorIjlEEPS9_SE_NS0_5tupleIJPjSE_EEENSF_IJSE_SE_EEES9_SG_JZNS1_25segmented_radix_sort_implINS0_14default_configELb0EPKhPhPKlPlN2at6native12_GLOBAL__N_18offset_tEEE10hipError_tPvRmT1_PNSt15iterator_traitsISY_E10value_typeET2_T3_PNSZ_IS14_E10value_typeET4_jRbjT5_S1A_jjP12ihipStream_tbEUljE_EEESV_SW_SX_S14_S18_S1A_T6_T7_T9_mT8_S1C_bDpT10_ENKUlT_T0_E_clISt17integral_constantIbLb1EES1O_IbLb0EEEEDaS1K_S1L_EUlS1K_E_NS1_11comp_targetILNS1_3genE4ELNS1_11target_archE910ELNS1_3gpuE8ELNS1_3repE0EEENS1_30default_config_static_selectorELNS0_4arch9wavefront6targetE0EEEvSY_
	.p2align	8
	.type	_ZN7rocprim17ROCPRIM_400000_NS6detail17trampoline_kernelINS0_13select_configILj256ELj13ELNS0_17block_load_methodE3ELS4_3ELS4_3ELNS0_20block_scan_algorithmE0ELj4294967295EEENS1_25partition_config_selectorILNS1_17partition_subalgoE3EjNS0_10empty_typeEbEEZZNS1_14partition_implILS8_3ELb0ES6_jNS0_17counting_iteratorIjlEEPS9_SE_NS0_5tupleIJPjSE_EEENSF_IJSE_SE_EEES9_SG_JZNS1_25segmented_radix_sort_implINS0_14default_configELb0EPKhPhPKlPlN2at6native12_GLOBAL__N_18offset_tEEE10hipError_tPvRmT1_PNSt15iterator_traitsISY_E10value_typeET2_T3_PNSZ_IS14_E10value_typeET4_jRbjT5_S1A_jjP12ihipStream_tbEUljE_EEESV_SW_SX_S14_S18_S1A_T6_T7_T9_mT8_S1C_bDpT10_ENKUlT_T0_E_clISt17integral_constantIbLb1EES1O_IbLb0EEEEDaS1K_S1L_EUlS1K_E_NS1_11comp_targetILNS1_3genE4ELNS1_11target_archE910ELNS1_3gpuE8ELNS1_3repE0EEENS1_30default_config_static_selectorELNS0_4arch9wavefront6targetE0EEEvSY_,@function
_ZN7rocprim17ROCPRIM_400000_NS6detail17trampoline_kernelINS0_13select_configILj256ELj13ELNS0_17block_load_methodE3ELS4_3ELS4_3ELNS0_20block_scan_algorithmE0ELj4294967295EEENS1_25partition_config_selectorILNS1_17partition_subalgoE3EjNS0_10empty_typeEbEEZZNS1_14partition_implILS8_3ELb0ES6_jNS0_17counting_iteratorIjlEEPS9_SE_NS0_5tupleIJPjSE_EEENSF_IJSE_SE_EEES9_SG_JZNS1_25segmented_radix_sort_implINS0_14default_configELb0EPKhPhPKlPlN2at6native12_GLOBAL__N_18offset_tEEE10hipError_tPvRmT1_PNSt15iterator_traitsISY_E10value_typeET2_T3_PNSZ_IS14_E10value_typeET4_jRbjT5_S1A_jjP12ihipStream_tbEUljE_EEESV_SW_SX_S14_S18_S1A_T6_T7_T9_mT8_S1C_bDpT10_ENKUlT_T0_E_clISt17integral_constantIbLb1EES1O_IbLb0EEEEDaS1K_S1L_EUlS1K_E_NS1_11comp_targetILNS1_3genE4ELNS1_11target_archE910ELNS1_3gpuE8ELNS1_3repE0EEENS1_30default_config_static_selectorELNS0_4arch9wavefront6targetE0EEEvSY_: ; @_ZN7rocprim17ROCPRIM_400000_NS6detail17trampoline_kernelINS0_13select_configILj256ELj13ELNS0_17block_load_methodE3ELS4_3ELS4_3ELNS0_20block_scan_algorithmE0ELj4294967295EEENS1_25partition_config_selectorILNS1_17partition_subalgoE3EjNS0_10empty_typeEbEEZZNS1_14partition_implILS8_3ELb0ES6_jNS0_17counting_iteratorIjlEEPS9_SE_NS0_5tupleIJPjSE_EEENSF_IJSE_SE_EEES9_SG_JZNS1_25segmented_radix_sort_implINS0_14default_configELb0EPKhPhPKlPlN2at6native12_GLOBAL__N_18offset_tEEE10hipError_tPvRmT1_PNSt15iterator_traitsISY_E10value_typeET2_T3_PNSZ_IS14_E10value_typeET4_jRbjT5_S1A_jjP12ihipStream_tbEUljE_EEESV_SW_SX_S14_S18_S1A_T6_T7_T9_mT8_S1C_bDpT10_ENKUlT_T0_E_clISt17integral_constantIbLb1EES1O_IbLb0EEEEDaS1K_S1L_EUlS1K_E_NS1_11comp_targetILNS1_3genE4ELNS1_11target_archE910ELNS1_3gpuE8ELNS1_3repE0EEENS1_30default_config_static_selectorELNS0_4arch9wavefront6targetE0EEEvSY_
; %bb.0:
	.section	.rodata,"a",@progbits
	.p2align	6, 0x0
	.amdhsa_kernel _ZN7rocprim17ROCPRIM_400000_NS6detail17trampoline_kernelINS0_13select_configILj256ELj13ELNS0_17block_load_methodE3ELS4_3ELS4_3ELNS0_20block_scan_algorithmE0ELj4294967295EEENS1_25partition_config_selectorILNS1_17partition_subalgoE3EjNS0_10empty_typeEbEEZZNS1_14partition_implILS8_3ELb0ES6_jNS0_17counting_iteratorIjlEEPS9_SE_NS0_5tupleIJPjSE_EEENSF_IJSE_SE_EEES9_SG_JZNS1_25segmented_radix_sort_implINS0_14default_configELb0EPKhPhPKlPlN2at6native12_GLOBAL__N_18offset_tEEE10hipError_tPvRmT1_PNSt15iterator_traitsISY_E10value_typeET2_T3_PNSZ_IS14_E10value_typeET4_jRbjT5_S1A_jjP12ihipStream_tbEUljE_EEESV_SW_SX_S14_S18_S1A_T6_T7_T9_mT8_S1C_bDpT10_ENKUlT_T0_E_clISt17integral_constantIbLb1EES1O_IbLb0EEEEDaS1K_S1L_EUlS1K_E_NS1_11comp_targetILNS1_3genE4ELNS1_11target_archE910ELNS1_3gpuE8ELNS1_3repE0EEENS1_30default_config_static_selectorELNS0_4arch9wavefront6targetE0EEEvSY_
		.amdhsa_group_segment_fixed_size 0
		.amdhsa_private_segment_fixed_size 0
		.amdhsa_kernarg_size 144
		.amdhsa_user_sgpr_count 2
		.amdhsa_user_sgpr_dispatch_ptr 0
		.amdhsa_user_sgpr_queue_ptr 0
		.amdhsa_user_sgpr_kernarg_segment_ptr 1
		.amdhsa_user_sgpr_dispatch_id 0
		.amdhsa_user_sgpr_private_segment_size 0
		.amdhsa_wavefront_size32 1
		.amdhsa_uses_dynamic_stack 0
		.amdhsa_enable_private_segment 0
		.amdhsa_system_sgpr_workgroup_id_x 1
		.amdhsa_system_sgpr_workgroup_id_y 0
		.amdhsa_system_sgpr_workgroup_id_z 0
		.amdhsa_system_sgpr_workgroup_info 0
		.amdhsa_system_vgpr_workitem_id 0
		.amdhsa_next_free_vgpr 1
		.amdhsa_next_free_sgpr 1
		.amdhsa_reserve_vcc 0
		.amdhsa_float_round_mode_32 0
		.amdhsa_float_round_mode_16_64 0
		.amdhsa_float_denorm_mode_32 3
		.amdhsa_float_denorm_mode_16_64 3
		.amdhsa_fp16_overflow 0
		.amdhsa_workgroup_processor_mode 1
		.amdhsa_memory_ordered 1
		.amdhsa_forward_progress 1
		.amdhsa_inst_pref_size 0
		.amdhsa_round_robin_scheduling 0
		.amdhsa_exception_fp_ieee_invalid_op 0
		.amdhsa_exception_fp_denorm_src 0
		.amdhsa_exception_fp_ieee_div_zero 0
		.amdhsa_exception_fp_ieee_overflow 0
		.amdhsa_exception_fp_ieee_underflow 0
		.amdhsa_exception_fp_ieee_inexact 0
		.amdhsa_exception_int_div_zero 0
	.end_amdhsa_kernel
	.section	.text._ZN7rocprim17ROCPRIM_400000_NS6detail17trampoline_kernelINS0_13select_configILj256ELj13ELNS0_17block_load_methodE3ELS4_3ELS4_3ELNS0_20block_scan_algorithmE0ELj4294967295EEENS1_25partition_config_selectorILNS1_17partition_subalgoE3EjNS0_10empty_typeEbEEZZNS1_14partition_implILS8_3ELb0ES6_jNS0_17counting_iteratorIjlEEPS9_SE_NS0_5tupleIJPjSE_EEENSF_IJSE_SE_EEES9_SG_JZNS1_25segmented_radix_sort_implINS0_14default_configELb0EPKhPhPKlPlN2at6native12_GLOBAL__N_18offset_tEEE10hipError_tPvRmT1_PNSt15iterator_traitsISY_E10value_typeET2_T3_PNSZ_IS14_E10value_typeET4_jRbjT5_S1A_jjP12ihipStream_tbEUljE_EEESV_SW_SX_S14_S18_S1A_T6_T7_T9_mT8_S1C_bDpT10_ENKUlT_T0_E_clISt17integral_constantIbLb1EES1O_IbLb0EEEEDaS1K_S1L_EUlS1K_E_NS1_11comp_targetILNS1_3genE4ELNS1_11target_archE910ELNS1_3gpuE8ELNS1_3repE0EEENS1_30default_config_static_selectorELNS0_4arch9wavefront6targetE0EEEvSY_,"axG",@progbits,_ZN7rocprim17ROCPRIM_400000_NS6detail17trampoline_kernelINS0_13select_configILj256ELj13ELNS0_17block_load_methodE3ELS4_3ELS4_3ELNS0_20block_scan_algorithmE0ELj4294967295EEENS1_25partition_config_selectorILNS1_17partition_subalgoE3EjNS0_10empty_typeEbEEZZNS1_14partition_implILS8_3ELb0ES6_jNS0_17counting_iteratorIjlEEPS9_SE_NS0_5tupleIJPjSE_EEENSF_IJSE_SE_EEES9_SG_JZNS1_25segmented_radix_sort_implINS0_14default_configELb0EPKhPhPKlPlN2at6native12_GLOBAL__N_18offset_tEEE10hipError_tPvRmT1_PNSt15iterator_traitsISY_E10value_typeET2_T3_PNSZ_IS14_E10value_typeET4_jRbjT5_S1A_jjP12ihipStream_tbEUljE_EEESV_SW_SX_S14_S18_S1A_T6_T7_T9_mT8_S1C_bDpT10_ENKUlT_T0_E_clISt17integral_constantIbLb1EES1O_IbLb0EEEEDaS1K_S1L_EUlS1K_E_NS1_11comp_targetILNS1_3genE4ELNS1_11target_archE910ELNS1_3gpuE8ELNS1_3repE0EEENS1_30default_config_static_selectorELNS0_4arch9wavefront6targetE0EEEvSY_,comdat
.Lfunc_end172:
	.size	_ZN7rocprim17ROCPRIM_400000_NS6detail17trampoline_kernelINS0_13select_configILj256ELj13ELNS0_17block_load_methodE3ELS4_3ELS4_3ELNS0_20block_scan_algorithmE0ELj4294967295EEENS1_25partition_config_selectorILNS1_17partition_subalgoE3EjNS0_10empty_typeEbEEZZNS1_14partition_implILS8_3ELb0ES6_jNS0_17counting_iteratorIjlEEPS9_SE_NS0_5tupleIJPjSE_EEENSF_IJSE_SE_EEES9_SG_JZNS1_25segmented_radix_sort_implINS0_14default_configELb0EPKhPhPKlPlN2at6native12_GLOBAL__N_18offset_tEEE10hipError_tPvRmT1_PNSt15iterator_traitsISY_E10value_typeET2_T3_PNSZ_IS14_E10value_typeET4_jRbjT5_S1A_jjP12ihipStream_tbEUljE_EEESV_SW_SX_S14_S18_S1A_T6_T7_T9_mT8_S1C_bDpT10_ENKUlT_T0_E_clISt17integral_constantIbLb1EES1O_IbLb0EEEEDaS1K_S1L_EUlS1K_E_NS1_11comp_targetILNS1_3genE4ELNS1_11target_archE910ELNS1_3gpuE8ELNS1_3repE0EEENS1_30default_config_static_selectorELNS0_4arch9wavefront6targetE0EEEvSY_, .Lfunc_end172-_ZN7rocprim17ROCPRIM_400000_NS6detail17trampoline_kernelINS0_13select_configILj256ELj13ELNS0_17block_load_methodE3ELS4_3ELS4_3ELNS0_20block_scan_algorithmE0ELj4294967295EEENS1_25partition_config_selectorILNS1_17partition_subalgoE3EjNS0_10empty_typeEbEEZZNS1_14partition_implILS8_3ELb0ES6_jNS0_17counting_iteratorIjlEEPS9_SE_NS0_5tupleIJPjSE_EEENSF_IJSE_SE_EEES9_SG_JZNS1_25segmented_radix_sort_implINS0_14default_configELb0EPKhPhPKlPlN2at6native12_GLOBAL__N_18offset_tEEE10hipError_tPvRmT1_PNSt15iterator_traitsISY_E10value_typeET2_T3_PNSZ_IS14_E10value_typeET4_jRbjT5_S1A_jjP12ihipStream_tbEUljE_EEESV_SW_SX_S14_S18_S1A_T6_T7_T9_mT8_S1C_bDpT10_ENKUlT_T0_E_clISt17integral_constantIbLb1EES1O_IbLb0EEEEDaS1K_S1L_EUlS1K_E_NS1_11comp_targetILNS1_3genE4ELNS1_11target_archE910ELNS1_3gpuE8ELNS1_3repE0EEENS1_30default_config_static_selectorELNS0_4arch9wavefront6targetE0EEEvSY_
                                        ; -- End function
	.set _ZN7rocprim17ROCPRIM_400000_NS6detail17trampoline_kernelINS0_13select_configILj256ELj13ELNS0_17block_load_methodE3ELS4_3ELS4_3ELNS0_20block_scan_algorithmE0ELj4294967295EEENS1_25partition_config_selectorILNS1_17partition_subalgoE3EjNS0_10empty_typeEbEEZZNS1_14partition_implILS8_3ELb0ES6_jNS0_17counting_iteratorIjlEEPS9_SE_NS0_5tupleIJPjSE_EEENSF_IJSE_SE_EEES9_SG_JZNS1_25segmented_radix_sort_implINS0_14default_configELb0EPKhPhPKlPlN2at6native12_GLOBAL__N_18offset_tEEE10hipError_tPvRmT1_PNSt15iterator_traitsISY_E10value_typeET2_T3_PNSZ_IS14_E10value_typeET4_jRbjT5_S1A_jjP12ihipStream_tbEUljE_EEESV_SW_SX_S14_S18_S1A_T6_T7_T9_mT8_S1C_bDpT10_ENKUlT_T0_E_clISt17integral_constantIbLb1EES1O_IbLb0EEEEDaS1K_S1L_EUlS1K_E_NS1_11comp_targetILNS1_3genE4ELNS1_11target_archE910ELNS1_3gpuE8ELNS1_3repE0EEENS1_30default_config_static_selectorELNS0_4arch9wavefront6targetE0EEEvSY_.num_vgpr, 0
	.set _ZN7rocprim17ROCPRIM_400000_NS6detail17trampoline_kernelINS0_13select_configILj256ELj13ELNS0_17block_load_methodE3ELS4_3ELS4_3ELNS0_20block_scan_algorithmE0ELj4294967295EEENS1_25partition_config_selectorILNS1_17partition_subalgoE3EjNS0_10empty_typeEbEEZZNS1_14partition_implILS8_3ELb0ES6_jNS0_17counting_iteratorIjlEEPS9_SE_NS0_5tupleIJPjSE_EEENSF_IJSE_SE_EEES9_SG_JZNS1_25segmented_radix_sort_implINS0_14default_configELb0EPKhPhPKlPlN2at6native12_GLOBAL__N_18offset_tEEE10hipError_tPvRmT1_PNSt15iterator_traitsISY_E10value_typeET2_T3_PNSZ_IS14_E10value_typeET4_jRbjT5_S1A_jjP12ihipStream_tbEUljE_EEESV_SW_SX_S14_S18_S1A_T6_T7_T9_mT8_S1C_bDpT10_ENKUlT_T0_E_clISt17integral_constantIbLb1EES1O_IbLb0EEEEDaS1K_S1L_EUlS1K_E_NS1_11comp_targetILNS1_3genE4ELNS1_11target_archE910ELNS1_3gpuE8ELNS1_3repE0EEENS1_30default_config_static_selectorELNS0_4arch9wavefront6targetE0EEEvSY_.num_agpr, 0
	.set _ZN7rocprim17ROCPRIM_400000_NS6detail17trampoline_kernelINS0_13select_configILj256ELj13ELNS0_17block_load_methodE3ELS4_3ELS4_3ELNS0_20block_scan_algorithmE0ELj4294967295EEENS1_25partition_config_selectorILNS1_17partition_subalgoE3EjNS0_10empty_typeEbEEZZNS1_14partition_implILS8_3ELb0ES6_jNS0_17counting_iteratorIjlEEPS9_SE_NS0_5tupleIJPjSE_EEENSF_IJSE_SE_EEES9_SG_JZNS1_25segmented_radix_sort_implINS0_14default_configELb0EPKhPhPKlPlN2at6native12_GLOBAL__N_18offset_tEEE10hipError_tPvRmT1_PNSt15iterator_traitsISY_E10value_typeET2_T3_PNSZ_IS14_E10value_typeET4_jRbjT5_S1A_jjP12ihipStream_tbEUljE_EEESV_SW_SX_S14_S18_S1A_T6_T7_T9_mT8_S1C_bDpT10_ENKUlT_T0_E_clISt17integral_constantIbLb1EES1O_IbLb0EEEEDaS1K_S1L_EUlS1K_E_NS1_11comp_targetILNS1_3genE4ELNS1_11target_archE910ELNS1_3gpuE8ELNS1_3repE0EEENS1_30default_config_static_selectorELNS0_4arch9wavefront6targetE0EEEvSY_.numbered_sgpr, 0
	.set _ZN7rocprim17ROCPRIM_400000_NS6detail17trampoline_kernelINS0_13select_configILj256ELj13ELNS0_17block_load_methodE3ELS4_3ELS4_3ELNS0_20block_scan_algorithmE0ELj4294967295EEENS1_25partition_config_selectorILNS1_17partition_subalgoE3EjNS0_10empty_typeEbEEZZNS1_14partition_implILS8_3ELb0ES6_jNS0_17counting_iteratorIjlEEPS9_SE_NS0_5tupleIJPjSE_EEENSF_IJSE_SE_EEES9_SG_JZNS1_25segmented_radix_sort_implINS0_14default_configELb0EPKhPhPKlPlN2at6native12_GLOBAL__N_18offset_tEEE10hipError_tPvRmT1_PNSt15iterator_traitsISY_E10value_typeET2_T3_PNSZ_IS14_E10value_typeET4_jRbjT5_S1A_jjP12ihipStream_tbEUljE_EEESV_SW_SX_S14_S18_S1A_T6_T7_T9_mT8_S1C_bDpT10_ENKUlT_T0_E_clISt17integral_constantIbLb1EES1O_IbLb0EEEEDaS1K_S1L_EUlS1K_E_NS1_11comp_targetILNS1_3genE4ELNS1_11target_archE910ELNS1_3gpuE8ELNS1_3repE0EEENS1_30default_config_static_selectorELNS0_4arch9wavefront6targetE0EEEvSY_.num_named_barrier, 0
	.set _ZN7rocprim17ROCPRIM_400000_NS6detail17trampoline_kernelINS0_13select_configILj256ELj13ELNS0_17block_load_methodE3ELS4_3ELS4_3ELNS0_20block_scan_algorithmE0ELj4294967295EEENS1_25partition_config_selectorILNS1_17partition_subalgoE3EjNS0_10empty_typeEbEEZZNS1_14partition_implILS8_3ELb0ES6_jNS0_17counting_iteratorIjlEEPS9_SE_NS0_5tupleIJPjSE_EEENSF_IJSE_SE_EEES9_SG_JZNS1_25segmented_radix_sort_implINS0_14default_configELb0EPKhPhPKlPlN2at6native12_GLOBAL__N_18offset_tEEE10hipError_tPvRmT1_PNSt15iterator_traitsISY_E10value_typeET2_T3_PNSZ_IS14_E10value_typeET4_jRbjT5_S1A_jjP12ihipStream_tbEUljE_EEESV_SW_SX_S14_S18_S1A_T6_T7_T9_mT8_S1C_bDpT10_ENKUlT_T0_E_clISt17integral_constantIbLb1EES1O_IbLb0EEEEDaS1K_S1L_EUlS1K_E_NS1_11comp_targetILNS1_3genE4ELNS1_11target_archE910ELNS1_3gpuE8ELNS1_3repE0EEENS1_30default_config_static_selectorELNS0_4arch9wavefront6targetE0EEEvSY_.private_seg_size, 0
	.set _ZN7rocprim17ROCPRIM_400000_NS6detail17trampoline_kernelINS0_13select_configILj256ELj13ELNS0_17block_load_methodE3ELS4_3ELS4_3ELNS0_20block_scan_algorithmE0ELj4294967295EEENS1_25partition_config_selectorILNS1_17partition_subalgoE3EjNS0_10empty_typeEbEEZZNS1_14partition_implILS8_3ELb0ES6_jNS0_17counting_iteratorIjlEEPS9_SE_NS0_5tupleIJPjSE_EEENSF_IJSE_SE_EEES9_SG_JZNS1_25segmented_radix_sort_implINS0_14default_configELb0EPKhPhPKlPlN2at6native12_GLOBAL__N_18offset_tEEE10hipError_tPvRmT1_PNSt15iterator_traitsISY_E10value_typeET2_T3_PNSZ_IS14_E10value_typeET4_jRbjT5_S1A_jjP12ihipStream_tbEUljE_EEESV_SW_SX_S14_S18_S1A_T6_T7_T9_mT8_S1C_bDpT10_ENKUlT_T0_E_clISt17integral_constantIbLb1EES1O_IbLb0EEEEDaS1K_S1L_EUlS1K_E_NS1_11comp_targetILNS1_3genE4ELNS1_11target_archE910ELNS1_3gpuE8ELNS1_3repE0EEENS1_30default_config_static_selectorELNS0_4arch9wavefront6targetE0EEEvSY_.uses_vcc, 0
	.set _ZN7rocprim17ROCPRIM_400000_NS6detail17trampoline_kernelINS0_13select_configILj256ELj13ELNS0_17block_load_methodE3ELS4_3ELS4_3ELNS0_20block_scan_algorithmE0ELj4294967295EEENS1_25partition_config_selectorILNS1_17partition_subalgoE3EjNS0_10empty_typeEbEEZZNS1_14partition_implILS8_3ELb0ES6_jNS0_17counting_iteratorIjlEEPS9_SE_NS0_5tupleIJPjSE_EEENSF_IJSE_SE_EEES9_SG_JZNS1_25segmented_radix_sort_implINS0_14default_configELb0EPKhPhPKlPlN2at6native12_GLOBAL__N_18offset_tEEE10hipError_tPvRmT1_PNSt15iterator_traitsISY_E10value_typeET2_T3_PNSZ_IS14_E10value_typeET4_jRbjT5_S1A_jjP12ihipStream_tbEUljE_EEESV_SW_SX_S14_S18_S1A_T6_T7_T9_mT8_S1C_bDpT10_ENKUlT_T0_E_clISt17integral_constantIbLb1EES1O_IbLb0EEEEDaS1K_S1L_EUlS1K_E_NS1_11comp_targetILNS1_3genE4ELNS1_11target_archE910ELNS1_3gpuE8ELNS1_3repE0EEENS1_30default_config_static_selectorELNS0_4arch9wavefront6targetE0EEEvSY_.uses_flat_scratch, 0
	.set _ZN7rocprim17ROCPRIM_400000_NS6detail17trampoline_kernelINS0_13select_configILj256ELj13ELNS0_17block_load_methodE3ELS4_3ELS4_3ELNS0_20block_scan_algorithmE0ELj4294967295EEENS1_25partition_config_selectorILNS1_17partition_subalgoE3EjNS0_10empty_typeEbEEZZNS1_14partition_implILS8_3ELb0ES6_jNS0_17counting_iteratorIjlEEPS9_SE_NS0_5tupleIJPjSE_EEENSF_IJSE_SE_EEES9_SG_JZNS1_25segmented_radix_sort_implINS0_14default_configELb0EPKhPhPKlPlN2at6native12_GLOBAL__N_18offset_tEEE10hipError_tPvRmT1_PNSt15iterator_traitsISY_E10value_typeET2_T3_PNSZ_IS14_E10value_typeET4_jRbjT5_S1A_jjP12ihipStream_tbEUljE_EEESV_SW_SX_S14_S18_S1A_T6_T7_T9_mT8_S1C_bDpT10_ENKUlT_T0_E_clISt17integral_constantIbLb1EES1O_IbLb0EEEEDaS1K_S1L_EUlS1K_E_NS1_11comp_targetILNS1_3genE4ELNS1_11target_archE910ELNS1_3gpuE8ELNS1_3repE0EEENS1_30default_config_static_selectorELNS0_4arch9wavefront6targetE0EEEvSY_.has_dyn_sized_stack, 0
	.set _ZN7rocprim17ROCPRIM_400000_NS6detail17trampoline_kernelINS0_13select_configILj256ELj13ELNS0_17block_load_methodE3ELS4_3ELS4_3ELNS0_20block_scan_algorithmE0ELj4294967295EEENS1_25partition_config_selectorILNS1_17partition_subalgoE3EjNS0_10empty_typeEbEEZZNS1_14partition_implILS8_3ELb0ES6_jNS0_17counting_iteratorIjlEEPS9_SE_NS0_5tupleIJPjSE_EEENSF_IJSE_SE_EEES9_SG_JZNS1_25segmented_radix_sort_implINS0_14default_configELb0EPKhPhPKlPlN2at6native12_GLOBAL__N_18offset_tEEE10hipError_tPvRmT1_PNSt15iterator_traitsISY_E10value_typeET2_T3_PNSZ_IS14_E10value_typeET4_jRbjT5_S1A_jjP12ihipStream_tbEUljE_EEESV_SW_SX_S14_S18_S1A_T6_T7_T9_mT8_S1C_bDpT10_ENKUlT_T0_E_clISt17integral_constantIbLb1EES1O_IbLb0EEEEDaS1K_S1L_EUlS1K_E_NS1_11comp_targetILNS1_3genE4ELNS1_11target_archE910ELNS1_3gpuE8ELNS1_3repE0EEENS1_30default_config_static_selectorELNS0_4arch9wavefront6targetE0EEEvSY_.has_recursion, 0
	.set _ZN7rocprim17ROCPRIM_400000_NS6detail17trampoline_kernelINS0_13select_configILj256ELj13ELNS0_17block_load_methodE3ELS4_3ELS4_3ELNS0_20block_scan_algorithmE0ELj4294967295EEENS1_25partition_config_selectorILNS1_17partition_subalgoE3EjNS0_10empty_typeEbEEZZNS1_14partition_implILS8_3ELb0ES6_jNS0_17counting_iteratorIjlEEPS9_SE_NS0_5tupleIJPjSE_EEENSF_IJSE_SE_EEES9_SG_JZNS1_25segmented_radix_sort_implINS0_14default_configELb0EPKhPhPKlPlN2at6native12_GLOBAL__N_18offset_tEEE10hipError_tPvRmT1_PNSt15iterator_traitsISY_E10value_typeET2_T3_PNSZ_IS14_E10value_typeET4_jRbjT5_S1A_jjP12ihipStream_tbEUljE_EEESV_SW_SX_S14_S18_S1A_T6_T7_T9_mT8_S1C_bDpT10_ENKUlT_T0_E_clISt17integral_constantIbLb1EES1O_IbLb0EEEEDaS1K_S1L_EUlS1K_E_NS1_11comp_targetILNS1_3genE4ELNS1_11target_archE910ELNS1_3gpuE8ELNS1_3repE0EEENS1_30default_config_static_selectorELNS0_4arch9wavefront6targetE0EEEvSY_.has_indirect_call, 0
	.section	.AMDGPU.csdata,"",@progbits
; Kernel info:
; codeLenInByte = 0
; TotalNumSgprs: 0
; NumVgprs: 0
; ScratchSize: 0
; MemoryBound: 0
; FloatMode: 240
; IeeeMode: 1
; LDSByteSize: 0 bytes/workgroup (compile time only)
; SGPRBlocks: 0
; VGPRBlocks: 0
; NumSGPRsForWavesPerEU: 1
; NumVGPRsForWavesPerEU: 1
; Occupancy: 16
; WaveLimiterHint : 0
; COMPUTE_PGM_RSRC2:SCRATCH_EN: 0
; COMPUTE_PGM_RSRC2:USER_SGPR: 2
; COMPUTE_PGM_RSRC2:TRAP_HANDLER: 0
; COMPUTE_PGM_RSRC2:TGID_X_EN: 1
; COMPUTE_PGM_RSRC2:TGID_Y_EN: 0
; COMPUTE_PGM_RSRC2:TGID_Z_EN: 0
; COMPUTE_PGM_RSRC2:TIDIG_COMP_CNT: 0
	.section	.text._ZN7rocprim17ROCPRIM_400000_NS6detail17trampoline_kernelINS0_13select_configILj256ELj13ELNS0_17block_load_methodE3ELS4_3ELS4_3ELNS0_20block_scan_algorithmE0ELj4294967295EEENS1_25partition_config_selectorILNS1_17partition_subalgoE3EjNS0_10empty_typeEbEEZZNS1_14partition_implILS8_3ELb0ES6_jNS0_17counting_iteratorIjlEEPS9_SE_NS0_5tupleIJPjSE_EEENSF_IJSE_SE_EEES9_SG_JZNS1_25segmented_radix_sort_implINS0_14default_configELb0EPKhPhPKlPlN2at6native12_GLOBAL__N_18offset_tEEE10hipError_tPvRmT1_PNSt15iterator_traitsISY_E10value_typeET2_T3_PNSZ_IS14_E10value_typeET4_jRbjT5_S1A_jjP12ihipStream_tbEUljE_EEESV_SW_SX_S14_S18_S1A_T6_T7_T9_mT8_S1C_bDpT10_ENKUlT_T0_E_clISt17integral_constantIbLb1EES1O_IbLb0EEEEDaS1K_S1L_EUlS1K_E_NS1_11comp_targetILNS1_3genE3ELNS1_11target_archE908ELNS1_3gpuE7ELNS1_3repE0EEENS1_30default_config_static_selectorELNS0_4arch9wavefront6targetE0EEEvSY_,"axG",@progbits,_ZN7rocprim17ROCPRIM_400000_NS6detail17trampoline_kernelINS0_13select_configILj256ELj13ELNS0_17block_load_methodE3ELS4_3ELS4_3ELNS0_20block_scan_algorithmE0ELj4294967295EEENS1_25partition_config_selectorILNS1_17partition_subalgoE3EjNS0_10empty_typeEbEEZZNS1_14partition_implILS8_3ELb0ES6_jNS0_17counting_iteratorIjlEEPS9_SE_NS0_5tupleIJPjSE_EEENSF_IJSE_SE_EEES9_SG_JZNS1_25segmented_radix_sort_implINS0_14default_configELb0EPKhPhPKlPlN2at6native12_GLOBAL__N_18offset_tEEE10hipError_tPvRmT1_PNSt15iterator_traitsISY_E10value_typeET2_T3_PNSZ_IS14_E10value_typeET4_jRbjT5_S1A_jjP12ihipStream_tbEUljE_EEESV_SW_SX_S14_S18_S1A_T6_T7_T9_mT8_S1C_bDpT10_ENKUlT_T0_E_clISt17integral_constantIbLb1EES1O_IbLb0EEEEDaS1K_S1L_EUlS1K_E_NS1_11comp_targetILNS1_3genE3ELNS1_11target_archE908ELNS1_3gpuE7ELNS1_3repE0EEENS1_30default_config_static_selectorELNS0_4arch9wavefront6targetE0EEEvSY_,comdat
	.globl	_ZN7rocprim17ROCPRIM_400000_NS6detail17trampoline_kernelINS0_13select_configILj256ELj13ELNS0_17block_load_methodE3ELS4_3ELS4_3ELNS0_20block_scan_algorithmE0ELj4294967295EEENS1_25partition_config_selectorILNS1_17partition_subalgoE3EjNS0_10empty_typeEbEEZZNS1_14partition_implILS8_3ELb0ES6_jNS0_17counting_iteratorIjlEEPS9_SE_NS0_5tupleIJPjSE_EEENSF_IJSE_SE_EEES9_SG_JZNS1_25segmented_radix_sort_implINS0_14default_configELb0EPKhPhPKlPlN2at6native12_GLOBAL__N_18offset_tEEE10hipError_tPvRmT1_PNSt15iterator_traitsISY_E10value_typeET2_T3_PNSZ_IS14_E10value_typeET4_jRbjT5_S1A_jjP12ihipStream_tbEUljE_EEESV_SW_SX_S14_S18_S1A_T6_T7_T9_mT8_S1C_bDpT10_ENKUlT_T0_E_clISt17integral_constantIbLb1EES1O_IbLb0EEEEDaS1K_S1L_EUlS1K_E_NS1_11comp_targetILNS1_3genE3ELNS1_11target_archE908ELNS1_3gpuE7ELNS1_3repE0EEENS1_30default_config_static_selectorELNS0_4arch9wavefront6targetE0EEEvSY_ ; -- Begin function _ZN7rocprim17ROCPRIM_400000_NS6detail17trampoline_kernelINS0_13select_configILj256ELj13ELNS0_17block_load_methodE3ELS4_3ELS4_3ELNS0_20block_scan_algorithmE0ELj4294967295EEENS1_25partition_config_selectorILNS1_17partition_subalgoE3EjNS0_10empty_typeEbEEZZNS1_14partition_implILS8_3ELb0ES6_jNS0_17counting_iteratorIjlEEPS9_SE_NS0_5tupleIJPjSE_EEENSF_IJSE_SE_EEES9_SG_JZNS1_25segmented_radix_sort_implINS0_14default_configELb0EPKhPhPKlPlN2at6native12_GLOBAL__N_18offset_tEEE10hipError_tPvRmT1_PNSt15iterator_traitsISY_E10value_typeET2_T3_PNSZ_IS14_E10value_typeET4_jRbjT5_S1A_jjP12ihipStream_tbEUljE_EEESV_SW_SX_S14_S18_S1A_T6_T7_T9_mT8_S1C_bDpT10_ENKUlT_T0_E_clISt17integral_constantIbLb1EES1O_IbLb0EEEEDaS1K_S1L_EUlS1K_E_NS1_11comp_targetILNS1_3genE3ELNS1_11target_archE908ELNS1_3gpuE7ELNS1_3repE0EEENS1_30default_config_static_selectorELNS0_4arch9wavefront6targetE0EEEvSY_
	.p2align	8
	.type	_ZN7rocprim17ROCPRIM_400000_NS6detail17trampoline_kernelINS0_13select_configILj256ELj13ELNS0_17block_load_methodE3ELS4_3ELS4_3ELNS0_20block_scan_algorithmE0ELj4294967295EEENS1_25partition_config_selectorILNS1_17partition_subalgoE3EjNS0_10empty_typeEbEEZZNS1_14partition_implILS8_3ELb0ES6_jNS0_17counting_iteratorIjlEEPS9_SE_NS0_5tupleIJPjSE_EEENSF_IJSE_SE_EEES9_SG_JZNS1_25segmented_radix_sort_implINS0_14default_configELb0EPKhPhPKlPlN2at6native12_GLOBAL__N_18offset_tEEE10hipError_tPvRmT1_PNSt15iterator_traitsISY_E10value_typeET2_T3_PNSZ_IS14_E10value_typeET4_jRbjT5_S1A_jjP12ihipStream_tbEUljE_EEESV_SW_SX_S14_S18_S1A_T6_T7_T9_mT8_S1C_bDpT10_ENKUlT_T0_E_clISt17integral_constantIbLb1EES1O_IbLb0EEEEDaS1K_S1L_EUlS1K_E_NS1_11comp_targetILNS1_3genE3ELNS1_11target_archE908ELNS1_3gpuE7ELNS1_3repE0EEENS1_30default_config_static_selectorELNS0_4arch9wavefront6targetE0EEEvSY_,@function
_ZN7rocprim17ROCPRIM_400000_NS6detail17trampoline_kernelINS0_13select_configILj256ELj13ELNS0_17block_load_methodE3ELS4_3ELS4_3ELNS0_20block_scan_algorithmE0ELj4294967295EEENS1_25partition_config_selectorILNS1_17partition_subalgoE3EjNS0_10empty_typeEbEEZZNS1_14partition_implILS8_3ELb0ES6_jNS0_17counting_iteratorIjlEEPS9_SE_NS0_5tupleIJPjSE_EEENSF_IJSE_SE_EEES9_SG_JZNS1_25segmented_radix_sort_implINS0_14default_configELb0EPKhPhPKlPlN2at6native12_GLOBAL__N_18offset_tEEE10hipError_tPvRmT1_PNSt15iterator_traitsISY_E10value_typeET2_T3_PNSZ_IS14_E10value_typeET4_jRbjT5_S1A_jjP12ihipStream_tbEUljE_EEESV_SW_SX_S14_S18_S1A_T6_T7_T9_mT8_S1C_bDpT10_ENKUlT_T0_E_clISt17integral_constantIbLb1EES1O_IbLb0EEEEDaS1K_S1L_EUlS1K_E_NS1_11comp_targetILNS1_3genE3ELNS1_11target_archE908ELNS1_3gpuE7ELNS1_3repE0EEENS1_30default_config_static_selectorELNS0_4arch9wavefront6targetE0EEEvSY_: ; @_ZN7rocprim17ROCPRIM_400000_NS6detail17trampoline_kernelINS0_13select_configILj256ELj13ELNS0_17block_load_methodE3ELS4_3ELS4_3ELNS0_20block_scan_algorithmE0ELj4294967295EEENS1_25partition_config_selectorILNS1_17partition_subalgoE3EjNS0_10empty_typeEbEEZZNS1_14partition_implILS8_3ELb0ES6_jNS0_17counting_iteratorIjlEEPS9_SE_NS0_5tupleIJPjSE_EEENSF_IJSE_SE_EEES9_SG_JZNS1_25segmented_radix_sort_implINS0_14default_configELb0EPKhPhPKlPlN2at6native12_GLOBAL__N_18offset_tEEE10hipError_tPvRmT1_PNSt15iterator_traitsISY_E10value_typeET2_T3_PNSZ_IS14_E10value_typeET4_jRbjT5_S1A_jjP12ihipStream_tbEUljE_EEESV_SW_SX_S14_S18_S1A_T6_T7_T9_mT8_S1C_bDpT10_ENKUlT_T0_E_clISt17integral_constantIbLb1EES1O_IbLb0EEEEDaS1K_S1L_EUlS1K_E_NS1_11comp_targetILNS1_3genE3ELNS1_11target_archE908ELNS1_3gpuE7ELNS1_3repE0EEENS1_30default_config_static_selectorELNS0_4arch9wavefront6targetE0EEEvSY_
; %bb.0:
	.section	.rodata,"a",@progbits
	.p2align	6, 0x0
	.amdhsa_kernel _ZN7rocprim17ROCPRIM_400000_NS6detail17trampoline_kernelINS0_13select_configILj256ELj13ELNS0_17block_load_methodE3ELS4_3ELS4_3ELNS0_20block_scan_algorithmE0ELj4294967295EEENS1_25partition_config_selectorILNS1_17partition_subalgoE3EjNS0_10empty_typeEbEEZZNS1_14partition_implILS8_3ELb0ES6_jNS0_17counting_iteratorIjlEEPS9_SE_NS0_5tupleIJPjSE_EEENSF_IJSE_SE_EEES9_SG_JZNS1_25segmented_radix_sort_implINS0_14default_configELb0EPKhPhPKlPlN2at6native12_GLOBAL__N_18offset_tEEE10hipError_tPvRmT1_PNSt15iterator_traitsISY_E10value_typeET2_T3_PNSZ_IS14_E10value_typeET4_jRbjT5_S1A_jjP12ihipStream_tbEUljE_EEESV_SW_SX_S14_S18_S1A_T6_T7_T9_mT8_S1C_bDpT10_ENKUlT_T0_E_clISt17integral_constantIbLb1EES1O_IbLb0EEEEDaS1K_S1L_EUlS1K_E_NS1_11comp_targetILNS1_3genE3ELNS1_11target_archE908ELNS1_3gpuE7ELNS1_3repE0EEENS1_30default_config_static_selectorELNS0_4arch9wavefront6targetE0EEEvSY_
		.amdhsa_group_segment_fixed_size 0
		.amdhsa_private_segment_fixed_size 0
		.amdhsa_kernarg_size 144
		.amdhsa_user_sgpr_count 2
		.amdhsa_user_sgpr_dispatch_ptr 0
		.amdhsa_user_sgpr_queue_ptr 0
		.amdhsa_user_sgpr_kernarg_segment_ptr 1
		.amdhsa_user_sgpr_dispatch_id 0
		.amdhsa_user_sgpr_private_segment_size 0
		.amdhsa_wavefront_size32 1
		.amdhsa_uses_dynamic_stack 0
		.amdhsa_enable_private_segment 0
		.amdhsa_system_sgpr_workgroup_id_x 1
		.amdhsa_system_sgpr_workgroup_id_y 0
		.amdhsa_system_sgpr_workgroup_id_z 0
		.amdhsa_system_sgpr_workgroup_info 0
		.amdhsa_system_vgpr_workitem_id 0
		.amdhsa_next_free_vgpr 1
		.amdhsa_next_free_sgpr 1
		.amdhsa_reserve_vcc 0
		.amdhsa_float_round_mode_32 0
		.amdhsa_float_round_mode_16_64 0
		.amdhsa_float_denorm_mode_32 3
		.amdhsa_float_denorm_mode_16_64 3
		.amdhsa_fp16_overflow 0
		.amdhsa_workgroup_processor_mode 1
		.amdhsa_memory_ordered 1
		.amdhsa_forward_progress 1
		.amdhsa_inst_pref_size 0
		.amdhsa_round_robin_scheduling 0
		.amdhsa_exception_fp_ieee_invalid_op 0
		.amdhsa_exception_fp_denorm_src 0
		.amdhsa_exception_fp_ieee_div_zero 0
		.amdhsa_exception_fp_ieee_overflow 0
		.amdhsa_exception_fp_ieee_underflow 0
		.amdhsa_exception_fp_ieee_inexact 0
		.amdhsa_exception_int_div_zero 0
	.end_amdhsa_kernel
	.section	.text._ZN7rocprim17ROCPRIM_400000_NS6detail17trampoline_kernelINS0_13select_configILj256ELj13ELNS0_17block_load_methodE3ELS4_3ELS4_3ELNS0_20block_scan_algorithmE0ELj4294967295EEENS1_25partition_config_selectorILNS1_17partition_subalgoE3EjNS0_10empty_typeEbEEZZNS1_14partition_implILS8_3ELb0ES6_jNS0_17counting_iteratorIjlEEPS9_SE_NS0_5tupleIJPjSE_EEENSF_IJSE_SE_EEES9_SG_JZNS1_25segmented_radix_sort_implINS0_14default_configELb0EPKhPhPKlPlN2at6native12_GLOBAL__N_18offset_tEEE10hipError_tPvRmT1_PNSt15iterator_traitsISY_E10value_typeET2_T3_PNSZ_IS14_E10value_typeET4_jRbjT5_S1A_jjP12ihipStream_tbEUljE_EEESV_SW_SX_S14_S18_S1A_T6_T7_T9_mT8_S1C_bDpT10_ENKUlT_T0_E_clISt17integral_constantIbLb1EES1O_IbLb0EEEEDaS1K_S1L_EUlS1K_E_NS1_11comp_targetILNS1_3genE3ELNS1_11target_archE908ELNS1_3gpuE7ELNS1_3repE0EEENS1_30default_config_static_selectorELNS0_4arch9wavefront6targetE0EEEvSY_,"axG",@progbits,_ZN7rocprim17ROCPRIM_400000_NS6detail17trampoline_kernelINS0_13select_configILj256ELj13ELNS0_17block_load_methodE3ELS4_3ELS4_3ELNS0_20block_scan_algorithmE0ELj4294967295EEENS1_25partition_config_selectorILNS1_17partition_subalgoE3EjNS0_10empty_typeEbEEZZNS1_14partition_implILS8_3ELb0ES6_jNS0_17counting_iteratorIjlEEPS9_SE_NS0_5tupleIJPjSE_EEENSF_IJSE_SE_EEES9_SG_JZNS1_25segmented_radix_sort_implINS0_14default_configELb0EPKhPhPKlPlN2at6native12_GLOBAL__N_18offset_tEEE10hipError_tPvRmT1_PNSt15iterator_traitsISY_E10value_typeET2_T3_PNSZ_IS14_E10value_typeET4_jRbjT5_S1A_jjP12ihipStream_tbEUljE_EEESV_SW_SX_S14_S18_S1A_T6_T7_T9_mT8_S1C_bDpT10_ENKUlT_T0_E_clISt17integral_constantIbLb1EES1O_IbLb0EEEEDaS1K_S1L_EUlS1K_E_NS1_11comp_targetILNS1_3genE3ELNS1_11target_archE908ELNS1_3gpuE7ELNS1_3repE0EEENS1_30default_config_static_selectorELNS0_4arch9wavefront6targetE0EEEvSY_,comdat
.Lfunc_end173:
	.size	_ZN7rocprim17ROCPRIM_400000_NS6detail17trampoline_kernelINS0_13select_configILj256ELj13ELNS0_17block_load_methodE3ELS4_3ELS4_3ELNS0_20block_scan_algorithmE0ELj4294967295EEENS1_25partition_config_selectorILNS1_17partition_subalgoE3EjNS0_10empty_typeEbEEZZNS1_14partition_implILS8_3ELb0ES6_jNS0_17counting_iteratorIjlEEPS9_SE_NS0_5tupleIJPjSE_EEENSF_IJSE_SE_EEES9_SG_JZNS1_25segmented_radix_sort_implINS0_14default_configELb0EPKhPhPKlPlN2at6native12_GLOBAL__N_18offset_tEEE10hipError_tPvRmT1_PNSt15iterator_traitsISY_E10value_typeET2_T3_PNSZ_IS14_E10value_typeET4_jRbjT5_S1A_jjP12ihipStream_tbEUljE_EEESV_SW_SX_S14_S18_S1A_T6_T7_T9_mT8_S1C_bDpT10_ENKUlT_T0_E_clISt17integral_constantIbLb1EES1O_IbLb0EEEEDaS1K_S1L_EUlS1K_E_NS1_11comp_targetILNS1_3genE3ELNS1_11target_archE908ELNS1_3gpuE7ELNS1_3repE0EEENS1_30default_config_static_selectorELNS0_4arch9wavefront6targetE0EEEvSY_, .Lfunc_end173-_ZN7rocprim17ROCPRIM_400000_NS6detail17trampoline_kernelINS0_13select_configILj256ELj13ELNS0_17block_load_methodE3ELS4_3ELS4_3ELNS0_20block_scan_algorithmE0ELj4294967295EEENS1_25partition_config_selectorILNS1_17partition_subalgoE3EjNS0_10empty_typeEbEEZZNS1_14partition_implILS8_3ELb0ES6_jNS0_17counting_iteratorIjlEEPS9_SE_NS0_5tupleIJPjSE_EEENSF_IJSE_SE_EEES9_SG_JZNS1_25segmented_radix_sort_implINS0_14default_configELb0EPKhPhPKlPlN2at6native12_GLOBAL__N_18offset_tEEE10hipError_tPvRmT1_PNSt15iterator_traitsISY_E10value_typeET2_T3_PNSZ_IS14_E10value_typeET4_jRbjT5_S1A_jjP12ihipStream_tbEUljE_EEESV_SW_SX_S14_S18_S1A_T6_T7_T9_mT8_S1C_bDpT10_ENKUlT_T0_E_clISt17integral_constantIbLb1EES1O_IbLb0EEEEDaS1K_S1L_EUlS1K_E_NS1_11comp_targetILNS1_3genE3ELNS1_11target_archE908ELNS1_3gpuE7ELNS1_3repE0EEENS1_30default_config_static_selectorELNS0_4arch9wavefront6targetE0EEEvSY_
                                        ; -- End function
	.set _ZN7rocprim17ROCPRIM_400000_NS6detail17trampoline_kernelINS0_13select_configILj256ELj13ELNS0_17block_load_methodE3ELS4_3ELS4_3ELNS0_20block_scan_algorithmE0ELj4294967295EEENS1_25partition_config_selectorILNS1_17partition_subalgoE3EjNS0_10empty_typeEbEEZZNS1_14partition_implILS8_3ELb0ES6_jNS0_17counting_iteratorIjlEEPS9_SE_NS0_5tupleIJPjSE_EEENSF_IJSE_SE_EEES9_SG_JZNS1_25segmented_radix_sort_implINS0_14default_configELb0EPKhPhPKlPlN2at6native12_GLOBAL__N_18offset_tEEE10hipError_tPvRmT1_PNSt15iterator_traitsISY_E10value_typeET2_T3_PNSZ_IS14_E10value_typeET4_jRbjT5_S1A_jjP12ihipStream_tbEUljE_EEESV_SW_SX_S14_S18_S1A_T6_T7_T9_mT8_S1C_bDpT10_ENKUlT_T0_E_clISt17integral_constantIbLb1EES1O_IbLb0EEEEDaS1K_S1L_EUlS1K_E_NS1_11comp_targetILNS1_3genE3ELNS1_11target_archE908ELNS1_3gpuE7ELNS1_3repE0EEENS1_30default_config_static_selectorELNS0_4arch9wavefront6targetE0EEEvSY_.num_vgpr, 0
	.set _ZN7rocprim17ROCPRIM_400000_NS6detail17trampoline_kernelINS0_13select_configILj256ELj13ELNS0_17block_load_methodE3ELS4_3ELS4_3ELNS0_20block_scan_algorithmE0ELj4294967295EEENS1_25partition_config_selectorILNS1_17partition_subalgoE3EjNS0_10empty_typeEbEEZZNS1_14partition_implILS8_3ELb0ES6_jNS0_17counting_iteratorIjlEEPS9_SE_NS0_5tupleIJPjSE_EEENSF_IJSE_SE_EEES9_SG_JZNS1_25segmented_radix_sort_implINS0_14default_configELb0EPKhPhPKlPlN2at6native12_GLOBAL__N_18offset_tEEE10hipError_tPvRmT1_PNSt15iterator_traitsISY_E10value_typeET2_T3_PNSZ_IS14_E10value_typeET4_jRbjT5_S1A_jjP12ihipStream_tbEUljE_EEESV_SW_SX_S14_S18_S1A_T6_T7_T9_mT8_S1C_bDpT10_ENKUlT_T0_E_clISt17integral_constantIbLb1EES1O_IbLb0EEEEDaS1K_S1L_EUlS1K_E_NS1_11comp_targetILNS1_3genE3ELNS1_11target_archE908ELNS1_3gpuE7ELNS1_3repE0EEENS1_30default_config_static_selectorELNS0_4arch9wavefront6targetE0EEEvSY_.num_agpr, 0
	.set _ZN7rocprim17ROCPRIM_400000_NS6detail17trampoline_kernelINS0_13select_configILj256ELj13ELNS0_17block_load_methodE3ELS4_3ELS4_3ELNS0_20block_scan_algorithmE0ELj4294967295EEENS1_25partition_config_selectorILNS1_17partition_subalgoE3EjNS0_10empty_typeEbEEZZNS1_14partition_implILS8_3ELb0ES6_jNS0_17counting_iteratorIjlEEPS9_SE_NS0_5tupleIJPjSE_EEENSF_IJSE_SE_EEES9_SG_JZNS1_25segmented_radix_sort_implINS0_14default_configELb0EPKhPhPKlPlN2at6native12_GLOBAL__N_18offset_tEEE10hipError_tPvRmT1_PNSt15iterator_traitsISY_E10value_typeET2_T3_PNSZ_IS14_E10value_typeET4_jRbjT5_S1A_jjP12ihipStream_tbEUljE_EEESV_SW_SX_S14_S18_S1A_T6_T7_T9_mT8_S1C_bDpT10_ENKUlT_T0_E_clISt17integral_constantIbLb1EES1O_IbLb0EEEEDaS1K_S1L_EUlS1K_E_NS1_11comp_targetILNS1_3genE3ELNS1_11target_archE908ELNS1_3gpuE7ELNS1_3repE0EEENS1_30default_config_static_selectorELNS0_4arch9wavefront6targetE0EEEvSY_.numbered_sgpr, 0
	.set _ZN7rocprim17ROCPRIM_400000_NS6detail17trampoline_kernelINS0_13select_configILj256ELj13ELNS0_17block_load_methodE3ELS4_3ELS4_3ELNS0_20block_scan_algorithmE0ELj4294967295EEENS1_25partition_config_selectorILNS1_17partition_subalgoE3EjNS0_10empty_typeEbEEZZNS1_14partition_implILS8_3ELb0ES6_jNS0_17counting_iteratorIjlEEPS9_SE_NS0_5tupleIJPjSE_EEENSF_IJSE_SE_EEES9_SG_JZNS1_25segmented_radix_sort_implINS0_14default_configELb0EPKhPhPKlPlN2at6native12_GLOBAL__N_18offset_tEEE10hipError_tPvRmT1_PNSt15iterator_traitsISY_E10value_typeET2_T3_PNSZ_IS14_E10value_typeET4_jRbjT5_S1A_jjP12ihipStream_tbEUljE_EEESV_SW_SX_S14_S18_S1A_T6_T7_T9_mT8_S1C_bDpT10_ENKUlT_T0_E_clISt17integral_constantIbLb1EES1O_IbLb0EEEEDaS1K_S1L_EUlS1K_E_NS1_11comp_targetILNS1_3genE3ELNS1_11target_archE908ELNS1_3gpuE7ELNS1_3repE0EEENS1_30default_config_static_selectorELNS0_4arch9wavefront6targetE0EEEvSY_.num_named_barrier, 0
	.set _ZN7rocprim17ROCPRIM_400000_NS6detail17trampoline_kernelINS0_13select_configILj256ELj13ELNS0_17block_load_methodE3ELS4_3ELS4_3ELNS0_20block_scan_algorithmE0ELj4294967295EEENS1_25partition_config_selectorILNS1_17partition_subalgoE3EjNS0_10empty_typeEbEEZZNS1_14partition_implILS8_3ELb0ES6_jNS0_17counting_iteratorIjlEEPS9_SE_NS0_5tupleIJPjSE_EEENSF_IJSE_SE_EEES9_SG_JZNS1_25segmented_radix_sort_implINS0_14default_configELb0EPKhPhPKlPlN2at6native12_GLOBAL__N_18offset_tEEE10hipError_tPvRmT1_PNSt15iterator_traitsISY_E10value_typeET2_T3_PNSZ_IS14_E10value_typeET4_jRbjT5_S1A_jjP12ihipStream_tbEUljE_EEESV_SW_SX_S14_S18_S1A_T6_T7_T9_mT8_S1C_bDpT10_ENKUlT_T0_E_clISt17integral_constantIbLb1EES1O_IbLb0EEEEDaS1K_S1L_EUlS1K_E_NS1_11comp_targetILNS1_3genE3ELNS1_11target_archE908ELNS1_3gpuE7ELNS1_3repE0EEENS1_30default_config_static_selectorELNS0_4arch9wavefront6targetE0EEEvSY_.private_seg_size, 0
	.set _ZN7rocprim17ROCPRIM_400000_NS6detail17trampoline_kernelINS0_13select_configILj256ELj13ELNS0_17block_load_methodE3ELS4_3ELS4_3ELNS0_20block_scan_algorithmE0ELj4294967295EEENS1_25partition_config_selectorILNS1_17partition_subalgoE3EjNS0_10empty_typeEbEEZZNS1_14partition_implILS8_3ELb0ES6_jNS0_17counting_iteratorIjlEEPS9_SE_NS0_5tupleIJPjSE_EEENSF_IJSE_SE_EEES9_SG_JZNS1_25segmented_radix_sort_implINS0_14default_configELb0EPKhPhPKlPlN2at6native12_GLOBAL__N_18offset_tEEE10hipError_tPvRmT1_PNSt15iterator_traitsISY_E10value_typeET2_T3_PNSZ_IS14_E10value_typeET4_jRbjT5_S1A_jjP12ihipStream_tbEUljE_EEESV_SW_SX_S14_S18_S1A_T6_T7_T9_mT8_S1C_bDpT10_ENKUlT_T0_E_clISt17integral_constantIbLb1EES1O_IbLb0EEEEDaS1K_S1L_EUlS1K_E_NS1_11comp_targetILNS1_3genE3ELNS1_11target_archE908ELNS1_3gpuE7ELNS1_3repE0EEENS1_30default_config_static_selectorELNS0_4arch9wavefront6targetE0EEEvSY_.uses_vcc, 0
	.set _ZN7rocprim17ROCPRIM_400000_NS6detail17trampoline_kernelINS0_13select_configILj256ELj13ELNS0_17block_load_methodE3ELS4_3ELS4_3ELNS0_20block_scan_algorithmE0ELj4294967295EEENS1_25partition_config_selectorILNS1_17partition_subalgoE3EjNS0_10empty_typeEbEEZZNS1_14partition_implILS8_3ELb0ES6_jNS0_17counting_iteratorIjlEEPS9_SE_NS0_5tupleIJPjSE_EEENSF_IJSE_SE_EEES9_SG_JZNS1_25segmented_radix_sort_implINS0_14default_configELb0EPKhPhPKlPlN2at6native12_GLOBAL__N_18offset_tEEE10hipError_tPvRmT1_PNSt15iterator_traitsISY_E10value_typeET2_T3_PNSZ_IS14_E10value_typeET4_jRbjT5_S1A_jjP12ihipStream_tbEUljE_EEESV_SW_SX_S14_S18_S1A_T6_T7_T9_mT8_S1C_bDpT10_ENKUlT_T0_E_clISt17integral_constantIbLb1EES1O_IbLb0EEEEDaS1K_S1L_EUlS1K_E_NS1_11comp_targetILNS1_3genE3ELNS1_11target_archE908ELNS1_3gpuE7ELNS1_3repE0EEENS1_30default_config_static_selectorELNS0_4arch9wavefront6targetE0EEEvSY_.uses_flat_scratch, 0
	.set _ZN7rocprim17ROCPRIM_400000_NS6detail17trampoline_kernelINS0_13select_configILj256ELj13ELNS0_17block_load_methodE3ELS4_3ELS4_3ELNS0_20block_scan_algorithmE0ELj4294967295EEENS1_25partition_config_selectorILNS1_17partition_subalgoE3EjNS0_10empty_typeEbEEZZNS1_14partition_implILS8_3ELb0ES6_jNS0_17counting_iteratorIjlEEPS9_SE_NS0_5tupleIJPjSE_EEENSF_IJSE_SE_EEES9_SG_JZNS1_25segmented_radix_sort_implINS0_14default_configELb0EPKhPhPKlPlN2at6native12_GLOBAL__N_18offset_tEEE10hipError_tPvRmT1_PNSt15iterator_traitsISY_E10value_typeET2_T3_PNSZ_IS14_E10value_typeET4_jRbjT5_S1A_jjP12ihipStream_tbEUljE_EEESV_SW_SX_S14_S18_S1A_T6_T7_T9_mT8_S1C_bDpT10_ENKUlT_T0_E_clISt17integral_constantIbLb1EES1O_IbLb0EEEEDaS1K_S1L_EUlS1K_E_NS1_11comp_targetILNS1_3genE3ELNS1_11target_archE908ELNS1_3gpuE7ELNS1_3repE0EEENS1_30default_config_static_selectorELNS0_4arch9wavefront6targetE0EEEvSY_.has_dyn_sized_stack, 0
	.set _ZN7rocprim17ROCPRIM_400000_NS6detail17trampoline_kernelINS0_13select_configILj256ELj13ELNS0_17block_load_methodE3ELS4_3ELS4_3ELNS0_20block_scan_algorithmE0ELj4294967295EEENS1_25partition_config_selectorILNS1_17partition_subalgoE3EjNS0_10empty_typeEbEEZZNS1_14partition_implILS8_3ELb0ES6_jNS0_17counting_iteratorIjlEEPS9_SE_NS0_5tupleIJPjSE_EEENSF_IJSE_SE_EEES9_SG_JZNS1_25segmented_radix_sort_implINS0_14default_configELb0EPKhPhPKlPlN2at6native12_GLOBAL__N_18offset_tEEE10hipError_tPvRmT1_PNSt15iterator_traitsISY_E10value_typeET2_T3_PNSZ_IS14_E10value_typeET4_jRbjT5_S1A_jjP12ihipStream_tbEUljE_EEESV_SW_SX_S14_S18_S1A_T6_T7_T9_mT8_S1C_bDpT10_ENKUlT_T0_E_clISt17integral_constantIbLb1EES1O_IbLb0EEEEDaS1K_S1L_EUlS1K_E_NS1_11comp_targetILNS1_3genE3ELNS1_11target_archE908ELNS1_3gpuE7ELNS1_3repE0EEENS1_30default_config_static_selectorELNS0_4arch9wavefront6targetE0EEEvSY_.has_recursion, 0
	.set _ZN7rocprim17ROCPRIM_400000_NS6detail17trampoline_kernelINS0_13select_configILj256ELj13ELNS0_17block_load_methodE3ELS4_3ELS4_3ELNS0_20block_scan_algorithmE0ELj4294967295EEENS1_25partition_config_selectorILNS1_17partition_subalgoE3EjNS0_10empty_typeEbEEZZNS1_14partition_implILS8_3ELb0ES6_jNS0_17counting_iteratorIjlEEPS9_SE_NS0_5tupleIJPjSE_EEENSF_IJSE_SE_EEES9_SG_JZNS1_25segmented_radix_sort_implINS0_14default_configELb0EPKhPhPKlPlN2at6native12_GLOBAL__N_18offset_tEEE10hipError_tPvRmT1_PNSt15iterator_traitsISY_E10value_typeET2_T3_PNSZ_IS14_E10value_typeET4_jRbjT5_S1A_jjP12ihipStream_tbEUljE_EEESV_SW_SX_S14_S18_S1A_T6_T7_T9_mT8_S1C_bDpT10_ENKUlT_T0_E_clISt17integral_constantIbLb1EES1O_IbLb0EEEEDaS1K_S1L_EUlS1K_E_NS1_11comp_targetILNS1_3genE3ELNS1_11target_archE908ELNS1_3gpuE7ELNS1_3repE0EEENS1_30default_config_static_selectorELNS0_4arch9wavefront6targetE0EEEvSY_.has_indirect_call, 0
	.section	.AMDGPU.csdata,"",@progbits
; Kernel info:
; codeLenInByte = 0
; TotalNumSgprs: 0
; NumVgprs: 0
; ScratchSize: 0
; MemoryBound: 0
; FloatMode: 240
; IeeeMode: 1
; LDSByteSize: 0 bytes/workgroup (compile time only)
; SGPRBlocks: 0
; VGPRBlocks: 0
; NumSGPRsForWavesPerEU: 1
; NumVGPRsForWavesPerEU: 1
; Occupancy: 16
; WaveLimiterHint : 0
; COMPUTE_PGM_RSRC2:SCRATCH_EN: 0
; COMPUTE_PGM_RSRC2:USER_SGPR: 2
; COMPUTE_PGM_RSRC2:TRAP_HANDLER: 0
; COMPUTE_PGM_RSRC2:TGID_X_EN: 1
; COMPUTE_PGM_RSRC2:TGID_Y_EN: 0
; COMPUTE_PGM_RSRC2:TGID_Z_EN: 0
; COMPUTE_PGM_RSRC2:TIDIG_COMP_CNT: 0
	.section	.text._ZN7rocprim17ROCPRIM_400000_NS6detail17trampoline_kernelINS0_13select_configILj256ELj13ELNS0_17block_load_methodE3ELS4_3ELS4_3ELNS0_20block_scan_algorithmE0ELj4294967295EEENS1_25partition_config_selectorILNS1_17partition_subalgoE3EjNS0_10empty_typeEbEEZZNS1_14partition_implILS8_3ELb0ES6_jNS0_17counting_iteratorIjlEEPS9_SE_NS0_5tupleIJPjSE_EEENSF_IJSE_SE_EEES9_SG_JZNS1_25segmented_radix_sort_implINS0_14default_configELb0EPKhPhPKlPlN2at6native12_GLOBAL__N_18offset_tEEE10hipError_tPvRmT1_PNSt15iterator_traitsISY_E10value_typeET2_T3_PNSZ_IS14_E10value_typeET4_jRbjT5_S1A_jjP12ihipStream_tbEUljE_EEESV_SW_SX_S14_S18_S1A_T6_T7_T9_mT8_S1C_bDpT10_ENKUlT_T0_E_clISt17integral_constantIbLb1EES1O_IbLb0EEEEDaS1K_S1L_EUlS1K_E_NS1_11comp_targetILNS1_3genE2ELNS1_11target_archE906ELNS1_3gpuE6ELNS1_3repE0EEENS1_30default_config_static_selectorELNS0_4arch9wavefront6targetE0EEEvSY_,"axG",@progbits,_ZN7rocprim17ROCPRIM_400000_NS6detail17trampoline_kernelINS0_13select_configILj256ELj13ELNS0_17block_load_methodE3ELS4_3ELS4_3ELNS0_20block_scan_algorithmE0ELj4294967295EEENS1_25partition_config_selectorILNS1_17partition_subalgoE3EjNS0_10empty_typeEbEEZZNS1_14partition_implILS8_3ELb0ES6_jNS0_17counting_iteratorIjlEEPS9_SE_NS0_5tupleIJPjSE_EEENSF_IJSE_SE_EEES9_SG_JZNS1_25segmented_radix_sort_implINS0_14default_configELb0EPKhPhPKlPlN2at6native12_GLOBAL__N_18offset_tEEE10hipError_tPvRmT1_PNSt15iterator_traitsISY_E10value_typeET2_T3_PNSZ_IS14_E10value_typeET4_jRbjT5_S1A_jjP12ihipStream_tbEUljE_EEESV_SW_SX_S14_S18_S1A_T6_T7_T9_mT8_S1C_bDpT10_ENKUlT_T0_E_clISt17integral_constantIbLb1EES1O_IbLb0EEEEDaS1K_S1L_EUlS1K_E_NS1_11comp_targetILNS1_3genE2ELNS1_11target_archE906ELNS1_3gpuE6ELNS1_3repE0EEENS1_30default_config_static_selectorELNS0_4arch9wavefront6targetE0EEEvSY_,comdat
	.globl	_ZN7rocprim17ROCPRIM_400000_NS6detail17trampoline_kernelINS0_13select_configILj256ELj13ELNS0_17block_load_methodE3ELS4_3ELS4_3ELNS0_20block_scan_algorithmE0ELj4294967295EEENS1_25partition_config_selectorILNS1_17partition_subalgoE3EjNS0_10empty_typeEbEEZZNS1_14partition_implILS8_3ELb0ES6_jNS0_17counting_iteratorIjlEEPS9_SE_NS0_5tupleIJPjSE_EEENSF_IJSE_SE_EEES9_SG_JZNS1_25segmented_radix_sort_implINS0_14default_configELb0EPKhPhPKlPlN2at6native12_GLOBAL__N_18offset_tEEE10hipError_tPvRmT1_PNSt15iterator_traitsISY_E10value_typeET2_T3_PNSZ_IS14_E10value_typeET4_jRbjT5_S1A_jjP12ihipStream_tbEUljE_EEESV_SW_SX_S14_S18_S1A_T6_T7_T9_mT8_S1C_bDpT10_ENKUlT_T0_E_clISt17integral_constantIbLb1EES1O_IbLb0EEEEDaS1K_S1L_EUlS1K_E_NS1_11comp_targetILNS1_3genE2ELNS1_11target_archE906ELNS1_3gpuE6ELNS1_3repE0EEENS1_30default_config_static_selectorELNS0_4arch9wavefront6targetE0EEEvSY_ ; -- Begin function _ZN7rocprim17ROCPRIM_400000_NS6detail17trampoline_kernelINS0_13select_configILj256ELj13ELNS0_17block_load_methodE3ELS4_3ELS4_3ELNS0_20block_scan_algorithmE0ELj4294967295EEENS1_25partition_config_selectorILNS1_17partition_subalgoE3EjNS0_10empty_typeEbEEZZNS1_14partition_implILS8_3ELb0ES6_jNS0_17counting_iteratorIjlEEPS9_SE_NS0_5tupleIJPjSE_EEENSF_IJSE_SE_EEES9_SG_JZNS1_25segmented_radix_sort_implINS0_14default_configELb0EPKhPhPKlPlN2at6native12_GLOBAL__N_18offset_tEEE10hipError_tPvRmT1_PNSt15iterator_traitsISY_E10value_typeET2_T3_PNSZ_IS14_E10value_typeET4_jRbjT5_S1A_jjP12ihipStream_tbEUljE_EEESV_SW_SX_S14_S18_S1A_T6_T7_T9_mT8_S1C_bDpT10_ENKUlT_T0_E_clISt17integral_constantIbLb1EES1O_IbLb0EEEEDaS1K_S1L_EUlS1K_E_NS1_11comp_targetILNS1_3genE2ELNS1_11target_archE906ELNS1_3gpuE6ELNS1_3repE0EEENS1_30default_config_static_selectorELNS0_4arch9wavefront6targetE0EEEvSY_
	.p2align	8
	.type	_ZN7rocprim17ROCPRIM_400000_NS6detail17trampoline_kernelINS0_13select_configILj256ELj13ELNS0_17block_load_methodE3ELS4_3ELS4_3ELNS0_20block_scan_algorithmE0ELj4294967295EEENS1_25partition_config_selectorILNS1_17partition_subalgoE3EjNS0_10empty_typeEbEEZZNS1_14partition_implILS8_3ELb0ES6_jNS0_17counting_iteratorIjlEEPS9_SE_NS0_5tupleIJPjSE_EEENSF_IJSE_SE_EEES9_SG_JZNS1_25segmented_radix_sort_implINS0_14default_configELb0EPKhPhPKlPlN2at6native12_GLOBAL__N_18offset_tEEE10hipError_tPvRmT1_PNSt15iterator_traitsISY_E10value_typeET2_T3_PNSZ_IS14_E10value_typeET4_jRbjT5_S1A_jjP12ihipStream_tbEUljE_EEESV_SW_SX_S14_S18_S1A_T6_T7_T9_mT8_S1C_bDpT10_ENKUlT_T0_E_clISt17integral_constantIbLb1EES1O_IbLb0EEEEDaS1K_S1L_EUlS1K_E_NS1_11comp_targetILNS1_3genE2ELNS1_11target_archE906ELNS1_3gpuE6ELNS1_3repE0EEENS1_30default_config_static_selectorELNS0_4arch9wavefront6targetE0EEEvSY_,@function
_ZN7rocprim17ROCPRIM_400000_NS6detail17trampoline_kernelINS0_13select_configILj256ELj13ELNS0_17block_load_methodE3ELS4_3ELS4_3ELNS0_20block_scan_algorithmE0ELj4294967295EEENS1_25partition_config_selectorILNS1_17partition_subalgoE3EjNS0_10empty_typeEbEEZZNS1_14partition_implILS8_3ELb0ES6_jNS0_17counting_iteratorIjlEEPS9_SE_NS0_5tupleIJPjSE_EEENSF_IJSE_SE_EEES9_SG_JZNS1_25segmented_radix_sort_implINS0_14default_configELb0EPKhPhPKlPlN2at6native12_GLOBAL__N_18offset_tEEE10hipError_tPvRmT1_PNSt15iterator_traitsISY_E10value_typeET2_T3_PNSZ_IS14_E10value_typeET4_jRbjT5_S1A_jjP12ihipStream_tbEUljE_EEESV_SW_SX_S14_S18_S1A_T6_T7_T9_mT8_S1C_bDpT10_ENKUlT_T0_E_clISt17integral_constantIbLb1EES1O_IbLb0EEEEDaS1K_S1L_EUlS1K_E_NS1_11comp_targetILNS1_3genE2ELNS1_11target_archE906ELNS1_3gpuE6ELNS1_3repE0EEENS1_30default_config_static_selectorELNS0_4arch9wavefront6targetE0EEEvSY_: ; @_ZN7rocprim17ROCPRIM_400000_NS6detail17trampoline_kernelINS0_13select_configILj256ELj13ELNS0_17block_load_methodE3ELS4_3ELS4_3ELNS0_20block_scan_algorithmE0ELj4294967295EEENS1_25partition_config_selectorILNS1_17partition_subalgoE3EjNS0_10empty_typeEbEEZZNS1_14partition_implILS8_3ELb0ES6_jNS0_17counting_iteratorIjlEEPS9_SE_NS0_5tupleIJPjSE_EEENSF_IJSE_SE_EEES9_SG_JZNS1_25segmented_radix_sort_implINS0_14default_configELb0EPKhPhPKlPlN2at6native12_GLOBAL__N_18offset_tEEE10hipError_tPvRmT1_PNSt15iterator_traitsISY_E10value_typeET2_T3_PNSZ_IS14_E10value_typeET4_jRbjT5_S1A_jjP12ihipStream_tbEUljE_EEESV_SW_SX_S14_S18_S1A_T6_T7_T9_mT8_S1C_bDpT10_ENKUlT_T0_E_clISt17integral_constantIbLb1EES1O_IbLb0EEEEDaS1K_S1L_EUlS1K_E_NS1_11comp_targetILNS1_3genE2ELNS1_11target_archE906ELNS1_3gpuE6ELNS1_3repE0EEENS1_30default_config_static_selectorELNS0_4arch9wavefront6targetE0EEEvSY_
; %bb.0:
	.section	.rodata,"a",@progbits
	.p2align	6, 0x0
	.amdhsa_kernel _ZN7rocprim17ROCPRIM_400000_NS6detail17trampoline_kernelINS0_13select_configILj256ELj13ELNS0_17block_load_methodE3ELS4_3ELS4_3ELNS0_20block_scan_algorithmE0ELj4294967295EEENS1_25partition_config_selectorILNS1_17partition_subalgoE3EjNS0_10empty_typeEbEEZZNS1_14partition_implILS8_3ELb0ES6_jNS0_17counting_iteratorIjlEEPS9_SE_NS0_5tupleIJPjSE_EEENSF_IJSE_SE_EEES9_SG_JZNS1_25segmented_radix_sort_implINS0_14default_configELb0EPKhPhPKlPlN2at6native12_GLOBAL__N_18offset_tEEE10hipError_tPvRmT1_PNSt15iterator_traitsISY_E10value_typeET2_T3_PNSZ_IS14_E10value_typeET4_jRbjT5_S1A_jjP12ihipStream_tbEUljE_EEESV_SW_SX_S14_S18_S1A_T6_T7_T9_mT8_S1C_bDpT10_ENKUlT_T0_E_clISt17integral_constantIbLb1EES1O_IbLb0EEEEDaS1K_S1L_EUlS1K_E_NS1_11comp_targetILNS1_3genE2ELNS1_11target_archE906ELNS1_3gpuE6ELNS1_3repE0EEENS1_30default_config_static_selectorELNS0_4arch9wavefront6targetE0EEEvSY_
		.amdhsa_group_segment_fixed_size 0
		.amdhsa_private_segment_fixed_size 0
		.amdhsa_kernarg_size 144
		.amdhsa_user_sgpr_count 2
		.amdhsa_user_sgpr_dispatch_ptr 0
		.amdhsa_user_sgpr_queue_ptr 0
		.amdhsa_user_sgpr_kernarg_segment_ptr 1
		.amdhsa_user_sgpr_dispatch_id 0
		.amdhsa_user_sgpr_private_segment_size 0
		.amdhsa_wavefront_size32 1
		.amdhsa_uses_dynamic_stack 0
		.amdhsa_enable_private_segment 0
		.amdhsa_system_sgpr_workgroup_id_x 1
		.amdhsa_system_sgpr_workgroup_id_y 0
		.amdhsa_system_sgpr_workgroup_id_z 0
		.amdhsa_system_sgpr_workgroup_info 0
		.amdhsa_system_vgpr_workitem_id 0
		.amdhsa_next_free_vgpr 1
		.amdhsa_next_free_sgpr 1
		.amdhsa_reserve_vcc 0
		.amdhsa_float_round_mode_32 0
		.amdhsa_float_round_mode_16_64 0
		.amdhsa_float_denorm_mode_32 3
		.amdhsa_float_denorm_mode_16_64 3
		.amdhsa_fp16_overflow 0
		.amdhsa_workgroup_processor_mode 1
		.amdhsa_memory_ordered 1
		.amdhsa_forward_progress 1
		.amdhsa_inst_pref_size 0
		.amdhsa_round_robin_scheduling 0
		.amdhsa_exception_fp_ieee_invalid_op 0
		.amdhsa_exception_fp_denorm_src 0
		.amdhsa_exception_fp_ieee_div_zero 0
		.amdhsa_exception_fp_ieee_overflow 0
		.amdhsa_exception_fp_ieee_underflow 0
		.amdhsa_exception_fp_ieee_inexact 0
		.amdhsa_exception_int_div_zero 0
	.end_amdhsa_kernel
	.section	.text._ZN7rocprim17ROCPRIM_400000_NS6detail17trampoline_kernelINS0_13select_configILj256ELj13ELNS0_17block_load_methodE3ELS4_3ELS4_3ELNS0_20block_scan_algorithmE0ELj4294967295EEENS1_25partition_config_selectorILNS1_17partition_subalgoE3EjNS0_10empty_typeEbEEZZNS1_14partition_implILS8_3ELb0ES6_jNS0_17counting_iteratorIjlEEPS9_SE_NS0_5tupleIJPjSE_EEENSF_IJSE_SE_EEES9_SG_JZNS1_25segmented_radix_sort_implINS0_14default_configELb0EPKhPhPKlPlN2at6native12_GLOBAL__N_18offset_tEEE10hipError_tPvRmT1_PNSt15iterator_traitsISY_E10value_typeET2_T3_PNSZ_IS14_E10value_typeET4_jRbjT5_S1A_jjP12ihipStream_tbEUljE_EEESV_SW_SX_S14_S18_S1A_T6_T7_T9_mT8_S1C_bDpT10_ENKUlT_T0_E_clISt17integral_constantIbLb1EES1O_IbLb0EEEEDaS1K_S1L_EUlS1K_E_NS1_11comp_targetILNS1_3genE2ELNS1_11target_archE906ELNS1_3gpuE6ELNS1_3repE0EEENS1_30default_config_static_selectorELNS0_4arch9wavefront6targetE0EEEvSY_,"axG",@progbits,_ZN7rocprim17ROCPRIM_400000_NS6detail17trampoline_kernelINS0_13select_configILj256ELj13ELNS0_17block_load_methodE3ELS4_3ELS4_3ELNS0_20block_scan_algorithmE0ELj4294967295EEENS1_25partition_config_selectorILNS1_17partition_subalgoE3EjNS0_10empty_typeEbEEZZNS1_14partition_implILS8_3ELb0ES6_jNS0_17counting_iteratorIjlEEPS9_SE_NS0_5tupleIJPjSE_EEENSF_IJSE_SE_EEES9_SG_JZNS1_25segmented_radix_sort_implINS0_14default_configELb0EPKhPhPKlPlN2at6native12_GLOBAL__N_18offset_tEEE10hipError_tPvRmT1_PNSt15iterator_traitsISY_E10value_typeET2_T3_PNSZ_IS14_E10value_typeET4_jRbjT5_S1A_jjP12ihipStream_tbEUljE_EEESV_SW_SX_S14_S18_S1A_T6_T7_T9_mT8_S1C_bDpT10_ENKUlT_T0_E_clISt17integral_constantIbLb1EES1O_IbLb0EEEEDaS1K_S1L_EUlS1K_E_NS1_11comp_targetILNS1_3genE2ELNS1_11target_archE906ELNS1_3gpuE6ELNS1_3repE0EEENS1_30default_config_static_selectorELNS0_4arch9wavefront6targetE0EEEvSY_,comdat
.Lfunc_end174:
	.size	_ZN7rocprim17ROCPRIM_400000_NS6detail17trampoline_kernelINS0_13select_configILj256ELj13ELNS0_17block_load_methodE3ELS4_3ELS4_3ELNS0_20block_scan_algorithmE0ELj4294967295EEENS1_25partition_config_selectorILNS1_17partition_subalgoE3EjNS0_10empty_typeEbEEZZNS1_14partition_implILS8_3ELb0ES6_jNS0_17counting_iteratorIjlEEPS9_SE_NS0_5tupleIJPjSE_EEENSF_IJSE_SE_EEES9_SG_JZNS1_25segmented_radix_sort_implINS0_14default_configELb0EPKhPhPKlPlN2at6native12_GLOBAL__N_18offset_tEEE10hipError_tPvRmT1_PNSt15iterator_traitsISY_E10value_typeET2_T3_PNSZ_IS14_E10value_typeET4_jRbjT5_S1A_jjP12ihipStream_tbEUljE_EEESV_SW_SX_S14_S18_S1A_T6_T7_T9_mT8_S1C_bDpT10_ENKUlT_T0_E_clISt17integral_constantIbLb1EES1O_IbLb0EEEEDaS1K_S1L_EUlS1K_E_NS1_11comp_targetILNS1_3genE2ELNS1_11target_archE906ELNS1_3gpuE6ELNS1_3repE0EEENS1_30default_config_static_selectorELNS0_4arch9wavefront6targetE0EEEvSY_, .Lfunc_end174-_ZN7rocprim17ROCPRIM_400000_NS6detail17trampoline_kernelINS0_13select_configILj256ELj13ELNS0_17block_load_methodE3ELS4_3ELS4_3ELNS0_20block_scan_algorithmE0ELj4294967295EEENS1_25partition_config_selectorILNS1_17partition_subalgoE3EjNS0_10empty_typeEbEEZZNS1_14partition_implILS8_3ELb0ES6_jNS0_17counting_iteratorIjlEEPS9_SE_NS0_5tupleIJPjSE_EEENSF_IJSE_SE_EEES9_SG_JZNS1_25segmented_radix_sort_implINS0_14default_configELb0EPKhPhPKlPlN2at6native12_GLOBAL__N_18offset_tEEE10hipError_tPvRmT1_PNSt15iterator_traitsISY_E10value_typeET2_T3_PNSZ_IS14_E10value_typeET4_jRbjT5_S1A_jjP12ihipStream_tbEUljE_EEESV_SW_SX_S14_S18_S1A_T6_T7_T9_mT8_S1C_bDpT10_ENKUlT_T0_E_clISt17integral_constantIbLb1EES1O_IbLb0EEEEDaS1K_S1L_EUlS1K_E_NS1_11comp_targetILNS1_3genE2ELNS1_11target_archE906ELNS1_3gpuE6ELNS1_3repE0EEENS1_30default_config_static_selectorELNS0_4arch9wavefront6targetE0EEEvSY_
                                        ; -- End function
	.set _ZN7rocprim17ROCPRIM_400000_NS6detail17trampoline_kernelINS0_13select_configILj256ELj13ELNS0_17block_load_methodE3ELS4_3ELS4_3ELNS0_20block_scan_algorithmE0ELj4294967295EEENS1_25partition_config_selectorILNS1_17partition_subalgoE3EjNS0_10empty_typeEbEEZZNS1_14partition_implILS8_3ELb0ES6_jNS0_17counting_iteratorIjlEEPS9_SE_NS0_5tupleIJPjSE_EEENSF_IJSE_SE_EEES9_SG_JZNS1_25segmented_radix_sort_implINS0_14default_configELb0EPKhPhPKlPlN2at6native12_GLOBAL__N_18offset_tEEE10hipError_tPvRmT1_PNSt15iterator_traitsISY_E10value_typeET2_T3_PNSZ_IS14_E10value_typeET4_jRbjT5_S1A_jjP12ihipStream_tbEUljE_EEESV_SW_SX_S14_S18_S1A_T6_T7_T9_mT8_S1C_bDpT10_ENKUlT_T0_E_clISt17integral_constantIbLb1EES1O_IbLb0EEEEDaS1K_S1L_EUlS1K_E_NS1_11comp_targetILNS1_3genE2ELNS1_11target_archE906ELNS1_3gpuE6ELNS1_3repE0EEENS1_30default_config_static_selectorELNS0_4arch9wavefront6targetE0EEEvSY_.num_vgpr, 0
	.set _ZN7rocprim17ROCPRIM_400000_NS6detail17trampoline_kernelINS0_13select_configILj256ELj13ELNS0_17block_load_methodE3ELS4_3ELS4_3ELNS0_20block_scan_algorithmE0ELj4294967295EEENS1_25partition_config_selectorILNS1_17partition_subalgoE3EjNS0_10empty_typeEbEEZZNS1_14partition_implILS8_3ELb0ES6_jNS0_17counting_iteratorIjlEEPS9_SE_NS0_5tupleIJPjSE_EEENSF_IJSE_SE_EEES9_SG_JZNS1_25segmented_radix_sort_implINS0_14default_configELb0EPKhPhPKlPlN2at6native12_GLOBAL__N_18offset_tEEE10hipError_tPvRmT1_PNSt15iterator_traitsISY_E10value_typeET2_T3_PNSZ_IS14_E10value_typeET4_jRbjT5_S1A_jjP12ihipStream_tbEUljE_EEESV_SW_SX_S14_S18_S1A_T6_T7_T9_mT8_S1C_bDpT10_ENKUlT_T0_E_clISt17integral_constantIbLb1EES1O_IbLb0EEEEDaS1K_S1L_EUlS1K_E_NS1_11comp_targetILNS1_3genE2ELNS1_11target_archE906ELNS1_3gpuE6ELNS1_3repE0EEENS1_30default_config_static_selectorELNS0_4arch9wavefront6targetE0EEEvSY_.num_agpr, 0
	.set _ZN7rocprim17ROCPRIM_400000_NS6detail17trampoline_kernelINS0_13select_configILj256ELj13ELNS0_17block_load_methodE3ELS4_3ELS4_3ELNS0_20block_scan_algorithmE0ELj4294967295EEENS1_25partition_config_selectorILNS1_17partition_subalgoE3EjNS0_10empty_typeEbEEZZNS1_14partition_implILS8_3ELb0ES6_jNS0_17counting_iteratorIjlEEPS9_SE_NS0_5tupleIJPjSE_EEENSF_IJSE_SE_EEES9_SG_JZNS1_25segmented_radix_sort_implINS0_14default_configELb0EPKhPhPKlPlN2at6native12_GLOBAL__N_18offset_tEEE10hipError_tPvRmT1_PNSt15iterator_traitsISY_E10value_typeET2_T3_PNSZ_IS14_E10value_typeET4_jRbjT5_S1A_jjP12ihipStream_tbEUljE_EEESV_SW_SX_S14_S18_S1A_T6_T7_T9_mT8_S1C_bDpT10_ENKUlT_T0_E_clISt17integral_constantIbLb1EES1O_IbLb0EEEEDaS1K_S1L_EUlS1K_E_NS1_11comp_targetILNS1_3genE2ELNS1_11target_archE906ELNS1_3gpuE6ELNS1_3repE0EEENS1_30default_config_static_selectorELNS0_4arch9wavefront6targetE0EEEvSY_.numbered_sgpr, 0
	.set _ZN7rocprim17ROCPRIM_400000_NS6detail17trampoline_kernelINS0_13select_configILj256ELj13ELNS0_17block_load_methodE3ELS4_3ELS4_3ELNS0_20block_scan_algorithmE0ELj4294967295EEENS1_25partition_config_selectorILNS1_17partition_subalgoE3EjNS0_10empty_typeEbEEZZNS1_14partition_implILS8_3ELb0ES6_jNS0_17counting_iteratorIjlEEPS9_SE_NS0_5tupleIJPjSE_EEENSF_IJSE_SE_EEES9_SG_JZNS1_25segmented_radix_sort_implINS0_14default_configELb0EPKhPhPKlPlN2at6native12_GLOBAL__N_18offset_tEEE10hipError_tPvRmT1_PNSt15iterator_traitsISY_E10value_typeET2_T3_PNSZ_IS14_E10value_typeET4_jRbjT5_S1A_jjP12ihipStream_tbEUljE_EEESV_SW_SX_S14_S18_S1A_T6_T7_T9_mT8_S1C_bDpT10_ENKUlT_T0_E_clISt17integral_constantIbLb1EES1O_IbLb0EEEEDaS1K_S1L_EUlS1K_E_NS1_11comp_targetILNS1_3genE2ELNS1_11target_archE906ELNS1_3gpuE6ELNS1_3repE0EEENS1_30default_config_static_selectorELNS0_4arch9wavefront6targetE0EEEvSY_.num_named_barrier, 0
	.set _ZN7rocprim17ROCPRIM_400000_NS6detail17trampoline_kernelINS0_13select_configILj256ELj13ELNS0_17block_load_methodE3ELS4_3ELS4_3ELNS0_20block_scan_algorithmE0ELj4294967295EEENS1_25partition_config_selectorILNS1_17partition_subalgoE3EjNS0_10empty_typeEbEEZZNS1_14partition_implILS8_3ELb0ES6_jNS0_17counting_iteratorIjlEEPS9_SE_NS0_5tupleIJPjSE_EEENSF_IJSE_SE_EEES9_SG_JZNS1_25segmented_radix_sort_implINS0_14default_configELb0EPKhPhPKlPlN2at6native12_GLOBAL__N_18offset_tEEE10hipError_tPvRmT1_PNSt15iterator_traitsISY_E10value_typeET2_T3_PNSZ_IS14_E10value_typeET4_jRbjT5_S1A_jjP12ihipStream_tbEUljE_EEESV_SW_SX_S14_S18_S1A_T6_T7_T9_mT8_S1C_bDpT10_ENKUlT_T0_E_clISt17integral_constantIbLb1EES1O_IbLb0EEEEDaS1K_S1L_EUlS1K_E_NS1_11comp_targetILNS1_3genE2ELNS1_11target_archE906ELNS1_3gpuE6ELNS1_3repE0EEENS1_30default_config_static_selectorELNS0_4arch9wavefront6targetE0EEEvSY_.private_seg_size, 0
	.set _ZN7rocprim17ROCPRIM_400000_NS6detail17trampoline_kernelINS0_13select_configILj256ELj13ELNS0_17block_load_methodE3ELS4_3ELS4_3ELNS0_20block_scan_algorithmE0ELj4294967295EEENS1_25partition_config_selectorILNS1_17partition_subalgoE3EjNS0_10empty_typeEbEEZZNS1_14partition_implILS8_3ELb0ES6_jNS0_17counting_iteratorIjlEEPS9_SE_NS0_5tupleIJPjSE_EEENSF_IJSE_SE_EEES9_SG_JZNS1_25segmented_radix_sort_implINS0_14default_configELb0EPKhPhPKlPlN2at6native12_GLOBAL__N_18offset_tEEE10hipError_tPvRmT1_PNSt15iterator_traitsISY_E10value_typeET2_T3_PNSZ_IS14_E10value_typeET4_jRbjT5_S1A_jjP12ihipStream_tbEUljE_EEESV_SW_SX_S14_S18_S1A_T6_T7_T9_mT8_S1C_bDpT10_ENKUlT_T0_E_clISt17integral_constantIbLb1EES1O_IbLb0EEEEDaS1K_S1L_EUlS1K_E_NS1_11comp_targetILNS1_3genE2ELNS1_11target_archE906ELNS1_3gpuE6ELNS1_3repE0EEENS1_30default_config_static_selectorELNS0_4arch9wavefront6targetE0EEEvSY_.uses_vcc, 0
	.set _ZN7rocprim17ROCPRIM_400000_NS6detail17trampoline_kernelINS0_13select_configILj256ELj13ELNS0_17block_load_methodE3ELS4_3ELS4_3ELNS0_20block_scan_algorithmE0ELj4294967295EEENS1_25partition_config_selectorILNS1_17partition_subalgoE3EjNS0_10empty_typeEbEEZZNS1_14partition_implILS8_3ELb0ES6_jNS0_17counting_iteratorIjlEEPS9_SE_NS0_5tupleIJPjSE_EEENSF_IJSE_SE_EEES9_SG_JZNS1_25segmented_radix_sort_implINS0_14default_configELb0EPKhPhPKlPlN2at6native12_GLOBAL__N_18offset_tEEE10hipError_tPvRmT1_PNSt15iterator_traitsISY_E10value_typeET2_T3_PNSZ_IS14_E10value_typeET4_jRbjT5_S1A_jjP12ihipStream_tbEUljE_EEESV_SW_SX_S14_S18_S1A_T6_T7_T9_mT8_S1C_bDpT10_ENKUlT_T0_E_clISt17integral_constantIbLb1EES1O_IbLb0EEEEDaS1K_S1L_EUlS1K_E_NS1_11comp_targetILNS1_3genE2ELNS1_11target_archE906ELNS1_3gpuE6ELNS1_3repE0EEENS1_30default_config_static_selectorELNS0_4arch9wavefront6targetE0EEEvSY_.uses_flat_scratch, 0
	.set _ZN7rocprim17ROCPRIM_400000_NS6detail17trampoline_kernelINS0_13select_configILj256ELj13ELNS0_17block_load_methodE3ELS4_3ELS4_3ELNS0_20block_scan_algorithmE0ELj4294967295EEENS1_25partition_config_selectorILNS1_17partition_subalgoE3EjNS0_10empty_typeEbEEZZNS1_14partition_implILS8_3ELb0ES6_jNS0_17counting_iteratorIjlEEPS9_SE_NS0_5tupleIJPjSE_EEENSF_IJSE_SE_EEES9_SG_JZNS1_25segmented_radix_sort_implINS0_14default_configELb0EPKhPhPKlPlN2at6native12_GLOBAL__N_18offset_tEEE10hipError_tPvRmT1_PNSt15iterator_traitsISY_E10value_typeET2_T3_PNSZ_IS14_E10value_typeET4_jRbjT5_S1A_jjP12ihipStream_tbEUljE_EEESV_SW_SX_S14_S18_S1A_T6_T7_T9_mT8_S1C_bDpT10_ENKUlT_T0_E_clISt17integral_constantIbLb1EES1O_IbLb0EEEEDaS1K_S1L_EUlS1K_E_NS1_11comp_targetILNS1_3genE2ELNS1_11target_archE906ELNS1_3gpuE6ELNS1_3repE0EEENS1_30default_config_static_selectorELNS0_4arch9wavefront6targetE0EEEvSY_.has_dyn_sized_stack, 0
	.set _ZN7rocprim17ROCPRIM_400000_NS6detail17trampoline_kernelINS0_13select_configILj256ELj13ELNS0_17block_load_methodE3ELS4_3ELS4_3ELNS0_20block_scan_algorithmE0ELj4294967295EEENS1_25partition_config_selectorILNS1_17partition_subalgoE3EjNS0_10empty_typeEbEEZZNS1_14partition_implILS8_3ELb0ES6_jNS0_17counting_iteratorIjlEEPS9_SE_NS0_5tupleIJPjSE_EEENSF_IJSE_SE_EEES9_SG_JZNS1_25segmented_radix_sort_implINS0_14default_configELb0EPKhPhPKlPlN2at6native12_GLOBAL__N_18offset_tEEE10hipError_tPvRmT1_PNSt15iterator_traitsISY_E10value_typeET2_T3_PNSZ_IS14_E10value_typeET4_jRbjT5_S1A_jjP12ihipStream_tbEUljE_EEESV_SW_SX_S14_S18_S1A_T6_T7_T9_mT8_S1C_bDpT10_ENKUlT_T0_E_clISt17integral_constantIbLb1EES1O_IbLb0EEEEDaS1K_S1L_EUlS1K_E_NS1_11comp_targetILNS1_3genE2ELNS1_11target_archE906ELNS1_3gpuE6ELNS1_3repE0EEENS1_30default_config_static_selectorELNS0_4arch9wavefront6targetE0EEEvSY_.has_recursion, 0
	.set _ZN7rocprim17ROCPRIM_400000_NS6detail17trampoline_kernelINS0_13select_configILj256ELj13ELNS0_17block_load_methodE3ELS4_3ELS4_3ELNS0_20block_scan_algorithmE0ELj4294967295EEENS1_25partition_config_selectorILNS1_17partition_subalgoE3EjNS0_10empty_typeEbEEZZNS1_14partition_implILS8_3ELb0ES6_jNS0_17counting_iteratorIjlEEPS9_SE_NS0_5tupleIJPjSE_EEENSF_IJSE_SE_EEES9_SG_JZNS1_25segmented_radix_sort_implINS0_14default_configELb0EPKhPhPKlPlN2at6native12_GLOBAL__N_18offset_tEEE10hipError_tPvRmT1_PNSt15iterator_traitsISY_E10value_typeET2_T3_PNSZ_IS14_E10value_typeET4_jRbjT5_S1A_jjP12ihipStream_tbEUljE_EEESV_SW_SX_S14_S18_S1A_T6_T7_T9_mT8_S1C_bDpT10_ENKUlT_T0_E_clISt17integral_constantIbLb1EES1O_IbLb0EEEEDaS1K_S1L_EUlS1K_E_NS1_11comp_targetILNS1_3genE2ELNS1_11target_archE906ELNS1_3gpuE6ELNS1_3repE0EEENS1_30default_config_static_selectorELNS0_4arch9wavefront6targetE0EEEvSY_.has_indirect_call, 0
	.section	.AMDGPU.csdata,"",@progbits
; Kernel info:
; codeLenInByte = 0
; TotalNumSgprs: 0
; NumVgprs: 0
; ScratchSize: 0
; MemoryBound: 0
; FloatMode: 240
; IeeeMode: 1
; LDSByteSize: 0 bytes/workgroup (compile time only)
; SGPRBlocks: 0
; VGPRBlocks: 0
; NumSGPRsForWavesPerEU: 1
; NumVGPRsForWavesPerEU: 1
; Occupancy: 16
; WaveLimiterHint : 0
; COMPUTE_PGM_RSRC2:SCRATCH_EN: 0
; COMPUTE_PGM_RSRC2:USER_SGPR: 2
; COMPUTE_PGM_RSRC2:TRAP_HANDLER: 0
; COMPUTE_PGM_RSRC2:TGID_X_EN: 1
; COMPUTE_PGM_RSRC2:TGID_Y_EN: 0
; COMPUTE_PGM_RSRC2:TGID_Z_EN: 0
; COMPUTE_PGM_RSRC2:TIDIG_COMP_CNT: 0
	.section	.text._ZN7rocprim17ROCPRIM_400000_NS6detail17trampoline_kernelINS0_13select_configILj256ELj13ELNS0_17block_load_methodE3ELS4_3ELS4_3ELNS0_20block_scan_algorithmE0ELj4294967295EEENS1_25partition_config_selectorILNS1_17partition_subalgoE3EjNS0_10empty_typeEbEEZZNS1_14partition_implILS8_3ELb0ES6_jNS0_17counting_iteratorIjlEEPS9_SE_NS0_5tupleIJPjSE_EEENSF_IJSE_SE_EEES9_SG_JZNS1_25segmented_radix_sort_implINS0_14default_configELb0EPKhPhPKlPlN2at6native12_GLOBAL__N_18offset_tEEE10hipError_tPvRmT1_PNSt15iterator_traitsISY_E10value_typeET2_T3_PNSZ_IS14_E10value_typeET4_jRbjT5_S1A_jjP12ihipStream_tbEUljE_EEESV_SW_SX_S14_S18_S1A_T6_T7_T9_mT8_S1C_bDpT10_ENKUlT_T0_E_clISt17integral_constantIbLb1EES1O_IbLb0EEEEDaS1K_S1L_EUlS1K_E_NS1_11comp_targetILNS1_3genE10ELNS1_11target_archE1200ELNS1_3gpuE4ELNS1_3repE0EEENS1_30default_config_static_selectorELNS0_4arch9wavefront6targetE0EEEvSY_,"axG",@progbits,_ZN7rocprim17ROCPRIM_400000_NS6detail17trampoline_kernelINS0_13select_configILj256ELj13ELNS0_17block_load_methodE3ELS4_3ELS4_3ELNS0_20block_scan_algorithmE0ELj4294967295EEENS1_25partition_config_selectorILNS1_17partition_subalgoE3EjNS0_10empty_typeEbEEZZNS1_14partition_implILS8_3ELb0ES6_jNS0_17counting_iteratorIjlEEPS9_SE_NS0_5tupleIJPjSE_EEENSF_IJSE_SE_EEES9_SG_JZNS1_25segmented_radix_sort_implINS0_14default_configELb0EPKhPhPKlPlN2at6native12_GLOBAL__N_18offset_tEEE10hipError_tPvRmT1_PNSt15iterator_traitsISY_E10value_typeET2_T3_PNSZ_IS14_E10value_typeET4_jRbjT5_S1A_jjP12ihipStream_tbEUljE_EEESV_SW_SX_S14_S18_S1A_T6_T7_T9_mT8_S1C_bDpT10_ENKUlT_T0_E_clISt17integral_constantIbLb1EES1O_IbLb0EEEEDaS1K_S1L_EUlS1K_E_NS1_11comp_targetILNS1_3genE10ELNS1_11target_archE1200ELNS1_3gpuE4ELNS1_3repE0EEENS1_30default_config_static_selectorELNS0_4arch9wavefront6targetE0EEEvSY_,comdat
	.globl	_ZN7rocprim17ROCPRIM_400000_NS6detail17trampoline_kernelINS0_13select_configILj256ELj13ELNS0_17block_load_methodE3ELS4_3ELS4_3ELNS0_20block_scan_algorithmE0ELj4294967295EEENS1_25partition_config_selectorILNS1_17partition_subalgoE3EjNS0_10empty_typeEbEEZZNS1_14partition_implILS8_3ELb0ES6_jNS0_17counting_iteratorIjlEEPS9_SE_NS0_5tupleIJPjSE_EEENSF_IJSE_SE_EEES9_SG_JZNS1_25segmented_radix_sort_implINS0_14default_configELb0EPKhPhPKlPlN2at6native12_GLOBAL__N_18offset_tEEE10hipError_tPvRmT1_PNSt15iterator_traitsISY_E10value_typeET2_T3_PNSZ_IS14_E10value_typeET4_jRbjT5_S1A_jjP12ihipStream_tbEUljE_EEESV_SW_SX_S14_S18_S1A_T6_T7_T9_mT8_S1C_bDpT10_ENKUlT_T0_E_clISt17integral_constantIbLb1EES1O_IbLb0EEEEDaS1K_S1L_EUlS1K_E_NS1_11comp_targetILNS1_3genE10ELNS1_11target_archE1200ELNS1_3gpuE4ELNS1_3repE0EEENS1_30default_config_static_selectorELNS0_4arch9wavefront6targetE0EEEvSY_ ; -- Begin function _ZN7rocprim17ROCPRIM_400000_NS6detail17trampoline_kernelINS0_13select_configILj256ELj13ELNS0_17block_load_methodE3ELS4_3ELS4_3ELNS0_20block_scan_algorithmE0ELj4294967295EEENS1_25partition_config_selectorILNS1_17partition_subalgoE3EjNS0_10empty_typeEbEEZZNS1_14partition_implILS8_3ELb0ES6_jNS0_17counting_iteratorIjlEEPS9_SE_NS0_5tupleIJPjSE_EEENSF_IJSE_SE_EEES9_SG_JZNS1_25segmented_radix_sort_implINS0_14default_configELb0EPKhPhPKlPlN2at6native12_GLOBAL__N_18offset_tEEE10hipError_tPvRmT1_PNSt15iterator_traitsISY_E10value_typeET2_T3_PNSZ_IS14_E10value_typeET4_jRbjT5_S1A_jjP12ihipStream_tbEUljE_EEESV_SW_SX_S14_S18_S1A_T6_T7_T9_mT8_S1C_bDpT10_ENKUlT_T0_E_clISt17integral_constantIbLb1EES1O_IbLb0EEEEDaS1K_S1L_EUlS1K_E_NS1_11comp_targetILNS1_3genE10ELNS1_11target_archE1200ELNS1_3gpuE4ELNS1_3repE0EEENS1_30default_config_static_selectorELNS0_4arch9wavefront6targetE0EEEvSY_
	.p2align	8
	.type	_ZN7rocprim17ROCPRIM_400000_NS6detail17trampoline_kernelINS0_13select_configILj256ELj13ELNS0_17block_load_methodE3ELS4_3ELS4_3ELNS0_20block_scan_algorithmE0ELj4294967295EEENS1_25partition_config_selectorILNS1_17partition_subalgoE3EjNS0_10empty_typeEbEEZZNS1_14partition_implILS8_3ELb0ES6_jNS0_17counting_iteratorIjlEEPS9_SE_NS0_5tupleIJPjSE_EEENSF_IJSE_SE_EEES9_SG_JZNS1_25segmented_radix_sort_implINS0_14default_configELb0EPKhPhPKlPlN2at6native12_GLOBAL__N_18offset_tEEE10hipError_tPvRmT1_PNSt15iterator_traitsISY_E10value_typeET2_T3_PNSZ_IS14_E10value_typeET4_jRbjT5_S1A_jjP12ihipStream_tbEUljE_EEESV_SW_SX_S14_S18_S1A_T6_T7_T9_mT8_S1C_bDpT10_ENKUlT_T0_E_clISt17integral_constantIbLb1EES1O_IbLb0EEEEDaS1K_S1L_EUlS1K_E_NS1_11comp_targetILNS1_3genE10ELNS1_11target_archE1200ELNS1_3gpuE4ELNS1_3repE0EEENS1_30default_config_static_selectorELNS0_4arch9wavefront6targetE0EEEvSY_,@function
_ZN7rocprim17ROCPRIM_400000_NS6detail17trampoline_kernelINS0_13select_configILj256ELj13ELNS0_17block_load_methodE3ELS4_3ELS4_3ELNS0_20block_scan_algorithmE0ELj4294967295EEENS1_25partition_config_selectorILNS1_17partition_subalgoE3EjNS0_10empty_typeEbEEZZNS1_14partition_implILS8_3ELb0ES6_jNS0_17counting_iteratorIjlEEPS9_SE_NS0_5tupleIJPjSE_EEENSF_IJSE_SE_EEES9_SG_JZNS1_25segmented_radix_sort_implINS0_14default_configELb0EPKhPhPKlPlN2at6native12_GLOBAL__N_18offset_tEEE10hipError_tPvRmT1_PNSt15iterator_traitsISY_E10value_typeET2_T3_PNSZ_IS14_E10value_typeET4_jRbjT5_S1A_jjP12ihipStream_tbEUljE_EEESV_SW_SX_S14_S18_S1A_T6_T7_T9_mT8_S1C_bDpT10_ENKUlT_T0_E_clISt17integral_constantIbLb1EES1O_IbLb0EEEEDaS1K_S1L_EUlS1K_E_NS1_11comp_targetILNS1_3genE10ELNS1_11target_archE1200ELNS1_3gpuE4ELNS1_3repE0EEENS1_30default_config_static_selectorELNS0_4arch9wavefront6targetE0EEEvSY_: ; @_ZN7rocprim17ROCPRIM_400000_NS6detail17trampoline_kernelINS0_13select_configILj256ELj13ELNS0_17block_load_methodE3ELS4_3ELS4_3ELNS0_20block_scan_algorithmE0ELj4294967295EEENS1_25partition_config_selectorILNS1_17partition_subalgoE3EjNS0_10empty_typeEbEEZZNS1_14partition_implILS8_3ELb0ES6_jNS0_17counting_iteratorIjlEEPS9_SE_NS0_5tupleIJPjSE_EEENSF_IJSE_SE_EEES9_SG_JZNS1_25segmented_radix_sort_implINS0_14default_configELb0EPKhPhPKlPlN2at6native12_GLOBAL__N_18offset_tEEE10hipError_tPvRmT1_PNSt15iterator_traitsISY_E10value_typeET2_T3_PNSZ_IS14_E10value_typeET4_jRbjT5_S1A_jjP12ihipStream_tbEUljE_EEESV_SW_SX_S14_S18_S1A_T6_T7_T9_mT8_S1C_bDpT10_ENKUlT_T0_E_clISt17integral_constantIbLb1EES1O_IbLb0EEEEDaS1K_S1L_EUlS1K_E_NS1_11comp_targetILNS1_3genE10ELNS1_11target_archE1200ELNS1_3gpuE4ELNS1_3repE0EEENS1_30default_config_static_selectorELNS0_4arch9wavefront6targetE0EEEvSY_
; %bb.0:
	s_endpgm
	.section	.rodata,"a",@progbits
	.p2align	6, 0x0
	.amdhsa_kernel _ZN7rocprim17ROCPRIM_400000_NS6detail17trampoline_kernelINS0_13select_configILj256ELj13ELNS0_17block_load_methodE3ELS4_3ELS4_3ELNS0_20block_scan_algorithmE0ELj4294967295EEENS1_25partition_config_selectorILNS1_17partition_subalgoE3EjNS0_10empty_typeEbEEZZNS1_14partition_implILS8_3ELb0ES6_jNS0_17counting_iteratorIjlEEPS9_SE_NS0_5tupleIJPjSE_EEENSF_IJSE_SE_EEES9_SG_JZNS1_25segmented_radix_sort_implINS0_14default_configELb0EPKhPhPKlPlN2at6native12_GLOBAL__N_18offset_tEEE10hipError_tPvRmT1_PNSt15iterator_traitsISY_E10value_typeET2_T3_PNSZ_IS14_E10value_typeET4_jRbjT5_S1A_jjP12ihipStream_tbEUljE_EEESV_SW_SX_S14_S18_S1A_T6_T7_T9_mT8_S1C_bDpT10_ENKUlT_T0_E_clISt17integral_constantIbLb1EES1O_IbLb0EEEEDaS1K_S1L_EUlS1K_E_NS1_11comp_targetILNS1_3genE10ELNS1_11target_archE1200ELNS1_3gpuE4ELNS1_3repE0EEENS1_30default_config_static_selectorELNS0_4arch9wavefront6targetE0EEEvSY_
		.amdhsa_group_segment_fixed_size 0
		.amdhsa_private_segment_fixed_size 0
		.amdhsa_kernarg_size 144
		.amdhsa_user_sgpr_count 2
		.amdhsa_user_sgpr_dispatch_ptr 0
		.amdhsa_user_sgpr_queue_ptr 0
		.amdhsa_user_sgpr_kernarg_segment_ptr 1
		.amdhsa_user_sgpr_dispatch_id 0
		.amdhsa_user_sgpr_private_segment_size 0
		.amdhsa_wavefront_size32 1
		.amdhsa_uses_dynamic_stack 0
		.amdhsa_enable_private_segment 0
		.amdhsa_system_sgpr_workgroup_id_x 1
		.amdhsa_system_sgpr_workgroup_id_y 0
		.amdhsa_system_sgpr_workgroup_id_z 0
		.amdhsa_system_sgpr_workgroup_info 0
		.amdhsa_system_vgpr_workitem_id 0
		.amdhsa_next_free_vgpr 1
		.amdhsa_next_free_sgpr 1
		.amdhsa_reserve_vcc 0
		.amdhsa_float_round_mode_32 0
		.amdhsa_float_round_mode_16_64 0
		.amdhsa_float_denorm_mode_32 3
		.amdhsa_float_denorm_mode_16_64 3
		.amdhsa_fp16_overflow 0
		.amdhsa_workgroup_processor_mode 1
		.amdhsa_memory_ordered 1
		.amdhsa_forward_progress 1
		.amdhsa_inst_pref_size 1
		.amdhsa_round_robin_scheduling 0
		.amdhsa_exception_fp_ieee_invalid_op 0
		.amdhsa_exception_fp_denorm_src 0
		.amdhsa_exception_fp_ieee_div_zero 0
		.amdhsa_exception_fp_ieee_overflow 0
		.amdhsa_exception_fp_ieee_underflow 0
		.amdhsa_exception_fp_ieee_inexact 0
		.amdhsa_exception_int_div_zero 0
	.end_amdhsa_kernel
	.section	.text._ZN7rocprim17ROCPRIM_400000_NS6detail17trampoline_kernelINS0_13select_configILj256ELj13ELNS0_17block_load_methodE3ELS4_3ELS4_3ELNS0_20block_scan_algorithmE0ELj4294967295EEENS1_25partition_config_selectorILNS1_17partition_subalgoE3EjNS0_10empty_typeEbEEZZNS1_14partition_implILS8_3ELb0ES6_jNS0_17counting_iteratorIjlEEPS9_SE_NS0_5tupleIJPjSE_EEENSF_IJSE_SE_EEES9_SG_JZNS1_25segmented_radix_sort_implINS0_14default_configELb0EPKhPhPKlPlN2at6native12_GLOBAL__N_18offset_tEEE10hipError_tPvRmT1_PNSt15iterator_traitsISY_E10value_typeET2_T3_PNSZ_IS14_E10value_typeET4_jRbjT5_S1A_jjP12ihipStream_tbEUljE_EEESV_SW_SX_S14_S18_S1A_T6_T7_T9_mT8_S1C_bDpT10_ENKUlT_T0_E_clISt17integral_constantIbLb1EES1O_IbLb0EEEEDaS1K_S1L_EUlS1K_E_NS1_11comp_targetILNS1_3genE10ELNS1_11target_archE1200ELNS1_3gpuE4ELNS1_3repE0EEENS1_30default_config_static_selectorELNS0_4arch9wavefront6targetE0EEEvSY_,"axG",@progbits,_ZN7rocprim17ROCPRIM_400000_NS6detail17trampoline_kernelINS0_13select_configILj256ELj13ELNS0_17block_load_methodE3ELS4_3ELS4_3ELNS0_20block_scan_algorithmE0ELj4294967295EEENS1_25partition_config_selectorILNS1_17partition_subalgoE3EjNS0_10empty_typeEbEEZZNS1_14partition_implILS8_3ELb0ES6_jNS0_17counting_iteratorIjlEEPS9_SE_NS0_5tupleIJPjSE_EEENSF_IJSE_SE_EEES9_SG_JZNS1_25segmented_radix_sort_implINS0_14default_configELb0EPKhPhPKlPlN2at6native12_GLOBAL__N_18offset_tEEE10hipError_tPvRmT1_PNSt15iterator_traitsISY_E10value_typeET2_T3_PNSZ_IS14_E10value_typeET4_jRbjT5_S1A_jjP12ihipStream_tbEUljE_EEESV_SW_SX_S14_S18_S1A_T6_T7_T9_mT8_S1C_bDpT10_ENKUlT_T0_E_clISt17integral_constantIbLb1EES1O_IbLb0EEEEDaS1K_S1L_EUlS1K_E_NS1_11comp_targetILNS1_3genE10ELNS1_11target_archE1200ELNS1_3gpuE4ELNS1_3repE0EEENS1_30default_config_static_selectorELNS0_4arch9wavefront6targetE0EEEvSY_,comdat
.Lfunc_end175:
	.size	_ZN7rocprim17ROCPRIM_400000_NS6detail17trampoline_kernelINS0_13select_configILj256ELj13ELNS0_17block_load_methodE3ELS4_3ELS4_3ELNS0_20block_scan_algorithmE0ELj4294967295EEENS1_25partition_config_selectorILNS1_17partition_subalgoE3EjNS0_10empty_typeEbEEZZNS1_14partition_implILS8_3ELb0ES6_jNS0_17counting_iteratorIjlEEPS9_SE_NS0_5tupleIJPjSE_EEENSF_IJSE_SE_EEES9_SG_JZNS1_25segmented_radix_sort_implINS0_14default_configELb0EPKhPhPKlPlN2at6native12_GLOBAL__N_18offset_tEEE10hipError_tPvRmT1_PNSt15iterator_traitsISY_E10value_typeET2_T3_PNSZ_IS14_E10value_typeET4_jRbjT5_S1A_jjP12ihipStream_tbEUljE_EEESV_SW_SX_S14_S18_S1A_T6_T7_T9_mT8_S1C_bDpT10_ENKUlT_T0_E_clISt17integral_constantIbLb1EES1O_IbLb0EEEEDaS1K_S1L_EUlS1K_E_NS1_11comp_targetILNS1_3genE10ELNS1_11target_archE1200ELNS1_3gpuE4ELNS1_3repE0EEENS1_30default_config_static_selectorELNS0_4arch9wavefront6targetE0EEEvSY_, .Lfunc_end175-_ZN7rocprim17ROCPRIM_400000_NS6detail17trampoline_kernelINS0_13select_configILj256ELj13ELNS0_17block_load_methodE3ELS4_3ELS4_3ELNS0_20block_scan_algorithmE0ELj4294967295EEENS1_25partition_config_selectorILNS1_17partition_subalgoE3EjNS0_10empty_typeEbEEZZNS1_14partition_implILS8_3ELb0ES6_jNS0_17counting_iteratorIjlEEPS9_SE_NS0_5tupleIJPjSE_EEENSF_IJSE_SE_EEES9_SG_JZNS1_25segmented_radix_sort_implINS0_14default_configELb0EPKhPhPKlPlN2at6native12_GLOBAL__N_18offset_tEEE10hipError_tPvRmT1_PNSt15iterator_traitsISY_E10value_typeET2_T3_PNSZ_IS14_E10value_typeET4_jRbjT5_S1A_jjP12ihipStream_tbEUljE_EEESV_SW_SX_S14_S18_S1A_T6_T7_T9_mT8_S1C_bDpT10_ENKUlT_T0_E_clISt17integral_constantIbLb1EES1O_IbLb0EEEEDaS1K_S1L_EUlS1K_E_NS1_11comp_targetILNS1_3genE10ELNS1_11target_archE1200ELNS1_3gpuE4ELNS1_3repE0EEENS1_30default_config_static_selectorELNS0_4arch9wavefront6targetE0EEEvSY_
                                        ; -- End function
	.set _ZN7rocprim17ROCPRIM_400000_NS6detail17trampoline_kernelINS0_13select_configILj256ELj13ELNS0_17block_load_methodE3ELS4_3ELS4_3ELNS0_20block_scan_algorithmE0ELj4294967295EEENS1_25partition_config_selectorILNS1_17partition_subalgoE3EjNS0_10empty_typeEbEEZZNS1_14partition_implILS8_3ELb0ES6_jNS0_17counting_iteratorIjlEEPS9_SE_NS0_5tupleIJPjSE_EEENSF_IJSE_SE_EEES9_SG_JZNS1_25segmented_radix_sort_implINS0_14default_configELb0EPKhPhPKlPlN2at6native12_GLOBAL__N_18offset_tEEE10hipError_tPvRmT1_PNSt15iterator_traitsISY_E10value_typeET2_T3_PNSZ_IS14_E10value_typeET4_jRbjT5_S1A_jjP12ihipStream_tbEUljE_EEESV_SW_SX_S14_S18_S1A_T6_T7_T9_mT8_S1C_bDpT10_ENKUlT_T0_E_clISt17integral_constantIbLb1EES1O_IbLb0EEEEDaS1K_S1L_EUlS1K_E_NS1_11comp_targetILNS1_3genE10ELNS1_11target_archE1200ELNS1_3gpuE4ELNS1_3repE0EEENS1_30default_config_static_selectorELNS0_4arch9wavefront6targetE0EEEvSY_.num_vgpr, 0
	.set _ZN7rocprim17ROCPRIM_400000_NS6detail17trampoline_kernelINS0_13select_configILj256ELj13ELNS0_17block_load_methodE3ELS4_3ELS4_3ELNS0_20block_scan_algorithmE0ELj4294967295EEENS1_25partition_config_selectorILNS1_17partition_subalgoE3EjNS0_10empty_typeEbEEZZNS1_14partition_implILS8_3ELb0ES6_jNS0_17counting_iteratorIjlEEPS9_SE_NS0_5tupleIJPjSE_EEENSF_IJSE_SE_EEES9_SG_JZNS1_25segmented_radix_sort_implINS0_14default_configELb0EPKhPhPKlPlN2at6native12_GLOBAL__N_18offset_tEEE10hipError_tPvRmT1_PNSt15iterator_traitsISY_E10value_typeET2_T3_PNSZ_IS14_E10value_typeET4_jRbjT5_S1A_jjP12ihipStream_tbEUljE_EEESV_SW_SX_S14_S18_S1A_T6_T7_T9_mT8_S1C_bDpT10_ENKUlT_T0_E_clISt17integral_constantIbLb1EES1O_IbLb0EEEEDaS1K_S1L_EUlS1K_E_NS1_11comp_targetILNS1_3genE10ELNS1_11target_archE1200ELNS1_3gpuE4ELNS1_3repE0EEENS1_30default_config_static_selectorELNS0_4arch9wavefront6targetE0EEEvSY_.num_agpr, 0
	.set _ZN7rocprim17ROCPRIM_400000_NS6detail17trampoline_kernelINS0_13select_configILj256ELj13ELNS0_17block_load_methodE3ELS4_3ELS4_3ELNS0_20block_scan_algorithmE0ELj4294967295EEENS1_25partition_config_selectorILNS1_17partition_subalgoE3EjNS0_10empty_typeEbEEZZNS1_14partition_implILS8_3ELb0ES6_jNS0_17counting_iteratorIjlEEPS9_SE_NS0_5tupleIJPjSE_EEENSF_IJSE_SE_EEES9_SG_JZNS1_25segmented_radix_sort_implINS0_14default_configELb0EPKhPhPKlPlN2at6native12_GLOBAL__N_18offset_tEEE10hipError_tPvRmT1_PNSt15iterator_traitsISY_E10value_typeET2_T3_PNSZ_IS14_E10value_typeET4_jRbjT5_S1A_jjP12ihipStream_tbEUljE_EEESV_SW_SX_S14_S18_S1A_T6_T7_T9_mT8_S1C_bDpT10_ENKUlT_T0_E_clISt17integral_constantIbLb1EES1O_IbLb0EEEEDaS1K_S1L_EUlS1K_E_NS1_11comp_targetILNS1_3genE10ELNS1_11target_archE1200ELNS1_3gpuE4ELNS1_3repE0EEENS1_30default_config_static_selectorELNS0_4arch9wavefront6targetE0EEEvSY_.numbered_sgpr, 0
	.set _ZN7rocprim17ROCPRIM_400000_NS6detail17trampoline_kernelINS0_13select_configILj256ELj13ELNS0_17block_load_methodE3ELS4_3ELS4_3ELNS0_20block_scan_algorithmE0ELj4294967295EEENS1_25partition_config_selectorILNS1_17partition_subalgoE3EjNS0_10empty_typeEbEEZZNS1_14partition_implILS8_3ELb0ES6_jNS0_17counting_iteratorIjlEEPS9_SE_NS0_5tupleIJPjSE_EEENSF_IJSE_SE_EEES9_SG_JZNS1_25segmented_radix_sort_implINS0_14default_configELb0EPKhPhPKlPlN2at6native12_GLOBAL__N_18offset_tEEE10hipError_tPvRmT1_PNSt15iterator_traitsISY_E10value_typeET2_T3_PNSZ_IS14_E10value_typeET4_jRbjT5_S1A_jjP12ihipStream_tbEUljE_EEESV_SW_SX_S14_S18_S1A_T6_T7_T9_mT8_S1C_bDpT10_ENKUlT_T0_E_clISt17integral_constantIbLb1EES1O_IbLb0EEEEDaS1K_S1L_EUlS1K_E_NS1_11comp_targetILNS1_3genE10ELNS1_11target_archE1200ELNS1_3gpuE4ELNS1_3repE0EEENS1_30default_config_static_selectorELNS0_4arch9wavefront6targetE0EEEvSY_.num_named_barrier, 0
	.set _ZN7rocprim17ROCPRIM_400000_NS6detail17trampoline_kernelINS0_13select_configILj256ELj13ELNS0_17block_load_methodE3ELS4_3ELS4_3ELNS0_20block_scan_algorithmE0ELj4294967295EEENS1_25partition_config_selectorILNS1_17partition_subalgoE3EjNS0_10empty_typeEbEEZZNS1_14partition_implILS8_3ELb0ES6_jNS0_17counting_iteratorIjlEEPS9_SE_NS0_5tupleIJPjSE_EEENSF_IJSE_SE_EEES9_SG_JZNS1_25segmented_radix_sort_implINS0_14default_configELb0EPKhPhPKlPlN2at6native12_GLOBAL__N_18offset_tEEE10hipError_tPvRmT1_PNSt15iterator_traitsISY_E10value_typeET2_T3_PNSZ_IS14_E10value_typeET4_jRbjT5_S1A_jjP12ihipStream_tbEUljE_EEESV_SW_SX_S14_S18_S1A_T6_T7_T9_mT8_S1C_bDpT10_ENKUlT_T0_E_clISt17integral_constantIbLb1EES1O_IbLb0EEEEDaS1K_S1L_EUlS1K_E_NS1_11comp_targetILNS1_3genE10ELNS1_11target_archE1200ELNS1_3gpuE4ELNS1_3repE0EEENS1_30default_config_static_selectorELNS0_4arch9wavefront6targetE0EEEvSY_.private_seg_size, 0
	.set _ZN7rocprim17ROCPRIM_400000_NS6detail17trampoline_kernelINS0_13select_configILj256ELj13ELNS0_17block_load_methodE3ELS4_3ELS4_3ELNS0_20block_scan_algorithmE0ELj4294967295EEENS1_25partition_config_selectorILNS1_17partition_subalgoE3EjNS0_10empty_typeEbEEZZNS1_14partition_implILS8_3ELb0ES6_jNS0_17counting_iteratorIjlEEPS9_SE_NS0_5tupleIJPjSE_EEENSF_IJSE_SE_EEES9_SG_JZNS1_25segmented_radix_sort_implINS0_14default_configELb0EPKhPhPKlPlN2at6native12_GLOBAL__N_18offset_tEEE10hipError_tPvRmT1_PNSt15iterator_traitsISY_E10value_typeET2_T3_PNSZ_IS14_E10value_typeET4_jRbjT5_S1A_jjP12ihipStream_tbEUljE_EEESV_SW_SX_S14_S18_S1A_T6_T7_T9_mT8_S1C_bDpT10_ENKUlT_T0_E_clISt17integral_constantIbLb1EES1O_IbLb0EEEEDaS1K_S1L_EUlS1K_E_NS1_11comp_targetILNS1_3genE10ELNS1_11target_archE1200ELNS1_3gpuE4ELNS1_3repE0EEENS1_30default_config_static_selectorELNS0_4arch9wavefront6targetE0EEEvSY_.uses_vcc, 0
	.set _ZN7rocprim17ROCPRIM_400000_NS6detail17trampoline_kernelINS0_13select_configILj256ELj13ELNS0_17block_load_methodE3ELS4_3ELS4_3ELNS0_20block_scan_algorithmE0ELj4294967295EEENS1_25partition_config_selectorILNS1_17partition_subalgoE3EjNS0_10empty_typeEbEEZZNS1_14partition_implILS8_3ELb0ES6_jNS0_17counting_iteratorIjlEEPS9_SE_NS0_5tupleIJPjSE_EEENSF_IJSE_SE_EEES9_SG_JZNS1_25segmented_radix_sort_implINS0_14default_configELb0EPKhPhPKlPlN2at6native12_GLOBAL__N_18offset_tEEE10hipError_tPvRmT1_PNSt15iterator_traitsISY_E10value_typeET2_T3_PNSZ_IS14_E10value_typeET4_jRbjT5_S1A_jjP12ihipStream_tbEUljE_EEESV_SW_SX_S14_S18_S1A_T6_T7_T9_mT8_S1C_bDpT10_ENKUlT_T0_E_clISt17integral_constantIbLb1EES1O_IbLb0EEEEDaS1K_S1L_EUlS1K_E_NS1_11comp_targetILNS1_3genE10ELNS1_11target_archE1200ELNS1_3gpuE4ELNS1_3repE0EEENS1_30default_config_static_selectorELNS0_4arch9wavefront6targetE0EEEvSY_.uses_flat_scratch, 0
	.set _ZN7rocprim17ROCPRIM_400000_NS6detail17trampoline_kernelINS0_13select_configILj256ELj13ELNS0_17block_load_methodE3ELS4_3ELS4_3ELNS0_20block_scan_algorithmE0ELj4294967295EEENS1_25partition_config_selectorILNS1_17partition_subalgoE3EjNS0_10empty_typeEbEEZZNS1_14partition_implILS8_3ELb0ES6_jNS0_17counting_iteratorIjlEEPS9_SE_NS0_5tupleIJPjSE_EEENSF_IJSE_SE_EEES9_SG_JZNS1_25segmented_radix_sort_implINS0_14default_configELb0EPKhPhPKlPlN2at6native12_GLOBAL__N_18offset_tEEE10hipError_tPvRmT1_PNSt15iterator_traitsISY_E10value_typeET2_T3_PNSZ_IS14_E10value_typeET4_jRbjT5_S1A_jjP12ihipStream_tbEUljE_EEESV_SW_SX_S14_S18_S1A_T6_T7_T9_mT8_S1C_bDpT10_ENKUlT_T0_E_clISt17integral_constantIbLb1EES1O_IbLb0EEEEDaS1K_S1L_EUlS1K_E_NS1_11comp_targetILNS1_3genE10ELNS1_11target_archE1200ELNS1_3gpuE4ELNS1_3repE0EEENS1_30default_config_static_selectorELNS0_4arch9wavefront6targetE0EEEvSY_.has_dyn_sized_stack, 0
	.set _ZN7rocprim17ROCPRIM_400000_NS6detail17trampoline_kernelINS0_13select_configILj256ELj13ELNS0_17block_load_methodE3ELS4_3ELS4_3ELNS0_20block_scan_algorithmE0ELj4294967295EEENS1_25partition_config_selectorILNS1_17partition_subalgoE3EjNS0_10empty_typeEbEEZZNS1_14partition_implILS8_3ELb0ES6_jNS0_17counting_iteratorIjlEEPS9_SE_NS0_5tupleIJPjSE_EEENSF_IJSE_SE_EEES9_SG_JZNS1_25segmented_radix_sort_implINS0_14default_configELb0EPKhPhPKlPlN2at6native12_GLOBAL__N_18offset_tEEE10hipError_tPvRmT1_PNSt15iterator_traitsISY_E10value_typeET2_T3_PNSZ_IS14_E10value_typeET4_jRbjT5_S1A_jjP12ihipStream_tbEUljE_EEESV_SW_SX_S14_S18_S1A_T6_T7_T9_mT8_S1C_bDpT10_ENKUlT_T0_E_clISt17integral_constantIbLb1EES1O_IbLb0EEEEDaS1K_S1L_EUlS1K_E_NS1_11comp_targetILNS1_3genE10ELNS1_11target_archE1200ELNS1_3gpuE4ELNS1_3repE0EEENS1_30default_config_static_selectorELNS0_4arch9wavefront6targetE0EEEvSY_.has_recursion, 0
	.set _ZN7rocprim17ROCPRIM_400000_NS6detail17trampoline_kernelINS0_13select_configILj256ELj13ELNS0_17block_load_methodE3ELS4_3ELS4_3ELNS0_20block_scan_algorithmE0ELj4294967295EEENS1_25partition_config_selectorILNS1_17partition_subalgoE3EjNS0_10empty_typeEbEEZZNS1_14partition_implILS8_3ELb0ES6_jNS0_17counting_iteratorIjlEEPS9_SE_NS0_5tupleIJPjSE_EEENSF_IJSE_SE_EEES9_SG_JZNS1_25segmented_radix_sort_implINS0_14default_configELb0EPKhPhPKlPlN2at6native12_GLOBAL__N_18offset_tEEE10hipError_tPvRmT1_PNSt15iterator_traitsISY_E10value_typeET2_T3_PNSZ_IS14_E10value_typeET4_jRbjT5_S1A_jjP12ihipStream_tbEUljE_EEESV_SW_SX_S14_S18_S1A_T6_T7_T9_mT8_S1C_bDpT10_ENKUlT_T0_E_clISt17integral_constantIbLb1EES1O_IbLb0EEEEDaS1K_S1L_EUlS1K_E_NS1_11comp_targetILNS1_3genE10ELNS1_11target_archE1200ELNS1_3gpuE4ELNS1_3repE0EEENS1_30default_config_static_selectorELNS0_4arch9wavefront6targetE0EEEvSY_.has_indirect_call, 0
	.section	.AMDGPU.csdata,"",@progbits
; Kernel info:
; codeLenInByte = 4
; TotalNumSgprs: 0
; NumVgprs: 0
; ScratchSize: 0
; MemoryBound: 0
; FloatMode: 240
; IeeeMode: 1
; LDSByteSize: 0 bytes/workgroup (compile time only)
; SGPRBlocks: 0
; VGPRBlocks: 0
; NumSGPRsForWavesPerEU: 1
; NumVGPRsForWavesPerEU: 1
; Occupancy: 16
; WaveLimiterHint : 0
; COMPUTE_PGM_RSRC2:SCRATCH_EN: 0
; COMPUTE_PGM_RSRC2:USER_SGPR: 2
; COMPUTE_PGM_RSRC2:TRAP_HANDLER: 0
; COMPUTE_PGM_RSRC2:TGID_X_EN: 1
; COMPUTE_PGM_RSRC2:TGID_Y_EN: 0
; COMPUTE_PGM_RSRC2:TGID_Z_EN: 0
; COMPUTE_PGM_RSRC2:TIDIG_COMP_CNT: 0
	.section	.text._ZN7rocprim17ROCPRIM_400000_NS6detail17trampoline_kernelINS0_13select_configILj256ELj13ELNS0_17block_load_methodE3ELS4_3ELS4_3ELNS0_20block_scan_algorithmE0ELj4294967295EEENS1_25partition_config_selectorILNS1_17partition_subalgoE3EjNS0_10empty_typeEbEEZZNS1_14partition_implILS8_3ELb0ES6_jNS0_17counting_iteratorIjlEEPS9_SE_NS0_5tupleIJPjSE_EEENSF_IJSE_SE_EEES9_SG_JZNS1_25segmented_radix_sort_implINS0_14default_configELb0EPKhPhPKlPlN2at6native12_GLOBAL__N_18offset_tEEE10hipError_tPvRmT1_PNSt15iterator_traitsISY_E10value_typeET2_T3_PNSZ_IS14_E10value_typeET4_jRbjT5_S1A_jjP12ihipStream_tbEUljE_EEESV_SW_SX_S14_S18_S1A_T6_T7_T9_mT8_S1C_bDpT10_ENKUlT_T0_E_clISt17integral_constantIbLb1EES1O_IbLb0EEEEDaS1K_S1L_EUlS1K_E_NS1_11comp_targetILNS1_3genE9ELNS1_11target_archE1100ELNS1_3gpuE3ELNS1_3repE0EEENS1_30default_config_static_selectorELNS0_4arch9wavefront6targetE0EEEvSY_,"axG",@progbits,_ZN7rocprim17ROCPRIM_400000_NS6detail17trampoline_kernelINS0_13select_configILj256ELj13ELNS0_17block_load_methodE3ELS4_3ELS4_3ELNS0_20block_scan_algorithmE0ELj4294967295EEENS1_25partition_config_selectorILNS1_17partition_subalgoE3EjNS0_10empty_typeEbEEZZNS1_14partition_implILS8_3ELb0ES6_jNS0_17counting_iteratorIjlEEPS9_SE_NS0_5tupleIJPjSE_EEENSF_IJSE_SE_EEES9_SG_JZNS1_25segmented_radix_sort_implINS0_14default_configELb0EPKhPhPKlPlN2at6native12_GLOBAL__N_18offset_tEEE10hipError_tPvRmT1_PNSt15iterator_traitsISY_E10value_typeET2_T3_PNSZ_IS14_E10value_typeET4_jRbjT5_S1A_jjP12ihipStream_tbEUljE_EEESV_SW_SX_S14_S18_S1A_T6_T7_T9_mT8_S1C_bDpT10_ENKUlT_T0_E_clISt17integral_constantIbLb1EES1O_IbLb0EEEEDaS1K_S1L_EUlS1K_E_NS1_11comp_targetILNS1_3genE9ELNS1_11target_archE1100ELNS1_3gpuE3ELNS1_3repE0EEENS1_30default_config_static_selectorELNS0_4arch9wavefront6targetE0EEEvSY_,comdat
	.globl	_ZN7rocprim17ROCPRIM_400000_NS6detail17trampoline_kernelINS0_13select_configILj256ELj13ELNS0_17block_load_methodE3ELS4_3ELS4_3ELNS0_20block_scan_algorithmE0ELj4294967295EEENS1_25partition_config_selectorILNS1_17partition_subalgoE3EjNS0_10empty_typeEbEEZZNS1_14partition_implILS8_3ELb0ES6_jNS0_17counting_iteratorIjlEEPS9_SE_NS0_5tupleIJPjSE_EEENSF_IJSE_SE_EEES9_SG_JZNS1_25segmented_radix_sort_implINS0_14default_configELb0EPKhPhPKlPlN2at6native12_GLOBAL__N_18offset_tEEE10hipError_tPvRmT1_PNSt15iterator_traitsISY_E10value_typeET2_T3_PNSZ_IS14_E10value_typeET4_jRbjT5_S1A_jjP12ihipStream_tbEUljE_EEESV_SW_SX_S14_S18_S1A_T6_T7_T9_mT8_S1C_bDpT10_ENKUlT_T0_E_clISt17integral_constantIbLb1EES1O_IbLb0EEEEDaS1K_S1L_EUlS1K_E_NS1_11comp_targetILNS1_3genE9ELNS1_11target_archE1100ELNS1_3gpuE3ELNS1_3repE0EEENS1_30default_config_static_selectorELNS0_4arch9wavefront6targetE0EEEvSY_ ; -- Begin function _ZN7rocprim17ROCPRIM_400000_NS6detail17trampoline_kernelINS0_13select_configILj256ELj13ELNS0_17block_load_methodE3ELS4_3ELS4_3ELNS0_20block_scan_algorithmE0ELj4294967295EEENS1_25partition_config_selectorILNS1_17partition_subalgoE3EjNS0_10empty_typeEbEEZZNS1_14partition_implILS8_3ELb0ES6_jNS0_17counting_iteratorIjlEEPS9_SE_NS0_5tupleIJPjSE_EEENSF_IJSE_SE_EEES9_SG_JZNS1_25segmented_radix_sort_implINS0_14default_configELb0EPKhPhPKlPlN2at6native12_GLOBAL__N_18offset_tEEE10hipError_tPvRmT1_PNSt15iterator_traitsISY_E10value_typeET2_T3_PNSZ_IS14_E10value_typeET4_jRbjT5_S1A_jjP12ihipStream_tbEUljE_EEESV_SW_SX_S14_S18_S1A_T6_T7_T9_mT8_S1C_bDpT10_ENKUlT_T0_E_clISt17integral_constantIbLb1EES1O_IbLb0EEEEDaS1K_S1L_EUlS1K_E_NS1_11comp_targetILNS1_3genE9ELNS1_11target_archE1100ELNS1_3gpuE3ELNS1_3repE0EEENS1_30default_config_static_selectorELNS0_4arch9wavefront6targetE0EEEvSY_
	.p2align	8
	.type	_ZN7rocprim17ROCPRIM_400000_NS6detail17trampoline_kernelINS0_13select_configILj256ELj13ELNS0_17block_load_methodE3ELS4_3ELS4_3ELNS0_20block_scan_algorithmE0ELj4294967295EEENS1_25partition_config_selectorILNS1_17partition_subalgoE3EjNS0_10empty_typeEbEEZZNS1_14partition_implILS8_3ELb0ES6_jNS0_17counting_iteratorIjlEEPS9_SE_NS0_5tupleIJPjSE_EEENSF_IJSE_SE_EEES9_SG_JZNS1_25segmented_radix_sort_implINS0_14default_configELb0EPKhPhPKlPlN2at6native12_GLOBAL__N_18offset_tEEE10hipError_tPvRmT1_PNSt15iterator_traitsISY_E10value_typeET2_T3_PNSZ_IS14_E10value_typeET4_jRbjT5_S1A_jjP12ihipStream_tbEUljE_EEESV_SW_SX_S14_S18_S1A_T6_T7_T9_mT8_S1C_bDpT10_ENKUlT_T0_E_clISt17integral_constantIbLb1EES1O_IbLb0EEEEDaS1K_S1L_EUlS1K_E_NS1_11comp_targetILNS1_3genE9ELNS1_11target_archE1100ELNS1_3gpuE3ELNS1_3repE0EEENS1_30default_config_static_selectorELNS0_4arch9wavefront6targetE0EEEvSY_,@function
_ZN7rocprim17ROCPRIM_400000_NS6detail17trampoline_kernelINS0_13select_configILj256ELj13ELNS0_17block_load_methodE3ELS4_3ELS4_3ELNS0_20block_scan_algorithmE0ELj4294967295EEENS1_25partition_config_selectorILNS1_17partition_subalgoE3EjNS0_10empty_typeEbEEZZNS1_14partition_implILS8_3ELb0ES6_jNS0_17counting_iteratorIjlEEPS9_SE_NS0_5tupleIJPjSE_EEENSF_IJSE_SE_EEES9_SG_JZNS1_25segmented_radix_sort_implINS0_14default_configELb0EPKhPhPKlPlN2at6native12_GLOBAL__N_18offset_tEEE10hipError_tPvRmT1_PNSt15iterator_traitsISY_E10value_typeET2_T3_PNSZ_IS14_E10value_typeET4_jRbjT5_S1A_jjP12ihipStream_tbEUljE_EEESV_SW_SX_S14_S18_S1A_T6_T7_T9_mT8_S1C_bDpT10_ENKUlT_T0_E_clISt17integral_constantIbLb1EES1O_IbLb0EEEEDaS1K_S1L_EUlS1K_E_NS1_11comp_targetILNS1_3genE9ELNS1_11target_archE1100ELNS1_3gpuE3ELNS1_3repE0EEENS1_30default_config_static_selectorELNS0_4arch9wavefront6targetE0EEEvSY_: ; @_ZN7rocprim17ROCPRIM_400000_NS6detail17trampoline_kernelINS0_13select_configILj256ELj13ELNS0_17block_load_methodE3ELS4_3ELS4_3ELNS0_20block_scan_algorithmE0ELj4294967295EEENS1_25partition_config_selectorILNS1_17partition_subalgoE3EjNS0_10empty_typeEbEEZZNS1_14partition_implILS8_3ELb0ES6_jNS0_17counting_iteratorIjlEEPS9_SE_NS0_5tupleIJPjSE_EEENSF_IJSE_SE_EEES9_SG_JZNS1_25segmented_radix_sort_implINS0_14default_configELb0EPKhPhPKlPlN2at6native12_GLOBAL__N_18offset_tEEE10hipError_tPvRmT1_PNSt15iterator_traitsISY_E10value_typeET2_T3_PNSZ_IS14_E10value_typeET4_jRbjT5_S1A_jjP12ihipStream_tbEUljE_EEESV_SW_SX_S14_S18_S1A_T6_T7_T9_mT8_S1C_bDpT10_ENKUlT_T0_E_clISt17integral_constantIbLb1EES1O_IbLb0EEEEDaS1K_S1L_EUlS1K_E_NS1_11comp_targetILNS1_3genE9ELNS1_11target_archE1100ELNS1_3gpuE3ELNS1_3repE0EEENS1_30default_config_static_selectorELNS0_4arch9wavefront6targetE0EEEvSY_
; %bb.0:
	.section	.rodata,"a",@progbits
	.p2align	6, 0x0
	.amdhsa_kernel _ZN7rocprim17ROCPRIM_400000_NS6detail17trampoline_kernelINS0_13select_configILj256ELj13ELNS0_17block_load_methodE3ELS4_3ELS4_3ELNS0_20block_scan_algorithmE0ELj4294967295EEENS1_25partition_config_selectorILNS1_17partition_subalgoE3EjNS0_10empty_typeEbEEZZNS1_14partition_implILS8_3ELb0ES6_jNS0_17counting_iteratorIjlEEPS9_SE_NS0_5tupleIJPjSE_EEENSF_IJSE_SE_EEES9_SG_JZNS1_25segmented_radix_sort_implINS0_14default_configELb0EPKhPhPKlPlN2at6native12_GLOBAL__N_18offset_tEEE10hipError_tPvRmT1_PNSt15iterator_traitsISY_E10value_typeET2_T3_PNSZ_IS14_E10value_typeET4_jRbjT5_S1A_jjP12ihipStream_tbEUljE_EEESV_SW_SX_S14_S18_S1A_T6_T7_T9_mT8_S1C_bDpT10_ENKUlT_T0_E_clISt17integral_constantIbLb1EES1O_IbLb0EEEEDaS1K_S1L_EUlS1K_E_NS1_11comp_targetILNS1_3genE9ELNS1_11target_archE1100ELNS1_3gpuE3ELNS1_3repE0EEENS1_30default_config_static_selectorELNS0_4arch9wavefront6targetE0EEEvSY_
		.amdhsa_group_segment_fixed_size 0
		.amdhsa_private_segment_fixed_size 0
		.amdhsa_kernarg_size 144
		.amdhsa_user_sgpr_count 2
		.amdhsa_user_sgpr_dispatch_ptr 0
		.amdhsa_user_sgpr_queue_ptr 0
		.amdhsa_user_sgpr_kernarg_segment_ptr 1
		.amdhsa_user_sgpr_dispatch_id 0
		.amdhsa_user_sgpr_private_segment_size 0
		.amdhsa_wavefront_size32 1
		.amdhsa_uses_dynamic_stack 0
		.amdhsa_enable_private_segment 0
		.amdhsa_system_sgpr_workgroup_id_x 1
		.amdhsa_system_sgpr_workgroup_id_y 0
		.amdhsa_system_sgpr_workgroup_id_z 0
		.amdhsa_system_sgpr_workgroup_info 0
		.amdhsa_system_vgpr_workitem_id 0
		.amdhsa_next_free_vgpr 1
		.amdhsa_next_free_sgpr 1
		.amdhsa_reserve_vcc 0
		.amdhsa_float_round_mode_32 0
		.amdhsa_float_round_mode_16_64 0
		.amdhsa_float_denorm_mode_32 3
		.amdhsa_float_denorm_mode_16_64 3
		.amdhsa_fp16_overflow 0
		.amdhsa_workgroup_processor_mode 1
		.amdhsa_memory_ordered 1
		.amdhsa_forward_progress 1
		.amdhsa_inst_pref_size 0
		.amdhsa_round_robin_scheduling 0
		.amdhsa_exception_fp_ieee_invalid_op 0
		.amdhsa_exception_fp_denorm_src 0
		.amdhsa_exception_fp_ieee_div_zero 0
		.amdhsa_exception_fp_ieee_overflow 0
		.amdhsa_exception_fp_ieee_underflow 0
		.amdhsa_exception_fp_ieee_inexact 0
		.amdhsa_exception_int_div_zero 0
	.end_amdhsa_kernel
	.section	.text._ZN7rocprim17ROCPRIM_400000_NS6detail17trampoline_kernelINS0_13select_configILj256ELj13ELNS0_17block_load_methodE3ELS4_3ELS4_3ELNS0_20block_scan_algorithmE0ELj4294967295EEENS1_25partition_config_selectorILNS1_17partition_subalgoE3EjNS0_10empty_typeEbEEZZNS1_14partition_implILS8_3ELb0ES6_jNS0_17counting_iteratorIjlEEPS9_SE_NS0_5tupleIJPjSE_EEENSF_IJSE_SE_EEES9_SG_JZNS1_25segmented_radix_sort_implINS0_14default_configELb0EPKhPhPKlPlN2at6native12_GLOBAL__N_18offset_tEEE10hipError_tPvRmT1_PNSt15iterator_traitsISY_E10value_typeET2_T3_PNSZ_IS14_E10value_typeET4_jRbjT5_S1A_jjP12ihipStream_tbEUljE_EEESV_SW_SX_S14_S18_S1A_T6_T7_T9_mT8_S1C_bDpT10_ENKUlT_T0_E_clISt17integral_constantIbLb1EES1O_IbLb0EEEEDaS1K_S1L_EUlS1K_E_NS1_11comp_targetILNS1_3genE9ELNS1_11target_archE1100ELNS1_3gpuE3ELNS1_3repE0EEENS1_30default_config_static_selectorELNS0_4arch9wavefront6targetE0EEEvSY_,"axG",@progbits,_ZN7rocprim17ROCPRIM_400000_NS6detail17trampoline_kernelINS0_13select_configILj256ELj13ELNS0_17block_load_methodE3ELS4_3ELS4_3ELNS0_20block_scan_algorithmE0ELj4294967295EEENS1_25partition_config_selectorILNS1_17partition_subalgoE3EjNS0_10empty_typeEbEEZZNS1_14partition_implILS8_3ELb0ES6_jNS0_17counting_iteratorIjlEEPS9_SE_NS0_5tupleIJPjSE_EEENSF_IJSE_SE_EEES9_SG_JZNS1_25segmented_radix_sort_implINS0_14default_configELb0EPKhPhPKlPlN2at6native12_GLOBAL__N_18offset_tEEE10hipError_tPvRmT1_PNSt15iterator_traitsISY_E10value_typeET2_T3_PNSZ_IS14_E10value_typeET4_jRbjT5_S1A_jjP12ihipStream_tbEUljE_EEESV_SW_SX_S14_S18_S1A_T6_T7_T9_mT8_S1C_bDpT10_ENKUlT_T0_E_clISt17integral_constantIbLb1EES1O_IbLb0EEEEDaS1K_S1L_EUlS1K_E_NS1_11comp_targetILNS1_3genE9ELNS1_11target_archE1100ELNS1_3gpuE3ELNS1_3repE0EEENS1_30default_config_static_selectorELNS0_4arch9wavefront6targetE0EEEvSY_,comdat
.Lfunc_end176:
	.size	_ZN7rocprim17ROCPRIM_400000_NS6detail17trampoline_kernelINS0_13select_configILj256ELj13ELNS0_17block_load_methodE3ELS4_3ELS4_3ELNS0_20block_scan_algorithmE0ELj4294967295EEENS1_25partition_config_selectorILNS1_17partition_subalgoE3EjNS0_10empty_typeEbEEZZNS1_14partition_implILS8_3ELb0ES6_jNS0_17counting_iteratorIjlEEPS9_SE_NS0_5tupleIJPjSE_EEENSF_IJSE_SE_EEES9_SG_JZNS1_25segmented_radix_sort_implINS0_14default_configELb0EPKhPhPKlPlN2at6native12_GLOBAL__N_18offset_tEEE10hipError_tPvRmT1_PNSt15iterator_traitsISY_E10value_typeET2_T3_PNSZ_IS14_E10value_typeET4_jRbjT5_S1A_jjP12ihipStream_tbEUljE_EEESV_SW_SX_S14_S18_S1A_T6_T7_T9_mT8_S1C_bDpT10_ENKUlT_T0_E_clISt17integral_constantIbLb1EES1O_IbLb0EEEEDaS1K_S1L_EUlS1K_E_NS1_11comp_targetILNS1_3genE9ELNS1_11target_archE1100ELNS1_3gpuE3ELNS1_3repE0EEENS1_30default_config_static_selectorELNS0_4arch9wavefront6targetE0EEEvSY_, .Lfunc_end176-_ZN7rocprim17ROCPRIM_400000_NS6detail17trampoline_kernelINS0_13select_configILj256ELj13ELNS0_17block_load_methodE3ELS4_3ELS4_3ELNS0_20block_scan_algorithmE0ELj4294967295EEENS1_25partition_config_selectorILNS1_17partition_subalgoE3EjNS0_10empty_typeEbEEZZNS1_14partition_implILS8_3ELb0ES6_jNS0_17counting_iteratorIjlEEPS9_SE_NS0_5tupleIJPjSE_EEENSF_IJSE_SE_EEES9_SG_JZNS1_25segmented_radix_sort_implINS0_14default_configELb0EPKhPhPKlPlN2at6native12_GLOBAL__N_18offset_tEEE10hipError_tPvRmT1_PNSt15iterator_traitsISY_E10value_typeET2_T3_PNSZ_IS14_E10value_typeET4_jRbjT5_S1A_jjP12ihipStream_tbEUljE_EEESV_SW_SX_S14_S18_S1A_T6_T7_T9_mT8_S1C_bDpT10_ENKUlT_T0_E_clISt17integral_constantIbLb1EES1O_IbLb0EEEEDaS1K_S1L_EUlS1K_E_NS1_11comp_targetILNS1_3genE9ELNS1_11target_archE1100ELNS1_3gpuE3ELNS1_3repE0EEENS1_30default_config_static_selectorELNS0_4arch9wavefront6targetE0EEEvSY_
                                        ; -- End function
	.set _ZN7rocprim17ROCPRIM_400000_NS6detail17trampoline_kernelINS0_13select_configILj256ELj13ELNS0_17block_load_methodE3ELS4_3ELS4_3ELNS0_20block_scan_algorithmE0ELj4294967295EEENS1_25partition_config_selectorILNS1_17partition_subalgoE3EjNS0_10empty_typeEbEEZZNS1_14partition_implILS8_3ELb0ES6_jNS0_17counting_iteratorIjlEEPS9_SE_NS0_5tupleIJPjSE_EEENSF_IJSE_SE_EEES9_SG_JZNS1_25segmented_radix_sort_implINS0_14default_configELb0EPKhPhPKlPlN2at6native12_GLOBAL__N_18offset_tEEE10hipError_tPvRmT1_PNSt15iterator_traitsISY_E10value_typeET2_T3_PNSZ_IS14_E10value_typeET4_jRbjT5_S1A_jjP12ihipStream_tbEUljE_EEESV_SW_SX_S14_S18_S1A_T6_T7_T9_mT8_S1C_bDpT10_ENKUlT_T0_E_clISt17integral_constantIbLb1EES1O_IbLb0EEEEDaS1K_S1L_EUlS1K_E_NS1_11comp_targetILNS1_3genE9ELNS1_11target_archE1100ELNS1_3gpuE3ELNS1_3repE0EEENS1_30default_config_static_selectorELNS0_4arch9wavefront6targetE0EEEvSY_.num_vgpr, 0
	.set _ZN7rocprim17ROCPRIM_400000_NS6detail17trampoline_kernelINS0_13select_configILj256ELj13ELNS0_17block_load_methodE3ELS4_3ELS4_3ELNS0_20block_scan_algorithmE0ELj4294967295EEENS1_25partition_config_selectorILNS1_17partition_subalgoE3EjNS0_10empty_typeEbEEZZNS1_14partition_implILS8_3ELb0ES6_jNS0_17counting_iteratorIjlEEPS9_SE_NS0_5tupleIJPjSE_EEENSF_IJSE_SE_EEES9_SG_JZNS1_25segmented_radix_sort_implINS0_14default_configELb0EPKhPhPKlPlN2at6native12_GLOBAL__N_18offset_tEEE10hipError_tPvRmT1_PNSt15iterator_traitsISY_E10value_typeET2_T3_PNSZ_IS14_E10value_typeET4_jRbjT5_S1A_jjP12ihipStream_tbEUljE_EEESV_SW_SX_S14_S18_S1A_T6_T7_T9_mT8_S1C_bDpT10_ENKUlT_T0_E_clISt17integral_constantIbLb1EES1O_IbLb0EEEEDaS1K_S1L_EUlS1K_E_NS1_11comp_targetILNS1_3genE9ELNS1_11target_archE1100ELNS1_3gpuE3ELNS1_3repE0EEENS1_30default_config_static_selectorELNS0_4arch9wavefront6targetE0EEEvSY_.num_agpr, 0
	.set _ZN7rocprim17ROCPRIM_400000_NS6detail17trampoline_kernelINS0_13select_configILj256ELj13ELNS0_17block_load_methodE3ELS4_3ELS4_3ELNS0_20block_scan_algorithmE0ELj4294967295EEENS1_25partition_config_selectorILNS1_17partition_subalgoE3EjNS0_10empty_typeEbEEZZNS1_14partition_implILS8_3ELb0ES6_jNS0_17counting_iteratorIjlEEPS9_SE_NS0_5tupleIJPjSE_EEENSF_IJSE_SE_EEES9_SG_JZNS1_25segmented_radix_sort_implINS0_14default_configELb0EPKhPhPKlPlN2at6native12_GLOBAL__N_18offset_tEEE10hipError_tPvRmT1_PNSt15iterator_traitsISY_E10value_typeET2_T3_PNSZ_IS14_E10value_typeET4_jRbjT5_S1A_jjP12ihipStream_tbEUljE_EEESV_SW_SX_S14_S18_S1A_T6_T7_T9_mT8_S1C_bDpT10_ENKUlT_T0_E_clISt17integral_constantIbLb1EES1O_IbLb0EEEEDaS1K_S1L_EUlS1K_E_NS1_11comp_targetILNS1_3genE9ELNS1_11target_archE1100ELNS1_3gpuE3ELNS1_3repE0EEENS1_30default_config_static_selectorELNS0_4arch9wavefront6targetE0EEEvSY_.numbered_sgpr, 0
	.set _ZN7rocprim17ROCPRIM_400000_NS6detail17trampoline_kernelINS0_13select_configILj256ELj13ELNS0_17block_load_methodE3ELS4_3ELS4_3ELNS0_20block_scan_algorithmE0ELj4294967295EEENS1_25partition_config_selectorILNS1_17partition_subalgoE3EjNS0_10empty_typeEbEEZZNS1_14partition_implILS8_3ELb0ES6_jNS0_17counting_iteratorIjlEEPS9_SE_NS0_5tupleIJPjSE_EEENSF_IJSE_SE_EEES9_SG_JZNS1_25segmented_radix_sort_implINS0_14default_configELb0EPKhPhPKlPlN2at6native12_GLOBAL__N_18offset_tEEE10hipError_tPvRmT1_PNSt15iterator_traitsISY_E10value_typeET2_T3_PNSZ_IS14_E10value_typeET4_jRbjT5_S1A_jjP12ihipStream_tbEUljE_EEESV_SW_SX_S14_S18_S1A_T6_T7_T9_mT8_S1C_bDpT10_ENKUlT_T0_E_clISt17integral_constantIbLb1EES1O_IbLb0EEEEDaS1K_S1L_EUlS1K_E_NS1_11comp_targetILNS1_3genE9ELNS1_11target_archE1100ELNS1_3gpuE3ELNS1_3repE0EEENS1_30default_config_static_selectorELNS0_4arch9wavefront6targetE0EEEvSY_.num_named_barrier, 0
	.set _ZN7rocprim17ROCPRIM_400000_NS6detail17trampoline_kernelINS0_13select_configILj256ELj13ELNS0_17block_load_methodE3ELS4_3ELS4_3ELNS0_20block_scan_algorithmE0ELj4294967295EEENS1_25partition_config_selectorILNS1_17partition_subalgoE3EjNS0_10empty_typeEbEEZZNS1_14partition_implILS8_3ELb0ES6_jNS0_17counting_iteratorIjlEEPS9_SE_NS0_5tupleIJPjSE_EEENSF_IJSE_SE_EEES9_SG_JZNS1_25segmented_radix_sort_implINS0_14default_configELb0EPKhPhPKlPlN2at6native12_GLOBAL__N_18offset_tEEE10hipError_tPvRmT1_PNSt15iterator_traitsISY_E10value_typeET2_T3_PNSZ_IS14_E10value_typeET4_jRbjT5_S1A_jjP12ihipStream_tbEUljE_EEESV_SW_SX_S14_S18_S1A_T6_T7_T9_mT8_S1C_bDpT10_ENKUlT_T0_E_clISt17integral_constantIbLb1EES1O_IbLb0EEEEDaS1K_S1L_EUlS1K_E_NS1_11comp_targetILNS1_3genE9ELNS1_11target_archE1100ELNS1_3gpuE3ELNS1_3repE0EEENS1_30default_config_static_selectorELNS0_4arch9wavefront6targetE0EEEvSY_.private_seg_size, 0
	.set _ZN7rocprim17ROCPRIM_400000_NS6detail17trampoline_kernelINS0_13select_configILj256ELj13ELNS0_17block_load_methodE3ELS4_3ELS4_3ELNS0_20block_scan_algorithmE0ELj4294967295EEENS1_25partition_config_selectorILNS1_17partition_subalgoE3EjNS0_10empty_typeEbEEZZNS1_14partition_implILS8_3ELb0ES6_jNS0_17counting_iteratorIjlEEPS9_SE_NS0_5tupleIJPjSE_EEENSF_IJSE_SE_EEES9_SG_JZNS1_25segmented_radix_sort_implINS0_14default_configELb0EPKhPhPKlPlN2at6native12_GLOBAL__N_18offset_tEEE10hipError_tPvRmT1_PNSt15iterator_traitsISY_E10value_typeET2_T3_PNSZ_IS14_E10value_typeET4_jRbjT5_S1A_jjP12ihipStream_tbEUljE_EEESV_SW_SX_S14_S18_S1A_T6_T7_T9_mT8_S1C_bDpT10_ENKUlT_T0_E_clISt17integral_constantIbLb1EES1O_IbLb0EEEEDaS1K_S1L_EUlS1K_E_NS1_11comp_targetILNS1_3genE9ELNS1_11target_archE1100ELNS1_3gpuE3ELNS1_3repE0EEENS1_30default_config_static_selectorELNS0_4arch9wavefront6targetE0EEEvSY_.uses_vcc, 0
	.set _ZN7rocprim17ROCPRIM_400000_NS6detail17trampoline_kernelINS0_13select_configILj256ELj13ELNS0_17block_load_methodE3ELS4_3ELS4_3ELNS0_20block_scan_algorithmE0ELj4294967295EEENS1_25partition_config_selectorILNS1_17partition_subalgoE3EjNS0_10empty_typeEbEEZZNS1_14partition_implILS8_3ELb0ES6_jNS0_17counting_iteratorIjlEEPS9_SE_NS0_5tupleIJPjSE_EEENSF_IJSE_SE_EEES9_SG_JZNS1_25segmented_radix_sort_implINS0_14default_configELb0EPKhPhPKlPlN2at6native12_GLOBAL__N_18offset_tEEE10hipError_tPvRmT1_PNSt15iterator_traitsISY_E10value_typeET2_T3_PNSZ_IS14_E10value_typeET4_jRbjT5_S1A_jjP12ihipStream_tbEUljE_EEESV_SW_SX_S14_S18_S1A_T6_T7_T9_mT8_S1C_bDpT10_ENKUlT_T0_E_clISt17integral_constantIbLb1EES1O_IbLb0EEEEDaS1K_S1L_EUlS1K_E_NS1_11comp_targetILNS1_3genE9ELNS1_11target_archE1100ELNS1_3gpuE3ELNS1_3repE0EEENS1_30default_config_static_selectorELNS0_4arch9wavefront6targetE0EEEvSY_.uses_flat_scratch, 0
	.set _ZN7rocprim17ROCPRIM_400000_NS6detail17trampoline_kernelINS0_13select_configILj256ELj13ELNS0_17block_load_methodE3ELS4_3ELS4_3ELNS0_20block_scan_algorithmE0ELj4294967295EEENS1_25partition_config_selectorILNS1_17partition_subalgoE3EjNS0_10empty_typeEbEEZZNS1_14partition_implILS8_3ELb0ES6_jNS0_17counting_iteratorIjlEEPS9_SE_NS0_5tupleIJPjSE_EEENSF_IJSE_SE_EEES9_SG_JZNS1_25segmented_radix_sort_implINS0_14default_configELb0EPKhPhPKlPlN2at6native12_GLOBAL__N_18offset_tEEE10hipError_tPvRmT1_PNSt15iterator_traitsISY_E10value_typeET2_T3_PNSZ_IS14_E10value_typeET4_jRbjT5_S1A_jjP12ihipStream_tbEUljE_EEESV_SW_SX_S14_S18_S1A_T6_T7_T9_mT8_S1C_bDpT10_ENKUlT_T0_E_clISt17integral_constantIbLb1EES1O_IbLb0EEEEDaS1K_S1L_EUlS1K_E_NS1_11comp_targetILNS1_3genE9ELNS1_11target_archE1100ELNS1_3gpuE3ELNS1_3repE0EEENS1_30default_config_static_selectorELNS0_4arch9wavefront6targetE0EEEvSY_.has_dyn_sized_stack, 0
	.set _ZN7rocprim17ROCPRIM_400000_NS6detail17trampoline_kernelINS0_13select_configILj256ELj13ELNS0_17block_load_methodE3ELS4_3ELS4_3ELNS0_20block_scan_algorithmE0ELj4294967295EEENS1_25partition_config_selectorILNS1_17partition_subalgoE3EjNS0_10empty_typeEbEEZZNS1_14partition_implILS8_3ELb0ES6_jNS0_17counting_iteratorIjlEEPS9_SE_NS0_5tupleIJPjSE_EEENSF_IJSE_SE_EEES9_SG_JZNS1_25segmented_radix_sort_implINS0_14default_configELb0EPKhPhPKlPlN2at6native12_GLOBAL__N_18offset_tEEE10hipError_tPvRmT1_PNSt15iterator_traitsISY_E10value_typeET2_T3_PNSZ_IS14_E10value_typeET4_jRbjT5_S1A_jjP12ihipStream_tbEUljE_EEESV_SW_SX_S14_S18_S1A_T6_T7_T9_mT8_S1C_bDpT10_ENKUlT_T0_E_clISt17integral_constantIbLb1EES1O_IbLb0EEEEDaS1K_S1L_EUlS1K_E_NS1_11comp_targetILNS1_3genE9ELNS1_11target_archE1100ELNS1_3gpuE3ELNS1_3repE0EEENS1_30default_config_static_selectorELNS0_4arch9wavefront6targetE0EEEvSY_.has_recursion, 0
	.set _ZN7rocprim17ROCPRIM_400000_NS6detail17trampoline_kernelINS0_13select_configILj256ELj13ELNS0_17block_load_methodE3ELS4_3ELS4_3ELNS0_20block_scan_algorithmE0ELj4294967295EEENS1_25partition_config_selectorILNS1_17partition_subalgoE3EjNS0_10empty_typeEbEEZZNS1_14partition_implILS8_3ELb0ES6_jNS0_17counting_iteratorIjlEEPS9_SE_NS0_5tupleIJPjSE_EEENSF_IJSE_SE_EEES9_SG_JZNS1_25segmented_radix_sort_implINS0_14default_configELb0EPKhPhPKlPlN2at6native12_GLOBAL__N_18offset_tEEE10hipError_tPvRmT1_PNSt15iterator_traitsISY_E10value_typeET2_T3_PNSZ_IS14_E10value_typeET4_jRbjT5_S1A_jjP12ihipStream_tbEUljE_EEESV_SW_SX_S14_S18_S1A_T6_T7_T9_mT8_S1C_bDpT10_ENKUlT_T0_E_clISt17integral_constantIbLb1EES1O_IbLb0EEEEDaS1K_S1L_EUlS1K_E_NS1_11comp_targetILNS1_3genE9ELNS1_11target_archE1100ELNS1_3gpuE3ELNS1_3repE0EEENS1_30default_config_static_selectorELNS0_4arch9wavefront6targetE0EEEvSY_.has_indirect_call, 0
	.section	.AMDGPU.csdata,"",@progbits
; Kernel info:
; codeLenInByte = 0
; TotalNumSgprs: 0
; NumVgprs: 0
; ScratchSize: 0
; MemoryBound: 0
; FloatMode: 240
; IeeeMode: 1
; LDSByteSize: 0 bytes/workgroup (compile time only)
; SGPRBlocks: 0
; VGPRBlocks: 0
; NumSGPRsForWavesPerEU: 1
; NumVGPRsForWavesPerEU: 1
; Occupancy: 16
; WaveLimiterHint : 0
; COMPUTE_PGM_RSRC2:SCRATCH_EN: 0
; COMPUTE_PGM_RSRC2:USER_SGPR: 2
; COMPUTE_PGM_RSRC2:TRAP_HANDLER: 0
; COMPUTE_PGM_RSRC2:TGID_X_EN: 1
; COMPUTE_PGM_RSRC2:TGID_Y_EN: 0
; COMPUTE_PGM_RSRC2:TGID_Z_EN: 0
; COMPUTE_PGM_RSRC2:TIDIG_COMP_CNT: 0
	.section	.text._ZN7rocprim17ROCPRIM_400000_NS6detail17trampoline_kernelINS0_13select_configILj256ELj13ELNS0_17block_load_methodE3ELS4_3ELS4_3ELNS0_20block_scan_algorithmE0ELj4294967295EEENS1_25partition_config_selectorILNS1_17partition_subalgoE3EjNS0_10empty_typeEbEEZZNS1_14partition_implILS8_3ELb0ES6_jNS0_17counting_iteratorIjlEEPS9_SE_NS0_5tupleIJPjSE_EEENSF_IJSE_SE_EEES9_SG_JZNS1_25segmented_radix_sort_implINS0_14default_configELb0EPKhPhPKlPlN2at6native12_GLOBAL__N_18offset_tEEE10hipError_tPvRmT1_PNSt15iterator_traitsISY_E10value_typeET2_T3_PNSZ_IS14_E10value_typeET4_jRbjT5_S1A_jjP12ihipStream_tbEUljE_EEESV_SW_SX_S14_S18_S1A_T6_T7_T9_mT8_S1C_bDpT10_ENKUlT_T0_E_clISt17integral_constantIbLb1EES1O_IbLb0EEEEDaS1K_S1L_EUlS1K_E_NS1_11comp_targetILNS1_3genE8ELNS1_11target_archE1030ELNS1_3gpuE2ELNS1_3repE0EEENS1_30default_config_static_selectorELNS0_4arch9wavefront6targetE0EEEvSY_,"axG",@progbits,_ZN7rocprim17ROCPRIM_400000_NS6detail17trampoline_kernelINS0_13select_configILj256ELj13ELNS0_17block_load_methodE3ELS4_3ELS4_3ELNS0_20block_scan_algorithmE0ELj4294967295EEENS1_25partition_config_selectorILNS1_17partition_subalgoE3EjNS0_10empty_typeEbEEZZNS1_14partition_implILS8_3ELb0ES6_jNS0_17counting_iteratorIjlEEPS9_SE_NS0_5tupleIJPjSE_EEENSF_IJSE_SE_EEES9_SG_JZNS1_25segmented_radix_sort_implINS0_14default_configELb0EPKhPhPKlPlN2at6native12_GLOBAL__N_18offset_tEEE10hipError_tPvRmT1_PNSt15iterator_traitsISY_E10value_typeET2_T3_PNSZ_IS14_E10value_typeET4_jRbjT5_S1A_jjP12ihipStream_tbEUljE_EEESV_SW_SX_S14_S18_S1A_T6_T7_T9_mT8_S1C_bDpT10_ENKUlT_T0_E_clISt17integral_constantIbLb1EES1O_IbLb0EEEEDaS1K_S1L_EUlS1K_E_NS1_11comp_targetILNS1_3genE8ELNS1_11target_archE1030ELNS1_3gpuE2ELNS1_3repE0EEENS1_30default_config_static_selectorELNS0_4arch9wavefront6targetE0EEEvSY_,comdat
	.globl	_ZN7rocprim17ROCPRIM_400000_NS6detail17trampoline_kernelINS0_13select_configILj256ELj13ELNS0_17block_load_methodE3ELS4_3ELS4_3ELNS0_20block_scan_algorithmE0ELj4294967295EEENS1_25partition_config_selectorILNS1_17partition_subalgoE3EjNS0_10empty_typeEbEEZZNS1_14partition_implILS8_3ELb0ES6_jNS0_17counting_iteratorIjlEEPS9_SE_NS0_5tupleIJPjSE_EEENSF_IJSE_SE_EEES9_SG_JZNS1_25segmented_radix_sort_implINS0_14default_configELb0EPKhPhPKlPlN2at6native12_GLOBAL__N_18offset_tEEE10hipError_tPvRmT1_PNSt15iterator_traitsISY_E10value_typeET2_T3_PNSZ_IS14_E10value_typeET4_jRbjT5_S1A_jjP12ihipStream_tbEUljE_EEESV_SW_SX_S14_S18_S1A_T6_T7_T9_mT8_S1C_bDpT10_ENKUlT_T0_E_clISt17integral_constantIbLb1EES1O_IbLb0EEEEDaS1K_S1L_EUlS1K_E_NS1_11comp_targetILNS1_3genE8ELNS1_11target_archE1030ELNS1_3gpuE2ELNS1_3repE0EEENS1_30default_config_static_selectorELNS0_4arch9wavefront6targetE0EEEvSY_ ; -- Begin function _ZN7rocprim17ROCPRIM_400000_NS6detail17trampoline_kernelINS0_13select_configILj256ELj13ELNS0_17block_load_methodE3ELS4_3ELS4_3ELNS0_20block_scan_algorithmE0ELj4294967295EEENS1_25partition_config_selectorILNS1_17partition_subalgoE3EjNS0_10empty_typeEbEEZZNS1_14partition_implILS8_3ELb0ES6_jNS0_17counting_iteratorIjlEEPS9_SE_NS0_5tupleIJPjSE_EEENSF_IJSE_SE_EEES9_SG_JZNS1_25segmented_radix_sort_implINS0_14default_configELb0EPKhPhPKlPlN2at6native12_GLOBAL__N_18offset_tEEE10hipError_tPvRmT1_PNSt15iterator_traitsISY_E10value_typeET2_T3_PNSZ_IS14_E10value_typeET4_jRbjT5_S1A_jjP12ihipStream_tbEUljE_EEESV_SW_SX_S14_S18_S1A_T6_T7_T9_mT8_S1C_bDpT10_ENKUlT_T0_E_clISt17integral_constantIbLb1EES1O_IbLb0EEEEDaS1K_S1L_EUlS1K_E_NS1_11comp_targetILNS1_3genE8ELNS1_11target_archE1030ELNS1_3gpuE2ELNS1_3repE0EEENS1_30default_config_static_selectorELNS0_4arch9wavefront6targetE0EEEvSY_
	.p2align	8
	.type	_ZN7rocprim17ROCPRIM_400000_NS6detail17trampoline_kernelINS0_13select_configILj256ELj13ELNS0_17block_load_methodE3ELS4_3ELS4_3ELNS0_20block_scan_algorithmE0ELj4294967295EEENS1_25partition_config_selectorILNS1_17partition_subalgoE3EjNS0_10empty_typeEbEEZZNS1_14partition_implILS8_3ELb0ES6_jNS0_17counting_iteratorIjlEEPS9_SE_NS0_5tupleIJPjSE_EEENSF_IJSE_SE_EEES9_SG_JZNS1_25segmented_radix_sort_implINS0_14default_configELb0EPKhPhPKlPlN2at6native12_GLOBAL__N_18offset_tEEE10hipError_tPvRmT1_PNSt15iterator_traitsISY_E10value_typeET2_T3_PNSZ_IS14_E10value_typeET4_jRbjT5_S1A_jjP12ihipStream_tbEUljE_EEESV_SW_SX_S14_S18_S1A_T6_T7_T9_mT8_S1C_bDpT10_ENKUlT_T0_E_clISt17integral_constantIbLb1EES1O_IbLb0EEEEDaS1K_S1L_EUlS1K_E_NS1_11comp_targetILNS1_3genE8ELNS1_11target_archE1030ELNS1_3gpuE2ELNS1_3repE0EEENS1_30default_config_static_selectorELNS0_4arch9wavefront6targetE0EEEvSY_,@function
_ZN7rocprim17ROCPRIM_400000_NS6detail17trampoline_kernelINS0_13select_configILj256ELj13ELNS0_17block_load_methodE3ELS4_3ELS4_3ELNS0_20block_scan_algorithmE0ELj4294967295EEENS1_25partition_config_selectorILNS1_17partition_subalgoE3EjNS0_10empty_typeEbEEZZNS1_14partition_implILS8_3ELb0ES6_jNS0_17counting_iteratorIjlEEPS9_SE_NS0_5tupleIJPjSE_EEENSF_IJSE_SE_EEES9_SG_JZNS1_25segmented_radix_sort_implINS0_14default_configELb0EPKhPhPKlPlN2at6native12_GLOBAL__N_18offset_tEEE10hipError_tPvRmT1_PNSt15iterator_traitsISY_E10value_typeET2_T3_PNSZ_IS14_E10value_typeET4_jRbjT5_S1A_jjP12ihipStream_tbEUljE_EEESV_SW_SX_S14_S18_S1A_T6_T7_T9_mT8_S1C_bDpT10_ENKUlT_T0_E_clISt17integral_constantIbLb1EES1O_IbLb0EEEEDaS1K_S1L_EUlS1K_E_NS1_11comp_targetILNS1_3genE8ELNS1_11target_archE1030ELNS1_3gpuE2ELNS1_3repE0EEENS1_30default_config_static_selectorELNS0_4arch9wavefront6targetE0EEEvSY_: ; @_ZN7rocprim17ROCPRIM_400000_NS6detail17trampoline_kernelINS0_13select_configILj256ELj13ELNS0_17block_load_methodE3ELS4_3ELS4_3ELNS0_20block_scan_algorithmE0ELj4294967295EEENS1_25partition_config_selectorILNS1_17partition_subalgoE3EjNS0_10empty_typeEbEEZZNS1_14partition_implILS8_3ELb0ES6_jNS0_17counting_iteratorIjlEEPS9_SE_NS0_5tupleIJPjSE_EEENSF_IJSE_SE_EEES9_SG_JZNS1_25segmented_radix_sort_implINS0_14default_configELb0EPKhPhPKlPlN2at6native12_GLOBAL__N_18offset_tEEE10hipError_tPvRmT1_PNSt15iterator_traitsISY_E10value_typeET2_T3_PNSZ_IS14_E10value_typeET4_jRbjT5_S1A_jjP12ihipStream_tbEUljE_EEESV_SW_SX_S14_S18_S1A_T6_T7_T9_mT8_S1C_bDpT10_ENKUlT_T0_E_clISt17integral_constantIbLb1EES1O_IbLb0EEEEDaS1K_S1L_EUlS1K_E_NS1_11comp_targetILNS1_3genE8ELNS1_11target_archE1030ELNS1_3gpuE2ELNS1_3repE0EEENS1_30default_config_static_selectorELNS0_4arch9wavefront6targetE0EEEvSY_
; %bb.0:
	.section	.rodata,"a",@progbits
	.p2align	6, 0x0
	.amdhsa_kernel _ZN7rocprim17ROCPRIM_400000_NS6detail17trampoline_kernelINS0_13select_configILj256ELj13ELNS0_17block_load_methodE3ELS4_3ELS4_3ELNS0_20block_scan_algorithmE0ELj4294967295EEENS1_25partition_config_selectorILNS1_17partition_subalgoE3EjNS0_10empty_typeEbEEZZNS1_14partition_implILS8_3ELb0ES6_jNS0_17counting_iteratorIjlEEPS9_SE_NS0_5tupleIJPjSE_EEENSF_IJSE_SE_EEES9_SG_JZNS1_25segmented_radix_sort_implINS0_14default_configELb0EPKhPhPKlPlN2at6native12_GLOBAL__N_18offset_tEEE10hipError_tPvRmT1_PNSt15iterator_traitsISY_E10value_typeET2_T3_PNSZ_IS14_E10value_typeET4_jRbjT5_S1A_jjP12ihipStream_tbEUljE_EEESV_SW_SX_S14_S18_S1A_T6_T7_T9_mT8_S1C_bDpT10_ENKUlT_T0_E_clISt17integral_constantIbLb1EES1O_IbLb0EEEEDaS1K_S1L_EUlS1K_E_NS1_11comp_targetILNS1_3genE8ELNS1_11target_archE1030ELNS1_3gpuE2ELNS1_3repE0EEENS1_30default_config_static_selectorELNS0_4arch9wavefront6targetE0EEEvSY_
		.amdhsa_group_segment_fixed_size 0
		.amdhsa_private_segment_fixed_size 0
		.amdhsa_kernarg_size 144
		.amdhsa_user_sgpr_count 2
		.amdhsa_user_sgpr_dispatch_ptr 0
		.amdhsa_user_sgpr_queue_ptr 0
		.amdhsa_user_sgpr_kernarg_segment_ptr 1
		.amdhsa_user_sgpr_dispatch_id 0
		.amdhsa_user_sgpr_private_segment_size 0
		.amdhsa_wavefront_size32 1
		.amdhsa_uses_dynamic_stack 0
		.amdhsa_enable_private_segment 0
		.amdhsa_system_sgpr_workgroup_id_x 1
		.amdhsa_system_sgpr_workgroup_id_y 0
		.amdhsa_system_sgpr_workgroup_id_z 0
		.amdhsa_system_sgpr_workgroup_info 0
		.amdhsa_system_vgpr_workitem_id 0
		.amdhsa_next_free_vgpr 1
		.amdhsa_next_free_sgpr 1
		.amdhsa_reserve_vcc 0
		.amdhsa_float_round_mode_32 0
		.amdhsa_float_round_mode_16_64 0
		.amdhsa_float_denorm_mode_32 3
		.amdhsa_float_denorm_mode_16_64 3
		.amdhsa_fp16_overflow 0
		.amdhsa_workgroup_processor_mode 1
		.amdhsa_memory_ordered 1
		.amdhsa_forward_progress 1
		.amdhsa_inst_pref_size 0
		.amdhsa_round_robin_scheduling 0
		.amdhsa_exception_fp_ieee_invalid_op 0
		.amdhsa_exception_fp_denorm_src 0
		.amdhsa_exception_fp_ieee_div_zero 0
		.amdhsa_exception_fp_ieee_overflow 0
		.amdhsa_exception_fp_ieee_underflow 0
		.amdhsa_exception_fp_ieee_inexact 0
		.amdhsa_exception_int_div_zero 0
	.end_amdhsa_kernel
	.section	.text._ZN7rocprim17ROCPRIM_400000_NS6detail17trampoline_kernelINS0_13select_configILj256ELj13ELNS0_17block_load_methodE3ELS4_3ELS4_3ELNS0_20block_scan_algorithmE0ELj4294967295EEENS1_25partition_config_selectorILNS1_17partition_subalgoE3EjNS0_10empty_typeEbEEZZNS1_14partition_implILS8_3ELb0ES6_jNS0_17counting_iteratorIjlEEPS9_SE_NS0_5tupleIJPjSE_EEENSF_IJSE_SE_EEES9_SG_JZNS1_25segmented_radix_sort_implINS0_14default_configELb0EPKhPhPKlPlN2at6native12_GLOBAL__N_18offset_tEEE10hipError_tPvRmT1_PNSt15iterator_traitsISY_E10value_typeET2_T3_PNSZ_IS14_E10value_typeET4_jRbjT5_S1A_jjP12ihipStream_tbEUljE_EEESV_SW_SX_S14_S18_S1A_T6_T7_T9_mT8_S1C_bDpT10_ENKUlT_T0_E_clISt17integral_constantIbLb1EES1O_IbLb0EEEEDaS1K_S1L_EUlS1K_E_NS1_11comp_targetILNS1_3genE8ELNS1_11target_archE1030ELNS1_3gpuE2ELNS1_3repE0EEENS1_30default_config_static_selectorELNS0_4arch9wavefront6targetE0EEEvSY_,"axG",@progbits,_ZN7rocprim17ROCPRIM_400000_NS6detail17trampoline_kernelINS0_13select_configILj256ELj13ELNS0_17block_load_methodE3ELS4_3ELS4_3ELNS0_20block_scan_algorithmE0ELj4294967295EEENS1_25partition_config_selectorILNS1_17partition_subalgoE3EjNS0_10empty_typeEbEEZZNS1_14partition_implILS8_3ELb0ES6_jNS0_17counting_iteratorIjlEEPS9_SE_NS0_5tupleIJPjSE_EEENSF_IJSE_SE_EEES9_SG_JZNS1_25segmented_radix_sort_implINS0_14default_configELb0EPKhPhPKlPlN2at6native12_GLOBAL__N_18offset_tEEE10hipError_tPvRmT1_PNSt15iterator_traitsISY_E10value_typeET2_T3_PNSZ_IS14_E10value_typeET4_jRbjT5_S1A_jjP12ihipStream_tbEUljE_EEESV_SW_SX_S14_S18_S1A_T6_T7_T9_mT8_S1C_bDpT10_ENKUlT_T0_E_clISt17integral_constantIbLb1EES1O_IbLb0EEEEDaS1K_S1L_EUlS1K_E_NS1_11comp_targetILNS1_3genE8ELNS1_11target_archE1030ELNS1_3gpuE2ELNS1_3repE0EEENS1_30default_config_static_selectorELNS0_4arch9wavefront6targetE0EEEvSY_,comdat
.Lfunc_end177:
	.size	_ZN7rocprim17ROCPRIM_400000_NS6detail17trampoline_kernelINS0_13select_configILj256ELj13ELNS0_17block_load_methodE3ELS4_3ELS4_3ELNS0_20block_scan_algorithmE0ELj4294967295EEENS1_25partition_config_selectorILNS1_17partition_subalgoE3EjNS0_10empty_typeEbEEZZNS1_14partition_implILS8_3ELb0ES6_jNS0_17counting_iteratorIjlEEPS9_SE_NS0_5tupleIJPjSE_EEENSF_IJSE_SE_EEES9_SG_JZNS1_25segmented_radix_sort_implINS0_14default_configELb0EPKhPhPKlPlN2at6native12_GLOBAL__N_18offset_tEEE10hipError_tPvRmT1_PNSt15iterator_traitsISY_E10value_typeET2_T3_PNSZ_IS14_E10value_typeET4_jRbjT5_S1A_jjP12ihipStream_tbEUljE_EEESV_SW_SX_S14_S18_S1A_T6_T7_T9_mT8_S1C_bDpT10_ENKUlT_T0_E_clISt17integral_constantIbLb1EES1O_IbLb0EEEEDaS1K_S1L_EUlS1K_E_NS1_11comp_targetILNS1_3genE8ELNS1_11target_archE1030ELNS1_3gpuE2ELNS1_3repE0EEENS1_30default_config_static_selectorELNS0_4arch9wavefront6targetE0EEEvSY_, .Lfunc_end177-_ZN7rocprim17ROCPRIM_400000_NS6detail17trampoline_kernelINS0_13select_configILj256ELj13ELNS0_17block_load_methodE3ELS4_3ELS4_3ELNS0_20block_scan_algorithmE0ELj4294967295EEENS1_25partition_config_selectorILNS1_17partition_subalgoE3EjNS0_10empty_typeEbEEZZNS1_14partition_implILS8_3ELb0ES6_jNS0_17counting_iteratorIjlEEPS9_SE_NS0_5tupleIJPjSE_EEENSF_IJSE_SE_EEES9_SG_JZNS1_25segmented_radix_sort_implINS0_14default_configELb0EPKhPhPKlPlN2at6native12_GLOBAL__N_18offset_tEEE10hipError_tPvRmT1_PNSt15iterator_traitsISY_E10value_typeET2_T3_PNSZ_IS14_E10value_typeET4_jRbjT5_S1A_jjP12ihipStream_tbEUljE_EEESV_SW_SX_S14_S18_S1A_T6_T7_T9_mT8_S1C_bDpT10_ENKUlT_T0_E_clISt17integral_constantIbLb1EES1O_IbLb0EEEEDaS1K_S1L_EUlS1K_E_NS1_11comp_targetILNS1_3genE8ELNS1_11target_archE1030ELNS1_3gpuE2ELNS1_3repE0EEENS1_30default_config_static_selectorELNS0_4arch9wavefront6targetE0EEEvSY_
                                        ; -- End function
	.set _ZN7rocprim17ROCPRIM_400000_NS6detail17trampoline_kernelINS0_13select_configILj256ELj13ELNS0_17block_load_methodE3ELS4_3ELS4_3ELNS0_20block_scan_algorithmE0ELj4294967295EEENS1_25partition_config_selectorILNS1_17partition_subalgoE3EjNS0_10empty_typeEbEEZZNS1_14partition_implILS8_3ELb0ES6_jNS0_17counting_iteratorIjlEEPS9_SE_NS0_5tupleIJPjSE_EEENSF_IJSE_SE_EEES9_SG_JZNS1_25segmented_radix_sort_implINS0_14default_configELb0EPKhPhPKlPlN2at6native12_GLOBAL__N_18offset_tEEE10hipError_tPvRmT1_PNSt15iterator_traitsISY_E10value_typeET2_T3_PNSZ_IS14_E10value_typeET4_jRbjT5_S1A_jjP12ihipStream_tbEUljE_EEESV_SW_SX_S14_S18_S1A_T6_T7_T9_mT8_S1C_bDpT10_ENKUlT_T0_E_clISt17integral_constantIbLb1EES1O_IbLb0EEEEDaS1K_S1L_EUlS1K_E_NS1_11comp_targetILNS1_3genE8ELNS1_11target_archE1030ELNS1_3gpuE2ELNS1_3repE0EEENS1_30default_config_static_selectorELNS0_4arch9wavefront6targetE0EEEvSY_.num_vgpr, 0
	.set _ZN7rocprim17ROCPRIM_400000_NS6detail17trampoline_kernelINS0_13select_configILj256ELj13ELNS0_17block_load_methodE3ELS4_3ELS4_3ELNS0_20block_scan_algorithmE0ELj4294967295EEENS1_25partition_config_selectorILNS1_17partition_subalgoE3EjNS0_10empty_typeEbEEZZNS1_14partition_implILS8_3ELb0ES6_jNS0_17counting_iteratorIjlEEPS9_SE_NS0_5tupleIJPjSE_EEENSF_IJSE_SE_EEES9_SG_JZNS1_25segmented_radix_sort_implINS0_14default_configELb0EPKhPhPKlPlN2at6native12_GLOBAL__N_18offset_tEEE10hipError_tPvRmT1_PNSt15iterator_traitsISY_E10value_typeET2_T3_PNSZ_IS14_E10value_typeET4_jRbjT5_S1A_jjP12ihipStream_tbEUljE_EEESV_SW_SX_S14_S18_S1A_T6_T7_T9_mT8_S1C_bDpT10_ENKUlT_T0_E_clISt17integral_constantIbLb1EES1O_IbLb0EEEEDaS1K_S1L_EUlS1K_E_NS1_11comp_targetILNS1_3genE8ELNS1_11target_archE1030ELNS1_3gpuE2ELNS1_3repE0EEENS1_30default_config_static_selectorELNS0_4arch9wavefront6targetE0EEEvSY_.num_agpr, 0
	.set _ZN7rocprim17ROCPRIM_400000_NS6detail17trampoline_kernelINS0_13select_configILj256ELj13ELNS0_17block_load_methodE3ELS4_3ELS4_3ELNS0_20block_scan_algorithmE0ELj4294967295EEENS1_25partition_config_selectorILNS1_17partition_subalgoE3EjNS0_10empty_typeEbEEZZNS1_14partition_implILS8_3ELb0ES6_jNS0_17counting_iteratorIjlEEPS9_SE_NS0_5tupleIJPjSE_EEENSF_IJSE_SE_EEES9_SG_JZNS1_25segmented_radix_sort_implINS0_14default_configELb0EPKhPhPKlPlN2at6native12_GLOBAL__N_18offset_tEEE10hipError_tPvRmT1_PNSt15iterator_traitsISY_E10value_typeET2_T3_PNSZ_IS14_E10value_typeET4_jRbjT5_S1A_jjP12ihipStream_tbEUljE_EEESV_SW_SX_S14_S18_S1A_T6_T7_T9_mT8_S1C_bDpT10_ENKUlT_T0_E_clISt17integral_constantIbLb1EES1O_IbLb0EEEEDaS1K_S1L_EUlS1K_E_NS1_11comp_targetILNS1_3genE8ELNS1_11target_archE1030ELNS1_3gpuE2ELNS1_3repE0EEENS1_30default_config_static_selectorELNS0_4arch9wavefront6targetE0EEEvSY_.numbered_sgpr, 0
	.set _ZN7rocprim17ROCPRIM_400000_NS6detail17trampoline_kernelINS0_13select_configILj256ELj13ELNS0_17block_load_methodE3ELS4_3ELS4_3ELNS0_20block_scan_algorithmE0ELj4294967295EEENS1_25partition_config_selectorILNS1_17partition_subalgoE3EjNS0_10empty_typeEbEEZZNS1_14partition_implILS8_3ELb0ES6_jNS0_17counting_iteratorIjlEEPS9_SE_NS0_5tupleIJPjSE_EEENSF_IJSE_SE_EEES9_SG_JZNS1_25segmented_radix_sort_implINS0_14default_configELb0EPKhPhPKlPlN2at6native12_GLOBAL__N_18offset_tEEE10hipError_tPvRmT1_PNSt15iterator_traitsISY_E10value_typeET2_T3_PNSZ_IS14_E10value_typeET4_jRbjT5_S1A_jjP12ihipStream_tbEUljE_EEESV_SW_SX_S14_S18_S1A_T6_T7_T9_mT8_S1C_bDpT10_ENKUlT_T0_E_clISt17integral_constantIbLb1EES1O_IbLb0EEEEDaS1K_S1L_EUlS1K_E_NS1_11comp_targetILNS1_3genE8ELNS1_11target_archE1030ELNS1_3gpuE2ELNS1_3repE0EEENS1_30default_config_static_selectorELNS0_4arch9wavefront6targetE0EEEvSY_.num_named_barrier, 0
	.set _ZN7rocprim17ROCPRIM_400000_NS6detail17trampoline_kernelINS0_13select_configILj256ELj13ELNS0_17block_load_methodE3ELS4_3ELS4_3ELNS0_20block_scan_algorithmE0ELj4294967295EEENS1_25partition_config_selectorILNS1_17partition_subalgoE3EjNS0_10empty_typeEbEEZZNS1_14partition_implILS8_3ELb0ES6_jNS0_17counting_iteratorIjlEEPS9_SE_NS0_5tupleIJPjSE_EEENSF_IJSE_SE_EEES9_SG_JZNS1_25segmented_radix_sort_implINS0_14default_configELb0EPKhPhPKlPlN2at6native12_GLOBAL__N_18offset_tEEE10hipError_tPvRmT1_PNSt15iterator_traitsISY_E10value_typeET2_T3_PNSZ_IS14_E10value_typeET4_jRbjT5_S1A_jjP12ihipStream_tbEUljE_EEESV_SW_SX_S14_S18_S1A_T6_T7_T9_mT8_S1C_bDpT10_ENKUlT_T0_E_clISt17integral_constantIbLb1EES1O_IbLb0EEEEDaS1K_S1L_EUlS1K_E_NS1_11comp_targetILNS1_3genE8ELNS1_11target_archE1030ELNS1_3gpuE2ELNS1_3repE0EEENS1_30default_config_static_selectorELNS0_4arch9wavefront6targetE0EEEvSY_.private_seg_size, 0
	.set _ZN7rocprim17ROCPRIM_400000_NS6detail17trampoline_kernelINS0_13select_configILj256ELj13ELNS0_17block_load_methodE3ELS4_3ELS4_3ELNS0_20block_scan_algorithmE0ELj4294967295EEENS1_25partition_config_selectorILNS1_17partition_subalgoE3EjNS0_10empty_typeEbEEZZNS1_14partition_implILS8_3ELb0ES6_jNS0_17counting_iteratorIjlEEPS9_SE_NS0_5tupleIJPjSE_EEENSF_IJSE_SE_EEES9_SG_JZNS1_25segmented_radix_sort_implINS0_14default_configELb0EPKhPhPKlPlN2at6native12_GLOBAL__N_18offset_tEEE10hipError_tPvRmT1_PNSt15iterator_traitsISY_E10value_typeET2_T3_PNSZ_IS14_E10value_typeET4_jRbjT5_S1A_jjP12ihipStream_tbEUljE_EEESV_SW_SX_S14_S18_S1A_T6_T7_T9_mT8_S1C_bDpT10_ENKUlT_T0_E_clISt17integral_constantIbLb1EES1O_IbLb0EEEEDaS1K_S1L_EUlS1K_E_NS1_11comp_targetILNS1_3genE8ELNS1_11target_archE1030ELNS1_3gpuE2ELNS1_3repE0EEENS1_30default_config_static_selectorELNS0_4arch9wavefront6targetE0EEEvSY_.uses_vcc, 0
	.set _ZN7rocprim17ROCPRIM_400000_NS6detail17trampoline_kernelINS0_13select_configILj256ELj13ELNS0_17block_load_methodE3ELS4_3ELS4_3ELNS0_20block_scan_algorithmE0ELj4294967295EEENS1_25partition_config_selectorILNS1_17partition_subalgoE3EjNS0_10empty_typeEbEEZZNS1_14partition_implILS8_3ELb0ES6_jNS0_17counting_iteratorIjlEEPS9_SE_NS0_5tupleIJPjSE_EEENSF_IJSE_SE_EEES9_SG_JZNS1_25segmented_radix_sort_implINS0_14default_configELb0EPKhPhPKlPlN2at6native12_GLOBAL__N_18offset_tEEE10hipError_tPvRmT1_PNSt15iterator_traitsISY_E10value_typeET2_T3_PNSZ_IS14_E10value_typeET4_jRbjT5_S1A_jjP12ihipStream_tbEUljE_EEESV_SW_SX_S14_S18_S1A_T6_T7_T9_mT8_S1C_bDpT10_ENKUlT_T0_E_clISt17integral_constantIbLb1EES1O_IbLb0EEEEDaS1K_S1L_EUlS1K_E_NS1_11comp_targetILNS1_3genE8ELNS1_11target_archE1030ELNS1_3gpuE2ELNS1_3repE0EEENS1_30default_config_static_selectorELNS0_4arch9wavefront6targetE0EEEvSY_.uses_flat_scratch, 0
	.set _ZN7rocprim17ROCPRIM_400000_NS6detail17trampoline_kernelINS0_13select_configILj256ELj13ELNS0_17block_load_methodE3ELS4_3ELS4_3ELNS0_20block_scan_algorithmE0ELj4294967295EEENS1_25partition_config_selectorILNS1_17partition_subalgoE3EjNS0_10empty_typeEbEEZZNS1_14partition_implILS8_3ELb0ES6_jNS0_17counting_iteratorIjlEEPS9_SE_NS0_5tupleIJPjSE_EEENSF_IJSE_SE_EEES9_SG_JZNS1_25segmented_radix_sort_implINS0_14default_configELb0EPKhPhPKlPlN2at6native12_GLOBAL__N_18offset_tEEE10hipError_tPvRmT1_PNSt15iterator_traitsISY_E10value_typeET2_T3_PNSZ_IS14_E10value_typeET4_jRbjT5_S1A_jjP12ihipStream_tbEUljE_EEESV_SW_SX_S14_S18_S1A_T6_T7_T9_mT8_S1C_bDpT10_ENKUlT_T0_E_clISt17integral_constantIbLb1EES1O_IbLb0EEEEDaS1K_S1L_EUlS1K_E_NS1_11comp_targetILNS1_3genE8ELNS1_11target_archE1030ELNS1_3gpuE2ELNS1_3repE0EEENS1_30default_config_static_selectorELNS0_4arch9wavefront6targetE0EEEvSY_.has_dyn_sized_stack, 0
	.set _ZN7rocprim17ROCPRIM_400000_NS6detail17trampoline_kernelINS0_13select_configILj256ELj13ELNS0_17block_load_methodE3ELS4_3ELS4_3ELNS0_20block_scan_algorithmE0ELj4294967295EEENS1_25partition_config_selectorILNS1_17partition_subalgoE3EjNS0_10empty_typeEbEEZZNS1_14partition_implILS8_3ELb0ES6_jNS0_17counting_iteratorIjlEEPS9_SE_NS0_5tupleIJPjSE_EEENSF_IJSE_SE_EEES9_SG_JZNS1_25segmented_radix_sort_implINS0_14default_configELb0EPKhPhPKlPlN2at6native12_GLOBAL__N_18offset_tEEE10hipError_tPvRmT1_PNSt15iterator_traitsISY_E10value_typeET2_T3_PNSZ_IS14_E10value_typeET4_jRbjT5_S1A_jjP12ihipStream_tbEUljE_EEESV_SW_SX_S14_S18_S1A_T6_T7_T9_mT8_S1C_bDpT10_ENKUlT_T0_E_clISt17integral_constantIbLb1EES1O_IbLb0EEEEDaS1K_S1L_EUlS1K_E_NS1_11comp_targetILNS1_3genE8ELNS1_11target_archE1030ELNS1_3gpuE2ELNS1_3repE0EEENS1_30default_config_static_selectorELNS0_4arch9wavefront6targetE0EEEvSY_.has_recursion, 0
	.set _ZN7rocprim17ROCPRIM_400000_NS6detail17trampoline_kernelINS0_13select_configILj256ELj13ELNS0_17block_load_methodE3ELS4_3ELS4_3ELNS0_20block_scan_algorithmE0ELj4294967295EEENS1_25partition_config_selectorILNS1_17partition_subalgoE3EjNS0_10empty_typeEbEEZZNS1_14partition_implILS8_3ELb0ES6_jNS0_17counting_iteratorIjlEEPS9_SE_NS0_5tupleIJPjSE_EEENSF_IJSE_SE_EEES9_SG_JZNS1_25segmented_radix_sort_implINS0_14default_configELb0EPKhPhPKlPlN2at6native12_GLOBAL__N_18offset_tEEE10hipError_tPvRmT1_PNSt15iterator_traitsISY_E10value_typeET2_T3_PNSZ_IS14_E10value_typeET4_jRbjT5_S1A_jjP12ihipStream_tbEUljE_EEESV_SW_SX_S14_S18_S1A_T6_T7_T9_mT8_S1C_bDpT10_ENKUlT_T0_E_clISt17integral_constantIbLb1EES1O_IbLb0EEEEDaS1K_S1L_EUlS1K_E_NS1_11comp_targetILNS1_3genE8ELNS1_11target_archE1030ELNS1_3gpuE2ELNS1_3repE0EEENS1_30default_config_static_selectorELNS0_4arch9wavefront6targetE0EEEvSY_.has_indirect_call, 0
	.section	.AMDGPU.csdata,"",@progbits
; Kernel info:
; codeLenInByte = 0
; TotalNumSgprs: 0
; NumVgprs: 0
; ScratchSize: 0
; MemoryBound: 0
; FloatMode: 240
; IeeeMode: 1
; LDSByteSize: 0 bytes/workgroup (compile time only)
; SGPRBlocks: 0
; VGPRBlocks: 0
; NumSGPRsForWavesPerEU: 1
; NumVGPRsForWavesPerEU: 1
; Occupancy: 16
; WaveLimiterHint : 0
; COMPUTE_PGM_RSRC2:SCRATCH_EN: 0
; COMPUTE_PGM_RSRC2:USER_SGPR: 2
; COMPUTE_PGM_RSRC2:TRAP_HANDLER: 0
; COMPUTE_PGM_RSRC2:TGID_X_EN: 1
; COMPUTE_PGM_RSRC2:TGID_Y_EN: 0
; COMPUTE_PGM_RSRC2:TGID_Z_EN: 0
; COMPUTE_PGM_RSRC2:TIDIG_COMP_CNT: 0
	.section	.text._ZN7rocprim17ROCPRIM_400000_NS6detail17trampoline_kernelINS0_13select_configILj256ELj13ELNS0_17block_load_methodE3ELS4_3ELS4_3ELNS0_20block_scan_algorithmE0ELj4294967295EEENS1_25partition_config_selectorILNS1_17partition_subalgoE3EjNS0_10empty_typeEbEEZZNS1_14partition_implILS8_3ELb0ES6_jNS0_17counting_iteratorIjlEEPS9_SE_NS0_5tupleIJPjSE_EEENSF_IJSE_SE_EEES9_SG_JZNS1_25segmented_radix_sort_implINS0_14default_configELb0EPKhPhPKlPlN2at6native12_GLOBAL__N_18offset_tEEE10hipError_tPvRmT1_PNSt15iterator_traitsISY_E10value_typeET2_T3_PNSZ_IS14_E10value_typeET4_jRbjT5_S1A_jjP12ihipStream_tbEUljE_EEESV_SW_SX_S14_S18_S1A_T6_T7_T9_mT8_S1C_bDpT10_ENKUlT_T0_E_clISt17integral_constantIbLb0EES1O_IbLb1EEEEDaS1K_S1L_EUlS1K_E_NS1_11comp_targetILNS1_3genE0ELNS1_11target_archE4294967295ELNS1_3gpuE0ELNS1_3repE0EEENS1_30default_config_static_selectorELNS0_4arch9wavefront6targetE0EEEvSY_,"axG",@progbits,_ZN7rocprim17ROCPRIM_400000_NS6detail17trampoline_kernelINS0_13select_configILj256ELj13ELNS0_17block_load_methodE3ELS4_3ELS4_3ELNS0_20block_scan_algorithmE0ELj4294967295EEENS1_25partition_config_selectorILNS1_17partition_subalgoE3EjNS0_10empty_typeEbEEZZNS1_14partition_implILS8_3ELb0ES6_jNS0_17counting_iteratorIjlEEPS9_SE_NS0_5tupleIJPjSE_EEENSF_IJSE_SE_EEES9_SG_JZNS1_25segmented_radix_sort_implINS0_14default_configELb0EPKhPhPKlPlN2at6native12_GLOBAL__N_18offset_tEEE10hipError_tPvRmT1_PNSt15iterator_traitsISY_E10value_typeET2_T3_PNSZ_IS14_E10value_typeET4_jRbjT5_S1A_jjP12ihipStream_tbEUljE_EEESV_SW_SX_S14_S18_S1A_T6_T7_T9_mT8_S1C_bDpT10_ENKUlT_T0_E_clISt17integral_constantIbLb0EES1O_IbLb1EEEEDaS1K_S1L_EUlS1K_E_NS1_11comp_targetILNS1_3genE0ELNS1_11target_archE4294967295ELNS1_3gpuE0ELNS1_3repE0EEENS1_30default_config_static_selectorELNS0_4arch9wavefront6targetE0EEEvSY_,comdat
	.globl	_ZN7rocprim17ROCPRIM_400000_NS6detail17trampoline_kernelINS0_13select_configILj256ELj13ELNS0_17block_load_methodE3ELS4_3ELS4_3ELNS0_20block_scan_algorithmE0ELj4294967295EEENS1_25partition_config_selectorILNS1_17partition_subalgoE3EjNS0_10empty_typeEbEEZZNS1_14partition_implILS8_3ELb0ES6_jNS0_17counting_iteratorIjlEEPS9_SE_NS0_5tupleIJPjSE_EEENSF_IJSE_SE_EEES9_SG_JZNS1_25segmented_radix_sort_implINS0_14default_configELb0EPKhPhPKlPlN2at6native12_GLOBAL__N_18offset_tEEE10hipError_tPvRmT1_PNSt15iterator_traitsISY_E10value_typeET2_T3_PNSZ_IS14_E10value_typeET4_jRbjT5_S1A_jjP12ihipStream_tbEUljE_EEESV_SW_SX_S14_S18_S1A_T6_T7_T9_mT8_S1C_bDpT10_ENKUlT_T0_E_clISt17integral_constantIbLb0EES1O_IbLb1EEEEDaS1K_S1L_EUlS1K_E_NS1_11comp_targetILNS1_3genE0ELNS1_11target_archE4294967295ELNS1_3gpuE0ELNS1_3repE0EEENS1_30default_config_static_selectorELNS0_4arch9wavefront6targetE0EEEvSY_ ; -- Begin function _ZN7rocprim17ROCPRIM_400000_NS6detail17trampoline_kernelINS0_13select_configILj256ELj13ELNS0_17block_load_methodE3ELS4_3ELS4_3ELNS0_20block_scan_algorithmE0ELj4294967295EEENS1_25partition_config_selectorILNS1_17partition_subalgoE3EjNS0_10empty_typeEbEEZZNS1_14partition_implILS8_3ELb0ES6_jNS0_17counting_iteratorIjlEEPS9_SE_NS0_5tupleIJPjSE_EEENSF_IJSE_SE_EEES9_SG_JZNS1_25segmented_radix_sort_implINS0_14default_configELb0EPKhPhPKlPlN2at6native12_GLOBAL__N_18offset_tEEE10hipError_tPvRmT1_PNSt15iterator_traitsISY_E10value_typeET2_T3_PNSZ_IS14_E10value_typeET4_jRbjT5_S1A_jjP12ihipStream_tbEUljE_EEESV_SW_SX_S14_S18_S1A_T6_T7_T9_mT8_S1C_bDpT10_ENKUlT_T0_E_clISt17integral_constantIbLb0EES1O_IbLb1EEEEDaS1K_S1L_EUlS1K_E_NS1_11comp_targetILNS1_3genE0ELNS1_11target_archE4294967295ELNS1_3gpuE0ELNS1_3repE0EEENS1_30default_config_static_selectorELNS0_4arch9wavefront6targetE0EEEvSY_
	.p2align	8
	.type	_ZN7rocprim17ROCPRIM_400000_NS6detail17trampoline_kernelINS0_13select_configILj256ELj13ELNS0_17block_load_methodE3ELS4_3ELS4_3ELNS0_20block_scan_algorithmE0ELj4294967295EEENS1_25partition_config_selectorILNS1_17partition_subalgoE3EjNS0_10empty_typeEbEEZZNS1_14partition_implILS8_3ELb0ES6_jNS0_17counting_iteratorIjlEEPS9_SE_NS0_5tupleIJPjSE_EEENSF_IJSE_SE_EEES9_SG_JZNS1_25segmented_radix_sort_implINS0_14default_configELb0EPKhPhPKlPlN2at6native12_GLOBAL__N_18offset_tEEE10hipError_tPvRmT1_PNSt15iterator_traitsISY_E10value_typeET2_T3_PNSZ_IS14_E10value_typeET4_jRbjT5_S1A_jjP12ihipStream_tbEUljE_EEESV_SW_SX_S14_S18_S1A_T6_T7_T9_mT8_S1C_bDpT10_ENKUlT_T0_E_clISt17integral_constantIbLb0EES1O_IbLb1EEEEDaS1K_S1L_EUlS1K_E_NS1_11comp_targetILNS1_3genE0ELNS1_11target_archE4294967295ELNS1_3gpuE0ELNS1_3repE0EEENS1_30default_config_static_selectorELNS0_4arch9wavefront6targetE0EEEvSY_,@function
_ZN7rocprim17ROCPRIM_400000_NS6detail17trampoline_kernelINS0_13select_configILj256ELj13ELNS0_17block_load_methodE3ELS4_3ELS4_3ELNS0_20block_scan_algorithmE0ELj4294967295EEENS1_25partition_config_selectorILNS1_17partition_subalgoE3EjNS0_10empty_typeEbEEZZNS1_14partition_implILS8_3ELb0ES6_jNS0_17counting_iteratorIjlEEPS9_SE_NS0_5tupleIJPjSE_EEENSF_IJSE_SE_EEES9_SG_JZNS1_25segmented_radix_sort_implINS0_14default_configELb0EPKhPhPKlPlN2at6native12_GLOBAL__N_18offset_tEEE10hipError_tPvRmT1_PNSt15iterator_traitsISY_E10value_typeET2_T3_PNSZ_IS14_E10value_typeET4_jRbjT5_S1A_jjP12ihipStream_tbEUljE_EEESV_SW_SX_S14_S18_S1A_T6_T7_T9_mT8_S1C_bDpT10_ENKUlT_T0_E_clISt17integral_constantIbLb0EES1O_IbLb1EEEEDaS1K_S1L_EUlS1K_E_NS1_11comp_targetILNS1_3genE0ELNS1_11target_archE4294967295ELNS1_3gpuE0ELNS1_3repE0EEENS1_30default_config_static_selectorELNS0_4arch9wavefront6targetE0EEEvSY_: ; @_ZN7rocprim17ROCPRIM_400000_NS6detail17trampoline_kernelINS0_13select_configILj256ELj13ELNS0_17block_load_methodE3ELS4_3ELS4_3ELNS0_20block_scan_algorithmE0ELj4294967295EEENS1_25partition_config_selectorILNS1_17partition_subalgoE3EjNS0_10empty_typeEbEEZZNS1_14partition_implILS8_3ELb0ES6_jNS0_17counting_iteratorIjlEEPS9_SE_NS0_5tupleIJPjSE_EEENSF_IJSE_SE_EEES9_SG_JZNS1_25segmented_radix_sort_implINS0_14default_configELb0EPKhPhPKlPlN2at6native12_GLOBAL__N_18offset_tEEE10hipError_tPvRmT1_PNSt15iterator_traitsISY_E10value_typeET2_T3_PNSZ_IS14_E10value_typeET4_jRbjT5_S1A_jjP12ihipStream_tbEUljE_EEESV_SW_SX_S14_S18_S1A_T6_T7_T9_mT8_S1C_bDpT10_ENKUlT_T0_E_clISt17integral_constantIbLb0EES1O_IbLb1EEEEDaS1K_S1L_EUlS1K_E_NS1_11comp_targetILNS1_3genE0ELNS1_11target_archE4294967295ELNS1_3gpuE0ELNS1_3repE0EEENS1_30default_config_static_selectorELNS0_4arch9wavefront6targetE0EEEvSY_
; %bb.0:
	.section	.rodata,"a",@progbits
	.p2align	6, 0x0
	.amdhsa_kernel _ZN7rocprim17ROCPRIM_400000_NS6detail17trampoline_kernelINS0_13select_configILj256ELj13ELNS0_17block_load_methodE3ELS4_3ELS4_3ELNS0_20block_scan_algorithmE0ELj4294967295EEENS1_25partition_config_selectorILNS1_17partition_subalgoE3EjNS0_10empty_typeEbEEZZNS1_14partition_implILS8_3ELb0ES6_jNS0_17counting_iteratorIjlEEPS9_SE_NS0_5tupleIJPjSE_EEENSF_IJSE_SE_EEES9_SG_JZNS1_25segmented_radix_sort_implINS0_14default_configELb0EPKhPhPKlPlN2at6native12_GLOBAL__N_18offset_tEEE10hipError_tPvRmT1_PNSt15iterator_traitsISY_E10value_typeET2_T3_PNSZ_IS14_E10value_typeET4_jRbjT5_S1A_jjP12ihipStream_tbEUljE_EEESV_SW_SX_S14_S18_S1A_T6_T7_T9_mT8_S1C_bDpT10_ENKUlT_T0_E_clISt17integral_constantIbLb0EES1O_IbLb1EEEEDaS1K_S1L_EUlS1K_E_NS1_11comp_targetILNS1_3genE0ELNS1_11target_archE4294967295ELNS1_3gpuE0ELNS1_3repE0EEENS1_30default_config_static_selectorELNS0_4arch9wavefront6targetE0EEEvSY_
		.amdhsa_group_segment_fixed_size 0
		.amdhsa_private_segment_fixed_size 0
		.amdhsa_kernarg_size 152
		.amdhsa_user_sgpr_count 2
		.amdhsa_user_sgpr_dispatch_ptr 0
		.amdhsa_user_sgpr_queue_ptr 0
		.amdhsa_user_sgpr_kernarg_segment_ptr 1
		.amdhsa_user_sgpr_dispatch_id 0
		.amdhsa_user_sgpr_private_segment_size 0
		.amdhsa_wavefront_size32 1
		.amdhsa_uses_dynamic_stack 0
		.amdhsa_enable_private_segment 0
		.amdhsa_system_sgpr_workgroup_id_x 1
		.amdhsa_system_sgpr_workgroup_id_y 0
		.amdhsa_system_sgpr_workgroup_id_z 0
		.amdhsa_system_sgpr_workgroup_info 0
		.amdhsa_system_vgpr_workitem_id 0
		.amdhsa_next_free_vgpr 1
		.amdhsa_next_free_sgpr 1
		.amdhsa_reserve_vcc 0
		.amdhsa_float_round_mode_32 0
		.amdhsa_float_round_mode_16_64 0
		.amdhsa_float_denorm_mode_32 3
		.amdhsa_float_denorm_mode_16_64 3
		.amdhsa_fp16_overflow 0
		.amdhsa_workgroup_processor_mode 1
		.amdhsa_memory_ordered 1
		.amdhsa_forward_progress 1
		.amdhsa_inst_pref_size 0
		.amdhsa_round_robin_scheduling 0
		.amdhsa_exception_fp_ieee_invalid_op 0
		.amdhsa_exception_fp_denorm_src 0
		.amdhsa_exception_fp_ieee_div_zero 0
		.amdhsa_exception_fp_ieee_overflow 0
		.amdhsa_exception_fp_ieee_underflow 0
		.amdhsa_exception_fp_ieee_inexact 0
		.amdhsa_exception_int_div_zero 0
	.end_amdhsa_kernel
	.section	.text._ZN7rocprim17ROCPRIM_400000_NS6detail17trampoline_kernelINS0_13select_configILj256ELj13ELNS0_17block_load_methodE3ELS4_3ELS4_3ELNS0_20block_scan_algorithmE0ELj4294967295EEENS1_25partition_config_selectorILNS1_17partition_subalgoE3EjNS0_10empty_typeEbEEZZNS1_14partition_implILS8_3ELb0ES6_jNS0_17counting_iteratorIjlEEPS9_SE_NS0_5tupleIJPjSE_EEENSF_IJSE_SE_EEES9_SG_JZNS1_25segmented_radix_sort_implINS0_14default_configELb0EPKhPhPKlPlN2at6native12_GLOBAL__N_18offset_tEEE10hipError_tPvRmT1_PNSt15iterator_traitsISY_E10value_typeET2_T3_PNSZ_IS14_E10value_typeET4_jRbjT5_S1A_jjP12ihipStream_tbEUljE_EEESV_SW_SX_S14_S18_S1A_T6_T7_T9_mT8_S1C_bDpT10_ENKUlT_T0_E_clISt17integral_constantIbLb0EES1O_IbLb1EEEEDaS1K_S1L_EUlS1K_E_NS1_11comp_targetILNS1_3genE0ELNS1_11target_archE4294967295ELNS1_3gpuE0ELNS1_3repE0EEENS1_30default_config_static_selectorELNS0_4arch9wavefront6targetE0EEEvSY_,"axG",@progbits,_ZN7rocprim17ROCPRIM_400000_NS6detail17trampoline_kernelINS0_13select_configILj256ELj13ELNS0_17block_load_methodE3ELS4_3ELS4_3ELNS0_20block_scan_algorithmE0ELj4294967295EEENS1_25partition_config_selectorILNS1_17partition_subalgoE3EjNS0_10empty_typeEbEEZZNS1_14partition_implILS8_3ELb0ES6_jNS0_17counting_iteratorIjlEEPS9_SE_NS0_5tupleIJPjSE_EEENSF_IJSE_SE_EEES9_SG_JZNS1_25segmented_radix_sort_implINS0_14default_configELb0EPKhPhPKlPlN2at6native12_GLOBAL__N_18offset_tEEE10hipError_tPvRmT1_PNSt15iterator_traitsISY_E10value_typeET2_T3_PNSZ_IS14_E10value_typeET4_jRbjT5_S1A_jjP12ihipStream_tbEUljE_EEESV_SW_SX_S14_S18_S1A_T6_T7_T9_mT8_S1C_bDpT10_ENKUlT_T0_E_clISt17integral_constantIbLb0EES1O_IbLb1EEEEDaS1K_S1L_EUlS1K_E_NS1_11comp_targetILNS1_3genE0ELNS1_11target_archE4294967295ELNS1_3gpuE0ELNS1_3repE0EEENS1_30default_config_static_selectorELNS0_4arch9wavefront6targetE0EEEvSY_,comdat
.Lfunc_end178:
	.size	_ZN7rocprim17ROCPRIM_400000_NS6detail17trampoline_kernelINS0_13select_configILj256ELj13ELNS0_17block_load_methodE3ELS4_3ELS4_3ELNS0_20block_scan_algorithmE0ELj4294967295EEENS1_25partition_config_selectorILNS1_17partition_subalgoE3EjNS0_10empty_typeEbEEZZNS1_14partition_implILS8_3ELb0ES6_jNS0_17counting_iteratorIjlEEPS9_SE_NS0_5tupleIJPjSE_EEENSF_IJSE_SE_EEES9_SG_JZNS1_25segmented_radix_sort_implINS0_14default_configELb0EPKhPhPKlPlN2at6native12_GLOBAL__N_18offset_tEEE10hipError_tPvRmT1_PNSt15iterator_traitsISY_E10value_typeET2_T3_PNSZ_IS14_E10value_typeET4_jRbjT5_S1A_jjP12ihipStream_tbEUljE_EEESV_SW_SX_S14_S18_S1A_T6_T7_T9_mT8_S1C_bDpT10_ENKUlT_T0_E_clISt17integral_constantIbLb0EES1O_IbLb1EEEEDaS1K_S1L_EUlS1K_E_NS1_11comp_targetILNS1_3genE0ELNS1_11target_archE4294967295ELNS1_3gpuE0ELNS1_3repE0EEENS1_30default_config_static_selectorELNS0_4arch9wavefront6targetE0EEEvSY_, .Lfunc_end178-_ZN7rocprim17ROCPRIM_400000_NS6detail17trampoline_kernelINS0_13select_configILj256ELj13ELNS0_17block_load_methodE3ELS4_3ELS4_3ELNS0_20block_scan_algorithmE0ELj4294967295EEENS1_25partition_config_selectorILNS1_17partition_subalgoE3EjNS0_10empty_typeEbEEZZNS1_14partition_implILS8_3ELb0ES6_jNS0_17counting_iteratorIjlEEPS9_SE_NS0_5tupleIJPjSE_EEENSF_IJSE_SE_EEES9_SG_JZNS1_25segmented_radix_sort_implINS0_14default_configELb0EPKhPhPKlPlN2at6native12_GLOBAL__N_18offset_tEEE10hipError_tPvRmT1_PNSt15iterator_traitsISY_E10value_typeET2_T3_PNSZ_IS14_E10value_typeET4_jRbjT5_S1A_jjP12ihipStream_tbEUljE_EEESV_SW_SX_S14_S18_S1A_T6_T7_T9_mT8_S1C_bDpT10_ENKUlT_T0_E_clISt17integral_constantIbLb0EES1O_IbLb1EEEEDaS1K_S1L_EUlS1K_E_NS1_11comp_targetILNS1_3genE0ELNS1_11target_archE4294967295ELNS1_3gpuE0ELNS1_3repE0EEENS1_30default_config_static_selectorELNS0_4arch9wavefront6targetE0EEEvSY_
                                        ; -- End function
	.set _ZN7rocprim17ROCPRIM_400000_NS6detail17trampoline_kernelINS0_13select_configILj256ELj13ELNS0_17block_load_methodE3ELS4_3ELS4_3ELNS0_20block_scan_algorithmE0ELj4294967295EEENS1_25partition_config_selectorILNS1_17partition_subalgoE3EjNS0_10empty_typeEbEEZZNS1_14partition_implILS8_3ELb0ES6_jNS0_17counting_iteratorIjlEEPS9_SE_NS0_5tupleIJPjSE_EEENSF_IJSE_SE_EEES9_SG_JZNS1_25segmented_radix_sort_implINS0_14default_configELb0EPKhPhPKlPlN2at6native12_GLOBAL__N_18offset_tEEE10hipError_tPvRmT1_PNSt15iterator_traitsISY_E10value_typeET2_T3_PNSZ_IS14_E10value_typeET4_jRbjT5_S1A_jjP12ihipStream_tbEUljE_EEESV_SW_SX_S14_S18_S1A_T6_T7_T9_mT8_S1C_bDpT10_ENKUlT_T0_E_clISt17integral_constantIbLb0EES1O_IbLb1EEEEDaS1K_S1L_EUlS1K_E_NS1_11comp_targetILNS1_3genE0ELNS1_11target_archE4294967295ELNS1_3gpuE0ELNS1_3repE0EEENS1_30default_config_static_selectorELNS0_4arch9wavefront6targetE0EEEvSY_.num_vgpr, 0
	.set _ZN7rocprim17ROCPRIM_400000_NS6detail17trampoline_kernelINS0_13select_configILj256ELj13ELNS0_17block_load_methodE3ELS4_3ELS4_3ELNS0_20block_scan_algorithmE0ELj4294967295EEENS1_25partition_config_selectorILNS1_17partition_subalgoE3EjNS0_10empty_typeEbEEZZNS1_14partition_implILS8_3ELb0ES6_jNS0_17counting_iteratorIjlEEPS9_SE_NS0_5tupleIJPjSE_EEENSF_IJSE_SE_EEES9_SG_JZNS1_25segmented_radix_sort_implINS0_14default_configELb0EPKhPhPKlPlN2at6native12_GLOBAL__N_18offset_tEEE10hipError_tPvRmT1_PNSt15iterator_traitsISY_E10value_typeET2_T3_PNSZ_IS14_E10value_typeET4_jRbjT5_S1A_jjP12ihipStream_tbEUljE_EEESV_SW_SX_S14_S18_S1A_T6_T7_T9_mT8_S1C_bDpT10_ENKUlT_T0_E_clISt17integral_constantIbLb0EES1O_IbLb1EEEEDaS1K_S1L_EUlS1K_E_NS1_11comp_targetILNS1_3genE0ELNS1_11target_archE4294967295ELNS1_3gpuE0ELNS1_3repE0EEENS1_30default_config_static_selectorELNS0_4arch9wavefront6targetE0EEEvSY_.num_agpr, 0
	.set _ZN7rocprim17ROCPRIM_400000_NS6detail17trampoline_kernelINS0_13select_configILj256ELj13ELNS0_17block_load_methodE3ELS4_3ELS4_3ELNS0_20block_scan_algorithmE0ELj4294967295EEENS1_25partition_config_selectorILNS1_17partition_subalgoE3EjNS0_10empty_typeEbEEZZNS1_14partition_implILS8_3ELb0ES6_jNS0_17counting_iteratorIjlEEPS9_SE_NS0_5tupleIJPjSE_EEENSF_IJSE_SE_EEES9_SG_JZNS1_25segmented_radix_sort_implINS0_14default_configELb0EPKhPhPKlPlN2at6native12_GLOBAL__N_18offset_tEEE10hipError_tPvRmT1_PNSt15iterator_traitsISY_E10value_typeET2_T3_PNSZ_IS14_E10value_typeET4_jRbjT5_S1A_jjP12ihipStream_tbEUljE_EEESV_SW_SX_S14_S18_S1A_T6_T7_T9_mT8_S1C_bDpT10_ENKUlT_T0_E_clISt17integral_constantIbLb0EES1O_IbLb1EEEEDaS1K_S1L_EUlS1K_E_NS1_11comp_targetILNS1_3genE0ELNS1_11target_archE4294967295ELNS1_3gpuE0ELNS1_3repE0EEENS1_30default_config_static_selectorELNS0_4arch9wavefront6targetE0EEEvSY_.numbered_sgpr, 0
	.set _ZN7rocprim17ROCPRIM_400000_NS6detail17trampoline_kernelINS0_13select_configILj256ELj13ELNS0_17block_load_methodE3ELS4_3ELS4_3ELNS0_20block_scan_algorithmE0ELj4294967295EEENS1_25partition_config_selectorILNS1_17partition_subalgoE3EjNS0_10empty_typeEbEEZZNS1_14partition_implILS8_3ELb0ES6_jNS0_17counting_iteratorIjlEEPS9_SE_NS0_5tupleIJPjSE_EEENSF_IJSE_SE_EEES9_SG_JZNS1_25segmented_radix_sort_implINS0_14default_configELb0EPKhPhPKlPlN2at6native12_GLOBAL__N_18offset_tEEE10hipError_tPvRmT1_PNSt15iterator_traitsISY_E10value_typeET2_T3_PNSZ_IS14_E10value_typeET4_jRbjT5_S1A_jjP12ihipStream_tbEUljE_EEESV_SW_SX_S14_S18_S1A_T6_T7_T9_mT8_S1C_bDpT10_ENKUlT_T0_E_clISt17integral_constantIbLb0EES1O_IbLb1EEEEDaS1K_S1L_EUlS1K_E_NS1_11comp_targetILNS1_3genE0ELNS1_11target_archE4294967295ELNS1_3gpuE0ELNS1_3repE0EEENS1_30default_config_static_selectorELNS0_4arch9wavefront6targetE0EEEvSY_.num_named_barrier, 0
	.set _ZN7rocprim17ROCPRIM_400000_NS6detail17trampoline_kernelINS0_13select_configILj256ELj13ELNS0_17block_load_methodE3ELS4_3ELS4_3ELNS0_20block_scan_algorithmE0ELj4294967295EEENS1_25partition_config_selectorILNS1_17partition_subalgoE3EjNS0_10empty_typeEbEEZZNS1_14partition_implILS8_3ELb0ES6_jNS0_17counting_iteratorIjlEEPS9_SE_NS0_5tupleIJPjSE_EEENSF_IJSE_SE_EEES9_SG_JZNS1_25segmented_radix_sort_implINS0_14default_configELb0EPKhPhPKlPlN2at6native12_GLOBAL__N_18offset_tEEE10hipError_tPvRmT1_PNSt15iterator_traitsISY_E10value_typeET2_T3_PNSZ_IS14_E10value_typeET4_jRbjT5_S1A_jjP12ihipStream_tbEUljE_EEESV_SW_SX_S14_S18_S1A_T6_T7_T9_mT8_S1C_bDpT10_ENKUlT_T0_E_clISt17integral_constantIbLb0EES1O_IbLb1EEEEDaS1K_S1L_EUlS1K_E_NS1_11comp_targetILNS1_3genE0ELNS1_11target_archE4294967295ELNS1_3gpuE0ELNS1_3repE0EEENS1_30default_config_static_selectorELNS0_4arch9wavefront6targetE0EEEvSY_.private_seg_size, 0
	.set _ZN7rocprim17ROCPRIM_400000_NS6detail17trampoline_kernelINS0_13select_configILj256ELj13ELNS0_17block_load_methodE3ELS4_3ELS4_3ELNS0_20block_scan_algorithmE0ELj4294967295EEENS1_25partition_config_selectorILNS1_17partition_subalgoE3EjNS0_10empty_typeEbEEZZNS1_14partition_implILS8_3ELb0ES6_jNS0_17counting_iteratorIjlEEPS9_SE_NS0_5tupleIJPjSE_EEENSF_IJSE_SE_EEES9_SG_JZNS1_25segmented_radix_sort_implINS0_14default_configELb0EPKhPhPKlPlN2at6native12_GLOBAL__N_18offset_tEEE10hipError_tPvRmT1_PNSt15iterator_traitsISY_E10value_typeET2_T3_PNSZ_IS14_E10value_typeET4_jRbjT5_S1A_jjP12ihipStream_tbEUljE_EEESV_SW_SX_S14_S18_S1A_T6_T7_T9_mT8_S1C_bDpT10_ENKUlT_T0_E_clISt17integral_constantIbLb0EES1O_IbLb1EEEEDaS1K_S1L_EUlS1K_E_NS1_11comp_targetILNS1_3genE0ELNS1_11target_archE4294967295ELNS1_3gpuE0ELNS1_3repE0EEENS1_30default_config_static_selectorELNS0_4arch9wavefront6targetE0EEEvSY_.uses_vcc, 0
	.set _ZN7rocprim17ROCPRIM_400000_NS6detail17trampoline_kernelINS0_13select_configILj256ELj13ELNS0_17block_load_methodE3ELS4_3ELS4_3ELNS0_20block_scan_algorithmE0ELj4294967295EEENS1_25partition_config_selectorILNS1_17partition_subalgoE3EjNS0_10empty_typeEbEEZZNS1_14partition_implILS8_3ELb0ES6_jNS0_17counting_iteratorIjlEEPS9_SE_NS0_5tupleIJPjSE_EEENSF_IJSE_SE_EEES9_SG_JZNS1_25segmented_radix_sort_implINS0_14default_configELb0EPKhPhPKlPlN2at6native12_GLOBAL__N_18offset_tEEE10hipError_tPvRmT1_PNSt15iterator_traitsISY_E10value_typeET2_T3_PNSZ_IS14_E10value_typeET4_jRbjT5_S1A_jjP12ihipStream_tbEUljE_EEESV_SW_SX_S14_S18_S1A_T6_T7_T9_mT8_S1C_bDpT10_ENKUlT_T0_E_clISt17integral_constantIbLb0EES1O_IbLb1EEEEDaS1K_S1L_EUlS1K_E_NS1_11comp_targetILNS1_3genE0ELNS1_11target_archE4294967295ELNS1_3gpuE0ELNS1_3repE0EEENS1_30default_config_static_selectorELNS0_4arch9wavefront6targetE0EEEvSY_.uses_flat_scratch, 0
	.set _ZN7rocprim17ROCPRIM_400000_NS6detail17trampoline_kernelINS0_13select_configILj256ELj13ELNS0_17block_load_methodE3ELS4_3ELS4_3ELNS0_20block_scan_algorithmE0ELj4294967295EEENS1_25partition_config_selectorILNS1_17partition_subalgoE3EjNS0_10empty_typeEbEEZZNS1_14partition_implILS8_3ELb0ES6_jNS0_17counting_iteratorIjlEEPS9_SE_NS0_5tupleIJPjSE_EEENSF_IJSE_SE_EEES9_SG_JZNS1_25segmented_radix_sort_implINS0_14default_configELb0EPKhPhPKlPlN2at6native12_GLOBAL__N_18offset_tEEE10hipError_tPvRmT1_PNSt15iterator_traitsISY_E10value_typeET2_T3_PNSZ_IS14_E10value_typeET4_jRbjT5_S1A_jjP12ihipStream_tbEUljE_EEESV_SW_SX_S14_S18_S1A_T6_T7_T9_mT8_S1C_bDpT10_ENKUlT_T0_E_clISt17integral_constantIbLb0EES1O_IbLb1EEEEDaS1K_S1L_EUlS1K_E_NS1_11comp_targetILNS1_3genE0ELNS1_11target_archE4294967295ELNS1_3gpuE0ELNS1_3repE0EEENS1_30default_config_static_selectorELNS0_4arch9wavefront6targetE0EEEvSY_.has_dyn_sized_stack, 0
	.set _ZN7rocprim17ROCPRIM_400000_NS6detail17trampoline_kernelINS0_13select_configILj256ELj13ELNS0_17block_load_methodE3ELS4_3ELS4_3ELNS0_20block_scan_algorithmE0ELj4294967295EEENS1_25partition_config_selectorILNS1_17partition_subalgoE3EjNS0_10empty_typeEbEEZZNS1_14partition_implILS8_3ELb0ES6_jNS0_17counting_iteratorIjlEEPS9_SE_NS0_5tupleIJPjSE_EEENSF_IJSE_SE_EEES9_SG_JZNS1_25segmented_radix_sort_implINS0_14default_configELb0EPKhPhPKlPlN2at6native12_GLOBAL__N_18offset_tEEE10hipError_tPvRmT1_PNSt15iterator_traitsISY_E10value_typeET2_T3_PNSZ_IS14_E10value_typeET4_jRbjT5_S1A_jjP12ihipStream_tbEUljE_EEESV_SW_SX_S14_S18_S1A_T6_T7_T9_mT8_S1C_bDpT10_ENKUlT_T0_E_clISt17integral_constantIbLb0EES1O_IbLb1EEEEDaS1K_S1L_EUlS1K_E_NS1_11comp_targetILNS1_3genE0ELNS1_11target_archE4294967295ELNS1_3gpuE0ELNS1_3repE0EEENS1_30default_config_static_selectorELNS0_4arch9wavefront6targetE0EEEvSY_.has_recursion, 0
	.set _ZN7rocprim17ROCPRIM_400000_NS6detail17trampoline_kernelINS0_13select_configILj256ELj13ELNS0_17block_load_methodE3ELS4_3ELS4_3ELNS0_20block_scan_algorithmE0ELj4294967295EEENS1_25partition_config_selectorILNS1_17partition_subalgoE3EjNS0_10empty_typeEbEEZZNS1_14partition_implILS8_3ELb0ES6_jNS0_17counting_iteratorIjlEEPS9_SE_NS0_5tupleIJPjSE_EEENSF_IJSE_SE_EEES9_SG_JZNS1_25segmented_radix_sort_implINS0_14default_configELb0EPKhPhPKlPlN2at6native12_GLOBAL__N_18offset_tEEE10hipError_tPvRmT1_PNSt15iterator_traitsISY_E10value_typeET2_T3_PNSZ_IS14_E10value_typeET4_jRbjT5_S1A_jjP12ihipStream_tbEUljE_EEESV_SW_SX_S14_S18_S1A_T6_T7_T9_mT8_S1C_bDpT10_ENKUlT_T0_E_clISt17integral_constantIbLb0EES1O_IbLb1EEEEDaS1K_S1L_EUlS1K_E_NS1_11comp_targetILNS1_3genE0ELNS1_11target_archE4294967295ELNS1_3gpuE0ELNS1_3repE0EEENS1_30default_config_static_selectorELNS0_4arch9wavefront6targetE0EEEvSY_.has_indirect_call, 0
	.section	.AMDGPU.csdata,"",@progbits
; Kernel info:
; codeLenInByte = 0
; TotalNumSgprs: 0
; NumVgprs: 0
; ScratchSize: 0
; MemoryBound: 0
; FloatMode: 240
; IeeeMode: 1
; LDSByteSize: 0 bytes/workgroup (compile time only)
; SGPRBlocks: 0
; VGPRBlocks: 0
; NumSGPRsForWavesPerEU: 1
; NumVGPRsForWavesPerEU: 1
; Occupancy: 16
; WaveLimiterHint : 0
; COMPUTE_PGM_RSRC2:SCRATCH_EN: 0
; COMPUTE_PGM_RSRC2:USER_SGPR: 2
; COMPUTE_PGM_RSRC2:TRAP_HANDLER: 0
; COMPUTE_PGM_RSRC2:TGID_X_EN: 1
; COMPUTE_PGM_RSRC2:TGID_Y_EN: 0
; COMPUTE_PGM_RSRC2:TGID_Z_EN: 0
; COMPUTE_PGM_RSRC2:TIDIG_COMP_CNT: 0
	.section	.text._ZN7rocprim17ROCPRIM_400000_NS6detail17trampoline_kernelINS0_13select_configILj256ELj13ELNS0_17block_load_methodE3ELS4_3ELS4_3ELNS0_20block_scan_algorithmE0ELj4294967295EEENS1_25partition_config_selectorILNS1_17partition_subalgoE3EjNS0_10empty_typeEbEEZZNS1_14partition_implILS8_3ELb0ES6_jNS0_17counting_iteratorIjlEEPS9_SE_NS0_5tupleIJPjSE_EEENSF_IJSE_SE_EEES9_SG_JZNS1_25segmented_radix_sort_implINS0_14default_configELb0EPKhPhPKlPlN2at6native12_GLOBAL__N_18offset_tEEE10hipError_tPvRmT1_PNSt15iterator_traitsISY_E10value_typeET2_T3_PNSZ_IS14_E10value_typeET4_jRbjT5_S1A_jjP12ihipStream_tbEUljE_EEESV_SW_SX_S14_S18_S1A_T6_T7_T9_mT8_S1C_bDpT10_ENKUlT_T0_E_clISt17integral_constantIbLb0EES1O_IbLb1EEEEDaS1K_S1L_EUlS1K_E_NS1_11comp_targetILNS1_3genE5ELNS1_11target_archE942ELNS1_3gpuE9ELNS1_3repE0EEENS1_30default_config_static_selectorELNS0_4arch9wavefront6targetE0EEEvSY_,"axG",@progbits,_ZN7rocprim17ROCPRIM_400000_NS6detail17trampoline_kernelINS0_13select_configILj256ELj13ELNS0_17block_load_methodE3ELS4_3ELS4_3ELNS0_20block_scan_algorithmE0ELj4294967295EEENS1_25partition_config_selectorILNS1_17partition_subalgoE3EjNS0_10empty_typeEbEEZZNS1_14partition_implILS8_3ELb0ES6_jNS0_17counting_iteratorIjlEEPS9_SE_NS0_5tupleIJPjSE_EEENSF_IJSE_SE_EEES9_SG_JZNS1_25segmented_radix_sort_implINS0_14default_configELb0EPKhPhPKlPlN2at6native12_GLOBAL__N_18offset_tEEE10hipError_tPvRmT1_PNSt15iterator_traitsISY_E10value_typeET2_T3_PNSZ_IS14_E10value_typeET4_jRbjT5_S1A_jjP12ihipStream_tbEUljE_EEESV_SW_SX_S14_S18_S1A_T6_T7_T9_mT8_S1C_bDpT10_ENKUlT_T0_E_clISt17integral_constantIbLb0EES1O_IbLb1EEEEDaS1K_S1L_EUlS1K_E_NS1_11comp_targetILNS1_3genE5ELNS1_11target_archE942ELNS1_3gpuE9ELNS1_3repE0EEENS1_30default_config_static_selectorELNS0_4arch9wavefront6targetE0EEEvSY_,comdat
	.globl	_ZN7rocprim17ROCPRIM_400000_NS6detail17trampoline_kernelINS0_13select_configILj256ELj13ELNS0_17block_load_methodE3ELS4_3ELS4_3ELNS0_20block_scan_algorithmE0ELj4294967295EEENS1_25partition_config_selectorILNS1_17partition_subalgoE3EjNS0_10empty_typeEbEEZZNS1_14partition_implILS8_3ELb0ES6_jNS0_17counting_iteratorIjlEEPS9_SE_NS0_5tupleIJPjSE_EEENSF_IJSE_SE_EEES9_SG_JZNS1_25segmented_radix_sort_implINS0_14default_configELb0EPKhPhPKlPlN2at6native12_GLOBAL__N_18offset_tEEE10hipError_tPvRmT1_PNSt15iterator_traitsISY_E10value_typeET2_T3_PNSZ_IS14_E10value_typeET4_jRbjT5_S1A_jjP12ihipStream_tbEUljE_EEESV_SW_SX_S14_S18_S1A_T6_T7_T9_mT8_S1C_bDpT10_ENKUlT_T0_E_clISt17integral_constantIbLb0EES1O_IbLb1EEEEDaS1K_S1L_EUlS1K_E_NS1_11comp_targetILNS1_3genE5ELNS1_11target_archE942ELNS1_3gpuE9ELNS1_3repE0EEENS1_30default_config_static_selectorELNS0_4arch9wavefront6targetE0EEEvSY_ ; -- Begin function _ZN7rocprim17ROCPRIM_400000_NS6detail17trampoline_kernelINS0_13select_configILj256ELj13ELNS0_17block_load_methodE3ELS4_3ELS4_3ELNS0_20block_scan_algorithmE0ELj4294967295EEENS1_25partition_config_selectorILNS1_17partition_subalgoE3EjNS0_10empty_typeEbEEZZNS1_14partition_implILS8_3ELb0ES6_jNS0_17counting_iteratorIjlEEPS9_SE_NS0_5tupleIJPjSE_EEENSF_IJSE_SE_EEES9_SG_JZNS1_25segmented_radix_sort_implINS0_14default_configELb0EPKhPhPKlPlN2at6native12_GLOBAL__N_18offset_tEEE10hipError_tPvRmT1_PNSt15iterator_traitsISY_E10value_typeET2_T3_PNSZ_IS14_E10value_typeET4_jRbjT5_S1A_jjP12ihipStream_tbEUljE_EEESV_SW_SX_S14_S18_S1A_T6_T7_T9_mT8_S1C_bDpT10_ENKUlT_T0_E_clISt17integral_constantIbLb0EES1O_IbLb1EEEEDaS1K_S1L_EUlS1K_E_NS1_11comp_targetILNS1_3genE5ELNS1_11target_archE942ELNS1_3gpuE9ELNS1_3repE0EEENS1_30default_config_static_selectorELNS0_4arch9wavefront6targetE0EEEvSY_
	.p2align	8
	.type	_ZN7rocprim17ROCPRIM_400000_NS6detail17trampoline_kernelINS0_13select_configILj256ELj13ELNS0_17block_load_methodE3ELS4_3ELS4_3ELNS0_20block_scan_algorithmE0ELj4294967295EEENS1_25partition_config_selectorILNS1_17partition_subalgoE3EjNS0_10empty_typeEbEEZZNS1_14partition_implILS8_3ELb0ES6_jNS0_17counting_iteratorIjlEEPS9_SE_NS0_5tupleIJPjSE_EEENSF_IJSE_SE_EEES9_SG_JZNS1_25segmented_radix_sort_implINS0_14default_configELb0EPKhPhPKlPlN2at6native12_GLOBAL__N_18offset_tEEE10hipError_tPvRmT1_PNSt15iterator_traitsISY_E10value_typeET2_T3_PNSZ_IS14_E10value_typeET4_jRbjT5_S1A_jjP12ihipStream_tbEUljE_EEESV_SW_SX_S14_S18_S1A_T6_T7_T9_mT8_S1C_bDpT10_ENKUlT_T0_E_clISt17integral_constantIbLb0EES1O_IbLb1EEEEDaS1K_S1L_EUlS1K_E_NS1_11comp_targetILNS1_3genE5ELNS1_11target_archE942ELNS1_3gpuE9ELNS1_3repE0EEENS1_30default_config_static_selectorELNS0_4arch9wavefront6targetE0EEEvSY_,@function
_ZN7rocprim17ROCPRIM_400000_NS6detail17trampoline_kernelINS0_13select_configILj256ELj13ELNS0_17block_load_methodE3ELS4_3ELS4_3ELNS0_20block_scan_algorithmE0ELj4294967295EEENS1_25partition_config_selectorILNS1_17partition_subalgoE3EjNS0_10empty_typeEbEEZZNS1_14partition_implILS8_3ELb0ES6_jNS0_17counting_iteratorIjlEEPS9_SE_NS0_5tupleIJPjSE_EEENSF_IJSE_SE_EEES9_SG_JZNS1_25segmented_radix_sort_implINS0_14default_configELb0EPKhPhPKlPlN2at6native12_GLOBAL__N_18offset_tEEE10hipError_tPvRmT1_PNSt15iterator_traitsISY_E10value_typeET2_T3_PNSZ_IS14_E10value_typeET4_jRbjT5_S1A_jjP12ihipStream_tbEUljE_EEESV_SW_SX_S14_S18_S1A_T6_T7_T9_mT8_S1C_bDpT10_ENKUlT_T0_E_clISt17integral_constantIbLb0EES1O_IbLb1EEEEDaS1K_S1L_EUlS1K_E_NS1_11comp_targetILNS1_3genE5ELNS1_11target_archE942ELNS1_3gpuE9ELNS1_3repE0EEENS1_30default_config_static_selectorELNS0_4arch9wavefront6targetE0EEEvSY_: ; @_ZN7rocprim17ROCPRIM_400000_NS6detail17trampoline_kernelINS0_13select_configILj256ELj13ELNS0_17block_load_methodE3ELS4_3ELS4_3ELNS0_20block_scan_algorithmE0ELj4294967295EEENS1_25partition_config_selectorILNS1_17partition_subalgoE3EjNS0_10empty_typeEbEEZZNS1_14partition_implILS8_3ELb0ES6_jNS0_17counting_iteratorIjlEEPS9_SE_NS0_5tupleIJPjSE_EEENSF_IJSE_SE_EEES9_SG_JZNS1_25segmented_radix_sort_implINS0_14default_configELb0EPKhPhPKlPlN2at6native12_GLOBAL__N_18offset_tEEE10hipError_tPvRmT1_PNSt15iterator_traitsISY_E10value_typeET2_T3_PNSZ_IS14_E10value_typeET4_jRbjT5_S1A_jjP12ihipStream_tbEUljE_EEESV_SW_SX_S14_S18_S1A_T6_T7_T9_mT8_S1C_bDpT10_ENKUlT_T0_E_clISt17integral_constantIbLb0EES1O_IbLb1EEEEDaS1K_S1L_EUlS1K_E_NS1_11comp_targetILNS1_3genE5ELNS1_11target_archE942ELNS1_3gpuE9ELNS1_3repE0EEENS1_30default_config_static_selectorELNS0_4arch9wavefront6targetE0EEEvSY_
; %bb.0:
	.section	.rodata,"a",@progbits
	.p2align	6, 0x0
	.amdhsa_kernel _ZN7rocprim17ROCPRIM_400000_NS6detail17trampoline_kernelINS0_13select_configILj256ELj13ELNS0_17block_load_methodE3ELS4_3ELS4_3ELNS0_20block_scan_algorithmE0ELj4294967295EEENS1_25partition_config_selectorILNS1_17partition_subalgoE3EjNS0_10empty_typeEbEEZZNS1_14partition_implILS8_3ELb0ES6_jNS0_17counting_iteratorIjlEEPS9_SE_NS0_5tupleIJPjSE_EEENSF_IJSE_SE_EEES9_SG_JZNS1_25segmented_radix_sort_implINS0_14default_configELb0EPKhPhPKlPlN2at6native12_GLOBAL__N_18offset_tEEE10hipError_tPvRmT1_PNSt15iterator_traitsISY_E10value_typeET2_T3_PNSZ_IS14_E10value_typeET4_jRbjT5_S1A_jjP12ihipStream_tbEUljE_EEESV_SW_SX_S14_S18_S1A_T6_T7_T9_mT8_S1C_bDpT10_ENKUlT_T0_E_clISt17integral_constantIbLb0EES1O_IbLb1EEEEDaS1K_S1L_EUlS1K_E_NS1_11comp_targetILNS1_3genE5ELNS1_11target_archE942ELNS1_3gpuE9ELNS1_3repE0EEENS1_30default_config_static_selectorELNS0_4arch9wavefront6targetE0EEEvSY_
		.amdhsa_group_segment_fixed_size 0
		.amdhsa_private_segment_fixed_size 0
		.amdhsa_kernarg_size 152
		.amdhsa_user_sgpr_count 2
		.amdhsa_user_sgpr_dispatch_ptr 0
		.amdhsa_user_sgpr_queue_ptr 0
		.amdhsa_user_sgpr_kernarg_segment_ptr 1
		.amdhsa_user_sgpr_dispatch_id 0
		.amdhsa_user_sgpr_private_segment_size 0
		.amdhsa_wavefront_size32 1
		.amdhsa_uses_dynamic_stack 0
		.amdhsa_enable_private_segment 0
		.amdhsa_system_sgpr_workgroup_id_x 1
		.amdhsa_system_sgpr_workgroup_id_y 0
		.amdhsa_system_sgpr_workgroup_id_z 0
		.amdhsa_system_sgpr_workgroup_info 0
		.amdhsa_system_vgpr_workitem_id 0
		.amdhsa_next_free_vgpr 1
		.amdhsa_next_free_sgpr 1
		.amdhsa_reserve_vcc 0
		.amdhsa_float_round_mode_32 0
		.amdhsa_float_round_mode_16_64 0
		.amdhsa_float_denorm_mode_32 3
		.amdhsa_float_denorm_mode_16_64 3
		.amdhsa_fp16_overflow 0
		.amdhsa_workgroup_processor_mode 1
		.amdhsa_memory_ordered 1
		.amdhsa_forward_progress 1
		.amdhsa_inst_pref_size 0
		.amdhsa_round_robin_scheduling 0
		.amdhsa_exception_fp_ieee_invalid_op 0
		.amdhsa_exception_fp_denorm_src 0
		.amdhsa_exception_fp_ieee_div_zero 0
		.amdhsa_exception_fp_ieee_overflow 0
		.amdhsa_exception_fp_ieee_underflow 0
		.amdhsa_exception_fp_ieee_inexact 0
		.amdhsa_exception_int_div_zero 0
	.end_amdhsa_kernel
	.section	.text._ZN7rocprim17ROCPRIM_400000_NS6detail17trampoline_kernelINS0_13select_configILj256ELj13ELNS0_17block_load_methodE3ELS4_3ELS4_3ELNS0_20block_scan_algorithmE0ELj4294967295EEENS1_25partition_config_selectorILNS1_17partition_subalgoE3EjNS0_10empty_typeEbEEZZNS1_14partition_implILS8_3ELb0ES6_jNS0_17counting_iteratorIjlEEPS9_SE_NS0_5tupleIJPjSE_EEENSF_IJSE_SE_EEES9_SG_JZNS1_25segmented_radix_sort_implINS0_14default_configELb0EPKhPhPKlPlN2at6native12_GLOBAL__N_18offset_tEEE10hipError_tPvRmT1_PNSt15iterator_traitsISY_E10value_typeET2_T3_PNSZ_IS14_E10value_typeET4_jRbjT5_S1A_jjP12ihipStream_tbEUljE_EEESV_SW_SX_S14_S18_S1A_T6_T7_T9_mT8_S1C_bDpT10_ENKUlT_T0_E_clISt17integral_constantIbLb0EES1O_IbLb1EEEEDaS1K_S1L_EUlS1K_E_NS1_11comp_targetILNS1_3genE5ELNS1_11target_archE942ELNS1_3gpuE9ELNS1_3repE0EEENS1_30default_config_static_selectorELNS0_4arch9wavefront6targetE0EEEvSY_,"axG",@progbits,_ZN7rocprim17ROCPRIM_400000_NS6detail17trampoline_kernelINS0_13select_configILj256ELj13ELNS0_17block_load_methodE3ELS4_3ELS4_3ELNS0_20block_scan_algorithmE0ELj4294967295EEENS1_25partition_config_selectorILNS1_17partition_subalgoE3EjNS0_10empty_typeEbEEZZNS1_14partition_implILS8_3ELb0ES6_jNS0_17counting_iteratorIjlEEPS9_SE_NS0_5tupleIJPjSE_EEENSF_IJSE_SE_EEES9_SG_JZNS1_25segmented_radix_sort_implINS0_14default_configELb0EPKhPhPKlPlN2at6native12_GLOBAL__N_18offset_tEEE10hipError_tPvRmT1_PNSt15iterator_traitsISY_E10value_typeET2_T3_PNSZ_IS14_E10value_typeET4_jRbjT5_S1A_jjP12ihipStream_tbEUljE_EEESV_SW_SX_S14_S18_S1A_T6_T7_T9_mT8_S1C_bDpT10_ENKUlT_T0_E_clISt17integral_constantIbLb0EES1O_IbLb1EEEEDaS1K_S1L_EUlS1K_E_NS1_11comp_targetILNS1_3genE5ELNS1_11target_archE942ELNS1_3gpuE9ELNS1_3repE0EEENS1_30default_config_static_selectorELNS0_4arch9wavefront6targetE0EEEvSY_,comdat
.Lfunc_end179:
	.size	_ZN7rocprim17ROCPRIM_400000_NS6detail17trampoline_kernelINS0_13select_configILj256ELj13ELNS0_17block_load_methodE3ELS4_3ELS4_3ELNS0_20block_scan_algorithmE0ELj4294967295EEENS1_25partition_config_selectorILNS1_17partition_subalgoE3EjNS0_10empty_typeEbEEZZNS1_14partition_implILS8_3ELb0ES6_jNS0_17counting_iteratorIjlEEPS9_SE_NS0_5tupleIJPjSE_EEENSF_IJSE_SE_EEES9_SG_JZNS1_25segmented_radix_sort_implINS0_14default_configELb0EPKhPhPKlPlN2at6native12_GLOBAL__N_18offset_tEEE10hipError_tPvRmT1_PNSt15iterator_traitsISY_E10value_typeET2_T3_PNSZ_IS14_E10value_typeET4_jRbjT5_S1A_jjP12ihipStream_tbEUljE_EEESV_SW_SX_S14_S18_S1A_T6_T7_T9_mT8_S1C_bDpT10_ENKUlT_T0_E_clISt17integral_constantIbLb0EES1O_IbLb1EEEEDaS1K_S1L_EUlS1K_E_NS1_11comp_targetILNS1_3genE5ELNS1_11target_archE942ELNS1_3gpuE9ELNS1_3repE0EEENS1_30default_config_static_selectorELNS0_4arch9wavefront6targetE0EEEvSY_, .Lfunc_end179-_ZN7rocprim17ROCPRIM_400000_NS6detail17trampoline_kernelINS0_13select_configILj256ELj13ELNS0_17block_load_methodE3ELS4_3ELS4_3ELNS0_20block_scan_algorithmE0ELj4294967295EEENS1_25partition_config_selectorILNS1_17partition_subalgoE3EjNS0_10empty_typeEbEEZZNS1_14partition_implILS8_3ELb0ES6_jNS0_17counting_iteratorIjlEEPS9_SE_NS0_5tupleIJPjSE_EEENSF_IJSE_SE_EEES9_SG_JZNS1_25segmented_radix_sort_implINS0_14default_configELb0EPKhPhPKlPlN2at6native12_GLOBAL__N_18offset_tEEE10hipError_tPvRmT1_PNSt15iterator_traitsISY_E10value_typeET2_T3_PNSZ_IS14_E10value_typeET4_jRbjT5_S1A_jjP12ihipStream_tbEUljE_EEESV_SW_SX_S14_S18_S1A_T6_T7_T9_mT8_S1C_bDpT10_ENKUlT_T0_E_clISt17integral_constantIbLb0EES1O_IbLb1EEEEDaS1K_S1L_EUlS1K_E_NS1_11comp_targetILNS1_3genE5ELNS1_11target_archE942ELNS1_3gpuE9ELNS1_3repE0EEENS1_30default_config_static_selectorELNS0_4arch9wavefront6targetE0EEEvSY_
                                        ; -- End function
	.set _ZN7rocprim17ROCPRIM_400000_NS6detail17trampoline_kernelINS0_13select_configILj256ELj13ELNS0_17block_load_methodE3ELS4_3ELS4_3ELNS0_20block_scan_algorithmE0ELj4294967295EEENS1_25partition_config_selectorILNS1_17partition_subalgoE3EjNS0_10empty_typeEbEEZZNS1_14partition_implILS8_3ELb0ES6_jNS0_17counting_iteratorIjlEEPS9_SE_NS0_5tupleIJPjSE_EEENSF_IJSE_SE_EEES9_SG_JZNS1_25segmented_radix_sort_implINS0_14default_configELb0EPKhPhPKlPlN2at6native12_GLOBAL__N_18offset_tEEE10hipError_tPvRmT1_PNSt15iterator_traitsISY_E10value_typeET2_T3_PNSZ_IS14_E10value_typeET4_jRbjT5_S1A_jjP12ihipStream_tbEUljE_EEESV_SW_SX_S14_S18_S1A_T6_T7_T9_mT8_S1C_bDpT10_ENKUlT_T0_E_clISt17integral_constantIbLb0EES1O_IbLb1EEEEDaS1K_S1L_EUlS1K_E_NS1_11comp_targetILNS1_3genE5ELNS1_11target_archE942ELNS1_3gpuE9ELNS1_3repE0EEENS1_30default_config_static_selectorELNS0_4arch9wavefront6targetE0EEEvSY_.num_vgpr, 0
	.set _ZN7rocprim17ROCPRIM_400000_NS6detail17trampoline_kernelINS0_13select_configILj256ELj13ELNS0_17block_load_methodE3ELS4_3ELS4_3ELNS0_20block_scan_algorithmE0ELj4294967295EEENS1_25partition_config_selectorILNS1_17partition_subalgoE3EjNS0_10empty_typeEbEEZZNS1_14partition_implILS8_3ELb0ES6_jNS0_17counting_iteratorIjlEEPS9_SE_NS0_5tupleIJPjSE_EEENSF_IJSE_SE_EEES9_SG_JZNS1_25segmented_radix_sort_implINS0_14default_configELb0EPKhPhPKlPlN2at6native12_GLOBAL__N_18offset_tEEE10hipError_tPvRmT1_PNSt15iterator_traitsISY_E10value_typeET2_T3_PNSZ_IS14_E10value_typeET4_jRbjT5_S1A_jjP12ihipStream_tbEUljE_EEESV_SW_SX_S14_S18_S1A_T6_T7_T9_mT8_S1C_bDpT10_ENKUlT_T0_E_clISt17integral_constantIbLb0EES1O_IbLb1EEEEDaS1K_S1L_EUlS1K_E_NS1_11comp_targetILNS1_3genE5ELNS1_11target_archE942ELNS1_3gpuE9ELNS1_3repE0EEENS1_30default_config_static_selectorELNS0_4arch9wavefront6targetE0EEEvSY_.num_agpr, 0
	.set _ZN7rocprim17ROCPRIM_400000_NS6detail17trampoline_kernelINS0_13select_configILj256ELj13ELNS0_17block_load_methodE3ELS4_3ELS4_3ELNS0_20block_scan_algorithmE0ELj4294967295EEENS1_25partition_config_selectorILNS1_17partition_subalgoE3EjNS0_10empty_typeEbEEZZNS1_14partition_implILS8_3ELb0ES6_jNS0_17counting_iteratorIjlEEPS9_SE_NS0_5tupleIJPjSE_EEENSF_IJSE_SE_EEES9_SG_JZNS1_25segmented_radix_sort_implINS0_14default_configELb0EPKhPhPKlPlN2at6native12_GLOBAL__N_18offset_tEEE10hipError_tPvRmT1_PNSt15iterator_traitsISY_E10value_typeET2_T3_PNSZ_IS14_E10value_typeET4_jRbjT5_S1A_jjP12ihipStream_tbEUljE_EEESV_SW_SX_S14_S18_S1A_T6_T7_T9_mT8_S1C_bDpT10_ENKUlT_T0_E_clISt17integral_constantIbLb0EES1O_IbLb1EEEEDaS1K_S1L_EUlS1K_E_NS1_11comp_targetILNS1_3genE5ELNS1_11target_archE942ELNS1_3gpuE9ELNS1_3repE0EEENS1_30default_config_static_selectorELNS0_4arch9wavefront6targetE0EEEvSY_.numbered_sgpr, 0
	.set _ZN7rocprim17ROCPRIM_400000_NS6detail17trampoline_kernelINS0_13select_configILj256ELj13ELNS0_17block_load_methodE3ELS4_3ELS4_3ELNS0_20block_scan_algorithmE0ELj4294967295EEENS1_25partition_config_selectorILNS1_17partition_subalgoE3EjNS0_10empty_typeEbEEZZNS1_14partition_implILS8_3ELb0ES6_jNS0_17counting_iteratorIjlEEPS9_SE_NS0_5tupleIJPjSE_EEENSF_IJSE_SE_EEES9_SG_JZNS1_25segmented_radix_sort_implINS0_14default_configELb0EPKhPhPKlPlN2at6native12_GLOBAL__N_18offset_tEEE10hipError_tPvRmT1_PNSt15iterator_traitsISY_E10value_typeET2_T3_PNSZ_IS14_E10value_typeET4_jRbjT5_S1A_jjP12ihipStream_tbEUljE_EEESV_SW_SX_S14_S18_S1A_T6_T7_T9_mT8_S1C_bDpT10_ENKUlT_T0_E_clISt17integral_constantIbLb0EES1O_IbLb1EEEEDaS1K_S1L_EUlS1K_E_NS1_11comp_targetILNS1_3genE5ELNS1_11target_archE942ELNS1_3gpuE9ELNS1_3repE0EEENS1_30default_config_static_selectorELNS0_4arch9wavefront6targetE0EEEvSY_.num_named_barrier, 0
	.set _ZN7rocprim17ROCPRIM_400000_NS6detail17trampoline_kernelINS0_13select_configILj256ELj13ELNS0_17block_load_methodE3ELS4_3ELS4_3ELNS0_20block_scan_algorithmE0ELj4294967295EEENS1_25partition_config_selectorILNS1_17partition_subalgoE3EjNS0_10empty_typeEbEEZZNS1_14partition_implILS8_3ELb0ES6_jNS0_17counting_iteratorIjlEEPS9_SE_NS0_5tupleIJPjSE_EEENSF_IJSE_SE_EEES9_SG_JZNS1_25segmented_radix_sort_implINS0_14default_configELb0EPKhPhPKlPlN2at6native12_GLOBAL__N_18offset_tEEE10hipError_tPvRmT1_PNSt15iterator_traitsISY_E10value_typeET2_T3_PNSZ_IS14_E10value_typeET4_jRbjT5_S1A_jjP12ihipStream_tbEUljE_EEESV_SW_SX_S14_S18_S1A_T6_T7_T9_mT8_S1C_bDpT10_ENKUlT_T0_E_clISt17integral_constantIbLb0EES1O_IbLb1EEEEDaS1K_S1L_EUlS1K_E_NS1_11comp_targetILNS1_3genE5ELNS1_11target_archE942ELNS1_3gpuE9ELNS1_3repE0EEENS1_30default_config_static_selectorELNS0_4arch9wavefront6targetE0EEEvSY_.private_seg_size, 0
	.set _ZN7rocprim17ROCPRIM_400000_NS6detail17trampoline_kernelINS0_13select_configILj256ELj13ELNS0_17block_load_methodE3ELS4_3ELS4_3ELNS0_20block_scan_algorithmE0ELj4294967295EEENS1_25partition_config_selectorILNS1_17partition_subalgoE3EjNS0_10empty_typeEbEEZZNS1_14partition_implILS8_3ELb0ES6_jNS0_17counting_iteratorIjlEEPS9_SE_NS0_5tupleIJPjSE_EEENSF_IJSE_SE_EEES9_SG_JZNS1_25segmented_radix_sort_implINS0_14default_configELb0EPKhPhPKlPlN2at6native12_GLOBAL__N_18offset_tEEE10hipError_tPvRmT1_PNSt15iterator_traitsISY_E10value_typeET2_T3_PNSZ_IS14_E10value_typeET4_jRbjT5_S1A_jjP12ihipStream_tbEUljE_EEESV_SW_SX_S14_S18_S1A_T6_T7_T9_mT8_S1C_bDpT10_ENKUlT_T0_E_clISt17integral_constantIbLb0EES1O_IbLb1EEEEDaS1K_S1L_EUlS1K_E_NS1_11comp_targetILNS1_3genE5ELNS1_11target_archE942ELNS1_3gpuE9ELNS1_3repE0EEENS1_30default_config_static_selectorELNS0_4arch9wavefront6targetE0EEEvSY_.uses_vcc, 0
	.set _ZN7rocprim17ROCPRIM_400000_NS6detail17trampoline_kernelINS0_13select_configILj256ELj13ELNS0_17block_load_methodE3ELS4_3ELS4_3ELNS0_20block_scan_algorithmE0ELj4294967295EEENS1_25partition_config_selectorILNS1_17partition_subalgoE3EjNS0_10empty_typeEbEEZZNS1_14partition_implILS8_3ELb0ES6_jNS0_17counting_iteratorIjlEEPS9_SE_NS0_5tupleIJPjSE_EEENSF_IJSE_SE_EEES9_SG_JZNS1_25segmented_radix_sort_implINS0_14default_configELb0EPKhPhPKlPlN2at6native12_GLOBAL__N_18offset_tEEE10hipError_tPvRmT1_PNSt15iterator_traitsISY_E10value_typeET2_T3_PNSZ_IS14_E10value_typeET4_jRbjT5_S1A_jjP12ihipStream_tbEUljE_EEESV_SW_SX_S14_S18_S1A_T6_T7_T9_mT8_S1C_bDpT10_ENKUlT_T0_E_clISt17integral_constantIbLb0EES1O_IbLb1EEEEDaS1K_S1L_EUlS1K_E_NS1_11comp_targetILNS1_3genE5ELNS1_11target_archE942ELNS1_3gpuE9ELNS1_3repE0EEENS1_30default_config_static_selectorELNS0_4arch9wavefront6targetE0EEEvSY_.uses_flat_scratch, 0
	.set _ZN7rocprim17ROCPRIM_400000_NS6detail17trampoline_kernelINS0_13select_configILj256ELj13ELNS0_17block_load_methodE3ELS4_3ELS4_3ELNS0_20block_scan_algorithmE0ELj4294967295EEENS1_25partition_config_selectorILNS1_17partition_subalgoE3EjNS0_10empty_typeEbEEZZNS1_14partition_implILS8_3ELb0ES6_jNS0_17counting_iteratorIjlEEPS9_SE_NS0_5tupleIJPjSE_EEENSF_IJSE_SE_EEES9_SG_JZNS1_25segmented_radix_sort_implINS0_14default_configELb0EPKhPhPKlPlN2at6native12_GLOBAL__N_18offset_tEEE10hipError_tPvRmT1_PNSt15iterator_traitsISY_E10value_typeET2_T3_PNSZ_IS14_E10value_typeET4_jRbjT5_S1A_jjP12ihipStream_tbEUljE_EEESV_SW_SX_S14_S18_S1A_T6_T7_T9_mT8_S1C_bDpT10_ENKUlT_T0_E_clISt17integral_constantIbLb0EES1O_IbLb1EEEEDaS1K_S1L_EUlS1K_E_NS1_11comp_targetILNS1_3genE5ELNS1_11target_archE942ELNS1_3gpuE9ELNS1_3repE0EEENS1_30default_config_static_selectorELNS0_4arch9wavefront6targetE0EEEvSY_.has_dyn_sized_stack, 0
	.set _ZN7rocprim17ROCPRIM_400000_NS6detail17trampoline_kernelINS0_13select_configILj256ELj13ELNS0_17block_load_methodE3ELS4_3ELS4_3ELNS0_20block_scan_algorithmE0ELj4294967295EEENS1_25partition_config_selectorILNS1_17partition_subalgoE3EjNS0_10empty_typeEbEEZZNS1_14partition_implILS8_3ELb0ES6_jNS0_17counting_iteratorIjlEEPS9_SE_NS0_5tupleIJPjSE_EEENSF_IJSE_SE_EEES9_SG_JZNS1_25segmented_radix_sort_implINS0_14default_configELb0EPKhPhPKlPlN2at6native12_GLOBAL__N_18offset_tEEE10hipError_tPvRmT1_PNSt15iterator_traitsISY_E10value_typeET2_T3_PNSZ_IS14_E10value_typeET4_jRbjT5_S1A_jjP12ihipStream_tbEUljE_EEESV_SW_SX_S14_S18_S1A_T6_T7_T9_mT8_S1C_bDpT10_ENKUlT_T0_E_clISt17integral_constantIbLb0EES1O_IbLb1EEEEDaS1K_S1L_EUlS1K_E_NS1_11comp_targetILNS1_3genE5ELNS1_11target_archE942ELNS1_3gpuE9ELNS1_3repE0EEENS1_30default_config_static_selectorELNS0_4arch9wavefront6targetE0EEEvSY_.has_recursion, 0
	.set _ZN7rocprim17ROCPRIM_400000_NS6detail17trampoline_kernelINS0_13select_configILj256ELj13ELNS0_17block_load_methodE3ELS4_3ELS4_3ELNS0_20block_scan_algorithmE0ELj4294967295EEENS1_25partition_config_selectorILNS1_17partition_subalgoE3EjNS0_10empty_typeEbEEZZNS1_14partition_implILS8_3ELb0ES6_jNS0_17counting_iteratorIjlEEPS9_SE_NS0_5tupleIJPjSE_EEENSF_IJSE_SE_EEES9_SG_JZNS1_25segmented_radix_sort_implINS0_14default_configELb0EPKhPhPKlPlN2at6native12_GLOBAL__N_18offset_tEEE10hipError_tPvRmT1_PNSt15iterator_traitsISY_E10value_typeET2_T3_PNSZ_IS14_E10value_typeET4_jRbjT5_S1A_jjP12ihipStream_tbEUljE_EEESV_SW_SX_S14_S18_S1A_T6_T7_T9_mT8_S1C_bDpT10_ENKUlT_T0_E_clISt17integral_constantIbLb0EES1O_IbLb1EEEEDaS1K_S1L_EUlS1K_E_NS1_11comp_targetILNS1_3genE5ELNS1_11target_archE942ELNS1_3gpuE9ELNS1_3repE0EEENS1_30default_config_static_selectorELNS0_4arch9wavefront6targetE0EEEvSY_.has_indirect_call, 0
	.section	.AMDGPU.csdata,"",@progbits
; Kernel info:
; codeLenInByte = 0
; TotalNumSgprs: 0
; NumVgprs: 0
; ScratchSize: 0
; MemoryBound: 0
; FloatMode: 240
; IeeeMode: 1
; LDSByteSize: 0 bytes/workgroup (compile time only)
; SGPRBlocks: 0
; VGPRBlocks: 0
; NumSGPRsForWavesPerEU: 1
; NumVGPRsForWavesPerEU: 1
; Occupancy: 16
; WaveLimiterHint : 0
; COMPUTE_PGM_RSRC2:SCRATCH_EN: 0
; COMPUTE_PGM_RSRC2:USER_SGPR: 2
; COMPUTE_PGM_RSRC2:TRAP_HANDLER: 0
; COMPUTE_PGM_RSRC2:TGID_X_EN: 1
; COMPUTE_PGM_RSRC2:TGID_Y_EN: 0
; COMPUTE_PGM_RSRC2:TGID_Z_EN: 0
; COMPUTE_PGM_RSRC2:TIDIG_COMP_CNT: 0
	.section	.text._ZN7rocprim17ROCPRIM_400000_NS6detail17trampoline_kernelINS0_13select_configILj256ELj13ELNS0_17block_load_methodE3ELS4_3ELS4_3ELNS0_20block_scan_algorithmE0ELj4294967295EEENS1_25partition_config_selectorILNS1_17partition_subalgoE3EjNS0_10empty_typeEbEEZZNS1_14partition_implILS8_3ELb0ES6_jNS0_17counting_iteratorIjlEEPS9_SE_NS0_5tupleIJPjSE_EEENSF_IJSE_SE_EEES9_SG_JZNS1_25segmented_radix_sort_implINS0_14default_configELb0EPKhPhPKlPlN2at6native12_GLOBAL__N_18offset_tEEE10hipError_tPvRmT1_PNSt15iterator_traitsISY_E10value_typeET2_T3_PNSZ_IS14_E10value_typeET4_jRbjT5_S1A_jjP12ihipStream_tbEUljE_EEESV_SW_SX_S14_S18_S1A_T6_T7_T9_mT8_S1C_bDpT10_ENKUlT_T0_E_clISt17integral_constantIbLb0EES1O_IbLb1EEEEDaS1K_S1L_EUlS1K_E_NS1_11comp_targetILNS1_3genE4ELNS1_11target_archE910ELNS1_3gpuE8ELNS1_3repE0EEENS1_30default_config_static_selectorELNS0_4arch9wavefront6targetE0EEEvSY_,"axG",@progbits,_ZN7rocprim17ROCPRIM_400000_NS6detail17trampoline_kernelINS0_13select_configILj256ELj13ELNS0_17block_load_methodE3ELS4_3ELS4_3ELNS0_20block_scan_algorithmE0ELj4294967295EEENS1_25partition_config_selectorILNS1_17partition_subalgoE3EjNS0_10empty_typeEbEEZZNS1_14partition_implILS8_3ELb0ES6_jNS0_17counting_iteratorIjlEEPS9_SE_NS0_5tupleIJPjSE_EEENSF_IJSE_SE_EEES9_SG_JZNS1_25segmented_radix_sort_implINS0_14default_configELb0EPKhPhPKlPlN2at6native12_GLOBAL__N_18offset_tEEE10hipError_tPvRmT1_PNSt15iterator_traitsISY_E10value_typeET2_T3_PNSZ_IS14_E10value_typeET4_jRbjT5_S1A_jjP12ihipStream_tbEUljE_EEESV_SW_SX_S14_S18_S1A_T6_T7_T9_mT8_S1C_bDpT10_ENKUlT_T0_E_clISt17integral_constantIbLb0EES1O_IbLb1EEEEDaS1K_S1L_EUlS1K_E_NS1_11comp_targetILNS1_3genE4ELNS1_11target_archE910ELNS1_3gpuE8ELNS1_3repE0EEENS1_30default_config_static_selectorELNS0_4arch9wavefront6targetE0EEEvSY_,comdat
	.globl	_ZN7rocprim17ROCPRIM_400000_NS6detail17trampoline_kernelINS0_13select_configILj256ELj13ELNS0_17block_load_methodE3ELS4_3ELS4_3ELNS0_20block_scan_algorithmE0ELj4294967295EEENS1_25partition_config_selectorILNS1_17partition_subalgoE3EjNS0_10empty_typeEbEEZZNS1_14partition_implILS8_3ELb0ES6_jNS0_17counting_iteratorIjlEEPS9_SE_NS0_5tupleIJPjSE_EEENSF_IJSE_SE_EEES9_SG_JZNS1_25segmented_radix_sort_implINS0_14default_configELb0EPKhPhPKlPlN2at6native12_GLOBAL__N_18offset_tEEE10hipError_tPvRmT1_PNSt15iterator_traitsISY_E10value_typeET2_T3_PNSZ_IS14_E10value_typeET4_jRbjT5_S1A_jjP12ihipStream_tbEUljE_EEESV_SW_SX_S14_S18_S1A_T6_T7_T9_mT8_S1C_bDpT10_ENKUlT_T0_E_clISt17integral_constantIbLb0EES1O_IbLb1EEEEDaS1K_S1L_EUlS1K_E_NS1_11comp_targetILNS1_3genE4ELNS1_11target_archE910ELNS1_3gpuE8ELNS1_3repE0EEENS1_30default_config_static_selectorELNS0_4arch9wavefront6targetE0EEEvSY_ ; -- Begin function _ZN7rocprim17ROCPRIM_400000_NS6detail17trampoline_kernelINS0_13select_configILj256ELj13ELNS0_17block_load_methodE3ELS4_3ELS4_3ELNS0_20block_scan_algorithmE0ELj4294967295EEENS1_25partition_config_selectorILNS1_17partition_subalgoE3EjNS0_10empty_typeEbEEZZNS1_14partition_implILS8_3ELb0ES6_jNS0_17counting_iteratorIjlEEPS9_SE_NS0_5tupleIJPjSE_EEENSF_IJSE_SE_EEES9_SG_JZNS1_25segmented_radix_sort_implINS0_14default_configELb0EPKhPhPKlPlN2at6native12_GLOBAL__N_18offset_tEEE10hipError_tPvRmT1_PNSt15iterator_traitsISY_E10value_typeET2_T3_PNSZ_IS14_E10value_typeET4_jRbjT5_S1A_jjP12ihipStream_tbEUljE_EEESV_SW_SX_S14_S18_S1A_T6_T7_T9_mT8_S1C_bDpT10_ENKUlT_T0_E_clISt17integral_constantIbLb0EES1O_IbLb1EEEEDaS1K_S1L_EUlS1K_E_NS1_11comp_targetILNS1_3genE4ELNS1_11target_archE910ELNS1_3gpuE8ELNS1_3repE0EEENS1_30default_config_static_selectorELNS0_4arch9wavefront6targetE0EEEvSY_
	.p2align	8
	.type	_ZN7rocprim17ROCPRIM_400000_NS6detail17trampoline_kernelINS0_13select_configILj256ELj13ELNS0_17block_load_methodE3ELS4_3ELS4_3ELNS0_20block_scan_algorithmE0ELj4294967295EEENS1_25partition_config_selectorILNS1_17partition_subalgoE3EjNS0_10empty_typeEbEEZZNS1_14partition_implILS8_3ELb0ES6_jNS0_17counting_iteratorIjlEEPS9_SE_NS0_5tupleIJPjSE_EEENSF_IJSE_SE_EEES9_SG_JZNS1_25segmented_radix_sort_implINS0_14default_configELb0EPKhPhPKlPlN2at6native12_GLOBAL__N_18offset_tEEE10hipError_tPvRmT1_PNSt15iterator_traitsISY_E10value_typeET2_T3_PNSZ_IS14_E10value_typeET4_jRbjT5_S1A_jjP12ihipStream_tbEUljE_EEESV_SW_SX_S14_S18_S1A_T6_T7_T9_mT8_S1C_bDpT10_ENKUlT_T0_E_clISt17integral_constantIbLb0EES1O_IbLb1EEEEDaS1K_S1L_EUlS1K_E_NS1_11comp_targetILNS1_3genE4ELNS1_11target_archE910ELNS1_3gpuE8ELNS1_3repE0EEENS1_30default_config_static_selectorELNS0_4arch9wavefront6targetE0EEEvSY_,@function
_ZN7rocprim17ROCPRIM_400000_NS6detail17trampoline_kernelINS0_13select_configILj256ELj13ELNS0_17block_load_methodE3ELS4_3ELS4_3ELNS0_20block_scan_algorithmE0ELj4294967295EEENS1_25partition_config_selectorILNS1_17partition_subalgoE3EjNS0_10empty_typeEbEEZZNS1_14partition_implILS8_3ELb0ES6_jNS0_17counting_iteratorIjlEEPS9_SE_NS0_5tupleIJPjSE_EEENSF_IJSE_SE_EEES9_SG_JZNS1_25segmented_radix_sort_implINS0_14default_configELb0EPKhPhPKlPlN2at6native12_GLOBAL__N_18offset_tEEE10hipError_tPvRmT1_PNSt15iterator_traitsISY_E10value_typeET2_T3_PNSZ_IS14_E10value_typeET4_jRbjT5_S1A_jjP12ihipStream_tbEUljE_EEESV_SW_SX_S14_S18_S1A_T6_T7_T9_mT8_S1C_bDpT10_ENKUlT_T0_E_clISt17integral_constantIbLb0EES1O_IbLb1EEEEDaS1K_S1L_EUlS1K_E_NS1_11comp_targetILNS1_3genE4ELNS1_11target_archE910ELNS1_3gpuE8ELNS1_3repE0EEENS1_30default_config_static_selectorELNS0_4arch9wavefront6targetE0EEEvSY_: ; @_ZN7rocprim17ROCPRIM_400000_NS6detail17trampoline_kernelINS0_13select_configILj256ELj13ELNS0_17block_load_methodE3ELS4_3ELS4_3ELNS0_20block_scan_algorithmE0ELj4294967295EEENS1_25partition_config_selectorILNS1_17partition_subalgoE3EjNS0_10empty_typeEbEEZZNS1_14partition_implILS8_3ELb0ES6_jNS0_17counting_iteratorIjlEEPS9_SE_NS0_5tupleIJPjSE_EEENSF_IJSE_SE_EEES9_SG_JZNS1_25segmented_radix_sort_implINS0_14default_configELb0EPKhPhPKlPlN2at6native12_GLOBAL__N_18offset_tEEE10hipError_tPvRmT1_PNSt15iterator_traitsISY_E10value_typeET2_T3_PNSZ_IS14_E10value_typeET4_jRbjT5_S1A_jjP12ihipStream_tbEUljE_EEESV_SW_SX_S14_S18_S1A_T6_T7_T9_mT8_S1C_bDpT10_ENKUlT_T0_E_clISt17integral_constantIbLb0EES1O_IbLb1EEEEDaS1K_S1L_EUlS1K_E_NS1_11comp_targetILNS1_3genE4ELNS1_11target_archE910ELNS1_3gpuE8ELNS1_3repE0EEENS1_30default_config_static_selectorELNS0_4arch9wavefront6targetE0EEEvSY_
; %bb.0:
	.section	.rodata,"a",@progbits
	.p2align	6, 0x0
	.amdhsa_kernel _ZN7rocprim17ROCPRIM_400000_NS6detail17trampoline_kernelINS0_13select_configILj256ELj13ELNS0_17block_load_methodE3ELS4_3ELS4_3ELNS0_20block_scan_algorithmE0ELj4294967295EEENS1_25partition_config_selectorILNS1_17partition_subalgoE3EjNS0_10empty_typeEbEEZZNS1_14partition_implILS8_3ELb0ES6_jNS0_17counting_iteratorIjlEEPS9_SE_NS0_5tupleIJPjSE_EEENSF_IJSE_SE_EEES9_SG_JZNS1_25segmented_radix_sort_implINS0_14default_configELb0EPKhPhPKlPlN2at6native12_GLOBAL__N_18offset_tEEE10hipError_tPvRmT1_PNSt15iterator_traitsISY_E10value_typeET2_T3_PNSZ_IS14_E10value_typeET4_jRbjT5_S1A_jjP12ihipStream_tbEUljE_EEESV_SW_SX_S14_S18_S1A_T6_T7_T9_mT8_S1C_bDpT10_ENKUlT_T0_E_clISt17integral_constantIbLb0EES1O_IbLb1EEEEDaS1K_S1L_EUlS1K_E_NS1_11comp_targetILNS1_3genE4ELNS1_11target_archE910ELNS1_3gpuE8ELNS1_3repE0EEENS1_30default_config_static_selectorELNS0_4arch9wavefront6targetE0EEEvSY_
		.amdhsa_group_segment_fixed_size 0
		.amdhsa_private_segment_fixed_size 0
		.amdhsa_kernarg_size 152
		.amdhsa_user_sgpr_count 2
		.amdhsa_user_sgpr_dispatch_ptr 0
		.amdhsa_user_sgpr_queue_ptr 0
		.amdhsa_user_sgpr_kernarg_segment_ptr 1
		.amdhsa_user_sgpr_dispatch_id 0
		.amdhsa_user_sgpr_private_segment_size 0
		.amdhsa_wavefront_size32 1
		.amdhsa_uses_dynamic_stack 0
		.amdhsa_enable_private_segment 0
		.amdhsa_system_sgpr_workgroup_id_x 1
		.amdhsa_system_sgpr_workgroup_id_y 0
		.amdhsa_system_sgpr_workgroup_id_z 0
		.amdhsa_system_sgpr_workgroup_info 0
		.amdhsa_system_vgpr_workitem_id 0
		.amdhsa_next_free_vgpr 1
		.amdhsa_next_free_sgpr 1
		.amdhsa_reserve_vcc 0
		.amdhsa_float_round_mode_32 0
		.amdhsa_float_round_mode_16_64 0
		.amdhsa_float_denorm_mode_32 3
		.amdhsa_float_denorm_mode_16_64 3
		.amdhsa_fp16_overflow 0
		.amdhsa_workgroup_processor_mode 1
		.amdhsa_memory_ordered 1
		.amdhsa_forward_progress 1
		.amdhsa_inst_pref_size 0
		.amdhsa_round_robin_scheduling 0
		.amdhsa_exception_fp_ieee_invalid_op 0
		.amdhsa_exception_fp_denorm_src 0
		.amdhsa_exception_fp_ieee_div_zero 0
		.amdhsa_exception_fp_ieee_overflow 0
		.amdhsa_exception_fp_ieee_underflow 0
		.amdhsa_exception_fp_ieee_inexact 0
		.amdhsa_exception_int_div_zero 0
	.end_amdhsa_kernel
	.section	.text._ZN7rocprim17ROCPRIM_400000_NS6detail17trampoline_kernelINS0_13select_configILj256ELj13ELNS0_17block_load_methodE3ELS4_3ELS4_3ELNS0_20block_scan_algorithmE0ELj4294967295EEENS1_25partition_config_selectorILNS1_17partition_subalgoE3EjNS0_10empty_typeEbEEZZNS1_14partition_implILS8_3ELb0ES6_jNS0_17counting_iteratorIjlEEPS9_SE_NS0_5tupleIJPjSE_EEENSF_IJSE_SE_EEES9_SG_JZNS1_25segmented_radix_sort_implINS0_14default_configELb0EPKhPhPKlPlN2at6native12_GLOBAL__N_18offset_tEEE10hipError_tPvRmT1_PNSt15iterator_traitsISY_E10value_typeET2_T3_PNSZ_IS14_E10value_typeET4_jRbjT5_S1A_jjP12ihipStream_tbEUljE_EEESV_SW_SX_S14_S18_S1A_T6_T7_T9_mT8_S1C_bDpT10_ENKUlT_T0_E_clISt17integral_constantIbLb0EES1O_IbLb1EEEEDaS1K_S1L_EUlS1K_E_NS1_11comp_targetILNS1_3genE4ELNS1_11target_archE910ELNS1_3gpuE8ELNS1_3repE0EEENS1_30default_config_static_selectorELNS0_4arch9wavefront6targetE0EEEvSY_,"axG",@progbits,_ZN7rocprim17ROCPRIM_400000_NS6detail17trampoline_kernelINS0_13select_configILj256ELj13ELNS0_17block_load_methodE3ELS4_3ELS4_3ELNS0_20block_scan_algorithmE0ELj4294967295EEENS1_25partition_config_selectorILNS1_17partition_subalgoE3EjNS0_10empty_typeEbEEZZNS1_14partition_implILS8_3ELb0ES6_jNS0_17counting_iteratorIjlEEPS9_SE_NS0_5tupleIJPjSE_EEENSF_IJSE_SE_EEES9_SG_JZNS1_25segmented_radix_sort_implINS0_14default_configELb0EPKhPhPKlPlN2at6native12_GLOBAL__N_18offset_tEEE10hipError_tPvRmT1_PNSt15iterator_traitsISY_E10value_typeET2_T3_PNSZ_IS14_E10value_typeET4_jRbjT5_S1A_jjP12ihipStream_tbEUljE_EEESV_SW_SX_S14_S18_S1A_T6_T7_T9_mT8_S1C_bDpT10_ENKUlT_T0_E_clISt17integral_constantIbLb0EES1O_IbLb1EEEEDaS1K_S1L_EUlS1K_E_NS1_11comp_targetILNS1_3genE4ELNS1_11target_archE910ELNS1_3gpuE8ELNS1_3repE0EEENS1_30default_config_static_selectorELNS0_4arch9wavefront6targetE0EEEvSY_,comdat
.Lfunc_end180:
	.size	_ZN7rocprim17ROCPRIM_400000_NS6detail17trampoline_kernelINS0_13select_configILj256ELj13ELNS0_17block_load_methodE3ELS4_3ELS4_3ELNS0_20block_scan_algorithmE0ELj4294967295EEENS1_25partition_config_selectorILNS1_17partition_subalgoE3EjNS0_10empty_typeEbEEZZNS1_14partition_implILS8_3ELb0ES6_jNS0_17counting_iteratorIjlEEPS9_SE_NS0_5tupleIJPjSE_EEENSF_IJSE_SE_EEES9_SG_JZNS1_25segmented_radix_sort_implINS0_14default_configELb0EPKhPhPKlPlN2at6native12_GLOBAL__N_18offset_tEEE10hipError_tPvRmT1_PNSt15iterator_traitsISY_E10value_typeET2_T3_PNSZ_IS14_E10value_typeET4_jRbjT5_S1A_jjP12ihipStream_tbEUljE_EEESV_SW_SX_S14_S18_S1A_T6_T7_T9_mT8_S1C_bDpT10_ENKUlT_T0_E_clISt17integral_constantIbLb0EES1O_IbLb1EEEEDaS1K_S1L_EUlS1K_E_NS1_11comp_targetILNS1_3genE4ELNS1_11target_archE910ELNS1_3gpuE8ELNS1_3repE0EEENS1_30default_config_static_selectorELNS0_4arch9wavefront6targetE0EEEvSY_, .Lfunc_end180-_ZN7rocprim17ROCPRIM_400000_NS6detail17trampoline_kernelINS0_13select_configILj256ELj13ELNS0_17block_load_methodE3ELS4_3ELS4_3ELNS0_20block_scan_algorithmE0ELj4294967295EEENS1_25partition_config_selectorILNS1_17partition_subalgoE3EjNS0_10empty_typeEbEEZZNS1_14partition_implILS8_3ELb0ES6_jNS0_17counting_iteratorIjlEEPS9_SE_NS0_5tupleIJPjSE_EEENSF_IJSE_SE_EEES9_SG_JZNS1_25segmented_radix_sort_implINS0_14default_configELb0EPKhPhPKlPlN2at6native12_GLOBAL__N_18offset_tEEE10hipError_tPvRmT1_PNSt15iterator_traitsISY_E10value_typeET2_T3_PNSZ_IS14_E10value_typeET4_jRbjT5_S1A_jjP12ihipStream_tbEUljE_EEESV_SW_SX_S14_S18_S1A_T6_T7_T9_mT8_S1C_bDpT10_ENKUlT_T0_E_clISt17integral_constantIbLb0EES1O_IbLb1EEEEDaS1K_S1L_EUlS1K_E_NS1_11comp_targetILNS1_3genE4ELNS1_11target_archE910ELNS1_3gpuE8ELNS1_3repE0EEENS1_30default_config_static_selectorELNS0_4arch9wavefront6targetE0EEEvSY_
                                        ; -- End function
	.set _ZN7rocprim17ROCPRIM_400000_NS6detail17trampoline_kernelINS0_13select_configILj256ELj13ELNS0_17block_load_methodE3ELS4_3ELS4_3ELNS0_20block_scan_algorithmE0ELj4294967295EEENS1_25partition_config_selectorILNS1_17partition_subalgoE3EjNS0_10empty_typeEbEEZZNS1_14partition_implILS8_3ELb0ES6_jNS0_17counting_iteratorIjlEEPS9_SE_NS0_5tupleIJPjSE_EEENSF_IJSE_SE_EEES9_SG_JZNS1_25segmented_radix_sort_implINS0_14default_configELb0EPKhPhPKlPlN2at6native12_GLOBAL__N_18offset_tEEE10hipError_tPvRmT1_PNSt15iterator_traitsISY_E10value_typeET2_T3_PNSZ_IS14_E10value_typeET4_jRbjT5_S1A_jjP12ihipStream_tbEUljE_EEESV_SW_SX_S14_S18_S1A_T6_T7_T9_mT8_S1C_bDpT10_ENKUlT_T0_E_clISt17integral_constantIbLb0EES1O_IbLb1EEEEDaS1K_S1L_EUlS1K_E_NS1_11comp_targetILNS1_3genE4ELNS1_11target_archE910ELNS1_3gpuE8ELNS1_3repE0EEENS1_30default_config_static_selectorELNS0_4arch9wavefront6targetE0EEEvSY_.num_vgpr, 0
	.set _ZN7rocprim17ROCPRIM_400000_NS6detail17trampoline_kernelINS0_13select_configILj256ELj13ELNS0_17block_load_methodE3ELS4_3ELS4_3ELNS0_20block_scan_algorithmE0ELj4294967295EEENS1_25partition_config_selectorILNS1_17partition_subalgoE3EjNS0_10empty_typeEbEEZZNS1_14partition_implILS8_3ELb0ES6_jNS0_17counting_iteratorIjlEEPS9_SE_NS0_5tupleIJPjSE_EEENSF_IJSE_SE_EEES9_SG_JZNS1_25segmented_radix_sort_implINS0_14default_configELb0EPKhPhPKlPlN2at6native12_GLOBAL__N_18offset_tEEE10hipError_tPvRmT1_PNSt15iterator_traitsISY_E10value_typeET2_T3_PNSZ_IS14_E10value_typeET4_jRbjT5_S1A_jjP12ihipStream_tbEUljE_EEESV_SW_SX_S14_S18_S1A_T6_T7_T9_mT8_S1C_bDpT10_ENKUlT_T0_E_clISt17integral_constantIbLb0EES1O_IbLb1EEEEDaS1K_S1L_EUlS1K_E_NS1_11comp_targetILNS1_3genE4ELNS1_11target_archE910ELNS1_3gpuE8ELNS1_3repE0EEENS1_30default_config_static_selectorELNS0_4arch9wavefront6targetE0EEEvSY_.num_agpr, 0
	.set _ZN7rocprim17ROCPRIM_400000_NS6detail17trampoline_kernelINS0_13select_configILj256ELj13ELNS0_17block_load_methodE3ELS4_3ELS4_3ELNS0_20block_scan_algorithmE0ELj4294967295EEENS1_25partition_config_selectorILNS1_17partition_subalgoE3EjNS0_10empty_typeEbEEZZNS1_14partition_implILS8_3ELb0ES6_jNS0_17counting_iteratorIjlEEPS9_SE_NS0_5tupleIJPjSE_EEENSF_IJSE_SE_EEES9_SG_JZNS1_25segmented_radix_sort_implINS0_14default_configELb0EPKhPhPKlPlN2at6native12_GLOBAL__N_18offset_tEEE10hipError_tPvRmT1_PNSt15iterator_traitsISY_E10value_typeET2_T3_PNSZ_IS14_E10value_typeET4_jRbjT5_S1A_jjP12ihipStream_tbEUljE_EEESV_SW_SX_S14_S18_S1A_T6_T7_T9_mT8_S1C_bDpT10_ENKUlT_T0_E_clISt17integral_constantIbLb0EES1O_IbLb1EEEEDaS1K_S1L_EUlS1K_E_NS1_11comp_targetILNS1_3genE4ELNS1_11target_archE910ELNS1_3gpuE8ELNS1_3repE0EEENS1_30default_config_static_selectorELNS0_4arch9wavefront6targetE0EEEvSY_.numbered_sgpr, 0
	.set _ZN7rocprim17ROCPRIM_400000_NS6detail17trampoline_kernelINS0_13select_configILj256ELj13ELNS0_17block_load_methodE3ELS4_3ELS4_3ELNS0_20block_scan_algorithmE0ELj4294967295EEENS1_25partition_config_selectorILNS1_17partition_subalgoE3EjNS0_10empty_typeEbEEZZNS1_14partition_implILS8_3ELb0ES6_jNS0_17counting_iteratorIjlEEPS9_SE_NS0_5tupleIJPjSE_EEENSF_IJSE_SE_EEES9_SG_JZNS1_25segmented_radix_sort_implINS0_14default_configELb0EPKhPhPKlPlN2at6native12_GLOBAL__N_18offset_tEEE10hipError_tPvRmT1_PNSt15iterator_traitsISY_E10value_typeET2_T3_PNSZ_IS14_E10value_typeET4_jRbjT5_S1A_jjP12ihipStream_tbEUljE_EEESV_SW_SX_S14_S18_S1A_T6_T7_T9_mT8_S1C_bDpT10_ENKUlT_T0_E_clISt17integral_constantIbLb0EES1O_IbLb1EEEEDaS1K_S1L_EUlS1K_E_NS1_11comp_targetILNS1_3genE4ELNS1_11target_archE910ELNS1_3gpuE8ELNS1_3repE0EEENS1_30default_config_static_selectorELNS0_4arch9wavefront6targetE0EEEvSY_.num_named_barrier, 0
	.set _ZN7rocprim17ROCPRIM_400000_NS6detail17trampoline_kernelINS0_13select_configILj256ELj13ELNS0_17block_load_methodE3ELS4_3ELS4_3ELNS0_20block_scan_algorithmE0ELj4294967295EEENS1_25partition_config_selectorILNS1_17partition_subalgoE3EjNS0_10empty_typeEbEEZZNS1_14partition_implILS8_3ELb0ES6_jNS0_17counting_iteratorIjlEEPS9_SE_NS0_5tupleIJPjSE_EEENSF_IJSE_SE_EEES9_SG_JZNS1_25segmented_radix_sort_implINS0_14default_configELb0EPKhPhPKlPlN2at6native12_GLOBAL__N_18offset_tEEE10hipError_tPvRmT1_PNSt15iterator_traitsISY_E10value_typeET2_T3_PNSZ_IS14_E10value_typeET4_jRbjT5_S1A_jjP12ihipStream_tbEUljE_EEESV_SW_SX_S14_S18_S1A_T6_T7_T9_mT8_S1C_bDpT10_ENKUlT_T0_E_clISt17integral_constantIbLb0EES1O_IbLb1EEEEDaS1K_S1L_EUlS1K_E_NS1_11comp_targetILNS1_3genE4ELNS1_11target_archE910ELNS1_3gpuE8ELNS1_3repE0EEENS1_30default_config_static_selectorELNS0_4arch9wavefront6targetE0EEEvSY_.private_seg_size, 0
	.set _ZN7rocprim17ROCPRIM_400000_NS6detail17trampoline_kernelINS0_13select_configILj256ELj13ELNS0_17block_load_methodE3ELS4_3ELS4_3ELNS0_20block_scan_algorithmE0ELj4294967295EEENS1_25partition_config_selectorILNS1_17partition_subalgoE3EjNS0_10empty_typeEbEEZZNS1_14partition_implILS8_3ELb0ES6_jNS0_17counting_iteratorIjlEEPS9_SE_NS0_5tupleIJPjSE_EEENSF_IJSE_SE_EEES9_SG_JZNS1_25segmented_radix_sort_implINS0_14default_configELb0EPKhPhPKlPlN2at6native12_GLOBAL__N_18offset_tEEE10hipError_tPvRmT1_PNSt15iterator_traitsISY_E10value_typeET2_T3_PNSZ_IS14_E10value_typeET4_jRbjT5_S1A_jjP12ihipStream_tbEUljE_EEESV_SW_SX_S14_S18_S1A_T6_T7_T9_mT8_S1C_bDpT10_ENKUlT_T0_E_clISt17integral_constantIbLb0EES1O_IbLb1EEEEDaS1K_S1L_EUlS1K_E_NS1_11comp_targetILNS1_3genE4ELNS1_11target_archE910ELNS1_3gpuE8ELNS1_3repE0EEENS1_30default_config_static_selectorELNS0_4arch9wavefront6targetE0EEEvSY_.uses_vcc, 0
	.set _ZN7rocprim17ROCPRIM_400000_NS6detail17trampoline_kernelINS0_13select_configILj256ELj13ELNS0_17block_load_methodE3ELS4_3ELS4_3ELNS0_20block_scan_algorithmE0ELj4294967295EEENS1_25partition_config_selectorILNS1_17partition_subalgoE3EjNS0_10empty_typeEbEEZZNS1_14partition_implILS8_3ELb0ES6_jNS0_17counting_iteratorIjlEEPS9_SE_NS0_5tupleIJPjSE_EEENSF_IJSE_SE_EEES9_SG_JZNS1_25segmented_radix_sort_implINS0_14default_configELb0EPKhPhPKlPlN2at6native12_GLOBAL__N_18offset_tEEE10hipError_tPvRmT1_PNSt15iterator_traitsISY_E10value_typeET2_T3_PNSZ_IS14_E10value_typeET4_jRbjT5_S1A_jjP12ihipStream_tbEUljE_EEESV_SW_SX_S14_S18_S1A_T6_T7_T9_mT8_S1C_bDpT10_ENKUlT_T0_E_clISt17integral_constantIbLb0EES1O_IbLb1EEEEDaS1K_S1L_EUlS1K_E_NS1_11comp_targetILNS1_3genE4ELNS1_11target_archE910ELNS1_3gpuE8ELNS1_3repE0EEENS1_30default_config_static_selectorELNS0_4arch9wavefront6targetE0EEEvSY_.uses_flat_scratch, 0
	.set _ZN7rocprim17ROCPRIM_400000_NS6detail17trampoline_kernelINS0_13select_configILj256ELj13ELNS0_17block_load_methodE3ELS4_3ELS4_3ELNS0_20block_scan_algorithmE0ELj4294967295EEENS1_25partition_config_selectorILNS1_17partition_subalgoE3EjNS0_10empty_typeEbEEZZNS1_14partition_implILS8_3ELb0ES6_jNS0_17counting_iteratorIjlEEPS9_SE_NS0_5tupleIJPjSE_EEENSF_IJSE_SE_EEES9_SG_JZNS1_25segmented_radix_sort_implINS0_14default_configELb0EPKhPhPKlPlN2at6native12_GLOBAL__N_18offset_tEEE10hipError_tPvRmT1_PNSt15iterator_traitsISY_E10value_typeET2_T3_PNSZ_IS14_E10value_typeET4_jRbjT5_S1A_jjP12ihipStream_tbEUljE_EEESV_SW_SX_S14_S18_S1A_T6_T7_T9_mT8_S1C_bDpT10_ENKUlT_T0_E_clISt17integral_constantIbLb0EES1O_IbLb1EEEEDaS1K_S1L_EUlS1K_E_NS1_11comp_targetILNS1_3genE4ELNS1_11target_archE910ELNS1_3gpuE8ELNS1_3repE0EEENS1_30default_config_static_selectorELNS0_4arch9wavefront6targetE0EEEvSY_.has_dyn_sized_stack, 0
	.set _ZN7rocprim17ROCPRIM_400000_NS6detail17trampoline_kernelINS0_13select_configILj256ELj13ELNS0_17block_load_methodE3ELS4_3ELS4_3ELNS0_20block_scan_algorithmE0ELj4294967295EEENS1_25partition_config_selectorILNS1_17partition_subalgoE3EjNS0_10empty_typeEbEEZZNS1_14partition_implILS8_3ELb0ES6_jNS0_17counting_iteratorIjlEEPS9_SE_NS0_5tupleIJPjSE_EEENSF_IJSE_SE_EEES9_SG_JZNS1_25segmented_radix_sort_implINS0_14default_configELb0EPKhPhPKlPlN2at6native12_GLOBAL__N_18offset_tEEE10hipError_tPvRmT1_PNSt15iterator_traitsISY_E10value_typeET2_T3_PNSZ_IS14_E10value_typeET4_jRbjT5_S1A_jjP12ihipStream_tbEUljE_EEESV_SW_SX_S14_S18_S1A_T6_T7_T9_mT8_S1C_bDpT10_ENKUlT_T0_E_clISt17integral_constantIbLb0EES1O_IbLb1EEEEDaS1K_S1L_EUlS1K_E_NS1_11comp_targetILNS1_3genE4ELNS1_11target_archE910ELNS1_3gpuE8ELNS1_3repE0EEENS1_30default_config_static_selectorELNS0_4arch9wavefront6targetE0EEEvSY_.has_recursion, 0
	.set _ZN7rocprim17ROCPRIM_400000_NS6detail17trampoline_kernelINS0_13select_configILj256ELj13ELNS0_17block_load_methodE3ELS4_3ELS4_3ELNS0_20block_scan_algorithmE0ELj4294967295EEENS1_25partition_config_selectorILNS1_17partition_subalgoE3EjNS0_10empty_typeEbEEZZNS1_14partition_implILS8_3ELb0ES6_jNS0_17counting_iteratorIjlEEPS9_SE_NS0_5tupleIJPjSE_EEENSF_IJSE_SE_EEES9_SG_JZNS1_25segmented_radix_sort_implINS0_14default_configELb0EPKhPhPKlPlN2at6native12_GLOBAL__N_18offset_tEEE10hipError_tPvRmT1_PNSt15iterator_traitsISY_E10value_typeET2_T3_PNSZ_IS14_E10value_typeET4_jRbjT5_S1A_jjP12ihipStream_tbEUljE_EEESV_SW_SX_S14_S18_S1A_T6_T7_T9_mT8_S1C_bDpT10_ENKUlT_T0_E_clISt17integral_constantIbLb0EES1O_IbLb1EEEEDaS1K_S1L_EUlS1K_E_NS1_11comp_targetILNS1_3genE4ELNS1_11target_archE910ELNS1_3gpuE8ELNS1_3repE0EEENS1_30default_config_static_selectorELNS0_4arch9wavefront6targetE0EEEvSY_.has_indirect_call, 0
	.section	.AMDGPU.csdata,"",@progbits
; Kernel info:
; codeLenInByte = 0
; TotalNumSgprs: 0
; NumVgprs: 0
; ScratchSize: 0
; MemoryBound: 0
; FloatMode: 240
; IeeeMode: 1
; LDSByteSize: 0 bytes/workgroup (compile time only)
; SGPRBlocks: 0
; VGPRBlocks: 0
; NumSGPRsForWavesPerEU: 1
; NumVGPRsForWavesPerEU: 1
; Occupancy: 16
; WaveLimiterHint : 0
; COMPUTE_PGM_RSRC2:SCRATCH_EN: 0
; COMPUTE_PGM_RSRC2:USER_SGPR: 2
; COMPUTE_PGM_RSRC2:TRAP_HANDLER: 0
; COMPUTE_PGM_RSRC2:TGID_X_EN: 1
; COMPUTE_PGM_RSRC2:TGID_Y_EN: 0
; COMPUTE_PGM_RSRC2:TGID_Z_EN: 0
; COMPUTE_PGM_RSRC2:TIDIG_COMP_CNT: 0
	.section	.text._ZN7rocprim17ROCPRIM_400000_NS6detail17trampoline_kernelINS0_13select_configILj256ELj13ELNS0_17block_load_methodE3ELS4_3ELS4_3ELNS0_20block_scan_algorithmE0ELj4294967295EEENS1_25partition_config_selectorILNS1_17partition_subalgoE3EjNS0_10empty_typeEbEEZZNS1_14partition_implILS8_3ELb0ES6_jNS0_17counting_iteratorIjlEEPS9_SE_NS0_5tupleIJPjSE_EEENSF_IJSE_SE_EEES9_SG_JZNS1_25segmented_radix_sort_implINS0_14default_configELb0EPKhPhPKlPlN2at6native12_GLOBAL__N_18offset_tEEE10hipError_tPvRmT1_PNSt15iterator_traitsISY_E10value_typeET2_T3_PNSZ_IS14_E10value_typeET4_jRbjT5_S1A_jjP12ihipStream_tbEUljE_EEESV_SW_SX_S14_S18_S1A_T6_T7_T9_mT8_S1C_bDpT10_ENKUlT_T0_E_clISt17integral_constantIbLb0EES1O_IbLb1EEEEDaS1K_S1L_EUlS1K_E_NS1_11comp_targetILNS1_3genE3ELNS1_11target_archE908ELNS1_3gpuE7ELNS1_3repE0EEENS1_30default_config_static_selectorELNS0_4arch9wavefront6targetE0EEEvSY_,"axG",@progbits,_ZN7rocprim17ROCPRIM_400000_NS6detail17trampoline_kernelINS0_13select_configILj256ELj13ELNS0_17block_load_methodE3ELS4_3ELS4_3ELNS0_20block_scan_algorithmE0ELj4294967295EEENS1_25partition_config_selectorILNS1_17partition_subalgoE3EjNS0_10empty_typeEbEEZZNS1_14partition_implILS8_3ELb0ES6_jNS0_17counting_iteratorIjlEEPS9_SE_NS0_5tupleIJPjSE_EEENSF_IJSE_SE_EEES9_SG_JZNS1_25segmented_radix_sort_implINS0_14default_configELb0EPKhPhPKlPlN2at6native12_GLOBAL__N_18offset_tEEE10hipError_tPvRmT1_PNSt15iterator_traitsISY_E10value_typeET2_T3_PNSZ_IS14_E10value_typeET4_jRbjT5_S1A_jjP12ihipStream_tbEUljE_EEESV_SW_SX_S14_S18_S1A_T6_T7_T9_mT8_S1C_bDpT10_ENKUlT_T0_E_clISt17integral_constantIbLb0EES1O_IbLb1EEEEDaS1K_S1L_EUlS1K_E_NS1_11comp_targetILNS1_3genE3ELNS1_11target_archE908ELNS1_3gpuE7ELNS1_3repE0EEENS1_30default_config_static_selectorELNS0_4arch9wavefront6targetE0EEEvSY_,comdat
	.globl	_ZN7rocprim17ROCPRIM_400000_NS6detail17trampoline_kernelINS0_13select_configILj256ELj13ELNS0_17block_load_methodE3ELS4_3ELS4_3ELNS0_20block_scan_algorithmE0ELj4294967295EEENS1_25partition_config_selectorILNS1_17partition_subalgoE3EjNS0_10empty_typeEbEEZZNS1_14partition_implILS8_3ELb0ES6_jNS0_17counting_iteratorIjlEEPS9_SE_NS0_5tupleIJPjSE_EEENSF_IJSE_SE_EEES9_SG_JZNS1_25segmented_radix_sort_implINS0_14default_configELb0EPKhPhPKlPlN2at6native12_GLOBAL__N_18offset_tEEE10hipError_tPvRmT1_PNSt15iterator_traitsISY_E10value_typeET2_T3_PNSZ_IS14_E10value_typeET4_jRbjT5_S1A_jjP12ihipStream_tbEUljE_EEESV_SW_SX_S14_S18_S1A_T6_T7_T9_mT8_S1C_bDpT10_ENKUlT_T0_E_clISt17integral_constantIbLb0EES1O_IbLb1EEEEDaS1K_S1L_EUlS1K_E_NS1_11comp_targetILNS1_3genE3ELNS1_11target_archE908ELNS1_3gpuE7ELNS1_3repE0EEENS1_30default_config_static_selectorELNS0_4arch9wavefront6targetE0EEEvSY_ ; -- Begin function _ZN7rocprim17ROCPRIM_400000_NS6detail17trampoline_kernelINS0_13select_configILj256ELj13ELNS0_17block_load_methodE3ELS4_3ELS4_3ELNS0_20block_scan_algorithmE0ELj4294967295EEENS1_25partition_config_selectorILNS1_17partition_subalgoE3EjNS0_10empty_typeEbEEZZNS1_14partition_implILS8_3ELb0ES6_jNS0_17counting_iteratorIjlEEPS9_SE_NS0_5tupleIJPjSE_EEENSF_IJSE_SE_EEES9_SG_JZNS1_25segmented_radix_sort_implINS0_14default_configELb0EPKhPhPKlPlN2at6native12_GLOBAL__N_18offset_tEEE10hipError_tPvRmT1_PNSt15iterator_traitsISY_E10value_typeET2_T3_PNSZ_IS14_E10value_typeET4_jRbjT5_S1A_jjP12ihipStream_tbEUljE_EEESV_SW_SX_S14_S18_S1A_T6_T7_T9_mT8_S1C_bDpT10_ENKUlT_T0_E_clISt17integral_constantIbLb0EES1O_IbLb1EEEEDaS1K_S1L_EUlS1K_E_NS1_11comp_targetILNS1_3genE3ELNS1_11target_archE908ELNS1_3gpuE7ELNS1_3repE0EEENS1_30default_config_static_selectorELNS0_4arch9wavefront6targetE0EEEvSY_
	.p2align	8
	.type	_ZN7rocprim17ROCPRIM_400000_NS6detail17trampoline_kernelINS0_13select_configILj256ELj13ELNS0_17block_load_methodE3ELS4_3ELS4_3ELNS0_20block_scan_algorithmE0ELj4294967295EEENS1_25partition_config_selectorILNS1_17partition_subalgoE3EjNS0_10empty_typeEbEEZZNS1_14partition_implILS8_3ELb0ES6_jNS0_17counting_iteratorIjlEEPS9_SE_NS0_5tupleIJPjSE_EEENSF_IJSE_SE_EEES9_SG_JZNS1_25segmented_radix_sort_implINS0_14default_configELb0EPKhPhPKlPlN2at6native12_GLOBAL__N_18offset_tEEE10hipError_tPvRmT1_PNSt15iterator_traitsISY_E10value_typeET2_T3_PNSZ_IS14_E10value_typeET4_jRbjT5_S1A_jjP12ihipStream_tbEUljE_EEESV_SW_SX_S14_S18_S1A_T6_T7_T9_mT8_S1C_bDpT10_ENKUlT_T0_E_clISt17integral_constantIbLb0EES1O_IbLb1EEEEDaS1K_S1L_EUlS1K_E_NS1_11comp_targetILNS1_3genE3ELNS1_11target_archE908ELNS1_3gpuE7ELNS1_3repE0EEENS1_30default_config_static_selectorELNS0_4arch9wavefront6targetE0EEEvSY_,@function
_ZN7rocprim17ROCPRIM_400000_NS6detail17trampoline_kernelINS0_13select_configILj256ELj13ELNS0_17block_load_methodE3ELS4_3ELS4_3ELNS0_20block_scan_algorithmE0ELj4294967295EEENS1_25partition_config_selectorILNS1_17partition_subalgoE3EjNS0_10empty_typeEbEEZZNS1_14partition_implILS8_3ELb0ES6_jNS0_17counting_iteratorIjlEEPS9_SE_NS0_5tupleIJPjSE_EEENSF_IJSE_SE_EEES9_SG_JZNS1_25segmented_radix_sort_implINS0_14default_configELb0EPKhPhPKlPlN2at6native12_GLOBAL__N_18offset_tEEE10hipError_tPvRmT1_PNSt15iterator_traitsISY_E10value_typeET2_T3_PNSZ_IS14_E10value_typeET4_jRbjT5_S1A_jjP12ihipStream_tbEUljE_EEESV_SW_SX_S14_S18_S1A_T6_T7_T9_mT8_S1C_bDpT10_ENKUlT_T0_E_clISt17integral_constantIbLb0EES1O_IbLb1EEEEDaS1K_S1L_EUlS1K_E_NS1_11comp_targetILNS1_3genE3ELNS1_11target_archE908ELNS1_3gpuE7ELNS1_3repE0EEENS1_30default_config_static_selectorELNS0_4arch9wavefront6targetE0EEEvSY_: ; @_ZN7rocprim17ROCPRIM_400000_NS6detail17trampoline_kernelINS0_13select_configILj256ELj13ELNS0_17block_load_methodE3ELS4_3ELS4_3ELNS0_20block_scan_algorithmE0ELj4294967295EEENS1_25partition_config_selectorILNS1_17partition_subalgoE3EjNS0_10empty_typeEbEEZZNS1_14partition_implILS8_3ELb0ES6_jNS0_17counting_iteratorIjlEEPS9_SE_NS0_5tupleIJPjSE_EEENSF_IJSE_SE_EEES9_SG_JZNS1_25segmented_radix_sort_implINS0_14default_configELb0EPKhPhPKlPlN2at6native12_GLOBAL__N_18offset_tEEE10hipError_tPvRmT1_PNSt15iterator_traitsISY_E10value_typeET2_T3_PNSZ_IS14_E10value_typeET4_jRbjT5_S1A_jjP12ihipStream_tbEUljE_EEESV_SW_SX_S14_S18_S1A_T6_T7_T9_mT8_S1C_bDpT10_ENKUlT_T0_E_clISt17integral_constantIbLb0EES1O_IbLb1EEEEDaS1K_S1L_EUlS1K_E_NS1_11comp_targetILNS1_3genE3ELNS1_11target_archE908ELNS1_3gpuE7ELNS1_3repE0EEENS1_30default_config_static_selectorELNS0_4arch9wavefront6targetE0EEEvSY_
; %bb.0:
	.section	.rodata,"a",@progbits
	.p2align	6, 0x0
	.amdhsa_kernel _ZN7rocprim17ROCPRIM_400000_NS6detail17trampoline_kernelINS0_13select_configILj256ELj13ELNS0_17block_load_methodE3ELS4_3ELS4_3ELNS0_20block_scan_algorithmE0ELj4294967295EEENS1_25partition_config_selectorILNS1_17partition_subalgoE3EjNS0_10empty_typeEbEEZZNS1_14partition_implILS8_3ELb0ES6_jNS0_17counting_iteratorIjlEEPS9_SE_NS0_5tupleIJPjSE_EEENSF_IJSE_SE_EEES9_SG_JZNS1_25segmented_radix_sort_implINS0_14default_configELb0EPKhPhPKlPlN2at6native12_GLOBAL__N_18offset_tEEE10hipError_tPvRmT1_PNSt15iterator_traitsISY_E10value_typeET2_T3_PNSZ_IS14_E10value_typeET4_jRbjT5_S1A_jjP12ihipStream_tbEUljE_EEESV_SW_SX_S14_S18_S1A_T6_T7_T9_mT8_S1C_bDpT10_ENKUlT_T0_E_clISt17integral_constantIbLb0EES1O_IbLb1EEEEDaS1K_S1L_EUlS1K_E_NS1_11comp_targetILNS1_3genE3ELNS1_11target_archE908ELNS1_3gpuE7ELNS1_3repE0EEENS1_30default_config_static_selectorELNS0_4arch9wavefront6targetE0EEEvSY_
		.amdhsa_group_segment_fixed_size 0
		.amdhsa_private_segment_fixed_size 0
		.amdhsa_kernarg_size 152
		.amdhsa_user_sgpr_count 2
		.amdhsa_user_sgpr_dispatch_ptr 0
		.amdhsa_user_sgpr_queue_ptr 0
		.amdhsa_user_sgpr_kernarg_segment_ptr 1
		.amdhsa_user_sgpr_dispatch_id 0
		.amdhsa_user_sgpr_private_segment_size 0
		.amdhsa_wavefront_size32 1
		.amdhsa_uses_dynamic_stack 0
		.amdhsa_enable_private_segment 0
		.amdhsa_system_sgpr_workgroup_id_x 1
		.amdhsa_system_sgpr_workgroup_id_y 0
		.amdhsa_system_sgpr_workgroup_id_z 0
		.amdhsa_system_sgpr_workgroup_info 0
		.amdhsa_system_vgpr_workitem_id 0
		.amdhsa_next_free_vgpr 1
		.amdhsa_next_free_sgpr 1
		.amdhsa_reserve_vcc 0
		.amdhsa_float_round_mode_32 0
		.amdhsa_float_round_mode_16_64 0
		.amdhsa_float_denorm_mode_32 3
		.amdhsa_float_denorm_mode_16_64 3
		.amdhsa_fp16_overflow 0
		.amdhsa_workgroup_processor_mode 1
		.amdhsa_memory_ordered 1
		.amdhsa_forward_progress 1
		.amdhsa_inst_pref_size 0
		.amdhsa_round_robin_scheduling 0
		.amdhsa_exception_fp_ieee_invalid_op 0
		.amdhsa_exception_fp_denorm_src 0
		.amdhsa_exception_fp_ieee_div_zero 0
		.amdhsa_exception_fp_ieee_overflow 0
		.amdhsa_exception_fp_ieee_underflow 0
		.amdhsa_exception_fp_ieee_inexact 0
		.amdhsa_exception_int_div_zero 0
	.end_amdhsa_kernel
	.section	.text._ZN7rocprim17ROCPRIM_400000_NS6detail17trampoline_kernelINS0_13select_configILj256ELj13ELNS0_17block_load_methodE3ELS4_3ELS4_3ELNS0_20block_scan_algorithmE0ELj4294967295EEENS1_25partition_config_selectorILNS1_17partition_subalgoE3EjNS0_10empty_typeEbEEZZNS1_14partition_implILS8_3ELb0ES6_jNS0_17counting_iteratorIjlEEPS9_SE_NS0_5tupleIJPjSE_EEENSF_IJSE_SE_EEES9_SG_JZNS1_25segmented_radix_sort_implINS0_14default_configELb0EPKhPhPKlPlN2at6native12_GLOBAL__N_18offset_tEEE10hipError_tPvRmT1_PNSt15iterator_traitsISY_E10value_typeET2_T3_PNSZ_IS14_E10value_typeET4_jRbjT5_S1A_jjP12ihipStream_tbEUljE_EEESV_SW_SX_S14_S18_S1A_T6_T7_T9_mT8_S1C_bDpT10_ENKUlT_T0_E_clISt17integral_constantIbLb0EES1O_IbLb1EEEEDaS1K_S1L_EUlS1K_E_NS1_11comp_targetILNS1_3genE3ELNS1_11target_archE908ELNS1_3gpuE7ELNS1_3repE0EEENS1_30default_config_static_selectorELNS0_4arch9wavefront6targetE0EEEvSY_,"axG",@progbits,_ZN7rocprim17ROCPRIM_400000_NS6detail17trampoline_kernelINS0_13select_configILj256ELj13ELNS0_17block_load_methodE3ELS4_3ELS4_3ELNS0_20block_scan_algorithmE0ELj4294967295EEENS1_25partition_config_selectorILNS1_17partition_subalgoE3EjNS0_10empty_typeEbEEZZNS1_14partition_implILS8_3ELb0ES6_jNS0_17counting_iteratorIjlEEPS9_SE_NS0_5tupleIJPjSE_EEENSF_IJSE_SE_EEES9_SG_JZNS1_25segmented_radix_sort_implINS0_14default_configELb0EPKhPhPKlPlN2at6native12_GLOBAL__N_18offset_tEEE10hipError_tPvRmT1_PNSt15iterator_traitsISY_E10value_typeET2_T3_PNSZ_IS14_E10value_typeET4_jRbjT5_S1A_jjP12ihipStream_tbEUljE_EEESV_SW_SX_S14_S18_S1A_T6_T7_T9_mT8_S1C_bDpT10_ENKUlT_T0_E_clISt17integral_constantIbLb0EES1O_IbLb1EEEEDaS1K_S1L_EUlS1K_E_NS1_11comp_targetILNS1_3genE3ELNS1_11target_archE908ELNS1_3gpuE7ELNS1_3repE0EEENS1_30default_config_static_selectorELNS0_4arch9wavefront6targetE0EEEvSY_,comdat
.Lfunc_end181:
	.size	_ZN7rocprim17ROCPRIM_400000_NS6detail17trampoline_kernelINS0_13select_configILj256ELj13ELNS0_17block_load_methodE3ELS4_3ELS4_3ELNS0_20block_scan_algorithmE0ELj4294967295EEENS1_25partition_config_selectorILNS1_17partition_subalgoE3EjNS0_10empty_typeEbEEZZNS1_14partition_implILS8_3ELb0ES6_jNS0_17counting_iteratorIjlEEPS9_SE_NS0_5tupleIJPjSE_EEENSF_IJSE_SE_EEES9_SG_JZNS1_25segmented_radix_sort_implINS0_14default_configELb0EPKhPhPKlPlN2at6native12_GLOBAL__N_18offset_tEEE10hipError_tPvRmT1_PNSt15iterator_traitsISY_E10value_typeET2_T3_PNSZ_IS14_E10value_typeET4_jRbjT5_S1A_jjP12ihipStream_tbEUljE_EEESV_SW_SX_S14_S18_S1A_T6_T7_T9_mT8_S1C_bDpT10_ENKUlT_T0_E_clISt17integral_constantIbLb0EES1O_IbLb1EEEEDaS1K_S1L_EUlS1K_E_NS1_11comp_targetILNS1_3genE3ELNS1_11target_archE908ELNS1_3gpuE7ELNS1_3repE0EEENS1_30default_config_static_selectorELNS0_4arch9wavefront6targetE0EEEvSY_, .Lfunc_end181-_ZN7rocprim17ROCPRIM_400000_NS6detail17trampoline_kernelINS0_13select_configILj256ELj13ELNS0_17block_load_methodE3ELS4_3ELS4_3ELNS0_20block_scan_algorithmE0ELj4294967295EEENS1_25partition_config_selectorILNS1_17partition_subalgoE3EjNS0_10empty_typeEbEEZZNS1_14partition_implILS8_3ELb0ES6_jNS0_17counting_iteratorIjlEEPS9_SE_NS0_5tupleIJPjSE_EEENSF_IJSE_SE_EEES9_SG_JZNS1_25segmented_radix_sort_implINS0_14default_configELb0EPKhPhPKlPlN2at6native12_GLOBAL__N_18offset_tEEE10hipError_tPvRmT1_PNSt15iterator_traitsISY_E10value_typeET2_T3_PNSZ_IS14_E10value_typeET4_jRbjT5_S1A_jjP12ihipStream_tbEUljE_EEESV_SW_SX_S14_S18_S1A_T6_T7_T9_mT8_S1C_bDpT10_ENKUlT_T0_E_clISt17integral_constantIbLb0EES1O_IbLb1EEEEDaS1K_S1L_EUlS1K_E_NS1_11comp_targetILNS1_3genE3ELNS1_11target_archE908ELNS1_3gpuE7ELNS1_3repE0EEENS1_30default_config_static_selectorELNS0_4arch9wavefront6targetE0EEEvSY_
                                        ; -- End function
	.set _ZN7rocprim17ROCPRIM_400000_NS6detail17trampoline_kernelINS0_13select_configILj256ELj13ELNS0_17block_load_methodE3ELS4_3ELS4_3ELNS0_20block_scan_algorithmE0ELj4294967295EEENS1_25partition_config_selectorILNS1_17partition_subalgoE3EjNS0_10empty_typeEbEEZZNS1_14partition_implILS8_3ELb0ES6_jNS0_17counting_iteratorIjlEEPS9_SE_NS0_5tupleIJPjSE_EEENSF_IJSE_SE_EEES9_SG_JZNS1_25segmented_radix_sort_implINS0_14default_configELb0EPKhPhPKlPlN2at6native12_GLOBAL__N_18offset_tEEE10hipError_tPvRmT1_PNSt15iterator_traitsISY_E10value_typeET2_T3_PNSZ_IS14_E10value_typeET4_jRbjT5_S1A_jjP12ihipStream_tbEUljE_EEESV_SW_SX_S14_S18_S1A_T6_T7_T9_mT8_S1C_bDpT10_ENKUlT_T0_E_clISt17integral_constantIbLb0EES1O_IbLb1EEEEDaS1K_S1L_EUlS1K_E_NS1_11comp_targetILNS1_3genE3ELNS1_11target_archE908ELNS1_3gpuE7ELNS1_3repE0EEENS1_30default_config_static_selectorELNS0_4arch9wavefront6targetE0EEEvSY_.num_vgpr, 0
	.set _ZN7rocprim17ROCPRIM_400000_NS6detail17trampoline_kernelINS0_13select_configILj256ELj13ELNS0_17block_load_methodE3ELS4_3ELS4_3ELNS0_20block_scan_algorithmE0ELj4294967295EEENS1_25partition_config_selectorILNS1_17partition_subalgoE3EjNS0_10empty_typeEbEEZZNS1_14partition_implILS8_3ELb0ES6_jNS0_17counting_iteratorIjlEEPS9_SE_NS0_5tupleIJPjSE_EEENSF_IJSE_SE_EEES9_SG_JZNS1_25segmented_radix_sort_implINS0_14default_configELb0EPKhPhPKlPlN2at6native12_GLOBAL__N_18offset_tEEE10hipError_tPvRmT1_PNSt15iterator_traitsISY_E10value_typeET2_T3_PNSZ_IS14_E10value_typeET4_jRbjT5_S1A_jjP12ihipStream_tbEUljE_EEESV_SW_SX_S14_S18_S1A_T6_T7_T9_mT8_S1C_bDpT10_ENKUlT_T0_E_clISt17integral_constantIbLb0EES1O_IbLb1EEEEDaS1K_S1L_EUlS1K_E_NS1_11comp_targetILNS1_3genE3ELNS1_11target_archE908ELNS1_3gpuE7ELNS1_3repE0EEENS1_30default_config_static_selectorELNS0_4arch9wavefront6targetE0EEEvSY_.num_agpr, 0
	.set _ZN7rocprim17ROCPRIM_400000_NS6detail17trampoline_kernelINS0_13select_configILj256ELj13ELNS0_17block_load_methodE3ELS4_3ELS4_3ELNS0_20block_scan_algorithmE0ELj4294967295EEENS1_25partition_config_selectorILNS1_17partition_subalgoE3EjNS0_10empty_typeEbEEZZNS1_14partition_implILS8_3ELb0ES6_jNS0_17counting_iteratorIjlEEPS9_SE_NS0_5tupleIJPjSE_EEENSF_IJSE_SE_EEES9_SG_JZNS1_25segmented_radix_sort_implINS0_14default_configELb0EPKhPhPKlPlN2at6native12_GLOBAL__N_18offset_tEEE10hipError_tPvRmT1_PNSt15iterator_traitsISY_E10value_typeET2_T3_PNSZ_IS14_E10value_typeET4_jRbjT5_S1A_jjP12ihipStream_tbEUljE_EEESV_SW_SX_S14_S18_S1A_T6_T7_T9_mT8_S1C_bDpT10_ENKUlT_T0_E_clISt17integral_constantIbLb0EES1O_IbLb1EEEEDaS1K_S1L_EUlS1K_E_NS1_11comp_targetILNS1_3genE3ELNS1_11target_archE908ELNS1_3gpuE7ELNS1_3repE0EEENS1_30default_config_static_selectorELNS0_4arch9wavefront6targetE0EEEvSY_.numbered_sgpr, 0
	.set _ZN7rocprim17ROCPRIM_400000_NS6detail17trampoline_kernelINS0_13select_configILj256ELj13ELNS0_17block_load_methodE3ELS4_3ELS4_3ELNS0_20block_scan_algorithmE0ELj4294967295EEENS1_25partition_config_selectorILNS1_17partition_subalgoE3EjNS0_10empty_typeEbEEZZNS1_14partition_implILS8_3ELb0ES6_jNS0_17counting_iteratorIjlEEPS9_SE_NS0_5tupleIJPjSE_EEENSF_IJSE_SE_EEES9_SG_JZNS1_25segmented_radix_sort_implINS0_14default_configELb0EPKhPhPKlPlN2at6native12_GLOBAL__N_18offset_tEEE10hipError_tPvRmT1_PNSt15iterator_traitsISY_E10value_typeET2_T3_PNSZ_IS14_E10value_typeET4_jRbjT5_S1A_jjP12ihipStream_tbEUljE_EEESV_SW_SX_S14_S18_S1A_T6_T7_T9_mT8_S1C_bDpT10_ENKUlT_T0_E_clISt17integral_constantIbLb0EES1O_IbLb1EEEEDaS1K_S1L_EUlS1K_E_NS1_11comp_targetILNS1_3genE3ELNS1_11target_archE908ELNS1_3gpuE7ELNS1_3repE0EEENS1_30default_config_static_selectorELNS0_4arch9wavefront6targetE0EEEvSY_.num_named_barrier, 0
	.set _ZN7rocprim17ROCPRIM_400000_NS6detail17trampoline_kernelINS0_13select_configILj256ELj13ELNS0_17block_load_methodE3ELS4_3ELS4_3ELNS0_20block_scan_algorithmE0ELj4294967295EEENS1_25partition_config_selectorILNS1_17partition_subalgoE3EjNS0_10empty_typeEbEEZZNS1_14partition_implILS8_3ELb0ES6_jNS0_17counting_iteratorIjlEEPS9_SE_NS0_5tupleIJPjSE_EEENSF_IJSE_SE_EEES9_SG_JZNS1_25segmented_radix_sort_implINS0_14default_configELb0EPKhPhPKlPlN2at6native12_GLOBAL__N_18offset_tEEE10hipError_tPvRmT1_PNSt15iterator_traitsISY_E10value_typeET2_T3_PNSZ_IS14_E10value_typeET4_jRbjT5_S1A_jjP12ihipStream_tbEUljE_EEESV_SW_SX_S14_S18_S1A_T6_T7_T9_mT8_S1C_bDpT10_ENKUlT_T0_E_clISt17integral_constantIbLb0EES1O_IbLb1EEEEDaS1K_S1L_EUlS1K_E_NS1_11comp_targetILNS1_3genE3ELNS1_11target_archE908ELNS1_3gpuE7ELNS1_3repE0EEENS1_30default_config_static_selectorELNS0_4arch9wavefront6targetE0EEEvSY_.private_seg_size, 0
	.set _ZN7rocprim17ROCPRIM_400000_NS6detail17trampoline_kernelINS0_13select_configILj256ELj13ELNS0_17block_load_methodE3ELS4_3ELS4_3ELNS0_20block_scan_algorithmE0ELj4294967295EEENS1_25partition_config_selectorILNS1_17partition_subalgoE3EjNS0_10empty_typeEbEEZZNS1_14partition_implILS8_3ELb0ES6_jNS0_17counting_iteratorIjlEEPS9_SE_NS0_5tupleIJPjSE_EEENSF_IJSE_SE_EEES9_SG_JZNS1_25segmented_radix_sort_implINS0_14default_configELb0EPKhPhPKlPlN2at6native12_GLOBAL__N_18offset_tEEE10hipError_tPvRmT1_PNSt15iterator_traitsISY_E10value_typeET2_T3_PNSZ_IS14_E10value_typeET4_jRbjT5_S1A_jjP12ihipStream_tbEUljE_EEESV_SW_SX_S14_S18_S1A_T6_T7_T9_mT8_S1C_bDpT10_ENKUlT_T0_E_clISt17integral_constantIbLb0EES1O_IbLb1EEEEDaS1K_S1L_EUlS1K_E_NS1_11comp_targetILNS1_3genE3ELNS1_11target_archE908ELNS1_3gpuE7ELNS1_3repE0EEENS1_30default_config_static_selectorELNS0_4arch9wavefront6targetE0EEEvSY_.uses_vcc, 0
	.set _ZN7rocprim17ROCPRIM_400000_NS6detail17trampoline_kernelINS0_13select_configILj256ELj13ELNS0_17block_load_methodE3ELS4_3ELS4_3ELNS0_20block_scan_algorithmE0ELj4294967295EEENS1_25partition_config_selectorILNS1_17partition_subalgoE3EjNS0_10empty_typeEbEEZZNS1_14partition_implILS8_3ELb0ES6_jNS0_17counting_iteratorIjlEEPS9_SE_NS0_5tupleIJPjSE_EEENSF_IJSE_SE_EEES9_SG_JZNS1_25segmented_radix_sort_implINS0_14default_configELb0EPKhPhPKlPlN2at6native12_GLOBAL__N_18offset_tEEE10hipError_tPvRmT1_PNSt15iterator_traitsISY_E10value_typeET2_T3_PNSZ_IS14_E10value_typeET4_jRbjT5_S1A_jjP12ihipStream_tbEUljE_EEESV_SW_SX_S14_S18_S1A_T6_T7_T9_mT8_S1C_bDpT10_ENKUlT_T0_E_clISt17integral_constantIbLb0EES1O_IbLb1EEEEDaS1K_S1L_EUlS1K_E_NS1_11comp_targetILNS1_3genE3ELNS1_11target_archE908ELNS1_3gpuE7ELNS1_3repE0EEENS1_30default_config_static_selectorELNS0_4arch9wavefront6targetE0EEEvSY_.uses_flat_scratch, 0
	.set _ZN7rocprim17ROCPRIM_400000_NS6detail17trampoline_kernelINS0_13select_configILj256ELj13ELNS0_17block_load_methodE3ELS4_3ELS4_3ELNS0_20block_scan_algorithmE0ELj4294967295EEENS1_25partition_config_selectorILNS1_17partition_subalgoE3EjNS0_10empty_typeEbEEZZNS1_14partition_implILS8_3ELb0ES6_jNS0_17counting_iteratorIjlEEPS9_SE_NS0_5tupleIJPjSE_EEENSF_IJSE_SE_EEES9_SG_JZNS1_25segmented_radix_sort_implINS0_14default_configELb0EPKhPhPKlPlN2at6native12_GLOBAL__N_18offset_tEEE10hipError_tPvRmT1_PNSt15iterator_traitsISY_E10value_typeET2_T3_PNSZ_IS14_E10value_typeET4_jRbjT5_S1A_jjP12ihipStream_tbEUljE_EEESV_SW_SX_S14_S18_S1A_T6_T7_T9_mT8_S1C_bDpT10_ENKUlT_T0_E_clISt17integral_constantIbLb0EES1O_IbLb1EEEEDaS1K_S1L_EUlS1K_E_NS1_11comp_targetILNS1_3genE3ELNS1_11target_archE908ELNS1_3gpuE7ELNS1_3repE0EEENS1_30default_config_static_selectorELNS0_4arch9wavefront6targetE0EEEvSY_.has_dyn_sized_stack, 0
	.set _ZN7rocprim17ROCPRIM_400000_NS6detail17trampoline_kernelINS0_13select_configILj256ELj13ELNS0_17block_load_methodE3ELS4_3ELS4_3ELNS0_20block_scan_algorithmE0ELj4294967295EEENS1_25partition_config_selectorILNS1_17partition_subalgoE3EjNS0_10empty_typeEbEEZZNS1_14partition_implILS8_3ELb0ES6_jNS0_17counting_iteratorIjlEEPS9_SE_NS0_5tupleIJPjSE_EEENSF_IJSE_SE_EEES9_SG_JZNS1_25segmented_radix_sort_implINS0_14default_configELb0EPKhPhPKlPlN2at6native12_GLOBAL__N_18offset_tEEE10hipError_tPvRmT1_PNSt15iterator_traitsISY_E10value_typeET2_T3_PNSZ_IS14_E10value_typeET4_jRbjT5_S1A_jjP12ihipStream_tbEUljE_EEESV_SW_SX_S14_S18_S1A_T6_T7_T9_mT8_S1C_bDpT10_ENKUlT_T0_E_clISt17integral_constantIbLb0EES1O_IbLb1EEEEDaS1K_S1L_EUlS1K_E_NS1_11comp_targetILNS1_3genE3ELNS1_11target_archE908ELNS1_3gpuE7ELNS1_3repE0EEENS1_30default_config_static_selectorELNS0_4arch9wavefront6targetE0EEEvSY_.has_recursion, 0
	.set _ZN7rocprim17ROCPRIM_400000_NS6detail17trampoline_kernelINS0_13select_configILj256ELj13ELNS0_17block_load_methodE3ELS4_3ELS4_3ELNS0_20block_scan_algorithmE0ELj4294967295EEENS1_25partition_config_selectorILNS1_17partition_subalgoE3EjNS0_10empty_typeEbEEZZNS1_14partition_implILS8_3ELb0ES6_jNS0_17counting_iteratorIjlEEPS9_SE_NS0_5tupleIJPjSE_EEENSF_IJSE_SE_EEES9_SG_JZNS1_25segmented_radix_sort_implINS0_14default_configELb0EPKhPhPKlPlN2at6native12_GLOBAL__N_18offset_tEEE10hipError_tPvRmT1_PNSt15iterator_traitsISY_E10value_typeET2_T3_PNSZ_IS14_E10value_typeET4_jRbjT5_S1A_jjP12ihipStream_tbEUljE_EEESV_SW_SX_S14_S18_S1A_T6_T7_T9_mT8_S1C_bDpT10_ENKUlT_T0_E_clISt17integral_constantIbLb0EES1O_IbLb1EEEEDaS1K_S1L_EUlS1K_E_NS1_11comp_targetILNS1_3genE3ELNS1_11target_archE908ELNS1_3gpuE7ELNS1_3repE0EEENS1_30default_config_static_selectorELNS0_4arch9wavefront6targetE0EEEvSY_.has_indirect_call, 0
	.section	.AMDGPU.csdata,"",@progbits
; Kernel info:
; codeLenInByte = 0
; TotalNumSgprs: 0
; NumVgprs: 0
; ScratchSize: 0
; MemoryBound: 0
; FloatMode: 240
; IeeeMode: 1
; LDSByteSize: 0 bytes/workgroup (compile time only)
; SGPRBlocks: 0
; VGPRBlocks: 0
; NumSGPRsForWavesPerEU: 1
; NumVGPRsForWavesPerEU: 1
; Occupancy: 16
; WaveLimiterHint : 0
; COMPUTE_PGM_RSRC2:SCRATCH_EN: 0
; COMPUTE_PGM_RSRC2:USER_SGPR: 2
; COMPUTE_PGM_RSRC2:TRAP_HANDLER: 0
; COMPUTE_PGM_RSRC2:TGID_X_EN: 1
; COMPUTE_PGM_RSRC2:TGID_Y_EN: 0
; COMPUTE_PGM_RSRC2:TGID_Z_EN: 0
; COMPUTE_PGM_RSRC2:TIDIG_COMP_CNT: 0
	.section	.text._ZN7rocprim17ROCPRIM_400000_NS6detail17trampoline_kernelINS0_13select_configILj256ELj13ELNS0_17block_load_methodE3ELS4_3ELS4_3ELNS0_20block_scan_algorithmE0ELj4294967295EEENS1_25partition_config_selectorILNS1_17partition_subalgoE3EjNS0_10empty_typeEbEEZZNS1_14partition_implILS8_3ELb0ES6_jNS0_17counting_iteratorIjlEEPS9_SE_NS0_5tupleIJPjSE_EEENSF_IJSE_SE_EEES9_SG_JZNS1_25segmented_radix_sort_implINS0_14default_configELb0EPKhPhPKlPlN2at6native12_GLOBAL__N_18offset_tEEE10hipError_tPvRmT1_PNSt15iterator_traitsISY_E10value_typeET2_T3_PNSZ_IS14_E10value_typeET4_jRbjT5_S1A_jjP12ihipStream_tbEUljE_EEESV_SW_SX_S14_S18_S1A_T6_T7_T9_mT8_S1C_bDpT10_ENKUlT_T0_E_clISt17integral_constantIbLb0EES1O_IbLb1EEEEDaS1K_S1L_EUlS1K_E_NS1_11comp_targetILNS1_3genE2ELNS1_11target_archE906ELNS1_3gpuE6ELNS1_3repE0EEENS1_30default_config_static_selectorELNS0_4arch9wavefront6targetE0EEEvSY_,"axG",@progbits,_ZN7rocprim17ROCPRIM_400000_NS6detail17trampoline_kernelINS0_13select_configILj256ELj13ELNS0_17block_load_methodE3ELS4_3ELS4_3ELNS0_20block_scan_algorithmE0ELj4294967295EEENS1_25partition_config_selectorILNS1_17partition_subalgoE3EjNS0_10empty_typeEbEEZZNS1_14partition_implILS8_3ELb0ES6_jNS0_17counting_iteratorIjlEEPS9_SE_NS0_5tupleIJPjSE_EEENSF_IJSE_SE_EEES9_SG_JZNS1_25segmented_radix_sort_implINS0_14default_configELb0EPKhPhPKlPlN2at6native12_GLOBAL__N_18offset_tEEE10hipError_tPvRmT1_PNSt15iterator_traitsISY_E10value_typeET2_T3_PNSZ_IS14_E10value_typeET4_jRbjT5_S1A_jjP12ihipStream_tbEUljE_EEESV_SW_SX_S14_S18_S1A_T6_T7_T9_mT8_S1C_bDpT10_ENKUlT_T0_E_clISt17integral_constantIbLb0EES1O_IbLb1EEEEDaS1K_S1L_EUlS1K_E_NS1_11comp_targetILNS1_3genE2ELNS1_11target_archE906ELNS1_3gpuE6ELNS1_3repE0EEENS1_30default_config_static_selectorELNS0_4arch9wavefront6targetE0EEEvSY_,comdat
	.globl	_ZN7rocprim17ROCPRIM_400000_NS6detail17trampoline_kernelINS0_13select_configILj256ELj13ELNS0_17block_load_methodE3ELS4_3ELS4_3ELNS0_20block_scan_algorithmE0ELj4294967295EEENS1_25partition_config_selectorILNS1_17partition_subalgoE3EjNS0_10empty_typeEbEEZZNS1_14partition_implILS8_3ELb0ES6_jNS0_17counting_iteratorIjlEEPS9_SE_NS0_5tupleIJPjSE_EEENSF_IJSE_SE_EEES9_SG_JZNS1_25segmented_radix_sort_implINS0_14default_configELb0EPKhPhPKlPlN2at6native12_GLOBAL__N_18offset_tEEE10hipError_tPvRmT1_PNSt15iterator_traitsISY_E10value_typeET2_T3_PNSZ_IS14_E10value_typeET4_jRbjT5_S1A_jjP12ihipStream_tbEUljE_EEESV_SW_SX_S14_S18_S1A_T6_T7_T9_mT8_S1C_bDpT10_ENKUlT_T0_E_clISt17integral_constantIbLb0EES1O_IbLb1EEEEDaS1K_S1L_EUlS1K_E_NS1_11comp_targetILNS1_3genE2ELNS1_11target_archE906ELNS1_3gpuE6ELNS1_3repE0EEENS1_30default_config_static_selectorELNS0_4arch9wavefront6targetE0EEEvSY_ ; -- Begin function _ZN7rocprim17ROCPRIM_400000_NS6detail17trampoline_kernelINS0_13select_configILj256ELj13ELNS0_17block_load_methodE3ELS4_3ELS4_3ELNS0_20block_scan_algorithmE0ELj4294967295EEENS1_25partition_config_selectorILNS1_17partition_subalgoE3EjNS0_10empty_typeEbEEZZNS1_14partition_implILS8_3ELb0ES6_jNS0_17counting_iteratorIjlEEPS9_SE_NS0_5tupleIJPjSE_EEENSF_IJSE_SE_EEES9_SG_JZNS1_25segmented_radix_sort_implINS0_14default_configELb0EPKhPhPKlPlN2at6native12_GLOBAL__N_18offset_tEEE10hipError_tPvRmT1_PNSt15iterator_traitsISY_E10value_typeET2_T3_PNSZ_IS14_E10value_typeET4_jRbjT5_S1A_jjP12ihipStream_tbEUljE_EEESV_SW_SX_S14_S18_S1A_T6_T7_T9_mT8_S1C_bDpT10_ENKUlT_T0_E_clISt17integral_constantIbLb0EES1O_IbLb1EEEEDaS1K_S1L_EUlS1K_E_NS1_11comp_targetILNS1_3genE2ELNS1_11target_archE906ELNS1_3gpuE6ELNS1_3repE0EEENS1_30default_config_static_selectorELNS0_4arch9wavefront6targetE0EEEvSY_
	.p2align	8
	.type	_ZN7rocprim17ROCPRIM_400000_NS6detail17trampoline_kernelINS0_13select_configILj256ELj13ELNS0_17block_load_methodE3ELS4_3ELS4_3ELNS0_20block_scan_algorithmE0ELj4294967295EEENS1_25partition_config_selectorILNS1_17partition_subalgoE3EjNS0_10empty_typeEbEEZZNS1_14partition_implILS8_3ELb0ES6_jNS0_17counting_iteratorIjlEEPS9_SE_NS0_5tupleIJPjSE_EEENSF_IJSE_SE_EEES9_SG_JZNS1_25segmented_radix_sort_implINS0_14default_configELb0EPKhPhPKlPlN2at6native12_GLOBAL__N_18offset_tEEE10hipError_tPvRmT1_PNSt15iterator_traitsISY_E10value_typeET2_T3_PNSZ_IS14_E10value_typeET4_jRbjT5_S1A_jjP12ihipStream_tbEUljE_EEESV_SW_SX_S14_S18_S1A_T6_T7_T9_mT8_S1C_bDpT10_ENKUlT_T0_E_clISt17integral_constantIbLb0EES1O_IbLb1EEEEDaS1K_S1L_EUlS1K_E_NS1_11comp_targetILNS1_3genE2ELNS1_11target_archE906ELNS1_3gpuE6ELNS1_3repE0EEENS1_30default_config_static_selectorELNS0_4arch9wavefront6targetE0EEEvSY_,@function
_ZN7rocprim17ROCPRIM_400000_NS6detail17trampoline_kernelINS0_13select_configILj256ELj13ELNS0_17block_load_methodE3ELS4_3ELS4_3ELNS0_20block_scan_algorithmE0ELj4294967295EEENS1_25partition_config_selectorILNS1_17partition_subalgoE3EjNS0_10empty_typeEbEEZZNS1_14partition_implILS8_3ELb0ES6_jNS0_17counting_iteratorIjlEEPS9_SE_NS0_5tupleIJPjSE_EEENSF_IJSE_SE_EEES9_SG_JZNS1_25segmented_radix_sort_implINS0_14default_configELb0EPKhPhPKlPlN2at6native12_GLOBAL__N_18offset_tEEE10hipError_tPvRmT1_PNSt15iterator_traitsISY_E10value_typeET2_T3_PNSZ_IS14_E10value_typeET4_jRbjT5_S1A_jjP12ihipStream_tbEUljE_EEESV_SW_SX_S14_S18_S1A_T6_T7_T9_mT8_S1C_bDpT10_ENKUlT_T0_E_clISt17integral_constantIbLb0EES1O_IbLb1EEEEDaS1K_S1L_EUlS1K_E_NS1_11comp_targetILNS1_3genE2ELNS1_11target_archE906ELNS1_3gpuE6ELNS1_3repE0EEENS1_30default_config_static_selectorELNS0_4arch9wavefront6targetE0EEEvSY_: ; @_ZN7rocprim17ROCPRIM_400000_NS6detail17trampoline_kernelINS0_13select_configILj256ELj13ELNS0_17block_load_methodE3ELS4_3ELS4_3ELNS0_20block_scan_algorithmE0ELj4294967295EEENS1_25partition_config_selectorILNS1_17partition_subalgoE3EjNS0_10empty_typeEbEEZZNS1_14partition_implILS8_3ELb0ES6_jNS0_17counting_iteratorIjlEEPS9_SE_NS0_5tupleIJPjSE_EEENSF_IJSE_SE_EEES9_SG_JZNS1_25segmented_radix_sort_implINS0_14default_configELb0EPKhPhPKlPlN2at6native12_GLOBAL__N_18offset_tEEE10hipError_tPvRmT1_PNSt15iterator_traitsISY_E10value_typeET2_T3_PNSZ_IS14_E10value_typeET4_jRbjT5_S1A_jjP12ihipStream_tbEUljE_EEESV_SW_SX_S14_S18_S1A_T6_T7_T9_mT8_S1C_bDpT10_ENKUlT_T0_E_clISt17integral_constantIbLb0EES1O_IbLb1EEEEDaS1K_S1L_EUlS1K_E_NS1_11comp_targetILNS1_3genE2ELNS1_11target_archE906ELNS1_3gpuE6ELNS1_3repE0EEENS1_30default_config_static_selectorELNS0_4arch9wavefront6targetE0EEEvSY_
; %bb.0:
	.section	.rodata,"a",@progbits
	.p2align	6, 0x0
	.amdhsa_kernel _ZN7rocprim17ROCPRIM_400000_NS6detail17trampoline_kernelINS0_13select_configILj256ELj13ELNS0_17block_load_methodE3ELS4_3ELS4_3ELNS0_20block_scan_algorithmE0ELj4294967295EEENS1_25partition_config_selectorILNS1_17partition_subalgoE3EjNS0_10empty_typeEbEEZZNS1_14partition_implILS8_3ELb0ES6_jNS0_17counting_iteratorIjlEEPS9_SE_NS0_5tupleIJPjSE_EEENSF_IJSE_SE_EEES9_SG_JZNS1_25segmented_radix_sort_implINS0_14default_configELb0EPKhPhPKlPlN2at6native12_GLOBAL__N_18offset_tEEE10hipError_tPvRmT1_PNSt15iterator_traitsISY_E10value_typeET2_T3_PNSZ_IS14_E10value_typeET4_jRbjT5_S1A_jjP12ihipStream_tbEUljE_EEESV_SW_SX_S14_S18_S1A_T6_T7_T9_mT8_S1C_bDpT10_ENKUlT_T0_E_clISt17integral_constantIbLb0EES1O_IbLb1EEEEDaS1K_S1L_EUlS1K_E_NS1_11comp_targetILNS1_3genE2ELNS1_11target_archE906ELNS1_3gpuE6ELNS1_3repE0EEENS1_30default_config_static_selectorELNS0_4arch9wavefront6targetE0EEEvSY_
		.amdhsa_group_segment_fixed_size 0
		.amdhsa_private_segment_fixed_size 0
		.amdhsa_kernarg_size 152
		.amdhsa_user_sgpr_count 2
		.amdhsa_user_sgpr_dispatch_ptr 0
		.amdhsa_user_sgpr_queue_ptr 0
		.amdhsa_user_sgpr_kernarg_segment_ptr 1
		.amdhsa_user_sgpr_dispatch_id 0
		.amdhsa_user_sgpr_private_segment_size 0
		.amdhsa_wavefront_size32 1
		.amdhsa_uses_dynamic_stack 0
		.amdhsa_enable_private_segment 0
		.amdhsa_system_sgpr_workgroup_id_x 1
		.amdhsa_system_sgpr_workgroup_id_y 0
		.amdhsa_system_sgpr_workgroup_id_z 0
		.amdhsa_system_sgpr_workgroup_info 0
		.amdhsa_system_vgpr_workitem_id 0
		.amdhsa_next_free_vgpr 1
		.amdhsa_next_free_sgpr 1
		.amdhsa_reserve_vcc 0
		.amdhsa_float_round_mode_32 0
		.amdhsa_float_round_mode_16_64 0
		.amdhsa_float_denorm_mode_32 3
		.amdhsa_float_denorm_mode_16_64 3
		.amdhsa_fp16_overflow 0
		.amdhsa_workgroup_processor_mode 1
		.amdhsa_memory_ordered 1
		.amdhsa_forward_progress 1
		.amdhsa_inst_pref_size 0
		.amdhsa_round_robin_scheduling 0
		.amdhsa_exception_fp_ieee_invalid_op 0
		.amdhsa_exception_fp_denorm_src 0
		.amdhsa_exception_fp_ieee_div_zero 0
		.amdhsa_exception_fp_ieee_overflow 0
		.amdhsa_exception_fp_ieee_underflow 0
		.amdhsa_exception_fp_ieee_inexact 0
		.amdhsa_exception_int_div_zero 0
	.end_amdhsa_kernel
	.section	.text._ZN7rocprim17ROCPRIM_400000_NS6detail17trampoline_kernelINS0_13select_configILj256ELj13ELNS0_17block_load_methodE3ELS4_3ELS4_3ELNS0_20block_scan_algorithmE0ELj4294967295EEENS1_25partition_config_selectorILNS1_17partition_subalgoE3EjNS0_10empty_typeEbEEZZNS1_14partition_implILS8_3ELb0ES6_jNS0_17counting_iteratorIjlEEPS9_SE_NS0_5tupleIJPjSE_EEENSF_IJSE_SE_EEES9_SG_JZNS1_25segmented_radix_sort_implINS0_14default_configELb0EPKhPhPKlPlN2at6native12_GLOBAL__N_18offset_tEEE10hipError_tPvRmT1_PNSt15iterator_traitsISY_E10value_typeET2_T3_PNSZ_IS14_E10value_typeET4_jRbjT5_S1A_jjP12ihipStream_tbEUljE_EEESV_SW_SX_S14_S18_S1A_T6_T7_T9_mT8_S1C_bDpT10_ENKUlT_T0_E_clISt17integral_constantIbLb0EES1O_IbLb1EEEEDaS1K_S1L_EUlS1K_E_NS1_11comp_targetILNS1_3genE2ELNS1_11target_archE906ELNS1_3gpuE6ELNS1_3repE0EEENS1_30default_config_static_selectorELNS0_4arch9wavefront6targetE0EEEvSY_,"axG",@progbits,_ZN7rocprim17ROCPRIM_400000_NS6detail17trampoline_kernelINS0_13select_configILj256ELj13ELNS0_17block_load_methodE3ELS4_3ELS4_3ELNS0_20block_scan_algorithmE0ELj4294967295EEENS1_25partition_config_selectorILNS1_17partition_subalgoE3EjNS0_10empty_typeEbEEZZNS1_14partition_implILS8_3ELb0ES6_jNS0_17counting_iteratorIjlEEPS9_SE_NS0_5tupleIJPjSE_EEENSF_IJSE_SE_EEES9_SG_JZNS1_25segmented_radix_sort_implINS0_14default_configELb0EPKhPhPKlPlN2at6native12_GLOBAL__N_18offset_tEEE10hipError_tPvRmT1_PNSt15iterator_traitsISY_E10value_typeET2_T3_PNSZ_IS14_E10value_typeET4_jRbjT5_S1A_jjP12ihipStream_tbEUljE_EEESV_SW_SX_S14_S18_S1A_T6_T7_T9_mT8_S1C_bDpT10_ENKUlT_T0_E_clISt17integral_constantIbLb0EES1O_IbLb1EEEEDaS1K_S1L_EUlS1K_E_NS1_11comp_targetILNS1_3genE2ELNS1_11target_archE906ELNS1_3gpuE6ELNS1_3repE0EEENS1_30default_config_static_selectorELNS0_4arch9wavefront6targetE0EEEvSY_,comdat
.Lfunc_end182:
	.size	_ZN7rocprim17ROCPRIM_400000_NS6detail17trampoline_kernelINS0_13select_configILj256ELj13ELNS0_17block_load_methodE3ELS4_3ELS4_3ELNS0_20block_scan_algorithmE0ELj4294967295EEENS1_25partition_config_selectorILNS1_17partition_subalgoE3EjNS0_10empty_typeEbEEZZNS1_14partition_implILS8_3ELb0ES6_jNS0_17counting_iteratorIjlEEPS9_SE_NS0_5tupleIJPjSE_EEENSF_IJSE_SE_EEES9_SG_JZNS1_25segmented_radix_sort_implINS0_14default_configELb0EPKhPhPKlPlN2at6native12_GLOBAL__N_18offset_tEEE10hipError_tPvRmT1_PNSt15iterator_traitsISY_E10value_typeET2_T3_PNSZ_IS14_E10value_typeET4_jRbjT5_S1A_jjP12ihipStream_tbEUljE_EEESV_SW_SX_S14_S18_S1A_T6_T7_T9_mT8_S1C_bDpT10_ENKUlT_T0_E_clISt17integral_constantIbLb0EES1O_IbLb1EEEEDaS1K_S1L_EUlS1K_E_NS1_11comp_targetILNS1_3genE2ELNS1_11target_archE906ELNS1_3gpuE6ELNS1_3repE0EEENS1_30default_config_static_selectorELNS0_4arch9wavefront6targetE0EEEvSY_, .Lfunc_end182-_ZN7rocprim17ROCPRIM_400000_NS6detail17trampoline_kernelINS0_13select_configILj256ELj13ELNS0_17block_load_methodE3ELS4_3ELS4_3ELNS0_20block_scan_algorithmE0ELj4294967295EEENS1_25partition_config_selectorILNS1_17partition_subalgoE3EjNS0_10empty_typeEbEEZZNS1_14partition_implILS8_3ELb0ES6_jNS0_17counting_iteratorIjlEEPS9_SE_NS0_5tupleIJPjSE_EEENSF_IJSE_SE_EEES9_SG_JZNS1_25segmented_radix_sort_implINS0_14default_configELb0EPKhPhPKlPlN2at6native12_GLOBAL__N_18offset_tEEE10hipError_tPvRmT1_PNSt15iterator_traitsISY_E10value_typeET2_T3_PNSZ_IS14_E10value_typeET4_jRbjT5_S1A_jjP12ihipStream_tbEUljE_EEESV_SW_SX_S14_S18_S1A_T6_T7_T9_mT8_S1C_bDpT10_ENKUlT_T0_E_clISt17integral_constantIbLb0EES1O_IbLb1EEEEDaS1K_S1L_EUlS1K_E_NS1_11comp_targetILNS1_3genE2ELNS1_11target_archE906ELNS1_3gpuE6ELNS1_3repE0EEENS1_30default_config_static_selectorELNS0_4arch9wavefront6targetE0EEEvSY_
                                        ; -- End function
	.set _ZN7rocprim17ROCPRIM_400000_NS6detail17trampoline_kernelINS0_13select_configILj256ELj13ELNS0_17block_load_methodE3ELS4_3ELS4_3ELNS0_20block_scan_algorithmE0ELj4294967295EEENS1_25partition_config_selectorILNS1_17partition_subalgoE3EjNS0_10empty_typeEbEEZZNS1_14partition_implILS8_3ELb0ES6_jNS0_17counting_iteratorIjlEEPS9_SE_NS0_5tupleIJPjSE_EEENSF_IJSE_SE_EEES9_SG_JZNS1_25segmented_radix_sort_implINS0_14default_configELb0EPKhPhPKlPlN2at6native12_GLOBAL__N_18offset_tEEE10hipError_tPvRmT1_PNSt15iterator_traitsISY_E10value_typeET2_T3_PNSZ_IS14_E10value_typeET4_jRbjT5_S1A_jjP12ihipStream_tbEUljE_EEESV_SW_SX_S14_S18_S1A_T6_T7_T9_mT8_S1C_bDpT10_ENKUlT_T0_E_clISt17integral_constantIbLb0EES1O_IbLb1EEEEDaS1K_S1L_EUlS1K_E_NS1_11comp_targetILNS1_3genE2ELNS1_11target_archE906ELNS1_3gpuE6ELNS1_3repE0EEENS1_30default_config_static_selectorELNS0_4arch9wavefront6targetE0EEEvSY_.num_vgpr, 0
	.set _ZN7rocprim17ROCPRIM_400000_NS6detail17trampoline_kernelINS0_13select_configILj256ELj13ELNS0_17block_load_methodE3ELS4_3ELS4_3ELNS0_20block_scan_algorithmE0ELj4294967295EEENS1_25partition_config_selectorILNS1_17partition_subalgoE3EjNS0_10empty_typeEbEEZZNS1_14partition_implILS8_3ELb0ES6_jNS0_17counting_iteratorIjlEEPS9_SE_NS0_5tupleIJPjSE_EEENSF_IJSE_SE_EEES9_SG_JZNS1_25segmented_radix_sort_implINS0_14default_configELb0EPKhPhPKlPlN2at6native12_GLOBAL__N_18offset_tEEE10hipError_tPvRmT1_PNSt15iterator_traitsISY_E10value_typeET2_T3_PNSZ_IS14_E10value_typeET4_jRbjT5_S1A_jjP12ihipStream_tbEUljE_EEESV_SW_SX_S14_S18_S1A_T6_T7_T9_mT8_S1C_bDpT10_ENKUlT_T0_E_clISt17integral_constantIbLb0EES1O_IbLb1EEEEDaS1K_S1L_EUlS1K_E_NS1_11comp_targetILNS1_3genE2ELNS1_11target_archE906ELNS1_3gpuE6ELNS1_3repE0EEENS1_30default_config_static_selectorELNS0_4arch9wavefront6targetE0EEEvSY_.num_agpr, 0
	.set _ZN7rocprim17ROCPRIM_400000_NS6detail17trampoline_kernelINS0_13select_configILj256ELj13ELNS0_17block_load_methodE3ELS4_3ELS4_3ELNS0_20block_scan_algorithmE0ELj4294967295EEENS1_25partition_config_selectorILNS1_17partition_subalgoE3EjNS0_10empty_typeEbEEZZNS1_14partition_implILS8_3ELb0ES6_jNS0_17counting_iteratorIjlEEPS9_SE_NS0_5tupleIJPjSE_EEENSF_IJSE_SE_EEES9_SG_JZNS1_25segmented_radix_sort_implINS0_14default_configELb0EPKhPhPKlPlN2at6native12_GLOBAL__N_18offset_tEEE10hipError_tPvRmT1_PNSt15iterator_traitsISY_E10value_typeET2_T3_PNSZ_IS14_E10value_typeET4_jRbjT5_S1A_jjP12ihipStream_tbEUljE_EEESV_SW_SX_S14_S18_S1A_T6_T7_T9_mT8_S1C_bDpT10_ENKUlT_T0_E_clISt17integral_constantIbLb0EES1O_IbLb1EEEEDaS1K_S1L_EUlS1K_E_NS1_11comp_targetILNS1_3genE2ELNS1_11target_archE906ELNS1_3gpuE6ELNS1_3repE0EEENS1_30default_config_static_selectorELNS0_4arch9wavefront6targetE0EEEvSY_.numbered_sgpr, 0
	.set _ZN7rocprim17ROCPRIM_400000_NS6detail17trampoline_kernelINS0_13select_configILj256ELj13ELNS0_17block_load_methodE3ELS4_3ELS4_3ELNS0_20block_scan_algorithmE0ELj4294967295EEENS1_25partition_config_selectorILNS1_17partition_subalgoE3EjNS0_10empty_typeEbEEZZNS1_14partition_implILS8_3ELb0ES6_jNS0_17counting_iteratorIjlEEPS9_SE_NS0_5tupleIJPjSE_EEENSF_IJSE_SE_EEES9_SG_JZNS1_25segmented_radix_sort_implINS0_14default_configELb0EPKhPhPKlPlN2at6native12_GLOBAL__N_18offset_tEEE10hipError_tPvRmT1_PNSt15iterator_traitsISY_E10value_typeET2_T3_PNSZ_IS14_E10value_typeET4_jRbjT5_S1A_jjP12ihipStream_tbEUljE_EEESV_SW_SX_S14_S18_S1A_T6_T7_T9_mT8_S1C_bDpT10_ENKUlT_T0_E_clISt17integral_constantIbLb0EES1O_IbLb1EEEEDaS1K_S1L_EUlS1K_E_NS1_11comp_targetILNS1_3genE2ELNS1_11target_archE906ELNS1_3gpuE6ELNS1_3repE0EEENS1_30default_config_static_selectorELNS0_4arch9wavefront6targetE0EEEvSY_.num_named_barrier, 0
	.set _ZN7rocprim17ROCPRIM_400000_NS6detail17trampoline_kernelINS0_13select_configILj256ELj13ELNS0_17block_load_methodE3ELS4_3ELS4_3ELNS0_20block_scan_algorithmE0ELj4294967295EEENS1_25partition_config_selectorILNS1_17partition_subalgoE3EjNS0_10empty_typeEbEEZZNS1_14partition_implILS8_3ELb0ES6_jNS0_17counting_iteratorIjlEEPS9_SE_NS0_5tupleIJPjSE_EEENSF_IJSE_SE_EEES9_SG_JZNS1_25segmented_radix_sort_implINS0_14default_configELb0EPKhPhPKlPlN2at6native12_GLOBAL__N_18offset_tEEE10hipError_tPvRmT1_PNSt15iterator_traitsISY_E10value_typeET2_T3_PNSZ_IS14_E10value_typeET4_jRbjT5_S1A_jjP12ihipStream_tbEUljE_EEESV_SW_SX_S14_S18_S1A_T6_T7_T9_mT8_S1C_bDpT10_ENKUlT_T0_E_clISt17integral_constantIbLb0EES1O_IbLb1EEEEDaS1K_S1L_EUlS1K_E_NS1_11comp_targetILNS1_3genE2ELNS1_11target_archE906ELNS1_3gpuE6ELNS1_3repE0EEENS1_30default_config_static_selectorELNS0_4arch9wavefront6targetE0EEEvSY_.private_seg_size, 0
	.set _ZN7rocprim17ROCPRIM_400000_NS6detail17trampoline_kernelINS0_13select_configILj256ELj13ELNS0_17block_load_methodE3ELS4_3ELS4_3ELNS0_20block_scan_algorithmE0ELj4294967295EEENS1_25partition_config_selectorILNS1_17partition_subalgoE3EjNS0_10empty_typeEbEEZZNS1_14partition_implILS8_3ELb0ES6_jNS0_17counting_iteratorIjlEEPS9_SE_NS0_5tupleIJPjSE_EEENSF_IJSE_SE_EEES9_SG_JZNS1_25segmented_radix_sort_implINS0_14default_configELb0EPKhPhPKlPlN2at6native12_GLOBAL__N_18offset_tEEE10hipError_tPvRmT1_PNSt15iterator_traitsISY_E10value_typeET2_T3_PNSZ_IS14_E10value_typeET4_jRbjT5_S1A_jjP12ihipStream_tbEUljE_EEESV_SW_SX_S14_S18_S1A_T6_T7_T9_mT8_S1C_bDpT10_ENKUlT_T0_E_clISt17integral_constantIbLb0EES1O_IbLb1EEEEDaS1K_S1L_EUlS1K_E_NS1_11comp_targetILNS1_3genE2ELNS1_11target_archE906ELNS1_3gpuE6ELNS1_3repE0EEENS1_30default_config_static_selectorELNS0_4arch9wavefront6targetE0EEEvSY_.uses_vcc, 0
	.set _ZN7rocprim17ROCPRIM_400000_NS6detail17trampoline_kernelINS0_13select_configILj256ELj13ELNS0_17block_load_methodE3ELS4_3ELS4_3ELNS0_20block_scan_algorithmE0ELj4294967295EEENS1_25partition_config_selectorILNS1_17partition_subalgoE3EjNS0_10empty_typeEbEEZZNS1_14partition_implILS8_3ELb0ES6_jNS0_17counting_iteratorIjlEEPS9_SE_NS0_5tupleIJPjSE_EEENSF_IJSE_SE_EEES9_SG_JZNS1_25segmented_radix_sort_implINS0_14default_configELb0EPKhPhPKlPlN2at6native12_GLOBAL__N_18offset_tEEE10hipError_tPvRmT1_PNSt15iterator_traitsISY_E10value_typeET2_T3_PNSZ_IS14_E10value_typeET4_jRbjT5_S1A_jjP12ihipStream_tbEUljE_EEESV_SW_SX_S14_S18_S1A_T6_T7_T9_mT8_S1C_bDpT10_ENKUlT_T0_E_clISt17integral_constantIbLb0EES1O_IbLb1EEEEDaS1K_S1L_EUlS1K_E_NS1_11comp_targetILNS1_3genE2ELNS1_11target_archE906ELNS1_3gpuE6ELNS1_3repE0EEENS1_30default_config_static_selectorELNS0_4arch9wavefront6targetE0EEEvSY_.uses_flat_scratch, 0
	.set _ZN7rocprim17ROCPRIM_400000_NS6detail17trampoline_kernelINS0_13select_configILj256ELj13ELNS0_17block_load_methodE3ELS4_3ELS4_3ELNS0_20block_scan_algorithmE0ELj4294967295EEENS1_25partition_config_selectorILNS1_17partition_subalgoE3EjNS0_10empty_typeEbEEZZNS1_14partition_implILS8_3ELb0ES6_jNS0_17counting_iteratorIjlEEPS9_SE_NS0_5tupleIJPjSE_EEENSF_IJSE_SE_EEES9_SG_JZNS1_25segmented_radix_sort_implINS0_14default_configELb0EPKhPhPKlPlN2at6native12_GLOBAL__N_18offset_tEEE10hipError_tPvRmT1_PNSt15iterator_traitsISY_E10value_typeET2_T3_PNSZ_IS14_E10value_typeET4_jRbjT5_S1A_jjP12ihipStream_tbEUljE_EEESV_SW_SX_S14_S18_S1A_T6_T7_T9_mT8_S1C_bDpT10_ENKUlT_T0_E_clISt17integral_constantIbLb0EES1O_IbLb1EEEEDaS1K_S1L_EUlS1K_E_NS1_11comp_targetILNS1_3genE2ELNS1_11target_archE906ELNS1_3gpuE6ELNS1_3repE0EEENS1_30default_config_static_selectorELNS0_4arch9wavefront6targetE0EEEvSY_.has_dyn_sized_stack, 0
	.set _ZN7rocprim17ROCPRIM_400000_NS6detail17trampoline_kernelINS0_13select_configILj256ELj13ELNS0_17block_load_methodE3ELS4_3ELS4_3ELNS0_20block_scan_algorithmE0ELj4294967295EEENS1_25partition_config_selectorILNS1_17partition_subalgoE3EjNS0_10empty_typeEbEEZZNS1_14partition_implILS8_3ELb0ES6_jNS0_17counting_iteratorIjlEEPS9_SE_NS0_5tupleIJPjSE_EEENSF_IJSE_SE_EEES9_SG_JZNS1_25segmented_radix_sort_implINS0_14default_configELb0EPKhPhPKlPlN2at6native12_GLOBAL__N_18offset_tEEE10hipError_tPvRmT1_PNSt15iterator_traitsISY_E10value_typeET2_T3_PNSZ_IS14_E10value_typeET4_jRbjT5_S1A_jjP12ihipStream_tbEUljE_EEESV_SW_SX_S14_S18_S1A_T6_T7_T9_mT8_S1C_bDpT10_ENKUlT_T0_E_clISt17integral_constantIbLb0EES1O_IbLb1EEEEDaS1K_S1L_EUlS1K_E_NS1_11comp_targetILNS1_3genE2ELNS1_11target_archE906ELNS1_3gpuE6ELNS1_3repE0EEENS1_30default_config_static_selectorELNS0_4arch9wavefront6targetE0EEEvSY_.has_recursion, 0
	.set _ZN7rocprim17ROCPRIM_400000_NS6detail17trampoline_kernelINS0_13select_configILj256ELj13ELNS0_17block_load_methodE3ELS4_3ELS4_3ELNS0_20block_scan_algorithmE0ELj4294967295EEENS1_25partition_config_selectorILNS1_17partition_subalgoE3EjNS0_10empty_typeEbEEZZNS1_14partition_implILS8_3ELb0ES6_jNS0_17counting_iteratorIjlEEPS9_SE_NS0_5tupleIJPjSE_EEENSF_IJSE_SE_EEES9_SG_JZNS1_25segmented_radix_sort_implINS0_14default_configELb0EPKhPhPKlPlN2at6native12_GLOBAL__N_18offset_tEEE10hipError_tPvRmT1_PNSt15iterator_traitsISY_E10value_typeET2_T3_PNSZ_IS14_E10value_typeET4_jRbjT5_S1A_jjP12ihipStream_tbEUljE_EEESV_SW_SX_S14_S18_S1A_T6_T7_T9_mT8_S1C_bDpT10_ENKUlT_T0_E_clISt17integral_constantIbLb0EES1O_IbLb1EEEEDaS1K_S1L_EUlS1K_E_NS1_11comp_targetILNS1_3genE2ELNS1_11target_archE906ELNS1_3gpuE6ELNS1_3repE0EEENS1_30default_config_static_selectorELNS0_4arch9wavefront6targetE0EEEvSY_.has_indirect_call, 0
	.section	.AMDGPU.csdata,"",@progbits
; Kernel info:
; codeLenInByte = 0
; TotalNumSgprs: 0
; NumVgprs: 0
; ScratchSize: 0
; MemoryBound: 0
; FloatMode: 240
; IeeeMode: 1
; LDSByteSize: 0 bytes/workgroup (compile time only)
; SGPRBlocks: 0
; VGPRBlocks: 0
; NumSGPRsForWavesPerEU: 1
; NumVGPRsForWavesPerEU: 1
; Occupancy: 16
; WaveLimiterHint : 0
; COMPUTE_PGM_RSRC2:SCRATCH_EN: 0
; COMPUTE_PGM_RSRC2:USER_SGPR: 2
; COMPUTE_PGM_RSRC2:TRAP_HANDLER: 0
; COMPUTE_PGM_RSRC2:TGID_X_EN: 1
; COMPUTE_PGM_RSRC2:TGID_Y_EN: 0
; COMPUTE_PGM_RSRC2:TGID_Z_EN: 0
; COMPUTE_PGM_RSRC2:TIDIG_COMP_CNT: 0
	.section	.text._ZN7rocprim17ROCPRIM_400000_NS6detail17trampoline_kernelINS0_13select_configILj256ELj13ELNS0_17block_load_methodE3ELS4_3ELS4_3ELNS0_20block_scan_algorithmE0ELj4294967295EEENS1_25partition_config_selectorILNS1_17partition_subalgoE3EjNS0_10empty_typeEbEEZZNS1_14partition_implILS8_3ELb0ES6_jNS0_17counting_iteratorIjlEEPS9_SE_NS0_5tupleIJPjSE_EEENSF_IJSE_SE_EEES9_SG_JZNS1_25segmented_radix_sort_implINS0_14default_configELb0EPKhPhPKlPlN2at6native12_GLOBAL__N_18offset_tEEE10hipError_tPvRmT1_PNSt15iterator_traitsISY_E10value_typeET2_T3_PNSZ_IS14_E10value_typeET4_jRbjT5_S1A_jjP12ihipStream_tbEUljE_EEESV_SW_SX_S14_S18_S1A_T6_T7_T9_mT8_S1C_bDpT10_ENKUlT_T0_E_clISt17integral_constantIbLb0EES1O_IbLb1EEEEDaS1K_S1L_EUlS1K_E_NS1_11comp_targetILNS1_3genE10ELNS1_11target_archE1200ELNS1_3gpuE4ELNS1_3repE0EEENS1_30default_config_static_selectorELNS0_4arch9wavefront6targetE0EEEvSY_,"axG",@progbits,_ZN7rocprim17ROCPRIM_400000_NS6detail17trampoline_kernelINS0_13select_configILj256ELj13ELNS0_17block_load_methodE3ELS4_3ELS4_3ELNS0_20block_scan_algorithmE0ELj4294967295EEENS1_25partition_config_selectorILNS1_17partition_subalgoE3EjNS0_10empty_typeEbEEZZNS1_14partition_implILS8_3ELb0ES6_jNS0_17counting_iteratorIjlEEPS9_SE_NS0_5tupleIJPjSE_EEENSF_IJSE_SE_EEES9_SG_JZNS1_25segmented_radix_sort_implINS0_14default_configELb0EPKhPhPKlPlN2at6native12_GLOBAL__N_18offset_tEEE10hipError_tPvRmT1_PNSt15iterator_traitsISY_E10value_typeET2_T3_PNSZ_IS14_E10value_typeET4_jRbjT5_S1A_jjP12ihipStream_tbEUljE_EEESV_SW_SX_S14_S18_S1A_T6_T7_T9_mT8_S1C_bDpT10_ENKUlT_T0_E_clISt17integral_constantIbLb0EES1O_IbLb1EEEEDaS1K_S1L_EUlS1K_E_NS1_11comp_targetILNS1_3genE10ELNS1_11target_archE1200ELNS1_3gpuE4ELNS1_3repE0EEENS1_30default_config_static_selectorELNS0_4arch9wavefront6targetE0EEEvSY_,comdat
	.globl	_ZN7rocprim17ROCPRIM_400000_NS6detail17trampoline_kernelINS0_13select_configILj256ELj13ELNS0_17block_load_methodE3ELS4_3ELS4_3ELNS0_20block_scan_algorithmE0ELj4294967295EEENS1_25partition_config_selectorILNS1_17partition_subalgoE3EjNS0_10empty_typeEbEEZZNS1_14partition_implILS8_3ELb0ES6_jNS0_17counting_iteratorIjlEEPS9_SE_NS0_5tupleIJPjSE_EEENSF_IJSE_SE_EEES9_SG_JZNS1_25segmented_radix_sort_implINS0_14default_configELb0EPKhPhPKlPlN2at6native12_GLOBAL__N_18offset_tEEE10hipError_tPvRmT1_PNSt15iterator_traitsISY_E10value_typeET2_T3_PNSZ_IS14_E10value_typeET4_jRbjT5_S1A_jjP12ihipStream_tbEUljE_EEESV_SW_SX_S14_S18_S1A_T6_T7_T9_mT8_S1C_bDpT10_ENKUlT_T0_E_clISt17integral_constantIbLb0EES1O_IbLb1EEEEDaS1K_S1L_EUlS1K_E_NS1_11comp_targetILNS1_3genE10ELNS1_11target_archE1200ELNS1_3gpuE4ELNS1_3repE0EEENS1_30default_config_static_selectorELNS0_4arch9wavefront6targetE0EEEvSY_ ; -- Begin function _ZN7rocprim17ROCPRIM_400000_NS6detail17trampoline_kernelINS0_13select_configILj256ELj13ELNS0_17block_load_methodE3ELS4_3ELS4_3ELNS0_20block_scan_algorithmE0ELj4294967295EEENS1_25partition_config_selectorILNS1_17partition_subalgoE3EjNS0_10empty_typeEbEEZZNS1_14partition_implILS8_3ELb0ES6_jNS0_17counting_iteratorIjlEEPS9_SE_NS0_5tupleIJPjSE_EEENSF_IJSE_SE_EEES9_SG_JZNS1_25segmented_radix_sort_implINS0_14default_configELb0EPKhPhPKlPlN2at6native12_GLOBAL__N_18offset_tEEE10hipError_tPvRmT1_PNSt15iterator_traitsISY_E10value_typeET2_T3_PNSZ_IS14_E10value_typeET4_jRbjT5_S1A_jjP12ihipStream_tbEUljE_EEESV_SW_SX_S14_S18_S1A_T6_T7_T9_mT8_S1C_bDpT10_ENKUlT_T0_E_clISt17integral_constantIbLb0EES1O_IbLb1EEEEDaS1K_S1L_EUlS1K_E_NS1_11comp_targetILNS1_3genE10ELNS1_11target_archE1200ELNS1_3gpuE4ELNS1_3repE0EEENS1_30default_config_static_selectorELNS0_4arch9wavefront6targetE0EEEvSY_
	.p2align	8
	.type	_ZN7rocprim17ROCPRIM_400000_NS6detail17trampoline_kernelINS0_13select_configILj256ELj13ELNS0_17block_load_methodE3ELS4_3ELS4_3ELNS0_20block_scan_algorithmE0ELj4294967295EEENS1_25partition_config_selectorILNS1_17partition_subalgoE3EjNS0_10empty_typeEbEEZZNS1_14partition_implILS8_3ELb0ES6_jNS0_17counting_iteratorIjlEEPS9_SE_NS0_5tupleIJPjSE_EEENSF_IJSE_SE_EEES9_SG_JZNS1_25segmented_radix_sort_implINS0_14default_configELb0EPKhPhPKlPlN2at6native12_GLOBAL__N_18offset_tEEE10hipError_tPvRmT1_PNSt15iterator_traitsISY_E10value_typeET2_T3_PNSZ_IS14_E10value_typeET4_jRbjT5_S1A_jjP12ihipStream_tbEUljE_EEESV_SW_SX_S14_S18_S1A_T6_T7_T9_mT8_S1C_bDpT10_ENKUlT_T0_E_clISt17integral_constantIbLb0EES1O_IbLb1EEEEDaS1K_S1L_EUlS1K_E_NS1_11comp_targetILNS1_3genE10ELNS1_11target_archE1200ELNS1_3gpuE4ELNS1_3repE0EEENS1_30default_config_static_selectorELNS0_4arch9wavefront6targetE0EEEvSY_,@function
_ZN7rocprim17ROCPRIM_400000_NS6detail17trampoline_kernelINS0_13select_configILj256ELj13ELNS0_17block_load_methodE3ELS4_3ELS4_3ELNS0_20block_scan_algorithmE0ELj4294967295EEENS1_25partition_config_selectorILNS1_17partition_subalgoE3EjNS0_10empty_typeEbEEZZNS1_14partition_implILS8_3ELb0ES6_jNS0_17counting_iteratorIjlEEPS9_SE_NS0_5tupleIJPjSE_EEENSF_IJSE_SE_EEES9_SG_JZNS1_25segmented_radix_sort_implINS0_14default_configELb0EPKhPhPKlPlN2at6native12_GLOBAL__N_18offset_tEEE10hipError_tPvRmT1_PNSt15iterator_traitsISY_E10value_typeET2_T3_PNSZ_IS14_E10value_typeET4_jRbjT5_S1A_jjP12ihipStream_tbEUljE_EEESV_SW_SX_S14_S18_S1A_T6_T7_T9_mT8_S1C_bDpT10_ENKUlT_T0_E_clISt17integral_constantIbLb0EES1O_IbLb1EEEEDaS1K_S1L_EUlS1K_E_NS1_11comp_targetILNS1_3genE10ELNS1_11target_archE1200ELNS1_3gpuE4ELNS1_3repE0EEENS1_30default_config_static_selectorELNS0_4arch9wavefront6targetE0EEEvSY_: ; @_ZN7rocprim17ROCPRIM_400000_NS6detail17trampoline_kernelINS0_13select_configILj256ELj13ELNS0_17block_load_methodE3ELS4_3ELS4_3ELNS0_20block_scan_algorithmE0ELj4294967295EEENS1_25partition_config_selectorILNS1_17partition_subalgoE3EjNS0_10empty_typeEbEEZZNS1_14partition_implILS8_3ELb0ES6_jNS0_17counting_iteratorIjlEEPS9_SE_NS0_5tupleIJPjSE_EEENSF_IJSE_SE_EEES9_SG_JZNS1_25segmented_radix_sort_implINS0_14default_configELb0EPKhPhPKlPlN2at6native12_GLOBAL__N_18offset_tEEE10hipError_tPvRmT1_PNSt15iterator_traitsISY_E10value_typeET2_T3_PNSZ_IS14_E10value_typeET4_jRbjT5_S1A_jjP12ihipStream_tbEUljE_EEESV_SW_SX_S14_S18_S1A_T6_T7_T9_mT8_S1C_bDpT10_ENKUlT_T0_E_clISt17integral_constantIbLb0EES1O_IbLb1EEEEDaS1K_S1L_EUlS1K_E_NS1_11comp_targetILNS1_3genE10ELNS1_11target_archE1200ELNS1_3gpuE4ELNS1_3repE0EEENS1_30default_config_static_selectorELNS0_4arch9wavefront6targetE0EEEvSY_
; %bb.0:
	s_clause 0x6
	s_load_b64 s[16:17], s[0:1], 0x10
	s_load_b64 s[10:11], s[0:1], 0x28
	;; [unrolled: 1-line block ×3, first 2 shown]
	s_load_b128 s[12:15], s[0:1], 0x48
	s_load_b32 s3, s[0:1], 0x90
	s_load_b64 s[20:21], s[0:1], 0x68
	s_load_b128 s[4:7], s[0:1], 0x80
	v_cmp_eq_u32_e64 s2, 0, v0
	s_and_saveexec_b32 s8, s2
	s_cbranch_execz .LBB183_4
; %bb.1:
	s_mov_b32 s22, exec_lo
	s_mov_b32 s9, exec_lo
	v_mbcnt_lo_u32_b32 v1, s22, 0
                                        ; implicit-def: $vgpr2
	s_delay_alu instid0(VALU_DEP_1)
	v_cmpx_eq_u32_e32 0, v1
	s_cbranch_execz .LBB183_3
; %bb.2:
	s_load_b64 s[24:25], s[0:1], 0x78
	s_bcnt1_i32_b32 s22, s22
	s_wait_alu 0xfffe
	v_dual_mov_b32 v2, 0 :: v_dual_mov_b32 v3, s22
	s_wait_kmcnt 0x0
	global_atomic_add_u32 v2, v2, v3, s[24:25] th:TH_ATOMIC_RETURN scope:SCOPE_DEV
.LBB183_3:
	s_or_b32 exec_lo, exec_lo, s9
	s_wait_loadcnt 0x0
	v_readfirstlane_b32 s9, v2
	s_delay_alu instid0(VALU_DEP_1)
	v_dual_mov_b32 v2, 0 :: v_dual_add_nc_u32 v1, s9, v1
	ds_store_b32 v2, v1
.LBB183_4:
	s_or_b32 exec_lo, exec_lo, s8
	v_mov_b32_e32 v1, 0
	s_clause 0x1
	s_load_b32 s8, s[0:1], 0x8
	s_load_b32 s0, s[0:1], 0x70
	s_wait_dscnt 0x0
	s_barrier_signal -1
	s_barrier_wait -1
	global_inv scope:SCOPE_SE
	ds_load_b32 v2, v1
	s_wait_loadcnt_dscnt 0x0
	s_barrier_signal -1
	s_barrier_wait -1
	global_inv scope:SCOPE_SE
	s_wait_kmcnt 0x0
	global_load_b64 v[17:18], v1, s[14:15]
	s_mov_b32 s1, 0
	v_lshlrev_b32_e32 v45, 2, v0
	s_mov_b32 s23, -1
	s_add_co_i32 s8, s8, s16
	s_add_co_i32 s9, s0, -1
	s_mulk_i32 s0, 0xd00
	s_delay_alu instid0(SALU_CYCLE_1)
	s_add_co_i32 s14, s0, s16
	s_add_nc_u64 s[0:1], s[16:17], s[0:1]
	v_readfirstlane_b32 s15, v2
	v_cmp_gt_u64_e64 s0, s[18:19], s[0:1]
	s_sub_co_i32 s22, s18, s14
	s_wait_alu 0xfffe
	v_cmp_ne_u32_e32 vcc_lo, s9, v2
	s_addk_co_i32 s22, 0xd00
	s_cmp_eq_u32 s15, s9
	s_mul_i32 s14, s15, 0xd00
	s_cselect_b32 s9, -1, 0
	s_or_b32 s1, s0, vcc_lo
	s_wait_alu 0xfffe
	s_and_b32 vcc_lo, exec_lo, s1
	s_cbranch_vccz .LBB183_6
; %bb.5:
	v_add3_u32 v1, s14, s8, v0
	s_mov_b32 s23, 0
	s_delay_alu instid0(VALU_DEP_1)
	v_add_nc_u32_e32 v2, 0x100, v1
	v_add_nc_u32_e32 v3, 0x200, v1
	;; [unrolled: 1-line block ×12, first 2 shown]
	ds_store_2addr_stride64_b32 v45, v1, v2 offset1:4
	ds_store_2addr_stride64_b32 v45, v3, v4 offset0:8 offset1:12
	ds_store_2addr_stride64_b32 v45, v5, v6 offset0:16 offset1:20
	;; [unrolled: 1-line block ×5, first 2 shown]
	ds_store_b32 v45, v13 offset:12288
	s_wait_loadcnt_dscnt 0x0
	s_barrier_signal -1
	s_barrier_wait -1
.LBB183_6:
	v_cmp_gt_u32_e64 s0, s22, v0
	v_or_b32_e32 v44, 0x100, v0
	v_or_b32_e32 v43, 0x200, v0
	;; [unrolled: 1-line block ×12, first 2 shown]
	s_wait_alu 0xfffe
	s_and_not1_b32 vcc_lo, exec_lo, s23
	s_cbranch_vccnz .LBB183_8
; %bb.7:
	s_add_co_i32 s8, s14, s8
	v_cmp_gt_u32_e32 vcc_lo, s22, v44
	s_wait_alu 0xfffe
	v_add_nc_u32_e32 v13, s8, v33
	v_add_nc_u32_e32 v12, s8, v34
	;; [unrolled: 1-line block ×12, first 2 shown]
	s_delay_alu instid0(VALU_DEP_1) | instskip(SKIP_1) | instid1(VALU_DEP_2)
	v_dual_cndmask_b32 v2, 0, v2 :: v_dual_add_nc_u32 v1, s8, v0
	v_cmp_gt_u32_e32 vcc_lo, s22, v43
	v_cndmask_b32_e64 v1, 0, v1, s0
	s_wait_alu 0xfffd
	v_cndmask_b32_e32 v3, 0, v3, vcc_lo
	v_cmp_gt_u32_e32 vcc_lo, s22, v42
	s_wait_alu 0xfffd
	v_cndmask_b32_e32 v4, 0, v4, vcc_lo
	v_cmp_gt_u32_e32 vcc_lo, s22, v41
	;; [unrolled: 3-line block ×10, first 2 shown]
	s_wait_alu 0xfffd
	v_cndmask_b32_e32 v13, 0, v13, vcc_lo
	ds_store_2addr_stride64_b32 v45, v1, v2 offset1:4
	ds_store_2addr_stride64_b32 v45, v3, v4 offset0:8 offset1:12
	ds_store_2addr_stride64_b32 v45, v5, v6 offset0:16 offset1:20
	;; [unrolled: 1-line block ×5, first 2 shown]
	ds_store_b32 v45, v13 offset:12288
	s_wait_loadcnt_dscnt 0x0
	s_barrier_signal -1
	s_barrier_wait -1
.LBB183_8:
	v_mul_u32_u24_e32 v48, 13, v0
	s_wait_loadcnt 0x0
	global_inv scope:SCOPE_SE
	v_cndmask_b32_e64 v46, 0, 1, s1
	s_and_not1_b32 vcc_lo, exec_lo, s1
	v_lshlrev_b32_e32 v1, 2, v48
	ds_load_2addr_b32 v[29:30], v1 offset0:2 offset1:3
	ds_load_2addr_b32 v[25:26], v1 offset0:6 offset1:7
	;; [unrolled: 1-line block ×3, first 2 shown]
	ds_load_2addr_b32 v[31:32], v1 offset1:1
	ds_load_2addr_b32 v[21:22], v1 offset0:10 offset1:11
	ds_load_b32 v47, v1 offset:48
	ds_load_2addr_b32 v[23:24], v1 offset0:8 offset1:9
	s_wait_loadcnt_dscnt 0x0
	s_barrier_signal -1
	s_barrier_wait -1
	global_inv scope:SCOPE_SE
	s_wait_alu 0xfffe
	s_cbranch_vccnz .LBB183_10
; %bb.9:
	v_add_nc_u32_e32 v1, s5, v30
	v_add_nc_u32_e32 v2, s7, v30
	;; [unrolled: 1-line block ×5, first 2 shown]
	v_mul_lo_u32 v1, v1, s4
	v_mul_lo_u32 v2, v2, s6
	v_add_nc_u32_e32 v8, s7, v29
	v_add_nc_u32_e32 v3, s5, v32
	;; [unrolled: 1-line block ×3, first 2 shown]
	v_mul_lo_u32 v5, v5, s4
	v_mul_lo_u32 v4, v4, s4
	v_add_nc_u32_e32 v9, s5, v27
	v_mul_lo_u32 v3, v3, s4
	v_sub_nc_u32_e32 v1, v1, v2
	v_mul_lo_u32 v2, v7, s6
	v_mul_lo_u32 v7, v8, s6
	v_mul_lo_u32 v6, v6, s6
	v_add_nc_u32_e32 v8, s5, v28
	v_add_nc_u32_e32 v10, s7, v27
	v_mul_lo_u32 v9, v9, s4
	v_cmp_lt_u32_e32 vcc_lo, s3, v1
	v_add_nc_u32_e32 v14, s7, v22
	v_sub_nc_u32_e32 v2, v4, v2
	v_sub_nc_u32_e32 v4, v5, v7
	v_add_nc_u32_e32 v5, s7, v28
	v_sub_nc_u32_e32 v3, v3, v6
	v_add_nc_u32_e32 v6, s5, v26
	v_add_nc_u32_e32 v7, s7, v26
	v_mul_lo_u32 v8, v8, s4
	v_mul_lo_u32 v5, v5, s6
	;; [unrolled: 1-line block ×5, first 2 shown]
	s_wait_alu 0xfffd
	v_cndmask_b32_e64 v1, 0, 1, vcc_lo
	v_cmp_lt_u32_e32 vcc_lo, s3, v3
	v_mul_lo_u32 v14, v14, s6
	v_add_nc_u32_e32 v15, s7, v24
	v_sub_nc_u32_e32 v5, v8, v5
	v_add_nc_u32_e32 v8, s7, v25
	s_wait_alu 0xfffd
	v_cndmask_b32_e64 v3, 0, 1, vcc_lo
	v_sub_nc_u32_e32 v6, v6, v7
	v_mul_lo_u32 v15, v15, s6
	v_cmp_lt_u32_e32 vcc_lo, s3, v5
	v_mul_lo_u32 v7, v8, s6
	v_sub_nc_u32_e32 v8, v9, v10
	v_add_nc_u32_e32 v9, s5, v22
	v_add_nc_u32_e32 v10, s5, v24
	s_wait_alu 0xfffd
	v_cndmask_b32_e64 v5, 0, 1, vcc_lo
	v_cmp_lt_u32_e32 vcc_lo, s3, v6
	v_add_nc_u32_e32 v11, s5, v25
	v_mul_lo_u32 v9, v9, s4
	v_mul_lo_u32 v10, v10, s4
	v_add_nc_u32_e32 v12, s5, v23
	s_wait_alu 0xfffd
	v_cndmask_b32_e64 v6, 0, 1, vcc_lo
	v_mul_lo_u32 v11, v11, s4
	v_add_nc_u32_e32 v16, s7, v23
	v_lshlrev_b16 v3, 8, v3
	v_add_nc_u32_e32 v13, s5, v21
	v_sub_nc_u32_e32 v9, v9, v14
	v_sub_nc_u32_e32 v10, v10, v15
	v_add_nc_u32_e32 v19, s7, v21
	v_mul_lo_u32 v12, v12, s4
	v_mul_lo_u32 v16, v16, s6
	v_cmp_lt_u32_e32 vcc_lo, s3, v9
	v_sub_nc_u32_e32 v7, v11, v7
	v_lshrrev_b32_e32 v3, 8, v3
	v_mul_lo_u32 v11, v13, s4
	v_mul_lo_u32 v13, v19, s6
	s_wait_alu 0xfffd
	v_cndmask_b32_e64 v9, 0, 1, vcc_lo
	v_cmp_lt_u32_e32 vcc_lo, s3, v2
	v_sub_nc_u32_e32 v12, v12, v16
	v_lshlrev_b16 v3, 8, v3
	v_lshlrev_b16 v1, 8, v1
	;; [unrolled: 1-line block ×3, first 2 shown]
	s_wait_alu 0xfffd
	v_cndmask_b32_e64 v2, 0, 1, vcc_lo
	v_cmp_lt_u32_e32 vcc_lo, s3, v10
	v_sub_nc_u32_e32 v11, v11, v13
	v_add_nc_u32_e32 v14, s5, v47
	v_add_nc_u32_e32 v15, s7, v47
	v_or_b32_e32 v2, v2, v3
	s_wait_alu 0xfffd
	v_cndmask_b32_e64 v10, 0, 1, vcc_lo
	v_cmp_lt_u32_e32 vcc_lo, s3, v4
	v_lshlrev_b16 v3, 8, v9
	v_lshrrev_b32_e32 v5, 8, v5
	v_lshrrev_b32_e32 v1, 8, v1
	v_lshlrev_b16 v9, 8, v10
	s_wait_alu 0xfffd
	v_cndmask_b32_e64 v4, 0, 1, vcc_lo
	v_cmp_lt_u32_e32 vcc_lo, s3, v8
	v_lshrrev_b32_e32 v3, 8, v3
	v_mul_lo_u32 v14, v14, s4
	v_lshrrev_b32_e32 v9, 8, v9
	v_mul_lo_u32 v15, v15, s6
	s_wait_alu 0xfffd
	v_cndmask_b32_e64 v8, 0, 1, vcc_lo
	v_cmp_lt_u32_e32 vcc_lo, s3, v7
	v_lshlrev_b16 v6, 8, v6
	v_lshlrev_b16 v1, 8, v1
	;; [unrolled: 1-line block ×4, first 2 shown]
	s_wait_alu 0xfffd
	v_cndmask_b32_e64 v7, 0, 1, vcc_lo
	v_cmp_lt_u32_e32 vcc_lo, s3, v12
	v_lshlrev_b16 v3, 8, v3
	v_sub_nc_u32_e32 v10, v14, v15
	v_or_b32_e32 v1, v4, v1
	v_or_b32_e32 v4, v8, v5
	s_wait_alu 0xfffd
	v_cndmask_b32_e64 v12, 0, 1, vcc_lo
	v_cmp_lt_u32_e32 vcc_lo, s3, v11
	v_or_b32_e32 v5, v7, v6
	v_and_b32_e32 v2, 0xffff, v2
	v_lshlrev_b32_e32 v1, 16, v1
	v_or_b32_e32 v6, v12, v9
	s_wait_alu 0xfffd
	v_cndmask_b32_e64 v11, 0, 1, vcc_lo
	v_and_b32_e32 v4, 0xffff, v4
	v_lshlrev_b32_e32 v5, 16, v5
	v_cmp_lt_u32_e32 vcc_lo, s3, v10
	v_and_b32_e32 v6, 0xffff, v6
	v_or_b32_e32 v3, v11, v3
	v_or_b32_e32 v54, v2, v1
	;; [unrolled: 1-line block ×3, first 2 shown]
	s_wait_alu 0xfffd
	v_cndmask_b32_e64 v49, 0, 1, vcc_lo
	v_lshlrev_b32_e32 v3, 16, v3
	s_delay_alu instid0(VALU_DEP_1)
	v_or_b32_e32 v50, v6, v3
	s_cbranch_execz .LBB183_11
	s_branch .LBB183_38
.LBB183_10:
                                        ; implicit-def: $vgpr49
                                        ; implicit-def: $vgpr50
                                        ; implicit-def: $vgpr52
                                        ; implicit-def: $vgpr54
.LBB183_11:
	v_dual_mov_b32 v2, 0 :: v_dual_mov_b32 v1, 0
	s_mov_b32 s0, exec_lo
	v_cmpx_gt_u32_e64 s22, v48
	s_cbranch_execz .LBB183_13
; %bb.12:
	v_add_nc_u32_e32 v1, s5, v31
	v_add_nc_u32_e32 v3, s7, v31
	s_delay_alu instid0(VALU_DEP_2) | instskip(NEXT) | instid1(VALU_DEP_2)
	v_mul_lo_u32 v1, v1, s4
	v_mul_lo_u32 v3, v3, s6
	s_delay_alu instid0(VALU_DEP_1) | instskip(NEXT) | instid1(VALU_DEP_1)
	v_sub_nc_u32_e32 v1, v1, v3
	v_cmp_lt_u32_e32 vcc_lo, s3, v1
	s_wait_alu 0xfffd
	v_cndmask_b32_e64 v1, 0, 1, vcc_lo
.LBB183_13:
	s_wait_alu 0xfffe
	s_or_b32 exec_lo, exec_lo, s0
	v_add_nc_u32_e32 v3, 1, v48
	s_mov_b32 s0, exec_lo
	s_delay_alu instid0(VALU_DEP_1)
	v_cmpx_gt_u32_e64 s22, v3
	s_cbranch_execz .LBB183_15
; %bb.14:
	v_add_nc_u32_e32 v2, s5, v32
	v_add_nc_u32_e32 v3, s7, v32
	s_delay_alu instid0(VALU_DEP_2) | instskip(NEXT) | instid1(VALU_DEP_2)
	v_mul_lo_u32 v2, v2, s4
	v_mul_lo_u32 v3, v3, s6
	s_delay_alu instid0(VALU_DEP_1) | instskip(NEXT) | instid1(VALU_DEP_1)
	v_sub_nc_u32_e32 v2, v2, v3
	v_cmp_lt_u32_e32 vcc_lo, s3, v2
	s_wait_alu 0xfffd
	v_cndmask_b32_e64 v2, 0, 1, vcc_lo
.LBB183_15:
	s_wait_alu 0xfffe
	s_or_b32 exec_lo, exec_lo, s0
	v_dual_mov_b32 v4, 0 :: v_dual_add_nc_u32 v3, 2, v48
	s_delay_alu instid0(VALU_DEP_1)
	v_cmp_gt_u32_e32 vcc_lo, s22, v3
	v_mov_b32_e32 v3, 0
	s_and_saveexec_b32 s0, vcc_lo
	s_cbranch_execz .LBB183_17
; %bb.16:
	v_add_nc_u32_e32 v3, s5, v29
	v_add_nc_u32_e32 v5, s7, v29
	s_delay_alu instid0(VALU_DEP_2) | instskip(NEXT) | instid1(VALU_DEP_2)
	v_mul_lo_u32 v3, v3, s4
	v_mul_lo_u32 v5, v5, s6
	s_delay_alu instid0(VALU_DEP_1) | instskip(NEXT) | instid1(VALU_DEP_1)
	v_sub_nc_u32_e32 v3, v3, v5
	v_cmp_lt_u32_e32 vcc_lo, s3, v3
	s_wait_alu 0xfffd
	v_cndmask_b32_e64 v3, 0, 1, vcc_lo
.LBB183_17:
	s_wait_alu 0xfffe
	s_or_b32 exec_lo, exec_lo, s0
	v_add_nc_u32_e32 v5, 3, v48
	s_mov_b32 s0, exec_lo
	s_delay_alu instid0(VALU_DEP_1)
	v_cmpx_gt_u32_e64 s22, v5
	s_cbranch_execz .LBB183_19
; %bb.18:
	v_add_nc_u32_e32 v4, s5, v30
	v_add_nc_u32_e32 v5, s7, v30
	s_delay_alu instid0(VALU_DEP_2) | instskip(NEXT) | instid1(VALU_DEP_2)
	v_mul_lo_u32 v4, v4, s4
	v_mul_lo_u32 v5, v5, s6
	s_delay_alu instid0(VALU_DEP_1) | instskip(NEXT) | instid1(VALU_DEP_1)
	v_sub_nc_u32_e32 v4, v4, v5
	v_cmp_lt_u32_e32 vcc_lo, s3, v4
	s_wait_alu 0xfffd
	v_cndmask_b32_e64 v4, 0, 1, vcc_lo
.LBB183_19:
	s_wait_alu 0xfffe
	s_or_b32 exec_lo, exec_lo, s0
	v_dual_mov_b32 v6, 0 :: v_dual_add_nc_u32 v5, 4, v48
	s_delay_alu instid0(VALU_DEP_1)
	v_cmp_gt_u32_e32 vcc_lo, s22, v5
	v_mov_b32_e32 v5, 0
	s_and_saveexec_b32 s0, vcc_lo
	;; [unrolled: 39-line block ×5, first 2 shown]
	s_cbranch_execz .LBB183_33
; %bb.32:
	v_add_nc_u32_e32 v11, s5, v21
	v_add_nc_u32_e32 v13, s7, v21
	s_delay_alu instid0(VALU_DEP_2) | instskip(NEXT) | instid1(VALU_DEP_2)
	v_mul_lo_u32 v11, v11, s4
	v_mul_lo_u32 v13, v13, s6
	s_delay_alu instid0(VALU_DEP_1) | instskip(NEXT) | instid1(VALU_DEP_1)
	v_sub_nc_u32_e32 v11, v11, v13
	v_cmp_lt_u32_e32 vcc_lo, s3, v11
	s_wait_alu 0xfffd
	v_cndmask_b32_e64 v11, 0, 1, vcc_lo
.LBB183_33:
	s_wait_alu 0xfffe
	s_or_b32 exec_lo, exec_lo, s0
	v_add_nc_u32_e32 v13, 11, v48
	s_mov_b32 s0, exec_lo
	s_delay_alu instid0(VALU_DEP_1)
	v_cmpx_gt_u32_e64 s22, v13
	s_cbranch_execz .LBB183_35
; %bb.34:
	v_add_nc_u32_e32 v12, s5, v22
	v_add_nc_u32_e32 v13, s7, v22
	s_delay_alu instid0(VALU_DEP_2) | instskip(NEXT) | instid1(VALU_DEP_2)
	v_mul_lo_u32 v12, v12, s4
	v_mul_lo_u32 v13, v13, s6
	s_delay_alu instid0(VALU_DEP_1) | instskip(NEXT) | instid1(VALU_DEP_1)
	v_sub_nc_u32_e32 v12, v12, v13
	v_cmp_lt_u32_e32 vcc_lo, s3, v12
	s_wait_alu 0xfffd
	v_cndmask_b32_e64 v12, 0, 1, vcc_lo
.LBB183_35:
	s_wait_alu 0xfffe
	s_or_b32 exec_lo, exec_lo, s0
	v_add_nc_u32_e32 v13, 12, v48
	v_mov_b32_e32 v49, 0
	s_mov_b32 s0, exec_lo
	s_delay_alu instid0(VALU_DEP_2)
	v_cmpx_gt_u32_e64 s22, v13
	s_cbranch_execz .LBB183_37
; %bb.36:
	v_add_nc_u32_e32 v13, s5, v47
	v_add_nc_u32_e32 v14, s7, v47
	s_delay_alu instid0(VALU_DEP_2) | instskip(NEXT) | instid1(VALU_DEP_2)
	v_mul_lo_u32 v13, v13, s4
	v_mul_lo_u32 v14, v14, s6
	s_delay_alu instid0(VALU_DEP_1) | instskip(NEXT) | instid1(VALU_DEP_1)
	v_sub_nc_u32_e32 v13, v13, v14
	v_cmp_lt_u32_e32 vcc_lo, s3, v13
	s_wait_alu 0xfffd
	v_cndmask_b32_e64 v49, 0, 1, vcc_lo
.LBB183_37:
	s_wait_alu 0xfffe
	s_or_b32 exec_lo, exec_lo, s0
	v_lshlrev_b16 v2, 8, v2
	v_lshlrev_b16 v4, 8, v4
	;; [unrolled: 1-line block ×5, first 2 shown]
	v_or_b32_e32 v1, v1, v2
	v_lshlrev_b16 v2, 8, v12
	v_or_b32_e32 v3, v3, v4
	v_or_b32_e32 v4, v5, v6
	;; [unrolled: 1-line block ×5, first 2 shown]
	v_and_b32_e32 v1, 0xffff, v1
	v_lshlrev_b32_e32 v3, 16, v3
	v_and_b32_e32 v4, 0xffff, v4
	v_lshlrev_b32_e32 v5, 16, v5
	;; [unrolled: 2-line block ×3, first 2 shown]
	v_or_b32_e32 v54, v1, v3
	s_delay_alu instid0(VALU_DEP_4) | instskip(NEXT) | instid1(VALU_DEP_3)
	v_or_b32_e32 v52, v4, v5
	v_or_b32_e32 v50, v6, v2
.LBB183_38:
	s_delay_alu instid0(VALU_DEP_3)
	v_and_b32_e32 v56, 0xff, v54
	v_bfe_u32 v57, v54, 8, 8
	v_bfe_u32 v58, v54, 16, 8
	v_lshrrev_b32_e32 v55, 24, v54
	v_and_b32_e32 v59, 0xff, v52
	v_bfe_u32 v60, v52, 8, 8
	v_bfe_u32 v61, v52, 16, 8
	v_add3_u32 v1, v57, v56, v58
	v_lshrrev_b32_e32 v53, 24, v52
	v_and_b32_e32 v62, 0xff, v50
	v_bfe_u32 v63, v50, 8, 8
	v_mbcnt_lo_u32_b32 v65, -1, 0
	v_add3_u32 v1, v1, v55, v59
	v_bfe_u32 v64, v50, 16, 8
	v_lshrrev_b32_e32 v51, 24, v50
	v_and_b32_e32 v2, 0xff, v49
	v_and_b32_e32 v3, 15, v65
	v_add3_u32 v1, v1, v60, v61
	v_or_b32_e32 v4, 31, v0
	v_and_b32_e32 v5, 16, v65
	v_lshrrev_b32_e32 v66, 5, v0
	v_cmp_eq_u32_e64 s6, 0, v3
	v_add3_u32 v1, v1, v53, v62
	v_cmp_lt_u32_e64 s5, 1, v3
	v_cmp_lt_u32_e64 s4, 3, v3
	;; [unrolled: 1-line block ×3, first 2 shown]
	v_cmp_eq_u32_e64 s1, 0, v5
	v_add3_u32 v1, v1, v63, v64
	v_cmp_eq_u32_e64 s0, v0, v4
	s_cmp_lg_u32 s15, 0
	s_mov_b32 s7, -1
	v_add3_u32 v67, v1, v51, v2
	s_cbranch_scc0 .LBB183_59
; %bb.39:
	s_delay_alu instid0(VALU_DEP_1) | instskip(NEXT) | instid1(VALU_DEP_1)
	v_mov_b32_dpp v1, v67 row_shr:1 row_mask:0xf bank_mask:0xf
	v_cndmask_b32_e64 v1, v1, 0, s6
	s_delay_alu instid0(VALU_DEP_1) | instskip(NEXT) | instid1(VALU_DEP_1)
	v_add_nc_u32_e32 v1, v1, v67
	v_mov_b32_dpp v2, v1 row_shr:2 row_mask:0xf bank_mask:0xf
	s_delay_alu instid0(VALU_DEP_1) | instskip(NEXT) | instid1(VALU_DEP_1)
	v_cndmask_b32_e64 v2, 0, v2, s5
	v_add_nc_u32_e32 v1, v1, v2
	s_delay_alu instid0(VALU_DEP_1) | instskip(NEXT) | instid1(VALU_DEP_1)
	v_mov_b32_dpp v2, v1 row_shr:4 row_mask:0xf bank_mask:0xf
	v_cndmask_b32_e64 v2, 0, v2, s4
	s_delay_alu instid0(VALU_DEP_1) | instskip(NEXT) | instid1(VALU_DEP_1)
	v_add_nc_u32_e32 v1, v1, v2
	v_mov_b32_dpp v2, v1 row_shr:8 row_mask:0xf bank_mask:0xf
	s_delay_alu instid0(VALU_DEP_1) | instskip(NEXT) | instid1(VALU_DEP_1)
	v_cndmask_b32_e64 v2, 0, v2, s3
	v_add_nc_u32_e32 v1, v1, v2
	ds_swizzle_b32 v2, v1 offset:swizzle(BROADCAST,32,15)
	s_wait_dscnt 0x0
	v_cndmask_b32_e64 v2, v2, 0, s1
	s_delay_alu instid0(VALU_DEP_1)
	v_add_nc_u32_e32 v1, v1, v2
	s_and_saveexec_b32 s7, s0
; %bb.40:
	v_lshlrev_b32_e32 v2, 2, v66
	ds_store_b32 v2, v1
; %bb.41:
	s_wait_alu 0xfffe
	s_or_b32 exec_lo, exec_lo, s7
	s_delay_alu instid0(SALU_CYCLE_1)
	s_mov_b32 s7, exec_lo
	s_wait_loadcnt_dscnt 0x0
	s_barrier_signal -1
	s_barrier_wait -1
	global_inv scope:SCOPE_SE
	v_cmpx_gt_u32_e32 8, v0
	s_cbranch_execz .LBB183_43
; %bb.42:
	ds_load_b32 v2, v45
	s_wait_dscnt 0x0
	v_mov_b32_dpp v4, v2 row_shr:1 row_mask:0xf bank_mask:0xf
	v_and_b32_e32 v3, 7, v65
	s_delay_alu instid0(VALU_DEP_1) | instskip(SKIP_1) | instid1(VALU_DEP_3)
	v_cmp_ne_u32_e32 vcc_lo, 0, v3
	s_wait_alu 0xfffd
	v_cndmask_b32_e32 v4, 0, v4, vcc_lo
	v_cmp_lt_u32_e32 vcc_lo, 1, v3
	s_delay_alu instid0(VALU_DEP_2) | instskip(NEXT) | instid1(VALU_DEP_1)
	v_add_nc_u32_e32 v2, v4, v2
	v_mov_b32_dpp v4, v2 row_shr:2 row_mask:0xf bank_mask:0xf
	s_wait_alu 0xfffd
	s_delay_alu instid0(VALU_DEP_1) | instskip(SKIP_1) | instid1(VALU_DEP_2)
	v_cndmask_b32_e32 v4, 0, v4, vcc_lo
	v_cmp_lt_u32_e32 vcc_lo, 3, v3
	v_add_nc_u32_e32 v2, v2, v4
	s_delay_alu instid0(VALU_DEP_1) | instskip(SKIP_1) | instid1(VALU_DEP_1)
	v_mov_b32_dpp v4, v2 row_shr:4 row_mask:0xf bank_mask:0xf
	s_wait_alu 0xfffd
	v_cndmask_b32_e32 v3, 0, v4, vcc_lo
	s_delay_alu instid0(VALU_DEP_1)
	v_add_nc_u32_e32 v2, v2, v3
	ds_store_b32 v45, v2
.LBB183_43:
	s_wait_alu 0xfffe
	s_or_b32 exec_lo, exec_lo, s7
	s_delay_alu instid0(SALU_CYCLE_1)
	s_mov_b32 s8, exec_lo
	v_cmp_gt_u32_e32 vcc_lo, 32, v0
	s_wait_loadcnt_dscnt 0x0
	s_barrier_signal -1
	s_barrier_wait -1
	global_inv scope:SCOPE_SE
                                        ; implicit-def: $vgpr9
	v_cmpx_lt_u32_e32 31, v0
	s_cbranch_execz .LBB183_45
; %bb.44:
	v_lshl_add_u32 v2, v66, 2, -4
	ds_load_b32 v9, v2
	s_wait_dscnt 0x0
	v_add_nc_u32_e32 v1, v9, v1
.LBB183_45:
	s_wait_alu 0xfffe
	s_or_b32 exec_lo, exec_lo, s8
	v_sub_co_u32 v2, s7, v65, 1
	s_delay_alu instid0(VALU_DEP_1) | instskip(SKIP_1) | instid1(VALU_DEP_1)
	v_cmp_gt_i32_e64 s8, 0, v2
	s_wait_alu 0xf1ff
	v_cndmask_b32_e64 v2, v2, v65, s8
	s_delay_alu instid0(VALU_DEP_1)
	v_lshlrev_b32_e32 v2, 2, v2
	ds_bpermute_b32 v10, v2, v1
	s_and_saveexec_b32 s8, vcc_lo
	s_cbranch_execz .LBB183_64
; %bb.46:
	v_mov_b32_e32 v5, 0
	ds_load_b32 v1, v5 offset:28
	s_and_saveexec_b32 s23, s7
	s_cbranch_execz .LBB183_48
; %bb.47:
	s_add_co_i32 s24, s15, 32
	s_mov_b32 s25, 0
	v_mov_b32_e32 v2, 1
	s_lshl_b64 s[24:25], s[24:25], 3
	s_delay_alu instid0(SALU_CYCLE_1)
	s_add_nc_u64 s[24:25], s[20:21], s[24:25]
	s_wait_dscnt 0x0
	global_store_b64 v5, v[1:2], s[24:25] scope:SCOPE_DEV
.LBB183_48:
	s_wait_alu 0xfffe
	s_or_b32 exec_lo, exec_lo, s23
	v_xad_u32 v3, v65, -1, s15
	s_mov_b32 s24, 0
	s_mov_b32 s23, exec_lo
	s_delay_alu instid0(VALU_DEP_1) | instskip(NEXT) | instid1(VALU_DEP_1)
	v_add_nc_u32_e32 v4, 32, v3
	v_lshlrev_b64_e32 v[4:5], 3, v[4:5]
	s_delay_alu instid0(VALU_DEP_1) | instskip(SKIP_1) | instid1(VALU_DEP_2)
	v_add_co_u32 v7, vcc_lo, s20, v4
	s_wait_alu 0xfffd
	v_add_co_ci_u32_e64 v8, null, s21, v5, vcc_lo
	global_load_b64 v[5:6], v[7:8], off scope:SCOPE_DEV
	s_wait_loadcnt 0x0
	v_and_b32_e32 v2, 0xff, v6
	s_delay_alu instid0(VALU_DEP_1)
	v_cmpx_eq_u16_e32 0, v2
	s_cbranch_execz .LBB183_51
.LBB183_49:                             ; =>This Inner Loop Header: Depth=1
	global_load_b64 v[5:6], v[7:8], off scope:SCOPE_DEV
	s_wait_loadcnt 0x0
	v_and_b32_e32 v2, 0xff, v6
	s_delay_alu instid0(VALU_DEP_1) | instskip(SKIP_1) | instid1(SALU_CYCLE_1)
	v_cmp_ne_u16_e32 vcc_lo, 0, v2
	s_or_b32 s24, vcc_lo, s24
	s_and_not1_b32 exec_lo, exec_lo, s24
	s_cbranch_execnz .LBB183_49
; %bb.50:
	s_or_b32 exec_lo, exec_lo, s24
.LBB183_51:
	s_wait_alu 0xfffe
	s_or_b32 exec_lo, exec_lo, s23
	v_cmp_ne_u32_e32 vcc_lo, 31, v65
	v_lshlrev_b32_e64 v12, v65, -1
	v_add_nc_u32_e32 v14, 2, v65
	v_add_nc_u32_e32 v16, 4, v65
	v_add_nc_u32_e32 v20, 8, v65
	s_wait_alu 0xfffd
	v_add_co_ci_u32_e64 v2, null, 0, v65, vcc_lo
	v_lshl_or_b32 v68, v65, 2, 64
	v_add_nc_u32_e32 v69, 16, v65
	s_delay_alu instid0(VALU_DEP_3)
	v_lshlrev_b32_e32 v11, 2, v2
	v_and_b32_e32 v2, 0xff, v6
	ds_bpermute_b32 v4, v11, v5
	v_cmp_eq_u16_e32 vcc_lo, 2, v2
	s_wait_alu 0xfffd
	v_and_or_b32 v2, vcc_lo, v12, 0x80000000
	v_cmp_gt_u32_e32 vcc_lo, 30, v65
	s_delay_alu instid0(VALU_DEP_2) | instskip(SKIP_2) | instid1(VALU_DEP_2)
	v_ctz_i32_b32_e32 v2, v2
	s_wait_alu 0xfffd
	v_cndmask_b32_e64 v7, 0, 2, vcc_lo
	v_cmp_lt_u32_e32 vcc_lo, v65, v2
	s_delay_alu instid0(VALU_DEP_2) | instskip(SKIP_4) | instid1(VALU_DEP_2)
	v_add_lshl_u32 v13, v7, v65, 2
	s_wait_dscnt 0x0
	s_wait_alu 0xfffd
	v_cndmask_b32_e32 v4, 0, v4, vcc_lo
	v_cmp_gt_u32_e32 vcc_lo, 28, v65
	v_add_nc_u32_e32 v4, v4, v5
	s_wait_alu 0xfffd
	v_cndmask_b32_e64 v7, 0, 4, vcc_lo
	v_cmp_le_u32_e32 vcc_lo, v14, v2
	ds_bpermute_b32 v5, v13, v4
	v_add_lshl_u32 v15, v7, v65, 2
	s_wait_dscnt 0x0
	s_wait_alu 0xfffd
	v_cndmask_b32_e32 v5, 0, v5, vcc_lo
	v_cmp_gt_u32_e32 vcc_lo, 24, v65
	s_delay_alu instid0(VALU_DEP_2)
	v_add_nc_u32_e32 v4, v4, v5
	s_wait_alu 0xfffd
	v_cndmask_b32_e64 v7, 0, 8, vcc_lo
	v_cmp_le_u32_e32 vcc_lo, v16, v2
	ds_bpermute_b32 v5, v15, v4
	v_add_lshl_u32 v19, v7, v65, 2
	s_wait_dscnt 0x0
	s_wait_alu 0xfffd
	v_cndmask_b32_e32 v5, 0, v5, vcc_lo
	v_cmp_le_u32_e32 vcc_lo, v20, v2
	s_delay_alu instid0(VALU_DEP_2)
	v_add_nc_u32_e32 v4, v4, v5
	ds_bpermute_b32 v5, v19, v4
	s_wait_dscnt 0x0
	s_wait_alu 0xfffd
	v_cndmask_b32_e32 v5, 0, v5, vcc_lo
	v_cmp_le_u32_e32 vcc_lo, v69, v2
	s_delay_alu instid0(VALU_DEP_2) | instskip(SKIP_4) | instid1(VALU_DEP_1)
	v_add_nc_u32_e32 v4, v4, v5
	ds_bpermute_b32 v5, v68, v4
	s_wait_dscnt 0x0
	s_wait_alu 0xfffd
	v_cndmask_b32_e32 v2, 0, v5, vcc_lo
	v_dual_mov_b32 v4, 0 :: v_dual_add_nc_u32 v5, v4, v2
	s_branch .LBB183_55
.LBB183_52:                             ;   in Loop: Header=BB183_55 Depth=1
	s_or_b32 exec_lo, exec_lo, s24
.LBB183_53:                             ;   in Loop: Header=BB183_55 Depth=1
	s_wait_alu 0xfffe
	s_or_b32 exec_lo, exec_lo, s23
	ds_bpermute_b32 v8, v11, v5
	v_and_b32_e32 v7, 0xff, v6
	v_subrev_nc_u32_e32 v3, 32, v3
	s_mov_b32 s23, 0
	s_delay_alu instid0(VALU_DEP_2) | instskip(SKIP_2) | instid1(VALU_DEP_1)
	v_cmp_eq_u16_e32 vcc_lo, 2, v7
	s_wait_alu 0xfffd
	v_and_or_b32 v7, vcc_lo, v12, 0x80000000
	v_ctz_i32_b32_e32 v7, v7
	s_delay_alu instid0(VALU_DEP_1) | instskip(SKIP_4) | instid1(VALU_DEP_2)
	v_cmp_lt_u32_e32 vcc_lo, v65, v7
	s_wait_dscnt 0x0
	s_wait_alu 0xfffd
	v_cndmask_b32_e32 v8, 0, v8, vcc_lo
	v_cmp_le_u32_e32 vcc_lo, v14, v7
	v_add_nc_u32_e32 v5, v8, v5
	ds_bpermute_b32 v8, v13, v5
	s_wait_dscnt 0x0
	s_wait_alu 0xfffd
	v_cndmask_b32_e32 v8, 0, v8, vcc_lo
	v_cmp_le_u32_e32 vcc_lo, v16, v7
	s_delay_alu instid0(VALU_DEP_2)
	v_add_nc_u32_e32 v5, v5, v8
	ds_bpermute_b32 v8, v15, v5
	s_wait_dscnt 0x0
	s_wait_alu 0xfffd
	v_cndmask_b32_e32 v8, 0, v8, vcc_lo
	v_cmp_le_u32_e32 vcc_lo, v20, v7
	s_delay_alu instid0(VALU_DEP_2)
	v_add_nc_u32_e32 v5, v5, v8
	ds_bpermute_b32 v8, v19, v5
	s_wait_dscnt 0x0
	s_wait_alu 0xfffd
	v_cndmask_b32_e32 v8, 0, v8, vcc_lo
	v_cmp_le_u32_e32 vcc_lo, v69, v7
	s_delay_alu instid0(VALU_DEP_2) | instskip(SKIP_4) | instid1(VALU_DEP_1)
	v_add_nc_u32_e32 v5, v5, v8
	ds_bpermute_b32 v8, v68, v5
	s_wait_dscnt 0x0
	s_wait_alu 0xfffd
	v_cndmask_b32_e32 v7, 0, v8, vcc_lo
	v_add3_u32 v5, v7, v2, v5
.LBB183_54:                             ;   in Loop: Header=BB183_55 Depth=1
	s_wait_alu 0xfffe
	s_and_b32 vcc_lo, exec_lo, s23
	s_wait_alu 0xfffe
	s_cbranch_vccnz .LBB183_60
.LBB183_55:                             ; =>This Loop Header: Depth=1
                                        ;     Child Loop BB183_58 Depth 2
	v_and_b32_e32 v2, 0xff, v6
	s_mov_b32 s23, -1
                                        ; implicit-def: $vgpr6
	s_delay_alu instid0(VALU_DEP_1)
	v_cmp_ne_u16_e32 vcc_lo, 2, v2
	v_mov_b32_e32 v2, v5
                                        ; implicit-def: $vgpr5
	s_cmp_lg_u32 vcc_lo, exec_lo
	s_cbranch_scc1 .LBB183_54
; %bb.56:                               ;   in Loop: Header=BB183_55 Depth=1
	v_lshlrev_b64_e32 v[5:6], 3, v[3:4]
	s_mov_b32 s23, exec_lo
	s_delay_alu instid0(VALU_DEP_1) | instskip(SKIP_1) | instid1(VALU_DEP_2)
	v_add_co_u32 v7, vcc_lo, s20, v5
	s_wait_alu 0xfffd
	v_add_co_ci_u32_e64 v8, null, s21, v6, vcc_lo
	global_load_b64 v[5:6], v[7:8], off scope:SCOPE_DEV
	s_wait_loadcnt 0x0
	v_and_b32_e32 v70, 0xff, v6
	s_delay_alu instid0(VALU_DEP_1)
	v_cmpx_eq_u16_e32 0, v70
	s_cbranch_execz .LBB183_53
; %bb.57:                               ;   in Loop: Header=BB183_55 Depth=1
	s_mov_b32 s24, 0
.LBB183_58:                             ;   Parent Loop BB183_55 Depth=1
                                        ; =>  This Inner Loop Header: Depth=2
	global_load_b64 v[5:6], v[7:8], off scope:SCOPE_DEV
	s_wait_loadcnt 0x0
	v_and_b32_e32 v70, 0xff, v6
	s_delay_alu instid0(VALU_DEP_1) | instskip(SKIP_1) | instid1(SALU_CYCLE_1)
	v_cmp_ne_u16_e32 vcc_lo, 0, v70
	s_or_b32 s24, vcc_lo, s24
	s_and_not1_b32 exec_lo, exec_lo, s24
	s_cbranch_execnz .LBB183_58
	s_branch .LBB183_52
.LBB183_59:
                                        ; implicit-def: $vgpr20
                                        ; implicit-def: $vgpr1_vgpr2_vgpr3_vgpr4_vgpr5_vgpr6_vgpr7_vgpr8_vgpr9_vgpr10_vgpr11_vgpr12_vgpr13_vgpr14_vgpr15_vgpr16
	s_wait_alu 0xfffe
	s_and_b32 vcc_lo, exec_lo, s7
	s_wait_alu 0xfffe
	s_cbranch_vccnz .LBB183_65
	s_branch .LBB183_74
.LBB183_60:
	s_and_saveexec_b32 s23, s7
	s_cbranch_execz .LBB183_62
; %bb.61:
	s_add_co_i32 s24, s15, 32
	s_mov_b32 s25, 0
	v_dual_mov_b32 v4, 2 :: v_dual_add_nc_u32 v3, v2, v1
	v_mov_b32_e32 v5, 0
	s_lshl_b64 s[24:25], s[24:25], 3
	s_delay_alu instid0(SALU_CYCLE_1)
	s_add_nc_u64 s[24:25], s[20:21], s[24:25]
	global_store_b64 v5, v[3:4], s[24:25] scope:SCOPE_DEV
	ds_store_b64 v5, v[1:2] offset:13312
.LBB183_62:
	s_wait_alu 0xfffe
	s_or_b32 exec_lo, exec_lo, s23
	s_delay_alu instid0(SALU_CYCLE_1)
	s_and_b32 exec_lo, exec_lo, s2
; %bb.63:
	v_mov_b32_e32 v1, 0
	ds_store_b32 v1, v2 offset:28
.LBB183_64:
	s_wait_alu 0xfffe
	s_or_b32 exec_lo, exec_lo, s8
	v_mov_b32_e32 v11, 0
	s_wait_storecnt 0x0
	s_wait_loadcnt_dscnt 0x0
	s_barrier_signal -1
	s_barrier_wait -1
	global_inv scope:SCOPE_SE
	ds_load_b32 v1, v11 offset:28
	v_cndmask_b32_e64 v2, v10, v9, s7
	s_wait_loadcnt_dscnt 0x0
	s_barrier_signal -1
	s_barrier_wait -1
	global_inv scope:SCOPE_SE
	v_cndmask_b32_e64 v2, v2, 0, s2
	s_delay_alu instid0(VALU_DEP_1) | instskip(NEXT) | instid1(VALU_DEP_1)
	v_add_nc_u32_e32 v1, v1, v2
	v_add_nc_u32_e32 v2, v1, v56
	ds_load_b64 v[19:20], v11 offset:13312
	v_add_nc_u32_e32 v3, v2, v57
	s_delay_alu instid0(VALU_DEP_1) | instskip(NEXT) | instid1(VALU_DEP_1)
	v_add_nc_u32_e32 v4, v3, v58
	v_add_nc_u32_e32 v5, v4, v55
	s_delay_alu instid0(VALU_DEP_1) | instskip(NEXT) | instid1(VALU_DEP_1)
	v_add_nc_u32_e32 v6, v5, v59
	;; [unrolled: 3-line block ×5, first 2 shown]
	v_add_nc_u32_e32 v13, v12, v51
	s_branch .LBB183_74
.LBB183_65:
	v_mov_b32_dpp v1, v67 row_shr:1 row_mask:0xf bank_mask:0xf
	s_delay_alu instid0(VALU_DEP_1) | instskip(NEXT) | instid1(VALU_DEP_1)
	v_cndmask_b32_e64 v1, v1, 0, s6
	v_add_nc_u32_e32 v1, v1, v67
	s_delay_alu instid0(VALU_DEP_1) | instskip(NEXT) | instid1(VALU_DEP_1)
	v_mov_b32_dpp v2, v1 row_shr:2 row_mask:0xf bank_mask:0xf
	v_cndmask_b32_e64 v2, 0, v2, s5
	s_delay_alu instid0(VALU_DEP_1) | instskip(NEXT) | instid1(VALU_DEP_1)
	v_add_nc_u32_e32 v1, v1, v2
	v_mov_b32_dpp v2, v1 row_shr:4 row_mask:0xf bank_mask:0xf
	s_delay_alu instid0(VALU_DEP_1) | instskip(NEXT) | instid1(VALU_DEP_1)
	v_cndmask_b32_e64 v2, 0, v2, s4
	v_add_nc_u32_e32 v1, v1, v2
	s_delay_alu instid0(VALU_DEP_1) | instskip(NEXT) | instid1(VALU_DEP_1)
	v_mov_b32_dpp v2, v1 row_shr:8 row_mask:0xf bank_mask:0xf
	v_cndmask_b32_e64 v2, 0, v2, s3
	s_delay_alu instid0(VALU_DEP_1) | instskip(SKIP_3) | instid1(VALU_DEP_1)
	v_add_nc_u32_e32 v1, v1, v2
	ds_swizzle_b32 v2, v1 offset:swizzle(BROADCAST,32,15)
	s_wait_dscnt 0x0
	v_cndmask_b32_e64 v2, v2, 0, s1
	v_add_nc_u32_e32 v1, v1, v2
	s_and_saveexec_b32 s1, s0
; %bb.66:
	v_lshlrev_b32_e32 v2, 2, v66
	ds_store_b32 v2, v1
; %bb.67:
	s_wait_alu 0xfffe
	s_or_b32 exec_lo, exec_lo, s1
	s_delay_alu instid0(SALU_CYCLE_1)
	s_mov_b32 s0, exec_lo
	s_wait_loadcnt_dscnt 0x0
	s_barrier_signal -1
	s_barrier_wait -1
	global_inv scope:SCOPE_SE
	v_cmpx_gt_u32_e32 8, v0
	s_cbranch_execz .LBB183_69
; %bb.68:
	ds_load_b32 v2, v45
	s_wait_dscnt 0x0
	v_mov_b32_dpp v4, v2 row_shr:1 row_mask:0xf bank_mask:0xf
	v_and_b32_e32 v3, 7, v65
	s_delay_alu instid0(VALU_DEP_1) | instskip(SKIP_1) | instid1(VALU_DEP_3)
	v_cmp_ne_u32_e32 vcc_lo, 0, v3
	s_wait_alu 0xfffd
	v_cndmask_b32_e32 v4, 0, v4, vcc_lo
	v_cmp_lt_u32_e32 vcc_lo, 1, v3
	s_delay_alu instid0(VALU_DEP_2) | instskip(NEXT) | instid1(VALU_DEP_1)
	v_add_nc_u32_e32 v2, v4, v2
	v_mov_b32_dpp v4, v2 row_shr:2 row_mask:0xf bank_mask:0xf
	s_wait_alu 0xfffd
	s_delay_alu instid0(VALU_DEP_1) | instskip(SKIP_1) | instid1(VALU_DEP_2)
	v_cndmask_b32_e32 v4, 0, v4, vcc_lo
	v_cmp_lt_u32_e32 vcc_lo, 3, v3
	v_add_nc_u32_e32 v2, v2, v4
	s_delay_alu instid0(VALU_DEP_1) | instskip(SKIP_1) | instid1(VALU_DEP_1)
	v_mov_b32_dpp v4, v2 row_shr:4 row_mask:0xf bank_mask:0xf
	s_wait_alu 0xfffd
	v_cndmask_b32_e32 v3, 0, v4, vcc_lo
	s_delay_alu instid0(VALU_DEP_1)
	v_add_nc_u32_e32 v2, v2, v3
	ds_store_b32 v45, v2
.LBB183_69:
	s_wait_alu 0xfffe
	s_or_b32 exec_lo, exec_lo, s0
	v_dual_mov_b32 v3, 0 :: v_dual_mov_b32 v2, 0
	s_mov_b32 s0, exec_lo
	s_wait_loadcnt_dscnt 0x0
	s_barrier_signal -1
	s_barrier_wait -1
	global_inv scope:SCOPE_SE
	v_cmpx_lt_u32_e32 31, v0
; %bb.70:
	v_lshl_add_u32 v2, v66, 2, -4
	ds_load_b32 v2, v2
; %bb.71:
	s_wait_alu 0xfffe
	s_or_b32 exec_lo, exec_lo, s0
	v_sub_co_u32 v4, vcc_lo, v65, 1
	s_wait_dscnt 0x0
	v_add_nc_u32_e32 v1, v2, v1
	ds_load_b32 v19, v3 offset:28
	v_cmp_gt_i32_e64 s0, 0, v4
	s_wait_alu 0xf1ff
	s_delay_alu instid0(VALU_DEP_1) | instskip(NEXT) | instid1(VALU_DEP_1)
	v_cndmask_b32_e64 v4, v4, v65, s0
	v_lshlrev_b32_e32 v4, 2, v4
	ds_bpermute_b32 v1, v4, v1
	s_and_saveexec_b32 s0, s2
	s_cbranch_execz .LBB183_73
; %bb.72:
	v_dual_mov_b32 v3, 0 :: v_dual_mov_b32 v20, 2
	s_wait_dscnt 0x1
	global_store_b64 v3, v[19:20], s[20:21] offset:256 scope:SCOPE_DEV
.LBB183_73:
	s_wait_alu 0xfffe
	s_or_b32 exec_lo, exec_lo, s0
	s_wait_dscnt 0x0
	s_wait_alu 0xfffd
	v_cndmask_b32_e32 v1, v1, v2, vcc_lo
	s_wait_loadcnt 0x0
	s_wait_storecnt 0x0
	s_barrier_signal -1
	s_barrier_wait -1
	global_inv scope:SCOPE_SE
	v_cndmask_b32_e64 v1, v1, 0, s2
	v_mov_b32_e32 v20, 0
	s_delay_alu instid0(VALU_DEP_2) | instskip(NEXT) | instid1(VALU_DEP_1)
	v_add_nc_u32_e32 v2, v1, v56
	v_add_nc_u32_e32 v3, v2, v57
	s_delay_alu instid0(VALU_DEP_1) | instskip(NEXT) | instid1(VALU_DEP_1)
	v_add_nc_u32_e32 v4, v3, v58
	v_add_nc_u32_e32 v5, v4, v55
	s_delay_alu instid0(VALU_DEP_1) | instskip(NEXT) | instid1(VALU_DEP_1)
	;; [unrolled: 3-line block ×5, first 2 shown]
	v_add_nc_u32_e32 v12, v11, v64
	v_add_nc_u32_e32 v13, v12, v51
.LBB183_74:
	s_wait_dscnt 0x0
	v_sub_nc_u32_e32 v1, v1, v20
	v_sub_nc_u32_e32 v2, v2, v20
	v_add_nc_u32_e32 v48, v19, v48
	v_lshrrev_b32_e32 v58, 8, v54
	v_lshrrev_b32_e32 v57, 16, v54
	v_sub_nc_u32_e32 v4, v4, v20
	v_sub_nc_u32_e32 v3, v3, v20
	;; [unrolled: 1-line block ×3, first 2 shown]
	v_and_b32_e32 v54, 1, v54
	v_and_b32_e32 v58, 1, v58
	;; [unrolled: 1-line block ×3, first 2 shown]
	v_lshrrev_b32_e32 v56, 8, v52
	v_lshrrev_b32_e32 v16, 16, v52
	v_cmp_eq_u32_e32 vcc_lo, 1, v54
	v_and_b32_e32 v54, 1, v57
	v_sub_nc_u32_e32 v57, v48, v2
	v_lshrrev_b32_e32 v15, 8, v50
	v_lshrrev_b32_e32 v14, 16, v50
	s_wait_alu 0xfffd
	v_cndmask_b32_e32 v1, v59, v1, vcc_lo
	v_cmp_eq_u32_e32 vcc_lo, 1, v58
	v_add_nc_u32_e32 v57, 1, v57
	s_delay_alu instid0(VALU_DEP_3)
	v_lshlrev_b32_e32 v1, 2, v1
	ds_store_b32 v1, v31
	s_wait_alu 0xfffd
	v_cndmask_b32_e32 v1, v57, v2, vcc_lo
	v_sub_nc_u32_e32 v59, v48, v3
	v_sub_nc_u32_e32 v60, v48, v4
	v_cmp_eq_u32_e32 vcc_lo, 1, v54
	s_delay_alu instid0(VALU_DEP_4) | instskip(NEXT) | instid1(VALU_DEP_4)
	v_lshlrev_b32_e32 v1, 2, v1
	v_add_nc_u32_e32 v59, 2, v59
	s_delay_alu instid0(VALU_DEP_4)
	v_add_nc_u32_e32 v60, 3, v60
	ds_store_b32 v1, v32
	s_wait_alu 0xfffd
	v_cndmask_b32_e32 v2, v59, v3, vcc_lo
	v_cmp_eq_u32_e32 vcc_lo, 1, v55
	s_wait_alu 0xfffd
	s_delay_alu instid0(VALU_DEP_2) | instskip(SKIP_2) | instid1(VALU_DEP_3)
	v_dual_cndmask_b32 v3, v60, v4 :: v_dual_lshlrev_b32 v2, 2, v2
	v_sub_nc_u32_e32 v4, v5, v20
	v_sub_nc_u32_e32 v5, v6, v20
	v_lshlrev_b32_e32 v3, 2, v3
	s_delay_alu instid0(VALU_DEP_3) | instskip(NEXT) | instid1(VALU_DEP_3)
	v_sub_nc_u32_e32 v1, v48, v4
	v_sub_nc_u32_e32 v6, v48, v5
	ds_store_b32 v2, v29
	ds_store_b32 v3, v30
	v_and_b32_e32 v2, 1, v52
	v_add_nc_u32_e32 v1, 4, v1
	v_add_nc_u32_e32 v3, 5, v6
	v_sub_nc_u32_e32 v6, v7, v20
	v_and_b32_e32 v7, 1, v56
	v_cmp_eq_u32_e32 vcc_lo, 1, v2
	v_sub_nc_u32_e32 v2, v8, v20
	s_wait_alu 0xfffd
	v_dual_cndmask_b32 v1, v1, v4 :: v_dual_and_b32 v8, 1, v53
	v_sub_nc_u32_e32 v4, v48, v6
	v_cmp_eq_u32_e32 vcc_lo, 1, v7
	v_and_b32_e32 v7, 1, v16
	s_delay_alu instid0(VALU_DEP_4)
	v_lshlrev_b32_e32 v1, 2, v1
	s_wait_alu 0xfffd
	v_dual_cndmask_b32 v3, v3, v5 :: v_dual_add_nc_u32 v4, 6, v4
	v_sub_nc_u32_e32 v5, v48, v2
	v_cmp_eq_u32_e32 vcc_lo, 1, v7
	v_sub_nc_u32_e32 v7, v13, v20
	s_delay_alu instid0(VALU_DEP_4)
	v_lshlrev_b32_e32 v3, 2, v3
	s_wait_alu 0xfffd
	v_dual_cndmask_b32 v4, v4, v6 :: v_dual_add_nc_u32 v5, 7, v5
	v_cmp_eq_u32_e32 vcc_lo, 1, v8
	v_sub_nc_u32_e32 v6, v9, v20
	ds_store_b32 v1, v27
	ds_store_b32 v3, v28
	s_wait_alu 0xfffd
	v_dual_cndmask_b32 v2, v5, v2 :: v_dual_lshlrev_b32 v3, 2, v4
	v_sub_nc_u32_e32 v1, v48, v6
	v_and_b32_e32 v5, 1, v50
	v_sub_nc_u32_e32 v4, v10, v20
	v_and_b32_e32 v10, 1, v51
	v_lshlrev_b32_e32 v2, 2, v2
	v_add_nc_u32_e32 v1, 8, v1
	ds_store_b32 v3, v25
	ds_store_b32 v2, v26
	v_cmp_eq_u32_e32 vcc_lo, 1, v5
	v_sub_nc_u32_e32 v3, v11, v20
	v_sub_nc_u32_e32 v2, v48, v4
	;; [unrolled: 1-line block ×3, first 2 shown]
	v_and_b32_e32 v11, 1, v49
	s_wait_alu 0xfffd
	v_dual_cndmask_b32 v1, v1, v6 :: v_dual_and_b32 v6, 1, v15
	v_sub_nc_u32_e32 v8, v48, v3
	v_add_nc_u32_e32 v2, 9, v2
	v_sub_nc_u32_e32 v9, v48, v5
	s_delay_alu instid0(VALU_DEP_4)
	v_lshlrev_b32_e32 v1, 2, v1
	v_cmp_eq_u32_e32 vcc_lo, 1, v6
	v_add_nc_u32_e32 v6, 10, v8
	v_and_b32_e32 v8, 1, v14
	v_add_nc_u32_e32 v9, 11, v9
	v_add_co_u32 v15, s0, v17, v20
	s_wait_alu 0xfffd
	v_cndmask_b32_e32 v2, v2, v4, vcc_lo
	v_cmp_eq_u32_e32 vcc_lo, 1, v8
	v_sub_nc_u32_e32 v4, v48, v7
	s_wait_alu 0xf1ff
	v_add_co_ci_u32_e64 v16, null, 0, v18, s0
	s_wait_alu 0xfffd
	v_dual_cndmask_b32 v3, v6, v3 :: v_dual_lshlrev_b32 v2, 2, v2
	v_cmp_eq_u32_e32 vcc_lo, 1, v10
	v_add_nc_u32_e32 v4, 12, v4
	s_delay_alu instid0(VALU_DEP_3) | instskip(SKIP_4) | instid1(VALU_DEP_2)
	v_lshlrev_b32_e32 v3, 2, v3
	s_wait_alu 0xfffd
	v_cndmask_b32_e32 v5, v9, v5, vcc_lo
	v_cmp_eq_u32_e32 vcc_lo, 1, v11
	s_wait_alu 0xfffd
	v_dual_cndmask_b32 v4, v4, v7 :: v_dual_lshlrev_b32 v5, 2, v5
	v_cmp_ne_u32_e32 vcc_lo, 1, v46
	s_delay_alu instid0(VALU_DEP_2)
	v_lshlrev_b32_e32 v4, 2, v4
	ds_store_b32 v1, v23
	ds_store_b32 v2, v24
	;; [unrolled: 1-line block ×5, first 2 shown]
	s_wait_loadcnt_dscnt 0x0
	s_barrier_signal -1
	s_barrier_wait -1
	global_inv scope:SCOPE_SE
	ds_load_2addr_stride64_b32 v[11:12], v45 offset1:4
	ds_load_2addr_stride64_b32 v[9:10], v45 offset0:8 offset1:12
	ds_load_2addr_stride64_b32 v[7:8], v45 offset0:16 offset1:20
	;; [unrolled: 1-line block ×5, first 2 shown]
	ds_load_b32 v21, v45 offset:12288
	s_cbranch_vccnz .LBB183_131
; %bb.75:
	s_mov_b32 s15, 0
	v_sub_co_u32 v13, vcc_lo, v15, s16
	s_wait_alu 0xfffe
	s_sub_nc_u64 s[0:1], s[18:19], s[14:15]
	s_wait_alu 0xfffd
	v_subrev_co_ci_u32_e64 v14, null, s17, v16, vcc_lo
	s_wait_alu 0xfffe
	v_add_co_u32 v17, s0, s0, v19
	s_wait_alu 0xf1ff
	v_add_co_ci_u32_e64 v18, null, s1, 0, s0
	s_mov_b32 s0, exec_lo
	v_add_co_u32 v17, vcc_lo, v17, v13
	s_wait_alu 0xfffd
	v_add_co_ci_u32_e64 v18, null, v18, v14, vcc_lo
                                        ; implicit-def: $vgpr13_vgpr14
	v_cmpx_ge_u32_e64 v0, v19
	s_wait_alu 0xfffe
	s_xor_b32 s0, exec_lo, s0
; %bb.76:
	v_not_b32_e32 v13, v0
	s_delay_alu instid0(VALU_DEP_1) | instskip(SKIP_2) | instid1(VALU_DEP_2)
	v_ashrrev_i32_e32 v14, 31, v13
	v_add_co_u32 v13, vcc_lo, v17, v13
	s_wait_alu 0xfffd
	v_add_co_ci_u32_e64 v14, null, v18, v14, vcc_lo
; %bb.77:
	s_wait_alu 0xfffe
	s_and_not1_saveexec_b32 s0, s0
; %bb.78:
	v_add_co_u32 v13, vcc_lo, v15, v0
	s_wait_alu 0xfffd
	v_add_co_ci_u32_e64 v14, null, 0, v16, vcc_lo
; %bb.79:
	s_wait_alu 0xfffe
	s_or_b32 exec_lo, exec_lo, s0
	s_delay_alu instid0(VALU_DEP_1) | instskip(SKIP_1) | instid1(VALU_DEP_1)
	v_lshlrev_b64_e32 v[13:14], 2, v[13:14]
	s_mov_b32 s0, exec_lo
	v_add_co_u32 v13, vcc_lo, s10, v13
	s_wait_alu 0xfffd
	s_delay_alu instid0(VALU_DEP_2)
	v_add_co_ci_u32_e64 v14, null, s11, v14, vcc_lo
	s_wait_dscnt 0x6
	global_store_b32 v[13:14], v11, off
                                        ; implicit-def: $vgpr13_vgpr14
	v_cmpx_ge_u32_e64 v44, v19
	s_wait_alu 0xfffe
	s_xor_b32 s0, exec_lo, s0
; %bb.80:
	v_xor_b32_e32 v13, 0xfffffeff, v0
	s_delay_alu instid0(VALU_DEP_1) | instskip(SKIP_2) | instid1(VALU_DEP_2)
	v_ashrrev_i32_e32 v14, 31, v13
	v_add_co_u32 v13, vcc_lo, v17, v13
	s_wait_alu 0xfffd
	v_add_co_ci_u32_e64 v14, null, v18, v14, vcc_lo
; %bb.81:
	s_wait_alu 0xfffe
	s_and_not1_saveexec_b32 s0, s0
; %bb.82:
	v_add_co_u32 v13, vcc_lo, v15, v44
	s_wait_alu 0xfffd
	v_add_co_ci_u32_e64 v14, null, 0, v16, vcc_lo
; %bb.83:
	s_wait_alu 0xfffe
	s_or_b32 exec_lo, exec_lo, s0
	s_delay_alu instid0(VALU_DEP_1) | instskip(SKIP_1) | instid1(VALU_DEP_1)
	v_lshlrev_b64_e32 v[13:14], 2, v[13:14]
	s_mov_b32 s0, exec_lo
	v_add_co_u32 v13, vcc_lo, s10, v13
	s_wait_alu 0xfffd
	s_delay_alu instid0(VALU_DEP_2)
	v_add_co_ci_u32_e64 v14, null, s11, v14, vcc_lo
	global_store_b32 v[13:14], v12, off
                                        ; implicit-def: $vgpr13_vgpr14
	v_cmpx_ge_u32_e64 v43, v19
	s_wait_alu 0xfffe
	s_xor_b32 s0, exec_lo, s0
; %bb.84:
	v_xor_b32_e32 v13, 0xfffffdff, v0
	s_delay_alu instid0(VALU_DEP_1) | instskip(SKIP_2) | instid1(VALU_DEP_2)
	v_ashrrev_i32_e32 v14, 31, v13
	v_add_co_u32 v13, vcc_lo, v17, v13
	s_wait_alu 0xfffd
	v_add_co_ci_u32_e64 v14, null, v18, v14, vcc_lo
; %bb.85:
	s_wait_alu 0xfffe
	s_and_not1_saveexec_b32 s0, s0
; %bb.86:
	v_add_co_u32 v13, vcc_lo, v15, v43
	s_wait_alu 0xfffd
	v_add_co_ci_u32_e64 v14, null, 0, v16, vcc_lo
; %bb.87:
	s_wait_alu 0xfffe
	s_or_b32 exec_lo, exec_lo, s0
	s_delay_alu instid0(VALU_DEP_1) | instskip(SKIP_1) | instid1(VALU_DEP_1)
	v_lshlrev_b64_e32 v[13:14], 2, v[13:14]
	s_mov_b32 s0, exec_lo
	v_add_co_u32 v13, vcc_lo, s10, v13
	s_wait_alu 0xfffd
	s_delay_alu instid0(VALU_DEP_2)
	v_add_co_ci_u32_e64 v14, null, s11, v14, vcc_lo
	s_wait_dscnt 0x5
	global_store_b32 v[13:14], v9, off
                                        ; implicit-def: $vgpr13_vgpr14
	v_cmpx_ge_u32_e64 v42, v19
	s_wait_alu 0xfffe
	s_xor_b32 s0, exec_lo, s0
; %bb.88:
	v_xor_b32_e32 v13, 0xfffffcff, v0
	s_delay_alu instid0(VALU_DEP_1) | instskip(SKIP_2) | instid1(VALU_DEP_2)
	v_ashrrev_i32_e32 v14, 31, v13
	v_add_co_u32 v13, vcc_lo, v17, v13
	s_wait_alu 0xfffd
	v_add_co_ci_u32_e64 v14, null, v18, v14, vcc_lo
; %bb.89:
	s_wait_alu 0xfffe
	s_and_not1_saveexec_b32 s0, s0
; %bb.90:
	v_add_co_u32 v13, vcc_lo, v15, v42
	s_wait_alu 0xfffd
	v_add_co_ci_u32_e64 v14, null, 0, v16, vcc_lo
; %bb.91:
	s_wait_alu 0xfffe
	s_or_b32 exec_lo, exec_lo, s0
	s_delay_alu instid0(VALU_DEP_1) | instskip(SKIP_1) | instid1(VALU_DEP_1)
	v_lshlrev_b64_e32 v[13:14], 2, v[13:14]
	s_mov_b32 s0, exec_lo
	v_add_co_u32 v13, vcc_lo, s10, v13
	s_wait_alu 0xfffd
	s_delay_alu instid0(VALU_DEP_2)
	v_add_co_ci_u32_e64 v14, null, s11, v14, vcc_lo
	global_store_b32 v[13:14], v10, off
                                        ; implicit-def: $vgpr13_vgpr14
	v_cmpx_ge_u32_e64 v41, v19
	s_wait_alu 0xfffe
	s_xor_b32 s0, exec_lo, s0
; %bb.92:
	v_xor_b32_e32 v13, 0xfffffbff, v0
	;; [unrolled: 59-line block ×6, first 2 shown]
	s_delay_alu instid0(VALU_DEP_1) | instskip(SKIP_2) | instid1(VALU_DEP_2)
	v_ashrrev_i32_e32 v14, 31, v13
	v_add_co_u32 v13, vcc_lo, v17, v13
	s_wait_alu 0xfffd
	v_add_co_ci_u32_e64 v14, null, v18, v14, vcc_lo
; %bb.125:
	s_wait_alu 0xfffe
	s_and_not1_saveexec_b32 s0, s0
; %bb.126:
	v_add_co_u32 v13, vcc_lo, v15, v33
	s_wait_alu 0xfffd
	v_add_co_ci_u32_e64 v14, null, 0, v16, vcc_lo
; %bb.127:
	s_wait_alu 0xfffe
	s_or_b32 exec_lo, exec_lo, s0
	s_mov_b32 s0, -1
.LBB183_128:
	s_wait_alu 0xfffe
	s_and_saveexec_b32 s1, s0
	s_cbranch_execz .LBB183_211
.LBB183_129:
	s_wait_dscnt 0x1
	v_lshlrev_b64_e32 v[0:1], 2, v[13:14]
	s_delay_alu instid0(VALU_DEP_1) | instskip(SKIP_1) | instid1(VALU_DEP_2)
	v_add_co_u32 v0, vcc_lo, s10, v0
	s_wait_alu 0xfffd
	v_add_co_ci_u32_e64 v1, null, s11, v1, vcc_lo
	s_wait_dscnt 0x0
	global_store_b32 v[0:1], v21, off
	s_wait_alu 0xfffe
	s_or_b32 exec_lo, exec_lo, s1
	s_and_b32 s0, s2, s9
	s_wait_alu 0xfffe
	s_and_saveexec_b32 s1, s0
	s_cbranch_execnz .LBB183_212
.LBB183_130:
	s_endpgm
.LBB183_131:
	s_mov_b32 s0, 0
                                        ; implicit-def: $vgpr13_vgpr14
	s_cbranch_execz .LBB183_128
; %bb.132:
	s_mov_b32 s15, 0
	s_wait_alu 0xfffe
	s_add_nc_u64 s[4:5], s[16:17], s[14:15]
	s_wait_alu 0xfffe
	s_sub_nc_u64 s[4:5], s[18:19], s[4:5]
	s_wait_alu 0xfffe
	v_add_co_u32 v13, s1, s4, v19
	s_wait_alu 0xf1ff
	v_add_co_ci_u32_e64 v14, null, s5, 0, s1
	s_mov_b32 s1, exec_lo
	v_add_co_u32 v17, vcc_lo, v13, v15
	s_wait_alu 0xfffd
	v_add_co_ci_u32_e64 v18, null, v14, v16, vcc_lo
	v_cmpx_gt_u32_e64 s22, v0
	s_cbranch_execz .LBB183_168
; %bb.133:
	s_mov_b32 s3, exec_lo
                                        ; implicit-def: $vgpr13_vgpr14
	v_cmpx_ge_u32_e64 v0, v19
	s_wait_alu 0xfffe
	s_xor_b32 s3, exec_lo, s3
; %bb.134:
	v_not_b32_e32 v13, v0
	s_delay_alu instid0(VALU_DEP_1) | instskip(SKIP_2) | instid1(VALU_DEP_2)
	v_ashrrev_i32_e32 v14, 31, v13
	v_add_co_u32 v13, vcc_lo, v17, v13
	s_wait_alu 0xfffd
	v_add_co_ci_u32_e64 v14, null, v18, v14, vcc_lo
; %bb.135:
	s_wait_alu 0xfffe
	s_and_not1_saveexec_b32 s3, s3
; %bb.136:
	v_add_co_u32 v13, vcc_lo, v15, v0
	s_wait_alu 0xfffd
	v_add_co_ci_u32_e64 v14, null, 0, v16, vcc_lo
; %bb.137:
	s_wait_alu 0xfffe
	s_or_b32 exec_lo, exec_lo, s3
	s_delay_alu instid0(VALU_DEP_1) | instskip(NEXT) | instid1(VALU_DEP_1)
	v_lshlrev_b64_e32 v[13:14], 2, v[13:14]
	v_add_co_u32 v13, vcc_lo, s10, v13
	s_wait_alu 0xfffd
	s_delay_alu instid0(VALU_DEP_2) | instskip(SKIP_3) | instid1(SALU_CYCLE_1)
	v_add_co_ci_u32_e64 v14, null, s11, v14, vcc_lo
	s_wait_dscnt 0x6
	global_store_b32 v[13:14], v11, off
	s_or_b32 exec_lo, exec_lo, s1
	s_mov_b32 s1, exec_lo
	v_cmpx_gt_u32_e64 s22, v44
	s_cbranch_execnz .LBB183_169
.LBB183_138:
	s_wait_alu 0xfffe
	s_or_b32 exec_lo, exec_lo, s1
	s_delay_alu instid0(SALU_CYCLE_1)
	s_mov_b32 s1, exec_lo
	v_cmpx_gt_u32_e64 s22, v43
	s_cbranch_execz .LBB183_174
.LBB183_139:
	s_mov_b32 s3, exec_lo
                                        ; implicit-def: $vgpr11_vgpr12
	v_cmpx_ge_u32_e64 v43, v19
	s_wait_alu 0xfffe
	s_xor_b32 s3, exec_lo, s3
	s_cbranch_execz .LBB183_141
; %bb.140:
	s_wait_dscnt 0x6
	v_xor_b32_e32 v11, 0xfffffdff, v0
                                        ; implicit-def: $vgpr43
	s_delay_alu instid0(VALU_DEP_1) | instskip(SKIP_2) | instid1(VALU_DEP_2)
	v_ashrrev_i32_e32 v12, 31, v11
	v_add_co_u32 v11, vcc_lo, v17, v11
	s_wait_alu 0xfffd
	v_add_co_ci_u32_e64 v12, null, v18, v12, vcc_lo
.LBB183_141:
	s_wait_alu 0xfffe
	s_and_not1_saveexec_b32 s3, s3
	s_cbranch_execz .LBB183_143
; %bb.142:
	s_wait_dscnt 0x6
	v_add_co_u32 v11, vcc_lo, v15, v43
	s_wait_alu 0xfffd
	v_add_co_ci_u32_e64 v12, null, 0, v16, vcc_lo
.LBB183_143:
	s_wait_alu 0xfffe
	s_or_b32 exec_lo, exec_lo, s3
	s_wait_dscnt 0x6
	s_delay_alu instid0(VALU_DEP_1) | instskip(NEXT) | instid1(VALU_DEP_1)
	v_lshlrev_b64_e32 v[11:12], 2, v[11:12]
	v_add_co_u32 v11, vcc_lo, s10, v11
	s_wait_alu 0xfffd
	s_delay_alu instid0(VALU_DEP_2) | instskip(SKIP_3) | instid1(SALU_CYCLE_1)
	v_add_co_ci_u32_e64 v12, null, s11, v12, vcc_lo
	s_wait_dscnt 0x5
	global_store_b32 v[11:12], v9, off
	s_or_b32 exec_lo, exec_lo, s1
	s_mov_b32 s1, exec_lo
	v_cmpx_gt_u32_e64 s22, v42
	s_cbranch_execnz .LBB183_175
.LBB183_144:
	s_wait_alu 0xfffe
	s_or_b32 exec_lo, exec_lo, s1
	s_delay_alu instid0(SALU_CYCLE_1)
	s_mov_b32 s1, exec_lo
	v_cmpx_gt_u32_e64 s22, v41
	s_cbranch_execz .LBB183_180
.LBB183_145:
	s_mov_b32 s3, exec_lo
                                        ; implicit-def: $vgpr9_vgpr10
	v_cmpx_ge_u32_e64 v41, v19
	s_wait_alu 0xfffe
	s_xor_b32 s3, exec_lo, s3
	s_cbranch_execz .LBB183_147
; %bb.146:
	s_wait_dscnt 0x5
	v_xor_b32_e32 v9, 0xfffffbff, v0
                                        ; implicit-def: $vgpr41
	s_delay_alu instid0(VALU_DEP_1) | instskip(SKIP_2) | instid1(VALU_DEP_2)
	v_ashrrev_i32_e32 v10, 31, v9
	v_add_co_u32 v9, vcc_lo, v17, v9
	s_wait_alu 0xfffd
	v_add_co_ci_u32_e64 v10, null, v18, v10, vcc_lo
.LBB183_147:
	s_wait_alu 0xfffe
	s_and_not1_saveexec_b32 s3, s3
	s_cbranch_execz .LBB183_149
; %bb.148:
	s_wait_dscnt 0x5
	v_add_co_u32 v9, vcc_lo, v15, v41
	s_wait_alu 0xfffd
	v_add_co_ci_u32_e64 v10, null, 0, v16, vcc_lo
.LBB183_149:
	s_wait_alu 0xfffe
	s_or_b32 exec_lo, exec_lo, s3
	s_wait_dscnt 0x5
	s_delay_alu instid0(VALU_DEP_1) | instskip(NEXT) | instid1(VALU_DEP_1)
	v_lshlrev_b64_e32 v[9:10], 2, v[9:10]
	v_add_co_u32 v9, vcc_lo, s10, v9
	s_wait_alu 0xfffd
	s_delay_alu instid0(VALU_DEP_2) | instskip(SKIP_3) | instid1(SALU_CYCLE_1)
	v_add_co_ci_u32_e64 v10, null, s11, v10, vcc_lo
	s_wait_dscnt 0x4
	global_store_b32 v[9:10], v7, off
	s_or_b32 exec_lo, exec_lo, s1
	s_mov_b32 s1, exec_lo
	v_cmpx_gt_u32_e64 s22, v40
	s_cbranch_execnz .LBB183_181
.LBB183_150:
	s_wait_alu 0xfffe
	s_or_b32 exec_lo, exec_lo, s1
	s_delay_alu instid0(SALU_CYCLE_1)
	s_mov_b32 s1, exec_lo
	v_cmpx_gt_u32_e64 s22, v39
	s_cbranch_execz .LBB183_186
.LBB183_151:
	s_mov_b32 s3, exec_lo
                                        ; implicit-def: $vgpr7_vgpr8
	v_cmpx_ge_u32_e64 v39, v19
	s_wait_alu 0xfffe
	s_xor_b32 s3, exec_lo, s3
	s_cbranch_execz .LBB183_153
; %bb.152:
	s_wait_dscnt 0x4
	v_xor_b32_e32 v7, 0xfffff9ff, v0
                                        ; implicit-def: $vgpr39
	s_delay_alu instid0(VALU_DEP_1) | instskip(SKIP_2) | instid1(VALU_DEP_2)
	v_ashrrev_i32_e32 v8, 31, v7
	v_add_co_u32 v7, vcc_lo, v17, v7
	s_wait_alu 0xfffd
	v_add_co_ci_u32_e64 v8, null, v18, v8, vcc_lo
.LBB183_153:
	s_wait_alu 0xfffe
	s_and_not1_saveexec_b32 s3, s3
	s_cbranch_execz .LBB183_155
; %bb.154:
	s_wait_dscnt 0x4
	v_add_co_u32 v7, vcc_lo, v15, v39
	s_wait_alu 0xfffd
	v_add_co_ci_u32_e64 v8, null, 0, v16, vcc_lo
.LBB183_155:
	s_wait_alu 0xfffe
	s_or_b32 exec_lo, exec_lo, s3
	s_wait_dscnt 0x4
	s_delay_alu instid0(VALU_DEP_1) | instskip(NEXT) | instid1(VALU_DEP_1)
	v_lshlrev_b64_e32 v[7:8], 2, v[7:8]
	v_add_co_u32 v7, vcc_lo, s10, v7
	s_wait_alu 0xfffd
	s_delay_alu instid0(VALU_DEP_2) | instskip(SKIP_3) | instid1(SALU_CYCLE_1)
	v_add_co_ci_u32_e64 v8, null, s11, v8, vcc_lo
	s_wait_dscnt 0x3
	global_store_b32 v[7:8], v5, off
	s_or_b32 exec_lo, exec_lo, s1
	s_mov_b32 s1, exec_lo
	v_cmpx_gt_u32_e64 s22, v38
	s_cbranch_execnz .LBB183_187
.LBB183_156:
	s_wait_alu 0xfffe
	s_or_b32 exec_lo, exec_lo, s1
	s_delay_alu instid0(SALU_CYCLE_1)
	s_mov_b32 s1, exec_lo
	v_cmpx_gt_u32_e64 s22, v37
	s_cbranch_execz .LBB183_192
.LBB183_157:
	s_mov_b32 s3, exec_lo
                                        ; implicit-def: $vgpr5_vgpr6
	v_cmpx_ge_u32_e64 v37, v19
	s_wait_alu 0xfffe
	s_xor_b32 s3, exec_lo, s3
	s_cbranch_execz .LBB183_159
; %bb.158:
	s_wait_dscnt 0x3
	v_xor_b32_e32 v5, 0xfffff7ff, v0
                                        ; implicit-def: $vgpr37
	s_delay_alu instid0(VALU_DEP_1) | instskip(SKIP_2) | instid1(VALU_DEP_2)
	v_ashrrev_i32_e32 v6, 31, v5
	v_add_co_u32 v5, vcc_lo, v17, v5
	s_wait_alu 0xfffd
	v_add_co_ci_u32_e64 v6, null, v18, v6, vcc_lo
.LBB183_159:
	s_wait_alu 0xfffe
	s_and_not1_saveexec_b32 s3, s3
	s_cbranch_execz .LBB183_161
; %bb.160:
	s_wait_dscnt 0x3
	v_add_co_u32 v5, vcc_lo, v15, v37
	s_wait_alu 0xfffd
	v_add_co_ci_u32_e64 v6, null, 0, v16, vcc_lo
.LBB183_161:
	s_wait_alu 0xfffe
	s_or_b32 exec_lo, exec_lo, s3
	s_wait_dscnt 0x3
	s_delay_alu instid0(VALU_DEP_1) | instskip(NEXT) | instid1(VALU_DEP_1)
	v_lshlrev_b64_e32 v[5:6], 2, v[5:6]
	v_add_co_u32 v5, vcc_lo, s10, v5
	s_wait_alu 0xfffd
	s_delay_alu instid0(VALU_DEP_2) | instskip(SKIP_3) | instid1(SALU_CYCLE_1)
	v_add_co_ci_u32_e64 v6, null, s11, v6, vcc_lo
	s_wait_dscnt 0x2
	global_store_b32 v[5:6], v3, off
	s_or_b32 exec_lo, exec_lo, s1
	s_mov_b32 s1, exec_lo
	v_cmpx_gt_u32_e64 s22, v36
	s_cbranch_execnz .LBB183_193
.LBB183_162:
	s_wait_alu 0xfffe
	s_or_b32 exec_lo, exec_lo, s1
	s_delay_alu instid0(SALU_CYCLE_1)
	s_mov_b32 s1, exec_lo
	v_cmpx_gt_u32_e64 s22, v35
	s_cbranch_execz .LBB183_198
.LBB183_163:
	s_mov_b32 s3, exec_lo
                                        ; implicit-def: $vgpr3_vgpr4
	v_cmpx_ge_u32_e64 v35, v19
	s_wait_alu 0xfffe
	s_xor_b32 s3, exec_lo, s3
	s_cbranch_execz .LBB183_165
; %bb.164:
	s_wait_dscnt 0x2
	v_xor_b32_e32 v3, 0xfffff5ff, v0
                                        ; implicit-def: $vgpr35
	s_delay_alu instid0(VALU_DEP_1) | instskip(SKIP_2) | instid1(VALU_DEP_2)
	v_ashrrev_i32_e32 v4, 31, v3
	v_add_co_u32 v3, vcc_lo, v17, v3
	s_wait_alu 0xfffd
	v_add_co_ci_u32_e64 v4, null, v18, v4, vcc_lo
.LBB183_165:
	s_wait_alu 0xfffe
	s_and_not1_saveexec_b32 s3, s3
	s_cbranch_execz .LBB183_167
; %bb.166:
	s_wait_dscnt 0x2
	v_add_co_u32 v3, vcc_lo, v15, v35
	s_wait_alu 0xfffd
	v_add_co_ci_u32_e64 v4, null, 0, v16, vcc_lo
.LBB183_167:
	s_wait_alu 0xfffe
	s_or_b32 exec_lo, exec_lo, s3
	s_wait_dscnt 0x2
	s_delay_alu instid0(VALU_DEP_1) | instskip(NEXT) | instid1(VALU_DEP_1)
	v_lshlrev_b64_e32 v[3:4], 2, v[3:4]
	v_add_co_u32 v3, vcc_lo, s10, v3
	s_wait_alu 0xfffd
	s_delay_alu instid0(VALU_DEP_2) | instskip(SKIP_3) | instid1(SALU_CYCLE_1)
	v_add_co_ci_u32_e64 v4, null, s11, v4, vcc_lo
	s_wait_dscnt 0x1
	global_store_b32 v[3:4], v1, off
	s_or_b32 exec_lo, exec_lo, s1
	s_mov_b32 s1, exec_lo
	v_cmpx_gt_u32_e64 s22, v34
	s_cbranch_execz .LBB183_204
	s_branch .LBB183_199
.LBB183_168:
	s_wait_alu 0xfffe
	s_or_b32 exec_lo, exec_lo, s1
	s_delay_alu instid0(SALU_CYCLE_1)
	s_mov_b32 s1, exec_lo
	v_cmpx_gt_u32_e64 s22, v44
	s_cbranch_execz .LBB183_138
.LBB183_169:
	s_mov_b32 s3, exec_lo
                                        ; implicit-def: $vgpr13_vgpr14
	v_cmpx_ge_u32_e64 v44, v19
	s_wait_alu 0xfffe
	s_xor_b32 s3, exec_lo, s3
	s_cbranch_execz .LBB183_171
; %bb.170:
	s_wait_dscnt 0x6
	v_xor_b32_e32 v11, 0xfffffeff, v0
                                        ; implicit-def: $vgpr44
	s_delay_alu instid0(VALU_DEP_1) | instskip(SKIP_2) | instid1(VALU_DEP_2)
	v_ashrrev_i32_e32 v14, 31, v11
	v_add_co_u32 v13, vcc_lo, v17, v11
	s_wait_alu 0xfffd
	v_add_co_ci_u32_e64 v14, null, v18, v14, vcc_lo
.LBB183_171:
	s_wait_alu 0xfffe
	s_and_not1_saveexec_b32 s3, s3
; %bb.172:
	v_add_co_u32 v13, vcc_lo, v15, v44
	s_wait_alu 0xfffd
	v_add_co_ci_u32_e64 v14, null, 0, v16, vcc_lo
; %bb.173:
	s_wait_alu 0xfffe
	s_or_b32 exec_lo, exec_lo, s3
	s_delay_alu instid0(VALU_DEP_1) | instskip(NEXT) | instid1(VALU_DEP_1)
	v_lshlrev_b64_e32 v[13:14], 2, v[13:14]
	v_add_co_u32 v13, vcc_lo, s10, v13
	s_wait_alu 0xfffd
	s_delay_alu instid0(VALU_DEP_2) | instskip(SKIP_3) | instid1(SALU_CYCLE_1)
	v_add_co_ci_u32_e64 v14, null, s11, v14, vcc_lo
	s_wait_dscnt 0x6
	global_store_b32 v[13:14], v12, off
	s_or_b32 exec_lo, exec_lo, s1
	s_mov_b32 s1, exec_lo
	v_cmpx_gt_u32_e64 s22, v43
	s_cbranch_execnz .LBB183_139
.LBB183_174:
	s_wait_alu 0xfffe
	s_or_b32 exec_lo, exec_lo, s1
	s_delay_alu instid0(SALU_CYCLE_1)
	s_mov_b32 s1, exec_lo
	v_cmpx_gt_u32_e64 s22, v42
	s_cbranch_execz .LBB183_144
.LBB183_175:
	s_mov_b32 s3, exec_lo
                                        ; implicit-def: $vgpr11_vgpr12
	v_cmpx_ge_u32_e64 v42, v19
	s_wait_alu 0xfffe
	s_xor_b32 s3, exec_lo, s3
	s_cbranch_execz .LBB183_177
; %bb.176:
	s_wait_dscnt 0x5
	v_xor_b32_e32 v9, 0xfffffcff, v0
                                        ; implicit-def: $vgpr42
	s_delay_alu instid0(VALU_DEP_1) | instskip(SKIP_2) | instid1(VALU_DEP_2)
	v_ashrrev_i32_e32 v12, 31, v9
	v_add_co_u32 v11, vcc_lo, v17, v9
	s_wait_alu 0xfffd
	v_add_co_ci_u32_e64 v12, null, v18, v12, vcc_lo
.LBB183_177:
	s_wait_alu 0xfffe
	s_and_not1_saveexec_b32 s3, s3
	s_cbranch_execz .LBB183_179
; %bb.178:
	s_wait_dscnt 0x6
	v_add_co_u32 v11, vcc_lo, v15, v42
	s_wait_alu 0xfffd
	v_add_co_ci_u32_e64 v12, null, 0, v16, vcc_lo
.LBB183_179:
	s_wait_alu 0xfffe
	s_or_b32 exec_lo, exec_lo, s3
	s_wait_dscnt 0x6
	s_delay_alu instid0(VALU_DEP_1) | instskip(NEXT) | instid1(VALU_DEP_1)
	v_lshlrev_b64_e32 v[11:12], 2, v[11:12]
	v_add_co_u32 v11, vcc_lo, s10, v11
	s_wait_alu 0xfffd
	s_delay_alu instid0(VALU_DEP_2) | instskip(SKIP_3) | instid1(SALU_CYCLE_1)
	v_add_co_ci_u32_e64 v12, null, s11, v12, vcc_lo
	s_wait_dscnt 0x5
	global_store_b32 v[11:12], v10, off
	s_or_b32 exec_lo, exec_lo, s1
	s_mov_b32 s1, exec_lo
	v_cmpx_gt_u32_e64 s22, v41
	s_cbranch_execnz .LBB183_145
.LBB183_180:
	s_wait_alu 0xfffe
	s_or_b32 exec_lo, exec_lo, s1
	s_delay_alu instid0(SALU_CYCLE_1)
	s_mov_b32 s1, exec_lo
	v_cmpx_gt_u32_e64 s22, v40
	s_cbranch_execz .LBB183_150
.LBB183_181:
	s_mov_b32 s3, exec_lo
                                        ; implicit-def: $vgpr9_vgpr10
	v_cmpx_ge_u32_e64 v40, v19
	s_wait_alu 0xfffe
	s_xor_b32 s3, exec_lo, s3
	s_cbranch_execz .LBB183_183
; %bb.182:
	s_wait_dscnt 0x4
	v_xor_b32_e32 v7, 0xfffffaff, v0
                                        ; implicit-def: $vgpr40
	s_delay_alu instid0(VALU_DEP_1) | instskip(SKIP_2) | instid1(VALU_DEP_2)
	v_ashrrev_i32_e32 v10, 31, v7
	v_add_co_u32 v9, vcc_lo, v17, v7
	s_wait_alu 0xfffd
	v_add_co_ci_u32_e64 v10, null, v18, v10, vcc_lo
.LBB183_183:
	s_wait_alu 0xfffe
	s_and_not1_saveexec_b32 s3, s3
	s_cbranch_execz .LBB183_185
; %bb.184:
	s_wait_dscnt 0x5
	v_add_co_u32 v9, vcc_lo, v15, v40
	s_wait_alu 0xfffd
	v_add_co_ci_u32_e64 v10, null, 0, v16, vcc_lo
.LBB183_185:
	s_wait_alu 0xfffe
	s_or_b32 exec_lo, exec_lo, s3
	s_wait_dscnt 0x5
	s_delay_alu instid0(VALU_DEP_1) | instskip(NEXT) | instid1(VALU_DEP_1)
	v_lshlrev_b64_e32 v[9:10], 2, v[9:10]
	v_add_co_u32 v9, vcc_lo, s10, v9
	s_wait_alu 0xfffd
	s_delay_alu instid0(VALU_DEP_2) | instskip(SKIP_3) | instid1(SALU_CYCLE_1)
	v_add_co_ci_u32_e64 v10, null, s11, v10, vcc_lo
	s_wait_dscnt 0x4
	global_store_b32 v[9:10], v8, off
	s_or_b32 exec_lo, exec_lo, s1
	s_mov_b32 s1, exec_lo
	v_cmpx_gt_u32_e64 s22, v39
	s_cbranch_execnz .LBB183_151
.LBB183_186:
	s_wait_alu 0xfffe
	s_or_b32 exec_lo, exec_lo, s1
	s_delay_alu instid0(SALU_CYCLE_1)
	s_mov_b32 s1, exec_lo
	v_cmpx_gt_u32_e64 s22, v38
	s_cbranch_execz .LBB183_156
.LBB183_187:
	s_mov_b32 s3, exec_lo
                                        ; implicit-def: $vgpr7_vgpr8
	v_cmpx_ge_u32_e64 v38, v19
	s_wait_alu 0xfffe
	s_xor_b32 s3, exec_lo, s3
	s_cbranch_execz .LBB183_189
; %bb.188:
	s_wait_dscnt 0x3
	v_xor_b32_e32 v5, 0xfffff8ff, v0
                                        ; implicit-def: $vgpr38
	s_delay_alu instid0(VALU_DEP_1) | instskip(SKIP_2) | instid1(VALU_DEP_2)
	v_ashrrev_i32_e32 v8, 31, v5
	v_add_co_u32 v7, vcc_lo, v17, v5
	s_wait_alu 0xfffd
	v_add_co_ci_u32_e64 v8, null, v18, v8, vcc_lo
.LBB183_189:
	s_wait_alu 0xfffe
	s_and_not1_saveexec_b32 s3, s3
	s_cbranch_execz .LBB183_191
; %bb.190:
	s_wait_dscnt 0x4
	v_add_co_u32 v7, vcc_lo, v15, v38
	s_wait_alu 0xfffd
	v_add_co_ci_u32_e64 v8, null, 0, v16, vcc_lo
.LBB183_191:
	s_wait_alu 0xfffe
	s_or_b32 exec_lo, exec_lo, s3
	s_wait_dscnt 0x4
	s_delay_alu instid0(VALU_DEP_1) | instskip(NEXT) | instid1(VALU_DEP_1)
	v_lshlrev_b64_e32 v[7:8], 2, v[7:8]
	v_add_co_u32 v7, vcc_lo, s10, v7
	s_wait_alu 0xfffd
	s_delay_alu instid0(VALU_DEP_2) | instskip(SKIP_3) | instid1(SALU_CYCLE_1)
	v_add_co_ci_u32_e64 v8, null, s11, v8, vcc_lo
	s_wait_dscnt 0x3
	global_store_b32 v[7:8], v6, off
	s_or_b32 exec_lo, exec_lo, s1
	s_mov_b32 s1, exec_lo
	v_cmpx_gt_u32_e64 s22, v37
	s_cbranch_execnz .LBB183_157
.LBB183_192:
	s_wait_alu 0xfffe
	s_or_b32 exec_lo, exec_lo, s1
	s_delay_alu instid0(SALU_CYCLE_1)
	s_mov_b32 s1, exec_lo
	v_cmpx_gt_u32_e64 s22, v36
	s_cbranch_execz .LBB183_162
.LBB183_193:
	s_mov_b32 s3, exec_lo
                                        ; implicit-def: $vgpr5_vgpr6
	v_cmpx_ge_u32_e64 v36, v19
	s_wait_alu 0xfffe
	s_xor_b32 s3, exec_lo, s3
	s_cbranch_execz .LBB183_195
; %bb.194:
	s_wait_dscnt 0x2
	v_xor_b32_e32 v3, 0xfffff6ff, v0
                                        ; implicit-def: $vgpr36
	s_delay_alu instid0(VALU_DEP_1) | instskip(SKIP_2) | instid1(VALU_DEP_2)
	v_ashrrev_i32_e32 v6, 31, v3
	v_add_co_u32 v5, vcc_lo, v17, v3
	s_wait_alu 0xfffd
	v_add_co_ci_u32_e64 v6, null, v18, v6, vcc_lo
.LBB183_195:
	s_wait_alu 0xfffe
	s_and_not1_saveexec_b32 s3, s3
	s_cbranch_execz .LBB183_197
; %bb.196:
	s_wait_dscnt 0x3
	v_add_co_u32 v5, vcc_lo, v15, v36
	s_wait_alu 0xfffd
	v_add_co_ci_u32_e64 v6, null, 0, v16, vcc_lo
.LBB183_197:
	s_wait_alu 0xfffe
	s_or_b32 exec_lo, exec_lo, s3
	s_wait_dscnt 0x3
	s_delay_alu instid0(VALU_DEP_1) | instskip(NEXT) | instid1(VALU_DEP_1)
	v_lshlrev_b64_e32 v[5:6], 2, v[5:6]
	v_add_co_u32 v5, vcc_lo, s10, v5
	s_wait_alu 0xfffd
	s_delay_alu instid0(VALU_DEP_2) | instskip(SKIP_3) | instid1(SALU_CYCLE_1)
	v_add_co_ci_u32_e64 v6, null, s11, v6, vcc_lo
	s_wait_dscnt 0x2
	global_store_b32 v[5:6], v4, off
	s_or_b32 exec_lo, exec_lo, s1
	s_mov_b32 s1, exec_lo
	v_cmpx_gt_u32_e64 s22, v35
	s_cbranch_execnz .LBB183_163
.LBB183_198:
	s_wait_alu 0xfffe
	s_or_b32 exec_lo, exec_lo, s1
	s_delay_alu instid0(SALU_CYCLE_1)
	s_mov_b32 s1, exec_lo
	v_cmpx_gt_u32_e64 s22, v34
	s_cbranch_execz .LBB183_204
.LBB183_199:
	s_mov_b32 s3, exec_lo
                                        ; implicit-def: $vgpr3_vgpr4
	v_cmpx_ge_u32_e64 v34, v19
	s_wait_alu 0xfffe
	s_xor_b32 s3, exec_lo, s3
	s_cbranch_execz .LBB183_201
; %bb.200:
	s_wait_dscnt 0x1
	v_xor_b32_e32 v1, 0xfffff4ff, v0
                                        ; implicit-def: $vgpr34
	s_delay_alu instid0(VALU_DEP_1) | instskip(SKIP_2) | instid1(VALU_DEP_2)
	v_ashrrev_i32_e32 v4, 31, v1
	v_add_co_u32 v3, vcc_lo, v17, v1
	s_wait_alu 0xfffd
	v_add_co_ci_u32_e64 v4, null, v18, v4, vcc_lo
.LBB183_201:
	s_wait_alu 0xfffe
	s_and_not1_saveexec_b32 s3, s3
	s_cbranch_execz .LBB183_203
; %bb.202:
	s_wait_dscnt 0x2
	v_add_co_u32 v3, vcc_lo, v15, v34
	s_wait_alu 0xfffd
	v_add_co_ci_u32_e64 v4, null, 0, v16, vcc_lo
.LBB183_203:
	s_wait_alu 0xfffe
	s_or_b32 exec_lo, exec_lo, s3
	s_wait_dscnt 0x2
	s_delay_alu instid0(VALU_DEP_1) | instskip(NEXT) | instid1(VALU_DEP_1)
	v_lshlrev_b64_e32 v[3:4], 2, v[3:4]
	v_add_co_u32 v3, vcc_lo, s10, v3
	s_wait_alu 0xfffd
	s_delay_alu instid0(VALU_DEP_2)
	v_add_co_ci_u32_e64 v4, null, s11, v4, vcc_lo
	s_wait_dscnt 0x1
	global_store_b32 v[3:4], v2, off
.LBB183_204:
	s_wait_alu 0xfffe
	s_or_b32 exec_lo, exec_lo, s1
	s_delay_alu instid0(SALU_CYCLE_1)
	s_mov_b32 s1, exec_lo
                                        ; implicit-def: $vgpr13_vgpr14
	v_cmpx_gt_u32_e64 s22, v33
	s_cbranch_execz .LBB183_210
; %bb.205:
	s_mov_b32 s3, exec_lo
                                        ; implicit-def: $vgpr13_vgpr14
	v_cmpx_ge_u32_e64 v33, v19
	s_wait_alu 0xfffe
	s_xor_b32 s3, exec_lo, s3
	s_cbranch_execz .LBB183_207
; %bb.206:
	v_xor_b32_e32 v0, 0xfffff3ff, v0
                                        ; implicit-def: $vgpr33
	s_wait_dscnt 0x1
	s_delay_alu instid0(VALU_DEP_1) | instskip(SKIP_2) | instid1(VALU_DEP_2)
	v_ashrrev_i32_e32 v1, 31, v0
	v_add_co_u32 v13, vcc_lo, v17, v0
	s_wait_alu 0xfffd
	v_add_co_ci_u32_e64 v14, null, v18, v1, vcc_lo
.LBB183_207:
	s_wait_alu 0xfffe
	s_and_not1_saveexec_b32 s3, s3
; %bb.208:
	v_add_co_u32 v13, vcc_lo, v15, v33
	s_wait_alu 0xfffd
	v_add_co_ci_u32_e64 v14, null, 0, v16, vcc_lo
; %bb.209:
	s_wait_alu 0xfffe
	s_or_b32 exec_lo, exec_lo, s3
	s_delay_alu instid0(SALU_CYCLE_1)
	s_or_b32 s0, s0, exec_lo
.LBB183_210:
	s_wait_alu 0xfffe
	s_or_b32 exec_lo, exec_lo, s1
	s_and_saveexec_b32 s1, s0
	s_cbranch_execnz .LBB183_129
.LBB183_211:
	s_wait_alu 0xfffe
	s_or_b32 exec_lo, exec_lo, s1
	s_and_b32 s0, s2, s9
	s_wait_alu 0xfffe
	s_and_saveexec_b32 s1, s0
	s_cbranch_execz .LBB183_130
.LBB183_212:
	v_add_co_u32 v0, vcc_lo, v15, v19
	s_wait_dscnt 0x1
	v_mov_b32_e32 v2, 0
	s_wait_alu 0xfffd
	v_add_co_ci_u32_e64 v1, null, 0, v16, vcc_lo
	global_store_b64 v2, v[0:1], s[12:13]
	s_endpgm
	.section	.rodata,"a",@progbits
	.p2align	6, 0x0
	.amdhsa_kernel _ZN7rocprim17ROCPRIM_400000_NS6detail17trampoline_kernelINS0_13select_configILj256ELj13ELNS0_17block_load_methodE3ELS4_3ELS4_3ELNS0_20block_scan_algorithmE0ELj4294967295EEENS1_25partition_config_selectorILNS1_17partition_subalgoE3EjNS0_10empty_typeEbEEZZNS1_14partition_implILS8_3ELb0ES6_jNS0_17counting_iteratorIjlEEPS9_SE_NS0_5tupleIJPjSE_EEENSF_IJSE_SE_EEES9_SG_JZNS1_25segmented_radix_sort_implINS0_14default_configELb0EPKhPhPKlPlN2at6native12_GLOBAL__N_18offset_tEEE10hipError_tPvRmT1_PNSt15iterator_traitsISY_E10value_typeET2_T3_PNSZ_IS14_E10value_typeET4_jRbjT5_S1A_jjP12ihipStream_tbEUljE_EEESV_SW_SX_S14_S18_S1A_T6_T7_T9_mT8_S1C_bDpT10_ENKUlT_T0_E_clISt17integral_constantIbLb0EES1O_IbLb1EEEEDaS1K_S1L_EUlS1K_E_NS1_11comp_targetILNS1_3genE10ELNS1_11target_archE1200ELNS1_3gpuE4ELNS1_3repE0EEENS1_30default_config_static_selectorELNS0_4arch9wavefront6targetE0EEEvSY_
		.amdhsa_group_segment_fixed_size 13320
		.amdhsa_private_segment_fixed_size 0
		.amdhsa_kernarg_size 152
		.amdhsa_user_sgpr_count 2
		.amdhsa_user_sgpr_dispatch_ptr 0
		.amdhsa_user_sgpr_queue_ptr 0
		.amdhsa_user_sgpr_kernarg_segment_ptr 1
		.amdhsa_user_sgpr_dispatch_id 0
		.amdhsa_user_sgpr_private_segment_size 0
		.amdhsa_wavefront_size32 1
		.amdhsa_uses_dynamic_stack 0
		.amdhsa_enable_private_segment 0
		.amdhsa_system_sgpr_workgroup_id_x 1
		.amdhsa_system_sgpr_workgroup_id_y 0
		.amdhsa_system_sgpr_workgroup_id_z 0
		.amdhsa_system_sgpr_workgroup_info 0
		.amdhsa_system_vgpr_workitem_id 0
		.amdhsa_next_free_vgpr 71
		.amdhsa_next_free_sgpr 26
		.amdhsa_reserve_vcc 1
		.amdhsa_float_round_mode_32 0
		.amdhsa_float_round_mode_16_64 0
		.amdhsa_float_denorm_mode_32 3
		.amdhsa_float_denorm_mode_16_64 3
		.amdhsa_fp16_overflow 0
		.amdhsa_workgroup_processor_mode 1
		.amdhsa_memory_ordered 1
		.amdhsa_forward_progress 1
		.amdhsa_inst_pref_size 86
		.amdhsa_round_robin_scheduling 0
		.amdhsa_exception_fp_ieee_invalid_op 0
		.amdhsa_exception_fp_denorm_src 0
		.amdhsa_exception_fp_ieee_div_zero 0
		.amdhsa_exception_fp_ieee_overflow 0
		.amdhsa_exception_fp_ieee_underflow 0
		.amdhsa_exception_fp_ieee_inexact 0
		.amdhsa_exception_int_div_zero 0
	.end_amdhsa_kernel
	.section	.text._ZN7rocprim17ROCPRIM_400000_NS6detail17trampoline_kernelINS0_13select_configILj256ELj13ELNS0_17block_load_methodE3ELS4_3ELS4_3ELNS0_20block_scan_algorithmE0ELj4294967295EEENS1_25partition_config_selectorILNS1_17partition_subalgoE3EjNS0_10empty_typeEbEEZZNS1_14partition_implILS8_3ELb0ES6_jNS0_17counting_iteratorIjlEEPS9_SE_NS0_5tupleIJPjSE_EEENSF_IJSE_SE_EEES9_SG_JZNS1_25segmented_radix_sort_implINS0_14default_configELb0EPKhPhPKlPlN2at6native12_GLOBAL__N_18offset_tEEE10hipError_tPvRmT1_PNSt15iterator_traitsISY_E10value_typeET2_T3_PNSZ_IS14_E10value_typeET4_jRbjT5_S1A_jjP12ihipStream_tbEUljE_EEESV_SW_SX_S14_S18_S1A_T6_T7_T9_mT8_S1C_bDpT10_ENKUlT_T0_E_clISt17integral_constantIbLb0EES1O_IbLb1EEEEDaS1K_S1L_EUlS1K_E_NS1_11comp_targetILNS1_3genE10ELNS1_11target_archE1200ELNS1_3gpuE4ELNS1_3repE0EEENS1_30default_config_static_selectorELNS0_4arch9wavefront6targetE0EEEvSY_,"axG",@progbits,_ZN7rocprim17ROCPRIM_400000_NS6detail17trampoline_kernelINS0_13select_configILj256ELj13ELNS0_17block_load_methodE3ELS4_3ELS4_3ELNS0_20block_scan_algorithmE0ELj4294967295EEENS1_25partition_config_selectorILNS1_17partition_subalgoE3EjNS0_10empty_typeEbEEZZNS1_14partition_implILS8_3ELb0ES6_jNS0_17counting_iteratorIjlEEPS9_SE_NS0_5tupleIJPjSE_EEENSF_IJSE_SE_EEES9_SG_JZNS1_25segmented_radix_sort_implINS0_14default_configELb0EPKhPhPKlPlN2at6native12_GLOBAL__N_18offset_tEEE10hipError_tPvRmT1_PNSt15iterator_traitsISY_E10value_typeET2_T3_PNSZ_IS14_E10value_typeET4_jRbjT5_S1A_jjP12ihipStream_tbEUljE_EEESV_SW_SX_S14_S18_S1A_T6_T7_T9_mT8_S1C_bDpT10_ENKUlT_T0_E_clISt17integral_constantIbLb0EES1O_IbLb1EEEEDaS1K_S1L_EUlS1K_E_NS1_11comp_targetILNS1_3genE10ELNS1_11target_archE1200ELNS1_3gpuE4ELNS1_3repE0EEENS1_30default_config_static_selectorELNS0_4arch9wavefront6targetE0EEEvSY_,comdat
.Lfunc_end183:
	.size	_ZN7rocprim17ROCPRIM_400000_NS6detail17trampoline_kernelINS0_13select_configILj256ELj13ELNS0_17block_load_methodE3ELS4_3ELS4_3ELNS0_20block_scan_algorithmE0ELj4294967295EEENS1_25partition_config_selectorILNS1_17partition_subalgoE3EjNS0_10empty_typeEbEEZZNS1_14partition_implILS8_3ELb0ES6_jNS0_17counting_iteratorIjlEEPS9_SE_NS0_5tupleIJPjSE_EEENSF_IJSE_SE_EEES9_SG_JZNS1_25segmented_radix_sort_implINS0_14default_configELb0EPKhPhPKlPlN2at6native12_GLOBAL__N_18offset_tEEE10hipError_tPvRmT1_PNSt15iterator_traitsISY_E10value_typeET2_T3_PNSZ_IS14_E10value_typeET4_jRbjT5_S1A_jjP12ihipStream_tbEUljE_EEESV_SW_SX_S14_S18_S1A_T6_T7_T9_mT8_S1C_bDpT10_ENKUlT_T0_E_clISt17integral_constantIbLb0EES1O_IbLb1EEEEDaS1K_S1L_EUlS1K_E_NS1_11comp_targetILNS1_3genE10ELNS1_11target_archE1200ELNS1_3gpuE4ELNS1_3repE0EEENS1_30default_config_static_selectorELNS0_4arch9wavefront6targetE0EEEvSY_, .Lfunc_end183-_ZN7rocprim17ROCPRIM_400000_NS6detail17trampoline_kernelINS0_13select_configILj256ELj13ELNS0_17block_load_methodE3ELS4_3ELS4_3ELNS0_20block_scan_algorithmE0ELj4294967295EEENS1_25partition_config_selectorILNS1_17partition_subalgoE3EjNS0_10empty_typeEbEEZZNS1_14partition_implILS8_3ELb0ES6_jNS0_17counting_iteratorIjlEEPS9_SE_NS0_5tupleIJPjSE_EEENSF_IJSE_SE_EEES9_SG_JZNS1_25segmented_radix_sort_implINS0_14default_configELb0EPKhPhPKlPlN2at6native12_GLOBAL__N_18offset_tEEE10hipError_tPvRmT1_PNSt15iterator_traitsISY_E10value_typeET2_T3_PNSZ_IS14_E10value_typeET4_jRbjT5_S1A_jjP12ihipStream_tbEUljE_EEESV_SW_SX_S14_S18_S1A_T6_T7_T9_mT8_S1C_bDpT10_ENKUlT_T0_E_clISt17integral_constantIbLb0EES1O_IbLb1EEEEDaS1K_S1L_EUlS1K_E_NS1_11comp_targetILNS1_3genE10ELNS1_11target_archE1200ELNS1_3gpuE4ELNS1_3repE0EEENS1_30default_config_static_selectorELNS0_4arch9wavefront6targetE0EEEvSY_
                                        ; -- End function
	.set _ZN7rocprim17ROCPRIM_400000_NS6detail17trampoline_kernelINS0_13select_configILj256ELj13ELNS0_17block_load_methodE3ELS4_3ELS4_3ELNS0_20block_scan_algorithmE0ELj4294967295EEENS1_25partition_config_selectorILNS1_17partition_subalgoE3EjNS0_10empty_typeEbEEZZNS1_14partition_implILS8_3ELb0ES6_jNS0_17counting_iteratorIjlEEPS9_SE_NS0_5tupleIJPjSE_EEENSF_IJSE_SE_EEES9_SG_JZNS1_25segmented_radix_sort_implINS0_14default_configELb0EPKhPhPKlPlN2at6native12_GLOBAL__N_18offset_tEEE10hipError_tPvRmT1_PNSt15iterator_traitsISY_E10value_typeET2_T3_PNSZ_IS14_E10value_typeET4_jRbjT5_S1A_jjP12ihipStream_tbEUljE_EEESV_SW_SX_S14_S18_S1A_T6_T7_T9_mT8_S1C_bDpT10_ENKUlT_T0_E_clISt17integral_constantIbLb0EES1O_IbLb1EEEEDaS1K_S1L_EUlS1K_E_NS1_11comp_targetILNS1_3genE10ELNS1_11target_archE1200ELNS1_3gpuE4ELNS1_3repE0EEENS1_30default_config_static_selectorELNS0_4arch9wavefront6targetE0EEEvSY_.num_vgpr, 71
	.set _ZN7rocprim17ROCPRIM_400000_NS6detail17trampoline_kernelINS0_13select_configILj256ELj13ELNS0_17block_load_methodE3ELS4_3ELS4_3ELNS0_20block_scan_algorithmE0ELj4294967295EEENS1_25partition_config_selectorILNS1_17partition_subalgoE3EjNS0_10empty_typeEbEEZZNS1_14partition_implILS8_3ELb0ES6_jNS0_17counting_iteratorIjlEEPS9_SE_NS0_5tupleIJPjSE_EEENSF_IJSE_SE_EEES9_SG_JZNS1_25segmented_radix_sort_implINS0_14default_configELb0EPKhPhPKlPlN2at6native12_GLOBAL__N_18offset_tEEE10hipError_tPvRmT1_PNSt15iterator_traitsISY_E10value_typeET2_T3_PNSZ_IS14_E10value_typeET4_jRbjT5_S1A_jjP12ihipStream_tbEUljE_EEESV_SW_SX_S14_S18_S1A_T6_T7_T9_mT8_S1C_bDpT10_ENKUlT_T0_E_clISt17integral_constantIbLb0EES1O_IbLb1EEEEDaS1K_S1L_EUlS1K_E_NS1_11comp_targetILNS1_3genE10ELNS1_11target_archE1200ELNS1_3gpuE4ELNS1_3repE0EEENS1_30default_config_static_selectorELNS0_4arch9wavefront6targetE0EEEvSY_.num_agpr, 0
	.set _ZN7rocprim17ROCPRIM_400000_NS6detail17trampoline_kernelINS0_13select_configILj256ELj13ELNS0_17block_load_methodE3ELS4_3ELS4_3ELNS0_20block_scan_algorithmE0ELj4294967295EEENS1_25partition_config_selectorILNS1_17partition_subalgoE3EjNS0_10empty_typeEbEEZZNS1_14partition_implILS8_3ELb0ES6_jNS0_17counting_iteratorIjlEEPS9_SE_NS0_5tupleIJPjSE_EEENSF_IJSE_SE_EEES9_SG_JZNS1_25segmented_radix_sort_implINS0_14default_configELb0EPKhPhPKlPlN2at6native12_GLOBAL__N_18offset_tEEE10hipError_tPvRmT1_PNSt15iterator_traitsISY_E10value_typeET2_T3_PNSZ_IS14_E10value_typeET4_jRbjT5_S1A_jjP12ihipStream_tbEUljE_EEESV_SW_SX_S14_S18_S1A_T6_T7_T9_mT8_S1C_bDpT10_ENKUlT_T0_E_clISt17integral_constantIbLb0EES1O_IbLb1EEEEDaS1K_S1L_EUlS1K_E_NS1_11comp_targetILNS1_3genE10ELNS1_11target_archE1200ELNS1_3gpuE4ELNS1_3repE0EEENS1_30default_config_static_selectorELNS0_4arch9wavefront6targetE0EEEvSY_.numbered_sgpr, 26
	.set _ZN7rocprim17ROCPRIM_400000_NS6detail17trampoline_kernelINS0_13select_configILj256ELj13ELNS0_17block_load_methodE3ELS4_3ELS4_3ELNS0_20block_scan_algorithmE0ELj4294967295EEENS1_25partition_config_selectorILNS1_17partition_subalgoE3EjNS0_10empty_typeEbEEZZNS1_14partition_implILS8_3ELb0ES6_jNS0_17counting_iteratorIjlEEPS9_SE_NS0_5tupleIJPjSE_EEENSF_IJSE_SE_EEES9_SG_JZNS1_25segmented_radix_sort_implINS0_14default_configELb0EPKhPhPKlPlN2at6native12_GLOBAL__N_18offset_tEEE10hipError_tPvRmT1_PNSt15iterator_traitsISY_E10value_typeET2_T3_PNSZ_IS14_E10value_typeET4_jRbjT5_S1A_jjP12ihipStream_tbEUljE_EEESV_SW_SX_S14_S18_S1A_T6_T7_T9_mT8_S1C_bDpT10_ENKUlT_T0_E_clISt17integral_constantIbLb0EES1O_IbLb1EEEEDaS1K_S1L_EUlS1K_E_NS1_11comp_targetILNS1_3genE10ELNS1_11target_archE1200ELNS1_3gpuE4ELNS1_3repE0EEENS1_30default_config_static_selectorELNS0_4arch9wavefront6targetE0EEEvSY_.num_named_barrier, 0
	.set _ZN7rocprim17ROCPRIM_400000_NS6detail17trampoline_kernelINS0_13select_configILj256ELj13ELNS0_17block_load_methodE3ELS4_3ELS4_3ELNS0_20block_scan_algorithmE0ELj4294967295EEENS1_25partition_config_selectorILNS1_17partition_subalgoE3EjNS0_10empty_typeEbEEZZNS1_14partition_implILS8_3ELb0ES6_jNS0_17counting_iteratorIjlEEPS9_SE_NS0_5tupleIJPjSE_EEENSF_IJSE_SE_EEES9_SG_JZNS1_25segmented_radix_sort_implINS0_14default_configELb0EPKhPhPKlPlN2at6native12_GLOBAL__N_18offset_tEEE10hipError_tPvRmT1_PNSt15iterator_traitsISY_E10value_typeET2_T3_PNSZ_IS14_E10value_typeET4_jRbjT5_S1A_jjP12ihipStream_tbEUljE_EEESV_SW_SX_S14_S18_S1A_T6_T7_T9_mT8_S1C_bDpT10_ENKUlT_T0_E_clISt17integral_constantIbLb0EES1O_IbLb1EEEEDaS1K_S1L_EUlS1K_E_NS1_11comp_targetILNS1_3genE10ELNS1_11target_archE1200ELNS1_3gpuE4ELNS1_3repE0EEENS1_30default_config_static_selectorELNS0_4arch9wavefront6targetE0EEEvSY_.private_seg_size, 0
	.set _ZN7rocprim17ROCPRIM_400000_NS6detail17trampoline_kernelINS0_13select_configILj256ELj13ELNS0_17block_load_methodE3ELS4_3ELS4_3ELNS0_20block_scan_algorithmE0ELj4294967295EEENS1_25partition_config_selectorILNS1_17partition_subalgoE3EjNS0_10empty_typeEbEEZZNS1_14partition_implILS8_3ELb0ES6_jNS0_17counting_iteratorIjlEEPS9_SE_NS0_5tupleIJPjSE_EEENSF_IJSE_SE_EEES9_SG_JZNS1_25segmented_radix_sort_implINS0_14default_configELb0EPKhPhPKlPlN2at6native12_GLOBAL__N_18offset_tEEE10hipError_tPvRmT1_PNSt15iterator_traitsISY_E10value_typeET2_T3_PNSZ_IS14_E10value_typeET4_jRbjT5_S1A_jjP12ihipStream_tbEUljE_EEESV_SW_SX_S14_S18_S1A_T6_T7_T9_mT8_S1C_bDpT10_ENKUlT_T0_E_clISt17integral_constantIbLb0EES1O_IbLb1EEEEDaS1K_S1L_EUlS1K_E_NS1_11comp_targetILNS1_3genE10ELNS1_11target_archE1200ELNS1_3gpuE4ELNS1_3repE0EEENS1_30default_config_static_selectorELNS0_4arch9wavefront6targetE0EEEvSY_.uses_vcc, 1
	.set _ZN7rocprim17ROCPRIM_400000_NS6detail17trampoline_kernelINS0_13select_configILj256ELj13ELNS0_17block_load_methodE3ELS4_3ELS4_3ELNS0_20block_scan_algorithmE0ELj4294967295EEENS1_25partition_config_selectorILNS1_17partition_subalgoE3EjNS0_10empty_typeEbEEZZNS1_14partition_implILS8_3ELb0ES6_jNS0_17counting_iteratorIjlEEPS9_SE_NS0_5tupleIJPjSE_EEENSF_IJSE_SE_EEES9_SG_JZNS1_25segmented_radix_sort_implINS0_14default_configELb0EPKhPhPKlPlN2at6native12_GLOBAL__N_18offset_tEEE10hipError_tPvRmT1_PNSt15iterator_traitsISY_E10value_typeET2_T3_PNSZ_IS14_E10value_typeET4_jRbjT5_S1A_jjP12ihipStream_tbEUljE_EEESV_SW_SX_S14_S18_S1A_T6_T7_T9_mT8_S1C_bDpT10_ENKUlT_T0_E_clISt17integral_constantIbLb0EES1O_IbLb1EEEEDaS1K_S1L_EUlS1K_E_NS1_11comp_targetILNS1_3genE10ELNS1_11target_archE1200ELNS1_3gpuE4ELNS1_3repE0EEENS1_30default_config_static_selectorELNS0_4arch9wavefront6targetE0EEEvSY_.uses_flat_scratch, 0
	.set _ZN7rocprim17ROCPRIM_400000_NS6detail17trampoline_kernelINS0_13select_configILj256ELj13ELNS0_17block_load_methodE3ELS4_3ELS4_3ELNS0_20block_scan_algorithmE0ELj4294967295EEENS1_25partition_config_selectorILNS1_17partition_subalgoE3EjNS0_10empty_typeEbEEZZNS1_14partition_implILS8_3ELb0ES6_jNS0_17counting_iteratorIjlEEPS9_SE_NS0_5tupleIJPjSE_EEENSF_IJSE_SE_EEES9_SG_JZNS1_25segmented_radix_sort_implINS0_14default_configELb0EPKhPhPKlPlN2at6native12_GLOBAL__N_18offset_tEEE10hipError_tPvRmT1_PNSt15iterator_traitsISY_E10value_typeET2_T3_PNSZ_IS14_E10value_typeET4_jRbjT5_S1A_jjP12ihipStream_tbEUljE_EEESV_SW_SX_S14_S18_S1A_T6_T7_T9_mT8_S1C_bDpT10_ENKUlT_T0_E_clISt17integral_constantIbLb0EES1O_IbLb1EEEEDaS1K_S1L_EUlS1K_E_NS1_11comp_targetILNS1_3genE10ELNS1_11target_archE1200ELNS1_3gpuE4ELNS1_3repE0EEENS1_30default_config_static_selectorELNS0_4arch9wavefront6targetE0EEEvSY_.has_dyn_sized_stack, 0
	.set _ZN7rocprim17ROCPRIM_400000_NS6detail17trampoline_kernelINS0_13select_configILj256ELj13ELNS0_17block_load_methodE3ELS4_3ELS4_3ELNS0_20block_scan_algorithmE0ELj4294967295EEENS1_25partition_config_selectorILNS1_17partition_subalgoE3EjNS0_10empty_typeEbEEZZNS1_14partition_implILS8_3ELb0ES6_jNS0_17counting_iteratorIjlEEPS9_SE_NS0_5tupleIJPjSE_EEENSF_IJSE_SE_EEES9_SG_JZNS1_25segmented_radix_sort_implINS0_14default_configELb0EPKhPhPKlPlN2at6native12_GLOBAL__N_18offset_tEEE10hipError_tPvRmT1_PNSt15iterator_traitsISY_E10value_typeET2_T3_PNSZ_IS14_E10value_typeET4_jRbjT5_S1A_jjP12ihipStream_tbEUljE_EEESV_SW_SX_S14_S18_S1A_T6_T7_T9_mT8_S1C_bDpT10_ENKUlT_T0_E_clISt17integral_constantIbLb0EES1O_IbLb1EEEEDaS1K_S1L_EUlS1K_E_NS1_11comp_targetILNS1_3genE10ELNS1_11target_archE1200ELNS1_3gpuE4ELNS1_3repE0EEENS1_30default_config_static_selectorELNS0_4arch9wavefront6targetE0EEEvSY_.has_recursion, 0
	.set _ZN7rocprim17ROCPRIM_400000_NS6detail17trampoline_kernelINS0_13select_configILj256ELj13ELNS0_17block_load_methodE3ELS4_3ELS4_3ELNS0_20block_scan_algorithmE0ELj4294967295EEENS1_25partition_config_selectorILNS1_17partition_subalgoE3EjNS0_10empty_typeEbEEZZNS1_14partition_implILS8_3ELb0ES6_jNS0_17counting_iteratorIjlEEPS9_SE_NS0_5tupleIJPjSE_EEENSF_IJSE_SE_EEES9_SG_JZNS1_25segmented_radix_sort_implINS0_14default_configELb0EPKhPhPKlPlN2at6native12_GLOBAL__N_18offset_tEEE10hipError_tPvRmT1_PNSt15iterator_traitsISY_E10value_typeET2_T3_PNSZ_IS14_E10value_typeET4_jRbjT5_S1A_jjP12ihipStream_tbEUljE_EEESV_SW_SX_S14_S18_S1A_T6_T7_T9_mT8_S1C_bDpT10_ENKUlT_T0_E_clISt17integral_constantIbLb0EES1O_IbLb1EEEEDaS1K_S1L_EUlS1K_E_NS1_11comp_targetILNS1_3genE10ELNS1_11target_archE1200ELNS1_3gpuE4ELNS1_3repE0EEENS1_30default_config_static_selectorELNS0_4arch9wavefront6targetE0EEEvSY_.has_indirect_call, 0
	.section	.AMDGPU.csdata,"",@progbits
; Kernel info:
; codeLenInByte = 10900
; TotalNumSgprs: 28
; NumVgprs: 71
; ScratchSize: 0
; MemoryBound: 0
; FloatMode: 240
; IeeeMode: 1
; LDSByteSize: 13320 bytes/workgroup (compile time only)
; SGPRBlocks: 0
; VGPRBlocks: 8
; NumSGPRsForWavesPerEU: 28
; NumVGPRsForWavesPerEU: 71
; Occupancy: 16
; WaveLimiterHint : 0
; COMPUTE_PGM_RSRC2:SCRATCH_EN: 0
; COMPUTE_PGM_RSRC2:USER_SGPR: 2
; COMPUTE_PGM_RSRC2:TRAP_HANDLER: 0
; COMPUTE_PGM_RSRC2:TGID_X_EN: 1
; COMPUTE_PGM_RSRC2:TGID_Y_EN: 0
; COMPUTE_PGM_RSRC2:TGID_Z_EN: 0
; COMPUTE_PGM_RSRC2:TIDIG_COMP_CNT: 0
	.section	.text._ZN7rocprim17ROCPRIM_400000_NS6detail17trampoline_kernelINS0_13select_configILj256ELj13ELNS0_17block_load_methodE3ELS4_3ELS4_3ELNS0_20block_scan_algorithmE0ELj4294967295EEENS1_25partition_config_selectorILNS1_17partition_subalgoE3EjNS0_10empty_typeEbEEZZNS1_14partition_implILS8_3ELb0ES6_jNS0_17counting_iteratorIjlEEPS9_SE_NS0_5tupleIJPjSE_EEENSF_IJSE_SE_EEES9_SG_JZNS1_25segmented_radix_sort_implINS0_14default_configELb0EPKhPhPKlPlN2at6native12_GLOBAL__N_18offset_tEEE10hipError_tPvRmT1_PNSt15iterator_traitsISY_E10value_typeET2_T3_PNSZ_IS14_E10value_typeET4_jRbjT5_S1A_jjP12ihipStream_tbEUljE_EEESV_SW_SX_S14_S18_S1A_T6_T7_T9_mT8_S1C_bDpT10_ENKUlT_T0_E_clISt17integral_constantIbLb0EES1O_IbLb1EEEEDaS1K_S1L_EUlS1K_E_NS1_11comp_targetILNS1_3genE9ELNS1_11target_archE1100ELNS1_3gpuE3ELNS1_3repE0EEENS1_30default_config_static_selectorELNS0_4arch9wavefront6targetE0EEEvSY_,"axG",@progbits,_ZN7rocprim17ROCPRIM_400000_NS6detail17trampoline_kernelINS0_13select_configILj256ELj13ELNS0_17block_load_methodE3ELS4_3ELS4_3ELNS0_20block_scan_algorithmE0ELj4294967295EEENS1_25partition_config_selectorILNS1_17partition_subalgoE3EjNS0_10empty_typeEbEEZZNS1_14partition_implILS8_3ELb0ES6_jNS0_17counting_iteratorIjlEEPS9_SE_NS0_5tupleIJPjSE_EEENSF_IJSE_SE_EEES9_SG_JZNS1_25segmented_radix_sort_implINS0_14default_configELb0EPKhPhPKlPlN2at6native12_GLOBAL__N_18offset_tEEE10hipError_tPvRmT1_PNSt15iterator_traitsISY_E10value_typeET2_T3_PNSZ_IS14_E10value_typeET4_jRbjT5_S1A_jjP12ihipStream_tbEUljE_EEESV_SW_SX_S14_S18_S1A_T6_T7_T9_mT8_S1C_bDpT10_ENKUlT_T0_E_clISt17integral_constantIbLb0EES1O_IbLb1EEEEDaS1K_S1L_EUlS1K_E_NS1_11comp_targetILNS1_3genE9ELNS1_11target_archE1100ELNS1_3gpuE3ELNS1_3repE0EEENS1_30default_config_static_selectorELNS0_4arch9wavefront6targetE0EEEvSY_,comdat
	.globl	_ZN7rocprim17ROCPRIM_400000_NS6detail17trampoline_kernelINS0_13select_configILj256ELj13ELNS0_17block_load_methodE3ELS4_3ELS4_3ELNS0_20block_scan_algorithmE0ELj4294967295EEENS1_25partition_config_selectorILNS1_17partition_subalgoE3EjNS0_10empty_typeEbEEZZNS1_14partition_implILS8_3ELb0ES6_jNS0_17counting_iteratorIjlEEPS9_SE_NS0_5tupleIJPjSE_EEENSF_IJSE_SE_EEES9_SG_JZNS1_25segmented_radix_sort_implINS0_14default_configELb0EPKhPhPKlPlN2at6native12_GLOBAL__N_18offset_tEEE10hipError_tPvRmT1_PNSt15iterator_traitsISY_E10value_typeET2_T3_PNSZ_IS14_E10value_typeET4_jRbjT5_S1A_jjP12ihipStream_tbEUljE_EEESV_SW_SX_S14_S18_S1A_T6_T7_T9_mT8_S1C_bDpT10_ENKUlT_T0_E_clISt17integral_constantIbLb0EES1O_IbLb1EEEEDaS1K_S1L_EUlS1K_E_NS1_11comp_targetILNS1_3genE9ELNS1_11target_archE1100ELNS1_3gpuE3ELNS1_3repE0EEENS1_30default_config_static_selectorELNS0_4arch9wavefront6targetE0EEEvSY_ ; -- Begin function _ZN7rocprim17ROCPRIM_400000_NS6detail17trampoline_kernelINS0_13select_configILj256ELj13ELNS0_17block_load_methodE3ELS4_3ELS4_3ELNS0_20block_scan_algorithmE0ELj4294967295EEENS1_25partition_config_selectorILNS1_17partition_subalgoE3EjNS0_10empty_typeEbEEZZNS1_14partition_implILS8_3ELb0ES6_jNS0_17counting_iteratorIjlEEPS9_SE_NS0_5tupleIJPjSE_EEENSF_IJSE_SE_EEES9_SG_JZNS1_25segmented_radix_sort_implINS0_14default_configELb0EPKhPhPKlPlN2at6native12_GLOBAL__N_18offset_tEEE10hipError_tPvRmT1_PNSt15iterator_traitsISY_E10value_typeET2_T3_PNSZ_IS14_E10value_typeET4_jRbjT5_S1A_jjP12ihipStream_tbEUljE_EEESV_SW_SX_S14_S18_S1A_T6_T7_T9_mT8_S1C_bDpT10_ENKUlT_T0_E_clISt17integral_constantIbLb0EES1O_IbLb1EEEEDaS1K_S1L_EUlS1K_E_NS1_11comp_targetILNS1_3genE9ELNS1_11target_archE1100ELNS1_3gpuE3ELNS1_3repE0EEENS1_30default_config_static_selectorELNS0_4arch9wavefront6targetE0EEEvSY_
	.p2align	8
	.type	_ZN7rocprim17ROCPRIM_400000_NS6detail17trampoline_kernelINS0_13select_configILj256ELj13ELNS0_17block_load_methodE3ELS4_3ELS4_3ELNS0_20block_scan_algorithmE0ELj4294967295EEENS1_25partition_config_selectorILNS1_17partition_subalgoE3EjNS0_10empty_typeEbEEZZNS1_14partition_implILS8_3ELb0ES6_jNS0_17counting_iteratorIjlEEPS9_SE_NS0_5tupleIJPjSE_EEENSF_IJSE_SE_EEES9_SG_JZNS1_25segmented_radix_sort_implINS0_14default_configELb0EPKhPhPKlPlN2at6native12_GLOBAL__N_18offset_tEEE10hipError_tPvRmT1_PNSt15iterator_traitsISY_E10value_typeET2_T3_PNSZ_IS14_E10value_typeET4_jRbjT5_S1A_jjP12ihipStream_tbEUljE_EEESV_SW_SX_S14_S18_S1A_T6_T7_T9_mT8_S1C_bDpT10_ENKUlT_T0_E_clISt17integral_constantIbLb0EES1O_IbLb1EEEEDaS1K_S1L_EUlS1K_E_NS1_11comp_targetILNS1_3genE9ELNS1_11target_archE1100ELNS1_3gpuE3ELNS1_3repE0EEENS1_30default_config_static_selectorELNS0_4arch9wavefront6targetE0EEEvSY_,@function
_ZN7rocprim17ROCPRIM_400000_NS6detail17trampoline_kernelINS0_13select_configILj256ELj13ELNS0_17block_load_methodE3ELS4_3ELS4_3ELNS0_20block_scan_algorithmE0ELj4294967295EEENS1_25partition_config_selectorILNS1_17partition_subalgoE3EjNS0_10empty_typeEbEEZZNS1_14partition_implILS8_3ELb0ES6_jNS0_17counting_iteratorIjlEEPS9_SE_NS0_5tupleIJPjSE_EEENSF_IJSE_SE_EEES9_SG_JZNS1_25segmented_radix_sort_implINS0_14default_configELb0EPKhPhPKlPlN2at6native12_GLOBAL__N_18offset_tEEE10hipError_tPvRmT1_PNSt15iterator_traitsISY_E10value_typeET2_T3_PNSZ_IS14_E10value_typeET4_jRbjT5_S1A_jjP12ihipStream_tbEUljE_EEESV_SW_SX_S14_S18_S1A_T6_T7_T9_mT8_S1C_bDpT10_ENKUlT_T0_E_clISt17integral_constantIbLb0EES1O_IbLb1EEEEDaS1K_S1L_EUlS1K_E_NS1_11comp_targetILNS1_3genE9ELNS1_11target_archE1100ELNS1_3gpuE3ELNS1_3repE0EEENS1_30default_config_static_selectorELNS0_4arch9wavefront6targetE0EEEvSY_: ; @_ZN7rocprim17ROCPRIM_400000_NS6detail17trampoline_kernelINS0_13select_configILj256ELj13ELNS0_17block_load_methodE3ELS4_3ELS4_3ELNS0_20block_scan_algorithmE0ELj4294967295EEENS1_25partition_config_selectorILNS1_17partition_subalgoE3EjNS0_10empty_typeEbEEZZNS1_14partition_implILS8_3ELb0ES6_jNS0_17counting_iteratorIjlEEPS9_SE_NS0_5tupleIJPjSE_EEENSF_IJSE_SE_EEES9_SG_JZNS1_25segmented_radix_sort_implINS0_14default_configELb0EPKhPhPKlPlN2at6native12_GLOBAL__N_18offset_tEEE10hipError_tPvRmT1_PNSt15iterator_traitsISY_E10value_typeET2_T3_PNSZ_IS14_E10value_typeET4_jRbjT5_S1A_jjP12ihipStream_tbEUljE_EEESV_SW_SX_S14_S18_S1A_T6_T7_T9_mT8_S1C_bDpT10_ENKUlT_T0_E_clISt17integral_constantIbLb0EES1O_IbLb1EEEEDaS1K_S1L_EUlS1K_E_NS1_11comp_targetILNS1_3genE9ELNS1_11target_archE1100ELNS1_3gpuE3ELNS1_3repE0EEENS1_30default_config_static_selectorELNS0_4arch9wavefront6targetE0EEEvSY_
; %bb.0:
	.section	.rodata,"a",@progbits
	.p2align	6, 0x0
	.amdhsa_kernel _ZN7rocprim17ROCPRIM_400000_NS6detail17trampoline_kernelINS0_13select_configILj256ELj13ELNS0_17block_load_methodE3ELS4_3ELS4_3ELNS0_20block_scan_algorithmE0ELj4294967295EEENS1_25partition_config_selectorILNS1_17partition_subalgoE3EjNS0_10empty_typeEbEEZZNS1_14partition_implILS8_3ELb0ES6_jNS0_17counting_iteratorIjlEEPS9_SE_NS0_5tupleIJPjSE_EEENSF_IJSE_SE_EEES9_SG_JZNS1_25segmented_radix_sort_implINS0_14default_configELb0EPKhPhPKlPlN2at6native12_GLOBAL__N_18offset_tEEE10hipError_tPvRmT1_PNSt15iterator_traitsISY_E10value_typeET2_T3_PNSZ_IS14_E10value_typeET4_jRbjT5_S1A_jjP12ihipStream_tbEUljE_EEESV_SW_SX_S14_S18_S1A_T6_T7_T9_mT8_S1C_bDpT10_ENKUlT_T0_E_clISt17integral_constantIbLb0EES1O_IbLb1EEEEDaS1K_S1L_EUlS1K_E_NS1_11comp_targetILNS1_3genE9ELNS1_11target_archE1100ELNS1_3gpuE3ELNS1_3repE0EEENS1_30default_config_static_selectorELNS0_4arch9wavefront6targetE0EEEvSY_
		.amdhsa_group_segment_fixed_size 0
		.amdhsa_private_segment_fixed_size 0
		.amdhsa_kernarg_size 152
		.amdhsa_user_sgpr_count 2
		.amdhsa_user_sgpr_dispatch_ptr 0
		.amdhsa_user_sgpr_queue_ptr 0
		.amdhsa_user_sgpr_kernarg_segment_ptr 1
		.amdhsa_user_sgpr_dispatch_id 0
		.amdhsa_user_sgpr_private_segment_size 0
		.amdhsa_wavefront_size32 1
		.amdhsa_uses_dynamic_stack 0
		.amdhsa_enable_private_segment 0
		.amdhsa_system_sgpr_workgroup_id_x 1
		.amdhsa_system_sgpr_workgroup_id_y 0
		.amdhsa_system_sgpr_workgroup_id_z 0
		.amdhsa_system_sgpr_workgroup_info 0
		.amdhsa_system_vgpr_workitem_id 0
		.amdhsa_next_free_vgpr 1
		.amdhsa_next_free_sgpr 1
		.amdhsa_reserve_vcc 0
		.amdhsa_float_round_mode_32 0
		.amdhsa_float_round_mode_16_64 0
		.amdhsa_float_denorm_mode_32 3
		.amdhsa_float_denorm_mode_16_64 3
		.amdhsa_fp16_overflow 0
		.amdhsa_workgroup_processor_mode 1
		.amdhsa_memory_ordered 1
		.amdhsa_forward_progress 1
		.amdhsa_inst_pref_size 0
		.amdhsa_round_robin_scheduling 0
		.amdhsa_exception_fp_ieee_invalid_op 0
		.amdhsa_exception_fp_denorm_src 0
		.amdhsa_exception_fp_ieee_div_zero 0
		.amdhsa_exception_fp_ieee_overflow 0
		.amdhsa_exception_fp_ieee_underflow 0
		.amdhsa_exception_fp_ieee_inexact 0
		.amdhsa_exception_int_div_zero 0
	.end_amdhsa_kernel
	.section	.text._ZN7rocprim17ROCPRIM_400000_NS6detail17trampoline_kernelINS0_13select_configILj256ELj13ELNS0_17block_load_methodE3ELS4_3ELS4_3ELNS0_20block_scan_algorithmE0ELj4294967295EEENS1_25partition_config_selectorILNS1_17partition_subalgoE3EjNS0_10empty_typeEbEEZZNS1_14partition_implILS8_3ELb0ES6_jNS0_17counting_iteratorIjlEEPS9_SE_NS0_5tupleIJPjSE_EEENSF_IJSE_SE_EEES9_SG_JZNS1_25segmented_radix_sort_implINS0_14default_configELb0EPKhPhPKlPlN2at6native12_GLOBAL__N_18offset_tEEE10hipError_tPvRmT1_PNSt15iterator_traitsISY_E10value_typeET2_T3_PNSZ_IS14_E10value_typeET4_jRbjT5_S1A_jjP12ihipStream_tbEUljE_EEESV_SW_SX_S14_S18_S1A_T6_T7_T9_mT8_S1C_bDpT10_ENKUlT_T0_E_clISt17integral_constantIbLb0EES1O_IbLb1EEEEDaS1K_S1L_EUlS1K_E_NS1_11comp_targetILNS1_3genE9ELNS1_11target_archE1100ELNS1_3gpuE3ELNS1_3repE0EEENS1_30default_config_static_selectorELNS0_4arch9wavefront6targetE0EEEvSY_,"axG",@progbits,_ZN7rocprim17ROCPRIM_400000_NS6detail17trampoline_kernelINS0_13select_configILj256ELj13ELNS0_17block_load_methodE3ELS4_3ELS4_3ELNS0_20block_scan_algorithmE0ELj4294967295EEENS1_25partition_config_selectorILNS1_17partition_subalgoE3EjNS0_10empty_typeEbEEZZNS1_14partition_implILS8_3ELb0ES6_jNS0_17counting_iteratorIjlEEPS9_SE_NS0_5tupleIJPjSE_EEENSF_IJSE_SE_EEES9_SG_JZNS1_25segmented_radix_sort_implINS0_14default_configELb0EPKhPhPKlPlN2at6native12_GLOBAL__N_18offset_tEEE10hipError_tPvRmT1_PNSt15iterator_traitsISY_E10value_typeET2_T3_PNSZ_IS14_E10value_typeET4_jRbjT5_S1A_jjP12ihipStream_tbEUljE_EEESV_SW_SX_S14_S18_S1A_T6_T7_T9_mT8_S1C_bDpT10_ENKUlT_T0_E_clISt17integral_constantIbLb0EES1O_IbLb1EEEEDaS1K_S1L_EUlS1K_E_NS1_11comp_targetILNS1_3genE9ELNS1_11target_archE1100ELNS1_3gpuE3ELNS1_3repE0EEENS1_30default_config_static_selectorELNS0_4arch9wavefront6targetE0EEEvSY_,comdat
.Lfunc_end184:
	.size	_ZN7rocprim17ROCPRIM_400000_NS6detail17trampoline_kernelINS0_13select_configILj256ELj13ELNS0_17block_load_methodE3ELS4_3ELS4_3ELNS0_20block_scan_algorithmE0ELj4294967295EEENS1_25partition_config_selectorILNS1_17partition_subalgoE3EjNS0_10empty_typeEbEEZZNS1_14partition_implILS8_3ELb0ES6_jNS0_17counting_iteratorIjlEEPS9_SE_NS0_5tupleIJPjSE_EEENSF_IJSE_SE_EEES9_SG_JZNS1_25segmented_radix_sort_implINS0_14default_configELb0EPKhPhPKlPlN2at6native12_GLOBAL__N_18offset_tEEE10hipError_tPvRmT1_PNSt15iterator_traitsISY_E10value_typeET2_T3_PNSZ_IS14_E10value_typeET4_jRbjT5_S1A_jjP12ihipStream_tbEUljE_EEESV_SW_SX_S14_S18_S1A_T6_T7_T9_mT8_S1C_bDpT10_ENKUlT_T0_E_clISt17integral_constantIbLb0EES1O_IbLb1EEEEDaS1K_S1L_EUlS1K_E_NS1_11comp_targetILNS1_3genE9ELNS1_11target_archE1100ELNS1_3gpuE3ELNS1_3repE0EEENS1_30default_config_static_selectorELNS0_4arch9wavefront6targetE0EEEvSY_, .Lfunc_end184-_ZN7rocprim17ROCPRIM_400000_NS6detail17trampoline_kernelINS0_13select_configILj256ELj13ELNS0_17block_load_methodE3ELS4_3ELS4_3ELNS0_20block_scan_algorithmE0ELj4294967295EEENS1_25partition_config_selectorILNS1_17partition_subalgoE3EjNS0_10empty_typeEbEEZZNS1_14partition_implILS8_3ELb0ES6_jNS0_17counting_iteratorIjlEEPS9_SE_NS0_5tupleIJPjSE_EEENSF_IJSE_SE_EEES9_SG_JZNS1_25segmented_radix_sort_implINS0_14default_configELb0EPKhPhPKlPlN2at6native12_GLOBAL__N_18offset_tEEE10hipError_tPvRmT1_PNSt15iterator_traitsISY_E10value_typeET2_T3_PNSZ_IS14_E10value_typeET4_jRbjT5_S1A_jjP12ihipStream_tbEUljE_EEESV_SW_SX_S14_S18_S1A_T6_T7_T9_mT8_S1C_bDpT10_ENKUlT_T0_E_clISt17integral_constantIbLb0EES1O_IbLb1EEEEDaS1K_S1L_EUlS1K_E_NS1_11comp_targetILNS1_3genE9ELNS1_11target_archE1100ELNS1_3gpuE3ELNS1_3repE0EEENS1_30default_config_static_selectorELNS0_4arch9wavefront6targetE0EEEvSY_
                                        ; -- End function
	.set _ZN7rocprim17ROCPRIM_400000_NS6detail17trampoline_kernelINS0_13select_configILj256ELj13ELNS0_17block_load_methodE3ELS4_3ELS4_3ELNS0_20block_scan_algorithmE0ELj4294967295EEENS1_25partition_config_selectorILNS1_17partition_subalgoE3EjNS0_10empty_typeEbEEZZNS1_14partition_implILS8_3ELb0ES6_jNS0_17counting_iteratorIjlEEPS9_SE_NS0_5tupleIJPjSE_EEENSF_IJSE_SE_EEES9_SG_JZNS1_25segmented_radix_sort_implINS0_14default_configELb0EPKhPhPKlPlN2at6native12_GLOBAL__N_18offset_tEEE10hipError_tPvRmT1_PNSt15iterator_traitsISY_E10value_typeET2_T3_PNSZ_IS14_E10value_typeET4_jRbjT5_S1A_jjP12ihipStream_tbEUljE_EEESV_SW_SX_S14_S18_S1A_T6_T7_T9_mT8_S1C_bDpT10_ENKUlT_T0_E_clISt17integral_constantIbLb0EES1O_IbLb1EEEEDaS1K_S1L_EUlS1K_E_NS1_11comp_targetILNS1_3genE9ELNS1_11target_archE1100ELNS1_3gpuE3ELNS1_3repE0EEENS1_30default_config_static_selectorELNS0_4arch9wavefront6targetE0EEEvSY_.num_vgpr, 0
	.set _ZN7rocprim17ROCPRIM_400000_NS6detail17trampoline_kernelINS0_13select_configILj256ELj13ELNS0_17block_load_methodE3ELS4_3ELS4_3ELNS0_20block_scan_algorithmE0ELj4294967295EEENS1_25partition_config_selectorILNS1_17partition_subalgoE3EjNS0_10empty_typeEbEEZZNS1_14partition_implILS8_3ELb0ES6_jNS0_17counting_iteratorIjlEEPS9_SE_NS0_5tupleIJPjSE_EEENSF_IJSE_SE_EEES9_SG_JZNS1_25segmented_radix_sort_implINS0_14default_configELb0EPKhPhPKlPlN2at6native12_GLOBAL__N_18offset_tEEE10hipError_tPvRmT1_PNSt15iterator_traitsISY_E10value_typeET2_T3_PNSZ_IS14_E10value_typeET4_jRbjT5_S1A_jjP12ihipStream_tbEUljE_EEESV_SW_SX_S14_S18_S1A_T6_T7_T9_mT8_S1C_bDpT10_ENKUlT_T0_E_clISt17integral_constantIbLb0EES1O_IbLb1EEEEDaS1K_S1L_EUlS1K_E_NS1_11comp_targetILNS1_3genE9ELNS1_11target_archE1100ELNS1_3gpuE3ELNS1_3repE0EEENS1_30default_config_static_selectorELNS0_4arch9wavefront6targetE0EEEvSY_.num_agpr, 0
	.set _ZN7rocprim17ROCPRIM_400000_NS6detail17trampoline_kernelINS0_13select_configILj256ELj13ELNS0_17block_load_methodE3ELS4_3ELS4_3ELNS0_20block_scan_algorithmE0ELj4294967295EEENS1_25partition_config_selectorILNS1_17partition_subalgoE3EjNS0_10empty_typeEbEEZZNS1_14partition_implILS8_3ELb0ES6_jNS0_17counting_iteratorIjlEEPS9_SE_NS0_5tupleIJPjSE_EEENSF_IJSE_SE_EEES9_SG_JZNS1_25segmented_radix_sort_implINS0_14default_configELb0EPKhPhPKlPlN2at6native12_GLOBAL__N_18offset_tEEE10hipError_tPvRmT1_PNSt15iterator_traitsISY_E10value_typeET2_T3_PNSZ_IS14_E10value_typeET4_jRbjT5_S1A_jjP12ihipStream_tbEUljE_EEESV_SW_SX_S14_S18_S1A_T6_T7_T9_mT8_S1C_bDpT10_ENKUlT_T0_E_clISt17integral_constantIbLb0EES1O_IbLb1EEEEDaS1K_S1L_EUlS1K_E_NS1_11comp_targetILNS1_3genE9ELNS1_11target_archE1100ELNS1_3gpuE3ELNS1_3repE0EEENS1_30default_config_static_selectorELNS0_4arch9wavefront6targetE0EEEvSY_.numbered_sgpr, 0
	.set _ZN7rocprim17ROCPRIM_400000_NS6detail17trampoline_kernelINS0_13select_configILj256ELj13ELNS0_17block_load_methodE3ELS4_3ELS4_3ELNS0_20block_scan_algorithmE0ELj4294967295EEENS1_25partition_config_selectorILNS1_17partition_subalgoE3EjNS0_10empty_typeEbEEZZNS1_14partition_implILS8_3ELb0ES6_jNS0_17counting_iteratorIjlEEPS9_SE_NS0_5tupleIJPjSE_EEENSF_IJSE_SE_EEES9_SG_JZNS1_25segmented_radix_sort_implINS0_14default_configELb0EPKhPhPKlPlN2at6native12_GLOBAL__N_18offset_tEEE10hipError_tPvRmT1_PNSt15iterator_traitsISY_E10value_typeET2_T3_PNSZ_IS14_E10value_typeET4_jRbjT5_S1A_jjP12ihipStream_tbEUljE_EEESV_SW_SX_S14_S18_S1A_T6_T7_T9_mT8_S1C_bDpT10_ENKUlT_T0_E_clISt17integral_constantIbLb0EES1O_IbLb1EEEEDaS1K_S1L_EUlS1K_E_NS1_11comp_targetILNS1_3genE9ELNS1_11target_archE1100ELNS1_3gpuE3ELNS1_3repE0EEENS1_30default_config_static_selectorELNS0_4arch9wavefront6targetE0EEEvSY_.num_named_barrier, 0
	.set _ZN7rocprim17ROCPRIM_400000_NS6detail17trampoline_kernelINS0_13select_configILj256ELj13ELNS0_17block_load_methodE3ELS4_3ELS4_3ELNS0_20block_scan_algorithmE0ELj4294967295EEENS1_25partition_config_selectorILNS1_17partition_subalgoE3EjNS0_10empty_typeEbEEZZNS1_14partition_implILS8_3ELb0ES6_jNS0_17counting_iteratorIjlEEPS9_SE_NS0_5tupleIJPjSE_EEENSF_IJSE_SE_EEES9_SG_JZNS1_25segmented_radix_sort_implINS0_14default_configELb0EPKhPhPKlPlN2at6native12_GLOBAL__N_18offset_tEEE10hipError_tPvRmT1_PNSt15iterator_traitsISY_E10value_typeET2_T3_PNSZ_IS14_E10value_typeET4_jRbjT5_S1A_jjP12ihipStream_tbEUljE_EEESV_SW_SX_S14_S18_S1A_T6_T7_T9_mT8_S1C_bDpT10_ENKUlT_T0_E_clISt17integral_constantIbLb0EES1O_IbLb1EEEEDaS1K_S1L_EUlS1K_E_NS1_11comp_targetILNS1_3genE9ELNS1_11target_archE1100ELNS1_3gpuE3ELNS1_3repE0EEENS1_30default_config_static_selectorELNS0_4arch9wavefront6targetE0EEEvSY_.private_seg_size, 0
	.set _ZN7rocprim17ROCPRIM_400000_NS6detail17trampoline_kernelINS0_13select_configILj256ELj13ELNS0_17block_load_methodE3ELS4_3ELS4_3ELNS0_20block_scan_algorithmE0ELj4294967295EEENS1_25partition_config_selectorILNS1_17partition_subalgoE3EjNS0_10empty_typeEbEEZZNS1_14partition_implILS8_3ELb0ES6_jNS0_17counting_iteratorIjlEEPS9_SE_NS0_5tupleIJPjSE_EEENSF_IJSE_SE_EEES9_SG_JZNS1_25segmented_radix_sort_implINS0_14default_configELb0EPKhPhPKlPlN2at6native12_GLOBAL__N_18offset_tEEE10hipError_tPvRmT1_PNSt15iterator_traitsISY_E10value_typeET2_T3_PNSZ_IS14_E10value_typeET4_jRbjT5_S1A_jjP12ihipStream_tbEUljE_EEESV_SW_SX_S14_S18_S1A_T6_T7_T9_mT8_S1C_bDpT10_ENKUlT_T0_E_clISt17integral_constantIbLb0EES1O_IbLb1EEEEDaS1K_S1L_EUlS1K_E_NS1_11comp_targetILNS1_3genE9ELNS1_11target_archE1100ELNS1_3gpuE3ELNS1_3repE0EEENS1_30default_config_static_selectorELNS0_4arch9wavefront6targetE0EEEvSY_.uses_vcc, 0
	.set _ZN7rocprim17ROCPRIM_400000_NS6detail17trampoline_kernelINS0_13select_configILj256ELj13ELNS0_17block_load_methodE3ELS4_3ELS4_3ELNS0_20block_scan_algorithmE0ELj4294967295EEENS1_25partition_config_selectorILNS1_17partition_subalgoE3EjNS0_10empty_typeEbEEZZNS1_14partition_implILS8_3ELb0ES6_jNS0_17counting_iteratorIjlEEPS9_SE_NS0_5tupleIJPjSE_EEENSF_IJSE_SE_EEES9_SG_JZNS1_25segmented_radix_sort_implINS0_14default_configELb0EPKhPhPKlPlN2at6native12_GLOBAL__N_18offset_tEEE10hipError_tPvRmT1_PNSt15iterator_traitsISY_E10value_typeET2_T3_PNSZ_IS14_E10value_typeET4_jRbjT5_S1A_jjP12ihipStream_tbEUljE_EEESV_SW_SX_S14_S18_S1A_T6_T7_T9_mT8_S1C_bDpT10_ENKUlT_T0_E_clISt17integral_constantIbLb0EES1O_IbLb1EEEEDaS1K_S1L_EUlS1K_E_NS1_11comp_targetILNS1_3genE9ELNS1_11target_archE1100ELNS1_3gpuE3ELNS1_3repE0EEENS1_30default_config_static_selectorELNS0_4arch9wavefront6targetE0EEEvSY_.uses_flat_scratch, 0
	.set _ZN7rocprim17ROCPRIM_400000_NS6detail17trampoline_kernelINS0_13select_configILj256ELj13ELNS0_17block_load_methodE3ELS4_3ELS4_3ELNS0_20block_scan_algorithmE0ELj4294967295EEENS1_25partition_config_selectorILNS1_17partition_subalgoE3EjNS0_10empty_typeEbEEZZNS1_14partition_implILS8_3ELb0ES6_jNS0_17counting_iteratorIjlEEPS9_SE_NS0_5tupleIJPjSE_EEENSF_IJSE_SE_EEES9_SG_JZNS1_25segmented_radix_sort_implINS0_14default_configELb0EPKhPhPKlPlN2at6native12_GLOBAL__N_18offset_tEEE10hipError_tPvRmT1_PNSt15iterator_traitsISY_E10value_typeET2_T3_PNSZ_IS14_E10value_typeET4_jRbjT5_S1A_jjP12ihipStream_tbEUljE_EEESV_SW_SX_S14_S18_S1A_T6_T7_T9_mT8_S1C_bDpT10_ENKUlT_T0_E_clISt17integral_constantIbLb0EES1O_IbLb1EEEEDaS1K_S1L_EUlS1K_E_NS1_11comp_targetILNS1_3genE9ELNS1_11target_archE1100ELNS1_3gpuE3ELNS1_3repE0EEENS1_30default_config_static_selectorELNS0_4arch9wavefront6targetE0EEEvSY_.has_dyn_sized_stack, 0
	.set _ZN7rocprim17ROCPRIM_400000_NS6detail17trampoline_kernelINS0_13select_configILj256ELj13ELNS0_17block_load_methodE3ELS4_3ELS4_3ELNS0_20block_scan_algorithmE0ELj4294967295EEENS1_25partition_config_selectorILNS1_17partition_subalgoE3EjNS0_10empty_typeEbEEZZNS1_14partition_implILS8_3ELb0ES6_jNS0_17counting_iteratorIjlEEPS9_SE_NS0_5tupleIJPjSE_EEENSF_IJSE_SE_EEES9_SG_JZNS1_25segmented_radix_sort_implINS0_14default_configELb0EPKhPhPKlPlN2at6native12_GLOBAL__N_18offset_tEEE10hipError_tPvRmT1_PNSt15iterator_traitsISY_E10value_typeET2_T3_PNSZ_IS14_E10value_typeET4_jRbjT5_S1A_jjP12ihipStream_tbEUljE_EEESV_SW_SX_S14_S18_S1A_T6_T7_T9_mT8_S1C_bDpT10_ENKUlT_T0_E_clISt17integral_constantIbLb0EES1O_IbLb1EEEEDaS1K_S1L_EUlS1K_E_NS1_11comp_targetILNS1_3genE9ELNS1_11target_archE1100ELNS1_3gpuE3ELNS1_3repE0EEENS1_30default_config_static_selectorELNS0_4arch9wavefront6targetE0EEEvSY_.has_recursion, 0
	.set _ZN7rocprim17ROCPRIM_400000_NS6detail17trampoline_kernelINS0_13select_configILj256ELj13ELNS0_17block_load_methodE3ELS4_3ELS4_3ELNS0_20block_scan_algorithmE0ELj4294967295EEENS1_25partition_config_selectorILNS1_17partition_subalgoE3EjNS0_10empty_typeEbEEZZNS1_14partition_implILS8_3ELb0ES6_jNS0_17counting_iteratorIjlEEPS9_SE_NS0_5tupleIJPjSE_EEENSF_IJSE_SE_EEES9_SG_JZNS1_25segmented_radix_sort_implINS0_14default_configELb0EPKhPhPKlPlN2at6native12_GLOBAL__N_18offset_tEEE10hipError_tPvRmT1_PNSt15iterator_traitsISY_E10value_typeET2_T3_PNSZ_IS14_E10value_typeET4_jRbjT5_S1A_jjP12ihipStream_tbEUljE_EEESV_SW_SX_S14_S18_S1A_T6_T7_T9_mT8_S1C_bDpT10_ENKUlT_T0_E_clISt17integral_constantIbLb0EES1O_IbLb1EEEEDaS1K_S1L_EUlS1K_E_NS1_11comp_targetILNS1_3genE9ELNS1_11target_archE1100ELNS1_3gpuE3ELNS1_3repE0EEENS1_30default_config_static_selectorELNS0_4arch9wavefront6targetE0EEEvSY_.has_indirect_call, 0
	.section	.AMDGPU.csdata,"",@progbits
; Kernel info:
; codeLenInByte = 0
; TotalNumSgprs: 0
; NumVgprs: 0
; ScratchSize: 0
; MemoryBound: 0
; FloatMode: 240
; IeeeMode: 1
; LDSByteSize: 0 bytes/workgroup (compile time only)
; SGPRBlocks: 0
; VGPRBlocks: 0
; NumSGPRsForWavesPerEU: 1
; NumVGPRsForWavesPerEU: 1
; Occupancy: 16
; WaveLimiterHint : 0
; COMPUTE_PGM_RSRC2:SCRATCH_EN: 0
; COMPUTE_PGM_RSRC2:USER_SGPR: 2
; COMPUTE_PGM_RSRC2:TRAP_HANDLER: 0
; COMPUTE_PGM_RSRC2:TGID_X_EN: 1
; COMPUTE_PGM_RSRC2:TGID_Y_EN: 0
; COMPUTE_PGM_RSRC2:TGID_Z_EN: 0
; COMPUTE_PGM_RSRC2:TIDIG_COMP_CNT: 0
	.section	.text._ZN7rocprim17ROCPRIM_400000_NS6detail17trampoline_kernelINS0_13select_configILj256ELj13ELNS0_17block_load_methodE3ELS4_3ELS4_3ELNS0_20block_scan_algorithmE0ELj4294967295EEENS1_25partition_config_selectorILNS1_17partition_subalgoE3EjNS0_10empty_typeEbEEZZNS1_14partition_implILS8_3ELb0ES6_jNS0_17counting_iteratorIjlEEPS9_SE_NS0_5tupleIJPjSE_EEENSF_IJSE_SE_EEES9_SG_JZNS1_25segmented_radix_sort_implINS0_14default_configELb0EPKhPhPKlPlN2at6native12_GLOBAL__N_18offset_tEEE10hipError_tPvRmT1_PNSt15iterator_traitsISY_E10value_typeET2_T3_PNSZ_IS14_E10value_typeET4_jRbjT5_S1A_jjP12ihipStream_tbEUljE_EEESV_SW_SX_S14_S18_S1A_T6_T7_T9_mT8_S1C_bDpT10_ENKUlT_T0_E_clISt17integral_constantIbLb0EES1O_IbLb1EEEEDaS1K_S1L_EUlS1K_E_NS1_11comp_targetILNS1_3genE8ELNS1_11target_archE1030ELNS1_3gpuE2ELNS1_3repE0EEENS1_30default_config_static_selectorELNS0_4arch9wavefront6targetE0EEEvSY_,"axG",@progbits,_ZN7rocprim17ROCPRIM_400000_NS6detail17trampoline_kernelINS0_13select_configILj256ELj13ELNS0_17block_load_methodE3ELS4_3ELS4_3ELNS0_20block_scan_algorithmE0ELj4294967295EEENS1_25partition_config_selectorILNS1_17partition_subalgoE3EjNS0_10empty_typeEbEEZZNS1_14partition_implILS8_3ELb0ES6_jNS0_17counting_iteratorIjlEEPS9_SE_NS0_5tupleIJPjSE_EEENSF_IJSE_SE_EEES9_SG_JZNS1_25segmented_radix_sort_implINS0_14default_configELb0EPKhPhPKlPlN2at6native12_GLOBAL__N_18offset_tEEE10hipError_tPvRmT1_PNSt15iterator_traitsISY_E10value_typeET2_T3_PNSZ_IS14_E10value_typeET4_jRbjT5_S1A_jjP12ihipStream_tbEUljE_EEESV_SW_SX_S14_S18_S1A_T6_T7_T9_mT8_S1C_bDpT10_ENKUlT_T0_E_clISt17integral_constantIbLb0EES1O_IbLb1EEEEDaS1K_S1L_EUlS1K_E_NS1_11comp_targetILNS1_3genE8ELNS1_11target_archE1030ELNS1_3gpuE2ELNS1_3repE0EEENS1_30default_config_static_selectorELNS0_4arch9wavefront6targetE0EEEvSY_,comdat
	.globl	_ZN7rocprim17ROCPRIM_400000_NS6detail17trampoline_kernelINS0_13select_configILj256ELj13ELNS0_17block_load_methodE3ELS4_3ELS4_3ELNS0_20block_scan_algorithmE0ELj4294967295EEENS1_25partition_config_selectorILNS1_17partition_subalgoE3EjNS0_10empty_typeEbEEZZNS1_14partition_implILS8_3ELb0ES6_jNS0_17counting_iteratorIjlEEPS9_SE_NS0_5tupleIJPjSE_EEENSF_IJSE_SE_EEES9_SG_JZNS1_25segmented_radix_sort_implINS0_14default_configELb0EPKhPhPKlPlN2at6native12_GLOBAL__N_18offset_tEEE10hipError_tPvRmT1_PNSt15iterator_traitsISY_E10value_typeET2_T3_PNSZ_IS14_E10value_typeET4_jRbjT5_S1A_jjP12ihipStream_tbEUljE_EEESV_SW_SX_S14_S18_S1A_T6_T7_T9_mT8_S1C_bDpT10_ENKUlT_T0_E_clISt17integral_constantIbLb0EES1O_IbLb1EEEEDaS1K_S1L_EUlS1K_E_NS1_11comp_targetILNS1_3genE8ELNS1_11target_archE1030ELNS1_3gpuE2ELNS1_3repE0EEENS1_30default_config_static_selectorELNS0_4arch9wavefront6targetE0EEEvSY_ ; -- Begin function _ZN7rocprim17ROCPRIM_400000_NS6detail17trampoline_kernelINS0_13select_configILj256ELj13ELNS0_17block_load_methodE3ELS4_3ELS4_3ELNS0_20block_scan_algorithmE0ELj4294967295EEENS1_25partition_config_selectorILNS1_17partition_subalgoE3EjNS0_10empty_typeEbEEZZNS1_14partition_implILS8_3ELb0ES6_jNS0_17counting_iteratorIjlEEPS9_SE_NS0_5tupleIJPjSE_EEENSF_IJSE_SE_EEES9_SG_JZNS1_25segmented_radix_sort_implINS0_14default_configELb0EPKhPhPKlPlN2at6native12_GLOBAL__N_18offset_tEEE10hipError_tPvRmT1_PNSt15iterator_traitsISY_E10value_typeET2_T3_PNSZ_IS14_E10value_typeET4_jRbjT5_S1A_jjP12ihipStream_tbEUljE_EEESV_SW_SX_S14_S18_S1A_T6_T7_T9_mT8_S1C_bDpT10_ENKUlT_T0_E_clISt17integral_constantIbLb0EES1O_IbLb1EEEEDaS1K_S1L_EUlS1K_E_NS1_11comp_targetILNS1_3genE8ELNS1_11target_archE1030ELNS1_3gpuE2ELNS1_3repE0EEENS1_30default_config_static_selectorELNS0_4arch9wavefront6targetE0EEEvSY_
	.p2align	8
	.type	_ZN7rocprim17ROCPRIM_400000_NS6detail17trampoline_kernelINS0_13select_configILj256ELj13ELNS0_17block_load_methodE3ELS4_3ELS4_3ELNS0_20block_scan_algorithmE0ELj4294967295EEENS1_25partition_config_selectorILNS1_17partition_subalgoE3EjNS0_10empty_typeEbEEZZNS1_14partition_implILS8_3ELb0ES6_jNS0_17counting_iteratorIjlEEPS9_SE_NS0_5tupleIJPjSE_EEENSF_IJSE_SE_EEES9_SG_JZNS1_25segmented_radix_sort_implINS0_14default_configELb0EPKhPhPKlPlN2at6native12_GLOBAL__N_18offset_tEEE10hipError_tPvRmT1_PNSt15iterator_traitsISY_E10value_typeET2_T3_PNSZ_IS14_E10value_typeET4_jRbjT5_S1A_jjP12ihipStream_tbEUljE_EEESV_SW_SX_S14_S18_S1A_T6_T7_T9_mT8_S1C_bDpT10_ENKUlT_T0_E_clISt17integral_constantIbLb0EES1O_IbLb1EEEEDaS1K_S1L_EUlS1K_E_NS1_11comp_targetILNS1_3genE8ELNS1_11target_archE1030ELNS1_3gpuE2ELNS1_3repE0EEENS1_30default_config_static_selectorELNS0_4arch9wavefront6targetE0EEEvSY_,@function
_ZN7rocprim17ROCPRIM_400000_NS6detail17trampoline_kernelINS0_13select_configILj256ELj13ELNS0_17block_load_methodE3ELS4_3ELS4_3ELNS0_20block_scan_algorithmE0ELj4294967295EEENS1_25partition_config_selectorILNS1_17partition_subalgoE3EjNS0_10empty_typeEbEEZZNS1_14partition_implILS8_3ELb0ES6_jNS0_17counting_iteratorIjlEEPS9_SE_NS0_5tupleIJPjSE_EEENSF_IJSE_SE_EEES9_SG_JZNS1_25segmented_radix_sort_implINS0_14default_configELb0EPKhPhPKlPlN2at6native12_GLOBAL__N_18offset_tEEE10hipError_tPvRmT1_PNSt15iterator_traitsISY_E10value_typeET2_T3_PNSZ_IS14_E10value_typeET4_jRbjT5_S1A_jjP12ihipStream_tbEUljE_EEESV_SW_SX_S14_S18_S1A_T6_T7_T9_mT8_S1C_bDpT10_ENKUlT_T0_E_clISt17integral_constantIbLb0EES1O_IbLb1EEEEDaS1K_S1L_EUlS1K_E_NS1_11comp_targetILNS1_3genE8ELNS1_11target_archE1030ELNS1_3gpuE2ELNS1_3repE0EEENS1_30default_config_static_selectorELNS0_4arch9wavefront6targetE0EEEvSY_: ; @_ZN7rocprim17ROCPRIM_400000_NS6detail17trampoline_kernelINS0_13select_configILj256ELj13ELNS0_17block_load_methodE3ELS4_3ELS4_3ELNS0_20block_scan_algorithmE0ELj4294967295EEENS1_25partition_config_selectorILNS1_17partition_subalgoE3EjNS0_10empty_typeEbEEZZNS1_14partition_implILS8_3ELb0ES6_jNS0_17counting_iteratorIjlEEPS9_SE_NS0_5tupleIJPjSE_EEENSF_IJSE_SE_EEES9_SG_JZNS1_25segmented_radix_sort_implINS0_14default_configELb0EPKhPhPKlPlN2at6native12_GLOBAL__N_18offset_tEEE10hipError_tPvRmT1_PNSt15iterator_traitsISY_E10value_typeET2_T3_PNSZ_IS14_E10value_typeET4_jRbjT5_S1A_jjP12ihipStream_tbEUljE_EEESV_SW_SX_S14_S18_S1A_T6_T7_T9_mT8_S1C_bDpT10_ENKUlT_T0_E_clISt17integral_constantIbLb0EES1O_IbLb1EEEEDaS1K_S1L_EUlS1K_E_NS1_11comp_targetILNS1_3genE8ELNS1_11target_archE1030ELNS1_3gpuE2ELNS1_3repE0EEENS1_30default_config_static_selectorELNS0_4arch9wavefront6targetE0EEEvSY_
; %bb.0:
	.section	.rodata,"a",@progbits
	.p2align	6, 0x0
	.amdhsa_kernel _ZN7rocprim17ROCPRIM_400000_NS6detail17trampoline_kernelINS0_13select_configILj256ELj13ELNS0_17block_load_methodE3ELS4_3ELS4_3ELNS0_20block_scan_algorithmE0ELj4294967295EEENS1_25partition_config_selectorILNS1_17partition_subalgoE3EjNS0_10empty_typeEbEEZZNS1_14partition_implILS8_3ELb0ES6_jNS0_17counting_iteratorIjlEEPS9_SE_NS0_5tupleIJPjSE_EEENSF_IJSE_SE_EEES9_SG_JZNS1_25segmented_radix_sort_implINS0_14default_configELb0EPKhPhPKlPlN2at6native12_GLOBAL__N_18offset_tEEE10hipError_tPvRmT1_PNSt15iterator_traitsISY_E10value_typeET2_T3_PNSZ_IS14_E10value_typeET4_jRbjT5_S1A_jjP12ihipStream_tbEUljE_EEESV_SW_SX_S14_S18_S1A_T6_T7_T9_mT8_S1C_bDpT10_ENKUlT_T0_E_clISt17integral_constantIbLb0EES1O_IbLb1EEEEDaS1K_S1L_EUlS1K_E_NS1_11comp_targetILNS1_3genE8ELNS1_11target_archE1030ELNS1_3gpuE2ELNS1_3repE0EEENS1_30default_config_static_selectorELNS0_4arch9wavefront6targetE0EEEvSY_
		.amdhsa_group_segment_fixed_size 0
		.amdhsa_private_segment_fixed_size 0
		.amdhsa_kernarg_size 152
		.amdhsa_user_sgpr_count 2
		.amdhsa_user_sgpr_dispatch_ptr 0
		.amdhsa_user_sgpr_queue_ptr 0
		.amdhsa_user_sgpr_kernarg_segment_ptr 1
		.amdhsa_user_sgpr_dispatch_id 0
		.amdhsa_user_sgpr_private_segment_size 0
		.amdhsa_wavefront_size32 1
		.amdhsa_uses_dynamic_stack 0
		.amdhsa_enable_private_segment 0
		.amdhsa_system_sgpr_workgroup_id_x 1
		.amdhsa_system_sgpr_workgroup_id_y 0
		.amdhsa_system_sgpr_workgroup_id_z 0
		.amdhsa_system_sgpr_workgroup_info 0
		.amdhsa_system_vgpr_workitem_id 0
		.amdhsa_next_free_vgpr 1
		.amdhsa_next_free_sgpr 1
		.amdhsa_reserve_vcc 0
		.amdhsa_float_round_mode_32 0
		.amdhsa_float_round_mode_16_64 0
		.amdhsa_float_denorm_mode_32 3
		.amdhsa_float_denorm_mode_16_64 3
		.amdhsa_fp16_overflow 0
		.amdhsa_workgroup_processor_mode 1
		.amdhsa_memory_ordered 1
		.amdhsa_forward_progress 1
		.amdhsa_inst_pref_size 0
		.amdhsa_round_robin_scheduling 0
		.amdhsa_exception_fp_ieee_invalid_op 0
		.amdhsa_exception_fp_denorm_src 0
		.amdhsa_exception_fp_ieee_div_zero 0
		.amdhsa_exception_fp_ieee_overflow 0
		.amdhsa_exception_fp_ieee_underflow 0
		.amdhsa_exception_fp_ieee_inexact 0
		.amdhsa_exception_int_div_zero 0
	.end_amdhsa_kernel
	.section	.text._ZN7rocprim17ROCPRIM_400000_NS6detail17trampoline_kernelINS0_13select_configILj256ELj13ELNS0_17block_load_methodE3ELS4_3ELS4_3ELNS0_20block_scan_algorithmE0ELj4294967295EEENS1_25partition_config_selectorILNS1_17partition_subalgoE3EjNS0_10empty_typeEbEEZZNS1_14partition_implILS8_3ELb0ES6_jNS0_17counting_iteratorIjlEEPS9_SE_NS0_5tupleIJPjSE_EEENSF_IJSE_SE_EEES9_SG_JZNS1_25segmented_radix_sort_implINS0_14default_configELb0EPKhPhPKlPlN2at6native12_GLOBAL__N_18offset_tEEE10hipError_tPvRmT1_PNSt15iterator_traitsISY_E10value_typeET2_T3_PNSZ_IS14_E10value_typeET4_jRbjT5_S1A_jjP12ihipStream_tbEUljE_EEESV_SW_SX_S14_S18_S1A_T6_T7_T9_mT8_S1C_bDpT10_ENKUlT_T0_E_clISt17integral_constantIbLb0EES1O_IbLb1EEEEDaS1K_S1L_EUlS1K_E_NS1_11comp_targetILNS1_3genE8ELNS1_11target_archE1030ELNS1_3gpuE2ELNS1_3repE0EEENS1_30default_config_static_selectorELNS0_4arch9wavefront6targetE0EEEvSY_,"axG",@progbits,_ZN7rocprim17ROCPRIM_400000_NS6detail17trampoline_kernelINS0_13select_configILj256ELj13ELNS0_17block_load_methodE3ELS4_3ELS4_3ELNS0_20block_scan_algorithmE0ELj4294967295EEENS1_25partition_config_selectorILNS1_17partition_subalgoE3EjNS0_10empty_typeEbEEZZNS1_14partition_implILS8_3ELb0ES6_jNS0_17counting_iteratorIjlEEPS9_SE_NS0_5tupleIJPjSE_EEENSF_IJSE_SE_EEES9_SG_JZNS1_25segmented_radix_sort_implINS0_14default_configELb0EPKhPhPKlPlN2at6native12_GLOBAL__N_18offset_tEEE10hipError_tPvRmT1_PNSt15iterator_traitsISY_E10value_typeET2_T3_PNSZ_IS14_E10value_typeET4_jRbjT5_S1A_jjP12ihipStream_tbEUljE_EEESV_SW_SX_S14_S18_S1A_T6_T7_T9_mT8_S1C_bDpT10_ENKUlT_T0_E_clISt17integral_constantIbLb0EES1O_IbLb1EEEEDaS1K_S1L_EUlS1K_E_NS1_11comp_targetILNS1_3genE8ELNS1_11target_archE1030ELNS1_3gpuE2ELNS1_3repE0EEENS1_30default_config_static_selectorELNS0_4arch9wavefront6targetE0EEEvSY_,comdat
.Lfunc_end185:
	.size	_ZN7rocprim17ROCPRIM_400000_NS6detail17trampoline_kernelINS0_13select_configILj256ELj13ELNS0_17block_load_methodE3ELS4_3ELS4_3ELNS0_20block_scan_algorithmE0ELj4294967295EEENS1_25partition_config_selectorILNS1_17partition_subalgoE3EjNS0_10empty_typeEbEEZZNS1_14partition_implILS8_3ELb0ES6_jNS0_17counting_iteratorIjlEEPS9_SE_NS0_5tupleIJPjSE_EEENSF_IJSE_SE_EEES9_SG_JZNS1_25segmented_radix_sort_implINS0_14default_configELb0EPKhPhPKlPlN2at6native12_GLOBAL__N_18offset_tEEE10hipError_tPvRmT1_PNSt15iterator_traitsISY_E10value_typeET2_T3_PNSZ_IS14_E10value_typeET4_jRbjT5_S1A_jjP12ihipStream_tbEUljE_EEESV_SW_SX_S14_S18_S1A_T6_T7_T9_mT8_S1C_bDpT10_ENKUlT_T0_E_clISt17integral_constantIbLb0EES1O_IbLb1EEEEDaS1K_S1L_EUlS1K_E_NS1_11comp_targetILNS1_3genE8ELNS1_11target_archE1030ELNS1_3gpuE2ELNS1_3repE0EEENS1_30default_config_static_selectorELNS0_4arch9wavefront6targetE0EEEvSY_, .Lfunc_end185-_ZN7rocprim17ROCPRIM_400000_NS6detail17trampoline_kernelINS0_13select_configILj256ELj13ELNS0_17block_load_methodE3ELS4_3ELS4_3ELNS0_20block_scan_algorithmE0ELj4294967295EEENS1_25partition_config_selectorILNS1_17partition_subalgoE3EjNS0_10empty_typeEbEEZZNS1_14partition_implILS8_3ELb0ES6_jNS0_17counting_iteratorIjlEEPS9_SE_NS0_5tupleIJPjSE_EEENSF_IJSE_SE_EEES9_SG_JZNS1_25segmented_radix_sort_implINS0_14default_configELb0EPKhPhPKlPlN2at6native12_GLOBAL__N_18offset_tEEE10hipError_tPvRmT1_PNSt15iterator_traitsISY_E10value_typeET2_T3_PNSZ_IS14_E10value_typeET4_jRbjT5_S1A_jjP12ihipStream_tbEUljE_EEESV_SW_SX_S14_S18_S1A_T6_T7_T9_mT8_S1C_bDpT10_ENKUlT_T0_E_clISt17integral_constantIbLb0EES1O_IbLb1EEEEDaS1K_S1L_EUlS1K_E_NS1_11comp_targetILNS1_3genE8ELNS1_11target_archE1030ELNS1_3gpuE2ELNS1_3repE0EEENS1_30default_config_static_selectorELNS0_4arch9wavefront6targetE0EEEvSY_
                                        ; -- End function
	.set _ZN7rocprim17ROCPRIM_400000_NS6detail17trampoline_kernelINS0_13select_configILj256ELj13ELNS0_17block_load_methodE3ELS4_3ELS4_3ELNS0_20block_scan_algorithmE0ELj4294967295EEENS1_25partition_config_selectorILNS1_17partition_subalgoE3EjNS0_10empty_typeEbEEZZNS1_14partition_implILS8_3ELb0ES6_jNS0_17counting_iteratorIjlEEPS9_SE_NS0_5tupleIJPjSE_EEENSF_IJSE_SE_EEES9_SG_JZNS1_25segmented_radix_sort_implINS0_14default_configELb0EPKhPhPKlPlN2at6native12_GLOBAL__N_18offset_tEEE10hipError_tPvRmT1_PNSt15iterator_traitsISY_E10value_typeET2_T3_PNSZ_IS14_E10value_typeET4_jRbjT5_S1A_jjP12ihipStream_tbEUljE_EEESV_SW_SX_S14_S18_S1A_T6_T7_T9_mT8_S1C_bDpT10_ENKUlT_T0_E_clISt17integral_constantIbLb0EES1O_IbLb1EEEEDaS1K_S1L_EUlS1K_E_NS1_11comp_targetILNS1_3genE8ELNS1_11target_archE1030ELNS1_3gpuE2ELNS1_3repE0EEENS1_30default_config_static_selectorELNS0_4arch9wavefront6targetE0EEEvSY_.num_vgpr, 0
	.set _ZN7rocprim17ROCPRIM_400000_NS6detail17trampoline_kernelINS0_13select_configILj256ELj13ELNS0_17block_load_methodE3ELS4_3ELS4_3ELNS0_20block_scan_algorithmE0ELj4294967295EEENS1_25partition_config_selectorILNS1_17partition_subalgoE3EjNS0_10empty_typeEbEEZZNS1_14partition_implILS8_3ELb0ES6_jNS0_17counting_iteratorIjlEEPS9_SE_NS0_5tupleIJPjSE_EEENSF_IJSE_SE_EEES9_SG_JZNS1_25segmented_radix_sort_implINS0_14default_configELb0EPKhPhPKlPlN2at6native12_GLOBAL__N_18offset_tEEE10hipError_tPvRmT1_PNSt15iterator_traitsISY_E10value_typeET2_T3_PNSZ_IS14_E10value_typeET4_jRbjT5_S1A_jjP12ihipStream_tbEUljE_EEESV_SW_SX_S14_S18_S1A_T6_T7_T9_mT8_S1C_bDpT10_ENKUlT_T0_E_clISt17integral_constantIbLb0EES1O_IbLb1EEEEDaS1K_S1L_EUlS1K_E_NS1_11comp_targetILNS1_3genE8ELNS1_11target_archE1030ELNS1_3gpuE2ELNS1_3repE0EEENS1_30default_config_static_selectorELNS0_4arch9wavefront6targetE0EEEvSY_.num_agpr, 0
	.set _ZN7rocprim17ROCPRIM_400000_NS6detail17trampoline_kernelINS0_13select_configILj256ELj13ELNS0_17block_load_methodE3ELS4_3ELS4_3ELNS0_20block_scan_algorithmE0ELj4294967295EEENS1_25partition_config_selectorILNS1_17partition_subalgoE3EjNS0_10empty_typeEbEEZZNS1_14partition_implILS8_3ELb0ES6_jNS0_17counting_iteratorIjlEEPS9_SE_NS0_5tupleIJPjSE_EEENSF_IJSE_SE_EEES9_SG_JZNS1_25segmented_radix_sort_implINS0_14default_configELb0EPKhPhPKlPlN2at6native12_GLOBAL__N_18offset_tEEE10hipError_tPvRmT1_PNSt15iterator_traitsISY_E10value_typeET2_T3_PNSZ_IS14_E10value_typeET4_jRbjT5_S1A_jjP12ihipStream_tbEUljE_EEESV_SW_SX_S14_S18_S1A_T6_T7_T9_mT8_S1C_bDpT10_ENKUlT_T0_E_clISt17integral_constantIbLb0EES1O_IbLb1EEEEDaS1K_S1L_EUlS1K_E_NS1_11comp_targetILNS1_3genE8ELNS1_11target_archE1030ELNS1_3gpuE2ELNS1_3repE0EEENS1_30default_config_static_selectorELNS0_4arch9wavefront6targetE0EEEvSY_.numbered_sgpr, 0
	.set _ZN7rocprim17ROCPRIM_400000_NS6detail17trampoline_kernelINS0_13select_configILj256ELj13ELNS0_17block_load_methodE3ELS4_3ELS4_3ELNS0_20block_scan_algorithmE0ELj4294967295EEENS1_25partition_config_selectorILNS1_17partition_subalgoE3EjNS0_10empty_typeEbEEZZNS1_14partition_implILS8_3ELb0ES6_jNS0_17counting_iteratorIjlEEPS9_SE_NS0_5tupleIJPjSE_EEENSF_IJSE_SE_EEES9_SG_JZNS1_25segmented_radix_sort_implINS0_14default_configELb0EPKhPhPKlPlN2at6native12_GLOBAL__N_18offset_tEEE10hipError_tPvRmT1_PNSt15iterator_traitsISY_E10value_typeET2_T3_PNSZ_IS14_E10value_typeET4_jRbjT5_S1A_jjP12ihipStream_tbEUljE_EEESV_SW_SX_S14_S18_S1A_T6_T7_T9_mT8_S1C_bDpT10_ENKUlT_T0_E_clISt17integral_constantIbLb0EES1O_IbLb1EEEEDaS1K_S1L_EUlS1K_E_NS1_11comp_targetILNS1_3genE8ELNS1_11target_archE1030ELNS1_3gpuE2ELNS1_3repE0EEENS1_30default_config_static_selectorELNS0_4arch9wavefront6targetE0EEEvSY_.num_named_barrier, 0
	.set _ZN7rocprim17ROCPRIM_400000_NS6detail17trampoline_kernelINS0_13select_configILj256ELj13ELNS0_17block_load_methodE3ELS4_3ELS4_3ELNS0_20block_scan_algorithmE0ELj4294967295EEENS1_25partition_config_selectorILNS1_17partition_subalgoE3EjNS0_10empty_typeEbEEZZNS1_14partition_implILS8_3ELb0ES6_jNS0_17counting_iteratorIjlEEPS9_SE_NS0_5tupleIJPjSE_EEENSF_IJSE_SE_EEES9_SG_JZNS1_25segmented_radix_sort_implINS0_14default_configELb0EPKhPhPKlPlN2at6native12_GLOBAL__N_18offset_tEEE10hipError_tPvRmT1_PNSt15iterator_traitsISY_E10value_typeET2_T3_PNSZ_IS14_E10value_typeET4_jRbjT5_S1A_jjP12ihipStream_tbEUljE_EEESV_SW_SX_S14_S18_S1A_T6_T7_T9_mT8_S1C_bDpT10_ENKUlT_T0_E_clISt17integral_constantIbLb0EES1O_IbLb1EEEEDaS1K_S1L_EUlS1K_E_NS1_11comp_targetILNS1_3genE8ELNS1_11target_archE1030ELNS1_3gpuE2ELNS1_3repE0EEENS1_30default_config_static_selectorELNS0_4arch9wavefront6targetE0EEEvSY_.private_seg_size, 0
	.set _ZN7rocprim17ROCPRIM_400000_NS6detail17trampoline_kernelINS0_13select_configILj256ELj13ELNS0_17block_load_methodE3ELS4_3ELS4_3ELNS0_20block_scan_algorithmE0ELj4294967295EEENS1_25partition_config_selectorILNS1_17partition_subalgoE3EjNS0_10empty_typeEbEEZZNS1_14partition_implILS8_3ELb0ES6_jNS0_17counting_iteratorIjlEEPS9_SE_NS0_5tupleIJPjSE_EEENSF_IJSE_SE_EEES9_SG_JZNS1_25segmented_radix_sort_implINS0_14default_configELb0EPKhPhPKlPlN2at6native12_GLOBAL__N_18offset_tEEE10hipError_tPvRmT1_PNSt15iterator_traitsISY_E10value_typeET2_T3_PNSZ_IS14_E10value_typeET4_jRbjT5_S1A_jjP12ihipStream_tbEUljE_EEESV_SW_SX_S14_S18_S1A_T6_T7_T9_mT8_S1C_bDpT10_ENKUlT_T0_E_clISt17integral_constantIbLb0EES1O_IbLb1EEEEDaS1K_S1L_EUlS1K_E_NS1_11comp_targetILNS1_3genE8ELNS1_11target_archE1030ELNS1_3gpuE2ELNS1_3repE0EEENS1_30default_config_static_selectorELNS0_4arch9wavefront6targetE0EEEvSY_.uses_vcc, 0
	.set _ZN7rocprim17ROCPRIM_400000_NS6detail17trampoline_kernelINS0_13select_configILj256ELj13ELNS0_17block_load_methodE3ELS4_3ELS4_3ELNS0_20block_scan_algorithmE0ELj4294967295EEENS1_25partition_config_selectorILNS1_17partition_subalgoE3EjNS0_10empty_typeEbEEZZNS1_14partition_implILS8_3ELb0ES6_jNS0_17counting_iteratorIjlEEPS9_SE_NS0_5tupleIJPjSE_EEENSF_IJSE_SE_EEES9_SG_JZNS1_25segmented_radix_sort_implINS0_14default_configELb0EPKhPhPKlPlN2at6native12_GLOBAL__N_18offset_tEEE10hipError_tPvRmT1_PNSt15iterator_traitsISY_E10value_typeET2_T3_PNSZ_IS14_E10value_typeET4_jRbjT5_S1A_jjP12ihipStream_tbEUljE_EEESV_SW_SX_S14_S18_S1A_T6_T7_T9_mT8_S1C_bDpT10_ENKUlT_T0_E_clISt17integral_constantIbLb0EES1O_IbLb1EEEEDaS1K_S1L_EUlS1K_E_NS1_11comp_targetILNS1_3genE8ELNS1_11target_archE1030ELNS1_3gpuE2ELNS1_3repE0EEENS1_30default_config_static_selectorELNS0_4arch9wavefront6targetE0EEEvSY_.uses_flat_scratch, 0
	.set _ZN7rocprim17ROCPRIM_400000_NS6detail17trampoline_kernelINS0_13select_configILj256ELj13ELNS0_17block_load_methodE3ELS4_3ELS4_3ELNS0_20block_scan_algorithmE0ELj4294967295EEENS1_25partition_config_selectorILNS1_17partition_subalgoE3EjNS0_10empty_typeEbEEZZNS1_14partition_implILS8_3ELb0ES6_jNS0_17counting_iteratorIjlEEPS9_SE_NS0_5tupleIJPjSE_EEENSF_IJSE_SE_EEES9_SG_JZNS1_25segmented_radix_sort_implINS0_14default_configELb0EPKhPhPKlPlN2at6native12_GLOBAL__N_18offset_tEEE10hipError_tPvRmT1_PNSt15iterator_traitsISY_E10value_typeET2_T3_PNSZ_IS14_E10value_typeET4_jRbjT5_S1A_jjP12ihipStream_tbEUljE_EEESV_SW_SX_S14_S18_S1A_T6_T7_T9_mT8_S1C_bDpT10_ENKUlT_T0_E_clISt17integral_constantIbLb0EES1O_IbLb1EEEEDaS1K_S1L_EUlS1K_E_NS1_11comp_targetILNS1_3genE8ELNS1_11target_archE1030ELNS1_3gpuE2ELNS1_3repE0EEENS1_30default_config_static_selectorELNS0_4arch9wavefront6targetE0EEEvSY_.has_dyn_sized_stack, 0
	.set _ZN7rocprim17ROCPRIM_400000_NS6detail17trampoline_kernelINS0_13select_configILj256ELj13ELNS0_17block_load_methodE3ELS4_3ELS4_3ELNS0_20block_scan_algorithmE0ELj4294967295EEENS1_25partition_config_selectorILNS1_17partition_subalgoE3EjNS0_10empty_typeEbEEZZNS1_14partition_implILS8_3ELb0ES6_jNS0_17counting_iteratorIjlEEPS9_SE_NS0_5tupleIJPjSE_EEENSF_IJSE_SE_EEES9_SG_JZNS1_25segmented_radix_sort_implINS0_14default_configELb0EPKhPhPKlPlN2at6native12_GLOBAL__N_18offset_tEEE10hipError_tPvRmT1_PNSt15iterator_traitsISY_E10value_typeET2_T3_PNSZ_IS14_E10value_typeET4_jRbjT5_S1A_jjP12ihipStream_tbEUljE_EEESV_SW_SX_S14_S18_S1A_T6_T7_T9_mT8_S1C_bDpT10_ENKUlT_T0_E_clISt17integral_constantIbLb0EES1O_IbLb1EEEEDaS1K_S1L_EUlS1K_E_NS1_11comp_targetILNS1_3genE8ELNS1_11target_archE1030ELNS1_3gpuE2ELNS1_3repE0EEENS1_30default_config_static_selectorELNS0_4arch9wavefront6targetE0EEEvSY_.has_recursion, 0
	.set _ZN7rocprim17ROCPRIM_400000_NS6detail17trampoline_kernelINS0_13select_configILj256ELj13ELNS0_17block_load_methodE3ELS4_3ELS4_3ELNS0_20block_scan_algorithmE0ELj4294967295EEENS1_25partition_config_selectorILNS1_17partition_subalgoE3EjNS0_10empty_typeEbEEZZNS1_14partition_implILS8_3ELb0ES6_jNS0_17counting_iteratorIjlEEPS9_SE_NS0_5tupleIJPjSE_EEENSF_IJSE_SE_EEES9_SG_JZNS1_25segmented_radix_sort_implINS0_14default_configELb0EPKhPhPKlPlN2at6native12_GLOBAL__N_18offset_tEEE10hipError_tPvRmT1_PNSt15iterator_traitsISY_E10value_typeET2_T3_PNSZ_IS14_E10value_typeET4_jRbjT5_S1A_jjP12ihipStream_tbEUljE_EEESV_SW_SX_S14_S18_S1A_T6_T7_T9_mT8_S1C_bDpT10_ENKUlT_T0_E_clISt17integral_constantIbLb0EES1O_IbLb1EEEEDaS1K_S1L_EUlS1K_E_NS1_11comp_targetILNS1_3genE8ELNS1_11target_archE1030ELNS1_3gpuE2ELNS1_3repE0EEENS1_30default_config_static_selectorELNS0_4arch9wavefront6targetE0EEEvSY_.has_indirect_call, 0
	.section	.AMDGPU.csdata,"",@progbits
; Kernel info:
; codeLenInByte = 0
; TotalNumSgprs: 0
; NumVgprs: 0
; ScratchSize: 0
; MemoryBound: 0
; FloatMode: 240
; IeeeMode: 1
; LDSByteSize: 0 bytes/workgroup (compile time only)
; SGPRBlocks: 0
; VGPRBlocks: 0
; NumSGPRsForWavesPerEU: 1
; NumVGPRsForWavesPerEU: 1
; Occupancy: 16
; WaveLimiterHint : 0
; COMPUTE_PGM_RSRC2:SCRATCH_EN: 0
; COMPUTE_PGM_RSRC2:USER_SGPR: 2
; COMPUTE_PGM_RSRC2:TRAP_HANDLER: 0
; COMPUTE_PGM_RSRC2:TGID_X_EN: 1
; COMPUTE_PGM_RSRC2:TGID_Y_EN: 0
; COMPUTE_PGM_RSRC2:TGID_Z_EN: 0
; COMPUTE_PGM_RSRC2:TIDIG_COMP_CNT: 0
	.section	.text._ZN7rocprim17ROCPRIM_400000_NS6detail17trampoline_kernelINS0_14default_configENS1_36segmented_radix_sort_config_selectorIhlEEZNS1_25segmented_radix_sort_implIS3_Lb0EPKhPhPKlPlN2at6native12_GLOBAL__N_18offset_tEEE10hipError_tPvRmT1_PNSt15iterator_traitsISK_E10value_typeET2_T3_PNSL_ISQ_E10value_typeET4_jRbjT5_SW_jjP12ihipStream_tbEUlT_E_NS1_11comp_targetILNS1_3genE0ELNS1_11target_archE4294967295ELNS1_3gpuE0ELNS1_3repE0EEENS1_30default_config_static_selectorELNS0_4arch9wavefront6targetE0EEEvSK_,"axG",@progbits,_ZN7rocprim17ROCPRIM_400000_NS6detail17trampoline_kernelINS0_14default_configENS1_36segmented_radix_sort_config_selectorIhlEEZNS1_25segmented_radix_sort_implIS3_Lb0EPKhPhPKlPlN2at6native12_GLOBAL__N_18offset_tEEE10hipError_tPvRmT1_PNSt15iterator_traitsISK_E10value_typeET2_T3_PNSL_ISQ_E10value_typeET4_jRbjT5_SW_jjP12ihipStream_tbEUlT_E_NS1_11comp_targetILNS1_3genE0ELNS1_11target_archE4294967295ELNS1_3gpuE0ELNS1_3repE0EEENS1_30default_config_static_selectorELNS0_4arch9wavefront6targetE0EEEvSK_,comdat
	.globl	_ZN7rocprim17ROCPRIM_400000_NS6detail17trampoline_kernelINS0_14default_configENS1_36segmented_radix_sort_config_selectorIhlEEZNS1_25segmented_radix_sort_implIS3_Lb0EPKhPhPKlPlN2at6native12_GLOBAL__N_18offset_tEEE10hipError_tPvRmT1_PNSt15iterator_traitsISK_E10value_typeET2_T3_PNSL_ISQ_E10value_typeET4_jRbjT5_SW_jjP12ihipStream_tbEUlT_E_NS1_11comp_targetILNS1_3genE0ELNS1_11target_archE4294967295ELNS1_3gpuE0ELNS1_3repE0EEENS1_30default_config_static_selectorELNS0_4arch9wavefront6targetE0EEEvSK_ ; -- Begin function _ZN7rocprim17ROCPRIM_400000_NS6detail17trampoline_kernelINS0_14default_configENS1_36segmented_radix_sort_config_selectorIhlEEZNS1_25segmented_radix_sort_implIS3_Lb0EPKhPhPKlPlN2at6native12_GLOBAL__N_18offset_tEEE10hipError_tPvRmT1_PNSt15iterator_traitsISK_E10value_typeET2_T3_PNSL_ISQ_E10value_typeET4_jRbjT5_SW_jjP12ihipStream_tbEUlT_E_NS1_11comp_targetILNS1_3genE0ELNS1_11target_archE4294967295ELNS1_3gpuE0ELNS1_3repE0EEENS1_30default_config_static_selectorELNS0_4arch9wavefront6targetE0EEEvSK_
	.p2align	8
	.type	_ZN7rocprim17ROCPRIM_400000_NS6detail17trampoline_kernelINS0_14default_configENS1_36segmented_radix_sort_config_selectorIhlEEZNS1_25segmented_radix_sort_implIS3_Lb0EPKhPhPKlPlN2at6native12_GLOBAL__N_18offset_tEEE10hipError_tPvRmT1_PNSt15iterator_traitsISK_E10value_typeET2_T3_PNSL_ISQ_E10value_typeET4_jRbjT5_SW_jjP12ihipStream_tbEUlT_E_NS1_11comp_targetILNS1_3genE0ELNS1_11target_archE4294967295ELNS1_3gpuE0ELNS1_3repE0EEENS1_30default_config_static_selectorELNS0_4arch9wavefront6targetE0EEEvSK_,@function
_ZN7rocprim17ROCPRIM_400000_NS6detail17trampoline_kernelINS0_14default_configENS1_36segmented_radix_sort_config_selectorIhlEEZNS1_25segmented_radix_sort_implIS3_Lb0EPKhPhPKlPlN2at6native12_GLOBAL__N_18offset_tEEE10hipError_tPvRmT1_PNSt15iterator_traitsISK_E10value_typeET2_T3_PNSL_ISQ_E10value_typeET4_jRbjT5_SW_jjP12ihipStream_tbEUlT_E_NS1_11comp_targetILNS1_3genE0ELNS1_11target_archE4294967295ELNS1_3gpuE0ELNS1_3repE0EEENS1_30default_config_static_selectorELNS0_4arch9wavefront6targetE0EEEvSK_: ; @_ZN7rocprim17ROCPRIM_400000_NS6detail17trampoline_kernelINS0_14default_configENS1_36segmented_radix_sort_config_selectorIhlEEZNS1_25segmented_radix_sort_implIS3_Lb0EPKhPhPKlPlN2at6native12_GLOBAL__N_18offset_tEEE10hipError_tPvRmT1_PNSt15iterator_traitsISK_E10value_typeET2_T3_PNSL_ISQ_E10value_typeET4_jRbjT5_SW_jjP12ihipStream_tbEUlT_E_NS1_11comp_targetILNS1_3genE0ELNS1_11target_archE4294967295ELNS1_3gpuE0ELNS1_3repE0EEENS1_30default_config_static_selectorELNS0_4arch9wavefront6targetE0EEEvSK_
; %bb.0:
	.section	.rodata,"a",@progbits
	.p2align	6, 0x0
	.amdhsa_kernel _ZN7rocprim17ROCPRIM_400000_NS6detail17trampoline_kernelINS0_14default_configENS1_36segmented_radix_sort_config_selectorIhlEEZNS1_25segmented_radix_sort_implIS3_Lb0EPKhPhPKlPlN2at6native12_GLOBAL__N_18offset_tEEE10hipError_tPvRmT1_PNSt15iterator_traitsISK_E10value_typeET2_T3_PNSL_ISQ_E10value_typeET4_jRbjT5_SW_jjP12ihipStream_tbEUlT_E_NS1_11comp_targetILNS1_3genE0ELNS1_11target_archE4294967295ELNS1_3gpuE0ELNS1_3repE0EEENS1_30default_config_static_selectorELNS0_4arch9wavefront6targetE0EEEvSK_
		.amdhsa_group_segment_fixed_size 0
		.amdhsa_private_segment_fixed_size 0
		.amdhsa_kernarg_size 96
		.amdhsa_user_sgpr_count 2
		.amdhsa_user_sgpr_dispatch_ptr 0
		.amdhsa_user_sgpr_queue_ptr 0
		.amdhsa_user_sgpr_kernarg_segment_ptr 1
		.amdhsa_user_sgpr_dispatch_id 0
		.amdhsa_user_sgpr_private_segment_size 0
		.amdhsa_wavefront_size32 1
		.amdhsa_uses_dynamic_stack 0
		.amdhsa_enable_private_segment 0
		.amdhsa_system_sgpr_workgroup_id_x 1
		.amdhsa_system_sgpr_workgroup_id_y 0
		.amdhsa_system_sgpr_workgroup_id_z 0
		.amdhsa_system_sgpr_workgroup_info 0
		.amdhsa_system_vgpr_workitem_id 0
		.amdhsa_next_free_vgpr 1
		.amdhsa_next_free_sgpr 1
		.amdhsa_reserve_vcc 0
		.amdhsa_float_round_mode_32 0
		.amdhsa_float_round_mode_16_64 0
		.amdhsa_float_denorm_mode_32 3
		.amdhsa_float_denorm_mode_16_64 3
		.amdhsa_fp16_overflow 0
		.amdhsa_workgroup_processor_mode 1
		.amdhsa_memory_ordered 1
		.amdhsa_forward_progress 1
		.amdhsa_inst_pref_size 0
		.amdhsa_round_robin_scheduling 0
		.amdhsa_exception_fp_ieee_invalid_op 0
		.amdhsa_exception_fp_denorm_src 0
		.amdhsa_exception_fp_ieee_div_zero 0
		.amdhsa_exception_fp_ieee_overflow 0
		.amdhsa_exception_fp_ieee_underflow 0
		.amdhsa_exception_fp_ieee_inexact 0
		.amdhsa_exception_int_div_zero 0
	.end_amdhsa_kernel
	.section	.text._ZN7rocprim17ROCPRIM_400000_NS6detail17trampoline_kernelINS0_14default_configENS1_36segmented_radix_sort_config_selectorIhlEEZNS1_25segmented_radix_sort_implIS3_Lb0EPKhPhPKlPlN2at6native12_GLOBAL__N_18offset_tEEE10hipError_tPvRmT1_PNSt15iterator_traitsISK_E10value_typeET2_T3_PNSL_ISQ_E10value_typeET4_jRbjT5_SW_jjP12ihipStream_tbEUlT_E_NS1_11comp_targetILNS1_3genE0ELNS1_11target_archE4294967295ELNS1_3gpuE0ELNS1_3repE0EEENS1_30default_config_static_selectorELNS0_4arch9wavefront6targetE0EEEvSK_,"axG",@progbits,_ZN7rocprim17ROCPRIM_400000_NS6detail17trampoline_kernelINS0_14default_configENS1_36segmented_radix_sort_config_selectorIhlEEZNS1_25segmented_radix_sort_implIS3_Lb0EPKhPhPKlPlN2at6native12_GLOBAL__N_18offset_tEEE10hipError_tPvRmT1_PNSt15iterator_traitsISK_E10value_typeET2_T3_PNSL_ISQ_E10value_typeET4_jRbjT5_SW_jjP12ihipStream_tbEUlT_E_NS1_11comp_targetILNS1_3genE0ELNS1_11target_archE4294967295ELNS1_3gpuE0ELNS1_3repE0EEENS1_30default_config_static_selectorELNS0_4arch9wavefront6targetE0EEEvSK_,comdat
.Lfunc_end186:
	.size	_ZN7rocprim17ROCPRIM_400000_NS6detail17trampoline_kernelINS0_14default_configENS1_36segmented_radix_sort_config_selectorIhlEEZNS1_25segmented_radix_sort_implIS3_Lb0EPKhPhPKlPlN2at6native12_GLOBAL__N_18offset_tEEE10hipError_tPvRmT1_PNSt15iterator_traitsISK_E10value_typeET2_T3_PNSL_ISQ_E10value_typeET4_jRbjT5_SW_jjP12ihipStream_tbEUlT_E_NS1_11comp_targetILNS1_3genE0ELNS1_11target_archE4294967295ELNS1_3gpuE0ELNS1_3repE0EEENS1_30default_config_static_selectorELNS0_4arch9wavefront6targetE0EEEvSK_, .Lfunc_end186-_ZN7rocprim17ROCPRIM_400000_NS6detail17trampoline_kernelINS0_14default_configENS1_36segmented_radix_sort_config_selectorIhlEEZNS1_25segmented_radix_sort_implIS3_Lb0EPKhPhPKlPlN2at6native12_GLOBAL__N_18offset_tEEE10hipError_tPvRmT1_PNSt15iterator_traitsISK_E10value_typeET2_T3_PNSL_ISQ_E10value_typeET4_jRbjT5_SW_jjP12ihipStream_tbEUlT_E_NS1_11comp_targetILNS1_3genE0ELNS1_11target_archE4294967295ELNS1_3gpuE0ELNS1_3repE0EEENS1_30default_config_static_selectorELNS0_4arch9wavefront6targetE0EEEvSK_
                                        ; -- End function
	.set _ZN7rocprim17ROCPRIM_400000_NS6detail17trampoline_kernelINS0_14default_configENS1_36segmented_radix_sort_config_selectorIhlEEZNS1_25segmented_radix_sort_implIS3_Lb0EPKhPhPKlPlN2at6native12_GLOBAL__N_18offset_tEEE10hipError_tPvRmT1_PNSt15iterator_traitsISK_E10value_typeET2_T3_PNSL_ISQ_E10value_typeET4_jRbjT5_SW_jjP12ihipStream_tbEUlT_E_NS1_11comp_targetILNS1_3genE0ELNS1_11target_archE4294967295ELNS1_3gpuE0ELNS1_3repE0EEENS1_30default_config_static_selectorELNS0_4arch9wavefront6targetE0EEEvSK_.num_vgpr, 0
	.set _ZN7rocprim17ROCPRIM_400000_NS6detail17trampoline_kernelINS0_14default_configENS1_36segmented_radix_sort_config_selectorIhlEEZNS1_25segmented_radix_sort_implIS3_Lb0EPKhPhPKlPlN2at6native12_GLOBAL__N_18offset_tEEE10hipError_tPvRmT1_PNSt15iterator_traitsISK_E10value_typeET2_T3_PNSL_ISQ_E10value_typeET4_jRbjT5_SW_jjP12ihipStream_tbEUlT_E_NS1_11comp_targetILNS1_3genE0ELNS1_11target_archE4294967295ELNS1_3gpuE0ELNS1_3repE0EEENS1_30default_config_static_selectorELNS0_4arch9wavefront6targetE0EEEvSK_.num_agpr, 0
	.set _ZN7rocprim17ROCPRIM_400000_NS6detail17trampoline_kernelINS0_14default_configENS1_36segmented_radix_sort_config_selectorIhlEEZNS1_25segmented_radix_sort_implIS3_Lb0EPKhPhPKlPlN2at6native12_GLOBAL__N_18offset_tEEE10hipError_tPvRmT1_PNSt15iterator_traitsISK_E10value_typeET2_T3_PNSL_ISQ_E10value_typeET4_jRbjT5_SW_jjP12ihipStream_tbEUlT_E_NS1_11comp_targetILNS1_3genE0ELNS1_11target_archE4294967295ELNS1_3gpuE0ELNS1_3repE0EEENS1_30default_config_static_selectorELNS0_4arch9wavefront6targetE0EEEvSK_.numbered_sgpr, 0
	.set _ZN7rocprim17ROCPRIM_400000_NS6detail17trampoline_kernelINS0_14default_configENS1_36segmented_radix_sort_config_selectorIhlEEZNS1_25segmented_radix_sort_implIS3_Lb0EPKhPhPKlPlN2at6native12_GLOBAL__N_18offset_tEEE10hipError_tPvRmT1_PNSt15iterator_traitsISK_E10value_typeET2_T3_PNSL_ISQ_E10value_typeET4_jRbjT5_SW_jjP12ihipStream_tbEUlT_E_NS1_11comp_targetILNS1_3genE0ELNS1_11target_archE4294967295ELNS1_3gpuE0ELNS1_3repE0EEENS1_30default_config_static_selectorELNS0_4arch9wavefront6targetE0EEEvSK_.num_named_barrier, 0
	.set _ZN7rocprim17ROCPRIM_400000_NS6detail17trampoline_kernelINS0_14default_configENS1_36segmented_radix_sort_config_selectorIhlEEZNS1_25segmented_radix_sort_implIS3_Lb0EPKhPhPKlPlN2at6native12_GLOBAL__N_18offset_tEEE10hipError_tPvRmT1_PNSt15iterator_traitsISK_E10value_typeET2_T3_PNSL_ISQ_E10value_typeET4_jRbjT5_SW_jjP12ihipStream_tbEUlT_E_NS1_11comp_targetILNS1_3genE0ELNS1_11target_archE4294967295ELNS1_3gpuE0ELNS1_3repE0EEENS1_30default_config_static_selectorELNS0_4arch9wavefront6targetE0EEEvSK_.private_seg_size, 0
	.set _ZN7rocprim17ROCPRIM_400000_NS6detail17trampoline_kernelINS0_14default_configENS1_36segmented_radix_sort_config_selectorIhlEEZNS1_25segmented_radix_sort_implIS3_Lb0EPKhPhPKlPlN2at6native12_GLOBAL__N_18offset_tEEE10hipError_tPvRmT1_PNSt15iterator_traitsISK_E10value_typeET2_T3_PNSL_ISQ_E10value_typeET4_jRbjT5_SW_jjP12ihipStream_tbEUlT_E_NS1_11comp_targetILNS1_3genE0ELNS1_11target_archE4294967295ELNS1_3gpuE0ELNS1_3repE0EEENS1_30default_config_static_selectorELNS0_4arch9wavefront6targetE0EEEvSK_.uses_vcc, 0
	.set _ZN7rocprim17ROCPRIM_400000_NS6detail17trampoline_kernelINS0_14default_configENS1_36segmented_radix_sort_config_selectorIhlEEZNS1_25segmented_radix_sort_implIS3_Lb0EPKhPhPKlPlN2at6native12_GLOBAL__N_18offset_tEEE10hipError_tPvRmT1_PNSt15iterator_traitsISK_E10value_typeET2_T3_PNSL_ISQ_E10value_typeET4_jRbjT5_SW_jjP12ihipStream_tbEUlT_E_NS1_11comp_targetILNS1_3genE0ELNS1_11target_archE4294967295ELNS1_3gpuE0ELNS1_3repE0EEENS1_30default_config_static_selectorELNS0_4arch9wavefront6targetE0EEEvSK_.uses_flat_scratch, 0
	.set _ZN7rocprim17ROCPRIM_400000_NS6detail17trampoline_kernelINS0_14default_configENS1_36segmented_radix_sort_config_selectorIhlEEZNS1_25segmented_radix_sort_implIS3_Lb0EPKhPhPKlPlN2at6native12_GLOBAL__N_18offset_tEEE10hipError_tPvRmT1_PNSt15iterator_traitsISK_E10value_typeET2_T3_PNSL_ISQ_E10value_typeET4_jRbjT5_SW_jjP12ihipStream_tbEUlT_E_NS1_11comp_targetILNS1_3genE0ELNS1_11target_archE4294967295ELNS1_3gpuE0ELNS1_3repE0EEENS1_30default_config_static_selectorELNS0_4arch9wavefront6targetE0EEEvSK_.has_dyn_sized_stack, 0
	.set _ZN7rocprim17ROCPRIM_400000_NS6detail17trampoline_kernelINS0_14default_configENS1_36segmented_radix_sort_config_selectorIhlEEZNS1_25segmented_radix_sort_implIS3_Lb0EPKhPhPKlPlN2at6native12_GLOBAL__N_18offset_tEEE10hipError_tPvRmT1_PNSt15iterator_traitsISK_E10value_typeET2_T3_PNSL_ISQ_E10value_typeET4_jRbjT5_SW_jjP12ihipStream_tbEUlT_E_NS1_11comp_targetILNS1_3genE0ELNS1_11target_archE4294967295ELNS1_3gpuE0ELNS1_3repE0EEENS1_30default_config_static_selectorELNS0_4arch9wavefront6targetE0EEEvSK_.has_recursion, 0
	.set _ZN7rocprim17ROCPRIM_400000_NS6detail17trampoline_kernelINS0_14default_configENS1_36segmented_radix_sort_config_selectorIhlEEZNS1_25segmented_radix_sort_implIS3_Lb0EPKhPhPKlPlN2at6native12_GLOBAL__N_18offset_tEEE10hipError_tPvRmT1_PNSt15iterator_traitsISK_E10value_typeET2_T3_PNSL_ISQ_E10value_typeET4_jRbjT5_SW_jjP12ihipStream_tbEUlT_E_NS1_11comp_targetILNS1_3genE0ELNS1_11target_archE4294967295ELNS1_3gpuE0ELNS1_3repE0EEENS1_30default_config_static_selectorELNS0_4arch9wavefront6targetE0EEEvSK_.has_indirect_call, 0
	.section	.AMDGPU.csdata,"",@progbits
; Kernel info:
; codeLenInByte = 0
; TotalNumSgprs: 0
; NumVgprs: 0
; ScratchSize: 0
; MemoryBound: 0
; FloatMode: 240
; IeeeMode: 1
; LDSByteSize: 0 bytes/workgroup (compile time only)
; SGPRBlocks: 0
; VGPRBlocks: 0
; NumSGPRsForWavesPerEU: 1
; NumVGPRsForWavesPerEU: 1
; Occupancy: 16
; WaveLimiterHint : 0
; COMPUTE_PGM_RSRC2:SCRATCH_EN: 0
; COMPUTE_PGM_RSRC2:USER_SGPR: 2
; COMPUTE_PGM_RSRC2:TRAP_HANDLER: 0
; COMPUTE_PGM_RSRC2:TGID_X_EN: 1
; COMPUTE_PGM_RSRC2:TGID_Y_EN: 0
; COMPUTE_PGM_RSRC2:TGID_Z_EN: 0
; COMPUTE_PGM_RSRC2:TIDIG_COMP_CNT: 0
	.section	.text._ZN7rocprim17ROCPRIM_400000_NS6detail17trampoline_kernelINS0_14default_configENS1_36segmented_radix_sort_config_selectorIhlEEZNS1_25segmented_radix_sort_implIS3_Lb0EPKhPhPKlPlN2at6native12_GLOBAL__N_18offset_tEEE10hipError_tPvRmT1_PNSt15iterator_traitsISK_E10value_typeET2_T3_PNSL_ISQ_E10value_typeET4_jRbjT5_SW_jjP12ihipStream_tbEUlT_E_NS1_11comp_targetILNS1_3genE5ELNS1_11target_archE942ELNS1_3gpuE9ELNS1_3repE0EEENS1_30default_config_static_selectorELNS0_4arch9wavefront6targetE0EEEvSK_,"axG",@progbits,_ZN7rocprim17ROCPRIM_400000_NS6detail17trampoline_kernelINS0_14default_configENS1_36segmented_radix_sort_config_selectorIhlEEZNS1_25segmented_radix_sort_implIS3_Lb0EPKhPhPKlPlN2at6native12_GLOBAL__N_18offset_tEEE10hipError_tPvRmT1_PNSt15iterator_traitsISK_E10value_typeET2_T3_PNSL_ISQ_E10value_typeET4_jRbjT5_SW_jjP12ihipStream_tbEUlT_E_NS1_11comp_targetILNS1_3genE5ELNS1_11target_archE942ELNS1_3gpuE9ELNS1_3repE0EEENS1_30default_config_static_selectorELNS0_4arch9wavefront6targetE0EEEvSK_,comdat
	.globl	_ZN7rocprim17ROCPRIM_400000_NS6detail17trampoline_kernelINS0_14default_configENS1_36segmented_radix_sort_config_selectorIhlEEZNS1_25segmented_radix_sort_implIS3_Lb0EPKhPhPKlPlN2at6native12_GLOBAL__N_18offset_tEEE10hipError_tPvRmT1_PNSt15iterator_traitsISK_E10value_typeET2_T3_PNSL_ISQ_E10value_typeET4_jRbjT5_SW_jjP12ihipStream_tbEUlT_E_NS1_11comp_targetILNS1_3genE5ELNS1_11target_archE942ELNS1_3gpuE9ELNS1_3repE0EEENS1_30default_config_static_selectorELNS0_4arch9wavefront6targetE0EEEvSK_ ; -- Begin function _ZN7rocprim17ROCPRIM_400000_NS6detail17trampoline_kernelINS0_14default_configENS1_36segmented_radix_sort_config_selectorIhlEEZNS1_25segmented_radix_sort_implIS3_Lb0EPKhPhPKlPlN2at6native12_GLOBAL__N_18offset_tEEE10hipError_tPvRmT1_PNSt15iterator_traitsISK_E10value_typeET2_T3_PNSL_ISQ_E10value_typeET4_jRbjT5_SW_jjP12ihipStream_tbEUlT_E_NS1_11comp_targetILNS1_3genE5ELNS1_11target_archE942ELNS1_3gpuE9ELNS1_3repE0EEENS1_30default_config_static_selectorELNS0_4arch9wavefront6targetE0EEEvSK_
	.p2align	8
	.type	_ZN7rocprim17ROCPRIM_400000_NS6detail17trampoline_kernelINS0_14default_configENS1_36segmented_radix_sort_config_selectorIhlEEZNS1_25segmented_radix_sort_implIS3_Lb0EPKhPhPKlPlN2at6native12_GLOBAL__N_18offset_tEEE10hipError_tPvRmT1_PNSt15iterator_traitsISK_E10value_typeET2_T3_PNSL_ISQ_E10value_typeET4_jRbjT5_SW_jjP12ihipStream_tbEUlT_E_NS1_11comp_targetILNS1_3genE5ELNS1_11target_archE942ELNS1_3gpuE9ELNS1_3repE0EEENS1_30default_config_static_selectorELNS0_4arch9wavefront6targetE0EEEvSK_,@function
_ZN7rocprim17ROCPRIM_400000_NS6detail17trampoline_kernelINS0_14default_configENS1_36segmented_radix_sort_config_selectorIhlEEZNS1_25segmented_radix_sort_implIS3_Lb0EPKhPhPKlPlN2at6native12_GLOBAL__N_18offset_tEEE10hipError_tPvRmT1_PNSt15iterator_traitsISK_E10value_typeET2_T3_PNSL_ISQ_E10value_typeET4_jRbjT5_SW_jjP12ihipStream_tbEUlT_E_NS1_11comp_targetILNS1_3genE5ELNS1_11target_archE942ELNS1_3gpuE9ELNS1_3repE0EEENS1_30default_config_static_selectorELNS0_4arch9wavefront6targetE0EEEvSK_: ; @_ZN7rocprim17ROCPRIM_400000_NS6detail17trampoline_kernelINS0_14default_configENS1_36segmented_radix_sort_config_selectorIhlEEZNS1_25segmented_radix_sort_implIS3_Lb0EPKhPhPKlPlN2at6native12_GLOBAL__N_18offset_tEEE10hipError_tPvRmT1_PNSt15iterator_traitsISK_E10value_typeET2_T3_PNSL_ISQ_E10value_typeET4_jRbjT5_SW_jjP12ihipStream_tbEUlT_E_NS1_11comp_targetILNS1_3genE5ELNS1_11target_archE942ELNS1_3gpuE9ELNS1_3repE0EEENS1_30default_config_static_selectorELNS0_4arch9wavefront6targetE0EEEvSK_
; %bb.0:
	.section	.rodata,"a",@progbits
	.p2align	6, 0x0
	.amdhsa_kernel _ZN7rocprim17ROCPRIM_400000_NS6detail17trampoline_kernelINS0_14default_configENS1_36segmented_radix_sort_config_selectorIhlEEZNS1_25segmented_radix_sort_implIS3_Lb0EPKhPhPKlPlN2at6native12_GLOBAL__N_18offset_tEEE10hipError_tPvRmT1_PNSt15iterator_traitsISK_E10value_typeET2_T3_PNSL_ISQ_E10value_typeET4_jRbjT5_SW_jjP12ihipStream_tbEUlT_E_NS1_11comp_targetILNS1_3genE5ELNS1_11target_archE942ELNS1_3gpuE9ELNS1_3repE0EEENS1_30default_config_static_selectorELNS0_4arch9wavefront6targetE0EEEvSK_
		.amdhsa_group_segment_fixed_size 0
		.amdhsa_private_segment_fixed_size 0
		.amdhsa_kernarg_size 96
		.amdhsa_user_sgpr_count 2
		.amdhsa_user_sgpr_dispatch_ptr 0
		.amdhsa_user_sgpr_queue_ptr 0
		.amdhsa_user_sgpr_kernarg_segment_ptr 1
		.amdhsa_user_sgpr_dispatch_id 0
		.amdhsa_user_sgpr_private_segment_size 0
		.amdhsa_wavefront_size32 1
		.amdhsa_uses_dynamic_stack 0
		.amdhsa_enable_private_segment 0
		.amdhsa_system_sgpr_workgroup_id_x 1
		.amdhsa_system_sgpr_workgroup_id_y 0
		.amdhsa_system_sgpr_workgroup_id_z 0
		.amdhsa_system_sgpr_workgroup_info 0
		.amdhsa_system_vgpr_workitem_id 0
		.amdhsa_next_free_vgpr 1
		.amdhsa_next_free_sgpr 1
		.amdhsa_reserve_vcc 0
		.amdhsa_float_round_mode_32 0
		.amdhsa_float_round_mode_16_64 0
		.amdhsa_float_denorm_mode_32 3
		.amdhsa_float_denorm_mode_16_64 3
		.amdhsa_fp16_overflow 0
		.amdhsa_workgroup_processor_mode 1
		.amdhsa_memory_ordered 1
		.amdhsa_forward_progress 1
		.amdhsa_inst_pref_size 0
		.amdhsa_round_robin_scheduling 0
		.amdhsa_exception_fp_ieee_invalid_op 0
		.amdhsa_exception_fp_denorm_src 0
		.amdhsa_exception_fp_ieee_div_zero 0
		.amdhsa_exception_fp_ieee_overflow 0
		.amdhsa_exception_fp_ieee_underflow 0
		.amdhsa_exception_fp_ieee_inexact 0
		.amdhsa_exception_int_div_zero 0
	.end_amdhsa_kernel
	.section	.text._ZN7rocprim17ROCPRIM_400000_NS6detail17trampoline_kernelINS0_14default_configENS1_36segmented_radix_sort_config_selectorIhlEEZNS1_25segmented_radix_sort_implIS3_Lb0EPKhPhPKlPlN2at6native12_GLOBAL__N_18offset_tEEE10hipError_tPvRmT1_PNSt15iterator_traitsISK_E10value_typeET2_T3_PNSL_ISQ_E10value_typeET4_jRbjT5_SW_jjP12ihipStream_tbEUlT_E_NS1_11comp_targetILNS1_3genE5ELNS1_11target_archE942ELNS1_3gpuE9ELNS1_3repE0EEENS1_30default_config_static_selectorELNS0_4arch9wavefront6targetE0EEEvSK_,"axG",@progbits,_ZN7rocprim17ROCPRIM_400000_NS6detail17trampoline_kernelINS0_14default_configENS1_36segmented_radix_sort_config_selectorIhlEEZNS1_25segmented_radix_sort_implIS3_Lb0EPKhPhPKlPlN2at6native12_GLOBAL__N_18offset_tEEE10hipError_tPvRmT1_PNSt15iterator_traitsISK_E10value_typeET2_T3_PNSL_ISQ_E10value_typeET4_jRbjT5_SW_jjP12ihipStream_tbEUlT_E_NS1_11comp_targetILNS1_3genE5ELNS1_11target_archE942ELNS1_3gpuE9ELNS1_3repE0EEENS1_30default_config_static_selectorELNS0_4arch9wavefront6targetE0EEEvSK_,comdat
.Lfunc_end187:
	.size	_ZN7rocprim17ROCPRIM_400000_NS6detail17trampoline_kernelINS0_14default_configENS1_36segmented_radix_sort_config_selectorIhlEEZNS1_25segmented_radix_sort_implIS3_Lb0EPKhPhPKlPlN2at6native12_GLOBAL__N_18offset_tEEE10hipError_tPvRmT1_PNSt15iterator_traitsISK_E10value_typeET2_T3_PNSL_ISQ_E10value_typeET4_jRbjT5_SW_jjP12ihipStream_tbEUlT_E_NS1_11comp_targetILNS1_3genE5ELNS1_11target_archE942ELNS1_3gpuE9ELNS1_3repE0EEENS1_30default_config_static_selectorELNS0_4arch9wavefront6targetE0EEEvSK_, .Lfunc_end187-_ZN7rocprim17ROCPRIM_400000_NS6detail17trampoline_kernelINS0_14default_configENS1_36segmented_radix_sort_config_selectorIhlEEZNS1_25segmented_radix_sort_implIS3_Lb0EPKhPhPKlPlN2at6native12_GLOBAL__N_18offset_tEEE10hipError_tPvRmT1_PNSt15iterator_traitsISK_E10value_typeET2_T3_PNSL_ISQ_E10value_typeET4_jRbjT5_SW_jjP12ihipStream_tbEUlT_E_NS1_11comp_targetILNS1_3genE5ELNS1_11target_archE942ELNS1_3gpuE9ELNS1_3repE0EEENS1_30default_config_static_selectorELNS0_4arch9wavefront6targetE0EEEvSK_
                                        ; -- End function
	.set _ZN7rocprim17ROCPRIM_400000_NS6detail17trampoline_kernelINS0_14default_configENS1_36segmented_radix_sort_config_selectorIhlEEZNS1_25segmented_radix_sort_implIS3_Lb0EPKhPhPKlPlN2at6native12_GLOBAL__N_18offset_tEEE10hipError_tPvRmT1_PNSt15iterator_traitsISK_E10value_typeET2_T3_PNSL_ISQ_E10value_typeET4_jRbjT5_SW_jjP12ihipStream_tbEUlT_E_NS1_11comp_targetILNS1_3genE5ELNS1_11target_archE942ELNS1_3gpuE9ELNS1_3repE0EEENS1_30default_config_static_selectorELNS0_4arch9wavefront6targetE0EEEvSK_.num_vgpr, 0
	.set _ZN7rocprim17ROCPRIM_400000_NS6detail17trampoline_kernelINS0_14default_configENS1_36segmented_radix_sort_config_selectorIhlEEZNS1_25segmented_radix_sort_implIS3_Lb0EPKhPhPKlPlN2at6native12_GLOBAL__N_18offset_tEEE10hipError_tPvRmT1_PNSt15iterator_traitsISK_E10value_typeET2_T3_PNSL_ISQ_E10value_typeET4_jRbjT5_SW_jjP12ihipStream_tbEUlT_E_NS1_11comp_targetILNS1_3genE5ELNS1_11target_archE942ELNS1_3gpuE9ELNS1_3repE0EEENS1_30default_config_static_selectorELNS0_4arch9wavefront6targetE0EEEvSK_.num_agpr, 0
	.set _ZN7rocprim17ROCPRIM_400000_NS6detail17trampoline_kernelINS0_14default_configENS1_36segmented_radix_sort_config_selectorIhlEEZNS1_25segmented_radix_sort_implIS3_Lb0EPKhPhPKlPlN2at6native12_GLOBAL__N_18offset_tEEE10hipError_tPvRmT1_PNSt15iterator_traitsISK_E10value_typeET2_T3_PNSL_ISQ_E10value_typeET4_jRbjT5_SW_jjP12ihipStream_tbEUlT_E_NS1_11comp_targetILNS1_3genE5ELNS1_11target_archE942ELNS1_3gpuE9ELNS1_3repE0EEENS1_30default_config_static_selectorELNS0_4arch9wavefront6targetE0EEEvSK_.numbered_sgpr, 0
	.set _ZN7rocprim17ROCPRIM_400000_NS6detail17trampoline_kernelINS0_14default_configENS1_36segmented_radix_sort_config_selectorIhlEEZNS1_25segmented_radix_sort_implIS3_Lb0EPKhPhPKlPlN2at6native12_GLOBAL__N_18offset_tEEE10hipError_tPvRmT1_PNSt15iterator_traitsISK_E10value_typeET2_T3_PNSL_ISQ_E10value_typeET4_jRbjT5_SW_jjP12ihipStream_tbEUlT_E_NS1_11comp_targetILNS1_3genE5ELNS1_11target_archE942ELNS1_3gpuE9ELNS1_3repE0EEENS1_30default_config_static_selectorELNS0_4arch9wavefront6targetE0EEEvSK_.num_named_barrier, 0
	.set _ZN7rocprim17ROCPRIM_400000_NS6detail17trampoline_kernelINS0_14default_configENS1_36segmented_radix_sort_config_selectorIhlEEZNS1_25segmented_radix_sort_implIS3_Lb0EPKhPhPKlPlN2at6native12_GLOBAL__N_18offset_tEEE10hipError_tPvRmT1_PNSt15iterator_traitsISK_E10value_typeET2_T3_PNSL_ISQ_E10value_typeET4_jRbjT5_SW_jjP12ihipStream_tbEUlT_E_NS1_11comp_targetILNS1_3genE5ELNS1_11target_archE942ELNS1_3gpuE9ELNS1_3repE0EEENS1_30default_config_static_selectorELNS0_4arch9wavefront6targetE0EEEvSK_.private_seg_size, 0
	.set _ZN7rocprim17ROCPRIM_400000_NS6detail17trampoline_kernelINS0_14default_configENS1_36segmented_radix_sort_config_selectorIhlEEZNS1_25segmented_radix_sort_implIS3_Lb0EPKhPhPKlPlN2at6native12_GLOBAL__N_18offset_tEEE10hipError_tPvRmT1_PNSt15iterator_traitsISK_E10value_typeET2_T3_PNSL_ISQ_E10value_typeET4_jRbjT5_SW_jjP12ihipStream_tbEUlT_E_NS1_11comp_targetILNS1_3genE5ELNS1_11target_archE942ELNS1_3gpuE9ELNS1_3repE0EEENS1_30default_config_static_selectorELNS0_4arch9wavefront6targetE0EEEvSK_.uses_vcc, 0
	.set _ZN7rocprim17ROCPRIM_400000_NS6detail17trampoline_kernelINS0_14default_configENS1_36segmented_radix_sort_config_selectorIhlEEZNS1_25segmented_radix_sort_implIS3_Lb0EPKhPhPKlPlN2at6native12_GLOBAL__N_18offset_tEEE10hipError_tPvRmT1_PNSt15iterator_traitsISK_E10value_typeET2_T3_PNSL_ISQ_E10value_typeET4_jRbjT5_SW_jjP12ihipStream_tbEUlT_E_NS1_11comp_targetILNS1_3genE5ELNS1_11target_archE942ELNS1_3gpuE9ELNS1_3repE0EEENS1_30default_config_static_selectorELNS0_4arch9wavefront6targetE0EEEvSK_.uses_flat_scratch, 0
	.set _ZN7rocprim17ROCPRIM_400000_NS6detail17trampoline_kernelINS0_14default_configENS1_36segmented_radix_sort_config_selectorIhlEEZNS1_25segmented_radix_sort_implIS3_Lb0EPKhPhPKlPlN2at6native12_GLOBAL__N_18offset_tEEE10hipError_tPvRmT1_PNSt15iterator_traitsISK_E10value_typeET2_T3_PNSL_ISQ_E10value_typeET4_jRbjT5_SW_jjP12ihipStream_tbEUlT_E_NS1_11comp_targetILNS1_3genE5ELNS1_11target_archE942ELNS1_3gpuE9ELNS1_3repE0EEENS1_30default_config_static_selectorELNS0_4arch9wavefront6targetE0EEEvSK_.has_dyn_sized_stack, 0
	.set _ZN7rocprim17ROCPRIM_400000_NS6detail17trampoline_kernelINS0_14default_configENS1_36segmented_radix_sort_config_selectorIhlEEZNS1_25segmented_radix_sort_implIS3_Lb0EPKhPhPKlPlN2at6native12_GLOBAL__N_18offset_tEEE10hipError_tPvRmT1_PNSt15iterator_traitsISK_E10value_typeET2_T3_PNSL_ISQ_E10value_typeET4_jRbjT5_SW_jjP12ihipStream_tbEUlT_E_NS1_11comp_targetILNS1_3genE5ELNS1_11target_archE942ELNS1_3gpuE9ELNS1_3repE0EEENS1_30default_config_static_selectorELNS0_4arch9wavefront6targetE0EEEvSK_.has_recursion, 0
	.set _ZN7rocprim17ROCPRIM_400000_NS6detail17trampoline_kernelINS0_14default_configENS1_36segmented_radix_sort_config_selectorIhlEEZNS1_25segmented_radix_sort_implIS3_Lb0EPKhPhPKlPlN2at6native12_GLOBAL__N_18offset_tEEE10hipError_tPvRmT1_PNSt15iterator_traitsISK_E10value_typeET2_T3_PNSL_ISQ_E10value_typeET4_jRbjT5_SW_jjP12ihipStream_tbEUlT_E_NS1_11comp_targetILNS1_3genE5ELNS1_11target_archE942ELNS1_3gpuE9ELNS1_3repE0EEENS1_30default_config_static_selectorELNS0_4arch9wavefront6targetE0EEEvSK_.has_indirect_call, 0
	.section	.AMDGPU.csdata,"",@progbits
; Kernel info:
; codeLenInByte = 0
; TotalNumSgprs: 0
; NumVgprs: 0
; ScratchSize: 0
; MemoryBound: 0
; FloatMode: 240
; IeeeMode: 1
; LDSByteSize: 0 bytes/workgroup (compile time only)
; SGPRBlocks: 0
; VGPRBlocks: 0
; NumSGPRsForWavesPerEU: 1
; NumVGPRsForWavesPerEU: 1
; Occupancy: 16
; WaveLimiterHint : 0
; COMPUTE_PGM_RSRC2:SCRATCH_EN: 0
; COMPUTE_PGM_RSRC2:USER_SGPR: 2
; COMPUTE_PGM_RSRC2:TRAP_HANDLER: 0
; COMPUTE_PGM_RSRC2:TGID_X_EN: 1
; COMPUTE_PGM_RSRC2:TGID_Y_EN: 0
; COMPUTE_PGM_RSRC2:TGID_Z_EN: 0
; COMPUTE_PGM_RSRC2:TIDIG_COMP_CNT: 0
	.section	.text._ZN7rocprim17ROCPRIM_400000_NS6detail17trampoline_kernelINS0_14default_configENS1_36segmented_radix_sort_config_selectorIhlEEZNS1_25segmented_radix_sort_implIS3_Lb0EPKhPhPKlPlN2at6native12_GLOBAL__N_18offset_tEEE10hipError_tPvRmT1_PNSt15iterator_traitsISK_E10value_typeET2_T3_PNSL_ISQ_E10value_typeET4_jRbjT5_SW_jjP12ihipStream_tbEUlT_E_NS1_11comp_targetILNS1_3genE4ELNS1_11target_archE910ELNS1_3gpuE8ELNS1_3repE0EEENS1_30default_config_static_selectorELNS0_4arch9wavefront6targetE0EEEvSK_,"axG",@progbits,_ZN7rocprim17ROCPRIM_400000_NS6detail17trampoline_kernelINS0_14default_configENS1_36segmented_radix_sort_config_selectorIhlEEZNS1_25segmented_radix_sort_implIS3_Lb0EPKhPhPKlPlN2at6native12_GLOBAL__N_18offset_tEEE10hipError_tPvRmT1_PNSt15iterator_traitsISK_E10value_typeET2_T3_PNSL_ISQ_E10value_typeET4_jRbjT5_SW_jjP12ihipStream_tbEUlT_E_NS1_11comp_targetILNS1_3genE4ELNS1_11target_archE910ELNS1_3gpuE8ELNS1_3repE0EEENS1_30default_config_static_selectorELNS0_4arch9wavefront6targetE0EEEvSK_,comdat
	.globl	_ZN7rocprim17ROCPRIM_400000_NS6detail17trampoline_kernelINS0_14default_configENS1_36segmented_radix_sort_config_selectorIhlEEZNS1_25segmented_radix_sort_implIS3_Lb0EPKhPhPKlPlN2at6native12_GLOBAL__N_18offset_tEEE10hipError_tPvRmT1_PNSt15iterator_traitsISK_E10value_typeET2_T3_PNSL_ISQ_E10value_typeET4_jRbjT5_SW_jjP12ihipStream_tbEUlT_E_NS1_11comp_targetILNS1_3genE4ELNS1_11target_archE910ELNS1_3gpuE8ELNS1_3repE0EEENS1_30default_config_static_selectorELNS0_4arch9wavefront6targetE0EEEvSK_ ; -- Begin function _ZN7rocprim17ROCPRIM_400000_NS6detail17trampoline_kernelINS0_14default_configENS1_36segmented_radix_sort_config_selectorIhlEEZNS1_25segmented_radix_sort_implIS3_Lb0EPKhPhPKlPlN2at6native12_GLOBAL__N_18offset_tEEE10hipError_tPvRmT1_PNSt15iterator_traitsISK_E10value_typeET2_T3_PNSL_ISQ_E10value_typeET4_jRbjT5_SW_jjP12ihipStream_tbEUlT_E_NS1_11comp_targetILNS1_3genE4ELNS1_11target_archE910ELNS1_3gpuE8ELNS1_3repE0EEENS1_30default_config_static_selectorELNS0_4arch9wavefront6targetE0EEEvSK_
	.p2align	8
	.type	_ZN7rocprim17ROCPRIM_400000_NS6detail17trampoline_kernelINS0_14default_configENS1_36segmented_radix_sort_config_selectorIhlEEZNS1_25segmented_radix_sort_implIS3_Lb0EPKhPhPKlPlN2at6native12_GLOBAL__N_18offset_tEEE10hipError_tPvRmT1_PNSt15iterator_traitsISK_E10value_typeET2_T3_PNSL_ISQ_E10value_typeET4_jRbjT5_SW_jjP12ihipStream_tbEUlT_E_NS1_11comp_targetILNS1_3genE4ELNS1_11target_archE910ELNS1_3gpuE8ELNS1_3repE0EEENS1_30default_config_static_selectorELNS0_4arch9wavefront6targetE0EEEvSK_,@function
_ZN7rocprim17ROCPRIM_400000_NS6detail17trampoline_kernelINS0_14default_configENS1_36segmented_radix_sort_config_selectorIhlEEZNS1_25segmented_radix_sort_implIS3_Lb0EPKhPhPKlPlN2at6native12_GLOBAL__N_18offset_tEEE10hipError_tPvRmT1_PNSt15iterator_traitsISK_E10value_typeET2_T3_PNSL_ISQ_E10value_typeET4_jRbjT5_SW_jjP12ihipStream_tbEUlT_E_NS1_11comp_targetILNS1_3genE4ELNS1_11target_archE910ELNS1_3gpuE8ELNS1_3repE0EEENS1_30default_config_static_selectorELNS0_4arch9wavefront6targetE0EEEvSK_: ; @_ZN7rocprim17ROCPRIM_400000_NS6detail17trampoline_kernelINS0_14default_configENS1_36segmented_radix_sort_config_selectorIhlEEZNS1_25segmented_radix_sort_implIS3_Lb0EPKhPhPKlPlN2at6native12_GLOBAL__N_18offset_tEEE10hipError_tPvRmT1_PNSt15iterator_traitsISK_E10value_typeET2_T3_PNSL_ISQ_E10value_typeET4_jRbjT5_SW_jjP12ihipStream_tbEUlT_E_NS1_11comp_targetILNS1_3genE4ELNS1_11target_archE910ELNS1_3gpuE8ELNS1_3repE0EEENS1_30default_config_static_selectorELNS0_4arch9wavefront6targetE0EEEvSK_
; %bb.0:
	.section	.rodata,"a",@progbits
	.p2align	6, 0x0
	.amdhsa_kernel _ZN7rocprim17ROCPRIM_400000_NS6detail17trampoline_kernelINS0_14default_configENS1_36segmented_radix_sort_config_selectorIhlEEZNS1_25segmented_radix_sort_implIS3_Lb0EPKhPhPKlPlN2at6native12_GLOBAL__N_18offset_tEEE10hipError_tPvRmT1_PNSt15iterator_traitsISK_E10value_typeET2_T3_PNSL_ISQ_E10value_typeET4_jRbjT5_SW_jjP12ihipStream_tbEUlT_E_NS1_11comp_targetILNS1_3genE4ELNS1_11target_archE910ELNS1_3gpuE8ELNS1_3repE0EEENS1_30default_config_static_selectorELNS0_4arch9wavefront6targetE0EEEvSK_
		.amdhsa_group_segment_fixed_size 0
		.amdhsa_private_segment_fixed_size 0
		.amdhsa_kernarg_size 96
		.amdhsa_user_sgpr_count 2
		.amdhsa_user_sgpr_dispatch_ptr 0
		.amdhsa_user_sgpr_queue_ptr 0
		.amdhsa_user_sgpr_kernarg_segment_ptr 1
		.amdhsa_user_sgpr_dispatch_id 0
		.amdhsa_user_sgpr_private_segment_size 0
		.amdhsa_wavefront_size32 1
		.amdhsa_uses_dynamic_stack 0
		.amdhsa_enable_private_segment 0
		.amdhsa_system_sgpr_workgroup_id_x 1
		.amdhsa_system_sgpr_workgroup_id_y 0
		.amdhsa_system_sgpr_workgroup_id_z 0
		.amdhsa_system_sgpr_workgroup_info 0
		.amdhsa_system_vgpr_workitem_id 0
		.amdhsa_next_free_vgpr 1
		.amdhsa_next_free_sgpr 1
		.amdhsa_reserve_vcc 0
		.amdhsa_float_round_mode_32 0
		.amdhsa_float_round_mode_16_64 0
		.amdhsa_float_denorm_mode_32 3
		.amdhsa_float_denorm_mode_16_64 3
		.amdhsa_fp16_overflow 0
		.amdhsa_workgroup_processor_mode 1
		.amdhsa_memory_ordered 1
		.amdhsa_forward_progress 1
		.amdhsa_inst_pref_size 0
		.amdhsa_round_robin_scheduling 0
		.amdhsa_exception_fp_ieee_invalid_op 0
		.amdhsa_exception_fp_denorm_src 0
		.amdhsa_exception_fp_ieee_div_zero 0
		.amdhsa_exception_fp_ieee_overflow 0
		.amdhsa_exception_fp_ieee_underflow 0
		.amdhsa_exception_fp_ieee_inexact 0
		.amdhsa_exception_int_div_zero 0
	.end_amdhsa_kernel
	.section	.text._ZN7rocprim17ROCPRIM_400000_NS6detail17trampoline_kernelINS0_14default_configENS1_36segmented_radix_sort_config_selectorIhlEEZNS1_25segmented_radix_sort_implIS3_Lb0EPKhPhPKlPlN2at6native12_GLOBAL__N_18offset_tEEE10hipError_tPvRmT1_PNSt15iterator_traitsISK_E10value_typeET2_T3_PNSL_ISQ_E10value_typeET4_jRbjT5_SW_jjP12ihipStream_tbEUlT_E_NS1_11comp_targetILNS1_3genE4ELNS1_11target_archE910ELNS1_3gpuE8ELNS1_3repE0EEENS1_30default_config_static_selectorELNS0_4arch9wavefront6targetE0EEEvSK_,"axG",@progbits,_ZN7rocprim17ROCPRIM_400000_NS6detail17trampoline_kernelINS0_14default_configENS1_36segmented_radix_sort_config_selectorIhlEEZNS1_25segmented_radix_sort_implIS3_Lb0EPKhPhPKlPlN2at6native12_GLOBAL__N_18offset_tEEE10hipError_tPvRmT1_PNSt15iterator_traitsISK_E10value_typeET2_T3_PNSL_ISQ_E10value_typeET4_jRbjT5_SW_jjP12ihipStream_tbEUlT_E_NS1_11comp_targetILNS1_3genE4ELNS1_11target_archE910ELNS1_3gpuE8ELNS1_3repE0EEENS1_30default_config_static_selectorELNS0_4arch9wavefront6targetE0EEEvSK_,comdat
.Lfunc_end188:
	.size	_ZN7rocprim17ROCPRIM_400000_NS6detail17trampoline_kernelINS0_14default_configENS1_36segmented_radix_sort_config_selectorIhlEEZNS1_25segmented_radix_sort_implIS3_Lb0EPKhPhPKlPlN2at6native12_GLOBAL__N_18offset_tEEE10hipError_tPvRmT1_PNSt15iterator_traitsISK_E10value_typeET2_T3_PNSL_ISQ_E10value_typeET4_jRbjT5_SW_jjP12ihipStream_tbEUlT_E_NS1_11comp_targetILNS1_3genE4ELNS1_11target_archE910ELNS1_3gpuE8ELNS1_3repE0EEENS1_30default_config_static_selectorELNS0_4arch9wavefront6targetE0EEEvSK_, .Lfunc_end188-_ZN7rocprim17ROCPRIM_400000_NS6detail17trampoline_kernelINS0_14default_configENS1_36segmented_radix_sort_config_selectorIhlEEZNS1_25segmented_radix_sort_implIS3_Lb0EPKhPhPKlPlN2at6native12_GLOBAL__N_18offset_tEEE10hipError_tPvRmT1_PNSt15iterator_traitsISK_E10value_typeET2_T3_PNSL_ISQ_E10value_typeET4_jRbjT5_SW_jjP12ihipStream_tbEUlT_E_NS1_11comp_targetILNS1_3genE4ELNS1_11target_archE910ELNS1_3gpuE8ELNS1_3repE0EEENS1_30default_config_static_selectorELNS0_4arch9wavefront6targetE0EEEvSK_
                                        ; -- End function
	.set _ZN7rocprim17ROCPRIM_400000_NS6detail17trampoline_kernelINS0_14default_configENS1_36segmented_radix_sort_config_selectorIhlEEZNS1_25segmented_radix_sort_implIS3_Lb0EPKhPhPKlPlN2at6native12_GLOBAL__N_18offset_tEEE10hipError_tPvRmT1_PNSt15iterator_traitsISK_E10value_typeET2_T3_PNSL_ISQ_E10value_typeET4_jRbjT5_SW_jjP12ihipStream_tbEUlT_E_NS1_11comp_targetILNS1_3genE4ELNS1_11target_archE910ELNS1_3gpuE8ELNS1_3repE0EEENS1_30default_config_static_selectorELNS0_4arch9wavefront6targetE0EEEvSK_.num_vgpr, 0
	.set _ZN7rocprim17ROCPRIM_400000_NS6detail17trampoline_kernelINS0_14default_configENS1_36segmented_radix_sort_config_selectorIhlEEZNS1_25segmented_radix_sort_implIS3_Lb0EPKhPhPKlPlN2at6native12_GLOBAL__N_18offset_tEEE10hipError_tPvRmT1_PNSt15iterator_traitsISK_E10value_typeET2_T3_PNSL_ISQ_E10value_typeET4_jRbjT5_SW_jjP12ihipStream_tbEUlT_E_NS1_11comp_targetILNS1_3genE4ELNS1_11target_archE910ELNS1_3gpuE8ELNS1_3repE0EEENS1_30default_config_static_selectorELNS0_4arch9wavefront6targetE0EEEvSK_.num_agpr, 0
	.set _ZN7rocprim17ROCPRIM_400000_NS6detail17trampoline_kernelINS0_14default_configENS1_36segmented_radix_sort_config_selectorIhlEEZNS1_25segmented_radix_sort_implIS3_Lb0EPKhPhPKlPlN2at6native12_GLOBAL__N_18offset_tEEE10hipError_tPvRmT1_PNSt15iterator_traitsISK_E10value_typeET2_T3_PNSL_ISQ_E10value_typeET4_jRbjT5_SW_jjP12ihipStream_tbEUlT_E_NS1_11comp_targetILNS1_3genE4ELNS1_11target_archE910ELNS1_3gpuE8ELNS1_3repE0EEENS1_30default_config_static_selectorELNS0_4arch9wavefront6targetE0EEEvSK_.numbered_sgpr, 0
	.set _ZN7rocprim17ROCPRIM_400000_NS6detail17trampoline_kernelINS0_14default_configENS1_36segmented_radix_sort_config_selectorIhlEEZNS1_25segmented_radix_sort_implIS3_Lb0EPKhPhPKlPlN2at6native12_GLOBAL__N_18offset_tEEE10hipError_tPvRmT1_PNSt15iterator_traitsISK_E10value_typeET2_T3_PNSL_ISQ_E10value_typeET4_jRbjT5_SW_jjP12ihipStream_tbEUlT_E_NS1_11comp_targetILNS1_3genE4ELNS1_11target_archE910ELNS1_3gpuE8ELNS1_3repE0EEENS1_30default_config_static_selectorELNS0_4arch9wavefront6targetE0EEEvSK_.num_named_barrier, 0
	.set _ZN7rocprim17ROCPRIM_400000_NS6detail17trampoline_kernelINS0_14default_configENS1_36segmented_radix_sort_config_selectorIhlEEZNS1_25segmented_radix_sort_implIS3_Lb0EPKhPhPKlPlN2at6native12_GLOBAL__N_18offset_tEEE10hipError_tPvRmT1_PNSt15iterator_traitsISK_E10value_typeET2_T3_PNSL_ISQ_E10value_typeET4_jRbjT5_SW_jjP12ihipStream_tbEUlT_E_NS1_11comp_targetILNS1_3genE4ELNS1_11target_archE910ELNS1_3gpuE8ELNS1_3repE0EEENS1_30default_config_static_selectorELNS0_4arch9wavefront6targetE0EEEvSK_.private_seg_size, 0
	.set _ZN7rocprim17ROCPRIM_400000_NS6detail17trampoline_kernelINS0_14default_configENS1_36segmented_radix_sort_config_selectorIhlEEZNS1_25segmented_radix_sort_implIS3_Lb0EPKhPhPKlPlN2at6native12_GLOBAL__N_18offset_tEEE10hipError_tPvRmT1_PNSt15iterator_traitsISK_E10value_typeET2_T3_PNSL_ISQ_E10value_typeET4_jRbjT5_SW_jjP12ihipStream_tbEUlT_E_NS1_11comp_targetILNS1_3genE4ELNS1_11target_archE910ELNS1_3gpuE8ELNS1_3repE0EEENS1_30default_config_static_selectorELNS0_4arch9wavefront6targetE0EEEvSK_.uses_vcc, 0
	.set _ZN7rocprim17ROCPRIM_400000_NS6detail17trampoline_kernelINS0_14default_configENS1_36segmented_radix_sort_config_selectorIhlEEZNS1_25segmented_radix_sort_implIS3_Lb0EPKhPhPKlPlN2at6native12_GLOBAL__N_18offset_tEEE10hipError_tPvRmT1_PNSt15iterator_traitsISK_E10value_typeET2_T3_PNSL_ISQ_E10value_typeET4_jRbjT5_SW_jjP12ihipStream_tbEUlT_E_NS1_11comp_targetILNS1_3genE4ELNS1_11target_archE910ELNS1_3gpuE8ELNS1_3repE0EEENS1_30default_config_static_selectorELNS0_4arch9wavefront6targetE0EEEvSK_.uses_flat_scratch, 0
	.set _ZN7rocprim17ROCPRIM_400000_NS6detail17trampoline_kernelINS0_14default_configENS1_36segmented_radix_sort_config_selectorIhlEEZNS1_25segmented_radix_sort_implIS3_Lb0EPKhPhPKlPlN2at6native12_GLOBAL__N_18offset_tEEE10hipError_tPvRmT1_PNSt15iterator_traitsISK_E10value_typeET2_T3_PNSL_ISQ_E10value_typeET4_jRbjT5_SW_jjP12ihipStream_tbEUlT_E_NS1_11comp_targetILNS1_3genE4ELNS1_11target_archE910ELNS1_3gpuE8ELNS1_3repE0EEENS1_30default_config_static_selectorELNS0_4arch9wavefront6targetE0EEEvSK_.has_dyn_sized_stack, 0
	.set _ZN7rocprim17ROCPRIM_400000_NS6detail17trampoline_kernelINS0_14default_configENS1_36segmented_radix_sort_config_selectorIhlEEZNS1_25segmented_radix_sort_implIS3_Lb0EPKhPhPKlPlN2at6native12_GLOBAL__N_18offset_tEEE10hipError_tPvRmT1_PNSt15iterator_traitsISK_E10value_typeET2_T3_PNSL_ISQ_E10value_typeET4_jRbjT5_SW_jjP12ihipStream_tbEUlT_E_NS1_11comp_targetILNS1_3genE4ELNS1_11target_archE910ELNS1_3gpuE8ELNS1_3repE0EEENS1_30default_config_static_selectorELNS0_4arch9wavefront6targetE0EEEvSK_.has_recursion, 0
	.set _ZN7rocprim17ROCPRIM_400000_NS6detail17trampoline_kernelINS0_14default_configENS1_36segmented_radix_sort_config_selectorIhlEEZNS1_25segmented_radix_sort_implIS3_Lb0EPKhPhPKlPlN2at6native12_GLOBAL__N_18offset_tEEE10hipError_tPvRmT1_PNSt15iterator_traitsISK_E10value_typeET2_T3_PNSL_ISQ_E10value_typeET4_jRbjT5_SW_jjP12ihipStream_tbEUlT_E_NS1_11comp_targetILNS1_3genE4ELNS1_11target_archE910ELNS1_3gpuE8ELNS1_3repE0EEENS1_30default_config_static_selectorELNS0_4arch9wavefront6targetE0EEEvSK_.has_indirect_call, 0
	.section	.AMDGPU.csdata,"",@progbits
; Kernel info:
; codeLenInByte = 0
; TotalNumSgprs: 0
; NumVgprs: 0
; ScratchSize: 0
; MemoryBound: 0
; FloatMode: 240
; IeeeMode: 1
; LDSByteSize: 0 bytes/workgroup (compile time only)
; SGPRBlocks: 0
; VGPRBlocks: 0
; NumSGPRsForWavesPerEU: 1
; NumVGPRsForWavesPerEU: 1
; Occupancy: 16
; WaveLimiterHint : 0
; COMPUTE_PGM_RSRC2:SCRATCH_EN: 0
; COMPUTE_PGM_RSRC2:USER_SGPR: 2
; COMPUTE_PGM_RSRC2:TRAP_HANDLER: 0
; COMPUTE_PGM_RSRC2:TGID_X_EN: 1
; COMPUTE_PGM_RSRC2:TGID_Y_EN: 0
; COMPUTE_PGM_RSRC2:TGID_Z_EN: 0
; COMPUTE_PGM_RSRC2:TIDIG_COMP_CNT: 0
	.section	.text._ZN7rocprim17ROCPRIM_400000_NS6detail17trampoline_kernelINS0_14default_configENS1_36segmented_radix_sort_config_selectorIhlEEZNS1_25segmented_radix_sort_implIS3_Lb0EPKhPhPKlPlN2at6native12_GLOBAL__N_18offset_tEEE10hipError_tPvRmT1_PNSt15iterator_traitsISK_E10value_typeET2_T3_PNSL_ISQ_E10value_typeET4_jRbjT5_SW_jjP12ihipStream_tbEUlT_E_NS1_11comp_targetILNS1_3genE3ELNS1_11target_archE908ELNS1_3gpuE7ELNS1_3repE0EEENS1_30default_config_static_selectorELNS0_4arch9wavefront6targetE0EEEvSK_,"axG",@progbits,_ZN7rocprim17ROCPRIM_400000_NS6detail17trampoline_kernelINS0_14default_configENS1_36segmented_radix_sort_config_selectorIhlEEZNS1_25segmented_radix_sort_implIS3_Lb0EPKhPhPKlPlN2at6native12_GLOBAL__N_18offset_tEEE10hipError_tPvRmT1_PNSt15iterator_traitsISK_E10value_typeET2_T3_PNSL_ISQ_E10value_typeET4_jRbjT5_SW_jjP12ihipStream_tbEUlT_E_NS1_11comp_targetILNS1_3genE3ELNS1_11target_archE908ELNS1_3gpuE7ELNS1_3repE0EEENS1_30default_config_static_selectorELNS0_4arch9wavefront6targetE0EEEvSK_,comdat
	.globl	_ZN7rocprim17ROCPRIM_400000_NS6detail17trampoline_kernelINS0_14default_configENS1_36segmented_radix_sort_config_selectorIhlEEZNS1_25segmented_radix_sort_implIS3_Lb0EPKhPhPKlPlN2at6native12_GLOBAL__N_18offset_tEEE10hipError_tPvRmT1_PNSt15iterator_traitsISK_E10value_typeET2_T3_PNSL_ISQ_E10value_typeET4_jRbjT5_SW_jjP12ihipStream_tbEUlT_E_NS1_11comp_targetILNS1_3genE3ELNS1_11target_archE908ELNS1_3gpuE7ELNS1_3repE0EEENS1_30default_config_static_selectorELNS0_4arch9wavefront6targetE0EEEvSK_ ; -- Begin function _ZN7rocprim17ROCPRIM_400000_NS6detail17trampoline_kernelINS0_14default_configENS1_36segmented_radix_sort_config_selectorIhlEEZNS1_25segmented_radix_sort_implIS3_Lb0EPKhPhPKlPlN2at6native12_GLOBAL__N_18offset_tEEE10hipError_tPvRmT1_PNSt15iterator_traitsISK_E10value_typeET2_T3_PNSL_ISQ_E10value_typeET4_jRbjT5_SW_jjP12ihipStream_tbEUlT_E_NS1_11comp_targetILNS1_3genE3ELNS1_11target_archE908ELNS1_3gpuE7ELNS1_3repE0EEENS1_30default_config_static_selectorELNS0_4arch9wavefront6targetE0EEEvSK_
	.p2align	8
	.type	_ZN7rocprim17ROCPRIM_400000_NS6detail17trampoline_kernelINS0_14default_configENS1_36segmented_radix_sort_config_selectorIhlEEZNS1_25segmented_radix_sort_implIS3_Lb0EPKhPhPKlPlN2at6native12_GLOBAL__N_18offset_tEEE10hipError_tPvRmT1_PNSt15iterator_traitsISK_E10value_typeET2_T3_PNSL_ISQ_E10value_typeET4_jRbjT5_SW_jjP12ihipStream_tbEUlT_E_NS1_11comp_targetILNS1_3genE3ELNS1_11target_archE908ELNS1_3gpuE7ELNS1_3repE0EEENS1_30default_config_static_selectorELNS0_4arch9wavefront6targetE0EEEvSK_,@function
_ZN7rocprim17ROCPRIM_400000_NS6detail17trampoline_kernelINS0_14default_configENS1_36segmented_radix_sort_config_selectorIhlEEZNS1_25segmented_radix_sort_implIS3_Lb0EPKhPhPKlPlN2at6native12_GLOBAL__N_18offset_tEEE10hipError_tPvRmT1_PNSt15iterator_traitsISK_E10value_typeET2_T3_PNSL_ISQ_E10value_typeET4_jRbjT5_SW_jjP12ihipStream_tbEUlT_E_NS1_11comp_targetILNS1_3genE3ELNS1_11target_archE908ELNS1_3gpuE7ELNS1_3repE0EEENS1_30default_config_static_selectorELNS0_4arch9wavefront6targetE0EEEvSK_: ; @_ZN7rocprim17ROCPRIM_400000_NS6detail17trampoline_kernelINS0_14default_configENS1_36segmented_radix_sort_config_selectorIhlEEZNS1_25segmented_radix_sort_implIS3_Lb0EPKhPhPKlPlN2at6native12_GLOBAL__N_18offset_tEEE10hipError_tPvRmT1_PNSt15iterator_traitsISK_E10value_typeET2_T3_PNSL_ISQ_E10value_typeET4_jRbjT5_SW_jjP12ihipStream_tbEUlT_E_NS1_11comp_targetILNS1_3genE3ELNS1_11target_archE908ELNS1_3gpuE7ELNS1_3repE0EEENS1_30default_config_static_selectorELNS0_4arch9wavefront6targetE0EEEvSK_
; %bb.0:
	.section	.rodata,"a",@progbits
	.p2align	6, 0x0
	.amdhsa_kernel _ZN7rocprim17ROCPRIM_400000_NS6detail17trampoline_kernelINS0_14default_configENS1_36segmented_radix_sort_config_selectorIhlEEZNS1_25segmented_radix_sort_implIS3_Lb0EPKhPhPKlPlN2at6native12_GLOBAL__N_18offset_tEEE10hipError_tPvRmT1_PNSt15iterator_traitsISK_E10value_typeET2_T3_PNSL_ISQ_E10value_typeET4_jRbjT5_SW_jjP12ihipStream_tbEUlT_E_NS1_11comp_targetILNS1_3genE3ELNS1_11target_archE908ELNS1_3gpuE7ELNS1_3repE0EEENS1_30default_config_static_selectorELNS0_4arch9wavefront6targetE0EEEvSK_
		.amdhsa_group_segment_fixed_size 0
		.amdhsa_private_segment_fixed_size 0
		.amdhsa_kernarg_size 96
		.amdhsa_user_sgpr_count 2
		.amdhsa_user_sgpr_dispatch_ptr 0
		.amdhsa_user_sgpr_queue_ptr 0
		.amdhsa_user_sgpr_kernarg_segment_ptr 1
		.amdhsa_user_sgpr_dispatch_id 0
		.amdhsa_user_sgpr_private_segment_size 0
		.amdhsa_wavefront_size32 1
		.amdhsa_uses_dynamic_stack 0
		.amdhsa_enable_private_segment 0
		.amdhsa_system_sgpr_workgroup_id_x 1
		.amdhsa_system_sgpr_workgroup_id_y 0
		.amdhsa_system_sgpr_workgroup_id_z 0
		.amdhsa_system_sgpr_workgroup_info 0
		.amdhsa_system_vgpr_workitem_id 0
		.amdhsa_next_free_vgpr 1
		.amdhsa_next_free_sgpr 1
		.amdhsa_reserve_vcc 0
		.amdhsa_float_round_mode_32 0
		.amdhsa_float_round_mode_16_64 0
		.amdhsa_float_denorm_mode_32 3
		.amdhsa_float_denorm_mode_16_64 3
		.amdhsa_fp16_overflow 0
		.amdhsa_workgroup_processor_mode 1
		.amdhsa_memory_ordered 1
		.amdhsa_forward_progress 1
		.amdhsa_inst_pref_size 0
		.amdhsa_round_robin_scheduling 0
		.amdhsa_exception_fp_ieee_invalid_op 0
		.amdhsa_exception_fp_denorm_src 0
		.amdhsa_exception_fp_ieee_div_zero 0
		.amdhsa_exception_fp_ieee_overflow 0
		.amdhsa_exception_fp_ieee_underflow 0
		.amdhsa_exception_fp_ieee_inexact 0
		.amdhsa_exception_int_div_zero 0
	.end_amdhsa_kernel
	.section	.text._ZN7rocprim17ROCPRIM_400000_NS6detail17trampoline_kernelINS0_14default_configENS1_36segmented_radix_sort_config_selectorIhlEEZNS1_25segmented_radix_sort_implIS3_Lb0EPKhPhPKlPlN2at6native12_GLOBAL__N_18offset_tEEE10hipError_tPvRmT1_PNSt15iterator_traitsISK_E10value_typeET2_T3_PNSL_ISQ_E10value_typeET4_jRbjT5_SW_jjP12ihipStream_tbEUlT_E_NS1_11comp_targetILNS1_3genE3ELNS1_11target_archE908ELNS1_3gpuE7ELNS1_3repE0EEENS1_30default_config_static_selectorELNS0_4arch9wavefront6targetE0EEEvSK_,"axG",@progbits,_ZN7rocprim17ROCPRIM_400000_NS6detail17trampoline_kernelINS0_14default_configENS1_36segmented_radix_sort_config_selectorIhlEEZNS1_25segmented_radix_sort_implIS3_Lb0EPKhPhPKlPlN2at6native12_GLOBAL__N_18offset_tEEE10hipError_tPvRmT1_PNSt15iterator_traitsISK_E10value_typeET2_T3_PNSL_ISQ_E10value_typeET4_jRbjT5_SW_jjP12ihipStream_tbEUlT_E_NS1_11comp_targetILNS1_3genE3ELNS1_11target_archE908ELNS1_3gpuE7ELNS1_3repE0EEENS1_30default_config_static_selectorELNS0_4arch9wavefront6targetE0EEEvSK_,comdat
.Lfunc_end189:
	.size	_ZN7rocprim17ROCPRIM_400000_NS6detail17trampoline_kernelINS0_14default_configENS1_36segmented_radix_sort_config_selectorIhlEEZNS1_25segmented_radix_sort_implIS3_Lb0EPKhPhPKlPlN2at6native12_GLOBAL__N_18offset_tEEE10hipError_tPvRmT1_PNSt15iterator_traitsISK_E10value_typeET2_T3_PNSL_ISQ_E10value_typeET4_jRbjT5_SW_jjP12ihipStream_tbEUlT_E_NS1_11comp_targetILNS1_3genE3ELNS1_11target_archE908ELNS1_3gpuE7ELNS1_3repE0EEENS1_30default_config_static_selectorELNS0_4arch9wavefront6targetE0EEEvSK_, .Lfunc_end189-_ZN7rocprim17ROCPRIM_400000_NS6detail17trampoline_kernelINS0_14default_configENS1_36segmented_radix_sort_config_selectorIhlEEZNS1_25segmented_radix_sort_implIS3_Lb0EPKhPhPKlPlN2at6native12_GLOBAL__N_18offset_tEEE10hipError_tPvRmT1_PNSt15iterator_traitsISK_E10value_typeET2_T3_PNSL_ISQ_E10value_typeET4_jRbjT5_SW_jjP12ihipStream_tbEUlT_E_NS1_11comp_targetILNS1_3genE3ELNS1_11target_archE908ELNS1_3gpuE7ELNS1_3repE0EEENS1_30default_config_static_selectorELNS0_4arch9wavefront6targetE0EEEvSK_
                                        ; -- End function
	.set _ZN7rocprim17ROCPRIM_400000_NS6detail17trampoline_kernelINS0_14default_configENS1_36segmented_radix_sort_config_selectorIhlEEZNS1_25segmented_radix_sort_implIS3_Lb0EPKhPhPKlPlN2at6native12_GLOBAL__N_18offset_tEEE10hipError_tPvRmT1_PNSt15iterator_traitsISK_E10value_typeET2_T3_PNSL_ISQ_E10value_typeET4_jRbjT5_SW_jjP12ihipStream_tbEUlT_E_NS1_11comp_targetILNS1_3genE3ELNS1_11target_archE908ELNS1_3gpuE7ELNS1_3repE0EEENS1_30default_config_static_selectorELNS0_4arch9wavefront6targetE0EEEvSK_.num_vgpr, 0
	.set _ZN7rocprim17ROCPRIM_400000_NS6detail17trampoline_kernelINS0_14default_configENS1_36segmented_radix_sort_config_selectorIhlEEZNS1_25segmented_radix_sort_implIS3_Lb0EPKhPhPKlPlN2at6native12_GLOBAL__N_18offset_tEEE10hipError_tPvRmT1_PNSt15iterator_traitsISK_E10value_typeET2_T3_PNSL_ISQ_E10value_typeET4_jRbjT5_SW_jjP12ihipStream_tbEUlT_E_NS1_11comp_targetILNS1_3genE3ELNS1_11target_archE908ELNS1_3gpuE7ELNS1_3repE0EEENS1_30default_config_static_selectorELNS0_4arch9wavefront6targetE0EEEvSK_.num_agpr, 0
	.set _ZN7rocprim17ROCPRIM_400000_NS6detail17trampoline_kernelINS0_14default_configENS1_36segmented_radix_sort_config_selectorIhlEEZNS1_25segmented_radix_sort_implIS3_Lb0EPKhPhPKlPlN2at6native12_GLOBAL__N_18offset_tEEE10hipError_tPvRmT1_PNSt15iterator_traitsISK_E10value_typeET2_T3_PNSL_ISQ_E10value_typeET4_jRbjT5_SW_jjP12ihipStream_tbEUlT_E_NS1_11comp_targetILNS1_3genE3ELNS1_11target_archE908ELNS1_3gpuE7ELNS1_3repE0EEENS1_30default_config_static_selectorELNS0_4arch9wavefront6targetE0EEEvSK_.numbered_sgpr, 0
	.set _ZN7rocprim17ROCPRIM_400000_NS6detail17trampoline_kernelINS0_14default_configENS1_36segmented_radix_sort_config_selectorIhlEEZNS1_25segmented_radix_sort_implIS3_Lb0EPKhPhPKlPlN2at6native12_GLOBAL__N_18offset_tEEE10hipError_tPvRmT1_PNSt15iterator_traitsISK_E10value_typeET2_T3_PNSL_ISQ_E10value_typeET4_jRbjT5_SW_jjP12ihipStream_tbEUlT_E_NS1_11comp_targetILNS1_3genE3ELNS1_11target_archE908ELNS1_3gpuE7ELNS1_3repE0EEENS1_30default_config_static_selectorELNS0_4arch9wavefront6targetE0EEEvSK_.num_named_barrier, 0
	.set _ZN7rocprim17ROCPRIM_400000_NS6detail17trampoline_kernelINS0_14default_configENS1_36segmented_radix_sort_config_selectorIhlEEZNS1_25segmented_radix_sort_implIS3_Lb0EPKhPhPKlPlN2at6native12_GLOBAL__N_18offset_tEEE10hipError_tPvRmT1_PNSt15iterator_traitsISK_E10value_typeET2_T3_PNSL_ISQ_E10value_typeET4_jRbjT5_SW_jjP12ihipStream_tbEUlT_E_NS1_11comp_targetILNS1_3genE3ELNS1_11target_archE908ELNS1_3gpuE7ELNS1_3repE0EEENS1_30default_config_static_selectorELNS0_4arch9wavefront6targetE0EEEvSK_.private_seg_size, 0
	.set _ZN7rocprim17ROCPRIM_400000_NS6detail17trampoline_kernelINS0_14default_configENS1_36segmented_radix_sort_config_selectorIhlEEZNS1_25segmented_radix_sort_implIS3_Lb0EPKhPhPKlPlN2at6native12_GLOBAL__N_18offset_tEEE10hipError_tPvRmT1_PNSt15iterator_traitsISK_E10value_typeET2_T3_PNSL_ISQ_E10value_typeET4_jRbjT5_SW_jjP12ihipStream_tbEUlT_E_NS1_11comp_targetILNS1_3genE3ELNS1_11target_archE908ELNS1_3gpuE7ELNS1_3repE0EEENS1_30default_config_static_selectorELNS0_4arch9wavefront6targetE0EEEvSK_.uses_vcc, 0
	.set _ZN7rocprim17ROCPRIM_400000_NS6detail17trampoline_kernelINS0_14default_configENS1_36segmented_radix_sort_config_selectorIhlEEZNS1_25segmented_radix_sort_implIS3_Lb0EPKhPhPKlPlN2at6native12_GLOBAL__N_18offset_tEEE10hipError_tPvRmT1_PNSt15iterator_traitsISK_E10value_typeET2_T3_PNSL_ISQ_E10value_typeET4_jRbjT5_SW_jjP12ihipStream_tbEUlT_E_NS1_11comp_targetILNS1_3genE3ELNS1_11target_archE908ELNS1_3gpuE7ELNS1_3repE0EEENS1_30default_config_static_selectorELNS0_4arch9wavefront6targetE0EEEvSK_.uses_flat_scratch, 0
	.set _ZN7rocprim17ROCPRIM_400000_NS6detail17trampoline_kernelINS0_14default_configENS1_36segmented_radix_sort_config_selectorIhlEEZNS1_25segmented_radix_sort_implIS3_Lb0EPKhPhPKlPlN2at6native12_GLOBAL__N_18offset_tEEE10hipError_tPvRmT1_PNSt15iterator_traitsISK_E10value_typeET2_T3_PNSL_ISQ_E10value_typeET4_jRbjT5_SW_jjP12ihipStream_tbEUlT_E_NS1_11comp_targetILNS1_3genE3ELNS1_11target_archE908ELNS1_3gpuE7ELNS1_3repE0EEENS1_30default_config_static_selectorELNS0_4arch9wavefront6targetE0EEEvSK_.has_dyn_sized_stack, 0
	.set _ZN7rocprim17ROCPRIM_400000_NS6detail17trampoline_kernelINS0_14default_configENS1_36segmented_radix_sort_config_selectorIhlEEZNS1_25segmented_radix_sort_implIS3_Lb0EPKhPhPKlPlN2at6native12_GLOBAL__N_18offset_tEEE10hipError_tPvRmT1_PNSt15iterator_traitsISK_E10value_typeET2_T3_PNSL_ISQ_E10value_typeET4_jRbjT5_SW_jjP12ihipStream_tbEUlT_E_NS1_11comp_targetILNS1_3genE3ELNS1_11target_archE908ELNS1_3gpuE7ELNS1_3repE0EEENS1_30default_config_static_selectorELNS0_4arch9wavefront6targetE0EEEvSK_.has_recursion, 0
	.set _ZN7rocprim17ROCPRIM_400000_NS6detail17trampoline_kernelINS0_14default_configENS1_36segmented_radix_sort_config_selectorIhlEEZNS1_25segmented_radix_sort_implIS3_Lb0EPKhPhPKlPlN2at6native12_GLOBAL__N_18offset_tEEE10hipError_tPvRmT1_PNSt15iterator_traitsISK_E10value_typeET2_T3_PNSL_ISQ_E10value_typeET4_jRbjT5_SW_jjP12ihipStream_tbEUlT_E_NS1_11comp_targetILNS1_3genE3ELNS1_11target_archE908ELNS1_3gpuE7ELNS1_3repE0EEENS1_30default_config_static_selectorELNS0_4arch9wavefront6targetE0EEEvSK_.has_indirect_call, 0
	.section	.AMDGPU.csdata,"",@progbits
; Kernel info:
; codeLenInByte = 0
; TotalNumSgprs: 0
; NumVgprs: 0
; ScratchSize: 0
; MemoryBound: 0
; FloatMode: 240
; IeeeMode: 1
; LDSByteSize: 0 bytes/workgroup (compile time only)
; SGPRBlocks: 0
; VGPRBlocks: 0
; NumSGPRsForWavesPerEU: 1
; NumVGPRsForWavesPerEU: 1
; Occupancy: 16
; WaveLimiterHint : 0
; COMPUTE_PGM_RSRC2:SCRATCH_EN: 0
; COMPUTE_PGM_RSRC2:USER_SGPR: 2
; COMPUTE_PGM_RSRC2:TRAP_HANDLER: 0
; COMPUTE_PGM_RSRC2:TGID_X_EN: 1
; COMPUTE_PGM_RSRC2:TGID_Y_EN: 0
; COMPUTE_PGM_RSRC2:TGID_Z_EN: 0
; COMPUTE_PGM_RSRC2:TIDIG_COMP_CNT: 0
	.section	.text._ZN7rocprim17ROCPRIM_400000_NS6detail17trampoline_kernelINS0_14default_configENS1_36segmented_radix_sort_config_selectorIhlEEZNS1_25segmented_radix_sort_implIS3_Lb0EPKhPhPKlPlN2at6native12_GLOBAL__N_18offset_tEEE10hipError_tPvRmT1_PNSt15iterator_traitsISK_E10value_typeET2_T3_PNSL_ISQ_E10value_typeET4_jRbjT5_SW_jjP12ihipStream_tbEUlT_E_NS1_11comp_targetILNS1_3genE2ELNS1_11target_archE906ELNS1_3gpuE6ELNS1_3repE0EEENS1_30default_config_static_selectorELNS0_4arch9wavefront6targetE0EEEvSK_,"axG",@progbits,_ZN7rocprim17ROCPRIM_400000_NS6detail17trampoline_kernelINS0_14default_configENS1_36segmented_radix_sort_config_selectorIhlEEZNS1_25segmented_radix_sort_implIS3_Lb0EPKhPhPKlPlN2at6native12_GLOBAL__N_18offset_tEEE10hipError_tPvRmT1_PNSt15iterator_traitsISK_E10value_typeET2_T3_PNSL_ISQ_E10value_typeET4_jRbjT5_SW_jjP12ihipStream_tbEUlT_E_NS1_11comp_targetILNS1_3genE2ELNS1_11target_archE906ELNS1_3gpuE6ELNS1_3repE0EEENS1_30default_config_static_selectorELNS0_4arch9wavefront6targetE0EEEvSK_,comdat
	.globl	_ZN7rocprim17ROCPRIM_400000_NS6detail17trampoline_kernelINS0_14default_configENS1_36segmented_radix_sort_config_selectorIhlEEZNS1_25segmented_radix_sort_implIS3_Lb0EPKhPhPKlPlN2at6native12_GLOBAL__N_18offset_tEEE10hipError_tPvRmT1_PNSt15iterator_traitsISK_E10value_typeET2_T3_PNSL_ISQ_E10value_typeET4_jRbjT5_SW_jjP12ihipStream_tbEUlT_E_NS1_11comp_targetILNS1_3genE2ELNS1_11target_archE906ELNS1_3gpuE6ELNS1_3repE0EEENS1_30default_config_static_selectorELNS0_4arch9wavefront6targetE0EEEvSK_ ; -- Begin function _ZN7rocprim17ROCPRIM_400000_NS6detail17trampoline_kernelINS0_14default_configENS1_36segmented_radix_sort_config_selectorIhlEEZNS1_25segmented_radix_sort_implIS3_Lb0EPKhPhPKlPlN2at6native12_GLOBAL__N_18offset_tEEE10hipError_tPvRmT1_PNSt15iterator_traitsISK_E10value_typeET2_T3_PNSL_ISQ_E10value_typeET4_jRbjT5_SW_jjP12ihipStream_tbEUlT_E_NS1_11comp_targetILNS1_3genE2ELNS1_11target_archE906ELNS1_3gpuE6ELNS1_3repE0EEENS1_30default_config_static_selectorELNS0_4arch9wavefront6targetE0EEEvSK_
	.p2align	8
	.type	_ZN7rocprim17ROCPRIM_400000_NS6detail17trampoline_kernelINS0_14default_configENS1_36segmented_radix_sort_config_selectorIhlEEZNS1_25segmented_radix_sort_implIS3_Lb0EPKhPhPKlPlN2at6native12_GLOBAL__N_18offset_tEEE10hipError_tPvRmT1_PNSt15iterator_traitsISK_E10value_typeET2_T3_PNSL_ISQ_E10value_typeET4_jRbjT5_SW_jjP12ihipStream_tbEUlT_E_NS1_11comp_targetILNS1_3genE2ELNS1_11target_archE906ELNS1_3gpuE6ELNS1_3repE0EEENS1_30default_config_static_selectorELNS0_4arch9wavefront6targetE0EEEvSK_,@function
_ZN7rocprim17ROCPRIM_400000_NS6detail17trampoline_kernelINS0_14default_configENS1_36segmented_radix_sort_config_selectorIhlEEZNS1_25segmented_radix_sort_implIS3_Lb0EPKhPhPKlPlN2at6native12_GLOBAL__N_18offset_tEEE10hipError_tPvRmT1_PNSt15iterator_traitsISK_E10value_typeET2_T3_PNSL_ISQ_E10value_typeET4_jRbjT5_SW_jjP12ihipStream_tbEUlT_E_NS1_11comp_targetILNS1_3genE2ELNS1_11target_archE906ELNS1_3gpuE6ELNS1_3repE0EEENS1_30default_config_static_selectorELNS0_4arch9wavefront6targetE0EEEvSK_: ; @_ZN7rocprim17ROCPRIM_400000_NS6detail17trampoline_kernelINS0_14default_configENS1_36segmented_radix_sort_config_selectorIhlEEZNS1_25segmented_radix_sort_implIS3_Lb0EPKhPhPKlPlN2at6native12_GLOBAL__N_18offset_tEEE10hipError_tPvRmT1_PNSt15iterator_traitsISK_E10value_typeET2_T3_PNSL_ISQ_E10value_typeET4_jRbjT5_SW_jjP12ihipStream_tbEUlT_E_NS1_11comp_targetILNS1_3genE2ELNS1_11target_archE906ELNS1_3gpuE6ELNS1_3repE0EEENS1_30default_config_static_selectorELNS0_4arch9wavefront6targetE0EEEvSK_
; %bb.0:
	.section	.rodata,"a",@progbits
	.p2align	6, 0x0
	.amdhsa_kernel _ZN7rocprim17ROCPRIM_400000_NS6detail17trampoline_kernelINS0_14default_configENS1_36segmented_radix_sort_config_selectorIhlEEZNS1_25segmented_radix_sort_implIS3_Lb0EPKhPhPKlPlN2at6native12_GLOBAL__N_18offset_tEEE10hipError_tPvRmT1_PNSt15iterator_traitsISK_E10value_typeET2_T3_PNSL_ISQ_E10value_typeET4_jRbjT5_SW_jjP12ihipStream_tbEUlT_E_NS1_11comp_targetILNS1_3genE2ELNS1_11target_archE906ELNS1_3gpuE6ELNS1_3repE0EEENS1_30default_config_static_selectorELNS0_4arch9wavefront6targetE0EEEvSK_
		.amdhsa_group_segment_fixed_size 0
		.amdhsa_private_segment_fixed_size 0
		.amdhsa_kernarg_size 96
		.amdhsa_user_sgpr_count 2
		.amdhsa_user_sgpr_dispatch_ptr 0
		.amdhsa_user_sgpr_queue_ptr 0
		.amdhsa_user_sgpr_kernarg_segment_ptr 1
		.amdhsa_user_sgpr_dispatch_id 0
		.amdhsa_user_sgpr_private_segment_size 0
		.amdhsa_wavefront_size32 1
		.amdhsa_uses_dynamic_stack 0
		.amdhsa_enable_private_segment 0
		.amdhsa_system_sgpr_workgroup_id_x 1
		.amdhsa_system_sgpr_workgroup_id_y 0
		.amdhsa_system_sgpr_workgroup_id_z 0
		.amdhsa_system_sgpr_workgroup_info 0
		.amdhsa_system_vgpr_workitem_id 0
		.amdhsa_next_free_vgpr 1
		.amdhsa_next_free_sgpr 1
		.amdhsa_reserve_vcc 0
		.amdhsa_float_round_mode_32 0
		.amdhsa_float_round_mode_16_64 0
		.amdhsa_float_denorm_mode_32 3
		.amdhsa_float_denorm_mode_16_64 3
		.amdhsa_fp16_overflow 0
		.amdhsa_workgroup_processor_mode 1
		.amdhsa_memory_ordered 1
		.amdhsa_forward_progress 1
		.amdhsa_inst_pref_size 0
		.amdhsa_round_robin_scheduling 0
		.amdhsa_exception_fp_ieee_invalid_op 0
		.amdhsa_exception_fp_denorm_src 0
		.amdhsa_exception_fp_ieee_div_zero 0
		.amdhsa_exception_fp_ieee_overflow 0
		.amdhsa_exception_fp_ieee_underflow 0
		.amdhsa_exception_fp_ieee_inexact 0
		.amdhsa_exception_int_div_zero 0
	.end_amdhsa_kernel
	.section	.text._ZN7rocprim17ROCPRIM_400000_NS6detail17trampoline_kernelINS0_14default_configENS1_36segmented_radix_sort_config_selectorIhlEEZNS1_25segmented_radix_sort_implIS3_Lb0EPKhPhPKlPlN2at6native12_GLOBAL__N_18offset_tEEE10hipError_tPvRmT1_PNSt15iterator_traitsISK_E10value_typeET2_T3_PNSL_ISQ_E10value_typeET4_jRbjT5_SW_jjP12ihipStream_tbEUlT_E_NS1_11comp_targetILNS1_3genE2ELNS1_11target_archE906ELNS1_3gpuE6ELNS1_3repE0EEENS1_30default_config_static_selectorELNS0_4arch9wavefront6targetE0EEEvSK_,"axG",@progbits,_ZN7rocprim17ROCPRIM_400000_NS6detail17trampoline_kernelINS0_14default_configENS1_36segmented_radix_sort_config_selectorIhlEEZNS1_25segmented_radix_sort_implIS3_Lb0EPKhPhPKlPlN2at6native12_GLOBAL__N_18offset_tEEE10hipError_tPvRmT1_PNSt15iterator_traitsISK_E10value_typeET2_T3_PNSL_ISQ_E10value_typeET4_jRbjT5_SW_jjP12ihipStream_tbEUlT_E_NS1_11comp_targetILNS1_3genE2ELNS1_11target_archE906ELNS1_3gpuE6ELNS1_3repE0EEENS1_30default_config_static_selectorELNS0_4arch9wavefront6targetE0EEEvSK_,comdat
.Lfunc_end190:
	.size	_ZN7rocprim17ROCPRIM_400000_NS6detail17trampoline_kernelINS0_14default_configENS1_36segmented_radix_sort_config_selectorIhlEEZNS1_25segmented_radix_sort_implIS3_Lb0EPKhPhPKlPlN2at6native12_GLOBAL__N_18offset_tEEE10hipError_tPvRmT1_PNSt15iterator_traitsISK_E10value_typeET2_T3_PNSL_ISQ_E10value_typeET4_jRbjT5_SW_jjP12ihipStream_tbEUlT_E_NS1_11comp_targetILNS1_3genE2ELNS1_11target_archE906ELNS1_3gpuE6ELNS1_3repE0EEENS1_30default_config_static_selectorELNS0_4arch9wavefront6targetE0EEEvSK_, .Lfunc_end190-_ZN7rocprim17ROCPRIM_400000_NS6detail17trampoline_kernelINS0_14default_configENS1_36segmented_radix_sort_config_selectorIhlEEZNS1_25segmented_radix_sort_implIS3_Lb0EPKhPhPKlPlN2at6native12_GLOBAL__N_18offset_tEEE10hipError_tPvRmT1_PNSt15iterator_traitsISK_E10value_typeET2_T3_PNSL_ISQ_E10value_typeET4_jRbjT5_SW_jjP12ihipStream_tbEUlT_E_NS1_11comp_targetILNS1_3genE2ELNS1_11target_archE906ELNS1_3gpuE6ELNS1_3repE0EEENS1_30default_config_static_selectorELNS0_4arch9wavefront6targetE0EEEvSK_
                                        ; -- End function
	.set _ZN7rocprim17ROCPRIM_400000_NS6detail17trampoline_kernelINS0_14default_configENS1_36segmented_radix_sort_config_selectorIhlEEZNS1_25segmented_radix_sort_implIS3_Lb0EPKhPhPKlPlN2at6native12_GLOBAL__N_18offset_tEEE10hipError_tPvRmT1_PNSt15iterator_traitsISK_E10value_typeET2_T3_PNSL_ISQ_E10value_typeET4_jRbjT5_SW_jjP12ihipStream_tbEUlT_E_NS1_11comp_targetILNS1_3genE2ELNS1_11target_archE906ELNS1_3gpuE6ELNS1_3repE0EEENS1_30default_config_static_selectorELNS0_4arch9wavefront6targetE0EEEvSK_.num_vgpr, 0
	.set _ZN7rocprim17ROCPRIM_400000_NS6detail17trampoline_kernelINS0_14default_configENS1_36segmented_radix_sort_config_selectorIhlEEZNS1_25segmented_radix_sort_implIS3_Lb0EPKhPhPKlPlN2at6native12_GLOBAL__N_18offset_tEEE10hipError_tPvRmT1_PNSt15iterator_traitsISK_E10value_typeET2_T3_PNSL_ISQ_E10value_typeET4_jRbjT5_SW_jjP12ihipStream_tbEUlT_E_NS1_11comp_targetILNS1_3genE2ELNS1_11target_archE906ELNS1_3gpuE6ELNS1_3repE0EEENS1_30default_config_static_selectorELNS0_4arch9wavefront6targetE0EEEvSK_.num_agpr, 0
	.set _ZN7rocprim17ROCPRIM_400000_NS6detail17trampoline_kernelINS0_14default_configENS1_36segmented_radix_sort_config_selectorIhlEEZNS1_25segmented_radix_sort_implIS3_Lb0EPKhPhPKlPlN2at6native12_GLOBAL__N_18offset_tEEE10hipError_tPvRmT1_PNSt15iterator_traitsISK_E10value_typeET2_T3_PNSL_ISQ_E10value_typeET4_jRbjT5_SW_jjP12ihipStream_tbEUlT_E_NS1_11comp_targetILNS1_3genE2ELNS1_11target_archE906ELNS1_3gpuE6ELNS1_3repE0EEENS1_30default_config_static_selectorELNS0_4arch9wavefront6targetE0EEEvSK_.numbered_sgpr, 0
	.set _ZN7rocprim17ROCPRIM_400000_NS6detail17trampoline_kernelINS0_14default_configENS1_36segmented_radix_sort_config_selectorIhlEEZNS1_25segmented_radix_sort_implIS3_Lb0EPKhPhPKlPlN2at6native12_GLOBAL__N_18offset_tEEE10hipError_tPvRmT1_PNSt15iterator_traitsISK_E10value_typeET2_T3_PNSL_ISQ_E10value_typeET4_jRbjT5_SW_jjP12ihipStream_tbEUlT_E_NS1_11comp_targetILNS1_3genE2ELNS1_11target_archE906ELNS1_3gpuE6ELNS1_3repE0EEENS1_30default_config_static_selectorELNS0_4arch9wavefront6targetE0EEEvSK_.num_named_barrier, 0
	.set _ZN7rocprim17ROCPRIM_400000_NS6detail17trampoline_kernelINS0_14default_configENS1_36segmented_radix_sort_config_selectorIhlEEZNS1_25segmented_radix_sort_implIS3_Lb0EPKhPhPKlPlN2at6native12_GLOBAL__N_18offset_tEEE10hipError_tPvRmT1_PNSt15iterator_traitsISK_E10value_typeET2_T3_PNSL_ISQ_E10value_typeET4_jRbjT5_SW_jjP12ihipStream_tbEUlT_E_NS1_11comp_targetILNS1_3genE2ELNS1_11target_archE906ELNS1_3gpuE6ELNS1_3repE0EEENS1_30default_config_static_selectorELNS0_4arch9wavefront6targetE0EEEvSK_.private_seg_size, 0
	.set _ZN7rocprim17ROCPRIM_400000_NS6detail17trampoline_kernelINS0_14default_configENS1_36segmented_radix_sort_config_selectorIhlEEZNS1_25segmented_radix_sort_implIS3_Lb0EPKhPhPKlPlN2at6native12_GLOBAL__N_18offset_tEEE10hipError_tPvRmT1_PNSt15iterator_traitsISK_E10value_typeET2_T3_PNSL_ISQ_E10value_typeET4_jRbjT5_SW_jjP12ihipStream_tbEUlT_E_NS1_11comp_targetILNS1_3genE2ELNS1_11target_archE906ELNS1_3gpuE6ELNS1_3repE0EEENS1_30default_config_static_selectorELNS0_4arch9wavefront6targetE0EEEvSK_.uses_vcc, 0
	.set _ZN7rocprim17ROCPRIM_400000_NS6detail17trampoline_kernelINS0_14default_configENS1_36segmented_radix_sort_config_selectorIhlEEZNS1_25segmented_radix_sort_implIS3_Lb0EPKhPhPKlPlN2at6native12_GLOBAL__N_18offset_tEEE10hipError_tPvRmT1_PNSt15iterator_traitsISK_E10value_typeET2_T3_PNSL_ISQ_E10value_typeET4_jRbjT5_SW_jjP12ihipStream_tbEUlT_E_NS1_11comp_targetILNS1_3genE2ELNS1_11target_archE906ELNS1_3gpuE6ELNS1_3repE0EEENS1_30default_config_static_selectorELNS0_4arch9wavefront6targetE0EEEvSK_.uses_flat_scratch, 0
	.set _ZN7rocprim17ROCPRIM_400000_NS6detail17trampoline_kernelINS0_14default_configENS1_36segmented_radix_sort_config_selectorIhlEEZNS1_25segmented_radix_sort_implIS3_Lb0EPKhPhPKlPlN2at6native12_GLOBAL__N_18offset_tEEE10hipError_tPvRmT1_PNSt15iterator_traitsISK_E10value_typeET2_T3_PNSL_ISQ_E10value_typeET4_jRbjT5_SW_jjP12ihipStream_tbEUlT_E_NS1_11comp_targetILNS1_3genE2ELNS1_11target_archE906ELNS1_3gpuE6ELNS1_3repE0EEENS1_30default_config_static_selectorELNS0_4arch9wavefront6targetE0EEEvSK_.has_dyn_sized_stack, 0
	.set _ZN7rocprim17ROCPRIM_400000_NS6detail17trampoline_kernelINS0_14default_configENS1_36segmented_radix_sort_config_selectorIhlEEZNS1_25segmented_radix_sort_implIS3_Lb0EPKhPhPKlPlN2at6native12_GLOBAL__N_18offset_tEEE10hipError_tPvRmT1_PNSt15iterator_traitsISK_E10value_typeET2_T3_PNSL_ISQ_E10value_typeET4_jRbjT5_SW_jjP12ihipStream_tbEUlT_E_NS1_11comp_targetILNS1_3genE2ELNS1_11target_archE906ELNS1_3gpuE6ELNS1_3repE0EEENS1_30default_config_static_selectorELNS0_4arch9wavefront6targetE0EEEvSK_.has_recursion, 0
	.set _ZN7rocprim17ROCPRIM_400000_NS6detail17trampoline_kernelINS0_14default_configENS1_36segmented_radix_sort_config_selectorIhlEEZNS1_25segmented_radix_sort_implIS3_Lb0EPKhPhPKlPlN2at6native12_GLOBAL__N_18offset_tEEE10hipError_tPvRmT1_PNSt15iterator_traitsISK_E10value_typeET2_T3_PNSL_ISQ_E10value_typeET4_jRbjT5_SW_jjP12ihipStream_tbEUlT_E_NS1_11comp_targetILNS1_3genE2ELNS1_11target_archE906ELNS1_3gpuE6ELNS1_3repE0EEENS1_30default_config_static_selectorELNS0_4arch9wavefront6targetE0EEEvSK_.has_indirect_call, 0
	.section	.AMDGPU.csdata,"",@progbits
; Kernel info:
; codeLenInByte = 0
; TotalNumSgprs: 0
; NumVgprs: 0
; ScratchSize: 0
; MemoryBound: 0
; FloatMode: 240
; IeeeMode: 1
; LDSByteSize: 0 bytes/workgroup (compile time only)
; SGPRBlocks: 0
; VGPRBlocks: 0
; NumSGPRsForWavesPerEU: 1
; NumVGPRsForWavesPerEU: 1
; Occupancy: 16
; WaveLimiterHint : 0
; COMPUTE_PGM_RSRC2:SCRATCH_EN: 0
; COMPUTE_PGM_RSRC2:USER_SGPR: 2
; COMPUTE_PGM_RSRC2:TRAP_HANDLER: 0
; COMPUTE_PGM_RSRC2:TGID_X_EN: 1
; COMPUTE_PGM_RSRC2:TGID_Y_EN: 0
; COMPUTE_PGM_RSRC2:TGID_Z_EN: 0
; COMPUTE_PGM_RSRC2:TIDIG_COMP_CNT: 0
	.text
	.p2align	2                               ; -- Begin function _ZN7rocprim17ROCPRIM_400000_NS6detail40segmented_radix_sort_single_block_helperIhlLj256ELj8ELb0EE4sortIPKhPhPKlPlEEbT_T0_T1_T2_jjjjRNS3_12storage_typeE
	.type	_ZN7rocprim17ROCPRIM_400000_NS6detail40segmented_radix_sort_single_block_helperIhlLj256ELj8ELb0EE4sortIPKhPhPKlPlEEbT_T0_T1_T2_jjjjRNS3_12storage_typeE,@function
_ZN7rocprim17ROCPRIM_400000_NS6detail40segmented_radix_sort_single_block_helperIhlLj256ELj8ELb0EE4sortIPKhPhPKlPlEEbT_T0_T1_T2_jjjjRNS3_12storage_typeE: ; @_ZN7rocprim17ROCPRIM_400000_NS6detail40segmented_radix_sort_single_block_helperIhlLj256ELj8ELb0EE4sortIPKhPhPKlPlEEbT_T0_T1_T2_jjjjRNS3_12storage_typeE
; %bb.0:
	s_wait_loadcnt_dscnt 0x0
	s_wait_expcnt 0x0
	s_wait_samplecnt 0x0
	s_wait_bvhcnt 0x0
	s_wait_kmcnt 0x0
	v_sub_nc_u32_e32 v86, v9, v8
	s_mov_b32 s16, exec_lo
	s_delay_alu instid0(VALU_DEP_1)
	v_cmpx_gt_u32_e32 0x801, v86
	s_cbranch_execz .LBB191_199
; %bb.1:
	v_bfe_u32 v9, v31, 10, 10
	v_bfe_u32 v15, v31, 20, 10
	v_and_b32_e32 v14, 0x3ff, v31
	v_mbcnt_lo_u32_b32 v54, -1, 0
	s_mov_b32 s0, exec_lo
	v_cmpx_lt_u32_e32 0x400, v86
	s_wait_alu 0xfffe
	s_xor_b32 s17, exec_lo, s0
	s_cbranch_execz .LBB191_79
; %bb.2:
	s_load_b64 s[0:1], s[8:9], 0x0
	s_and_b32 s2, ttmp7, 0xffff
	s_mov_b32 s3, 0
	v_add_co_u32 v0, vcc_lo, v0, v8
	s_wait_alu 0xfffd
	v_add_co_ci_u32_e64 v1, null, 0, v1, vcc_lo
	v_dual_mov_b32 v87, 0xff :: v_dual_mov_b32 v100, 0xff
	s_delay_alu instid0(VALU_DEP_3) | instskip(SKIP_1) | instid1(VALU_DEP_3)
	v_add_co_u32 v0, vcc_lo, v0, v54
	s_wait_alu 0xfffd
	v_add_co_ci_u32_e64 v1, null, 0, v1, vcc_lo
	v_dual_mov_b32 v97, 0xff :: v_dual_mov_b32 v98, 0xff
	v_dual_mov_b32 v99, 0xff :: v_dual_mov_b32 v102, 0xff
	v_dual_mov_b32 v101, 0xff :: v_dual_mov_b32 v96, 0xff
	s_wait_kmcnt 0x0
	s_wait_alu 0xfffe
	s_cmp_lt_u32 s2, s1
	s_cselect_b32 s2, 14, 20
	s_cmp_lt_u32 ttmp9, s0
	s_wait_alu 0xfffe
	s_add_nc_u64 s[4:5], s[8:9], s[2:3]
	s_cselect_b32 s2, 12, 18
	s_load_u16 s4, s[4:5], 0x0
	s_add_nc_u64 s[0:1], s[8:9], s[2:3]
	s_load_u16 s0, s[0:1], 0x0
	s_wait_kmcnt 0x0
	v_mad_u32_u24 v15, v15, s4, v9
	v_mov_b32_e32 v9, 0
	s_delay_alu instid0(VALU_DEP_2) | instskip(NEXT) | instid1(VALU_DEP_1)
	v_mad_co_u64_u32 v[25:26], null, v15, s0, v[14:15]
	v_dual_mov_b32 v16, v9 :: v_dual_lshlrev_b32 v15, 3, v25
	s_delay_alu instid0(VALU_DEP_1) | instskip(NEXT) | instid1(VALU_DEP_1)
	v_and_b32_e32 v15, 0xffffff00, v15
	v_or_b32_e32 v17, v15, v54
	v_add_co_u32 v0, vcc_lo, v0, v15
	s_wait_alu 0xfffd
	v_add_co_ci_u32_e64 v1, null, 0, v1, vcc_lo
	s_delay_alu instid0(VALU_DEP_3)
	v_cmp_lt_u32_e32 vcc_lo, v17, v86
	s_and_saveexec_b32 s0, vcc_lo
	s_cbranch_execz .LBB191_4
; %bb.3:
	flat_load_u8 v96, v[0:1]
	v_dual_mov_b32 v87, 0xff :: v_dual_mov_b32 v100, 0xff
	v_dual_mov_b32 v97, 0xff :: v_dual_mov_b32 v98, 0xff
	;; [unrolled: 1-line block ×3, first 2 shown]
	v_mov_b32_e32 v101, 0xff
.LBB191_4:
	s_wait_alu 0xfffe
	s_or_b32 exec_lo, exec_lo, s0
	v_or_b32_e32 v18, 32, v17
	s_delay_alu instid0(VALU_DEP_1)
	v_cmp_lt_u32_e64 s0, v18, v86
	s_and_saveexec_b32 s1, s0
	s_cbranch_execz .LBB191_6
; %bb.5:
	flat_load_u8 v97, v[0:1] offset:32
.LBB191_6:
	s_wait_alu 0xfffe
	s_or_b32 exec_lo, exec_lo, s1
	v_or_b32_e32 v18, 64, v17
	s_delay_alu instid0(VALU_DEP_1)
	v_cmp_lt_u32_e64 s1, v18, v86
	s_and_saveexec_b32 s2, s1
	s_cbranch_execz .LBB191_8
; %bb.7:
	flat_load_u8 v99, v[0:1] offset:64
.LBB191_8:
	;; [unrolled: 10-line block ×7, first 2 shown]
	s_wait_alu 0xfffe
	s_or_b32 exec_lo, exec_lo, s7
	v_lshlrev_b64_e32 v[0:1], 3, v[8:9]
	v_lshlrev_b32_e32 v9, 3, v54
                                        ; implicit-def: $vgpr30_vgpr31
	s_delay_alu instid0(VALU_DEP_2) | instskip(SKIP_1) | instid1(VALU_DEP_3)
	v_add_co_u32 v17, s7, v4, v0
	s_wait_alu 0xf1ff
	v_add_co_ci_u32_e64 v18, null, v5, v1, s7
	v_lshlrev_b64_e32 v[4:5], 3, v[15:16]
	s_delay_alu instid0(VALU_DEP_3) | instskip(SKIP_1) | instid1(VALU_DEP_3)
	v_add_co_u32 v9, s7, v17, v9
	s_wait_alu 0xf1ff
	v_add_co_ci_u32_e64 v15, null, 0, v18, s7
	s_delay_alu instid0(VALU_DEP_2) | instskip(SKIP_1) | instid1(VALU_DEP_2)
	v_add_co_u32 v4, s7, v9, v4
	s_wait_alu 0xf1ff
	v_add_co_ci_u32_e64 v5, null, v15, v5, s7
	s_and_saveexec_b32 s7, vcc_lo
	s_cbranch_execnz .LBB191_112
; %bb.19:
	s_wait_alu 0xfffe
	s_or_b32 exec_lo, exec_lo, s7
                                        ; implicit-def: $vgpr34_vgpr35
	s_and_saveexec_b32 s7, s0
	s_cbranch_execnz .LBB191_113
.LBB191_20:
	s_wait_alu 0xfffe
	s_or_b32 exec_lo, exec_lo, s7
                                        ; implicit-def: $vgpr36_vgpr37
	s_and_saveexec_b32 s0, s1
	s_cbranch_execnz .LBB191_114
.LBB191_21:
	s_wait_alu 0xfffe
	s_or_b32 exec_lo, exec_lo, s0
                                        ; implicit-def: $vgpr38_vgpr39
	s_and_saveexec_b32 s0, s2
	s_cbranch_execnz .LBB191_115
.LBB191_22:
	s_wait_alu 0xfffe
	s_or_b32 exec_lo, exec_lo, s0
                                        ; implicit-def: $vgpr48_vgpr49
	s_and_saveexec_b32 s0, s3
	s_cbranch_execnz .LBB191_116
.LBB191_23:
	s_wait_alu 0xfffe
	s_or_b32 exec_lo, exec_lo, s0
                                        ; implicit-def: $vgpr50_vgpr51
	s_and_saveexec_b32 s0, s4
	s_cbranch_execnz .LBB191_117
.LBB191_24:
	s_wait_alu 0xfffe
	s_or_b32 exec_lo, exec_lo, s0
                                        ; implicit-def: $vgpr52_vgpr53
	s_and_saveexec_b32 s0, s5
	s_cbranch_execnz .LBB191_118
.LBB191_25:
	s_wait_alu 0xfffe
	s_or_b32 exec_lo, exec_lo, s0
                                        ; implicit-def: $vgpr32_vgpr33
	s_and_saveexec_b32 s0, s6
	s_cbranch_execz .LBB191_27
.LBB191_26:
	flat_load_b64 v[32:33], v[4:5] offset:1792
.LBB191_27:
	s_wait_alu 0xfffe
	s_or_b32 exec_lo, exec_lo, s0
	v_lshl_add_u32 v4, v14, 5, v12
	v_and_b32_e32 v15, 15, v54
	v_sub_co_u32 v17, s2, v54, 1
	s_getpc_b64 s[0:1]
	s_wait_alu 0xfffe
	s_sext_i32_i16 s1, s1
	s_add_co_u32 s0, s0, _ZN7rocprim17ROCPRIM_400000_NS16block_radix_sortIhLj256ELj8ElLj1ELj1ELj8ELNS0_26block_radix_rank_algorithmE2ELNS0_18block_padding_hintE2ELNS0_4arch9wavefront6targetE0EE19radix_bits_per_passE@rel32@lo+12
	s_wait_alu 0xfffe
	s_add_co_ci_u32 s1, s1, _ZN7rocprim17ROCPRIM_400000_NS16block_radix_sortIhLj256ELj8ElLj1ELj1ELj8ELNS0_26block_radix_rank_algorithmE2ELNS0_18block_padding_hintE2ELNS0_4arch9wavefront6targetE0EE19radix_bits_per_passE@rel32@hi+24
	v_add_nc_u32_e32 v9, 32, v4
	v_add_nc_u32_e32 v103, 36, v4
	v_dual_mov_b32 v129, 0 :: v_dual_add_nc_u32 v112, 40, v4
	v_add_nc_u32_e32 v113, 44, v4
	v_add_nc_u32_e32 v114, 48, v4
	;; [unrolled: 1-line block ×5, first 2 shown]
	v_and_b32_e32 v4, 0x3e0, v14
	v_lshlrev_b32_e32 v5, 3, v14
	s_load_b32 s18, s[0:1], 0x0
	v_cmp_eq_u32_e32 vcc_lo, 0, v15
	v_cmp_lt_u32_e64 s0, 1, v15
	v_min_u32_e32 v4, 0xe0, v4
	v_cmp_lt_u32_e64 s1, 3, v15
	v_and_b32_e32 v16, 16, v54
	v_cmp_lt_u32_e64 s3, 7, v15
	v_lshrrev_b32_e32 v15, 3, v14
	v_or_b32_e32 v4, 31, v4
	v_cmp_gt_i32_e64 s5, 0, v17
	v_cmp_eq_u32_e64 s4, 0, v16
	v_and_or_b32 v5, 0x1f00, v5, v54
	v_lshrrev_b32_e32 v118, 5, v25
	v_cmp_gt_u32_e64 s6, 8, v14
	s_wait_alu 0xf1ff
	v_cndmask_b32_e64 v16, v17, v54, s5
	v_cmp_eq_u32_e64 s5, v14, v4
	v_and_b32_e32 v4, 0x7c, v15
	v_add_nc_u32_e32 v131, v12, v5
	v_and_b32_e32 v15, 7, v54
	v_cmp_lt_u32_e64 s7, 31, v14
	v_lshlrev_b32_e32 v119, 2, v16
	v_add_nc_u32_e32 v128, v12, v4
	v_mul_u32_u24_e32 v4, 7, v5
	v_cmp_eq_u32_e64 s10, 0, v14
	v_lshl_add_u32 v130, v14, 2, v12
	v_cmp_eq_u32_e64 s11, 0, v15
	v_cmp_lt_u32_e64 s12, 1, v15
	v_add_nc_u32_e32 v144, v131, v4
	v_cmp_lt_u32_e64 s13, 3, v15
	v_add_nc_u32_e32 v132, -4, v128
	v_add_nc_u32_e32 v133, 32, v131
	v_add_nc_u32_e32 v134, 64, v131
	;; [unrolled: 1-line block ×14, first 2 shown]
	v_sub_nc_u32_e32 v164, v11, v10
	s_mov_b32 s19, 0
	s_wait_storecnt 0x0
	s_wait_loadcnt_dscnt 0x0
	s_barrier_signal -1
	s_barrier_wait -1
	global_inv scope:SCOPE_SE
	s_branch .LBB191_29
.LBB191_28:                             ;   in Loop: Header=BB191_29 Depth=1
	s_wait_alu 0xfffe
	s_or_b32 exec_lo, exec_lo, s15
	s_delay_alu instid0(SALU_CYCLE_1)
	s_and_b32 s14, exec_lo, s20
	s_wait_alu 0xfffe
	s_or_b32 s19, s14, s19
	s_wait_alu 0xfffe
	s_and_not1_b32 exec_lo, exec_lo, s19
	s_cbranch_execz .LBB191_53
.LBB191_29:                             ; =>This Inner Loop Header: Depth=1
	s_wait_kmcnt 0x0
	v_min_u32_e32 v4, s18, v164
	v_dual_mov_b32 v26, v30 :: v_dual_and_b32 v5, 0xff, v96
	v_mov_b32_e32 v27, v31
	v_mov_b32_e32 v21, v34
	s_delay_alu instid0(VALU_DEP_4) | instskip(NEXT) | instid1(VALU_DEP_4)
	v_lshlrev_b32_e64 v4, v4, -1
	v_lshrrev_b32_e32 v5, v10, v5
	v_dual_mov_b32 v22, v35 :: v_dual_mov_b32 v23, v38
	v_mov_b32_e32 v24, v39
	s_delay_alu instid0(VALU_DEP_4) | instskip(SKIP_2) | instid1(VALU_DEP_3)
	v_not_b32_e32 v54, v4
	v_dual_mov_b32 v19, v36 :: v_dual_mov_b32 v20, v37
	v_dual_mov_b32 v17, v48 :: v_dual_mov_b32 v18, v49
	v_dual_mov_b32 v15, v50 :: v_dual_and_b32 v30, v5, v54
	v_mov_b32_e32 v16, v51
	v_dual_mov_b32 v4, v52 :: v_dual_mov_b32 v5, v53
	s_delay_alu instid0(VALU_DEP_3)
	v_and_b32_e32 v28, 1, v30
	v_lshlrev_b32_e32 v29, 30, v30
	v_lshlrev_b32_e32 v31, 29, v30
	;; [unrolled: 1-line block ×4, first 2 shown]
	v_add_co_u32 v28, s14, v28, -1
	s_wait_alu 0xf1ff
	v_cndmask_b32_e64 v35, 0, 1, s14
	v_not_b32_e32 v39, v29
	v_cmp_gt_i32_e64 s15, 0, v29
	v_not_b32_e32 v29, v31
	v_lshlrev_b32_e32 v37, 26, v30
	v_cmp_ne_u32_e64 s14, 0, v35
	v_ashrrev_i32_e32 v39, 31, v39
	v_lshlrev_b32_e32 v38, 25, v30
	v_ashrrev_i32_e32 v29, 31, v29
	v_lshlrev_b32_e32 v35, 24, v30
	s_wait_alu 0xf1ff
	v_xor_b32_e32 v28, s14, v28
	v_cmp_gt_i32_e64 s14, 0, v31
	v_not_b32_e32 v31, v34
	v_xor_b32_e32 v39, s15, v39
	v_cmp_gt_i32_e64 s15, 0, v34
	v_and_b32_e32 v28, exec_lo, v28
	v_not_b32_e32 v34, v36
	v_ashrrev_i32_e32 v31, 31, v31
	s_wait_alu 0xf1ff
	v_xor_b32_e32 v29, s14, v29
	v_cmp_gt_i32_e64 s14, 0, v36
	v_and_b32_e32 v28, v28, v39
	v_not_b32_e32 v36, v37
	v_ashrrev_i32_e32 v34, 31, v34
	v_xor_b32_e32 v31, s15, v31
	v_cmp_gt_i32_e64 s15, 0, v37
	v_and_b32_e32 v28, v28, v29
	v_not_b32_e32 v29, v38
	v_ashrrev_i32_e32 v36, 31, v36
	s_wait_alu 0xf1ff
	v_xor_b32_e32 v34, s14, v34
	v_cmp_gt_i32_e64 s14, 0, v38
	v_and_b32_e32 v28, v28, v31
	v_not_b32_e32 v31, v35
	v_ashrrev_i32_e32 v37, 31, v29
	v_xor_b32_e32 v36, s15, v36
	v_cmp_gt_i32_e64 s15, 0, v35
	v_and_b32_e32 v34, v28, v34
	v_dual_mov_b32 v28, v32 :: v_dual_mov_b32 v29, v33
	v_ashrrev_i32_e32 v31, 31, v31
	s_wait_alu 0xf1ff
	v_xor_b32_e32 v32, s14, v37
	v_and_b32_e32 v33, v34, v36
	v_lshlrev_b32_e32 v30, 3, v30
	ds_store_b32 v9, v129
	ds_store_b32 v103, v129
	;; [unrolled: 1-line block ×3, first 2 shown]
	v_xor_b32_e32 v31, s15, v31
	ds_store_b32 v113, v129
	ds_store_b32 v114, v129
	v_and_b32_e32 v32, v33, v32
	ds_store_b32 v115, v129
	ds_store_b32 v116, v129
	;; [unrolled: 1-line block ×3, first 2 shown]
	s_wait_loadcnt_dscnt 0x0
	s_barrier_signal -1
	v_and_b32_e32 v32, v32, v31
	v_add_lshl_u32 v31, v30, v118, 2
	s_barrier_wait -1
	global_inv scope:SCOPE_SE
	v_mbcnt_lo_u32_b32 v30, v32, 0
	v_add_co_u32 v31, null, v12, v31
	v_cmp_ne_u32_e64 s15, 0, v32
	; wave barrier
	s_delay_alu instid0(VALU_DEP_3) | instskip(NEXT) | instid1(VALU_DEP_3)
	v_cmp_eq_u32_e64 s14, 0, v30
	v_add_co_u32 v31, null, v31, 32
	s_and_b32 s15, s15, s14
	s_wait_alu 0xfffe
	s_and_saveexec_b32 s14, s15
; %bb.30:                               ;   in Loop: Header=BB191_29 Depth=1
	v_bcnt_u32_b32 v32, v32, 0
	ds_store_b32 v31, v32
; %bb.31:                               ;   in Loop: Header=BB191_29 Depth=1
	s_wait_alu 0xfffe
	s_or_b32 exec_lo, exec_lo, s14
	v_and_b32_e32 v32, 0xff, v97
	; wave barrier
	s_delay_alu instid0(VALU_DEP_1) | instskip(NEXT) | instid1(VALU_DEP_1)
	v_lshrrev_b32_e32 v32, v10, v32
	v_and_b32_e32 v32, v32, v54
	s_delay_alu instid0(VALU_DEP_1)
	v_and_b32_e32 v33, 1, v32
	v_lshlrev_b32_e32 v34, 30, v32
	v_lshlrev_b32_e32 v35, 29, v32
	;; [unrolled: 1-line block ×4, first 2 shown]
	v_add_co_u32 v33, s14, v33, -1
	s_wait_alu 0xf1ff
	v_cndmask_b32_e64 v37, 0, 1, s14
	v_not_b32_e32 v49, v34
	v_cmp_gt_i32_e64 s15, 0, v34
	v_not_b32_e32 v34, v35
	v_lshlrev_b32_e32 v39, 26, v32
	v_cmp_ne_u32_e64 s14, 0, v37
	v_ashrrev_i32_e32 v49, 31, v49
	v_lshlrev_b32_e32 v48, 25, v32
	v_ashrrev_i32_e32 v34, 31, v34
	v_lshlrev_b32_e32 v37, 24, v32
	s_wait_alu 0xf1ff
	v_xor_b32_e32 v33, s14, v33
	v_cmp_gt_i32_e64 s14, 0, v35
	v_not_b32_e32 v35, v36
	v_xor_b32_e32 v49, s15, v49
	v_cmp_gt_i32_e64 s15, 0, v36
	v_and_b32_e32 v33, exec_lo, v33
	v_not_b32_e32 v36, v38
	v_ashrrev_i32_e32 v35, 31, v35
	s_wait_alu 0xf1ff
	v_xor_b32_e32 v34, s14, v34
	v_cmp_gt_i32_e64 s14, 0, v38
	v_and_b32_e32 v33, v33, v49
	v_not_b32_e32 v38, v39
	v_ashrrev_i32_e32 v36, 31, v36
	v_xor_b32_e32 v35, s15, v35
	v_cmp_gt_i32_e64 s15, 0, v39
	v_and_b32_e32 v33, v33, v34
	v_not_b32_e32 v34, v48
	v_ashrrev_i32_e32 v38, 31, v38
	s_wait_alu 0xf1ff
	v_xor_b32_e32 v36, s14, v36
	v_cmp_gt_i32_e64 s14, 0, v48
	v_and_b32_e32 v33, v33, v35
	v_not_b32_e32 v35, v37
	v_ashrrev_i32_e32 v34, 31, v34
	v_xor_b32_e32 v38, s15, v38
	v_lshl_add_u32 v32, v32, 3, v118
	v_and_b32_e32 v33, v33, v36
	v_cmp_gt_i32_e64 s15, 0, v37
	v_ashrrev_i32_e32 v35, 31, v35
	s_wait_alu 0xf1ff
	v_xor_b32_e32 v34, s14, v34
	v_lshl_add_u32 v36, v32, 2, v12
	v_and_b32_e32 v33, v33, v38
	v_xor_b32_e32 v35, s15, v35
	ds_load_b32 v32, v36 offset:32
	v_and_b32_e32 v33, v33, v34
	v_add_nc_u32_e32 v34, 32, v36
	; wave barrier
	s_delay_alu instid0(VALU_DEP_2) | instskip(NEXT) | instid1(VALU_DEP_1)
	v_and_b32_e32 v35, v33, v35
	v_mbcnt_lo_u32_b32 v33, v35, 0
	v_cmp_ne_u32_e64 s15, 0, v35
	s_delay_alu instid0(VALU_DEP_2)
	v_cmp_eq_u32_e64 s14, 0, v33
	s_and_b32 s15, s15, s14
	s_wait_alu 0xfffe
	s_and_saveexec_b32 s14, s15
	s_cbranch_execz .LBB191_33
; %bb.32:                               ;   in Loop: Header=BB191_29 Depth=1
	s_wait_dscnt 0x0
	v_bcnt_u32_b32 v35, v35, v32
	ds_store_b32 v34, v35
.LBB191_33:                             ;   in Loop: Header=BB191_29 Depth=1
	s_wait_alu 0xfffe
	s_or_b32 exec_lo, exec_lo, s14
	v_and_b32_e32 v35, 0xff, v99
	; wave barrier
	s_delay_alu instid0(VALU_DEP_1) | instskip(NEXT) | instid1(VALU_DEP_1)
	v_lshrrev_b32_e32 v35, v10, v35
	v_and_b32_e32 v35, v35, v54
	s_delay_alu instid0(VALU_DEP_1)
	v_and_b32_e32 v36, 1, v35
	v_lshlrev_b32_e32 v37, 30, v35
	v_lshlrev_b32_e32 v38, 29, v35
	;; [unrolled: 1-line block ×4, first 2 shown]
	v_add_co_u32 v36, s14, v36, -1
	s_wait_alu 0xf1ff
	v_cndmask_b32_e64 v48, 0, 1, s14
	v_not_b32_e32 v52, v37
	v_cmp_gt_i32_e64 s15, 0, v37
	v_not_b32_e32 v37, v38
	v_lshlrev_b32_e32 v50, 26, v35
	v_cmp_ne_u32_e64 s14, 0, v48
	v_ashrrev_i32_e32 v52, 31, v52
	v_lshlrev_b32_e32 v51, 25, v35
	v_ashrrev_i32_e32 v37, 31, v37
	v_lshlrev_b32_e32 v48, 24, v35
	s_wait_alu 0xf1ff
	v_xor_b32_e32 v36, s14, v36
	v_cmp_gt_i32_e64 s14, 0, v38
	v_not_b32_e32 v38, v39
	v_xor_b32_e32 v52, s15, v52
	v_cmp_gt_i32_e64 s15, 0, v39
	v_and_b32_e32 v36, exec_lo, v36
	v_not_b32_e32 v39, v49
	v_ashrrev_i32_e32 v38, 31, v38
	s_wait_alu 0xf1ff
	v_xor_b32_e32 v37, s14, v37
	v_cmp_gt_i32_e64 s14, 0, v49
	v_and_b32_e32 v36, v36, v52
	v_not_b32_e32 v49, v50
	v_ashrrev_i32_e32 v39, 31, v39
	v_xor_b32_e32 v38, s15, v38
	v_cmp_gt_i32_e64 s15, 0, v50
	v_and_b32_e32 v36, v36, v37
	v_not_b32_e32 v37, v51
	v_ashrrev_i32_e32 v49, 31, v49
	s_wait_alu 0xf1ff
	v_xor_b32_e32 v39, s14, v39
	v_cmp_gt_i32_e64 s14, 0, v51
	v_and_b32_e32 v36, v36, v38
	v_not_b32_e32 v38, v48
	v_ashrrev_i32_e32 v37, 31, v37
	v_xor_b32_e32 v49, s15, v49
	v_lshl_add_u32 v35, v35, 3, v118
	v_and_b32_e32 v36, v36, v39
	v_cmp_gt_i32_e64 s15, 0, v48
	v_ashrrev_i32_e32 v38, 31, v38
	s_wait_alu 0xf1ff
	v_xor_b32_e32 v37, s14, v37
	v_lshl_add_u32 v39, v35, 2, v12
	v_and_b32_e32 v36, v36, v49
	v_xor_b32_e32 v38, s15, v38
	ds_load_b32 v35, v39 offset:32
	v_and_b32_e32 v36, v36, v37
	v_add_nc_u32_e32 v37, 32, v39
	; wave barrier
	s_delay_alu instid0(VALU_DEP_2) | instskip(NEXT) | instid1(VALU_DEP_1)
	v_and_b32_e32 v38, v36, v38
	v_mbcnt_lo_u32_b32 v36, v38, 0
	v_cmp_ne_u32_e64 s15, 0, v38
	s_delay_alu instid0(VALU_DEP_2)
	v_cmp_eq_u32_e64 s14, 0, v36
	s_and_b32 s15, s15, s14
	s_wait_alu 0xfffe
	s_and_saveexec_b32 s14, s15
	s_cbranch_execz .LBB191_35
; %bb.34:                               ;   in Loop: Header=BB191_29 Depth=1
	s_wait_dscnt 0x0
	v_bcnt_u32_b32 v38, v38, v35
	ds_store_b32 v37, v38
.LBB191_35:                             ;   in Loop: Header=BB191_29 Depth=1
	s_wait_alu 0xfffe
	s_or_b32 exec_lo, exec_lo, s14
	v_and_b32_e32 v38, 0xff, v100
	; wave barrier
	s_delay_alu instid0(VALU_DEP_1) | instskip(NEXT) | instid1(VALU_DEP_1)
	v_lshrrev_b32_e32 v38, v10, v38
	v_and_b32_e32 v38, v38, v54
	s_delay_alu instid0(VALU_DEP_1)
	v_and_b32_e32 v39, 1, v38
	v_lshlrev_b32_e32 v48, 30, v38
	v_lshlrev_b32_e32 v49, 29, v38
	;; [unrolled: 1-line block ×4, first 2 shown]
	v_add_co_u32 v39, s14, v39, -1
	s_wait_alu 0xf1ff
	v_cndmask_b32_e64 v51, 0, 1, s14
	v_not_b32_e32 v64, v48
	v_cmp_gt_i32_e64 s15, 0, v48
	v_not_b32_e32 v48, v49
	v_lshlrev_b32_e32 v53, 26, v38
	v_cmp_ne_u32_e64 s14, 0, v51
	v_ashrrev_i32_e32 v64, 31, v64
	v_lshlrev_b32_e32 v55, 25, v38
	v_ashrrev_i32_e32 v48, 31, v48
	v_lshlrev_b32_e32 v51, 24, v38
	s_wait_alu 0xf1ff
	v_xor_b32_e32 v39, s14, v39
	v_cmp_gt_i32_e64 s14, 0, v49
	v_not_b32_e32 v49, v50
	v_xor_b32_e32 v64, s15, v64
	v_cmp_gt_i32_e64 s15, 0, v50
	v_and_b32_e32 v39, exec_lo, v39
	v_not_b32_e32 v50, v52
	v_ashrrev_i32_e32 v49, 31, v49
	s_wait_alu 0xf1ff
	v_xor_b32_e32 v48, s14, v48
	v_cmp_gt_i32_e64 s14, 0, v52
	v_and_b32_e32 v39, v39, v64
	v_not_b32_e32 v52, v53
	v_ashrrev_i32_e32 v50, 31, v50
	v_xor_b32_e32 v49, s15, v49
	v_cmp_gt_i32_e64 s15, 0, v53
	v_and_b32_e32 v39, v39, v48
	v_not_b32_e32 v48, v55
	v_ashrrev_i32_e32 v52, 31, v52
	s_wait_alu 0xf1ff
	v_xor_b32_e32 v50, s14, v50
	v_cmp_gt_i32_e64 s14, 0, v55
	v_and_b32_e32 v39, v39, v49
	v_not_b32_e32 v49, v51
	v_ashrrev_i32_e32 v48, 31, v48
	v_xor_b32_e32 v52, s15, v52
	v_lshl_add_u32 v38, v38, 3, v118
	v_and_b32_e32 v39, v39, v50
	v_cmp_gt_i32_e64 s15, 0, v51
	v_ashrrev_i32_e32 v49, 31, v49
	s_wait_alu 0xf1ff
	v_xor_b32_e32 v48, s14, v48
	v_lshl_add_u32 v50, v38, 2, v12
	v_and_b32_e32 v39, v39, v52
	v_xor_b32_e32 v49, s15, v49
	ds_load_b32 v38, v50 offset:32
	v_and_b32_e32 v39, v39, v48
	v_add_nc_u32_e32 v48, 32, v50
	; wave barrier
	s_delay_alu instid0(VALU_DEP_2) | instskip(NEXT) | instid1(VALU_DEP_1)
	v_and_b32_e32 v49, v39, v49
	v_mbcnt_lo_u32_b32 v39, v49, 0
	v_cmp_ne_u32_e64 s15, 0, v49
	s_delay_alu instid0(VALU_DEP_2)
	v_cmp_eq_u32_e64 s14, 0, v39
	s_and_b32 s15, s15, s14
	s_wait_alu 0xfffe
	s_and_saveexec_b32 s14, s15
	s_cbranch_execz .LBB191_37
; %bb.36:                               ;   in Loop: Header=BB191_29 Depth=1
	s_wait_dscnt 0x0
	v_bcnt_u32_b32 v49, v49, v38
	ds_store_b32 v48, v49
.LBB191_37:                             ;   in Loop: Header=BB191_29 Depth=1
	s_wait_alu 0xfffe
	s_or_b32 exec_lo, exec_lo, s14
	v_and_b32_e32 v49, 0xff, v101
	; wave barrier
	s_delay_alu instid0(VALU_DEP_1) | instskip(NEXT) | instid1(VALU_DEP_1)
	v_lshrrev_b32_e32 v49, v10, v49
	v_and_b32_e32 v49, v49, v54
	s_delay_alu instid0(VALU_DEP_1)
	v_and_b32_e32 v50, 1, v49
	v_lshlrev_b32_e32 v51, 30, v49
	v_lshlrev_b32_e32 v52, 29, v49
	;; [unrolled: 1-line block ×4, first 2 shown]
	v_add_co_u32 v50, s14, v50, -1
	s_wait_alu 0xf1ff
	v_cndmask_b32_e64 v55, 0, 1, s14
	v_not_b32_e32 v67, v51
	v_cmp_gt_i32_e64 s15, 0, v51
	v_not_b32_e32 v51, v52
	v_lshlrev_b32_e32 v65, 26, v49
	v_cmp_ne_u32_e64 s14, 0, v55
	v_ashrrev_i32_e32 v67, 31, v67
	v_lshlrev_b32_e32 v66, 25, v49
	v_ashrrev_i32_e32 v51, 31, v51
	v_lshlrev_b32_e32 v55, 24, v49
	s_wait_alu 0xf1ff
	v_xor_b32_e32 v50, s14, v50
	v_cmp_gt_i32_e64 s14, 0, v52
	v_not_b32_e32 v52, v53
	v_xor_b32_e32 v67, s15, v67
	v_cmp_gt_i32_e64 s15, 0, v53
	v_and_b32_e32 v50, exec_lo, v50
	v_not_b32_e32 v53, v64
	v_ashrrev_i32_e32 v52, 31, v52
	s_wait_alu 0xf1ff
	v_xor_b32_e32 v51, s14, v51
	v_cmp_gt_i32_e64 s14, 0, v64
	v_and_b32_e32 v50, v50, v67
	v_not_b32_e32 v64, v65
	v_ashrrev_i32_e32 v53, 31, v53
	v_xor_b32_e32 v52, s15, v52
	v_cmp_gt_i32_e64 s15, 0, v65
	v_and_b32_e32 v50, v50, v51
	v_not_b32_e32 v51, v66
	v_ashrrev_i32_e32 v64, 31, v64
	s_wait_alu 0xf1ff
	v_xor_b32_e32 v53, s14, v53
	v_cmp_gt_i32_e64 s14, 0, v66
	v_and_b32_e32 v50, v50, v52
	v_not_b32_e32 v52, v55
	v_ashrrev_i32_e32 v51, 31, v51
	v_xor_b32_e32 v64, s15, v64
	v_lshl_add_u32 v49, v49, 3, v118
	v_and_b32_e32 v50, v50, v53
	v_cmp_gt_i32_e64 s15, 0, v55
	v_ashrrev_i32_e32 v52, 31, v52
	s_wait_alu 0xf1ff
	v_xor_b32_e32 v51, s14, v51
	v_lshl_add_u32 v53, v49, 2, v12
	v_and_b32_e32 v50, v50, v64
	v_xor_b32_e32 v52, s15, v52
	ds_load_b32 v49, v53 offset:32
	v_and_b32_e32 v50, v50, v51
	v_add_nc_u32_e32 v51, 32, v53
	; wave barrier
	s_delay_alu instid0(VALU_DEP_2) | instskip(NEXT) | instid1(VALU_DEP_1)
	v_and_b32_e32 v52, v50, v52
	v_mbcnt_lo_u32_b32 v50, v52, 0
	v_cmp_ne_u32_e64 s15, 0, v52
	s_delay_alu instid0(VALU_DEP_2)
	v_cmp_eq_u32_e64 s14, 0, v50
	s_and_b32 s15, s15, s14
	s_wait_alu 0xfffe
	s_and_saveexec_b32 s14, s15
	s_cbranch_execz .LBB191_39
; %bb.38:                               ;   in Loop: Header=BB191_29 Depth=1
	s_wait_dscnt 0x0
	v_bcnt_u32_b32 v52, v52, v49
	ds_store_b32 v51, v52
.LBB191_39:                             ;   in Loop: Header=BB191_29 Depth=1
	s_wait_alu 0xfffe
	s_or_b32 exec_lo, exec_lo, s14
	v_and_b32_e32 v52, 0xff, v98
	; wave barrier
	s_delay_alu instid0(VALU_DEP_1) | instskip(NEXT) | instid1(VALU_DEP_1)
	v_lshrrev_b32_e32 v52, v10, v52
	v_and_b32_e32 v52, v52, v54
	s_delay_alu instid0(VALU_DEP_1)
	v_and_b32_e32 v53, 1, v52
	v_lshlrev_b32_e32 v55, 30, v52
	v_lshlrev_b32_e32 v64, 29, v52
	;; [unrolled: 1-line block ×4, first 2 shown]
	v_add_co_u32 v53, s14, v53, -1
	s_wait_alu 0xf1ff
	v_cndmask_b32_e64 v66, 0, 1, s14
	v_not_b32_e32 v70, v55
	v_cmp_gt_i32_e64 s15, 0, v55
	v_not_b32_e32 v55, v64
	v_lshlrev_b32_e32 v68, 26, v52
	v_cmp_ne_u32_e64 s14, 0, v66
	v_ashrrev_i32_e32 v70, 31, v70
	v_lshlrev_b32_e32 v69, 25, v52
	v_ashrrev_i32_e32 v55, 31, v55
	v_lshlrev_b32_e32 v66, 24, v52
	s_wait_alu 0xf1ff
	v_xor_b32_e32 v53, s14, v53
	v_cmp_gt_i32_e64 s14, 0, v64
	v_not_b32_e32 v64, v65
	v_xor_b32_e32 v70, s15, v70
	v_cmp_gt_i32_e64 s15, 0, v65
	v_and_b32_e32 v53, exec_lo, v53
	v_not_b32_e32 v65, v67
	v_ashrrev_i32_e32 v64, 31, v64
	s_wait_alu 0xf1ff
	v_xor_b32_e32 v55, s14, v55
	v_cmp_gt_i32_e64 s14, 0, v67
	v_and_b32_e32 v53, v53, v70
	v_not_b32_e32 v67, v68
	v_ashrrev_i32_e32 v65, 31, v65
	v_xor_b32_e32 v64, s15, v64
	v_cmp_gt_i32_e64 s15, 0, v68
	v_and_b32_e32 v53, v53, v55
	v_not_b32_e32 v55, v69
	v_ashrrev_i32_e32 v67, 31, v67
	s_wait_alu 0xf1ff
	v_xor_b32_e32 v65, s14, v65
	v_cmp_gt_i32_e64 s14, 0, v69
	v_and_b32_e32 v53, v53, v64
	v_not_b32_e32 v64, v66
	v_ashrrev_i32_e32 v55, 31, v55
	v_xor_b32_e32 v67, s15, v67
	v_lshl_add_u32 v52, v52, 3, v118
	v_and_b32_e32 v53, v53, v65
	v_cmp_gt_i32_e64 s15, 0, v66
	v_ashrrev_i32_e32 v64, 31, v64
	s_wait_alu 0xf1ff
	v_xor_b32_e32 v55, s14, v55
	v_lshl_add_u32 v65, v52, 2, v12
	v_and_b32_e32 v53, v53, v67
	v_xor_b32_e32 v64, s15, v64
	ds_load_b32 v52, v65 offset:32
	v_and_b32_e32 v53, v53, v55
	v_add_nc_u32_e32 v55, 32, v65
	; wave barrier
	s_delay_alu instid0(VALU_DEP_2) | instskip(NEXT) | instid1(VALU_DEP_1)
	v_and_b32_e32 v64, v53, v64
	v_mbcnt_lo_u32_b32 v53, v64, 0
	v_cmp_ne_u32_e64 s15, 0, v64
	s_delay_alu instid0(VALU_DEP_2)
	v_cmp_eq_u32_e64 s14, 0, v53
	s_and_b32 s15, s15, s14
	s_wait_alu 0xfffe
	s_and_saveexec_b32 s14, s15
	s_cbranch_execz .LBB191_41
; %bb.40:                               ;   in Loop: Header=BB191_29 Depth=1
	s_wait_dscnt 0x0
	v_bcnt_u32_b32 v64, v64, v52
	ds_store_b32 v55, v64
.LBB191_41:                             ;   in Loop: Header=BB191_29 Depth=1
	s_wait_alu 0xfffe
	s_or_b32 exec_lo, exec_lo, s14
	v_and_b32_e32 v64, 0xff, v102
	; wave barrier
	s_delay_alu instid0(VALU_DEP_1) | instskip(NEXT) | instid1(VALU_DEP_1)
	v_lshrrev_b32_e32 v64, v10, v64
	v_and_b32_e32 v64, v64, v54
	s_delay_alu instid0(VALU_DEP_1)
	v_and_b32_e32 v65, 1, v64
	v_lshlrev_b32_e32 v66, 30, v64
	v_lshlrev_b32_e32 v67, 29, v64
	;; [unrolled: 1-line block ×4, first 2 shown]
	v_add_co_u32 v65, s14, v65, -1
	s_wait_alu 0xf1ff
	v_cndmask_b32_e64 v69, 0, 1, s14
	v_not_b32_e32 v81, v66
	v_cmp_gt_i32_e64 s15, 0, v66
	v_not_b32_e32 v66, v67
	v_lshlrev_b32_e32 v71, 26, v64
	v_cmp_ne_u32_e64 s14, 0, v69
	v_ashrrev_i32_e32 v81, 31, v81
	v_lshlrev_b32_e32 v80, 25, v64
	v_ashrrev_i32_e32 v66, 31, v66
	v_lshlrev_b32_e32 v69, 24, v64
	s_wait_alu 0xf1ff
	v_xor_b32_e32 v65, s14, v65
	v_cmp_gt_i32_e64 s14, 0, v67
	v_not_b32_e32 v67, v68
	v_xor_b32_e32 v81, s15, v81
	v_cmp_gt_i32_e64 s15, 0, v68
	v_and_b32_e32 v65, exec_lo, v65
	v_not_b32_e32 v68, v70
	v_ashrrev_i32_e32 v67, 31, v67
	s_wait_alu 0xf1ff
	v_xor_b32_e32 v66, s14, v66
	v_cmp_gt_i32_e64 s14, 0, v70
	v_and_b32_e32 v65, v65, v81
	v_not_b32_e32 v70, v71
	v_ashrrev_i32_e32 v68, 31, v68
	v_xor_b32_e32 v67, s15, v67
	v_cmp_gt_i32_e64 s15, 0, v71
	v_and_b32_e32 v65, v65, v66
	v_not_b32_e32 v66, v80
	v_ashrrev_i32_e32 v70, 31, v70
	s_wait_alu 0xf1ff
	v_xor_b32_e32 v68, s14, v68
	v_cmp_gt_i32_e64 s14, 0, v80
	v_and_b32_e32 v65, v65, v67
	v_not_b32_e32 v67, v69
	v_ashrrev_i32_e32 v66, 31, v66
	v_xor_b32_e32 v70, s15, v70
	v_lshl_add_u32 v64, v64, 3, v118
	v_and_b32_e32 v65, v65, v68
	v_cmp_gt_i32_e64 s15, 0, v69
	v_ashrrev_i32_e32 v67, 31, v67
	s_wait_alu 0xf1ff
	v_xor_b32_e32 v66, s14, v66
	v_lshl_add_u32 v68, v64, 2, v12
	v_and_b32_e32 v65, v65, v70
	v_xor_b32_e32 v67, s15, v67
	ds_load_b32 v64, v68 offset:32
	v_and_b32_e32 v65, v65, v66
	v_add_nc_u32_e32 v66, 32, v68
	; wave barrier
	s_delay_alu instid0(VALU_DEP_2) | instskip(NEXT) | instid1(VALU_DEP_1)
	v_and_b32_e32 v67, v65, v67
	v_mbcnt_lo_u32_b32 v65, v67, 0
	v_cmp_ne_u32_e64 s15, 0, v67
	s_delay_alu instid0(VALU_DEP_2)
	v_cmp_eq_u32_e64 s14, 0, v65
	s_and_b32 s15, s15, s14
	s_wait_alu 0xfffe
	s_and_saveexec_b32 s14, s15
	s_cbranch_execz .LBB191_43
; %bb.42:                               ;   in Loop: Header=BB191_29 Depth=1
	s_wait_dscnt 0x0
	v_bcnt_u32_b32 v67, v67, v64
	ds_store_b32 v66, v67
.LBB191_43:                             ;   in Loop: Header=BB191_29 Depth=1
	s_wait_alu 0xfffe
	s_or_b32 exec_lo, exec_lo, s14
	v_and_b32_e32 v67, 0xff, v87
	; wave barrier
	s_delay_alu instid0(VALU_DEP_1) | instskip(NEXT) | instid1(VALU_DEP_1)
	v_lshrrev_b32_e32 v67, v10, v67
	v_and_b32_e32 v54, v67, v54
	s_delay_alu instid0(VALU_DEP_1)
	v_and_b32_e32 v67, 1, v54
	v_lshlrev_b32_e32 v68, 30, v54
	v_lshlrev_b32_e32 v69, 29, v54
	;; [unrolled: 1-line block ×4, first 2 shown]
	v_add_co_u32 v67, s14, v67, -1
	s_wait_alu 0xf1ff
	v_cndmask_b32_e64 v71, 0, 1, s14
	v_not_b32_e32 v83, v68
	v_cmp_gt_i32_e64 s15, 0, v68
	v_not_b32_e32 v68, v69
	v_lshlrev_b32_e32 v81, 26, v54
	v_cmp_ne_u32_e64 s14, 0, v71
	v_ashrrev_i32_e32 v83, 31, v83
	v_lshlrev_b32_e32 v82, 25, v54
	v_ashrrev_i32_e32 v68, 31, v68
	v_lshlrev_b32_e32 v71, 24, v54
	s_wait_alu 0xf1ff
	v_xor_b32_e32 v67, s14, v67
	v_cmp_gt_i32_e64 s14, 0, v69
	v_not_b32_e32 v69, v70
	v_xor_b32_e32 v83, s15, v83
	v_cmp_gt_i32_e64 s15, 0, v70
	v_and_b32_e32 v67, exec_lo, v67
	v_not_b32_e32 v70, v80
	v_ashrrev_i32_e32 v69, 31, v69
	s_wait_alu 0xf1ff
	v_xor_b32_e32 v68, s14, v68
	v_cmp_gt_i32_e64 s14, 0, v80
	v_and_b32_e32 v67, v67, v83
	v_not_b32_e32 v80, v81
	v_ashrrev_i32_e32 v70, 31, v70
	v_xor_b32_e32 v69, s15, v69
	v_cmp_gt_i32_e64 s15, 0, v81
	v_and_b32_e32 v67, v67, v68
	v_not_b32_e32 v68, v82
	v_ashrrev_i32_e32 v80, 31, v80
	s_wait_alu 0xf1ff
	v_xor_b32_e32 v70, s14, v70
	v_cmp_gt_i32_e64 s14, 0, v82
	v_and_b32_e32 v67, v67, v69
	v_not_b32_e32 v69, v71
	v_ashrrev_i32_e32 v68, 31, v68
	v_xor_b32_e32 v80, s15, v80
	v_lshl_add_u32 v54, v54, 3, v118
	v_and_b32_e32 v67, v67, v70
	v_cmp_gt_i32_e64 s15, 0, v71
	v_ashrrev_i32_e32 v69, 31, v69
	s_wait_alu 0xf1ff
	v_xor_b32_e32 v68, s14, v68
	v_lshl_add_u32 v70, v54, 2, v12
	v_and_b32_e32 v67, v67, v80
	v_xor_b32_e32 v69, s15, v69
	ds_load_b32 v54, v70 offset:32
	v_and_b32_e32 v67, v67, v68
	v_add_nc_u32_e32 v68, 32, v70
	; wave barrier
	s_delay_alu instid0(VALU_DEP_2) | instskip(NEXT) | instid1(VALU_DEP_1)
	v_and_b32_e32 v69, v67, v69
	v_mbcnt_lo_u32_b32 v67, v69, 0
	v_cmp_ne_u32_e64 s15, 0, v69
	s_delay_alu instid0(VALU_DEP_2)
	v_cmp_eq_u32_e64 s14, 0, v67
	s_and_b32 s15, s15, s14
	s_wait_alu 0xfffe
	s_and_saveexec_b32 s14, s15
	s_cbranch_execz .LBB191_45
; %bb.44:                               ;   in Loop: Header=BB191_29 Depth=1
	s_wait_dscnt 0x0
	v_bcnt_u32_b32 v69, v69, v54
	ds_store_b32 v68, v69
.LBB191_45:                             ;   in Loop: Header=BB191_29 Depth=1
	s_wait_alu 0xfffe
	s_or_b32 exec_lo, exec_lo, s14
	; wave barrier
	s_wait_loadcnt_dscnt 0x0
	s_barrier_signal -1
	s_barrier_wait -1
	global_inv scope:SCOPE_SE
	ds_load_b32 v70, v9
	ds_load_b32 v71, v103
	;; [unrolled: 1-line block ×8, first 2 shown]
	s_wait_dscnt 0x6
	v_add_nc_u32_e32 v85, v71, v70
	s_wait_dscnt 0x4
	s_delay_alu instid0(VALU_DEP_1) | instskip(SKIP_1) | instid1(VALU_DEP_1)
	v_add3_u32 v85, v85, v80, v81
	s_wait_dscnt 0x2
	v_add3_u32 v85, v85, v82, v83
	s_wait_dscnt 0x0
	s_delay_alu instid0(VALU_DEP_1) | instskip(NEXT) | instid1(VALU_DEP_1)
	v_add3_u32 v84, v85, v69, v84
	v_mov_b32_dpp v85, v84 row_shr:1 row_mask:0xf bank_mask:0xf
	s_wait_alu 0xfffd
	s_delay_alu instid0(VALU_DEP_1) | instskip(NEXT) | instid1(VALU_DEP_1)
	v_cndmask_b32_e64 v85, v85, 0, vcc_lo
	v_add_nc_u32_e32 v84, v85, v84
	s_delay_alu instid0(VALU_DEP_1) | instskip(NEXT) | instid1(VALU_DEP_1)
	v_mov_b32_dpp v85, v84 row_shr:2 row_mask:0xf bank_mask:0xf
	v_cndmask_b32_e64 v85, 0, v85, s0
	s_delay_alu instid0(VALU_DEP_1) | instskip(NEXT) | instid1(VALU_DEP_1)
	v_add_nc_u32_e32 v84, v84, v85
	v_mov_b32_dpp v85, v84 row_shr:4 row_mask:0xf bank_mask:0xf
	s_delay_alu instid0(VALU_DEP_1) | instskip(NEXT) | instid1(VALU_DEP_1)
	v_cndmask_b32_e64 v85, 0, v85, s1
	v_add_nc_u32_e32 v84, v84, v85
	s_delay_alu instid0(VALU_DEP_1) | instskip(NEXT) | instid1(VALU_DEP_1)
	v_mov_b32_dpp v85, v84 row_shr:8 row_mask:0xf bank_mask:0xf
	v_cndmask_b32_e64 v85, 0, v85, s3
	s_delay_alu instid0(VALU_DEP_1) | instskip(SKIP_3) | instid1(VALU_DEP_1)
	v_add_nc_u32_e32 v84, v84, v85
	ds_swizzle_b32 v85, v84 offset:swizzle(BROADCAST,32,15)
	s_wait_dscnt 0x0
	v_cndmask_b32_e64 v85, v85, 0, s4
	v_add_nc_u32_e32 v84, v84, v85
	s_and_saveexec_b32 s14, s5
; %bb.46:                               ;   in Loop: Header=BB191_29 Depth=1
	ds_store_b32 v128, v84
; %bb.47:                               ;   in Loop: Header=BB191_29 Depth=1
	s_wait_alu 0xfffe
	s_or_b32 exec_lo, exec_lo, s14
	s_wait_loadcnt_dscnt 0x0
	s_barrier_signal -1
	s_barrier_wait -1
	global_inv scope:SCOPE_SE
	s_and_saveexec_b32 s14, s6
	s_cbranch_execz .LBB191_49
; %bb.48:                               ;   in Loop: Header=BB191_29 Depth=1
	ds_load_b32 v85, v130
	s_wait_dscnt 0x0
	v_mov_b32_dpp v165, v85 row_shr:1 row_mask:0xf bank_mask:0xf
	s_delay_alu instid0(VALU_DEP_1) | instskip(NEXT) | instid1(VALU_DEP_1)
	v_cndmask_b32_e64 v165, v165, 0, s11
	v_add_nc_u32_e32 v85, v165, v85
	s_delay_alu instid0(VALU_DEP_1) | instskip(NEXT) | instid1(VALU_DEP_1)
	v_mov_b32_dpp v165, v85 row_shr:2 row_mask:0xf bank_mask:0xf
	v_cndmask_b32_e64 v165, 0, v165, s12
	s_delay_alu instid0(VALU_DEP_1) | instskip(NEXT) | instid1(VALU_DEP_1)
	v_add_nc_u32_e32 v85, v85, v165
	v_mov_b32_dpp v165, v85 row_shr:4 row_mask:0xf bank_mask:0xf
	s_delay_alu instid0(VALU_DEP_1) | instskip(NEXT) | instid1(VALU_DEP_1)
	v_cndmask_b32_e64 v165, 0, v165, s13
	v_add_nc_u32_e32 v85, v85, v165
	ds_store_b32 v130, v85
.LBB191_49:                             ;   in Loop: Header=BB191_29 Depth=1
	s_wait_alu 0xfffe
	s_or_b32 exec_lo, exec_lo, s14
	v_mov_b32_e32 v85, 0
	s_wait_loadcnt_dscnt 0x0
	s_barrier_signal -1
	s_barrier_wait -1
	global_inv scope:SCOPE_SE
	s_and_saveexec_b32 s14, s7
; %bb.50:                               ;   in Loop: Header=BB191_29 Depth=1
	ds_load_b32 v85, v132
; %bb.51:                               ;   in Loop: Header=BB191_29 Depth=1
	s_wait_alu 0xfffe
	s_or_b32 exec_lo, exec_lo, s14
	s_wait_dscnt 0x0
	v_dual_mov_b32 v181, v96 :: v_dual_add_nc_u32 v84, v85, v84
	v_add_nc_u32_e32 v10, 8, v10
	v_mov_b32_e32 v196, v87
	s_mov_b32 s20, -1
	ds_bpermute_b32 v84, v119, v84
	v_mov_b32_e32 v183, v99
	v_cmp_lt_u32_e64 s14, v10, v11
	v_dual_mov_b32 v182, v97 :: v_dual_mov_b32 v193, v101
	v_dual_mov_b32 v194, v98 :: v_dual_mov_b32 v195, v102
	v_mov_b32_e32 v192, v100
	s_wait_dscnt 0x0
	v_cndmask_b32_e64 v84, v84, v85, s2
	s_delay_alu instid0(VALU_DEP_1) | instskip(NEXT) | instid1(VALU_DEP_1)
	v_cndmask_b32_e64 v84, v84, 0, s10
	v_add_nc_u32_e32 v70, v84, v70
	s_delay_alu instid0(VALU_DEP_1) | instskip(SKIP_4) | instid1(VALU_DEP_1)
	v_add_nc_u32_e32 v71, v70, v71
	ds_store_b32 v9, v84
	ds_store_b32 v103, v70
	ds_store_b32 v112, v71
	v_add_nc_u32_e32 v80, v71, v80
	v_add_nc_u32_e32 v81, v80, v81
	s_delay_alu instid0(VALU_DEP_1) | instskip(NEXT) | instid1(VALU_DEP_1)
	v_add_nc_u32_e32 v82, v81, v82
	v_add_nc_u32_e32 v83, v82, v83
	s_delay_alu instid0(VALU_DEP_1)
	v_add_nc_u32_e32 v69, v83, v69
	ds_store_b32 v113, v80
	ds_store_b32 v114, v81
	;; [unrolled: 1-line block ×5, first 2 shown]
	s_wait_loadcnt_dscnt 0x0
	s_barrier_signal -1
	s_barrier_wait -1
	global_inv scope:SCOPE_SE
	ds_load_b32 v31, v31
	ds_load_b32 v34, v34
	ds_load_b32 v37, v37
	ds_load_b32 v48, v48
	ds_load_b32 v51, v51
	ds_load_b32 v55, v55
	ds_load_b32 v66, v66
	ds_load_b32 v68, v68
	s_wait_loadcnt_dscnt 0x0
	v_add_nc_u32_e32 v180, v31, v30
	v_add3_u32 v179, v33, v32, v34
	v_add3_u32 v178, v36, v35, v37
	;; [unrolled: 1-line block ×7, first 2 shown]
	v_add_co_u32 v68, s15, v12, v180
	s_wait_alu 0xf1ff
	v_add_co_ci_u32_e64 v69, null, 0, v13, s15
	v_add_co_u32 v54, s15, v12, v179
	s_wait_alu 0xf1ff
	v_add_co_ci_u32_e64 v55, null, 0, v13, s15
	;; [unrolled: 3-line block ×8, first 2 shown]
                                        ; implicit-def: $vgpr30_vgpr31
                                        ; implicit-def: $vgpr34_vgpr35
                                        ; implicit-def: $vgpr36_vgpr37
                                        ; implicit-def: $vgpr38_vgpr39
                                        ; implicit-def: $vgpr48_vgpr49
                                        ; implicit-def: $vgpr50_vgpr51
                                        ; implicit-def: $vgpr52_vgpr53
                                        ; implicit-def: $vgpr32_vgpr33
	s_and_saveexec_b32 s15, s14
	s_cbranch_execz .LBB191_28
; %bb.52:                               ;   in Loop: Header=BB191_29 Depth=1
	v_mad_co_u64_u32 v[30:31], null, v180, 7, v[68:69]
	v_mad_co_u64_u32 v[31:32], null, v179, 7, v[54:55]
	;; [unrolled: 1-line block ×8, first 2 shown]
	s_barrier_signal -1
	s_barrier_wait -1
	global_inv scope:SCOPE_SE
	ds_store_b8 v68, v96
	ds_store_b8 v54, v97
	;; [unrolled: 1-line block ×8, first 2 shown]
	s_wait_loadcnt_dscnt 0x0
	s_barrier_signal -1
	s_barrier_wait -1
	global_inv scope:SCOPE_SE
	ds_load_u8 v87, v148
	ds_load_u8 v102, v147
	;; [unrolled: 1-line block ×8, first 2 shown]
	s_wait_loadcnt_dscnt 0x0
	s_barrier_signal -1
	s_barrier_wait -1
	global_inv scope:SCOPE_SE
	ds_store_b64 v30, v[26:27]
	ds_store_b64 v31, v[21:22]
	;; [unrolled: 1-line block ×8, first 2 shown]
	s_wait_loadcnt_dscnt 0x0
	s_barrier_signal -1
	s_barrier_wait -1
	global_inv scope:SCOPE_SE
	ds_load_b64 v[30:31], v144
	ds_load_b64 v[34:35], v149
	;; [unrolled: 1-line block ×8, first 2 shown]
	v_add_nc_u32_e32 v164, -8, v164
	s_xor_b32 s20, exec_lo, -1
	s_wait_loadcnt_dscnt 0x0
	s_barrier_signal -1
	s_barrier_wait -1
	global_inv scope:SCOPE_SE
	s_branch .LBB191_28
.LBB191_53:
	s_or_b32 exec_lo, exec_lo, s19
	v_mad_co_u64_u32 v[9:10], null, v180, 7, v[68:69]
	v_add_nc_u32_e32 v50, v12, v14
	s_barrier_signal -1
	s_barrier_wait -1
	s_wait_loadcnt 0x0
	global_inv scope:SCOPE_SE
	ds_store_b8 v68, v181
	ds_store_b8 v54, v182
	;; [unrolled: 1-line block ×8, first 2 shown]
	s_wait_loadcnt_dscnt 0x0
	s_barrier_signal -1
	s_barrier_wait -1
	global_inv scope:SCOPE_SE
	ds_load_u8 v37, v50
	ds_load_u8 v36, v50 offset:256
	ds_load_u8 v35, v50 offset:512
	ds_load_u8 v34, v50 offset:768
	ds_load_u8 v33, v50 offset:1024
	ds_load_u8 v32, v50 offset:1280
	ds_load_u8 v31, v50 offset:1536
	ds_load_u8 v30, v50 offset:1792
	s_wait_loadcnt_dscnt 0x0
	s_barrier_signal -1
	s_barrier_wait -1
	global_inv scope:SCOPE_SE
	ds_store_b64 v9, v[26:27]
	v_mad_co_u64_u32 v[9:10], null, v179, 7, v[54:55]
	v_mad_co_u64_u32 v[10:11], null, v178, 7, v[64:65]
	;; [unrolled: 1-line block ×7, first 2 shown]
	ds_store_b64 v9, v[21:22]
	ds_store_b64 v10, v[19:20]
	;; [unrolled: 1-line block ×3, first 2 shown]
	v_mul_u32_u24_e32 v9, 7, v14
	ds_store_b64 v12, v[17:18]
	ds_store_b64 v26, v[15:16]
	;; [unrolled: 1-line block ×4, first 2 shown]
	s_wait_loadcnt_dscnt 0x0
	s_barrier_signal -1
	v_add_nc_u32_e32 v4, v50, v9
	s_barrier_wait -1
	global_inv scope:SCOPE_SE
	ds_load_2addr_stride64_b64 v[21:24], v4 offset1:4
	ds_load_2addr_stride64_b64 v[17:20], v4 offset0:8 offset1:12
	ds_load_2addr_stride64_b64 v[13:16], v4 offset0:16 offset1:20
	ds_load_2addr_stride64_b64 v[9:12], v4 offset0:24 offset1:28
	v_add_co_u32 v2, vcc_lo, v2, v8
	s_wait_alu 0xfffd
	v_add_co_ci_u32_e64 v3, null, 0, v3, vcc_lo
	v_mov_b32_e32 v26, 0
	s_delay_alu instid0(VALU_DEP_3) | instskip(SKIP_1) | instid1(VALU_DEP_3)
	v_add_co_u32 v2, vcc_lo, v2, v25
	s_wait_alu 0xfffd
	v_add_co_ci_u32_e64 v3, null, 0, v3, vcc_lo
	v_cmp_lt_u32_e32 vcc_lo, v25, v86
	s_wait_loadcnt_dscnt 0x0
	s_barrier_signal -1
	s_barrier_wait -1
	global_inv scope:SCOPE_SE
	s_and_saveexec_b32 s0, vcc_lo
	s_cbranch_execz .LBB191_55
; %bb.54:
	flat_store_b8 v[2:3], v37
.LBB191_55:
	s_wait_alu 0xfffe
	s_or_b32 exec_lo, exec_lo, s0
	v_add_nc_u32_e32 v4, 0x100, v25
	s_delay_alu instid0(VALU_DEP_1)
	v_cmp_lt_u32_e64 s0, v4, v86
	s_and_saveexec_b32 s1, s0
	s_cbranch_execz .LBB191_57
; %bb.56:
	flat_store_b8 v[2:3], v36 offset:256
.LBB191_57:
	s_wait_alu 0xfffe
	s_or_b32 exec_lo, exec_lo, s1
	v_add_nc_u32_e32 v4, 0x200, v25
	s_delay_alu instid0(VALU_DEP_1)
	v_cmp_lt_u32_e64 s1, v4, v86
	s_and_saveexec_b32 s2, s1
	s_cbranch_execz .LBB191_59
; %bb.58:
	flat_store_b8 v[2:3], v35 offset:512
.LBB191_59:
	;; [unrolled: 10-line block ×7, first 2 shown]
	s_wait_alu 0xfffe
	s_or_b32 exec_lo, exec_lo, s7
	v_lshlrev_b64_e32 v[2:3], 3, v[25:26]
	v_add_co_u32 v0, s7, v6, v0
	s_wait_alu 0xf1ff
	v_add_co_ci_u32_e64 v1, null, v7, v1, s7
	s_delay_alu instid0(VALU_DEP_2) | instskip(SKIP_1) | instid1(VALU_DEP_2)
	v_add_co_u32 v0, s7, v0, v2
	s_wait_alu 0xf1ff
	v_add_co_ci_u32_e64 v1, null, v1, v3, s7
	s_and_saveexec_b32 s7, vcc_lo
	s_cbranch_execnz .LBB191_119
; %bb.70:
	s_wait_alu 0xfffe
	s_or_b32 exec_lo, exec_lo, s7
	s_and_saveexec_b32 s7, s0
	s_cbranch_execnz .LBB191_120
.LBB191_71:
	s_wait_alu 0xfffe
	s_or_b32 exec_lo, exec_lo, s7
	s_and_saveexec_b32 s0, s1
	s_cbranch_execnz .LBB191_121
.LBB191_72:
	s_wait_alu 0xfffe
	s_or_b32 exec_lo, exec_lo, s0
	s_and_saveexec_b32 s0, s2
	s_cbranch_execnz .LBB191_122
.LBB191_73:
	s_wait_alu 0xfffe
	s_or_b32 exec_lo, exec_lo, s0
	s_and_saveexec_b32 s0, s3
	s_cbranch_execnz .LBB191_123
.LBB191_74:
	s_wait_alu 0xfffe
	s_or_b32 exec_lo, exec_lo, s0
	s_and_saveexec_b32 s0, s4
	s_cbranch_execnz .LBB191_124
.LBB191_75:
	s_wait_alu 0xfffe
	s_or_b32 exec_lo, exec_lo, s0
	s_and_saveexec_b32 s0, s5
	s_cbranch_execnz .LBB191_125
.LBB191_76:
	s_wait_alu 0xfffe
	s_or_b32 exec_lo, exec_lo, s0
	s_and_saveexec_b32 s0, s6
	s_cbranch_execz .LBB191_78
.LBB191_77:
	flat_store_b64 v[0:1], v[11:12] offset:14336
.LBB191_78:
	s_wait_alu 0xfffe
	s_or_b32 exec_lo, exec_lo, s0
                                        ; implicit-def: $vgpr86
                                        ; implicit-def: $vgpr0
                                        ; implicit-def: $vgpr1
                                        ; implicit-def: $vgpr2
                                        ; implicit-def: $vgpr3
                                        ; implicit-def: $vgpr4
                                        ; implicit-def: $vgpr5
                                        ; implicit-def: $vgpr6
                                        ; implicit-def: $vgpr7
                                        ; implicit-def: $vgpr8
                                        ; implicit-def: $vgpr10
                                        ; implicit-def: $vgpr11
                                        ; implicit-def: $vgpr12
                                        ; implicit-def: $vgpr13
                                        ; implicit-def: $vgpr9
                                        ; implicit-def: $vgpr15
                                        ; implicit-def: $vgpr14
                                        ; implicit-def: $vgpr54
.LBB191_79:
	s_wait_alu 0xfffe
	s_and_not1_saveexec_b32 s0, s17
	s_cbranch_execz .LBB191_199
; %bb.80:
	s_mov_b32 s0, exec_lo
	v_cmpx_lt_u32_e32 0x200, v86
	s_wait_alu 0xfffe
	s_xor_b32 s17, exec_lo, s0
	s_cbranch_execz .LBB191_140
; %bb.81:
	s_load_b64 s[0:1], s[8:9], 0x0
	s_and_b32 s2, ttmp7, 0xffff
	s_mov_b32 s3, 0
	v_add_co_u32 v0, vcc_lo, v0, v8
	s_wait_alu 0xfffd
	v_add_co_ci_u32_e64 v1, null, 0, v1, vcc_lo
	v_mov_b32_e32 v51, 0xff
	s_delay_alu instid0(VALU_DEP_3) | instskip(SKIP_1) | instid1(VALU_DEP_3)
	v_add_co_u32 v0, vcc_lo, v0, v54
	s_wait_alu 0xfffd
	v_add_co_ci_u32_e64 v1, null, 0, v1, vcc_lo
	v_mov_b32_e32 v48, 0xff
	v_mov_b32_e32 v50, 0xff
	s_wait_kmcnt 0x0
	s_wait_alu 0xfffe
	s_cmp_lt_u32 s2, s1
	s_cselect_b32 s2, 14, 20
	s_cmp_lt_u32 ttmp9, s0
	s_wait_alu 0xfffe
	s_add_nc_u64 s[4:5], s[8:9], s[2:3]
	s_cselect_b32 s2, 12, 18
	s_load_u16 s4, s[4:5], 0x0
	s_add_nc_u64 s[0:1], s[8:9], s[2:3]
	s_load_u16 s0, s[0:1], 0x0
	s_wait_kmcnt 0x0
	v_mad_u32_u24 v9, v15, s4, v9
	s_delay_alu instid0(VALU_DEP_1) | instskip(SKIP_1) | instid1(VALU_DEP_1)
	v_mad_co_u64_u32 v[17:18], null, v9, s0, v[14:15]
	v_mov_b32_e32 v9, 0
	v_dual_mov_b32 v49, 0xff :: v_dual_mov_b32 v16, v9
	s_delay_alu instid0(VALU_DEP_3) | instskip(NEXT) | instid1(VALU_DEP_1)
	v_lshlrev_b32_e32 v15, 2, v17
	v_and_b32_e32 v15, 0xffffff80, v15
	s_delay_alu instid0(VALU_DEP_1) | instskip(SKIP_3) | instid1(VALU_DEP_3)
	v_or_b32_e32 v18, v15, v54
	v_add_co_u32 v0, vcc_lo, v0, v15
	s_wait_alu 0xfffd
	v_add_co_ci_u32_e64 v1, null, 0, v1, vcc_lo
	v_cmp_lt_u32_e32 vcc_lo, v18, v86
	s_and_saveexec_b32 s0, vcc_lo
	s_cbranch_execz .LBB191_83
; %bb.82:
	flat_load_u8 v49, v[0:1]
	v_dual_mov_b32 v48, 0xff :: v_dual_mov_b32 v51, 0xff
	v_mov_b32_e32 v50, 0xff
.LBB191_83:
	s_wait_alu 0xfffe
	s_or_b32 exec_lo, exec_lo, s0
	v_or_b32_e32 v19, 32, v18
	s_delay_alu instid0(VALU_DEP_1)
	v_cmp_lt_u32_e64 s0, v19, v86
	s_and_saveexec_b32 s1, s0
	s_cbranch_execz .LBB191_85
; %bb.84:
	flat_load_u8 v50, v[0:1] offset:32
.LBB191_85:
	s_wait_alu 0xfffe
	s_or_b32 exec_lo, exec_lo, s1
	v_or_b32_e32 v19, 64, v18
	s_delay_alu instid0(VALU_DEP_1)
	v_cmp_lt_u32_e64 s1, v19, v86
	s_and_saveexec_b32 s2, s1
	s_cbranch_execz .LBB191_87
; %bb.86:
	flat_load_u8 v51, v[0:1] offset:64
.LBB191_87:
	;; [unrolled: 10-line block ×3, first 2 shown]
	s_wait_alu 0xfffe
	s_or_b32 exec_lo, exec_lo, s3
	v_lshlrev_b64_e32 v[0:1], 3, v[8:9]
	v_lshlrev_b32_e32 v9, 3, v54
                                        ; implicit-def: $vgpr24_vgpr25
	s_delay_alu instid0(VALU_DEP_2) | instskip(SKIP_1) | instid1(VALU_DEP_3)
	v_add_co_u32 v18, s3, v4, v0
	s_wait_alu 0xf1ff
	v_add_co_ci_u32_e64 v19, null, v5, v1, s3
	v_lshlrev_b64_e32 v[4:5], 3, v[15:16]
	s_delay_alu instid0(VALU_DEP_3) | instskip(SKIP_1) | instid1(VALU_DEP_3)
	v_add_co_u32 v9, s3, v18, v9
	s_wait_alu 0xf1ff
	v_add_co_ci_u32_e64 v15, null, 0, v19, s3
	s_delay_alu instid0(VALU_DEP_2) | instskip(SKIP_1) | instid1(VALU_DEP_2)
	v_add_co_u32 v4, s3, v9, v4
	s_wait_alu 0xf1ff
	v_add_co_ci_u32_e64 v5, null, v15, v5, s3
	s_and_saveexec_b32 s3, vcc_lo
	s_cbranch_execnz .LBB191_164
; %bb.90:
	s_wait_alu 0xfffe
	s_or_b32 exec_lo, exec_lo, s3
                                        ; implicit-def: $vgpr26_vgpr27
	s_and_saveexec_b32 s3, s0
	s_cbranch_execnz .LBB191_165
.LBB191_91:
	s_wait_alu 0xfffe
	s_or_b32 exec_lo, exec_lo, s3
                                        ; implicit-def: $vgpr28_vgpr29
	s_and_saveexec_b32 s0, s1
	s_cbranch_execnz .LBB191_166
.LBB191_92:
	s_wait_alu 0xfffe
	s_or_b32 exec_lo, exec_lo, s0
                                        ; implicit-def: $vgpr22_vgpr23
	s_and_saveexec_b32 s0, s2
	s_cbranch_execz .LBB191_94
.LBB191_93:
	flat_load_b64 v[22:23], v[4:5] offset:768
.LBB191_94:
	s_wait_alu 0xfffe
	s_or_b32 exec_lo, exec_lo, s0
	v_lshl_add_u32 v4, v14, 5, v12
	v_and_b32_e32 v5, 0x3e0, v14
	v_sub_co_u32 v16, s2, v54, 1
	v_and_b32_e32 v15, 15, v54
	s_delay_alu instid0(VALU_DEP_4)
	v_add_nc_u32_e32 v9, 32, v4
	v_add_nc_u32_e32 v52, 36, v4
	;; [unrolled: 1-line block ×8, first 2 shown]
	v_min_u32_e32 v4, 0xe0, v5
	v_and_b32_e32 v5, 16, v54
	v_cmp_gt_i32_e64 s6, 0, v16
	s_getpc_b64 s[0:1]
	s_wait_alu 0xfffe
	s_sext_i32_i16 s1, s1
	s_add_co_u32 s0, s0, _ZN7rocprim17ROCPRIM_400000_NS16block_radix_sortIhLj256ELj4ElLj1ELj1ELj8ELNS0_26block_radix_rank_algorithmE2ELNS0_18block_padding_hintE2ELNS0_4arch9wavefront6targetE0EE19radix_bits_per_passE@rel32@lo+12
	s_wait_alu 0xfffe
	s_add_co_ci_u32 s1, s1, _ZN7rocprim17ROCPRIM_400000_NS16block_radix_sortIhLj256ELj4ElLj1ELj1ELj8ELNS0_26block_radix_rank_algorithmE2ELNS0_18block_padding_hintE2ELNS0_4arch9wavefront6targetE0EE19radix_bits_per_passE@rel32@hi+24
	v_cmp_eq_u32_e32 vcc_lo, 0, v15
	s_load_b32 s18, s[0:1], 0x0
	v_cmp_lt_u32_e64 s0, 1, v15
	v_cmp_lt_u32_e64 s1, 3, v15
	v_or_b32_e32 v4, 31, v4
	v_cmp_lt_u32_e64 s3, 7, v15
	v_cmp_eq_u32_e64 s4, 0, v5
	v_cndmask_b32_e64 v5, v16, v54, s6
	v_lshlrev_b32_e32 v15, 2, v14
	v_cmp_eq_u32_e64 s5, v14, v4
	v_lshrrev_b32_e32 v4, 3, v14
	v_lshrrev_b32_e32 v68, 5, v17
	v_lshlrev_b32_e32 v69, 2, v5
	v_and_or_b32 v5, 0xf80, v15, v54
	v_cmp_gt_u32_e64 s6, 8, v14
	v_and_b32_e32 v4, 0x7c, v4
	v_cmp_lt_u32_e64 s7, 31, v14
	v_cmp_eq_u32_e64 s10, 0, v14
	v_add_nc_u32_e32 v71, v12, v5
	v_mul_u32_u24_e32 v5, 7, v5
	v_add_nc_u32_e32 v70, v12, v4
	v_and_b32_e32 v4, 7, v54
	v_mov_b32_e32 v54, 0
	v_add_nc_u32_e32 v80, v12, v15
	v_add_nc_u32_e32 v81, v71, v5
	v_add_nc_u32_e32 v82, -4, v70
	v_cmp_eq_u32_e64 s11, 0, v4
	v_cmp_lt_u32_e64 s12, 1, v4
	v_cmp_lt_u32_e64 s13, 3, v4
	v_add_nc_u32_e32 v83, 32, v71
	v_add_nc_u32_e32 v84, 64, v71
	;; [unrolled: 1-line block ×6, first 2 shown]
	v_sub_nc_u32_e32 v98, v11, v10
	s_mov_b32 s19, 0
	s_wait_storecnt 0x0
	s_wait_loadcnt_dscnt 0x0
	s_barrier_signal -1
	s_barrier_wait -1
	global_inv scope:SCOPE_SE
	s_branch .LBB191_96
.LBB191_95:                             ;   in Loop: Header=BB191_96 Depth=1
	s_wait_alu 0xfffe
	s_or_b32 exec_lo, exec_lo, s15
	s_delay_alu instid0(SALU_CYCLE_1)
	s_and_b32 s14, exec_lo, s20
	s_wait_alu 0xfffe
	s_or_b32 s19, s14, s19
	s_wait_alu 0xfffe
	s_and_not1_b32 exec_lo, exec_lo, s19
	s_cbranch_execz .LBB191_126
.LBB191_96:                             ; =>This Inner Loop Header: Depth=1
	s_wait_kmcnt 0x0
	v_min_u32_e32 v4, s18, v98
	v_dual_mov_b32 v18, v24 :: v_dual_and_b32 v5, 0xff, v49
	v_mov_b32_e32 v19, v25
	ds_store_b32 v9, v54
	ds_store_b32 v52, v54
	ds_store_b32 v53, v54
	v_lshlrev_b32_e64 v4, v4, -1
	v_lshrrev_b32_e32 v5, v10, v5
	ds_store_b32 v55, v54
	ds_store_b32 v64, v54
	;; [unrolled: 1-line block ×5, first 2 shown]
	v_not_b32_e32 v30, v4
	s_wait_loadcnt_dscnt 0x0
	s_barrier_signal -1
	s_barrier_wait -1
	global_inv scope:SCOPE_SE
	v_and_b32_e32 v31, v5, v30
	v_dual_mov_b32 v15, v26 :: v_dual_mov_b32 v16, v27
	v_dual_mov_b32 v4, v28 :: v_dual_mov_b32 v5, v29
	s_delay_alu instid0(VALU_DEP_3)
	v_lshlrev_b32_e32 v24, 29, v31
	v_and_b32_e32 v20, 1, v31
	v_lshlrev_b32_e32 v21, 30, v31
	v_lshlrev_b32_e32 v25, 28, v31
	;; [unrolled: 1-line block ×4, first 2 shown]
	v_add_co_u32 v20, s14, v20, -1
	s_wait_alu 0xf1ff
	v_cndmask_b32_e64 v26, 0, 1, s14
	v_not_b32_e32 v32, v21
	v_cmp_gt_i32_e64 s15, 0, v21
	v_not_b32_e32 v21, v24
	v_lshlrev_b32_e32 v29, 25, v31
	v_cmp_ne_u32_e64 s14, 0, v26
	v_ashrrev_i32_e32 v32, 31, v32
	v_lshlrev_b32_e32 v26, 24, v31
	v_ashrrev_i32_e32 v21, 31, v21
	s_wait_alu 0xf1ff
	v_xor_b32_e32 v20, s14, v20
	v_cmp_gt_i32_e64 s14, 0, v24
	v_not_b32_e32 v24, v25
	v_xor_b32_e32 v32, s15, v32
	v_cmp_gt_i32_e64 s15, 0, v25
	v_and_b32_e32 v20, exec_lo, v20
	v_not_b32_e32 v25, v27
	v_ashrrev_i32_e32 v24, 31, v24
	s_wait_alu 0xf1ff
	v_xor_b32_e32 v21, s14, v21
	v_cmp_gt_i32_e64 s14, 0, v27
	v_and_b32_e32 v20, v20, v32
	v_not_b32_e32 v27, v28
	v_ashrrev_i32_e32 v25, 31, v25
	v_xor_b32_e32 v24, s15, v24
	v_cmp_gt_i32_e64 s15, 0, v28
	v_and_b32_e32 v20, v20, v21
	v_not_b32_e32 v21, v29
	v_ashrrev_i32_e32 v27, 31, v27
	s_wait_alu 0xf1ff
	v_xor_b32_e32 v25, s14, v25
	v_cmp_gt_i32_e64 s14, 0, v29
	v_and_b32_e32 v20, v20, v24
	v_not_b32_e32 v24, v26
	v_ashrrev_i32_e32 v28, 31, v21
	v_xor_b32_e32 v27, s15, v27
	v_cmp_gt_i32_e64 s15, 0, v26
	v_dual_mov_b32 v20, v22 :: v_dual_and_b32 v25, v20, v25
	v_mov_b32_e32 v21, v23
	v_ashrrev_i32_e32 v22, 31, v24
	s_wait_alu 0xf1ff
	v_xor_b32_e32 v23, s14, v28
	v_and_b32_e32 v24, v25, v27
	v_lshlrev_b32_e32 v25, 3, v31
	; wave barrier
	v_xor_b32_e32 v22, s15, v22
	s_delay_alu instid0(VALU_DEP_3) | instskip(NEXT) | instid1(VALU_DEP_1)
	v_and_b32_e32 v23, v24, v23
	v_and_b32_e32 v24, v23, v22
	s_delay_alu instid0(VALU_DEP_4) | instskip(NEXT) | instid1(VALU_DEP_2)
	v_add_lshl_u32 v23, v25, v68, 2
	v_mbcnt_lo_u32_b32 v22, v24, 0
	s_delay_alu instid0(VALU_DEP_2) | instskip(SKIP_1) | instid1(VALU_DEP_3)
	v_add_co_u32 v23, null, v12, v23
	v_cmp_ne_u32_e64 s15, 0, v24
	v_cmp_eq_u32_e64 s14, 0, v22
	s_delay_alu instid0(VALU_DEP_3)
	v_add_co_u32 v23, null, v23, 32
	s_and_b32 s15, s15, s14
	s_wait_alu 0xfffe
	s_and_saveexec_b32 s14, s15
; %bb.97:                               ;   in Loop: Header=BB191_96 Depth=1
	v_bcnt_u32_b32 v24, v24, 0
	ds_store_b32 v23, v24
; %bb.98:                               ;   in Loop: Header=BB191_96 Depth=1
	s_wait_alu 0xfffe
	s_or_b32 exec_lo, exec_lo, s14
	v_and_b32_e32 v24, 0xff, v50
	; wave barrier
	s_delay_alu instid0(VALU_DEP_1) | instskip(NEXT) | instid1(VALU_DEP_1)
	v_lshrrev_b32_e32 v24, v10, v24
	v_and_b32_e32 v24, v24, v30
	s_delay_alu instid0(VALU_DEP_1)
	v_and_b32_e32 v25, 1, v24
	v_lshlrev_b32_e32 v26, 30, v24
	v_lshlrev_b32_e32 v27, 29, v24
	;; [unrolled: 1-line block ×4, first 2 shown]
	v_add_co_u32 v25, s14, v25, -1
	s_wait_alu 0xf1ff
	v_cndmask_b32_e64 v29, 0, 1, s14
	v_not_b32_e32 v34, v26
	v_cmp_gt_i32_e64 s15, 0, v26
	v_not_b32_e32 v26, v27
	v_lshlrev_b32_e32 v32, 26, v24
	v_cmp_ne_u32_e64 s14, 0, v29
	v_ashrrev_i32_e32 v34, 31, v34
	v_lshlrev_b32_e32 v33, 25, v24
	v_ashrrev_i32_e32 v26, 31, v26
	v_lshlrev_b32_e32 v29, 24, v24
	s_wait_alu 0xf1ff
	v_xor_b32_e32 v25, s14, v25
	v_cmp_gt_i32_e64 s14, 0, v27
	v_not_b32_e32 v27, v28
	v_xor_b32_e32 v34, s15, v34
	v_cmp_gt_i32_e64 s15, 0, v28
	v_and_b32_e32 v25, exec_lo, v25
	v_not_b32_e32 v28, v31
	v_ashrrev_i32_e32 v27, 31, v27
	s_wait_alu 0xf1ff
	v_xor_b32_e32 v26, s14, v26
	v_cmp_gt_i32_e64 s14, 0, v31
	v_and_b32_e32 v25, v25, v34
	v_not_b32_e32 v31, v32
	v_ashrrev_i32_e32 v28, 31, v28
	v_xor_b32_e32 v27, s15, v27
	v_cmp_gt_i32_e64 s15, 0, v32
	v_and_b32_e32 v25, v25, v26
	v_not_b32_e32 v26, v33
	v_ashrrev_i32_e32 v31, 31, v31
	s_wait_alu 0xf1ff
	v_xor_b32_e32 v28, s14, v28
	v_cmp_gt_i32_e64 s14, 0, v33
	v_and_b32_e32 v25, v25, v27
	v_not_b32_e32 v27, v29
	v_ashrrev_i32_e32 v26, 31, v26
	v_xor_b32_e32 v31, s15, v31
	v_lshl_add_u32 v24, v24, 3, v68
	v_and_b32_e32 v25, v25, v28
	v_cmp_gt_i32_e64 s15, 0, v29
	v_ashrrev_i32_e32 v27, 31, v27
	s_wait_alu 0xf1ff
	v_xor_b32_e32 v26, s14, v26
	v_lshl_add_u32 v28, v24, 2, v12
	v_and_b32_e32 v25, v25, v31
	v_xor_b32_e32 v27, s15, v27
	ds_load_b32 v24, v28 offset:32
	v_and_b32_e32 v25, v25, v26
	v_add_nc_u32_e32 v26, 32, v28
	; wave barrier
	s_delay_alu instid0(VALU_DEP_2) | instskip(NEXT) | instid1(VALU_DEP_1)
	v_and_b32_e32 v27, v25, v27
	v_mbcnt_lo_u32_b32 v25, v27, 0
	v_cmp_ne_u32_e64 s15, 0, v27
	s_delay_alu instid0(VALU_DEP_2)
	v_cmp_eq_u32_e64 s14, 0, v25
	s_and_b32 s15, s15, s14
	s_wait_alu 0xfffe
	s_and_saveexec_b32 s14, s15
	s_cbranch_execz .LBB191_100
; %bb.99:                               ;   in Loop: Header=BB191_96 Depth=1
	s_wait_dscnt 0x0
	v_bcnt_u32_b32 v27, v27, v24
	ds_store_b32 v26, v27
.LBB191_100:                            ;   in Loop: Header=BB191_96 Depth=1
	s_wait_alu 0xfffe
	s_or_b32 exec_lo, exec_lo, s14
	v_and_b32_e32 v27, 0xff, v51
	; wave barrier
	s_delay_alu instid0(VALU_DEP_1) | instskip(NEXT) | instid1(VALU_DEP_1)
	v_lshrrev_b32_e32 v27, v10, v27
	v_and_b32_e32 v27, v27, v30
	s_delay_alu instid0(VALU_DEP_1)
	v_and_b32_e32 v28, 1, v27
	v_lshlrev_b32_e32 v29, 30, v27
	v_lshlrev_b32_e32 v31, 29, v27
	;; [unrolled: 1-line block ×4, first 2 shown]
	v_add_co_u32 v28, s14, v28, -1
	s_wait_alu 0xf1ff
	v_cndmask_b32_e64 v33, 0, 1, s14
	v_not_b32_e32 v37, v29
	v_cmp_gt_i32_e64 s15, 0, v29
	v_not_b32_e32 v29, v31
	v_lshlrev_b32_e32 v35, 26, v27
	v_cmp_ne_u32_e64 s14, 0, v33
	v_ashrrev_i32_e32 v37, 31, v37
	v_lshlrev_b32_e32 v36, 25, v27
	v_ashrrev_i32_e32 v29, 31, v29
	v_lshlrev_b32_e32 v33, 24, v27
	s_wait_alu 0xf1ff
	v_xor_b32_e32 v28, s14, v28
	v_cmp_gt_i32_e64 s14, 0, v31
	v_not_b32_e32 v31, v32
	v_xor_b32_e32 v37, s15, v37
	v_cmp_gt_i32_e64 s15, 0, v32
	v_and_b32_e32 v28, exec_lo, v28
	v_not_b32_e32 v32, v34
	v_ashrrev_i32_e32 v31, 31, v31
	s_wait_alu 0xf1ff
	v_xor_b32_e32 v29, s14, v29
	v_cmp_gt_i32_e64 s14, 0, v34
	v_and_b32_e32 v28, v28, v37
	v_not_b32_e32 v34, v35
	v_ashrrev_i32_e32 v32, 31, v32
	v_xor_b32_e32 v31, s15, v31
	v_cmp_gt_i32_e64 s15, 0, v35
	v_and_b32_e32 v28, v28, v29
	v_not_b32_e32 v29, v36
	v_ashrrev_i32_e32 v34, 31, v34
	s_wait_alu 0xf1ff
	v_xor_b32_e32 v32, s14, v32
	v_cmp_gt_i32_e64 s14, 0, v36
	v_and_b32_e32 v28, v28, v31
	v_not_b32_e32 v31, v33
	v_ashrrev_i32_e32 v29, 31, v29
	v_xor_b32_e32 v34, s15, v34
	v_lshl_add_u32 v27, v27, 3, v68
	v_and_b32_e32 v28, v28, v32
	v_cmp_gt_i32_e64 s15, 0, v33
	v_ashrrev_i32_e32 v31, 31, v31
	s_wait_alu 0xf1ff
	v_xor_b32_e32 v29, s14, v29
	v_lshl_add_u32 v32, v27, 2, v12
	v_and_b32_e32 v28, v28, v34
	v_xor_b32_e32 v31, s15, v31
	ds_load_b32 v27, v32 offset:32
	v_and_b32_e32 v28, v28, v29
	v_add_nc_u32_e32 v29, 32, v32
	; wave barrier
	s_delay_alu instid0(VALU_DEP_2) | instskip(NEXT) | instid1(VALU_DEP_1)
	v_and_b32_e32 v31, v28, v31
	v_mbcnt_lo_u32_b32 v28, v31, 0
	v_cmp_ne_u32_e64 s15, 0, v31
	s_delay_alu instid0(VALU_DEP_2)
	v_cmp_eq_u32_e64 s14, 0, v28
	s_and_b32 s15, s15, s14
	s_wait_alu 0xfffe
	s_and_saveexec_b32 s14, s15
	s_cbranch_execz .LBB191_102
; %bb.101:                              ;   in Loop: Header=BB191_96 Depth=1
	s_wait_dscnt 0x0
	v_bcnt_u32_b32 v31, v31, v27
	ds_store_b32 v29, v31
.LBB191_102:                            ;   in Loop: Header=BB191_96 Depth=1
	s_wait_alu 0xfffe
	s_or_b32 exec_lo, exec_lo, s14
	v_and_b32_e32 v31, 0xff, v48
	; wave barrier
	s_delay_alu instid0(VALU_DEP_1) | instskip(NEXT) | instid1(VALU_DEP_1)
	v_lshrrev_b32_e32 v31, v10, v31
	v_and_b32_e32 v30, v31, v30
	s_delay_alu instid0(VALU_DEP_1)
	v_and_b32_e32 v31, 1, v30
	v_lshlrev_b32_e32 v32, 30, v30
	v_lshlrev_b32_e32 v33, 29, v30
	;; [unrolled: 1-line block ×4, first 2 shown]
	v_add_co_u32 v31, s14, v31, -1
	s_wait_alu 0xf1ff
	v_cndmask_b32_e64 v35, 0, 1, s14
	v_not_b32_e32 v39, v32
	v_cmp_gt_i32_e64 s15, 0, v32
	v_not_b32_e32 v32, v33
	v_lshlrev_b32_e32 v37, 26, v30
	v_cmp_ne_u32_e64 s14, 0, v35
	v_ashrrev_i32_e32 v39, 31, v39
	v_lshlrev_b32_e32 v38, 25, v30
	v_ashrrev_i32_e32 v32, 31, v32
	v_lshlrev_b32_e32 v35, 24, v30
	s_wait_alu 0xf1ff
	v_xor_b32_e32 v31, s14, v31
	v_cmp_gt_i32_e64 s14, 0, v33
	v_not_b32_e32 v33, v34
	v_xor_b32_e32 v39, s15, v39
	v_cmp_gt_i32_e64 s15, 0, v34
	v_and_b32_e32 v31, exec_lo, v31
	v_not_b32_e32 v34, v36
	v_ashrrev_i32_e32 v33, 31, v33
	s_wait_alu 0xf1ff
	v_xor_b32_e32 v32, s14, v32
	v_cmp_gt_i32_e64 s14, 0, v36
	v_and_b32_e32 v31, v31, v39
	v_not_b32_e32 v36, v37
	v_ashrrev_i32_e32 v34, 31, v34
	v_xor_b32_e32 v33, s15, v33
	v_cmp_gt_i32_e64 s15, 0, v37
	v_and_b32_e32 v31, v31, v32
	v_not_b32_e32 v32, v38
	v_ashrrev_i32_e32 v36, 31, v36
	s_wait_alu 0xf1ff
	v_xor_b32_e32 v34, s14, v34
	v_cmp_gt_i32_e64 s14, 0, v38
	v_and_b32_e32 v31, v31, v33
	v_not_b32_e32 v33, v35
	v_ashrrev_i32_e32 v32, 31, v32
	v_xor_b32_e32 v36, s15, v36
	v_lshl_add_u32 v30, v30, 3, v68
	v_and_b32_e32 v31, v31, v34
	v_cmp_gt_i32_e64 s15, 0, v35
	v_ashrrev_i32_e32 v33, 31, v33
	s_wait_alu 0xf1ff
	v_xor_b32_e32 v32, s14, v32
	v_lshl_add_u32 v34, v30, 2, v12
	v_and_b32_e32 v31, v31, v36
	v_xor_b32_e32 v33, s15, v33
	ds_load_b32 v30, v34 offset:32
	v_and_b32_e32 v31, v31, v32
	v_add_nc_u32_e32 v32, 32, v34
	; wave barrier
	s_delay_alu instid0(VALU_DEP_2) | instskip(NEXT) | instid1(VALU_DEP_1)
	v_and_b32_e32 v33, v31, v33
	v_mbcnt_lo_u32_b32 v31, v33, 0
	v_cmp_ne_u32_e64 s15, 0, v33
	s_delay_alu instid0(VALU_DEP_2)
	v_cmp_eq_u32_e64 s14, 0, v31
	s_and_b32 s15, s15, s14
	s_wait_alu 0xfffe
	s_and_saveexec_b32 s14, s15
	s_cbranch_execz .LBB191_104
; %bb.103:                              ;   in Loop: Header=BB191_96 Depth=1
	s_wait_dscnt 0x0
	v_bcnt_u32_b32 v33, v33, v30
	ds_store_b32 v32, v33
.LBB191_104:                            ;   in Loop: Header=BB191_96 Depth=1
	s_wait_alu 0xfffe
	s_or_b32 exec_lo, exec_lo, s14
	; wave barrier
	s_wait_loadcnt_dscnt 0x0
	s_barrier_signal -1
	s_barrier_wait -1
	global_inv scope:SCOPE_SE
	ds_load_b32 v34, v9
	ds_load_b32 v35, v52
	;; [unrolled: 1-line block ×8, first 2 shown]
	s_wait_dscnt 0x6
	v_add_nc_u32_e32 v100, v35, v34
	s_wait_dscnt 0x4
	s_delay_alu instid0(VALU_DEP_1) | instskip(SKIP_1) | instid1(VALU_DEP_1)
	v_add3_u32 v100, v100, v36, v37
	s_wait_dscnt 0x2
	v_add3_u32 v100, v100, v38, v39
	s_wait_dscnt 0x0
	s_delay_alu instid0(VALU_DEP_1) | instskip(NEXT) | instid1(VALU_DEP_1)
	v_add3_u32 v99, v100, v33, v99
	v_mov_b32_dpp v100, v99 row_shr:1 row_mask:0xf bank_mask:0xf
	s_delay_alu instid0(VALU_DEP_1) | instskip(NEXT) | instid1(VALU_DEP_1)
	v_cndmask_b32_e64 v100, v100, 0, vcc_lo
	v_add_nc_u32_e32 v99, v100, v99
	s_delay_alu instid0(VALU_DEP_1) | instskip(NEXT) | instid1(VALU_DEP_1)
	v_mov_b32_dpp v100, v99 row_shr:2 row_mask:0xf bank_mask:0xf
	v_cndmask_b32_e64 v100, 0, v100, s0
	s_delay_alu instid0(VALU_DEP_1) | instskip(NEXT) | instid1(VALU_DEP_1)
	v_add_nc_u32_e32 v99, v99, v100
	v_mov_b32_dpp v100, v99 row_shr:4 row_mask:0xf bank_mask:0xf
	s_delay_alu instid0(VALU_DEP_1) | instskip(NEXT) | instid1(VALU_DEP_1)
	v_cndmask_b32_e64 v100, 0, v100, s1
	v_add_nc_u32_e32 v99, v99, v100
	s_delay_alu instid0(VALU_DEP_1) | instskip(NEXT) | instid1(VALU_DEP_1)
	v_mov_b32_dpp v100, v99 row_shr:8 row_mask:0xf bank_mask:0xf
	v_cndmask_b32_e64 v100, 0, v100, s3
	s_delay_alu instid0(VALU_DEP_1) | instskip(SKIP_3) | instid1(VALU_DEP_1)
	v_add_nc_u32_e32 v99, v99, v100
	ds_swizzle_b32 v100, v99 offset:swizzle(BROADCAST,32,15)
	s_wait_dscnt 0x0
	v_cndmask_b32_e64 v100, v100, 0, s4
	v_add_nc_u32_e32 v99, v99, v100
	s_and_saveexec_b32 s14, s5
; %bb.105:                              ;   in Loop: Header=BB191_96 Depth=1
	ds_store_b32 v70, v99
; %bb.106:                              ;   in Loop: Header=BB191_96 Depth=1
	s_wait_alu 0xfffe
	s_or_b32 exec_lo, exec_lo, s14
	s_wait_loadcnt_dscnt 0x0
	s_barrier_signal -1
	s_barrier_wait -1
	global_inv scope:SCOPE_SE
	s_and_saveexec_b32 s14, s6
	s_cbranch_execz .LBB191_108
; %bb.107:                              ;   in Loop: Header=BB191_96 Depth=1
	ds_load_b32 v100, v80
	s_wait_dscnt 0x0
	v_mov_b32_dpp v101, v100 row_shr:1 row_mask:0xf bank_mask:0xf
	s_delay_alu instid0(VALU_DEP_1) | instskip(NEXT) | instid1(VALU_DEP_1)
	v_cndmask_b32_e64 v101, v101, 0, s11
	v_add_nc_u32_e32 v100, v101, v100
	s_delay_alu instid0(VALU_DEP_1) | instskip(NEXT) | instid1(VALU_DEP_1)
	v_mov_b32_dpp v101, v100 row_shr:2 row_mask:0xf bank_mask:0xf
	v_cndmask_b32_e64 v101, 0, v101, s12
	s_delay_alu instid0(VALU_DEP_1) | instskip(NEXT) | instid1(VALU_DEP_1)
	v_add_nc_u32_e32 v100, v100, v101
	v_mov_b32_dpp v101, v100 row_shr:4 row_mask:0xf bank_mask:0xf
	s_delay_alu instid0(VALU_DEP_1) | instskip(NEXT) | instid1(VALU_DEP_1)
	v_cndmask_b32_e64 v101, 0, v101, s13
	v_add_nc_u32_e32 v100, v100, v101
	ds_store_b32 v80, v100
.LBB191_108:                            ;   in Loop: Header=BB191_96 Depth=1
	s_wait_alu 0xfffe
	s_or_b32 exec_lo, exec_lo, s14
	v_mov_b32_e32 v100, 0
	s_wait_loadcnt_dscnt 0x0
	s_barrier_signal -1
	s_barrier_wait -1
	global_inv scope:SCOPE_SE
	s_and_saveexec_b32 s14, s7
; %bb.109:                              ;   in Loop: Header=BB191_96 Depth=1
	ds_load_b32 v100, v82
; %bb.110:                              ;   in Loop: Header=BB191_96 Depth=1
	s_wait_alu 0xfffe
	s_or_b32 exec_lo, exec_lo, s14
	s_wait_dscnt 0x0
	v_dual_mov_b32 v102, v49 :: v_dual_add_nc_u32 v99, v100, v99
	v_add_nc_u32_e32 v10, 8, v10
	s_mov_b32 s20, -1
	v_mov_b32_e32 v103, v50
	ds_bpermute_b32 v99, v69, v99
	v_dual_mov_b32 v112, v51 :: v_dual_mov_b32 v113, v48
	s_wait_dscnt 0x0
	v_cndmask_b32_e64 v99, v99, v100, s2
	s_delay_alu instid0(VALU_DEP_1) | instskip(NEXT) | instid1(VALU_DEP_1)
	v_cndmask_b32_e64 v99, v99, 0, s10
	v_add_nc_u32_e32 v34, v99, v34
	s_delay_alu instid0(VALU_DEP_1) | instskip(SKIP_4) | instid1(VALU_DEP_1)
	v_add_nc_u32_e32 v35, v34, v35
	ds_store_b32 v9, v99
	ds_store_b32 v52, v34
	;; [unrolled: 1-line block ×3, first 2 shown]
	v_add_nc_u32_e32 v36, v35, v36
	v_add_nc_u32_e32 v37, v36, v37
	s_delay_alu instid0(VALU_DEP_1) | instskip(NEXT) | instid1(VALU_DEP_1)
	v_add_nc_u32_e32 v38, v37, v38
	v_add_nc_u32_e32 v39, v38, v39
	s_delay_alu instid0(VALU_DEP_1)
	v_add_nc_u32_e32 v33, v39, v33
	ds_store_b32 v55, v36
	ds_store_b32 v64, v37
	ds_store_b32 v65, v38
	ds_store_b32 v66, v39
	ds_store_b32 v67, v33
	s_wait_loadcnt_dscnt 0x0
	s_barrier_signal -1
	s_barrier_wait -1
	global_inv scope:SCOPE_SE
	ds_load_b32 v23, v23
	ds_load_b32 v26, v26
	;; [unrolled: 1-line block ×4, first 2 shown]
	s_wait_loadcnt_dscnt 0x0
	v_add_nc_u32_e32 v22, v23, v22
	v_add3_u32 v101, v25, v24, v26
	v_add3_u32 v100, v28, v27, v29
	;; [unrolled: 1-line block ×3, first 2 shown]
                                        ; implicit-def: $vgpr24_vgpr25
                                        ; implicit-def: $vgpr26_vgpr27
                                        ; implicit-def: $vgpr28_vgpr29
	s_delay_alu instid0(VALU_DEP_4)
	v_add_co_u32 v38, s15, v12, v22
	s_wait_alu 0xf1ff
	v_add_co_ci_u32_e64 v39, null, 0, v13, s15
	v_add_co_u32 v30, s15, v12, v101
	s_wait_alu 0xf1ff
	v_add_co_ci_u32_e64 v31, null, 0, v13, s15
	v_add_co_u32 v34, s15, v12, v100
	v_mad_co_u64_u32 v[32:33], null, v22, 7, v[38:39]
	s_wait_alu 0xf1ff
	v_add_co_ci_u32_e64 v35, null, 0, v13, s15
	v_add_co_u32 v36, s15, v12, v99
	s_wait_alu 0xf1ff
	v_add_co_ci_u32_e64 v37, null, 0, v13, s15
	s_mov_b32 s15, exec_lo
                                        ; implicit-def: $vgpr22_vgpr23
	v_cmpx_lt_u32_e64 v10, v11
	s_cbranch_execz .LBB191_95
; %bb.111:                              ;   in Loop: Header=BB191_96 Depth=1
	v_mad_co_u64_u32 v[22:23], null, v101, 7, v[30:31]
	v_mad_co_u64_u32 v[23:24], null, v100, 7, v[34:35]
	;; [unrolled: 1-line block ×3, first 2 shown]
	s_barrier_signal -1
	s_barrier_wait -1
	global_inv scope:SCOPE_SE
	ds_store_b8 v38, v49
	ds_store_b8 v30, v50
	;; [unrolled: 1-line block ×4, first 2 shown]
	s_wait_loadcnt_dscnt 0x0
	s_barrier_signal -1
	s_barrier_wait -1
	global_inv scope:SCOPE_SE
	ds_load_u8 v48, v85
	ds_load_u8 v51, v84
	;; [unrolled: 1-line block ×4, first 2 shown]
	s_wait_loadcnt_dscnt 0x0
	s_barrier_signal -1
	s_barrier_wait -1
	global_inv scope:SCOPE_SE
	ds_store_b64 v32, v[18:19]
	ds_store_b64 v22, v[15:16]
	;; [unrolled: 1-line block ×4, first 2 shown]
	s_wait_loadcnt_dscnt 0x0
	s_barrier_signal -1
	s_barrier_wait -1
	global_inv scope:SCOPE_SE
	ds_load_b64 v[24:25], v81
	ds_load_b64 v[26:27], v87
	;; [unrolled: 1-line block ×4, first 2 shown]
	v_add_nc_u32_e32 v98, -8, v98
	s_xor_b32 s20, exec_lo, -1
	s_wait_loadcnt_dscnt 0x0
	s_barrier_signal -1
	s_barrier_wait -1
	global_inv scope:SCOPE_SE
	s_branch .LBB191_95
.LBB191_112:
	flat_load_b64 v[30:31], v[4:5]
	s_wait_alu 0xfffe
	s_or_b32 exec_lo, exec_lo, s7
                                        ; implicit-def: $vgpr34_vgpr35
	s_and_saveexec_b32 s7, s0
	s_cbranch_execz .LBB191_20
.LBB191_113:
	flat_load_b64 v[34:35], v[4:5] offset:256
	s_wait_alu 0xfffe
	s_or_b32 exec_lo, exec_lo, s7
                                        ; implicit-def: $vgpr36_vgpr37
	s_and_saveexec_b32 s0, s1
	s_cbranch_execz .LBB191_21
.LBB191_114:
	flat_load_b64 v[36:37], v[4:5] offset:512
	s_wait_alu 0xfffe
	s_or_b32 exec_lo, exec_lo, s0
                                        ; implicit-def: $vgpr38_vgpr39
	s_and_saveexec_b32 s0, s2
	s_cbranch_execz .LBB191_22
.LBB191_115:
	flat_load_b64 v[38:39], v[4:5] offset:768
	s_wait_alu 0xfffe
	s_or_b32 exec_lo, exec_lo, s0
                                        ; implicit-def: $vgpr48_vgpr49
	s_and_saveexec_b32 s0, s3
	s_cbranch_execz .LBB191_23
.LBB191_116:
	flat_load_b64 v[48:49], v[4:5] offset:1024
	s_wait_alu 0xfffe
	s_or_b32 exec_lo, exec_lo, s0
                                        ; implicit-def: $vgpr50_vgpr51
	s_and_saveexec_b32 s0, s4
	s_cbranch_execz .LBB191_24
.LBB191_117:
	flat_load_b64 v[50:51], v[4:5] offset:1280
	s_wait_alu 0xfffe
	s_or_b32 exec_lo, exec_lo, s0
                                        ; implicit-def: $vgpr52_vgpr53
	s_and_saveexec_b32 s0, s5
	s_cbranch_execz .LBB191_25
.LBB191_118:
	flat_load_b64 v[52:53], v[4:5] offset:1536
	s_wait_alu 0xfffe
	s_or_b32 exec_lo, exec_lo, s0
                                        ; implicit-def: $vgpr32_vgpr33
	s_and_saveexec_b32 s0, s6
	s_cbranch_execnz .LBB191_26
	s_branch .LBB191_27
.LBB191_119:
	flat_store_b64 v[0:1], v[21:22]
	s_wait_alu 0xfffe
	s_or_b32 exec_lo, exec_lo, s7
	s_and_saveexec_b32 s7, s0
	s_cbranch_execz .LBB191_71
.LBB191_120:
	flat_store_b64 v[0:1], v[23:24] offset:2048
	s_wait_alu 0xfffe
	s_or_b32 exec_lo, exec_lo, s7
	s_and_saveexec_b32 s0, s1
	s_cbranch_execz .LBB191_72
.LBB191_121:
	flat_store_b64 v[0:1], v[17:18] offset:4096
	s_wait_alu 0xfffe
	s_or_b32 exec_lo, exec_lo, s0
	s_and_saveexec_b32 s0, s2
	s_cbranch_execz .LBB191_73
.LBB191_122:
	flat_store_b64 v[0:1], v[19:20] offset:6144
	s_wait_alu 0xfffe
	s_or_b32 exec_lo, exec_lo, s0
	s_and_saveexec_b32 s0, s3
	s_cbranch_execz .LBB191_74
.LBB191_123:
	flat_store_b64 v[0:1], v[13:14] offset:8192
	s_wait_alu 0xfffe
	s_or_b32 exec_lo, exec_lo, s0
	s_and_saveexec_b32 s0, s4
	s_cbranch_execz .LBB191_75
.LBB191_124:
	flat_store_b64 v[0:1], v[15:16] offset:10240
	s_wait_alu 0xfffe
	s_or_b32 exec_lo, exec_lo, s0
	s_and_saveexec_b32 s0, s5
	s_cbranch_execz .LBB191_76
.LBB191_125:
	flat_store_b64 v[0:1], v[9:10] offset:12288
	s_wait_alu 0xfffe
	s_or_b32 exec_lo, exec_lo, s0
	s_and_saveexec_b32 s0, s6
	s_cbranch_execnz .LBB191_77
	s_branch .LBB191_78
.LBB191_126:
	s_or_b32 exec_lo, exec_lo, s19
	v_mad_co_u64_u32 v[9:10], null, v101, 7, v[30:31]
	v_mad_co_u64_u32 v[10:11], null, v100, 7, v[34:35]
	v_add_nc_u32_e32 v13, v12, v14
	v_mad_co_u64_u32 v[11:12], null, v99, 7, v[36:37]
	v_mul_u32_u24_e32 v12, 7, v14
	s_barrier_signal -1
	s_barrier_wait -1
	s_wait_loadcnt 0x0
	global_inv scope:SCOPE_SE
	ds_store_b8 v38, v102
	ds_store_b8 v30, v103
	;; [unrolled: 1-line block ×4, first 2 shown]
	s_wait_loadcnt_dscnt 0x0
	s_barrier_signal -1
	s_barrier_wait -1
	global_inv scope:SCOPE_SE
	ds_load_u8 v25, v13
	ds_load_u8 v24, v13 offset:256
	ds_load_u8 v23, v13 offset:512
	;; [unrolled: 1-line block ×3, first 2 shown]
	s_wait_loadcnt_dscnt 0x0
	s_barrier_signal -1
	s_barrier_wait -1
	global_inv scope:SCOPE_SE
	ds_store_b64 v32, v[18:19]
	ds_store_b64 v9, v[15:16]
	;; [unrolled: 1-line block ×4, first 2 shown]
	v_mov_b32_e32 v18, 0
	v_add_nc_u32_e32 v4, v13, v12
	s_wait_loadcnt_dscnt 0x0
	s_barrier_signal -1
	s_barrier_wait -1
	global_inv scope:SCOPE_SE
	ds_load_2addr_stride64_b64 v[13:16], v4 offset1:4
	ds_load_2addr_stride64_b64 v[9:12], v4 offset0:8 offset1:12
	v_add_co_u32 v2, vcc_lo, v2, v8
	s_wait_alu 0xfffd
	v_add_co_ci_u32_e64 v3, null, 0, v3, vcc_lo
	s_wait_loadcnt_dscnt 0x0
	s_delay_alu instid0(VALU_DEP_2) | instskip(SKIP_1) | instid1(VALU_DEP_2)
	v_add_co_u32 v2, vcc_lo, v2, v17
	s_wait_alu 0xfffd
	v_add_co_ci_u32_e64 v3, null, 0, v3, vcc_lo
	v_cmp_lt_u32_e32 vcc_lo, v17, v86
	s_barrier_signal -1
	s_barrier_wait -1
	global_inv scope:SCOPE_SE
	s_and_saveexec_b32 s0, vcc_lo
	s_cbranch_execz .LBB191_128
; %bb.127:
	flat_store_b8 v[2:3], v25
.LBB191_128:
	s_wait_alu 0xfffe
	s_or_b32 exec_lo, exec_lo, s0
	v_add_nc_u32_e32 v4, 0x100, v17
	s_delay_alu instid0(VALU_DEP_1)
	v_cmp_lt_u32_e64 s0, v4, v86
	s_and_saveexec_b32 s1, s0
	s_cbranch_execz .LBB191_130
; %bb.129:
	flat_store_b8 v[2:3], v24 offset:256
.LBB191_130:
	s_wait_alu 0xfffe
	s_or_b32 exec_lo, exec_lo, s1
	v_add_nc_u32_e32 v4, 0x200, v17
	s_delay_alu instid0(VALU_DEP_1)
	v_cmp_lt_u32_e64 s1, v4, v86
	s_and_saveexec_b32 s2, s1
	s_cbranch_execz .LBB191_132
; %bb.131:
	flat_store_b8 v[2:3], v23 offset:512
.LBB191_132:
	;; [unrolled: 10-line block ×3, first 2 shown]
	s_wait_alu 0xfffe
	s_or_b32 exec_lo, exec_lo, s3
	v_lshlrev_b64_e32 v[2:3], 3, v[17:18]
	v_add_co_u32 v0, s3, v6, v0
	s_wait_alu 0xf1ff
	v_add_co_ci_u32_e64 v1, null, v7, v1, s3
	s_delay_alu instid0(VALU_DEP_2) | instskip(SKIP_1) | instid1(VALU_DEP_2)
	v_add_co_u32 v0, s3, v0, v2
	s_wait_alu 0xf1ff
	v_add_co_ci_u32_e64 v1, null, v1, v3, s3
	s_and_saveexec_b32 s3, vcc_lo
	s_cbranch_execnz .LBB191_167
; %bb.135:
	s_wait_alu 0xfffe
	s_or_b32 exec_lo, exec_lo, s3
	s_and_saveexec_b32 s3, s0
	s_cbranch_execnz .LBB191_168
.LBB191_136:
	s_wait_alu 0xfffe
	s_or_b32 exec_lo, exec_lo, s3
	s_and_saveexec_b32 s0, s1
	s_cbranch_execnz .LBB191_169
.LBB191_137:
	s_wait_alu 0xfffe
	s_or_b32 exec_lo, exec_lo, s0
	s_and_saveexec_b32 s0, s2
	s_cbranch_execz .LBB191_139
.LBB191_138:
	flat_store_b64 v[0:1], v[11:12] offset:6144
.LBB191_139:
	s_wait_alu 0xfffe
	s_or_b32 exec_lo, exec_lo, s0
                                        ; implicit-def: $vgpr86
                                        ; implicit-def: $vgpr0
                                        ; implicit-def: $vgpr1
                                        ; implicit-def: $vgpr2
                                        ; implicit-def: $vgpr3
                                        ; implicit-def: $vgpr4
                                        ; implicit-def: $vgpr5
                                        ; implicit-def: $vgpr6
                                        ; implicit-def: $vgpr7
                                        ; implicit-def: $vgpr8
                                        ; implicit-def: $vgpr10
                                        ; implicit-def: $vgpr11
                                        ; implicit-def: $vgpr12
                                        ; implicit-def: $vgpr13
                                        ; implicit-def: $vgpr9
                                        ; implicit-def: $vgpr15
                                        ; implicit-def: $vgpr14
                                        ; implicit-def: $vgpr54
.LBB191_140:
	s_wait_alu 0xfffe
	s_and_not1_saveexec_b32 s0, s17
	s_cbranch_execz .LBB191_199
; %bb.141:
	s_load_b64 s[0:1], s[8:9], 0x0
	s_and_b32 s2, ttmp7, 0xffff
	s_mov_b32 s3, 0
	s_wait_kmcnt 0x0
	s_wait_alu 0xfffe
	s_cmp_lt_u32 s2, s1
	s_cselect_b32 s2, 14, 20
	s_cmp_lt_u32 ttmp9, s0
	s_wait_alu 0xfffe
	s_add_nc_u64 s[4:5], s[8:9], s[2:3]
	s_cselect_b32 s2, 12, 18
	s_load_u16 s4, s[4:5], 0x0
	s_add_nc_u64 s[0:1], s[8:9], s[2:3]
	s_load_u16 s0, s[0:1], 0x0
	s_wait_kmcnt 0x0
	v_mad_u32_u24 v9, v15, s4, v9
	s_delay_alu instid0(VALU_DEP_1)
	v_mad_co_u64_u32 v[15:16], null, v9, s0, v[14:15]
	v_mov_b32_e32 v9, 0
	s_mov_b32 s0, exec_lo
	v_cmpx_lt_u32_e32 0x100, v86
	s_wait_alu 0xfffe
	s_xor_b32 s14, exec_lo, s0
	s_cbranch_execz .LBB191_179
; %bb.142:
	s_delay_alu instid0(VALU_DEP_3) | instskip(SKIP_3) | instid1(VALU_DEP_3)
	v_dual_mov_b32 v17, v9 :: v_dual_lshlrev_b32 v16, 1, v15
	v_add_co_u32 v0, vcc_lo, v0, v8
	s_wait_alu 0xfffd
	v_add_co_ci_u32_e64 v1, null, 0, v1, vcc_lo
	v_and_b32_e32 v16, 0xffffffc0, v16
	s_delay_alu instid0(VALU_DEP_3) | instskip(SKIP_1) | instid1(VALU_DEP_3)
	v_add_co_u32 v0, vcc_lo, v0, v54
	s_wait_alu 0xfffd
	v_add_co_ci_u32_e64 v1, null, 0, v1, vcc_lo
	s_delay_alu instid0(VALU_DEP_3) | instskip(NEXT) | instid1(VALU_DEP_3)
	v_or_b32_e32 v18, v54, v16
	v_add_co_u32 v0, vcc_lo, v0, v16
	s_wait_alu 0xfffd
	s_delay_alu instid0(VALU_DEP_3) | instskip(NEXT) | instid1(VALU_DEP_3)
	v_add_co_ci_u32_e64 v1, null, 0, v1, vcc_lo
	v_cmp_lt_u32_e32 vcc_lo, v18, v86
	v_dual_mov_b32 v29, 0xff :: v_dual_mov_b32 v30, 0xff
	s_and_saveexec_b32 s0, vcc_lo
	s_cbranch_execz .LBB191_144
; %bb.143:
	flat_load_u8 v30, v[0:1]
.LBB191_144:
	s_wait_alu 0xfffe
	s_or_b32 exec_lo, exec_lo, s0
	v_or_b32_e32 v18, 32, v18
	s_delay_alu instid0(VALU_DEP_1)
	v_cmp_lt_u32_e64 s0, v18, v86
	s_and_saveexec_b32 s1, s0
	s_cbranch_execz .LBB191_146
; %bb.145:
	flat_load_u8 v29, v[0:1] offset:32
.LBB191_146:
	s_wait_alu 0xfffe
	s_or_b32 exec_lo, exec_lo, s1
	v_lshlrev_b64_e32 v[0:1], 3, v[8:9]
	v_dual_mov_b32 v20, 0 :: v_dual_lshlrev_b32 v9, 3, v54
	v_lshlrev_b64_e32 v[16:17], 3, v[16:17]
	v_dual_mov_b32 v21, 0 :: v_dual_mov_b32 v18, 0
	s_delay_alu instid0(VALU_DEP_4) | instskip(SKIP_3) | instid1(VALU_DEP_3)
	v_add_co_u32 v4, s1, v4, v0
	s_wait_alu 0xf1ff
	v_add_co_ci_u32_e64 v5, null, v5, v1, s1
	v_mov_b32_e32 v19, 0
	v_add_co_u32 v4, s1, v4, v9
	s_wait_alu 0xf1ff
	s_delay_alu instid0(VALU_DEP_3) | instskip(NEXT) | instid1(VALU_DEP_2)
	v_add_co_ci_u32_e64 v5, null, 0, v5, s1
	v_add_co_u32 v4, s1, v4, v16
	s_wait_alu 0xf1ff
	s_delay_alu instid0(VALU_DEP_2)
	v_add_co_ci_u32_e64 v5, null, v5, v17, s1
	s_and_saveexec_b32 s1, vcc_lo
	s_cbranch_execz .LBB191_148
; %bb.147:
	flat_load_b64 v[18:19], v[4:5]
.LBB191_148:
	s_wait_alu 0xfffe
	s_or_b32 exec_lo, exec_lo, s1
	s_and_saveexec_b32 s1, s0
	s_cbranch_execz .LBB191_150
; %bb.149:
	flat_load_b64 v[20:21], v[4:5] offset:256
.LBB191_150:
	s_wait_alu 0xfffe
	s_or_b32 exec_lo, exec_lo, s1
	v_lshl_add_u32 v4, v14, 5, v12
	v_and_b32_e32 v5, 0x3e0, v14
	v_sub_co_u32 v17, s2, v54, 1
	v_and_b32_e32 v16, 15, v54
	s_delay_alu instid0(VALU_DEP_4)
	v_dual_mov_b32 v50, 0 :: v_dual_add_nc_u32 v9, 32, v4
	v_add_nc_u32_e32 v31, 36, v4
	v_add_nc_u32_e32 v32, 40, v4
	v_add_nc_u32_e32 v33, 44, v4
	v_add_nc_u32_e32 v34, 48, v4
	v_add_nc_u32_e32 v35, 52, v4
	v_add_nc_u32_e32 v36, 56, v4
	v_add_nc_u32_e32 v37, 60, v4
	v_min_u32_e32 v4, 0xe0, v5
	v_and_b32_e32 v5, 16, v54
	v_cmp_gt_i32_e64 s6, 0, v17
	s_getpc_b64 s[0:1]
	s_wait_alu 0xfffe
	s_sext_i32_i16 s1, s1
	s_add_co_u32 s0, s0, _ZN7rocprim17ROCPRIM_400000_NS16block_radix_sortIhLj256ELj2ElLj1ELj1ELj8ELNS0_26block_radix_rank_algorithmE2ELNS0_18block_padding_hintE2ELNS0_4arch9wavefront6targetE0EE19radix_bits_per_passE@rel32@lo+12
	s_wait_alu 0xfffe
	s_add_co_ci_u32 s1, s1, _ZN7rocprim17ROCPRIM_400000_NS16block_radix_sortIhLj256ELj2ElLj1ELj1ELj8ELNS0_26block_radix_rank_algorithmE2ELNS0_18block_padding_hintE2ELNS0_4arch9wavefront6targetE0EE19radix_bits_per_passE@rel32@hi+24
	v_cmp_eq_u32_e32 vcc_lo, 0, v16
	v_or_b32_e32 v4, 31, v4
	s_load_b32 s15, s[0:1], 0x0
	v_cmp_lt_u32_e64 s0, 1, v16
	v_cmp_lt_u32_e64 s1, 3, v16
	;; [unrolled: 1-line block ×3, first 2 shown]
	v_cmp_eq_u32_e64 s5, v14, v4
	v_lshlrev_b32_e32 v4, 1, v14
	v_cmp_eq_u32_e64 s4, 0, v5
	v_cndmask_b32_e64 v5, v17, v54, s6
	v_lshrrev_b32_e32 v16, 3, v14
	v_lshrrev_b32_e32 v38, 5, v15
	v_and_or_b32 v4, 0x7c0, v4, v54
	v_cmp_gt_u32_e64 s6, 8, v14
	v_lshlrev_b32_e32 v39, 2, v5
	v_and_b32_e32 v5, 0x7c, v16
	v_and_b32_e32 v16, 7, v54
	v_add_nc_u32_e32 v48, v12, v4
	v_mul_u32_u24_e32 v4, 7, v4
	v_cmp_lt_u32_e64 s7, 31, v14
	v_add_nc_u32_e32 v49, v12, v5
	v_cmp_eq_u32_e64 s8, 0, v14
	v_lshl_add_u32 v51, v14, 2, v12
	v_add_nc_u32_e32 v52, v48, v4
	v_cmp_eq_u32_e64 s9, 0, v16
	v_cmp_lt_u32_e64 s10, 1, v16
	v_cmp_lt_u32_e64 s11, 3, v16
	v_add_nc_u32_e32 v53, -4, v49
	v_add_nc_u32_e32 v54, 32, v48
	v_add_nc_u32_e32 v55, 0x100, v52
	v_sub_nc_u32_e32 v64, v11, v10
	s_mov_b32 s17, 0
	s_wait_storecnt 0x0
	s_wait_loadcnt_dscnt 0x0
	s_barrier_signal -1
	s_barrier_wait -1
	global_inv scope:SCOPE_SE
	s_branch .LBB191_152
.LBB191_151:                            ;   in Loop: Header=BB191_152 Depth=1
	s_wait_alu 0xfffe
	s_or_b32 exec_lo, exec_lo, s13
	s_delay_alu instid0(SALU_CYCLE_1)
	s_and_b32 s12, exec_lo, s18
	s_wait_alu 0xfffe
	s_or_b32 s17, s12, s17
	s_wait_alu 0xfffe
	s_and_not1_b32 exec_lo, exec_lo, s17
	s_cbranch_execz .LBB191_170
.LBB191_152:                            ; =>This Inner Loop Header: Depth=1
	s_wait_kmcnt 0x0
	v_min_u32_e32 v4, s15, v64
	v_and_b32_e32 v5, 0xff, v30
	ds_store_b32 v9, v50
	ds_store_b32 v31, v50
	;; [unrolled: 1-line block ×6, first 2 shown]
	v_lshlrev_b32_e64 v4, v4, -1
	v_lshrrev_b32_e32 v5, v10, v5
	ds_store_b32 v36, v50
	ds_store_b32 v37, v50
	s_wait_loadcnt_dscnt 0x0
	s_barrier_signal -1
	v_not_b32_e32 v22, v4
	s_barrier_wait -1
	global_inv scope:SCOPE_SE
	; wave barrier
	v_dual_mov_b32 v4, v20 :: v_dual_and_b32 v23, v5, v22
	s_delay_alu instid0(VALU_DEP_1)
	v_dual_mov_b32 v5, v21 :: v_dual_and_b32 v16, 1, v23
	v_lshlrev_b32_e32 v17, 30, v23
	v_lshlrev_b32_e32 v20, 29, v23
	;; [unrolled: 1-line block ×4, first 2 shown]
	v_add_co_u32 v16, s12, v16, -1
	s_wait_alu 0xf1ff
	v_cndmask_b32_e64 v24, 0, 1, s12
	v_not_b32_e32 v28, v17
	v_cmp_gt_i32_e64 s13, 0, v17
	v_not_b32_e32 v17, v20
	v_lshlrev_b32_e32 v26, 26, v23
	v_cmp_ne_u32_e64 s12, 0, v24
	v_ashrrev_i32_e32 v28, 31, v28
	v_lshlrev_b32_e32 v27, 25, v23
	v_ashrrev_i32_e32 v17, 31, v17
	v_lshlrev_b32_e32 v24, 24, v23
	s_wait_alu 0xf1ff
	v_xor_b32_e32 v16, s12, v16
	v_cmp_gt_i32_e64 s12, 0, v20
	v_not_b32_e32 v20, v21
	v_xor_b32_e32 v28, s13, v28
	v_cmp_gt_i32_e64 s13, 0, v21
	v_and_b32_e32 v16, exec_lo, v16
	v_not_b32_e32 v21, v25
	v_ashrrev_i32_e32 v20, 31, v20
	s_wait_alu 0xf1ff
	v_xor_b32_e32 v17, s12, v17
	v_cmp_gt_i32_e64 s12, 0, v25
	v_and_b32_e32 v16, v16, v28
	v_not_b32_e32 v25, v26
	v_ashrrev_i32_e32 v21, 31, v21
	v_xor_b32_e32 v20, s13, v20
	v_cmp_gt_i32_e64 s13, 0, v26
	v_and_b32_e32 v16, v16, v17
	v_not_b32_e32 v17, v27
	v_ashrrev_i32_e32 v25, 31, v25
	s_wait_alu 0xf1ff
	v_xor_b32_e32 v21, s12, v21
	v_cmp_gt_i32_e64 s12, 0, v27
	v_and_b32_e32 v16, v16, v20
	v_not_b32_e32 v20, v24
	v_ashrrev_i32_e32 v26, 31, v17
	v_xor_b32_e32 v25, s13, v25
	v_cmp_gt_i32_e64 s13, 0, v24
	v_dual_mov_b32 v16, v18 :: v_dual_and_b32 v21, v16, v21
	v_mov_b32_e32 v17, v19
	v_ashrrev_i32_e32 v18, 31, v20
	s_wait_alu 0xf1ff
	v_xor_b32_e32 v19, s12, v26
	v_and_b32_e32 v20, v21, v25
	v_lshlrev_b32_e32 v21, 3, v23
	v_xor_b32_e32 v18, s13, v18
	s_delay_alu instid0(VALU_DEP_3) | instskip(NEXT) | instid1(VALU_DEP_1)
	v_and_b32_e32 v19, v20, v19
	v_and_b32_e32 v20, v19, v18
	s_delay_alu instid0(VALU_DEP_4) | instskip(NEXT) | instid1(VALU_DEP_2)
	v_add_lshl_u32 v19, v21, v38, 2
	v_mbcnt_lo_u32_b32 v18, v20, 0
	s_delay_alu instid0(VALU_DEP_2) | instskip(SKIP_1) | instid1(VALU_DEP_3)
	v_add_co_u32 v19, null, v12, v19
	v_cmp_ne_u32_e64 s13, 0, v20
	v_cmp_eq_u32_e64 s12, 0, v18
	s_delay_alu instid0(VALU_DEP_3)
	v_add_co_u32 v19, null, v19, 32
	s_and_b32 s13, s13, s12
	s_wait_alu 0xfffe
	s_and_saveexec_b32 s12, s13
; %bb.153:                              ;   in Loop: Header=BB191_152 Depth=1
	v_bcnt_u32_b32 v20, v20, 0
	ds_store_b32 v19, v20
; %bb.154:                              ;   in Loop: Header=BB191_152 Depth=1
	s_wait_alu 0xfffe
	s_or_b32 exec_lo, exec_lo, s12
	v_and_b32_e32 v20, 0xff, v29
	; wave barrier
	s_delay_alu instid0(VALU_DEP_1) | instskip(NEXT) | instid1(VALU_DEP_1)
	v_lshrrev_b32_e32 v20, v10, v20
	v_and_b32_e32 v20, v20, v22
	s_delay_alu instid0(VALU_DEP_1)
	v_and_b32_e32 v21, 1, v20
	v_lshlrev_b32_e32 v22, 30, v20
	v_lshlrev_b32_e32 v23, 29, v20
	;; [unrolled: 1-line block ×4, first 2 shown]
	v_add_co_u32 v21, s12, v21, -1
	s_wait_alu 0xf1ff
	v_cndmask_b32_e64 v25, 0, 1, s12
	v_not_b32_e32 v65, v22
	v_cmp_gt_i32_e64 s13, 0, v22
	v_not_b32_e32 v22, v23
	v_lshlrev_b32_e32 v27, 26, v20
	v_cmp_ne_u32_e64 s12, 0, v25
	v_ashrrev_i32_e32 v65, 31, v65
	v_lshlrev_b32_e32 v28, 25, v20
	v_ashrrev_i32_e32 v22, 31, v22
	v_lshlrev_b32_e32 v25, 24, v20
	s_wait_alu 0xf1ff
	v_xor_b32_e32 v21, s12, v21
	v_cmp_gt_i32_e64 s12, 0, v23
	v_not_b32_e32 v23, v24
	v_xor_b32_e32 v65, s13, v65
	v_cmp_gt_i32_e64 s13, 0, v24
	v_and_b32_e32 v21, exec_lo, v21
	v_not_b32_e32 v24, v26
	v_ashrrev_i32_e32 v23, 31, v23
	s_wait_alu 0xf1ff
	v_xor_b32_e32 v22, s12, v22
	v_cmp_gt_i32_e64 s12, 0, v26
	v_and_b32_e32 v21, v21, v65
	v_not_b32_e32 v26, v27
	v_ashrrev_i32_e32 v24, 31, v24
	v_xor_b32_e32 v23, s13, v23
	v_cmp_gt_i32_e64 s13, 0, v27
	v_and_b32_e32 v21, v21, v22
	v_not_b32_e32 v22, v28
	v_ashrrev_i32_e32 v26, 31, v26
	s_wait_alu 0xf1ff
	v_xor_b32_e32 v24, s12, v24
	v_cmp_gt_i32_e64 s12, 0, v28
	v_and_b32_e32 v21, v21, v23
	v_not_b32_e32 v23, v25
	v_ashrrev_i32_e32 v22, 31, v22
	v_xor_b32_e32 v26, s13, v26
	v_lshl_add_u32 v20, v20, 3, v38
	v_and_b32_e32 v21, v21, v24
	v_cmp_gt_i32_e64 s13, 0, v25
	v_ashrrev_i32_e32 v23, 31, v23
	s_wait_alu 0xf1ff
	v_xor_b32_e32 v22, s12, v22
	v_lshl_add_u32 v24, v20, 2, v12
	v_and_b32_e32 v21, v21, v26
	v_xor_b32_e32 v23, s13, v23
	ds_load_b32 v20, v24 offset:32
	v_and_b32_e32 v21, v21, v22
	v_add_nc_u32_e32 v22, 32, v24
	; wave barrier
	s_delay_alu instid0(VALU_DEP_2) | instskip(NEXT) | instid1(VALU_DEP_1)
	v_and_b32_e32 v23, v21, v23
	v_mbcnt_lo_u32_b32 v21, v23, 0
	v_cmp_ne_u32_e64 s13, 0, v23
	s_delay_alu instid0(VALU_DEP_2)
	v_cmp_eq_u32_e64 s12, 0, v21
	s_and_b32 s13, s13, s12
	s_wait_alu 0xfffe
	s_and_saveexec_b32 s12, s13
	s_cbranch_execz .LBB191_156
; %bb.155:                              ;   in Loop: Header=BB191_152 Depth=1
	s_wait_dscnt 0x0
	v_bcnt_u32_b32 v23, v23, v20
	ds_store_b32 v22, v23
.LBB191_156:                            ;   in Loop: Header=BB191_152 Depth=1
	s_wait_alu 0xfffe
	s_or_b32 exec_lo, exec_lo, s12
	; wave barrier
	s_wait_loadcnt_dscnt 0x0
	s_barrier_signal -1
	s_barrier_wait -1
	global_inv scope:SCOPE_SE
	ds_load_b32 v24, v9
	ds_load_b32 v25, v31
	ds_load_b32 v26, v32
	ds_load_b32 v27, v33
	ds_load_b32 v28, v34
	ds_load_b32 v65, v35
	ds_load_b32 v23, v36
	ds_load_b32 v66, v37
	s_wait_dscnt 0x6
	v_add_nc_u32_e32 v67, v25, v24
	s_wait_dscnt 0x4
	s_delay_alu instid0(VALU_DEP_1) | instskip(SKIP_1) | instid1(VALU_DEP_1)
	v_add3_u32 v67, v67, v26, v27
	s_wait_dscnt 0x2
	v_add3_u32 v67, v67, v28, v65
	s_wait_dscnt 0x0
	s_delay_alu instid0(VALU_DEP_1) | instskip(NEXT) | instid1(VALU_DEP_1)
	v_add3_u32 v66, v67, v23, v66
	v_mov_b32_dpp v67, v66 row_shr:1 row_mask:0xf bank_mask:0xf
	s_delay_alu instid0(VALU_DEP_1) | instskip(NEXT) | instid1(VALU_DEP_1)
	v_cndmask_b32_e64 v67, v67, 0, vcc_lo
	v_add_nc_u32_e32 v66, v67, v66
	s_delay_alu instid0(VALU_DEP_1) | instskip(NEXT) | instid1(VALU_DEP_1)
	v_mov_b32_dpp v67, v66 row_shr:2 row_mask:0xf bank_mask:0xf
	v_cndmask_b32_e64 v67, 0, v67, s0
	s_delay_alu instid0(VALU_DEP_1) | instskip(NEXT) | instid1(VALU_DEP_1)
	v_add_nc_u32_e32 v66, v66, v67
	v_mov_b32_dpp v67, v66 row_shr:4 row_mask:0xf bank_mask:0xf
	s_delay_alu instid0(VALU_DEP_1) | instskip(NEXT) | instid1(VALU_DEP_1)
	v_cndmask_b32_e64 v67, 0, v67, s1
	v_add_nc_u32_e32 v66, v66, v67
	s_delay_alu instid0(VALU_DEP_1) | instskip(NEXT) | instid1(VALU_DEP_1)
	v_mov_b32_dpp v67, v66 row_shr:8 row_mask:0xf bank_mask:0xf
	v_cndmask_b32_e64 v67, 0, v67, s3
	s_delay_alu instid0(VALU_DEP_1) | instskip(SKIP_3) | instid1(VALU_DEP_1)
	v_add_nc_u32_e32 v66, v66, v67
	ds_swizzle_b32 v67, v66 offset:swizzle(BROADCAST,32,15)
	s_wait_dscnt 0x0
	v_cndmask_b32_e64 v67, v67, 0, s4
	v_add_nc_u32_e32 v66, v66, v67
	s_and_saveexec_b32 s12, s5
; %bb.157:                              ;   in Loop: Header=BB191_152 Depth=1
	ds_store_b32 v49, v66
; %bb.158:                              ;   in Loop: Header=BB191_152 Depth=1
	s_wait_alu 0xfffe
	s_or_b32 exec_lo, exec_lo, s12
	s_wait_loadcnt_dscnt 0x0
	s_barrier_signal -1
	s_barrier_wait -1
	global_inv scope:SCOPE_SE
	s_and_saveexec_b32 s12, s6
	s_cbranch_execz .LBB191_160
; %bb.159:                              ;   in Loop: Header=BB191_152 Depth=1
	ds_load_b32 v67, v51
	s_wait_dscnt 0x0
	v_mov_b32_dpp v68, v67 row_shr:1 row_mask:0xf bank_mask:0xf
	s_delay_alu instid0(VALU_DEP_1) | instskip(NEXT) | instid1(VALU_DEP_1)
	v_cndmask_b32_e64 v68, v68, 0, s9
	v_add_nc_u32_e32 v67, v68, v67
	s_delay_alu instid0(VALU_DEP_1) | instskip(NEXT) | instid1(VALU_DEP_1)
	v_mov_b32_dpp v68, v67 row_shr:2 row_mask:0xf bank_mask:0xf
	v_cndmask_b32_e64 v68, 0, v68, s10
	s_delay_alu instid0(VALU_DEP_1) | instskip(NEXT) | instid1(VALU_DEP_1)
	v_add_nc_u32_e32 v67, v67, v68
	v_mov_b32_dpp v68, v67 row_shr:4 row_mask:0xf bank_mask:0xf
	s_delay_alu instid0(VALU_DEP_1) | instskip(NEXT) | instid1(VALU_DEP_1)
	v_cndmask_b32_e64 v68, 0, v68, s11
	v_add_nc_u32_e32 v67, v67, v68
	ds_store_b32 v51, v67
.LBB191_160:                            ;   in Loop: Header=BB191_152 Depth=1
	s_wait_alu 0xfffe
	s_or_b32 exec_lo, exec_lo, s12
	v_mov_b32_e32 v67, 0
	s_wait_loadcnt_dscnt 0x0
	s_barrier_signal -1
	s_barrier_wait -1
	global_inv scope:SCOPE_SE
	s_and_saveexec_b32 s12, s7
; %bb.161:                              ;   in Loop: Header=BB191_152 Depth=1
	ds_load_b32 v67, v53
; %bb.162:                              ;   in Loop: Header=BB191_152 Depth=1
	s_wait_alu 0xfffe
	s_or_b32 exec_lo, exec_lo, s12
	s_wait_dscnt 0x0
	v_add_nc_u32_e32 v66, v67, v66
	v_add_nc_u32_e32 v10, 8, v10
	s_mov_b32 s18, -1
	s_mov_b32 s13, exec_lo
	ds_bpermute_b32 v66, v39, v66
	s_wait_dscnt 0x0
	v_cndmask_b32_e64 v66, v66, v67, s2
	s_delay_alu instid0(VALU_DEP_1) | instskip(NEXT) | instid1(VALU_DEP_1)
	v_cndmask_b32_e64 v66, v66, 0, s8
	v_add_nc_u32_e32 v24, v66, v24
	s_delay_alu instid0(VALU_DEP_1) | instskip(SKIP_4) | instid1(VALU_DEP_1)
	v_add_nc_u32_e32 v25, v24, v25
	ds_store_b32 v9, v66
	ds_store_b32 v31, v24
	;; [unrolled: 1-line block ×3, first 2 shown]
	v_add_nc_u32_e32 v26, v25, v26
	v_add_nc_u32_e32 v27, v26, v27
	s_delay_alu instid0(VALU_DEP_1) | instskip(NEXT) | instid1(VALU_DEP_1)
	v_add_nc_u32_e32 v28, v27, v28
	v_add_nc_u32_e32 v65, v28, v65
	s_delay_alu instid0(VALU_DEP_1)
	v_add_nc_u32_e32 v23, v65, v23
	ds_store_b32 v33, v26
	ds_store_b32 v34, v27
	;; [unrolled: 1-line block ×5, first 2 shown]
	s_wait_loadcnt_dscnt 0x0
	s_barrier_signal -1
	s_barrier_wait -1
	global_inv scope:SCOPE_SE
	ds_load_b32 v19, v19
	ds_load_b32 v22, v22
	s_wait_loadcnt_dscnt 0x0
	v_add_nc_u32_e32 v18, v19, v18
	v_add3_u32 v19, v21, v20, v22
                                        ; implicit-def: $vgpr20_vgpr21
	s_delay_alu instid0(VALU_DEP_2) | instskip(SKIP_2) | instid1(VALU_DEP_3)
	v_add_co_u32 v25, s12, v12, v18
	s_wait_alu 0xf1ff
	v_add_co_ci_u32_e64 v26, null, 0, v13, s12
	v_add_co_u32 v27, s12, v12, v19
	s_wait_alu 0xf1ff
	v_add_co_ci_u32_e64 v28, null, 0, v13, s12
	s_delay_alu instid0(VALU_DEP_3) | instskip(SKIP_1) | instid1(VALU_DEP_3)
	v_mad_co_u64_u32 v[22:23], null, v18, 7, v[25:26]
	v_mov_b32_e32 v26, v29
	v_mad_co_u64_u32 v[23:24], null, v19, 7, v[27:28]
	v_mov_b32_e32 v24, v30
                                        ; implicit-def: $vgpr18_vgpr19
	v_cmpx_lt_u32_e64 v10, v11
	s_cbranch_execz .LBB191_151
; %bb.163:                              ;   in Loop: Header=BB191_152 Depth=1
	s_barrier_signal -1
	s_barrier_wait -1
	global_inv scope:SCOPE_SE
	ds_store_b8 v25, v30
	ds_store_b8 v27, v29
	s_wait_loadcnt_dscnt 0x0
	s_barrier_signal -1
	s_barrier_wait -1
	global_inv scope:SCOPE_SE
	ds_load_u8 v29, v54
	ds_load_u8 v30, v48
	s_wait_loadcnt_dscnt 0x0
	s_barrier_signal -1
	s_barrier_wait -1
	global_inv scope:SCOPE_SE
	ds_store_b64 v22, v[16:17]
	ds_store_b64 v23, v[4:5]
	s_wait_loadcnt_dscnt 0x0
	s_barrier_signal -1
	s_barrier_wait -1
	global_inv scope:SCOPE_SE
	ds_load_b64 v[18:19], v52
	ds_load_b64 v[20:21], v55
	v_add_nc_u32_e32 v64, -8, v64
	s_xor_b32 s18, exec_lo, -1
	s_wait_loadcnt_dscnt 0x0
	s_barrier_signal -1
	s_barrier_wait -1
	global_inv scope:SCOPE_SE
	s_branch .LBB191_151
.LBB191_164:
	flat_load_b64 v[24:25], v[4:5]
	s_wait_alu 0xfffe
	s_or_b32 exec_lo, exec_lo, s3
                                        ; implicit-def: $vgpr26_vgpr27
	s_and_saveexec_b32 s3, s0
	s_cbranch_execz .LBB191_91
.LBB191_165:
	flat_load_b64 v[26:27], v[4:5] offset:256
	s_wait_alu 0xfffe
	s_or_b32 exec_lo, exec_lo, s3
                                        ; implicit-def: $vgpr28_vgpr29
	s_and_saveexec_b32 s0, s1
	s_cbranch_execz .LBB191_92
.LBB191_166:
	flat_load_b64 v[28:29], v[4:5] offset:512
	s_wait_alu 0xfffe
	s_or_b32 exec_lo, exec_lo, s0
                                        ; implicit-def: $vgpr22_vgpr23
	s_and_saveexec_b32 s0, s2
	s_cbranch_execnz .LBB191_93
	s_branch .LBB191_94
.LBB191_167:
	flat_store_b64 v[0:1], v[13:14]
	s_wait_alu 0xfffe
	s_or_b32 exec_lo, exec_lo, s3
	s_and_saveexec_b32 s3, s0
	s_cbranch_execz .LBB191_136
.LBB191_168:
	flat_store_b64 v[0:1], v[15:16] offset:2048
	s_wait_alu 0xfffe
	s_or_b32 exec_lo, exec_lo, s3
	s_and_saveexec_b32 s0, s1
	s_cbranch_execz .LBB191_137
.LBB191_169:
	flat_store_b64 v[0:1], v[9:10] offset:4096
	s_wait_alu 0xfffe
	s_or_b32 exec_lo, exec_lo, s0
	s_and_saveexec_b32 s0, s2
	s_cbranch_execnz .LBB191_138
	s_branch .LBB191_139
.LBB191_170:
	s_or_b32 exec_lo, exec_lo, s17
	v_add_nc_u32_e32 v9, v12, v14
	v_mul_u32_u24_e32 v10, 7, v14
	s_barrier_signal -1
	s_barrier_wait -1
	s_wait_loadcnt 0x0
	global_inv scope:SCOPE_SE
	ds_store_b8 v25, v24
	ds_store_b8 v27, v26
	s_wait_loadcnt_dscnt 0x0
	s_barrier_signal -1
	s_barrier_wait -1
	global_inv scope:SCOPE_SE
	ds_load_u8 v18, v9
	ds_load_u8 v13, v9 offset:256
	s_wait_loadcnt_dscnt 0x0
	s_barrier_signal -1
	s_barrier_wait -1
	global_inv scope:SCOPE_SE
	ds_store_b64 v22, v[16:17]
	ds_store_b64 v23, v[4:5]
	v_mov_b32_e32 v16, 0
	v_add_nc_u32_e32 v4, v9, v10
	s_wait_loadcnt_dscnt 0x0
	s_barrier_signal -1
	s_barrier_wait -1
	global_inv scope:SCOPE_SE
	ds_load_2addr_stride64_b64 v[9:12], v4 offset1:4
	v_add_co_u32 v2, vcc_lo, v2, v8
	s_wait_alu 0xfffd
	v_add_co_ci_u32_e64 v3, null, 0, v3, vcc_lo
	s_wait_loadcnt_dscnt 0x0
	s_delay_alu instid0(VALU_DEP_2) | instskip(SKIP_1) | instid1(VALU_DEP_2)
	v_add_co_u32 v2, vcc_lo, v2, v15
	s_wait_alu 0xfffd
	v_add_co_ci_u32_e64 v3, null, 0, v3, vcc_lo
	v_cmp_lt_u32_e32 vcc_lo, v15, v86
	s_barrier_signal -1
	s_barrier_wait -1
	global_inv scope:SCOPE_SE
	s_and_saveexec_b32 s0, vcc_lo
	s_cbranch_execz .LBB191_172
; %bb.171:
	flat_store_b8 v[2:3], v18
.LBB191_172:
	s_wait_alu 0xfffe
	s_or_b32 exec_lo, exec_lo, s0
	v_add_nc_u32_e32 v4, 0x100, v15
	s_delay_alu instid0(VALU_DEP_1)
	v_cmp_lt_u32_e64 s0, v4, v86
	s_and_saveexec_b32 s1, s0
	s_cbranch_execz .LBB191_174
; %bb.173:
	flat_store_b8 v[2:3], v13 offset:256
.LBB191_174:
	s_wait_alu 0xfffe
	s_or_b32 exec_lo, exec_lo, s1
	v_lshlrev_b64_e32 v[2:3], 3, v[15:16]
	v_add_co_u32 v0, s1, v6, v0
	s_wait_alu 0xf1ff
	v_add_co_ci_u32_e64 v1, null, v7, v1, s1
	s_delay_alu instid0(VALU_DEP_2) | instskip(SKIP_1) | instid1(VALU_DEP_2)
	v_add_co_u32 v0, s1, v0, v2
	s_wait_alu 0xf1ff
	v_add_co_ci_u32_e64 v1, null, v1, v3, s1
	s_and_saveexec_b32 s1, vcc_lo
	s_cbranch_execz .LBB191_176
; %bb.175:
	flat_store_b64 v[0:1], v[9:10]
.LBB191_176:
	s_wait_alu 0xfffe
	s_or_b32 exec_lo, exec_lo, s1
	s_and_saveexec_b32 s1, s0
	s_cbranch_execz .LBB191_178
; %bb.177:
	flat_store_b64 v[0:1], v[11:12] offset:2048
.LBB191_178:
	s_wait_alu 0xfffe
	s_or_b32 exec_lo, exec_lo, s1
                                        ; implicit-def: $vgpr15_vgpr16
                                        ; implicit-def: $vgpr8_vgpr9
                                        ; implicit-def: $vgpr86
                                        ; implicit-def: $vgpr0
                                        ; implicit-def: $vgpr1
                                        ; implicit-def: $vgpr2
                                        ; implicit-def: $vgpr3
                                        ; implicit-def: $vgpr4
                                        ; implicit-def: $vgpr5
                                        ; implicit-def: $vgpr6
                                        ; implicit-def: $vgpr7
                                        ; implicit-def: $vgpr10
                                        ; implicit-def: $vgpr11
                                        ; implicit-def: $vgpr12
                                        ; implicit-def: $vgpr13
                                        ; implicit-def: $vgpr14
                                        ; implicit-def: $vgpr54
.LBB191_179:
	s_wait_alu 0xfffe
	s_and_not1_saveexec_b32 s0, s14
	s_cbranch_execz .LBB191_199
; %bb.180:
	v_and_b32_e32 v18, 0xffffffe0, v15
	v_mov_b32_e32 v37, 0xff
	s_delay_alu instid0(VALU_DEP_2) | instskip(NEXT) | instid1(VALU_DEP_1)
	v_or_b32_e32 v16, v54, v18
	v_cmp_lt_u32_e32 vcc_lo, v16, v86
	s_and_saveexec_b32 s1, vcc_lo
	s_cbranch_execz .LBB191_182
; %bb.181:
	v_add_co_u32 v0, s0, v0, v8
	s_wait_alu 0xf1fe
	v_add_co_ci_u32_e64 v1, null, 0, v1, s0
	s_delay_alu instid0(VALU_DEP_2) | instskip(SKIP_1) | instid1(VALU_DEP_2)
	v_add_co_u32 v0, s0, v0, v54
	s_wait_alu 0xf1ff
	v_add_co_ci_u32_e64 v1, null, 0, v1, s0
	s_delay_alu instid0(VALU_DEP_2) | instskip(SKIP_1) | instid1(VALU_DEP_2)
	v_add_co_u32 v0, s0, v0, v18
	s_wait_alu 0xf1ff
	v_add_co_ci_u32_e64 v1, null, 0, v1, s0
	flat_load_u8 v37, v[0:1]
.LBB191_182:
	s_wait_alu 0xfffe
	s_or_b32 exec_lo, exec_lo, s1
	v_lshlrev_b64_e32 v[0:1], 3, v[8:9]
                                        ; implicit-def: $vgpr16_vgpr17
	s_and_saveexec_b32 s0, vcc_lo
	s_cbranch_execz .LBB191_184
; %bb.183:
	v_mov_b32_e32 v19, 0
	v_lshlrev_b32_e32 v9, 3, v54
	s_delay_alu instid0(VALU_DEP_3) | instskip(SKIP_3) | instid1(VALU_DEP_3)
	v_add_co_u32 v16, vcc_lo, v4, v0
	s_wait_alu 0xfffd
	v_add_co_ci_u32_e64 v17, null, v5, v1, vcc_lo
	v_lshlrev_b64_e32 v[4:5], 3, v[18:19]
	v_add_co_u32 v9, vcc_lo, v16, v9
	s_wait_alu 0xfffd
	s_delay_alu instid0(VALU_DEP_3) | instskip(NEXT) | instid1(VALU_DEP_2)
	v_add_co_ci_u32_e64 v16, null, 0, v17, vcc_lo
	v_add_co_u32 v4, vcc_lo, v9, v4
	s_wait_alu 0xfffd
	s_delay_alu instid0(VALU_DEP_2)
	v_add_co_ci_u32_e64 v5, null, v16, v5, vcc_lo
	flat_load_b64 v[16:17], v[4:5]
.LBB191_184:
	s_wait_alu 0xfffe
	s_or_b32 exec_lo, exec_lo, s0
	v_lshl_add_u32 v4, v14, 5, v12
	v_and_b32_e32 v5, 15, v54
	v_sub_co_u32 v28, s2, v54, 1
	s_getpc_b64 s[0:1]
	s_wait_alu 0xfffe
	s_sext_i32_i16 s1, s1
	s_add_co_u32 s0, s0, _ZN7rocprim17ROCPRIM_400000_NS16block_radix_sortIhLj256ELj1ElLj1ELj1ELj8ELNS0_26block_radix_rank_algorithmE2ELNS0_18block_padding_hintE2ELNS0_4arch9wavefront6targetE0EE19radix_bits_per_passE@rel32@lo+12
	s_wait_alu 0xfffe
	s_add_co_ci_u32 s1, s1, _ZN7rocprim17ROCPRIM_400000_NS16block_radix_sortIhLj256ELj1ElLj1ELj1ELj8ELNS0_26block_radix_rank_algorithmE2ELNS0_18block_padding_hintE2ELNS0_4arch9wavefront6targetE0EE19radix_bits_per_passE@rel32@hi+24
	v_dual_mov_b32 v30, 0 :: v_dual_add_nc_u32 v9, 32, v4
	v_add_nc_u32_e32 v20, 36, v4
	v_add_nc_u32_e32 v21, 40, v4
	;; [unrolled: 1-line block ×7, first 2 shown]
	v_and_b32_e32 v4, 0x3e0, v14
	s_load_b32 s14, s[0:1], 0x0
	v_cmp_eq_u32_e32 vcc_lo, 0, v5
	v_cmp_lt_u32_e64 s0, 1, v5
	v_cmp_lt_u32_e64 s1, 3, v5
	v_min_u32_e32 v18, 0xe0, v4
	v_and_b32_e32 v19, 16, v54
	v_cmp_lt_u32_e64 s3, 7, v5
	v_cmp_gt_i32_e64 s5, 0, v28
	v_or_b32_e32 v4, v54, v4
	v_or_b32_e32 v5, 31, v18
	v_lshrrev_b32_e32 v18, 3, v14
	v_cmp_eq_u32_e64 s4, 0, v19
	s_wait_alu 0xf1ff
	v_cndmask_b32_e64 v19, v28, v54, s5
	v_add_nc_u32_e32 v32, v12, v4
	v_cmp_eq_u32_e64 s5, v14, v5
	v_and_b32_e32 v5, 0x7c, v18
	v_mul_u32_u24_e32 v4, 7, v4
	v_lshrrev_b32_e32 v27, 5, v15
	v_cmp_gt_u32_e64 s6, 8, v14
	v_cmp_lt_u32_e64 s7, 31, v14
	v_add_nc_u32_e32 v29, v12, v5
	v_and_b32_e32 v5, 7, v54
	v_lshlrev_b32_e32 v28, 2, v19
	v_cmp_eq_u32_e64 s8, 0, v14
	v_lshl_add_u32 v31, v14, 2, v12
	v_add_nc_u32_e32 v33, -4, v29
	v_cmp_eq_u32_e64 s9, 0, v5
	v_cmp_lt_u32_e64 s10, 1, v5
	v_cmp_lt_u32_e64 s11, 3, v5
	v_add_nc_u32_e32 v34, v32, v4
	v_sub_nc_u32_e32 v35, v11, v10
	s_mov_b32 s15, 0
	s_wait_storecnt 0x0
	s_wait_loadcnt_dscnt 0x0
	s_barrier_signal -1
	s_barrier_wait -1
	global_inv scope:SCOPE_SE
	s_branch .LBB191_186
.LBB191_185:                            ;   in Loop: Header=BB191_186 Depth=1
	s_wait_alu 0xfffe
	s_or_b32 exec_lo, exec_lo, s13
	s_delay_alu instid0(SALU_CYCLE_1)
	s_and_b32 s12, exec_lo, s17
	s_wait_alu 0xfffe
	s_or_b32 s15, s12, s15
	s_wait_alu 0xfffe
	s_and_not1_b32 exec_lo, exec_lo, s15
	s_cbranch_execz .LBB191_196
.LBB191_186:                            ; =>This Inner Loop Header: Depth=1
	v_mov_b32_e32 v36, v37
	s_wait_kmcnt 0x0
	v_min_u32_e32 v5, s14, v35
	ds_store_b32 v9, v30
	ds_store_b32 v20, v30
	;; [unrolled: 1-line block ×6, first 2 shown]
	v_and_b32_e32 v4, 0xff, v36
	ds_store_b32 v25, v30
	ds_store_b32 v26, v30
	s_wait_loadcnt_dscnt 0x0
	s_barrier_signal -1
	s_barrier_wait -1
	v_lshrrev_b32_e32 v4, v10, v4
	global_inv scope:SCOPE_SE
	; wave barrier
	v_bfe_u32 v18, v4, 0, v5
	s_delay_alu instid0(VALU_DEP_1)
	v_and_b32_e32 v4, 1, v18
	v_lshlrev_b32_e32 v5, 30, v18
	v_lshlrev_b32_e32 v19, 29, v18
	;; [unrolled: 1-line block ×4, first 2 shown]
	v_add_co_u32 v4, s12, v4, -1
	s_wait_alu 0xf1ff
	v_cndmask_b32_e64 v38, 0, 1, s12
	v_not_b32_e32 v50, v5
	v_cmp_gt_i32_e64 s13, 0, v5
	v_not_b32_e32 v5, v19
	v_lshlrev_b32_e32 v48, 26, v18
	v_cmp_ne_u32_e64 s12, 0, v38
	v_ashrrev_i32_e32 v50, 31, v50
	v_lshlrev_b32_e32 v49, 25, v18
	v_ashrrev_i32_e32 v5, 31, v5
	v_lshlrev_b32_e32 v38, 24, v18
	s_wait_alu 0xf1ff
	v_xor_b32_e32 v4, s12, v4
	v_cmp_gt_i32_e64 s12, 0, v19
	v_not_b32_e32 v19, v37
	v_xor_b32_e32 v50, s13, v50
	v_cmp_gt_i32_e64 s13, 0, v37
	v_and_b32_e32 v4, exec_lo, v4
	v_not_b32_e32 v37, v39
	v_ashrrev_i32_e32 v19, 31, v19
	s_wait_alu 0xf1ff
	v_xor_b32_e32 v5, s12, v5
	v_cmp_gt_i32_e64 s12, 0, v39
	v_and_b32_e32 v4, v4, v50
	v_not_b32_e32 v39, v48
	v_ashrrev_i32_e32 v37, 31, v37
	v_xor_b32_e32 v19, s13, v19
	v_cmp_gt_i32_e64 s13, 0, v48
	v_and_b32_e32 v4, v4, v5
	v_not_b32_e32 v5, v49
	v_ashrrev_i32_e32 v39, 31, v39
	s_wait_alu 0xf1ff
	v_xor_b32_e32 v37, s12, v37
	v_cmp_gt_i32_e64 s12, 0, v49
	v_and_b32_e32 v4, v4, v19
	v_not_b32_e32 v19, v38
	v_ashrrev_i32_e32 v48, 31, v5
	v_xor_b32_e32 v39, s13, v39
	v_cmp_gt_i32_e64 s13, 0, v38
	v_and_b32_e32 v37, v4, v37
	v_dual_mov_b32 v4, v16 :: v_dual_mov_b32 v5, v17
	v_ashrrev_i32_e32 v16, 31, v19
	s_wait_alu 0xf1ff
	v_xor_b32_e32 v17, s12, v48
	v_and_b32_e32 v19, v37, v39
	s_delay_alu instid0(VALU_DEP_3) | instskip(NEXT) | instid1(VALU_DEP_2)
	v_xor_b32_e32 v16, s13, v16
	v_and_b32_e32 v17, v19, v17
	v_lshlrev_b32_e32 v19, 3, v18
	s_delay_alu instid0(VALU_DEP_2) | instskip(NEXT) | instid1(VALU_DEP_2)
	v_and_b32_e32 v18, v17, v16
	v_add_lshl_u32 v17, v19, v27, 2
	s_delay_alu instid0(VALU_DEP_2) | instskip(NEXT) | instid1(VALU_DEP_2)
	v_mbcnt_lo_u32_b32 v16, v18, 0
	v_add_co_u32 v17, null, v12, v17
	v_cmp_ne_u32_e64 s13, 0, v18
	s_delay_alu instid0(VALU_DEP_3) | instskip(NEXT) | instid1(VALU_DEP_3)
	v_cmp_eq_u32_e64 s12, 0, v16
	v_add_co_u32 v17, null, v17, 32
	s_and_b32 s13, s13, s12
	s_wait_alu 0xfffe
	s_and_saveexec_b32 s12, s13
; %bb.187:                              ;   in Loop: Header=BB191_186 Depth=1
	v_bcnt_u32_b32 v18, v18, 0
	ds_store_b32 v17, v18
; %bb.188:                              ;   in Loop: Header=BB191_186 Depth=1
	s_wait_alu 0xfffe
	s_or_b32 exec_lo, exec_lo, s12
	; wave barrier
	s_wait_loadcnt_dscnt 0x0
	s_barrier_signal -1
	s_barrier_wait -1
	global_inv scope:SCOPE_SE
	ds_load_b32 v19, v9
	ds_load_b32 v37, v20
	;; [unrolled: 1-line block ×8, first 2 shown]
	s_wait_dscnt 0x6
	v_add_nc_u32_e32 v51, v37, v19
	s_wait_dscnt 0x4
	s_delay_alu instid0(VALU_DEP_1) | instskip(SKIP_1) | instid1(VALU_DEP_1)
	v_add3_u32 v51, v51, v38, v39
	s_wait_dscnt 0x2
	v_add3_u32 v51, v51, v48, v49
	s_wait_dscnt 0x0
	s_delay_alu instid0(VALU_DEP_1) | instskip(NEXT) | instid1(VALU_DEP_1)
	v_add3_u32 v50, v51, v18, v50
	v_mov_b32_dpp v51, v50 row_shr:1 row_mask:0xf bank_mask:0xf
	s_wait_alu 0xfffd
	s_delay_alu instid0(VALU_DEP_1) | instskip(NEXT) | instid1(VALU_DEP_1)
	v_cndmask_b32_e64 v51, v51, 0, vcc_lo
	v_add_nc_u32_e32 v50, v51, v50
	s_delay_alu instid0(VALU_DEP_1) | instskip(NEXT) | instid1(VALU_DEP_1)
	v_mov_b32_dpp v51, v50 row_shr:2 row_mask:0xf bank_mask:0xf
	v_cndmask_b32_e64 v51, 0, v51, s0
	s_delay_alu instid0(VALU_DEP_1) | instskip(NEXT) | instid1(VALU_DEP_1)
	v_add_nc_u32_e32 v50, v50, v51
	v_mov_b32_dpp v51, v50 row_shr:4 row_mask:0xf bank_mask:0xf
	s_delay_alu instid0(VALU_DEP_1) | instskip(NEXT) | instid1(VALU_DEP_1)
	v_cndmask_b32_e64 v51, 0, v51, s1
	v_add_nc_u32_e32 v50, v50, v51
	s_delay_alu instid0(VALU_DEP_1) | instskip(NEXT) | instid1(VALU_DEP_1)
	v_mov_b32_dpp v51, v50 row_shr:8 row_mask:0xf bank_mask:0xf
	v_cndmask_b32_e64 v51, 0, v51, s3
	s_delay_alu instid0(VALU_DEP_1) | instskip(SKIP_3) | instid1(VALU_DEP_1)
	v_add_nc_u32_e32 v50, v50, v51
	ds_swizzle_b32 v51, v50 offset:swizzle(BROADCAST,32,15)
	s_wait_dscnt 0x0
	v_cndmask_b32_e64 v51, v51, 0, s4
	v_add_nc_u32_e32 v50, v50, v51
	s_and_saveexec_b32 s12, s5
; %bb.189:                              ;   in Loop: Header=BB191_186 Depth=1
	ds_store_b32 v29, v50
; %bb.190:                              ;   in Loop: Header=BB191_186 Depth=1
	s_wait_alu 0xfffe
	s_or_b32 exec_lo, exec_lo, s12
	s_wait_loadcnt_dscnt 0x0
	s_barrier_signal -1
	s_barrier_wait -1
	global_inv scope:SCOPE_SE
	s_and_saveexec_b32 s12, s6
	s_cbranch_execz .LBB191_192
; %bb.191:                              ;   in Loop: Header=BB191_186 Depth=1
	ds_load_b32 v51, v31
	s_wait_dscnt 0x0
	v_mov_b32_dpp v52, v51 row_shr:1 row_mask:0xf bank_mask:0xf
	s_delay_alu instid0(VALU_DEP_1) | instskip(NEXT) | instid1(VALU_DEP_1)
	v_cndmask_b32_e64 v52, v52, 0, s9
	v_add_nc_u32_e32 v51, v52, v51
	s_delay_alu instid0(VALU_DEP_1) | instskip(NEXT) | instid1(VALU_DEP_1)
	v_mov_b32_dpp v52, v51 row_shr:2 row_mask:0xf bank_mask:0xf
	v_cndmask_b32_e64 v52, 0, v52, s10
	s_delay_alu instid0(VALU_DEP_1) | instskip(NEXT) | instid1(VALU_DEP_1)
	v_add_nc_u32_e32 v51, v51, v52
	v_mov_b32_dpp v52, v51 row_shr:4 row_mask:0xf bank_mask:0xf
	s_delay_alu instid0(VALU_DEP_1) | instskip(NEXT) | instid1(VALU_DEP_1)
	v_cndmask_b32_e64 v52, 0, v52, s11
	v_add_nc_u32_e32 v51, v51, v52
	ds_store_b32 v31, v51
.LBB191_192:                            ;   in Loop: Header=BB191_186 Depth=1
	s_wait_alu 0xfffe
	s_or_b32 exec_lo, exec_lo, s12
	v_mov_b32_e32 v51, 0
	s_wait_loadcnt_dscnt 0x0
	s_barrier_signal -1
	s_barrier_wait -1
	global_inv scope:SCOPE_SE
	s_and_saveexec_b32 s12, s7
; %bb.193:                              ;   in Loop: Header=BB191_186 Depth=1
	ds_load_b32 v51, v33
; %bb.194:                              ;   in Loop: Header=BB191_186 Depth=1
	s_wait_alu 0xfffe
	s_or_b32 exec_lo, exec_lo, s12
	s_wait_dscnt 0x0
	v_add_nc_u32_e32 v50, v51, v50
	v_add_nc_u32_e32 v10, 8, v10
	s_mov_b32 s17, -1
	ds_bpermute_b32 v50, v28, v50
	s_wait_dscnt 0x0
	v_cndmask_b32_e64 v50, v50, v51, s2
	s_delay_alu instid0(VALU_DEP_1) | instskip(NEXT) | instid1(VALU_DEP_1)
	v_cndmask_b32_e64 v50, v50, 0, s8
	v_add_nc_u32_e32 v19, v50, v19
	s_delay_alu instid0(VALU_DEP_1) | instskip(SKIP_4) | instid1(VALU_DEP_1)
	v_add_nc_u32_e32 v37, v19, v37
	ds_store_b32 v9, v50
	ds_store_b32 v20, v19
	;; [unrolled: 1-line block ×3, first 2 shown]
	v_add_nc_u32_e32 v38, v37, v38
                                        ; implicit-def: $vgpr37
	v_add_nc_u32_e32 v39, v38, v39
	s_delay_alu instid0(VALU_DEP_1) | instskip(NEXT) | instid1(VALU_DEP_1)
	v_add_nc_u32_e32 v48, v39, v48
	v_add_nc_u32_e32 v49, v48, v49
	s_delay_alu instid0(VALU_DEP_1)
	v_add_nc_u32_e32 v18, v49, v18
	ds_store_b32 v22, v38
	ds_store_b32 v23, v39
	;; [unrolled: 1-line block ×5, first 2 shown]
	s_wait_loadcnt_dscnt 0x0
	s_barrier_signal -1
	s_barrier_wait -1
	global_inv scope:SCOPE_SE
	ds_load_b32 v17, v17
	s_wait_loadcnt_dscnt 0x0
	v_add_nc_u32_e32 v38, v17, v16
                                        ; implicit-def: $vgpr16_vgpr17
	s_delay_alu instid0(VALU_DEP_1)
	v_add_co_u32 v18, s13, v12, v38
	s_wait_alu 0xf1ff
	v_add_co_ci_u32_e64 v19, null, 0, v13, s13
	s_mov_b32 s13, exec_lo
	v_cmpx_lt_u32_e64 v10, v11
	s_cbranch_execz .LBB191_185
; %bb.195:                              ;   in Loop: Header=BB191_186 Depth=1
	v_mad_co_u64_u32 v[16:17], null, v38, 7, v[18:19]
	s_barrier_signal -1
	s_barrier_wait -1
	global_inv scope:SCOPE_SE
	ds_store_b8 v18, v36
	s_wait_loadcnt_dscnt 0x0
	s_barrier_signal -1
	s_barrier_wait -1
	global_inv scope:SCOPE_SE
	ds_load_u8 v37, v32
	s_wait_loadcnt_dscnt 0x0
	s_barrier_signal -1
	s_barrier_wait -1
	global_inv scope:SCOPE_SE
	ds_store_b64 v16, v[4:5]
	s_wait_loadcnt_dscnt 0x0
	s_barrier_signal -1
	s_barrier_wait -1
	global_inv scope:SCOPE_SE
	ds_load_b64 v[16:17], v34
	v_add_nc_u32_e32 v35, -8, v35
	s_xor_b32 s17, exec_lo, -1
	s_wait_loadcnt_dscnt 0x0
	s_barrier_signal -1
	s_barrier_wait -1
	global_inv scope:SCOPE_SE
	s_branch .LBB191_185
.LBB191_196:
	s_or_b32 exec_lo, exec_lo, s15
	v_mad_co_u64_u32 v[10:11], null, v38, 7, v[18:19]
	v_add_nc_u32_e32 v12, v12, v14
	v_mul_u32_u24_e32 v11, 7, v14
	s_barrier_signal -1
	s_barrier_wait -1
	s_wait_loadcnt 0x0
	global_inv scope:SCOPE_SE
	ds_store_b8 v18, v36
	s_wait_loadcnt_dscnt 0x0
	s_barrier_signal -1
	s_barrier_wait -1
	global_inv scope:SCOPE_SE
	ds_load_u8 v9, v12
	s_wait_loadcnt_dscnt 0x0
	s_barrier_signal -1
	s_barrier_wait -1
	global_inv scope:SCOPE_SE
	ds_store_b64 v10, v[4:5]
	v_add_nc_u32_e32 v4, v12, v11
	s_wait_loadcnt_dscnt 0x0
	s_barrier_signal -1
	s_barrier_wait -1
	global_inv scope:SCOPE_SE
	ds_load_b64 v[4:5], v4
	s_mov_b32 s0, exec_lo
	s_wait_loadcnt_dscnt 0x0
	s_barrier_signal -1
	s_barrier_wait -1
	global_inv scope:SCOPE_SE
	v_cmpx_lt_u32_e64 v15, v86
	s_cbranch_execz .LBB191_198
; %bb.197:
	v_mov_b32_e32 v16, 0
	v_add_co_u32 v6, vcc_lo, v6, v0
	s_wait_alu 0xfffd
	v_add_co_ci_u32_e64 v7, null, v7, v1, vcc_lo
	v_add_co_u32 v2, vcc_lo, v2, v8
	v_lshlrev_b64_e32 v[0:1], 3, v[15:16]
	s_wait_alu 0xfffd
	v_add_co_ci_u32_e64 v3, null, 0, v3, vcc_lo
	s_delay_alu instid0(VALU_DEP_3) | instskip(SKIP_1) | instid1(VALU_DEP_2)
	v_add_co_u32 v2, vcc_lo, v2, v15
	s_wait_alu 0xfffd
	v_add_co_ci_u32_e64 v3, null, 0, v3, vcc_lo
	v_add_co_u32 v0, vcc_lo, v6, v0
	s_wait_alu 0xfffd
	v_add_co_ci_u32_e64 v1, null, v7, v1, vcc_lo
	flat_store_b8 v[2:3], v9
	flat_store_b64 v[0:1], v[4:5]
.LBB191_198:
	s_wait_alu 0xfffe
	s_or_b32 exec_lo, exec_lo, s0
.LBB191_199:
	s_wait_alu 0xfffe
	s_or_b32 exec_lo, exec_lo, s16
	s_wait_loadcnt_dscnt 0x0
	s_setpc_b64 s[30:31]
.Lfunc_end191:
	.size	_ZN7rocprim17ROCPRIM_400000_NS6detail40segmented_radix_sort_single_block_helperIhlLj256ELj8ELb0EE4sortIPKhPhPKlPlEEbT_T0_T1_T2_jjjjRNS3_12storage_typeE, .Lfunc_end191-_ZN7rocprim17ROCPRIM_400000_NS6detail40segmented_radix_sort_single_block_helperIhlLj256ELj8ELb0EE4sortIPKhPhPKlPlEEbT_T0_T1_T2_jjjjRNS3_12storage_typeE
                                        ; -- End function
	.set .L_ZN7rocprim17ROCPRIM_400000_NS6detail40segmented_radix_sort_single_block_helperIhlLj256ELj8ELb0EE4sortIPKhPhPKlPlEEbT_T0_T1_T2_jjjjRNS3_12storage_typeE.num_vgpr, 197
	.set .L_ZN7rocprim17ROCPRIM_400000_NS6detail40segmented_radix_sort_single_block_helperIhlLj256ELj8ELb0EE4sortIPKhPhPKlPlEEbT_T0_T1_T2_jjjjRNS3_12storage_typeE.num_agpr, 0
	.set .L_ZN7rocprim17ROCPRIM_400000_NS6detail40segmented_radix_sort_single_block_helperIhlLj256ELj8ELb0EE4sortIPKhPhPKlPlEEbT_T0_T1_T2_jjjjRNS3_12storage_typeE.numbered_sgpr, 32
	.set .L_ZN7rocprim17ROCPRIM_400000_NS6detail40segmented_radix_sort_single_block_helperIhlLj256ELj8ELb0EE4sortIPKhPhPKlPlEEbT_T0_T1_T2_jjjjRNS3_12storage_typeE.num_named_barrier, 0
	.set .L_ZN7rocprim17ROCPRIM_400000_NS6detail40segmented_radix_sort_single_block_helperIhlLj256ELj8ELb0EE4sortIPKhPhPKlPlEEbT_T0_T1_T2_jjjjRNS3_12storage_typeE.private_seg_size, 0
	.set .L_ZN7rocprim17ROCPRIM_400000_NS6detail40segmented_radix_sort_single_block_helperIhlLj256ELj8ELb0EE4sortIPKhPhPKlPlEEbT_T0_T1_T2_jjjjRNS3_12storage_typeE.uses_vcc, 1
	.set .L_ZN7rocprim17ROCPRIM_400000_NS6detail40segmented_radix_sort_single_block_helperIhlLj256ELj8ELb0EE4sortIPKhPhPKlPlEEbT_T0_T1_T2_jjjjRNS3_12storage_typeE.uses_flat_scratch, 0
	.set .L_ZN7rocprim17ROCPRIM_400000_NS6detail40segmented_radix_sort_single_block_helperIhlLj256ELj8ELb0EE4sortIPKhPhPKlPlEEbT_T0_T1_T2_jjjjRNS3_12storage_typeE.has_dyn_sized_stack, 0
	.set .L_ZN7rocprim17ROCPRIM_400000_NS6detail40segmented_radix_sort_single_block_helperIhlLj256ELj8ELb0EE4sortIPKhPhPKlPlEEbT_T0_T1_T2_jjjjRNS3_12storage_typeE.has_recursion, 0
	.set .L_ZN7rocprim17ROCPRIM_400000_NS6detail40segmented_radix_sort_single_block_helperIhlLj256ELj8ELb0EE4sortIPKhPhPKlPlEEbT_T0_T1_T2_jjjjRNS3_12storage_typeE.has_indirect_call, 0
	.section	.AMDGPU.csdata,"",@progbits
; Function info:
; codeLenInByte = 17544
; TotalNumSgprs: 34
; NumVgprs: 197
; ScratchSize: 0
; MemoryBound: 1
	.section	.text._ZN7rocprim17ROCPRIM_400000_NS6detail17trampoline_kernelINS0_14default_configENS1_36segmented_radix_sort_config_selectorIhlEEZNS1_25segmented_radix_sort_implIS3_Lb0EPKhPhPKlPlN2at6native12_GLOBAL__N_18offset_tEEE10hipError_tPvRmT1_PNSt15iterator_traitsISK_E10value_typeET2_T3_PNSL_ISQ_E10value_typeET4_jRbjT5_SW_jjP12ihipStream_tbEUlT_E_NS1_11comp_targetILNS1_3genE10ELNS1_11target_archE1201ELNS1_3gpuE5ELNS1_3repE0EEENS1_30default_config_static_selectorELNS0_4arch9wavefront6targetE0EEEvSK_,"axG",@progbits,_ZN7rocprim17ROCPRIM_400000_NS6detail17trampoline_kernelINS0_14default_configENS1_36segmented_radix_sort_config_selectorIhlEEZNS1_25segmented_radix_sort_implIS3_Lb0EPKhPhPKlPlN2at6native12_GLOBAL__N_18offset_tEEE10hipError_tPvRmT1_PNSt15iterator_traitsISK_E10value_typeET2_T3_PNSL_ISQ_E10value_typeET4_jRbjT5_SW_jjP12ihipStream_tbEUlT_E_NS1_11comp_targetILNS1_3genE10ELNS1_11target_archE1201ELNS1_3gpuE5ELNS1_3repE0EEENS1_30default_config_static_selectorELNS0_4arch9wavefront6targetE0EEEvSK_,comdat
	.globl	_ZN7rocprim17ROCPRIM_400000_NS6detail17trampoline_kernelINS0_14default_configENS1_36segmented_radix_sort_config_selectorIhlEEZNS1_25segmented_radix_sort_implIS3_Lb0EPKhPhPKlPlN2at6native12_GLOBAL__N_18offset_tEEE10hipError_tPvRmT1_PNSt15iterator_traitsISK_E10value_typeET2_T3_PNSL_ISQ_E10value_typeET4_jRbjT5_SW_jjP12ihipStream_tbEUlT_E_NS1_11comp_targetILNS1_3genE10ELNS1_11target_archE1201ELNS1_3gpuE5ELNS1_3repE0EEENS1_30default_config_static_selectorELNS0_4arch9wavefront6targetE0EEEvSK_ ; -- Begin function _ZN7rocprim17ROCPRIM_400000_NS6detail17trampoline_kernelINS0_14default_configENS1_36segmented_radix_sort_config_selectorIhlEEZNS1_25segmented_radix_sort_implIS3_Lb0EPKhPhPKlPlN2at6native12_GLOBAL__N_18offset_tEEE10hipError_tPvRmT1_PNSt15iterator_traitsISK_E10value_typeET2_T3_PNSL_ISQ_E10value_typeET4_jRbjT5_SW_jjP12ihipStream_tbEUlT_E_NS1_11comp_targetILNS1_3genE10ELNS1_11target_archE1201ELNS1_3gpuE5ELNS1_3repE0EEENS1_30default_config_static_selectorELNS0_4arch9wavefront6targetE0EEEvSK_
	.p2align	8
	.type	_ZN7rocprim17ROCPRIM_400000_NS6detail17trampoline_kernelINS0_14default_configENS1_36segmented_radix_sort_config_selectorIhlEEZNS1_25segmented_radix_sort_implIS3_Lb0EPKhPhPKlPlN2at6native12_GLOBAL__N_18offset_tEEE10hipError_tPvRmT1_PNSt15iterator_traitsISK_E10value_typeET2_T3_PNSL_ISQ_E10value_typeET4_jRbjT5_SW_jjP12ihipStream_tbEUlT_E_NS1_11comp_targetILNS1_3genE10ELNS1_11target_archE1201ELNS1_3gpuE5ELNS1_3repE0EEENS1_30default_config_static_selectorELNS0_4arch9wavefront6targetE0EEEvSK_,@function
_ZN7rocprim17ROCPRIM_400000_NS6detail17trampoline_kernelINS0_14default_configENS1_36segmented_radix_sort_config_selectorIhlEEZNS1_25segmented_radix_sort_implIS3_Lb0EPKhPhPKlPlN2at6native12_GLOBAL__N_18offset_tEEE10hipError_tPvRmT1_PNSt15iterator_traitsISK_E10value_typeET2_T3_PNSL_ISQ_E10value_typeET4_jRbjT5_SW_jjP12ihipStream_tbEUlT_E_NS1_11comp_targetILNS1_3genE10ELNS1_11target_archE1201ELNS1_3gpuE5ELNS1_3repE0EEENS1_30default_config_static_selectorELNS0_4arch9wavefront6targetE0EEEvSK_: ; @_ZN7rocprim17ROCPRIM_400000_NS6detail17trampoline_kernelINS0_14default_configENS1_36segmented_radix_sort_config_selectorIhlEEZNS1_25segmented_radix_sort_implIS3_Lb0EPKhPhPKlPlN2at6native12_GLOBAL__N_18offset_tEEE10hipError_tPvRmT1_PNSt15iterator_traitsISK_E10value_typeET2_T3_PNSL_ISQ_E10value_typeET4_jRbjT5_SW_jjP12ihipStream_tbEUlT_E_NS1_11comp_targetILNS1_3genE10ELNS1_11target_archE1201ELNS1_3gpuE5ELNS1_3repE0EEENS1_30default_config_static_selectorELNS0_4arch9wavefront6targetE0EEEvSK_
; %bb.0:
	s_clause 0x1
	s_load_b64 s[8:9], s[0:1], 0x38
	s_load_b128 s[4:7], s[0:1], 0x40
	s_mov_b32 s2, ttmp9
	s_mov_b32 s3, 0
	s_mov_b32 s32, 0
	s_lshl_b64 s[2:3], s[2:3], 2
	s_wait_kmcnt 0x0
	s_add_nc_u64 s[2:3], s[8:9], s[2:3]
	s_load_b32 s2, s[2:3], 0x0
	s_wait_kmcnt 0x0
	s_add_co_i32 s33, s2, s5
	s_add_co_i32 s34, s2, s7
	s_mul_i32 s33, s33, s4
	s_mul_i32 s34, s34, s6
	s_delay_alu instid0(SALU_CYCLE_1)
	s_cmp_le_u32 s34, s33
	s_cbranch_scc1 .LBB192_670
; %bb.1:
	s_clause 0x3
	s_load_b32 s2, s[0:1], 0x30
	s_load_b128 s[24:27], s[0:1], 0x20
	s_load_b96 s[44:46], s[0:1], 0x50
	s_load_b256 s[36:43], s[0:1], 0x0
	s_wait_kmcnt 0x0
	s_bitcmp1_b32 s2, 0
	s_mov_b32 s2, -1
	s_cselect_b32 s35, -1, 0
	s_sub_co_i32 s47, s34, s33
	s_delay_alu instid0(SALU_CYCLE_1)
	s_cmp_lt_u32 s47, 0x801
	s_cbranch_scc0 .LBB192_7
; %bb.2:
	v_cndmask_b32_e64 v1, 0, 1, s35
	s_and_b32 s2, s44, 1
	s_delay_alu instid0(VALU_DEP_1) | instid1(SALU_CYCLE_1)
	v_cmp_ne_u32_e32 vcc_lo, s2, v1
	s_mov_b32 s2, -1
	s_cbranch_vccnz .LBB192_4
; %bb.3:
	s_mov_b64 s[2:3], src_shared_base
	v_dual_mov_b32 v31, v0 :: v_dual_mov_b32 v40, v0
	v_dual_mov_b32 v0, s36 :: v_dual_mov_b32 v1, s37
	;; [unrolled: 1-line block ×7, first 2 shown]
	s_wait_alu 0xfffe
	v_dual_mov_b32 v12, 0 :: v_dual_mov_b32 v13, s3
	s_add_nc_u64 s[8:9], s[0:1], 0x60
	s_getpc_b64 s[4:5]
	s_sext_i32_i16 s5, s5
	s_add_co_u32 s4, s4, _ZN7rocprim17ROCPRIM_400000_NS6detail40segmented_radix_sort_single_block_helperIhlLj256ELj8ELb0EE4sortIPKhPhPKlPlEEbT_T0_T1_T2_jjjjRNS3_12storage_typeE@rel32@lo+8
	s_add_co_ci_u32 s5, s5, _ZN7rocprim17ROCPRIM_400000_NS6detail40segmented_radix_sort_single_block_helperIhlLj256ELj8ELb0EE4sortIPKhPhPKlPlEEbT_T0_T1_T2_jjjjRNS3_12storage_typeE@rel32@hi+16
	s_mov_b64 s[22:23], s[0:1]
	s_swappc_b64 s[30:31], s[4:5]
	v_mov_b32_e32 v0, v40
	s_mov_b64 s[0:1], s[22:23]
	s_mov_b32 s2, 0
.LBB192_4:
	s_wait_alu 0xfffe
	s_and_not1_b32 vcc_lo, exec_lo, s2
	s_wait_alu 0xfffe
	s_cbranch_vccnz .LBB192_6
; %bb.5:
	s_mov_b64 s[2:3], src_shared_base
	v_dual_mov_b32 v31, v0 :: v_dual_mov_b32 v40, v0
	v_dual_mov_b32 v0, s36 :: v_dual_mov_b32 v1, s37
	v_dual_mov_b32 v2, s38 :: v_dual_mov_b32 v3, s39
	v_dual_mov_b32 v4, s42 :: v_dual_mov_b32 v5, s43
	v_dual_mov_b32 v6, s24 :: v_dual_mov_b32 v7, s25
	v_dual_mov_b32 v8, s33 :: v_dual_mov_b32 v9, s34
	v_dual_mov_b32 v10, s45 :: v_dual_mov_b32 v11, s46
	s_wait_alu 0xfffe
	v_dual_mov_b32 v12, 0 :: v_dual_mov_b32 v13, s3
	s_add_nc_u64 s[8:9], s[0:1], 0x60
	s_getpc_b64 s[4:5]
	s_wait_alu 0xfffe
	s_sext_i32_i16 s5, s5
	s_add_co_u32 s4, s4, _ZN7rocprim17ROCPRIM_400000_NS6detail40segmented_radix_sort_single_block_helperIhlLj256ELj8ELb0EE4sortIPKhPhPKlPlEEbT_T0_T1_T2_jjjjRNS3_12storage_typeE@rel32@lo+12
	s_wait_alu 0xfffe
	s_add_co_ci_u32 s5, s5, _ZN7rocprim17ROCPRIM_400000_NS6detail40segmented_radix_sort_single_block_helperIhlLj256ELj8ELb0EE4sortIPKhPhPKlPlEEbT_T0_T1_T2_jjjjRNS3_12storage_typeE@rel32@hi+24
	s_mov_b64 s[22:23], s[0:1]
	s_wait_alu 0xfffe
	s_swappc_b64 s[30:31], s[4:5]
	v_mov_b32_e32 v0, v40
	s_mov_b64 s[0:1], s[22:23]
.LBB192_6:
	s_mov_b32 s2, 0
.LBB192_7:
	s_wait_alu 0xfffe
	s_and_not1_b32 vcc_lo, exec_lo, s2
	s_wait_alu 0xfffe
	s_cbranch_vccnz .LBB192_670
; %bb.8:
	s_cmp_ge_u32 s45, s46
	s_cbranch_scc1 .LBB192_670
; %bb.9:
	v_and_b32_e32 v1, 0x3ff, v0
	v_dual_mov_b32 v61, 1 :: v_dual_and_b32 v2, 3, v0
	v_lshrrev_b32_e32 v4, 3, v0
	v_mbcnt_lo_u32_b32 v58, -1, 0
	s_delay_alu instid0(VALU_DEP_4) | instskip(NEXT) | instid1(VALU_DEP_4)
	v_or_b32_e32 v5, 31, v1
	v_lshlrev_b32_e32 v39, 2, v2
	v_lshlrev_b32_e32 v2, 3, v1
	v_and_b32_e32 v38, 28, v4
	v_lshlrev_b32_e32 v4, 5, v1
	v_cmp_eq_u32_e64 s3, v1, v5
	v_dual_mov_b32 v3, 0 :: v_dual_lshlrev_b32 v28, 2, v1
	v_and_b32_e32 v2, 0x700, v2
	s_delay_alu instid0(VALU_DEP_4) | instskip(SKIP_2) | instid1(VALU_DEP_4)
	v_sub_nc_u32_e32 v46, 0, v4
	v_lshlrev_b32_e32 v66, 3, v58
	v_add_co_u32 v32, s2, s40, v1
	v_lshlrev_b32_e32 v5, 3, v2
	v_mad_u32_u24 v40, v1, 12, v28
	v_or_b32_e32 v68, v58, v2
	v_or_b32_e32 v29, 0x100, v1
	;; [unrolled: 1-line block ×3, first 2 shown]
	v_add_co_u32 v4, s8, s26, v5
	s_wait_alu 0xf1ff
	v_add_co_ci_u32_e64 v6, null, s27, 0, s8
	v_add_co_u32 v7, s8, s40, v2
	s_wait_alu 0xf1ff
	v_add_co_ci_u32_e64 v8, null, s41, 0, s8
	;; [unrolled: 3-line block ×6, first 2 shown]
	v_add_co_u32 v56, s8, s42, v5
	v_add_co_u32 v69, vcc_lo, v4, v66
	s_wait_alu 0xf1ff
	v_add_co_ci_u32_e64 v57, null, s43, 0, s8
	v_add_co_u32 v59, s8, s36, v2
	s_wait_alu 0xfffd
	v_add_co_ci_u32_e64 v70, null, 0, v6, vcc_lo
	v_add_co_u32 v78, vcc_lo, v7, v58
	v_or_b32_e32 v31, 0x300, v1
	v_add_co_ci_u32_e64 v33, null, s41, 0, s2
	v_or_b32_e32 v34, 0x400, v1
	v_or_b32_e32 v35, 0x500, v1
	;; [unrolled: 1-line block ×4, first 2 shown]
	v_cmp_gt_u32_e64 s2, 0x100, v1
	v_or_b32_e32 v41, 0x4400, v38
	v_cmp_gt_u32_e64 s4, 8, v1
	v_add_nc_u32_e32 v42, 0x4400, v28
	v_cmp_lt_u32_e64 s5, 31, v1
	v_add_nc_u32_e32 v43, 0x43fc, v38
	v_bfe_u32 v44, v0, 20, 10
	v_bfe_u32 v0, v0, 10, 10
	v_mad_u32_u24 v45, v1, 20, v40
	v_cmp_eq_u32_e64 s6, 0, v1
	v_cmp_ne_u32_e64 s7, 0xff, v1
	v_mul_u32_u24_e32 v47, 7, v1
	s_wait_alu 0xf1ff
	v_add_co_ci_u32_e64 v60, null, s37, 0, s8
	v_and_b32_e32 v62, 15, v58
	v_bfe_i32 v63, v58, 4, 1
	v_and_b32_e32 v64, 16, v58
	v_and_b32_e32 v65, 7, v58
	v_sub_co_u32 v67, s8, v58, 1
	v_or_b32_e32 v71, 32, v68
	v_or_b32_e32 v72, 64, v68
	;; [unrolled: 1-line block ×7, first 2 shown]
	s_wait_alu 0xfffd
	v_add_co_ci_u32_e64 v79, null, 0, v8, vcc_lo
	s_add_nc_u64 s[28:29], s[0:1], 0x60
	s_mov_b32 s23, 0
	s_mov_b32 s30, s45
	s_branch .LBB192_12
.LBB192_10:                             ;   in Loop: Header=BB192_12 Depth=1
	s_wait_loadcnt_dscnt 0x0
	s_barrier_signal -1
	s_barrier_wait -1
.LBB192_11:                             ;   in Loop: Header=BB192_12 Depth=1
	s_add_co_i32 s30, s30, 8
	global_inv scope:SCOPE_SE
	s_wait_alu 0xfffe
	s_cmp_ge_u32 s30, s46
	s_cbranch_scc1 .LBB192_670
.LBB192_12:                             ; =>This Loop Header: Depth=1
                                        ;     Child Loop BB192_16 Depth 2
                                        ;     Child Loop BB192_64 Depth 2
                                        ;     Child Loop BB192_180 Depth 2
                                        ;     Child Loop BB192_228 Depth 2
                                        ;     Child Loop BB192_346 Depth 2
                                        ;     Child Loop BB192_394 Depth 2
                                        ;     Child Loop BB192_510 Depth 2
                                        ;     Child Loop BB192_558 Depth 2
	s_wait_alu 0xfffe
	s_sub_co_i32 s0, s46, s30
	s_xor_b32 s35, s35, -1
	s_wait_alu 0xfffe
	s_min_u32 s0, s0, 8
	ds_store_2addr_stride64_b32 v28, v3, v3 offset1:4
	s_wait_alu 0xfffe
	s_lshl_b32 s0, -1, s0
	ds_store_2addr_stride64_b32 v28, v3, v3 offset0:8 offset1:12
	s_wait_alu 0xfffe
	s_not_b32 s31, s0
	s_cmp_lg_u32 s30, s45
	s_mov_b32 s0, -1
	s_wait_storecnt_dscnt 0x0
	s_cbranch_scc0 .LBB192_342
; %bb.13:                               ;   in Loop: Header=BB192_12 Depth=1
	s_and_b32 vcc_lo, exec_lo, s35
	s_wait_alu 0xfffe
	s_cbranch_vccz .LBB192_177
; %bb.14:                               ;   in Loop: Header=BB192_12 Depth=1
	v_dual_mov_b32 v7, 0 :: v_dual_mov_b32 v10, 0
	v_dual_mov_b32 v9, 0 :: v_dual_mov_b32 v8, 0
	;; [unrolled: 1-line block ×3, first 2 shown]
	v_mov_b32_e32 v4, 0
	v_mov_b32_e32 v2, 0
	s_mov_b32 s9, s47
	s_mov_b32 s22, s33
	s_barrier_signal -1
	s_barrier_wait -1
	global_inv scope:SCOPE_SE
	s_branch .LBB192_16
.LBB192_15:                             ;   in Loop: Header=BB192_16 Depth=2
	s_wait_alu 0xfffe
	s_or_b32 exec_lo, exec_lo, s0
	s_addk_co_i32 s9, 0xf800
	s_cmp_ge_u32 s10, s34
	s_mov_b32 s22, s10
	s_cbranch_scc1 .LBB192_52
.LBB192_16:                             ;   Parent Loop BB192_12 Depth=1
                                        ; =>  This Inner Loop Header: Depth=2
	s_wait_alu 0xfffe
	s_add_co_i32 s10, s22, 0x800
	s_mov_b32 s0, -1
	s_wait_alu 0xfffe
	s_cmp_gt_u32 s10, s34
                                        ; implicit-def: $vgpr11
                                        ; implicit-def: $vgpr12
                                        ; implicit-def: $vgpr13
                                        ; implicit-def: $vgpr14
                                        ; implicit-def: $vgpr15
                                        ; implicit-def: $vgpr16
                                        ; implicit-def: $vgpr17
                                        ; implicit-def: $vgpr18
	s_cbranch_scc1 .LBB192_18
; %bb.17:                               ;   in Loop: Header=BB192_16 Depth=2
	v_add_co_u32 v19, vcc_lo, v32, s22
	s_wait_alu 0xfffd
	v_add_co_ci_u32_e64 v20, null, 0, v33, vcc_lo
	s_mov_b32 s0, 0
	s_clause 0x7
	global_load_u8 v18, v[19:20], off offset:1792
	global_load_u8 v17, v[19:20], off offset:1536
	;; [unrolled: 1-line block ×7, first 2 shown]
	global_load_u8 v11, v[19:20], off
.LBB192_18:                             ;   in Loop: Header=BB192_16 Depth=2
	s_wait_alu 0xfffe
	s_and_not1_b32 vcc_lo, exec_lo, s0
	s_movk_i32 s0, 0x800
	s_wait_alu 0xfffe
	s_cbranch_vccnz .LBB192_29
; %bb.19:                               ;   in Loop: Header=BB192_16 Depth=2
	s_add_nc_u64 s[0:1], s[40:41], s[22:23]
	s_mov_b32 s11, exec_lo
	v_cmpx_gt_u32_e64 s9, v1
	s_cbranch_execnz .LBB192_45
; %bb.20:                               ;   in Loop: Header=BB192_16 Depth=2
	s_wait_alu 0xfffe
	s_or_b32 exec_lo, exec_lo, s11
	s_delay_alu instid0(SALU_CYCLE_1)
	s_mov_b32 s11, exec_lo
	v_cmpx_gt_u32_e64 s9, v29
	s_cbranch_execnz .LBB192_46
.LBB192_21:                             ;   in Loop: Header=BB192_16 Depth=2
	s_wait_alu 0xfffe
	s_or_b32 exec_lo, exec_lo, s11
	s_delay_alu instid0(SALU_CYCLE_1)
	s_mov_b32 s11, exec_lo
	v_cmpx_gt_u32_e64 s9, v30
	s_cbranch_execnz .LBB192_47
.LBB192_22:                             ;   in Loop: Header=BB192_16 Depth=2
	s_wait_alu 0xfffe
	s_or_b32 exec_lo, exec_lo, s11
	s_delay_alu instid0(SALU_CYCLE_1)
	s_mov_b32 s11, exec_lo
	v_cmpx_gt_u32_e64 s9, v31
	s_cbranch_execnz .LBB192_48
.LBB192_23:                             ;   in Loop: Header=BB192_16 Depth=2
	s_wait_alu 0xfffe
	s_or_b32 exec_lo, exec_lo, s11
	s_delay_alu instid0(SALU_CYCLE_1)
	s_mov_b32 s11, exec_lo
	v_cmpx_gt_u32_e64 s9, v34
	s_cbranch_execnz .LBB192_49
.LBB192_24:                             ;   in Loop: Header=BB192_16 Depth=2
	s_wait_alu 0xfffe
	s_or_b32 exec_lo, exec_lo, s11
	s_delay_alu instid0(SALU_CYCLE_1)
	s_mov_b32 s11, exec_lo
	v_cmpx_gt_u32_e64 s9, v35
	s_cbranch_execnz .LBB192_50
.LBB192_25:                             ;   in Loop: Header=BB192_16 Depth=2
	s_wait_alu 0xfffe
	s_or_b32 exec_lo, exec_lo, s11
	s_delay_alu instid0(SALU_CYCLE_1)
	s_mov_b32 s11, exec_lo
	v_cmpx_gt_u32_e64 s9, v36
	s_cbranch_execnz .LBB192_51
.LBB192_26:                             ;   in Loop: Header=BB192_16 Depth=2
	s_wait_alu 0xfffe
	s_or_b32 exec_lo, exec_lo, s11
	s_delay_alu instid0(SALU_CYCLE_1)
	s_mov_b32 s11, exec_lo
	v_cmpx_gt_u32_e64 s9, v37
	s_cbranch_execz .LBB192_28
.LBB192_27:                             ;   in Loop: Header=BB192_16 Depth=2
	s_wait_loadcnt 0x0
	v_add_co_u32 v11, s0, s0, v1
	s_wait_alu 0xf1ff
	v_add_co_ci_u32_e64 v12, null, s1, 0, s0
	global_load_u8 v2, v[11:12], off offset:1792
.LBB192_28:                             ;   in Loop: Header=BB192_16 Depth=2
	s_wait_alu 0xfffe
	s_or_b32 exec_lo, exec_lo, s11
	s_wait_loadcnt 0x0
	v_dual_mov_b32 v11, v7 :: v_dual_mov_b32 v12, v10
	v_dual_mov_b32 v13, v9 :: v_dual_mov_b32 v14, v8
	;; [unrolled: 1-line block ×4, first 2 shown]
	s_mov_b32 s0, s9
.LBB192_29:                             ;   in Loop: Header=BB192_16 Depth=2
	s_wait_loadcnt 0x5
	s_delay_alu instid0(VALU_DEP_1)
	v_dual_mov_b32 v2, v18 :: v_dual_mov_b32 v5, v16
	s_wait_loadcnt 0x2
	v_dual_mov_b32 v4, v17 :: v_dual_mov_b32 v9, v13
	s_wait_loadcnt 0x0
	v_dual_mov_b32 v6, v15 :: v_dual_mov_b32 v7, v11
	v_mov_b32_e32 v8, v14
	v_mov_b32_e32 v10, v12
	s_mov_b32 s1, exec_lo
	s_wait_alu 0xfffe
	v_cmpx_gt_u32_e64 s0, v1
	s_cbranch_execnz .LBB192_37
; %bb.30:                               ;   in Loop: Header=BB192_16 Depth=2
	s_or_b32 exec_lo, exec_lo, s1
	s_delay_alu instid0(SALU_CYCLE_1)
	s_mov_b32 s1, exec_lo
	v_cmpx_gt_u32_e64 s0, v29
	s_cbranch_execnz .LBB192_38
.LBB192_31:                             ;   in Loop: Header=BB192_16 Depth=2
	s_wait_alu 0xfffe
	s_or_b32 exec_lo, exec_lo, s1
	s_delay_alu instid0(SALU_CYCLE_1)
	s_mov_b32 s1, exec_lo
	v_cmpx_gt_u32_e64 s0, v30
	s_cbranch_execnz .LBB192_39
.LBB192_32:                             ;   in Loop: Header=BB192_16 Depth=2
	s_wait_alu 0xfffe
	s_or_b32 exec_lo, exec_lo, s1
	s_delay_alu instid0(SALU_CYCLE_1)
	s_mov_b32 s1, exec_lo
	v_cmpx_gt_u32_e64 s0, v31
	s_cbranch_execnz .LBB192_40
.LBB192_33:                             ;   in Loop: Header=BB192_16 Depth=2
	s_wait_alu 0xfffe
	s_or_b32 exec_lo, exec_lo, s1
	s_delay_alu instid0(SALU_CYCLE_1)
	s_mov_b32 s1, exec_lo
	v_cmpx_gt_u32_e64 s0, v34
	s_cbranch_execnz .LBB192_41
.LBB192_34:                             ;   in Loop: Header=BB192_16 Depth=2
	s_wait_alu 0xfffe
	s_or_b32 exec_lo, exec_lo, s1
	s_delay_alu instid0(SALU_CYCLE_1)
	s_mov_b32 s1, exec_lo
	v_cmpx_gt_u32_e64 s0, v35
	s_cbranch_execnz .LBB192_42
.LBB192_35:                             ;   in Loop: Header=BB192_16 Depth=2
	s_wait_alu 0xfffe
	s_or_b32 exec_lo, exec_lo, s1
	s_delay_alu instid0(SALU_CYCLE_1)
	s_mov_b32 s1, exec_lo
	v_cmpx_gt_u32_e64 s0, v36
	s_cbranch_execnz .LBB192_43
.LBB192_36:                             ;   in Loop: Header=BB192_16 Depth=2
	s_wait_alu 0xfffe
	s_or_b32 exec_lo, exec_lo, s1
	v_cmp_gt_u32_e32 vcc_lo, s0, v37
	s_and_saveexec_b32 s0, vcc_lo
	s_cbranch_execz .LBB192_15
	s_branch .LBB192_44
.LBB192_37:                             ;   in Loop: Header=BB192_16 Depth=2
	v_and_b32_e32 v11, 0xff, v7
	s_delay_alu instid0(VALU_DEP_1) | instskip(NEXT) | instid1(VALU_DEP_1)
	v_lshrrev_b32_e32 v11, s30, v11
	v_and_b32_e32 v11, s31, v11
	s_delay_alu instid0(VALU_DEP_1) | instskip(SKIP_2) | instid1(SALU_CYCLE_1)
	v_lshl_or_b32 v11, v11, 4, v39
	ds_add_u32 v11, v61
	s_or_b32 exec_lo, exec_lo, s1
	s_mov_b32 s1, exec_lo
	v_cmpx_gt_u32_e64 s0, v29
	s_cbranch_execz .LBB192_31
.LBB192_38:                             ;   in Loop: Header=BB192_16 Depth=2
	v_and_b32_e32 v11, 0xff, v10
	s_delay_alu instid0(VALU_DEP_1) | instskip(NEXT) | instid1(VALU_DEP_1)
	v_lshrrev_b32_e32 v11, s30, v11
	v_and_b32_e32 v11, s31, v11
	s_delay_alu instid0(VALU_DEP_1) | instskip(SKIP_3) | instid1(SALU_CYCLE_1)
	v_lshl_or_b32 v11, v11, 4, v39
	ds_add_u32 v11, v61
	s_wait_alu 0xfffe
	s_or_b32 exec_lo, exec_lo, s1
	s_mov_b32 s1, exec_lo
	v_cmpx_gt_u32_e64 s0, v30
	s_cbranch_execz .LBB192_32
.LBB192_39:                             ;   in Loop: Header=BB192_16 Depth=2
	v_and_b32_e32 v11, 0xff, v9
	s_delay_alu instid0(VALU_DEP_1) | instskip(NEXT) | instid1(VALU_DEP_1)
	v_lshrrev_b32_e32 v11, s30, v11
	v_and_b32_e32 v11, s31, v11
	s_delay_alu instid0(VALU_DEP_1) | instskip(SKIP_3) | instid1(SALU_CYCLE_1)
	v_lshl_or_b32 v11, v11, 4, v39
	ds_add_u32 v11, v61
	s_wait_alu 0xfffe
	s_or_b32 exec_lo, exec_lo, s1
	s_mov_b32 s1, exec_lo
	v_cmpx_gt_u32_e64 s0, v31
	s_cbranch_execz .LBB192_33
.LBB192_40:                             ;   in Loop: Header=BB192_16 Depth=2
	v_and_b32_e32 v11, 0xff, v8
	s_delay_alu instid0(VALU_DEP_1) | instskip(NEXT) | instid1(VALU_DEP_1)
	v_lshrrev_b32_e32 v11, s30, v11
	v_and_b32_e32 v11, s31, v11
	s_delay_alu instid0(VALU_DEP_1) | instskip(SKIP_3) | instid1(SALU_CYCLE_1)
	v_lshl_or_b32 v11, v11, 4, v39
	ds_add_u32 v11, v61
	s_wait_alu 0xfffe
	s_or_b32 exec_lo, exec_lo, s1
	s_mov_b32 s1, exec_lo
	v_cmpx_gt_u32_e64 s0, v34
	s_cbranch_execz .LBB192_34
.LBB192_41:                             ;   in Loop: Header=BB192_16 Depth=2
	v_and_b32_e32 v11, 0xff, v6
	s_delay_alu instid0(VALU_DEP_1) | instskip(NEXT) | instid1(VALU_DEP_1)
	v_lshrrev_b32_e32 v11, s30, v11
	v_and_b32_e32 v11, s31, v11
	s_delay_alu instid0(VALU_DEP_1) | instskip(SKIP_3) | instid1(SALU_CYCLE_1)
	v_lshl_or_b32 v11, v11, 4, v39
	ds_add_u32 v11, v61
	s_wait_alu 0xfffe
	s_or_b32 exec_lo, exec_lo, s1
	s_mov_b32 s1, exec_lo
	v_cmpx_gt_u32_e64 s0, v35
	s_cbranch_execz .LBB192_35
.LBB192_42:                             ;   in Loop: Header=BB192_16 Depth=2
	v_and_b32_e32 v11, 0xff, v5
	s_delay_alu instid0(VALU_DEP_1) | instskip(NEXT) | instid1(VALU_DEP_1)
	v_lshrrev_b32_e32 v11, s30, v11
	v_and_b32_e32 v11, s31, v11
	s_delay_alu instid0(VALU_DEP_1) | instskip(SKIP_3) | instid1(SALU_CYCLE_1)
	v_lshl_or_b32 v11, v11, 4, v39
	ds_add_u32 v11, v61
	s_wait_alu 0xfffe
	s_or_b32 exec_lo, exec_lo, s1
	s_mov_b32 s1, exec_lo
	v_cmpx_gt_u32_e64 s0, v36
	s_cbranch_execz .LBB192_36
.LBB192_43:                             ;   in Loop: Header=BB192_16 Depth=2
	v_and_b32_e32 v11, 0xff, v4
	s_delay_alu instid0(VALU_DEP_1) | instskip(NEXT) | instid1(VALU_DEP_1)
	v_lshrrev_b32_e32 v11, s30, v11
	v_and_b32_e32 v11, s31, v11
	s_delay_alu instid0(VALU_DEP_1)
	v_lshl_or_b32 v11, v11, 4, v39
	ds_add_u32 v11, v61
	s_wait_alu 0xfffe
	s_or_b32 exec_lo, exec_lo, s1
	v_cmp_gt_u32_e32 vcc_lo, s0, v37
	s_and_saveexec_b32 s0, vcc_lo
	s_cbranch_execz .LBB192_15
.LBB192_44:                             ;   in Loop: Header=BB192_16 Depth=2
	v_and_b32_e32 v11, 0xff, v2
	s_delay_alu instid0(VALU_DEP_1) | instskip(NEXT) | instid1(VALU_DEP_1)
	v_lshrrev_b32_e32 v11, s30, v11
	v_and_b32_e32 v11, s31, v11
	s_delay_alu instid0(VALU_DEP_1)
	v_lshl_or_b32 v11, v11, 4, v39
	ds_add_u32 v11, v61
	s_branch .LBB192_15
.LBB192_45:                             ;   in Loop: Header=BB192_16 Depth=2
	s_wait_loadcnt 0x0
	s_wait_alu 0xfffe
	v_add_co_u32 v11, s12, s0, v1
	s_wait_alu 0xf1ff
	v_add_co_ci_u32_e64 v12, null, s1, 0, s12
	global_load_u8 v7, v[11:12], off
	s_or_b32 exec_lo, exec_lo, s11
	s_delay_alu instid0(SALU_CYCLE_1)
	s_mov_b32 s11, exec_lo
	v_cmpx_gt_u32_e64 s9, v29
	s_cbranch_execz .LBB192_21
.LBB192_46:                             ;   in Loop: Header=BB192_16 Depth=2
	v_add_co_u32 v10, s12, s0, v1
	s_wait_loadcnt 0x0
	s_wait_alu 0xf1ff
	v_add_co_ci_u32_e64 v11, null, s1, 0, s12
	global_load_u8 v10, v[10:11], off offset:256
	s_wait_alu 0xfffe
	s_or_b32 exec_lo, exec_lo, s11
	s_delay_alu instid0(SALU_CYCLE_1)
	s_mov_b32 s11, exec_lo
	v_cmpx_gt_u32_e64 s9, v30
	s_cbranch_execz .LBB192_22
.LBB192_47:                             ;   in Loop: Header=BB192_16 Depth=2
	s_wait_loadcnt 0x0
	v_add_co_u32 v11, s12, s0, v1
	s_wait_alu 0xf1ff
	v_add_co_ci_u32_e64 v12, null, s1, 0, s12
	global_load_u8 v9, v[11:12], off offset:512
	s_wait_alu 0xfffe
	s_or_b32 exec_lo, exec_lo, s11
	s_delay_alu instid0(SALU_CYCLE_1)
	s_mov_b32 s11, exec_lo
	v_cmpx_gt_u32_e64 s9, v31
	s_cbranch_execz .LBB192_23
.LBB192_48:                             ;   in Loop: Header=BB192_16 Depth=2
	s_wait_loadcnt 0x0
	v_add_co_u32 v11, s12, s0, v1
	s_wait_alu 0xf1ff
	v_add_co_ci_u32_e64 v12, null, s1, 0, s12
	global_load_u8 v8, v[11:12], off offset:768
	s_wait_alu 0xfffe
	s_or_b32 exec_lo, exec_lo, s11
	s_delay_alu instid0(SALU_CYCLE_1)
	s_mov_b32 s11, exec_lo
	v_cmpx_gt_u32_e64 s9, v34
	s_cbranch_execz .LBB192_24
.LBB192_49:                             ;   in Loop: Header=BB192_16 Depth=2
	s_wait_loadcnt 0x0
	v_add_co_u32 v11, s12, s0, v1
	s_wait_alu 0xf1ff
	v_add_co_ci_u32_e64 v12, null, s1, 0, s12
	global_load_u8 v6, v[11:12], off offset:1024
	s_wait_alu 0xfffe
	s_or_b32 exec_lo, exec_lo, s11
	s_delay_alu instid0(SALU_CYCLE_1)
	s_mov_b32 s11, exec_lo
	v_cmpx_gt_u32_e64 s9, v35
	s_cbranch_execz .LBB192_25
.LBB192_50:                             ;   in Loop: Header=BB192_16 Depth=2
	s_wait_loadcnt 0x0
	v_add_co_u32 v11, s12, s0, v1
	s_wait_alu 0xf1ff
	v_add_co_ci_u32_e64 v12, null, s1, 0, s12
	global_load_u8 v5, v[11:12], off offset:1280
	s_wait_alu 0xfffe
	s_or_b32 exec_lo, exec_lo, s11
	s_delay_alu instid0(SALU_CYCLE_1)
	s_mov_b32 s11, exec_lo
	v_cmpx_gt_u32_e64 s9, v36
	s_cbranch_execz .LBB192_26
.LBB192_51:                             ;   in Loop: Header=BB192_16 Depth=2
	s_wait_loadcnt 0x0
	v_add_co_u32 v11, s12, s0, v1
	s_wait_alu 0xf1ff
	v_add_co_ci_u32_e64 v12, null, s1, 0, s12
	global_load_u8 v4, v[11:12], off offset:1536
	s_wait_alu 0xfffe
	s_or_b32 exec_lo, exec_lo, s11
	s_delay_alu instid0(SALU_CYCLE_1)
	s_mov_b32 s11, exec_lo
	v_cmpx_gt_u32_e64 s9, v37
	s_cbranch_execnz .LBB192_27
	s_branch .LBB192_28
.LBB192_52:                             ;   in Loop: Header=BB192_12 Depth=1
	v_mov_b32_e32 v2, 0
	s_wait_dscnt 0x0
	s_barrier_signal -1
	s_barrier_wait -1
	global_inv scope:SCOPE_SE
	s_and_saveexec_b32 s0, s2
	s_cbranch_execz .LBB192_54
; %bb.53:                               ;   in Loop: Header=BB192_12 Depth=1
	ds_load_2addr_b64 v[4:7], v40 offset1:1
	s_wait_dscnt 0x0
	v_add_nc_u32_e32 v2, v5, v4
	s_delay_alu instid0(VALU_DEP_1)
	v_add3_u32 v2, v2, v6, v7
.LBB192_54:                             ;   in Loop: Header=BB192_12 Depth=1
	s_wait_alu 0xfffe
	s_or_b32 exec_lo, exec_lo, s0
	s_delay_alu instid0(VALU_DEP_1)
	v_mov_b32_dpp v4, v2 row_shr:1 row_mask:0xf bank_mask:0xf
	v_cmp_eq_u32_e64 s0, 0, v62
	v_cmp_lt_u32_e64 s1, 1, v62
	v_cmp_lt_u32_e64 s9, 3, v62
	;; [unrolled: 1-line block ×3, first 2 shown]
	v_cmp_eq_u32_e64 s11, 0, v64
	s_wait_alu 0xf1ff
	v_cndmask_b32_e64 v4, v4, 0, s0
	s_delay_alu instid0(VALU_DEP_1) | instskip(NEXT) | instid1(VALU_DEP_1)
	v_add_nc_u32_e32 v2, v4, v2
	v_mov_b32_dpp v4, v2 row_shr:2 row_mask:0xf bank_mask:0xf
	s_delay_alu instid0(VALU_DEP_1) | instskip(NEXT) | instid1(VALU_DEP_1)
	v_cndmask_b32_e64 v4, 0, v4, s1
	v_add_nc_u32_e32 v2, v2, v4
	s_delay_alu instid0(VALU_DEP_1) | instskip(NEXT) | instid1(VALU_DEP_1)
	v_mov_b32_dpp v4, v2 row_shr:4 row_mask:0xf bank_mask:0xf
	v_cndmask_b32_e64 v4, 0, v4, s9
	s_delay_alu instid0(VALU_DEP_1) | instskip(NEXT) | instid1(VALU_DEP_1)
	v_add_nc_u32_e32 v2, v2, v4
	v_mov_b32_dpp v4, v2 row_shr:8 row_mask:0xf bank_mask:0xf
	s_delay_alu instid0(VALU_DEP_1) | instskip(NEXT) | instid1(VALU_DEP_1)
	v_cndmask_b32_e64 v4, 0, v4, s10
	v_add_nc_u32_e32 v2, v2, v4
	ds_swizzle_b32 v4, v2 offset:swizzle(BROADCAST,32,15)
	s_wait_dscnt 0x0
	v_and_b32_e32 v4, v63, v4
	s_delay_alu instid0(VALU_DEP_1)
	v_add_nc_u32_e32 v2, v2, v4
	s_and_saveexec_b32 s12, s3
; %bb.55:                               ;   in Loop: Header=BB192_12 Depth=1
	ds_store_b32 v41, v2
; %bb.56:                               ;   in Loop: Header=BB192_12 Depth=1
	s_wait_alu 0xfffe
	s_or_b32 exec_lo, exec_lo, s12
	s_wait_loadcnt_dscnt 0x0
	s_barrier_signal -1
	s_barrier_wait -1
	global_inv scope:SCOPE_SE
	s_and_saveexec_b32 s12, s4
	s_cbranch_execz .LBB192_58
; %bb.57:                               ;   in Loop: Header=BB192_12 Depth=1
	ds_load_b32 v4, v42
	v_cmp_ne_u32_e32 vcc_lo, 0, v65
	s_wait_dscnt 0x0
	v_mov_b32_dpp v5, v4 row_shr:1 row_mask:0xf bank_mask:0xf
	s_wait_alu 0xfffd
	s_delay_alu instid0(VALU_DEP_1) | instskip(SKIP_1) | instid1(VALU_DEP_2)
	v_cndmask_b32_e32 v5, 0, v5, vcc_lo
	v_cmp_lt_u32_e32 vcc_lo, 1, v65
	v_add_nc_u32_e32 v4, v5, v4
	s_delay_alu instid0(VALU_DEP_1) | instskip(SKIP_1) | instid1(VALU_DEP_1)
	v_mov_b32_dpp v5, v4 row_shr:2 row_mask:0xf bank_mask:0xf
	s_wait_alu 0xfffd
	v_cndmask_b32_e32 v5, 0, v5, vcc_lo
	v_cmp_lt_u32_e32 vcc_lo, 3, v65
	s_delay_alu instid0(VALU_DEP_2) | instskip(NEXT) | instid1(VALU_DEP_1)
	v_add_nc_u32_e32 v4, v4, v5
	v_mov_b32_dpp v5, v4 row_shr:4 row_mask:0xf bank_mask:0xf
	s_wait_alu 0xfffd
	s_delay_alu instid0(VALU_DEP_1) | instskip(NEXT) | instid1(VALU_DEP_1)
	v_cndmask_b32_e32 v5, 0, v5, vcc_lo
	v_add_nc_u32_e32 v4, v4, v5
	ds_store_b32 v42, v4
.LBB192_58:                             ;   in Loop: Header=BB192_12 Depth=1
	s_wait_alu 0xfffe
	s_or_b32 exec_lo, exec_lo, s12
	v_mov_b32_e32 v4, 0
	s_wait_loadcnt_dscnt 0x0
	s_barrier_signal -1
	s_barrier_wait -1
	global_inv scope:SCOPE_SE
	s_and_saveexec_b32 s12, s5
; %bb.59:                               ;   in Loop: Header=BB192_12 Depth=1
	ds_load_b32 v4, v43
; %bb.60:                               ;   in Loop: Header=BB192_12 Depth=1
	s_wait_alu 0xfffe
	s_or_b32 exec_lo, exec_lo, s12
	v_cmp_gt_i32_e32 vcc_lo, 0, v67
	s_wait_dscnt 0x0
	v_add_nc_u32_e32 v2, v4, v2
	s_wait_loadcnt 0x0
	s_barrier_signal -1
	s_barrier_wait -1
	s_wait_alu 0xfffd
	v_cndmask_b32_e32 v5, v67, v58, vcc_lo
	global_inv scope:SCOPE_SE
	v_lshlrev_b32_e32 v80, 2, v5
	ds_bpermute_b32 v2, v80, v2
	s_and_saveexec_b32 s12, s2
	s_cbranch_execz .LBB192_62
; %bb.61:                               ;   in Loop: Header=BB192_12 Depth=1
	s_wait_dscnt 0x0
	v_cndmask_b32_e64 v2, v2, v4, s8
	s_delay_alu instid0(VALU_DEP_1)
	v_add_nc_u32_e32 v2, s33, v2
	ds_store_b32 v28, v2
.LBB192_62:                             ;   in Loop: Header=BB192_12 Depth=1
	s_wait_alu 0xfffe
	s_or_b32 exec_lo, exec_lo, s12
	s_clause 0x1
	s_load_b32 s12, s[28:29], 0x4
	s_load_b32 s14, s[28:29], 0xc
	s_mov_b32 s42, s47
                                        ; implicit-def: $vgpr6_vgpr7
                                        ; implicit-def: $vgpr8_vgpr9
                                        ; implicit-def: $vgpr10_vgpr11
                                        ; implicit-def: $vgpr12_vgpr13
                                        ; implicit-def: $vgpr14_vgpr15
                                        ; implicit-def: $vgpr16_vgpr17
                                        ; implicit-def: $vgpr18_vgpr19
                                        ; implicit-def: $vgpr82
                                        ; implicit-def: $vgpr83
                                        ; implicit-def: $vgpr84
                                        ; implicit-def: $vgpr85
                                        ; implicit-def: $vgpr86
                                        ; implicit-def: $vgpr87
                                        ; implicit-def: $vgpr88
                                        ; implicit-def: $vgpr89
	s_wait_kmcnt 0x0
	s_cmp_lt_u32 ttmp7, s12
	s_cselect_b32 s22, 14, 20
	s_wait_alu 0xfffe
	s_add_nc_u64 s[12:13], s[28:29], s[22:23]
	s_mov_b32 s22, s33
	s_load_u16 s12, s[12:13], 0x0
	v_cmp_lt_u32_e64 s13, 1, v65
	s_wait_dscnt 0x0
	s_wait_kmcnt 0x0
	v_mad_u32_u24 v2, v44, s12, v0
	s_and_b32 s12, s14, 0xffff
	v_cmp_lt_u32_e64 s14, 3, v65
	s_wait_alu 0xfffe
	s_delay_alu instid0(VALU_DEP_2) | instskip(SKIP_1) | instid1(VALU_DEP_2)
	v_mad_co_u64_u32 v[4:5], null, v2, s12, v[1:2]
	v_cmp_eq_u32_e64 s12, 0, v65
	v_lshrrev_b32_e32 v2, 3, v4
                                        ; implicit-def: $vgpr4_vgpr5
	s_delay_alu instid0(VALU_DEP_1)
	v_and_b32_e32 v81, 0x1ffffffc, v2
	s_branch .LBB192_64
.LBB192_63:                             ;   in Loop: Header=BB192_64 Depth=2
	s_wait_alu 0xfffe
	s_or_b32 exec_lo, exec_lo, s15
	s_addk_co_i32 s42, 0xf800
	s_cmp_lt_u32 s43, s34
	s_mov_b32 s22, s43
	s_cbranch_scc0 .LBB192_176
.LBB192_64:                             ;   Parent Loop BB192_12 Depth=1
                                        ; =>  This Inner Loop Header: Depth=2
	s_wait_alu 0xfffe
	s_add_co_i32 s43, s22, 0x800
	s_wait_alu 0xfffe
	s_cmp_gt_u32 s43, s34
	s_cbranch_scc1 .LBB192_66
; %bb.65:                               ;   in Loop: Header=BB192_64 Depth=2
	v_add_co_u32 v20, vcc_lo, v78, s22
	s_wait_alu 0xfffd
	v_add_co_ci_u32_e64 v21, null, 0, v79, vcc_lo
	s_mov_b32 s15, -1
	s_clause 0x6
	global_load_u8 v90, v[20:21], off
	global_load_u8 v91, v[20:21], off offset:32
	global_load_u8 v92, v[20:21], off offset:64
	;; [unrolled: 1-line block ×6, first 2 shown]
	s_movk_i32 s16, 0x800
	s_cbranch_execz .LBB192_67
	s_branch .LBB192_82
.LBB192_66:                             ;   in Loop: Header=BB192_64 Depth=2
	s_mov_b32 s15, 0
                                        ; implicit-def: $vgpr90
                                        ; implicit-def: $vgpr91
                                        ; implicit-def: $vgpr92
                                        ; implicit-def: $vgpr93
                                        ; implicit-def: $vgpr94
                                        ; implicit-def: $vgpr95
                                        ; implicit-def: $vgpr96
	s_movk_i32 s16, 0x800
.LBB192_67:                             ;   in Loop: Header=BB192_64 Depth=2
	v_add_co_u32 v20, vcc_lo, v78, s22
	s_wait_alu 0xfffd
	v_add_co_ci_u32_e64 v21, null, 0, v79, vcc_lo
	s_wait_loadcnt 0x5
	v_dual_mov_b32 v91, 0xff :: v_dual_mov_b32 v90, 0xff
	s_mov_b32 s15, exec_lo
	v_cmpx_gt_u32_e64 s42, v68
	s_cbranch_execz .LBB192_69
; %bb.68:                               ;   in Loop: Header=BB192_64 Depth=2
	global_load_u8 v90, v[20:21], off
.LBB192_69:                             ;   in Loop: Header=BB192_64 Depth=2
	s_wait_alu 0xfffe
	s_or_b32 exec_lo, exec_lo, s15
	s_delay_alu instid0(SALU_CYCLE_1)
	s_mov_b32 s15, exec_lo
	v_cmpx_gt_u32_e64 s42, v71
	s_cbranch_execz .LBB192_71
; %bb.70:                               ;   in Loop: Header=BB192_64 Depth=2
	global_load_u8 v91, v[20:21], off offset:32
.LBB192_71:                             ;   in Loop: Header=BB192_64 Depth=2
	s_wait_alu 0xfffe
	s_or_b32 exec_lo, exec_lo, s15
	s_wait_loadcnt 0x3
	v_dual_mov_b32 v93, 0xff :: v_dual_mov_b32 v92, 0xff
	s_mov_b32 s15, exec_lo
	v_cmpx_gt_u32_e64 s42, v72
	s_cbranch_execz .LBB192_73
; %bb.72:                               ;   in Loop: Header=BB192_64 Depth=2
	global_load_u8 v92, v[20:21], off offset:64
.LBB192_73:                             ;   in Loop: Header=BB192_64 Depth=2
	s_wait_alu 0xfffe
	s_or_b32 exec_lo, exec_lo, s15
	s_delay_alu instid0(SALU_CYCLE_1)
	s_mov_b32 s15, exec_lo
	v_cmpx_gt_u32_e64 s42, v73
	s_cbranch_execz .LBB192_75
; %bb.74:                               ;   in Loop: Header=BB192_64 Depth=2
	global_load_u8 v93, v[20:21], off offset:96
.LBB192_75:                             ;   in Loop: Header=BB192_64 Depth=2
	s_wait_alu 0xfffe
	s_or_b32 exec_lo, exec_lo, s15
	s_wait_loadcnt 0x1
	v_dual_mov_b32 v95, 0xff :: v_dual_mov_b32 v94, 0xff
	s_mov_b32 s15, exec_lo
	v_cmpx_gt_u32_e64 s42, v74
	s_cbranch_execz .LBB192_77
; %bb.76:                               ;   in Loop: Header=BB192_64 Depth=2
	global_load_u8 v94, v[20:21], off offset:128
.LBB192_77:                             ;   in Loop: Header=BB192_64 Depth=2
	s_wait_alu 0xfffe
	s_or_b32 exec_lo, exec_lo, s15
	s_delay_alu instid0(SALU_CYCLE_1)
	s_mov_b32 s15, exec_lo
	v_cmpx_gt_u32_e64 s42, v75
	s_cbranch_execz .LBB192_79
; %bb.78:                               ;   in Loop: Header=BB192_64 Depth=2
	global_load_u8 v95, v[20:21], off offset:160
.LBB192_79:                             ;   in Loop: Header=BB192_64 Depth=2
	s_wait_alu 0xfffe
	s_or_b32 exec_lo, exec_lo, s15
	s_wait_loadcnt 0x0
	v_mov_b32_e32 v96, 0xff
	s_mov_b32 s15, exec_lo
	v_cmpx_gt_u32_e64 s42, v76
	s_cbranch_execz .LBB192_81
; %bb.80:                               ;   in Loop: Header=BB192_64 Depth=2
	global_load_u8 v96, v[20:21], off offset:192
.LBB192_81:                             ;   in Loop: Header=BB192_64 Depth=2
	s_wait_alu 0xfffe
	s_or_b32 exec_lo, exec_lo, s15
	v_cmp_gt_u32_e64 s15, s42, v77
	s_sub_co_i32 s16, s34, s22
.LBB192_82:                             ;   in Loop: Header=BB192_64 Depth=2
	v_dual_mov_b32 v97, 0xff :: v_dual_mov_b32 v2, s42
	s_wait_alu 0xfffe
	s_and_saveexec_b32 s17, s15
	s_cbranch_execz .LBB192_84
; %bb.83:                               ;   in Loop: Header=BB192_64 Depth=2
	v_add_co_u32 v20, vcc_lo, v78, s22
	s_wait_alu 0xfffd
	v_add_co_ci_u32_e64 v21, null, s23, v79, vcc_lo
	v_mov_b32_e32 v2, s16
	global_load_u8 v97, v[20:21], off offset:224
.LBB192_84:                             ;   in Loop: Header=BB192_64 Depth=2
	s_wait_alu 0xfffe
	s_or_b32 exec_lo, exec_lo, s17
	s_wait_loadcnt 0x6
	v_and_b32_e32 v20, 0xff, v90
	v_add_nc_u32_e32 v100, 0x420, v45
	v_add_nc_u32_e32 v101, 0x428, v45
	;; [unrolled: 1-line block ×3, first 2 shown]
	s_delay_alu instid0(VALU_DEP_4) | instskip(NEXT) | instid1(VALU_DEP_1)
	v_lshrrev_b32_e32 v20, s30, v20
	v_and_b32_e32 v21, s31, v20
	s_delay_alu instid0(VALU_DEP_1)
	v_and_b32_e32 v20, 1, v21
	v_lshlrev_b32_e32 v22, 30, v21
	v_lshlrev_b32_e32 v23, 29, v21
	;; [unrolled: 1-line block ×4, first 2 shown]
	v_add_co_u32 v20, s15, v20, -1
	s_wait_alu 0xf1ff
	v_cndmask_b32_e64 v25, 0, 1, s15
	v_not_b32_e32 v99, v22
	v_cmp_gt_i32_e64 s15, 0, v22
	v_not_b32_e32 v22, v23
	v_lshlrev_b32_e32 v27, 26, v21
	v_cmp_ne_u32_e32 vcc_lo, 0, v25
	v_ashrrev_i32_e32 v99, 31, v99
	v_lshlrev_b32_e32 v98, 25, v21
	v_ashrrev_i32_e32 v22, 31, v22
	v_lshlrev_b32_e32 v25, 24, v21
	s_wait_alu 0xfffd
	v_xor_b32_e32 v20, vcc_lo, v20
	v_cmp_gt_i32_e32 vcc_lo, 0, v23
	v_not_b32_e32 v23, v24
	s_wait_alu 0xf1ff
	v_xor_b32_e32 v99, s15, v99
	v_cmp_gt_i32_e64 s15, 0, v24
	v_and_b32_e32 v20, exec_lo, v20
	v_not_b32_e32 v24, v26
	v_ashrrev_i32_e32 v23, 31, v23
	s_wait_alu 0xfffd
	v_xor_b32_e32 v22, vcc_lo, v22
	v_cmp_gt_i32_e32 vcc_lo, 0, v26
	v_and_b32_e32 v20, v20, v99
	v_not_b32_e32 v26, v27
	v_ashrrev_i32_e32 v24, 31, v24
	s_wait_alu 0xf1ff
	v_xor_b32_e32 v23, s15, v23
	v_cmp_gt_i32_e64 s15, 0, v27
	v_and_b32_e32 v20, v20, v22
	v_not_b32_e32 v22, v98
	v_ashrrev_i32_e32 v26, 31, v26
	s_wait_alu 0xfffd
	v_xor_b32_e32 v24, vcc_lo, v24
	v_cmp_gt_i32_e32 vcc_lo, 0, v98
	v_and_b32_e32 v20, v20, v23
	v_not_b32_e32 v23, v25
	v_ashrrev_i32_e32 v22, 31, v22
	s_wait_alu 0xf1ff
	v_xor_b32_e32 v26, s15, v26
	v_cmp_gt_i32_e64 s15, 0, v25
	v_and_b32_e32 v20, v20, v24
	v_ashrrev_i32_e32 v23, 31, v23
	s_wait_alu 0xfffd
	v_xor_b32_e32 v22, vcc_lo, v22
	v_mul_u32_u24_e32 v21, 36, v21
	v_add_nc_u32_e32 v99, 0x438, v45
	v_and_b32_e32 v20, v20, v26
	s_wait_alu 0xf1ff
	v_xor_b32_e32 v23, s15, v23
	v_add_nc_u32_e32 v103, v81, v21
	ds_store_2addr_b32 v99, v3, v3 offset1:1
	v_and_b32_e32 v20, v20, v22
	ds_store_2addr_b32 v100, v3, v3 offset1:1
	ds_store_2addr_b32 v101, v3, v3 offset1:1
	;; [unrolled: 1-line block ×3, first 2 shown]
	ds_store_b32 v45, v3 offset:1088
	s_wait_loadcnt_dscnt 0x0
	s_barrier_signal -1
	s_barrier_wait -1
	v_and_b32_e32 v20, v20, v23
	global_inv scope:SCOPE_SE
	; wave barrier
	v_mbcnt_lo_u32_b32 v98, v20, 0
	v_cmp_ne_u32_e64 s15, 0, v20
	s_delay_alu instid0(VALU_DEP_2)
	v_cmp_eq_u32_e32 vcc_lo, 0, v98
	s_and_b32 s16, s15, vcc_lo
	s_wait_alu 0xfffe
	s_and_saveexec_b32 s15, s16
; %bb.85:                               ;   in Loop: Header=BB192_64 Depth=2
	v_bcnt_u32_b32 v20, v20, 0
	ds_store_b32 v103, v20 offset:1056
; %bb.86:                               ;   in Loop: Header=BB192_64 Depth=2
	s_wait_alu 0xfffe
	s_or_b32 exec_lo, exec_lo, s15
	v_and_b32_e32 v20, 0xff, v91
	; wave barrier
	s_delay_alu instid0(VALU_DEP_1) | instskip(NEXT) | instid1(VALU_DEP_1)
	v_lshrrev_b32_e32 v20, s30, v20
	v_and_b32_e32 v21, s31, v20
	s_delay_alu instid0(VALU_DEP_1)
	v_and_b32_e32 v20, 1, v21
	v_lshlrev_b32_e32 v22, 30, v21
	v_lshlrev_b32_e32 v23, 29, v21
	;; [unrolled: 1-line block ×4, first 2 shown]
	v_add_co_u32 v20, s15, v20, -1
	s_wait_alu 0xf1ff
	v_cndmask_b32_e64 v25, 0, 1, s15
	v_not_b32_e32 v105, v22
	v_cmp_gt_i32_e64 s15, 0, v22
	v_not_b32_e32 v22, v23
	v_lshlrev_b32_e32 v27, 26, v21
	v_cmp_ne_u32_e32 vcc_lo, 0, v25
	v_ashrrev_i32_e32 v105, 31, v105
	v_lshlrev_b32_e32 v104, 25, v21
	v_ashrrev_i32_e32 v22, 31, v22
	v_lshlrev_b32_e32 v25, 24, v21
	s_wait_alu 0xfffd
	v_xor_b32_e32 v20, vcc_lo, v20
	v_cmp_gt_i32_e32 vcc_lo, 0, v23
	v_not_b32_e32 v23, v24
	s_wait_alu 0xf1ff
	v_xor_b32_e32 v105, s15, v105
	v_cmp_gt_i32_e64 s15, 0, v24
	v_and_b32_e32 v20, exec_lo, v20
	v_not_b32_e32 v24, v26
	v_ashrrev_i32_e32 v23, 31, v23
	s_wait_alu 0xfffd
	v_xor_b32_e32 v22, vcc_lo, v22
	v_cmp_gt_i32_e32 vcc_lo, 0, v26
	v_and_b32_e32 v20, v20, v105
	v_not_b32_e32 v26, v27
	v_ashrrev_i32_e32 v24, 31, v24
	s_wait_alu 0xf1ff
	v_xor_b32_e32 v23, s15, v23
	v_cmp_gt_i32_e64 s15, 0, v27
	v_and_b32_e32 v20, v20, v22
	v_not_b32_e32 v22, v104
	v_ashrrev_i32_e32 v26, 31, v26
	s_wait_alu 0xfffd
	v_xor_b32_e32 v24, vcc_lo, v24
	v_cmp_gt_i32_e32 vcc_lo, 0, v104
	v_and_b32_e32 v20, v20, v23
	v_not_b32_e32 v23, v25
	v_ashrrev_i32_e32 v22, 31, v22
	s_wait_alu 0xf1ff
	v_xor_b32_e32 v26, s15, v26
	v_cmp_gt_i32_e64 s15, 0, v25
	v_and_b32_e32 v20, v20, v24
	v_ashrrev_i32_e32 v23, 31, v23
	s_wait_alu 0xfffd
	v_xor_b32_e32 v22, vcc_lo, v22
	v_mad_u32_u24 v24, v21, 36, v81
	v_mul_u32_u24_e32 v21, 36, v21
	v_and_b32_e32 v20, v20, v26
	s_wait_alu 0xf1ff
	v_xor_b32_e32 v23, s15, v23
	ds_load_b32 v104, v24 offset:1056
	v_add_nc_u32_e32 v106, v81, v21
	v_and_b32_e32 v20, v20, v22
	; wave barrier
	s_delay_alu instid0(VALU_DEP_1) | instskip(NEXT) | instid1(VALU_DEP_1)
	v_and_b32_e32 v20, v20, v23
	v_mbcnt_lo_u32_b32 v105, v20, 0
	v_cmp_ne_u32_e64 s15, 0, v20
	s_delay_alu instid0(VALU_DEP_2)
	v_cmp_eq_u32_e32 vcc_lo, 0, v105
	s_and_b32 s16, s15, vcc_lo
	s_wait_alu 0xfffe
	s_and_saveexec_b32 s15, s16
	s_cbranch_execz .LBB192_88
; %bb.87:                               ;   in Loop: Header=BB192_64 Depth=2
	s_wait_dscnt 0x0
	v_bcnt_u32_b32 v20, v20, v104
	ds_store_b32 v106, v20 offset:1056
.LBB192_88:                             ;   in Loop: Header=BB192_64 Depth=2
	s_wait_alu 0xfffe
	s_or_b32 exec_lo, exec_lo, s15
	v_and_b32_e32 v20, 0xff, v92
	; wave barrier
	s_delay_alu instid0(VALU_DEP_1) | instskip(NEXT) | instid1(VALU_DEP_1)
	v_lshrrev_b32_e32 v20, s30, v20
	v_and_b32_e32 v21, s31, v20
	s_delay_alu instid0(VALU_DEP_1)
	v_and_b32_e32 v20, 1, v21
	v_lshlrev_b32_e32 v22, 30, v21
	v_lshlrev_b32_e32 v23, 29, v21
	v_lshlrev_b32_e32 v24, 28, v21
	v_lshlrev_b32_e32 v26, 27, v21
	v_add_co_u32 v20, s15, v20, -1
	s_wait_alu 0xf1ff
	v_cndmask_b32_e64 v25, 0, 1, s15
	v_not_b32_e32 v108, v22
	v_cmp_gt_i32_e64 s15, 0, v22
	v_not_b32_e32 v22, v23
	v_lshlrev_b32_e32 v27, 26, v21
	v_cmp_ne_u32_e32 vcc_lo, 0, v25
	v_ashrrev_i32_e32 v108, 31, v108
	v_lshlrev_b32_e32 v107, 25, v21
	v_ashrrev_i32_e32 v22, 31, v22
	v_lshlrev_b32_e32 v25, 24, v21
	s_wait_alu 0xfffd
	v_xor_b32_e32 v20, vcc_lo, v20
	v_cmp_gt_i32_e32 vcc_lo, 0, v23
	v_not_b32_e32 v23, v24
	s_wait_alu 0xf1ff
	v_xor_b32_e32 v108, s15, v108
	v_cmp_gt_i32_e64 s15, 0, v24
	v_and_b32_e32 v20, exec_lo, v20
	v_not_b32_e32 v24, v26
	v_ashrrev_i32_e32 v23, 31, v23
	s_wait_alu 0xfffd
	v_xor_b32_e32 v22, vcc_lo, v22
	v_cmp_gt_i32_e32 vcc_lo, 0, v26
	v_and_b32_e32 v20, v20, v108
	v_not_b32_e32 v26, v27
	v_ashrrev_i32_e32 v24, 31, v24
	s_wait_alu 0xf1ff
	v_xor_b32_e32 v23, s15, v23
	v_cmp_gt_i32_e64 s15, 0, v27
	v_and_b32_e32 v20, v20, v22
	v_not_b32_e32 v22, v107
	v_ashrrev_i32_e32 v26, 31, v26
	s_wait_alu 0xfffd
	v_xor_b32_e32 v24, vcc_lo, v24
	v_cmp_gt_i32_e32 vcc_lo, 0, v107
	v_and_b32_e32 v20, v20, v23
	v_not_b32_e32 v23, v25
	v_ashrrev_i32_e32 v22, 31, v22
	s_wait_alu 0xf1ff
	v_xor_b32_e32 v26, s15, v26
	v_cmp_gt_i32_e64 s15, 0, v25
	v_and_b32_e32 v20, v20, v24
	v_ashrrev_i32_e32 v23, 31, v23
	s_wait_alu 0xfffd
	v_xor_b32_e32 v22, vcc_lo, v22
	v_mad_u32_u24 v24, v21, 36, v81
	v_mul_u32_u24_e32 v21, 36, v21
	v_and_b32_e32 v20, v20, v26
	s_wait_alu 0xf1ff
	v_xor_b32_e32 v23, s15, v23
	ds_load_b32 v107, v24 offset:1056
	v_add_nc_u32_e32 v109, v81, v21
	v_and_b32_e32 v20, v20, v22
	; wave barrier
	s_delay_alu instid0(VALU_DEP_1) | instskip(NEXT) | instid1(VALU_DEP_1)
	v_and_b32_e32 v20, v20, v23
	v_mbcnt_lo_u32_b32 v108, v20, 0
	v_cmp_ne_u32_e64 s15, 0, v20
	s_delay_alu instid0(VALU_DEP_2)
	v_cmp_eq_u32_e32 vcc_lo, 0, v108
	s_and_b32 s16, s15, vcc_lo
	s_wait_alu 0xfffe
	s_and_saveexec_b32 s15, s16
	s_cbranch_execz .LBB192_90
; %bb.89:                               ;   in Loop: Header=BB192_64 Depth=2
	s_wait_dscnt 0x0
	v_bcnt_u32_b32 v20, v20, v107
	ds_store_b32 v109, v20 offset:1056
.LBB192_90:                             ;   in Loop: Header=BB192_64 Depth=2
	s_wait_alu 0xfffe
	s_or_b32 exec_lo, exec_lo, s15
	v_and_b32_e32 v20, 0xff, v93
	; wave barrier
	s_delay_alu instid0(VALU_DEP_1) | instskip(NEXT) | instid1(VALU_DEP_1)
	v_lshrrev_b32_e32 v20, s30, v20
	v_and_b32_e32 v21, s31, v20
	s_delay_alu instid0(VALU_DEP_1)
	v_and_b32_e32 v20, 1, v21
	v_lshlrev_b32_e32 v22, 30, v21
	v_lshlrev_b32_e32 v23, 29, v21
	;; [unrolled: 1-line block ×4, first 2 shown]
	v_add_co_u32 v20, s15, v20, -1
	s_wait_alu 0xf1ff
	v_cndmask_b32_e64 v25, 0, 1, s15
	v_not_b32_e32 v111, v22
	v_cmp_gt_i32_e64 s15, 0, v22
	v_not_b32_e32 v22, v23
	v_lshlrev_b32_e32 v27, 26, v21
	v_cmp_ne_u32_e32 vcc_lo, 0, v25
	v_ashrrev_i32_e32 v111, 31, v111
	v_lshlrev_b32_e32 v110, 25, v21
	v_ashrrev_i32_e32 v22, 31, v22
	v_lshlrev_b32_e32 v25, 24, v21
	s_wait_alu 0xfffd
	v_xor_b32_e32 v20, vcc_lo, v20
	v_cmp_gt_i32_e32 vcc_lo, 0, v23
	v_not_b32_e32 v23, v24
	s_wait_alu 0xf1ff
	v_xor_b32_e32 v111, s15, v111
	v_cmp_gt_i32_e64 s15, 0, v24
	v_and_b32_e32 v20, exec_lo, v20
	v_not_b32_e32 v24, v26
	v_ashrrev_i32_e32 v23, 31, v23
	s_wait_alu 0xfffd
	v_xor_b32_e32 v22, vcc_lo, v22
	v_cmp_gt_i32_e32 vcc_lo, 0, v26
	v_and_b32_e32 v20, v20, v111
	v_not_b32_e32 v26, v27
	v_ashrrev_i32_e32 v24, 31, v24
	s_wait_alu 0xf1ff
	v_xor_b32_e32 v23, s15, v23
	v_cmp_gt_i32_e64 s15, 0, v27
	v_and_b32_e32 v20, v20, v22
	v_not_b32_e32 v22, v110
	v_ashrrev_i32_e32 v26, 31, v26
	s_wait_alu 0xfffd
	v_xor_b32_e32 v24, vcc_lo, v24
	v_cmp_gt_i32_e32 vcc_lo, 0, v110
	v_and_b32_e32 v20, v20, v23
	v_not_b32_e32 v23, v25
	v_ashrrev_i32_e32 v22, 31, v22
	s_wait_alu 0xf1ff
	v_xor_b32_e32 v26, s15, v26
	v_cmp_gt_i32_e64 s15, 0, v25
	v_and_b32_e32 v20, v20, v24
	v_ashrrev_i32_e32 v23, 31, v23
	s_wait_alu 0xfffd
	v_xor_b32_e32 v22, vcc_lo, v22
	v_mad_u32_u24 v24, v21, 36, v81
	v_mul_u32_u24_e32 v21, 36, v21
	v_and_b32_e32 v20, v20, v26
	s_wait_alu 0xf1ff
	v_xor_b32_e32 v23, s15, v23
	ds_load_b32 v110, v24 offset:1056
	v_add_nc_u32_e32 v112, v81, v21
	v_and_b32_e32 v20, v20, v22
	; wave barrier
	s_delay_alu instid0(VALU_DEP_1) | instskip(NEXT) | instid1(VALU_DEP_1)
	v_and_b32_e32 v20, v20, v23
	v_mbcnt_lo_u32_b32 v111, v20, 0
	v_cmp_ne_u32_e64 s15, 0, v20
	s_delay_alu instid0(VALU_DEP_2)
	v_cmp_eq_u32_e32 vcc_lo, 0, v111
	s_and_b32 s16, s15, vcc_lo
	s_wait_alu 0xfffe
	s_and_saveexec_b32 s15, s16
	s_cbranch_execz .LBB192_92
; %bb.91:                               ;   in Loop: Header=BB192_64 Depth=2
	s_wait_dscnt 0x0
	v_bcnt_u32_b32 v20, v20, v110
	ds_store_b32 v112, v20 offset:1056
.LBB192_92:                             ;   in Loop: Header=BB192_64 Depth=2
	s_wait_alu 0xfffe
	s_or_b32 exec_lo, exec_lo, s15
	v_and_b32_e32 v20, 0xff, v94
	; wave barrier
	s_delay_alu instid0(VALU_DEP_1) | instskip(NEXT) | instid1(VALU_DEP_1)
	v_lshrrev_b32_e32 v20, s30, v20
	v_and_b32_e32 v21, s31, v20
	s_delay_alu instid0(VALU_DEP_1)
	v_and_b32_e32 v20, 1, v21
	v_lshlrev_b32_e32 v22, 30, v21
	v_lshlrev_b32_e32 v23, 29, v21
	;; [unrolled: 1-line block ×4, first 2 shown]
	v_add_co_u32 v20, s15, v20, -1
	s_wait_alu 0xf1ff
	v_cndmask_b32_e64 v25, 0, 1, s15
	v_not_b32_e32 v114, v22
	v_cmp_gt_i32_e64 s15, 0, v22
	v_not_b32_e32 v22, v23
	v_lshlrev_b32_e32 v27, 26, v21
	v_cmp_ne_u32_e32 vcc_lo, 0, v25
	v_ashrrev_i32_e32 v114, 31, v114
	v_lshlrev_b32_e32 v113, 25, v21
	v_ashrrev_i32_e32 v22, 31, v22
	v_lshlrev_b32_e32 v25, 24, v21
	s_wait_alu 0xfffd
	v_xor_b32_e32 v20, vcc_lo, v20
	v_cmp_gt_i32_e32 vcc_lo, 0, v23
	v_not_b32_e32 v23, v24
	s_wait_alu 0xf1ff
	v_xor_b32_e32 v114, s15, v114
	v_cmp_gt_i32_e64 s15, 0, v24
	v_and_b32_e32 v20, exec_lo, v20
	v_not_b32_e32 v24, v26
	v_ashrrev_i32_e32 v23, 31, v23
	s_wait_alu 0xfffd
	v_xor_b32_e32 v22, vcc_lo, v22
	v_cmp_gt_i32_e32 vcc_lo, 0, v26
	v_and_b32_e32 v20, v20, v114
	v_not_b32_e32 v26, v27
	v_ashrrev_i32_e32 v24, 31, v24
	s_wait_alu 0xf1ff
	v_xor_b32_e32 v23, s15, v23
	v_cmp_gt_i32_e64 s15, 0, v27
	v_and_b32_e32 v20, v20, v22
	v_not_b32_e32 v22, v113
	v_ashrrev_i32_e32 v26, 31, v26
	s_wait_alu 0xfffd
	v_xor_b32_e32 v24, vcc_lo, v24
	v_cmp_gt_i32_e32 vcc_lo, 0, v113
	v_and_b32_e32 v20, v20, v23
	v_not_b32_e32 v23, v25
	v_ashrrev_i32_e32 v22, 31, v22
	s_wait_alu 0xf1ff
	v_xor_b32_e32 v26, s15, v26
	v_cmp_gt_i32_e64 s15, 0, v25
	v_and_b32_e32 v20, v20, v24
	v_ashrrev_i32_e32 v23, 31, v23
	s_wait_alu 0xfffd
	v_xor_b32_e32 v22, vcc_lo, v22
	v_mad_u32_u24 v24, v21, 36, v81
	v_mul_u32_u24_e32 v21, 36, v21
	v_and_b32_e32 v20, v20, v26
	s_wait_alu 0xf1ff
	v_xor_b32_e32 v23, s15, v23
	ds_load_b32 v113, v24 offset:1056
	v_add_nc_u32_e32 v115, v81, v21
	v_and_b32_e32 v20, v20, v22
	; wave barrier
	s_delay_alu instid0(VALU_DEP_1) | instskip(NEXT) | instid1(VALU_DEP_1)
	v_and_b32_e32 v20, v20, v23
	v_mbcnt_lo_u32_b32 v114, v20, 0
	v_cmp_ne_u32_e64 s15, 0, v20
	s_delay_alu instid0(VALU_DEP_2)
	v_cmp_eq_u32_e32 vcc_lo, 0, v114
	s_and_b32 s16, s15, vcc_lo
	s_wait_alu 0xfffe
	s_and_saveexec_b32 s15, s16
	s_cbranch_execz .LBB192_94
; %bb.93:                               ;   in Loop: Header=BB192_64 Depth=2
	s_wait_dscnt 0x0
	v_bcnt_u32_b32 v20, v20, v113
	ds_store_b32 v115, v20 offset:1056
.LBB192_94:                             ;   in Loop: Header=BB192_64 Depth=2
	s_wait_alu 0xfffe
	s_or_b32 exec_lo, exec_lo, s15
	v_and_b32_e32 v20, 0xff, v95
	; wave barrier
	s_delay_alu instid0(VALU_DEP_1) | instskip(NEXT) | instid1(VALU_DEP_1)
	v_lshrrev_b32_e32 v20, s30, v20
	v_and_b32_e32 v21, s31, v20
	s_delay_alu instid0(VALU_DEP_1)
	v_and_b32_e32 v20, 1, v21
	v_lshlrev_b32_e32 v22, 30, v21
	v_lshlrev_b32_e32 v23, 29, v21
	;; [unrolled: 1-line block ×4, first 2 shown]
	v_add_co_u32 v20, s15, v20, -1
	s_wait_alu 0xf1ff
	v_cndmask_b32_e64 v25, 0, 1, s15
	v_not_b32_e32 v117, v22
	v_cmp_gt_i32_e64 s15, 0, v22
	v_not_b32_e32 v22, v23
	v_lshlrev_b32_e32 v27, 26, v21
	v_cmp_ne_u32_e32 vcc_lo, 0, v25
	v_ashrrev_i32_e32 v117, 31, v117
	v_lshlrev_b32_e32 v116, 25, v21
	v_ashrrev_i32_e32 v22, 31, v22
	v_lshlrev_b32_e32 v25, 24, v21
	s_wait_alu 0xfffd
	v_xor_b32_e32 v20, vcc_lo, v20
	v_cmp_gt_i32_e32 vcc_lo, 0, v23
	v_not_b32_e32 v23, v24
	s_wait_alu 0xf1ff
	v_xor_b32_e32 v117, s15, v117
	v_cmp_gt_i32_e64 s15, 0, v24
	v_and_b32_e32 v20, exec_lo, v20
	v_not_b32_e32 v24, v26
	v_ashrrev_i32_e32 v23, 31, v23
	s_wait_alu 0xfffd
	v_xor_b32_e32 v22, vcc_lo, v22
	v_cmp_gt_i32_e32 vcc_lo, 0, v26
	v_and_b32_e32 v20, v20, v117
	v_not_b32_e32 v26, v27
	v_ashrrev_i32_e32 v24, 31, v24
	s_wait_alu 0xf1ff
	v_xor_b32_e32 v23, s15, v23
	v_cmp_gt_i32_e64 s15, 0, v27
	v_and_b32_e32 v20, v20, v22
	v_not_b32_e32 v22, v116
	v_ashrrev_i32_e32 v26, 31, v26
	s_wait_alu 0xfffd
	v_xor_b32_e32 v24, vcc_lo, v24
	v_cmp_gt_i32_e32 vcc_lo, 0, v116
	v_and_b32_e32 v20, v20, v23
	v_not_b32_e32 v23, v25
	v_ashrrev_i32_e32 v22, 31, v22
	s_wait_alu 0xf1ff
	v_xor_b32_e32 v26, s15, v26
	v_cmp_gt_i32_e64 s15, 0, v25
	v_and_b32_e32 v20, v20, v24
	v_ashrrev_i32_e32 v23, 31, v23
	s_wait_alu 0xfffd
	v_xor_b32_e32 v22, vcc_lo, v22
	v_mad_u32_u24 v24, v21, 36, v81
	v_mul_u32_u24_e32 v21, 36, v21
	v_and_b32_e32 v20, v20, v26
	s_wait_alu 0xf1ff
	v_xor_b32_e32 v23, s15, v23
	ds_load_b32 v116, v24 offset:1056
	v_add_nc_u32_e32 v118, v81, v21
	v_and_b32_e32 v20, v20, v22
	; wave barrier
	s_delay_alu instid0(VALU_DEP_1) | instskip(NEXT) | instid1(VALU_DEP_1)
	v_and_b32_e32 v20, v20, v23
	v_mbcnt_lo_u32_b32 v117, v20, 0
	v_cmp_ne_u32_e64 s15, 0, v20
	s_delay_alu instid0(VALU_DEP_2)
	v_cmp_eq_u32_e32 vcc_lo, 0, v117
	s_and_b32 s16, s15, vcc_lo
	s_wait_alu 0xfffe
	s_and_saveexec_b32 s15, s16
	s_cbranch_execz .LBB192_96
; %bb.95:                               ;   in Loop: Header=BB192_64 Depth=2
	s_wait_dscnt 0x0
	v_bcnt_u32_b32 v20, v20, v116
	ds_store_b32 v118, v20 offset:1056
.LBB192_96:                             ;   in Loop: Header=BB192_64 Depth=2
	s_wait_alu 0xfffe
	s_or_b32 exec_lo, exec_lo, s15
	v_and_b32_e32 v20, 0xff, v96
	; wave barrier
	s_delay_alu instid0(VALU_DEP_1) | instskip(NEXT) | instid1(VALU_DEP_1)
	v_lshrrev_b32_e32 v20, s30, v20
	v_and_b32_e32 v21, s31, v20
	s_delay_alu instid0(VALU_DEP_1)
	v_and_b32_e32 v20, 1, v21
	v_lshlrev_b32_e32 v22, 30, v21
	v_lshlrev_b32_e32 v23, 29, v21
	;; [unrolled: 1-line block ×4, first 2 shown]
	v_add_co_u32 v20, s15, v20, -1
	s_wait_alu 0xf1ff
	v_cndmask_b32_e64 v25, 0, 1, s15
	v_not_b32_e32 v120, v22
	v_cmp_gt_i32_e64 s15, 0, v22
	v_not_b32_e32 v22, v23
	v_lshlrev_b32_e32 v27, 26, v21
	v_cmp_ne_u32_e32 vcc_lo, 0, v25
	v_ashrrev_i32_e32 v120, 31, v120
	v_lshlrev_b32_e32 v119, 25, v21
	v_ashrrev_i32_e32 v22, 31, v22
	v_lshlrev_b32_e32 v25, 24, v21
	s_wait_alu 0xfffd
	v_xor_b32_e32 v20, vcc_lo, v20
	v_cmp_gt_i32_e32 vcc_lo, 0, v23
	v_not_b32_e32 v23, v24
	s_wait_alu 0xf1ff
	v_xor_b32_e32 v120, s15, v120
	v_cmp_gt_i32_e64 s15, 0, v24
	v_and_b32_e32 v20, exec_lo, v20
	v_not_b32_e32 v24, v26
	v_ashrrev_i32_e32 v23, 31, v23
	s_wait_alu 0xfffd
	v_xor_b32_e32 v22, vcc_lo, v22
	v_cmp_gt_i32_e32 vcc_lo, 0, v26
	v_and_b32_e32 v20, v20, v120
	v_not_b32_e32 v26, v27
	v_ashrrev_i32_e32 v24, 31, v24
	s_wait_alu 0xf1ff
	v_xor_b32_e32 v23, s15, v23
	v_cmp_gt_i32_e64 s15, 0, v27
	v_and_b32_e32 v20, v20, v22
	v_not_b32_e32 v22, v119
	v_ashrrev_i32_e32 v26, 31, v26
	s_wait_alu 0xfffd
	v_xor_b32_e32 v24, vcc_lo, v24
	v_cmp_gt_i32_e32 vcc_lo, 0, v119
	v_and_b32_e32 v20, v20, v23
	v_not_b32_e32 v23, v25
	v_ashrrev_i32_e32 v22, 31, v22
	s_wait_alu 0xf1ff
	v_xor_b32_e32 v26, s15, v26
	v_cmp_gt_i32_e64 s15, 0, v25
	v_and_b32_e32 v20, v20, v24
	v_ashrrev_i32_e32 v23, 31, v23
	s_wait_alu 0xfffd
	v_xor_b32_e32 v22, vcc_lo, v22
	v_mad_u32_u24 v24, v21, 36, v81
	v_mul_u32_u24_e32 v21, 36, v21
	v_and_b32_e32 v20, v20, v26
	s_wait_alu 0xf1ff
	v_xor_b32_e32 v23, s15, v23
	ds_load_b32 v119, v24 offset:1056
	v_add_nc_u32_e32 v121, v81, v21
	v_and_b32_e32 v20, v20, v22
	; wave barrier
	s_delay_alu instid0(VALU_DEP_1) | instskip(NEXT) | instid1(VALU_DEP_1)
	v_and_b32_e32 v20, v20, v23
	v_mbcnt_lo_u32_b32 v120, v20, 0
	v_cmp_ne_u32_e64 s15, 0, v20
	s_delay_alu instid0(VALU_DEP_2)
	v_cmp_eq_u32_e32 vcc_lo, 0, v120
	s_and_b32 s16, s15, vcc_lo
	s_wait_alu 0xfffe
	s_and_saveexec_b32 s15, s16
	s_cbranch_execz .LBB192_98
; %bb.97:                               ;   in Loop: Header=BB192_64 Depth=2
	s_wait_dscnt 0x0
	v_bcnt_u32_b32 v20, v20, v119
	ds_store_b32 v121, v20 offset:1056
.LBB192_98:                             ;   in Loop: Header=BB192_64 Depth=2
	s_wait_alu 0xfffe
	s_or_b32 exec_lo, exec_lo, s15
	v_and_b32_e32 v20, 0xff, v97
	; wave barrier
	s_delay_alu instid0(VALU_DEP_1) | instskip(NEXT) | instid1(VALU_DEP_1)
	v_lshrrev_b32_e32 v20, s30, v20
	v_and_b32_e32 v21, s31, v20
	s_delay_alu instid0(VALU_DEP_1)
	v_and_b32_e32 v20, 1, v21
	v_lshlrev_b32_e32 v22, 30, v21
	v_lshlrev_b32_e32 v23, 29, v21
	;; [unrolled: 1-line block ×4, first 2 shown]
	v_add_co_u32 v20, s15, v20, -1
	s_wait_alu 0xf1ff
	v_cndmask_b32_e64 v25, 0, 1, s15
	v_not_b32_e32 v123, v22
	v_cmp_gt_i32_e64 s15, 0, v22
	v_not_b32_e32 v22, v23
	v_lshlrev_b32_e32 v27, 26, v21
	v_cmp_ne_u32_e32 vcc_lo, 0, v25
	v_ashrrev_i32_e32 v123, 31, v123
	v_lshlrev_b32_e32 v122, 25, v21
	v_ashrrev_i32_e32 v22, 31, v22
	v_lshlrev_b32_e32 v25, 24, v21
	s_wait_alu 0xfffd
	v_xor_b32_e32 v20, vcc_lo, v20
	v_cmp_gt_i32_e32 vcc_lo, 0, v23
	v_not_b32_e32 v23, v24
	s_wait_alu 0xf1ff
	v_xor_b32_e32 v123, s15, v123
	v_cmp_gt_i32_e64 s15, 0, v24
	v_and_b32_e32 v20, exec_lo, v20
	v_not_b32_e32 v24, v26
	v_ashrrev_i32_e32 v23, 31, v23
	s_wait_alu 0xfffd
	v_xor_b32_e32 v22, vcc_lo, v22
	v_cmp_gt_i32_e32 vcc_lo, 0, v26
	v_and_b32_e32 v20, v20, v123
	v_not_b32_e32 v26, v27
	v_ashrrev_i32_e32 v24, 31, v24
	s_wait_alu 0xf1ff
	v_xor_b32_e32 v23, s15, v23
	v_cmp_gt_i32_e64 s15, 0, v27
	v_and_b32_e32 v20, v20, v22
	v_not_b32_e32 v22, v122
	v_ashrrev_i32_e32 v26, 31, v26
	s_wait_alu 0xfffd
	v_xor_b32_e32 v24, vcc_lo, v24
	v_cmp_gt_i32_e32 vcc_lo, 0, v122
	v_and_b32_e32 v20, v20, v23
	v_not_b32_e32 v23, v25
	v_ashrrev_i32_e32 v22, 31, v22
	s_wait_alu 0xf1ff
	v_xor_b32_e32 v26, s15, v26
	v_cmp_gt_i32_e64 s15, 0, v25
	v_and_b32_e32 v20, v20, v24
	v_ashrrev_i32_e32 v23, 31, v23
	s_wait_alu 0xfffd
	v_xor_b32_e32 v22, vcc_lo, v22
	v_mad_u32_u24 v24, v21, 36, v81
	v_mul_u32_u24_e32 v21, 36, v21
	v_and_b32_e32 v20, v20, v26
	s_wait_alu 0xf1ff
	v_xor_b32_e32 v23, s15, v23
	ds_load_b32 v122, v24 offset:1056
	v_add_nc_u32_e32 v124, v81, v21
	v_and_b32_e32 v20, v20, v22
	; wave barrier
	s_delay_alu instid0(VALU_DEP_1) | instskip(NEXT) | instid1(VALU_DEP_1)
	v_and_b32_e32 v20, v20, v23
	v_mbcnt_lo_u32_b32 v123, v20, 0
	v_cmp_ne_u32_e64 s15, 0, v20
	s_delay_alu instid0(VALU_DEP_2)
	v_cmp_eq_u32_e32 vcc_lo, 0, v123
	s_and_b32 s16, s15, vcc_lo
	s_wait_alu 0xfffe
	s_and_saveexec_b32 s15, s16
	s_cbranch_execz .LBB192_100
; %bb.99:                               ;   in Loop: Header=BB192_64 Depth=2
	s_wait_dscnt 0x0
	v_bcnt_u32_b32 v20, v20, v122
	ds_store_b32 v124, v20 offset:1056
.LBB192_100:                            ;   in Loop: Header=BB192_64 Depth=2
	s_wait_alu 0xfffe
	s_or_b32 exec_lo, exec_lo, s15
	; wave barrier
	s_wait_loadcnt_dscnt 0x0
	s_barrier_signal -1
	s_barrier_wait -1
	global_inv scope:SCOPE_SE
	ds_load_2addr_b32 v[26:27], v100 offset1:1
	ds_load_2addr_b32 v[24:25], v101 offset1:1
	;; [unrolled: 1-line block ×4, first 2 shown]
	ds_load_b32 v125, v45 offset:1088
	s_wait_dscnt 0x3
	v_add3_u32 v126, v27, v26, v24
	s_wait_dscnt 0x2
	s_delay_alu instid0(VALU_DEP_1) | instskip(SKIP_1) | instid1(VALU_DEP_1)
	v_add3_u32 v126, v126, v25, v22
	s_wait_dscnt 0x1
	v_add3_u32 v126, v126, v23, v20
	s_wait_dscnt 0x0
	s_delay_alu instid0(VALU_DEP_1) | instskip(NEXT) | instid1(VALU_DEP_1)
	v_add3_u32 v125, v126, v21, v125
	v_mov_b32_dpp v126, v125 row_shr:1 row_mask:0xf bank_mask:0xf
	s_delay_alu instid0(VALU_DEP_1) | instskip(NEXT) | instid1(VALU_DEP_1)
	v_cndmask_b32_e64 v126, v126, 0, s0
	v_add_nc_u32_e32 v125, v126, v125
	s_delay_alu instid0(VALU_DEP_1) | instskip(NEXT) | instid1(VALU_DEP_1)
	v_mov_b32_dpp v126, v125 row_shr:2 row_mask:0xf bank_mask:0xf
	v_cndmask_b32_e64 v126, 0, v126, s1
	s_delay_alu instid0(VALU_DEP_1) | instskip(NEXT) | instid1(VALU_DEP_1)
	v_add_nc_u32_e32 v125, v125, v126
	v_mov_b32_dpp v126, v125 row_shr:4 row_mask:0xf bank_mask:0xf
	s_delay_alu instid0(VALU_DEP_1) | instskip(NEXT) | instid1(VALU_DEP_1)
	v_cndmask_b32_e64 v126, 0, v126, s9
	v_add_nc_u32_e32 v125, v125, v126
	s_delay_alu instid0(VALU_DEP_1) | instskip(NEXT) | instid1(VALU_DEP_1)
	v_mov_b32_dpp v126, v125 row_shr:8 row_mask:0xf bank_mask:0xf
	v_cndmask_b32_e64 v126, 0, v126, s10
	s_delay_alu instid0(VALU_DEP_1) | instskip(SKIP_3) | instid1(VALU_DEP_1)
	v_add_nc_u32_e32 v125, v125, v126
	ds_swizzle_b32 v126, v125 offset:swizzle(BROADCAST,32,15)
	s_wait_dscnt 0x0
	v_cndmask_b32_e64 v126, v126, 0, s11
	v_add_nc_u32_e32 v125, v125, v126
	s_and_saveexec_b32 s15, s3
; %bb.101:                              ;   in Loop: Header=BB192_64 Depth=2
	ds_store_b32 v38, v125 offset:1024
; %bb.102:                              ;   in Loop: Header=BB192_64 Depth=2
	s_wait_alu 0xfffe
	s_or_b32 exec_lo, exec_lo, s15
	s_wait_loadcnt_dscnt 0x0
	s_barrier_signal -1
	s_barrier_wait -1
	global_inv scope:SCOPE_SE
	s_and_saveexec_b32 s15, s4
	s_cbranch_execz .LBB192_104
; %bb.103:                              ;   in Loop: Header=BB192_64 Depth=2
	v_add_nc_u32_e32 v126, v45, v46
	ds_load_b32 v127, v126 offset:1024
	s_wait_dscnt 0x0
	v_mov_b32_dpp v128, v127 row_shr:1 row_mask:0xf bank_mask:0xf
	s_delay_alu instid0(VALU_DEP_1) | instskip(NEXT) | instid1(VALU_DEP_1)
	v_cndmask_b32_e64 v128, v128, 0, s12
	v_add_nc_u32_e32 v127, v128, v127
	s_delay_alu instid0(VALU_DEP_1) | instskip(NEXT) | instid1(VALU_DEP_1)
	v_mov_b32_dpp v128, v127 row_shr:2 row_mask:0xf bank_mask:0xf
	v_cndmask_b32_e64 v128, 0, v128, s13
	s_delay_alu instid0(VALU_DEP_1) | instskip(NEXT) | instid1(VALU_DEP_1)
	v_add_nc_u32_e32 v127, v127, v128
	v_mov_b32_dpp v128, v127 row_shr:4 row_mask:0xf bank_mask:0xf
	s_delay_alu instid0(VALU_DEP_1) | instskip(NEXT) | instid1(VALU_DEP_1)
	v_cndmask_b32_e64 v128, 0, v128, s14
	v_add_nc_u32_e32 v127, v127, v128
	ds_store_b32 v126, v127 offset:1024
.LBB192_104:                            ;   in Loop: Header=BB192_64 Depth=2
	s_wait_alu 0xfffe
	s_or_b32 exec_lo, exec_lo, s15
	v_mov_b32_e32 v126, 0
	s_wait_loadcnt_dscnt 0x0
	s_barrier_signal -1
	s_barrier_wait -1
	global_inv scope:SCOPE_SE
	s_and_saveexec_b32 s15, s5
; %bb.105:                              ;   in Loop: Header=BB192_64 Depth=2
	ds_load_b32 v126, v38 offset:1020
; %bb.106:                              ;   in Loop: Header=BB192_64 Depth=2
	s_wait_alu 0xfffe
	s_or_b32 exec_lo, exec_lo, s15
	s_wait_dscnt 0x0
	v_add_nc_u32_e32 v125, v126, v125
	ds_bpermute_b32 v125, v80, v125
	s_wait_dscnt 0x0
	v_cndmask_b32_e64 v125, v125, v126, s8
	s_delay_alu instid0(VALU_DEP_1) | instskip(NEXT) | instid1(VALU_DEP_1)
	v_cndmask_b32_e64 v125, v125, 0, s6
	v_add_nc_u32_e32 v26, v125, v26
	s_delay_alu instid0(VALU_DEP_1) | instskip(NEXT) | instid1(VALU_DEP_1)
	v_add_nc_u32_e32 v27, v26, v27
	v_add_nc_u32_e32 v24, v27, v24
	s_delay_alu instid0(VALU_DEP_1) | instskip(NEXT) | instid1(VALU_DEP_1)
	v_add_nc_u32_e32 v25, v24, v25
	;; [unrolled: 3-line block ×3, first 2 shown]
	v_add_nc_u32_e32 v20, v23, v20
	s_delay_alu instid0(VALU_DEP_1)
	v_add_nc_u32_e32 v21, v20, v21
	ds_store_2addr_b32 v99, v23, v20 offset1:1
	ds_store_2addr_b32 v100, v125, v26 offset1:1
	;; [unrolled: 1-line block ×4, first 2 shown]
	ds_store_b32 v45, v21 offset:1088
	s_wait_loadcnt_dscnt 0x0
	s_barrier_signal -1
	s_barrier_wait -1
	global_inv scope:SCOPE_SE
	ds_load_b32 v20, v103 offset:1056
	ds_load_b32 v21, v106 offset:1056
	;; [unrolled: 1-line block ×9, first 2 shown]
	v_mov_b32_e32 v22, 0x800
	s_and_saveexec_b32 s15, s7
; %bb.107:                              ;   in Loop: Header=BB192_64 Depth=2
	ds_load_b32 v22, v45 offset:1092
; %bb.108:                              ;   in Loop: Header=BB192_64 Depth=2
	s_wait_alu 0xfffe
	s_or_b32 exec_lo, exec_lo, s15
	s_wait_loadcnt_dscnt 0x0
	s_barrier_signal -1
	s_barrier_wait -1
	global_inv scope:SCOPE_SE
	s_and_saveexec_b32 s15, s2
	s_cbranch_execz .LBB192_110
; %bb.109:                              ;   in Loop: Header=BB192_64 Depth=2
	ds_load_b32 v27, v28
	s_wait_dscnt 0x0
	v_sub_nc_u32_e32 v26, v27, v26
	ds_store_b32 v28, v26
.LBB192_110:                            ;   in Loop: Header=BB192_64 Depth=2
	s_wait_alu 0xfffe
	s_or_b32 exec_lo, exec_lo, s15
	v_add_nc_u32_e32 v100, v20, v98
	v_add3_u32 v99, v105, v104, v21
	v_add3_u32 v98, v108, v107, v23
	;; [unrolled: 1-line block ×7, first 2 shown]
	v_cmp_lt_u32_e64 s21, v1, v2
	ds_store_b8 v100, v90 offset:1024
	ds_store_b8 v99, v91 offset:1024
	;; [unrolled: 1-line block ×8, first 2 shown]
	s_wait_loadcnt_dscnt 0x0
	s_barrier_signal -1
	s_barrier_wait -1
	global_inv scope:SCOPE_SE
	s_and_saveexec_b32 s15, s21
	s_cbranch_execnz .LBB192_147
; %bb.111:                              ;   in Loop: Header=BB192_64 Depth=2
	s_wait_alu 0xfffe
	s_or_b32 exec_lo, exec_lo, s15
	v_cmp_lt_u32_e64 s20, v29, v2
	s_and_saveexec_b32 s15, s20
	s_cbranch_execnz .LBB192_148
.LBB192_112:                            ;   in Loop: Header=BB192_64 Depth=2
	s_wait_alu 0xfffe
	s_or_b32 exec_lo, exec_lo, s15
	v_cmp_lt_u32_e64 s19, v30, v2
	s_and_saveexec_b32 s15, s19
	s_cbranch_execnz .LBB192_149
.LBB192_113:                            ;   in Loop: Header=BB192_64 Depth=2
	s_wait_alu 0xfffe
	s_or_b32 exec_lo, exec_lo, s15
	v_cmp_lt_u32_e64 s18, v31, v2
	s_and_saveexec_b32 s15, s18
	s_cbranch_execnz .LBB192_150
.LBB192_114:                            ;   in Loop: Header=BB192_64 Depth=2
	s_wait_alu 0xfffe
	s_or_b32 exec_lo, exec_lo, s15
	v_cmp_lt_u32_e64 s17, v34, v2
	s_and_saveexec_b32 s15, s17
	s_cbranch_execnz .LBB192_151
.LBB192_115:                            ;   in Loop: Header=BB192_64 Depth=2
	s_wait_alu 0xfffe
	s_or_b32 exec_lo, exec_lo, s15
	v_cmp_lt_u32_e64 s16, v35, v2
	s_and_saveexec_b32 s15, s16
	s_cbranch_execnz .LBB192_152
.LBB192_116:                            ;   in Loop: Header=BB192_64 Depth=2
	s_wait_alu 0xfffe
	s_or_b32 exec_lo, exec_lo, s15
	v_cmp_lt_u32_e64 s15, v36, v2
	s_and_saveexec_b32 s44, s15
	s_cbranch_execnz .LBB192_153
.LBB192_117:                            ;   in Loop: Header=BB192_64 Depth=2
	s_wait_alu 0xfffe
	s_or_b32 exec_lo, exec_lo, s44
	v_cmp_lt_u32_e32 vcc_lo, v37, v2
	s_and_saveexec_b32 s44, vcc_lo
	s_cbranch_execz .LBB192_119
.LBB192_118:                            ;   in Loop: Header=BB192_64 Depth=2
	ds_load_u8 v20, v1 offset:2816
	s_wait_dscnt 0x0
	v_and_b32_e32 v21, 0xff, v20
	s_delay_alu instid0(VALU_DEP_1) | instskip(NEXT) | instid1(VALU_DEP_1)
	v_lshrrev_b32_e32 v21, s30, v21
	v_and_b32_e32 v21, s31, v21
	s_delay_alu instid0(VALU_DEP_1)
	v_lshlrev_b32_e32 v21, 2, v21
	ds_load_b32 v21, v21
	s_wait_dscnt 0x0
	v_add_nc_u32_e32 v21, v21, v37
	global_store_b8 v21, v20, s[38:39]
.LBB192_119:                            ;   in Loop: Header=BB192_64 Depth=2
	s_wait_alu 0xfffe
	s_or_b32 exec_lo, exec_lo, s44
	s_lshl_b64 s[48:49], s[22:23], 3
	s_wait_alu 0xfffe
	v_add_co_u32 v20, s22, v69, s48
	s_wait_alu 0xf1ff
	v_add_co_ci_u32_e64 v21, null, s49, v70, s22
	v_cmp_lt_u32_e64 s22, v68, v2
	s_and_saveexec_b32 s44, s22
	s_wait_alu 0xfffe
	s_xor_b32 s22, exec_lo, s44
	s_cbranch_execnz .LBB192_154
; %bb.120:                              ;   in Loop: Header=BB192_64 Depth=2
	s_wait_alu 0xfffe
	s_or_b32 exec_lo, exec_lo, s22
	s_delay_alu instid0(SALU_CYCLE_1)
	s_mov_b32 s44, exec_lo
	v_cmpx_lt_u32_e64 v71, v2
	s_cbranch_execnz .LBB192_155
.LBB192_121:                            ;   in Loop: Header=BB192_64 Depth=2
	s_wait_alu 0xfffe
	s_or_b32 exec_lo, exec_lo, s44
	s_delay_alu instid0(SALU_CYCLE_1)
	s_mov_b32 s44, exec_lo
	v_cmpx_lt_u32_e64 v72, v2
	s_cbranch_execnz .LBB192_156
.LBB192_122:                            ;   in Loop: Header=BB192_64 Depth=2
	s_wait_alu 0xfffe
	s_or_b32 exec_lo, exec_lo, s44
	s_delay_alu instid0(SALU_CYCLE_1)
	s_mov_b32 s44, exec_lo
	v_cmpx_lt_u32_e64 v73, v2
	s_cbranch_execnz .LBB192_157
.LBB192_123:                            ;   in Loop: Header=BB192_64 Depth=2
	s_wait_alu 0xfffe
	s_or_b32 exec_lo, exec_lo, s44
	s_delay_alu instid0(SALU_CYCLE_1)
	s_mov_b32 s44, exec_lo
	v_cmpx_lt_u32_e64 v74, v2
	s_cbranch_execnz .LBB192_158
.LBB192_124:                            ;   in Loop: Header=BB192_64 Depth=2
	s_wait_alu 0xfffe
	s_or_b32 exec_lo, exec_lo, s44
	s_delay_alu instid0(SALU_CYCLE_1)
	s_mov_b32 s44, exec_lo
	v_cmpx_lt_u32_e64 v75, v2
	s_cbranch_execnz .LBB192_159
.LBB192_125:                            ;   in Loop: Header=BB192_64 Depth=2
	s_wait_alu 0xfffe
	s_or_b32 exec_lo, exec_lo, s44
	s_delay_alu instid0(SALU_CYCLE_1)
	s_mov_b32 s44, exec_lo
	v_cmpx_lt_u32_e64 v76, v2
	s_cbranch_execnz .LBB192_160
.LBB192_126:                            ;   in Loop: Header=BB192_64 Depth=2
	s_wait_alu 0xfffe
	s_or_b32 exec_lo, exec_lo, s44
	s_delay_alu instid0(SALU_CYCLE_1)
	s_mov_b32 s44, exec_lo
	v_cmpx_lt_u32_e64 v77, v2
	s_cbranch_execnz .LBB192_161
.LBB192_127:                            ;   in Loop: Header=BB192_64 Depth=2
	s_wait_alu 0xfffe
	s_or_b32 exec_lo, exec_lo, s44
	s_and_saveexec_b32 s22, s21
	s_cbranch_execnz .LBB192_162
.LBB192_128:                            ;   in Loop: Header=BB192_64 Depth=2
	s_wait_alu 0xfffe
	s_or_b32 exec_lo, exec_lo, s22
	s_and_saveexec_b32 s22, s20
	s_cbranch_execnz .LBB192_163
.LBB192_129:                            ;   in Loop: Header=BB192_64 Depth=2
	s_wait_alu 0xfffe
	s_or_b32 exec_lo, exec_lo, s22
	s_and_saveexec_b32 s22, s19
	s_cbranch_execnz .LBB192_164
.LBB192_130:                            ;   in Loop: Header=BB192_64 Depth=2
	s_wait_alu 0xfffe
	s_or_b32 exec_lo, exec_lo, s22
	s_and_saveexec_b32 s22, s18
	s_cbranch_execnz .LBB192_165
.LBB192_131:                            ;   in Loop: Header=BB192_64 Depth=2
	s_wait_alu 0xfffe
	s_or_b32 exec_lo, exec_lo, s22
	s_and_saveexec_b32 s22, s17
	s_cbranch_execnz .LBB192_166
.LBB192_132:                            ;   in Loop: Header=BB192_64 Depth=2
	s_wait_alu 0xfffe
	s_or_b32 exec_lo, exec_lo, s22
	s_and_saveexec_b32 s22, s16
	s_cbranch_execnz .LBB192_167
.LBB192_133:                            ;   in Loop: Header=BB192_64 Depth=2
	s_wait_alu 0xfffe
	s_or_b32 exec_lo, exec_lo, s22
	s_and_saveexec_b32 s22, s15
	s_cbranch_execnz .LBB192_168
.LBB192_134:                            ;   in Loop: Header=BB192_64 Depth=2
	s_wait_alu 0xfffe
	s_or_b32 exec_lo, exec_lo, s22
	s_and_saveexec_b32 s22, vcc_lo
	s_cbranch_execz .LBB192_136
.LBB192_135:                            ;   in Loop: Header=BB192_64 Depth=2
	ds_load_u8 v2, v1 offset:2816
	s_wait_dscnt 0x0
	v_lshrrev_b32_e32 v2, s30, v2
	s_delay_alu instid0(VALU_DEP_1)
	v_and_b32_e32 v82, s31, v2
.LBB192_136:                            ;   in Loop: Header=BB192_64 Depth=2
	s_wait_alu 0xfffe
	s_or_b32 exec_lo, exec_lo, s22
	v_lshlrev_b32_e32 v2, 3, v100
	v_lshlrev_b32_e32 v20, 3, v99
	;; [unrolled: 1-line block ×3, first 2 shown]
	s_wait_loadcnt 0x0
	s_wait_storecnt 0x0
	s_barrier_signal -1
	s_barrier_wait -1
	global_inv scope:SCOPE_SE
	ds_store_b64 v2, v[18:19] offset:1024
	ds_store_b64 v20, v[16:17] offset:1024
	;; [unrolled: 1-line block ×3, first 2 shown]
	v_lshlrev_b32_e32 v2, 3, v27
	v_lshlrev_b32_e32 v20, 3, v26
	v_lshlrev_b32_e32 v21, 3, v25
	v_lshlrev_b32_e32 v24, 3, v24
	v_lshlrev_b32_e32 v23, 3, v23
	ds_store_b64 v2, v[12:13] offset:1024
	ds_store_b64 v20, v[10:11] offset:1024
	;; [unrolled: 1-line block ×5, first 2 shown]
	s_wait_loadcnt_dscnt 0x0
	s_barrier_signal -1
	s_barrier_wait -1
	global_inv scope:SCOPE_SE
	s_and_saveexec_b32 s22, s21
	s_cbranch_execnz .LBB192_169
; %bb.137:                              ;   in Loop: Header=BB192_64 Depth=2
	s_wait_alu 0xfffe
	s_or_b32 exec_lo, exec_lo, s22
	s_and_saveexec_b32 s21, s20
	s_cbranch_execnz .LBB192_170
.LBB192_138:                            ;   in Loop: Header=BB192_64 Depth=2
	s_wait_alu 0xfffe
	s_or_b32 exec_lo, exec_lo, s21
	s_and_saveexec_b32 s20, s19
	s_cbranch_execnz .LBB192_171
.LBB192_139:                            ;   in Loop: Header=BB192_64 Depth=2
	s_wait_alu 0xfffe
	s_or_b32 exec_lo, exec_lo, s20
	s_and_saveexec_b32 s19, s18
	s_cbranch_execnz .LBB192_172
.LBB192_140:                            ;   in Loop: Header=BB192_64 Depth=2
	s_wait_alu 0xfffe
	s_or_b32 exec_lo, exec_lo, s19
	s_and_saveexec_b32 s18, s17
	s_cbranch_execnz .LBB192_173
.LBB192_141:                            ;   in Loop: Header=BB192_64 Depth=2
	s_wait_alu 0xfffe
	s_or_b32 exec_lo, exec_lo, s18
	s_and_saveexec_b32 s17, s16
	s_cbranch_execnz .LBB192_174
.LBB192_142:                            ;   in Loop: Header=BB192_64 Depth=2
	s_wait_alu 0xfffe
	s_or_b32 exec_lo, exec_lo, s17
	s_and_saveexec_b32 s16, s15
	s_cbranch_execnz .LBB192_175
.LBB192_143:                            ;   in Loop: Header=BB192_64 Depth=2
	s_wait_alu 0xfffe
	s_or_b32 exec_lo, exec_lo, s16
	s_and_saveexec_b32 s15, vcc_lo
	s_cbranch_execz .LBB192_145
.LBB192_144:                            ;   in Loop: Header=BB192_64 Depth=2
	v_lshlrev_b32_e32 v2, 2, v82
	v_add_nc_u32_e32 v20, v1, v47
	ds_load_b32 v2, v2
	ds_load_b64 v[20:21], v20 offset:15360
	s_wait_dscnt 0x1
	v_add_nc_u32_e32 v2, v2, v37
	s_delay_alu instid0(VALU_DEP_1) | instskip(NEXT) | instid1(VALU_DEP_1)
	v_lshlrev_b64_e32 v[23:24], 3, v[2:3]
	v_add_co_u32 v23, vcc_lo, s24, v23
	s_wait_alu 0xfffd
	s_delay_alu instid0(VALU_DEP_2)
	v_add_co_ci_u32_e64 v24, null, s25, v24, vcc_lo
	s_wait_dscnt 0x0
	global_store_b64 v[23:24], v[20:21], off
.LBB192_145:                            ;   in Loop: Header=BB192_64 Depth=2
	s_wait_alu 0xfffe
	s_or_b32 exec_lo, exec_lo, s15
	s_wait_loadcnt 0x0
	s_wait_storecnt 0x0
	s_barrier_signal -1
	s_barrier_wait -1
	global_inv scope:SCOPE_SE
	s_and_saveexec_b32 s15, s2
	s_cbranch_execz .LBB192_63
; %bb.146:                              ;   in Loop: Header=BB192_64 Depth=2
	ds_load_b32 v2, v28
	s_wait_dscnt 0x0
	v_add_nc_u32_e32 v2, v2, v22
	ds_store_b32 v28, v2
	s_branch .LBB192_63
.LBB192_147:                            ;   in Loop: Header=BB192_64 Depth=2
	ds_load_u8 v20, v1 offset:1024
	s_wait_dscnt 0x0
	v_and_b32_e32 v21, 0xff, v20
	s_delay_alu instid0(VALU_DEP_1) | instskip(NEXT) | instid1(VALU_DEP_1)
	v_lshrrev_b32_e32 v21, s30, v21
	v_and_b32_e32 v21, s31, v21
	s_delay_alu instid0(VALU_DEP_1)
	v_lshlrev_b32_e32 v21, 2, v21
	ds_load_b32 v21, v21
	s_wait_dscnt 0x0
	v_add_nc_u32_e32 v21, v21, v1
	global_store_b8 v21, v20, s[38:39]
	s_wait_alu 0xfffe
	s_or_b32 exec_lo, exec_lo, s15
	v_cmp_lt_u32_e64 s20, v29, v2
	s_and_saveexec_b32 s15, s20
	s_cbranch_execz .LBB192_112
.LBB192_148:                            ;   in Loop: Header=BB192_64 Depth=2
	ds_load_u8 v20, v1 offset:1280
	s_wait_dscnt 0x0
	v_and_b32_e32 v21, 0xff, v20
	s_delay_alu instid0(VALU_DEP_1) | instskip(NEXT) | instid1(VALU_DEP_1)
	v_lshrrev_b32_e32 v21, s30, v21
	v_and_b32_e32 v21, s31, v21
	s_delay_alu instid0(VALU_DEP_1)
	v_lshlrev_b32_e32 v21, 2, v21
	ds_load_b32 v21, v21
	s_wait_dscnt 0x0
	v_add_nc_u32_e32 v21, v21, v29
	global_store_b8 v21, v20, s[38:39]
	s_wait_alu 0xfffe
	s_or_b32 exec_lo, exec_lo, s15
	v_cmp_lt_u32_e64 s19, v30, v2
	s_and_saveexec_b32 s15, s19
	s_cbranch_execz .LBB192_113
.LBB192_149:                            ;   in Loop: Header=BB192_64 Depth=2
	ds_load_u8 v20, v1 offset:1536
	s_wait_dscnt 0x0
	v_and_b32_e32 v21, 0xff, v20
	s_delay_alu instid0(VALU_DEP_1) | instskip(NEXT) | instid1(VALU_DEP_1)
	v_lshrrev_b32_e32 v21, s30, v21
	v_and_b32_e32 v21, s31, v21
	s_delay_alu instid0(VALU_DEP_1)
	v_lshlrev_b32_e32 v21, 2, v21
	ds_load_b32 v21, v21
	s_wait_dscnt 0x0
	v_add_nc_u32_e32 v21, v21, v30
	global_store_b8 v21, v20, s[38:39]
	s_wait_alu 0xfffe
	s_or_b32 exec_lo, exec_lo, s15
	v_cmp_lt_u32_e64 s18, v31, v2
	s_and_saveexec_b32 s15, s18
	s_cbranch_execz .LBB192_114
.LBB192_150:                            ;   in Loop: Header=BB192_64 Depth=2
	ds_load_u8 v20, v1 offset:1792
	s_wait_dscnt 0x0
	v_and_b32_e32 v21, 0xff, v20
	s_delay_alu instid0(VALU_DEP_1) | instskip(NEXT) | instid1(VALU_DEP_1)
	v_lshrrev_b32_e32 v21, s30, v21
	v_and_b32_e32 v21, s31, v21
	s_delay_alu instid0(VALU_DEP_1)
	v_lshlrev_b32_e32 v21, 2, v21
	ds_load_b32 v21, v21
	s_wait_dscnt 0x0
	v_add_nc_u32_e32 v21, v21, v31
	global_store_b8 v21, v20, s[38:39]
	s_wait_alu 0xfffe
	s_or_b32 exec_lo, exec_lo, s15
	v_cmp_lt_u32_e64 s17, v34, v2
	s_and_saveexec_b32 s15, s17
	s_cbranch_execz .LBB192_115
.LBB192_151:                            ;   in Loop: Header=BB192_64 Depth=2
	ds_load_u8 v20, v1 offset:2048
	s_wait_dscnt 0x0
	v_and_b32_e32 v21, 0xff, v20
	s_delay_alu instid0(VALU_DEP_1) | instskip(NEXT) | instid1(VALU_DEP_1)
	v_lshrrev_b32_e32 v21, s30, v21
	v_and_b32_e32 v21, s31, v21
	s_delay_alu instid0(VALU_DEP_1)
	v_lshlrev_b32_e32 v21, 2, v21
	ds_load_b32 v21, v21
	s_wait_dscnt 0x0
	v_add_nc_u32_e32 v21, v21, v34
	global_store_b8 v21, v20, s[38:39]
	s_wait_alu 0xfffe
	s_or_b32 exec_lo, exec_lo, s15
	v_cmp_lt_u32_e64 s16, v35, v2
	s_and_saveexec_b32 s15, s16
	s_cbranch_execz .LBB192_116
.LBB192_152:                            ;   in Loop: Header=BB192_64 Depth=2
	ds_load_u8 v20, v1 offset:2304
	s_wait_dscnt 0x0
	v_and_b32_e32 v21, 0xff, v20
	s_delay_alu instid0(VALU_DEP_1) | instskip(NEXT) | instid1(VALU_DEP_1)
	v_lshrrev_b32_e32 v21, s30, v21
	v_and_b32_e32 v21, s31, v21
	s_delay_alu instid0(VALU_DEP_1)
	v_lshlrev_b32_e32 v21, 2, v21
	ds_load_b32 v21, v21
	s_wait_dscnt 0x0
	v_add_nc_u32_e32 v21, v21, v35
	global_store_b8 v21, v20, s[38:39]
	s_wait_alu 0xfffe
	s_or_b32 exec_lo, exec_lo, s15
	v_cmp_lt_u32_e64 s15, v36, v2
	s_and_saveexec_b32 s44, s15
	s_cbranch_execz .LBB192_117
.LBB192_153:                            ;   in Loop: Header=BB192_64 Depth=2
	ds_load_u8 v20, v1 offset:2560
	s_wait_dscnt 0x0
	v_and_b32_e32 v21, 0xff, v20
	s_delay_alu instid0(VALU_DEP_1) | instskip(NEXT) | instid1(VALU_DEP_1)
	v_lshrrev_b32_e32 v21, s30, v21
	v_and_b32_e32 v21, s31, v21
	s_delay_alu instid0(VALU_DEP_1)
	v_lshlrev_b32_e32 v21, 2, v21
	ds_load_b32 v21, v21
	s_wait_dscnt 0x0
	v_add_nc_u32_e32 v21, v21, v36
	global_store_b8 v21, v20, s[38:39]
	s_wait_alu 0xfffe
	s_or_b32 exec_lo, exec_lo, s44
	v_cmp_lt_u32_e32 vcc_lo, v37, v2
	s_and_saveexec_b32 s44, vcc_lo
	s_cbranch_execnz .LBB192_118
	s_branch .LBB192_119
.LBB192_154:                            ;   in Loop: Header=BB192_64 Depth=2
	global_load_b64 v[18:19], v[20:21], off
	s_wait_alu 0xfffe
	s_or_b32 exec_lo, exec_lo, s22
	s_delay_alu instid0(SALU_CYCLE_1)
	s_mov_b32 s44, exec_lo
	v_cmpx_lt_u32_e64 v71, v2
	s_cbranch_execz .LBB192_121
.LBB192_155:                            ;   in Loop: Header=BB192_64 Depth=2
	global_load_b64 v[16:17], v[20:21], off offset:256
	s_wait_alu 0xfffe
	s_or_b32 exec_lo, exec_lo, s44
	s_delay_alu instid0(SALU_CYCLE_1)
	s_mov_b32 s44, exec_lo
	v_cmpx_lt_u32_e64 v72, v2
	s_cbranch_execz .LBB192_122
.LBB192_156:                            ;   in Loop: Header=BB192_64 Depth=2
	global_load_b64 v[14:15], v[20:21], off offset:512
	s_wait_alu 0xfffe
	s_or_b32 exec_lo, exec_lo, s44
	s_delay_alu instid0(SALU_CYCLE_1)
	s_mov_b32 s44, exec_lo
	v_cmpx_lt_u32_e64 v73, v2
	s_cbranch_execz .LBB192_123
.LBB192_157:                            ;   in Loop: Header=BB192_64 Depth=2
	global_load_b64 v[12:13], v[20:21], off offset:768
	s_wait_alu 0xfffe
	s_or_b32 exec_lo, exec_lo, s44
	s_delay_alu instid0(SALU_CYCLE_1)
	s_mov_b32 s44, exec_lo
	v_cmpx_lt_u32_e64 v74, v2
	s_cbranch_execz .LBB192_124
.LBB192_158:                            ;   in Loop: Header=BB192_64 Depth=2
	global_load_b64 v[10:11], v[20:21], off offset:1024
	s_wait_alu 0xfffe
	s_or_b32 exec_lo, exec_lo, s44
	s_delay_alu instid0(SALU_CYCLE_1)
	s_mov_b32 s44, exec_lo
	v_cmpx_lt_u32_e64 v75, v2
	s_cbranch_execz .LBB192_125
.LBB192_159:                            ;   in Loop: Header=BB192_64 Depth=2
	global_load_b64 v[8:9], v[20:21], off offset:1280
	s_wait_alu 0xfffe
	s_or_b32 exec_lo, exec_lo, s44
	s_delay_alu instid0(SALU_CYCLE_1)
	s_mov_b32 s44, exec_lo
	v_cmpx_lt_u32_e64 v76, v2
	s_cbranch_execz .LBB192_126
.LBB192_160:                            ;   in Loop: Header=BB192_64 Depth=2
	global_load_b64 v[6:7], v[20:21], off offset:1536
	s_wait_alu 0xfffe
	s_or_b32 exec_lo, exec_lo, s44
	s_delay_alu instid0(SALU_CYCLE_1)
	s_mov_b32 s44, exec_lo
	v_cmpx_lt_u32_e64 v77, v2
	s_cbranch_execz .LBB192_127
.LBB192_161:                            ;   in Loop: Header=BB192_64 Depth=2
	global_load_b64 v[4:5], v[20:21], off offset:1792
	s_wait_alu 0xfffe
	s_or_b32 exec_lo, exec_lo, s44
	s_and_saveexec_b32 s22, s21
	s_cbranch_execz .LBB192_128
.LBB192_162:                            ;   in Loop: Header=BB192_64 Depth=2
	ds_load_u8 v2, v1 offset:1024
	s_wait_dscnt 0x0
	v_lshrrev_b32_e32 v2, s30, v2
	s_delay_alu instid0(VALU_DEP_1)
	v_and_b32_e32 v89, s31, v2
	s_wait_alu 0xfffe
	s_or_b32 exec_lo, exec_lo, s22
	s_and_saveexec_b32 s22, s20
	s_cbranch_execz .LBB192_129
.LBB192_163:                            ;   in Loop: Header=BB192_64 Depth=2
	ds_load_u8 v2, v1 offset:1280
	s_wait_dscnt 0x0
	v_lshrrev_b32_e32 v2, s30, v2
	s_delay_alu instid0(VALU_DEP_1)
	v_and_b32_e32 v88, s31, v2
	s_wait_alu 0xfffe
	s_or_b32 exec_lo, exec_lo, s22
	s_and_saveexec_b32 s22, s19
	s_cbranch_execz .LBB192_130
.LBB192_164:                            ;   in Loop: Header=BB192_64 Depth=2
	ds_load_u8 v2, v1 offset:1536
	s_wait_dscnt 0x0
	v_lshrrev_b32_e32 v2, s30, v2
	s_delay_alu instid0(VALU_DEP_1)
	v_and_b32_e32 v87, s31, v2
	s_wait_alu 0xfffe
	s_or_b32 exec_lo, exec_lo, s22
	s_and_saveexec_b32 s22, s18
	s_cbranch_execz .LBB192_131
.LBB192_165:                            ;   in Loop: Header=BB192_64 Depth=2
	ds_load_u8 v2, v1 offset:1792
	s_wait_dscnt 0x0
	v_lshrrev_b32_e32 v2, s30, v2
	s_delay_alu instid0(VALU_DEP_1)
	v_and_b32_e32 v86, s31, v2
	s_wait_alu 0xfffe
	s_or_b32 exec_lo, exec_lo, s22
	s_and_saveexec_b32 s22, s17
	s_cbranch_execz .LBB192_132
.LBB192_166:                            ;   in Loop: Header=BB192_64 Depth=2
	ds_load_u8 v2, v1 offset:2048
	s_wait_dscnt 0x0
	v_lshrrev_b32_e32 v2, s30, v2
	s_delay_alu instid0(VALU_DEP_1)
	v_and_b32_e32 v85, s31, v2
	s_wait_alu 0xfffe
	s_or_b32 exec_lo, exec_lo, s22
	s_and_saveexec_b32 s22, s16
	s_cbranch_execz .LBB192_133
.LBB192_167:                            ;   in Loop: Header=BB192_64 Depth=2
	ds_load_u8 v2, v1 offset:2304
	s_wait_dscnt 0x0
	v_lshrrev_b32_e32 v2, s30, v2
	s_delay_alu instid0(VALU_DEP_1)
	v_and_b32_e32 v84, s31, v2
	s_wait_alu 0xfffe
	s_or_b32 exec_lo, exec_lo, s22
	s_and_saveexec_b32 s22, s15
	s_cbranch_execz .LBB192_134
.LBB192_168:                            ;   in Loop: Header=BB192_64 Depth=2
	ds_load_u8 v2, v1 offset:2560
	s_wait_dscnt 0x0
	v_lshrrev_b32_e32 v2, s30, v2
	s_delay_alu instid0(VALU_DEP_1)
	v_and_b32_e32 v83, s31, v2
	s_wait_alu 0xfffe
	s_or_b32 exec_lo, exec_lo, s22
	s_and_saveexec_b32 s22, vcc_lo
	s_cbranch_execnz .LBB192_135
	s_branch .LBB192_136
.LBB192_169:                            ;   in Loop: Header=BB192_64 Depth=2
	v_lshlrev_b32_e32 v2, 2, v89
	v_add_nc_u32_e32 v20, v1, v47
	ds_load_b32 v2, v2
	ds_load_b64 v[20:21], v20 offset:1024
	s_wait_dscnt 0x1
	v_add_nc_u32_e32 v2, v2, v1
	s_delay_alu instid0(VALU_DEP_1) | instskip(NEXT) | instid1(VALU_DEP_1)
	v_lshlrev_b64_e32 v[23:24], 3, v[2:3]
	v_add_co_u32 v23, s21, s24, v23
	s_wait_alu 0xf1ff
	s_delay_alu instid0(VALU_DEP_2)
	v_add_co_ci_u32_e64 v24, null, s25, v24, s21
	s_wait_dscnt 0x0
	global_store_b64 v[23:24], v[20:21], off
	s_wait_alu 0xfffe
	s_or_b32 exec_lo, exec_lo, s22
	s_and_saveexec_b32 s21, s20
	s_cbranch_execz .LBB192_138
.LBB192_170:                            ;   in Loop: Header=BB192_64 Depth=2
	v_lshlrev_b32_e32 v2, 2, v88
	v_add_nc_u32_e32 v20, v1, v47
	ds_load_b32 v2, v2
	ds_load_b64 v[20:21], v20 offset:3072
	s_wait_dscnt 0x1
	v_add_nc_u32_e32 v2, v2, v29
	s_delay_alu instid0(VALU_DEP_1) | instskip(NEXT) | instid1(VALU_DEP_1)
	v_lshlrev_b64_e32 v[23:24], 3, v[2:3]
	v_add_co_u32 v23, s20, s24, v23
	s_wait_alu 0xf1ff
	s_delay_alu instid0(VALU_DEP_2)
	v_add_co_ci_u32_e64 v24, null, s25, v24, s20
	s_wait_dscnt 0x0
	global_store_b64 v[23:24], v[20:21], off
	s_wait_alu 0xfffe
	s_or_b32 exec_lo, exec_lo, s21
	s_and_saveexec_b32 s20, s19
	s_cbranch_execz .LBB192_139
.LBB192_171:                            ;   in Loop: Header=BB192_64 Depth=2
	v_lshlrev_b32_e32 v2, 2, v87
	v_add_nc_u32_e32 v20, v1, v47
	ds_load_b32 v2, v2
	ds_load_b64 v[20:21], v20 offset:5120
	s_wait_dscnt 0x1
	v_add_nc_u32_e32 v2, v2, v30
	s_delay_alu instid0(VALU_DEP_1) | instskip(NEXT) | instid1(VALU_DEP_1)
	v_lshlrev_b64_e32 v[23:24], 3, v[2:3]
	v_add_co_u32 v23, s19, s24, v23
	s_wait_alu 0xf1ff
	s_delay_alu instid0(VALU_DEP_2)
	v_add_co_ci_u32_e64 v24, null, s25, v24, s19
	s_wait_dscnt 0x0
	global_store_b64 v[23:24], v[20:21], off
	s_wait_alu 0xfffe
	s_or_b32 exec_lo, exec_lo, s20
	s_and_saveexec_b32 s19, s18
	s_cbranch_execz .LBB192_140
.LBB192_172:                            ;   in Loop: Header=BB192_64 Depth=2
	v_lshlrev_b32_e32 v2, 2, v86
	v_add_nc_u32_e32 v20, v1, v47
	ds_load_b32 v2, v2
	ds_load_b64 v[20:21], v20 offset:7168
	s_wait_dscnt 0x1
	v_add_nc_u32_e32 v2, v2, v31
	s_delay_alu instid0(VALU_DEP_1) | instskip(NEXT) | instid1(VALU_DEP_1)
	v_lshlrev_b64_e32 v[23:24], 3, v[2:3]
	v_add_co_u32 v23, s18, s24, v23
	s_wait_alu 0xf1ff
	s_delay_alu instid0(VALU_DEP_2)
	v_add_co_ci_u32_e64 v24, null, s25, v24, s18
	s_wait_dscnt 0x0
	global_store_b64 v[23:24], v[20:21], off
	s_wait_alu 0xfffe
	s_or_b32 exec_lo, exec_lo, s19
	s_and_saveexec_b32 s18, s17
	s_cbranch_execz .LBB192_141
.LBB192_173:                            ;   in Loop: Header=BB192_64 Depth=2
	v_lshlrev_b32_e32 v2, 2, v85
	v_add_nc_u32_e32 v20, v1, v47
	ds_load_b32 v2, v2
	ds_load_b64 v[20:21], v20 offset:9216
	s_wait_dscnt 0x1
	v_add_nc_u32_e32 v2, v2, v34
	s_delay_alu instid0(VALU_DEP_1) | instskip(NEXT) | instid1(VALU_DEP_1)
	v_lshlrev_b64_e32 v[23:24], 3, v[2:3]
	v_add_co_u32 v23, s17, s24, v23
	s_wait_alu 0xf1ff
	s_delay_alu instid0(VALU_DEP_2)
	v_add_co_ci_u32_e64 v24, null, s25, v24, s17
	s_wait_dscnt 0x0
	global_store_b64 v[23:24], v[20:21], off
	s_wait_alu 0xfffe
	s_or_b32 exec_lo, exec_lo, s18
	s_and_saveexec_b32 s17, s16
	s_cbranch_execz .LBB192_142
.LBB192_174:                            ;   in Loop: Header=BB192_64 Depth=2
	v_lshlrev_b32_e32 v2, 2, v84
	v_add_nc_u32_e32 v20, v1, v47
	ds_load_b32 v2, v2
	ds_load_b64 v[20:21], v20 offset:11264
	s_wait_dscnt 0x1
	v_add_nc_u32_e32 v2, v2, v35
	s_delay_alu instid0(VALU_DEP_1) | instskip(NEXT) | instid1(VALU_DEP_1)
	v_lshlrev_b64_e32 v[23:24], 3, v[2:3]
	v_add_co_u32 v23, s16, s24, v23
	s_wait_alu 0xf1ff
	s_delay_alu instid0(VALU_DEP_2)
	v_add_co_ci_u32_e64 v24, null, s25, v24, s16
	s_wait_dscnt 0x0
	global_store_b64 v[23:24], v[20:21], off
	s_wait_alu 0xfffe
	s_or_b32 exec_lo, exec_lo, s17
	s_and_saveexec_b32 s16, s15
	s_cbranch_execz .LBB192_143
.LBB192_175:                            ;   in Loop: Header=BB192_64 Depth=2
	v_lshlrev_b32_e32 v2, 2, v83
	v_add_nc_u32_e32 v20, v1, v47
	ds_load_b32 v2, v2
	ds_load_b64 v[20:21], v20 offset:13312
	s_wait_dscnt 0x1
	v_add_nc_u32_e32 v2, v2, v36
	s_delay_alu instid0(VALU_DEP_1) | instskip(NEXT) | instid1(VALU_DEP_1)
	v_lshlrev_b64_e32 v[23:24], 3, v[2:3]
	v_add_co_u32 v23, s15, s24, v23
	s_wait_alu 0xf1ff
	s_delay_alu instid0(VALU_DEP_2)
	v_add_co_ci_u32_e64 v24, null, s25, v24, s15
	s_wait_dscnt 0x0
	global_store_b64 v[23:24], v[20:21], off
	s_wait_alu 0xfffe
	s_or_b32 exec_lo, exec_lo, s16
	s_and_saveexec_b32 s15, vcc_lo
	s_cbranch_execnz .LBB192_144
	s_branch .LBB192_145
.LBB192_176:                            ;   in Loop: Header=BB192_12 Depth=1
	s_wait_loadcnt_dscnt 0x0
	s_barrier_signal -1
	s_mov_b32 s0, 0
	s_barrier_wait -1
.LBB192_177:                            ;   in Loop: Header=BB192_12 Depth=1
	s_wait_alu 0xfffe
	s_and_b32 vcc_lo, exec_lo, s0
	s_wait_alu 0xfffe
	s_cbranch_vccz .LBB192_341
; %bb.178:                              ;   in Loop: Header=BB192_12 Depth=1
	v_dual_mov_b32 v7, 0 :: v_dual_mov_b32 v10, 0
	v_dual_mov_b32 v9, 0 :: v_dual_mov_b32 v8, 0
	;; [unrolled: 1-line block ×3, first 2 shown]
	v_mov_b32_e32 v4, 0
	v_mov_b32_e32 v2, 0
	s_mov_b32 s9, s47
	s_mov_b32 s22, s33
	s_barrier_signal -1
	s_barrier_wait -1
	global_inv scope:SCOPE_SE
	s_branch .LBB192_180
.LBB192_179:                            ;   in Loop: Header=BB192_180 Depth=2
	s_wait_alu 0xfffe
	s_or_b32 exec_lo, exec_lo, s0
	s_addk_co_i32 s9, 0xf800
	s_cmp_ge_u32 s10, s34
	s_mov_b32 s22, s10
	s_cbranch_scc1 .LBB192_216
.LBB192_180:                            ;   Parent Loop BB192_12 Depth=1
                                        ; =>  This Inner Loop Header: Depth=2
	s_wait_alu 0xfffe
	s_add_co_i32 s10, s22, 0x800
	s_mov_b32 s0, -1
	s_wait_alu 0xfffe
	s_cmp_gt_u32 s10, s34
                                        ; implicit-def: $vgpr11
                                        ; implicit-def: $vgpr12
                                        ; implicit-def: $vgpr13
                                        ; implicit-def: $vgpr14
                                        ; implicit-def: $vgpr15
                                        ; implicit-def: $vgpr16
                                        ; implicit-def: $vgpr17
                                        ; implicit-def: $vgpr18
	s_cbranch_scc1 .LBB192_182
; %bb.181:                              ;   in Loop: Header=BB192_180 Depth=2
	v_add_co_u32 v19, vcc_lo, v48, s22
	s_wait_alu 0xfffd
	v_add_co_ci_u32_e64 v20, null, 0, v49, vcc_lo
	s_mov_b32 s0, 0
	s_clause 0x7
	global_load_u8 v18, v[19:20], off offset:1792
	global_load_u8 v17, v[19:20], off offset:1536
	;; [unrolled: 1-line block ×7, first 2 shown]
	global_load_u8 v11, v[19:20], off
.LBB192_182:                            ;   in Loop: Header=BB192_180 Depth=2
	s_wait_alu 0xfffe
	s_and_not1_b32 vcc_lo, exec_lo, s0
	s_movk_i32 s0, 0x800
	s_wait_alu 0xfffe
	s_cbranch_vccnz .LBB192_193
; %bb.183:                              ;   in Loop: Header=BB192_180 Depth=2
	s_add_nc_u64 s[0:1], s[38:39], s[22:23]
	s_mov_b32 s11, exec_lo
	v_cmpx_gt_u32_e64 s9, v1
	s_cbranch_execnz .LBB192_209
; %bb.184:                              ;   in Loop: Header=BB192_180 Depth=2
	s_wait_alu 0xfffe
	s_or_b32 exec_lo, exec_lo, s11
	s_delay_alu instid0(SALU_CYCLE_1)
	s_mov_b32 s11, exec_lo
	v_cmpx_gt_u32_e64 s9, v29
	s_cbranch_execnz .LBB192_210
.LBB192_185:                            ;   in Loop: Header=BB192_180 Depth=2
	s_wait_alu 0xfffe
	s_or_b32 exec_lo, exec_lo, s11
	s_delay_alu instid0(SALU_CYCLE_1)
	s_mov_b32 s11, exec_lo
	v_cmpx_gt_u32_e64 s9, v30
	s_cbranch_execnz .LBB192_211
.LBB192_186:                            ;   in Loop: Header=BB192_180 Depth=2
	s_wait_alu 0xfffe
	s_or_b32 exec_lo, exec_lo, s11
	s_delay_alu instid0(SALU_CYCLE_1)
	s_mov_b32 s11, exec_lo
	v_cmpx_gt_u32_e64 s9, v31
	s_cbranch_execnz .LBB192_212
.LBB192_187:                            ;   in Loop: Header=BB192_180 Depth=2
	s_wait_alu 0xfffe
	s_or_b32 exec_lo, exec_lo, s11
	s_delay_alu instid0(SALU_CYCLE_1)
	s_mov_b32 s11, exec_lo
	v_cmpx_gt_u32_e64 s9, v34
	s_cbranch_execnz .LBB192_213
.LBB192_188:                            ;   in Loop: Header=BB192_180 Depth=2
	s_wait_alu 0xfffe
	s_or_b32 exec_lo, exec_lo, s11
	s_delay_alu instid0(SALU_CYCLE_1)
	s_mov_b32 s11, exec_lo
	v_cmpx_gt_u32_e64 s9, v35
	s_cbranch_execnz .LBB192_214
.LBB192_189:                            ;   in Loop: Header=BB192_180 Depth=2
	s_wait_alu 0xfffe
	s_or_b32 exec_lo, exec_lo, s11
	s_delay_alu instid0(SALU_CYCLE_1)
	s_mov_b32 s11, exec_lo
	v_cmpx_gt_u32_e64 s9, v36
	s_cbranch_execnz .LBB192_215
.LBB192_190:                            ;   in Loop: Header=BB192_180 Depth=2
	s_wait_alu 0xfffe
	s_or_b32 exec_lo, exec_lo, s11
	s_delay_alu instid0(SALU_CYCLE_1)
	s_mov_b32 s11, exec_lo
	v_cmpx_gt_u32_e64 s9, v37
	s_cbranch_execz .LBB192_192
.LBB192_191:                            ;   in Loop: Header=BB192_180 Depth=2
	s_wait_loadcnt 0x0
	v_add_co_u32 v11, s0, s0, v1
	s_wait_alu 0xf1ff
	v_add_co_ci_u32_e64 v12, null, s1, 0, s0
	global_load_u8 v2, v[11:12], off offset:1792
.LBB192_192:                            ;   in Loop: Header=BB192_180 Depth=2
	s_wait_alu 0xfffe
	s_or_b32 exec_lo, exec_lo, s11
	s_wait_loadcnt 0x0
	v_dual_mov_b32 v11, v7 :: v_dual_mov_b32 v12, v10
	v_dual_mov_b32 v13, v9 :: v_dual_mov_b32 v14, v8
	;; [unrolled: 1-line block ×4, first 2 shown]
	s_mov_b32 s0, s9
.LBB192_193:                            ;   in Loop: Header=BB192_180 Depth=2
	s_wait_loadcnt 0x5
	s_delay_alu instid0(VALU_DEP_1)
	v_dual_mov_b32 v2, v18 :: v_dual_mov_b32 v5, v16
	s_wait_loadcnt 0x2
	v_dual_mov_b32 v4, v17 :: v_dual_mov_b32 v9, v13
	s_wait_loadcnt 0x0
	v_dual_mov_b32 v6, v15 :: v_dual_mov_b32 v7, v11
	v_mov_b32_e32 v8, v14
	v_mov_b32_e32 v10, v12
	s_mov_b32 s1, exec_lo
	s_wait_alu 0xfffe
	v_cmpx_gt_u32_e64 s0, v1
	s_cbranch_execnz .LBB192_201
; %bb.194:                              ;   in Loop: Header=BB192_180 Depth=2
	s_or_b32 exec_lo, exec_lo, s1
	s_delay_alu instid0(SALU_CYCLE_1)
	s_mov_b32 s1, exec_lo
	v_cmpx_gt_u32_e64 s0, v29
	s_cbranch_execnz .LBB192_202
.LBB192_195:                            ;   in Loop: Header=BB192_180 Depth=2
	s_wait_alu 0xfffe
	s_or_b32 exec_lo, exec_lo, s1
	s_delay_alu instid0(SALU_CYCLE_1)
	s_mov_b32 s1, exec_lo
	v_cmpx_gt_u32_e64 s0, v30
	s_cbranch_execnz .LBB192_203
.LBB192_196:                            ;   in Loop: Header=BB192_180 Depth=2
	s_wait_alu 0xfffe
	s_or_b32 exec_lo, exec_lo, s1
	s_delay_alu instid0(SALU_CYCLE_1)
	s_mov_b32 s1, exec_lo
	v_cmpx_gt_u32_e64 s0, v31
	s_cbranch_execnz .LBB192_204
.LBB192_197:                            ;   in Loop: Header=BB192_180 Depth=2
	s_wait_alu 0xfffe
	s_or_b32 exec_lo, exec_lo, s1
	s_delay_alu instid0(SALU_CYCLE_1)
	s_mov_b32 s1, exec_lo
	v_cmpx_gt_u32_e64 s0, v34
	s_cbranch_execnz .LBB192_205
.LBB192_198:                            ;   in Loop: Header=BB192_180 Depth=2
	s_wait_alu 0xfffe
	s_or_b32 exec_lo, exec_lo, s1
	s_delay_alu instid0(SALU_CYCLE_1)
	s_mov_b32 s1, exec_lo
	v_cmpx_gt_u32_e64 s0, v35
	s_cbranch_execnz .LBB192_206
.LBB192_199:                            ;   in Loop: Header=BB192_180 Depth=2
	s_wait_alu 0xfffe
	s_or_b32 exec_lo, exec_lo, s1
	s_delay_alu instid0(SALU_CYCLE_1)
	s_mov_b32 s1, exec_lo
	v_cmpx_gt_u32_e64 s0, v36
	s_cbranch_execnz .LBB192_207
.LBB192_200:                            ;   in Loop: Header=BB192_180 Depth=2
	s_wait_alu 0xfffe
	s_or_b32 exec_lo, exec_lo, s1
	v_cmp_gt_u32_e32 vcc_lo, s0, v37
	s_and_saveexec_b32 s0, vcc_lo
	s_cbranch_execz .LBB192_179
	s_branch .LBB192_208
.LBB192_201:                            ;   in Loop: Header=BB192_180 Depth=2
	v_and_b32_e32 v11, 0xff, v7
	s_delay_alu instid0(VALU_DEP_1) | instskip(NEXT) | instid1(VALU_DEP_1)
	v_lshrrev_b32_e32 v11, s30, v11
	v_and_b32_e32 v11, s31, v11
	s_delay_alu instid0(VALU_DEP_1) | instskip(SKIP_2) | instid1(SALU_CYCLE_1)
	v_lshl_or_b32 v11, v11, 4, v39
	ds_add_u32 v11, v61
	s_or_b32 exec_lo, exec_lo, s1
	s_mov_b32 s1, exec_lo
	v_cmpx_gt_u32_e64 s0, v29
	s_cbranch_execz .LBB192_195
.LBB192_202:                            ;   in Loop: Header=BB192_180 Depth=2
	v_and_b32_e32 v11, 0xff, v10
	s_delay_alu instid0(VALU_DEP_1) | instskip(NEXT) | instid1(VALU_DEP_1)
	v_lshrrev_b32_e32 v11, s30, v11
	v_and_b32_e32 v11, s31, v11
	s_delay_alu instid0(VALU_DEP_1) | instskip(SKIP_3) | instid1(SALU_CYCLE_1)
	v_lshl_or_b32 v11, v11, 4, v39
	ds_add_u32 v11, v61
	s_wait_alu 0xfffe
	s_or_b32 exec_lo, exec_lo, s1
	s_mov_b32 s1, exec_lo
	v_cmpx_gt_u32_e64 s0, v30
	s_cbranch_execz .LBB192_196
.LBB192_203:                            ;   in Loop: Header=BB192_180 Depth=2
	v_and_b32_e32 v11, 0xff, v9
	s_delay_alu instid0(VALU_DEP_1) | instskip(NEXT) | instid1(VALU_DEP_1)
	v_lshrrev_b32_e32 v11, s30, v11
	v_and_b32_e32 v11, s31, v11
	s_delay_alu instid0(VALU_DEP_1) | instskip(SKIP_3) | instid1(SALU_CYCLE_1)
	v_lshl_or_b32 v11, v11, 4, v39
	ds_add_u32 v11, v61
	s_wait_alu 0xfffe
	s_or_b32 exec_lo, exec_lo, s1
	s_mov_b32 s1, exec_lo
	v_cmpx_gt_u32_e64 s0, v31
	s_cbranch_execz .LBB192_197
.LBB192_204:                            ;   in Loop: Header=BB192_180 Depth=2
	v_and_b32_e32 v11, 0xff, v8
	s_delay_alu instid0(VALU_DEP_1) | instskip(NEXT) | instid1(VALU_DEP_1)
	v_lshrrev_b32_e32 v11, s30, v11
	v_and_b32_e32 v11, s31, v11
	s_delay_alu instid0(VALU_DEP_1) | instskip(SKIP_3) | instid1(SALU_CYCLE_1)
	v_lshl_or_b32 v11, v11, 4, v39
	ds_add_u32 v11, v61
	s_wait_alu 0xfffe
	s_or_b32 exec_lo, exec_lo, s1
	s_mov_b32 s1, exec_lo
	v_cmpx_gt_u32_e64 s0, v34
	s_cbranch_execz .LBB192_198
.LBB192_205:                            ;   in Loop: Header=BB192_180 Depth=2
	v_and_b32_e32 v11, 0xff, v6
	s_delay_alu instid0(VALU_DEP_1) | instskip(NEXT) | instid1(VALU_DEP_1)
	v_lshrrev_b32_e32 v11, s30, v11
	v_and_b32_e32 v11, s31, v11
	s_delay_alu instid0(VALU_DEP_1) | instskip(SKIP_3) | instid1(SALU_CYCLE_1)
	v_lshl_or_b32 v11, v11, 4, v39
	ds_add_u32 v11, v61
	s_wait_alu 0xfffe
	s_or_b32 exec_lo, exec_lo, s1
	s_mov_b32 s1, exec_lo
	v_cmpx_gt_u32_e64 s0, v35
	s_cbranch_execz .LBB192_199
.LBB192_206:                            ;   in Loop: Header=BB192_180 Depth=2
	v_and_b32_e32 v11, 0xff, v5
	s_delay_alu instid0(VALU_DEP_1) | instskip(NEXT) | instid1(VALU_DEP_1)
	v_lshrrev_b32_e32 v11, s30, v11
	v_and_b32_e32 v11, s31, v11
	s_delay_alu instid0(VALU_DEP_1) | instskip(SKIP_3) | instid1(SALU_CYCLE_1)
	v_lshl_or_b32 v11, v11, 4, v39
	ds_add_u32 v11, v61
	s_wait_alu 0xfffe
	s_or_b32 exec_lo, exec_lo, s1
	s_mov_b32 s1, exec_lo
	v_cmpx_gt_u32_e64 s0, v36
	s_cbranch_execz .LBB192_200
.LBB192_207:                            ;   in Loop: Header=BB192_180 Depth=2
	v_and_b32_e32 v11, 0xff, v4
	s_delay_alu instid0(VALU_DEP_1) | instskip(NEXT) | instid1(VALU_DEP_1)
	v_lshrrev_b32_e32 v11, s30, v11
	v_and_b32_e32 v11, s31, v11
	s_delay_alu instid0(VALU_DEP_1)
	v_lshl_or_b32 v11, v11, 4, v39
	ds_add_u32 v11, v61
	s_wait_alu 0xfffe
	s_or_b32 exec_lo, exec_lo, s1
	v_cmp_gt_u32_e32 vcc_lo, s0, v37
	s_and_saveexec_b32 s0, vcc_lo
	s_cbranch_execz .LBB192_179
.LBB192_208:                            ;   in Loop: Header=BB192_180 Depth=2
	v_and_b32_e32 v11, 0xff, v2
	s_delay_alu instid0(VALU_DEP_1) | instskip(NEXT) | instid1(VALU_DEP_1)
	v_lshrrev_b32_e32 v11, s30, v11
	v_and_b32_e32 v11, s31, v11
	s_delay_alu instid0(VALU_DEP_1)
	v_lshl_or_b32 v11, v11, 4, v39
	ds_add_u32 v11, v61
	s_branch .LBB192_179
.LBB192_209:                            ;   in Loop: Header=BB192_180 Depth=2
	s_wait_loadcnt 0x0
	s_wait_alu 0xfffe
	v_add_co_u32 v11, s12, s0, v1
	s_wait_alu 0xf1ff
	v_add_co_ci_u32_e64 v12, null, s1, 0, s12
	global_load_u8 v7, v[11:12], off
	s_or_b32 exec_lo, exec_lo, s11
	s_delay_alu instid0(SALU_CYCLE_1)
	s_mov_b32 s11, exec_lo
	v_cmpx_gt_u32_e64 s9, v29
	s_cbranch_execz .LBB192_185
.LBB192_210:                            ;   in Loop: Header=BB192_180 Depth=2
	v_add_co_u32 v10, s12, s0, v1
	s_wait_loadcnt 0x0
	s_wait_alu 0xf1ff
	v_add_co_ci_u32_e64 v11, null, s1, 0, s12
	global_load_u8 v10, v[10:11], off offset:256
	s_wait_alu 0xfffe
	s_or_b32 exec_lo, exec_lo, s11
	s_delay_alu instid0(SALU_CYCLE_1)
	s_mov_b32 s11, exec_lo
	v_cmpx_gt_u32_e64 s9, v30
	s_cbranch_execz .LBB192_186
.LBB192_211:                            ;   in Loop: Header=BB192_180 Depth=2
	s_wait_loadcnt 0x0
	v_add_co_u32 v11, s12, s0, v1
	s_wait_alu 0xf1ff
	v_add_co_ci_u32_e64 v12, null, s1, 0, s12
	global_load_u8 v9, v[11:12], off offset:512
	s_wait_alu 0xfffe
	s_or_b32 exec_lo, exec_lo, s11
	s_delay_alu instid0(SALU_CYCLE_1)
	s_mov_b32 s11, exec_lo
	v_cmpx_gt_u32_e64 s9, v31
	s_cbranch_execz .LBB192_187
.LBB192_212:                            ;   in Loop: Header=BB192_180 Depth=2
	s_wait_loadcnt 0x0
	v_add_co_u32 v11, s12, s0, v1
	s_wait_alu 0xf1ff
	v_add_co_ci_u32_e64 v12, null, s1, 0, s12
	global_load_u8 v8, v[11:12], off offset:768
	s_wait_alu 0xfffe
	s_or_b32 exec_lo, exec_lo, s11
	s_delay_alu instid0(SALU_CYCLE_1)
	s_mov_b32 s11, exec_lo
	v_cmpx_gt_u32_e64 s9, v34
	s_cbranch_execz .LBB192_188
.LBB192_213:                            ;   in Loop: Header=BB192_180 Depth=2
	s_wait_loadcnt 0x0
	v_add_co_u32 v11, s12, s0, v1
	s_wait_alu 0xf1ff
	v_add_co_ci_u32_e64 v12, null, s1, 0, s12
	global_load_u8 v6, v[11:12], off offset:1024
	s_wait_alu 0xfffe
	s_or_b32 exec_lo, exec_lo, s11
	s_delay_alu instid0(SALU_CYCLE_1)
	s_mov_b32 s11, exec_lo
	v_cmpx_gt_u32_e64 s9, v35
	s_cbranch_execz .LBB192_189
.LBB192_214:                            ;   in Loop: Header=BB192_180 Depth=2
	s_wait_loadcnt 0x0
	v_add_co_u32 v11, s12, s0, v1
	s_wait_alu 0xf1ff
	v_add_co_ci_u32_e64 v12, null, s1, 0, s12
	global_load_u8 v5, v[11:12], off offset:1280
	s_wait_alu 0xfffe
	s_or_b32 exec_lo, exec_lo, s11
	s_delay_alu instid0(SALU_CYCLE_1)
	s_mov_b32 s11, exec_lo
	v_cmpx_gt_u32_e64 s9, v36
	s_cbranch_execz .LBB192_190
.LBB192_215:                            ;   in Loop: Header=BB192_180 Depth=2
	s_wait_loadcnt 0x0
	v_add_co_u32 v11, s12, s0, v1
	s_wait_alu 0xf1ff
	v_add_co_ci_u32_e64 v12, null, s1, 0, s12
	global_load_u8 v4, v[11:12], off offset:1536
	s_wait_alu 0xfffe
	s_or_b32 exec_lo, exec_lo, s11
	s_delay_alu instid0(SALU_CYCLE_1)
	s_mov_b32 s11, exec_lo
	v_cmpx_gt_u32_e64 s9, v37
	s_cbranch_execnz .LBB192_191
	s_branch .LBB192_192
.LBB192_216:                            ;   in Loop: Header=BB192_12 Depth=1
	v_mov_b32_e32 v2, 0
	s_wait_dscnt 0x0
	s_barrier_signal -1
	s_barrier_wait -1
	global_inv scope:SCOPE_SE
	s_and_saveexec_b32 s0, s2
	s_cbranch_execz .LBB192_218
; %bb.217:                              ;   in Loop: Header=BB192_12 Depth=1
	ds_load_2addr_b64 v[4:7], v40 offset1:1
	s_wait_dscnt 0x0
	v_add_nc_u32_e32 v2, v5, v4
	s_delay_alu instid0(VALU_DEP_1)
	v_add3_u32 v2, v2, v6, v7
.LBB192_218:                            ;   in Loop: Header=BB192_12 Depth=1
	s_wait_alu 0xfffe
	s_or_b32 exec_lo, exec_lo, s0
	s_delay_alu instid0(VALU_DEP_1)
	v_mov_b32_dpp v4, v2 row_shr:1 row_mask:0xf bank_mask:0xf
	v_cmp_eq_u32_e64 s0, 0, v62
	v_cmp_lt_u32_e64 s1, 1, v62
	v_cmp_lt_u32_e64 s9, 3, v62
	;; [unrolled: 1-line block ×3, first 2 shown]
	v_cmp_eq_u32_e64 s11, 0, v64
	s_wait_alu 0xf1ff
	v_cndmask_b32_e64 v4, v4, 0, s0
	s_delay_alu instid0(VALU_DEP_1) | instskip(NEXT) | instid1(VALU_DEP_1)
	v_add_nc_u32_e32 v2, v4, v2
	v_mov_b32_dpp v4, v2 row_shr:2 row_mask:0xf bank_mask:0xf
	s_delay_alu instid0(VALU_DEP_1) | instskip(NEXT) | instid1(VALU_DEP_1)
	v_cndmask_b32_e64 v4, 0, v4, s1
	v_add_nc_u32_e32 v2, v2, v4
	s_delay_alu instid0(VALU_DEP_1) | instskip(NEXT) | instid1(VALU_DEP_1)
	v_mov_b32_dpp v4, v2 row_shr:4 row_mask:0xf bank_mask:0xf
	v_cndmask_b32_e64 v4, 0, v4, s9
	s_delay_alu instid0(VALU_DEP_1) | instskip(NEXT) | instid1(VALU_DEP_1)
	v_add_nc_u32_e32 v2, v2, v4
	v_mov_b32_dpp v4, v2 row_shr:8 row_mask:0xf bank_mask:0xf
	s_delay_alu instid0(VALU_DEP_1) | instskip(NEXT) | instid1(VALU_DEP_1)
	v_cndmask_b32_e64 v4, 0, v4, s10
	v_add_nc_u32_e32 v2, v2, v4
	ds_swizzle_b32 v4, v2 offset:swizzle(BROADCAST,32,15)
	s_wait_dscnt 0x0
	v_and_b32_e32 v4, v63, v4
	s_delay_alu instid0(VALU_DEP_1)
	v_add_nc_u32_e32 v2, v2, v4
	s_and_saveexec_b32 s12, s3
; %bb.219:                              ;   in Loop: Header=BB192_12 Depth=1
	ds_store_b32 v41, v2
; %bb.220:                              ;   in Loop: Header=BB192_12 Depth=1
	s_wait_alu 0xfffe
	s_or_b32 exec_lo, exec_lo, s12
	s_wait_loadcnt_dscnt 0x0
	s_barrier_signal -1
	s_barrier_wait -1
	global_inv scope:SCOPE_SE
	s_and_saveexec_b32 s12, s4
	s_cbranch_execz .LBB192_222
; %bb.221:                              ;   in Loop: Header=BB192_12 Depth=1
	ds_load_b32 v4, v42
	v_cmp_ne_u32_e32 vcc_lo, 0, v65
	s_wait_dscnt 0x0
	v_mov_b32_dpp v5, v4 row_shr:1 row_mask:0xf bank_mask:0xf
	s_wait_alu 0xfffd
	s_delay_alu instid0(VALU_DEP_1) | instskip(SKIP_1) | instid1(VALU_DEP_2)
	v_cndmask_b32_e32 v5, 0, v5, vcc_lo
	v_cmp_lt_u32_e32 vcc_lo, 1, v65
	v_add_nc_u32_e32 v4, v5, v4
	s_delay_alu instid0(VALU_DEP_1) | instskip(SKIP_1) | instid1(VALU_DEP_1)
	v_mov_b32_dpp v5, v4 row_shr:2 row_mask:0xf bank_mask:0xf
	s_wait_alu 0xfffd
	v_cndmask_b32_e32 v5, 0, v5, vcc_lo
	v_cmp_lt_u32_e32 vcc_lo, 3, v65
	s_delay_alu instid0(VALU_DEP_2) | instskip(NEXT) | instid1(VALU_DEP_1)
	v_add_nc_u32_e32 v4, v4, v5
	v_mov_b32_dpp v5, v4 row_shr:4 row_mask:0xf bank_mask:0xf
	s_wait_alu 0xfffd
	s_delay_alu instid0(VALU_DEP_1) | instskip(NEXT) | instid1(VALU_DEP_1)
	v_cndmask_b32_e32 v5, 0, v5, vcc_lo
	v_add_nc_u32_e32 v4, v4, v5
	ds_store_b32 v42, v4
.LBB192_222:                            ;   in Loop: Header=BB192_12 Depth=1
	s_wait_alu 0xfffe
	s_or_b32 exec_lo, exec_lo, s12
	v_mov_b32_e32 v4, 0
	s_wait_loadcnt_dscnt 0x0
	s_barrier_signal -1
	s_barrier_wait -1
	global_inv scope:SCOPE_SE
	s_and_saveexec_b32 s12, s5
; %bb.223:                              ;   in Loop: Header=BB192_12 Depth=1
	ds_load_b32 v4, v43
; %bb.224:                              ;   in Loop: Header=BB192_12 Depth=1
	s_wait_alu 0xfffe
	s_or_b32 exec_lo, exec_lo, s12
	v_cmp_gt_i32_e32 vcc_lo, 0, v67
	s_wait_dscnt 0x0
	v_add_nc_u32_e32 v2, v4, v2
	s_wait_loadcnt 0x0
	s_barrier_signal -1
	s_barrier_wait -1
	s_wait_alu 0xfffd
	v_cndmask_b32_e32 v5, v67, v58, vcc_lo
	global_inv scope:SCOPE_SE
	v_lshlrev_b32_e32 v80, 2, v5
	ds_bpermute_b32 v2, v80, v2
	s_and_saveexec_b32 s12, s2
	s_cbranch_execz .LBB192_226
; %bb.225:                              ;   in Loop: Header=BB192_12 Depth=1
	s_wait_dscnt 0x0
	v_cndmask_b32_e64 v2, v2, v4, s8
	s_delay_alu instid0(VALU_DEP_1)
	v_add_nc_u32_e32 v2, s33, v2
	ds_store_b32 v28, v2
.LBB192_226:                            ;   in Loop: Header=BB192_12 Depth=1
	s_wait_alu 0xfffe
	s_or_b32 exec_lo, exec_lo, s12
	s_load_b64 s[12:13], s[28:29], 0x0
	v_add_co_u32 v81, vcc_lo, v50, v66
	s_wait_alu 0xfffd
	v_add_co_ci_u32_e64 v82, null, 0, v51, vcc_lo
	v_add_co_u32 v83, vcc_lo, v52, v58
	s_wait_alu 0xfffd
	v_add_co_ci_u32_e64 v84, null, 0, v53, vcc_lo
	s_mov_b32 s42, s47
                                        ; implicit-def: $vgpr6_vgpr7
                                        ; implicit-def: $vgpr8_vgpr9
                                        ; implicit-def: $vgpr10_vgpr11
                                        ; implicit-def: $vgpr12_vgpr13
                                        ; implicit-def: $vgpr14_vgpr15
                                        ; implicit-def: $vgpr16_vgpr17
                                        ; implicit-def: $vgpr18_vgpr19
                                        ; implicit-def: $vgpr86
                                        ; implicit-def: $vgpr87
                                        ; implicit-def: $vgpr88
                                        ; implicit-def: $vgpr89
                                        ; implicit-def: $vgpr90
                                        ; implicit-def: $vgpr91
                                        ; implicit-def: $vgpr92
                                        ; implicit-def: $vgpr93
	s_wait_kmcnt 0x0
	s_cmp_lt_u32 ttmp7, s13
	s_cselect_b32 s22, 14, 20
	s_cmp_lt_u32 ttmp9, s12
	s_wait_alu 0xfffe
	s_add_nc_u64 s[14:15], s[28:29], s[22:23]
	s_cselect_b32 s22, 12, 18
	s_load_u16 s14, s[14:15], 0x0
	s_add_nc_u64 s[12:13], s[28:29], s[22:23]
	s_mov_b32 s22, s33
	s_load_u16 s12, s[12:13], 0x0
	v_cmp_lt_u32_e64 s13, 1, v65
	s_wait_dscnt 0x0
	s_wait_kmcnt 0x0
	v_mad_u32_u24 v2, v44, s14, v0
	v_cmp_lt_u32_e64 s14, 3, v65
	s_delay_alu instid0(VALU_DEP_2) | instskip(SKIP_1) | instid1(VALU_DEP_2)
	v_mad_co_u64_u32 v[4:5], null, v2, s12, v[1:2]
	v_cmp_eq_u32_e64 s12, 0, v65
	v_lshrrev_b32_e32 v2, 3, v4
                                        ; implicit-def: $vgpr4_vgpr5
	s_delay_alu instid0(VALU_DEP_1)
	v_and_b32_e32 v85, 0x1ffffffc, v2
	s_branch .LBB192_228
.LBB192_227:                            ;   in Loop: Header=BB192_228 Depth=2
	s_wait_alu 0xfffe
	s_or_b32 exec_lo, exec_lo, s15
	s_addk_co_i32 s42, 0xf800
	s_cmp_lt_u32 s43, s34
	s_mov_b32 s22, s43
	s_cbranch_scc0 .LBB192_340
.LBB192_228:                            ;   Parent Loop BB192_12 Depth=1
                                        ; =>  This Inner Loop Header: Depth=2
	s_wait_alu 0xfffe
	s_add_co_i32 s43, s22, 0x800
	s_wait_alu 0xfffe
	s_cmp_gt_u32 s43, s34
	s_cbranch_scc1 .LBB192_230
; %bb.229:                              ;   in Loop: Header=BB192_228 Depth=2
	v_add_co_u32 v20, vcc_lo, v83, s22
	s_wait_alu 0xfffd
	v_add_co_ci_u32_e64 v21, null, 0, v84, vcc_lo
	s_mov_b32 s15, -1
	s_clause 0x6
	global_load_u8 v94, v[20:21], off
	global_load_u8 v95, v[20:21], off offset:32
	global_load_u8 v96, v[20:21], off offset:64
	;; [unrolled: 1-line block ×6, first 2 shown]
	s_movk_i32 s16, 0x800
	s_cbranch_execz .LBB192_231
	s_branch .LBB192_246
.LBB192_230:                            ;   in Loop: Header=BB192_228 Depth=2
	s_mov_b32 s15, 0
                                        ; implicit-def: $vgpr94
                                        ; implicit-def: $vgpr95
                                        ; implicit-def: $vgpr96
                                        ; implicit-def: $vgpr97
                                        ; implicit-def: $vgpr98
                                        ; implicit-def: $vgpr99
                                        ; implicit-def: $vgpr100
	s_movk_i32 s16, 0x800
.LBB192_231:                            ;   in Loop: Header=BB192_228 Depth=2
	v_add_co_u32 v20, vcc_lo, v83, s22
	s_wait_alu 0xfffd
	v_add_co_ci_u32_e64 v21, null, 0, v84, vcc_lo
	s_wait_loadcnt 0x5
	v_dual_mov_b32 v95, 0xff :: v_dual_mov_b32 v94, 0xff
	s_mov_b32 s15, exec_lo
	v_cmpx_gt_u32_e64 s42, v68
	s_cbranch_execz .LBB192_233
; %bb.232:                              ;   in Loop: Header=BB192_228 Depth=2
	global_load_u8 v94, v[20:21], off
.LBB192_233:                            ;   in Loop: Header=BB192_228 Depth=2
	s_wait_alu 0xfffe
	s_or_b32 exec_lo, exec_lo, s15
	s_delay_alu instid0(SALU_CYCLE_1)
	s_mov_b32 s15, exec_lo
	v_cmpx_gt_u32_e64 s42, v71
	s_cbranch_execz .LBB192_235
; %bb.234:                              ;   in Loop: Header=BB192_228 Depth=2
	global_load_u8 v95, v[20:21], off offset:32
.LBB192_235:                            ;   in Loop: Header=BB192_228 Depth=2
	s_wait_alu 0xfffe
	s_or_b32 exec_lo, exec_lo, s15
	s_wait_loadcnt 0x3
	v_dual_mov_b32 v97, 0xff :: v_dual_mov_b32 v96, 0xff
	s_mov_b32 s15, exec_lo
	v_cmpx_gt_u32_e64 s42, v72
	s_cbranch_execz .LBB192_237
; %bb.236:                              ;   in Loop: Header=BB192_228 Depth=2
	global_load_u8 v96, v[20:21], off offset:64
.LBB192_237:                            ;   in Loop: Header=BB192_228 Depth=2
	s_wait_alu 0xfffe
	s_or_b32 exec_lo, exec_lo, s15
	s_delay_alu instid0(SALU_CYCLE_1)
	s_mov_b32 s15, exec_lo
	v_cmpx_gt_u32_e64 s42, v73
	s_cbranch_execz .LBB192_239
; %bb.238:                              ;   in Loop: Header=BB192_228 Depth=2
	global_load_u8 v97, v[20:21], off offset:96
.LBB192_239:                            ;   in Loop: Header=BB192_228 Depth=2
	s_wait_alu 0xfffe
	s_or_b32 exec_lo, exec_lo, s15
	s_wait_loadcnt 0x1
	v_dual_mov_b32 v99, 0xff :: v_dual_mov_b32 v98, 0xff
	s_mov_b32 s15, exec_lo
	v_cmpx_gt_u32_e64 s42, v74
	s_cbranch_execz .LBB192_241
; %bb.240:                              ;   in Loop: Header=BB192_228 Depth=2
	global_load_u8 v98, v[20:21], off offset:128
.LBB192_241:                            ;   in Loop: Header=BB192_228 Depth=2
	s_wait_alu 0xfffe
	s_or_b32 exec_lo, exec_lo, s15
	s_delay_alu instid0(SALU_CYCLE_1)
	s_mov_b32 s15, exec_lo
	v_cmpx_gt_u32_e64 s42, v75
	s_cbranch_execz .LBB192_243
; %bb.242:                              ;   in Loop: Header=BB192_228 Depth=2
	global_load_u8 v99, v[20:21], off offset:160
.LBB192_243:                            ;   in Loop: Header=BB192_228 Depth=2
	s_wait_alu 0xfffe
	s_or_b32 exec_lo, exec_lo, s15
	s_wait_loadcnt 0x0
	v_mov_b32_e32 v100, 0xff
	s_mov_b32 s15, exec_lo
	v_cmpx_gt_u32_e64 s42, v76
	s_cbranch_execz .LBB192_245
; %bb.244:                              ;   in Loop: Header=BB192_228 Depth=2
	global_load_u8 v100, v[20:21], off offset:192
.LBB192_245:                            ;   in Loop: Header=BB192_228 Depth=2
	s_wait_alu 0xfffe
	s_or_b32 exec_lo, exec_lo, s15
	v_cmp_gt_u32_e64 s15, s42, v77
	s_sub_co_i32 s16, s34, s22
.LBB192_246:                            ;   in Loop: Header=BB192_228 Depth=2
	v_dual_mov_b32 v101, 0xff :: v_dual_mov_b32 v2, s42
	s_wait_alu 0xfffe
	s_and_saveexec_b32 s17, s15
	s_cbranch_execz .LBB192_248
; %bb.247:                              ;   in Loop: Header=BB192_228 Depth=2
	v_add_co_u32 v20, vcc_lo, v83, s22
	s_wait_alu 0xfffd
	v_add_co_ci_u32_e64 v21, null, s23, v84, vcc_lo
	v_mov_b32_e32 v2, s16
	global_load_u8 v101, v[20:21], off offset:224
.LBB192_248:                            ;   in Loop: Header=BB192_228 Depth=2
	s_wait_alu 0xfffe
	s_or_b32 exec_lo, exec_lo, s17
	s_wait_loadcnt 0x6
	v_and_b32_e32 v20, 0xff, v94
	v_add_nc_u32_e32 v104, 0x420, v45
	v_add_nc_u32_e32 v105, 0x428, v45
	;; [unrolled: 1-line block ×3, first 2 shown]
	s_delay_alu instid0(VALU_DEP_4) | instskip(NEXT) | instid1(VALU_DEP_1)
	v_lshrrev_b32_e32 v20, s30, v20
	v_and_b32_e32 v21, s31, v20
	s_delay_alu instid0(VALU_DEP_1)
	v_and_b32_e32 v20, 1, v21
	v_lshlrev_b32_e32 v22, 30, v21
	v_lshlrev_b32_e32 v23, 29, v21
	;; [unrolled: 1-line block ×4, first 2 shown]
	v_add_co_u32 v20, s15, v20, -1
	s_wait_alu 0xf1ff
	v_cndmask_b32_e64 v25, 0, 1, s15
	v_not_b32_e32 v103, v22
	v_cmp_gt_i32_e64 s15, 0, v22
	v_not_b32_e32 v22, v23
	v_lshlrev_b32_e32 v27, 26, v21
	v_cmp_ne_u32_e32 vcc_lo, 0, v25
	v_ashrrev_i32_e32 v103, 31, v103
	v_lshlrev_b32_e32 v102, 25, v21
	v_ashrrev_i32_e32 v22, 31, v22
	v_lshlrev_b32_e32 v25, 24, v21
	s_wait_alu 0xfffd
	v_xor_b32_e32 v20, vcc_lo, v20
	v_cmp_gt_i32_e32 vcc_lo, 0, v23
	v_not_b32_e32 v23, v24
	s_wait_alu 0xf1ff
	v_xor_b32_e32 v103, s15, v103
	v_cmp_gt_i32_e64 s15, 0, v24
	v_and_b32_e32 v20, exec_lo, v20
	v_not_b32_e32 v24, v26
	v_ashrrev_i32_e32 v23, 31, v23
	s_wait_alu 0xfffd
	v_xor_b32_e32 v22, vcc_lo, v22
	v_cmp_gt_i32_e32 vcc_lo, 0, v26
	v_and_b32_e32 v20, v20, v103
	v_not_b32_e32 v26, v27
	v_ashrrev_i32_e32 v24, 31, v24
	s_wait_alu 0xf1ff
	v_xor_b32_e32 v23, s15, v23
	v_cmp_gt_i32_e64 s15, 0, v27
	v_and_b32_e32 v20, v20, v22
	v_not_b32_e32 v22, v102
	v_ashrrev_i32_e32 v26, 31, v26
	s_wait_alu 0xfffd
	v_xor_b32_e32 v24, vcc_lo, v24
	v_cmp_gt_i32_e32 vcc_lo, 0, v102
	v_and_b32_e32 v20, v20, v23
	v_not_b32_e32 v23, v25
	v_ashrrev_i32_e32 v22, 31, v22
	s_wait_alu 0xf1ff
	v_xor_b32_e32 v26, s15, v26
	v_cmp_gt_i32_e64 s15, 0, v25
	v_and_b32_e32 v20, v20, v24
	v_ashrrev_i32_e32 v23, 31, v23
	s_wait_alu 0xfffd
	v_xor_b32_e32 v22, vcc_lo, v22
	v_mul_u32_u24_e32 v21, 36, v21
	v_add_nc_u32_e32 v103, 0x438, v45
	v_and_b32_e32 v20, v20, v26
	s_wait_alu 0xf1ff
	v_xor_b32_e32 v23, s15, v23
	v_add_nc_u32_e32 v107, v85, v21
	ds_store_2addr_b32 v103, v3, v3 offset1:1
	v_and_b32_e32 v20, v20, v22
	ds_store_2addr_b32 v104, v3, v3 offset1:1
	ds_store_2addr_b32 v105, v3, v3 offset1:1
	;; [unrolled: 1-line block ×3, first 2 shown]
	ds_store_b32 v45, v3 offset:1088
	s_wait_loadcnt_dscnt 0x0
	s_barrier_signal -1
	s_barrier_wait -1
	v_and_b32_e32 v20, v20, v23
	global_inv scope:SCOPE_SE
	; wave barrier
	v_mbcnt_lo_u32_b32 v102, v20, 0
	v_cmp_ne_u32_e64 s15, 0, v20
	s_delay_alu instid0(VALU_DEP_2)
	v_cmp_eq_u32_e32 vcc_lo, 0, v102
	s_and_b32 s16, s15, vcc_lo
	s_wait_alu 0xfffe
	s_and_saveexec_b32 s15, s16
; %bb.249:                              ;   in Loop: Header=BB192_228 Depth=2
	v_bcnt_u32_b32 v20, v20, 0
	ds_store_b32 v107, v20 offset:1056
; %bb.250:                              ;   in Loop: Header=BB192_228 Depth=2
	s_wait_alu 0xfffe
	s_or_b32 exec_lo, exec_lo, s15
	v_and_b32_e32 v20, 0xff, v95
	; wave barrier
	s_delay_alu instid0(VALU_DEP_1) | instskip(NEXT) | instid1(VALU_DEP_1)
	v_lshrrev_b32_e32 v20, s30, v20
	v_and_b32_e32 v21, s31, v20
	s_delay_alu instid0(VALU_DEP_1)
	v_and_b32_e32 v20, 1, v21
	v_lshlrev_b32_e32 v22, 30, v21
	v_lshlrev_b32_e32 v23, 29, v21
	;; [unrolled: 1-line block ×4, first 2 shown]
	v_add_co_u32 v20, s15, v20, -1
	s_wait_alu 0xf1ff
	v_cndmask_b32_e64 v25, 0, 1, s15
	v_not_b32_e32 v109, v22
	v_cmp_gt_i32_e64 s15, 0, v22
	v_not_b32_e32 v22, v23
	v_lshlrev_b32_e32 v27, 26, v21
	v_cmp_ne_u32_e32 vcc_lo, 0, v25
	v_ashrrev_i32_e32 v109, 31, v109
	v_lshlrev_b32_e32 v108, 25, v21
	v_ashrrev_i32_e32 v22, 31, v22
	v_lshlrev_b32_e32 v25, 24, v21
	s_wait_alu 0xfffd
	v_xor_b32_e32 v20, vcc_lo, v20
	v_cmp_gt_i32_e32 vcc_lo, 0, v23
	v_not_b32_e32 v23, v24
	s_wait_alu 0xf1ff
	v_xor_b32_e32 v109, s15, v109
	v_cmp_gt_i32_e64 s15, 0, v24
	v_and_b32_e32 v20, exec_lo, v20
	v_not_b32_e32 v24, v26
	v_ashrrev_i32_e32 v23, 31, v23
	s_wait_alu 0xfffd
	v_xor_b32_e32 v22, vcc_lo, v22
	v_cmp_gt_i32_e32 vcc_lo, 0, v26
	v_and_b32_e32 v20, v20, v109
	v_not_b32_e32 v26, v27
	v_ashrrev_i32_e32 v24, 31, v24
	s_wait_alu 0xf1ff
	v_xor_b32_e32 v23, s15, v23
	v_cmp_gt_i32_e64 s15, 0, v27
	v_and_b32_e32 v20, v20, v22
	v_not_b32_e32 v22, v108
	v_ashrrev_i32_e32 v26, 31, v26
	s_wait_alu 0xfffd
	v_xor_b32_e32 v24, vcc_lo, v24
	v_cmp_gt_i32_e32 vcc_lo, 0, v108
	v_and_b32_e32 v20, v20, v23
	v_not_b32_e32 v23, v25
	v_ashrrev_i32_e32 v22, 31, v22
	s_wait_alu 0xf1ff
	v_xor_b32_e32 v26, s15, v26
	v_cmp_gt_i32_e64 s15, 0, v25
	v_and_b32_e32 v20, v20, v24
	v_ashrrev_i32_e32 v23, 31, v23
	s_wait_alu 0xfffd
	v_xor_b32_e32 v22, vcc_lo, v22
	v_mad_u32_u24 v24, v21, 36, v85
	v_mul_u32_u24_e32 v21, 36, v21
	v_and_b32_e32 v20, v20, v26
	s_wait_alu 0xf1ff
	v_xor_b32_e32 v23, s15, v23
	ds_load_b32 v108, v24 offset:1056
	v_add_nc_u32_e32 v110, v85, v21
	v_and_b32_e32 v20, v20, v22
	; wave barrier
	s_delay_alu instid0(VALU_DEP_1) | instskip(NEXT) | instid1(VALU_DEP_1)
	v_and_b32_e32 v20, v20, v23
	v_mbcnt_lo_u32_b32 v109, v20, 0
	v_cmp_ne_u32_e64 s15, 0, v20
	s_delay_alu instid0(VALU_DEP_2)
	v_cmp_eq_u32_e32 vcc_lo, 0, v109
	s_and_b32 s16, s15, vcc_lo
	s_wait_alu 0xfffe
	s_and_saveexec_b32 s15, s16
	s_cbranch_execz .LBB192_252
; %bb.251:                              ;   in Loop: Header=BB192_228 Depth=2
	s_wait_dscnt 0x0
	v_bcnt_u32_b32 v20, v20, v108
	ds_store_b32 v110, v20 offset:1056
.LBB192_252:                            ;   in Loop: Header=BB192_228 Depth=2
	s_wait_alu 0xfffe
	s_or_b32 exec_lo, exec_lo, s15
	v_and_b32_e32 v20, 0xff, v96
	; wave barrier
	s_delay_alu instid0(VALU_DEP_1) | instskip(NEXT) | instid1(VALU_DEP_1)
	v_lshrrev_b32_e32 v20, s30, v20
	v_and_b32_e32 v21, s31, v20
	s_delay_alu instid0(VALU_DEP_1)
	v_and_b32_e32 v20, 1, v21
	v_lshlrev_b32_e32 v22, 30, v21
	v_lshlrev_b32_e32 v23, 29, v21
	v_lshlrev_b32_e32 v24, 28, v21
	v_lshlrev_b32_e32 v26, 27, v21
	v_add_co_u32 v20, s15, v20, -1
	s_wait_alu 0xf1ff
	v_cndmask_b32_e64 v25, 0, 1, s15
	v_not_b32_e32 v112, v22
	v_cmp_gt_i32_e64 s15, 0, v22
	v_not_b32_e32 v22, v23
	v_lshlrev_b32_e32 v27, 26, v21
	v_cmp_ne_u32_e32 vcc_lo, 0, v25
	v_ashrrev_i32_e32 v112, 31, v112
	v_lshlrev_b32_e32 v111, 25, v21
	v_ashrrev_i32_e32 v22, 31, v22
	v_lshlrev_b32_e32 v25, 24, v21
	s_wait_alu 0xfffd
	v_xor_b32_e32 v20, vcc_lo, v20
	v_cmp_gt_i32_e32 vcc_lo, 0, v23
	v_not_b32_e32 v23, v24
	s_wait_alu 0xf1ff
	v_xor_b32_e32 v112, s15, v112
	v_cmp_gt_i32_e64 s15, 0, v24
	v_and_b32_e32 v20, exec_lo, v20
	v_not_b32_e32 v24, v26
	v_ashrrev_i32_e32 v23, 31, v23
	s_wait_alu 0xfffd
	v_xor_b32_e32 v22, vcc_lo, v22
	v_cmp_gt_i32_e32 vcc_lo, 0, v26
	v_and_b32_e32 v20, v20, v112
	v_not_b32_e32 v26, v27
	v_ashrrev_i32_e32 v24, 31, v24
	s_wait_alu 0xf1ff
	v_xor_b32_e32 v23, s15, v23
	v_cmp_gt_i32_e64 s15, 0, v27
	v_and_b32_e32 v20, v20, v22
	v_not_b32_e32 v22, v111
	v_ashrrev_i32_e32 v26, 31, v26
	s_wait_alu 0xfffd
	v_xor_b32_e32 v24, vcc_lo, v24
	v_cmp_gt_i32_e32 vcc_lo, 0, v111
	v_and_b32_e32 v20, v20, v23
	v_not_b32_e32 v23, v25
	v_ashrrev_i32_e32 v22, 31, v22
	s_wait_alu 0xf1ff
	v_xor_b32_e32 v26, s15, v26
	v_cmp_gt_i32_e64 s15, 0, v25
	v_and_b32_e32 v20, v20, v24
	v_ashrrev_i32_e32 v23, 31, v23
	s_wait_alu 0xfffd
	v_xor_b32_e32 v22, vcc_lo, v22
	v_mad_u32_u24 v24, v21, 36, v85
	v_mul_u32_u24_e32 v21, 36, v21
	v_and_b32_e32 v20, v20, v26
	s_wait_alu 0xf1ff
	v_xor_b32_e32 v23, s15, v23
	ds_load_b32 v111, v24 offset:1056
	v_add_nc_u32_e32 v113, v85, v21
	v_and_b32_e32 v20, v20, v22
	; wave barrier
	s_delay_alu instid0(VALU_DEP_1) | instskip(NEXT) | instid1(VALU_DEP_1)
	v_and_b32_e32 v20, v20, v23
	v_mbcnt_lo_u32_b32 v112, v20, 0
	v_cmp_ne_u32_e64 s15, 0, v20
	s_delay_alu instid0(VALU_DEP_2)
	v_cmp_eq_u32_e32 vcc_lo, 0, v112
	s_and_b32 s16, s15, vcc_lo
	s_wait_alu 0xfffe
	s_and_saveexec_b32 s15, s16
	s_cbranch_execz .LBB192_254
; %bb.253:                              ;   in Loop: Header=BB192_228 Depth=2
	s_wait_dscnt 0x0
	v_bcnt_u32_b32 v20, v20, v111
	ds_store_b32 v113, v20 offset:1056
.LBB192_254:                            ;   in Loop: Header=BB192_228 Depth=2
	s_wait_alu 0xfffe
	s_or_b32 exec_lo, exec_lo, s15
	v_and_b32_e32 v20, 0xff, v97
	; wave barrier
	s_delay_alu instid0(VALU_DEP_1) | instskip(NEXT) | instid1(VALU_DEP_1)
	v_lshrrev_b32_e32 v20, s30, v20
	v_and_b32_e32 v21, s31, v20
	s_delay_alu instid0(VALU_DEP_1)
	v_and_b32_e32 v20, 1, v21
	v_lshlrev_b32_e32 v22, 30, v21
	v_lshlrev_b32_e32 v23, 29, v21
	;; [unrolled: 1-line block ×4, first 2 shown]
	v_add_co_u32 v20, s15, v20, -1
	s_wait_alu 0xf1ff
	v_cndmask_b32_e64 v25, 0, 1, s15
	v_not_b32_e32 v115, v22
	v_cmp_gt_i32_e64 s15, 0, v22
	v_not_b32_e32 v22, v23
	v_lshlrev_b32_e32 v27, 26, v21
	v_cmp_ne_u32_e32 vcc_lo, 0, v25
	v_ashrrev_i32_e32 v115, 31, v115
	v_lshlrev_b32_e32 v114, 25, v21
	v_ashrrev_i32_e32 v22, 31, v22
	v_lshlrev_b32_e32 v25, 24, v21
	s_wait_alu 0xfffd
	v_xor_b32_e32 v20, vcc_lo, v20
	v_cmp_gt_i32_e32 vcc_lo, 0, v23
	v_not_b32_e32 v23, v24
	s_wait_alu 0xf1ff
	v_xor_b32_e32 v115, s15, v115
	v_cmp_gt_i32_e64 s15, 0, v24
	v_and_b32_e32 v20, exec_lo, v20
	v_not_b32_e32 v24, v26
	v_ashrrev_i32_e32 v23, 31, v23
	s_wait_alu 0xfffd
	v_xor_b32_e32 v22, vcc_lo, v22
	v_cmp_gt_i32_e32 vcc_lo, 0, v26
	v_and_b32_e32 v20, v20, v115
	v_not_b32_e32 v26, v27
	v_ashrrev_i32_e32 v24, 31, v24
	s_wait_alu 0xf1ff
	v_xor_b32_e32 v23, s15, v23
	v_cmp_gt_i32_e64 s15, 0, v27
	v_and_b32_e32 v20, v20, v22
	v_not_b32_e32 v22, v114
	v_ashrrev_i32_e32 v26, 31, v26
	s_wait_alu 0xfffd
	v_xor_b32_e32 v24, vcc_lo, v24
	v_cmp_gt_i32_e32 vcc_lo, 0, v114
	v_and_b32_e32 v20, v20, v23
	v_not_b32_e32 v23, v25
	v_ashrrev_i32_e32 v22, 31, v22
	s_wait_alu 0xf1ff
	v_xor_b32_e32 v26, s15, v26
	v_cmp_gt_i32_e64 s15, 0, v25
	v_and_b32_e32 v20, v20, v24
	v_ashrrev_i32_e32 v23, 31, v23
	s_wait_alu 0xfffd
	v_xor_b32_e32 v22, vcc_lo, v22
	v_mad_u32_u24 v24, v21, 36, v85
	v_mul_u32_u24_e32 v21, 36, v21
	v_and_b32_e32 v20, v20, v26
	s_wait_alu 0xf1ff
	v_xor_b32_e32 v23, s15, v23
	ds_load_b32 v114, v24 offset:1056
	v_add_nc_u32_e32 v116, v85, v21
	v_and_b32_e32 v20, v20, v22
	; wave barrier
	s_delay_alu instid0(VALU_DEP_1) | instskip(NEXT) | instid1(VALU_DEP_1)
	v_and_b32_e32 v20, v20, v23
	v_mbcnt_lo_u32_b32 v115, v20, 0
	v_cmp_ne_u32_e64 s15, 0, v20
	s_delay_alu instid0(VALU_DEP_2)
	v_cmp_eq_u32_e32 vcc_lo, 0, v115
	s_and_b32 s16, s15, vcc_lo
	s_wait_alu 0xfffe
	s_and_saveexec_b32 s15, s16
	s_cbranch_execz .LBB192_256
; %bb.255:                              ;   in Loop: Header=BB192_228 Depth=2
	s_wait_dscnt 0x0
	v_bcnt_u32_b32 v20, v20, v114
	ds_store_b32 v116, v20 offset:1056
.LBB192_256:                            ;   in Loop: Header=BB192_228 Depth=2
	s_wait_alu 0xfffe
	s_or_b32 exec_lo, exec_lo, s15
	v_and_b32_e32 v20, 0xff, v98
	; wave barrier
	s_delay_alu instid0(VALU_DEP_1) | instskip(NEXT) | instid1(VALU_DEP_1)
	v_lshrrev_b32_e32 v20, s30, v20
	v_and_b32_e32 v21, s31, v20
	s_delay_alu instid0(VALU_DEP_1)
	v_and_b32_e32 v20, 1, v21
	v_lshlrev_b32_e32 v22, 30, v21
	v_lshlrev_b32_e32 v23, 29, v21
	;; [unrolled: 1-line block ×4, first 2 shown]
	v_add_co_u32 v20, s15, v20, -1
	s_wait_alu 0xf1ff
	v_cndmask_b32_e64 v25, 0, 1, s15
	v_not_b32_e32 v118, v22
	v_cmp_gt_i32_e64 s15, 0, v22
	v_not_b32_e32 v22, v23
	v_lshlrev_b32_e32 v27, 26, v21
	v_cmp_ne_u32_e32 vcc_lo, 0, v25
	v_ashrrev_i32_e32 v118, 31, v118
	v_lshlrev_b32_e32 v117, 25, v21
	v_ashrrev_i32_e32 v22, 31, v22
	v_lshlrev_b32_e32 v25, 24, v21
	s_wait_alu 0xfffd
	v_xor_b32_e32 v20, vcc_lo, v20
	v_cmp_gt_i32_e32 vcc_lo, 0, v23
	v_not_b32_e32 v23, v24
	s_wait_alu 0xf1ff
	v_xor_b32_e32 v118, s15, v118
	v_cmp_gt_i32_e64 s15, 0, v24
	v_and_b32_e32 v20, exec_lo, v20
	v_not_b32_e32 v24, v26
	v_ashrrev_i32_e32 v23, 31, v23
	s_wait_alu 0xfffd
	v_xor_b32_e32 v22, vcc_lo, v22
	v_cmp_gt_i32_e32 vcc_lo, 0, v26
	v_and_b32_e32 v20, v20, v118
	v_not_b32_e32 v26, v27
	v_ashrrev_i32_e32 v24, 31, v24
	s_wait_alu 0xf1ff
	v_xor_b32_e32 v23, s15, v23
	v_cmp_gt_i32_e64 s15, 0, v27
	v_and_b32_e32 v20, v20, v22
	v_not_b32_e32 v22, v117
	v_ashrrev_i32_e32 v26, 31, v26
	s_wait_alu 0xfffd
	v_xor_b32_e32 v24, vcc_lo, v24
	v_cmp_gt_i32_e32 vcc_lo, 0, v117
	v_and_b32_e32 v20, v20, v23
	v_not_b32_e32 v23, v25
	v_ashrrev_i32_e32 v22, 31, v22
	s_wait_alu 0xf1ff
	v_xor_b32_e32 v26, s15, v26
	v_cmp_gt_i32_e64 s15, 0, v25
	v_and_b32_e32 v20, v20, v24
	v_ashrrev_i32_e32 v23, 31, v23
	s_wait_alu 0xfffd
	v_xor_b32_e32 v22, vcc_lo, v22
	v_mad_u32_u24 v24, v21, 36, v85
	v_mul_u32_u24_e32 v21, 36, v21
	v_and_b32_e32 v20, v20, v26
	s_wait_alu 0xf1ff
	v_xor_b32_e32 v23, s15, v23
	ds_load_b32 v117, v24 offset:1056
	v_add_nc_u32_e32 v119, v85, v21
	v_and_b32_e32 v20, v20, v22
	; wave barrier
	s_delay_alu instid0(VALU_DEP_1) | instskip(NEXT) | instid1(VALU_DEP_1)
	v_and_b32_e32 v20, v20, v23
	v_mbcnt_lo_u32_b32 v118, v20, 0
	v_cmp_ne_u32_e64 s15, 0, v20
	s_delay_alu instid0(VALU_DEP_2)
	v_cmp_eq_u32_e32 vcc_lo, 0, v118
	s_and_b32 s16, s15, vcc_lo
	s_wait_alu 0xfffe
	s_and_saveexec_b32 s15, s16
	s_cbranch_execz .LBB192_258
; %bb.257:                              ;   in Loop: Header=BB192_228 Depth=2
	s_wait_dscnt 0x0
	v_bcnt_u32_b32 v20, v20, v117
	ds_store_b32 v119, v20 offset:1056
.LBB192_258:                            ;   in Loop: Header=BB192_228 Depth=2
	s_wait_alu 0xfffe
	s_or_b32 exec_lo, exec_lo, s15
	v_and_b32_e32 v20, 0xff, v99
	; wave barrier
	s_delay_alu instid0(VALU_DEP_1) | instskip(NEXT) | instid1(VALU_DEP_1)
	v_lshrrev_b32_e32 v20, s30, v20
	v_and_b32_e32 v21, s31, v20
	s_delay_alu instid0(VALU_DEP_1)
	v_and_b32_e32 v20, 1, v21
	v_lshlrev_b32_e32 v22, 30, v21
	v_lshlrev_b32_e32 v23, 29, v21
	v_lshlrev_b32_e32 v24, 28, v21
	v_lshlrev_b32_e32 v26, 27, v21
	v_add_co_u32 v20, s15, v20, -1
	s_wait_alu 0xf1ff
	v_cndmask_b32_e64 v25, 0, 1, s15
	v_not_b32_e32 v121, v22
	v_cmp_gt_i32_e64 s15, 0, v22
	v_not_b32_e32 v22, v23
	v_lshlrev_b32_e32 v27, 26, v21
	v_cmp_ne_u32_e32 vcc_lo, 0, v25
	v_ashrrev_i32_e32 v121, 31, v121
	v_lshlrev_b32_e32 v120, 25, v21
	v_ashrrev_i32_e32 v22, 31, v22
	v_lshlrev_b32_e32 v25, 24, v21
	s_wait_alu 0xfffd
	v_xor_b32_e32 v20, vcc_lo, v20
	v_cmp_gt_i32_e32 vcc_lo, 0, v23
	v_not_b32_e32 v23, v24
	s_wait_alu 0xf1ff
	v_xor_b32_e32 v121, s15, v121
	v_cmp_gt_i32_e64 s15, 0, v24
	v_and_b32_e32 v20, exec_lo, v20
	v_not_b32_e32 v24, v26
	v_ashrrev_i32_e32 v23, 31, v23
	s_wait_alu 0xfffd
	v_xor_b32_e32 v22, vcc_lo, v22
	v_cmp_gt_i32_e32 vcc_lo, 0, v26
	v_and_b32_e32 v20, v20, v121
	v_not_b32_e32 v26, v27
	v_ashrrev_i32_e32 v24, 31, v24
	s_wait_alu 0xf1ff
	v_xor_b32_e32 v23, s15, v23
	v_cmp_gt_i32_e64 s15, 0, v27
	v_and_b32_e32 v20, v20, v22
	v_not_b32_e32 v22, v120
	v_ashrrev_i32_e32 v26, 31, v26
	s_wait_alu 0xfffd
	v_xor_b32_e32 v24, vcc_lo, v24
	v_cmp_gt_i32_e32 vcc_lo, 0, v120
	v_and_b32_e32 v20, v20, v23
	v_not_b32_e32 v23, v25
	v_ashrrev_i32_e32 v22, 31, v22
	s_wait_alu 0xf1ff
	v_xor_b32_e32 v26, s15, v26
	v_cmp_gt_i32_e64 s15, 0, v25
	v_and_b32_e32 v20, v20, v24
	v_ashrrev_i32_e32 v23, 31, v23
	s_wait_alu 0xfffd
	v_xor_b32_e32 v22, vcc_lo, v22
	v_mad_u32_u24 v24, v21, 36, v85
	v_mul_u32_u24_e32 v21, 36, v21
	v_and_b32_e32 v20, v20, v26
	s_wait_alu 0xf1ff
	v_xor_b32_e32 v23, s15, v23
	ds_load_b32 v120, v24 offset:1056
	v_add_nc_u32_e32 v122, v85, v21
	v_and_b32_e32 v20, v20, v22
	; wave barrier
	s_delay_alu instid0(VALU_DEP_1) | instskip(NEXT) | instid1(VALU_DEP_1)
	v_and_b32_e32 v20, v20, v23
	v_mbcnt_lo_u32_b32 v121, v20, 0
	v_cmp_ne_u32_e64 s15, 0, v20
	s_delay_alu instid0(VALU_DEP_2)
	v_cmp_eq_u32_e32 vcc_lo, 0, v121
	s_and_b32 s16, s15, vcc_lo
	s_wait_alu 0xfffe
	s_and_saveexec_b32 s15, s16
	s_cbranch_execz .LBB192_260
; %bb.259:                              ;   in Loop: Header=BB192_228 Depth=2
	s_wait_dscnt 0x0
	v_bcnt_u32_b32 v20, v20, v120
	ds_store_b32 v122, v20 offset:1056
.LBB192_260:                            ;   in Loop: Header=BB192_228 Depth=2
	s_wait_alu 0xfffe
	s_or_b32 exec_lo, exec_lo, s15
	v_and_b32_e32 v20, 0xff, v100
	; wave barrier
	s_delay_alu instid0(VALU_DEP_1) | instskip(NEXT) | instid1(VALU_DEP_1)
	v_lshrrev_b32_e32 v20, s30, v20
	v_and_b32_e32 v21, s31, v20
	s_delay_alu instid0(VALU_DEP_1)
	v_and_b32_e32 v20, 1, v21
	v_lshlrev_b32_e32 v22, 30, v21
	v_lshlrev_b32_e32 v23, 29, v21
	;; [unrolled: 1-line block ×4, first 2 shown]
	v_add_co_u32 v20, s15, v20, -1
	s_wait_alu 0xf1ff
	v_cndmask_b32_e64 v25, 0, 1, s15
	v_not_b32_e32 v124, v22
	v_cmp_gt_i32_e64 s15, 0, v22
	v_not_b32_e32 v22, v23
	v_lshlrev_b32_e32 v27, 26, v21
	v_cmp_ne_u32_e32 vcc_lo, 0, v25
	v_ashrrev_i32_e32 v124, 31, v124
	v_lshlrev_b32_e32 v123, 25, v21
	v_ashrrev_i32_e32 v22, 31, v22
	v_lshlrev_b32_e32 v25, 24, v21
	s_wait_alu 0xfffd
	v_xor_b32_e32 v20, vcc_lo, v20
	v_cmp_gt_i32_e32 vcc_lo, 0, v23
	v_not_b32_e32 v23, v24
	s_wait_alu 0xf1ff
	v_xor_b32_e32 v124, s15, v124
	v_cmp_gt_i32_e64 s15, 0, v24
	v_and_b32_e32 v20, exec_lo, v20
	v_not_b32_e32 v24, v26
	v_ashrrev_i32_e32 v23, 31, v23
	s_wait_alu 0xfffd
	v_xor_b32_e32 v22, vcc_lo, v22
	v_cmp_gt_i32_e32 vcc_lo, 0, v26
	v_and_b32_e32 v20, v20, v124
	v_not_b32_e32 v26, v27
	v_ashrrev_i32_e32 v24, 31, v24
	s_wait_alu 0xf1ff
	v_xor_b32_e32 v23, s15, v23
	v_cmp_gt_i32_e64 s15, 0, v27
	v_and_b32_e32 v20, v20, v22
	v_not_b32_e32 v22, v123
	v_ashrrev_i32_e32 v26, 31, v26
	s_wait_alu 0xfffd
	v_xor_b32_e32 v24, vcc_lo, v24
	v_cmp_gt_i32_e32 vcc_lo, 0, v123
	v_and_b32_e32 v20, v20, v23
	v_not_b32_e32 v23, v25
	v_ashrrev_i32_e32 v22, 31, v22
	s_wait_alu 0xf1ff
	v_xor_b32_e32 v26, s15, v26
	v_cmp_gt_i32_e64 s15, 0, v25
	v_and_b32_e32 v20, v20, v24
	v_ashrrev_i32_e32 v23, 31, v23
	s_wait_alu 0xfffd
	v_xor_b32_e32 v22, vcc_lo, v22
	v_mad_u32_u24 v24, v21, 36, v85
	v_mul_u32_u24_e32 v21, 36, v21
	v_and_b32_e32 v20, v20, v26
	s_wait_alu 0xf1ff
	v_xor_b32_e32 v23, s15, v23
	ds_load_b32 v123, v24 offset:1056
	v_add_nc_u32_e32 v125, v85, v21
	v_and_b32_e32 v20, v20, v22
	; wave barrier
	s_delay_alu instid0(VALU_DEP_1) | instskip(NEXT) | instid1(VALU_DEP_1)
	v_and_b32_e32 v20, v20, v23
	v_mbcnt_lo_u32_b32 v124, v20, 0
	v_cmp_ne_u32_e64 s15, 0, v20
	s_delay_alu instid0(VALU_DEP_2)
	v_cmp_eq_u32_e32 vcc_lo, 0, v124
	s_and_b32 s16, s15, vcc_lo
	s_wait_alu 0xfffe
	s_and_saveexec_b32 s15, s16
	s_cbranch_execz .LBB192_262
; %bb.261:                              ;   in Loop: Header=BB192_228 Depth=2
	s_wait_dscnt 0x0
	v_bcnt_u32_b32 v20, v20, v123
	ds_store_b32 v125, v20 offset:1056
.LBB192_262:                            ;   in Loop: Header=BB192_228 Depth=2
	s_wait_alu 0xfffe
	s_or_b32 exec_lo, exec_lo, s15
	v_and_b32_e32 v20, 0xff, v101
	; wave barrier
	s_delay_alu instid0(VALU_DEP_1) | instskip(NEXT) | instid1(VALU_DEP_1)
	v_lshrrev_b32_e32 v20, s30, v20
	v_and_b32_e32 v21, s31, v20
	s_delay_alu instid0(VALU_DEP_1)
	v_and_b32_e32 v20, 1, v21
	v_lshlrev_b32_e32 v22, 30, v21
	v_lshlrev_b32_e32 v23, 29, v21
	;; [unrolled: 1-line block ×4, first 2 shown]
	v_add_co_u32 v20, s15, v20, -1
	s_wait_alu 0xf1ff
	v_cndmask_b32_e64 v25, 0, 1, s15
	v_not_b32_e32 v127, v22
	v_cmp_gt_i32_e64 s15, 0, v22
	v_not_b32_e32 v22, v23
	v_lshlrev_b32_e32 v27, 26, v21
	v_cmp_ne_u32_e32 vcc_lo, 0, v25
	v_ashrrev_i32_e32 v127, 31, v127
	v_lshlrev_b32_e32 v126, 25, v21
	v_ashrrev_i32_e32 v22, 31, v22
	v_lshlrev_b32_e32 v25, 24, v21
	s_wait_alu 0xfffd
	v_xor_b32_e32 v20, vcc_lo, v20
	v_cmp_gt_i32_e32 vcc_lo, 0, v23
	v_not_b32_e32 v23, v24
	s_wait_alu 0xf1ff
	v_xor_b32_e32 v127, s15, v127
	v_cmp_gt_i32_e64 s15, 0, v24
	v_and_b32_e32 v20, exec_lo, v20
	v_not_b32_e32 v24, v26
	v_ashrrev_i32_e32 v23, 31, v23
	s_wait_alu 0xfffd
	v_xor_b32_e32 v22, vcc_lo, v22
	v_cmp_gt_i32_e32 vcc_lo, 0, v26
	v_and_b32_e32 v20, v20, v127
	v_not_b32_e32 v26, v27
	v_ashrrev_i32_e32 v24, 31, v24
	s_wait_alu 0xf1ff
	v_xor_b32_e32 v23, s15, v23
	v_cmp_gt_i32_e64 s15, 0, v27
	v_and_b32_e32 v20, v20, v22
	v_not_b32_e32 v22, v126
	v_ashrrev_i32_e32 v26, 31, v26
	s_wait_alu 0xfffd
	v_xor_b32_e32 v24, vcc_lo, v24
	v_cmp_gt_i32_e32 vcc_lo, 0, v126
	v_and_b32_e32 v20, v20, v23
	v_not_b32_e32 v23, v25
	v_ashrrev_i32_e32 v22, 31, v22
	s_wait_alu 0xf1ff
	v_xor_b32_e32 v26, s15, v26
	v_cmp_gt_i32_e64 s15, 0, v25
	v_and_b32_e32 v20, v20, v24
	v_ashrrev_i32_e32 v23, 31, v23
	s_wait_alu 0xfffd
	v_xor_b32_e32 v22, vcc_lo, v22
	v_mad_u32_u24 v24, v21, 36, v85
	v_mul_u32_u24_e32 v21, 36, v21
	v_and_b32_e32 v20, v20, v26
	s_wait_alu 0xf1ff
	v_xor_b32_e32 v23, s15, v23
	ds_load_b32 v126, v24 offset:1056
	v_add_nc_u32_e32 v128, v85, v21
	v_and_b32_e32 v20, v20, v22
	; wave barrier
	s_delay_alu instid0(VALU_DEP_1) | instskip(NEXT) | instid1(VALU_DEP_1)
	v_and_b32_e32 v20, v20, v23
	v_mbcnt_lo_u32_b32 v127, v20, 0
	v_cmp_ne_u32_e64 s15, 0, v20
	s_delay_alu instid0(VALU_DEP_2)
	v_cmp_eq_u32_e32 vcc_lo, 0, v127
	s_and_b32 s16, s15, vcc_lo
	s_wait_alu 0xfffe
	s_and_saveexec_b32 s15, s16
	s_cbranch_execz .LBB192_264
; %bb.263:                              ;   in Loop: Header=BB192_228 Depth=2
	s_wait_dscnt 0x0
	v_bcnt_u32_b32 v20, v20, v126
	ds_store_b32 v128, v20 offset:1056
.LBB192_264:                            ;   in Loop: Header=BB192_228 Depth=2
	s_wait_alu 0xfffe
	s_or_b32 exec_lo, exec_lo, s15
	; wave barrier
	s_wait_loadcnt_dscnt 0x0
	s_barrier_signal -1
	s_barrier_wait -1
	global_inv scope:SCOPE_SE
	ds_load_2addr_b32 v[26:27], v104 offset1:1
	ds_load_2addr_b32 v[24:25], v105 offset1:1
	;; [unrolled: 1-line block ×4, first 2 shown]
	ds_load_b32 v129, v45 offset:1088
	s_wait_dscnt 0x3
	v_add3_u32 v130, v27, v26, v24
	s_wait_dscnt 0x2
	s_delay_alu instid0(VALU_DEP_1) | instskip(SKIP_1) | instid1(VALU_DEP_1)
	v_add3_u32 v130, v130, v25, v22
	s_wait_dscnt 0x1
	v_add3_u32 v130, v130, v23, v20
	s_wait_dscnt 0x0
	s_delay_alu instid0(VALU_DEP_1) | instskip(NEXT) | instid1(VALU_DEP_1)
	v_add3_u32 v129, v130, v21, v129
	v_mov_b32_dpp v130, v129 row_shr:1 row_mask:0xf bank_mask:0xf
	s_delay_alu instid0(VALU_DEP_1) | instskip(NEXT) | instid1(VALU_DEP_1)
	v_cndmask_b32_e64 v130, v130, 0, s0
	v_add_nc_u32_e32 v129, v130, v129
	s_delay_alu instid0(VALU_DEP_1) | instskip(NEXT) | instid1(VALU_DEP_1)
	v_mov_b32_dpp v130, v129 row_shr:2 row_mask:0xf bank_mask:0xf
	v_cndmask_b32_e64 v130, 0, v130, s1
	s_delay_alu instid0(VALU_DEP_1) | instskip(NEXT) | instid1(VALU_DEP_1)
	v_add_nc_u32_e32 v129, v129, v130
	v_mov_b32_dpp v130, v129 row_shr:4 row_mask:0xf bank_mask:0xf
	s_delay_alu instid0(VALU_DEP_1) | instskip(NEXT) | instid1(VALU_DEP_1)
	v_cndmask_b32_e64 v130, 0, v130, s9
	v_add_nc_u32_e32 v129, v129, v130
	s_delay_alu instid0(VALU_DEP_1) | instskip(NEXT) | instid1(VALU_DEP_1)
	v_mov_b32_dpp v130, v129 row_shr:8 row_mask:0xf bank_mask:0xf
	v_cndmask_b32_e64 v130, 0, v130, s10
	s_delay_alu instid0(VALU_DEP_1) | instskip(SKIP_3) | instid1(VALU_DEP_1)
	v_add_nc_u32_e32 v129, v129, v130
	ds_swizzle_b32 v130, v129 offset:swizzle(BROADCAST,32,15)
	s_wait_dscnt 0x0
	v_cndmask_b32_e64 v130, v130, 0, s11
	v_add_nc_u32_e32 v129, v129, v130
	s_and_saveexec_b32 s15, s3
; %bb.265:                              ;   in Loop: Header=BB192_228 Depth=2
	ds_store_b32 v38, v129 offset:1024
; %bb.266:                              ;   in Loop: Header=BB192_228 Depth=2
	s_wait_alu 0xfffe
	s_or_b32 exec_lo, exec_lo, s15
	s_wait_loadcnt_dscnt 0x0
	s_barrier_signal -1
	s_barrier_wait -1
	global_inv scope:SCOPE_SE
	s_and_saveexec_b32 s15, s4
	s_cbranch_execz .LBB192_268
; %bb.267:                              ;   in Loop: Header=BB192_228 Depth=2
	v_add_nc_u32_e32 v130, v45, v46
	ds_load_b32 v131, v130 offset:1024
	s_wait_dscnt 0x0
	v_mov_b32_dpp v132, v131 row_shr:1 row_mask:0xf bank_mask:0xf
	s_delay_alu instid0(VALU_DEP_1) | instskip(NEXT) | instid1(VALU_DEP_1)
	v_cndmask_b32_e64 v132, v132, 0, s12
	v_add_nc_u32_e32 v131, v132, v131
	s_delay_alu instid0(VALU_DEP_1) | instskip(NEXT) | instid1(VALU_DEP_1)
	v_mov_b32_dpp v132, v131 row_shr:2 row_mask:0xf bank_mask:0xf
	v_cndmask_b32_e64 v132, 0, v132, s13
	s_delay_alu instid0(VALU_DEP_1) | instskip(NEXT) | instid1(VALU_DEP_1)
	v_add_nc_u32_e32 v131, v131, v132
	v_mov_b32_dpp v132, v131 row_shr:4 row_mask:0xf bank_mask:0xf
	s_delay_alu instid0(VALU_DEP_1) | instskip(NEXT) | instid1(VALU_DEP_1)
	v_cndmask_b32_e64 v132, 0, v132, s14
	v_add_nc_u32_e32 v131, v131, v132
	ds_store_b32 v130, v131 offset:1024
.LBB192_268:                            ;   in Loop: Header=BB192_228 Depth=2
	s_wait_alu 0xfffe
	s_or_b32 exec_lo, exec_lo, s15
	v_mov_b32_e32 v130, 0
	s_wait_loadcnt_dscnt 0x0
	s_barrier_signal -1
	s_barrier_wait -1
	global_inv scope:SCOPE_SE
	s_and_saveexec_b32 s15, s5
; %bb.269:                              ;   in Loop: Header=BB192_228 Depth=2
	ds_load_b32 v130, v38 offset:1020
; %bb.270:                              ;   in Loop: Header=BB192_228 Depth=2
	s_wait_alu 0xfffe
	s_or_b32 exec_lo, exec_lo, s15
	s_wait_dscnt 0x0
	v_add_nc_u32_e32 v129, v130, v129
	ds_bpermute_b32 v129, v80, v129
	s_wait_dscnt 0x0
	v_cndmask_b32_e64 v129, v129, v130, s8
	s_delay_alu instid0(VALU_DEP_1) | instskip(NEXT) | instid1(VALU_DEP_1)
	v_cndmask_b32_e64 v129, v129, 0, s6
	v_add_nc_u32_e32 v26, v129, v26
	s_delay_alu instid0(VALU_DEP_1) | instskip(NEXT) | instid1(VALU_DEP_1)
	v_add_nc_u32_e32 v27, v26, v27
	v_add_nc_u32_e32 v24, v27, v24
	s_delay_alu instid0(VALU_DEP_1) | instskip(NEXT) | instid1(VALU_DEP_1)
	v_add_nc_u32_e32 v25, v24, v25
	;; [unrolled: 3-line block ×3, first 2 shown]
	v_add_nc_u32_e32 v20, v23, v20
	s_delay_alu instid0(VALU_DEP_1)
	v_add_nc_u32_e32 v21, v20, v21
	ds_store_2addr_b32 v103, v23, v20 offset1:1
	ds_store_2addr_b32 v104, v129, v26 offset1:1
	;; [unrolled: 1-line block ×4, first 2 shown]
	ds_store_b32 v45, v21 offset:1088
	s_wait_loadcnt_dscnt 0x0
	s_barrier_signal -1
	s_barrier_wait -1
	global_inv scope:SCOPE_SE
	ds_load_b32 v20, v107 offset:1056
	ds_load_b32 v21, v110 offset:1056
	ds_load_b32 v23, v113 offset:1056
	ds_load_b32 v24, v116 offset:1056
	ds_load_b32 v25, v119 offset:1056
	ds_load_b32 v105, v122 offset:1056
	ds_load_b32 v106, v125 offset:1056
	ds_load_b32 v107, v128 offset:1056
	ds_load_b32 v26, v45 offset:1056
	v_mov_b32_e32 v22, 0x800
	s_and_saveexec_b32 s15, s7
; %bb.271:                              ;   in Loop: Header=BB192_228 Depth=2
	ds_load_b32 v22, v45 offset:1092
; %bb.272:                              ;   in Loop: Header=BB192_228 Depth=2
	s_wait_alu 0xfffe
	s_or_b32 exec_lo, exec_lo, s15
	s_wait_loadcnt_dscnt 0x0
	s_barrier_signal -1
	s_barrier_wait -1
	global_inv scope:SCOPE_SE
	s_and_saveexec_b32 s15, s2
	s_cbranch_execz .LBB192_274
; %bb.273:                              ;   in Loop: Header=BB192_228 Depth=2
	ds_load_b32 v27, v28
	s_wait_dscnt 0x0
	v_sub_nc_u32_e32 v26, v27, v26
	ds_store_b32 v28, v26
.LBB192_274:                            ;   in Loop: Header=BB192_228 Depth=2
	s_wait_alu 0xfffe
	s_or_b32 exec_lo, exec_lo, s15
	v_add_nc_u32_e32 v104, v20, v102
	v_add3_u32 v103, v109, v108, v21
	v_add3_u32 v102, v112, v111, v23
	;; [unrolled: 1-line block ×7, first 2 shown]
	v_cmp_lt_u32_e64 s21, v1, v2
	ds_store_b8 v104, v94 offset:1024
	ds_store_b8 v103, v95 offset:1024
	;; [unrolled: 1-line block ×8, first 2 shown]
	s_wait_loadcnt_dscnt 0x0
	s_barrier_signal -1
	s_barrier_wait -1
	global_inv scope:SCOPE_SE
	s_and_saveexec_b32 s15, s21
	s_cbranch_execnz .LBB192_311
; %bb.275:                              ;   in Loop: Header=BB192_228 Depth=2
	s_wait_alu 0xfffe
	s_or_b32 exec_lo, exec_lo, s15
	v_cmp_lt_u32_e64 s20, v29, v2
	s_and_saveexec_b32 s15, s20
	s_cbranch_execnz .LBB192_312
.LBB192_276:                            ;   in Loop: Header=BB192_228 Depth=2
	s_wait_alu 0xfffe
	s_or_b32 exec_lo, exec_lo, s15
	v_cmp_lt_u32_e64 s19, v30, v2
	s_and_saveexec_b32 s15, s19
	s_cbranch_execnz .LBB192_313
.LBB192_277:                            ;   in Loop: Header=BB192_228 Depth=2
	s_wait_alu 0xfffe
	s_or_b32 exec_lo, exec_lo, s15
	v_cmp_lt_u32_e64 s18, v31, v2
	s_and_saveexec_b32 s15, s18
	s_cbranch_execnz .LBB192_314
.LBB192_278:                            ;   in Loop: Header=BB192_228 Depth=2
	s_wait_alu 0xfffe
	s_or_b32 exec_lo, exec_lo, s15
	v_cmp_lt_u32_e64 s17, v34, v2
	s_and_saveexec_b32 s15, s17
	s_cbranch_execnz .LBB192_315
.LBB192_279:                            ;   in Loop: Header=BB192_228 Depth=2
	s_wait_alu 0xfffe
	s_or_b32 exec_lo, exec_lo, s15
	v_cmp_lt_u32_e64 s16, v35, v2
	s_and_saveexec_b32 s15, s16
	s_cbranch_execnz .LBB192_316
.LBB192_280:                            ;   in Loop: Header=BB192_228 Depth=2
	s_wait_alu 0xfffe
	s_or_b32 exec_lo, exec_lo, s15
	v_cmp_lt_u32_e64 s15, v36, v2
	s_and_saveexec_b32 s44, s15
	s_cbranch_execnz .LBB192_317
.LBB192_281:                            ;   in Loop: Header=BB192_228 Depth=2
	s_wait_alu 0xfffe
	s_or_b32 exec_lo, exec_lo, s44
	v_cmp_lt_u32_e32 vcc_lo, v37, v2
	s_and_saveexec_b32 s44, vcc_lo
	s_cbranch_execz .LBB192_283
.LBB192_282:                            ;   in Loop: Header=BB192_228 Depth=2
	ds_load_u8 v20, v1 offset:2816
	s_wait_dscnt 0x0
	v_and_b32_e32 v21, 0xff, v20
	s_delay_alu instid0(VALU_DEP_1) | instskip(NEXT) | instid1(VALU_DEP_1)
	v_lshrrev_b32_e32 v21, s30, v21
	v_and_b32_e32 v21, s31, v21
	s_delay_alu instid0(VALU_DEP_1)
	v_lshlrev_b32_e32 v21, 2, v21
	ds_load_b32 v21, v21
	s_wait_dscnt 0x0
	v_add_nc_u32_e32 v21, v21, v37
	global_store_b8 v21, v20, s[40:41]
.LBB192_283:                            ;   in Loop: Header=BB192_228 Depth=2
	s_wait_alu 0xfffe
	s_or_b32 exec_lo, exec_lo, s44
	s_lshl_b64 s[48:49], s[22:23], 3
	s_wait_alu 0xfffe
	v_add_co_u32 v20, s22, v81, s48
	s_wait_alu 0xf1ff
	v_add_co_ci_u32_e64 v21, null, s49, v82, s22
	v_cmp_lt_u32_e64 s22, v68, v2
	s_and_saveexec_b32 s44, s22
	s_wait_alu 0xfffe
	s_xor_b32 s22, exec_lo, s44
	s_cbranch_execnz .LBB192_318
; %bb.284:                              ;   in Loop: Header=BB192_228 Depth=2
	s_wait_alu 0xfffe
	s_or_b32 exec_lo, exec_lo, s22
	s_delay_alu instid0(SALU_CYCLE_1)
	s_mov_b32 s44, exec_lo
	v_cmpx_lt_u32_e64 v71, v2
	s_cbranch_execnz .LBB192_319
.LBB192_285:                            ;   in Loop: Header=BB192_228 Depth=2
	s_wait_alu 0xfffe
	s_or_b32 exec_lo, exec_lo, s44
	s_delay_alu instid0(SALU_CYCLE_1)
	s_mov_b32 s44, exec_lo
	v_cmpx_lt_u32_e64 v72, v2
	s_cbranch_execnz .LBB192_320
.LBB192_286:                            ;   in Loop: Header=BB192_228 Depth=2
	s_wait_alu 0xfffe
	s_or_b32 exec_lo, exec_lo, s44
	s_delay_alu instid0(SALU_CYCLE_1)
	s_mov_b32 s44, exec_lo
	v_cmpx_lt_u32_e64 v73, v2
	s_cbranch_execnz .LBB192_321
.LBB192_287:                            ;   in Loop: Header=BB192_228 Depth=2
	s_wait_alu 0xfffe
	s_or_b32 exec_lo, exec_lo, s44
	s_delay_alu instid0(SALU_CYCLE_1)
	s_mov_b32 s44, exec_lo
	v_cmpx_lt_u32_e64 v74, v2
	s_cbranch_execnz .LBB192_322
.LBB192_288:                            ;   in Loop: Header=BB192_228 Depth=2
	s_wait_alu 0xfffe
	s_or_b32 exec_lo, exec_lo, s44
	s_delay_alu instid0(SALU_CYCLE_1)
	s_mov_b32 s44, exec_lo
	v_cmpx_lt_u32_e64 v75, v2
	s_cbranch_execnz .LBB192_323
.LBB192_289:                            ;   in Loop: Header=BB192_228 Depth=2
	s_wait_alu 0xfffe
	s_or_b32 exec_lo, exec_lo, s44
	s_delay_alu instid0(SALU_CYCLE_1)
	s_mov_b32 s44, exec_lo
	v_cmpx_lt_u32_e64 v76, v2
	s_cbranch_execnz .LBB192_324
.LBB192_290:                            ;   in Loop: Header=BB192_228 Depth=2
	s_wait_alu 0xfffe
	s_or_b32 exec_lo, exec_lo, s44
	s_delay_alu instid0(SALU_CYCLE_1)
	s_mov_b32 s44, exec_lo
	v_cmpx_lt_u32_e64 v77, v2
	s_cbranch_execnz .LBB192_325
.LBB192_291:                            ;   in Loop: Header=BB192_228 Depth=2
	s_wait_alu 0xfffe
	s_or_b32 exec_lo, exec_lo, s44
	s_and_saveexec_b32 s22, s21
	s_cbranch_execnz .LBB192_326
.LBB192_292:                            ;   in Loop: Header=BB192_228 Depth=2
	s_wait_alu 0xfffe
	s_or_b32 exec_lo, exec_lo, s22
	s_and_saveexec_b32 s22, s20
	s_cbranch_execnz .LBB192_327
.LBB192_293:                            ;   in Loop: Header=BB192_228 Depth=2
	s_wait_alu 0xfffe
	s_or_b32 exec_lo, exec_lo, s22
	s_and_saveexec_b32 s22, s19
	s_cbranch_execnz .LBB192_328
.LBB192_294:                            ;   in Loop: Header=BB192_228 Depth=2
	s_wait_alu 0xfffe
	s_or_b32 exec_lo, exec_lo, s22
	s_and_saveexec_b32 s22, s18
	s_cbranch_execnz .LBB192_329
.LBB192_295:                            ;   in Loop: Header=BB192_228 Depth=2
	s_wait_alu 0xfffe
	s_or_b32 exec_lo, exec_lo, s22
	s_and_saveexec_b32 s22, s17
	s_cbranch_execnz .LBB192_330
.LBB192_296:                            ;   in Loop: Header=BB192_228 Depth=2
	s_wait_alu 0xfffe
	s_or_b32 exec_lo, exec_lo, s22
	s_and_saveexec_b32 s22, s16
	s_cbranch_execnz .LBB192_331
.LBB192_297:                            ;   in Loop: Header=BB192_228 Depth=2
	s_wait_alu 0xfffe
	s_or_b32 exec_lo, exec_lo, s22
	s_and_saveexec_b32 s22, s15
	s_cbranch_execnz .LBB192_332
.LBB192_298:                            ;   in Loop: Header=BB192_228 Depth=2
	s_wait_alu 0xfffe
	s_or_b32 exec_lo, exec_lo, s22
	s_and_saveexec_b32 s22, vcc_lo
	s_cbranch_execz .LBB192_300
.LBB192_299:                            ;   in Loop: Header=BB192_228 Depth=2
	ds_load_u8 v2, v1 offset:2816
	s_wait_dscnt 0x0
	v_lshrrev_b32_e32 v2, s30, v2
	s_delay_alu instid0(VALU_DEP_1)
	v_and_b32_e32 v86, s31, v2
.LBB192_300:                            ;   in Loop: Header=BB192_228 Depth=2
	s_wait_alu 0xfffe
	s_or_b32 exec_lo, exec_lo, s22
	v_lshlrev_b32_e32 v2, 3, v104
	v_lshlrev_b32_e32 v20, 3, v103
	;; [unrolled: 1-line block ×3, first 2 shown]
	s_wait_loadcnt 0x0
	s_wait_storecnt 0x0
	s_barrier_signal -1
	s_barrier_wait -1
	global_inv scope:SCOPE_SE
	ds_store_b64 v2, v[18:19] offset:1024
	ds_store_b64 v20, v[16:17] offset:1024
	;; [unrolled: 1-line block ×3, first 2 shown]
	v_lshlrev_b32_e32 v2, 3, v27
	v_lshlrev_b32_e32 v20, 3, v26
	;; [unrolled: 1-line block ×5, first 2 shown]
	ds_store_b64 v2, v[12:13] offset:1024
	ds_store_b64 v20, v[10:11] offset:1024
	;; [unrolled: 1-line block ×5, first 2 shown]
	s_wait_loadcnt_dscnt 0x0
	s_barrier_signal -1
	s_barrier_wait -1
	global_inv scope:SCOPE_SE
	s_and_saveexec_b32 s22, s21
	s_cbranch_execnz .LBB192_333
; %bb.301:                              ;   in Loop: Header=BB192_228 Depth=2
	s_wait_alu 0xfffe
	s_or_b32 exec_lo, exec_lo, s22
	s_and_saveexec_b32 s21, s20
	s_cbranch_execnz .LBB192_334
.LBB192_302:                            ;   in Loop: Header=BB192_228 Depth=2
	s_wait_alu 0xfffe
	s_or_b32 exec_lo, exec_lo, s21
	s_and_saveexec_b32 s20, s19
	s_cbranch_execnz .LBB192_335
.LBB192_303:                            ;   in Loop: Header=BB192_228 Depth=2
	s_wait_alu 0xfffe
	s_or_b32 exec_lo, exec_lo, s20
	s_and_saveexec_b32 s19, s18
	s_cbranch_execnz .LBB192_336
.LBB192_304:                            ;   in Loop: Header=BB192_228 Depth=2
	s_wait_alu 0xfffe
	s_or_b32 exec_lo, exec_lo, s19
	s_and_saveexec_b32 s18, s17
	s_cbranch_execnz .LBB192_337
.LBB192_305:                            ;   in Loop: Header=BB192_228 Depth=2
	s_wait_alu 0xfffe
	s_or_b32 exec_lo, exec_lo, s18
	s_and_saveexec_b32 s17, s16
	s_cbranch_execnz .LBB192_338
.LBB192_306:                            ;   in Loop: Header=BB192_228 Depth=2
	s_wait_alu 0xfffe
	s_or_b32 exec_lo, exec_lo, s17
	s_and_saveexec_b32 s16, s15
	s_cbranch_execnz .LBB192_339
.LBB192_307:                            ;   in Loop: Header=BB192_228 Depth=2
	s_wait_alu 0xfffe
	s_or_b32 exec_lo, exec_lo, s16
	s_and_saveexec_b32 s15, vcc_lo
	s_cbranch_execz .LBB192_309
.LBB192_308:                            ;   in Loop: Header=BB192_228 Depth=2
	v_lshlrev_b32_e32 v2, 2, v86
	v_add_nc_u32_e32 v20, v1, v47
	ds_load_b32 v2, v2
	ds_load_b64 v[20:21], v20 offset:15360
	s_wait_dscnt 0x1
	v_add_nc_u32_e32 v2, v2, v37
	s_delay_alu instid0(VALU_DEP_1) | instskip(NEXT) | instid1(VALU_DEP_1)
	v_lshlrev_b64_e32 v[23:24], 3, v[2:3]
	v_add_co_u32 v23, vcc_lo, s26, v23
	s_wait_alu 0xfffd
	s_delay_alu instid0(VALU_DEP_2)
	v_add_co_ci_u32_e64 v24, null, s27, v24, vcc_lo
	s_wait_dscnt 0x0
	global_store_b64 v[23:24], v[20:21], off
.LBB192_309:                            ;   in Loop: Header=BB192_228 Depth=2
	s_wait_alu 0xfffe
	s_or_b32 exec_lo, exec_lo, s15
	s_wait_loadcnt 0x0
	s_wait_storecnt 0x0
	s_barrier_signal -1
	s_barrier_wait -1
	global_inv scope:SCOPE_SE
	s_and_saveexec_b32 s15, s2
	s_cbranch_execz .LBB192_227
; %bb.310:                              ;   in Loop: Header=BB192_228 Depth=2
	ds_load_b32 v2, v28
	s_wait_dscnt 0x0
	v_add_nc_u32_e32 v2, v2, v22
	ds_store_b32 v28, v2
	s_branch .LBB192_227
.LBB192_311:                            ;   in Loop: Header=BB192_228 Depth=2
	ds_load_u8 v20, v1 offset:1024
	s_wait_dscnt 0x0
	v_and_b32_e32 v21, 0xff, v20
	s_delay_alu instid0(VALU_DEP_1) | instskip(NEXT) | instid1(VALU_DEP_1)
	v_lshrrev_b32_e32 v21, s30, v21
	v_and_b32_e32 v21, s31, v21
	s_delay_alu instid0(VALU_DEP_1)
	v_lshlrev_b32_e32 v21, 2, v21
	ds_load_b32 v21, v21
	s_wait_dscnt 0x0
	v_add_nc_u32_e32 v21, v21, v1
	global_store_b8 v21, v20, s[40:41]
	s_wait_alu 0xfffe
	s_or_b32 exec_lo, exec_lo, s15
	v_cmp_lt_u32_e64 s20, v29, v2
	s_and_saveexec_b32 s15, s20
	s_cbranch_execz .LBB192_276
.LBB192_312:                            ;   in Loop: Header=BB192_228 Depth=2
	ds_load_u8 v20, v1 offset:1280
	s_wait_dscnt 0x0
	v_and_b32_e32 v21, 0xff, v20
	s_delay_alu instid0(VALU_DEP_1) | instskip(NEXT) | instid1(VALU_DEP_1)
	v_lshrrev_b32_e32 v21, s30, v21
	v_and_b32_e32 v21, s31, v21
	s_delay_alu instid0(VALU_DEP_1)
	v_lshlrev_b32_e32 v21, 2, v21
	ds_load_b32 v21, v21
	s_wait_dscnt 0x0
	v_add_nc_u32_e32 v21, v21, v29
	global_store_b8 v21, v20, s[40:41]
	s_wait_alu 0xfffe
	s_or_b32 exec_lo, exec_lo, s15
	v_cmp_lt_u32_e64 s19, v30, v2
	s_and_saveexec_b32 s15, s19
	s_cbranch_execz .LBB192_277
.LBB192_313:                            ;   in Loop: Header=BB192_228 Depth=2
	ds_load_u8 v20, v1 offset:1536
	s_wait_dscnt 0x0
	v_and_b32_e32 v21, 0xff, v20
	s_delay_alu instid0(VALU_DEP_1) | instskip(NEXT) | instid1(VALU_DEP_1)
	v_lshrrev_b32_e32 v21, s30, v21
	v_and_b32_e32 v21, s31, v21
	s_delay_alu instid0(VALU_DEP_1)
	v_lshlrev_b32_e32 v21, 2, v21
	ds_load_b32 v21, v21
	s_wait_dscnt 0x0
	v_add_nc_u32_e32 v21, v21, v30
	global_store_b8 v21, v20, s[40:41]
	s_wait_alu 0xfffe
	s_or_b32 exec_lo, exec_lo, s15
	v_cmp_lt_u32_e64 s18, v31, v2
	s_and_saveexec_b32 s15, s18
	s_cbranch_execz .LBB192_278
.LBB192_314:                            ;   in Loop: Header=BB192_228 Depth=2
	ds_load_u8 v20, v1 offset:1792
	s_wait_dscnt 0x0
	v_and_b32_e32 v21, 0xff, v20
	s_delay_alu instid0(VALU_DEP_1) | instskip(NEXT) | instid1(VALU_DEP_1)
	v_lshrrev_b32_e32 v21, s30, v21
	v_and_b32_e32 v21, s31, v21
	s_delay_alu instid0(VALU_DEP_1)
	v_lshlrev_b32_e32 v21, 2, v21
	ds_load_b32 v21, v21
	s_wait_dscnt 0x0
	v_add_nc_u32_e32 v21, v21, v31
	global_store_b8 v21, v20, s[40:41]
	s_wait_alu 0xfffe
	s_or_b32 exec_lo, exec_lo, s15
	v_cmp_lt_u32_e64 s17, v34, v2
	s_and_saveexec_b32 s15, s17
	s_cbranch_execz .LBB192_279
.LBB192_315:                            ;   in Loop: Header=BB192_228 Depth=2
	ds_load_u8 v20, v1 offset:2048
	s_wait_dscnt 0x0
	v_and_b32_e32 v21, 0xff, v20
	s_delay_alu instid0(VALU_DEP_1) | instskip(NEXT) | instid1(VALU_DEP_1)
	v_lshrrev_b32_e32 v21, s30, v21
	v_and_b32_e32 v21, s31, v21
	s_delay_alu instid0(VALU_DEP_1)
	v_lshlrev_b32_e32 v21, 2, v21
	ds_load_b32 v21, v21
	s_wait_dscnt 0x0
	v_add_nc_u32_e32 v21, v21, v34
	global_store_b8 v21, v20, s[40:41]
	s_wait_alu 0xfffe
	s_or_b32 exec_lo, exec_lo, s15
	v_cmp_lt_u32_e64 s16, v35, v2
	s_and_saveexec_b32 s15, s16
	s_cbranch_execz .LBB192_280
.LBB192_316:                            ;   in Loop: Header=BB192_228 Depth=2
	ds_load_u8 v20, v1 offset:2304
	s_wait_dscnt 0x0
	v_and_b32_e32 v21, 0xff, v20
	s_delay_alu instid0(VALU_DEP_1) | instskip(NEXT) | instid1(VALU_DEP_1)
	v_lshrrev_b32_e32 v21, s30, v21
	v_and_b32_e32 v21, s31, v21
	s_delay_alu instid0(VALU_DEP_1)
	v_lshlrev_b32_e32 v21, 2, v21
	ds_load_b32 v21, v21
	s_wait_dscnt 0x0
	v_add_nc_u32_e32 v21, v21, v35
	global_store_b8 v21, v20, s[40:41]
	s_wait_alu 0xfffe
	s_or_b32 exec_lo, exec_lo, s15
	v_cmp_lt_u32_e64 s15, v36, v2
	s_and_saveexec_b32 s44, s15
	s_cbranch_execz .LBB192_281
.LBB192_317:                            ;   in Loop: Header=BB192_228 Depth=2
	ds_load_u8 v20, v1 offset:2560
	s_wait_dscnt 0x0
	v_and_b32_e32 v21, 0xff, v20
	s_delay_alu instid0(VALU_DEP_1) | instskip(NEXT) | instid1(VALU_DEP_1)
	v_lshrrev_b32_e32 v21, s30, v21
	v_and_b32_e32 v21, s31, v21
	s_delay_alu instid0(VALU_DEP_1)
	v_lshlrev_b32_e32 v21, 2, v21
	ds_load_b32 v21, v21
	s_wait_dscnt 0x0
	v_add_nc_u32_e32 v21, v21, v36
	global_store_b8 v21, v20, s[40:41]
	s_wait_alu 0xfffe
	s_or_b32 exec_lo, exec_lo, s44
	v_cmp_lt_u32_e32 vcc_lo, v37, v2
	s_and_saveexec_b32 s44, vcc_lo
	s_cbranch_execnz .LBB192_282
	s_branch .LBB192_283
.LBB192_318:                            ;   in Loop: Header=BB192_228 Depth=2
	global_load_b64 v[18:19], v[20:21], off
	s_wait_alu 0xfffe
	s_or_b32 exec_lo, exec_lo, s22
	s_delay_alu instid0(SALU_CYCLE_1)
	s_mov_b32 s44, exec_lo
	v_cmpx_lt_u32_e64 v71, v2
	s_cbranch_execz .LBB192_285
.LBB192_319:                            ;   in Loop: Header=BB192_228 Depth=2
	global_load_b64 v[16:17], v[20:21], off offset:256
	s_wait_alu 0xfffe
	s_or_b32 exec_lo, exec_lo, s44
	s_delay_alu instid0(SALU_CYCLE_1)
	s_mov_b32 s44, exec_lo
	v_cmpx_lt_u32_e64 v72, v2
	s_cbranch_execz .LBB192_286
.LBB192_320:                            ;   in Loop: Header=BB192_228 Depth=2
	global_load_b64 v[14:15], v[20:21], off offset:512
	s_wait_alu 0xfffe
	s_or_b32 exec_lo, exec_lo, s44
	s_delay_alu instid0(SALU_CYCLE_1)
	s_mov_b32 s44, exec_lo
	v_cmpx_lt_u32_e64 v73, v2
	s_cbranch_execz .LBB192_287
.LBB192_321:                            ;   in Loop: Header=BB192_228 Depth=2
	global_load_b64 v[12:13], v[20:21], off offset:768
	s_wait_alu 0xfffe
	s_or_b32 exec_lo, exec_lo, s44
	s_delay_alu instid0(SALU_CYCLE_1)
	s_mov_b32 s44, exec_lo
	v_cmpx_lt_u32_e64 v74, v2
	s_cbranch_execz .LBB192_288
.LBB192_322:                            ;   in Loop: Header=BB192_228 Depth=2
	global_load_b64 v[10:11], v[20:21], off offset:1024
	s_wait_alu 0xfffe
	s_or_b32 exec_lo, exec_lo, s44
	s_delay_alu instid0(SALU_CYCLE_1)
	s_mov_b32 s44, exec_lo
	v_cmpx_lt_u32_e64 v75, v2
	s_cbranch_execz .LBB192_289
.LBB192_323:                            ;   in Loop: Header=BB192_228 Depth=2
	global_load_b64 v[8:9], v[20:21], off offset:1280
	s_wait_alu 0xfffe
	s_or_b32 exec_lo, exec_lo, s44
	s_delay_alu instid0(SALU_CYCLE_1)
	s_mov_b32 s44, exec_lo
	v_cmpx_lt_u32_e64 v76, v2
	s_cbranch_execz .LBB192_290
.LBB192_324:                            ;   in Loop: Header=BB192_228 Depth=2
	global_load_b64 v[6:7], v[20:21], off offset:1536
	s_wait_alu 0xfffe
	s_or_b32 exec_lo, exec_lo, s44
	s_delay_alu instid0(SALU_CYCLE_1)
	s_mov_b32 s44, exec_lo
	v_cmpx_lt_u32_e64 v77, v2
	s_cbranch_execz .LBB192_291
.LBB192_325:                            ;   in Loop: Header=BB192_228 Depth=2
	global_load_b64 v[4:5], v[20:21], off offset:1792
	s_wait_alu 0xfffe
	s_or_b32 exec_lo, exec_lo, s44
	s_and_saveexec_b32 s22, s21
	s_cbranch_execz .LBB192_292
.LBB192_326:                            ;   in Loop: Header=BB192_228 Depth=2
	ds_load_u8 v2, v1 offset:1024
	s_wait_dscnt 0x0
	v_lshrrev_b32_e32 v2, s30, v2
	s_delay_alu instid0(VALU_DEP_1)
	v_and_b32_e32 v93, s31, v2
	s_wait_alu 0xfffe
	s_or_b32 exec_lo, exec_lo, s22
	s_and_saveexec_b32 s22, s20
	s_cbranch_execz .LBB192_293
.LBB192_327:                            ;   in Loop: Header=BB192_228 Depth=2
	ds_load_u8 v2, v1 offset:1280
	s_wait_dscnt 0x0
	v_lshrrev_b32_e32 v2, s30, v2
	s_delay_alu instid0(VALU_DEP_1)
	v_and_b32_e32 v92, s31, v2
	s_wait_alu 0xfffe
	s_or_b32 exec_lo, exec_lo, s22
	s_and_saveexec_b32 s22, s19
	s_cbranch_execz .LBB192_294
.LBB192_328:                            ;   in Loop: Header=BB192_228 Depth=2
	ds_load_u8 v2, v1 offset:1536
	s_wait_dscnt 0x0
	v_lshrrev_b32_e32 v2, s30, v2
	s_delay_alu instid0(VALU_DEP_1)
	v_and_b32_e32 v91, s31, v2
	s_wait_alu 0xfffe
	s_or_b32 exec_lo, exec_lo, s22
	s_and_saveexec_b32 s22, s18
	s_cbranch_execz .LBB192_295
.LBB192_329:                            ;   in Loop: Header=BB192_228 Depth=2
	ds_load_u8 v2, v1 offset:1792
	s_wait_dscnt 0x0
	v_lshrrev_b32_e32 v2, s30, v2
	s_delay_alu instid0(VALU_DEP_1)
	v_and_b32_e32 v90, s31, v2
	s_wait_alu 0xfffe
	s_or_b32 exec_lo, exec_lo, s22
	s_and_saveexec_b32 s22, s17
	s_cbranch_execz .LBB192_296
.LBB192_330:                            ;   in Loop: Header=BB192_228 Depth=2
	ds_load_u8 v2, v1 offset:2048
	s_wait_dscnt 0x0
	v_lshrrev_b32_e32 v2, s30, v2
	s_delay_alu instid0(VALU_DEP_1)
	v_and_b32_e32 v89, s31, v2
	s_wait_alu 0xfffe
	s_or_b32 exec_lo, exec_lo, s22
	s_and_saveexec_b32 s22, s16
	s_cbranch_execz .LBB192_297
.LBB192_331:                            ;   in Loop: Header=BB192_228 Depth=2
	ds_load_u8 v2, v1 offset:2304
	s_wait_dscnt 0x0
	v_lshrrev_b32_e32 v2, s30, v2
	s_delay_alu instid0(VALU_DEP_1)
	v_and_b32_e32 v88, s31, v2
	s_wait_alu 0xfffe
	s_or_b32 exec_lo, exec_lo, s22
	s_and_saveexec_b32 s22, s15
	s_cbranch_execz .LBB192_298
.LBB192_332:                            ;   in Loop: Header=BB192_228 Depth=2
	ds_load_u8 v2, v1 offset:2560
	s_wait_dscnt 0x0
	v_lshrrev_b32_e32 v2, s30, v2
	s_delay_alu instid0(VALU_DEP_1)
	v_and_b32_e32 v87, s31, v2
	s_wait_alu 0xfffe
	s_or_b32 exec_lo, exec_lo, s22
	s_and_saveexec_b32 s22, vcc_lo
	s_cbranch_execnz .LBB192_299
	s_branch .LBB192_300
.LBB192_333:                            ;   in Loop: Header=BB192_228 Depth=2
	v_lshlrev_b32_e32 v2, 2, v93
	v_add_nc_u32_e32 v20, v1, v47
	ds_load_b32 v2, v2
	ds_load_b64 v[20:21], v20 offset:1024
	s_wait_dscnt 0x1
	v_add_nc_u32_e32 v2, v2, v1
	s_delay_alu instid0(VALU_DEP_1) | instskip(NEXT) | instid1(VALU_DEP_1)
	v_lshlrev_b64_e32 v[23:24], 3, v[2:3]
	v_add_co_u32 v23, s21, s26, v23
	s_wait_alu 0xf1ff
	s_delay_alu instid0(VALU_DEP_2)
	v_add_co_ci_u32_e64 v24, null, s27, v24, s21
	s_wait_dscnt 0x0
	global_store_b64 v[23:24], v[20:21], off
	s_wait_alu 0xfffe
	s_or_b32 exec_lo, exec_lo, s22
	s_and_saveexec_b32 s21, s20
	s_cbranch_execz .LBB192_302
.LBB192_334:                            ;   in Loop: Header=BB192_228 Depth=2
	v_lshlrev_b32_e32 v2, 2, v92
	v_add_nc_u32_e32 v20, v1, v47
	ds_load_b32 v2, v2
	ds_load_b64 v[20:21], v20 offset:3072
	s_wait_dscnt 0x1
	v_add_nc_u32_e32 v2, v2, v29
	s_delay_alu instid0(VALU_DEP_1) | instskip(NEXT) | instid1(VALU_DEP_1)
	v_lshlrev_b64_e32 v[23:24], 3, v[2:3]
	v_add_co_u32 v23, s20, s26, v23
	s_wait_alu 0xf1ff
	s_delay_alu instid0(VALU_DEP_2)
	v_add_co_ci_u32_e64 v24, null, s27, v24, s20
	s_wait_dscnt 0x0
	global_store_b64 v[23:24], v[20:21], off
	s_wait_alu 0xfffe
	s_or_b32 exec_lo, exec_lo, s21
	s_and_saveexec_b32 s20, s19
	s_cbranch_execz .LBB192_303
.LBB192_335:                            ;   in Loop: Header=BB192_228 Depth=2
	v_lshlrev_b32_e32 v2, 2, v91
	v_add_nc_u32_e32 v20, v1, v47
	ds_load_b32 v2, v2
	ds_load_b64 v[20:21], v20 offset:5120
	s_wait_dscnt 0x1
	v_add_nc_u32_e32 v2, v2, v30
	s_delay_alu instid0(VALU_DEP_1) | instskip(NEXT) | instid1(VALU_DEP_1)
	v_lshlrev_b64_e32 v[23:24], 3, v[2:3]
	v_add_co_u32 v23, s19, s26, v23
	s_wait_alu 0xf1ff
	s_delay_alu instid0(VALU_DEP_2)
	v_add_co_ci_u32_e64 v24, null, s27, v24, s19
	s_wait_dscnt 0x0
	global_store_b64 v[23:24], v[20:21], off
	s_wait_alu 0xfffe
	s_or_b32 exec_lo, exec_lo, s20
	s_and_saveexec_b32 s19, s18
	s_cbranch_execz .LBB192_304
.LBB192_336:                            ;   in Loop: Header=BB192_228 Depth=2
	v_lshlrev_b32_e32 v2, 2, v90
	v_add_nc_u32_e32 v20, v1, v47
	ds_load_b32 v2, v2
	ds_load_b64 v[20:21], v20 offset:7168
	s_wait_dscnt 0x1
	v_add_nc_u32_e32 v2, v2, v31
	s_delay_alu instid0(VALU_DEP_1) | instskip(NEXT) | instid1(VALU_DEP_1)
	v_lshlrev_b64_e32 v[23:24], 3, v[2:3]
	v_add_co_u32 v23, s18, s26, v23
	s_wait_alu 0xf1ff
	s_delay_alu instid0(VALU_DEP_2)
	v_add_co_ci_u32_e64 v24, null, s27, v24, s18
	s_wait_dscnt 0x0
	global_store_b64 v[23:24], v[20:21], off
	s_wait_alu 0xfffe
	s_or_b32 exec_lo, exec_lo, s19
	s_and_saveexec_b32 s18, s17
	s_cbranch_execz .LBB192_305
.LBB192_337:                            ;   in Loop: Header=BB192_228 Depth=2
	v_lshlrev_b32_e32 v2, 2, v89
	v_add_nc_u32_e32 v20, v1, v47
	ds_load_b32 v2, v2
	ds_load_b64 v[20:21], v20 offset:9216
	s_wait_dscnt 0x1
	v_add_nc_u32_e32 v2, v2, v34
	s_delay_alu instid0(VALU_DEP_1) | instskip(NEXT) | instid1(VALU_DEP_1)
	v_lshlrev_b64_e32 v[23:24], 3, v[2:3]
	v_add_co_u32 v23, s17, s26, v23
	s_wait_alu 0xf1ff
	s_delay_alu instid0(VALU_DEP_2)
	v_add_co_ci_u32_e64 v24, null, s27, v24, s17
	s_wait_dscnt 0x0
	global_store_b64 v[23:24], v[20:21], off
	s_wait_alu 0xfffe
	s_or_b32 exec_lo, exec_lo, s18
	s_and_saveexec_b32 s17, s16
	s_cbranch_execz .LBB192_306
.LBB192_338:                            ;   in Loop: Header=BB192_228 Depth=2
	v_lshlrev_b32_e32 v2, 2, v88
	v_add_nc_u32_e32 v20, v1, v47
	ds_load_b32 v2, v2
	ds_load_b64 v[20:21], v20 offset:11264
	s_wait_dscnt 0x1
	v_add_nc_u32_e32 v2, v2, v35
	s_delay_alu instid0(VALU_DEP_1) | instskip(NEXT) | instid1(VALU_DEP_1)
	v_lshlrev_b64_e32 v[23:24], 3, v[2:3]
	v_add_co_u32 v23, s16, s26, v23
	s_wait_alu 0xf1ff
	s_delay_alu instid0(VALU_DEP_2)
	v_add_co_ci_u32_e64 v24, null, s27, v24, s16
	s_wait_dscnt 0x0
	global_store_b64 v[23:24], v[20:21], off
	s_wait_alu 0xfffe
	s_or_b32 exec_lo, exec_lo, s17
	s_and_saveexec_b32 s16, s15
	s_cbranch_execz .LBB192_307
.LBB192_339:                            ;   in Loop: Header=BB192_228 Depth=2
	v_lshlrev_b32_e32 v2, 2, v87
	v_add_nc_u32_e32 v20, v1, v47
	ds_load_b32 v2, v2
	ds_load_b64 v[20:21], v20 offset:13312
	s_wait_dscnt 0x1
	v_add_nc_u32_e32 v2, v2, v36
	s_delay_alu instid0(VALU_DEP_1) | instskip(NEXT) | instid1(VALU_DEP_1)
	v_lshlrev_b64_e32 v[23:24], 3, v[2:3]
	v_add_co_u32 v23, s15, s26, v23
	s_wait_alu 0xf1ff
	s_delay_alu instid0(VALU_DEP_2)
	v_add_co_ci_u32_e64 v24, null, s27, v24, s15
	s_wait_dscnt 0x0
	global_store_b64 v[23:24], v[20:21], off
	s_wait_alu 0xfffe
	s_or_b32 exec_lo, exec_lo, s16
	s_and_saveexec_b32 s15, vcc_lo
	s_cbranch_execnz .LBB192_308
	s_branch .LBB192_309
.LBB192_340:                            ;   in Loop: Header=BB192_12 Depth=1
	s_wait_loadcnt_dscnt 0x0
	s_barrier_signal -1
	s_barrier_wait -1
.LBB192_341:                            ;   in Loop: Header=BB192_12 Depth=1
	s_mov_b32 s0, 0
.LBB192_342:                            ;   in Loop: Header=BB192_12 Depth=1
	s_wait_alu 0xfffe
	s_and_not1_b32 vcc_lo, exec_lo, s0
	s_wait_alu 0xfffe
	s_cbranch_vccnz .LBB192_11
; %bb.343:                              ;   in Loop: Header=BB192_12 Depth=1
	s_and_b32 vcc_lo, exec_lo, s35
	s_mov_b32 s0, -1
	s_wait_alu 0xfffe
	s_cbranch_vccz .LBB192_507
; %bb.344:                              ;   in Loop: Header=BB192_12 Depth=1
	v_dual_mov_b32 v7, 0 :: v_dual_mov_b32 v10, 0
	v_dual_mov_b32 v9, 0 :: v_dual_mov_b32 v8, 0
	;; [unrolled: 1-line block ×3, first 2 shown]
	v_mov_b32_e32 v4, 0
	v_mov_b32_e32 v2, 0
	s_mov_b32 s9, s47
	s_mov_b32 s22, s33
	s_barrier_signal -1
	s_barrier_wait -1
	global_inv scope:SCOPE_SE
	s_branch .LBB192_346
.LBB192_345:                            ;   in Loop: Header=BB192_346 Depth=2
	s_wait_alu 0xfffe
	s_or_b32 exec_lo, exec_lo, s0
	s_addk_co_i32 s9, 0xf800
	s_cmp_ge_u32 s10, s34
	s_mov_b32 s22, s10
	s_cbranch_scc1 .LBB192_382
.LBB192_346:                            ;   Parent Loop BB192_12 Depth=1
                                        ; =>  This Inner Loop Header: Depth=2
	s_wait_alu 0xfffe
	s_add_co_i32 s10, s22, 0x800
	s_mov_b32 s0, -1
	s_wait_alu 0xfffe
	s_cmp_gt_u32 s10, s34
                                        ; implicit-def: $vgpr11
                                        ; implicit-def: $vgpr12
                                        ; implicit-def: $vgpr13
                                        ; implicit-def: $vgpr14
                                        ; implicit-def: $vgpr15
                                        ; implicit-def: $vgpr16
                                        ; implicit-def: $vgpr17
                                        ; implicit-def: $vgpr18
	s_cbranch_scc1 .LBB192_348
; %bb.347:                              ;   in Loop: Header=BB192_346 Depth=2
	v_add_co_u32 v19, vcc_lo, v54, s22
	s_wait_alu 0xfffd
	v_add_co_ci_u32_e64 v20, null, 0, v55, vcc_lo
	s_mov_b32 s0, 0
	s_clause 0x7
	global_load_u8 v18, v[19:20], off offset:1792
	global_load_u8 v17, v[19:20], off offset:1536
	;; [unrolled: 1-line block ×7, first 2 shown]
	global_load_u8 v11, v[19:20], off
.LBB192_348:                            ;   in Loop: Header=BB192_346 Depth=2
	s_wait_alu 0xfffe
	s_and_not1_b32 vcc_lo, exec_lo, s0
	s_movk_i32 s0, 0x800
	s_wait_alu 0xfffe
	s_cbranch_vccnz .LBB192_359
; %bb.349:                              ;   in Loop: Header=BB192_346 Depth=2
	s_add_nc_u64 s[0:1], s[36:37], s[22:23]
	s_mov_b32 s11, exec_lo
	v_cmpx_gt_u32_e64 s9, v1
	s_cbranch_execnz .LBB192_375
; %bb.350:                              ;   in Loop: Header=BB192_346 Depth=2
	s_wait_alu 0xfffe
	s_or_b32 exec_lo, exec_lo, s11
	s_delay_alu instid0(SALU_CYCLE_1)
	s_mov_b32 s11, exec_lo
	v_cmpx_gt_u32_e64 s9, v29
	s_cbranch_execnz .LBB192_376
.LBB192_351:                            ;   in Loop: Header=BB192_346 Depth=2
	s_wait_alu 0xfffe
	s_or_b32 exec_lo, exec_lo, s11
	s_delay_alu instid0(SALU_CYCLE_1)
	s_mov_b32 s11, exec_lo
	v_cmpx_gt_u32_e64 s9, v30
	s_cbranch_execnz .LBB192_377
.LBB192_352:                            ;   in Loop: Header=BB192_346 Depth=2
	s_wait_alu 0xfffe
	s_or_b32 exec_lo, exec_lo, s11
	s_delay_alu instid0(SALU_CYCLE_1)
	s_mov_b32 s11, exec_lo
	v_cmpx_gt_u32_e64 s9, v31
	s_cbranch_execnz .LBB192_378
.LBB192_353:                            ;   in Loop: Header=BB192_346 Depth=2
	s_wait_alu 0xfffe
	s_or_b32 exec_lo, exec_lo, s11
	s_delay_alu instid0(SALU_CYCLE_1)
	s_mov_b32 s11, exec_lo
	v_cmpx_gt_u32_e64 s9, v34
	s_cbranch_execnz .LBB192_379
.LBB192_354:                            ;   in Loop: Header=BB192_346 Depth=2
	s_wait_alu 0xfffe
	s_or_b32 exec_lo, exec_lo, s11
	s_delay_alu instid0(SALU_CYCLE_1)
	s_mov_b32 s11, exec_lo
	v_cmpx_gt_u32_e64 s9, v35
	s_cbranch_execnz .LBB192_380
.LBB192_355:                            ;   in Loop: Header=BB192_346 Depth=2
	s_wait_alu 0xfffe
	s_or_b32 exec_lo, exec_lo, s11
	s_delay_alu instid0(SALU_CYCLE_1)
	s_mov_b32 s11, exec_lo
	v_cmpx_gt_u32_e64 s9, v36
	s_cbranch_execnz .LBB192_381
.LBB192_356:                            ;   in Loop: Header=BB192_346 Depth=2
	s_wait_alu 0xfffe
	s_or_b32 exec_lo, exec_lo, s11
	s_delay_alu instid0(SALU_CYCLE_1)
	s_mov_b32 s11, exec_lo
	v_cmpx_gt_u32_e64 s9, v37
	s_cbranch_execz .LBB192_358
.LBB192_357:                            ;   in Loop: Header=BB192_346 Depth=2
	s_wait_loadcnt 0x0
	v_add_co_u32 v11, s0, s0, v1
	s_wait_alu 0xf1ff
	v_add_co_ci_u32_e64 v12, null, s1, 0, s0
	global_load_u8 v2, v[11:12], off offset:1792
.LBB192_358:                            ;   in Loop: Header=BB192_346 Depth=2
	s_wait_alu 0xfffe
	s_or_b32 exec_lo, exec_lo, s11
	s_wait_loadcnt 0x0
	v_dual_mov_b32 v11, v7 :: v_dual_mov_b32 v12, v10
	v_dual_mov_b32 v13, v9 :: v_dual_mov_b32 v14, v8
	;; [unrolled: 1-line block ×4, first 2 shown]
	s_mov_b32 s0, s9
.LBB192_359:                            ;   in Loop: Header=BB192_346 Depth=2
	s_wait_loadcnt 0x5
	s_delay_alu instid0(VALU_DEP_1)
	v_dual_mov_b32 v2, v18 :: v_dual_mov_b32 v5, v16
	s_wait_loadcnt 0x2
	v_dual_mov_b32 v4, v17 :: v_dual_mov_b32 v9, v13
	s_wait_loadcnt 0x0
	v_dual_mov_b32 v6, v15 :: v_dual_mov_b32 v7, v11
	v_mov_b32_e32 v8, v14
	v_mov_b32_e32 v10, v12
	s_mov_b32 s1, exec_lo
	s_wait_alu 0xfffe
	v_cmpx_gt_u32_e64 s0, v1
	s_cbranch_execnz .LBB192_367
; %bb.360:                              ;   in Loop: Header=BB192_346 Depth=2
	s_or_b32 exec_lo, exec_lo, s1
	s_delay_alu instid0(SALU_CYCLE_1)
	s_mov_b32 s1, exec_lo
	v_cmpx_gt_u32_e64 s0, v29
	s_cbranch_execnz .LBB192_368
.LBB192_361:                            ;   in Loop: Header=BB192_346 Depth=2
	s_wait_alu 0xfffe
	s_or_b32 exec_lo, exec_lo, s1
	s_delay_alu instid0(SALU_CYCLE_1)
	s_mov_b32 s1, exec_lo
	v_cmpx_gt_u32_e64 s0, v30
	s_cbranch_execnz .LBB192_369
.LBB192_362:                            ;   in Loop: Header=BB192_346 Depth=2
	s_wait_alu 0xfffe
	s_or_b32 exec_lo, exec_lo, s1
	s_delay_alu instid0(SALU_CYCLE_1)
	s_mov_b32 s1, exec_lo
	v_cmpx_gt_u32_e64 s0, v31
	s_cbranch_execnz .LBB192_370
.LBB192_363:                            ;   in Loop: Header=BB192_346 Depth=2
	s_wait_alu 0xfffe
	s_or_b32 exec_lo, exec_lo, s1
	s_delay_alu instid0(SALU_CYCLE_1)
	s_mov_b32 s1, exec_lo
	v_cmpx_gt_u32_e64 s0, v34
	s_cbranch_execnz .LBB192_371
.LBB192_364:                            ;   in Loop: Header=BB192_346 Depth=2
	s_wait_alu 0xfffe
	s_or_b32 exec_lo, exec_lo, s1
	s_delay_alu instid0(SALU_CYCLE_1)
	s_mov_b32 s1, exec_lo
	v_cmpx_gt_u32_e64 s0, v35
	s_cbranch_execnz .LBB192_372
.LBB192_365:                            ;   in Loop: Header=BB192_346 Depth=2
	s_wait_alu 0xfffe
	s_or_b32 exec_lo, exec_lo, s1
	s_delay_alu instid0(SALU_CYCLE_1)
	s_mov_b32 s1, exec_lo
	v_cmpx_gt_u32_e64 s0, v36
	s_cbranch_execnz .LBB192_373
.LBB192_366:                            ;   in Loop: Header=BB192_346 Depth=2
	s_wait_alu 0xfffe
	s_or_b32 exec_lo, exec_lo, s1
	v_cmp_gt_u32_e32 vcc_lo, s0, v37
	s_and_saveexec_b32 s0, vcc_lo
	s_cbranch_execz .LBB192_345
	s_branch .LBB192_374
.LBB192_367:                            ;   in Loop: Header=BB192_346 Depth=2
	v_and_b32_e32 v11, 0xff, v7
	s_delay_alu instid0(VALU_DEP_1) | instskip(NEXT) | instid1(VALU_DEP_1)
	v_lshrrev_b32_e32 v11, s45, v11
	v_and_b32_e32 v11, s31, v11
	s_delay_alu instid0(VALU_DEP_1) | instskip(SKIP_2) | instid1(SALU_CYCLE_1)
	v_lshl_or_b32 v11, v11, 4, v39
	ds_add_u32 v11, v61
	s_or_b32 exec_lo, exec_lo, s1
	s_mov_b32 s1, exec_lo
	v_cmpx_gt_u32_e64 s0, v29
	s_cbranch_execz .LBB192_361
.LBB192_368:                            ;   in Loop: Header=BB192_346 Depth=2
	v_and_b32_e32 v11, 0xff, v10
	s_delay_alu instid0(VALU_DEP_1) | instskip(NEXT) | instid1(VALU_DEP_1)
	v_lshrrev_b32_e32 v11, s45, v11
	v_and_b32_e32 v11, s31, v11
	s_delay_alu instid0(VALU_DEP_1) | instskip(SKIP_3) | instid1(SALU_CYCLE_1)
	v_lshl_or_b32 v11, v11, 4, v39
	ds_add_u32 v11, v61
	s_wait_alu 0xfffe
	s_or_b32 exec_lo, exec_lo, s1
	s_mov_b32 s1, exec_lo
	v_cmpx_gt_u32_e64 s0, v30
	s_cbranch_execz .LBB192_362
.LBB192_369:                            ;   in Loop: Header=BB192_346 Depth=2
	v_and_b32_e32 v11, 0xff, v9
	s_delay_alu instid0(VALU_DEP_1) | instskip(NEXT) | instid1(VALU_DEP_1)
	v_lshrrev_b32_e32 v11, s45, v11
	v_and_b32_e32 v11, s31, v11
	s_delay_alu instid0(VALU_DEP_1) | instskip(SKIP_3) | instid1(SALU_CYCLE_1)
	v_lshl_or_b32 v11, v11, 4, v39
	ds_add_u32 v11, v61
	s_wait_alu 0xfffe
	s_or_b32 exec_lo, exec_lo, s1
	s_mov_b32 s1, exec_lo
	v_cmpx_gt_u32_e64 s0, v31
	s_cbranch_execz .LBB192_363
.LBB192_370:                            ;   in Loop: Header=BB192_346 Depth=2
	v_and_b32_e32 v11, 0xff, v8
	s_delay_alu instid0(VALU_DEP_1) | instskip(NEXT) | instid1(VALU_DEP_1)
	v_lshrrev_b32_e32 v11, s45, v11
	v_and_b32_e32 v11, s31, v11
	s_delay_alu instid0(VALU_DEP_1) | instskip(SKIP_3) | instid1(SALU_CYCLE_1)
	v_lshl_or_b32 v11, v11, 4, v39
	ds_add_u32 v11, v61
	s_wait_alu 0xfffe
	s_or_b32 exec_lo, exec_lo, s1
	s_mov_b32 s1, exec_lo
	v_cmpx_gt_u32_e64 s0, v34
	s_cbranch_execz .LBB192_364
.LBB192_371:                            ;   in Loop: Header=BB192_346 Depth=2
	v_and_b32_e32 v11, 0xff, v6
	s_delay_alu instid0(VALU_DEP_1) | instskip(NEXT) | instid1(VALU_DEP_1)
	v_lshrrev_b32_e32 v11, s45, v11
	v_and_b32_e32 v11, s31, v11
	s_delay_alu instid0(VALU_DEP_1) | instskip(SKIP_3) | instid1(SALU_CYCLE_1)
	v_lshl_or_b32 v11, v11, 4, v39
	ds_add_u32 v11, v61
	s_wait_alu 0xfffe
	s_or_b32 exec_lo, exec_lo, s1
	s_mov_b32 s1, exec_lo
	v_cmpx_gt_u32_e64 s0, v35
	s_cbranch_execz .LBB192_365
.LBB192_372:                            ;   in Loop: Header=BB192_346 Depth=2
	v_and_b32_e32 v11, 0xff, v5
	s_delay_alu instid0(VALU_DEP_1) | instskip(NEXT) | instid1(VALU_DEP_1)
	v_lshrrev_b32_e32 v11, s45, v11
	v_and_b32_e32 v11, s31, v11
	s_delay_alu instid0(VALU_DEP_1) | instskip(SKIP_3) | instid1(SALU_CYCLE_1)
	v_lshl_or_b32 v11, v11, 4, v39
	ds_add_u32 v11, v61
	s_wait_alu 0xfffe
	s_or_b32 exec_lo, exec_lo, s1
	s_mov_b32 s1, exec_lo
	v_cmpx_gt_u32_e64 s0, v36
	s_cbranch_execz .LBB192_366
.LBB192_373:                            ;   in Loop: Header=BB192_346 Depth=2
	v_and_b32_e32 v11, 0xff, v4
	s_delay_alu instid0(VALU_DEP_1) | instskip(NEXT) | instid1(VALU_DEP_1)
	v_lshrrev_b32_e32 v11, s45, v11
	v_and_b32_e32 v11, s31, v11
	s_delay_alu instid0(VALU_DEP_1)
	v_lshl_or_b32 v11, v11, 4, v39
	ds_add_u32 v11, v61
	s_wait_alu 0xfffe
	s_or_b32 exec_lo, exec_lo, s1
	v_cmp_gt_u32_e32 vcc_lo, s0, v37
	s_and_saveexec_b32 s0, vcc_lo
	s_cbranch_execz .LBB192_345
.LBB192_374:                            ;   in Loop: Header=BB192_346 Depth=2
	v_and_b32_e32 v11, 0xff, v2
	s_delay_alu instid0(VALU_DEP_1) | instskip(NEXT) | instid1(VALU_DEP_1)
	v_lshrrev_b32_e32 v11, s45, v11
	v_and_b32_e32 v11, s31, v11
	s_delay_alu instid0(VALU_DEP_1)
	v_lshl_or_b32 v11, v11, 4, v39
	ds_add_u32 v11, v61
	s_branch .LBB192_345
.LBB192_375:                            ;   in Loop: Header=BB192_346 Depth=2
	s_wait_loadcnt 0x0
	s_wait_alu 0xfffe
	v_add_co_u32 v11, s12, s0, v1
	s_wait_alu 0xf1ff
	v_add_co_ci_u32_e64 v12, null, s1, 0, s12
	global_load_u8 v7, v[11:12], off
	s_or_b32 exec_lo, exec_lo, s11
	s_delay_alu instid0(SALU_CYCLE_1)
	s_mov_b32 s11, exec_lo
	v_cmpx_gt_u32_e64 s9, v29
	s_cbranch_execz .LBB192_351
.LBB192_376:                            ;   in Loop: Header=BB192_346 Depth=2
	v_add_co_u32 v10, s12, s0, v1
	s_wait_loadcnt 0x0
	s_wait_alu 0xf1ff
	v_add_co_ci_u32_e64 v11, null, s1, 0, s12
	global_load_u8 v10, v[10:11], off offset:256
	s_wait_alu 0xfffe
	s_or_b32 exec_lo, exec_lo, s11
	s_delay_alu instid0(SALU_CYCLE_1)
	s_mov_b32 s11, exec_lo
	v_cmpx_gt_u32_e64 s9, v30
	s_cbranch_execz .LBB192_352
.LBB192_377:                            ;   in Loop: Header=BB192_346 Depth=2
	s_wait_loadcnt 0x0
	v_add_co_u32 v11, s12, s0, v1
	s_wait_alu 0xf1ff
	v_add_co_ci_u32_e64 v12, null, s1, 0, s12
	global_load_u8 v9, v[11:12], off offset:512
	s_wait_alu 0xfffe
	s_or_b32 exec_lo, exec_lo, s11
	s_delay_alu instid0(SALU_CYCLE_1)
	s_mov_b32 s11, exec_lo
	v_cmpx_gt_u32_e64 s9, v31
	s_cbranch_execz .LBB192_353
.LBB192_378:                            ;   in Loop: Header=BB192_346 Depth=2
	s_wait_loadcnt 0x0
	v_add_co_u32 v11, s12, s0, v1
	s_wait_alu 0xf1ff
	v_add_co_ci_u32_e64 v12, null, s1, 0, s12
	global_load_u8 v8, v[11:12], off offset:768
	s_wait_alu 0xfffe
	s_or_b32 exec_lo, exec_lo, s11
	s_delay_alu instid0(SALU_CYCLE_1)
	s_mov_b32 s11, exec_lo
	v_cmpx_gt_u32_e64 s9, v34
	s_cbranch_execz .LBB192_354
.LBB192_379:                            ;   in Loop: Header=BB192_346 Depth=2
	s_wait_loadcnt 0x0
	v_add_co_u32 v11, s12, s0, v1
	s_wait_alu 0xf1ff
	v_add_co_ci_u32_e64 v12, null, s1, 0, s12
	global_load_u8 v6, v[11:12], off offset:1024
	s_wait_alu 0xfffe
	s_or_b32 exec_lo, exec_lo, s11
	s_delay_alu instid0(SALU_CYCLE_1)
	s_mov_b32 s11, exec_lo
	v_cmpx_gt_u32_e64 s9, v35
	s_cbranch_execz .LBB192_355
.LBB192_380:                            ;   in Loop: Header=BB192_346 Depth=2
	s_wait_loadcnt 0x0
	v_add_co_u32 v11, s12, s0, v1
	s_wait_alu 0xf1ff
	v_add_co_ci_u32_e64 v12, null, s1, 0, s12
	global_load_u8 v5, v[11:12], off offset:1280
	s_wait_alu 0xfffe
	s_or_b32 exec_lo, exec_lo, s11
	s_delay_alu instid0(SALU_CYCLE_1)
	s_mov_b32 s11, exec_lo
	v_cmpx_gt_u32_e64 s9, v36
	s_cbranch_execz .LBB192_356
.LBB192_381:                            ;   in Loop: Header=BB192_346 Depth=2
	s_wait_loadcnt 0x0
	v_add_co_u32 v11, s12, s0, v1
	s_wait_alu 0xf1ff
	v_add_co_ci_u32_e64 v12, null, s1, 0, s12
	global_load_u8 v4, v[11:12], off offset:1536
	s_wait_alu 0xfffe
	s_or_b32 exec_lo, exec_lo, s11
	s_delay_alu instid0(SALU_CYCLE_1)
	s_mov_b32 s11, exec_lo
	v_cmpx_gt_u32_e64 s9, v37
	s_cbranch_execnz .LBB192_357
	s_branch .LBB192_358
.LBB192_382:                            ;   in Loop: Header=BB192_12 Depth=1
	v_mov_b32_e32 v2, 0
	s_wait_dscnt 0x0
	s_barrier_signal -1
	s_barrier_wait -1
	global_inv scope:SCOPE_SE
	s_and_saveexec_b32 s0, s2
	s_cbranch_execz .LBB192_384
; %bb.383:                              ;   in Loop: Header=BB192_12 Depth=1
	ds_load_2addr_b64 v[4:7], v40 offset1:1
	s_wait_dscnt 0x0
	v_add_nc_u32_e32 v2, v5, v4
	s_delay_alu instid0(VALU_DEP_1)
	v_add3_u32 v2, v2, v6, v7
.LBB192_384:                            ;   in Loop: Header=BB192_12 Depth=1
	s_wait_alu 0xfffe
	s_or_b32 exec_lo, exec_lo, s0
	s_delay_alu instid0(VALU_DEP_1)
	v_mov_b32_dpp v4, v2 row_shr:1 row_mask:0xf bank_mask:0xf
	v_cmp_eq_u32_e64 s0, 0, v62
	v_cmp_lt_u32_e64 s1, 1, v62
	v_cmp_lt_u32_e64 s9, 3, v62
	;; [unrolled: 1-line block ×3, first 2 shown]
	v_cmp_eq_u32_e64 s11, 0, v64
	s_wait_alu 0xf1ff
	v_cndmask_b32_e64 v4, v4, 0, s0
	s_delay_alu instid0(VALU_DEP_1) | instskip(NEXT) | instid1(VALU_DEP_1)
	v_add_nc_u32_e32 v2, v4, v2
	v_mov_b32_dpp v4, v2 row_shr:2 row_mask:0xf bank_mask:0xf
	s_delay_alu instid0(VALU_DEP_1) | instskip(NEXT) | instid1(VALU_DEP_1)
	v_cndmask_b32_e64 v4, 0, v4, s1
	v_add_nc_u32_e32 v2, v2, v4
	s_delay_alu instid0(VALU_DEP_1) | instskip(NEXT) | instid1(VALU_DEP_1)
	v_mov_b32_dpp v4, v2 row_shr:4 row_mask:0xf bank_mask:0xf
	v_cndmask_b32_e64 v4, 0, v4, s9
	s_delay_alu instid0(VALU_DEP_1) | instskip(NEXT) | instid1(VALU_DEP_1)
	v_add_nc_u32_e32 v2, v2, v4
	v_mov_b32_dpp v4, v2 row_shr:8 row_mask:0xf bank_mask:0xf
	s_delay_alu instid0(VALU_DEP_1) | instskip(NEXT) | instid1(VALU_DEP_1)
	v_cndmask_b32_e64 v4, 0, v4, s10
	v_add_nc_u32_e32 v2, v2, v4
	ds_swizzle_b32 v4, v2 offset:swizzle(BROADCAST,32,15)
	s_wait_dscnt 0x0
	v_and_b32_e32 v4, v63, v4
	s_delay_alu instid0(VALU_DEP_1)
	v_add_nc_u32_e32 v2, v2, v4
	s_and_saveexec_b32 s12, s3
; %bb.385:                              ;   in Loop: Header=BB192_12 Depth=1
	ds_store_b32 v41, v2
; %bb.386:                              ;   in Loop: Header=BB192_12 Depth=1
	s_wait_alu 0xfffe
	s_or_b32 exec_lo, exec_lo, s12
	s_wait_loadcnt_dscnt 0x0
	s_barrier_signal -1
	s_barrier_wait -1
	global_inv scope:SCOPE_SE
	s_and_saveexec_b32 s12, s4
	s_cbranch_execz .LBB192_388
; %bb.387:                              ;   in Loop: Header=BB192_12 Depth=1
	ds_load_b32 v4, v42
	v_cmp_ne_u32_e32 vcc_lo, 0, v65
	s_wait_dscnt 0x0
	v_mov_b32_dpp v5, v4 row_shr:1 row_mask:0xf bank_mask:0xf
	s_wait_alu 0xfffd
	s_delay_alu instid0(VALU_DEP_1) | instskip(SKIP_1) | instid1(VALU_DEP_2)
	v_cndmask_b32_e32 v5, 0, v5, vcc_lo
	v_cmp_lt_u32_e32 vcc_lo, 1, v65
	v_add_nc_u32_e32 v4, v5, v4
	s_delay_alu instid0(VALU_DEP_1) | instskip(SKIP_1) | instid1(VALU_DEP_1)
	v_mov_b32_dpp v5, v4 row_shr:2 row_mask:0xf bank_mask:0xf
	s_wait_alu 0xfffd
	v_cndmask_b32_e32 v5, 0, v5, vcc_lo
	v_cmp_lt_u32_e32 vcc_lo, 3, v65
	s_delay_alu instid0(VALU_DEP_2) | instskip(NEXT) | instid1(VALU_DEP_1)
	v_add_nc_u32_e32 v4, v4, v5
	v_mov_b32_dpp v5, v4 row_shr:4 row_mask:0xf bank_mask:0xf
	s_wait_alu 0xfffd
	s_delay_alu instid0(VALU_DEP_1) | instskip(NEXT) | instid1(VALU_DEP_1)
	v_cndmask_b32_e32 v5, 0, v5, vcc_lo
	v_add_nc_u32_e32 v4, v4, v5
	ds_store_b32 v42, v4
.LBB192_388:                            ;   in Loop: Header=BB192_12 Depth=1
	s_wait_alu 0xfffe
	s_or_b32 exec_lo, exec_lo, s12
	v_mov_b32_e32 v4, 0
	s_wait_loadcnt_dscnt 0x0
	s_barrier_signal -1
	s_barrier_wait -1
	global_inv scope:SCOPE_SE
	s_and_saveexec_b32 s12, s5
; %bb.389:                              ;   in Loop: Header=BB192_12 Depth=1
	ds_load_b32 v4, v43
; %bb.390:                              ;   in Loop: Header=BB192_12 Depth=1
	s_wait_alu 0xfffe
	s_or_b32 exec_lo, exec_lo, s12
	v_cmp_gt_i32_e32 vcc_lo, 0, v67
	s_wait_dscnt 0x0
	v_add_nc_u32_e32 v2, v4, v2
	s_wait_loadcnt 0x0
	s_barrier_signal -1
	s_barrier_wait -1
	s_wait_alu 0xfffd
	v_cndmask_b32_e32 v5, v67, v58, vcc_lo
	global_inv scope:SCOPE_SE
	v_lshlrev_b32_e32 v80, 2, v5
	ds_bpermute_b32 v2, v80, v2
	s_and_saveexec_b32 s12, s2
	s_cbranch_execz .LBB192_392
; %bb.391:                              ;   in Loop: Header=BB192_12 Depth=1
	s_wait_dscnt 0x0
	v_cndmask_b32_e64 v2, v2, v4, s8
	s_delay_alu instid0(VALU_DEP_1)
	v_add_nc_u32_e32 v2, s33, v2
	ds_store_b32 v28, v2
.LBB192_392:                            ;   in Loop: Header=BB192_12 Depth=1
	s_wait_alu 0xfffe
	s_or_b32 exec_lo, exec_lo, s12
	s_load_b64 s[12:13], s[28:29], 0x0
	v_add_co_u32 v81, vcc_lo, v56, v66
	s_wait_alu 0xfffd
	v_add_co_ci_u32_e64 v82, null, 0, v57, vcc_lo
	v_add_co_u32 v83, vcc_lo, v59, v58
	s_wait_alu 0xfffd
	v_add_co_ci_u32_e64 v84, null, 0, v60, vcc_lo
	s_mov_b32 s42, s47
                                        ; implicit-def: $vgpr6_vgpr7
                                        ; implicit-def: $vgpr8_vgpr9
                                        ; implicit-def: $vgpr10_vgpr11
                                        ; implicit-def: $vgpr12_vgpr13
                                        ; implicit-def: $vgpr14_vgpr15
                                        ; implicit-def: $vgpr16_vgpr17
                                        ; implicit-def: $vgpr18_vgpr19
                                        ; implicit-def: $vgpr86
                                        ; implicit-def: $vgpr87
                                        ; implicit-def: $vgpr88
                                        ; implicit-def: $vgpr89
                                        ; implicit-def: $vgpr90
                                        ; implicit-def: $vgpr91
                                        ; implicit-def: $vgpr92
                                        ; implicit-def: $vgpr93
	s_wait_kmcnt 0x0
	s_cmp_lt_u32 ttmp7, s13
	s_cselect_b32 s22, 14, 20
	s_cmp_lt_u32 ttmp9, s12
	s_wait_alu 0xfffe
	s_add_nc_u64 s[14:15], s[28:29], s[22:23]
	s_cselect_b32 s22, 12, 18
	s_load_u16 s14, s[14:15], 0x0
	s_add_nc_u64 s[12:13], s[28:29], s[22:23]
	s_mov_b32 s22, s33
	s_load_u16 s12, s[12:13], 0x0
	v_cmp_lt_u32_e64 s13, 1, v65
	s_wait_dscnt 0x0
	s_wait_kmcnt 0x0
	v_mad_u32_u24 v2, v44, s14, v0
	v_cmp_lt_u32_e64 s14, 3, v65
	s_delay_alu instid0(VALU_DEP_2) | instskip(SKIP_1) | instid1(VALU_DEP_2)
	v_mad_co_u64_u32 v[4:5], null, v2, s12, v[1:2]
	v_cmp_eq_u32_e64 s12, 0, v65
	v_lshrrev_b32_e32 v2, 3, v4
                                        ; implicit-def: $vgpr4_vgpr5
	s_delay_alu instid0(VALU_DEP_1)
	v_and_b32_e32 v85, 0x1ffffffc, v2
	s_branch .LBB192_394
.LBB192_393:                            ;   in Loop: Header=BB192_394 Depth=2
	s_wait_alu 0xfffe
	s_or_b32 exec_lo, exec_lo, s15
	s_addk_co_i32 s42, 0xf800
	s_cmp_lt_u32 s43, s34
	s_mov_b32 s22, s43
	s_cbranch_scc0 .LBB192_506
.LBB192_394:                            ;   Parent Loop BB192_12 Depth=1
                                        ; =>  This Inner Loop Header: Depth=2
	s_wait_alu 0xfffe
	s_add_co_i32 s43, s22, 0x800
	s_wait_alu 0xfffe
	s_cmp_gt_u32 s43, s34
	s_cbranch_scc1 .LBB192_396
; %bb.395:                              ;   in Loop: Header=BB192_394 Depth=2
	v_add_co_u32 v20, vcc_lo, v83, s22
	s_wait_alu 0xfffd
	v_add_co_ci_u32_e64 v21, null, 0, v84, vcc_lo
	s_mov_b32 s15, -1
	s_clause 0x6
	global_load_u8 v94, v[20:21], off
	global_load_u8 v95, v[20:21], off offset:32
	global_load_u8 v96, v[20:21], off offset:64
	;; [unrolled: 1-line block ×6, first 2 shown]
	s_movk_i32 s16, 0x800
	s_cbranch_execz .LBB192_397
	s_branch .LBB192_412
.LBB192_396:                            ;   in Loop: Header=BB192_394 Depth=2
	s_mov_b32 s15, 0
                                        ; implicit-def: $vgpr94
                                        ; implicit-def: $vgpr95
                                        ; implicit-def: $vgpr96
                                        ; implicit-def: $vgpr97
                                        ; implicit-def: $vgpr98
                                        ; implicit-def: $vgpr99
                                        ; implicit-def: $vgpr100
	s_movk_i32 s16, 0x800
.LBB192_397:                            ;   in Loop: Header=BB192_394 Depth=2
	v_add_co_u32 v20, vcc_lo, v83, s22
	s_wait_alu 0xfffd
	v_add_co_ci_u32_e64 v21, null, 0, v84, vcc_lo
	s_wait_loadcnt 0x5
	v_dual_mov_b32 v95, 0xff :: v_dual_mov_b32 v94, 0xff
	s_mov_b32 s15, exec_lo
	v_cmpx_gt_u32_e64 s42, v68
	s_cbranch_execz .LBB192_399
; %bb.398:                              ;   in Loop: Header=BB192_394 Depth=2
	global_load_u8 v94, v[20:21], off
.LBB192_399:                            ;   in Loop: Header=BB192_394 Depth=2
	s_wait_alu 0xfffe
	s_or_b32 exec_lo, exec_lo, s15
	s_delay_alu instid0(SALU_CYCLE_1)
	s_mov_b32 s15, exec_lo
	v_cmpx_gt_u32_e64 s42, v71
	s_cbranch_execz .LBB192_401
; %bb.400:                              ;   in Loop: Header=BB192_394 Depth=2
	global_load_u8 v95, v[20:21], off offset:32
.LBB192_401:                            ;   in Loop: Header=BB192_394 Depth=2
	s_wait_alu 0xfffe
	s_or_b32 exec_lo, exec_lo, s15
	s_wait_loadcnt 0x3
	v_dual_mov_b32 v97, 0xff :: v_dual_mov_b32 v96, 0xff
	s_mov_b32 s15, exec_lo
	v_cmpx_gt_u32_e64 s42, v72
	s_cbranch_execz .LBB192_403
; %bb.402:                              ;   in Loop: Header=BB192_394 Depth=2
	global_load_u8 v96, v[20:21], off offset:64
.LBB192_403:                            ;   in Loop: Header=BB192_394 Depth=2
	s_wait_alu 0xfffe
	s_or_b32 exec_lo, exec_lo, s15
	s_delay_alu instid0(SALU_CYCLE_1)
	s_mov_b32 s15, exec_lo
	v_cmpx_gt_u32_e64 s42, v73
	s_cbranch_execz .LBB192_405
; %bb.404:                              ;   in Loop: Header=BB192_394 Depth=2
	global_load_u8 v97, v[20:21], off offset:96
.LBB192_405:                            ;   in Loop: Header=BB192_394 Depth=2
	s_wait_alu 0xfffe
	s_or_b32 exec_lo, exec_lo, s15
	s_wait_loadcnt 0x1
	v_dual_mov_b32 v99, 0xff :: v_dual_mov_b32 v98, 0xff
	s_mov_b32 s15, exec_lo
	v_cmpx_gt_u32_e64 s42, v74
	s_cbranch_execz .LBB192_407
; %bb.406:                              ;   in Loop: Header=BB192_394 Depth=2
	global_load_u8 v98, v[20:21], off offset:128
.LBB192_407:                            ;   in Loop: Header=BB192_394 Depth=2
	s_wait_alu 0xfffe
	s_or_b32 exec_lo, exec_lo, s15
	s_delay_alu instid0(SALU_CYCLE_1)
	s_mov_b32 s15, exec_lo
	v_cmpx_gt_u32_e64 s42, v75
	s_cbranch_execz .LBB192_409
; %bb.408:                              ;   in Loop: Header=BB192_394 Depth=2
	global_load_u8 v99, v[20:21], off offset:160
.LBB192_409:                            ;   in Loop: Header=BB192_394 Depth=2
	s_wait_alu 0xfffe
	s_or_b32 exec_lo, exec_lo, s15
	s_wait_loadcnt 0x0
	v_mov_b32_e32 v100, 0xff
	s_mov_b32 s15, exec_lo
	v_cmpx_gt_u32_e64 s42, v76
	s_cbranch_execz .LBB192_411
; %bb.410:                              ;   in Loop: Header=BB192_394 Depth=2
	global_load_u8 v100, v[20:21], off offset:192
.LBB192_411:                            ;   in Loop: Header=BB192_394 Depth=2
	s_wait_alu 0xfffe
	s_or_b32 exec_lo, exec_lo, s15
	v_cmp_gt_u32_e64 s15, s42, v77
	s_sub_co_i32 s16, s34, s22
.LBB192_412:                            ;   in Loop: Header=BB192_394 Depth=2
	v_dual_mov_b32 v101, 0xff :: v_dual_mov_b32 v2, s42
	s_wait_alu 0xfffe
	s_and_saveexec_b32 s17, s15
	s_cbranch_execz .LBB192_414
; %bb.413:                              ;   in Loop: Header=BB192_394 Depth=2
	v_add_co_u32 v20, vcc_lo, v83, s22
	s_wait_alu 0xfffd
	v_add_co_ci_u32_e64 v21, null, s23, v84, vcc_lo
	v_mov_b32_e32 v2, s16
	global_load_u8 v101, v[20:21], off offset:224
.LBB192_414:                            ;   in Loop: Header=BB192_394 Depth=2
	s_wait_alu 0xfffe
	s_or_b32 exec_lo, exec_lo, s17
	s_wait_loadcnt 0x6
	v_and_b32_e32 v20, 0xff, v94
	v_add_nc_u32_e32 v104, 0x420, v45
	v_add_nc_u32_e32 v105, 0x428, v45
	;; [unrolled: 1-line block ×3, first 2 shown]
	s_delay_alu instid0(VALU_DEP_4) | instskip(NEXT) | instid1(VALU_DEP_1)
	v_lshrrev_b32_e32 v20, s45, v20
	v_and_b32_e32 v21, s31, v20
	s_delay_alu instid0(VALU_DEP_1)
	v_and_b32_e32 v20, 1, v21
	v_lshlrev_b32_e32 v22, 30, v21
	v_lshlrev_b32_e32 v23, 29, v21
	;; [unrolled: 1-line block ×4, first 2 shown]
	v_add_co_u32 v20, s15, v20, -1
	s_wait_alu 0xf1ff
	v_cndmask_b32_e64 v25, 0, 1, s15
	v_not_b32_e32 v103, v22
	v_cmp_gt_i32_e64 s15, 0, v22
	v_not_b32_e32 v22, v23
	v_lshlrev_b32_e32 v27, 26, v21
	v_cmp_ne_u32_e32 vcc_lo, 0, v25
	v_ashrrev_i32_e32 v103, 31, v103
	v_lshlrev_b32_e32 v102, 25, v21
	v_ashrrev_i32_e32 v22, 31, v22
	v_lshlrev_b32_e32 v25, 24, v21
	s_wait_alu 0xfffd
	v_xor_b32_e32 v20, vcc_lo, v20
	v_cmp_gt_i32_e32 vcc_lo, 0, v23
	v_not_b32_e32 v23, v24
	s_wait_alu 0xf1ff
	v_xor_b32_e32 v103, s15, v103
	v_cmp_gt_i32_e64 s15, 0, v24
	v_and_b32_e32 v20, exec_lo, v20
	v_not_b32_e32 v24, v26
	v_ashrrev_i32_e32 v23, 31, v23
	s_wait_alu 0xfffd
	v_xor_b32_e32 v22, vcc_lo, v22
	v_cmp_gt_i32_e32 vcc_lo, 0, v26
	v_and_b32_e32 v20, v20, v103
	v_not_b32_e32 v26, v27
	v_ashrrev_i32_e32 v24, 31, v24
	s_wait_alu 0xf1ff
	v_xor_b32_e32 v23, s15, v23
	v_cmp_gt_i32_e64 s15, 0, v27
	v_and_b32_e32 v20, v20, v22
	v_not_b32_e32 v22, v102
	v_ashrrev_i32_e32 v26, 31, v26
	s_wait_alu 0xfffd
	v_xor_b32_e32 v24, vcc_lo, v24
	v_cmp_gt_i32_e32 vcc_lo, 0, v102
	v_and_b32_e32 v20, v20, v23
	v_not_b32_e32 v23, v25
	v_ashrrev_i32_e32 v22, 31, v22
	s_wait_alu 0xf1ff
	v_xor_b32_e32 v26, s15, v26
	v_cmp_gt_i32_e64 s15, 0, v25
	v_and_b32_e32 v20, v20, v24
	v_ashrrev_i32_e32 v23, 31, v23
	s_wait_alu 0xfffd
	v_xor_b32_e32 v22, vcc_lo, v22
	v_mul_u32_u24_e32 v21, 36, v21
	v_add_nc_u32_e32 v103, 0x438, v45
	v_and_b32_e32 v20, v20, v26
	s_wait_alu 0xf1ff
	v_xor_b32_e32 v23, s15, v23
	v_add_nc_u32_e32 v107, v85, v21
	ds_store_2addr_b32 v103, v3, v3 offset1:1
	v_and_b32_e32 v20, v20, v22
	ds_store_2addr_b32 v104, v3, v3 offset1:1
	ds_store_2addr_b32 v105, v3, v3 offset1:1
	;; [unrolled: 1-line block ×3, first 2 shown]
	ds_store_b32 v45, v3 offset:1088
	s_wait_loadcnt_dscnt 0x0
	s_barrier_signal -1
	s_barrier_wait -1
	v_and_b32_e32 v20, v20, v23
	global_inv scope:SCOPE_SE
	; wave barrier
	v_mbcnt_lo_u32_b32 v102, v20, 0
	v_cmp_ne_u32_e64 s15, 0, v20
	s_delay_alu instid0(VALU_DEP_2)
	v_cmp_eq_u32_e32 vcc_lo, 0, v102
	s_and_b32 s16, s15, vcc_lo
	s_wait_alu 0xfffe
	s_and_saveexec_b32 s15, s16
; %bb.415:                              ;   in Loop: Header=BB192_394 Depth=2
	v_bcnt_u32_b32 v20, v20, 0
	ds_store_b32 v107, v20 offset:1056
; %bb.416:                              ;   in Loop: Header=BB192_394 Depth=2
	s_wait_alu 0xfffe
	s_or_b32 exec_lo, exec_lo, s15
	v_and_b32_e32 v20, 0xff, v95
	; wave barrier
	s_delay_alu instid0(VALU_DEP_1) | instskip(NEXT) | instid1(VALU_DEP_1)
	v_lshrrev_b32_e32 v20, s45, v20
	v_and_b32_e32 v21, s31, v20
	s_delay_alu instid0(VALU_DEP_1)
	v_and_b32_e32 v20, 1, v21
	v_lshlrev_b32_e32 v22, 30, v21
	v_lshlrev_b32_e32 v23, 29, v21
	;; [unrolled: 1-line block ×4, first 2 shown]
	v_add_co_u32 v20, s15, v20, -1
	s_wait_alu 0xf1ff
	v_cndmask_b32_e64 v25, 0, 1, s15
	v_not_b32_e32 v109, v22
	v_cmp_gt_i32_e64 s15, 0, v22
	v_not_b32_e32 v22, v23
	v_lshlrev_b32_e32 v27, 26, v21
	v_cmp_ne_u32_e32 vcc_lo, 0, v25
	v_ashrrev_i32_e32 v109, 31, v109
	v_lshlrev_b32_e32 v108, 25, v21
	v_ashrrev_i32_e32 v22, 31, v22
	v_lshlrev_b32_e32 v25, 24, v21
	s_wait_alu 0xfffd
	v_xor_b32_e32 v20, vcc_lo, v20
	v_cmp_gt_i32_e32 vcc_lo, 0, v23
	v_not_b32_e32 v23, v24
	s_wait_alu 0xf1ff
	v_xor_b32_e32 v109, s15, v109
	v_cmp_gt_i32_e64 s15, 0, v24
	v_and_b32_e32 v20, exec_lo, v20
	v_not_b32_e32 v24, v26
	v_ashrrev_i32_e32 v23, 31, v23
	s_wait_alu 0xfffd
	v_xor_b32_e32 v22, vcc_lo, v22
	v_cmp_gt_i32_e32 vcc_lo, 0, v26
	v_and_b32_e32 v20, v20, v109
	v_not_b32_e32 v26, v27
	v_ashrrev_i32_e32 v24, 31, v24
	s_wait_alu 0xf1ff
	v_xor_b32_e32 v23, s15, v23
	v_cmp_gt_i32_e64 s15, 0, v27
	v_and_b32_e32 v20, v20, v22
	v_not_b32_e32 v22, v108
	v_ashrrev_i32_e32 v26, 31, v26
	s_wait_alu 0xfffd
	v_xor_b32_e32 v24, vcc_lo, v24
	v_cmp_gt_i32_e32 vcc_lo, 0, v108
	v_and_b32_e32 v20, v20, v23
	v_not_b32_e32 v23, v25
	v_ashrrev_i32_e32 v22, 31, v22
	s_wait_alu 0xf1ff
	v_xor_b32_e32 v26, s15, v26
	v_cmp_gt_i32_e64 s15, 0, v25
	v_and_b32_e32 v20, v20, v24
	v_ashrrev_i32_e32 v23, 31, v23
	s_wait_alu 0xfffd
	v_xor_b32_e32 v22, vcc_lo, v22
	v_mad_u32_u24 v24, v21, 36, v85
	v_mul_u32_u24_e32 v21, 36, v21
	v_and_b32_e32 v20, v20, v26
	s_wait_alu 0xf1ff
	v_xor_b32_e32 v23, s15, v23
	ds_load_b32 v108, v24 offset:1056
	v_add_nc_u32_e32 v110, v85, v21
	v_and_b32_e32 v20, v20, v22
	; wave barrier
	s_delay_alu instid0(VALU_DEP_1) | instskip(NEXT) | instid1(VALU_DEP_1)
	v_and_b32_e32 v20, v20, v23
	v_mbcnt_lo_u32_b32 v109, v20, 0
	v_cmp_ne_u32_e64 s15, 0, v20
	s_delay_alu instid0(VALU_DEP_2)
	v_cmp_eq_u32_e32 vcc_lo, 0, v109
	s_and_b32 s16, s15, vcc_lo
	s_wait_alu 0xfffe
	s_and_saveexec_b32 s15, s16
	s_cbranch_execz .LBB192_418
; %bb.417:                              ;   in Loop: Header=BB192_394 Depth=2
	s_wait_dscnt 0x0
	v_bcnt_u32_b32 v20, v20, v108
	ds_store_b32 v110, v20 offset:1056
.LBB192_418:                            ;   in Loop: Header=BB192_394 Depth=2
	s_wait_alu 0xfffe
	s_or_b32 exec_lo, exec_lo, s15
	v_and_b32_e32 v20, 0xff, v96
	; wave barrier
	s_delay_alu instid0(VALU_DEP_1) | instskip(NEXT) | instid1(VALU_DEP_1)
	v_lshrrev_b32_e32 v20, s45, v20
	v_and_b32_e32 v21, s31, v20
	s_delay_alu instid0(VALU_DEP_1)
	v_and_b32_e32 v20, 1, v21
	v_lshlrev_b32_e32 v22, 30, v21
	v_lshlrev_b32_e32 v23, 29, v21
	;; [unrolled: 1-line block ×4, first 2 shown]
	v_add_co_u32 v20, s15, v20, -1
	s_wait_alu 0xf1ff
	v_cndmask_b32_e64 v25, 0, 1, s15
	v_not_b32_e32 v112, v22
	v_cmp_gt_i32_e64 s15, 0, v22
	v_not_b32_e32 v22, v23
	v_lshlrev_b32_e32 v27, 26, v21
	v_cmp_ne_u32_e32 vcc_lo, 0, v25
	v_ashrrev_i32_e32 v112, 31, v112
	v_lshlrev_b32_e32 v111, 25, v21
	v_ashrrev_i32_e32 v22, 31, v22
	v_lshlrev_b32_e32 v25, 24, v21
	s_wait_alu 0xfffd
	v_xor_b32_e32 v20, vcc_lo, v20
	v_cmp_gt_i32_e32 vcc_lo, 0, v23
	v_not_b32_e32 v23, v24
	s_wait_alu 0xf1ff
	v_xor_b32_e32 v112, s15, v112
	v_cmp_gt_i32_e64 s15, 0, v24
	v_and_b32_e32 v20, exec_lo, v20
	v_not_b32_e32 v24, v26
	v_ashrrev_i32_e32 v23, 31, v23
	s_wait_alu 0xfffd
	v_xor_b32_e32 v22, vcc_lo, v22
	v_cmp_gt_i32_e32 vcc_lo, 0, v26
	v_and_b32_e32 v20, v20, v112
	v_not_b32_e32 v26, v27
	v_ashrrev_i32_e32 v24, 31, v24
	s_wait_alu 0xf1ff
	v_xor_b32_e32 v23, s15, v23
	v_cmp_gt_i32_e64 s15, 0, v27
	v_and_b32_e32 v20, v20, v22
	v_not_b32_e32 v22, v111
	v_ashrrev_i32_e32 v26, 31, v26
	s_wait_alu 0xfffd
	v_xor_b32_e32 v24, vcc_lo, v24
	v_cmp_gt_i32_e32 vcc_lo, 0, v111
	v_and_b32_e32 v20, v20, v23
	v_not_b32_e32 v23, v25
	v_ashrrev_i32_e32 v22, 31, v22
	s_wait_alu 0xf1ff
	v_xor_b32_e32 v26, s15, v26
	v_cmp_gt_i32_e64 s15, 0, v25
	v_and_b32_e32 v20, v20, v24
	v_ashrrev_i32_e32 v23, 31, v23
	s_wait_alu 0xfffd
	v_xor_b32_e32 v22, vcc_lo, v22
	v_mad_u32_u24 v24, v21, 36, v85
	v_mul_u32_u24_e32 v21, 36, v21
	v_and_b32_e32 v20, v20, v26
	s_wait_alu 0xf1ff
	v_xor_b32_e32 v23, s15, v23
	ds_load_b32 v111, v24 offset:1056
	v_add_nc_u32_e32 v113, v85, v21
	v_and_b32_e32 v20, v20, v22
	; wave barrier
	s_delay_alu instid0(VALU_DEP_1) | instskip(NEXT) | instid1(VALU_DEP_1)
	v_and_b32_e32 v20, v20, v23
	v_mbcnt_lo_u32_b32 v112, v20, 0
	v_cmp_ne_u32_e64 s15, 0, v20
	s_delay_alu instid0(VALU_DEP_2)
	v_cmp_eq_u32_e32 vcc_lo, 0, v112
	s_and_b32 s16, s15, vcc_lo
	s_wait_alu 0xfffe
	s_and_saveexec_b32 s15, s16
	s_cbranch_execz .LBB192_420
; %bb.419:                              ;   in Loop: Header=BB192_394 Depth=2
	s_wait_dscnt 0x0
	v_bcnt_u32_b32 v20, v20, v111
	ds_store_b32 v113, v20 offset:1056
.LBB192_420:                            ;   in Loop: Header=BB192_394 Depth=2
	s_wait_alu 0xfffe
	s_or_b32 exec_lo, exec_lo, s15
	v_and_b32_e32 v20, 0xff, v97
	; wave barrier
	s_delay_alu instid0(VALU_DEP_1) | instskip(NEXT) | instid1(VALU_DEP_1)
	v_lshrrev_b32_e32 v20, s45, v20
	v_and_b32_e32 v21, s31, v20
	s_delay_alu instid0(VALU_DEP_1)
	v_and_b32_e32 v20, 1, v21
	v_lshlrev_b32_e32 v22, 30, v21
	v_lshlrev_b32_e32 v23, 29, v21
	;; [unrolled: 1-line block ×4, first 2 shown]
	v_add_co_u32 v20, s15, v20, -1
	s_wait_alu 0xf1ff
	v_cndmask_b32_e64 v25, 0, 1, s15
	v_not_b32_e32 v115, v22
	v_cmp_gt_i32_e64 s15, 0, v22
	v_not_b32_e32 v22, v23
	v_lshlrev_b32_e32 v27, 26, v21
	v_cmp_ne_u32_e32 vcc_lo, 0, v25
	v_ashrrev_i32_e32 v115, 31, v115
	v_lshlrev_b32_e32 v114, 25, v21
	v_ashrrev_i32_e32 v22, 31, v22
	v_lshlrev_b32_e32 v25, 24, v21
	s_wait_alu 0xfffd
	v_xor_b32_e32 v20, vcc_lo, v20
	v_cmp_gt_i32_e32 vcc_lo, 0, v23
	v_not_b32_e32 v23, v24
	s_wait_alu 0xf1ff
	v_xor_b32_e32 v115, s15, v115
	v_cmp_gt_i32_e64 s15, 0, v24
	v_and_b32_e32 v20, exec_lo, v20
	v_not_b32_e32 v24, v26
	v_ashrrev_i32_e32 v23, 31, v23
	s_wait_alu 0xfffd
	v_xor_b32_e32 v22, vcc_lo, v22
	v_cmp_gt_i32_e32 vcc_lo, 0, v26
	v_and_b32_e32 v20, v20, v115
	v_not_b32_e32 v26, v27
	v_ashrrev_i32_e32 v24, 31, v24
	s_wait_alu 0xf1ff
	v_xor_b32_e32 v23, s15, v23
	v_cmp_gt_i32_e64 s15, 0, v27
	v_and_b32_e32 v20, v20, v22
	v_not_b32_e32 v22, v114
	v_ashrrev_i32_e32 v26, 31, v26
	s_wait_alu 0xfffd
	v_xor_b32_e32 v24, vcc_lo, v24
	v_cmp_gt_i32_e32 vcc_lo, 0, v114
	v_and_b32_e32 v20, v20, v23
	v_not_b32_e32 v23, v25
	v_ashrrev_i32_e32 v22, 31, v22
	s_wait_alu 0xf1ff
	v_xor_b32_e32 v26, s15, v26
	v_cmp_gt_i32_e64 s15, 0, v25
	v_and_b32_e32 v20, v20, v24
	v_ashrrev_i32_e32 v23, 31, v23
	s_wait_alu 0xfffd
	v_xor_b32_e32 v22, vcc_lo, v22
	v_mad_u32_u24 v24, v21, 36, v85
	v_mul_u32_u24_e32 v21, 36, v21
	v_and_b32_e32 v20, v20, v26
	s_wait_alu 0xf1ff
	v_xor_b32_e32 v23, s15, v23
	ds_load_b32 v114, v24 offset:1056
	v_add_nc_u32_e32 v116, v85, v21
	v_and_b32_e32 v20, v20, v22
	; wave barrier
	s_delay_alu instid0(VALU_DEP_1) | instskip(NEXT) | instid1(VALU_DEP_1)
	v_and_b32_e32 v20, v20, v23
	v_mbcnt_lo_u32_b32 v115, v20, 0
	v_cmp_ne_u32_e64 s15, 0, v20
	s_delay_alu instid0(VALU_DEP_2)
	v_cmp_eq_u32_e32 vcc_lo, 0, v115
	s_and_b32 s16, s15, vcc_lo
	s_wait_alu 0xfffe
	s_and_saveexec_b32 s15, s16
	s_cbranch_execz .LBB192_422
; %bb.421:                              ;   in Loop: Header=BB192_394 Depth=2
	s_wait_dscnt 0x0
	v_bcnt_u32_b32 v20, v20, v114
	ds_store_b32 v116, v20 offset:1056
.LBB192_422:                            ;   in Loop: Header=BB192_394 Depth=2
	s_wait_alu 0xfffe
	s_or_b32 exec_lo, exec_lo, s15
	v_and_b32_e32 v20, 0xff, v98
	; wave barrier
	s_delay_alu instid0(VALU_DEP_1) | instskip(NEXT) | instid1(VALU_DEP_1)
	v_lshrrev_b32_e32 v20, s45, v20
	v_and_b32_e32 v21, s31, v20
	s_delay_alu instid0(VALU_DEP_1)
	v_and_b32_e32 v20, 1, v21
	v_lshlrev_b32_e32 v22, 30, v21
	v_lshlrev_b32_e32 v23, 29, v21
	;; [unrolled: 1-line block ×4, first 2 shown]
	v_add_co_u32 v20, s15, v20, -1
	s_wait_alu 0xf1ff
	v_cndmask_b32_e64 v25, 0, 1, s15
	v_not_b32_e32 v118, v22
	v_cmp_gt_i32_e64 s15, 0, v22
	v_not_b32_e32 v22, v23
	v_lshlrev_b32_e32 v27, 26, v21
	v_cmp_ne_u32_e32 vcc_lo, 0, v25
	v_ashrrev_i32_e32 v118, 31, v118
	v_lshlrev_b32_e32 v117, 25, v21
	v_ashrrev_i32_e32 v22, 31, v22
	v_lshlrev_b32_e32 v25, 24, v21
	s_wait_alu 0xfffd
	v_xor_b32_e32 v20, vcc_lo, v20
	v_cmp_gt_i32_e32 vcc_lo, 0, v23
	v_not_b32_e32 v23, v24
	s_wait_alu 0xf1ff
	v_xor_b32_e32 v118, s15, v118
	v_cmp_gt_i32_e64 s15, 0, v24
	v_and_b32_e32 v20, exec_lo, v20
	v_not_b32_e32 v24, v26
	v_ashrrev_i32_e32 v23, 31, v23
	s_wait_alu 0xfffd
	v_xor_b32_e32 v22, vcc_lo, v22
	v_cmp_gt_i32_e32 vcc_lo, 0, v26
	v_and_b32_e32 v20, v20, v118
	v_not_b32_e32 v26, v27
	v_ashrrev_i32_e32 v24, 31, v24
	s_wait_alu 0xf1ff
	v_xor_b32_e32 v23, s15, v23
	v_cmp_gt_i32_e64 s15, 0, v27
	v_and_b32_e32 v20, v20, v22
	v_not_b32_e32 v22, v117
	v_ashrrev_i32_e32 v26, 31, v26
	s_wait_alu 0xfffd
	v_xor_b32_e32 v24, vcc_lo, v24
	v_cmp_gt_i32_e32 vcc_lo, 0, v117
	v_and_b32_e32 v20, v20, v23
	v_not_b32_e32 v23, v25
	v_ashrrev_i32_e32 v22, 31, v22
	s_wait_alu 0xf1ff
	v_xor_b32_e32 v26, s15, v26
	v_cmp_gt_i32_e64 s15, 0, v25
	v_and_b32_e32 v20, v20, v24
	v_ashrrev_i32_e32 v23, 31, v23
	s_wait_alu 0xfffd
	v_xor_b32_e32 v22, vcc_lo, v22
	v_mad_u32_u24 v24, v21, 36, v85
	v_mul_u32_u24_e32 v21, 36, v21
	v_and_b32_e32 v20, v20, v26
	s_wait_alu 0xf1ff
	v_xor_b32_e32 v23, s15, v23
	ds_load_b32 v117, v24 offset:1056
	v_add_nc_u32_e32 v119, v85, v21
	v_and_b32_e32 v20, v20, v22
	; wave barrier
	s_delay_alu instid0(VALU_DEP_1) | instskip(NEXT) | instid1(VALU_DEP_1)
	v_and_b32_e32 v20, v20, v23
	v_mbcnt_lo_u32_b32 v118, v20, 0
	v_cmp_ne_u32_e64 s15, 0, v20
	s_delay_alu instid0(VALU_DEP_2)
	v_cmp_eq_u32_e32 vcc_lo, 0, v118
	s_and_b32 s16, s15, vcc_lo
	s_wait_alu 0xfffe
	s_and_saveexec_b32 s15, s16
	s_cbranch_execz .LBB192_424
; %bb.423:                              ;   in Loop: Header=BB192_394 Depth=2
	s_wait_dscnt 0x0
	v_bcnt_u32_b32 v20, v20, v117
	ds_store_b32 v119, v20 offset:1056
.LBB192_424:                            ;   in Loop: Header=BB192_394 Depth=2
	s_wait_alu 0xfffe
	s_or_b32 exec_lo, exec_lo, s15
	v_and_b32_e32 v20, 0xff, v99
	; wave barrier
	s_delay_alu instid0(VALU_DEP_1) | instskip(NEXT) | instid1(VALU_DEP_1)
	v_lshrrev_b32_e32 v20, s45, v20
	v_and_b32_e32 v21, s31, v20
	s_delay_alu instid0(VALU_DEP_1)
	v_and_b32_e32 v20, 1, v21
	v_lshlrev_b32_e32 v22, 30, v21
	v_lshlrev_b32_e32 v23, 29, v21
	;; [unrolled: 1-line block ×4, first 2 shown]
	v_add_co_u32 v20, s15, v20, -1
	s_wait_alu 0xf1ff
	v_cndmask_b32_e64 v25, 0, 1, s15
	v_not_b32_e32 v121, v22
	v_cmp_gt_i32_e64 s15, 0, v22
	v_not_b32_e32 v22, v23
	v_lshlrev_b32_e32 v27, 26, v21
	v_cmp_ne_u32_e32 vcc_lo, 0, v25
	v_ashrrev_i32_e32 v121, 31, v121
	v_lshlrev_b32_e32 v120, 25, v21
	v_ashrrev_i32_e32 v22, 31, v22
	v_lshlrev_b32_e32 v25, 24, v21
	s_wait_alu 0xfffd
	v_xor_b32_e32 v20, vcc_lo, v20
	v_cmp_gt_i32_e32 vcc_lo, 0, v23
	v_not_b32_e32 v23, v24
	s_wait_alu 0xf1ff
	v_xor_b32_e32 v121, s15, v121
	v_cmp_gt_i32_e64 s15, 0, v24
	v_and_b32_e32 v20, exec_lo, v20
	v_not_b32_e32 v24, v26
	v_ashrrev_i32_e32 v23, 31, v23
	s_wait_alu 0xfffd
	v_xor_b32_e32 v22, vcc_lo, v22
	v_cmp_gt_i32_e32 vcc_lo, 0, v26
	v_and_b32_e32 v20, v20, v121
	v_not_b32_e32 v26, v27
	v_ashrrev_i32_e32 v24, 31, v24
	s_wait_alu 0xf1ff
	v_xor_b32_e32 v23, s15, v23
	v_cmp_gt_i32_e64 s15, 0, v27
	v_and_b32_e32 v20, v20, v22
	v_not_b32_e32 v22, v120
	v_ashrrev_i32_e32 v26, 31, v26
	s_wait_alu 0xfffd
	v_xor_b32_e32 v24, vcc_lo, v24
	v_cmp_gt_i32_e32 vcc_lo, 0, v120
	v_and_b32_e32 v20, v20, v23
	v_not_b32_e32 v23, v25
	v_ashrrev_i32_e32 v22, 31, v22
	s_wait_alu 0xf1ff
	v_xor_b32_e32 v26, s15, v26
	v_cmp_gt_i32_e64 s15, 0, v25
	v_and_b32_e32 v20, v20, v24
	v_ashrrev_i32_e32 v23, 31, v23
	s_wait_alu 0xfffd
	v_xor_b32_e32 v22, vcc_lo, v22
	v_mad_u32_u24 v24, v21, 36, v85
	v_mul_u32_u24_e32 v21, 36, v21
	v_and_b32_e32 v20, v20, v26
	s_wait_alu 0xf1ff
	v_xor_b32_e32 v23, s15, v23
	ds_load_b32 v120, v24 offset:1056
	v_add_nc_u32_e32 v122, v85, v21
	v_and_b32_e32 v20, v20, v22
	; wave barrier
	s_delay_alu instid0(VALU_DEP_1) | instskip(NEXT) | instid1(VALU_DEP_1)
	v_and_b32_e32 v20, v20, v23
	v_mbcnt_lo_u32_b32 v121, v20, 0
	v_cmp_ne_u32_e64 s15, 0, v20
	s_delay_alu instid0(VALU_DEP_2)
	v_cmp_eq_u32_e32 vcc_lo, 0, v121
	s_and_b32 s16, s15, vcc_lo
	s_wait_alu 0xfffe
	s_and_saveexec_b32 s15, s16
	s_cbranch_execz .LBB192_426
; %bb.425:                              ;   in Loop: Header=BB192_394 Depth=2
	s_wait_dscnt 0x0
	v_bcnt_u32_b32 v20, v20, v120
	ds_store_b32 v122, v20 offset:1056
.LBB192_426:                            ;   in Loop: Header=BB192_394 Depth=2
	s_wait_alu 0xfffe
	s_or_b32 exec_lo, exec_lo, s15
	v_and_b32_e32 v20, 0xff, v100
	; wave barrier
	s_delay_alu instid0(VALU_DEP_1) | instskip(NEXT) | instid1(VALU_DEP_1)
	v_lshrrev_b32_e32 v20, s45, v20
	v_and_b32_e32 v21, s31, v20
	s_delay_alu instid0(VALU_DEP_1)
	v_and_b32_e32 v20, 1, v21
	v_lshlrev_b32_e32 v22, 30, v21
	v_lshlrev_b32_e32 v23, 29, v21
	;; [unrolled: 1-line block ×4, first 2 shown]
	v_add_co_u32 v20, s15, v20, -1
	s_wait_alu 0xf1ff
	v_cndmask_b32_e64 v25, 0, 1, s15
	v_not_b32_e32 v124, v22
	v_cmp_gt_i32_e64 s15, 0, v22
	v_not_b32_e32 v22, v23
	v_lshlrev_b32_e32 v27, 26, v21
	v_cmp_ne_u32_e32 vcc_lo, 0, v25
	v_ashrrev_i32_e32 v124, 31, v124
	v_lshlrev_b32_e32 v123, 25, v21
	v_ashrrev_i32_e32 v22, 31, v22
	v_lshlrev_b32_e32 v25, 24, v21
	s_wait_alu 0xfffd
	v_xor_b32_e32 v20, vcc_lo, v20
	v_cmp_gt_i32_e32 vcc_lo, 0, v23
	v_not_b32_e32 v23, v24
	s_wait_alu 0xf1ff
	v_xor_b32_e32 v124, s15, v124
	v_cmp_gt_i32_e64 s15, 0, v24
	v_and_b32_e32 v20, exec_lo, v20
	v_not_b32_e32 v24, v26
	v_ashrrev_i32_e32 v23, 31, v23
	s_wait_alu 0xfffd
	v_xor_b32_e32 v22, vcc_lo, v22
	v_cmp_gt_i32_e32 vcc_lo, 0, v26
	v_and_b32_e32 v20, v20, v124
	v_not_b32_e32 v26, v27
	v_ashrrev_i32_e32 v24, 31, v24
	s_wait_alu 0xf1ff
	v_xor_b32_e32 v23, s15, v23
	v_cmp_gt_i32_e64 s15, 0, v27
	v_and_b32_e32 v20, v20, v22
	v_not_b32_e32 v22, v123
	v_ashrrev_i32_e32 v26, 31, v26
	s_wait_alu 0xfffd
	v_xor_b32_e32 v24, vcc_lo, v24
	v_cmp_gt_i32_e32 vcc_lo, 0, v123
	v_and_b32_e32 v20, v20, v23
	v_not_b32_e32 v23, v25
	v_ashrrev_i32_e32 v22, 31, v22
	s_wait_alu 0xf1ff
	v_xor_b32_e32 v26, s15, v26
	v_cmp_gt_i32_e64 s15, 0, v25
	v_and_b32_e32 v20, v20, v24
	v_ashrrev_i32_e32 v23, 31, v23
	s_wait_alu 0xfffd
	v_xor_b32_e32 v22, vcc_lo, v22
	v_mad_u32_u24 v24, v21, 36, v85
	v_mul_u32_u24_e32 v21, 36, v21
	v_and_b32_e32 v20, v20, v26
	s_wait_alu 0xf1ff
	v_xor_b32_e32 v23, s15, v23
	ds_load_b32 v123, v24 offset:1056
	v_add_nc_u32_e32 v125, v85, v21
	v_and_b32_e32 v20, v20, v22
	; wave barrier
	s_delay_alu instid0(VALU_DEP_1) | instskip(NEXT) | instid1(VALU_DEP_1)
	v_and_b32_e32 v20, v20, v23
	v_mbcnt_lo_u32_b32 v124, v20, 0
	v_cmp_ne_u32_e64 s15, 0, v20
	s_delay_alu instid0(VALU_DEP_2)
	v_cmp_eq_u32_e32 vcc_lo, 0, v124
	s_and_b32 s16, s15, vcc_lo
	s_wait_alu 0xfffe
	s_and_saveexec_b32 s15, s16
	s_cbranch_execz .LBB192_428
; %bb.427:                              ;   in Loop: Header=BB192_394 Depth=2
	s_wait_dscnt 0x0
	v_bcnt_u32_b32 v20, v20, v123
	ds_store_b32 v125, v20 offset:1056
.LBB192_428:                            ;   in Loop: Header=BB192_394 Depth=2
	s_wait_alu 0xfffe
	s_or_b32 exec_lo, exec_lo, s15
	v_and_b32_e32 v20, 0xff, v101
	; wave barrier
	s_delay_alu instid0(VALU_DEP_1) | instskip(NEXT) | instid1(VALU_DEP_1)
	v_lshrrev_b32_e32 v20, s45, v20
	v_and_b32_e32 v21, s31, v20
	s_delay_alu instid0(VALU_DEP_1)
	v_and_b32_e32 v20, 1, v21
	v_lshlrev_b32_e32 v22, 30, v21
	v_lshlrev_b32_e32 v23, 29, v21
	;; [unrolled: 1-line block ×4, first 2 shown]
	v_add_co_u32 v20, s15, v20, -1
	s_wait_alu 0xf1ff
	v_cndmask_b32_e64 v25, 0, 1, s15
	v_not_b32_e32 v127, v22
	v_cmp_gt_i32_e64 s15, 0, v22
	v_not_b32_e32 v22, v23
	v_lshlrev_b32_e32 v27, 26, v21
	v_cmp_ne_u32_e32 vcc_lo, 0, v25
	v_ashrrev_i32_e32 v127, 31, v127
	v_lshlrev_b32_e32 v126, 25, v21
	v_ashrrev_i32_e32 v22, 31, v22
	v_lshlrev_b32_e32 v25, 24, v21
	s_wait_alu 0xfffd
	v_xor_b32_e32 v20, vcc_lo, v20
	v_cmp_gt_i32_e32 vcc_lo, 0, v23
	v_not_b32_e32 v23, v24
	s_wait_alu 0xf1ff
	v_xor_b32_e32 v127, s15, v127
	v_cmp_gt_i32_e64 s15, 0, v24
	v_and_b32_e32 v20, exec_lo, v20
	v_not_b32_e32 v24, v26
	v_ashrrev_i32_e32 v23, 31, v23
	s_wait_alu 0xfffd
	v_xor_b32_e32 v22, vcc_lo, v22
	v_cmp_gt_i32_e32 vcc_lo, 0, v26
	v_and_b32_e32 v20, v20, v127
	v_not_b32_e32 v26, v27
	v_ashrrev_i32_e32 v24, 31, v24
	s_wait_alu 0xf1ff
	v_xor_b32_e32 v23, s15, v23
	v_cmp_gt_i32_e64 s15, 0, v27
	v_and_b32_e32 v20, v20, v22
	v_not_b32_e32 v22, v126
	v_ashrrev_i32_e32 v26, 31, v26
	s_wait_alu 0xfffd
	v_xor_b32_e32 v24, vcc_lo, v24
	v_cmp_gt_i32_e32 vcc_lo, 0, v126
	v_and_b32_e32 v20, v20, v23
	v_not_b32_e32 v23, v25
	v_ashrrev_i32_e32 v22, 31, v22
	s_wait_alu 0xf1ff
	v_xor_b32_e32 v26, s15, v26
	v_cmp_gt_i32_e64 s15, 0, v25
	v_and_b32_e32 v20, v20, v24
	v_ashrrev_i32_e32 v23, 31, v23
	s_wait_alu 0xfffd
	v_xor_b32_e32 v22, vcc_lo, v22
	v_mad_u32_u24 v24, v21, 36, v85
	v_mul_u32_u24_e32 v21, 36, v21
	v_and_b32_e32 v20, v20, v26
	s_wait_alu 0xf1ff
	v_xor_b32_e32 v23, s15, v23
	ds_load_b32 v126, v24 offset:1056
	v_add_nc_u32_e32 v128, v85, v21
	v_and_b32_e32 v20, v20, v22
	; wave barrier
	s_delay_alu instid0(VALU_DEP_1) | instskip(NEXT) | instid1(VALU_DEP_1)
	v_and_b32_e32 v20, v20, v23
	v_mbcnt_lo_u32_b32 v127, v20, 0
	v_cmp_ne_u32_e64 s15, 0, v20
	s_delay_alu instid0(VALU_DEP_2)
	v_cmp_eq_u32_e32 vcc_lo, 0, v127
	s_and_b32 s16, s15, vcc_lo
	s_wait_alu 0xfffe
	s_and_saveexec_b32 s15, s16
	s_cbranch_execz .LBB192_430
; %bb.429:                              ;   in Loop: Header=BB192_394 Depth=2
	s_wait_dscnt 0x0
	v_bcnt_u32_b32 v20, v20, v126
	ds_store_b32 v128, v20 offset:1056
.LBB192_430:                            ;   in Loop: Header=BB192_394 Depth=2
	s_wait_alu 0xfffe
	s_or_b32 exec_lo, exec_lo, s15
	; wave barrier
	s_wait_loadcnt_dscnt 0x0
	s_barrier_signal -1
	s_barrier_wait -1
	global_inv scope:SCOPE_SE
	ds_load_2addr_b32 v[26:27], v104 offset1:1
	ds_load_2addr_b32 v[24:25], v105 offset1:1
	;; [unrolled: 1-line block ×4, first 2 shown]
	ds_load_b32 v129, v45 offset:1088
	s_wait_dscnt 0x3
	v_add3_u32 v130, v27, v26, v24
	s_wait_dscnt 0x2
	s_delay_alu instid0(VALU_DEP_1) | instskip(SKIP_1) | instid1(VALU_DEP_1)
	v_add3_u32 v130, v130, v25, v22
	s_wait_dscnt 0x1
	v_add3_u32 v130, v130, v23, v20
	s_wait_dscnt 0x0
	s_delay_alu instid0(VALU_DEP_1) | instskip(NEXT) | instid1(VALU_DEP_1)
	v_add3_u32 v129, v130, v21, v129
	v_mov_b32_dpp v130, v129 row_shr:1 row_mask:0xf bank_mask:0xf
	s_delay_alu instid0(VALU_DEP_1) | instskip(NEXT) | instid1(VALU_DEP_1)
	v_cndmask_b32_e64 v130, v130, 0, s0
	v_add_nc_u32_e32 v129, v130, v129
	s_delay_alu instid0(VALU_DEP_1) | instskip(NEXT) | instid1(VALU_DEP_1)
	v_mov_b32_dpp v130, v129 row_shr:2 row_mask:0xf bank_mask:0xf
	v_cndmask_b32_e64 v130, 0, v130, s1
	s_delay_alu instid0(VALU_DEP_1) | instskip(NEXT) | instid1(VALU_DEP_1)
	v_add_nc_u32_e32 v129, v129, v130
	v_mov_b32_dpp v130, v129 row_shr:4 row_mask:0xf bank_mask:0xf
	s_delay_alu instid0(VALU_DEP_1) | instskip(NEXT) | instid1(VALU_DEP_1)
	v_cndmask_b32_e64 v130, 0, v130, s9
	v_add_nc_u32_e32 v129, v129, v130
	s_delay_alu instid0(VALU_DEP_1) | instskip(NEXT) | instid1(VALU_DEP_1)
	v_mov_b32_dpp v130, v129 row_shr:8 row_mask:0xf bank_mask:0xf
	v_cndmask_b32_e64 v130, 0, v130, s10
	s_delay_alu instid0(VALU_DEP_1) | instskip(SKIP_3) | instid1(VALU_DEP_1)
	v_add_nc_u32_e32 v129, v129, v130
	ds_swizzle_b32 v130, v129 offset:swizzle(BROADCAST,32,15)
	s_wait_dscnt 0x0
	v_cndmask_b32_e64 v130, v130, 0, s11
	v_add_nc_u32_e32 v129, v129, v130
	s_and_saveexec_b32 s15, s3
; %bb.431:                              ;   in Loop: Header=BB192_394 Depth=2
	ds_store_b32 v38, v129 offset:1024
; %bb.432:                              ;   in Loop: Header=BB192_394 Depth=2
	s_wait_alu 0xfffe
	s_or_b32 exec_lo, exec_lo, s15
	s_wait_loadcnt_dscnt 0x0
	s_barrier_signal -1
	s_barrier_wait -1
	global_inv scope:SCOPE_SE
	s_and_saveexec_b32 s15, s4
	s_cbranch_execz .LBB192_434
; %bb.433:                              ;   in Loop: Header=BB192_394 Depth=2
	v_add_nc_u32_e32 v130, v45, v46
	ds_load_b32 v131, v130 offset:1024
	s_wait_dscnt 0x0
	v_mov_b32_dpp v132, v131 row_shr:1 row_mask:0xf bank_mask:0xf
	s_delay_alu instid0(VALU_DEP_1) | instskip(NEXT) | instid1(VALU_DEP_1)
	v_cndmask_b32_e64 v132, v132, 0, s12
	v_add_nc_u32_e32 v131, v132, v131
	s_delay_alu instid0(VALU_DEP_1) | instskip(NEXT) | instid1(VALU_DEP_1)
	v_mov_b32_dpp v132, v131 row_shr:2 row_mask:0xf bank_mask:0xf
	v_cndmask_b32_e64 v132, 0, v132, s13
	s_delay_alu instid0(VALU_DEP_1) | instskip(NEXT) | instid1(VALU_DEP_1)
	v_add_nc_u32_e32 v131, v131, v132
	v_mov_b32_dpp v132, v131 row_shr:4 row_mask:0xf bank_mask:0xf
	s_delay_alu instid0(VALU_DEP_1) | instskip(NEXT) | instid1(VALU_DEP_1)
	v_cndmask_b32_e64 v132, 0, v132, s14
	v_add_nc_u32_e32 v131, v131, v132
	ds_store_b32 v130, v131 offset:1024
.LBB192_434:                            ;   in Loop: Header=BB192_394 Depth=2
	s_wait_alu 0xfffe
	s_or_b32 exec_lo, exec_lo, s15
	v_mov_b32_e32 v130, 0
	s_wait_loadcnt_dscnt 0x0
	s_barrier_signal -1
	s_barrier_wait -1
	global_inv scope:SCOPE_SE
	s_and_saveexec_b32 s15, s5
; %bb.435:                              ;   in Loop: Header=BB192_394 Depth=2
	ds_load_b32 v130, v38 offset:1020
; %bb.436:                              ;   in Loop: Header=BB192_394 Depth=2
	s_wait_alu 0xfffe
	s_or_b32 exec_lo, exec_lo, s15
	s_wait_dscnt 0x0
	v_add_nc_u32_e32 v129, v130, v129
	ds_bpermute_b32 v129, v80, v129
	s_wait_dscnt 0x0
	v_cndmask_b32_e64 v129, v129, v130, s8
	s_delay_alu instid0(VALU_DEP_1) | instskip(NEXT) | instid1(VALU_DEP_1)
	v_cndmask_b32_e64 v129, v129, 0, s6
	v_add_nc_u32_e32 v26, v129, v26
	s_delay_alu instid0(VALU_DEP_1) | instskip(NEXT) | instid1(VALU_DEP_1)
	v_add_nc_u32_e32 v27, v26, v27
	v_add_nc_u32_e32 v24, v27, v24
	s_delay_alu instid0(VALU_DEP_1) | instskip(NEXT) | instid1(VALU_DEP_1)
	v_add_nc_u32_e32 v25, v24, v25
	;; [unrolled: 3-line block ×3, first 2 shown]
	v_add_nc_u32_e32 v20, v23, v20
	s_delay_alu instid0(VALU_DEP_1)
	v_add_nc_u32_e32 v21, v20, v21
	ds_store_2addr_b32 v103, v23, v20 offset1:1
	ds_store_2addr_b32 v104, v129, v26 offset1:1
	;; [unrolled: 1-line block ×4, first 2 shown]
	ds_store_b32 v45, v21 offset:1088
	s_wait_loadcnt_dscnt 0x0
	s_barrier_signal -1
	s_barrier_wait -1
	global_inv scope:SCOPE_SE
	ds_load_b32 v20, v107 offset:1056
	ds_load_b32 v21, v110 offset:1056
	;; [unrolled: 1-line block ×9, first 2 shown]
	v_mov_b32_e32 v22, 0x800
	s_and_saveexec_b32 s15, s7
; %bb.437:                              ;   in Loop: Header=BB192_394 Depth=2
	ds_load_b32 v22, v45 offset:1092
; %bb.438:                              ;   in Loop: Header=BB192_394 Depth=2
	s_wait_alu 0xfffe
	s_or_b32 exec_lo, exec_lo, s15
	s_wait_loadcnt_dscnt 0x0
	s_barrier_signal -1
	s_barrier_wait -1
	global_inv scope:SCOPE_SE
	s_and_saveexec_b32 s15, s2
	s_cbranch_execz .LBB192_440
; %bb.439:                              ;   in Loop: Header=BB192_394 Depth=2
	ds_load_b32 v27, v28
	s_wait_dscnt 0x0
	v_sub_nc_u32_e32 v26, v27, v26
	ds_store_b32 v28, v26
.LBB192_440:                            ;   in Loop: Header=BB192_394 Depth=2
	s_wait_alu 0xfffe
	s_or_b32 exec_lo, exec_lo, s15
	v_add_nc_u32_e32 v104, v20, v102
	v_add3_u32 v103, v109, v108, v21
	v_add3_u32 v102, v112, v111, v23
	;; [unrolled: 1-line block ×7, first 2 shown]
	v_cmp_lt_u32_e64 s21, v1, v2
	ds_store_b8 v104, v94 offset:1024
	ds_store_b8 v103, v95 offset:1024
	;; [unrolled: 1-line block ×8, first 2 shown]
	s_wait_loadcnt_dscnt 0x0
	s_barrier_signal -1
	s_barrier_wait -1
	global_inv scope:SCOPE_SE
	s_and_saveexec_b32 s15, s21
	s_cbranch_execnz .LBB192_477
; %bb.441:                              ;   in Loop: Header=BB192_394 Depth=2
	s_wait_alu 0xfffe
	s_or_b32 exec_lo, exec_lo, s15
	v_cmp_lt_u32_e64 s20, v29, v2
	s_and_saveexec_b32 s15, s20
	s_cbranch_execnz .LBB192_478
.LBB192_442:                            ;   in Loop: Header=BB192_394 Depth=2
	s_wait_alu 0xfffe
	s_or_b32 exec_lo, exec_lo, s15
	v_cmp_lt_u32_e64 s19, v30, v2
	s_and_saveexec_b32 s15, s19
	s_cbranch_execnz .LBB192_479
.LBB192_443:                            ;   in Loop: Header=BB192_394 Depth=2
	s_wait_alu 0xfffe
	s_or_b32 exec_lo, exec_lo, s15
	v_cmp_lt_u32_e64 s18, v31, v2
	s_and_saveexec_b32 s15, s18
	s_cbranch_execnz .LBB192_480
.LBB192_444:                            ;   in Loop: Header=BB192_394 Depth=2
	s_wait_alu 0xfffe
	s_or_b32 exec_lo, exec_lo, s15
	v_cmp_lt_u32_e64 s17, v34, v2
	s_and_saveexec_b32 s15, s17
	s_cbranch_execnz .LBB192_481
.LBB192_445:                            ;   in Loop: Header=BB192_394 Depth=2
	s_wait_alu 0xfffe
	s_or_b32 exec_lo, exec_lo, s15
	v_cmp_lt_u32_e64 s16, v35, v2
	s_and_saveexec_b32 s15, s16
	s_cbranch_execnz .LBB192_482
.LBB192_446:                            ;   in Loop: Header=BB192_394 Depth=2
	s_wait_alu 0xfffe
	s_or_b32 exec_lo, exec_lo, s15
	v_cmp_lt_u32_e64 s15, v36, v2
	s_and_saveexec_b32 s44, s15
	s_cbranch_execnz .LBB192_483
.LBB192_447:                            ;   in Loop: Header=BB192_394 Depth=2
	s_wait_alu 0xfffe
	s_or_b32 exec_lo, exec_lo, s44
	v_cmp_lt_u32_e32 vcc_lo, v37, v2
	s_and_saveexec_b32 s44, vcc_lo
	s_cbranch_execz .LBB192_449
.LBB192_448:                            ;   in Loop: Header=BB192_394 Depth=2
	ds_load_u8 v20, v1 offset:2816
	s_wait_dscnt 0x0
	v_and_b32_e32 v21, 0xff, v20
	s_delay_alu instid0(VALU_DEP_1) | instskip(NEXT) | instid1(VALU_DEP_1)
	v_lshrrev_b32_e32 v21, s45, v21
	v_and_b32_e32 v21, s31, v21
	s_delay_alu instid0(VALU_DEP_1)
	v_lshlrev_b32_e32 v21, 2, v21
	ds_load_b32 v21, v21
	s_wait_dscnt 0x0
	v_add_nc_u32_e32 v21, v21, v37
	global_store_b8 v21, v20, s[38:39]
.LBB192_449:                            ;   in Loop: Header=BB192_394 Depth=2
	s_wait_alu 0xfffe
	s_or_b32 exec_lo, exec_lo, s44
	s_lshl_b64 s[48:49], s[22:23], 3
	s_wait_alu 0xfffe
	v_add_co_u32 v20, s22, v81, s48
	s_wait_alu 0xf1ff
	v_add_co_ci_u32_e64 v21, null, s49, v82, s22
	v_cmp_lt_u32_e64 s22, v68, v2
	s_and_saveexec_b32 s44, s22
	s_wait_alu 0xfffe
	s_xor_b32 s22, exec_lo, s44
	s_cbranch_execnz .LBB192_484
; %bb.450:                              ;   in Loop: Header=BB192_394 Depth=2
	s_wait_alu 0xfffe
	s_or_b32 exec_lo, exec_lo, s22
	s_delay_alu instid0(SALU_CYCLE_1)
	s_mov_b32 s44, exec_lo
	v_cmpx_lt_u32_e64 v71, v2
	s_cbranch_execnz .LBB192_485
.LBB192_451:                            ;   in Loop: Header=BB192_394 Depth=2
	s_wait_alu 0xfffe
	s_or_b32 exec_lo, exec_lo, s44
	s_delay_alu instid0(SALU_CYCLE_1)
	s_mov_b32 s44, exec_lo
	v_cmpx_lt_u32_e64 v72, v2
	s_cbranch_execnz .LBB192_486
.LBB192_452:                            ;   in Loop: Header=BB192_394 Depth=2
	s_wait_alu 0xfffe
	s_or_b32 exec_lo, exec_lo, s44
	s_delay_alu instid0(SALU_CYCLE_1)
	s_mov_b32 s44, exec_lo
	v_cmpx_lt_u32_e64 v73, v2
	s_cbranch_execnz .LBB192_487
.LBB192_453:                            ;   in Loop: Header=BB192_394 Depth=2
	s_wait_alu 0xfffe
	s_or_b32 exec_lo, exec_lo, s44
	s_delay_alu instid0(SALU_CYCLE_1)
	s_mov_b32 s44, exec_lo
	v_cmpx_lt_u32_e64 v74, v2
	s_cbranch_execnz .LBB192_488
.LBB192_454:                            ;   in Loop: Header=BB192_394 Depth=2
	s_wait_alu 0xfffe
	s_or_b32 exec_lo, exec_lo, s44
	s_delay_alu instid0(SALU_CYCLE_1)
	s_mov_b32 s44, exec_lo
	v_cmpx_lt_u32_e64 v75, v2
	s_cbranch_execnz .LBB192_489
.LBB192_455:                            ;   in Loop: Header=BB192_394 Depth=2
	s_wait_alu 0xfffe
	s_or_b32 exec_lo, exec_lo, s44
	s_delay_alu instid0(SALU_CYCLE_1)
	s_mov_b32 s44, exec_lo
	v_cmpx_lt_u32_e64 v76, v2
	s_cbranch_execnz .LBB192_490
.LBB192_456:                            ;   in Loop: Header=BB192_394 Depth=2
	s_wait_alu 0xfffe
	s_or_b32 exec_lo, exec_lo, s44
	s_delay_alu instid0(SALU_CYCLE_1)
	s_mov_b32 s44, exec_lo
	v_cmpx_lt_u32_e64 v77, v2
	s_cbranch_execnz .LBB192_491
.LBB192_457:                            ;   in Loop: Header=BB192_394 Depth=2
	s_wait_alu 0xfffe
	s_or_b32 exec_lo, exec_lo, s44
	s_and_saveexec_b32 s22, s21
	s_cbranch_execnz .LBB192_492
.LBB192_458:                            ;   in Loop: Header=BB192_394 Depth=2
	s_wait_alu 0xfffe
	s_or_b32 exec_lo, exec_lo, s22
	s_and_saveexec_b32 s22, s20
	s_cbranch_execnz .LBB192_493
.LBB192_459:                            ;   in Loop: Header=BB192_394 Depth=2
	s_wait_alu 0xfffe
	s_or_b32 exec_lo, exec_lo, s22
	s_and_saveexec_b32 s22, s19
	s_cbranch_execnz .LBB192_494
.LBB192_460:                            ;   in Loop: Header=BB192_394 Depth=2
	s_wait_alu 0xfffe
	s_or_b32 exec_lo, exec_lo, s22
	s_and_saveexec_b32 s22, s18
	s_cbranch_execnz .LBB192_495
.LBB192_461:                            ;   in Loop: Header=BB192_394 Depth=2
	s_wait_alu 0xfffe
	s_or_b32 exec_lo, exec_lo, s22
	s_and_saveexec_b32 s22, s17
	s_cbranch_execnz .LBB192_496
.LBB192_462:                            ;   in Loop: Header=BB192_394 Depth=2
	s_wait_alu 0xfffe
	s_or_b32 exec_lo, exec_lo, s22
	s_and_saveexec_b32 s22, s16
	s_cbranch_execnz .LBB192_497
.LBB192_463:                            ;   in Loop: Header=BB192_394 Depth=2
	s_wait_alu 0xfffe
	s_or_b32 exec_lo, exec_lo, s22
	s_and_saveexec_b32 s22, s15
	s_cbranch_execnz .LBB192_498
.LBB192_464:                            ;   in Loop: Header=BB192_394 Depth=2
	s_wait_alu 0xfffe
	s_or_b32 exec_lo, exec_lo, s22
	s_and_saveexec_b32 s22, vcc_lo
	s_cbranch_execz .LBB192_466
.LBB192_465:                            ;   in Loop: Header=BB192_394 Depth=2
	ds_load_u8 v2, v1 offset:2816
	s_wait_dscnt 0x0
	v_lshrrev_b32_e32 v2, s45, v2
	s_delay_alu instid0(VALU_DEP_1)
	v_and_b32_e32 v86, s31, v2
.LBB192_466:                            ;   in Loop: Header=BB192_394 Depth=2
	s_wait_alu 0xfffe
	s_or_b32 exec_lo, exec_lo, s22
	v_lshlrev_b32_e32 v2, 3, v104
	v_lshlrev_b32_e32 v20, 3, v103
	;; [unrolled: 1-line block ×3, first 2 shown]
	s_wait_loadcnt 0x0
	s_wait_storecnt 0x0
	s_barrier_signal -1
	s_barrier_wait -1
	global_inv scope:SCOPE_SE
	ds_store_b64 v2, v[18:19] offset:1024
	ds_store_b64 v20, v[16:17] offset:1024
	;; [unrolled: 1-line block ×3, first 2 shown]
	v_lshlrev_b32_e32 v2, 3, v27
	v_lshlrev_b32_e32 v20, 3, v26
	;; [unrolled: 1-line block ×5, first 2 shown]
	ds_store_b64 v2, v[12:13] offset:1024
	ds_store_b64 v20, v[10:11] offset:1024
	;; [unrolled: 1-line block ×5, first 2 shown]
	s_wait_loadcnt_dscnt 0x0
	s_barrier_signal -1
	s_barrier_wait -1
	global_inv scope:SCOPE_SE
	s_and_saveexec_b32 s22, s21
	s_cbranch_execnz .LBB192_499
; %bb.467:                              ;   in Loop: Header=BB192_394 Depth=2
	s_wait_alu 0xfffe
	s_or_b32 exec_lo, exec_lo, s22
	s_and_saveexec_b32 s21, s20
	s_cbranch_execnz .LBB192_500
.LBB192_468:                            ;   in Loop: Header=BB192_394 Depth=2
	s_wait_alu 0xfffe
	s_or_b32 exec_lo, exec_lo, s21
	s_and_saveexec_b32 s20, s19
	s_cbranch_execnz .LBB192_501
.LBB192_469:                            ;   in Loop: Header=BB192_394 Depth=2
	s_wait_alu 0xfffe
	s_or_b32 exec_lo, exec_lo, s20
	s_and_saveexec_b32 s19, s18
	s_cbranch_execnz .LBB192_502
.LBB192_470:                            ;   in Loop: Header=BB192_394 Depth=2
	s_wait_alu 0xfffe
	s_or_b32 exec_lo, exec_lo, s19
	s_and_saveexec_b32 s18, s17
	s_cbranch_execnz .LBB192_503
.LBB192_471:                            ;   in Loop: Header=BB192_394 Depth=2
	s_wait_alu 0xfffe
	s_or_b32 exec_lo, exec_lo, s18
	s_and_saveexec_b32 s17, s16
	s_cbranch_execnz .LBB192_504
.LBB192_472:                            ;   in Loop: Header=BB192_394 Depth=2
	s_wait_alu 0xfffe
	s_or_b32 exec_lo, exec_lo, s17
	s_and_saveexec_b32 s16, s15
	s_cbranch_execnz .LBB192_505
.LBB192_473:                            ;   in Loop: Header=BB192_394 Depth=2
	s_wait_alu 0xfffe
	s_or_b32 exec_lo, exec_lo, s16
	s_and_saveexec_b32 s15, vcc_lo
	s_cbranch_execz .LBB192_475
.LBB192_474:                            ;   in Loop: Header=BB192_394 Depth=2
	v_lshlrev_b32_e32 v2, 2, v86
	v_add_nc_u32_e32 v20, v1, v47
	ds_load_b32 v2, v2
	ds_load_b64 v[20:21], v20 offset:15360
	s_wait_dscnt 0x1
	v_add_nc_u32_e32 v2, v2, v37
	s_delay_alu instid0(VALU_DEP_1) | instskip(NEXT) | instid1(VALU_DEP_1)
	v_lshlrev_b64_e32 v[23:24], 3, v[2:3]
	v_add_co_u32 v23, vcc_lo, s24, v23
	s_wait_alu 0xfffd
	s_delay_alu instid0(VALU_DEP_2)
	v_add_co_ci_u32_e64 v24, null, s25, v24, vcc_lo
	s_wait_dscnt 0x0
	global_store_b64 v[23:24], v[20:21], off
.LBB192_475:                            ;   in Loop: Header=BB192_394 Depth=2
	s_wait_alu 0xfffe
	s_or_b32 exec_lo, exec_lo, s15
	s_wait_loadcnt 0x0
	s_wait_storecnt 0x0
	s_barrier_signal -1
	s_barrier_wait -1
	global_inv scope:SCOPE_SE
	s_and_saveexec_b32 s15, s2
	s_cbranch_execz .LBB192_393
; %bb.476:                              ;   in Loop: Header=BB192_394 Depth=2
	ds_load_b32 v2, v28
	s_wait_dscnt 0x0
	v_add_nc_u32_e32 v2, v2, v22
	ds_store_b32 v28, v2
	s_branch .LBB192_393
.LBB192_477:                            ;   in Loop: Header=BB192_394 Depth=2
	ds_load_u8 v20, v1 offset:1024
	s_wait_dscnt 0x0
	v_and_b32_e32 v21, 0xff, v20
	s_delay_alu instid0(VALU_DEP_1) | instskip(NEXT) | instid1(VALU_DEP_1)
	v_lshrrev_b32_e32 v21, s45, v21
	v_and_b32_e32 v21, s31, v21
	s_delay_alu instid0(VALU_DEP_1)
	v_lshlrev_b32_e32 v21, 2, v21
	ds_load_b32 v21, v21
	s_wait_dscnt 0x0
	v_add_nc_u32_e32 v21, v21, v1
	global_store_b8 v21, v20, s[38:39]
	s_wait_alu 0xfffe
	s_or_b32 exec_lo, exec_lo, s15
	v_cmp_lt_u32_e64 s20, v29, v2
	s_and_saveexec_b32 s15, s20
	s_cbranch_execz .LBB192_442
.LBB192_478:                            ;   in Loop: Header=BB192_394 Depth=2
	ds_load_u8 v20, v1 offset:1280
	s_wait_dscnt 0x0
	v_and_b32_e32 v21, 0xff, v20
	s_delay_alu instid0(VALU_DEP_1) | instskip(NEXT) | instid1(VALU_DEP_1)
	v_lshrrev_b32_e32 v21, s45, v21
	v_and_b32_e32 v21, s31, v21
	s_delay_alu instid0(VALU_DEP_1)
	v_lshlrev_b32_e32 v21, 2, v21
	ds_load_b32 v21, v21
	s_wait_dscnt 0x0
	v_add_nc_u32_e32 v21, v21, v29
	global_store_b8 v21, v20, s[38:39]
	s_wait_alu 0xfffe
	s_or_b32 exec_lo, exec_lo, s15
	v_cmp_lt_u32_e64 s19, v30, v2
	s_and_saveexec_b32 s15, s19
	s_cbranch_execz .LBB192_443
.LBB192_479:                            ;   in Loop: Header=BB192_394 Depth=2
	ds_load_u8 v20, v1 offset:1536
	s_wait_dscnt 0x0
	v_and_b32_e32 v21, 0xff, v20
	s_delay_alu instid0(VALU_DEP_1) | instskip(NEXT) | instid1(VALU_DEP_1)
	v_lshrrev_b32_e32 v21, s45, v21
	v_and_b32_e32 v21, s31, v21
	s_delay_alu instid0(VALU_DEP_1)
	v_lshlrev_b32_e32 v21, 2, v21
	ds_load_b32 v21, v21
	s_wait_dscnt 0x0
	v_add_nc_u32_e32 v21, v21, v30
	global_store_b8 v21, v20, s[38:39]
	s_wait_alu 0xfffe
	s_or_b32 exec_lo, exec_lo, s15
	v_cmp_lt_u32_e64 s18, v31, v2
	s_and_saveexec_b32 s15, s18
	s_cbranch_execz .LBB192_444
.LBB192_480:                            ;   in Loop: Header=BB192_394 Depth=2
	ds_load_u8 v20, v1 offset:1792
	s_wait_dscnt 0x0
	v_and_b32_e32 v21, 0xff, v20
	s_delay_alu instid0(VALU_DEP_1) | instskip(NEXT) | instid1(VALU_DEP_1)
	v_lshrrev_b32_e32 v21, s45, v21
	v_and_b32_e32 v21, s31, v21
	s_delay_alu instid0(VALU_DEP_1)
	v_lshlrev_b32_e32 v21, 2, v21
	ds_load_b32 v21, v21
	s_wait_dscnt 0x0
	v_add_nc_u32_e32 v21, v21, v31
	global_store_b8 v21, v20, s[38:39]
	s_wait_alu 0xfffe
	s_or_b32 exec_lo, exec_lo, s15
	v_cmp_lt_u32_e64 s17, v34, v2
	s_and_saveexec_b32 s15, s17
	s_cbranch_execz .LBB192_445
.LBB192_481:                            ;   in Loop: Header=BB192_394 Depth=2
	ds_load_u8 v20, v1 offset:2048
	s_wait_dscnt 0x0
	v_and_b32_e32 v21, 0xff, v20
	s_delay_alu instid0(VALU_DEP_1) | instskip(NEXT) | instid1(VALU_DEP_1)
	v_lshrrev_b32_e32 v21, s45, v21
	v_and_b32_e32 v21, s31, v21
	s_delay_alu instid0(VALU_DEP_1)
	v_lshlrev_b32_e32 v21, 2, v21
	ds_load_b32 v21, v21
	s_wait_dscnt 0x0
	v_add_nc_u32_e32 v21, v21, v34
	global_store_b8 v21, v20, s[38:39]
	s_wait_alu 0xfffe
	s_or_b32 exec_lo, exec_lo, s15
	v_cmp_lt_u32_e64 s16, v35, v2
	s_and_saveexec_b32 s15, s16
	s_cbranch_execz .LBB192_446
.LBB192_482:                            ;   in Loop: Header=BB192_394 Depth=2
	ds_load_u8 v20, v1 offset:2304
	s_wait_dscnt 0x0
	v_and_b32_e32 v21, 0xff, v20
	s_delay_alu instid0(VALU_DEP_1) | instskip(NEXT) | instid1(VALU_DEP_1)
	v_lshrrev_b32_e32 v21, s45, v21
	v_and_b32_e32 v21, s31, v21
	s_delay_alu instid0(VALU_DEP_1)
	v_lshlrev_b32_e32 v21, 2, v21
	ds_load_b32 v21, v21
	s_wait_dscnt 0x0
	v_add_nc_u32_e32 v21, v21, v35
	global_store_b8 v21, v20, s[38:39]
	s_wait_alu 0xfffe
	s_or_b32 exec_lo, exec_lo, s15
	v_cmp_lt_u32_e64 s15, v36, v2
	s_and_saveexec_b32 s44, s15
	s_cbranch_execz .LBB192_447
.LBB192_483:                            ;   in Loop: Header=BB192_394 Depth=2
	ds_load_u8 v20, v1 offset:2560
	s_wait_dscnt 0x0
	v_and_b32_e32 v21, 0xff, v20
	s_delay_alu instid0(VALU_DEP_1) | instskip(NEXT) | instid1(VALU_DEP_1)
	v_lshrrev_b32_e32 v21, s45, v21
	v_and_b32_e32 v21, s31, v21
	s_delay_alu instid0(VALU_DEP_1)
	v_lshlrev_b32_e32 v21, 2, v21
	ds_load_b32 v21, v21
	s_wait_dscnt 0x0
	v_add_nc_u32_e32 v21, v21, v36
	global_store_b8 v21, v20, s[38:39]
	s_wait_alu 0xfffe
	s_or_b32 exec_lo, exec_lo, s44
	v_cmp_lt_u32_e32 vcc_lo, v37, v2
	s_and_saveexec_b32 s44, vcc_lo
	s_cbranch_execnz .LBB192_448
	s_branch .LBB192_449
.LBB192_484:                            ;   in Loop: Header=BB192_394 Depth=2
	global_load_b64 v[18:19], v[20:21], off
	s_wait_alu 0xfffe
	s_or_b32 exec_lo, exec_lo, s22
	s_delay_alu instid0(SALU_CYCLE_1)
	s_mov_b32 s44, exec_lo
	v_cmpx_lt_u32_e64 v71, v2
	s_cbranch_execz .LBB192_451
.LBB192_485:                            ;   in Loop: Header=BB192_394 Depth=2
	global_load_b64 v[16:17], v[20:21], off offset:256
	s_wait_alu 0xfffe
	s_or_b32 exec_lo, exec_lo, s44
	s_delay_alu instid0(SALU_CYCLE_1)
	s_mov_b32 s44, exec_lo
	v_cmpx_lt_u32_e64 v72, v2
	s_cbranch_execz .LBB192_452
.LBB192_486:                            ;   in Loop: Header=BB192_394 Depth=2
	global_load_b64 v[14:15], v[20:21], off offset:512
	s_wait_alu 0xfffe
	s_or_b32 exec_lo, exec_lo, s44
	s_delay_alu instid0(SALU_CYCLE_1)
	s_mov_b32 s44, exec_lo
	v_cmpx_lt_u32_e64 v73, v2
	s_cbranch_execz .LBB192_453
.LBB192_487:                            ;   in Loop: Header=BB192_394 Depth=2
	global_load_b64 v[12:13], v[20:21], off offset:768
	s_wait_alu 0xfffe
	s_or_b32 exec_lo, exec_lo, s44
	s_delay_alu instid0(SALU_CYCLE_1)
	s_mov_b32 s44, exec_lo
	v_cmpx_lt_u32_e64 v74, v2
	s_cbranch_execz .LBB192_454
.LBB192_488:                            ;   in Loop: Header=BB192_394 Depth=2
	global_load_b64 v[10:11], v[20:21], off offset:1024
	s_wait_alu 0xfffe
	s_or_b32 exec_lo, exec_lo, s44
	s_delay_alu instid0(SALU_CYCLE_1)
	s_mov_b32 s44, exec_lo
	v_cmpx_lt_u32_e64 v75, v2
	s_cbranch_execz .LBB192_455
.LBB192_489:                            ;   in Loop: Header=BB192_394 Depth=2
	global_load_b64 v[8:9], v[20:21], off offset:1280
	s_wait_alu 0xfffe
	s_or_b32 exec_lo, exec_lo, s44
	s_delay_alu instid0(SALU_CYCLE_1)
	s_mov_b32 s44, exec_lo
	v_cmpx_lt_u32_e64 v76, v2
	s_cbranch_execz .LBB192_456
.LBB192_490:                            ;   in Loop: Header=BB192_394 Depth=2
	global_load_b64 v[6:7], v[20:21], off offset:1536
	s_wait_alu 0xfffe
	s_or_b32 exec_lo, exec_lo, s44
	s_delay_alu instid0(SALU_CYCLE_1)
	s_mov_b32 s44, exec_lo
	v_cmpx_lt_u32_e64 v77, v2
	s_cbranch_execz .LBB192_457
.LBB192_491:                            ;   in Loop: Header=BB192_394 Depth=2
	global_load_b64 v[4:5], v[20:21], off offset:1792
	s_wait_alu 0xfffe
	s_or_b32 exec_lo, exec_lo, s44
	s_and_saveexec_b32 s22, s21
	s_cbranch_execz .LBB192_458
.LBB192_492:                            ;   in Loop: Header=BB192_394 Depth=2
	ds_load_u8 v2, v1 offset:1024
	s_wait_dscnt 0x0
	v_lshrrev_b32_e32 v2, s45, v2
	s_delay_alu instid0(VALU_DEP_1)
	v_and_b32_e32 v93, s31, v2
	s_wait_alu 0xfffe
	s_or_b32 exec_lo, exec_lo, s22
	s_and_saveexec_b32 s22, s20
	s_cbranch_execz .LBB192_459
.LBB192_493:                            ;   in Loop: Header=BB192_394 Depth=2
	ds_load_u8 v2, v1 offset:1280
	s_wait_dscnt 0x0
	v_lshrrev_b32_e32 v2, s45, v2
	s_delay_alu instid0(VALU_DEP_1)
	v_and_b32_e32 v92, s31, v2
	s_wait_alu 0xfffe
	s_or_b32 exec_lo, exec_lo, s22
	s_and_saveexec_b32 s22, s19
	s_cbranch_execz .LBB192_460
.LBB192_494:                            ;   in Loop: Header=BB192_394 Depth=2
	ds_load_u8 v2, v1 offset:1536
	s_wait_dscnt 0x0
	v_lshrrev_b32_e32 v2, s45, v2
	s_delay_alu instid0(VALU_DEP_1)
	v_and_b32_e32 v91, s31, v2
	s_wait_alu 0xfffe
	s_or_b32 exec_lo, exec_lo, s22
	s_and_saveexec_b32 s22, s18
	s_cbranch_execz .LBB192_461
.LBB192_495:                            ;   in Loop: Header=BB192_394 Depth=2
	ds_load_u8 v2, v1 offset:1792
	s_wait_dscnt 0x0
	v_lshrrev_b32_e32 v2, s45, v2
	s_delay_alu instid0(VALU_DEP_1)
	v_and_b32_e32 v90, s31, v2
	s_wait_alu 0xfffe
	s_or_b32 exec_lo, exec_lo, s22
	s_and_saveexec_b32 s22, s17
	s_cbranch_execz .LBB192_462
.LBB192_496:                            ;   in Loop: Header=BB192_394 Depth=2
	ds_load_u8 v2, v1 offset:2048
	s_wait_dscnt 0x0
	v_lshrrev_b32_e32 v2, s45, v2
	s_delay_alu instid0(VALU_DEP_1)
	v_and_b32_e32 v89, s31, v2
	s_wait_alu 0xfffe
	s_or_b32 exec_lo, exec_lo, s22
	s_and_saveexec_b32 s22, s16
	s_cbranch_execz .LBB192_463
.LBB192_497:                            ;   in Loop: Header=BB192_394 Depth=2
	ds_load_u8 v2, v1 offset:2304
	s_wait_dscnt 0x0
	v_lshrrev_b32_e32 v2, s45, v2
	s_delay_alu instid0(VALU_DEP_1)
	v_and_b32_e32 v88, s31, v2
	s_wait_alu 0xfffe
	s_or_b32 exec_lo, exec_lo, s22
	s_and_saveexec_b32 s22, s15
	s_cbranch_execz .LBB192_464
.LBB192_498:                            ;   in Loop: Header=BB192_394 Depth=2
	ds_load_u8 v2, v1 offset:2560
	s_wait_dscnt 0x0
	v_lshrrev_b32_e32 v2, s45, v2
	s_delay_alu instid0(VALU_DEP_1)
	v_and_b32_e32 v87, s31, v2
	s_wait_alu 0xfffe
	s_or_b32 exec_lo, exec_lo, s22
	s_and_saveexec_b32 s22, vcc_lo
	s_cbranch_execnz .LBB192_465
	s_branch .LBB192_466
.LBB192_499:                            ;   in Loop: Header=BB192_394 Depth=2
	v_lshlrev_b32_e32 v2, 2, v93
	v_add_nc_u32_e32 v20, v1, v47
	ds_load_b32 v2, v2
	ds_load_b64 v[20:21], v20 offset:1024
	s_wait_dscnt 0x1
	v_add_nc_u32_e32 v2, v2, v1
	s_delay_alu instid0(VALU_DEP_1) | instskip(NEXT) | instid1(VALU_DEP_1)
	v_lshlrev_b64_e32 v[23:24], 3, v[2:3]
	v_add_co_u32 v23, s21, s24, v23
	s_wait_alu 0xf1ff
	s_delay_alu instid0(VALU_DEP_2)
	v_add_co_ci_u32_e64 v24, null, s25, v24, s21
	s_wait_dscnt 0x0
	global_store_b64 v[23:24], v[20:21], off
	s_wait_alu 0xfffe
	s_or_b32 exec_lo, exec_lo, s22
	s_and_saveexec_b32 s21, s20
	s_cbranch_execz .LBB192_468
.LBB192_500:                            ;   in Loop: Header=BB192_394 Depth=2
	v_lshlrev_b32_e32 v2, 2, v92
	v_add_nc_u32_e32 v20, v1, v47
	ds_load_b32 v2, v2
	ds_load_b64 v[20:21], v20 offset:3072
	s_wait_dscnt 0x1
	v_add_nc_u32_e32 v2, v2, v29
	s_delay_alu instid0(VALU_DEP_1) | instskip(NEXT) | instid1(VALU_DEP_1)
	v_lshlrev_b64_e32 v[23:24], 3, v[2:3]
	v_add_co_u32 v23, s20, s24, v23
	s_wait_alu 0xf1ff
	s_delay_alu instid0(VALU_DEP_2)
	v_add_co_ci_u32_e64 v24, null, s25, v24, s20
	s_wait_dscnt 0x0
	global_store_b64 v[23:24], v[20:21], off
	s_wait_alu 0xfffe
	s_or_b32 exec_lo, exec_lo, s21
	s_and_saveexec_b32 s20, s19
	s_cbranch_execz .LBB192_469
.LBB192_501:                            ;   in Loop: Header=BB192_394 Depth=2
	v_lshlrev_b32_e32 v2, 2, v91
	v_add_nc_u32_e32 v20, v1, v47
	ds_load_b32 v2, v2
	ds_load_b64 v[20:21], v20 offset:5120
	s_wait_dscnt 0x1
	v_add_nc_u32_e32 v2, v2, v30
	s_delay_alu instid0(VALU_DEP_1) | instskip(NEXT) | instid1(VALU_DEP_1)
	v_lshlrev_b64_e32 v[23:24], 3, v[2:3]
	v_add_co_u32 v23, s19, s24, v23
	s_wait_alu 0xf1ff
	s_delay_alu instid0(VALU_DEP_2)
	v_add_co_ci_u32_e64 v24, null, s25, v24, s19
	s_wait_dscnt 0x0
	global_store_b64 v[23:24], v[20:21], off
	s_wait_alu 0xfffe
	s_or_b32 exec_lo, exec_lo, s20
	s_and_saveexec_b32 s19, s18
	s_cbranch_execz .LBB192_470
.LBB192_502:                            ;   in Loop: Header=BB192_394 Depth=2
	v_lshlrev_b32_e32 v2, 2, v90
	v_add_nc_u32_e32 v20, v1, v47
	ds_load_b32 v2, v2
	ds_load_b64 v[20:21], v20 offset:7168
	s_wait_dscnt 0x1
	v_add_nc_u32_e32 v2, v2, v31
	s_delay_alu instid0(VALU_DEP_1) | instskip(NEXT) | instid1(VALU_DEP_1)
	v_lshlrev_b64_e32 v[23:24], 3, v[2:3]
	v_add_co_u32 v23, s18, s24, v23
	s_wait_alu 0xf1ff
	s_delay_alu instid0(VALU_DEP_2)
	v_add_co_ci_u32_e64 v24, null, s25, v24, s18
	s_wait_dscnt 0x0
	global_store_b64 v[23:24], v[20:21], off
	s_wait_alu 0xfffe
	s_or_b32 exec_lo, exec_lo, s19
	s_and_saveexec_b32 s18, s17
	s_cbranch_execz .LBB192_471
.LBB192_503:                            ;   in Loop: Header=BB192_394 Depth=2
	v_lshlrev_b32_e32 v2, 2, v89
	v_add_nc_u32_e32 v20, v1, v47
	ds_load_b32 v2, v2
	ds_load_b64 v[20:21], v20 offset:9216
	s_wait_dscnt 0x1
	v_add_nc_u32_e32 v2, v2, v34
	s_delay_alu instid0(VALU_DEP_1) | instskip(NEXT) | instid1(VALU_DEP_1)
	v_lshlrev_b64_e32 v[23:24], 3, v[2:3]
	v_add_co_u32 v23, s17, s24, v23
	s_wait_alu 0xf1ff
	s_delay_alu instid0(VALU_DEP_2)
	v_add_co_ci_u32_e64 v24, null, s25, v24, s17
	s_wait_dscnt 0x0
	global_store_b64 v[23:24], v[20:21], off
	s_wait_alu 0xfffe
	s_or_b32 exec_lo, exec_lo, s18
	s_and_saveexec_b32 s17, s16
	s_cbranch_execz .LBB192_472
.LBB192_504:                            ;   in Loop: Header=BB192_394 Depth=2
	v_lshlrev_b32_e32 v2, 2, v88
	v_add_nc_u32_e32 v20, v1, v47
	ds_load_b32 v2, v2
	ds_load_b64 v[20:21], v20 offset:11264
	s_wait_dscnt 0x1
	v_add_nc_u32_e32 v2, v2, v35
	s_delay_alu instid0(VALU_DEP_1) | instskip(NEXT) | instid1(VALU_DEP_1)
	v_lshlrev_b64_e32 v[23:24], 3, v[2:3]
	v_add_co_u32 v23, s16, s24, v23
	s_wait_alu 0xf1ff
	s_delay_alu instid0(VALU_DEP_2)
	v_add_co_ci_u32_e64 v24, null, s25, v24, s16
	s_wait_dscnt 0x0
	global_store_b64 v[23:24], v[20:21], off
	s_wait_alu 0xfffe
	s_or_b32 exec_lo, exec_lo, s17
	s_and_saveexec_b32 s16, s15
	s_cbranch_execz .LBB192_473
.LBB192_505:                            ;   in Loop: Header=BB192_394 Depth=2
	v_lshlrev_b32_e32 v2, 2, v87
	v_add_nc_u32_e32 v20, v1, v47
	ds_load_b32 v2, v2
	ds_load_b64 v[20:21], v20 offset:13312
	s_wait_dscnt 0x1
	v_add_nc_u32_e32 v2, v2, v36
	s_delay_alu instid0(VALU_DEP_1) | instskip(NEXT) | instid1(VALU_DEP_1)
	v_lshlrev_b64_e32 v[23:24], 3, v[2:3]
	v_add_co_u32 v23, s15, s24, v23
	s_wait_alu 0xf1ff
	s_delay_alu instid0(VALU_DEP_2)
	v_add_co_ci_u32_e64 v24, null, s25, v24, s15
	s_wait_dscnt 0x0
	global_store_b64 v[23:24], v[20:21], off
	s_wait_alu 0xfffe
	s_or_b32 exec_lo, exec_lo, s16
	s_and_saveexec_b32 s15, vcc_lo
	s_cbranch_execnz .LBB192_474
	s_branch .LBB192_475
.LBB192_506:                            ;   in Loop: Header=BB192_12 Depth=1
	s_wait_loadcnt_dscnt 0x0
	s_barrier_signal -1
	s_mov_b32 s0, 0
	s_barrier_wait -1
.LBB192_507:                            ;   in Loop: Header=BB192_12 Depth=1
	s_wait_alu 0xfffe
	s_and_b32 vcc_lo, exec_lo, s0
	s_wait_alu 0xfffe
	s_cbranch_vccz .LBB192_11
; %bb.508:                              ;   in Loop: Header=BB192_12 Depth=1
	v_dual_mov_b32 v7, 0 :: v_dual_mov_b32 v10, 0
	v_dual_mov_b32 v9, 0 :: v_dual_mov_b32 v8, 0
	;; [unrolled: 1-line block ×3, first 2 shown]
	v_mov_b32_e32 v4, 0
	v_mov_b32_e32 v2, 0
	s_mov_b32 s9, s47
	s_mov_b32 s22, s33
	s_barrier_signal -1
	s_barrier_wait -1
	global_inv scope:SCOPE_SE
	s_branch .LBB192_510
.LBB192_509:                            ;   in Loop: Header=BB192_510 Depth=2
	s_wait_alu 0xfffe
	s_or_b32 exec_lo, exec_lo, s0
	s_addk_co_i32 s9, 0xf800
	s_cmp_ge_u32 s10, s34
	s_mov_b32 s22, s10
	s_cbranch_scc1 .LBB192_546
.LBB192_510:                            ;   Parent Loop BB192_12 Depth=1
                                        ; =>  This Inner Loop Header: Depth=2
	s_wait_alu 0xfffe
	s_add_co_i32 s10, s22, 0x800
	s_mov_b32 s0, -1
	s_wait_alu 0xfffe
	s_cmp_gt_u32 s10, s34
                                        ; implicit-def: $vgpr11
                                        ; implicit-def: $vgpr12
                                        ; implicit-def: $vgpr13
                                        ; implicit-def: $vgpr14
                                        ; implicit-def: $vgpr15
                                        ; implicit-def: $vgpr16
                                        ; implicit-def: $vgpr17
                                        ; implicit-def: $vgpr18
	s_cbranch_scc1 .LBB192_512
; %bb.511:                              ;   in Loop: Header=BB192_510 Depth=2
	v_add_co_u32 v19, vcc_lo, v54, s22
	s_wait_alu 0xfffd
	v_add_co_ci_u32_e64 v20, null, 0, v55, vcc_lo
	s_mov_b32 s0, 0
	s_clause 0x7
	global_load_u8 v18, v[19:20], off offset:1792
	global_load_u8 v17, v[19:20], off offset:1536
	;; [unrolled: 1-line block ×7, first 2 shown]
	global_load_u8 v11, v[19:20], off
.LBB192_512:                            ;   in Loop: Header=BB192_510 Depth=2
	s_wait_alu 0xfffe
	s_and_not1_b32 vcc_lo, exec_lo, s0
	s_movk_i32 s0, 0x800
	s_wait_alu 0xfffe
	s_cbranch_vccnz .LBB192_523
; %bb.513:                              ;   in Loop: Header=BB192_510 Depth=2
	s_add_nc_u64 s[0:1], s[36:37], s[22:23]
	s_mov_b32 s11, exec_lo
	v_cmpx_gt_u32_e64 s9, v1
	s_cbranch_execnz .LBB192_539
; %bb.514:                              ;   in Loop: Header=BB192_510 Depth=2
	s_wait_alu 0xfffe
	s_or_b32 exec_lo, exec_lo, s11
	s_delay_alu instid0(SALU_CYCLE_1)
	s_mov_b32 s11, exec_lo
	v_cmpx_gt_u32_e64 s9, v29
	s_cbranch_execnz .LBB192_540
.LBB192_515:                            ;   in Loop: Header=BB192_510 Depth=2
	s_wait_alu 0xfffe
	s_or_b32 exec_lo, exec_lo, s11
	s_delay_alu instid0(SALU_CYCLE_1)
	s_mov_b32 s11, exec_lo
	v_cmpx_gt_u32_e64 s9, v30
	s_cbranch_execnz .LBB192_541
.LBB192_516:                            ;   in Loop: Header=BB192_510 Depth=2
	s_wait_alu 0xfffe
	s_or_b32 exec_lo, exec_lo, s11
	s_delay_alu instid0(SALU_CYCLE_1)
	s_mov_b32 s11, exec_lo
	v_cmpx_gt_u32_e64 s9, v31
	s_cbranch_execnz .LBB192_542
.LBB192_517:                            ;   in Loop: Header=BB192_510 Depth=2
	s_wait_alu 0xfffe
	s_or_b32 exec_lo, exec_lo, s11
	s_delay_alu instid0(SALU_CYCLE_1)
	s_mov_b32 s11, exec_lo
	v_cmpx_gt_u32_e64 s9, v34
	s_cbranch_execnz .LBB192_543
.LBB192_518:                            ;   in Loop: Header=BB192_510 Depth=2
	s_wait_alu 0xfffe
	s_or_b32 exec_lo, exec_lo, s11
	s_delay_alu instid0(SALU_CYCLE_1)
	s_mov_b32 s11, exec_lo
	v_cmpx_gt_u32_e64 s9, v35
	s_cbranch_execnz .LBB192_544
.LBB192_519:                            ;   in Loop: Header=BB192_510 Depth=2
	s_wait_alu 0xfffe
	s_or_b32 exec_lo, exec_lo, s11
	s_delay_alu instid0(SALU_CYCLE_1)
	s_mov_b32 s11, exec_lo
	v_cmpx_gt_u32_e64 s9, v36
	s_cbranch_execnz .LBB192_545
.LBB192_520:                            ;   in Loop: Header=BB192_510 Depth=2
	s_wait_alu 0xfffe
	s_or_b32 exec_lo, exec_lo, s11
	s_delay_alu instid0(SALU_CYCLE_1)
	s_mov_b32 s11, exec_lo
	v_cmpx_gt_u32_e64 s9, v37
	s_cbranch_execz .LBB192_522
.LBB192_521:                            ;   in Loop: Header=BB192_510 Depth=2
	s_wait_loadcnt 0x0
	v_add_co_u32 v11, s0, s0, v1
	s_wait_alu 0xf1ff
	v_add_co_ci_u32_e64 v12, null, s1, 0, s0
	global_load_u8 v2, v[11:12], off offset:1792
.LBB192_522:                            ;   in Loop: Header=BB192_510 Depth=2
	s_wait_alu 0xfffe
	s_or_b32 exec_lo, exec_lo, s11
	s_wait_loadcnt 0x0
	v_dual_mov_b32 v11, v7 :: v_dual_mov_b32 v12, v10
	v_dual_mov_b32 v13, v9 :: v_dual_mov_b32 v14, v8
	;; [unrolled: 1-line block ×4, first 2 shown]
	s_mov_b32 s0, s9
.LBB192_523:                            ;   in Loop: Header=BB192_510 Depth=2
	s_wait_loadcnt 0x5
	s_delay_alu instid0(VALU_DEP_1)
	v_dual_mov_b32 v2, v18 :: v_dual_mov_b32 v5, v16
	s_wait_loadcnt 0x2
	v_dual_mov_b32 v4, v17 :: v_dual_mov_b32 v9, v13
	s_wait_loadcnt 0x0
	v_dual_mov_b32 v6, v15 :: v_dual_mov_b32 v7, v11
	v_mov_b32_e32 v8, v14
	v_mov_b32_e32 v10, v12
	s_mov_b32 s1, exec_lo
	s_wait_alu 0xfffe
	v_cmpx_gt_u32_e64 s0, v1
	s_cbranch_execnz .LBB192_531
; %bb.524:                              ;   in Loop: Header=BB192_510 Depth=2
	s_or_b32 exec_lo, exec_lo, s1
	s_delay_alu instid0(SALU_CYCLE_1)
	s_mov_b32 s1, exec_lo
	v_cmpx_gt_u32_e64 s0, v29
	s_cbranch_execnz .LBB192_532
.LBB192_525:                            ;   in Loop: Header=BB192_510 Depth=2
	s_wait_alu 0xfffe
	s_or_b32 exec_lo, exec_lo, s1
	s_delay_alu instid0(SALU_CYCLE_1)
	s_mov_b32 s1, exec_lo
	v_cmpx_gt_u32_e64 s0, v30
	s_cbranch_execnz .LBB192_533
.LBB192_526:                            ;   in Loop: Header=BB192_510 Depth=2
	s_wait_alu 0xfffe
	s_or_b32 exec_lo, exec_lo, s1
	s_delay_alu instid0(SALU_CYCLE_1)
	s_mov_b32 s1, exec_lo
	v_cmpx_gt_u32_e64 s0, v31
	s_cbranch_execnz .LBB192_534
.LBB192_527:                            ;   in Loop: Header=BB192_510 Depth=2
	s_wait_alu 0xfffe
	s_or_b32 exec_lo, exec_lo, s1
	s_delay_alu instid0(SALU_CYCLE_1)
	s_mov_b32 s1, exec_lo
	v_cmpx_gt_u32_e64 s0, v34
	s_cbranch_execnz .LBB192_535
.LBB192_528:                            ;   in Loop: Header=BB192_510 Depth=2
	s_wait_alu 0xfffe
	s_or_b32 exec_lo, exec_lo, s1
	s_delay_alu instid0(SALU_CYCLE_1)
	s_mov_b32 s1, exec_lo
	v_cmpx_gt_u32_e64 s0, v35
	s_cbranch_execnz .LBB192_536
.LBB192_529:                            ;   in Loop: Header=BB192_510 Depth=2
	s_wait_alu 0xfffe
	s_or_b32 exec_lo, exec_lo, s1
	s_delay_alu instid0(SALU_CYCLE_1)
	s_mov_b32 s1, exec_lo
	v_cmpx_gt_u32_e64 s0, v36
	s_cbranch_execnz .LBB192_537
.LBB192_530:                            ;   in Loop: Header=BB192_510 Depth=2
	s_wait_alu 0xfffe
	s_or_b32 exec_lo, exec_lo, s1
	v_cmp_gt_u32_e32 vcc_lo, s0, v37
	s_and_saveexec_b32 s0, vcc_lo
	s_cbranch_execz .LBB192_509
	s_branch .LBB192_538
.LBB192_531:                            ;   in Loop: Header=BB192_510 Depth=2
	v_and_b32_e32 v11, 0xff, v7
	s_delay_alu instid0(VALU_DEP_1) | instskip(NEXT) | instid1(VALU_DEP_1)
	v_lshrrev_b32_e32 v11, s45, v11
	v_and_b32_e32 v11, s31, v11
	s_delay_alu instid0(VALU_DEP_1) | instskip(SKIP_2) | instid1(SALU_CYCLE_1)
	v_lshl_or_b32 v11, v11, 4, v39
	ds_add_u32 v11, v61
	s_or_b32 exec_lo, exec_lo, s1
	s_mov_b32 s1, exec_lo
	v_cmpx_gt_u32_e64 s0, v29
	s_cbranch_execz .LBB192_525
.LBB192_532:                            ;   in Loop: Header=BB192_510 Depth=2
	v_and_b32_e32 v11, 0xff, v10
	s_delay_alu instid0(VALU_DEP_1) | instskip(NEXT) | instid1(VALU_DEP_1)
	v_lshrrev_b32_e32 v11, s45, v11
	v_and_b32_e32 v11, s31, v11
	s_delay_alu instid0(VALU_DEP_1) | instskip(SKIP_3) | instid1(SALU_CYCLE_1)
	v_lshl_or_b32 v11, v11, 4, v39
	ds_add_u32 v11, v61
	s_wait_alu 0xfffe
	s_or_b32 exec_lo, exec_lo, s1
	s_mov_b32 s1, exec_lo
	v_cmpx_gt_u32_e64 s0, v30
	s_cbranch_execz .LBB192_526
.LBB192_533:                            ;   in Loop: Header=BB192_510 Depth=2
	v_and_b32_e32 v11, 0xff, v9
	s_delay_alu instid0(VALU_DEP_1) | instskip(NEXT) | instid1(VALU_DEP_1)
	v_lshrrev_b32_e32 v11, s45, v11
	v_and_b32_e32 v11, s31, v11
	s_delay_alu instid0(VALU_DEP_1) | instskip(SKIP_3) | instid1(SALU_CYCLE_1)
	v_lshl_or_b32 v11, v11, 4, v39
	ds_add_u32 v11, v61
	s_wait_alu 0xfffe
	s_or_b32 exec_lo, exec_lo, s1
	s_mov_b32 s1, exec_lo
	v_cmpx_gt_u32_e64 s0, v31
	s_cbranch_execz .LBB192_527
.LBB192_534:                            ;   in Loop: Header=BB192_510 Depth=2
	v_and_b32_e32 v11, 0xff, v8
	s_delay_alu instid0(VALU_DEP_1) | instskip(NEXT) | instid1(VALU_DEP_1)
	v_lshrrev_b32_e32 v11, s45, v11
	v_and_b32_e32 v11, s31, v11
	s_delay_alu instid0(VALU_DEP_1) | instskip(SKIP_3) | instid1(SALU_CYCLE_1)
	v_lshl_or_b32 v11, v11, 4, v39
	ds_add_u32 v11, v61
	s_wait_alu 0xfffe
	s_or_b32 exec_lo, exec_lo, s1
	s_mov_b32 s1, exec_lo
	v_cmpx_gt_u32_e64 s0, v34
	s_cbranch_execz .LBB192_528
.LBB192_535:                            ;   in Loop: Header=BB192_510 Depth=2
	v_and_b32_e32 v11, 0xff, v6
	s_delay_alu instid0(VALU_DEP_1) | instskip(NEXT) | instid1(VALU_DEP_1)
	v_lshrrev_b32_e32 v11, s45, v11
	v_and_b32_e32 v11, s31, v11
	s_delay_alu instid0(VALU_DEP_1) | instskip(SKIP_3) | instid1(SALU_CYCLE_1)
	v_lshl_or_b32 v11, v11, 4, v39
	ds_add_u32 v11, v61
	s_wait_alu 0xfffe
	s_or_b32 exec_lo, exec_lo, s1
	s_mov_b32 s1, exec_lo
	v_cmpx_gt_u32_e64 s0, v35
	s_cbranch_execz .LBB192_529
.LBB192_536:                            ;   in Loop: Header=BB192_510 Depth=2
	v_and_b32_e32 v11, 0xff, v5
	s_delay_alu instid0(VALU_DEP_1) | instskip(NEXT) | instid1(VALU_DEP_1)
	v_lshrrev_b32_e32 v11, s45, v11
	v_and_b32_e32 v11, s31, v11
	s_delay_alu instid0(VALU_DEP_1) | instskip(SKIP_3) | instid1(SALU_CYCLE_1)
	v_lshl_or_b32 v11, v11, 4, v39
	ds_add_u32 v11, v61
	s_wait_alu 0xfffe
	s_or_b32 exec_lo, exec_lo, s1
	s_mov_b32 s1, exec_lo
	v_cmpx_gt_u32_e64 s0, v36
	s_cbranch_execz .LBB192_530
.LBB192_537:                            ;   in Loop: Header=BB192_510 Depth=2
	v_and_b32_e32 v11, 0xff, v4
	s_delay_alu instid0(VALU_DEP_1) | instskip(NEXT) | instid1(VALU_DEP_1)
	v_lshrrev_b32_e32 v11, s45, v11
	v_and_b32_e32 v11, s31, v11
	s_delay_alu instid0(VALU_DEP_1)
	v_lshl_or_b32 v11, v11, 4, v39
	ds_add_u32 v11, v61
	s_wait_alu 0xfffe
	s_or_b32 exec_lo, exec_lo, s1
	v_cmp_gt_u32_e32 vcc_lo, s0, v37
	s_and_saveexec_b32 s0, vcc_lo
	s_cbranch_execz .LBB192_509
.LBB192_538:                            ;   in Loop: Header=BB192_510 Depth=2
	v_and_b32_e32 v11, 0xff, v2
	s_delay_alu instid0(VALU_DEP_1) | instskip(NEXT) | instid1(VALU_DEP_1)
	v_lshrrev_b32_e32 v11, s45, v11
	v_and_b32_e32 v11, s31, v11
	s_delay_alu instid0(VALU_DEP_1)
	v_lshl_or_b32 v11, v11, 4, v39
	ds_add_u32 v11, v61
	s_branch .LBB192_509
.LBB192_539:                            ;   in Loop: Header=BB192_510 Depth=2
	s_wait_loadcnt 0x0
	s_wait_alu 0xfffe
	v_add_co_u32 v11, s12, s0, v1
	s_wait_alu 0xf1ff
	v_add_co_ci_u32_e64 v12, null, s1, 0, s12
	global_load_u8 v7, v[11:12], off
	s_or_b32 exec_lo, exec_lo, s11
	s_delay_alu instid0(SALU_CYCLE_1)
	s_mov_b32 s11, exec_lo
	v_cmpx_gt_u32_e64 s9, v29
	s_cbranch_execz .LBB192_515
.LBB192_540:                            ;   in Loop: Header=BB192_510 Depth=2
	v_add_co_u32 v10, s12, s0, v1
	s_wait_loadcnt 0x0
	s_wait_alu 0xf1ff
	v_add_co_ci_u32_e64 v11, null, s1, 0, s12
	global_load_u8 v10, v[10:11], off offset:256
	s_wait_alu 0xfffe
	s_or_b32 exec_lo, exec_lo, s11
	s_delay_alu instid0(SALU_CYCLE_1)
	s_mov_b32 s11, exec_lo
	v_cmpx_gt_u32_e64 s9, v30
	s_cbranch_execz .LBB192_516
.LBB192_541:                            ;   in Loop: Header=BB192_510 Depth=2
	s_wait_loadcnt 0x0
	v_add_co_u32 v11, s12, s0, v1
	s_wait_alu 0xf1ff
	v_add_co_ci_u32_e64 v12, null, s1, 0, s12
	global_load_u8 v9, v[11:12], off offset:512
	s_wait_alu 0xfffe
	s_or_b32 exec_lo, exec_lo, s11
	s_delay_alu instid0(SALU_CYCLE_1)
	s_mov_b32 s11, exec_lo
	v_cmpx_gt_u32_e64 s9, v31
	s_cbranch_execz .LBB192_517
.LBB192_542:                            ;   in Loop: Header=BB192_510 Depth=2
	s_wait_loadcnt 0x0
	v_add_co_u32 v11, s12, s0, v1
	s_wait_alu 0xf1ff
	v_add_co_ci_u32_e64 v12, null, s1, 0, s12
	global_load_u8 v8, v[11:12], off offset:768
	s_wait_alu 0xfffe
	s_or_b32 exec_lo, exec_lo, s11
	s_delay_alu instid0(SALU_CYCLE_1)
	s_mov_b32 s11, exec_lo
	v_cmpx_gt_u32_e64 s9, v34
	s_cbranch_execz .LBB192_518
.LBB192_543:                            ;   in Loop: Header=BB192_510 Depth=2
	s_wait_loadcnt 0x0
	v_add_co_u32 v11, s12, s0, v1
	s_wait_alu 0xf1ff
	v_add_co_ci_u32_e64 v12, null, s1, 0, s12
	global_load_u8 v6, v[11:12], off offset:1024
	s_wait_alu 0xfffe
	s_or_b32 exec_lo, exec_lo, s11
	s_delay_alu instid0(SALU_CYCLE_1)
	s_mov_b32 s11, exec_lo
	v_cmpx_gt_u32_e64 s9, v35
	s_cbranch_execz .LBB192_519
.LBB192_544:                            ;   in Loop: Header=BB192_510 Depth=2
	s_wait_loadcnt 0x0
	v_add_co_u32 v11, s12, s0, v1
	s_wait_alu 0xf1ff
	v_add_co_ci_u32_e64 v12, null, s1, 0, s12
	global_load_u8 v5, v[11:12], off offset:1280
	s_wait_alu 0xfffe
	s_or_b32 exec_lo, exec_lo, s11
	s_delay_alu instid0(SALU_CYCLE_1)
	s_mov_b32 s11, exec_lo
	v_cmpx_gt_u32_e64 s9, v36
	s_cbranch_execz .LBB192_520
.LBB192_545:                            ;   in Loop: Header=BB192_510 Depth=2
	s_wait_loadcnt 0x0
	v_add_co_u32 v11, s12, s0, v1
	s_wait_alu 0xf1ff
	v_add_co_ci_u32_e64 v12, null, s1, 0, s12
	global_load_u8 v4, v[11:12], off offset:1536
	s_wait_alu 0xfffe
	s_or_b32 exec_lo, exec_lo, s11
	s_delay_alu instid0(SALU_CYCLE_1)
	s_mov_b32 s11, exec_lo
	v_cmpx_gt_u32_e64 s9, v37
	s_cbranch_execnz .LBB192_521
	s_branch .LBB192_522
.LBB192_546:                            ;   in Loop: Header=BB192_12 Depth=1
	v_mov_b32_e32 v2, 0
	s_wait_dscnt 0x0
	s_barrier_signal -1
	s_barrier_wait -1
	global_inv scope:SCOPE_SE
	s_and_saveexec_b32 s0, s2
	s_cbranch_execz .LBB192_548
; %bb.547:                              ;   in Loop: Header=BB192_12 Depth=1
	ds_load_2addr_b64 v[4:7], v40 offset1:1
	s_wait_dscnt 0x0
	v_add_nc_u32_e32 v2, v5, v4
	s_delay_alu instid0(VALU_DEP_1)
	v_add3_u32 v2, v2, v6, v7
.LBB192_548:                            ;   in Loop: Header=BB192_12 Depth=1
	s_wait_alu 0xfffe
	s_or_b32 exec_lo, exec_lo, s0
	s_delay_alu instid0(VALU_DEP_1)
	v_mov_b32_dpp v4, v2 row_shr:1 row_mask:0xf bank_mask:0xf
	v_cmp_eq_u32_e64 s0, 0, v62
	v_cmp_lt_u32_e64 s1, 1, v62
	v_cmp_lt_u32_e64 s9, 3, v62
	;; [unrolled: 1-line block ×3, first 2 shown]
	v_cmp_eq_u32_e64 s11, 0, v64
	s_wait_alu 0xf1ff
	v_cndmask_b32_e64 v4, v4, 0, s0
	s_delay_alu instid0(VALU_DEP_1) | instskip(NEXT) | instid1(VALU_DEP_1)
	v_add_nc_u32_e32 v2, v4, v2
	v_mov_b32_dpp v4, v2 row_shr:2 row_mask:0xf bank_mask:0xf
	s_delay_alu instid0(VALU_DEP_1) | instskip(NEXT) | instid1(VALU_DEP_1)
	v_cndmask_b32_e64 v4, 0, v4, s1
	v_add_nc_u32_e32 v2, v2, v4
	s_delay_alu instid0(VALU_DEP_1) | instskip(NEXT) | instid1(VALU_DEP_1)
	v_mov_b32_dpp v4, v2 row_shr:4 row_mask:0xf bank_mask:0xf
	v_cndmask_b32_e64 v4, 0, v4, s9
	s_delay_alu instid0(VALU_DEP_1) | instskip(NEXT) | instid1(VALU_DEP_1)
	v_add_nc_u32_e32 v2, v2, v4
	v_mov_b32_dpp v4, v2 row_shr:8 row_mask:0xf bank_mask:0xf
	s_delay_alu instid0(VALU_DEP_1) | instskip(NEXT) | instid1(VALU_DEP_1)
	v_cndmask_b32_e64 v4, 0, v4, s10
	v_add_nc_u32_e32 v2, v2, v4
	ds_swizzle_b32 v4, v2 offset:swizzle(BROADCAST,32,15)
	s_wait_dscnt 0x0
	v_and_b32_e32 v4, v63, v4
	s_delay_alu instid0(VALU_DEP_1)
	v_add_nc_u32_e32 v2, v2, v4
	s_and_saveexec_b32 s12, s3
; %bb.549:                              ;   in Loop: Header=BB192_12 Depth=1
	ds_store_b32 v41, v2
; %bb.550:                              ;   in Loop: Header=BB192_12 Depth=1
	s_wait_alu 0xfffe
	s_or_b32 exec_lo, exec_lo, s12
	s_wait_loadcnt_dscnt 0x0
	s_barrier_signal -1
	s_barrier_wait -1
	global_inv scope:SCOPE_SE
	s_and_saveexec_b32 s12, s4
	s_cbranch_execz .LBB192_552
; %bb.551:                              ;   in Loop: Header=BB192_12 Depth=1
	ds_load_b32 v4, v42
	v_cmp_ne_u32_e32 vcc_lo, 0, v65
	s_wait_dscnt 0x0
	v_mov_b32_dpp v5, v4 row_shr:1 row_mask:0xf bank_mask:0xf
	s_wait_alu 0xfffd
	s_delay_alu instid0(VALU_DEP_1) | instskip(SKIP_1) | instid1(VALU_DEP_2)
	v_cndmask_b32_e32 v5, 0, v5, vcc_lo
	v_cmp_lt_u32_e32 vcc_lo, 1, v65
	v_add_nc_u32_e32 v4, v5, v4
	s_delay_alu instid0(VALU_DEP_1) | instskip(SKIP_1) | instid1(VALU_DEP_1)
	v_mov_b32_dpp v5, v4 row_shr:2 row_mask:0xf bank_mask:0xf
	s_wait_alu 0xfffd
	v_cndmask_b32_e32 v5, 0, v5, vcc_lo
	v_cmp_lt_u32_e32 vcc_lo, 3, v65
	s_delay_alu instid0(VALU_DEP_2) | instskip(NEXT) | instid1(VALU_DEP_1)
	v_add_nc_u32_e32 v4, v4, v5
	v_mov_b32_dpp v5, v4 row_shr:4 row_mask:0xf bank_mask:0xf
	s_wait_alu 0xfffd
	s_delay_alu instid0(VALU_DEP_1) | instskip(NEXT) | instid1(VALU_DEP_1)
	v_cndmask_b32_e32 v5, 0, v5, vcc_lo
	v_add_nc_u32_e32 v4, v4, v5
	ds_store_b32 v42, v4
.LBB192_552:                            ;   in Loop: Header=BB192_12 Depth=1
	s_wait_alu 0xfffe
	s_or_b32 exec_lo, exec_lo, s12
	v_mov_b32_e32 v4, 0
	s_wait_loadcnt_dscnt 0x0
	s_barrier_signal -1
	s_barrier_wait -1
	global_inv scope:SCOPE_SE
	s_and_saveexec_b32 s12, s5
; %bb.553:                              ;   in Loop: Header=BB192_12 Depth=1
	ds_load_b32 v4, v43
; %bb.554:                              ;   in Loop: Header=BB192_12 Depth=1
	s_wait_alu 0xfffe
	s_or_b32 exec_lo, exec_lo, s12
	v_cmp_gt_i32_e32 vcc_lo, 0, v67
	s_wait_dscnt 0x0
	v_add_nc_u32_e32 v2, v4, v2
	s_wait_loadcnt 0x0
	s_barrier_signal -1
	s_barrier_wait -1
	s_wait_alu 0xfffd
	v_cndmask_b32_e32 v5, v67, v58, vcc_lo
	global_inv scope:SCOPE_SE
	v_lshlrev_b32_e32 v80, 2, v5
	ds_bpermute_b32 v2, v80, v2
	s_and_saveexec_b32 s12, s2
	s_cbranch_execz .LBB192_556
; %bb.555:                              ;   in Loop: Header=BB192_12 Depth=1
	s_wait_dscnt 0x0
	v_cndmask_b32_e64 v2, v2, v4, s8
	s_delay_alu instid0(VALU_DEP_1)
	v_add_nc_u32_e32 v2, s33, v2
	ds_store_b32 v28, v2
.LBB192_556:                            ;   in Loop: Header=BB192_12 Depth=1
	s_wait_alu 0xfffe
	s_or_b32 exec_lo, exec_lo, s12
	s_load_b64 s[12:13], s[28:29], 0x0
	v_add_co_u32 v81, vcc_lo, v56, v66
	s_wait_alu 0xfffd
	v_add_co_ci_u32_e64 v82, null, 0, v57, vcc_lo
	v_add_co_u32 v83, vcc_lo, v59, v58
	s_wait_alu 0xfffd
	v_add_co_ci_u32_e64 v84, null, 0, v60, vcc_lo
	s_mov_b32 s42, s47
                                        ; implicit-def: $vgpr6_vgpr7
                                        ; implicit-def: $vgpr8_vgpr9
                                        ; implicit-def: $vgpr10_vgpr11
                                        ; implicit-def: $vgpr12_vgpr13
                                        ; implicit-def: $vgpr14_vgpr15
                                        ; implicit-def: $vgpr16_vgpr17
                                        ; implicit-def: $vgpr18_vgpr19
                                        ; implicit-def: $vgpr86
                                        ; implicit-def: $vgpr87
                                        ; implicit-def: $vgpr88
                                        ; implicit-def: $vgpr89
                                        ; implicit-def: $vgpr90
                                        ; implicit-def: $vgpr91
                                        ; implicit-def: $vgpr92
                                        ; implicit-def: $vgpr93
	s_wait_kmcnt 0x0
	s_cmp_lt_u32 ttmp7, s13
	s_cselect_b32 s22, 14, 20
	s_cmp_lt_u32 ttmp9, s12
	s_wait_alu 0xfffe
	s_add_nc_u64 s[14:15], s[28:29], s[22:23]
	s_cselect_b32 s22, 12, 18
	s_load_u16 s14, s[14:15], 0x0
	s_add_nc_u64 s[12:13], s[28:29], s[22:23]
	s_mov_b32 s22, s33
	s_load_u16 s12, s[12:13], 0x0
	v_cmp_lt_u32_e64 s13, 1, v65
	s_wait_dscnt 0x0
	s_wait_kmcnt 0x0
	v_mad_u32_u24 v2, v44, s14, v0
	v_cmp_lt_u32_e64 s14, 3, v65
	s_delay_alu instid0(VALU_DEP_2) | instskip(SKIP_1) | instid1(VALU_DEP_2)
	v_mad_co_u64_u32 v[4:5], null, v2, s12, v[1:2]
	v_cmp_eq_u32_e64 s12, 0, v65
	v_lshrrev_b32_e32 v2, 3, v4
                                        ; implicit-def: $vgpr4_vgpr5
	s_delay_alu instid0(VALU_DEP_1)
	v_and_b32_e32 v85, 0x1ffffffc, v2
	s_branch .LBB192_558
.LBB192_557:                            ;   in Loop: Header=BB192_558 Depth=2
	s_wait_alu 0xfffe
	s_or_b32 exec_lo, exec_lo, s15
	s_addk_co_i32 s42, 0xf800
	s_cmp_lt_u32 s43, s34
	s_mov_b32 s22, s43
	s_cbranch_scc0 .LBB192_10
.LBB192_558:                            ;   Parent Loop BB192_12 Depth=1
                                        ; =>  This Inner Loop Header: Depth=2
	s_wait_alu 0xfffe
	s_add_co_i32 s43, s22, 0x800
	s_wait_alu 0xfffe
	s_cmp_gt_u32 s43, s34
	s_cbranch_scc1 .LBB192_560
; %bb.559:                              ;   in Loop: Header=BB192_558 Depth=2
	v_add_co_u32 v20, vcc_lo, v83, s22
	s_wait_alu 0xfffd
	v_add_co_ci_u32_e64 v21, null, 0, v84, vcc_lo
	s_mov_b32 s15, -1
	s_clause 0x6
	global_load_u8 v94, v[20:21], off
	global_load_u8 v95, v[20:21], off offset:32
	global_load_u8 v96, v[20:21], off offset:64
	;; [unrolled: 1-line block ×6, first 2 shown]
	s_movk_i32 s16, 0x800
	s_cbranch_execz .LBB192_561
	s_branch .LBB192_576
.LBB192_560:                            ;   in Loop: Header=BB192_558 Depth=2
	s_mov_b32 s15, 0
                                        ; implicit-def: $vgpr94
                                        ; implicit-def: $vgpr95
                                        ; implicit-def: $vgpr96
                                        ; implicit-def: $vgpr97
                                        ; implicit-def: $vgpr98
                                        ; implicit-def: $vgpr99
                                        ; implicit-def: $vgpr100
	s_movk_i32 s16, 0x800
.LBB192_561:                            ;   in Loop: Header=BB192_558 Depth=2
	v_add_co_u32 v20, vcc_lo, v83, s22
	s_wait_alu 0xfffd
	v_add_co_ci_u32_e64 v21, null, 0, v84, vcc_lo
	s_wait_loadcnt 0x5
	v_dual_mov_b32 v95, 0xff :: v_dual_mov_b32 v94, 0xff
	s_mov_b32 s15, exec_lo
	v_cmpx_gt_u32_e64 s42, v68
	s_cbranch_execz .LBB192_563
; %bb.562:                              ;   in Loop: Header=BB192_558 Depth=2
	global_load_u8 v94, v[20:21], off
.LBB192_563:                            ;   in Loop: Header=BB192_558 Depth=2
	s_wait_alu 0xfffe
	s_or_b32 exec_lo, exec_lo, s15
	s_delay_alu instid0(SALU_CYCLE_1)
	s_mov_b32 s15, exec_lo
	v_cmpx_gt_u32_e64 s42, v71
	s_cbranch_execz .LBB192_565
; %bb.564:                              ;   in Loop: Header=BB192_558 Depth=2
	global_load_u8 v95, v[20:21], off offset:32
.LBB192_565:                            ;   in Loop: Header=BB192_558 Depth=2
	s_wait_alu 0xfffe
	s_or_b32 exec_lo, exec_lo, s15
	s_wait_loadcnt 0x3
	v_dual_mov_b32 v97, 0xff :: v_dual_mov_b32 v96, 0xff
	s_mov_b32 s15, exec_lo
	v_cmpx_gt_u32_e64 s42, v72
	s_cbranch_execz .LBB192_567
; %bb.566:                              ;   in Loop: Header=BB192_558 Depth=2
	global_load_u8 v96, v[20:21], off offset:64
.LBB192_567:                            ;   in Loop: Header=BB192_558 Depth=2
	s_wait_alu 0xfffe
	s_or_b32 exec_lo, exec_lo, s15
	s_delay_alu instid0(SALU_CYCLE_1)
	s_mov_b32 s15, exec_lo
	v_cmpx_gt_u32_e64 s42, v73
	s_cbranch_execz .LBB192_569
; %bb.568:                              ;   in Loop: Header=BB192_558 Depth=2
	global_load_u8 v97, v[20:21], off offset:96
.LBB192_569:                            ;   in Loop: Header=BB192_558 Depth=2
	s_wait_alu 0xfffe
	s_or_b32 exec_lo, exec_lo, s15
	s_wait_loadcnt 0x1
	v_dual_mov_b32 v99, 0xff :: v_dual_mov_b32 v98, 0xff
	s_mov_b32 s15, exec_lo
	v_cmpx_gt_u32_e64 s42, v74
	s_cbranch_execz .LBB192_571
; %bb.570:                              ;   in Loop: Header=BB192_558 Depth=2
	global_load_u8 v98, v[20:21], off offset:128
.LBB192_571:                            ;   in Loop: Header=BB192_558 Depth=2
	s_wait_alu 0xfffe
	s_or_b32 exec_lo, exec_lo, s15
	s_delay_alu instid0(SALU_CYCLE_1)
	s_mov_b32 s15, exec_lo
	v_cmpx_gt_u32_e64 s42, v75
	s_cbranch_execz .LBB192_573
; %bb.572:                              ;   in Loop: Header=BB192_558 Depth=2
	global_load_u8 v99, v[20:21], off offset:160
.LBB192_573:                            ;   in Loop: Header=BB192_558 Depth=2
	s_wait_alu 0xfffe
	s_or_b32 exec_lo, exec_lo, s15
	s_wait_loadcnt 0x0
	v_mov_b32_e32 v100, 0xff
	s_mov_b32 s15, exec_lo
	v_cmpx_gt_u32_e64 s42, v76
	s_cbranch_execz .LBB192_575
; %bb.574:                              ;   in Loop: Header=BB192_558 Depth=2
	global_load_u8 v100, v[20:21], off offset:192
.LBB192_575:                            ;   in Loop: Header=BB192_558 Depth=2
	s_wait_alu 0xfffe
	s_or_b32 exec_lo, exec_lo, s15
	v_cmp_gt_u32_e64 s15, s42, v77
	s_sub_co_i32 s16, s34, s22
.LBB192_576:                            ;   in Loop: Header=BB192_558 Depth=2
	v_dual_mov_b32 v101, 0xff :: v_dual_mov_b32 v2, s42
	s_wait_alu 0xfffe
	s_and_saveexec_b32 s17, s15
	s_cbranch_execz .LBB192_578
; %bb.577:                              ;   in Loop: Header=BB192_558 Depth=2
	v_add_co_u32 v20, vcc_lo, v83, s22
	s_wait_alu 0xfffd
	v_add_co_ci_u32_e64 v21, null, s23, v84, vcc_lo
	v_mov_b32_e32 v2, s16
	global_load_u8 v101, v[20:21], off offset:224
.LBB192_578:                            ;   in Loop: Header=BB192_558 Depth=2
	s_wait_alu 0xfffe
	s_or_b32 exec_lo, exec_lo, s17
	s_wait_loadcnt 0x6
	v_and_b32_e32 v20, 0xff, v94
	v_add_nc_u32_e32 v104, 0x420, v45
	v_add_nc_u32_e32 v105, 0x428, v45
	;; [unrolled: 1-line block ×3, first 2 shown]
	s_delay_alu instid0(VALU_DEP_4) | instskip(NEXT) | instid1(VALU_DEP_1)
	v_lshrrev_b32_e32 v20, s45, v20
	v_and_b32_e32 v21, s31, v20
	s_delay_alu instid0(VALU_DEP_1)
	v_and_b32_e32 v20, 1, v21
	v_lshlrev_b32_e32 v22, 30, v21
	v_lshlrev_b32_e32 v23, 29, v21
	;; [unrolled: 1-line block ×4, first 2 shown]
	v_add_co_u32 v20, s15, v20, -1
	s_wait_alu 0xf1ff
	v_cndmask_b32_e64 v25, 0, 1, s15
	v_not_b32_e32 v103, v22
	v_cmp_gt_i32_e64 s15, 0, v22
	v_not_b32_e32 v22, v23
	v_lshlrev_b32_e32 v27, 26, v21
	v_cmp_ne_u32_e32 vcc_lo, 0, v25
	v_ashrrev_i32_e32 v103, 31, v103
	v_lshlrev_b32_e32 v102, 25, v21
	v_ashrrev_i32_e32 v22, 31, v22
	v_lshlrev_b32_e32 v25, 24, v21
	s_wait_alu 0xfffd
	v_xor_b32_e32 v20, vcc_lo, v20
	v_cmp_gt_i32_e32 vcc_lo, 0, v23
	v_not_b32_e32 v23, v24
	s_wait_alu 0xf1ff
	v_xor_b32_e32 v103, s15, v103
	v_cmp_gt_i32_e64 s15, 0, v24
	v_and_b32_e32 v20, exec_lo, v20
	v_not_b32_e32 v24, v26
	v_ashrrev_i32_e32 v23, 31, v23
	s_wait_alu 0xfffd
	v_xor_b32_e32 v22, vcc_lo, v22
	v_cmp_gt_i32_e32 vcc_lo, 0, v26
	v_and_b32_e32 v20, v20, v103
	v_not_b32_e32 v26, v27
	v_ashrrev_i32_e32 v24, 31, v24
	s_wait_alu 0xf1ff
	v_xor_b32_e32 v23, s15, v23
	v_cmp_gt_i32_e64 s15, 0, v27
	v_and_b32_e32 v20, v20, v22
	v_not_b32_e32 v22, v102
	v_ashrrev_i32_e32 v26, 31, v26
	s_wait_alu 0xfffd
	v_xor_b32_e32 v24, vcc_lo, v24
	v_cmp_gt_i32_e32 vcc_lo, 0, v102
	v_and_b32_e32 v20, v20, v23
	v_not_b32_e32 v23, v25
	v_ashrrev_i32_e32 v22, 31, v22
	s_wait_alu 0xf1ff
	v_xor_b32_e32 v26, s15, v26
	v_cmp_gt_i32_e64 s15, 0, v25
	v_and_b32_e32 v20, v20, v24
	v_ashrrev_i32_e32 v23, 31, v23
	s_wait_alu 0xfffd
	v_xor_b32_e32 v22, vcc_lo, v22
	v_mul_u32_u24_e32 v21, 36, v21
	v_add_nc_u32_e32 v103, 0x438, v45
	v_and_b32_e32 v20, v20, v26
	s_wait_alu 0xf1ff
	v_xor_b32_e32 v23, s15, v23
	v_add_nc_u32_e32 v107, v85, v21
	ds_store_2addr_b32 v103, v3, v3 offset1:1
	v_and_b32_e32 v20, v20, v22
	ds_store_2addr_b32 v104, v3, v3 offset1:1
	ds_store_2addr_b32 v105, v3, v3 offset1:1
	;; [unrolled: 1-line block ×3, first 2 shown]
	ds_store_b32 v45, v3 offset:1088
	s_wait_loadcnt_dscnt 0x0
	s_barrier_signal -1
	s_barrier_wait -1
	v_and_b32_e32 v20, v20, v23
	global_inv scope:SCOPE_SE
	; wave barrier
	v_mbcnt_lo_u32_b32 v102, v20, 0
	v_cmp_ne_u32_e64 s15, 0, v20
	s_delay_alu instid0(VALU_DEP_2)
	v_cmp_eq_u32_e32 vcc_lo, 0, v102
	s_and_b32 s16, s15, vcc_lo
	s_wait_alu 0xfffe
	s_and_saveexec_b32 s15, s16
; %bb.579:                              ;   in Loop: Header=BB192_558 Depth=2
	v_bcnt_u32_b32 v20, v20, 0
	ds_store_b32 v107, v20 offset:1056
; %bb.580:                              ;   in Loop: Header=BB192_558 Depth=2
	s_wait_alu 0xfffe
	s_or_b32 exec_lo, exec_lo, s15
	v_and_b32_e32 v20, 0xff, v95
	; wave barrier
	s_delay_alu instid0(VALU_DEP_1) | instskip(NEXT) | instid1(VALU_DEP_1)
	v_lshrrev_b32_e32 v20, s45, v20
	v_and_b32_e32 v21, s31, v20
	s_delay_alu instid0(VALU_DEP_1)
	v_and_b32_e32 v20, 1, v21
	v_lshlrev_b32_e32 v22, 30, v21
	v_lshlrev_b32_e32 v23, 29, v21
	;; [unrolled: 1-line block ×4, first 2 shown]
	v_add_co_u32 v20, s15, v20, -1
	s_wait_alu 0xf1ff
	v_cndmask_b32_e64 v25, 0, 1, s15
	v_not_b32_e32 v109, v22
	v_cmp_gt_i32_e64 s15, 0, v22
	v_not_b32_e32 v22, v23
	v_lshlrev_b32_e32 v27, 26, v21
	v_cmp_ne_u32_e32 vcc_lo, 0, v25
	v_ashrrev_i32_e32 v109, 31, v109
	v_lshlrev_b32_e32 v108, 25, v21
	v_ashrrev_i32_e32 v22, 31, v22
	v_lshlrev_b32_e32 v25, 24, v21
	s_wait_alu 0xfffd
	v_xor_b32_e32 v20, vcc_lo, v20
	v_cmp_gt_i32_e32 vcc_lo, 0, v23
	v_not_b32_e32 v23, v24
	s_wait_alu 0xf1ff
	v_xor_b32_e32 v109, s15, v109
	v_cmp_gt_i32_e64 s15, 0, v24
	v_and_b32_e32 v20, exec_lo, v20
	v_not_b32_e32 v24, v26
	v_ashrrev_i32_e32 v23, 31, v23
	s_wait_alu 0xfffd
	v_xor_b32_e32 v22, vcc_lo, v22
	v_cmp_gt_i32_e32 vcc_lo, 0, v26
	v_and_b32_e32 v20, v20, v109
	v_not_b32_e32 v26, v27
	v_ashrrev_i32_e32 v24, 31, v24
	s_wait_alu 0xf1ff
	v_xor_b32_e32 v23, s15, v23
	v_cmp_gt_i32_e64 s15, 0, v27
	v_and_b32_e32 v20, v20, v22
	v_not_b32_e32 v22, v108
	v_ashrrev_i32_e32 v26, 31, v26
	s_wait_alu 0xfffd
	v_xor_b32_e32 v24, vcc_lo, v24
	v_cmp_gt_i32_e32 vcc_lo, 0, v108
	v_and_b32_e32 v20, v20, v23
	v_not_b32_e32 v23, v25
	v_ashrrev_i32_e32 v22, 31, v22
	s_wait_alu 0xf1ff
	v_xor_b32_e32 v26, s15, v26
	v_cmp_gt_i32_e64 s15, 0, v25
	v_and_b32_e32 v20, v20, v24
	v_ashrrev_i32_e32 v23, 31, v23
	s_wait_alu 0xfffd
	v_xor_b32_e32 v22, vcc_lo, v22
	v_mad_u32_u24 v24, v21, 36, v85
	v_mul_u32_u24_e32 v21, 36, v21
	v_and_b32_e32 v20, v20, v26
	s_wait_alu 0xf1ff
	v_xor_b32_e32 v23, s15, v23
	ds_load_b32 v108, v24 offset:1056
	v_add_nc_u32_e32 v110, v85, v21
	v_and_b32_e32 v20, v20, v22
	; wave barrier
	s_delay_alu instid0(VALU_DEP_1) | instskip(NEXT) | instid1(VALU_DEP_1)
	v_and_b32_e32 v20, v20, v23
	v_mbcnt_lo_u32_b32 v109, v20, 0
	v_cmp_ne_u32_e64 s15, 0, v20
	s_delay_alu instid0(VALU_DEP_2)
	v_cmp_eq_u32_e32 vcc_lo, 0, v109
	s_and_b32 s16, s15, vcc_lo
	s_wait_alu 0xfffe
	s_and_saveexec_b32 s15, s16
	s_cbranch_execz .LBB192_582
; %bb.581:                              ;   in Loop: Header=BB192_558 Depth=2
	s_wait_dscnt 0x0
	v_bcnt_u32_b32 v20, v20, v108
	ds_store_b32 v110, v20 offset:1056
.LBB192_582:                            ;   in Loop: Header=BB192_558 Depth=2
	s_wait_alu 0xfffe
	s_or_b32 exec_lo, exec_lo, s15
	v_and_b32_e32 v20, 0xff, v96
	; wave barrier
	s_delay_alu instid0(VALU_DEP_1) | instskip(NEXT) | instid1(VALU_DEP_1)
	v_lshrrev_b32_e32 v20, s45, v20
	v_and_b32_e32 v21, s31, v20
	s_delay_alu instid0(VALU_DEP_1)
	v_and_b32_e32 v20, 1, v21
	v_lshlrev_b32_e32 v22, 30, v21
	v_lshlrev_b32_e32 v23, 29, v21
	;; [unrolled: 1-line block ×4, first 2 shown]
	v_add_co_u32 v20, s15, v20, -1
	s_wait_alu 0xf1ff
	v_cndmask_b32_e64 v25, 0, 1, s15
	v_not_b32_e32 v112, v22
	v_cmp_gt_i32_e64 s15, 0, v22
	v_not_b32_e32 v22, v23
	v_lshlrev_b32_e32 v27, 26, v21
	v_cmp_ne_u32_e32 vcc_lo, 0, v25
	v_ashrrev_i32_e32 v112, 31, v112
	v_lshlrev_b32_e32 v111, 25, v21
	v_ashrrev_i32_e32 v22, 31, v22
	v_lshlrev_b32_e32 v25, 24, v21
	s_wait_alu 0xfffd
	v_xor_b32_e32 v20, vcc_lo, v20
	v_cmp_gt_i32_e32 vcc_lo, 0, v23
	v_not_b32_e32 v23, v24
	s_wait_alu 0xf1ff
	v_xor_b32_e32 v112, s15, v112
	v_cmp_gt_i32_e64 s15, 0, v24
	v_and_b32_e32 v20, exec_lo, v20
	v_not_b32_e32 v24, v26
	v_ashrrev_i32_e32 v23, 31, v23
	s_wait_alu 0xfffd
	v_xor_b32_e32 v22, vcc_lo, v22
	v_cmp_gt_i32_e32 vcc_lo, 0, v26
	v_and_b32_e32 v20, v20, v112
	v_not_b32_e32 v26, v27
	v_ashrrev_i32_e32 v24, 31, v24
	s_wait_alu 0xf1ff
	v_xor_b32_e32 v23, s15, v23
	v_cmp_gt_i32_e64 s15, 0, v27
	v_and_b32_e32 v20, v20, v22
	v_not_b32_e32 v22, v111
	v_ashrrev_i32_e32 v26, 31, v26
	s_wait_alu 0xfffd
	v_xor_b32_e32 v24, vcc_lo, v24
	v_cmp_gt_i32_e32 vcc_lo, 0, v111
	v_and_b32_e32 v20, v20, v23
	v_not_b32_e32 v23, v25
	v_ashrrev_i32_e32 v22, 31, v22
	s_wait_alu 0xf1ff
	v_xor_b32_e32 v26, s15, v26
	v_cmp_gt_i32_e64 s15, 0, v25
	v_and_b32_e32 v20, v20, v24
	v_ashrrev_i32_e32 v23, 31, v23
	s_wait_alu 0xfffd
	v_xor_b32_e32 v22, vcc_lo, v22
	v_mad_u32_u24 v24, v21, 36, v85
	v_mul_u32_u24_e32 v21, 36, v21
	v_and_b32_e32 v20, v20, v26
	s_wait_alu 0xf1ff
	v_xor_b32_e32 v23, s15, v23
	ds_load_b32 v111, v24 offset:1056
	v_add_nc_u32_e32 v113, v85, v21
	v_and_b32_e32 v20, v20, v22
	; wave barrier
	s_delay_alu instid0(VALU_DEP_1) | instskip(NEXT) | instid1(VALU_DEP_1)
	v_and_b32_e32 v20, v20, v23
	v_mbcnt_lo_u32_b32 v112, v20, 0
	v_cmp_ne_u32_e64 s15, 0, v20
	s_delay_alu instid0(VALU_DEP_2)
	v_cmp_eq_u32_e32 vcc_lo, 0, v112
	s_and_b32 s16, s15, vcc_lo
	s_wait_alu 0xfffe
	s_and_saveexec_b32 s15, s16
	s_cbranch_execz .LBB192_584
; %bb.583:                              ;   in Loop: Header=BB192_558 Depth=2
	s_wait_dscnt 0x0
	v_bcnt_u32_b32 v20, v20, v111
	ds_store_b32 v113, v20 offset:1056
.LBB192_584:                            ;   in Loop: Header=BB192_558 Depth=2
	s_wait_alu 0xfffe
	s_or_b32 exec_lo, exec_lo, s15
	v_and_b32_e32 v20, 0xff, v97
	; wave barrier
	s_delay_alu instid0(VALU_DEP_1) | instskip(NEXT) | instid1(VALU_DEP_1)
	v_lshrrev_b32_e32 v20, s45, v20
	v_and_b32_e32 v21, s31, v20
	s_delay_alu instid0(VALU_DEP_1)
	v_and_b32_e32 v20, 1, v21
	v_lshlrev_b32_e32 v22, 30, v21
	v_lshlrev_b32_e32 v23, 29, v21
	;; [unrolled: 1-line block ×4, first 2 shown]
	v_add_co_u32 v20, s15, v20, -1
	s_wait_alu 0xf1ff
	v_cndmask_b32_e64 v25, 0, 1, s15
	v_not_b32_e32 v115, v22
	v_cmp_gt_i32_e64 s15, 0, v22
	v_not_b32_e32 v22, v23
	v_lshlrev_b32_e32 v27, 26, v21
	v_cmp_ne_u32_e32 vcc_lo, 0, v25
	v_ashrrev_i32_e32 v115, 31, v115
	v_lshlrev_b32_e32 v114, 25, v21
	v_ashrrev_i32_e32 v22, 31, v22
	v_lshlrev_b32_e32 v25, 24, v21
	s_wait_alu 0xfffd
	v_xor_b32_e32 v20, vcc_lo, v20
	v_cmp_gt_i32_e32 vcc_lo, 0, v23
	v_not_b32_e32 v23, v24
	s_wait_alu 0xf1ff
	v_xor_b32_e32 v115, s15, v115
	v_cmp_gt_i32_e64 s15, 0, v24
	v_and_b32_e32 v20, exec_lo, v20
	v_not_b32_e32 v24, v26
	v_ashrrev_i32_e32 v23, 31, v23
	s_wait_alu 0xfffd
	v_xor_b32_e32 v22, vcc_lo, v22
	v_cmp_gt_i32_e32 vcc_lo, 0, v26
	v_and_b32_e32 v20, v20, v115
	v_not_b32_e32 v26, v27
	v_ashrrev_i32_e32 v24, 31, v24
	s_wait_alu 0xf1ff
	v_xor_b32_e32 v23, s15, v23
	v_cmp_gt_i32_e64 s15, 0, v27
	v_and_b32_e32 v20, v20, v22
	v_not_b32_e32 v22, v114
	v_ashrrev_i32_e32 v26, 31, v26
	s_wait_alu 0xfffd
	v_xor_b32_e32 v24, vcc_lo, v24
	v_cmp_gt_i32_e32 vcc_lo, 0, v114
	v_and_b32_e32 v20, v20, v23
	v_not_b32_e32 v23, v25
	v_ashrrev_i32_e32 v22, 31, v22
	s_wait_alu 0xf1ff
	v_xor_b32_e32 v26, s15, v26
	v_cmp_gt_i32_e64 s15, 0, v25
	v_and_b32_e32 v20, v20, v24
	v_ashrrev_i32_e32 v23, 31, v23
	s_wait_alu 0xfffd
	v_xor_b32_e32 v22, vcc_lo, v22
	v_mad_u32_u24 v24, v21, 36, v85
	v_mul_u32_u24_e32 v21, 36, v21
	v_and_b32_e32 v20, v20, v26
	s_wait_alu 0xf1ff
	v_xor_b32_e32 v23, s15, v23
	ds_load_b32 v114, v24 offset:1056
	v_add_nc_u32_e32 v116, v85, v21
	v_and_b32_e32 v20, v20, v22
	; wave barrier
	s_delay_alu instid0(VALU_DEP_1) | instskip(NEXT) | instid1(VALU_DEP_1)
	v_and_b32_e32 v20, v20, v23
	v_mbcnt_lo_u32_b32 v115, v20, 0
	v_cmp_ne_u32_e64 s15, 0, v20
	s_delay_alu instid0(VALU_DEP_2)
	v_cmp_eq_u32_e32 vcc_lo, 0, v115
	s_and_b32 s16, s15, vcc_lo
	s_wait_alu 0xfffe
	s_and_saveexec_b32 s15, s16
	s_cbranch_execz .LBB192_586
; %bb.585:                              ;   in Loop: Header=BB192_558 Depth=2
	s_wait_dscnt 0x0
	v_bcnt_u32_b32 v20, v20, v114
	ds_store_b32 v116, v20 offset:1056
.LBB192_586:                            ;   in Loop: Header=BB192_558 Depth=2
	s_wait_alu 0xfffe
	s_or_b32 exec_lo, exec_lo, s15
	v_and_b32_e32 v20, 0xff, v98
	; wave barrier
	s_delay_alu instid0(VALU_DEP_1) | instskip(NEXT) | instid1(VALU_DEP_1)
	v_lshrrev_b32_e32 v20, s45, v20
	v_and_b32_e32 v21, s31, v20
	s_delay_alu instid0(VALU_DEP_1)
	v_and_b32_e32 v20, 1, v21
	v_lshlrev_b32_e32 v22, 30, v21
	v_lshlrev_b32_e32 v23, 29, v21
	;; [unrolled: 1-line block ×4, first 2 shown]
	v_add_co_u32 v20, s15, v20, -1
	s_wait_alu 0xf1ff
	v_cndmask_b32_e64 v25, 0, 1, s15
	v_not_b32_e32 v118, v22
	v_cmp_gt_i32_e64 s15, 0, v22
	v_not_b32_e32 v22, v23
	v_lshlrev_b32_e32 v27, 26, v21
	v_cmp_ne_u32_e32 vcc_lo, 0, v25
	v_ashrrev_i32_e32 v118, 31, v118
	v_lshlrev_b32_e32 v117, 25, v21
	v_ashrrev_i32_e32 v22, 31, v22
	v_lshlrev_b32_e32 v25, 24, v21
	s_wait_alu 0xfffd
	v_xor_b32_e32 v20, vcc_lo, v20
	v_cmp_gt_i32_e32 vcc_lo, 0, v23
	v_not_b32_e32 v23, v24
	s_wait_alu 0xf1ff
	v_xor_b32_e32 v118, s15, v118
	v_cmp_gt_i32_e64 s15, 0, v24
	v_and_b32_e32 v20, exec_lo, v20
	v_not_b32_e32 v24, v26
	v_ashrrev_i32_e32 v23, 31, v23
	s_wait_alu 0xfffd
	v_xor_b32_e32 v22, vcc_lo, v22
	v_cmp_gt_i32_e32 vcc_lo, 0, v26
	v_and_b32_e32 v20, v20, v118
	v_not_b32_e32 v26, v27
	v_ashrrev_i32_e32 v24, 31, v24
	s_wait_alu 0xf1ff
	v_xor_b32_e32 v23, s15, v23
	v_cmp_gt_i32_e64 s15, 0, v27
	v_and_b32_e32 v20, v20, v22
	v_not_b32_e32 v22, v117
	v_ashrrev_i32_e32 v26, 31, v26
	s_wait_alu 0xfffd
	v_xor_b32_e32 v24, vcc_lo, v24
	v_cmp_gt_i32_e32 vcc_lo, 0, v117
	v_and_b32_e32 v20, v20, v23
	v_not_b32_e32 v23, v25
	v_ashrrev_i32_e32 v22, 31, v22
	s_wait_alu 0xf1ff
	v_xor_b32_e32 v26, s15, v26
	v_cmp_gt_i32_e64 s15, 0, v25
	v_and_b32_e32 v20, v20, v24
	v_ashrrev_i32_e32 v23, 31, v23
	s_wait_alu 0xfffd
	v_xor_b32_e32 v22, vcc_lo, v22
	v_mad_u32_u24 v24, v21, 36, v85
	v_mul_u32_u24_e32 v21, 36, v21
	v_and_b32_e32 v20, v20, v26
	s_wait_alu 0xf1ff
	v_xor_b32_e32 v23, s15, v23
	ds_load_b32 v117, v24 offset:1056
	v_add_nc_u32_e32 v119, v85, v21
	v_and_b32_e32 v20, v20, v22
	; wave barrier
	s_delay_alu instid0(VALU_DEP_1) | instskip(NEXT) | instid1(VALU_DEP_1)
	v_and_b32_e32 v20, v20, v23
	v_mbcnt_lo_u32_b32 v118, v20, 0
	v_cmp_ne_u32_e64 s15, 0, v20
	s_delay_alu instid0(VALU_DEP_2)
	v_cmp_eq_u32_e32 vcc_lo, 0, v118
	s_and_b32 s16, s15, vcc_lo
	s_wait_alu 0xfffe
	s_and_saveexec_b32 s15, s16
	s_cbranch_execz .LBB192_588
; %bb.587:                              ;   in Loop: Header=BB192_558 Depth=2
	s_wait_dscnt 0x0
	v_bcnt_u32_b32 v20, v20, v117
	ds_store_b32 v119, v20 offset:1056
.LBB192_588:                            ;   in Loop: Header=BB192_558 Depth=2
	s_wait_alu 0xfffe
	s_or_b32 exec_lo, exec_lo, s15
	v_and_b32_e32 v20, 0xff, v99
	; wave barrier
	s_delay_alu instid0(VALU_DEP_1) | instskip(NEXT) | instid1(VALU_DEP_1)
	v_lshrrev_b32_e32 v20, s45, v20
	v_and_b32_e32 v21, s31, v20
	s_delay_alu instid0(VALU_DEP_1)
	v_and_b32_e32 v20, 1, v21
	v_lshlrev_b32_e32 v22, 30, v21
	v_lshlrev_b32_e32 v23, 29, v21
	;; [unrolled: 1-line block ×4, first 2 shown]
	v_add_co_u32 v20, s15, v20, -1
	s_wait_alu 0xf1ff
	v_cndmask_b32_e64 v25, 0, 1, s15
	v_not_b32_e32 v121, v22
	v_cmp_gt_i32_e64 s15, 0, v22
	v_not_b32_e32 v22, v23
	v_lshlrev_b32_e32 v27, 26, v21
	v_cmp_ne_u32_e32 vcc_lo, 0, v25
	v_ashrrev_i32_e32 v121, 31, v121
	v_lshlrev_b32_e32 v120, 25, v21
	v_ashrrev_i32_e32 v22, 31, v22
	v_lshlrev_b32_e32 v25, 24, v21
	s_wait_alu 0xfffd
	v_xor_b32_e32 v20, vcc_lo, v20
	v_cmp_gt_i32_e32 vcc_lo, 0, v23
	v_not_b32_e32 v23, v24
	s_wait_alu 0xf1ff
	v_xor_b32_e32 v121, s15, v121
	v_cmp_gt_i32_e64 s15, 0, v24
	v_and_b32_e32 v20, exec_lo, v20
	v_not_b32_e32 v24, v26
	v_ashrrev_i32_e32 v23, 31, v23
	s_wait_alu 0xfffd
	v_xor_b32_e32 v22, vcc_lo, v22
	v_cmp_gt_i32_e32 vcc_lo, 0, v26
	v_and_b32_e32 v20, v20, v121
	v_not_b32_e32 v26, v27
	v_ashrrev_i32_e32 v24, 31, v24
	s_wait_alu 0xf1ff
	v_xor_b32_e32 v23, s15, v23
	v_cmp_gt_i32_e64 s15, 0, v27
	v_and_b32_e32 v20, v20, v22
	v_not_b32_e32 v22, v120
	v_ashrrev_i32_e32 v26, 31, v26
	s_wait_alu 0xfffd
	v_xor_b32_e32 v24, vcc_lo, v24
	v_cmp_gt_i32_e32 vcc_lo, 0, v120
	v_and_b32_e32 v20, v20, v23
	v_not_b32_e32 v23, v25
	v_ashrrev_i32_e32 v22, 31, v22
	s_wait_alu 0xf1ff
	v_xor_b32_e32 v26, s15, v26
	v_cmp_gt_i32_e64 s15, 0, v25
	v_and_b32_e32 v20, v20, v24
	v_ashrrev_i32_e32 v23, 31, v23
	s_wait_alu 0xfffd
	v_xor_b32_e32 v22, vcc_lo, v22
	v_mad_u32_u24 v24, v21, 36, v85
	v_mul_u32_u24_e32 v21, 36, v21
	v_and_b32_e32 v20, v20, v26
	s_wait_alu 0xf1ff
	v_xor_b32_e32 v23, s15, v23
	ds_load_b32 v120, v24 offset:1056
	v_add_nc_u32_e32 v122, v85, v21
	v_and_b32_e32 v20, v20, v22
	; wave barrier
	s_delay_alu instid0(VALU_DEP_1) | instskip(NEXT) | instid1(VALU_DEP_1)
	v_and_b32_e32 v20, v20, v23
	v_mbcnt_lo_u32_b32 v121, v20, 0
	v_cmp_ne_u32_e64 s15, 0, v20
	s_delay_alu instid0(VALU_DEP_2)
	v_cmp_eq_u32_e32 vcc_lo, 0, v121
	s_and_b32 s16, s15, vcc_lo
	s_wait_alu 0xfffe
	s_and_saveexec_b32 s15, s16
	s_cbranch_execz .LBB192_590
; %bb.589:                              ;   in Loop: Header=BB192_558 Depth=2
	s_wait_dscnt 0x0
	v_bcnt_u32_b32 v20, v20, v120
	ds_store_b32 v122, v20 offset:1056
.LBB192_590:                            ;   in Loop: Header=BB192_558 Depth=2
	s_wait_alu 0xfffe
	s_or_b32 exec_lo, exec_lo, s15
	v_and_b32_e32 v20, 0xff, v100
	; wave barrier
	s_delay_alu instid0(VALU_DEP_1) | instskip(NEXT) | instid1(VALU_DEP_1)
	v_lshrrev_b32_e32 v20, s45, v20
	v_and_b32_e32 v21, s31, v20
	s_delay_alu instid0(VALU_DEP_1)
	v_and_b32_e32 v20, 1, v21
	v_lshlrev_b32_e32 v22, 30, v21
	v_lshlrev_b32_e32 v23, 29, v21
	;; [unrolled: 1-line block ×4, first 2 shown]
	v_add_co_u32 v20, s15, v20, -1
	s_wait_alu 0xf1ff
	v_cndmask_b32_e64 v25, 0, 1, s15
	v_not_b32_e32 v124, v22
	v_cmp_gt_i32_e64 s15, 0, v22
	v_not_b32_e32 v22, v23
	v_lshlrev_b32_e32 v27, 26, v21
	v_cmp_ne_u32_e32 vcc_lo, 0, v25
	v_ashrrev_i32_e32 v124, 31, v124
	v_lshlrev_b32_e32 v123, 25, v21
	v_ashrrev_i32_e32 v22, 31, v22
	v_lshlrev_b32_e32 v25, 24, v21
	s_wait_alu 0xfffd
	v_xor_b32_e32 v20, vcc_lo, v20
	v_cmp_gt_i32_e32 vcc_lo, 0, v23
	v_not_b32_e32 v23, v24
	s_wait_alu 0xf1ff
	v_xor_b32_e32 v124, s15, v124
	v_cmp_gt_i32_e64 s15, 0, v24
	v_and_b32_e32 v20, exec_lo, v20
	v_not_b32_e32 v24, v26
	v_ashrrev_i32_e32 v23, 31, v23
	s_wait_alu 0xfffd
	v_xor_b32_e32 v22, vcc_lo, v22
	v_cmp_gt_i32_e32 vcc_lo, 0, v26
	v_and_b32_e32 v20, v20, v124
	v_not_b32_e32 v26, v27
	v_ashrrev_i32_e32 v24, 31, v24
	s_wait_alu 0xf1ff
	v_xor_b32_e32 v23, s15, v23
	v_cmp_gt_i32_e64 s15, 0, v27
	v_and_b32_e32 v20, v20, v22
	v_not_b32_e32 v22, v123
	v_ashrrev_i32_e32 v26, 31, v26
	s_wait_alu 0xfffd
	v_xor_b32_e32 v24, vcc_lo, v24
	v_cmp_gt_i32_e32 vcc_lo, 0, v123
	v_and_b32_e32 v20, v20, v23
	v_not_b32_e32 v23, v25
	v_ashrrev_i32_e32 v22, 31, v22
	s_wait_alu 0xf1ff
	v_xor_b32_e32 v26, s15, v26
	v_cmp_gt_i32_e64 s15, 0, v25
	v_and_b32_e32 v20, v20, v24
	v_ashrrev_i32_e32 v23, 31, v23
	s_wait_alu 0xfffd
	v_xor_b32_e32 v22, vcc_lo, v22
	v_mad_u32_u24 v24, v21, 36, v85
	v_mul_u32_u24_e32 v21, 36, v21
	v_and_b32_e32 v20, v20, v26
	s_wait_alu 0xf1ff
	v_xor_b32_e32 v23, s15, v23
	ds_load_b32 v123, v24 offset:1056
	v_add_nc_u32_e32 v125, v85, v21
	v_and_b32_e32 v20, v20, v22
	; wave barrier
	s_delay_alu instid0(VALU_DEP_1) | instskip(NEXT) | instid1(VALU_DEP_1)
	v_and_b32_e32 v20, v20, v23
	v_mbcnt_lo_u32_b32 v124, v20, 0
	v_cmp_ne_u32_e64 s15, 0, v20
	s_delay_alu instid0(VALU_DEP_2)
	v_cmp_eq_u32_e32 vcc_lo, 0, v124
	s_and_b32 s16, s15, vcc_lo
	s_wait_alu 0xfffe
	s_and_saveexec_b32 s15, s16
	s_cbranch_execz .LBB192_592
; %bb.591:                              ;   in Loop: Header=BB192_558 Depth=2
	s_wait_dscnt 0x0
	v_bcnt_u32_b32 v20, v20, v123
	ds_store_b32 v125, v20 offset:1056
.LBB192_592:                            ;   in Loop: Header=BB192_558 Depth=2
	s_wait_alu 0xfffe
	s_or_b32 exec_lo, exec_lo, s15
	v_and_b32_e32 v20, 0xff, v101
	; wave barrier
	s_delay_alu instid0(VALU_DEP_1) | instskip(NEXT) | instid1(VALU_DEP_1)
	v_lshrrev_b32_e32 v20, s45, v20
	v_and_b32_e32 v21, s31, v20
	s_delay_alu instid0(VALU_DEP_1)
	v_and_b32_e32 v20, 1, v21
	v_lshlrev_b32_e32 v22, 30, v21
	v_lshlrev_b32_e32 v23, 29, v21
	;; [unrolled: 1-line block ×4, first 2 shown]
	v_add_co_u32 v20, s15, v20, -1
	s_wait_alu 0xf1ff
	v_cndmask_b32_e64 v25, 0, 1, s15
	v_not_b32_e32 v127, v22
	v_cmp_gt_i32_e64 s15, 0, v22
	v_not_b32_e32 v22, v23
	v_lshlrev_b32_e32 v27, 26, v21
	v_cmp_ne_u32_e32 vcc_lo, 0, v25
	v_ashrrev_i32_e32 v127, 31, v127
	v_lshlrev_b32_e32 v126, 25, v21
	v_ashrrev_i32_e32 v22, 31, v22
	v_lshlrev_b32_e32 v25, 24, v21
	s_wait_alu 0xfffd
	v_xor_b32_e32 v20, vcc_lo, v20
	v_cmp_gt_i32_e32 vcc_lo, 0, v23
	v_not_b32_e32 v23, v24
	s_wait_alu 0xf1ff
	v_xor_b32_e32 v127, s15, v127
	v_cmp_gt_i32_e64 s15, 0, v24
	v_and_b32_e32 v20, exec_lo, v20
	v_not_b32_e32 v24, v26
	v_ashrrev_i32_e32 v23, 31, v23
	s_wait_alu 0xfffd
	v_xor_b32_e32 v22, vcc_lo, v22
	v_cmp_gt_i32_e32 vcc_lo, 0, v26
	v_and_b32_e32 v20, v20, v127
	v_not_b32_e32 v26, v27
	v_ashrrev_i32_e32 v24, 31, v24
	s_wait_alu 0xf1ff
	v_xor_b32_e32 v23, s15, v23
	v_cmp_gt_i32_e64 s15, 0, v27
	v_and_b32_e32 v20, v20, v22
	v_not_b32_e32 v22, v126
	v_ashrrev_i32_e32 v26, 31, v26
	s_wait_alu 0xfffd
	v_xor_b32_e32 v24, vcc_lo, v24
	v_cmp_gt_i32_e32 vcc_lo, 0, v126
	v_and_b32_e32 v20, v20, v23
	v_not_b32_e32 v23, v25
	v_ashrrev_i32_e32 v22, 31, v22
	s_wait_alu 0xf1ff
	v_xor_b32_e32 v26, s15, v26
	v_cmp_gt_i32_e64 s15, 0, v25
	v_and_b32_e32 v20, v20, v24
	v_ashrrev_i32_e32 v23, 31, v23
	s_wait_alu 0xfffd
	v_xor_b32_e32 v22, vcc_lo, v22
	v_mad_u32_u24 v24, v21, 36, v85
	v_mul_u32_u24_e32 v21, 36, v21
	v_and_b32_e32 v20, v20, v26
	s_wait_alu 0xf1ff
	v_xor_b32_e32 v23, s15, v23
	ds_load_b32 v126, v24 offset:1056
	v_add_nc_u32_e32 v128, v85, v21
	v_and_b32_e32 v20, v20, v22
	; wave barrier
	s_delay_alu instid0(VALU_DEP_1) | instskip(NEXT) | instid1(VALU_DEP_1)
	v_and_b32_e32 v20, v20, v23
	v_mbcnt_lo_u32_b32 v127, v20, 0
	v_cmp_ne_u32_e64 s15, 0, v20
	s_delay_alu instid0(VALU_DEP_2)
	v_cmp_eq_u32_e32 vcc_lo, 0, v127
	s_and_b32 s16, s15, vcc_lo
	s_wait_alu 0xfffe
	s_and_saveexec_b32 s15, s16
	s_cbranch_execz .LBB192_594
; %bb.593:                              ;   in Loop: Header=BB192_558 Depth=2
	s_wait_dscnt 0x0
	v_bcnt_u32_b32 v20, v20, v126
	ds_store_b32 v128, v20 offset:1056
.LBB192_594:                            ;   in Loop: Header=BB192_558 Depth=2
	s_wait_alu 0xfffe
	s_or_b32 exec_lo, exec_lo, s15
	; wave barrier
	s_wait_loadcnt_dscnt 0x0
	s_barrier_signal -1
	s_barrier_wait -1
	global_inv scope:SCOPE_SE
	ds_load_2addr_b32 v[26:27], v104 offset1:1
	ds_load_2addr_b32 v[24:25], v105 offset1:1
	;; [unrolled: 1-line block ×4, first 2 shown]
	ds_load_b32 v129, v45 offset:1088
	s_wait_dscnt 0x3
	v_add3_u32 v130, v27, v26, v24
	s_wait_dscnt 0x2
	s_delay_alu instid0(VALU_DEP_1) | instskip(SKIP_1) | instid1(VALU_DEP_1)
	v_add3_u32 v130, v130, v25, v22
	s_wait_dscnt 0x1
	v_add3_u32 v130, v130, v23, v20
	s_wait_dscnt 0x0
	s_delay_alu instid0(VALU_DEP_1) | instskip(NEXT) | instid1(VALU_DEP_1)
	v_add3_u32 v129, v130, v21, v129
	v_mov_b32_dpp v130, v129 row_shr:1 row_mask:0xf bank_mask:0xf
	s_delay_alu instid0(VALU_DEP_1) | instskip(NEXT) | instid1(VALU_DEP_1)
	v_cndmask_b32_e64 v130, v130, 0, s0
	v_add_nc_u32_e32 v129, v130, v129
	s_delay_alu instid0(VALU_DEP_1) | instskip(NEXT) | instid1(VALU_DEP_1)
	v_mov_b32_dpp v130, v129 row_shr:2 row_mask:0xf bank_mask:0xf
	v_cndmask_b32_e64 v130, 0, v130, s1
	s_delay_alu instid0(VALU_DEP_1) | instskip(NEXT) | instid1(VALU_DEP_1)
	v_add_nc_u32_e32 v129, v129, v130
	v_mov_b32_dpp v130, v129 row_shr:4 row_mask:0xf bank_mask:0xf
	s_delay_alu instid0(VALU_DEP_1) | instskip(NEXT) | instid1(VALU_DEP_1)
	v_cndmask_b32_e64 v130, 0, v130, s9
	v_add_nc_u32_e32 v129, v129, v130
	s_delay_alu instid0(VALU_DEP_1) | instskip(NEXT) | instid1(VALU_DEP_1)
	v_mov_b32_dpp v130, v129 row_shr:8 row_mask:0xf bank_mask:0xf
	v_cndmask_b32_e64 v130, 0, v130, s10
	s_delay_alu instid0(VALU_DEP_1) | instskip(SKIP_3) | instid1(VALU_DEP_1)
	v_add_nc_u32_e32 v129, v129, v130
	ds_swizzle_b32 v130, v129 offset:swizzle(BROADCAST,32,15)
	s_wait_dscnt 0x0
	v_cndmask_b32_e64 v130, v130, 0, s11
	v_add_nc_u32_e32 v129, v129, v130
	s_and_saveexec_b32 s15, s3
; %bb.595:                              ;   in Loop: Header=BB192_558 Depth=2
	ds_store_b32 v38, v129 offset:1024
; %bb.596:                              ;   in Loop: Header=BB192_558 Depth=2
	s_wait_alu 0xfffe
	s_or_b32 exec_lo, exec_lo, s15
	s_wait_loadcnt_dscnt 0x0
	s_barrier_signal -1
	s_barrier_wait -1
	global_inv scope:SCOPE_SE
	s_and_saveexec_b32 s15, s4
	s_cbranch_execz .LBB192_598
; %bb.597:                              ;   in Loop: Header=BB192_558 Depth=2
	v_add_nc_u32_e32 v130, v45, v46
	ds_load_b32 v131, v130 offset:1024
	s_wait_dscnt 0x0
	v_mov_b32_dpp v132, v131 row_shr:1 row_mask:0xf bank_mask:0xf
	s_delay_alu instid0(VALU_DEP_1) | instskip(NEXT) | instid1(VALU_DEP_1)
	v_cndmask_b32_e64 v132, v132, 0, s12
	v_add_nc_u32_e32 v131, v132, v131
	s_delay_alu instid0(VALU_DEP_1) | instskip(NEXT) | instid1(VALU_DEP_1)
	v_mov_b32_dpp v132, v131 row_shr:2 row_mask:0xf bank_mask:0xf
	v_cndmask_b32_e64 v132, 0, v132, s13
	s_delay_alu instid0(VALU_DEP_1) | instskip(NEXT) | instid1(VALU_DEP_1)
	v_add_nc_u32_e32 v131, v131, v132
	v_mov_b32_dpp v132, v131 row_shr:4 row_mask:0xf bank_mask:0xf
	s_delay_alu instid0(VALU_DEP_1) | instskip(NEXT) | instid1(VALU_DEP_1)
	v_cndmask_b32_e64 v132, 0, v132, s14
	v_add_nc_u32_e32 v131, v131, v132
	ds_store_b32 v130, v131 offset:1024
.LBB192_598:                            ;   in Loop: Header=BB192_558 Depth=2
	s_wait_alu 0xfffe
	s_or_b32 exec_lo, exec_lo, s15
	v_mov_b32_e32 v130, 0
	s_wait_loadcnt_dscnt 0x0
	s_barrier_signal -1
	s_barrier_wait -1
	global_inv scope:SCOPE_SE
	s_and_saveexec_b32 s15, s5
; %bb.599:                              ;   in Loop: Header=BB192_558 Depth=2
	ds_load_b32 v130, v38 offset:1020
; %bb.600:                              ;   in Loop: Header=BB192_558 Depth=2
	s_wait_alu 0xfffe
	s_or_b32 exec_lo, exec_lo, s15
	s_wait_dscnt 0x0
	v_add_nc_u32_e32 v129, v130, v129
	ds_bpermute_b32 v129, v80, v129
	s_wait_dscnt 0x0
	v_cndmask_b32_e64 v129, v129, v130, s8
	s_delay_alu instid0(VALU_DEP_1) | instskip(NEXT) | instid1(VALU_DEP_1)
	v_cndmask_b32_e64 v129, v129, 0, s6
	v_add_nc_u32_e32 v26, v129, v26
	s_delay_alu instid0(VALU_DEP_1) | instskip(NEXT) | instid1(VALU_DEP_1)
	v_add_nc_u32_e32 v27, v26, v27
	v_add_nc_u32_e32 v24, v27, v24
	s_delay_alu instid0(VALU_DEP_1) | instskip(NEXT) | instid1(VALU_DEP_1)
	v_add_nc_u32_e32 v25, v24, v25
	;; [unrolled: 3-line block ×3, first 2 shown]
	v_add_nc_u32_e32 v20, v23, v20
	s_delay_alu instid0(VALU_DEP_1)
	v_add_nc_u32_e32 v21, v20, v21
	ds_store_2addr_b32 v103, v23, v20 offset1:1
	ds_store_2addr_b32 v104, v129, v26 offset1:1
	;; [unrolled: 1-line block ×4, first 2 shown]
	ds_store_b32 v45, v21 offset:1088
	s_wait_loadcnt_dscnt 0x0
	s_barrier_signal -1
	s_barrier_wait -1
	global_inv scope:SCOPE_SE
	ds_load_b32 v20, v107 offset:1056
	ds_load_b32 v21, v110 offset:1056
	;; [unrolled: 1-line block ×9, first 2 shown]
	v_mov_b32_e32 v22, 0x800
	s_and_saveexec_b32 s15, s7
; %bb.601:                              ;   in Loop: Header=BB192_558 Depth=2
	ds_load_b32 v22, v45 offset:1092
; %bb.602:                              ;   in Loop: Header=BB192_558 Depth=2
	s_wait_alu 0xfffe
	s_or_b32 exec_lo, exec_lo, s15
	s_wait_loadcnt_dscnt 0x0
	s_barrier_signal -1
	s_barrier_wait -1
	global_inv scope:SCOPE_SE
	s_and_saveexec_b32 s15, s2
	s_cbranch_execz .LBB192_604
; %bb.603:                              ;   in Loop: Header=BB192_558 Depth=2
	ds_load_b32 v27, v28
	s_wait_dscnt 0x0
	v_sub_nc_u32_e32 v26, v27, v26
	ds_store_b32 v28, v26
.LBB192_604:                            ;   in Loop: Header=BB192_558 Depth=2
	s_wait_alu 0xfffe
	s_or_b32 exec_lo, exec_lo, s15
	v_add_nc_u32_e32 v104, v20, v102
	v_add3_u32 v103, v109, v108, v21
	v_add3_u32 v102, v112, v111, v23
	;; [unrolled: 1-line block ×7, first 2 shown]
	v_cmp_lt_u32_e64 s20, v1, v2
	ds_store_b8 v104, v94 offset:1024
	ds_store_b8 v103, v95 offset:1024
	;; [unrolled: 1-line block ×8, first 2 shown]
	s_wait_loadcnt_dscnt 0x0
	s_barrier_signal -1
	s_barrier_wait -1
	global_inv scope:SCOPE_SE
	s_and_saveexec_b32 s15, s20
	s_cbranch_execnz .LBB192_641
; %bb.605:                              ;   in Loop: Header=BB192_558 Depth=2
	s_wait_alu 0xfffe
	s_or_b32 exec_lo, exec_lo, s15
	v_cmp_lt_u32_e64 s21, v29, v2
	s_and_saveexec_b32 s15, s21
	s_cbranch_execnz .LBB192_642
.LBB192_606:                            ;   in Loop: Header=BB192_558 Depth=2
	s_wait_alu 0xfffe
	s_or_b32 exec_lo, exec_lo, s15
	v_cmp_lt_u32_e64 s19, v30, v2
	s_and_saveexec_b32 s15, s19
	s_cbranch_execnz .LBB192_643
.LBB192_607:                            ;   in Loop: Header=BB192_558 Depth=2
	s_wait_alu 0xfffe
	s_or_b32 exec_lo, exec_lo, s15
	v_cmp_lt_u32_e64 s18, v31, v2
	s_and_saveexec_b32 s15, s18
	s_cbranch_execnz .LBB192_644
.LBB192_608:                            ;   in Loop: Header=BB192_558 Depth=2
	s_wait_alu 0xfffe
	s_or_b32 exec_lo, exec_lo, s15
	v_cmp_lt_u32_e64 s17, v34, v2
	s_and_saveexec_b32 s15, s17
	s_cbranch_execnz .LBB192_645
.LBB192_609:                            ;   in Loop: Header=BB192_558 Depth=2
	s_wait_alu 0xfffe
	s_or_b32 exec_lo, exec_lo, s15
	v_cmp_lt_u32_e64 s16, v35, v2
	s_and_saveexec_b32 s15, s16
	s_cbranch_execnz .LBB192_646
.LBB192_610:                            ;   in Loop: Header=BB192_558 Depth=2
	s_wait_alu 0xfffe
	s_or_b32 exec_lo, exec_lo, s15
	v_cmp_lt_u32_e64 s15, v36, v2
	s_and_saveexec_b32 s44, s15
	s_cbranch_execnz .LBB192_647
.LBB192_611:                            ;   in Loop: Header=BB192_558 Depth=2
	s_wait_alu 0xfffe
	s_or_b32 exec_lo, exec_lo, s44
	v_cmp_lt_u32_e32 vcc_lo, v37, v2
	s_and_saveexec_b32 s44, vcc_lo
	s_cbranch_execz .LBB192_613
.LBB192_612:                            ;   in Loop: Header=BB192_558 Depth=2
	ds_load_u8 v20, v1 offset:2816
	s_wait_dscnt 0x0
	v_and_b32_e32 v21, 0xff, v20
	s_delay_alu instid0(VALU_DEP_1) | instskip(NEXT) | instid1(VALU_DEP_1)
	v_lshrrev_b32_e32 v21, s45, v21
	v_and_b32_e32 v21, s31, v21
	s_delay_alu instid0(VALU_DEP_1)
	v_lshlrev_b32_e32 v21, 2, v21
	ds_load_b32 v21, v21
	s_wait_dscnt 0x0
	v_add_nc_u32_e32 v21, v21, v37
	global_store_b8 v21, v20, s[40:41]
.LBB192_613:                            ;   in Loop: Header=BB192_558 Depth=2
	s_wait_alu 0xfffe
	s_or_b32 exec_lo, exec_lo, s44
	s_lshl_b64 s[48:49], s[22:23], 3
	s_wait_alu 0xfffe
	v_add_co_u32 v20, s22, v81, s48
	s_wait_alu 0xf1ff
	v_add_co_ci_u32_e64 v21, null, s49, v82, s22
	v_cmp_lt_u32_e64 s22, v68, v2
	s_and_saveexec_b32 s44, s22
	s_wait_alu 0xfffe
	s_xor_b32 s22, exec_lo, s44
	s_cbranch_execnz .LBB192_648
; %bb.614:                              ;   in Loop: Header=BB192_558 Depth=2
	s_wait_alu 0xfffe
	s_or_b32 exec_lo, exec_lo, s22
	s_delay_alu instid0(SALU_CYCLE_1)
	s_mov_b32 s44, exec_lo
	v_cmpx_lt_u32_e64 v71, v2
	s_cbranch_execnz .LBB192_649
.LBB192_615:                            ;   in Loop: Header=BB192_558 Depth=2
	s_wait_alu 0xfffe
	s_or_b32 exec_lo, exec_lo, s44
	s_delay_alu instid0(SALU_CYCLE_1)
	s_mov_b32 s44, exec_lo
	v_cmpx_lt_u32_e64 v72, v2
	s_cbranch_execnz .LBB192_650
.LBB192_616:                            ;   in Loop: Header=BB192_558 Depth=2
	s_wait_alu 0xfffe
	s_or_b32 exec_lo, exec_lo, s44
	s_delay_alu instid0(SALU_CYCLE_1)
	s_mov_b32 s44, exec_lo
	v_cmpx_lt_u32_e64 v73, v2
	s_cbranch_execnz .LBB192_651
.LBB192_617:                            ;   in Loop: Header=BB192_558 Depth=2
	s_wait_alu 0xfffe
	s_or_b32 exec_lo, exec_lo, s44
	s_delay_alu instid0(SALU_CYCLE_1)
	s_mov_b32 s44, exec_lo
	v_cmpx_lt_u32_e64 v74, v2
	s_cbranch_execnz .LBB192_652
.LBB192_618:                            ;   in Loop: Header=BB192_558 Depth=2
	s_wait_alu 0xfffe
	s_or_b32 exec_lo, exec_lo, s44
	s_delay_alu instid0(SALU_CYCLE_1)
	s_mov_b32 s44, exec_lo
	v_cmpx_lt_u32_e64 v75, v2
	s_cbranch_execnz .LBB192_653
.LBB192_619:                            ;   in Loop: Header=BB192_558 Depth=2
	s_wait_alu 0xfffe
	s_or_b32 exec_lo, exec_lo, s44
	s_delay_alu instid0(SALU_CYCLE_1)
	s_mov_b32 s44, exec_lo
	v_cmpx_lt_u32_e64 v76, v2
	s_cbranch_execnz .LBB192_654
.LBB192_620:                            ;   in Loop: Header=BB192_558 Depth=2
	s_wait_alu 0xfffe
	s_or_b32 exec_lo, exec_lo, s44
	s_delay_alu instid0(SALU_CYCLE_1)
	s_mov_b32 s44, exec_lo
	v_cmpx_lt_u32_e64 v77, v2
	s_cbranch_execnz .LBB192_655
.LBB192_621:                            ;   in Loop: Header=BB192_558 Depth=2
	s_wait_alu 0xfffe
	s_or_b32 exec_lo, exec_lo, s44
	s_and_saveexec_b32 s22, s20
	s_cbranch_execnz .LBB192_656
.LBB192_622:                            ;   in Loop: Header=BB192_558 Depth=2
	s_wait_alu 0xfffe
	s_or_b32 exec_lo, exec_lo, s22
	s_and_saveexec_b32 s22, s21
	s_cbranch_execnz .LBB192_657
.LBB192_623:                            ;   in Loop: Header=BB192_558 Depth=2
	s_wait_alu 0xfffe
	s_or_b32 exec_lo, exec_lo, s22
	s_and_saveexec_b32 s22, s19
	s_cbranch_execnz .LBB192_658
.LBB192_624:                            ;   in Loop: Header=BB192_558 Depth=2
	s_wait_alu 0xfffe
	s_or_b32 exec_lo, exec_lo, s22
	s_and_saveexec_b32 s22, s18
	s_cbranch_execnz .LBB192_659
.LBB192_625:                            ;   in Loop: Header=BB192_558 Depth=2
	s_wait_alu 0xfffe
	s_or_b32 exec_lo, exec_lo, s22
	s_and_saveexec_b32 s22, s17
	s_cbranch_execnz .LBB192_660
.LBB192_626:                            ;   in Loop: Header=BB192_558 Depth=2
	s_wait_alu 0xfffe
	s_or_b32 exec_lo, exec_lo, s22
	s_and_saveexec_b32 s22, s16
	s_cbranch_execnz .LBB192_661
.LBB192_627:                            ;   in Loop: Header=BB192_558 Depth=2
	s_wait_alu 0xfffe
	s_or_b32 exec_lo, exec_lo, s22
	s_and_saveexec_b32 s22, s15
	s_cbranch_execnz .LBB192_662
.LBB192_628:                            ;   in Loop: Header=BB192_558 Depth=2
	s_wait_alu 0xfffe
	s_or_b32 exec_lo, exec_lo, s22
	s_and_saveexec_b32 s22, vcc_lo
	s_cbranch_execz .LBB192_630
.LBB192_629:                            ;   in Loop: Header=BB192_558 Depth=2
	ds_load_u8 v2, v1 offset:2816
	s_wait_dscnt 0x0
	v_lshrrev_b32_e32 v2, s45, v2
	s_delay_alu instid0(VALU_DEP_1)
	v_and_b32_e32 v86, s31, v2
.LBB192_630:                            ;   in Loop: Header=BB192_558 Depth=2
	s_wait_alu 0xfffe
	s_or_b32 exec_lo, exec_lo, s22
	v_lshlrev_b32_e32 v2, 3, v104
	v_lshlrev_b32_e32 v20, 3, v103
	v_lshlrev_b32_e32 v21, 3, v102
	s_wait_loadcnt 0x0
	s_wait_storecnt 0x0
	s_barrier_signal -1
	s_barrier_wait -1
	global_inv scope:SCOPE_SE
	ds_store_b64 v2, v[18:19] offset:1024
	ds_store_b64 v20, v[16:17] offset:1024
	ds_store_b64 v21, v[14:15] offset:1024
	v_lshlrev_b32_e32 v2, 3, v27
	v_lshlrev_b32_e32 v20, 3, v26
	;; [unrolled: 1-line block ×5, first 2 shown]
	ds_store_b64 v2, v[12:13] offset:1024
	ds_store_b64 v20, v[10:11] offset:1024
	;; [unrolled: 1-line block ×5, first 2 shown]
	v_add_nc_u32_e32 v20, v1, v47
	s_wait_loadcnt_dscnt 0x0
	s_barrier_signal -1
	s_barrier_wait -1
	global_inv scope:SCOPE_SE
	s_and_saveexec_b32 s22, s20
	s_cbranch_execnz .LBB192_663
; %bb.631:                              ;   in Loop: Header=BB192_558 Depth=2
	s_wait_alu 0xfffe
	s_or_b32 exec_lo, exec_lo, s22
	s_and_saveexec_b32 s22, s21
	s_cbranch_execnz .LBB192_664
.LBB192_632:                            ;   in Loop: Header=BB192_558 Depth=2
	s_wait_alu 0xfffe
	s_or_b32 exec_lo, exec_lo, s22
	s_and_saveexec_b32 s20, s19
	s_cbranch_execnz .LBB192_665
.LBB192_633:                            ;   in Loop: Header=BB192_558 Depth=2
	s_wait_alu 0xfffe
	s_or_b32 exec_lo, exec_lo, s20
	s_and_saveexec_b32 s19, s18
	s_cbranch_execnz .LBB192_666
.LBB192_634:                            ;   in Loop: Header=BB192_558 Depth=2
	s_wait_alu 0xfffe
	s_or_b32 exec_lo, exec_lo, s19
	s_and_saveexec_b32 s18, s17
	s_cbranch_execnz .LBB192_667
.LBB192_635:                            ;   in Loop: Header=BB192_558 Depth=2
	s_wait_alu 0xfffe
	s_or_b32 exec_lo, exec_lo, s18
	s_and_saveexec_b32 s17, s16
	s_cbranch_execnz .LBB192_668
.LBB192_636:                            ;   in Loop: Header=BB192_558 Depth=2
	s_wait_alu 0xfffe
	s_or_b32 exec_lo, exec_lo, s17
	s_and_saveexec_b32 s16, s15
	s_cbranch_execnz .LBB192_669
.LBB192_637:                            ;   in Loop: Header=BB192_558 Depth=2
	s_wait_alu 0xfffe
	s_or_b32 exec_lo, exec_lo, s16
	s_and_saveexec_b32 s15, vcc_lo
	s_cbranch_execz .LBB192_639
.LBB192_638:                            ;   in Loop: Header=BB192_558 Depth=2
	v_lshlrev_b32_e32 v2, 2, v86
	ds_load_b32 v2, v2
	ds_load_b64 v[20:21], v20 offset:15360
	s_wait_dscnt 0x1
	v_add_nc_u32_e32 v2, v2, v37
	s_delay_alu instid0(VALU_DEP_1) | instskip(NEXT) | instid1(VALU_DEP_1)
	v_lshlrev_b64_e32 v[23:24], 3, v[2:3]
	v_add_co_u32 v23, vcc_lo, s26, v23
	s_wait_alu 0xfffd
	s_delay_alu instid0(VALU_DEP_2)
	v_add_co_ci_u32_e64 v24, null, s27, v24, vcc_lo
	s_wait_dscnt 0x0
	global_store_b64 v[23:24], v[20:21], off
.LBB192_639:                            ;   in Loop: Header=BB192_558 Depth=2
	s_wait_alu 0xfffe
	s_or_b32 exec_lo, exec_lo, s15
	s_wait_loadcnt 0x0
	s_wait_storecnt 0x0
	s_barrier_signal -1
	s_barrier_wait -1
	global_inv scope:SCOPE_SE
	s_and_saveexec_b32 s15, s2
	s_cbranch_execz .LBB192_557
; %bb.640:                              ;   in Loop: Header=BB192_558 Depth=2
	ds_load_b32 v2, v28
	s_wait_dscnt 0x0
	v_add_nc_u32_e32 v2, v2, v22
	ds_store_b32 v28, v2
	s_branch .LBB192_557
.LBB192_641:                            ;   in Loop: Header=BB192_558 Depth=2
	ds_load_u8 v20, v1 offset:1024
	s_wait_dscnt 0x0
	v_and_b32_e32 v21, 0xff, v20
	s_delay_alu instid0(VALU_DEP_1) | instskip(NEXT) | instid1(VALU_DEP_1)
	v_lshrrev_b32_e32 v21, s45, v21
	v_and_b32_e32 v21, s31, v21
	s_delay_alu instid0(VALU_DEP_1)
	v_lshlrev_b32_e32 v21, 2, v21
	ds_load_b32 v21, v21
	s_wait_dscnt 0x0
	v_add_nc_u32_e32 v21, v21, v1
	global_store_b8 v21, v20, s[40:41]
	s_wait_alu 0xfffe
	s_or_b32 exec_lo, exec_lo, s15
	v_cmp_lt_u32_e64 s21, v29, v2
	s_and_saveexec_b32 s15, s21
	s_cbranch_execz .LBB192_606
.LBB192_642:                            ;   in Loop: Header=BB192_558 Depth=2
	ds_load_u8 v20, v1 offset:1280
	s_wait_dscnt 0x0
	v_and_b32_e32 v21, 0xff, v20
	s_delay_alu instid0(VALU_DEP_1) | instskip(NEXT) | instid1(VALU_DEP_1)
	v_lshrrev_b32_e32 v21, s45, v21
	v_and_b32_e32 v21, s31, v21
	s_delay_alu instid0(VALU_DEP_1)
	v_lshlrev_b32_e32 v21, 2, v21
	ds_load_b32 v21, v21
	s_wait_dscnt 0x0
	v_add_nc_u32_e32 v21, v21, v29
	global_store_b8 v21, v20, s[40:41]
	s_wait_alu 0xfffe
	s_or_b32 exec_lo, exec_lo, s15
	v_cmp_lt_u32_e64 s19, v30, v2
	s_and_saveexec_b32 s15, s19
	s_cbranch_execz .LBB192_607
.LBB192_643:                            ;   in Loop: Header=BB192_558 Depth=2
	ds_load_u8 v20, v1 offset:1536
	s_wait_dscnt 0x0
	v_and_b32_e32 v21, 0xff, v20
	s_delay_alu instid0(VALU_DEP_1) | instskip(NEXT) | instid1(VALU_DEP_1)
	v_lshrrev_b32_e32 v21, s45, v21
	v_and_b32_e32 v21, s31, v21
	s_delay_alu instid0(VALU_DEP_1)
	v_lshlrev_b32_e32 v21, 2, v21
	ds_load_b32 v21, v21
	s_wait_dscnt 0x0
	v_add_nc_u32_e32 v21, v21, v30
	global_store_b8 v21, v20, s[40:41]
	s_wait_alu 0xfffe
	s_or_b32 exec_lo, exec_lo, s15
	v_cmp_lt_u32_e64 s18, v31, v2
	s_and_saveexec_b32 s15, s18
	s_cbranch_execz .LBB192_608
.LBB192_644:                            ;   in Loop: Header=BB192_558 Depth=2
	ds_load_u8 v20, v1 offset:1792
	s_wait_dscnt 0x0
	v_and_b32_e32 v21, 0xff, v20
	s_delay_alu instid0(VALU_DEP_1) | instskip(NEXT) | instid1(VALU_DEP_1)
	v_lshrrev_b32_e32 v21, s45, v21
	v_and_b32_e32 v21, s31, v21
	s_delay_alu instid0(VALU_DEP_1)
	v_lshlrev_b32_e32 v21, 2, v21
	ds_load_b32 v21, v21
	s_wait_dscnt 0x0
	v_add_nc_u32_e32 v21, v21, v31
	global_store_b8 v21, v20, s[40:41]
	s_wait_alu 0xfffe
	s_or_b32 exec_lo, exec_lo, s15
	v_cmp_lt_u32_e64 s17, v34, v2
	s_and_saveexec_b32 s15, s17
	s_cbranch_execz .LBB192_609
.LBB192_645:                            ;   in Loop: Header=BB192_558 Depth=2
	ds_load_u8 v20, v1 offset:2048
	s_wait_dscnt 0x0
	v_and_b32_e32 v21, 0xff, v20
	s_delay_alu instid0(VALU_DEP_1) | instskip(NEXT) | instid1(VALU_DEP_1)
	v_lshrrev_b32_e32 v21, s45, v21
	v_and_b32_e32 v21, s31, v21
	s_delay_alu instid0(VALU_DEP_1)
	v_lshlrev_b32_e32 v21, 2, v21
	ds_load_b32 v21, v21
	s_wait_dscnt 0x0
	v_add_nc_u32_e32 v21, v21, v34
	global_store_b8 v21, v20, s[40:41]
	s_wait_alu 0xfffe
	s_or_b32 exec_lo, exec_lo, s15
	v_cmp_lt_u32_e64 s16, v35, v2
	s_and_saveexec_b32 s15, s16
	s_cbranch_execz .LBB192_610
.LBB192_646:                            ;   in Loop: Header=BB192_558 Depth=2
	ds_load_u8 v20, v1 offset:2304
	s_wait_dscnt 0x0
	v_and_b32_e32 v21, 0xff, v20
	s_delay_alu instid0(VALU_DEP_1) | instskip(NEXT) | instid1(VALU_DEP_1)
	v_lshrrev_b32_e32 v21, s45, v21
	v_and_b32_e32 v21, s31, v21
	s_delay_alu instid0(VALU_DEP_1)
	v_lshlrev_b32_e32 v21, 2, v21
	ds_load_b32 v21, v21
	s_wait_dscnt 0x0
	v_add_nc_u32_e32 v21, v21, v35
	global_store_b8 v21, v20, s[40:41]
	s_wait_alu 0xfffe
	s_or_b32 exec_lo, exec_lo, s15
	v_cmp_lt_u32_e64 s15, v36, v2
	s_and_saveexec_b32 s44, s15
	s_cbranch_execz .LBB192_611
.LBB192_647:                            ;   in Loop: Header=BB192_558 Depth=2
	ds_load_u8 v20, v1 offset:2560
	s_wait_dscnt 0x0
	v_and_b32_e32 v21, 0xff, v20
	s_delay_alu instid0(VALU_DEP_1) | instskip(NEXT) | instid1(VALU_DEP_1)
	v_lshrrev_b32_e32 v21, s45, v21
	v_and_b32_e32 v21, s31, v21
	s_delay_alu instid0(VALU_DEP_1)
	v_lshlrev_b32_e32 v21, 2, v21
	ds_load_b32 v21, v21
	s_wait_dscnt 0x0
	v_add_nc_u32_e32 v21, v21, v36
	global_store_b8 v21, v20, s[40:41]
	s_wait_alu 0xfffe
	s_or_b32 exec_lo, exec_lo, s44
	v_cmp_lt_u32_e32 vcc_lo, v37, v2
	s_and_saveexec_b32 s44, vcc_lo
	s_cbranch_execnz .LBB192_612
	s_branch .LBB192_613
.LBB192_648:                            ;   in Loop: Header=BB192_558 Depth=2
	global_load_b64 v[18:19], v[20:21], off
	s_wait_alu 0xfffe
	s_or_b32 exec_lo, exec_lo, s22
	s_delay_alu instid0(SALU_CYCLE_1)
	s_mov_b32 s44, exec_lo
	v_cmpx_lt_u32_e64 v71, v2
	s_cbranch_execz .LBB192_615
.LBB192_649:                            ;   in Loop: Header=BB192_558 Depth=2
	global_load_b64 v[16:17], v[20:21], off offset:256
	s_wait_alu 0xfffe
	s_or_b32 exec_lo, exec_lo, s44
	s_delay_alu instid0(SALU_CYCLE_1)
	s_mov_b32 s44, exec_lo
	v_cmpx_lt_u32_e64 v72, v2
	s_cbranch_execz .LBB192_616
.LBB192_650:                            ;   in Loop: Header=BB192_558 Depth=2
	global_load_b64 v[14:15], v[20:21], off offset:512
	s_wait_alu 0xfffe
	s_or_b32 exec_lo, exec_lo, s44
	s_delay_alu instid0(SALU_CYCLE_1)
	s_mov_b32 s44, exec_lo
	v_cmpx_lt_u32_e64 v73, v2
	s_cbranch_execz .LBB192_617
.LBB192_651:                            ;   in Loop: Header=BB192_558 Depth=2
	global_load_b64 v[12:13], v[20:21], off offset:768
	s_wait_alu 0xfffe
	s_or_b32 exec_lo, exec_lo, s44
	s_delay_alu instid0(SALU_CYCLE_1)
	s_mov_b32 s44, exec_lo
	v_cmpx_lt_u32_e64 v74, v2
	s_cbranch_execz .LBB192_618
.LBB192_652:                            ;   in Loop: Header=BB192_558 Depth=2
	global_load_b64 v[10:11], v[20:21], off offset:1024
	s_wait_alu 0xfffe
	s_or_b32 exec_lo, exec_lo, s44
	s_delay_alu instid0(SALU_CYCLE_1)
	s_mov_b32 s44, exec_lo
	v_cmpx_lt_u32_e64 v75, v2
	s_cbranch_execz .LBB192_619
.LBB192_653:                            ;   in Loop: Header=BB192_558 Depth=2
	global_load_b64 v[8:9], v[20:21], off offset:1280
	s_wait_alu 0xfffe
	s_or_b32 exec_lo, exec_lo, s44
	s_delay_alu instid0(SALU_CYCLE_1)
	s_mov_b32 s44, exec_lo
	v_cmpx_lt_u32_e64 v76, v2
	s_cbranch_execz .LBB192_620
.LBB192_654:                            ;   in Loop: Header=BB192_558 Depth=2
	global_load_b64 v[6:7], v[20:21], off offset:1536
	s_wait_alu 0xfffe
	s_or_b32 exec_lo, exec_lo, s44
	s_delay_alu instid0(SALU_CYCLE_1)
	s_mov_b32 s44, exec_lo
	v_cmpx_lt_u32_e64 v77, v2
	s_cbranch_execz .LBB192_621
.LBB192_655:                            ;   in Loop: Header=BB192_558 Depth=2
	global_load_b64 v[4:5], v[20:21], off offset:1792
	s_wait_alu 0xfffe
	s_or_b32 exec_lo, exec_lo, s44
	s_and_saveexec_b32 s22, s20
	s_cbranch_execz .LBB192_622
.LBB192_656:                            ;   in Loop: Header=BB192_558 Depth=2
	ds_load_u8 v2, v1 offset:1024
	s_wait_dscnt 0x0
	v_lshrrev_b32_e32 v2, s45, v2
	s_delay_alu instid0(VALU_DEP_1)
	v_and_b32_e32 v93, s31, v2
	s_wait_alu 0xfffe
	s_or_b32 exec_lo, exec_lo, s22
	s_and_saveexec_b32 s22, s21
	s_cbranch_execz .LBB192_623
.LBB192_657:                            ;   in Loop: Header=BB192_558 Depth=2
	ds_load_u8 v2, v1 offset:1280
	s_wait_dscnt 0x0
	v_lshrrev_b32_e32 v2, s45, v2
	s_delay_alu instid0(VALU_DEP_1)
	v_and_b32_e32 v92, s31, v2
	s_wait_alu 0xfffe
	s_or_b32 exec_lo, exec_lo, s22
	s_and_saveexec_b32 s22, s19
	s_cbranch_execz .LBB192_624
.LBB192_658:                            ;   in Loop: Header=BB192_558 Depth=2
	ds_load_u8 v2, v1 offset:1536
	s_wait_dscnt 0x0
	v_lshrrev_b32_e32 v2, s45, v2
	s_delay_alu instid0(VALU_DEP_1)
	v_and_b32_e32 v91, s31, v2
	s_wait_alu 0xfffe
	s_or_b32 exec_lo, exec_lo, s22
	s_and_saveexec_b32 s22, s18
	s_cbranch_execz .LBB192_625
.LBB192_659:                            ;   in Loop: Header=BB192_558 Depth=2
	ds_load_u8 v2, v1 offset:1792
	s_wait_dscnt 0x0
	v_lshrrev_b32_e32 v2, s45, v2
	s_delay_alu instid0(VALU_DEP_1)
	v_and_b32_e32 v90, s31, v2
	s_wait_alu 0xfffe
	s_or_b32 exec_lo, exec_lo, s22
	s_and_saveexec_b32 s22, s17
	s_cbranch_execz .LBB192_626
.LBB192_660:                            ;   in Loop: Header=BB192_558 Depth=2
	ds_load_u8 v2, v1 offset:2048
	s_wait_dscnt 0x0
	v_lshrrev_b32_e32 v2, s45, v2
	s_delay_alu instid0(VALU_DEP_1)
	v_and_b32_e32 v89, s31, v2
	s_wait_alu 0xfffe
	s_or_b32 exec_lo, exec_lo, s22
	s_and_saveexec_b32 s22, s16
	s_cbranch_execz .LBB192_627
.LBB192_661:                            ;   in Loop: Header=BB192_558 Depth=2
	ds_load_u8 v2, v1 offset:2304
	s_wait_dscnt 0x0
	v_lshrrev_b32_e32 v2, s45, v2
	s_delay_alu instid0(VALU_DEP_1)
	v_and_b32_e32 v88, s31, v2
	s_wait_alu 0xfffe
	s_or_b32 exec_lo, exec_lo, s22
	s_and_saveexec_b32 s22, s15
	s_cbranch_execz .LBB192_628
.LBB192_662:                            ;   in Loop: Header=BB192_558 Depth=2
	ds_load_u8 v2, v1 offset:2560
	s_wait_dscnt 0x0
	v_lshrrev_b32_e32 v2, s45, v2
	s_delay_alu instid0(VALU_DEP_1)
	v_and_b32_e32 v87, s31, v2
	s_wait_alu 0xfffe
	s_or_b32 exec_lo, exec_lo, s22
	s_and_saveexec_b32 s22, vcc_lo
	s_cbranch_execnz .LBB192_629
	s_branch .LBB192_630
.LBB192_663:                            ;   in Loop: Header=BB192_558 Depth=2
	v_lshlrev_b32_e32 v2, 2, v93
	ds_load_b32 v2, v2
	ds_load_b64 v[23:24], v20 offset:1024
	s_wait_dscnt 0x1
	v_add_nc_u32_e32 v2, v2, v1
	s_delay_alu instid0(VALU_DEP_1) | instskip(NEXT) | instid1(VALU_DEP_1)
	v_lshlrev_b64_e32 v[25:26], 3, v[2:3]
	v_add_co_u32 v25, s20, s26, v25
	s_wait_alu 0xf1ff
	s_delay_alu instid0(VALU_DEP_2)
	v_add_co_ci_u32_e64 v26, null, s27, v26, s20
	s_wait_dscnt 0x0
	global_store_b64 v[25:26], v[23:24], off
	s_wait_alu 0xfffe
	s_or_b32 exec_lo, exec_lo, s22
	s_and_saveexec_b32 s22, s21
	s_cbranch_execz .LBB192_632
.LBB192_664:                            ;   in Loop: Header=BB192_558 Depth=2
	v_lshlrev_b32_e32 v2, 2, v92
	ds_load_b32 v2, v2
	ds_load_b64 v[23:24], v20 offset:3072
	s_wait_dscnt 0x1
	v_add_nc_u32_e32 v2, v2, v29
	s_delay_alu instid0(VALU_DEP_1) | instskip(NEXT) | instid1(VALU_DEP_1)
	v_lshlrev_b64_e32 v[25:26], 3, v[2:3]
	v_add_co_u32 v25, s20, s26, v25
	s_wait_alu 0xf1ff
	s_delay_alu instid0(VALU_DEP_2)
	v_add_co_ci_u32_e64 v26, null, s27, v26, s20
	s_wait_dscnt 0x0
	global_store_b64 v[25:26], v[23:24], off
	s_wait_alu 0xfffe
	s_or_b32 exec_lo, exec_lo, s22
	s_and_saveexec_b32 s20, s19
	s_cbranch_execz .LBB192_633
.LBB192_665:                            ;   in Loop: Header=BB192_558 Depth=2
	v_lshlrev_b32_e32 v2, 2, v91
	ds_load_b32 v2, v2
	ds_load_b64 v[23:24], v20 offset:5120
	s_wait_dscnt 0x1
	v_add_nc_u32_e32 v2, v2, v30
	s_delay_alu instid0(VALU_DEP_1) | instskip(NEXT) | instid1(VALU_DEP_1)
	v_lshlrev_b64_e32 v[25:26], 3, v[2:3]
	v_add_co_u32 v25, s19, s26, v25
	s_wait_alu 0xf1ff
	s_delay_alu instid0(VALU_DEP_2)
	v_add_co_ci_u32_e64 v26, null, s27, v26, s19
	s_wait_dscnt 0x0
	global_store_b64 v[25:26], v[23:24], off
	s_wait_alu 0xfffe
	s_or_b32 exec_lo, exec_lo, s20
	s_and_saveexec_b32 s19, s18
	s_cbranch_execz .LBB192_634
.LBB192_666:                            ;   in Loop: Header=BB192_558 Depth=2
	v_lshlrev_b32_e32 v2, 2, v90
	ds_load_b32 v2, v2
	ds_load_b64 v[23:24], v20 offset:7168
	s_wait_dscnt 0x1
	v_add_nc_u32_e32 v2, v2, v31
	s_delay_alu instid0(VALU_DEP_1) | instskip(NEXT) | instid1(VALU_DEP_1)
	v_lshlrev_b64_e32 v[25:26], 3, v[2:3]
	v_add_co_u32 v25, s18, s26, v25
	s_wait_alu 0xf1ff
	s_delay_alu instid0(VALU_DEP_2)
	v_add_co_ci_u32_e64 v26, null, s27, v26, s18
	s_wait_dscnt 0x0
	global_store_b64 v[25:26], v[23:24], off
	s_wait_alu 0xfffe
	s_or_b32 exec_lo, exec_lo, s19
	s_and_saveexec_b32 s18, s17
	s_cbranch_execz .LBB192_635
.LBB192_667:                            ;   in Loop: Header=BB192_558 Depth=2
	v_lshlrev_b32_e32 v2, 2, v89
	ds_load_b32 v2, v2
	ds_load_b64 v[23:24], v20 offset:9216
	s_wait_dscnt 0x1
	v_add_nc_u32_e32 v2, v2, v34
	s_delay_alu instid0(VALU_DEP_1) | instskip(NEXT) | instid1(VALU_DEP_1)
	v_lshlrev_b64_e32 v[25:26], 3, v[2:3]
	v_add_co_u32 v25, s17, s26, v25
	s_wait_alu 0xf1ff
	s_delay_alu instid0(VALU_DEP_2)
	v_add_co_ci_u32_e64 v26, null, s27, v26, s17
	s_wait_dscnt 0x0
	global_store_b64 v[25:26], v[23:24], off
	s_wait_alu 0xfffe
	s_or_b32 exec_lo, exec_lo, s18
	s_and_saveexec_b32 s17, s16
	s_cbranch_execz .LBB192_636
.LBB192_668:                            ;   in Loop: Header=BB192_558 Depth=2
	v_lshlrev_b32_e32 v2, 2, v88
	ds_load_b32 v2, v2
	ds_load_b64 v[23:24], v20 offset:11264
	s_wait_dscnt 0x1
	v_add_nc_u32_e32 v2, v2, v35
	s_delay_alu instid0(VALU_DEP_1) | instskip(NEXT) | instid1(VALU_DEP_1)
	v_lshlrev_b64_e32 v[25:26], 3, v[2:3]
	v_add_co_u32 v25, s16, s26, v25
	s_wait_alu 0xf1ff
	s_delay_alu instid0(VALU_DEP_2)
	v_add_co_ci_u32_e64 v26, null, s27, v26, s16
	s_wait_dscnt 0x0
	global_store_b64 v[25:26], v[23:24], off
	s_wait_alu 0xfffe
	s_or_b32 exec_lo, exec_lo, s17
	s_and_saveexec_b32 s16, s15
	s_cbranch_execz .LBB192_637
.LBB192_669:                            ;   in Loop: Header=BB192_558 Depth=2
	v_lshlrev_b32_e32 v2, 2, v87
	ds_load_b32 v2, v2
	ds_load_b64 v[23:24], v20 offset:13312
	s_wait_dscnt 0x1
	v_add_nc_u32_e32 v2, v2, v36
	s_delay_alu instid0(VALU_DEP_1) | instskip(NEXT) | instid1(VALU_DEP_1)
	v_lshlrev_b64_e32 v[25:26], 3, v[2:3]
	v_add_co_u32 v25, s15, s26, v25
	s_wait_alu 0xf1ff
	s_delay_alu instid0(VALU_DEP_2)
	v_add_co_ci_u32_e64 v26, null, s27, v26, s15
	s_wait_dscnt 0x0
	global_store_b64 v[25:26], v[23:24], off
	s_wait_alu 0xfffe
	s_or_b32 exec_lo, exec_lo, s16
	s_and_saveexec_b32 s15, vcc_lo
	s_cbranch_execnz .LBB192_638
	s_branch .LBB192_639
.LBB192_670:
	s_endpgm
	.section	.rodata,"a",@progbits
	.p2align	6, 0x0
	.amdhsa_kernel _ZN7rocprim17ROCPRIM_400000_NS6detail17trampoline_kernelINS0_14default_configENS1_36segmented_radix_sort_config_selectorIhlEEZNS1_25segmented_radix_sort_implIS3_Lb0EPKhPhPKlPlN2at6native12_GLOBAL__N_18offset_tEEE10hipError_tPvRmT1_PNSt15iterator_traitsISK_E10value_typeET2_T3_PNSL_ISQ_E10value_typeET4_jRbjT5_SW_jjP12ihipStream_tbEUlT_E_NS1_11comp_targetILNS1_3genE10ELNS1_11target_archE1201ELNS1_3gpuE5ELNS1_3repE0EEENS1_30default_config_static_selectorELNS0_4arch9wavefront6targetE0EEEvSK_
		.amdhsa_group_segment_fixed_size 17440
		.amdhsa_private_segment_fixed_size 0
		.amdhsa_kernarg_size 352
		.amdhsa_user_sgpr_count 2
		.amdhsa_user_sgpr_dispatch_ptr 0
		.amdhsa_user_sgpr_queue_ptr 0
		.amdhsa_user_sgpr_kernarg_segment_ptr 1
		.amdhsa_user_sgpr_dispatch_id 0
		.amdhsa_user_sgpr_private_segment_size 0
		.amdhsa_wavefront_size32 1
		.amdhsa_uses_dynamic_stack 0
		.amdhsa_enable_private_segment 0
		.amdhsa_system_sgpr_workgroup_id_x 1
		.amdhsa_system_sgpr_workgroup_id_y 1
		.amdhsa_system_sgpr_workgroup_id_z 0
		.amdhsa_system_sgpr_workgroup_info 0
		.amdhsa_system_vgpr_workitem_id 2
		.amdhsa_next_free_vgpr 197
		.amdhsa_next_free_sgpr 50
		.amdhsa_reserve_vcc 1
		.amdhsa_float_round_mode_32 0
		.amdhsa_float_round_mode_16_64 0
		.amdhsa_float_denorm_mode_32 3
		.amdhsa_float_denorm_mode_16_64 3
		.amdhsa_fp16_overflow 0
		.amdhsa_workgroup_processor_mode 1
		.amdhsa_memory_ordered 1
		.amdhsa_forward_progress 1
		.amdhsa_inst_pref_size 255
		.amdhsa_round_robin_scheduling 0
		.amdhsa_exception_fp_ieee_invalid_op 0
		.amdhsa_exception_fp_denorm_src 0
		.amdhsa_exception_fp_ieee_div_zero 0
		.amdhsa_exception_fp_ieee_overflow 0
		.amdhsa_exception_fp_ieee_underflow 0
		.amdhsa_exception_fp_ieee_inexact 0
		.amdhsa_exception_int_div_zero 0
	.end_amdhsa_kernel
	.section	.text._ZN7rocprim17ROCPRIM_400000_NS6detail17trampoline_kernelINS0_14default_configENS1_36segmented_radix_sort_config_selectorIhlEEZNS1_25segmented_radix_sort_implIS3_Lb0EPKhPhPKlPlN2at6native12_GLOBAL__N_18offset_tEEE10hipError_tPvRmT1_PNSt15iterator_traitsISK_E10value_typeET2_T3_PNSL_ISQ_E10value_typeET4_jRbjT5_SW_jjP12ihipStream_tbEUlT_E_NS1_11comp_targetILNS1_3genE10ELNS1_11target_archE1201ELNS1_3gpuE5ELNS1_3repE0EEENS1_30default_config_static_selectorELNS0_4arch9wavefront6targetE0EEEvSK_,"axG",@progbits,_ZN7rocprim17ROCPRIM_400000_NS6detail17trampoline_kernelINS0_14default_configENS1_36segmented_radix_sort_config_selectorIhlEEZNS1_25segmented_radix_sort_implIS3_Lb0EPKhPhPKlPlN2at6native12_GLOBAL__N_18offset_tEEE10hipError_tPvRmT1_PNSt15iterator_traitsISK_E10value_typeET2_T3_PNSL_ISQ_E10value_typeET4_jRbjT5_SW_jjP12ihipStream_tbEUlT_E_NS1_11comp_targetILNS1_3genE10ELNS1_11target_archE1201ELNS1_3gpuE5ELNS1_3repE0EEENS1_30default_config_static_selectorELNS0_4arch9wavefront6targetE0EEEvSK_,comdat
.Lfunc_end192:
	.size	_ZN7rocprim17ROCPRIM_400000_NS6detail17trampoline_kernelINS0_14default_configENS1_36segmented_radix_sort_config_selectorIhlEEZNS1_25segmented_radix_sort_implIS3_Lb0EPKhPhPKlPlN2at6native12_GLOBAL__N_18offset_tEEE10hipError_tPvRmT1_PNSt15iterator_traitsISK_E10value_typeET2_T3_PNSL_ISQ_E10value_typeET4_jRbjT5_SW_jjP12ihipStream_tbEUlT_E_NS1_11comp_targetILNS1_3genE10ELNS1_11target_archE1201ELNS1_3gpuE5ELNS1_3repE0EEENS1_30default_config_static_selectorELNS0_4arch9wavefront6targetE0EEEvSK_, .Lfunc_end192-_ZN7rocprim17ROCPRIM_400000_NS6detail17trampoline_kernelINS0_14default_configENS1_36segmented_radix_sort_config_selectorIhlEEZNS1_25segmented_radix_sort_implIS3_Lb0EPKhPhPKlPlN2at6native12_GLOBAL__N_18offset_tEEE10hipError_tPvRmT1_PNSt15iterator_traitsISK_E10value_typeET2_T3_PNSL_ISQ_E10value_typeET4_jRbjT5_SW_jjP12ihipStream_tbEUlT_E_NS1_11comp_targetILNS1_3genE10ELNS1_11target_archE1201ELNS1_3gpuE5ELNS1_3repE0EEENS1_30default_config_static_selectorELNS0_4arch9wavefront6targetE0EEEvSK_
                                        ; -- End function
	.set _ZN7rocprim17ROCPRIM_400000_NS6detail17trampoline_kernelINS0_14default_configENS1_36segmented_radix_sort_config_selectorIhlEEZNS1_25segmented_radix_sort_implIS3_Lb0EPKhPhPKlPlN2at6native12_GLOBAL__N_18offset_tEEE10hipError_tPvRmT1_PNSt15iterator_traitsISK_E10value_typeET2_T3_PNSL_ISQ_E10value_typeET4_jRbjT5_SW_jjP12ihipStream_tbEUlT_E_NS1_11comp_targetILNS1_3genE10ELNS1_11target_archE1201ELNS1_3gpuE5ELNS1_3repE0EEENS1_30default_config_static_selectorELNS0_4arch9wavefront6targetE0EEEvSK_.num_vgpr, max(133, .L_ZN7rocprim17ROCPRIM_400000_NS6detail40segmented_radix_sort_single_block_helperIhlLj256ELj8ELb0EE4sortIPKhPhPKlPlEEbT_T0_T1_T2_jjjjRNS3_12storage_typeE.num_vgpr)
	.set _ZN7rocprim17ROCPRIM_400000_NS6detail17trampoline_kernelINS0_14default_configENS1_36segmented_radix_sort_config_selectorIhlEEZNS1_25segmented_radix_sort_implIS3_Lb0EPKhPhPKlPlN2at6native12_GLOBAL__N_18offset_tEEE10hipError_tPvRmT1_PNSt15iterator_traitsISK_E10value_typeET2_T3_PNSL_ISQ_E10value_typeET4_jRbjT5_SW_jjP12ihipStream_tbEUlT_E_NS1_11comp_targetILNS1_3genE10ELNS1_11target_archE1201ELNS1_3gpuE5ELNS1_3repE0EEENS1_30default_config_static_selectorELNS0_4arch9wavefront6targetE0EEEvSK_.num_agpr, max(0, .L_ZN7rocprim17ROCPRIM_400000_NS6detail40segmented_radix_sort_single_block_helperIhlLj256ELj8ELb0EE4sortIPKhPhPKlPlEEbT_T0_T1_T2_jjjjRNS3_12storage_typeE.num_agpr)
	.set _ZN7rocprim17ROCPRIM_400000_NS6detail17trampoline_kernelINS0_14default_configENS1_36segmented_radix_sort_config_selectorIhlEEZNS1_25segmented_radix_sort_implIS3_Lb0EPKhPhPKlPlN2at6native12_GLOBAL__N_18offset_tEEE10hipError_tPvRmT1_PNSt15iterator_traitsISK_E10value_typeET2_T3_PNSL_ISQ_E10value_typeET4_jRbjT5_SW_jjP12ihipStream_tbEUlT_E_NS1_11comp_targetILNS1_3genE10ELNS1_11target_archE1201ELNS1_3gpuE5ELNS1_3repE0EEENS1_30default_config_static_selectorELNS0_4arch9wavefront6targetE0EEEvSK_.numbered_sgpr, max(50, .L_ZN7rocprim17ROCPRIM_400000_NS6detail40segmented_radix_sort_single_block_helperIhlLj256ELj8ELb0EE4sortIPKhPhPKlPlEEbT_T0_T1_T2_jjjjRNS3_12storage_typeE.numbered_sgpr)
	.set _ZN7rocprim17ROCPRIM_400000_NS6detail17trampoline_kernelINS0_14default_configENS1_36segmented_radix_sort_config_selectorIhlEEZNS1_25segmented_radix_sort_implIS3_Lb0EPKhPhPKlPlN2at6native12_GLOBAL__N_18offset_tEEE10hipError_tPvRmT1_PNSt15iterator_traitsISK_E10value_typeET2_T3_PNSL_ISQ_E10value_typeET4_jRbjT5_SW_jjP12ihipStream_tbEUlT_E_NS1_11comp_targetILNS1_3genE10ELNS1_11target_archE1201ELNS1_3gpuE5ELNS1_3repE0EEENS1_30default_config_static_selectorELNS0_4arch9wavefront6targetE0EEEvSK_.num_named_barrier, max(0, .L_ZN7rocprim17ROCPRIM_400000_NS6detail40segmented_radix_sort_single_block_helperIhlLj256ELj8ELb0EE4sortIPKhPhPKlPlEEbT_T0_T1_T2_jjjjRNS3_12storage_typeE.num_named_barrier)
	.set _ZN7rocprim17ROCPRIM_400000_NS6detail17trampoline_kernelINS0_14default_configENS1_36segmented_radix_sort_config_selectorIhlEEZNS1_25segmented_radix_sort_implIS3_Lb0EPKhPhPKlPlN2at6native12_GLOBAL__N_18offset_tEEE10hipError_tPvRmT1_PNSt15iterator_traitsISK_E10value_typeET2_T3_PNSL_ISQ_E10value_typeET4_jRbjT5_SW_jjP12ihipStream_tbEUlT_E_NS1_11comp_targetILNS1_3genE10ELNS1_11target_archE1201ELNS1_3gpuE5ELNS1_3repE0EEENS1_30default_config_static_selectorELNS0_4arch9wavefront6targetE0EEEvSK_.private_seg_size, 0+max(.L_ZN7rocprim17ROCPRIM_400000_NS6detail40segmented_radix_sort_single_block_helperIhlLj256ELj8ELb0EE4sortIPKhPhPKlPlEEbT_T0_T1_T2_jjjjRNS3_12storage_typeE.private_seg_size)
	.set _ZN7rocprim17ROCPRIM_400000_NS6detail17trampoline_kernelINS0_14default_configENS1_36segmented_radix_sort_config_selectorIhlEEZNS1_25segmented_radix_sort_implIS3_Lb0EPKhPhPKlPlN2at6native12_GLOBAL__N_18offset_tEEE10hipError_tPvRmT1_PNSt15iterator_traitsISK_E10value_typeET2_T3_PNSL_ISQ_E10value_typeET4_jRbjT5_SW_jjP12ihipStream_tbEUlT_E_NS1_11comp_targetILNS1_3genE10ELNS1_11target_archE1201ELNS1_3gpuE5ELNS1_3repE0EEENS1_30default_config_static_selectorELNS0_4arch9wavefront6targetE0EEEvSK_.uses_vcc, or(1, .L_ZN7rocprim17ROCPRIM_400000_NS6detail40segmented_radix_sort_single_block_helperIhlLj256ELj8ELb0EE4sortIPKhPhPKlPlEEbT_T0_T1_T2_jjjjRNS3_12storage_typeE.uses_vcc)
	.set _ZN7rocprim17ROCPRIM_400000_NS6detail17trampoline_kernelINS0_14default_configENS1_36segmented_radix_sort_config_selectorIhlEEZNS1_25segmented_radix_sort_implIS3_Lb0EPKhPhPKlPlN2at6native12_GLOBAL__N_18offset_tEEE10hipError_tPvRmT1_PNSt15iterator_traitsISK_E10value_typeET2_T3_PNSL_ISQ_E10value_typeET4_jRbjT5_SW_jjP12ihipStream_tbEUlT_E_NS1_11comp_targetILNS1_3genE10ELNS1_11target_archE1201ELNS1_3gpuE5ELNS1_3repE0EEENS1_30default_config_static_selectorELNS0_4arch9wavefront6targetE0EEEvSK_.uses_flat_scratch, or(0, .L_ZN7rocprim17ROCPRIM_400000_NS6detail40segmented_radix_sort_single_block_helperIhlLj256ELj8ELb0EE4sortIPKhPhPKlPlEEbT_T0_T1_T2_jjjjRNS3_12storage_typeE.uses_flat_scratch)
	.set _ZN7rocprim17ROCPRIM_400000_NS6detail17trampoline_kernelINS0_14default_configENS1_36segmented_radix_sort_config_selectorIhlEEZNS1_25segmented_radix_sort_implIS3_Lb0EPKhPhPKlPlN2at6native12_GLOBAL__N_18offset_tEEE10hipError_tPvRmT1_PNSt15iterator_traitsISK_E10value_typeET2_T3_PNSL_ISQ_E10value_typeET4_jRbjT5_SW_jjP12ihipStream_tbEUlT_E_NS1_11comp_targetILNS1_3genE10ELNS1_11target_archE1201ELNS1_3gpuE5ELNS1_3repE0EEENS1_30default_config_static_selectorELNS0_4arch9wavefront6targetE0EEEvSK_.has_dyn_sized_stack, or(0, .L_ZN7rocprim17ROCPRIM_400000_NS6detail40segmented_radix_sort_single_block_helperIhlLj256ELj8ELb0EE4sortIPKhPhPKlPlEEbT_T0_T1_T2_jjjjRNS3_12storage_typeE.has_dyn_sized_stack)
	.set _ZN7rocprim17ROCPRIM_400000_NS6detail17trampoline_kernelINS0_14default_configENS1_36segmented_radix_sort_config_selectorIhlEEZNS1_25segmented_radix_sort_implIS3_Lb0EPKhPhPKlPlN2at6native12_GLOBAL__N_18offset_tEEE10hipError_tPvRmT1_PNSt15iterator_traitsISK_E10value_typeET2_T3_PNSL_ISQ_E10value_typeET4_jRbjT5_SW_jjP12ihipStream_tbEUlT_E_NS1_11comp_targetILNS1_3genE10ELNS1_11target_archE1201ELNS1_3gpuE5ELNS1_3repE0EEENS1_30default_config_static_selectorELNS0_4arch9wavefront6targetE0EEEvSK_.has_recursion, or(0, .L_ZN7rocprim17ROCPRIM_400000_NS6detail40segmented_radix_sort_single_block_helperIhlLj256ELj8ELb0EE4sortIPKhPhPKlPlEEbT_T0_T1_T2_jjjjRNS3_12storage_typeE.has_recursion)
	.set _ZN7rocprim17ROCPRIM_400000_NS6detail17trampoline_kernelINS0_14default_configENS1_36segmented_radix_sort_config_selectorIhlEEZNS1_25segmented_radix_sort_implIS3_Lb0EPKhPhPKlPlN2at6native12_GLOBAL__N_18offset_tEEE10hipError_tPvRmT1_PNSt15iterator_traitsISK_E10value_typeET2_T3_PNSL_ISQ_E10value_typeET4_jRbjT5_SW_jjP12ihipStream_tbEUlT_E_NS1_11comp_targetILNS1_3genE10ELNS1_11target_archE1201ELNS1_3gpuE5ELNS1_3repE0EEENS1_30default_config_static_selectorELNS0_4arch9wavefront6targetE0EEEvSK_.has_indirect_call, or(0, .L_ZN7rocprim17ROCPRIM_400000_NS6detail40segmented_radix_sort_single_block_helperIhlLj256ELj8ELb0EE4sortIPKhPhPKlPlEEbT_T0_T1_T2_jjjjRNS3_12storage_typeE.has_indirect_call)
	.section	.AMDGPU.csdata,"",@progbits
; Kernel info:
; codeLenInByte = 41452
; TotalNumSgprs: 52
; NumVgprs: 197
; ScratchSize: 0
; MemoryBound: 0
; FloatMode: 240
; IeeeMode: 1
; LDSByteSize: 17440 bytes/workgroup (compile time only)
; SGPRBlocks: 0
; VGPRBlocks: 24
; NumSGPRsForWavesPerEU: 52
; NumVGPRsForWavesPerEU: 197
; Occupancy: 7
; WaveLimiterHint : 1
; COMPUTE_PGM_RSRC2:SCRATCH_EN: 0
; COMPUTE_PGM_RSRC2:USER_SGPR: 2
; COMPUTE_PGM_RSRC2:TRAP_HANDLER: 0
; COMPUTE_PGM_RSRC2:TGID_X_EN: 1
; COMPUTE_PGM_RSRC2:TGID_Y_EN: 1
; COMPUTE_PGM_RSRC2:TGID_Z_EN: 0
; COMPUTE_PGM_RSRC2:TIDIG_COMP_CNT: 2
	.section	.text._ZN7rocprim17ROCPRIM_400000_NS6detail17trampoline_kernelINS0_14default_configENS1_36segmented_radix_sort_config_selectorIhlEEZNS1_25segmented_radix_sort_implIS3_Lb0EPKhPhPKlPlN2at6native12_GLOBAL__N_18offset_tEEE10hipError_tPvRmT1_PNSt15iterator_traitsISK_E10value_typeET2_T3_PNSL_ISQ_E10value_typeET4_jRbjT5_SW_jjP12ihipStream_tbEUlT_E_NS1_11comp_targetILNS1_3genE10ELNS1_11target_archE1200ELNS1_3gpuE4ELNS1_3repE0EEENS1_30default_config_static_selectorELNS0_4arch9wavefront6targetE0EEEvSK_,"axG",@progbits,_ZN7rocprim17ROCPRIM_400000_NS6detail17trampoline_kernelINS0_14default_configENS1_36segmented_radix_sort_config_selectorIhlEEZNS1_25segmented_radix_sort_implIS3_Lb0EPKhPhPKlPlN2at6native12_GLOBAL__N_18offset_tEEE10hipError_tPvRmT1_PNSt15iterator_traitsISK_E10value_typeET2_T3_PNSL_ISQ_E10value_typeET4_jRbjT5_SW_jjP12ihipStream_tbEUlT_E_NS1_11comp_targetILNS1_3genE10ELNS1_11target_archE1200ELNS1_3gpuE4ELNS1_3repE0EEENS1_30default_config_static_selectorELNS0_4arch9wavefront6targetE0EEEvSK_,comdat
	.globl	_ZN7rocprim17ROCPRIM_400000_NS6detail17trampoline_kernelINS0_14default_configENS1_36segmented_radix_sort_config_selectorIhlEEZNS1_25segmented_radix_sort_implIS3_Lb0EPKhPhPKlPlN2at6native12_GLOBAL__N_18offset_tEEE10hipError_tPvRmT1_PNSt15iterator_traitsISK_E10value_typeET2_T3_PNSL_ISQ_E10value_typeET4_jRbjT5_SW_jjP12ihipStream_tbEUlT_E_NS1_11comp_targetILNS1_3genE10ELNS1_11target_archE1200ELNS1_3gpuE4ELNS1_3repE0EEENS1_30default_config_static_selectorELNS0_4arch9wavefront6targetE0EEEvSK_ ; -- Begin function _ZN7rocprim17ROCPRIM_400000_NS6detail17trampoline_kernelINS0_14default_configENS1_36segmented_radix_sort_config_selectorIhlEEZNS1_25segmented_radix_sort_implIS3_Lb0EPKhPhPKlPlN2at6native12_GLOBAL__N_18offset_tEEE10hipError_tPvRmT1_PNSt15iterator_traitsISK_E10value_typeET2_T3_PNSL_ISQ_E10value_typeET4_jRbjT5_SW_jjP12ihipStream_tbEUlT_E_NS1_11comp_targetILNS1_3genE10ELNS1_11target_archE1200ELNS1_3gpuE4ELNS1_3repE0EEENS1_30default_config_static_selectorELNS0_4arch9wavefront6targetE0EEEvSK_
	.p2align	8
	.type	_ZN7rocprim17ROCPRIM_400000_NS6detail17trampoline_kernelINS0_14default_configENS1_36segmented_radix_sort_config_selectorIhlEEZNS1_25segmented_radix_sort_implIS3_Lb0EPKhPhPKlPlN2at6native12_GLOBAL__N_18offset_tEEE10hipError_tPvRmT1_PNSt15iterator_traitsISK_E10value_typeET2_T3_PNSL_ISQ_E10value_typeET4_jRbjT5_SW_jjP12ihipStream_tbEUlT_E_NS1_11comp_targetILNS1_3genE10ELNS1_11target_archE1200ELNS1_3gpuE4ELNS1_3repE0EEENS1_30default_config_static_selectorELNS0_4arch9wavefront6targetE0EEEvSK_,@function
_ZN7rocprim17ROCPRIM_400000_NS6detail17trampoline_kernelINS0_14default_configENS1_36segmented_radix_sort_config_selectorIhlEEZNS1_25segmented_radix_sort_implIS3_Lb0EPKhPhPKlPlN2at6native12_GLOBAL__N_18offset_tEEE10hipError_tPvRmT1_PNSt15iterator_traitsISK_E10value_typeET2_T3_PNSL_ISQ_E10value_typeET4_jRbjT5_SW_jjP12ihipStream_tbEUlT_E_NS1_11comp_targetILNS1_3genE10ELNS1_11target_archE1200ELNS1_3gpuE4ELNS1_3repE0EEENS1_30default_config_static_selectorELNS0_4arch9wavefront6targetE0EEEvSK_: ; @_ZN7rocprim17ROCPRIM_400000_NS6detail17trampoline_kernelINS0_14default_configENS1_36segmented_radix_sort_config_selectorIhlEEZNS1_25segmented_radix_sort_implIS3_Lb0EPKhPhPKlPlN2at6native12_GLOBAL__N_18offset_tEEE10hipError_tPvRmT1_PNSt15iterator_traitsISK_E10value_typeET2_T3_PNSL_ISQ_E10value_typeET4_jRbjT5_SW_jjP12ihipStream_tbEUlT_E_NS1_11comp_targetILNS1_3genE10ELNS1_11target_archE1200ELNS1_3gpuE4ELNS1_3repE0EEENS1_30default_config_static_selectorELNS0_4arch9wavefront6targetE0EEEvSK_
; %bb.0:
	.section	.rodata,"a",@progbits
	.p2align	6, 0x0
	.amdhsa_kernel _ZN7rocprim17ROCPRIM_400000_NS6detail17trampoline_kernelINS0_14default_configENS1_36segmented_radix_sort_config_selectorIhlEEZNS1_25segmented_radix_sort_implIS3_Lb0EPKhPhPKlPlN2at6native12_GLOBAL__N_18offset_tEEE10hipError_tPvRmT1_PNSt15iterator_traitsISK_E10value_typeET2_T3_PNSL_ISQ_E10value_typeET4_jRbjT5_SW_jjP12ihipStream_tbEUlT_E_NS1_11comp_targetILNS1_3genE10ELNS1_11target_archE1200ELNS1_3gpuE4ELNS1_3repE0EEENS1_30default_config_static_selectorELNS0_4arch9wavefront6targetE0EEEvSK_
		.amdhsa_group_segment_fixed_size 0
		.amdhsa_private_segment_fixed_size 0
		.amdhsa_kernarg_size 96
		.amdhsa_user_sgpr_count 2
		.amdhsa_user_sgpr_dispatch_ptr 0
		.amdhsa_user_sgpr_queue_ptr 0
		.amdhsa_user_sgpr_kernarg_segment_ptr 1
		.amdhsa_user_sgpr_dispatch_id 0
		.amdhsa_user_sgpr_private_segment_size 0
		.amdhsa_wavefront_size32 1
		.amdhsa_uses_dynamic_stack 0
		.amdhsa_enable_private_segment 0
		.amdhsa_system_sgpr_workgroup_id_x 1
		.amdhsa_system_sgpr_workgroup_id_y 0
		.amdhsa_system_sgpr_workgroup_id_z 0
		.amdhsa_system_sgpr_workgroup_info 0
		.amdhsa_system_vgpr_workitem_id 0
		.amdhsa_next_free_vgpr 1
		.amdhsa_next_free_sgpr 1
		.amdhsa_reserve_vcc 0
		.amdhsa_float_round_mode_32 0
		.amdhsa_float_round_mode_16_64 0
		.amdhsa_float_denorm_mode_32 3
		.amdhsa_float_denorm_mode_16_64 3
		.amdhsa_fp16_overflow 0
		.amdhsa_workgroup_processor_mode 1
		.amdhsa_memory_ordered 1
		.amdhsa_forward_progress 1
		.amdhsa_inst_pref_size 0
		.amdhsa_round_robin_scheduling 0
		.amdhsa_exception_fp_ieee_invalid_op 0
		.amdhsa_exception_fp_denorm_src 0
		.amdhsa_exception_fp_ieee_div_zero 0
		.amdhsa_exception_fp_ieee_overflow 0
		.amdhsa_exception_fp_ieee_underflow 0
		.amdhsa_exception_fp_ieee_inexact 0
		.amdhsa_exception_int_div_zero 0
	.end_amdhsa_kernel
	.section	.text._ZN7rocprim17ROCPRIM_400000_NS6detail17trampoline_kernelINS0_14default_configENS1_36segmented_radix_sort_config_selectorIhlEEZNS1_25segmented_radix_sort_implIS3_Lb0EPKhPhPKlPlN2at6native12_GLOBAL__N_18offset_tEEE10hipError_tPvRmT1_PNSt15iterator_traitsISK_E10value_typeET2_T3_PNSL_ISQ_E10value_typeET4_jRbjT5_SW_jjP12ihipStream_tbEUlT_E_NS1_11comp_targetILNS1_3genE10ELNS1_11target_archE1200ELNS1_3gpuE4ELNS1_3repE0EEENS1_30default_config_static_selectorELNS0_4arch9wavefront6targetE0EEEvSK_,"axG",@progbits,_ZN7rocprim17ROCPRIM_400000_NS6detail17trampoline_kernelINS0_14default_configENS1_36segmented_radix_sort_config_selectorIhlEEZNS1_25segmented_radix_sort_implIS3_Lb0EPKhPhPKlPlN2at6native12_GLOBAL__N_18offset_tEEE10hipError_tPvRmT1_PNSt15iterator_traitsISK_E10value_typeET2_T3_PNSL_ISQ_E10value_typeET4_jRbjT5_SW_jjP12ihipStream_tbEUlT_E_NS1_11comp_targetILNS1_3genE10ELNS1_11target_archE1200ELNS1_3gpuE4ELNS1_3repE0EEENS1_30default_config_static_selectorELNS0_4arch9wavefront6targetE0EEEvSK_,comdat
.Lfunc_end193:
	.size	_ZN7rocprim17ROCPRIM_400000_NS6detail17trampoline_kernelINS0_14default_configENS1_36segmented_radix_sort_config_selectorIhlEEZNS1_25segmented_radix_sort_implIS3_Lb0EPKhPhPKlPlN2at6native12_GLOBAL__N_18offset_tEEE10hipError_tPvRmT1_PNSt15iterator_traitsISK_E10value_typeET2_T3_PNSL_ISQ_E10value_typeET4_jRbjT5_SW_jjP12ihipStream_tbEUlT_E_NS1_11comp_targetILNS1_3genE10ELNS1_11target_archE1200ELNS1_3gpuE4ELNS1_3repE0EEENS1_30default_config_static_selectorELNS0_4arch9wavefront6targetE0EEEvSK_, .Lfunc_end193-_ZN7rocprim17ROCPRIM_400000_NS6detail17trampoline_kernelINS0_14default_configENS1_36segmented_radix_sort_config_selectorIhlEEZNS1_25segmented_radix_sort_implIS3_Lb0EPKhPhPKlPlN2at6native12_GLOBAL__N_18offset_tEEE10hipError_tPvRmT1_PNSt15iterator_traitsISK_E10value_typeET2_T3_PNSL_ISQ_E10value_typeET4_jRbjT5_SW_jjP12ihipStream_tbEUlT_E_NS1_11comp_targetILNS1_3genE10ELNS1_11target_archE1200ELNS1_3gpuE4ELNS1_3repE0EEENS1_30default_config_static_selectorELNS0_4arch9wavefront6targetE0EEEvSK_
                                        ; -- End function
	.set _ZN7rocprim17ROCPRIM_400000_NS6detail17trampoline_kernelINS0_14default_configENS1_36segmented_radix_sort_config_selectorIhlEEZNS1_25segmented_radix_sort_implIS3_Lb0EPKhPhPKlPlN2at6native12_GLOBAL__N_18offset_tEEE10hipError_tPvRmT1_PNSt15iterator_traitsISK_E10value_typeET2_T3_PNSL_ISQ_E10value_typeET4_jRbjT5_SW_jjP12ihipStream_tbEUlT_E_NS1_11comp_targetILNS1_3genE10ELNS1_11target_archE1200ELNS1_3gpuE4ELNS1_3repE0EEENS1_30default_config_static_selectorELNS0_4arch9wavefront6targetE0EEEvSK_.num_vgpr, 0
	.set _ZN7rocprim17ROCPRIM_400000_NS6detail17trampoline_kernelINS0_14default_configENS1_36segmented_radix_sort_config_selectorIhlEEZNS1_25segmented_radix_sort_implIS3_Lb0EPKhPhPKlPlN2at6native12_GLOBAL__N_18offset_tEEE10hipError_tPvRmT1_PNSt15iterator_traitsISK_E10value_typeET2_T3_PNSL_ISQ_E10value_typeET4_jRbjT5_SW_jjP12ihipStream_tbEUlT_E_NS1_11comp_targetILNS1_3genE10ELNS1_11target_archE1200ELNS1_3gpuE4ELNS1_3repE0EEENS1_30default_config_static_selectorELNS0_4arch9wavefront6targetE0EEEvSK_.num_agpr, 0
	.set _ZN7rocprim17ROCPRIM_400000_NS6detail17trampoline_kernelINS0_14default_configENS1_36segmented_radix_sort_config_selectorIhlEEZNS1_25segmented_radix_sort_implIS3_Lb0EPKhPhPKlPlN2at6native12_GLOBAL__N_18offset_tEEE10hipError_tPvRmT1_PNSt15iterator_traitsISK_E10value_typeET2_T3_PNSL_ISQ_E10value_typeET4_jRbjT5_SW_jjP12ihipStream_tbEUlT_E_NS1_11comp_targetILNS1_3genE10ELNS1_11target_archE1200ELNS1_3gpuE4ELNS1_3repE0EEENS1_30default_config_static_selectorELNS0_4arch9wavefront6targetE0EEEvSK_.numbered_sgpr, 0
	.set _ZN7rocprim17ROCPRIM_400000_NS6detail17trampoline_kernelINS0_14default_configENS1_36segmented_radix_sort_config_selectorIhlEEZNS1_25segmented_radix_sort_implIS3_Lb0EPKhPhPKlPlN2at6native12_GLOBAL__N_18offset_tEEE10hipError_tPvRmT1_PNSt15iterator_traitsISK_E10value_typeET2_T3_PNSL_ISQ_E10value_typeET4_jRbjT5_SW_jjP12ihipStream_tbEUlT_E_NS1_11comp_targetILNS1_3genE10ELNS1_11target_archE1200ELNS1_3gpuE4ELNS1_3repE0EEENS1_30default_config_static_selectorELNS0_4arch9wavefront6targetE0EEEvSK_.num_named_barrier, 0
	.set _ZN7rocprim17ROCPRIM_400000_NS6detail17trampoline_kernelINS0_14default_configENS1_36segmented_radix_sort_config_selectorIhlEEZNS1_25segmented_radix_sort_implIS3_Lb0EPKhPhPKlPlN2at6native12_GLOBAL__N_18offset_tEEE10hipError_tPvRmT1_PNSt15iterator_traitsISK_E10value_typeET2_T3_PNSL_ISQ_E10value_typeET4_jRbjT5_SW_jjP12ihipStream_tbEUlT_E_NS1_11comp_targetILNS1_3genE10ELNS1_11target_archE1200ELNS1_3gpuE4ELNS1_3repE0EEENS1_30default_config_static_selectorELNS0_4arch9wavefront6targetE0EEEvSK_.private_seg_size, 0
	.set _ZN7rocprim17ROCPRIM_400000_NS6detail17trampoline_kernelINS0_14default_configENS1_36segmented_radix_sort_config_selectorIhlEEZNS1_25segmented_radix_sort_implIS3_Lb0EPKhPhPKlPlN2at6native12_GLOBAL__N_18offset_tEEE10hipError_tPvRmT1_PNSt15iterator_traitsISK_E10value_typeET2_T3_PNSL_ISQ_E10value_typeET4_jRbjT5_SW_jjP12ihipStream_tbEUlT_E_NS1_11comp_targetILNS1_3genE10ELNS1_11target_archE1200ELNS1_3gpuE4ELNS1_3repE0EEENS1_30default_config_static_selectorELNS0_4arch9wavefront6targetE0EEEvSK_.uses_vcc, 0
	.set _ZN7rocprim17ROCPRIM_400000_NS6detail17trampoline_kernelINS0_14default_configENS1_36segmented_radix_sort_config_selectorIhlEEZNS1_25segmented_radix_sort_implIS3_Lb0EPKhPhPKlPlN2at6native12_GLOBAL__N_18offset_tEEE10hipError_tPvRmT1_PNSt15iterator_traitsISK_E10value_typeET2_T3_PNSL_ISQ_E10value_typeET4_jRbjT5_SW_jjP12ihipStream_tbEUlT_E_NS1_11comp_targetILNS1_3genE10ELNS1_11target_archE1200ELNS1_3gpuE4ELNS1_3repE0EEENS1_30default_config_static_selectorELNS0_4arch9wavefront6targetE0EEEvSK_.uses_flat_scratch, 0
	.set _ZN7rocprim17ROCPRIM_400000_NS6detail17trampoline_kernelINS0_14default_configENS1_36segmented_radix_sort_config_selectorIhlEEZNS1_25segmented_radix_sort_implIS3_Lb0EPKhPhPKlPlN2at6native12_GLOBAL__N_18offset_tEEE10hipError_tPvRmT1_PNSt15iterator_traitsISK_E10value_typeET2_T3_PNSL_ISQ_E10value_typeET4_jRbjT5_SW_jjP12ihipStream_tbEUlT_E_NS1_11comp_targetILNS1_3genE10ELNS1_11target_archE1200ELNS1_3gpuE4ELNS1_3repE0EEENS1_30default_config_static_selectorELNS0_4arch9wavefront6targetE0EEEvSK_.has_dyn_sized_stack, 0
	.set _ZN7rocprim17ROCPRIM_400000_NS6detail17trampoline_kernelINS0_14default_configENS1_36segmented_radix_sort_config_selectorIhlEEZNS1_25segmented_radix_sort_implIS3_Lb0EPKhPhPKlPlN2at6native12_GLOBAL__N_18offset_tEEE10hipError_tPvRmT1_PNSt15iterator_traitsISK_E10value_typeET2_T3_PNSL_ISQ_E10value_typeET4_jRbjT5_SW_jjP12ihipStream_tbEUlT_E_NS1_11comp_targetILNS1_3genE10ELNS1_11target_archE1200ELNS1_3gpuE4ELNS1_3repE0EEENS1_30default_config_static_selectorELNS0_4arch9wavefront6targetE0EEEvSK_.has_recursion, 0
	.set _ZN7rocprim17ROCPRIM_400000_NS6detail17trampoline_kernelINS0_14default_configENS1_36segmented_radix_sort_config_selectorIhlEEZNS1_25segmented_radix_sort_implIS3_Lb0EPKhPhPKlPlN2at6native12_GLOBAL__N_18offset_tEEE10hipError_tPvRmT1_PNSt15iterator_traitsISK_E10value_typeET2_T3_PNSL_ISQ_E10value_typeET4_jRbjT5_SW_jjP12ihipStream_tbEUlT_E_NS1_11comp_targetILNS1_3genE10ELNS1_11target_archE1200ELNS1_3gpuE4ELNS1_3repE0EEENS1_30default_config_static_selectorELNS0_4arch9wavefront6targetE0EEEvSK_.has_indirect_call, 0
	.section	.AMDGPU.csdata,"",@progbits
; Kernel info:
; codeLenInByte = 0
; TotalNumSgprs: 0
; NumVgprs: 0
; ScratchSize: 0
; MemoryBound: 0
; FloatMode: 240
; IeeeMode: 1
; LDSByteSize: 0 bytes/workgroup (compile time only)
; SGPRBlocks: 0
; VGPRBlocks: 0
; NumSGPRsForWavesPerEU: 1
; NumVGPRsForWavesPerEU: 1
; Occupancy: 16
; WaveLimiterHint : 0
; COMPUTE_PGM_RSRC2:SCRATCH_EN: 0
; COMPUTE_PGM_RSRC2:USER_SGPR: 2
; COMPUTE_PGM_RSRC2:TRAP_HANDLER: 0
; COMPUTE_PGM_RSRC2:TGID_X_EN: 1
; COMPUTE_PGM_RSRC2:TGID_Y_EN: 0
; COMPUTE_PGM_RSRC2:TGID_Z_EN: 0
; COMPUTE_PGM_RSRC2:TIDIG_COMP_CNT: 0
	.section	.text._ZN7rocprim17ROCPRIM_400000_NS6detail17trampoline_kernelINS0_14default_configENS1_36segmented_radix_sort_config_selectorIhlEEZNS1_25segmented_radix_sort_implIS3_Lb0EPKhPhPKlPlN2at6native12_GLOBAL__N_18offset_tEEE10hipError_tPvRmT1_PNSt15iterator_traitsISK_E10value_typeET2_T3_PNSL_ISQ_E10value_typeET4_jRbjT5_SW_jjP12ihipStream_tbEUlT_E_NS1_11comp_targetILNS1_3genE9ELNS1_11target_archE1100ELNS1_3gpuE3ELNS1_3repE0EEENS1_30default_config_static_selectorELNS0_4arch9wavefront6targetE0EEEvSK_,"axG",@progbits,_ZN7rocprim17ROCPRIM_400000_NS6detail17trampoline_kernelINS0_14default_configENS1_36segmented_radix_sort_config_selectorIhlEEZNS1_25segmented_radix_sort_implIS3_Lb0EPKhPhPKlPlN2at6native12_GLOBAL__N_18offset_tEEE10hipError_tPvRmT1_PNSt15iterator_traitsISK_E10value_typeET2_T3_PNSL_ISQ_E10value_typeET4_jRbjT5_SW_jjP12ihipStream_tbEUlT_E_NS1_11comp_targetILNS1_3genE9ELNS1_11target_archE1100ELNS1_3gpuE3ELNS1_3repE0EEENS1_30default_config_static_selectorELNS0_4arch9wavefront6targetE0EEEvSK_,comdat
	.globl	_ZN7rocprim17ROCPRIM_400000_NS6detail17trampoline_kernelINS0_14default_configENS1_36segmented_radix_sort_config_selectorIhlEEZNS1_25segmented_radix_sort_implIS3_Lb0EPKhPhPKlPlN2at6native12_GLOBAL__N_18offset_tEEE10hipError_tPvRmT1_PNSt15iterator_traitsISK_E10value_typeET2_T3_PNSL_ISQ_E10value_typeET4_jRbjT5_SW_jjP12ihipStream_tbEUlT_E_NS1_11comp_targetILNS1_3genE9ELNS1_11target_archE1100ELNS1_3gpuE3ELNS1_3repE0EEENS1_30default_config_static_selectorELNS0_4arch9wavefront6targetE0EEEvSK_ ; -- Begin function _ZN7rocprim17ROCPRIM_400000_NS6detail17trampoline_kernelINS0_14default_configENS1_36segmented_radix_sort_config_selectorIhlEEZNS1_25segmented_radix_sort_implIS3_Lb0EPKhPhPKlPlN2at6native12_GLOBAL__N_18offset_tEEE10hipError_tPvRmT1_PNSt15iterator_traitsISK_E10value_typeET2_T3_PNSL_ISQ_E10value_typeET4_jRbjT5_SW_jjP12ihipStream_tbEUlT_E_NS1_11comp_targetILNS1_3genE9ELNS1_11target_archE1100ELNS1_3gpuE3ELNS1_3repE0EEENS1_30default_config_static_selectorELNS0_4arch9wavefront6targetE0EEEvSK_
	.p2align	8
	.type	_ZN7rocprim17ROCPRIM_400000_NS6detail17trampoline_kernelINS0_14default_configENS1_36segmented_radix_sort_config_selectorIhlEEZNS1_25segmented_radix_sort_implIS3_Lb0EPKhPhPKlPlN2at6native12_GLOBAL__N_18offset_tEEE10hipError_tPvRmT1_PNSt15iterator_traitsISK_E10value_typeET2_T3_PNSL_ISQ_E10value_typeET4_jRbjT5_SW_jjP12ihipStream_tbEUlT_E_NS1_11comp_targetILNS1_3genE9ELNS1_11target_archE1100ELNS1_3gpuE3ELNS1_3repE0EEENS1_30default_config_static_selectorELNS0_4arch9wavefront6targetE0EEEvSK_,@function
_ZN7rocprim17ROCPRIM_400000_NS6detail17trampoline_kernelINS0_14default_configENS1_36segmented_radix_sort_config_selectorIhlEEZNS1_25segmented_radix_sort_implIS3_Lb0EPKhPhPKlPlN2at6native12_GLOBAL__N_18offset_tEEE10hipError_tPvRmT1_PNSt15iterator_traitsISK_E10value_typeET2_T3_PNSL_ISQ_E10value_typeET4_jRbjT5_SW_jjP12ihipStream_tbEUlT_E_NS1_11comp_targetILNS1_3genE9ELNS1_11target_archE1100ELNS1_3gpuE3ELNS1_3repE0EEENS1_30default_config_static_selectorELNS0_4arch9wavefront6targetE0EEEvSK_: ; @_ZN7rocprim17ROCPRIM_400000_NS6detail17trampoline_kernelINS0_14default_configENS1_36segmented_radix_sort_config_selectorIhlEEZNS1_25segmented_radix_sort_implIS3_Lb0EPKhPhPKlPlN2at6native12_GLOBAL__N_18offset_tEEE10hipError_tPvRmT1_PNSt15iterator_traitsISK_E10value_typeET2_T3_PNSL_ISQ_E10value_typeET4_jRbjT5_SW_jjP12ihipStream_tbEUlT_E_NS1_11comp_targetILNS1_3genE9ELNS1_11target_archE1100ELNS1_3gpuE3ELNS1_3repE0EEENS1_30default_config_static_selectorELNS0_4arch9wavefront6targetE0EEEvSK_
; %bb.0:
	.section	.rodata,"a",@progbits
	.p2align	6, 0x0
	.amdhsa_kernel _ZN7rocprim17ROCPRIM_400000_NS6detail17trampoline_kernelINS0_14default_configENS1_36segmented_radix_sort_config_selectorIhlEEZNS1_25segmented_radix_sort_implIS3_Lb0EPKhPhPKlPlN2at6native12_GLOBAL__N_18offset_tEEE10hipError_tPvRmT1_PNSt15iterator_traitsISK_E10value_typeET2_T3_PNSL_ISQ_E10value_typeET4_jRbjT5_SW_jjP12ihipStream_tbEUlT_E_NS1_11comp_targetILNS1_3genE9ELNS1_11target_archE1100ELNS1_3gpuE3ELNS1_3repE0EEENS1_30default_config_static_selectorELNS0_4arch9wavefront6targetE0EEEvSK_
		.amdhsa_group_segment_fixed_size 0
		.amdhsa_private_segment_fixed_size 0
		.amdhsa_kernarg_size 96
		.amdhsa_user_sgpr_count 2
		.amdhsa_user_sgpr_dispatch_ptr 0
		.amdhsa_user_sgpr_queue_ptr 0
		.amdhsa_user_sgpr_kernarg_segment_ptr 1
		.amdhsa_user_sgpr_dispatch_id 0
		.amdhsa_user_sgpr_private_segment_size 0
		.amdhsa_wavefront_size32 1
		.amdhsa_uses_dynamic_stack 0
		.amdhsa_enable_private_segment 0
		.amdhsa_system_sgpr_workgroup_id_x 1
		.amdhsa_system_sgpr_workgroup_id_y 0
		.amdhsa_system_sgpr_workgroup_id_z 0
		.amdhsa_system_sgpr_workgroup_info 0
		.amdhsa_system_vgpr_workitem_id 0
		.amdhsa_next_free_vgpr 1
		.amdhsa_next_free_sgpr 1
		.amdhsa_reserve_vcc 0
		.amdhsa_float_round_mode_32 0
		.amdhsa_float_round_mode_16_64 0
		.amdhsa_float_denorm_mode_32 3
		.amdhsa_float_denorm_mode_16_64 3
		.amdhsa_fp16_overflow 0
		.amdhsa_workgroup_processor_mode 1
		.amdhsa_memory_ordered 1
		.amdhsa_forward_progress 1
		.amdhsa_inst_pref_size 0
		.amdhsa_round_robin_scheduling 0
		.amdhsa_exception_fp_ieee_invalid_op 0
		.amdhsa_exception_fp_denorm_src 0
		.amdhsa_exception_fp_ieee_div_zero 0
		.amdhsa_exception_fp_ieee_overflow 0
		.amdhsa_exception_fp_ieee_underflow 0
		.amdhsa_exception_fp_ieee_inexact 0
		.amdhsa_exception_int_div_zero 0
	.end_amdhsa_kernel
	.section	.text._ZN7rocprim17ROCPRIM_400000_NS6detail17trampoline_kernelINS0_14default_configENS1_36segmented_radix_sort_config_selectorIhlEEZNS1_25segmented_radix_sort_implIS3_Lb0EPKhPhPKlPlN2at6native12_GLOBAL__N_18offset_tEEE10hipError_tPvRmT1_PNSt15iterator_traitsISK_E10value_typeET2_T3_PNSL_ISQ_E10value_typeET4_jRbjT5_SW_jjP12ihipStream_tbEUlT_E_NS1_11comp_targetILNS1_3genE9ELNS1_11target_archE1100ELNS1_3gpuE3ELNS1_3repE0EEENS1_30default_config_static_selectorELNS0_4arch9wavefront6targetE0EEEvSK_,"axG",@progbits,_ZN7rocprim17ROCPRIM_400000_NS6detail17trampoline_kernelINS0_14default_configENS1_36segmented_radix_sort_config_selectorIhlEEZNS1_25segmented_radix_sort_implIS3_Lb0EPKhPhPKlPlN2at6native12_GLOBAL__N_18offset_tEEE10hipError_tPvRmT1_PNSt15iterator_traitsISK_E10value_typeET2_T3_PNSL_ISQ_E10value_typeET4_jRbjT5_SW_jjP12ihipStream_tbEUlT_E_NS1_11comp_targetILNS1_3genE9ELNS1_11target_archE1100ELNS1_3gpuE3ELNS1_3repE0EEENS1_30default_config_static_selectorELNS0_4arch9wavefront6targetE0EEEvSK_,comdat
.Lfunc_end194:
	.size	_ZN7rocprim17ROCPRIM_400000_NS6detail17trampoline_kernelINS0_14default_configENS1_36segmented_radix_sort_config_selectorIhlEEZNS1_25segmented_radix_sort_implIS3_Lb0EPKhPhPKlPlN2at6native12_GLOBAL__N_18offset_tEEE10hipError_tPvRmT1_PNSt15iterator_traitsISK_E10value_typeET2_T3_PNSL_ISQ_E10value_typeET4_jRbjT5_SW_jjP12ihipStream_tbEUlT_E_NS1_11comp_targetILNS1_3genE9ELNS1_11target_archE1100ELNS1_3gpuE3ELNS1_3repE0EEENS1_30default_config_static_selectorELNS0_4arch9wavefront6targetE0EEEvSK_, .Lfunc_end194-_ZN7rocprim17ROCPRIM_400000_NS6detail17trampoline_kernelINS0_14default_configENS1_36segmented_radix_sort_config_selectorIhlEEZNS1_25segmented_radix_sort_implIS3_Lb0EPKhPhPKlPlN2at6native12_GLOBAL__N_18offset_tEEE10hipError_tPvRmT1_PNSt15iterator_traitsISK_E10value_typeET2_T3_PNSL_ISQ_E10value_typeET4_jRbjT5_SW_jjP12ihipStream_tbEUlT_E_NS1_11comp_targetILNS1_3genE9ELNS1_11target_archE1100ELNS1_3gpuE3ELNS1_3repE0EEENS1_30default_config_static_selectorELNS0_4arch9wavefront6targetE0EEEvSK_
                                        ; -- End function
	.set _ZN7rocprim17ROCPRIM_400000_NS6detail17trampoline_kernelINS0_14default_configENS1_36segmented_radix_sort_config_selectorIhlEEZNS1_25segmented_radix_sort_implIS3_Lb0EPKhPhPKlPlN2at6native12_GLOBAL__N_18offset_tEEE10hipError_tPvRmT1_PNSt15iterator_traitsISK_E10value_typeET2_T3_PNSL_ISQ_E10value_typeET4_jRbjT5_SW_jjP12ihipStream_tbEUlT_E_NS1_11comp_targetILNS1_3genE9ELNS1_11target_archE1100ELNS1_3gpuE3ELNS1_3repE0EEENS1_30default_config_static_selectorELNS0_4arch9wavefront6targetE0EEEvSK_.num_vgpr, 0
	.set _ZN7rocprim17ROCPRIM_400000_NS6detail17trampoline_kernelINS0_14default_configENS1_36segmented_radix_sort_config_selectorIhlEEZNS1_25segmented_radix_sort_implIS3_Lb0EPKhPhPKlPlN2at6native12_GLOBAL__N_18offset_tEEE10hipError_tPvRmT1_PNSt15iterator_traitsISK_E10value_typeET2_T3_PNSL_ISQ_E10value_typeET4_jRbjT5_SW_jjP12ihipStream_tbEUlT_E_NS1_11comp_targetILNS1_3genE9ELNS1_11target_archE1100ELNS1_3gpuE3ELNS1_3repE0EEENS1_30default_config_static_selectorELNS0_4arch9wavefront6targetE0EEEvSK_.num_agpr, 0
	.set _ZN7rocprim17ROCPRIM_400000_NS6detail17trampoline_kernelINS0_14default_configENS1_36segmented_radix_sort_config_selectorIhlEEZNS1_25segmented_radix_sort_implIS3_Lb0EPKhPhPKlPlN2at6native12_GLOBAL__N_18offset_tEEE10hipError_tPvRmT1_PNSt15iterator_traitsISK_E10value_typeET2_T3_PNSL_ISQ_E10value_typeET4_jRbjT5_SW_jjP12ihipStream_tbEUlT_E_NS1_11comp_targetILNS1_3genE9ELNS1_11target_archE1100ELNS1_3gpuE3ELNS1_3repE0EEENS1_30default_config_static_selectorELNS0_4arch9wavefront6targetE0EEEvSK_.numbered_sgpr, 0
	.set _ZN7rocprim17ROCPRIM_400000_NS6detail17trampoline_kernelINS0_14default_configENS1_36segmented_radix_sort_config_selectorIhlEEZNS1_25segmented_radix_sort_implIS3_Lb0EPKhPhPKlPlN2at6native12_GLOBAL__N_18offset_tEEE10hipError_tPvRmT1_PNSt15iterator_traitsISK_E10value_typeET2_T3_PNSL_ISQ_E10value_typeET4_jRbjT5_SW_jjP12ihipStream_tbEUlT_E_NS1_11comp_targetILNS1_3genE9ELNS1_11target_archE1100ELNS1_3gpuE3ELNS1_3repE0EEENS1_30default_config_static_selectorELNS0_4arch9wavefront6targetE0EEEvSK_.num_named_barrier, 0
	.set _ZN7rocprim17ROCPRIM_400000_NS6detail17trampoline_kernelINS0_14default_configENS1_36segmented_radix_sort_config_selectorIhlEEZNS1_25segmented_radix_sort_implIS3_Lb0EPKhPhPKlPlN2at6native12_GLOBAL__N_18offset_tEEE10hipError_tPvRmT1_PNSt15iterator_traitsISK_E10value_typeET2_T3_PNSL_ISQ_E10value_typeET4_jRbjT5_SW_jjP12ihipStream_tbEUlT_E_NS1_11comp_targetILNS1_3genE9ELNS1_11target_archE1100ELNS1_3gpuE3ELNS1_3repE0EEENS1_30default_config_static_selectorELNS0_4arch9wavefront6targetE0EEEvSK_.private_seg_size, 0
	.set _ZN7rocprim17ROCPRIM_400000_NS6detail17trampoline_kernelINS0_14default_configENS1_36segmented_radix_sort_config_selectorIhlEEZNS1_25segmented_radix_sort_implIS3_Lb0EPKhPhPKlPlN2at6native12_GLOBAL__N_18offset_tEEE10hipError_tPvRmT1_PNSt15iterator_traitsISK_E10value_typeET2_T3_PNSL_ISQ_E10value_typeET4_jRbjT5_SW_jjP12ihipStream_tbEUlT_E_NS1_11comp_targetILNS1_3genE9ELNS1_11target_archE1100ELNS1_3gpuE3ELNS1_3repE0EEENS1_30default_config_static_selectorELNS0_4arch9wavefront6targetE0EEEvSK_.uses_vcc, 0
	.set _ZN7rocprim17ROCPRIM_400000_NS6detail17trampoline_kernelINS0_14default_configENS1_36segmented_radix_sort_config_selectorIhlEEZNS1_25segmented_radix_sort_implIS3_Lb0EPKhPhPKlPlN2at6native12_GLOBAL__N_18offset_tEEE10hipError_tPvRmT1_PNSt15iterator_traitsISK_E10value_typeET2_T3_PNSL_ISQ_E10value_typeET4_jRbjT5_SW_jjP12ihipStream_tbEUlT_E_NS1_11comp_targetILNS1_3genE9ELNS1_11target_archE1100ELNS1_3gpuE3ELNS1_3repE0EEENS1_30default_config_static_selectorELNS0_4arch9wavefront6targetE0EEEvSK_.uses_flat_scratch, 0
	.set _ZN7rocprim17ROCPRIM_400000_NS6detail17trampoline_kernelINS0_14default_configENS1_36segmented_radix_sort_config_selectorIhlEEZNS1_25segmented_radix_sort_implIS3_Lb0EPKhPhPKlPlN2at6native12_GLOBAL__N_18offset_tEEE10hipError_tPvRmT1_PNSt15iterator_traitsISK_E10value_typeET2_T3_PNSL_ISQ_E10value_typeET4_jRbjT5_SW_jjP12ihipStream_tbEUlT_E_NS1_11comp_targetILNS1_3genE9ELNS1_11target_archE1100ELNS1_3gpuE3ELNS1_3repE0EEENS1_30default_config_static_selectorELNS0_4arch9wavefront6targetE0EEEvSK_.has_dyn_sized_stack, 0
	.set _ZN7rocprim17ROCPRIM_400000_NS6detail17trampoline_kernelINS0_14default_configENS1_36segmented_radix_sort_config_selectorIhlEEZNS1_25segmented_radix_sort_implIS3_Lb0EPKhPhPKlPlN2at6native12_GLOBAL__N_18offset_tEEE10hipError_tPvRmT1_PNSt15iterator_traitsISK_E10value_typeET2_T3_PNSL_ISQ_E10value_typeET4_jRbjT5_SW_jjP12ihipStream_tbEUlT_E_NS1_11comp_targetILNS1_3genE9ELNS1_11target_archE1100ELNS1_3gpuE3ELNS1_3repE0EEENS1_30default_config_static_selectorELNS0_4arch9wavefront6targetE0EEEvSK_.has_recursion, 0
	.set _ZN7rocprim17ROCPRIM_400000_NS6detail17trampoline_kernelINS0_14default_configENS1_36segmented_radix_sort_config_selectorIhlEEZNS1_25segmented_radix_sort_implIS3_Lb0EPKhPhPKlPlN2at6native12_GLOBAL__N_18offset_tEEE10hipError_tPvRmT1_PNSt15iterator_traitsISK_E10value_typeET2_T3_PNSL_ISQ_E10value_typeET4_jRbjT5_SW_jjP12ihipStream_tbEUlT_E_NS1_11comp_targetILNS1_3genE9ELNS1_11target_archE1100ELNS1_3gpuE3ELNS1_3repE0EEENS1_30default_config_static_selectorELNS0_4arch9wavefront6targetE0EEEvSK_.has_indirect_call, 0
	.section	.AMDGPU.csdata,"",@progbits
; Kernel info:
; codeLenInByte = 0
; TotalNumSgprs: 0
; NumVgprs: 0
; ScratchSize: 0
; MemoryBound: 0
; FloatMode: 240
; IeeeMode: 1
; LDSByteSize: 0 bytes/workgroup (compile time only)
; SGPRBlocks: 0
; VGPRBlocks: 0
; NumSGPRsForWavesPerEU: 1
; NumVGPRsForWavesPerEU: 1
; Occupancy: 16
; WaveLimiterHint : 0
; COMPUTE_PGM_RSRC2:SCRATCH_EN: 0
; COMPUTE_PGM_RSRC2:USER_SGPR: 2
; COMPUTE_PGM_RSRC2:TRAP_HANDLER: 0
; COMPUTE_PGM_RSRC2:TGID_X_EN: 1
; COMPUTE_PGM_RSRC2:TGID_Y_EN: 0
; COMPUTE_PGM_RSRC2:TGID_Z_EN: 0
; COMPUTE_PGM_RSRC2:TIDIG_COMP_CNT: 0
	.section	.text._ZN7rocprim17ROCPRIM_400000_NS6detail17trampoline_kernelINS0_14default_configENS1_36segmented_radix_sort_config_selectorIhlEEZNS1_25segmented_radix_sort_implIS3_Lb0EPKhPhPKlPlN2at6native12_GLOBAL__N_18offset_tEEE10hipError_tPvRmT1_PNSt15iterator_traitsISK_E10value_typeET2_T3_PNSL_ISQ_E10value_typeET4_jRbjT5_SW_jjP12ihipStream_tbEUlT_E_NS1_11comp_targetILNS1_3genE8ELNS1_11target_archE1030ELNS1_3gpuE2ELNS1_3repE0EEENS1_30default_config_static_selectorELNS0_4arch9wavefront6targetE0EEEvSK_,"axG",@progbits,_ZN7rocprim17ROCPRIM_400000_NS6detail17trampoline_kernelINS0_14default_configENS1_36segmented_radix_sort_config_selectorIhlEEZNS1_25segmented_radix_sort_implIS3_Lb0EPKhPhPKlPlN2at6native12_GLOBAL__N_18offset_tEEE10hipError_tPvRmT1_PNSt15iterator_traitsISK_E10value_typeET2_T3_PNSL_ISQ_E10value_typeET4_jRbjT5_SW_jjP12ihipStream_tbEUlT_E_NS1_11comp_targetILNS1_3genE8ELNS1_11target_archE1030ELNS1_3gpuE2ELNS1_3repE0EEENS1_30default_config_static_selectorELNS0_4arch9wavefront6targetE0EEEvSK_,comdat
	.globl	_ZN7rocprim17ROCPRIM_400000_NS6detail17trampoline_kernelINS0_14default_configENS1_36segmented_radix_sort_config_selectorIhlEEZNS1_25segmented_radix_sort_implIS3_Lb0EPKhPhPKlPlN2at6native12_GLOBAL__N_18offset_tEEE10hipError_tPvRmT1_PNSt15iterator_traitsISK_E10value_typeET2_T3_PNSL_ISQ_E10value_typeET4_jRbjT5_SW_jjP12ihipStream_tbEUlT_E_NS1_11comp_targetILNS1_3genE8ELNS1_11target_archE1030ELNS1_3gpuE2ELNS1_3repE0EEENS1_30default_config_static_selectorELNS0_4arch9wavefront6targetE0EEEvSK_ ; -- Begin function _ZN7rocprim17ROCPRIM_400000_NS6detail17trampoline_kernelINS0_14default_configENS1_36segmented_radix_sort_config_selectorIhlEEZNS1_25segmented_radix_sort_implIS3_Lb0EPKhPhPKlPlN2at6native12_GLOBAL__N_18offset_tEEE10hipError_tPvRmT1_PNSt15iterator_traitsISK_E10value_typeET2_T3_PNSL_ISQ_E10value_typeET4_jRbjT5_SW_jjP12ihipStream_tbEUlT_E_NS1_11comp_targetILNS1_3genE8ELNS1_11target_archE1030ELNS1_3gpuE2ELNS1_3repE0EEENS1_30default_config_static_selectorELNS0_4arch9wavefront6targetE0EEEvSK_
	.p2align	8
	.type	_ZN7rocprim17ROCPRIM_400000_NS6detail17trampoline_kernelINS0_14default_configENS1_36segmented_radix_sort_config_selectorIhlEEZNS1_25segmented_radix_sort_implIS3_Lb0EPKhPhPKlPlN2at6native12_GLOBAL__N_18offset_tEEE10hipError_tPvRmT1_PNSt15iterator_traitsISK_E10value_typeET2_T3_PNSL_ISQ_E10value_typeET4_jRbjT5_SW_jjP12ihipStream_tbEUlT_E_NS1_11comp_targetILNS1_3genE8ELNS1_11target_archE1030ELNS1_3gpuE2ELNS1_3repE0EEENS1_30default_config_static_selectorELNS0_4arch9wavefront6targetE0EEEvSK_,@function
_ZN7rocprim17ROCPRIM_400000_NS6detail17trampoline_kernelINS0_14default_configENS1_36segmented_radix_sort_config_selectorIhlEEZNS1_25segmented_radix_sort_implIS3_Lb0EPKhPhPKlPlN2at6native12_GLOBAL__N_18offset_tEEE10hipError_tPvRmT1_PNSt15iterator_traitsISK_E10value_typeET2_T3_PNSL_ISQ_E10value_typeET4_jRbjT5_SW_jjP12ihipStream_tbEUlT_E_NS1_11comp_targetILNS1_3genE8ELNS1_11target_archE1030ELNS1_3gpuE2ELNS1_3repE0EEENS1_30default_config_static_selectorELNS0_4arch9wavefront6targetE0EEEvSK_: ; @_ZN7rocprim17ROCPRIM_400000_NS6detail17trampoline_kernelINS0_14default_configENS1_36segmented_radix_sort_config_selectorIhlEEZNS1_25segmented_radix_sort_implIS3_Lb0EPKhPhPKlPlN2at6native12_GLOBAL__N_18offset_tEEE10hipError_tPvRmT1_PNSt15iterator_traitsISK_E10value_typeET2_T3_PNSL_ISQ_E10value_typeET4_jRbjT5_SW_jjP12ihipStream_tbEUlT_E_NS1_11comp_targetILNS1_3genE8ELNS1_11target_archE1030ELNS1_3gpuE2ELNS1_3repE0EEENS1_30default_config_static_selectorELNS0_4arch9wavefront6targetE0EEEvSK_
; %bb.0:
	.section	.rodata,"a",@progbits
	.p2align	6, 0x0
	.amdhsa_kernel _ZN7rocprim17ROCPRIM_400000_NS6detail17trampoline_kernelINS0_14default_configENS1_36segmented_radix_sort_config_selectorIhlEEZNS1_25segmented_radix_sort_implIS3_Lb0EPKhPhPKlPlN2at6native12_GLOBAL__N_18offset_tEEE10hipError_tPvRmT1_PNSt15iterator_traitsISK_E10value_typeET2_T3_PNSL_ISQ_E10value_typeET4_jRbjT5_SW_jjP12ihipStream_tbEUlT_E_NS1_11comp_targetILNS1_3genE8ELNS1_11target_archE1030ELNS1_3gpuE2ELNS1_3repE0EEENS1_30default_config_static_selectorELNS0_4arch9wavefront6targetE0EEEvSK_
		.amdhsa_group_segment_fixed_size 0
		.amdhsa_private_segment_fixed_size 0
		.amdhsa_kernarg_size 96
		.amdhsa_user_sgpr_count 2
		.amdhsa_user_sgpr_dispatch_ptr 0
		.amdhsa_user_sgpr_queue_ptr 0
		.amdhsa_user_sgpr_kernarg_segment_ptr 1
		.amdhsa_user_sgpr_dispatch_id 0
		.amdhsa_user_sgpr_private_segment_size 0
		.amdhsa_wavefront_size32 1
		.amdhsa_uses_dynamic_stack 0
		.amdhsa_enable_private_segment 0
		.amdhsa_system_sgpr_workgroup_id_x 1
		.amdhsa_system_sgpr_workgroup_id_y 0
		.amdhsa_system_sgpr_workgroup_id_z 0
		.amdhsa_system_sgpr_workgroup_info 0
		.amdhsa_system_vgpr_workitem_id 0
		.amdhsa_next_free_vgpr 1
		.amdhsa_next_free_sgpr 1
		.amdhsa_reserve_vcc 0
		.amdhsa_float_round_mode_32 0
		.amdhsa_float_round_mode_16_64 0
		.amdhsa_float_denorm_mode_32 3
		.amdhsa_float_denorm_mode_16_64 3
		.amdhsa_fp16_overflow 0
		.amdhsa_workgroup_processor_mode 1
		.amdhsa_memory_ordered 1
		.amdhsa_forward_progress 1
		.amdhsa_inst_pref_size 0
		.amdhsa_round_robin_scheduling 0
		.amdhsa_exception_fp_ieee_invalid_op 0
		.amdhsa_exception_fp_denorm_src 0
		.amdhsa_exception_fp_ieee_div_zero 0
		.amdhsa_exception_fp_ieee_overflow 0
		.amdhsa_exception_fp_ieee_underflow 0
		.amdhsa_exception_fp_ieee_inexact 0
		.amdhsa_exception_int_div_zero 0
	.end_amdhsa_kernel
	.section	.text._ZN7rocprim17ROCPRIM_400000_NS6detail17trampoline_kernelINS0_14default_configENS1_36segmented_radix_sort_config_selectorIhlEEZNS1_25segmented_radix_sort_implIS3_Lb0EPKhPhPKlPlN2at6native12_GLOBAL__N_18offset_tEEE10hipError_tPvRmT1_PNSt15iterator_traitsISK_E10value_typeET2_T3_PNSL_ISQ_E10value_typeET4_jRbjT5_SW_jjP12ihipStream_tbEUlT_E_NS1_11comp_targetILNS1_3genE8ELNS1_11target_archE1030ELNS1_3gpuE2ELNS1_3repE0EEENS1_30default_config_static_selectorELNS0_4arch9wavefront6targetE0EEEvSK_,"axG",@progbits,_ZN7rocprim17ROCPRIM_400000_NS6detail17trampoline_kernelINS0_14default_configENS1_36segmented_radix_sort_config_selectorIhlEEZNS1_25segmented_radix_sort_implIS3_Lb0EPKhPhPKlPlN2at6native12_GLOBAL__N_18offset_tEEE10hipError_tPvRmT1_PNSt15iterator_traitsISK_E10value_typeET2_T3_PNSL_ISQ_E10value_typeET4_jRbjT5_SW_jjP12ihipStream_tbEUlT_E_NS1_11comp_targetILNS1_3genE8ELNS1_11target_archE1030ELNS1_3gpuE2ELNS1_3repE0EEENS1_30default_config_static_selectorELNS0_4arch9wavefront6targetE0EEEvSK_,comdat
.Lfunc_end195:
	.size	_ZN7rocprim17ROCPRIM_400000_NS6detail17trampoline_kernelINS0_14default_configENS1_36segmented_radix_sort_config_selectorIhlEEZNS1_25segmented_radix_sort_implIS3_Lb0EPKhPhPKlPlN2at6native12_GLOBAL__N_18offset_tEEE10hipError_tPvRmT1_PNSt15iterator_traitsISK_E10value_typeET2_T3_PNSL_ISQ_E10value_typeET4_jRbjT5_SW_jjP12ihipStream_tbEUlT_E_NS1_11comp_targetILNS1_3genE8ELNS1_11target_archE1030ELNS1_3gpuE2ELNS1_3repE0EEENS1_30default_config_static_selectorELNS0_4arch9wavefront6targetE0EEEvSK_, .Lfunc_end195-_ZN7rocprim17ROCPRIM_400000_NS6detail17trampoline_kernelINS0_14default_configENS1_36segmented_radix_sort_config_selectorIhlEEZNS1_25segmented_radix_sort_implIS3_Lb0EPKhPhPKlPlN2at6native12_GLOBAL__N_18offset_tEEE10hipError_tPvRmT1_PNSt15iterator_traitsISK_E10value_typeET2_T3_PNSL_ISQ_E10value_typeET4_jRbjT5_SW_jjP12ihipStream_tbEUlT_E_NS1_11comp_targetILNS1_3genE8ELNS1_11target_archE1030ELNS1_3gpuE2ELNS1_3repE0EEENS1_30default_config_static_selectorELNS0_4arch9wavefront6targetE0EEEvSK_
                                        ; -- End function
	.set _ZN7rocprim17ROCPRIM_400000_NS6detail17trampoline_kernelINS0_14default_configENS1_36segmented_radix_sort_config_selectorIhlEEZNS1_25segmented_radix_sort_implIS3_Lb0EPKhPhPKlPlN2at6native12_GLOBAL__N_18offset_tEEE10hipError_tPvRmT1_PNSt15iterator_traitsISK_E10value_typeET2_T3_PNSL_ISQ_E10value_typeET4_jRbjT5_SW_jjP12ihipStream_tbEUlT_E_NS1_11comp_targetILNS1_3genE8ELNS1_11target_archE1030ELNS1_3gpuE2ELNS1_3repE0EEENS1_30default_config_static_selectorELNS0_4arch9wavefront6targetE0EEEvSK_.num_vgpr, 0
	.set _ZN7rocprim17ROCPRIM_400000_NS6detail17trampoline_kernelINS0_14default_configENS1_36segmented_radix_sort_config_selectorIhlEEZNS1_25segmented_radix_sort_implIS3_Lb0EPKhPhPKlPlN2at6native12_GLOBAL__N_18offset_tEEE10hipError_tPvRmT1_PNSt15iterator_traitsISK_E10value_typeET2_T3_PNSL_ISQ_E10value_typeET4_jRbjT5_SW_jjP12ihipStream_tbEUlT_E_NS1_11comp_targetILNS1_3genE8ELNS1_11target_archE1030ELNS1_3gpuE2ELNS1_3repE0EEENS1_30default_config_static_selectorELNS0_4arch9wavefront6targetE0EEEvSK_.num_agpr, 0
	.set _ZN7rocprim17ROCPRIM_400000_NS6detail17trampoline_kernelINS0_14default_configENS1_36segmented_radix_sort_config_selectorIhlEEZNS1_25segmented_radix_sort_implIS3_Lb0EPKhPhPKlPlN2at6native12_GLOBAL__N_18offset_tEEE10hipError_tPvRmT1_PNSt15iterator_traitsISK_E10value_typeET2_T3_PNSL_ISQ_E10value_typeET4_jRbjT5_SW_jjP12ihipStream_tbEUlT_E_NS1_11comp_targetILNS1_3genE8ELNS1_11target_archE1030ELNS1_3gpuE2ELNS1_3repE0EEENS1_30default_config_static_selectorELNS0_4arch9wavefront6targetE0EEEvSK_.numbered_sgpr, 0
	.set _ZN7rocprim17ROCPRIM_400000_NS6detail17trampoline_kernelINS0_14default_configENS1_36segmented_radix_sort_config_selectorIhlEEZNS1_25segmented_radix_sort_implIS3_Lb0EPKhPhPKlPlN2at6native12_GLOBAL__N_18offset_tEEE10hipError_tPvRmT1_PNSt15iterator_traitsISK_E10value_typeET2_T3_PNSL_ISQ_E10value_typeET4_jRbjT5_SW_jjP12ihipStream_tbEUlT_E_NS1_11comp_targetILNS1_3genE8ELNS1_11target_archE1030ELNS1_3gpuE2ELNS1_3repE0EEENS1_30default_config_static_selectorELNS0_4arch9wavefront6targetE0EEEvSK_.num_named_barrier, 0
	.set _ZN7rocprim17ROCPRIM_400000_NS6detail17trampoline_kernelINS0_14default_configENS1_36segmented_radix_sort_config_selectorIhlEEZNS1_25segmented_radix_sort_implIS3_Lb0EPKhPhPKlPlN2at6native12_GLOBAL__N_18offset_tEEE10hipError_tPvRmT1_PNSt15iterator_traitsISK_E10value_typeET2_T3_PNSL_ISQ_E10value_typeET4_jRbjT5_SW_jjP12ihipStream_tbEUlT_E_NS1_11comp_targetILNS1_3genE8ELNS1_11target_archE1030ELNS1_3gpuE2ELNS1_3repE0EEENS1_30default_config_static_selectorELNS0_4arch9wavefront6targetE0EEEvSK_.private_seg_size, 0
	.set _ZN7rocprim17ROCPRIM_400000_NS6detail17trampoline_kernelINS0_14default_configENS1_36segmented_radix_sort_config_selectorIhlEEZNS1_25segmented_radix_sort_implIS3_Lb0EPKhPhPKlPlN2at6native12_GLOBAL__N_18offset_tEEE10hipError_tPvRmT1_PNSt15iterator_traitsISK_E10value_typeET2_T3_PNSL_ISQ_E10value_typeET4_jRbjT5_SW_jjP12ihipStream_tbEUlT_E_NS1_11comp_targetILNS1_3genE8ELNS1_11target_archE1030ELNS1_3gpuE2ELNS1_3repE0EEENS1_30default_config_static_selectorELNS0_4arch9wavefront6targetE0EEEvSK_.uses_vcc, 0
	.set _ZN7rocprim17ROCPRIM_400000_NS6detail17trampoline_kernelINS0_14default_configENS1_36segmented_radix_sort_config_selectorIhlEEZNS1_25segmented_radix_sort_implIS3_Lb0EPKhPhPKlPlN2at6native12_GLOBAL__N_18offset_tEEE10hipError_tPvRmT1_PNSt15iterator_traitsISK_E10value_typeET2_T3_PNSL_ISQ_E10value_typeET4_jRbjT5_SW_jjP12ihipStream_tbEUlT_E_NS1_11comp_targetILNS1_3genE8ELNS1_11target_archE1030ELNS1_3gpuE2ELNS1_3repE0EEENS1_30default_config_static_selectorELNS0_4arch9wavefront6targetE0EEEvSK_.uses_flat_scratch, 0
	.set _ZN7rocprim17ROCPRIM_400000_NS6detail17trampoline_kernelINS0_14default_configENS1_36segmented_radix_sort_config_selectorIhlEEZNS1_25segmented_radix_sort_implIS3_Lb0EPKhPhPKlPlN2at6native12_GLOBAL__N_18offset_tEEE10hipError_tPvRmT1_PNSt15iterator_traitsISK_E10value_typeET2_T3_PNSL_ISQ_E10value_typeET4_jRbjT5_SW_jjP12ihipStream_tbEUlT_E_NS1_11comp_targetILNS1_3genE8ELNS1_11target_archE1030ELNS1_3gpuE2ELNS1_3repE0EEENS1_30default_config_static_selectorELNS0_4arch9wavefront6targetE0EEEvSK_.has_dyn_sized_stack, 0
	.set _ZN7rocprim17ROCPRIM_400000_NS6detail17trampoline_kernelINS0_14default_configENS1_36segmented_radix_sort_config_selectorIhlEEZNS1_25segmented_radix_sort_implIS3_Lb0EPKhPhPKlPlN2at6native12_GLOBAL__N_18offset_tEEE10hipError_tPvRmT1_PNSt15iterator_traitsISK_E10value_typeET2_T3_PNSL_ISQ_E10value_typeET4_jRbjT5_SW_jjP12ihipStream_tbEUlT_E_NS1_11comp_targetILNS1_3genE8ELNS1_11target_archE1030ELNS1_3gpuE2ELNS1_3repE0EEENS1_30default_config_static_selectorELNS0_4arch9wavefront6targetE0EEEvSK_.has_recursion, 0
	.set _ZN7rocprim17ROCPRIM_400000_NS6detail17trampoline_kernelINS0_14default_configENS1_36segmented_radix_sort_config_selectorIhlEEZNS1_25segmented_radix_sort_implIS3_Lb0EPKhPhPKlPlN2at6native12_GLOBAL__N_18offset_tEEE10hipError_tPvRmT1_PNSt15iterator_traitsISK_E10value_typeET2_T3_PNSL_ISQ_E10value_typeET4_jRbjT5_SW_jjP12ihipStream_tbEUlT_E_NS1_11comp_targetILNS1_3genE8ELNS1_11target_archE1030ELNS1_3gpuE2ELNS1_3repE0EEENS1_30default_config_static_selectorELNS0_4arch9wavefront6targetE0EEEvSK_.has_indirect_call, 0
	.section	.AMDGPU.csdata,"",@progbits
; Kernel info:
; codeLenInByte = 0
; TotalNumSgprs: 0
; NumVgprs: 0
; ScratchSize: 0
; MemoryBound: 0
; FloatMode: 240
; IeeeMode: 1
; LDSByteSize: 0 bytes/workgroup (compile time only)
; SGPRBlocks: 0
; VGPRBlocks: 0
; NumSGPRsForWavesPerEU: 1
; NumVGPRsForWavesPerEU: 1
; Occupancy: 16
; WaveLimiterHint : 0
; COMPUTE_PGM_RSRC2:SCRATCH_EN: 0
; COMPUTE_PGM_RSRC2:USER_SGPR: 2
; COMPUTE_PGM_RSRC2:TRAP_HANDLER: 0
; COMPUTE_PGM_RSRC2:TGID_X_EN: 1
; COMPUTE_PGM_RSRC2:TGID_Y_EN: 0
; COMPUTE_PGM_RSRC2:TGID_Z_EN: 0
; COMPUTE_PGM_RSRC2:TIDIG_COMP_CNT: 0
	.section	.text._ZN7rocprim17ROCPRIM_400000_NS6detail17trampoline_kernelINS0_14default_configENS1_36segmented_radix_sort_config_selectorIhlEEZNS1_25segmented_radix_sort_implIS3_Lb0EPKhPhPKlPlN2at6native12_GLOBAL__N_18offset_tEEE10hipError_tPvRmT1_PNSt15iterator_traitsISK_E10value_typeET2_T3_PNSL_ISQ_E10value_typeET4_jRbjT5_SW_jjP12ihipStream_tbEUlT_E0_NS1_11comp_targetILNS1_3genE0ELNS1_11target_archE4294967295ELNS1_3gpuE0ELNS1_3repE0EEENS1_60segmented_radix_sort_warp_sort_medium_config_static_selectorELNS0_4arch9wavefront6targetE0EEEvSK_,"axG",@progbits,_ZN7rocprim17ROCPRIM_400000_NS6detail17trampoline_kernelINS0_14default_configENS1_36segmented_radix_sort_config_selectorIhlEEZNS1_25segmented_radix_sort_implIS3_Lb0EPKhPhPKlPlN2at6native12_GLOBAL__N_18offset_tEEE10hipError_tPvRmT1_PNSt15iterator_traitsISK_E10value_typeET2_T3_PNSL_ISQ_E10value_typeET4_jRbjT5_SW_jjP12ihipStream_tbEUlT_E0_NS1_11comp_targetILNS1_3genE0ELNS1_11target_archE4294967295ELNS1_3gpuE0ELNS1_3repE0EEENS1_60segmented_radix_sort_warp_sort_medium_config_static_selectorELNS0_4arch9wavefront6targetE0EEEvSK_,comdat
	.globl	_ZN7rocprim17ROCPRIM_400000_NS6detail17trampoline_kernelINS0_14default_configENS1_36segmented_radix_sort_config_selectorIhlEEZNS1_25segmented_radix_sort_implIS3_Lb0EPKhPhPKlPlN2at6native12_GLOBAL__N_18offset_tEEE10hipError_tPvRmT1_PNSt15iterator_traitsISK_E10value_typeET2_T3_PNSL_ISQ_E10value_typeET4_jRbjT5_SW_jjP12ihipStream_tbEUlT_E0_NS1_11comp_targetILNS1_3genE0ELNS1_11target_archE4294967295ELNS1_3gpuE0ELNS1_3repE0EEENS1_60segmented_radix_sort_warp_sort_medium_config_static_selectorELNS0_4arch9wavefront6targetE0EEEvSK_ ; -- Begin function _ZN7rocprim17ROCPRIM_400000_NS6detail17trampoline_kernelINS0_14default_configENS1_36segmented_radix_sort_config_selectorIhlEEZNS1_25segmented_radix_sort_implIS3_Lb0EPKhPhPKlPlN2at6native12_GLOBAL__N_18offset_tEEE10hipError_tPvRmT1_PNSt15iterator_traitsISK_E10value_typeET2_T3_PNSL_ISQ_E10value_typeET4_jRbjT5_SW_jjP12ihipStream_tbEUlT_E0_NS1_11comp_targetILNS1_3genE0ELNS1_11target_archE4294967295ELNS1_3gpuE0ELNS1_3repE0EEENS1_60segmented_radix_sort_warp_sort_medium_config_static_selectorELNS0_4arch9wavefront6targetE0EEEvSK_
	.p2align	8
	.type	_ZN7rocprim17ROCPRIM_400000_NS6detail17trampoline_kernelINS0_14default_configENS1_36segmented_radix_sort_config_selectorIhlEEZNS1_25segmented_radix_sort_implIS3_Lb0EPKhPhPKlPlN2at6native12_GLOBAL__N_18offset_tEEE10hipError_tPvRmT1_PNSt15iterator_traitsISK_E10value_typeET2_T3_PNSL_ISQ_E10value_typeET4_jRbjT5_SW_jjP12ihipStream_tbEUlT_E0_NS1_11comp_targetILNS1_3genE0ELNS1_11target_archE4294967295ELNS1_3gpuE0ELNS1_3repE0EEENS1_60segmented_radix_sort_warp_sort_medium_config_static_selectorELNS0_4arch9wavefront6targetE0EEEvSK_,@function
_ZN7rocprim17ROCPRIM_400000_NS6detail17trampoline_kernelINS0_14default_configENS1_36segmented_radix_sort_config_selectorIhlEEZNS1_25segmented_radix_sort_implIS3_Lb0EPKhPhPKlPlN2at6native12_GLOBAL__N_18offset_tEEE10hipError_tPvRmT1_PNSt15iterator_traitsISK_E10value_typeET2_T3_PNSL_ISQ_E10value_typeET4_jRbjT5_SW_jjP12ihipStream_tbEUlT_E0_NS1_11comp_targetILNS1_3genE0ELNS1_11target_archE4294967295ELNS1_3gpuE0ELNS1_3repE0EEENS1_60segmented_radix_sort_warp_sort_medium_config_static_selectorELNS0_4arch9wavefront6targetE0EEEvSK_: ; @_ZN7rocprim17ROCPRIM_400000_NS6detail17trampoline_kernelINS0_14default_configENS1_36segmented_radix_sort_config_selectorIhlEEZNS1_25segmented_radix_sort_implIS3_Lb0EPKhPhPKlPlN2at6native12_GLOBAL__N_18offset_tEEE10hipError_tPvRmT1_PNSt15iterator_traitsISK_E10value_typeET2_T3_PNSL_ISQ_E10value_typeET4_jRbjT5_SW_jjP12ihipStream_tbEUlT_E0_NS1_11comp_targetILNS1_3genE0ELNS1_11target_archE4294967295ELNS1_3gpuE0ELNS1_3repE0EEENS1_60segmented_radix_sort_warp_sort_medium_config_static_selectorELNS0_4arch9wavefront6targetE0EEEvSK_
; %bb.0:
	.section	.rodata,"a",@progbits
	.p2align	6, 0x0
	.amdhsa_kernel _ZN7rocprim17ROCPRIM_400000_NS6detail17trampoline_kernelINS0_14default_configENS1_36segmented_radix_sort_config_selectorIhlEEZNS1_25segmented_radix_sort_implIS3_Lb0EPKhPhPKlPlN2at6native12_GLOBAL__N_18offset_tEEE10hipError_tPvRmT1_PNSt15iterator_traitsISK_E10value_typeET2_T3_PNSL_ISQ_E10value_typeET4_jRbjT5_SW_jjP12ihipStream_tbEUlT_E0_NS1_11comp_targetILNS1_3genE0ELNS1_11target_archE4294967295ELNS1_3gpuE0ELNS1_3repE0EEENS1_60segmented_radix_sort_warp_sort_medium_config_static_selectorELNS0_4arch9wavefront6targetE0EEEvSK_
		.amdhsa_group_segment_fixed_size 0
		.amdhsa_private_segment_fixed_size 0
		.amdhsa_kernarg_size 88
		.amdhsa_user_sgpr_count 2
		.amdhsa_user_sgpr_dispatch_ptr 0
		.amdhsa_user_sgpr_queue_ptr 0
		.amdhsa_user_sgpr_kernarg_segment_ptr 1
		.amdhsa_user_sgpr_dispatch_id 0
		.amdhsa_user_sgpr_private_segment_size 0
		.amdhsa_wavefront_size32 1
		.amdhsa_uses_dynamic_stack 0
		.amdhsa_enable_private_segment 0
		.amdhsa_system_sgpr_workgroup_id_x 1
		.amdhsa_system_sgpr_workgroup_id_y 0
		.amdhsa_system_sgpr_workgroup_id_z 0
		.amdhsa_system_sgpr_workgroup_info 0
		.amdhsa_system_vgpr_workitem_id 0
		.amdhsa_next_free_vgpr 1
		.amdhsa_next_free_sgpr 1
		.amdhsa_reserve_vcc 0
		.amdhsa_float_round_mode_32 0
		.amdhsa_float_round_mode_16_64 0
		.amdhsa_float_denorm_mode_32 3
		.amdhsa_float_denorm_mode_16_64 3
		.amdhsa_fp16_overflow 0
		.amdhsa_workgroup_processor_mode 1
		.amdhsa_memory_ordered 1
		.amdhsa_forward_progress 1
		.amdhsa_inst_pref_size 0
		.amdhsa_round_robin_scheduling 0
		.amdhsa_exception_fp_ieee_invalid_op 0
		.amdhsa_exception_fp_denorm_src 0
		.amdhsa_exception_fp_ieee_div_zero 0
		.amdhsa_exception_fp_ieee_overflow 0
		.amdhsa_exception_fp_ieee_underflow 0
		.amdhsa_exception_fp_ieee_inexact 0
		.amdhsa_exception_int_div_zero 0
	.end_amdhsa_kernel
	.section	.text._ZN7rocprim17ROCPRIM_400000_NS6detail17trampoline_kernelINS0_14default_configENS1_36segmented_radix_sort_config_selectorIhlEEZNS1_25segmented_radix_sort_implIS3_Lb0EPKhPhPKlPlN2at6native12_GLOBAL__N_18offset_tEEE10hipError_tPvRmT1_PNSt15iterator_traitsISK_E10value_typeET2_T3_PNSL_ISQ_E10value_typeET4_jRbjT5_SW_jjP12ihipStream_tbEUlT_E0_NS1_11comp_targetILNS1_3genE0ELNS1_11target_archE4294967295ELNS1_3gpuE0ELNS1_3repE0EEENS1_60segmented_radix_sort_warp_sort_medium_config_static_selectorELNS0_4arch9wavefront6targetE0EEEvSK_,"axG",@progbits,_ZN7rocprim17ROCPRIM_400000_NS6detail17trampoline_kernelINS0_14default_configENS1_36segmented_radix_sort_config_selectorIhlEEZNS1_25segmented_radix_sort_implIS3_Lb0EPKhPhPKlPlN2at6native12_GLOBAL__N_18offset_tEEE10hipError_tPvRmT1_PNSt15iterator_traitsISK_E10value_typeET2_T3_PNSL_ISQ_E10value_typeET4_jRbjT5_SW_jjP12ihipStream_tbEUlT_E0_NS1_11comp_targetILNS1_3genE0ELNS1_11target_archE4294967295ELNS1_3gpuE0ELNS1_3repE0EEENS1_60segmented_radix_sort_warp_sort_medium_config_static_selectorELNS0_4arch9wavefront6targetE0EEEvSK_,comdat
.Lfunc_end196:
	.size	_ZN7rocprim17ROCPRIM_400000_NS6detail17trampoline_kernelINS0_14default_configENS1_36segmented_radix_sort_config_selectorIhlEEZNS1_25segmented_radix_sort_implIS3_Lb0EPKhPhPKlPlN2at6native12_GLOBAL__N_18offset_tEEE10hipError_tPvRmT1_PNSt15iterator_traitsISK_E10value_typeET2_T3_PNSL_ISQ_E10value_typeET4_jRbjT5_SW_jjP12ihipStream_tbEUlT_E0_NS1_11comp_targetILNS1_3genE0ELNS1_11target_archE4294967295ELNS1_3gpuE0ELNS1_3repE0EEENS1_60segmented_radix_sort_warp_sort_medium_config_static_selectorELNS0_4arch9wavefront6targetE0EEEvSK_, .Lfunc_end196-_ZN7rocprim17ROCPRIM_400000_NS6detail17trampoline_kernelINS0_14default_configENS1_36segmented_radix_sort_config_selectorIhlEEZNS1_25segmented_radix_sort_implIS3_Lb0EPKhPhPKlPlN2at6native12_GLOBAL__N_18offset_tEEE10hipError_tPvRmT1_PNSt15iterator_traitsISK_E10value_typeET2_T3_PNSL_ISQ_E10value_typeET4_jRbjT5_SW_jjP12ihipStream_tbEUlT_E0_NS1_11comp_targetILNS1_3genE0ELNS1_11target_archE4294967295ELNS1_3gpuE0ELNS1_3repE0EEENS1_60segmented_radix_sort_warp_sort_medium_config_static_selectorELNS0_4arch9wavefront6targetE0EEEvSK_
                                        ; -- End function
	.set _ZN7rocprim17ROCPRIM_400000_NS6detail17trampoline_kernelINS0_14default_configENS1_36segmented_radix_sort_config_selectorIhlEEZNS1_25segmented_radix_sort_implIS3_Lb0EPKhPhPKlPlN2at6native12_GLOBAL__N_18offset_tEEE10hipError_tPvRmT1_PNSt15iterator_traitsISK_E10value_typeET2_T3_PNSL_ISQ_E10value_typeET4_jRbjT5_SW_jjP12ihipStream_tbEUlT_E0_NS1_11comp_targetILNS1_3genE0ELNS1_11target_archE4294967295ELNS1_3gpuE0ELNS1_3repE0EEENS1_60segmented_radix_sort_warp_sort_medium_config_static_selectorELNS0_4arch9wavefront6targetE0EEEvSK_.num_vgpr, 0
	.set _ZN7rocprim17ROCPRIM_400000_NS6detail17trampoline_kernelINS0_14default_configENS1_36segmented_radix_sort_config_selectorIhlEEZNS1_25segmented_radix_sort_implIS3_Lb0EPKhPhPKlPlN2at6native12_GLOBAL__N_18offset_tEEE10hipError_tPvRmT1_PNSt15iterator_traitsISK_E10value_typeET2_T3_PNSL_ISQ_E10value_typeET4_jRbjT5_SW_jjP12ihipStream_tbEUlT_E0_NS1_11comp_targetILNS1_3genE0ELNS1_11target_archE4294967295ELNS1_3gpuE0ELNS1_3repE0EEENS1_60segmented_radix_sort_warp_sort_medium_config_static_selectorELNS0_4arch9wavefront6targetE0EEEvSK_.num_agpr, 0
	.set _ZN7rocprim17ROCPRIM_400000_NS6detail17trampoline_kernelINS0_14default_configENS1_36segmented_radix_sort_config_selectorIhlEEZNS1_25segmented_radix_sort_implIS3_Lb0EPKhPhPKlPlN2at6native12_GLOBAL__N_18offset_tEEE10hipError_tPvRmT1_PNSt15iterator_traitsISK_E10value_typeET2_T3_PNSL_ISQ_E10value_typeET4_jRbjT5_SW_jjP12ihipStream_tbEUlT_E0_NS1_11comp_targetILNS1_3genE0ELNS1_11target_archE4294967295ELNS1_3gpuE0ELNS1_3repE0EEENS1_60segmented_radix_sort_warp_sort_medium_config_static_selectorELNS0_4arch9wavefront6targetE0EEEvSK_.numbered_sgpr, 0
	.set _ZN7rocprim17ROCPRIM_400000_NS6detail17trampoline_kernelINS0_14default_configENS1_36segmented_radix_sort_config_selectorIhlEEZNS1_25segmented_radix_sort_implIS3_Lb0EPKhPhPKlPlN2at6native12_GLOBAL__N_18offset_tEEE10hipError_tPvRmT1_PNSt15iterator_traitsISK_E10value_typeET2_T3_PNSL_ISQ_E10value_typeET4_jRbjT5_SW_jjP12ihipStream_tbEUlT_E0_NS1_11comp_targetILNS1_3genE0ELNS1_11target_archE4294967295ELNS1_3gpuE0ELNS1_3repE0EEENS1_60segmented_radix_sort_warp_sort_medium_config_static_selectorELNS0_4arch9wavefront6targetE0EEEvSK_.num_named_barrier, 0
	.set _ZN7rocprim17ROCPRIM_400000_NS6detail17trampoline_kernelINS0_14default_configENS1_36segmented_radix_sort_config_selectorIhlEEZNS1_25segmented_radix_sort_implIS3_Lb0EPKhPhPKlPlN2at6native12_GLOBAL__N_18offset_tEEE10hipError_tPvRmT1_PNSt15iterator_traitsISK_E10value_typeET2_T3_PNSL_ISQ_E10value_typeET4_jRbjT5_SW_jjP12ihipStream_tbEUlT_E0_NS1_11comp_targetILNS1_3genE0ELNS1_11target_archE4294967295ELNS1_3gpuE0ELNS1_3repE0EEENS1_60segmented_radix_sort_warp_sort_medium_config_static_selectorELNS0_4arch9wavefront6targetE0EEEvSK_.private_seg_size, 0
	.set _ZN7rocprim17ROCPRIM_400000_NS6detail17trampoline_kernelINS0_14default_configENS1_36segmented_radix_sort_config_selectorIhlEEZNS1_25segmented_radix_sort_implIS3_Lb0EPKhPhPKlPlN2at6native12_GLOBAL__N_18offset_tEEE10hipError_tPvRmT1_PNSt15iterator_traitsISK_E10value_typeET2_T3_PNSL_ISQ_E10value_typeET4_jRbjT5_SW_jjP12ihipStream_tbEUlT_E0_NS1_11comp_targetILNS1_3genE0ELNS1_11target_archE4294967295ELNS1_3gpuE0ELNS1_3repE0EEENS1_60segmented_radix_sort_warp_sort_medium_config_static_selectorELNS0_4arch9wavefront6targetE0EEEvSK_.uses_vcc, 0
	.set _ZN7rocprim17ROCPRIM_400000_NS6detail17trampoline_kernelINS0_14default_configENS1_36segmented_radix_sort_config_selectorIhlEEZNS1_25segmented_radix_sort_implIS3_Lb0EPKhPhPKlPlN2at6native12_GLOBAL__N_18offset_tEEE10hipError_tPvRmT1_PNSt15iterator_traitsISK_E10value_typeET2_T3_PNSL_ISQ_E10value_typeET4_jRbjT5_SW_jjP12ihipStream_tbEUlT_E0_NS1_11comp_targetILNS1_3genE0ELNS1_11target_archE4294967295ELNS1_3gpuE0ELNS1_3repE0EEENS1_60segmented_radix_sort_warp_sort_medium_config_static_selectorELNS0_4arch9wavefront6targetE0EEEvSK_.uses_flat_scratch, 0
	.set _ZN7rocprim17ROCPRIM_400000_NS6detail17trampoline_kernelINS0_14default_configENS1_36segmented_radix_sort_config_selectorIhlEEZNS1_25segmented_radix_sort_implIS3_Lb0EPKhPhPKlPlN2at6native12_GLOBAL__N_18offset_tEEE10hipError_tPvRmT1_PNSt15iterator_traitsISK_E10value_typeET2_T3_PNSL_ISQ_E10value_typeET4_jRbjT5_SW_jjP12ihipStream_tbEUlT_E0_NS1_11comp_targetILNS1_3genE0ELNS1_11target_archE4294967295ELNS1_3gpuE0ELNS1_3repE0EEENS1_60segmented_radix_sort_warp_sort_medium_config_static_selectorELNS0_4arch9wavefront6targetE0EEEvSK_.has_dyn_sized_stack, 0
	.set _ZN7rocprim17ROCPRIM_400000_NS6detail17trampoline_kernelINS0_14default_configENS1_36segmented_radix_sort_config_selectorIhlEEZNS1_25segmented_radix_sort_implIS3_Lb0EPKhPhPKlPlN2at6native12_GLOBAL__N_18offset_tEEE10hipError_tPvRmT1_PNSt15iterator_traitsISK_E10value_typeET2_T3_PNSL_ISQ_E10value_typeET4_jRbjT5_SW_jjP12ihipStream_tbEUlT_E0_NS1_11comp_targetILNS1_3genE0ELNS1_11target_archE4294967295ELNS1_3gpuE0ELNS1_3repE0EEENS1_60segmented_radix_sort_warp_sort_medium_config_static_selectorELNS0_4arch9wavefront6targetE0EEEvSK_.has_recursion, 0
	.set _ZN7rocprim17ROCPRIM_400000_NS6detail17trampoline_kernelINS0_14default_configENS1_36segmented_radix_sort_config_selectorIhlEEZNS1_25segmented_radix_sort_implIS3_Lb0EPKhPhPKlPlN2at6native12_GLOBAL__N_18offset_tEEE10hipError_tPvRmT1_PNSt15iterator_traitsISK_E10value_typeET2_T3_PNSL_ISQ_E10value_typeET4_jRbjT5_SW_jjP12ihipStream_tbEUlT_E0_NS1_11comp_targetILNS1_3genE0ELNS1_11target_archE4294967295ELNS1_3gpuE0ELNS1_3repE0EEENS1_60segmented_radix_sort_warp_sort_medium_config_static_selectorELNS0_4arch9wavefront6targetE0EEEvSK_.has_indirect_call, 0
	.section	.AMDGPU.csdata,"",@progbits
; Kernel info:
; codeLenInByte = 0
; TotalNumSgprs: 0
; NumVgprs: 0
; ScratchSize: 0
; MemoryBound: 0
; FloatMode: 240
; IeeeMode: 1
; LDSByteSize: 0 bytes/workgroup (compile time only)
; SGPRBlocks: 0
; VGPRBlocks: 0
; NumSGPRsForWavesPerEU: 1
; NumVGPRsForWavesPerEU: 1
; Occupancy: 16
; WaveLimiterHint : 0
; COMPUTE_PGM_RSRC2:SCRATCH_EN: 0
; COMPUTE_PGM_RSRC2:USER_SGPR: 2
; COMPUTE_PGM_RSRC2:TRAP_HANDLER: 0
; COMPUTE_PGM_RSRC2:TGID_X_EN: 1
; COMPUTE_PGM_RSRC2:TGID_Y_EN: 0
; COMPUTE_PGM_RSRC2:TGID_Z_EN: 0
; COMPUTE_PGM_RSRC2:TIDIG_COMP_CNT: 0
	.section	.text._ZN7rocprim17ROCPRIM_400000_NS6detail17trampoline_kernelINS0_14default_configENS1_36segmented_radix_sort_config_selectorIhlEEZNS1_25segmented_radix_sort_implIS3_Lb0EPKhPhPKlPlN2at6native12_GLOBAL__N_18offset_tEEE10hipError_tPvRmT1_PNSt15iterator_traitsISK_E10value_typeET2_T3_PNSL_ISQ_E10value_typeET4_jRbjT5_SW_jjP12ihipStream_tbEUlT_E0_NS1_11comp_targetILNS1_3genE5ELNS1_11target_archE942ELNS1_3gpuE9ELNS1_3repE0EEENS1_60segmented_radix_sort_warp_sort_medium_config_static_selectorELNS0_4arch9wavefront6targetE0EEEvSK_,"axG",@progbits,_ZN7rocprim17ROCPRIM_400000_NS6detail17trampoline_kernelINS0_14default_configENS1_36segmented_radix_sort_config_selectorIhlEEZNS1_25segmented_radix_sort_implIS3_Lb0EPKhPhPKlPlN2at6native12_GLOBAL__N_18offset_tEEE10hipError_tPvRmT1_PNSt15iterator_traitsISK_E10value_typeET2_T3_PNSL_ISQ_E10value_typeET4_jRbjT5_SW_jjP12ihipStream_tbEUlT_E0_NS1_11comp_targetILNS1_3genE5ELNS1_11target_archE942ELNS1_3gpuE9ELNS1_3repE0EEENS1_60segmented_radix_sort_warp_sort_medium_config_static_selectorELNS0_4arch9wavefront6targetE0EEEvSK_,comdat
	.globl	_ZN7rocprim17ROCPRIM_400000_NS6detail17trampoline_kernelINS0_14default_configENS1_36segmented_radix_sort_config_selectorIhlEEZNS1_25segmented_radix_sort_implIS3_Lb0EPKhPhPKlPlN2at6native12_GLOBAL__N_18offset_tEEE10hipError_tPvRmT1_PNSt15iterator_traitsISK_E10value_typeET2_T3_PNSL_ISQ_E10value_typeET4_jRbjT5_SW_jjP12ihipStream_tbEUlT_E0_NS1_11comp_targetILNS1_3genE5ELNS1_11target_archE942ELNS1_3gpuE9ELNS1_3repE0EEENS1_60segmented_radix_sort_warp_sort_medium_config_static_selectorELNS0_4arch9wavefront6targetE0EEEvSK_ ; -- Begin function _ZN7rocprim17ROCPRIM_400000_NS6detail17trampoline_kernelINS0_14default_configENS1_36segmented_radix_sort_config_selectorIhlEEZNS1_25segmented_radix_sort_implIS3_Lb0EPKhPhPKlPlN2at6native12_GLOBAL__N_18offset_tEEE10hipError_tPvRmT1_PNSt15iterator_traitsISK_E10value_typeET2_T3_PNSL_ISQ_E10value_typeET4_jRbjT5_SW_jjP12ihipStream_tbEUlT_E0_NS1_11comp_targetILNS1_3genE5ELNS1_11target_archE942ELNS1_3gpuE9ELNS1_3repE0EEENS1_60segmented_radix_sort_warp_sort_medium_config_static_selectorELNS0_4arch9wavefront6targetE0EEEvSK_
	.p2align	8
	.type	_ZN7rocprim17ROCPRIM_400000_NS6detail17trampoline_kernelINS0_14default_configENS1_36segmented_radix_sort_config_selectorIhlEEZNS1_25segmented_radix_sort_implIS3_Lb0EPKhPhPKlPlN2at6native12_GLOBAL__N_18offset_tEEE10hipError_tPvRmT1_PNSt15iterator_traitsISK_E10value_typeET2_T3_PNSL_ISQ_E10value_typeET4_jRbjT5_SW_jjP12ihipStream_tbEUlT_E0_NS1_11comp_targetILNS1_3genE5ELNS1_11target_archE942ELNS1_3gpuE9ELNS1_3repE0EEENS1_60segmented_radix_sort_warp_sort_medium_config_static_selectorELNS0_4arch9wavefront6targetE0EEEvSK_,@function
_ZN7rocprim17ROCPRIM_400000_NS6detail17trampoline_kernelINS0_14default_configENS1_36segmented_radix_sort_config_selectorIhlEEZNS1_25segmented_radix_sort_implIS3_Lb0EPKhPhPKlPlN2at6native12_GLOBAL__N_18offset_tEEE10hipError_tPvRmT1_PNSt15iterator_traitsISK_E10value_typeET2_T3_PNSL_ISQ_E10value_typeET4_jRbjT5_SW_jjP12ihipStream_tbEUlT_E0_NS1_11comp_targetILNS1_3genE5ELNS1_11target_archE942ELNS1_3gpuE9ELNS1_3repE0EEENS1_60segmented_radix_sort_warp_sort_medium_config_static_selectorELNS0_4arch9wavefront6targetE0EEEvSK_: ; @_ZN7rocprim17ROCPRIM_400000_NS6detail17trampoline_kernelINS0_14default_configENS1_36segmented_radix_sort_config_selectorIhlEEZNS1_25segmented_radix_sort_implIS3_Lb0EPKhPhPKlPlN2at6native12_GLOBAL__N_18offset_tEEE10hipError_tPvRmT1_PNSt15iterator_traitsISK_E10value_typeET2_T3_PNSL_ISQ_E10value_typeET4_jRbjT5_SW_jjP12ihipStream_tbEUlT_E0_NS1_11comp_targetILNS1_3genE5ELNS1_11target_archE942ELNS1_3gpuE9ELNS1_3repE0EEENS1_60segmented_radix_sort_warp_sort_medium_config_static_selectorELNS0_4arch9wavefront6targetE0EEEvSK_
; %bb.0:
	.section	.rodata,"a",@progbits
	.p2align	6, 0x0
	.amdhsa_kernel _ZN7rocprim17ROCPRIM_400000_NS6detail17trampoline_kernelINS0_14default_configENS1_36segmented_radix_sort_config_selectorIhlEEZNS1_25segmented_radix_sort_implIS3_Lb0EPKhPhPKlPlN2at6native12_GLOBAL__N_18offset_tEEE10hipError_tPvRmT1_PNSt15iterator_traitsISK_E10value_typeET2_T3_PNSL_ISQ_E10value_typeET4_jRbjT5_SW_jjP12ihipStream_tbEUlT_E0_NS1_11comp_targetILNS1_3genE5ELNS1_11target_archE942ELNS1_3gpuE9ELNS1_3repE0EEENS1_60segmented_radix_sort_warp_sort_medium_config_static_selectorELNS0_4arch9wavefront6targetE0EEEvSK_
		.amdhsa_group_segment_fixed_size 0
		.amdhsa_private_segment_fixed_size 0
		.amdhsa_kernarg_size 88
		.amdhsa_user_sgpr_count 2
		.amdhsa_user_sgpr_dispatch_ptr 0
		.amdhsa_user_sgpr_queue_ptr 0
		.amdhsa_user_sgpr_kernarg_segment_ptr 1
		.amdhsa_user_sgpr_dispatch_id 0
		.amdhsa_user_sgpr_private_segment_size 0
		.amdhsa_wavefront_size32 1
		.amdhsa_uses_dynamic_stack 0
		.amdhsa_enable_private_segment 0
		.amdhsa_system_sgpr_workgroup_id_x 1
		.amdhsa_system_sgpr_workgroup_id_y 0
		.amdhsa_system_sgpr_workgroup_id_z 0
		.amdhsa_system_sgpr_workgroup_info 0
		.amdhsa_system_vgpr_workitem_id 0
		.amdhsa_next_free_vgpr 1
		.amdhsa_next_free_sgpr 1
		.amdhsa_reserve_vcc 0
		.amdhsa_float_round_mode_32 0
		.amdhsa_float_round_mode_16_64 0
		.amdhsa_float_denorm_mode_32 3
		.amdhsa_float_denorm_mode_16_64 3
		.amdhsa_fp16_overflow 0
		.amdhsa_workgroup_processor_mode 1
		.amdhsa_memory_ordered 1
		.amdhsa_forward_progress 1
		.amdhsa_inst_pref_size 0
		.amdhsa_round_robin_scheduling 0
		.amdhsa_exception_fp_ieee_invalid_op 0
		.amdhsa_exception_fp_denorm_src 0
		.amdhsa_exception_fp_ieee_div_zero 0
		.amdhsa_exception_fp_ieee_overflow 0
		.amdhsa_exception_fp_ieee_underflow 0
		.amdhsa_exception_fp_ieee_inexact 0
		.amdhsa_exception_int_div_zero 0
	.end_amdhsa_kernel
	.section	.text._ZN7rocprim17ROCPRIM_400000_NS6detail17trampoline_kernelINS0_14default_configENS1_36segmented_radix_sort_config_selectorIhlEEZNS1_25segmented_radix_sort_implIS3_Lb0EPKhPhPKlPlN2at6native12_GLOBAL__N_18offset_tEEE10hipError_tPvRmT1_PNSt15iterator_traitsISK_E10value_typeET2_T3_PNSL_ISQ_E10value_typeET4_jRbjT5_SW_jjP12ihipStream_tbEUlT_E0_NS1_11comp_targetILNS1_3genE5ELNS1_11target_archE942ELNS1_3gpuE9ELNS1_3repE0EEENS1_60segmented_radix_sort_warp_sort_medium_config_static_selectorELNS0_4arch9wavefront6targetE0EEEvSK_,"axG",@progbits,_ZN7rocprim17ROCPRIM_400000_NS6detail17trampoline_kernelINS0_14default_configENS1_36segmented_radix_sort_config_selectorIhlEEZNS1_25segmented_radix_sort_implIS3_Lb0EPKhPhPKlPlN2at6native12_GLOBAL__N_18offset_tEEE10hipError_tPvRmT1_PNSt15iterator_traitsISK_E10value_typeET2_T3_PNSL_ISQ_E10value_typeET4_jRbjT5_SW_jjP12ihipStream_tbEUlT_E0_NS1_11comp_targetILNS1_3genE5ELNS1_11target_archE942ELNS1_3gpuE9ELNS1_3repE0EEENS1_60segmented_radix_sort_warp_sort_medium_config_static_selectorELNS0_4arch9wavefront6targetE0EEEvSK_,comdat
.Lfunc_end197:
	.size	_ZN7rocprim17ROCPRIM_400000_NS6detail17trampoline_kernelINS0_14default_configENS1_36segmented_radix_sort_config_selectorIhlEEZNS1_25segmented_radix_sort_implIS3_Lb0EPKhPhPKlPlN2at6native12_GLOBAL__N_18offset_tEEE10hipError_tPvRmT1_PNSt15iterator_traitsISK_E10value_typeET2_T3_PNSL_ISQ_E10value_typeET4_jRbjT5_SW_jjP12ihipStream_tbEUlT_E0_NS1_11comp_targetILNS1_3genE5ELNS1_11target_archE942ELNS1_3gpuE9ELNS1_3repE0EEENS1_60segmented_radix_sort_warp_sort_medium_config_static_selectorELNS0_4arch9wavefront6targetE0EEEvSK_, .Lfunc_end197-_ZN7rocprim17ROCPRIM_400000_NS6detail17trampoline_kernelINS0_14default_configENS1_36segmented_radix_sort_config_selectorIhlEEZNS1_25segmented_radix_sort_implIS3_Lb0EPKhPhPKlPlN2at6native12_GLOBAL__N_18offset_tEEE10hipError_tPvRmT1_PNSt15iterator_traitsISK_E10value_typeET2_T3_PNSL_ISQ_E10value_typeET4_jRbjT5_SW_jjP12ihipStream_tbEUlT_E0_NS1_11comp_targetILNS1_3genE5ELNS1_11target_archE942ELNS1_3gpuE9ELNS1_3repE0EEENS1_60segmented_radix_sort_warp_sort_medium_config_static_selectorELNS0_4arch9wavefront6targetE0EEEvSK_
                                        ; -- End function
	.set _ZN7rocprim17ROCPRIM_400000_NS6detail17trampoline_kernelINS0_14default_configENS1_36segmented_radix_sort_config_selectorIhlEEZNS1_25segmented_radix_sort_implIS3_Lb0EPKhPhPKlPlN2at6native12_GLOBAL__N_18offset_tEEE10hipError_tPvRmT1_PNSt15iterator_traitsISK_E10value_typeET2_T3_PNSL_ISQ_E10value_typeET4_jRbjT5_SW_jjP12ihipStream_tbEUlT_E0_NS1_11comp_targetILNS1_3genE5ELNS1_11target_archE942ELNS1_3gpuE9ELNS1_3repE0EEENS1_60segmented_radix_sort_warp_sort_medium_config_static_selectorELNS0_4arch9wavefront6targetE0EEEvSK_.num_vgpr, 0
	.set _ZN7rocprim17ROCPRIM_400000_NS6detail17trampoline_kernelINS0_14default_configENS1_36segmented_radix_sort_config_selectorIhlEEZNS1_25segmented_radix_sort_implIS3_Lb0EPKhPhPKlPlN2at6native12_GLOBAL__N_18offset_tEEE10hipError_tPvRmT1_PNSt15iterator_traitsISK_E10value_typeET2_T3_PNSL_ISQ_E10value_typeET4_jRbjT5_SW_jjP12ihipStream_tbEUlT_E0_NS1_11comp_targetILNS1_3genE5ELNS1_11target_archE942ELNS1_3gpuE9ELNS1_3repE0EEENS1_60segmented_radix_sort_warp_sort_medium_config_static_selectorELNS0_4arch9wavefront6targetE0EEEvSK_.num_agpr, 0
	.set _ZN7rocprim17ROCPRIM_400000_NS6detail17trampoline_kernelINS0_14default_configENS1_36segmented_radix_sort_config_selectorIhlEEZNS1_25segmented_radix_sort_implIS3_Lb0EPKhPhPKlPlN2at6native12_GLOBAL__N_18offset_tEEE10hipError_tPvRmT1_PNSt15iterator_traitsISK_E10value_typeET2_T3_PNSL_ISQ_E10value_typeET4_jRbjT5_SW_jjP12ihipStream_tbEUlT_E0_NS1_11comp_targetILNS1_3genE5ELNS1_11target_archE942ELNS1_3gpuE9ELNS1_3repE0EEENS1_60segmented_radix_sort_warp_sort_medium_config_static_selectorELNS0_4arch9wavefront6targetE0EEEvSK_.numbered_sgpr, 0
	.set _ZN7rocprim17ROCPRIM_400000_NS6detail17trampoline_kernelINS0_14default_configENS1_36segmented_radix_sort_config_selectorIhlEEZNS1_25segmented_radix_sort_implIS3_Lb0EPKhPhPKlPlN2at6native12_GLOBAL__N_18offset_tEEE10hipError_tPvRmT1_PNSt15iterator_traitsISK_E10value_typeET2_T3_PNSL_ISQ_E10value_typeET4_jRbjT5_SW_jjP12ihipStream_tbEUlT_E0_NS1_11comp_targetILNS1_3genE5ELNS1_11target_archE942ELNS1_3gpuE9ELNS1_3repE0EEENS1_60segmented_radix_sort_warp_sort_medium_config_static_selectorELNS0_4arch9wavefront6targetE0EEEvSK_.num_named_barrier, 0
	.set _ZN7rocprim17ROCPRIM_400000_NS6detail17trampoline_kernelINS0_14default_configENS1_36segmented_radix_sort_config_selectorIhlEEZNS1_25segmented_radix_sort_implIS3_Lb0EPKhPhPKlPlN2at6native12_GLOBAL__N_18offset_tEEE10hipError_tPvRmT1_PNSt15iterator_traitsISK_E10value_typeET2_T3_PNSL_ISQ_E10value_typeET4_jRbjT5_SW_jjP12ihipStream_tbEUlT_E0_NS1_11comp_targetILNS1_3genE5ELNS1_11target_archE942ELNS1_3gpuE9ELNS1_3repE0EEENS1_60segmented_radix_sort_warp_sort_medium_config_static_selectorELNS0_4arch9wavefront6targetE0EEEvSK_.private_seg_size, 0
	.set _ZN7rocprim17ROCPRIM_400000_NS6detail17trampoline_kernelINS0_14default_configENS1_36segmented_radix_sort_config_selectorIhlEEZNS1_25segmented_radix_sort_implIS3_Lb0EPKhPhPKlPlN2at6native12_GLOBAL__N_18offset_tEEE10hipError_tPvRmT1_PNSt15iterator_traitsISK_E10value_typeET2_T3_PNSL_ISQ_E10value_typeET4_jRbjT5_SW_jjP12ihipStream_tbEUlT_E0_NS1_11comp_targetILNS1_3genE5ELNS1_11target_archE942ELNS1_3gpuE9ELNS1_3repE0EEENS1_60segmented_radix_sort_warp_sort_medium_config_static_selectorELNS0_4arch9wavefront6targetE0EEEvSK_.uses_vcc, 0
	.set _ZN7rocprim17ROCPRIM_400000_NS6detail17trampoline_kernelINS0_14default_configENS1_36segmented_radix_sort_config_selectorIhlEEZNS1_25segmented_radix_sort_implIS3_Lb0EPKhPhPKlPlN2at6native12_GLOBAL__N_18offset_tEEE10hipError_tPvRmT1_PNSt15iterator_traitsISK_E10value_typeET2_T3_PNSL_ISQ_E10value_typeET4_jRbjT5_SW_jjP12ihipStream_tbEUlT_E0_NS1_11comp_targetILNS1_3genE5ELNS1_11target_archE942ELNS1_3gpuE9ELNS1_3repE0EEENS1_60segmented_radix_sort_warp_sort_medium_config_static_selectorELNS0_4arch9wavefront6targetE0EEEvSK_.uses_flat_scratch, 0
	.set _ZN7rocprim17ROCPRIM_400000_NS6detail17trampoline_kernelINS0_14default_configENS1_36segmented_radix_sort_config_selectorIhlEEZNS1_25segmented_radix_sort_implIS3_Lb0EPKhPhPKlPlN2at6native12_GLOBAL__N_18offset_tEEE10hipError_tPvRmT1_PNSt15iterator_traitsISK_E10value_typeET2_T3_PNSL_ISQ_E10value_typeET4_jRbjT5_SW_jjP12ihipStream_tbEUlT_E0_NS1_11comp_targetILNS1_3genE5ELNS1_11target_archE942ELNS1_3gpuE9ELNS1_3repE0EEENS1_60segmented_radix_sort_warp_sort_medium_config_static_selectorELNS0_4arch9wavefront6targetE0EEEvSK_.has_dyn_sized_stack, 0
	.set _ZN7rocprim17ROCPRIM_400000_NS6detail17trampoline_kernelINS0_14default_configENS1_36segmented_radix_sort_config_selectorIhlEEZNS1_25segmented_radix_sort_implIS3_Lb0EPKhPhPKlPlN2at6native12_GLOBAL__N_18offset_tEEE10hipError_tPvRmT1_PNSt15iterator_traitsISK_E10value_typeET2_T3_PNSL_ISQ_E10value_typeET4_jRbjT5_SW_jjP12ihipStream_tbEUlT_E0_NS1_11comp_targetILNS1_3genE5ELNS1_11target_archE942ELNS1_3gpuE9ELNS1_3repE0EEENS1_60segmented_radix_sort_warp_sort_medium_config_static_selectorELNS0_4arch9wavefront6targetE0EEEvSK_.has_recursion, 0
	.set _ZN7rocprim17ROCPRIM_400000_NS6detail17trampoline_kernelINS0_14default_configENS1_36segmented_radix_sort_config_selectorIhlEEZNS1_25segmented_radix_sort_implIS3_Lb0EPKhPhPKlPlN2at6native12_GLOBAL__N_18offset_tEEE10hipError_tPvRmT1_PNSt15iterator_traitsISK_E10value_typeET2_T3_PNSL_ISQ_E10value_typeET4_jRbjT5_SW_jjP12ihipStream_tbEUlT_E0_NS1_11comp_targetILNS1_3genE5ELNS1_11target_archE942ELNS1_3gpuE9ELNS1_3repE0EEENS1_60segmented_radix_sort_warp_sort_medium_config_static_selectorELNS0_4arch9wavefront6targetE0EEEvSK_.has_indirect_call, 0
	.section	.AMDGPU.csdata,"",@progbits
; Kernel info:
; codeLenInByte = 0
; TotalNumSgprs: 0
; NumVgprs: 0
; ScratchSize: 0
; MemoryBound: 0
; FloatMode: 240
; IeeeMode: 1
; LDSByteSize: 0 bytes/workgroup (compile time only)
; SGPRBlocks: 0
; VGPRBlocks: 0
; NumSGPRsForWavesPerEU: 1
; NumVGPRsForWavesPerEU: 1
; Occupancy: 16
; WaveLimiterHint : 0
; COMPUTE_PGM_RSRC2:SCRATCH_EN: 0
; COMPUTE_PGM_RSRC2:USER_SGPR: 2
; COMPUTE_PGM_RSRC2:TRAP_HANDLER: 0
; COMPUTE_PGM_RSRC2:TGID_X_EN: 1
; COMPUTE_PGM_RSRC2:TGID_Y_EN: 0
; COMPUTE_PGM_RSRC2:TGID_Z_EN: 0
; COMPUTE_PGM_RSRC2:TIDIG_COMP_CNT: 0
	.section	.text._ZN7rocprim17ROCPRIM_400000_NS6detail17trampoline_kernelINS0_14default_configENS1_36segmented_radix_sort_config_selectorIhlEEZNS1_25segmented_radix_sort_implIS3_Lb0EPKhPhPKlPlN2at6native12_GLOBAL__N_18offset_tEEE10hipError_tPvRmT1_PNSt15iterator_traitsISK_E10value_typeET2_T3_PNSL_ISQ_E10value_typeET4_jRbjT5_SW_jjP12ihipStream_tbEUlT_E0_NS1_11comp_targetILNS1_3genE4ELNS1_11target_archE910ELNS1_3gpuE8ELNS1_3repE0EEENS1_60segmented_radix_sort_warp_sort_medium_config_static_selectorELNS0_4arch9wavefront6targetE0EEEvSK_,"axG",@progbits,_ZN7rocprim17ROCPRIM_400000_NS6detail17trampoline_kernelINS0_14default_configENS1_36segmented_radix_sort_config_selectorIhlEEZNS1_25segmented_radix_sort_implIS3_Lb0EPKhPhPKlPlN2at6native12_GLOBAL__N_18offset_tEEE10hipError_tPvRmT1_PNSt15iterator_traitsISK_E10value_typeET2_T3_PNSL_ISQ_E10value_typeET4_jRbjT5_SW_jjP12ihipStream_tbEUlT_E0_NS1_11comp_targetILNS1_3genE4ELNS1_11target_archE910ELNS1_3gpuE8ELNS1_3repE0EEENS1_60segmented_radix_sort_warp_sort_medium_config_static_selectorELNS0_4arch9wavefront6targetE0EEEvSK_,comdat
	.globl	_ZN7rocprim17ROCPRIM_400000_NS6detail17trampoline_kernelINS0_14default_configENS1_36segmented_radix_sort_config_selectorIhlEEZNS1_25segmented_radix_sort_implIS3_Lb0EPKhPhPKlPlN2at6native12_GLOBAL__N_18offset_tEEE10hipError_tPvRmT1_PNSt15iterator_traitsISK_E10value_typeET2_T3_PNSL_ISQ_E10value_typeET4_jRbjT5_SW_jjP12ihipStream_tbEUlT_E0_NS1_11comp_targetILNS1_3genE4ELNS1_11target_archE910ELNS1_3gpuE8ELNS1_3repE0EEENS1_60segmented_radix_sort_warp_sort_medium_config_static_selectorELNS0_4arch9wavefront6targetE0EEEvSK_ ; -- Begin function _ZN7rocprim17ROCPRIM_400000_NS6detail17trampoline_kernelINS0_14default_configENS1_36segmented_radix_sort_config_selectorIhlEEZNS1_25segmented_radix_sort_implIS3_Lb0EPKhPhPKlPlN2at6native12_GLOBAL__N_18offset_tEEE10hipError_tPvRmT1_PNSt15iterator_traitsISK_E10value_typeET2_T3_PNSL_ISQ_E10value_typeET4_jRbjT5_SW_jjP12ihipStream_tbEUlT_E0_NS1_11comp_targetILNS1_3genE4ELNS1_11target_archE910ELNS1_3gpuE8ELNS1_3repE0EEENS1_60segmented_radix_sort_warp_sort_medium_config_static_selectorELNS0_4arch9wavefront6targetE0EEEvSK_
	.p2align	8
	.type	_ZN7rocprim17ROCPRIM_400000_NS6detail17trampoline_kernelINS0_14default_configENS1_36segmented_radix_sort_config_selectorIhlEEZNS1_25segmented_radix_sort_implIS3_Lb0EPKhPhPKlPlN2at6native12_GLOBAL__N_18offset_tEEE10hipError_tPvRmT1_PNSt15iterator_traitsISK_E10value_typeET2_T3_PNSL_ISQ_E10value_typeET4_jRbjT5_SW_jjP12ihipStream_tbEUlT_E0_NS1_11comp_targetILNS1_3genE4ELNS1_11target_archE910ELNS1_3gpuE8ELNS1_3repE0EEENS1_60segmented_radix_sort_warp_sort_medium_config_static_selectorELNS0_4arch9wavefront6targetE0EEEvSK_,@function
_ZN7rocprim17ROCPRIM_400000_NS6detail17trampoline_kernelINS0_14default_configENS1_36segmented_radix_sort_config_selectorIhlEEZNS1_25segmented_radix_sort_implIS3_Lb0EPKhPhPKlPlN2at6native12_GLOBAL__N_18offset_tEEE10hipError_tPvRmT1_PNSt15iterator_traitsISK_E10value_typeET2_T3_PNSL_ISQ_E10value_typeET4_jRbjT5_SW_jjP12ihipStream_tbEUlT_E0_NS1_11comp_targetILNS1_3genE4ELNS1_11target_archE910ELNS1_3gpuE8ELNS1_3repE0EEENS1_60segmented_radix_sort_warp_sort_medium_config_static_selectorELNS0_4arch9wavefront6targetE0EEEvSK_: ; @_ZN7rocprim17ROCPRIM_400000_NS6detail17trampoline_kernelINS0_14default_configENS1_36segmented_radix_sort_config_selectorIhlEEZNS1_25segmented_radix_sort_implIS3_Lb0EPKhPhPKlPlN2at6native12_GLOBAL__N_18offset_tEEE10hipError_tPvRmT1_PNSt15iterator_traitsISK_E10value_typeET2_T3_PNSL_ISQ_E10value_typeET4_jRbjT5_SW_jjP12ihipStream_tbEUlT_E0_NS1_11comp_targetILNS1_3genE4ELNS1_11target_archE910ELNS1_3gpuE8ELNS1_3repE0EEENS1_60segmented_radix_sort_warp_sort_medium_config_static_selectorELNS0_4arch9wavefront6targetE0EEEvSK_
; %bb.0:
	.section	.rodata,"a",@progbits
	.p2align	6, 0x0
	.amdhsa_kernel _ZN7rocprim17ROCPRIM_400000_NS6detail17trampoline_kernelINS0_14default_configENS1_36segmented_radix_sort_config_selectorIhlEEZNS1_25segmented_radix_sort_implIS3_Lb0EPKhPhPKlPlN2at6native12_GLOBAL__N_18offset_tEEE10hipError_tPvRmT1_PNSt15iterator_traitsISK_E10value_typeET2_T3_PNSL_ISQ_E10value_typeET4_jRbjT5_SW_jjP12ihipStream_tbEUlT_E0_NS1_11comp_targetILNS1_3genE4ELNS1_11target_archE910ELNS1_3gpuE8ELNS1_3repE0EEENS1_60segmented_radix_sort_warp_sort_medium_config_static_selectorELNS0_4arch9wavefront6targetE0EEEvSK_
		.amdhsa_group_segment_fixed_size 0
		.amdhsa_private_segment_fixed_size 0
		.amdhsa_kernarg_size 88
		.amdhsa_user_sgpr_count 2
		.amdhsa_user_sgpr_dispatch_ptr 0
		.amdhsa_user_sgpr_queue_ptr 0
		.amdhsa_user_sgpr_kernarg_segment_ptr 1
		.amdhsa_user_sgpr_dispatch_id 0
		.amdhsa_user_sgpr_private_segment_size 0
		.amdhsa_wavefront_size32 1
		.amdhsa_uses_dynamic_stack 0
		.amdhsa_enable_private_segment 0
		.amdhsa_system_sgpr_workgroup_id_x 1
		.amdhsa_system_sgpr_workgroup_id_y 0
		.amdhsa_system_sgpr_workgroup_id_z 0
		.amdhsa_system_sgpr_workgroup_info 0
		.amdhsa_system_vgpr_workitem_id 0
		.amdhsa_next_free_vgpr 1
		.amdhsa_next_free_sgpr 1
		.amdhsa_reserve_vcc 0
		.amdhsa_float_round_mode_32 0
		.amdhsa_float_round_mode_16_64 0
		.amdhsa_float_denorm_mode_32 3
		.amdhsa_float_denorm_mode_16_64 3
		.amdhsa_fp16_overflow 0
		.amdhsa_workgroup_processor_mode 1
		.amdhsa_memory_ordered 1
		.amdhsa_forward_progress 1
		.amdhsa_inst_pref_size 0
		.amdhsa_round_robin_scheduling 0
		.amdhsa_exception_fp_ieee_invalid_op 0
		.amdhsa_exception_fp_denorm_src 0
		.amdhsa_exception_fp_ieee_div_zero 0
		.amdhsa_exception_fp_ieee_overflow 0
		.amdhsa_exception_fp_ieee_underflow 0
		.amdhsa_exception_fp_ieee_inexact 0
		.amdhsa_exception_int_div_zero 0
	.end_amdhsa_kernel
	.section	.text._ZN7rocprim17ROCPRIM_400000_NS6detail17trampoline_kernelINS0_14default_configENS1_36segmented_radix_sort_config_selectorIhlEEZNS1_25segmented_radix_sort_implIS3_Lb0EPKhPhPKlPlN2at6native12_GLOBAL__N_18offset_tEEE10hipError_tPvRmT1_PNSt15iterator_traitsISK_E10value_typeET2_T3_PNSL_ISQ_E10value_typeET4_jRbjT5_SW_jjP12ihipStream_tbEUlT_E0_NS1_11comp_targetILNS1_3genE4ELNS1_11target_archE910ELNS1_3gpuE8ELNS1_3repE0EEENS1_60segmented_radix_sort_warp_sort_medium_config_static_selectorELNS0_4arch9wavefront6targetE0EEEvSK_,"axG",@progbits,_ZN7rocprim17ROCPRIM_400000_NS6detail17trampoline_kernelINS0_14default_configENS1_36segmented_radix_sort_config_selectorIhlEEZNS1_25segmented_radix_sort_implIS3_Lb0EPKhPhPKlPlN2at6native12_GLOBAL__N_18offset_tEEE10hipError_tPvRmT1_PNSt15iterator_traitsISK_E10value_typeET2_T3_PNSL_ISQ_E10value_typeET4_jRbjT5_SW_jjP12ihipStream_tbEUlT_E0_NS1_11comp_targetILNS1_3genE4ELNS1_11target_archE910ELNS1_3gpuE8ELNS1_3repE0EEENS1_60segmented_radix_sort_warp_sort_medium_config_static_selectorELNS0_4arch9wavefront6targetE0EEEvSK_,comdat
.Lfunc_end198:
	.size	_ZN7rocprim17ROCPRIM_400000_NS6detail17trampoline_kernelINS0_14default_configENS1_36segmented_radix_sort_config_selectorIhlEEZNS1_25segmented_radix_sort_implIS3_Lb0EPKhPhPKlPlN2at6native12_GLOBAL__N_18offset_tEEE10hipError_tPvRmT1_PNSt15iterator_traitsISK_E10value_typeET2_T3_PNSL_ISQ_E10value_typeET4_jRbjT5_SW_jjP12ihipStream_tbEUlT_E0_NS1_11comp_targetILNS1_3genE4ELNS1_11target_archE910ELNS1_3gpuE8ELNS1_3repE0EEENS1_60segmented_radix_sort_warp_sort_medium_config_static_selectorELNS0_4arch9wavefront6targetE0EEEvSK_, .Lfunc_end198-_ZN7rocprim17ROCPRIM_400000_NS6detail17trampoline_kernelINS0_14default_configENS1_36segmented_radix_sort_config_selectorIhlEEZNS1_25segmented_radix_sort_implIS3_Lb0EPKhPhPKlPlN2at6native12_GLOBAL__N_18offset_tEEE10hipError_tPvRmT1_PNSt15iterator_traitsISK_E10value_typeET2_T3_PNSL_ISQ_E10value_typeET4_jRbjT5_SW_jjP12ihipStream_tbEUlT_E0_NS1_11comp_targetILNS1_3genE4ELNS1_11target_archE910ELNS1_3gpuE8ELNS1_3repE0EEENS1_60segmented_radix_sort_warp_sort_medium_config_static_selectorELNS0_4arch9wavefront6targetE0EEEvSK_
                                        ; -- End function
	.set _ZN7rocprim17ROCPRIM_400000_NS6detail17trampoline_kernelINS0_14default_configENS1_36segmented_radix_sort_config_selectorIhlEEZNS1_25segmented_radix_sort_implIS3_Lb0EPKhPhPKlPlN2at6native12_GLOBAL__N_18offset_tEEE10hipError_tPvRmT1_PNSt15iterator_traitsISK_E10value_typeET2_T3_PNSL_ISQ_E10value_typeET4_jRbjT5_SW_jjP12ihipStream_tbEUlT_E0_NS1_11comp_targetILNS1_3genE4ELNS1_11target_archE910ELNS1_3gpuE8ELNS1_3repE0EEENS1_60segmented_radix_sort_warp_sort_medium_config_static_selectorELNS0_4arch9wavefront6targetE0EEEvSK_.num_vgpr, 0
	.set _ZN7rocprim17ROCPRIM_400000_NS6detail17trampoline_kernelINS0_14default_configENS1_36segmented_radix_sort_config_selectorIhlEEZNS1_25segmented_radix_sort_implIS3_Lb0EPKhPhPKlPlN2at6native12_GLOBAL__N_18offset_tEEE10hipError_tPvRmT1_PNSt15iterator_traitsISK_E10value_typeET2_T3_PNSL_ISQ_E10value_typeET4_jRbjT5_SW_jjP12ihipStream_tbEUlT_E0_NS1_11comp_targetILNS1_3genE4ELNS1_11target_archE910ELNS1_3gpuE8ELNS1_3repE0EEENS1_60segmented_radix_sort_warp_sort_medium_config_static_selectorELNS0_4arch9wavefront6targetE0EEEvSK_.num_agpr, 0
	.set _ZN7rocprim17ROCPRIM_400000_NS6detail17trampoline_kernelINS0_14default_configENS1_36segmented_radix_sort_config_selectorIhlEEZNS1_25segmented_radix_sort_implIS3_Lb0EPKhPhPKlPlN2at6native12_GLOBAL__N_18offset_tEEE10hipError_tPvRmT1_PNSt15iterator_traitsISK_E10value_typeET2_T3_PNSL_ISQ_E10value_typeET4_jRbjT5_SW_jjP12ihipStream_tbEUlT_E0_NS1_11comp_targetILNS1_3genE4ELNS1_11target_archE910ELNS1_3gpuE8ELNS1_3repE0EEENS1_60segmented_radix_sort_warp_sort_medium_config_static_selectorELNS0_4arch9wavefront6targetE0EEEvSK_.numbered_sgpr, 0
	.set _ZN7rocprim17ROCPRIM_400000_NS6detail17trampoline_kernelINS0_14default_configENS1_36segmented_radix_sort_config_selectorIhlEEZNS1_25segmented_radix_sort_implIS3_Lb0EPKhPhPKlPlN2at6native12_GLOBAL__N_18offset_tEEE10hipError_tPvRmT1_PNSt15iterator_traitsISK_E10value_typeET2_T3_PNSL_ISQ_E10value_typeET4_jRbjT5_SW_jjP12ihipStream_tbEUlT_E0_NS1_11comp_targetILNS1_3genE4ELNS1_11target_archE910ELNS1_3gpuE8ELNS1_3repE0EEENS1_60segmented_radix_sort_warp_sort_medium_config_static_selectorELNS0_4arch9wavefront6targetE0EEEvSK_.num_named_barrier, 0
	.set _ZN7rocprim17ROCPRIM_400000_NS6detail17trampoline_kernelINS0_14default_configENS1_36segmented_radix_sort_config_selectorIhlEEZNS1_25segmented_radix_sort_implIS3_Lb0EPKhPhPKlPlN2at6native12_GLOBAL__N_18offset_tEEE10hipError_tPvRmT1_PNSt15iterator_traitsISK_E10value_typeET2_T3_PNSL_ISQ_E10value_typeET4_jRbjT5_SW_jjP12ihipStream_tbEUlT_E0_NS1_11comp_targetILNS1_3genE4ELNS1_11target_archE910ELNS1_3gpuE8ELNS1_3repE0EEENS1_60segmented_radix_sort_warp_sort_medium_config_static_selectorELNS0_4arch9wavefront6targetE0EEEvSK_.private_seg_size, 0
	.set _ZN7rocprim17ROCPRIM_400000_NS6detail17trampoline_kernelINS0_14default_configENS1_36segmented_radix_sort_config_selectorIhlEEZNS1_25segmented_radix_sort_implIS3_Lb0EPKhPhPKlPlN2at6native12_GLOBAL__N_18offset_tEEE10hipError_tPvRmT1_PNSt15iterator_traitsISK_E10value_typeET2_T3_PNSL_ISQ_E10value_typeET4_jRbjT5_SW_jjP12ihipStream_tbEUlT_E0_NS1_11comp_targetILNS1_3genE4ELNS1_11target_archE910ELNS1_3gpuE8ELNS1_3repE0EEENS1_60segmented_radix_sort_warp_sort_medium_config_static_selectorELNS0_4arch9wavefront6targetE0EEEvSK_.uses_vcc, 0
	.set _ZN7rocprim17ROCPRIM_400000_NS6detail17trampoline_kernelINS0_14default_configENS1_36segmented_radix_sort_config_selectorIhlEEZNS1_25segmented_radix_sort_implIS3_Lb0EPKhPhPKlPlN2at6native12_GLOBAL__N_18offset_tEEE10hipError_tPvRmT1_PNSt15iterator_traitsISK_E10value_typeET2_T3_PNSL_ISQ_E10value_typeET4_jRbjT5_SW_jjP12ihipStream_tbEUlT_E0_NS1_11comp_targetILNS1_3genE4ELNS1_11target_archE910ELNS1_3gpuE8ELNS1_3repE0EEENS1_60segmented_radix_sort_warp_sort_medium_config_static_selectorELNS0_4arch9wavefront6targetE0EEEvSK_.uses_flat_scratch, 0
	.set _ZN7rocprim17ROCPRIM_400000_NS6detail17trampoline_kernelINS0_14default_configENS1_36segmented_radix_sort_config_selectorIhlEEZNS1_25segmented_radix_sort_implIS3_Lb0EPKhPhPKlPlN2at6native12_GLOBAL__N_18offset_tEEE10hipError_tPvRmT1_PNSt15iterator_traitsISK_E10value_typeET2_T3_PNSL_ISQ_E10value_typeET4_jRbjT5_SW_jjP12ihipStream_tbEUlT_E0_NS1_11comp_targetILNS1_3genE4ELNS1_11target_archE910ELNS1_3gpuE8ELNS1_3repE0EEENS1_60segmented_radix_sort_warp_sort_medium_config_static_selectorELNS0_4arch9wavefront6targetE0EEEvSK_.has_dyn_sized_stack, 0
	.set _ZN7rocprim17ROCPRIM_400000_NS6detail17trampoline_kernelINS0_14default_configENS1_36segmented_radix_sort_config_selectorIhlEEZNS1_25segmented_radix_sort_implIS3_Lb0EPKhPhPKlPlN2at6native12_GLOBAL__N_18offset_tEEE10hipError_tPvRmT1_PNSt15iterator_traitsISK_E10value_typeET2_T3_PNSL_ISQ_E10value_typeET4_jRbjT5_SW_jjP12ihipStream_tbEUlT_E0_NS1_11comp_targetILNS1_3genE4ELNS1_11target_archE910ELNS1_3gpuE8ELNS1_3repE0EEENS1_60segmented_radix_sort_warp_sort_medium_config_static_selectorELNS0_4arch9wavefront6targetE0EEEvSK_.has_recursion, 0
	.set _ZN7rocprim17ROCPRIM_400000_NS6detail17trampoline_kernelINS0_14default_configENS1_36segmented_radix_sort_config_selectorIhlEEZNS1_25segmented_radix_sort_implIS3_Lb0EPKhPhPKlPlN2at6native12_GLOBAL__N_18offset_tEEE10hipError_tPvRmT1_PNSt15iterator_traitsISK_E10value_typeET2_T3_PNSL_ISQ_E10value_typeET4_jRbjT5_SW_jjP12ihipStream_tbEUlT_E0_NS1_11comp_targetILNS1_3genE4ELNS1_11target_archE910ELNS1_3gpuE8ELNS1_3repE0EEENS1_60segmented_radix_sort_warp_sort_medium_config_static_selectorELNS0_4arch9wavefront6targetE0EEEvSK_.has_indirect_call, 0
	.section	.AMDGPU.csdata,"",@progbits
; Kernel info:
; codeLenInByte = 0
; TotalNumSgprs: 0
; NumVgprs: 0
; ScratchSize: 0
; MemoryBound: 0
; FloatMode: 240
; IeeeMode: 1
; LDSByteSize: 0 bytes/workgroup (compile time only)
; SGPRBlocks: 0
; VGPRBlocks: 0
; NumSGPRsForWavesPerEU: 1
; NumVGPRsForWavesPerEU: 1
; Occupancy: 16
; WaveLimiterHint : 0
; COMPUTE_PGM_RSRC2:SCRATCH_EN: 0
; COMPUTE_PGM_RSRC2:USER_SGPR: 2
; COMPUTE_PGM_RSRC2:TRAP_HANDLER: 0
; COMPUTE_PGM_RSRC2:TGID_X_EN: 1
; COMPUTE_PGM_RSRC2:TGID_Y_EN: 0
; COMPUTE_PGM_RSRC2:TGID_Z_EN: 0
; COMPUTE_PGM_RSRC2:TIDIG_COMP_CNT: 0
	.section	.text._ZN7rocprim17ROCPRIM_400000_NS6detail17trampoline_kernelINS0_14default_configENS1_36segmented_radix_sort_config_selectorIhlEEZNS1_25segmented_radix_sort_implIS3_Lb0EPKhPhPKlPlN2at6native12_GLOBAL__N_18offset_tEEE10hipError_tPvRmT1_PNSt15iterator_traitsISK_E10value_typeET2_T3_PNSL_ISQ_E10value_typeET4_jRbjT5_SW_jjP12ihipStream_tbEUlT_E0_NS1_11comp_targetILNS1_3genE3ELNS1_11target_archE908ELNS1_3gpuE7ELNS1_3repE0EEENS1_60segmented_radix_sort_warp_sort_medium_config_static_selectorELNS0_4arch9wavefront6targetE0EEEvSK_,"axG",@progbits,_ZN7rocprim17ROCPRIM_400000_NS6detail17trampoline_kernelINS0_14default_configENS1_36segmented_radix_sort_config_selectorIhlEEZNS1_25segmented_radix_sort_implIS3_Lb0EPKhPhPKlPlN2at6native12_GLOBAL__N_18offset_tEEE10hipError_tPvRmT1_PNSt15iterator_traitsISK_E10value_typeET2_T3_PNSL_ISQ_E10value_typeET4_jRbjT5_SW_jjP12ihipStream_tbEUlT_E0_NS1_11comp_targetILNS1_3genE3ELNS1_11target_archE908ELNS1_3gpuE7ELNS1_3repE0EEENS1_60segmented_radix_sort_warp_sort_medium_config_static_selectorELNS0_4arch9wavefront6targetE0EEEvSK_,comdat
	.globl	_ZN7rocprim17ROCPRIM_400000_NS6detail17trampoline_kernelINS0_14default_configENS1_36segmented_radix_sort_config_selectorIhlEEZNS1_25segmented_radix_sort_implIS3_Lb0EPKhPhPKlPlN2at6native12_GLOBAL__N_18offset_tEEE10hipError_tPvRmT1_PNSt15iterator_traitsISK_E10value_typeET2_T3_PNSL_ISQ_E10value_typeET4_jRbjT5_SW_jjP12ihipStream_tbEUlT_E0_NS1_11comp_targetILNS1_3genE3ELNS1_11target_archE908ELNS1_3gpuE7ELNS1_3repE0EEENS1_60segmented_radix_sort_warp_sort_medium_config_static_selectorELNS0_4arch9wavefront6targetE0EEEvSK_ ; -- Begin function _ZN7rocprim17ROCPRIM_400000_NS6detail17trampoline_kernelINS0_14default_configENS1_36segmented_radix_sort_config_selectorIhlEEZNS1_25segmented_radix_sort_implIS3_Lb0EPKhPhPKlPlN2at6native12_GLOBAL__N_18offset_tEEE10hipError_tPvRmT1_PNSt15iterator_traitsISK_E10value_typeET2_T3_PNSL_ISQ_E10value_typeET4_jRbjT5_SW_jjP12ihipStream_tbEUlT_E0_NS1_11comp_targetILNS1_3genE3ELNS1_11target_archE908ELNS1_3gpuE7ELNS1_3repE0EEENS1_60segmented_radix_sort_warp_sort_medium_config_static_selectorELNS0_4arch9wavefront6targetE0EEEvSK_
	.p2align	8
	.type	_ZN7rocprim17ROCPRIM_400000_NS6detail17trampoline_kernelINS0_14default_configENS1_36segmented_radix_sort_config_selectorIhlEEZNS1_25segmented_radix_sort_implIS3_Lb0EPKhPhPKlPlN2at6native12_GLOBAL__N_18offset_tEEE10hipError_tPvRmT1_PNSt15iterator_traitsISK_E10value_typeET2_T3_PNSL_ISQ_E10value_typeET4_jRbjT5_SW_jjP12ihipStream_tbEUlT_E0_NS1_11comp_targetILNS1_3genE3ELNS1_11target_archE908ELNS1_3gpuE7ELNS1_3repE0EEENS1_60segmented_radix_sort_warp_sort_medium_config_static_selectorELNS0_4arch9wavefront6targetE0EEEvSK_,@function
_ZN7rocprim17ROCPRIM_400000_NS6detail17trampoline_kernelINS0_14default_configENS1_36segmented_radix_sort_config_selectorIhlEEZNS1_25segmented_radix_sort_implIS3_Lb0EPKhPhPKlPlN2at6native12_GLOBAL__N_18offset_tEEE10hipError_tPvRmT1_PNSt15iterator_traitsISK_E10value_typeET2_T3_PNSL_ISQ_E10value_typeET4_jRbjT5_SW_jjP12ihipStream_tbEUlT_E0_NS1_11comp_targetILNS1_3genE3ELNS1_11target_archE908ELNS1_3gpuE7ELNS1_3repE0EEENS1_60segmented_radix_sort_warp_sort_medium_config_static_selectorELNS0_4arch9wavefront6targetE0EEEvSK_: ; @_ZN7rocprim17ROCPRIM_400000_NS6detail17trampoline_kernelINS0_14default_configENS1_36segmented_radix_sort_config_selectorIhlEEZNS1_25segmented_radix_sort_implIS3_Lb0EPKhPhPKlPlN2at6native12_GLOBAL__N_18offset_tEEE10hipError_tPvRmT1_PNSt15iterator_traitsISK_E10value_typeET2_T3_PNSL_ISQ_E10value_typeET4_jRbjT5_SW_jjP12ihipStream_tbEUlT_E0_NS1_11comp_targetILNS1_3genE3ELNS1_11target_archE908ELNS1_3gpuE7ELNS1_3repE0EEENS1_60segmented_radix_sort_warp_sort_medium_config_static_selectorELNS0_4arch9wavefront6targetE0EEEvSK_
; %bb.0:
	.section	.rodata,"a",@progbits
	.p2align	6, 0x0
	.amdhsa_kernel _ZN7rocprim17ROCPRIM_400000_NS6detail17trampoline_kernelINS0_14default_configENS1_36segmented_radix_sort_config_selectorIhlEEZNS1_25segmented_radix_sort_implIS3_Lb0EPKhPhPKlPlN2at6native12_GLOBAL__N_18offset_tEEE10hipError_tPvRmT1_PNSt15iterator_traitsISK_E10value_typeET2_T3_PNSL_ISQ_E10value_typeET4_jRbjT5_SW_jjP12ihipStream_tbEUlT_E0_NS1_11comp_targetILNS1_3genE3ELNS1_11target_archE908ELNS1_3gpuE7ELNS1_3repE0EEENS1_60segmented_radix_sort_warp_sort_medium_config_static_selectorELNS0_4arch9wavefront6targetE0EEEvSK_
		.amdhsa_group_segment_fixed_size 0
		.amdhsa_private_segment_fixed_size 0
		.amdhsa_kernarg_size 88
		.amdhsa_user_sgpr_count 2
		.amdhsa_user_sgpr_dispatch_ptr 0
		.amdhsa_user_sgpr_queue_ptr 0
		.amdhsa_user_sgpr_kernarg_segment_ptr 1
		.amdhsa_user_sgpr_dispatch_id 0
		.amdhsa_user_sgpr_private_segment_size 0
		.amdhsa_wavefront_size32 1
		.amdhsa_uses_dynamic_stack 0
		.amdhsa_enable_private_segment 0
		.amdhsa_system_sgpr_workgroup_id_x 1
		.amdhsa_system_sgpr_workgroup_id_y 0
		.amdhsa_system_sgpr_workgroup_id_z 0
		.amdhsa_system_sgpr_workgroup_info 0
		.amdhsa_system_vgpr_workitem_id 0
		.amdhsa_next_free_vgpr 1
		.amdhsa_next_free_sgpr 1
		.amdhsa_reserve_vcc 0
		.amdhsa_float_round_mode_32 0
		.amdhsa_float_round_mode_16_64 0
		.amdhsa_float_denorm_mode_32 3
		.amdhsa_float_denorm_mode_16_64 3
		.amdhsa_fp16_overflow 0
		.amdhsa_workgroup_processor_mode 1
		.amdhsa_memory_ordered 1
		.amdhsa_forward_progress 1
		.amdhsa_inst_pref_size 0
		.amdhsa_round_robin_scheduling 0
		.amdhsa_exception_fp_ieee_invalid_op 0
		.amdhsa_exception_fp_denorm_src 0
		.amdhsa_exception_fp_ieee_div_zero 0
		.amdhsa_exception_fp_ieee_overflow 0
		.amdhsa_exception_fp_ieee_underflow 0
		.amdhsa_exception_fp_ieee_inexact 0
		.amdhsa_exception_int_div_zero 0
	.end_amdhsa_kernel
	.section	.text._ZN7rocprim17ROCPRIM_400000_NS6detail17trampoline_kernelINS0_14default_configENS1_36segmented_radix_sort_config_selectorIhlEEZNS1_25segmented_radix_sort_implIS3_Lb0EPKhPhPKlPlN2at6native12_GLOBAL__N_18offset_tEEE10hipError_tPvRmT1_PNSt15iterator_traitsISK_E10value_typeET2_T3_PNSL_ISQ_E10value_typeET4_jRbjT5_SW_jjP12ihipStream_tbEUlT_E0_NS1_11comp_targetILNS1_3genE3ELNS1_11target_archE908ELNS1_3gpuE7ELNS1_3repE0EEENS1_60segmented_radix_sort_warp_sort_medium_config_static_selectorELNS0_4arch9wavefront6targetE0EEEvSK_,"axG",@progbits,_ZN7rocprim17ROCPRIM_400000_NS6detail17trampoline_kernelINS0_14default_configENS1_36segmented_radix_sort_config_selectorIhlEEZNS1_25segmented_radix_sort_implIS3_Lb0EPKhPhPKlPlN2at6native12_GLOBAL__N_18offset_tEEE10hipError_tPvRmT1_PNSt15iterator_traitsISK_E10value_typeET2_T3_PNSL_ISQ_E10value_typeET4_jRbjT5_SW_jjP12ihipStream_tbEUlT_E0_NS1_11comp_targetILNS1_3genE3ELNS1_11target_archE908ELNS1_3gpuE7ELNS1_3repE0EEENS1_60segmented_radix_sort_warp_sort_medium_config_static_selectorELNS0_4arch9wavefront6targetE0EEEvSK_,comdat
.Lfunc_end199:
	.size	_ZN7rocprim17ROCPRIM_400000_NS6detail17trampoline_kernelINS0_14default_configENS1_36segmented_radix_sort_config_selectorIhlEEZNS1_25segmented_radix_sort_implIS3_Lb0EPKhPhPKlPlN2at6native12_GLOBAL__N_18offset_tEEE10hipError_tPvRmT1_PNSt15iterator_traitsISK_E10value_typeET2_T3_PNSL_ISQ_E10value_typeET4_jRbjT5_SW_jjP12ihipStream_tbEUlT_E0_NS1_11comp_targetILNS1_3genE3ELNS1_11target_archE908ELNS1_3gpuE7ELNS1_3repE0EEENS1_60segmented_radix_sort_warp_sort_medium_config_static_selectorELNS0_4arch9wavefront6targetE0EEEvSK_, .Lfunc_end199-_ZN7rocprim17ROCPRIM_400000_NS6detail17trampoline_kernelINS0_14default_configENS1_36segmented_radix_sort_config_selectorIhlEEZNS1_25segmented_radix_sort_implIS3_Lb0EPKhPhPKlPlN2at6native12_GLOBAL__N_18offset_tEEE10hipError_tPvRmT1_PNSt15iterator_traitsISK_E10value_typeET2_T3_PNSL_ISQ_E10value_typeET4_jRbjT5_SW_jjP12ihipStream_tbEUlT_E0_NS1_11comp_targetILNS1_3genE3ELNS1_11target_archE908ELNS1_3gpuE7ELNS1_3repE0EEENS1_60segmented_radix_sort_warp_sort_medium_config_static_selectorELNS0_4arch9wavefront6targetE0EEEvSK_
                                        ; -- End function
	.set _ZN7rocprim17ROCPRIM_400000_NS6detail17trampoline_kernelINS0_14default_configENS1_36segmented_radix_sort_config_selectorIhlEEZNS1_25segmented_radix_sort_implIS3_Lb0EPKhPhPKlPlN2at6native12_GLOBAL__N_18offset_tEEE10hipError_tPvRmT1_PNSt15iterator_traitsISK_E10value_typeET2_T3_PNSL_ISQ_E10value_typeET4_jRbjT5_SW_jjP12ihipStream_tbEUlT_E0_NS1_11comp_targetILNS1_3genE3ELNS1_11target_archE908ELNS1_3gpuE7ELNS1_3repE0EEENS1_60segmented_radix_sort_warp_sort_medium_config_static_selectorELNS0_4arch9wavefront6targetE0EEEvSK_.num_vgpr, 0
	.set _ZN7rocprim17ROCPRIM_400000_NS6detail17trampoline_kernelINS0_14default_configENS1_36segmented_radix_sort_config_selectorIhlEEZNS1_25segmented_radix_sort_implIS3_Lb0EPKhPhPKlPlN2at6native12_GLOBAL__N_18offset_tEEE10hipError_tPvRmT1_PNSt15iterator_traitsISK_E10value_typeET2_T3_PNSL_ISQ_E10value_typeET4_jRbjT5_SW_jjP12ihipStream_tbEUlT_E0_NS1_11comp_targetILNS1_3genE3ELNS1_11target_archE908ELNS1_3gpuE7ELNS1_3repE0EEENS1_60segmented_radix_sort_warp_sort_medium_config_static_selectorELNS0_4arch9wavefront6targetE0EEEvSK_.num_agpr, 0
	.set _ZN7rocprim17ROCPRIM_400000_NS6detail17trampoline_kernelINS0_14default_configENS1_36segmented_radix_sort_config_selectorIhlEEZNS1_25segmented_radix_sort_implIS3_Lb0EPKhPhPKlPlN2at6native12_GLOBAL__N_18offset_tEEE10hipError_tPvRmT1_PNSt15iterator_traitsISK_E10value_typeET2_T3_PNSL_ISQ_E10value_typeET4_jRbjT5_SW_jjP12ihipStream_tbEUlT_E0_NS1_11comp_targetILNS1_3genE3ELNS1_11target_archE908ELNS1_3gpuE7ELNS1_3repE0EEENS1_60segmented_radix_sort_warp_sort_medium_config_static_selectorELNS0_4arch9wavefront6targetE0EEEvSK_.numbered_sgpr, 0
	.set _ZN7rocprim17ROCPRIM_400000_NS6detail17trampoline_kernelINS0_14default_configENS1_36segmented_radix_sort_config_selectorIhlEEZNS1_25segmented_radix_sort_implIS3_Lb0EPKhPhPKlPlN2at6native12_GLOBAL__N_18offset_tEEE10hipError_tPvRmT1_PNSt15iterator_traitsISK_E10value_typeET2_T3_PNSL_ISQ_E10value_typeET4_jRbjT5_SW_jjP12ihipStream_tbEUlT_E0_NS1_11comp_targetILNS1_3genE3ELNS1_11target_archE908ELNS1_3gpuE7ELNS1_3repE0EEENS1_60segmented_radix_sort_warp_sort_medium_config_static_selectorELNS0_4arch9wavefront6targetE0EEEvSK_.num_named_barrier, 0
	.set _ZN7rocprim17ROCPRIM_400000_NS6detail17trampoline_kernelINS0_14default_configENS1_36segmented_radix_sort_config_selectorIhlEEZNS1_25segmented_radix_sort_implIS3_Lb0EPKhPhPKlPlN2at6native12_GLOBAL__N_18offset_tEEE10hipError_tPvRmT1_PNSt15iterator_traitsISK_E10value_typeET2_T3_PNSL_ISQ_E10value_typeET4_jRbjT5_SW_jjP12ihipStream_tbEUlT_E0_NS1_11comp_targetILNS1_3genE3ELNS1_11target_archE908ELNS1_3gpuE7ELNS1_3repE0EEENS1_60segmented_radix_sort_warp_sort_medium_config_static_selectorELNS0_4arch9wavefront6targetE0EEEvSK_.private_seg_size, 0
	.set _ZN7rocprim17ROCPRIM_400000_NS6detail17trampoline_kernelINS0_14default_configENS1_36segmented_radix_sort_config_selectorIhlEEZNS1_25segmented_radix_sort_implIS3_Lb0EPKhPhPKlPlN2at6native12_GLOBAL__N_18offset_tEEE10hipError_tPvRmT1_PNSt15iterator_traitsISK_E10value_typeET2_T3_PNSL_ISQ_E10value_typeET4_jRbjT5_SW_jjP12ihipStream_tbEUlT_E0_NS1_11comp_targetILNS1_3genE3ELNS1_11target_archE908ELNS1_3gpuE7ELNS1_3repE0EEENS1_60segmented_radix_sort_warp_sort_medium_config_static_selectorELNS0_4arch9wavefront6targetE0EEEvSK_.uses_vcc, 0
	.set _ZN7rocprim17ROCPRIM_400000_NS6detail17trampoline_kernelINS0_14default_configENS1_36segmented_radix_sort_config_selectorIhlEEZNS1_25segmented_radix_sort_implIS3_Lb0EPKhPhPKlPlN2at6native12_GLOBAL__N_18offset_tEEE10hipError_tPvRmT1_PNSt15iterator_traitsISK_E10value_typeET2_T3_PNSL_ISQ_E10value_typeET4_jRbjT5_SW_jjP12ihipStream_tbEUlT_E0_NS1_11comp_targetILNS1_3genE3ELNS1_11target_archE908ELNS1_3gpuE7ELNS1_3repE0EEENS1_60segmented_radix_sort_warp_sort_medium_config_static_selectorELNS0_4arch9wavefront6targetE0EEEvSK_.uses_flat_scratch, 0
	.set _ZN7rocprim17ROCPRIM_400000_NS6detail17trampoline_kernelINS0_14default_configENS1_36segmented_radix_sort_config_selectorIhlEEZNS1_25segmented_radix_sort_implIS3_Lb0EPKhPhPKlPlN2at6native12_GLOBAL__N_18offset_tEEE10hipError_tPvRmT1_PNSt15iterator_traitsISK_E10value_typeET2_T3_PNSL_ISQ_E10value_typeET4_jRbjT5_SW_jjP12ihipStream_tbEUlT_E0_NS1_11comp_targetILNS1_3genE3ELNS1_11target_archE908ELNS1_3gpuE7ELNS1_3repE0EEENS1_60segmented_radix_sort_warp_sort_medium_config_static_selectorELNS0_4arch9wavefront6targetE0EEEvSK_.has_dyn_sized_stack, 0
	.set _ZN7rocprim17ROCPRIM_400000_NS6detail17trampoline_kernelINS0_14default_configENS1_36segmented_radix_sort_config_selectorIhlEEZNS1_25segmented_radix_sort_implIS3_Lb0EPKhPhPKlPlN2at6native12_GLOBAL__N_18offset_tEEE10hipError_tPvRmT1_PNSt15iterator_traitsISK_E10value_typeET2_T3_PNSL_ISQ_E10value_typeET4_jRbjT5_SW_jjP12ihipStream_tbEUlT_E0_NS1_11comp_targetILNS1_3genE3ELNS1_11target_archE908ELNS1_3gpuE7ELNS1_3repE0EEENS1_60segmented_radix_sort_warp_sort_medium_config_static_selectorELNS0_4arch9wavefront6targetE0EEEvSK_.has_recursion, 0
	.set _ZN7rocprim17ROCPRIM_400000_NS6detail17trampoline_kernelINS0_14default_configENS1_36segmented_radix_sort_config_selectorIhlEEZNS1_25segmented_radix_sort_implIS3_Lb0EPKhPhPKlPlN2at6native12_GLOBAL__N_18offset_tEEE10hipError_tPvRmT1_PNSt15iterator_traitsISK_E10value_typeET2_T3_PNSL_ISQ_E10value_typeET4_jRbjT5_SW_jjP12ihipStream_tbEUlT_E0_NS1_11comp_targetILNS1_3genE3ELNS1_11target_archE908ELNS1_3gpuE7ELNS1_3repE0EEENS1_60segmented_radix_sort_warp_sort_medium_config_static_selectorELNS0_4arch9wavefront6targetE0EEEvSK_.has_indirect_call, 0
	.section	.AMDGPU.csdata,"",@progbits
; Kernel info:
; codeLenInByte = 0
; TotalNumSgprs: 0
; NumVgprs: 0
; ScratchSize: 0
; MemoryBound: 0
; FloatMode: 240
; IeeeMode: 1
; LDSByteSize: 0 bytes/workgroup (compile time only)
; SGPRBlocks: 0
; VGPRBlocks: 0
; NumSGPRsForWavesPerEU: 1
; NumVGPRsForWavesPerEU: 1
; Occupancy: 16
; WaveLimiterHint : 0
; COMPUTE_PGM_RSRC2:SCRATCH_EN: 0
; COMPUTE_PGM_RSRC2:USER_SGPR: 2
; COMPUTE_PGM_RSRC2:TRAP_HANDLER: 0
; COMPUTE_PGM_RSRC2:TGID_X_EN: 1
; COMPUTE_PGM_RSRC2:TGID_Y_EN: 0
; COMPUTE_PGM_RSRC2:TGID_Z_EN: 0
; COMPUTE_PGM_RSRC2:TIDIG_COMP_CNT: 0
	.section	.text._ZN7rocprim17ROCPRIM_400000_NS6detail17trampoline_kernelINS0_14default_configENS1_36segmented_radix_sort_config_selectorIhlEEZNS1_25segmented_radix_sort_implIS3_Lb0EPKhPhPKlPlN2at6native12_GLOBAL__N_18offset_tEEE10hipError_tPvRmT1_PNSt15iterator_traitsISK_E10value_typeET2_T3_PNSL_ISQ_E10value_typeET4_jRbjT5_SW_jjP12ihipStream_tbEUlT_E0_NS1_11comp_targetILNS1_3genE2ELNS1_11target_archE906ELNS1_3gpuE6ELNS1_3repE0EEENS1_60segmented_radix_sort_warp_sort_medium_config_static_selectorELNS0_4arch9wavefront6targetE0EEEvSK_,"axG",@progbits,_ZN7rocprim17ROCPRIM_400000_NS6detail17trampoline_kernelINS0_14default_configENS1_36segmented_radix_sort_config_selectorIhlEEZNS1_25segmented_radix_sort_implIS3_Lb0EPKhPhPKlPlN2at6native12_GLOBAL__N_18offset_tEEE10hipError_tPvRmT1_PNSt15iterator_traitsISK_E10value_typeET2_T3_PNSL_ISQ_E10value_typeET4_jRbjT5_SW_jjP12ihipStream_tbEUlT_E0_NS1_11comp_targetILNS1_3genE2ELNS1_11target_archE906ELNS1_3gpuE6ELNS1_3repE0EEENS1_60segmented_radix_sort_warp_sort_medium_config_static_selectorELNS0_4arch9wavefront6targetE0EEEvSK_,comdat
	.globl	_ZN7rocprim17ROCPRIM_400000_NS6detail17trampoline_kernelINS0_14default_configENS1_36segmented_radix_sort_config_selectorIhlEEZNS1_25segmented_radix_sort_implIS3_Lb0EPKhPhPKlPlN2at6native12_GLOBAL__N_18offset_tEEE10hipError_tPvRmT1_PNSt15iterator_traitsISK_E10value_typeET2_T3_PNSL_ISQ_E10value_typeET4_jRbjT5_SW_jjP12ihipStream_tbEUlT_E0_NS1_11comp_targetILNS1_3genE2ELNS1_11target_archE906ELNS1_3gpuE6ELNS1_3repE0EEENS1_60segmented_radix_sort_warp_sort_medium_config_static_selectorELNS0_4arch9wavefront6targetE0EEEvSK_ ; -- Begin function _ZN7rocprim17ROCPRIM_400000_NS6detail17trampoline_kernelINS0_14default_configENS1_36segmented_radix_sort_config_selectorIhlEEZNS1_25segmented_radix_sort_implIS3_Lb0EPKhPhPKlPlN2at6native12_GLOBAL__N_18offset_tEEE10hipError_tPvRmT1_PNSt15iterator_traitsISK_E10value_typeET2_T3_PNSL_ISQ_E10value_typeET4_jRbjT5_SW_jjP12ihipStream_tbEUlT_E0_NS1_11comp_targetILNS1_3genE2ELNS1_11target_archE906ELNS1_3gpuE6ELNS1_3repE0EEENS1_60segmented_radix_sort_warp_sort_medium_config_static_selectorELNS0_4arch9wavefront6targetE0EEEvSK_
	.p2align	8
	.type	_ZN7rocprim17ROCPRIM_400000_NS6detail17trampoline_kernelINS0_14default_configENS1_36segmented_radix_sort_config_selectorIhlEEZNS1_25segmented_radix_sort_implIS3_Lb0EPKhPhPKlPlN2at6native12_GLOBAL__N_18offset_tEEE10hipError_tPvRmT1_PNSt15iterator_traitsISK_E10value_typeET2_T3_PNSL_ISQ_E10value_typeET4_jRbjT5_SW_jjP12ihipStream_tbEUlT_E0_NS1_11comp_targetILNS1_3genE2ELNS1_11target_archE906ELNS1_3gpuE6ELNS1_3repE0EEENS1_60segmented_radix_sort_warp_sort_medium_config_static_selectorELNS0_4arch9wavefront6targetE0EEEvSK_,@function
_ZN7rocprim17ROCPRIM_400000_NS6detail17trampoline_kernelINS0_14default_configENS1_36segmented_radix_sort_config_selectorIhlEEZNS1_25segmented_radix_sort_implIS3_Lb0EPKhPhPKlPlN2at6native12_GLOBAL__N_18offset_tEEE10hipError_tPvRmT1_PNSt15iterator_traitsISK_E10value_typeET2_T3_PNSL_ISQ_E10value_typeET4_jRbjT5_SW_jjP12ihipStream_tbEUlT_E0_NS1_11comp_targetILNS1_3genE2ELNS1_11target_archE906ELNS1_3gpuE6ELNS1_3repE0EEENS1_60segmented_radix_sort_warp_sort_medium_config_static_selectorELNS0_4arch9wavefront6targetE0EEEvSK_: ; @_ZN7rocprim17ROCPRIM_400000_NS6detail17trampoline_kernelINS0_14default_configENS1_36segmented_radix_sort_config_selectorIhlEEZNS1_25segmented_radix_sort_implIS3_Lb0EPKhPhPKlPlN2at6native12_GLOBAL__N_18offset_tEEE10hipError_tPvRmT1_PNSt15iterator_traitsISK_E10value_typeET2_T3_PNSL_ISQ_E10value_typeET4_jRbjT5_SW_jjP12ihipStream_tbEUlT_E0_NS1_11comp_targetILNS1_3genE2ELNS1_11target_archE906ELNS1_3gpuE6ELNS1_3repE0EEENS1_60segmented_radix_sort_warp_sort_medium_config_static_selectorELNS0_4arch9wavefront6targetE0EEEvSK_
; %bb.0:
	.section	.rodata,"a",@progbits
	.p2align	6, 0x0
	.amdhsa_kernel _ZN7rocprim17ROCPRIM_400000_NS6detail17trampoline_kernelINS0_14default_configENS1_36segmented_radix_sort_config_selectorIhlEEZNS1_25segmented_radix_sort_implIS3_Lb0EPKhPhPKlPlN2at6native12_GLOBAL__N_18offset_tEEE10hipError_tPvRmT1_PNSt15iterator_traitsISK_E10value_typeET2_T3_PNSL_ISQ_E10value_typeET4_jRbjT5_SW_jjP12ihipStream_tbEUlT_E0_NS1_11comp_targetILNS1_3genE2ELNS1_11target_archE906ELNS1_3gpuE6ELNS1_3repE0EEENS1_60segmented_radix_sort_warp_sort_medium_config_static_selectorELNS0_4arch9wavefront6targetE0EEEvSK_
		.amdhsa_group_segment_fixed_size 0
		.amdhsa_private_segment_fixed_size 0
		.amdhsa_kernarg_size 88
		.amdhsa_user_sgpr_count 2
		.amdhsa_user_sgpr_dispatch_ptr 0
		.amdhsa_user_sgpr_queue_ptr 0
		.amdhsa_user_sgpr_kernarg_segment_ptr 1
		.amdhsa_user_sgpr_dispatch_id 0
		.amdhsa_user_sgpr_private_segment_size 0
		.amdhsa_wavefront_size32 1
		.amdhsa_uses_dynamic_stack 0
		.amdhsa_enable_private_segment 0
		.amdhsa_system_sgpr_workgroup_id_x 1
		.amdhsa_system_sgpr_workgroup_id_y 0
		.amdhsa_system_sgpr_workgroup_id_z 0
		.amdhsa_system_sgpr_workgroup_info 0
		.amdhsa_system_vgpr_workitem_id 0
		.amdhsa_next_free_vgpr 1
		.amdhsa_next_free_sgpr 1
		.amdhsa_reserve_vcc 0
		.amdhsa_float_round_mode_32 0
		.amdhsa_float_round_mode_16_64 0
		.amdhsa_float_denorm_mode_32 3
		.amdhsa_float_denorm_mode_16_64 3
		.amdhsa_fp16_overflow 0
		.amdhsa_workgroup_processor_mode 1
		.amdhsa_memory_ordered 1
		.amdhsa_forward_progress 1
		.amdhsa_inst_pref_size 0
		.amdhsa_round_robin_scheduling 0
		.amdhsa_exception_fp_ieee_invalid_op 0
		.amdhsa_exception_fp_denorm_src 0
		.amdhsa_exception_fp_ieee_div_zero 0
		.amdhsa_exception_fp_ieee_overflow 0
		.amdhsa_exception_fp_ieee_underflow 0
		.amdhsa_exception_fp_ieee_inexact 0
		.amdhsa_exception_int_div_zero 0
	.end_amdhsa_kernel
	.section	.text._ZN7rocprim17ROCPRIM_400000_NS6detail17trampoline_kernelINS0_14default_configENS1_36segmented_radix_sort_config_selectorIhlEEZNS1_25segmented_radix_sort_implIS3_Lb0EPKhPhPKlPlN2at6native12_GLOBAL__N_18offset_tEEE10hipError_tPvRmT1_PNSt15iterator_traitsISK_E10value_typeET2_T3_PNSL_ISQ_E10value_typeET4_jRbjT5_SW_jjP12ihipStream_tbEUlT_E0_NS1_11comp_targetILNS1_3genE2ELNS1_11target_archE906ELNS1_3gpuE6ELNS1_3repE0EEENS1_60segmented_radix_sort_warp_sort_medium_config_static_selectorELNS0_4arch9wavefront6targetE0EEEvSK_,"axG",@progbits,_ZN7rocprim17ROCPRIM_400000_NS6detail17trampoline_kernelINS0_14default_configENS1_36segmented_radix_sort_config_selectorIhlEEZNS1_25segmented_radix_sort_implIS3_Lb0EPKhPhPKlPlN2at6native12_GLOBAL__N_18offset_tEEE10hipError_tPvRmT1_PNSt15iterator_traitsISK_E10value_typeET2_T3_PNSL_ISQ_E10value_typeET4_jRbjT5_SW_jjP12ihipStream_tbEUlT_E0_NS1_11comp_targetILNS1_3genE2ELNS1_11target_archE906ELNS1_3gpuE6ELNS1_3repE0EEENS1_60segmented_radix_sort_warp_sort_medium_config_static_selectorELNS0_4arch9wavefront6targetE0EEEvSK_,comdat
.Lfunc_end200:
	.size	_ZN7rocprim17ROCPRIM_400000_NS6detail17trampoline_kernelINS0_14default_configENS1_36segmented_radix_sort_config_selectorIhlEEZNS1_25segmented_radix_sort_implIS3_Lb0EPKhPhPKlPlN2at6native12_GLOBAL__N_18offset_tEEE10hipError_tPvRmT1_PNSt15iterator_traitsISK_E10value_typeET2_T3_PNSL_ISQ_E10value_typeET4_jRbjT5_SW_jjP12ihipStream_tbEUlT_E0_NS1_11comp_targetILNS1_3genE2ELNS1_11target_archE906ELNS1_3gpuE6ELNS1_3repE0EEENS1_60segmented_radix_sort_warp_sort_medium_config_static_selectorELNS0_4arch9wavefront6targetE0EEEvSK_, .Lfunc_end200-_ZN7rocprim17ROCPRIM_400000_NS6detail17trampoline_kernelINS0_14default_configENS1_36segmented_radix_sort_config_selectorIhlEEZNS1_25segmented_radix_sort_implIS3_Lb0EPKhPhPKlPlN2at6native12_GLOBAL__N_18offset_tEEE10hipError_tPvRmT1_PNSt15iterator_traitsISK_E10value_typeET2_T3_PNSL_ISQ_E10value_typeET4_jRbjT5_SW_jjP12ihipStream_tbEUlT_E0_NS1_11comp_targetILNS1_3genE2ELNS1_11target_archE906ELNS1_3gpuE6ELNS1_3repE0EEENS1_60segmented_radix_sort_warp_sort_medium_config_static_selectorELNS0_4arch9wavefront6targetE0EEEvSK_
                                        ; -- End function
	.set _ZN7rocprim17ROCPRIM_400000_NS6detail17trampoline_kernelINS0_14default_configENS1_36segmented_radix_sort_config_selectorIhlEEZNS1_25segmented_radix_sort_implIS3_Lb0EPKhPhPKlPlN2at6native12_GLOBAL__N_18offset_tEEE10hipError_tPvRmT1_PNSt15iterator_traitsISK_E10value_typeET2_T3_PNSL_ISQ_E10value_typeET4_jRbjT5_SW_jjP12ihipStream_tbEUlT_E0_NS1_11comp_targetILNS1_3genE2ELNS1_11target_archE906ELNS1_3gpuE6ELNS1_3repE0EEENS1_60segmented_radix_sort_warp_sort_medium_config_static_selectorELNS0_4arch9wavefront6targetE0EEEvSK_.num_vgpr, 0
	.set _ZN7rocprim17ROCPRIM_400000_NS6detail17trampoline_kernelINS0_14default_configENS1_36segmented_radix_sort_config_selectorIhlEEZNS1_25segmented_radix_sort_implIS3_Lb0EPKhPhPKlPlN2at6native12_GLOBAL__N_18offset_tEEE10hipError_tPvRmT1_PNSt15iterator_traitsISK_E10value_typeET2_T3_PNSL_ISQ_E10value_typeET4_jRbjT5_SW_jjP12ihipStream_tbEUlT_E0_NS1_11comp_targetILNS1_3genE2ELNS1_11target_archE906ELNS1_3gpuE6ELNS1_3repE0EEENS1_60segmented_radix_sort_warp_sort_medium_config_static_selectorELNS0_4arch9wavefront6targetE0EEEvSK_.num_agpr, 0
	.set _ZN7rocprim17ROCPRIM_400000_NS6detail17trampoline_kernelINS0_14default_configENS1_36segmented_radix_sort_config_selectorIhlEEZNS1_25segmented_radix_sort_implIS3_Lb0EPKhPhPKlPlN2at6native12_GLOBAL__N_18offset_tEEE10hipError_tPvRmT1_PNSt15iterator_traitsISK_E10value_typeET2_T3_PNSL_ISQ_E10value_typeET4_jRbjT5_SW_jjP12ihipStream_tbEUlT_E0_NS1_11comp_targetILNS1_3genE2ELNS1_11target_archE906ELNS1_3gpuE6ELNS1_3repE0EEENS1_60segmented_radix_sort_warp_sort_medium_config_static_selectorELNS0_4arch9wavefront6targetE0EEEvSK_.numbered_sgpr, 0
	.set _ZN7rocprim17ROCPRIM_400000_NS6detail17trampoline_kernelINS0_14default_configENS1_36segmented_radix_sort_config_selectorIhlEEZNS1_25segmented_radix_sort_implIS3_Lb0EPKhPhPKlPlN2at6native12_GLOBAL__N_18offset_tEEE10hipError_tPvRmT1_PNSt15iterator_traitsISK_E10value_typeET2_T3_PNSL_ISQ_E10value_typeET4_jRbjT5_SW_jjP12ihipStream_tbEUlT_E0_NS1_11comp_targetILNS1_3genE2ELNS1_11target_archE906ELNS1_3gpuE6ELNS1_3repE0EEENS1_60segmented_radix_sort_warp_sort_medium_config_static_selectorELNS0_4arch9wavefront6targetE0EEEvSK_.num_named_barrier, 0
	.set _ZN7rocprim17ROCPRIM_400000_NS6detail17trampoline_kernelINS0_14default_configENS1_36segmented_radix_sort_config_selectorIhlEEZNS1_25segmented_radix_sort_implIS3_Lb0EPKhPhPKlPlN2at6native12_GLOBAL__N_18offset_tEEE10hipError_tPvRmT1_PNSt15iterator_traitsISK_E10value_typeET2_T3_PNSL_ISQ_E10value_typeET4_jRbjT5_SW_jjP12ihipStream_tbEUlT_E0_NS1_11comp_targetILNS1_3genE2ELNS1_11target_archE906ELNS1_3gpuE6ELNS1_3repE0EEENS1_60segmented_radix_sort_warp_sort_medium_config_static_selectorELNS0_4arch9wavefront6targetE0EEEvSK_.private_seg_size, 0
	.set _ZN7rocprim17ROCPRIM_400000_NS6detail17trampoline_kernelINS0_14default_configENS1_36segmented_radix_sort_config_selectorIhlEEZNS1_25segmented_radix_sort_implIS3_Lb0EPKhPhPKlPlN2at6native12_GLOBAL__N_18offset_tEEE10hipError_tPvRmT1_PNSt15iterator_traitsISK_E10value_typeET2_T3_PNSL_ISQ_E10value_typeET4_jRbjT5_SW_jjP12ihipStream_tbEUlT_E0_NS1_11comp_targetILNS1_3genE2ELNS1_11target_archE906ELNS1_3gpuE6ELNS1_3repE0EEENS1_60segmented_radix_sort_warp_sort_medium_config_static_selectorELNS0_4arch9wavefront6targetE0EEEvSK_.uses_vcc, 0
	.set _ZN7rocprim17ROCPRIM_400000_NS6detail17trampoline_kernelINS0_14default_configENS1_36segmented_radix_sort_config_selectorIhlEEZNS1_25segmented_radix_sort_implIS3_Lb0EPKhPhPKlPlN2at6native12_GLOBAL__N_18offset_tEEE10hipError_tPvRmT1_PNSt15iterator_traitsISK_E10value_typeET2_T3_PNSL_ISQ_E10value_typeET4_jRbjT5_SW_jjP12ihipStream_tbEUlT_E0_NS1_11comp_targetILNS1_3genE2ELNS1_11target_archE906ELNS1_3gpuE6ELNS1_3repE0EEENS1_60segmented_radix_sort_warp_sort_medium_config_static_selectorELNS0_4arch9wavefront6targetE0EEEvSK_.uses_flat_scratch, 0
	.set _ZN7rocprim17ROCPRIM_400000_NS6detail17trampoline_kernelINS0_14default_configENS1_36segmented_radix_sort_config_selectorIhlEEZNS1_25segmented_radix_sort_implIS3_Lb0EPKhPhPKlPlN2at6native12_GLOBAL__N_18offset_tEEE10hipError_tPvRmT1_PNSt15iterator_traitsISK_E10value_typeET2_T3_PNSL_ISQ_E10value_typeET4_jRbjT5_SW_jjP12ihipStream_tbEUlT_E0_NS1_11comp_targetILNS1_3genE2ELNS1_11target_archE906ELNS1_3gpuE6ELNS1_3repE0EEENS1_60segmented_radix_sort_warp_sort_medium_config_static_selectorELNS0_4arch9wavefront6targetE0EEEvSK_.has_dyn_sized_stack, 0
	.set _ZN7rocprim17ROCPRIM_400000_NS6detail17trampoline_kernelINS0_14default_configENS1_36segmented_radix_sort_config_selectorIhlEEZNS1_25segmented_radix_sort_implIS3_Lb0EPKhPhPKlPlN2at6native12_GLOBAL__N_18offset_tEEE10hipError_tPvRmT1_PNSt15iterator_traitsISK_E10value_typeET2_T3_PNSL_ISQ_E10value_typeET4_jRbjT5_SW_jjP12ihipStream_tbEUlT_E0_NS1_11comp_targetILNS1_3genE2ELNS1_11target_archE906ELNS1_3gpuE6ELNS1_3repE0EEENS1_60segmented_radix_sort_warp_sort_medium_config_static_selectorELNS0_4arch9wavefront6targetE0EEEvSK_.has_recursion, 0
	.set _ZN7rocprim17ROCPRIM_400000_NS6detail17trampoline_kernelINS0_14default_configENS1_36segmented_radix_sort_config_selectorIhlEEZNS1_25segmented_radix_sort_implIS3_Lb0EPKhPhPKlPlN2at6native12_GLOBAL__N_18offset_tEEE10hipError_tPvRmT1_PNSt15iterator_traitsISK_E10value_typeET2_T3_PNSL_ISQ_E10value_typeET4_jRbjT5_SW_jjP12ihipStream_tbEUlT_E0_NS1_11comp_targetILNS1_3genE2ELNS1_11target_archE906ELNS1_3gpuE6ELNS1_3repE0EEENS1_60segmented_radix_sort_warp_sort_medium_config_static_selectorELNS0_4arch9wavefront6targetE0EEEvSK_.has_indirect_call, 0
	.section	.AMDGPU.csdata,"",@progbits
; Kernel info:
; codeLenInByte = 0
; TotalNumSgprs: 0
; NumVgprs: 0
; ScratchSize: 0
; MemoryBound: 0
; FloatMode: 240
; IeeeMode: 1
; LDSByteSize: 0 bytes/workgroup (compile time only)
; SGPRBlocks: 0
; VGPRBlocks: 0
; NumSGPRsForWavesPerEU: 1
; NumVGPRsForWavesPerEU: 1
; Occupancy: 16
; WaveLimiterHint : 0
; COMPUTE_PGM_RSRC2:SCRATCH_EN: 0
; COMPUTE_PGM_RSRC2:USER_SGPR: 2
; COMPUTE_PGM_RSRC2:TRAP_HANDLER: 0
; COMPUTE_PGM_RSRC2:TGID_X_EN: 1
; COMPUTE_PGM_RSRC2:TGID_Y_EN: 0
; COMPUTE_PGM_RSRC2:TGID_Z_EN: 0
; COMPUTE_PGM_RSRC2:TIDIG_COMP_CNT: 0
	.text
	.p2align	2                               ; -- Begin function _ZN7rocprim17ROCPRIM_400000_NS6detail26segmented_warp_sort_helperINS1_20WarpSortHelperConfigILj16ELj8ELj256EEEhlLi256ELb0EvE4sortIPKhPhPKlPlEEvT_T0_T1_T2_jjjjRNS5_12storage_typeE
	.type	_ZN7rocprim17ROCPRIM_400000_NS6detail26segmented_warp_sort_helperINS1_20WarpSortHelperConfigILj16ELj8ELj256EEEhlLi256ELb0EvE4sortIPKhPhPKlPlEEvT_T0_T1_T2_jjjjRNS5_12storage_typeE,@function
_ZN7rocprim17ROCPRIM_400000_NS6detail26segmented_warp_sort_helperINS1_20WarpSortHelperConfigILj16ELj8ELj256EEEhlLi256ELb0EvE4sortIPKhPhPKlPlEEvT_T0_T1_T2_jjjjRNS5_12storage_typeE: ; @_ZN7rocprim17ROCPRIM_400000_NS6detail26segmented_warp_sort_helperINS1_20WarpSortHelperConfigILj16ELj8ELj256EEEhlLi256ELb0EvE4sortIPKhPhPKlPlEEvT_T0_T1_T2_jjjjRNS5_12storage_typeE
; %bb.0:
	s_wait_loadcnt_dscnt 0x0
	s_wait_expcnt 0x0
	s_wait_samplecnt 0x0
	s_wait_bvhcnt 0x0
	s_wait_kmcnt 0x0
	v_mbcnt_lo_u32_b32 v12, -1, 0
	v_add_co_u32 v0, vcc_lo, v0, v8
	v_dual_mov_b32 v22, 0xff :: v_dual_mov_b32 v39, 0xff
	s_delay_alu instid0(VALU_DEP_3)
	v_lshlrev_b32_e32 v34, 3, v12
	v_sub_nc_u32_e32 v12, v9, v8
	v_mov_b32_e32 v9, 0
	s_wait_alu 0xfffd
	v_add_co_ci_u32_e64 v1, null, 0, v1, vcc_lo
	v_dual_mov_b32 v23, v22 :: v_dual_and_b32 v32, 0x78, v34
	v_dual_mov_b32 v36, 0xff :: v_dual_mov_b32 v37, v22
	v_dual_mov_b32 v38, 0xff :: v_dual_mov_b32 v35, v22
	s_delay_alu instid0(VALU_DEP_3)
	v_add_co_u32 v0, vcc_lo, v0, v32
	s_wait_alu 0xfffd
	v_add_co_ci_u32_e64 v1, null, 0, v1, vcc_lo
	v_cmp_lt_u32_e32 vcc_lo, v32, v12
	v_mov_b32_e32 v28, 0xff
	s_and_saveexec_b32 s0, vcc_lo
	s_cbranch_execz .LBB201_2
; %bb.1:
	flat_load_u8 v22, v[0:1]
	v_dual_mov_b32 v38, 0xff :: v_dual_mov_b32 v39, 0xff
	v_mov_b32_e32 v36, 0xff
	v_dual_mov_b32 v28, 0xff :: v_dual_mov_b32 v37, 0xff
	s_delay_alu instid0(VALU_DEP_3)
	v_mov_b32_e32 v23, v38
	v_mov_b32_e32 v35, 0xff
.LBB201_2:
	s_wait_alu 0xfffe
	s_or_b32 exec_lo, exec_lo, s0
	v_or_b32_e32 v13, 1, v32
	s_delay_alu instid0(VALU_DEP_1)
	v_cmp_lt_u32_e64 s0, v13, v12
	s_and_saveexec_b32 s1, s0
	s_cbranch_execz .LBB201_4
; %bb.3:
	flat_load_u8 v38, v[0:1] offset:1
.LBB201_4:
	s_wait_alu 0xfffe
	s_or_b32 exec_lo, exec_lo, s1
	v_or_b32_e32 v13, 2, v32
	s_delay_alu instid0(VALU_DEP_1)
	v_cmp_lt_u32_e64 s1, v13, v12
	s_and_saveexec_b32 s2, s1
	s_cbranch_execz .LBB201_6
; %bb.5:
	flat_load_u8 v39, v[0:1] offset:2
.LBB201_6:
	;; [unrolled: 10-line block ×7, first 2 shown]
	s_wait_alu 0xfffe
	s_or_b32 exec_lo, exec_lo, s7
	v_lshlrev_b64_e32 v[0:1], 3, v[8:9]
	v_lshlrev_b32_e32 v33, 3, v32
	; wave barrier
	s_delay_alu instid0(VALU_DEP_2) | instskip(SKIP_1) | instid1(VALU_DEP_3)
	v_add_co_u32 v4, s7, v4, v0
	s_wait_alu 0xf1ff
	v_add_co_ci_u32_e64 v5, null, v5, v1, s7
	s_delay_alu instid0(VALU_DEP_2) | instskip(SKIP_1) | instid1(VALU_DEP_2)
	v_add_co_u32 v29, s7, v4, v33
	s_wait_alu 0xf1ff
	v_add_co_ci_u32_e64 v30, null, 0, v5, s7
                                        ; implicit-def: $vgpr4_vgpr5
	s_and_saveexec_b32 s7, vcc_lo
	s_cbranch_execnz .LBB201_135
; %bb.17:
	s_wait_alu 0xfffe
	s_or_b32 exec_lo, exec_lo, s7
                                        ; implicit-def: $vgpr12_vgpr13
	s_and_saveexec_b32 s7, s0
	s_cbranch_execnz .LBB201_136
.LBB201_18:
	s_wait_alu 0xfffe
	s_or_b32 exec_lo, exec_lo, s7
                                        ; implicit-def: $vgpr16_vgpr17
	s_and_saveexec_b32 s7, s1
	s_cbranch_execnz .LBB201_137
.LBB201_19:
	s_wait_alu 0xfffe
	s_or_b32 exec_lo, exec_lo, s7
                                        ; implicit-def: $vgpr24_vgpr25
	s_and_saveexec_b32 s7, s2
	s_cbranch_execnz .LBB201_138
.LBB201_20:
	s_wait_alu 0xfffe
	s_or_b32 exec_lo, exec_lo, s7
                                        ; implicit-def: $vgpr26_vgpr27
	s_and_saveexec_b32 s7, s3
	s_cbranch_execnz .LBB201_139
.LBB201_21:
	s_wait_alu 0xfffe
	s_or_b32 exec_lo, exec_lo, s7
                                        ; implicit-def: $vgpr20_vgpr21
	s_and_saveexec_b32 s7, s4
	s_cbranch_execnz .LBB201_140
.LBB201_22:
	s_wait_alu 0xfffe
	s_or_b32 exec_lo, exec_lo, s7
                                        ; implicit-def: $vgpr18_vgpr19
	s_and_saveexec_b32 s7, s5
	s_cbranch_execnz .LBB201_141
.LBB201_23:
	s_wait_alu 0xfffe
	s_or_b32 exec_lo, exec_lo, s7
                                        ; implicit-def: $vgpr14_vgpr15
	s_and_saveexec_b32 s7, s6
	s_cbranch_execz .LBB201_25
.LBB201_24:
	flat_load_b64 v[14:15], v[29:30] offset:56
.LBB201_25:
	s_wait_alu 0xfffe
	s_or_b32 exec_lo, exec_lo, s7
	v_cmp_ne_u32_e64 s7, 0, v10
	v_cmp_ne_u32_e64 s10, 8, v11
	v_bfe_u32 v29, v31, 10, 10
	v_bfe_u32 v30, v31, 20, 10
	v_and_b32_e32 v9, 0x3ff, v31
	s_mov_b32 s11, 0
	s_or_b32 s7, s7, s10
	; wave barrier
	s_wait_alu 0xfffe
	s_and_saveexec_b32 s10, s7
	s_wait_alu 0xfffe
	s_xor_b32 s19, exec_lo, s10
	s_cbranch_execz .LBB201_71
; %bb.26:
	s_load_b64 s[12:13], s[8:9], 0x0
	s_and_b32 s7, ttmp7, 0xffff
	v_lshlrev_b32_e64 v11, v11, -1
	v_lshlrev_b32_e64 v10, v10, -1
	s_mov_b32 s17, exec_lo
	s_delay_alu instid0(VALU_DEP_1)
	v_xor_b32_e32 v11, v11, v10
	s_wait_kmcnt 0x0
	s_wait_alu 0xfffe
	s_cmp_lt_u32 s7, s13
	s_cselect_b32 s10, 14, 20
	s_cmp_lt_u32 ttmp9, s12
	s_wait_alu 0xfffe
	s_add_nc_u64 s[14:15], s[8:9], s[10:11]
	s_cselect_b32 s10, 12, 18
	s_load_u16 s7, s[14:15], 0x0
	s_add_nc_u64 s[10:11], s[8:9], s[10:11]
	s_load_u16 s10, s[10:11], 0x0
	s_wait_kmcnt 0x0
	v_mad_u32_u24 v29, v30, s7, v29
	s_delay_alu instid0(VALU_DEP_1) | instskip(NEXT) | instid1(VALU_DEP_1)
	v_mul_lo_u32 v29, v29, s10
	v_add_lshl_u32 v30, v29, v9, 3
	s_delay_alu instid0(VALU_DEP_1)
	v_cmpx_gt_u32_e32 0x800, v30
	s_cbranch_execz .LBB201_30
; %bb.27:
	s_wait_loadcnt_dscnt 0x0
	v_and_b32_e32 v9, v38, v11
	v_and_b32_e32 v10, v22, v11
	v_perm_b32 v28, v39, v28, 0xc0c0004
	v_perm_b32 v29, v38, v22, 0xc0c0004
	;; [unrolled: 1-line block ×3, first 2 shown]
	v_and_b32_e32 v9, 0xff, v9
	v_and_b32_e32 v10, 0xff, v10
	v_lshlrev_b32_e32 v28, 16, v28
	s_delay_alu instid0(VALU_DEP_2) | instskip(NEXT) | instid1(VALU_DEP_2)
	v_cmp_gt_u16_e64 s7, v10, v9
	v_or_b32_e32 v9, v29, v28
	v_or_b32_e32 v10, v22, v28
	v_perm_b32 v22, v23, v37, 0xc0c0004
	v_perm_b32 v23, v35, v36, 0xc0c0004
	s_wait_alu 0xf1ff
	v_cndmask_b32_e64 v28, v12, v4, s7
	v_cndmask_b32_e64 v4, v4, v12, s7
	;; [unrolled: 1-line block ×4, first 2 shown]
	v_lshl_or_b32 v10, v23, 16, v22
	v_cndmask_b32_e64 v5, v5, v13, s7
	s_delay_alu instid0(VALU_DEP_4) | instskip(SKIP_1) | instid1(VALU_DEP_4)
	v_lshrrev_b32_e32 v22, 16, v9
	v_lshrrev_b32_e32 v29, 24, v9
	;; [unrolled: 1-line block ×3, first 2 shown]
	v_and_b32_e32 v35, v10, v11
	s_delay_alu instid0(VALU_DEP_4) | instskip(SKIP_1) | instid1(VALU_DEP_4)
	v_and_b32_e32 v31, v22, v11
	v_perm_b32 v22, 0, v22, 0xc0c0001
	v_and_b32_e32 v23, v23, v11
	v_and_b32_e32 v29, v29, v11
	;; [unrolled: 1-line block ×4, first 2 shown]
	v_lshlrev_b32_e32 v22, 16, v22
	v_and_b32_e32 v23, 0xff, v23
	s_delay_alu instid0(VALU_DEP_3) | instskip(NEXT) | instid1(VALU_DEP_3)
	v_cmp_gt_u16_e64 s10, v31, v29
	v_and_or_b32 v22, 0xffff, v9, v22
	v_perm_b32 v29, v10, v10, 0x7060405
	s_delay_alu instid0(VALU_DEP_4)
	v_cmp_gt_u16_e64 s11, v35, v23
	s_wait_alu 0xf1ff
	v_cndmask_b32_e64 v38, v17, v25, s10
	v_cndmask_b32_e64 v9, v9, v22, s10
	;; [unrolled: 1-line block ×6, first 2 shown]
	v_lshrrev_b32_e32 v29, 16, v9
	v_lshrrev_b32_e32 v31, 8, v9
	;; [unrolled: 1-line block ×4, first 2 shown]
	v_perm_b32 v39, v9, v9, 0x7050604
	v_and_b32_e32 v29, v29, v11
	v_and_b32_e32 v31, v31, v11
	;; [unrolled: 1-line block ×4, first 2 shown]
	v_cndmask_b32_e64 v16, v16, v24, s10
	v_and_b32_e32 v29, 0xff, v29
	v_and_b32_e32 v31, 0xff, v31
	;; [unrolled: 1-line block ×3, first 2 shown]
	v_cndmask_b32_e64 v22, v26, v20, s11
	v_cndmask_b32_e64 v20, v20, v26, s11
	s_delay_alu instid0(VALU_DEP_4) | instskip(SKIP_3) | instid1(VALU_DEP_3)
	v_cmp_gt_u16_e64 s12, v31, v29
	v_perm_b32 v29, v10, v10, 0x6070504
	v_cmp_gt_u16_e64 s13, v35, v37
	s_wait_alu 0xf1ff
	v_cndmask_b32_e64 v9, v9, v39, s12
	v_cndmask_b32_e64 v31, v38, v36, s12
	s_delay_alu instid0(VALU_DEP_3)
	v_cndmask_b32_e64 v10, v10, v29, s13
	v_cndmask_b32_e64 v35, v18, v14, s13
	;; [unrolled: 1-line block ×3, first 2 shown]
	v_lshrrev_b32_e32 v29, 16, v9
	v_lshrrev_b32_e32 v48, 24, v9
	v_lshlrev_b16 v37, 8, v10
	v_and_b32_e32 v39, v10, v11
	v_cndmask_b32_e64 v36, v36, v38, s12
	v_and_b32_e32 v29, 0xff, v29
	s_delay_alu instid0(VALU_DEP_1) | instskip(NEXT) | instid1(VALU_DEP_4)
	v_or_b32_e32 v29, v29, v37
	v_and_b32_e32 v37, 0xff, v39
	v_and_b32_e32 v39, v48, v11
	v_cndmask_b32_e64 v48, v27, v21, s11
	s_delay_alu instid0(VALU_DEP_4) | instskip(NEXT) | instid1(VALU_DEP_3)
	v_lshlrev_b32_e32 v29, 16, v29
	v_cmp_gt_u16_e64 s14, v39, v37
	v_cndmask_b32_e64 v39, v28, v16, s12
	v_cndmask_b32_e64 v16, v16, v28, s12
	s_delay_alu instid0(VALU_DEP_4)
	v_and_or_b32 v25, 0xffff, v9, v29
	v_perm_b32 v29, v9, v10, 0x3020107
	s_wait_alu 0xf1ff
	v_cndmask_b32_e64 v26, v23, v22, s14
	v_cndmask_b32_e64 v22, v22, v23, s14
	;; [unrolled: 1-line block ×6, first 2 shown]
	s_delay_alu instid0(VALU_DEP_3) | instskip(NEXT) | instid1(VALU_DEP_3)
	v_lshrrev_b32_e32 v21, 8, v9
	v_lshrrev_b32_e32 v25, 16, v10
	;; [unrolled: 1-line block ×3, first 2 shown]
	v_and_b32_e32 v24, v9, v11
	v_perm_b32 v29, 0, v9, 0xc0c0001
	v_and_b32_e32 v21, v21, v11
	v_and_b32_e32 v25, v25, v11
	;; [unrolled: 1-line block ×4, first 2 shown]
	v_and_or_b32 v29, 0xffff0000, v9, v29
	v_and_b32_e32 v21, 0xff, v21
	v_and_b32_e32 v25, 0xff, v25
	;; [unrolled: 1-line block ×3, first 2 shown]
	s_delay_alu instid0(VALU_DEP_3) | instskip(SKIP_1) | instid1(VALU_DEP_3)
	v_cmp_gt_u16_e64 s10, v24, v21
	v_perm_b32 v24, v10, v10, 0x7050604
	v_cmp_gt_u16_e64 s15, v27, v25
	v_cndmask_b32_e64 v21, v19, v15, s13
	v_cndmask_b32_e64 v15, v15, v19, s13
	s_wait_alu 0xf1ff
	v_cndmask_b32_e64 v9, v9, v29, s10
	v_cndmask_b32_e64 v25, v39, v4, s10
	;; [unrolled: 1-line block ×5, first 2 shown]
	v_lshrrev_b32_e32 v24, 16, v9
	v_lshrrev_b32_e32 v29, 24, v9
	;; [unrolled: 1-line block ×3, first 2 shown]
	v_and_b32_e32 v50, v10, v11
	v_cndmask_b32_e64 v4, v4, v39, s10
	v_and_b32_e32 v49, v24, v11
	v_perm_b32 v24, 0, v24, 0xc0c0001
	v_and_b32_e32 v28, v28, v11
	v_and_b32_e32 v29, v29, v11
	;; [unrolled: 1-line block ×4, first 2 shown]
	v_lshlrev_b32_e32 v24, 16, v24
	v_and_b32_e32 v28, 0xff, v28
	v_cndmask_b32_e64 v38, v36, v5, s10
	v_cndmask_b32_e64 v5, v5, v36, s10
	v_cmp_gt_u16_e64 s11, v49, v29
	v_and_or_b32 v24, 0xffff, v9, v24
	v_perm_b32 v49, v10, v10, 0x7060405
	v_cmp_gt_u16_e64 s16, v23, v28
	v_cndmask_b32_e64 v29, v20, v35, s15
	v_cndmask_b32_e64 v20, v35, v20, s15
	s_wait_alu 0xf1ff
	v_cndmask_b32_e64 v9, v9, v24, s11
	v_cndmask_b32_e64 v23, v26, v16, s11
	;; [unrolled: 1-line block ×5, first 2 shown]
	v_lshrrev_b32_e32 v24, 16, v9
	v_lshrrev_b32_e32 v28, 8, v9
	;; [unrolled: 1-line block ×4, first 2 shown]
	v_perm_b32 v51, v9, v9, 0x7050604
	v_and_b32_e32 v24, v24, v11
	v_and_b32_e32 v28, v28, v11
	;; [unrolled: 1-line block ×4, first 2 shown]
	v_cndmask_b32_e64 v31, v37, v31, s11
	v_and_b32_e32 v24, 0xff, v24
	v_and_b32_e32 v28, 0xff, v28
	;; [unrolled: 1-line block ×3, first 2 shown]
	v_cndmask_b32_e64 v13, v22, v29, s16
	v_cndmask_b32_e64 v22, v29, v22, s16
	s_delay_alu instid0(VALU_DEP_4) | instskip(SKIP_3) | instid1(VALU_DEP_3)
	v_cmp_gt_u16_e64 s7, v28, v24
	v_perm_b32 v24, v10, v10, 0x6070504
	v_cmp_gt_u16_e64 s12, v18, v49
	s_wait_alu 0xf1ff
	v_cndmask_b32_e64 v9, v9, v51, s7
	v_cndmask_b32_e64 v37, v25, v16, s7
	s_delay_alu instid0(VALU_DEP_3)
	v_cndmask_b32_e64 v10, v10, v24, s12
	v_cndmask_b32_e64 v16, v16, v25, s7
	;; [unrolled: 1-line block ×3, first 2 shown]
	v_lshrrev_b32_e32 v24, 16, v9
	v_lshrrev_b32_e32 v51, 24, v9
	v_lshlrev_b16 v35, 8, v10
	v_and_b32_e32 v49, v10, v11
	v_cndmask_b32_e64 v14, v14, v20, s12
	v_and_b32_e32 v24, 0xff, v24
	v_and_b32_e32 v48, v51, v11
	v_cndmask_b32_e64 v18, v50, v38, s7
	v_cndmask_b32_e64 v38, v38, v50, s7
	s_delay_alu instid0(VALU_DEP_4) | instskip(SKIP_3) | instid1(VALU_DEP_4)
	v_or_b32_e32 v24, v24, v35
	v_and_b32_e32 v35, 0xff, v49
	v_cndmask_b32_e64 v49, v17, v27, s16
	v_cndmask_b32_e64 v17, v27, v17, s16
	v_lshlrev_b32_e32 v24, 16, v24
	s_delay_alu instid0(VALU_DEP_4) | instskip(SKIP_1) | instid1(VALU_DEP_3)
	v_cmp_gt_u16_e64 s14, v48, v35
	v_perm_b32 v35, v9, v10, 0x3020107
	v_and_or_b32 v24, 0xffff, v9, v24
	s_wait_alu 0xf1ff
	s_delay_alu instid0(VALU_DEP_3) | instskip(NEXT) | instid1(VALU_DEP_3)
	v_cndmask_b32_e64 v25, v23, v13, s14
	v_cndmask_b32_e64 v10, v10, v35, s14
	;; [unrolled: 1-line block ×6, first 2 shown]
	v_lshrrev_b32_e32 v24, 16, v10
	v_lshrrev_b32_e32 v27, 8, v10
	s_delay_alu instid0(VALU_DEP_4) | instskip(SKIP_1) | instid1(VALU_DEP_4)
	v_lshrrev_b32_e32 v21, 8, v9
	v_and_b32_e32 v26, v9, v11
	v_and_b32_e32 v24, v24, v11
	s_delay_alu instid0(VALU_DEP_4)
	v_and_b32_e32 v27, v27, v11
	v_perm_b32 v35, 0, v9, 0xc0c0001
	v_and_b32_e32 v21, v21, v11
	v_and_b32_e32 v26, 0xff, v26
	;; [unrolled: 1-line block ×4, first 2 shown]
	v_and_or_b32 v35, 0xffff0000, v9, v35
	v_and_b32_e32 v21, 0xff, v21
	s_delay_alu instid0(VALU_DEP_3) | instskip(NEXT) | instid1(VALU_DEP_2)
	v_cmp_gt_u16_e64 s13, v27, v24
	v_cmp_gt_u16_e64 s11, v26, v21
	v_perm_b32 v26, v10, v10, 0x7050604
	v_cndmask_b32_e64 v21, v12, v15, s12
	v_cndmask_b32_e64 v12, v15, v12, s12
	s_wait_alu 0xf1ff
	v_cndmask_b32_e64 v9, v9, v35, s11
	v_cndmask_b32_e64 v10, v10, v26, s13
	;; [unrolled: 1-line block ×5, first 2 shown]
	v_lshrrev_b32_e32 v26, 16, v9
	v_lshrrev_b32_e32 v29, 8, v10
	;; [unrolled: 1-line block ×3, first 2 shown]
	v_and_b32_e32 v48, v10, v11
	v_cndmask_b32_e64 v4, v4, v37, s11
	v_and_b32_e32 v39, v26, v11
	v_perm_b32 v26, 0, v26, 0xc0c0001
	v_and_b32_e32 v29, v29, v11
	v_and_b32_e32 v35, v35, v11
	;; [unrolled: 1-line block ×4, first 2 shown]
	v_lshlrev_b32_e32 v26, 16, v26
	v_and_b32_e32 v29, 0xff, v29
	s_delay_alu instid0(VALU_DEP_3) | instskip(NEXT) | instid1(VALU_DEP_3)
	v_cmp_gt_u16_e64 s15, v39, v35
	v_and_or_b32 v26, 0xffff, v9, v26
	v_perm_b32 v39, v10, v10, 0x7060405
	s_delay_alu instid0(VALU_DEP_4)
	v_cmp_gt_u16_e64 s16, v23, v29
	v_cndmask_b32_e64 v35, v22, v28, s13
	v_cndmask_b32_e64 v22, v28, v22, s13
	s_wait_alu 0xf1ff
	v_cndmask_b32_e64 v9, v9, v26, s15
	v_cndmask_b32_e64 v50, v18, v19, s15
	;; [unrolled: 1-line block ×5, first 2 shown]
	v_lshrrev_b32_e32 v29, 16, v9
	v_lshrrev_b32_e32 v36, 8, v9
	;; [unrolled: 1-line block ×4, first 2 shown]
	v_perm_b32 v51, v9, v9, 0x7050604
	v_and_b32_e32 v29, v29, v11
	v_and_b32_e32 v36, v36, v11
	;; [unrolled: 1-line block ×4, first 2 shown]
	v_perm_b32 v28, v10, v10, 0x6070504
	v_and_b32_e32 v29, 0xff, v29
	v_and_b32_e32 v36, 0xff, v36
	;; [unrolled: 1-line block ×3, first 2 shown]
	v_cndmask_b32_e64 v16, v16, v25, s15
	v_cndmask_b32_e64 v49, v31, v27, s16
	;; [unrolled: 1-line block ×3, first 2 shown]
	v_cmp_gt_u16_e64 s7, v36, v29
	v_cmp_gt_u16_e64 s10, v20, v48
	v_cndmask_b32_e64 v39, v38, v5, s11
	v_cndmask_b32_e64 v5, v5, v38, s11
	;; [unrolled: 1-line block ×3, first 2 shown]
	s_wait_alu 0xf1ff
	v_cndmask_b32_e64 v9, v9, v51, s7
	v_cndmask_b32_e64 v10, v10, v28, s10
	;; [unrolled: 1-line block ×5, first 2 shown]
	v_lshrrev_b32_e32 v28, 16, v9
	v_lshlrev_b16 v36, 8, v10
	v_and_b32_e32 v48, v10, v11
	v_lshrrev_b32_e32 v51, 24, v9
	v_perm_b32 v19, v9, v10, 0x3020107
	v_and_b32_e32 v28, 0xff, v28
	v_cndmask_b32_e64 v13, v35, v13, s16
	v_and_b32_e32 v48, 0xff, v48
	v_cndmask_b32_e64 v14, v14, v22, s10
	v_cndmask_b32_e64 v29, v50, v39, s7
	v_or_b32_e32 v28, v28, v36
	v_and_b32_e32 v36, v51, v11
	s_delay_alu instid0(VALU_DEP_2) | instskip(NEXT) | instid1(VALU_DEP_2)
	v_lshlrev_b32_e32 v28, 16, v28
	v_cmp_gt_u16_e64 s14, v36, v48
	s_delay_alu instid0(VALU_DEP_2) | instskip(SKIP_1) | instid1(VALU_DEP_2)
	v_and_or_b32 v28, 0xffff, v9, v28
	s_wait_alu 0xf1ff
	v_cndmask_b32_e64 v10, v10, v19, s14
	v_cndmask_b32_e64 v22, v23, v26, s14
	;; [unrolled: 1-line block ×5, first 2 shown]
	v_lshrrev_b32_e32 v19, 16, v10
	v_lshrrev_b32_e32 v21, 8, v10
	v_perm_b32 v38, v10, v10, 0x7050604
	v_cndmask_b32_e64 v28, v17, v12, s10
	v_lshrrev_b32_e32 v25, 8, v9
	v_and_b32_e32 v19, v19, v11
	v_and_b32_e32 v21, v21, v11
	;; [unrolled: 1-line block ×3, first 2 shown]
	v_perm_b32 v36, 0, v9, 0xc0c0001
	v_and_b32_e32 v25, v25, v11
	v_and_b32_e32 v19, 0xff, v19
	;; [unrolled: 1-line block ×4, first 2 shown]
	v_cndmask_b32_e64 v12, v12, v17, s10
	v_and_b32_e32 v25, 0xff, v25
	v_cndmask_b32_e64 v18, v49, v18, s14
	v_cmp_gt_u16_e64 s11, v21, v19
	v_and_or_b32 v19, 0xffff0000, v9, v36
	s_delay_alu instid0(VALU_DEP_4) | instskip(SKIP_1) | instid1(VALU_DEP_3)
	v_cmp_gt_u16_e64 s12, v31, v25
	s_wait_alu 0xf1ff
	v_cndmask_b32_e64 v10, v10, v38, s11
	v_cndmask_b32_e64 v36, v13, v20, s11
	;; [unrolled: 1-line block ×5, first 2 shown]
	v_lshrrev_b32_e32 v19, 8, v10
	v_and_b32_e32 v25, v10, v11
	v_perm_b32 v38, v10, v10, 0x7060405
	v_lshrrev_b32_e32 v24, 16, v9
	v_lshrrev_b32_e32 v26, 24, v9
	v_and_b32_e32 v19, v19, v11
	v_and_b32_e32 v25, 0xff, v25
	v_cndmask_b32_e64 v31, v37, v4, s12
	v_and_b32_e32 v35, v24, v11
	v_perm_b32 v24, 0, v24, 0xc0c0001
	v_and_b32_e32 v19, 0xff, v19
	v_and_b32_e32 v26, v26, v11
	v_cndmask_b32_e64 v4, v4, v37, s12
	v_and_b32_e32 v35, 0xff, v35
	v_lshlrev_b32_e32 v24, 16, v24
	v_cmp_gt_u16_e64 s13, v25, v19
	v_cndmask_b32_e64 v25, v28, v27, s11
	s_delay_alu instid0(VALU_DEP_4) | instskip(NEXT) | instid1(VALU_DEP_4)
	v_cmp_gt_u16_e64 s15, v35, v26
	v_and_or_b32 v19, 0xffff, v9, v24
	s_wait_alu 0xf1ff
	v_cndmask_b32_e64 v17, v10, v38, s13
	v_cndmask_b32_e64 v10, v39, v50, s7
	;; [unrolled: 1-line block ×5, first 2 shown]
	v_lshrrev_b32_e32 v19, 16, v17
	v_lshrrev_b32_e32 v27, 24, v17
	v_perm_b32 v35, v17, v17, 0x6070504
	v_cndmask_b32_e64 v29, v15, v29, s15
	v_lshrrev_b32_e32 v20, 16, v9
	v_lshrrev_b32_e32 v24, 8, v9
	v_and_b32_e32 v19, v19, v11
	v_and_b32_e32 v27, v27, v11
	v_cndmask_b32_e64 v38, v22, v16, s15
	v_and_b32_e32 v20, v20, v11
	v_and_b32_e32 v24, v24, v11
	;; [unrolled: 1-line block ×3, first 2 shown]
	v_cndmask_b32_e64 v22, v16, v22, s15
	v_cndmask_b32_e64 v28, v10, v5, s12
	v_and_b32_e32 v20, 0xff, v20
	v_and_b32_e32 v24, 0xff, v24
	v_cmp_gt_u16_e64 s7, v19, v27
	v_perm_b32 v19, v9, v9, 0x7050604
	v_cndmask_b32_e64 v27, v18, v21, s13
	v_cndmask_b32_e64 v21, v21, v18, s13
	v_cmp_gt_u16_e64 s10, v24, v20
	s_wait_alu 0xf1ff
	v_cndmask_b32_e64 v24, v17, v35, s7
	v_cndmask_b32_e64 v20, v36, v23, s13
	;; [unrolled: 1-line block ×5, first 2 shown]
	v_and_b32_e32 v9, v24, v11
	v_lshlrev_b16 v16, 8, v24
	v_cndmask_b32_e64 v17, v39, v28, s10
	s_delay_alu instid0(VALU_DEP_4) | instskip(SKIP_3) | instid1(VALU_DEP_4)
	v_lshrrev_b32_e32 v18, 24, v19
	v_lshrrev_b32_e32 v15, 16, v19
	v_and_b32_e32 v9, 0xff, v9
	v_perm_b32 v35, v19, v24, 0x3020107
	v_and_b32_e32 v18, v18, v11
	s_delay_alu instid0(VALU_DEP_4) | instskip(SKIP_1) | instid1(VALU_DEP_3)
	v_and_b32_e32 v23, 0xff, v15
	v_cndmask_b32_e64 v15, v12, v25, s7
	v_cmp_gt_u16_e64 s11, v18, v9
	s_delay_alu instid0(VALU_DEP_3)
	v_or_b32_e32 v12, v23, v16
	v_cndmask_b32_e64 v9, v13, v14, s7
	v_cndmask_b32_e64 v14, v14, v13, s7
	v_cndmask_b32_e64 v16, v22, v31, s10
	s_wait_alu 0xf1ff
	v_cndmask_b32_e64 v23, v24, v35, s11
	v_lshlrev_b32_e32 v18, 16, v12
	v_cndmask_b32_e64 v13, v28, v39, s10
	v_cndmask_b32_e64 v12, v31, v22, s10
	;; [unrolled: 1-line block ×3, first 2 shown]
	v_lshrrev_b32_e32 v35, 16, v23
	v_lshrrev_b32_e32 v37, 8, v23
	v_and_or_b32 v18, 0xffff, v19, v18
	v_cndmask_b32_e64 v27, v27, v29, s11
	v_cndmask_b32_e64 v24, v38, v26, s11
	v_and_b32_e32 v28, v35, v11
	v_and_b32_e32 v31, v37, v11
	v_cndmask_b32_e64 v22, v19, v18, s11
	v_cndmask_b32_e64 v26, v26, v38, s11
	v_lshrrev_b32_e32 v36, 24, v23
	v_and_b32_e32 v18, 0xff, v28
	v_and_b32_e32 v19, 0xff, v31
	v_lshrrev_b64 v[28:29], 24, v[22:23]
	v_lshrrev_b32_e32 v39, 16, v22
	v_lshrrev_b32_e32 v38, 8, v22
	s_delay_alu instid0(VALU_DEP_4)
	v_cmp_gt_u16_e64 s7, v19, v18
	v_dual_mov_b32 v19, v10 :: v_dual_mov_b32 v18, v9
	s_and_saveexec_b32 s10, s7
; %bb.28:
	v_dual_mov_b32 v29, v37 :: v_dual_mov_b32 v18, v20
	v_swap_b32 v37, v35
	v_mov_b32_e32 v19, v21
	v_dual_mov_b32 v21, v10 :: v_dual_mov_b32 v20, v9
; %bb.29:
	s_wait_alu 0xfffe
	s_or_b32 exec_lo, exec_lo, s10
.LBB201_30:
	s_delay_alu instid0(SALU_CYCLE_1)
	s_or_b32 exec_lo, exec_lo, s17
	v_and_b32_e32 v10, 0xffffff00, v30
	v_or_b32_e32 v29, 8, v34
	v_and_b32_e32 v48, 8, v34
	v_and_b32_e32 v49, 0xf0, v34
	s_mov_b32 s10, exec_lo
	v_sub_nc_u32_e64 v30, 0x800, v10 clamp
	v_lshlrev_b32_e32 v9, 3, v10
	v_or_b32_e32 v53, v10, v34
	s_delay_alu instid0(VALU_DEP_3) | instskip(SKIP_1) | instid1(VALU_DEP_4)
	v_min_u32_e32 v31, v30, v29
	v_min_u32_e32 v50, v30, v48
	v_lshl_or_b32 v29, v34, 3, v9
	s_wait_loadcnt_dscnt 0x0
	ds_store_b8 v53, v22
	ds_store_b64 v29, v[4:5] offset:2048
	ds_store_b8 v53, v38 offset:1
	v_add_nc_u32_e32 v51, 8, v31
	v_sub_nc_u32_e32 v52, v31, v49
	ds_store_b64 v29, v[12:13] offset:2056
	ds_store_b8 v53, v39 offset:2
	ds_store_b64 v29, v[16:17] offset:2064
	ds_store_b8 v53, v28 offset:3
	;; [unrolled: 2-line block ×6, first 2 shown]
	ds_store_b64 v29, v[14:15] offset:2104
	v_min_u32_e32 v48, v30, v51
	v_min_u32_e32 v52, v50, v52
	; wave barrier
	s_delay_alu instid0(VALU_DEP_2) | instskip(NEXT) | instid1(VALU_DEP_1)
	v_sub_nc_u32_e32 v51, v48, v31
	v_sub_nc_u32_e64 v51, v50, v51 clamp
	s_delay_alu instid0(VALU_DEP_1)
	v_cmpx_lt_u32_e64 v51, v52
	s_cbranch_execz .LBB201_34
; %bb.31:
	v_add_nc_u32_e32 v53, v10, v49
	v_add3_u32 v54, v10, v31, v50
	s_mov_b32 s11, 0
.LBB201_32:                             ; =>This Inner Loop Header: Depth=1
	v_add_nc_u32_e32 v55, v52, v51
	s_delay_alu instid0(VALU_DEP_1) | instskip(NEXT) | instid1(VALU_DEP_1)
	v_lshrrev_b32_e32 v55, 1, v55
	v_xad_u32 v64, v55, -1, v54
	v_add_nc_u32_e32 v65, v53, v55
	v_add_nc_u32_e32 v66, 1, v55
	ds_load_u8 v64, v64
	ds_load_u8 v65, v65
	s_wait_dscnt 0x1
	v_and_b32_e32 v64, v64, v11
	s_wait_dscnt 0x0
	v_and_b32_e32 v65, v65, v11
	s_delay_alu instid0(VALU_DEP_2) | instskip(NEXT) | instid1(VALU_DEP_2)
	v_and_b32_e32 v64, 0xff, v64
	v_and_b32_e32 v65, 0xff, v65
	s_delay_alu instid0(VALU_DEP_1) | instskip(SKIP_1) | instid1(VALU_DEP_1)
	v_cmp_gt_u16_e64 s7, v65, v64
	s_wait_alu 0xf1ff
	v_cndmask_b32_e64 v52, v52, v55, s7
	v_cndmask_b32_e64 v51, v66, v51, s7
	s_delay_alu instid0(VALU_DEP_1)
	v_cmp_ge_u32_e64 s7, v51, v52
	s_wait_alu 0xfffe
	s_or_b32 s11, s7, s11
	s_wait_alu 0xfffe
	s_and_not1_b32 exec_lo, exec_lo, s11
	s_cbranch_execnz .LBB201_32
; %bb.33:
	s_or_b32 exec_lo, exec_lo, s11
.LBB201_34:
	s_wait_alu 0xfffe
	s_or_b32 exec_lo, exec_lo, s10
	v_add_nc_u32_e32 v52, v31, v50
	v_add_nc_u32_e32 v50, v51, v49
	s_delay_alu instid0(VALU_DEP_2) | instskip(NEXT) | instid1(VALU_DEP_2)
	v_sub_nc_u32_e32 v49, v52, v51
	v_cmp_le_u32_e64 s7, v50, v31
	s_delay_alu instid0(VALU_DEP_2)
	v_cmp_le_u32_e64 s10, v49, v48
	s_or_b32 s7, s7, s10
	s_wait_alu 0xfffe
	s_and_saveexec_b32 s20, s7
	s_cbranch_execz .LBB201_40
; %bb.35:
	v_cmp_lt_u32_e64 s7, v50, v31
                                        ; implicit-def: $vgpr22
	s_and_saveexec_b32 s10, s7
; %bb.36:
	v_add_nc_u32_e32 v4, v10, v50
	ds_load_u8 v22, v4
; %bb.37:
	s_wait_alu 0xfffe
	s_or_b32 exec_lo, exec_lo, s10
	v_cmp_ge_u32_e64 s10, v49, v48
	s_mov_b32 s12, exec_lo
                                        ; implicit-def: $vgpr23
	v_cmpx_lt_u32_e64 v49, v48
; %bb.38:
	v_add_nc_u32_e32 v4, v10, v49
	ds_load_u8 v23, v4
; %bb.39:
	s_wait_alu 0xfffe
	s_or_b32 exec_lo, exec_lo, s12
	s_wait_dscnt 0x0
	v_and_b32_e32 v4, v23, v11
	v_and_b32_e32 v5, v22, v11
	s_delay_alu instid0(VALU_DEP_2) | instskip(NEXT) | instid1(VALU_DEP_2)
	v_and_b32_e32 v4, 0xff, v4
	v_and_b32_e32 v5, 0xff, v5
	s_delay_alu instid0(VALU_DEP_1)
	v_cmp_le_u16_e64 s11, v5, v4
	s_and_b32 s7, s7, s11
	s_wait_alu 0xfffe
	s_or_b32 s7, s10, s7
	s_wait_alu 0xfffe
	v_cndmask_b32_e64 v4, v49, v50, s7
	v_cndmask_b32_e64 v5, v48, v31, s7
	s_delay_alu instid0(VALU_DEP_2) | instskip(NEXT) | instid1(VALU_DEP_2)
	v_add_nc_u32_e32 v12, 1, v4
	v_add_nc_u32_e32 v5, -1, v5
	v_lshl_add_u32 v4, v4, 3, v9
	s_delay_alu instid0(VALU_DEP_3) | instskip(NEXT) | instid1(VALU_DEP_3)
	v_cndmask_b32_e64 v14, v50, v12, s7
	v_min_u32_e32 v5, v12, v5
	v_cndmask_b32_e64 v12, v12, v49, s7
	s_delay_alu instid0(VALU_DEP_3) | instskip(NEXT) | instid1(VALU_DEP_3)
	v_cmp_lt_u32_e64 s10, v14, v31
	v_add_nc_u32_e32 v5, v10, v5
	s_delay_alu instid0(VALU_DEP_3)
	v_cmp_ge_u32_e64 s12, v12, v48
	ds_load_u8 v5, v5
	s_wait_dscnt 0x0
	v_cndmask_b32_e64 v28, v5, v23, s7
	v_cndmask_b32_e64 v35, v22, v5, s7
	;; [unrolled: 1-line block ×3, first 2 shown]
	s_delay_alu instid0(VALU_DEP_3) | instskip(NEXT) | instid1(VALU_DEP_3)
	v_and_b32_e32 v5, v28, v11
	v_and_b32_e32 v13, v35, v11
	s_delay_alu instid0(VALU_DEP_2) | instskip(NEXT) | instid1(VALU_DEP_2)
	v_and_b32_e32 v5, 0xff, v5
	v_and_b32_e32 v13, 0xff, v13
	s_delay_alu instid0(VALU_DEP_1)
	v_cmp_le_u16_e64 s11, v13, v5
	s_and_b32 s10, s10, s11
	s_wait_alu 0xfffe
	s_or_b32 s10, s12, s10
	s_wait_alu 0xfffe
	v_cndmask_b32_e64 v5, v12, v14, s10
	v_cndmask_b32_e64 v13, v48, v31, s10
	;; [unrolled: 1-line block ×3, first 2 shown]
	s_delay_alu instid0(VALU_DEP_3) | instskip(NEXT) | instid1(VALU_DEP_3)
	v_add_nc_u32_e32 v15, 1, v5
	v_add_nc_u32_e32 v13, -1, v13
	s_delay_alu instid0(VALU_DEP_2) | instskip(NEXT) | instid1(VALU_DEP_2)
	v_cndmask_b32_e64 v14, v14, v15, s10
	v_min_u32_e32 v13, v15, v13
	v_cndmask_b32_e64 v12, v15, v12, s10
	s_delay_alu instid0(VALU_DEP_3) | instskip(NEXT) | instid1(VALU_DEP_3)
	v_cmp_lt_u32_e64 s11, v14, v31
	v_add_nc_u32_e32 v13, v10, v13
	s_delay_alu instid0(VALU_DEP_3) | instskip(SKIP_4) | instid1(VALU_DEP_2)
	v_cmp_ge_u32_e64 s13, v12, v48
	ds_load_u8 v13, v13
	s_wait_dscnt 0x0
	v_cndmask_b32_e64 v36, v13, v28, s10
	v_cndmask_b32_e64 v37, v35, v13, s10
	v_and_b32_e32 v13, v36, v11
	s_delay_alu instid0(VALU_DEP_2) | instskip(NEXT) | instid1(VALU_DEP_2)
	v_and_b32_e32 v16, v37, v11
	v_and_b32_e32 v13, 0xff, v13
	s_delay_alu instid0(VALU_DEP_2) | instskip(NEXT) | instid1(VALU_DEP_1)
	v_and_b32_e32 v16, 0xff, v16
	v_cmp_le_u16_e64 s12, v16, v13
	s_and_b32 s11, s11, s12
	s_wait_alu 0xfffe
	s_or_b32 s11, s13, s11
	s_wait_alu 0xfffe
	v_cndmask_b32_e64 v13, v12, v14, s11
	v_cndmask_b32_e64 v15, v48, v31, s11
	v_cndmask_b32_e64 v39, v36, v37, s11
	s_delay_alu instid0(VALU_DEP_3) | instskip(NEXT) | instid1(VALU_DEP_3)
	v_add_nc_u32_e32 v16, 1, v13
	v_add_nc_u32_e32 v15, -1, v15
	s_delay_alu instid0(VALU_DEP_2) | instskip(NEXT) | instid1(VALU_DEP_2)
	v_cndmask_b32_e64 v14, v14, v16, s11
	v_min_u32_e32 v15, v16, v15
	v_cndmask_b32_e64 v12, v16, v12, s11
	s_delay_alu instid0(VALU_DEP_3) | instskip(NEXT) | instid1(VALU_DEP_3)
	v_cmp_lt_u32_e64 s12, v14, v31
	v_add_nc_u32_e32 v15, v10, v15
	s_delay_alu instid0(VALU_DEP_3) | instskip(SKIP_4) | instid1(VALU_DEP_2)
	v_cmp_ge_u32_e64 s14, v12, v48
	ds_load_u8 v15, v15
	s_wait_dscnt 0x0
	v_cndmask_b32_e64 v49, v15, v36, s11
	v_cndmask_b32_e64 v50, v37, v15, s11
	v_and_b32_e32 v15, v49, v11
	s_delay_alu instid0(VALU_DEP_2) | instskip(NEXT) | instid1(VALU_DEP_2)
	v_and_b32_e32 v17, v50, v11
	v_and_b32_e32 v15, 0xff, v15
	s_delay_alu instid0(VALU_DEP_2) | instskip(NEXT) | instid1(VALU_DEP_1)
	v_and_b32_e32 v17, 0xff, v17
	v_cmp_le_u16_e64 s13, v17, v15
	s_and_b32 s12, s12, s13
	s_wait_alu 0xfffe
	s_or_b32 s12, s14, s12
	s_wait_alu 0xfffe
	v_cndmask_b32_e64 v15, v12, v14, s12
	v_cndmask_b32_e64 v16, v48, v31, s12
	v_cndmask_b32_e64 v28, v49, v50, s12
	s_delay_alu instid0(VALU_DEP_3) | instskip(NEXT) | instid1(VALU_DEP_3)
	v_add_nc_u32_e32 v17, 1, v15
	v_add_nc_u32_e32 v16, -1, v16
	v_lshl_add_u32 v15, v15, 3, v9
	s_delay_alu instid0(VALU_DEP_3) | instskip(NEXT) | instid1(VALU_DEP_3)
	v_cndmask_b32_e64 v14, v14, v17, s12
	v_min_u32_e32 v16, v17, v16
	v_cndmask_b32_e64 v12, v17, v12, s12
	s_delay_alu instid0(VALU_DEP_3) | instskip(NEXT) | instid1(VALU_DEP_3)
	v_cmp_lt_u32_e64 s13, v14, v31
	v_add_nc_u32_e32 v16, v10, v16
	s_delay_alu instid0(VALU_DEP_3) | instskip(SKIP_4) | instid1(VALU_DEP_2)
	v_cmp_ge_u32_e64 s15, v12, v48
	ds_load_u8 v16, v16
	s_wait_dscnt 0x0
	v_cndmask_b32_e64 v51, v16, v49, s12
	v_cndmask_b32_e64 v52, v50, v16, s12
	v_and_b32_e32 v16, v51, v11
	s_delay_alu instid0(VALU_DEP_2) | instskip(NEXT) | instid1(VALU_DEP_2)
	v_and_b32_e32 v18, v52, v11
	v_and_b32_e32 v16, 0xff, v16
	s_delay_alu instid0(VALU_DEP_2) | instskip(NEXT) | instid1(VALU_DEP_1)
	v_and_b32_e32 v18, 0xff, v18
	v_cmp_le_u16_e64 s14, v18, v16
	s_and_b32 s13, s13, s14
	s_wait_alu 0xfffe
	s_or_b32 s13, s15, s13
	s_wait_alu 0xfffe
	v_cndmask_b32_e64 v18, v12, v14, s13
	v_cndmask_b32_e64 v16, v48, v31, s13
	v_cndmask_b32_e64 v23, v51, v52, s13
	s_delay_alu instid0(VALU_DEP_3) | instskip(NEXT) | instid1(VALU_DEP_3)
	v_add_nc_u32_e32 v17, 1, v18
	v_add_nc_u32_e32 v16, -1, v16
	v_lshl_add_u32 v18, v18, 3, v9
	s_delay_alu instid0(VALU_DEP_3) | instskip(NEXT) | instid1(VALU_DEP_3)
	;; [unrolled: 31-line block ×3, first 2 shown]
	v_cndmask_b32_e64 v14, v14, v17, s14
	v_min_u32_e32 v16, v17, v16
	v_cndmask_b32_e64 v12, v17, v12, s14
	s_delay_alu instid0(VALU_DEP_3) | instskip(NEXT) | instid1(VALU_DEP_3)
	v_cmp_lt_u32_e64 s15, v14, v31
	v_add_nc_u32_e32 v16, v10, v16
	s_delay_alu instid0(VALU_DEP_3) | instskip(SKIP_4) | instid1(VALU_DEP_2)
	v_cmp_ge_u32_e64 s17, v12, v48
	ds_load_u8 v16, v16
	s_wait_dscnt 0x0
	v_cndmask_b32_e64 v55, v16, v53, s14
	v_cndmask_b32_e64 v64, v54, v16, s14
	v_and_b32_e32 v16, v55, v11
	s_delay_alu instid0(VALU_DEP_2) | instskip(NEXT) | instid1(VALU_DEP_2)
	v_and_b32_e32 v20, v64, v11
	v_and_b32_e32 v16, 0xff, v16
	s_delay_alu instid0(VALU_DEP_2) | instskip(NEXT) | instid1(VALU_DEP_1)
	v_and_b32_e32 v20, 0xff, v20
	v_cmp_le_u16_e64 s16, v20, v16
	s_and_b32 s15, s15, s16
	s_wait_alu 0xfffe
	s_or_b32 s15, s17, s15
	s_wait_alu 0xfffe
	v_cndmask_b32_e64 v20, v12, v14, s15
	v_cndmask_b32_e64 v16, v48, v31, s15
	;; [unrolled: 1-line block ×3, first 2 shown]
	s_delay_alu instid0(VALU_DEP_3) | instskip(NEXT) | instid1(VALU_DEP_3)
	v_add_nc_u32_e32 v17, 1, v20
	v_add_nc_u32_e32 v16, -1, v16
	s_delay_alu instid0(VALU_DEP_2) | instskip(NEXT) | instid1(VALU_DEP_2)
	v_cndmask_b32_e64 v14, v14, v17, s15
	v_min_u32_e32 v16, v17, v16
	v_cndmask_b32_e64 v24, v17, v12, s15
	v_lshl_add_u32 v12, v5, 3, v9
	s_delay_alu instid0(VALU_DEP_4) | instskip(NEXT) | instid1(VALU_DEP_4)
	v_cmp_lt_u32_e64 s16, v14, v31
	v_add_nc_u32_e32 v16, v10, v16
	s_delay_alu instid0(VALU_DEP_4)
	v_cmp_ge_u32_e64 s18, v24, v48
	v_lshl_add_u32 v31, v20, 3, v9
	ds_load_u8 v16, v16
	s_wait_dscnt 0x0
	v_cndmask_b32_e64 v65, v16, v55, s15
	v_cndmask_b32_e64 v66, v64, v16, s15
	s_delay_alu instid0(VALU_DEP_2) | instskip(NEXT) | instid1(VALU_DEP_2)
	v_and_b32_e32 v16, v65, v11
	v_and_b32_e32 v21, v66, v11
	s_delay_alu instid0(VALU_DEP_2) | instskip(NEXT) | instid1(VALU_DEP_2)
	v_and_b32_e32 v16, 0xff, v16
	v_and_b32_e32 v21, 0xff, v21
	s_delay_alu instid0(VALU_DEP_1)
	v_cmp_le_u16_e64 s17, v21, v16
	v_lshl_add_u32 v16, v13, 3, v9
	ds_load_b64 v[4:5], v4 offset:2048
	ds_load_b64 v[12:13], v12 offset:2048
	s_and_b32 s16, s16, s17
	ds_load_b64 v[16:17], v16 offset:2048
	s_wait_alu 0xfffe
	s_or_b32 s16, s18, s16
	s_wait_alu 0xfffe
	v_cndmask_b32_e64 v14, v24, v14, s16
	v_cndmask_b32_e64 v36, v65, v66, s16
	s_delay_alu instid0(VALU_DEP_2)
	v_lshl_add_u32 v14, v14, 3, v9
	ds_load_b64 v[24:25], v15 offset:2048
	ds_load_b64 v[26:27], v18 offset:2048
	;; [unrolled: 1-line block ×5, first 2 shown]
.LBB201_40:
	s_wait_alu 0xfffe
	s_or_b32 exec_lo, exec_lo, s20
	v_and_b32_e32 v50, 0xe0, v34
	v_and_b32_e32 v51, 24, v34
	s_mov_b32 s10, exec_lo
	; wave barrier
	s_delay_alu instid0(VALU_DEP_2) | instskip(NEXT) | instid1(VALU_DEP_2)
	v_or_b32_e32 v31, 16, v50
	v_min_u32_e32 v51, v30, v51
	s_delay_alu instid0(VALU_DEP_2)
	v_min_u32_e32 v48, v30, v31
	v_add_nc_u32_e32 v31, v10, v34
	ds_store_b8 v31, v22
	s_wait_dscnt 0x8
	ds_store_b64 v29, v[4:5] offset:2048
	ds_store_b8 v31, v38 offset:1
	s_wait_dscnt 0x9
	ds_store_b64 v29, v[12:13] offset:2056
	v_add_nc_u32_e32 v49, 16, v48
	v_sub_nc_u32_e32 v53, v48, v50
	ds_store_b8 v31, v39 offset:2
	s_wait_dscnt 0xa
	ds_store_b64 v29, v[16:17] offset:2064
	ds_store_b8 v31, v28 offset:3
	s_wait_dscnt 0xb
	ds_store_b64 v29, v[24:25] offset:2072
	;; [unrolled: 3-line block ×6, first 2 shown]
	v_min_u32_e32 v49, v30, v49
	v_min_u32_e32 v53, v51, v53
	; wave barrier
	s_delay_alu instid0(VALU_DEP_2) | instskip(NEXT) | instid1(VALU_DEP_1)
	v_sub_nc_u32_e32 v52, v49, v48
	v_sub_nc_u32_e64 v52, v51, v52 clamp
	s_delay_alu instid0(VALU_DEP_1)
	v_cmpx_lt_u32_e64 v52, v53
	s_cbranch_execz .LBB201_44
; %bb.41:
	v_add_nc_u32_e32 v54, v10, v50
	v_add3_u32 v55, v10, v48, v51
	s_mov_b32 s11, 0
.LBB201_42:                             ; =>This Inner Loop Header: Depth=1
	v_add_nc_u32_e32 v64, v53, v52
	s_delay_alu instid0(VALU_DEP_1) | instskip(NEXT) | instid1(VALU_DEP_1)
	v_lshrrev_b32_e32 v64, 1, v64
	v_xad_u32 v65, v64, -1, v55
	v_add_nc_u32_e32 v66, v54, v64
	v_add_nc_u32_e32 v67, 1, v64
	ds_load_u8 v65, v65
	ds_load_u8 v66, v66
	s_wait_dscnt 0x1
	v_and_b32_e32 v65, v65, v11
	s_wait_dscnt 0x0
	v_and_b32_e32 v66, v66, v11
	s_delay_alu instid0(VALU_DEP_2) | instskip(NEXT) | instid1(VALU_DEP_2)
	v_and_b32_e32 v65, 0xff, v65
	v_and_b32_e32 v66, 0xff, v66
	s_delay_alu instid0(VALU_DEP_1) | instskip(SKIP_1) | instid1(VALU_DEP_1)
	v_cmp_gt_u16_e64 s7, v66, v65
	s_wait_alu 0xf1ff
	v_cndmask_b32_e64 v53, v53, v64, s7
	v_cndmask_b32_e64 v52, v67, v52, s7
	s_delay_alu instid0(VALU_DEP_1)
	v_cmp_ge_u32_e64 s7, v52, v53
	s_wait_alu 0xfffe
	s_or_b32 s11, s7, s11
	s_wait_alu 0xfffe
	s_and_not1_b32 exec_lo, exec_lo, s11
	s_cbranch_execnz .LBB201_42
; %bb.43:
	s_or_b32 exec_lo, exec_lo, s11
.LBB201_44:
	s_wait_alu 0xfffe
	s_or_b32 exec_lo, exec_lo, s10
	v_add_nc_u32_e32 v53, v48, v51
	v_add_nc_u32_e32 v51, v52, v50
	s_delay_alu instid0(VALU_DEP_2) | instskip(NEXT) | instid1(VALU_DEP_2)
	v_sub_nc_u32_e32 v50, v53, v52
	v_cmp_le_u32_e64 s7, v51, v48
	s_delay_alu instid0(VALU_DEP_2)
	v_cmp_le_u32_e64 s10, v50, v49
	s_or_b32 s7, s7, s10
	s_wait_alu 0xfffe
	s_and_saveexec_b32 s20, s7
	s_cbranch_execz .LBB201_50
; %bb.45:
	v_cmp_lt_u32_e64 s7, v51, v48
                                        ; implicit-def: $vgpr22
	s_and_saveexec_b32 s10, s7
; %bb.46:
	v_add_nc_u32_e32 v4, v10, v51
	ds_load_u8 v22, v4
; %bb.47:
	s_wait_alu 0xfffe
	s_or_b32 exec_lo, exec_lo, s10
	v_cmp_ge_u32_e64 s10, v50, v49
	s_mov_b32 s12, exec_lo
                                        ; implicit-def: $vgpr23
	v_cmpx_lt_u32_e64 v50, v49
; %bb.48:
	v_add_nc_u32_e32 v4, v10, v50
	ds_load_u8 v23, v4
; %bb.49:
	s_wait_alu 0xfffe
	s_or_b32 exec_lo, exec_lo, s12
	s_wait_dscnt 0x0
	v_and_b32_e32 v4, v23, v11
	v_and_b32_e32 v5, v22, v11
	s_delay_alu instid0(VALU_DEP_2) | instskip(NEXT) | instid1(VALU_DEP_2)
	v_and_b32_e32 v4, 0xff, v4
	v_and_b32_e32 v5, 0xff, v5
	s_delay_alu instid0(VALU_DEP_1)
	v_cmp_le_u16_e64 s11, v5, v4
	s_and_b32 s7, s7, s11
	s_wait_alu 0xfffe
	s_or_b32 s7, s10, s7
	s_wait_alu 0xfffe
	v_cndmask_b32_e64 v4, v50, v51, s7
	v_cndmask_b32_e64 v5, v49, v48, s7
	s_delay_alu instid0(VALU_DEP_2) | instskip(NEXT) | instid1(VALU_DEP_2)
	v_add_nc_u32_e32 v12, 1, v4
	v_add_nc_u32_e32 v5, -1, v5
	v_lshl_add_u32 v4, v4, 3, v9
	s_delay_alu instid0(VALU_DEP_3) | instskip(NEXT) | instid1(VALU_DEP_3)
	v_cndmask_b32_e64 v14, v51, v12, s7
	v_min_u32_e32 v5, v12, v5
	v_cndmask_b32_e64 v12, v12, v50, s7
	s_delay_alu instid0(VALU_DEP_3) | instskip(NEXT) | instid1(VALU_DEP_3)
	v_cmp_lt_u32_e64 s10, v14, v48
	v_add_nc_u32_e32 v5, v10, v5
	s_delay_alu instid0(VALU_DEP_3)
	v_cmp_ge_u32_e64 s12, v12, v49
	ds_load_u8 v5, v5
	s_wait_dscnt 0x0
	v_cndmask_b32_e64 v28, v5, v23, s7
	v_cndmask_b32_e64 v35, v22, v5, s7
	;; [unrolled: 1-line block ×3, first 2 shown]
	s_delay_alu instid0(VALU_DEP_3) | instskip(NEXT) | instid1(VALU_DEP_3)
	v_and_b32_e32 v5, v28, v11
	v_and_b32_e32 v13, v35, v11
	s_delay_alu instid0(VALU_DEP_2) | instskip(NEXT) | instid1(VALU_DEP_2)
	v_and_b32_e32 v5, 0xff, v5
	v_and_b32_e32 v13, 0xff, v13
	s_delay_alu instid0(VALU_DEP_1)
	v_cmp_le_u16_e64 s11, v13, v5
	s_and_b32 s10, s10, s11
	s_wait_alu 0xfffe
	s_or_b32 s10, s12, s10
	s_wait_alu 0xfffe
	v_cndmask_b32_e64 v5, v12, v14, s10
	v_cndmask_b32_e64 v13, v49, v48, s10
	s_delay_alu instid0(VALU_DEP_2) | instskip(NEXT) | instid1(VALU_DEP_2)
	v_add_nc_u32_e32 v15, 1, v5
	v_add_nc_u32_e32 v13, -1, v13
	s_delay_alu instid0(VALU_DEP_2) | instskip(NEXT) | instid1(VALU_DEP_2)
	v_cndmask_b32_e64 v14, v14, v15, s10
	v_min_u32_e32 v13, v15, v13
	v_cndmask_b32_e64 v12, v15, v12, s10
	s_delay_alu instid0(VALU_DEP_3) | instskip(NEXT) | instid1(VALU_DEP_3)
	v_cmp_lt_u32_e64 s11, v14, v48
	v_add_nc_u32_e32 v13, v10, v13
	s_delay_alu instid0(VALU_DEP_3) | instskip(SKIP_4) | instid1(VALU_DEP_2)
	v_cmp_ge_u32_e64 s13, v12, v49
	ds_load_u8 v13, v13
	s_wait_dscnt 0x0
	v_cndmask_b32_e64 v36, v13, v28, s10
	v_cndmask_b32_e64 v37, v35, v13, s10
	v_and_b32_e32 v13, v36, v11
	s_delay_alu instid0(VALU_DEP_2) | instskip(NEXT) | instid1(VALU_DEP_2)
	v_and_b32_e32 v16, v37, v11
	v_and_b32_e32 v13, 0xff, v13
	s_delay_alu instid0(VALU_DEP_2) | instskip(NEXT) | instid1(VALU_DEP_1)
	v_and_b32_e32 v16, 0xff, v16
	v_cmp_le_u16_e64 s12, v16, v13
	s_and_b32 s11, s11, s12
	s_wait_alu 0xfffe
	s_or_b32 s11, s13, s11
	s_wait_alu 0xfffe
	v_cndmask_b32_e64 v13, v12, v14, s11
	v_cndmask_b32_e64 v15, v49, v48, s11
	;; [unrolled: 1-line block ×3, first 2 shown]
	s_delay_alu instid0(VALU_DEP_3) | instskip(NEXT) | instid1(VALU_DEP_3)
	v_add_nc_u32_e32 v16, 1, v13
	v_add_nc_u32_e32 v15, -1, v15
	s_delay_alu instid0(VALU_DEP_2) | instskip(NEXT) | instid1(VALU_DEP_2)
	v_cndmask_b32_e64 v14, v14, v16, s11
	v_min_u32_e32 v15, v16, v15
	v_cndmask_b32_e64 v12, v16, v12, s11
	s_delay_alu instid0(VALU_DEP_3) | instskip(NEXT) | instid1(VALU_DEP_3)
	v_cmp_lt_u32_e64 s12, v14, v48
	v_add_nc_u32_e32 v15, v10, v15
	s_delay_alu instid0(VALU_DEP_3) | instskip(SKIP_4) | instid1(VALU_DEP_2)
	v_cmp_ge_u32_e64 s14, v12, v49
	ds_load_u8 v15, v15
	s_wait_dscnt 0x0
	v_cndmask_b32_e64 v50, v15, v36, s11
	v_cndmask_b32_e64 v51, v37, v15, s11
	v_and_b32_e32 v15, v50, v11
	s_delay_alu instid0(VALU_DEP_2) | instskip(NEXT) | instid1(VALU_DEP_2)
	v_and_b32_e32 v17, v51, v11
	v_and_b32_e32 v15, 0xff, v15
	s_delay_alu instid0(VALU_DEP_2) | instskip(NEXT) | instid1(VALU_DEP_1)
	v_and_b32_e32 v17, 0xff, v17
	v_cmp_le_u16_e64 s13, v17, v15
	s_and_b32 s12, s12, s13
	s_wait_alu 0xfffe
	s_or_b32 s12, s14, s12
	s_wait_alu 0xfffe
	v_cndmask_b32_e64 v15, v12, v14, s12
	v_cndmask_b32_e64 v16, v49, v48, s12
	s_delay_alu instid0(VALU_DEP_2) | instskip(NEXT) | instid1(VALU_DEP_2)
	v_add_nc_u32_e32 v17, 1, v15
	v_add_nc_u32_e32 v16, -1, v16
	v_lshl_add_u32 v15, v15, 3, v9
	s_delay_alu instid0(VALU_DEP_3) | instskip(NEXT) | instid1(VALU_DEP_3)
	v_cndmask_b32_e64 v14, v14, v17, s12
	v_min_u32_e32 v16, v17, v16
	v_cndmask_b32_e64 v12, v17, v12, s12
	s_delay_alu instid0(VALU_DEP_3) | instskip(NEXT) | instid1(VALU_DEP_3)
	v_cmp_lt_u32_e64 s13, v14, v48
	v_add_nc_u32_e32 v16, v10, v16
	s_delay_alu instid0(VALU_DEP_3) | instskip(SKIP_4) | instid1(VALU_DEP_2)
	v_cmp_ge_u32_e64 s15, v12, v49
	ds_load_u8 v16, v16
	s_wait_dscnt 0x0
	v_cndmask_b32_e64 v52, v16, v50, s12
	v_cndmask_b32_e64 v53, v51, v16, s12
	v_and_b32_e32 v16, v52, v11
	s_delay_alu instid0(VALU_DEP_2) | instskip(NEXT) | instid1(VALU_DEP_2)
	v_and_b32_e32 v18, v53, v11
	v_and_b32_e32 v16, 0xff, v16
	s_delay_alu instid0(VALU_DEP_2) | instskip(NEXT) | instid1(VALU_DEP_1)
	v_and_b32_e32 v18, 0xff, v18
	v_cmp_le_u16_e64 s14, v18, v16
	s_and_b32 s13, s13, s14
	s_wait_alu 0xfffe
	s_or_b32 s13, s15, s13
	s_wait_alu 0xfffe
	v_cndmask_b32_e64 v18, v12, v14, s13
	v_cndmask_b32_e64 v16, v49, v48, s13
	v_cndmask_b32_e64 v23, v52, v53, s13
	s_delay_alu instid0(VALU_DEP_3) | instskip(NEXT) | instid1(VALU_DEP_3)
	v_add_nc_u32_e32 v17, 1, v18
	v_add_nc_u32_e32 v16, -1, v16
	v_lshl_add_u32 v18, v18, 3, v9
	s_delay_alu instid0(VALU_DEP_3) | instskip(NEXT) | instid1(VALU_DEP_3)
	v_cndmask_b32_e64 v14, v14, v17, s13
	v_min_u32_e32 v16, v17, v16
	v_cndmask_b32_e64 v12, v17, v12, s13
	s_delay_alu instid0(VALU_DEP_3) | instskip(NEXT) | instid1(VALU_DEP_3)
	v_cmp_lt_u32_e64 s14, v14, v48
	v_add_nc_u32_e32 v16, v10, v16
	s_delay_alu instid0(VALU_DEP_3) | instskip(SKIP_4) | instid1(VALU_DEP_2)
	v_cmp_ge_u32_e64 s16, v12, v49
	ds_load_u8 v16, v16
	s_wait_dscnt 0x0
	v_cndmask_b32_e64 v54, v16, v52, s13
	v_cndmask_b32_e64 v55, v53, v16, s13
	v_and_b32_e32 v16, v54, v11
	s_delay_alu instid0(VALU_DEP_2) | instskip(NEXT) | instid1(VALU_DEP_2)
	v_and_b32_e32 v19, v55, v11
	v_and_b32_e32 v16, 0xff, v16
	s_delay_alu instid0(VALU_DEP_2) | instskip(NEXT) | instid1(VALU_DEP_1)
	v_and_b32_e32 v19, 0xff, v19
	v_cmp_le_u16_e64 s15, v19, v16
	s_and_b32 s14, s14, s15
	s_wait_alu 0xfffe
	s_or_b32 s14, s16, s14
	s_wait_alu 0xfffe
	v_cndmask_b32_e64 v19, v12, v14, s14
	v_cndmask_b32_e64 v16, v49, v48, s14
	v_cndmask_b32_e64 v37, v54, v55, s14
	s_delay_alu instid0(VALU_DEP_3) | instskip(NEXT) | instid1(VALU_DEP_3)
	v_add_nc_u32_e32 v17, 1, v19
	v_add_nc_u32_e32 v16, -1, v16
	v_lshl_add_u32 v19, v19, 3, v9
	s_delay_alu instid0(VALU_DEP_3) | instskip(NEXT) | instid1(VALU_DEP_3)
	v_cndmask_b32_e64 v14, v14, v17, s14
	v_min_u32_e32 v16, v17, v16
	v_cndmask_b32_e64 v12, v17, v12, s14
	s_delay_alu instid0(VALU_DEP_3) | instskip(NEXT) | instid1(VALU_DEP_3)
	v_cmp_lt_u32_e64 s15, v14, v48
	v_add_nc_u32_e32 v16, v10, v16
	s_delay_alu instid0(VALU_DEP_3) | instskip(SKIP_4) | instid1(VALU_DEP_2)
	v_cmp_ge_u32_e64 s17, v12, v49
	ds_load_u8 v16, v16
	s_wait_dscnt 0x0
	v_cndmask_b32_e64 v64, v16, v54, s14
	v_cndmask_b32_e64 v65, v55, v16, s14
	v_and_b32_e32 v16, v64, v11
	s_delay_alu instid0(VALU_DEP_2) | instskip(NEXT) | instid1(VALU_DEP_2)
	v_and_b32_e32 v20, v65, v11
	v_and_b32_e32 v16, 0xff, v16
	s_delay_alu instid0(VALU_DEP_2) | instskip(NEXT) | instid1(VALU_DEP_1)
	v_and_b32_e32 v20, 0xff, v20
	v_cmp_le_u16_e64 s16, v20, v16
	s_and_b32 s15, s15, s16
	s_wait_alu 0xfffe
	s_or_b32 s15, s17, s15
	s_wait_alu 0xfffe
	v_cndmask_b32_e64 v20, v12, v14, s15
	v_cndmask_b32_e64 v16, v49, v48, s15
	s_delay_alu instid0(VALU_DEP_2) | instskip(NEXT) | instid1(VALU_DEP_2)
	v_add_nc_u32_e32 v17, 1, v20
	v_add_nc_u32_e32 v16, -1, v16
	v_lshl_add_u32 v38, v20, 3, v9
	s_delay_alu instid0(VALU_DEP_3) | instskip(NEXT) | instid1(VALU_DEP_3)
	v_cndmask_b32_e64 v14, v14, v17, s15
	v_min_u32_e32 v16, v17, v16
	v_cndmask_b32_e64 v24, v17, v12, s15
	v_lshl_add_u32 v12, v5, 3, v9
	s_delay_alu instid0(VALU_DEP_4) | instskip(NEXT) | instid1(VALU_DEP_4)
	v_cmp_lt_u32_e64 s16, v14, v48
	v_add_nc_u32_e32 v16, v10, v16
	s_delay_alu instid0(VALU_DEP_4) | instskip(SKIP_4) | instid1(VALU_DEP_2)
	v_cmp_ge_u32_e64 s18, v24, v49
	ds_load_u8 v16, v16
	s_wait_dscnt 0x0
	v_cndmask_b32_e64 v66, v16, v64, s15
	v_cndmask_b32_e64 v67, v65, v16, s15
	v_and_b32_e32 v16, v66, v11
	s_delay_alu instid0(VALU_DEP_2) | instskip(NEXT) | instid1(VALU_DEP_2)
	v_and_b32_e32 v21, v67, v11
	v_and_b32_e32 v16, 0xff, v16
	s_delay_alu instid0(VALU_DEP_2) | instskip(NEXT) | instid1(VALU_DEP_1)
	v_and_b32_e32 v21, 0xff, v21
	v_cmp_le_u16_e64 s17, v21, v16
	v_lshl_add_u32 v16, v13, 3, v9
	ds_load_b64 v[4:5], v4 offset:2048
	ds_load_b64 v[12:13], v12 offset:2048
	s_and_b32 s16, s16, s17
	ds_load_b64 v[16:17], v16 offset:2048
	s_wait_alu 0xfffe
	s_or_b32 s16, s18, s16
	s_wait_alu 0xfffe
	v_cndmask_b32_e64 v14, v24, v14, s16
	v_cndmask_b32_e64 v36, v66, v67, s16
	s_delay_alu instid0(VALU_DEP_2)
	v_lshl_add_u32 v14, v14, 3, v9
	ds_load_b64 v[24:25], v15 offset:2048
	ds_load_b64 v[26:27], v18 offset:2048
	;; [unrolled: 1-line block ×5, first 2 shown]
	v_cndmask_b32_e64 v38, v28, v35, s10
	v_cndmask_b32_e64 v28, v50, v51, s12
	;; [unrolled: 1-line block ×3, first 2 shown]
.LBB201_50:
	s_wait_alu 0xfffe
	s_or_b32 exec_lo, exec_lo, s20
	v_and_b32_e32 v50, 0xc0, v34
	v_and_b32_e32 v51, 56, v34
	s_mov_b32 s10, exec_lo
	; wave barrier
	s_delay_alu instid0(VALU_DEP_2) | instskip(NEXT) | instid1(VALU_DEP_2)
	v_or_b32_e32 v48, 32, v50
	v_min_u32_e32 v51, v30, v51
	ds_store_b8 v31, v22
	s_wait_dscnt 0x8
	ds_store_b64 v29, v[4:5] offset:2048
	ds_store_b8 v31, v38 offset:1
	s_wait_dscnt 0x9
	ds_store_b64 v29, v[12:13] offset:2056
	ds_store_b8 v31, v39 offset:2
	;; [unrolled: 3-line block ×3, first 2 shown]
	v_min_u32_e32 v48, v30, v48
	s_wait_dscnt 0xb
	ds_store_b64 v29, v[24:25] offset:2072
	ds_store_b8 v31, v23 offset:4
	s_wait_dscnt 0xc
	ds_store_b64 v29, v[26:27] offset:2080
	ds_store_b8 v31, v37 offset:5
	;; [unrolled: 3-line block ×4, first 2 shown]
	s_wait_dscnt 0xf
	ds_store_b64 v29, v[14:15] offset:2104
	; wave barrier
	v_add_nc_u32_e32 v49, 32, v48
	v_sub_nc_u32_e32 v53, v48, v50
	s_delay_alu instid0(VALU_DEP_2) | instskip(NEXT) | instid1(VALU_DEP_2)
	v_min_u32_e32 v49, v30, v49
	v_min_u32_e32 v53, v51, v53
	s_delay_alu instid0(VALU_DEP_2) | instskip(NEXT) | instid1(VALU_DEP_1)
	v_sub_nc_u32_e32 v52, v49, v48
	v_sub_nc_u32_e64 v52, v51, v52 clamp
	s_delay_alu instid0(VALU_DEP_1)
	v_cmpx_lt_u32_e64 v52, v53
	s_cbranch_execz .LBB201_54
; %bb.51:
	v_add_nc_u32_e32 v54, v10, v50
	v_add3_u32 v55, v10, v48, v51
	s_mov_b32 s11, 0
.LBB201_52:                             ; =>This Inner Loop Header: Depth=1
	v_add_nc_u32_e32 v64, v53, v52
	s_delay_alu instid0(VALU_DEP_1) | instskip(NEXT) | instid1(VALU_DEP_1)
	v_lshrrev_b32_e32 v64, 1, v64
	v_xad_u32 v65, v64, -1, v55
	v_add_nc_u32_e32 v66, v54, v64
	v_add_nc_u32_e32 v67, 1, v64
	ds_load_u8 v65, v65
	ds_load_u8 v66, v66
	s_wait_dscnt 0x1
	v_and_b32_e32 v65, v65, v11
	s_wait_dscnt 0x0
	v_and_b32_e32 v66, v66, v11
	s_delay_alu instid0(VALU_DEP_2) | instskip(NEXT) | instid1(VALU_DEP_2)
	v_and_b32_e32 v65, 0xff, v65
	v_and_b32_e32 v66, 0xff, v66
	s_delay_alu instid0(VALU_DEP_1) | instskip(SKIP_1) | instid1(VALU_DEP_1)
	v_cmp_gt_u16_e64 s7, v66, v65
	s_wait_alu 0xf1ff
	v_cndmask_b32_e64 v53, v53, v64, s7
	v_cndmask_b32_e64 v52, v67, v52, s7
	s_delay_alu instid0(VALU_DEP_1)
	v_cmp_ge_u32_e64 s7, v52, v53
	s_wait_alu 0xfffe
	s_or_b32 s11, s7, s11
	s_wait_alu 0xfffe
	s_and_not1_b32 exec_lo, exec_lo, s11
	s_cbranch_execnz .LBB201_52
; %bb.53:
	s_or_b32 exec_lo, exec_lo, s11
.LBB201_54:
	s_wait_alu 0xfffe
	s_or_b32 exec_lo, exec_lo, s10
	v_add_nc_u32_e32 v53, v48, v51
	v_add_nc_u32_e32 v51, v52, v50
	s_delay_alu instid0(VALU_DEP_2) | instskip(NEXT) | instid1(VALU_DEP_2)
	v_sub_nc_u32_e32 v50, v53, v52
	v_cmp_le_u32_e64 s7, v51, v48
	s_delay_alu instid0(VALU_DEP_2)
	v_cmp_le_u32_e64 s10, v50, v49
	s_or_b32 s7, s7, s10
	s_wait_alu 0xfffe
	s_and_saveexec_b32 s20, s7
	s_cbranch_execz .LBB201_60
; %bb.55:
	v_cmp_lt_u32_e64 s7, v51, v48
                                        ; implicit-def: $vgpr22
	s_and_saveexec_b32 s10, s7
; %bb.56:
	v_add_nc_u32_e32 v4, v10, v51
	ds_load_u8 v22, v4
; %bb.57:
	s_wait_alu 0xfffe
	s_or_b32 exec_lo, exec_lo, s10
	v_cmp_ge_u32_e64 s10, v50, v49
	s_mov_b32 s12, exec_lo
                                        ; implicit-def: $vgpr23
	v_cmpx_lt_u32_e64 v50, v49
; %bb.58:
	v_add_nc_u32_e32 v4, v10, v50
	ds_load_u8 v23, v4
; %bb.59:
	s_wait_alu 0xfffe
	s_or_b32 exec_lo, exec_lo, s12
	s_wait_dscnt 0x0
	v_and_b32_e32 v4, v23, v11
	v_and_b32_e32 v5, v22, v11
	s_delay_alu instid0(VALU_DEP_2) | instskip(NEXT) | instid1(VALU_DEP_2)
	v_and_b32_e32 v4, 0xff, v4
	v_and_b32_e32 v5, 0xff, v5
	s_delay_alu instid0(VALU_DEP_1)
	v_cmp_le_u16_e64 s11, v5, v4
	s_and_b32 s7, s7, s11
	s_wait_alu 0xfffe
	s_or_b32 s7, s10, s7
	s_wait_alu 0xfffe
	v_cndmask_b32_e64 v4, v50, v51, s7
	v_cndmask_b32_e64 v5, v49, v48, s7
	s_delay_alu instid0(VALU_DEP_2) | instskip(NEXT) | instid1(VALU_DEP_2)
	v_add_nc_u32_e32 v12, 1, v4
	v_add_nc_u32_e32 v5, -1, v5
	v_lshl_add_u32 v4, v4, 3, v9
	s_delay_alu instid0(VALU_DEP_3) | instskip(NEXT) | instid1(VALU_DEP_3)
	v_cndmask_b32_e64 v14, v51, v12, s7
	v_min_u32_e32 v5, v12, v5
	v_cndmask_b32_e64 v12, v12, v50, s7
	s_delay_alu instid0(VALU_DEP_3) | instskip(NEXT) | instid1(VALU_DEP_3)
	v_cmp_lt_u32_e64 s10, v14, v48
	v_add_nc_u32_e32 v5, v10, v5
	s_delay_alu instid0(VALU_DEP_3)
	v_cmp_ge_u32_e64 s12, v12, v49
	ds_load_u8 v5, v5
	s_wait_dscnt 0x0
	v_cndmask_b32_e64 v28, v5, v23, s7
	v_cndmask_b32_e64 v35, v22, v5, s7
	;; [unrolled: 1-line block ×3, first 2 shown]
	s_delay_alu instid0(VALU_DEP_3) | instskip(NEXT) | instid1(VALU_DEP_3)
	v_and_b32_e32 v5, v28, v11
	v_and_b32_e32 v13, v35, v11
	s_delay_alu instid0(VALU_DEP_2) | instskip(NEXT) | instid1(VALU_DEP_2)
	v_and_b32_e32 v5, 0xff, v5
	v_and_b32_e32 v13, 0xff, v13
	s_delay_alu instid0(VALU_DEP_1)
	v_cmp_le_u16_e64 s11, v13, v5
	s_and_b32 s10, s10, s11
	s_wait_alu 0xfffe
	s_or_b32 s10, s12, s10
	s_wait_alu 0xfffe
	v_cndmask_b32_e64 v5, v12, v14, s10
	v_cndmask_b32_e64 v13, v49, v48, s10
	s_delay_alu instid0(VALU_DEP_2) | instskip(NEXT) | instid1(VALU_DEP_2)
	v_add_nc_u32_e32 v15, 1, v5
	v_add_nc_u32_e32 v13, -1, v13
	s_delay_alu instid0(VALU_DEP_2) | instskip(NEXT) | instid1(VALU_DEP_2)
	v_cndmask_b32_e64 v14, v14, v15, s10
	v_min_u32_e32 v13, v15, v13
	v_cndmask_b32_e64 v12, v15, v12, s10
	s_delay_alu instid0(VALU_DEP_3) | instskip(NEXT) | instid1(VALU_DEP_3)
	v_cmp_lt_u32_e64 s11, v14, v48
	v_add_nc_u32_e32 v13, v10, v13
	s_delay_alu instid0(VALU_DEP_3) | instskip(SKIP_4) | instid1(VALU_DEP_2)
	v_cmp_ge_u32_e64 s13, v12, v49
	ds_load_u8 v13, v13
	s_wait_dscnt 0x0
	v_cndmask_b32_e64 v36, v13, v28, s10
	v_cndmask_b32_e64 v37, v35, v13, s10
	v_and_b32_e32 v13, v36, v11
	s_delay_alu instid0(VALU_DEP_2) | instskip(NEXT) | instid1(VALU_DEP_2)
	v_and_b32_e32 v16, v37, v11
	v_and_b32_e32 v13, 0xff, v13
	s_delay_alu instid0(VALU_DEP_2) | instskip(NEXT) | instid1(VALU_DEP_1)
	v_and_b32_e32 v16, 0xff, v16
	v_cmp_le_u16_e64 s12, v16, v13
	s_and_b32 s11, s11, s12
	s_wait_alu 0xfffe
	s_or_b32 s11, s13, s11
	s_wait_alu 0xfffe
	v_cndmask_b32_e64 v13, v12, v14, s11
	v_cndmask_b32_e64 v15, v49, v48, s11
	;; [unrolled: 1-line block ×3, first 2 shown]
	s_delay_alu instid0(VALU_DEP_3) | instskip(NEXT) | instid1(VALU_DEP_3)
	v_add_nc_u32_e32 v16, 1, v13
	v_add_nc_u32_e32 v15, -1, v15
	s_delay_alu instid0(VALU_DEP_2) | instskip(NEXT) | instid1(VALU_DEP_2)
	v_cndmask_b32_e64 v14, v14, v16, s11
	v_min_u32_e32 v15, v16, v15
	v_cndmask_b32_e64 v12, v16, v12, s11
	s_delay_alu instid0(VALU_DEP_3) | instskip(NEXT) | instid1(VALU_DEP_3)
	v_cmp_lt_u32_e64 s12, v14, v48
	v_add_nc_u32_e32 v15, v10, v15
	s_delay_alu instid0(VALU_DEP_3) | instskip(SKIP_4) | instid1(VALU_DEP_2)
	v_cmp_ge_u32_e64 s14, v12, v49
	ds_load_u8 v15, v15
	s_wait_dscnt 0x0
	v_cndmask_b32_e64 v50, v15, v36, s11
	v_cndmask_b32_e64 v51, v37, v15, s11
	v_and_b32_e32 v15, v50, v11
	s_delay_alu instid0(VALU_DEP_2) | instskip(NEXT) | instid1(VALU_DEP_2)
	v_and_b32_e32 v17, v51, v11
	v_and_b32_e32 v15, 0xff, v15
	s_delay_alu instid0(VALU_DEP_2) | instskip(NEXT) | instid1(VALU_DEP_1)
	v_and_b32_e32 v17, 0xff, v17
	v_cmp_le_u16_e64 s13, v17, v15
	s_and_b32 s12, s12, s13
	s_wait_alu 0xfffe
	s_or_b32 s12, s14, s12
	s_wait_alu 0xfffe
	v_cndmask_b32_e64 v15, v12, v14, s12
	v_cndmask_b32_e64 v16, v49, v48, s12
	s_delay_alu instid0(VALU_DEP_2) | instskip(NEXT) | instid1(VALU_DEP_2)
	v_add_nc_u32_e32 v17, 1, v15
	v_add_nc_u32_e32 v16, -1, v16
	v_lshl_add_u32 v15, v15, 3, v9
	s_delay_alu instid0(VALU_DEP_3) | instskip(NEXT) | instid1(VALU_DEP_3)
	v_cndmask_b32_e64 v14, v14, v17, s12
	v_min_u32_e32 v16, v17, v16
	v_cndmask_b32_e64 v12, v17, v12, s12
	s_delay_alu instid0(VALU_DEP_3) | instskip(NEXT) | instid1(VALU_DEP_3)
	v_cmp_lt_u32_e64 s13, v14, v48
	v_add_nc_u32_e32 v16, v10, v16
	s_delay_alu instid0(VALU_DEP_3) | instskip(SKIP_4) | instid1(VALU_DEP_2)
	v_cmp_ge_u32_e64 s15, v12, v49
	ds_load_u8 v16, v16
	s_wait_dscnt 0x0
	v_cndmask_b32_e64 v52, v16, v50, s12
	v_cndmask_b32_e64 v53, v51, v16, s12
	v_and_b32_e32 v16, v52, v11
	s_delay_alu instid0(VALU_DEP_2) | instskip(NEXT) | instid1(VALU_DEP_2)
	v_and_b32_e32 v18, v53, v11
	v_and_b32_e32 v16, 0xff, v16
	s_delay_alu instid0(VALU_DEP_2) | instskip(NEXT) | instid1(VALU_DEP_1)
	v_and_b32_e32 v18, 0xff, v18
	v_cmp_le_u16_e64 s14, v18, v16
	s_and_b32 s13, s13, s14
	s_wait_alu 0xfffe
	s_or_b32 s13, s15, s13
	s_wait_alu 0xfffe
	v_cndmask_b32_e64 v18, v12, v14, s13
	v_cndmask_b32_e64 v16, v49, v48, s13
	;; [unrolled: 1-line block ×3, first 2 shown]
	s_delay_alu instid0(VALU_DEP_3) | instskip(NEXT) | instid1(VALU_DEP_3)
	v_add_nc_u32_e32 v17, 1, v18
	v_add_nc_u32_e32 v16, -1, v16
	v_lshl_add_u32 v18, v18, 3, v9
	s_delay_alu instid0(VALU_DEP_3) | instskip(NEXT) | instid1(VALU_DEP_3)
	v_cndmask_b32_e64 v14, v14, v17, s13
	v_min_u32_e32 v16, v17, v16
	v_cndmask_b32_e64 v12, v17, v12, s13
	s_delay_alu instid0(VALU_DEP_3) | instskip(NEXT) | instid1(VALU_DEP_3)
	v_cmp_lt_u32_e64 s14, v14, v48
	v_add_nc_u32_e32 v16, v10, v16
	s_delay_alu instid0(VALU_DEP_3) | instskip(SKIP_4) | instid1(VALU_DEP_2)
	v_cmp_ge_u32_e64 s16, v12, v49
	ds_load_u8 v16, v16
	s_wait_dscnt 0x0
	v_cndmask_b32_e64 v54, v16, v52, s13
	v_cndmask_b32_e64 v55, v53, v16, s13
	v_and_b32_e32 v16, v54, v11
	s_delay_alu instid0(VALU_DEP_2) | instskip(NEXT) | instid1(VALU_DEP_2)
	v_and_b32_e32 v19, v55, v11
	v_and_b32_e32 v16, 0xff, v16
	s_delay_alu instid0(VALU_DEP_2) | instskip(NEXT) | instid1(VALU_DEP_1)
	v_and_b32_e32 v19, 0xff, v19
	v_cmp_le_u16_e64 s15, v19, v16
	s_and_b32 s14, s14, s15
	s_wait_alu 0xfffe
	s_or_b32 s14, s16, s14
	s_wait_alu 0xfffe
	v_cndmask_b32_e64 v19, v12, v14, s14
	v_cndmask_b32_e64 v16, v49, v48, s14
	;; [unrolled: 1-line block ×3, first 2 shown]
	s_delay_alu instid0(VALU_DEP_3) | instskip(NEXT) | instid1(VALU_DEP_3)
	v_add_nc_u32_e32 v17, 1, v19
	v_add_nc_u32_e32 v16, -1, v16
	v_lshl_add_u32 v19, v19, 3, v9
	s_delay_alu instid0(VALU_DEP_3) | instskip(NEXT) | instid1(VALU_DEP_3)
	v_cndmask_b32_e64 v14, v14, v17, s14
	v_min_u32_e32 v16, v17, v16
	v_cndmask_b32_e64 v12, v17, v12, s14
	s_delay_alu instid0(VALU_DEP_3) | instskip(NEXT) | instid1(VALU_DEP_3)
	v_cmp_lt_u32_e64 s15, v14, v48
	v_add_nc_u32_e32 v16, v10, v16
	s_delay_alu instid0(VALU_DEP_3) | instskip(SKIP_4) | instid1(VALU_DEP_2)
	v_cmp_ge_u32_e64 s17, v12, v49
	ds_load_u8 v16, v16
	s_wait_dscnt 0x0
	v_cndmask_b32_e64 v64, v16, v54, s14
	v_cndmask_b32_e64 v65, v55, v16, s14
	v_and_b32_e32 v16, v64, v11
	s_delay_alu instid0(VALU_DEP_2) | instskip(NEXT) | instid1(VALU_DEP_2)
	v_and_b32_e32 v20, v65, v11
	v_and_b32_e32 v16, 0xff, v16
	s_delay_alu instid0(VALU_DEP_2) | instskip(NEXT) | instid1(VALU_DEP_1)
	v_and_b32_e32 v20, 0xff, v20
	v_cmp_le_u16_e64 s16, v20, v16
	s_and_b32 s15, s15, s16
	s_wait_alu 0xfffe
	s_or_b32 s15, s17, s15
	s_wait_alu 0xfffe
	v_cndmask_b32_e64 v20, v12, v14, s15
	v_cndmask_b32_e64 v16, v49, v48, s15
	s_delay_alu instid0(VALU_DEP_2) | instskip(NEXT) | instid1(VALU_DEP_2)
	v_add_nc_u32_e32 v17, 1, v20
	v_add_nc_u32_e32 v16, -1, v16
	v_lshl_add_u32 v38, v20, 3, v9
	s_delay_alu instid0(VALU_DEP_3) | instskip(NEXT) | instid1(VALU_DEP_3)
	v_cndmask_b32_e64 v14, v14, v17, s15
	v_min_u32_e32 v16, v17, v16
	v_cndmask_b32_e64 v24, v17, v12, s15
	v_lshl_add_u32 v12, v5, 3, v9
	s_delay_alu instid0(VALU_DEP_4) | instskip(NEXT) | instid1(VALU_DEP_4)
	v_cmp_lt_u32_e64 s16, v14, v48
	v_add_nc_u32_e32 v16, v10, v16
	s_delay_alu instid0(VALU_DEP_4) | instskip(SKIP_4) | instid1(VALU_DEP_2)
	v_cmp_ge_u32_e64 s18, v24, v49
	ds_load_u8 v16, v16
	s_wait_dscnt 0x0
	v_cndmask_b32_e64 v66, v16, v64, s15
	v_cndmask_b32_e64 v67, v65, v16, s15
	v_and_b32_e32 v16, v66, v11
	s_delay_alu instid0(VALU_DEP_2) | instskip(NEXT) | instid1(VALU_DEP_2)
	v_and_b32_e32 v21, v67, v11
	v_and_b32_e32 v16, 0xff, v16
	s_delay_alu instid0(VALU_DEP_2) | instskip(NEXT) | instid1(VALU_DEP_1)
	v_and_b32_e32 v21, 0xff, v21
	v_cmp_le_u16_e64 s17, v21, v16
	v_lshl_add_u32 v16, v13, 3, v9
	ds_load_b64 v[4:5], v4 offset:2048
	ds_load_b64 v[12:13], v12 offset:2048
	s_and_b32 s16, s16, s17
	ds_load_b64 v[16:17], v16 offset:2048
	s_wait_alu 0xfffe
	s_or_b32 s16, s18, s16
	s_wait_alu 0xfffe
	v_cndmask_b32_e64 v14, v24, v14, s16
	v_cndmask_b32_e64 v36, v66, v67, s16
	s_delay_alu instid0(VALU_DEP_2)
	v_lshl_add_u32 v14, v14, 3, v9
	ds_load_b64 v[24:25], v15 offset:2048
	ds_load_b64 v[26:27], v18 offset:2048
	;; [unrolled: 1-line block ×5, first 2 shown]
	v_cndmask_b32_e64 v38, v28, v35, s10
	v_cndmask_b32_e64 v28, v50, v51, s12
	;; [unrolled: 1-line block ×3, first 2 shown]
.LBB201_60:
	s_wait_alu 0xfffe
	s_or_b32 exec_lo, exec_lo, s20
	v_and_b32_e32 v49, 0x80, v34
	s_mov_b32 s10, exec_lo
	; wave barrier
	ds_store_b8 v31, v22
	s_wait_dscnt 0x8
	ds_store_b64 v29, v[4:5] offset:2048
	ds_store_b8 v31, v38 offset:1
	s_wait_dscnt 0x9
	ds_store_b64 v29, v[12:13] offset:2056
	v_or_b32_e32 v34, 64, v49
	ds_store_b8 v31, v39 offset:2
	s_wait_dscnt 0xa
	ds_store_b64 v29, v[16:17] offset:2064
	ds_store_b8 v31, v28 offset:3
	s_wait_dscnt 0xb
	ds_store_b64 v29, v[24:25] offset:2072
	;; [unrolled: 3-line block ×6, first 2 shown]
	v_min_u32_e32 v34, v30, v34
	; wave barrier
	s_delay_alu instid0(VALU_DEP_1) | instskip(SKIP_1) | instid1(VALU_DEP_2)
	v_add_nc_u32_e32 v48, 64, v34
	v_sub_nc_u32_e32 v51, v34, v49
	v_min_u32_e32 v48, v30, v48
	v_min_u32_e32 v30, v30, v32
	s_delay_alu instid0(VALU_DEP_2) | instskip(NEXT) | instid1(VALU_DEP_2)
	v_sub_nc_u32_e32 v50, v48, v34
	v_min_u32_e32 v51, v30, v51
	s_delay_alu instid0(VALU_DEP_2) | instskip(NEXT) | instid1(VALU_DEP_1)
	v_sub_nc_u32_e64 v50, v30, v50 clamp
	v_cmpx_lt_u32_e64 v50, v51
	s_cbranch_execz .LBB201_64
; %bb.61:
	v_add_nc_u32_e32 v29, v10, v49
	v_add3_u32 v31, v10, v34, v30
	s_mov_b32 s11, 0
.LBB201_62:                             ; =>This Inner Loop Header: Depth=1
	v_add_nc_u32_e32 v52, v51, v50
	s_delay_alu instid0(VALU_DEP_1) | instskip(NEXT) | instid1(VALU_DEP_1)
	v_lshrrev_b32_e32 v52, 1, v52
	v_xad_u32 v53, v52, -1, v31
	v_add_nc_u32_e32 v54, v29, v52
	v_add_nc_u32_e32 v55, 1, v52
	ds_load_u8 v53, v53
	ds_load_u8 v54, v54
	s_wait_dscnt 0x1
	v_and_b32_e32 v53, v53, v11
	s_wait_dscnt 0x0
	v_and_b32_e32 v54, v54, v11
	s_delay_alu instid0(VALU_DEP_2) | instskip(NEXT) | instid1(VALU_DEP_2)
	v_and_b32_e32 v53, 0xff, v53
	v_and_b32_e32 v54, 0xff, v54
	s_delay_alu instid0(VALU_DEP_1) | instskip(SKIP_1) | instid1(VALU_DEP_1)
	v_cmp_gt_u16_e64 s7, v54, v53
	s_wait_alu 0xf1ff
	v_cndmask_b32_e64 v51, v51, v52, s7
	v_cndmask_b32_e64 v50, v55, v50, s7
	s_delay_alu instid0(VALU_DEP_1)
	v_cmp_ge_u32_e64 s7, v50, v51
	s_wait_alu 0xfffe
	s_or_b32 s11, s7, s11
	s_wait_alu 0xfffe
	s_and_not1_b32 exec_lo, exec_lo, s11
	s_cbranch_execnz .LBB201_62
; %bb.63:
	s_or_b32 exec_lo, exec_lo, s11
.LBB201_64:
	s_wait_alu 0xfffe
	s_or_b32 exec_lo, exec_lo, s10
	v_add_nc_u32_e32 v29, v34, v30
	v_add_nc_u32_e32 v30, v50, v49
	s_delay_alu instid0(VALU_DEP_2) | instskip(NEXT) | instid1(VALU_DEP_2)
	v_sub_nc_u32_e32 v29, v29, v50
	v_cmp_le_u32_e64 s7, v30, v34
	s_delay_alu instid0(VALU_DEP_2)
	v_cmp_le_u32_e64 s10, v29, v48
	s_or_b32 s7, s7, s10
	s_wait_alu 0xfffe
	s_and_saveexec_b32 s20, s7
	s_cbranch_execz .LBB201_70
; %bb.65:
	v_cmp_lt_u32_e64 s7, v30, v34
                                        ; implicit-def: $vgpr22
	s_and_saveexec_b32 s10, s7
; %bb.66:
	v_add_nc_u32_e32 v4, v10, v30
	ds_load_u8 v22, v4
; %bb.67:
	s_wait_alu 0xfffe
	s_or_b32 exec_lo, exec_lo, s10
	v_cmp_ge_u32_e64 s10, v29, v48
	s_mov_b32 s12, exec_lo
                                        ; implicit-def: $vgpr23
	v_cmpx_lt_u32_e64 v29, v48
; %bb.68:
	v_add_nc_u32_e32 v4, v10, v29
	ds_load_u8 v23, v4
; %bb.69:
	s_wait_alu 0xfffe
	s_or_b32 exec_lo, exec_lo, s12
	s_wait_dscnt 0x0
	v_and_b32_e32 v4, v23, v11
	v_and_b32_e32 v5, v22, v11
	s_delay_alu instid0(VALU_DEP_2) | instskip(NEXT) | instid1(VALU_DEP_2)
	v_and_b32_e32 v4, 0xff, v4
	v_and_b32_e32 v5, 0xff, v5
	s_delay_alu instid0(VALU_DEP_1)
	v_cmp_le_u16_e64 s11, v5, v4
	s_and_b32 s7, s7, s11
	s_wait_alu 0xfffe
	s_or_b32 s7, s10, s7
	s_wait_alu 0xfffe
	v_cndmask_b32_e64 v4, v29, v30, s7
	v_cndmask_b32_e64 v5, v48, v34, s7
	s_delay_alu instid0(VALU_DEP_2) | instskip(NEXT) | instid1(VALU_DEP_2)
	v_add_nc_u32_e32 v12, 1, v4
	v_add_nc_u32_e32 v5, -1, v5
	v_lshl_add_u32 v4, v4, 3, v9
	s_delay_alu instid0(VALU_DEP_3) | instskip(NEXT) | instid1(VALU_DEP_3)
	v_cndmask_b32_e64 v14, v30, v12, s7
	v_min_u32_e32 v5, v12, v5
	v_cndmask_b32_e64 v12, v12, v29, s7
	s_delay_alu instid0(VALU_DEP_3) | instskip(NEXT) | instid1(VALU_DEP_3)
	v_cmp_lt_u32_e64 s10, v14, v34
	v_add_nc_u32_e32 v5, v10, v5
	s_delay_alu instid0(VALU_DEP_3)
	v_cmp_ge_u32_e64 s12, v12, v48
	ds_load_u8 v5, v5
	s_wait_dscnt 0x0
	v_cndmask_b32_e64 v28, v5, v23, s7
	v_cndmask_b32_e64 v31, v22, v5, s7
	;; [unrolled: 1-line block ×3, first 2 shown]
	s_delay_alu instid0(VALU_DEP_3) | instskip(NEXT) | instid1(VALU_DEP_3)
	v_and_b32_e32 v5, v28, v11
	v_and_b32_e32 v13, v31, v11
	s_delay_alu instid0(VALU_DEP_2) | instskip(NEXT) | instid1(VALU_DEP_2)
	v_and_b32_e32 v5, 0xff, v5
	v_and_b32_e32 v13, 0xff, v13
	s_delay_alu instid0(VALU_DEP_1)
	v_cmp_le_u16_e64 s11, v13, v5
	s_and_b32 s10, s10, s11
	s_wait_alu 0xfffe
	s_or_b32 s10, s12, s10
	s_wait_alu 0xfffe
	v_cndmask_b32_e64 v5, v12, v14, s10
	v_cndmask_b32_e64 v13, v48, v34, s10
	v_cndmask_b32_e64 v38, v28, v31, s10
	s_delay_alu instid0(VALU_DEP_3) | instskip(NEXT) | instid1(VALU_DEP_3)
	v_add_nc_u32_e32 v15, 1, v5
	v_add_nc_u32_e32 v13, -1, v13
	s_delay_alu instid0(VALU_DEP_2) | instskip(NEXT) | instid1(VALU_DEP_2)
	v_cndmask_b32_e64 v14, v14, v15, s10
	v_min_u32_e32 v13, v15, v13
	v_cndmask_b32_e64 v12, v15, v12, s10
	s_delay_alu instid0(VALU_DEP_3) | instskip(NEXT) | instid1(VALU_DEP_3)
	v_cmp_lt_u32_e64 s11, v14, v34
	v_add_nc_u32_e32 v13, v10, v13
	s_delay_alu instid0(VALU_DEP_3) | instskip(SKIP_4) | instid1(VALU_DEP_2)
	v_cmp_ge_u32_e64 s13, v12, v48
	ds_load_u8 v13, v13
	s_wait_dscnt 0x0
	v_cndmask_b32_e64 v29, v13, v28, s10
	v_cndmask_b32_e64 v30, v31, v13, s10
	v_and_b32_e32 v13, v29, v11
	s_delay_alu instid0(VALU_DEP_2) | instskip(NEXT) | instid1(VALU_DEP_2)
	v_and_b32_e32 v16, v30, v11
	v_and_b32_e32 v13, 0xff, v13
	s_delay_alu instid0(VALU_DEP_2) | instskip(NEXT) | instid1(VALU_DEP_1)
	v_and_b32_e32 v16, 0xff, v16
	v_cmp_le_u16_e64 s12, v16, v13
	s_and_b32 s11, s11, s12
	s_wait_alu 0xfffe
	s_or_b32 s11, s13, s11
	s_wait_alu 0xfffe
	v_cndmask_b32_e64 v13, v12, v14, s11
	v_cndmask_b32_e64 v15, v48, v34, s11
	v_cndmask_b32_e64 v39, v29, v30, s11
	s_delay_alu instid0(VALU_DEP_3) | instskip(NEXT) | instid1(VALU_DEP_3)
	v_add_nc_u32_e32 v16, 1, v13
	v_add_nc_u32_e32 v15, -1, v15
	s_delay_alu instid0(VALU_DEP_2) | instskip(NEXT) | instid1(VALU_DEP_2)
	v_cndmask_b32_e64 v14, v14, v16, s11
	v_min_u32_e32 v15, v16, v15
	v_cndmask_b32_e64 v12, v16, v12, s11
	s_delay_alu instid0(VALU_DEP_3) | instskip(NEXT) | instid1(VALU_DEP_3)
	v_cmp_lt_u32_e64 s12, v14, v34
	v_add_nc_u32_e32 v15, v10, v15
	s_delay_alu instid0(VALU_DEP_3) | instskip(SKIP_4) | instid1(VALU_DEP_2)
	v_cmp_ge_u32_e64 s14, v12, v48
	ds_load_u8 v15, v15
	s_wait_dscnt 0x0
	v_cndmask_b32_e64 v35, v15, v29, s11
	v_cndmask_b32_e64 v36, v30, v15, s11
	v_and_b32_e32 v15, v35, v11
	s_delay_alu instid0(VALU_DEP_2) | instskip(NEXT) | instid1(VALU_DEP_2)
	v_and_b32_e32 v17, v36, v11
	v_and_b32_e32 v15, 0xff, v15
	s_delay_alu instid0(VALU_DEP_2) | instskip(NEXT) | instid1(VALU_DEP_1)
	v_and_b32_e32 v17, 0xff, v17
	;; [unrolled: 30-line block ×5, first 2 shown]
	v_cmp_le_u16_e64 s16, v20, v16
	s_and_b32 s15, s15, s16
	s_wait_alu 0xfffe
	s_or_b32 s15, s17, s15
	s_wait_alu 0xfffe
	v_cndmask_b32_e64 v20, v12, v14, s15
	v_cndmask_b32_e64 v16, v48, v34, s15
	;; [unrolled: 1-line block ×3, first 2 shown]
	s_delay_alu instid0(VALU_DEP_3) | instskip(NEXT) | instid1(VALU_DEP_3)
	v_add_nc_u32_e32 v17, 1, v20
	v_add_nc_u32_e32 v16, -1, v16
	s_delay_alu instid0(VALU_DEP_2) | instskip(NEXT) | instid1(VALU_DEP_2)
	v_cndmask_b32_e64 v14, v14, v17, s15
	v_min_u32_e32 v16, v17, v16
	v_cndmask_b32_e64 v21, v17, v12, s15
	v_lshl_add_u32 v12, v5, 3, v9
	s_delay_alu instid0(VALU_DEP_4) | instskip(NEXT) | instid1(VALU_DEP_4)
	v_cmp_lt_u32_e64 s16, v14, v34
	v_add_nc_u32_e32 v10, v10, v16
	s_delay_alu instid0(VALU_DEP_4) | instskip(SKIP_4) | instid1(VALU_DEP_2)
	v_cmp_ge_u32_e64 s18, v21, v48
	ds_load_u8 v10, v10
	s_wait_dscnt 0x0
	v_cndmask_b32_e64 v54, v10, v52, s15
	v_cndmask_b32_e64 v10, v53, v10, s15
	v_and_b32_e32 v16, v54, v11
	s_delay_alu instid0(VALU_DEP_2) | instskip(NEXT) | instid1(VALU_DEP_2)
	v_and_b32_e32 v11, v10, v11
	v_and_b32_e32 v16, 0xff, v16
	s_delay_alu instid0(VALU_DEP_2) | instskip(NEXT) | instid1(VALU_DEP_1)
	v_and_b32_e32 v11, 0xff, v11
	v_cmp_le_u16_e64 s17, v11, v16
	v_lshl_add_u32 v11, v13, 3, v9
	ds_load_b64 v[4:5], v4 offset:2048
	ds_load_b64 v[12:13], v12 offset:2048
	s_and_b32 s16, s16, s17
	ds_load_b64 v[16:17], v11 offset:2048
	s_wait_alu 0xfffe
	s_or_b32 s16, s18, s16
	s_wait_alu 0xfffe
	v_cndmask_b32_e64 v11, v21, v14, s16
	v_lshl_add_u32 v14, v15, 3, v9
	v_lshl_add_u32 v15, v18, 3, v9
	;; [unrolled: 1-line block ×5, first 2 shown]
	ds_load_b64 v[24:25], v14 offset:2048
	ds_load_b64 v[26:27], v15 offset:2048
	;; [unrolled: 1-line block ×5, first 2 shown]
	v_cndmask_b32_e64 v36, v54, v10, s16
.LBB201_70:
	s_wait_alu 0xfffe
	s_or_b32 exec_lo, exec_lo, s20
	; wave barrier
	s_wait_storecnt_dscnt 0x0
	s_barrier_signal -1
	s_barrier_wait -1
                                        ; implicit-def: $vgpr34
                                        ; implicit-def: $vgpr29
                                        ; implicit-def: $vgpr30
                                        ; implicit-def: $vgpr9
.LBB201_71:
	s_wait_alu 0xfffe
	s_and_not1_saveexec_b32 s17, s19
	s_cbranch_execz .LBB201_117
; %bb.72:
	s_load_b64 s[10:11], s[8:9], 0x0
	s_and_b32 s7, ttmp7, 0xffff
	s_mov_b32 s13, 0
	s_wait_kmcnt 0x0
	s_wait_alu 0xfffe
	s_cmp_lt_u32 s7, s11
	s_cselect_b32 s12, 14, 20
	s_cmp_lt_u32 ttmp9, s10
	s_wait_alu 0xfffe
	s_add_nc_u64 s[14:15], s[8:9], s[12:13]
	s_cselect_b32 s12, 12, 18
	s_load_u16 s7, s[14:15], 0x0
	s_add_nc_u64 s[8:9], s[8:9], s[12:13]
	s_load_u16 s8, s[8:9], 0x0
	s_mov_b32 s15, exec_lo
	s_wait_kmcnt 0x0
	v_mad_u32_u24 v10, v30, s7, v29
	s_delay_alu instid0(VALU_DEP_1) | instskip(NEXT) | instid1(VALU_DEP_1)
	v_mul_lo_u32 v10, v10, s8
	v_add_lshl_u32 v11, v10, v9, 3
	s_delay_alu instid0(VALU_DEP_1)
	v_cmpx_gt_u32_e32 0x800, v11
	s_cbranch_execz .LBB201_76
; %bb.73:
	s_wait_loadcnt_dscnt 0x0
	v_perm_b32 v9, v39, v28, 0xc0c0004
	v_perm_b32 v10, v22, v38, 0xc0c0004
	;; [unrolled: 1-line block ×3, first 2 shown]
	v_and_b32_e32 v22, 0xff, v22
	v_and_b32_e32 v29, 0xff, v38
	v_lshlrev_b32_e32 v9, 16, v9
	s_delay_alu instid0(VALU_DEP_2) | instskip(NEXT) | instid1(VALU_DEP_2)
	v_cmp_gt_u16_e64 s7, v22, v29
	v_or_b32_e32 v28, v28, v9
	v_or_b32_e32 v9, v10, v9
	v_perm_b32 v22, v23, v37, 0xc0c0004
	v_perm_b32 v23, v35, v36, 0xc0c0004
	s_wait_alu 0xf1ff
	v_cndmask_b32_e64 v10, v12, v4, s7
	v_cndmask_b32_e64 v4, v4, v12, s7
	;; [unrolled: 1-line block ×3, first 2 shown]
	v_lshl_or_b32 v22, v23, 16, v22
	s_delay_alu instid0(VALU_DEP_2) | instskip(SKIP_1) | instid1(VALU_DEP_3)
	v_lshrrev_b32_e32 v28, 16, v9
	v_lshrrev_b32_e32 v30, 24, v9
	v_lshrrev_b32_e32 v29, 8, v22
	v_and_b32_e32 v31, 0xff, v22
	s_delay_alu instid0(VALU_DEP_4) | instskip(SKIP_1) | instid1(VALU_DEP_4)
	v_perm_b32 v23, 0, v28, 0xc0c0001
	v_and_b32_e32 v28, 0xff, v28
	v_and_b32_e32 v29, 0xff, v29
	s_delay_alu instid0(VALU_DEP_3) | instskip(NEXT) | instid1(VALU_DEP_3)
	v_lshlrev_b32_e32 v23, 16, v23
	v_cmp_gt_u16_e64 s8, v28, v30
	v_perm_b32 v28, v22, v22, 0x7060405
	s_delay_alu instid0(VALU_DEP_4)
	v_cmp_gt_u16_e64 s9, v31, v29
	v_cndmask_b32_e64 v31, v13, v5, s7
	v_and_or_b32 v23, 0xffff, v9, v23
	s_wait_alu 0xf1ff
	v_cndmask_b32_e64 v37, v17, v25, s8
	v_cndmask_b32_e64 v17, v25, v17, s8
	;; [unrolled: 1-line block ×7, first 2 shown]
	v_lshrrev_b32_e32 v35, 16, v22
	v_lshrrev_b32_e32 v36, 24, v22
	;; [unrolled: 1-line block ×4, first 2 shown]
	v_perm_b32 v38, v9, v9, 0x7050604
	v_and_b32_e32 v35, 0xff, v35
	v_cndmask_b32_e64 v16, v16, v24, s8
	v_and_b32_e32 v28, 0xff, v28
	v_and_b32_e32 v30, 0xff, v30
	v_cndmask_b32_e64 v23, v26, v20, s9
	v_cmp_gt_u16_e64 s11, v35, v36
	v_cndmask_b32_e64 v20, v20, v26, s9
	v_cndmask_b32_e64 v5, v5, v13, s7
	v_cmp_gt_u16_e64 s10, v30, v28
	v_perm_b32 v28, v22, v22, 0x6070504
	s_wait_alu 0xf1ff
	v_cndmask_b32_e64 v35, v18, v14, s11
	v_cndmask_b32_e64 v14, v14, v18, s11
	;; [unrolled: 1-line block ×5, first 2 shown]
	s_delay_alu instid0(VALU_DEP_3) | instskip(NEXT) | instid1(VALU_DEP_3)
	v_lshrrev_b32_e32 v28, 16, v9
	v_lshlrev_b16 v36, 8, v22
	v_lshrrev_b32_e32 v38, 24, v9
	s_delay_alu instid0(VALU_DEP_3) | instskip(NEXT) | instid1(VALU_DEP_1)
	v_and_b32_e32 v28, 0xff, v28
	v_or_b32_e32 v28, v28, v36
	v_and_b32_e32 v36, 0xff, v22
	s_delay_alu instid0(VALU_DEP_2) | instskip(NEXT) | instid1(VALU_DEP_2)
	v_lshlrev_b32_e32 v28, 16, v28
	v_cmp_gt_u16_e64 s12, v38, v36
	v_cndmask_b32_e64 v38, v10, v16, s10
	v_cndmask_b32_e64 v10, v16, v10, s10
	s_delay_alu instid0(VALU_DEP_4) | instskip(SKIP_3) | instid1(VALU_DEP_3)
	v_and_or_b32 v25, 0xffff, v9, v28
	s_wait_alu 0xf1ff
	v_cndmask_b32_e64 v28, v17, v39, s12
	v_cndmask_b32_e64 v17, v39, v17, s12
	;; [unrolled: 1-line block ×3, first 2 shown]
	v_perm_b32 v9, v9, v22, 0x3020107
	s_delay_alu instid0(VALU_DEP_2) | instskip(NEXT) | instid1(VALU_DEP_2)
	v_lshrrev_b32_e32 v21, 8, v25
	v_cndmask_b32_e64 v9, v22, v9, s12
	v_perm_b32 v22, 0, v25, 0xc0c0001
	v_and_b32_e32 v24, 0xff, v25
	s_delay_alu instid0(VALU_DEP_4) | instskip(NEXT) | instid1(VALU_DEP_4)
	v_and_b32_e32 v21, 0xff, v21
	v_lshrrev_b32_e32 v27, 16, v9
	v_lshrrev_b32_e32 v36, 8, v9
	v_and_or_b32 v22, 0xffff0000, v25, v22
	s_delay_alu instid0(VALU_DEP_4) | instskip(NEXT) | instid1(VALU_DEP_4)
	v_cmp_gt_u16_e64 s8, v24, v21
	v_and_b32_e32 v21, 0xff, v27
	s_delay_alu instid0(VALU_DEP_4)
	v_and_b32_e32 v24, 0xff, v36
	v_cndmask_b32_e64 v27, v19, v15, s11
	v_cndmask_b32_e64 v15, v15, v19, s11
	s_wait_alu 0xf1ff
	v_cndmask_b32_e64 v22, v25, v22, s8
	v_perm_b32 v25, v9, v9, 0x7050604
	v_cmp_gt_u16_e64 s13, v24, v21
	v_cndmask_b32_e64 v36, v38, v4, s8
	v_cndmask_b32_e64 v4, v4, v38, s8
	v_lshrrev_b32_e32 v21, 16, v22
	v_lshrrev_b32_e32 v48, 24, v22
	s_wait_alu 0xf1ff
	v_cndmask_b32_e64 v9, v9, v25, s13
	v_cndmask_b32_e64 v25, v29, v23, s12
	;; [unrolled: 1-line block ×3, first 2 shown]
	v_perm_b32 v16, 0, v21, 0xc0c0001
	v_and_b32_e32 v21, 0xff, v21
	v_lshrrev_b32_e32 v26, 8, v9
	v_and_b32_e32 v29, 0xff, v9
	v_cndmask_b32_e64 v24, v12, v27, s13
	v_lshlrev_b32_e32 v16, 16, v16
	v_cmp_gt_u16_e64 s9, v21, v48
	v_and_b32_e32 v26, 0xff, v26
	v_perm_b32 v48, v9, v9, 0x7060405
	v_cndmask_b32_e64 v21, v20, v35, s13
	v_and_or_b32 v16, 0xffff, v22, v16
	v_cndmask_b32_e64 v20, v35, v20, s13
	v_cmp_gt_u16_e64 s14, v29, v26
	s_wait_alu 0xf1ff
	v_cndmask_b32_e64 v26, v25, v10, s9
	v_cndmask_b32_e64 v10, v10, v25, s9
	;; [unrolled: 1-line block ×7, first 2 shown]
	v_lshrrev_b32_e32 v29, 16, v16
	v_lshrrev_b32_e32 v31, 8, v16
	;; [unrolled: 1-line block ×4, first 2 shown]
	v_perm_b32 v50, v16, v16, 0x7050604
	v_and_b32_e32 v29, 0xff, v29
	v_and_b32_e32 v31, 0xff, v31
	;; [unrolled: 1-line block ×3, first 2 shown]
	v_cndmask_b32_e64 v12, v27, v12, s13
	v_cndmask_b32_e64 v13, v23, v21, s14
	v_cndmask_b32_e64 v21, v21, v23, s14
	v_cmp_gt_u16_e64 s7, v31, v29
	v_perm_b32 v29, v9, v9, 0x6070504
	v_cmp_gt_u16_e64 s10, v18, v48
	v_cndmask_b32_e64 v48, v17, v24, s14
	v_cndmask_b32_e64 v17, v24, v17, s14
	s_wait_alu 0xf1ff
	v_cndmask_b32_e64 v16, v16, v50, s7
	v_cndmask_b32_e64 v37, v22, v5, s8
	;; [unrolled: 1-line block ×5, first 2 shown]
	v_lshrrev_b32_e32 v29, 16, v16
	v_lshrrev_b32_e32 v39, 24, v16
	v_lshlrev_b16 v35, 8, v9
	v_cndmask_b32_e64 v18, v49, v37, s7
	v_cndmask_b32_e64 v5, v5, v22, s8
	v_and_b32_e32 v29, 0xff, v29
	s_delay_alu instid0(VALU_DEP_1) | instskip(SKIP_1) | instid1(VALU_DEP_2)
	v_or_b32_e32 v29, v29, v35
	v_and_b32_e32 v35, 0xff, v9
	v_lshlrev_b32_e32 v29, 16, v29
	s_delay_alu instid0(VALU_DEP_2) | instskip(SKIP_2) | instid1(VALU_DEP_4)
	v_cmp_gt_u16_e64 s12, v39, v35
	v_cndmask_b32_e64 v35, v36, v10, s7
	v_cndmask_b32_e64 v10, v10, v36, s7
	v_and_or_b32 v29, 0xffff, v16, v29
	s_wait_alu 0xf1ff
	v_cndmask_b32_e64 v19, v28, v48, s12
	v_cndmask_b32_e64 v28, v48, v28, s12
	s_delay_alu instid0(VALU_DEP_3) | instskip(SKIP_1) | instid1(VALU_DEP_2)
	v_cndmask_b32_e64 v29, v16, v29, s12
	v_perm_b32 v16, v16, v9, 0x3020107
	v_lshrrev_b32_e32 v24, 8, v29
	s_delay_alu instid0(VALU_DEP_2) | instskip(SKIP_2) | instid1(VALU_DEP_4)
	v_cndmask_b32_e64 v9, v9, v16, s12
	v_perm_b32 v16, 0, v29, 0xc0c0001
	v_and_b32_e32 v25, 0xff, v29
	v_and_b32_e32 v24, 0xff, v24
	s_delay_alu instid0(VALU_DEP_4) | instskip(SKIP_2) | instid1(VALU_DEP_4)
	v_lshrrev_b32_e32 v27, 16, v9
	v_lshrrev_b32_e32 v30, 8, v9
	v_and_or_b32 v16, 0xffff0000, v29, v16
	v_cmp_gt_u16_e64 s9, v25, v24
	s_delay_alu instid0(VALU_DEP_4) | instskip(NEXT) | instid1(VALU_DEP_4)
	v_and_b32_e32 v24, 0xff, v27
	v_and_b32_e32 v25, 0xff, v30
	v_cndmask_b32_e64 v27, v12, v15, s10
	v_cndmask_b32_e64 v12, v15, v12, s10
	s_wait_alu 0xf1ff
	v_cndmask_b32_e64 v16, v29, v16, s9
	v_perm_b32 v29, v9, v9, 0x7050604
	v_cmp_gt_u16_e64 s11, v25, v24
	v_cndmask_b32_e64 v30, v35, v4, s9
	v_cndmask_b32_e64 v4, v4, v35, s9
	v_lshrrev_b32_e32 v24, 16, v16
	v_lshrrev_b32_e32 v38, 24, v16
	s_wait_alu 0xf1ff
	v_cndmask_b32_e64 v9, v9, v29, s11
	v_cndmask_b32_e64 v29, v26, v13, s12
	;; [unrolled: 1-line block ×3, first 2 shown]
	v_perm_b32 v23, 0, v24, 0xc0c0001
	v_and_b32_e32 v24, 0xff, v24
	v_lshrrev_b32_e32 v36, 8, v9
	v_and_b32_e32 v26, 0xff, v9
	v_cndmask_b32_e64 v25, v17, v27, s11
	v_lshlrev_b32_e32 v23, 16, v23
	v_cmp_gt_u16_e64 s13, v24, v38
	v_and_b32_e32 v36, 0xff, v36
	v_perm_b32 v38, v9, v9, 0x7060405
	v_cndmask_b32_e64 v24, v21, v31, s11
	v_and_or_b32 v23, 0xffff, v16, v23
	v_cndmask_b32_e64 v21, v31, v21, s11
	v_cmp_gt_u16_e64 s14, v26, v36
	v_cndmask_b32_e64 v17, v27, v17, s11
	s_wait_alu 0xf1ff
	v_cndmask_b32_e64 v26, v29, v10, s13
	v_cndmask_b32_e64 v16, v16, v23, s13
	;; [unrolled: 1-line block ×6, first 2 shown]
	v_lshrrev_b32_e32 v36, 16, v16
	v_lshrrev_b32_e32 v37, 8, v16
	;; [unrolled: 1-line block ×4, first 2 shown]
	v_perm_b32 v50, v16, v16, 0x7050604
	v_and_b32_e32 v36, 0xff, v36
	v_and_b32_e32 v37, 0xff, v37
	;; [unrolled: 1-line block ×3, first 2 shown]
	v_perm_b32 v31, v9, v9, 0x6070504
	v_cndmask_b32_e64 v22, v13, v24, s14
	v_cndmask_b32_e64 v15, v28, v25, s14
	v_cmp_gt_u16_e64 s7, v37, v36
	v_cmp_gt_u16_e64 s8, v20, v39
	v_cndmask_b32_e64 v13, v24, v13, s14
	v_cndmask_b32_e64 v24, v25, v28, s14
	;; [unrolled: 1-line block ×3, first 2 shown]
	s_wait_alu 0xf1ff
	v_cndmask_b32_e64 v16, v16, v50, s7
	v_cndmask_b32_e64 v9, v9, v31, s8
	v_cndmask_b32_e64 v5, v5, v23, s9
	v_cndmask_b32_e64 v10, v10, v29, s13
	v_cndmask_b32_e64 v20, v21, v14, s8
	v_lshrrev_b32_e32 v31, 16, v16
	v_lshlrev_b16 v37, 8, v9
	v_lshrrev_b32_e32 v39, 24, v16
	v_cndmask_b32_e64 v35, v30, v10, s7
	v_cndmask_b32_e64 v14, v14, v21, s8
	v_and_b32_e32 v31, 0xff, v31
	v_cndmask_b32_e64 v36, v49, v38, s7
	s_delay_alu instid0(VALU_DEP_2) | instskip(SKIP_1) | instid1(VALU_DEP_2)
	v_or_b32_e32 v31, v31, v37
	v_and_b32_e32 v37, 0xff, v9
	v_lshlrev_b32_e32 v31, 16, v31
	s_delay_alu instid0(VALU_DEP_2) | instskip(NEXT) | instid1(VALU_DEP_2)
	v_cmp_gt_u16_e64 s10, v39, v37
	v_and_or_b32 v19, 0xffff, v16, v31
	s_wait_alu 0xf1ff
	s_delay_alu instid0(VALU_DEP_2) | instskip(SKIP_1) | instid1(VALU_DEP_3)
	v_cndmask_b32_e64 v23, v18, v15, s10
	v_cndmask_b32_e64 v15, v15, v18, s10
	;; [unrolled: 1-line block ×3, first 2 shown]
	v_perm_b32 v16, v16, v9, 0x3020107
	s_delay_alu instid0(VALU_DEP_2) | instskip(NEXT) | instid1(VALU_DEP_2)
	v_lshrrev_b32_e32 v25, 8, v19
	v_cndmask_b32_e64 v9, v9, v16, s10
	v_perm_b32 v27, 0, v19, 0xc0c0001
	v_and_b32_e32 v28, 0xff, v19
	v_cndmask_b32_e64 v16, v17, v12, s8
	v_and_b32_e32 v25, 0xff, v25
	v_lshrrev_b32_e32 v29, 16, v9
	v_lshrrev_b32_e32 v31, 8, v9
	v_and_or_b32 v27, 0xffff0000, v19, v27
	v_perm_b32 v21, v9, v9, 0x7050604
	v_cmp_gt_u16_e64 s9, v28, v25
	v_and_b32_e32 v25, 0xff, v29
	v_and_b32_e32 v28, 0xff, v31
	v_cndmask_b32_e64 v12, v12, v17, s8
	v_cndmask_b32_e64 v17, v38, v49, s7
	s_wait_alu 0xf1ff
	v_cndmask_b32_e64 v19, v19, v27, s9
	v_cndmask_b32_e64 v29, v35, v4, s9
	v_cmp_gt_u16_e64 s11, v28, v25
	v_cndmask_b32_e64 v25, v10, v30, s7
	v_cndmask_b32_e64 v28, v26, v22, s10
	v_lshrrev_b32_e32 v10, 16, v19
	v_lshrrev_b32_e32 v30, 24, v19
	s_wait_alu 0xf1ff
	v_cndmask_b32_e64 v9, v9, v21, s11
	v_cndmask_b32_e64 v22, v22, v26, s10
	;; [unrolled: 1-line block ×3, first 2 shown]
	v_perm_b32 v21, 0, v10, 0xc0c0001
	v_and_b32_e32 v10, 0xff, v10
	v_lshrrev_b32_e32 v18, 8, v9
	v_and_b32_e32 v26, 0xff, v9
	v_cndmask_b32_e64 v16, v16, v24, s11
	v_lshlrev_b32_e32 v21, 16, v21
	v_cmp_gt_u16_e64 s7, v10, v30
	v_and_b32_e32 v18, 0xff, v18
	v_cndmask_b32_e64 v30, v13, v20, s11
	v_cndmask_b32_e64 v13, v20, v13, s11
	v_and_or_b32 v10, 0xffff, v19, v21
	v_perm_b32 v21, v9, v9, 0x7060405
	v_cmp_gt_u16_e64 s8, v26, v18
	v_cndmask_b32_e64 v24, v17, v5, s9
	v_cndmask_b32_e64 v5, v5, v17, s9
	s_wait_alu 0xf1ff
	v_cndmask_b32_e64 v10, v19, v10, s7
	v_cndmask_b32_e64 v4, v4, v35, s9
	;; [unrolled: 1-line block ×5, first 2 shown]
	v_lshrrev_b32_e32 v20, 16, v10
	v_lshrrev_b32_e32 v21, 8, v10
	;; [unrolled: 1-line block ×3, first 2 shown]
	v_perm_b32 v37, v10, v10, 0x7050604
	v_cndmask_b32_e64 v19, v22, v30, s8
	v_and_b32_e32 v17, 0xff, v20
	v_and_b32_e32 v20, 0xff, v21
	v_lshrrev_b32_e32 v21, 24, v9
	v_and_b32_e32 v26, 0xff, v26
	v_cndmask_b32_e64 v31, v36, v23, s7
	v_cndmask_b32_e64 v28, v25, v28, s7
	v_cmp_gt_u16_e64 s10, v20, v17
	v_perm_b32 v20, v9, v9, 0x6070504
	v_cmp_gt_u16_e64 s9, v26, v21
	v_cndmask_b32_e64 v21, v27, v15, s8
	s_wait_alu 0xf1ff
	v_cndmask_b32_e64 v26, v10, v37, s10
	v_cndmask_b32_e64 v17, v31, v24, s10
	;; [unrolled: 1-line block ×5, first 2 shown]
	v_lshrrev_b32_e32 v9, 16, v26
	v_lshrrev_b32_e32 v35, 24, v26
	v_lshlrev_b16 v23, 8, v27
	v_and_b32_e32 v30, 0xff, v27
	v_cndmask_b32_e64 v10, v16, v12, s9
	v_and_b32_e32 v25, 0xff, v9
	v_cndmask_b32_e64 v15, v12, v16, s9
	v_cndmask_b32_e64 v16, v28, v29, s10
	v_cmp_gt_u16_e64 s7, v35, v30
	v_cndmask_b32_e64 v9, v13, v14, s9
	v_or_b32_e32 v12, v25, v23
	v_perm_b32 v23, v26, v27, 0x3020107
	v_cndmask_b32_e64 v14, v14, v13, s9
	s_wait_alu 0xf1ff
	v_cndmask_b32_e64 v25, v22, v38, s7
	v_cndmask_b32_e64 v13, v24, v31, s10
	v_lshlrev_b32_e32 v30, 16, v12
	v_cndmask_b32_e64 v23, v27, v23, s7
	v_cndmask_b32_e64 v12, v29, v28, s10
	;; [unrolled: 1-line block ×4, first 2 shown]
	v_and_or_b32 v28, 0xffff, v26, v30
	v_lshrrev_b32_e32 v35, 16, v23
	v_lshrrev_b32_e32 v37, 8, v23
	;; [unrolled: 1-line block ×3, first 2 shown]
	s_delay_alu instid0(VALU_DEP_4) | instskip(SKIP_3) | instid1(VALU_DEP_4)
	v_cndmask_b32_e64 v22, v26, v28, s7
	v_cndmask_b32_e64 v26, v19, v18, s7
	v_and_b32_e32 v18, 0xff, v35
	v_and_b32_e32 v19, 0xff, v37
	v_lshrrev_b64 v[28:29], 24, v[22:23]
	v_lshrrev_b32_e32 v39, 16, v22
	v_lshrrev_b32_e32 v38, 8, v22
	s_delay_alu instid0(VALU_DEP_4)
	v_cmp_gt_u16_e64 s7, v19, v18
	v_dual_mov_b32 v19, v10 :: v_dual_mov_b32 v18, v9
	s_and_saveexec_b32 s8, s7
; %bb.74:
	v_dual_mov_b32 v29, v37 :: v_dual_mov_b32 v18, v20
	v_swap_b32 v37, v35
	v_mov_b32_e32 v19, v21
	v_dual_mov_b32 v21, v10 :: v_dual_mov_b32 v20, v9
; %bb.75:
	s_wait_alu 0xfffe
	s_or_b32 exec_lo, exec_lo, s8
.LBB201_76:
	s_wait_alu 0xfffe
	s_or_b32 exec_lo, exec_lo, s15
	v_and_b32_e32 v10, 0xffffff00, v11
	v_or_b32_e32 v11, 8, v34
	v_and_b32_e32 v31, 8, v34
	v_and_b32_e32 v48, 0xf0, v34
	s_mov_b32 s8, exec_lo
	v_sub_nc_u32_e64 v29, 0x800, v10 clamp
	v_lshlrev_b32_e32 v9, 3, v10
	v_or_b32_e32 v52, v10, v34
	s_delay_alu instid0(VALU_DEP_3) | instskip(SKIP_1) | instid1(VALU_DEP_4)
	v_min_u32_e32 v30, v29, v11
	v_min_u32_e32 v49, v29, v31
	v_lshl_or_b32 v11, v34, 3, v9
	s_wait_loadcnt_dscnt 0x0
	ds_store_b8 v52, v22
	ds_store_b64 v11, v[4:5] offset:2048
	ds_store_b8 v52, v38 offset:1
	v_add_nc_u32_e32 v50, 8, v30
	v_sub_nc_u32_e32 v51, v30, v48
	ds_store_b64 v11, v[12:13] offset:2056
	ds_store_b8 v52, v39 offset:2
	ds_store_b64 v11, v[16:17] offset:2064
	ds_store_b8 v52, v28 offset:3
	ds_store_b64 v11, v[24:25] offset:2072
	ds_store_b8 v52, v23 offset:4
	ds_store_b64 v11, v[26:27] offset:2080
	ds_store_b8 v52, v37 offset:5
	ds_store_b64 v11, v[20:21] offset:2088
	ds_store_b8 v52, v35 offset:6
	ds_store_b64 v11, v[18:19] offset:2096
	ds_store_b8 v52, v36 offset:7
	ds_store_b64 v11, v[14:15] offset:2104
	v_min_u32_e32 v31, v29, v50
	v_min_u32_e32 v51, v49, v51
	; wave barrier
	s_delay_alu instid0(VALU_DEP_2) | instskip(NEXT) | instid1(VALU_DEP_1)
	v_sub_nc_u32_e32 v50, v31, v30
	v_sub_nc_u32_e64 v50, v49, v50 clamp
	s_delay_alu instid0(VALU_DEP_1)
	v_cmpx_lt_u32_e64 v50, v51
	s_cbranch_execz .LBB201_80
; %bb.77:
	v_add_nc_u32_e32 v52, v10, v48
	v_add3_u32 v53, v10, v30, v49
	s_mov_b32 s9, 0
.LBB201_78:                             ; =>This Inner Loop Header: Depth=1
	v_add_nc_u32_e32 v54, v51, v50
	s_delay_alu instid0(VALU_DEP_1) | instskip(NEXT) | instid1(VALU_DEP_1)
	v_lshrrev_b32_e32 v54, 1, v54
	v_add_nc_u32_e32 v55, v52, v54
	v_xad_u32 v64, v54, -1, v53
	v_add_nc_u32_e32 v65, 1, v54
	ds_load_u8 v55, v55
	ds_load_u8 v64, v64
	s_wait_dscnt 0x0
	v_cmp_gt_u16_e64 s7, v55, v64
	s_wait_alu 0xf1ff
	s_delay_alu instid0(VALU_DEP_1) | instskip(SKIP_1) | instid1(VALU_DEP_1)
	v_cndmask_b32_e64 v51, v51, v54, s7
	v_cndmask_b32_e64 v50, v65, v50, s7
	v_cmp_ge_u32_e64 s7, v50, v51
	s_wait_alu 0xfffe
	s_or_b32 s9, s7, s9
	s_wait_alu 0xfffe
	s_and_not1_b32 exec_lo, exec_lo, s9
	s_cbranch_execnz .LBB201_78
; %bb.79:
	s_or_b32 exec_lo, exec_lo, s9
.LBB201_80:
	s_wait_alu 0xfffe
	s_or_b32 exec_lo, exec_lo, s8
	v_add_nc_u32_e32 v51, v30, v49
	v_add_nc_u32_e32 v49, v50, v48
	s_delay_alu instid0(VALU_DEP_2) | instskip(NEXT) | instid1(VALU_DEP_2)
	v_sub_nc_u32_e32 v48, v51, v50
	v_cmp_le_u32_e64 s7, v49, v30
	s_delay_alu instid0(VALU_DEP_2)
	v_cmp_le_u32_e64 s8, v48, v31
	s_or_b32 s7, s7, s8
	s_wait_alu 0xfffe
	s_and_saveexec_b32 s18, s7
	s_cbranch_execz .LBB201_86
; %bb.81:
	v_cmp_lt_u32_e64 s7, v49, v30
                                        ; implicit-def: $vgpr22
	s_and_saveexec_b32 s8, s7
; %bb.82:
	v_add_nc_u32_e32 v4, v10, v49
	ds_load_u8 v22, v4
; %bb.83:
	s_wait_alu 0xfffe
	s_or_b32 exec_lo, exec_lo, s8
	v_cmp_ge_u32_e64 s8, v48, v31
	s_mov_b32 s10, exec_lo
                                        ; implicit-def: $vgpr23
	v_cmpx_lt_u32_e64 v48, v31
; %bb.84:
	v_add_nc_u32_e32 v4, v10, v48
	ds_load_u8 v23, v4
; %bb.85:
	s_wait_alu 0xfffe
	s_or_b32 exec_lo, exec_lo, s10
	s_wait_dscnt 0x0
	v_and_b32_e32 v4, 0xff, v23
	v_and_b32_e32 v5, 0xff, v22
	s_delay_alu instid0(VALU_DEP_1)
	v_cmp_le_u16_e64 s9, v5, v4
	s_and_b32 s7, s7, s9
	s_wait_alu 0xfffe
	s_or_b32 s7, s8, s7
	s_wait_alu 0xfffe
	v_cndmask_b32_e64 v4, v48, v49, s7
	v_cndmask_b32_e64 v5, v31, v30, s7
	s_delay_alu instid0(VALU_DEP_2) | instskip(NEXT) | instid1(VALU_DEP_2)
	v_add_nc_u32_e32 v12, 1, v4
	v_add_nc_u32_e32 v5, -1, v5
	v_lshl_add_u32 v4, v4, 3, v9
	s_delay_alu instid0(VALU_DEP_2) | instskip(NEXT) | instid1(VALU_DEP_1)
	v_min_u32_e32 v5, v12, v5
	v_add_nc_u32_e32 v5, v10, v5
	ds_load_u8 v5, v5
	s_wait_dscnt 0x0
	v_cndmask_b32_e64 v28, v5, v23, s7
	v_cndmask_b32_e64 v35, v22, v5, s7
	;; [unrolled: 1-line block ×5, first 2 shown]
	v_and_b32_e32 v13, 0xff, v28
	v_and_b32_e32 v14, 0xff, v35
	v_cmp_lt_u32_e64 s8, v5, v30
	v_cmp_ge_u32_e64 s10, v12, v31
	s_delay_alu instid0(VALU_DEP_3)
	v_cmp_le_u16_e64 s9, v14, v13
	s_and_b32 s8, s8, s9
	s_wait_alu 0xfffe
	s_or_b32 s8, s10, s8
	s_wait_alu 0xfffe
	v_cndmask_b32_e64 v13, v12, v5, s8
	v_cndmask_b32_e64 v14, v31, v30, s8
	;; [unrolled: 1-line block ×3, first 2 shown]
	s_delay_alu instid0(VALU_DEP_3) | instskip(NEXT) | instid1(VALU_DEP_3)
	v_add_nc_u32_e32 v15, 1, v13
	v_add_nc_u32_e32 v14, -1, v14
	s_delay_alu instid0(VALU_DEP_2) | instskip(NEXT) | instid1(VALU_DEP_2)
	v_cndmask_b32_e64 v5, v5, v15, s8
	v_min_u32_e32 v14, v15, v14
	v_cndmask_b32_e64 v12, v15, v12, s8
	s_delay_alu instid0(VALU_DEP_3) | instskip(NEXT) | instid1(VALU_DEP_3)
	v_cmp_lt_u32_e64 s9, v5, v30
	v_add_nc_u32_e32 v14, v10, v14
	s_delay_alu instid0(VALU_DEP_3) | instskip(SKIP_4) | instid1(VALU_DEP_2)
	v_cmp_ge_u32_e64 s11, v12, v31
	ds_load_u8 v14, v14
	s_wait_dscnt 0x0
	v_cndmask_b32_e64 v36, v14, v28, s8
	v_cndmask_b32_e64 v37, v35, v14, s8
	v_and_b32_e32 v14, 0xff, v36
	s_delay_alu instid0(VALU_DEP_2) | instskip(NEXT) | instid1(VALU_DEP_1)
	v_and_b32_e32 v16, 0xff, v37
	v_cmp_le_u16_e64 s10, v16, v14
	s_and_b32 s9, s9, s10
	s_wait_alu 0xfffe
	s_or_b32 s9, s11, s9
	s_wait_alu 0xfffe
	v_cndmask_b32_e64 v14, v12, v5, s9
	v_cndmask_b32_e64 v15, v31, v30, s9
	v_cndmask_b32_e64 v39, v36, v37, s9
	s_delay_alu instid0(VALU_DEP_3) | instskip(NEXT) | instid1(VALU_DEP_3)
	v_add_nc_u32_e32 v16, 1, v14
	v_add_nc_u32_e32 v15, -1, v15
	v_lshl_add_u32 v14, v14, 3, v9
	s_delay_alu instid0(VALU_DEP_3) | instskip(NEXT) | instid1(VALU_DEP_3)
	v_cndmask_b32_e64 v5, v5, v16, s9
	v_min_u32_e32 v15, v16, v15
	v_cndmask_b32_e64 v12, v16, v12, s9
	s_delay_alu instid0(VALU_DEP_3) | instskip(NEXT) | instid1(VALU_DEP_3)
	v_cmp_lt_u32_e64 s10, v5, v30
	v_add_nc_u32_e32 v15, v10, v15
	s_delay_alu instid0(VALU_DEP_3) | instskip(SKIP_4) | instid1(VALU_DEP_2)
	v_cmp_ge_u32_e64 s12, v12, v31
	ds_load_u8 v15, v15
	s_wait_dscnt 0x0
	v_cndmask_b32_e64 v48, v15, v36, s9
	v_cndmask_b32_e64 v49, v37, v15, s9
	v_and_b32_e32 v15, 0xff, v48
	s_delay_alu instid0(VALU_DEP_2) | instskip(NEXT) | instid1(VALU_DEP_1)
	v_and_b32_e32 v17, 0xff, v49
	v_cmp_le_u16_e64 s11, v17, v15
	s_and_b32 s10, s10, s11
	s_wait_alu 0xfffe
	s_or_b32 s10, s12, s10
	s_wait_alu 0xfffe
	v_cndmask_b32_e64 v15, v12, v5, s10
	v_cndmask_b32_e64 v16, v31, v30, s10
	v_cndmask_b32_e64 v28, v48, v49, s10
	s_delay_alu instid0(VALU_DEP_3) | instskip(NEXT) | instid1(VALU_DEP_3)
	v_add_nc_u32_e32 v17, 1, v15
	v_add_nc_u32_e32 v16, -1, v16
	v_lshl_add_u32 v15, v15, 3, v9
	s_delay_alu instid0(VALU_DEP_3) | instskip(NEXT) | instid1(VALU_DEP_3)
	;; [unrolled: 28-line block ×4, first 2 shown]
	v_cndmask_b32_e64 v5, v5, v17, s12
	v_min_u32_e32 v16, v17, v16
	v_cndmask_b32_e64 v12, v17, v12, s12
	s_delay_alu instid0(VALU_DEP_3) | instskip(NEXT) | instid1(VALU_DEP_3)
	v_cmp_lt_u32_e64 s13, v5, v30
	v_add_nc_u32_e32 v16, v10, v16
	s_delay_alu instid0(VALU_DEP_3) | instskip(SKIP_4) | instid1(VALU_DEP_2)
	v_cmp_ge_u32_e64 s15, v12, v31
	ds_load_u8 v16, v16
	s_wait_dscnt 0x0
	v_cndmask_b32_e64 v54, v16, v52, s12
	v_cndmask_b32_e64 v55, v53, v16, s12
	v_and_b32_e32 v16, 0xff, v54
	s_delay_alu instid0(VALU_DEP_2) | instskip(NEXT) | instid1(VALU_DEP_1)
	v_and_b32_e32 v20, 0xff, v55
	v_cmp_le_u16_e64 s14, v20, v16
	s_and_b32 s13, s13, s14
	s_wait_alu 0xfffe
	s_or_b32 s13, s15, s13
	s_wait_alu 0xfffe
	v_cndmask_b32_e64 v20, v12, v5, s13
	v_cndmask_b32_e64 v16, v31, v30, s13
	;; [unrolled: 1-line block ×3, first 2 shown]
	s_delay_alu instid0(VALU_DEP_3) | instskip(NEXT) | instid1(VALU_DEP_3)
	v_add_nc_u32_e32 v17, 1, v20
	v_add_nc_u32_e32 v16, -1, v16
	s_delay_alu instid0(VALU_DEP_2) | instskip(NEXT) | instid1(VALU_DEP_2)
	v_cndmask_b32_e64 v21, v5, v17, s13
	v_min_u32_e32 v16, v17, v16
	v_cndmask_b32_e64 v24, v17, v12, s13
	v_lshl_add_u32 v12, v13, 3, v9
	s_delay_alu instid0(VALU_DEP_4) | instskip(NEXT) | instid1(VALU_DEP_4)
	v_cmp_lt_u32_e64 s14, v21, v30
	v_add_nc_u32_e32 v16, v10, v16
	s_delay_alu instid0(VALU_DEP_4)
	v_cmp_ge_u32_e64 s16, v24, v31
	v_lshl_add_u32 v30, v20, 3, v9
	ds_load_u8 v16, v16
	s_wait_dscnt 0x0
	v_cndmask_b32_e64 v64, v16, v54, s13
	v_cndmask_b32_e64 v65, v55, v16, s13
	s_delay_alu instid0(VALU_DEP_2) | instskip(NEXT) | instid1(VALU_DEP_2)
	v_and_b32_e32 v5, 0xff, v64
	v_and_b32_e32 v16, 0xff, v65
	s_delay_alu instid0(VALU_DEP_1)
	v_cmp_le_u16_e64 s15, v16, v5
	ds_load_b64 v[4:5], v4 offset:2048
	ds_load_b64 v[12:13], v12 offset:2048
	;; [unrolled: 1-line block ×3, first 2 shown]
	s_and_b32 s14, s14, s15
	s_wait_alu 0xfffe
	s_or_b32 s14, s16, s14
	s_wait_alu 0xfffe
	v_cndmask_b32_e64 v14, v24, v21, s14
	v_cndmask_b32_e64 v36, v64, v65, s14
	s_delay_alu instid0(VALU_DEP_2)
	v_lshl_add_u32 v14, v14, 3, v9
	ds_load_b64 v[24:25], v15 offset:2048
	ds_load_b64 v[26:27], v18 offset:2048
	;; [unrolled: 1-line block ×5, first 2 shown]
.LBB201_86:
	s_wait_alu 0xfffe
	s_or_b32 exec_lo, exec_lo, s18
	v_and_b32_e32 v49, 0xe0, v34
	v_and_b32_e32 v50, 24, v34
	s_mov_b32 s8, exec_lo
	; wave barrier
	s_delay_alu instid0(VALU_DEP_2) | instskip(NEXT) | instid1(VALU_DEP_2)
	v_or_b32_e32 v30, 16, v49
	v_min_u32_e32 v50, v29, v50
	s_delay_alu instid0(VALU_DEP_2)
	v_min_u32_e32 v31, v29, v30
	v_add_nc_u32_e32 v30, v10, v34
	ds_store_b8 v30, v22
	s_wait_dscnt 0x8
	ds_store_b64 v11, v[4:5] offset:2048
	ds_store_b8 v30, v38 offset:1
	s_wait_dscnt 0x9
	ds_store_b64 v11, v[12:13] offset:2056
	v_add_nc_u32_e32 v48, 16, v31
	v_sub_nc_u32_e32 v52, v31, v49
	ds_store_b8 v30, v39 offset:2
	s_wait_dscnt 0xa
	ds_store_b64 v11, v[16:17] offset:2064
	ds_store_b8 v30, v28 offset:3
	s_wait_dscnt 0xb
	ds_store_b64 v11, v[24:25] offset:2072
	;; [unrolled: 3-line block ×6, first 2 shown]
	v_min_u32_e32 v48, v29, v48
	v_min_u32_e32 v52, v50, v52
	; wave barrier
	s_delay_alu instid0(VALU_DEP_2) | instskip(NEXT) | instid1(VALU_DEP_1)
	v_sub_nc_u32_e32 v51, v48, v31
	v_sub_nc_u32_e64 v51, v50, v51 clamp
	s_delay_alu instid0(VALU_DEP_1)
	v_cmpx_lt_u32_e64 v51, v52
	s_cbranch_execz .LBB201_90
; %bb.87:
	v_add_nc_u32_e32 v53, v10, v49
	v_add3_u32 v54, v10, v31, v50
	s_mov_b32 s9, 0
.LBB201_88:                             ; =>This Inner Loop Header: Depth=1
	v_add_nc_u32_e32 v55, v52, v51
	s_delay_alu instid0(VALU_DEP_1) | instskip(NEXT) | instid1(VALU_DEP_1)
	v_lshrrev_b32_e32 v55, 1, v55
	v_add_nc_u32_e32 v64, v53, v55
	v_xad_u32 v65, v55, -1, v54
	v_add_nc_u32_e32 v66, 1, v55
	ds_load_u8 v64, v64
	ds_load_u8 v65, v65
	s_wait_dscnt 0x0
	v_cmp_gt_u16_e64 s7, v64, v65
	s_wait_alu 0xf1ff
	s_delay_alu instid0(VALU_DEP_1) | instskip(SKIP_1) | instid1(VALU_DEP_1)
	v_cndmask_b32_e64 v52, v52, v55, s7
	v_cndmask_b32_e64 v51, v66, v51, s7
	v_cmp_ge_u32_e64 s7, v51, v52
	s_wait_alu 0xfffe
	s_or_b32 s9, s7, s9
	s_wait_alu 0xfffe
	s_and_not1_b32 exec_lo, exec_lo, s9
	s_cbranch_execnz .LBB201_88
; %bb.89:
	s_or_b32 exec_lo, exec_lo, s9
.LBB201_90:
	s_wait_alu 0xfffe
	s_or_b32 exec_lo, exec_lo, s8
	v_add_nc_u32_e32 v52, v31, v50
	v_add_nc_u32_e32 v50, v51, v49
	s_delay_alu instid0(VALU_DEP_2) | instskip(NEXT) | instid1(VALU_DEP_2)
	v_sub_nc_u32_e32 v49, v52, v51
	v_cmp_le_u32_e64 s7, v50, v31
	s_delay_alu instid0(VALU_DEP_2)
	v_cmp_le_u32_e64 s8, v49, v48
	s_or_b32 s7, s7, s8
	s_wait_alu 0xfffe
	s_and_saveexec_b32 s18, s7
	s_cbranch_execz .LBB201_96
; %bb.91:
	v_cmp_lt_u32_e64 s7, v50, v31
                                        ; implicit-def: $vgpr22
	s_and_saveexec_b32 s8, s7
; %bb.92:
	v_add_nc_u32_e32 v4, v10, v50
	ds_load_u8 v22, v4
; %bb.93:
	s_wait_alu 0xfffe
	s_or_b32 exec_lo, exec_lo, s8
	v_cmp_ge_u32_e64 s8, v49, v48
	s_mov_b32 s10, exec_lo
                                        ; implicit-def: $vgpr23
	v_cmpx_lt_u32_e64 v49, v48
; %bb.94:
	v_add_nc_u32_e32 v4, v10, v49
	ds_load_u8 v23, v4
; %bb.95:
	s_wait_alu 0xfffe
	s_or_b32 exec_lo, exec_lo, s10
	s_wait_dscnt 0x0
	v_and_b32_e32 v4, 0xff, v23
	v_and_b32_e32 v5, 0xff, v22
	s_delay_alu instid0(VALU_DEP_1)
	v_cmp_le_u16_e64 s9, v5, v4
	s_and_b32 s7, s7, s9
	s_wait_alu 0xfffe
	s_or_b32 s7, s8, s7
	s_wait_alu 0xfffe
	v_cndmask_b32_e64 v4, v49, v50, s7
	v_cndmask_b32_e64 v5, v48, v31, s7
	s_delay_alu instid0(VALU_DEP_2) | instskip(NEXT) | instid1(VALU_DEP_2)
	v_add_nc_u32_e32 v12, 1, v4
	v_add_nc_u32_e32 v5, -1, v5
	v_lshl_add_u32 v4, v4, 3, v9
	s_delay_alu instid0(VALU_DEP_2) | instskip(NEXT) | instid1(VALU_DEP_1)
	v_min_u32_e32 v5, v12, v5
	v_add_nc_u32_e32 v5, v10, v5
	ds_load_u8 v5, v5
	s_wait_dscnt 0x0
	v_cndmask_b32_e64 v28, v5, v23, s7
	v_cndmask_b32_e64 v35, v22, v5, s7
	;; [unrolled: 1-line block ×5, first 2 shown]
	v_and_b32_e32 v13, 0xff, v28
	v_and_b32_e32 v14, 0xff, v35
	v_cmp_lt_u32_e64 s8, v5, v31
	v_cmp_ge_u32_e64 s10, v12, v48
	s_delay_alu instid0(VALU_DEP_3)
	v_cmp_le_u16_e64 s9, v14, v13
	s_and_b32 s8, s8, s9
	s_wait_alu 0xfffe
	s_or_b32 s8, s10, s8
	s_wait_alu 0xfffe
	v_cndmask_b32_e64 v13, v12, v5, s8
	v_cndmask_b32_e64 v14, v48, v31, s8
	;; [unrolled: 1-line block ×3, first 2 shown]
	s_delay_alu instid0(VALU_DEP_3) | instskip(NEXT) | instid1(VALU_DEP_3)
	v_add_nc_u32_e32 v15, 1, v13
	v_add_nc_u32_e32 v14, -1, v14
	s_delay_alu instid0(VALU_DEP_2) | instskip(NEXT) | instid1(VALU_DEP_2)
	v_cndmask_b32_e64 v5, v5, v15, s8
	v_min_u32_e32 v14, v15, v14
	v_cndmask_b32_e64 v12, v15, v12, s8
	s_delay_alu instid0(VALU_DEP_3) | instskip(NEXT) | instid1(VALU_DEP_3)
	v_cmp_lt_u32_e64 s9, v5, v31
	v_add_nc_u32_e32 v14, v10, v14
	s_delay_alu instid0(VALU_DEP_3) | instskip(SKIP_4) | instid1(VALU_DEP_2)
	v_cmp_ge_u32_e64 s11, v12, v48
	ds_load_u8 v14, v14
	s_wait_dscnt 0x0
	v_cndmask_b32_e64 v36, v14, v28, s8
	v_cndmask_b32_e64 v37, v35, v14, s8
	v_and_b32_e32 v14, 0xff, v36
	s_delay_alu instid0(VALU_DEP_2) | instskip(NEXT) | instid1(VALU_DEP_1)
	v_and_b32_e32 v16, 0xff, v37
	v_cmp_le_u16_e64 s10, v16, v14
	s_and_b32 s9, s9, s10
	s_wait_alu 0xfffe
	s_or_b32 s9, s11, s9
	s_wait_alu 0xfffe
	v_cndmask_b32_e64 v14, v12, v5, s9
	v_cndmask_b32_e64 v15, v48, v31, s9
	v_cndmask_b32_e64 v39, v36, v37, s9
	s_delay_alu instid0(VALU_DEP_3) | instskip(NEXT) | instid1(VALU_DEP_3)
	v_add_nc_u32_e32 v16, 1, v14
	v_add_nc_u32_e32 v15, -1, v15
	v_lshl_add_u32 v14, v14, 3, v9
	s_delay_alu instid0(VALU_DEP_3) | instskip(NEXT) | instid1(VALU_DEP_3)
	v_cndmask_b32_e64 v5, v5, v16, s9
	v_min_u32_e32 v15, v16, v15
	v_cndmask_b32_e64 v12, v16, v12, s9
	s_delay_alu instid0(VALU_DEP_3) | instskip(NEXT) | instid1(VALU_DEP_3)
	v_cmp_lt_u32_e64 s10, v5, v31
	v_add_nc_u32_e32 v15, v10, v15
	s_delay_alu instid0(VALU_DEP_3) | instskip(SKIP_4) | instid1(VALU_DEP_2)
	v_cmp_ge_u32_e64 s12, v12, v48
	ds_load_u8 v15, v15
	s_wait_dscnt 0x0
	v_cndmask_b32_e64 v49, v15, v36, s9
	v_cndmask_b32_e64 v50, v37, v15, s9
	v_and_b32_e32 v15, 0xff, v49
	s_delay_alu instid0(VALU_DEP_2) | instskip(NEXT) | instid1(VALU_DEP_1)
	v_and_b32_e32 v17, 0xff, v50
	v_cmp_le_u16_e64 s11, v17, v15
	s_and_b32 s10, s10, s11
	s_wait_alu 0xfffe
	s_or_b32 s10, s12, s10
	s_wait_alu 0xfffe
	v_cndmask_b32_e64 v15, v12, v5, s10
	v_cndmask_b32_e64 v16, v48, v31, s10
	v_cndmask_b32_e64 v28, v49, v50, s10
	s_delay_alu instid0(VALU_DEP_3) | instskip(NEXT) | instid1(VALU_DEP_3)
	v_add_nc_u32_e32 v17, 1, v15
	v_add_nc_u32_e32 v16, -1, v16
	v_lshl_add_u32 v15, v15, 3, v9
	s_delay_alu instid0(VALU_DEP_3) | instskip(NEXT) | instid1(VALU_DEP_3)
	v_cndmask_b32_e64 v5, v5, v17, s10
	v_min_u32_e32 v16, v17, v16
	v_cndmask_b32_e64 v12, v17, v12, s10
	s_delay_alu instid0(VALU_DEP_3) | instskip(NEXT) | instid1(VALU_DEP_3)
	v_cmp_lt_u32_e64 s11, v5, v31
	v_add_nc_u32_e32 v16, v10, v16
	s_delay_alu instid0(VALU_DEP_3) | instskip(SKIP_4) | instid1(VALU_DEP_2)
	v_cmp_ge_u32_e64 s13, v12, v48
	ds_load_u8 v16, v16
	s_wait_dscnt 0x0
	v_cndmask_b32_e64 v51, v16, v49, s10
	v_cndmask_b32_e64 v52, v50, v16, s10
	v_and_b32_e32 v16, 0xff, v51
	s_delay_alu instid0(VALU_DEP_2) | instskip(NEXT) | instid1(VALU_DEP_1)
	v_and_b32_e32 v18, 0xff, v52
	v_cmp_le_u16_e64 s12, v18, v16
	s_and_b32 s11, s11, s12
	s_wait_alu 0xfffe
	s_or_b32 s11, s13, s11
	s_wait_alu 0xfffe
	v_cndmask_b32_e64 v18, v12, v5, s11
	v_cndmask_b32_e64 v16, v48, v31, s11
	v_cndmask_b32_e64 v23, v51, v52, s11
	s_delay_alu instid0(VALU_DEP_3) | instskip(NEXT) | instid1(VALU_DEP_3)
	v_add_nc_u32_e32 v17, 1, v18
	v_add_nc_u32_e32 v16, -1, v16
	v_lshl_add_u32 v18, v18, 3, v9
	s_delay_alu instid0(VALU_DEP_3) | instskip(NEXT) | instid1(VALU_DEP_3)
	v_cndmask_b32_e64 v5, v5, v17, s11
	v_min_u32_e32 v16, v17, v16
	v_cndmask_b32_e64 v12, v17, v12, s11
	s_delay_alu instid0(VALU_DEP_3) | instskip(NEXT) | instid1(VALU_DEP_3)
	v_cmp_lt_u32_e64 s12, v5, v31
	v_add_nc_u32_e32 v16, v10, v16
	s_delay_alu instid0(VALU_DEP_3) | instskip(SKIP_4) | instid1(VALU_DEP_2)
	v_cmp_ge_u32_e64 s14, v12, v48
	ds_load_u8 v16, v16
	s_wait_dscnt 0x0
	v_cndmask_b32_e64 v53, v16, v51, s11
	v_cndmask_b32_e64 v54, v52, v16, s11
	v_and_b32_e32 v16, 0xff, v53
	s_delay_alu instid0(VALU_DEP_2) | instskip(NEXT) | instid1(VALU_DEP_1)
	v_and_b32_e32 v19, 0xff, v54
	v_cmp_le_u16_e64 s13, v19, v16
	s_and_b32 s12, s12, s13
	s_wait_alu 0xfffe
	s_or_b32 s12, s14, s12
	s_wait_alu 0xfffe
	v_cndmask_b32_e64 v19, v12, v5, s12
	v_cndmask_b32_e64 v16, v48, v31, s12
	v_cndmask_b32_e64 v37, v53, v54, s12
	s_delay_alu instid0(VALU_DEP_3) | instskip(NEXT) | instid1(VALU_DEP_3)
	v_add_nc_u32_e32 v17, 1, v19
	v_add_nc_u32_e32 v16, -1, v16
	v_lshl_add_u32 v19, v19, 3, v9
	s_delay_alu instid0(VALU_DEP_3) | instskip(NEXT) | instid1(VALU_DEP_3)
	v_cndmask_b32_e64 v5, v5, v17, s12
	v_min_u32_e32 v16, v17, v16
	v_cndmask_b32_e64 v12, v17, v12, s12
	s_delay_alu instid0(VALU_DEP_3) | instskip(NEXT) | instid1(VALU_DEP_3)
	v_cmp_lt_u32_e64 s13, v5, v31
	v_add_nc_u32_e32 v16, v10, v16
	s_delay_alu instid0(VALU_DEP_3) | instskip(SKIP_4) | instid1(VALU_DEP_2)
	v_cmp_ge_u32_e64 s15, v12, v48
	ds_load_u8 v16, v16
	s_wait_dscnt 0x0
	v_cndmask_b32_e64 v55, v16, v53, s12
	v_cndmask_b32_e64 v64, v54, v16, s12
	v_and_b32_e32 v16, 0xff, v55
	s_delay_alu instid0(VALU_DEP_2) | instskip(NEXT) | instid1(VALU_DEP_1)
	v_and_b32_e32 v20, 0xff, v64
	v_cmp_le_u16_e64 s14, v20, v16
	s_and_b32 s13, s13, s14
	s_wait_alu 0xfffe
	s_or_b32 s13, s15, s13
	s_wait_alu 0xfffe
	v_cndmask_b32_e64 v20, v12, v5, s13
	v_cndmask_b32_e64 v16, v48, v31, s13
	;; [unrolled: 1-line block ×3, first 2 shown]
	s_delay_alu instid0(VALU_DEP_3) | instskip(NEXT) | instid1(VALU_DEP_3)
	v_add_nc_u32_e32 v17, 1, v20
	v_add_nc_u32_e32 v16, -1, v16
	s_delay_alu instid0(VALU_DEP_2) | instskip(NEXT) | instid1(VALU_DEP_2)
	v_cndmask_b32_e64 v21, v5, v17, s13
	v_min_u32_e32 v16, v17, v16
	v_cndmask_b32_e64 v24, v17, v12, s13
	v_lshl_add_u32 v12, v13, 3, v9
	s_delay_alu instid0(VALU_DEP_4) | instskip(NEXT) | instid1(VALU_DEP_4)
	v_cmp_lt_u32_e64 s14, v21, v31
	v_add_nc_u32_e32 v16, v10, v16
	s_delay_alu instid0(VALU_DEP_4)
	v_cmp_ge_u32_e64 s16, v24, v48
	v_lshl_add_u32 v31, v20, 3, v9
	ds_load_u8 v16, v16
	s_wait_dscnt 0x0
	v_cndmask_b32_e64 v65, v16, v55, s13
	v_cndmask_b32_e64 v66, v64, v16, s13
	s_delay_alu instid0(VALU_DEP_2) | instskip(NEXT) | instid1(VALU_DEP_2)
	v_and_b32_e32 v5, 0xff, v65
	v_and_b32_e32 v16, 0xff, v66
	s_delay_alu instid0(VALU_DEP_1)
	v_cmp_le_u16_e64 s15, v16, v5
	ds_load_b64 v[4:5], v4 offset:2048
	ds_load_b64 v[12:13], v12 offset:2048
	;; [unrolled: 1-line block ×3, first 2 shown]
	s_and_b32 s14, s14, s15
	s_wait_alu 0xfffe
	s_or_b32 s14, s16, s14
	s_wait_alu 0xfffe
	v_cndmask_b32_e64 v14, v24, v21, s14
	v_cndmask_b32_e64 v36, v65, v66, s14
	s_delay_alu instid0(VALU_DEP_2)
	v_lshl_add_u32 v14, v14, 3, v9
	ds_load_b64 v[24:25], v15 offset:2048
	ds_load_b64 v[26:27], v18 offset:2048
	;; [unrolled: 1-line block ×5, first 2 shown]
.LBB201_96:
	s_wait_alu 0xfffe
	s_or_b32 exec_lo, exec_lo, s18
	v_and_b32_e32 v49, 0xc0, v34
	v_and_b32_e32 v50, 56, v34
	s_mov_b32 s8, exec_lo
	; wave barrier
	s_delay_alu instid0(VALU_DEP_2) | instskip(NEXT) | instid1(VALU_DEP_2)
	v_or_b32_e32 v31, 32, v49
	v_min_u32_e32 v50, v29, v50
	ds_store_b8 v30, v22
	s_wait_dscnt 0x8
	ds_store_b64 v11, v[4:5] offset:2048
	ds_store_b8 v30, v38 offset:1
	s_wait_dscnt 0x9
	ds_store_b64 v11, v[12:13] offset:2056
	ds_store_b8 v30, v39 offset:2
	;; [unrolled: 3-line block ×3, first 2 shown]
	v_min_u32_e32 v31, v29, v31
	s_wait_dscnt 0xb
	ds_store_b64 v11, v[24:25] offset:2072
	ds_store_b8 v30, v23 offset:4
	s_wait_dscnt 0xc
	ds_store_b64 v11, v[26:27] offset:2080
	ds_store_b8 v30, v37 offset:5
	;; [unrolled: 3-line block ×4, first 2 shown]
	s_wait_dscnt 0xf
	ds_store_b64 v11, v[14:15] offset:2104
	; wave barrier
	v_add_nc_u32_e32 v48, 32, v31
	v_sub_nc_u32_e32 v52, v31, v49
	s_delay_alu instid0(VALU_DEP_2) | instskip(NEXT) | instid1(VALU_DEP_2)
	v_min_u32_e32 v48, v29, v48
	v_min_u32_e32 v52, v50, v52
	s_delay_alu instid0(VALU_DEP_2) | instskip(NEXT) | instid1(VALU_DEP_1)
	v_sub_nc_u32_e32 v51, v48, v31
	v_sub_nc_u32_e64 v51, v50, v51 clamp
	s_delay_alu instid0(VALU_DEP_1)
	v_cmpx_lt_u32_e64 v51, v52
	s_cbranch_execz .LBB201_100
; %bb.97:
	v_add_nc_u32_e32 v53, v10, v49
	v_add3_u32 v54, v10, v31, v50
	s_mov_b32 s9, 0
.LBB201_98:                             ; =>This Inner Loop Header: Depth=1
	v_add_nc_u32_e32 v55, v52, v51
	s_delay_alu instid0(VALU_DEP_1) | instskip(NEXT) | instid1(VALU_DEP_1)
	v_lshrrev_b32_e32 v55, 1, v55
	v_add_nc_u32_e32 v64, v53, v55
	v_xad_u32 v65, v55, -1, v54
	v_add_nc_u32_e32 v66, 1, v55
	ds_load_u8 v64, v64
	ds_load_u8 v65, v65
	s_wait_dscnt 0x0
	v_cmp_gt_u16_e64 s7, v64, v65
	s_wait_alu 0xf1ff
	s_delay_alu instid0(VALU_DEP_1) | instskip(SKIP_1) | instid1(VALU_DEP_1)
	v_cndmask_b32_e64 v52, v52, v55, s7
	v_cndmask_b32_e64 v51, v66, v51, s7
	v_cmp_ge_u32_e64 s7, v51, v52
	s_wait_alu 0xfffe
	s_or_b32 s9, s7, s9
	s_wait_alu 0xfffe
	s_and_not1_b32 exec_lo, exec_lo, s9
	s_cbranch_execnz .LBB201_98
; %bb.99:
	s_or_b32 exec_lo, exec_lo, s9
.LBB201_100:
	s_wait_alu 0xfffe
	s_or_b32 exec_lo, exec_lo, s8
	v_add_nc_u32_e32 v52, v31, v50
	v_add_nc_u32_e32 v50, v51, v49
	s_delay_alu instid0(VALU_DEP_2) | instskip(NEXT) | instid1(VALU_DEP_2)
	v_sub_nc_u32_e32 v49, v52, v51
	v_cmp_le_u32_e64 s7, v50, v31
	s_delay_alu instid0(VALU_DEP_2)
	v_cmp_le_u32_e64 s8, v49, v48
	s_or_b32 s7, s7, s8
	s_wait_alu 0xfffe
	s_and_saveexec_b32 s18, s7
	s_cbranch_execz .LBB201_106
; %bb.101:
	v_cmp_lt_u32_e64 s7, v50, v31
                                        ; implicit-def: $vgpr22
	s_and_saveexec_b32 s8, s7
; %bb.102:
	v_add_nc_u32_e32 v4, v10, v50
	ds_load_u8 v22, v4
; %bb.103:
	s_wait_alu 0xfffe
	s_or_b32 exec_lo, exec_lo, s8
	v_cmp_ge_u32_e64 s8, v49, v48
	s_mov_b32 s10, exec_lo
                                        ; implicit-def: $vgpr23
	v_cmpx_lt_u32_e64 v49, v48
; %bb.104:
	v_add_nc_u32_e32 v4, v10, v49
	ds_load_u8 v23, v4
; %bb.105:
	s_wait_alu 0xfffe
	s_or_b32 exec_lo, exec_lo, s10
	s_wait_dscnt 0x0
	v_and_b32_e32 v4, 0xff, v23
	v_and_b32_e32 v5, 0xff, v22
	s_delay_alu instid0(VALU_DEP_1)
	v_cmp_le_u16_e64 s9, v5, v4
	s_and_b32 s7, s7, s9
	s_wait_alu 0xfffe
	s_or_b32 s7, s8, s7
	s_wait_alu 0xfffe
	v_cndmask_b32_e64 v4, v49, v50, s7
	v_cndmask_b32_e64 v5, v48, v31, s7
	s_delay_alu instid0(VALU_DEP_2) | instskip(NEXT) | instid1(VALU_DEP_2)
	v_add_nc_u32_e32 v12, 1, v4
	v_add_nc_u32_e32 v5, -1, v5
	v_lshl_add_u32 v4, v4, 3, v9
	s_delay_alu instid0(VALU_DEP_2) | instskip(NEXT) | instid1(VALU_DEP_1)
	v_min_u32_e32 v5, v12, v5
	v_add_nc_u32_e32 v5, v10, v5
	ds_load_u8 v5, v5
	s_wait_dscnt 0x0
	v_cndmask_b32_e64 v28, v5, v23, s7
	v_cndmask_b32_e64 v35, v22, v5, s7
	;; [unrolled: 1-line block ×5, first 2 shown]
	v_and_b32_e32 v13, 0xff, v28
	v_and_b32_e32 v14, 0xff, v35
	v_cmp_lt_u32_e64 s8, v5, v31
	v_cmp_ge_u32_e64 s10, v12, v48
	s_delay_alu instid0(VALU_DEP_3)
	v_cmp_le_u16_e64 s9, v14, v13
	s_and_b32 s8, s8, s9
	s_wait_alu 0xfffe
	s_or_b32 s8, s10, s8
	s_wait_alu 0xfffe
	v_cndmask_b32_e64 v13, v12, v5, s8
	v_cndmask_b32_e64 v14, v48, v31, s8
	;; [unrolled: 1-line block ×3, first 2 shown]
	s_delay_alu instid0(VALU_DEP_3) | instskip(NEXT) | instid1(VALU_DEP_3)
	v_add_nc_u32_e32 v15, 1, v13
	v_add_nc_u32_e32 v14, -1, v14
	s_delay_alu instid0(VALU_DEP_2) | instskip(NEXT) | instid1(VALU_DEP_2)
	v_cndmask_b32_e64 v5, v5, v15, s8
	v_min_u32_e32 v14, v15, v14
	v_cndmask_b32_e64 v12, v15, v12, s8
	s_delay_alu instid0(VALU_DEP_3) | instskip(NEXT) | instid1(VALU_DEP_3)
	v_cmp_lt_u32_e64 s9, v5, v31
	v_add_nc_u32_e32 v14, v10, v14
	s_delay_alu instid0(VALU_DEP_3) | instskip(SKIP_4) | instid1(VALU_DEP_2)
	v_cmp_ge_u32_e64 s11, v12, v48
	ds_load_u8 v14, v14
	s_wait_dscnt 0x0
	v_cndmask_b32_e64 v36, v14, v28, s8
	v_cndmask_b32_e64 v37, v35, v14, s8
	v_and_b32_e32 v14, 0xff, v36
	s_delay_alu instid0(VALU_DEP_2) | instskip(NEXT) | instid1(VALU_DEP_1)
	v_and_b32_e32 v16, 0xff, v37
	v_cmp_le_u16_e64 s10, v16, v14
	s_and_b32 s9, s9, s10
	s_wait_alu 0xfffe
	s_or_b32 s9, s11, s9
	s_wait_alu 0xfffe
	v_cndmask_b32_e64 v14, v12, v5, s9
	v_cndmask_b32_e64 v15, v48, v31, s9
	v_cndmask_b32_e64 v39, v36, v37, s9
	s_delay_alu instid0(VALU_DEP_3) | instskip(NEXT) | instid1(VALU_DEP_3)
	v_add_nc_u32_e32 v16, 1, v14
	v_add_nc_u32_e32 v15, -1, v15
	v_lshl_add_u32 v14, v14, 3, v9
	s_delay_alu instid0(VALU_DEP_3) | instskip(NEXT) | instid1(VALU_DEP_3)
	v_cndmask_b32_e64 v5, v5, v16, s9
	v_min_u32_e32 v15, v16, v15
	v_cndmask_b32_e64 v12, v16, v12, s9
	s_delay_alu instid0(VALU_DEP_3) | instskip(NEXT) | instid1(VALU_DEP_3)
	v_cmp_lt_u32_e64 s10, v5, v31
	v_add_nc_u32_e32 v15, v10, v15
	s_delay_alu instid0(VALU_DEP_3) | instskip(SKIP_4) | instid1(VALU_DEP_2)
	v_cmp_ge_u32_e64 s12, v12, v48
	ds_load_u8 v15, v15
	s_wait_dscnt 0x0
	v_cndmask_b32_e64 v49, v15, v36, s9
	v_cndmask_b32_e64 v50, v37, v15, s9
	v_and_b32_e32 v15, 0xff, v49
	s_delay_alu instid0(VALU_DEP_2) | instskip(NEXT) | instid1(VALU_DEP_1)
	v_and_b32_e32 v17, 0xff, v50
	v_cmp_le_u16_e64 s11, v17, v15
	s_and_b32 s10, s10, s11
	s_wait_alu 0xfffe
	s_or_b32 s10, s12, s10
	s_wait_alu 0xfffe
	v_cndmask_b32_e64 v15, v12, v5, s10
	v_cndmask_b32_e64 v16, v48, v31, s10
	v_cndmask_b32_e64 v28, v49, v50, s10
	s_delay_alu instid0(VALU_DEP_3) | instskip(NEXT) | instid1(VALU_DEP_3)
	v_add_nc_u32_e32 v17, 1, v15
	v_add_nc_u32_e32 v16, -1, v16
	v_lshl_add_u32 v15, v15, 3, v9
	s_delay_alu instid0(VALU_DEP_3) | instskip(NEXT) | instid1(VALU_DEP_3)
	;; [unrolled: 28-line block ×4, first 2 shown]
	v_cndmask_b32_e64 v5, v5, v17, s12
	v_min_u32_e32 v16, v17, v16
	v_cndmask_b32_e64 v12, v17, v12, s12
	s_delay_alu instid0(VALU_DEP_3) | instskip(NEXT) | instid1(VALU_DEP_3)
	v_cmp_lt_u32_e64 s13, v5, v31
	v_add_nc_u32_e32 v16, v10, v16
	s_delay_alu instid0(VALU_DEP_3) | instskip(SKIP_4) | instid1(VALU_DEP_2)
	v_cmp_ge_u32_e64 s15, v12, v48
	ds_load_u8 v16, v16
	s_wait_dscnt 0x0
	v_cndmask_b32_e64 v55, v16, v53, s12
	v_cndmask_b32_e64 v64, v54, v16, s12
	v_and_b32_e32 v16, 0xff, v55
	s_delay_alu instid0(VALU_DEP_2) | instskip(NEXT) | instid1(VALU_DEP_1)
	v_and_b32_e32 v20, 0xff, v64
	v_cmp_le_u16_e64 s14, v20, v16
	s_and_b32 s13, s13, s14
	s_wait_alu 0xfffe
	s_or_b32 s13, s15, s13
	s_wait_alu 0xfffe
	v_cndmask_b32_e64 v20, v12, v5, s13
	v_cndmask_b32_e64 v16, v48, v31, s13
	;; [unrolled: 1-line block ×3, first 2 shown]
	s_delay_alu instid0(VALU_DEP_3) | instskip(NEXT) | instid1(VALU_DEP_3)
	v_add_nc_u32_e32 v17, 1, v20
	v_add_nc_u32_e32 v16, -1, v16
	s_delay_alu instid0(VALU_DEP_2) | instskip(NEXT) | instid1(VALU_DEP_2)
	v_cndmask_b32_e64 v21, v5, v17, s13
	v_min_u32_e32 v16, v17, v16
	v_cndmask_b32_e64 v24, v17, v12, s13
	v_lshl_add_u32 v12, v13, 3, v9
	s_delay_alu instid0(VALU_DEP_4) | instskip(NEXT) | instid1(VALU_DEP_4)
	v_cmp_lt_u32_e64 s14, v21, v31
	v_add_nc_u32_e32 v16, v10, v16
	s_delay_alu instid0(VALU_DEP_4)
	v_cmp_ge_u32_e64 s16, v24, v48
	v_lshl_add_u32 v31, v20, 3, v9
	ds_load_u8 v16, v16
	s_wait_dscnt 0x0
	v_cndmask_b32_e64 v65, v16, v55, s13
	v_cndmask_b32_e64 v66, v64, v16, s13
	s_delay_alu instid0(VALU_DEP_2) | instskip(NEXT) | instid1(VALU_DEP_2)
	v_and_b32_e32 v5, 0xff, v65
	v_and_b32_e32 v16, 0xff, v66
	s_delay_alu instid0(VALU_DEP_1)
	v_cmp_le_u16_e64 s15, v16, v5
	ds_load_b64 v[4:5], v4 offset:2048
	ds_load_b64 v[12:13], v12 offset:2048
	;; [unrolled: 1-line block ×3, first 2 shown]
	s_and_b32 s14, s14, s15
	s_wait_alu 0xfffe
	s_or_b32 s14, s16, s14
	s_wait_alu 0xfffe
	v_cndmask_b32_e64 v14, v24, v21, s14
	v_cndmask_b32_e64 v36, v65, v66, s14
	s_delay_alu instid0(VALU_DEP_2)
	v_lshl_add_u32 v14, v14, 3, v9
	ds_load_b64 v[24:25], v15 offset:2048
	ds_load_b64 v[26:27], v18 offset:2048
	;; [unrolled: 1-line block ×5, first 2 shown]
.LBB201_106:
	s_wait_alu 0xfffe
	s_or_b32 exec_lo, exec_lo, s18
	v_and_b32_e32 v48, 0x80, v34
	s_mov_b32 s8, exec_lo
	; wave barrier
	ds_store_b8 v30, v22
	s_wait_dscnt 0x8
	ds_store_b64 v11, v[4:5] offset:2048
	ds_store_b8 v30, v38 offset:1
	s_wait_dscnt 0x9
	ds_store_b64 v11, v[12:13] offset:2056
	v_or_b32_e32 v31, 64, v48
	ds_store_b8 v30, v39 offset:2
	s_wait_dscnt 0xa
	ds_store_b64 v11, v[16:17] offset:2064
	ds_store_b8 v30, v28 offset:3
	s_wait_dscnt 0xb
	ds_store_b64 v11, v[24:25] offset:2072
	;; [unrolled: 3-line block ×6, first 2 shown]
	v_min_u32_e32 v31, v29, v31
	; wave barrier
	s_delay_alu instid0(VALU_DEP_1) | instskip(SKIP_1) | instid1(VALU_DEP_2)
	v_add_nc_u32_e32 v34, 64, v31
	v_sub_nc_u32_e32 v50, v31, v48
	v_min_u32_e32 v34, v29, v34
	v_min_u32_e32 v29, v29, v32
	s_delay_alu instid0(VALU_DEP_2) | instskip(NEXT) | instid1(VALU_DEP_2)
	v_sub_nc_u32_e32 v49, v34, v31
	v_min_u32_e32 v50, v29, v50
	s_delay_alu instid0(VALU_DEP_2) | instskip(NEXT) | instid1(VALU_DEP_1)
	v_sub_nc_u32_e64 v49, v29, v49 clamp
	v_cmpx_lt_u32_e64 v49, v50
	s_cbranch_execz .LBB201_110
; %bb.107:
	v_add_nc_u32_e32 v11, v10, v48
	v_add3_u32 v30, v10, v31, v29
	s_mov_b32 s9, 0
.LBB201_108:                            ; =>This Inner Loop Header: Depth=1
	v_add_nc_u32_e32 v51, v50, v49
	s_delay_alu instid0(VALU_DEP_1) | instskip(NEXT) | instid1(VALU_DEP_1)
	v_lshrrev_b32_e32 v51, 1, v51
	v_add_nc_u32_e32 v52, v11, v51
	v_xad_u32 v53, v51, -1, v30
	v_add_nc_u32_e32 v54, 1, v51
	ds_load_u8 v52, v52
	ds_load_u8 v53, v53
	s_wait_dscnt 0x0
	v_cmp_gt_u16_e64 s7, v52, v53
	s_wait_alu 0xf1ff
	s_delay_alu instid0(VALU_DEP_1) | instskip(SKIP_1) | instid1(VALU_DEP_1)
	v_cndmask_b32_e64 v50, v50, v51, s7
	v_cndmask_b32_e64 v49, v54, v49, s7
	v_cmp_ge_u32_e64 s7, v49, v50
	s_wait_alu 0xfffe
	s_or_b32 s9, s7, s9
	s_wait_alu 0xfffe
	s_and_not1_b32 exec_lo, exec_lo, s9
	s_cbranch_execnz .LBB201_108
; %bb.109:
	s_or_b32 exec_lo, exec_lo, s9
.LBB201_110:
	s_wait_alu 0xfffe
	s_or_b32 exec_lo, exec_lo, s8
	v_add_nc_u32_e32 v11, v31, v29
	v_add_nc_u32_e32 v30, v49, v48
	s_delay_alu instid0(VALU_DEP_2) | instskip(NEXT) | instid1(VALU_DEP_2)
	v_sub_nc_u32_e32 v29, v11, v49
	v_cmp_le_u32_e64 s7, v30, v31
	s_delay_alu instid0(VALU_DEP_2)
	v_cmp_le_u32_e64 s8, v29, v34
	s_or_b32 s7, s7, s8
	s_wait_alu 0xfffe
	s_and_saveexec_b32 s18, s7
	s_cbranch_execz .LBB201_116
; %bb.111:
	v_cmp_lt_u32_e64 s7, v30, v31
                                        ; implicit-def: $vgpr11
	s_and_saveexec_b32 s8, s7
; %bb.112:
	v_add_nc_u32_e32 v4, v10, v30
	ds_load_u8 v11, v4
; %bb.113:
	s_wait_alu 0xfffe
	s_or_b32 exec_lo, exec_lo, s8
	v_cmp_ge_u32_e64 s8, v29, v34
	s_mov_b32 s10, exec_lo
                                        ; implicit-def: $vgpr22
	v_cmpx_lt_u32_e64 v29, v34
; %bb.114:
	v_add_nc_u32_e32 v4, v10, v29
	ds_load_u8 v22, v4
; %bb.115:
	s_wait_alu 0xfffe
	s_or_b32 exec_lo, exec_lo, s10
	s_wait_dscnt 0x0
	v_and_b32_e32 v4, 0xff, v22
	v_and_b32_e32 v5, 0xff, v11
	s_delay_alu instid0(VALU_DEP_1)
	v_cmp_le_u16_e64 s9, v5, v4
	s_and_b32 s7, s7, s9
	s_wait_alu 0xfffe
	s_or_b32 s7, s8, s7
	s_wait_alu 0xfffe
	v_cndmask_b32_e64 v4, v29, v30, s7
	v_cndmask_b32_e64 v5, v34, v31, s7
	s_delay_alu instid0(VALU_DEP_2) | instskip(NEXT) | instid1(VALU_DEP_2)
	v_add_nc_u32_e32 v12, 1, v4
	v_add_nc_u32_e32 v5, -1, v5
	v_lshl_add_u32 v4, v4, 3, v9
	s_delay_alu instid0(VALU_DEP_2) | instskip(NEXT) | instid1(VALU_DEP_1)
	v_min_u32_e32 v5, v12, v5
	v_add_nc_u32_e32 v5, v10, v5
	ds_load_u8 v5, v5
	s_wait_dscnt 0x0
	v_cndmask_b32_e64 v23, v5, v22, s7
	v_cndmask_b32_e64 v28, v11, v5, s7
	;; [unrolled: 1-line block ×5, first 2 shown]
	v_and_b32_e32 v13, 0xff, v23
	v_and_b32_e32 v14, 0xff, v28
	v_cmp_lt_u32_e64 s8, v5, v31
	v_cmp_ge_u32_e64 s10, v12, v34
	s_delay_alu instid0(VALU_DEP_3)
	v_cmp_le_u16_e64 s9, v14, v13
	s_and_b32 s8, s8, s9
	s_wait_alu 0xfffe
	s_or_b32 s8, s10, s8
	s_wait_alu 0xfffe
	v_cndmask_b32_e64 v13, v12, v5, s8
	v_cndmask_b32_e64 v14, v34, v31, s8
	;; [unrolled: 1-line block ×3, first 2 shown]
	s_delay_alu instid0(VALU_DEP_3) | instskip(NEXT) | instid1(VALU_DEP_3)
	v_add_nc_u32_e32 v15, 1, v13
	v_add_nc_u32_e32 v14, -1, v14
	s_delay_alu instid0(VALU_DEP_2) | instskip(NEXT) | instid1(VALU_DEP_2)
	v_cndmask_b32_e64 v5, v5, v15, s8
	v_min_u32_e32 v14, v15, v14
	v_cndmask_b32_e64 v12, v15, v12, s8
	s_delay_alu instid0(VALU_DEP_3) | instskip(NEXT) | instid1(VALU_DEP_3)
	v_cmp_lt_u32_e64 s9, v5, v31
	v_add_nc_u32_e32 v14, v10, v14
	s_delay_alu instid0(VALU_DEP_3) | instskip(SKIP_4) | instid1(VALU_DEP_2)
	v_cmp_ge_u32_e64 s11, v12, v34
	ds_load_u8 v14, v14
	s_wait_dscnt 0x0
	v_cndmask_b32_e64 v29, v14, v23, s8
	v_cndmask_b32_e64 v30, v28, v14, s8
	v_and_b32_e32 v14, 0xff, v29
	s_delay_alu instid0(VALU_DEP_2) | instskip(NEXT) | instid1(VALU_DEP_1)
	v_and_b32_e32 v16, 0xff, v30
	v_cmp_le_u16_e64 s10, v16, v14
	s_and_b32 s9, s9, s10
	s_wait_alu 0xfffe
	s_or_b32 s9, s11, s9
	s_wait_alu 0xfffe
	v_cndmask_b32_e64 v14, v12, v5, s9
	v_cndmask_b32_e64 v15, v34, v31, s9
	v_cndmask_b32_e64 v39, v29, v30, s9
	s_delay_alu instid0(VALU_DEP_3) | instskip(NEXT) | instid1(VALU_DEP_3)
	v_add_nc_u32_e32 v16, 1, v14
	v_add_nc_u32_e32 v15, -1, v15
	v_lshl_add_u32 v14, v14, 3, v9
	s_delay_alu instid0(VALU_DEP_3) | instskip(NEXT) | instid1(VALU_DEP_3)
	v_cndmask_b32_e64 v5, v5, v16, s9
	v_min_u32_e32 v15, v16, v15
	v_cndmask_b32_e64 v12, v16, v12, s9
	s_delay_alu instid0(VALU_DEP_3) | instskip(NEXT) | instid1(VALU_DEP_3)
	v_cmp_lt_u32_e64 s10, v5, v31
	v_add_nc_u32_e32 v15, v10, v15
	s_delay_alu instid0(VALU_DEP_3) | instskip(SKIP_4) | instid1(VALU_DEP_2)
	v_cmp_ge_u32_e64 s12, v12, v34
	ds_load_u8 v15, v15
	s_wait_dscnt 0x0
	v_cndmask_b32_e64 v35, v15, v29, s9
	v_cndmask_b32_e64 v36, v30, v15, s9
	v_and_b32_e32 v15, 0xff, v35
	s_delay_alu instid0(VALU_DEP_2) | instskip(NEXT) | instid1(VALU_DEP_1)
	v_and_b32_e32 v17, 0xff, v36
	v_cmp_le_u16_e64 s11, v17, v15
	s_and_b32 s10, s10, s11
	s_wait_alu 0xfffe
	s_or_b32 s10, s12, s10
	s_wait_alu 0xfffe
	v_cndmask_b32_e64 v15, v12, v5, s10
	v_cndmask_b32_e64 v16, v34, v31, s10
	v_cndmask_b32_e64 v28, v35, v36, s10
	s_delay_alu instid0(VALU_DEP_3) | instskip(NEXT) | instid1(VALU_DEP_3)
	v_add_nc_u32_e32 v17, 1, v15
	v_add_nc_u32_e32 v16, -1, v16
	v_lshl_add_u32 v15, v15, 3, v9
	s_delay_alu instid0(VALU_DEP_3) | instskip(NEXT) | instid1(VALU_DEP_3)
	;; [unrolled: 28-line block ×4, first 2 shown]
	v_cndmask_b32_e64 v5, v5, v17, s12
	v_min_u32_e32 v16, v17, v16
	v_cndmask_b32_e64 v12, v17, v12, s12
	s_delay_alu instid0(VALU_DEP_3) | instskip(NEXT) | instid1(VALU_DEP_3)
	v_cmp_lt_u32_e64 s13, v5, v31
	v_add_nc_u32_e32 v16, v10, v16
	s_delay_alu instid0(VALU_DEP_3) | instskip(SKIP_4) | instid1(VALU_DEP_2)
	v_cmp_ge_u32_e64 s15, v12, v34
	ds_load_u8 v16, v16
	s_wait_dscnt 0x0
	v_cndmask_b32_e64 v51, v16, v49, s12
	v_cndmask_b32_e64 v52, v50, v16, s12
	v_and_b32_e32 v16, 0xff, v51
	s_delay_alu instid0(VALU_DEP_2) | instskip(NEXT) | instid1(VALU_DEP_1)
	v_and_b32_e32 v20, 0xff, v52
	v_cmp_le_u16_e64 s14, v20, v16
	s_and_b32 s13, s13, s14
	s_wait_alu 0xfffe
	s_or_b32 s13, s15, s13
	s_wait_alu 0xfffe
	v_cndmask_b32_e64 v20, v12, v5, s13
	v_cndmask_b32_e64 v16, v34, v31, s13
	;; [unrolled: 1-line block ×3, first 2 shown]
	s_delay_alu instid0(VALU_DEP_3) | instskip(NEXT) | instid1(VALU_DEP_3)
	v_add_nc_u32_e32 v17, 1, v20
	v_add_nc_u32_e32 v16, -1, v16
	s_delay_alu instid0(VALU_DEP_2) | instskip(NEXT) | instid1(VALU_DEP_2)
	v_cndmask_b32_e64 v21, v5, v17, s13
	v_min_u32_e32 v16, v17, v16
	v_cndmask_b32_e64 v24, v17, v12, s13
	v_lshl_add_u32 v12, v13, 3, v9
	s_delay_alu instid0(VALU_DEP_4) | instskip(NEXT) | instid1(VALU_DEP_4)
	v_cmp_lt_u32_e64 s14, v21, v31
	v_add_nc_u32_e32 v10, v10, v16
	s_delay_alu instid0(VALU_DEP_4)
	v_cmp_ge_u32_e64 s16, v24, v34
	v_lshl_add_u32 v31, v20, 3, v9
	ds_load_u8 v10, v10
	s_wait_dscnt 0x0
	v_cndmask_b32_e64 v53, v10, v51, s13
	v_cndmask_b32_e64 v10, v52, v10, s13
	s_delay_alu instid0(VALU_DEP_2) | instskip(NEXT) | instid1(VALU_DEP_2)
	v_and_b32_e32 v5, 0xff, v53
	v_and_b32_e32 v16, 0xff, v10
	s_delay_alu instid0(VALU_DEP_1)
	v_cmp_le_u16_e64 s15, v16, v5
	ds_load_b64 v[4:5], v4 offset:2048
	ds_load_b64 v[12:13], v12 offset:2048
	;; [unrolled: 1-line block ×3, first 2 shown]
	s_and_b32 s14, s14, s15
	s_wait_alu 0xfffe
	s_or_b32 s14, s16, s14
	s_wait_alu 0xfffe
	v_cndmask_b32_e64 v14, v24, v21, s14
	v_cndmask_b32_e64 v36, v53, v10, s14
	s_delay_alu instid0(VALU_DEP_2)
	v_lshl_add_u32 v9, v14, 3, v9
	ds_load_b64 v[24:25], v15 offset:2048
	ds_load_b64 v[26:27], v18 offset:2048
	;; [unrolled: 1-line block ×5, first 2 shown]
.LBB201_116:
	s_wait_alu 0xfffe
	s_or_b32 exec_lo, exec_lo, s18
	; wave barrier
	s_wait_storecnt_dscnt 0x0
	s_barrier_signal -1
	s_barrier_wait -1
.LBB201_117:
	s_wait_alu 0xfffe
	s_or_b32 exec_lo, exec_lo, s17
	v_add_co_u32 v2, s7, v2, v8
	s_wait_alu 0xf1ff
	v_add_co_ci_u32_e64 v3, null, 0, v3, s7
	s_wait_storecnt 0x0
	s_wait_loadcnt_dscnt 0x0
	global_inv scope:SCOPE_SE
	v_add_co_u32 v2, s7, v2, v32
	s_wait_alu 0xf1ff
	v_add_co_ci_u32_e64 v3, null, 0, v3, s7
	; wave barrier
	s_and_saveexec_b32 s7, vcc_lo
	s_cbranch_execnz .LBB201_142
; %bb.118:
	s_wait_alu 0xfffe
	s_or_b32 exec_lo, exec_lo, s7
	s_and_saveexec_b32 s7, s0
	s_cbranch_execnz .LBB201_143
.LBB201_119:
	s_wait_alu 0xfffe
	s_or_b32 exec_lo, exec_lo, s7
	s_and_saveexec_b32 s7, s1
	s_cbranch_execnz .LBB201_144
.LBB201_120:
	s_wait_alu 0xfffe
	s_or_b32 exec_lo, exec_lo, s7
	s_and_saveexec_b32 s7, s2
	s_cbranch_execnz .LBB201_145
.LBB201_121:
	s_wait_alu 0xfffe
	s_or_b32 exec_lo, exec_lo, s7
	s_and_saveexec_b32 s7, s3
	s_cbranch_execnz .LBB201_146
.LBB201_122:
	s_wait_alu 0xfffe
	s_or_b32 exec_lo, exec_lo, s7
	s_and_saveexec_b32 s7, s4
	s_cbranch_execnz .LBB201_147
.LBB201_123:
	s_wait_alu 0xfffe
	s_or_b32 exec_lo, exec_lo, s7
	s_and_saveexec_b32 s7, s5
	s_cbranch_execnz .LBB201_148
.LBB201_124:
	s_wait_alu 0xfffe
	s_or_b32 exec_lo, exec_lo, s7
	s_and_saveexec_b32 s7, s6
	s_cbranch_execz .LBB201_126
.LBB201_125:
	flat_store_b8 v[2:3], v36 offset:7
.LBB201_126:
	s_wait_alu 0xfffe
	s_or_b32 exec_lo, exec_lo, s7
	v_add_co_u32 v0, s7, v6, v0
	s_wait_alu 0xf1ff
	v_add_co_ci_u32_e64 v1, null, v7, v1, s7
	s_delay_alu instid0(VALU_DEP_2) | instskip(SKIP_1) | instid1(VALU_DEP_2)
	v_add_co_u32 v0, s7, v0, v33
	s_wait_alu 0xf1ff
	v_add_co_ci_u32_e64 v1, null, 0, v1, s7
	; wave barrier
	s_and_saveexec_b32 s7, vcc_lo
	s_cbranch_execnz .LBB201_149
; %bb.127:
	s_wait_alu 0xfffe
	s_or_b32 exec_lo, exec_lo, s7
	s_and_saveexec_b32 s7, s0
	s_cbranch_execnz .LBB201_150
.LBB201_128:
	s_wait_alu 0xfffe
	s_or_b32 exec_lo, exec_lo, s7
	s_and_saveexec_b32 s0, s1
	s_cbranch_execnz .LBB201_151
.LBB201_129:
	s_wait_alu 0xfffe
	s_or_b32 exec_lo, exec_lo, s0
	s_and_saveexec_b32 s0, s2
	s_cbranch_execnz .LBB201_152
.LBB201_130:
	s_wait_alu 0xfffe
	s_or_b32 exec_lo, exec_lo, s0
	s_and_saveexec_b32 s0, s3
	s_cbranch_execnz .LBB201_153
.LBB201_131:
	s_wait_alu 0xfffe
	s_or_b32 exec_lo, exec_lo, s0
	s_and_saveexec_b32 s0, s4
	s_cbranch_execnz .LBB201_154
.LBB201_132:
	s_wait_alu 0xfffe
	s_or_b32 exec_lo, exec_lo, s0
	s_and_saveexec_b32 s0, s5
	s_cbranch_execnz .LBB201_155
.LBB201_133:
	s_wait_alu 0xfffe
	s_or_b32 exec_lo, exec_lo, s0
	s_and_saveexec_b32 s0, s6
	s_cbranch_execnz .LBB201_156
.LBB201_134:
	s_wait_alu 0xfffe
	s_or_b32 exec_lo, exec_lo, s0
	s_wait_loadcnt_dscnt 0x0
	s_setpc_b64 s[30:31]
.LBB201_135:
	flat_load_b64 v[4:5], v[29:30]
	s_wait_alu 0xfffe
	s_or_b32 exec_lo, exec_lo, s7
                                        ; implicit-def: $vgpr12_vgpr13
	s_and_saveexec_b32 s7, s0
	s_cbranch_execz .LBB201_18
.LBB201_136:
	flat_load_b64 v[12:13], v[29:30] offset:8
	s_wait_alu 0xfffe
	s_or_b32 exec_lo, exec_lo, s7
                                        ; implicit-def: $vgpr16_vgpr17
	s_and_saveexec_b32 s7, s1
	s_cbranch_execz .LBB201_19
.LBB201_137:
	flat_load_b64 v[16:17], v[29:30] offset:16
	s_wait_alu 0xfffe
	s_or_b32 exec_lo, exec_lo, s7
                                        ; implicit-def: $vgpr24_vgpr25
	s_and_saveexec_b32 s7, s2
	s_cbranch_execz .LBB201_20
.LBB201_138:
	flat_load_b64 v[24:25], v[29:30] offset:24
	s_wait_alu 0xfffe
	s_or_b32 exec_lo, exec_lo, s7
                                        ; implicit-def: $vgpr26_vgpr27
	s_and_saveexec_b32 s7, s3
	s_cbranch_execz .LBB201_21
.LBB201_139:
	flat_load_b64 v[26:27], v[29:30] offset:32
	s_wait_alu 0xfffe
	s_or_b32 exec_lo, exec_lo, s7
                                        ; implicit-def: $vgpr20_vgpr21
	s_and_saveexec_b32 s7, s4
	s_cbranch_execz .LBB201_22
.LBB201_140:
	flat_load_b64 v[20:21], v[29:30] offset:40
	s_wait_alu 0xfffe
	s_or_b32 exec_lo, exec_lo, s7
                                        ; implicit-def: $vgpr18_vgpr19
	s_and_saveexec_b32 s7, s5
	s_cbranch_execz .LBB201_23
.LBB201_141:
	flat_load_b64 v[18:19], v[29:30] offset:48
	s_wait_alu 0xfffe
	s_or_b32 exec_lo, exec_lo, s7
                                        ; implicit-def: $vgpr14_vgpr15
	s_and_saveexec_b32 s7, s6
	s_cbranch_execnz .LBB201_24
	s_branch .LBB201_25
.LBB201_142:
	flat_store_b8 v[2:3], v22
	s_wait_alu 0xfffe
	s_or_b32 exec_lo, exec_lo, s7
	s_and_saveexec_b32 s7, s0
	s_cbranch_execz .LBB201_119
.LBB201_143:
	flat_store_b8 v[2:3], v38 offset:1
	s_wait_alu 0xfffe
	s_or_b32 exec_lo, exec_lo, s7
	s_and_saveexec_b32 s7, s1
	s_cbranch_execz .LBB201_120
.LBB201_144:
	flat_store_b8 v[2:3], v39 offset:2
	s_wait_alu 0xfffe
	s_or_b32 exec_lo, exec_lo, s7
	s_and_saveexec_b32 s7, s2
	s_cbranch_execz .LBB201_121
.LBB201_145:
	flat_store_b8 v[2:3], v28 offset:3
	s_wait_alu 0xfffe
	s_or_b32 exec_lo, exec_lo, s7
	s_and_saveexec_b32 s7, s3
	s_cbranch_execz .LBB201_122
.LBB201_146:
	flat_store_b8 v[2:3], v23 offset:4
	s_wait_alu 0xfffe
	s_or_b32 exec_lo, exec_lo, s7
	s_and_saveexec_b32 s7, s4
	s_cbranch_execz .LBB201_123
.LBB201_147:
	flat_store_b8 v[2:3], v37 offset:5
	s_wait_alu 0xfffe
	s_or_b32 exec_lo, exec_lo, s7
	s_and_saveexec_b32 s7, s5
	s_cbranch_execz .LBB201_124
.LBB201_148:
	flat_store_b8 v[2:3], v35 offset:6
	s_wait_alu 0xfffe
	s_or_b32 exec_lo, exec_lo, s7
	s_and_saveexec_b32 s7, s6
	s_cbranch_execnz .LBB201_125
	s_branch .LBB201_126
.LBB201_149:
	flat_store_b64 v[0:1], v[4:5]
	s_wait_alu 0xfffe
	s_or_b32 exec_lo, exec_lo, s7
	s_and_saveexec_b32 s7, s0
	s_cbranch_execz .LBB201_128
.LBB201_150:
	flat_store_b64 v[0:1], v[12:13] offset:8
	s_wait_alu 0xfffe
	s_or_b32 exec_lo, exec_lo, s7
	s_and_saveexec_b32 s0, s1
	s_cbranch_execz .LBB201_129
.LBB201_151:
	flat_store_b64 v[0:1], v[16:17] offset:16
	s_wait_alu 0xfffe
	s_or_b32 exec_lo, exec_lo, s0
	s_and_saveexec_b32 s0, s2
	s_cbranch_execz .LBB201_130
.LBB201_152:
	flat_store_b64 v[0:1], v[24:25] offset:24
	s_wait_alu 0xfffe
	s_or_b32 exec_lo, exec_lo, s0
	s_and_saveexec_b32 s0, s3
	s_cbranch_execz .LBB201_131
.LBB201_153:
	flat_store_b64 v[0:1], v[26:27] offset:32
	s_wait_alu 0xfffe
	s_or_b32 exec_lo, exec_lo, s0
	s_and_saveexec_b32 s0, s4
	s_cbranch_execz .LBB201_132
.LBB201_154:
	flat_store_b64 v[0:1], v[20:21] offset:40
	s_wait_alu 0xfffe
	s_or_b32 exec_lo, exec_lo, s0
	s_and_saveexec_b32 s0, s5
	s_cbranch_execz .LBB201_133
.LBB201_155:
	flat_store_b64 v[0:1], v[18:19] offset:48
	s_wait_alu 0xfffe
	s_or_b32 exec_lo, exec_lo, s0
	s_and_saveexec_b32 s0, s6
	s_cbranch_execz .LBB201_134
.LBB201_156:
	flat_store_b64 v[0:1], v[14:15] offset:56
	s_wait_alu 0xfffe
	s_or_b32 exec_lo, exec_lo, s0
	s_wait_loadcnt_dscnt 0x0
	s_setpc_b64 s[30:31]
.Lfunc_end201:
	.size	_ZN7rocprim17ROCPRIM_400000_NS6detail26segmented_warp_sort_helperINS1_20WarpSortHelperConfigILj16ELj8ELj256EEEhlLi256ELb0EvE4sortIPKhPhPKlPlEEvT_T0_T1_T2_jjjjRNS5_12storage_typeE, .Lfunc_end201-_ZN7rocprim17ROCPRIM_400000_NS6detail26segmented_warp_sort_helperINS1_20WarpSortHelperConfigILj16ELj8ELj256EEEhlLi256ELb0EvE4sortIPKhPhPKlPlEEvT_T0_T1_T2_jjjjRNS5_12storage_typeE
                                        ; -- End function
	.set .L_ZN7rocprim17ROCPRIM_400000_NS6detail26segmented_warp_sort_helperINS1_20WarpSortHelperConfigILj16ELj8ELj256EEEhlLi256ELb0EvE4sortIPKhPhPKlPlEEvT_T0_T1_T2_jjjjRNS5_12storage_typeE.num_vgpr, 68
	.set .L_ZN7rocprim17ROCPRIM_400000_NS6detail26segmented_warp_sort_helperINS1_20WarpSortHelperConfigILj16ELj8ELj256EEEhlLi256ELb0EvE4sortIPKhPhPKlPlEEvT_T0_T1_T2_jjjjRNS5_12storage_typeE.num_agpr, 0
	.set .L_ZN7rocprim17ROCPRIM_400000_NS6detail26segmented_warp_sort_helperINS1_20WarpSortHelperConfigILj16ELj8ELj256EEEhlLi256ELb0EvE4sortIPKhPhPKlPlEEvT_T0_T1_T2_jjjjRNS5_12storage_typeE.numbered_sgpr, 32
	.set .L_ZN7rocprim17ROCPRIM_400000_NS6detail26segmented_warp_sort_helperINS1_20WarpSortHelperConfigILj16ELj8ELj256EEEhlLi256ELb0EvE4sortIPKhPhPKlPlEEvT_T0_T1_T2_jjjjRNS5_12storage_typeE.num_named_barrier, 0
	.set .L_ZN7rocprim17ROCPRIM_400000_NS6detail26segmented_warp_sort_helperINS1_20WarpSortHelperConfigILj16ELj8ELj256EEEhlLi256ELb0EvE4sortIPKhPhPKlPlEEvT_T0_T1_T2_jjjjRNS5_12storage_typeE.private_seg_size, 0
	.set .L_ZN7rocprim17ROCPRIM_400000_NS6detail26segmented_warp_sort_helperINS1_20WarpSortHelperConfigILj16ELj8ELj256EEEhlLi256ELb0EvE4sortIPKhPhPKlPlEEvT_T0_T1_T2_jjjjRNS5_12storage_typeE.uses_vcc, 1
	.set .L_ZN7rocprim17ROCPRIM_400000_NS6detail26segmented_warp_sort_helperINS1_20WarpSortHelperConfigILj16ELj8ELj256EEEhlLi256ELb0EvE4sortIPKhPhPKlPlEEvT_T0_T1_T2_jjjjRNS5_12storage_typeE.uses_flat_scratch, 0
	.set .L_ZN7rocprim17ROCPRIM_400000_NS6detail26segmented_warp_sort_helperINS1_20WarpSortHelperConfigILj16ELj8ELj256EEEhlLi256ELb0EvE4sortIPKhPhPKlPlEEvT_T0_T1_T2_jjjjRNS5_12storage_typeE.has_dyn_sized_stack, 0
	.set .L_ZN7rocprim17ROCPRIM_400000_NS6detail26segmented_warp_sort_helperINS1_20WarpSortHelperConfigILj16ELj8ELj256EEEhlLi256ELb0EvE4sortIPKhPhPKlPlEEvT_T0_T1_T2_jjjjRNS5_12storage_typeE.has_recursion, 0
	.set .L_ZN7rocprim17ROCPRIM_400000_NS6detail26segmented_warp_sort_helperINS1_20WarpSortHelperConfigILj16ELj8ELj256EEEhlLi256ELb0EvE4sortIPKhPhPKlPlEEvT_T0_T1_T2_jjjjRNS5_12storage_typeE.has_indirect_call, 0
	.section	.AMDGPU.csdata,"",@progbits
; Function info:
; codeLenInByte = 23024
; TotalNumSgprs: 34
; NumVgprs: 68
; ScratchSize: 0
; MemoryBound: 0
	.section	.text._ZN7rocprim17ROCPRIM_400000_NS6detail17trampoline_kernelINS0_14default_configENS1_36segmented_radix_sort_config_selectorIhlEEZNS1_25segmented_radix_sort_implIS3_Lb0EPKhPhPKlPlN2at6native12_GLOBAL__N_18offset_tEEE10hipError_tPvRmT1_PNSt15iterator_traitsISK_E10value_typeET2_T3_PNSL_ISQ_E10value_typeET4_jRbjT5_SW_jjP12ihipStream_tbEUlT_E0_NS1_11comp_targetILNS1_3genE10ELNS1_11target_archE1201ELNS1_3gpuE5ELNS1_3repE0EEENS1_60segmented_radix_sort_warp_sort_medium_config_static_selectorELNS0_4arch9wavefront6targetE0EEEvSK_,"axG",@progbits,_ZN7rocprim17ROCPRIM_400000_NS6detail17trampoline_kernelINS0_14default_configENS1_36segmented_radix_sort_config_selectorIhlEEZNS1_25segmented_radix_sort_implIS3_Lb0EPKhPhPKlPlN2at6native12_GLOBAL__N_18offset_tEEE10hipError_tPvRmT1_PNSt15iterator_traitsISK_E10value_typeET2_T3_PNSL_ISQ_E10value_typeET4_jRbjT5_SW_jjP12ihipStream_tbEUlT_E0_NS1_11comp_targetILNS1_3genE10ELNS1_11target_archE1201ELNS1_3gpuE5ELNS1_3repE0EEENS1_60segmented_radix_sort_warp_sort_medium_config_static_selectorELNS0_4arch9wavefront6targetE0EEEvSK_,comdat
	.globl	_ZN7rocprim17ROCPRIM_400000_NS6detail17trampoline_kernelINS0_14default_configENS1_36segmented_radix_sort_config_selectorIhlEEZNS1_25segmented_radix_sort_implIS3_Lb0EPKhPhPKlPlN2at6native12_GLOBAL__N_18offset_tEEE10hipError_tPvRmT1_PNSt15iterator_traitsISK_E10value_typeET2_T3_PNSL_ISQ_E10value_typeET4_jRbjT5_SW_jjP12ihipStream_tbEUlT_E0_NS1_11comp_targetILNS1_3genE10ELNS1_11target_archE1201ELNS1_3gpuE5ELNS1_3repE0EEENS1_60segmented_radix_sort_warp_sort_medium_config_static_selectorELNS0_4arch9wavefront6targetE0EEEvSK_ ; -- Begin function _ZN7rocprim17ROCPRIM_400000_NS6detail17trampoline_kernelINS0_14default_configENS1_36segmented_radix_sort_config_selectorIhlEEZNS1_25segmented_radix_sort_implIS3_Lb0EPKhPhPKlPlN2at6native12_GLOBAL__N_18offset_tEEE10hipError_tPvRmT1_PNSt15iterator_traitsISK_E10value_typeET2_T3_PNSL_ISQ_E10value_typeET4_jRbjT5_SW_jjP12ihipStream_tbEUlT_E0_NS1_11comp_targetILNS1_3genE10ELNS1_11target_archE1201ELNS1_3gpuE5ELNS1_3repE0EEENS1_60segmented_radix_sort_warp_sort_medium_config_static_selectorELNS0_4arch9wavefront6targetE0EEEvSK_
	.p2align	8
	.type	_ZN7rocprim17ROCPRIM_400000_NS6detail17trampoline_kernelINS0_14default_configENS1_36segmented_radix_sort_config_selectorIhlEEZNS1_25segmented_radix_sort_implIS3_Lb0EPKhPhPKlPlN2at6native12_GLOBAL__N_18offset_tEEE10hipError_tPvRmT1_PNSt15iterator_traitsISK_E10value_typeET2_T3_PNSL_ISQ_E10value_typeET4_jRbjT5_SW_jjP12ihipStream_tbEUlT_E0_NS1_11comp_targetILNS1_3genE10ELNS1_11target_archE1201ELNS1_3gpuE5ELNS1_3repE0EEENS1_60segmented_radix_sort_warp_sort_medium_config_static_selectorELNS0_4arch9wavefront6targetE0EEEvSK_,@function
_ZN7rocprim17ROCPRIM_400000_NS6detail17trampoline_kernelINS0_14default_configENS1_36segmented_radix_sort_config_selectorIhlEEZNS1_25segmented_radix_sort_implIS3_Lb0EPKhPhPKlPlN2at6native12_GLOBAL__N_18offset_tEEE10hipError_tPvRmT1_PNSt15iterator_traitsISK_E10value_typeET2_T3_PNSL_ISQ_E10value_typeET4_jRbjT5_SW_jjP12ihipStream_tbEUlT_E0_NS1_11comp_targetILNS1_3genE10ELNS1_11target_archE1201ELNS1_3gpuE5ELNS1_3repE0EEENS1_60segmented_radix_sort_warp_sort_medium_config_static_selectorELNS0_4arch9wavefront6targetE0EEEvSK_: ; @_ZN7rocprim17ROCPRIM_400000_NS6detail17trampoline_kernelINS0_14default_configENS1_36segmented_radix_sort_config_selectorIhlEEZNS1_25segmented_radix_sort_implIS3_Lb0EPKhPhPKlPlN2at6native12_GLOBAL__N_18offset_tEEE10hipError_tPvRmT1_PNSt15iterator_traitsISK_E10value_typeET2_T3_PNSL_ISQ_E10value_typeET4_jRbjT5_SW_jjP12ihipStream_tbEUlT_E0_NS1_11comp_targetILNS1_3genE10ELNS1_11target_archE1201ELNS1_3gpuE5ELNS1_3repE0EEENS1_60segmented_radix_sort_warp_sort_medium_config_static_selectorELNS0_4arch9wavefront6targetE0EEEvSK_
; %bb.0:
	s_load_b32 s2, s[0:1], 0x64
	v_bfe_u32 v1, v0, 10, 10
	v_bfe_u32 v2, v0, 20, 10
	s_mov_b32 s32, 0
	s_wait_kmcnt 0x0
	s_lshr_b32 s3, s2, 16
	s_and_b32 s2, s2, 0xffff
	v_mad_u32_u24 v2, v2, s3, v1
	v_and_b32_e32 v1, 0x3ff, v0
	s_load_b32 s3, s[0:1], 0x34
	s_delay_alu instid0(VALU_DEP_1) | instskip(SKIP_2) | instid1(VALU_DEP_1)
	v_mad_co_u64_u32 v[1:2], null, v2, s2, v[1:2]
	s_mov_b32 s2, exec_lo
	v_lshrrev_b32_e32 v1, 4, v1
	v_lshl_add_u32 v1, ttmp9, 4, v1
	s_wait_kmcnt 0x0
	s_delay_alu instid0(VALU_DEP_1)
	v_cmpx_gt_u32_e64 s3, v1
	s_cbranch_execz .LBB202_6
; %bb.1:
	s_clause 0x1
	s_load_b64 s[2:3], s[0:1], 0x38
	s_load_b128 s[4:7], s[0:1], 0x40
	v_mov_b32_e32 v2, 0
	s_delay_alu instid0(VALU_DEP_1) | instskip(SKIP_1) | instid1(VALU_DEP_1)
	v_lshlrev_b64_e32 v[1:2], 2, v[1:2]
	s_wait_kmcnt 0x0
	v_add_co_u32 v1, vcc_lo, s2, v1
	s_delay_alu instid0(VALU_DEP_1) | instskip(SKIP_4) | instid1(VALU_DEP_2)
	v_add_co_ci_u32_e64 v2, null, s3, v2, vcc_lo
	global_load_b32 v1, v[1:2], off
	s_wait_loadcnt 0x0
	v_add_nc_u32_e32 v2, s5, v1
	v_add_nc_u32_e32 v1, s7, v1
	v_mul_lo_u32 v8, v2, s4
	s_delay_alu instid0(VALU_DEP_2) | instskip(NEXT) | instid1(VALU_DEP_1)
	v_mul_lo_u32 v40, v1, s6
	v_cmp_gt_u32_e32 vcc_lo, v40, v8
	s_and_b32 exec_lo, exec_lo, vcc_lo
	s_cbranch_execz .LBB202_6
; %bb.2:
	s_clause 0x3
	s_load_b32 s2, s[0:1], 0x30
	s_load_b128 s[24:27], s[0:1], 0x20
	s_load_b256 s[36:43], s[0:1], 0x0
	s_load_b64 s[28:29], s[0:1], 0x50
	s_add_nc_u64 s[22:23], s[0:1], 0x58
	s_wait_kmcnt 0x0
	s_bitcmp0_b32 s2, 0
	s_mov_b32 s2, -1
	s_cbranch_scc0 .LBB202_4
; %bb.3:
	v_mov_b32_e32 v31, v0
	v_dual_mov_b32 v41, v0 :: v_dual_mov_b32 v2, s38
	v_dual_mov_b32 v0, s36 :: v_dual_mov_b32 v1, s37
	v_dual_mov_b32 v4, s42 :: v_dual_mov_b32 v3, s39
	v_dual_mov_b32 v6, s24 :: v_dual_mov_b32 v5, s43
	v_dual_mov_b32 v10, s28 :: v_dual_mov_b32 v7, s25
	v_mov_b32_e32 v9, v40
	v_mov_b32_e32 v11, s29
	s_getpc_b64 s[0:1]
	s_wait_alu 0xfffe
	s_sext_i32_i16 s1, s1
	s_add_co_u32 s0, s0, _ZN7rocprim17ROCPRIM_400000_NS6detail26segmented_warp_sort_helperINS1_20WarpSortHelperConfigILj16ELj8ELj256EEEhlLi256ELb0EvE4sortIPKhPhPKlPlEEvT_T0_T1_T2_jjjjRNS5_12storage_typeE@rel32@lo+12
	s_wait_alu 0xfffe
	s_add_co_ci_u32 s1, s1, _ZN7rocprim17ROCPRIM_400000_NS6detail26segmented_warp_sort_helperINS1_20WarpSortHelperConfigILj16ELj8ELj256EEEhlLi256ELb0EvE4sortIPKhPhPKlPlEEvT_T0_T1_T2_jjjjRNS5_12storage_typeE@rel32@hi+24
	s_mov_b64 s[8:9], s[22:23]
	s_wait_alu 0xfffe
	s_swappc_b64 s[30:31], s[0:1]
	v_mov_b32_e32 v0, v41
	s_mov_b32 s2, 0
.LBB202_4:
	s_wait_alu 0xfffe
	s_and_not1_b32 vcc_lo, exec_lo, s2
	s_wait_alu 0xfffe
	s_cbranch_vccnz .LBB202_6
; %bb.5:
	v_dual_mov_b32 v31, v0 :: v_dual_mov_b32 v0, s36
	v_dual_mov_b32 v1, s37 :: v_dual_mov_b32 v2, s40
	;; [unrolled: 1-line block ×5, first 2 shown]
	v_mov_b32_e32 v9, v40
	v_mov_b32_e32 v11, s29
	s_getpc_b64 s[0:1]
	s_wait_alu 0xfffe
	s_sext_i32_i16 s1, s1
	s_add_co_u32 s0, s0, _ZN7rocprim17ROCPRIM_400000_NS6detail26segmented_warp_sort_helperINS1_20WarpSortHelperConfigILj16ELj8ELj256EEEhlLi256ELb0EvE4sortIPKhPhPKlPlEEvT_T0_T1_T2_jjjjRNS5_12storage_typeE@rel32@lo+12
	s_wait_alu 0xfffe
	s_add_co_ci_u32 s1, s1, _ZN7rocprim17ROCPRIM_400000_NS6detail26segmented_warp_sort_helperINS1_20WarpSortHelperConfigILj16ELj8ELj256EEEhlLi256ELb0EvE4sortIPKhPhPKlPlEEvT_T0_T1_T2_jjjjRNS5_12storage_typeE@rel32@hi+24
	s_mov_b64 s[8:9], s[22:23]
	s_wait_alu 0xfffe
	s_swappc_b64 s[30:31], s[0:1]
.LBB202_6:
	s_endpgm
	.section	.rodata,"a",@progbits
	.p2align	6, 0x0
	.amdhsa_kernel _ZN7rocprim17ROCPRIM_400000_NS6detail17trampoline_kernelINS0_14default_configENS1_36segmented_radix_sort_config_selectorIhlEEZNS1_25segmented_radix_sort_implIS3_Lb0EPKhPhPKlPlN2at6native12_GLOBAL__N_18offset_tEEE10hipError_tPvRmT1_PNSt15iterator_traitsISK_E10value_typeET2_T3_PNSL_ISQ_E10value_typeET4_jRbjT5_SW_jjP12ihipStream_tbEUlT_E0_NS1_11comp_targetILNS1_3genE10ELNS1_11target_archE1201ELNS1_3gpuE5ELNS1_3repE0EEENS1_60segmented_radix_sort_warp_sort_medium_config_static_selectorELNS0_4arch9wavefront6targetE0EEEvSK_
		.amdhsa_group_segment_fixed_size 18432
		.amdhsa_private_segment_fixed_size 0
		.amdhsa_kernarg_size 344
		.amdhsa_user_sgpr_count 2
		.amdhsa_user_sgpr_dispatch_ptr 0
		.amdhsa_user_sgpr_queue_ptr 0
		.amdhsa_user_sgpr_kernarg_segment_ptr 1
		.amdhsa_user_sgpr_dispatch_id 0
		.amdhsa_user_sgpr_private_segment_size 0
		.amdhsa_wavefront_size32 1
		.amdhsa_uses_dynamic_stack 0
		.amdhsa_enable_private_segment 0
		.amdhsa_system_sgpr_workgroup_id_x 1
		.amdhsa_system_sgpr_workgroup_id_y 1
		.amdhsa_system_sgpr_workgroup_id_z 0
		.amdhsa_system_sgpr_workgroup_info 0
		.amdhsa_system_vgpr_workitem_id 2
		.amdhsa_next_free_vgpr 68
		.amdhsa_next_free_sgpr 44
		.amdhsa_reserve_vcc 1
		.amdhsa_float_round_mode_32 0
		.amdhsa_float_round_mode_16_64 0
		.amdhsa_float_denorm_mode_32 3
		.amdhsa_float_denorm_mode_16_64 3
		.amdhsa_fp16_overflow 0
		.amdhsa_workgroup_processor_mode 1
		.amdhsa_memory_ordered 1
		.amdhsa_forward_progress 1
		.amdhsa_inst_pref_size 4
		.amdhsa_round_robin_scheduling 0
		.amdhsa_exception_fp_ieee_invalid_op 0
		.amdhsa_exception_fp_denorm_src 0
		.amdhsa_exception_fp_ieee_div_zero 0
		.amdhsa_exception_fp_ieee_overflow 0
		.amdhsa_exception_fp_ieee_underflow 0
		.amdhsa_exception_fp_ieee_inexact 0
		.amdhsa_exception_int_div_zero 0
	.end_amdhsa_kernel
	.section	.text._ZN7rocprim17ROCPRIM_400000_NS6detail17trampoline_kernelINS0_14default_configENS1_36segmented_radix_sort_config_selectorIhlEEZNS1_25segmented_radix_sort_implIS3_Lb0EPKhPhPKlPlN2at6native12_GLOBAL__N_18offset_tEEE10hipError_tPvRmT1_PNSt15iterator_traitsISK_E10value_typeET2_T3_PNSL_ISQ_E10value_typeET4_jRbjT5_SW_jjP12ihipStream_tbEUlT_E0_NS1_11comp_targetILNS1_3genE10ELNS1_11target_archE1201ELNS1_3gpuE5ELNS1_3repE0EEENS1_60segmented_radix_sort_warp_sort_medium_config_static_selectorELNS0_4arch9wavefront6targetE0EEEvSK_,"axG",@progbits,_ZN7rocprim17ROCPRIM_400000_NS6detail17trampoline_kernelINS0_14default_configENS1_36segmented_radix_sort_config_selectorIhlEEZNS1_25segmented_radix_sort_implIS3_Lb0EPKhPhPKlPlN2at6native12_GLOBAL__N_18offset_tEEE10hipError_tPvRmT1_PNSt15iterator_traitsISK_E10value_typeET2_T3_PNSL_ISQ_E10value_typeET4_jRbjT5_SW_jjP12ihipStream_tbEUlT_E0_NS1_11comp_targetILNS1_3genE10ELNS1_11target_archE1201ELNS1_3gpuE5ELNS1_3repE0EEENS1_60segmented_radix_sort_warp_sort_medium_config_static_selectorELNS0_4arch9wavefront6targetE0EEEvSK_,comdat
.Lfunc_end202:
	.size	_ZN7rocprim17ROCPRIM_400000_NS6detail17trampoline_kernelINS0_14default_configENS1_36segmented_radix_sort_config_selectorIhlEEZNS1_25segmented_radix_sort_implIS3_Lb0EPKhPhPKlPlN2at6native12_GLOBAL__N_18offset_tEEE10hipError_tPvRmT1_PNSt15iterator_traitsISK_E10value_typeET2_T3_PNSL_ISQ_E10value_typeET4_jRbjT5_SW_jjP12ihipStream_tbEUlT_E0_NS1_11comp_targetILNS1_3genE10ELNS1_11target_archE1201ELNS1_3gpuE5ELNS1_3repE0EEENS1_60segmented_radix_sort_warp_sort_medium_config_static_selectorELNS0_4arch9wavefront6targetE0EEEvSK_, .Lfunc_end202-_ZN7rocprim17ROCPRIM_400000_NS6detail17trampoline_kernelINS0_14default_configENS1_36segmented_radix_sort_config_selectorIhlEEZNS1_25segmented_radix_sort_implIS3_Lb0EPKhPhPKlPlN2at6native12_GLOBAL__N_18offset_tEEE10hipError_tPvRmT1_PNSt15iterator_traitsISK_E10value_typeET2_T3_PNSL_ISQ_E10value_typeET4_jRbjT5_SW_jjP12ihipStream_tbEUlT_E0_NS1_11comp_targetILNS1_3genE10ELNS1_11target_archE1201ELNS1_3gpuE5ELNS1_3repE0EEENS1_60segmented_radix_sort_warp_sort_medium_config_static_selectorELNS0_4arch9wavefront6targetE0EEEvSK_
                                        ; -- End function
	.set _ZN7rocprim17ROCPRIM_400000_NS6detail17trampoline_kernelINS0_14default_configENS1_36segmented_radix_sort_config_selectorIhlEEZNS1_25segmented_radix_sort_implIS3_Lb0EPKhPhPKlPlN2at6native12_GLOBAL__N_18offset_tEEE10hipError_tPvRmT1_PNSt15iterator_traitsISK_E10value_typeET2_T3_PNSL_ISQ_E10value_typeET4_jRbjT5_SW_jjP12ihipStream_tbEUlT_E0_NS1_11comp_targetILNS1_3genE10ELNS1_11target_archE1201ELNS1_3gpuE5ELNS1_3repE0EEENS1_60segmented_radix_sort_warp_sort_medium_config_static_selectorELNS0_4arch9wavefront6targetE0EEEvSK_.num_vgpr, max(42, .L_ZN7rocprim17ROCPRIM_400000_NS6detail26segmented_warp_sort_helperINS1_20WarpSortHelperConfigILj16ELj8ELj256EEEhlLi256ELb0EvE4sortIPKhPhPKlPlEEvT_T0_T1_T2_jjjjRNS5_12storage_typeE.num_vgpr)
	.set _ZN7rocprim17ROCPRIM_400000_NS6detail17trampoline_kernelINS0_14default_configENS1_36segmented_radix_sort_config_selectorIhlEEZNS1_25segmented_radix_sort_implIS3_Lb0EPKhPhPKlPlN2at6native12_GLOBAL__N_18offset_tEEE10hipError_tPvRmT1_PNSt15iterator_traitsISK_E10value_typeET2_T3_PNSL_ISQ_E10value_typeET4_jRbjT5_SW_jjP12ihipStream_tbEUlT_E0_NS1_11comp_targetILNS1_3genE10ELNS1_11target_archE1201ELNS1_3gpuE5ELNS1_3repE0EEENS1_60segmented_radix_sort_warp_sort_medium_config_static_selectorELNS0_4arch9wavefront6targetE0EEEvSK_.num_agpr, max(0, .L_ZN7rocprim17ROCPRIM_400000_NS6detail26segmented_warp_sort_helperINS1_20WarpSortHelperConfigILj16ELj8ELj256EEEhlLi256ELb0EvE4sortIPKhPhPKlPlEEvT_T0_T1_T2_jjjjRNS5_12storage_typeE.num_agpr)
	.set _ZN7rocprim17ROCPRIM_400000_NS6detail17trampoline_kernelINS0_14default_configENS1_36segmented_radix_sort_config_selectorIhlEEZNS1_25segmented_radix_sort_implIS3_Lb0EPKhPhPKlPlN2at6native12_GLOBAL__N_18offset_tEEE10hipError_tPvRmT1_PNSt15iterator_traitsISK_E10value_typeET2_T3_PNSL_ISQ_E10value_typeET4_jRbjT5_SW_jjP12ihipStream_tbEUlT_E0_NS1_11comp_targetILNS1_3genE10ELNS1_11target_archE1201ELNS1_3gpuE5ELNS1_3repE0EEENS1_60segmented_radix_sort_warp_sort_medium_config_static_selectorELNS0_4arch9wavefront6targetE0EEEvSK_.numbered_sgpr, max(44, .L_ZN7rocprim17ROCPRIM_400000_NS6detail26segmented_warp_sort_helperINS1_20WarpSortHelperConfigILj16ELj8ELj256EEEhlLi256ELb0EvE4sortIPKhPhPKlPlEEvT_T0_T1_T2_jjjjRNS5_12storage_typeE.numbered_sgpr)
	.set _ZN7rocprim17ROCPRIM_400000_NS6detail17trampoline_kernelINS0_14default_configENS1_36segmented_radix_sort_config_selectorIhlEEZNS1_25segmented_radix_sort_implIS3_Lb0EPKhPhPKlPlN2at6native12_GLOBAL__N_18offset_tEEE10hipError_tPvRmT1_PNSt15iterator_traitsISK_E10value_typeET2_T3_PNSL_ISQ_E10value_typeET4_jRbjT5_SW_jjP12ihipStream_tbEUlT_E0_NS1_11comp_targetILNS1_3genE10ELNS1_11target_archE1201ELNS1_3gpuE5ELNS1_3repE0EEENS1_60segmented_radix_sort_warp_sort_medium_config_static_selectorELNS0_4arch9wavefront6targetE0EEEvSK_.num_named_barrier, max(0, .L_ZN7rocprim17ROCPRIM_400000_NS6detail26segmented_warp_sort_helperINS1_20WarpSortHelperConfigILj16ELj8ELj256EEEhlLi256ELb0EvE4sortIPKhPhPKlPlEEvT_T0_T1_T2_jjjjRNS5_12storage_typeE.num_named_barrier)
	.set _ZN7rocprim17ROCPRIM_400000_NS6detail17trampoline_kernelINS0_14default_configENS1_36segmented_radix_sort_config_selectorIhlEEZNS1_25segmented_radix_sort_implIS3_Lb0EPKhPhPKlPlN2at6native12_GLOBAL__N_18offset_tEEE10hipError_tPvRmT1_PNSt15iterator_traitsISK_E10value_typeET2_T3_PNSL_ISQ_E10value_typeET4_jRbjT5_SW_jjP12ihipStream_tbEUlT_E0_NS1_11comp_targetILNS1_3genE10ELNS1_11target_archE1201ELNS1_3gpuE5ELNS1_3repE0EEENS1_60segmented_radix_sort_warp_sort_medium_config_static_selectorELNS0_4arch9wavefront6targetE0EEEvSK_.private_seg_size, 0+max(.L_ZN7rocprim17ROCPRIM_400000_NS6detail26segmented_warp_sort_helperINS1_20WarpSortHelperConfigILj16ELj8ELj256EEEhlLi256ELb0EvE4sortIPKhPhPKlPlEEvT_T0_T1_T2_jjjjRNS5_12storage_typeE.private_seg_size)
	.set _ZN7rocprim17ROCPRIM_400000_NS6detail17trampoline_kernelINS0_14default_configENS1_36segmented_radix_sort_config_selectorIhlEEZNS1_25segmented_radix_sort_implIS3_Lb0EPKhPhPKlPlN2at6native12_GLOBAL__N_18offset_tEEE10hipError_tPvRmT1_PNSt15iterator_traitsISK_E10value_typeET2_T3_PNSL_ISQ_E10value_typeET4_jRbjT5_SW_jjP12ihipStream_tbEUlT_E0_NS1_11comp_targetILNS1_3genE10ELNS1_11target_archE1201ELNS1_3gpuE5ELNS1_3repE0EEENS1_60segmented_radix_sort_warp_sort_medium_config_static_selectorELNS0_4arch9wavefront6targetE0EEEvSK_.uses_vcc, or(1, .L_ZN7rocprim17ROCPRIM_400000_NS6detail26segmented_warp_sort_helperINS1_20WarpSortHelperConfigILj16ELj8ELj256EEEhlLi256ELb0EvE4sortIPKhPhPKlPlEEvT_T0_T1_T2_jjjjRNS5_12storage_typeE.uses_vcc)
	.set _ZN7rocprim17ROCPRIM_400000_NS6detail17trampoline_kernelINS0_14default_configENS1_36segmented_radix_sort_config_selectorIhlEEZNS1_25segmented_radix_sort_implIS3_Lb0EPKhPhPKlPlN2at6native12_GLOBAL__N_18offset_tEEE10hipError_tPvRmT1_PNSt15iterator_traitsISK_E10value_typeET2_T3_PNSL_ISQ_E10value_typeET4_jRbjT5_SW_jjP12ihipStream_tbEUlT_E0_NS1_11comp_targetILNS1_3genE10ELNS1_11target_archE1201ELNS1_3gpuE5ELNS1_3repE0EEENS1_60segmented_radix_sort_warp_sort_medium_config_static_selectorELNS0_4arch9wavefront6targetE0EEEvSK_.uses_flat_scratch, or(0, .L_ZN7rocprim17ROCPRIM_400000_NS6detail26segmented_warp_sort_helperINS1_20WarpSortHelperConfigILj16ELj8ELj256EEEhlLi256ELb0EvE4sortIPKhPhPKlPlEEvT_T0_T1_T2_jjjjRNS5_12storage_typeE.uses_flat_scratch)
	.set _ZN7rocprim17ROCPRIM_400000_NS6detail17trampoline_kernelINS0_14default_configENS1_36segmented_radix_sort_config_selectorIhlEEZNS1_25segmented_radix_sort_implIS3_Lb0EPKhPhPKlPlN2at6native12_GLOBAL__N_18offset_tEEE10hipError_tPvRmT1_PNSt15iterator_traitsISK_E10value_typeET2_T3_PNSL_ISQ_E10value_typeET4_jRbjT5_SW_jjP12ihipStream_tbEUlT_E0_NS1_11comp_targetILNS1_3genE10ELNS1_11target_archE1201ELNS1_3gpuE5ELNS1_3repE0EEENS1_60segmented_radix_sort_warp_sort_medium_config_static_selectorELNS0_4arch9wavefront6targetE0EEEvSK_.has_dyn_sized_stack, or(0, .L_ZN7rocprim17ROCPRIM_400000_NS6detail26segmented_warp_sort_helperINS1_20WarpSortHelperConfigILj16ELj8ELj256EEEhlLi256ELb0EvE4sortIPKhPhPKlPlEEvT_T0_T1_T2_jjjjRNS5_12storage_typeE.has_dyn_sized_stack)
	.set _ZN7rocprim17ROCPRIM_400000_NS6detail17trampoline_kernelINS0_14default_configENS1_36segmented_radix_sort_config_selectorIhlEEZNS1_25segmented_radix_sort_implIS3_Lb0EPKhPhPKlPlN2at6native12_GLOBAL__N_18offset_tEEE10hipError_tPvRmT1_PNSt15iterator_traitsISK_E10value_typeET2_T3_PNSL_ISQ_E10value_typeET4_jRbjT5_SW_jjP12ihipStream_tbEUlT_E0_NS1_11comp_targetILNS1_3genE10ELNS1_11target_archE1201ELNS1_3gpuE5ELNS1_3repE0EEENS1_60segmented_radix_sort_warp_sort_medium_config_static_selectorELNS0_4arch9wavefront6targetE0EEEvSK_.has_recursion, or(0, .L_ZN7rocprim17ROCPRIM_400000_NS6detail26segmented_warp_sort_helperINS1_20WarpSortHelperConfigILj16ELj8ELj256EEEhlLi256ELb0EvE4sortIPKhPhPKlPlEEvT_T0_T1_T2_jjjjRNS5_12storage_typeE.has_recursion)
	.set _ZN7rocprim17ROCPRIM_400000_NS6detail17trampoline_kernelINS0_14default_configENS1_36segmented_radix_sort_config_selectorIhlEEZNS1_25segmented_radix_sort_implIS3_Lb0EPKhPhPKlPlN2at6native12_GLOBAL__N_18offset_tEEE10hipError_tPvRmT1_PNSt15iterator_traitsISK_E10value_typeET2_T3_PNSL_ISQ_E10value_typeET4_jRbjT5_SW_jjP12ihipStream_tbEUlT_E0_NS1_11comp_targetILNS1_3genE10ELNS1_11target_archE1201ELNS1_3gpuE5ELNS1_3repE0EEENS1_60segmented_radix_sort_warp_sort_medium_config_static_selectorELNS0_4arch9wavefront6targetE0EEEvSK_.has_indirect_call, or(0, .L_ZN7rocprim17ROCPRIM_400000_NS6detail26segmented_warp_sort_helperINS1_20WarpSortHelperConfigILj16ELj8ELj256EEEhlLi256ELb0EvE4sortIPKhPhPKlPlEEvT_T0_T1_T2_jjjjRNS5_12storage_typeE.has_indirect_call)
	.section	.AMDGPU.csdata,"",@progbits
; Kernel info:
; codeLenInByte = 504
; TotalNumSgprs: 46
; NumVgprs: 68
; ScratchSize: 0
; MemoryBound: 0
; FloatMode: 240
; IeeeMode: 1
; LDSByteSize: 18432 bytes/workgroup (compile time only)
; SGPRBlocks: 0
; VGPRBlocks: 8
; NumSGPRsForWavesPerEU: 46
; NumVGPRsForWavesPerEU: 68
; Occupancy: 14
; WaveLimiterHint : 0
; COMPUTE_PGM_RSRC2:SCRATCH_EN: 0
; COMPUTE_PGM_RSRC2:USER_SGPR: 2
; COMPUTE_PGM_RSRC2:TRAP_HANDLER: 0
; COMPUTE_PGM_RSRC2:TGID_X_EN: 1
; COMPUTE_PGM_RSRC2:TGID_Y_EN: 1
; COMPUTE_PGM_RSRC2:TGID_Z_EN: 0
; COMPUTE_PGM_RSRC2:TIDIG_COMP_CNT: 2
	.section	.text._ZN7rocprim17ROCPRIM_400000_NS6detail17trampoline_kernelINS0_14default_configENS1_36segmented_radix_sort_config_selectorIhlEEZNS1_25segmented_radix_sort_implIS3_Lb0EPKhPhPKlPlN2at6native12_GLOBAL__N_18offset_tEEE10hipError_tPvRmT1_PNSt15iterator_traitsISK_E10value_typeET2_T3_PNSL_ISQ_E10value_typeET4_jRbjT5_SW_jjP12ihipStream_tbEUlT_E0_NS1_11comp_targetILNS1_3genE10ELNS1_11target_archE1200ELNS1_3gpuE4ELNS1_3repE0EEENS1_60segmented_radix_sort_warp_sort_medium_config_static_selectorELNS0_4arch9wavefront6targetE0EEEvSK_,"axG",@progbits,_ZN7rocprim17ROCPRIM_400000_NS6detail17trampoline_kernelINS0_14default_configENS1_36segmented_radix_sort_config_selectorIhlEEZNS1_25segmented_radix_sort_implIS3_Lb0EPKhPhPKlPlN2at6native12_GLOBAL__N_18offset_tEEE10hipError_tPvRmT1_PNSt15iterator_traitsISK_E10value_typeET2_T3_PNSL_ISQ_E10value_typeET4_jRbjT5_SW_jjP12ihipStream_tbEUlT_E0_NS1_11comp_targetILNS1_3genE10ELNS1_11target_archE1200ELNS1_3gpuE4ELNS1_3repE0EEENS1_60segmented_radix_sort_warp_sort_medium_config_static_selectorELNS0_4arch9wavefront6targetE0EEEvSK_,comdat
	.globl	_ZN7rocprim17ROCPRIM_400000_NS6detail17trampoline_kernelINS0_14default_configENS1_36segmented_radix_sort_config_selectorIhlEEZNS1_25segmented_radix_sort_implIS3_Lb0EPKhPhPKlPlN2at6native12_GLOBAL__N_18offset_tEEE10hipError_tPvRmT1_PNSt15iterator_traitsISK_E10value_typeET2_T3_PNSL_ISQ_E10value_typeET4_jRbjT5_SW_jjP12ihipStream_tbEUlT_E0_NS1_11comp_targetILNS1_3genE10ELNS1_11target_archE1200ELNS1_3gpuE4ELNS1_3repE0EEENS1_60segmented_radix_sort_warp_sort_medium_config_static_selectorELNS0_4arch9wavefront6targetE0EEEvSK_ ; -- Begin function _ZN7rocprim17ROCPRIM_400000_NS6detail17trampoline_kernelINS0_14default_configENS1_36segmented_radix_sort_config_selectorIhlEEZNS1_25segmented_radix_sort_implIS3_Lb0EPKhPhPKlPlN2at6native12_GLOBAL__N_18offset_tEEE10hipError_tPvRmT1_PNSt15iterator_traitsISK_E10value_typeET2_T3_PNSL_ISQ_E10value_typeET4_jRbjT5_SW_jjP12ihipStream_tbEUlT_E0_NS1_11comp_targetILNS1_3genE10ELNS1_11target_archE1200ELNS1_3gpuE4ELNS1_3repE0EEENS1_60segmented_radix_sort_warp_sort_medium_config_static_selectorELNS0_4arch9wavefront6targetE0EEEvSK_
	.p2align	8
	.type	_ZN7rocprim17ROCPRIM_400000_NS6detail17trampoline_kernelINS0_14default_configENS1_36segmented_radix_sort_config_selectorIhlEEZNS1_25segmented_radix_sort_implIS3_Lb0EPKhPhPKlPlN2at6native12_GLOBAL__N_18offset_tEEE10hipError_tPvRmT1_PNSt15iterator_traitsISK_E10value_typeET2_T3_PNSL_ISQ_E10value_typeET4_jRbjT5_SW_jjP12ihipStream_tbEUlT_E0_NS1_11comp_targetILNS1_3genE10ELNS1_11target_archE1200ELNS1_3gpuE4ELNS1_3repE0EEENS1_60segmented_radix_sort_warp_sort_medium_config_static_selectorELNS0_4arch9wavefront6targetE0EEEvSK_,@function
_ZN7rocprim17ROCPRIM_400000_NS6detail17trampoline_kernelINS0_14default_configENS1_36segmented_radix_sort_config_selectorIhlEEZNS1_25segmented_radix_sort_implIS3_Lb0EPKhPhPKlPlN2at6native12_GLOBAL__N_18offset_tEEE10hipError_tPvRmT1_PNSt15iterator_traitsISK_E10value_typeET2_T3_PNSL_ISQ_E10value_typeET4_jRbjT5_SW_jjP12ihipStream_tbEUlT_E0_NS1_11comp_targetILNS1_3genE10ELNS1_11target_archE1200ELNS1_3gpuE4ELNS1_3repE0EEENS1_60segmented_radix_sort_warp_sort_medium_config_static_selectorELNS0_4arch9wavefront6targetE0EEEvSK_: ; @_ZN7rocprim17ROCPRIM_400000_NS6detail17trampoline_kernelINS0_14default_configENS1_36segmented_radix_sort_config_selectorIhlEEZNS1_25segmented_radix_sort_implIS3_Lb0EPKhPhPKlPlN2at6native12_GLOBAL__N_18offset_tEEE10hipError_tPvRmT1_PNSt15iterator_traitsISK_E10value_typeET2_T3_PNSL_ISQ_E10value_typeET4_jRbjT5_SW_jjP12ihipStream_tbEUlT_E0_NS1_11comp_targetILNS1_3genE10ELNS1_11target_archE1200ELNS1_3gpuE4ELNS1_3repE0EEENS1_60segmented_radix_sort_warp_sort_medium_config_static_selectorELNS0_4arch9wavefront6targetE0EEEvSK_
; %bb.0:
	.section	.rodata,"a",@progbits
	.p2align	6, 0x0
	.amdhsa_kernel _ZN7rocprim17ROCPRIM_400000_NS6detail17trampoline_kernelINS0_14default_configENS1_36segmented_radix_sort_config_selectorIhlEEZNS1_25segmented_radix_sort_implIS3_Lb0EPKhPhPKlPlN2at6native12_GLOBAL__N_18offset_tEEE10hipError_tPvRmT1_PNSt15iterator_traitsISK_E10value_typeET2_T3_PNSL_ISQ_E10value_typeET4_jRbjT5_SW_jjP12ihipStream_tbEUlT_E0_NS1_11comp_targetILNS1_3genE10ELNS1_11target_archE1200ELNS1_3gpuE4ELNS1_3repE0EEENS1_60segmented_radix_sort_warp_sort_medium_config_static_selectorELNS0_4arch9wavefront6targetE0EEEvSK_
		.amdhsa_group_segment_fixed_size 0
		.amdhsa_private_segment_fixed_size 0
		.amdhsa_kernarg_size 88
		.amdhsa_user_sgpr_count 2
		.amdhsa_user_sgpr_dispatch_ptr 0
		.amdhsa_user_sgpr_queue_ptr 0
		.amdhsa_user_sgpr_kernarg_segment_ptr 1
		.amdhsa_user_sgpr_dispatch_id 0
		.amdhsa_user_sgpr_private_segment_size 0
		.amdhsa_wavefront_size32 1
		.amdhsa_uses_dynamic_stack 0
		.amdhsa_enable_private_segment 0
		.amdhsa_system_sgpr_workgroup_id_x 1
		.amdhsa_system_sgpr_workgroup_id_y 0
		.amdhsa_system_sgpr_workgroup_id_z 0
		.amdhsa_system_sgpr_workgroup_info 0
		.amdhsa_system_vgpr_workitem_id 0
		.amdhsa_next_free_vgpr 1
		.amdhsa_next_free_sgpr 1
		.amdhsa_reserve_vcc 0
		.amdhsa_float_round_mode_32 0
		.amdhsa_float_round_mode_16_64 0
		.amdhsa_float_denorm_mode_32 3
		.amdhsa_float_denorm_mode_16_64 3
		.amdhsa_fp16_overflow 0
		.amdhsa_workgroup_processor_mode 1
		.amdhsa_memory_ordered 1
		.amdhsa_forward_progress 1
		.amdhsa_inst_pref_size 0
		.amdhsa_round_robin_scheduling 0
		.amdhsa_exception_fp_ieee_invalid_op 0
		.amdhsa_exception_fp_denorm_src 0
		.amdhsa_exception_fp_ieee_div_zero 0
		.amdhsa_exception_fp_ieee_overflow 0
		.amdhsa_exception_fp_ieee_underflow 0
		.amdhsa_exception_fp_ieee_inexact 0
		.amdhsa_exception_int_div_zero 0
	.end_amdhsa_kernel
	.section	.text._ZN7rocprim17ROCPRIM_400000_NS6detail17trampoline_kernelINS0_14default_configENS1_36segmented_radix_sort_config_selectorIhlEEZNS1_25segmented_radix_sort_implIS3_Lb0EPKhPhPKlPlN2at6native12_GLOBAL__N_18offset_tEEE10hipError_tPvRmT1_PNSt15iterator_traitsISK_E10value_typeET2_T3_PNSL_ISQ_E10value_typeET4_jRbjT5_SW_jjP12ihipStream_tbEUlT_E0_NS1_11comp_targetILNS1_3genE10ELNS1_11target_archE1200ELNS1_3gpuE4ELNS1_3repE0EEENS1_60segmented_radix_sort_warp_sort_medium_config_static_selectorELNS0_4arch9wavefront6targetE0EEEvSK_,"axG",@progbits,_ZN7rocprim17ROCPRIM_400000_NS6detail17trampoline_kernelINS0_14default_configENS1_36segmented_radix_sort_config_selectorIhlEEZNS1_25segmented_radix_sort_implIS3_Lb0EPKhPhPKlPlN2at6native12_GLOBAL__N_18offset_tEEE10hipError_tPvRmT1_PNSt15iterator_traitsISK_E10value_typeET2_T3_PNSL_ISQ_E10value_typeET4_jRbjT5_SW_jjP12ihipStream_tbEUlT_E0_NS1_11comp_targetILNS1_3genE10ELNS1_11target_archE1200ELNS1_3gpuE4ELNS1_3repE0EEENS1_60segmented_radix_sort_warp_sort_medium_config_static_selectorELNS0_4arch9wavefront6targetE0EEEvSK_,comdat
.Lfunc_end203:
	.size	_ZN7rocprim17ROCPRIM_400000_NS6detail17trampoline_kernelINS0_14default_configENS1_36segmented_radix_sort_config_selectorIhlEEZNS1_25segmented_radix_sort_implIS3_Lb0EPKhPhPKlPlN2at6native12_GLOBAL__N_18offset_tEEE10hipError_tPvRmT1_PNSt15iterator_traitsISK_E10value_typeET2_T3_PNSL_ISQ_E10value_typeET4_jRbjT5_SW_jjP12ihipStream_tbEUlT_E0_NS1_11comp_targetILNS1_3genE10ELNS1_11target_archE1200ELNS1_3gpuE4ELNS1_3repE0EEENS1_60segmented_radix_sort_warp_sort_medium_config_static_selectorELNS0_4arch9wavefront6targetE0EEEvSK_, .Lfunc_end203-_ZN7rocprim17ROCPRIM_400000_NS6detail17trampoline_kernelINS0_14default_configENS1_36segmented_radix_sort_config_selectorIhlEEZNS1_25segmented_radix_sort_implIS3_Lb0EPKhPhPKlPlN2at6native12_GLOBAL__N_18offset_tEEE10hipError_tPvRmT1_PNSt15iterator_traitsISK_E10value_typeET2_T3_PNSL_ISQ_E10value_typeET4_jRbjT5_SW_jjP12ihipStream_tbEUlT_E0_NS1_11comp_targetILNS1_3genE10ELNS1_11target_archE1200ELNS1_3gpuE4ELNS1_3repE0EEENS1_60segmented_radix_sort_warp_sort_medium_config_static_selectorELNS0_4arch9wavefront6targetE0EEEvSK_
                                        ; -- End function
	.set _ZN7rocprim17ROCPRIM_400000_NS6detail17trampoline_kernelINS0_14default_configENS1_36segmented_radix_sort_config_selectorIhlEEZNS1_25segmented_radix_sort_implIS3_Lb0EPKhPhPKlPlN2at6native12_GLOBAL__N_18offset_tEEE10hipError_tPvRmT1_PNSt15iterator_traitsISK_E10value_typeET2_T3_PNSL_ISQ_E10value_typeET4_jRbjT5_SW_jjP12ihipStream_tbEUlT_E0_NS1_11comp_targetILNS1_3genE10ELNS1_11target_archE1200ELNS1_3gpuE4ELNS1_3repE0EEENS1_60segmented_radix_sort_warp_sort_medium_config_static_selectorELNS0_4arch9wavefront6targetE0EEEvSK_.num_vgpr, 0
	.set _ZN7rocprim17ROCPRIM_400000_NS6detail17trampoline_kernelINS0_14default_configENS1_36segmented_radix_sort_config_selectorIhlEEZNS1_25segmented_radix_sort_implIS3_Lb0EPKhPhPKlPlN2at6native12_GLOBAL__N_18offset_tEEE10hipError_tPvRmT1_PNSt15iterator_traitsISK_E10value_typeET2_T3_PNSL_ISQ_E10value_typeET4_jRbjT5_SW_jjP12ihipStream_tbEUlT_E0_NS1_11comp_targetILNS1_3genE10ELNS1_11target_archE1200ELNS1_3gpuE4ELNS1_3repE0EEENS1_60segmented_radix_sort_warp_sort_medium_config_static_selectorELNS0_4arch9wavefront6targetE0EEEvSK_.num_agpr, 0
	.set _ZN7rocprim17ROCPRIM_400000_NS6detail17trampoline_kernelINS0_14default_configENS1_36segmented_radix_sort_config_selectorIhlEEZNS1_25segmented_radix_sort_implIS3_Lb0EPKhPhPKlPlN2at6native12_GLOBAL__N_18offset_tEEE10hipError_tPvRmT1_PNSt15iterator_traitsISK_E10value_typeET2_T3_PNSL_ISQ_E10value_typeET4_jRbjT5_SW_jjP12ihipStream_tbEUlT_E0_NS1_11comp_targetILNS1_3genE10ELNS1_11target_archE1200ELNS1_3gpuE4ELNS1_3repE0EEENS1_60segmented_radix_sort_warp_sort_medium_config_static_selectorELNS0_4arch9wavefront6targetE0EEEvSK_.numbered_sgpr, 0
	.set _ZN7rocprim17ROCPRIM_400000_NS6detail17trampoline_kernelINS0_14default_configENS1_36segmented_radix_sort_config_selectorIhlEEZNS1_25segmented_radix_sort_implIS3_Lb0EPKhPhPKlPlN2at6native12_GLOBAL__N_18offset_tEEE10hipError_tPvRmT1_PNSt15iterator_traitsISK_E10value_typeET2_T3_PNSL_ISQ_E10value_typeET4_jRbjT5_SW_jjP12ihipStream_tbEUlT_E0_NS1_11comp_targetILNS1_3genE10ELNS1_11target_archE1200ELNS1_3gpuE4ELNS1_3repE0EEENS1_60segmented_radix_sort_warp_sort_medium_config_static_selectorELNS0_4arch9wavefront6targetE0EEEvSK_.num_named_barrier, 0
	.set _ZN7rocprim17ROCPRIM_400000_NS6detail17trampoline_kernelINS0_14default_configENS1_36segmented_radix_sort_config_selectorIhlEEZNS1_25segmented_radix_sort_implIS3_Lb0EPKhPhPKlPlN2at6native12_GLOBAL__N_18offset_tEEE10hipError_tPvRmT1_PNSt15iterator_traitsISK_E10value_typeET2_T3_PNSL_ISQ_E10value_typeET4_jRbjT5_SW_jjP12ihipStream_tbEUlT_E0_NS1_11comp_targetILNS1_3genE10ELNS1_11target_archE1200ELNS1_3gpuE4ELNS1_3repE0EEENS1_60segmented_radix_sort_warp_sort_medium_config_static_selectorELNS0_4arch9wavefront6targetE0EEEvSK_.private_seg_size, 0
	.set _ZN7rocprim17ROCPRIM_400000_NS6detail17trampoline_kernelINS0_14default_configENS1_36segmented_radix_sort_config_selectorIhlEEZNS1_25segmented_radix_sort_implIS3_Lb0EPKhPhPKlPlN2at6native12_GLOBAL__N_18offset_tEEE10hipError_tPvRmT1_PNSt15iterator_traitsISK_E10value_typeET2_T3_PNSL_ISQ_E10value_typeET4_jRbjT5_SW_jjP12ihipStream_tbEUlT_E0_NS1_11comp_targetILNS1_3genE10ELNS1_11target_archE1200ELNS1_3gpuE4ELNS1_3repE0EEENS1_60segmented_radix_sort_warp_sort_medium_config_static_selectorELNS0_4arch9wavefront6targetE0EEEvSK_.uses_vcc, 0
	.set _ZN7rocprim17ROCPRIM_400000_NS6detail17trampoline_kernelINS0_14default_configENS1_36segmented_radix_sort_config_selectorIhlEEZNS1_25segmented_radix_sort_implIS3_Lb0EPKhPhPKlPlN2at6native12_GLOBAL__N_18offset_tEEE10hipError_tPvRmT1_PNSt15iterator_traitsISK_E10value_typeET2_T3_PNSL_ISQ_E10value_typeET4_jRbjT5_SW_jjP12ihipStream_tbEUlT_E0_NS1_11comp_targetILNS1_3genE10ELNS1_11target_archE1200ELNS1_3gpuE4ELNS1_3repE0EEENS1_60segmented_radix_sort_warp_sort_medium_config_static_selectorELNS0_4arch9wavefront6targetE0EEEvSK_.uses_flat_scratch, 0
	.set _ZN7rocprim17ROCPRIM_400000_NS6detail17trampoline_kernelINS0_14default_configENS1_36segmented_radix_sort_config_selectorIhlEEZNS1_25segmented_radix_sort_implIS3_Lb0EPKhPhPKlPlN2at6native12_GLOBAL__N_18offset_tEEE10hipError_tPvRmT1_PNSt15iterator_traitsISK_E10value_typeET2_T3_PNSL_ISQ_E10value_typeET4_jRbjT5_SW_jjP12ihipStream_tbEUlT_E0_NS1_11comp_targetILNS1_3genE10ELNS1_11target_archE1200ELNS1_3gpuE4ELNS1_3repE0EEENS1_60segmented_radix_sort_warp_sort_medium_config_static_selectorELNS0_4arch9wavefront6targetE0EEEvSK_.has_dyn_sized_stack, 0
	.set _ZN7rocprim17ROCPRIM_400000_NS6detail17trampoline_kernelINS0_14default_configENS1_36segmented_radix_sort_config_selectorIhlEEZNS1_25segmented_radix_sort_implIS3_Lb0EPKhPhPKlPlN2at6native12_GLOBAL__N_18offset_tEEE10hipError_tPvRmT1_PNSt15iterator_traitsISK_E10value_typeET2_T3_PNSL_ISQ_E10value_typeET4_jRbjT5_SW_jjP12ihipStream_tbEUlT_E0_NS1_11comp_targetILNS1_3genE10ELNS1_11target_archE1200ELNS1_3gpuE4ELNS1_3repE0EEENS1_60segmented_radix_sort_warp_sort_medium_config_static_selectorELNS0_4arch9wavefront6targetE0EEEvSK_.has_recursion, 0
	.set _ZN7rocprim17ROCPRIM_400000_NS6detail17trampoline_kernelINS0_14default_configENS1_36segmented_radix_sort_config_selectorIhlEEZNS1_25segmented_radix_sort_implIS3_Lb0EPKhPhPKlPlN2at6native12_GLOBAL__N_18offset_tEEE10hipError_tPvRmT1_PNSt15iterator_traitsISK_E10value_typeET2_T3_PNSL_ISQ_E10value_typeET4_jRbjT5_SW_jjP12ihipStream_tbEUlT_E0_NS1_11comp_targetILNS1_3genE10ELNS1_11target_archE1200ELNS1_3gpuE4ELNS1_3repE0EEENS1_60segmented_radix_sort_warp_sort_medium_config_static_selectorELNS0_4arch9wavefront6targetE0EEEvSK_.has_indirect_call, 0
	.section	.AMDGPU.csdata,"",@progbits
; Kernel info:
; codeLenInByte = 0
; TotalNumSgprs: 0
; NumVgprs: 0
; ScratchSize: 0
; MemoryBound: 0
; FloatMode: 240
; IeeeMode: 1
; LDSByteSize: 0 bytes/workgroup (compile time only)
; SGPRBlocks: 0
; VGPRBlocks: 0
; NumSGPRsForWavesPerEU: 1
; NumVGPRsForWavesPerEU: 1
; Occupancy: 16
; WaveLimiterHint : 0
; COMPUTE_PGM_RSRC2:SCRATCH_EN: 0
; COMPUTE_PGM_RSRC2:USER_SGPR: 2
; COMPUTE_PGM_RSRC2:TRAP_HANDLER: 0
; COMPUTE_PGM_RSRC2:TGID_X_EN: 1
; COMPUTE_PGM_RSRC2:TGID_Y_EN: 0
; COMPUTE_PGM_RSRC2:TGID_Z_EN: 0
; COMPUTE_PGM_RSRC2:TIDIG_COMP_CNT: 0
	.section	.text._ZN7rocprim17ROCPRIM_400000_NS6detail17trampoline_kernelINS0_14default_configENS1_36segmented_radix_sort_config_selectorIhlEEZNS1_25segmented_radix_sort_implIS3_Lb0EPKhPhPKlPlN2at6native12_GLOBAL__N_18offset_tEEE10hipError_tPvRmT1_PNSt15iterator_traitsISK_E10value_typeET2_T3_PNSL_ISQ_E10value_typeET4_jRbjT5_SW_jjP12ihipStream_tbEUlT_E0_NS1_11comp_targetILNS1_3genE9ELNS1_11target_archE1100ELNS1_3gpuE3ELNS1_3repE0EEENS1_60segmented_radix_sort_warp_sort_medium_config_static_selectorELNS0_4arch9wavefront6targetE0EEEvSK_,"axG",@progbits,_ZN7rocprim17ROCPRIM_400000_NS6detail17trampoline_kernelINS0_14default_configENS1_36segmented_radix_sort_config_selectorIhlEEZNS1_25segmented_radix_sort_implIS3_Lb0EPKhPhPKlPlN2at6native12_GLOBAL__N_18offset_tEEE10hipError_tPvRmT1_PNSt15iterator_traitsISK_E10value_typeET2_T3_PNSL_ISQ_E10value_typeET4_jRbjT5_SW_jjP12ihipStream_tbEUlT_E0_NS1_11comp_targetILNS1_3genE9ELNS1_11target_archE1100ELNS1_3gpuE3ELNS1_3repE0EEENS1_60segmented_radix_sort_warp_sort_medium_config_static_selectorELNS0_4arch9wavefront6targetE0EEEvSK_,comdat
	.globl	_ZN7rocprim17ROCPRIM_400000_NS6detail17trampoline_kernelINS0_14default_configENS1_36segmented_radix_sort_config_selectorIhlEEZNS1_25segmented_radix_sort_implIS3_Lb0EPKhPhPKlPlN2at6native12_GLOBAL__N_18offset_tEEE10hipError_tPvRmT1_PNSt15iterator_traitsISK_E10value_typeET2_T3_PNSL_ISQ_E10value_typeET4_jRbjT5_SW_jjP12ihipStream_tbEUlT_E0_NS1_11comp_targetILNS1_3genE9ELNS1_11target_archE1100ELNS1_3gpuE3ELNS1_3repE0EEENS1_60segmented_radix_sort_warp_sort_medium_config_static_selectorELNS0_4arch9wavefront6targetE0EEEvSK_ ; -- Begin function _ZN7rocprim17ROCPRIM_400000_NS6detail17trampoline_kernelINS0_14default_configENS1_36segmented_radix_sort_config_selectorIhlEEZNS1_25segmented_radix_sort_implIS3_Lb0EPKhPhPKlPlN2at6native12_GLOBAL__N_18offset_tEEE10hipError_tPvRmT1_PNSt15iterator_traitsISK_E10value_typeET2_T3_PNSL_ISQ_E10value_typeET4_jRbjT5_SW_jjP12ihipStream_tbEUlT_E0_NS1_11comp_targetILNS1_3genE9ELNS1_11target_archE1100ELNS1_3gpuE3ELNS1_3repE0EEENS1_60segmented_radix_sort_warp_sort_medium_config_static_selectorELNS0_4arch9wavefront6targetE0EEEvSK_
	.p2align	8
	.type	_ZN7rocprim17ROCPRIM_400000_NS6detail17trampoline_kernelINS0_14default_configENS1_36segmented_radix_sort_config_selectorIhlEEZNS1_25segmented_radix_sort_implIS3_Lb0EPKhPhPKlPlN2at6native12_GLOBAL__N_18offset_tEEE10hipError_tPvRmT1_PNSt15iterator_traitsISK_E10value_typeET2_T3_PNSL_ISQ_E10value_typeET4_jRbjT5_SW_jjP12ihipStream_tbEUlT_E0_NS1_11comp_targetILNS1_3genE9ELNS1_11target_archE1100ELNS1_3gpuE3ELNS1_3repE0EEENS1_60segmented_radix_sort_warp_sort_medium_config_static_selectorELNS0_4arch9wavefront6targetE0EEEvSK_,@function
_ZN7rocprim17ROCPRIM_400000_NS6detail17trampoline_kernelINS0_14default_configENS1_36segmented_radix_sort_config_selectorIhlEEZNS1_25segmented_radix_sort_implIS3_Lb0EPKhPhPKlPlN2at6native12_GLOBAL__N_18offset_tEEE10hipError_tPvRmT1_PNSt15iterator_traitsISK_E10value_typeET2_T3_PNSL_ISQ_E10value_typeET4_jRbjT5_SW_jjP12ihipStream_tbEUlT_E0_NS1_11comp_targetILNS1_3genE9ELNS1_11target_archE1100ELNS1_3gpuE3ELNS1_3repE0EEENS1_60segmented_radix_sort_warp_sort_medium_config_static_selectorELNS0_4arch9wavefront6targetE0EEEvSK_: ; @_ZN7rocprim17ROCPRIM_400000_NS6detail17trampoline_kernelINS0_14default_configENS1_36segmented_radix_sort_config_selectorIhlEEZNS1_25segmented_radix_sort_implIS3_Lb0EPKhPhPKlPlN2at6native12_GLOBAL__N_18offset_tEEE10hipError_tPvRmT1_PNSt15iterator_traitsISK_E10value_typeET2_T3_PNSL_ISQ_E10value_typeET4_jRbjT5_SW_jjP12ihipStream_tbEUlT_E0_NS1_11comp_targetILNS1_3genE9ELNS1_11target_archE1100ELNS1_3gpuE3ELNS1_3repE0EEENS1_60segmented_radix_sort_warp_sort_medium_config_static_selectorELNS0_4arch9wavefront6targetE0EEEvSK_
; %bb.0:
	.section	.rodata,"a",@progbits
	.p2align	6, 0x0
	.amdhsa_kernel _ZN7rocprim17ROCPRIM_400000_NS6detail17trampoline_kernelINS0_14default_configENS1_36segmented_radix_sort_config_selectorIhlEEZNS1_25segmented_radix_sort_implIS3_Lb0EPKhPhPKlPlN2at6native12_GLOBAL__N_18offset_tEEE10hipError_tPvRmT1_PNSt15iterator_traitsISK_E10value_typeET2_T3_PNSL_ISQ_E10value_typeET4_jRbjT5_SW_jjP12ihipStream_tbEUlT_E0_NS1_11comp_targetILNS1_3genE9ELNS1_11target_archE1100ELNS1_3gpuE3ELNS1_3repE0EEENS1_60segmented_radix_sort_warp_sort_medium_config_static_selectorELNS0_4arch9wavefront6targetE0EEEvSK_
		.amdhsa_group_segment_fixed_size 0
		.amdhsa_private_segment_fixed_size 0
		.amdhsa_kernarg_size 88
		.amdhsa_user_sgpr_count 2
		.amdhsa_user_sgpr_dispatch_ptr 0
		.amdhsa_user_sgpr_queue_ptr 0
		.amdhsa_user_sgpr_kernarg_segment_ptr 1
		.amdhsa_user_sgpr_dispatch_id 0
		.amdhsa_user_sgpr_private_segment_size 0
		.amdhsa_wavefront_size32 1
		.amdhsa_uses_dynamic_stack 0
		.amdhsa_enable_private_segment 0
		.amdhsa_system_sgpr_workgroup_id_x 1
		.amdhsa_system_sgpr_workgroup_id_y 0
		.amdhsa_system_sgpr_workgroup_id_z 0
		.amdhsa_system_sgpr_workgroup_info 0
		.amdhsa_system_vgpr_workitem_id 0
		.amdhsa_next_free_vgpr 1
		.amdhsa_next_free_sgpr 1
		.amdhsa_reserve_vcc 0
		.amdhsa_float_round_mode_32 0
		.amdhsa_float_round_mode_16_64 0
		.amdhsa_float_denorm_mode_32 3
		.amdhsa_float_denorm_mode_16_64 3
		.amdhsa_fp16_overflow 0
		.amdhsa_workgroup_processor_mode 1
		.amdhsa_memory_ordered 1
		.amdhsa_forward_progress 1
		.amdhsa_inst_pref_size 0
		.amdhsa_round_robin_scheduling 0
		.amdhsa_exception_fp_ieee_invalid_op 0
		.amdhsa_exception_fp_denorm_src 0
		.amdhsa_exception_fp_ieee_div_zero 0
		.amdhsa_exception_fp_ieee_overflow 0
		.amdhsa_exception_fp_ieee_underflow 0
		.amdhsa_exception_fp_ieee_inexact 0
		.amdhsa_exception_int_div_zero 0
	.end_amdhsa_kernel
	.section	.text._ZN7rocprim17ROCPRIM_400000_NS6detail17trampoline_kernelINS0_14default_configENS1_36segmented_radix_sort_config_selectorIhlEEZNS1_25segmented_radix_sort_implIS3_Lb0EPKhPhPKlPlN2at6native12_GLOBAL__N_18offset_tEEE10hipError_tPvRmT1_PNSt15iterator_traitsISK_E10value_typeET2_T3_PNSL_ISQ_E10value_typeET4_jRbjT5_SW_jjP12ihipStream_tbEUlT_E0_NS1_11comp_targetILNS1_3genE9ELNS1_11target_archE1100ELNS1_3gpuE3ELNS1_3repE0EEENS1_60segmented_radix_sort_warp_sort_medium_config_static_selectorELNS0_4arch9wavefront6targetE0EEEvSK_,"axG",@progbits,_ZN7rocprim17ROCPRIM_400000_NS6detail17trampoline_kernelINS0_14default_configENS1_36segmented_radix_sort_config_selectorIhlEEZNS1_25segmented_radix_sort_implIS3_Lb0EPKhPhPKlPlN2at6native12_GLOBAL__N_18offset_tEEE10hipError_tPvRmT1_PNSt15iterator_traitsISK_E10value_typeET2_T3_PNSL_ISQ_E10value_typeET4_jRbjT5_SW_jjP12ihipStream_tbEUlT_E0_NS1_11comp_targetILNS1_3genE9ELNS1_11target_archE1100ELNS1_3gpuE3ELNS1_3repE0EEENS1_60segmented_radix_sort_warp_sort_medium_config_static_selectorELNS0_4arch9wavefront6targetE0EEEvSK_,comdat
.Lfunc_end204:
	.size	_ZN7rocprim17ROCPRIM_400000_NS6detail17trampoline_kernelINS0_14default_configENS1_36segmented_radix_sort_config_selectorIhlEEZNS1_25segmented_radix_sort_implIS3_Lb0EPKhPhPKlPlN2at6native12_GLOBAL__N_18offset_tEEE10hipError_tPvRmT1_PNSt15iterator_traitsISK_E10value_typeET2_T3_PNSL_ISQ_E10value_typeET4_jRbjT5_SW_jjP12ihipStream_tbEUlT_E0_NS1_11comp_targetILNS1_3genE9ELNS1_11target_archE1100ELNS1_3gpuE3ELNS1_3repE0EEENS1_60segmented_radix_sort_warp_sort_medium_config_static_selectorELNS0_4arch9wavefront6targetE0EEEvSK_, .Lfunc_end204-_ZN7rocprim17ROCPRIM_400000_NS6detail17trampoline_kernelINS0_14default_configENS1_36segmented_radix_sort_config_selectorIhlEEZNS1_25segmented_radix_sort_implIS3_Lb0EPKhPhPKlPlN2at6native12_GLOBAL__N_18offset_tEEE10hipError_tPvRmT1_PNSt15iterator_traitsISK_E10value_typeET2_T3_PNSL_ISQ_E10value_typeET4_jRbjT5_SW_jjP12ihipStream_tbEUlT_E0_NS1_11comp_targetILNS1_3genE9ELNS1_11target_archE1100ELNS1_3gpuE3ELNS1_3repE0EEENS1_60segmented_radix_sort_warp_sort_medium_config_static_selectorELNS0_4arch9wavefront6targetE0EEEvSK_
                                        ; -- End function
	.set _ZN7rocprim17ROCPRIM_400000_NS6detail17trampoline_kernelINS0_14default_configENS1_36segmented_radix_sort_config_selectorIhlEEZNS1_25segmented_radix_sort_implIS3_Lb0EPKhPhPKlPlN2at6native12_GLOBAL__N_18offset_tEEE10hipError_tPvRmT1_PNSt15iterator_traitsISK_E10value_typeET2_T3_PNSL_ISQ_E10value_typeET4_jRbjT5_SW_jjP12ihipStream_tbEUlT_E0_NS1_11comp_targetILNS1_3genE9ELNS1_11target_archE1100ELNS1_3gpuE3ELNS1_3repE0EEENS1_60segmented_radix_sort_warp_sort_medium_config_static_selectorELNS0_4arch9wavefront6targetE0EEEvSK_.num_vgpr, 0
	.set _ZN7rocprim17ROCPRIM_400000_NS6detail17trampoline_kernelINS0_14default_configENS1_36segmented_radix_sort_config_selectorIhlEEZNS1_25segmented_radix_sort_implIS3_Lb0EPKhPhPKlPlN2at6native12_GLOBAL__N_18offset_tEEE10hipError_tPvRmT1_PNSt15iterator_traitsISK_E10value_typeET2_T3_PNSL_ISQ_E10value_typeET4_jRbjT5_SW_jjP12ihipStream_tbEUlT_E0_NS1_11comp_targetILNS1_3genE9ELNS1_11target_archE1100ELNS1_3gpuE3ELNS1_3repE0EEENS1_60segmented_radix_sort_warp_sort_medium_config_static_selectorELNS0_4arch9wavefront6targetE0EEEvSK_.num_agpr, 0
	.set _ZN7rocprim17ROCPRIM_400000_NS6detail17trampoline_kernelINS0_14default_configENS1_36segmented_radix_sort_config_selectorIhlEEZNS1_25segmented_radix_sort_implIS3_Lb0EPKhPhPKlPlN2at6native12_GLOBAL__N_18offset_tEEE10hipError_tPvRmT1_PNSt15iterator_traitsISK_E10value_typeET2_T3_PNSL_ISQ_E10value_typeET4_jRbjT5_SW_jjP12ihipStream_tbEUlT_E0_NS1_11comp_targetILNS1_3genE9ELNS1_11target_archE1100ELNS1_3gpuE3ELNS1_3repE0EEENS1_60segmented_radix_sort_warp_sort_medium_config_static_selectorELNS0_4arch9wavefront6targetE0EEEvSK_.numbered_sgpr, 0
	.set _ZN7rocprim17ROCPRIM_400000_NS6detail17trampoline_kernelINS0_14default_configENS1_36segmented_radix_sort_config_selectorIhlEEZNS1_25segmented_radix_sort_implIS3_Lb0EPKhPhPKlPlN2at6native12_GLOBAL__N_18offset_tEEE10hipError_tPvRmT1_PNSt15iterator_traitsISK_E10value_typeET2_T3_PNSL_ISQ_E10value_typeET4_jRbjT5_SW_jjP12ihipStream_tbEUlT_E0_NS1_11comp_targetILNS1_3genE9ELNS1_11target_archE1100ELNS1_3gpuE3ELNS1_3repE0EEENS1_60segmented_radix_sort_warp_sort_medium_config_static_selectorELNS0_4arch9wavefront6targetE0EEEvSK_.num_named_barrier, 0
	.set _ZN7rocprim17ROCPRIM_400000_NS6detail17trampoline_kernelINS0_14default_configENS1_36segmented_radix_sort_config_selectorIhlEEZNS1_25segmented_radix_sort_implIS3_Lb0EPKhPhPKlPlN2at6native12_GLOBAL__N_18offset_tEEE10hipError_tPvRmT1_PNSt15iterator_traitsISK_E10value_typeET2_T3_PNSL_ISQ_E10value_typeET4_jRbjT5_SW_jjP12ihipStream_tbEUlT_E0_NS1_11comp_targetILNS1_3genE9ELNS1_11target_archE1100ELNS1_3gpuE3ELNS1_3repE0EEENS1_60segmented_radix_sort_warp_sort_medium_config_static_selectorELNS0_4arch9wavefront6targetE0EEEvSK_.private_seg_size, 0
	.set _ZN7rocprim17ROCPRIM_400000_NS6detail17trampoline_kernelINS0_14default_configENS1_36segmented_radix_sort_config_selectorIhlEEZNS1_25segmented_radix_sort_implIS3_Lb0EPKhPhPKlPlN2at6native12_GLOBAL__N_18offset_tEEE10hipError_tPvRmT1_PNSt15iterator_traitsISK_E10value_typeET2_T3_PNSL_ISQ_E10value_typeET4_jRbjT5_SW_jjP12ihipStream_tbEUlT_E0_NS1_11comp_targetILNS1_3genE9ELNS1_11target_archE1100ELNS1_3gpuE3ELNS1_3repE0EEENS1_60segmented_radix_sort_warp_sort_medium_config_static_selectorELNS0_4arch9wavefront6targetE0EEEvSK_.uses_vcc, 0
	.set _ZN7rocprim17ROCPRIM_400000_NS6detail17trampoline_kernelINS0_14default_configENS1_36segmented_radix_sort_config_selectorIhlEEZNS1_25segmented_radix_sort_implIS3_Lb0EPKhPhPKlPlN2at6native12_GLOBAL__N_18offset_tEEE10hipError_tPvRmT1_PNSt15iterator_traitsISK_E10value_typeET2_T3_PNSL_ISQ_E10value_typeET4_jRbjT5_SW_jjP12ihipStream_tbEUlT_E0_NS1_11comp_targetILNS1_3genE9ELNS1_11target_archE1100ELNS1_3gpuE3ELNS1_3repE0EEENS1_60segmented_radix_sort_warp_sort_medium_config_static_selectorELNS0_4arch9wavefront6targetE0EEEvSK_.uses_flat_scratch, 0
	.set _ZN7rocprim17ROCPRIM_400000_NS6detail17trampoline_kernelINS0_14default_configENS1_36segmented_radix_sort_config_selectorIhlEEZNS1_25segmented_radix_sort_implIS3_Lb0EPKhPhPKlPlN2at6native12_GLOBAL__N_18offset_tEEE10hipError_tPvRmT1_PNSt15iterator_traitsISK_E10value_typeET2_T3_PNSL_ISQ_E10value_typeET4_jRbjT5_SW_jjP12ihipStream_tbEUlT_E0_NS1_11comp_targetILNS1_3genE9ELNS1_11target_archE1100ELNS1_3gpuE3ELNS1_3repE0EEENS1_60segmented_radix_sort_warp_sort_medium_config_static_selectorELNS0_4arch9wavefront6targetE0EEEvSK_.has_dyn_sized_stack, 0
	.set _ZN7rocprim17ROCPRIM_400000_NS6detail17trampoline_kernelINS0_14default_configENS1_36segmented_radix_sort_config_selectorIhlEEZNS1_25segmented_radix_sort_implIS3_Lb0EPKhPhPKlPlN2at6native12_GLOBAL__N_18offset_tEEE10hipError_tPvRmT1_PNSt15iterator_traitsISK_E10value_typeET2_T3_PNSL_ISQ_E10value_typeET4_jRbjT5_SW_jjP12ihipStream_tbEUlT_E0_NS1_11comp_targetILNS1_3genE9ELNS1_11target_archE1100ELNS1_3gpuE3ELNS1_3repE0EEENS1_60segmented_radix_sort_warp_sort_medium_config_static_selectorELNS0_4arch9wavefront6targetE0EEEvSK_.has_recursion, 0
	.set _ZN7rocprim17ROCPRIM_400000_NS6detail17trampoline_kernelINS0_14default_configENS1_36segmented_radix_sort_config_selectorIhlEEZNS1_25segmented_radix_sort_implIS3_Lb0EPKhPhPKlPlN2at6native12_GLOBAL__N_18offset_tEEE10hipError_tPvRmT1_PNSt15iterator_traitsISK_E10value_typeET2_T3_PNSL_ISQ_E10value_typeET4_jRbjT5_SW_jjP12ihipStream_tbEUlT_E0_NS1_11comp_targetILNS1_3genE9ELNS1_11target_archE1100ELNS1_3gpuE3ELNS1_3repE0EEENS1_60segmented_radix_sort_warp_sort_medium_config_static_selectorELNS0_4arch9wavefront6targetE0EEEvSK_.has_indirect_call, 0
	.section	.AMDGPU.csdata,"",@progbits
; Kernel info:
; codeLenInByte = 0
; TotalNumSgprs: 0
; NumVgprs: 0
; ScratchSize: 0
; MemoryBound: 0
; FloatMode: 240
; IeeeMode: 1
; LDSByteSize: 0 bytes/workgroup (compile time only)
; SGPRBlocks: 0
; VGPRBlocks: 0
; NumSGPRsForWavesPerEU: 1
; NumVGPRsForWavesPerEU: 1
; Occupancy: 16
; WaveLimiterHint : 0
; COMPUTE_PGM_RSRC2:SCRATCH_EN: 0
; COMPUTE_PGM_RSRC2:USER_SGPR: 2
; COMPUTE_PGM_RSRC2:TRAP_HANDLER: 0
; COMPUTE_PGM_RSRC2:TGID_X_EN: 1
; COMPUTE_PGM_RSRC2:TGID_Y_EN: 0
; COMPUTE_PGM_RSRC2:TGID_Z_EN: 0
; COMPUTE_PGM_RSRC2:TIDIG_COMP_CNT: 0
	.section	.text._ZN7rocprim17ROCPRIM_400000_NS6detail17trampoline_kernelINS0_14default_configENS1_36segmented_radix_sort_config_selectorIhlEEZNS1_25segmented_radix_sort_implIS3_Lb0EPKhPhPKlPlN2at6native12_GLOBAL__N_18offset_tEEE10hipError_tPvRmT1_PNSt15iterator_traitsISK_E10value_typeET2_T3_PNSL_ISQ_E10value_typeET4_jRbjT5_SW_jjP12ihipStream_tbEUlT_E0_NS1_11comp_targetILNS1_3genE8ELNS1_11target_archE1030ELNS1_3gpuE2ELNS1_3repE0EEENS1_60segmented_radix_sort_warp_sort_medium_config_static_selectorELNS0_4arch9wavefront6targetE0EEEvSK_,"axG",@progbits,_ZN7rocprim17ROCPRIM_400000_NS6detail17trampoline_kernelINS0_14default_configENS1_36segmented_radix_sort_config_selectorIhlEEZNS1_25segmented_radix_sort_implIS3_Lb0EPKhPhPKlPlN2at6native12_GLOBAL__N_18offset_tEEE10hipError_tPvRmT1_PNSt15iterator_traitsISK_E10value_typeET2_T3_PNSL_ISQ_E10value_typeET4_jRbjT5_SW_jjP12ihipStream_tbEUlT_E0_NS1_11comp_targetILNS1_3genE8ELNS1_11target_archE1030ELNS1_3gpuE2ELNS1_3repE0EEENS1_60segmented_radix_sort_warp_sort_medium_config_static_selectorELNS0_4arch9wavefront6targetE0EEEvSK_,comdat
	.globl	_ZN7rocprim17ROCPRIM_400000_NS6detail17trampoline_kernelINS0_14default_configENS1_36segmented_radix_sort_config_selectorIhlEEZNS1_25segmented_radix_sort_implIS3_Lb0EPKhPhPKlPlN2at6native12_GLOBAL__N_18offset_tEEE10hipError_tPvRmT1_PNSt15iterator_traitsISK_E10value_typeET2_T3_PNSL_ISQ_E10value_typeET4_jRbjT5_SW_jjP12ihipStream_tbEUlT_E0_NS1_11comp_targetILNS1_3genE8ELNS1_11target_archE1030ELNS1_3gpuE2ELNS1_3repE0EEENS1_60segmented_radix_sort_warp_sort_medium_config_static_selectorELNS0_4arch9wavefront6targetE0EEEvSK_ ; -- Begin function _ZN7rocprim17ROCPRIM_400000_NS6detail17trampoline_kernelINS0_14default_configENS1_36segmented_radix_sort_config_selectorIhlEEZNS1_25segmented_radix_sort_implIS3_Lb0EPKhPhPKlPlN2at6native12_GLOBAL__N_18offset_tEEE10hipError_tPvRmT1_PNSt15iterator_traitsISK_E10value_typeET2_T3_PNSL_ISQ_E10value_typeET4_jRbjT5_SW_jjP12ihipStream_tbEUlT_E0_NS1_11comp_targetILNS1_3genE8ELNS1_11target_archE1030ELNS1_3gpuE2ELNS1_3repE0EEENS1_60segmented_radix_sort_warp_sort_medium_config_static_selectorELNS0_4arch9wavefront6targetE0EEEvSK_
	.p2align	8
	.type	_ZN7rocprim17ROCPRIM_400000_NS6detail17trampoline_kernelINS0_14default_configENS1_36segmented_radix_sort_config_selectorIhlEEZNS1_25segmented_radix_sort_implIS3_Lb0EPKhPhPKlPlN2at6native12_GLOBAL__N_18offset_tEEE10hipError_tPvRmT1_PNSt15iterator_traitsISK_E10value_typeET2_T3_PNSL_ISQ_E10value_typeET4_jRbjT5_SW_jjP12ihipStream_tbEUlT_E0_NS1_11comp_targetILNS1_3genE8ELNS1_11target_archE1030ELNS1_3gpuE2ELNS1_3repE0EEENS1_60segmented_radix_sort_warp_sort_medium_config_static_selectorELNS0_4arch9wavefront6targetE0EEEvSK_,@function
_ZN7rocprim17ROCPRIM_400000_NS6detail17trampoline_kernelINS0_14default_configENS1_36segmented_radix_sort_config_selectorIhlEEZNS1_25segmented_radix_sort_implIS3_Lb0EPKhPhPKlPlN2at6native12_GLOBAL__N_18offset_tEEE10hipError_tPvRmT1_PNSt15iterator_traitsISK_E10value_typeET2_T3_PNSL_ISQ_E10value_typeET4_jRbjT5_SW_jjP12ihipStream_tbEUlT_E0_NS1_11comp_targetILNS1_3genE8ELNS1_11target_archE1030ELNS1_3gpuE2ELNS1_3repE0EEENS1_60segmented_radix_sort_warp_sort_medium_config_static_selectorELNS0_4arch9wavefront6targetE0EEEvSK_: ; @_ZN7rocprim17ROCPRIM_400000_NS6detail17trampoline_kernelINS0_14default_configENS1_36segmented_radix_sort_config_selectorIhlEEZNS1_25segmented_radix_sort_implIS3_Lb0EPKhPhPKlPlN2at6native12_GLOBAL__N_18offset_tEEE10hipError_tPvRmT1_PNSt15iterator_traitsISK_E10value_typeET2_T3_PNSL_ISQ_E10value_typeET4_jRbjT5_SW_jjP12ihipStream_tbEUlT_E0_NS1_11comp_targetILNS1_3genE8ELNS1_11target_archE1030ELNS1_3gpuE2ELNS1_3repE0EEENS1_60segmented_radix_sort_warp_sort_medium_config_static_selectorELNS0_4arch9wavefront6targetE0EEEvSK_
; %bb.0:
	.section	.rodata,"a",@progbits
	.p2align	6, 0x0
	.amdhsa_kernel _ZN7rocprim17ROCPRIM_400000_NS6detail17trampoline_kernelINS0_14default_configENS1_36segmented_radix_sort_config_selectorIhlEEZNS1_25segmented_radix_sort_implIS3_Lb0EPKhPhPKlPlN2at6native12_GLOBAL__N_18offset_tEEE10hipError_tPvRmT1_PNSt15iterator_traitsISK_E10value_typeET2_T3_PNSL_ISQ_E10value_typeET4_jRbjT5_SW_jjP12ihipStream_tbEUlT_E0_NS1_11comp_targetILNS1_3genE8ELNS1_11target_archE1030ELNS1_3gpuE2ELNS1_3repE0EEENS1_60segmented_radix_sort_warp_sort_medium_config_static_selectorELNS0_4arch9wavefront6targetE0EEEvSK_
		.amdhsa_group_segment_fixed_size 0
		.amdhsa_private_segment_fixed_size 0
		.amdhsa_kernarg_size 88
		.amdhsa_user_sgpr_count 2
		.amdhsa_user_sgpr_dispatch_ptr 0
		.amdhsa_user_sgpr_queue_ptr 0
		.amdhsa_user_sgpr_kernarg_segment_ptr 1
		.amdhsa_user_sgpr_dispatch_id 0
		.amdhsa_user_sgpr_private_segment_size 0
		.amdhsa_wavefront_size32 1
		.amdhsa_uses_dynamic_stack 0
		.amdhsa_enable_private_segment 0
		.amdhsa_system_sgpr_workgroup_id_x 1
		.amdhsa_system_sgpr_workgroup_id_y 0
		.amdhsa_system_sgpr_workgroup_id_z 0
		.amdhsa_system_sgpr_workgroup_info 0
		.amdhsa_system_vgpr_workitem_id 0
		.amdhsa_next_free_vgpr 1
		.amdhsa_next_free_sgpr 1
		.amdhsa_reserve_vcc 0
		.amdhsa_float_round_mode_32 0
		.amdhsa_float_round_mode_16_64 0
		.amdhsa_float_denorm_mode_32 3
		.amdhsa_float_denorm_mode_16_64 3
		.amdhsa_fp16_overflow 0
		.amdhsa_workgroup_processor_mode 1
		.amdhsa_memory_ordered 1
		.amdhsa_forward_progress 1
		.amdhsa_inst_pref_size 0
		.amdhsa_round_robin_scheduling 0
		.amdhsa_exception_fp_ieee_invalid_op 0
		.amdhsa_exception_fp_denorm_src 0
		.amdhsa_exception_fp_ieee_div_zero 0
		.amdhsa_exception_fp_ieee_overflow 0
		.amdhsa_exception_fp_ieee_underflow 0
		.amdhsa_exception_fp_ieee_inexact 0
		.amdhsa_exception_int_div_zero 0
	.end_amdhsa_kernel
	.section	.text._ZN7rocprim17ROCPRIM_400000_NS6detail17trampoline_kernelINS0_14default_configENS1_36segmented_radix_sort_config_selectorIhlEEZNS1_25segmented_radix_sort_implIS3_Lb0EPKhPhPKlPlN2at6native12_GLOBAL__N_18offset_tEEE10hipError_tPvRmT1_PNSt15iterator_traitsISK_E10value_typeET2_T3_PNSL_ISQ_E10value_typeET4_jRbjT5_SW_jjP12ihipStream_tbEUlT_E0_NS1_11comp_targetILNS1_3genE8ELNS1_11target_archE1030ELNS1_3gpuE2ELNS1_3repE0EEENS1_60segmented_radix_sort_warp_sort_medium_config_static_selectorELNS0_4arch9wavefront6targetE0EEEvSK_,"axG",@progbits,_ZN7rocprim17ROCPRIM_400000_NS6detail17trampoline_kernelINS0_14default_configENS1_36segmented_radix_sort_config_selectorIhlEEZNS1_25segmented_radix_sort_implIS3_Lb0EPKhPhPKlPlN2at6native12_GLOBAL__N_18offset_tEEE10hipError_tPvRmT1_PNSt15iterator_traitsISK_E10value_typeET2_T3_PNSL_ISQ_E10value_typeET4_jRbjT5_SW_jjP12ihipStream_tbEUlT_E0_NS1_11comp_targetILNS1_3genE8ELNS1_11target_archE1030ELNS1_3gpuE2ELNS1_3repE0EEENS1_60segmented_radix_sort_warp_sort_medium_config_static_selectorELNS0_4arch9wavefront6targetE0EEEvSK_,comdat
.Lfunc_end205:
	.size	_ZN7rocprim17ROCPRIM_400000_NS6detail17trampoline_kernelINS0_14default_configENS1_36segmented_radix_sort_config_selectorIhlEEZNS1_25segmented_radix_sort_implIS3_Lb0EPKhPhPKlPlN2at6native12_GLOBAL__N_18offset_tEEE10hipError_tPvRmT1_PNSt15iterator_traitsISK_E10value_typeET2_T3_PNSL_ISQ_E10value_typeET4_jRbjT5_SW_jjP12ihipStream_tbEUlT_E0_NS1_11comp_targetILNS1_3genE8ELNS1_11target_archE1030ELNS1_3gpuE2ELNS1_3repE0EEENS1_60segmented_radix_sort_warp_sort_medium_config_static_selectorELNS0_4arch9wavefront6targetE0EEEvSK_, .Lfunc_end205-_ZN7rocprim17ROCPRIM_400000_NS6detail17trampoline_kernelINS0_14default_configENS1_36segmented_radix_sort_config_selectorIhlEEZNS1_25segmented_radix_sort_implIS3_Lb0EPKhPhPKlPlN2at6native12_GLOBAL__N_18offset_tEEE10hipError_tPvRmT1_PNSt15iterator_traitsISK_E10value_typeET2_T3_PNSL_ISQ_E10value_typeET4_jRbjT5_SW_jjP12ihipStream_tbEUlT_E0_NS1_11comp_targetILNS1_3genE8ELNS1_11target_archE1030ELNS1_3gpuE2ELNS1_3repE0EEENS1_60segmented_radix_sort_warp_sort_medium_config_static_selectorELNS0_4arch9wavefront6targetE0EEEvSK_
                                        ; -- End function
	.set _ZN7rocprim17ROCPRIM_400000_NS6detail17trampoline_kernelINS0_14default_configENS1_36segmented_radix_sort_config_selectorIhlEEZNS1_25segmented_radix_sort_implIS3_Lb0EPKhPhPKlPlN2at6native12_GLOBAL__N_18offset_tEEE10hipError_tPvRmT1_PNSt15iterator_traitsISK_E10value_typeET2_T3_PNSL_ISQ_E10value_typeET4_jRbjT5_SW_jjP12ihipStream_tbEUlT_E0_NS1_11comp_targetILNS1_3genE8ELNS1_11target_archE1030ELNS1_3gpuE2ELNS1_3repE0EEENS1_60segmented_radix_sort_warp_sort_medium_config_static_selectorELNS0_4arch9wavefront6targetE0EEEvSK_.num_vgpr, 0
	.set _ZN7rocprim17ROCPRIM_400000_NS6detail17trampoline_kernelINS0_14default_configENS1_36segmented_radix_sort_config_selectorIhlEEZNS1_25segmented_radix_sort_implIS3_Lb0EPKhPhPKlPlN2at6native12_GLOBAL__N_18offset_tEEE10hipError_tPvRmT1_PNSt15iterator_traitsISK_E10value_typeET2_T3_PNSL_ISQ_E10value_typeET4_jRbjT5_SW_jjP12ihipStream_tbEUlT_E0_NS1_11comp_targetILNS1_3genE8ELNS1_11target_archE1030ELNS1_3gpuE2ELNS1_3repE0EEENS1_60segmented_radix_sort_warp_sort_medium_config_static_selectorELNS0_4arch9wavefront6targetE0EEEvSK_.num_agpr, 0
	.set _ZN7rocprim17ROCPRIM_400000_NS6detail17trampoline_kernelINS0_14default_configENS1_36segmented_radix_sort_config_selectorIhlEEZNS1_25segmented_radix_sort_implIS3_Lb0EPKhPhPKlPlN2at6native12_GLOBAL__N_18offset_tEEE10hipError_tPvRmT1_PNSt15iterator_traitsISK_E10value_typeET2_T3_PNSL_ISQ_E10value_typeET4_jRbjT5_SW_jjP12ihipStream_tbEUlT_E0_NS1_11comp_targetILNS1_3genE8ELNS1_11target_archE1030ELNS1_3gpuE2ELNS1_3repE0EEENS1_60segmented_radix_sort_warp_sort_medium_config_static_selectorELNS0_4arch9wavefront6targetE0EEEvSK_.numbered_sgpr, 0
	.set _ZN7rocprim17ROCPRIM_400000_NS6detail17trampoline_kernelINS0_14default_configENS1_36segmented_radix_sort_config_selectorIhlEEZNS1_25segmented_radix_sort_implIS3_Lb0EPKhPhPKlPlN2at6native12_GLOBAL__N_18offset_tEEE10hipError_tPvRmT1_PNSt15iterator_traitsISK_E10value_typeET2_T3_PNSL_ISQ_E10value_typeET4_jRbjT5_SW_jjP12ihipStream_tbEUlT_E0_NS1_11comp_targetILNS1_3genE8ELNS1_11target_archE1030ELNS1_3gpuE2ELNS1_3repE0EEENS1_60segmented_radix_sort_warp_sort_medium_config_static_selectorELNS0_4arch9wavefront6targetE0EEEvSK_.num_named_barrier, 0
	.set _ZN7rocprim17ROCPRIM_400000_NS6detail17trampoline_kernelINS0_14default_configENS1_36segmented_radix_sort_config_selectorIhlEEZNS1_25segmented_radix_sort_implIS3_Lb0EPKhPhPKlPlN2at6native12_GLOBAL__N_18offset_tEEE10hipError_tPvRmT1_PNSt15iterator_traitsISK_E10value_typeET2_T3_PNSL_ISQ_E10value_typeET4_jRbjT5_SW_jjP12ihipStream_tbEUlT_E0_NS1_11comp_targetILNS1_3genE8ELNS1_11target_archE1030ELNS1_3gpuE2ELNS1_3repE0EEENS1_60segmented_radix_sort_warp_sort_medium_config_static_selectorELNS0_4arch9wavefront6targetE0EEEvSK_.private_seg_size, 0
	.set _ZN7rocprim17ROCPRIM_400000_NS6detail17trampoline_kernelINS0_14default_configENS1_36segmented_radix_sort_config_selectorIhlEEZNS1_25segmented_radix_sort_implIS3_Lb0EPKhPhPKlPlN2at6native12_GLOBAL__N_18offset_tEEE10hipError_tPvRmT1_PNSt15iterator_traitsISK_E10value_typeET2_T3_PNSL_ISQ_E10value_typeET4_jRbjT5_SW_jjP12ihipStream_tbEUlT_E0_NS1_11comp_targetILNS1_3genE8ELNS1_11target_archE1030ELNS1_3gpuE2ELNS1_3repE0EEENS1_60segmented_radix_sort_warp_sort_medium_config_static_selectorELNS0_4arch9wavefront6targetE0EEEvSK_.uses_vcc, 0
	.set _ZN7rocprim17ROCPRIM_400000_NS6detail17trampoline_kernelINS0_14default_configENS1_36segmented_radix_sort_config_selectorIhlEEZNS1_25segmented_radix_sort_implIS3_Lb0EPKhPhPKlPlN2at6native12_GLOBAL__N_18offset_tEEE10hipError_tPvRmT1_PNSt15iterator_traitsISK_E10value_typeET2_T3_PNSL_ISQ_E10value_typeET4_jRbjT5_SW_jjP12ihipStream_tbEUlT_E0_NS1_11comp_targetILNS1_3genE8ELNS1_11target_archE1030ELNS1_3gpuE2ELNS1_3repE0EEENS1_60segmented_radix_sort_warp_sort_medium_config_static_selectorELNS0_4arch9wavefront6targetE0EEEvSK_.uses_flat_scratch, 0
	.set _ZN7rocprim17ROCPRIM_400000_NS6detail17trampoline_kernelINS0_14default_configENS1_36segmented_radix_sort_config_selectorIhlEEZNS1_25segmented_radix_sort_implIS3_Lb0EPKhPhPKlPlN2at6native12_GLOBAL__N_18offset_tEEE10hipError_tPvRmT1_PNSt15iterator_traitsISK_E10value_typeET2_T3_PNSL_ISQ_E10value_typeET4_jRbjT5_SW_jjP12ihipStream_tbEUlT_E0_NS1_11comp_targetILNS1_3genE8ELNS1_11target_archE1030ELNS1_3gpuE2ELNS1_3repE0EEENS1_60segmented_radix_sort_warp_sort_medium_config_static_selectorELNS0_4arch9wavefront6targetE0EEEvSK_.has_dyn_sized_stack, 0
	.set _ZN7rocprim17ROCPRIM_400000_NS6detail17trampoline_kernelINS0_14default_configENS1_36segmented_radix_sort_config_selectorIhlEEZNS1_25segmented_radix_sort_implIS3_Lb0EPKhPhPKlPlN2at6native12_GLOBAL__N_18offset_tEEE10hipError_tPvRmT1_PNSt15iterator_traitsISK_E10value_typeET2_T3_PNSL_ISQ_E10value_typeET4_jRbjT5_SW_jjP12ihipStream_tbEUlT_E0_NS1_11comp_targetILNS1_3genE8ELNS1_11target_archE1030ELNS1_3gpuE2ELNS1_3repE0EEENS1_60segmented_radix_sort_warp_sort_medium_config_static_selectorELNS0_4arch9wavefront6targetE0EEEvSK_.has_recursion, 0
	.set _ZN7rocprim17ROCPRIM_400000_NS6detail17trampoline_kernelINS0_14default_configENS1_36segmented_radix_sort_config_selectorIhlEEZNS1_25segmented_radix_sort_implIS3_Lb0EPKhPhPKlPlN2at6native12_GLOBAL__N_18offset_tEEE10hipError_tPvRmT1_PNSt15iterator_traitsISK_E10value_typeET2_T3_PNSL_ISQ_E10value_typeET4_jRbjT5_SW_jjP12ihipStream_tbEUlT_E0_NS1_11comp_targetILNS1_3genE8ELNS1_11target_archE1030ELNS1_3gpuE2ELNS1_3repE0EEENS1_60segmented_radix_sort_warp_sort_medium_config_static_selectorELNS0_4arch9wavefront6targetE0EEEvSK_.has_indirect_call, 0
	.section	.AMDGPU.csdata,"",@progbits
; Kernel info:
; codeLenInByte = 0
; TotalNumSgprs: 0
; NumVgprs: 0
; ScratchSize: 0
; MemoryBound: 0
; FloatMode: 240
; IeeeMode: 1
; LDSByteSize: 0 bytes/workgroup (compile time only)
; SGPRBlocks: 0
; VGPRBlocks: 0
; NumSGPRsForWavesPerEU: 1
; NumVGPRsForWavesPerEU: 1
; Occupancy: 16
; WaveLimiterHint : 0
; COMPUTE_PGM_RSRC2:SCRATCH_EN: 0
; COMPUTE_PGM_RSRC2:USER_SGPR: 2
; COMPUTE_PGM_RSRC2:TRAP_HANDLER: 0
; COMPUTE_PGM_RSRC2:TGID_X_EN: 1
; COMPUTE_PGM_RSRC2:TGID_Y_EN: 0
; COMPUTE_PGM_RSRC2:TGID_Z_EN: 0
; COMPUTE_PGM_RSRC2:TIDIG_COMP_CNT: 0
	.section	.text._ZN7rocprim17ROCPRIM_400000_NS6detail17trampoline_kernelINS0_14default_configENS1_36segmented_radix_sort_config_selectorIhlEEZNS1_25segmented_radix_sort_implIS3_Lb0EPKhPhPKlPlN2at6native12_GLOBAL__N_18offset_tEEE10hipError_tPvRmT1_PNSt15iterator_traitsISK_E10value_typeET2_T3_PNSL_ISQ_E10value_typeET4_jRbjT5_SW_jjP12ihipStream_tbEUlT_E1_NS1_11comp_targetILNS1_3genE0ELNS1_11target_archE4294967295ELNS1_3gpuE0ELNS1_3repE0EEENS1_59segmented_radix_sort_warp_sort_small_config_static_selectorELNS0_4arch9wavefront6targetE0EEEvSK_,"axG",@progbits,_ZN7rocprim17ROCPRIM_400000_NS6detail17trampoline_kernelINS0_14default_configENS1_36segmented_radix_sort_config_selectorIhlEEZNS1_25segmented_radix_sort_implIS3_Lb0EPKhPhPKlPlN2at6native12_GLOBAL__N_18offset_tEEE10hipError_tPvRmT1_PNSt15iterator_traitsISK_E10value_typeET2_T3_PNSL_ISQ_E10value_typeET4_jRbjT5_SW_jjP12ihipStream_tbEUlT_E1_NS1_11comp_targetILNS1_3genE0ELNS1_11target_archE4294967295ELNS1_3gpuE0ELNS1_3repE0EEENS1_59segmented_radix_sort_warp_sort_small_config_static_selectorELNS0_4arch9wavefront6targetE0EEEvSK_,comdat
	.globl	_ZN7rocprim17ROCPRIM_400000_NS6detail17trampoline_kernelINS0_14default_configENS1_36segmented_radix_sort_config_selectorIhlEEZNS1_25segmented_radix_sort_implIS3_Lb0EPKhPhPKlPlN2at6native12_GLOBAL__N_18offset_tEEE10hipError_tPvRmT1_PNSt15iterator_traitsISK_E10value_typeET2_T3_PNSL_ISQ_E10value_typeET4_jRbjT5_SW_jjP12ihipStream_tbEUlT_E1_NS1_11comp_targetILNS1_3genE0ELNS1_11target_archE4294967295ELNS1_3gpuE0ELNS1_3repE0EEENS1_59segmented_radix_sort_warp_sort_small_config_static_selectorELNS0_4arch9wavefront6targetE0EEEvSK_ ; -- Begin function _ZN7rocprim17ROCPRIM_400000_NS6detail17trampoline_kernelINS0_14default_configENS1_36segmented_radix_sort_config_selectorIhlEEZNS1_25segmented_radix_sort_implIS3_Lb0EPKhPhPKlPlN2at6native12_GLOBAL__N_18offset_tEEE10hipError_tPvRmT1_PNSt15iterator_traitsISK_E10value_typeET2_T3_PNSL_ISQ_E10value_typeET4_jRbjT5_SW_jjP12ihipStream_tbEUlT_E1_NS1_11comp_targetILNS1_3genE0ELNS1_11target_archE4294967295ELNS1_3gpuE0ELNS1_3repE0EEENS1_59segmented_radix_sort_warp_sort_small_config_static_selectorELNS0_4arch9wavefront6targetE0EEEvSK_
	.p2align	8
	.type	_ZN7rocprim17ROCPRIM_400000_NS6detail17trampoline_kernelINS0_14default_configENS1_36segmented_radix_sort_config_selectorIhlEEZNS1_25segmented_radix_sort_implIS3_Lb0EPKhPhPKlPlN2at6native12_GLOBAL__N_18offset_tEEE10hipError_tPvRmT1_PNSt15iterator_traitsISK_E10value_typeET2_T3_PNSL_ISQ_E10value_typeET4_jRbjT5_SW_jjP12ihipStream_tbEUlT_E1_NS1_11comp_targetILNS1_3genE0ELNS1_11target_archE4294967295ELNS1_3gpuE0ELNS1_3repE0EEENS1_59segmented_radix_sort_warp_sort_small_config_static_selectorELNS0_4arch9wavefront6targetE0EEEvSK_,@function
_ZN7rocprim17ROCPRIM_400000_NS6detail17trampoline_kernelINS0_14default_configENS1_36segmented_radix_sort_config_selectorIhlEEZNS1_25segmented_radix_sort_implIS3_Lb0EPKhPhPKlPlN2at6native12_GLOBAL__N_18offset_tEEE10hipError_tPvRmT1_PNSt15iterator_traitsISK_E10value_typeET2_T3_PNSL_ISQ_E10value_typeET4_jRbjT5_SW_jjP12ihipStream_tbEUlT_E1_NS1_11comp_targetILNS1_3genE0ELNS1_11target_archE4294967295ELNS1_3gpuE0ELNS1_3repE0EEENS1_59segmented_radix_sort_warp_sort_small_config_static_selectorELNS0_4arch9wavefront6targetE0EEEvSK_: ; @_ZN7rocprim17ROCPRIM_400000_NS6detail17trampoline_kernelINS0_14default_configENS1_36segmented_radix_sort_config_selectorIhlEEZNS1_25segmented_radix_sort_implIS3_Lb0EPKhPhPKlPlN2at6native12_GLOBAL__N_18offset_tEEE10hipError_tPvRmT1_PNSt15iterator_traitsISK_E10value_typeET2_T3_PNSL_ISQ_E10value_typeET4_jRbjT5_SW_jjP12ihipStream_tbEUlT_E1_NS1_11comp_targetILNS1_3genE0ELNS1_11target_archE4294967295ELNS1_3gpuE0ELNS1_3repE0EEENS1_59segmented_radix_sort_warp_sort_small_config_static_selectorELNS0_4arch9wavefront6targetE0EEEvSK_
; %bb.0:
	.section	.rodata,"a",@progbits
	.p2align	6, 0x0
	.amdhsa_kernel _ZN7rocprim17ROCPRIM_400000_NS6detail17trampoline_kernelINS0_14default_configENS1_36segmented_radix_sort_config_selectorIhlEEZNS1_25segmented_radix_sort_implIS3_Lb0EPKhPhPKlPlN2at6native12_GLOBAL__N_18offset_tEEE10hipError_tPvRmT1_PNSt15iterator_traitsISK_E10value_typeET2_T3_PNSL_ISQ_E10value_typeET4_jRbjT5_SW_jjP12ihipStream_tbEUlT_E1_NS1_11comp_targetILNS1_3genE0ELNS1_11target_archE4294967295ELNS1_3gpuE0ELNS1_3repE0EEENS1_59segmented_radix_sort_warp_sort_small_config_static_selectorELNS0_4arch9wavefront6targetE0EEEvSK_
		.amdhsa_group_segment_fixed_size 0
		.amdhsa_private_segment_fixed_size 0
		.amdhsa_kernarg_size 88
		.amdhsa_user_sgpr_count 2
		.amdhsa_user_sgpr_dispatch_ptr 0
		.amdhsa_user_sgpr_queue_ptr 0
		.amdhsa_user_sgpr_kernarg_segment_ptr 1
		.amdhsa_user_sgpr_dispatch_id 0
		.amdhsa_user_sgpr_private_segment_size 0
		.amdhsa_wavefront_size32 1
		.amdhsa_uses_dynamic_stack 0
		.amdhsa_enable_private_segment 0
		.amdhsa_system_sgpr_workgroup_id_x 1
		.amdhsa_system_sgpr_workgroup_id_y 0
		.amdhsa_system_sgpr_workgroup_id_z 0
		.amdhsa_system_sgpr_workgroup_info 0
		.amdhsa_system_vgpr_workitem_id 0
		.amdhsa_next_free_vgpr 1
		.amdhsa_next_free_sgpr 1
		.amdhsa_reserve_vcc 0
		.amdhsa_float_round_mode_32 0
		.amdhsa_float_round_mode_16_64 0
		.amdhsa_float_denorm_mode_32 3
		.amdhsa_float_denorm_mode_16_64 3
		.amdhsa_fp16_overflow 0
		.amdhsa_workgroup_processor_mode 1
		.amdhsa_memory_ordered 1
		.amdhsa_forward_progress 1
		.amdhsa_inst_pref_size 0
		.amdhsa_round_robin_scheduling 0
		.amdhsa_exception_fp_ieee_invalid_op 0
		.amdhsa_exception_fp_denorm_src 0
		.amdhsa_exception_fp_ieee_div_zero 0
		.amdhsa_exception_fp_ieee_overflow 0
		.amdhsa_exception_fp_ieee_underflow 0
		.amdhsa_exception_fp_ieee_inexact 0
		.amdhsa_exception_int_div_zero 0
	.end_amdhsa_kernel
	.section	.text._ZN7rocprim17ROCPRIM_400000_NS6detail17trampoline_kernelINS0_14default_configENS1_36segmented_radix_sort_config_selectorIhlEEZNS1_25segmented_radix_sort_implIS3_Lb0EPKhPhPKlPlN2at6native12_GLOBAL__N_18offset_tEEE10hipError_tPvRmT1_PNSt15iterator_traitsISK_E10value_typeET2_T3_PNSL_ISQ_E10value_typeET4_jRbjT5_SW_jjP12ihipStream_tbEUlT_E1_NS1_11comp_targetILNS1_3genE0ELNS1_11target_archE4294967295ELNS1_3gpuE0ELNS1_3repE0EEENS1_59segmented_radix_sort_warp_sort_small_config_static_selectorELNS0_4arch9wavefront6targetE0EEEvSK_,"axG",@progbits,_ZN7rocprim17ROCPRIM_400000_NS6detail17trampoline_kernelINS0_14default_configENS1_36segmented_radix_sort_config_selectorIhlEEZNS1_25segmented_radix_sort_implIS3_Lb0EPKhPhPKlPlN2at6native12_GLOBAL__N_18offset_tEEE10hipError_tPvRmT1_PNSt15iterator_traitsISK_E10value_typeET2_T3_PNSL_ISQ_E10value_typeET4_jRbjT5_SW_jjP12ihipStream_tbEUlT_E1_NS1_11comp_targetILNS1_3genE0ELNS1_11target_archE4294967295ELNS1_3gpuE0ELNS1_3repE0EEENS1_59segmented_radix_sort_warp_sort_small_config_static_selectorELNS0_4arch9wavefront6targetE0EEEvSK_,comdat
.Lfunc_end206:
	.size	_ZN7rocprim17ROCPRIM_400000_NS6detail17trampoline_kernelINS0_14default_configENS1_36segmented_radix_sort_config_selectorIhlEEZNS1_25segmented_radix_sort_implIS3_Lb0EPKhPhPKlPlN2at6native12_GLOBAL__N_18offset_tEEE10hipError_tPvRmT1_PNSt15iterator_traitsISK_E10value_typeET2_T3_PNSL_ISQ_E10value_typeET4_jRbjT5_SW_jjP12ihipStream_tbEUlT_E1_NS1_11comp_targetILNS1_3genE0ELNS1_11target_archE4294967295ELNS1_3gpuE0ELNS1_3repE0EEENS1_59segmented_radix_sort_warp_sort_small_config_static_selectorELNS0_4arch9wavefront6targetE0EEEvSK_, .Lfunc_end206-_ZN7rocprim17ROCPRIM_400000_NS6detail17trampoline_kernelINS0_14default_configENS1_36segmented_radix_sort_config_selectorIhlEEZNS1_25segmented_radix_sort_implIS3_Lb0EPKhPhPKlPlN2at6native12_GLOBAL__N_18offset_tEEE10hipError_tPvRmT1_PNSt15iterator_traitsISK_E10value_typeET2_T3_PNSL_ISQ_E10value_typeET4_jRbjT5_SW_jjP12ihipStream_tbEUlT_E1_NS1_11comp_targetILNS1_3genE0ELNS1_11target_archE4294967295ELNS1_3gpuE0ELNS1_3repE0EEENS1_59segmented_radix_sort_warp_sort_small_config_static_selectorELNS0_4arch9wavefront6targetE0EEEvSK_
                                        ; -- End function
	.set _ZN7rocprim17ROCPRIM_400000_NS6detail17trampoline_kernelINS0_14default_configENS1_36segmented_radix_sort_config_selectorIhlEEZNS1_25segmented_radix_sort_implIS3_Lb0EPKhPhPKlPlN2at6native12_GLOBAL__N_18offset_tEEE10hipError_tPvRmT1_PNSt15iterator_traitsISK_E10value_typeET2_T3_PNSL_ISQ_E10value_typeET4_jRbjT5_SW_jjP12ihipStream_tbEUlT_E1_NS1_11comp_targetILNS1_3genE0ELNS1_11target_archE4294967295ELNS1_3gpuE0ELNS1_3repE0EEENS1_59segmented_radix_sort_warp_sort_small_config_static_selectorELNS0_4arch9wavefront6targetE0EEEvSK_.num_vgpr, 0
	.set _ZN7rocprim17ROCPRIM_400000_NS6detail17trampoline_kernelINS0_14default_configENS1_36segmented_radix_sort_config_selectorIhlEEZNS1_25segmented_radix_sort_implIS3_Lb0EPKhPhPKlPlN2at6native12_GLOBAL__N_18offset_tEEE10hipError_tPvRmT1_PNSt15iterator_traitsISK_E10value_typeET2_T3_PNSL_ISQ_E10value_typeET4_jRbjT5_SW_jjP12ihipStream_tbEUlT_E1_NS1_11comp_targetILNS1_3genE0ELNS1_11target_archE4294967295ELNS1_3gpuE0ELNS1_3repE0EEENS1_59segmented_radix_sort_warp_sort_small_config_static_selectorELNS0_4arch9wavefront6targetE0EEEvSK_.num_agpr, 0
	.set _ZN7rocprim17ROCPRIM_400000_NS6detail17trampoline_kernelINS0_14default_configENS1_36segmented_radix_sort_config_selectorIhlEEZNS1_25segmented_radix_sort_implIS3_Lb0EPKhPhPKlPlN2at6native12_GLOBAL__N_18offset_tEEE10hipError_tPvRmT1_PNSt15iterator_traitsISK_E10value_typeET2_T3_PNSL_ISQ_E10value_typeET4_jRbjT5_SW_jjP12ihipStream_tbEUlT_E1_NS1_11comp_targetILNS1_3genE0ELNS1_11target_archE4294967295ELNS1_3gpuE0ELNS1_3repE0EEENS1_59segmented_radix_sort_warp_sort_small_config_static_selectorELNS0_4arch9wavefront6targetE0EEEvSK_.numbered_sgpr, 0
	.set _ZN7rocprim17ROCPRIM_400000_NS6detail17trampoline_kernelINS0_14default_configENS1_36segmented_radix_sort_config_selectorIhlEEZNS1_25segmented_radix_sort_implIS3_Lb0EPKhPhPKlPlN2at6native12_GLOBAL__N_18offset_tEEE10hipError_tPvRmT1_PNSt15iterator_traitsISK_E10value_typeET2_T3_PNSL_ISQ_E10value_typeET4_jRbjT5_SW_jjP12ihipStream_tbEUlT_E1_NS1_11comp_targetILNS1_3genE0ELNS1_11target_archE4294967295ELNS1_3gpuE0ELNS1_3repE0EEENS1_59segmented_radix_sort_warp_sort_small_config_static_selectorELNS0_4arch9wavefront6targetE0EEEvSK_.num_named_barrier, 0
	.set _ZN7rocprim17ROCPRIM_400000_NS6detail17trampoline_kernelINS0_14default_configENS1_36segmented_radix_sort_config_selectorIhlEEZNS1_25segmented_radix_sort_implIS3_Lb0EPKhPhPKlPlN2at6native12_GLOBAL__N_18offset_tEEE10hipError_tPvRmT1_PNSt15iterator_traitsISK_E10value_typeET2_T3_PNSL_ISQ_E10value_typeET4_jRbjT5_SW_jjP12ihipStream_tbEUlT_E1_NS1_11comp_targetILNS1_3genE0ELNS1_11target_archE4294967295ELNS1_3gpuE0ELNS1_3repE0EEENS1_59segmented_radix_sort_warp_sort_small_config_static_selectorELNS0_4arch9wavefront6targetE0EEEvSK_.private_seg_size, 0
	.set _ZN7rocprim17ROCPRIM_400000_NS6detail17trampoline_kernelINS0_14default_configENS1_36segmented_radix_sort_config_selectorIhlEEZNS1_25segmented_radix_sort_implIS3_Lb0EPKhPhPKlPlN2at6native12_GLOBAL__N_18offset_tEEE10hipError_tPvRmT1_PNSt15iterator_traitsISK_E10value_typeET2_T3_PNSL_ISQ_E10value_typeET4_jRbjT5_SW_jjP12ihipStream_tbEUlT_E1_NS1_11comp_targetILNS1_3genE0ELNS1_11target_archE4294967295ELNS1_3gpuE0ELNS1_3repE0EEENS1_59segmented_radix_sort_warp_sort_small_config_static_selectorELNS0_4arch9wavefront6targetE0EEEvSK_.uses_vcc, 0
	.set _ZN7rocprim17ROCPRIM_400000_NS6detail17trampoline_kernelINS0_14default_configENS1_36segmented_radix_sort_config_selectorIhlEEZNS1_25segmented_radix_sort_implIS3_Lb0EPKhPhPKlPlN2at6native12_GLOBAL__N_18offset_tEEE10hipError_tPvRmT1_PNSt15iterator_traitsISK_E10value_typeET2_T3_PNSL_ISQ_E10value_typeET4_jRbjT5_SW_jjP12ihipStream_tbEUlT_E1_NS1_11comp_targetILNS1_3genE0ELNS1_11target_archE4294967295ELNS1_3gpuE0ELNS1_3repE0EEENS1_59segmented_radix_sort_warp_sort_small_config_static_selectorELNS0_4arch9wavefront6targetE0EEEvSK_.uses_flat_scratch, 0
	.set _ZN7rocprim17ROCPRIM_400000_NS6detail17trampoline_kernelINS0_14default_configENS1_36segmented_radix_sort_config_selectorIhlEEZNS1_25segmented_radix_sort_implIS3_Lb0EPKhPhPKlPlN2at6native12_GLOBAL__N_18offset_tEEE10hipError_tPvRmT1_PNSt15iterator_traitsISK_E10value_typeET2_T3_PNSL_ISQ_E10value_typeET4_jRbjT5_SW_jjP12ihipStream_tbEUlT_E1_NS1_11comp_targetILNS1_3genE0ELNS1_11target_archE4294967295ELNS1_3gpuE0ELNS1_3repE0EEENS1_59segmented_radix_sort_warp_sort_small_config_static_selectorELNS0_4arch9wavefront6targetE0EEEvSK_.has_dyn_sized_stack, 0
	.set _ZN7rocprim17ROCPRIM_400000_NS6detail17trampoline_kernelINS0_14default_configENS1_36segmented_radix_sort_config_selectorIhlEEZNS1_25segmented_radix_sort_implIS3_Lb0EPKhPhPKlPlN2at6native12_GLOBAL__N_18offset_tEEE10hipError_tPvRmT1_PNSt15iterator_traitsISK_E10value_typeET2_T3_PNSL_ISQ_E10value_typeET4_jRbjT5_SW_jjP12ihipStream_tbEUlT_E1_NS1_11comp_targetILNS1_3genE0ELNS1_11target_archE4294967295ELNS1_3gpuE0ELNS1_3repE0EEENS1_59segmented_radix_sort_warp_sort_small_config_static_selectorELNS0_4arch9wavefront6targetE0EEEvSK_.has_recursion, 0
	.set _ZN7rocprim17ROCPRIM_400000_NS6detail17trampoline_kernelINS0_14default_configENS1_36segmented_radix_sort_config_selectorIhlEEZNS1_25segmented_radix_sort_implIS3_Lb0EPKhPhPKlPlN2at6native12_GLOBAL__N_18offset_tEEE10hipError_tPvRmT1_PNSt15iterator_traitsISK_E10value_typeET2_T3_PNSL_ISQ_E10value_typeET4_jRbjT5_SW_jjP12ihipStream_tbEUlT_E1_NS1_11comp_targetILNS1_3genE0ELNS1_11target_archE4294967295ELNS1_3gpuE0ELNS1_3repE0EEENS1_59segmented_radix_sort_warp_sort_small_config_static_selectorELNS0_4arch9wavefront6targetE0EEEvSK_.has_indirect_call, 0
	.section	.AMDGPU.csdata,"",@progbits
; Kernel info:
; codeLenInByte = 0
; TotalNumSgprs: 0
; NumVgprs: 0
; ScratchSize: 0
; MemoryBound: 0
; FloatMode: 240
; IeeeMode: 1
; LDSByteSize: 0 bytes/workgroup (compile time only)
; SGPRBlocks: 0
; VGPRBlocks: 0
; NumSGPRsForWavesPerEU: 1
; NumVGPRsForWavesPerEU: 1
; Occupancy: 16
; WaveLimiterHint : 0
; COMPUTE_PGM_RSRC2:SCRATCH_EN: 0
; COMPUTE_PGM_RSRC2:USER_SGPR: 2
; COMPUTE_PGM_RSRC2:TRAP_HANDLER: 0
; COMPUTE_PGM_RSRC2:TGID_X_EN: 1
; COMPUTE_PGM_RSRC2:TGID_Y_EN: 0
; COMPUTE_PGM_RSRC2:TGID_Z_EN: 0
; COMPUTE_PGM_RSRC2:TIDIG_COMP_CNT: 0
	.section	.text._ZN7rocprim17ROCPRIM_400000_NS6detail17trampoline_kernelINS0_14default_configENS1_36segmented_radix_sort_config_selectorIhlEEZNS1_25segmented_radix_sort_implIS3_Lb0EPKhPhPKlPlN2at6native12_GLOBAL__N_18offset_tEEE10hipError_tPvRmT1_PNSt15iterator_traitsISK_E10value_typeET2_T3_PNSL_ISQ_E10value_typeET4_jRbjT5_SW_jjP12ihipStream_tbEUlT_E1_NS1_11comp_targetILNS1_3genE5ELNS1_11target_archE942ELNS1_3gpuE9ELNS1_3repE0EEENS1_59segmented_radix_sort_warp_sort_small_config_static_selectorELNS0_4arch9wavefront6targetE0EEEvSK_,"axG",@progbits,_ZN7rocprim17ROCPRIM_400000_NS6detail17trampoline_kernelINS0_14default_configENS1_36segmented_radix_sort_config_selectorIhlEEZNS1_25segmented_radix_sort_implIS3_Lb0EPKhPhPKlPlN2at6native12_GLOBAL__N_18offset_tEEE10hipError_tPvRmT1_PNSt15iterator_traitsISK_E10value_typeET2_T3_PNSL_ISQ_E10value_typeET4_jRbjT5_SW_jjP12ihipStream_tbEUlT_E1_NS1_11comp_targetILNS1_3genE5ELNS1_11target_archE942ELNS1_3gpuE9ELNS1_3repE0EEENS1_59segmented_radix_sort_warp_sort_small_config_static_selectorELNS0_4arch9wavefront6targetE0EEEvSK_,comdat
	.globl	_ZN7rocprim17ROCPRIM_400000_NS6detail17trampoline_kernelINS0_14default_configENS1_36segmented_radix_sort_config_selectorIhlEEZNS1_25segmented_radix_sort_implIS3_Lb0EPKhPhPKlPlN2at6native12_GLOBAL__N_18offset_tEEE10hipError_tPvRmT1_PNSt15iterator_traitsISK_E10value_typeET2_T3_PNSL_ISQ_E10value_typeET4_jRbjT5_SW_jjP12ihipStream_tbEUlT_E1_NS1_11comp_targetILNS1_3genE5ELNS1_11target_archE942ELNS1_3gpuE9ELNS1_3repE0EEENS1_59segmented_radix_sort_warp_sort_small_config_static_selectorELNS0_4arch9wavefront6targetE0EEEvSK_ ; -- Begin function _ZN7rocprim17ROCPRIM_400000_NS6detail17trampoline_kernelINS0_14default_configENS1_36segmented_radix_sort_config_selectorIhlEEZNS1_25segmented_radix_sort_implIS3_Lb0EPKhPhPKlPlN2at6native12_GLOBAL__N_18offset_tEEE10hipError_tPvRmT1_PNSt15iterator_traitsISK_E10value_typeET2_T3_PNSL_ISQ_E10value_typeET4_jRbjT5_SW_jjP12ihipStream_tbEUlT_E1_NS1_11comp_targetILNS1_3genE5ELNS1_11target_archE942ELNS1_3gpuE9ELNS1_3repE0EEENS1_59segmented_radix_sort_warp_sort_small_config_static_selectorELNS0_4arch9wavefront6targetE0EEEvSK_
	.p2align	8
	.type	_ZN7rocprim17ROCPRIM_400000_NS6detail17trampoline_kernelINS0_14default_configENS1_36segmented_radix_sort_config_selectorIhlEEZNS1_25segmented_radix_sort_implIS3_Lb0EPKhPhPKlPlN2at6native12_GLOBAL__N_18offset_tEEE10hipError_tPvRmT1_PNSt15iterator_traitsISK_E10value_typeET2_T3_PNSL_ISQ_E10value_typeET4_jRbjT5_SW_jjP12ihipStream_tbEUlT_E1_NS1_11comp_targetILNS1_3genE5ELNS1_11target_archE942ELNS1_3gpuE9ELNS1_3repE0EEENS1_59segmented_radix_sort_warp_sort_small_config_static_selectorELNS0_4arch9wavefront6targetE0EEEvSK_,@function
_ZN7rocprim17ROCPRIM_400000_NS6detail17trampoline_kernelINS0_14default_configENS1_36segmented_radix_sort_config_selectorIhlEEZNS1_25segmented_radix_sort_implIS3_Lb0EPKhPhPKlPlN2at6native12_GLOBAL__N_18offset_tEEE10hipError_tPvRmT1_PNSt15iterator_traitsISK_E10value_typeET2_T3_PNSL_ISQ_E10value_typeET4_jRbjT5_SW_jjP12ihipStream_tbEUlT_E1_NS1_11comp_targetILNS1_3genE5ELNS1_11target_archE942ELNS1_3gpuE9ELNS1_3repE0EEENS1_59segmented_radix_sort_warp_sort_small_config_static_selectorELNS0_4arch9wavefront6targetE0EEEvSK_: ; @_ZN7rocprim17ROCPRIM_400000_NS6detail17trampoline_kernelINS0_14default_configENS1_36segmented_radix_sort_config_selectorIhlEEZNS1_25segmented_radix_sort_implIS3_Lb0EPKhPhPKlPlN2at6native12_GLOBAL__N_18offset_tEEE10hipError_tPvRmT1_PNSt15iterator_traitsISK_E10value_typeET2_T3_PNSL_ISQ_E10value_typeET4_jRbjT5_SW_jjP12ihipStream_tbEUlT_E1_NS1_11comp_targetILNS1_3genE5ELNS1_11target_archE942ELNS1_3gpuE9ELNS1_3repE0EEENS1_59segmented_radix_sort_warp_sort_small_config_static_selectorELNS0_4arch9wavefront6targetE0EEEvSK_
; %bb.0:
	.section	.rodata,"a",@progbits
	.p2align	6, 0x0
	.amdhsa_kernel _ZN7rocprim17ROCPRIM_400000_NS6detail17trampoline_kernelINS0_14default_configENS1_36segmented_radix_sort_config_selectorIhlEEZNS1_25segmented_radix_sort_implIS3_Lb0EPKhPhPKlPlN2at6native12_GLOBAL__N_18offset_tEEE10hipError_tPvRmT1_PNSt15iterator_traitsISK_E10value_typeET2_T3_PNSL_ISQ_E10value_typeET4_jRbjT5_SW_jjP12ihipStream_tbEUlT_E1_NS1_11comp_targetILNS1_3genE5ELNS1_11target_archE942ELNS1_3gpuE9ELNS1_3repE0EEENS1_59segmented_radix_sort_warp_sort_small_config_static_selectorELNS0_4arch9wavefront6targetE0EEEvSK_
		.amdhsa_group_segment_fixed_size 0
		.amdhsa_private_segment_fixed_size 0
		.amdhsa_kernarg_size 88
		.amdhsa_user_sgpr_count 2
		.amdhsa_user_sgpr_dispatch_ptr 0
		.amdhsa_user_sgpr_queue_ptr 0
		.amdhsa_user_sgpr_kernarg_segment_ptr 1
		.amdhsa_user_sgpr_dispatch_id 0
		.amdhsa_user_sgpr_private_segment_size 0
		.amdhsa_wavefront_size32 1
		.amdhsa_uses_dynamic_stack 0
		.amdhsa_enable_private_segment 0
		.amdhsa_system_sgpr_workgroup_id_x 1
		.amdhsa_system_sgpr_workgroup_id_y 0
		.amdhsa_system_sgpr_workgroup_id_z 0
		.amdhsa_system_sgpr_workgroup_info 0
		.amdhsa_system_vgpr_workitem_id 0
		.amdhsa_next_free_vgpr 1
		.amdhsa_next_free_sgpr 1
		.amdhsa_reserve_vcc 0
		.amdhsa_float_round_mode_32 0
		.amdhsa_float_round_mode_16_64 0
		.amdhsa_float_denorm_mode_32 3
		.amdhsa_float_denorm_mode_16_64 3
		.amdhsa_fp16_overflow 0
		.amdhsa_workgroup_processor_mode 1
		.amdhsa_memory_ordered 1
		.amdhsa_forward_progress 1
		.amdhsa_inst_pref_size 0
		.amdhsa_round_robin_scheduling 0
		.amdhsa_exception_fp_ieee_invalid_op 0
		.amdhsa_exception_fp_denorm_src 0
		.amdhsa_exception_fp_ieee_div_zero 0
		.amdhsa_exception_fp_ieee_overflow 0
		.amdhsa_exception_fp_ieee_underflow 0
		.amdhsa_exception_fp_ieee_inexact 0
		.amdhsa_exception_int_div_zero 0
	.end_amdhsa_kernel
	.section	.text._ZN7rocprim17ROCPRIM_400000_NS6detail17trampoline_kernelINS0_14default_configENS1_36segmented_radix_sort_config_selectorIhlEEZNS1_25segmented_radix_sort_implIS3_Lb0EPKhPhPKlPlN2at6native12_GLOBAL__N_18offset_tEEE10hipError_tPvRmT1_PNSt15iterator_traitsISK_E10value_typeET2_T3_PNSL_ISQ_E10value_typeET4_jRbjT5_SW_jjP12ihipStream_tbEUlT_E1_NS1_11comp_targetILNS1_3genE5ELNS1_11target_archE942ELNS1_3gpuE9ELNS1_3repE0EEENS1_59segmented_radix_sort_warp_sort_small_config_static_selectorELNS0_4arch9wavefront6targetE0EEEvSK_,"axG",@progbits,_ZN7rocprim17ROCPRIM_400000_NS6detail17trampoline_kernelINS0_14default_configENS1_36segmented_radix_sort_config_selectorIhlEEZNS1_25segmented_radix_sort_implIS3_Lb0EPKhPhPKlPlN2at6native12_GLOBAL__N_18offset_tEEE10hipError_tPvRmT1_PNSt15iterator_traitsISK_E10value_typeET2_T3_PNSL_ISQ_E10value_typeET4_jRbjT5_SW_jjP12ihipStream_tbEUlT_E1_NS1_11comp_targetILNS1_3genE5ELNS1_11target_archE942ELNS1_3gpuE9ELNS1_3repE0EEENS1_59segmented_radix_sort_warp_sort_small_config_static_selectorELNS0_4arch9wavefront6targetE0EEEvSK_,comdat
.Lfunc_end207:
	.size	_ZN7rocprim17ROCPRIM_400000_NS6detail17trampoline_kernelINS0_14default_configENS1_36segmented_radix_sort_config_selectorIhlEEZNS1_25segmented_radix_sort_implIS3_Lb0EPKhPhPKlPlN2at6native12_GLOBAL__N_18offset_tEEE10hipError_tPvRmT1_PNSt15iterator_traitsISK_E10value_typeET2_T3_PNSL_ISQ_E10value_typeET4_jRbjT5_SW_jjP12ihipStream_tbEUlT_E1_NS1_11comp_targetILNS1_3genE5ELNS1_11target_archE942ELNS1_3gpuE9ELNS1_3repE0EEENS1_59segmented_radix_sort_warp_sort_small_config_static_selectorELNS0_4arch9wavefront6targetE0EEEvSK_, .Lfunc_end207-_ZN7rocprim17ROCPRIM_400000_NS6detail17trampoline_kernelINS0_14default_configENS1_36segmented_radix_sort_config_selectorIhlEEZNS1_25segmented_radix_sort_implIS3_Lb0EPKhPhPKlPlN2at6native12_GLOBAL__N_18offset_tEEE10hipError_tPvRmT1_PNSt15iterator_traitsISK_E10value_typeET2_T3_PNSL_ISQ_E10value_typeET4_jRbjT5_SW_jjP12ihipStream_tbEUlT_E1_NS1_11comp_targetILNS1_3genE5ELNS1_11target_archE942ELNS1_3gpuE9ELNS1_3repE0EEENS1_59segmented_radix_sort_warp_sort_small_config_static_selectorELNS0_4arch9wavefront6targetE0EEEvSK_
                                        ; -- End function
	.set _ZN7rocprim17ROCPRIM_400000_NS6detail17trampoline_kernelINS0_14default_configENS1_36segmented_radix_sort_config_selectorIhlEEZNS1_25segmented_radix_sort_implIS3_Lb0EPKhPhPKlPlN2at6native12_GLOBAL__N_18offset_tEEE10hipError_tPvRmT1_PNSt15iterator_traitsISK_E10value_typeET2_T3_PNSL_ISQ_E10value_typeET4_jRbjT5_SW_jjP12ihipStream_tbEUlT_E1_NS1_11comp_targetILNS1_3genE5ELNS1_11target_archE942ELNS1_3gpuE9ELNS1_3repE0EEENS1_59segmented_radix_sort_warp_sort_small_config_static_selectorELNS0_4arch9wavefront6targetE0EEEvSK_.num_vgpr, 0
	.set _ZN7rocprim17ROCPRIM_400000_NS6detail17trampoline_kernelINS0_14default_configENS1_36segmented_radix_sort_config_selectorIhlEEZNS1_25segmented_radix_sort_implIS3_Lb0EPKhPhPKlPlN2at6native12_GLOBAL__N_18offset_tEEE10hipError_tPvRmT1_PNSt15iterator_traitsISK_E10value_typeET2_T3_PNSL_ISQ_E10value_typeET4_jRbjT5_SW_jjP12ihipStream_tbEUlT_E1_NS1_11comp_targetILNS1_3genE5ELNS1_11target_archE942ELNS1_3gpuE9ELNS1_3repE0EEENS1_59segmented_radix_sort_warp_sort_small_config_static_selectorELNS0_4arch9wavefront6targetE0EEEvSK_.num_agpr, 0
	.set _ZN7rocprim17ROCPRIM_400000_NS6detail17trampoline_kernelINS0_14default_configENS1_36segmented_radix_sort_config_selectorIhlEEZNS1_25segmented_radix_sort_implIS3_Lb0EPKhPhPKlPlN2at6native12_GLOBAL__N_18offset_tEEE10hipError_tPvRmT1_PNSt15iterator_traitsISK_E10value_typeET2_T3_PNSL_ISQ_E10value_typeET4_jRbjT5_SW_jjP12ihipStream_tbEUlT_E1_NS1_11comp_targetILNS1_3genE5ELNS1_11target_archE942ELNS1_3gpuE9ELNS1_3repE0EEENS1_59segmented_radix_sort_warp_sort_small_config_static_selectorELNS0_4arch9wavefront6targetE0EEEvSK_.numbered_sgpr, 0
	.set _ZN7rocprim17ROCPRIM_400000_NS6detail17trampoline_kernelINS0_14default_configENS1_36segmented_radix_sort_config_selectorIhlEEZNS1_25segmented_radix_sort_implIS3_Lb0EPKhPhPKlPlN2at6native12_GLOBAL__N_18offset_tEEE10hipError_tPvRmT1_PNSt15iterator_traitsISK_E10value_typeET2_T3_PNSL_ISQ_E10value_typeET4_jRbjT5_SW_jjP12ihipStream_tbEUlT_E1_NS1_11comp_targetILNS1_3genE5ELNS1_11target_archE942ELNS1_3gpuE9ELNS1_3repE0EEENS1_59segmented_radix_sort_warp_sort_small_config_static_selectorELNS0_4arch9wavefront6targetE0EEEvSK_.num_named_barrier, 0
	.set _ZN7rocprim17ROCPRIM_400000_NS6detail17trampoline_kernelINS0_14default_configENS1_36segmented_radix_sort_config_selectorIhlEEZNS1_25segmented_radix_sort_implIS3_Lb0EPKhPhPKlPlN2at6native12_GLOBAL__N_18offset_tEEE10hipError_tPvRmT1_PNSt15iterator_traitsISK_E10value_typeET2_T3_PNSL_ISQ_E10value_typeET4_jRbjT5_SW_jjP12ihipStream_tbEUlT_E1_NS1_11comp_targetILNS1_3genE5ELNS1_11target_archE942ELNS1_3gpuE9ELNS1_3repE0EEENS1_59segmented_radix_sort_warp_sort_small_config_static_selectorELNS0_4arch9wavefront6targetE0EEEvSK_.private_seg_size, 0
	.set _ZN7rocprim17ROCPRIM_400000_NS6detail17trampoline_kernelINS0_14default_configENS1_36segmented_radix_sort_config_selectorIhlEEZNS1_25segmented_radix_sort_implIS3_Lb0EPKhPhPKlPlN2at6native12_GLOBAL__N_18offset_tEEE10hipError_tPvRmT1_PNSt15iterator_traitsISK_E10value_typeET2_T3_PNSL_ISQ_E10value_typeET4_jRbjT5_SW_jjP12ihipStream_tbEUlT_E1_NS1_11comp_targetILNS1_3genE5ELNS1_11target_archE942ELNS1_3gpuE9ELNS1_3repE0EEENS1_59segmented_radix_sort_warp_sort_small_config_static_selectorELNS0_4arch9wavefront6targetE0EEEvSK_.uses_vcc, 0
	.set _ZN7rocprim17ROCPRIM_400000_NS6detail17trampoline_kernelINS0_14default_configENS1_36segmented_radix_sort_config_selectorIhlEEZNS1_25segmented_radix_sort_implIS3_Lb0EPKhPhPKlPlN2at6native12_GLOBAL__N_18offset_tEEE10hipError_tPvRmT1_PNSt15iterator_traitsISK_E10value_typeET2_T3_PNSL_ISQ_E10value_typeET4_jRbjT5_SW_jjP12ihipStream_tbEUlT_E1_NS1_11comp_targetILNS1_3genE5ELNS1_11target_archE942ELNS1_3gpuE9ELNS1_3repE0EEENS1_59segmented_radix_sort_warp_sort_small_config_static_selectorELNS0_4arch9wavefront6targetE0EEEvSK_.uses_flat_scratch, 0
	.set _ZN7rocprim17ROCPRIM_400000_NS6detail17trampoline_kernelINS0_14default_configENS1_36segmented_radix_sort_config_selectorIhlEEZNS1_25segmented_radix_sort_implIS3_Lb0EPKhPhPKlPlN2at6native12_GLOBAL__N_18offset_tEEE10hipError_tPvRmT1_PNSt15iterator_traitsISK_E10value_typeET2_T3_PNSL_ISQ_E10value_typeET4_jRbjT5_SW_jjP12ihipStream_tbEUlT_E1_NS1_11comp_targetILNS1_3genE5ELNS1_11target_archE942ELNS1_3gpuE9ELNS1_3repE0EEENS1_59segmented_radix_sort_warp_sort_small_config_static_selectorELNS0_4arch9wavefront6targetE0EEEvSK_.has_dyn_sized_stack, 0
	.set _ZN7rocprim17ROCPRIM_400000_NS6detail17trampoline_kernelINS0_14default_configENS1_36segmented_radix_sort_config_selectorIhlEEZNS1_25segmented_radix_sort_implIS3_Lb0EPKhPhPKlPlN2at6native12_GLOBAL__N_18offset_tEEE10hipError_tPvRmT1_PNSt15iterator_traitsISK_E10value_typeET2_T3_PNSL_ISQ_E10value_typeET4_jRbjT5_SW_jjP12ihipStream_tbEUlT_E1_NS1_11comp_targetILNS1_3genE5ELNS1_11target_archE942ELNS1_3gpuE9ELNS1_3repE0EEENS1_59segmented_radix_sort_warp_sort_small_config_static_selectorELNS0_4arch9wavefront6targetE0EEEvSK_.has_recursion, 0
	.set _ZN7rocprim17ROCPRIM_400000_NS6detail17trampoline_kernelINS0_14default_configENS1_36segmented_radix_sort_config_selectorIhlEEZNS1_25segmented_radix_sort_implIS3_Lb0EPKhPhPKlPlN2at6native12_GLOBAL__N_18offset_tEEE10hipError_tPvRmT1_PNSt15iterator_traitsISK_E10value_typeET2_T3_PNSL_ISQ_E10value_typeET4_jRbjT5_SW_jjP12ihipStream_tbEUlT_E1_NS1_11comp_targetILNS1_3genE5ELNS1_11target_archE942ELNS1_3gpuE9ELNS1_3repE0EEENS1_59segmented_radix_sort_warp_sort_small_config_static_selectorELNS0_4arch9wavefront6targetE0EEEvSK_.has_indirect_call, 0
	.section	.AMDGPU.csdata,"",@progbits
; Kernel info:
; codeLenInByte = 0
; TotalNumSgprs: 0
; NumVgprs: 0
; ScratchSize: 0
; MemoryBound: 0
; FloatMode: 240
; IeeeMode: 1
; LDSByteSize: 0 bytes/workgroup (compile time only)
; SGPRBlocks: 0
; VGPRBlocks: 0
; NumSGPRsForWavesPerEU: 1
; NumVGPRsForWavesPerEU: 1
; Occupancy: 16
; WaveLimiterHint : 0
; COMPUTE_PGM_RSRC2:SCRATCH_EN: 0
; COMPUTE_PGM_RSRC2:USER_SGPR: 2
; COMPUTE_PGM_RSRC2:TRAP_HANDLER: 0
; COMPUTE_PGM_RSRC2:TGID_X_EN: 1
; COMPUTE_PGM_RSRC2:TGID_Y_EN: 0
; COMPUTE_PGM_RSRC2:TGID_Z_EN: 0
; COMPUTE_PGM_RSRC2:TIDIG_COMP_CNT: 0
	.section	.text._ZN7rocprim17ROCPRIM_400000_NS6detail17trampoline_kernelINS0_14default_configENS1_36segmented_radix_sort_config_selectorIhlEEZNS1_25segmented_radix_sort_implIS3_Lb0EPKhPhPKlPlN2at6native12_GLOBAL__N_18offset_tEEE10hipError_tPvRmT1_PNSt15iterator_traitsISK_E10value_typeET2_T3_PNSL_ISQ_E10value_typeET4_jRbjT5_SW_jjP12ihipStream_tbEUlT_E1_NS1_11comp_targetILNS1_3genE4ELNS1_11target_archE910ELNS1_3gpuE8ELNS1_3repE0EEENS1_59segmented_radix_sort_warp_sort_small_config_static_selectorELNS0_4arch9wavefront6targetE0EEEvSK_,"axG",@progbits,_ZN7rocprim17ROCPRIM_400000_NS6detail17trampoline_kernelINS0_14default_configENS1_36segmented_radix_sort_config_selectorIhlEEZNS1_25segmented_radix_sort_implIS3_Lb0EPKhPhPKlPlN2at6native12_GLOBAL__N_18offset_tEEE10hipError_tPvRmT1_PNSt15iterator_traitsISK_E10value_typeET2_T3_PNSL_ISQ_E10value_typeET4_jRbjT5_SW_jjP12ihipStream_tbEUlT_E1_NS1_11comp_targetILNS1_3genE4ELNS1_11target_archE910ELNS1_3gpuE8ELNS1_3repE0EEENS1_59segmented_radix_sort_warp_sort_small_config_static_selectorELNS0_4arch9wavefront6targetE0EEEvSK_,comdat
	.globl	_ZN7rocprim17ROCPRIM_400000_NS6detail17trampoline_kernelINS0_14default_configENS1_36segmented_radix_sort_config_selectorIhlEEZNS1_25segmented_radix_sort_implIS3_Lb0EPKhPhPKlPlN2at6native12_GLOBAL__N_18offset_tEEE10hipError_tPvRmT1_PNSt15iterator_traitsISK_E10value_typeET2_T3_PNSL_ISQ_E10value_typeET4_jRbjT5_SW_jjP12ihipStream_tbEUlT_E1_NS1_11comp_targetILNS1_3genE4ELNS1_11target_archE910ELNS1_3gpuE8ELNS1_3repE0EEENS1_59segmented_radix_sort_warp_sort_small_config_static_selectorELNS0_4arch9wavefront6targetE0EEEvSK_ ; -- Begin function _ZN7rocprim17ROCPRIM_400000_NS6detail17trampoline_kernelINS0_14default_configENS1_36segmented_radix_sort_config_selectorIhlEEZNS1_25segmented_radix_sort_implIS3_Lb0EPKhPhPKlPlN2at6native12_GLOBAL__N_18offset_tEEE10hipError_tPvRmT1_PNSt15iterator_traitsISK_E10value_typeET2_T3_PNSL_ISQ_E10value_typeET4_jRbjT5_SW_jjP12ihipStream_tbEUlT_E1_NS1_11comp_targetILNS1_3genE4ELNS1_11target_archE910ELNS1_3gpuE8ELNS1_3repE0EEENS1_59segmented_radix_sort_warp_sort_small_config_static_selectorELNS0_4arch9wavefront6targetE0EEEvSK_
	.p2align	8
	.type	_ZN7rocprim17ROCPRIM_400000_NS6detail17trampoline_kernelINS0_14default_configENS1_36segmented_radix_sort_config_selectorIhlEEZNS1_25segmented_radix_sort_implIS3_Lb0EPKhPhPKlPlN2at6native12_GLOBAL__N_18offset_tEEE10hipError_tPvRmT1_PNSt15iterator_traitsISK_E10value_typeET2_T3_PNSL_ISQ_E10value_typeET4_jRbjT5_SW_jjP12ihipStream_tbEUlT_E1_NS1_11comp_targetILNS1_3genE4ELNS1_11target_archE910ELNS1_3gpuE8ELNS1_3repE0EEENS1_59segmented_radix_sort_warp_sort_small_config_static_selectorELNS0_4arch9wavefront6targetE0EEEvSK_,@function
_ZN7rocprim17ROCPRIM_400000_NS6detail17trampoline_kernelINS0_14default_configENS1_36segmented_radix_sort_config_selectorIhlEEZNS1_25segmented_radix_sort_implIS3_Lb0EPKhPhPKlPlN2at6native12_GLOBAL__N_18offset_tEEE10hipError_tPvRmT1_PNSt15iterator_traitsISK_E10value_typeET2_T3_PNSL_ISQ_E10value_typeET4_jRbjT5_SW_jjP12ihipStream_tbEUlT_E1_NS1_11comp_targetILNS1_3genE4ELNS1_11target_archE910ELNS1_3gpuE8ELNS1_3repE0EEENS1_59segmented_radix_sort_warp_sort_small_config_static_selectorELNS0_4arch9wavefront6targetE0EEEvSK_: ; @_ZN7rocprim17ROCPRIM_400000_NS6detail17trampoline_kernelINS0_14default_configENS1_36segmented_radix_sort_config_selectorIhlEEZNS1_25segmented_radix_sort_implIS3_Lb0EPKhPhPKlPlN2at6native12_GLOBAL__N_18offset_tEEE10hipError_tPvRmT1_PNSt15iterator_traitsISK_E10value_typeET2_T3_PNSL_ISQ_E10value_typeET4_jRbjT5_SW_jjP12ihipStream_tbEUlT_E1_NS1_11comp_targetILNS1_3genE4ELNS1_11target_archE910ELNS1_3gpuE8ELNS1_3repE0EEENS1_59segmented_radix_sort_warp_sort_small_config_static_selectorELNS0_4arch9wavefront6targetE0EEEvSK_
; %bb.0:
	.section	.rodata,"a",@progbits
	.p2align	6, 0x0
	.amdhsa_kernel _ZN7rocprim17ROCPRIM_400000_NS6detail17trampoline_kernelINS0_14default_configENS1_36segmented_radix_sort_config_selectorIhlEEZNS1_25segmented_radix_sort_implIS3_Lb0EPKhPhPKlPlN2at6native12_GLOBAL__N_18offset_tEEE10hipError_tPvRmT1_PNSt15iterator_traitsISK_E10value_typeET2_T3_PNSL_ISQ_E10value_typeET4_jRbjT5_SW_jjP12ihipStream_tbEUlT_E1_NS1_11comp_targetILNS1_3genE4ELNS1_11target_archE910ELNS1_3gpuE8ELNS1_3repE0EEENS1_59segmented_radix_sort_warp_sort_small_config_static_selectorELNS0_4arch9wavefront6targetE0EEEvSK_
		.amdhsa_group_segment_fixed_size 0
		.amdhsa_private_segment_fixed_size 0
		.amdhsa_kernarg_size 88
		.amdhsa_user_sgpr_count 2
		.amdhsa_user_sgpr_dispatch_ptr 0
		.amdhsa_user_sgpr_queue_ptr 0
		.amdhsa_user_sgpr_kernarg_segment_ptr 1
		.amdhsa_user_sgpr_dispatch_id 0
		.amdhsa_user_sgpr_private_segment_size 0
		.amdhsa_wavefront_size32 1
		.amdhsa_uses_dynamic_stack 0
		.amdhsa_enable_private_segment 0
		.amdhsa_system_sgpr_workgroup_id_x 1
		.amdhsa_system_sgpr_workgroup_id_y 0
		.amdhsa_system_sgpr_workgroup_id_z 0
		.amdhsa_system_sgpr_workgroup_info 0
		.amdhsa_system_vgpr_workitem_id 0
		.amdhsa_next_free_vgpr 1
		.amdhsa_next_free_sgpr 1
		.amdhsa_reserve_vcc 0
		.amdhsa_float_round_mode_32 0
		.amdhsa_float_round_mode_16_64 0
		.amdhsa_float_denorm_mode_32 3
		.amdhsa_float_denorm_mode_16_64 3
		.amdhsa_fp16_overflow 0
		.amdhsa_workgroup_processor_mode 1
		.amdhsa_memory_ordered 1
		.amdhsa_forward_progress 1
		.amdhsa_inst_pref_size 0
		.amdhsa_round_robin_scheduling 0
		.amdhsa_exception_fp_ieee_invalid_op 0
		.amdhsa_exception_fp_denorm_src 0
		.amdhsa_exception_fp_ieee_div_zero 0
		.amdhsa_exception_fp_ieee_overflow 0
		.amdhsa_exception_fp_ieee_underflow 0
		.amdhsa_exception_fp_ieee_inexact 0
		.amdhsa_exception_int_div_zero 0
	.end_amdhsa_kernel
	.section	.text._ZN7rocprim17ROCPRIM_400000_NS6detail17trampoline_kernelINS0_14default_configENS1_36segmented_radix_sort_config_selectorIhlEEZNS1_25segmented_radix_sort_implIS3_Lb0EPKhPhPKlPlN2at6native12_GLOBAL__N_18offset_tEEE10hipError_tPvRmT1_PNSt15iterator_traitsISK_E10value_typeET2_T3_PNSL_ISQ_E10value_typeET4_jRbjT5_SW_jjP12ihipStream_tbEUlT_E1_NS1_11comp_targetILNS1_3genE4ELNS1_11target_archE910ELNS1_3gpuE8ELNS1_3repE0EEENS1_59segmented_radix_sort_warp_sort_small_config_static_selectorELNS0_4arch9wavefront6targetE0EEEvSK_,"axG",@progbits,_ZN7rocprim17ROCPRIM_400000_NS6detail17trampoline_kernelINS0_14default_configENS1_36segmented_radix_sort_config_selectorIhlEEZNS1_25segmented_radix_sort_implIS3_Lb0EPKhPhPKlPlN2at6native12_GLOBAL__N_18offset_tEEE10hipError_tPvRmT1_PNSt15iterator_traitsISK_E10value_typeET2_T3_PNSL_ISQ_E10value_typeET4_jRbjT5_SW_jjP12ihipStream_tbEUlT_E1_NS1_11comp_targetILNS1_3genE4ELNS1_11target_archE910ELNS1_3gpuE8ELNS1_3repE0EEENS1_59segmented_radix_sort_warp_sort_small_config_static_selectorELNS0_4arch9wavefront6targetE0EEEvSK_,comdat
.Lfunc_end208:
	.size	_ZN7rocprim17ROCPRIM_400000_NS6detail17trampoline_kernelINS0_14default_configENS1_36segmented_radix_sort_config_selectorIhlEEZNS1_25segmented_radix_sort_implIS3_Lb0EPKhPhPKlPlN2at6native12_GLOBAL__N_18offset_tEEE10hipError_tPvRmT1_PNSt15iterator_traitsISK_E10value_typeET2_T3_PNSL_ISQ_E10value_typeET4_jRbjT5_SW_jjP12ihipStream_tbEUlT_E1_NS1_11comp_targetILNS1_3genE4ELNS1_11target_archE910ELNS1_3gpuE8ELNS1_3repE0EEENS1_59segmented_radix_sort_warp_sort_small_config_static_selectorELNS0_4arch9wavefront6targetE0EEEvSK_, .Lfunc_end208-_ZN7rocprim17ROCPRIM_400000_NS6detail17trampoline_kernelINS0_14default_configENS1_36segmented_radix_sort_config_selectorIhlEEZNS1_25segmented_radix_sort_implIS3_Lb0EPKhPhPKlPlN2at6native12_GLOBAL__N_18offset_tEEE10hipError_tPvRmT1_PNSt15iterator_traitsISK_E10value_typeET2_T3_PNSL_ISQ_E10value_typeET4_jRbjT5_SW_jjP12ihipStream_tbEUlT_E1_NS1_11comp_targetILNS1_3genE4ELNS1_11target_archE910ELNS1_3gpuE8ELNS1_3repE0EEENS1_59segmented_radix_sort_warp_sort_small_config_static_selectorELNS0_4arch9wavefront6targetE0EEEvSK_
                                        ; -- End function
	.set _ZN7rocprim17ROCPRIM_400000_NS6detail17trampoline_kernelINS0_14default_configENS1_36segmented_radix_sort_config_selectorIhlEEZNS1_25segmented_radix_sort_implIS3_Lb0EPKhPhPKlPlN2at6native12_GLOBAL__N_18offset_tEEE10hipError_tPvRmT1_PNSt15iterator_traitsISK_E10value_typeET2_T3_PNSL_ISQ_E10value_typeET4_jRbjT5_SW_jjP12ihipStream_tbEUlT_E1_NS1_11comp_targetILNS1_3genE4ELNS1_11target_archE910ELNS1_3gpuE8ELNS1_3repE0EEENS1_59segmented_radix_sort_warp_sort_small_config_static_selectorELNS0_4arch9wavefront6targetE0EEEvSK_.num_vgpr, 0
	.set _ZN7rocprim17ROCPRIM_400000_NS6detail17trampoline_kernelINS0_14default_configENS1_36segmented_radix_sort_config_selectorIhlEEZNS1_25segmented_radix_sort_implIS3_Lb0EPKhPhPKlPlN2at6native12_GLOBAL__N_18offset_tEEE10hipError_tPvRmT1_PNSt15iterator_traitsISK_E10value_typeET2_T3_PNSL_ISQ_E10value_typeET4_jRbjT5_SW_jjP12ihipStream_tbEUlT_E1_NS1_11comp_targetILNS1_3genE4ELNS1_11target_archE910ELNS1_3gpuE8ELNS1_3repE0EEENS1_59segmented_radix_sort_warp_sort_small_config_static_selectorELNS0_4arch9wavefront6targetE0EEEvSK_.num_agpr, 0
	.set _ZN7rocprim17ROCPRIM_400000_NS6detail17trampoline_kernelINS0_14default_configENS1_36segmented_radix_sort_config_selectorIhlEEZNS1_25segmented_radix_sort_implIS3_Lb0EPKhPhPKlPlN2at6native12_GLOBAL__N_18offset_tEEE10hipError_tPvRmT1_PNSt15iterator_traitsISK_E10value_typeET2_T3_PNSL_ISQ_E10value_typeET4_jRbjT5_SW_jjP12ihipStream_tbEUlT_E1_NS1_11comp_targetILNS1_3genE4ELNS1_11target_archE910ELNS1_3gpuE8ELNS1_3repE0EEENS1_59segmented_radix_sort_warp_sort_small_config_static_selectorELNS0_4arch9wavefront6targetE0EEEvSK_.numbered_sgpr, 0
	.set _ZN7rocprim17ROCPRIM_400000_NS6detail17trampoline_kernelINS0_14default_configENS1_36segmented_radix_sort_config_selectorIhlEEZNS1_25segmented_radix_sort_implIS3_Lb0EPKhPhPKlPlN2at6native12_GLOBAL__N_18offset_tEEE10hipError_tPvRmT1_PNSt15iterator_traitsISK_E10value_typeET2_T3_PNSL_ISQ_E10value_typeET4_jRbjT5_SW_jjP12ihipStream_tbEUlT_E1_NS1_11comp_targetILNS1_3genE4ELNS1_11target_archE910ELNS1_3gpuE8ELNS1_3repE0EEENS1_59segmented_radix_sort_warp_sort_small_config_static_selectorELNS0_4arch9wavefront6targetE0EEEvSK_.num_named_barrier, 0
	.set _ZN7rocprim17ROCPRIM_400000_NS6detail17trampoline_kernelINS0_14default_configENS1_36segmented_radix_sort_config_selectorIhlEEZNS1_25segmented_radix_sort_implIS3_Lb0EPKhPhPKlPlN2at6native12_GLOBAL__N_18offset_tEEE10hipError_tPvRmT1_PNSt15iterator_traitsISK_E10value_typeET2_T3_PNSL_ISQ_E10value_typeET4_jRbjT5_SW_jjP12ihipStream_tbEUlT_E1_NS1_11comp_targetILNS1_3genE4ELNS1_11target_archE910ELNS1_3gpuE8ELNS1_3repE0EEENS1_59segmented_radix_sort_warp_sort_small_config_static_selectorELNS0_4arch9wavefront6targetE0EEEvSK_.private_seg_size, 0
	.set _ZN7rocprim17ROCPRIM_400000_NS6detail17trampoline_kernelINS0_14default_configENS1_36segmented_radix_sort_config_selectorIhlEEZNS1_25segmented_radix_sort_implIS3_Lb0EPKhPhPKlPlN2at6native12_GLOBAL__N_18offset_tEEE10hipError_tPvRmT1_PNSt15iterator_traitsISK_E10value_typeET2_T3_PNSL_ISQ_E10value_typeET4_jRbjT5_SW_jjP12ihipStream_tbEUlT_E1_NS1_11comp_targetILNS1_3genE4ELNS1_11target_archE910ELNS1_3gpuE8ELNS1_3repE0EEENS1_59segmented_radix_sort_warp_sort_small_config_static_selectorELNS0_4arch9wavefront6targetE0EEEvSK_.uses_vcc, 0
	.set _ZN7rocprim17ROCPRIM_400000_NS6detail17trampoline_kernelINS0_14default_configENS1_36segmented_radix_sort_config_selectorIhlEEZNS1_25segmented_radix_sort_implIS3_Lb0EPKhPhPKlPlN2at6native12_GLOBAL__N_18offset_tEEE10hipError_tPvRmT1_PNSt15iterator_traitsISK_E10value_typeET2_T3_PNSL_ISQ_E10value_typeET4_jRbjT5_SW_jjP12ihipStream_tbEUlT_E1_NS1_11comp_targetILNS1_3genE4ELNS1_11target_archE910ELNS1_3gpuE8ELNS1_3repE0EEENS1_59segmented_radix_sort_warp_sort_small_config_static_selectorELNS0_4arch9wavefront6targetE0EEEvSK_.uses_flat_scratch, 0
	.set _ZN7rocprim17ROCPRIM_400000_NS6detail17trampoline_kernelINS0_14default_configENS1_36segmented_radix_sort_config_selectorIhlEEZNS1_25segmented_radix_sort_implIS3_Lb0EPKhPhPKlPlN2at6native12_GLOBAL__N_18offset_tEEE10hipError_tPvRmT1_PNSt15iterator_traitsISK_E10value_typeET2_T3_PNSL_ISQ_E10value_typeET4_jRbjT5_SW_jjP12ihipStream_tbEUlT_E1_NS1_11comp_targetILNS1_3genE4ELNS1_11target_archE910ELNS1_3gpuE8ELNS1_3repE0EEENS1_59segmented_radix_sort_warp_sort_small_config_static_selectorELNS0_4arch9wavefront6targetE0EEEvSK_.has_dyn_sized_stack, 0
	.set _ZN7rocprim17ROCPRIM_400000_NS6detail17trampoline_kernelINS0_14default_configENS1_36segmented_radix_sort_config_selectorIhlEEZNS1_25segmented_radix_sort_implIS3_Lb0EPKhPhPKlPlN2at6native12_GLOBAL__N_18offset_tEEE10hipError_tPvRmT1_PNSt15iterator_traitsISK_E10value_typeET2_T3_PNSL_ISQ_E10value_typeET4_jRbjT5_SW_jjP12ihipStream_tbEUlT_E1_NS1_11comp_targetILNS1_3genE4ELNS1_11target_archE910ELNS1_3gpuE8ELNS1_3repE0EEENS1_59segmented_radix_sort_warp_sort_small_config_static_selectorELNS0_4arch9wavefront6targetE0EEEvSK_.has_recursion, 0
	.set _ZN7rocprim17ROCPRIM_400000_NS6detail17trampoline_kernelINS0_14default_configENS1_36segmented_radix_sort_config_selectorIhlEEZNS1_25segmented_radix_sort_implIS3_Lb0EPKhPhPKlPlN2at6native12_GLOBAL__N_18offset_tEEE10hipError_tPvRmT1_PNSt15iterator_traitsISK_E10value_typeET2_T3_PNSL_ISQ_E10value_typeET4_jRbjT5_SW_jjP12ihipStream_tbEUlT_E1_NS1_11comp_targetILNS1_3genE4ELNS1_11target_archE910ELNS1_3gpuE8ELNS1_3repE0EEENS1_59segmented_radix_sort_warp_sort_small_config_static_selectorELNS0_4arch9wavefront6targetE0EEEvSK_.has_indirect_call, 0
	.section	.AMDGPU.csdata,"",@progbits
; Kernel info:
; codeLenInByte = 0
; TotalNumSgprs: 0
; NumVgprs: 0
; ScratchSize: 0
; MemoryBound: 0
; FloatMode: 240
; IeeeMode: 1
; LDSByteSize: 0 bytes/workgroup (compile time only)
; SGPRBlocks: 0
; VGPRBlocks: 0
; NumSGPRsForWavesPerEU: 1
; NumVGPRsForWavesPerEU: 1
; Occupancy: 16
; WaveLimiterHint : 0
; COMPUTE_PGM_RSRC2:SCRATCH_EN: 0
; COMPUTE_PGM_RSRC2:USER_SGPR: 2
; COMPUTE_PGM_RSRC2:TRAP_HANDLER: 0
; COMPUTE_PGM_RSRC2:TGID_X_EN: 1
; COMPUTE_PGM_RSRC2:TGID_Y_EN: 0
; COMPUTE_PGM_RSRC2:TGID_Z_EN: 0
; COMPUTE_PGM_RSRC2:TIDIG_COMP_CNT: 0
	.section	.text._ZN7rocprim17ROCPRIM_400000_NS6detail17trampoline_kernelINS0_14default_configENS1_36segmented_radix_sort_config_selectorIhlEEZNS1_25segmented_radix_sort_implIS3_Lb0EPKhPhPKlPlN2at6native12_GLOBAL__N_18offset_tEEE10hipError_tPvRmT1_PNSt15iterator_traitsISK_E10value_typeET2_T3_PNSL_ISQ_E10value_typeET4_jRbjT5_SW_jjP12ihipStream_tbEUlT_E1_NS1_11comp_targetILNS1_3genE3ELNS1_11target_archE908ELNS1_3gpuE7ELNS1_3repE0EEENS1_59segmented_radix_sort_warp_sort_small_config_static_selectorELNS0_4arch9wavefront6targetE0EEEvSK_,"axG",@progbits,_ZN7rocprim17ROCPRIM_400000_NS6detail17trampoline_kernelINS0_14default_configENS1_36segmented_radix_sort_config_selectorIhlEEZNS1_25segmented_radix_sort_implIS3_Lb0EPKhPhPKlPlN2at6native12_GLOBAL__N_18offset_tEEE10hipError_tPvRmT1_PNSt15iterator_traitsISK_E10value_typeET2_T3_PNSL_ISQ_E10value_typeET4_jRbjT5_SW_jjP12ihipStream_tbEUlT_E1_NS1_11comp_targetILNS1_3genE3ELNS1_11target_archE908ELNS1_3gpuE7ELNS1_3repE0EEENS1_59segmented_radix_sort_warp_sort_small_config_static_selectorELNS0_4arch9wavefront6targetE0EEEvSK_,comdat
	.globl	_ZN7rocprim17ROCPRIM_400000_NS6detail17trampoline_kernelINS0_14default_configENS1_36segmented_radix_sort_config_selectorIhlEEZNS1_25segmented_radix_sort_implIS3_Lb0EPKhPhPKlPlN2at6native12_GLOBAL__N_18offset_tEEE10hipError_tPvRmT1_PNSt15iterator_traitsISK_E10value_typeET2_T3_PNSL_ISQ_E10value_typeET4_jRbjT5_SW_jjP12ihipStream_tbEUlT_E1_NS1_11comp_targetILNS1_3genE3ELNS1_11target_archE908ELNS1_3gpuE7ELNS1_3repE0EEENS1_59segmented_radix_sort_warp_sort_small_config_static_selectorELNS0_4arch9wavefront6targetE0EEEvSK_ ; -- Begin function _ZN7rocprim17ROCPRIM_400000_NS6detail17trampoline_kernelINS0_14default_configENS1_36segmented_radix_sort_config_selectorIhlEEZNS1_25segmented_radix_sort_implIS3_Lb0EPKhPhPKlPlN2at6native12_GLOBAL__N_18offset_tEEE10hipError_tPvRmT1_PNSt15iterator_traitsISK_E10value_typeET2_T3_PNSL_ISQ_E10value_typeET4_jRbjT5_SW_jjP12ihipStream_tbEUlT_E1_NS1_11comp_targetILNS1_3genE3ELNS1_11target_archE908ELNS1_3gpuE7ELNS1_3repE0EEENS1_59segmented_radix_sort_warp_sort_small_config_static_selectorELNS0_4arch9wavefront6targetE0EEEvSK_
	.p2align	8
	.type	_ZN7rocprim17ROCPRIM_400000_NS6detail17trampoline_kernelINS0_14default_configENS1_36segmented_radix_sort_config_selectorIhlEEZNS1_25segmented_radix_sort_implIS3_Lb0EPKhPhPKlPlN2at6native12_GLOBAL__N_18offset_tEEE10hipError_tPvRmT1_PNSt15iterator_traitsISK_E10value_typeET2_T3_PNSL_ISQ_E10value_typeET4_jRbjT5_SW_jjP12ihipStream_tbEUlT_E1_NS1_11comp_targetILNS1_3genE3ELNS1_11target_archE908ELNS1_3gpuE7ELNS1_3repE0EEENS1_59segmented_radix_sort_warp_sort_small_config_static_selectorELNS0_4arch9wavefront6targetE0EEEvSK_,@function
_ZN7rocprim17ROCPRIM_400000_NS6detail17trampoline_kernelINS0_14default_configENS1_36segmented_radix_sort_config_selectorIhlEEZNS1_25segmented_radix_sort_implIS3_Lb0EPKhPhPKlPlN2at6native12_GLOBAL__N_18offset_tEEE10hipError_tPvRmT1_PNSt15iterator_traitsISK_E10value_typeET2_T3_PNSL_ISQ_E10value_typeET4_jRbjT5_SW_jjP12ihipStream_tbEUlT_E1_NS1_11comp_targetILNS1_3genE3ELNS1_11target_archE908ELNS1_3gpuE7ELNS1_3repE0EEENS1_59segmented_radix_sort_warp_sort_small_config_static_selectorELNS0_4arch9wavefront6targetE0EEEvSK_: ; @_ZN7rocprim17ROCPRIM_400000_NS6detail17trampoline_kernelINS0_14default_configENS1_36segmented_radix_sort_config_selectorIhlEEZNS1_25segmented_radix_sort_implIS3_Lb0EPKhPhPKlPlN2at6native12_GLOBAL__N_18offset_tEEE10hipError_tPvRmT1_PNSt15iterator_traitsISK_E10value_typeET2_T3_PNSL_ISQ_E10value_typeET4_jRbjT5_SW_jjP12ihipStream_tbEUlT_E1_NS1_11comp_targetILNS1_3genE3ELNS1_11target_archE908ELNS1_3gpuE7ELNS1_3repE0EEENS1_59segmented_radix_sort_warp_sort_small_config_static_selectorELNS0_4arch9wavefront6targetE0EEEvSK_
; %bb.0:
	.section	.rodata,"a",@progbits
	.p2align	6, 0x0
	.amdhsa_kernel _ZN7rocprim17ROCPRIM_400000_NS6detail17trampoline_kernelINS0_14default_configENS1_36segmented_radix_sort_config_selectorIhlEEZNS1_25segmented_radix_sort_implIS3_Lb0EPKhPhPKlPlN2at6native12_GLOBAL__N_18offset_tEEE10hipError_tPvRmT1_PNSt15iterator_traitsISK_E10value_typeET2_T3_PNSL_ISQ_E10value_typeET4_jRbjT5_SW_jjP12ihipStream_tbEUlT_E1_NS1_11comp_targetILNS1_3genE3ELNS1_11target_archE908ELNS1_3gpuE7ELNS1_3repE0EEENS1_59segmented_radix_sort_warp_sort_small_config_static_selectorELNS0_4arch9wavefront6targetE0EEEvSK_
		.amdhsa_group_segment_fixed_size 0
		.amdhsa_private_segment_fixed_size 0
		.amdhsa_kernarg_size 88
		.amdhsa_user_sgpr_count 2
		.amdhsa_user_sgpr_dispatch_ptr 0
		.amdhsa_user_sgpr_queue_ptr 0
		.amdhsa_user_sgpr_kernarg_segment_ptr 1
		.amdhsa_user_sgpr_dispatch_id 0
		.amdhsa_user_sgpr_private_segment_size 0
		.amdhsa_wavefront_size32 1
		.amdhsa_uses_dynamic_stack 0
		.amdhsa_enable_private_segment 0
		.amdhsa_system_sgpr_workgroup_id_x 1
		.amdhsa_system_sgpr_workgroup_id_y 0
		.amdhsa_system_sgpr_workgroup_id_z 0
		.amdhsa_system_sgpr_workgroup_info 0
		.amdhsa_system_vgpr_workitem_id 0
		.amdhsa_next_free_vgpr 1
		.amdhsa_next_free_sgpr 1
		.amdhsa_reserve_vcc 0
		.amdhsa_float_round_mode_32 0
		.amdhsa_float_round_mode_16_64 0
		.amdhsa_float_denorm_mode_32 3
		.amdhsa_float_denorm_mode_16_64 3
		.amdhsa_fp16_overflow 0
		.amdhsa_workgroup_processor_mode 1
		.amdhsa_memory_ordered 1
		.amdhsa_forward_progress 1
		.amdhsa_inst_pref_size 0
		.amdhsa_round_robin_scheduling 0
		.amdhsa_exception_fp_ieee_invalid_op 0
		.amdhsa_exception_fp_denorm_src 0
		.amdhsa_exception_fp_ieee_div_zero 0
		.amdhsa_exception_fp_ieee_overflow 0
		.amdhsa_exception_fp_ieee_underflow 0
		.amdhsa_exception_fp_ieee_inexact 0
		.amdhsa_exception_int_div_zero 0
	.end_amdhsa_kernel
	.section	.text._ZN7rocprim17ROCPRIM_400000_NS6detail17trampoline_kernelINS0_14default_configENS1_36segmented_radix_sort_config_selectorIhlEEZNS1_25segmented_radix_sort_implIS3_Lb0EPKhPhPKlPlN2at6native12_GLOBAL__N_18offset_tEEE10hipError_tPvRmT1_PNSt15iterator_traitsISK_E10value_typeET2_T3_PNSL_ISQ_E10value_typeET4_jRbjT5_SW_jjP12ihipStream_tbEUlT_E1_NS1_11comp_targetILNS1_3genE3ELNS1_11target_archE908ELNS1_3gpuE7ELNS1_3repE0EEENS1_59segmented_radix_sort_warp_sort_small_config_static_selectorELNS0_4arch9wavefront6targetE0EEEvSK_,"axG",@progbits,_ZN7rocprim17ROCPRIM_400000_NS6detail17trampoline_kernelINS0_14default_configENS1_36segmented_radix_sort_config_selectorIhlEEZNS1_25segmented_radix_sort_implIS3_Lb0EPKhPhPKlPlN2at6native12_GLOBAL__N_18offset_tEEE10hipError_tPvRmT1_PNSt15iterator_traitsISK_E10value_typeET2_T3_PNSL_ISQ_E10value_typeET4_jRbjT5_SW_jjP12ihipStream_tbEUlT_E1_NS1_11comp_targetILNS1_3genE3ELNS1_11target_archE908ELNS1_3gpuE7ELNS1_3repE0EEENS1_59segmented_radix_sort_warp_sort_small_config_static_selectorELNS0_4arch9wavefront6targetE0EEEvSK_,comdat
.Lfunc_end209:
	.size	_ZN7rocprim17ROCPRIM_400000_NS6detail17trampoline_kernelINS0_14default_configENS1_36segmented_radix_sort_config_selectorIhlEEZNS1_25segmented_radix_sort_implIS3_Lb0EPKhPhPKlPlN2at6native12_GLOBAL__N_18offset_tEEE10hipError_tPvRmT1_PNSt15iterator_traitsISK_E10value_typeET2_T3_PNSL_ISQ_E10value_typeET4_jRbjT5_SW_jjP12ihipStream_tbEUlT_E1_NS1_11comp_targetILNS1_3genE3ELNS1_11target_archE908ELNS1_3gpuE7ELNS1_3repE0EEENS1_59segmented_radix_sort_warp_sort_small_config_static_selectorELNS0_4arch9wavefront6targetE0EEEvSK_, .Lfunc_end209-_ZN7rocprim17ROCPRIM_400000_NS6detail17trampoline_kernelINS0_14default_configENS1_36segmented_radix_sort_config_selectorIhlEEZNS1_25segmented_radix_sort_implIS3_Lb0EPKhPhPKlPlN2at6native12_GLOBAL__N_18offset_tEEE10hipError_tPvRmT1_PNSt15iterator_traitsISK_E10value_typeET2_T3_PNSL_ISQ_E10value_typeET4_jRbjT5_SW_jjP12ihipStream_tbEUlT_E1_NS1_11comp_targetILNS1_3genE3ELNS1_11target_archE908ELNS1_3gpuE7ELNS1_3repE0EEENS1_59segmented_radix_sort_warp_sort_small_config_static_selectorELNS0_4arch9wavefront6targetE0EEEvSK_
                                        ; -- End function
	.set _ZN7rocprim17ROCPRIM_400000_NS6detail17trampoline_kernelINS0_14default_configENS1_36segmented_radix_sort_config_selectorIhlEEZNS1_25segmented_radix_sort_implIS3_Lb0EPKhPhPKlPlN2at6native12_GLOBAL__N_18offset_tEEE10hipError_tPvRmT1_PNSt15iterator_traitsISK_E10value_typeET2_T3_PNSL_ISQ_E10value_typeET4_jRbjT5_SW_jjP12ihipStream_tbEUlT_E1_NS1_11comp_targetILNS1_3genE3ELNS1_11target_archE908ELNS1_3gpuE7ELNS1_3repE0EEENS1_59segmented_radix_sort_warp_sort_small_config_static_selectorELNS0_4arch9wavefront6targetE0EEEvSK_.num_vgpr, 0
	.set _ZN7rocprim17ROCPRIM_400000_NS6detail17trampoline_kernelINS0_14default_configENS1_36segmented_radix_sort_config_selectorIhlEEZNS1_25segmented_radix_sort_implIS3_Lb0EPKhPhPKlPlN2at6native12_GLOBAL__N_18offset_tEEE10hipError_tPvRmT1_PNSt15iterator_traitsISK_E10value_typeET2_T3_PNSL_ISQ_E10value_typeET4_jRbjT5_SW_jjP12ihipStream_tbEUlT_E1_NS1_11comp_targetILNS1_3genE3ELNS1_11target_archE908ELNS1_3gpuE7ELNS1_3repE0EEENS1_59segmented_radix_sort_warp_sort_small_config_static_selectorELNS0_4arch9wavefront6targetE0EEEvSK_.num_agpr, 0
	.set _ZN7rocprim17ROCPRIM_400000_NS6detail17trampoline_kernelINS0_14default_configENS1_36segmented_radix_sort_config_selectorIhlEEZNS1_25segmented_radix_sort_implIS3_Lb0EPKhPhPKlPlN2at6native12_GLOBAL__N_18offset_tEEE10hipError_tPvRmT1_PNSt15iterator_traitsISK_E10value_typeET2_T3_PNSL_ISQ_E10value_typeET4_jRbjT5_SW_jjP12ihipStream_tbEUlT_E1_NS1_11comp_targetILNS1_3genE3ELNS1_11target_archE908ELNS1_3gpuE7ELNS1_3repE0EEENS1_59segmented_radix_sort_warp_sort_small_config_static_selectorELNS0_4arch9wavefront6targetE0EEEvSK_.numbered_sgpr, 0
	.set _ZN7rocprim17ROCPRIM_400000_NS6detail17trampoline_kernelINS0_14default_configENS1_36segmented_radix_sort_config_selectorIhlEEZNS1_25segmented_radix_sort_implIS3_Lb0EPKhPhPKlPlN2at6native12_GLOBAL__N_18offset_tEEE10hipError_tPvRmT1_PNSt15iterator_traitsISK_E10value_typeET2_T3_PNSL_ISQ_E10value_typeET4_jRbjT5_SW_jjP12ihipStream_tbEUlT_E1_NS1_11comp_targetILNS1_3genE3ELNS1_11target_archE908ELNS1_3gpuE7ELNS1_3repE0EEENS1_59segmented_radix_sort_warp_sort_small_config_static_selectorELNS0_4arch9wavefront6targetE0EEEvSK_.num_named_barrier, 0
	.set _ZN7rocprim17ROCPRIM_400000_NS6detail17trampoline_kernelINS0_14default_configENS1_36segmented_radix_sort_config_selectorIhlEEZNS1_25segmented_radix_sort_implIS3_Lb0EPKhPhPKlPlN2at6native12_GLOBAL__N_18offset_tEEE10hipError_tPvRmT1_PNSt15iterator_traitsISK_E10value_typeET2_T3_PNSL_ISQ_E10value_typeET4_jRbjT5_SW_jjP12ihipStream_tbEUlT_E1_NS1_11comp_targetILNS1_3genE3ELNS1_11target_archE908ELNS1_3gpuE7ELNS1_3repE0EEENS1_59segmented_radix_sort_warp_sort_small_config_static_selectorELNS0_4arch9wavefront6targetE0EEEvSK_.private_seg_size, 0
	.set _ZN7rocprim17ROCPRIM_400000_NS6detail17trampoline_kernelINS0_14default_configENS1_36segmented_radix_sort_config_selectorIhlEEZNS1_25segmented_radix_sort_implIS3_Lb0EPKhPhPKlPlN2at6native12_GLOBAL__N_18offset_tEEE10hipError_tPvRmT1_PNSt15iterator_traitsISK_E10value_typeET2_T3_PNSL_ISQ_E10value_typeET4_jRbjT5_SW_jjP12ihipStream_tbEUlT_E1_NS1_11comp_targetILNS1_3genE3ELNS1_11target_archE908ELNS1_3gpuE7ELNS1_3repE0EEENS1_59segmented_radix_sort_warp_sort_small_config_static_selectorELNS0_4arch9wavefront6targetE0EEEvSK_.uses_vcc, 0
	.set _ZN7rocprim17ROCPRIM_400000_NS6detail17trampoline_kernelINS0_14default_configENS1_36segmented_radix_sort_config_selectorIhlEEZNS1_25segmented_radix_sort_implIS3_Lb0EPKhPhPKlPlN2at6native12_GLOBAL__N_18offset_tEEE10hipError_tPvRmT1_PNSt15iterator_traitsISK_E10value_typeET2_T3_PNSL_ISQ_E10value_typeET4_jRbjT5_SW_jjP12ihipStream_tbEUlT_E1_NS1_11comp_targetILNS1_3genE3ELNS1_11target_archE908ELNS1_3gpuE7ELNS1_3repE0EEENS1_59segmented_radix_sort_warp_sort_small_config_static_selectorELNS0_4arch9wavefront6targetE0EEEvSK_.uses_flat_scratch, 0
	.set _ZN7rocprim17ROCPRIM_400000_NS6detail17trampoline_kernelINS0_14default_configENS1_36segmented_radix_sort_config_selectorIhlEEZNS1_25segmented_radix_sort_implIS3_Lb0EPKhPhPKlPlN2at6native12_GLOBAL__N_18offset_tEEE10hipError_tPvRmT1_PNSt15iterator_traitsISK_E10value_typeET2_T3_PNSL_ISQ_E10value_typeET4_jRbjT5_SW_jjP12ihipStream_tbEUlT_E1_NS1_11comp_targetILNS1_3genE3ELNS1_11target_archE908ELNS1_3gpuE7ELNS1_3repE0EEENS1_59segmented_radix_sort_warp_sort_small_config_static_selectorELNS0_4arch9wavefront6targetE0EEEvSK_.has_dyn_sized_stack, 0
	.set _ZN7rocprim17ROCPRIM_400000_NS6detail17trampoline_kernelINS0_14default_configENS1_36segmented_radix_sort_config_selectorIhlEEZNS1_25segmented_radix_sort_implIS3_Lb0EPKhPhPKlPlN2at6native12_GLOBAL__N_18offset_tEEE10hipError_tPvRmT1_PNSt15iterator_traitsISK_E10value_typeET2_T3_PNSL_ISQ_E10value_typeET4_jRbjT5_SW_jjP12ihipStream_tbEUlT_E1_NS1_11comp_targetILNS1_3genE3ELNS1_11target_archE908ELNS1_3gpuE7ELNS1_3repE0EEENS1_59segmented_radix_sort_warp_sort_small_config_static_selectorELNS0_4arch9wavefront6targetE0EEEvSK_.has_recursion, 0
	.set _ZN7rocprim17ROCPRIM_400000_NS6detail17trampoline_kernelINS0_14default_configENS1_36segmented_radix_sort_config_selectorIhlEEZNS1_25segmented_radix_sort_implIS3_Lb0EPKhPhPKlPlN2at6native12_GLOBAL__N_18offset_tEEE10hipError_tPvRmT1_PNSt15iterator_traitsISK_E10value_typeET2_T3_PNSL_ISQ_E10value_typeET4_jRbjT5_SW_jjP12ihipStream_tbEUlT_E1_NS1_11comp_targetILNS1_3genE3ELNS1_11target_archE908ELNS1_3gpuE7ELNS1_3repE0EEENS1_59segmented_radix_sort_warp_sort_small_config_static_selectorELNS0_4arch9wavefront6targetE0EEEvSK_.has_indirect_call, 0
	.section	.AMDGPU.csdata,"",@progbits
; Kernel info:
; codeLenInByte = 0
; TotalNumSgprs: 0
; NumVgprs: 0
; ScratchSize: 0
; MemoryBound: 0
; FloatMode: 240
; IeeeMode: 1
; LDSByteSize: 0 bytes/workgroup (compile time only)
; SGPRBlocks: 0
; VGPRBlocks: 0
; NumSGPRsForWavesPerEU: 1
; NumVGPRsForWavesPerEU: 1
; Occupancy: 16
; WaveLimiterHint : 0
; COMPUTE_PGM_RSRC2:SCRATCH_EN: 0
; COMPUTE_PGM_RSRC2:USER_SGPR: 2
; COMPUTE_PGM_RSRC2:TRAP_HANDLER: 0
; COMPUTE_PGM_RSRC2:TGID_X_EN: 1
; COMPUTE_PGM_RSRC2:TGID_Y_EN: 0
; COMPUTE_PGM_RSRC2:TGID_Z_EN: 0
; COMPUTE_PGM_RSRC2:TIDIG_COMP_CNT: 0
	.section	.text._ZN7rocprim17ROCPRIM_400000_NS6detail17trampoline_kernelINS0_14default_configENS1_36segmented_radix_sort_config_selectorIhlEEZNS1_25segmented_radix_sort_implIS3_Lb0EPKhPhPKlPlN2at6native12_GLOBAL__N_18offset_tEEE10hipError_tPvRmT1_PNSt15iterator_traitsISK_E10value_typeET2_T3_PNSL_ISQ_E10value_typeET4_jRbjT5_SW_jjP12ihipStream_tbEUlT_E1_NS1_11comp_targetILNS1_3genE2ELNS1_11target_archE906ELNS1_3gpuE6ELNS1_3repE0EEENS1_59segmented_radix_sort_warp_sort_small_config_static_selectorELNS0_4arch9wavefront6targetE0EEEvSK_,"axG",@progbits,_ZN7rocprim17ROCPRIM_400000_NS6detail17trampoline_kernelINS0_14default_configENS1_36segmented_radix_sort_config_selectorIhlEEZNS1_25segmented_radix_sort_implIS3_Lb0EPKhPhPKlPlN2at6native12_GLOBAL__N_18offset_tEEE10hipError_tPvRmT1_PNSt15iterator_traitsISK_E10value_typeET2_T3_PNSL_ISQ_E10value_typeET4_jRbjT5_SW_jjP12ihipStream_tbEUlT_E1_NS1_11comp_targetILNS1_3genE2ELNS1_11target_archE906ELNS1_3gpuE6ELNS1_3repE0EEENS1_59segmented_radix_sort_warp_sort_small_config_static_selectorELNS0_4arch9wavefront6targetE0EEEvSK_,comdat
	.globl	_ZN7rocprim17ROCPRIM_400000_NS6detail17trampoline_kernelINS0_14default_configENS1_36segmented_radix_sort_config_selectorIhlEEZNS1_25segmented_radix_sort_implIS3_Lb0EPKhPhPKlPlN2at6native12_GLOBAL__N_18offset_tEEE10hipError_tPvRmT1_PNSt15iterator_traitsISK_E10value_typeET2_T3_PNSL_ISQ_E10value_typeET4_jRbjT5_SW_jjP12ihipStream_tbEUlT_E1_NS1_11comp_targetILNS1_3genE2ELNS1_11target_archE906ELNS1_3gpuE6ELNS1_3repE0EEENS1_59segmented_radix_sort_warp_sort_small_config_static_selectorELNS0_4arch9wavefront6targetE0EEEvSK_ ; -- Begin function _ZN7rocprim17ROCPRIM_400000_NS6detail17trampoline_kernelINS0_14default_configENS1_36segmented_radix_sort_config_selectorIhlEEZNS1_25segmented_radix_sort_implIS3_Lb0EPKhPhPKlPlN2at6native12_GLOBAL__N_18offset_tEEE10hipError_tPvRmT1_PNSt15iterator_traitsISK_E10value_typeET2_T3_PNSL_ISQ_E10value_typeET4_jRbjT5_SW_jjP12ihipStream_tbEUlT_E1_NS1_11comp_targetILNS1_3genE2ELNS1_11target_archE906ELNS1_3gpuE6ELNS1_3repE0EEENS1_59segmented_radix_sort_warp_sort_small_config_static_selectorELNS0_4arch9wavefront6targetE0EEEvSK_
	.p2align	8
	.type	_ZN7rocprim17ROCPRIM_400000_NS6detail17trampoline_kernelINS0_14default_configENS1_36segmented_radix_sort_config_selectorIhlEEZNS1_25segmented_radix_sort_implIS3_Lb0EPKhPhPKlPlN2at6native12_GLOBAL__N_18offset_tEEE10hipError_tPvRmT1_PNSt15iterator_traitsISK_E10value_typeET2_T3_PNSL_ISQ_E10value_typeET4_jRbjT5_SW_jjP12ihipStream_tbEUlT_E1_NS1_11comp_targetILNS1_3genE2ELNS1_11target_archE906ELNS1_3gpuE6ELNS1_3repE0EEENS1_59segmented_radix_sort_warp_sort_small_config_static_selectorELNS0_4arch9wavefront6targetE0EEEvSK_,@function
_ZN7rocprim17ROCPRIM_400000_NS6detail17trampoline_kernelINS0_14default_configENS1_36segmented_radix_sort_config_selectorIhlEEZNS1_25segmented_radix_sort_implIS3_Lb0EPKhPhPKlPlN2at6native12_GLOBAL__N_18offset_tEEE10hipError_tPvRmT1_PNSt15iterator_traitsISK_E10value_typeET2_T3_PNSL_ISQ_E10value_typeET4_jRbjT5_SW_jjP12ihipStream_tbEUlT_E1_NS1_11comp_targetILNS1_3genE2ELNS1_11target_archE906ELNS1_3gpuE6ELNS1_3repE0EEENS1_59segmented_radix_sort_warp_sort_small_config_static_selectorELNS0_4arch9wavefront6targetE0EEEvSK_: ; @_ZN7rocprim17ROCPRIM_400000_NS6detail17trampoline_kernelINS0_14default_configENS1_36segmented_radix_sort_config_selectorIhlEEZNS1_25segmented_radix_sort_implIS3_Lb0EPKhPhPKlPlN2at6native12_GLOBAL__N_18offset_tEEE10hipError_tPvRmT1_PNSt15iterator_traitsISK_E10value_typeET2_T3_PNSL_ISQ_E10value_typeET4_jRbjT5_SW_jjP12ihipStream_tbEUlT_E1_NS1_11comp_targetILNS1_3genE2ELNS1_11target_archE906ELNS1_3gpuE6ELNS1_3repE0EEENS1_59segmented_radix_sort_warp_sort_small_config_static_selectorELNS0_4arch9wavefront6targetE0EEEvSK_
; %bb.0:
	.section	.rodata,"a",@progbits
	.p2align	6, 0x0
	.amdhsa_kernel _ZN7rocprim17ROCPRIM_400000_NS6detail17trampoline_kernelINS0_14default_configENS1_36segmented_radix_sort_config_selectorIhlEEZNS1_25segmented_radix_sort_implIS3_Lb0EPKhPhPKlPlN2at6native12_GLOBAL__N_18offset_tEEE10hipError_tPvRmT1_PNSt15iterator_traitsISK_E10value_typeET2_T3_PNSL_ISQ_E10value_typeET4_jRbjT5_SW_jjP12ihipStream_tbEUlT_E1_NS1_11comp_targetILNS1_3genE2ELNS1_11target_archE906ELNS1_3gpuE6ELNS1_3repE0EEENS1_59segmented_radix_sort_warp_sort_small_config_static_selectorELNS0_4arch9wavefront6targetE0EEEvSK_
		.amdhsa_group_segment_fixed_size 0
		.amdhsa_private_segment_fixed_size 0
		.amdhsa_kernarg_size 88
		.amdhsa_user_sgpr_count 2
		.amdhsa_user_sgpr_dispatch_ptr 0
		.amdhsa_user_sgpr_queue_ptr 0
		.amdhsa_user_sgpr_kernarg_segment_ptr 1
		.amdhsa_user_sgpr_dispatch_id 0
		.amdhsa_user_sgpr_private_segment_size 0
		.amdhsa_wavefront_size32 1
		.amdhsa_uses_dynamic_stack 0
		.amdhsa_enable_private_segment 0
		.amdhsa_system_sgpr_workgroup_id_x 1
		.amdhsa_system_sgpr_workgroup_id_y 0
		.amdhsa_system_sgpr_workgroup_id_z 0
		.amdhsa_system_sgpr_workgroup_info 0
		.amdhsa_system_vgpr_workitem_id 0
		.amdhsa_next_free_vgpr 1
		.amdhsa_next_free_sgpr 1
		.amdhsa_reserve_vcc 0
		.amdhsa_float_round_mode_32 0
		.amdhsa_float_round_mode_16_64 0
		.amdhsa_float_denorm_mode_32 3
		.amdhsa_float_denorm_mode_16_64 3
		.amdhsa_fp16_overflow 0
		.amdhsa_workgroup_processor_mode 1
		.amdhsa_memory_ordered 1
		.amdhsa_forward_progress 1
		.amdhsa_inst_pref_size 0
		.amdhsa_round_robin_scheduling 0
		.amdhsa_exception_fp_ieee_invalid_op 0
		.amdhsa_exception_fp_denorm_src 0
		.amdhsa_exception_fp_ieee_div_zero 0
		.amdhsa_exception_fp_ieee_overflow 0
		.amdhsa_exception_fp_ieee_underflow 0
		.amdhsa_exception_fp_ieee_inexact 0
		.amdhsa_exception_int_div_zero 0
	.end_amdhsa_kernel
	.section	.text._ZN7rocprim17ROCPRIM_400000_NS6detail17trampoline_kernelINS0_14default_configENS1_36segmented_radix_sort_config_selectorIhlEEZNS1_25segmented_radix_sort_implIS3_Lb0EPKhPhPKlPlN2at6native12_GLOBAL__N_18offset_tEEE10hipError_tPvRmT1_PNSt15iterator_traitsISK_E10value_typeET2_T3_PNSL_ISQ_E10value_typeET4_jRbjT5_SW_jjP12ihipStream_tbEUlT_E1_NS1_11comp_targetILNS1_3genE2ELNS1_11target_archE906ELNS1_3gpuE6ELNS1_3repE0EEENS1_59segmented_radix_sort_warp_sort_small_config_static_selectorELNS0_4arch9wavefront6targetE0EEEvSK_,"axG",@progbits,_ZN7rocprim17ROCPRIM_400000_NS6detail17trampoline_kernelINS0_14default_configENS1_36segmented_radix_sort_config_selectorIhlEEZNS1_25segmented_radix_sort_implIS3_Lb0EPKhPhPKlPlN2at6native12_GLOBAL__N_18offset_tEEE10hipError_tPvRmT1_PNSt15iterator_traitsISK_E10value_typeET2_T3_PNSL_ISQ_E10value_typeET4_jRbjT5_SW_jjP12ihipStream_tbEUlT_E1_NS1_11comp_targetILNS1_3genE2ELNS1_11target_archE906ELNS1_3gpuE6ELNS1_3repE0EEENS1_59segmented_radix_sort_warp_sort_small_config_static_selectorELNS0_4arch9wavefront6targetE0EEEvSK_,comdat
.Lfunc_end210:
	.size	_ZN7rocprim17ROCPRIM_400000_NS6detail17trampoline_kernelINS0_14default_configENS1_36segmented_radix_sort_config_selectorIhlEEZNS1_25segmented_radix_sort_implIS3_Lb0EPKhPhPKlPlN2at6native12_GLOBAL__N_18offset_tEEE10hipError_tPvRmT1_PNSt15iterator_traitsISK_E10value_typeET2_T3_PNSL_ISQ_E10value_typeET4_jRbjT5_SW_jjP12ihipStream_tbEUlT_E1_NS1_11comp_targetILNS1_3genE2ELNS1_11target_archE906ELNS1_3gpuE6ELNS1_3repE0EEENS1_59segmented_radix_sort_warp_sort_small_config_static_selectorELNS0_4arch9wavefront6targetE0EEEvSK_, .Lfunc_end210-_ZN7rocprim17ROCPRIM_400000_NS6detail17trampoline_kernelINS0_14default_configENS1_36segmented_radix_sort_config_selectorIhlEEZNS1_25segmented_radix_sort_implIS3_Lb0EPKhPhPKlPlN2at6native12_GLOBAL__N_18offset_tEEE10hipError_tPvRmT1_PNSt15iterator_traitsISK_E10value_typeET2_T3_PNSL_ISQ_E10value_typeET4_jRbjT5_SW_jjP12ihipStream_tbEUlT_E1_NS1_11comp_targetILNS1_3genE2ELNS1_11target_archE906ELNS1_3gpuE6ELNS1_3repE0EEENS1_59segmented_radix_sort_warp_sort_small_config_static_selectorELNS0_4arch9wavefront6targetE0EEEvSK_
                                        ; -- End function
	.set _ZN7rocprim17ROCPRIM_400000_NS6detail17trampoline_kernelINS0_14default_configENS1_36segmented_radix_sort_config_selectorIhlEEZNS1_25segmented_radix_sort_implIS3_Lb0EPKhPhPKlPlN2at6native12_GLOBAL__N_18offset_tEEE10hipError_tPvRmT1_PNSt15iterator_traitsISK_E10value_typeET2_T3_PNSL_ISQ_E10value_typeET4_jRbjT5_SW_jjP12ihipStream_tbEUlT_E1_NS1_11comp_targetILNS1_3genE2ELNS1_11target_archE906ELNS1_3gpuE6ELNS1_3repE0EEENS1_59segmented_radix_sort_warp_sort_small_config_static_selectorELNS0_4arch9wavefront6targetE0EEEvSK_.num_vgpr, 0
	.set _ZN7rocprim17ROCPRIM_400000_NS6detail17trampoline_kernelINS0_14default_configENS1_36segmented_radix_sort_config_selectorIhlEEZNS1_25segmented_radix_sort_implIS3_Lb0EPKhPhPKlPlN2at6native12_GLOBAL__N_18offset_tEEE10hipError_tPvRmT1_PNSt15iterator_traitsISK_E10value_typeET2_T3_PNSL_ISQ_E10value_typeET4_jRbjT5_SW_jjP12ihipStream_tbEUlT_E1_NS1_11comp_targetILNS1_3genE2ELNS1_11target_archE906ELNS1_3gpuE6ELNS1_3repE0EEENS1_59segmented_radix_sort_warp_sort_small_config_static_selectorELNS0_4arch9wavefront6targetE0EEEvSK_.num_agpr, 0
	.set _ZN7rocprim17ROCPRIM_400000_NS6detail17trampoline_kernelINS0_14default_configENS1_36segmented_radix_sort_config_selectorIhlEEZNS1_25segmented_radix_sort_implIS3_Lb0EPKhPhPKlPlN2at6native12_GLOBAL__N_18offset_tEEE10hipError_tPvRmT1_PNSt15iterator_traitsISK_E10value_typeET2_T3_PNSL_ISQ_E10value_typeET4_jRbjT5_SW_jjP12ihipStream_tbEUlT_E1_NS1_11comp_targetILNS1_3genE2ELNS1_11target_archE906ELNS1_3gpuE6ELNS1_3repE0EEENS1_59segmented_radix_sort_warp_sort_small_config_static_selectorELNS0_4arch9wavefront6targetE0EEEvSK_.numbered_sgpr, 0
	.set _ZN7rocprim17ROCPRIM_400000_NS6detail17trampoline_kernelINS0_14default_configENS1_36segmented_radix_sort_config_selectorIhlEEZNS1_25segmented_radix_sort_implIS3_Lb0EPKhPhPKlPlN2at6native12_GLOBAL__N_18offset_tEEE10hipError_tPvRmT1_PNSt15iterator_traitsISK_E10value_typeET2_T3_PNSL_ISQ_E10value_typeET4_jRbjT5_SW_jjP12ihipStream_tbEUlT_E1_NS1_11comp_targetILNS1_3genE2ELNS1_11target_archE906ELNS1_3gpuE6ELNS1_3repE0EEENS1_59segmented_radix_sort_warp_sort_small_config_static_selectorELNS0_4arch9wavefront6targetE0EEEvSK_.num_named_barrier, 0
	.set _ZN7rocprim17ROCPRIM_400000_NS6detail17trampoline_kernelINS0_14default_configENS1_36segmented_radix_sort_config_selectorIhlEEZNS1_25segmented_radix_sort_implIS3_Lb0EPKhPhPKlPlN2at6native12_GLOBAL__N_18offset_tEEE10hipError_tPvRmT1_PNSt15iterator_traitsISK_E10value_typeET2_T3_PNSL_ISQ_E10value_typeET4_jRbjT5_SW_jjP12ihipStream_tbEUlT_E1_NS1_11comp_targetILNS1_3genE2ELNS1_11target_archE906ELNS1_3gpuE6ELNS1_3repE0EEENS1_59segmented_radix_sort_warp_sort_small_config_static_selectorELNS0_4arch9wavefront6targetE0EEEvSK_.private_seg_size, 0
	.set _ZN7rocprim17ROCPRIM_400000_NS6detail17trampoline_kernelINS0_14default_configENS1_36segmented_radix_sort_config_selectorIhlEEZNS1_25segmented_radix_sort_implIS3_Lb0EPKhPhPKlPlN2at6native12_GLOBAL__N_18offset_tEEE10hipError_tPvRmT1_PNSt15iterator_traitsISK_E10value_typeET2_T3_PNSL_ISQ_E10value_typeET4_jRbjT5_SW_jjP12ihipStream_tbEUlT_E1_NS1_11comp_targetILNS1_3genE2ELNS1_11target_archE906ELNS1_3gpuE6ELNS1_3repE0EEENS1_59segmented_radix_sort_warp_sort_small_config_static_selectorELNS0_4arch9wavefront6targetE0EEEvSK_.uses_vcc, 0
	.set _ZN7rocprim17ROCPRIM_400000_NS6detail17trampoline_kernelINS0_14default_configENS1_36segmented_radix_sort_config_selectorIhlEEZNS1_25segmented_radix_sort_implIS3_Lb0EPKhPhPKlPlN2at6native12_GLOBAL__N_18offset_tEEE10hipError_tPvRmT1_PNSt15iterator_traitsISK_E10value_typeET2_T3_PNSL_ISQ_E10value_typeET4_jRbjT5_SW_jjP12ihipStream_tbEUlT_E1_NS1_11comp_targetILNS1_3genE2ELNS1_11target_archE906ELNS1_3gpuE6ELNS1_3repE0EEENS1_59segmented_radix_sort_warp_sort_small_config_static_selectorELNS0_4arch9wavefront6targetE0EEEvSK_.uses_flat_scratch, 0
	.set _ZN7rocprim17ROCPRIM_400000_NS6detail17trampoline_kernelINS0_14default_configENS1_36segmented_radix_sort_config_selectorIhlEEZNS1_25segmented_radix_sort_implIS3_Lb0EPKhPhPKlPlN2at6native12_GLOBAL__N_18offset_tEEE10hipError_tPvRmT1_PNSt15iterator_traitsISK_E10value_typeET2_T3_PNSL_ISQ_E10value_typeET4_jRbjT5_SW_jjP12ihipStream_tbEUlT_E1_NS1_11comp_targetILNS1_3genE2ELNS1_11target_archE906ELNS1_3gpuE6ELNS1_3repE0EEENS1_59segmented_radix_sort_warp_sort_small_config_static_selectorELNS0_4arch9wavefront6targetE0EEEvSK_.has_dyn_sized_stack, 0
	.set _ZN7rocprim17ROCPRIM_400000_NS6detail17trampoline_kernelINS0_14default_configENS1_36segmented_radix_sort_config_selectorIhlEEZNS1_25segmented_radix_sort_implIS3_Lb0EPKhPhPKlPlN2at6native12_GLOBAL__N_18offset_tEEE10hipError_tPvRmT1_PNSt15iterator_traitsISK_E10value_typeET2_T3_PNSL_ISQ_E10value_typeET4_jRbjT5_SW_jjP12ihipStream_tbEUlT_E1_NS1_11comp_targetILNS1_3genE2ELNS1_11target_archE906ELNS1_3gpuE6ELNS1_3repE0EEENS1_59segmented_radix_sort_warp_sort_small_config_static_selectorELNS0_4arch9wavefront6targetE0EEEvSK_.has_recursion, 0
	.set _ZN7rocprim17ROCPRIM_400000_NS6detail17trampoline_kernelINS0_14default_configENS1_36segmented_radix_sort_config_selectorIhlEEZNS1_25segmented_radix_sort_implIS3_Lb0EPKhPhPKlPlN2at6native12_GLOBAL__N_18offset_tEEE10hipError_tPvRmT1_PNSt15iterator_traitsISK_E10value_typeET2_T3_PNSL_ISQ_E10value_typeET4_jRbjT5_SW_jjP12ihipStream_tbEUlT_E1_NS1_11comp_targetILNS1_3genE2ELNS1_11target_archE906ELNS1_3gpuE6ELNS1_3repE0EEENS1_59segmented_radix_sort_warp_sort_small_config_static_selectorELNS0_4arch9wavefront6targetE0EEEvSK_.has_indirect_call, 0
	.section	.AMDGPU.csdata,"",@progbits
; Kernel info:
; codeLenInByte = 0
; TotalNumSgprs: 0
; NumVgprs: 0
; ScratchSize: 0
; MemoryBound: 0
; FloatMode: 240
; IeeeMode: 1
; LDSByteSize: 0 bytes/workgroup (compile time only)
; SGPRBlocks: 0
; VGPRBlocks: 0
; NumSGPRsForWavesPerEU: 1
; NumVGPRsForWavesPerEU: 1
; Occupancy: 16
; WaveLimiterHint : 0
; COMPUTE_PGM_RSRC2:SCRATCH_EN: 0
; COMPUTE_PGM_RSRC2:USER_SGPR: 2
; COMPUTE_PGM_RSRC2:TRAP_HANDLER: 0
; COMPUTE_PGM_RSRC2:TGID_X_EN: 1
; COMPUTE_PGM_RSRC2:TGID_Y_EN: 0
; COMPUTE_PGM_RSRC2:TGID_Z_EN: 0
; COMPUTE_PGM_RSRC2:TIDIG_COMP_CNT: 0
	.text
	.p2align	2                               ; -- Begin function _ZN7rocprim17ROCPRIM_400000_NS6detail26segmented_warp_sort_helperINS1_20WarpSortHelperConfigILj8ELj4ELj256EEEhlLi256ELb0EvE4sortIPKhPhPKlPlEEvT_T0_T1_T2_jjjjRNS5_12storage_typeE
	.type	_ZN7rocprim17ROCPRIM_400000_NS6detail26segmented_warp_sort_helperINS1_20WarpSortHelperConfigILj8ELj4ELj256EEEhlLi256ELb0EvE4sortIPKhPhPKlPlEEvT_T0_T1_T2_jjjjRNS5_12storage_typeE,@function
_ZN7rocprim17ROCPRIM_400000_NS6detail26segmented_warp_sort_helperINS1_20WarpSortHelperConfigILj8ELj4ELj256EEEhlLi256ELb0EvE4sortIPKhPhPKlPlEEvT_T0_T1_T2_jjjjRNS5_12storage_typeE: ; @_ZN7rocprim17ROCPRIM_400000_NS6detail26segmented_warp_sort_helperINS1_20WarpSortHelperConfigILj8ELj4ELj256EEEhlLi256ELb0EvE4sortIPKhPhPKlPlEEvT_T0_T1_T2_jjjjRNS5_12storage_typeE
; %bb.0:
	s_wait_loadcnt_dscnt 0x0
	s_wait_expcnt 0x0
	s_wait_samplecnt 0x0
	s_wait_bvhcnt 0x0
	s_wait_kmcnt 0x0
	v_mbcnt_lo_u32_b32 v14, -1, 0
	v_add_co_u32 v0, vcc_lo, v0, v8
	s_wait_alu 0xfffd
	v_add_co_ci_u32_e64 v1, null, 0, v1, vcc_lo
	s_delay_alu instid0(VALU_DEP_3) | instskip(SKIP_2) | instid1(VALU_DEP_3)
	v_lshlrev_b32_e32 v24, 2, v14
	v_sub_nc_u32_e32 v14, v9, v8
	v_dual_mov_b32 v9, 0 :: v_dual_mov_b32 v28, 0xff
	v_dual_mov_b32 v27, 0xff :: v_dual_and_b32 v22, 28, v24
	v_dual_mov_b32 v25, 0xff :: v_dual_mov_b32 v26, 0xff
	s_delay_alu instid0(VALU_DEP_2)
	v_add_co_u32 v0, vcc_lo, v0, v22
	s_wait_alu 0xfffd
	v_add_co_ci_u32_e64 v1, null, 0, v1, vcc_lo
	v_cmp_lt_u32_e32 vcc_lo, v22, v14
	s_and_saveexec_b32 s0, vcc_lo
	s_cbranch_execz .LBB211_2
; %bb.1:
	flat_load_u8 v25, v[0:1]
	v_dual_mov_b32 v28, 0xff :: v_dual_mov_b32 v27, 0xff
	v_mov_b32_e32 v26, 0xff
.LBB211_2:
	s_wait_alu 0xfffe
	s_or_b32 exec_lo, exec_lo, s0
	v_or_b32_e32 v15, 1, v22
	s_delay_alu instid0(VALU_DEP_1)
	v_cmp_lt_u32_e64 s0, v15, v14
	s_and_saveexec_b32 s1, s0
	s_cbranch_execz .LBB211_4
; %bb.3:
	flat_load_u8 v26, v[0:1] offset:1
.LBB211_4:
	s_wait_alu 0xfffe
	s_or_b32 exec_lo, exec_lo, s1
	v_or_b32_e32 v15, 2, v22
	s_delay_alu instid0(VALU_DEP_1)
	v_cmp_lt_u32_e64 s1, v15, v14
	s_and_saveexec_b32 s2, s1
	s_cbranch_execz .LBB211_6
; %bb.5:
	flat_load_u8 v27, v[0:1] offset:2
.LBB211_6:
	;; [unrolled: 10-line block ×3, first 2 shown]
	s_wait_alu 0xfffe
	s_or_b32 exec_lo, exec_lo, s3
	v_lshlrev_b64_e32 v[0:1], 3, v[8:9]
	v_lshlrev_b32_e32 v23, 3, v22
	; wave barrier
	s_delay_alu instid0(VALU_DEP_2) | instskip(SKIP_1) | instid1(VALU_DEP_3)
	v_add_co_u32 v4, s3, v4, v0
	s_wait_alu 0xf1ff
	v_add_co_ci_u32_e64 v5, null, v5, v1, s3
	s_delay_alu instid0(VALU_DEP_2) | instskip(SKIP_1) | instid1(VALU_DEP_2)
	v_add_co_u32 v20, s3, v4, v23
	s_wait_alu 0xf1ff
	v_add_co_ci_u32_e64 v21, null, 0, v5, s3
                                        ; implicit-def: $vgpr4_vgpr5
	s_and_saveexec_b32 s3, vcc_lo
	s_cbranch_execnz .LBB211_107
; %bb.9:
	s_wait_alu 0xfffe
	s_or_b32 exec_lo, exec_lo, s3
                                        ; implicit-def: $vgpr14_vgpr15
	s_and_saveexec_b32 s3, s0
	s_cbranch_execnz .LBB211_108
.LBB211_10:
	s_wait_alu 0xfffe
	s_or_b32 exec_lo, exec_lo, s3
                                        ; implicit-def: $vgpr18_vgpr19
	s_and_saveexec_b32 s3, s1
	s_cbranch_execnz .LBB211_109
.LBB211_11:
	s_wait_alu 0xfffe
	s_or_b32 exec_lo, exec_lo, s3
                                        ; implicit-def: $vgpr16_vgpr17
	s_and_saveexec_b32 s3, s2
	s_cbranch_execz .LBB211_13
.LBB211_12:
	flat_load_b64 v[16:17], v[20:21] offset:24
.LBB211_13:
	s_wait_alu 0xfffe
	s_or_b32 exec_lo, exec_lo, s3
	v_cmp_ne_u32_e64 s3, 0, v10
	v_cmp_ne_u32_e64 s4, 8, v11
	v_bfe_u32 v20, v31, 10, 10
	v_bfe_u32 v21, v31, 20, 10
	v_and_b32_e32 v9, 0x3ff, v31
	s_mov_b32 s5, 0
	s_or_b32 s3, s3, s4
	; wave barrier
	s_wait_alu 0xfffe
	s_and_saveexec_b32 s4, s3
	s_wait_alu 0xfffe
	s_xor_b32 s11, exec_lo, s4
	s_cbranch_execz .LBB211_55
; %bb.14:
	s_load_b64 s[6:7], s[8:9], 0x0
	s_and_b32 s3, ttmp7, 0xffff
	v_lshlrev_b32_e64 v10, v10, -1
	s_wait_kmcnt 0x0
	s_wait_alu 0xfffe
	s_cmp_lt_u32 s3, s7
	s_cselect_b32 s4, 14, 20
	s_cmp_lt_u32 ttmp9, s6
	s_wait_alu 0xfffe
	s_add_nc_u64 s[12:13], s[8:9], s[4:5]
	s_cselect_b32 s4, 12, 18
	s_load_u16 s3, s[12:13], 0x0
	s_add_nc_u64 s[4:5], s[8:9], s[4:5]
	s_mov_b32 s6, exec_lo
	s_load_u16 s4, s[4:5], 0x0
	s_wait_kmcnt 0x0
	v_mad_u32_u24 v20, v21, s3, v20
	v_lshlrev_b32_e64 v21, v11, -1
	s_delay_alu instid0(VALU_DEP_2) | instskip(NEXT) | instid1(VALU_DEP_2)
	v_mul_lo_u32 v20, v20, s4
	v_xor_b32_e32 v29, v21, v10
	s_delay_alu instid0(VALU_DEP_2) | instskip(NEXT) | instid1(VALU_DEP_1)
	v_add_lshl_u32 v11, v20, v9, 2
	v_cmpx_gt_u32_e32 0x400, v11
	s_cbranch_execz .LBB211_24
; %bb.15:
	s_wait_loadcnt_dscnt 0x0
	v_perm_b32 v9, v27, v28, 0xc0c0004
	v_and_b32_e32 v20, v26, v29
	v_and_b32_e32 v21, v25, v29
	v_perm_b32 v10, v26, v25, 0xc0c0004
	v_perm_b32 v25, v25, v26, 0xc0c0004
	v_lshlrev_b32_e32 v9, 16, v9
	v_and_b32_e32 v20, 0xff, v20
	v_and_b32_e32 v21, 0xff, v21
	s_delay_alu instid0(VALU_DEP_3) | instskip(SKIP_1) | instid1(VALU_DEP_3)
	v_or_b32_e32 v10, v10, v9
	v_or_b32_e32 v9, v25, v9
	v_cmp_gt_u16_e64 s3, v21, v20
	s_wait_alu 0xf1ff
	s_delay_alu instid0(VALU_DEP_1) | instskip(SKIP_1) | instid1(VALU_DEP_2)
	v_cndmask_b32_e64 v25, v9, v10, s3
	v_dual_mov_b32 v9, v18 :: v_dual_mov_b32 v10, v19
	v_lshrrev_b32_e32 v26, 16, v25
	v_lshrrev_b32_e32 v21, 24, v25
	;; [unrolled: 1-line block ×3, first 2 shown]
	s_delay_alu instid0(VALU_DEP_3) | instskip(NEXT) | instid1(VALU_DEP_3)
	v_and_b32_e32 v20, v26, v29
	v_and_b32_e32 v30, v21, v29
	s_delay_alu instid0(VALU_DEP_2) | instskip(NEXT) | instid1(VALU_DEP_1)
	v_and_b32_e32 v28, 0xff, v20
	v_cmp_gt_u16_e64 s4, v28, v30
	v_mov_b32_e32 v28, v21
	s_and_saveexec_b32 s5, s4
; %bb.16:
	v_dual_mov_b32 v28, v26 :: v_dual_mov_b32 v9, v16
	v_mov_b32_e32 v10, v17
	v_dual_mov_b32 v16, v18 :: v_dual_mov_b32 v17, v19
	v_mov_b32_e32 v26, v21
	v_mov_b32_e32 v20, v30
; %bb.17:
	s_wait_alu 0xfffe
	s_or_b32 exec_lo, exec_lo, s5
	v_cndmask_b32_e64 v21, v15, v5, s3
	s_delay_alu instid0(VALU_DEP_2) | instskip(SKIP_2) | instid1(VALU_DEP_1)
	v_and_b32_e32 v18, 0xff, v20
	v_cndmask_b32_e64 v20, v14, v4, s3
	v_and_b32_e32 v30, v27, v29
	v_and_b32_e32 v19, 0xff, v30
	s_delay_alu instid0(VALU_DEP_1) | instskip(NEXT) | instid1(VALU_DEP_4)
	v_cmp_gt_u16_e64 s4, v19, v18
	v_dual_mov_b32 v18, v20 :: v_dual_mov_b32 v19, v21
	s_and_saveexec_b32 s5, s4
	s_wait_alu 0xfffe
	s_xor_b32 s4, exec_lo, s5
; %bb.18:
	v_dual_mov_b32 v31, v27 :: v_dual_and_b32 v30, v26, v29
	v_dual_mov_b32 v19, v10 :: v_dual_mov_b32 v18, v9
	v_dual_mov_b32 v9, v20 :: v_dual_mov_b32 v10, v21
	s_delay_alu instid0(VALU_DEP_3)
	v_dual_mov_b32 v27, v26 :: v_dual_mov_b32 v26, v31
; %bb.19:
	s_wait_alu 0xfffe
	s_or_b32 exec_lo, exec_lo, s4
	s_delay_alu instid0(VALU_DEP_1)
	v_perm_b32 v20, v26, v28, 0xc0c0004
	v_and_b32_e32 v26, v25, v29
	v_perm_b32 v21, v27, v25, 0xc0c0004
	v_perm_b32 v25, v25, v27, 0xc0c0004
	v_and_b32_e32 v27, 0xff, v30
	v_lshlrev_b32_e32 v20, 16, v20
	v_and_b32_e32 v26, 0xff, v26
	s_delay_alu instid0(VALU_DEP_2) | instskip(SKIP_1) | instid1(VALU_DEP_3)
	v_or_b32_e32 v21, v21, v20
	v_or_b32_e32 v20, v25, v20
	v_cmp_gt_u16_e64 s4, v26, v27
	s_wait_alu 0xf1ff
	s_delay_alu instid0(VALU_DEP_1) | instskip(SKIP_1) | instid1(VALU_DEP_2)
	v_cndmask_b32_e64 v25, v20, v21, s4
	v_dual_mov_b32 v21, v10 :: v_dual_mov_b32 v20, v9
	v_lshrrev_b32_e32 v27, 16, v25
	v_lshrrev_b32_e32 v31, 24, v25
	;; [unrolled: 1-line block ×3, first 2 shown]
	s_delay_alu instid0(VALU_DEP_3) | instskip(NEXT) | instid1(VALU_DEP_3)
	v_and_b32_e32 v30, v27, v29
	v_and_b32_e32 v32, v31, v29
	s_delay_alu instid0(VALU_DEP_2) | instskip(NEXT) | instid1(VALU_DEP_1)
	v_and_b32_e32 v28, 0xff, v30
	v_cmp_gt_u16_e64 s5, v28, v32
	v_mov_b32_e32 v28, v31
	s_and_saveexec_b32 s7, s5
; %bb.20:
	v_dual_mov_b32 v28, v27 :: v_dual_mov_b32 v21, v17
	v_dual_mov_b32 v20, v16 :: v_dual_mov_b32 v17, v10
	;; [unrolled: 1-line block ×3, first 2 shown]
	v_mov_b32_e32 v30, v32
; %bb.21:
	s_wait_alu 0xfffe
	s_or_b32 exec_lo, exec_lo, s7
	v_cndmask_b32_e64 v10, v5, v15, s3
	v_cndmask_b32_e64 v14, v4, v14, s3
	v_and_b32_e32 v9, v26, v29
	v_and_b32_e32 v30, 0xff, v30
	s_delay_alu instid0(VALU_DEP_4) | instskip(NEXT) | instid1(VALU_DEP_4)
	v_cndmask_b32_e64 v5, v10, v19, s4
	v_cndmask_b32_e64 v4, v14, v18, s4
	;; [unrolled: 1-line block ×4, first 2 shown]
	v_dual_mov_b32 v18, v20 :: v_dual_and_b32 v9, 0xff, v9
	v_mov_b32_e32 v19, v21
	s_mov_b32 s4, exec_lo
	s_delay_alu instid0(VALU_DEP_2)
	v_cmpx_gt_u16_e64 v9, v30
; %bb.22:
	v_mov_b32_e32 v19, v15
	v_dual_mov_b32 v9, v26 :: v_dual_mov_b32 v18, v14
	v_swap_b32 v26, v27
	v_dual_mov_b32 v14, v20 :: v_dual_mov_b32 v15, v21
; %bb.23:
	s_wait_alu 0xfffe
	s_or_b32 exec_lo, exec_lo, s4
.LBB211_24:
	s_delay_alu instid0(SALU_CYCLE_1)
	s_or_b32 exec_lo, exec_lo, s6
	v_and_b32_e32 v9, 0xffffff80, v11
	v_or_b32_e32 v10, 4, v24
	v_and_b32_e32 v33, 0x78, v24
	s_wait_loadcnt_dscnt 0x0
	v_perm_b32 v21, v25, v26, 0xc0c0004
	v_perm_b32 v30, v27, v28, 0xc0c0004
	v_sub_nc_u32_e64 v20, 0x400, v9 clamp
	v_add_co_u32 v11, s3, v12, v9
	s_wait_alu 0xf1ff
	v_add_co_ci_u32_e64 v12, null, 0, v13, s3
	s_delay_alu instid0(VALU_DEP_3) | instskip(SKIP_3) | instid1(VALU_DEP_3)
	v_min_u32_e32 v31, v20, v10
	v_and_b32_e32 v13, 4, v24
	v_lshl_or_b32 v21, v30, 16, v21
	s_mov_b32 s4, exec_lo
	v_add_nc_u32_e32 v10, 4, v31
	s_delay_alu instid0(VALU_DEP_3) | instskip(SKIP_1) | instid1(VALU_DEP_3)
	v_min_u32_e32 v34, v20, v13
	v_sub_nc_u32_e32 v36, v31, v33
	v_min_u32_e32 v32, v20, v10
	v_mad_co_u64_u32 v[9:10], null, v9, 7, v[11:12]
	v_add_co_u32 v10, null, v11, v24
	s_delay_alu instid0(VALU_DEP_3) | instskip(NEXT) | instid1(VALU_DEP_3)
	v_sub_nc_u32_e32 v13, v32, v31
	v_lshl_add_u32 v12, v24, 3, v9
	s_delay_alu instid0(VALU_DEP_2)
	v_sub_nc_u32_e64 v35, v34, v13 clamp
	v_min_u32_e32 v13, v34, v36
	ds_store_2addr_b64 v12, v[4:5], v[14:15] offset0:128 offset1:129
	ds_store_b64 v12, v[18:19] offset:1040
	ds_store_b32 v10, v21
	ds_store_b64 v12, v[16:17] offset:1048
	; wave barrier
	v_cmpx_lt_u32_e64 v35, v13
	s_cbranch_execz .LBB211_28
; %bb.25:
	v_add_co_u32 v21, null, v11, v33
	v_add_co_u32 v30, null, v11, v31
	s_mov_b32 s5, 0
.LBB211_26:                             ; =>This Inner Loop Header: Depth=1
	v_add_nc_u32_e32 v36, v13, v35
	s_delay_alu instid0(VALU_DEP_1) | instskip(NEXT) | instid1(VALU_DEP_1)
	v_lshrrev_b32_e32 v36, 1, v36
	v_not_b32_e32 v37, v36
	v_add_nc_u32_e32 v38, v21, v36
	v_add_nc_u32_e32 v39, 1, v36
	s_delay_alu instid0(VALU_DEP_3)
	v_add3_u32 v37, v34, v37, v30
	ds_load_u8 v38, v38
	ds_load_u8 v37, v37
	s_wait_dscnt 0x1
	v_and_b32_e32 v38, v38, v29
	s_wait_dscnt 0x0
	v_and_b32_e32 v37, v37, v29
	s_delay_alu instid0(VALU_DEP_2) | instskip(NEXT) | instid1(VALU_DEP_2)
	v_and_b32_e32 v38, 0xff, v38
	v_and_b32_e32 v37, 0xff, v37
	s_delay_alu instid0(VALU_DEP_1) | instskip(SKIP_1) | instid1(VALU_DEP_1)
	v_cmp_gt_u16_e64 s3, v38, v37
	s_wait_alu 0xf1ff
	v_cndmask_b32_e64 v13, v13, v36, s3
	v_cndmask_b32_e64 v35, v39, v35, s3
	s_delay_alu instid0(VALU_DEP_1)
	v_cmp_ge_u32_e64 s3, v35, v13
	s_wait_alu 0xfffe
	s_or_b32 s5, s3, s5
	s_wait_alu 0xfffe
	s_and_not1_b32 exec_lo, exec_lo, s5
	s_cbranch_execnz .LBB211_26
; %bb.27:
	s_or_b32 exec_lo, exec_lo, s5
.LBB211_28:
	s_wait_alu 0xfffe
	s_or_b32 exec_lo, exec_lo, s4
	v_add_nc_u32_e32 v36, v31, v34
	v_add_nc_u32_e32 v34, v35, v33
	;; [unrolled: 1-line block ×5, first 2 shown]
	v_sub_nc_u32_e32 v33, v36, v35
	v_cmp_le_u32_e64 s3, v34, v31
	v_add_nc_u32_e32 v12, 0x418, v12
	s_delay_alu instid0(VALU_DEP_3)
	v_cmp_le_u32_e64 s4, v33, v32
	s_or_b32 s3, s3, s4
	s_wait_alu 0xfffe
	s_and_saveexec_b32 s12, s3
	s_cbranch_execz .LBB211_34
; %bb.29:
	v_cmp_lt_u32_e64 s3, v34, v31
                                        ; implicit-def: $vgpr25
	s_and_saveexec_b32 s4, s3
; %bb.30:
	v_add_nc_u32_e32 v4, v11, v34
	ds_load_u8 v25, v4
; %bb.31:
	s_wait_alu 0xfffe
	s_or_b32 exec_lo, exec_lo, s4
	v_cmp_ge_u32_e64 s4, v33, v32
	s_mov_b32 s6, exec_lo
                                        ; implicit-def: $vgpr26
	v_cmpx_lt_u32_e64 v33, v32
; %bb.32:
	v_add_nc_u32_e32 v4, v11, v33
	ds_load_u8 v26, v4
; %bb.33:
	s_wait_alu 0xfffe
	s_or_b32 exec_lo, exec_lo, s6
	s_wait_dscnt 0x0
	v_and_b32_e32 v4, v26, v29
	v_and_b32_e32 v5, v25, v29
	s_delay_alu instid0(VALU_DEP_2) | instskip(NEXT) | instid1(VALU_DEP_2)
	v_and_b32_e32 v4, 0xff, v4
	v_and_b32_e32 v5, 0xff, v5
	s_delay_alu instid0(VALU_DEP_1)
	v_cmp_le_u16_e64 s5, v5, v4
	s_and_b32 s3, s3, s5
	s_wait_alu 0xfffe
	s_or_b32 s3, s4, s3
	s_wait_alu 0xfffe
	v_cndmask_b32_e64 v4, v33, v34, s3
	v_cndmask_b32_e64 v5, v32, v31, s3
	s_delay_alu instid0(VALU_DEP_2) | instskip(NEXT) | instid1(VALU_DEP_2)
	v_add_nc_u32_e32 v14, 1, v4
	v_add_nc_u32_e32 v5, -1, v5
	v_lshl_add_u32 v4, v4, 3, v9
	s_delay_alu instid0(VALU_DEP_3) | instskip(NEXT) | instid1(VALU_DEP_3)
	v_cndmask_b32_e64 v16, v34, v14, s3
	v_min_u32_e32 v5, v14, v5
	v_cndmask_b32_e64 v14, v14, v33, s3
	s_delay_alu instid0(VALU_DEP_3) | instskip(NEXT) | instid1(VALU_DEP_3)
	v_cmp_lt_u32_e64 s4, v16, v31
	v_add_nc_u32_e32 v5, v11, v5
	s_delay_alu instid0(VALU_DEP_3)
	v_cmp_ge_u32_e64 s6, v14, v32
	ds_load_u8 v5, v5
	s_wait_dscnt 0x0
	v_cndmask_b32_e64 v27, v5, v26, s3
	v_cndmask_b32_e64 v28, v25, v5, s3
	;; [unrolled: 1-line block ×3, first 2 shown]
	s_delay_alu instid0(VALU_DEP_3) | instskip(NEXT) | instid1(VALU_DEP_3)
	v_and_b32_e32 v5, v27, v29
	v_and_b32_e32 v15, v28, v29
	s_delay_alu instid0(VALU_DEP_2) | instskip(NEXT) | instid1(VALU_DEP_2)
	v_and_b32_e32 v5, 0xff, v5
	v_and_b32_e32 v15, 0xff, v15
	s_delay_alu instid0(VALU_DEP_1)
	v_cmp_le_u16_e64 s5, v15, v5
	s_and_b32 s4, s4, s5
	s_wait_alu 0xfffe
	s_or_b32 s4, s6, s4
	s_wait_alu 0xfffe
	v_cndmask_b32_e64 v5, v14, v16, s4
	v_cndmask_b32_e64 v15, v32, v31, s4
	v_cndmask_b32_e64 v26, v27, v28, s4
	s_delay_alu instid0(VALU_DEP_3) | instskip(NEXT) | instid1(VALU_DEP_3)
	v_add_nc_u32_e32 v17, 1, v5
	v_add_nc_u32_e32 v15, -1, v15
	s_delay_alu instid0(VALU_DEP_2) | instskip(NEXT) | instid1(VALU_DEP_2)
	v_cndmask_b32_e64 v16, v16, v17, s4
	v_min_u32_e32 v15, v17, v15
	v_cndmask_b32_e64 v14, v17, v14, s4
	s_delay_alu instid0(VALU_DEP_3) | instskip(NEXT) | instid1(VALU_DEP_3)
	v_cmp_lt_u32_e64 s5, v16, v31
	v_add_nc_u32_e32 v15, v11, v15
	s_delay_alu instid0(VALU_DEP_3) | instskip(SKIP_4) | instid1(VALU_DEP_2)
	v_cmp_ge_u32_e64 s7, v14, v32
	ds_load_u8 v15, v15
	s_wait_dscnt 0x0
	v_cndmask_b32_e64 v33, v15, v27, s4
	v_cndmask_b32_e64 v34, v28, v15, s4
	v_and_b32_e32 v15, v33, v29
	s_delay_alu instid0(VALU_DEP_2) | instskip(NEXT) | instid1(VALU_DEP_2)
	v_and_b32_e32 v18, v34, v29
	v_and_b32_e32 v15, 0xff, v15
	s_delay_alu instid0(VALU_DEP_2) | instskip(NEXT) | instid1(VALU_DEP_1)
	v_and_b32_e32 v18, 0xff, v18
	v_cmp_le_u16_e64 s6, v18, v15
	s_and_b32 s5, s5, s6
	s_wait_alu 0xfffe
	s_or_b32 s5, s7, s5
	s_wait_alu 0xfffe
	v_cndmask_b32_e64 v15, v14, v16, s5
	v_cndmask_b32_e64 v17, v32, v31, s5
	;; [unrolled: 1-line block ×3, first 2 shown]
	s_delay_alu instid0(VALU_DEP_3) | instskip(NEXT) | instid1(VALU_DEP_3)
	v_add_nc_u32_e32 v18, 1, v15
	v_add_nc_u32_e32 v17, -1, v17
	s_delay_alu instid0(VALU_DEP_2) | instskip(NEXT) | instid1(VALU_DEP_2)
	v_cndmask_b32_e64 v16, v16, v18, s5
	v_min_u32_e32 v17, v18, v17
	v_cndmask_b32_e64 v14, v18, v14, s5
	s_delay_alu instid0(VALU_DEP_3) | instskip(NEXT) | instid1(VALU_DEP_3)
	v_cmp_lt_u32_e64 s6, v16, v31
	v_add_nc_u32_e32 v17, v11, v17
	s_delay_alu instid0(VALU_DEP_3) | instskip(SKIP_4) | instid1(VALU_DEP_2)
	v_cmp_ge_u32_e64 s10, v14, v32
	ds_load_u8 v17, v17
	s_wait_dscnt 0x0
	v_cndmask_b32_e64 v35, v17, v33, s5
	v_cndmask_b32_e64 v36, v34, v17, s5
	v_and_b32_e32 v17, v35, v29
	s_delay_alu instid0(VALU_DEP_2) | instskip(NEXT) | instid1(VALU_DEP_2)
	v_and_b32_e32 v19, v36, v29
	v_and_b32_e32 v17, 0xff, v17
	s_delay_alu instid0(VALU_DEP_2) | instskip(NEXT) | instid1(VALU_DEP_1)
	v_and_b32_e32 v19, 0xff, v19
	v_cmp_le_u16_e64 s7, v19, v17
	v_lshl_add_u32 v17, v15, 3, v9
	s_and_b32 s6, s6, s7
	s_wait_alu 0xfffe
	s_or_b32 s6, s10, s6
	s_wait_alu 0xfffe
	v_cndmask_b32_e64 v14, v14, v16, s6
	v_lshl_add_u32 v16, v5, 3, v9
	v_cndmask_b32_e64 v28, v35, v36, s6
	s_delay_alu instid0(VALU_DEP_3)
	v_lshl_add_u32 v31, v14, 3, v9
	ds_load_b64 v[4:5], v4 offset:1024
	ds_load_b64 v[14:15], v16 offset:1024
	;; [unrolled: 1-line block ×4, first 2 shown]
.LBB211_34:
	s_wait_alu 0xfffe
	s_or_b32 exec_lo, exec_lo, s12
	v_and_b32_e32 v36, 0x70, v24
	v_and_b32_e32 v32, 12, v24
	s_mov_b32 s4, exec_lo
	; wave barrier
	s_delay_alu instid0(VALU_DEP_2) | instskip(NEXT) | instid1(VALU_DEP_2)
	v_or_b32_e32 v31, 8, v36
	v_min_u32_e32 v37, v20, v32
	ds_store_b8 v10, v25
	s_wait_dscnt 0x4
	ds_store_b64 v30, v[4:5]
	ds_store_b8 v10, v26 offset:1
	s_wait_dscnt 0x5
	ds_store_b64 v21, v[14:15]
	ds_store_b8 v10, v27 offset:2
	;; [unrolled: 3-line block ×3, first 2 shown]
	s_wait_dscnt 0x7
	ds_store_b64 v12, v[16:17]
	v_min_u32_e32 v34, v20, v31
	; wave barrier
	s_delay_alu instid0(VALU_DEP_1) | instskip(SKIP_1) | instid1(VALU_DEP_2)
	v_add_nc_u32_e32 v31, 8, v34
	v_sub_nc_u32_e32 v32, v34, v36
	v_min_u32_e32 v35, v20, v31
	s_delay_alu instid0(VALU_DEP_1) | instskip(NEXT) | instid1(VALU_DEP_1)
	v_sub_nc_u32_e32 v31, v35, v34
	v_sub_nc_u32_e64 v38, v37, v31 clamp
	s_delay_alu instid0(VALU_DEP_4) | instskip(NEXT) | instid1(VALU_DEP_1)
	v_min_u32_e32 v31, v37, v32
	v_cmpx_lt_u32_e64 v38, v31
	s_cbranch_execz .LBB211_38
; %bb.35:
	v_add_co_u32 v32, null, v11, v36
	v_add_co_u32 v33, null, v11, v34
	s_mov_b32 s5, 0
.LBB211_36:                             ; =>This Inner Loop Header: Depth=1
	v_add_nc_u32_e32 v39, v31, v38
	s_delay_alu instid0(VALU_DEP_1) | instskip(NEXT) | instid1(VALU_DEP_1)
	v_lshrrev_b32_e32 v39, 1, v39
	v_not_b32_e32 v48, v39
	v_add_nc_u32_e32 v49, v32, v39
	v_add_nc_u32_e32 v50, 1, v39
	s_delay_alu instid0(VALU_DEP_3)
	v_add3_u32 v48, v37, v48, v33
	ds_load_u8 v49, v49
	ds_load_u8 v48, v48
	s_wait_dscnt 0x1
	v_and_b32_e32 v49, v49, v29
	s_wait_dscnt 0x0
	v_and_b32_e32 v48, v48, v29
	s_delay_alu instid0(VALU_DEP_2) | instskip(NEXT) | instid1(VALU_DEP_2)
	v_and_b32_e32 v49, 0xff, v49
	v_and_b32_e32 v48, 0xff, v48
	s_delay_alu instid0(VALU_DEP_1) | instskip(SKIP_1) | instid1(VALU_DEP_1)
	v_cmp_gt_u16_e64 s3, v49, v48
	s_wait_alu 0xf1ff
	v_cndmask_b32_e64 v31, v31, v39, s3
	v_cndmask_b32_e64 v38, v50, v38, s3
	s_delay_alu instid0(VALU_DEP_1)
	v_cmp_ge_u32_e64 s3, v38, v31
	s_wait_alu 0xfffe
	s_or_b32 s5, s3, s5
	s_wait_alu 0xfffe
	s_and_not1_b32 exec_lo, exec_lo, s5
	s_cbranch_execnz .LBB211_36
; %bb.37:
	s_or_b32 exec_lo, exec_lo, s5
.LBB211_38:
	s_wait_alu 0xfffe
	s_or_b32 exec_lo, exec_lo, s4
	v_add_nc_u32_e32 v39, v34, v37
	v_add_nc_u32_e32 v37, v38, v36
	;; [unrolled: 1-line block ×5, first 2 shown]
	v_sub_nc_u32_e32 v36, v39, v38
	v_cmp_le_u32_e64 s3, v37, v34
	s_delay_alu instid0(VALU_DEP_2)
	v_cmp_le_u32_e64 s4, v36, v35
	s_or_b32 s3, s3, s4
	s_wait_alu 0xfffe
	s_and_saveexec_b32 s12, s3
	s_cbranch_execz .LBB211_44
; %bb.39:
	v_cmp_lt_u32_e64 s3, v37, v34
                                        ; implicit-def: $vgpr25
	s_and_saveexec_b32 s4, s3
; %bb.40:
	v_add_nc_u32_e32 v4, v11, v37
	ds_load_u8 v25, v4
; %bb.41:
	s_wait_alu 0xfffe
	s_or_b32 exec_lo, exec_lo, s4
	v_cmp_ge_u32_e64 s4, v36, v35
	s_mov_b32 s6, exec_lo
                                        ; implicit-def: $vgpr26
	v_cmpx_lt_u32_e64 v36, v35
; %bb.42:
	v_add_nc_u32_e32 v4, v11, v36
	ds_load_u8 v26, v4
; %bb.43:
	s_wait_alu 0xfffe
	s_or_b32 exec_lo, exec_lo, s6
	s_wait_dscnt 0x0
	v_and_b32_e32 v4, v26, v29
	v_and_b32_e32 v5, v25, v29
	s_delay_alu instid0(VALU_DEP_2) | instskip(NEXT) | instid1(VALU_DEP_2)
	v_and_b32_e32 v4, 0xff, v4
	v_and_b32_e32 v5, 0xff, v5
	s_delay_alu instid0(VALU_DEP_1)
	v_cmp_le_u16_e64 s5, v5, v4
	s_and_b32 s3, s3, s5
	s_wait_alu 0xfffe
	s_or_b32 s3, s4, s3
	s_wait_alu 0xfffe
	v_cndmask_b32_e64 v4, v36, v37, s3
	v_cndmask_b32_e64 v5, v35, v34, s3
	s_delay_alu instid0(VALU_DEP_2) | instskip(NEXT) | instid1(VALU_DEP_2)
	v_add_nc_u32_e32 v14, 1, v4
	v_add_nc_u32_e32 v5, -1, v5
	v_lshl_add_u32 v4, v4, 3, v9
	s_delay_alu instid0(VALU_DEP_3) | instskip(NEXT) | instid1(VALU_DEP_3)
	v_cndmask_b32_e64 v16, v37, v14, s3
	v_min_u32_e32 v5, v14, v5
	v_cndmask_b32_e64 v14, v14, v36, s3
	s_delay_alu instid0(VALU_DEP_3) | instskip(NEXT) | instid1(VALU_DEP_3)
	v_cmp_lt_u32_e64 s4, v16, v34
	v_add_nc_u32_e32 v5, v11, v5
	s_delay_alu instid0(VALU_DEP_3)
	v_cmp_ge_u32_e64 s6, v14, v35
	ds_load_u8 v5, v5
	s_wait_dscnt 0x0
	v_cndmask_b32_e64 v27, v5, v26, s3
	v_cndmask_b32_e64 v28, v25, v5, s3
	v_cndmask_b32_e64 v25, v26, v25, s3
	s_delay_alu instid0(VALU_DEP_3) | instskip(NEXT) | instid1(VALU_DEP_3)
	v_and_b32_e32 v5, v27, v29
	v_and_b32_e32 v15, v28, v29
	s_delay_alu instid0(VALU_DEP_2) | instskip(NEXT) | instid1(VALU_DEP_2)
	v_and_b32_e32 v5, 0xff, v5
	v_and_b32_e32 v15, 0xff, v15
	s_delay_alu instid0(VALU_DEP_1)
	v_cmp_le_u16_e64 s5, v15, v5
	s_and_b32 s4, s4, s5
	s_wait_alu 0xfffe
	s_or_b32 s4, s6, s4
	s_wait_alu 0xfffe
	v_cndmask_b32_e64 v5, v14, v16, s4
	v_cndmask_b32_e64 v15, v35, v34, s4
	;; [unrolled: 1-line block ×3, first 2 shown]
	s_delay_alu instid0(VALU_DEP_3) | instskip(NEXT) | instid1(VALU_DEP_3)
	v_add_nc_u32_e32 v17, 1, v5
	v_add_nc_u32_e32 v15, -1, v15
	s_delay_alu instid0(VALU_DEP_2) | instskip(NEXT) | instid1(VALU_DEP_2)
	v_cndmask_b32_e64 v16, v16, v17, s4
	v_min_u32_e32 v15, v17, v15
	v_cndmask_b32_e64 v14, v17, v14, s4
	s_delay_alu instid0(VALU_DEP_3) | instskip(NEXT) | instid1(VALU_DEP_3)
	v_cmp_lt_u32_e64 s5, v16, v34
	v_add_nc_u32_e32 v15, v11, v15
	s_delay_alu instid0(VALU_DEP_3) | instskip(SKIP_4) | instid1(VALU_DEP_2)
	v_cmp_ge_u32_e64 s7, v14, v35
	ds_load_u8 v15, v15
	s_wait_dscnt 0x0
	v_cndmask_b32_e64 v36, v15, v27, s4
	v_cndmask_b32_e64 v37, v28, v15, s4
	v_and_b32_e32 v15, v36, v29
	s_delay_alu instid0(VALU_DEP_2) | instskip(NEXT) | instid1(VALU_DEP_2)
	v_and_b32_e32 v18, v37, v29
	v_and_b32_e32 v15, 0xff, v15
	s_delay_alu instid0(VALU_DEP_2) | instskip(NEXT) | instid1(VALU_DEP_1)
	v_and_b32_e32 v18, 0xff, v18
	v_cmp_le_u16_e64 s6, v18, v15
	s_and_b32 s5, s5, s6
	s_wait_alu 0xfffe
	s_or_b32 s5, s7, s5
	s_wait_alu 0xfffe
	v_cndmask_b32_e64 v15, v14, v16, s5
	v_cndmask_b32_e64 v17, v35, v34, s5
	;; [unrolled: 1-line block ×3, first 2 shown]
	s_delay_alu instid0(VALU_DEP_3) | instskip(NEXT) | instid1(VALU_DEP_3)
	v_add_nc_u32_e32 v18, 1, v15
	v_add_nc_u32_e32 v17, -1, v17
	s_delay_alu instid0(VALU_DEP_2) | instskip(NEXT) | instid1(VALU_DEP_2)
	v_cndmask_b32_e64 v16, v16, v18, s5
	v_min_u32_e32 v17, v18, v17
	v_cndmask_b32_e64 v14, v18, v14, s5
	s_delay_alu instid0(VALU_DEP_3) | instskip(NEXT) | instid1(VALU_DEP_3)
	v_cmp_lt_u32_e64 s6, v16, v34
	v_add_nc_u32_e32 v17, v11, v17
	s_delay_alu instid0(VALU_DEP_3) | instskip(SKIP_4) | instid1(VALU_DEP_2)
	v_cmp_ge_u32_e64 s10, v14, v35
	ds_load_u8 v17, v17
	s_wait_dscnt 0x0
	v_cndmask_b32_e64 v38, v17, v36, s5
	v_cndmask_b32_e64 v39, v37, v17, s5
	v_and_b32_e32 v17, v38, v29
	s_delay_alu instid0(VALU_DEP_2) | instskip(NEXT) | instid1(VALU_DEP_2)
	v_and_b32_e32 v19, v39, v29
	v_and_b32_e32 v17, 0xff, v17
	s_delay_alu instid0(VALU_DEP_2) | instskip(NEXT) | instid1(VALU_DEP_1)
	v_and_b32_e32 v19, 0xff, v19
	v_cmp_le_u16_e64 s7, v19, v17
	v_lshl_add_u32 v17, v15, 3, v9
	s_and_b32 s6, s6, s7
	s_wait_alu 0xfffe
	s_or_b32 s6, s10, s6
	s_wait_alu 0xfffe
	v_cndmask_b32_e64 v14, v14, v16, s6
	v_lshl_add_u32 v16, v5, 3, v9
	v_cndmask_b32_e64 v28, v38, v39, s6
	s_delay_alu instid0(VALU_DEP_3)
	v_lshl_add_u32 v34, v14, 3, v9
	ds_load_b64 v[4:5], v4 offset:1024
	ds_load_b64 v[14:15], v16 offset:1024
	;; [unrolled: 1-line block ×4, first 2 shown]
.LBB211_44:
	s_wait_alu 0xfffe
	s_or_b32 exec_lo, exec_lo, s12
	v_and_b32_e32 v35, 0x60, v24
	; wave barrier
	ds_store_b8 v10, v25
	s_wait_dscnt 0x4
	ds_store_b64 v30, v[4:5]
	s_mov_b32 s4, exec_lo
	v_or_b32_e32 v24, 16, v35
	ds_store_b8 v33, v26
	s_wait_dscnt 0x5
	ds_store_b64 v21, v[14:15]
	ds_store_b8 v32, v27
	s_wait_dscnt 0x6
	ds_store_b64 v13, v[18:19]
	;; [unrolled: 3-line block ×3, first 2 shown]
	; wave barrier
	v_min_u32_e32 v24, v20, v24
	s_delay_alu instid0(VALU_DEP_1) | instskip(SKIP_1) | instid1(VALU_DEP_2)
	v_add_nc_u32_e32 v34, 16, v24
	v_sub_nc_u32_e32 v37, v24, v35
	v_min_u32_e32 v34, v20, v34
	v_min_u32_e32 v20, v20, v22
	s_delay_alu instid0(VALU_DEP_2) | instskip(NEXT) | instid1(VALU_DEP_2)
	v_sub_nc_u32_e32 v36, v34, v24
	v_min_u32_e32 v30, v20, v37
	s_delay_alu instid0(VALU_DEP_2) | instskip(NEXT) | instid1(VALU_DEP_1)
	v_sub_nc_u32_e64 v10, v20, v36 clamp
	v_cmpx_lt_u32_e64 v10, v30
	s_cbranch_execz .LBB211_48
; %bb.45:
	v_add_co_u32 v12, null, v11, v35
	v_add_co_u32 v13, null, v11, v24
	s_mov_b32 s5, 0
.LBB211_46:                             ; =>This Inner Loop Header: Depth=1
	v_add_nc_u32_e32 v21, v30, v10
	s_delay_alu instid0(VALU_DEP_1) | instskip(NEXT) | instid1(VALU_DEP_1)
	v_lshrrev_b32_e32 v21, 1, v21
	v_not_b32_e32 v31, v21
	v_add_nc_u32_e32 v32, v12, v21
	v_add_nc_u32_e32 v33, 1, v21
	s_delay_alu instid0(VALU_DEP_3)
	v_add3_u32 v31, v20, v31, v13
	ds_load_u8 v32, v32
	ds_load_u8 v31, v31
	s_wait_dscnt 0x1
	v_and_b32_e32 v32, v32, v29
	s_wait_dscnt 0x0
	v_and_b32_e32 v31, v31, v29
	s_delay_alu instid0(VALU_DEP_2) | instskip(NEXT) | instid1(VALU_DEP_2)
	v_and_b32_e32 v32, 0xff, v32
	v_and_b32_e32 v31, 0xff, v31
	s_delay_alu instid0(VALU_DEP_1) | instskip(SKIP_1) | instid1(VALU_DEP_1)
	v_cmp_gt_u16_e64 s3, v32, v31
	s_wait_alu 0xf1ff
	v_cndmask_b32_e64 v30, v30, v21, s3
	v_cndmask_b32_e64 v10, v33, v10, s3
	s_delay_alu instid0(VALU_DEP_1)
	v_cmp_ge_u32_e64 s3, v10, v30
	s_wait_alu 0xfffe
	s_or_b32 s5, s3, s5
	s_wait_alu 0xfffe
	s_and_not1_b32 exec_lo, exec_lo, s5
	s_cbranch_execnz .LBB211_46
; %bb.47:
	s_or_b32 exec_lo, exec_lo, s5
.LBB211_48:
	s_wait_alu 0xfffe
	s_or_b32 exec_lo, exec_lo, s4
	v_add_nc_u32_e32 v12, v24, v20
	v_add_nc_u32_e32 v20, v10, v35
	s_delay_alu instid0(VALU_DEP_2) | instskip(NEXT) | instid1(VALU_DEP_2)
	v_sub_nc_u32_e32 v13, v12, v10
	v_cmp_le_u32_e64 s3, v20, v24
	s_delay_alu instid0(VALU_DEP_2)
	v_cmp_le_u32_e64 s4, v13, v34
	s_or_b32 s3, s3, s4
	s_wait_alu 0xfffe
	s_and_saveexec_b32 s12, s3
	s_cbranch_execz .LBB211_54
; %bb.49:
	v_cmp_lt_u32_e64 s3, v20, v24
                                        ; implicit-def: $vgpr10
	s_and_saveexec_b32 s4, s3
; %bb.50:
	v_add_nc_u32_e32 v4, v11, v20
	ds_load_u8 v10, v4
; %bb.51:
	s_wait_alu 0xfffe
	s_or_b32 exec_lo, exec_lo, s4
	v_cmp_ge_u32_e64 s4, v13, v34
	s_mov_b32 s6, exec_lo
                                        ; implicit-def: $vgpr12
	v_cmpx_lt_u32_e64 v13, v34
; %bb.52:
	v_add_nc_u32_e32 v4, v11, v13
	ds_load_u8 v12, v4
; %bb.53:
	s_wait_alu 0xfffe
	s_or_b32 exec_lo, exec_lo, s6
	s_wait_dscnt 0x0
	v_and_b32_e32 v4, v12, v29
	v_and_b32_e32 v5, v10, v29
	s_delay_alu instid0(VALU_DEP_2) | instskip(NEXT) | instid1(VALU_DEP_2)
	v_and_b32_e32 v4, 0xff, v4
	v_and_b32_e32 v5, 0xff, v5
	s_delay_alu instid0(VALU_DEP_1)
	v_cmp_le_u16_e64 s5, v5, v4
	s_and_b32 s3, s3, s5
	s_wait_alu 0xfffe
	s_or_b32 s3, s4, s3
	s_wait_alu 0xfffe
	v_cndmask_b32_e64 v4, v13, v20, s3
	v_cndmask_b32_e64 v5, v34, v24, s3
	;; [unrolled: 1-line block ×3, first 2 shown]
	s_delay_alu instid0(VALU_DEP_3) | instskip(NEXT) | instid1(VALU_DEP_3)
	v_add_nc_u32_e32 v14, 1, v4
	v_add_nc_u32_e32 v5, -1, v5
	v_lshl_add_u32 v4, v4, 3, v9
	s_delay_alu instid0(VALU_DEP_3) | instskip(NEXT) | instid1(VALU_DEP_3)
	v_cndmask_b32_e64 v16, v20, v14, s3
	v_min_u32_e32 v5, v14, v5
	v_cndmask_b32_e64 v13, v14, v13, s3
	s_delay_alu instid0(VALU_DEP_3) | instskip(NEXT) | instid1(VALU_DEP_3)
	v_cmp_lt_u32_e64 s4, v16, v24
	v_add_nc_u32_e32 v5, v11, v5
	s_delay_alu instid0(VALU_DEP_3) | instskip(SKIP_4) | instid1(VALU_DEP_2)
	v_cmp_ge_u32_e64 s6, v13, v34
	ds_load_u8 v5, v5
	s_wait_dscnt 0x0
	v_cndmask_b32_e64 v21, v5, v12, s3
	v_cndmask_b32_e64 v26, v10, v5, s3
	v_and_b32_e32 v5, v21, v29
	s_delay_alu instid0(VALU_DEP_2) | instskip(NEXT) | instid1(VALU_DEP_2)
	v_and_b32_e32 v15, v26, v29
	v_and_b32_e32 v5, 0xff, v5
	s_delay_alu instid0(VALU_DEP_2) | instskip(NEXT) | instid1(VALU_DEP_1)
	v_and_b32_e32 v15, 0xff, v15
	v_cmp_le_u16_e64 s5, v15, v5
	s_and_b32 s4, s4, s5
	s_wait_alu 0xfffe
	s_or_b32 s4, s6, s4
	s_wait_alu 0xfffe
	v_cndmask_b32_e64 v5, v13, v16, s4
	v_cndmask_b32_e64 v14, v34, v24, s4
	s_delay_alu instid0(VALU_DEP_2) | instskip(NEXT) | instid1(VALU_DEP_2)
	v_add_nc_u32_e32 v15, 1, v5
	v_add_nc_u32_e32 v14, -1, v14
	s_delay_alu instid0(VALU_DEP_2) | instskip(NEXT) | instid1(VALU_DEP_2)
	v_cndmask_b32_e64 v16, v16, v15, s4
	v_min_u32_e32 v14, v15, v14
	v_cndmask_b32_e64 v13, v15, v13, s4
	s_delay_alu instid0(VALU_DEP_3) | instskip(NEXT) | instid1(VALU_DEP_3)
	v_cmp_lt_u32_e64 s5, v16, v24
	v_add_nc_u32_e32 v14, v11, v14
	s_delay_alu instid0(VALU_DEP_3)
	v_cmp_ge_u32_e64 s7, v13, v34
	ds_load_u8 v14, v14
	s_wait_dscnt 0x0
	v_cndmask_b32_e64 v20, v14, v21, s4
	v_cndmask_b32_e64 v27, v26, v14, s4
	;; [unrolled: 1-line block ×3, first 2 shown]
	s_delay_alu instid0(VALU_DEP_3) | instskip(NEXT) | instid1(VALU_DEP_3)
	v_and_b32_e32 v14, v20, v29
	v_and_b32_e32 v17, v27, v29
	s_delay_alu instid0(VALU_DEP_2) | instskip(NEXT) | instid1(VALU_DEP_2)
	v_and_b32_e32 v14, 0xff, v14
	v_and_b32_e32 v17, 0xff, v17
	s_delay_alu instid0(VALU_DEP_1)
	v_cmp_le_u16_e64 s6, v17, v14
	s_and_b32 s5, s5, s6
	s_wait_alu 0xfffe
	s_or_b32 s5, s7, s5
	s_wait_alu 0xfffe
	v_cndmask_b32_e64 v14, v13, v16, s5
	v_cndmask_b32_e64 v15, v34, v24, s5
	s_delay_alu instid0(VALU_DEP_2) | instskip(NEXT) | instid1(VALU_DEP_2)
	v_add_nc_u32_e32 v17, 1, v14
	v_add_nc_u32_e32 v15, -1, v15
	s_delay_alu instid0(VALU_DEP_2) | instskip(NEXT) | instid1(VALU_DEP_2)
	v_cndmask_b32_e64 v16, v16, v17, s5
	v_min_u32_e32 v15, v17, v15
	v_cndmask_b32_e64 v13, v17, v13, s5
	s_delay_alu instid0(VALU_DEP_3) | instskip(NEXT) | instid1(VALU_DEP_3)
	v_cmp_lt_u32_e64 s6, v16, v24
	v_add_nc_u32_e32 v11, v11, v15
	s_delay_alu instid0(VALU_DEP_3)
	v_cmp_ge_u32_e64 s10, v13, v34
	ds_load_u8 v11, v11
	s_wait_dscnt 0x0
	v_cndmask_b32_e64 v28, v11, v20, s5
	v_cndmask_b32_e64 v11, v27, v11, s5
	;; [unrolled: 1-line block ×3, first 2 shown]
	s_delay_alu instid0(VALU_DEP_3) | instskip(NEXT) | instid1(VALU_DEP_3)
	v_and_b32_e32 v15, v28, v29
	v_and_b32_e32 v18, v11, v29
	s_delay_alu instid0(VALU_DEP_2) | instskip(NEXT) | instid1(VALU_DEP_2)
	v_and_b32_e32 v15, 0xff, v15
	v_and_b32_e32 v18, 0xff, v18
	s_delay_alu instid0(VALU_DEP_1)
	v_cmp_le_u16_e64 s7, v18, v15
	v_lshl_add_u32 v15, v5, 3, v9
	s_and_b32 s6, s6, s7
	s_wait_alu 0xfffe
	s_or_b32 s6, s10, s6
	s_wait_alu 0xfffe
	v_cndmask_b32_e64 v13, v13, v16, s6
	v_lshl_add_u32 v16, v14, 3, v9
	v_cndmask_b32_e64 v28, v28, v11, s6
	s_delay_alu instid0(VALU_DEP_3)
	v_lshl_add_u32 v9, v13, 3, v9
	ds_load_b64 v[4:5], v4 offset:1024
	ds_load_b64 v[14:15], v15 offset:1024
	;; [unrolled: 1-line block ×4, first 2 shown]
.LBB211_54:
	s_wait_alu 0xfffe
	s_or_b32 exec_lo, exec_lo, s12
	; wave barrier
	s_wait_storecnt_dscnt 0x0
	s_barrier_signal -1
	s_barrier_wait -1
                                        ; implicit-def: $vgpr24
                                        ; implicit-def: $vgpr12
                                        ; implicit-def: $vgpr13
                                        ; implicit-def: $vgpr20
                                        ; implicit-def: $vgpr21
                                        ; implicit-def: $vgpr9
.LBB211_55:
	s_wait_alu 0xfffe
	s_and_not1_saveexec_b32 s10, s11
	s_cbranch_execz .LBB211_97
; %bb.56:
	s_load_b64 s[4:5], s[8:9], 0x0
	s_and_b32 s3, ttmp7, 0xffff
	s_mov_b32 s7, 0
	s_wait_kmcnt 0x0
	s_wait_alu 0xfffe
	s_cmp_lt_u32 s3, s5
	s_cselect_b32 s6, 14, 20
	s_cmp_lt_u32 ttmp9, s4
	s_wait_alu 0xfffe
	s_add_nc_u64 s[12:13], s[8:9], s[6:7]
	s_cselect_b32 s6, 12, 18
	s_load_u16 s3, s[12:13], 0x0
	s_add_nc_u64 s[4:5], s[8:9], s[6:7]
	s_mov_b32 s6, exec_lo
	s_load_u16 s4, s[4:5], 0x0
	s_wait_kmcnt 0x0
	v_mad_u32_u24 v10, v21, s3, v20
	s_delay_alu instid0(VALU_DEP_1) | instskip(NEXT) | instid1(VALU_DEP_1)
	v_mul_lo_u32 v10, v10, s4
	v_add_lshl_u32 v11, v10, v9, 2
	s_delay_alu instid0(VALU_DEP_1)
	v_cmpx_gt_u32_e32 0x400, v11
	s_cbranch_execz .LBB211_66
; %bb.57:
	s_wait_loadcnt_dscnt 0x0
	v_perm_b32 v9, v27, v28, 0xc0c0004
	v_perm_b32 v10, v26, v25, 0xc0c0004
	;; [unrolled: 1-line block ×3, first 2 shown]
	v_and_b32_e32 v21, 0xff, v25
	v_and_b32_e32 v25, 0xff, v26
	v_lshlrev_b32_e32 v9, 16, v9
	s_mov_b32 s5, exec_lo
	s_delay_alu instid0(VALU_DEP_2) | instskip(NEXT) | instid1(VALU_DEP_2)
	v_cmp_gt_u16_e64 s3, v21, v25
	v_or_b32_e32 v10, v10, v9
	v_or_b32_e32 v9, v20, v9
	s_wait_alu 0xf1ff
	s_delay_alu instid0(VALU_DEP_1) | instskip(SKIP_1) | instid1(VALU_DEP_2)
	v_cndmask_b32_e64 v25, v9, v10, s3
	v_dual_mov_b32 v9, v18 :: v_dual_mov_b32 v10, v19
	v_lshrrev_b32_e32 v26, 16, v25
	v_lshrrev_b32_e32 v20, 24, v25
	v_lshrrev_b32_e32 v27, 8, v25
	s_delay_alu instid0(VALU_DEP_2) | instskip(NEXT) | instid1(VALU_DEP_1)
	v_dual_mov_b32 v28, v20 :: v_dual_and_b32 v21, 0xff, v26
	v_cmpx_gt_u16_e64 v21, v20
; %bb.58:
	v_dual_mov_b32 v28, v26 :: v_dual_mov_b32 v9, v16
	v_mov_b32_e32 v10, v17
	v_dual_mov_b32 v16, v18 :: v_dual_mov_b32 v17, v19
	v_mov_b32_e32 v26, v20
; %bb.59:
	s_wait_alu 0xfffe
	s_or_b32 exec_lo, exec_lo, s5
	v_cndmask_b32_e64 v21, v15, v5, s3
	s_delay_alu instid0(VALU_DEP_2) | instskip(SKIP_2) | instid1(VALU_DEP_1)
	v_and_b32_e32 v19, 0xff, v26
	v_cndmask_b32_e64 v20, v14, v4, s3
	v_and_b32_e32 v18, 0xff, v27
	v_cmp_gt_u16_e64 s4, v18, v19
	s_delay_alu instid0(VALU_DEP_3)
	v_dual_mov_b32 v18, v20 :: v_dual_mov_b32 v19, v21
	s_and_saveexec_b32 s5, s4
	s_wait_alu 0xfffe
	s_xor_b32 s4, exec_lo, s5
; %bb.60:
	v_mov_b32_e32 v19, v10
	v_dual_mov_b32 v29, v27 :: v_dual_mov_b32 v18, v9
	v_mov_b32_e32 v9, v20
	v_swap_b32 v27, v26
	v_mov_b32_e32 v10, v21
; %bb.61:
	s_wait_alu 0xfffe
	s_or_b32 exec_lo, exec_lo, s4
	s_delay_alu instid0(VALU_DEP_2) | instskip(NEXT) | instid1(VALU_DEP_3)
	v_perm_b32 v20, v26, v28, 0xc0c0004
	v_perm_b32 v21, v27, v25, 0xc0c0004
	;; [unrolled: 1-line block ×3, first 2 shown]
	v_and_b32_e32 v25, 0xff, v25
	v_and_b32_e32 v27, 0xff, v27
	v_lshlrev_b32_e32 v20, 16, v20
	s_delay_alu instid0(VALU_DEP_2) | instskip(NEXT) | instid1(VALU_DEP_2)
	v_cmp_gt_u16_e64 s4, v25, v27
	v_or_b32_e32 v21, v21, v20
	v_or_b32_e32 v20, v26, v20
	s_wait_alu 0xf1ff
	s_delay_alu instid0(VALU_DEP_1) | instskip(SKIP_1) | instid1(VALU_DEP_2)
	v_cndmask_b32_e64 v25, v20, v21, s4
	v_dual_mov_b32 v21, v10 :: v_dual_mov_b32 v20, v9
	v_lshrrev_b32_e32 v27, 16, v25
	v_lshrrev_b32_e32 v29, 24, v25
	;; [unrolled: 1-line block ×3, first 2 shown]
	s_delay_alu instid0(VALU_DEP_3) | instskip(NEXT) | instid1(VALU_DEP_1)
	v_and_b32_e32 v28, 0xff, v27
	v_cmp_gt_u16_e64 s5, v28, v29
	v_mov_b32_e32 v28, v29
	s_and_saveexec_b32 s7, s5
; %bb.62:
	v_dual_mov_b32 v28, v27 :: v_dual_mov_b32 v21, v17
	v_dual_mov_b32 v20, v16 :: v_dual_mov_b32 v17, v10
	;; [unrolled: 1-line block ×3, first 2 shown]
; %bb.63:
	s_wait_alu 0xfffe
	s_or_b32 exec_lo, exec_lo, s7
	v_cndmask_b32_e64 v9, v5, v15, s3
	v_cndmask_b32_e64 v10, v4, v14, s3
	v_and_b32_e32 v29, 0xff, v26
	v_and_b32_e32 v30, 0xff, v27
	s_delay_alu instid0(VALU_DEP_4) | instskip(NEXT) | instid1(VALU_DEP_4)
	v_cndmask_b32_e64 v5, v9, v19, s4
	v_cndmask_b32_e64 v4, v10, v18, s4
	;; [unrolled: 1-line block ×4, first 2 shown]
	v_dual_mov_b32 v18, v20 :: v_dual_mov_b32 v19, v21
	s_mov_b32 s4, exec_lo
	v_cmpx_gt_u16_e64 v29, v30
; %bb.64:
	v_mov_b32_e32 v19, v15
	v_dual_mov_b32 v9, v26 :: v_dual_mov_b32 v18, v14
	v_swap_b32 v26, v27
	v_dual_mov_b32 v14, v20 :: v_dual_mov_b32 v15, v21
; %bb.65:
	s_wait_alu 0xfffe
	s_or_b32 exec_lo, exec_lo, s4
.LBB211_66:
	s_delay_alu instid0(SALU_CYCLE_1)
	s_or_b32 exec_lo, exec_lo, s6
	v_and_b32_e32 v9, 0xffffff80, v11
	v_or_b32_e32 v10, 4, v24
	v_and_b32_e32 v32, 0x78, v24
	s_wait_loadcnt_dscnt 0x0
	v_perm_b32 v21, v25, v26, 0xc0c0004
	v_perm_b32 v29, v27, v28, 0xc0c0004
	v_sub_nc_u32_e64 v20, 0x400, v9 clamp
	v_add_co_u32 v11, s3, v12, v9
	s_wait_alu 0xf1ff
	v_add_co_ci_u32_e64 v12, null, 0, v13, s3
	s_delay_alu instid0(VALU_DEP_3) | instskip(SKIP_3) | instid1(VALU_DEP_3)
	v_min_u32_e32 v30, v20, v10
	v_and_b32_e32 v13, 4, v24
	v_lshl_or_b32 v21, v29, 16, v21
	s_mov_b32 s4, exec_lo
	v_add_nc_u32_e32 v10, 4, v30
	s_delay_alu instid0(VALU_DEP_3) | instskip(SKIP_1) | instid1(VALU_DEP_3)
	v_min_u32_e32 v33, v20, v13
	v_sub_nc_u32_e32 v35, v30, v32
	v_min_u32_e32 v31, v20, v10
	v_mad_co_u64_u32 v[9:10], null, v9, 7, v[11:12]
	v_add_co_u32 v10, null, v11, v24
	s_delay_alu instid0(VALU_DEP_3) | instskip(NEXT) | instid1(VALU_DEP_3)
	v_sub_nc_u32_e32 v13, v31, v30
	v_lshl_add_u32 v12, v24, 3, v9
	s_delay_alu instid0(VALU_DEP_2)
	v_sub_nc_u32_e64 v34, v33, v13 clamp
	v_min_u32_e32 v13, v33, v35
	ds_store_2addr_b64 v12, v[4:5], v[14:15] offset0:128 offset1:129
	ds_store_b64 v12, v[18:19] offset:1040
	ds_store_b32 v10, v21
	ds_store_b64 v12, v[16:17] offset:1048
	; wave barrier
	v_cmpx_lt_u32_e64 v34, v13
	s_cbranch_execz .LBB211_70
; %bb.67:
	v_add_co_u32 v21, null, v11, v32
	v_add_co_u32 v29, null, v11, v30
	s_mov_b32 s5, 0
.LBB211_68:                             ; =>This Inner Loop Header: Depth=1
	v_add_nc_u32_e32 v35, v13, v34
	s_delay_alu instid0(VALU_DEP_1) | instskip(NEXT) | instid1(VALU_DEP_1)
	v_lshrrev_b32_e32 v35, 1, v35
	v_not_b32_e32 v36, v35
	v_add_nc_u32_e32 v37, v21, v35
	v_add_nc_u32_e32 v38, 1, v35
	s_delay_alu instid0(VALU_DEP_3)
	v_add3_u32 v36, v33, v36, v29
	ds_load_u8 v37, v37
	ds_load_u8 v36, v36
	s_wait_dscnt 0x0
	v_cmp_gt_u16_e64 s3, v37, v36
	s_wait_alu 0xf1ff
	s_delay_alu instid0(VALU_DEP_1) | instskip(SKIP_1) | instid1(VALU_DEP_1)
	v_cndmask_b32_e64 v13, v13, v35, s3
	v_cndmask_b32_e64 v34, v38, v34, s3
	v_cmp_ge_u32_e64 s3, v34, v13
	s_wait_alu 0xfffe
	s_or_b32 s5, s3, s5
	s_wait_alu 0xfffe
	s_and_not1_b32 exec_lo, exec_lo, s5
	s_cbranch_execnz .LBB211_68
; %bb.69:
	s_or_b32 exec_lo, exec_lo, s5
.LBB211_70:
	s_wait_alu 0xfffe
	s_or_b32 exec_lo, exec_lo, s4
	v_add_nc_u32_e32 v35, v30, v33
	v_add_nc_u32_e32 v33, v34, v32
	;; [unrolled: 1-line block ×5, first 2 shown]
	v_sub_nc_u32_e32 v32, v35, v34
	v_cmp_le_u32_e64 s3, v33, v30
	v_add_nc_u32_e32 v12, 0x418, v12
	s_delay_alu instid0(VALU_DEP_3)
	v_cmp_le_u32_e64 s4, v32, v31
	s_or_b32 s3, s3, s4
	s_wait_alu 0xfffe
	s_and_saveexec_b32 s9, s3
	s_cbranch_execz .LBB211_76
; %bb.71:
	v_cmp_lt_u32_e64 s3, v33, v30
                                        ; implicit-def: $vgpr25
	s_and_saveexec_b32 s4, s3
; %bb.72:
	v_add_nc_u32_e32 v4, v11, v33
	ds_load_u8 v25, v4
; %bb.73:
	s_wait_alu 0xfffe
	s_or_b32 exec_lo, exec_lo, s4
	v_cmp_ge_u32_e64 s4, v32, v31
	s_mov_b32 s6, exec_lo
                                        ; implicit-def: $vgpr26
	v_cmpx_lt_u32_e64 v32, v31
; %bb.74:
	v_add_nc_u32_e32 v4, v11, v32
	ds_load_u8 v26, v4
; %bb.75:
	s_wait_alu 0xfffe
	s_or_b32 exec_lo, exec_lo, s6
	s_wait_dscnt 0x0
	v_and_b32_e32 v4, 0xff, v26
	v_and_b32_e32 v5, 0xff, v25
	s_delay_alu instid0(VALU_DEP_1)
	v_cmp_le_u16_e64 s5, v5, v4
	s_and_b32 s3, s3, s5
	s_wait_alu 0xfffe
	s_or_b32 s3, s4, s3
	s_wait_alu 0xfffe
	v_cndmask_b32_e64 v4, v32, v33, s3
	v_cndmask_b32_e64 v5, v31, v30, s3
	s_delay_alu instid0(VALU_DEP_2) | instskip(NEXT) | instid1(VALU_DEP_2)
	v_add_nc_u32_e32 v14, 1, v4
	v_add_nc_u32_e32 v5, -1, v5
	v_lshl_add_u32 v4, v4, 3, v9
	s_delay_alu instid0(VALU_DEP_2) | instskip(NEXT) | instid1(VALU_DEP_1)
	v_min_u32_e32 v5, v14, v5
	v_add_nc_u32_e32 v5, v11, v5
	ds_load_u8 v5, v5
	s_wait_dscnt 0x0
	v_cndmask_b32_e64 v27, v5, v26, s3
	v_cndmask_b32_e64 v28, v25, v5, s3
	v_cndmask_b32_e64 v5, v33, v14, s3
	v_cndmask_b32_e64 v14, v14, v32, s3
	v_cndmask_b32_e64 v25, v26, v25, s3
	v_and_b32_e32 v15, 0xff, v27
	v_and_b32_e32 v16, 0xff, v28
	v_cmp_lt_u32_e64 s4, v5, v30
	v_cmp_ge_u32_e64 s6, v14, v31
	s_delay_alu instid0(VALU_DEP_3)
	v_cmp_le_u16_e64 s5, v16, v15
	s_and_b32 s4, s4, s5
	s_wait_alu 0xfffe
	s_or_b32 s4, s6, s4
	s_wait_alu 0xfffe
	v_cndmask_b32_e64 v15, v14, v5, s4
	v_cndmask_b32_e64 v16, v31, v30, s4
	;; [unrolled: 1-line block ×3, first 2 shown]
	s_delay_alu instid0(VALU_DEP_3) | instskip(NEXT) | instid1(VALU_DEP_3)
	v_add_nc_u32_e32 v17, 1, v15
	v_add_nc_u32_e32 v16, -1, v16
	s_delay_alu instid0(VALU_DEP_2) | instskip(NEXT) | instid1(VALU_DEP_2)
	v_cndmask_b32_e64 v5, v5, v17, s4
	v_min_u32_e32 v16, v17, v16
	v_cndmask_b32_e64 v14, v17, v14, s4
	s_delay_alu instid0(VALU_DEP_3) | instskip(NEXT) | instid1(VALU_DEP_3)
	v_cmp_lt_u32_e64 s5, v5, v30
	v_add_nc_u32_e32 v16, v11, v16
	s_delay_alu instid0(VALU_DEP_3) | instskip(SKIP_4) | instid1(VALU_DEP_2)
	v_cmp_ge_u32_e64 s7, v14, v31
	ds_load_u8 v16, v16
	s_wait_dscnt 0x0
	v_cndmask_b32_e64 v32, v16, v27, s4
	v_cndmask_b32_e64 v33, v28, v16, s4
	v_and_b32_e32 v16, 0xff, v32
	s_delay_alu instid0(VALU_DEP_2) | instskip(NEXT) | instid1(VALU_DEP_1)
	v_and_b32_e32 v18, 0xff, v33
	v_cmp_le_u16_e64 s6, v18, v16
	s_and_b32 s5, s5, s6
	s_wait_alu 0xfffe
	s_or_b32 s5, s7, s5
	s_wait_alu 0xfffe
	v_cndmask_b32_e64 v16, v14, v5, s5
	v_cndmask_b32_e64 v17, v31, v30, s5
	;; [unrolled: 1-line block ×3, first 2 shown]
	s_delay_alu instid0(VALU_DEP_3) | instskip(NEXT) | instid1(VALU_DEP_3)
	v_add_nc_u32_e32 v18, 1, v16
	v_add_nc_u32_e32 v17, -1, v17
	v_lshl_add_u32 v16, v16, 3, v9
	s_delay_alu instid0(VALU_DEP_3) | instskip(NEXT) | instid1(VALU_DEP_3)
	v_cndmask_b32_e64 v5, v5, v18, s5
	v_min_u32_e32 v17, v18, v17
	v_cndmask_b32_e64 v14, v18, v14, s5
	s_delay_alu instid0(VALU_DEP_3) | instskip(NEXT) | instid1(VALU_DEP_3)
	v_cmp_lt_u32_e64 s6, v5, v30
	v_add_nc_u32_e32 v17, v11, v17
	s_delay_alu instid0(VALU_DEP_3) | instskip(SKIP_4) | instid1(VALU_DEP_2)
	v_cmp_ge_u32_e64 s8, v14, v31
	ds_load_u8 v17, v17
	s_wait_dscnt 0x0
	v_cndmask_b32_e64 v34, v17, v32, s5
	v_cndmask_b32_e64 v35, v33, v17, s5
	v_and_b32_e32 v17, 0xff, v34
	s_delay_alu instid0(VALU_DEP_2) | instskip(NEXT) | instid1(VALU_DEP_1)
	v_and_b32_e32 v19, 0xff, v35
	v_cmp_le_u16_e64 s7, v19, v17
	s_and_b32 s6, s6, s7
	s_wait_alu 0xfffe
	s_or_b32 s6, s8, s6
	s_wait_alu 0xfffe
	v_cndmask_b32_e64 v5, v14, v5, s6
	v_lshl_add_u32 v14, v15, 3, v9
	v_cndmask_b32_e64 v28, v34, v35, s6
	s_delay_alu instid0(VALU_DEP_3)
	v_lshl_add_u32 v17, v5, 3, v9
	ds_load_b64 v[4:5], v4 offset:1024
	ds_load_b64 v[14:15], v14 offset:1024
	;; [unrolled: 1-line block ×4, first 2 shown]
.LBB211_76:
	s_wait_alu 0xfffe
	s_or_b32 exec_lo, exec_lo, s9
	v_and_b32_e32 v35, 0x70, v24
	v_and_b32_e32 v31, 12, v24
	s_mov_b32 s4, exec_lo
	; wave barrier
	s_delay_alu instid0(VALU_DEP_2) | instskip(NEXT) | instid1(VALU_DEP_2)
	v_or_b32_e32 v30, 8, v35
	v_min_u32_e32 v36, v20, v31
	ds_store_b8 v10, v25
	s_wait_dscnt 0x4
	ds_store_b64 v29, v[4:5]
	ds_store_b8 v10, v26 offset:1
	s_wait_dscnt 0x5
	ds_store_b64 v21, v[14:15]
	ds_store_b8 v10, v27 offset:2
	;; [unrolled: 3-line block ×3, first 2 shown]
	s_wait_dscnt 0x7
	ds_store_b64 v12, v[16:17]
	v_min_u32_e32 v33, v20, v30
	; wave barrier
	s_delay_alu instid0(VALU_DEP_1) | instskip(SKIP_1) | instid1(VALU_DEP_2)
	v_add_nc_u32_e32 v30, 8, v33
	v_sub_nc_u32_e32 v31, v33, v35
	v_min_u32_e32 v34, v20, v30
	s_delay_alu instid0(VALU_DEP_1) | instskip(NEXT) | instid1(VALU_DEP_1)
	v_sub_nc_u32_e32 v30, v34, v33
	v_sub_nc_u32_e64 v37, v36, v30 clamp
	s_delay_alu instid0(VALU_DEP_4) | instskip(NEXT) | instid1(VALU_DEP_1)
	v_min_u32_e32 v30, v36, v31
	v_cmpx_lt_u32_e64 v37, v30
	s_cbranch_execz .LBB211_80
; %bb.77:
	v_add_co_u32 v31, null, v11, v35
	v_add_co_u32 v32, null, v11, v33
	s_mov_b32 s5, 0
.LBB211_78:                             ; =>This Inner Loop Header: Depth=1
	v_add_nc_u32_e32 v38, v30, v37
	s_delay_alu instid0(VALU_DEP_1) | instskip(NEXT) | instid1(VALU_DEP_1)
	v_lshrrev_b32_e32 v38, 1, v38
	v_not_b32_e32 v39, v38
	v_add_nc_u32_e32 v48, v31, v38
	v_add_nc_u32_e32 v49, 1, v38
	s_delay_alu instid0(VALU_DEP_3)
	v_add3_u32 v39, v36, v39, v32
	ds_load_u8 v48, v48
	ds_load_u8 v39, v39
	s_wait_dscnt 0x0
	v_cmp_gt_u16_e64 s3, v48, v39
	s_wait_alu 0xf1ff
	s_delay_alu instid0(VALU_DEP_1) | instskip(SKIP_1) | instid1(VALU_DEP_1)
	v_cndmask_b32_e64 v30, v30, v38, s3
	v_cndmask_b32_e64 v37, v49, v37, s3
	v_cmp_ge_u32_e64 s3, v37, v30
	s_wait_alu 0xfffe
	s_or_b32 s5, s3, s5
	s_wait_alu 0xfffe
	s_and_not1_b32 exec_lo, exec_lo, s5
	s_cbranch_execnz .LBB211_78
; %bb.79:
	s_or_b32 exec_lo, exec_lo, s5
.LBB211_80:
	s_wait_alu 0xfffe
	s_or_b32 exec_lo, exec_lo, s4
	v_add_nc_u32_e32 v38, v33, v36
	v_add_nc_u32_e32 v36, v37, v35
	;; [unrolled: 1-line block ×5, first 2 shown]
	v_sub_nc_u32_e32 v35, v38, v37
	v_cmp_le_u32_e64 s3, v36, v33
	s_delay_alu instid0(VALU_DEP_2)
	v_cmp_le_u32_e64 s4, v35, v34
	s_or_b32 s3, s3, s4
	s_wait_alu 0xfffe
	s_and_saveexec_b32 s9, s3
	s_cbranch_execz .LBB211_86
; %bb.81:
	v_cmp_lt_u32_e64 s3, v36, v33
                                        ; implicit-def: $vgpr25
	s_and_saveexec_b32 s4, s3
; %bb.82:
	v_add_nc_u32_e32 v4, v11, v36
	ds_load_u8 v25, v4
; %bb.83:
	s_wait_alu 0xfffe
	s_or_b32 exec_lo, exec_lo, s4
	v_cmp_ge_u32_e64 s4, v35, v34
	s_mov_b32 s6, exec_lo
                                        ; implicit-def: $vgpr26
	v_cmpx_lt_u32_e64 v35, v34
; %bb.84:
	v_add_nc_u32_e32 v4, v11, v35
	ds_load_u8 v26, v4
; %bb.85:
	s_wait_alu 0xfffe
	s_or_b32 exec_lo, exec_lo, s6
	s_wait_dscnt 0x0
	v_and_b32_e32 v4, 0xff, v26
	v_and_b32_e32 v5, 0xff, v25
	s_delay_alu instid0(VALU_DEP_1)
	v_cmp_le_u16_e64 s5, v5, v4
	s_and_b32 s3, s3, s5
	s_wait_alu 0xfffe
	s_or_b32 s3, s4, s3
	s_wait_alu 0xfffe
	v_cndmask_b32_e64 v4, v35, v36, s3
	v_cndmask_b32_e64 v5, v34, v33, s3
	s_delay_alu instid0(VALU_DEP_2) | instskip(NEXT) | instid1(VALU_DEP_2)
	v_add_nc_u32_e32 v14, 1, v4
	v_add_nc_u32_e32 v5, -1, v5
	v_lshl_add_u32 v4, v4, 3, v9
	s_delay_alu instid0(VALU_DEP_2) | instskip(NEXT) | instid1(VALU_DEP_1)
	v_min_u32_e32 v5, v14, v5
	v_add_nc_u32_e32 v5, v11, v5
	ds_load_u8 v5, v5
	s_wait_dscnt 0x0
	v_cndmask_b32_e64 v27, v5, v26, s3
	v_cndmask_b32_e64 v28, v25, v5, s3
	;; [unrolled: 1-line block ×5, first 2 shown]
	v_and_b32_e32 v15, 0xff, v27
	v_and_b32_e32 v16, 0xff, v28
	v_cmp_lt_u32_e64 s4, v5, v33
	v_cmp_ge_u32_e64 s6, v14, v34
	s_delay_alu instid0(VALU_DEP_3)
	v_cmp_le_u16_e64 s5, v16, v15
	s_and_b32 s4, s4, s5
	s_wait_alu 0xfffe
	s_or_b32 s4, s6, s4
	s_wait_alu 0xfffe
	v_cndmask_b32_e64 v15, v14, v5, s4
	v_cndmask_b32_e64 v16, v34, v33, s4
	;; [unrolled: 1-line block ×3, first 2 shown]
	s_delay_alu instid0(VALU_DEP_3) | instskip(NEXT) | instid1(VALU_DEP_3)
	v_add_nc_u32_e32 v17, 1, v15
	v_add_nc_u32_e32 v16, -1, v16
	s_delay_alu instid0(VALU_DEP_2) | instskip(NEXT) | instid1(VALU_DEP_2)
	v_cndmask_b32_e64 v5, v5, v17, s4
	v_min_u32_e32 v16, v17, v16
	v_cndmask_b32_e64 v14, v17, v14, s4
	s_delay_alu instid0(VALU_DEP_3) | instskip(NEXT) | instid1(VALU_DEP_3)
	v_cmp_lt_u32_e64 s5, v5, v33
	v_add_nc_u32_e32 v16, v11, v16
	s_delay_alu instid0(VALU_DEP_3) | instskip(SKIP_4) | instid1(VALU_DEP_2)
	v_cmp_ge_u32_e64 s7, v14, v34
	ds_load_u8 v16, v16
	s_wait_dscnt 0x0
	v_cndmask_b32_e64 v35, v16, v27, s4
	v_cndmask_b32_e64 v36, v28, v16, s4
	v_and_b32_e32 v16, 0xff, v35
	s_delay_alu instid0(VALU_DEP_2) | instskip(NEXT) | instid1(VALU_DEP_1)
	v_and_b32_e32 v18, 0xff, v36
	v_cmp_le_u16_e64 s6, v18, v16
	s_and_b32 s5, s5, s6
	s_wait_alu 0xfffe
	s_or_b32 s5, s7, s5
	s_wait_alu 0xfffe
	v_cndmask_b32_e64 v16, v14, v5, s5
	v_cndmask_b32_e64 v17, v34, v33, s5
	;; [unrolled: 1-line block ×3, first 2 shown]
	s_delay_alu instid0(VALU_DEP_3) | instskip(NEXT) | instid1(VALU_DEP_3)
	v_add_nc_u32_e32 v18, 1, v16
	v_add_nc_u32_e32 v17, -1, v17
	v_lshl_add_u32 v16, v16, 3, v9
	s_delay_alu instid0(VALU_DEP_3) | instskip(NEXT) | instid1(VALU_DEP_3)
	v_cndmask_b32_e64 v5, v5, v18, s5
	v_min_u32_e32 v17, v18, v17
	v_cndmask_b32_e64 v14, v18, v14, s5
	s_delay_alu instid0(VALU_DEP_3) | instskip(NEXT) | instid1(VALU_DEP_3)
	v_cmp_lt_u32_e64 s6, v5, v33
	v_add_nc_u32_e32 v17, v11, v17
	s_delay_alu instid0(VALU_DEP_3) | instskip(SKIP_4) | instid1(VALU_DEP_2)
	v_cmp_ge_u32_e64 s8, v14, v34
	ds_load_u8 v17, v17
	s_wait_dscnt 0x0
	v_cndmask_b32_e64 v37, v17, v35, s5
	v_cndmask_b32_e64 v38, v36, v17, s5
	v_and_b32_e32 v17, 0xff, v37
	s_delay_alu instid0(VALU_DEP_2) | instskip(NEXT) | instid1(VALU_DEP_1)
	v_and_b32_e32 v19, 0xff, v38
	v_cmp_le_u16_e64 s7, v19, v17
	s_and_b32 s6, s6, s7
	s_wait_alu 0xfffe
	s_or_b32 s6, s8, s6
	s_wait_alu 0xfffe
	v_cndmask_b32_e64 v5, v14, v5, s6
	v_lshl_add_u32 v14, v15, 3, v9
	v_cndmask_b32_e64 v28, v37, v38, s6
	s_delay_alu instid0(VALU_DEP_3)
	v_lshl_add_u32 v17, v5, 3, v9
	ds_load_b64 v[4:5], v4 offset:1024
	ds_load_b64 v[14:15], v14 offset:1024
	;; [unrolled: 1-line block ×4, first 2 shown]
.LBB211_86:
	s_wait_alu 0xfffe
	s_or_b32 exec_lo, exec_lo, s9
	v_and_b32_e32 v34, 0x60, v24
	; wave barrier
	ds_store_b8 v10, v25
	s_wait_dscnt 0x4
	ds_store_b64 v29, v[4:5]
	s_mov_b32 s4, exec_lo
	v_or_b32_e32 v24, 16, v34
	ds_store_b8 v32, v26
	s_wait_dscnt 0x5
	ds_store_b64 v21, v[14:15]
	ds_store_b8 v31, v27
	s_wait_dscnt 0x6
	ds_store_b64 v13, v[18:19]
	;; [unrolled: 3-line block ×3, first 2 shown]
	; wave barrier
	v_min_u32_e32 v24, v20, v24
	s_delay_alu instid0(VALU_DEP_1) | instskip(SKIP_1) | instid1(VALU_DEP_2)
	v_add_nc_u32_e32 v33, 16, v24
	v_sub_nc_u32_e32 v36, v24, v34
	v_min_u32_e32 v33, v20, v33
	v_min_u32_e32 v20, v20, v22
	s_delay_alu instid0(VALU_DEP_2) | instskip(NEXT) | instid1(VALU_DEP_2)
	v_sub_nc_u32_e32 v35, v33, v24
	v_min_u32_e32 v29, v20, v36
	s_delay_alu instid0(VALU_DEP_2) | instskip(NEXT) | instid1(VALU_DEP_1)
	v_sub_nc_u32_e64 v10, v20, v35 clamp
	v_cmpx_lt_u32_e64 v10, v29
	s_cbranch_execz .LBB211_90
; %bb.87:
	v_add_co_u32 v12, null, v11, v34
	v_add_co_u32 v13, null, v11, v24
	s_mov_b32 s5, 0
.LBB211_88:                             ; =>This Inner Loop Header: Depth=1
	v_add_nc_u32_e32 v21, v29, v10
	s_delay_alu instid0(VALU_DEP_1) | instskip(NEXT) | instid1(VALU_DEP_1)
	v_lshrrev_b32_e32 v21, 1, v21
	v_not_b32_e32 v30, v21
	v_add_nc_u32_e32 v31, v12, v21
	v_add_nc_u32_e32 v32, 1, v21
	s_delay_alu instid0(VALU_DEP_3)
	v_add3_u32 v30, v20, v30, v13
	ds_load_u8 v31, v31
	ds_load_u8 v30, v30
	s_wait_dscnt 0x0
	v_cmp_gt_u16_e64 s3, v31, v30
	s_wait_alu 0xf1ff
	s_delay_alu instid0(VALU_DEP_1) | instskip(SKIP_1) | instid1(VALU_DEP_1)
	v_cndmask_b32_e64 v29, v29, v21, s3
	v_cndmask_b32_e64 v10, v32, v10, s3
	v_cmp_ge_u32_e64 s3, v10, v29
	s_wait_alu 0xfffe
	s_or_b32 s5, s3, s5
	s_wait_alu 0xfffe
	s_and_not1_b32 exec_lo, exec_lo, s5
	s_cbranch_execnz .LBB211_88
; %bb.89:
	s_or_b32 exec_lo, exec_lo, s5
.LBB211_90:
	s_wait_alu 0xfffe
	s_or_b32 exec_lo, exec_lo, s4
	v_add_nc_u32_e32 v12, v24, v20
	v_add_nc_u32_e32 v20, v10, v34
	s_delay_alu instid0(VALU_DEP_2) | instskip(NEXT) | instid1(VALU_DEP_2)
	v_sub_nc_u32_e32 v13, v12, v10
	v_cmp_le_u32_e64 s3, v20, v24
	s_delay_alu instid0(VALU_DEP_2)
	v_cmp_le_u32_e64 s4, v13, v33
	s_or_b32 s3, s3, s4
	s_wait_alu 0xfffe
	s_and_saveexec_b32 s9, s3
	s_cbranch_execz .LBB211_96
; %bb.91:
	v_cmp_lt_u32_e64 s3, v20, v24
                                        ; implicit-def: $vgpr10
	s_and_saveexec_b32 s4, s3
; %bb.92:
	v_add_nc_u32_e32 v4, v11, v20
	ds_load_u8 v10, v4
; %bb.93:
	s_wait_alu 0xfffe
	s_or_b32 exec_lo, exec_lo, s4
	v_cmp_ge_u32_e64 s4, v13, v33
	s_mov_b32 s6, exec_lo
                                        ; implicit-def: $vgpr12
	v_cmpx_lt_u32_e64 v13, v33
; %bb.94:
	v_add_nc_u32_e32 v4, v11, v13
	ds_load_u8 v12, v4
; %bb.95:
	s_wait_alu 0xfffe
	s_or_b32 exec_lo, exec_lo, s6
	s_wait_dscnt 0x0
	v_and_b32_e32 v4, 0xff, v12
	v_and_b32_e32 v5, 0xff, v10
	s_delay_alu instid0(VALU_DEP_1)
	v_cmp_le_u16_e64 s5, v5, v4
	s_and_b32 s3, s3, s5
	s_wait_alu 0xfffe
	s_or_b32 s3, s4, s3
	s_wait_alu 0xfffe
	v_cndmask_b32_e64 v4, v13, v20, s3
	v_cndmask_b32_e64 v5, v33, v24, s3
	;; [unrolled: 1-line block ×3, first 2 shown]
	s_delay_alu instid0(VALU_DEP_3) | instskip(NEXT) | instid1(VALU_DEP_3)
	v_add_nc_u32_e32 v14, 1, v4
	v_add_nc_u32_e32 v5, -1, v5
	v_lshl_add_u32 v4, v4, 3, v9
	s_delay_alu instid0(VALU_DEP_3) | instskip(NEXT) | instid1(VALU_DEP_3)
	v_cndmask_b32_e64 v13, v14, v13, s3
	v_min_u32_e32 v5, v14, v5
	s_delay_alu instid0(VALU_DEP_2) | instskip(NEXT) | instid1(VALU_DEP_2)
	v_cmp_ge_u32_e64 s6, v13, v33
	v_add_nc_u32_e32 v5, v11, v5
	ds_load_u8 v5, v5
	s_wait_dscnt 0x0
	v_cndmask_b32_e64 v21, v5, v12, s3
	v_cndmask_b32_e64 v26, v10, v5, s3
	;; [unrolled: 1-line block ×3, first 2 shown]
	s_delay_alu instid0(VALU_DEP_3) | instskip(NEXT) | instid1(VALU_DEP_3)
	v_and_b32_e32 v15, 0xff, v21
	v_and_b32_e32 v16, 0xff, v26
	s_delay_alu instid0(VALU_DEP_3) | instskip(NEXT) | instid1(VALU_DEP_2)
	v_cmp_lt_u32_e64 s4, v5, v24
	v_cmp_le_u16_e64 s5, v16, v15
	s_and_b32 s4, s4, s5
	s_wait_alu 0xfffe
	s_or_b32 s4, s6, s4
	s_wait_alu 0xfffe
	v_cndmask_b32_e64 v14, v13, v5, s4
	v_cndmask_b32_e64 v15, v33, v24, s4
	s_delay_alu instid0(VALU_DEP_2) | instskip(NEXT) | instid1(VALU_DEP_2)
	v_add_nc_u32_e32 v16, 1, v14
	v_add_nc_u32_e32 v15, -1, v15
	s_delay_alu instid0(VALU_DEP_2) | instskip(NEXT) | instid1(VALU_DEP_2)
	v_cndmask_b32_e64 v5, v5, v16, s4
	v_min_u32_e32 v15, v16, v15
	v_cndmask_b32_e64 v13, v16, v13, s4
	s_delay_alu instid0(VALU_DEP_3) | instskip(NEXT) | instid1(VALU_DEP_3)
	v_cmp_lt_u32_e64 s5, v5, v24
	v_add_nc_u32_e32 v15, v11, v15
	s_delay_alu instid0(VALU_DEP_3)
	v_cmp_ge_u32_e64 s7, v13, v33
	ds_load_u8 v15, v15
	s_wait_dscnt 0x0
	v_cndmask_b32_e64 v20, v15, v21, s4
	v_cndmask_b32_e64 v27, v26, v15, s4
	;; [unrolled: 1-line block ×3, first 2 shown]
	s_delay_alu instid0(VALU_DEP_3) | instskip(NEXT) | instid1(VALU_DEP_3)
	v_and_b32_e32 v15, 0xff, v20
	v_and_b32_e32 v17, 0xff, v27
	s_delay_alu instid0(VALU_DEP_1)
	v_cmp_le_u16_e64 s6, v17, v15
	s_and_b32 s5, s5, s6
	s_wait_alu 0xfffe
	s_or_b32 s5, s7, s5
	s_wait_alu 0xfffe
	v_cndmask_b32_e64 v15, v13, v5, s5
	v_cndmask_b32_e64 v16, v33, v24, s5
	s_delay_alu instid0(VALU_DEP_2) | instskip(NEXT) | instid1(VALU_DEP_2)
	v_add_nc_u32_e32 v17, 1, v15
	v_add_nc_u32_e32 v16, -1, v16
	s_delay_alu instid0(VALU_DEP_2) | instskip(NEXT) | instid1(VALU_DEP_2)
	v_cndmask_b32_e64 v5, v5, v17, s5
	v_min_u32_e32 v16, v17, v16
	v_cndmask_b32_e64 v13, v17, v13, s5
	s_delay_alu instid0(VALU_DEP_3) | instskip(NEXT) | instid1(VALU_DEP_3)
	v_cmp_lt_u32_e64 s6, v5, v24
	v_add_nc_u32_e32 v11, v11, v16
	s_delay_alu instid0(VALU_DEP_3)
	v_cmp_ge_u32_e64 s8, v13, v33
	ds_load_u8 v11, v11
	s_wait_dscnt 0x0
	v_cndmask_b32_e64 v28, v11, v20, s5
	v_cndmask_b32_e64 v11, v27, v11, s5
	;; [unrolled: 1-line block ×3, first 2 shown]
	s_delay_alu instid0(VALU_DEP_3) | instskip(NEXT) | instid1(VALU_DEP_3)
	v_and_b32_e32 v16, 0xff, v28
	v_and_b32_e32 v18, 0xff, v11
	s_delay_alu instid0(VALU_DEP_1)
	v_cmp_le_u16_e64 s7, v18, v16
	v_lshl_add_u32 v16, v15, 3, v9
	s_and_b32 s6, s6, s7
	s_wait_alu 0xfffe
	s_or_b32 s6, s8, s6
	s_wait_alu 0xfffe
	v_cndmask_b32_e64 v5, v13, v5, s6
	v_lshl_add_u32 v13, v14, 3, v9
	v_cndmask_b32_e64 v28, v28, v11, s6
	s_delay_alu instid0(VALU_DEP_3)
	v_lshl_add_u32 v9, v5, 3, v9
	ds_load_b64 v[4:5], v4 offset:1024
	ds_load_b64 v[14:15], v13 offset:1024
	;; [unrolled: 1-line block ×4, first 2 shown]
.LBB211_96:
	s_wait_alu 0xfffe
	s_or_b32 exec_lo, exec_lo, s9
	; wave barrier
	s_wait_storecnt_dscnt 0x0
	s_barrier_signal -1
	s_barrier_wait -1
.LBB211_97:
	s_wait_alu 0xfffe
	s_or_b32 exec_lo, exec_lo, s10
	v_add_co_u32 v2, s3, v2, v8
	s_wait_alu 0xf1ff
	v_add_co_ci_u32_e64 v3, null, 0, v3, s3
	s_wait_storecnt 0x0
	s_wait_loadcnt_dscnt 0x0
	global_inv scope:SCOPE_SE
	v_add_co_u32 v2, s3, v2, v22
	s_wait_alu 0xf1ff
	v_add_co_ci_u32_e64 v3, null, 0, v3, s3
	; wave barrier
	s_and_saveexec_b32 s3, vcc_lo
	s_cbranch_execnz .LBB211_110
; %bb.98:
	s_wait_alu 0xfffe
	s_or_b32 exec_lo, exec_lo, s3
	s_and_saveexec_b32 s3, s0
	s_cbranch_execnz .LBB211_111
.LBB211_99:
	s_wait_alu 0xfffe
	s_or_b32 exec_lo, exec_lo, s3
	s_and_saveexec_b32 s3, s1
	s_cbranch_execnz .LBB211_112
.LBB211_100:
	s_wait_alu 0xfffe
	s_or_b32 exec_lo, exec_lo, s3
	s_and_saveexec_b32 s3, s2
	s_cbranch_execz .LBB211_102
.LBB211_101:
	flat_store_b8 v[2:3], v28 offset:3
.LBB211_102:
	s_wait_alu 0xfffe
	s_or_b32 exec_lo, exec_lo, s3
	v_add_co_u32 v0, s3, v6, v0
	s_wait_alu 0xf1ff
	v_add_co_ci_u32_e64 v1, null, v7, v1, s3
	s_delay_alu instid0(VALU_DEP_2) | instskip(SKIP_1) | instid1(VALU_DEP_2)
	v_add_co_u32 v0, s3, v0, v23
	s_wait_alu 0xf1ff
	v_add_co_ci_u32_e64 v1, null, 0, v1, s3
	; wave barrier
	s_and_saveexec_b32 s3, vcc_lo
	s_cbranch_execnz .LBB211_113
; %bb.103:
	s_wait_alu 0xfffe
	s_or_b32 exec_lo, exec_lo, s3
	s_and_saveexec_b32 s3, s0
	s_cbranch_execnz .LBB211_114
.LBB211_104:
	s_wait_alu 0xfffe
	s_or_b32 exec_lo, exec_lo, s3
	s_and_saveexec_b32 s0, s1
	s_cbranch_execnz .LBB211_115
.LBB211_105:
	s_wait_alu 0xfffe
	s_or_b32 exec_lo, exec_lo, s0
	s_and_saveexec_b32 s0, s2
	s_cbranch_execnz .LBB211_116
.LBB211_106:
	s_wait_alu 0xfffe
	s_or_b32 exec_lo, exec_lo, s0
	s_wait_loadcnt_dscnt 0x0
	s_setpc_b64 s[30:31]
.LBB211_107:
	flat_load_b64 v[4:5], v[20:21]
	s_wait_alu 0xfffe
	s_or_b32 exec_lo, exec_lo, s3
                                        ; implicit-def: $vgpr14_vgpr15
	s_and_saveexec_b32 s3, s0
	s_cbranch_execz .LBB211_10
.LBB211_108:
	flat_load_b64 v[14:15], v[20:21] offset:8
	s_wait_alu 0xfffe
	s_or_b32 exec_lo, exec_lo, s3
                                        ; implicit-def: $vgpr18_vgpr19
	s_and_saveexec_b32 s3, s1
	s_cbranch_execz .LBB211_11
.LBB211_109:
	flat_load_b64 v[18:19], v[20:21] offset:16
	s_wait_alu 0xfffe
	s_or_b32 exec_lo, exec_lo, s3
                                        ; implicit-def: $vgpr16_vgpr17
	s_and_saveexec_b32 s3, s2
	s_cbranch_execnz .LBB211_12
	s_branch .LBB211_13
.LBB211_110:
	flat_store_b8 v[2:3], v25
	s_wait_alu 0xfffe
	s_or_b32 exec_lo, exec_lo, s3
	s_and_saveexec_b32 s3, s0
	s_cbranch_execz .LBB211_99
.LBB211_111:
	flat_store_b8 v[2:3], v26 offset:1
	s_wait_alu 0xfffe
	s_or_b32 exec_lo, exec_lo, s3
	s_and_saveexec_b32 s3, s1
	s_cbranch_execz .LBB211_100
.LBB211_112:
	flat_store_b8 v[2:3], v27 offset:2
	s_wait_alu 0xfffe
	s_or_b32 exec_lo, exec_lo, s3
	s_and_saveexec_b32 s3, s2
	s_cbranch_execnz .LBB211_101
	s_branch .LBB211_102
.LBB211_113:
	flat_store_b64 v[0:1], v[4:5]
	s_wait_alu 0xfffe
	s_or_b32 exec_lo, exec_lo, s3
	s_and_saveexec_b32 s3, s0
	s_cbranch_execz .LBB211_104
.LBB211_114:
	flat_store_b64 v[0:1], v[14:15] offset:8
	s_wait_alu 0xfffe
	s_or_b32 exec_lo, exec_lo, s3
	s_and_saveexec_b32 s0, s1
	s_cbranch_execz .LBB211_105
.LBB211_115:
	flat_store_b64 v[0:1], v[18:19] offset:16
	s_wait_alu 0xfffe
	s_or_b32 exec_lo, exec_lo, s0
	s_and_saveexec_b32 s0, s2
	s_cbranch_execz .LBB211_106
.LBB211_116:
	flat_store_b64 v[0:1], v[16:17] offset:24
	s_wait_alu 0xfffe
	s_or_b32 exec_lo, exec_lo, s0
	s_wait_loadcnt_dscnt 0x0
	s_setpc_b64 s[30:31]
.Lfunc_end211:
	.size	_ZN7rocprim17ROCPRIM_400000_NS6detail26segmented_warp_sort_helperINS1_20WarpSortHelperConfigILj8ELj4ELj256EEEhlLi256ELb0EvE4sortIPKhPhPKlPlEEvT_T0_T1_T2_jjjjRNS5_12storage_typeE, .Lfunc_end211-_ZN7rocprim17ROCPRIM_400000_NS6detail26segmented_warp_sort_helperINS1_20WarpSortHelperConfigILj8ELj4ELj256EEEhlLi256ELb0EvE4sortIPKhPhPKlPlEEvT_T0_T1_T2_jjjjRNS5_12storage_typeE
                                        ; -- End function
	.set .L_ZN7rocprim17ROCPRIM_400000_NS6detail26segmented_warp_sort_helperINS1_20WarpSortHelperConfigILj8ELj4ELj256EEEhlLi256ELb0EvE4sortIPKhPhPKlPlEEvT_T0_T1_T2_jjjjRNS5_12storage_typeE.num_vgpr, 51
	.set .L_ZN7rocprim17ROCPRIM_400000_NS6detail26segmented_warp_sort_helperINS1_20WarpSortHelperConfigILj8ELj4ELj256EEEhlLi256ELb0EvE4sortIPKhPhPKlPlEEvT_T0_T1_T2_jjjjRNS5_12storage_typeE.num_agpr, 0
	.set .L_ZN7rocprim17ROCPRIM_400000_NS6detail26segmented_warp_sort_helperINS1_20WarpSortHelperConfigILj8ELj4ELj256EEEhlLi256ELb0EvE4sortIPKhPhPKlPlEEvT_T0_T1_T2_jjjjRNS5_12storage_typeE.numbered_sgpr, 32
	.set .L_ZN7rocprim17ROCPRIM_400000_NS6detail26segmented_warp_sort_helperINS1_20WarpSortHelperConfigILj8ELj4ELj256EEEhlLi256ELb0EvE4sortIPKhPhPKlPlEEvT_T0_T1_T2_jjjjRNS5_12storage_typeE.num_named_barrier, 0
	.set .L_ZN7rocprim17ROCPRIM_400000_NS6detail26segmented_warp_sort_helperINS1_20WarpSortHelperConfigILj8ELj4ELj256EEEhlLi256ELb0EvE4sortIPKhPhPKlPlEEvT_T0_T1_T2_jjjjRNS5_12storage_typeE.private_seg_size, 0
	.set .L_ZN7rocprim17ROCPRIM_400000_NS6detail26segmented_warp_sort_helperINS1_20WarpSortHelperConfigILj8ELj4ELj256EEEhlLi256ELb0EvE4sortIPKhPhPKlPlEEvT_T0_T1_T2_jjjjRNS5_12storage_typeE.uses_vcc, 1
	.set .L_ZN7rocprim17ROCPRIM_400000_NS6detail26segmented_warp_sort_helperINS1_20WarpSortHelperConfigILj8ELj4ELj256EEEhlLi256ELb0EvE4sortIPKhPhPKlPlEEvT_T0_T1_T2_jjjjRNS5_12storage_typeE.uses_flat_scratch, 0
	.set .L_ZN7rocprim17ROCPRIM_400000_NS6detail26segmented_warp_sort_helperINS1_20WarpSortHelperConfigILj8ELj4ELj256EEEhlLi256ELb0EvE4sortIPKhPhPKlPlEEvT_T0_T1_T2_jjjjRNS5_12storage_typeE.has_dyn_sized_stack, 0
	.set .L_ZN7rocprim17ROCPRIM_400000_NS6detail26segmented_warp_sort_helperINS1_20WarpSortHelperConfigILj8ELj4ELj256EEEhlLi256ELb0EvE4sortIPKhPhPKlPlEEvT_T0_T1_T2_jjjjRNS5_12storage_typeE.has_recursion, 0
	.set .L_ZN7rocprim17ROCPRIM_400000_NS6detail26segmented_warp_sort_helperINS1_20WarpSortHelperConfigILj8ELj4ELj256EEEhlLi256ELb0EvE4sortIPKhPhPKlPlEEvT_T0_T1_T2_jjjjRNS5_12storage_typeE.has_indirect_call, 0
	.section	.AMDGPU.csdata,"",@progbits
; Function info:
; codeLenInByte = 9336
; TotalNumSgprs: 34
; NumVgprs: 51
; ScratchSize: 0
; MemoryBound: 0
	.section	.text._ZN7rocprim17ROCPRIM_400000_NS6detail17trampoline_kernelINS0_14default_configENS1_36segmented_radix_sort_config_selectorIhlEEZNS1_25segmented_radix_sort_implIS3_Lb0EPKhPhPKlPlN2at6native12_GLOBAL__N_18offset_tEEE10hipError_tPvRmT1_PNSt15iterator_traitsISK_E10value_typeET2_T3_PNSL_ISQ_E10value_typeET4_jRbjT5_SW_jjP12ihipStream_tbEUlT_E1_NS1_11comp_targetILNS1_3genE10ELNS1_11target_archE1201ELNS1_3gpuE5ELNS1_3repE0EEENS1_59segmented_radix_sort_warp_sort_small_config_static_selectorELNS0_4arch9wavefront6targetE0EEEvSK_,"axG",@progbits,_ZN7rocprim17ROCPRIM_400000_NS6detail17trampoline_kernelINS0_14default_configENS1_36segmented_radix_sort_config_selectorIhlEEZNS1_25segmented_radix_sort_implIS3_Lb0EPKhPhPKlPlN2at6native12_GLOBAL__N_18offset_tEEE10hipError_tPvRmT1_PNSt15iterator_traitsISK_E10value_typeET2_T3_PNSL_ISQ_E10value_typeET4_jRbjT5_SW_jjP12ihipStream_tbEUlT_E1_NS1_11comp_targetILNS1_3genE10ELNS1_11target_archE1201ELNS1_3gpuE5ELNS1_3repE0EEENS1_59segmented_radix_sort_warp_sort_small_config_static_selectorELNS0_4arch9wavefront6targetE0EEEvSK_,comdat
	.globl	_ZN7rocprim17ROCPRIM_400000_NS6detail17trampoline_kernelINS0_14default_configENS1_36segmented_radix_sort_config_selectorIhlEEZNS1_25segmented_radix_sort_implIS3_Lb0EPKhPhPKlPlN2at6native12_GLOBAL__N_18offset_tEEE10hipError_tPvRmT1_PNSt15iterator_traitsISK_E10value_typeET2_T3_PNSL_ISQ_E10value_typeET4_jRbjT5_SW_jjP12ihipStream_tbEUlT_E1_NS1_11comp_targetILNS1_3genE10ELNS1_11target_archE1201ELNS1_3gpuE5ELNS1_3repE0EEENS1_59segmented_radix_sort_warp_sort_small_config_static_selectorELNS0_4arch9wavefront6targetE0EEEvSK_ ; -- Begin function _ZN7rocprim17ROCPRIM_400000_NS6detail17trampoline_kernelINS0_14default_configENS1_36segmented_radix_sort_config_selectorIhlEEZNS1_25segmented_radix_sort_implIS3_Lb0EPKhPhPKlPlN2at6native12_GLOBAL__N_18offset_tEEE10hipError_tPvRmT1_PNSt15iterator_traitsISK_E10value_typeET2_T3_PNSL_ISQ_E10value_typeET4_jRbjT5_SW_jjP12ihipStream_tbEUlT_E1_NS1_11comp_targetILNS1_3genE10ELNS1_11target_archE1201ELNS1_3gpuE5ELNS1_3repE0EEENS1_59segmented_radix_sort_warp_sort_small_config_static_selectorELNS0_4arch9wavefront6targetE0EEEvSK_
	.p2align	8
	.type	_ZN7rocprim17ROCPRIM_400000_NS6detail17trampoline_kernelINS0_14default_configENS1_36segmented_radix_sort_config_selectorIhlEEZNS1_25segmented_radix_sort_implIS3_Lb0EPKhPhPKlPlN2at6native12_GLOBAL__N_18offset_tEEE10hipError_tPvRmT1_PNSt15iterator_traitsISK_E10value_typeET2_T3_PNSL_ISQ_E10value_typeET4_jRbjT5_SW_jjP12ihipStream_tbEUlT_E1_NS1_11comp_targetILNS1_3genE10ELNS1_11target_archE1201ELNS1_3gpuE5ELNS1_3repE0EEENS1_59segmented_radix_sort_warp_sort_small_config_static_selectorELNS0_4arch9wavefront6targetE0EEEvSK_,@function
_ZN7rocprim17ROCPRIM_400000_NS6detail17trampoline_kernelINS0_14default_configENS1_36segmented_radix_sort_config_selectorIhlEEZNS1_25segmented_radix_sort_implIS3_Lb0EPKhPhPKlPlN2at6native12_GLOBAL__N_18offset_tEEE10hipError_tPvRmT1_PNSt15iterator_traitsISK_E10value_typeET2_T3_PNSL_ISQ_E10value_typeET4_jRbjT5_SW_jjP12ihipStream_tbEUlT_E1_NS1_11comp_targetILNS1_3genE10ELNS1_11target_archE1201ELNS1_3gpuE5ELNS1_3repE0EEENS1_59segmented_radix_sort_warp_sort_small_config_static_selectorELNS0_4arch9wavefront6targetE0EEEvSK_: ; @_ZN7rocprim17ROCPRIM_400000_NS6detail17trampoline_kernelINS0_14default_configENS1_36segmented_radix_sort_config_selectorIhlEEZNS1_25segmented_radix_sort_implIS3_Lb0EPKhPhPKlPlN2at6native12_GLOBAL__N_18offset_tEEE10hipError_tPvRmT1_PNSt15iterator_traitsISK_E10value_typeET2_T3_PNSL_ISQ_E10value_typeET4_jRbjT5_SW_jjP12ihipStream_tbEUlT_E1_NS1_11comp_targetILNS1_3genE10ELNS1_11target_archE1201ELNS1_3gpuE5ELNS1_3repE0EEENS1_59segmented_radix_sort_warp_sort_small_config_static_selectorELNS0_4arch9wavefront6targetE0EEEvSK_
; %bb.0:
	s_load_b32 s2, s[0:1], 0x64
	v_bfe_u32 v1, v0, 10, 10
	v_bfe_u32 v2, v0, 20, 10
	s_mov_b32 s32, 0
	s_wait_kmcnt 0x0
	s_lshr_b32 s3, s2, 16
	s_and_b32 s2, s2, 0xffff
	v_mad_u32_u24 v2, v2, s3, v1
	v_and_b32_e32 v1, 0x3ff, v0
	s_load_b32 s3, s[0:1], 0x34
	s_delay_alu instid0(VALU_DEP_1) | instskip(SKIP_2) | instid1(VALU_DEP_1)
	v_mad_co_u64_u32 v[1:2], null, v2, s2, v[1:2]
	s_mov_b32 s2, exec_lo
	v_lshrrev_b32_e32 v1, 3, v1
	v_lshl_add_u32 v1, ttmp9, 5, v1
	s_wait_kmcnt 0x0
	s_delay_alu instid0(VALU_DEP_1)
	v_cmpx_gt_u32_e64 s3, v1
	s_cbranch_execz .LBB212_6
; %bb.1:
	s_clause 0x1
	s_load_b64 s[2:3], s[0:1], 0x38
	s_load_b128 s[4:7], s[0:1], 0x40
	v_mov_b32_e32 v2, 0
	s_delay_alu instid0(VALU_DEP_1) | instskip(SKIP_1) | instid1(VALU_DEP_1)
	v_lshlrev_b64_e32 v[1:2], 2, v[1:2]
	s_wait_kmcnt 0x0
	v_sub_co_u32 v1, vcc_lo, s2, v1
	s_delay_alu instid0(VALU_DEP_1) | instskip(SKIP_4) | instid1(VALU_DEP_2)
	v_sub_co_ci_u32_e64 v2, null, s3, v2, vcc_lo
	global_load_b32 v1, v[1:2], off offset:-4
	s_wait_loadcnt 0x0
	v_add_nc_u32_e32 v2, s5, v1
	v_add_nc_u32_e32 v1, s7, v1
	v_mul_lo_u32 v8, v2, s4
	s_delay_alu instid0(VALU_DEP_2) | instskip(NEXT) | instid1(VALU_DEP_1)
	v_mul_lo_u32 v40, v1, s6
	v_cmp_gt_u32_e32 vcc_lo, v40, v8
	s_and_b32 exec_lo, exec_lo, vcc_lo
	s_cbranch_execz .LBB212_6
; %bb.2:
	s_clause 0x3
	s_load_b32 s2, s[0:1], 0x30
	s_load_b128 s[24:27], s[0:1], 0x20
	s_load_b256 s[16:23], s[0:1], 0x0
	s_load_b64 s[28:29], s[0:1], 0x50
	s_add_nc_u64 s[14:15], s[0:1], 0x58
	s_wait_kmcnt 0x0
	s_bitcmp0_b32 s2, 0
	s_mov_b32 s2, -1
	s_cbranch_scc0 .LBB212_4
; %bb.3:
	s_mov_b64 s[0:1], src_shared_base
	v_mov_b32_e32 v31, v0
	v_dual_mov_b32 v41, v0 :: v_dual_mov_b32 v2, s18
	v_dual_mov_b32 v0, s16 :: v_dual_mov_b32 v1, s17
	;; [unrolled: 1-line block ×6, first 2 shown]
	v_mov_b32_e32 v11, s29
	s_wait_alu 0xfffe
	v_mov_b32_e32 v13, s1
	s_getpc_b64 s[2:3]
	s_wait_alu 0xfffe
	s_sext_i32_i16 s3, s3
	s_add_co_u32 s2, s2, _ZN7rocprim17ROCPRIM_400000_NS6detail26segmented_warp_sort_helperINS1_20WarpSortHelperConfigILj8ELj4ELj256EEEhlLi256ELb0EvE4sortIPKhPhPKlPlEEvT_T0_T1_T2_jjjjRNS5_12storage_typeE@rel32@lo+12
	s_wait_alu 0xfffe
	s_add_co_ci_u32 s3, s3, _ZN7rocprim17ROCPRIM_400000_NS6detail26segmented_warp_sort_helperINS1_20WarpSortHelperConfigILj8ELj4ELj256EEEhlLi256ELb0EvE4sortIPKhPhPKlPlEEvT_T0_T1_T2_jjjjRNS5_12storage_typeE@rel32@hi+24
	s_mov_b64 s[8:9], s[14:15]
	s_wait_alu 0xfffe
	s_swappc_b64 s[30:31], s[2:3]
	v_mov_b32_e32 v0, v41
	s_mov_b32 s2, 0
.LBB212_4:
	s_wait_alu 0xfffe
	s_and_not1_b32 vcc_lo, exec_lo, s2
	s_wait_alu 0xfffe
	s_cbranch_vccnz .LBB212_6
; %bb.5:
	s_mov_b64 s[0:1], src_shared_base
	v_dual_mov_b32 v31, v0 :: v_dual_mov_b32 v0, s16
	v_dual_mov_b32 v1, s17 :: v_dual_mov_b32 v2, s20
	;; [unrolled: 1-line block ×6, first 2 shown]
	v_mov_b32_e32 v11, s29
	s_wait_alu 0xfffe
	v_mov_b32_e32 v13, s1
	s_getpc_b64 s[2:3]
	s_wait_alu 0xfffe
	s_sext_i32_i16 s3, s3
	s_add_co_u32 s2, s2, _ZN7rocprim17ROCPRIM_400000_NS6detail26segmented_warp_sort_helperINS1_20WarpSortHelperConfigILj8ELj4ELj256EEEhlLi256ELb0EvE4sortIPKhPhPKlPlEEvT_T0_T1_T2_jjjjRNS5_12storage_typeE@rel32@lo+12
	s_wait_alu 0xfffe
	s_add_co_ci_u32 s3, s3, _ZN7rocprim17ROCPRIM_400000_NS6detail26segmented_warp_sort_helperINS1_20WarpSortHelperConfigILj8ELj4ELj256EEEhlLi256ELb0EvE4sortIPKhPhPKlPlEEvT_T0_T1_T2_jjjjRNS5_12storage_typeE@rel32@hi+24
	s_mov_b64 s[8:9], s[14:15]
	s_wait_alu 0xfffe
	s_swappc_b64 s[30:31], s[2:3]
.LBB212_6:
	s_endpgm
	.section	.rodata,"a",@progbits
	.p2align	6, 0x0
	.amdhsa_kernel _ZN7rocprim17ROCPRIM_400000_NS6detail17trampoline_kernelINS0_14default_configENS1_36segmented_radix_sort_config_selectorIhlEEZNS1_25segmented_radix_sort_implIS3_Lb0EPKhPhPKlPlN2at6native12_GLOBAL__N_18offset_tEEE10hipError_tPvRmT1_PNSt15iterator_traitsISK_E10value_typeET2_T3_PNSL_ISQ_E10value_typeET4_jRbjT5_SW_jjP12ihipStream_tbEUlT_E1_NS1_11comp_targetILNS1_3genE10ELNS1_11target_archE1201ELNS1_3gpuE5ELNS1_3repE0EEENS1_59segmented_radix_sort_warp_sort_small_config_static_selectorELNS0_4arch9wavefront6targetE0EEEvSK_
		.amdhsa_group_segment_fixed_size 9216
		.amdhsa_private_segment_fixed_size 0
		.amdhsa_kernarg_size 344
		.amdhsa_user_sgpr_count 2
		.amdhsa_user_sgpr_dispatch_ptr 0
		.amdhsa_user_sgpr_queue_ptr 0
		.amdhsa_user_sgpr_kernarg_segment_ptr 1
		.amdhsa_user_sgpr_dispatch_id 0
		.amdhsa_user_sgpr_private_segment_size 0
		.amdhsa_wavefront_size32 1
		.amdhsa_uses_dynamic_stack 0
		.amdhsa_enable_private_segment 0
		.amdhsa_system_sgpr_workgroup_id_x 1
		.amdhsa_system_sgpr_workgroup_id_y 1
		.amdhsa_system_sgpr_workgroup_id_z 0
		.amdhsa_system_sgpr_workgroup_info 0
		.amdhsa_system_vgpr_workitem_id 2
		.amdhsa_next_free_vgpr 51
		.amdhsa_next_free_sgpr 33
		.amdhsa_reserve_vcc 1
		.amdhsa_float_round_mode_32 0
		.amdhsa_float_round_mode_16_64 0
		.amdhsa_float_denorm_mode_32 3
		.amdhsa_float_denorm_mode_16_64 3
		.amdhsa_fp16_overflow 0
		.amdhsa_workgroup_processor_mode 1
		.amdhsa_memory_ordered 1
		.amdhsa_forward_progress 1
		.amdhsa_inst_pref_size 5
		.amdhsa_round_robin_scheduling 0
		.amdhsa_exception_fp_ieee_invalid_op 0
		.amdhsa_exception_fp_denorm_src 0
		.amdhsa_exception_fp_ieee_div_zero 0
		.amdhsa_exception_fp_ieee_overflow 0
		.amdhsa_exception_fp_ieee_underflow 0
		.amdhsa_exception_fp_ieee_inexact 0
		.amdhsa_exception_int_div_zero 0
	.end_amdhsa_kernel
	.section	.text._ZN7rocprim17ROCPRIM_400000_NS6detail17trampoline_kernelINS0_14default_configENS1_36segmented_radix_sort_config_selectorIhlEEZNS1_25segmented_radix_sort_implIS3_Lb0EPKhPhPKlPlN2at6native12_GLOBAL__N_18offset_tEEE10hipError_tPvRmT1_PNSt15iterator_traitsISK_E10value_typeET2_T3_PNSL_ISQ_E10value_typeET4_jRbjT5_SW_jjP12ihipStream_tbEUlT_E1_NS1_11comp_targetILNS1_3genE10ELNS1_11target_archE1201ELNS1_3gpuE5ELNS1_3repE0EEENS1_59segmented_radix_sort_warp_sort_small_config_static_selectorELNS0_4arch9wavefront6targetE0EEEvSK_,"axG",@progbits,_ZN7rocprim17ROCPRIM_400000_NS6detail17trampoline_kernelINS0_14default_configENS1_36segmented_radix_sort_config_selectorIhlEEZNS1_25segmented_radix_sort_implIS3_Lb0EPKhPhPKlPlN2at6native12_GLOBAL__N_18offset_tEEE10hipError_tPvRmT1_PNSt15iterator_traitsISK_E10value_typeET2_T3_PNSL_ISQ_E10value_typeET4_jRbjT5_SW_jjP12ihipStream_tbEUlT_E1_NS1_11comp_targetILNS1_3genE10ELNS1_11target_archE1201ELNS1_3gpuE5ELNS1_3repE0EEENS1_59segmented_radix_sort_warp_sort_small_config_static_selectorELNS0_4arch9wavefront6targetE0EEEvSK_,comdat
.Lfunc_end212:
	.size	_ZN7rocprim17ROCPRIM_400000_NS6detail17trampoline_kernelINS0_14default_configENS1_36segmented_radix_sort_config_selectorIhlEEZNS1_25segmented_radix_sort_implIS3_Lb0EPKhPhPKlPlN2at6native12_GLOBAL__N_18offset_tEEE10hipError_tPvRmT1_PNSt15iterator_traitsISK_E10value_typeET2_T3_PNSL_ISQ_E10value_typeET4_jRbjT5_SW_jjP12ihipStream_tbEUlT_E1_NS1_11comp_targetILNS1_3genE10ELNS1_11target_archE1201ELNS1_3gpuE5ELNS1_3repE0EEENS1_59segmented_radix_sort_warp_sort_small_config_static_selectorELNS0_4arch9wavefront6targetE0EEEvSK_, .Lfunc_end212-_ZN7rocprim17ROCPRIM_400000_NS6detail17trampoline_kernelINS0_14default_configENS1_36segmented_radix_sort_config_selectorIhlEEZNS1_25segmented_radix_sort_implIS3_Lb0EPKhPhPKlPlN2at6native12_GLOBAL__N_18offset_tEEE10hipError_tPvRmT1_PNSt15iterator_traitsISK_E10value_typeET2_T3_PNSL_ISQ_E10value_typeET4_jRbjT5_SW_jjP12ihipStream_tbEUlT_E1_NS1_11comp_targetILNS1_3genE10ELNS1_11target_archE1201ELNS1_3gpuE5ELNS1_3repE0EEENS1_59segmented_radix_sort_warp_sort_small_config_static_selectorELNS0_4arch9wavefront6targetE0EEEvSK_
                                        ; -- End function
	.set _ZN7rocprim17ROCPRIM_400000_NS6detail17trampoline_kernelINS0_14default_configENS1_36segmented_radix_sort_config_selectorIhlEEZNS1_25segmented_radix_sort_implIS3_Lb0EPKhPhPKlPlN2at6native12_GLOBAL__N_18offset_tEEE10hipError_tPvRmT1_PNSt15iterator_traitsISK_E10value_typeET2_T3_PNSL_ISQ_E10value_typeET4_jRbjT5_SW_jjP12ihipStream_tbEUlT_E1_NS1_11comp_targetILNS1_3genE10ELNS1_11target_archE1201ELNS1_3gpuE5ELNS1_3repE0EEENS1_59segmented_radix_sort_warp_sort_small_config_static_selectorELNS0_4arch9wavefront6targetE0EEEvSK_.num_vgpr, max(42, .L_ZN7rocprim17ROCPRIM_400000_NS6detail26segmented_warp_sort_helperINS1_20WarpSortHelperConfigILj8ELj4ELj256EEEhlLi256ELb0EvE4sortIPKhPhPKlPlEEvT_T0_T1_T2_jjjjRNS5_12storage_typeE.num_vgpr)
	.set _ZN7rocprim17ROCPRIM_400000_NS6detail17trampoline_kernelINS0_14default_configENS1_36segmented_radix_sort_config_selectorIhlEEZNS1_25segmented_radix_sort_implIS3_Lb0EPKhPhPKlPlN2at6native12_GLOBAL__N_18offset_tEEE10hipError_tPvRmT1_PNSt15iterator_traitsISK_E10value_typeET2_T3_PNSL_ISQ_E10value_typeET4_jRbjT5_SW_jjP12ihipStream_tbEUlT_E1_NS1_11comp_targetILNS1_3genE10ELNS1_11target_archE1201ELNS1_3gpuE5ELNS1_3repE0EEENS1_59segmented_radix_sort_warp_sort_small_config_static_selectorELNS0_4arch9wavefront6targetE0EEEvSK_.num_agpr, max(0, .L_ZN7rocprim17ROCPRIM_400000_NS6detail26segmented_warp_sort_helperINS1_20WarpSortHelperConfigILj8ELj4ELj256EEEhlLi256ELb0EvE4sortIPKhPhPKlPlEEvT_T0_T1_T2_jjjjRNS5_12storage_typeE.num_agpr)
	.set _ZN7rocprim17ROCPRIM_400000_NS6detail17trampoline_kernelINS0_14default_configENS1_36segmented_radix_sort_config_selectorIhlEEZNS1_25segmented_radix_sort_implIS3_Lb0EPKhPhPKlPlN2at6native12_GLOBAL__N_18offset_tEEE10hipError_tPvRmT1_PNSt15iterator_traitsISK_E10value_typeET2_T3_PNSL_ISQ_E10value_typeET4_jRbjT5_SW_jjP12ihipStream_tbEUlT_E1_NS1_11comp_targetILNS1_3genE10ELNS1_11target_archE1201ELNS1_3gpuE5ELNS1_3repE0EEENS1_59segmented_radix_sort_warp_sort_small_config_static_selectorELNS0_4arch9wavefront6targetE0EEEvSK_.numbered_sgpr, max(33, .L_ZN7rocprim17ROCPRIM_400000_NS6detail26segmented_warp_sort_helperINS1_20WarpSortHelperConfigILj8ELj4ELj256EEEhlLi256ELb0EvE4sortIPKhPhPKlPlEEvT_T0_T1_T2_jjjjRNS5_12storage_typeE.numbered_sgpr)
	.set _ZN7rocprim17ROCPRIM_400000_NS6detail17trampoline_kernelINS0_14default_configENS1_36segmented_radix_sort_config_selectorIhlEEZNS1_25segmented_radix_sort_implIS3_Lb0EPKhPhPKlPlN2at6native12_GLOBAL__N_18offset_tEEE10hipError_tPvRmT1_PNSt15iterator_traitsISK_E10value_typeET2_T3_PNSL_ISQ_E10value_typeET4_jRbjT5_SW_jjP12ihipStream_tbEUlT_E1_NS1_11comp_targetILNS1_3genE10ELNS1_11target_archE1201ELNS1_3gpuE5ELNS1_3repE0EEENS1_59segmented_radix_sort_warp_sort_small_config_static_selectorELNS0_4arch9wavefront6targetE0EEEvSK_.num_named_barrier, max(0, .L_ZN7rocprim17ROCPRIM_400000_NS6detail26segmented_warp_sort_helperINS1_20WarpSortHelperConfigILj8ELj4ELj256EEEhlLi256ELb0EvE4sortIPKhPhPKlPlEEvT_T0_T1_T2_jjjjRNS5_12storage_typeE.num_named_barrier)
	.set _ZN7rocprim17ROCPRIM_400000_NS6detail17trampoline_kernelINS0_14default_configENS1_36segmented_radix_sort_config_selectorIhlEEZNS1_25segmented_radix_sort_implIS3_Lb0EPKhPhPKlPlN2at6native12_GLOBAL__N_18offset_tEEE10hipError_tPvRmT1_PNSt15iterator_traitsISK_E10value_typeET2_T3_PNSL_ISQ_E10value_typeET4_jRbjT5_SW_jjP12ihipStream_tbEUlT_E1_NS1_11comp_targetILNS1_3genE10ELNS1_11target_archE1201ELNS1_3gpuE5ELNS1_3repE0EEENS1_59segmented_radix_sort_warp_sort_small_config_static_selectorELNS0_4arch9wavefront6targetE0EEEvSK_.private_seg_size, 0+max(.L_ZN7rocprim17ROCPRIM_400000_NS6detail26segmented_warp_sort_helperINS1_20WarpSortHelperConfigILj8ELj4ELj256EEEhlLi256ELb0EvE4sortIPKhPhPKlPlEEvT_T0_T1_T2_jjjjRNS5_12storage_typeE.private_seg_size)
	.set _ZN7rocprim17ROCPRIM_400000_NS6detail17trampoline_kernelINS0_14default_configENS1_36segmented_radix_sort_config_selectorIhlEEZNS1_25segmented_radix_sort_implIS3_Lb0EPKhPhPKlPlN2at6native12_GLOBAL__N_18offset_tEEE10hipError_tPvRmT1_PNSt15iterator_traitsISK_E10value_typeET2_T3_PNSL_ISQ_E10value_typeET4_jRbjT5_SW_jjP12ihipStream_tbEUlT_E1_NS1_11comp_targetILNS1_3genE10ELNS1_11target_archE1201ELNS1_3gpuE5ELNS1_3repE0EEENS1_59segmented_radix_sort_warp_sort_small_config_static_selectorELNS0_4arch9wavefront6targetE0EEEvSK_.uses_vcc, or(1, .L_ZN7rocprim17ROCPRIM_400000_NS6detail26segmented_warp_sort_helperINS1_20WarpSortHelperConfigILj8ELj4ELj256EEEhlLi256ELb0EvE4sortIPKhPhPKlPlEEvT_T0_T1_T2_jjjjRNS5_12storage_typeE.uses_vcc)
	.set _ZN7rocprim17ROCPRIM_400000_NS6detail17trampoline_kernelINS0_14default_configENS1_36segmented_radix_sort_config_selectorIhlEEZNS1_25segmented_radix_sort_implIS3_Lb0EPKhPhPKlPlN2at6native12_GLOBAL__N_18offset_tEEE10hipError_tPvRmT1_PNSt15iterator_traitsISK_E10value_typeET2_T3_PNSL_ISQ_E10value_typeET4_jRbjT5_SW_jjP12ihipStream_tbEUlT_E1_NS1_11comp_targetILNS1_3genE10ELNS1_11target_archE1201ELNS1_3gpuE5ELNS1_3repE0EEENS1_59segmented_radix_sort_warp_sort_small_config_static_selectorELNS0_4arch9wavefront6targetE0EEEvSK_.uses_flat_scratch, or(0, .L_ZN7rocprim17ROCPRIM_400000_NS6detail26segmented_warp_sort_helperINS1_20WarpSortHelperConfigILj8ELj4ELj256EEEhlLi256ELb0EvE4sortIPKhPhPKlPlEEvT_T0_T1_T2_jjjjRNS5_12storage_typeE.uses_flat_scratch)
	.set _ZN7rocprim17ROCPRIM_400000_NS6detail17trampoline_kernelINS0_14default_configENS1_36segmented_radix_sort_config_selectorIhlEEZNS1_25segmented_radix_sort_implIS3_Lb0EPKhPhPKlPlN2at6native12_GLOBAL__N_18offset_tEEE10hipError_tPvRmT1_PNSt15iterator_traitsISK_E10value_typeET2_T3_PNSL_ISQ_E10value_typeET4_jRbjT5_SW_jjP12ihipStream_tbEUlT_E1_NS1_11comp_targetILNS1_3genE10ELNS1_11target_archE1201ELNS1_3gpuE5ELNS1_3repE0EEENS1_59segmented_radix_sort_warp_sort_small_config_static_selectorELNS0_4arch9wavefront6targetE0EEEvSK_.has_dyn_sized_stack, or(0, .L_ZN7rocprim17ROCPRIM_400000_NS6detail26segmented_warp_sort_helperINS1_20WarpSortHelperConfigILj8ELj4ELj256EEEhlLi256ELb0EvE4sortIPKhPhPKlPlEEvT_T0_T1_T2_jjjjRNS5_12storage_typeE.has_dyn_sized_stack)
	.set _ZN7rocprim17ROCPRIM_400000_NS6detail17trampoline_kernelINS0_14default_configENS1_36segmented_radix_sort_config_selectorIhlEEZNS1_25segmented_radix_sort_implIS3_Lb0EPKhPhPKlPlN2at6native12_GLOBAL__N_18offset_tEEE10hipError_tPvRmT1_PNSt15iterator_traitsISK_E10value_typeET2_T3_PNSL_ISQ_E10value_typeET4_jRbjT5_SW_jjP12ihipStream_tbEUlT_E1_NS1_11comp_targetILNS1_3genE10ELNS1_11target_archE1201ELNS1_3gpuE5ELNS1_3repE0EEENS1_59segmented_radix_sort_warp_sort_small_config_static_selectorELNS0_4arch9wavefront6targetE0EEEvSK_.has_recursion, or(0, .L_ZN7rocprim17ROCPRIM_400000_NS6detail26segmented_warp_sort_helperINS1_20WarpSortHelperConfigILj8ELj4ELj256EEEhlLi256ELb0EvE4sortIPKhPhPKlPlEEvT_T0_T1_T2_jjjjRNS5_12storage_typeE.has_recursion)
	.set _ZN7rocprim17ROCPRIM_400000_NS6detail17trampoline_kernelINS0_14default_configENS1_36segmented_radix_sort_config_selectorIhlEEZNS1_25segmented_radix_sort_implIS3_Lb0EPKhPhPKlPlN2at6native12_GLOBAL__N_18offset_tEEE10hipError_tPvRmT1_PNSt15iterator_traitsISK_E10value_typeET2_T3_PNSL_ISQ_E10value_typeET4_jRbjT5_SW_jjP12ihipStream_tbEUlT_E1_NS1_11comp_targetILNS1_3genE10ELNS1_11target_archE1201ELNS1_3gpuE5ELNS1_3repE0EEENS1_59segmented_radix_sort_warp_sort_small_config_static_selectorELNS0_4arch9wavefront6targetE0EEEvSK_.has_indirect_call, or(0, .L_ZN7rocprim17ROCPRIM_400000_NS6detail26segmented_warp_sort_helperINS1_20WarpSortHelperConfigILj8ELj4ELj256EEEhlLi256ELb0EvE4sortIPKhPhPKlPlEEvT_T0_T1_T2_jjjjRNS5_12storage_typeE.has_indirect_call)
	.section	.AMDGPU.csdata,"",@progbits
; Kernel info:
; codeLenInByte = 536
; TotalNumSgprs: 35
; NumVgprs: 51
; ScratchSize: 0
; MemoryBound: 0
; FloatMode: 240
; IeeeMode: 1
; LDSByteSize: 9216 bytes/workgroup (compile time only)
; SGPRBlocks: 0
; VGPRBlocks: 6
; NumSGPRsForWavesPerEU: 35
; NumVGPRsForWavesPerEU: 51
; Occupancy: 16
; WaveLimiterHint : 0
; COMPUTE_PGM_RSRC2:SCRATCH_EN: 0
; COMPUTE_PGM_RSRC2:USER_SGPR: 2
; COMPUTE_PGM_RSRC2:TRAP_HANDLER: 0
; COMPUTE_PGM_RSRC2:TGID_X_EN: 1
; COMPUTE_PGM_RSRC2:TGID_Y_EN: 1
; COMPUTE_PGM_RSRC2:TGID_Z_EN: 0
; COMPUTE_PGM_RSRC2:TIDIG_COMP_CNT: 2
	.section	.text._ZN7rocprim17ROCPRIM_400000_NS6detail17trampoline_kernelINS0_14default_configENS1_36segmented_radix_sort_config_selectorIhlEEZNS1_25segmented_radix_sort_implIS3_Lb0EPKhPhPKlPlN2at6native12_GLOBAL__N_18offset_tEEE10hipError_tPvRmT1_PNSt15iterator_traitsISK_E10value_typeET2_T3_PNSL_ISQ_E10value_typeET4_jRbjT5_SW_jjP12ihipStream_tbEUlT_E1_NS1_11comp_targetILNS1_3genE10ELNS1_11target_archE1200ELNS1_3gpuE4ELNS1_3repE0EEENS1_59segmented_radix_sort_warp_sort_small_config_static_selectorELNS0_4arch9wavefront6targetE0EEEvSK_,"axG",@progbits,_ZN7rocprim17ROCPRIM_400000_NS6detail17trampoline_kernelINS0_14default_configENS1_36segmented_radix_sort_config_selectorIhlEEZNS1_25segmented_radix_sort_implIS3_Lb0EPKhPhPKlPlN2at6native12_GLOBAL__N_18offset_tEEE10hipError_tPvRmT1_PNSt15iterator_traitsISK_E10value_typeET2_T3_PNSL_ISQ_E10value_typeET4_jRbjT5_SW_jjP12ihipStream_tbEUlT_E1_NS1_11comp_targetILNS1_3genE10ELNS1_11target_archE1200ELNS1_3gpuE4ELNS1_3repE0EEENS1_59segmented_radix_sort_warp_sort_small_config_static_selectorELNS0_4arch9wavefront6targetE0EEEvSK_,comdat
	.globl	_ZN7rocprim17ROCPRIM_400000_NS6detail17trampoline_kernelINS0_14default_configENS1_36segmented_radix_sort_config_selectorIhlEEZNS1_25segmented_radix_sort_implIS3_Lb0EPKhPhPKlPlN2at6native12_GLOBAL__N_18offset_tEEE10hipError_tPvRmT1_PNSt15iterator_traitsISK_E10value_typeET2_T3_PNSL_ISQ_E10value_typeET4_jRbjT5_SW_jjP12ihipStream_tbEUlT_E1_NS1_11comp_targetILNS1_3genE10ELNS1_11target_archE1200ELNS1_3gpuE4ELNS1_3repE0EEENS1_59segmented_radix_sort_warp_sort_small_config_static_selectorELNS0_4arch9wavefront6targetE0EEEvSK_ ; -- Begin function _ZN7rocprim17ROCPRIM_400000_NS6detail17trampoline_kernelINS0_14default_configENS1_36segmented_radix_sort_config_selectorIhlEEZNS1_25segmented_radix_sort_implIS3_Lb0EPKhPhPKlPlN2at6native12_GLOBAL__N_18offset_tEEE10hipError_tPvRmT1_PNSt15iterator_traitsISK_E10value_typeET2_T3_PNSL_ISQ_E10value_typeET4_jRbjT5_SW_jjP12ihipStream_tbEUlT_E1_NS1_11comp_targetILNS1_3genE10ELNS1_11target_archE1200ELNS1_3gpuE4ELNS1_3repE0EEENS1_59segmented_radix_sort_warp_sort_small_config_static_selectorELNS0_4arch9wavefront6targetE0EEEvSK_
	.p2align	8
	.type	_ZN7rocprim17ROCPRIM_400000_NS6detail17trampoline_kernelINS0_14default_configENS1_36segmented_radix_sort_config_selectorIhlEEZNS1_25segmented_radix_sort_implIS3_Lb0EPKhPhPKlPlN2at6native12_GLOBAL__N_18offset_tEEE10hipError_tPvRmT1_PNSt15iterator_traitsISK_E10value_typeET2_T3_PNSL_ISQ_E10value_typeET4_jRbjT5_SW_jjP12ihipStream_tbEUlT_E1_NS1_11comp_targetILNS1_3genE10ELNS1_11target_archE1200ELNS1_3gpuE4ELNS1_3repE0EEENS1_59segmented_radix_sort_warp_sort_small_config_static_selectorELNS0_4arch9wavefront6targetE0EEEvSK_,@function
_ZN7rocprim17ROCPRIM_400000_NS6detail17trampoline_kernelINS0_14default_configENS1_36segmented_radix_sort_config_selectorIhlEEZNS1_25segmented_radix_sort_implIS3_Lb0EPKhPhPKlPlN2at6native12_GLOBAL__N_18offset_tEEE10hipError_tPvRmT1_PNSt15iterator_traitsISK_E10value_typeET2_T3_PNSL_ISQ_E10value_typeET4_jRbjT5_SW_jjP12ihipStream_tbEUlT_E1_NS1_11comp_targetILNS1_3genE10ELNS1_11target_archE1200ELNS1_3gpuE4ELNS1_3repE0EEENS1_59segmented_radix_sort_warp_sort_small_config_static_selectorELNS0_4arch9wavefront6targetE0EEEvSK_: ; @_ZN7rocprim17ROCPRIM_400000_NS6detail17trampoline_kernelINS0_14default_configENS1_36segmented_radix_sort_config_selectorIhlEEZNS1_25segmented_radix_sort_implIS3_Lb0EPKhPhPKlPlN2at6native12_GLOBAL__N_18offset_tEEE10hipError_tPvRmT1_PNSt15iterator_traitsISK_E10value_typeET2_T3_PNSL_ISQ_E10value_typeET4_jRbjT5_SW_jjP12ihipStream_tbEUlT_E1_NS1_11comp_targetILNS1_3genE10ELNS1_11target_archE1200ELNS1_3gpuE4ELNS1_3repE0EEENS1_59segmented_radix_sort_warp_sort_small_config_static_selectorELNS0_4arch9wavefront6targetE0EEEvSK_
; %bb.0:
	.section	.rodata,"a",@progbits
	.p2align	6, 0x0
	.amdhsa_kernel _ZN7rocprim17ROCPRIM_400000_NS6detail17trampoline_kernelINS0_14default_configENS1_36segmented_radix_sort_config_selectorIhlEEZNS1_25segmented_radix_sort_implIS3_Lb0EPKhPhPKlPlN2at6native12_GLOBAL__N_18offset_tEEE10hipError_tPvRmT1_PNSt15iterator_traitsISK_E10value_typeET2_T3_PNSL_ISQ_E10value_typeET4_jRbjT5_SW_jjP12ihipStream_tbEUlT_E1_NS1_11comp_targetILNS1_3genE10ELNS1_11target_archE1200ELNS1_3gpuE4ELNS1_3repE0EEENS1_59segmented_radix_sort_warp_sort_small_config_static_selectorELNS0_4arch9wavefront6targetE0EEEvSK_
		.amdhsa_group_segment_fixed_size 0
		.amdhsa_private_segment_fixed_size 0
		.amdhsa_kernarg_size 88
		.amdhsa_user_sgpr_count 2
		.amdhsa_user_sgpr_dispatch_ptr 0
		.amdhsa_user_sgpr_queue_ptr 0
		.amdhsa_user_sgpr_kernarg_segment_ptr 1
		.amdhsa_user_sgpr_dispatch_id 0
		.amdhsa_user_sgpr_private_segment_size 0
		.amdhsa_wavefront_size32 1
		.amdhsa_uses_dynamic_stack 0
		.amdhsa_enable_private_segment 0
		.amdhsa_system_sgpr_workgroup_id_x 1
		.amdhsa_system_sgpr_workgroup_id_y 0
		.amdhsa_system_sgpr_workgroup_id_z 0
		.amdhsa_system_sgpr_workgroup_info 0
		.amdhsa_system_vgpr_workitem_id 0
		.amdhsa_next_free_vgpr 1
		.amdhsa_next_free_sgpr 1
		.amdhsa_reserve_vcc 0
		.amdhsa_float_round_mode_32 0
		.amdhsa_float_round_mode_16_64 0
		.amdhsa_float_denorm_mode_32 3
		.amdhsa_float_denorm_mode_16_64 3
		.amdhsa_fp16_overflow 0
		.amdhsa_workgroup_processor_mode 1
		.amdhsa_memory_ordered 1
		.amdhsa_forward_progress 1
		.amdhsa_inst_pref_size 0
		.amdhsa_round_robin_scheduling 0
		.amdhsa_exception_fp_ieee_invalid_op 0
		.amdhsa_exception_fp_denorm_src 0
		.amdhsa_exception_fp_ieee_div_zero 0
		.amdhsa_exception_fp_ieee_overflow 0
		.amdhsa_exception_fp_ieee_underflow 0
		.amdhsa_exception_fp_ieee_inexact 0
		.amdhsa_exception_int_div_zero 0
	.end_amdhsa_kernel
	.section	.text._ZN7rocprim17ROCPRIM_400000_NS6detail17trampoline_kernelINS0_14default_configENS1_36segmented_radix_sort_config_selectorIhlEEZNS1_25segmented_radix_sort_implIS3_Lb0EPKhPhPKlPlN2at6native12_GLOBAL__N_18offset_tEEE10hipError_tPvRmT1_PNSt15iterator_traitsISK_E10value_typeET2_T3_PNSL_ISQ_E10value_typeET4_jRbjT5_SW_jjP12ihipStream_tbEUlT_E1_NS1_11comp_targetILNS1_3genE10ELNS1_11target_archE1200ELNS1_3gpuE4ELNS1_3repE0EEENS1_59segmented_radix_sort_warp_sort_small_config_static_selectorELNS0_4arch9wavefront6targetE0EEEvSK_,"axG",@progbits,_ZN7rocprim17ROCPRIM_400000_NS6detail17trampoline_kernelINS0_14default_configENS1_36segmented_radix_sort_config_selectorIhlEEZNS1_25segmented_radix_sort_implIS3_Lb0EPKhPhPKlPlN2at6native12_GLOBAL__N_18offset_tEEE10hipError_tPvRmT1_PNSt15iterator_traitsISK_E10value_typeET2_T3_PNSL_ISQ_E10value_typeET4_jRbjT5_SW_jjP12ihipStream_tbEUlT_E1_NS1_11comp_targetILNS1_3genE10ELNS1_11target_archE1200ELNS1_3gpuE4ELNS1_3repE0EEENS1_59segmented_radix_sort_warp_sort_small_config_static_selectorELNS0_4arch9wavefront6targetE0EEEvSK_,comdat
.Lfunc_end213:
	.size	_ZN7rocprim17ROCPRIM_400000_NS6detail17trampoline_kernelINS0_14default_configENS1_36segmented_radix_sort_config_selectorIhlEEZNS1_25segmented_radix_sort_implIS3_Lb0EPKhPhPKlPlN2at6native12_GLOBAL__N_18offset_tEEE10hipError_tPvRmT1_PNSt15iterator_traitsISK_E10value_typeET2_T3_PNSL_ISQ_E10value_typeET4_jRbjT5_SW_jjP12ihipStream_tbEUlT_E1_NS1_11comp_targetILNS1_3genE10ELNS1_11target_archE1200ELNS1_3gpuE4ELNS1_3repE0EEENS1_59segmented_radix_sort_warp_sort_small_config_static_selectorELNS0_4arch9wavefront6targetE0EEEvSK_, .Lfunc_end213-_ZN7rocprim17ROCPRIM_400000_NS6detail17trampoline_kernelINS0_14default_configENS1_36segmented_radix_sort_config_selectorIhlEEZNS1_25segmented_radix_sort_implIS3_Lb0EPKhPhPKlPlN2at6native12_GLOBAL__N_18offset_tEEE10hipError_tPvRmT1_PNSt15iterator_traitsISK_E10value_typeET2_T3_PNSL_ISQ_E10value_typeET4_jRbjT5_SW_jjP12ihipStream_tbEUlT_E1_NS1_11comp_targetILNS1_3genE10ELNS1_11target_archE1200ELNS1_3gpuE4ELNS1_3repE0EEENS1_59segmented_radix_sort_warp_sort_small_config_static_selectorELNS0_4arch9wavefront6targetE0EEEvSK_
                                        ; -- End function
	.set _ZN7rocprim17ROCPRIM_400000_NS6detail17trampoline_kernelINS0_14default_configENS1_36segmented_radix_sort_config_selectorIhlEEZNS1_25segmented_radix_sort_implIS3_Lb0EPKhPhPKlPlN2at6native12_GLOBAL__N_18offset_tEEE10hipError_tPvRmT1_PNSt15iterator_traitsISK_E10value_typeET2_T3_PNSL_ISQ_E10value_typeET4_jRbjT5_SW_jjP12ihipStream_tbEUlT_E1_NS1_11comp_targetILNS1_3genE10ELNS1_11target_archE1200ELNS1_3gpuE4ELNS1_3repE0EEENS1_59segmented_radix_sort_warp_sort_small_config_static_selectorELNS0_4arch9wavefront6targetE0EEEvSK_.num_vgpr, 0
	.set _ZN7rocprim17ROCPRIM_400000_NS6detail17trampoline_kernelINS0_14default_configENS1_36segmented_radix_sort_config_selectorIhlEEZNS1_25segmented_radix_sort_implIS3_Lb0EPKhPhPKlPlN2at6native12_GLOBAL__N_18offset_tEEE10hipError_tPvRmT1_PNSt15iterator_traitsISK_E10value_typeET2_T3_PNSL_ISQ_E10value_typeET4_jRbjT5_SW_jjP12ihipStream_tbEUlT_E1_NS1_11comp_targetILNS1_3genE10ELNS1_11target_archE1200ELNS1_3gpuE4ELNS1_3repE0EEENS1_59segmented_radix_sort_warp_sort_small_config_static_selectorELNS0_4arch9wavefront6targetE0EEEvSK_.num_agpr, 0
	.set _ZN7rocprim17ROCPRIM_400000_NS6detail17trampoline_kernelINS0_14default_configENS1_36segmented_radix_sort_config_selectorIhlEEZNS1_25segmented_radix_sort_implIS3_Lb0EPKhPhPKlPlN2at6native12_GLOBAL__N_18offset_tEEE10hipError_tPvRmT1_PNSt15iterator_traitsISK_E10value_typeET2_T3_PNSL_ISQ_E10value_typeET4_jRbjT5_SW_jjP12ihipStream_tbEUlT_E1_NS1_11comp_targetILNS1_3genE10ELNS1_11target_archE1200ELNS1_3gpuE4ELNS1_3repE0EEENS1_59segmented_radix_sort_warp_sort_small_config_static_selectorELNS0_4arch9wavefront6targetE0EEEvSK_.numbered_sgpr, 0
	.set _ZN7rocprim17ROCPRIM_400000_NS6detail17trampoline_kernelINS0_14default_configENS1_36segmented_radix_sort_config_selectorIhlEEZNS1_25segmented_radix_sort_implIS3_Lb0EPKhPhPKlPlN2at6native12_GLOBAL__N_18offset_tEEE10hipError_tPvRmT1_PNSt15iterator_traitsISK_E10value_typeET2_T3_PNSL_ISQ_E10value_typeET4_jRbjT5_SW_jjP12ihipStream_tbEUlT_E1_NS1_11comp_targetILNS1_3genE10ELNS1_11target_archE1200ELNS1_3gpuE4ELNS1_3repE0EEENS1_59segmented_radix_sort_warp_sort_small_config_static_selectorELNS0_4arch9wavefront6targetE0EEEvSK_.num_named_barrier, 0
	.set _ZN7rocprim17ROCPRIM_400000_NS6detail17trampoline_kernelINS0_14default_configENS1_36segmented_radix_sort_config_selectorIhlEEZNS1_25segmented_radix_sort_implIS3_Lb0EPKhPhPKlPlN2at6native12_GLOBAL__N_18offset_tEEE10hipError_tPvRmT1_PNSt15iterator_traitsISK_E10value_typeET2_T3_PNSL_ISQ_E10value_typeET4_jRbjT5_SW_jjP12ihipStream_tbEUlT_E1_NS1_11comp_targetILNS1_3genE10ELNS1_11target_archE1200ELNS1_3gpuE4ELNS1_3repE0EEENS1_59segmented_radix_sort_warp_sort_small_config_static_selectorELNS0_4arch9wavefront6targetE0EEEvSK_.private_seg_size, 0
	.set _ZN7rocprim17ROCPRIM_400000_NS6detail17trampoline_kernelINS0_14default_configENS1_36segmented_radix_sort_config_selectorIhlEEZNS1_25segmented_radix_sort_implIS3_Lb0EPKhPhPKlPlN2at6native12_GLOBAL__N_18offset_tEEE10hipError_tPvRmT1_PNSt15iterator_traitsISK_E10value_typeET2_T3_PNSL_ISQ_E10value_typeET4_jRbjT5_SW_jjP12ihipStream_tbEUlT_E1_NS1_11comp_targetILNS1_3genE10ELNS1_11target_archE1200ELNS1_3gpuE4ELNS1_3repE0EEENS1_59segmented_radix_sort_warp_sort_small_config_static_selectorELNS0_4arch9wavefront6targetE0EEEvSK_.uses_vcc, 0
	.set _ZN7rocprim17ROCPRIM_400000_NS6detail17trampoline_kernelINS0_14default_configENS1_36segmented_radix_sort_config_selectorIhlEEZNS1_25segmented_radix_sort_implIS3_Lb0EPKhPhPKlPlN2at6native12_GLOBAL__N_18offset_tEEE10hipError_tPvRmT1_PNSt15iterator_traitsISK_E10value_typeET2_T3_PNSL_ISQ_E10value_typeET4_jRbjT5_SW_jjP12ihipStream_tbEUlT_E1_NS1_11comp_targetILNS1_3genE10ELNS1_11target_archE1200ELNS1_3gpuE4ELNS1_3repE0EEENS1_59segmented_radix_sort_warp_sort_small_config_static_selectorELNS0_4arch9wavefront6targetE0EEEvSK_.uses_flat_scratch, 0
	.set _ZN7rocprim17ROCPRIM_400000_NS6detail17trampoline_kernelINS0_14default_configENS1_36segmented_radix_sort_config_selectorIhlEEZNS1_25segmented_radix_sort_implIS3_Lb0EPKhPhPKlPlN2at6native12_GLOBAL__N_18offset_tEEE10hipError_tPvRmT1_PNSt15iterator_traitsISK_E10value_typeET2_T3_PNSL_ISQ_E10value_typeET4_jRbjT5_SW_jjP12ihipStream_tbEUlT_E1_NS1_11comp_targetILNS1_3genE10ELNS1_11target_archE1200ELNS1_3gpuE4ELNS1_3repE0EEENS1_59segmented_radix_sort_warp_sort_small_config_static_selectorELNS0_4arch9wavefront6targetE0EEEvSK_.has_dyn_sized_stack, 0
	.set _ZN7rocprim17ROCPRIM_400000_NS6detail17trampoline_kernelINS0_14default_configENS1_36segmented_radix_sort_config_selectorIhlEEZNS1_25segmented_radix_sort_implIS3_Lb0EPKhPhPKlPlN2at6native12_GLOBAL__N_18offset_tEEE10hipError_tPvRmT1_PNSt15iterator_traitsISK_E10value_typeET2_T3_PNSL_ISQ_E10value_typeET4_jRbjT5_SW_jjP12ihipStream_tbEUlT_E1_NS1_11comp_targetILNS1_3genE10ELNS1_11target_archE1200ELNS1_3gpuE4ELNS1_3repE0EEENS1_59segmented_radix_sort_warp_sort_small_config_static_selectorELNS0_4arch9wavefront6targetE0EEEvSK_.has_recursion, 0
	.set _ZN7rocprim17ROCPRIM_400000_NS6detail17trampoline_kernelINS0_14default_configENS1_36segmented_radix_sort_config_selectorIhlEEZNS1_25segmented_radix_sort_implIS3_Lb0EPKhPhPKlPlN2at6native12_GLOBAL__N_18offset_tEEE10hipError_tPvRmT1_PNSt15iterator_traitsISK_E10value_typeET2_T3_PNSL_ISQ_E10value_typeET4_jRbjT5_SW_jjP12ihipStream_tbEUlT_E1_NS1_11comp_targetILNS1_3genE10ELNS1_11target_archE1200ELNS1_3gpuE4ELNS1_3repE0EEENS1_59segmented_radix_sort_warp_sort_small_config_static_selectorELNS0_4arch9wavefront6targetE0EEEvSK_.has_indirect_call, 0
	.section	.AMDGPU.csdata,"",@progbits
; Kernel info:
; codeLenInByte = 0
; TotalNumSgprs: 0
; NumVgprs: 0
; ScratchSize: 0
; MemoryBound: 0
; FloatMode: 240
; IeeeMode: 1
; LDSByteSize: 0 bytes/workgroup (compile time only)
; SGPRBlocks: 0
; VGPRBlocks: 0
; NumSGPRsForWavesPerEU: 1
; NumVGPRsForWavesPerEU: 1
; Occupancy: 16
; WaveLimiterHint : 0
; COMPUTE_PGM_RSRC2:SCRATCH_EN: 0
; COMPUTE_PGM_RSRC2:USER_SGPR: 2
; COMPUTE_PGM_RSRC2:TRAP_HANDLER: 0
; COMPUTE_PGM_RSRC2:TGID_X_EN: 1
; COMPUTE_PGM_RSRC2:TGID_Y_EN: 0
; COMPUTE_PGM_RSRC2:TGID_Z_EN: 0
; COMPUTE_PGM_RSRC2:TIDIG_COMP_CNT: 0
	.section	.text._ZN7rocprim17ROCPRIM_400000_NS6detail17trampoline_kernelINS0_14default_configENS1_36segmented_radix_sort_config_selectorIhlEEZNS1_25segmented_radix_sort_implIS3_Lb0EPKhPhPKlPlN2at6native12_GLOBAL__N_18offset_tEEE10hipError_tPvRmT1_PNSt15iterator_traitsISK_E10value_typeET2_T3_PNSL_ISQ_E10value_typeET4_jRbjT5_SW_jjP12ihipStream_tbEUlT_E1_NS1_11comp_targetILNS1_3genE9ELNS1_11target_archE1100ELNS1_3gpuE3ELNS1_3repE0EEENS1_59segmented_radix_sort_warp_sort_small_config_static_selectorELNS0_4arch9wavefront6targetE0EEEvSK_,"axG",@progbits,_ZN7rocprim17ROCPRIM_400000_NS6detail17trampoline_kernelINS0_14default_configENS1_36segmented_radix_sort_config_selectorIhlEEZNS1_25segmented_radix_sort_implIS3_Lb0EPKhPhPKlPlN2at6native12_GLOBAL__N_18offset_tEEE10hipError_tPvRmT1_PNSt15iterator_traitsISK_E10value_typeET2_T3_PNSL_ISQ_E10value_typeET4_jRbjT5_SW_jjP12ihipStream_tbEUlT_E1_NS1_11comp_targetILNS1_3genE9ELNS1_11target_archE1100ELNS1_3gpuE3ELNS1_3repE0EEENS1_59segmented_radix_sort_warp_sort_small_config_static_selectorELNS0_4arch9wavefront6targetE0EEEvSK_,comdat
	.globl	_ZN7rocprim17ROCPRIM_400000_NS6detail17trampoline_kernelINS0_14default_configENS1_36segmented_radix_sort_config_selectorIhlEEZNS1_25segmented_radix_sort_implIS3_Lb0EPKhPhPKlPlN2at6native12_GLOBAL__N_18offset_tEEE10hipError_tPvRmT1_PNSt15iterator_traitsISK_E10value_typeET2_T3_PNSL_ISQ_E10value_typeET4_jRbjT5_SW_jjP12ihipStream_tbEUlT_E1_NS1_11comp_targetILNS1_3genE9ELNS1_11target_archE1100ELNS1_3gpuE3ELNS1_3repE0EEENS1_59segmented_radix_sort_warp_sort_small_config_static_selectorELNS0_4arch9wavefront6targetE0EEEvSK_ ; -- Begin function _ZN7rocprim17ROCPRIM_400000_NS6detail17trampoline_kernelINS0_14default_configENS1_36segmented_radix_sort_config_selectorIhlEEZNS1_25segmented_radix_sort_implIS3_Lb0EPKhPhPKlPlN2at6native12_GLOBAL__N_18offset_tEEE10hipError_tPvRmT1_PNSt15iterator_traitsISK_E10value_typeET2_T3_PNSL_ISQ_E10value_typeET4_jRbjT5_SW_jjP12ihipStream_tbEUlT_E1_NS1_11comp_targetILNS1_3genE9ELNS1_11target_archE1100ELNS1_3gpuE3ELNS1_3repE0EEENS1_59segmented_radix_sort_warp_sort_small_config_static_selectorELNS0_4arch9wavefront6targetE0EEEvSK_
	.p2align	8
	.type	_ZN7rocprim17ROCPRIM_400000_NS6detail17trampoline_kernelINS0_14default_configENS1_36segmented_radix_sort_config_selectorIhlEEZNS1_25segmented_radix_sort_implIS3_Lb0EPKhPhPKlPlN2at6native12_GLOBAL__N_18offset_tEEE10hipError_tPvRmT1_PNSt15iterator_traitsISK_E10value_typeET2_T3_PNSL_ISQ_E10value_typeET4_jRbjT5_SW_jjP12ihipStream_tbEUlT_E1_NS1_11comp_targetILNS1_3genE9ELNS1_11target_archE1100ELNS1_3gpuE3ELNS1_3repE0EEENS1_59segmented_radix_sort_warp_sort_small_config_static_selectorELNS0_4arch9wavefront6targetE0EEEvSK_,@function
_ZN7rocprim17ROCPRIM_400000_NS6detail17trampoline_kernelINS0_14default_configENS1_36segmented_radix_sort_config_selectorIhlEEZNS1_25segmented_radix_sort_implIS3_Lb0EPKhPhPKlPlN2at6native12_GLOBAL__N_18offset_tEEE10hipError_tPvRmT1_PNSt15iterator_traitsISK_E10value_typeET2_T3_PNSL_ISQ_E10value_typeET4_jRbjT5_SW_jjP12ihipStream_tbEUlT_E1_NS1_11comp_targetILNS1_3genE9ELNS1_11target_archE1100ELNS1_3gpuE3ELNS1_3repE0EEENS1_59segmented_radix_sort_warp_sort_small_config_static_selectorELNS0_4arch9wavefront6targetE0EEEvSK_: ; @_ZN7rocprim17ROCPRIM_400000_NS6detail17trampoline_kernelINS0_14default_configENS1_36segmented_radix_sort_config_selectorIhlEEZNS1_25segmented_radix_sort_implIS3_Lb0EPKhPhPKlPlN2at6native12_GLOBAL__N_18offset_tEEE10hipError_tPvRmT1_PNSt15iterator_traitsISK_E10value_typeET2_T3_PNSL_ISQ_E10value_typeET4_jRbjT5_SW_jjP12ihipStream_tbEUlT_E1_NS1_11comp_targetILNS1_3genE9ELNS1_11target_archE1100ELNS1_3gpuE3ELNS1_3repE0EEENS1_59segmented_radix_sort_warp_sort_small_config_static_selectorELNS0_4arch9wavefront6targetE0EEEvSK_
; %bb.0:
	.section	.rodata,"a",@progbits
	.p2align	6, 0x0
	.amdhsa_kernel _ZN7rocprim17ROCPRIM_400000_NS6detail17trampoline_kernelINS0_14default_configENS1_36segmented_radix_sort_config_selectorIhlEEZNS1_25segmented_radix_sort_implIS3_Lb0EPKhPhPKlPlN2at6native12_GLOBAL__N_18offset_tEEE10hipError_tPvRmT1_PNSt15iterator_traitsISK_E10value_typeET2_T3_PNSL_ISQ_E10value_typeET4_jRbjT5_SW_jjP12ihipStream_tbEUlT_E1_NS1_11comp_targetILNS1_3genE9ELNS1_11target_archE1100ELNS1_3gpuE3ELNS1_3repE0EEENS1_59segmented_radix_sort_warp_sort_small_config_static_selectorELNS0_4arch9wavefront6targetE0EEEvSK_
		.amdhsa_group_segment_fixed_size 0
		.amdhsa_private_segment_fixed_size 0
		.amdhsa_kernarg_size 88
		.amdhsa_user_sgpr_count 2
		.amdhsa_user_sgpr_dispatch_ptr 0
		.amdhsa_user_sgpr_queue_ptr 0
		.amdhsa_user_sgpr_kernarg_segment_ptr 1
		.amdhsa_user_sgpr_dispatch_id 0
		.amdhsa_user_sgpr_private_segment_size 0
		.amdhsa_wavefront_size32 1
		.amdhsa_uses_dynamic_stack 0
		.amdhsa_enable_private_segment 0
		.amdhsa_system_sgpr_workgroup_id_x 1
		.amdhsa_system_sgpr_workgroup_id_y 0
		.amdhsa_system_sgpr_workgroup_id_z 0
		.amdhsa_system_sgpr_workgroup_info 0
		.amdhsa_system_vgpr_workitem_id 0
		.amdhsa_next_free_vgpr 1
		.amdhsa_next_free_sgpr 1
		.amdhsa_reserve_vcc 0
		.amdhsa_float_round_mode_32 0
		.amdhsa_float_round_mode_16_64 0
		.amdhsa_float_denorm_mode_32 3
		.amdhsa_float_denorm_mode_16_64 3
		.amdhsa_fp16_overflow 0
		.amdhsa_workgroup_processor_mode 1
		.amdhsa_memory_ordered 1
		.amdhsa_forward_progress 1
		.amdhsa_inst_pref_size 0
		.amdhsa_round_robin_scheduling 0
		.amdhsa_exception_fp_ieee_invalid_op 0
		.amdhsa_exception_fp_denorm_src 0
		.amdhsa_exception_fp_ieee_div_zero 0
		.amdhsa_exception_fp_ieee_overflow 0
		.amdhsa_exception_fp_ieee_underflow 0
		.amdhsa_exception_fp_ieee_inexact 0
		.amdhsa_exception_int_div_zero 0
	.end_amdhsa_kernel
	.section	.text._ZN7rocprim17ROCPRIM_400000_NS6detail17trampoline_kernelINS0_14default_configENS1_36segmented_radix_sort_config_selectorIhlEEZNS1_25segmented_radix_sort_implIS3_Lb0EPKhPhPKlPlN2at6native12_GLOBAL__N_18offset_tEEE10hipError_tPvRmT1_PNSt15iterator_traitsISK_E10value_typeET2_T3_PNSL_ISQ_E10value_typeET4_jRbjT5_SW_jjP12ihipStream_tbEUlT_E1_NS1_11comp_targetILNS1_3genE9ELNS1_11target_archE1100ELNS1_3gpuE3ELNS1_3repE0EEENS1_59segmented_radix_sort_warp_sort_small_config_static_selectorELNS0_4arch9wavefront6targetE0EEEvSK_,"axG",@progbits,_ZN7rocprim17ROCPRIM_400000_NS6detail17trampoline_kernelINS0_14default_configENS1_36segmented_radix_sort_config_selectorIhlEEZNS1_25segmented_radix_sort_implIS3_Lb0EPKhPhPKlPlN2at6native12_GLOBAL__N_18offset_tEEE10hipError_tPvRmT1_PNSt15iterator_traitsISK_E10value_typeET2_T3_PNSL_ISQ_E10value_typeET4_jRbjT5_SW_jjP12ihipStream_tbEUlT_E1_NS1_11comp_targetILNS1_3genE9ELNS1_11target_archE1100ELNS1_3gpuE3ELNS1_3repE0EEENS1_59segmented_radix_sort_warp_sort_small_config_static_selectorELNS0_4arch9wavefront6targetE0EEEvSK_,comdat
.Lfunc_end214:
	.size	_ZN7rocprim17ROCPRIM_400000_NS6detail17trampoline_kernelINS0_14default_configENS1_36segmented_radix_sort_config_selectorIhlEEZNS1_25segmented_radix_sort_implIS3_Lb0EPKhPhPKlPlN2at6native12_GLOBAL__N_18offset_tEEE10hipError_tPvRmT1_PNSt15iterator_traitsISK_E10value_typeET2_T3_PNSL_ISQ_E10value_typeET4_jRbjT5_SW_jjP12ihipStream_tbEUlT_E1_NS1_11comp_targetILNS1_3genE9ELNS1_11target_archE1100ELNS1_3gpuE3ELNS1_3repE0EEENS1_59segmented_radix_sort_warp_sort_small_config_static_selectorELNS0_4arch9wavefront6targetE0EEEvSK_, .Lfunc_end214-_ZN7rocprim17ROCPRIM_400000_NS6detail17trampoline_kernelINS0_14default_configENS1_36segmented_radix_sort_config_selectorIhlEEZNS1_25segmented_radix_sort_implIS3_Lb0EPKhPhPKlPlN2at6native12_GLOBAL__N_18offset_tEEE10hipError_tPvRmT1_PNSt15iterator_traitsISK_E10value_typeET2_T3_PNSL_ISQ_E10value_typeET4_jRbjT5_SW_jjP12ihipStream_tbEUlT_E1_NS1_11comp_targetILNS1_3genE9ELNS1_11target_archE1100ELNS1_3gpuE3ELNS1_3repE0EEENS1_59segmented_radix_sort_warp_sort_small_config_static_selectorELNS0_4arch9wavefront6targetE0EEEvSK_
                                        ; -- End function
	.set _ZN7rocprim17ROCPRIM_400000_NS6detail17trampoline_kernelINS0_14default_configENS1_36segmented_radix_sort_config_selectorIhlEEZNS1_25segmented_radix_sort_implIS3_Lb0EPKhPhPKlPlN2at6native12_GLOBAL__N_18offset_tEEE10hipError_tPvRmT1_PNSt15iterator_traitsISK_E10value_typeET2_T3_PNSL_ISQ_E10value_typeET4_jRbjT5_SW_jjP12ihipStream_tbEUlT_E1_NS1_11comp_targetILNS1_3genE9ELNS1_11target_archE1100ELNS1_3gpuE3ELNS1_3repE0EEENS1_59segmented_radix_sort_warp_sort_small_config_static_selectorELNS0_4arch9wavefront6targetE0EEEvSK_.num_vgpr, 0
	.set _ZN7rocprim17ROCPRIM_400000_NS6detail17trampoline_kernelINS0_14default_configENS1_36segmented_radix_sort_config_selectorIhlEEZNS1_25segmented_radix_sort_implIS3_Lb0EPKhPhPKlPlN2at6native12_GLOBAL__N_18offset_tEEE10hipError_tPvRmT1_PNSt15iterator_traitsISK_E10value_typeET2_T3_PNSL_ISQ_E10value_typeET4_jRbjT5_SW_jjP12ihipStream_tbEUlT_E1_NS1_11comp_targetILNS1_3genE9ELNS1_11target_archE1100ELNS1_3gpuE3ELNS1_3repE0EEENS1_59segmented_radix_sort_warp_sort_small_config_static_selectorELNS0_4arch9wavefront6targetE0EEEvSK_.num_agpr, 0
	.set _ZN7rocprim17ROCPRIM_400000_NS6detail17trampoline_kernelINS0_14default_configENS1_36segmented_radix_sort_config_selectorIhlEEZNS1_25segmented_radix_sort_implIS3_Lb0EPKhPhPKlPlN2at6native12_GLOBAL__N_18offset_tEEE10hipError_tPvRmT1_PNSt15iterator_traitsISK_E10value_typeET2_T3_PNSL_ISQ_E10value_typeET4_jRbjT5_SW_jjP12ihipStream_tbEUlT_E1_NS1_11comp_targetILNS1_3genE9ELNS1_11target_archE1100ELNS1_3gpuE3ELNS1_3repE0EEENS1_59segmented_radix_sort_warp_sort_small_config_static_selectorELNS0_4arch9wavefront6targetE0EEEvSK_.numbered_sgpr, 0
	.set _ZN7rocprim17ROCPRIM_400000_NS6detail17trampoline_kernelINS0_14default_configENS1_36segmented_radix_sort_config_selectorIhlEEZNS1_25segmented_radix_sort_implIS3_Lb0EPKhPhPKlPlN2at6native12_GLOBAL__N_18offset_tEEE10hipError_tPvRmT1_PNSt15iterator_traitsISK_E10value_typeET2_T3_PNSL_ISQ_E10value_typeET4_jRbjT5_SW_jjP12ihipStream_tbEUlT_E1_NS1_11comp_targetILNS1_3genE9ELNS1_11target_archE1100ELNS1_3gpuE3ELNS1_3repE0EEENS1_59segmented_radix_sort_warp_sort_small_config_static_selectorELNS0_4arch9wavefront6targetE0EEEvSK_.num_named_barrier, 0
	.set _ZN7rocprim17ROCPRIM_400000_NS6detail17trampoline_kernelINS0_14default_configENS1_36segmented_radix_sort_config_selectorIhlEEZNS1_25segmented_radix_sort_implIS3_Lb0EPKhPhPKlPlN2at6native12_GLOBAL__N_18offset_tEEE10hipError_tPvRmT1_PNSt15iterator_traitsISK_E10value_typeET2_T3_PNSL_ISQ_E10value_typeET4_jRbjT5_SW_jjP12ihipStream_tbEUlT_E1_NS1_11comp_targetILNS1_3genE9ELNS1_11target_archE1100ELNS1_3gpuE3ELNS1_3repE0EEENS1_59segmented_radix_sort_warp_sort_small_config_static_selectorELNS0_4arch9wavefront6targetE0EEEvSK_.private_seg_size, 0
	.set _ZN7rocprim17ROCPRIM_400000_NS6detail17trampoline_kernelINS0_14default_configENS1_36segmented_radix_sort_config_selectorIhlEEZNS1_25segmented_radix_sort_implIS3_Lb0EPKhPhPKlPlN2at6native12_GLOBAL__N_18offset_tEEE10hipError_tPvRmT1_PNSt15iterator_traitsISK_E10value_typeET2_T3_PNSL_ISQ_E10value_typeET4_jRbjT5_SW_jjP12ihipStream_tbEUlT_E1_NS1_11comp_targetILNS1_3genE9ELNS1_11target_archE1100ELNS1_3gpuE3ELNS1_3repE0EEENS1_59segmented_radix_sort_warp_sort_small_config_static_selectorELNS0_4arch9wavefront6targetE0EEEvSK_.uses_vcc, 0
	.set _ZN7rocprim17ROCPRIM_400000_NS6detail17trampoline_kernelINS0_14default_configENS1_36segmented_radix_sort_config_selectorIhlEEZNS1_25segmented_radix_sort_implIS3_Lb0EPKhPhPKlPlN2at6native12_GLOBAL__N_18offset_tEEE10hipError_tPvRmT1_PNSt15iterator_traitsISK_E10value_typeET2_T3_PNSL_ISQ_E10value_typeET4_jRbjT5_SW_jjP12ihipStream_tbEUlT_E1_NS1_11comp_targetILNS1_3genE9ELNS1_11target_archE1100ELNS1_3gpuE3ELNS1_3repE0EEENS1_59segmented_radix_sort_warp_sort_small_config_static_selectorELNS0_4arch9wavefront6targetE0EEEvSK_.uses_flat_scratch, 0
	.set _ZN7rocprim17ROCPRIM_400000_NS6detail17trampoline_kernelINS0_14default_configENS1_36segmented_radix_sort_config_selectorIhlEEZNS1_25segmented_radix_sort_implIS3_Lb0EPKhPhPKlPlN2at6native12_GLOBAL__N_18offset_tEEE10hipError_tPvRmT1_PNSt15iterator_traitsISK_E10value_typeET2_T3_PNSL_ISQ_E10value_typeET4_jRbjT5_SW_jjP12ihipStream_tbEUlT_E1_NS1_11comp_targetILNS1_3genE9ELNS1_11target_archE1100ELNS1_3gpuE3ELNS1_3repE0EEENS1_59segmented_radix_sort_warp_sort_small_config_static_selectorELNS0_4arch9wavefront6targetE0EEEvSK_.has_dyn_sized_stack, 0
	.set _ZN7rocprim17ROCPRIM_400000_NS6detail17trampoline_kernelINS0_14default_configENS1_36segmented_radix_sort_config_selectorIhlEEZNS1_25segmented_radix_sort_implIS3_Lb0EPKhPhPKlPlN2at6native12_GLOBAL__N_18offset_tEEE10hipError_tPvRmT1_PNSt15iterator_traitsISK_E10value_typeET2_T3_PNSL_ISQ_E10value_typeET4_jRbjT5_SW_jjP12ihipStream_tbEUlT_E1_NS1_11comp_targetILNS1_3genE9ELNS1_11target_archE1100ELNS1_3gpuE3ELNS1_3repE0EEENS1_59segmented_radix_sort_warp_sort_small_config_static_selectorELNS0_4arch9wavefront6targetE0EEEvSK_.has_recursion, 0
	.set _ZN7rocprim17ROCPRIM_400000_NS6detail17trampoline_kernelINS0_14default_configENS1_36segmented_radix_sort_config_selectorIhlEEZNS1_25segmented_radix_sort_implIS3_Lb0EPKhPhPKlPlN2at6native12_GLOBAL__N_18offset_tEEE10hipError_tPvRmT1_PNSt15iterator_traitsISK_E10value_typeET2_T3_PNSL_ISQ_E10value_typeET4_jRbjT5_SW_jjP12ihipStream_tbEUlT_E1_NS1_11comp_targetILNS1_3genE9ELNS1_11target_archE1100ELNS1_3gpuE3ELNS1_3repE0EEENS1_59segmented_radix_sort_warp_sort_small_config_static_selectorELNS0_4arch9wavefront6targetE0EEEvSK_.has_indirect_call, 0
	.section	.AMDGPU.csdata,"",@progbits
; Kernel info:
; codeLenInByte = 0
; TotalNumSgprs: 0
; NumVgprs: 0
; ScratchSize: 0
; MemoryBound: 0
; FloatMode: 240
; IeeeMode: 1
; LDSByteSize: 0 bytes/workgroup (compile time only)
; SGPRBlocks: 0
; VGPRBlocks: 0
; NumSGPRsForWavesPerEU: 1
; NumVGPRsForWavesPerEU: 1
; Occupancy: 16
; WaveLimiterHint : 0
; COMPUTE_PGM_RSRC2:SCRATCH_EN: 0
; COMPUTE_PGM_RSRC2:USER_SGPR: 2
; COMPUTE_PGM_RSRC2:TRAP_HANDLER: 0
; COMPUTE_PGM_RSRC2:TGID_X_EN: 1
; COMPUTE_PGM_RSRC2:TGID_Y_EN: 0
; COMPUTE_PGM_RSRC2:TGID_Z_EN: 0
; COMPUTE_PGM_RSRC2:TIDIG_COMP_CNT: 0
	.section	.text._ZN7rocprim17ROCPRIM_400000_NS6detail17trampoline_kernelINS0_14default_configENS1_36segmented_radix_sort_config_selectorIhlEEZNS1_25segmented_radix_sort_implIS3_Lb0EPKhPhPKlPlN2at6native12_GLOBAL__N_18offset_tEEE10hipError_tPvRmT1_PNSt15iterator_traitsISK_E10value_typeET2_T3_PNSL_ISQ_E10value_typeET4_jRbjT5_SW_jjP12ihipStream_tbEUlT_E1_NS1_11comp_targetILNS1_3genE8ELNS1_11target_archE1030ELNS1_3gpuE2ELNS1_3repE0EEENS1_59segmented_radix_sort_warp_sort_small_config_static_selectorELNS0_4arch9wavefront6targetE0EEEvSK_,"axG",@progbits,_ZN7rocprim17ROCPRIM_400000_NS6detail17trampoline_kernelINS0_14default_configENS1_36segmented_radix_sort_config_selectorIhlEEZNS1_25segmented_radix_sort_implIS3_Lb0EPKhPhPKlPlN2at6native12_GLOBAL__N_18offset_tEEE10hipError_tPvRmT1_PNSt15iterator_traitsISK_E10value_typeET2_T3_PNSL_ISQ_E10value_typeET4_jRbjT5_SW_jjP12ihipStream_tbEUlT_E1_NS1_11comp_targetILNS1_3genE8ELNS1_11target_archE1030ELNS1_3gpuE2ELNS1_3repE0EEENS1_59segmented_radix_sort_warp_sort_small_config_static_selectorELNS0_4arch9wavefront6targetE0EEEvSK_,comdat
	.globl	_ZN7rocprim17ROCPRIM_400000_NS6detail17trampoline_kernelINS0_14default_configENS1_36segmented_radix_sort_config_selectorIhlEEZNS1_25segmented_radix_sort_implIS3_Lb0EPKhPhPKlPlN2at6native12_GLOBAL__N_18offset_tEEE10hipError_tPvRmT1_PNSt15iterator_traitsISK_E10value_typeET2_T3_PNSL_ISQ_E10value_typeET4_jRbjT5_SW_jjP12ihipStream_tbEUlT_E1_NS1_11comp_targetILNS1_3genE8ELNS1_11target_archE1030ELNS1_3gpuE2ELNS1_3repE0EEENS1_59segmented_radix_sort_warp_sort_small_config_static_selectorELNS0_4arch9wavefront6targetE0EEEvSK_ ; -- Begin function _ZN7rocprim17ROCPRIM_400000_NS6detail17trampoline_kernelINS0_14default_configENS1_36segmented_radix_sort_config_selectorIhlEEZNS1_25segmented_radix_sort_implIS3_Lb0EPKhPhPKlPlN2at6native12_GLOBAL__N_18offset_tEEE10hipError_tPvRmT1_PNSt15iterator_traitsISK_E10value_typeET2_T3_PNSL_ISQ_E10value_typeET4_jRbjT5_SW_jjP12ihipStream_tbEUlT_E1_NS1_11comp_targetILNS1_3genE8ELNS1_11target_archE1030ELNS1_3gpuE2ELNS1_3repE0EEENS1_59segmented_radix_sort_warp_sort_small_config_static_selectorELNS0_4arch9wavefront6targetE0EEEvSK_
	.p2align	8
	.type	_ZN7rocprim17ROCPRIM_400000_NS6detail17trampoline_kernelINS0_14default_configENS1_36segmented_radix_sort_config_selectorIhlEEZNS1_25segmented_radix_sort_implIS3_Lb0EPKhPhPKlPlN2at6native12_GLOBAL__N_18offset_tEEE10hipError_tPvRmT1_PNSt15iterator_traitsISK_E10value_typeET2_T3_PNSL_ISQ_E10value_typeET4_jRbjT5_SW_jjP12ihipStream_tbEUlT_E1_NS1_11comp_targetILNS1_3genE8ELNS1_11target_archE1030ELNS1_3gpuE2ELNS1_3repE0EEENS1_59segmented_radix_sort_warp_sort_small_config_static_selectorELNS0_4arch9wavefront6targetE0EEEvSK_,@function
_ZN7rocprim17ROCPRIM_400000_NS6detail17trampoline_kernelINS0_14default_configENS1_36segmented_radix_sort_config_selectorIhlEEZNS1_25segmented_radix_sort_implIS3_Lb0EPKhPhPKlPlN2at6native12_GLOBAL__N_18offset_tEEE10hipError_tPvRmT1_PNSt15iterator_traitsISK_E10value_typeET2_T3_PNSL_ISQ_E10value_typeET4_jRbjT5_SW_jjP12ihipStream_tbEUlT_E1_NS1_11comp_targetILNS1_3genE8ELNS1_11target_archE1030ELNS1_3gpuE2ELNS1_3repE0EEENS1_59segmented_radix_sort_warp_sort_small_config_static_selectorELNS0_4arch9wavefront6targetE0EEEvSK_: ; @_ZN7rocprim17ROCPRIM_400000_NS6detail17trampoline_kernelINS0_14default_configENS1_36segmented_radix_sort_config_selectorIhlEEZNS1_25segmented_radix_sort_implIS3_Lb0EPKhPhPKlPlN2at6native12_GLOBAL__N_18offset_tEEE10hipError_tPvRmT1_PNSt15iterator_traitsISK_E10value_typeET2_T3_PNSL_ISQ_E10value_typeET4_jRbjT5_SW_jjP12ihipStream_tbEUlT_E1_NS1_11comp_targetILNS1_3genE8ELNS1_11target_archE1030ELNS1_3gpuE2ELNS1_3repE0EEENS1_59segmented_radix_sort_warp_sort_small_config_static_selectorELNS0_4arch9wavefront6targetE0EEEvSK_
; %bb.0:
	.section	.rodata,"a",@progbits
	.p2align	6, 0x0
	.amdhsa_kernel _ZN7rocprim17ROCPRIM_400000_NS6detail17trampoline_kernelINS0_14default_configENS1_36segmented_radix_sort_config_selectorIhlEEZNS1_25segmented_radix_sort_implIS3_Lb0EPKhPhPKlPlN2at6native12_GLOBAL__N_18offset_tEEE10hipError_tPvRmT1_PNSt15iterator_traitsISK_E10value_typeET2_T3_PNSL_ISQ_E10value_typeET4_jRbjT5_SW_jjP12ihipStream_tbEUlT_E1_NS1_11comp_targetILNS1_3genE8ELNS1_11target_archE1030ELNS1_3gpuE2ELNS1_3repE0EEENS1_59segmented_radix_sort_warp_sort_small_config_static_selectorELNS0_4arch9wavefront6targetE0EEEvSK_
		.amdhsa_group_segment_fixed_size 0
		.amdhsa_private_segment_fixed_size 0
		.amdhsa_kernarg_size 88
		.amdhsa_user_sgpr_count 2
		.amdhsa_user_sgpr_dispatch_ptr 0
		.amdhsa_user_sgpr_queue_ptr 0
		.amdhsa_user_sgpr_kernarg_segment_ptr 1
		.amdhsa_user_sgpr_dispatch_id 0
		.amdhsa_user_sgpr_private_segment_size 0
		.amdhsa_wavefront_size32 1
		.amdhsa_uses_dynamic_stack 0
		.amdhsa_enable_private_segment 0
		.amdhsa_system_sgpr_workgroup_id_x 1
		.amdhsa_system_sgpr_workgroup_id_y 0
		.amdhsa_system_sgpr_workgroup_id_z 0
		.amdhsa_system_sgpr_workgroup_info 0
		.amdhsa_system_vgpr_workitem_id 0
		.amdhsa_next_free_vgpr 1
		.amdhsa_next_free_sgpr 1
		.amdhsa_reserve_vcc 0
		.amdhsa_float_round_mode_32 0
		.amdhsa_float_round_mode_16_64 0
		.amdhsa_float_denorm_mode_32 3
		.amdhsa_float_denorm_mode_16_64 3
		.amdhsa_fp16_overflow 0
		.amdhsa_workgroup_processor_mode 1
		.amdhsa_memory_ordered 1
		.amdhsa_forward_progress 1
		.amdhsa_inst_pref_size 0
		.amdhsa_round_robin_scheduling 0
		.amdhsa_exception_fp_ieee_invalid_op 0
		.amdhsa_exception_fp_denorm_src 0
		.amdhsa_exception_fp_ieee_div_zero 0
		.amdhsa_exception_fp_ieee_overflow 0
		.amdhsa_exception_fp_ieee_underflow 0
		.amdhsa_exception_fp_ieee_inexact 0
		.amdhsa_exception_int_div_zero 0
	.end_amdhsa_kernel
	.section	.text._ZN7rocprim17ROCPRIM_400000_NS6detail17trampoline_kernelINS0_14default_configENS1_36segmented_radix_sort_config_selectorIhlEEZNS1_25segmented_radix_sort_implIS3_Lb0EPKhPhPKlPlN2at6native12_GLOBAL__N_18offset_tEEE10hipError_tPvRmT1_PNSt15iterator_traitsISK_E10value_typeET2_T3_PNSL_ISQ_E10value_typeET4_jRbjT5_SW_jjP12ihipStream_tbEUlT_E1_NS1_11comp_targetILNS1_3genE8ELNS1_11target_archE1030ELNS1_3gpuE2ELNS1_3repE0EEENS1_59segmented_radix_sort_warp_sort_small_config_static_selectorELNS0_4arch9wavefront6targetE0EEEvSK_,"axG",@progbits,_ZN7rocprim17ROCPRIM_400000_NS6detail17trampoline_kernelINS0_14default_configENS1_36segmented_radix_sort_config_selectorIhlEEZNS1_25segmented_radix_sort_implIS3_Lb0EPKhPhPKlPlN2at6native12_GLOBAL__N_18offset_tEEE10hipError_tPvRmT1_PNSt15iterator_traitsISK_E10value_typeET2_T3_PNSL_ISQ_E10value_typeET4_jRbjT5_SW_jjP12ihipStream_tbEUlT_E1_NS1_11comp_targetILNS1_3genE8ELNS1_11target_archE1030ELNS1_3gpuE2ELNS1_3repE0EEENS1_59segmented_radix_sort_warp_sort_small_config_static_selectorELNS0_4arch9wavefront6targetE0EEEvSK_,comdat
.Lfunc_end215:
	.size	_ZN7rocprim17ROCPRIM_400000_NS6detail17trampoline_kernelINS0_14default_configENS1_36segmented_radix_sort_config_selectorIhlEEZNS1_25segmented_radix_sort_implIS3_Lb0EPKhPhPKlPlN2at6native12_GLOBAL__N_18offset_tEEE10hipError_tPvRmT1_PNSt15iterator_traitsISK_E10value_typeET2_T3_PNSL_ISQ_E10value_typeET4_jRbjT5_SW_jjP12ihipStream_tbEUlT_E1_NS1_11comp_targetILNS1_3genE8ELNS1_11target_archE1030ELNS1_3gpuE2ELNS1_3repE0EEENS1_59segmented_radix_sort_warp_sort_small_config_static_selectorELNS0_4arch9wavefront6targetE0EEEvSK_, .Lfunc_end215-_ZN7rocprim17ROCPRIM_400000_NS6detail17trampoline_kernelINS0_14default_configENS1_36segmented_radix_sort_config_selectorIhlEEZNS1_25segmented_radix_sort_implIS3_Lb0EPKhPhPKlPlN2at6native12_GLOBAL__N_18offset_tEEE10hipError_tPvRmT1_PNSt15iterator_traitsISK_E10value_typeET2_T3_PNSL_ISQ_E10value_typeET4_jRbjT5_SW_jjP12ihipStream_tbEUlT_E1_NS1_11comp_targetILNS1_3genE8ELNS1_11target_archE1030ELNS1_3gpuE2ELNS1_3repE0EEENS1_59segmented_radix_sort_warp_sort_small_config_static_selectorELNS0_4arch9wavefront6targetE0EEEvSK_
                                        ; -- End function
	.set _ZN7rocprim17ROCPRIM_400000_NS6detail17trampoline_kernelINS0_14default_configENS1_36segmented_radix_sort_config_selectorIhlEEZNS1_25segmented_radix_sort_implIS3_Lb0EPKhPhPKlPlN2at6native12_GLOBAL__N_18offset_tEEE10hipError_tPvRmT1_PNSt15iterator_traitsISK_E10value_typeET2_T3_PNSL_ISQ_E10value_typeET4_jRbjT5_SW_jjP12ihipStream_tbEUlT_E1_NS1_11comp_targetILNS1_3genE8ELNS1_11target_archE1030ELNS1_3gpuE2ELNS1_3repE0EEENS1_59segmented_radix_sort_warp_sort_small_config_static_selectorELNS0_4arch9wavefront6targetE0EEEvSK_.num_vgpr, 0
	.set _ZN7rocprim17ROCPRIM_400000_NS6detail17trampoline_kernelINS0_14default_configENS1_36segmented_radix_sort_config_selectorIhlEEZNS1_25segmented_radix_sort_implIS3_Lb0EPKhPhPKlPlN2at6native12_GLOBAL__N_18offset_tEEE10hipError_tPvRmT1_PNSt15iterator_traitsISK_E10value_typeET2_T3_PNSL_ISQ_E10value_typeET4_jRbjT5_SW_jjP12ihipStream_tbEUlT_E1_NS1_11comp_targetILNS1_3genE8ELNS1_11target_archE1030ELNS1_3gpuE2ELNS1_3repE0EEENS1_59segmented_radix_sort_warp_sort_small_config_static_selectorELNS0_4arch9wavefront6targetE0EEEvSK_.num_agpr, 0
	.set _ZN7rocprim17ROCPRIM_400000_NS6detail17trampoline_kernelINS0_14default_configENS1_36segmented_radix_sort_config_selectorIhlEEZNS1_25segmented_radix_sort_implIS3_Lb0EPKhPhPKlPlN2at6native12_GLOBAL__N_18offset_tEEE10hipError_tPvRmT1_PNSt15iterator_traitsISK_E10value_typeET2_T3_PNSL_ISQ_E10value_typeET4_jRbjT5_SW_jjP12ihipStream_tbEUlT_E1_NS1_11comp_targetILNS1_3genE8ELNS1_11target_archE1030ELNS1_3gpuE2ELNS1_3repE0EEENS1_59segmented_radix_sort_warp_sort_small_config_static_selectorELNS0_4arch9wavefront6targetE0EEEvSK_.numbered_sgpr, 0
	.set _ZN7rocprim17ROCPRIM_400000_NS6detail17trampoline_kernelINS0_14default_configENS1_36segmented_radix_sort_config_selectorIhlEEZNS1_25segmented_radix_sort_implIS3_Lb0EPKhPhPKlPlN2at6native12_GLOBAL__N_18offset_tEEE10hipError_tPvRmT1_PNSt15iterator_traitsISK_E10value_typeET2_T3_PNSL_ISQ_E10value_typeET4_jRbjT5_SW_jjP12ihipStream_tbEUlT_E1_NS1_11comp_targetILNS1_3genE8ELNS1_11target_archE1030ELNS1_3gpuE2ELNS1_3repE0EEENS1_59segmented_radix_sort_warp_sort_small_config_static_selectorELNS0_4arch9wavefront6targetE0EEEvSK_.num_named_barrier, 0
	.set _ZN7rocprim17ROCPRIM_400000_NS6detail17trampoline_kernelINS0_14default_configENS1_36segmented_radix_sort_config_selectorIhlEEZNS1_25segmented_radix_sort_implIS3_Lb0EPKhPhPKlPlN2at6native12_GLOBAL__N_18offset_tEEE10hipError_tPvRmT1_PNSt15iterator_traitsISK_E10value_typeET2_T3_PNSL_ISQ_E10value_typeET4_jRbjT5_SW_jjP12ihipStream_tbEUlT_E1_NS1_11comp_targetILNS1_3genE8ELNS1_11target_archE1030ELNS1_3gpuE2ELNS1_3repE0EEENS1_59segmented_radix_sort_warp_sort_small_config_static_selectorELNS0_4arch9wavefront6targetE0EEEvSK_.private_seg_size, 0
	.set _ZN7rocprim17ROCPRIM_400000_NS6detail17trampoline_kernelINS0_14default_configENS1_36segmented_radix_sort_config_selectorIhlEEZNS1_25segmented_radix_sort_implIS3_Lb0EPKhPhPKlPlN2at6native12_GLOBAL__N_18offset_tEEE10hipError_tPvRmT1_PNSt15iterator_traitsISK_E10value_typeET2_T3_PNSL_ISQ_E10value_typeET4_jRbjT5_SW_jjP12ihipStream_tbEUlT_E1_NS1_11comp_targetILNS1_3genE8ELNS1_11target_archE1030ELNS1_3gpuE2ELNS1_3repE0EEENS1_59segmented_radix_sort_warp_sort_small_config_static_selectorELNS0_4arch9wavefront6targetE0EEEvSK_.uses_vcc, 0
	.set _ZN7rocprim17ROCPRIM_400000_NS6detail17trampoline_kernelINS0_14default_configENS1_36segmented_radix_sort_config_selectorIhlEEZNS1_25segmented_radix_sort_implIS3_Lb0EPKhPhPKlPlN2at6native12_GLOBAL__N_18offset_tEEE10hipError_tPvRmT1_PNSt15iterator_traitsISK_E10value_typeET2_T3_PNSL_ISQ_E10value_typeET4_jRbjT5_SW_jjP12ihipStream_tbEUlT_E1_NS1_11comp_targetILNS1_3genE8ELNS1_11target_archE1030ELNS1_3gpuE2ELNS1_3repE0EEENS1_59segmented_radix_sort_warp_sort_small_config_static_selectorELNS0_4arch9wavefront6targetE0EEEvSK_.uses_flat_scratch, 0
	.set _ZN7rocprim17ROCPRIM_400000_NS6detail17trampoline_kernelINS0_14default_configENS1_36segmented_radix_sort_config_selectorIhlEEZNS1_25segmented_radix_sort_implIS3_Lb0EPKhPhPKlPlN2at6native12_GLOBAL__N_18offset_tEEE10hipError_tPvRmT1_PNSt15iterator_traitsISK_E10value_typeET2_T3_PNSL_ISQ_E10value_typeET4_jRbjT5_SW_jjP12ihipStream_tbEUlT_E1_NS1_11comp_targetILNS1_3genE8ELNS1_11target_archE1030ELNS1_3gpuE2ELNS1_3repE0EEENS1_59segmented_radix_sort_warp_sort_small_config_static_selectorELNS0_4arch9wavefront6targetE0EEEvSK_.has_dyn_sized_stack, 0
	.set _ZN7rocprim17ROCPRIM_400000_NS6detail17trampoline_kernelINS0_14default_configENS1_36segmented_radix_sort_config_selectorIhlEEZNS1_25segmented_radix_sort_implIS3_Lb0EPKhPhPKlPlN2at6native12_GLOBAL__N_18offset_tEEE10hipError_tPvRmT1_PNSt15iterator_traitsISK_E10value_typeET2_T3_PNSL_ISQ_E10value_typeET4_jRbjT5_SW_jjP12ihipStream_tbEUlT_E1_NS1_11comp_targetILNS1_3genE8ELNS1_11target_archE1030ELNS1_3gpuE2ELNS1_3repE0EEENS1_59segmented_radix_sort_warp_sort_small_config_static_selectorELNS0_4arch9wavefront6targetE0EEEvSK_.has_recursion, 0
	.set _ZN7rocprim17ROCPRIM_400000_NS6detail17trampoline_kernelINS0_14default_configENS1_36segmented_radix_sort_config_selectorIhlEEZNS1_25segmented_radix_sort_implIS3_Lb0EPKhPhPKlPlN2at6native12_GLOBAL__N_18offset_tEEE10hipError_tPvRmT1_PNSt15iterator_traitsISK_E10value_typeET2_T3_PNSL_ISQ_E10value_typeET4_jRbjT5_SW_jjP12ihipStream_tbEUlT_E1_NS1_11comp_targetILNS1_3genE8ELNS1_11target_archE1030ELNS1_3gpuE2ELNS1_3repE0EEENS1_59segmented_radix_sort_warp_sort_small_config_static_selectorELNS0_4arch9wavefront6targetE0EEEvSK_.has_indirect_call, 0
	.section	.AMDGPU.csdata,"",@progbits
; Kernel info:
; codeLenInByte = 0
; TotalNumSgprs: 0
; NumVgprs: 0
; ScratchSize: 0
; MemoryBound: 0
; FloatMode: 240
; IeeeMode: 1
; LDSByteSize: 0 bytes/workgroup (compile time only)
; SGPRBlocks: 0
; VGPRBlocks: 0
; NumSGPRsForWavesPerEU: 1
; NumVGPRsForWavesPerEU: 1
; Occupancy: 16
; WaveLimiterHint : 0
; COMPUTE_PGM_RSRC2:SCRATCH_EN: 0
; COMPUTE_PGM_RSRC2:USER_SGPR: 2
; COMPUTE_PGM_RSRC2:TRAP_HANDLER: 0
; COMPUTE_PGM_RSRC2:TGID_X_EN: 1
; COMPUTE_PGM_RSRC2:TGID_Y_EN: 0
; COMPUTE_PGM_RSRC2:TGID_Z_EN: 0
; COMPUTE_PGM_RSRC2:TIDIG_COMP_CNT: 0
	.section	.text._ZN7rocprim17ROCPRIM_400000_NS6detail17trampoline_kernelINS0_14default_configENS1_36segmented_radix_sort_config_selectorIhlEEZNS1_25segmented_radix_sort_implIS3_Lb0EPKhPhPKlPlN2at6native12_GLOBAL__N_18offset_tEEE10hipError_tPvRmT1_PNSt15iterator_traitsISK_E10value_typeET2_T3_PNSL_ISQ_E10value_typeET4_jRbjT5_SW_jjP12ihipStream_tbEUlT_E2_NS1_11comp_targetILNS1_3genE0ELNS1_11target_archE4294967295ELNS1_3gpuE0ELNS1_3repE0EEENS1_30default_config_static_selectorELNS0_4arch9wavefront6targetE0EEEvSK_,"axG",@progbits,_ZN7rocprim17ROCPRIM_400000_NS6detail17trampoline_kernelINS0_14default_configENS1_36segmented_radix_sort_config_selectorIhlEEZNS1_25segmented_radix_sort_implIS3_Lb0EPKhPhPKlPlN2at6native12_GLOBAL__N_18offset_tEEE10hipError_tPvRmT1_PNSt15iterator_traitsISK_E10value_typeET2_T3_PNSL_ISQ_E10value_typeET4_jRbjT5_SW_jjP12ihipStream_tbEUlT_E2_NS1_11comp_targetILNS1_3genE0ELNS1_11target_archE4294967295ELNS1_3gpuE0ELNS1_3repE0EEENS1_30default_config_static_selectorELNS0_4arch9wavefront6targetE0EEEvSK_,comdat
	.globl	_ZN7rocprim17ROCPRIM_400000_NS6detail17trampoline_kernelINS0_14default_configENS1_36segmented_radix_sort_config_selectorIhlEEZNS1_25segmented_radix_sort_implIS3_Lb0EPKhPhPKlPlN2at6native12_GLOBAL__N_18offset_tEEE10hipError_tPvRmT1_PNSt15iterator_traitsISK_E10value_typeET2_T3_PNSL_ISQ_E10value_typeET4_jRbjT5_SW_jjP12ihipStream_tbEUlT_E2_NS1_11comp_targetILNS1_3genE0ELNS1_11target_archE4294967295ELNS1_3gpuE0ELNS1_3repE0EEENS1_30default_config_static_selectorELNS0_4arch9wavefront6targetE0EEEvSK_ ; -- Begin function _ZN7rocprim17ROCPRIM_400000_NS6detail17trampoline_kernelINS0_14default_configENS1_36segmented_radix_sort_config_selectorIhlEEZNS1_25segmented_radix_sort_implIS3_Lb0EPKhPhPKlPlN2at6native12_GLOBAL__N_18offset_tEEE10hipError_tPvRmT1_PNSt15iterator_traitsISK_E10value_typeET2_T3_PNSL_ISQ_E10value_typeET4_jRbjT5_SW_jjP12ihipStream_tbEUlT_E2_NS1_11comp_targetILNS1_3genE0ELNS1_11target_archE4294967295ELNS1_3gpuE0ELNS1_3repE0EEENS1_30default_config_static_selectorELNS0_4arch9wavefront6targetE0EEEvSK_
	.p2align	8
	.type	_ZN7rocprim17ROCPRIM_400000_NS6detail17trampoline_kernelINS0_14default_configENS1_36segmented_radix_sort_config_selectorIhlEEZNS1_25segmented_radix_sort_implIS3_Lb0EPKhPhPKlPlN2at6native12_GLOBAL__N_18offset_tEEE10hipError_tPvRmT1_PNSt15iterator_traitsISK_E10value_typeET2_T3_PNSL_ISQ_E10value_typeET4_jRbjT5_SW_jjP12ihipStream_tbEUlT_E2_NS1_11comp_targetILNS1_3genE0ELNS1_11target_archE4294967295ELNS1_3gpuE0ELNS1_3repE0EEENS1_30default_config_static_selectorELNS0_4arch9wavefront6targetE0EEEvSK_,@function
_ZN7rocprim17ROCPRIM_400000_NS6detail17trampoline_kernelINS0_14default_configENS1_36segmented_radix_sort_config_selectorIhlEEZNS1_25segmented_radix_sort_implIS3_Lb0EPKhPhPKlPlN2at6native12_GLOBAL__N_18offset_tEEE10hipError_tPvRmT1_PNSt15iterator_traitsISK_E10value_typeET2_T3_PNSL_ISQ_E10value_typeET4_jRbjT5_SW_jjP12ihipStream_tbEUlT_E2_NS1_11comp_targetILNS1_3genE0ELNS1_11target_archE4294967295ELNS1_3gpuE0ELNS1_3repE0EEENS1_30default_config_static_selectorELNS0_4arch9wavefront6targetE0EEEvSK_: ; @_ZN7rocprim17ROCPRIM_400000_NS6detail17trampoline_kernelINS0_14default_configENS1_36segmented_radix_sort_config_selectorIhlEEZNS1_25segmented_radix_sort_implIS3_Lb0EPKhPhPKlPlN2at6native12_GLOBAL__N_18offset_tEEE10hipError_tPvRmT1_PNSt15iterator_traitsISK_E10value_typeET2_T3_PNSL_ISQ_E10value_typeET4_jRbjT5_SW_jjP12ihipStream_tbEUlT_E2_NS1_11comp_targetILNS1_3genE0ELNS1_11target_archE4294967295ELNS1_3gpuE0ELNS1_3repE0EEENS1_30default_config_static_selectorELNS0_4arch9wavefront6targetE0EEEvSK_
; %bb.0:
	.section	.rodata,"a",@progbits
	.p2align	6, 0x0
	.amdhsa_kernel _ZN7rocprim17ROCPRIM_400000_NS6detail17trampoline_kernelINS0_14default_configENS1_36segmented_radix_sort_config_selectorIhlEEZNS1_25segmented_radix_sort_implIS3_Lb0EPKhPhPKlPlN2at6native12_GLOBAL__N_18offset_tEEE10hipError_tPvRmT1_PNSt15iterator_traitsISK_E10value_typeET2_T3_PNSL_ISQ_E10value_typeET4_jRbjT5_SW_jjP12ihipStream_tbEUlT_E2_NS1_11comp_targetILNS1_3genE0ELNS1_11target_archE4294967295ELNS1_3gpuE0ELNS1_3repE0EEENS1_30default_config_static_selectorELNS0_4arch9wavefront6targetE0EEEvSK_
		.amdhsa_group_segment_fixed_size 0
		.amdhsa_private_segment_fixed_size 0
		.amdhsa_kernarg_size 80
		.amdhsa_user_sgpr_count 2
		.amdhsa_user_sgpr_dispatch_ptr 0
		.amdhsa_user_sgpr_queue_ptr 0
		.amdhsa_user_sgpr_kernarg_segment_ptr 1
		.amdhsa_user_sgpr_dispatch_id 0
		.amdhsa_user_sgpr_private_segment_size 0
		.amdhsa_wavefront_size32 1
		.amdhsa_uses_dynamic_stack 0
		.amdhsa_enable_private_segment 0
		.amdhsa_system_sgpr_workgroup_id_x 1
		.amdhsa_system_sgpr_workgroup_id_y 0
		.amdhsa_system_sgpr_workgroup_id_z 0
		.amdhsa_system_sgpr_workgroup_info 0
		.amdhsa_system_vgpr_workitem_id 0
		.amdhsa_next_free_vgpr 1
		.amdhsa_next_free_sgpr 1
		.amdhsa_reserve_vcc 0
		.amdhsa_float_round_mode_32 0
		.amdhsa_float_round_mode_16_64 0
		.amdhsa_float_denorm_mode_32 3
		.amdhsa_float_denorm_mode_16_64 3
		.amdhsa_fp16_overflow 0
		.amdhsa_workgroup_processor_mode 1
		.amdhsa_memory_ordered 1
		.amdhsa_forward_progress 1
		.amdhsa_inst_pref_size 0
		.amdhsa_round_robin_scheduling 0
		.amdhsa_exception_fp_ieee_invalid_op 0
		.amdhsa_exception_fp_denorm_src 0
		.amdhsa_exception_fp_ieee_div_zero 0
		.amdhsa_exception_fp_ieee_overflow 0
		.amdhsa_exception_fp_ieee_underflow 0
		.amdhsa_exception_fp_ieee_inexact 0
		.amdhsa_exception_int_div_zero 0
	.end_amdhsa_kernel
	.section	.text._ZN7rocprim17ROCPRIM_400000_NS6detail17trampoline_kernelINS0_14default_configENS1_36segmented_radix_sort_config_selectorIhlEEZNS1_25segmented_radix_sort_implIS3_Lb0EPKhPhPKlPlN2at6native12_GLOBAL__N_18offset_tEEE10hipError_tPvRmT1_PNSt15iterator_traitsISK_E10value_typeET2_T3_PNSL_ISQ_E10value_typeET4_jRbjT5_SW_jjP12ihipStream_tbEUlT_E2_NS1_11comp_targetILNS1_3genE0ELNS1_11target_archE4294967295ELNS1_3gpuE0ELNS1_3repE0EEENS1_30default_config_static_selectorELNS0_4arch9wavefront6targetE0EEEvSK_,"axG",@progbits,_ZN7rocprim17ROCPRIM_400000_NS6detail17trampoline_kernelINS0_14default_configENS1_36segmented_radix_sort_config_selectorIhlEEZNS1_25segmented_radix_sort_implIS3_Lb0EPKhPhPKlPlN2at6native12_GLOBAL__N_18offset_tEEE10hipError_tPvRmT1_PNSt15iterator_traitsISK_E10value_typeET2_T3_PNSL_ISQ_E10value_typeET4_jRbjT5_SW_jjP12ihipStream_tbEUlT_E2_NS1_11comp_targetILNS1_3genE0ELNS1_11target_archE4294967295ELNS1_3gpuE0ELNS1_3repE0EEENS1_30default_config_static_selectorELNS0_4arch9wavefront6targetE0EEEvSK_,comdat
.Lfunc_end216:
	.size	_ZN7rocprim17ROCPRIM_400000_NS6detail17trampoline_kernelINS0_14default_configENS1_36segmented_radix_sort_config_selectorIhlEEZNS1_25segmented_radix_sort_implIS3_Lb0EPKhPhPKlPlN2at6native12_GLOBAL__N_18offset_tEEE10hipError_tPvRmT1_PNSt15iterator_traitsISK_E10value_typeET2_T3_PNSL_ISQ_E10value_typeET4_jRbjT5_SW_jjP12ihipStream_tbEUlT_E2_NS1_11comp_targetILNS1_3genE0ELNS1_11target_archE4294967295ELNS1_3gpuE0ELNS1_3repE0EEENS1_30default_config_static_selectorELNS0_4arch9wavefront6targetE0EEEvSK_, .Lfunc_end216-_ZN7rocprim17ROCPRIM_400000_NS6detail17trampoline_kernelINS0_14default_configENS1_36segmented_radix_sort_config_selectorIhlEEZNS1_25segmented_radix_sort_implIS3_Lb0EPKhPhPKlPlN2at6native12_GLOBAL__N_18offset_tEEE10hipError_tPvRmT1_PNSt15iterator_traitsISK_E10value_typeET2_T3_PNSL_ISQ_E10value_typeET4_jRbjT5_SW_jjP12ihipStream_tbEUlT_E2_NS1_11comp_targetILNS1_3genE0ELNS1_11target_archE4294967295ELNS1_3gpuE0ELNS1_3repE0EEENS1_30default_config_static_selectorELNS0_4arch9wavefront6targetE0EEEvSK_
                                        ; -- End function
	.set _ZN7rocprim17ROCPRIM_400000_NS6detail17trampoline_kernelINS0_14default_configENS1_36segmented_radix_sort_config_selectorIhlEEZNS1_25segmented_radix_sort_implIS3_Lb0EPKhPhPKlPlN2at6native12_GLOBAL__N_18offset_tEEE10hipError_tPvRmT1_PNSt15iterator_traitsISK_E10value_typeET2_T3_PNSL_ISQ_E10value_typeET4_jRbjT5_SW_jjP12ihipStream_tbEUlT_E2_NS1_11comp_targetILNS1_3genE0ELNS1_11target_archE4294967295ELNS1_3gpuE0ELNS1_3repE0EEENS1_30default_config_static_selectorELNS0_4arch9wavefront6targetE0EEEvSK_.num_vgpr, 0
	.set _ZN7rocprim17ROCPRIM_400000_NS6detail17trampoline_kernelINS0_14default_configENS1_36segmented_radix_sort_config_selectorIhlEEZNS1_25segmented_radix_sort_implIS3_Lb0EPKhPhPKlPlN2at6native12_GLOBAL__N_18offset_tEEE10hipError_tPvRmT1_PNSt15iterator_traitsISK_E10value_typeET2_T3_PNSL_ISQ_E10value_typeET4_jRbjT5_SW_jjP12ihipStream_tbEUlT_E2_NS1_11comp_targetILNS1_3genE0ELNS1_11target_archE4294967295ELNS1_3gpuE0ELNS1_3repE0EEENS1_30default_config_static_selectorELNS0_4arch9wavefront6targetE0EEEvSK_.num_agpr, 0
	.set _ZN7rocprim17ROCPRIM_400000_NS6detail17trampoline_kernelINS0_14default_configENS1_36segmented_radix_sort_config_selectorIhlEEZNS1_25segmented_radix_sort_implIS3_Lb0EPKhPhPKlPlN2at6native12_GLOBAL__N_18offset_tEEE10hipError_tPvRmT1_PNSt15iterator_traitsISK_E10value_typeET2_T3_PNSL_ISQ_E10value_typeET4_jRbjT5_SW_jjP12ihipStream_tbEUlT_E2_NS1_11comp_targetILNS1_3genE0ELNS1_11target_archE4294967295ELNS1_3gpuE0ELNS1_3repE0EEENS1_30default_config_static_selectorELNS0_4arch9wavefront6targetE0EEEvSK_.numbered_sgpr, 0
	.set _ZN7rocprim17ROCPRIM_400000_NS6detail17trampoline_kernelINS0_14default_configENS1_36segmented_radix_sort_config_selectorIhlEEZNS1_25segmented_radix_sort_implIS3_Lb0EPKhPhPKlPlN2at6native12_GLOBAL__N_18offset_tEEE10hipError_tPvRmT1_PNSt15iterator_traitsISK_E10value_typeET2_T3_PNSL_ISQ_E10value_typeET4_jRbjT5_SW_jjP12ihipStream_tbEUlT_E2_NS1_11comp_targetILNS1_3genE0ELNS1_11target_archE4294967295ELNS1_3gpuE0ELNS1_3repE0EEENS1_30default_config_static_selectorELNS0_4arch9wavefront6targetE0EEEvSK_.num_named_barrier, 0
	.set _ZN7rocprim17ROCPRIM_400000_NS6detail17trampoline_kernelINS0_14default_configENS1_36segmented_radix_sort_config_selectorIhlEEZNS1_25segmented_radix_sort_implIS3_Lb0EPKhPhPKlPlN2at6native12_GLOBAL__N_18offset_tEEE10hipError_tPvRmT1_PNSt15iterator_traitsISK_E10value_typeET2_T3_PNSL_ISQ_E10value_typeET4_jRbjT5_SW_jjP12ihipStream_tbEUlT_E2_NS1_11comp_targetILNS1_3genE0ELNS1_11target_archE4294967295ELNS1_3gpuE0ELNS1_3repE0EEENS1_30default_config_static_selectorELNS0_4arch9wavefront6targetE0EEEvSK_.private_seg_size, 0
	.set _ZN7rocprim17ROCPRIM_400000_NS6detail17trampoline_kernelINS0_14default_configENS1_36segmented_radix_sort_config_selectorIhlEEZNS1_25segmented_radix_sort_implIS3_Lb0EPKhPhPKlPlN2at6native12_GLOBAL__N_18offset_tEEE10hipError_tPvRmT1_PNSt15iterator_traitsISK_E10value_typeET2_T3_PNSL_ISQ_E10value_typeET4_jRbjT5_SW_jjP12ihipStream_tbEUlT_E2_NS1_11comp_targetILNS1_3genE0ELNS1_11target_archE4294967295ELNS1_3gpuE0ELNS1_3repE0EEENS1_30default_config_static_selectorELNS0_4arch9wavefront6targetE0EEEvSK_.uses_vcc, 0
	.set _ZN7rocprim17ROCPRIM_400000_NS6detail17trampoline_kernelINS0_14default_configENS1_36segmented_radix_sort_config_selectorIhlEEZNS1_25segmented_radix_sort_implIS3_Lb0EPKhPhPKlPlN2at6native12_GLOBAL__N_18offset_tEEE10hipError_tPvRmT1_PNSt15iterator_traitsISK_E10value_typeET2_T3_PNSL_ISQ_E10value_typeET4_jRbjT5_SW_jjP12ihipStream_tbEUlT_E2_NS1_11comp_targetILNS1_3genE0ELNS1_11target_archE4294967295ELNS1_3gpuE0ELNS1_3repE0EEENS1_30default_config_static_selectorELNS0_4arch9wavefront6targetE0EEEvSK_.uses_flat_scratch, 0
	.set _ZN7rocprim17ROCPRIM_400000_NS6detail17trampoline_kernelINS0_14default_configENS1_36segmented_radix_sort_config_selectorIhlEEZNS1_25segmented_radix_sort_implIS3_Lb0EPKhPhPKlPlN2at6native12_GLOBAL__N_18offset_tEEE10hipError_tPvRmT1_PNSt15iterator_traitsISK_E10value_typeET2_T3_PNSL_ISQ_E10value_typeET4_jRbjT5_SW_jjP12ihipStream_tbEUlT_E2_NS1_11comp_targetILNS1_3genE0ELNS1_11target_archE4294967295ELNS1_3gpuE0ELNS1_3repE0EEENS1_30default_config_static_selectorELNS0_4arch9wavefront6targetE0EEEvSK_.has_dyn_sized_stack, 0
	.set _ZN7rocprim17ROCPRIM_400000_NS6detail17trampoline_kernelINS0_14default_configENS1_36segmented_radix_sort_config_selectorIhlEEZNS1_25segmented_radix_sort_implIS3_Lb0EPKhPhPKlPlN2at6native12_GLOBAL__N_18offset_tEEE10hipError_tPvRmT1_PNSt15iterator_traitsISK_E10value_typeET2_T3_PNSL_ISQ_E10value_typeET4_jRbjT5_SW_jjP12ihipStream_tbEUlT_E2_NS1_11comp_targetILNS1_3genE0ELNS1_11target_archE4294967295ELNS1_3gpuE0ELNS1_3repE0EEENS1_30default_config_static_selectorELNS0_4arch9wavefront6targetE0EEEvSK_.has_recursion, 0
	.set _ZN7rocprim17ROCPRIM_400000_NS6detail17trampoline_kernelINS0_14default_configENS1_36segmented_radix_sort_config_selectorIhlEEZNS1_25segmented_radix_sort_implIS3_Lb0EPKhPhPKlPlN2at6native12_GLOBAL__N_18offset_tEEE10hipError_tPvRmT1_PNSt15iterator_traitsISK_E10value_typeET2_T3_PNSL_ISQ_E10value_typeET4_jRbjT5_SW_jjP12ihipStream_tbEUlT_E2_NS1_11comp_targetILNS1_3genE0ELNS1_11target_archE4294967295ELNS1_3gpuE0ELNS1_3repE0EEENS1_30default_config_static_selectorELNS0_4arch9wavefront6targetE0EEEvSK_.has_indirect_call, 0
	.section	.AMDGPU.csdata,"",@progbits
; Kernel info:
; codeLenInByte = 0
; TotalNumSgprs: 0
; NumVgprs: 0
; ScratchSize: 0
; MemoryBound: 0
; FloatMode: 240
; IeeeMode: 1
; LDSByteSize: 0 bytes/workgroup (compile time only)
; SGPRBlocks: 0
; VGPRBlocks: 0
; NumSGPRsForWavesPerEU: 1
; NumVGPRsForWavesPerEU: 1
; Occupancy: 16
; WaveLimiterHint : 0
; COMPUTE_PGM_RSRC2:SCRATCH_EN: 0
; COMPUTE_PGM_RSRC2:USER_SGPR: 2
; COMPUTE_PGM_RSRC2:TRAP_HANDLER: 0
; COMPUTE_PGM_RSRC2:TGID_X_EN: 1
; COMPUTE_PGM_RSRC2:TGID_Y_EN: 0
; COMPUTE_PGM_RSRC2:TGID_Z_EN: 0
; COMPUTE_PGM_RSRC2:TIDIG_COMP_CNT: 0
	.section	.text._ZN7rocprim17ROCPRIM_400000_NS6detail17trampoline_kernelINS0_14default_configENS1_36segmented_radix_sort_config_selectorIhlEEZNS1_25segmented_radix_sort_implIS3_Lb0EPKhPhPKlPlN2at6native12_GLOBAL__N_18offset_tEEE10hipError_tPvRmT1_PNSt15iterator_traitsISK_E10value_typeET2_T3_PNSL_ISQ_E10value_typeET4_jRbjT5_SW_jjP12ihipStream_tbEUlT_E2_NS1_11comp_targetILNS1_3genE5ELNS1_11target_archE942ELNS1_3gpuE9ELNS1_3repE0EEENS1_30default_config_static_selectorELNS0_4arch9wavefront6targetE0EEEvSK_,"axG",@progbits,_ZN7rocprim17ROCPRIM_400000_NS6detail17trampoline_kernelINS0_14default_configENS1_36segmented_radix_sort_config_selectorIhlEEZNS1_25segmented_radix_sort_implIS3_Lb0EPKhPhPKlPlN2at6native12_GLOBAL__N_18offset_tEEE10hipError_tPvRmT1_PNSt15iterator_traitsISK_E10value_typeET2_T3_PNSL_ISQ_E10value_typeET4_jRbjT5_SW_jjP12ihipStream_tbEUlT_E2_NS1_11comp_targetILNS1_3genE5ELNS1_11target_archE942ELNS1_3gpuE9ELNS1_3repE0EEENS1_30default_config_static_selectorELNS0_4arch9wavefront6targetE0EEEvSK_,comdat
	.globl	_ZN7rocprim17ROCPRIM_400000_NS6detail17trampoline_kernelINS0_14default_configENS1_36segmented_radix_sort_config_selectorIhlEEZNS1_25segmented_radix_sort_implIS3_Lb0EPKhPhPKlPlN2at6native12_GLOBAL__N_18offset_tEEE10hipError_tPvRmT1_PNSt15iterator_traitsISK_E10value_typeET2_T3_PNSL_ISQ_E10value_typeET4_jRbjT5_SW_jjP12ihipStream_tbEUlT_E2_NS1_11comp_targetILNS1_3genE5ELNS1_11target_archE942ELNS1_3gpuE9ELNS1_3repE0EEENS1_30default_config_static_selectorELNS0_4arch9wavefront6targetE0EEEvSK_ ; -- Begin function _ZN7rocprim17ROCPRIM_400000_NS6detail17trampoline_kernelINS0_14default_configENS1_36segmented_radix_sort_config_selectorIhlEEZNS1_25segmented_radix_sort_implIS3_Lb0EPKhPhPKlPlN2at6native12_GLOBAL__N_18offset_tEEE10hipError_tPvRmT1_PNSt15iterator_traitsISK_E10value_typeET2_T3_PNSL_ISQ_E10value_typeET4_jRbjT5_SW_jjP12ihipStream_tbEUlT_E2_NS1_11comp_targetILNS1_3genE5ELNS1_11target_archE942ELNS1_3gpuE9ELNS1_3repE0EEENS1_30default_config_static_selectorELNS0_4arch9wavefront6targetE0EEEvSK_
	.p2align	8
	.type	_ZN7rocprim17ROCPRIM_400000_NS6detail17trampoline_kernelINS0_14default_configENS1_36segmented_radix_sort_config_selectorIhlEEZNS1_25segmented_radix_sort_implIS3_Lb0EPKhPhPKlPlN2at6native12_GLOBAL__N_18offset_tEEE10hipError_tPvRmT1_PNSt15iterator_traitsISK_E10value_typeET2_T3_PNSL_ISQ_E10value_typeET4_jRbjT5_SW_jjP12ihipStream_tbEUlT_E2_NS1_11comp_targetILNS1_3genE5ELNS1_11target_archE942ELNS1_3gpuE9ELNS1_3repE0EEENS1_30default_config_static_selectorELNS0_4arch9wavefront6targetE0EEEvSK_,@function
_ZN7rocprim17ROCPRIM_400000_NS6detail17trampoline_kernelINS0_14default_configENS1_36segmented_radix_sort_config_selectorIhlEEZNS1_25segmented_radix_sort_implIS3_Lb0EPKhPhPKlPlN2at6native12_GLOBAL__N_18offset_tEEE10hipError_tPvRmT1_PNSt15iterator_traitsISK_E10value_typeET2_T3_PNSL_ISQ_E10value_typeET4_jRbjT5_SW_jjP12ihipStream_tbEUlT_E2_NS1_11comp_targetILNS1_3genE5ELNS1_11target_archE942ELNS1_3gpuE9ELNS1_3repE0EEENS1_30default_config_static_selectorELNS0_4arch9wavefront6targetE0EEEvSK_: ; @_ZN7rocprim17ROCPRIM_400000_NS6detail17trampoline_kernelINS0_14default_configENS1_36segmented_radix_sort_config_selectorIhlEEZNS1_25segmented_radix_sort_implIS3_Lb0EPKhPhPKlPlN2at6native12_GLOBAL__N_18offset_tEEE10hipError_tPvRmT1_PNSt15iterator_traitsISK_E10value_typeET2_T3_PNSL_ISQ_E10value_typeET4_jRbjT5_SW_jjP12ihipStream_tbEUlT_E2_NS1_11comp_targetILNS1_3genE5ELNS1_11target_archE942ELNS1_3gpuE9ELNS1_3repE0EEENS1_30default_config_static_selectorELNS0_4arch9wavefront6targetE0EEEvSK_
; %bb.0:
	.section	.rodata,"a",@progbits
	.p2align	6, 0x0
	.amdhsa_kernel _ZN7rocprim17ROCPRIM_400000_NS6detail17trampoline_kernelINS0_14default_configENS1_36segmented_radix_sort_config_selectorIhlEEZNS1_25segmented_radix_sort_implIS3_Lb0EPKhPhPKlPlN2at6native12_GLOBAL__N_18offset_tEEE10hipError_tPvRmT1_PNSt15iterator_traitsISK_E10value_typeET2_T3_PNSL_ISQ_E10value_typeET4_jRbjT5_SW_jjP12ihipStream_tbEUlT_E2_NS1_11comp_targetILNS1_3genE5ELNS1_11target_archE942ELNS1_3gpuE9ELNS1_3repE0EEENS1_30default_config_static_selectorELNS0_4arch9wavefront6targetE0EEEvSK_
		.amdhsa_group_segment_fixed_size 0
		.amdhsa_private_segment_fixed_size 0
		.amdhsa_kernarg_size 80
		.amdhsa_user_sgpr_count 2
		.amdhsa_user_sgpr_dispatch_ptr 0
		.amdhsa_user_sgpr_queue_ptr 0
		.amdhsa_user_sgpr_kernarg_segment_ptr 1
		.amdhsa_user_sgpr_dispatch_id 0
		.amdhsa_user_sgpr_private_segment_size 0
		.amdhsa_wavefront_size32 1
		.amdhsa_uses_dynamic_stack 0
		.amdhsa_enable_private_segment 0
		.amdhsa_system_sgpr_workgroup_id_x 1
		.amdhsa_system_sgpr_workgroup_id_y 0
		.amdhsa_system_sgpr_workgroup_id_z 0
		.amdhsa_system_sgpr_workgroup_info 0
		.amdhsa_system_vgpr_workitem_id 0
		.amdhsa_next_free_vgpr 1
		.amdhsa_next_free_sgpr 1
		.amdhsa_reserve_vcc 0
		.amdhsa_float_round_mode_32 0
		.amdhsa_float_round_mode_16_64 0
		.amdhsa_float_denorm_mode_32 3
		.amdhsa_float_denorm_mode_16_64 3
		.amdhsa_fp16_overflow 0
		.amdhsa_workgroup_processor_mode 1
		.amdhsa_memory_ordered 1
		.amdhsa_forward_progress 1
		.amdhsa_inst_pref_size 0
		.amdhsa_round_robin_scheduling 0
		.amdhsa_exception_fp_ieee_invalid_op 0
		.amdhsa_exception_fp_denorm_src 0
		.amdhsa_exception_fp_ieee_div_zero 0
		.amdhsa_exception_fp_ieee_overflow 0
		.amdhsa_exception_fp_ieee_underflow 0
		.amdhsa_exception_fp_ieee_inexact 0
		.amdhsa_exception_int_div_zero 0
	.end_amdhsa_kernel
	.section	.text._ZN7rocprim17ROCPRIM_400000_NS6detail17trampoline_kernelINS0_14default_configENS1_36segmented_radix_sort_config_selectorIhlEEZNS1_25segmented_radix_sort_implIS3_Lb0EPKhPhPKlPlN2at6native12_GLOBAL__N_18offset_tEEE10hipError_tPvRmT1_PNSt15iterator_traitsISK_E10value_typeET2_T3_PNSL_ISQ_E10value_typeET4_jRbjT5_SW_jjP12ihipStream_tbEUlT_E2_NS1_11comp_targetILNS1_3genE5ELNS1_11target_archE942ELNS1_3gpuE9ELNS1_3repE0EEENS1_30default_config_static_selectorELNS0_4arch9wavefront6targetE0EEEvSK_,"axG",@progbits,_ZN7rocprim17ROCPRIM_400000_NS6detail17trampoline_kernelINS0_14default_configENS1_36segmented_radix_sort_config_selectorIhlEEZNS1_25segmented_radix_sort_implIS3_Lb0EPKhPhPKlPlN2at6native12_GLOBAL__N_18offset_tEEE10hipError_tPvRmT1_PNSt15iterator_traitsISK_E10value_typeET2_T3_PNSL_ISQ_E10value_typeET4_jRbjT5_SW_jjP12ihipStream_tbEUlT_E2_NS1_11comp_targetILNS1_3genE5ELNS1_11target_archE942ELNS1_3gpuE9ELNS1_3repE0EEENS1_30default_config_static_selectorELNS0_4arch9wavefront6targetE0EEEvSK_,comdat
.Lfunc_end217:
	.size	_ZN7rocprim17ROCPRIM_400000_NS6detail17trampoline_kernelINS0_14default_configENS1_36segmented_radix_sort_config_selectorIhlEEZNS1_25segmented_radix_sort_implIS3_Lb0EPKhPhPKlPlN2at6native12_GLOBAL__N_18offset_tEEE10hipError_tPvRmT1_PNSt15iterator_traitsISK_E10value_typeET2_T3_PNSL_ISQ_E10value_typeET4_jRbjT5_SW_jjP12ihipStream_tbEUlT_E2_NS1_11comp_targetILNS1_3genE5ELNS1_11target_archE942ELNS1_3gpuE9ELNS1_3repE0EEENS1_30default_config_static_selectorELNS0_4arch9wavefront6targetE0EEEvSK_, .Lfunc_end217-_ZN7rocprim17ROCPRIM_400000_NS6detail17trampoline_kernelINS0_14default_configENS1_36segmented_radix_sort_config_selectorIhlEEZNS1_25segmented_radix_sort_implIS3_Lb0EPKhPhPKlPlN2at6native12_GLOBAL__N_18offset_tEEE10hipError_tPvRmT1_PNSt15iterator_traitsISK_E10value_typeET2_T3_PNSL_ISQ_E10value_typeET4_jRbjT5_SW_jjP12ihipStream_tbEUlT_E2_NS1_11comp_targetILNS1_3genE5ELNS1_11target_archE942ELNS1_3gpuE9ELNS1_3repE0EEENS1_30default_config_static_selectorELNS0_4arch9wavefront6targetE0EEEvSK_
                                        ; -- End function
	.set _ZN7rocprim17ROCPRIM_400000_NS6detail17trampoline_kernelINS0_14default_configENS1_36segmented_radix_sort_config_selectorIhlEEZNS1_25segmented_radix_sort_implIS3_Lb0EPKhPhPKlPlN2at6native12_GLOBAL__N_18offset_tEEE10hipError_tPvRmT1_PNSt15iterator_traitsISK_E10value_typeET2_T3_PNSL_ISQ_E10value_typeET4_jRbjT5_SW_jjP12ihipStream_tbEUlT_E2_NS1_11comp_targetILNS1_3genE5ELNS1_11target_archE942ELNS1_3gpuE9ELNS1_3repE0EEENS1_30default_config_static_selectorELNS0_4arch9wavefront6targetE0EEEvSK_.num_vgpr, 0
	.set _ZN7rocprim17ROCPRIM_400000_NS6detail17trampoline_kernelINS0_14default_configENS1_36segmented_radix_sort_config_selectorIhlEEZNS1_25segmented_radix_sort_implIS3_Lb0EPKhPhPKlPlN2at6native12_GLOBAL__N_18offset_tEEE10hipError_tPvRmT1_PNSt15iterator_traitsISK_E10value_typeET2_T3_PNSL_ISQ_E10value_typeET4_jRbjT5_SW_jjP12ihipStream_tbEUlT_E2_NS1_11comp_targetILNS1_3genE5ELNS1_11target_archE942ELNS1_3gpuE9ELNS1_3repE0EEENS1_30default_config_static_selectorELNS0_4arch9wavefront6targetE0EEEvSK_.num_agpr, 0
	.set _ZN7rocprim17ROCPRIM_400000_NS6detail17trampoline_kernelINS0_14default_configENS1_36segmented_radix_sort_config_selectorIhlEEZNS1_25segmented_radix_sort_implIS3_Lb0EPKhPhPKlPlN2at6native12_GLOBAL__N_18offset_tEEE10hipError_tPvRmT1_PNSt15iterator_traitsISK_E10value_typeET2_T3_PNSL_ISQ_E10value_typeET4_jRbjT5_SW_jjP12ihipStream_tbEUlT_E2_NS1_11comp_targetILNS1_3genE5ELNS1_11target_archE942ELNS1_3gpuE9ELNS1_3repE0EEENS1_30default_config_static_selectorELNS0_4arch9wavefront6targetE0EEEvSK_.numbered_sgpr, 0
	.set _ZN7rocprim17ROCPRIM_400000_NS6detail17trampoline_kernelINS0_14default_configENS1_36segmented_radix_sort_config_selectorIhlEEZNS1_25segmented_radix_sort_implIS3_Lb0EPKhPhPKlPlN2at6native12_GLOBAL__N_18offset_tEEE10hipError_tPvRmT1_PNSt15iterator_traitsISK_E10value_typeET2_T3_PNSL_ISQ_E10value_typeET4_jRbjT5_SW_jjP12ihipStream_tbEUlT_E2_NS1_11comp_targetILNS1_3genE5ELNS1_11target_archE942ELNS1_3gpuE9ELNS1_3repE0EEENS1_30default_config_static_selectorELNS0_4arch9wavefront6targetE0EEEvSK_.num_named_barrier, 0
	.set _ZN7rocprim17ROCPRIM_400000_NS6detail17trampoline_kernelINS0_14default_configENS1_36segmented_radix_sort_config_selectorIhlEEZNS1_25segmented_radix_sort_implIS3_Lb0EPKhPhPKlPlN2at6native12_GLOBAL__N_18offset_tEEE10hipError_tPvRmT1_PNSt15iterator_traitsISK_E10value_typeET2_T3_PNSL_ISQ_E10value_typeET4_jRbjT5_SW_jjP12ihipStream_tbEUlT_E2_NS1_11comp_targetILNS1_3genE5ELNS1_11target_archE942ELNS1_3gpuE9ELNS1_3repE0EEENS1_30default_config_static_selectorELNS0_4arch9wavefront6targetE0EEEvSK_.private_seg_size, 0
	.set _ZN7rocprim17ROCPRIM_400000_NS6detail17trampoline_kernelINS0_14default_configENS1_36segmented_radix_sort_config_selectorIhlEEZNS1_25segmented_radix_sort_implIS3_Lb0EPKhPhPKlPlN2at6native12_GLOBAL__N_18offset_tEEE10hipError_tPvRmT1_PNSt15iterator_traitsISK_E10value_typeET2_T3_PNSL_ISQ_E10value_typeET4_jRbjT5_SW_jjP12ihipStream_tbEUlT_E2_NS1_11comp_targetILNS1_3genE5ELNS1_11target_archE942ELNS1_3gpuE9ELNS1_3repE0EEENS1_30default_config_static_selectorELNS0_4arch9wavefront6targetE0EEEvSK_.uses_vcc, 0
	.set _ZN7rocprim17ROCPRIM_400000_NS6detail17trampoline_kernelINS0_14default_configENS1_36segmented_radix_sort_config_selectorIhlEEZNS1_25segmented_radix_sort_implIS3_Lb0EPKhPhPKlPlN2at6native12_GLOBAL__N_18offset_tEEE10hipError_tPvRmT1_PNSt15iterator_traitsISK_E10value_typeET2_T3_PNSL_ISQ_E10value_typeET4_jRbjT5_SW_jjP12ihipStream_tbEUlT_E2_NS1_11comp_targetILNS1_3genE5ELNS1_11target_archE942ELNS1_3gpuE9ELNS1_3repE0EEENS1_30default_config_static_selectorELNS0_4arch9wavefront6targetE0EEEvSK_.uses_flat_scratch, 0
	.set _ZN7rocprim17ROCPRIM_400000_NS6detail17trampoline_kernelINS0_14default_configENS1_36segmented_radix_sort_config_selectorIhlEEZNS1_25segmented_radix_sort_implIS3_Lb0EPKhPhPKlPlN2at6native12_GLOBAL__N_18offset_tEEE10hipError_tPvRmT1_PNSt15iterator_traitsISK_E10value_typeET2_T3_PNSL_ISQ_E10value_typeET4_jRbjT5_SW_jjP12ihipStream_tbEUlT_E2_NS1_11comp_targetILNS1_3genE5ELNS1_11target_archE942ELNS1_3gpuE9ELNS1_3repE0EEENS1_30default_config_static_selectorELNS0_4arch9wavefront6targetE0EEEvSK_.has_dyn_sized_stack, 0
	.set _ZN7rocprim17ROCPRIM_400000_NS6detail17trampoline_kernelINS0_14default_configENS1_36segmented_radix_sort_config_selectorIhlEEZNS1_25segmented_radix_sort_implIS3_Lb0EPKhPhPKlPlN2at6native12_GLOBAL__N_18offset_tEEE10hipError_tPvRmT1_PNSt15iterator_traitsISK_E10value_typeET2_T3_PNSL_ISQ_E10value_typeET4_jRbjT5_SW_jjP12ihipStream_tbEUlT_E2_NS1_11comp_targetILNS1_3genE5ELNS1_11target_archE942ELNS1_3gpuE9ELNS1_3repE0EEENS1_30default_config_static_selectorELNS0_4arch9wavefront6targetE0EEEvSK_.has_recursion, 0
	.set _ZN7rocprim17ROCPRIM_400000_NS6detail17trampoline_kernelINS0_14default_configENS1_36segmented_radix_sort_config_selectorIhlEEZNS1_25segmented_radix_sort_implIS3_Lb0EPKhPhPKlPlN2at6native12_GLOBAL__N_18offset_tEEE10hipError_tPvRmT1_PNSt15iterator_traitsISK_E10value_typeET2_T3_PNSL_ISQ_E10value_typeET4_jRbjT5_SW_jjP12ihipStream_tbEUlT_E2_NS1_11comp_targetILNS1_3genE5ELNS1_11target_archE942ELNS1_3gpuE9ELNS1_3repE0EEENS1_30default_config_static_selectorELNS0_4arch9wavefront6targetE0EEEvSK_.has_indirect_call, 0
	.section	.AMDGPU.csdata,"",@progbits
; Kernel info:
; codeLenInByte = 0
; TotalNumSgprs: 0
; NumVgprs: 0
; ScratchSize: 0
; MemoryBound: 0
; FloatMode: 240
; IeeeMode: 1
; LDSByteSize: 0 bytes/workgroup (compile time only)
; SGPRBlocks: 0
; VGPRBlocks: 0
; NumSGPRsForWavesPerEU: 1
; NumVGPRsForWavesPerEU: 1
; Occupancy: 16
; WaveLimiterHint : 0
; COMPUTE_PGM_RSRC2:SCRATCH_EN: 0
; COMPUTE_PGM_RSRC2:USER_SGPR: 2
; COMPUTE_PGM_RSRC2:TRAP_HANDLER: 0
; COMPUTE_PGM_RSRC2:TGID_X_EN: 1
; COMPUTE_PGM_RSRC2:TGID_Y_EN: 0
; COMPUTE_PGM_RSRC2:TGID_Z_EN: 0
; COMPUTE_PGM_RSRC2:TIDIG_COMP_CNT: 0
	.section	.text._ZN7rocprim17ROCPRIM_400000_NS6detail17trampoline_kernelINS0_14default_configENS1_36segmented_radix_sort_config_selectorIhlEEZNS1_25segmented_radix_sort_implIS3_Lb0EPKhPhPKlPlN2at6native12_GLOBAL__N_18offset_tEEE10hipError_tPvRmT1_PNSt15iterator_traitsISK_E10value_typeET2_T3_PNSL_ISQ_E10value_typeET4_jRbjT5_SW_jjP12ihipStream_tbEUlT_E2_NS1_11comp_targetILNS1_3genE4ELNS1_11target_archE910ELNS1_3gpuE8ELNS1_3repE0EEENS1_30default_config_static_selectorELNS0_4arch9wavefront6targetE0EEEvSK_,"axG",@progbits,_ZN7rocprim17ROCPRIM_400000_NS6detail17trampoline_kernelINS0_14default_configENS1_36segmented_radix_sort_config_selectorIhlEEZNS1_25segmented_radix_sort_implIS3_Lb0EPKhPhPKlPlN2at6native12_GLOBAL__N_18offset_tEEE10hipError_tPvRmT1_PNSt15iterator_traitsISK_E10value_typeET2_T3_PNSL_ISQ_E10value_typeET4_jRbjT5_SW_jjP12ihipStream_tbEUlT_E2_NS1_11comp_targetILNS1_3genE4ELNS1_11target_archE910ELNS1_3gpuE8ELNS1_3repE0EEENS1_30default_config_static_selectorELNS0_4arch9wavefront6targetE0EEEvSK_,comdat
	.globl	_ZN7rocprim17ROCPRIM_400000_NS6detail17trampoline_kernelINS0_14default_configENS1_36segmented_radix_sort_config_selectorIhlEEZNS1_25segmented_radix_sort_implIS3_Lb0EPKhPhPKlPlN2at6native12_GLOBAL__N_18offset_tEEE10hipError_tPvRmT1_PNSt15iterator_traitsISK_E10value_typeET2_T3_PNSL_ISQ_E10value_typeET4_jRbjT5_SW_jjP12ihipStream_tbEUlT_E2_NS1_11comp_targetILNS1_3genE4ELNS1_11target_archE910ELNS1_3gpuE8ELNS1_3repE0EEENS1_30default_config_static_selectorELNS0_4arch9wavefront6targetE0EEEvSK_ ; -- Begin function _ZN7rocprim17ROCPRIM_400000_NS6detail17trampoline_kernelINS0_14default_configENS1_36segmented_radix_sort_config_selectorIhlEEZNS1_25segmented_radix_sort_implIS3_Lb0EPKhPhPKlPlN2at6native12_GLOBAL__N_18offset_tEEE10hipError_tPvRmT1_PNSt15iterator_traitsISK_E10value_typeET2_T3_PNSL_ISQ_E10value_typeET4_jRbjT5_SW_jjP12ihipStream_tbEUlT_E2_NS1_11comp_targetILNS1_3genE4ELNS1_11target_archE910ELNS1_3gpuE8ELNS1_3repE0EEENS1_30default_config_static_selectorELNS0_4arch9wavefront6targetE0EEEvSK_
	.p2align	8
	.type	_ZN7rocprim17ROCPRIM_400000_NS6detail17trampoline_kernelINS0_14default_configENS1_36segmented_radix_sort_config_selectorIhlEEZNS1_25segmented_radix_sort_implIS3_Lb0EPKhPhPKlPlN2at6native12_GLOBAL__N_18offset_tEEE10hipError_tPvRmT1_PNSt15iterator_traitsISK_E10value_typeET2_T3_PNSL_ISQ_E10value_typeET4_jRbjT5_SW_jjP12ihipStream_tbEUlT_E2_NS1_11comp_targetILNS1_3genE4ELNS1_11target_archE910ELNS1_3gpuE8ELNS1_3repE0EEENS1_30default_config_static_selectorELNS0_4arch9wavefront6targetE0EEEvSK_,@function
_ZN7rocprim17ROCPRIM_400000_NS6detail17trampoline_kernelINS0_14default_configENS1_36segmented_radix_sort_config_selectorIhlEEZNS1_25segmented_radix_sort_implIS3_Lb0EPKhPhPKlPlN2at6native12_GLOBAL__N_18offset_tEEE10hipError_tPvRmT1_PNSt15iterator_traitsISK_E10value_typeET2_T3_PNSL_ISQ_E10value_typeET4_jRbjT5_SW_jjP12ihipStream_tbEUlT_E2_NS1_11comp_targetILNS1_3genE4ELNS1_11target_archE910ELNS1_3gpuE8ELNS1_3repE0EEENS1_30default_config_static_selectorELNS0_4arch9wavefront6targetE0EEEvSK_: ; @_ZN7rocprim17ROCPRIM_400000_NS6detail17trampoline_kernelINS0_14default_configENS1_36segmented_radix_sort_config_selectorIhlEEZNS1_25segmented_radix_sort_implIS3_Lb0EPKhPhPKlPlN2at6native12_GLOBAL__N_18offset_tEEE10hipError_tPvRmT1_PNSt15iterator_traitsISK_E10value_typeET2_T3_PNSL_ISQ_E10value_typeET4_jRbjT5_SW_jjP12ihipStream_tbEUlT_E2_NS1_11comp_targetILNS1_3genE4ELNS1_11target_archE910ELNS1_3gpuE8ELNS1_3repE0EEENS1_30default_config_static_selectorELNS0_4arch9wavefront6targetE0EEEvSK_
; %bb.0:
	.section	.rodata,"a",@progbits
	.p2align	6, 0x0
	.amdhsa_kernel _ZN7rocprim17ROCPRIM_400000_NS6detail17trampoline_kernelINS0_14default_configENS1_36segmented_radix_sort_config_selectorIhlEEZNS1_25segmented_radix_sort_implIS3_Lb0EPKhPhPKlPlN2at6native12_GLOBAL__N_18offset_tEEE10hipError_tPvRmT1_PNSt15iterator_traitsISK_E10value_typeET2_T3_PNSL_ISQ_E10value_typeET4_jRbjT5_SW_jjP12ihipStream_tbEUlT_E2_NS1_11comp_targetILNS1_3genE4ELNS1_11target_archE910ELNS1_3gpuE8ELNS1_3repE0EEENS1_30default_config_static_selectorELNS0_4arch9wavefront6targetE0EEEvSK_
		.amdhsa_group_segment_fixed_size 0
		.amdhsa_private_segment_fixed_size 0
		.amdhsa_kernarg_size 80
		.amdhsa_user_sgpr_count 2
		.amdhsa_user_sgpr_dispatch_ptr 0
		.amdhsa_user_sgpr_queue_ptr 0
		.amdhsa_user_sgpr_kernarg_segment_ptr 1
		.amdhsa_user_sgpr_dispatch_id 0
		.amdhsa_user_sgpr_private_segment_size 0
		.amdhsa_wavefront_size32 1
		.amdhsa_uses_dynamic_stack 0
		.amdhsa_enable_private_segment 0
		.amdhsa_system_sgpr_workgroup_id_x 1
		.amdhsa_system_sgpr_workgroup_id_y 0
		.amdhsa_system_sgpr_workgroup_id_z 0
		.amdhsa_system_sgpr_workgroup_info 0
		.amdhsa_system_vgpr_workitem_id 0
		.amdhsa_next_free_vgpr 1
		.amdhsa_next_free_sgpr 1
		.amdhsa_reserve_vcc 0
		.amdhsa_float_round_mode_32 0
		.amdhsa_float_round_mode_16_64 0
		.amdhsa_float_denorm_mode_32 3
		.amdhsa_float_denorm_mode_16_64 3
		.amdhsa_fp16_overflow 0
		.amdhsa_workgroup_processor_mode 1
		.amdhsa_memory_ordered 1
		.amdhsa_forward_progress 1
		.amdhsa_inst_pref_size 0
		.amdhsa_round_robin_scheduling 0
		.amdhsa_exception_fp_ieee_invalid_op 0
		.amdhsa_exception_fp_denorm_src 0
		.amdhsa_exception_fp_ieee_div_zero 0
		.amdhsa_exception_fp_ieee_overflow 0
		.amdhsa_exception_fp_ieee_underflow 0
		.amdhsa_exception_fp_ieee_inexact 0
		.amdhsa_exception_int_div_zero 0
	.end_amdhsa_kernel
	.section	.text._ZN7rocprim17ROCPRIM_400000_NS6detail17trampoline_kernelINS0_14default_configENS1_36segmented_radix_sort_config_selectorIhlEEZNS1_25segmented_radix_sort_implIS3_Lb0EPKhPhPKlPlN2at6native12_GLOBAL__N_18offset_tEEE10hipError_tPvRmT1_PNSt15iterator_traitsISK_E10value_typeET2_T3_PNSL_ISQ_E10value_typeET4_jRbjT5_SW_jjP12ihipStream_tbEUlT_E2_NS1_11comp_targetILNS1_3genE4ELNS1_11target_archE910ELNS1_3gpuE8ELNS1_3repE0EEENS1_30default_config_static_selectorELNS0_4arch9wavefront6targetE0EEEvSK_,"axG",@progbits,_ZN7rocprim17ROCPRIM_400000_NS6detail17trampoline_kernelINS0_14default_configENS1_36segmented_radix_sort_config_selectorIhlEEZNS1_25segmented_radix_sort_implIS3_Lb0EPKhPhPKlPlN2at6native12_GLOBAL__N_18offset_tEEE10hipError_tPvRmT1_PNSt15iterator_traitsISK_E10value_typeET2_T3_PNSL_ISQ_E10value_typeET4_jRbjT5_SW_jjP12ihipStream_tbEUlT_E2_NS1_11comp_targetILNS1_3genE4ELNS1_11target_archE910ELNS1_3gpuE8ELNS1_3repE0EEENS1_30default_config_static_selectorELNS0_4arch9wavefront6targetE0EEEvSK_,comdat
.Lfunc_end218:
	.size	_ZN7rocprim17ROCPRIM_400000_NS6detail17trampoline_kernelINS0_14default_configENS1_36segmented_radix_sort_config_selectorIhlEEZNS1_25segmented_radix_sort_implIS3_Lb0EPKhPhPKlPlN2at6native12_GLOBAL__N_18offset_tEEE10hipError_tPvRmT1_PNSt15iterator_traitsISK_E10value_typeET2_T3_PNSL_ISQ_E10value_typeET4_jRbjT5_SW_jjP12ihipStream_tbEUlT_E2_NS1_11comp_targetILNS1_3genE4ELNS1_11target_archE910ELNS1_3gpuE8ELNS1_3repE0EEENS1_30default_config_static_selectorELNS0_4arch9wavefront6targetE0EEEvSK_, .Lfunc_end218-_ZN7rocprim17ROCPRIM_400000_NS6detail17trampoline_kernelINS0_14default_configENS1_36segmented_radix_sort_config_selectorIhlEEZNS1_25segmented_radix_sort_implIS3_Lb0EPKhPhPKlPlN2at6native12_GLOBAL__N_18offset_tEEE10hipError_tPvRmT1_PNSt15iterator_traitsISK_E10value_typeET2_T3_PNSL_ISQ_E10value_typeET4_jRbjT5_SW_jjP12ihipStream_tbEUlT_E2_NS1_11comp_targetILNS1_3genE4ELNS1_11target_archE910ELNS1_3gpuE8ELNS1_3repE0EEENS1_30default_config_static_selectorELNS0_4arch9wavefront6targetE0EEEvSK_
                                        ; -- End function
	.set _ZN7rocprim17ROCPRIM_400000_NS6detail17trampoline_kernelINS0_14default_configENS1_36segmented_radix_sort_config_selectorIhlEEZNS1_25segmented_radix_sort_implIS3_Lb0EPKhPhPKlPlN2at6native12_GLOBAL__N_18offset_tEEE10hipError_tPvRmT1_PNSt15iterator_traitsISK_E10value_typeET2_T3_PNSL_ISQ_E10value_typeET4_jRbjT5_SW_jjP12ihipStream_tbEUlT_E2_NS1_11comp_targetILNS1_3genE4ELNS1_11target_archE910ELNS1_3gpuE8ELNS1_3repE0EEENS1_30default_config_static_selectorELNS0_4arch9wavefront6targetE0EEEvSK_.num_vgpr, 0
	.set _ZN7rocprim17ROCPRIM_400000_NS6detail17trampoline_kernelINS0_14default_configENS1_36segmented_radix_sort_config_selectorIhlEEZNS1_25segmented_radix_sort_implIS3_Lb0EPKhPhPKlPlN2at6native12_GLOBAL__N_18offset_tEEE10hipError_tPvRmT1_PNSt15iterator_traitsISK_E10value_typeET2_T3_PNSL_ISQ_E10value_typeET4_jRbjT5_SW_jjP12ihipStream_tbEUlT_E2_NS1_11comp_targetILNS1_3genE4ELNS1_11target_archE910ELNS1_3gpuE8ELNS1_3repE0EEENS1_30default_config_static_selectorELNS0_4arch9wavefront6targetE0EEEvSK_.num_agpr, 0
	.set _ZN7rocprim17ROCPRIM_400000_NS6detail17trampoline_kernelINS0_14default_configENS1_36segmented_radix_sort_config_selectorIhlEEZNS1_25segmented_radix_sort_implIS3_Lb0EPKhPhPKlPlN2at6native12_GLOBAL__N_18offset_tEEE10hipError_tPvRmT1_PNSt15iterator_traitsISK_E10value_typeET2_T3_PNSL_ISQ_E10value_typeET4_jRbjT5_SW_jjP12ihipStream_tbEUlT_E2_NS1_11comp_targetILNS1_3genE4ELNS1_11target_archE910ELNS1_3gpuE8ELNS1_3repE0EEENS1_30default_config_static_selectorELNS0_4arch9wavefront6targetE0EEEvSK_.numbered_sgpr, 0
	.set _ZN7rocprim17ROCPRIM_400000_NS6detail17trampoline_kernelINS0_14default_configENS1_36segmented_radix_sort_config_selectorIhlEEZNS1_25segmented_radix_sort_implIS3_Lb0EPKhPhPKlPlN2at6native12_GLOBAL__N_18offset_tEEE10hipError_tPvRmT1_PNSt15iterator_traitsISK_E10value_typeET2_T3_PNSL_ISQ_E10value_typeET4_jRbjT5_SW_jjP12ihipStream_tbEUlT_E2_NS1_11comp_targetILNS1_3genE4ELNS1_11target_archE910ELNS1_3gpuE8ELNS1_3repE0EEENS1_30default_config_static_selectorELNS0_4arch9wavefront6targetE0EEEvSK_.num_named_barrier, 0
	.set _ZN7rocprim17ROCPRIM_400000_NS6detail17trampoline_kernelINS0_14default_configENS1_36segmented_radix_sort_config_selectorIhlEEZNS1_25segmented_radix_sort_implIS3_Lb0EPKhPhPKlPlN2at6native12_GLOBAL__N_18offset_tEEE10hipError_tPvRmT1_PNSt15iterator_traitsISK_E10value_typeET2_T3_PNSL_ISQ_E10value_typeET4_jRbjT5_SW_jjP12ihipStream_tbEUlT_E2_NS1_11comp_targetILNS1_3genE4ELNS1_11target_archE910ELNS1_3gpuE8ELNS1_3repE0EEENS1_30default_config_static_selectorELNS0_4arch9wavefront6targetE0EEEvSK_.private_seg_size, 0
	.set _ZN7rocprim17ROCPRIM_400000_NS6detail17trampoline_kernelINS0_14default_configENS1_36segmented_radix_sort_config_selectorIhlEEZNS1_25segmented_radix_sort_implIS3_Lb0EPKhPhPKlPlN2at6native12_GLOBAL__N_18offset_tEEE10hipError_tPvRmT1_PNSt15iterator_traitsISK_E10value_typeET2_T3_PNSL_ISQ_E10value_typeET4_jRbjT5_SW_jjP12ihipStream_tbEUlT_E2_NS1_11comp_targetILNS1_3genE4ELNS1_11target_archE910ELNS1_3gpuE8ELNS1_3repE0EEENS1_30default_config_static_selectorELNS0_4arch9wavefront6targetE0EEEvSK_.uses_vcc, 0
	.set _ZN7rocprim17ROCPRIM_400000_NS6detail17trampoline_kernelINS0_14default_configENS1_36segmented_radix_sort_config_selectorIhlEEZNS1_25segmented_radix_sort_implIS3_Lb0EPKhPhPKlPlN2at6native12_GLOBAL__N_18offset_tEEE10hipError_tPvRmT1_PNSt15iterator_traitsISK_E10value_typeET2_T3_PNSL_ISQ_E10value_typeET4_jRbjT5_SW_jjP12ihipStream_tbEUlT_E2_NS1_11comp_targetILNS1_3genE4ELNS1_11target_archE910ELNS1_3gpuE8ELNS1_3repE0EEENS1_30default_config_static_selectorELNS0_4arch9wavefront6targetE0EEEvSK_.uses_flat_scratch, 0
	.set _ZN7rocprim17ROCPRIM_400000_NS6detail17trampoline_kernelINS0_14default_configENS1_36segmented_radix_sort_config_selectorIhlEEZNS1_25segmented_radix_sort_implIS3_Lb0EPKhPhPKlPlN2at6native12_GLOBAL__N_18offset_tEEE10hipError_tPvRmT1_PNSt15iterator_traitsISK_E10value_typeET2_T3_PNSL_ISQ_E10value_typeET4_jRbjT5_SW_jjP12ihipStream_tbEUlT_E2_NS1_11comp_targetILNS1_3genE4ELNS1_11target_archE910ELNS1_3gpuE8ELNS1_3repE0EEENS1_30default_config_static_selectorELNS0_4arch9wavefront6targetE0EEEvSK_.has_dyn_sized_stack, 0
	.set _ZN7rocprim17ROCPRIM_400000_NS6detail17trampoline_kernelINS0_14default_configENS1_36segmented_radix_sort_config_selectorIhlEEZNS1_25segmented_radix_sort_implIS3_Lb0EPKhPhPKlPlN2at6native12_GLOBAL__N_18offset_tEEE10hipError_tPvRmT1_PNSt15iterator_traitsISK_E10value_typeET2_T3_PNSL_ISQ_E10value_typeET4_jRbjT5_SW_jjP12ihipStream_tbEUlT_E2_NS1_11comp_targetILNS1_3genE4ELNS1_11target_archE910ELNS1_3gpuE8ELNS1_3repE0EEENS1_30default_config_static_selectorELNS0_4arch9wavefront6targetE0EEEvSK_.has_recursion, 0
	.set _ZN7rocprim17ROCPRIM_400000_NS6detail17trampoline_kernelINS0_14default_configENS1_36segmented_radix_sort_config_selectorIhlEEZNS1_25segmented_radix_sort_implIS3_Lb0EPKhPhPKlPlN2at6native12_GLOBAL__N_18offset_tEEE10hipError_tPvRmT1_PNSt15iterator_traitsISK_E10value_typeET2_T3_PNSL_ISQ_E10value_typeET4_jRbjT5_SW_jjP12ihipStream_tbEUlT_E2_NS1_11comp_targetILNS1_3genE4ELNS1_11target_archE910ELNS1_3gpuE8ELNS1_3repE0EEENS1_30default_config_static_selectorELNS0_4arch9wavefront6targetE0EEEvSK_.has_indirect_call, 0
	.section	.AMDGPU.csdata,"",@progbits
; Kernel info:
; codeLenInByte = 0
; TotalNumSgprs: 0
; NumVgprs: 0
; ScratchSize: 0
; MemoryBound: 0
; FloatMode: 240
; IeeeMode: 1
; LDSByteSize: 0 bytes/workgroup (compile time only)
; SGPRBlocks: 0
; VGPRBlocks: 0
; NumSGPRsForWavesPerEU: 1
; NumVGPRsForWavesPerEU: 1
; Occupancy: 16
; WaveLimiterHint : 0
; COMPUTE_PGM_RSRC2:SCRATCH_EN: 0
; COMPUTE_PGM_RSRC2:USER_SGPR: 2
; COMPUTE_PGM_RSRC2:TRAP_HANDLER: 0
; COMPUTE_PGM_RSRC2:TGID_X_EN: 1
; COMPUTE_PGM_RSRC2:TGID_Y_EN: 0
; COMPUTE_PGM_RSRC2:TGID_Z_EN: 0
; COMPUTE_PGM_RSRC2:TIDIG_COMP_CNT: 0
	.section	.text._ZN7rocprim17ROCPRIM_400000_NS6detail17trampoline_kernelINS0_14default_configENS1_36segmented_radix_sort_config_selectorIhlEEZNS1_25segmented_radix_sort_implIS3_Lb0EPKhPhPKlPlN2at6native12_GLOBAL__N_18offset_tEEE10hipError_tPvRmT1_PNSt15iterator_traitsISK_E10value_typeET2_T3_PNSL_ISQ_E10value_typeET4_jRbjT5_SW_jjP12ihipStream_tbEUlT_E2_NS1_11comp_targetILNS1_3genE3ELNS1_11target_archE908ELNS1_3gpuE7ELNS1_3repE0EEENS1_30default_config_static_selectorELNS0_4arch9wavefront6targetE0EEEvSK_,"axG",@progbits,_ZN7rocprim17ROCPRIM_400000_NS6detail17trampoline_kernelINS0_14default_configENS1_36segmented_radix_sort_config_selectorIhlEEZNS1_25segmented_radix_sort_implIS3_Lb0EPKhPhPKlPlN2at6native12_GLOBAL__N_18offset_tEEE10hipError_tPvRmT1_PNSt15iterator_traitsISK_E10value_typeET2_T3_PNSL_ISQ_E10value_typeET4_jRbjT5_SW_jjP12ihipStream_tbEUlT_E2_NS1_11comp_targetILNS1_3genE3ELNS1_11target_archE908ELNS1_3gpuE7ELNS1_3repE0EEENS1_30default_config_static_selectorELNS0_4arch9wavefront6targetE0EEEvSK_,comdat
	.globl	_ZN7rocprim17ROCPRIM_400000_NS6detail17trampoline_kernelINS0_14default_configENS1_36segmented_radix_sort_config_selectorIhlEEZNS1_25segmented_radix_sort_implIS3_Lb0EPKhPhPKlPlN2at6native12_GLOBAL__N_18offset_tEEE10hipError_tPvRmT1_PNSt15iterator_traitsISK_E10value_typeET2_T3_PNSL_ISQ_E10value_typeET4_jRbjT5_SW_jjP12ihipStream_tbEUlT_E2_NS1_11comp_targetILNS1_3genE3ELNS1_11target_archE908ELNS1_3gpuE7ELNS1_3repE0EEENS1_30default_config_static_selectorELNS0_4arch9wavefront6targetE0EEEvSK_ ; -- Begin function _ZN7rocprim17ROCPRIM_400000_NS6detail17trampoline_kernelINS0_14default_configENS1_36segmented_radix_sort_config_selectorIhlEEZNS1_25segmented_radix_sort_implIS3_Lb0EPKhPhPKlPlN2at6native12_GLOBAL__N_18offset_tEEE10hipError_tPvRmT1_PNSt15iterator_traitsISK_E10value_typeET2_T3_PNSL_ISQ_E10value_typeET4_jRbjT5_SW_jjP12ihipStream_tbEUlT_E2_NS1_11comp_targetILNS1_3genE3ELNS1_11target_archE908ELNS1_3gpuE7ELNS1_3repE0EEENS1_30default_config_static_selectorELNS0_4arch9wavefront6targetE0EEEvSK_
	.p2align	8
	.type	_ZN7rocprim17ROCPRIM_400000_NS6detail17trampoline_kernelINS0_14default_configENS1_36segmented_radix_sort_config_selectorIhlEEZNS1_25segmented_radix_sort_implIS3_Lb0EPKhPhPKlPlN2at6native12_GLOBAL__N_18offset_tEEE10hipError_tPvRmT1_PNSt15iterator_traitsISK_E10value_typeET2_T3_PNSL_ISQ_E10value_typeET4_jRbjT5_SW_jjP12ihipStream_tbEUlT_E2_NS1_11comp_targetILNS1_3genE3ELNS1_11target_archE908ELNS1_3gpuE7ELNS1_3repE0EEENS1_30default_config_static_selectorELNS0_4arch9wavefront6targetE0EEEvSK_,@function
_ZN7rocprim17ROCPRIM_400000_NS6detail17trampoline_kernelINS0_14default_configENS1_36segmented_radix_sort_config_selectorIhlEEZNS1_25segmented_radix_sort_implIS3_Lb0EPKhPhPKlPlN2at6native12_GLOBAL__N_18offset_tEEE10hipError_tPvRmT1_PNSt15iterator_traitsISK_E10value_typeET2_T3_PNSL_ISQ_E10value_typeET4_jRbjT5_SW_jjP12ihipStream_tbEUlT_E2_NS1_11comp_targetILNS1_3genE3ELNS1_11target_archE908ELNS1_3gpuE7ELNS1_3repE0EEENS1_30default_config_static_selectorELNS0_4arch9wavefront6targetE0EEEvSK_: ; @_ZN7rocprim17ROCPRIM_400000_NS6detail17trampoline_kernelINS0_14default_configENS1_36segmented_radix_sort_config_selectorIhlEEZNS1_25segmented_radix_sort_implIS3_Lb0EPKhPhPKlPlN2at6native12_GLOBAL__N_18offset_tEEE10hipError_tPvRmT1_PNSt15iterator_traitsISK_E10value_typeET2_T3_PNSL_ISQ_E10value_typeET4_jRbjT5_SW_jjP12ihipStream_tbEUlT_E2_NS1_11comp_targetILNS1_3genE3ELNS1_11target_archE908ELNS1_3gpuE7ELNS1_3repE0EEENS1_30default_config_static_selectorELNS0_4arch9wavefront6targetE0EEEvSK_
; %bb.0:
	.section	.rodata,"a",@progbits
	.p2align	6, 0x0
	.amdhsa_kernel _ZN7rocprim17ROCPRIM_400000_NS6detail17trampoline_kernelINS0_14default_configENS1_36segmented_radix_sort_config_selectorIhlEEZNS1_25segmented_radix_sort_implIS3_Lb0EPKhPhPKlPlN2at6native12_GLOBAL__N_18offset_tEEE10hipError_tPvRmT1_PNSt15iterator_traitsISK_E10value_typeET2_T3_PNSL_ISQ_E10value_typeET4_jRbjT5_SW_jjP12ihipStream_tbEUlT_E2_NS1_11comp_targetILNS1_3genE3ELNS1_11target_archE908ELNS1_3gpuE7ELNS1_3repE0EEENS1_30default_config_static_selectorELNS0_4arch9wavefront6targetE0EEEvSK_
		.amdhsa_group_segment_fixed_size 0
		.amdhsa_private_segment_fixed_size 0
		.amdhsa_kernarg_size 80
		.amdhsa_user_sgpr_count 2
		.amdhsa_user_sgpr_dispatch_ptr 0
		.amdhsa_user_sgpr_queue_ptr 0
		.amdhsa_user_sgpr_kernarg_segment_ptr 1
		.amdhsa_user_sgpr_dispatch_id 0
		.amdhsa_user_sgpr_private_segment_size 0
		.amdhsa_wavefront_size32 1
		.amdhsa_uses_dynamic_stack 0
		.amdhsa_enable_private_segment 0
		.amdhsa_system_sgpr_workgroup_id_x 1
		.amdhsa_system_sgpr_workgroup_id_y 0
		.amdhsa_system_sgpr_workgroup_id_z 0
		.amdhsa_system_sgpr_workgroup_info 0
		.amdhsa_system_vgpr_workitem_id 0
		.amdhsa_next_free_vgpr 1
		.amdhsa_next_free_sgpr 1
		.amdhsa_reserve_vcc 0
		.amdhsa_float_round_mode_32 0
		.amdhsa_float_round_mode_16_64 0
		.amdhsa_float_denorm_mode_32 3
		.amdhsa_float_denorm_mode_16_64 3
		.amdhsa_fp16_overflow 0
		.amdhsa_workgroup_processor_mode 1
		.amdhsa_memory_ordered 1
		.amdhsa_forward_progress 1
		.amdhsa_inst_pref_size 0
		.amdhsa_round_robin_scheduling 0
		.amdhsa_exception_fp_ieee_invalid_op 0
		.amdhsa_exception_fp_denorm_src 0
		.amdhsa_exception_fp_ieee_div_zero 0
		.amdhsa_exception_fp_ieee_overflow 0
		.amdhsa_exception_fp_ieee_underflow 0
		.amdhsa_exception_fp_ieee_inexact 0
		.amdhsa_exception_int_div_zero 0
	.end_amdhsa_kernel
	.section	.text._ZN7rocprim17ROCPRIM_400000_NS6detail17trampoline_kernelINS0_14default_configENS1_36segmented_radix_sort_config_selectorIhlEEZNS1_25segmented_radix_sort_implIS3_Lb0EPKhPhPKlPlN2at6native12_GLOBAL__N_18offset_tEEE10hipError_tPvRmT1_PNSt15iterator_traitsISK_E10value_typeET2_T3_PNSL_ISQ_E10value_typeET4_jRbjT5_SW_jjP12ihipStream_tbEUlT_E2_NS1_11comp_targetILNS1_3genE3ELNS1_11target_archE908ELNS1_3gpuE7ELNS1_3repE0EEENS1_30default_config_static_selectorELNS0_4arch9wavefront6targetE0EEEvSK_,"axG",@progbits,_ZN7rocprim17ROCPRIM_400000_NS6detail17trampoline_kernelINS0_14default_configENS1_36segmented_radix_sort_config_selectorIhlEEZNS1_25segmented_radix_sort_implIS3_Lb0EPKhPhPKlPlN2at6native12_GLOBAL__N_18offset_tEEE10hipError_tPvRmT1_PNSt15iterator_traitsISK_E10value_typeET2_T3_PNSL_ISQ_E10value_typeET4_jRbjT5_SW_jjP12ihipStream_tbEUlT_E2_NS1_11comp_targetILNS1_3genE3ELNS1_11target_archE908ELNS1_3gpuE7ELNS1_3repE0EEENS1_30default_config_static_selectorELNS0_4arch9wavefront6targetE0EEEvSK_,comdat
.Lfunc_end219:
	.size	_ZN7rocprim17ROCPRIM_400000_NS6detail17trampoline_kernelINS0_14default_configENS1_36segmented_radix_sort_config_selectorIhlEEZNS1_25segmented_radix_sort_implIS3_Lb0EPKhPhPKlPlN2at6native12_GLOBAL__N_18offset_tEEE10hipError_tPvRmT1_PNSt15iterator_traitsISK_E10value_typeET2_T3_PNSL_ISQ_E10value_typeET4_jRbjT5_SW_jjP12ihipStream_tbEUlT_E2_NS1_11comp_targetILNS1_3genE3ELNS1_11target_archE908ELNS1_3gpuE7ELNS1_3repE0EEENS1_30default_config_static_selectorELNS0_4arch9wavefront6targetE0EEEvSK_, .Lfunc_end219-_ZN7rocprim17ROCPRIM_400000_NS6detail17trampoline_kernelINS0_14default_configENS1_36segmented_radix_sort_config_selectorIhlEEZNS1_25segmented_radix_sort_implIS3_Lb0EPKhPhPKlPlN2at6native12_GLOBAL__N_18offset_tEEE10hipError_tPvRmT1_PNSt15iterator_traitsISK_E10value_typeET2_T3_PNSL_ISQ_E10value_typeET4_jRbjT5_SW_jjP12ihipStream_tbEUlT_E2_NS1_11comp_targetILNS1_3genE3ELNS1_11target_archE908ELNS1_3gpuE7ELNS1_3repE0EEENS1_30default_config_static_selectorELNS0_4arch9wavefront6targetE0EEEvSK_
                                        ; -- End function
	.set _ZN7rocprim17ROCPRIM_400000_NS6detail17trampoline_kernelINS0_14default_configENS1_36segmented_radix_sort_config_selectorIhlEEZNS1_25segmented_radix_sort_implIS3_Lb0EPKhPhPKlPlN2at6native12_GLOBAL__N_18offset_tEEE10hipError_tPvRmT1_PNSt15iterator_traitsISK_E10value_typeET2_T3_PNSL_ISQ_E10value_typeET4_jRbjT5_SW_jjP12ihipStream_tbEUlT_E2_NS1_11comp_targetILNS1_3genE3ELNS1_11target_archE908ELNS1_3gpuE7ELNS1_3repE0EEENS1_30default_config_static_selectorELNS0_4arch9wavefront6targetE0EEEvSK_.num_vgpr, 0
	.set _ZN7rocprim17ROCPRIM_400000_NS6detail17trampoline_kernelINS0_14default_configENS1_36segmented_radix_sort_config_selectorIhlEEZNS1_25segmented_radix_sort_implIS3_Lb0EPKhPhPKlPlN2at6native12_GLOBAL__N_18offset_tEEE10hipError_tPvRmT1_PNSt15iterator_traitsISK_E10value_typeET2_T3_PNSL_ISQ_E10value_typeET4_jRbjT5_SW_jjP12ihipStream_tbEUlT_E2_NS1_11comp_targetILNS1_3genE3ELNS1_11target_archE908ELNS1_3gpuE7ELNS1_3repE0EEENS1_30default_config_static_selectorELNS0_4arch9wavefront6targetE0EEEvSK_.num_agpr, 0
	.set _ZN7rocprim17ROCPRIM_400000_NS6detail17trampoline_kernelINS0_14default_configENS1_36segmented_radix_sort_config_selectorIhlEEZNS1_25segmented_radix_sort_implIS3_Lb0EPKhPhPKlPlN2at6native12_GLOBAL__N_18offset_tEEE10hipError_tPvRmT1_PNSt15iterator_traitsISK_E10value_typeET2_T3_PNSL_ISQ_E10value_typeET4_jRbjT5_SW_jjP12ihipStream_tbEUlT_E2_NS1_11comp_targetILNS1_3genE3ELNS1_11target_archE908ELNS1_3gpuE7ELNS1_3repE0EEENS1_30default_config_static_selectorELNS0_4arch9wavefront6targetE0EEEvSK_.numbered_sgpr, 0
	.set _ZN7rocprim17ROCPRIM_400000_NS6detail17trampoline_kernelINS0_14default_configENS1_36segmented_radix_sort_config_selectorIhlEEZNS1_25segmented_radix_sort_implIS3_Lb0EPKhPhPKlPlN2at6native12_GLOBAL__N_18offset_tEEE10hipError_tPvRmT1_PNSt15iterator_traitsISK_E10value_typeET2_T3_PNSL_ISQ_E10value_typeET4_jRbjT5_SW_jjP12ihipStream_tbEUlT_E2_NS1_11comp_targetILNS1_3genE3ELNS1_11target_archE908ELNS1_3gpuE7ELNS1_3repE0EEENS1_30default_config_static_selectorELNS0_4arch9wavefront6targetE0EEEvSK_.num_named_barrier, 0
	.set _ZN7rocprim17ROCPRIM_400000_NS6detail17trampoline_kernelINS0_14default_configENS1_36segmented_radix_sort_config_selectorIhlEEZNS1_25segmented_radix_sort_implIS3_Lb0EPKhPhPKlPlN2at6native12_GLOBAL__N_18offset_tEEE10hipError_tPvRmT1_PNSt15iterator_traitsISK_E10value_typeET2_T3_PNSL_ISQ_E10value_typeET4_jRbjT5_SW_jjP12ihipStream_tbEUlT_E2_NS1_11comp_targetILNS1_3genE3ELNS1_11target_archE908ELNS1_3gpuE7ELNS1_3repE0EEENS1_30default_config_static_selectorELNS0_4arch9wavefront6targetE0EEEvSK_.private_seg_size, 0
	.set _ZN7rocprim17ROCPRIM_400000_NS6detail17trampoline_kernelINS0_14default_configENS1_36segmented_radix_sort_config_selectorIhlEEZNS1_25segmented_radix_sort_implIS3_Lb0EPKhPhPKlPlN2at6native12_GLOBAL__N_18offset_tEEE10hipError_tPvRmT1_PNSt15iterator_traitsISK_E10value_typeET2_T3_PNSL_ISQ_E10value_typeET4_jRbjT5_SW_jjP12ihipStream_tbEUlT_E2_NS1_11comp_targetILNS1_3genE3ELNS1_11target_archE908ELNS1_3gpuE7ELNS1_3repE0EEENS1_30default_config_static_selectorELNS0_4arch9wavefront6targetE0EEEvSK_.uses_vcc, 0
	.set _ZN7rocprim17ROCPRIM_400000_NS6detail17trampoline_kernelINS0_14default_configENS1_36segmented_radix_sort_config_selectorIhlEEZNS1_25segmented_radix_sort_implIS3_Lb0EPKhPhPKlPlN2at6native12_GLOBAL__N_18offset_tEEE10hipError_tPvRmT1_PNSt15iterator_traitsISK_E10value_typeET2_T3_PNSL_ISQ_E10value_typeET4_jRbjT5_SW_jjP12ihipStream_tbEUlT_E2_NS1_11comp_targetILNS1_3genE3ELNS1_11target_archE908ELNS1_3gpuE7ELNS1_3repE0EEENS1_30default_config_static_selectorELNS0_4arch9wavefront6targetE0EEEvSK_.uses_flat_scratch, 0
	.set _ZN7rocprim17ROCPRIM_400000_NS6detail17trampoline_kernelINS0_14default_configENS1_36segmented_radix_sort_config_selectorIhlEEZNS1_25segmented_radix_sort_implIS3_Lb0EPKhPhPKlPlN2at6native12_GLOBAL__N_18offset_tEEE10hipError_tPvRmT1_PNSt15iterator_traitsISK_E10value_typeET2_T3_PNSL_ISQ_E10value_typeET4_jRbjT5_SW_jjP12ihipStream_tbEUlT_E2_NS1_11comp_targetILNS1_3genE3ELNS1_11target_archE908ELNS1_3gpuE7ELNS1_3repE0EEENS1_30default_config_static_selectorELNS0_4arch9wavefront6targetE0EEEvSK_.has_dyn_sized_stack, 0
	.set _ZN7rocprim17ROCPRIM_400000_NS6detail17trampoline_kernelINS0_14default_configENS1_36segmented_radix_sort_config_selectorIhlEEZNS1_25segmented_radix_sort_implIS3_Lb0EPKhPhPKlPlN2at6native12_GLOBAL__N_18offset_tEEE10hipError_tPvRmT1_PNSt15iterator_traitsISK_E10value_typeET2_T3_PNSL_ISQ_E10value_typeET4_jRbjT5_SW_jjP12ihipStream_tbEUlT_E2_NS1_11comp_targetILNS1_3genE3ELNS1_11target_archE908ELNS1_3gpuE7ELNS1_3repE0EEENS1_30default_config_static_selectorELNS0_4arch9wavefront6targetE0EEEvSK_.has_recursion, 0
	.set _ZN7rocprim17ROCPRIM_400000_NS6detail17trampoline_kernelINS0_14default_configENS1_36segmented_radix_sort_config_selectorIhlEEZNS1_25segmented_radix_sort_implIS3_Lb0EPKhPhPKlPlN2at6native12_GLOBAL__N_18offset_tEEE10hipError_tPvRmT1_PNSt15iterator_traitsISK_E10value_typeET2_T3_PNSL_ISQ_E10value_typeET4_jRbjT5_SW_jjP12ihipStream_tbEUlT_E2_NS1_11comp_targetILNS1_3genE3ELNS1_11target_archE908ELNS1_3gpuE7ELNS1_3repE0EEENS1_30default_config_static_selectorELNS0_4arch9wavefront6targetE0EEEvSK_.has_indirect_call, 0
	.section	.AMDGPU.csdata,"",@progbits
; Kernel info:
; codeLenInByte = 0
; TotalNumSgprs: 0
; NumVgprs: 0
; ScratchSize: 0
; MemoryBound: 0
; FloatMode: 240
; IeeeMode: 1
; LDSByteSize: 0 bytes/workgroup (compile time only)
; SGPRBlocks: 0
; VGPRBlocks: 0
; NumSGPRsForWavesPerEU: 1
; NumVGPRsForWavesPerEU: 1
; Occupancy: 16
; WaveLimiterHint : 0
; COMPUTE_PGM_RSRC2:SCRATCH_EN: 0
; COMPUTE_PGM_RSRC2:USER_SGPR: 2
; COMPUTE_PGM_RSRC2:TRAP_HANDLER: 0
; COMPUTE_PGM_RSRC2:TGID_X_EN: 1
; COMPUTE_PGM_RSRC2:TGID_Y_EN: 0
; COMPUTE_PGM_RSRC2:TGID_Z_EN: 0
; COMPUTE_PGM_RSRC2:TIDIG_COMP_CNT: 0
	.section	.text._ZN7rocprim17ROCPRIM_400000_NS6detail17trampoline_kernelINS0_14default_configENS1_36segmented_radix_sort_config_selectorIhlEEZNS1_25segmented_radix_sort_implIS3_Lb0EPKhPhPKlPlN2at6native12_GLOBAL__N_18offset_tEEE10hipError_tPvRmT1_PNSt15iterator_traitsISK_E10value_typeET2_T3_PNSL_ISQ_E10value_typeET4_jRbjT5_SW_jjP12ihipStream_tbEUlT_E2_NS1_11comp_targetILNS1_3genE2ELNS1_11target_archE906ELNS1_3gpuE6ELNS1_3repE0EEENS1_30default_config_static_selectorELNS0_4arch9wavefront6targetE0EEEvSK_,"axG",@progbits,_ZN7rocprim17ROCPRIM_400000_NS6detail17trampoline_kernelINS0_14default_configENS1_36segmented_radix_sort_config_selectorIhlEEZNS1_25segmented_radix_sort_implIS3_Lb0EPKhPhPKlPlN2at6native12_GLOBAL__N_18offset_tEEE10hipError_tPvRmT1_PNSt15iterator_traitsISK_E10value_typeET2_T3_PNSL_ISQ_E10value_typeET4_jRbjT5_SW_jjP12ihipStream_tbEUlT_E2_NS1_11comp_targetILNS1_3genE2ELNS1_11target_archE906ELNS1_3gpuE6ELNS1_3repE0EEENS1_30default_config_static_selectorELNS0_4arch9wavefront6targetE0EEEvSK_,comdat
	.globl	_ZN7rocprim17ROCPRIM_400000_NS6detail17trampoline_kernelINS0_14default_configENS1_36segmented_radix_sort_config_selectorIhlEEZNS1_25segmented_radix_sort_implIS3_Lb0EPKhPhPKlPlN2at6native12_GLOBAL__N_18offset_tEEE10hipError_tPvRmT1_PNSt15iterator_traitsISK_E10value_typeET2_T3_PNSL_ISQ_E10value_typeET4_jRbjT5_SW_jjP12ihipStream_tbEUlT_E2_NS1_11comp_targetILNS1_3genE2ELNS1_11target_archE906ELNS1_3gpuE6ELNS1_3repE0EEENS1_30default_config_static_selectorELNS0_4arch9wavefront6targetE0EEEvSK_ ; -- Begin function _ZN7rocprim17ROCPRIM_400000_NS6detail17trampoline_kernelINS0_14default_configENS1_36segmented_radix_sort_config_selectorIhlEEZNS1_25segmented_radix_sort_implIS3_Lb0EPKhPhPKlPlN2at6native12_GLOBAL__N_18offset_tEEE10hipError_tPvRmT1_PNSt15iterator_traitsISK_E10value_typeET2_T3_PNSL_ISQ_E10value_typeET4_jRbjT5_SW_jjP12ihipStream_tbEUlT_E2_NS1_11comp_targetILNS1_3genE2ELNS1_11target_archE906ELNS1_3gpuE6ELNS1_3repE0EEENS1_30default_config_static_selectorELNS0_4arch9wavefront6targetE0EEEvSK_
	.p2align	8
	.type	_ZN7rocprim17ROCPRIM_400000_NS6detail17trampoline_kernelINS0_14default_configENS1_36segmented_radix_sort_config_selectorIhlEEZNS1_25segmented_radix_sort_implIS3_Lb0EPKhPhPKlPlN2at6native12_GLOBAL__N_18offset_tEEE10hipError_tPvRmT1_PNSt15iterator_traitsISK_E10value_typeET2_T3_PNSL_ISQ_E10value_typeET4_jRbjT5_SW_jjP12ihipStream_tbEUlT_E2_NS1_11comp_targetILNS1_3genE2ELNS1_11target_archE906ELNS1_3gpuE6ELNS1_3repE0EEENS1_30default_config_static_selectorELNS0_4arch9wavefront6targetE0EEEvSK_,@function
_ZN7rocprim17ROCPRIM_400000_NS6detail17trampoline_kernelINS0_14default_configENS1_36segmented_radix_sort_config_selectorIhlEEZNS1_25segmented_radix_sort_implIS3_Lb0EPKhPhPKlPlN2at6native12_GLOBAL__N_18offset_tEEE10hipError_tPvRmT1_PNSt15iterator_traitsISK_E10value_typeET2_T3_PNSL_ISQ_E10value_typeET4_jRbjT5_SW_jjP12ihipStream_tbEUlT_E2_NS1_11comp_targetILNS1_3genE2ELNS1_11target_archE906ELNS1_3gpuE6ELNS1_3repE0EEENS1_30default_config_static_selectorELNS0_4arch9wavefront6targetE0EEEvSK_: ; @_ZN7rocprim17ROCPRIM_400000_NS6detail17trampoline_kernelINS0_14default_configENS1_36segmented_radix_sort_config_selectorIhlEEZNS1_25segmented_radix_sort_implIS3_Lb0EPKhPhPKlPlN2at6native12_GLOBAL__N_18offset_tEEE10hipError_tPvRmT1_PNSt15iterator_traitsISK_E10value_typeET2_T3_PNSL_ISQ_E10value_typeET4_jRbjT5_SW_jjP12ihipStream_tbEUlT_E2_NS1_11comp_targetILNS1_3genE2ELNS1_11target_archE906ELNS1_3gpuE6ELNS1_3repE0EEENS1_30default_config_static_selectorELNS0_4arch9wavefront6targetE0EEEvSK_
; %bb.0:
	.section	.rodata,"a",@progbits
	.p2align	6, 0x0
	.amdhsa_kernel _ZN7rocprim17ROCPRIM_400000_NS6detail17trampoline_kernelINS0_14default_configENS1_36segmented_radix_sort_config_selectorIhlEEZNS1_25segmented_radix_sort_implIS3_Lb0EPKhPhPKlPlN2at6native12_GLOBAL__N_18offset_tEEE10hipError_tPvRmT1_PNSt15iterator_traitsISK_E10value_typeET2_T3_PNSL_ISQ_E10value_typeET4_jRbjT5_SW_jjP12ihipStream_tbEUlT_E2_NS1_11comp_targetILNS1_3genE2ELNS1_11target_archE906ELNS1_3gpuE6ELNS1_3repE0EEENS1_30default_config_static_selectorELNS0_4arch9wavefront6targetE0EEEvSK_
		.amdhsa_group_segment_fixed_size 0
		.amdhsa_private_segment_fixed_size 0
		.amdhsa_kernarg_size 80
		.amdhsa_user_sgpr_count 2
		.amdhsa_user_sgpr_dispatch_ptr 0
		.amdhsa_user_sgpr_queue_ptr 0
		.amdhsa_user_sgpr_kernarg_segment_ptr 1
		.amdhsa_user_sgpr_dispatch_id 0
		.amdhsa_user_sgpr_private_segment_size 0
		.amdhsa_wavefront_size32 1
		.amdhsa_uses_dynamic_stack 0
		.amdhsa_enable_private_segment 0
		.amdhsa_system_sgpr_workgroup_id_x 1
		.amdhsa_system_sgpr_workgroup_id_y 0
		.amdhsa_system_sgpr_workgroup_id_z 0
		.amdhsa_system_sgpr_workgroup_info 0
		.amdhsa_system_vgpr_workitem_id 0
		.amdhsa_next_free_vgpr 1
		.amdhsa_next_free_sgpr 1
		.amdhsa_reserve_vcc 0
		.amdhsa_float_round_mode_32 0
		.amdhsa_float_round_mode_16_64 0
		.amdhsa_float_denorm_mode_32 3
		.amdhsa_float_denorm_mode_16_64 3
		.amdhsa_fp16_overflow 0
		.amdhsa_workgroup_processor_mode 1
		.amdhsa_memory_ordered 1
		.amdhsa_forward_progress 1
		.amdhsa_inst_pref_size 0
		.amdhsa_round_robin_scheduling 0
		.amdhsa_exception_fp_ieee_invalid_op 0
		.amdhsa_exception_fp_denorm_src 0
		.amdhsa_exception_fp_ieee_div_zero 0
		.amdhsa_exception_fp_ieee_overflow 0
		.amdhsa_exception_fp_ieee_underflow 0
		.amdhsa_exception_fp_ieee_inexact 0
		.amdhsa_exception_int_div_zero 0
	.end_amdhsa_kernel
	.section	.text._ZN7rocprim17ROCPRIM_400000_NS6detail17trampoline_kernelINS0_14default_configENS1_36segmented_radix_sort_config_selectorIhlEEZNS1_25segmented_radix_sort_implIS3_Lb0EPKhPhPKlPlN2at6native12_GLOBAL__N_18offset_tEEE10hipError_tPvRmT1_PNSt15iterator_traitsISK_E10value_typeET2_T3_PNSL_ISQ_E10value_typeET4_jRbjT5_SW_jjP12ihipStream_tbEUlT_E2_NS1_11comp_targetILNS1_3genE2ELNS1_11target_archE906ELNS1_3gpuE6ELNS1_3repE0EEENS1_30default_config_static_selectorELNS0_4arch9wavefront6targetE0EEEvSK_,"axG",@progbits,_ZN7rocprim17ROCPRIM_400000_NS6detail17trampoline_kernelINS0_14default_configENS1_36segmented_radix_sort_config_selectorIhlEEZNS1_25segmented_radix_sort_implIS3_Lb0EPKhPhPKlPlN2at6native12_GLOBAL__N_18offset_tEEE10hipError_tPvRmT1_PNSt15iterator_traitsISK_E10value_typeET2_T3_PNSL_ISQ_E10value_typeET4_jRbjT5_SW_jjP12ihipStream_tbEUlT_E2_NS1_11comp_targetILNS1_3genE2ELNS1_11target_archE906ELNS1_3gpuE6ELNS1_3repE0EEENS1_30default_config_static_selectorELNS0_4arch9wavefront6targetE0EEEvSK_,comdat
.Lfunc_end220:
	.size	_ZN7rocprim17ROCPRIM_400000_NS6detail17trampoline_kernelINS0_14default_configENS1_36segmented_radix_sort_config_selectorIhlEEZNS1_25segmented_radix_sort_implIS3_Lb0EPKhPhPKlPlN2at6native12_GLOBAL__N_18offset_tEEE10hipError_tPvRmT1_PNSt15iterator_traitsISK_E10value_typeET2_T3_PNSL_ISQ_E10value_typeET4_jRbjT5_SW_jjP12ihipStream_tbEUlT_E2_NS1_11comp_targetILNS1_3genE2ELNS1_11target_archE906ELNS1_3gpuE6ELNS1_3repE0EEENS1_30default_config_static_selectorELNS0_4arch9wavefront6targetE0EEEvSK_, .Lfunc_end220-_ZN7rocprim17ROCPRIM_400000_NS6detail17trampoline_kernelINS0_14default_configENS1_36segmented_radix_sort_config_selectorIhlEEZNS1_25segmented_radix_sort_implIS3_Lb0EPKhPhPKlPlN2at6native12_GLOBAL__N_18offset_tEEE10hipError_tPvRmT1_PNSt15iterator_traitsISK_E10value_typeET2_T3_PNSL_ISQ_E10value_typeET4_jRbjT5_SW_jjP12ihipStream_tbEUlT_E2_NS1_11comp_targetILNS1_3genE2ELNS1_11target_archE906ELNS1_3gpuE6ELNS1_3repE0EEENS1_30default_config_static_selectorELNS0_4arch9wavefront6targetE0EEEvSK_
                                        ; -- End function
	.set _ZN7rocprim17ROCPRIM_400000_NS6detail17trampoline_kernelINS0_14default_configENS1_36segmented_radix_sort_config_selectorIhlEEZNS1_25segmented_radix_sort_implIS3_Lb0EPKhPhPKlPlN2at6native12_GLOBAL__N_18offset_tEEE10hipError_tPvRmT1_PNSt15iterator_traitsISK_E10value_typeET2_T3_PNSL_ISQ_E10value_typeET4_jRbjT5_SW_jjP12ihipStream_tbEUlT_E2_NS1_11comp_targetILNS1_3genE2ELNS1_11target_archE906ELNS1_3gpuE6ELNS1_3repE0EEENS1_30default_config_static_selectorELNS0_4arch9wavefront6targetE0EEEvSK_.num_vgpr, 0
	.set _ZN7rocprim17ROCPRIM_400000_NS6detail17trampoline_kernelINS0_14default_configENS1_36segmented_radix_sort_config_selectorIhlEEZNS1_25segmented_radix_sort_implIS3_Lb0EPKhPhPKlPlN2at6native12_GLOBAL__N_18offset_tEEE10hipError_tPvRmT1_PNSt15iterator_traitsISK_E10value_typeET2_T3_PNSL_ISQ_E10value_typeET4_jRbjT5_SW_jjP12ihipStream_tbEUlT_E2_NS1_11comp_targetILNS1_3genE2ELNS1_11target_archE906ELNS1_3gpuE6ELNS1_3repE0EEENS1_30default_config_static_selectorELNS0_4arch9wavefront6targetE0EEEvSK_.num_agpr, 0
	.set _ZN7rocprim17ROCPRIM_400000_NS6detail17trampoline_kernelINS0_14default_configENS1_36segmented_radix_sort_config_selectorIhlEEZNS1_25segmented_radix_sort_implIS3_Lb0EPKhPhPKlPlN2at6native12_GLOBAL__N_18offset_tEEE10hipError_tPvRmT1_PNSt15iterator_traitsISK_E10value_typeET2_T3_PNSL_ISQ_E10value_typeET4_jRbjT5_SW_jjP12ihipStream_tbEUlT_E2_NS1_11comp_targetILNS1_3genE2ELNS1_11target_archE906ELNS1_3gpuE6ELNS1_3repE0EEENS1_30default_config_static_selectorELNS0_4arch9wavefront6targetE0EEEvSK_.numbered_sgpr, 0
	.set _ZN7rocprim17ROCPRIM_400000_NS6detail17trampoline_kernelINS0_14default_configENS1_36segmented_radix_sort_config_selectorIhlEEZNS1_25segmented_radix_sort_implIS3_Lb0EPKhPhPKlPlN2at6native12_GLOBAL__N_18offset_tEEE10hipError_tPvRmT1_PNSt15iterator_traitsISK_E10value_typeET2_T3_PNSL_ISQ_E10value_typeET4_jRbjT5_SW_jjP12ihipStream_tbEUlT_E2_NS1_11comp_targetILNS1_3genE2ELNS1_11target_archE906ELNS1_3gpuE6ELNS1_3repE0EEENS1_30default_config_static_selectorELNS0_4arch9wavefront6targetE0EEEvSK_.num_named_barrier, 0
	.set _ZN7rocprim17ROCPRIM_400000_NS6detail17trampoline_kernelINS0_14default_configENS1_36segmented_radix_sort_config_selectorIhlEEZNS1_25segmented_radix_sort_implIS3_Lb0EPKhPhPKlPlN2at6native12_GLOBAL__N_18offset_tEEE10hipError_tPvRmT1_PNSt15iterator_traitsISK_E10value_typeET2_T3_PNSL_ISQ_E10value_typeET4_jRbjT5_SW_jjP12ihipStream_tbEUlT_E2_NS1_11comp_targetILNS1_3genE2ELNS1_11target_archE906ELNS1_3gpuE6ELNS1_3repE0EEENS1_30default_config_static_selectorELNS0_4arch9wavefront6targetE0EEEvSK_.private_seg_size, 0
	.set _ZN7rocprim17ROCPRIM_400000_NS6detail17trampoline_kernelINS0_14default_configENS1_36segmented_radix_sort_config_selectorIhlEEZNS1_25segmented_radix_sort_implIS3_Lb0EPKhPhPKlPlN2at6native12_GLOBAL__N_18offset_tEEE10hipError_tPvRmT1_PNSt15iterator_traitsISK_E10value_typeET2_T3_PNSL_ISQ_E10value_typeET4_jRbjT5_SW_jjP12ihipStream_tbEUlT_E2_NS1_11comp_targetILNS1_3genE2ELNS1_11target_archE906ELNS1_3gpuE6ELNS1_3repE0EEENS1_30default_config_static_selectorELNS0_4arch9wavefront6targetE0EEEvSK_.uses_vcc, 0
	.set _ZN7rocprim17ROCPRIM_400000_NS6detail17trampoline_kernelINS0_14default_configENS1_36segmented_radix_sort_config_selectorIhlEEZNS1_25segmented_radix_sort_implIS3_Lb0EPKhPhPKlPlN2at6native12_GLOBAL__N_18offset_tEEE10hipError_tPvRmT1_PNSt15iterator_traitsISK_E10value_typeET2_T3_PNSL_ISQ_E10value_typeET4_jRbjT5_SW_jjP12ihipStream_tbEUlT_E2_NS1_11comp_targetILNS1_3genE2ELNS1_11target_archE906ELNS1_3gpuE6ELNS1_3repE0EEENS1_30default_config_static_selectorELNS0_4arch9wavefront6targetE0EEEvSK_.uses_flat_scratch, 0
	.set _ZN7rocprim17ROCPRIM_400000_NS6detail17trampoline_kernelINS0_14default_configENS1_36segmented_radix_sort_config_selectorIhlEEZNS1_25segmented_radix_sort_implIS3_Lb0EPKhPhPKlPlN2at6native12_GLOBAL__N_18offset_tEEE10hipError_tPvRmT1_PNSt15iterator_traitsISK_E10value_typeET2_T3_PNSL_ISQ_E10value_typeET4_jRbjT5_SW_jjP12ihipStream_tbEUlT_E2_NS1_11comp_targetILNS1_3genE2ELNS1_11target_archE906ELNS1_3gpuE6ELNS1_3repE0EEENS1_30default_config_static_selectorELNS0_4arch9wavefront6targetE0EEEvSK_.has_dyn_sized_stack, 0
	.set _ZN7rocprim17ROCPRIM_400000_NS6detail17trampoline_kernelINS0_14default_configENS1_36segmented_radix_sort_config_selectorIhlEEZNS1_25segmented_radix_sort_implIS3_Lb0EPKhPhPKlPlN2at6native12_GLOBAL__N_18offset_tEEE10hipError_tPvRmT1_PNSt15iterator_traitsISK_E10value_typeET2_T3_PNSL_ISQ_E10value_typeET4_jRbjT5_SW_jjP12ihipStream_tbEUlT_E2_NS1_11comp_targetILNS1_3genE2ELNS1_11target_archE906ELNS1_3gpuE6ELNS1_3repE0EEENS1_30default_config_static_selectorELNS0_4arch9wavefront6targetE0EEEvSK_.has_recursion, 0
	.set _ZN7rocprim17ROCPRIM_400000_NS6detail17trampoline_kernelINS0_14default_configENS1_36segmented_radix_sort_config_selectorIhlEEZNS1_25segmented_radix_sort_implIS3_Lb0EPKhPhPKlPlN2at6native12_GLOBAL__N_18offset_tEEE10hipError_tPvRmT1_PNSt15iterator_traitsISK_E10value_typeET2_T3_PNSL_ISQ_E10value_typeET4_jRbjT5_SW_jjP12ihipStream_tbEUlT_E2_NS1_11comp_targetILNS1_3genE2ELNS1_11target_archE906ELNS1_3gpuE6ELNS1_3repE0EEENS1_30default_config_static_selectorELNS0_4arch9wavefront6targetE0EEEvSK_.has_indirect_call, 0
	.section	.AMDGPU.csdata,"",@progbits
; Kernel info:
; codeLenInByte = 0
; TotalNumSgprs: 0
; NumVgprs: 0
; ScratchSize: 0
; MemoryBound: 0
; FloatMode: 240
; IeeeMode: 1
; LDSByteSize: 0 bytes/workgroup (compile time only)
; SGPRBlocks: 0
; VGPRBlocks: 0
; NumSGPRsForWavesPerEU: 1
; NumVGPRsForWavesPerEU: 1
; Occupancy: 16
; WaveLimiterHint : 0
; COMPUTE_PGM_RSRC2:SCRATCH_EN: 0
; COMPUTE_PGM_RSRC2:USER_SGPR: 2
; COMPUTE_PGM_RSRC2:TRAP_HANDLER: 0
; COMPUTE_PGM_RSRC2:TGID_X_EN: 1
; COMPUTE_PGM_RSRC2:TGID_Y_EN: 0
; COMPUTE_PGM_RSRC2:TGID_Z_EN: 0
; COMPUTE_PGM_RSRC2:TIDIG_COMP_CNT: 0
	.section	.text._ZN7rocprim17ROCPRIM_400000_NS6detail17trampoline_kernelINS0_14default_configENS1_36segmented_radix_sort_config_selectorIhlEEZNS1_25segmented_radix_sort_implIS3_Lb0EPKhPhPKlPlN2at6native12_GLOBAL__N_18offset_tEEE10hipError_tPvRmT1_PNSt15iterator_traitsISK_E10value_typeET2_T3_PNSL_ISQ_E10value_typeET4_jRbjT5_SW_jjP12ihipStream_tbEUlT_E2_NS1_11comp_targetILNS1_3genE10ELNS1_11target_archE1201ELNS1_3gpuE5ELNS1_3repE0EEENS1_30default_config_static_selectorELNS0_4arch9wavefront6targetE0EEEvSK_,"axG",@progbits,_ZN7rocprim17ROCPRIM_400000_NS6detail17trampoline_kernelINS0_14default_configENS1_36segmented_radix_sort_config_selectorIhlEEZNS1_25segmented_radix_sort_implIS3_Lb0EPKhPhPKlPlN2at6native12_GLOBAL__N_18offset_tEEE10hipError_tPvRmT1_PNSt15iterator_traitsISK_E10value_typeET2_T3_PNSL_ISQ_E10value_typeET4_jRbjT5_SW_jjP12ihipStream_tbEUlT_E2_NS1_11comp_targetILNS1_3genE10ELNS1_11target_archE1201ELNS1_3gpuE5ELNS1_3repE0EEENS1_30default_config_static_selectorELNS0_4arch9wavefront6targetE0EEEvSK_,comdat
	.globl	_ZN7rocprim17ROCPRIM_400000_NS6detail17trampoline_kernelINS0_14default_configENS1_36segmented_radix_sort_config_selectorIhlEEZNS1_25segmented_radix_sort_implIS3_Lb0EPKhPhPKlPlN2at6native12_GLOBAL__N_18offset_tEEE10hipError_tPvRmT1_PNSt15iterator_traitsISK_E10value_typeET2_T3_PNSL_ISQ_E10value_typeET4_jRbjT5_SW_jjP12ihipStream_tbEUlT_E2_NS1_11comp_targetILNS1_3genE10ELNS1_11target_archE1201ELNS1_3gpuE5ELNS1_3repE0EEENS1_30default_config_static_selectorELNS0_4arch9wavefront6targetE0EEEvSK_ ; -- Begin function _ZN7rocprim17ROCPRIM_400000_NS6detail17trampoline_kernelINS0_14default_configENS1_36segmented_radix_sort_config_selectorIhlEEZNS1_25segmented_radix_sort_implIS3_Lb0EPKhPhPKlPlN2at6native12_GLOBAL__N_18offset_tEEE10hipError_tPvRmT1_PNSt15iterator_traitsISK_E10value_typeET2_T3_PNSL_ISQ_E10value_typeET4_jRbjT5_SW_jjP12ihipStream_tbEUlT_E2_NS1_11comp_targetILNS1_3genE10ELNS1_11target_archE1201ELNS1_3gpuE5ELNS1_3repE0EEENS1_30default_config_static_selectorELNS0_4arch9wavefront6targetE0EEEvSK_
	.p2align	8
	.type	_ZN7rocprim17ROCPRIM_400000_NS6detail17trampoline_kernelINS0_14default_configENS1_36segmented_radix_sort_config_selectorIhlEEZNS1_25segmented_radix_sort_implIS3_Lb0EPKhPhPKlPlN2at6native12_GLOBAL__N_18offset_tEEE10hipError_tPvRmT1_PNSt15iterator_traitsISK_E10value_typeET2_T3_PNSL_ISQ_E10value_typeET4_jRbjT5_SW_jjP12ihipStream_tbEUlT_E2_NS1_11comp_targetILNS1_3genE10ELNS1_11target_archE1201ELNS1_3gpuE5ELNS1_3repE0EEENS1_30default_config_static_selectorELNS0_4arch9wavefront6targetE0EEEvSK_,@function
_ZN7rocprim17ROCPRIM_400000_NS6detail17trampoline_kernelINS0_14default_configENS1_36segmented_radix_sort_config_selectorIhlEEZNS1_25segmented_radix_sort_implIS3_Lb0EPKhPhPKlPlN2at6native12_GLOBAL__N_18offset_tEEE10hipError_tPvRmT1_PNSt15iterator_traitsISK_E10value_typeET2_T3_PNSL_ISQ_E10value_typeET4_jRbjT5_SW_jjP12ihipStream_tbEUlT_E2_NS1_11comp_targetILNS1_3genE10ELNS1_11target_archE1201ELNS1_3gpuE5ELNS1_3repE0EEENS1_30default_config_static_selectorELNS0_4arch9wavefront6targetE0EEEvSK_: ; @_ZN7rocprim17ROCPRIM_400000_NS6detail17trampoline_kernelINS0_14default_configENS1_36segmented_radix_sort_config_selectorIhlEEZNS1_25segmented_radix_sort_implIS3_Lb0EPKhPhPKlPlN2at6native12_GLOBAL__N_18offset_tEEE10hipError_tPvRmT1_PNSt15iterator_traitsISK_E10value_typeET2_T3_PNSL_ISQ_E10value_typeET4_jRbjT5_SW_jjP12ihipStream_tbEUlT_E2_NS1_11comp_targetILNS1_3genE10ELNS1_11target_archE1201ELNS1_3gpuE5ELNS1_3repE0EEENS1_30default_config_static_selectorELNS0_4arch9wavefront6targetE0EEEvSK_
; %bb.0:
	s_load_b128 s[4:7], s[0:1], 0x34
	s_mov_b32 s32, 0
	s_wait_kmcnt 0x0
	s_add_co_i32 s33, s5, ttmp9
	s_add_co_i32 s34, s7, ttmp9
	s_mul_i32 s33, s33, s4
	s_mul_i32 s34, s34, s6
	s_delay_alu instid0(SALU_CYCLE_1)
	s_cmp_le_u32 s34, s33
	s_cbranch_scc1 .LBB221_678
; %bb.1:
	s_clause 0x3
	s_load_b32 s2, s[0:1], 0x30
	s_load_b128 s[24:27], s[0:1], 0x20
	s_load_b96 s[44:46], s[0:1], 0x44
	s_load_b256 s[36:43], s[0:1], 0x0
	s_wait_kmcnt 0x0
	s_bitcmp1_b32 s2, 0
	s_mov_b32 s2, -1
	s_cselect_b32 s35, -1, 0
	s_sub_co_i32 s47, s34, s33
	s_delay_alu instid0(SALU_CYCLE_1)
	s_cmp_lt_u32 s47, 0x801
	s_cbranch_scc0 .LBB221_15
; %bb.2:
	s_cmp_lt_u32 s47, 33
	s_cbranch_scc0 .LBB221_9
; %bb.3:
	s_load_b32 s2, s[0:1], 0x5c
	v_bfe_u32 v1, v0, 10, 10
	v_bfe_u32 v2, v0, 20, 10
	s_mov_b32 s16, exec_lo
	s_wait_kmcnt 0x0
	s_lshr_b32 s3, s2, 16
	s_and_b32 s2, s2, 0xffff
	v_mad_u32_u24 v2, v2, s3, v1
	v_and_b32_e32 v1, 0x3ff, v0
	s_delay_alu instid0(VALU_DEP_1) | instskip(NEXT) | instid1(VALU_DEP_1)
	v_mad_co_u64_u32 v[1:2], null, v2, s2, v[1:2]
	v_cmpx_gt_u32_e32 8, v1
	s_cbranch_execz .LBB221_8
; %bb.4:
	v_cndmask_b32_e64 v1, 0, 1, s35
	s_and_b32 s2, s44, 1
	s_wait_alu 0xfffe
	s_delay_alu instid0(VALU_DEP_1)
	v_cmp_ne_u32_e32 vcc_lo, s2, v1
	s_mov_b32 s2, -1
	s_cbranch_vccnz .LBB221_6
; %bb.5:
	s_mov_b64 s[2:3], src_shared_base
	v_dual_mov_b32 v31, v0 :: v_dual_mov_b32 v40, v0
	v_dual_mov_b32 v0, s36 :: v_dual_mov_b32 v1, s37
	;; [unrolled: 1-line block ×7, first 2 shown]
	s_wait_alu 0xfffe
	v_dual_mov_b32 v12, 0 :: v_dual_mov_b32 v13, s3
	s_add_nc_u64 s[8:9], s[0:1], 0x50
	s_getpc_b64 s[4:5]
	s_sext_i32_i16 s5, s5
	s_add_co_u32 s4, s4, _ZN7rocprim17ROCPRIM_400000_NS6detail26segmented_warp_sort_helperINS1_20WarpSortHelperConfigILj8ELj4ELj256EEEhlLi256ELb0EvE4sortIPKhPhPKlPlEEvT_T0_T1_T2_jjjjRNS5_12storage_typeE@rel32@lo+8
	s_add_co_ci_u32 s5, s5, _ZN7rocprim17ROCPRIM_400000_NS6detail26segmented_warp_sort_helperINS1_20WarpSortHelperConfigILj8ELj4ELj256EEEhlLi256ELb0EvE4sortIPKhPhPKlPlEEvT_T0_T1_T2_jjjjRNS5_12storage_typeE@rel32@hi+16
	s_mov_b64 s[14:15], s[0:1]
	s_swappc_b64 s[30:31], s[4:5]
	v_mov_b32_e32 v0, v40
	s_mov_b64 s[0:1], s[14:15]
	s_mov_b32 s2, 0
.LBB221_6:
	s_wait_alu 0xfffe
	s_and_not1_b32 vcc_lo, exec_lo, s2
	s_wait_alu 0xfffe
	s_cbranch_vccnz .LBB221_8
; %bb.7:
	s_mov_b64 s[2:3], src_shared_base
	v_dual_mov_b32 v31, v0 :: v_dual_mov_b32 v40, v0
	v_dual_mov_b32 v0, s36 :: v_dual_mov_b32 v1, s37
	;; [unrolled: 1-line block ×7, first 2 shown]
	s_wait_alu 0xfffe
	v_dual_mov_b32 v12, 0 :: v_dual_mov_b32 v13, s3
	s_add_nc_u64 s[8:9], s[0:1], 0x50
	s_getpc_b64 s[4:5]
	s_wait_alu 0xfffe
	s_sext_i32_i16 s5, s5
	s_add_co_u32 s4, s4, _ZN7rocprim17ROCPRIM_400000_NS6detail26segmented_warp_sort_helperINS1_20WarpSortHelperConfigILj8ELj4ELj256EEEhlLi256ELb0EvE4sortIPKhPhPKlPlEEvT_T0_T1_T2_jjjjRNS5_12storage_typeE@rel32@lo+12
	s_wait_alu 0xfffe
	s_add_co_ci_u32 s5, s5, _ZN7rocprim17ROCPRIM_400000_NS6detail26segmented_warp_sort_helperINS1_20WarpSortHelperConfigILj8ELj4ELj256EEEhlLi256ELb0EvE4sortIPKhPhPKlPlEEvT_T0_T1_T2_jjjjRNS5_12storage_typeE@rel32@hi+24
	s_mov_b64 s[14:15], s[0:1]
	s_wait_alu 0xfffe
	s_swappc_b64 s[30:31], s[4:5]
	v_mov_b32_e32 v0, v40
	s_mov_b64 s[0:1], s[14:15]
.LBB221_8:
	s_or_b32 exec_lo, exec_lo, s16
	s_mov_b32 s2, 0
.LBB221_9:
	s_wait_alu 0xfffe
	s_and_not1_b32 vcc_lo, exec_lo, s2
	s_wait_alu 0xfffe
	s_cbranch_vccnz .LBB221_14
; %bb.10:
	v_cndmask_b32_e64 v1, 0, 1, s35
	s_and_b32 s2, s44, 1
	s_wait_alu 0xfffe
	s_delay_alu instid0(VALU_DEP_1)
	v_cmp_ne_u32_e32 vcc_lo, s2, v1
	s_mov_b32 s2, -1
	s_cbranch_vccnz .LBB221_12
; %bb.11:
	s_mov_b64 s[2:3], src_shared_base
	v_dual_mov_b32 v31, v0 :: v_dual_mov_b32 v40, v0
	v_dual_mov_b32 v0, s36 :: v_dual_mov_b32 v1, s37
	;; [unrolled: 1-line block ×7, first 2 shown]
	s_wait_alu 0xfffe
	v_dual_mov_b32 v12, 0 :: v_dual_mov_b32 v13, s3
	s_add_nc_u64 s[8:9], s[0:1], 0x50
	s_getpc_b64 s[4:5]
	s_wait_alu 0xfffe
	s_sext_i32_i16 s5, s5
	s_add_co_u32 s4, s4, _ZN7rocprim17ROCPRIM_400000_NS6detail40segmented_radix_sort_single_block_helperIhlLj256ELj8ELb0EE4sortIPKhPhPKlPlEEbT_T0_T1_T2_jjjjRNS3_12storage_typeE@rel32@lo+12
	s_wait_alu 0xfffe
	s_add_co_ci_u32 s5, s5, _ZN7rocprim17ROCPRIM_400000_NS6detail40segmented_radix_sort_single_block_helperIhlLj256ELj8ELb0EE4sortIPKhPhPKlPlEEbT_T0_T1_T2_jjjjRNS3_12storage_typeE@rel32@hi+24
	s_mov_b64 s[22:23], s[0:1]
	s_wait_alu 0xfffe
	s_swappc_b64 s[30:31], s[4:5]
	v_mov_b32_e32 v0, v40
	s_mov_b64 s[0:1], s[22:23]
	s_mov_b32 s2, 0
.LBB221_12:
	s_wait_alu 0xfffe
	s_and_not1_b32 vcc_lo, exec_lo, s2
	s_wait_alu 0xfffe
	s_cbranch_vccnz .LBB221_14
; %bb.13:
	s_mov_b64 s[2:3], src_shared_base
	v_dual_mov_b32 v31, v0 :: v_dual_mov_b32 v40, v0
	v_dual_mov_b32 v0, s36 :: v_dual_mov_b32 v1, s37
	;; [unrolled: 1-line block ×7, first 2 shown]
	s_wait_alu 0xfffe
	v_dual_mov_b32 v12, 0 :: v_dual_mov_b32 v13, s3
	s_add_nc_u64 s[8:9], s[0:1], 0x50
	s_getpc_b64 s[4:5]
	s_wait_alu 0xfffe
	s_sext_i32_i16 s5, s5
	s_add_co_u32 s4, s4, _ZN7rocprim17ROCPRIM_400000_NS6detail40segmented_radix_sort_single_block_helperIhlLj256ELj8ELb0EE4sortIPKhPhPKlPlEEbT_T0_T1_T2_jjjjRNS3_12storage_typeE@rel32@lo+12
	s_wait_alu 0xfffe
	s_add_co_ci_u32 s5, s5, _ZN7rocprim17ROCPRIM_400000_NS6detail40segmented_radix_sort_single_block_helperIhlLj256ELj8ELb0EE4sortIPKhPhPKlPlEEbT_T0_T1_T2_jjjjRNS3_12storage_typeE@rel32@hi+24
	s_mov_b64 s[22:23], s[0:1]
	s_wait_alu 0xfffe
	s_swappc_b64 s[30:31], s[4:5]
	v_mov_b32_e32 v0, v40
	s_mov_b64 s[0:1], s[22:23]
.LBB221_14:
	s_mov_b32 s2, 0
.LBB221_15:
	s_wait_alu 0xfffe
	s_and_not1_b32 vcc_lo, exec_lo, s2
	s_wait_alu 0xfffe
	s_cbranch_vccnz .LBB221_678
; %bb.16:
	s_cmp_ge_u32 s45, s46
	s_cbranch_scc1 .LBB221_678
; %bb.17:
	v_and_b32_e32 v1, 0x3ff, v0
	v_dual_mov_b32 v61, 1 :: v_dual_and_b32 v2, 3, v0
	v_lshrrev_b32_e32 v4, 3, v0
	v_mbcnt_lo_u32_b32 v58, -1, 0
	s_delay_alu instid0(VALU_DEP_4) | instskip(NEXT) | instid1(VALU_DEP_4)
	v_or_b32_e32 v5, 31, v1
	v_lshlrev_b32_e32 v39, 2, v2
	v_lshlrev_b32_e32 v2, 3, v1
	v_and_b32_e32 v38, 28, v4
	v_lshlrev_b32_e32 v4, 5, v1
	v_cmp_eq_u32_e64 s3, v1, v5
	v_dual_mov_b32 v3, 0 :: v_dual_lshlrev_b32 v28, 2, v1
	v_and_b32_e32 v2, 0x700, v2
	s_delay_alu instid0(VALU_DEP_4) | instskip(SKIP_2) | instid1(VALU_DEP_4)
	v_sub_nc_u32_e32 v46, 0, v4
	v_lshlrev_b32_e32 v66, 3, v58
	v_add_co_u32 v32, s2, s40, v1
	v_lshlrev_b32_e32 v5, 3, v2
	v_mad_u32_u24 v40, v1, 12, v28
	v_or_b32_e32 v68, v58, v2
	v_or_b32_e32 v29, 0x100, v1
	;; [unrolled: 1-line block ×3, first 2 shown]
	v_add_co_u32 v4, s8, s26, v5
	s_wait_alu 0xf1ff
	v_add_co_ci_u32_e64 v6, null, s27, 0, s8
	v_add_co_u32 v7, s8, s40, v2
	s_wait_alu 0xf1ff
	v_add_co_ci_u32_e64 v8, null, s41, 0, s8
	;; [unrolled: 3-line block ×6, first 2 shown]
	v_add_co_u32 v56, s8, s42, v5
	v_add_co_u32 v69, vcc_lo, v4, v66
	s_wait_alu 0xf1ff
	v_add_co_ci_u32_e64 v57, null, s43, 0, s8
	v_add_co_u32 v59, s8, s36, v2
	s_wait_alu 0xfffd
	v_add_co_ci_u32_e64 v70, null, 0, v6, vcc_lo
	v_add_co_u32 v78, vcc_lo, v7, v58
	v_or_b32_e32 v31, 0x300, v1
	v_add_co_ci_u32_e64 v33, null, s41, 0, s2
	v_or_b32_e32 v34, 0x400, v1
	v_or_b32_e32 v35, 0x500, v1
	;; [unrolled: 1-line block ×4, first 2 shown]
	v_cmp_gt_u32_e64 s2, 0x100, v1
	v_or_b32_e32 v41, 0x4400, v38
	v_cmp_gt_u32_e64 s4, 8, v1
	v_add_nc_u32_e32 v42, 0x4400, v28
	v_cmp_lt_u32_e64 s5, 31, v1
	v_add_nc_u32_e32 v43, 0x43fc, v38
	v_bfe_u32 v44, v0, 20, 10
	v_bfe_u32 v0, v0, 10, 10
	v_mad_u32_u24 v45, v1, 20, v40
	v_cmp_eq_u32_e64 s6, 0, v1
	v_cmp_ne_u32_e64 s7, 0xff, v1
	v_mul_u32_u24_e32 v47, 7, v1
	s_wait_alu 0xf1ff
	v_add_co_ci_u32_e64 v60, null, s37, 0, s8
	v_and_b32_e32 v62, 15, v58
	v_bfe_i32 v63, v58, 4, 1
	v_and_b32_e32 v64, 16, v58
	v_and_b32_e32 v65, 7, v58
	v_sub_co_u32 v67, s8, v58, 1
	v_or_b32_e32 v71, 32, v68
	v_or_b32_e32 v72, 64, v68
	;; [unrolled: 1-line block ×7, first 2 shown]
	s_wait_alu 0xfffd
	v_add_co_ci_u32_e64 v79, null, 0, v8, vcc_lo
	s_add_nc_u64 s[28:29], s[0:1], 0x50
	s_mov_b32 s23, 0
	s_mov_b32 s30, s45
	s_branch .LBB221_20
.LBB221_18:                             ;   in Loop: Header=BB221_20 Depth=1
	s_wait_loadcnt_dscnt 0x0
	s_barrier_signal -1
	s_barrier_wait -1
.LBB221_19:                             ;   in Loop: Header=BB221_20 Depth=1
	s_add_co_i32 s30, s30, 8
	global_inv scope:SCOPE_SE
	s_wait_alu 0xfffe
	s_cmp_ge_u32 s30, s46
	s_cbranch_scc1 .LBB221_678
.LBB221_20:                             ; =>This Loop Header: Depth=1
                                        ;     Child Loop BB221_24 Depth 2
                                        ;     Child Loop BB221_72 Depth 2
	;; [unrolled: 1-line block ×8, first 2 shown]
	s_wait_alu 0xfffe
	s_sub_co_i32 s0, s46, s30
	s_xor_b32 s35, s35, -1
	s_wait_alu 0xfffe
	s_min_u32 s0, s0, 8
	ds_store_2addr_stride64_b32 v28, v3, v3 offset1:4
	s_wait_alu 0xfffe
	s_lshl_b32 s0, -1, s0
	ds_store_2addr_stride64_b32 v28, v3, v3 offset0:8 offset1:12
	s_wait_alu 0xfffe
	s_not_b32 s31, s0
	s_cmp_lg_u32 s30, s45
	s_mov_b32 s0, -1
	s_wait_storecnt_dscnt 0x0
	s_cbranch_scc0 .LBB221_350
; %bb.21:                               ;   in Loop: Header=BB221_20 Depth=1
	s_and_b32 vcc_lo, exec_lo, s35
	s_wait_alu 0xfffe
	s_cbranch_vccz .LBB221_185
; %bb.22:                               ;   in Loop: Header=BB221_20 Depth=1
	v_dual_mov_b32 v7, 0 :: v_dual_mov_b32 v10, 0
	v_dual_mov_b32 v9, 0 :: v_dual_mov_b32 v8, 0
	;; [unrolled: 1-line block ×3, first 2 shown]
	v_mov_b32_e32 v4, 0
	v_mov_b32_e32 v2, 0
	s_mov_b32 s9, s47
	s_mov_b32 s22, s33
	s_barrier_signal -1
	s_barrier_wait -1
	global_inv scope:SCOPE_SE
	s_branch .LBB221_24
.LBB221_23:                             ;   in Loop: Header=BB221_24 Depth=2
	s_wait_alu 0xfffe
	s_or_b32 exec_lo, exec_lo, s0
	s_addk_co_i32 s9, 0xf800
	s_cmp_ge_u32 s10, s34
	s_mov_b32 s22, s10
	s_cbranch_scc1 .LBB221_60
.LBB221_24:                             ;   Parent Loop BB221_20 Depth=1
                                        ; =>  This Inner Loop Header: Depth=2
	s_wait_alu 0xfffe
	s_add_co_i32 s10, s22, 0x800
	s_mov_b32 s0, -1
	s_wait_alu 0xfffe
	s_cmp_gt_u32 s10, s34
                                        ; implicit-def: $vgpr11
                                        ; implicit-def: $vgpr12
                                        ; implicit-def: $vgpr13
                                        ; implicit-def: $vgpr14
                                        ; implicit-def: $vgpr15
                                        ; implicit-def: $vgpr16
                                        ; implicit-def: $vgpr17
                                        ; implicit-def: $vgpr18
	s_cbranch_scc1 .LBB221_26
; %bb.25:                               ;   in Loop: Header=BB221_24 Depth=2
	v_add_co_u32 v19, vcc_lo, v32, s22
	s_wait_alu 0xfffd
	v_add_co_ci_u32_e64 v20, null, 0, v33, vcc_lo
	s_mov_b32 s0, 0
	s_clause 0x7
	global_load_u8 v18, v[19:20], off offset:1792
	global_load_u8 v17, v[19:20], off offset:1536
	;; [unrolled: 1-line block ×7, first 2 shown]
	global_load_u8 v11, v[19:20], off
.LBB221_26:                             ;   in Loop: Header=BB221_24 Depth=2
	s_wait_alu 0xfffe
	s_and_not1_b32 vcc_lo, exec_lo, s0
	s_movk_i32 s0, 0x800
	s_wait_alu 0xfffe
	s_cbranch_vccnz .LBB221_37
; %bb.27:                               ;   in Loop: Header=BB221_24 Depth=2
	s_add_nc_u64 s[0:1], s[40:41], s[22:23]
	s_mov_b32 s11, exec_lo
	v_cmpx_gt_u32_e64 s9, v1
	s_cbranch_execnz .LBB221_53
; %bb.28:                               ;   in Loop: Header=BB221_24 Depth=2
	s_wait_alu 0xfffe
	s_or_b32 exec_lo, exec_lo, s11
	s_delay_alu instid0(SALU_CYCLE_1)
	s_mov_b32 s11, exec_lo
	v_cmpx_gt_u32_e64 s9, v29
	s_cbranch_execnz .LBB221_54
.LBB221_29:                             ;   in Loop: Header=BB221_24 Depth=2
	s_wait_alu 0xfffe
	s_or_b32 exec_lo, exec_lo, s11
	s_delay_alu instid0(SALU_CYCLE_1)
	s_mov_b32 s11, exec_lo
	v_cmpx_gt_u32_e64 s9, v30
	s_cbranch_execnz .LBB221_55
.LBB221_30:                             ;   in Loop: Header=BB221_24 Depth=2
	s_wait_alu 0xfffe
	s_or_b32 exec_lo, exec_lo, s11
	s_delay_alu instid0(SALU_CYCLE_1)
	s_mov_b32 s11, exec_lo
	v_cmpx_gt_u32_e64 s9, v31
	s_cbranch_execnz .LBB221_56
.LBB221_31:                             ;   in Loop: Header=BB221_24 Depth=2
	s_wait_alu 0xfffe
	s_or_b32 exec_lo, exec_lo, s11
	s_delay_alu instid0(SALU_CYCLE_1)
	s_mov_b32 s11, exec_lo
	v_cmpx_gt_u32_e64 s9, v34
	s_cbranch_execnz .LBB221_57
.LBB221_32:                             ;   in Loop: Header=BB221_24 Depth=2
	s_wait_alu 0xfffe
	s_or_b32 exec_lo, exec_lo, s11
	s_delay_alu instid0(SALU_CYCLE_1)
	s_mov_b32 s11, exec_lo
	v_cmpx_gt_u32_e64 s9, v35
	s_cbranch_execnz .LBB221_58
.LBB221_33:                             ;   in Loop: Header=BB221_24 Depth=2
	s_wait_alu 0xfffe
	s_or_b32 exec_lo, exec_lo, s11
	s_delay_alu instid0(SALU_CYCLE_1)
	s_mov_b32 s11, exec_lo
	v_cmpx_gt_u32_e64 s9, v36
	s_cbranch_execnz .LBB221_59
.LBB221_34:                             ;   in Loop: Header=BB221_24 Depth=2
	s_wait_alu 0xfffe
	s_or_b32 exec_lo, exec_lo, s11
	s_delay_alu instid0(SALU_CYCLE_1)
	s_mov_b32 s11, exec_lo
	v_cmpx_gt_u32_e64 s9, v37
	s_cbranch_execz .LBB221_36
.LBB221_35:                             ;   in Loop: Header=BB221_24 Depth=2
	s_wait_loadcnt 0x0
	v_add_co_u32 v11, s0, s0, v1
	s_wait_alu 0xf1ff
	v_add_co_ci_u32_e64 v12, null, s1, 0, s0
	global_load_u8 v2, v[11:12], off offset:1792
.LBB221_36:                             ;   in Loop: Header=BB221_24 Depth=2
	s_wait_alu 0xfffe
	s_or_b32 exec_lo, exec_lo, s11
	s_wait_loadcnt 0x0
	v_dual_mov_b32 v11, v7 :: v_dual_mov_b32 v12, v10
	v_dual_mov_b32 v13, v9 :: v_dual_mov_b32 v14, v8
	;; [unrolled: 1-line block ×4, first 2 shown]
	s_mov_b32 s0, s9
.LBB221_37:                             ;   in Loop: Header=BB221_24 Depth=2
	s_wait_loadcnt 0x5
	s_delay_alu instid0(VALU_DEP_1)
	v_dual_mov_b32 v2, v18 :: v_dual_mov_b32 v5, v16
	s_wait_loadcnt 0x2
	v_dual_mov_b32 v4, v17 :: v_dual_mov_b32 v9, v13
	s_wait_loadcnt 0x0
	v_dual_mov_b32 v6, v15 :: v_dual_mov_b32 v7, v11
	v_mov_b32_e32 v8, v14
	v_mov_b32_e32 v10, v12
	s_mov_b32 s1, exec_lo
	s_wait_alu 0xfffe
	v_cmpx_gt_u32_e64 s0, v1
	s_cbranch_execnz .LBB221_45
; %bb.38:                               ;   in Loop: Header=BB221_24 Depth=2
	s_or_b32 exec_lo, exec_lo, s1
	s_delay_alu instid0(SALU_CYCLE_1)
	s_mov_b32 s1, exec_lo
	v_cmpx_gt_u32_e64 s0, v29
	s_cbranch_execnz .LBB221_46
.LBB221_39:                             ;   in Loop: Header=BB221_24 Depth=2
	s_wait_alu 0xfffe
	s_or_b32 exec_lo, exec_lo, s1
	s_delay_alu instid0(SALU_CYCLE_1)
	s_mov_b32 s1, exec_lo
	v_cmpx_gt_u32_e64 s0, v30
	s_cbranch_execnz .LBB221_47
.LBB221_40:                             ;   in Loop: Header=BB221_24 Depth=2
	s_wait_alu 0xfffe
	s_or_b32 exec_lo, exec_lo, s1
	s_delay_alu instid0(SALU_CYCLE_1)
	s_mov_b32 s1, exec_lo
	v_cmpx_gt_u32_e64 s0, v31
	s_cbranch_execnz .LBB221_48
.LBB221_41:                             ;   in Loop: Header=BB221_24 Depth=2
	s_wait_alu 0xfffe
	s_or_b32 exec_lo, exec_lo, s1
	s_delay_alu instid0(SALU_CYCLE_1)
	s_mov_b32 s1, exec_lo
	v_cmpx_gt_u32_e64 s0, v34
	s_cbranch_execnz .LBB221_49
.LBB221_42:                             ;   in Loop: Header=BB221_24 Depth=2
	s_wait_alu 0xfffe
	s_or_b32 exec_lo, exec_lo, s1
	s_delay_alu instid0(SALU_CYCLE_1)
	s_mov_b32 s1, exec_lo
	v_cmpx_gt_u32_e64 s0, v35
	s_cbranch_execnz .LBB221_50
.LBB221_43:                             ;   in Loop: Header=BB221_24 Depth=2
	s_wait_alu 0xfffe
	s_or_b32 exec_lo, exec_lo, s1
	s_delay_alu instid0(SALU_CYCLE_1)
	s_mov_b32 s1, exec_lo
	v_cmpx_gt_u32_e64 s0, v36
	s_cbranch_execnz .LBB221_51
.LBB221_44:                             ;   in Loop: Header=BB221_24 Depth=2
	s_wait_alu 0xfffe
	s_or_b32 exec_lo, exec_lo, s1
	v_cmp_gt_u32_e32 vcc_lo, s0, v37
	s_and_saveexec_b32 s0, vcc_lo
	s_cbranch_execz .LBB221_23
	s_branch .LBB221_52
.LBB221_45:                             ;   in Loop: Header=BB221_24 Depth=2
	v_and_b32_e32 v11, 0xff, v7
	s_delay_alu instid0(VALU_DEP_1) | instskip(NEXT) | instid1(VALU_DEP_1)
	v_lshrrev_b32_e32 v11, s30, v11
	v_and_b32_e32 v11, s31, v11
	s_delay_alu instid0(VALU_DEP_1) | instskip(SKIP_2) | instid1(SALU_CYCLE_1)
	v_lshl_or_b32 v11, v11, 4, v39
	ds_add_u32 v11, v61
	s_or_b32 exec_lo, exec_lo, s1
	s_mov_b32 s1, exec_lo
	v_cmpx_gt_u32_e64 s0, v29
	s_cbranch_execz .LBB221_39
.LBB221_46:                             ;   in Loop: Header=BB221_24 Depth=2
	v_and_b32_e32 v11, 0xff, v10
	s_delay_alu instid0(VALU_DEP_1) | instskip(NEXT) | instid1(VALU_DEP_1)
	v_lshrrev_b32_e32 v11, s30, v11
	v_and_b32_e32 v11, s31, v11
	s_delay_alu instid0(VALU_DEP_1) | instskip(SKIP_3) | instid1(SALU_CYCLE_1)
	v_lshl_or_b32 v11, v11, 4, v39
	ds_add_u32 v11, v61
	s_wait_alu 0xfffe
	s_or_b32 exec_lo, exec_lo, s1
	s_mov_b32 s1, exec_lo
	v_cmpx_gt_u32_e64 s0, v30
	s_cbranch_execz .LBB221_40
.LBB221_47:                             ;   in Loop: Header=BB221_24 Depth=2
	v_and_b32_e32 v11, 0xff, v9
	s_delay_alu instid0(VALU_DEP_1) | instskip(NEXT) | instid1(VALU_DEP_1)
	v_lshrrev_b32_e32 v11, s30, v11
	v_and_b32_e32 v11, s31, v11
	s_delay_alu instid0(VALU_DEP_1) | instskip(SKIP_3) | instid1(SALU_CYCLE_1)
	v_lshl_or_b32 v11, v11, 4, v39
	ds_add_u32 v11, v61
	s_wait_alu 0xfffe
	s_or_b32 exec_lo, exec_lo, s1
	s_mov_b32 s1, exec_lo
	v_cmpx_gt_u32_e64 s0, v31
	s_cbranch_execz .LBB221_41
.LBB221_48:                             ;   in Loop: Header=BB221_24 Depth=2
	v_and_b32_e32 v11, 0xff, v8
	s_delay_alu instid0(VALU_DEP_1) | instskip(NEXT) | instid1(VALU_DEP_1)
	v_lshrrev_b32_e32 v11, s30, v11
	v_and_b32_e32 v11, s31, v11
	s_delay_alu instid0(VALU_DEP_1) | instskip(SKIP_3) | instid1(SALU_CYCLE_1)
	v_lshl_or_b32 v11, v11, 4, v39
	ds_add_u32 v11, v61
	s_wait_alu 0xfffe
	s_or_b32 exec_lo, exec_lo, s1
	s_mov_b32 s1, exec_lo
	v_cmpx_gt_u32_e64 s0, v34
	s_cbranch_execz .LBB221_42
.LBB221_49:                             ;   in Loop: Header=BB221_24 Depth=2
	v_and_b32_e32 v11, 0xff, v6
	s_delay_alu instid0(VALU_DEP_1) | instskip(NEXT) | instid1(VALU_DEP_1)
	v_lshrrev_b32_e32 v11, s30, v11
	v_and_b32_e32 v11, s31, v11
	s_delay_alu instid0(VALU_DEP_1) | instskip(SKIP_3) | instid1(SALU_CYCLE_1)
	v_lshl_or_b32 v11, v11, 4, v39
	ds_add_u32 v11, v61
	s_wait_alu 0xfffe
	s_or_b32 exec_lo, exec_lo, s1
	s_mov_b32 s1, exec_lo
	v_cmpx_gt_u32_e64 s0, v35
	s_cbranch_execz .LBB221_43
.LBB221_50:                             ;   in Loop: Header=BB221_24 Depth=2
	v_and_b32_e32 v11, 0xff, v5
	s_delay_alu instid0(VALU_DEP_1) | instskip(NEXT) | instid1(VALU_DEP_1)
	v_lshrrev_b32_e32 v11, s30, v11
	v_and_b32_e32 v11, s31, v11
	s_delay_alu instid0(VALU_DEP_1) | instskip(SKIP_3) | instid1(SALU_CYCLE_1)
	v_lshl_or_b32 v11, v11, 4, v39
	ds_add_u32 v11, v61
	s_wait_alu 0xfffe
	s_or_b32 exec_lo, exec_lo, s1
	s_mov_b32 s1, exec_lo
	v_cmpx_gt_u32_e64 s0, v36
	s_cbranch_execz .LBB221_44
.LBB221_51:                             ;   in Loop: Header=BB221_24 Depth=2
	v_and_b32_e32 v11, 0xff, v4
	s_delay_alu instid0(VALU_DEP_1) | instskip(NEXT) | instid1(VALU_DEP_1)
	v_lshrrev_b32_e32 v11, s30, v11
	v_and_b32_e32 v11, s31, v11
	s_delay_alu instid0(VALU_DEP_1)
	v_lshl_or_b32 v11, v11, 4, v39
	ds_add_u32 v11, v61
	s_wait_alu 0xfffe
	s_or_b32 exec_lo, exec_lo, s1
	v_cmp_gt_u32_e32 vcc_lo, s0, v37
	s_and_saveexec_b32 s0, vcc_lo
	s_cbranch_execz .LBB221_23
.LBB221_52:                             ;   in Loop: Header=BB221_24 Depth=2
	v_and_b32_e32 v11, 0xff, v2
	s_delay_alu instid0(VALU_DEP_1) | instskip(NEXT) | instid1(VALU_DEP_1)
	v_lshrrev_b32_e32 v11, s30, v11
	v_and_b32_e32 v11, s31, v11
	s_delay_alu instid0(VALU_DEP_1)
	v_lshl_or_b32 v11, v11, 4, v39
	ds_add_u32 v11, v61
	s_branch .LBB221_23
.LBB221_53:                             ;   in Loop: Header=BB221_24 Depth=2
	s_wait_loadcnt 0x0
	s_wait_alu 0xfffe
	v_add_co_u32 v11, s12, s0, v1
	s_wait_alu 0xf1ff
	v_add_co_ci_u32_e64 v12, null, s1, 0, s12
	global_load_u8 v7, v[11:12], off
	s_or_b32 exec_lo, exec_lo, s11
	s_delay_alu instid0(SALU_CYCLE_1)
	s_mov_b32 s11, exec_lo
	v_cmpx_gt_u32_e64 s9, v29
	s_cbranch_execz .LBB221_29
.LBB221_54:                             ;   in Loop: Header=BB221_24 Depth=2
	v_add_co_u32 v10, s12, s0, v1
	s_wait_loadcnt 0x0
	s_wait_alu 0xf1ff
	v_add_co_ci_u32_e64 v11, null, s1, 0, s12
	global_load_u8 v10, v[10:11], off offset:256
	s_wait_alu 0xfffe
	s_or_b32 exec_lo, exec_lo, s11
	s_delay_alu instid0(SALU_CYCLE_1)
	s_mov_b32 s11, exec_lo
	v_cmpx_gt_u32_e64 s9, v30
	s_cbranch_execz .LBB221_30
.LBB221_55:                             ;   in Loop: Header=BB221_24 Depth=2
	s_wait_loadcnt 0x0
	v_add_co_u32 v11, s12, s0, v1
	s_wait_alu 0xf1ff
	v_add_co_ci_u32_e64 v12, null, s1, 0, s12
	global_load_u8 v9, v[11:12], off offset:512
	s_wait_alu 0xfffe
	s_or_b32 exec_lo, exec_lo, s11
	s_delay_alu instid0(SALU_CYCLE_1)
	s_mov_b32 s11, exec_lo
	v_cmpx_gt_u32_e64 s9, v31
	s_cbranch_execz .LBB221_31
.LBB221_56:                             ;   in Loop: Header=BB221_24 Depth=2
	s_wait_loadcnt 0x0
	v_add_co_u32 v11, s12, s0, v1
	s_wait_alu 0xf1ff
	v_add_co_ci_u32_e64 v12, null, s1, 0, s12
	global_load_u8 v8, v[11:12], off offset:768
	s_wait_alu 0xfffe
	s_or_b32 exec_lo, exec_lo, s11
	s_delay_alu instid0(SALU_CYCLE_1)
	s_mov_b32 s11, exec_lo
	v_cmpx_gt_u32_e64 s9, v34
	s_cbranch_execz .LBB221_32
.LBB221_57:                             ;   in Loop: Header=BB221_24 Depth=2
	s_wait_loadcnt 0x0
	v_add_co_u32 v11, s12, s0, v1
	s_wait_alu 0xf1ff
	v_add_co_ci_u32_e64 v12, null, s1, 0, s12
	global_load_u8 v6, v[11:12], off offset:1024
	s_wait_alu 0xfffe
	s_or_b32 exec_lo, exec_lo, s11
	s_delay_alu instid0(SALU_CYCLE_1)
	s_mov_b32 s11, exec_lo
	v_cmpx_gt_u32_e64 s9, v35
	s_cbranch_execz .LBB221_33
.LBB221_58:                             ;   in Loop: Header=BB221_24 Depth=2
	s_wait_loadcnt 0x0
	v_add_co_u32 v11, s12, s0, v1
	s_wait_alu 0xf1ff
	v_add_co_ci_u32_e64 v12, null, s1, 0, s12
	global_load_u8 v5, v[11:12], off offset:1280
	s_wait_alu 0xfffe
	s_or_b32 exec_lo, exec_lo, s11
	s_delay_alu instid0(SALU_CYCLE_1)
	s_mov_b32 s11, exec_lo
	v_cmpx_gt_u32_e64 s9, v36
	s_cbranch_execz .LBB221_34
.LBB221_59:                             ;   in Loop: Header=BB221_24 Depth=2
	s_wait_loadcnt 0x0
	v_add_co_u32 v11, s12, s0, v1
	s_wait_alu 0xf1ff
	v_add_co_ci_u32_e64 v12, null, s1, 0, s12
	global_load_u8 v4, v[11:12], off offset:1536
	s_wait_alu 0xfffe
	s_or_b32 exec_lo, exec_lo, s11
	s_delay_alu instid0(SALU_CYCLE_1)
	s_mov_b32 s11, exec_lo
	v_cmpx_gt_u32_e64 s9, v37
	s_cbranch_execnz .LBB221_35
	s_branch .LBB221_36
.LBB221_60:                             ;   in Loop: Header=BB221_20 Depth=1
	v_mov_b32_e32 v2, 0
	s_wait_dscnt 0x0
	s_barrier_signal -1
	s_barrier_wait -1
	global_inv scope:SCOPE_SE
	s_and_saveexec_b32 s0, s2
	s_cbranch_execz .LBB221_62
; %bb.61:                               ;   in Loop: Header=BB221_20 Depth=1
	ds_load_2addr_b64 v[4:7], v40 offset1:1
	s_wait_dscnt 0x0
	v_add_nc_u32_e32 v2, v5, v4
	s_delay_alu instid0(VALU_DEP_1)
	v_add3_u32 v2, v2, v6, v7
.LBB221_62:                             ;   in Loop: Header=BB221_20 Depth=1
	s_wait_alu 0xfffe
	s_or_b32 exec_lo, exec_lo, s0
	s_delay_alu instid0(VALU_DEP_1)
	v_mov_b32_dpp v4, v2 row_shr:1 row_mask:0xf bank_mask:0xf
	v_cmp_eq_u32_e64 s0, 0, v62
	v_cmp_lt_u32_e64 s1, 1, v62
	v_cmp_lt_u32_e64 s9, 3, v62
	;; [unrolled: 1-line block ×3, first 2 shown]
	v_cmp_eq_u32_e64 s11, 0, v64
	s_wait_alu 0xf1ff
	v_cndmask_b32_e64 v4, v4, 0, s0
	s_delay_alu instid0(VALU_DEP_1) | instskip(NEXT) | instid1(VALU_DEP_1)
	v_add_nc_u32_e32 v2, v4, v2
	v_mov_b32_dpp v4, v2 row_shr:2 row_mask:0xf bank_mask:0xf
	s_delay_alu instid0(VALU_DEP_1) | instskip(NEXT) | instid1(VALU_DEP_1)
	v_cndmask_b32_e64 v4, 0, v4, s1
	v_add_nc_u32_e32 v2, v2, v4
	s_delay_alu instid0(VALU_DEP_1) | instskip(NEXT) | instid1(VALU_DEP_1)
	v_mov_b32_dpp v4, v2 row_shr:4 row_mask:0xf bank_mask:0xf
	v_cndmask_b32_e64 v4, 0, v4, s9
	s_delay_alu instid0(VALU_DEP_1) | instskip(NEXT) | instid1(VALU_DEP_1)
	v_add_nc_u32_e32 v2, v2, v4
	v_mov_b32_dpp v4, v2 row_shr:8 row_mask:0xf bank_mask:0xf
	s_delay_alu instid0(VALU_DEP_1) | instskip(NEXT) | instid1(VALU_DEP_1)
	v_cndmask_b32_e64 v4, 0, v4, s10
	v_add_nc_u32_e32 v2, v2, v4
	ds_swizzle_b32 v4, v2 offset:swizzle(BROADCAST,32,15)
	s_wait_dscnt 0x0
	v_and_b32_e32 v4, v63, v4
	s_delay_alu instid0(VALU_DEP_1)
	v_add_nc_u32_e32 v2, v2, v4
	s_and_saveexec_b32 s12, s3
; %bb.63:                               ;   in Loop: Header=BB221_20 Depth=1
	ds_store_b32 v41, v2
; %bb.64:                               ;   in Loop: Header=BB221_20 Depth=1
	s_wait_alu 0xfffe
	s_or_b32 exec_lo, exec_lo, s12
	s_wait_loadcnt_dscnt 0x0
	s_barrier_signal -1
	s_barrier_wait -1
	global_inv scope:SCOPE_SE
	s_and_saveexec_b32 s12, s4
	s_cbranch_execz .LBB221_66
; %bb.65:                               ;   in Loop: Header=BB221_20 Depth=1
	ds_load_b32 v4, v42
	v_cmp_ne_u32_e32 vcc_lo, 0, v65
	s_wait_dscnt 0x0
	v_mov_b32_dpp v5, v4 row_shr:1 row_mask:0xf bank_mask:0xf
	s_wait_alu 0xfffd
	s_delay_alu instid0(VALU_DEP_1) | instskip(SKIP_1) | instid1(VALU_DEP_2)
	v_cndmask_b32_e32 v5, 0, v5, vcc_lo
	v_cmp_lt_u32_e32 vcc_lo, 1, v65
	v_add_nc_u32_e32 v4, v5, v4
	s_delay_alu instid0(VALU_DEP_1) | instskip(SKIP_1) | instid1(VALU_DEP_1)
	v_mov_b32_dpp v5, v4 row_shr:2 row_mask:0xf bank_mask:0xf
	s_wait_alu 0xfffd
	v_cndmask_b32_e32 v5, 0, v5, vcc_lo
	v_cmp_lt_u32_e32 vcc_lo, 3, v65
	s_delay_alu instid0(VALU_DEP_2) | instskip(NEXT) | instid1(VALU_DEP_1)
	v_add_nc_u32_e32 v4, v4, v5
	v_mov_b32_dpp v5, v4 row_shr:4 row_mask:0xf bank_mask:0xf
	s_wait_alu 0xfffd
	s_delay_alu instid0(VALU_DEP_1) | instskip(NEXT) | instid1(VALU_DEP_1)
	v_cndmask_b32_e32 v5, 0, v5, vcc_lo
	v_add_nc_u32_e32 v4, v4, v5
	ds_store_b32 v42, v4
.LBB221_66:                             ;   in Loop: Header=BB221_20 Depth=1
	s_wait_alu 0xfffe
	s_or_b32 exec_lo, exec_lo, s12
	v_mov_b32_e32 v4, 0
	s_wait_loadcnt_dscnt 0x0
	s_barrier_signal -1
	s_barrier_wait -1
	global_inv scope:SCOPE_SE
	s_and_saveexec_b32 s12, s5
; %bb.67:                               ;   in Loop: Header=BB221_20 Depth=1
	ds_load_b32 v4, v43
; %bb.68:                               ;   in Loop: Header=BB221_20 Depth=1
	s_wait_alu 0xfffe
	s_or_b32 exec_lo, exec_lo, s12
	v_cmp_gt_i32_e32 vcc_lo, 0, v67
	s_wait_dscnt 0x0
	v_add_nc_u32_e32 v2, v4, v2
	s_wait_loadcnt 0x0
	s_barrier_signal -1
	s_barrier_wait -1
	s_wait_alu 0xfffd
	v_cndmask_b32_e32 v5, v67, v58, vcc_lo
	global_inv scope:SCOPE_SE
	v_lshlrev_b32_e32 v80, 2, v5
	ds_bpermute_b32 v2, v80, v2
	s_and_saveexec_b32 s12, s2
	s_cbranch_execz .LBB221_70
; %bb.69:                               ;   in Loop: Header=BB221_20 Depth=1
	s_wait_dscnt 0x0
	v_cndmask_b32_e64 v2, v2, v4, s8
	s_delay_alu instid0(VALU_DEP_1)
	v_add_nc_u32_e32 v2, s33, v2
	ds_store_b32 v28, v2
.LBB221_70:                             ;   in Loop: Header=BB221_20 Depth=1
	s_wait_alu 0xfffe
	s_or_b32 exec_lo, exec_lo, s12
	s_clause 0x1
	s_load_b32 s12, s[28:29], 0x4
	s_load_b32 s14, s[28:29], 0xc
	s_mov_b32 s42, s47
                                        ; implicit-def: $vgpr6_vgpr7
                                        ; implicit-def: $vgpr8_vgpr9
                                        ; implicit-def: $vgpr10_vgpr11
                                        ; implicit-def: $vgpr12_vgpr13
                                        ; implicit-def: $vgpr14_vgpr15
                                        ; implicit-def: $vgpr16_vgpr17
                                        ; implicit-def: $vgpr18_vgpr19
                                        ; implicit-def: $vgpr82
                                        ; implicit-def: $vgpr83
                                        ; implicit-def: $vgpr84
                                        ; implicit-def: $vgpr85
                                        ; implicit-def: $vgpr86
                                        ; implicit-def: $vgpr87
                                        ; implicit-def: $vgpr88
                                        ; implicit-def: $vgpr89
	s_wait_kmcnt 0x0
	s_cmp_lt_u32 ttmp7, s12
	s_cselect_b32 s22, 14, 20
	s_wait_alu 0xfffe
	s_add_nc_u64 s[12:13], s[28:29], s[22:23]
	s_mov_b32 s22, s33
	s_load_u16 s12, s[12:13], 0x0
	v_cmp_lt_u32_e64 s13, 1, v65
	s_wait_dscnt 0x0
	s_wait_kmcnt 0x0
	v_mad_u32_u24 v2, v44, s12, v0
	s_and_b32 s12, s14, 0xffff
	v_cmp_lt_u32_e64 s14, 3, v65
	s_wait_alu 0xfffe
	s_delay_alu instid0(VALU_DEP_2) | instskip(SKIP_1) | instid1(VALU_DEP_2)
	v_mad_co_u64_u32 v[4:5], null, v2, s12, v[1:2]
	v_cmp_eq_u32_e64 s12, 0, v65
	v_lshrrev_b32_e32 v2, 3, v4
                                        ; implicit-def: $vgpr4_vgpr5
	s_delay_alu instid0(VALU_DEP_1)
	v_and_b32_e32 v81, 0x1ffffffc, v2
	s_branch .LBB221_72
.LBB221_71:                             ;   in Loop: Header=BB221_72 Depth=2
	s_wait_alu 0xfffe
	s_or_b32 exec_lo, exec_lo, s15
	s_addk_co_i32 s42, 0xf800
	s_cmp_lt_u32 s43, s34
	s_mov_b32 s22, s43
	s_cbranch_scc0 .LBB221_184
.LBB221_72:                             ;   Parent Loop BB221_20 Depth=1
                                        ; =>  This Inner Loop Header: Depth=2
	s_wait_alu 0xfffe
	s_add_co_i32 s43, s22, 0x800
	s_wait_alu 0xfffe
	s_cmp_gt_u32 s43, s34
	s_cbranch_scc1 .LBB221_74
; %bb.73:                               ;   in Loop: Header=BB221_72 Depth=2
	v_add_co_u32 v20, vcc_lo, v78, s22
	s_wait_alu 0xfffd
	v_add_co_ci_u32_e64 v21, null, 0, v79, vcc_lo
	s_mov_b32 s15, -1
	s_clause 0x6
	global_load_u8 v90, v[20:21], off
	global_load_u8 v91, v[20:21], off offset:32
	global_load_u8 v92, v[20:21], off offset:64
	;; [unrolled: 1-line block ×6, first 2 shown]
	s_movk_i32 s16, 0x800
	s_cbranch_execz .LBB221_75
	s_branch .LBB221_90
.LBB221_74:                             ;   in Loop: Header=BB221_72 Depth=2
	s_mov_b32 s15, 0
                                        ; implicit-def: $vgpr90
                                        ; implicit-def: $vgpr91
                                        ; implicit-def: $vgpr92
                                        ; implicit-def: $vgpr93
                                        ; implicit-def: $vgpr94
                                        ; implicit-def: $vgpr95
                                        ; implicit-def: $vgpr96
	s_movk_i32 s16, 0x800
.LBB221_75:                             ;   in Loop: Header=BB221_72 Depth=2
	v_add_co_u32 v20, vcc_lo, v78, s22
	s_wait_alu 0xfffd
	v_add_co_ci_u32_e64 v21, null, 0, v79, vcc_lo
	s_wait_loadcnt 0x5
	v_dual_mov_b32 v91, 0xff :: v_dual_mov_b32 v90, 0xff
	s_mov_b32 s15, exec_lo
	v_cmpx_gt_u32_e64 s42, v68
	s_cbranch_execz .LBB221_77
; %bb.76:                               ;   in Loop: Header=BB221_72 Depth=2
	global_load_u8 v90, v[20:21], off
.LBB221_77:                             ;   in Loop: Header=BB221_72 Depth=2
	s_wait_alu 0xfffe
	s_or_b32 exec_lo, exec_lo, s15
	s_delay_alu instid0(SALU_CYCLE_1)
	s_mov_b32 s15, exec_lo
	v_cmpx_gt_u32_e64 s42, v71
	s_cbranch_execz .LBB221_79
; %bb.78:                               ;   in Loop: Header=BB221_72 Depth=2
	global_load_u8 v91, v[20:21], off offset:32
.LBB221_79:                             ;   in Loop: Header=BB221_72 Depth=2
	s_wait_alu 0xfffe
	s_or_b32 exec_lo, exec_lo, s15
	s_wait_loadcnt 0x3
	v_dual_mov_b32 v93, 0xff :: v_dual_mov_b32 v92, 0xff
	s_mov_b32 s15, exec_lo
	v_cmpx_gt_u32_e64 s42, v72
	s_cbranch_execz .LBB221_81
; %bb.80:                               ;   in Loop: Header=BB221_72 Depth=2
	global_load_u8 v92, v[20:21], off offset:64
.LBB221_81:                             ;   in Loop: Header=BB221_72 Depth=2
	s_wait_alu 0xfffe
	s_or_b32 exec_lo, exec_lo, s15
	s_delay_alu instid0(SALU_CYCLE_1)
	s_mov_b32 s15, exec_lo
	v_cmpx_gt_u32_e64 s42, v73
	s_cbranch_execz .LBB221_83
; %bb.82:                               ;   in Loop: Header=BB221_72 Depth=2
	global_load_u8 v93, v[20:21], off offset:96
.LBB221_83:                             ;   in Loop: Header=BB221_72 Depth=2
	s_wait_alu 0xfffe
	s_or_b32 exec_lo, exec_lo, s15
	s_wait_loadcnt 0x1
	v_dual_mov_b32 v95, 0xff :: v_dual_mov_b32 v94, 0xff
	s_mov_b32 s15, exec_lo
	v_cmpx_gt_u32_e64 s42, v74
	s_cbranch_execz .LBB221_85
; %bb.84:                               ;   in Loop: Header=BB221_72 Depth=2
	global_load_u8 v94, v[20:21], off offset:128
.LBB221_85:                             ;   in Loop: Header=BB221_72 Depth=2
	s_wait_alu 0xfffe
	s_or_b32 exec_lo, exec_lo, s15
	s_delay_alu instid0(SALU_CYCLE_1)
	s_mov_b32 s15, exec_lo
	v_cmpx_gt_u32_e64 s42, v75
	s_cbranch_execz .LBB221_87
; %bb.86:                               ;   in Loop: Header=BB221_72 Depth=2
	global_load_u8 v95, v[20:21], off offset:160
.LBB221_87:                             ;   in Loop: Header=BB221_72 Depth=2
	s_wait_alu 0xfffe
	s_or_b32 exec_lo, exec_lo, s15
	s_wait_loadcnt 0x0
	v_mov_b32_e32 v96, 0xff
	s_mov_b32 s15, exec_lo
	v_cmpx_gt_u32_e64 s42, v76
	s_cbranch_execz .LBB221_89
; %bb.88:                               ;   in Loop: Header=BB221_72 Depth=2
	global_load_u8 v96, v[20:21], off offset:192
.LBB221_89:                             ;   in Loop: Header=BB221_72 Depth=2
	s_wait_alu 0xfffe
	s_or_b32 exec_lo, exec_lo, s15
	v_cmp_gt_u32_e64 s15, s42, v77
	s_sub_co_i32 s16, s34, s22
.LBB221_90:                             ;   in Loop: Header=BB221_72 Depth=2
	v_dual_mov_b32 v97, 0xff :: v_dual_mov_b32 v2, s42
	s_wait_alu 0xfffe
	s_and_saveexec_b32 s17, s15
	s_cbranch_execz .LBB221_92
; %bb.91:                               ;   in Loop: Header=BB221_72 Depth=2
	v_add_co_u32 v20, vcc_lo, v78, s22
	s_wait_alu 0xfffd
	v_add_co_ci_u32_e64 v21, null, s23, v79, vcc_lo
	v_mov_b32_e32 v2, s16
	global_load_u8 v97, v[20:21], off offset:224
.LBB221_92:                             ;   in Loop: Header=BB221_72 Depth=2
	s_wait_alu 0xfffe
	s_or_b32 exec_lo, exec_lo, s17
	s_wait_loadcnt 0x6
	v_and_b32_e32 v20, 0xff, v90
	v_add_nc_u32_e32 v100, 0x420, v45
	v_add_nc_u32_e32 v101, 0x428, v45
	;; [unrolled: 1-line block ×3, first 2 shown]
	s_delay_alu instid0(VALU_DEP_4) | instskip(NEXT) | instid1(VALU_DEP_1)
	v_lshrrev_b32_e32 v20, s30, v20
	v_and_b32_e32 v21, s31, v20
	s_delay_alu instid0(VALU_DEP_1)
	v_and_b32_e32 v20, 1, v21
	v_lshlrev_b32_e32 v22, 30, v21
	v_lshlrev_b32_e32 v23, 29, v21
	;; [unrolled: 1-line block ×4, first 2 shown]
	v_add_co_u32 v20, s15, v20, -1
	s_wait_alu 0xf1ff
	v_cndmask_b32_e64 v25, 0, 1, s15
	v_not_b32_e32 v99, v22
	v_cmp_gt_i32_e64 s15, 0, v22
	v_not_b32_e32 v22, v23
	v_lshlrev_b32_e32 v27, 26, v21
	v_cmp_ne_u32_e32 vcc_lo, 0, v25
	v_ashrrev_i32_e32 v99, 31, v99
	v_lshlrev_b32_e32 v98, 25, v21
	v_ashrrev_i32_e32 v22, 31, v22
	v_lshlrev_b32_e32 v25, 24, v21
	s_wait_alu 0xfffd
	v_xor_b32_e32 v20, vcc_lo, v20
	v_cmp_gt_i32_e32 vcc_lo, 0, v23
	v_not_b32_e32 v23, v24
	s_wait_alu 0xf1ff
	v_xor_b32_e32 v99, s15, v99
	v_cmp_gt_i32_e64 s15, 0, v24
	v_and_b32_e32 v20, exec_lo, v20
	v_not_b32_e32 v24, v26
	v_ashrrev_i32_e32 v23, 31, v23
	s_wait_alu 0xfffd
	v_xor_b32_e32 v22, vcc_lo, v22
	v_cmp_gt_i32_e32 vcc_lo, 0, v26
	v_and_b32_e32 v20, v20, v99
	v_not_b32_e32 v26, v27
	v_ashrrev_i32_e32 v24, 31, v24
	s_wait_alu 0xf1ff
	v_xor_b32_e32 v23, s15, v23
	v_cmp_gt_i32_e64 s15, 0, v27
	v_and_b32_e32 v20, v20, v22
	v_not_b32_e32 v22, v98
	v_ashrrev_i32_e32 v26, 31, v26
	s_wait_alu 0xfffd
	v_xor_b32_e32 v24, vcc_lo, v24
	v_cmp_gt_i32_e32 vcc_lo, 0, v98
	v_and_b32_e32 v20, v20, v23
	v_not_b32_e32 v23, v25
	v_ashrrev_i32_e32 v22, 31, v22
	s_wait_alu 0xf1ff
	v_xor_b32_e32 v26, s15, v26
	v_cmp_gt_i32_e64 s15, 0, v25
	v_and_b32_e32 v20, v20, v24
	v_ashrrev_i32_e32 v23, 31, v23
	s_wait_alu 0xfffd
	v_xor_b32_e32 v22, vcc_lo, v22
	v_mul_u32_u24_e32 v21, 36, v21
	v_add_nc_u32_e32 v99, 0x438, v45
	v_and_b32_e32 v20, v20, v26
	s_wait_alu 0xf1ff
	v_xor_b32_e32 v23, s15, v23
	v_add_nc_u32_e32 v103, v81, v21
	ds_store_2addr_b32 v99, v3, v3 offset1:1
	v_and_b32_e32 v20, v20, v22
	ds_store_2addr_b32 v100, v3, v3 offset1:1
	ds_store_2addr_b32 v101, v3, v3 offset1:1
	;; [unrolled: 1-line block ×3, first 2 shown]
	ds_store_b32 v45, v3 offset:1088
	s_wait_loadcnt_dscnt 0x0
	s_barrier_signal -1
	s_barrier_wait -1
	v_and_b32_e32 v20, v20, v23
	global_inv scope:SCOPE_SE
	; wave barrier
	v_mbcnt_lo_u32_b32 v98, v20, 0
	v_cmp_ne_u32_e64 s15, 0, v20
	s_delay_alu instid0(VALU_DEP_2)
	v_cmp_eq_u32_e32 vcc_lo, 0, v98
	s_and_b32 s16, s15, vcc_lo
	s_wait_alu 0xfffe
	s_and_saveexec_b32 s15, s16
; %bb.93:                               ;   in Loop: Header=BB221_72 Depth=2
	v_bcnt_u32_b32 v20, v20, 0
	ds_store_b32 v103, v20 offset:1056
; %bb.94:                               ;   in Loop: Header=BB221_72 Depth=2
	s_wait_alu 0xfffe
	s_or_b32 exec_lo, exec_lo, s15
	v_and_b32_e32 v20, 0xff, v91
	; wave barrier
	s_delay_alu instid0(VALU_DEP_1) | instskip(NEXT) | instid1(VALU_DEP_1)
	v_lshrrev_b32_e32 v20, s30, v20
	v_and_b32_e32 v21, s31, v20
	s_delay_alu instid0(VALU_DEP_1)
	v_and_b32_e32 v20, 1, v21
	v_lshlrev_b32_e32 v22, 30, v21
	v_lshlrev_b32_e32 v23, 29, v21
	v_lshlrev_b32_e32 v24, 28, v21
	v_lshlrev_b32_e32 v26, 27, v21
	v_add_co_u32 v20, s15, v20, -1
	s_wait_alu 0xf1ff
	v_cndmask_b32_e64 v25, 0, 1, s15
	v_not_b32_e32 v105, v22
	v_cmp_gt_i32_e64 s15, 0, v22
	v_not_b32_e32 v22, v23
	v_lshlrev_b32_e32 v27, 26, v21
	v_cmp_ne_u32_e32 vcc_lo, 0, v25
	v_ashrrev_i32_e32 v105, 31, v105
	v_lshlrev_b32_e32 v104, 25, v21
	v_ashrrev_i32_e32 v22, 31, v22
	v_lshlrev_b32_e32 v25, 24, v21
	s_wait_alu 0xfffd
	v_xor_b32_e32 v20, vcc_lo, v20
	v_cmp_gt_i32_e32 vcc_lo, 0, v23
	v_not_b32_e32 v23, v24
	s_wait_alu 0xf1ff
	v_xor_b32_e32 v105, s15, v105
	v_cmp_gt_i32_e64 s15, 0, v24
	v_and_b32_e32 v20, exec_lo, v20
	v_not_b32_e32 v24, v26
	v_ashrrev_i32_e32 v23, 31, v23
	s_wait_alu 0xfffd
	v_xor_b32_e32 v22, vcc_lo, v22
	v_cmp_gt_i32_e32 vcc_lo, 0, v26
	v_and_b32_e32 v20, v20, v105
	v_not_b32_e32 v26, v27
	v_ashrrev_i32_e32 v24, 31, v24
	s_wait_alu 0xf1ff
	v_xor_b32_e32 v23, s15, v23
	v_cmp_gt_i32_e64 s15, 0, v27
	v_and_b32_e32 v20, v20, v22
	v_not_b32_e32 v22, v104
	v_ashrrev_i32_e32 v26, 31, v26
	s_wait_alu 0xfffd
	v_xor_b32_e32 v24, vcc_lo, v24
	v_cmp_gt_i32_e32 vcc_lo, 0, v104
	v_and_b32_e32 v20, v20, v23
	v_not_b32_e32 v23, v25
	v_ashrrev_i32_e32 v22, 31, v22
	s_wait_alu 0xf1ff
	v_xor_b32_e32 v26, s15, v26
	v_cmp_gt_i32_e64 s15, 0, v25
	v_and_b32_e32 v20, v20, v24
	v_ashrrev_i32_e32 v23, 31, v23
	s_wait_alu 0xfffd
	v_xor_b32_e32 v22, vcc_lo, v22
	v_mad_u32_u24 v24, v21, 36, v81
	v_mul_u32_u24_e32 v21, 36, v21
	v_and_b32_e32 v20, v20, v26
	s_wait_alu 0xf1ff
	v_xor_b32_e32 v23, s15, v23
	ds_load_b32 v104, v24 offset:1056
	v_add_nc_u32_e32 v106, v81, v21
	v_and_b32_e32 v20, v20, v22
	; wave barrier
	s_delay_alu instid0(VALU_DEP_1) | instskip(NEXT) | instid1(VALU_DEP_1)
	v_and_b32_e32 v20, v20, v23
	v_mbcnt_lo_u32_b32 v105, v20, 0
	v_cmp_ne_u32_e64 s15, 0, v20
	s_delay_alu instid0(VALU_DEP_2)
	v_cmp_eq_u32_e32 vcc_lo, 0, v105
	s_and_b32 s16, s15, vcc_lo
	s_wait_alu 0xfffe
	s_and_saveexec_b32 s15, s16
	s_cbranch_execz .LBB221_96
; %bb.95:                               ;   in Loop: Header=BB221_72 Depth=2
	s_wait_dscnt 0x0
	v_bcnt_u32_b32 v20, v20, v104
	ds_store_b32 v106, v20 offset:1056
.LBB221_96:                             ;   in Loop: Header=BB221_72 Depth=2
	s_wait_alu 0xfffe
	s_or_b32 exec_lo, exec_lo, s15
	v_and_b32_e32 v20, 0xff, v92
	; wave barrier
	s_delay_alu instid0(VALU_DEP_1) | instskip(NEXT) | instid1(VALU_DEP_1)
	v_lshrrev_b32_e32 v20, s30, v20
	v_and_b32_e32 v21, s31, v20
	s_delay_alu instid0(VALU_DEP_1)
	v_and_b32_e32 v20, 1, v21
	v_lshlrev_b32_e32 v22, 30, v21
	v_lshlrev_b32_e32 v23, 29, v21
	;; [unrolled: 1-line block ×4, first 2 shown]
	v_add_co_u32 v20, s15, v20, -1
	s_wait_alu 0xf1ff
	v_cndmask_b32_e64 v25, 0, 1, s15
	v_not_b32_e32 v108, v22
	v_cmp_gt_i32_e64 s15, 0, v22
	v_not_b32_e32 v22, v23
	v_lshlrev_b32_e32 v27, 26, v21
	v_cmp_ne_u32_e32 vcc_lo, 0, v25
	v_ashrrev_i32_e32 v108, 31, v108
	v_lshlrev_b32_e32 v107, 25, v21
	v_ashrrev_i32_e32 v22, 31, v22
	v_lshlrev_b32_e32 v25, 24, v21
	s_wait_alu 0xfffd
	v_xor_b32_e32 v20, vcc_lo, v20
	v_cmp_gt_i32_e32 vcc_lo, 0, v23
	v_not_b32_e32 v23, v24
	s_wait_alu 0xf1ff
	v_xor_b32_e32 v108, s15, v108
	v_cmp_gt_i32_e64 s15, 0, v24
	v_and_b32_e32 v20, exec_lo, v20
	v_not_b32_e32 v24, v26
	v_ashrrev_i32_e32 v23, 31, v23
	s_wait_alu 0xfffd
	v_xor_b32_e32 v22, vcc_lo, v22
	v_cmp_gt_i32_e32 vcc_lo, 0, v26
	v_and_b32_e32 v20, v20, v108
	v_not_b32_e32 v26, v27
	v_ashrrev_i32_e32 v24, 31, v24
	s_wait_alu 0xf1ff
	v_xor_b32_e32 v23, s15, v23
	v_cmp_gt_i32_e64 s15, 0, v27
	v_and_b32_e32 v20, v20, v22
	v_not_b32_e32 v22, v107
	v_ashrrev_i32_e32 v26, 31, v26
	s_wait_alu 0xfffd
	v_xor_b32_e32 v24, vcc_lo, v24
	v_cmp_gt_i32_e32 vcc_lo, 0, v107
	v_and_b32_e32 v20, v20, v23
	v_not_b32_e32 v23, v25
	v_ashrrev_i32_e32 v22, 31, v22
	s_wait_alu 0xf1ff
	v_xor_b32_e32 v26, s15, v26
	v_cmp_gt_i32_e64 s15, 0, v25
	v_and_b32_e32 v20, v20, v24
	v_ashrrev_i32_e32 v23, 31, v23
	s_wait_alu 0xfffd
	v_xor_b32_e32 v22, vcc_lo, v22
	v_mad_u32_u24 v24, v21, 36, v81
	v_mul_u32_u24_e32 v21, 36, v21
	v_and_b32_e32 v20, v20, v26
	s_wait_alu 0xf1ff
	v_xor_b32_e32 v23, s15, v23
	ds_load_b32 v107, v24 offset:1056
	v_add_nc_u32_e32 v109, v81, v21
	v_and_b32_e32 v20, v20, v22
	; wave barrier
	s_delay_alu instid0(VALU_DEP_1) | instskip(NEXT) | instid1(VALU_DEP_1)
	v_and_b32_e32 v20, v20, v23
	v_mbcnt_lo_u32_b32 v108, v20, 0
	v_cmp_ne_u32_e64 s15, 0, v20
	s_delay_alu instid0(VALU_DEP_2)
	v_cmp_eq_u32_e32 vcc_lo, 0, v108
	s_and_b32 s16, s15, vcc_lo
	s_wait_alu 0xfffe
	s_and_saveexec_b32 s15, s16
	s_cbranch_execz .LBB221_98
; %bb.97:                               ;   in Loop: Header=BB221_72 Depth=2
	s_wait_dscnt 0x0
	v_bcnt_u32_b32 v20, v20, v107
	ds_store_b32 v109, v20 offset:1056
.LBB221_98:                             ;   in Loop: Header=BB221_72 Depth=2
	s_wait_alu 0xfffe
	s_or_b32 exec_lo, exec_lo, s15
	v_and_b32_e32 v20, 0xff, v93
	; wave barrier
	s_delay_alu instid0(VALU_DEP_1) | instskip(NEXT) | instid1(VALU_DEP_1)
	v_lshrrev_b32_e32 v20, s30, v20
	v_and_b32_e32 v21, s31, v20
	s_delay_alu instid0(VALU_DEP_1)
	v_and_b32_e32 v20, 1, v21
	v_lshlrev_b32_e32 v22, 30, v21
	v_lshlrev_b32_e32 v23, 29, v21
	;; [unrolled: 1-line block ×4, first 2 shown]
	v_add_co_u32 v20, s15, v20, -1
	s_wait_alu 0xf1ff
	v_cndmask_b32_e64 v25, 0, 1, s15
	v_not_b32_e32 v111, v22
	v_cmp_gt_i32_e64 s15, 0, v22
	v_not_b32_e32 v22, v23
	v_lshlrev_b32_e32 v27, 26, v21
	v_cmp_ne_u32_e32 vcc_lo, 0, v25
	v_ashrrev_i32_e32 v111, 31, v111
	v_lshlrev_b32_e32 v110, 25, v21
	v_ashrrev_i32_e32 v22, 31, v22
	v_lshlrev_b32_e32 v25, 24, v21
	s_wait_alu 0xfffd
	v_xor_b32_e32 v20, vcc_lo, v20
	v_cmp_gt_i32_e32 vcc_lo, 0, v23
	v_not_b32_e32 v23, v24
	s_wait_alu 0xf1ff
	v_xor_b32_e32 v111, s15, v111
	v_cmp_gt_i32_e64 s15, 0, v24
	v_and_b32_e32 v20, exec_lo, v20
	v_not_b32_e32 v24, v26
	v_ashrrev_i32_e32 v23, 31, v23
	s_wait_alu 0xfffd
	v_xor_b32_e32 v22, vcc_lo, v22
	v_cmp_gt_i32_e32 vcc_lo, 0, v26
	v_and_b32_e32 v20, v20, v111
	v_not_b32_e32 v26, v27
	v_ashrrev_i32_e32 v24, 31, v24
	s_wait_alu 0xf1ff
	v_xor_b32_e32 v23, s15, v23
	v_cmp_gt_i32_e64 s15, 0, v27
	v_and_b32_e32 v20, v20, v22
	v_not_b32_e32 v22, v110
	v_ashrrev_i32_e32 v26, 31, v26
	s_wait_alu 0xfffd
	v_xor_b32_e32 v24, vcc_lo, v24
	v_cmp_gt_i32_e32 vcc_lo, 0, v110
	v_and_b32_e32 v20, v20, v23
	v_not_b32_e32 v23, v25
	v_ashrrev_i32_e32 v22, 31, v22
	s_wait_alu 0xf1ff
	v_xor_b32_e32 v26, s15, v26
	v_cmp_gt_i32_e64 s15, 0, v25
	v_and_b32_e32 v20, v20, v24
	v_ashrrev_i32_e32 v23, 31, v23
	s_wait_alu 0xfffd
	v_xor_b32_e32 v22, vcc_lo, v22
	v_mad_u32_u24 v24, v21, 36, v81
	v_mul_u32_u24_e32 v21, 36, v21
	v_and_b32_e32 v20, v20, v26
	s_wait_alu 0xf1ff
	v_xor_b32_e32 v23, s15, v23
	ds_load_b32 v110, v24 offset:1056
	v_add_nc_u32_e32 v112, v81, v21
	v_and_b32_e32 v20, v20, v22
	; wave barrier
	s_delay_alu instid0(VALU_DEP_1) | instskip(NEXT) | instid1(VALU_DEP_1)
	v_and_b32_e32 v20, v20, v23
	v_mbcnt_lo_u32_b32 v111, v20, 0
	v_cmp_ne_u32_e64 s15, 0, v20
	s_delay_alu instid0(VALU_DEP_2)
	v_cmp_eq_u32_e32 vcc_lo, 0, v111
	s_and_b32 s16, s15, vcc_lo
	s_wait_alu 0xfffe
	s_and_saveexec_b32 s15, s16
	s_cbranch_execz .LBB221_100
; %bb.99:                               ;   in Loop: Header=BB221_72 Depth=2
	s_wait_dscnt 0x0
	v_bcnt_u32_b32 v20, v20, v110
	ds_store_b32 v112, v20 offset:1056
.LBB221_100:                            ;   in Loop: Header=BB221_72 Depth=2
	s_wait_alu 0xfffe
	s_or_b32 exec_lo, exec_lo, s15
	v_and_b32_e32 v20, 0xff, v94
	; wave barrier
	s_delay_alu instid0(VALU_DEP_1) | instskip(NEXT) | instid1(VALU_DEP_1)
	v_lshrrev_b32_e32 v20, s30, v20
	v_and_b32_e32 v21, s31, v20
	s_delay_alu instid0(VALU_DEP_1)
	v_and_b32_e32 v20, 1, v21
	v_lshlrev_b32_e32 v22, 30, v21
	v_lshlrev_b32_e32 v23, 29, v21
	;; [unrolled: 1-line block ×4, first 2 shown]
	v_add_co_u32 v20, s15, v20, -1
	s_wait_alu 0xf1ff
	v_cndmask_b32_e64 v25, 0, 1, s15
	v_not_b32_e32 v114, v22
	v_cmp_gt_i32_e64 s15, 0, v22
	v_not_b32_e32 v22, v23
	v_lshlrev_b32_e32 v27, 26, v21
	v_cmp_ne_u32_e32 vcc_lo, 0, v25
	v_ashrrev_i32_e32 v114, 31, v114
	v_lshlrev_b32_e32 v113, 25, v21
	v_ashrrev_i32_e32 v22, 31, v22
	v_lshlrev_b32_e32 v25, 24, v21
	s_wait_alu 0xfffd
	v_xor_b32_e32 v20, vcc_lo, v20
	v_cmp_gt_i32_e32 vcc_lo, 0, v23
	v_not_b32_e32 v23, v24
	s_wait_alu 0xf1ff
	v_xor_b32_e32 v114, s15, v114
	v_cmp_gt_i32_e64 s15, 0, v24
	v_and_b32_e32 v20, exec_lo, v20
	v_not_b32_e32 v24, v26
	v_ashrrev_i32_e32 v23, 31, v23
	s_wait_alu 0xfffd
	v_xor_b32_e32 v22, vcc_lo, v22
	v_cmp_gt_i32_e32 vcc_lo, 0, v26
	v_and_b32_e32 v20, v20, v114
	v_not_b32_e32 v26, v27
	v_ashrrev_i32_e32 v24, 31, v24
	s_wait_alu 0xf1ff
	v_xor_b32_e32 v23, s15, v23
	v_cmp_gt_i32_e64 s15, 0, v27
	v_and_b32_e32 v20, v20, v22
	v_not_b32_e32 v22, v113
	v_ashrrev_i32_e32 v26, 31, v26
	s_wait_alu 0xfffd
	v_xor_b32_e32 v24, vcc_lo, v24
	v_cmp_gt_i32_e32 vcc_lo, 0, v113
	v_and_b32_e32 v20, v20, v23
	v_not_b32_e32 v23, v25
	v_ashrrev_i32_e32 v22, 31, v22
	s_wait_alu 0xf1ff
	v_xor_b32_e32 v26, s15, v26
	v_cmp_gt_i32_e64 s15, 0, v25
	v_and_b32_e32 v20, v20, v24
	v_ashrrev_i32_e32 v23, 31, v23
	s_wait_alu 0xfffd
	v_xor_b32_e32 v22, vcc_lo, v22
	v_mad_u32_u24 v24, v21, 36, v81
	v_mul_u32_u24_e32 v21, 36, v21
	v_and_b32_e32 v20, v20, v26
	s_wait_alu 0xf1ff
	v_xor_b32_e32 v23, s15, v23
	ds_load_b32 v113, v24 offset:1056
	v_add_nc_u32_e32 v115, v81, v21
	v_and_b32_e32 v20, v20, v22
	; wave barrier
	s_delay_alu instid0(VALU_DEP_1) | instskip(NEXT) | instid1(VALU_DEP_1)
	v_and_b32_e32 v20, v20, v23
	v_mbcnt_lo_u32_b32 v114, v20, 0
	v_cmp_ne_u32_e64 s15, 0, v20
	s_delay_alu instid0(VALU_DEP_2)
	v_cmp_eq_u32_e32 vcc_lo, 0, v114
	s_and_b32 s16, s15, vcc_lo
	s_wait_alu 0xfffe
	s_and_saveexec_b32 s15, s16
	s_cbranch_execz .LBB221_102
; %bb.101:                              ;   in Loop: Header=BB221_72 Depth=2
	s_wait_dscnt 0x0
	v_bcnt_u32_b32 v20, v20, v113
	ds_store_b32 v115, v20 offset:1056
.LBB221_102:                            ;   in Loop: Header=BB221_72 Depth=2
	s_wait_alu 0xfffe
	s_or_b32 exec_lo, exec_lo, s15
	v_and_b32_e32 v20, 0xff, v95
	; wave barrier
	s_delay_alu instid0(VALU_DEP_1) | instskip(NEXT) | instid1(VALU_DEP_1)
	v_lshrrev_b32_e32 v20, s30, v20
	v_and_b32_e32 v21, s31, v20
	s_delay_alu instid0(VALU_DEP_1)
	v_and_b32_e32 v20, 1, v21
	v_lshlrev_b32_e32 v22, 30, v21
	v_lshlrev_b32_e32 v23, 29, v21
	;; [unrolled: 1-line block ×4, first 2 shown]
	v_add_co_u32 v20, s15, v20, -1
	s_wait_alu 0xf1ff
	v_cndmask_b32_e64 v25, 0, 1, s15
	v_not_b32_e32 v117, v22
	v_cmp_gt_i32_e64 s15, 0, v22
	v_not_b32_e32 v22, v23
	v_lshlrev_b32_e32 v27, 26, v21
	v_cmp_ne_u32_e32 vcc_lo, 0, v25
	v_ashrrev_i32_e32 v117, 31, v117
	v_lshlrev_b32_e32 v116, 25, v21
	v_ashrrev_i32_e32 v22, 31, v22
	v_lshlrev_b32_e32 v25, 24, v21
	s_wait_alu 0xfffd
	v_xor_b32_e32 v20, vcc_lo, v20
	v_cmp_gt_i32_e32 vcc_lo, 0, v23
	v_not_b32_e32 v23, v24
	s_wait_alu 0xf1ff
	v_xor_b32_e32 v117, s15, v117
	v_cmp_gt_i32_e64 s15, 0, v24
	v_and_b32_e32 v20, exec_lo, v20
	v_not_b32_e32 v24, v26
	v_ashrrev_i32_e32 v23, 31, v23
	s_wait_alu 0xfffd
	v_xor_b32_e32 v22, vcc_lo, v22
	v_cmp_gt_i32_e32 vcc_lo, 0, v26
	v_and_b32_e32 v20, v20, v117
	v_not_b32_e32 v26, v27
	v_ashrrev_i32_e32 v24, 31, v24
	s_wait_alu 0xf1ff
	v_xor_b32_e32 v23, s15, v23
	v_cmp_gt_i32_e64 s15, 0, v27
	v_and_b32_e32 v20, v20, v22
	v_not_b32_e32 v22, v116
	v_ashrrev_i32_e32 v26, 31, v26
	s_wait_alu 0xfffd
	v_xor_b32_e32 v24, vcc_lo, v24
	v_cmp_gt_i32_e32 vcc_lo, 0, v116
	v_and_b32_e32 v20, v20, v23
	v_not_b32_e32 v23, v25
	v_ashrrev_i32_e32 v22, 31, v22
	s_wait_alu 0xf1ff
	v_xor_b32_e32 v26, s15, v26
	v_cmp_gt_i32_e64 s15, 0, v25
	v_and_b32_e32 v20, v20, v24
	v_ashrrev_i32_e32 v23, 31, v23
	s_wait_alu 0xfffd
	v_xor_b32_e32 v22, vcc_lo, v22
	v_mad_u32_u24 v24, v21, 36, v81
	v_mul_u32_u24_e32 v21, 36, v21
	v_and_b32_e32 v20, v20, v26
	s_wait_alu 0xf1ff
	v_xor_b32_e32 v23, s15, v23
	ds_load_b32 v116, v24 offset:1056
	v_add_nc_u32_e32 v118, v81, v21
	v_and_b32_e32 v20, v20, v22
	; wave barrier
	s_delay_alu instid0(VALU_DEP_1) | instskip(NEXT) | instid1(VALU_DEP_1)
	v_and_b32_e32 v20, v20, v23
	v_mbcnt_lo_u32_b32 v117, v20, 0
	v_cmp_ne_u32_e64 s15, 0, v20
	s_delay_alu instid0(VALU_DEP_2)
	v_cmp_eq_u32_e32 vcc_lo, 0, v117
	s_and_b32 s16, s15, vcc_lo
	s_wait_alu 0xfffe
	s_and_saveexec_b32 s15, s16
	s_cbranch_execz .LBB221_104
; %bb.103:                              ;   in Loop: Header=BB221_72 Depth=2
	s_wait_dscnt 0x0
	v_bcnt_u32_b32 v20, v20, v116
	ds_store_b32 v118, v20 offset:1056
.LBB221_104:                            ;   in Loop: Header=BB221_72 Depth=2
	s_wait_alu 0xfffe
	s_or_b32 exec_lo, exec_lo, s15
	v_and_b32_e32 v20, 0xff, v96
	; wave barrier
	s_delay_alu instid0(VALU_DEP_1) | instskip(NEXT) | instid1(VALU_DEP_1)
	v_lshrrev_b32_e32 v20, s30, v20
	v_and_b32_e32 v21, s31, v20
	s_delay_alu instid0(VALU_DEP_1)
	v_and_b32_e32 v20, 1, v21
	v_lshlrev_b32_e32 v22, 30, v21
	v_lshlrev_b32_e32 v23, 29, v21
	;; [unrolled: 1-line block ×4, first 2 shown]
	v_add_co_u32 v20, s15, v20, -1
	s_wait_alu 0xf1ff
	v_cndmask_b32_e64 v25, 0, 1, s15
	v_not_b32_e32 v120, v22
	v_cmp_gt_i32_e64 s15, 0, v22
	v_not_b32_e32 v22, v23
	v_lshlrev_b32_e32 v27, 26, v21
	v_cmp_ne_u32_e32 vcc_lo, 0, v25
	v_ashrrev_i32_e32 v120, 31, v120
	v_lshlrev_b32_e32 v119, 25, v21
	v_ashrrev_i32_e32 v22, 31, v22
	v_lshlrev_b32_e32 v25, 24, v21
	s_wait_alu 0xfffd
	v_xor_b32_e32 v20, vcc_lo, v20
	v_cmp_gt_i32_e32 vcc_lo, 0, v23
	v_not_b32_e32 v23, v24
	s_wait_alu 0xf1ff
	v_xor_b32_e32 v120, s15, v120
	v_cmp_gt_i32_e64 s15, 0, v24
	v_and_b32_e32 v20, exec_lo, v20
	v_not_b32_e32 v24, v26
	v_ashrrev_i32_e32 v23, 31, v23
	s_wait_alu 0xfffd
	v_xor_b32_e32 v22, vcc_lo, v22
	v_cmp_gt_i32_e32 vcc_lo, 0, v26
	v_and_b32_e32 v20, v20, v120
	v_not_b32_e32 v26, v27
	v_ashrrev_i32_e32 v24, 31, v24
	s_wait_alu 0xf1ff
	v_xor_b32_e32 v23, s15, v23
	v_cmp_gt_i32_e64 s15, 0, v27
	v_and_b32_e32 v20, v20, v22
	v_not_b32_e32 v22, v119
	v_ashrrev_i32_e32 v26, 31, v26
	s_wait_alu 0xfffd
	v_xor_b32_e32 v24, vcc_lo, v24
	v_cmp_gt_i32_e32 vcc_lo, 0, v119
	v_and_b32_e32 v20, v20, v23
	v_not_b32_e32 v23, v25
	v_ashrrev_i32_e32 v22, 31, v22
	s_wait_alu 0xf1ff
	v_xor_b32_e32 v26, s15, v26
	v_cmp_gt_i32_e64 s15, 0, v25
	v_and_b32_e32 v20, v20, v24
	v_ashrrev_i32_e32 v23, 31, v23
	s_wait_alu 0xfffd
	v_xor_b32_e32 v22, vcc_lo, v22
	v_mad_u32_u24 v24, v21, 36, v81
	v_mul_u32_u24_e32 v21, 36, v21
	v_and_b32_e32 v20, v20, v26
	s_wait_alu 0xf1ff
	v_xor_b32_e32 v23, s15, v23
	ds_load_b32 v119, v24 offset:1056
	v_add_nc_u32_e32 v121, v81, v21
	v_and_b32_e32 v20, v20, v22
	; wave barrier
	s_delay_alu instid0(VALU_DEP_1) | instskip(NEXT) | instid1(VALU_DEP_1)
	v_and_b32_e32 v20, v20, v23
	v_mbcnt_lo_u32_b32 v120, v20, 0
	v_cmp_ne_u32_e64 s15, 0, v20
	s_delay_alu instid0(VALU_DEP_2)
	v_cmp_eq_u32_e32 vcc_lo, 0, v120
	s_and_b32 s16, s15, vcc_lo
	s_wait_alu 0xfffe
	s_and_saveexec_b32 s15, s16
	s_cbranch_execz .LBB221_106
; %bb.105:                              ;   in Loop: Header=BB221_72 Depth=2
	s_wait_dscnt 0x0
	v_bcnt_u32_b32 v20, v20, v119
	ds_store_b32 v121, v20 offset:1056
.LBB221_106:                            ;   in Loop: Header=BB221_72 Depth=2
	s_wait_alu 0xfffe
	s_or_b32 exec_lo, exec_lo, s15
	v_and_b32_e32 v20, 0xff, v97
	; wave barrier
	s_delay_alu instid0(VALU_DEP_1) | instskip(NEXT) | instid1(VALU_DEP_1)
	v_lshrrev_b32_e32 v20, s30, v20
	v_and_b32_e32 v21, s31, v20
	s_delay_alu instid0(VALU_DEP_1)
	v_and_b32_e32 v20, 1, v21
	v_lshlrev_b32_e32 v22, 30, v21
	v_lshlrev_b32_e32 v23, 29, v21
	;; [unrolled: 1-line block ×4, first 2 shown]
	v_add_co_u32 v20, s15, v20, -1
	s_wait_alu 0xf1ff
	v_cndmask_b32_e64 v25, 0, 1, s15
	v_not_b32_e32 v123, v22
	v_cmp_gt_i32_e64 s15, 0, v22
	v_not_b32_e32 v22, v23
	v_lshlrev_b32_e32 v27, 26, v21
	v_cmp_ne_u32_e32 vcc_lo, 0, v25
	v_ashrrev_i32_e32 v123, 31, v123
	v_lshlrev_b32_e32 v122, 25, v21
	v_ashrrev_i32_e32 v22, 31, v22
	v_lshlrev_b32_e32 v25, 24, v21
	s_wait_alu 0xfffd
	v_xor_b32_e32 v20, vcc_lo, v20
	v_cmp_gt_i32_e32 vcc_lo, 0, v23
	v_not_b32_e32 v23, v24
	s_wait_alu 0xf1ff
	v_xor_b32_e32 v123, s15, v123
	v_cmp_gt_i32_e64 s15, 0, v24
	v_and_b32_e32 v20, exec_lo, v20
	v_not_b32_e32 v24, v26
	v_ashrrev_i32_e32 v23, 31, v23
	s_wait_alu 0xfffd
	v_xor_b32_e32 v22, vcc_lo, v22
	v_cmp_gt_i32_e32 vcc_lo, 0, v26
	v_and_b32_e32 v20, v20, v123
	v_not_b32_e32 v26, v27
	v_ashrrev_i32_e32 v24, 31, v24
	s_wait_alu 0xf1ff
	v_xor_b32_e32 v23, s15, v23
	v_cmp_gt_i32_e64 s15, 0, v27
	v_and_b32_e32 v20, v20, v22
	v_not_b32_e32 v22, v122
	v_ashrrev_i32_e32 v26, 31, v26
	s_wait_alu 0xfffd
	v_xor_b32_e32 v24, vcc_lo, v24
	v_cmp_gt_i32_e32 vcc_lo, 0, v122
	v_and_b32_e32 v20, v20, v23
	v_not_b32_e32 v23, v25
	v_ashrrev_i32_e32 v22, 31, v22
	s_wait_alu 0xf1ff
	v_xor_b32_e32 v26, s15, v26
	v_cmp_gt_i32_e64 s15, 0, v25
	v_and_b32_e32 v20, v20, v24
	v_ashrrev_i32_e32 v23, 31, v23
	s_wait_alu 0xfffd
	v_xor_b32_e32 v22, vcc_lo, v22
	v_mad_u32_u24 v24, v21, 36, v81
	v_mul_u32_u24_e32 v21, 36, v21
	v_and_b32_e32 v20, v20, v26
	s_wait_alu 0xf1ff
	v_xor_b32_e32 v23, s15, v23
	ds_load_b32 v122, v24 offset:1056
	v_add_nc_u32_e32 v124, v81, v21
	v_and_b32_e32 v20, v20, v22
	; wave barrier
	s_delay_alu instid0(VALU_DEP_1) | instskip(NEXT) | instid1(VALU_DEP_1)
	v_and_b32_e32 v20, v20, v23
	v_mbcnt_lo_u32_b32 v123, v20, 0
	v_cmp_ne_u32_e64 s15, 0, v20
	s_delay_alu instid0(VALU_DEP_2)
	v_cmp_eq_u32_e32 vcc_lo, 0, v123
	s_and_b32 s16, s15, vcc_lo
	s_wait_alu 0xfffe
	s_and_saveexec_b32 s15, s16
	s_cbranch_execz .LBB221_108
; %bb.107:                              ;   in Loop: Header=BB221_72 Depth=2
	s_wait_dscnt 0x0
	v_bcnt_u32_b32 v20, v20, v122
	ds_store_b32 v124, v20 offset:1056
.LBB221_108:                            ;   in Loop: Header=BB221_72 Depth=2
	s_wait_alu 0xfffe
	s_or_b32 exec_lo, exec_lo, s15
	; wave barrier
	s_wait_loadcnt_dscnt 0x0
	s_barrier_signal -1
	s_barrier_wait -1
	global_inv scope:SCOPE_SE
	ds_load_2addr_b32 v[26:27], v100 offset1:1
	ds_load_2addr_b32 v[24:25], v101 offset1:1
	;; [unrolled: 1-line block ×4, first 2 shown]
	ds_load_b32 v125, v45 offset:1088
	s_wait_dscnt 0x3
	v_add3_u32 v126, v27, v26, v24
	s_wait_dscnt 0x2
	s_delay_alu instid0(VALU_DEP_1) | instskip(SKIP_1) | instid1(VALU_DEP_1)
	v_add3_u32 v126, v126, v25, v22
	s_wait_dscnt 0x1
	v_add3_u32 v126, v126, v23, v20
	s_wait_dscnt 0x0
	s_delay_alu instid0(VALU_DEP_1) | instskip(NEXT) | instid1(VALU_DEP_1)
	v_add3_u32 v125, v126, v21, v125
	v_mov_b32_dpp v126, v125 row_shr:1 row_mask:0xf bank_mask:0xf
	s_delay_alu instid0(VALU_DEP_1) | instskip(NEXT) | instid1(VALU_DEP_1)
	v_cndmask_b32_e64 v126, v126, 0, s0
	v_add_nc_u32_e32 v125, v126, v125
	s_delay_alu instid0(VALU_DEP_1) | instskip(NEXT) | instid1(VALU_DEP_1)
	v_mov_b32_dpp v126, v125 row_shr:2 row_mask:0xf bank_mask:0xf
	v_cndmask_b32_e64 v126, 0, v126, s1
	s_delay_alu instid0(VALU_DEP_1) | instskip(NEXT) | instid1(VALU_DEP_1)
	v_add_nc_u32_e32 v125, v125, v126
	v_mov_b32_dpp v126, v125 row_shr:4 row_mask:0xf bank_mask:0xf
	s_delay_alu instid0(VALU_DEP_1) | instskip(NEXT) | instid1(VALU_DEP_1)
	v_cndmask_b32_e64 v126, 0, v126, s9
	v_add_nc_u32_e32 v125, v125, v126
	s_delay_alu instid0(VALU_DEP_1) | instskip(NEXT) | instid1(VALU_DEP_1)
	v_mov_b32_dpp v126, v125 row_shr:8 row_mask:0xf bank_mask:0xf
	v_cndmask_b32_e64 v126, 0, v126, s10
	s_delay_alu instid0(VALU_DEP_1) | instskip(SKIP_3) | instid1(VALU_DEP_1)
	v_add_nc_u32_e32 v125, v125, v126
	ds_swizzle_b32 v126, v125 offset:swizzle(BROADCAST,32,15)
	s_wait_dscnt 0x0
	v_cndmask_b32_e64 v126, v126, 0, s11
	v_add_nc_u32_e32 v125, v125, v126
	s_and_saveexec_b32 s15, s3
; %bb.109:                              ;   in Loop: Header=BB221_72 Depth=2
	ds_store_b32 v38, v125 offset:1024
; %bb.110:                              ;   in Loop: Header=BB221_72 Depth=2
	s_wait_alu 0xfffe
	s_or_b32 exec_lo, exec_lo, s15
	s_wait_loadcnt_dscnt 0x0
	s_barrier_signal -1
	s_barrier_wait -1
	global_inv scope:SCOPE_SE
	s_and_saveexec_b32 s15, s4
	s_cbranch_execz .LBB221_112
; %bb.111:                              ;   in Loop: Header=BB221_72 Depth=2
	v_add_nc_u32_e32 v126, v45, v46
	ds_load_b32 v127, v126 offset:1024
	s_wait_dscnt 0x0
	v_mov_b32_dpp v128, v127 row_shr:1 row_mask:0xf bank_mask:0xf
	s_delay_alu instid0(VALU_DEP_1) | instskip(NEXT) | instid1(VALU_DEP_1)
	v_cndmask_b32_e64 v128, v128, 0, s12
	v_add_nc_u32_e32 v127, v128, v127
	s_delay_alu instid0(VALU_DEP_1) | instskip(NEXT) | instid1(VALU_DEP_1)
	v_mov_b32_dpp v128, v127 row_shr:2 row_mask:0xf bank_mask:0xf
	v_cndmask_b32_e64 v128, 0, v128, s13
	s_delay_alu instid0(VALU_DEP_1) | instskip(NEXT) | instid1(VALU_DEP_1)
	v_add_nc_u32_e32 v127, v127, v128
	v_mov_b32_dpp v128, v127 row_shr:4 row_mask:0xf bank_mask:0xf
	s_delay_alu instid0(VALU_DEP_1) | instskip(NEXT) | instid1(VALU_DEP_1)
	v_cndmask_b32_e64 v128, 0, v128, s14
	v_add_nc_u32_e32 v127, v127, v128
	ds_store_b32 v126, v127 offset:1024
.LBB221_112:                            ;   in Loop: Header=BB221_72 Depth=2
	s_wait_alu 0xfffe
	s_or_b32 exec_lo, exec_lo, s15
	v_mov_b32_e32 v126, 0
	s_wait_loadcnt_dscnt 0x0
	s_barrier_signal -1
	s_barrier_wait -1
	global_inv scope:SCOPE_SE
	s_and_saveexec_b32 s15, s5
; %bb.113:                              ;   in Loop: Header=BB221_72 Depth=2
	ds_load_b32 v126, v38 offset:1020
; %bb.114:                              ;   in Loop: Header=BB221_72 Depth=2
	s_wait_alu 0xfffe
	s_or_b32 exec_lo, exec_lo, s15
	s_wait_dscnt 0x0
	v_add_nc_u32_e32 v125, v126, v125
	ds_bpermute_b32 v125, v80, v125
	s_wait_dscnt 0x0
	v_cndmask_b32_e64 v125, v125, v126, s8
	s_delay_alu instid0(VALU_DEP_1) | instskip(NEXT) | instid1(VALU_DEP_1)
	v_cndmask_b32_e64 v125, v125, 0, s6
	v_add_nc_u32_e32 v26, v125, v26
	s_delay_alu instid0(VALU_DEP_1) | instskip(NEXT) | instid1(VALU_DEP_1)
	v_add_nc_u32_e32 v27, v26, v27
	v_add_nc_u32_e32 v24, v27, v24
	s_delay_alu instid0(VALU_DEP_1) | instskip(NEXT) | instid1(VALU_DEP_1)
	v_add_nc_u32_e32 v25, v24, v25
	;; [unrolled: 3-line block ×3, first 2 shown]
	v_add_nc_u32_e32 v20, v23, v20
	s_delay_alu instid0(VALU_DEP_1)
	v_add_nc_u32_e32 v21, v20, v21
	ds_store_2addr_b32 v99, v23, v20 offset1:1
	ds_store_2addr_b32 v100, v125, v26 offset1:1
	;; [unrolled: 1-line block ×4, first 2 shown]
	ds_store_b32 v45, v21 offset:1088
	s_wait_loadcnt_dscnt 0x0
	s_barrier_signal -1
	s_barrier_wait -1
	global_inv scope:SCOPE_SE
	ds_load_b32 v20, v103 offset:1056
	ds_load_b32 v21, v106 offset:1056
	;; [unrolled: 1-line block ×9, first 2 shown]
	v_mov_b32_e32 v22, 0x800
	s_and_saveexec_b32 s15, s7
; %bb.115:                              ;   in Loop: Header=BB221_72 Depth=2
	ds_load_b32 v22, v45 offset:1092
; %bb.116:                              ;   in Loop: Header=BB221_72 Depth=2
	s_wait_alu 0xfffe
	s_or_b32 exec_lo, exec_lo, s15
	s_wait_loadcnt_dscnt 0x0
	s_barrier_signal -1
	s_barrier_wait -1
	global_inv scope:SCOPE_SE
	s_and_saveexec_b32 s15, s2
	s_cbranch_execz .LBB221_118
; %bb.117:                              ;   in Loop: Header=BB221_72 Depth=2
	ds_load_b32 v27, v28
	s_wait_dscnt 0x0
	v_sub_nc_u32_e32 v26, v27, v26
	ds_store_b32 v28, v26
.LBB221_118:                            ;   in Loop: Header=BB221_72 Depth=2
	s_wait_alu 0xfffe
	s_or_b32 exec_lo, exec_lo, s15
	v_add_nc_u32_e32 v100, v20, v98
	v_add3_u32 v99, v105, v104, v21
	v_add3_u32 v98, v108, v107, v23
	;; [unrolled: 1-line block ×7, first 2 shown]
	v_cmp_lt_u32_e64 s21, v1, v2
	ds_store_b8 v100, v90 offset:1024
	ds_store_b8 v99, v91 offset:1024
	ds_store_b8 v98, v92 offset:1024
	ds_store_b8 v27, v93 offset:1024
	ds_store_b8 v26, v94 offset:1024
	ds_store_b8 v25, v95 offset:1024
	ds_store_b8 v24, v96 offset:1024
	ds_store_b8 v23, v97 offset:1024
	s_wait_loadcnt_dscnt 0x0
	s_barrier_signal -1
	s_barrier_wait -1
	global_inv scope:SCOPE_SE
	s_and_saveexec_b32 s15, s21
	s_cbranch_execnz .LBB221_155
; %bb.119:                              ;   in Loop: Header=BB221_72 Depth=2
	s_wait_alu 0xfffe
	s_or_b32 exec_lo, exec_lo, s15
	v_cmp_lt_u32_e64 s20, v29, v2
	s_and_saveexec_b32 s15, s20
	s_cbranch_execnz .LBB221_156
.LBB221_120:                            ;   in Loop: Header=BB221_72 Depth=2
	s_wait_alu 0xfffe
	s_or_b32 exec_lo, exec_lo, s15
	v_cmp_lt_u32_e64 s19, v30, v2
	s_and_saveexec_b32 s15, s19
	s_cbranch_execnz .LBB221_157
.LBB221_121:                            ;   in Loop: Header=BB221_72 Depth=2
	s_wait_alu 0xfffe
	s_or_b32 exec_lo, exec_lo, s15
	v_cmp_lt_u32_e64 s18, v31, v2
	s_and_saveexec_b32 s15, s18
	s_cbranch_execnz .LBB221_158
.LBB221_122:                            ;   in Loop: Header=BB221_72 Depth=2
	s_wait_alu 0xfffe
	s_or_b32 exec_lo, exec_lo, s15
	v_cmp_lt_u32_e64 s17, v34, v2
	s_and_saveexec_b32 s15, s17
	s_cbranch_execnz .LBB221_159
.LBB221_123:                            ;   in Loop: Header=BB221_72 Depth=2
	s_wait_alu 0xfffe
	s_or_b32 exec_lo, exec_lo, s15
	v_cmp_lt_u32_e64 s16, v35, v2
	s_and_saveexec_b32 s15, s16
	s_cbranch_execnz .LBB221_160
.LBB221_124:                            ;   in Loop: Header=BB221_72 Depth=2
	s_wait_alu 0xfffe
	s_or_b32 exec_lo, exec_lo, s15
	v_cmp_lt_u32_e64 s15, v36, v2
	s_and_saveexec_b32 s44, s15
	s_cbranch_execnz .LBB221_161
.LBB221_125:                            ;   in Loop: Header=BB221_72 Depth=2
	s_wait_alu 0xfffe
	s_or_b32 exec_lo, exec_lo, s44
	v_cmp_lt_u32_e32 vcc_lo, v37, v2
	s_and_saveexec_b32 s44, vcc_lo
	s_cbranch_execz .LBB221_127
.LBB221_126:                            ;   in Loop: Header=BB221_72 Depth=2
	ds_load_u8 v20, v1 offset:2816
	s_wait_dscnt 0x0
	v_and_b32_e32 v21, 0xff, v20
	s_delay_alu instid0(VALU_DEP_1) | instskip(NEXT) | instid1(VALU_DEP_1)
	v_lshrrev_b32_e32 v21, s30, v21
	v_and_b32_e32 v21, s31, v21
	s_delay_alu instid0(VALU_DEP_1)
	v_lshlrev_b32_e32 v21, 2, v21
	ds_load_b32 v21, v21
	s_wait_dscnt 0x0
	v_add_nc_u32_e32 v21, v21, v37
	global_store_b8 v21, v20, s[38:39]
.LBB221_127:                            ;   in Loop: Header=BB221_72 Depth=2
	s_wait_alu 0xfffe
	s_or_b32 exec_lo, exec_lo, s44
	s_lshl_b64 s[48:49], s[22:23], 3
	s_wait_alu 0xfffe
	v_add_co_u32 v20, s22, v69, s48
	s_wait_alu 0xf1ff
	v_add_co_ci_u32_e64 v21, null, s49, v70, s22
	v_cmp_lt_u32_e64 s22, v68, v2
	s_and_saveexec_b32 s44, s22
	s_wait_alu 0xfffe
	s_xor_b32 s22, exec_lo, s44
	s_cbranch_execnz .LBB221_162
; %bb.128:                              ;   in Loop: Header=BB221_72 Depth=2
	s_wait_alu 0xfffe
	s_or_b32 exec_lo, exec_lo, s22
	s_delay_alu instid0(SALU_CYCLE_1)
	s_mov_b32 s44, exec_lo
	v_cmpx_lt_u32_e64 v71, v2
	s_cbranch_execnz .LBB221_163
.LBB221_129:                            ;   in Loop: Header=BB221_72 Depth=2
	s_wait_alu 0xfffe
	s_or_b32 exec_lo, exec_lo, s44
	s_delay_alu instid0(SALU_CYCLE_1)
	s_mov_b32 s44, exec_lo
	v_cmpx_lt_u32_e64 v72, v2
	s_cbranch_execnz .LBB221_164
.LBB221_130:                            ;   in Loop: Header=BB221_72 Depth=2
	s_wait_alu 0xfffe
	s_or_b32 exec_lo, exec_lo, s44
	s_delay_alu instid0(SALU_CYCLE_1)
	s_mov_b32 s44, exec_lo
	v_cmpx_lt_u32_e64 v73, v2
	s_cbranch_execnz .LBB221_165
.LBB221_131:                            ;   in Loop: Header=BB221_72 Depth=2
	s_wait_alu 0xfffe
	s_or_b32 exec_lo, exec_lo, s44
	s_delay_alu instid0(SALU_CYCLE_1)
	s_mov_b32 s44, exec_lo
	v_cmpx_lt_u32_e64 v74, v2
	s_cbranch_execnz .LBB221_166
.LBB221_132:                            ;   in Loop: Header=BB221_72 Depth=2
	s_wait_alu 0xfffe
	s_or_b32 exec_lo, exec_lo, s44
	s_delay_alu instid0(SALU_CYCLE_1)
	s_mov_b32 s44, exec_lo
	v_cmpx_lt_u32_e64 v75, v2
	s_cbranch_execnz .LBB221_167
.LBB221_133:                            ;   in Loop: Header=BB221_72 Depth=2
	s_wait_alu 0xfffe
	s_or_b32 exec_lo, exec_lo, s44
	s_delay_alu instid0(SALU_CYCLE_1)
	s_mov_b32 s44, exec_lo
	v_cmpx_lt_u32_e64 v76, v2
	s_cbranch_execnz .LBB221_168
.LBB221_134:                            ;   in Loop: Header=BB221_72 Depth=2
	s_wait_alu 0xfffe
	s_or_b32 exec_lo, exec_lo, s44
	s_delay_alu instid0(SALU_CYCLE_1)
	s_mov_b32 s44, exec_lo
	v_cmpx_lt_u32_e64 v77, v2
	s_cbranch_execnz .LBB221_169
.LBB221_135:                            ;   in Loop: Header=BB221_72 Depth=2
	s_wait_alu 0xfffe
	s_or_b32 exec_lo, exec_lo, s44
	s_and_saveexec_b32 s22, s21
	s_cbranch_execnz .LBB221_170
.LBB221_136:                            ;   in Loop: Header=BB221_72 Depth=2
	s_wait_alu 0xfffe
	s_or_b32 exec_lo, exec_lo, s22
	s_and_saveexec_b32 s22, s20
	s_cbranch_execnz .LBB221_171
.LBB221_137:                            ;   in Loop: Header=BB221_72 Depth=2
	s_wait_alu 0xfffe
	s_or_b32 exec_lo, exec_lo, s22
	s_and_saveexec_b32 s22, s19
	s_cbranch_execnz .LBB221_172
.LBB221_138:                            ;   in Loop: Header=BB221_72 Depth=2
	s_wait_alu 0xfffe
	s_or_b32 exec_lo, exec_lo, s22
	s_and_saveexec_b32 s22, s18
	s_cbranch_execnz .LBB221_173
.LBB221_139:                            ;   in Loop: Header=BB221_72 Depth=2
	s_wait_alu 0xfffe
	s_or_b32 exec_lo, exec_lo, s22
	s_and_saveexec_b32 s22, s17
	s_cbranch_execnz .LBB221_174
.LBB221_140:                            ;   in Loop: Header=BB221_72 Depth=2
	s_wait_alu 0xfffe
	s_or_b32 exec_lo, exec_lo, s22
	s_and_saveexec_b32 s22, s16
	s_cbranch_execnz .LBB221_175
.LBB221_141:                            ;   in Loop: Header=BB221_72 Depth=2
	s_wait_alu 0xfffe
	s_or_b32 exec_lo, exec_lo, s22
	s_and_saveexec_b32 s22, s15
	s_cbranch_execnz .LBB221_176
.LBB221_142:                            ;   in Loop: Header=BB221_72 Depth=2
	s_wait_alu 0xfffe
	s_or_b32 exec_lo, exec_lo, s22
	s_and_saveexec_b32 s22, vcc_lo
	s_cbranch_execz .LBB221_144
.LBB221_143:                            ;   in Loop: Header=BB221_72 Depth=2
	ds_load_u8 v2, v1 offset:2816
	s_wait_dscnt 0x0
	v_lshrrev_b32_e32 v2, s30, v2
	s_delay_alu instid0(VALU_DEP_1)
	v_and_b32_e32 v82, s31, v2
.LBB221_144:                            ;   in Loop: Header=BB221_72 Depth=2
	s_wait_alu 0xfffe
	s_or_b32 exec_lo, exec_lo, s22
	v_lshlrev_b32_e32 v2, 3, v100
	v_lshlrev_b32_e32 v20, 3, v99
	;; [unrolled: 1-line block ×3, first 2 shown]
	s_wait_loadcnt 0x0
	s_wait_storecnt 0x0
	s_barrier_signal -1
	s_barrier_wait -1
	global_inv scope:SCOPE_SE
	ds_store_b64 v2, v[18:19] offset:1024
	ds_store_b64 v20, v[16:17] offset:1024
	;; [unrolled: 1-line block ×3, first 2 shown]
	v_lshlrev_b32_e32 v2, 3, v27
	v_lshlrev_b32_e32 v20, 3, v26
	;; [unrolled: 1-line block ×5, first 2 shown]
	ds_store_b64 v2, v[12:13] offset:1024
	ds_store_b64 v20, v[10:11] offset:1024
	;; [unrolled: 1-line block ×5, first 2 shown]
	s_wait_loadcnt_dscnt 0x0
	s_barrier_signal -1
	s_barrier_wait -1
	global_inv scope:SCOPE_SE
	s_and_saveexec_b32 s22, s21
	s_cbranch_execnz .LBB221_177
; %bb.145:                              ;   in Loop: Header=BB221_72 Depth=2
	s_wait_alu 0xfffe
	s_or_b32 exec_lo, exec_lo, s22
	s_and_saveexec_b32 s21, s20
	s_cbranch_execnz .LBB221_178
.LBB221_146:                            ;   in Loop: Header=BB221_72 Depth=2
	s_wait_alu 0xfffe
	s_or_b32 exec_lo, exec_lo, s21
	s_and_saveexec_b32 s20, s19
	s_cbranch_execnz .LBB221_179
.LBB221_147:                            ;   in Loop: Header=BB221_72 Depth=2
	s_wait_alu 0xfffe
	s_or_b32 exec_lo, exec_lo, s20
	s_and_saveexec_b32 s19, s18
	s_cbranch_execnz .LBB221_180
.LBB221_148:                            ;   in Loop: Header=BB221_72 Depth=2
	s_wait_alu 0xfffe
	s_or_b32 exec_lo, exec_lo, s19
	s_and_saveexec_b32 s18, s17
	s_cbranch_execnz .LBB221_181
.LBB221_149:                            ;   in Loop: Header=BB221_72 Depth=2
	s_wait_alu 0xfffe
	s_or_b32 exec_lo, exec_lo, s18
	s_and_saveexec_b32 s17, s16
	s_cbranch_execnz .LBB221_182
.LBB221_150:                            ;   in Loop: Header=BB221_72 Depth=2
	s_wait_alu 0xfffe
	s_or_b32 exec_lo, exec_lo, s17
	s_and_saveexec_b32 s16, s15
	s_cbranch_execnz .LBB221_183
.LBB221_151:                            ;   in Loop: Header=BB221_72 Depth=2
	s_wait_alu 0xfffe
	s_or_b32 exec_lo, exec_lo, s16
	s_and_saveexec_b32 s15, vcc_lo
	s_cbranch_execz .LBB221_153
.LBB221_152:                            ;   in Loop: Header=BB221_72 Depth=2
	v_lshlrev_b32_e32 v2, 2, v82
	v_add_nc_u32_e32 v20, v1, v47
	ds_load_b32 v2, v2
	ds_load_b64 v[20:21], v20 offset:15360
	s_wait_dscnt 0x1
	v_add_nc_u32_e32 v2, v2, v37
	s_delay_alu instid0(VALU_DEP_1) | instskip(NEXT) | instid1(VALU_DEP_1)
	v_lshlrev_b64_e32 v[23:24], 3, v[2:3]
	v_add_co_u32 v23, vcc_lo, s24, v23
	s_wait_alu 0xfffd
	s_delay_alu instid0(VALU_DEP_2)
	v_add_co_ci_u32_e64 v24, null, s25, v24, vcc_lo
	s_wait_dscnt 0x0
	global_store_b64 v[23:24], v[20:21], off
.LBB221_153:                            ;   in Loop: Header=BB221_72 Depth=2
	s_wait_alu 0xfffe
	s_or_b32 exec_lo, exec_lo, s15
	s_wait_loadcnt 0x0
	s_wait_storecnt 0x0
	s_barrier_signal -1
	s_barrier_wait -1
	global_inv scope:SCOPE_SE
	s_and_saveexec_b32 s15, s2
	s_cbranch_execz .LBB221_71
; %bb.154:                              ;   in Loop: Header=BB221_72 Depth=2
	ds_load_b32 v2, v28
	s_wait_dscnt 0x0
	v_add_nc_u32_e32 v2, v2, v22
	ds_store_b32 v28, v2
	s_branch .LBB221_71
.LBB221_155:                            ;   in Loop: Header=BB221_72 Depth=2
	ds_load_u8 v20, v1 offset:1024
	s_wait_dscnt 0x0
	v_and_b32_e32 v21, 0xff, v20
	s_delay_alu instid0(VALU_DEP_1) | instskip(NEXT) | instid1(VALU_DEP_1)
	v_lshrrev_b32_e32 v21, s30, v21
	v_and_b32_e32 v21, s31, v21
	s_delay_alu instid0(VALU_DEP_1)
	v_lshlrev_b32_e32 v21, 2, v21
	ds_load_b32 v21, v21
	s_wait_dscnt 0x0
	v_add_nc_u32_e32 v21, v21, v1
	global_store_b8 v21, v20, s[38:39]
	s_wait_alu 0xfffe
	s_or_b32 exec_lo, exec_lo, s15
	v_cmp_lt_u32_e64 s20, v29, v2
	s_and_saveexec_b32 s15, s20
	s_cbranch_execz .LBB221_120
.LBB221_156:                            ;   in Loop: Header=BB221_72 Depth=2
	ds_load_u8 v20, v1 offset:1280
	s_wait_dscnt 0x0
	v_and_b32_e32 v21, 0xff, v20
	s_delay_alu instid0(VALU_DEP_1) | instskip(NEXT) | instid1(VALU_DEP_1)
	v_lshrrev_b32_e32 v21, s30, v21
	v_and_b32_e32 v21, s31, v21
	s_delay_alu instid0(VALU_DEP_1)
	v_lshlrev_b32_e32 v21, 2, v21
	ds_load_b32 v21, v21
	s_wait_dscnt 0x0
	v_add_nc_u32_e32 v21, v21, v29
	global_store_b8 v21, v20, s[38:39]
	s_wait_alu 0xfffe
	s_or_b32 exec_lo, exec_lo, s15
	v_cmp_lt_u32_e64 s19, v30, v2
	s_and_saveexec_b32 s15, s19
	s_cbranch_execz .LBB221_121
.LBB221_157:                            ;   in Loop: Header=BB221_72 Depth=2
	ds_load_u8 v20, v1 offset:1536
	s_wait_dscnt 0x0
	v_and_b32_e32 v21, 0xff, v20
	s_delay_alu instid0(VALU_DEP_1) | instskip(NEXT) | instid1(VALU_DEP_1)
	v_lshrrev_b32_e32 v21, s30, v21
	v_and_b32_e32 v21, s31, v21
	s_delay_alu instid0(VALU_DEP_1)
	v_lshlrev_b32_e32 v21, 2, v21
	ds_load_b32 v21, v21
	s_wait_dscnt 0x0
	v_add_nc_u32_e32 v21, v21, v30
	global_store_b8 v21, v20, s[38:39]
	s_wait_alu 0xfffe
	s_or_b32 exec_lo, exec_lo, s15
	v_cmp_lt_u32_e64 s18, v31, v2
	s_and_saveexec_b32 s15, s18
	s_cbranch_execz .LBB221_122
.LBB221_158:                            ;   in Loop: Header=BB221_72 Depth=2
	ds_load_u8 v20, v1 offset:1792
	s_wait_dscnt 0x0
	v_and_b32_e32 v21, 0xff, v20
	s_delay_alu instid0(VALU_DEP_1) | instskip(NEXT) | instid1(VALU_DEP_1)
	v_lshrrev_b32_e32 v21, s30, v21
	v_and_b32_e32 v21, s31, v21
	s_delay_alu instid0(VALU_DEP_1)
	v_lshlrev_b32_e32 v21, 2, v21
	ds_load_b32 v21, v21
	s_wait_dscnt 0x0
	v_add_nc_u32_e32 v21, v21, v31
	global_store_b8 v21, v20, s[38:39]
	s_wait_alu 0xfffe
	s_or_b32 exec_lo, exec_lo, s15
	v_cmp_lt_u32_e64 s17, v34, v2
	s_and_saveexec_b32 s15, s17
	s_cbranch_execz .LBB221_123
.LBB221_159:                            ;   in Loop: Header=BB221_72 Depth=2
	ds_load_u8 v20, v1 offset:2048
	s_wait_dscnt 0x0
	v_and_b32_e32 v21, 0xff, v20
	s_delay_alu instid0(VALU_DEP_1) | instskip(NEXT) | instid1(VALU_DEP_1)
	v_lshrrev_b32_e32 v21, s30, v21
	v_and_b32_e32 v21, s31, v21
	s_delay_alu instid0(VALU_DEP_1)
	v_lshlrev_b32_e32 v21, 2, v21
	ds_load_b32 v21, v21
	s_wait_dscnt 0x0
	v_add_nc_u32_e32 v21, v21, v34
	global_store_b8 v21, v20, s[38:39]
	s_wait_alu 0xfffe
	s_or_b32 exec_lo, exec_lo, s15
	v_cmp_lt_u32_e64 s16, v35, v2
	s_and_saveexec_b32 s15, s16
	s_cbranch_execz .LBB221_124
.LBB221_160:                            ;   in Loop: Header=BB221_72 Depth=2
	ds_load_u8 v20, v1 offset:2304
	s_wait_dscnt 0x0
	v_and_b32_e32 v21, 0xff, v20
	s_delay_alu instid0(VALU_DEP_1) | instskip(NEXT) | instid1(VALU_DEP_1)
	v_lshrrev_b32_e32 v21, s30, v21
	v_and_b32_e32 v21, s31, v21
	s_delay_alu instid0(VALU_DEP_1)
	v_lshlrev_b32_e32 v21, 2, v21
	ds_load_b32 v21, v21
	s_wait_dscnt 0x0
	v_add_nc_u32_e32 v21, v21, v35
	global_store_b8 v21, v20, s[38:39]
	s_wait_alu 0xfffe
	s_or_b32 exec_lo, exec_lo, s15
	v_cmp_lt_u32_e64 s15, v36, v2
	s_and_saveexec_b32 s44, s15
	s_cbranch_execz .LBB221_125
.LBB221_161:                            ;   in Loop: Header=BB221_72 Depth=2
	ds_load_u8 v20, v1 offset:2560
	s_wait_dscnt 0x0
	v_and_b32_e32 v21, 0xff, v20
	s_delay_alu instid0(VALU_DEP_1) | instskip(NEXT) | instid1(VALU_DEP_1)
	v_lshrrev_b32_e32 v21, s30, v21
	v_and_b32_e32 v21, s31, v21
	s_delay_alu instid0(VALU_DEP_1)
	v_lshlrev_b32_e32 v21, 2, v21
	ds_load_b32 v21, v21
	s_wait_dscnt 0x0
	v_add_nc_u32_e32 v21, v21, v36
	global_store_b8 v21, v20, s[38:39]
	s_wait_alu 0xfffe
	s_or_b32 exec_lo, exec_lo, s44
	v_cmp_lt_u32_e32 vcc_lo, v37, v2
	s_and_saveexec_b32 s44, vcc_lo
	s_cbranch_execnz .LBB221_126
	s_branch .LBB221_127
.LBB221_162:                            ;   in Loop: Header=BB221_72 Depth=2
	global_load_b64 v[18:19], v[20:21], off
	s_wait_alu 0xfffe
	s_or_b32 exec_lo, exec_lo, s22
	s_delay_alu instid0(SALU_CYCLE_1)
	s_mov_b32 s44, exec_lo
	v_cmpx_lt_u32_e64 v71, v2
	s_cbranch_execz .LBB221_129
.LBB221_163:                            ;   in Loop: Header=BB221_72 Depth=2
	global_load_b64 v[16:17], v[20:21], off offset:256
	s_wait_alu 0xfffe
	s_or_b32 exec_lo, exec_lo, s44
	s_delay_alu instid0(SALU_CYCLE_1)
	s_mov_b32 s44, exec_lo
	v_cmpx_lt_u32_e64 v72, v2
	s_cbranch_execz .LBB221_130
.LBB221_164:                            ;   in Loop: Header=BB221_72 Depth=2
	global_load_b64 v[14:15], v[20:21], off offset:512
	s_wait_alu 0xfffe
	s_or_b32 exec_lo, exec_lo, s44
	s_delay_alu instid0(SALU_CYCLE_1)
	s_mov_b32 s44, exec_lo
	v_cmpx_lt_u32_e64 v73, v2
	s_cbranch_execz .LBB221_131
.LBB221_165:                            ;   in Loop: Header=BB221_72 Depth=2
	global_load_b64 v[12:13], v[20:21], off offset:768
	s_wait_alu 0xfffe
	s_or_b32 exec_lo, exec_lo, s44
	s_delay_alu instid0(SALU_CYCLE_1)
	s_mov_b32 s44, exec_lo
	v_cmpx_lt_u32_e64 v74, v2
	s_cbranch_execz .LBB221_132
.LBB221_166:                            ;   in Loop: Header=BB221_72 Depth=2
	global_load_b64 v[10:11], v[20:21], off offset:1024
	s_wait_alu 0xfffe
	s_or_b32 exec_lo, exec_lo, s44
	s_delay_alu instid0(SALU_CYCLE_1)
	s_mov_b32 s44, exec_lo
	v_cmpx_lt_u32_e64 v75, v2
	s_cbranch_execz .LBB221_133
.LBB221_167:                            ;   in Loop: Header=BB221_72 Depth=2
	global_load_b64 v[8:9], v[20:21], off offset:1280
	s_wait_alu 0xfffe
	s_or_b32 exec_lo, exec_lo, s44
	s_delay_alu instid0(SALU_CYCLE_1)
	s_mov_b32 s44, exec_lo
	v_cmpx_lt_u32_e64 v76, v2
	s_cbranch_execz .LBB221_134
.LBB221_168:                            ;   in Loop: Header=BB221_72 Depth=2
	global_load_b64 v[6:7], v[20:21], off offset:1536
	s_wait_alu 0xfffe
	s_or_b32 exec_lo, exec_lo, s44
	s_delay_alu instid0(SALU_CYCLE_1)
	s_mov_b32 s44, exec_lo
	v_cmpx_lt_u32_e64 v77, v2
	s_cbranch_execz .LBB221_135
.LBB221_169:                            ;   in Loop: Header=BB221_72 Depth=2
	global_load_b64 v[4:5], v[20:21], off offset:1792
	s_wait_alu 0xfffe
	s_or_b32 exec_lo, exec_lo, s44
	s_and_saveexec_b32 s22, s21
	s_cbranch_execz .LBB221_136
.LBB221_170:                            ;   in Loop: Header=BB221_72 Depth=2
	ds_load_u8 v2, v1 offset:1024
	s_wait_dscnt 0x0
	v_lshrrev_b32_e32 v2, s30, v2
	s_delay_alu instid0(VALU_DEP_1)
	v_and_b32_e32 v89, s31, v2
	s_wait_alu 0xfffe
	s_or_b32 exec_lo, exec_lo, s22
	s_and_saveexec_b32 s22, s20
	s_cbranch_execz .LBB221_137
.LBB221_171:                            ;   in Loop: Header=BB221_72 Depth=2
	ds_load_u8 v2, v1 offset:1280
	s_wait_dscnt 0x0
	v_lshrrev_b32_e32 v2, s30, v2
	s_delay_alu instid0(VALU_DEP_1)
	v_and_b32_e32 v88, s31, v2
	s_wait_alu 0xfffe
	s_or_b32 exec_lo, exec_lo, s22
	s_and_saveexec_b32 s22, s19
	s_cbranch_execz .LBB221_138
.LBB221_172:                            ;   in Loop: Header=BB221_72 Depth=2
	ds_load_u8 v2, v1 offset:1536
	s_wait_dscnt 0x0
	v_lshrrev_b32_e32 v2, s30, v2
	s_delay_alu instid0(VALU_DEP_1)
	v_and_b32_e32 v87, s31, v2
	s_wait_alu 0xfffe
	s_or_b32 exec_lo, exec_lo, s22
	s_and_saveexec_b32 s22, s18
	s_cbranch_execz .LBB221_139
.LBB221_173:                            ;   in Loop: Header=BB221_72 Depth=2
	ds_load_u8 v2, v1 offset:1792
	s_wait_dscnt 0x0
	v_lshrrev_b32_e32 v2, s30, v2
	s_delay_alu instid0(VALU_DEP_1)
	v_and_b32_e32 v86, s31, v2
	s_wait_alu 0xfffe
	s_or_b32 exec_lo, exec_lo, s22
	s_and_saveexec_b32 s22, s17
	s_cbranch_execz .LBB221_140
.LBB221_174:                            ;   in Loop: Header=BB221_72 Depth=2
	ds_load_u8 v2, v1 offset:2048
	s_wait_dscnt 0x0
	v_lshrrev_b32_e32 v2, s30, v2
	s_delay_alu instid0(VALU_DEP_1)
	v_and_b32_e32 v85, s31, v2
	s_wait_alu 0xfffe
	s_or_b32 exec_lo, exec_lo, s22
	s_and_saveexec_b32 s22, s16
	s_cbranch_execz .LBB221_141
.LBB221_175:                            ;   in Loop: Header=BB221_72 Depth=2
	ds_load_u8 v2, v1 offset:2304
	s_wait_dscnt 0x0
	v_lshrrev_b32_e32 v2, s30, v2
	s_delay_alu instid0(VALU_DEP_1)
	v_and_b32_e32 v84, s31, v2
	s_wait_alu 0xfffe
	s_or_b32 exec_lo, exec_lo, s22
	s_and_saveexec_b32 s22, s15
	s_cbranch_execz .LBB221_142
.LBB221_176:                            ;   in Loop: Header=BB221_72 Depth=2
	ds_load_u8 v2, v1 offset:2560
	s_wait_dscnt 0x0
	v_lshrrev_b32_e32 v2, s30, v2
	s_delay_alu instid0(VALU_DEP_1)
	v_and_b32_e32 v83, s31, v2
	s_wait_alu 0xfffe
	s_or_b32 exec_lo, exec_lo, s22
	s_and_saveexec_b32 s22, vcc_lo
	s_cbranch_execnz .LBB221_143
	s_branch .LBB221_144
.LBB221_177:                            ;   in Loop: Header=BB221_72 Depth=2
	v_lshlrev_b32_e32 v2, 2, v89
	v_add_nc_u32_e32 v20, v1, v47
	ds_load_b32 v2, v2
	ds_load_b64 v[20:21], v20 offset:1024
	s_wait_dscnt 0x1
	v_add_nc_u32_e32 v2, v2, v1
	s_delay_alu instid0(VALU_DEP_1) | instskip(NEXT) | instid1(VALU_DEP_1)
	v_lshlrev_b64_e32 v[23:24], 3, v[2:3]
	v_add_co_u32 v23, s21, s24, v23
	s_wait_alu 0xf1ff
	s_delay_alu instid0(VALU_DEP_2)
	v_add_co_ci_u32_e64 v24, null, s25, v24, s21
	s_wait_dscnt 0x0
	global_store_b64 v[23:24], v[20:21], off
	s_wait_alu 0xfffe
	s_or_b32 exec_lo, exec_lo, s22
	s_and_saveexec_b32 s21, s20
	s_cbranch_execz .LBB221_146
.LBB221_178:                            ;   in Loop: Header=BB221_72 Depth=2
	v_lshlrev_b32_e32 v2, 2, v88
	v_add_nc_u32_e32 v20, v1, v47
	ds_load_b32 v2, v2
	ds_load_b64 v[20:21], v20 offset:3072
	s_wait_dscnt 0x1
	v_add_nc_u32_e32 v2, v2, v29
	s_delay_alu instid0(VALU_DEP_1) | instskip(NEXT) | instid1(VALU_DEP_1)
	v_lshlrev_b64_e32 v[23:24], 3, v[2:3]
	v_add_co_u32 v23, s20, s24, v23
	s_wait_alu 0xf1ff
	s_delay_alu instid0(VALU_DEP_2)
	v_add_co_ci_u32_e64 v24, null, s25, v24, s20
	s_wait_dscnt 0x0
	global_store_b64 v[23:24], v[20:21], off
	s_wait_alu 0xfffe
	s_or_b32 exec_lo, exec_lo, s21
	s_and_saveexec_b32 s20, s19
	s_cbranch_execz .LBB221_147
.LBB221_179:                            ;   in Loop: Header=BB221_72 Depth=2
	v_lshlrev_b32_e32 v2, 2, v87
	v_add_nc_u32_e32 v20, v1, v47
	ds_load_b32 v2, v2
	ds_load_b64 v[20:21], v20 offset:5120
	s_wait_dscnt 0x1
	v_add_nc_u32_e32 v2, v2, v30
	s_delay_alu instid0(VALU_DEP_1) | instskip(NEXT) | instid1(VALU_DEP_1)
	v_lshlrev_b64_e32 v[23:24], 3, v[2:3]
	v_add_co_u32 v23, s19, s24, v23
	s_wait_alu 0xf1ff
	s_delay_alu instid0(VALU_DEP_2)
	v_add_co_ci_u32_e64 v24, null, s25, v24, s19
	s_wait_dscnt 0x0
	global_store_b64 v[23:24], v[20:21], off
	s_wait_alu 0xfffe
	s_or_b32 exec_lo, exec_lo, s20
	s_and_saveexec_b32 s19, s18
	s_cbranch_execz .LBB221_148
.LBB221_180:                            ;   in Loop: Header=BB221_72 Depth=2
	v_lshlrev_b32_e32 v2, 2, v86
	v_add_nc_u32_e32 v20, v1, v47
	ds_load_b32 v2, v2
	ds_load_b64 v[20:21], v20 offset:7168
	s_wait_dscnt 0x1
	v_add_nc_u32_e32 v2, v2, v31
	s_delay_alu instid0(VALU_DEP_1) | instskip(NEXT) | instid1(VALU_DEP_1)
	v_lshlrev_b64_e32 v[23:24], 3, v[2:3]
	v_add_co_u32 v23, s18, s24, v23
	s_wait_alu 0xf1ff
	s_delay_alu instid0(VALU_DEP_2)
	v_add_co_ci_u32_e64 v24, null, s25, v24, s18
	s_wait_dscnt 0x0
	global_store_b64 v[23:24], v[20:21], off
	s_wait_alu 0xfffe
	s_or_b32 exec_lo, exec_lo, s19
	s_and_saveexec_b32 s18, s17
	s_cbranch_execz .LBB221_149
.LBB221_181:                            ;   in Loop: Header=BB221_72 Depth=2
	v_lshlrev_b32_e32 v2, 2, v85
	v_add_nc_u32_e32 v20, v1, v47
	ds_load_b32 v2, v2
	ds_load_b64 v[20:21], v20 offset:9216
	s_wait_dscnt 0x1
	v_add_nc_u32_e32 v2, v2, v34
	s_delay_alu instid0(VALU_DEP_1) | instskip(NEXT) | instid1(VALU_DEP_1)
	v_lshlrev_b64_e32 v[23:24], 3, v[2:3]
	v_add_co_u32 v23, s17, s24, v23
	s_wait_alu 0xf1ff
	s_delay_alu instid0(VALU_DEP_2)
	v_add_co_ci_u32_e64 v24, null, s25, v24, s17
	s_wait_dscnt 0x0
	global_store_b64 v[23:24], v[20:21], off
	s_wait_alu 0xfffe
	s_or_b32 exec_lo, exec_lo, s18
	s_and_saveexec_b32 s17, s16
	s_cbranch_execz .LBB221_150
.LBB221_182:                            ;   in Loop: Header=BB221_72 Depth=2
	v_lshlrev_b32_e32 v2, 2, v84
	v_add_nc_u32_e32 v20, v1, v47
	ds_load_b32 v2, v2
	ds_load_b64 v[20:21], v20 offset:11264
	s_wait_dscnt 0x1
	v_add_nc_u32_e32 v2, v2, v35
	s_delay_alu instid0(VALU_DEP_1) | instskip(NEXT) | instid1(VALU_DEP_1)
	v_lshlrev_b64_e32 v[23:24], 3, v[2:3]
	v_add_co_u32 v23, s16, s24, v23
	s_wait_alu 0xf1ff
	s_delay_alu instid0(VALU_DEP_2)
	v_add_co_ci_u32_e64 v24, null, s25, v24, s16
	s_wait_dscnt 0x0
	global_store_b64 v[23:24], v[20:21], off
	s_wait_alu 0xfffe
	s_or_b32 exec_lo, exec_lo, s17
	s_and_saveexec_b32 s16, s15
	s_cbranch_execz .LBB221_151
.LBB221_183:                            ;   in Loop: Header=BB221_72 Depth=2
	v_lshlrev_b32_e32 v2, 2, v83
	v_add_nc_u32_e32 v20, v1, v47
	ds_load_b32 v2, v2
	ds_load_b64 v[20:21], v20 offset:13312
	s_wait_dscnt 0x1
	v_add_nc_u32_e32 v2, v2, v36
	s_delay_alu instid0(VALU_DEP_1) | instskip(NEXT) | instid1(VALU_DEP_1)
	v_lshlrev_b64_e32 v[23:24], 3, v[2:3]
	v_add_co_u32 v23, s15, s24, v23
	s_wait_alu 0xf1ff
	s_delay_alu instid0(VALU_DEP_2)
	v_add_co_ci_u32_e64 v24, null, s25, v24, s15
	s_wait_dscnt 0x0
	global_store_b64 v[23:24], v[20:21], off
	s_wait_alu 0xfffe
	s_or_b32 exec_lo, exec_lo, s16
	s_and_saveexec_b32 s15, vcc_lo
	s_cbranch_execnz .LBB221_152
	s_branch .LBB221_153
.LBB221_184:                            ;   in Loop: Header=BB221_20 Depth=1
	s_wait_loadcnt_dscnt 0x0
	s_barrier_signal -1
	s_mov_b32 s0, 0
	s_barrier_wait -1
.LBB221_185:                            ;   in Loop: Header=BB221_20 Depth=1
	s_wait_alu 0xfffe
	s_and_b32 vcc_lo, exec_lo, s0
	s_wait_alu 0xfffe
	s_cbranch_vccz .LBB221_349
; %bb.186:                              ;   in Loop: Header=BB221_20 Depth=1
	v_dual_mov_b32 v7, 0 :: v_dual_mov_b32 v10, 0
	v_dual_mov_b32 v9, 0 :: v_dual_mov_b32 v8, 0
	;; [unrolled: 1-line block ×3, first 2 shown]
	v_mov_b32_e32 v4, 0
	v_mov_b32_e32 v2, 0
	s_mov_b32 s9, s47
	s_mov_b32 s22, s33
	s_barrier_signal -1
	s_barrier_wait -1
	global_inv scope:SCOPE_SE
	s_branch .LBB221_188
.LBB221_187:                            ;   in Loop: Header=BB221_188 Depth=2
	s_wait_alu 0xfffe
	s_or_b32 exec_lo, exec_lo, s0
	s_addk_co_i32 s9, 0xf800
	s_cmp_ge_u32 s10, s34
	s_mov_b32 s22, s10
	s_cbranch_scc1 .LBB221_224
.LBB221_188:                            ;   Parent Loop BB221_20 Depth=1
                                        ; =>  This Inner Loop Header: Depth=2
	s_wait_alu 0xfffe
	s_add_co_i32 s10, s22, 0x800
	s_mov_b32 s0, -1
	s_wait_alu 0xfffe
	s_cmp_gt_u32 s10, s34
                                        ; implicit-def: $vgpr11
                                        ; implicit-def: $vgpr12
                                        ; implicit-def: $vgpr13
                                        ; implicit-def: $vgpr14
                                        ; implicit-def: $vgpr15
                                        ; implicit-def: $vgpr16
                                        ; implicit-def: $vgpr17
                                        ; implicit-def: $vgpr18
	s_cbranch_scc1 .LBB221_190
; %bb.189:                              ;   in Loop: Header=BB221_188 Depth=2
	v_add_co_u32 v19, vcc_lo, v48, s22
	s_wait_alu 0xfffd
	v_add_co_ci_u32_e64 v20, null, 0, v49, vcc_lo
	s_mov_b32 s0, 0
	s_clause 0x7
	global_load_u8 v18, v[19:20], off offset:1792
	global_load_u8 v17, v[19:20], off offset:1536
	;; [unrolled: 1-line block ×7, first 2 shown]
	global_load_u8 v11, v[19:20], off
.LBB221_190:                            ;   in Loop: Header=BB221_188 Depth=2
	s_wait_alu 0xfffe
	s_and_not1_b32 vcc_lo, exec_lo, s0
	s_movk_i32 s0, 0x800
	s_wait_alu 0xfffe
	s_cbranch_vccnz .LBB221_201
; %bb.191:                              ;   in Loop: Header=BB221_188 Depth=2
	s_add_nc_u64 s[0:1], s[38:39], s[22:23]
	s_mov_b32 s11, exec_lo
	v_cmpx_gt_u32_e64 s9, v1
	s_cbranch_execnz .LBB221_217
; %bb.192:                              ;   in Loop: Header=BB221_188 Depth=2
	s_wait_alu 0xfffe
	s_or_b32 exec_lo, exec_lo, s11
	s_delay_alu instid0(SALU_CYCLE_1)
	s_mov_b32 s11, exec_lo
	v_cmpx_gt_u32_e64 s9, v29
	s_cbranch_execnz .LBB221_218
.LBB221_193:                            ;   in Loop: Header=BB221_188 Depth=2
	s_wait_alu 0xfffe
	s_or_b32 exec_lo, exec_lo, s11
	s_delay_alu instid0(SALU_CYCLE_1)
	s_mov_b32 s11, exec_lo
	v_cmpx_gt_u32_e64 s9, v30
	s_cbranch_execnz .LBB221_219
.LBB221_194:                            ;   in Loop: Header=BB221_188 Depth=2
	s_wait_alu 0xfffe
	s_or_b32 exec_lo, exec_lo, s11
	s_delay_alu instid0(SALU_CYCLE_1)
	s_mov_b32 s11, exec_lo
	v_cmpx_gt_u32_e64 s9, v31
	s_cbranch_execnz .LBB221_220
.LBB221_195:                            ;   in Loop: Header=BB221_188 Depth=2
	s_wait_alu 0xfffe
	s_or_b32 exec_lo, exec_lo, s11
	s_delay_alu instid0(SALU_CYCLE_1)
	s_mov_b32 s11, exec_lo
	v_cmpx_gt_u32_e64 s9, v34
	s_cbranch_execnz .LBB221_221
.LBB221_196:                            ;   in Loop: Header=BB221_188 Depth=2
	s_wait_alu 0xfffe
	s_or_b32 exec_lo, exec_lo, s11
	s_delay_alu instid0(SALU_CYCLE_1)
	s_mov_b32 s11, exec_lo
	v_cmpx_gt_u32_e64 s9, v35
	s_cbranch_execnz .LBB221_222
.LBB221_197:                            ;   in Loop: Header=BB221_188 Depth=2
	s_wait_alu 0xfffe
	s_or_b32 exec_lo, exec_lo, s11
	s_delay_alu instid0(SALU_CYCLE_1)
	s_mov_b32 s11, exec_lo
	v_cmpx_gt_u32_e64 s9, v36
	s_cbranch_execnz .LBB221_223
.LBB221_198:                            ;   in Loop: Header=BB221_188 Depth=2
	s_wait_alu 0xfffe
	s_or_b32 exec_lo, exec_lo, s11
	s_delay_alu instid0(SALU_CYCLE_1)
	s_mov_b32 s11, exec_lo
	v_cmpx_gt_u32_e64 s9, v37
	s_cbranch_execz .LBB221_200
.LBB221_199:                            ;   in Loop: Header=BB221_188 Depth=2
	s_wait_loadcnt 0x0
	v_add_co_u32 v11, s0, s0, v1
	s_wait_alu 0xf1ff
	v_add_co_ci_u32_e64 v12, null, s1, 0, s0
	global_load_u8 v2, v[11:12], off offset:1792
.LBB221_200:                            ;   in Loop: Header=BB221_188 Depth=2
	s_wait_alu 0xfffe
	s_or_b32 exec_lo, exec_lo, s11
	s_wait_loadcnt 0x0
	v_dual_mov_b32 v11, v7 :: v_dual_mov_b32 v12, v10
	v_dual_mov_b32 v13, v9 :: v_dual_mov_b32 v14, v8
	;; [unrolled: 1-line block ×4, first 2 shown]
	s_mov_b32 s0, s9
.LBB221_201:                            ;   in Loop: Header=BB221_188 Depth=2
	s_wait_loadcnt 0x5
	s_delay_alu instid0(VALU_DEP_1)
	v_dual_mov_b32 v2, v18 :: v_dual_mov_b32 v5, v16
	s_wait_loadcnt 0x2
	v_dual_mov_b32 v4, v17 :: v_dual_mov_b32 v9, v13
	s_wait_loadcnt 0x0
	v_dual_mov_b32 v6, v15 :: v_dual_mov_b32 v7, v11
	v_mov_b32_e32 v8, v14
	v_mov_b32_e32 v10, v12
	s_mov_b32 s1, exec_lo
	s_wait_alu 0xfffe
	v_cmpx_gt_u32_e64 s0, v1
	s_cbranch_execnz .LBB221_209
; %bb.202:                              ;   in Loop: Header=BB221_188 Depth=2
	s_or_b32 exec_lo, exec_lo, s1
	s_delay_alu instid0(SALU_CYCLE_1)
	s_mov_b32 s1, exec_lo
	v_cmpx_gt_u32_e64 s0, v29
	s_cbranch_execnz .LBB221_210
.LBB221_203:                            ;   in Loop: Header=BB221_188 Depth=2
	s_wait_alu 0xfffe
	s_or_b32 exec_lo, exec_lo, s1
	s_delay_alu instid0(SALU_CYCLE_1)
	s_mov_b32 s1, exec_lo
	v_cmpx_gt_u32_e64 s0, v30
	s_cbranch_execnz .LBB221_211
.LBB221_204:                            ;   in Loop: Header=BB221_188 Depth=2
	s_wait_alu 0xfffe
	s_or_b32 exec_lo, exec_lo, s1
	s_delay_alu instid0(SALU_CYCLE_1)
	s_mov_b32 s1, exec_lo
	v_cmpx_gt_u32_e64 s0, v31
	s_cbranch_execnz .LBB221_212
.LBB221_205:                            ;   in Loop: Header=BB221_188 Depth=2
	s_wait_alu 0xfffe
	s_or_b32 exec_lo, exec_lo, s1
	s_delay_alu instid0(SALU_CYCLE_1)
	s_mov_b32 s1, exec_lo
	v_cmpx_gt_u32_e64 s0, v34
	s_cbranch_execnz .LBB221_213
.LBB221_206:                            ;   in Loop: Header=BB221_188 Depth=2
	s_wait_alu 0xfffe
	s_or_b32 exec_lo, exec_lo, s1
	s_delay_alu instid0(SALU_CYCLE_1)
	s_mov_b32 s1, exec_lo
	v_cmpx_gt_u32_e64 s0, v35
	s_cbranch_execnz .LBB221_214
.LBB221_207:                            ;   in Loop: Header=BB221_188 Depth=2
	s_wait_alu 0xfffe
	s_or_b32 exec_lo, exec_lo, s1
	s_delay_alu instid0(SALU_CYCLE_1)
	s_mov_b32 s1, exec_lo
	v_cmpx_gt_u32_e64 s0, v36
	s_cbranch_execnz .LBB221_215
.LBB221_208:                            ;   in Loop: Header=BB221_188 Depth=2
	s_wait_alu 0xfffe
	s_or_b32 exec_lo, exec_lo, s1
	v_cmp_gt_u32_e32 vcc_lo, s0, v37
	s_and_saveexec_b32 s0, vcc_lo
	s_cbranch_execz .LBB221_187
	s_branch .LBB221_216
.LBB221_209:                            ;   in Loop: Header=BB221_188 Depth=2
	v_and_b32_e32 v11, 0xff, v7
	s_delay_alu instid0(VALU_DEP_1) | instskip(NEXT) | instid1(VALU_DEP_1)
	v_lshrrev_b32_e32 v11, s30, v11
	v_and_b32_e32 v11, s31, v11
	s_delay_alu instid0(VALU_DEP_1) | instskip(SKIP_2) | instid1(SALU_CYCLE_1)
	v_lshl_or_b32 v11, v11, 4, v39
	ds_add_u32 v11, v61
	s_or_b32 exec_lo, exec_lo, s1
	s_mov_b32 s1, exec_lo
	v_cmpx_gt_u32_e64 s0, v29
	s_cbranch_execz .LBB221_203
.LBB221_210:                            ;   in Loop: Header=BB221_188 Depth=2
	v_and_b32_e32 v11, 0xff, v10
	s_delay_alu instid0(VALU_DEP_1) | instskip(NEXT) | instid1(VALU_DEP_1)
	v_lshrrev_b32_e32 v11, s30, v11
	v_and_b32_e32 v11, s31, v11
	s_delay_alu instid0(VALU_DEP_1) | instskip(SKIP_3) | instid1(SALU_CYCLE_1)
	v_lshl_or_b32 v11, v11, 4, v39
	ds_add_u32 v11, v61
	s_wait_alu 0xfffe
	s_or_b32 exec_lo, exec_lo, s1
	s_mov_b32 s1, exec_lo
	v_cmpx_gt_u32_e64 s0, v30
	s_cbranch_execz .LBB221_204
.LBB221_211:                            ;   in Loop: Header=BB221_188 Depth=2
	v_and_b32_e32 v11, 0xff, v9
	s_delay_alu instid0(VALU_DEP_1) | instskip(NEXT) | instid1(VALU_DEP_1)
	v_lshrrev_b32_e32 v11, s30, v11
	v_and_b32_e32 v11, s31, v11
	s_delay_alu instid0(VALU_DEP_1) | instskip(SKIP_3) | instid1(SALU_CYCLE_1)
	v_lshl_or_b32 v11, v11, 4, v39
	ds_add_u32 v11, v61
	s_wait_alu 0xfffe
	s_or_b32 exec_lo, exec_lo, s1
	s_mov_b32 s1, exec_lo
	v_cmpx_gt_u32_e64 s0, v31
	s_cbranch_execz .LBB221_205
.LBB221_212:                            ;   in Loop: Header=BB221_188 Depth=2
	v_and_b32_e32 v11, 0xff, v8
	s_delay_alu instid0(VALU_DEP_1) | instskip(NEXT) | instid1(VALU_DEP_1)
	v_lshrrev_b32_e32 v11, s30, v11
	v_and_b32_e32 v11, s31, v11
	s_delay_alu instid0(VALU_DEP_1) | instskip(SKIP_3) | instid1(SALU_CYCLE_1)
	v_lshl_or_b32 v11, v11, 4, v39
	ds_add_u32 v11, v61
	s_wait_alu 0xfffe
	s_or_b32 exec_lo, exec_lo, s1
	s_mov_b32 s1, exec_lo
	v_cmpx_gt_u32_e64 s0, v34
	s_cbranch_execz .LBB221_206
.LBB221_213:                            ;   in Loop: Header=BB221_188 Depth=2
	v_and_b32_e32 v11, 0xff, v6
	s_delay_alu instid0(VALU_DEP_1) | instskip(NEXT) | instid1(VALU_DEP_1)
	v_lshrrev_b32_e32 v11, s30, v11
	v_and_b32_e32 v11, s31, v11
	s_delay_alu instid0(VALU_DEP_1) | instskip(SKIP_3) | instid1(SALU_CYCLE_1)
	v_lshl_or_b32 v11, v11, 4, v39
	ds_add_u32 v11, v61
	s_wait_alu 0xfffe
	s_or_b32 exec_lo, exec_lo, s1
	s_mov_b32 s1, exec_lo
	v_cmpx_gt_u32_e64 s0, v35
	s_cbranch_execz .LBB221_207
.LBB221_214:                            ;   in Loop: Header=BB221_188 Depth=2
	v_and_b32_e32 v11, 0xff, v5
	s_delay_alu instid0(VALU_DEP_1) | instskip(NEXT) | instid1(VALU_DEP_1)
	v_lshrrev_b32_e32 v11, s30, v11
	v_and_b32_e32 v11, s31, v11
	s_delay_alu instid0(VALU_DEP_1) | instskip(SKIP_3) | instid1(SALU_CYCLE_1)
	v_lshl_or_b32 v11, v11, 4, v39
	ds_add_u32 v11, v61
	s_wait_alu 0xfffe
	s_or_b32 exec_lo, exec_lo, s1
	s_mov_b32 s1, exec_lo
	v_cmpx_gt_u32_e64 s0, v36
	s_cbranch_execz .LBB221_208
.LBB221_215:                            ;   in Loop: Header=BB221_188 Depth=2
	v_and_b32_e32 v11, 0xff, v4
	s_delay_alu instid0(VALU_DEP_1) | instskip(NEXT) | instid1(VALU_DEP_1)
	v_lshrrev_b32_e32 v11, s30, v11
	v_and_b32_e32 v11, s31, v11
	s_delay_alu instid0(VALU_DEP_1)
	v_lshl_or_b32 v11, v11, 4, v39
	ds_add_u32 v11, v61
	s_wait_alu 0xfffe
	s_or_b32 exec_lo, exec_lo, s1
	v_cmp_gt_u32_e32 vcc_lo, s0, v37
	s_and_saveexec_b32 s0, vcc_lo
	s_cbranch_execz .LBB221_187
.LBB221_216:                            ;   in Loop: Header=BB221_188 Depth=2
	v_and_b32_e32 v11, 0xff, v2
	s_delay_alu instid0(VALU_DEP_1) | instskip(NEXT) | instid1(VALU_DEP_1)
	v_lshrrev_b32_e32 v11, s30, v11
	v_and_b32_e32 v11, s31, v11
	s_delay_alu instid0(VALU_DEP_1)
	v_lshl_or_b32 v11, v11, 4, v39
	ds_add_u32 v11, v61
	s_branch .LBB221_187
.LBB221_217:                            ;   in Loop: Header=BB221_188 Depth=2
	s_wait_loadcnt 0x0
	s_wait_alu 0xfffe
	v_add_co_u32 v11, s12, s0, v1
	s_wait_alu 0xf1ff
	v_add_co_ci_u32_e64 v12, null, s1, 0, s12
	global_load_u8 v7, v[11:12], off
	s_or_b32 exec_lo, exec_lo, s11
	s_delay_alu instid0(SALU_CYCLE_1)
	s_mov_b32 s11, exec_lo
	v_cmpx_gt_u32_e64 s9, v29
	s_cbranch_execz .LBB221_193
.LBB221_218:                            ;   in Loop: Header=BB221_188 Depth=2
	v_add_co_u32 v10, s12, s0, v1
	s_wait_loadcnt 0x0
	s_wait_alu 0xf1ff
	v_add_co_ci_u32_e64 v11, null, s1, 0, s12
	global_load_u8 v10, v[10:11], off offset:256
	s_wait_alu 0xfffe
	s_or_b32 exec_lo, exec_lo, s11
	s_delay_alu instid0(SALU_CYCLE_1)
	s_mov_b32 s11, exec_lo
	v_cmpx_gt_u32_e64 s9, v30
	s_cbranch_execz .LBB221_194
.LBB221_219:                            ;   in Loop: Header=BB221_188 Depth=2
	s_wait_loadcnt 0x0
	v_add_co_u32 v11, s12, s0, v1
	s_wait_alu 0xf1ff
	v_add_co_ci_u32_e64 v12, null, s1, 0, s12
	global_load_u8 v9, v[11:12], off offset:512
	s_wait_alu 0xfffe
	s_or_b32 exec_lo, exec_lo, s11
	s_delay_alu instid0(SALU_CYCLE_1)
	s_mov_b32 s11, exec_lo
	v_cmpx_gt_u32_e64 s9, v31
	s_cbranch_execz .LBB221_195
.LBB221_220:                            ;   in Loop: Header=BB221_188 Depth=2
	s_wait_loadcnt 0x0
	v_add_co_u32 v11, s12, s0, v1
	s_wait_alu 0xf1ff
	v_add_co_ci_u32_e64 v12, null, s1, 0, s12
	global_load_u8 v8, v[11:12], off offset:768
	s_wait_alu 0xfffe
	s_or_b32 exec_lo, exec_lo, s11
	s_delay_alu instid0(SALU_CYCLE_1)
	s_mov_b32 s11, exec_lo
	v_cmpx_gt_u32_e64 s9, v34
	s_cbranch_execz .LBB221_196
.LBB221_221:                            ;   in Loop: Header=BB221_188 Depth=2
	s_wait_loadcnt 0x0
	v_add_co_u32 v11, s12, s0, v1
	s_wait_alu 0xf1ff
	v_add_co_ci_u32_e64 v12, null, s1, 0, s12
	global_load_u8 v6, v[11:12], off offset:1024
	s_wait_alu 0xfffe
	s_or_b32 exec_lo, exec_lo, s11
	s_delay_alu instid0(SALU_CYCLE_1)
	s_mov_b32 s11, exec_lo
	v_cmpx_gt_u32_e64 s9, v35
	s_cbranch_execz .LBB221_197
.LBB221_222:                            ;   in Loop: Header=BB221_188 Depth=2
	s_wait_loadcnt 0x0
	v_add_co_u32 v11, s12, s0, v1
	s_wait_alu 0xf1ff
	v_add_co_ci_u32_e64 v12, null, s1, 0, s12
	global_load_u8 v5, v[11:12], off offset:1280
	s_wait_alu 0xfffe
	s_or_b32 exec_lo, exec_lo, s11
	s_delay_alu instid0(SALU_CYCLE_1)
	s_mov_b32 s11, exec_lo
	v_cmpx_gt_u32_e64 s9, v36
	s_cbranch_execz .LBB221_198
.LBB221_223:                            ;   in Loop: Header=BB221_188 Depth=2
	s_wait_loadcnt 0x0
	v_add_co_u32 v11, s12, s0, v1
	s_wait_alu 0xf1ff
	v_add_co_ci_u32_e64 v12, null, s1, 0, s12
	global_load_u8 v4, v[11:12], off offset:1536
	s_wait_alu 0xfffe
	s_or_b32 exec_lo, exec_lo, s11
	s_delay_alu instid0(SALU_CYCLE_1)
	s_mov_b32 s11, exec_lo
	v_cmpx_gt_u32_e64 s9, v37
	s_cbranch_execnz .LBB221_199
	s_branch .LBB221_200
.LBB221_224:                            ;   in Loop: Header=BB221_20 Depth=1
	v_mov_b32_e32 v2, 0
	s_wait_dscnt 0x0
	s_barrier_signal -1
	s_barrier_wait -1
	global_inv scope:SCOPE_SE
	s_and_saveexec_b32 s0, s2
	s_cbranch_execz .LBB221_226
; %bb.225:                              ;   in Loop: Header=BB221_20 Depth=1
	ds_load_2addr_b64 v[4:7], v40 offset1:1
	s_wait_dscnt 0x0
	v_add_nc_u32_e32 v2, v5, v4
	s_delay_alu instid0(VALU_DEP_1)
	v_add3_u32 v2, v2, v6, v7
.LBB221_226:                            ;   in Loop: Header=BB221_20 Depth=1
	s_wait_alu 0xfffe
	s_or_b32 exec_lo, exec_lo, s0
	s_delay_alu instid0(VALU_DEP_1)
	v_mov_b32_dpp v4, v2 row_shr:1 row_mask:0xf bank_mask:0xf
	v_cmp_eq_u32_e64 s0, 0, v62
	v_cmp_lt_u32_e64 s1, 1, v62
	v_cmp_lt_u32_e64 s9, 3, v62
	;; [unrolled: 1-line block ×3, first 2 shown]
	v_cmp_eq_u32_e64 s11, 0, v64
	s_wait_alu 0xf1ff
	v_cndmask_b32_e64 v4, v4, 0, s0
	s_delay_alu instid0(VALU_DEP_1) | instskip(NEXT) | instid1(VALU_DEP_1)
	v_add_nc_u32_e32 v2, v4, v2
	v_mov_b32_dpp v4, v2 row_shr:2 row_mask:0xf bank_mask:0xf
	s_delay_alu instid0(VALU_DEP_1) | instskip(NEXT) | instid1(VALU_DEP_1)
	v_cndmask_b32_e64 v4, 0, v4, s1
	v_add_nc_u32_e32 v2, v2, v4
	s_delay_alu instid0(VALU_DEP_1) | instskip(NEXT) | instid1(VALU_DEP_1)
	v_mov_b32_dpp v4, v2 row_shr:4 row_mask:0xf bank_mask:0xf
	v_cndmask_b32_e64 v4, 0, v4, s9
	s_delay_alu instid0(VALU_DEP_1) | instskip(NEXT) | instid1(VALU_DEP_1)
	v_add_nc_u32_e32 v2, v2, v4
	v_mov_b32_dpp v4, v2 row_shr:8 row_mask:0xf bank_mask:0xf
	s_delay_alu instid0(VALU_DEP_1) | instskip(NEXT) | instid1(VALU_DEP_1)
	v_cndmask_b32_e64 v4, 0, v4, s10
	v_add_nc_u32_e32 v2, v2, v4
	ds_swizzle_b32 v4, v2 offset:swizzle(BROADCAST,32,15)
	s_wait_dscnt 0x0
	v_and_b32_e32 v4, v63, v4
	s_delay_alu instid0(VALU_DEP_1)
	v_add_nc_u32_e32 v2, v2, v4
	s_and_saveexec_b32 s12, s3
; %bb.227:                              ;   in Loop: Header=BB221_20 Depth=1
	ds_store_b32 v41, v2
; %bb.228:                              ;   in Loop: Header=BB221_20 Depth=1
	s_wait_alu 0xfffe
	s_or_b32 exec_lo, exec_lo, s12
	s_wait_loadcnt_dscnt 0x0
	s_barrier_signal -1
	s_barrier_wait -1
	global_inv scope:SCOPE_SE
	s_and_saveexec_b32 s12, s4
	s_cbranch_execz .LBB221_230
; %bb.229:                              ;   in Loop: Header=BB221_20 Depth=1
	ds_load_b32 v4, v42
	v_cmp_ne_u32_e32 vcc_lo, 0, v65
	s_wait_dscnt 0x0
	v_mov_b32_dpp v5, v4 row_shr:1 row_mask:0xf bank_mask:0xf
	s_wait_alu 0xfffd
	s_delay_alu instid0(VALU_DEP_1) | instskip(SKIP_1) | instid1(VALU_DEP_2)
	v_cndmask_b32_e32 v5, 0, v5, vcc_lo
	v_cmp_lt_u32_e32 vcc_lo, 1, v65
	v_add_nc_u32_e32 v4, v5, v4
	s_delay_alu instid0(VALU_DEP_1) | instskip(SKIP_1) | instid1(VALU_DEP_1)
	v_mov_b32_dpp v5, v4 row_shr:2 row_mask:0xf bank_mask:0xf
	s_wait_alu 0xfffd
	v_cndmask_b32_e32 v5, 0, v5, vcc_lo
	v_cmp_lt_u32_e32 vcc_lo, 3, v65
	s_delay_alu instid0(VALU_DEP_2) | instskip(NEXT) | instid1(VALU_DEP_1)
	v_add_nc_u32_e32 v4, v4, v5
	v_mov_b32_dpp v5, v4 row_shr:4 row_mask:0xf bank_mask:0xf
	s_wait_alu 0xfffd
	s_delay_alu instid0(VALU_DEP_1) | instskip(NEXT) | instid1(VALU_DEP_1)
	v_cndmask_b32_e32 v5, 0, v5, vcc_lo
	v_add_nc_u32_e32 v4, v4, v5
	ds_store_b32 v42, v4
.LBB221_230:                            ;   in Loop: Header=BB221_20 Depth=1
	s_wait_alu 0xfffe
	s_or_b32 exec_lo, exec_lo, s12
	v_mov_b32_e32 v4, 0
	s_wait_loadcnt_dscnt 0x0
	s_barrier_signal -1
	s_barrier_wait -1
	global_inv scope:SCOPE_SE
	s_and_saveexec_b32 s12, s5
; %bb.231:                              ;   in Loop: Header=BB221_20 Depth=1
	ds_load_b32 v4, v43
; %bb.232:                              ;   in Loop: Header=BB221_20 Depth=1
	s_wait_alu 0xfffe
	s_or_b32 exec_lo, exec_lo, s12
	v_cmp_gt_i32_e32 vcc_lo, 0, v67
	s_wait_dscnt 0x0
	v_add_nc_u32_e32 v2, v4, v2
	s_wait_loadcnt 0x0
	s_barrier_signal -1
	s_barrier_wait -1
	s_wait_alu 0xfffd
	v_cndmask_b32_e32 v5, v67, v58, vcc_lo
	global_inv scope:SCOPE_SE
	v_lshlrev_b32_e32 v80, 2, v5
	ds_bpermute_b32 v2, v80, v2
	s_and_saveexec_b32 s12, s2
	s_cbranch_execz .LBB221_234
; %bb.233:                              ;   in Loop: Header=BB221_20 Depth=1
	s_wait_dscnt 0x0
	v_cndmask_b32_e64 v2, v2, v4, s8
	s_delay_alu instid0(VALU_DEP_1)
	v_add_nc_u32_e32 v2, s33, v2
	ds_store_b32 v28, v2
.LBB221_234:                            ;   in Loop: Header=BB221_20 Depth=1
	s_wait_alu 0xfffe
	s_or_b32 exec_lo, exec_lo, s12
	s_load_b64 s[12:13], s[28:29], 0x0
	v_add_co_u32 v81, vcc_lo, v50, v66
	s_wait_alu 0xfffd
	v_add_co_ci_u32_e64 v82, null, 0, v51, vcc_lo
	v_add_co_u32 v83, vcc_lo, v52, v58
	s_wait_alu 0xfffd
	v_add_co_ci_u32_e64 v84, null, 0, v53, vcc_lo
	s_mov_b32 s42, s47
                                        ; implicit-def: $vgpr6_vgpr7
                                        ; implicit-def: $vgpr8_vgpr9
                                        ; implicit-def: $vgpr10_vgpr11
                                        ; implicit-def: $vgpr12_vgpr13
                                        ; implicit-def: $vgpr14_vgpr15
                                        ; implicit-def: $vgpr16_vgpr17
                                        ; implicit-def: $vgpr18_vgpr19
                                        ; implicit-def: $vgpr86
                                        ; implicit-def: $vgpr87
                                        ; implicit-def: $vgpr88
                                        ; implicit-def: $vgpr89
                                        ; implicit-def: $vgpr90
                                        ; implicit-def: $vgpr91
                                        ; implicit-def: $vgpr92
                                        ; implicit-def: $vgpr93
	s_wait_kmcnt 0x0
	s_cmp_lt_u32 ttmp7, s13
	s_cselect_b32 s22, 14, 20
	s_cmp_lt_u32 ttmp9, s12
	s_wait_alu 0xfffe
	s_add_nc_u64 s[14:15], s[28:29], s[22:23]
	s_cselect_b32 s22, 12, 18
	s_load_u16 s14, s[14:15], 0x0
	s_add_nc_u64 s[12:13], s[28:29], s[22:23]
	s_mov_b32 s22, s33
	s_load_u16 s12, s[12:13], 0x0
	v_cmp_lt_u32_e64 s13, 1, v65
	s_wait_dscnt 0x0
	s_wait_kmcnt 0x0
	v_mad_u32_u24 v2, v44, s14, v0
	v_cmp_lt_u32_e64 s14, 3, v65
	s_delay_alu instid0(VALU_DEP_2) | instskip(SKIP_1) | instid1(VALU_DEP_2)
	v_mad_co_u64_u32 v[4:5], null, v2, s12, v[1:2]
	v_cmp_eq_u32_e64 s12, 0, v65
	v_lshrrev_b32_e32 v2, 3, v4
                                        ; implicit-def: $vgpr4_vgpr5
	s_delay_alu instid0(VALU_DEP_1)
	v_and_b32_e32 v85, 0x1ffffffc, v2
	s_branch .LBB221_236
.LBB221_235:                            ;   in Loop: Header=BB221_236 Depth=2
	s_wait_alu 0xfffe
	s_or_b32 exec_lo, exec_lo, s15
	s_addk_co_i32 s42, 0xf800
	s_cmp_lt_u32 s43, s34
	s_mov_b32 s22, s43
	s_cbranch_scc0 .LBB221_348
.LBB221_236:                            ;   Parent Loop BB221_20 Depth=1
                                        ; =>  This Inner Loop Header: Depth=2
	s_wait_alu 0xfffe
	s_add_co_i32 s43, s22, 0x800
	s_wait_alu 0xfffe
	s_cmp_gt_u32 s43, s34
	s_cbranch_scc1 .LBB221_238
; %bb.237:                              ;   in Loop: Header=BB221_236 Depth=2
	v_add_co_u32 v20, vcc_lo, v83, s22
	s_wait_alu 0xfffd
	v_add_co_ci_u32_e64 v21, null, 0, v84, vcc_lo
	s_mov_b32 s15, -1
	s_clause 0x6
	global_load_u8 v94, v[20:21], off
	global_load_u8 v95, v[20:21], off offset:32
	global_load_u8 v96, v[20:21], off offset:64
	;; [unrolled: 1-line block ×6, first 2 shown]
	s_movk_i32 s16, 0x800
	s_cbranch_execz .LBB221_239
	s_branch .LBB221_254
.LBB221_238:                            ;   in Loop: Header=BB221_236 Depth=2
	s_mov_b32 s15, 0
                                        ; implicit-def: $vgpr94
                                        ; implicit-def: $vgpr95
                                        ; implicit-def: $vgpr96
                                        ; implicit-def: $vgpr97
                                        ; implicit-def: $vgpr98
                                        ; implicit-def: $vgpr99
                                        ; implicit-def: $vgpr100
	s_movk_i32 s16, 0x800
.LBB221_239:                            ;   in Loop: Header=BB221_236 Depth=2
	v_add_co_u32 v20, vcc_lo, v83, s22
	s_wait_alu 0xfffd
	v_add_co_ci_u32_e64 v21, null, 0, v84, vcc_lo
	s_wait_loadcnt 0x5
	v_dual_mov_b32 v95, 0xff :: v_dual_mov_b32 v94, 0xff
	s_mov_b32 s15, exec_lo
	v_cmpx_gt_u32_e64 s42, v68
	s_cbranch_execz .LBB221_241
; %bb.240:                              ;   in Loop: Header=BB221_236 Depth=2
	global_load_u8 v94, v[20:21], off
.LBB221_241:                            ;   in Loop: Header=BB221_236 Depth=2
	s_wait_alu 0xfffe
	s_or_b32 exec_lo, exec_lo, s15
	s_delay_alu instid0(SALU_CYCLE_1)
	s_mov_b32 s15, exec_lo
	v_cmpx_gt_u32_e64 s42, v71
	s_cbranch_execz .LBB221_243
; %bb.242:                              ;   in Loop: Header=BB221_236 Depth=2
	global_load_u8 v95, v[20:21], off offset:32
.LBB221_243:                            ;   in Loop: Header=BB221_236 Depth=2
	s_wait_alu 0xfffe
	s_or_b32 exec_lo, exec_lo, s15
	s_wait_loadcnt 0x3
	v_dual_mov_b32 v97, 0xff :: v_dual_mov_b32 v96, 0xff
	s_mov_b32 s15, exec_lo
	v_cmpx_gt_u32_e64 s42, v72
	s_cbranch_execz .LBB221_245
; %bb.244:                              ;   in Loop: Header=BB221_236 Depth=2
	global_load_u8 v96, v[20:21], off offset:64
.LBB221_245:                            ;   in Loop: Header=BB221_236 Depth=2
	s_wait_alu 0xfffe
	s_or_b32 exec_lo, exec_lo, s15
	s_delay_alu instid0(SALU_CYCLE_1)
	s_mov_b32 s15, exec_lo
	v_cmpx_gt_u32_e64 s42, v73
	s_cbranch_execz .LBB221_247
; %bb.246:                              ;   in Loop: Header=BB221_236 Depth=2
	global_load_u8 v97, v[20:21], off offset:96
.LBB221_247:                            ;   in Loop: Header=BB221_236 Depth=2
	s_wait_alu 0xfffe
	s_or_b32 exec_lo, exec_lo, s15
	s_wait_loadcnt 0x1
	v_dual_mov_b32 v99, 0xff :: v_dual_mov_b32 v98, 0xff
	s_mov_b32 s15, exec_lo
	v_cmpx_gt_u32_e64 s42, v74
	s_cbranch_execz .LBB221_249
; %bb.248:                              ;   in Loop: Header=BB221_236 Depth=2
	global_load_u8 v98, v[20:21], off offset:128
.LBB221_249:                            ;   in Loop: Header=BB221_236 Depth=2
	s_wait_alu 0xfffe
	s_or_b32 exec_lo, exec_lo, s15
	s_delay_alu instid0(SALU_CYCLE_1)
	s_mov_b32 s15, exec_lo
	v_cmpx_gt_u32_e64 s42, v75
	s_cbranch_execz .LBB221_251
; %bb.250:                              ;   in Loop: Header=BB221_236 Depth=2
	global_load_u8 v99, v[20:21], off offset:160
.LBB221_251:                            ;   in Loop: Header=BB221_236 Depth=2
	s_wait_alu 0xfffe
	s_or_b32 exec_lo, exec_lo, s15
	s_wait_loadcnt 0x0
	v_mov_b32_e32 v100, 0xff
	s_mov_b32 s15, exec_lo
	v_cmpx_gt_u32_e64 s42, v76
	s_cbranch_execz .LBB221_253
; %bb.252:                              ;   in Loop: Header=BB221_236 Depth=2
	global_load_u8 v100, v[20:21], off offset:192
.LBB221_253:                            ;   in Loop: Header=BB221_236 Depth=2
	s_wait_alu 0xfffe
	s_or_b32 exec_lo, exec_lo, s15
	v_cmp_gt_u32_e64 s15, s42, v77
	s_sub_co_i32 s16, s34, s22
.LBB221_254:                            ;   in Loop: Header=BB221_236 Depth=2
	v_dual_mov_b32 v101, 0xff :: v_dual_mov_b32 v2, s42
	s_wait_alu 0xfffe
	s_and_saveexec_b32 s17, s15
	s_cbranch_execz .LBB221_256
; %bb.255:                              ;   in Loop: Header=BB221_236 Depth=2
	v_add_co_u32 v20, vcc_lo, v83, s22
	s_wait_alu 0xfffd
	v_add_co_ci_u32_e64 v21, null, s23, v84, vcc_lo
	v_mov_b32_e32 v2, s16
	global_load_u8 v101, v[20:21], off offset:224
.LBB221_256:                            ;   in Loop: Header=BB221_236 Depth=2
	s_wait_alu 0xfffe
	s_or_b32 exec_lo, exec_lo, s17
	s_wait_loadcnt 0x6
	v_and_b32_e32 v20, 0xff, v94
	v_add_nc_u32_e32 v104, 0x420, v45
	v_add_nc_u32_e32 v105, 0x428, v45
	;; [unrolled: 1-line block ×3, first 2 shown]
	s_delay_alu instid0(VALU_DEP_4) | instskip(NEXT) | instid1(VALU_DEP_1)
	v_lshrrev_b32_e32 v20, s30, v20
	v_and_b32_e32 v21, s31, v20
	s_delay_alu instid0(VALU_DEP_1)
	v_and_b32_e32 v20, 1, v21
	v_lshlrev_b32_e32 v22, 30, v21
	v_lshlrev_b32_e32 v23, 29, v21
	;; [unrolled: 1-line block ×4, first 2 shown]
	v_add_co_u32 v20, s15, v20, -1
	s_wait_alu 0xf1ff
	v_cndmask_b32_e64 v25, 0, 1, s15
	v_not_b32_e32 v103, v22
	v_cmp_gt_i32_e64 s15, 0, v22
	v_not_b32_e32 v22, v23
	v_lshlrev_b32_e32 v27, 26, v21
	v_cmp_ne_u32_e32 vcc_lo, 0, v25
	v_ashrrev_i32_e32 v103, 31, v103
	v_lshlrev_b32_e32 v102, 25, v21
	v_ashrrev_i32_e32 v22, 31, v22
	v_lshlrev_b32_e32 v25, 24, v21
	s_wait_alu 0xfffd
	v_xor_b32_e32 v20, vcc_lo, v20
	v_cmp_gt_i32_e32 vcc_lo, 0, v23
	v_not_b32_e32 v23, v24
	s_wait_alu 0xf1ff
	v_xor_b32_e32 v103, s15, v103
	v_cmp_gt_i32_e64 s15, 0, v24
	v_and_b32_e32 v20, exec_lo, v20
	v_not_b32_e32 v24, v26
	v_ashrrev_i32_e32 v23, 31, v23
	s_wait_alu 0xfffd
	v_xor_b32_e32 v22, vcc_lo, v22
	v_cmp_gt_i32_e32 vcc_lo, 0, v26
	v_and_b32_e32 v20, v20, v103
	v_not_b32_e32 v26, v27
	v_ashrrev_i32_e32 v24, 31, v24
	s_wait_alu 0xf1ff
	v_xor_b32_e32 v23, s15, v23
	v_cmp_gt_i32_e64 s15, 0, v27
	v_and_b32_e32 v20, v20, v22
	v_not_b32_e32 v22, v102
	v_ashrrev_i32_e32 v26, 31, v26
	s_wait_alu 0xfffd
	v_xor_b32_e32 v24, vcc_lo, v24
	v_cmp_gt_i32_e32 vcc_lo, 0, v102
	v_and_b32_e32 v20, v20, v23
	v_not_b32_e32 v23, v25
	v_ashrrev_i32_e32 v22, 31, v22
	s_wait_alu 0xf1ff
	v_xor_b32_e32 v26, s15, v26
	v_cmp_gt_i32_e64 s15, 0, v25
	v_and_b32_e32 v20, v20, v24
	v_ashrrev_i32_e32 v23, 31, v23
	s_wait_alu 0xfffd
	v_xor_b32_e32 v22, vcc_lo, v22
	v_mul_u32_u24_e32 v21, 36, v21
	v_add_nc_u32_e32 v103, 0x438, v45
	v_and_b32_e32 v20, v20, v26
	s_wait_alu 0xf1ff
	v_xor_b32_e32 v23, s15, v23
	v_add_nc_u32_e32 v107, v85, v21
	ds_store_2addr_b32 v103, v3, v3 offset1:1
	v_and_b32_e32 v20, v20, v22
	ds_store_2addr_b32 v104, v3, v3 offset1:1
	ds_store_2addr_b32 v105, v3, v3 offset1:1
	;; [unrolled: 1-line block ×3, first 2 shown]
	ds_store_b32 v45, v3 offset:1088
	s_wait_loadcnt_dscnt 0x0
	s_barrier_signal -1
	s_barrier_wait -1
	v_and_b32_e32 v20, v20, v23
	global_inv scope:SCOPE_SE
	; wave barrier
	v_mbcnt_lo_u32_b32 v102, v20, 0
	v_cmp_ne_u32_e64 s15, 0, v20
	s_delay_alu instid0(VALU_DEP_2)
	v_cmp_eq_u32_e32 vcc_lo, 0, v102
	s_and_b32 s16, s15, vcc_lo
	s_wait_alu 0xfffe
	s_and_saveexec_b32 s15, s16
; %bb.257:                              ;   in Loop: Header=BB221_236 Depth=2
	v_bcnt_u32_b32 v20, v20, 0
	ds_store_b32 v107, v20 offset:1056
; %bb.258:                              ;   in Loop: Header=BB221_236 Depth=2
	s_wait_alu 0xfffe
	s_or_b32 exec_lo, exec_lo, s15
	v_and_b32_e32 v20, 0xff, v95
	; wave barrier
	s_delay_alu instid0(VALU_DEP_1) | instskip(NEXT) | instid1(VALU_DEP_1)
	v_lshrrev_b32_e32 v20, s30, v20
	v_and_b32_e32 v21, s31, v20
	s_delay_alu instid0(VALU_DEP_1)
	v_and_b32_e32 v20, 1, v21
	v_lshlrev_b32_e32 v22, 30, v21
	v_lshlrev_b32_e32 v23, 29, v21
	;; [unrolled: 1-line block ×4, first 2 shown]
	v_add_co_u32 v20, s15, v20, -1
	s_wait_alu 0xf1ff
	v_cndmask_b32_e64 v25, 0, 1, s15
	v_not_b32_e32 v109, v22
	v_cmp_gt_i32_e64 s15, 0, v22
	v_not_b32_e32 v22, v23
	v_lshlrev_b32_e32 v27, 26, v21
	v_cmp_ne_u32_e32 vcc_lo, 0, v25
	v_ashrrev_i32_e32 v109, 31, v109
	v_lshlrev_b32_e32 v108, 25, v21
	v_ashrrev_i32_e32 v22, 31, v22
	v_lshlrev_b32_e32 v25, 24, v21
	s_wait_alu 0xfffd
	v_xor_b32_e32 v20, vcc_lo, v20
	v_cmp_gt_i32_e32 vcc_lo, 0, v23
	v_not_b32_e32 v23, v24
	s_wait_alu 0xf1ff
	v_xor_b32_e32 v109, s15, v109
	v_cmp_gt_i32_e64 s15, 0, v24
	v_and_b32_e32 v20, exec_lo, v20
	v_not_b32_e32 v24, v26
	v_ashrrev_i32_e32 v23, 31, v23
	s_wait_alu 0xfffd
	v_xor_b32_e32 v22, vcc_lo, v22
	v_cmp_gt_i32_e32 vcc_lo, 0, v26
	v_and_b32_e32 v20, v20, v109
	v_not_b32_e32 v26, v27
	v_ashrrev_i32_e32 v24, 31, v24
	s_wait_alu 0xf1ff
	v_xor_b32_e32 v23, s15, v23
	v_cmp_gt_i32_e64 s15, 0, v27
	v_and_b32_e32 v20, v20, v22
	v_not_b32_e32 v22, v108
	v_ashrrev_i32_e32 v26, 31, v26
	s_wait_alu 0xfffd
	v_xor_b32_e32 v24, vcc_lo, v24
	v_cmp_gt_i32_e32 vcc_lo, 0, v108
	v_and_b32_e32 v20, v20, v23
	v_not_b32_e32 v23, v25
	v_ashrrev_i32_e32 v22, 31, v22
	s_wait_alu 0xf1ff
	v_xor_b32_e32 v26, s15, v26
	v_cmp_gt_i32_e64 s15, 0, v25
	v_and_b32_e32 v20, v20, v24
	v_ashrrev_i32_e32 v23, 31, v23
	s_wait_alu 0xfffd
	v_xor_b32_e32 v22, vcc_lo, v22
	v_mad_u32_u24 v24, v21, 36, v85
	v_mul_u32_u24_e32 v21, 36, v21
	v_and_b32_e32 v20, v20, v26
	s_wait_alu 0xf1ff
	v_xor_b32_e32 v23, s15, v23
	ds_load_b32 v108, v24 offset:1056
	v_add_nc_u32_e32 v110, v85, v21
	v_and_b32_e32 v20, v20, v22
	; wave barrier
	s_delay_alu instid0(VALU_DEP_1) | instskip(NEXT) | instid1(VALU_DEP_1)
	v_and_b32_e32 v20, v20, v23
	v_mbcnt_lo_u32_b32 v109, v20, 0
	v_cmp_ne_u32_e64 s15, 0, v20
	s_delay_alu instid0(VALU_DEP_2)
	v_cmp_eq_u32_e32 vcc_lo, 0, v109
	s_and_b32 s16, s15, vcc_lo
	s_wait_alu 0xfffe
	s_and_saveexec_b32 s15, s16
	s_cbranch_execz .LBB221_260
; %bb.259:                              ;   in Loop: Header=BB221_236 Depth=2
	s_wait_dscnt 0x0
	v_bcnt_u32_b32 v20, v20, v108
	ds_store_b32 v110, v20 offset:1056
.LBB221_260:                            ;   in Loop: Header=BB221_236 Depth=2
	s_wait_alu 0xfffe
	s_or_b32 exec_lo, exec_lo, s15
	v_and_b32_e32 v20, 0xff, v96
	; wave barrier
	s_delay_alu instid0(VALU_DEP_1) | instskip(NEXT) | instid1(VALU_DEP_1)
	v_lshrrev_b32_e32 v20, s30, v20
	v_and_b32_e32 v21, s31, v20
	s_delay_alu instid0(VALU_DEP_1)
	v_and_b32_e32 v20, 1, v21
	v_lshlrev_b32_e32 v22, 30, v21
	v_lshlrev_b32_e32 v23, 29, v21
	v_lshlrev_b32_e32 v24, 28, v21
	v_lshlrev_b32_e32 v26, 27, v21
	v_add_co_u32 v20, s15, v20, -1
	s_wait_alu 0xf1ff
	v_cndmask_b32_e64 v25, 0, 1, s15
	v_not_b32_e32 v112, v22
	v_cmp_gt_i32_e64 s15, 0, v22
	v_not_b32_e32 v22, v23
	v_lshlrev_b32_e32 v27, 26, v21
	v_cmp_ne_u32_e32 vcc_lo, 0, v25
	v_ashrrev_i32_e32 v112, 31, v112
	v_lshlrev_b32_e32 v111, 25, v21
	v_ashrrev_i32_e32 v22, 31, v22
	v_lshlrev_b32_e32 v25, 24, v21
	s_wait_alu 0xfffd
	v_xor_b32_e32 v20, vcc_lo, v20
	v_cmp_gt_i32_e32 vcc_lo, 0, v23
	v_not_b32_e32 v23, v24
	s_wait_alu 0xf1ff
	v_xor_b32_e32 v112, s15, v112
	v_cmp_gt_i32_e64 s15, 0, v24
	v_and_b32_e32 v20, exec_lo, v20
	v_not_b32_e32 v24, v26
	v_ashrrev_i32_e32 v23, 31, v23
	s_wait_alu 0xfffd
	v_xor_b32_e32 v22, vcc_lo, v22
	v_cmp_gt_i32_e32 vcc_lo, 0, v26
	v_and_b32_e32 v20, v20, v112
	v_not_b32_e32 v26, v27
	v_ashrrev_i32_e32 v24, 31, v24
	s_wait_alu 0xf1ff
	v_xor_b32_e32 v23, s15, v23
	v_cmp_gt_i32_e64 s15, 0, v27
	v_and_b32_e32 v20, v20, v22
	v_not_b32_e32 v22, v111
	v_ashrrev_i32_e32 v26, 31, v26
	s_wait_alu 0xfffd
	v_xor_b32_e32 v24, vcc_lo, v24
	v_cmp_gt_i32_e32 vcc_lo, 0, v111
	v_and_b32_e32 v20, v20, v23
	v_not_b32_e32 v23, v25
	v_ashrrev_i32_e32 v22, 31, v22
	s_wait_alu 0xf1ff
	v_xor_b32_e32 v26, s15, v26
	v_cmp_gt_i32_e64 s15, 0, v25
	v_and_b32_e32 v20, v20, v24
	v_ashrrev_i32_e32 v23, 31, v23
	s_wait_alu 0xfffd
	v_xor_b32_e32 v22, vcc_lo, v22
	v_mad_u32_u24 v24, v21, 36, v85
	v_mul_u32_u24_e32 v21, 36, v21
	v_and_b32_e32 v20, v20, v26
	s_wait_alu 0xf1ff
	v_xor_b32_e32 v23, s15, v23
	ds_load_b32 v111, v24 offset:1056
	v_add_nc_u32_e32 v113, v85, v21
	v_and_b32_e32 v20, v20, v22
	; wave barrier
	s_delay_alu instid0(VALU_DEP_1) | instskip(NEXT) | instid1(VALU_DEP_1)
	v_and_b32_e32 v20, v20, v23
	v_mbcnt_lo_u32_b32 v112, v20, 0
	v_cmp_ne_u32_e64 s15, 0, v20
	s_delay_alu instid0(VALU_DEP_2)
	v_cmp_eq_u32_e32 vcc_lo, 0, v112
	s_and_b32 s16, s15, vcc_lo
	s_wait_alu 0xfffe
	s_and_saveexec_b32 s15, s16
	s_cbranch_execz .LBB221_262
; %bb.261:                              ;   in Loop: Header=BB221_236 Depth=2
	s_wait_dscnt 0x0
	v_bcnt_u32_b32 v20, v20, v111
	ds_store_b32 v113, v20 offset:1056
.LBB221_262:                            ;   in Loop: Header=BB221_236 Depth=2
	s_wait_alu 0xfffe
	s_or_b32 exec_lo, exec_lo, s15
	v_and_b32_e32 v20, 0xff, v97
	; wave barrier
	s_delay_alu instid0(VALU_DEP_1) | instskip(NEXT) | instid1(VALU_DEP_1)
	v_lshrrev_b32_e32 v20, s30, v20
	v_and_b32_e32 v21, s31, v20
	s_delay_alu instid0(VALU_DEP_1)
	v_and_b32_e32 v20, 1, v21
	v_lshlrev_b32_e32 v22, 30, v21
	v_lshlrev_b32_e32 v23, 29, v21
	;; [unrolled: 1-line block ×4, first 2 shown]
	v_add_co_u32 v20, s15, v20, -1
	s_wait_alu 0xf1ff
	v_cndmask_b32_e64 v25, 0, 1, s15
	v_not_b32_e32 v115, v22
	v_cmp_gt_i32_e64 s15, 0, v22
	v_not_b32_e32 v22, v23
	v_lshlrev_b32_e32 v27, 26, v21
	v_cmp_ne_u32_e32 vcc_lo, 0, v25
	v_ashrrev_i32_e32 v115, 31, v115
	v_lshlrev_b32_e32 v114, 25, v21
	v_ashrrev_i32_e32 v22, 31, v22
	v_lshlrev_b32_e32 v25, 24, v21
	s_wait_alu 0xfffd
	v_xor_b32_e32 v20, vcc_lo, v20
	v_cmp_gt_i32_e32 vcc_lo, 0, v23
	v_not_b32_e32 v23, v24
	s_wait_alu 0xf1ff
	v_xor_b32_e32 v115, s15, v115
	v_cmp_gt_i32_e64 s15, 0, v24
	v_and_b32_e32 v20, exec_lo, v20
	v_not_b32_e32 v24, v26
	v_ashrrev_i32_e32 v23, 31, v23
	s_wait_alu 0xfffd
	v_xor_b32_e32 v22, vcc_lo, v22
	v_cmp_gt_i32_e32 vcc_lo, 0, v26
	v_and_b32_e32 v20, v20, v115
	v_not_b32_e32 v26, v27
	v_ashrrev_i32_e32 v24, 31, v24
	s_wait_alu 0xf1ff
	v_xor_b32_e32 v23, s15, v23
	v_cmp_gt_i32_e64 s15, 0, v27
	v_and_b32_e32 v20, v20, v22
	v_not_b32_e32 v22, v114
	v_ashrrev_i32_e32 v26, 31, v26
	s_wait_alu 0xfffd
	v_xor_b32_e32 v24, vcc_lo, v24
	v_cmp_gt_i32_e32 vcc_lo, 0, v114
	v_and_b32_e32 v20, v20, v23
	v_not_b32_e32 v23, v25
	v_ashrrev_i32_e32 v22, 31, v22
	s_wait_alu 0xf1ff
	v_xor_b32_e32 v26, s15, v26
	v_cmp_gt_i32_e64 s15, 0, v25
	v_and_b32_e32 v20, v20, v24
	v_ashrrev_i32_e32 v23, 31, v23
	s_wait_alu 0xfffd
	v_xor_b32_e32 v22, vcc_lo, v22
	v_mad_u32_u24 v24, v21, 36, v85
	v_mul_u32_u24_e32 v21, 36, v21
	v_and_b32_e32 v20, v20, v26
	s_wait_alu 0xf1ff
	v_xor_b32_e32 v23, s15, v23
	ds_load_b32 v114, v24 offset:1056
	v_add_nc_u32_e32 v116, v85, v21
	v_and_b32_e32 v20, v20, v22
	; wave barrier
	s_delay_alu instid0(VALU_DEP_1) | instskip(NEXT) | instid1(VALU_DEP_1)
	v_and_b32_e32 v20, v20, v23
	v_mbcnt_lo_u32_b32 v115, v20, 0
	v_cmp_ne_u32_e64 s15, 0, v20
	s_delay_alu instid0(VALU_DEP_2)
	v_cmp_eq_u32_e32 vcc_lo, 0, v115
	s_and_b32 s16, s15, vcc_lo
	s_wait_alu 0xfffe
	s_and_saveexec_b32 s15, s16
	s_cbranch_execz .LBB221_264
; %bb.263:                              ;   in Loop: Header=BB221_236 Depth=2
	s_wait_dscnt 0x0
	v_bcnt_u32_b32 v20, v20, v114
	ds_store_b32 v116, v20 offset:1056
.LBB221_264:                            ;   in Loop: Header=BB221_236 Depth=2
	s_wait_alu 0xfffe
	s_or_b32 exec_lo, exec_lo, s15
	v_and_b32_e32 v20, 0xff, v98
	; wave barrier
	s_delay_alu instid0(VALU_DEP_1) | instskip(NEXT) | instid1(VALU_DEP_1)
	v_lshrrev_b32_e32 v20, s30, v20
	v_and_b32_e32 v21, s31, v20
	s_delay_alu instid0(VALU_DEP_1)
	v_and_b32_e32 v20, 1, v21
	v_lshlrev_b32_e32 v22, 30, v21
	v_lshlrev_b32_e32 v23, 29, v21
	;; [unrolled: 1-line block ×4, first 2 shown]
	v_add_co_u32 v20, s15, v20, -1
	s_wait_alu 0xf1ff
	v_cndmask_b32_e64 v25, 0, 1, s15
	v_not_b32_e32 v118, v22
	v_cmp_gt_i32_e64 s15, 0, v22
	v_not_b32_e32 v22, v23
	v_lshlrev_b32_e32 v27, 26, v21
	v_cmp_ne_u32_e32 vcc_lo, 0, v25
	v_ashrrev_i32_e32 v118, 31, v118
	v_lshlrev_b32_e32 v117, 25, v21
	v_ashrrev_i32_e32 v22, 31, v22
	v_lshlrev_b32_e32 v25, 24, v21
	s_wait_alu 0xfffd
	v_xor_b32_e32 v20, vcc_lo, v20
	v_cmp_gt_i32_e32 vcc_lo, 0, v23
	v_not_b32_e32 v23, v24
	s_wait_alu 0xf1ff
	v_xor_b32_e32 v118, s15, v118
	v_cmp_gt_i32_e64 s15, 0, v24
	v_and_b32_e32 v20, exec_lo, v20
	v_not_b32_e32 v24, v26
	v_ashrrev_i32_e32 v23, 31, v23
	s_wait_alu 0xfffd
	v_xor_b32_e32 v22, vcc_lo, v22
	v_cmp_gt_i32_e32 vcc_lo, 0, v26
	v_and_b32_e32 v20, v20, v118
	v_not_b32_e32 v26, v27
	v_ashrrev_i32_e32 v24, 31, v24
	s_wait_alu 0xf1ff
	v_xor_b32_e32 v23, s15, v23
	v_cmp_gt_i32_e64 s15, 0, v27
	v_and_b32_e32 v20, v20, v22
	v_not_b32_e32 v22, v117
	v_ashrrev_i32_e32 v26, 31, v26
	s_wait_alu 0xfffd
	v_xor_b32_e32 v24, vcc_lo, v24
	v_cmp_gt_i32_e32 vcc_lo, 0, v117
	v_and_b32_e32 v20, v20, v23
	v_not_b32_e32 v23, v25
	v_ashrrev_i32_e32 v22, 31, v22
	s_wait_alu 0xf1ff
	v_xor_b32_e32 v26, s15, v26
	v_cmp_gt_i32_e64 s15, 0, v25
	v_and_b32_e32 v20, v20, v24
	v_ashrrev_i32_e32 v23, 31, v23
	s_wait_alu 0xfffd
	v_xor_b32_e32 v22, vcc_lo, v22
	v_mad_u32_u24 v24, v21, 36, v85
	v_mul_u32_u24_e32 v21, 36, v21
	v_and_b32_e32 v20, v20, v26
	s_wait_alu 0xf1ff
	v_xor_b32_e32 v23, s15, v23
	ds_load_b32 v117, v24 offset:1056
	v_add_nc_u32_e32 v119, v85, v21
	v_and_b32_e32 v20, v20, v22
	; wave barrier
	s_delay_alu instid0(VALU_DEP_1) | instskip(NEXT) | instid1(VALU_DEP_1)
	v_and_b32_e32 v20, v20, v23
	v_mbcnt_lo_u32_b32 v118, v20, 0
	v_cmp_ne_u32_e64 s15, 0, v20
	s_delay_alu instid0(VALU_DEP_2)
	v_cmp_eq_u32_e32 vcc_lo, 0, v118
	s_and_b32 s16, s15, vcc_lo
	s_wait_alu 0xfffe
	s_and_saveexec_b32 s15, s16
	s_cbranch_execz .LBB221_266
; %bb.265:                              ;   in Loop: Header=BB221_236 Depth=2
	s_wait_dscnt 0x0
	v_bcnt_u32_b32 v20, v20, v117
	ds_store_b32 v119, v20 offset:1056
.LBB221_266:                            ;   in Loop: Header=BB221_236 Depth=2
	s_wait_alu 0xfffe
	s_or_b32 exec_lo, exec_lo, s15
	v_and_b32_e32 v20, 0xff, v99
	; wave barrier
	s_delay_alu instid0(VALU_DEP_1) | instskip(NEXT) | instid1(VALU_DEP_1)
	v_lshrrev_b32_e32 v20, s30, v20
	v_and_b32_e32 v21, s31, v20
	s_delay_alu instid0(VALU_DEP_1)
	v_and_b32_e32 v20, 1, v21
	v_lshlrev_b32_e32 v22, 30, v21
	v_lshlrev_b32_e32 v23, 29, v21
	;; [unrolled: 1-line block ×4, first 2 shown]
	v_add_co_u32 v20, s15, v20, -1
	s_wait_alu 0xf1ff
	v_cndmask_b32_e64 v25, 0, 1, s15
	v_not_b32_e32 v121, v22
	v_cmp_gt_i32_e64 s15, 0, v22
	v_not_b32_e32 v22, v23
	v_lshlrev_b32_e32 v27, 26, v21
	v_cmp_ne_u32_e32 vcc_lo, 0, v25
	v_ashrrev_i32_e32 v121, 31, v121
	v_lshlrev_b32_e32 v120, 25, v21
	v_ashrrev_i32_e32 v22, 31, v22
	v_lshlrev_b32_e32 v25, 24, v21
	s_wait_alu 0xfffd
	v_xor_b32_e32 v20, vcc_lo, v20
	v_cmp_gt_i32_e32 vcc_lo, 0, v23
	v_not_b32_e32 v23, v24
	s_wait_alu 0xf1ff
	v_xor_b32_e32 v121, s15, v121
	v_cmp_gt_i32_e64 s15, 0, v24
	v_and_b32_e32 v20, exec_lo, v20
	v_not_b32_e32 v24, v26
	v_ashrrev_i32_e32 v23, 31, v23
	s_wait_alu 0xfffd
	v_xor_b32_e32 v22, vcc_lo, v22
	v_cmp_gt_i32_e32 vcc_lo, 0, v26
	v_and_b32_e32 v20, v20, v121
	v_not_b32_e32 v26, v27
	v_ashrrev_i32_e32 v24, 31, v24
	s_wait_alu 0xf1ff
	v_xor_b32_e32 v23, s15, v23
	v_cmp_gt_i32_e64 s15, 0, v27
	v_and_b32_e32 v20, v20, v22
	v_not_b32_e32 v22, v120
	v_ashrrev_i32_e32 v26, 31, v26
	s_wait_alu 0xfffd
	v_xor_b32_e32 v24, vcc_lo, v24
	v_cmp_gt_i32_e32 vcc_lo, 0, v120
	v_and_b32_e32 v20, v20, v23
	v_not_b32_e32 v23, v25
	v_ashrrev_i32_e32 v22, 31, v22
	s_wait_alu 0xf1ff
	v_xor_b32_e32 v26, s15, v26
	v_cmp_gt_i32_e64 s15, 0, v25
	v_and_b32_e32 v20, v20, v24
	v_ashrrev_i32_e32 v23, 31, v23
	s_wait_alu 0xfffd
	v_xor_b32_e32 v22, vcc_lo, v22
	v_mad_u32_u24 v24, v21, 36, v85
	v_mul_u32_u24_e32 v21, 36, v21
	v_and_b32_e32 v20, v20, v26
	s_wait_alu 0xf1ff
	v_xor_b32_e32 v23, s15, v23
	ds_load_b32 v120, v24 offset:1056
	v_add_nc_u32_e32 v122, v85, v21
	v_and_b32_e32 v20, v20, v22
	; wave barrier
	s_delay_alu instid0(VALU_DEP_1) | instskip(NEXT) | instid1(VALU_DEP_1)
	v_and_b32_e32 v20, v20, v23
	v_mbcnt_lo_u32_b32 v121, v20, 0
	v_cmp_ne_u32_e64 s15, 0, v20
	s_delay_alu instid0(VALU_DEP_2)
	v_cmp_eq_u32_e32 vcc_lo, 0, v121
	s_and_b32 s16, s15, vcc_lo
	s_wait_alu 0xfffe
	s_and_saveexec_b32 s15, s16
	s_cbranch_execz .LBB221_268
; %bb.267:                              ;   in Loop: Header=BB221_236 Depth=2
	s_wait_dscnt 0x0
	v_bcnt_u32_b32 v20, v20, v120
	ds_store_b32 v122, v20 offset:1056
.LBB221_268:                            ;   in Loop: Header=BB221_236 Depth=2
	s_wait_alu 0xfffe
	s_or_b32 exec_lo, exec_lo, s15
	v_and_b32_e32 v20, 0xff, v100
	; wave barrier
	s_delay_alu instid0(VALU_DEP_1) | instskip(NEXT) | instid1(VALU_DEP_1)
	v_lshrrev_b32_e32 v20, s30, v20
	v_and_b32_e32 v21, s31, v20
	s_delay_alu instid0(VALU_DEP_1)
	v_and_b32_e32 v20, 1, v21
	v_lshlrev_b32_e32 v22, 30, v21
	v_lshlrev_b32_e32 v23, 29, v21
	;; [unrolled: 1-line block ×4, first 2 shown]
	v_add_co_u32 v20, s15, v20, -1
	s_wait_alu 0xf1ff
	v_cndmask_b32_e64 v25, 0, 1, s15
	v_not_b32_e32 v124, v22
	v_cmp_gt_i32_e64 s15, 0, v22
	v_not_b32_e32 v22, v23
	v_lshlrev_b32_e32 v27, 26, v21
	v_cmp_ne_u32_e32 vcc_lo, 0, v25
	v_ashrrev_i32_e32 v124, 31, v124
	v_lshlrev_b32_e32 v123, 25, v21
	v_ashrrev_i32_e32 v22, 31, v22
	v_lshlrev_b32_e32 v25, 24, v21
	s_wait_alu 0xfffd
	v_xor_b32_e32 v20, vcc_lo, v20
	v_cmp_gt_i32_e32 vcc_lo, 0, v23
	v_not_b32_e32 v23, v24
	s_wait_alu 0xf1ff
	v_xor_b32_e32 v124, s15, v124
	v_cmp_gt_i32_e64 s15, 0, v24
	v_and_b32_e32 v20, exec_lo, v20
	v_not_b32_e32 v24, v26
	v_ashrrev_i32_e32 v23, 31, v23
	s_wait_alu 0xfffd
	v_xor_b32_e32 v22, vcc_lo, v22
	v_cmp_gt_i32_e32 vcc_lo, 0, v26
	v_and_b32_e32 v20, v20, v124
	v_not_b32_e32 v26, v27
	v_ashrrev_i32_e32 v24, 31, v24
	s_wait_alu 0xf1ff
	v_xor_b32_e32 v23, s15, v23
	v_cmp_gt_i32_e64 s15, 0, v27
	v_and_b32_e32 v20, v20, v22
	v_not_b32_e32 v22, v123
	v_ashrrev_i32_e32 v26, 31, v26
	s_wait_alu 0xfffd
	v_xor_b32_e32 v24, vcc_lo, v24
	v_cmp_gt_i32_e32 vcc_lo, 0, v123
	v_and_b32_e32 v20, v20, v23
	v_not_b32_e32 v23, v25
	v_ashrrev_i32_e32 v22, 31, v22
	s_wait_alu 0xf1ff
	v_xor_b32_e32 v26, s15, v26
	v_cmp_gt_i32_e64 s15, 0, v25
	v_and_b32_e32 v20, v20, v24
	v_ashrrev_i32_e32 v23, 31, v23
	s_wait_alu 0xfffd
	v_xor_b32_e32 v22, vcc_lo, v22
	v_mad_u32_u24 v24, v21, 36, v85
	v_mul_u32_u24_e32 v21, 36, v21
	v_and_b32_e32 v20, v20, v26
	s_wait_alu 0xf1ff
	v_xor_b32_e32 v23, s15, v23
	ds_load_b32 v123, v24 offset:1056
	v_add_nc_u32_e32 v125, v85, v21
	v_and_b32_e32 v20, v20, v22
	; wave barrier
	s_delay_alu instid0(VALU_DEP_1) | instskip(NEXT) | instid1(VALU_DEP_1)
	v_and_b32_e32 v20, v20, v23
	v_mbcnt_lo_u32_b32 v124, v20, 0
	v_cmp_ne_u32_e64 s15, 0, v20
	s_delay_alu instid0(VALU_DEP_2)
	v_cmp_eq_u32_e32 vcc_lo, 0, v124
	s_and_b32 s16, s15, vcc_lo
	s_wait_alu 0xfffe
	s_and_saveexec_b32 s15, s16
	s_cbranch_execz .LBB221_270
; %bb.269:                              ;   in Loop: Header=BB221_236 Depth=2
	s_wait_dscnt 0x0
	v_bcnt_u32_b32 v20, v20, v123
	ds_store_b32 v125, v20 offset:1056
.LBB221_270:                            ;   in Loop: Header=BB221_236 Depth=2
	s_wait_alu 0xfffe
	s_or_b32 exec_lo, exec_lo, s15
	v_and_b32_e32 v20, 0xff, v101
	; wave barrier
	s_delay_alu instid0(VALU_DEP_1) | instskip(NEXT) | instid1(VALU_DEP_1)
	v_lshrrev_b32_e32 v20, s30, v20
	v_and_b32_e32 v21, s31, v20
	s_delay_alu instid0(VALU_DEP_1)
	v_and_b32_e32 v20, 1, v21
	v_lshlrev_b32_e32 v22, 30, v21
	v_lshlrev_b32_e32 v23, 29, v21
	;; [unrolled: 1-line block ×4, first 2 shown]
	v_add_co_u32 v20, s15, v20, -1
	s_wait_alu 0xf1ff
	v_cndmask_b32_e64 v25, 0, 1, s15
	v_not_b32_e32 v127, v22
	v_cmp_gt_i32_e64 s15, 0, v22
	v_not_b32_e32 v22, v23
	v_lshlrev_b32_e32 v27, 26, v21
	v_cmp_ne_u32_e32 vcc_lo, 0, v25
	v_ashrrev_i32_e32 v127, 31, v127
	v_lshlrev_b32_e32 v126, 25, v21
	v_ashrrev_i32_e32 v22, 31, v22
	v_lshlrev_b32_e32 v25, 24, v21
	s_wait_alu 0xfffd
	v_xor_b32_e32 v20, vcc_lo, v20
	v_cmp_gt_i32_e32 vcc_lo, 0, v23
	v_not_b32_e32 v23, v24
	s_wait_alu 0xf1ff
	v_xor_b32_e32 v127, s15, v127
	v_cmp_gt_i32_e64 s15, 0, v24
	v_and_b32_e32 v20, exec_lo, v20
	v_not_b32_e32 v24, v26
	v_ashrrev_i32_e32 v23, 31, v23
	s_wait_alu 0xfffd
	v_xor_b32_e32 v22, vcc_lo, v22
	v_cmp_gt_i32_e32 vcc_lo, 0, v26
	v_and_b32_e32 v20, v20, v127
	v_not_b32_e32 v26, v27
	v_ashrrev_i32_e32 v24, 31, v24
	s_wait_alu 0xf1ff
	v_xor_b32_e32 v23, s15, v23
	v_cmp_gt_i32_e64 s15, 0, v27
	v_and_b32_e32 v20, v20, v22
	v_not_b32_e32 v22, v126
	v_ashrrev_i32_e32 v26, 31, v26
	s_wait_alu 0xfffd
	v_xor_b32_e32 v24, vcc_lo, v24
	v_cmp_gt_i32_e32 vcc_lo, 0, v126
	v_and_b32_e32 v20, v20, v23
	v_not_b32_e32 v23, v25
	v_ashrrev_i32_e32 v22, 31, v22
	s_wait_alu 0xf1ff
	v_xor_b32_e32 v26, s15, v26
	v_cmp_gt_i32_e64 s15, 0, v25
	v_and_b32_e32 v20, v20, v24
	v_ashrrev_i32_e32 v23, 31, v23
	s_wait_alu 0xfffd
	v_xor_b32_e32 v22, vcc_lo, v22
	v_mad_u32_u24 v24, v21, 36, v85
	v_mul_u32_u24_e32 v21, 36, v21
	v_and_b32_e32 v20, v20, v26
	s_wait_alu 0xf1ff
	v_xor_b32_e32 v23, s15, v23
	ds_load_b32 v126, v24 offset:1056
	v_add_nc_u32_e32 v128, v85, v21
	v_and_b32_e32 v20, v20, v22
	; wave barrier
	s_delay_alu instid0(VALU_DEP_1) | instskip(NEXT) | instid1(VALU_DEP_1)
	v_and_b32_e32 v20, v20, v23
	v_mbcnt_lo_u32_b32 v127, v20, 0
	v_cmp_ne_u32_e64 s15, 0, v20
	s_delay_alu instid0(VALU_DEP_2)
	v_cmp_eq_u32_e32 vcc_lo, 0, v127
	s_and_b32 s16, s15, vcc_lo
	s_wait_alu 0xfffe
	s_and_saveexec_b32 s15, s16
	s_cbranch_execz .LBB221_272
; %bb.271:                              ;   in Loop: Header=BB221_236 Depth=2
	s_wait_dscnt 0x0
	v_bcnt_u32_b32 v20, v20, v126
	ds_store_b32 v128, v20 offset:1056
.LBB221_272:                            ;   in Loop: Header=BB221_236 Depth=2
	s_wait_alu 0xfffe
	s_or_b32 exec_lo, exec_lo, s15
	; wave barrier
	s_wait_loadcnt_dscnt 0x0
	s_barrier_signal -1
	s_barrier_wait -1
	global_inv scope:SCOPE_SE
	ds_load_2addr_b32 v[26:27], v104 offset1:1
	ds_load_2addr_b32 v[24:25], v105 offset1:1
	;; [unrolled: 1-line block ×4, first 2 shown]
	ds_load_b32 v129, v45 offset:1088
	s_wait_dscnt 0x3
	v_add3_u32 v130, v27, v26, v24
	s_wait_dscnt 0x2
	s_delay_alu instid0(VALU_DEP_1) | instskip(SKIP_1) | instid1(VALU_DEP_1)
	v_add3_u32 v130, v130, v25, v22
	s_wait_dscnt 0x1
	v_add3_u32 v130, v130, v23, v20
	s_wait_dscnt 0x0
	s_delay_alu instid0(VALU_DEP_1) | instskip(NEXT) | instid1(VALU_DEP_1)
	v_add3_u32 v129, v130, v21, v129
	v_mov_b32_dpp v130, v129 row_shr:1 row_mask:0xf bank_mask:0xf
	s_delay_alu instid0(VALU_DEP_1) | instskip(NEXT) | instid1(VALU_DEP_1)
	v_cndmask_b32_e64 v130, v130, 0, s0
	v_add_nc_u32_e32 v129, v130, v129
	s_delay_alu instid0(VALU_DEP_1) | instskip(NEXT) | instid1(VALU_DEP_1)
	v_mov_b32_dpp v130, v129 row_shr:2 row_mask:0xf bank_mask:0xf
	v_cndmask_b32_e64 v130, 0, v130, s1
	s_delay_alu instid0(VALU_DEP_1) | instskip(NEXT) | instid1(VALU_DEP_1)
	v_add_nc_u32_e32 v129, v129, v130
	v_mov_b32_dpp v130, v129 row_shr:4 row_mask:0xf bank_mask:0xf
	s_delay_alu instid0(VALU_DEP_1) | instskip(NEXT) | instid1(VALU_DEP_1)
	v_cndmask_b32_e64 v130, 0, v130, s9
	v_add_nc_u32_e32 v129, v129, v130
	s_delay_alu instid0(VALU_DEP_1) | instskip(NEXT) | instid1(VALU_DEP_1)
	v_mov_b32_dpp v130, v129 row_shr:8 row_mask:0xf bank_mask:0xf
	v_cndmask_b32_e64 v130, 0, v130, s10
	s_delay_alu instid0(VALU_DEP_1) | instskip(SKIP_3) | instid1(VALU_DEP_1)
	v_add_nc_u32_e32 v129, v129, v130
	ds_swizzle_b32 v130, v129 offset:swizzle(BROADCAST,32,15)
	s_wait_dscnt 0x0
	v_cndmask_b32_e64 v130, v130, 0, s11
	v_add_nc_u32_e32 v129, v129, v130
	s_and_saveexec_b32 s15, s3
; %bb.273:                              ;   in Loop: Header=BB221_236 Depth=2
	ds_store_b32 v38, v129 offset:1024
; %bb.274:                              ;   in Loop: Header=BB221_236 Depth=2
	s_wait_alu 0xfffe
	s_or_b32 exec_lo, exec_lo, s15
	s_wait_loadcnt_dscnt 0x0
	s_barrier_signal -1
	s_barrier_wait -1
	global_inv scope:SCOPE_SE
	s_and_saveexec_b32 s15, s4
	s_cbranch_execz .LBB221_276
; %bb.275:                              ;   in Loop: Header=BB221_236 Depth=2
	v_add_nc_u32_e32 v130, v45, v46
	ds_load_b32 v131, v130 offset:1024
	s_wait_dscnt 0x0
	v_mov_b32_dpp v132, v131 row_shr:1 row_mask:0xf bank_mask:0xf
	s_delay_alu instid0(VALU_DEP_1) | instskip(NEXT) | instid1(VALU_DEP_1)
	v_cndmask_b32_e64 v132, v132, 0, s12
	v_add_nc_u32_e32 v131, v132, v131
	s_delay_alu instid0(VALU_DEP_1) | instskip(NEXT) | instid1(VALU_DEP_1)
	v_mov_b32_dpp v132, v131 row_shr:2 row_mask:0xf bank_mask:0xf
	v_cndmask_b32_e64 v132, 0, v132, s13
	s_delay_alu instid0(VALU_DEP_1) | instskip(NEXT) | instid1(VALU_DEP_1)
	v_add_nc_u32_e32 v131, v131, v132
	v_mov_b32_dpp v132, v131 row_shr:4 row_mask:0xf bank_mask:0xf
	s_delay_alu instid0(VALU_DEP_1) | instskip(NEXT) | instid1(VALU_DEP_1)
	v_cndmask_b32_e64 v132, 0, v132, s14
	v_add_nc_u32_e32 v131, v131, v132
	ds_store_b32 v130, v131 offset:1024
.LBB221_276:                            ;   in Loop: Header=BB221_236 Depth=2
	s_wait_alu 0xfffe
	s_or_b32 exec_lo, exec_lo, s15
	v_mov_b32_e32 v130, 0
	s_wait_loadcnt_dscnt 0x0
	s_barrier_signal -1
	s_barrier_wait -1
	global_inv scope:SCOPE_SE
	s_and_saveexec_b32 s15, s5
; %bb.277:                              ;   in Loop: Header=BB221_236 Depth=2
	ds_load_b32 v130, v38 offset:1020
; %bb.278:                              ;   in Loop: Header=BB221_236 Depth=2
	s_wait_alu 0xfffe
	s_or_b32 exec_lo, exec_lo, s15
	s_wait_dscnt 0x0
	v_add_nc_u32_e32 v129, v130, v129
	ds_bpermute_b32 v129, v80, v129
	s_wait_dscnt 0x0
	v_cndmask_b32_e64 v129, v129, v130, s8
	s_delay_alu instid0(VALU_DEP_1) | instskip(NEXT) | instid1(VALU_DEP_1)
	v_cndmask_b32_e64 v129, v129, 0, s6
	v_add_nc_u32_e32 v26, v129, v26
	s_delay_alu instid0(VALU_DEP_1) | instskip(NEXT) | instid1(VALU_DEP_1)
	v_add_nc_u32_e32 v27, v26, v27
	v_add_nc_u32_e32 v24, v27, v24
	s_delay_alu instid0(VALU_DEP_1) | instskip(NEXT) | instid1(VALU_DEP_1)
	v_add_nc_u32_e32 v25, v24, v25
	;; [unrolled: 3-line block ×3, first 2 shown]
	v_add_nc_u32_e32 v20, v23, v20
	s_delay_alu instid0(VALU_DEP_1)
	v_add_nc_u32_e32 v21, v20, v21
	ds_store_2addr_b32 v103, v23, v20 offset1:1
	ds_store_2addr_b32 v104, v129, v26 offset1:1
	;; [unrolled: 1-line block ×4, first 2 shown]
	ds_store_b32 v45, v21 offset:1088
	s_wait_loadcnt_dscnt 0x0
	s_barrier_signal -1
	s_barrier_wait -1
	global_inv scope:SCOPE_SE
	ds_load_b32 v20, v107 offset:1056
	ds_load_b32 v21, v110 offset:1056
	ds_load_b32 v23, v113 offset:1056
	ds_load_b32 v24, v116 offset:1056
	ds_load_b32 v25, v119 offset:1056
	ds_load_b32 v105, v122 offset:1056
	ds_load_b32 v106, v125 offset:1056
	ds_load_b32 v107, v128 offset:1056
	ds_load_b32 v26, v45 offset:1056
	v_mov_b32_e32 v22, 0x800
	s_and_saveexec_b32 s15, s7
; %bb.279:                              ;   in Loop: Header=BB221_236 Depth=2
	ds_load_b32 v22, v45 offset:1092
; %bb.280:                              ;   in Loop: Header=BB221_236 Depth=2
	s_wait_alu 0xfffe
	s_or_b32 exec_lo, exec_lo, s15
	s_wait_loadcnt_dscnt 0x0
	s_barrier_signal -1
	s_barrier_wait -1
	global_inv scope:SCOPE_SE
	s_and_saveexec_b32 s15, s2
	s_cbranch_execz .LBB221_282
; %bb.281:                              ;   in Loop: Header=BB221_236 Depth=2
	ds_load_b32 v27, v28
	s_wait_dscnt 0x0
	v_sub_nc_u32_e32 v26, v27, v26
	ds_store_b32 v28, v26
.LBB221_282:                            ;   in Loop: Header=BB221_236 Depth=2
	s_wait_alu 0xfffe
	s_or_b32 exec_lo, exec_lo, s15
	v_add_nc_u32_e32 v104, v20, v102
	v_add3_u32 v103, v109, v108, v21
	v_add3_u32 v102, v112, v111, v23
	;; [unrolled: 1-line block ×7, first 2 shown]
	v_cmp_lt_u32_e64 s21, v1, v2
	ds_store_b8 v104, v94 offset:1024
	ds_store_b8 v103, v95 offset:1024
	;; [unrolled: 1-line block ×8, first 2 shown]
	s_wait_loadcnt_dscnt 0x0
	s_barrier_signal -1
	s_barrier_wait -1
	global_inv scope:SCOPE_SE
	s_and_saveexec_b32 s15, s21
	s_cbranch_execnz .LBB221_319
; %bb.283:                              ;   in Loop: Header=BB221_236 Depth=2
	s_wait_alu 0xfffe
	s_or_b32 exec_lo, exec_lo, s15
	v_cmp_lt_u32_e64 s20, v29, v2
	s_and_saveexec_b32 s15, s20
	s_cbranch_execnz .LBB221_320
.LBB221_284:                            ;   in Loop: Header=BB221_236 Depth=2
	s_wait_alu 0xfffe
	s_or_b32 exec_lo, exec_lo, s15
	v_cmp_lt_u32_e64 s19, v30, v2
	s_and_saveexec_b32 s15, s19
	s_cbranch_execnz .LBB221_321
.LBB221_285:                            ;   in Loop: Header=BB221_236 Depth=2
	s_wait_alu 0xfffe
	s_or_b32 exec_lo, exec_lo, s15
	v_cmp_lt_u32_e64 s18, v31, v2
	s_and_saveexec_b32 s15, s18
	s_cbranch_execnz .LBB221_322
.LBB221_286:                            ;   in Loop: Header=BB221_236 Depth=2
	s_wait_alu 0xfffe
	s_or_b32 exec_lo, exec_lo, s15
	v_cmp_lt_u32_e64 s17, v34, v2
	s_and_saveexec_b32 s15, s17
	s_cbranch_execnz .LBB221_323
.LBB221_287:                            ;   in Loop: Header=BB221_236 Depth=2
	s_wait_alu 0xfffe
	s_or_b32 exec_lo, exec_lo, s15
	v_cmp_lt_u32_e64 s16, v35, v2
	s_and_saveexec_b32 s15, s16
	s_cbranch_execnz .LBB221_324
.LBB221_288:                            ;   in Loop: Header=BB221_236 Depth=2
	s_wait_alu 0xfffe
	s_or_b32 exec_lo, exec_lo, s15
	v_cmp_lt_u32_e64 s15, v36, v2
	s_and_saveexec_b32 s44, s15
	s_cbranch_execnz .LBB221_325
.LBB221_289:                            ;   in Loop: Header=BB221_236 Depth=2
	s_wait_alu 0xfffe
	s_or_b32 exec_lo, exec_lo, s44
	v_cmp_lt_u32_e32 vcc_lo, v37, v2
	s_and_saveexec_b32 s44, vcc_lo
	s_cbranch_execz .LBB221_291
.LBB221_290:                            ;   in Loop: Header=BB221_236 Depth=2
	ds_load_u8 v20, v1 offset:2816
	s_wait_dscnt 0x0
	v_and_b32_e32 v21, 0xff, v20
	s_delay_alu instid0(VALU_DEP_1) | instskip(NEXT) | instid1(VALU_DEP_1)
	v_lshrrev_b32_e32 v21, s30, v21
	v_and_b32_e32 v21, s31, v21
	s_delay_alu instid0(VALU_DEP_1)
	v_lshlrev_b32_e32 v21, 2, v21
	ds_load_b32 v21, v21
	s_wait_dscnt 0x0
	v_add_nc_u32_e32 v21, v21, v37
	global_store_b8 v21, v20, s[40:41]
.LBB221_291:                            ;   in Loop: Header=BB221_236 Depth=2
	s_wait_alu 0xfffe
	s_or_b32 exec_lo, exec_lo, s44
	s_lshl_b64 s[48:49], s[22:23], 3
	s_wait_alu 0xfffe
	v_add_co_u32 v20, s22, v81, s48
	s_wait_alu 0xf1ff
	v_add_co_ci_u32_e64 v21, null, s49, v82, s22
	v_cmp_lt_u32_e64 s22, v68, v2
	s_and_saveexec_b32 s44, s22
	s_wait_alu 0xfffe
	s_xor_b32 s22, exec_lo, s44
	s_cbranch_execnz .LBB221_326
; %bb.292:                              ;   in Loop: Header=BB221_236 Depth=2
	s_wait_alu 0xfffe
	s_or_b32 exec_lo, exec_lo, s22
	s_delay_alu instid0(SALU_CYCLE_1)
	s_mov_b32 s44, exec_lo
	v_cmpx_lt_u32_e64 v71, v2
	s_cbranch_execnz .LBB221_327
.LBB221_293:                            ;   in Loop: Header=BB221_236 Depth=2
	s_wait_alu 0xfffe
	s_or_b32 exec_lo, exec_lo, s44
	s_delay_alu instid0(SALU_CYCLE_1)
	s_mov_b32 s44, exec_lo
	v_cmpx_lt_u32_e64 v72, v2
	s_cbranch_execnz .LBB221_328
.LBB221_294:                            ;   in Loop: Header=BB221_236 Depth=2
	s_wait_alu 0xfffe
	s_or_b32 exec_lo, exec_lo, s44
	s_delay_alu instid0(SALU_CYCLE_1)
	s_mov_b32 s44, exec_lo
	v_cmpx_lt_u32_e64 v73, v2
	s_cbranch_execnz .LBB221_329
.LBB221_295:                            ;   in Loop: Header=BB221_236 Depth=2
	s_wait_alu 0xfffe
	s_or_b32 exec_lo, exec_lo, s44
	s_delay_alu instid0(SALU_CYCLE_1)
	s_mov_b32 s44, exec_lo
	v_cmpx_lt_u32_e64 v74, v2
	s_cbranch_execnz .LBB221_330
.LBB221_296:                            ;   in Loop: Header=BB221_236 Depth=2
	s_wait_alu 0xfffe
	s_or_b32 exec_lo, exec_lo, s44
	s_delay_alu instid0(SALU_CYCLE_1)
	s_mov_b32 s44, exec_lo
	v_cmpx_lt_u32_e64 v75, v2
	s_cbranch_execnz .LBB221_331
.LBB221_297:                            ;   in Loop: Header=BB221_236 Depth=2
	s_wait_alu 0xfffe
	s_or_b32 exec_lo, exec_lo, s44
	s_delay_alu instid0(SALU_CYCLE_1)
	s_mov_b32 s44, exec_lo
	v_cmpx_lt_u32_e64 v76, v2
	s_cbranch_execnz .LBB221_332
.LBB221_298:                            ;   in Loop: Header=BB221_236 Depth=2
	s_wait_alu 0xfffe
	s_or_b32 exec_lo, exec_lo, s44
	s_delay_alu instid0(SALU_CYCLE_1)
	s_mov_b32 s44, exec_lo
	v_cmpx_lt_u32_e64 v77, v2
	s_cbranch_execnz .LBB221_333
.LBB221_299:                            ;   in Loop: Header=BB221_236 Depth=2
	s_wait_alu 0xfffe
	s_or_b32 exec_lo, exec_lo, s44
	s_and_saveexec_b32 s22, s21
	s_cbranch_execnz .LBB221_334
.LBB221_300:                            ;   in Loop: Header=BB221_236 Depth=2
	s_wait_alu 0xfffe
	s_or_b32 exec_lo, exec_lo, s22
	s_and_saveexec_b32 s22, s20
	s_cbranch_execnz .LBB221_335
.LBB221_301:                            ;   in Loop: Header=BB221_236 Depth=2
	s_wait_alu 0xfffe
	s_or_b32 exec_lo, exec_lo, s22
	s_and_saveexec_b32 s22, s19
	s_cbranch_execnz .LBB221_336
.LBB221_302:                            ;   in Loop: Header=BB221_236 Depth=2
	s_wait_alu 0xfffe
	s_or_b32 exec_lo, exec_lo, s22
	s_and_saveexec_b32 s22, s18
	s_cbranch_execnz .LBB221_337
.LBB221_303:                            ;   in Loop: Header=BB221_236 Depth=2
	s_wait_alu 0xfffe
	s_or_b32 exec_lo, exec_lo, s22
	s_and_saveexec_b32 s22, s17
	s_cbranch_execnz .LBB221_338
.LBB221_304:                            ;   in Loop: Header=BB221_236 Depth=2
	s_wait_alu 0xfffe
	s_or_b32 exec_lo, exec_lo, s22
	s_and_saveexec_b32 s22, s16
	s_cbranch_execnz .LBB221_339
.LBB221_305:                            ;   in Loop: Header=BB221_236 Depth=2
	s_wait_alu 0xfffe
	s_or_b32 exec_lo, exec_lo, s22
	s_and_saveexec_b32 s22, s15
	s_cbranch_execnz .LBB221_340
.LBB221_306:                            ;   in Loop: Header=BB221_236 Depth=2
	s_wait_alu 0xfffe
	s_or_b32 exec_lo, exec_lo, s22
	s_and_saveexec_b32 s22, vcc_lo
	s_cbranch_execz .LBB221_308
.LBB221_307:                            ;   in Loop: Header=BB221_236 Depth=2
	ds_load_u8 v2, v1 offset:2816
	s_wait_dscnt 0x0
	v_lshrrev_b32_e32 v2, s30, v2
	s_delay_alu instid0(VALU_DEP_1)
	v_and_b32_e32 v86, s31, v2
.LBB221_308:                            ;   in Loop: Header=BB221_236 Depth=2
	s_wait_alu 0xfffe
	s_or_b32 exec_lo, exec_lo, s22
	v_lshlrev_b32_e32 v2, 3, v104
	v_lshlrev_b32_e32 v20, 3, v103
	v_lshlrev_b32_e32 v21, 3, v102
	s_wait_loadcnt 0x0
	s_wait_storecnt 0x0
	s_barrier_signal -1
	s_barrier_wait -1
	global_inv scope:SCOPE_SE
	ds_store_b64 v2, v[18:19] offset:1024
	ds_store_b64 v20, v[16:17] offset:1024
	;; [unrolled: 1-line block ×3, first 2 shown]
	v_lshlrev_b32_e32 v2, 3, v27
	v_lshlrev_b32_e32 v20, 3, v26
	v_lshlrev_b32_e32 v21, 3, v25
	v_lshlrev_b32_e32 v24, 3, v24
	v_lshlrev_b32_e32 v23, 3, v23
	ds_store_b64 v2, v[12:13] offset:1024
	ds_store_b64 v20, v[10:11] offset:1024
	;; [unrolled: 1-line block ×5, first 2 shown]
	s_wait_loadcnt_dscnt 0x0
	s_barrier_signal -1
	s_barrier_wait -1
	global_inv scope:SCOPE_SE
	s_and_saveexec_b32 s22, s21
	s_cbranch_execnz .LBB221_341
; %bb.309:                              ;   in Loop: Header=BB221_236 Depth=2
	s_wait_alu 0xfffe
	s_or_b32 exec_lo, exec_lo, s22
	s_and_saveexec_b32 s21, s20
	s_cbranch_execnz .LBB221_342
.LBB221_310:                            ;   in Loop: Header=BB221_236 Depth=2
	s_wait_alu 0xfffe
	s_or_b32 exec_lo, exec_lo, s21
	s_and_saveexec_b32 s20, s19
	s_cbranch_execnz .LBB221_343
.LBB221_311:                            ;   in Loop: Header=BB221_236 Depth=2
	s_wait_alu 0xfffe
	s_or_b32 exec_lo, exec_lo, s20
	s_and_saveexec_b32 s19, s18
	s_cbranch_execnz .LBB221_344
.LBB221_312:                            ;   in Loop: Header=BB221_236 Depth=2
	s_wait_alu 0xfffe
	s_or_b32 exec_lo, exec_lo, s19
	s_and_saveexec_b32 s18, s17
	s_cbranch_execnz .LBB221_345
.LBB221_313:                            ;   in Loop: Header=BB221_236 Depth=2
	s_wait_alu 0xfffe
	s_or_b32 exec_lo, exec_lo, s18
	s_and_saveexec_b32 s17, s16
	s_cbranch_execnz .LBB221_346
.LBB221_314:                            ;   in Loop: Header=BB221_236 Depth=2
	s_wait_alu 0xfffe
	s_or_b32 exec_lo, exec_lo, s17
	s_and_saveexec_b32 s16, s15
	s_cbranch_execnz .LBB221_347
.LBB221_315:                            ;   in Loop: Header=BB221_236 Depth=2
	s_wait_alu 0xfffe
	s_or_b32 exec_lo, exec_lo, s16
	s_and_saveexec_b32 s15, vcc_lo
	s_cbranch_execz .LBB221_317
.LBB221_316:                            ;   in Loop: Header=BB221_236 Depth=2
	v_lshlrev_b32_e32 v2, 2, v86
	v_add_nc_u32_e32 v20, v1, v47
	ds_load_b32 v2, v2
	ds_load_b64 v[20:21], v20 offset:15360
	s_wait_dscnt 0x1
	v_add_nc_u32_e32 v2, v2, v37
	s_delay_alu instid0(VALU_DEP_1) | instskip(NEXT) | instid1(VALU_DEP_1)
	v_lshlrev_b64_e32 v[23:24], 3, v[2:3]
	v_add_co_u32 v23, vcc_lo, s26, v23
	s_wait_alu 0xfffd
	s_delay_alu instid0(VALU_DEP_2)
	v_add_co_ci_u32_e64 v24, null, s27, v24, vcc_lo
	s_wait_dscnt 0x0
	global_store_b64 v[23:24], v[20:21], off
.LBB221_317:                            ;   in Loop: Header=BB221_236 Depth=2
	s_wait_alu 0xfffe
	s_or_b32 exec_lo, exec_lo, s15
	s_wait_loadcnt 0x0
	s_wait_storecnt 0x0
	s_barrier_signal -1
	s_barrier_wait -1
	global_inv scope:SCOPE_SE
	s_and_saveexec_b32 s15, s2
	s_cbranch_execz .LBB221_235
; %bb.318:                              ;   in Loop: Header=BB221_236 Depth=2
	ds_load_b32 v2, v28
	s_wait_dscnt 0x0
	v_add_nc_u32_e32 v2, v2, v22
	ds_store_b32 v28, v2
	s_branch .LBB221_235
.LBB221_319:                            ;   in Loop: Header=BB221_236 Depth=2
	ds_load_u8 v20, v1 offset:1024
	s_wait_dscnt 0x0
	v_and_b32_e32 v21, 0xff, v20
	s_delay_alu instid0(VALU_DEP_1) | instskip(NEXT) | instid1(VALU_DEP_1)
	v_lshrrev_b32_e32 v21, s30, v21
	v_and_b32_e32 v21, s31, v21
	s_delay_alu instid0(VALU_DEP_1)
	v_lshlrev_b32_e32 v21, 2, v21
	ds_load_b32 v21, v21
	s_wait_dscnt 0x0
	v_add_nc_u32_e32 v21, v21, v1
	global_store_b8 v21, v20, s[40:41]
	s_wait_alu 0xfffe
	s_or_b32 exec_lo, exec_lo, s15
	v_cmp_lt_u32_e64 s20, v29, v2
	s_and_saveexec_b32 s15, s20
	s_cbranch_execz .LBB221_284
.LBB221_320:                            ;   in Loop: Header=BB221_236 Depth=2
	ds_load_u8 v20, v1 offset:1280
	s_wait_dscnt 0x0
	v_and_b32_e32 v21, 0xff, v20
	s_delay_alu instid0(VALU_DEP_1) | instskip(NEXT) | instid1(VALU_DEP_1)
	v_lshrrev_b32_e32 v21, s30, v21
	v_and_b32_e32 v21, s31, v21
	s_delay_alu instid0(VALU_DEP_1)
	v_lshlrev_b32_e32 v21, 2, v21
	ds_load_b32 v21, v21
	s_wait_dscnt 0x0
	v_add_nc_u32_e32 v21, v21, v29
	global_store_b8 v21, v20, s[40:41]
	s_wait_alu 0xfffe
	s_or_b32 exec_lo, exec_lo, s15
	v_cmp_lt_u32_e64 s19, v30, v2
	s_and_saveexec_b32 s15, s19
	s_cbranch_execz .LBB221_285
.LBB221_321:                            ;   in Loop: Header=BB221_236 Depth=2
	ds_load_u8 v20, v1 offset:1536
	s_wait_dscnt 0x0
	v_and_b32_e32 v21, 0xff, v20
	s_delay_alu instid0(VALU_DEP_1) | instskip(NEXT) | instid1(VALU_DEP_1)
	v_lshrrev_b32_e32 v21, s30, v21
	v_and_b32_e32 v21, s31, v21
	s_delay_alu instid0(VALU_DEP_1)
	v_lshlrev_b32_e32 v21, 2, v21
	ds_load_b32 v21, v21
	s_wait_dscnt 0x0
	v_add_nc_u32_e32 v21, v21, v30
	global_store_b8 v21, v20, s[40:41]
	s_wait_alu 0xfffe
	s_or_b32 exec_lo, exec_lo, s15
	v_cmp_lt_u32_e64 s18, v31, v2
	s_and_saveexec_b32 s15, s18
	s_cbranch_execz .LBB221_286
.LBB221_322:                            ;   in Loop: Header=BB221_236 Depth=2
	ds_load_u8 v20, v1 offset:1792
	s_wait_dscnt 0x0
	v_and_b32_e32 v21, 0xff, v20
	s_delay_alu instid0(VALU_DEP_1) | instskip(NEXT) | instid1(VALU_DEP_1)
	v_lshrrev_b32_e32 v21, s30, v21
	v_and_b32_e32 v21, s31, v21
	s_delay_alu instid0(VALU_DEP_1)
	v_lshlrev_b32_e32 v21, 2, v21
	ds_load_b32 v21, v21
	s_wait_dscnt 0x0
	v_add_nc_u32_e32 v21, v21, v31
	global_store_b8 v21, v20, s[40:41]
	s_wait_alu 0xfffe
	s_or_b32 exec_lo, exec_lo, s15
	v_cmp_lt_u32_e64 s17, v34, v2
	s_and_saveexec_b32 s15, s17
	s_cbranch_execz .LBB221_287
.LBB221_323:                            ;   in Loop: Header=BB221_236 Depth=2
	ds_load_u8 v20, v1 offset:2048
	s_wait_dscnt 0x0
	v_and_b32_e32 v21, 0xff, v20
	s_delay_alu instid0(VALU_DEP_1) | instskip(NEXT) | instid1(VALU_DEP_1)
	v_lshrrev_b32_e32 v21, s30, v21
	v_and_b32_e32 v21, s31, v21
	s_delay_alu instid0(VALU_DEP_1)
	v_lshlrev_b32_e32 v21, 2, v21
	ds_load_b32 v21, v21
	s_wait_dscnt 0x0
	v_add_nc_u32_e32 v21, v21, v34
	global_store_b8 v21, v20, s[40:41]
	s_wait_alu 0xfffe
	s_or_b32 exec_lo, exec_lo, s15
	v_cmp_lt_u32_e64 s16, v35, v2
	s_and_saveexec_b32 s15, s16
	s_cbranch_execz .LBB221_288
.LBB221_324:                            ;   in Loop: Header=BB221_236 Depth=2
	ds_load_u8 v20, v1 offset:2304
	s_wait_dscnt 0x0
	v_and_b32_e32 v21, 0xff, v20
	s_delay_alu instid0(VALU_DEP_1) | instskip(NEXT) | instid1(VALU_DEP_1)
	v_lshrrev_b32_e32 v21, s30, v21
	v_and_b32_e32 v21, s31, v21
	s_delay_alu instid0(VALU_DEP_1)
	v_lshlrev_b32_e32 v21, 2, v21
	ds_load_b32 v21, v21
	s_wait_dscnt 0x0
	v_add_nc_u32_e32 v21, v21, v35
	global_store_b8 v21, v20, s[40:41]
	s_wait_alu 0xfffe
	s_or_b32 exec_lo, exec_lo, s15
	v_cmp_lt_u32_e64 s15, v36, v2
	s_and_saveexec_b32 s44, s15
	s_cbranch_execz .LBB221_289
.LBB221_325:                            ;   in Loop: Header=BB221_236 Depth=2
	ds_load_u8 v20, v1 offset:2560
	s_wait_dscnt 0x0
	v_and_b32_e32 v21, 0xff, v20
	s_delay_alu instid0(VALU_DEP_1) | instskip(NEXT) | instid1(VALU_DEP_1)
	v_lshrrev_b32_e32 v21, s30, v21
	v_and_b32_e32 v21, s31, v21
	s_delay_alu instid0(VALU_DEP_1)
	v_lshlrev_b32_e32 v21, 2, v21
	ds_load_b32 v21, v21
	s_wait_dscnt 0x0
	v_add_nc_u32_e32 v21, v21, v36
	global_store_b8 v21, v20, s[40:41]
	s_wait_alu 0xfffe
	s_or_b32 exec_lo, exec_lo, s44
	v_cmp_lt_u32_e32 vcc_lo, v37, v2
	s_and_saveexec_b32 s44, vcc_lo
	s_cbranch_execnz .LBB221_290
	s_branch .LBB221_291
.LBB221_326:                            ;   in Loop: Header=BB221_236 Depth=2
	global_load_b64 v[18:19], v[20:21], off
	s_wait_alu 0xfffe
	s_or_b32 exec_lo, exec_lo, s22
	s_delay_alu instid0(SALU_CYCLE_1)
	s_mov_b32 s44, exec_lo
	v_cmpx_lt_u32_e64 v71, v2
	s_cbranch_execz .LBB221_293
.LBB221_327:                            ;   in Loop: Header=BB221_236 Depth=2
	global_load_b64 v[16:17], v[20:21], off offset:256
	s_wait_alu 0xfffe
	s_or_b32 exec_lo, exec_lo, s44
	s_delay_alu instid0(SALU_CYCLE_1)
	s_mov_b32 s44, exec_lo
	v_cmpx_lt_u32_e64 v72, v2
	s_cbranch_execz .LBB221_294
.LBB221_328:                            ;   in Loop: Header=BB221_236 Depth=2
	global_load_b64 v[14:15], v[20:21], off offset:512
	s_wait_alu 0xfffe
	s_or_b32 exec_lo, exec_lo, s44
	s_delay_alu instid0(SALU_CYCLE_1)
	s_mov_b32 s44, exec_lo
	v_cmpx_lt_u32_e64 v73, v2
	s_cbranch_execz .LBB221_295
.LBB221_329:                            ;   in Loop: Header=BB221_236 Depth=2
	global_load_b64 v[12:13], v[20:21], off offset:768
	s_wait_alu 0xfffe
	s_or_b32 exec_lo, exec_lo, s44
	s_delay_alu instid0(SALU_CYCLE_1)
	s_mov_b32 s44, exec_lo
	v_cmpx_lt_u32_e64 v74, v2
	s_cbranch_execz .LBB221_296
.LBB221_330:                            ;   in Loop: Header=BB221_236 Depth=2
	global_load_b64 v[10:11], v[20:21], off offset:1024
	s_wait_alu 0xfffe
	s_or_b32 exec_lo, exec_lo, s44
	s_delay_alu instid0(SALU_CYCLE_1)
	s_mov_b32 s44, exec_lo
	v_cmpx_lt_u32_e64 v75, v2
	s_cbranch_execz .LBB221_297
.LBB221_331:                            ;   in Loop: Header=BB221_236 Depth=2
	global_load_b64 v[8:9], v[20:21], off offset:1280
	s_wait_alu 0xfffe
	s_or_b32 exec_lo, exec_lo, s44
	s_delay_alu instid0(SALU_CYCLE_1)
	s_mov_b32 s44, exec_lo
	v_cmpx_lt_u32_e64 v76, v2
	s_cbranch_execz .LBB221_298
.LBB221_332:                            ;   in Loop: Header=BB221_236 Depth=2
	global_load_b64 v[6:7], v[20:21], off offset:1536
	s_wait_alu 0xfffe
	s_or_b32 exec_lo, exec_lo, s44
	s_delay_alu instid0(SALU_CYCLE_1)
	s_mov_b32 s44, exec_lo
	v_cmpx_lt_u32_e64 v77, v2
	s_cbranch_execz .LBB221_299
.LBB221_333:                            ;   in Loop: Header=BB221_236 Depth=2
	global_load_b64 v[4:5], v[20:21], off offset:1792
	s_wait_alu 0xfffe
	s_or_b32 exec_lo, exec_lo, s44
	s_and_saveexec_b32 s22, s21
	s_cbranch_execz .LBB221_300
.LBB221_334:                            ;   in Loop: Header=BB221_236 Depth=2
	ds_load_u8 v2, v1 offset:1024
	s_wait_dscnt 0x0
	v_lshrrev_b32_e32 v2, s30, v2
	s_delay_alu instid0(VALU_DEP_1)
	v_and_b32_e32 v93, s31, v2
	s_wait_alu 0xfffe
	s_or_b32 exec_lo, exec_lo, s22
	s_and_saveexec_b32 s22, s20
	s_cbranch_execz .LBB221_301
.LBB221_335:                            ;   in Loop: Header=BB221_236 Depth=2
	ds_load_u8 v2, v1 offset:1280
	s_wait_dscnt 0x0
	v_lshrrev_b32_e32 v2, s30, v2
	s_delay_alu instid0(VALU_DEP_1)
	v_and_b32_e32 v92, s31, v2
	s_wait_alu 0xfffe
	s_or_b32 exec_lo, exec_lo, s22
	s_and_saveexec_b32 s22, s19
	s_cbranch_execz .LBB221_302
.LBB221_336:                            ;   in Loop: Header=BB221_236 Depth=2
	ds_load_u8 v2, v1 offset:1536
	s_wait_dscnt 0x0
	v_lshrrev_b32_e32 v2, s30, v2
	s_delay_alu instid0(VALU_DEP_1)
	v_and_b32_e32 v91, s31, v2
	s_wait_alu 0xfffe
	s_or_b32 exec_lo, exec_lo, s22
	s_and_saveexec_b32 s22, s18
	s_cbranch_execz .LBB221_303
.LBB221_337:                            ;   in Loop: Header=BB221_236 Depth=2
	ds_load_u8 v2, v1 offset:1792
	s_wait_dscnt 0x0
	v_lshrrev_b32_e32 v2, s30, v2
	s_delay_alu instid0(VALU_DEP_1)
	v_and_b32_e32 v90, s31, v2
	s_wait_alu 0xfffe
	s_or_b32 exec_lo, exec_lo, s22
	s_and_saveexec_b32 s22, s17
	s_cbranch_execz .LBB221_304
.LBB221_338:                            ;   in Loop: Header=BB221_236 Depth=2
	ds_load_u8 v2, v1 offset:2048
	s_wait_dscnt 0x0
	v_lshrrev_b32_e32 v2, s30, v2
	s_delay_alu instid0(VALU_DEP_1)
	v_and_b32_e32 v89, s31, v2
	s_wait_alu 0xfffe
	s_or_b32 exec_lo, exec_lo, s22
	s_and_saveexec_b32 s22, s16
	s_cbranch_execz .LBB221_305
.LBB221_339:                            ;   in Loop: Header=BB221_236 Depth=2
	ds_load_u8 v2, v1 offset:2304
	s_wait_dscnt 0x0
	v_lshrrev_b32_e32 v2, s30, v2
	s_delay_alu instid0(VALU_DEP_1)
	v_and_b32_e32 v88, s31, v2
	s_wait_alu 0xfffe
	s_or_b32 exec_lo, exec_lo, s22
	s_and_saveexec_b32 s22, s15
	s_cbranch_execz .LBB221_306
.LBB221_340:                            ;   in Loop: Header=BB221_236 Depth=2
	ds_load_u8 v2, v1 offset:2560
	s_wait_dscnt 0x0
	v_lshrrev_b32_e32 v2, s30, v2
	s_delay_alu instid0(VALU_DEP_1)
	v_and_b32_e32 v87, s31, v2
	s_wait_alu 0xfffe
	s_or_b32 exec_lo, exec_lo, s22
	s_and_saveexec_b32 s22, vcc_lo
	s_cbranch_execnz .LBB221_307
	s_branch .LBB221_308
.LBB221_341:                            ;   in Loop: Header=BB221_236 Depth=2
	v_lshlrev_b32_e32 v2, 2, v93
	v_add_nc_u32_e32 v20, v1, v47
	ds_load_b32 v2, v2
	ds_load_b64 v[20:21], v20 offset:1024
	s_wait_dscnt 0x1
	v_add_nc_u32_e32 v2, v2, v1
	s_delay_alu instid0(VALU_DEP_1) | instskip(NEXT) | instid1(VALU_DEP_1)
	v_lshlrev_b64_e32 v[23:24], 3, v[2:3]
	v_add_co_u32 v23, s21, s26, v23
	s_wait_alu 0xf1ff
	s_delay_alu instid0(VALU_DEP_2)
	v_add_co_ci_u32_e64 v24, null, s27, v24, s21
	s_wait_dscnt 0x0
	global_store_b64 v[23:24], v[20:21], off
	s_wait_alu 0xfffe
	s_or_b32 exec_lo, exec_lo, s22
	s_and_saveexec_b32 s21, s20
	s_cbranch_execz .LBB221_310
.LBB221_342:                            ;   in Loop: Header=BB221_236 Depth=2
	v_lshlrev_b32_e32 v2, 2, v92
	v_add_nc_u32_e32 v20, v1, v47
	ds_load_b32 v2, v2
	ds_load_b64 v[20:21], v20 offset:3072
	s_wait_dscnt 0x1
	v_add_nc_u32_e32 v2, v2, v29
	s_delay_alu instid0(VALU_DEP_1) | instskip(NEXT) | instid1(VALU_DEP_1)
	v_lshlrev_b64_e32 v[23:24], 3, v[2:3]
	v_add_co_u32 v23, s20, s26, v23
	s_wait_alu 0xf1ff
	s_delay_alu instid0(VALU_DEP_2)
	v_add_co_ci_u32_e64 v24, null, s27, v24, s20
	s_wait_dscnt 0x0
	global_store_b64 v[23:24], v[20:21], off
	s_wait_alu 0xfffe
	s_or_b32 exec_lo, exec_lo, s21
	s_and_saveexec_b32 s20, s19
	s_cbranch_execz .LBB221_311
.LBB221_343:                            ;   in Loop: Header=BB221_236 Depth=2
	v_lshlrev_b32_e32 v2, 2, v91
	v_add_nc_u32_e32 v20, v1, v47
	ds_load_b32 v2, v2
	ds_load_b64 v[20:21], v20 offset:5120
	s_wait_dscnt 0x1
	v_add_nc_u32_e32 v2, v2, v30
	s_delay_alu instid0(VALU_DEP_1) | instskip(NEXT) | instid1(VALU_DEP_1)
	v_lshlrev_b64_e32 v[23:24], 3, v[2:3]
	v_add_co_u32 v23, s19, s26, v23
	s_wait_alu 0xf1ff
	s_delay_alu instid0(VALU_DEP_2)
	v_add_co_ci_u32_e64 v24, null, s27, v24, s19
	s_wait_dscnt 0x0
	global_store_b64 v[23:24], v[20:21], off
	s_wait_alu 0xfffe
	s_or_b32 exec_lo, exec_lo, s20
	s_and_saveexec_b32 s19, s18
	s_cbranch_execz .LBB221_312
.LBB221_344:                            ;   in Loop: Header=BB221_236 Depth=2
	v_lshlrev_b32_e32 v2, 2, v90
	v_add_nc_u32_e32 v20, v1, v47
	ds_load_b32 v2, v2
	ds_load_b64 v[20:21], v20 offset:7168
	s_wait_dscnt 0x1
	v_add_nc_u32_e32 v2, v2, v31
	s_delay_alu instid0(VALU_DEP_1) | instskip(NEXT) | instid1(VALU_DEP_1)
	v_lshlrev_b64_e32 v[23:24], 3, v[2:3]
	v_add_co_u32 v23, s18, s26, v23
	s_wait_alu 0xf1ff
	s_delay_alu instid0(VALU_DEP_2)
	v_add_co_ci_u32_e64 v24, null, s27, v24, s18
	s_wait_dscnt 0x0
	global_store_b64 v[23:24], v[20:21], off
	s_wait_alu 0xfffe
	s_or_b32 exec_lo, exec_lo, s19
	s_and_saveexec_b32 s18, s17
	s_cbranch_execz .LBB221_313
.LBB221_345:                            ;   in Loop: Header=BB221_236 Depth=2
	v_lshlrev_b32_e32 v2, 2, v89
	v_add_nc_u32_e32 v20, v1, v47
	ds_load_b32 v2, v2
	ds_load_b64 v[20:21], v20 offset:9216
	s_wait_dscnt 0x1
	v_add_nc_u32_e32 v2, v2, v34
	s_delay_alu instid0(VALU_DEP_1) | instskip(NEXT) | instid1(VALU_DEP_1)
	v_lshlrev_b64_e32 v[23:24], 3, v[2:3]
	v_add_co_u32 v23, s17, s26, v23
	s_wait_alu 0xf1ff
	s_delay_alu instid0(VALU_DEP_2)
	v_add_co_ci_u32_e64 v24, null, s27, v24, s17
	s_wait_dscnt 0x0
	global_store_b64 v[23:24], v[20:21], off
	s_wait_alu 0xfffe
	s_or_b32 exec_lo, exec_lo, s18
	s_and_saveexec_b32 s17, s16
	s_cbranch_execz .LBB221_314
.LBB221_346:                            ;   in Loop: Header=BB221_236 Depth=2
	v_lshlrev_b32_e32 v2, 2, v88
	v_add_nc_u32_e32 v20, v1, v47
	ds_load_b32 v2, v2
	ds_load_b64 v[20:21], v20 offset:11264
	s_wait_dscnt 0x1
	v_add_nc_u32_e32 v2, v2, v35
	s_delay_alu instid0(VALU_DEP_1) | instskip(NEXT) | instid1(VALU_DEP_1)
	v_lshlrev_b64_e32 v[23:24], 3, v[2:3]
	v_add_co_u32 v23, s16, s26, v23
	s_wait_alu 0xf1ff
	s_delay_alu instid0(VALU_DEP_2)
	v_add_co_ci_u32_e64 v24, null, s27, v24, s16
	s_wait_dscnt 0x0
	global_store_b64 v[23:24], v[20:21], off
	s_wait_alu 0xfffe
	s_or_b32 exec_lo, exec_lo, s17
	s_and_saveexec_b32 s16, s15
	s_cbranch_execz .LBB221_315
.LBB221_347:                            ;   in Loop: Header=BB221_236 Depth=2
	v_lshlrev_b32_e32 v2, 2, v87
	v_add_nc_u32_e32 v20, v1, v47
	ds_load_b32 v2, v2
	ds_load_b64 v[20:21], v20 offset:13312
	s_wait_dscnt 0x1
	v_add_nc_u32_e32 v2, v2, v36
	s_delay_alu instid0(VALU_DEP_1) | instskip(NEXT) | instid1(VALU_DEP_1)
	v_lshlrev_b64_e32 v[23:24], 3, v[2:3]
	v_add_co_u32 v23, s15, s26, v23
	s_wait_alu 0xf1ff
	s_delay_alu instid0(VALU_DEP_2)
	v_add_co_ci_u32_e64 v24, null, s27, v24, s15
	s_wait_dscnt 0x0
	global_store_b64 v[23:24], v[20:21], off
	s_wait_alu 0xfffe
	s_or_b32 exec_lo, exec_lo, s16
	s_and_saveexec_b32 s15, vcc_lo
	s_cbranch_execnz .LBB221_316
	s_branch .LBB221_317
.LBB221_348:                            ;   in Loop: Header=BB221_20 Depth=1
	s_wait_loadcnt_dscnt 0x0
	s_barrier_signal -1
	s_barrier_wait -1
.LBB221_349:                            ;   in Loop: Header=BB221_20 Depth=1
	s_mov_b32 s0, 0
.LBB221_350:                            ;   in Loop: Header=BB221_20 Depth=1
	s_wait_alu 0xfffe
	s_and_not1_b32 vcc_lo, exec_lo, s0
	s_wait_alu 0xfffe
	s_cbranch_vccnz .LBB221_19
; %bb.351:                              ;   in Loop: Header=BB221_20 Depth=1
	s_and_b32 vcc_lo, exec_lo, s35
	s_mov_b32 s0, -1
	s_wait_alu 0xfffe
	s_cbranch_vccz .LBB221_515
; %bb.352:                              ;   in Loop: Header=BB221_20 Depth=1
	v_dual_mov_b32 v7, 0 :: v_dual_mov_b32 v10, 0
	v_dual_mov_b32 v9, 0 :: v_dual_mov_b32 v8, 0
	;; [unrolled: 1-line block ×3, first 2 shown]
	v_mov_b32_e32 v4, 0
	v_mov_b32_e32 v2, 0
	s_mov_b32 s9, s47
	s_mov_b32 s22, s33
	s_barrier_signal -1
	s_barrier_wait -1
	global_inv scope:SCOPE_SE
	s_branch .LBB221_354
.LBB221_353:                            ;   in Loop: Header=BB221_354 Depth=2
	s_wait_alu 0xfffe
	s_or_b32 exec_lo, exec_lo, s0
	s_addk_co_i32 s9, 0xf800
	s_cmp_ge_u32 s10, s34
	s_mov_b32 s22, s10
	s_cbranch_scc1 .LBB221_390
.LBB221_354:                            ;   Parent Loop BB221_20 Depth=1
                                        ; =>  This Inner Loop Header: Depth=2
	s_wait_alu 0xfffe
	s_add_co_i32 s10, s22, 0x800
	s_mov_b32 s0, -1
	s_wait_alu 0xfffe
	s_cmp_gt_u32 s10, s34
                                        ; implicit-def: $vgpr11
                                        ; implicit-def: $vgpr12
                                        ; implicit-def: $vgpr13
                                        ; implicit-def: $vgpr14
                                        ; implicit-def: $vgpr15
                                        ; implicit-def: $vgpr16
                                        ; implicit-def: $vgpr17
                                        ; implicit-def: $vgpr18
	s_cbranch_scc1 .LBB221_356
; %bb.355:                              ;   in Loop: Header=BB221_354 Depth=2
	v_add_co_u32 v19, vcc_lo, v54, s22
	s_wait_alu 0xfffd
	v_add_co_ci_u32_e64 v20, null, 0, v55, vcc_lo
	s_mov_b32 s0, 0
	s_clause 0x7
	global_load_u8 v18, v[19:20], off offset:1792
	global_load_u8 v17, v[19:20], off offset:1536
	;; [unrolled: 1-line block ×7, first 2 shown]
	global_load_u8 v11, v[19:20], off
.LBB221_356:                            ;   in Loop: Header=BB221_354 Depth=2
	s_wait_alu 0xfffe
	s_and_not1_b32 vcc_lo, exec_lo, s0
	s_movk_i32 s0, 0x800
	s_wait_alu 0xfffe
	s_cbranch_vccnz .LBB221_367
; %bb.357:                              ;   in Loop: Header=BB221_354 Depth=2
	s_add_nc_u64 s[0:1], s[36:37], s[22:23]
	s_mov_b32 s11, exec_lo
	v_cmpx_gt_u32_e64 s9, v1
	s_cbranch_execnz .LBB221_383
; %bb.358:                              ;   in Loop: Header=BB221_354 Depth=2
	s_wait_alu 0xfffe
	s_or_b32 exec_lo, exec_lo, s11
	s_delay_alu instid0(SALU_CYCLE_1)
	s_mov_b32 s11, exec_lo
	v_cmpx_gt_u32_e64 s9, v29
	s_cbranch_execnz .LBB221_384
.LBB221_359:                            ;   in Loop: Header=BB221_354 Depth=2
	s_wait_alu 0xfffe
	s_or_b32 exec_lo, exec_lo, s11
	s_delay_alu instid0(SALU_CYCLE_1)
	s_mov_b32 s11, exec_lo
	v_cmpx_gt_u32_e64 s9, v30
	s_cbranch_execnz .LBB221_385
.LBB221_360:                            ;   in Loop: Header=BB221_354 Depth=2
	s_wait_alu 0xfffe
	s_or_b32 exec_lo, exec_lo, s11
	s_delay_alu instid0(SALU_CYCLE_1)
	s_mov_b32 s11, exec_lo
	v_cmpx_gt_u32_e64 s9, v31
	s_cbranch_execnz .LBB221_386
.LBB221_361:                            ;   in Loop: Header=BB221_354 Depth=2
	s_wait_alu 0xfffe
	s_or_b32 exec_lo, exec_lo, s11
	s_delay_alu instid0(SALU_CYCLE_1)
	s_mov_b32 s11, exec_lo
	v_cmpx_gt_u32_e64 s9, v34
	s_cbranch_execnz .LBB221_387
.LBB221_362:                            ;   in Loop: Header=BB221_354 Depth=2
	s_wait_alu 0xfffe
	s_or_b32 exec_lo, exec_lo, s11
	s_delay_alu instid0(SALU_CYCLE_1)
	s_mov_b32 s11, exec_lo
	v_cmpx_gt_u32_e64 s9, v35
	s_cbranch_execnz .LBB221_388
.LBB221_363:                            ;   in Loop: Header=BB221_354 Depth=2
	s_wait_alu 0xfffe
	s_or_b32 exec_lo, exec_lo, s11
	s_delay_alu instid0(SALU_CYCLE_1)
	s_mov_b32 s11, exec_lo
	v_cmpx_gt_u32_e64 s9, v36
	s_cbranch_execnz .LBB221_389
.LBB221_364:                            ;   in Loop: Header=BB221_354 Depth=2
	s_wait_alu 0xfffe
	s_or_b32 exec_lo, exec_lo, s11
	s_delay_alu instid0(SALU_CYCLE_1)
	s_mov_b32 s11, exec_lo
	v_cmpx_gt_u32_e64 s9, v37
	s_cbranch_execz .LBB221_366
.LBB221_365:                            ;   in Loop: Header=BB221_354 Depth=2
	s_wait_loadcnt 0x0
	v_add_co_u32 v11, s0, s0, v1
	s_wait_alu 0xf1ff
	v_add_co_ci_u32_e64 v12, null, s1, 0, s0
	global_load_u8 v2, v[11:12], off offset:1792
.LBB221_366:                            ;   in Loop: Header=BB221_354 Depth=2
	s_wait_alu 0xfffe
	s_or_b32 exec_lo, exec_lo, s11
	s_wait_loadcnt 0x0
	v_dual_mov_b32 v11, v7 :: v_dual_mov_b32 v12, v10
	v_dual_mov_b32 v13, v9 :: v_dual_mov_b32 v14, v8
	;; [unrolled: 1-line block ×4, first 2 shown]
	s_mov_b32 s0, s9
.LBB221_367:                            ;   in Loop: Header=BB221_354 Depth=2
	s_wait_loadcnt 0x5
	s_delay_alu instid0(VALU_DEP_1)
	v_dual_mov_b32 v2, v18 :: v_dual_mov_b32 v5, v16
	s_wait_loadcnt 0x2
	v_dual_mov_b32 v4, v17 :: v_dual_mov_b32 v9, v13
	s_wait_loadcnt 0x0
	v_dual_mov_b32 v6, v15 :: v_dual_mov_b32 v7, v11
	v_mov_b32_e32 v8, v14
	v_mov_b32_e32 v10, v12
	s_mov_b32 s1, exec_lo
	s_wait_alu 0xfffe
	v_cmpx_gt_u32_e64 s0, v1
	s_cbranch_execnz .LBB221_375
; %bb.368:                              ;   in Loop: Header=BB221_354 Depth=2
	s_or_b32 exec_lo, exec_lo, s1
	s_delay_alu instid0(SALU_CYCLE_1)
	s_mov_b32 s1, exec_lo
	v_cmpx_gt_u32_e64 s0, v29
	s_cbranch_execnz .LBB221_376
.LBB221_369:                            ;   in Loop: Header=BB221_354 Depth=2
	s_wait_alu 0xfffe
	s_or_b32 exec_lo, exec_lo, s1
	s_delay_alu instid0(SALU_CYCLE_1)
	s_mov_b32 s1, exec_lo
	v_cmpx_gt_u32_e64 s0, v30
	s_cbranch_execnz .LBB221_377
.LBB221_370:                            ;   in Loop: Header=BB221_354 Depth=2
	s_wait_alu 0xfffe
	s_or_b32 exec_lo, exec_lo, s1
	s_delay_alu instid0(SALU_CYCLE_1)
	s_mov_b32 s1, exec_lo
	v_cmpx_gt_u32_e64 s0, v31
	s_cbranch_execnz .LBB221_378
.LBB221_371:                            ;   in Loop: Header=BB221_354 Depth=2
	s_wait_alu 0xfffe
	s_or_b32 exec_lo, exec_lo, s1
	s_delay_alu instid0(SALU_CYCLE_1)
	s_mov_b32 s1, exec_lo
	v_cmpx_gt_u32_e64 s0, v34
	s_cbranch_execnz .LBB221_379
.LBB221_372:                            ;   in Loop: Header=BB221_354 Depth=2
	s_wait_alu 0xfffe
	s_or_b32 exec_lo, exec_lo, s1
	s_delay_alu instid0(SALU_CYCLE_1)
	s_mov_b32 s1, exec_lo
	v_cmpx_gt_u32_e64 s0, v35
	s_cbranch_execnz .LBB221_380
.LBB221_373:                            ;   in Loop: Header=BB221_354 Depth=2
	s_wait_alu 0xfffe
	s_or_b32 exec_lo, exec_lo, s1
	s_delay_alu instid0(SALU_CYCLE_1)
	s_mov_b32 s1, exec_lo
	v_cmpx_gt_u32_e64 s0, v36
	s_cbranch_execnz .LBB221_381
.LBB221_374:                            ;   in Loop: Header=BB221_354 Depth=2
	s_wait_alu 0xfffe
	s_or_b32 exec_lo, exec_lo, s1
	v_cmp_gt_u32_e32 vcc_lo, s0, v37
	s_and_saveexec_b32 s0, vcc_lo
	s_cbranch_execz .LBB221_353
	s_branch .LBB221_382
.LBB221_375:                            ;   in Loop: Header=BB221_354 Depth=2
	v_and_b32_e32 v11, 0xff, v7
	s_delay_alu instid0(VALU_DEP_1) | instskip(NEXT) | instid1(VALU_DEP_1)
	v_lshrrev_b32_e32 v11, s45, v11
	v_and_b32_e32 v11, s31, v11
	s_delay_alu instid0(VALU_DEP_1) | instskip(SKIP_2) | instid1(SALU_CYCLE_1)
	v_lshl_or_b32 v11, v11, 4, v39
	ds_add_u32 v11, v61
	s_or_b32 exec_lo, exec_lo, s1
	s_mov_b32 s1, exec_lo
	v_cmpx_gt_u32_e64 s0, v29
	s_cbranch_execz .LBB221_369
.LBB221_376:                            ;   in Loop: Header=BB221_354 Depth=2
	v_and_b32_e32 v11, 0xff, v10
	s_delay_alu instid0(VALU_DEP_1) | instskip(NEXT) | instid1(VALU_DEP_1)
	v_lshrrev_b32_e32 v11, s45, v11
	v_and_b32_e32 v11, s31, v11
	s_delay_alu instid0(VALU_DEP_1) | instskip(SKIP_3) | instid1(SALU_CYCLE_1)
	v_lshl_or_b32 v11, v11, 4, v39
	ds_add_u32 v11, v61
	s_wait_alu 0xfffe
	s_or_b32 exec_lo, exec_lo, s1
	s_mov_b32 s1, exec_lo
	v_cmpx_gt_u32_e64 s0, v30
	s_cbranch_execz .LBB221_370
.LBB221_377:                            ;   in Loop: Header=BB221_354 Depth=2
	v_and_b32_e32 v11, 0xff, v9
	s_delay_alu instid0(VALU_DEP_1) | instskip(NEXT) | instid1(VALU_DEP_1)
	v_lshrrev_b32_e32 v11, s45, v11
	v_and_b32_e32 v11, s31, v11
	s_delay_alu instid0(VALU_DEP_1) | instskip(SKIP_3) | instid1(SALU_CYCLE_1)
	v_lshl_or_b32 v11, v11, 4, v39
	ds_add_u32 v11, v61
	s_wait_alu 0xfffe
	s_or_b32 exec_lo, exec_lo, s1
	s_mov_b32 s1, exec_lo
	v_cmpx_gt_u32_e64 s0, v31
	s_cbranch_execz .LBB221_371
.LBB221_378:                            ;   in Loop: Header=BB221_354 Depth=2
	v_and_b32_e32 v11, 0xff, v8
	s_delay_alu instid0(VALU_DEP_1) | instskip(NEXT) | instid1(VALU_DEP_1)
	v_lshrrev_b32_e32 v11, s45, v11
	v_and_b32_e32 v11, s31, v11
	s_delay_alu instid0(VALU_DEP_1) | instskip(SKIP_3) | instid1(SALU_CYCLE_1)
	v_lshl_or_b32 v11, v11, 4, v39
	ds_add_u32 v11, v61
	s_wait_alu 0xfffe
	s_or_b32 exec_lo, exec_lo, s1
	s_mov_b32 s1, exec_lo
	v_cmpx_gt_u32_e64 s0, v34
	s_cbranch_execz .LBB221_372
.LBB221_379:                            ;   in Loop: Header=BB221_354 Depth=2
	v_and_b32_e32 v11, 0xff, v6
	s_delay_alu instid0(VALU_DEP_1) | instskip(NEXT) | instid1(VALU_DEP_1)
	v_lshrrev_b32_e32 v11, s45, v11
	v_and_b32_e32 v11, s31, v11
	s_delay_alu instid0(VALU_DEP_1) | instskip(SKIP_3) | instid1(SALU_CYCLE_1)
	v_lshl_or_b32 v11, v11, 4, v39
	ds_add_u32 v11, v61
	s_wait_alu 0xfffe
	s_or_b32 exec_lo, exec_lo, s1
	s_mov_b32 s1, exec_lo
	v_cmpx_gt_u32_e64 s0, v35
	s_cbranch_execz .LBB221_373
.LBB221_380:                            ;   in Loop: Header=BB221_354 Depth=2
	v_and_b32_e32 v11, 0xff, v5
	s_delay_alu instid0(VALU_DEP_1) | instskip(NEXT) | instid1(VALU_DEP_1)
	v_lshrrev_b32_e32 v11, s45, v11
	v_and_b32_e32 v11, s31, v11
	s_delay_alu instid0(VALU_DEP_1) | instskip(SKIP_3) | instid1(SALU_CYCLE_1)
	v_lshl_or_b32 v11, v11, 4, v39
	ds_add_u32 v11, v61
	s_wait_alu 0xfffe
	s_or_b32 exec_lo, exec_lo, s1
	s_mov_b32 s1, exec_lo
	v_cmpx_gt_u32_e64 s0, v36
	s_cbranch_execz .LBB221_374
.LBB221_381:                            ;   in Loop: Header=BB221_354 Depth=2
	v_and_b32_e32 v11, 0xff, v4
	s_delay_alu instid0(VALU_DEP_1) | instskip(NEXT) | instid1(VALU_DEP_1)
	v_lshrrev_b32_e32 v11, s45, v11
	v_and_b32_e32 v11, s31, v11
	s_delay_alu instid0(VALU_DEP_1)
	v_lshl_or_b32 v11, v11, 4, v39
	ds_add_u32 v11, v61
	s_wait_alu 0xfffe
	s_or_b32 exec_lo, exec_lo, s1
	v_cmp_gt_u32_e32 vcc_lo, s0, v37
	s_and_saveexec_b32 s0, vcc_lo
	s_cbranch_execz .LBB221_353
.LBB221_382:                            ;   in Loop: Header=BB221_354 Depth=2
	v_and_b32_e32 v11, 0xff, v2
	s_delay_alu instid0(VALU_DEP_1) | instskip(NEXT) | instid1(VALU_DEP_1)
	v_lshrrev_b32_e32 v11, s45, v11
	v_and_b32_e32 v11, s31, v11
	s_delay_alu instid0(VALU_DEP_1)
	v_lshl_or_b32 v11, v11, 4, v39
	ds_add_u32 v11, v61
	s_branch .LBB221_353
.LBB221_383:                            ;   in Loop: Header=BB221_354 Depth=2
	s_wait_loadcnt 0x0
	s_wait_alu 0xfffe
	v_add_co_u32 v11, s12, s0, v1
	s_wait_alu 0xf1ff
	v_add_co_ci_u32_e64 v12, null, s1, 0, s12
	global_load_u8 v7, v[11:12], off
	s_or_b32 exec_lo, exec_lo, s11
	s_delay_alu instid0(SALU_CYCLE_1)
	s_mov_b32 s11, exec_lo
	v_cmpx_gt_u32_e64 s9, v29
	s_cbranch_execz .LBB221_359
.LBB221_384:                            ;   in Loop: Header=BB221_354 Depth=2
	v_add_co_u32 v10, s12, s0, v1
	s_wait_loadcnt 0x0
	s_wait_alu 0xf1ff
	v_add_co_ci_u32_e64 v11, null, s1, 0, s12
	global_load_u8 v10, v[10:11], off offset:256
	s_wait_alu 0xfffe
	s_or_b32 exec_lo, exec_lo, s11
	s_delay_alu instid0(SALU_CYCLE_1)
	s_mov_b32 s11, exec_lo
	v_cmpx_gt_u32_e64 s9, v30
	s_cbranch_execz .LBB221_360
.LBB221_385:                            ;   in Loop: Header=BB221_354 Depth=2
	s_wait_loadcnt 0x0
	v_add_co_u32 v11, s12, s0, v1
	s_wait_alu 0xf1ff
	v_add_co_ci_u32_e64 v12, null, s1, 0, s12
	global_load_u8 v9, v[11:12], off offset:512
	s_wait_alu 0xfffe
	s_or_b32 exec_lo, exec_lo, s11
	s_delay_alu instid0(SALU_CYCLE_1)
	s_mov_b32 s11, exec_lo
	v_cmpx_gt_u32_e64 s9, v31
	s_cbranch_execz .LBB221_361
.LBB221_386:                            ;   in Loop: Header=BB221_354 Depth=2
	s_wait_loadcnt 0x0
	v_add_co_u32 v11, s12, s0, v1
	s_wait_alu 0xf1ff
	v_add_co_ci_u32_e64 v12, null, s1, 0, s12
	global_load_u8 v8, v[11:12], off offset:768
	s_wait_alu 0xfffe
	s_or_b32 exec_lo, exec_lo, s11
	s_delay_alu instid0(SALU_CYCLE_1)
	s_mov_b32 s11, exec_lo
	v_cmpx_gt_u32_e64 s9, v34
	s_cbranch_execz .LBB221_362
.LBB221_387:                            ;   in Loop: Header=BB221_354 Depth=2
	s_wait_loadcnt 0x0
	v_add_co_u32 v11, s12, s0, v1
	s_wait_alu 0xf1ff
	v_add_co_ci_u32_e64 v12, null, s1, 0, s12
	global_load_u8 v6, v[11:12], off offset:1024
	s_wait_alu 0xfffe
	s_or_b32 exec_lo, exec_lo, s11
	s_delay_alu instid0(SALU_CYCLE_1)
	s_mov_b32 s11, exec_lo
	v_cmpx_gt_u32_e64 s9, v35
	s_cbranch_execz .LBB221_363
.LBB221_388:                            ;   in Loop: Header=BB221_354 Depth=2
	s_wait_loadcnt 0x0
	v_add_co_u32 v11, s12, s0, v1
	s_wait_alu 0xf1ff
	v_add_co_ci_u32_e64 v12, null, s1, 0, s12
	global_load_u8 v5, v[11:12], off offset:1280
	s_wait_alu 0xfffe
	s_or_b32 exec_lo, exec_lo, s11
	s_delay_alu instid0(SALU_CYCLE_1)
	s_mov_b32 s11, exec_lo
	v_cmpx_gt_u32_e64 s9, v36
	s_cbranch_execz .LBB221_364
.LBB221_389:                            ;   in Loop: Header=BB221_354 Depth=2
	s_wait_loadcnt 0x0
	v_add_co_u32 v11, s12, s0, v1
	s_wait_alu 0xf1ff
	v_add_co_ci_u32_e64 v12, null, s1, 0, s12
	global_load_u8 v4, v[11:12], off offset:1536
	s_wait_alu 0xfffe
	s_or_b32 exec_lo, exec_lo, s11
	s_delay_alu instid0(SALU_CYCLE_1)
	s_mov_b32 s11, exec_lo
	v_cmpx_gt_u32_e64 s9, v37
	s_cbranch_execnz .LBB221_365
	s_branch .LBB221_366
.LBB221_390:                            ;   in Loop: Header=BB221_20 Depth=1
	v_mov_b32_e32 v2, 0
	s_wait_dscnt 0x0
	s_barrier_signal -1
	s_barrier_wait -1
	global_inv scope:SCOPE_SE
	s_and_saveexec_b32 s0, s2
	s_cbranch_execz .LBB221_392
; %bb.391:                              ;   in Loop: Header=BB221_20 Depth=1
	ds_load_2addr_b64 v[4:7], v40 offset1:1
	s_wait_dscnt 0x0
	v_add_nc_u32_e32 v2, v5, v4
	s_delay_alu instid0(VALU_DEP_1)
	v_add3_u32 v2, v2, v6, v7
.LBB221_392:                            ;   in Loop: Header=BB221_20 Depth=1
	s_wait_alu 0xfffe
	s_or_b32 exec_lo, exec_lo, s0
	s_delay_alu instid0(VALU_DEP_1)
	v_mov_b32_dpp v4, v2 row_shr:1 row_mask:0xf bank_mask:0xf
	v_cmp_eq_u32_e64 s0, 0, v62
	v_cmp_lt_u32_e64 s1, 1, v62
	v_cmp_lt_u32_e64 s9, 3, v62
	;; [unrolled: 1-line block ×3, first 2 shown]
	v_cmp_eq_u32_e64 s11, 0, v64
	s_wait_alu 0xf1ff
	v_cndmask_b32_e64 v4, v4, 0, s0
	s_delay_alu instid0(VALU_DEP_1) | instskip(NEXT) | instid1(VALU_DEP_1)
	v_add_nc_u32_e32 v2, v4, v2
	v_mov_b32_dpp v4, v2 row_shr:2 row_mask:0xf bank_mask:0xf
	s_delay_alu instid0(VALU_DEP_1) | instskip(NEXT) | instid1(VALU_DEP_1)
	v_cndmask_b32_e64 v4, 0, v4, s1
	v_add_nc_u32_e32 v2, v2, v4
	s_delay_alu instid0(VALU_DEP_1) | instskip(NEXT) | instid1(VALU_DEP_1)
	v_mov_b32_dpp v4, v2 row_shr:4 row_mask:0xf bank_mask:0xf
	v_cndmask_b32_e64 v4, 0, v4, s9
	s_delay_alu instid0(VALU_DEP_1) | instskip(NEXT) | instid1(VALU_DEP_1)
	v_add_nc_u32_e32 v2, v2, v4
	v_mov_b32_dpp v4, v2 row_shr:8 row_mask:0xf bank_mask:0xf
	s_delay_alu instid0(VALU_DEP_1) | instskip(NEXT) | instid1(VALU_DEP_1)
	v_cndmask_b32_e64 v4, 0, v4, s10
	v_add_nc_u32_e32 v2, v2, v4
	ds_swizzle_b32 v4, v2 offset:swizzle(BROADCAST,32,15)
	s_wait_dscnt 0x0
	v_and_b32_e32 v4, v63, v4
	s_delay_alu instid0(VALU_DEP_1)
	v_add_nc_u32_e32 v2, v2, v4
	s_and_saveexec_b32 s12, s3
; %bb.393:                              ;   in Loop: Header=BB221_20 Depth=1
	ds_store_b32 v41, v2
; %bb.394:                              ;   in Loop: Header=BB221_20 Depth=1
	s_wait_alu 0xfffe
	s_or_b32 exec_lo, exec_lo, s12
	s_wait_loadcnt_dscnt 0x0
	s_barrier_signal -1
	s_barrier_wait -1
	global_inv scope:SCOPE_SE
	s_and_saveexec_b32 s12, s4
	s_cbranch_execz .LBB221_396
; %bb.395:                              ;   in Loop: Header=BB221_20 Depth=1
	ds_load_b32 v4, v42
	v_cmp_ne_u32_e32 vcc_lo, 0, v65
	s_wait_dscnt 0x0
	v_mov_b32_dpp v5, v4 row_shr:1 row_mask:0xf bank_mask:0xf
	s_wait_alu 0xfffd
	s_delay_alu instid0(VALU_DEP_1) | instskip(SKIP_1) | instid1(VALU_DEP_2)
	v_cndmask_b32_e32 v5, 0, v5, vcc_lo
	v_cmp_lt_u32_e32 vcc_lo, 1, v65
	v_add_nc_u32_e32 v4, v5, v4
	s_delay_alu instid0(VALU_DEP_1) | instskip(SKIP_1) | instid1(VALU_DEP_1)
	v_mov_b32_dpp v5, v4 row_shr:2 row_mask:0xf bank_mask:0xf
	s_wait_alu 0xfffd
	v_cndmask_b32_e32 v5, 0, v5, vcc_lo
	v_cmp_lt_u32_e32 vcc_lo, 3, v65
	s_delay_alu instid0(VALU_DEP_2) | instskip(NEXT) | instid1(VALU_DEP_1)
	v_add_nc_u32_e32 v4, v4, v5
	v_mov_b32_dpp v5, v4 row_shr:4 row_mask:0xf bank_mask:0xf
	s_wait_alu 0xfffd
	s_delay_alu instid0(VALU_DEP_1) | instskip(NEXT) | instid1(VALU_DEP_1)
	v_cndmask_b32_e32 v5, 0, v5, vcc_lo
	v_add_nc_u32_e32 v4, v4, v5
	ds_store_b32 v42, v4
.LBB221_396:                            ;   in Loop: Header=BB221_20 Depth=1
	s_wait_alu 0xfffe
	s_or_b32 exec_lo, exec_lo, s12
	v_mov_b32_e32 v4, 0
	s_wait_loadcnt_dscnt 0x0
	s_barrier_signal -1
	s_barrier_wait -1
	global_inv scope:SCOPE_SE
	s_and_saveexec_b32 s12, s5
; %bb.397:                              ;   in Loop: Header=BB221_20 Depth=1
	ds_load_b32 v4, v43
; %bb.398:                              ;   in Loop: Header=BB221_20 Depth=1
	s_wait_alu 0xfffe
	s_or_b32 exec_lo, exec_lo, s12
	v_cmp_gt_i32_e32 vcc_lo, 0, v67
	s_wait_dscnt 0x0
	v_add_nc_u32_e32 v2, v4, v2
	s_wait_loadcnt 0x0
	s_barrier_signal -1
	s_barrier_wait -1
	s_wait_alu 0xfffd
	v_cndmask_b32_e32 v5, v67, v58, vcc_lo
	global_inv scope:SCOPE_SE
	v_lshlrev_b32_e32 v80, 2, v5
	ds_bpermute_b32 v2, v80, v2
	s_and_saveexec_b32 s12, s2
	s_cbranch_execz .LBB221_400
; %bb.399:                              ;   in Loop: Header=BB221_20 Depth=1
	s_wait_dscnt 0x0
	v_cndmask_b32_e64 v2, v2, v4, s8
	s_delay_alu instid0(VALU_DEP_1)
	v_add_nc_u32_e32 v2, s33, v2
	ds_store_b32 v28, v2
.LBB221_400:                            ;   in Loop: Header=BB221_20 Depth=1
	s_wait_alu 0xfffe
	s_or_b32 exec_lo, exec_lo, s12
	s_load_b64 s[12:13], s[28:29], 0x0
	v_add_co_u32 v81, vcc_lo, v56, v66
	s_wait_alu 0xfffd
	v_add_co_ci_u32_e64 v82, null, 0, v57, vcc_lo
	v_add_co_u32 v83, vcc_lo, v59, v58
	s_wait_alu 0xfffd
	v_add_co_ci_u32_e64 v84, null, 0, v60, vcc_lo
	s_mov_b32 s42, s47
                                        ; implicit-def: $vgpr6_vgpr7
                                        ; implicit-def: $vgpr8_vgpr9
                                        ; implicit-def: $vgpr10_vgpr11
                                        ; implicit-def: $vgpr12_vgpr13
                                        ; implicit-def: $vgpr14_vgpr15
                                        ; implicit-def: $vgpr16_vgpr17
                                        ; implicit-def: $vgpr18_vgpr19
                                        ; implicit-def: $vgpr86
                                        ; implicit-def: $vgpr87
                                        ; implicit-def: $vgpr88
                                        ; implicit-def: $vgpr89
                                        ; implicit-def: $vgpr90
                                        ; implicit-def: $vgpr91
                                        ; implicit-def: $vgpr92
                                        ; implicit-def: $vgpr93
	s_wait_kmcnt 0x0
	s_cmp_lt_u32 ttmp7, s13
	s_cselect_b32 s22, 14, 20
	s_cmp_lt_u32 ttmp9, s12
	s_wait_alu 0xfffe
	s_add_nc_u64 s[14:15], s[28:29], s[22:23]
	s_cselect_b32 s22, 12, 18
	s_load_u16 s14, s[14:15], 0x0
	s_add_nc_u64 s[12:13], s[28:29], s[22:23]
	s_mov_b32 s22, s33
	s_load_u16 s12, s[12:13], 0x0
	v_cmp_lt_u32_e64 s13, 1, v65
	s_wait_dscnt 0x0
	s_wait_kmcnt 0x0
	v_mad_u32_u24 v2, v44, s14, v0
	v_cmp_lt_u32_e64 s14, 3, v65
	s_delay_alu instid0(VALU_DEP_2) | instskip(SKIP_1) | instid1(VALU_DEP_2)
	v_mad_co_u64_u32 v[4:5], null, v2, s12, v[1:2]
	v_cmp_eq_u32_e64 s12, 0, v65
	v_lshrrev_b32_e32 v2, 3, v4
                                        ; implicit-def: $vgpr4_vgpr5
	s_delay_alu instid0(VALU_DEP_1)
	v_and_b32_e32 v85, 0x1ffffffc, v2
	s_branch .LBB221_402
.LBB221_401:                            ;   in Loop: Header=BB221_402 Depth=2
	s_wait_alu 0xfffe
	s_or_b32 exec_lo, exec_lo, s15
	s_addk_co_i32 s42, 0xf800
	s_cmp_lt_u32 s43, s34
	s_mov_b32 s22, s43
	s_cbranch_scc0 .LBB221_514
.LBB221_402:                            ;   Parent Loop BB221_20 Depth=1
                                        ; =>  This Inner Loop Header: Depth=2
	s_wait_alu 0xfffe
	s_add_co_i32 s43, s22, 0x800
	s_wait_alu 0xfffe
	s_cmp_gt_u32 s43, s34
	s_cbranch_scc1 .LBB221_404
; %bb.403:                              ;   in Loop: Header=BB221_402 Depth=2
	v_add_co_u32 v20, vcc_lo, v83, s22
	s_wait_alu 0xfffd
	v_add_co_ci_u32_e64 v21, null, 0, v84, vcc_lo
	s_mov_b32 s15, -1
	s_clause 0x6
	global_load_u8 v94, v[20:21], off
	global_load_u8 v95, v[20:21], off offset:32
	global_load_u8 v96, v[20:21], off offset:64
	;; [unrolled: 1-line block ×6, first 2 shown]
	s_movk_i32 s16, 0x800
	s_cbranch_execz .LBB221_405
	s_branch .LBB221_420
.LBB221_404:                            ;   in Loop: Header=BB221_402 Depth=2
	s_mov_b32 s15, 0
                                        ; implicit-def: $vgpr94
                                        ; implicit-def: $vgpr95
                                        ; implicit-def: $vgpr96
                                        ; implicit-def: $vgpr97
                                        ; implicit-def: $vgpr98
                                        ; implicit-def: $vgpr99
                                        ; implicit-def: $vgpr100
	s_movk_i32 s16, 0x800
.LBB221_405:                            ;   in Loop: Header=BB221_402 Depth=2
	v_add_co_u32 v20, vcc_lo, v83, s22
	s_wait_alu 0xfffd
	v_add_co_ci_u32_e64 v21, null, 0, v84, vcc_lo
	s_wait_loadcnt 0x5
	v_dual_mov_b32 v95, 0xff :: v_dual_mov_b32 v94, 0xff
	s_mov_b32 s15, exec_lo
	v_cmpx_gt_u32_e64 s42, v68
	s_cbranch_execz .LBB221_407
; %bb.406:                              ;   in Loop: Header=BB221_402 Depth=2
	global_load_u8 v94, v[20:21], off
.LBB221_407:                            ;   in Loop: Header=BB221_402 Depth=2
	s_wait_alu 0xfffe
	s_or_b32 exec_lo, exec_lo, s15
	s_delay_alu instid0(SALU_CYCLE_1)
	s_mov_b32 s15, exec_lo
	v_cmpx_gt_u32_e64 s42, v71
	s_cbranch_execz .LBB221_409
; %bb.408:                              ;   in Loop: Header=BB221_402 Depth=2
	global_load_u8 v95, v[20:21], off offset:32
.LBB221_409:                            ;   in Loop: Header=BB221_402 Depth=2
	s_wait_alu 0xfffe
	s_or_b32 exec_lo, exec_lo, s15
	s_wait_loadcnt 0x3
	v_dual_mov_b32 v97, 0xff :: v_dual_mov_b32 v96, 0xff
	s_mov_b32 s15, exec_lo
	v_cmpx_gt_u32_e64 s42, v72
	s_cbranch_execz .LBB221_411
; %bb.410:                              ;   in Loop: Header=BB221_402 Depth=2
	global_load_u8 v96, v[20:21], off offset:64
.LBB221_411:                            ;   in Loop: Header=BB221_402 Depth=2
	s_wait_alu 0xfffe
	s_or_b32 exec_lo, exec_lo, s15
	s_delay_alu instid0(SALU_CYCLE_1)
	s_mov_b32 s15, exec_lo
	v_cmpx_gt_u32_e64 s42, v73
	s_cbranch_execz .LBB221_413
; %bb.412:                              ;   in Loop: Header=BB221_402 Depth=2
	global_load_u8 v97, v[20:21], off offset:96
.LBB221_413:                            ;   in Loop: Header=BB221_402 Depth=2
	s_wait_alu 0xfffe
	s_or_b32 exec_lo, exec_lo, s15
	s_wait_loadcnt 0x1
	v_dual_mov_b32 v99, 0xff :: v_dual_mov_b32 v98, 0xff
	s_mov_b32 s15, exec_lo
	v_cmpx_gt_u32_e64 s42, v74
	s_cbranch_execz .LBB221_415
; %bb.414:                              ;   in Loop: Header=BB221_402 Depth=2
	global_load_u8 v98, v[20:21], off offset:128
.LBB221_415:                            ;   in Loop: Header=BB221_402 Depth=2
	s_wait_alu 0xfffe
	s_or_b32 exec_lo, exec_lo, s15
	s_delay_alu instid0(SALU_CYCLE_1)
	s_mov_b32 s15, exec_lo
	v_cmpx_gt_u32_e64 s42, v75
	s_cbranch_execz .LBB221_417
; %bb.416:                              ;   in Loop: Header=BB221_402 Depth=2
	global_load_u8 v99, v[20:21], off offset:160
.LBB221_417:                            ;   in Loop: Header=BB221_402 Depth=2
	s_wait_alu 0xfffe
	s_or_b32 exec_lo, exec_lo, s15
	s_wait_loadcnt 0x0
	v_mov_b32_e32 v100, 0xff
	s_mov_b32 s15, exec_lo
	v_cmpx_gt_u32_e64 s42, v76
	s_cbranch_execz .LBB221_419
; %bb.418:                              ;   in Loop: Header=BB221_402 Depth=2
	global_load_u8 v100, v[20:21], off offset:192
.LBB221_419:                            ;   in Loop: Header=BB221_402 Depth=2
	s_wait_alu 0xfffe
	s_or_b32 exec_lo, exec_lo, s15
	v_cmp_gt_u32_e64 s15, s42, v77
	s_sub_co_i32 s16, s34, s22
.LBB221_420:                            ;   in Loop: Header=BB221_402 Depth=2
	v_dual_mov_b32 v101, 0xff :: v_dual_mov_b32 v2, s42
	s_wait_alu 0xfffe
	s_and_saveexec_b32 s17, s15
	s_cbranch_execz .LBB221_422
; %bb.421:                              ;   in Loop: Header=BB221_402 Depth=2
	v_add_co_u32 v20, vcc_lo, v83, s22
	s_wait_alu 0xfffd
	v_add_co_ci_u32_e64 v21, null, s23, v84, vcc_lo
	v_mov_b32_e32 v2, s16
	global_load_u8 v101, v[20:21], off offset:224
.LBB221_422:                            ;   in Loop: Header=BB221_402 Depth=2
	s_wait_alu 0xfffe
	s_or_b32 exec_lo, exec_lo, s17
	s_wait_loadcnt 0x6
	v_and_b32_e32 v20, 0xff, v94
	v_add_nc_u32_e32 v104, 0x420, v45
	v_add_nc_u32_e32 v105, 0x428, v45
	;; [unrolled: 1-line block ×3, first 2 shown]
	s_delay_alu instid0(VALU_DEP_4) | instskip(NEXT) | instid1(VALU_DEP_1)
	v_lshrrev_b32_e32 v20, s45, v20
	v_and_b32_e32 v21, s31, v20
	s_delay_alu instid0(VALU_DEP_1)
	v_and_b32_e32 v20, 1, v21
	v_lshlrev_b32_e32 v22, 30, v21
	v_lshlrev_b32_e32 v23, 29, v21
	;; [unrolled: 1-line block ×4, first 2 shown]
	v_add_co_u32 v20, s15, v20, -1
	s_wait_alu 0xf1ff
	v_cndmask_b32_e64 v25, 0, 1, s15
	v_not_b32_e32 v103, v22
	v_cmp_gt_i32_e64 s15, 0, v22
	v_not_b32_e32 v22, v23
	v_lshlrev_b32_e32 v27, 26, v21
	v_cmp_ne_u32_e32 vcc_lo, 0, v25
	v_ashrrev_i32_e32 v103, 31, v103
	v_lshlrev_b32_e32 v102, 25, v21
	v_ashrrev_i32_e32 v22, 31, v22
	v_lshlrev_b32_e32 v25, 24, v21
	s_wait_alu 0xfffd
	v_xor_b32_e32 v20, vcc_lo, v20
	v_cmp_gt_i32_e32 vcc_lo, 0, v23
	v_not_b32_e32 v23, v24
	s_wait_alu 0xf1ff
	v_xor_b32_e32 v103, s15, v103
	v_cmp_gt_i32_e64 s15, 0, v24
	v_and_b32_e32 v20, exec_lo, v20
	v_not_b32_e32 v24, v26
	v_ashrrev_i32_e32 v23, 31, v23
	s_wait_alu 0xfffd
	v_xor_b32_e32 v22, vcc_lo, v22
	v_cmp_gt_i32_e32 vcc_lo, 0, v26
	v_and_b32_e32 v20, v20, v103
	v_not_b32_e32 v26, v27
	v_ashrrev_i32_e32 v24, 31, v24
	s_wait_alu 0xf1ff
	v_xor_b32_e32 v23, s15, v23
	v_cmp_gt_i32_e64 s15, 0, v27
	v_and_b32_e32 v20, v20, v22
	v_not_b32_e32 v22, v102
	v_ashrrev_i32_e32 v26, 31, v26
	s_wait_alu 0xfffd
	v_xor_b32_e32 v24, vcc_lo, v24
	v_cmp_gt_i32_e32 vcc_lo, 0, v102
	v_and_b32_e32 v20, v20, v23
	v_not_b32_e32 v23, v25
	v_ashrrev_i32_e32 v22, 31, v22
	s_wait_alu 0xf1ff
	v_xor_b32_e32 v26, s15, v26
	v_cmp_gt_i32_e64 s15, 0, v25
	v_and_b32_e32 v20, v20, v24
	v_ashrrev_i32_e32 v23, 31, v23
	s_wait_alu 0xfffd
	v_xor_b32_e32 v22, vcc_lo, v22
	v_mul_u32_u24_e32 v21, 36, v21
	v_add_nc_u32_e32 v103, 0x438, v45
	v_and_b32_e32 v20, v20, v26
	s_wait_alu 0xf1ff
	v_xor_b32_e32 v23, s15, v23
	v_add_nc_u32_e32 v107, v85, v21
	ds_store_2addr_b32 v103, v3, v3 offset1:1
	v_and_b32_e32 v20, v20, v22
	ds_store_2addr_b32 v104, v3, v3 offset1:1
	ds_store_2addr_b32 v105, v3, v3 offset1:1
	;; [unrolled: 1-line block ×3, first 2 shown]
	ds_store_b32 v45, v3 offset:1088
	s_wait_loadcnt_dscnt 0x0
	s_barrier_signal -1
	s_barrier_wait -1
	v_and_b32_e32 v20, v20, v23
	global_inv scope:SCOPE_SE
	; wave barrier
	v_mbcnt_lo_u32_b32 v102, v20, 0
	v_cmp_ne_u32_e64 s15, 0, v20
	s_delay_alu instid0(VALU_DEP_2)
	v_cmp_eq_u32_e32 vcc_lo, 0, v102
	s_and_b32 s16, s15, vcc_lo
	s_wait_alu 0xfffe
	s_and_saveexec_b32 s15, s16
; %bb.423:                              ;   in Loop: Header=BB221_402 Depth=2
	v_bcnt_u32_b32 v20, v20, 0
	ds_store_b32 v107, v20 offset:1056
; %bb.424:                              ;   in Loop: Header=BB221_402 Depth=2
	s_wait_alu 0xfffe
	s_or_b32 exec_lo, exec_lo, s15
	v_and_b32_e32 v20, 0xff, v95
	; wave barrier
	s_delay_alu instid0(VALU_DEP_1) | instskip(NEXT) | instid1(VALU_DEP_1)
	v_lshrrev_b32_e32 v20, s45, v20
	v_and_b32_e32 v21, s31, v20
	s_delay_alu instid0(VALU_DEP_1)
	v_and_b32_e32 v20, 1, v21
	v_lshlrev_b32_e32 v22, 30, v21
	v_lshlrev_b32_e32 v23, 29, v21
	;; [unrolled: 1-line block ×4, first 2 shown]
	v_add_co_u32 v20, s15, v20, -1
	s_wait_alu 0xf1ff
	v_cndmask_b32_e64 v25, 0, 1, s15
	v_not_b32_e32 v109, v22
	v_cmp_gt_i32_e64 s15, 0, v22
	v_not_b32_e32 v22, v23
	v_lshlrev_b32_e32 v27, 26, v21
	v_cmp_ne_u32_e32 vcc_lo, 0, v25
	v_ashrrev_i32_e32 v109, 31, v109
	v_lshlrev_b32_e32 v108, 25, v21
	v_ashrrev_i32_e32 v22, 31, v22
	v_lshlrev_b32_e32 v25, 24, v21
	s_wait_alu 0xfffd
	v_xor_b32_e32 v20, vcc_lo, v20
	v_cmp_gt_i32_e32 vcc_lo, 0, v23
	v_not_b32_e32 v23, v24
	s_wait_alu 0xf1ff
	v_xor_b32_e32 v109, s15, v109
	v_cmp_gt_i32_e64 s15, 0, v24
	v_and_b32_e32 v20, exec_lo, v20
	v_not_b32_e32 v24, v26
	v_ashrrev_i32_e32 v23, 31, v23
	s_wait_alu 0xfffd
	v_xor_b32_e32 v22, vcc_lo, v22
	v_cmp_gt_i32_e32 vcc_lo, 0, v26
	v_and_b32_e32 v20, v20, v109
	v_not_b32_e32 v26, v27
	v_ashrrev_i32_e32 v24, 31, v24
	s_wait_alu 0xf1ff
	v_xor_b32_e32 v23, s15, v23
	v_cmp_gt_i32_e64 s15, 0, v27
	v_and_b32_e32 v20, v20, v22
	v_not_b32_e32 v22, v108
	v_ashrrev_i32_e32 v26, 31, v26
	s_wait_alu 0xfffd
	v_xor_b32_e32 v24, vcc_lo, v24
	v_cmp_gt_i32_e32 vcc_lo, 0, v108
	v_and_b32_e32 v20, v20, v23
	v_not_b32_e32 v23, v25
	v_ashrrev_i32_e32 v22, 31, v22
	s_wait_alu 0xf1ff
	v_xor_b32_e32 v26, s15, v26
	v_cmp_gt_i32_e64 s15, 0, v25
	v_and_b32_e32 v20, v20, v24
	v_ashrrev_i32_e32 v23, 31, v23
	s_wait_alu 0xfffd
	v_xor_b32_e32 v22, vcc_lo, v22
	v_mad_u32_u24 v24, v21, 36, v85
	v_mul_u32_u24_e32 v21, 36, v21
	v_and_b32_e32 v20, v20, v26
	s_wait_alu 0xf1ff
	v_xor_b32_e32 v23, s15, v23
	ds_load_b32 v108, v24 offset:1056
	v_add_nc_u32_e32 v110, v85, v21
	v_and_b32_e32 v20, v20, v22
	; wave barrier
	s_delay_alu instid0(VALU_DEP_1) | instskip(NEXT) | instid1(VALU_DEP_1)
	v_and_b32_e32 v20, v20, v23
	v_mbcnt_lo_u32_b32 v109, v20, 0
	v_cmp_ne_u32_e64 s15, 0, v20
	s_delay_alu instid0(VALU_DEP_2)
	v_cmp_eq_u32_e32 vcc_lo, 0, v109
	s_and_b32 s16, s15, vcc_lo
	s_wait_alu 0xfffe
	s_and_saveexec_b32 s15, s16
	s_cbranch_execz .LBB221_426
; %bb.425:                              ;   in Loop: Header=BB221_402 Depth=2
	s_wait_dscnt 0x0
	v_bcnt_u32_b32 v20, v20, v108
	ds_store_b32 v110, v20 offset:1056
.LBB221_426:                            ;   in Loop: Header=BB221_402 Depth=2
	s_wait_alu 0xfffe
	s_or_b32 exec_lo, exec_lo, s15
	v_and_b32_e32 v20, 0xff, v96
	; wave barrier
	s_delay_alu instid0(VALU_DEP_1) | instskip(NEXT) | instid1(VALU_DEP_1)
	v_lshrrev_b32_e32 v20, s45, v20
	v_and_b32_e32 v21, s31, v20
	s_delay_alu instid0(VALU_DEP_1)
	v_and_b32_e32 v20, 1, v21
	v_lshlrev_b32_e32 v22, 30, v21
	v_lshlrev_b32_e32 v23, 29, v21
	;; [unrolled: 1-line block ×4, first 2 shown]
	v_add_co_u32 v20, s15, v20, -1
	s_wait_alu 0xf1ff
	v_cndmask_b32_e64 v25, 0, 1, s15
	v_not_b32_e32 v112, v22
	v_cmp_gt_i32_e64 s15, 0, v22
	v_not_b32_e32 v22, v23
	v_lshlrev_b32_e32 v27, 26, v21
	v_cmp_ne_u32_e32 vcc_lo, 0, v25
	v_ashrrev_i32_e32 v112, 31, v112
	v_lshlrev_b32_e32 v111, 25, v21
	v_ashrrev_i32_e32 v22, 31, v22
	v_lshlrev_b32_e32 v25, 24, v21
	s_wait_alu 0xfffd
	v_xor_b32_e32 v20, vcc_lo, v20
	v_cmp_gt_i32_e32 vcc_lo, 0, v23
	v_not_b32_e32 v23, v24
	s_wait_alu 0xf1ff
	v_xor_b32_e32 v112, s15, v112
	v_cmp_gt_i32_e64 s15, 0, v24
	v_and_b32_e32 v20, exec_lo, v20
	v_not_b32_e32 v24, v26
	v_ashrrev_i32_e32 v23, 31, v23
	s_wait_alu 0xfffd
	v_xor_b32_e32 v22, vcc_lo, v22
	v_cmp_gt_i32_e32 vcc_lo, 0, v26
	v_and_b32_e32 v20, v20, v112
	v_not_b32_e32 v26, v27
	v_ashrrev_i32_e32 v24, 31, v24
	s_wait_alu 0xf1ff
	v_xor_b32_e32 v23, s15, v23
	v_cmp_gt_i32_e64 s15, 0, v27
	v_and_b32_e32 v20, v20, v22
	v_not_b32_e32 v22, v111
	v_ashrrev_i32_e32 v26, 31, v26
	s_wait_alu 0xfffd
	v_xor_b32_e32 v24, vcc_lo, v24
	v_cmp_gt_i32_e32 vcc_lo, 0, v111
	v_and_b32_e32 v20, v20, v23
	v_not_b32_e32 v23, v25
	v_ashrrev_i32_e32 v22, 31, v22
	s_wait_alu 0xf1ff
	v_xor_b32_e32 v26, s15, v26
	v_cmp_gt_i32_e64 s15, 0, v25
	v_and_b32_e32 v20, v20, v24
	v_ashrrev_i32_e32 v23, 31, v23
	s_wait_alu 0xfffd
	v_xor_b32_e32 v22, vcc_lo, v22
	v_mad_u32_u24 v24, v21, 36, v85
	v_mul_u32_u24_e32 v21, 36, v21
	v_and_b32_e32 v20, v20, v26
	s_wait_alu 0xf1ff
	v_xor_b32_e32 v23, s15, v23
	ds_load_b32 v111, v24 offset:1056
	v_add_nc_u32_e32 v113, v85, v21
	v_and_b32_e32 v20, v20, v22
	; wave barrier
	s_delay_alu instid0(VALU_DEP_1) | instskip(NEXT) | instid1(VALU_DEP_1)
	v_and_b32_e32 v20, v20, v23
	v_mbcnt_lo_u32_b32 v112, v20, 0
	v_cmp_ne_u32_e64 s15, 0, v20
	s_delay_alu instid0(VALU_DEP_2)
	v_cmp_eq_u32_e32 vcc_lo, 0, v112
	s_and_b32 s16, s15, vcc_lo
	s_wait_alu 0xfffe
	s_and_saveexec_b32 s15, s16
	s_cbranch_execz .LBB221_428
; %bb.427:                              ;   in Loop: Header=BB221_402 Depth=2
	s_wait_dscnt 0x0
	v_bcnt_u32_b32 v20, v20, v111
	ds_store_b32 v113, v20 offset:1056
.LBB221_428:                            ;   in Loop: Header=BB221_402 Depth=2
	s_wait_alu 0xfffe
	s_or_b32 exec_lo, exec_lo, s15
	v_and_b32_e32 v20, 0xff, v97
	; wave barrier
	s_delay_alu instid0(VALU_DEP_1) | instskip(NEXT) | instid1(VALU_DEP_1)
	v_lshrrev_b32_e32 v20, s45, v20
	v_and_b32_e32 v21, s31, v20
	s_delay_alu instid0(VALU_DEP_1)
	v_and_b32_e32 v20, 1, v21
	v_lshlrev_b32_e32 v22, 30, v21
	v_lshlrev_b32_e32 v23, 29, v21
	;; [unrolled: 1-line block ×4, first 2 shown]
	v_add_co_u32 v20, s15, v20, -1
	s_wait_alu 0xf1ff
	v_cndmask_b32_e64 v25, 0, 1, s15
	v_not_b32_e32 v115, v22
	v_cmp_gt_i32_e64 s15, 0, v22
	v_not_b32_e32 v22, v23
	v_lshlrev_b32_e32 v27, 26, v21
	v_cmp_ne_u32_e32 vcc_lo, 0, v25
	v_ashrrev_i32_e32 v115, 31, v115
	v_lshlrev_b32_e32 v114, 25, v21
	v_ashrrev_i32_e32 v22, 31, v22
	v_lshlrev_b32_e32 v25, 24, v21
	s_wait_alu 0xfffd
	v_xor_b32_e32 v20, vcc_lo, v20
	v_cmp_gt_i32_e32 vcc_lo, 0, v23
	v_not_b32_e32 v23, v24
	s_wait_alu 0xf1ff
	v_xor_b32_e32 v115, s15, v115
	v_cmp_gt_i32_e64 s15, 0, v24
	v_and_b32_e32 v20, exec_lo, v20
	v_not_b32_e32 v24, v26
	v_ashrrev_i32_e32 v23, 31, v23
	s_wait_alu 0xfffd
	v_xor_b32_e32 v22, vcc_lo, v22
	v_cmp_gt_i32_e32 vcc_lo, 0, v26
	v_and_b32_e32 v20, v20, v115
	v_not_b32_e32 v26, v27
	v_ashrrev_i32_e32 v24, 31, v24
	s_wait_alu 0xf1ff
	v_xor_b32_e32 v23, s15, v23
	v_cmp_gt_i32_e64 s15, 0, v27
	v_and_b32_e32 v20, v20, v22
	v_not_b32_e32 v22, v114
	v_ashrrev_i32_e32 v26, 31, v26
	s_wait_alu 0xfffd
	v_xor_b32_e32 v24, vcc_lo, v24
	v_cmp_gt_i32_e32 vcc_lo, 0, v114
	v_and_b32_e32 v20, v20, v23
	v_not_b32_e32 v23, v25
	v_ashrrev_i32_e32 v22, 31, v22
	s_wait_alu 0xf1ff
	v_xor_b32_e32 v26, s15, v26
	v_cmp_gt_i32_e64 s15, 0, v25
	v_and_b32_e32 v20, v20, v24
	v_ashrrev_i32_e32 v23, 31, v23
	s_wait_alu 0xfffd
	v_xor_b32_e32 v22, vcc_lo, v22
	v_mad_u32_u24 v24, v21, 36, v85
	v_mul_u32_u24_e32 v21, 36, v21
	v_and_b32_e32 v20, v20, v26
	s_wait_alu 0xf1ff
	v_xor_b32_e32 v23, s15, v23
	ds_load_b32 v114, v24 offset:1056
	v_add_nc_u32_e32 v116, v85, v21
	v_and_b32_e32 v20, v20, v22
	; wave barrier
	s_delay_alu instid0(VALU_DEP_1) | instskip(NEXT) | instid1(VALU_DEP_1)
	v_and_b32_e32 v20, v20, v23
	v_mbcnt_lo_u32_b32 v115, v20, 0
	v_cmp_ne_u32_e64 s15, 0, v20
	s_delay_alu instid0(VALU_DEP_2)
	v_cmp_eq_u32_e32 vcc_lo, 0, v115
	s_and_b32 s16, s15, vcc_lo
	s_wait_alu 0xfffe
	s_and_saveexec_b32 s15, s16
	s_cbranch_execz .LBB221_430
; %bb.429:                              ;   in Loop: Header=BB221_402 Depth=2
	s_wait_dscnt 0x0
	v_bcnt_u32_b32 v20, v20, v114
	ds_store_b32 v116, v20 offset:1056
.LBB221_430:                            ;   in Loop: Header=BB221_402 Depth=2
	s_wait_alu 0xfffe
	s_or_b32 exec_lo, exec_lo, s15
	v_and_b32_e32 v20, 0xff, v98
	; wave barrier
	s_delay_alu instid0(VALU_DEP_1) | instskip(NEXT) | instid1(VALU_DEP_1)
	v_lshrrev_b32_e32 v20, s45, v20
	v_and_b32_e32 v21, s31, v20
	s_delay_alu instid0(VALU_DEP_1)
	v_and_b32_e32 v20, 1, v21
	v_lshlrev_b32_e32 v22, 30, v21
	v_lshlrev_b32_e32 v23, 29, v21
	;; [unrolled: 1-line block ×4, first 2 shown]
	v_add_co_u32 v20, s15, v20, -1
	s_wait_alu 0xf1ff
	v_cndmask_b32_e64 v25, 0, 1, s15
	v_not_b32_e32 v118, v22
	v_cmp_gt_i32_e64 s15, 0, v22
	v_not_b32_e32 v22, v23
	v_lshlrev_b32_e32 v27, 26, v21
	v_cmp_ne_u32_e32 vcc_lo, 0, v25
	v_ashrrev_i32_e32 v118, 31, v118
	v_lshlrev_b32_e32 v117, 25, v21
	v_ashrrev_i32_e32 v22, 31, v22
	v_lshlrev_b32_e32 v25, 24, v21
	s_wait_alu 0xfffd
	v_xor_b32_e32 v20, vcc_lo, v20
	v_cmp_gt_i32_e32 vcc_lo, 0, v23
	v_not_b32_e32 v23, v24
	s_wait_alu 0xf1ff
	v_xor_b32_e32 v118, s15, v118
	v_cmp_gt_i32_e64 s15, 0, v24
	v_and_b32_e32 v20, exec_lo, v20
	v_not_b32_e32 v24, v26
	v_ashrrev_i32_e32 v23, 31, v23
	s_wait_alu 0xfffd
	v_xor_b32_e32 v22, vcc_lo, v22
	v_cmp_gt_i32_e32 vcc_lo, 0, v26
	v_and_b32_e32 v20, v20, v118
	v_not_b32_e32 v26, v27
	v_ashrrev_i32_e32 v24, 31, v24
	s_wait_alu 0xf1ff
	v_xor_b32_e32 v23, s15, v23
	v_cmp_gt_i32_e64 s15, 0, v27
	v_and_b32_e32 v20, v20, v22
	v_not_b32_e32 v22, v117
	v_ashrrev_i32_e32 v26, 31, v26
	s_wait_alu 0xfffd
	v_xor_b32_e32 v24, vcc_lo, v24
	v_cmp_gt_i32_e32 vcc_lo, 0, v117
	v_and_b32_e32 v20, v20, v23
	v_not_b32_e32 v23, v25
	v_ashrrev_i32_e32 v22, 31, v22
	s_wait_alu 0xf1ff
	v_xor_b32_e32 v26, s15, v26
	v_cmp_gt_i32_e64 s15, 0, v25
	v_and_b32_e32 v20, v20, v24
	v_ashrrev_i32_e32 v23, 31, v23
	s_wait_alu 0xfffd
	v_xor_b32_e32 v22, vcc_lo, v22
	v_mad_u32_u24 v24, v21, 36, v85
	v_mul_u32_u24_e32 v21, 36, v21
	v_and_b32_e32 v20, v20, v26
	s_wait_alu 0xf1ff
	v_xor_b32_e32 v23, s15, v23
	ds_load_b32 v117, v24 offset:1056
	v_add_nc_u32_e32 v119, v85, v21
	v_and_b32_e32 v20, v20, v22
	; wave barrier
	s_delay_alu instid0(VALU_DEP_1) | instskip(NEXT) | instid1(VALU_DEP_1)
	v_and_b32_e32 v20, v20, v23
	v_mbcnt_lo_u32_b32 v118, v20, 0
	v_cmp_ne_u32_e64 s15, 0, v20
	s_delay_alu instid0(VALU_DEP_2)
	v_cmp_eq_u32_e32 vcc_lo, 0, v118
	s_and_b32 s16, s15, vcc_lo
	s_wait_alu 0xfffe
	s_and_saveexec_b32 s15, s16
	s_cbranch_execz .LBB221_432
; %bb.431:                              ;   in Loop: Header=BB221_402 Depth=2
	s_wait_dscnt 0x0
	v_bcnt_u32_b32 v20, v20, v117
	ds_store_b32 v119, v20 offset:1056
.LBB221_432:                            ;   in Loop: Header=BB221_402 Depth=2
	s_wait_alu 0xfffe
	s_or_b32 exec_lo, exec_lo, s15
	v_and_b32_e32 v20, 0xff, v99
	; wave barrier
	s_delay_alu instid0(VALU_DEP_1) | instskip(NEXT) | instid1(VALU_DEP_1)
	v_lshrrev_b32_e32 v20, s45, v20
	v_and_b32_e32 v21, s31, v20
	s_delay_alu instid0(VALU_DEP_1)
	v_and_b32_e32 v20, 1, v21
	v_lshlrev_b32_e32 v22, 30, v21
	v_lshlrev_b32_e32 v23, 29, v21
	;; [unrolled: 1-line block ×4, first 2 shown]
	v_add_co_u32 v20, s15, v20, -1
	s_wait_alu 0xf1ff
	v_cndmask_b32_e64 v25, 0, 1, s15
	v_not_b32_e32 v121, v22
	v_cmp_gt_i32_e64 s15, 0, v22
	v_not_b32_e32 v22, v23
	v_lshlrev_b32_e32 v27, 26, v21
	v_cmp_ne_u32_e32 vcc_lo, 0, v25
	v_ashrrev_i32_e32 v121, 31, v121
	v_lshlrev_b32_e32 v120, 25, v21
	v_ashrrev_i32_e32 v22, 31, v22
	v_lshlrev_b32_e32 v25, 24, v21
	s_wait_alu 0xfffd
	v_xor_b32_e32 v20, vcc_lo, v20
	v_cmp_gt_i32_e32 vcc_lo, 0, v23
	v_not_b32_e32 v23, v24
	s_wait_alu 0xf1ff
	v_xor_b32_e32 v121, s15, v121
	v_cmp_gt_i32_e64 s15, 0, v24
	v_and_b32_e32 v20, exec_lo, v20
	v_not_b32_e32 v24, v26
	v_ashrrev_i32_e32 v23, 31, v23
	s_wait_alu 0xfffd
	v_xor_b32_e32 v22, vcc_lo, v22
	v_cmp_gt_i32_e32 vcc_lo, 0, v26
	v_and_b32_e32 v20, v20, v121
	v_not_b32_e32 v26, v27
	v_ashrrev_i32_e32 v24, 31, v24
	s_wait_alu 0xf1ff
	v_xor_b32_e32 v23, s15, v23
	v_cmp_gt_i32_e64 s15, 0, v27
	v_and_b32_e32 v20, v20, v22
	v_not_b32_e32 v22, v120
	v_ashrrev_i32_e32 v26, 31, v26
	s_wait_alu 0xfffd
	v_xor_b32_e32 v24, vcc_lo, v24
	v_cmp_gt_i32_e32 vcc_lo, 0, v120
	v_and_b32_e32 v20, v20, v23
	v_not_b32_e32 v23, v25
	v_ashrrev_i32_e32 v22, 31, v22
	s_wait_alu 0xf1ff
	v_xor_b32_e32 v26, s15, v26
	v_cmp_gt_i32_e64 s15, 0, v25
	v_and_b32_e32 v20, v20, v24
	v_ashrrev_i32_e32 v23, 31, v23
	s_wait_alu 0xfffd
	v_xor_b32_e32 v22, vcc_lo, v22
	v_mad_u32_u24 v24, v21, 36, v85
	v_mul_u32_u24_e32 v21, 36, v21
	v_and_b32_e32 v20, v20, v26
	s_wait_alu 0xf1ff
	v_xor_b32_e32 v23, s15, v23
	ds_load_b32 v120, v24 offset:1056
	v_add_nc_u32_e32 v122, v85, v21
	v_and_b32_e32 v20, v20, v22
	; wave barrier
	s_delay_alu instid0(VALU_DEP_1) | instskip(NEXT) | instid1(VALU_DEP_1)
	v_and_b32_e32 v20, v20, v23
	v_mbcnt_lo_u32_b32 v121, v20, 0
	v_cmp_ne_u32_e64 s15, 0, v20
	s_delay_alu instid0(VALU_DEP_2)
	v_cmp_eq_u32_e32 vcc_lo, 0, v121
	s_and_b32 s16, s15, vcc_lo
	s_wait_alu 0xfffe
	s_and_saveexec_b32 s15, s16
	s_cbranch_execz .LBB221_434
; %bb.433:                              ;   in Loop: Header=BB221_402 Depth=2
	s_wait_dscnt 0x0
	v_bcnt_u32_b32 v20, v20, v120
	ds_store_b32 v122, v20 offset:1056
.LBB221_434:                            ;   in Loop: Header=BB221_402 Depth=2
	s_wait_alu 0xfffe
	s_or_b32 exec_lo, exec_lo, s15
	v_and_b32_e32 v20, 0xff, v100
	; wave barrier
	s_delay_alu instid0(VALU_DEP_1) | instskip(NEXT) | instid1(VALU_DEP_1)
	v_lshrrev_b32_e32 v20, s45, v20
	v_and_b32_e32 v21, s31, v20
	s_delay_alu instid0(VALU_DEP_1)
	v_and_b32_e32 v20, 1, v21
	v_lshlrev_b32_e32 v22, 30, v21
	v_lshlrev_b32_e32 v23, 29, v21
	;; [unrolled: 1-line block ×4, first 2 shown]
	v_add_co_u32 v20, s15, v20, -1
	s_wait_alu 0xf1ff
	v_cndmask_b32_e64 v25, 0, 1, s15
	v_not_b32_e32 v124, v22
	v_cmp_gt_i32_e64 s15, 0, v22
	v_not_b32_e32 v22, v23
	v_lshlrev_b32_e32 v27, 26, v21
	v_cmp_ne_u32_e32 vcc_lo, 0, v25
	v_ashrrev_i32_e32 v124, 31, v124
	v_lshlrev_b32_e32 v123, 25, v21
	v_ashrrev_i32_e32 v22, 31, v22
	v_lshlrev_b32_e32 v25, 24, v21
	s_wait_alu 0xfffd
	v_xor_b32_e32 v20, vcc_lo, v20
	v_cmp_gt_i32_e32 vcc_lo, 0, v23
	v_not_b32_e32 v23, v24
	s_wait_alu 0xf1ff
	v_xor_b32_e32 v124, s15, v124
	v_cmp_gt_i32_e64 s15, 0, v24
	v_and_b32_e32 v20, exec_lo, v20
	v_not_b32_e32 v24, v26
	v_ashrrev_i32_e32 v23, 31, v23
	s_wait_alu 0xfffd
	v_xor_b32_e32 v22, vcc_lo, v22
	v_cmp_gt_i32_e32 vcc_lo, 0, v26
	v_and_b32_e32 v20, v20, v124
	v_not_b32_e32 v26, v27
	v_ashrrev_i32_e32 v24, 31, v24
	s_wait_alu 0xf1ff
	v_xor_b32_e32 v23, s15, v23
	v_cmp_gt_i32_e64 s15, 0, v27
	v_and_b32_e32 v20, v20, v22
	v_not_b32_e32 v22, v123
	v_ashrrev_i32_e32 v26, 31, v26
	s_wait_alu 0xfffd
	v_xor_b32_e32 v24, vcc_lo, v24
	v_cmp_gt_i32_e32 vcc_lo, 0, v123
	v_and_b32_e32 v20, v20, v23
	v_not_b32_e32 v23, v25
	v_ashrrev_i32_e32 v22, 31, v22
	s_wait_alu 0xf1ff
	v_xor_b32_e32 v26, s15, v26
	v_cmp_gt_i32_e64 s15, 0, v25
	v_and_b32_e32 v20, v20, v24
	v_ashrrev_i32_e32 v23, 31, v23
	s_wait_alu 0xfffd
	v_xor_b32_e32 v22, vcc_lo, v22
	v_mad_u32_u24 v24, v21, 36, v85
	v_mul_u32_u24_e32 v21, 36, v21
	v_and_b32_e32 v20, v20, v26
	s_wait_alu 0xf1ff
	v_xor_b32_e32 v23, s15, v23
	ds_load_b32 v123, v24 offset:1056
	v_add_nc_u32_e32 v125, v85, v21
	v_and_b32_e32 v20, v20, v22
	; wave barrier
	s_delay_alu instid0(VALU_DEP_1) | instskip(NEXT) | instid1(VALU_DEP_1)
	v_and_b32_e32 v20, v20, v23
	v_mbcnt_lo_u32_b32 v124, v20, 0
	v_cmp_ne_u32_e64 s15, 0, v20
	s_delay_alu instid0(VALU_DEP_2)
	v_cmp_eq_u32_e32 vcc_lo, 0, v124
	s_and_b32 s16, s15, vcc_lo
	s_wait_alu 0xfffe
	s_and_saveexec_b32 s15, s16
	s_cbranch_execz .LBB221_436
; %bb.435:                              ;   in Loop: Header=BB221_402 Depth=2
	s_wait_dscnt 0x0
	v_bcnt_u32_b32 v20, v20, v123
	ds_store_b32 v125, v20 offset:1056
.LBB221_436:                            ;   in Loop: Header=BB221_402 Depth=2
	s_wait_alu 0xfffe
	s_or_b32 exec_lo, exec_lo, s15
	v_and_b32_e32 v20, 0xff, v101
	; wave barrier
	s_delay_alu instid0(VALU_DEP_1) | instskip(NEXT) | instid1(VALU_DEP_1)
	v_lshrrev_b32_e32 v20, s45, v20
	v_and_b32_e32 v21, s31, v20
	s_delay_alu instid0(VALU_DEP_1)
	v_and_b32_e32 v20, 1, v21
	v_lshlrev_b32_e32 v22, 30, v21
	v_lshlrev_b32_e32 v23, 29, v21
	;; [unrolled: 1-line block ×4, first 2 shown]
	v_add_co_u32 v20, s15, v20, -1
	s_wait_alu 0xf1ff
	v_cndmask_b32_e64 v25, 0, 1, s15
	v_not_b32_e32 v127, v22
	v_cmp_gt_i32_e64 s15, 0, v22
	v_not_b32_e32 v22, v23
	v_lshlrev_b32_e32 v27, 26, v21
	v_cmp_ne_u32_e32 vcc_lo, 0, v25
	v_ashrrev_i32_e32 v127, 31, v127
	v_lshlrev_b32_e32 v126, 25, v21
	v_ashrrev_i32_e32 v22, 31, v22
	v_lshlrev_b32_e32 v25, 24, v21
	s_wait_alu 0xfffd
	v_xor_b32_e32 v20, vcc_lo, v20
	v_cmp_gt_i32_e32 vcc_lo, 0, v23
	v_not_b32_e32 v23, v24
	s_wait_alu 0xf1ff
	v_xor_b32_e32 v127, s15, v127
	v_cmp_gt_i32_e64 s15, 0, v24
	v_and_b32_e32 v20, exec_lo, v20
	v_not_b32_e32 v24, v26
	v_ashrrev_i32_e32 v23, 31, v23
	s_wait_alu 0xfffd
	v_xor_b32_e32 v22, vcc_lo, v22
	v_cmp_gt_i32_e32 vcc_lo, 0, v26
	v_and_b32_e32 v20, v20, v127
	v_not_b32_e32 v26, v27
	v_ashrrev_i32_e32 v24, 31, v24
	s_wait_alu 0xf1ff
	v_xor_b32_e32 v23, s15, v23
	v_cmp_gt_i32_e64 s15, 0, v27
	v_and_b32_e32 v20, v20, v22
	v_not_b32_e32 v22, v126
	v_ashrrev_i32_e32 v26, 31, v26
	s_wait_alu 0xfffd
	v_xor_b32_e32 v24, vcc_lo, v24
	v_cmp_gt_i32_e32 vcc_lo, 0, v126
	v_and_b32_e32 v20, v20, v23
	v_not_b32_e32 v23, v25
	v_ashrrev_i32_e32 v22, 31, v22
	s_wait_alu 0xf1ff
	v_xor_b32_e32 v26, s15, v26
	v_cmp_gt_i32_e64 s15, 0, v25
	v_and_b32_e32 v20, v20, v24
	v_ashrrev_i32_e32 v23, 31, v23
	s_wait_alu 0xfffd
	v_xor_b32_e32 v22, vcc_lo, v22
	v_mad_u32_u24 v24, v21, 36, v85
	v_mul_u32_u24_e32 v21, 36, v21
	v_and_b32_e32 v20, v20, v26
	s_wait_alu 0xf1ff
	v_xor_b32_e32 v23, s15, v23
	ds_load_b32 v126, v24 offset:1056
	v_add_nc_u32_e32 v128, v85, v21
	v_and_b32_e32 v20, v20, v22
	; wave barrier
	s_delay_alu instid0(VALU_DEP_1) | instskip(NEXT) | instid1(VALU_DEP_1)
	v_and_b32_e32 v20, v20, v23
	v_mbcnt_lo_u32_b32 v127, v20, 0
	v_cmp_ne_u32_e64 s15, 0, v20
	s_delay_alu instid0(VALU_DEP_2)
	v_cmp_eq_u32_e32 vcc_lo, 0, v127
	s_and_b32 s16, s15, vcc_lo
	s_wait_alu 0xfffe
	s_and_saveexec_b32 s15, s16
	s_cbranch_execz .LBB221_438
; %bb.437:                              ;   in Loop: Header=BB221_402 Depth=2
	s_wait_dscnt 0x0
	v_bcnt_u32_b32 v20, v20, v126
	ds_store_b32 v128, v20 offset:1056
.LBB221_438:                            ;   in Loop: Header=BB221_402 Depth=2
	s_wait_alu 0xfffe
	s_or_b32 exec_lo, exec_lo, s15
	; wave barrier
	s_wait_loadcnt_dscnt 0x0
	s_barrier_signal -1
	s_barrier_wait -1
	global_inv scope:SCOPE_SE
	ds_load_2addr_b32 v[26:27], v104 offset1:1
	ds_load_2addr_b32 v[24:25], v105 offset1:1
	;; [unrolled: 1-line block ×4, first 2 shown]
	ds_load_b32 v129, v45 offset:1088
	s_wait_dscnt 0x3
	v_add3_u32 v130, v27, v26, v24
	s_wait_dscnt 0x2
	s_delay_alu instid0(VALU_DEP_1) | instskip(SKIP_1) | instid1(VALU_DEP_1)
	v_add3_u32 v130, v130, v25, v22
	s_wait_dscnt 0x1
	v_add3_u32 v130, v130, v23, v20
	s_wait_dscnt 0x0
	s_delay_alu instid0(VALU_DEP_1) | instskip(NEXT) | instid1(VALU_DEP_1)
	v_add3_u32 v129, v130, v21, v129
	v_mov_b32_dpp v130, v129 row_shr:1 row_mask:0xf bank_mask:0xf
	s_delay_alu instid0(VALU_DEP_1) | instskip(NEXT) | instid1(VALU_DEP_1)
	v_cndmask_b32_e64 v130, v130, 0, s0
	v_add_nc_u32_e32 v129, v130, v129
	s_delay_alu instid0(VALU_DEP_1) | instskip(NEXT) | instid1(VALU_DEP_1)
	v_mov_b32_dpp v130, v129 row_shr:2 row_mask:0xf bank_mask:0xf
	v_cndmask_b32_e64 v130, 0, v130, s1
	s_delay_alu instid0(VALU_DEP_1) | instskip(NEXT) | instid1(VALU_DEP_1)
	v_add_nc_u32_e32 v129, v129, v130
	v_mov_b32_dpp v130, v129 row_shr:4 row_mask:0xf bank_mask:0xf
	s_delay_alu instid0(VALU_DEP_1) | instskip(NEXT) | instid1(VALU_DEP_1)
	v_cndmask_b32_e64 v130, 0, v130, s9
	v_add_nc_u32_e32 v129, v129, v130
	s_delay_alu instid0(VALU_DEP_1) | instskip(NEXT) | instid1(VALU_DEP_1)
	v_mov_b32_dpp v130, v129 row_shr:8 row_mask:0xf bank_mask:0xf
	v_cndmask_b32_e64 v130, 0, v130, s10
	s_delay_alu instid0(VALU_DEP_1) | instskip(SKIP_3) | instid1(VALU_DEP_1)
	v_add_nc_u32_e32 v129, v129, v130
	ds_swizzle_b32 v130, v129 offset:swizzle(BROADCAST,32,15)
	s_wait_dscnt 0x0
	v_cndmask_b32_e64 v130, v130, 0, s11
	v_add_nc_u32_e32 v129, v129, v130
	s_and_saveexec_b32 s15, s3
; %bb.439:                              ;   in Loop: Header=BB221_402 Depth=2
	ds_store_b32 v38, v129 offset:1024
; %bb.440:                              ;   in Loop: Header=BB221_402 Depth=2
	s_wait_alu 0xfffe
	s_or_b32 exec_lo, exec_lo, s15
	s_wait_loadcnt_dscnt 0x0
	s_barrier_signal -1
	s_barrier_wait -1
	global_inv scope:SCOPE_SE
	s_and_saveexec_b32 s15, s4
	s_cbranch_execz .LBB221_442
; %bb.441:                              ;   in Loop: Header=BB221_402 Depth=2
	v_add_nc_u32_e32 v130, v45, v46
	ds_load_b32 v131, v130 offset:1024
	s_wait_dscnt 0x0
	v_mov_b32_dpp v132, v131 row_shr:1 row_mask:0xf bank_mask:0xf
	s_delay_alu instid0(VALU_DEP_1) | instskip(NEXT) | instid1(VALU_DEP_1)
	v_cndmask_b32_e64 v132, v132, 0, s12
	v_add_nc_u32_e32 v131, v132, v131
	s_delay_alu instid0(VALU_DEP_1) | instskip(NEXT) | instid1(VALU_DEP_1)
	v_mov_b32_dpp v132, v131 row_shr:2 row_mask:0xf bank_mask:0xf
	v_cndmask_b32_e64 v132, 0, v132, s13
	s_delay_alu instid0(VALU_DEP_1) | instskip(NEXT) | instid1(VALU_DEP_1)
	v_add_nc_u32_e32 v131, v131, v132
	v_mov_b32_dpp v132, v131 row_shr:4 row_mask:0xf bank_mask:0xf
	s_delay_alu instid0(VALU_DEP_1) | instskip(NEXT) | instid1(VALU_DEP_1)
	v_cndmask_b32_e64 v132, 0, v132, s14
	v_add_nc_u32_e32 v131, v131, v132
	ds_store_b32 v130, v131 offset:1024
.LBB221_442:                            ;   in Loop: Header=BB221_402 Depth=2
	s_wait_alu 0xfffe
	s_or_b32 exec_lo, exec_lo, s15
	v_mov_b32_e32 v130, 0
	s_wait_loadcnt_dscnt 0x0
	s_barrier_signal -1
	s_barrier_wait -1
	global_inv scope:SCOPE_SE
	s_and_saveexec_b32 s15, s5
; %bb.443:                              ;   in Loop: Header=BB221_402 Depth=2
	ds_load_b32 v130, v38 offset:1020
; %bb.444:                              ;   in Loop: Header=BB221_402 Depth=2
	s_wait_alu 0xfffe
	s_or_b32 exec_lo, exec_lo, s15
	s_wait_dscnt 0x0
	v_add_nc_u32_e32 v129, v130, v129
	ds_bpermute_b32 v129, v80, v129
	s_wait_dscnt 0x0
	v_cndmask_b32_e64 v129, v129, v130, s8
	s_delay_alu instid0(VALU_DEP_1) | instskip(NEXT) | instid1(VALU_DEP_1)
	v_cndmask_b32_e64 v129, v129, 0, s6
	v_add_nc_u32_e32 v26, v129, v26
	s_delay_alu instid0(VALU_DEP_1) | instskip(NEXT) | instid1(VALU_DEP_1)
	v_add_nc_u32_e32 v27, v26, v27
	v_add_nc_u32_e32 v24, v27, v24
	s_delay_alu instid0(VALU_DEP_1) | instskip(NEXT) | instid1(VALU_DEP_1)
	v_add_nc_u32_e32 v25, v24, v25
	;; [unrolled: 3-line block ×3, first 2 shown]
	v_add_nc_u32_e32 v20, v23, v20
	s_delay_alu instid0(VALU_DEP_1)
	v_add_nc_u32_e32 v21, v20, v21
	ds_store_2addr_b32 v103, v23, v20 offset1:1
	ds_store_2addr_b32 v104, v129, v26 offset1:1
	;; [unrolled: 1-line block ×4, first 2 shown]
	ds_store_b32 v45, v21 offset:1088
	s_wait_loadcnt_dscnt 0x0
	s_barrier_signal -1
	s_barrier_wait -1
	global_inv scope:SCOPE_SE
	ds_load_b32 v20, v107 offset:1056
	ds_load_b32 v21, v110 offset:1056
	;; [unrolled: 1-line block ×9, first 2 shown]
	v_mov_b32_e32 v22, 0x800
	s_and_saveexec_b32 s15, s7
; %bb.445:                              ;   in Loop: Header=BB221_402 Depth=2
	ds_load_b32 v22, v45 offset:1092
; %bb.446:                              ;   in Loop: Header=BB221_402 Depth=2
	s_wait_alu 0xfffe
	s_or_b32 exec_lo, exec_lo, s15
	s_wait_loadcnt_dscnt 0x0
	s_barrier_signal -1
	s_barrier_wait -1
	global_inv scope:SCOPE_SE
	s_and_saveexec_b32 s15, s2
	s_cbranch_execz .LBB221_448
; %bb.447:                              ;   in Loop: Header=BB221_402 Depth=2
	ds_load_b32 v27, v28
	s_wait_dscnt 0x0
	v_sub_nc_u32_e32 v26, v27, v26
	ds_store_b32 v28, v26
.LBB221_448:                            ;   in Loop: Header=BB221_402 Depth=2
	s_wait_alu 0xfffe
	s_or_b32 exec_lo, exec_lo, s15
	v_add_nc_u32_e32 v104, v20, v102
	v_add3_u32 v103, v109, v108, v21
	v_add3_u32 v102, v112, v111, v23
	;; [unrolled: 1-line block ×7, first 2 shown]
	v_cmp_lt_u32_e64 s21, v1, v2
	ds_store_b8 v104, v94 offset:1024
	ds_store_b8 v103, v95 offset:1024
	;; [unrolled: 1-line block ×8, first 2 shown]
	s_wait_loadcnt_dscnt 0x0
	s_barrier_signal -1
	s_barrier_wait -1
	global_inv scope:SCOPE_SE
	s_and_saveexec_b32 s15, s21
	s_cbranch_execnz .LBB221_485
; %bb.449:                              ;   in Loop: Header=BB221_402 Depth=2
	s_wait_alu 0xfffe
	s_or_b32 exec_lo, exec_lo, s15
	v_cmp_lt_u32_e64 s20, v29, v2
	s_and_saveexec_b32 s15, s20
	s_cbranch_execnz .LBB221_486
.LBB221_450:                            ;   in Loop: Header=BB221_402 Depth=2
	s_wait_alu 0xfffe
	s_or_b32 exec_lo, exec_lo, s15
	v_cmp_lt_u32_e64 s19, v30, v2
	s_and_saveexec_b32 s15, s19
	s_cbranch_execnz .LBB221_487
.LBB221_451:                            ;   in Loop: Header=BB221_402 Depth=2
	s_wait_alu 0xfffe
	s_or_b32 exec_lo, exec_lo, s15
	v_cmp_lt_u32_e64 s18, v31, v2
	s_and_saveexec_b32 s15, s18
	s_cbranch_execnz .LBB221_488
.LBB221_452:                            ;   in Loop: Header=BB221_402 Depth=2
	s_wait_alu 0xfffe
	s_or_b32 exec_lo, exec_lo, s15
	v_cmp_lt_u32_e64 s17, v34, v2
	s_and_saveexec_b32 s15, s17
	s_cbranch_execnz .LBB221_489
.LBB221_453:                            ;   in Loop: Header=BB221_402 Depth=2
	s_wait_alu 0xfffe
	s_or_b32 exec_lo, exec_lo, s15
	v_cmp_lt_u32_e64 s16, v35, v2
	s_and_saveexec_b32 s15, s16
	s_cbranch_execnz .LBB221_490
.LBB221_454:                            ;   in Loop: Header=BB221_402 Depth=2
	s_wait_alu 0xfffe
	s_or_b32 exec_lo, exec_lo, s15
	v_cmp_lt_u32_e64 s15, v36, v2
	s_and_saveexec_b32 s44, s15
	s_cbranch_execnz .LBB221_491
.LBB221_455:                            ;   in Loop: Header=BB221_402 Depth=2
	s_wait_alu 0xfffe
	s_or_b32 exec_lo, exec_lo, s44
	v_cmp_lt_u32_e32 vcc_lo, v37, v2
	s_and_saveexec_b32 s44, vcc_lo
	s_cbranch_execz .LBB221_457
.LBB221_456:                            ;   in Loop: Header=BB221_402 Depth=2
	ds_load_u8 v20, v1 offset:2816
	s_wait_dscnt 0x0
	v_and_b32_e32 v21, 0xff, v20
	s_delay_alu instid0(VALU_DEP_1) | instskip(NEXT) | instid1(VALU_DEP_1)
	v_lshrrev_b32_e32 v21, s45, v21
	v_and_b32_e32 v21, s31, v21
	s_delay_alu instid0(VALU_DEP_1)
	v_lshlrev_b32_e32 v21, 2, v21
	ds_load_b32 v21, v21
	s_wait_dscnt 0x0
	v_add_nc_u32_e32 v21, v21, v37
	global_store_b8 v21, v20, s[38:39]
.LBB221_457:                            ;   in Loop: Header=BB221_402 Depth=2
	s_wait_alu 0xfffe
	s_or_b32 exec_lo, exec_lo, s44
	s_lshl_b64 s[48:49], s[22:23], 3
	s_wait_alu 0xfffe
	v_add_co_u32 v20, s22, v81, s48
	s_wait_alu 0xf1ff
	v_add_co_ci_u32_e64 v21, null, s49, v82, s22
	v_cmp_lt_u32_e64 s22, v68, v2
	s_and_saveexec_b32 s44, s22
	s_wait_alu 0xfffe
	s_xor_b32 s22, exec_lo, s44
	s_cbranch_execnz .LBB221_492
; %bb.458:                              ;   in Loop: Header=BB221_402 Depth=2
	s_wait_alu 0xfffe
	s_or_b32 exec_lo, exec_lo, s22
	s_delay_alu instid0(SALU_CYCLE_1)
	s_mov_b32 s44, exec_lo
	v_cmpx_lt_u32_e64 v71, v2
	s_cbranch_execnz .LBB221_493
.LBB221_459:                            ;   in Loop: Header=BB221_402 Depth=2
	s_wait_alu 0xfffe
	s_or_b32 exec_lo, exec_lo, s44
	s_delay_alu instid0(SALU_CYCLE_1)
	s_mov_b32 s44, exec_lo
	v_cmpx_lt_u32_e64 v72, v2
	s_cbranch_execnz .LBB221_494
.LBB221_460:                            ;   in Loop: Header=BB221_402 Depth=2
	s_wait_alu 0xfffe
	s_or_b32 exec_lo, exec_lo, s44
	s_delay_alu instid0(SALU_CYCLE_1)
	s_mov_b32 s44, exec_lo
	v_cmpx_lt_u32_e64 v73, v2
	s_cbranch_execnz .LBB221_495
.LBB221_461:                            ;   in Loop: Header=BB221_402 Depth=2
	s_wait_alu 0xfffe
	s_or_b32 exec_lo, exec_lo, s44
	s_delay_alu instid0(SALU_CYCLE_1)
	s_mov_b32 s44, exec_lo
	v_cmpx_lt_u32_e64 v74, v2
	s_cbranch_execnz .LBB221_496
.LBB221_462:                            ;   in Loop: Header=BB221_402 Depth=2
	s_wait_alu 0xfffe
	s_or_b32 exec_lo, exec_lo, s44
	s_delay_alu instid0(SALU_CYCLE_1)
	s_mov_b32 s44, exec_lo
	v_cmpx_lt_u32_e64 v75, v2
	s_cbranch_execnz .LBB221_497
.LBB221_463:                            ;   in Loop: Header=BB221_402 Depth=2
	s_wait_alu 0xfffe
	s_or_b32 exec_lo, exec_lo, s44
	s_delay_alu instid0(SALU_CYCLE_1)
	s_mov_b32 s44, exec_lo
	v_cmpx_lt_u32_e64 v76, v2
	s_cbranch_execnz .LBB221_498
.LBB221_464:                            ;   in Loop: Header=BB221_402 Depth=2
	s_wait_alu 0xfffe
	s_or_b32 exec_lo, exec_lo, s44
	s_delay_alu instid0(SALU_CYCLE_1)
	s_mov_b32 s44, exec_lo
	v_cmpx_lt_u32_e64 v77, v2
	s_cbranch_execnz .LBB221_499
.LBB221_465:                            ;   in Loop: Header=BB221_402 Depth=2
	s_wait_alu 0xfffe
	s_or_b32 exec_lo, exec_lo, s44
	s_and_saveexec_b32 s22, s21
	s_cbranch_execnz .LBB221_500
.LBB221_466:                            ;   in Loop: Header=BB221_402 Depth=2
	s_wait_alu 0xfffe
	s_or_b32 exec_lo, exec_lo, s22
	s_and_saveexec_b32 s22, s20
	s_cbranch_execnz .LBB221_501
.LBB221_467:                            ;   in Loop: Header=BB221_402 Depth=2
	s_wait_alu 0xfffe
	s_or_b32 exec_lo, exec_lo, s22
	s_and_saveexec_b32 s22, s19
	s_cbranch_execnz .LBB221_502
.LBB221_468:                            ;   in Loop: Header=BB221_402 Depth=2
	s_wait_alu 0xfffe
	s_or_b32 exec_lo, exec_lo, s22
	s_and_saveexec_b32 s22, s18
	s_cbranch_execnz .LBB221_503
.LBB221_469:                            ;   in Loop: Header=BB221_402 Depth=2
	s_wait_alu 0xfffe
	s_or_b32 exec_lo, exec_lo, s22
	s_and_saveexec_b32 s22, s17
	s_cbranch_execnz .LBB221_504
.LBB221_470:                            ;   in Loop: Header=BB221_402 Depth=2
	s_wait_alu 0xfffe
	s_or_b32 exec_lo, exec_lo, s22
	s_and_saveexec_b32 s22, s16
	s_cbranch_execnz .LBB221_505
.LBB221_471:                            ;   in Loop: Header=BB221_402 Depth=2
	s_wait_alu 0xfffe
	s_or_b32 exec_lo, exec_lo, s22
	s_and_saveexec_b32 s22, s15
	s_cbranch_execnz .LBB221_506
.LBB221_472:                            ;   in Loop: Header=BB221_402 Depth=2
	s_wait_alu 0xfffe
	s_or_b32 exec_lo, exec_lo, s22
	s_and_saveexec_b32 s22, vcc_lo
	s_cbranch_execz .LBB221_474
.LBB221_473:                            ;   in Loop: Header=BB221_402 Depth=2
	ds_load_u8 v2, v1 offset:2816
	s_wait_dscnt 0x0
	v_lshrrev_b32_e32 v2, s45, v2
	s_delay_alu instid0(VALU_DEP_1)
	v_and_b32_e32 v86, s31, v2
.LBB221_474:                            ;   in Loop: Header=BB221_402 Depth=2
	s_wait_alu 0xfffe
	s_or_b32 exec_lo, exec_lo, s22
	v_lshlrev_b32_e32 v2, 3, v104
	v_lshlrev_b32_e32 v20, 3, v103
	;; [unrolled: 1-line block ×3, first 2 shown]
	s_wait_loadcnt 0x0
	s_wait_storecnt 0x0
	s_barrier_signal -1
	s_barrier_wait -1
	global_inv scope:SCOPE_SE
	ds_store_b64 v2, v[18:19] offset:1024
	ds_store_b64 v20, v[16:17] offset:1024
	;; [unrolled: 1-line block ×3, first 2 shown]
	v_lshlrev_b32_e32 v2, 3, v27
	v_lshlrev_b32_e32 v20, 3, v26
	;; [unrolled: 1-line block ×5, first 2 shown]
	ds_store_b64 v2, v[12:13] offset:1024
	ds_store_b64 v20, v[10:11] offset:1024
	;; [unrolled: 1-line block ×5, first 2 shown]
	s_wait_loadcnt_dscnt 0x0
	s_barrier_signal -1
	s_barrier_wait -1
	global_inv scope:SCOPE_SE
	s_and_saveexec_b32 s22, s21
	s_cbranch_execnz .LBB221_507
; %bb.475:                              ;   in Loop: Header=BB221_402 Depth=2
	s_wait_alu 0xfffe
	s_or_b32 exec_lo, exec_lo, s22
	s_and_saveexec_b32 s21, s20
	s_cbranch_execnz .LBB221_508
.LBB221_476:                            ;   in Loop: Header=BB221_402 Depth=2
	s_wait_alu 0xfffe
	s_or_b32 exec_lo, exec_lo, s21
	s_and_saveexec_b32 s20, s19
	s_cbranch_execnz .LBB221_509
.LBB221_477:                            ;   in Loop: Header=BB221_402 Depth=2
	s_wait_alu 0xfffe
	s_or_b32 exec_lo, exec_lo, s20
	s_and_saveexec_b32 s19, s18
	s_cbranch_execnz .LBB221_510
.LBB221_478:                            ;   in Loop: Header=BB221_402 Depth=2
	s_wait_alu 0xfffe
	s_or_b32 exec_lo, exec_lo, s19
	s_and_saveexec_b32 s18, s17
	s_cbranch_execnz .LBB221_511
.LBB221_479:                            ;   in Loop: Header=BB221_402 Depth=2
	s_wait_alu 0xfffe
	s_or_b32 exec_lo, exec_lo, s18
	s_and_saveexec_b32 s17, s16
	s_cbranch_execnz .LBB221_512
.LBB221_480:                            ;   in Loop: Header=BB221_402 Depth=2
	s_wait_alu 0xfffe
	s_or_b32 exec_lo, exec_lo, s17
	s_and_saveexec_b32 s16, s15
	s_cbranch_execnz .LBB221_513
.LBB221_481:                            ;   in Loop: Header=BB221_402 Depth=2
	s_wait_alu 0xfffe
	s_or_b32 exec_lo, exec_lo, s16
	s_and_saveexec_b32 s15, vcc_lo
	s_cbranch_execz .LBB221_483
.LBB221_482:                            ;   in Loop: Header=BB221_402 Depth=2
	v_lshlrev_b32_e32 v2, 2, v86
	v_add_nc_u32_e32 v20, v1, v47
	ds_load_b32 v2, v2
	ds_load_b64 v[20:21], v20 offset:15360
	s_wait_dscnt 0x1
	v_add_nc_u32_e32 v2, v2, v37
	s_delay_alu instid0(VALU_DEP_1) | instskip(NEXT) | instid1(VALU_DEP_1)
	v_lshlrev_b64_e32 v[23:24], 3, v[2:3]
	v_add_co_u32 v23, vcc_lo, s24, v23
	s_wait_alu 0xfffd
	s_delay_alu instid0(VALU_DEP_2)
	v_add_co_ci_u32_e64 v24, null, s25, v24, vcc_lo
	s_wait_dscnt 0x0
	global_store_b64 v[23:24], v[20:21], off
.LBB221_483:                            ;   in Loop: Header=BB221_402 Depth=2
	s_wait_alu 0xfffe
	s_or_b32 exec_lo, exec_lo, s15
	s_wait_loadcnt 0x0
	s_wait_storecnt 0x0
	s_barrier_signal -1
	s_barrier_wait -1
	global_inv scope:SCOPE_SE
	s_and_saveexec_b32 s15, s2
	s_cbranch_execz .LBB221_401
; %bb.484:                              ;   in Loop: Header=BB221_402 Depth=2
	ds_load_b32 v2, v28
	s_wait_dscnt 0x0
	v_add_nc_u32_e32 v2, v2, v22
	ds_store_b32 v28, v2
	s_branch .LBB221_401
.LBB221_485:                            ;   in Loop: Header=BB221_402 Depth=2
	ds_load_u8 v20, v1 offset:1024
	s_wait_dscnt 0x0
	v_and_b32_e32 v21, 0xff, v20
	s_delay_alu instid0(VALU_DEP_1) | instskip(NEXT) | instid1(VALU_DEP_1)
	v_lshrrev_b32_e32 v21, s45, v21
	v_and_b32_e32 v21, s31, v21
	s_delay_alu instid0(VALU_DEP_1)
	v_lshlrev_b32_e32 v21, 2, v21
	ds_load_b32 v21, v21
	s_wait_dscnt 0x0
	v_add_nc_u32_e32 v21, v21, v1
	global_store_b8 v21, v20, s[38:39]
	s_wait_alu 0xfffe
	s_or_b32 exec_lo, exec_lo, s15
	v_cmp_lt_u32_e64 s20, v29, v2
	s_and_saveexec_b32 s15, s20
	s_cbranch_execz .LBB221_450
.LBB221_486:                            ;   in Loop: Header=BB221_402 Depth=2
	ds_load_u8 v20, v1 offset:1280
	s_wait_dscnt 0x0
	v_and_b32_e32 v21, 0xff, v20
	s_delay_alu instid0(VALU_DEP_1) | instskip(NEXT) | instid1(VALU_DEP_1)
	v_lshrrev_b32_e32 v21, s45, v21
	v_and_b32_e32 v21, s31, v21
	s_delay_alu instid0(VALU_DEP_1)
	v_lshlrev_b32_e32 v21, 2, v21
	ds_load_b32 v21, v21
	s_wait_dscnt 0x0
	v_add_nc_u32_e32 v21, v21, v29
	global_store_b8 v21, v20, s[38:39]
	s_wait_alu 0xfffe
	s_or_b32 exec_lo, exec_lo, s15
	v_cmp_lt_u32_e64 s19, v30, v2
	s_and_saveexec_b32 s15, s19
	s_cbranch_execz .LBB221_451
.LBB221_487:                            ;   in Loop: Header=BB221_402 Depth=2
	ds_load_u8 v20, v1 offset:1536
	s_wait_dscnt 0x0
	v_and_b32_e32 v21, 0xff, v20
	s_delay_alu instid0(VALU_DEP_1) | instskip(NEXT) | instid1(VALU_DEP_1)
	v_lshrrev_b32_e32 v21, s45, v21
	v_and_b32_e32 v21, s31, v21
	s_delay_alu instid0(VALU_DEP_1)
	v_lshlrev_b32_e32 v21, 2, v21
	ds_load_b32 v21, v21
	s_wait_dscnt 0x0
	v_add_nc_u32_e32 v21, v21, v30
	global_store_b8 v21, v20, s[38:39]
	s_wait_alu 0xfffe
	s_or_b32 exec_lo, exec_lo, s15
	v_cmp_lt_u32_e64 s18, v31, v2
	s_and_saveexec_b32 s15, s18
	s_cbranch_execz .LBB221_452
.LBB221_488:                            ;   in Loop: Header=BB221_402 Depth=2
	ds_load_u8 v20, v1 offset:1792
	s_wait_dscnt 0x0
	v_and_b32_e32 v21, 0xff, v20
	s_delay_alu instid0(VALU_DEP_1) | instskip(NEXT) | instid1(VALU_DEP_1)
	v_lshrrev_b32_e32 v21, s45, v21
	v_and_b32_e32 v21, s31, v21
	s_delay_alu instid0(VALU_DEP_1)
	v_lshlrev_b32_e32 v21, 2, v21
	ds_load_b32 v21, v21
	s_wait_dscnt 0x0
	v_add_nc_u32_e32 v21, v21, v31
	global_store_b8 v21, v20, s[38:39]
	s_wait_alu 0xfffe
	s_or_b32 exec_lo, exec_lo, s15
	v_cmp_lt_u32_e64 s17, v34, v2
	s_and_saveexec_b32 s15, s17
	s_cbranch_execz .LBB221_453
.LBB221_489:                            ;   in Loop: Header=BB221_402 Depth=2
	ds_load_u8 v20, v1 offset:2048
	s_wait_dscnt 0x0
	v_and_b32_e32 v21, 0xff, v20
	s_delay_alu instid0(VALU_DEP_1) | instskip(NEXT) | instid1(VALU_DEP_1)
	v_lshrrev_b32_e32 v21, s45, v21
	v_and_b32_e32 v21, s31, v21
	s_delay_alu instid0(VALU_DEP_1)
	v_lshlrev_b32_e32 v21, 2, v21
	ds_load_b32 v21, v21
	s_wait_dscnt 0x0
	v_add_nc_u32_e32 v21, v21, v34
	global_store_b8 v21, v20, s[38:39]
	s_wait_alu 0xfffe
	s_or_b32 exec_lo, exec_lo, s15
	v_cmp_lt_u32_e64 s16, v35, v2
	s_and_saveexec_b32 s15, s16
	s_cbranch_execz .LBB221_454
.LBB221_490:                            ;   in Loop: Header=BB221_402 Depth=2
	ds_load_u8 v20, v1 offset:2304
	s_wait_dscnt 0x0
	v_and_b32_e32 v21, 0xff, v20
	s_delay_alu instid0(VALU_DEP_1) | instskip(NEXT) | instid1(VALU_DEP_1)
	v_lshrrev_b32_e32 v21, s45, v21
	v_and_b32_e32 v21, s31, v21
	s_delay_alu instid0(VALU_DEP_1)
	v_lshlrev_b32_e32 v21, 2, v21
	ds_load_b32 v21, v21
	s_wait_dscnt 0x0
	v_add_nc_u32_e32 v21, v21, v35
	global_store_b8 v21, v20, s[38:39]
	s_wait_alu 0xfffe
	s_or_b32 exec_lo, exec_lo, s15
	v_cmp_lt_u32_e64 s15, v36, v2
	s_and_saveexec_b32 s44, s15
	s_cbranch_execz .LBB221_455
.LBB221_491:                            ;   in Loop: Header=BB221_402 Depth=2
	ds_load_u8 v20, v1 offset:2560
	s_wait_dscnt 0x0
	v_and_b32_e32 v21, 0xff, v20
	s_delay_alu instid0(VALU_DEP_1) | instskip(NEXT) | instid1(VALU_DEP_1)
	v_lshrrev_b32_e32 v21, s45, v21
	v_and_b32_e32 v21, s31, v21
	s_delay_alu instid0(VALU_DEP_1)
	v_lshlrev_b32_e32 v21, 2, v21
	ds_load_b32 v21, v21
	s_wait_dscnt 0x0
	v_add_nc_u32_e32 v21, v21, v36
	global_store_b8 v21, v20, s[38:39]
	s_wait_alu 0xfffe
	s_or_b32 exec_lo, exec_lo, s44
	v_cmp_lt_u32_e32 vcc_lo, v37, v2
	s_and_saveexec_b32 s44, vcc_lo
	s_cbranch_execnz .LBB221_456
	s_branch .LBB221_457
.LBB221_492:                            ;   in Loop: Header=BB221_402 Depth=2
	global_load_b64 v[18:19], v[20:21], off
	s_wait_alu 0xfffe
	s_or_b32 exec_lo, exec_lo, s22
	s_delay_alu instid0(SALU_CYCLE_1)
	s_mov_b32 s44, exec_lo
	v_cmpx_lt_u32_e64 v71, v2
	s_cbranch_execz .LBB221_459
.LBB221_493:                            ;   in Loop: Header=BB221_402 Depth=2
	global_load_b64 v[16:17], v[20:21], off offset:256
	s_wait_alu 0xfffe
	s_or_b32 exec_lo, exec_lo, s44
	s_delay_alu instid0(SALU_CYCLE_1)
	s_mov_b32 s44, exec_lo
	v_cmpx_lt_u32_e64 v72, v2
	s_cbranch_execz .LBB221_460
.LBB221_494:                            ;   in Loop: Header=BB221_402 Depth=2
	global_load_b64 v[14:15], v[20:21], off offset:512
	s_wait_alu 0xfffe
	s_or_b32 exec_lo, exec_lo, s44
	s_delay_alu instid0(SALU_CYCLE_1)
	s_mov_b32 s44, exec_lo
	v_cmpx_lt_u32_e64 v73, v2
	s_cbranch_execz .LBB221_461
.LBB221_495:                            ;   in Loop: Header=BB221_402 Depth=2
	global_load_b64 v[12:13], v[20:21], off offset:768
	s_wait_alu 0xfffe
	s_or_b32 exec_lo, exec_lo, s44
	s_delay_alu instid0(SALU_CYCLE_1)
	s_mov_b32 s44, exec_lo
	v_cmpx_lt_u32_e64 v74, v2
	s_cbranch_execz .LBB221_462
.LBB221_496:                            ;   in Loop: Header=BB221_402 Depth=2
	global_load_b64 v[10:11], v[20:21], off offset:1024
	s_wait_alu 0xfffe
	s_or_b32 exec_lo, exec_lo, s44
	s_delay_alu instid0(SALU_CYCLE_1)
	s_mov_b32 s44, exec_lo
	v_cmpx_lt_u32_e64 v75, v2
	s_cbranch_execz .LBB221_463
.LBB221_497:                            ;   in Loop: Header=BB221_402 Depth=2
	global_load_b64 v[8:9], v[20:21], off offset:1280
	s_wait_alu 0xfffe
	s_or_b32 exec_lo, exec_lo, s44
	s_delay_alu instid0(SALU_CYCLE_1)
	s_mov_b32 s44, exec_lo
	v_cmpx_lt_u32_e64 v76, v2
	s_cbranch_execz .LBB221_464
.LBB221_498:                            ;   in Loop: Header=BB221_402 Depth=2
	global_load_b64 v[6:7], v[20:21], off offset:1536
	s_wait_alu 0xfffe
	s_or_b32 exec_lo, exec_lo, s44
	s_delay_alu instid0(SALU_CYCLE_1)
	s_mov_b32 s44, exec_lo
	v_cmpx_lt_u32_e64 v77, v2
	s_cbranch_execz .LBB221_465
.LBB221_499:                            ;   in Loop: Header=BB221_402 Depth=2
	global_load_b64 v[4:5], v[20:21], off offset:1792
	s_wait_alu 0xfffe
	s_or_b32 exec_lo, exec_lo, s44
	s_and_saveexec_b32 s22, s21
	s_cbranch_execz .LBB221_466
.LBB221_500:                            ;   in Loop: Header=BB221_402 Depth=2
	ds_load_u8 v2, v1 offset:1024
	s_wait_dscnt 0x0
	v_lshrrev_b32_e32 v2, s45, v2
	s_delay_alu instid0(VALU_DEP_1)
	v_and_b32_e32 v93, s31, v2
	s_wait_alu 0xfffe
	s_or_b32 exec_lo, exec_lo, s22
	s_and_saveexec_b32 s22, s20
	s_cbranch_execz .LBB221_467
.LBB221_501:                            ;   in Loop: Header=BB221_402 Depth=2
	ds_load_u8 v2, v1 offset:1280
	s_wait_dscnt 0x0
	v_lshrrev_b32_e32 v2, s45, v2
	s_delay_alu instid0(VALU_DEP_1)
	v_and_b32_e32 v92, s31, v2
	s_wait_alu 0xfffe
	s_or_b32 exec_lo, exec_lo, s22
	s_and_saveexec_b32 s22, s19
	s_cbranch_execz .LBB221_468
.LBB221_502:                            ;   in Loop: Header=BB221_402 Depth=2
	ds_load_u8 v2, v1 offset:1536
	s_wait_dscnt 0x0
	v_lshrrev_b32_e32 v2, s45, v2
	s_delay_alu instid0(VALU_DEP_1)
	v_and_b32_e32 v91, s31, v2
	s_wait_alu 0xfffe
	s_or_b32 exec_lo, exec_lo, s22
	s_and_saveexec_b32 s22, s18
	s_cbranch_execz .LBB221_469
.LBB221_503:                            ;   in Loop: Header=BB221_402 Depth=2
	ds_load_u8 v2, v1 offset:1792
	s_wait_dscnt 0x0
	v_lshrrev_b32_e32 v2, s45, v2
	s_delay_alu instid0(VALU_DEP_1)
	v_and_b32_e32 v90, s31, v2
	s_wait_alu 0xfffe
	s_or_b32 exec_lo, exec_lo, s22
	s_and_saveexec_b32 s22, s17
	s_cbranch_execz .LBB221_470
.LBB221_504:                            ;   in Loop: Header=BB221_402 Depth=2
	ds_load_u8 v2, v1 offset:2048
	s_wait_dscnt 0x0
	v_lshrrev_b32_e32 v2, s45, v2
	s_delay_alu instid0(VALU_DEP_1)
	v_and_b32_e32 v89, s31, v2
	s_wait_alu 0xfffe
	s_or_b32 exec_lo, exec_lo, s22
	s_and_saveexec_b32 s22, s16
	s_cbranch_execz .LBB221_471
.LBB221_505:                            ;   in Loop: Header=BB221_402 Depth=2
	ds_load_u8 v2, v1 offset:2304
	s_wait_dscnt 0x0
	v_lshrrev_b32_e32 v2, s45, v2
	s_delay_alu instid0(VALU_DEP_1)
	v_and_b32_e32 v88, s31, v2
	s_wait_alu 0xfffe
	s_or_b32 exec_lo, exec_lo, s22
	s_and_saveexec_b32 s22, s15
	s_cbranch_execz .LBB221_472
.LBB221_506:                            ;   in Loop: Header=BB221_402 Depth=2
	ds_load_u8 v2, v1 offset:2560
	s_wait_dscnt 0x0
	v_lshrrev_b32_e32 v2, s45, v2
	s_delay_alu instid0(VALU_DEP_1)
	v_and_b32_e32 v87, s31, v2
	s_wait_alu 0xfffe
	s_or_b32 exec_lo, exec_lo, s22
	s_and_saveexec_b32 s22, vcc_lo
	s_cbranch_execnz .LBB221_473
	s_branch .LBB221_474
.LBB221_507:                            ;   in Loop: Header=BB221_402 Depth=2
	v_lshlrev_b32_e32 v2, 2, v93
	v_add_nc_u32_e32 v20, v1, v47
	ds_load_b32 v2, v2
	ds_load_b64 v[20:21], v20 offset:1024
	s_wait_dscnt 0x1
	v_add_nc_u32_e32 v2, v2, v1
	s_delay_alu instid0(VALU_DEP_1) | instskip(NEXT) | instid1(VALU_DEP_1)
	v_lshlrev_b64_e32 v[23:24], 3, v[2:3]
	v_add_co_u32 v23, s21, s24, v23
	s_wait_alu 0xf1ff
	s_delay_alu instid0(VALU_DEP_2)
	v_add_co_ci_u32_e64 v24, null, s25, v24, s21
	s_wait_dscnt 0x0
	global_store_b64 v[23:24], v[20:21], off
	s_wait_alu 0xfffe
	s_or_b32 exec_lo, exec_lo, s22
	s_and_saveexec_b32 s21, s20
	s_cbranch_execz .LBB221_476
.LBB221_508:                            ;   in Loop: Header=BB221_402 Depth=2
	v_lshlrev_b32_e32 v2, 2, v92
	v_add_nc_u32_e32 v20, v1, v47
	ds_load_b32 v2, v2
	ds_load_b64 v[20:21], v20 offset:3072
	s_wait_dscnt 0x1
	v_add_nc_u32_e32 v2, v2, v29
	s_delay_alu instid0(VALU_DEP_1) | instskip(NEXT) | instid1(VALU_DEP_1)
	v_lshlrev_b64_e32 v[23:24], 3, v[2:3]
	v_add_co_u32 v23, s20, s24, v23
	s_wait_alu 0xf1ff
	s_delay_alu instid0(VALU_DEP_2)
	v_add_co_ci_u32_e64 v24, null, s25, v24, s20
	s_wait_dscnt 0x0
	global_store_b64 v[23:24], v[20:21], off
	s_wait_alu 0xfffe
	s_or_b32 exec_lo, exec_lo, s21
	s_and_saveexec_b32 s20, s19
	s_cbranch_execz .LBB221_477
.LBB221_509:                            ;   in Loop: Header=BB221_402 Depth=2
	v_lshlrev_b32_e32 v2, 2, v91
	v_add_nc_u32_e32 v20, v1, v47
	ds_load_b32 v2, v2
	ds_load_b64 v[20:21], v20 offset:5120
	s_wait_dscnt 0x1
	v_add_nc_u32_e32 v2, v2, v30
	s_delay_alu instid0(VALU_DEP_1) | instskip(NEXT) | instid1(VALU_DEP_1)
	v_lshlrev_b64_e32 v[23:24], 3, v[2:3]
	v_add_co_u32 v23, s19, s24, v23
	s_wait_alu 0xf1ff
	s_delay_alu instid0(VALU_DEP_2)
	v_add_co_ci_u32_e64 v24, null, s25, v24, s19
	s_wait_dscnt 0x0
	global_store_b64 v[23:24], v[20:21], off
	s_wait_alu 0xfffe
	s_or_b32 exec_lo, exec_lo, s20
	s_and_saveexec_b32 s19, s18
	s_cbranch_execz .LBB221_478
.LBB221_510:                            ;   in Loop: Header=BB221_402 Depth=2
	v_lshlrev_b32_e32 v2, 2, v90
	v_add_nc_u32_e32 v20, v1, v47
	ds_load_b32 v2, v2
	ds_load_b64 v[20:21], v20 offset:7168
	s_wait_dscnt 0x1
	v_add_nc_u32_e32 v2, v2, v31
	s_delay_alu instid0(VALU_DEP_1) | instskip(NEXT) | instid1(VALU_DEP_1)
	v_lshlrev_b64_e32 v[23:24], 3, v[2:3]
	v_add_co_u32 v23, s18, s24, v23
	s_wait_alu 0xf1ff
	s_delay_alu instid0(VALU_DEP_2)
	v_add_co_ci_u32_e64 v24, null, s25, v24, s18
	s_wait_dscnt 0x0
	global_store_b64 v[23:24], v[20:21], off
	s_wait_alu 0xfffe
	s_or_b32 exec_lo, exec_lo, s19
	s_and_saveexec_b32 s18, s17
	s_cbranch_execz .LBB221_479
.LBB221_511:                            ;   in Loop: Header=BB221_402 Depth=2
	v_lshlrev_b32_e32 v2, 2, v89
	v_add_nc_u32_e32 v20, v1, v47
	ds_load_b32 v2, v2
	ds_load_b64 v[20:21], v20 offset:9216
	s_wait_dscnt 0x1
	v_add_nc_u32_e32 v2, v2, v34
	s_delay_alu instid0(VALU_DEP_1) | instskip(NEXT) | instid1(VALU_DEP_1)
	v_lshlrev_b64_e32 v[23:24], 3, v[2:3]
	v_add_co_u32 v23, s17, s24, v23
	s_wait_alu 0xf1ff
	s_delay_alu instid0(VALU_DEP_2)
	v_add_co_ci_u32_e64 v24, null, s25, v24, s17
	s_wait_dscnt 0x0
	global_store_b64 v[23:24], v[20:21], off
	s_wait_alu 0xfffe
	s_or_b32 exec_lo, exec_lo, s18
	s_and_saveexec_b32 s17, s16
	s_cbranch_execz .LBB221_480
.LBB221_512:                            ;   in Loop: Header=BB221_402 Depth=2
	v_lshlrev_b32_e32 v2, 2, v88
	v_add_nc_u32_e32 v20, v1, v47
	ds_load_b32 v2, v2
	ds_load_b64 v[20:21], v20 offset:11264
	s_wait_dscnt 0x1
	v_add_nc_u32_e32 v2, v2, v35
	s_delay_alu instid0(VALU_DEP_1) | instskip(NEXT) | instid1(VALU_DEP_1)
	v_lshlrev_b64_e32 v[23:24], 3, v[2:3]
	v_add_co_u32 v23, s16, s24, v23
	s_wait_alu 0xf1ff
	s_delay_alu instid0(VALU_DEP_2)
	v_add_co_ci_u32_e64 v24, null, s25, v24, s16
	s_wait_dscnt 0x0
	global_store_b64 v[23:24], v[20:21], off
	s_wait_alu 0xfffe
	s_or_b32 exec_lo, exec_lo, s17
	s_and_saveexec_b32 s16, s15
	s_cbranch_execz .LBB221_481
.LBB221_513:                            ;   in Loop: Header=BB221_402 Depth=2
	v_lshlrev_b32_e32 v2, 2, v87
	v_add_nc_u32_e32 v20, v1, v47
	ds_load_b32 v2, v2
	ds_load_b64 v[20:21], v20 offset:13312
	s_wait_dscnt 0x1
	v_add_nc_u32_e32 v2, v2, v36
	s_delay_alu instid0(VALU_DEP_1) | instskip(NEXT) | instid1(VALU_DEP_1)
	v_lshlrev_b64_e32 v[23:24], 3, v[2:3]
	v_add_co_u32 v23, s15, s24, v23
	s_wait_alu 0xf1ff
	s_delay_alu instid0(VALU_DEP_2)
	v_add_co_ci_u32_e64 v24, null, s25, v24, s15
	s_wait_dscnt 0x0
	global_store_b64 v[23:24], v[20:21], off
	s_wait_alu 0xfffe
	s_or_b32 exec_lo, exec_lo, s16
	s_and_saveexec_b32 s15, vcc_lo
	s_cbranch_execnz .LBB221_482
	s_branch .LBB221_483
.LBB221_514:                            ;   in Loop: Header=BB221_20 Depth=1
	s_wait_loadcnt_dscnt 0x0
	s_barrier_signal -1
	s_mov_b32 s0, 0
	s_barrier_wait -1
.LBB221_515:                            ;   in Loop: Header=BB221_20 Depth=1
	s_wait_alu 0xfffe
	s_and_b32 vcc_lo, exec_lo, s0
	s_wait_alu 0xfffe
	s_cbranch_vccz .LBB221_19
; %bb.516:                              ;   in Loop: Header=BB221_20 Depth=1
	v_dual_mov_b32 v7, 0 :: v_dual_mov_b32 v10, 0
	v_dual_mov_b32 v9, 0 :: v_dual_mov_b32 v8, 0
	;; [unrolled: 1-line block ×3, first 2 shown]
	v_mov_b32_e32 v4, 0
	v_mov_b32_e32 v2, 0
	s_mov_b32 s9, s47
	s_mov_b32 s22, s33
	s_barrier_signal -1
	s_barrier_wait -1
	global_inv scope:SCOPE_SE
	s_branch .LBB221_518
.LBB221_517:                            ;   in Loop: Header=BB221_518 Depth=2
	s_wait_alu 0xfffe
	s_or_b32 exec_lo, exec_lo, s0
	s_addk_co_i32 s9, 0xf800
	s_cmp_ge_u32 s10, s34
	s_mov_b32 s22, s10
	s_cbranch_scc1 .LBB221_554
.LBB221_518:                            ;   Parent Loop BB221_20 Depth=1
                                        ; =>  This Inner Loop Header: Depth=2
	s_wait_alu 0xfffe
	s_add_co_i32 s10, s22, 0x800
	s_mov_b32 s0, -1
	s_wait_alu 0xfffe
	s_cmp_gt_u32 s10, s34
                                        ; implicit-def: $vgpr11
                                        ; implicit-def: $vgpr12
                                        ; implicit-def: $vgpr13
                                        ; implicit-def: $vgpr14
                                        ; implicit-def: $vgpr15
                                        ; implicit-def: $vgpr16
                                        ; implicit-def: $vgpr17
                                        ; implicit-def: $vgpr18
	s_cbranch_scc1 .LBB221_520
; %bb.519:                              ;   in Loop: Header=BB221_518 Depth=2
	v_add_co_u32 v19, vcc_lo, v54, s22
	s_wait_alu 0xfffd
	v_add_co_ci_u32_e64 v20, null, 0, v55, vcc_lo
	s_mov_b32 s0, 0
	s_clause 0x7
	global_load_u8 v18, v[19:20], off offset:1792
	global_load_u8 v17, v[19:20], off offset:1536
	;; [unrolled: 1-line block ×7, first 2 shown]
	global_load_u8 v11, v[19:20], off
.LBB221_520:                            ;   in Loop: Header=BB221_518 Depth=2
	s_wait_alu 0xfffe
	s_and_not1_b32 vcc_lo, exec_lo, s0
	s_movk_i32 s0, 0x800
	s_wait_alu 0xfffe
	s_cbranch_vccnz .LBB221_531
; %bb.521:                              ;   in Loop: Header=BB221_518 Depth=2
	s_add_nc_u64 s[0:1], s[36:37], s[22:23]
	s_mov_b32 s11, exec_lo
	v_cmpx_gt_u32_e64 s9, v1
	s_cbranch_execnz .LBB221_547
; %bb.522:                              ;   in Loop: Header=BB221_518 Depth=2
	s_wait_alu 0xfffe
	s_or_b32 exec_lo, exec_lo, s11
	s_delay_alu instid0(SALU_CYCLE_1)
	s_mov_b32 s11, exec_lo
	v_cmpx_gt_u32_e64 s9, v29
	s_cbranch_execnz .LBB221_548
.LBB221_523:                            ;   in Loop: Header=BB221_518 Depth=2
	s_wait_alu 0xfffe
	s_or_b32 exec_lo, exec_lo, s11
	s_delay_alu instid0(SALU_CYCLE_1)
	s_mov_b32 s11, exec_lo
	v_cmpx_gt_u32_e64 s9, v30
	s_cbranch_execnz .LBB221_549
.LBB221_524:                            ;   in Loop: Header=BB221_518 Depth=2
	s_wait_alu 0xfffe
	s_or_b32 exec_lo, exec_lo, s11
	s_delay_alu instid0(SALU_CYCLE_1)
	s_mov_b32 s11, exec_lo
	v_cmpx_gt_u32_e64 s9, v31
	s_cbranch_execnz .LBB221_550
.LBB221_525:                            ;   in Loop: Header=BB221_518 Depth=2
	s_wait_alu 0xfffe
	s_or_b32 exec_lo, exec_lo, s11
	s_delay_alu instid0(SALU_CYCLE_1)
	s_mov_b32 s11, exec_lo
	v_cmpx_gt_u32_e64 s9, v34
	s_cbranch_execnz .LBB221_551
.LBB221_526:                            ;   in Loop: Header=BB221_518 Depth=2
	s_wait_alu 0xfffe
	s_or_b32 exec_lo, exec_lo, s11
	s_delay_alu instid0(SALU_CYCLE_1)
	s_mov_b32 s11, exec_lo
	v_cmpx_gt_u32_e64 s9, v35
	s_cbranch_execnz .LBB221_552
.LBB221_527:                            ;   in Loop: Header=BB221_518 Depth=2
	s_wait_alu 0xfffe
	s_or_b32 exec_lo, exec_lo, s11
	s_delay_alu instid0(SALU_CYCLE_1)
	s_mov_b32 s11, exec_lo
	v_cmpx_gt_u32_e64 s9, v36
	s_cbranch_execnz .LBB221_553
.LBB221_528:                            ;   in Loop: Header=BB221_518 Depth=2
	s_wait_alu 0xfffe
	s_or_b32 exec_lo, exec_lo, s11
	s_delay_alu instid0(SALU_CYCLE_1)
	s_mov_b32 s11, exec_lo
	v_cmpx_gt_u32_e64 s9, v37
	s_cbranch_execz .LBB221_530
.LBB221_529:                            ;   in Loop: Header=BB221_518 Depth=2
	s_wait_loadcnt 0x0
	v_add_co_u32 v11, s0, s0, v1
	s_wait_alu 0xf1ff
	v_add_co_ci_u32_e64 v12, null, s1, 0, s0
	global_load_u8 v2, v[11:12], off offset:1792
.LBB221_530:                            ;   in Loop: Header=BB221_518 Depth=2
	s_wait_alu 0xfffe
	s_or_b32 exec_lo, exec_lo, s11
	s_wait_loadcnt 0x0
	v_dual_mov_b32 v11, v7 :: v_dual_mov_b32 v12, v10
	v_dual_mov_b32 v13, v9 :: v_dual_mov_b32 v14, v8
	;; [unrolled: 1-line block ×4, first 2 shown]
	s_mov_b32 s0, s9
.LBB221_531:                            ;   in Loop: Header=BB221_518 Depth=2
	s_wait_loadcnt 0x5
	s_delay_alu instid0(VALU_DEP_1)
	v_dual_mov_b32 v2, v18 :: v_dual_mov_b32 v5, v16
	s_wait_loadcnt 0x2
	v_dual_mov_b32 v4, v17 :: v_dual_mov_b32 v9, v13
	s_wait_loadcnt 0x0
	v_dual_mov_b32 v6, v15 :: v_dual_mov_b32 v7, v11
	v_mov_b32_e32 v8, v14
	v_mov_b32_e32 v10, v12
	s_mov_b32 s1, exec_lo
	s_wait_alu 0xfffe
	v_cmpx_gt_u32_e64 s0, v1
	s_cbranch_execnz .LBB221_539
; %bb.532:                              ;   in Loop: Header=BB221_518 Depth=2
	s_or_b32 exec_lo, exec_lo, s1
	s_delay_alu instid0(SALU_CYCLE_1)
	s_mov_b32 s1, exec_lo
	v_cmpx_gt_u32_e64 s0, v29
	s_cbranch_execnz .LBB221_540
.LBB221_533:                            ;   in Loop: Header=BB221_518 Depth=2
	s_wait_alu 0xfffe
	s_or_b32 exec_lo, exec_lo, s1
	s_delay_alu instid0(SALU_CYCLE_1)
	s_mov_b32 s1, exec_lo
	v_cmpx_gt_u32_e64 s0, v30
	s_cbranch_execnz .LBB221_541
.LBB221_534:                            ;   in Loop: Header=BB221_518 Depth=2
	s_wait_alu 0xfffe
	s_or_b32 exec_lo, exec_lo, s1
	s_delay_alu instid0(SALU_CYCLE_1)
	s_mov_b32 s1, exec_lo
	v_cmpx_gt_u32_e64 s0, v31
	s_cbranch_execnz .LBB221_542
.LBB221_535:                            ;   in Loop: Header=BB221_518 Depth=2
	s_wait_alu 0xfffe
	s_or_b32 exec_lo, exec_lo, s1
	s_delay_alu instid0(SALU_CYCLE_1)
	s_mov_b32 s1, exec_lo
	v_cmpx_gt_u32_e64 s0, v34
	s_cbranch_execnz .LBB221_543
.LBB221_536:                            ;   in Loop: Header=BB221_518 Depth=2
	s_wait_alu 0xfffe
	s_or_b32 exec_lo, exec_lo, s1
	s_delay_alu instid0(SALU_CYCLE_1)
	s_mov_b32 s1, exec_lo
	v_cmpx_gt_u32_e64 s0, v35
	s_cbranch_execnz .LBB221_544
.LBB221_537:                            ;   in Loop: Header=BB221_518 Depth=2
	s_wait_alu 0xfffe
	s_or_b32 exec_lo, exec_lo, s1
	s_delay_alu instid0(SALU_CYCLE_1)
	s_mov_b32 s1, exec_lo
	v_cmpx_gt_u32_e64 s0, v36
	s_cbranch_execnz .LBB221_545
.LBB221_538:                            ;   in Loop: Header=BB221_518 Depth=2
	s_wait_alu 0xfffe
	s_or_b32 exec_lo, exec_lo, s1
	v_cmp_gt_u32_e32 vcc_lo, s0, v37
	s_and_saveexec_b32 s0, vcc_lo
	s_cbranch_execz .LBB221_517
	s_branch .LBB221_546
.LBB221_539:                            ;   in Loop: Header=BB221_518 Depth=2
	v_and_b32_e32 v11, 0xff, v7
	s_delay_alu instid0(VALU_DEP_1) | instskip(NEXT) | instid1(VALU_DEP_1)
	v_lshrrev_b32_e32 v11, s45, v11
	v_and_b32_e32 v11, s31, v11
	s_delay_alu instid0(VALU_DEP_1) | instskip(SKIP_2) | instid1(SALU_CYCLE_1)
	v_lshl_or_b32 v11, v11, 4, v39
	ds_add_u32 v11, v61
	s_or_b32 exec_lo, exec_lo, s1
	s_mov_b32 s1, exec_lo
	v_cmpx_gt_u32_e64 s0, v29
	s_cbranch_execz .LBB221_533
.LBB221_540:                            ;   in Loop: Header=BB221_518 Depth=2
	v_and_b32_e32 v11, 0xff, v10
	s_delay_alu instid0(VALU_DEP_1) | instskip(NEXT) | instid1(VALU_DEP_1)
	v_lshrrev_b32_e32 v11, s45, v11
	v_and_b32_e32 v11, s31, v11
	s_delay_alu instid0(VALU_DEP_1) | instskip(SKIP_3) | instid1(SALU_CYCLE_1)
	v_lshl_or_b32 v11, v11, 4, v39
	ds_add_u32 v11, v61
	s_wait_alu 0xfffe
	s_or_b32 exec_lo, exec_lo, s1
	s_mov_b32 s1, exec_lo
	v_cmpx_gt_u32_e64 s0, v30
	s_cbranch_execz .LBB221_534
.LBB221_541:                            ;   in Loop: Header=BB221_518 Depth=2
	v_and_b32_e32 v11, 0xff, v9
	s_delay_alu instid0(VALU_DEP_1) | instskip(NEXT) | instid1(VALU_DEP_1)
	v_lshrrev_b32_e32 v11, s45, v11
	v_and_b32_e32 v11, s31, v11
	s_delay_alu instid0(VALU_DEP_1) | instskip(SKIP_3) | instid1(SALU_CYCLE_1)
	v_lshl_or_b32 v11, v11, 4, v39
	ds_add_u32 v11, v61
	s_wait_alu 0xfffe
	s_or_b32 exec_lo, exec_lo, s1
	s_mov_b32 s1, exec_lo
	v_cmpx_gt_u32_e64 s0, v31
	s_cbranch_execz .LBB221_535
.LBB221_542:                            ;   in Loop: Header=BB221_518 Depth=2
	v_and_b32_e32 v11, 0xff, v8
	s_delay_alu instid0(VALU_DEP_1) | instskip(NEXT) | instid1(VALU_DEP_1)
	v_lshrrev_b32_e32 v11, s45, v11
	v_and_b32_e32 v11, s31, v11
	s_delay_alu instid0(VALU_DEP_1) | instskip(SKIP_3) | instid1(SALU_CYCLE_1)
	v_lshl_or_b32 v11, v11, 4, v39
	ds_add_u32 v11, v61
	s_wait_alu 0xfffe
	s_or_b32 exec_lo, exec_lo, s1
	s_mov_b32 s1, exec_lo
	v_cmpx_gt_u32_e64 s0, v34
	s_cbranch_execz .LBB221_536
.LBB221_543:                            ;   in Loop: Header=BB221_518 Depth=2
	v_and_b32_e32 v11, 0xff, v6
	s_delay_alu instid0(VALU_DEP_1) | instskip(NEXT) | instid1(VALU_DEP_1)
	v_lshrrev_b32_e32 v11, s45, v11
	v_and_b32_e32 v11, s31, v11
	s_delay_alu instid0(VALU_DEP_1) | instskip(SKIP_3) | instid1(SALU_CYCLE_1)
	v_lshl_or_b32 v11, v11, 4, v39
	ds_add_u32 v11, v61
	s_wait_alu 0xfffe
	s_or_b32 exec_lo, exec_lo, s1
	s_mov_b32 s1, exec_lo
	v_cmpx_gt_u32_e64 s0, v35
	s_cbranch_execz .LBB221_537
.LBB221_544:                            ;   in Loop: Header=BB221_518 Depth=2
	v_and_b32_e32 v11, 0xff, v5
	s_delay_alu instid0(VALU_DEP_1) | instskip(NEXT) | instid1(VALU_DEP_1)
	v_lshrrev_b32_e32 v11, s45, v11
	v_and_b32_e32 v11, s31, v11
	s_delay_alu instid0(VALU_DEP_1) | instskip(SKIP_3) | instid1(SALU_CYCLE_1)
	v_lshl_or_b32 v11, v11, 4, v39
	ds_add_u32 v11, v61
	s_wait_alu 0xfffe
	s_or_b32 exec_lo, exec_lo, s1
	s_mov_b32 s1, exec_lo
	v_cmpx_gt_u32_e64 s0, v36
	s_cbranch_execz .LBB221_538
.LBB221_545:                            ;   in Loop: Header=BB221_518 Depth=2
	v_and_b32_e32 v11, 0xff, v4
	s_delay_alu instid0(VALU_DEP_1) | instskip(NEXT) | instid1(VALU_DEP_1)
	v_lshrrev_b32_e32 v11, s45, v11
	v_and_b32_e32 v11, s31, v11
	s_delay_alu instid0(VALU_DEP_1)
	v_lshl_or_b32 v11, v11, 4, v39
	ds_add_u32 v11, v61
	s_wait_alu 0xfffe
	s_or_b32 exec_lo, exec_lo, s1
	v_cmp_gt_u32_e32 vcc_lo, s0, v37
	s_and_saveexec_b32 s0, vcc_lo
	s_cbranch_execz .LBB221_517
.LBB221_546:                            ;   in Loop: Header=BB221_518 Depth=2
	v_and_b32_e32 v11, 0xff, v2
	s_delay_alu instid0(VALU_DEP_1) | instskip(NEXT) | instid1(VALU_DEP_1)
	v_lshrrev_b32_e32 v11, s45, v11
	v_and_b32_e32 v11, s31, v11
	s_delay_alu instid0(VALU_DEP_1)
	v_lshl_or_b32 v11, v11, 4, v39
	ds_add_u32 v11, v61
	s_branch .LBB221_517
.LBB221_547:                            ;   in Loop: Header=BB221_518 Depth=2
	s_wait_loadcnt 0x0
	s_wait_alu 0xfffe
	v_add_co_u32 v11, s12, s0, v1
	s_wait_alu 0xf1ff
	v_add_co_ci_u32_e64 v12, null, s1, 0, s12
	global_load_u8 v7, v[11:12], off
	s_or_b32 exec_lo, exec_lo, s11
	s_delay_alu instid0(SALU_CYCLE_1)
	s_mov_b32 s11, exec_lo
	v_cmpx_gt_u32_e64 s9, v29
	s_cbranch_execz .LBB221_523
.LBB221_548:                            ;   in Loop: Header=BB221_518 Depth=2
	v_add_co_u32 v10, s12, s0, v1
	s_wait_loadcnt 0x0
	s_wait_alu 0xf1ff
	v_add_co_ci_u32_e64 v11, null, s1, 0, s12
	global_load_u8 v10, v[10:11], off offset:256
	s_wait_alu 0xfffe
	s_or_b32 exec_lo, exec_lo, s11
	s_delay_alu instid0(SALU_CYCLE_1)
	s_mov_b32 s11, exec_lo
	v_cmpx_gt_u32_e64 s9, v30
	s_cbranch_execz .LBB221_524
.LBB221_549:                            ;   in Loop: Header=BB221_518 Depth=2
	s_wait_loadcnt 0x0
	v_add_co_u32 v11, s12, s0, v1
	s_wait_alu 0xf1ff
	v_add_co_ci_u32_e64 v12, null, s1, 0, s12
	global_load_u8 v9, v[11:12], off offset:512
	s_wait_alu 0xfffe
	s_or_b32 exec_lo, exec_lo, s11
	s_delay_alu instid0(SALU_CYCLE_1)
	s_mov_b32 s11, exec_lo
	v_cmpx_gt_u32_e64 s9, v31
	s_cbranch_execz .LBB221_525
.LBB221_550:                            ;   in Loop: Header=BB221_518 Depth=2
	s_wait_loadcnt 0x0
	v_add_co_u32 v11, s12, s0, v1
	s_wait_alu 0xf1ff
	v_add_co_ci_u32_e64 v12, null, s1, 0, s12
	global_load_u8 v8, v[11:12], off offset:768
	s_wait_alu 0xfffe
	s_or_b32 exec_lo, exec_lo, s11
	s_delay_alu instid0(SALU_CYCLE_1)
	s_mov_b32 s11, exec_lo
	v_cmpx_gt_u32_e64 s9, v34
	s_cbranch_execz .LBB221_526
.LBB221_551:                            ;   in Loop: Header=BB221_518 Depth=2
	s_wait_loadcnt 0x0
	v_add_co_u32 v11, s12, s0, v1
	s_wait_alu 0xf1ff
	v_add_co_ci_u32_e64 v12, null, s1, 0, s12
	global_load_u8 v6, v[11:12], off offset:1024
	s_wait_alu 0xfffe
	s_or_b32 exec_lo, exec_lo, s11
	s_delay_alu instid0(SALU_CYCLE_1)
	s_mov_b32 s11, exec_lo
	v_cmpx_gt_u32_e64 s9, v35
	s_cbranch_execz .LBB221_527
.LBB221_552:                            ;   in Loop: Header=BB221_518 Depth=2
	s_wait_loadcnt 0x0
	v_add_co_u32 v11, s12, s0, v1
	s_wait_alu 0xf1ff
	v_add_co_ci_u32_e64 v12, null, s1, 0, s12
	global_load_u8 v5, v[11:12], off offset:1280
	s_wait_alu 0xfffe
	s_or_b32 exec_lo, exec_lo, s11
	s_delay_alu instid0(SALU_CYCLE_1)
	s_mov_b32 s11, exec_lo
	v_cmpx_gt_u32_e64 s9, v36
	s_cbranch_execz .LBB221_528
.LBB221_553:                            ;   in Loop: Header=BB221_518 Depth=2
	s_wait_loadcnt 0x0
	v_add_co_u32 v11, s12, s0, v1
	s_wait_alu 0xf1ff
	v_add_co_ci_u32_e64 v12, null, s1, 0, s12
	global_load_u8 v4, v[11:12], off offset:1536
	s_wait_alu 0xfffe
	s_or_b32 exec_lo, exec_lo, s11
	s_delay_alu instid0(SALU_CYCLE_1)
	s_mov_b32 s11, exec_lo
	v_cmpx_gt_u32_e64 s9, v37
	s_cbranch_execnz .LBB221_529
	s_branch .LBB221_530
.LBB221_554:                            ;   in Loop: Header=BB221_20 Depth=1
	v_mov_b32_e32 v2, 0
	s_wait_dscnt 0x0
	s_barrier_signal -1
	s_barrier_wait -1
	global_inv scope:SCOPE_SE
	s_and_saveexec_b32 s0, s2
	s_cbranch_execz .LBB221_556
; %bb.555:                              ;   in Loop: Header=BB221_20 Depth=1
	ds_load_2addr_b64 v[4:7], v40 offset1:1
	s_wait_dscnt 0x0
	v_add_nc_u32_e32 v2, v5, v4
	s_delay_alu instid0(VALU_DEP_1)
	v_add3_u32 v2, v2, v6, v7
.LBB221_556:                            ;   in Loop: Header=BB221_20 Depth=1
	s_wait_alu 0xfffe
	s_or_b32 exec_lo, exec_lo, s0
	s_delay_alu instid0(VALU_DEP_1)
	v_mov_b32_dpp v4, v2 row_shr:1 row_mask:0xf bank_mask:0xf
	v_cmp_eq_u32_e64 s0, 0, v62
	v_cmp_lt_u32_e64 s1, 1, v62
	v_cmp_lt_u32_e64 s9, 3, v62
	;; [unrolled: 1-line block ×3, first 2 shown]
	v_cmp_eq_u32_e64 s11, 0, v64
	s_wait_alu 0xf1ff
	v_cndmask_b32_e64 v4, v4, 0, s0
	s_delay_alu instid0(VALU_DEP_1) | instskip(NEXT) | instid1(VALU_DEP_1)
	v_add_nc_u32_e32 v2, v4, v2
	v_mov_b32_dpp v4, v2 row_shr:2 row_mask:0xf bank_mask:0xf
	s_delay_alu instid0(VALU_DEP_1) | instskip(NEXT) | instid1(VALU_DEP_1)
	v_cndmask_b32_e64 v4, 0, v4, s1
	v_add_nc_u32_e32 v2, v2, v4
	s_delay_alu instid0(VALU_DEP_1) | instskip(NEXT) | instid1(VALU_DEP_1)
	v_mov_b32_dpp v4, v2 row_shr:4 row_mask:0xf bank_mask:0xf
	v_cndmask_b32_e64 v4, 0, v4, s9
	s_delay_alu instid0(VALU_DEP_1) | instskip(NEXT) | instid1(VALU_DEP_1)
	v_add_nc_u32_e32 v2, v2, v4
	v_mov_b32_dpp v4, v2 row_shr:8 row_mask:0xf bank_mask:0xf
	s_delay_alu instid0(VALU_DEP_1) | instskip(NEXT) | instid1(VALU_DEP_1)
	v_cndmask_b32_e64 v4, 0, v4, s10
	v_add_nc_u32_e32 v2, v2, v4
	ds_swizzle_b32 v4, v2 offset:swizzle(BROADCAST,32,15)
	s_wait_dscnt 0x0
	v_and_b32_e32 v4, v63, v4
	s_delay_alu instid0(VALU_DEP_1)
	v_add_nc_u32_e32 v2, v2, v4
	s_and_saveexec_b32 s12, s3
; %bb.557:                              ;   in Loop: Header=BB221_20 Depth=1
	ds_store_b32 v41, v2
; %bb.558:                              ;   in Loop: Header=BB221_20 Depth=1
	s_wait_alu 0xfffe
	s_or_b32 exec_lo, exec_lo, s12
	s_wait_loadcnt_dscnt 0x0
	s_barrier_signal -1
	s_barrier_wait -1
	global_inv scope:SCOPE_SE
	s_and_saveexec_b32 s12, s4
	s_cbranch_execz .LBB221_560
; %bb.559:                              ;   in Loop: Header=BB221_20 Depth=1
	ds_load_b32 v4, v42
	v_cmp_ne_u32_e32 vcc_lo, 0, v65
	s_wait_dscnt 0x0
	v_mov_b32_dpp v5, v4 row_shr:1 row_mask:0xf bank_mask:0xf
	s_wait_alu 0xfffd
	s_delay_alu instid0(VALU_DEP_1) | instskip(SKIP_1) | instid1(VALU_DEP_2)
	v_cndmask_b32_e32 v5, 0, v5, vcc_lo
	v_cmp_lt_u32_e32 vcc_lo, 1, v65
	v_add_nc_u32_e32 v4, v5, v4
	s_delay_alu instid0(VALU_DEP_1) | instskip(SKIP_1) | instid1(VALU_DEP_1)
	v_mov_b32_dpp v5, v4 row_shr:2 row_mask:0xf bank_mask:0xf
	s_wait_alu 0xfffd
	v_cndmask_b32_e32 v5, 0, v5, vcc_lo
	v_cmp_lt_u32_e32 vcc_lo, 3, v65
	s_delay_alu instid0(VALU_DEP_2) | instskip(NEXT) | instid1(VALU_DEP_1)
	v_add_nc_u32_e32 v4, v4, v5
	v_mov_b32_dpp v5, v4 row_shr:4 row_mask:0xf bank_mask:0xf
	s_wait_alu 0xfffd
	s_delay_alu instid0(VALU_DEP_1) | instskip(NEXT) | instid1(VALU_DEP_1)
	v_cndmask_b32_e32 v5, 0, v5, vcc_lo
	v_add_nc_u32_e32 v4, v4, v5
	ds_store_b32 v42, v4
.LBB221_560:                            ;   in Loop: Header=BB221_20 Depth=1
	s_wait_alu 0xfffe
	s_or_b32 exec_lo, exec_lo, s12
	v_mov_b32_e32 v4, 0
	s_wait_loadcnt_dscnt 0x0
	s_barrier_signal -1
	s_barrier_wait -1
	global_inv scope:SCOPE_SE
	s_and_saveexec_b32 s12, s5
; %bb.561:                              ;   in Loop: Header=BB221_20 Depth=1
	ds_load_b32 v4, v43
; %bb.562:                              ;   in Loop: Header=BB221_20 Depth=1
	s_wait_alu 0xfffe
	s_or_b32 exec_lo, exec_lo, s12
	v_cmp_gt_i32_e32 vcc_lo, 0, v67
	s_wait_dscnt 0x0
	v_add_nc_u32_e32 v2, v4, v2
	s_wait_loadcnt 0x0
	s_barrier_signal -1
	s_barrier_wait -1
	s_wait_alu 0xfffd
	v_cndmask_b32_e32 v5, v67, v58, vcc_lo
	global_inv scope:SCOPE_SE
	v_lshlrev_b32_e32 v80, 2, v5
	ds_bpermute_b32 v2, v80, v2
	s_and_saveexec_b32 s12, s2
	s_cbranch_execz .LBB221_564
; %bb.563:                              ;   in Loop: Header=BB221_20 Depth=1
	s_wait_dscnt 0x0
	v_cndmask_b32_e64 v2, v2, v4, s8
	s_delay_alu instid0(VALU_DEP_1)
	v_add_nc_u32_e32 v2, s33, v2
	ds_store_b32 v28, v2
.LBB221_564:                            ;   in Loop: Header=BB221_20 Depth=1
	s_wait_alu 0xfffe
	s_or_b32 exec_lo, exec_lo, s12
	s_load_b64 s[12:13], s[28:29], 0x0
	v_add_co_u32 v81, vcc_lo, v56, v66
	s_wait_alu 0xfffd
	v_add_co_ci_u32_e64 v82, null, 0, v57, vcc_lo
	v_add_co_u32 v83, vcc_lo, v59, v58
	s_wait_alu 0xfffd
	v_add_co_ci_u32_e64 v84, null, 0, v60, vcc_lo
	s_mov_b32 s42, s47
                                        ; implicit-def: $vgpr6_vgpr7
                                        ; implicit-def: $vgpr8_vgpr9
                                        ; implicit-def: $vgpr10_vgpr11
                                        ; implicit-def: $vgpr12_vgpr13
                                        ; implicit-def: $vgpr14_vgpr15
                                        ; implicit-def: $vgpr16_vgpr17
                                        ; implicit-def: $vgpr18_vgpr19
                                        ; implicit-def: $vgpr86
                                        ; implicit-def: $vgpr87
                                        ; implicit-def: $vgpr88
                                        ; implicit-def: $vgpr89
                                        ; implicit-def: $vgpr90
                                        ; implicit-def: $vgpr91
                                        ; implicit-def: $vgpr92
                                        ; implicit-def: $vgpr93
	s_wait_kmcnt 0x0
	s_cmp_lt_u32 ttmp7, s13
	s_cselect_b32 s22, 14, 20
	s_cmp_lt_u32 ttmp9, s12
	s_wait_alu 0xfffe
	s_add_nc_u64 s[14:15], s[28:29], s[22:23]
	s_cselect_b32 s22, 12, 18
	s_load_u16 s14, s[14:15], 0x0
	s_add_nc_u64 s[12:13], s[28:29], s[22:23]
	s_mov_b32 s22, s33
	s_load_u16 s12, s[12:13], 0x0
	v_cmp_lt_u32_e64 s13, 1, v65
	s_wait_dscnt 0x0
	s_wait_kmcnt 0x0
	v_mad_u32_u24 v2, v44, s14, v0
	v_cmp_lt_u32_e64 s14, 3, v65
	s_delay_alu instid0(VALU_DEP_2) | instskip(SKIP_1) | instid1(VALU_DEP_2)
	v_mad_co_u64_u32 v[4:5], null, v2, s12, v[1:2]
	v_cmp_eq_u32_e64 s12, 0, v65
	v_lshrrev_b32_e32 v2, 3, v4
                                        ; implicit-def: $vgpr4_vgpr5
	s_delay_alu instid0(VALU_DEP_1)
	v_and_b32_e32 v85, 0x1ffffffc, v2
	s_branch .LBB221_566
.LBB221_565:                            ;   in Loop: Header=BB221_566 Depth=2
	s_wait_alu 0xfffe
	s_or_b32 exec_lo, exec_lo, s15
	s_addk_co_i32 s42, 0xf800
	s_cmp_lt_u32 s43, s34
	s_mov_b32 s22, s43
	s_cbranch_scc0 .LBB221_18
.LBB221_566:                            ;   Parent Loop BB221_20 Depth=1
                                        ; =>  This Inner Loop Header: Depth=2
	s_wait_alu 0xfffe
	s_add_co_i32 s43, s22, 0x800
	s_wait_alu 0xfffe
	s_cmp_gt_u32 s43, s34
	s_cbranch_scc1 .LBB221_568
; %bb.567:                              ;   in Loop: Header=BB221_566 Depth=2
	v_add_co_u32 v20, vcc_lo, v83, s22
	s_wait_alu 0xfffd
	v_add_co_ci_u32_e64 v21, null, 0, v84, vcc_lo
	s_mov_b32 s15, -1
	s_clause 0x6
	global_load_u8 v94, v[20:21], off
	global_load_u8 v95, v[20:21], off offset:32
	global_load_u8 v96, v[20:21], off offset:64
	;; [unrolled: 1-line block ×6, first 2 shown]
	s_movk_i32 s16, 0x800
	s_cbranch_execz .LBB221_569
	s_branch .LBB221_584
.LBB221_568:                            ;   in Loop: Header=BB221_566 Depth=2
	s_mov_b32 s15, 0
                                        ; implicit-def: $vgpr94
                                        ; implicit-def: $vgpr95
                                        ; implicit-def: $vgpr96
                                        ; implicit-def: $vgpr97
                                        ; implicit-def: $vgpr98
                                        ; implicit-def: $vgpr99
                                        ; implicit-def: $vgpr100
	s_movk_i32 s16, 0x800
.LBB221_569:                            ;   in Loop: Header=BB221_566 Depth=2
	v_add_co_u32 v20, vcc_lo, v83, s22
	s_wait_alu 0xfffd
	v_add_co_ci_u32_e64 v21, null, 0, v84, vcc_lo
	s_wait_loadcnt 0x5
	v_dual_mov_b32 v95, 0xff :: v_dual_mov_b32 v94, 0xff
	s_mov_b32 s15, exec_lo
	v_cmpx_gt_u32_e64 s42, v68
	s_cbranch_execz .LBB221_571
; %bb.570:                              ;   in Loop: Header=BB221_566 Depth=2
	global_load_u8 v94, v[20:21], off
.LBB221_571:                            ;   in Loop: Header=BB221_566 Depth=2
	s_wait_alu 0xfffe
	s_or_b32 exec_lo, exec_lo, s15
	s_delay_alu instid0(SALU_CYCLE_1)
	s_mov_b32 s15, exec_lo
	v_cmpx_gt_u32_e64 s42, v71
	s_cbranch_execz .LBB221_573
; %bb.572:                              ;   in Loop: Header=BB221_566 Depth=2
	global_load_u8 v95, v[20:21], off offset:32
.LBB221_573:                            ;   in Loop: Header=BB221_566 Depth=2
	s_wait_alu 0xfffe
	s_or_b32 exec_lo, exec_lo, s15
	s_wait_loadcnt 0x3
	v_dual_mov_b32 v97, 0xff :: v_dual_mov_b32 v96, 0xff
	s_mov_b32 s15, exec_lo
	v_cmpx_gt_u32_e64 s42, v72
	s_cbranch_execz .LBB221_575
; %bb.574:                              ;   in Loop: Header=BB221_566 Depth=2
	global_load_u8 v96, v[20:21], off offset:64
.LBB221_575:                            ;   in Loop: Header=BB221_566 Depth=2
	s_wait_alu 0xfffe
	s_or_b32 exec_lo, exec_lo, s15
	s_delay_alu instid0(SALU_CYCLE_1)
	s_mov_b32 s15, exec_lo
	v_cmpx_gt_u32_e64 s42, v73
	s_cbranch_execz .LBB221_577
; %bb.576:                              ;   in Loop: Header=BB221_566 Depth=2
	global_load_u8 v97, v[20:21], off offset:96
.LBB221_577:                            ;   in Loop: Header=BB221_566 Depth=2
	s_wait_alu 0xfffe
	s_or_b32 exec_lo, exec_lo, s15
	s_wait_loadcnt 0x1
	v_dual_mov_b32 v99, 0xff :: v_dual_mov_b32 v98, 0xff
	s_mov_b32 s15, exec_lo
	v_cmpx_gt_u32_e64 s42, v74
	s_cbranch_execz .LBB221_579
; %bb.578:                              ;   in Loop: Header=BB221_566 Depth=2
	global_load_u8 v98, v[20:21], off offset:128
.LBB221_579:                            ;   in Loop: Header=BB221_566 Depth=2
	s_wait_alu 0xfffe
	s_or_b32 exec_lo, exec_lo, s15
	s_delay_alu instid0(SALU_CYCLE_1)
	s_mov_b32 s15, exec_lo
	v_cmpx_gt_u32_e64 s42, v75
	s_cbranch_execz .LBB221_581
; %bb.580:                              ;   in Loop: Header=BB221_566 Depth=2
	global_load_u8 v99, v[20:21], off offset:160
.LBB221_581:                            ;   in Loop: Header=BB221_566 Depth=2
	s_wait_alu 0xfffe
	s_or_b32 exec_lo, exec_lo, s15
	s_wait_loadcnt 0x0
	v_mov_b32_e32 v100, 0xff
	s_mov_b32 s15, exec_lo
	v_cmpx_gt_u32_e64 s42, v76
	s_cbranch_execz .LBB221_583
; %bb.582:                              ;   in Loop: Header=BB221_566 Depth=2
	global_load_u8 v100, v[20:21], off offset:192
.LBB221_583:                            ;   in Loop: Header=BB221_566 Depth=2
	s_wait_alu 0xfffe
	s_or_b32 exec_lo, exec_lo, s15
	v_cmp_gt_u32_e64 s15, s42, v77
	s_sub_co_i32 s16, s34, s22
.LBB221_584:                            ;   in Loop: Header=BB221_566 Depth=2
	v_dual_mov_b32 v101, 0xff :: v_dual_mov_b32 v2, s42
	s_wait_alu 0xfffe
	s_and_saveexec_b32 s17, s15
	s_cbranch_execz .LBB221_586
; %bb.585:                              ;   in Loop: Header=BB221_566 Depth=2
	v_add_co_u32 v20, vcc_lo, v83, s22
	s_wait_alu 0xfffd
	v_add_co_ci_u32_e64 v21, null, s23, v84, vcc_lo
	v_mov_b32_e32 v2, s16
	global_load_u8 v101, v[20:21], off offset:224
.LBB221_586:                            ;   in Loop: Header=BB221_566 Depth=2
	s_wait_alu 0xfffe
	s_or_b32 exec_lo, exec_lo, s17
	s_wait_loadcnt 0x6
	v_and_b32_e32 v20, 0xff, v94
	v_add_nc_u32_e32 v104, 0x420, v45
	v_add_nc_u32_e32 v105, 0x428, v45
	;; [unrolled: 1-line block ×3, first 2 shown]
	s_delay_alu instid0(VALU_DEP_4) | instskip(NEXT) | instid1(VALU_DEP_1)
	v_lshrrev_b32_e32 v20, s45, v20
	v_and_b32_e32 v21, s31, v20
	s_delay_alu instid0(VALU_DEP_1)
	v_and_b32_e32 v20, 1, v21
	v_lshlrev_b32_e32 v22, 30, v21
	v_lshlrev_b32_e32 v23, 29, v21
	;; [unrolled: 1-line block ×4, first 2 shown]
	v_add_co_u32 v20, s15, v20, -1
	s_wait_alu 0xf1ff
	v_cndmask_b32_e64 v25, 0, 1, s15
	v_not_b32_e32 v103, v22
	v_cmp_gt_i32_e64 s15, 0, v22
	v_not_b32_e32 v22, v23
	v_lshlrev_b32_e32 v27, 26, v21
	v_cmp_ne_u32_e32 vcc_lo, 0, v25
	v_ashrrev_i32_e32 v103, 31, v103
	v_lshlrev_b32_e32 v102, 25, v21
	v_ashrrev_i32_e32 v22, 31, v22
	v_lshlrev_b32_e32 v25, 24, v21
	s_wait_alu 0xfffd
	v_xor_b32_e32 v20, vcc_lo, v20
	v_cmp_gt_i32_e32 vcc_lo, 0, v23
	v_not_b32_e32 v23, v24
	s_wait_alu 0xf1ff
	v_xor_b32_e32 v103, s15, v103
	v_cmp_gt_i32_e64 s15, 0, v24
	v_and_b32_e32 v20, exec_lo, v20
	v_not_b32_e32 v24, v26
	v_ashrrev_i32_e32 v23, 31, v23
	s_wait_alu 0xfffd
	v_xor_b32_e32 v22, vcc_lo, v22
	v_cmp_gt_i32_e32 vcc_lo, 0, v26
	v_and_b32_e32 v20, v20, v103
	v_not_b32_e32 v26, v27
	v_ashrrev_i32_e32 v24, 31, v24
	s_wait_alu 0xf1ff
	v_xor_b32_e32 v23, s15, v23
	v_cmp_gt_i32_e64 s15, 0, v27
	v_and_b32_e32 v20, v20, v22
	v_not_b32_e32 v22, v102
	v_ashrrev_i32_e32 v26, 31, v26
	s_wait_alu 0xfffd
	v_xor_b32_e32 v24, vcc_lo, v24
	v_cmp_gt_i32_e32 vcc_lo, 0, v102
	v_and_b32_e32 v20, v20, v23
	v_not_b32_e32 v23, v25
	v_ashrrev_i32_e32 v22, 31, v22
	s_wait_alu 0xf1ff
	v_xor_b32_e32 v26, s15, v26
	v_cmp_gt_i32_e64 s15, 0, v25
	v_and_b32_e32 v20, v20, v24
	v_ashrrev_i32_e32 v23, 31, v23
	s_wait_alu 0xfffd
	v_xor_b32_e32 v22, vcc_lo, v22
	v_mul_u32_u24_e32 v21, 36, v21
	v_add_nc_u32_e32 v103, 0x438, v45
	v_and_b32_e32 v20, v20, v26
	s_wait_alu 0xf1ff
	v_xor_b32_e32 v23, s15, v23
	v_add_nc_u32_e32 v107, v85, v21
	ds_store_2addr_b32 v103, v3, v3 offset1:1
	v_and_b32_e32 v20, v20, v22
	ds_store_2addr_b32 v104, v3, v3 offset1:1
	ds_store_2addr_b32 v105, v3, v3 offset1:1
	ds_store_2addr_b32 v106, v3, v3 offset1:1
	ds_store_b32 v45, v3 offset:1088
	s_wait_loadcnt_dscnt 0x0
	s_barrier_signal -1
	s_barrier_wait -1
	v_and_b32_e32 v20, v20, v23
	global_inv scope:SCOPE_SE
	; wave barrier
	v_mbcnt_lo_u32_b32 v102, v20, 0
	v_cmp_ne_u32_e64 s15, 0, v20
	s_delay_alu instid0(VALU_DEP_2)
	v_cmp_eq_u32_e32 vcc_lo, 0, v102
	s_and_b32 s16, s15, vcc_lo
	s_wait_alu 0xfffe
	s_and_saveexec_b32 s15, s16
; %bb.587:                              ;   in Loop: Header=BB221_566 Depth=2
	v_bcnt_u32_b32 v20, v20, 0
	ds_store_b32 v107, v20 offset:1056
; %bb.588:                              ;   in Loop: Header=BB221_566 Depth=2
	s_wait_alu 0xfffe
	s_or_b32 exec_lo, exec_lo, s15
	v_and_b32_e32 v20, 0xff, v95
	; wave barrier
	s_delay_alu instid0(VALU_DEP_1) | instskip(NEXT) | instid1(VALU_DEP_1)
	v_lshrrev_b32_e32 v20, s45, v20
	v_and_b32_e32 v21, s31, v20
	s_delay_alu instid0(VALU_DEP_1)
	v_and_b32_e32 v20, 1, v21
	v_lshlrev_b32_e32 v22, 30, v21
	v_lshlrev_b32_e32 v23, 29, v21
	;; [unrolled: 1-line block ×4, first 2 shown]
	v_add_co_u32 v20, s15, v20, -1
	s_wait_alu 0xf1ff
	v_cndmask_b32_e64 v25, 0, 1, s15
	v_not_b32_e32 v109, v22
	v_cmp_gt_i32_e64 s15, 0, v22
	v_not_b32_e32 v22, v23
	v_lshlrev_b32_e32 v27, 26, v21
	v_cmp_ne_u32_e32 vcc_lo, 0, v25
	v_ashrrev_i32_e32 v109, 31, v109
	v_lshlrev_b32_e32 v108, 25, v21
	v_ashrrev_i32_e32 v22, 31, v22
	v_lshlrev_b32_e32 v25, 24, v21
	s_wait_alu 0xfffd
	v_xor_b32_e32 v20, vcc_lo, v20
	v_cmp_gt_i32_e32 vcc_lo, 0, v23
	v_not_b32_e32 v23, v24
	s_wait_alu 0xf1ff
	v_xor_b32_e32 v109, s15, v109
	v_cmp_gt_i32_e64 s15, 0, v24
	v_and_b32_e32 v20, exec_lo, v20
	v_not_b32_e32 v24, v26
	v_ashrrev_i32_e32 v23, 31, v23
	s_wait_alu 0xfffd
	v_xor_b32_e32 v22, vcc_lo, v22
	v_cmp_gt_i32_e32 vcc_lo, 0, v26
	v_and_b32_e32 v20, v20, v109
	v_not_b32_e32 v26, v27
	v_ashrrev_i32_e32 v24, 31, v24
	s_wait_alu 0xf1ff
	v_xor_b32_e32 v23, s15, v23
	v_cmp_gt_i32_e64 s15, 0, v27
	v_and_b32_e32 v20, v20, v22
	v_not_b32_e32 v22, v108
	v_ashrrev_i32_e32 v26, 31, v26
	s_wait_alu 0xfffd
	v_xor_b32_e32 v24, vcc_lo, v24
	v_cmp_gt_i32_e32 vcc_lo, 0, v108
	v_and_b32_e32 v20, v20, v23
	v_not_b32_e32 v23, v25
	v_ashrrev_i32_e32 v22, 31, v22
	s_wait_alu 0xf1ff
	v_xor_b32_e32 v26, s15, v26
	v_cmp_gt_i32_e64 s15, 0, v25
	v_and_b32_e32 v20, v20, v24
	v_ashrrev_i32_e32 v23, 31, v23
	s_wait_alu 0xfffd
	v_xor_b32_e32 v22, vcc_lo, v22
	v_mad_u32_u24 v24, v21, 36, v85
	v_mul_u32_u24_e32 v21, 36, v21
	v_and_b32_e32 v20, v20, v26
	s_wait_alu 0xf1ff
	v_xor_b32_e32 v23, s15, v23
	ds_load_b32 v108, v24 offset:1056
	v_add_nc_u32_e32 v110, v85, v21
	v_and_b32_e32 v20, v20, v22
	; wave barrier
	s_delay_alu instid0(VALU_DEP_1) | instskip(NEXT) | instid1(VALU_DEP_1)
	v_and_b32_e32 v20, v20, v23
	v_mbcnt_lo_u32_b32 v109, v20, 0
	v_cmp_ne_u32_e64 s15, 0, v20
	s_delay_alu instid0(VALU_DEP_2)
	v_cmp_eq_u32_e32 vcc_lo, 0, v109
	s_and_b32 s16, s15, vcc_lo
	s_wait_alu 0xfffe
	s_and_saveexec_b32 s15, s16
	s_cbranch_execz .LBB221_590
; %bb.589:                              ;   in Loop: Header=BB221_566 Depth=2
	s_wait_dscnt 0x0
	v_bcnt_u32_b32 v20, v20, v108
	ds_store_b32 v110, v20 offset:1056
.LBB221_590:                            ;   in Loop: Header=BB221_566 Depth=2
	s_wait_alu 0xfffe
	s_or_b32 exec_lo, exec_lo, s15
	v_and_b32_e32 v20, 0xff, v96
	; wave barrier
	s_delay_alu instid0(VALU_DEP_1) | instskip(NEXT) | instid1(VALU_DEP_1)
	v_lshrrev_b32_e32 v20, s45, v20
	v_and_b32_e32 v21, s31, v20
	s_delay_alu instid0(VALU_DEP_1)
	v_and_b32_e32 v20, 1, v21
	v_lshlrev_b32_e32 v22, 30, v21
	v_lshlrev_b32_e32 v23, 29, v21
	;; [unrolled: 1-line block ×4, first 2 shown]
	v_add_co_u32 v20, s15, v20, -1
	s_wait_alu 0xf1ff
	v_cndmask_b32_e64 v25, 0, 1, s15
	v_not_b32_e32 v112, v22
	v_cmp_gt_i32_e64 s15, 0, v22
	v_not_b32_e32 v22, v23
	v_lshlrev_b32_e32 v27, 26, v21
	v_cmp_ne_u32_e32 vcc_lo, 0, v25
	v_ashrrev_i32_e32 v112, 31, v112
	v_lshlrev_b32_e32 v111, 25, v21
	v_ashrrev_i32_e32 v22, 31, v22
	v_lshlrev_b32_e32 v25, 24, v21
	s_wait_alu 0xfffd
	v_xor_b32_e32 v20, vcc_lo, v20
	v_cmp_gt_i32_e32 vcc_lo, 0, v23
	v_not_b32_e32 v23, v24
	s_wait_alu 0xf1ff
	v_xor_b32_e32 v112, s15, v112
	v_cmp_gt_i32_e64 s15, 0, v24
	v_and_b32_e32 v20, exec_lo, v20
	v_not_b32_e32 v24, v26
	v_ashrrev_i32_e32 v23, 31, v23
	s_wait_alu 0xfffd
	v_xor_b32_e32 v22, vcc_lo, v22
	v_cmp_gt_i32_e32 vcc_lo, 0, v26
	v_and_b32_e32 v20, v20, v112
	v_not_b32_e32 v26, v27
	v_ashrrev_i32_e32 v24, 31, v24
	s_wait_alu 0xf1ff
	v_xor_b32_e32 v23, s15, v23
	v_cmp_gt_i32_e64 s15, 0, v27
	v_and_b32_e32 v20, v20, v22
	v_not_b32_e32 v22, v111
	v_ashrrev_i32_e32 v26, 31, v26
	s_wait_alu 0xfffd
	v_xor_b32_e32 v24, vcc_lo, v24
	v_cmp_gt_i32_e32 vcc_lo, 0, v111
	v_and_b32_e32 v20, v20, v23
	v_not_b32_e32 v23, v25
	v_ashrrev_i32_e32 v22, 31, v22
	s_wait_alu 0xf1ff
	v_xor_b32_e32 v26, s15, v26
	v_cmp_gt_i32_e64 s15, 0, v25
	v_and_b32_e32 v20, v20, v24
	v_ashrrev_i32_e32 v23, 31, v23
	s_wait_alu 0xfffd
	v_xor_b32_e32 v22, vcc_lo, v22
	v_mad_u32_u24 v24, v21, 36, v85
	v_mul_u32_u24_e32 v21, 36, v21
	v_and_b32_e32 v20, v20, v26
	s_wait_alu 0xf1ff
	v_xor_b32_e32 v23, s15, v23
	ds_load_b32 v111, v24 offset:1056
	v_add_nc_u32_e32 v113, v85, v21
	v_and_b32_e32 v20, v20, v22
	; wave barrier
	s_delay_alu instid0(VALU_DEP_1) | instskip(NEXT) | instid1(VALU_DEP_1)
	v_and_b32_e32 v20, v20, v23
	v_mbcnt_lo_u32_b32 v112, v20, 0
	v_cmp_ne_u32_e64 s15, 0, v20
	s_delay_alu instid0(VALU_DEP_2)
	v_cmp_eq_u32_e32 vcc_lo, 0, v112
	s_and_b32 s16, s15, vcc_lo
	s_wait_alu 0xfffe
	s_and_saveexec_b32 s15, s16
	s_cbranch_execz .LBB221_592
; %bb.591:                              ;   in Loop: Header=BB221_566 Depth=2
	s_wait_dscnt 0x0
	v_bcnt_u32_b32 v20, v20, v111
	ds_store_b32 v113, v20 offset:1056
.LBB221_592:                            ;   in Loop: Header=BB221_566 Depth=2
	s_wait_alu 0xfffe
	s_or_b32 exec_lo, exec_lo, s15
	v_and_b32_e32 v20, 0xff, v97
	; wave barrier
	s_delay_alu instid0(VALU_DEP_1) | instskip(NEXT) | instid1(VALU_DEP_1)
	v_lshrrev_b32_e32 v20, s45, v20
	v_and_b32_e32 v21, s31, v20
	s_delay_alu instid0(VALU_DEP_1)
	v_and_b32_e32 v20, 1, v21
	v_lshlrev_b32_e32 v22, 30, v21
	v_lshlrev_b32_e32 v23, 29, v21
	;; [unrolled: 1-line block ×4, first 2 shown]
	v_add_co_u32 v20, s15, v20, -1
	s_wait_alu 0xf1ff
	v_cndmask_b32_e64 v25, 0, 1, s15
	v_not_b32_e32 v115, v22
	v_cmp_gt_i32_e64 s15, 0, v22
	v_not_b32_e32 v22, v23
	v_lshlrev_b32_e32 v27, 26, v21
	v_cmp_ne_u32_e32 vcc_lo, 0, v25
	v_ashrrev_i32_e32 v115, 31, v115
	v_lshlrev_b32_e32 v114, 25, v21
	v_ashrrev_i32_e32 v22, 31, v22
	v_lshlrev_b32_e32 v25, 24, v21
	s_wait_alu 0xfffd
	v_xor_b32_e32 v20, vcc_lo, v20
	v_cmp_gt_i32_e32 vcc_lo, 0, v23
	v_not_b32_e32 v23, v24
	s_wait_alu 0xf1ff
	v_xor_b32_e32 v115, s15, v115
	v_cmp_gt_i32_e64 s15, 0, v24
	v_and_b32_e32 v20, exec_lo, v20
	v_not_b32_e32 v24, v26
	v_ashrrev_i32_e32 v23, 31, v23
	s_wait_alu 0xfffd
	v_xor_b32_e32 v22, vcc_lo, v22
	v_cmp_gt_i32_e32 vcc_lo, 0, v26
	v_and_b32_e32 v20, v20, v115
	v_not_b32_e32 v26, v27
	v_ashrrev_i32_e32 v24, 31, v24
	s_wait_alu 0xf1ff
	v_xor_b32_e32 v23, s15, v23
	v_cmp_gt_i32_e64 s15, 0, v27
	v_and_b32_e32 v20, v20, v22
	v_not_b32_e32 v22, v114
	v_ashrrev_i32_e32 v26, 31, v26
	s_wait_alu 0xfffd
	v_xor_b32_e32 v24, vcc_lo, v24
	v_cmp_gt_i32_e32 vcc_lo, 0, v114
	v_and_b32_e32 v20, v20, v23
	v_not_b32_e32 v23, v25
	v_ashrrev_i32_e32 v22, 31, v22
	s_wait_alu 0xf1ff
	v_xor_b32_e32 v26, s15, v26
	v_cmp_gt_i32_e64 s15, 0, v25
	v_and_b32_e32 v20, v20, v24
	v_ashrrev_i32_e32 v23, 31, v23
	s_wait_alu 0xfffd
	v_xor_b32_e32 v22, vcc_lo, v22
	v_mad_u32_u24 v24, v21, 36, v85
	v_mul_u32_u24_e32 v21, 36, v21
	v_and_b32_e32 v20, v20, v26
	s_wait_alu 0xf1ff
	v_xor_b32_e32 v23, s15, v23
	ds_load_b32 v114, v24 offset:1056
	v_add_nc_u32_e32 v116, v85, v21
	v_and_b32_e32 v20, v20, v22
	; wave barrier
	s_delay_alu instid0(VALU_DEP_1) | instskip(NEXT) | instid1(VALU_DEP_1)
	v_and_b32_e32 v20, v20, v23
	v_mbcnt_lo_u32_b32 v115, v20, 0
	v_cmp_ne_u32_e64 s15, 0, v20
	s_delay_alu instid0(VALU_DEP_2)
	v_cmp_eq_u32_e32 vcc_lo, 0, v115
	s_and_b32 s16, s15, vcc_lo
	s_wait_alu 0xfffe
	s_and_saveexec_b32 s15, s16
	s_cbranch_execz .LBB221_594
; %bb.593:                              ;   in Loop: Header=BB221_566 Depth=2
	s_wait_dscnt 0x0
	v_bcnt_u32_b32 v20, v20, v114
	ds_store_b32 v116, v20 offset:1056
.LBB221_594:                            ;   in Loop: Header=BB221_566 Depth=2
	s_wait_alu 0xfffe
	s_or_b32 exec_lo, exec_lo, s15
	v_and_b32_e32 v20, 0xff, v98
	; wave barrier
	s_delay_alu instid0(VALU_DEP_1) | instskip(NEXT) | instid1(VALU_DEP_1)
	v_lshrrev_b32_e32 v20, s45, v20
	v_and_b32_e32 v21, s31, v20
	s_delay_alu instid0(VALU_DEP_1)
	v_and_b32_e32 v20, 1, v21
	v_lshlrev_b32_e32 v22, 30, v21
	v_lshlrev_b32_e32 v23, 29, v21
	v_lshlrev_b32_e32 v24, 28, v21
	v_lshlrev_b32_e32 v26, 27, v21
	v_add_co_u32 v20, s15, v20, -1
	s_wait_alu 0xf1ff
	v_cndmask_b32_e64 v25, 0, 1, s15
	v_not_b32_e32 v118, v22
	v_cmp_gt_i32_e64 s15, 0, v22
	v_not_b32_e32 v22, v23
	v_lshlrev_b32_e32 v27, 26, v21
	v_cmp_ne_u32_e32 vcc_lo, 0, v25
	v_ashrrev_i32_e32 v118, 31, v118
	v_lshlrev_b32_e32 v117, 25, v21
	v_ashrrev_i32_e32 v22, 31, v22
	v_lshlrev_b32_e32 v25, 24, v21
	s_wait_alu 0xfffd
	v_xor_b32_e32 v20, vcc_lo, v20
	v_cmp_gt_i32_e32 vcc_lo, 0, v23
	v_not_b32_e32 v23, v24
	s_wait_alu 0xf1ff
	v_xor_b32_e32 v118, s15, v118
	v_cmp_gt_i32_e64 s15, 0, v24
	v_and_b32_e32 v20, exec_lo, v20
	v_not_b32_e32 v24, v26
	v_ashrrev_i32_e32 v23, 31, v23
	s_wait_alu 0xfffd
	v_xor_b32_e32 v22, vcc_lo, v22
	v_cmp_gt_i32_e32 vcc_lo, 0, v26
	v_and_b32_e32 v20, v20, v118
	v_not_b32_e32 v26, v27
	v_ashrrev_i32_e32 v24, 31, v24
	s_wait_alu 0xf1ff
	v_xor_b32_e32 v23, s15, v23
	v_cmp_gt_i32_e64 s15, 0, v27
	v_and_b32_e32 v20, v20, v22
	v_not_b32_e32 v22, v117
	v_ashrrev_i32_e32 v26, 31, v26
	s_wait_alu 0xfffd
	v_xor_b32_e32 v24, vcc_lo, v24
	v_cmp_gt_i32_e32 vcc_lo, 0, v117
	v_and_b32_e32 v20, v20, v23
	v_not_b32_e32 v23, v25
	v_ashrrev_i32_e32 v22, 31, v22
	s_wait_alu 0xf1ff
	v_xor_b32_e32 v26, s15, v26
	v_cmp_gt_i32_e64 s15, 0, v25
	v_and_b32_e32 v20, v20, v24
	v_ashrrev_i32_e32 v23, 31, v23
	s_wait_alu 0xfffd
	v_xor_b32_e32 v22, vcc_lo, v22
	v_mad_u32_u24 v24, v21, 36, v85
	v_mul_u32_u24_e32 v21, 36, v21
	v_and_b32_e32 v20, v20, v26
	s_wait_alu 0xf1ff
	v_xor_b32_e32 v23, s15, v23
	ds_load_b32 v117, v24 offset:1056
	v_add_nc_u32_e32 v119, v85, v21
	v_and_b32_e32 v20, v20, v22
	; wave barrier
	s_delay_alu instid0(VALU_DEP_1) | instskip(NEXT) | instid1(VALU_DEP_1)
	v_and_b32_e32 v20, v20, v23
	v_mbcnt_lo_u32_b32 v118, v20, 0
	v_cmp_ne_u32_e64 s15, 0, v20
	s_delay_alu instid0(VALU_DEP_2)
	v_cmp_eq_u32_e32 vcc_lo, 0, v118
	s_and_b32 s16, s15, vcc_lo
	s_wait_alu 0xfffe
	s_and_saveexec_b32 s15, s16
	s_cbranch_execz .LBB221_596
; %bb.595:                              ;   in Loop: Header=BB221_566 Depth=2
	s_wait_dscnt 0x0
	v_bcnt_u32_b32 v20, v20, v117
	ds_store_b32 v119, v20 offset:1056
.LBB221_596:                            ;   in Loop: Header=BB221_566 Depth=2
	s_wait_alu 0xfffe
	s_or_b32 exec_lo, exec_lo, s15
	v_and_b32_e32 v20, 0xff, v99
	; wave barrier
	s_delay_alu instid0(VALU_DEP_1) | instskip(NEXT) | instid1(VALU_DEP_1)
	v_lshrrev_b32_e32 v20, s45, v20
	v_and_b32_e32 v21, s31, v20
	s_delay_alu instid0(VALU_DEP_1)
	v_and_b32_e32 v20, 1, v21
	v_lshlrev_b32_e32 v22, 30, v21
	v_lshlrev_b32_e32 v23, 29, v21
	v_lshlrev_b32_e32 v24, 28, v21
	v_lshlrev_b32_e32 v26, 27, v21
	v_add_co_u32 v20, s15, v20, -1
	s_wait_alu 0xf1ff
	v_cndmask_b32_e64 v25, 0, 1, s15
	v_not_b32_e32 v121, v22
	v_cmp_gt_i32_e64 s15, 0, v22
	v_not_b32_e32 v22, v23
	v_lshlrev_b32_e32 v27, 26, v21
	v_cmp_ne_u32_e32 vcc_lo, 0, v25
	v_ashrrev_i32_e32 v121, 31, v121
	v_lshlrev_b32_e32 v120, 25, v21
	v_ashrrev_i32_e32 v22, 31, v22
	v_lshlrev_b32_e32 v25, 24, v21
	s_wait_alu 0xfffd
	v_xor_b32_e32 v20, vcc_lo, v20
	v_cmp_gt_i32_e32 vcc_lo, 0, v23
	v_not_b32_e32 v23, v24
	s_wait_alu 0xf1ff
	v_xor_b32_e32 v121, s15, v121
	v_cmp_gt_i32_e64 s15, 0, v24
	v_and_b32_e32 v20, exec_lo, v20
	v_not_b32_e32 v24, v26
	v_ashrrev_i32_e32 v23, 31, v23
	s_wait_alu 0xfffd
	v_xor_b32_e32 v22, vcc_lo, v22
	v_cmp_gt_i32_e32 vcc_lo, 0, v26
	v_and_b32_e32 v20, v20, v121
	v_not_b32_e32 v26, v27
	v_ashrrev_i32_e32 v24, 31, v24
	s_wait_alu 0xf1ff
	v_xor_b32_e32 v23, s15, v23
	v_cmp_gt_i32_e64 s15, 0, v27
	v_and_b32_e32 v20, v20, v22
	v_not_b32_e32 v22, v120
	v_ashrrev_i32_e32 v26, 31, v26
	s_wait_alu 0xfffd
	v_xor_b32_e32 v24, vcc_lo, v24
	v_cmp_gt_i32_e32 vcc_lo, 0, v120
	v_and_b32_e32 v20, v20, v23
	v_not_b32_e32 v23, v25
	v_ashrrev_i32_e32 v22, 31, v22
	s_wait_alu 0xf1ff
	v_xor_b32_e32 v26, s15, v26
	v_cmp_gt_i32_e64 s15, 0, v25
	v_and_b32_e32 v20, v20, v24
	v_ashrrev_i32_e32 v23, 31, v23
	s_wait_alu 0xfffd
	v_xor_b32_e32 v22, vcc_lo, v22
	v_mad_u32_u24 v24, v21, 36, v85
	v_mul_u32_u24_e32 v21, 36, v21
	v_and_b32_e32 v20, v20, v26
	s_wait_alu 0xf1ff
	v_xor_b32_e32 v23, s15, v23
	ds_load_b32 v120, v24 offset:1056
	v_add_nc_u32_e32 v122, v85, v21
	v_and_b32_e32 v20, v20, v22
	; wave barrier
	s_delay_alu instid0(VALU_DEP_1) | instskip(NEXT) | instid1(VALU_DEP_1)
	v_and_b32_e32 v20, v20, v23
	v_mbcnt_lo_u32_b32 v121, v20, 0
	v_cmp_ne_u32_e64 s15, 0, v20
	s_delay_alu instid0(VALU_DEP_2)
	v_cmp_eq_u32_e32 vcc_lo, 0, v121
	s_and_b32 s16, s15, vcc_lo
	s_wait_alu 0xfffe
	s_and_saveexec_b32 s15, s16
	s_cbranch_execz .LBB221_598
; %bb.597:                              ;   in Loop: Header=BB221_566 Depth=2
	s_wait_dscnt 0x0
	v_bcnt_u32_b32 v20, v20, v120
	ds_store_b32 v122, v20 offset:1056
.LBB221_598:                            ;   in Loop: Header=BB221_566 Depth=2
	s_wait_alu 0xfffe
	s_or_b32 exec_lo, exec_lo, s15
	v_and_b32_e32 v20, 0xff, v100
	; wave barrier
	s_delay_alu instid0(VALU_DEP_1) | instskip(NEXT) | instid1(VALU_DEP_1)
	v_lshrrev_b32_e32 v20, s45, v20
	v_and_b32_e32 v21, s31, v20
	s_delay_alu instid0(VALU_DEP_1)
	v_and_b32_e32 v20, 1, v21
	v_lshlrev_b32_e32 v22, 30, v21
	v_lshlrev_b32_e32 v23, 29, v21
	;; [unrolled: 1-line block ×4, first 2 shown]
	v_add_co_u32 v20, s15, v20, -1
	s_wait_alu 0xf1ff
	v_cndmask_b32_e64 v25, 0, 1, s15
	v_not_b32_e32 v124, v22
	v_cmp_gt_i32_e64 s15, 0, v22
	v_not_b32_e32 v22, v23
	v_lshlrev_b32_e32 v27, 26, v21
	v_cmp_ne_u32_e32 vcc_lo, 0, v25
	v_ashrrev_i32_e32 v124, 31, v124
	v_lshlrev_b32_e32 v123, 25, v21
	v_ashrrev_i32_e32 v22, 31, v22
	v_lshlrev_b32_e32 v25, 24, v21
	s_wait_alu 0xfffd
	v_xor_b32_e32 v20, vcc_lo, v20
	v_cmp_gt_i32_e32 vcc_lo, 0, v23
	v_not_b32_e32 v23, v24
	s_wait_alu 0xf1ff
	v_xor_b32_e32 v124, s15, v124
	v_cmp_gt_i32_e64 s15, 0, v24
	v_and_b32_e32 v20, exec_lo, v20
	v_not_b32_e32 v24, v26
	v_ashrrev_i32_e32 v23, 31, v23
	s_wait_alu 0xfffd
	v_xor_b32_e32 v22, vcc_lo, v22
	v_cmp_gt_i32_e32 vcc_lo, 0, v26
	v_and_b32_e32 v20, v20, v124
	v_not_b32_e32 v26, v27
	v_ashrrev_i32_e32 v24, 31, v24
	s_wait_alu 0xf1ff
	v_xor_b32_e32 v23, s15, v23
	v_cmp_gt_i32_e64 s15, 0, v27
	v_and_b32_e32 v20, v20, v22
	v_not_b32_e32 v22, v123
	v_ashrrev_i32_e32 v26, 31, v26
	s_wait_alu 0xfffd
	v_xor_b32_e32 v24, vcc_lo, v24
	v_cmp_gt_i32_e32 vcc_lo, 0, v123
	v_and_b32_e32 v20, v20, v23
	v_not_b32_e32 v23, v25
	v_ashrrev_i32_e32 v22, 31, v22
	s_wait_alu 0xf1ff
	v_xor_b32_e32 v26, s15, v26
	v_cmp_gt_i32_e64 s15, 0, v25
	v_and_b32_e32 v20, v20, v24
	v_ashrrev_i32_e32 v23, 31, v23
	s_wait_alu 0xfffd
	v_xor_b32_e32 v22, vcc_lo, v22
	v_mad_u32_u24 v24, v21, 36, v85
	v_mul_u32_u24_e32 v21, 36, v21
	v_and_b32_e32 v20, v20, v26
	s_wait_alu 0xf1ff
	v_xor_b32_e32 v23, s15, v23
	ds_load_b32 v123, v24 offset:1056
	v_add_nc_u32_e32 v125, v85, v21
	v_and_b32_e32 v20, v20, v22
	; wave barrier
	s_delay_alu instid0(VALU_DEP_1) | instskip(NEXT) | instid1(VALU_DEP_1)
	v_and_b32_e32 v20, v20, v23
	v_mbcnt_lo_u32_b32 v124, v20, 0
	v_cmp_ne_u32_e64 s15, 0, v20
	s_delay_alu instid0(VALU_DEP_2)
	v_cmp_eq_u32_e32 vcc_lo, 0, v124
	s_and_b32 s16, s15, vcc_lo
	s_wait_alu 0xfffe
	s_and_saveexec_b32 s15, s16
	s_cbranch_execz .LBB221_600
; %bb.599:                              ;   in Loop: Header=BB221_566 Depth=2
	s_wait_dscnt 0x0
	v_bcnt_u32_b32 v20, v20, v123
	ds_store_b32 v125, v20 offset:1056
.LBB221_600:                            ;   in Loop: Header=BB221_566 Depth=2
	s_wait_alu 0xfffe
	s_or_b32 exec_lo, exec_lo, s15
	v_and_b32_e32 v20, 0xff, v101
	; wave barrier
	s_delay_alu instid0(VALU_DEP_1) | instskip(NEXT) | instid1(VALU_DEP_1)
	v_lshrrev_b32_e32 v20, s45, v20
	v_and_b32_e32 v21, s31, v20
	s_delay_alu instid0(VALU_DEP_1)
	v_and_b32_e32 v20, 1, v21
	v_lshlrev_b32_e32 v22, 30, v21
	v_lshlrev_b32_e32 v23, 29, v21
	;; [unrolled: 1-line block ×4, first 2 shown]
	v_add_co_u32 v20, s15, v20, -1
	s_wait_alu 0xf1ff
	v_cndmask_b32_e64 v25, 0, 1, s15
	v_not_b32_e32 v127, v22
	v_cmp_gt_i32_e64 s15, 0, v22
	v_not_b32_e32 v22, v23
	v_lshlrev_b32_e32 v27, 26, v21
	v_cmp_ne_u32_e32 vcc_lo, 0, v25
	v_ashrrev_i32_e32 v127, 31, v127
	v_lshlrev_b32_e32 v126, 25, v21
	v_ashrrev_i32_e32 v22, 31, v22
	v_lshlrev_b32_e32 v25, 24, v21
	s_wait_alu 0xfffd
	v_xor_b32_e32 v20, vcc_lo, v20
	v_cmp_gt_i32_e32 vcc_lo, 0, v23
	v_not_b32_e32 v23, v24
	s_wait_alu 0xf1ff
	v_xor_b32_e32 v127, s15, v127
	v_cmp_gt_i32_e64 s15, 0, v24
	v_and_b32_e32 v20, exec_lo, v20
	v_not_b32_e32 v24, v26
	v_ashrrev_i32_e32 v23, 31, v23
	s_wait_alu 0xfffd
	v_xor_b32_e32 v22, vcc_lo, v22
	v_cmp_gt_i32_e32 vcc_lo, 0, v26
	v_and_b32_e32 v20, v20, v127
	v_not_b32_e32 v26, v27
	v_ashrrev_i32_e32 v24, 31, v24
	s_wait_alu 0xf1ff
	v_xor_b32_e32 v23, s15, v23
	v_cmp_gt_i32_e64 s15, 0, v27
	v_and_b32_e32 v20, v20, v22
	v_not_b32_e32 v22, v126
	v_ashrrev_i32_e32 v26, 31, v26
	s_wait_alu 0xfffd
	v_xor_b32_e32 v24, vcc_lo, v24
	v_cmp_gt_i32_e32 vcc_lo, 0, v126
	v_and_b32_e32 v20, v20, v23
	v_not_b32_e32 v23, v25
	v_ashrrev_i32_e32 v22, 31, v22
	s_wait_alu 0xf1ff
	v_xor_b32_e32 v26, s15, v26
	v_cmp_gt_i32_e64 s15, 0, v25
	v_and_b32_e32 v20, v20, v24
	v_ashrrev_i32_e32 v23, 31, v23
	s_wait_alu 0xfffd
	v_xor_b32_e32 v22, vcc_lo, v22
	v_mad_u32_u24 v24, v21, 36, v85
	v_mul_u32_u24_e32 v21, 36, v21
	v_and_b32_e32 v20, v20, v26
	s_wait_alu 0xf1ff
	v_xor_b32_e32 v23, s15, v23
	ds_load_b32 v126, v24 offset:1056
	v_add_nc_u32_e32 v128, v85, v21
	v_and_b32_e32 v20, v20, v22
	; wave barrier
	s_delay_alu instid0(VALU_DEP_1) | instskip(NEXT) | instid1(VALU_DEP_1)
	v_and_b32_e32 v20, v20, v23
	v_mbcnt_lo_u32_b32 v127, v20, 0
	v_cmp_ne_u32_e64 s15, 0, v20
	s_delay_alu instid0(VALU_DEP_2)
	v_cmp_eq_u32_e32 vcc_lo, 0, v127
	s_and_b32 s16, s15, vcc_lo
	s_wait_alu 0xfffe
	s_and_saveexec_b32 s15, s16
	s_cbranch_execz .LBB221_602
; %bb.601:                              ;   in Loop: Header=BB221_566 Depth=2
	s_wait_dscnt 0x0
	v_bcnt_u32_b32 v20, v20, v126
	ds_store_b32 v128, v20 offset:1056
.LBB221_602:                            ;   in Loop: Header=BB221_566 Depth=2
	s_wait_alu 0xfffe
	s_or_b32 exec_lo, exec_lo, s15
	; wave barrier
	s_wait_loadcnt_dscnt 0x0
	s_barrier_signal -1
	s_barrier_wait -1
	global_inv scope:SCOPE_SE
	ds_load_2addr_b32 v[26:27], v104 offset1:1
	ds_load_2addr_b32 v[24:25], v105 offset1:1
	;; [unrolled: 1-line block ×4, first 2 shown]
	ds_load_b32 v129, v45 offset:1088
	s_wait_dscnt 0x3
	v_add3_u32 v130, v27, v26, v24
	s_wait_dscnt 0x2
	s_delay_alu instid0(VALU_DEP_1) | instskip(SKIP_1) | instid1(VALU_DEP_1)
	v_add3_u32 v130, v130, v25, v22
	s_wait_dscnt 0x1
	v_add3_u32 v130, v130, v23, v20
	s_wait_dscnt 0x0
	s_delay_alu instid0(VALU_DEP_1) | instskip(NEXT) | instid1(VALU_DEP_1)
	v_add3_u32 v129, v130, v21, v129
	v_mov_b32_dpp v130, v129 row_shr:1 row_mask:0xf bank_mask:0xf
	s_delay_alu instid0(VALU_DEP_1) | instskip(NEXT) | instid1(VALU_DEP_1)
	v_cndmask_b32_e64 v130, v130, 0, s0
	v_add_nc_u32_e32 v129, v130, v129
	s_delay_alu instid0(VALU_DEP_1) | instskip(NEXT) | instid1(VALU_DEP_1)
	v_mov_b32_dpp v130, v129 row_shr:2 row_mask:0xf bank_mask:0xf
	v_cndmask_b32_e64 v130, 0, v130, s1
	s_delay_alu instid0(VALU_DEP_1) | instskip(NEXT) | instid1(VALU_DEP_1)
	v_add_nc_u32_e32 v129, v129, v130
	v_mov_b32_dpp v130, v129 row_shr:4 row_mask:0xf bank_mask:0xf
	s_delay_alu instid0(VALU_DEP_1) | instskip(NEXT) | instid1(VALU_DEP_1)
	v_cndmask_b32_e64 v130, 0, v130, s9
	v_add_nc_u32_e32 v129, v129, v130
	s_delay_alu instid0(VALU_DEP_1) | instskip(NEXT) | instid1(VALU_DEP_1)
	v_mov_b32_dpp v130, v129 row_shr:8 row_mask:0xf bank_mask:0xf
	v_cndmask_b32_e64 v130, 0, v130, s10
	s_delay_alu instid0(VALU_DEP_1) | instskip(SKIP_3) | instid1(VALU_DEP_1)
	v_add_nc_u32_e32 v129, v129, v130
	ds_swizzle_b32 v130, v129 offset:swizzle(BROADCAST,32,15)
	s_wait_dscnt 0x0
	v_cndmask_b32_e64 v130, v130, 0, s11
	v_add_nc_u32_e32 v129, v129, v130
	s_and_saveexec_b32 s15, s3
; %bb.603:                              ;   in Loop: Header=BB221_566 Depth=2
	ds_store_b32 v38, v129 offset:1024
; %bb.604:                              ;   in Loop: Header=BB221_566 Depth=2
	s_wait_alu 0xfffe
	s_or_b32 exec_lo, exec_lo, s15
	s_wait_loadcnt_dscnt 0x0
	s_barrier_signal -1
	s_barrier_wait -1
	global_inv scope:SCOPE_SE
	s_and_saveexec_b32 s15, s4
	s_cbranch_execz .LBB221_606
; %bb.605:                              ;   in Loop: Header=BB221_566 Depth=2
	v_add_nc_u32_e32 v130, v45, v46
	ds_load_b32 v131, v130 offset:1024
	s_wait_dscnt 0x0
	v_mov_b32_dpp v132, v131 row_shr:1 row_mask:0xf bank_mask:0xf
	s_delay_alu instid0(VALU_DEP_1) | instskip(NEXT) | instid1(VALU_DEP_1)
	v_cndmask_b32_e64 v132, v132, 0, s12
	v_add_nc_u32_e32 v131, v132, v131
	s_delay_alu instid0(VALU_DEP_1) | instskip(NEXT) | instid1(VALU_DEP_1)
	v_mov_b32_dpp v132, v131 row_shr:2 row_mask:0xf bank_mask:0xf
	v_cndmask_b32_e64 v132, 0, v132, s13
	s_delay_alu instid0(VALU_DEP_1) | instskip(NEXT) | instid1(VALU_DEP_1)
	v_add_nc_u32_e32 v131, v131, v132
	v_mov_b32_dpp v132, v131 row_shr:4 row_mask:0xf bank_mask:0xf
	s_delay_alu instid0(VALU_DEP_1) | instskip(NEXT) | instid1(VALU_DEP_1)
	v_cndmask_b32_e64 v132, 0, v132, s14
	v_add_nc_u32_e32 v131, v131, v132
	ds_store_b32 v130, v131 offset:1024
.LBB221_606:                            ;   in Loop: Header=BB221_566 Depth=2
	s_wait_alu 0xfffe
	s_or_b32 exec_lo, exec_lo, s15
	v_mov_b32_e32 v130, 0
	s_wait_loadcnt_dscnt 0x0
	s_barrier_signal -1
	s_barrier_wait -1
	global_inv scope:SCOPE_SE
	s_and_saveexec_b32 s15, s5
; %bb.607:                              ;   in Loop: Header=BB221_566 Depth=2
	ds_load_b32 v130, v38 offset:1020
; %bb.608:                              ;   in Loop: Header=BB221_566 Depth=2
	s_wait_alu 0xfffe
	s_or_b32 exec_lo, exec_lo, s15
	s_wait_dscnt 0x0
	v_add_nc_u32_e32 v129, v130, v129
	ds_bpermute_b32 v129, v80, v129
	s_wait_dscnt 0x0
	v_cndmask_b32_e64 v129, v129, v130, s8
	s_delay_alu instid0(VALU_DEP_1) | instskip(NEXT) | instid1(VALU_DEP_1)
	v_cndmask_b32_e64 v129, v129, 0, s6
	v_add_nc_u32_e32 v26, v129, v26
	s_delay_alu instid0(VALU_DEP_1) | instskip(NEXT) | instid1(VALU_DEP_1)
	v_add_nc_u32_e32 v27, v26, v27
	v_add_nc_u32_e32 v24, v27, v24
	s_delay_alu instid0(VALU_DEP_1) | instskip(NEXT) | instid1(VALU_DEP_1)
	v_add_nc_u32_e32 v25, v24, v25
	;; [unrolled: 3-line block ×3, first 2 shown]
	v_add_nc_u32_e32 v20, v23, v20
	s_delay_alu instid0(VALU_DEP_1)
	v_add_nc_u32_e32 v21, v20, v21
	ds_store_2addr_b32 v103, v23, v20 offset1:1
	ds_store_2addr_b32 v104, v129, v26 offset1:1
	;; [unrolled: 1-line block ×4, first 2 shown]
	ds_store_b32 v45, v21 offset:1088
	s_wait_loadcnt_dscnt 0x0
	s_barrier_signal -1
	s_barrier_wait -1
	global_inv scope:SCOPE_SE
	ds_load_b32 v20, v107 offset:1056
	ds_load_b32 v21, v110 offset:1056
	;; [unrolled: 1-line block ×9, first 2 shown]
	v_mov_b32_e32 v22, 0x800
	s_and_saveexec_b32 s15, s7
; %bb.609:                              ;   in Loop: Header=BB221_566 Depth=2
	ds_load_b32 v22, v45 offset:1092
; %bb.610:                              ;   in Loop: Header=BB221_566 Depth=2
	s_wait_alu 0xfffe
	s_or_b32 exec_lo, exec_lo, s15
	s_wait_loadcnt_dscnt 0x0
	s_barrier_signal -1
	s_barrier_wait -1
	global_inv scope:SCOPE_SE
	s_and_saveexec_b32 s15, s2
	s_cbranch_execz .LBB221_612
; %bb.611:                              ;   in Loop: Header=BB221_566 Depth=2
	ds_load_b32 v27, v28
	s_wait_dscnt 0x0
	v_sub_nc_u32_e32 v26, v27, v26
	ds_store_b32 v28, v26
.LBB221_612:                            ;   in Loop: Header=BB221_566 Depth=2
	s_wait_alu 0xfffe
	s_or_b32 exec_lo, exec_lo, s15
	v_add_nc_u32_e32 v104, v20, v102
	v_add3_u32 v103, v109, v108, v21
	v_add3_u32 v102, v112, v111, v23
	;; [unrolled: 1-line block ×7, first 2 shown]
	v_cmp_lt_u32_e64 s20, v1, v2
	ds_store_b8 v104, v94 offset:1024
	ds_store_b8 v103, v95 offset:1024
	;; [unrolled: 1-line block ×8, first 2 shown]
	s_wait_loadcnt_dscnt 0x0
	s_barrier_signal -1
	s_barrier_wait -1
	global_inv scope:SCOPE_SE
	s_and_saveexec_b32 s15, s20
	s_cbranch_execnz .LBB221_649
; %bb.613:                              ;   in Loop: Header=BB221_566 Depth=2
	s_wait_alu 0xfffe
	s_or_b32 exec_lo, exec_lo, s15
	v_cmp_lt_u32_e64 s21, v29, v2
	s_and_saveexec_b32 s15, s21
	s_cbranch_execnz .LBB221_650
.LBB221_614:                            ;   in Loop: Header=BB221_566 Depth=2
	s_wait_alu 0xfffe
	s_or_b32 exec_lo, exec_lo, s15
	v_cmp_lt_u32_e64 s19, v30, v2
	s_and_saveexec_b32 s15, s19
	s_cbranch_execnz .LBB221_651
.LBB221_615:                            ;   in Loop: Header=BB221_566 Depth=2
	s_wait_alu 0xfffe
	s_or_b32 exec_lo, exec_lo, s15
	v_cmp_lt_u32_e64 s18, v31, v2
	s_and_saveexec_b32 s15, s18
	s_cbranch_execnz .LBB221_652
.LBB221_616:                            ;   in Loop: Header=BB221_566 Depth=2
	s_wait_alu 0xfffe
	s_or_b32 exec_lo, exec_lo, s15
	v_cmp_lt_u32_e64 s17, v34, v2
	s_and_saveexec_b32 s15, s17
	s_cbranch_execnz .LBB221_653
.LBB221_617:                            ;   in Loop: Header=BB221_566 Depth=2
	s_wait_alu 0xfffe
	s_or_b32 exec_lo, exec_lo, s15
	v_cmp_lt_u32_e64 s16, v35, v2
	s_and_saveexec_b32 s15, s16
	s_cbranch_execnz .LBB221_654
.LBB221_618:                            ;   in Loop: Header=BB221_566 Depth=2
	s_wait_alu 0xfffe
	s_or_b32 exec_lo, exec_lo, s15
	v_cmp_lt_u32_e64 s15, v36, v2
	s_and_saveexec_b32 s44, s15
	s_cbranch_execnz .LBB221_655
.LBB221_619:                            ;   in Loop: Header=BB221_566 Depth=2
	s_wait_alu 0xfffe
	s_or_b32 exec_lo, exec_lo, s44
	v_cmp_lt_u32_e32 vcc_lo, v37, v2
	s_and_saveexec_b32 s44, vcc_lo
	s_cbranch_execz .LBB221_621
.LBB221_620:                            ;   in Loop: Header=BB221_566 Depth=2
	ds_load_u8 v20, v1 offset:2816
	s_wait_dscnt 0x0
	v_and_b32_e32 v21, 0xff, v20
	s_delay_alu instid0(VALU_DEP_1) | instskip(NEXT) | instid1(VALU_DEP_1)
	v_lshrrev_b32_e32 v21, s45, v21
	v_and_b32_e32 v21, s31, v21
	s_delay_alu instid0(VALU_DEP_1)
	v_lshlrev_b32_e32 v21, 2, v21
	ds_load_b32 v21, v21
	s_wait_dscnt 0x0
	v_add_nc_u32_e32 v21, v21, v37
	global_store_b8 v21, v20, s[40:41]
.LBB221_621:                            ;   in Loop: Header=BB221_566 Depth=2
	s_wait_alu 0xfffe
	s_or_b32 exec_lo, exec_lo, s44
	s_lshl_b64 s[48:49], s[22:23], 3
	s_wait_alu 0xfffe
	v_add_co_u32 v20, s22, v81, s48
	s_wait_alu 0xf1ff
	v_add_co_ci_u32_e64 v21, null, s49, v82, s22
	v_cmp_lt_u32_e64 s22, v68, v2
	s_and_saveexec_b32 s44, s22
	s_wait_alu 0xfffe
	s_xor_b32 s22, exec_lo, s44
	s_cbranch_execnz .LBB221_656
; %bb.622:                              ;   in Loop: Header=BB221_566 Depth=2
	s_wait_alu 0xfffe
	s_or_b32 exec_lo, exec_lo, s22
	s_delay_alu instid0(SALU_CYCLE_1)
	s_mov_b32 s44, exec_lo
	v_cmpx_lt_u32_e64 v71, v2
	s_cbranch_execnz .LBB221_657
.LBB221_623:                            ;   in Loop: Header=BB221_566 Depth=2
	s_wait_alu 0xfffe
	s_or_b32 exec_lo, exec_lo, s44
	s_delay_alu instid0(SALU_CYCLE_1)
	s_mov_b32 s44, exec_lo
	v_cmpx_lt_u32_e64 v72, v2
	s_cbranch_execnz .LBB221_658
.LBB221_624:                            ;   in Loop: Header=BB221_566 Depth=2
	s_wait_alu 0xfffe
	s_or_b32 exec_lo, exec_lo, s44
	s_delay_alu instid0(SALU_CYCLE_1)
	s_mov_b32 s44, exec_lo
	v_cmpx_lt_u32_e64 v73, v2
	s_cbranch_execnz .LBB221_659
.LBB221_625:                            ;   in Loop: Header=BB221_566 Depth=2
	s_wait_alu 0xfffe
	s_or_b32 exec_lo, exec_lo, s44
	s_delay_alu instid0(SALU_CYCLE_1)
	s_mov_b32 s44, exec_lo
	v_cmpx_lt_u32_e64 v74, v2
	s_cbranch_execnz .LBB221_660
.LBB221_626:                            ;   in Loop: Header=BB221_566 Depth=2
	s_wait_alu 0xfffe
	s_or_b32 exec_lo, exec_lo, s44
	s_delay_alu instid0(SALU_CYCLE_1)
	s_mov_b32 s44, exec_lo
	v_cmpx_lt_u32_e64 v75, v2
	s_cbranch_execnz .LBB221_661
.LBB221_627:                            ;   in Loop: Header=BB221_566 Depth=2
	s_wait_alu 0xfffe
	s_or_b32 exec_lo, exec_lo, s44
	s_delay_alu instid0(SALU_CYCLE_1)
	s_mov_b32 s44, exec_lo
	v_cmpx_lt_u32_e64 v76, v2
	s_cbranch_execnz .LBB221_662
.LBB221_628:                            ;   in Loop: Header=BB221_566 Depth=2
	s_wait_alu 0xfffe
	s_or_b32 exec_lo, exec_lo, s44
	s_delay_alu instid0(SALU_CYCLE_1)
	s_mov_b32 s44, exec_lo
	v_cmpx_lt_u32_e64 v77, v2
	s_cbranch_execnz .LBB221_663
.LBB221_629:                            ;   in Loop: Header=BB221_566 Depth=2
	s_wait_alu 0xfffe
	s_or_b32 exec_lo, exec_lo, s44
	s_and_saveexec_b32 s22, s20
	s_cbranch_execnz .LBB221_664
.LBB221_630:                            ;   in Loop: Header=BB221_566 Depth=2
	s_wait_alu 0xfffe
	s_or_b32 exec_lo, exec_lo, s22
	s_and_saveexec_b32 s22, s21
	s_cbranch_execnz .LBB221_665
.LBB221_631:                            ;   in Loop: Header=BB221_566 Depth=2
	s_wait_alu 0xfffe
	s_or_b32 exec_lo, exec_lo, s22
	s_and_saveexec_b32 s22, s19
	s_cbranch_execnz .LBB221_666
.LBB221_632:                            ;   in Loop: Header=BB221_566 Depth=2
	s_wait_alu 0xfffe
	s_or_b32 exec_lo, exec_lo, s22
	s_and_saveexec_b32 s22, s18
	s_cbranch_execnz .LBB221_667
.LBB221_633:                            ;   in Loop: Header=BB221_566 Depth=2
	s_wait_alu 0xfffe
	s_or_b32 exec_lo, exec_lo, s22
	s_and_saveexec_b32 s22, s17
	s_cbranch_execnz .LBB221_668
.LBB221_634:                            ;   in Loop: Header=BB221_566 Depth=2
	s_wait_alu 0xfffe
	s_or_b32 exec_lo, exec_lo, s22
	s_and_saveexec_b32 s22, s16
	s_cbranch_execnz .LBB221_669
.LBB221_635:                            ;   in Loop: Header=BB221_566 Depth=2
	s_wait_alu 0xfffe
	s_or_b32 exec_lo, exec_lo, s22
	s_and_saveexec_b32 s22, s15
	s_cbranch_execnz .LBB221_670
.LBB221_636:                            ;   in Loop: Header=BB221_566 Depth=2
	s_wait_alu 0xfffe
	s_or_b32 exec_lo, exec_lo, s22
	s_and_saveexec_b32 s22, vcc_lo
	s_cbranch_execz .LBB221_638
.LBB221_637:                            ;   in Loop: Header=BB221_566 Depth=2
	ds_load_u8 v2, v1 offset:2816
	s_wait_dscnt 0x0
	v_lshrrev_b32_e32 v2, s45, v2
	s_delay_alu instid0(VALU_DEP_1)
	v_and_b32_e32 v86, s31, v2
.LBB221_638:                            ;   in Loop: Header=BB221_566 Depth=2
	s_wait_alu 0xfffe
	s_or_b32 exec_lo, exec_lo, s22
	v_lshlrev_b32_e32 v2, 3, v104
	v_lshlrev_b32_e32 v20, 3, v103
	;; [unrolled: 1-line block ×3, first 2 shown]
	s_wait_loadcnt 0x0
	s_wait_storecnt 0x0
	s_barrier_signal -1
	s_barrier_wait -1
	global_inv scope:SCOPE_SE
	ds_store_b64 v2, v[18:19] offset:1024
	ds_store_b64 v20, v[16:17] offset:1024
	;; [unrolled: 1-line block ×3, first 2 shown]
	v_lshlrev_b32_e32 v2, 3, v27
	v_lshlrev_b32_e32 v20, 3, v26
	;; [unrolled: 1-line block ×5, first 2 shown]
	ds_store_b64 v2, v[12:13] offset:1024
	ds_store_b64 v20, v[10:11] offset:1024
	;; [unrolled: 1-line block ×5, first 2 shown]
	v_add_nc_u32_e32 v20, v1, v47
	s_wait_loadcnt_dscnt 0x0
	s_barrier_signal -1
	s_barrier_wait -1
	global_inv scope:SCOPE_SE
	s_and_saveexec_b32 s22, s20
	s_cbranch_execnz .LBB221_671
; %bb.639:                              ;   in Loop: Header=BB221_566 Depth=2
	s_wait_alu 0xfffe
	s_or_b32 exec_lo, exec_lo, s22
	s_and_saveexec_b32 s22, s21
	s_cbranch_execnz .LBB221_672
.LBB221_640:                            ;   in Loop: Header=BB221_566 Depth=2
	s_wait_alu 0xfffe
	s_or_b32 exec_lo, exec_lo, s22
	s_and_saveexec_b32 s20, s19
	s_cbranch_execnz .LBB221_673
.LBB221_641:                            ;   in Loop: Header=BB221_566 Depth=2
	s_wait_alu 0xfffe
	s_or_b32 exec_lo, exec_lo, s20
	s_and_saveexec_b32 s19, s18
	s_cbranch_execnz .LBB221_674
.LBB221_642:                            ;   in Loop: Header=BB221_566 Depth=2
	s_wait_alu 0xfffe
	s_or_b32 exec_lo, exec_lo, s19
	s_and_saveexec_b32 s18, s17
	s_cbranch_execnz .LBB221_675
.LBB221_643:                            ;   in Loop: Header=BB221_566 Depth=2
	s_wait_alu 0xfffe
	s_or_b32 exec_lo, exec_lo, s18
	s_and_saveexec_b32 s17, s16
	s_cbranch_execnz .LBB221_676
.LBB221_644:                            ;   in Loop: Header=BB221_566 Depth=2
	s_wait_alu 0xfffe
	s_or_b32 exec_lo, exec_lo, s17
	s_and_saveexec_b32 s16, s15
	s_cbranch_execnz .LBB221_677
.LBB221_645:                            ;   in Loop: Header=BB221_566 Depth=2
	s_wait_alu 0xfffe
	s_or_b32 exec_lo, exec_lo, s16
	s_and_saveexec_b32 s15, vcc_lo
	s_cbranch_execz .LBB221_647
.LBB221_646:                            ;   in Loop: Header=BB221_566 Depth=2
	v_lshlrev_b32_e32 v2, 2, v86
	ds_load_b32 v2, v2
	ds_load_b64 v[20:21], v20 offset:15360
	s_wait_dscnt 0x1
	v_add_nc_u32_e32 v2, v2, v37
	s_delay_alu instid0(VALU_DEP_1) | instskip(NEXT) | instid1(VALU_DEP_1)
	v_lshlrev_b64_e32 v[23:24], 3, v[2:3]
	v_add_co_u32 v23, vcc_lo, s26, v23
	s_wait_alu 0xfffd
	s_delay_alu instid0(VALU_DEP_2)
	v_add_co_ci_u32_e64 v24, null, s27, v24, vcc_lo
	s_wait_dscnt 0x0
	global_store_b64 v[23:24], v[20:21], off
.LBB221_647:                            ;   in Loop: Header=BB221_566 Depth=2
	s_wait_alu 0xfffe
	s_or_b32 exec_lo, exec_lo, s15
	s_wait_loadcnt 0x0
	s_wait_storecnt 0x0
	s_barrier_signal -1
	s_barrier_wait -1
	global_inv scope:SCOPE_SE
	s_and_saveexec_b32 s15, s2
	s_cbranch_execz .LBB221_565
; %bb.648:                              ;   in Loop: Header=BB221_566 Depth=2
	ds_load_b32 v2, v28
	s_wait_dscnt 0x0
	v_add_nc_u32_e32 v2, v2, v22
	ds_store_b32 v28, v2
	s_branch .LBB221_565
.LBB221_649:                            ;   in Loop: Header=BB221_566 Depth=2
	ds_load_u8 v20, v1 offset:1024
	s_wait_dscnt 0x0
	v_and_b32_e32 v21, 0xff, v20
	s_delay_alu instid0(VALU_DEP_1) | instskip(NEXT) | instid1(VALU_DEP_1)
	v_lshrrev_b32_e32 v21, s45, v21
	v_and_b32_e32 v21, s31, v21
	s_delay_alu instid0(VALU_DEP_1)
	v_lshlrev_b32_e32 v21, 2, v21
	ds_load_b32 v21, v21
	s_wait_dscnt 0x0
	v_add_nc_u32_e32 v21, v21, v1
	global_store_b8 v21, v20, s[40:41]
	s_wait_alu 0xfffe
	s_or_b32 exec_lo, exec_lo, s15
	v_cmp_lt_u32_e64 s21, v29, v2
	s_and_saveexec_b32 s15, s21
	s_cbranch_execz .LBB221_614
.LBB221_650:                            ;   in Loop: Header=BB221_566 Depth=2
	ds_load_u8 v20, v1 offset:1280
	s_wait_dscnt 0x0
	v_and_b32_e32 v21, 0xff, v20
	s_delay_alu instid0(VALU_DEP_1) | instskip(NEXT) | instid1(VALU_DEP_1)
	v_lshrrev_b32_e32 v21, s45, v21
	v_and_b32_e32 v21, s31, v21
	s_delay_alu instid0(VALU_DEP_1)
	v_lshlrev_b32_e32 v21, 2, v21
	ds_load_b32 v21, v21
	s_wait_dscnt 0x0
	v_add_nc_u32_e32 v21, v21, v29
	global_store_b8 v21, v20, s[40:41]
	s_wait_alu 0xfffe
	s_or_b32 exec_lo, exec_lo, s15
	v_cmp_lt_u32_e64 s19, v30, v2
	s_and_saveexec_b32 s15, s19
	s_cbranch_execz .LBB221_615
.LBB221_651:                            ;   in Loop: Header=BB221_566 Depth=2
	ds_load_u8 v20, v1 offset:1536
	s_wait_dscnt 0x0
	v_and_b32_e32 v21, 0xff, v20
	s_delay_alu instid0(VALU_DEP_1) | instskip(NEXT) | instid1(VALU_DEP_1)
	v_lshrrev_b32_e32 v21, s45, v21
	v_and_b32_e32 v21, s31, v21
	s_delay_alu instid0(VALU_DEP_1)
	v_lshlrev_b32_e32 v21, 2, v21
	ds_load_b32 v21, v21
	s_wait_dscnt 0x0
	v_add_nc_u32_e32 v21, v21, v30
	global_store_b8 v21, v20, s[40:41]
	s_wait_alu 0xfffe
	s_or_b32 exec_lo, exec_lo, s15
	v_cmp_lt_u32_e64 s18, v31, v2
	s_and_saveexec_b32 s15, s18
	s_cbranch_execz .LBB221_616
.LBB221_652:                            ;   in Loop: Header=BB221_566 Depth=2
	ds_load_u8 v20, v1 offset:1792
	s_wait_dscnt 0x0
	v_and_b32_e32 v21, 0xff, v20
	s_delay_alu instid0(VALU_DEP_1) | instskip(NEXT) | instid1(VALU_DEP_1)
	v_lshrrev_b32_e32 v21, s45, v21
	v_and_b32_e32 v21, s31, v21
	s_delay_alu instid0(VALU_DEP_1)
	v_lshlrev_b32_e32 v21, 2, v21
	ds_load_b32 v21, v21
	s_wait_dscnt 0x0
	v_add_nc_u32_e32 v21, v21, v31
	global_store_b8 v21, v20, s[40:41]
	s_wait_alu 0xfffe
	s_or_b32 exec_lo, exec_lo, s15
	v_cmp_lt_u32_e64 s17, v34, v2
	s_and_saveexec_b32 s15, s17
	s_cbranch_execz .LBB221_617
.LBB221_653:                            ;   in Loop: Header=BB221_566 Depth=2
	ds_load_u8 v20, v1 offset:2048
	s_wait_dscnt 0x0
	v_and_b32_e32 v21, 0xff, v20
	s_delay_alu instid0(VALU_DEP_1) | instskip(NEXT) | instid1(VALU_DEP_1)
	v_lshrrev_b32_e32 v21, s45, v21
	v_and_b32_e32 v21, s31, v21
	s_delay_alu instid0(VALU_DEP_1)
	v_lshlrev_b32_e32 v21, 2, v21
	ds_load_b32 v21, v21
	s_wait_dscnt 0x0
	v_add_nc_u32_e32 v21, v21, v34
	global_store_b8 v21, v20, s[40:41]
	s_wait_alu 0xfffe
	s_or_b32 exec_lo, exec_lo, s15
	v_cmp_lt_u32_e64 s16, v35, v2
	s_and_saveexec_b32 s15, s16
	s_cbranch_execz .LBB221_618
.LBB221_654:                            ;   in Loop: Header=BB221_566 Depth=2
	ds_load_u8 v20, v1 offset:2304
	s_wait_dscnt 0x0
	v_and_b32_e32 v21, 0xff, v20
	s_delay_alu instid0(VALU_DEP_1) | instskip(NEXT) | instid1(VALU_DEP_1)
	v_lshrrev_b32_e32 v21, s45, v21
	v_and_b32_e32 v21, s31, v21
	s_delay_alu instid0(VALU_DEP_1)
	v_lshlrev_b32_e32 v21, 2, v21
	ds_load_b32 v21, v21
	s_wait_dscnt 0x0
	v_add_nc_u32_e32 v21, v21, v35
	global_store_b8 v21, v20, s[40:41]
	s_wait_alu 0xfffe
	s_or_b32 exec_lo, exec_lo, s15
	v_cmp_lt_u32_e64 s15, v36, v2
	s_and_saveexec_b32 s44, s15
	s_cbranch_execz .LBB221_619
.LBB221_655:                            ;   in Loop: Header=BB221_566 Depth=2
	ds_load_u8 v20, v1 offset:2560
	s_wait_dscnt 0x0
	v_and_b32_e32 v21, 0xff, v20
	s_delay_alu instid0(VALU_DEP_1) | instskip(NEXT) | instid1(VALU_DEP_1)
	v_lshrrev_b32_e32 v21, s45, v21
	v_and_b32_e32 v21, s31, v21
	s_delay_alu instid0(VALU_DEP_1)
	v_lshlrev_b32_e32 v21, 2, v21
	ds_load_b32 v21, v21
	s_wait_dscnt 0x0
	v_add_nc_u32_e32 v21, v21, v36
	global_store_b8 v21, v20, s[40:41]
	s_wait_alu 0xfffe
	s_or_b32 exec_lo, exec_lo, s44
	v_cmp_lt_u32_e32 vcc_lo, v37, v2
	s_and_saveexec_b32 s44, vcc_lo
	s_cbranch_execnz .LBB221_620
	s_branch .LBB221_621
.LBB221_656:                            ;   in Loop: Header=BB221_566 Depth=2
	global_load_b64 v[18:19], v[20:21], off
	s_wait_alu 0xfffe
	s_or_b32 exec_lo, exec_lo, s22
	s_delay_alu instid0(SALU_CYCLE_1)
	s_mov_b32 s44, exec_lo
	v_cmpx_lt_u32_e64 v71, v2
	s_cbranch_execz .LBB221_623
.LBB221_657:                            ;   in Loop: Header=BB221_566 Depth=2
	global_load_b64 v[16:17], v[20:21], off offset:256
	s_wait_alu 0xfffe
	s_or_b32 exec_lo, exec_lo, s44
	s_delay_alu instid0(SALU_CYCLE_1)
	s_mov_b32 s44, exec_lo
	v_cmpx_lt_u32_e64 v72, v2
	s_cbranch_execz .LBB221_624
.LBB221_658:                            ;   in Loop: Header=BB221_566 Depth=2
	global_load_b64 v[14:15], v[20:21], off offset:512
	s_wait_alu 0xfffe
	s_or_b32 exec_lo, exec_lo, s44
	s_delay_alu instid0(SALU_CYCLE_1)
	s_mov_b32 s44, exec_lo
	v_cmpx_lt_u32_e64 v73, v2
	s_cbranch_execz .LBB221_625
.LBB221_659:                            ;   in Loop: Header=BB221_566 Depth=2
	global_load_b64 v[12:13], v[20:21], off offset:768
	s_wait_alu 0xfffe
	s_or_b32 exec_lo, exec_lo, s44
	s_delay_alu instid0(SALU_CYCLE_1)
	s_mov_b32 s44, exec_lo
	v_cmpx_lt_u32_e64 v74, v2
	s_cbranch_execz .LBB221_626
.LBB221_660:                            ;   in Loop: Header=BB221_566 Depth=2
	global_load_b64 v[10:11], v[20:21], off offset:1024
	s_wait_alu 0xfffe
	s_or_b32 exec_lo, exec_lo, s44
	s_delay_alu instid0(SALU_CYCLE_1)
	s_mov_b32 s44, exec_lo
	v_cmpx_lt_u32_e64 v75, v2
	s_cbranch_execz .LBB221_627
.LBB221_661:                            ;   in Loop: Header=BB221_566 Depth=2
	global_load_b64 v[8:9], v[20:21], off offset:1280
	s_wait_alu 0xfffe
	s_or_b32 exec_lo, exec_lo, s44
	s_delay_alu instid0(SALU_CYCLE_1)
	s_mov_b32 s44, exec_lo
	v_cmpx_lt_u32_e64 v76, v2
	s_cbranch_execz .LBB221_628
.LBB221_662:                            ;   in Loop: Header=BB221_566 Depth=2
	global_load_b64 v[6:7], v[20:21], off offset:1536
	s_wait_alu 0xfffe
	s_or_b32 exec_lo, exec_lo, s44
	s_delay_alu instid0(SALU_CYCLE_1)
	s_mov_b32 s44, exec_lo
	v_cmpx_lt_u32_e64 v77, v2
	s_cbranch_execz .LBB221_629
.LBB221_663:                            ;   in Loop: Header=BB221_566 Depth=2
	global_load_b64 v[4:5], v[20:21], off offset:1792
	s_wait_alu 0xfffe
	s_or_b32 exec_lo, exec_lo, s44
	s_and_saveexec_b32 s22, s20
	s_cbranch_execz .LBB221_630
.LBB221_664:                            ;   in Loop: Header=BB221_566 Depth=2
	ds_load_u8 v2, v1 offset:1024
	s_wait_dscnt 0x0
	v_lshrrev_b32_e32 v2, s45, v2
	s_delay_alu instid0(VALU_DEP_1)
	v_and_b32_e32 v93, s31, v2
	s_wait_alu 0xfffe
	s_or_b32 exec_lo, exec_lo, s22
	s_and_saveexec_b32 s22, s21
	s_cbranch_execz .LBB221_631
.LBB221_665:                            ;   in Loop: Header=BB221_566 Depth=2
	ds_load_u8 v2, v1 offset:1280
	s_wait_dscnt 0x0
	v_lshrrev_b32_e32 v2, s45, v2
	s_delay_alu instid0(VALU_DEP_1)
	v_and_b32_e32 v92, s31, v2
	s_wait_alu 0xfffe
	s_or_b32 exec_lo, exec_lo, s22
	s_and_saveexec_b32 s22, s19
	s_cbranch_execz .LBB221_632
.LBB221_666:                            ;   in Loop: Header=BB221_566 Depth=2
	ds_load_u8 v2, v1 offset:1536
	s_wait_dscnt 0x0
	v_lshrrev_b32_e32 v2, s45, v2
	s_delay_alu instid0(VALU_DEP_1)
	v_and_b32_e32 v91, s31, v2
	s_wait_alu 0xfffe
	s_or_b32 exec_lo, exec_lo, s22
	s_and_saveexec_b32 s22, s18
	s_cbranch_execz .LBB221_633
.LBB221_667:                            ;   in Loop: Header=BB221_566 Depth=2
	ds_load_u8 v2, v1 offset:1792
	s_wait_dscnt 0x0
	v_lshrrev_b32_e32 v2, s45, v2
	s_delay_alu instid0(VALU_DEP_1)
	v_and_b32_e32 v90, s31, v2
	s_wait_alu 0xfffe
	s_or_b32 exec_lo, exec_lo, s22
	s_and_saveexec_b32 s22, s17
	s_cbranch_execz .LBB221_634
.LBB221_668:                            ;   in Loop: Header=BB221_566 Depth=2
	ds_load_u8 v2, v1 offset:2048
	s_wait_dscnt 0x0
	v_lshrrev_b32_e32 v2, s45, v2
	s_delay_alu instid0(VALU_DEP_1)
	v_and_b32_e32 v89, s31, v2
	s_wait_alu 0xfffe
	s_or_b32 exec_lo, exec_lo, s22
	s_and_saveexec_b32 s22, s16
	s_cbranch_execz .LBB221_635
.LBB221_669:                            ;   in Loop: Header=BB221_566 Depth=2
	ds_load_u8 v2, v1 offset:2304
	s_wait_dscnt 0x0
	v_lshrrev_b32_e32 v2, s45, v2
	s_delay_alu instid0(VALU_DEP_1)
	v_and_b32_e32 v88, s31, v2
	s_wait_alu 0xfffe
	s_or_b32 exec_lo, exec_lo, s22
	s_and_saveexec_b32 s22, s15
	s_cbranch_execz .LBB221_636
.LBB221_670:                            ;   in Loop: Header=BB221_566 Depth=2
	ds_load_u8 v2, v1 offset:2560
	s_wait_dscnt 0x0
	v_lshrrev_b32_e32 v2, s45, v2
	s_delay_alu instid0(VALU_DEP_1)
	v_and_b32_e32 v87, s31, v2
	s_wait_alu 0xfffe
	s_or_b32 exec_lo, exec_lo, s22
	s_and_saveexec_b32 s22, vcc_lo
	s_cbranch_execnz .LBB221_637
	s_branch .LBB221_638
.LBB221_671:                            ;   in Loop: Header=BB221_566 Depth=2
	v_lshlrev_b32_e32 v2, 2, v93
	ds_load_b32 v2, v2
	ds_load_b64 v[23:24], v20 offset:1024
	s_wait_dscnt 0x1
	v_add_nc_u32_e32 v2, v2, v1
	s_delay_alu instid0(VALU_DEP_1) | instskip(NEXT) | instid1(VALU_DEP_1)
	v_lshlrev_b64_e32 v[25:26], 3, v[2:3]
	v_add_co_u32 v25, s20, s26, v25
	s_wait_alu 0xf1ff
	s_delay_alu instid0(VALU_DEP_2)
	v_add_co_ci_u32_e64 v26, null, s27, v26, s20
	s_wait_dscnt 0x0
	global_store_b64 v[25:26], v[23:24], off
	s_wait_alu 0xfffe
	s_or_b32 exec_lo, exec_lo, s22
	s_and_saveexec_b32 s22, s21
	s_cbranch_execz .LBB221_640
.LBB221_672:                            ;   in Loop: Header=BB221_566 Depth=2
	v_lshlrev_b32_e32 v2, 2, v92
	ds_load_b32 v2, v2
	ds_load_b64 v[23:24], v20 offset:3072
	s_wait_dscnt 0x1
	v_add_nc_u32_e32 v2, v2, v29
	s_delay_alu instid0(VALU_DEP_1) | instskip(NEXT) | instid1(VALU_DEP_1)
	v_lshlrev_b64_e32 v[25:26], 3, v[2:3]
	v_add_co_u32 v25, s20, s26, v25
	s_wait_alu 0xf1ff
	s_delay_alu instid0(VALU_DEP_2)
	v_add_co_ci_u32_e64 v26, null, s27, v26, s20
	s_wait_dscnt 0x0
	global_store_b64 v[25:26], v[23:24], off
	s_wait_alu 0xfffe
	s_or_b32 exec_lo, exec_lo, s22
	s_and_saveexec_b32 s20, s19
	s_cbranch_execz .LBB221_641
.LBB221_673:                            ;   in Loop: Header=BB221_566 Depth=2
	v_lshlrev_b32_e32 v2, 2, v91
	ds_load_b32 v2, v2
	ds_load_b64 v[23:24], v20 offset:5120
	s_wait_dscnt 0x1
	v_add_nc_u32_e32 v2, v2, v30
	s_delay_alu instid0(VALU_DEP_1) | instskip(NEXT) | instid1(VALU_DEP_1)
	v_lshlrev_b64_e32 v[25:26], 3, v[2:3]
	v_add_co_u32 v25, s19, s26, v25
	s_wait_alu 0xf1ff
	s_delay_alu instid0(VALU_DEP_2)
	v_add_co_ci_u32_e64 v26, null, s27, v26, s19
	s_wait_dscnt 0x0
	global_store_b64 v[25:26], v[23:24], off
	s_wait_alu 0xfffe
	s_or_b32 exec_lo, exec_lo, s20
	s_and_saveexec_b32 s19, s18
	s_cbranch_execz .LBB221_642
.LBB221_674:                            ;   in Loop: Header=BB221_566 Depth=2
	v_lshlrev_b32_e32 v2, 2, v90
	ds_load_b32 v2, v2
	ds_load_b64 v[23:24], v20 offset:7168
	s_wait_dscnt 0x1
	v_add_nc_u32_e32 v2, v2, v31
	s_delay_alu instid0(VALU_DEP_1) | instskip(NEXT) | instid1(VALU_DEP_1)
	v_lshlrev_b64_e32 v[25:26], 3, v[2:3]
	v_add_co_u32 v25, s18, s26, v25
	s_wait_alu 0xf1ff
	s_delay_alu instid0(VALU_DEP_2)
	v_add_co_ci_u32_e64 v26, null, s27, v26, s18
	s_wait_dscnt 0x0
	global_store_b64 v[25:26], v[23:24], off
	s_wait_alu 0xfffe
	s_or_b32 exec_lo, exec_lo, s19
	s_and_saveexec_b32 s18, s17
	s_cbranch_execz .LBB221_643
.LBB221_675:                            ;   in Loop: Header=BB221_566 Depth=2
	v_lshlrev_b32_e32 v2, 2, v89
	ds_load_b32 v2, v2
	ds_load_b64 v[23:24], v20 offset:9216
	s_wait_dscnt 0x1
	v_add_nc_u32_e32 v2, v2, v34
	s_delay_alu instid0(VALU_DEP_1) | instskip(NEXT) | instid1(VALU_DEP_1)
	v_lshlrev_b64_e32 v[25:26], 3, v[2:3]
	v_add_co_u32 v25, s17, s26, v25
	s_wait_alu 0xf1ff
	s_delay_alu instid0(VALU_DEP_2)
	v_add_co_ci_u32_e64 v26, null, s27, v26, s17
	s_wait_dscnt 0x0
	global_store_b64 v[25:26], v[23:24], off
	s_wait_alu 0xfffe
	s_or_b32 exec_lo, exec_lo, s18
	s_and_saveexec_b32 s17, s16
	s_cbranch_execz .LBB221_644
.LBB221_676:                            ;   in Loop: Header=BB221_566 Depth=2
	v_lshlrev_b32_e32 v2, 2, v88
	ds_load_b32 v2, v2
	ds_load_b64 v[23:24], v20 offset:11264
	s_wait_dscnt 0x1
	v_add_nc_u32_e32 v2, v2, v35
	s_delay_alu instid0(VALU_DEP_1) | instskip(NEXT) | instid1(VALU_DEP_1)
	v_lshlrev_b64_e32 v[25:26], 3, v[2:3]
	v_add_co_u32 v25, s16, s26, v25
	s_wait_alu 0xf1ff
	s_delay_alu instid0(VALU_DEP_2)
	v_add_co_ci_u32_e64 v26, null, s27, v26, s16
	s_wait_dscnt 0x0
	global_store_b64 v[25:26], v[23:24], off
	s_wait_alu 0xfffe
	s_or_b32 exec_lo, exec_lo, s17
	s_and_saveexec_b32 s16, s15
	s_cbranch_execz .LBB221_645
.LBB221_677:                            ;   in Loop: Header=BB221_566 Depth=2
	v_lshlrev_b32_e32 v2, 2, v87
	ds_load_b32 v2, v2
	ds_load_b64 v[23:24], v20 offset:13312
	s_wait_dscnt 0x1
	v_add_nc_u32_e32 v2, v2, v36
	s_delay_alu instid0(VALU_DEP_1) | instskip(NEXT) | instid1(VALU_DEP_1)
	v_lshlrev_b64_e32 v[25:26], 3, v[2:3]
	v_add_co_u32 v25, s15, s26, v25
	s_wait_alu 0xf1ff
	s_delay_alu instid0(VALU_DEP_2)
	v_add_co_ci_u32_e64 v26, null, s27, v26, s15
	s_wait_dscnt 0x0
	global_store_b64 v[25:26], v[23:24], off
	s_wait_alu 0xfffe
	s_or_b32 exec_lo, exec_lo, s16
	s_and_saveexec_b32 s15, vcc_lo
	s_cbranch_execnz .LBB221_646
	s_branch .LBB221_647
.LBB221_678:
	s_endpgm
	.section	.rodata,"a",@progbits
	.p2align	6, 0x0
	.amdhsa_kernel _ZN7rocprim17ROCPRIM_400000_NS6detail17trampoline_kernelINS0_14default_configENS1_36segmented_radix_sort_config_selectorIhlEEZNS1_25segmented_radix_sort_implIS3_Lb0EPKhPhPKlPlN2at6native12_GLOBAL__N_18offset_tEEE10hipError_tPvRmT1_PNSt15iterator_traitsISK_E10value_typeET2_T3_PNSL_ISQ_E10value_typeET4_jRbjT5_SW_jjP12ihipStream_tbEUlT_E2_NS1_11comp_targetILNS1_3genE10ELNS1_11target_archE1201ELNS1_3gpuE5ELNS1_3repE0EEENS1_30default_config_static_selectorELNS0_4arch9wavefront6targetE0EEEvSK_
		.amdhsa_group_segment_fixed_size 17440
		.amdhsa_private_segment_fixed_size 0
		.amdhsa_kernarg_size 336
		.amdhsa_user_sgpr_count 2
		.amdhsa_user_sgpr_dispatch_ptr 0
		.amdhsa_user_sgpr_queue_ptr 0
		.amdhsa_user_sgpr_kernarg_segment_ptr 1
		.amdhsa_user_sgpr_dispatch_id 0
		.amdhsa_user_sgpr_private_segment_size 0
		.amdhsa_wavefront_size32 1
		.amdhsa_uses_dynamic_stack 0
		.amdhsa_enable_private_segment 0
		.amdhsa_system_sgpr_workgroup_id_x 1
		.amdhsa_system_sgpr_workgroup_id_y 1
		.amdhsa_system_sgpr_workgroup_id_z 0
		.amdhsa_system_sgpr_workgroup_info 0
		.amdhsa_system_vgpr_workitem_id 2
		.amdhsa_next_free_vgpr 197
		.amdhsa_next_free_sgpr 50
		.amdhsa_reserve_vcc 1
		.amdhsa_float_round_mode_32 0
		.amdhsa_float_round_mode_16_64 0
		.amdhsa_float_denorm_mode_32 3
		.amdhsa_float_denorm_mode_16_64 3
		.amdhsa_fp16_overflow 0
		.amdhsa_workgroup_processor_mode 1
		.amdhsa_memory_ordered 1
		.amdhsa_forward_progress 1
		.amdhsa_inst_pref_size 255
		.amdhsa_round_robin_scheduling 0
		.amdhsa_exception_fp_ieee_invalid_op 0
		.amdhsa_exception_fp_denorm_src 0
		.amdhsa_exception_fp_ieee_div_zero 0
		.amdhsa_exception_fp_ieee_overflow 0
		.amdhsa_exception_fp_ieee_underflow 0
		.amdhsa_exception_fp_ieee_inexact 0
		.amdhsa_exception_int_div_zero 0
	.end_amdhsa_kernel
	.section	.text._ZN7rocprim17ROCPRIM_400000_NS6detail17trampoline_kernelINS0_14default_configENS1_36segmented_radix_sort_config_selectorIhlEEZNS1_25segmented_radix_sort_implIS3_Lb0EPKhPhPKlPlN2at6native12_GLOBAL__N_18offset_tEEE10hipError_tPvRmT1_PNSt15iterator_traitsISK_E10value_typeET2_T3_PNSL_ISQ_E10value_typeET4_jRbjT5_SW_jjP12ihipStream_tbEUlT_E2_NS1_11comp_targetILNS1_3genE10ELNS1_11target_archE1201ELNS1_3gpuE5ELNS1_3repE0EEENS1_30default_config_static_selectorELNS0_4arch9wavefront6targetE0EEEvSK_,"axG",@progbits,_ZN7rocprim17ROCPRIM_400000_NS6detail17trampoline_kernelINS0_14default_configENS1_36segmented_radix_sort_config_selectorIhlEEZNS1_25segmented_radix_sort_implIS3_Lb0EPKhPhPKlPlN2at6native12_GLOBAL__N_18offset_tEEE10hipError_tPvRmT1_PNSt15iterator_traitsISK_E10value_typeET2_T3_PNSL_ISQ_E10value_typeET4_jRbjT5_SW_jjP12ihipStream_tbEUlT_E2_NS1_11comp_targetILNS1_3genE10ELNS1_11target_archE1201ELNS1_3gpuE5ELNS1_3repE0EEENS1_30default_config_static_selectorELNS0_4arch9wavefront6targetE0EEEvSK_,comdat
.Lfunc_end221:
	.size	_ZN7rocprim17ROCPRIM_400000_NS6detail17trampoline_kernelINS0_14default_configENS1_36segmented_radix_sort_config_selectorIhlEEZNS1_25segmented_radix_sort_implIS3_Lb0EPKhPhPKlPlN2at6native12_GLOBAL__N_18offset_tEEE10hipError_tPvRmT1_PNSt15iterator_traitsISK_E10value_typeET2_T3_PNSL_ISQ_E10value_typeET4_jRbjT5_SW_jjP12ihipStream_tbEUlT_E2_NS1_11comp_targetILNS1_3genE10ELNS1_11target_archE1201ELNS1_3gpuE5ELNS1_3repE0EEENS1_30default_config_static_selectorELNS0_4arch9wavefront6targetE0EEEvSK_, .Lfunc_end221-_ZN7rocprim17ROCPRIM_400000_NS6detail17trampoline_kernelINS0_14default_configENS1_36segmented_radix_sort_config_selectorIhlEEZNS1_25segmented_radix_sort_implIS3_Lb0EPKhPhPKlPlN2at6native12_GLOBAL__N_18offset_tEEE10hipError_tPvRmT1_PNSt15iterator_traitsISK_E10value_typeET2_T3_PNSL_ISQ_E10value_typeET4_jRbjT5_SW_jjP12ihipStream_tbEUlT_E2_NS1_11comp_targetILNS1_3genE10ELNS1_11target_archE1201ELNS1_3gpuE5ELNS1_3repE0EEENS1_30default_config_static_selectorELNS0_4arch9wavefront6targetE0EEEvSK_
                                        ; -- End function
	.set _ZN7rocprim17ROCPRIM_400000_NS6detail17trampoline_kernelINS0_14default_configENS1_36segmented_radix_sort_config_selectorIhlEEZNS1_25segmented_radix_sort_implIS3_Lb0EPKhPhPKlPlN2at6native12_GLOBAL__N_18offset_tEEE10hipError_tPvRmT1_PNSt15iterator_traitsISK_E10value_typeET2_T3_PNSL_ISQ_E10value_typeET4_jRbjT5_SW_jjP12ihipStream_tbEUlT_E2_NS1_11comp_targetILNS1_3genE10ELNS1_11target_archE1201ELNS1_3gpuE5ELNS1_3repE0EEENS1_30default_config_static_selectorELNS0_4arch9wavefront6targetE0EEEvSK_.num_vgpr, max(133, .L_ZN7rocprim17ROCPRIM_400000_NS6detail26segmented_warp_sort_helperINS1_20WarpSortHelperConfigILj8ELj4ELj256EEEhlLi256ELb0EvE4sortIPKhPhPKlPlEEvT_T0_T1_T2_jjjjRNS5_12storage_typeE.num_vgpr, .L_ZN7rocprim17ROCPRIM_400000_NS6detail40segmented_radix_sort_single_block_helperIhlLj256ELj8ELb0EE4sortIPKhPhPKlPlEEbT_T0_T1_T2_jjjjRNS3_12storage_typeE.num_vgpr)
	.set _ZN7rocprim17ROCPRIM_400000_NS6detail17trampoline_kernelINS0_14default_configENS1_36segmented_radix_sort_config_selectorIhlEEZNS1_25segmented_radix_sort_implIS3_Lb0EPKhPhPKlPlN2at6native12_GLOBAL__N_18offset_tEEE10hipError_tPvRmT1_PNSt15iterator_traitsISK_E10value_typeET2_T3_PNSL_ISQ_E10value_typeET4_jRbjT5_SW_jjP12ihipStream_tbEUlT_E2_NS1_11comp_targetILNS1_3genE10ELNS1_11target_archE1201ELNS1_3gpuE5ELNS1_3repE0EEENS1_30default_config_static_selectorELNS0_4arch9wavefront6targetE0EEEvSK_.num_agpr, max(0, .L_ZN7rocprim17ROCPRIM_400000_NS6detail26segmented_warp_sort_helperINS1_20WarpSortHelperConfigILj8ELj4ELj256EEEhlLi256ELb0EvE4sortIPKhPhPKlPlEEvT_T0_T1_T2_jjjjRNS5_12storage_typeE.num_agpr, .L_ZN7rocprim17ROCPRIM_400000_NS6detail40segmented_radix_sort_single_block_helperIhlLj256ELj8ELb0EE4sortIPKhPhPKlPlEEbT_T0_T1_T2_jjjjRNS3_12storage_typeE.num_agpr)
	.set _ZN7rocprim17ROCPRIM_400000_NS6detail17trampoline_kernelINS0_14default_configENS1_36segmented_radix_sort_config_selectorIhlEEZNS1_25segmented_radix_sort_implIS3_Lb0EPKhPhPKlPlN2at6native12_GLOBAL__N_18offset_tEEE10hipError_tPvRmT1_PNSt15iterator_traitsISK_E10value_typeET2_T3_PNSL_ISQ_E10value_typeET4_jRbjT5_SW_jjP12ihipStream_tbEUlT_E2_NS1_11comp_targetILNS1_3genE10ELNS1_11target_archE1201ELNS1_3gpuE5ELNS1_3repE0EEENS1_30default_config_static_selectorELNS0_4arch9wavefront6targetE0EEEvSK_.numbered_sgpr, max(50, .L_ZN7rocprim17ROCPRIM_400000_NS6detail26segmented_warp_sort_helperINS1_20WarpSortHelperConfigILj8ELj4ELj256EEEhlLi256ELb0EvE4sortIPKhPhPKlPlEEvT_T0_T1_T2_jjjjRNS5_12storage_typeE.numbered_sgpr, .L_ZN7rocprim17ROCPRIM_400000_NS6detail40segmented_radix_sort_single_block_helperIhlLj256ELj8ELb0EE4sortIPKhPhPKlPlEEbT_T0_T1_T2_jjjjRNS3_12storage_typeE.numbered_sgpr)
	.set _ZN7rocprim17ROCPRIM_400000_NS6detail17trampoline_kernelINS0_14default_configENS1_36segmented_radix_sort_config_selectorIhlEEZNS1_25segmented_radix_sort_implIS3_Lb0EPKhPhPKlPlN2at6native12_GLOBAL__N_18offset_tEEE10hipError_tPvRmT1_PNSt15iterator_traitsISK_E10value_typeET2_T3_PNSL_ISQ_E10value_typeET4_jRbjT5_SW_jjP12ihipStream_tbEUlT_E2_NS1_11comp_targetILNS1_3genE10ELNS1_11target_archE1201ELNS1_3gpuE5ELNS1_3repE0EEENS1_30default_config_static_selectorELNS0_4arch9wavefront6targetE0EEEvSK_.num_named_barrier, max(0, .L_ZN7rocprim17ROCPRIM_400000_NS6detail26segmented_warp_sort_helperINS1_20WarpSortHelperConfigILj8ELj4ELj256EEEhlLi256ELb0EvE4sortIPKhPhPKlPlEEvT_T0_T1_T2_jjjjRNS5_12storage_typeE.num_named_barrier, .L_ZN7rocprim17ROCPRIM_400000_NS6detail40segmented_radix_sort_single_block_helperIhlLj256ELj8ELb0EE4sortIPKhPhPKlPlEEbT_T0_T1_T2_jjjjRNS3_12storage_typeE.num_named_barrier)
	.set _ZN7rocprim17ROCPRIM_400000_NS6detail17trampoline_kernelINS0_14default_configENS1_36segmented_radix_sort_config_selectorIhlEEZNS1_25segmented_radix_sort_implIS3_Lb0EPKhPhPKlPlN2at6native12_GLOBAL__N_18offset_tEEE10hipError_tPvRmT1_PNSt15iterator_traitsISK_E10value_typeET2_T3_PNSL_ISQ_E10value_typeET4_jRbjT5_SW_jjP12ihipStream_tbEUlT_E2_NS1_11comp_targetILNS1_3genE10ELNS1_11target_archE1201ELNS1_3gpuE5ELNS1_3repE0EEENS1_30default_config_static_selectorELNS0_4arch9wavefront6targetE0EEEvSK_.private_seg_size, 0+max(.L_ZN7rocprim17ROCPRIM_400000_NS6detail26segmented_warp_sort_helperINS1_20WarpSortHelperConfigILj8ELj4ELj256EEEhlLi256ELb0EvE4sortIPKhPhPKlPlEEvT_T0_T1_T2_jjjjRNS5_12storage_typeE.private_seg_size, .L_ZN7rocprim17ROCPRIM_400000_NS6detail40segmented_radix_sort_single_block_helperIhlLj256ELj8ELb0EE4sortIPKhPhPKlPlEEbT_T0_T1_T2_jjjjRNS3_12storage_typeE.private_seg_size)
	.set _ZN7rocprim17ROCPRIM_400000_NS6detail17trampoline_kernelINS0_14default_configENS1_36segmented_radix_sort_config_selectorIhlEEZNS1_25segmented_radix_sort_implIS3_Lb0EPKhPhPKlPlN2at6native12_GLOBAL__N_18offset_tEEE10hipError_tPvRmT1_PNSt15iterator_traitsISK_E10value_typeET2_T3_PNSL_ISQ_E10value_typeET4_jRbjT5_SW_jjP12ihipStream_tbEUlT_E2_NS1_11comp_targetILNS1_3genE10ELNS1_11target_archE1201ELNS1_3gpuE5ELNS1_3repE0EEENS1_30default_config_static_selectorELNS0_4arch9wavefront6targetE0EEEvSK_.uses_vcc, or(1, .L_ZN7rocprim17ROCPRIM_400000_NS6detail26segmented_warp_sort_helperINS1_20WarpSortHelperConfigILj8ELj4ELj256EEEhlLi256ELb0EvE4sortIPKhPhPKlPlEEvT_T0_T1_T2_jjjjRNS5_12storage_typeE.uses_vcc, .L_ZN7rocprim17ROCPRIM_400000_NS6detail40segmented_radix_sort_single_block_helperIhlLj256ELj8ELb0EE4sortIPKhPhPKlPlEEbT_T0_T1_T2_jjjjRNS3_12storage_typeE.uses_vcc)
	.set _ZN7rocprim17ROCPRIM_400000_NS6detail17trampoline_kernelINS0_14default_configENS1_36segmented_radix_sort_config_selectorIhlEEZNS1_25segmented_radix_sort_implIS3_Lb0EPKhPhPKlPlN2at6native12_GLOBAL__N_18offset_tEEE10hipError_tPvRmT1_PNSt15iterator_traitsISK_E10value_typeET2_T3_PNSL_ISQ_E10value_typeET4_jRbjT5_SW_jjP12ihipStream_tbEUlT_E2_NS1_11comp_targetILNS1_3genE10ELNS1_11target_archE1201ELNS1_3gpuE5ELNS1_3repE0EEENS1_30default_config_static_selectorELNS0_4arch9wavefront6targetE0EEEvSK_.uses_flat_scratch, or(0, .L_ZN7rocprim17ROCPRIM_400000_NS6detail26segmented_warp_sort_helperINS1_20WarpSortHelperConfigILj8ELj4ELj256EEEhlLi256ELb0EvE4sortIPKhPhPKlPlEEvT_T0_T1_T2_jjjjRNS5_12storage_typeE.uses_flat_scratch, .L_ZN7rocprim17ROCPRIM_400000_NS6detail40segmented_radix_sort_single_block_helperIhlLj256ELj8ELb0EE4sortIPKhPhPKlPlEEbT_T0_T1_T2_jjjjRNS3_12storage_typeE.uses_flat_scratch)
	.set _ZN7rocprim17ROCPRIM_400000_NS6detail17trampoline_kernelINS0_14default_configENS1_36segmented_radix_sort_config_selectorIhlEEZNS1_25segmented_radix_sort_implIS3_Lb0EPKhPhPKlPlN2at6native12_GLOBAL__N_18offset_tEEE10hipError_tPvRmT1_PNSt15iterator_traitsISK_E10value_typeET2_T3_PNSL_ISQ_E10value_typeET4_jRbjT5_SW_jjP12ihipStream_tbEUlT_E2_NS1_11comp_targetILNS1_3genE10ELNS1_11target_archE1201ELNS1_3gpuE5ELNS1_3repE0EEENS1_30default_config_static_selectorELNS0_4arch9wavefront6targetE0EEEvSK_.has_dyn_sized_stack, or(0, .L_ZN7rocprim17ROCPRIM_400000_NS6detail26segmented_warp_sort_helperINS1_20WarpSortHelperConfigILj8ELj4ELj256EEEhlLi256ELb0EvE4sortIPKhPhPKlPlEEvT_T0_T1_T2_jjjjRNS5_12storage_typeE.has_dyn_sized_stack, .L_ZN7rocprim17ROCPRIM_400000_NS6detail40segmented_radix_sort_single_block_helperIhlLj256ELj8ELb0EE4sortIPKhPhPKlPlEEbT_T0_T1_T2_jjjjRNS3_12storage_typeE.has_dyn_sized_stack)
	.set _ZN7rocprim17ROCPRIM_400000_NS6detail17trampoline_kernelINS0_14default_configENS1_36segmented_radix_sort_config_selectorIhlEEZNS1_25segmented_radix_sort_implIS3_Lb0EPKhPhPKlPlN2at6native12_GLOBAL__N_18offset_tEEE10hipError_tPvRmT1_PNSt15iterator_traitsISK_E10value_typeET2_T3_PNSL_ISQ_E10value_typeET4_jRbjT5_SW_jjP12ihipStream_tbEUlT_E2_NS1_11comp_targetILNS1_3genE10ELNS1_11target_archE1201ELNS1_3gpuE5ELNS1_3repE0EEENS1_30default_config_static_selectorELNS0_4arch9wavefront6targetE0EEEvSK_.has_recursion, or(0, .L_ZN7rocprim17ROCPRIM_400000_NS6detail26segmented_warp_sort_helperINS1_20WarpSortHelperConfigILj8ELj4ELj256EEEhlLi256ELb0EvE4sortIPKhPhPKlPlEEvT_T0_T1_T2_jjjjRNS5_12storage_typeE.has_recursion, .L_ZN7rocprim17ROCPRIM_400000_NS6detail40segmented_radix_sort_single_block_helperIhlLj256ELj8ELb0EE4sortIPKhPhPKlPlEEbT_T0_T1_T2_jjjjRNS3_12storage_typeE.has_recursion)
	.set _ZN7rocprim17ROCPRIM_400000_NS6detail17trampoline_kernelINS0_14default_configENS1_36segmented_radix_sort_config_selectorIhlEEZNS1_25segmented_radix_sort_implIS3_Lb0EPKhPhPKlPlN2at6native12_GLOBAL__N_18offset_tEEE10hipError_tPvRmT1_PNSt15iterator_traitsISK_E10value_typeET2_T3_PNSL_ISQ_E10value_typeET4_jRbjT5_SW_jjP12ihipStream_tbEUlT_E2_NS1_11comp_targetILNS1_3genE10ELNS1_11target_archE1201ELNS1_3gpuE5ELNS1_3repE0EEENS1_30default_config_static_selectorELNS0_4arch9wavefront6targetE0EEEvSK_.has_indirect_call, or(0, .L_ZN7rocprim17ROCPRIM_400000_NS6detail26segmented_warp_sort_helperINS1_20WarpSortHelperConfigILj8ELj4ELj256EEEhlLi256ELb0EvE4sortIPKhPhPKlPlEEvT_T0_T1_T2_jjjjRNS5_12storage_typeE.has_indirect_call, .L_ZN7rocprim17ROCPRIM_400000_NS6detail40segmented_radix_sort_single_block_helperIhlLj256ELj8ELb0EE4sortIPKhPhPKlPlEEbT_T0_T1_T2_jjjjRNS3_12storage_typeE.has_indirect_call)
	.section	.AMDGPU.csdata,"",@progbits
; Kernel info:
; codeLenInByte = 41844
; TotalNumSgprs: 52
; NumVgprs: 197
; ScratchSize: 0
; MemoryBound: 0
; FloatMode: 240
; IeeeMode: 1
; LDSByteSize: 17440 bytes/workgroup (compile time only)
; SGPRBlocks: 0
; VGPRBlocks: 24
; NumSGPRsForWavesPerEU: 52
; NumVGPRsForWavesPerEU: 197
; Occupancy: 7
; WaveLimiterHint : 1
; COMPUTE_PGM_RSRC2:SCRATCH_EN: 0
; COMPUTE_PGM_RSRC2:USER_SGPR: 2
; COMPUTE_PGM_RSRC2:TRAP_HANDLER: 0
; COMPUTE_PGM_RSRC2:TGID_X_EN: 1
; COMPUTE_PGM_RSRC2:TGID_Y_EN: 1
; COMPUTE_PGM_RSRC2:TGID_Z_EN: 0
; COMPUTE_PGM_RSRC2:TIDIG_COMP_CNT: 2
	.section	.text._ZN7rocprim17ROCPRIM_400000_NS6detail17trampoline_kernelINS0_14default_configENS1_36segmented_radix_sort_config_selectorIhlEEZNS1_25segmented_radix_sort_implIS3_Lb0EPKhPhPKlPlN2at6native12_GLOBAL__N_18offset_tEEE10hipError_tPvRmT1_PNSt15iterator_traitsISK_E10value_typeET2_T3_PNSL_ISQ_E10value_typeET4_jRbjT5_SW_jjP12ihipStream_tbEUlT_E2_NS1_11comp_targetILNS1_3genE10ELNS1_11target_archE1200ELNS1_3gpuE4ELNS1_3repE0EEENS1_30default_config_static_selectorELNS0_4arch9wavefront6targetE0EEEvSK_,"axG",@progbits,_ZN7rocprim17ROCPRIM_400000_NS6detail17trampoline_kernelINS0_14default_configENS1_36segmented_radix_sort_config_selectorIhlEEZNS1_25segmented_radix_sort_implIS3_Lb0EPKhPhPKlPlN2at6native12_GLOBAL__N_18offset_tEEE10hipError_tPvRmT1_PNSt15iterator_traitsISK_E10value_typeET2_T3_PNSL_ISQ_E10value_typeET4_jRbjT5_SW_jjP12ihipStream_tbEUlT_E2_NS1_11comp_targetILNS1_3genE10ELNS1_11target_archE1200ELNS1_3gpuE4ELNS1_3repE0EEENS1_30default_config_static_selectorELNS0_4arch9wavefront6targetE0EEEvSK_,comdat
	.globl	_ZN7rocprim17ROCPRIM_400000_NS6detail17trampoline_kernelINS0_14default_configENS1_36segmented_radix_sort_config_selectorIhlEEZNS1_25segmented_radix_sort_implIS3_Lb0EPKhPhPKlPlN2at6native12_GLOBAL__N_18offset_tEEE10hipError_tPvRmT1_PNSt15iterator_traitsISK_E10value_typeET2_T3_PNSL_ISQ_E10value_typeET4_jRbjT5_SW_jjP12ihipStream_tbEUlT_E2_NS1_11comp_targetILNS1_3genE10ELNS1_11target_archE1200ELNS1_3gpuE4ELNS1_3repE0EEENS1_30default_config_static_selectorELNS0_4arch9wavefront6targetE0EEEvSK_ ; -- Begin function _ZN7rocprim17ROCPRIM_400000_NS6detail17trampoline_kernelINS0_14default_configENS1_36segmented_radix_sort_config_selectorIhlEEZNS1_25segmented_radix_sort_implIS3_Lb0EPKhPhPKlPlN2at6native12_GLOBAL__N_18offset_tEEE10hipError_tPvRmT1_PNSt15iterator_traitsISK_E10value_typeET2_T3_PNSL_ISQ_E10value_typeET4_jRbjT5_SW_jjP12ihipStream_tbEUlT_E2_NS1_11comp_targetILNS1_3genE10ELNS1_11target_archE1200ELNS1_3gpuE4ELNS1_3repE0EEENS1_30default_config_static_selectorELNS0_4arch9wavefront6targetE0EEEvSK_
	.p2align	8
	.type	_ZN7rocprim17ROCPRIM_400000_NS6detail17trampoline_kernelINS0_14default_configENS1_36segmented_radix_sort_config_selectorIhlEEZNS1_25segmented_radix_sort_implIS3_Lb0EPKhPhPKlPlN2at6native12_GLOBAL__N_18offset_tEEE10hipError_tPvRmT1_PNSt15iterator_traitsISK_E10value_typeET2_T3_PNSL_ISQ_E10value_typeET4_jRbjT5_SW_jjP12ihipStream_tbEUlT_E2_NS1_11comp_targetILNS1_3genE10ELNS1_11target_archE1200ELNS1_3gpuE4ELNS1_3repE0EEENS1_30default_config_static_selectorELNS0_4arch9wavefront6targetE0EEEvSK_,@function
_ZN7rocprim17ROCPRIM_400000_NS6detail17trampoline_kernelINS0_14default_configENS1_36segmented_radix_sort_config_selectorIhlEEZNS1_25segmented_radix_sort_implIS3_Lb0EPKhPhPKlPlN2at6native12_GLOBAL__N_18offset_tEEE10hipError_tPvRmT1_PNSt15iterator_traitsISK_E10value_typeET2_T3_PNSL_ISQ_E10value_typeET4_jRbjT5_SW_jjP12ihipStream_tbEUlT_E2_NS1_11comp_targetILNS1_3genE10ELNS1_11target_archE1200ELNS1_3gpuE4ELNS1_3repE0EEENS1_30default_config_static_selectorELNS0_4arch9wavefront6targetE0EEEvSK_: ; @_ZN7rocprim17ROCPRIM_400000_NS6detail17trampoline_kernelINS0_14default_configENS1_36segmented_radix_sort_config_selectorIhlEEZNS1_25segmented_radix_sort_implIS3_Lb0EPKhPhPKlPlN2at6native12_GLOBAL__N_18offset_tEEE10hipError_tPvRmT1_PNSt15iterator_traitsISK_E10value_typeET2_T3_PNSL_ISQ_E10value_typeET4_jRbjT5_SW_jjP12ihipStream_tbEUlT_E2_NS1_11comp_targetILNS1_3genE10ELNS1_11target_archE1200ELNS1_3gpuE4ELNS1_3repE0EEENS1_30default_config_static_selectorELNS0_4arch9wavefront6targetE0EEEvSK_
; %bb.0:
	.section	.rodata,"a",@progbits
	.p2align	6, 0x0
	.amdhsa_kernel _ZN7rocprim17ROCPRIM_400000_NS6detail17trampoline_kernelINS0_14default_configENS1_36segmented_radix_sort_config_selectorIhlEEZNS1_25segmented_radix_sort_implIS3_Lb0EPKhPhPKlPlN2at6native12_GLOBAL__N_18offset_tEEE10hipError_tPvRmT1_PNSt15iterator_traitsISK_E10value_typeET2_T3_PNSL_ISQ_E10value_typeET4_jRbjT5_SW_jjP12ihipStream_tbEUlT_E2_NS1_11comp_targetILNS1_3genE10ELNS1_11target_archE1200ELNS1_3gpuE4ELNS1_3repE0EEENS1_30default_config_static_selectorELNS0_4arch9wavefront6targetE0EEEvSK_
		.amdhsa_group_segment_fixed_size 0
		.amdhsa_private_segment_fixed_size 0
		.amdhsa_kernarg_size 80
		.amdhsa_user_sgpr_count 2
		.amdhsa_user_sgpr_dispatch_ptr 0
		.amdhsa_user_sgpr_queue_ptr 0
		.amdhsa_user_sgpr_kernarg_segment_ptr 1
		.amdhsa_user_sgpr_dispatch_id 0
		.amdhsa_user_sgpr_private_segment_size 0
		.amdhsa_wavefront_size32 1
		.amdhsa_uses_dynamic_stack 0
		.amdhsa_enable_private_segment 0
		.amdhsa_system_sgpr_workgroup_id_x 1
		.amdhsa_system_sgpr_workgroup_id_y 0
		.amdhsa_system_sgpr_workgroup_id_z 0
		.amdhsa_system_sgpr_workgroup_info 0
		.amdhsa_system_vgpr_workitem_id 0
		.amdhsa_next_free_vgpr 1
		.amdhsa_next_free_sgpr 1
		.amdhsa_reserve_vcc 0
		.amdhsa_float_round_mode_32 0
		.amdhsa_float_round_mode_16_64 0
		.amdhsa_float_denorm_mode_32 3
		.amdhsa_float_denorm_mode_16_64 3
		.amdhsa_fp16_overflow 0
		.amdhsa_workgroup_processor_mode 1
		.amdhsa_memory_ordered 1
		.amdhsa_forward_progress 1
		.amdhsa_inst_pref_size 0
		.amdhsa_round_robin_scheduling 0
		.amdhsa_exception_fp_ieee_invalid_op 0
		.amdhsa_exception_fp_denorm_src 0
		.amdhsa_exception_fp_ieee_div_zero 0
		.amdhsa_exception_fp_ieee_overflow 0
		.amdhsa_exception_fp_ieee_underflow 0
		.amdhsa_exception_fp_ieee_inexact 0
		.amdhsa_exception_int_div_zero 0
	.end_amdhsa_kernel
	.section	.text._ZN7rocprim17ROCPRIM_400000_NS6detail17trampoline_kernelINS0_14default_configENS1_36segmented_radix_sort_config_selectorIhlEEZNS1_25segmented_radix_sort_implIS3_Lb0EPKhPhPKlPlN2at6native12_GLOBAL__N_18offset_tEEE10hipError_tPvRmT1_PNSt15iterator_traitsISK_E10value_typeET2_T3_PNSL_ISQ_E10value_typeET4_jRbjT5_SW_jjP12ihipStream_tbEUlT_E2_NS1_11comp_targetILNS1_3genE10ELNS1_11target_archE1200ELNS1_3gpuE4ELNS1_3repE0EEENS1_30default_config_static_selectorELNS0_4arch9wavefront6targetE0EEEvSK_,"axG",@progbits,_ZN7rocprim17ROCPRIM_400000_NS6detail17trampoline_kernelINS0_14default_configENS1_36segmented_radix_sort_config_selectorIhlEEZNS1_25segmented_radix_sort_implIS3_Lb0EPKhPhPKlPlN2at6native12_GLOBAL__N_18offset_tEEE10hipError_tPvRmT1_PNSt15iterator_traitsISK_E10value_typeET2_T3_PNSL_ISQ_E10value_typeET4_jRbjT5_SW_jjP12ihipStream_tbEUlT_E2_NS1_11comp_targetILNS1_3genE10ELNS1_11target_archE1200ELNS1_3gpuE4ELNS1_3repE0EEENS1_30default_config_static_selectorELNS0_4arch9wavefront6targetE0EEEvSK_,comdat
.Lfunc_end222:
	.size	_ZN7rocprim17ROCPRIM_400000_NS6detail17trampoline_kernelINS0_14default_configENS1_36segmented_radix_sort_config_selectorIhlEEZNS1_25segmented_radix_sort_implIS3_Lb0EPKhPhPKlPlN2at6native12_GLOBAL__N_18offset_tEEE10hipError_tPvRmT1_PNSt15iterator_traitsISK_E10value_typeET2_T3_PNSL_ISQ_E10value_typeET4_jRbjT5_SW_jjP12ihipStream_tbEUlT_E2_NS1_11comp_targetILNS1_3genE10ELNS1_11target_archE1200ELNS1_3gpuE4ELNS1_3repE0EEENS1_30default_config_static_selectorELNS0_4arch9wavefront6targetE0EEEvSK_, .Lfunc_end222-_ZN7rocprim17ROCPRIM_400000_NS6detail17trampoline_kernelINS0_14default_configENS1_36segmented_radix_sort_config_selectorIhlEEZNS1_25segmented_radix_sort_implIS3_Lb0EPKhPhPKlPlN2at6native12_GLOBAL__N_18offset_tEEE10hipError_tPvRmT1_PNSt15iterator_traitsISK_E10value_typeET2_T3_PNSL_ISQ_E10value_typeET4_jRbjT5_SW_jjP12ihipStream_tbEUlT_E2_NS1_11comp_targetILNS1_3genE10ELNS1_11target_archE1200ELNS1_3gpuE4ELNS1_3repE0EEENS1_30default_config_static_selectorELNS0_4arch9wavefront6targetE0EEEvSK_
                                        ; -- End function
	.set _ZN7rocprim17ROCPRIM_400000_NS6detail17trampoline_kernelINS0_14default_configENS1_36segmented_radix_sort_config_selectorIhlEEZNS1_25segmented_radix_sort_implIS3_Lb0EPKhPhPKlPlN2at6native12_GLOBAL__N_18offset_tEEE10hipError_tPvRmT1_PNSt15iterator_traitsISK_E10value_typeET2_T3_PNSL_ISQ_E10value_typeET4_jRbjT5_SW_jjP12ihipStream_tbEUlT_E2_NS1_11comp_targetILNS1_3genE10ELNS1_11target_archE1200ELNS1_3gpuE4ELNS1_3repE0EEENS1_30default_config_static_selectorELNS0_4arch9wavefront6targetE0EEEvSK_.num_vgpr, 0
	.set _ZN7rocprim17ROCPRIM_400000_NS6detail17trampoline_kernelINS0_14default_configENS1_36segmented_radix_sort_config_selectorIhlEEZNS1_25segmented_radix_sort_implIS3_Lb0EPKhPhPKlPlN2at6native12_GLOBAL__N_18offset_tEEE10hipError_tPvRmT1_PNSt15iterator_traitsISK_E10value_typeET2_T3_PNSL_ISQ_E10value_typeET4_jRbjT5_SW_jjP12ihipStream_tbEUlT_E2_NS1_11comp_targetILNS1_3genE10ELNS1_11target_archE1200ELNS1_3gpuE4ELNS1_3repE0EEENS1_30default_config_static_selectorELNS0_4arch9wavefront6targetE0EEEvSK_.num_agpr, 0
	.set _ZN7rocprim17ROCPRIM_400000_NS6detail17trampoline_kernelINS0_14default_configENS1_36segmented_radix_sort_config_selectorIhlEEZNS1_25segmented_radix_sort_implIS3_Lb0EPKhPhPKlPlN2at6native12_GLOBAL__N_18offset_tEEE10hipError_tPvRmT1_PNSt15iterator_traitsISK_E10value_typeET2_T3_PNSL_ISQ_E10value_typeET4_jRbjT5_SW_jjP12ihipStream_tbEUlT_E2_NS1_11comp_targetILNS1_3genE10ELNS1_11target_archE1200ELNS1_3gpuE4ELNS1_3repE0EEENS1_30default_config_static_selectorELNS0_4arch9wavefront6targetE0EEEvSK_.numbered_sgpr, 0
	.set _ZN7rocprim17ROCPRIM_400000_NS6detail17trampoline_kernelINS0_14default_configENS1_36segmented_radix_sort_config_selectorIhlEEZNS1_25segmented_radix_sort_implIS3_Lb0EPKhPhPKlPlN2at6native12_GLOBAL__N_18offset_tEEE10hipError_tPvRmT1_PNSt15iterator_traitsISK_E10value_typeET2_T3_PNSL_ISQ_E10value_typeET4_jRbjT5_SW_jjP12ihipStream_tbEUlT_E2_NS1_11comp_targetILNS1_3genE10ELNS1_11target_archE1200ELNS1_3gpuE4ELNS1_3repE0EEENS1_30default_config_static_selectorELNS0_4arch9wavefront6targetE0EEEvSK_.num_named_barrier, 0
	.set _ZN7rocprim17ROCPRIM_400000_NS6detail17trampoline_kernelINS0_14default_configENS1_36segmented_radix_sort_config_selectorIhlEEZNS1_25segmented_radix_sort_implIS3_Lb0EPKhPhPKlPlN2at6native12_GLOBAL__N_18offset_tEEE10hipError_tPvRmT1_PNSt15iterator_traitsISK_E10value_typeET2_T3_PNSL_ISQ_E10value_typeET4_jRbjT5_SW_jjP12ihipStream_tbEUlT_E2_NS1_11comp_targetILNS1_3genE10ELNS1_11target_archE1200ELNS1_3gpuE4ELNS1_3repE0EEENS1_30default_config_static_selectorELNS0_4arch9wavefront6targetE0EEEvSK_.private_seg_size, 0
	.set _ZN7rocprim17ROCPRIM_400000_NS6detail17trampoline_kernelINS0_14default_configENS1_36segmented_radix_sort_config_selectorIhlEEZNS1_25segmented_radix_sort_implIS3_Lb0EPKhPhPKlPlN2at6native12_GLOBAL__N_18offset_tEEE10hipError_tPvRmT1_PNSt15iterator_traitsISK_E10value_typeET2_T3_PNSL_ISQ_E10value_typeET4_jRbjT5_SW_jjP12ihipStream_tbEUlT_E2_NS1_11comp_targetILNS1_3genE10ELNS1_11target_archE1200ELNS1_3gpuE4ELNS1_3repE0EEENS1_30default_config_static_selectorELNS0_4arch9wavefront6targetE0EEEvSK_.uses_vcc, 0
	.set _ZN7rocprim17ROCPRIM_400000_NS6detail17trampoline_kernelINS0_14default_configENS1_36segmented_radix_sort_config_selectorIhlEEZNS1_25segmented_radix_sort_implIS3_Lb0EPKhPhPKlPlN2at6native12_GLOBAL__N_18offset_tEEE10hipError_tPvRmT1_PNSt15iterator_traitsISK_E10value_typeET2_T3_PNSL_ISQ_E10value_typeET4_jRbjT5_SW_jjP12ihipStream_tbEUlT_E2_NS1_11comp_targetILNS1_3genE10ELNS1_11target_archE1200ELNS1_3gpuE4ELNS1_3repE0EEENS1_30default_config_static_selectorELNS0_4arch9wavefront6targetE0EEEvSK_.uses_flat_scratch, 0
	.set _ZN7rocprim17ROCPRIM_400000_NS6detail17trampoline_kernelINS0_14default_configENS1_36segmented_radix_sort_config_selectorIhlEEZNS1_25segmented_radix_sort_implIS3_Lb0EPKhPhPKlPlN2at6native12_GLOBAL__N_18offset_tEEE10hipError_tPvRmT1_PNSt15iterator_traitsISK_E10value_typeET2_T3_PNSL_ISQ_E10value_typeET4_jRbjT5_SW_jjP12ihipStream_tbEUlT_E2_NS1_11comp_targetILNS1_3genE10ELNS1_11target_archE1200ELNS1_3gpuE4ELNS1_3repE0EEENS1_30default_config_static_selectorELNS0_4arch9wavefront6targetE0EEEvSK_.has_dyn_sized_stack, 0
	.set _ZN7rocprim17ROCPRIM_400000_NS6detail17trampoline_kernelINS0_14default_configENS1_36segmented_radix_sort_config_selectorIhlEEZNS1_25segmented_radix_sort_implIS3_Lb0EPKhPhPKlPlN2at6native12_GLOBAL__N_18offset_tEEE10hipError_tPvRmT1_PNSt15iterator_traitsISK_E10value_typeET2_T3_PNSL_ISQ_E10value_typeET4_jRbjT5_SW_jjP12ihipStream_tbEUlT_E2_NS1_11comp_targetILNS1_3genE10ELNS1_11target_archE1200ELNS1_3gpuE4ELNS1_3repE0EEENS1_30default_config_static_selectorELNS0_4arch9wavefront6targetE0EEEvSK_.has_recursion, 0
	.set _ZN7rocprim17ROCPRIM_400000_NS6detail17trampoline_kernelINS0_14default_configENS1_36segmented_radix_sort_config_selectorIhlEEZNS1_25segmented_radix_sort_implIS3_Lb0EPKhPhPKlPlN2at6native12_GLOBAL__N_18offset_tEEE10hipError_tPvRmT1_PNSt15iterator_traitsISK_E10value_typeET2_T3_PNSL_ISQ_E10value_typeET4_jRbjT5_SW_jjP12ihipStream_tbEUlT_E2_NS1_11comp_targetILNS1_3genE10ELNS1_11target_archE1200ELNS1_3gpuE4ELNS1_3repE0EEENS1_30default_config_static_selectorELNS0_4arch9wavefront6targetE0EEEvSK_.has_indirect_call, 0
	.section	.AMDGPU.csdata,"",@progbits
; Kernel info:
; codeLenInByte = 0
; TotalNumSgprs: 0
; NumVgprs: 0
; ScratchSize: 0
; MemoryBound: 0
; FloatMode: 240
; IeeeMode: 1
; LDSByteSize: 0 bytes/workgroup (compile time only)
; SGPRBlocks: 0
; VGPRBlocks: 0
; NumSGPRsForWavesPerEU: 1
; NumVGPRsForWavesPerEU: 1
; Occupancy: 16
; WaveLimiterHint : 0
; COMPUTE_PGM_RSRC2:SCRATCH_EN: 0
; COMPUTE_PGM_RSRC2:USER_SGPR: 2
; COMPUTE_PGM_RSRC2:TRAP_HANDLER: 0
; COMPUTE_PGM_RSRC2:TGID_X_EN: 1
; COMPUTE_PGM_RSRC2:TGID_Y_EN: 0
; COMPUTE_PGM_RSRC2:TGID_Z_EN: 0
; COMPUTE_PGM_RSRC2:TIDIG_COMP_CNT: 0
	.section	.text._ZN7rocprim17ROCPRIM_400000_NS6detail17trampoline_kernelINS0_14default_configENS1_36segmented_radix_sort_config_selectorIhlEEZNS1_25segmented_radix_sort_implIS3_Lb0EPKhPhPKlPlN2at6native12_GLOBAL__N_18offset_tEEE10hipError_tPvRmT1_PNSt15iterator_traitsISK_E10value_typeET2_T3_PNSL_ISQ_E10value_typeET4_jRbjT5_SW_jjP12ihipStream_tbEUlT_E2_NS1_11comp_targetILNS1_3genE9ELNS1_11target_archE1100ELNS1_3gpuE3ELNS1_3repE0EEENS1_30default_config_static_selectorELNS0_4arch9wavefront6targetE0EEEvSK_,"axG",@progbits,_ZN7rocprim17ROCPRIM_400000_NS6detail17trampoline_kernelINS0_14default_configENS1_36segmented_radix_sort_config_selectorIhlEEZNS1_25segmented_radix_sort_implIS3_Lb0EPKhPhPKlPlN2at6native12_GLOBAL__N_18offset_tEEE10hipError_tPvRmT1_PNSt15iterator_traitsISK_E10value_typeET2_T3_PNSL_ISQ_E10value_typeET4_jRbjT5_SW_jjP12ihipStream_tbEUlT_E2_NS1_11comp_targetILNS1_3genE9ELNS1_11target_archE1100ELNS1_3gpuE3ELNS1_3repE0EEENS1_30default_config_static_selectorELNS0_4arch9wavefront6targetE0EEEvSK_,comdat
	.globl	_ZN7rocprim17ROCPRIM_400000_NS6detail17trampoline_kernelINS0_14default_configENS1_36segmented_radix_sort_config_selectorIhlEEZNS1_25segmented_radix_sort_implIS3_Lb0EPKhPhPKlPlN2at6native12_GLOBAL__N_18offset_tEEE10hipError_tPvRmT1_PNSt15iterator_traitsISK_E10value_typeET2_T3_PNSL_ISQ_E10value_typeET4_jRbjT5_SW_jjP12ihipStream_tbEUlT_E2_NS1_11comp_targetILNS1_3genE9ELNS1_11target_archE1100ELNS1_3gpuE3ELNS1_3repE0EEENS1_30default_config_static_selectorELNS0_4arch9wavefront6targetE0EEEvSK_ ; -- Begin function _ZN7rocprim17ROCPRIM_400000_NS6detail17trampoline_kernelINS0_14default_configENS1_36segmented_radix_sort_config_selectorIhlEEZNS1_25segmented_radix_sort_implIS3_Lb0EPKhPhPKlPlN2at6native12_GLOBAL__N_18offset_tEEE10hipError_tPvRmT1_PNSt15iterator_traitsISK_E10value_typeET2_T3_PNSL_ISQ_E10value_typeET4_jRbjT5_SW_jjP12ihipStream_tbEUlT_E2_NS1_11comp_targetILNS1_3genE9ELNS1_11target_archE1100ELNS1_3gpuE3ELNS1_3repE0EEENS1_30default_config_static_selectorELNS0_4arch9wavefront6targetE0EEEvSK_
	.p2align	8
	.type	_ZN7rocprim17ROCPRIM_400000_NS6detail17trampoline_kernelINS0_14default_configENS1_36segmented_radix_sort_config_selectorIhlEEZNS1_25segmented_radix_sort_implIS3_Lb0EPKhPhPKlPlN2at6native12_GLOBAL__N_18offset_tEEE10hipError_tPvRmT1_PNSt15iterator_traitsISK_E10value_typeET2_T3_PNSL_ISQ_E10value_typeET4_jRbjT5_SW_jjP12ihipStream_tbEUlT_E2_NS1_11comp_targetILNS1_3genE9ELNS1_11target_archE1100ELNS1_3gpuE3ELNS1_3repE0EEENS1_30default_config_static_selectorELNS0_4arch9wavefront6targetE0EEEvSK_,@function
_ZN7rocprim17ROCPRIM_400000_NS6detail17trampoline_kernelINS0_14default_configENS1_36segmented_radix_sort_config_selectorIhlEEZNS1_25segmented_radix_sort_implIS3_Lb0EPKhPhPKlPlN2at6native12_GLOBAL__N_18offset_tEEE10hipError_tPvRmT1_PNSt15iterator_traitsISK_E10value_typeET2_T3_PNSL_ISQ_E10value_typeET4_jRbjT5_SW_jjP12ihipStream_tbEUlT_E2_NS1_11comp_targetILNS1_3genE9ELNS1_11target_archE1100ELNS1_3gpuE3ELNS1_3repE0EEENS1_30default_config_static_selectorELNS0_4arch9wavefront6targetE0EEEvSK_: ; @_ZN7rocprim17ROCPRIM_400000_NS6detail17trampoline_kernelINS0_14default_configENS1_36segmented_radix_sort_config_selectorIhlEEZNS1_25segmented_radix_sort_implIS3_Lb0EPKhPhPKlPlN2at6native12_GLOBAL__N_18offset_tEEE10hipError_tPvRmT1_PNSt15iterator_traitsISK_E10value_typeET2_T3_PNSL_ISQ_E10value_typeET4_jRbjT5_SW_jjP12ihipStream_tbEUlT_E2_NS1_11comp_targetILNS1_3genE9ELNS1_11target_archE1100ELNS1_3gpuE3ELNS1_3repE0EEENS1_30default_config_static_selectorELNS0_4arch9wavefront6targetE0EEEvSK_
; %bb.0:
	.section	.rodata,"a",@progbits
	.p2align	6, 0x0
	.amdhsa_kernel _ZN7rocprim17ROCPRIM_400000_NS6detail17trampoline_kernelINS0_14default_configENS1_36segmented_radix_sort_config_selectorIhlEEZNS1_25segmented_radix_sort_implIS3_Lb0EPKhPhPKlPlN2at6native12_GLOBAL__N_18offset_tEEE10hipError_tPvRmT1_PNSt15iterator_traitsISK_E10value_typeET2_T3_PNSL_ISQ_E10value_typeET4_jRbjT5_SW_jjP12ihipStream_tbEUlT_E2_NS1_11comp_targetILNS1_3genE9ELNS1_11target_archE1100ELNS1_3gpuE3ELNS1_3repE0EEENS1_30default_config_static_selectorELNS0_4arch9wavefront6targetE0EEEvSK_
		.amdhsa_group_segment_fixed_size 0
		.amdhsa_private_segment_fixed_size 0
		.amdhsa_kernarg_size 80
		.amdhsa_user_sgpr_count 2
		.amdhsa_user_sgpr_dispatch_ptr 0
		.amdhsa_user_sgpr_queue_ptr 0
		.amdhsa_user_sgpr_kernarg_segment_ptr 1
		.amdhsa_user_sgpr_dispatch_id 0
		.amdhsa_user_sgpr_private_segment_size 0
		.amdhsa_wavefront_size32 1
		.amdhsa_uses_dynamic_stack 0
		.amdhsa_enable_private_segment 0
		.amdhsa_system_sgpr_workgroup_id_x 1
		.amdhsa_system_sgpr_workgroup_id_y 0
		.amdhsa_system_sgpr_workgroup_id_z 0
		.amdhsa_system_sgpr_workgroup_info 0
		.amdhsa_system_vgpr_workitem_id 0
		.amdhsa_next_free_vgpr 1
		.amdhsa_next_free_sgpr 1
		.amdhsa_reserve_vcc 0
		.amdhsa_float_round_mode_32 0
		.amdhsa_float_round_mode_16_64 0
		.amdhsa_float_denorm_mode_32 3
		.amdhsa_float_denorm_mode_16_64 3
		.amdhsa_fp16_overflow 0
		.amdhsa_workgroup_processor_mode 1
		.amdhsa_memory_ordered 1
		.amdhsa_forward_progress 1
		.amdhsa_inst_pref_size 0
		.amdhsa_round_robin_scheduling 0
		.amdhsa_exception_fp_ieee_invalid_op 0
		.amdhsa_exception_fp_denorm_src 0
		.amdhsa_exception_fp_ieee_div_zero 0
		.amdhsa_exception_fp_ieee_overflow 0
		.amdhsa_exception_fp_ieee_underflow 0
		.amdhsa_exception_fp_ieee_inexact 0
		.amdhsa_exception_int_div_zero 0
	.end_amdhsa_kernel
	.section	.text._ZN7rocprim17ROCPRIM_400000_NS6detail17trampoline_kernelINS0_14default_configENS1_36segmented_radix_sort_config_selectorIhlEEZNS1_25segmented_radix_sort_implIS3_Lb0EPKhPhPKlPlN2at6native12_GLOBAL__N_18offset_tEEE10hipError_tPvRmT1_PNSt15iterator_traitsISK_E10value_typeET2_T3_PNSL_ISQ_E10value_typeET4_jRbjT5_SW_jjP12ihipStream_tbEUlT_E2_NS1_11comp_targetILNS1_3genE9ELNS1_11target_archE1100ELNS1_3gpuE3ELNS1_3repE0EEENS1_30default_config_static_selectorELNS0_4arch9wavefront6targetE0EEEvSK_,"axG",@progbits,_ZN7rocprim17ROCPRIM_400000_NS6detail17trampoline_kernelINS0_14default_configENS1_36segmented_radix_sort_config_selectorIhlEEZNS1_25segmented_radix_sort_implIS3_Lb0EPKhPhPKlPlN2at6native12_GLOBAL__N_18offset_tEEE10hipError_tPvRmT1_PNSt15iterator_traitsISK_E10value_typeET2_T3_PNSL_ISQ_E10value_typeET4_jRbjT5_SW_jjP12ihipStream_tbEUlT_E2_NS1_11comp_targetILNS1_3genE9ELNS1_11target_archE1100ELNS1_3gpuE3ELNS1_3repE0EEENS1_30default_config_static_selectorELNS0_4arch9wavefront6targetE0EEEvSK_,comdat
.Lfunc_end223:
	.size	_ZN7rocprim17ROCPRIM_400000_NS6detail17trampoline_kernelINS0_14default_configENS1_36segmented_radix_sort_config_selectorIhlEEZNS1_25segmented_radix_sort_implIS3_Lb0EPKhPhPKlPlN2at6native12_GLOBAL__N_18offset_tEEE10hipError_tPvRmT1_PNSt15iterator_traitsISK_E10value_typeET2_T3_PNSL_ISQ_E10value_typeET4_jRbjT5_SW_jjP12ihipStream_tbEUlT_E2_NS1_11comp_targetILNS1_3genE9ELNS1_11target_archE1100ELNS1_3gpuE3ELNS1_3repE0EEENS1_30default_config_static_selectorELNS0_4arch9wavefront6targetE0EEEvSK_, .Lfunc_end223-_ZN7rocprim17ROCPRIM_400000_NS6detail17trampoline_kernelINS0_14default_configENS1_36segmented_radix_sort_config_selectorIhlEEZNS1_25segmented_radix_sort_implIS3_Lb0EPKhPhPKlPlN2at6native12_GLOBAL__N_18offset_tEEE10hipError_tPvRmT1_PNSt15iterator_traitsISK_E10value_typeET2_T3_PNSL_ISQ_E10value_typeET4_jRbjT5_SW_jjP12ihipStream_tbEUlT_E2_NS1_11comp_targetILNS1_3genE9ELNS1_11target_archE1100ELNS1_3gpuE3ELNS1_3repE0EEENS1_30default_config_static_selectorELNS0_4arch9wavefront6targetE0EEEvSK_
                                        ; -- End function
	.set _ZN7rocprim17ROCPRIM_400000_NS6detail17trampoline_kernelINS0_14default_configENS1_36segmented_radix_sort_config_selectorIhlEEZNS1_25segmented_radix_sort_implIS3_Lb0EPKhPhPKlPlN2at6native12_GLOBAL__N_18offset_tEEE10hipError_tPvRmT1_PNSt15iterator_traitsISK_E10value_typeET2_T3_PNSL_ISQ_E10value_typeET4_jRbjT5_SW_jjP12ihipStream_tbEUlT_E2_NS1_11comp_targetILNS1_3genE9ELNS1_11target_archE1100ELNS1_3gpuE3ELNS1_3repE0EEENS1_30default_config_static_selectorELNS0_4arch9wavefront6targetE0EEEvSK_.num_vgpr, 0
	.set _ZN7rocprim17ROCPRIM_400000_NS6detail17trampoline_kernelINS0_14default_configENS1_36segmented_radix_sort_config_selectorIhlEEZNS1_25segmented_radix_sort_implIS3_Lb0EPKhPhPKlPlN2at6native12_GLOBAL__N_18offset_tEEE10hipError_tPvRmT1_PNSt15iterator_traitsISK_E10value_typeET2_T3_PNSL_ISQ_E10value_typeET4_jRbjT5_SW_jjP12ihipStream_tbEUlT_E2_NS1_11comp_targetILNS1_3genE9ELNS1_11target_archE1100ELNS1_3gpuE3ELNS1_3repE0EEENS1_30default_config_static_selectorELNS0_4arch9wavefront6targetE0EEEvSK_.num_agpr, 0
	.set _ZN7rocprim17ROCPRIM_400000_NS6detail17trampoline_kernelINS0_14default_configENS1_36segmented_radix_sort_config_selectorIhlEEZNS1_25segmented_radix_sort_implIS3_Lb0EPKhPhPKlPlN2at6native12_GLOBAL__N_18offset_tEEE10hipError_tPvRmT1_PNSt15iterator_traitsISK_E10value_typeET2_T3_PNSL_ISQ_E10value_typeET4_jRbjT5_SW_jjP12ihipStream_tbEUlT_E2_NS1_11comp_targetILNS1_3genE9ELNS1_11target_archE1100ELNS1_3gpuE3ELNS1_3repE0EEENS1_30default_config_static_selectorELNS0_4arch9wavefront6targetE0EEEvSK_.numbered_sgpr, 0
	.set _ZN7rocprim17ROCPRIM_400000_NS6detail17trampoline_kernelINS0_14default_configENS1_36segmented_radix_sort_config_selectorIhlEEZNS1_25segmented_radix_sort_implIS3_Lb0EPKhPhPKlPlN2at6native12_GLOBAL__N_18offset_tEEE10hipError_tPvRmT1_PNSt15iterator_traitsISK_E10value_typeET2_T3_PNSL_ISQ_E10value_typeET4_jRbjT5_SW_jjP12ihipStream_tbEUlT_E2_NS1_11comp_targetILNS1_3genE9ELNS1_11target_archE1100ELNS1_3gpuE3ELNS1_3repE0EEENS1_30default_config_static_selectorELNS0_4arch9wavefront6targetE0EEEvSK_.num_named_barrier, 0
	.set _ZN7rocprim17ROCPRIM_400000_NS6detail17trampoline_kernelINS0_14default_configENS1_36segmented_radix_sort_config_selectorIhlEEZNS1_25segmented_radix_sort_implIS3_Lb0EPKhPhPKlPlN2at6native12_GLOBAL__N_18offset_tEEE10hipError_tPvRmT1_PNSt15iterator_traitsISK_E10value_typeET2_T3_PNSL_ISQ_E10value_typeET4_jRbjT5_SW_jjP12ihipStream_tbEUlT_E2_NS1_11comp_targetILNS1_3genE9ELNS1_11target_archE1100ELNS1_3gpuE3ELNS1_3repE0EEENS1_30default_config_static_selectorELNS0_4arch9wavefront6targetE0EEEvSK_.private_seg_size, 0
	.set _ZN7rocprim17ROCPRIM_400000_NS6detail17trampoline_kernelINS0_14default_configENS1_36segmented_radix_sort_config_selectorIhlEEZNS1_25segmented_radix_sort_implIS3_Lb0EPKhPhPKlPlN2at6native12_GLOBAL__N_18offset_tEEE10hipError_tPvRmT1_PNSt15iterator_traitsISK_E10value_typeET2_T3_PNSL_ISQ_E10value_typeET4_jRbjT5_SW_jjP12ihipStream_tbEUlT_E2_NS1_11comp_targetILNS1_3genE9ELNS1_11target_archE1100ELNS1_3gpuE3ELNS1_3repE0EEENS1_30default_config_static_selectorELNS0_4arch9wavefront6targetE0EEEvSK_.uses_vcc, 0
	.set _ZN7rocprim17ROCPRIM_400000_NS6detail17trampoline_kernelINS0_14default_configENS1_36segmented_radix_sort_config_selectorIhlEEZNS1_25segmented_radix_sort_implIS3_Lb0EPKhPhPKlPlN2at6native12_GLOBAL__N_18offset_tEEE10hipError_tPvRmT1_PNSt15iterator_traitsISK_E10value_typeET2_T3_PNSL_ISQ_E10value_typeET4_jRbjT5_SW_jjP12ihipStream_tbEUlT_E2_NS1_11comp_targetILNS1_3genE9ELNS1_11target_archE1100ELNS1_3gpuE3ELNS1_3repE0EEENS1_30default_config_static_selectorELNS0_4arch9wavefront6targetE0EEEvSK_.uses_flat_scratch, 0
	.set _ZN7rocprim17ROCPRIM_400000_NS6detail17trampoline_kernelINS0_14default_configENS1_36segmented_radix_sort_config_selectorIhlEEZNS1_25segmented_radix_sort_implIS3_Lb0EPKhPhPKlPlN2at6native12_GLOBAL__N_18offset_tEEE10hipError_tPvRmT1_PNSt15iterator_traitsISK_E10value_typeET2_T3_PNSL_ISQ_E10value_typeET4_jRbjT5_SW_jjP12ihipStream_tbEUlT_E2_NS1_11comp_targetILNS1_3genE9ELNS1_11target_archE1100ELNS1_3gpuE3ELNS1_3repE0EEENS1_30default_config_static_selectorELNS0_4arch9wavefront6targetE0EEEvSK_.has_dyn_sized_stack, 0
	.set _ZN7rocprim17ROCPRIM_400000_NS6detail17trampoline_kernelINS0_14default_configENS1_36segmented_radix_sort_config_selectorIhlEEZNS1_25segmented_radix_sort_implIS3_Lb0EPKhPhPKlPlN2at6native12_GLOBAL__N_18offset_tEEE10hipError_tPvRmT1_PNSt15iterator_traitsISK_E10value_typeET2_T3_PNSL_ISQ_E10value_typeET4_jRbjT5_SW_jjP12ihipStream_tbEUlT_E2_NS1_11comp_targetILNS1_3genE9ELNS1_11target_archE1100ELNS1_3gpuE3ELNS1_3repE0EEENS1_30default_config_static_selectorELNS0_4arch9wavefront6targetE0EEEvSK_.has_recursion, 0
	.set _ZN7rocprim17ROCPRIM_400000_NS6detail17trampoline_kernelINS0_14default_configENS1_36segmented_radix_sort_config_selectorIhlEEZNS1_25segmented_radix_sort_implIS3_Lb0EPKhPhPKlPlN2at6native12_GLOBAL__N_18offset_tEEE10hipError_tPvRmT1_PNSt15iterator_traitsISK_E10value_typeET2_T3_PNSL_ISQ_E10value_typeET4_jRbjT5_SW_jjP12ihipStream_tbEUlT_E2_NS1_11comp_targetILNS1_3genE9ELNS1_11target_archE1100ELNS1_3gpuE3ELNS1_3repE0EEENS1_30default_config_static_selectorELNS0_4arch9wavefront6targetE0EEEvSK_.has_indirect_call, 0
	.section	.AMDGPU.csdata,"",@progbits
; Kernel info:
; codeLenInByte = 0
; TotalNumSgprs: 0
; NumVgprs: 0
; ScratchSize: 0
; MemoryBound: 0
; FloatMode: 240
; IeeeMode: 1
; LDSByteSize: 0 bytes/workgroup (compile time only)
; SGPRBlocks: 0
; VGPRBlocks: 0
; NumSGPRsForWavesPerEU: 1
; NumVGPRsForWavesPerEU: 1
; Occupancy: 16
; WaveLimiterHint : 0
; COMPUTE_PGM_RSRC2:SCRATCH_EN: 0
; COMPUTE_PGM_RSRC2:USER_SGPR: 2
; COMPUTE_PGM_RSRC2:TRAP_HANDLER: 0
; COMPUTE_PGM_RSRC2:TGID_X_EN: 1
; COMPUTE_PGM_RSRC2:TGID_Y_EN: 0
; COMPUTE_PGM_RSRC2:TGID_Z_EN: 0
; COMPUTE_PGM_RSRC2:TIDIG_COMP_CNT: 0
	.section	.text._ZN7rocprim17ROCPRIM_400000_NS6detail17trampoline_kernelINS0_14default_configENS1_36segmented_radix_sort_config_selectorIhlEEZNS1_25segmented_radix_sort_implIS3_Lb0EPKhPhPKlPlN2at6native12_GLOBAL__N_18offset_tEEE10hipError_tPvRmT1_PNSt15iterator_traitsISK_E10value_typeET2_T3_PNSL_ISQ_E10value_typeET4_jRbjT5_SW_jjP12ihipStream_tbEUlT_E2_NS1_11comp_targetILNS1_3genE8ELNS1_11target_archE1030ELNS1_3gpuE2ELNS1_3repE0EEENS1_30default_config_static_selectorELNS0_4arch9wavefront6targetE0EEEvSK_,"axG",@progbits,_ZN7rocprim17ROCPRIM_400000_NS6detail17trampoline_kernelINS0_14default_configENS1_36segmented_radix_sort_config_selectorIhlEEZNS1_25segmented_radix_sort_implIS3_Lb0EPKhPhPKlPlN2at6native12_GLOBAL__N_18offset_tEEE10hipError_tPvRmT1_PNSt15iterator_traitsISK_E10value_typeET2_T3_PNSL_ISQ_E10value_typeET4_jRbjT5_SW_jjP12ihipStream_tbEUlT_E2_NS1_11comp_targetILNS1_3genE8ELNS1_11target_archE1030ELNS1_3gpuE2ELNS1_3repE0EEENS1_30default_config_static_selectorELNS0_4arch9wavefront6targetE0EEEvSK_,comdat
	.globl	_ZN7rocprim17ROCPRIM_400000_NS6detail17trampoline_kernelINS0_14default_configENS1_36segmented_radix_sort_config_selectorIhlEEZNS1_25segmented_radix_sort_implIS3_Lb0EPKhPhPKlPlN2at6native12_GLOBAL__N_18offset_tEEE10hipError_tPvRmT1_PNSt15iterator_traitsISK_E10value_typeET2_T3_PNSL_ISQ_E10value_typeET4_jRbjT5_SW_jjP12ihipStream_tbEUlT_E2_NS1_11comp_targetILNS1_3genE8ELNS1_11target_archE1030ELNS1_3gpuE2ELNS1_3repE0EEENS1_30default_config_static_selectorELNS0_4arch9wavefront6targetE0EEEvSK_ ; -- Begin function _ZN7rocprim17ROCPRIM_400000_NS6detail17trampoline_kernelINS0_14default_configENS1_36segmented_radix_sort_config_selectorIhlEEZNS1_25segmented_radix_sort_implIS3_Lb0EPKhPhPKlPlN2at6native12_GLOBAL__N_18offset_tEEE10hipError_tPvRmT1_PNSt15iterator_traitsISK_E10value_typeET2_T3_PNSL_ISQ_E10value_typeET4_jRbjT5_SW_jjP12ihipStream_tbEUlT_E2_NS1_11comp_targetILNS1_3genE8ELNS1_11target_archE1030ELNS1_3gpuE2ELNS1_3repE0EEENS1_30default_config_static_selectorELNS0_4arch9wavefront6targetE0EEEvSK_
	.p2align	8
	.type	_ZN7rocprim17ROCPRIM_400000_NS6detail17trampoline_kernelINS0_14default_configENS1_36segmented_radix_sort_config_selectorIhlEEZNS1_25segmented_radix_sort_implIS3_Lb0EPKhPhPKlPlN2at6native12_GLOBAL__N_18offset_tEEE10hipError_tPvRmT1_PNSt15iterator_traitsISK_E10value_typeET2_T3_PNSL_ISQ_E10value_typeET4_jRbjT5_SW_jjP12ihipStream_tbEUlT_E2_NS1_11comp_targetILNS1_3genE8ELNS1_11target_archE1030ELNS1_3gpuE2ELNS1_3repE0EEENS1_30default_config_static_selectorELNS0_4arch9wavefront6targetE0EEEvSK_,@function
_ZN7rocprim17ROCPRIM_400000_NS6detail17trampoline_kernelINS0_14default_configENS1_36segmented_radix_sort_config_selectorIhlEEZNS1_25segmented_radix_sort_implIS3_Lb0EPKhPhPKlPlN2at6native12_GLOBAL__N_18offset_tEEE10hipError_tPvRmT1_PNSt15iterator_traitsISK_E10value_typeET2_T3_PNSL_ISQ_E10value_typeET4_jRbjT5_SW_jjP12ihipStream_tbEUlT_E2_NS1_11comp_targetILNS1_3genE8ELNS1_11target_archE1030ELNS1_3gpuE2ELNS1_3repE0EEENS1_30default_config_static_selectorELNS0_4arch9wavefront6targetE0EEEvSK_: ; @_ZN7rocprim17ROCPRIM_400000_NS6detail17trampoline_kernelINS0_14default_configENS1_36segmented_radix_sort_config_selectorIhlEEZNS1_25segmented_radix_sort_implIS3_Lb0EPKhPhPKlPlN2at6native12_GLOBAL__N_18offset_tEEE10hipError_tPvRmT1_PNSt15iterator_traitsISK_E10value_typeET2_T3_PNSL_ISQ_E10value_typeET4_jRbjT5_SW_jjP12ihipStream_tbEUlT_E2_NS1_11comp_targetILNS1_3genE8ELNS1_11target_archE1030ELNS1_3gpuE2ELNS1_3repE0EEENS1_30default_config_static_selectorELNS0_4arch9wavefront6targetE0EEEvSK_
; %bb.0:
	.section	.rodata,"a",@progbits
	.p2align	6, 0x0
	.amdhsa_kernel _ZN7rocprim17ROCPRIM_400000_NS6detail17trampoline_kernelINS0_14default_configENS1_36segmented_radix_sort_config_selectorIhlEEZNS1_25segmented_radix_sort_implIS3_Lb0EPKhPhPKlPlN2at6native12_GLOBAL__N_18offset_tEEE10hipError_tPvRmT1_PNSt15iterator_traitsISK_E10value_typeET2_T3_PNSL_ISQ_E10value_typeET4_jRbjT5_SW_jjP12ihipStream_tbEUlT_E2_NS1_11comp_targetILNS1_3genE8ELNS1_11target_archE1030ELNS1_3gpuE2ELNS1_3repE0EEENS1_30default_config_static_selectorELNS0_4arch9wavefront6targetE0EEEvSK_
		.amdhsa_group_segment_fixed_size 0
		.amdhsa_private_segment_fixed_size 0
		.amdhsa_kernarg_size 80
		.amdhsa_user_sgpr_count 2
		.amdhsa_user_sgpr_dispatch_ptr 0
		.amdhsa_user_sgpr_queue_ptr 0
		.amdhsa_user_sgpr_kernarg_segment_ptr 1
		.amdhsa_user_sgpr_dispatch_id 0
		.amdhsa_user_sgpr_private_segment_size 0
		.amdhsa_wavefront_size32 1
		.amdhsa_uses_dynamic_stack 0
		.amdhsa_enable_private_segment 0
		.amdhsa_system_sgpr_workgroup_id_x 1
		.amdhsa_system_sgpr_workgroup_id_y 0
		.amdhsa_system_sgpr_workgroup_id_z 0
		.amdhsa_system_sgpr_workgroup_info 0
		.amdhsa_system_vgpr_workitem_id 0
		.amdhsa_next_free_vgpr 1
		.amdhsa_next_free_sgpr 1
		.amdhsa_reserve_vcc 0
		.amdhsa_float_round_mode_32 0
		.amdhsa_float_round_mode_16_64 0
		.amdhsa_float_denorm_mode_32 3
		.amdhsa_float_denorm_mode_16_64 3
		.amdhsa_fp16_overflow 0
		.amdhsa_workgroup_processor_mode 1
		.amdhsa_memory_ordered 1
		.amdhsa_forward_progress 1
		.amdhsa_inst_pref_size 0
		.amdhsa_round_robin_scheduling 0
		.amdhsa_exception_fp_ieee_invalid_op 0
		.amdhsa_exception_fp_denorm_src 0
		.amdhsa_exception_fp_ieee_div_zero 0
		.amdhsa_exception_fp_ieee_overflow 0
		.amdhsa_exception_fp_ieee_underflow 0
		.amdhsa_exception_fp_ieee_inexact 0
		.amdhsa_exception_int_div_zero 0
	.end_amdhsa_kernel
	.section	.text._ZN7rocprim17ROCPRIM_400000_NS6detail17trampoline_kernelINS0_14default_configENS1_36segmented_radix_sort_config_selectorIhlEEZNS1_25segmented_radix_sort_implIS3_Lb0EPKhPhPKlPlN2at6native12_GLOBAL__N_18offset_tEEE10hipError_tPvRmT1_PNSt15iterator_traitsISK_E10value_typeET2_T3_PNSL_ISQ_E10value_typeET4_jRbjT5_SW_jjP12ihipStream_tbEUlT_E2_NS1_11comp_targetILNS1_3genE8ELNS1_11target_archE1030ELNS1_3gpuE2ELNS1_3repE0EEENS1_30default_config_static_selectorELNS0_4arch9wavefront6targetE0EEEvSK_,"axG",@progbits,_ZN7rocprim17ROCPRIM_400000_NS6detail17trampoline_kernelINS0_14default_configENS1_36segmented_radix_sort_config_selectorIhlEEZNS1_25segmented_radix_sort_implIS3_Lb0EPKhPhPKlPlN2at6native12_GLOBAL__N_18offset_tEEE10hipError_tPvRmT1_PNSt15iterator_traitsISK_E10value_typeET2_T3_PNSL_ISQ_E10value_typeET4_jRbjT5_SW_jjP12ihipStream_tbEUlT_E2_NS1_11comp_targetILNS1_3genE8ELNS1_11target_archE1030ELNS1_3gpuE2ELNS1_3repE0EEENS1_30default_config_static_selectorELNS0_4arch9wavefront6targetE0EEEvSK_,comdat
.Lfunc_end224:
	.size	_ZN7rocprim17ROCPRIM_400000_NS6detail17trampoline_kernelINS0_14default_configENS1_36segmented_radix_sort_config_selectorIhlEEZNS1_25segmented_radix_sort_implIS3_Lb0EPKhPhPKlPlN2at6native12_GLOBAL__N_18offset_tEEE10hipError_tPvRmT1_PNSt15iterator_traitsISK_E10value_typeET2_T3_PNSL_ISQ_E10value_typeET4_jRbjT5_SW_jjP12ihipStream_tbEUlT_E2_NS1_11comp_targetILNS1_3genE8ELNS1_11target_archE1030ELNS1_3gpuE2ELNS1_3repE0EEENS1_30default_config_static_selectorELNS0_4arch9wavefront6targetE0EEEvSK_, .Lfunc_end224-_ZN7rocprim17ROCPRIM_400000_NS6detail17trampoline_kernelINS0_14default_configENS1_36segmented_radix_sort_config_selectorIhlEEZNS1_25segmented_radix_sort_implIS3_Lb0EPKhPhPKlPlN2at6native12_GLOBAL__N_18offset_tEEE10hipError_tPvRmT1_PNSt15iterator_traitsISK_E10value_typeET2_T3_PNSL_ISQ_E10value_typeET4_jRbjT5_SW_jjP12ihipStream_tbEUlT_E2_NS1_11comp_targetILNS1_3genE8ELNS1_11target_archE1030ELNS1_3gpuE2ELNS1_3repE0EEENS1_30default_config_static_selectorELNS0_4arch9wavefront6targetE0EEEvSK_
                                        ; -- End function
	.set _ZN7rocprim17ROCPRIM_400000_NS6detail17trampoline_kernelINS0_14default_configENS1_36segmented_radix_sort_config_selectorIhlEEZNS1_25segmented_radix_sort_implIS3_Lb0EPKhPhPKlPlN2at6native12_GLOBAL__N_18offset_tEEE10hipError_tPvRmT1_PNSt15iterator_traitsISK_E10value_typeET2_T3_PNSL_ISQ_E10value_typeET4_jRbjT5_SW_jjP12ihipStream_tbEUlT_E2_NS1_11comp_targetILNS1_3genE8ELNS1_11target_archE1030ELNS1_3gpuE2ELNS1_3repE0EEENS1_30default_config_static_selectorELNS0_4arch9wavefront6targetE0EEEvSK_.num_vgpr, 0
	.set _ZN7rocprim17ROCPRIM_400000_NS6detail17trampoline_kernelINS0_14default_configENS1_36segmented_radix_sort_config_selectorIhlEEZNS1_25segmented_radix_sort_implIS3_Lb0EPKhPhPKlPlN2at6native12_GLOBAL__N_18offset_tEEE10hipError_tPvRmT1_PNSt15iterator_traitsISK_E10value_typeET2_T3_PNSL_ISQ_E10value_typeET4_jRbjT5_SW_jjP12ihipStream_tbEUlT_E2_NS1_11comp_targetILNS1_3genE8ELNS1_11target_archE1030ELNS1_3gpuE2ELNS1_3repE0EEENS1_30default_config_static_selectorELNS0_4arch9wavefront6targetE0EEEvSK_.num_agpr, 0
	.set _ZN7rocprim17ROCPRIM_400000_NS6detail17trampoline_kernelINS0_14default_configENS1_36segmented_radix_sort_config_selectorIhlEEZNS1_25segmented_radix_sort_implIS3_Lb0EPKhPhPKlPlN2at6native12_GLOBAL__N_18offset_tEEE10hipError_tPvRmT1_PNSt15iterator_traitsISK_E10value_typeET2_T3_PNSL_ISQ_E10value_typeET4_jRbjT5_SW_jjP12ihipStream_tbEUlT_E2_NS1_11comp_targetILNS1_3genE8ELNS1_11target_archE1030ELNS1_3gpuE2ELNS1_3repE0EEENS1_30default_config_static_selectorELNS0_4arch9wavefront6targetE0EEEvSK_.numbered_sgpr, 0
	.set _ZN7rocprim17ROCPRIM_400000_NS6detail17trampoline_kernelINS0_14default_configENS1_36segmented_radix_sort_config_selectorIhlEEZNS1_25segmented_radix_sort_implIS3_Lb0EPKhPhPKlPlN2at6native12_GLOBAL__N_18offset_tEEE10hipError_tPvRmT1_PNSt15iterator_traitsISK_E10value_typeET2_T3_PNSL_ISQ_E10value_typeET4_jRbjT5_SW_jjP12ihipStream_tbEUlT_E2_NS1_11comp_targetILNS1_3genE8ELNS1_11target_archE1030ELNS1_3gpuE2ELNS1_3repE0EEENS1_30default_config_static_selectorELNS0_4arch9wavefront6targetE0EEEvSK_.num_named_barrier, 0
	.set _ZN7rocprim17ROCPRIM_400000_NS6detail17trampoline_kernelINS0_14default_configENS1_36segmented_radix_sort_config_selectorIhlEEZNS1_25segmented_radix_sort_implIS3_Lb0EPKhPhPKlPlN2at6native12_GLOBAL__N_18offset_tEEE10hipError_tPvRmT1_PNSt15iterator_traitsISK_E10value_typeET2_T3_PNSL_ISQ_E10value_typeET4_jRbjT5_SW_jjP12ihipStream_tbEUlT_E2_NS1_11comp_targetILNS1_3genE8ELNS1_11target_archE1030ELNS1_3gpuE2ELNS1_3repE0EEENS1_30default_config_static_selectorELNS0_4arch9wavefront6targetE0EEEvSK_.private_seg_size, 0
	.set _ZN7rocprim17ROCPRIM_400000_NS6detail17trampoline_kernelINS0_14default_configENS1_36segmented_radix_sort_config_selectorIhlEEZNS1_25segmented_radix_sort_implIS3_Lb0EPKhPhPKlPlN2at6native12_GLOBAL__N_18offset_tEEE10hipError_tPvRmT1_PNSt15iterator_traitsISK_E10value_typeET2_T3_PNSL_ISQ_E10value_typeET4_jRbjT5_SW_jjP12ihipStream_tbEUlT_E2_NS1_11comp_targetILNS1_3genE8ELNS1_11target_archE1030ELNS1_3gpuE2ELNS1_3repE0EEENS1_30default_config_static_selectorELNS0_4arch9wavefront6targetE0EEEvSK_.uses_vcc, 0
	.set _ZN7rocprim17ROCPRIM_400000_NS6detail17trampoline_kernelINS0_14default_configENS1_36segmented_radix_sort_config_selectorIhlEEZNS1_25segmented_radix_sort_implIS3_Lb0EPKhPhPKlPlN2at6native12_GLOBAL__N_18offset_tEEE10hipError_tPvRmT1_PNSt15iterator_traitsISK_E10value_typeET2_T3_PNSL_ISQ_E10value_typeET4_jRbjT5_SW_jjP12ihipStream_tbEUlT_E2_NS1_11comp_targetILNS1_3genE8ELNS1_11target_archE1030ELNS1_3gpuE2ELNS1_3repE0EEENS1_30default_config_static_selectorELNS0_4arch9wavefront6targetE0EEEvSK_.uses_flat_scratch, 0
	.set _ZN7rocprim17ROCPRIM_400000_NS6detail17trampoline_kernelINS0_14default_configENS1_36segmented_radix_sort_config_selectorIhlEEZNS1_25segmented_radix_sort_implIS3_Lb0EPKhPhPKlPlN2at6native12_GLOBAL__N_18offset_tEEE10hipError_tPvRmT1_PNSt15iterator_traitsISK_E10value_typeET2_T3_PNSL_ISQ_E10value_typeET4_jRbjT5_SW_jjP12ihipStream_tbEUlT_E2_NS1_11comp_targetILNS1_3genE8ELNS1_11target_archE1030ELNS1_3gpuE2ELNS1_3repE0EEENS1_30default_config_static_selectorELNS0_4arch9wavefront6targetE0EEEvSK_.has_dyn_sized_stack, 0
	.set _ZN7rocprim17ROCPRIM_400000_NS6detail17trampoline_kernelINS0_14default_configENS1_36segmented_radix_sort_config_selectorIhlEEZNS1_25segmented_radix_sort_implIS3_Lb0EPKhPhPKlPlN2at6native12_GLOBAL__N_18offset_tEEE10hipError_tPvRmT1_PNSt15iterator_traitsISK_E10value_typeET2_T3_PNSL_ISQ_E10value_typeET4_jRbjT5_SW_jjP12ihipStream_tbEUlT_E2_NS1_11comp_targetILNS1_3genE8ELNS1_11target_archE1030ELNS1_3gpuE2ELNS1_3repE0EEENS1_30default_config_static_selectorELNS0_4arch9wavefront6targetE0EEEvSK_.has_recursion, 0
	.set _ZN7rocprim17ROCPRIM_400000_NS6detail17trampoline_kernelINS0_14default_configENS1_36segmented_radix_sort_config_selectorIhlEEZNS1_25segmented_radix_sort_implIS3_Lb0EPKhPhPKlPlN2at6native12_GLOBAL__N_18offset_tEEE10hipError_tPvRmT1_PNSt15iterator_traitsISK_E10value_typeET2_T3_PNSL_ISQ_E10value_typeET4_jRbjT5_SW_jjP12ihipStream_tbEUlT_E2_NS1_11comp_targetILNS1_3genE8ELNS1_11target_archE1030ELNS1_3gpuE2ELNS1_3repE0EEENS1_30default_config_static_selectorELNS0_4arch9wavefront6targetE0EEEvSK_.has_indirect_call, 0
	.section	.AMDGPU.csdata,"",@progbits
; Kernel info:
; codeLenInByte = 0
; TotalNumSgprs: 0
; NumVgprs: 0
; ScratchSize: 0
; MemoryBound: 0
; FloatMode: 240
; IeeeMode: 1
; LDSByteSize: 0 bytes/workgroup (compile time only)
; SGPRBlocks: 0
; VGPRBlocks: 0
; NumSGPRsForWavesPerEU: 1
; NumVGPRsForWavesPerEU: 1
; Occupancy: 16
; WaveLimiterHint : 0
; COMPUTE_PGM_RSRC2:SCRATCH_EN: 0
; COMPUTE_PGM_RSRC2:USER_SGPR: 2
; COMPUTE_PGM_RSRC2:TRAP_HANDLER: 0
; COMPUTE_PGM_RSRC2:TGID_X_EN: 1
; COMPUTE_PGM_RSRC2:TGID_Y_EN: 0
; COMPUTE_PGM_RSRC2:TGID_Z_EN: 0
; COMPUTE_PGM_RSRC2:TIDIG_COMP_CNT: 0
	.section	.text._ZN2at6native12_GLOBAL__N_123sort_postprocess_kernelIaEEvPKT_PS3_PlPK15HIP_vector_typeIiLj2EEii,"axG",@progbits,_ZN2at6native12_GLOBAL__N_123sort_postprocess_kernelIaEEvPKT_PS3_PlPK15HIP_vector_typeIiLj2EEii,comdat
	.globl	_ZN2at6native12_GLOBAL__N_123sort_postprocess_kernelIaEEvPKT_PS3_PlPK15HIP_vector_typeIiLj2EEii ; -- Begin function _ZN2at6native12_GLOBAL__N_123sort_postprocess_kernelIaEEvPKT_PS3_PlPK15HIP_vector_typeIiLj2EEii
	.p2align	8
	.type	_ZN2at6native12_GLOBAL__N_123sort_postprocess_kernelIaEEvPKT_PS3_PlPK15HIP_vector_typeIiLj2EEii,@function
_ZN2at6native12_GLOBAL__N_123sort_postprocess_kernelIaEEvPKT_PS3_PlPK15HIP_vector_typeIiLj2EEii: ; @_ZN2at6native12_GLOBAL__N_123sort_postprocess_kernelIaEEvPKT_PS3_PlPK15HIP_vector_typeIiLj2EEii
; %bb.0:
	s_clause 0x1
	s_load_b32 s6, s[0:1], 0x34
	s_load_b64 s[4:5], s[0:1], 0x20
	s_mov_b32 s3, 0
	s_mov_b32 s2, ttmp9
	s_mov_b32 s17, s3
	s_wait_kmcnt 0x0
	s_and_b32 s16, s6, 0xffff
	s_mul_i32 s14, s5, s4
	s_mul_u64 s[12:13], s[16:17], s[2:3]
	s_ashr_i32 s15, s14, 31
	v_add_co_u32 v1, s2, s12, v0
	s_delay_alu instid0(VALU_DEP_1) | instskip(NEXT) | instid1(VALU_DEP_1)
	v_add_co_ci_u32_e64 v2, null, s13, 0, s2
	v_cmp_gt_i64_e32 vcc_lo, s[14:15], v[1:2]
	v_mov_b32_e32 v1, 0
	s_and_saveexec_b32 s2, vcc_lo
	s_cbranch_execz .LBB225_3
; %bb.1:
	s_abs_i32 s2, s5
	s_wait_alu 0xfffe
	s_cvt_f32_u32 s4, s2
	s_delay_alu instid0(SALU_CYCLE_3) | instskip(SKIP_4) | instid1(TRANS32_DEP_1)
	v_rcp_iflag_f32_e32 v2, s4
	s_add_nc_u64 s[4:5], s[0:1], 40
	s_load_b32 s17, s[4:5], 0x0
	s_load_b256 s[4:11], s[0:1], 0x0
	s_sub_co_i32 s1, 0, s2
	v_readfirstlane_b32 s0, v2
	s_mul_f32 s0, s0, 0x4f7ffffe
	s_delay_alu instid0(SALU_CYCLE_3) | instskip(NEXT) | instid1(SALU_CYCLE_3)
	s_cvt_u32_f32 s0, s0
	s_mul_i32 s1, s1, s0
	s_delay_alu instid0(SALU_CYCLE_1)
	s_mul_hi_u32 s18, s0, s1
	s_wait_kmcnt 0x0
	s_mul_i32 s1, s17, s16
	s_add_co_i32 s17, s0, s18
	s_mul_i32 s16, ttmp9, s16
.LBB225_2:                              ; =>This Inner Loop Header: Depth=1
	s_delay_alu instid0(SALU_CYCLE_1) | instskip(NEXT) | instid1(VALU_DEP_1)
	v_add_nc_u32_e32 v2, s16, v0
	v_sub_nc_u32_e32 v3, 0, v2
	s_delay_alu instid0(VALU_DEP_1) | instskip(NEXT) | instid1(VALU_DEP_1)
	v_max_i32_e32 v3, v2, v3
	v_mul_hi_u32 v4, v3, s17
	s_delay_alu instid0(VALU_DEP_1) | instskip(NEXT) | instid1(VALU_DEP_1)
	v_mul_lo_u32 v4, v4, s2
	v_sub_nc_u32_e32 v3, v3, v4
	s_delay_alu instid0(VALU_DEP_1) | instskip(SKIP_2) | instid1(VALU_DEP_2)
	v_subrev_nc_u32_e32 v4, s2, v3
	v_cmp_le_u32_e32 vcc_lo, s2, v3
	s_wait_alu 0xfffd
	v_cndmask_b32_e32 v3, v3, v4, vcc_lo
	s_delay_alu instid0(VALU_DEP_1) | instskip(SKIP_2) | instid1(VALU_DEP_2)
	v_subrev_nc_u32_e32 v5, s2, v3
	v_cmp_le_u32_e32 vcc_lo, s2, v3
	s_wait_alu 0xfffd
	v_cndmask_b32_e32 v3, v3, v5, vcc_lo
	v_ashrrev_i32_e32 v4, 31, v2
	s_delay_alu instid0(VALU_DEP_1) | instskip(NEXT) | instid1(VALU_DEP_3)
	v_add_nc_u32_e32 v2, v2, v4
	v_xor_b32_e32 v3, v3, v4
	s_delay_alu instid0(VALU_DEP_1) | instskip(SKIP_1) | instid1(VALU_DEP_2)
	v_sub_nc_u32_e32 v2, v2, v3
	v_sub_nc_u32_e32 v4, v3, v4
	v_ashrrev_i32_e32 v3, 31, v2
	s_delay_alu instid0(VALU_DEP_2) | instskip(NEXT) | instid1(VALU_DEP_2)
	v_ashrrev_i32_e32 v5, 31, v4
	v_lshlrev_b64_e32 v[6:7], 3, v[2:3]
	s_delay_alu instid0(VALU_DEP_2) | instskip(NEXT) | instid1(VALU_DEP_2)
	v_lshlrev_b64_e32 v[8:9], 3, v[4:5]
	v_add_co_u32 v10, vcc_lo, s10, v6
	s_wait_alu 0xfffd
	s_delay_alu instid0(VALU_DEP_3) | instskip(NEXT) | instid1(VALU_DEP_2)
	v_add_co_ci_u32_e64 v11, null, s11, v7, vcc_lo
	v_add_co_u32 v10, vcc_lo, v10, v8
	s_wait_alu 0xfffd
	s_delay_alu instid0(VALU_DEP_2)
	v_add_co_ci_u32_e64 v11, null, v11, v9, vcc_lo
	v_add_co_u32 v12, vcc_lo, s4, v2
	s_wait_alu 0xfffd
	v_add_co_ci_u32_e64 v13, null, s5, v3, vcc_lo
	global_load_b32 v10, v[10:11], off offset:4
	v_add_co_u32 v6, vcc_lo, s8, v6
	s_wait_alu 0xfffd
	v_add_co_ci_u32_e64 v7, null, s9, v7, vcc_lo
	s_delay_alu instid0(VALU_DEP_2) | instskip(SKIP_1) | instid1(VALU_DEP_2)
	v_add_co_u32 v6, vcc_lo, v6, v8
	s_wait_alu 0xfffd
	v_add_co_ci_u32_e64 v7, null, v7, v9, vcc_lo
	s_wait_loadcnt 0x0
	v_ashrrev_i32_e32 v11, 31, v10
	v_add_co_u32 v8, vcc_lo, v12, v10
	s_wait_alu 0xfffd
	s_delay_alu instid0(VALU_DEP_2)
	v_add_co_ci_u32_e64 v9, null, v13, v11, vcc_lo
	global_store_b64 v[6:7], v[10:11], off
	v_add_co_u32 v0, vcc_lo, v0, s1
	global_load_u8 v8, v[8:9], off
	s_wait_alu 0xfffd
	v_add_co_ci_u32_e64 v1, null, 0, v1, vcc_lo
	v_add_co_u32 v6, vcc_lo, s12, v0
	s_wait_alu 0xfffd
	s_delay_alu instid0(VALU_DEP_2) | instskip(SKIP_3) | instid1(VALU_DEP_3)
	v_add_co_ci_u32_e64 v7, null, s13, v1, vcc_lo
	v_add_co_u32 v2, vcc_lo, s6, v2
	s_wait_alu 0xfffd
	v_add_co_ci_u32_e64 v3, null, s7, v3, vcc_lo
	v_cmp_le_i64_e32 vcc_lo, s[14:15], v[6:7]
	s_delay_alu instid0(VALU_DEP_3) | instskip(SKIP_1) | instid1(VALU_DEP_3)
	v_add_co_u32 v2, s0, v2, v4
	s_wait_alu 0xf1ff
	v_add_co_ci_u32_e64 v3, null, v3, v5, s0
	s_or_b32 s3, vcc_lo, s3
	s_wait_loadcnt 0x0
	global_store_b8 v[2:3], v8, off
	s_wait_alu 0xfffe
	s_and_not1_b32 exec_lo, exec_lo, s3
	s_cbranch_execnz .LBB225_2
.LBB225_3:
	s_endpgm
	.section	.rodata,"a",@progbits
	.p2align	6, 0x0
	.amdhsa_kernel _ZN2at6native12_GLOBAL__N_123sort_postprocess_kernelIaEEvPKT_PS3_PlPK15HIP_vector_typeIiLj2EEii
		.amdhsa_group_segment_fixed_size 0
		.amdhsa_private_segment_fixed_size 0
		.amdhsa_kernarg_size 296
		.amdhsa_user_sgpr_count 2
		.amdhsa_user_sgpr_dispatch_ptr 0
		.amdhsa_user_sgpr_queue_ptr 0
		.amdhsa_user_sgpr_kernarg_segment_ptr 1
		.amdhsa_user_sgpr_dispatch_id 0
		.amdhsa_user_sgpr_private_segment_size 0
		.amdhsa_wavefront_size32 1
		.amdhsa_uses_dynamic_stack 0
		.amdhsa_enable_private_segment 0
		.amdhsa_system_sgpr_workgroup_id_x 1
		.amdhsa_system_sgpr_workgroup_id_y 0
		.amdhsa_system_sgpr_workgroup_id_z 0
		.amdhsa_system_sgpr_workgroup_info 0
		.amdhsa_system_vgpr_workitem_id 0
		.amdhsa_next_free_vgpr 14
		.amdhsa_next_free_sgpr 19
		.amdhsa_reserve_vcc 1
		.amdhsa_float_round_mode_32 0
		.amdhsa_float_round_mode_16_64 0
		.amdhsa_float_denorm_mode_32 3
		.amdhsa_float_denorm_mode_16_64 3
		.amdhsa_fp16_overflow 0
		.amdhsa_workgroup_processor_mode 1
		.amdhsa_memory_ordered 1
		.amdhsa_forward_progress 1
		.amdhsa_inst_pref_size 5
		.amdhsa_round_robin_scheduling 0
		.amdhsa_exception_fp_ieee_invalid_op 0
		.amdhsa_exception_fp_denorm_src 0
		.amdhsa_exception_fp_ieee_div_zero 0
		.amdhsa_exception_fp_ieee_overflow 0
		.amdhsa_exception_fp_ieee_underflow 0
		.amdhsa_exception_fp_ieee_inexact 0
		.amdhsa_exception_int_div_zero 0
	.end_amdhsa_kernel
	.section	.text._ZN2at6native12_GLOBAL__N_123sort_postprocess_kernelIaEEvPKT_PS3_PlPK15HIP_vector_typeIiLj2EEii,"axG",@progbits,_ZN2at6native12_GLOBAL__N_123sort_postprocess_kernelIaEEvPKT_PS3_PlPK15HIP_vector_typeIiLj2EEii,comdat
.Lfunc_end225:
	.size	_ZN2at6native12_GLOBAL__N_123sort_postprocess_kernelIaEEvPKT_PS3_PlPK15HIP_vector_typeIiLj2EEii, .Lfunc_end225-_ZN2at6native12_GLOBAL__N_123sort_postprocess_kernelIaEEvPKT_PS3_PlPK15HIP_vector_typeIiLj2EEii
                                        ; -- End function
	.set _ZN2at6native12_GLOBAL__N_123sort_postprocess_kernelIaEEvPKT_PS3_PlPK15HIP_vector_typeIiLj2EEii.num_vgpr, 14
	.set _ZN2at6native12_GLOBAL__N_123sort_postprocess_kernelIaEEvPKT_PS3_PlPK15HIP_vector_typeIiLj2EEii.num_agpr, 0
	.set _ZN2at6native12_GLOBAL__N_123sort_postprocess_kernelIaEEvPKT_PS3_PlPK15HIP_vector_typeIiLj2EEii.numbered_sgpr, 19
	.set _ZN2at6native12_GLOBAL__N_123sort_postprocess_kernelIaEEvPKT_PS3_PlPK15HIP_vector_typeIiLj2EEii.num_named_barrier, 0
	.set _ZN2at6native12_GLOBAL__N_123sort_postprocess_kernelIaEEvPKT_PS3_PlPK15HIP_vector_typeIiLj2EEii.private_seg_size, 0
	.set _ZN2at6native12_GLOBAL__N_123sort_postprocess_kernelIaEEvPKT_PS3_PlPK15HIP_vector_typeIiLj2EEii.uses_vcc, 1
	.set _ZN2at6native12_GLOBAL__N_123sort_postprocess_kernelIaEEvPKT_PS3_PlPK15HIP_vector_typeIiLj2EEii.uses_flat_scratch, 0
	.set _ZN2at6native12_GLOBAL__N_123sort_postprocess_kernelIaEEvPKT_PS3_PlPK15HIP_vector_typeIiLj2EEii.has_dyn_sized_stack, 0
	.set _ZN2at6native12_GLOBAL__N_123sort_postprocess_kernelIaEEvPKT_PS3_PlPK15HIP_vector_typeIiLj2EEii.has_recursion, 0
	.set _ZN2at6native12_GLOBAL__N_123sort_postprocess_kernelIaEEvPKT_PS3_PlPK15HIP_vector_typeIiLj2EEii.has_indirect_call, 0
	.section	.AMDGPU.csdata,"",@progbits
; Kernel info:
; codeLenInByte = 628
; TotalNumSgprs: 21
; NumVgprs: 14
; ScratchSize: 0
; MemoryBound: 0
; FloatMode: 240
; IeeeMode: 1
; LDSByteSize: 0 bytes/workgroup (compile time only)
; SGPRBlocks: 0
; VGPRBlocks: 1
; NumSGPRsForWavesPerEU: 21
; NumVGPRsForWavesPerEU: 14
; Occupancy: 16
; WaveLimiterHint : 1
; COMPUTE_PGM_RSRC2:SCRATCH_EN: 0
; COMPUTE_PGM_RSRC2:USER_SGPR: 2
; COMPUTE_PGM_RSRC2:TRAP_HANDLER: 0
; COMPUTE_PGM_RSRC2:TGID_X_EN: 1
; COMPUTE_PGM_RSRC2:TGID_Y_EN: 0
; COMPUTE_PGM_RSRC2:TGID_Z_EN: 0
; COMPUTE_PGM_RSRC2:TIDIG_COMP_CNT: 0
	.section	.text._ZN7rocprim17ROCPRIM_400000_NS6detail17trampoline_kernelINS0_13select_configILj256ELj13ELNS0_17block_load_methodE3ELS4_3ELS4_3ELNS0_20block_scan_algorithmE0ELj4294967295EEENS1_25partition_config_selectorILNS1_17partition_subalgoE4EjNS0_10empty_typeEbEEZZNS1_14partition_implILS8_4ELb0ES6_15HIP_vector_typeIjLj2EENS0_17counting_iteratorIjlEEPS9_SG_NS0_5tupleIJPjSI_NS0_16reverse_iteratorISI_EEEEENSH_IJSG_SG_SG_EEES9_SI_JZNS1_25segmented_radix_sort_implINS0_14default_configELb1EPKaPaPKlPlN2at6native12_GLOBAL__N_18offset_tEEE10hipError_tPvRmT1_PNSt15iterator_traitsIS12_E10value_typeET2_T3_PNS13_IS18_E10value_typeET4_jRbjT5_S1E_jjP12ihipStream_tbEUljE_ZNSN_ISO_Lb1ESQ_SR_ST_SU_SY_EESZ_S10_S11_S12_S16_S17_S18_S1B_S1C_jS1D_jS1E_S1E_jjS1G_bEUljE0_EEESZ_S10_S11_S18_S1C_S1E_T6_T7_T9_mT8_S1G_bDpT10_ENKUlT_T0_E_clISt17integral_constantIbLb0EES1U_EEDaS1P_S1Q_EUlS1P_E_NS1_11comp_targetILNS1_3genE0ELNS1_11target_archE4294967295ELNS1_3gpuE0ELNS1_3repE0EEENS1_30default_config_static_selectorELNS0_4arch9wavefront6targetE0EEEvS12_,"axG",@progbits,_ZN7rocprim17ROCPRIM_400000_NS6detail17trampoline_kernelINS0_13select_configILj256ELj13ELNS0_17block_load_methodE3ELS4_3ELS4_3ELNS0_20block_scan_algorithmE0ELj4294967295EEENS1_25partition_config_selectorILNS1_17partition_subalgoE4EjNS0_10empty_typeEbEEZZNS1_14partition_implILS8_4ELb0ES6_15HIP_vector_typeIjLj2EENS0_17counting_iteratorIjlEEPS9_SG_NS0_5tupleIJPjSI_NS0_16reverse_iteratorISI_EEEEENSH_IJSG_SG_SG_EEES9_SI_JZNS1_25segmented_radix_sort_implINS0_14default_configELb1EPKaPaPKlPlN2at6native12_GLOBAL__N_18offset_tEEE10hipError_tPvRmT1_PNSt15iterator_traitsIS12_E10value_typeET2_T3_PNS13_IS18_E10value_typeET4_jRbjT5_S1E_jjP12ihipStream_tbEUljE_ZNSN_ISO_Lb1ESQ_SR_ST_SU_SY_EESZ_S10_S11_S12_S16_S17_S18_S1B_S1C_jS1D_jS1E_S1E_jjS1G_bEUljE0_EEESZ_S10_S11_S18_S1C_S1E_T6_T7_T9_mT8_S1G_bDpT10_ENKUlT_T0_E_clISt17integral_constantIbLb0EES1U_EEDaS1P_S1Q_EUlS1P_E_NS1_11comp_targetILNS1_3genE0ELNS1_11target_archE4294967295ELNS1_3gpuE0ELNS1_3repE0EEENS1_30default_config_static_selectorELNS0_4arch9wavefront6targetE0EEEvS12_,comdat
	.globl	_ZN7rocprim17ROCPRIM_400000_NS6detail17trampoline_kernelINS0_13select_configILj256ELj13ELNS0_17block_load_methodE3ELS4_3ELS4_3ELNS0_20block_scan_algorithmE0ELj4294967295EEENS1_25partition_config_selectorILNS1_17partition_subalgoE4EjNS0_10empty_typeEbEEZZNS1_14partition_implILS8_4ELb0ES6_15HIP_vector_typeIjLj2EENS0_17counting_iteratorIjlEEPS9_SG_NS0_5tupleIJPjSI_NS0_16reverse_iteratorISI_EEEEENSH_IJSG_SG_SG_EEES9_SI_JZNS1_25segmented_radix_sort_implINS0_14default_configELb1EPKaPaPKlPlN2at6native12_GLOBAL__N_18offset_tEEE10hipError_tPvRmT1_PNSt15iterator_traitsIS12_E10value_typeET2_T3_PNS13_IS18_E10value_typeET4_jRbjT5_S1E_jjP12ihipStream_tbEUljE_ZNSN_ISO_Lb1ESQ_SR_ST_SU_SY_EESZ_S10_S11_S12_S16_S17_S18_S1B_S1C_jS1D_jS1E_S1E_jjS1G_bEUljE0_EEESZ_S10_S11_S18_S1C_S1E_T6_T7_T9_mT8_S1G_bDpT10_ENKUlT_T0_E_clISt17integral_constantIbLb0EES1U_EEDaS1P_S1Q_EUlS1P_E_NS1_11comp_targetILNS1_3genE0ELNS1_11target_archE4294967295ELNS1_3gpuE0ELNS1_3repE0EEENS1_30default_config_static_selectorELNS0_4arch9wavefront6targetE0EEEvS12_ ; -- Begin function _ZN7rocprim17ROCPRIM_400000_NS6detail17trampoline_kernelINS0_13select_configILj256ELj13ELNS0_17block_load_methodE3ELS4_3ELS4_3ELNS0_20block_scan_algorithmE0ELj4294967295EEENS1_25partition_config_selectorILNS1_17partition_subalgoE4EjNS0_10empty_typeEbEEZZNS1_14partition_implILS8_4ELb0ES6_15HIP_vector_typeIjLj2EENS0_17counting_iteratorIjlEEPS9_SG_NS0_5tupleIJPjSI_NS0_16reverse_iteratorISI_EEEEENSH_IJSG_SG_SG_EEES9_SI_JZNS1_25segmented_radix_sort_implINS0_14default_configELb1EPKaPaPKlPlN2at6native12_GLOBAL__N_18offset_tEEE10hipError_tPvRmT1_PNSt15iterator_traitsIS12_E10value_typeET2_T3_PNS13_IS18_E10value_typeET4_jRbjT5_S1E_jjP12ihipStream_tbEUljE_ZNSN_ISO_Lb1ESQ_SR_ST_SU_SY_EESZ_S10_S11_S12_S16_S17_S18_S1B_S1C_jS1D_jS1E_S1E_jjS1G_bEUljE0_EEESZ_S10_S11_S18_S1C_S1E_T6_T7_T9_mT8_S1G_bDpT10_ENKUlT_T0_E_clISt17integral_constantIbLb0EES1U_EEDaS1P_S1Q_EUlS1P_E_NS1_11comp_targetILNS1_3genE0ELNS1_11target_archE4294967295ELNS1_3gpuE0ELNS1_3repE0EEENS1_30default_config_static_selectorELNS0_4arch9wavefront6targetE0EEEvS12_
	.p2align	8
	.type	_ZN7rocprim17ROCPRIM_400000_NS6detail17trampoline_kernelINS0_13select_configILj256ELj13ELNS0_17block_load_methodE3ELS4_3ELS4_3ELNS0_20block_scan_algorithmE0ELj4294967295EEENS1_25partition_config_selectorILNS1_17partition_subalgoE4EjNS0_10empty_typeEbEEZZNS1_14partition_implILS8_4ELb0ES6_15HIP_vector_typeIjLj2EENS0_17counting_iteratorIjlEEPS9_SG_NS0_5tupleIJPjSI_NS0_16reverse_iteratorISI_EEEEENSH_IJSG_SG_SG_EEES9_SI_JZNS1_25segmented_radix_sort_implINS0_14default_configELb1EPKaPaPKlPlN2at6native12_GLOBAL__N_18offset_tEEE10hipError_tPvRmT1_PNSt15iterator_traitsIS12_E10value_typeET2_T3_PNS13_IS18_E10value_typeET4_jRbjT5_S1E_jjP12ihipStream_tbEUljE_ZNSN_ISO_Lb1ESQ_SR_ST_SU_SY_EESZ_S10_S11_S12_S16_S17_S18_S1B_S1C_jS1D_jS1E_S1E_jjS1G_bEUljE0_EEESZ_S10_S11_S18_S1C_S1E_T6_T7_T9_mT8_S1G_bDpT10_ENKUlT_T0_E_clISt17integral_constantIbLb0EES1U_EEDaS1P_S1Q_EUlS1P_E_NS1_11comp_targetILNS1_3genE0ELNS1_11target_archE4294967295ELNS1_3gpuE0ELNS1_3repE0EEENS1_30default_config_static_selectorELNS0_4arch9wavefront6targetE0EEEvS12_,@function
_ZN7rocprim17ROCPRIM_400000_NS6detail17trampoline_kernelINS0_13select_configILj256ELj13ELNS0_17block_load_methodE3ELS4_3ELS4_3ELNS0_20block_scan_algorithmE0ELj4294967295EEENS1_25partition_config_selectorILNS1_17partition_subalgoE4EjNS0_10empty_typeEbEEZZNS1_14partition_implILS8_4ELb0ES6_15HIP_vector_typeIjLj2EENS0_17counting_iteratorIjlEEPS9_SG_NS0_5tupleIJPjSI_NS0_16reverse_iteratorISI_EEEEENSH_IJSG_SG_SG_EEES9_SI_JZNS1_25segmented_radix_sort_implINS0_14default_configELb1EPKaPaPKlPlN2at6native12_GLOBAL__N_18offset_tEEE10hipError_tPvRmT1_PNSt15iterator_traitsIS12_E10value_typeET2_T3_PNS13_IS18_E10value_typeET4_jRbjT5_S1E_jjP12ihipStream_tbEUljE_ZNSN_ISO_Lb1ESQ_SR_ST_SU_SY_EESZ_S10_S11_S12_S16_S17_S18_S1B_S1C_jS1D_jS1E_S1E_jjS1G_bEUljE0_EEESZ_S10_S11_S18_S1C_S1E_T6_T7_T9_mT8_S1G_bDpT10_ENKUlT_T0_E_clISt17integral_constantIbLb0EES1U_EEDaS1P_S1Q_EUlS1P_E_NS1_11comp_targetILNS1_3genE0ELNS1_11target_archE4294967295ELNS1_3gpuE0ELNS1_3repE0EEENS1_30default_config_static_selectorELNS0_4arch9wavefront6targetE0EEEvS12_: ; @_ZN7rocprim17ROCPRIM_400000_NS6detail17trampoline_kernelINS0_13select_configILj256ELj13ELNS0_17block_load_methodE3ELS4_3ELS4_3ELNS0_20block_scan_algorithmE0ELj4294967295EEENS1_25partition_config_selectorILNS1_17partition_subalgoE4EjNS0_10empty_typeEbEEZZNS1_14partition_implILS8_4ELb0ES6_15HIP_vector_typeIjLj2EENS0_17counting_iteratorIjlEEPS9_SG_NS0_5tupleIJPjSI_NS0_16reverse_iteratorISI_EEEEENSH_IJSG_SG_SG_EEES9_SI_JZNS1_25segmented_radix_sort_implINS0_14default_configELb1EPKaPaPKlPlN2at6native12_GLOBAL__N_18offset_tEEE10hipError_tPvRmT1_PNSt15iterator_traitsIS12_E10value_typeET2_T3_PNS13_IS18_E10value_typeET4_jRbjT5_S1E_jjP12ihipStream_tbEUljE_ZNSN_ISO_Lb1ESQ_SR_ST_SU_SY_EESZ_S10_S11_S12_S16_S17_S18_S1B_S1C_jS1D_jS1E_S1E_jjS1G_bEUljE0_EEESZ_S10_S11_S18_S1C_S1E_T6_T7_T9_mT8_S1G_bDpT10_ENKUlT_T0_E_clISt17integral_constantIbLb0EES1U_EEDaS1P_S1Q_EUlS1P_E_NS1_11comp_targetILNS1_3genE0ELNS1_11target_archE4294967295ELNS1_3gpuE0ELNS1_3repE0EEENS1_30default_config_static_selectorELNS0_4arch9wavefront6targetE0EEEvS12_
; %bb.0:
	.section	.rodata,"a",@progbits
	.p2align	6, 0x0
	.amdhsa_kernel _ZN7rocprim17ROCPRIM_400000_NS6detail17trampoline_kernelINS0_13select_configILj256ELj13ELNS0_17block_load_methodE3ELS4_3ELS4_3ELNS0_20block_scan_algorithmE0ELj4294967295EEENS1_25partition_config_selectorILNS1_17partition_subalgoE4EjNS0_10empty_typeEbEEZZNS1_14partition_implILS8_4ELb0ES6_15HIP_vector_typeIjLj2EENS0_17counting_iteratorIjlEEPS9_SG_NS0_5tupleIJPjSI_NS0_16reverse_iteratorISI_EEEEENSH_IJSG_SG_SG_EEES9_SI_JZNS1_25segmented_radix_sort_implINS0_14default_configELb1EPKaPaPKlPlN2at6native12_GLOBAL__N_18offset_tEEE10hipError_tPvRmT1_PNSt15iterator_traitsIS12_E10value_typeET2_T3_PNS13_IS18_E10value_typeET4_jRbjT5_S1E_jjP12ihipStream_tbEUljE_ZNSN_ISO_Lb1ESQ_SR_ST_SU_SY_EESZ_S10_S11_S12_S16_S17_S18_S1B_S1C_jS1D_jS1E_S1E_jjS1G_bEUljE0_EEESZ_S10_S11_S18_S1C_S1E_T6_T7_T9_mT8_S1G_bDpT10_ENKUlT_T0_E_clISt17integral_constantIbLb0EES1U_EEDaS1P_S1Q_EUlS1P_E_NS1_11comp_targetILNS1_3genE0ELNS1_11target_archE4294967295ELNS1_3gpuE0ELNS1_3repE0EEENS1_30default_config_static_selectorELNS0_4arch9wavefront6targetE0EEEvS12_
		.amdhsa_group_segment_fixed_size 0
		.amdhsa_private_segment_fixed_size 0
		.amdhsa_kernarg_size 176
		.amdhsa_user_sgpr_count 2
		.amdhsa_user_sgpr_dispatch_ptr 0
		.amdhsa_user_sgpr_queue_ptr 0
		.amdhsa_user_sgpr_kernarg_segment_ptr 1
		.amdhsa_user_sgpr_dispatch_id 0
		.amdhsa_user_sgpr_private_segment_size 0
		.amdhsa_wavefront_size32 1
		.amdhsa_uses_dynamic_stack 0
		.amdhsa_enable_private_segment 0
		.amdhsa_system_sgpr_workgroup_id_x 1
		.amdhsa_system_sgpr_workgroup_id_y 0
		.amdhsa_system_sgpr_workgroup_id_z 0
		.amdhsa_system_sgpr_workgroup_info 0
		.amdhsa_system_vgpr_workitem_id 0
		.amdhsa_next_free_vgpr 1
		.amdhsa_next_free_sgpr 1
		.amdhsa_reserve_vcc 0
		.amdhsa_float_round_mode_32 0
		.amdhsa_float_round_mode_16_64 0
		.amdhsa_float_denorm_mode_32 3
		.amdhsa_float_denorm_mode_16_64 3
		.amdhsa_fp16_overflow 0
		.amdhsa_workgroup_processor_mode 1
		.amdhsa_memory_ordered 1
		.amdhsa_forward_progress 1
		.amdhsa_inst_pref_size 0
		.amdhsa_round_robin_scheduling 0
		.amdhsa_exception_fp_ieee_invalid_op 0
		.amdhsa_exception_fp_denorm_src 0
		.amdhsa_exception_fp_ieee_div_zero 0
		.amdhsa_exception_fp_ieee_overflow 0
		.amdhsa_exception_fp_ieee_underflow 0
		.amdhsa_exception_fp_ieee_inexact 0
		.amdhsa_exception_int_div_zero 0
	.end_amdhsa_kernel
	.section	.text._ZN7rocprim17ROCPRIM_400000_NS6detail17trampoline_kernelINS0_13select_configILj256ELj13ELNS0_17block_load_methodE3ELS4_3ELS4_3ELNS0_20block_scan_algorithmE0ELj4294967295EEENS1_25partition_config_selectorILNS1_17partition_subalgoE4EjNS0_10empty_typeEbEEZZNS1_14partition_implILS8_4ELb0ES6_15HIP_vector_typeIjLj2EENS0_17counting_iteratorIjlEEPS9_SG_NS0_5tupleIJPjSI_NS0_16reverse_iteratorISI_EEEEENSH_IJSG_SG_SG_EEES9_SI_JZNS1_25segmented_radix_sort_implINS0_14default_configELb1EPKaPaPKlPlN2at6native12_GLOBAL__N_18offset_tEEE10hipError_tPvRmT1_PNSt15iterator_traitsIS12_E10value_typeET2_T3_PNS13_IS18_E10value_typeET4_jRbjT5_S1E_jjP12ihipStream_tbEUljE_ZNSN_ISO_Lb1ESQ_SR_ST_SU_SY_EESZ_S10_S11_S12_S16_S17_S18_S1B_S1C_jS1D_jS1E_S1E_jjS1G_bEUljE0_EEESZ_S10_S11_S18_S1C_S1E_T6_T7_T9_mT8_S1G_bDpT10_ENKUlT_T0_E_clISt17integral_constantIbLb0EES1U_EEDaS1P_S1Q_EUlS1P_E_NS1_11comp_targetILNS1_3genE0ELNS1_11target_archE4294967295ELNS1_3gpuE0ELNS1_3repE0EEENS1_30default_config_static_selectorELNS0_4arch9wavefront6targetE0EEEvS12_,"axG",@progbits,_ZN7rocprim17ROCPRIM_400000_NS6detail17trampoline_kernelINS0_13select_configILj256ELj13ELNS0_17block_load_methodE3ELS4_3ELS4_3ELNS0_20block_scan_algorithmE0ELj4294967295EEENS1_25partition_config_selectorILNS1_17partition_subalgoE4EjNS0_10empty_typeEbEEZZNS1_14partition_implILS8_4ELb0ES6_15HIP_vector_typeIjLj2EENS0_17counting_iteratorIjlEEPS9_SG_NS0_5tupleIJPjSI_NS0_16reverse_iteratorISI_EEEEENSH_IJSG_SG_SG_EEES9_SI_JZNS1_25segmented_radix_sort_implINS0_14default_configELb1EPKaPaPKlPlN2at6native12_GLOBAL__N_18offset_tEEE10hipError_tPvRmT1_PNSt15iterator_traitsIS12_E10value_typeET2_T3_PNS13_IS18_E10value_typeET4_jRbjT5_S1E_jjP12ihipStream_tbEUljE_ZNSN_ISO_Lb1ESQ_SR_ST_SU_SY_EESZ_S10_S11_S12_S16_S17_S18_S1B_S1C_jS1D_jS1E_S1E_jjS1G_bEUljE0_EEESZ_S10_S11_S18_S1C_S1E_T6_T7_T9_mT8_S1G_bDpT10_ENKUlT_T0_E_clISt17integral_constantIbLb0EES1U_EEDaS1P_S1Q_EUlS1P_E_NS1_11comp_targetILNS1_3genE0ELNS1_11target_archE4294967295ELNS1_3gpuE0ELNS1_3repE0EEENS1_30default_config_static_selectorELNS0_4arch9wavefront6targetE0EEEvS12_,comdat
.Lfunc_end226:
	.size	_ZN7rocprim17ROCPRIM_400000_NS6detail17trampoline_kernelINS0_13select_configILj256ELj13ELNS0_17block_load_methodE3ELS4_3ELS4_3ELNS0_20block_scan_algorithmE0ELj4294967295EEENS1_25partition_config_selectorILNS1_17partition_subalgoE4EjNS0_10empty_typeEbEEZZNS1_14partition_implILS8_4ELb0ES6_15HIP_vector_typeIjLj2EENS0_17counting_iteratorIjlEEPS9_SG_NS0_5tupleIJPjSI_NS0_16reverse_iteratorISI_EEEEENSH_IJSG_SG_SG_EEES9_SI_JZNS1_25segmented_radix_sort_implINS0_14default_configELb1EPKaPaPKlPlN2at6native12_GLOBAL__N_18offset_tEEE10hipError_tPvRmT1_PNSt15iterator_traitsIS12_E10value_typeET2_T3_PNS13_IS18_E10value_typeET4_jRbjT5_S1E_jjP12ihipStream_tbEUljE_ZNSN_ISO_Lb1ESQ_SR_ST_SU_SY_EESZ_S10_S11_S12_S16_S17_S18_S1B_S1C_jS1D_jS1E_S1E_jjS1G_bEUljE0_EEESZ_S10_S11_S18_S1C_S1E_T6_T7_T9_mT8_S1G_bDpT10_ENKUlT_T0_E_clISt17integral_constantIbLb0EES1U_EEDaS1P_S1Q_EUlS1P_E_NS1_11comp_targetILNS1_3genE0ELNS1_11target_archE4294967295ELNS1_3gpuE0ELNS1_3repE0EEENS1_30default_config_static_selectorELNS0_4arch9wavefront6targetE0EEEvS12_, .Lfunc_end226-_ZN7rocprim17ROCPRIM_400000_NS6detail17trampoline_kernelINS0_13select_configILj256ELj13ELNS0_17block_load_methodE3ELS4_3ELS4_3ELNS0_20block_scan_algorithmE0ELj4294967295EEENS1_25partition_config_selectorILNS1_17partition_subalgoE4EjNS0_10empty_typeEbEEZZNS1_14partition_implILS8_4ELb0ES6_15HIP_vector_typeIjLj2EENS0_17counting_iteratorIjlEEPS9_SG_NS0_5tupleIJPjSI_NS0_16reverse_iteratorISI_EEEEENSH_IJSG_SG_SG_EEES9_SI_JZNS1_25segmented_radix_sort_implINS0_14default_configELb1EPKaPaPKlPlN2at6native12_GLOBAL__N_18offset_tEEE10hipError_tPvRmT1_PNSt15iterator_traitsIS12_E10value_typeET2_T3_PNS13_IS18_E10value_typeET4_jRbjT5_S1E_jjP12ihipStream_tbEUljE_ZNSN_ISO_Lb1ESQ_SR_ST_SU_SY_EESZ_S10_S11_S12_S16_S17_S18_S1B_S1C_jS1D_jS1E_S1E_jjS1G_bEUljE0_EEESZ_S10_S11_S18_S1C_S1E_T6_T7_T9_mT8_S1G_bDpT10_ENKUlT_T0_E_clISt17integral_constantIbLb0EES1U_EEDaS1P_S1Q_EUlS1P_E_NS1_11comp_targetILNS1_3genE0ELNS1_11target_archE4294967295ELNS1_3gpuE0ELNS1_3repE0EEENS1_30default_config_static_selectorELNS0_4arch9wavefront6targetE0EEEvS12_
                                        ; -- End function
	.set _ZN7rocprim17ROCPRIM_400000_NS6detail17trampoline_kernelINS0_13select_configILj256ELj13ELNS0_17block_load_methodE3ELS4_3ELS4_3ELNS0_20block_scan_algorithmE0ELj4294967295EEENS1_25partition_config_selectorILNS1_17partition_subalgoE4EjNS0_10empty_typeEbEEZZNS1_14partition_implILS8_4ELb0ES6_15HIP_vector_typeIjLj2EENS0_17counting_iteratorIjlEEPS9_SG_NS0_5tupleIJPjSI_NS0_16reverse_iteratorISI_EEEEENSH_IJSG_SG_SG_EEES9_SI_JZNS1_25segmented_radix_sort_implINS0_14default_configELb1EPKaPaPKlPlN2at6native12_GLOBAL__N_18offset_tEEE10hipError_tPvRmT1_PNSt15iterator_traitsIS12_E10value_typeET2_T3_PNS13_IS18_E10value_typeET4_jRbjT5_S1E_jjP12ihipStream_tbEUljE_ZNSN_ISO_Lb1ESQ_SR_ST_SU_SY_EESZ_S10_S11_S12_S16_S17_S18_S1B_S1C_jS1D_jS1E_S1E_jjS1G_bEUljE0_EEESZ_S10_S11_S18_S1C_S1E_T6_T7_T9_mT8_S1G_bDpT10_ENKUlT_T0_E_clISt17integral_constantIbLb0EES1U_EEDaS1P_S1Q_EUlS1P_E_NS1_11comp_targetILNS1_3genE0ELNS1_11target_archE4294967295ELNS1_3gpuE0ELNS1_3repE0EEENS1_30default_config_static_selectorELNS0_4arch9wavefront6targetE0EEEvS12_.num_vgpr, 0
	.set _ZN7rocprim17ROCPRIM_400000_NS6detail17trampoline_kernelINS0_13select_configILj256ELj13ELNS0_17block_load_methodE3ELS4_3ELS4_3ELNS0_20block_scan_algorithmE0ELj4294967295EEENS1_25partition_config_selectorILNS1_17partition_subalgoE4EjNS0_10empty_typeEbEEZZNS1_14partition_implILS8_4ELb0ES6_15HIP_vector_typeIjLj2EENS0_17counting_iteratorIjlEEPS9_SG_NS0_5tupleIJPjSI_NS0_16reverse_iteratorISI_EEEEENSH_IJSG_SG_SG_EEES9_SI_JZNS1_25segmented_radix_sort_implINS0_14default_configELb1EPKaPaPKlPlN2at6native12_GLOBAL__N_18offset_tEEE10hipError_tPvRmT1_PNSt15iterator_traitsIS12_E10value_typeET2_T3_PNS13_IS18_E10value_typeET4_jRbjT5_S1E_jjP12ihipStream_tbEUljE_ZNSN_ISO_Lb1ESQ_SR_ST_SU_SY_EESZ_S10_S11_S12_S16_S17_S18_S1B_S1C_jS1D_jS1E_S1E_jjS1G_bEUljE0_EEESZ_S10_S11_S18_S1C_S1E_T6_T7_T9_mT8_S1G_bDpT10_ENKUlT_T0_E_clISt17integral_constantIbLb0EES1U_EEDaS1P_S1Q_EUlS1P_E_NS1_11comp_targetILNS1_3genE0ELNS1_11target_archE4294967295ELNS1_3gpuE0ELNS1_3repE0EEENS1_30default_config_static_selectorELNS0_4arch9wavefront6targetE0EEEvS12_.num_agpr, 0
	.set _ZN7rocprim17ROCPRIM_400000_NS6detail17trampoline_kernelINS0_13select_configILj256ELj13ELNS0_17block_load_methodE3ELS4_3ELS4_3ELNS0_20block_scan_algorithmE0ELj4294967295EEENS1_25partition_config_selectorILNS1_17partition_subalgoE4EjNS0_10empty_typeEbEEZZNS1_14partition_implILS8_4ELb0ES6_15HIP_vector_typeIjLj2EENS0_17counting_iteratorIjlEEPS9_SG_NS0_5tupleIJPjSI_NS0_16reverse_iteratorISI_EEEEENSH_IJSG_SG_SG_EEES9_SI_JZNS1_25segmented_radix_sort_implINS0_14default_configELb1EPKaPaPKlPlN2at6native12_GLOBAL__N_18offset_tEEE10hipError_tPvRmT1_PNSt15iterator_traitsIS12_E10value_typeET2_T3_PNS13_IS18_E10value_typeET4_jRbjT5_S1E_jjP12ihipStream_tbEUljE_ZNSN_ISO_Lb1ESQ_SR_ST_SU_SY_EESZ_S10_S11_S12_S16_S17_S18_S1B_S1C_jS1D_jS1E_S1E_jjS1G_bEUljE0_EEESZ_S10_S11_S18_S1C_S1E_T6_T7_T9_mT8_S1G_bDpT10_ENKUlT_T0_E_clISt17integral_constantIbLb0EES1U_EEDaS1P_S1Q_EUlS1P_E_NS1_11comp_targetILNS1_3genE0ELNS1_11target_archE4294967295ELNS1_3gpuE0ELNS1_3repE0EEENS1_30default_config_static_selectorELNS0_4arch9wavefront6targetE0EEEvS12_.numbered_sgpr, 0
	.set _ZN7rocprim17ROCPRIM_400000_NS6detail17trampoline_kernelINS0_13select_configILj256ELj13ELNS0_17block_load_methodE3ELS4_3ELS4_3ELNS0_20block_scan_algorithmE0ELj4294967295EEENS1_25partition_config_selectorILNS1_17partition_subalgoE4EjNS0_10empty_typeEbEEZZNS1_14partition_implILS8_4ELb0ES6_15HIP_vector_typeIjLj2EENS0_17counting_iteratorIjlEEPS9_SG_NS0_5tupleIJPjSI_NS0_16reverse_iteratorISI_EEEEENSH_IJSG_SG_SG_EEES9_SI_JZNS1_25segmented_radix_sort_implINS0_14default_configELb1EPKaPaPKlPlN2at6native12_GLOBAL__N_18offset_tEEE10hipError_tPvRmT1_PNSt15iterator_traitsIS12_E10value_typeET2_T3_PNS13_IS18_E10value_typeET4_jRbjT5_S1E_jjP12ihipStream_tbEUljE_ZNSN_ISO_Lb1ESQ_SR_ST_SU_SY_EESZ_S10_S11_S12_S16_S17_S18_S1B_S1C_jS1D_jS1E_S1E_jjS1G_bEUljE0_EEESZ_S10_S11_S18_S1C_S1E_T6_T7_T9_mT8_S1G_bDpT10_ENKUlT_T0_E_clISt17integral_constantIbLb0EES1U_EEDaS1P_S1Q_EUlS1P_E_NS1_11comp_targetILNS1_3genE0ELNS1_11target_archE4294967295ELNS1_3gpuE0ELNS1_3repE0EEENS1_30default_config_static_selectorELNS0_4arch9wavefront6targetE0EEEvS12_.num_named_barrier, 0
	.set _ZN7rocprim17ROCPRIM_400000_NS6detail17trampoline_kernelINS0_13select_configILj256ELj13ELNS0_17block_load_methodE3ELS4_3ELS4_3ELNS0_20block_scan_algorithmE0ELj4294967295EEENS1_25partition_config_selectorILNS1_17partition_subalgoE4EjNS0_10empty_typeEbEEZZNS1_14partition_implILS8_4ELb0ES6_15HIP_vector_typeIjLj2EENS0_17counting_iteratorIjlEEPS9_SG_NS0_5tupleIJPjSI_NS0_16reverse_iteratorISI_EEEEENSH_IJSG_SG_SG_EEES9_SI_JZNS1_25segmented_radix_sort_implINS0_14default_configELb1EPKaPaPKlPlN2at6native12_GLOBAL__N_18offset_tEEE10hipError_tPvRmT1_PNSt15iterator_traitsIS12_E10value_typeET2_T3_PNS13_IS18_E10value_typeET4_jRbjT5_S1E_jjP12ihipStream_tbEUljE_ZNSN_ISO_Lb1ESQ_SR_ST_SU_SY_EESZ_S10_S11_S12_S16_S17_S18_S1B_S1C_jS1D_jS1E_S1E_jjS1G_bEUljE0_EEESZ_S10_S11_S18_S1C_S1E_T6_T7_T9_mT8_S1G_bDpT10_ENKUlT_T0_E_clISt17integral_constantIbLb0EES1U_EEDaS1P_S1Q_EUlS1P_E_NS1_11comp_targetILNS1_3genE0ELNS1_11target_archE4294967295ELNS1_3gpuE0ELNS1_3repE0EEENS1_30default_config_static_selectorELNS0_4arch9wavefront6targetE0EEEvS12_.private_seg_size, 0
	.set _ZN7rocprim17ROCPRIM_400000_NS6detail17trampoline_kernelINS0_13select_configILj256ELj13ELNS0_17block_load_methodE3ELS4_3ELS4_3ELNS0_20block_scan_algorithmE0ELj4294967295EEENS1_25partition_config_selectorILNS1_17partition_subalgoE4EjNS0_10empty_typeEbEEZZNS1_14partition_implILS8_4ELb0ES6_15HIP_vector_typeIjLj2EENS0_17counting_iteratorIjlEEPS9_SG_NS0_5tupleIJPjSI_NS0_16reverse_iteratorISI_EEEEENSH_IJSG_SG_SG_EEES9_SI_JZNS1_25segmented_radix_sort_implINS0_14default_configELb1EPKaPaPKlPlN2at6native12_GLOBAL__N_18offset_tEEE10hipError_tPvRmT1_PNSt15iterator_traitsIS12_E10value_typeET2_T3_PNS13_IS18_E10value_typeET4_jRbjT5_S1E_jjP12ihipStream_tbEUljE_ZNSN_ISO_Lb1ESQ_SR_ST_SU_SY_EESZ_S10_S11_S12_S16_S17_S18_S1B_S1C_jS1D_jS1E_S1E_jjS1G_bEUljE0_EEESZ_S10_S11_S18_S1C_S1E_T6_T7_T9_mT8_S1G_bDpT10_ENKUlT_T0_E_clISt17integral_constantIbLb0EES1U_EEDaS1P_S1Q_EUlS1P_E_NS1_11comp_targetILNS1_3genE0ELNS1_11target_archE4294967295ELNS1_3gpuE0ELNS1_3repE0EEENS1_30default_config_static_selectorELNS0_4arch9wavefront6targetE0EEEvS12_.uses_vcc, 0
	.set _ZN7rocprim17ROCPRIM_400000_NS6detail17trampoline_kernelINS0_13select_configILj256ELj13ELNS0_17block_load_methodE3ELS4_3ELS4_3ELNS0_20block_scan_algorithmE0ELj4294967295EEENS1_25partition_config_selectorILNS1_17partition_subalgoE4EjNS0_10empty_typeEbEEZZNS1_14partition_implILS8_4ELb0ES6_15HIP_vector_typeIjLj2EENS0_17counting_iteratorIjlEEPS9_SG_NS0_5tupleIJPjSI_NS0_16reverse_iteratorISI_EEEEENSH_IJSG_SG_SG_EEES9_SI_JZNS1_25segmented_radix_sort_implINS0_14default_configELb1EPKaPaPKlPlN2at6native12_GLOBAL__N_18offset_tEEE10hipError_tPvRmT1_PNSt15iterator_traitsIS12_E10value_typeET2_T3_PNS13_IS18_E10value_typeET4_jRbjT5_S1E_jjP12ihipStream_tbEUljE_ZNSN_ISO_Lb1ESQ_SR_ST_SU_SY_EESZ_S10_S11_S12_S16_S17_S18_S1B_S1C_jS1D_jS1E_S1E_jjS1G_bEUljE0_EEESZ_S10_S11_S18_S1C_S1E_T6_T7_T9_mT8_S1G_bDpT10_ENKUlT_T0_E_clISt17integral_constantIbLb0EES1U_EEDaS1P_S1Q_EUlS1P_E_NS1_11comp_targetILNS1_3genE0ELNS1_11target_archE4294967295ELNS1_3gpuE0ELNS1_3repE0EEENS1_30default_config_static_selectorELNS0_4arch9wavefront6targetE0EEEvS12_.uses_flat_scratch, 0
	.set _ZN7rocprim17ROCPRIM_400000_NS6detail17trampoline_kernelINS0_13select_configILj256ELj13ELNS0_17block_load_methodE3ELS4_3ELS4_3ELNS0_20block_scan_algorithmE0ELj4294967295EEENS1_25partition_config_selectorILNS1_17partition_subalgoE4EjNS0_10empty_typeEbEEZZNS1_14partition_implILS8_4ELb0ES6_15HIP_vector_typeIjLj2EENS0_17counting_iteratorIjlEEPS9_SG_NS0_5tupleIJPjSI_NS0_16reverse_iteratorISI_EEEEENSH_IJSG_SG_SG_EEES9_SI_JZNS1_25segmented_radix_sort_implINS0_14default_configELb1EPKaPaPKlPlN2at6native12_GLOBAL__N_18offset_tEEE10hipError_tPvRmT1_PNSt15iterator_traitsIS12_E10value_typeET2_T3_PNS13_IS18_E10value_typeET4_jRbjT5_S1E_jjP12ihipStream_tbEUljE_ZNSN_ISO_Lb1ESQ_SR_ST_SU_SY_EESZ_S10_S11_S12_S16_S17_S18_S1B_S1C_jS1D_jS1E_S1E_jjS1G_bEUljE0_EEESZ_S10_S11_S18_S1C_S1E_T6_T7_T9_mT8_S1G_bDpT10_ENKUlT_T0_E_clISt17integral_constantIbLb0EES1U_EEDaS1P_S1Q_EUlS1P_E_NS1_11comp_targetILNS1_3genE0ELNS1_11target_archE4294967295ELNS1_3gpuE0ELNS1_3repE0EEENS1_30default_config_static_selectorELNS0_4arch9wavefront6targetE0EEEvS12_.has_dyn_sized_stack, 0
	.set _ZN7rocprim17ROCPRIM_400000_NS6detail17trampoline_kernelINS0_13select_configILj256ELj13ELNS0_17block_load_methodE3ELS4_3ELS4_3ELNS0_20block_scan_algorithmE0ELj4294967295EEENS1_25partition_config_selectorILNS1_17partition_subalgoE4EjNS0_10empty_typeEbEEZZNS1_14partition_implILS8_4ELb0ES6_15HIP_vector_typeIjLj2EENS0_17counting_iteratorIjlEEPS9_SG_NS0_5tupleIJPjSI_NS0_16reverse_iteratorISI_EEEEENSH_IJSG_SG_SG_EEES9_SI_JZNS1_25segmented_radix_sort_implINS0_14default_configELb1EPKaPaPKlPlN2at6native12_GLOBAL__N_18offset_tEEE10hipError_tPvRmT1_PNSt15iterator_traitsIS12_E10value_typeET2_T3_PNS13_IS18_E10value_typeET4_jRbjT5_S1E_jjP12ihipStream_tbEUljE_ZNSN_ISO_Lb1ESQ_SR_ST_SU_SY_EESZ_S10_S11_S12_S16_S17_S18_S1B_S1C_jS1D_jS1E_S1E_jjS1G_bEUljE0_EEESZ_S10_S11_S18_S1C_S1E_T6_T7_T9_mT8_S1G_bDpT10_ENKUlT_T0_E_clISt17integral_constantIbLb0EES1U_EEDaS1P_S1Q_EUlS1P_E_NS1_11comp_targetILNS1_3genE0ELNS1_11target_archE4294967295ELNS1_3gpuE0ELNS1_3repE0EEENS1_30default_config_static_selectorELNS0_4arch9wavefront6targetE0EEEvS12_.has_recursion, 0
	.set _ZN7rocprim17ROCPRIM_400000_NS6detail17trampoline_kernelINS0_13select_configILj256ELj13ELNS0_17block_load_methodE3ELS4_3ELS4_3ELNS0_20block_scan_algorithmE0ELj4294967295EEENS1_25partition_config_selectorILNS1_17partition_subalgoE4EjNS0_10empty_typeEbEEZZNS1_14partition_implILS8_4ELb0ES6_15HIP_vector_typeIjLj2EENS0_17counting_iteratorIjlEEPS9_SG_NS0_5tupleIJPjSI_NS0_16reverse_iteratorISI_EEEEENSH_IJSG_SG_SG_EEES9_SI_JZNS1_25segmented_radix_sort_implINS0_14default_configELb1EPKaPaPKlPlN2at6native12_GLOBAL__N_18offset_tEEE10hipError_tPvRmT1_PNSt15iterator_traitsIS12_E10value_typeET2_T3_PNS13_IS18_E10value_typeET4_jRbjT5_S1E_jjP12ihipStream_tbEUljE_ZNSN_ISO_Lb1ESQ_SR_ST_SU_SY_EESZ_S10_S11_S12_S16_S17_S18_S1B_S1C_jS1D_jS1E_S1E_jjS1G_bEUljE0_EEESZ_S10_S11_S18_S1C_S1E_T6_T7_T9_mT8_S1G_bDpT10_ENKUlT_T0_E_clISt17integral_constantIbLb0EES1U_EEDaS1P_S1Q_EUlS1P_E_NS1_11comp_targetILNS1_3genE0ELNS1_11target_archE4294967295ELNS1_3gpuE0ELNS1_3repE0EEENS1_30default_config_static_selectorELNS0_4arch9wavefront6targetE0EEEvS12_.has_indirect_call, 0
	.section	.AMDGPU.csdata,"",@progbits
; Kernel info:
; codeLenInByte = 0
; TotalNumSgprs: 0
; NumVgprs: 0
; ScratchSize: 0
; MemoryBound: 0
; FloatMode: 240
; IeeeMode: 1
; LDSByteSize: 0 bytes/workgroup (compile time only)
; SGPRBlocks: 0
; VGPRBlocks: 0
; NumSGPRsForWavesPerEU: 1
; NumVGPRsForWavesPerEU: 1
; Occupancy: 16
; WaveLimiterHint : 0
; COMPUTE_PGM_RSRC2:SCRATCH_EN: 0
; COMPUTE_PGM_RSRC2:USER_SGPR: 2
; COMPUTE_PGM_RSRC2:TRAP_HANDLER: 0
; COMPUTE_PGM_RSRC2:TGID_X_EN: 1
; COMPUTE_PGM_RSRC2:TGID_Y_EN: 0
; COMPUTE_PGM_RSRC2:TGID_Z_EN: 0
; COMPUTE_PGM_RSRC2:TIDIG_COMP_CNT: 0
	.section	.text._ZN7rocprim17ROCPRIM_400000_NS6detail17trampoline_kernelINS0_13select_configILj256ELj13ELNS0_17block_load_methodE3ELS4_3ELS4_3ELNS0_20block_scan_algorithmE0ELj4294967295EEENS1_25partition_config_selectorILNS1_17partition_subalgoE4EjNS0_10empty_typeEbEEZZNS1_14partition_implILS8_4ELb0ES6_15HIP_vector_typeIjLj2EENS0_17counting_iteratorIjlEEPS9_SG_NS0_5tupleIJPjSI_NS0_16reverse_iteratorISI_EEEEENSH_IJSG_SG_SG_EEES9_SI_JZNS1_25segmented_radix_sort_implINS0_14default_configELb1EPKaPaPKlPlN2at6native12_GLOBAL__N_18offset_tEEE10hipError_tPvRmT1_PNSt15iterator_traitsIS12_E10value_typeET2_T3_PNS13_IS18_E10value_typeET4_jRbjT5_S1E_jjP12ihipStream_tbEUljE_ZNSN_ISO_Lb1ESQ_SR_ST_SU_SY_EESZ_S10_S11_S12_S16_S17_S18_S1B_S1C_jS1D_jS1E_S1E_jjS1G_bEUljE0_EEESZ_S10_S11_S18_S1C_S1E_T6_T7_T9_mT8_S1G_bDpT10_ENKUlT_T0_E_clISt17integral_constantIbLb0EES1U_EEDaS1P_S1Q_EUlS1P_E_NS1_11comp_targetILNS1_3genE5ELNS1_11target_archE942ELNS1_3gpuE9ELNS1_3repE0EEENS1_30default_config_static_selectorELNS0_4arch9wavefront6targetE0EEEvS12_,"axG",@progbits,_ZN7rocprim17ROCPRIM_400000_NS6detail17trampoline_kernelINS0_13select_configILj256ELj13ELNS0_17block_load_methodE3ELS4_3ELS4_3ELNS0_20block_scan_algorithmE0ELj4294967295EEENS1_25partition_config_selectorILNS1_17partition_subalgoE4EjNS0_10empty_typeEbEEZZNS1_14partition_implILS8_4ELb0ES6_15HIP_vector_typeIjLj2EENS0_17counting_iteratorIjlEEPS9_SG_NS0_5tupleIJPjSI_NS0_16reverse_iteratorISI_EEEEENSH_IJSG_SG_SG_EEES9_SI_JZNS1_25segmented_radix_sort_implINS0_14default_configELb1EPKaPaPKlPlN2at6native12_GLOBAL__N_18offset_tEEE10hipError_tPvRmT1_PNSt15iterator_traitsIS12_E10value_typeET2_T3_PNS13_IS18_E10value_typeET4_jRbjT5_S1E_jjP12ihipStream_tbEUljE_ZNSN_ISO_Lb1ESQ_SR_ST_SU_SY_EESZ_S10_S11_S12_S16_S17_S18_S1B_S1C_jS1D_jS1E_S1E_jjS1G_bEUljE0_EEESZ_S10_S11_S18_S1C_S1E_T6_T7_T9_mT8_S1G_bDpT10_ENKUlT_T0_E_clISt17integral_constantIbLb0EES1U_EEDaS1P_S1Q_EUlS1P_E_NS1_11comp_targetILNS1_3genE5ELNS1_11target_archE942ELNS1_3gpuE9ELNS1_3repE0EEENS1_30default_config_static_selectorELNS0_4arch9wavefront6targetE0EEEvS12_,comdat
	.globl	_ZN7rocprim17ROCPRIM_400000_NS6detail17trampoline_kernelINS0_13select_configILj256ELj13ELNS0_17block_load_methodE3ELS4_3ELS4_3ELNS0_20block_scan_algorithmE0ELj4294967295EEENS1_25partition_config_selectorILNS1_17partition_subalgoE4EjNS0_10empty_typeEbEEZZNS1_14partition_implILS8_4ELb0ES6_15HIP_vector_typeIjLj2EENS0_17counting_iteratorIjlEEPS9_SG_NS0_5tupleIJPjSI_NS0_16reverse_iteratorISI_EEEEENSH_IJSG_SG_SG_EEES9_SI_JZNS1_25segmented_radix_sort_implINS0_14default_configELb1EPKaPaPKlPlN2at6native12_GLOBAL__N_18offset_tEEE10hipError_tPvRmT1_PNSt15iterator_traitsIS12_E10value_typeET2_T3_PNS13_IS18_E10value_typeET4_jRbjT5_S1E_jjP12ihipStream_tbEUljE_ZNSN_ISO_Lb1ESQ_SR_ST_SU_SY_EESZ_S10_S11_S12_S16_S17_S18_S1B_S1C_jS1D_jS1E_S1E_jjS1G_bEUljE0_EEESZ_S10_S11_S18_S1C_S1E_T6_T7_T9_mT8_S1G_bDpT10_ENKUlT_T0_E_clISt17integral_constantIbLb0EES1U_EEDaS1P_S1Q_EUlS1P_E_NS1_11comp_targetILNS1_3genE5ELNS1_11target_archE942ELNS1_3gpuE9ELNS1_3repE0EEENS1_30default_config_static_selectorELNS0_4arch9wavefront6targetE0EEEvS12_ ; -- Begin function _ZN7rocprim17ROCPRIM_400000_NS6detail17trampoline_kernelINS0_13select_configILj256ELj13ELNS0_17block_load_methodE3ELS4_3ELS4_3ELNS0_20block_scan_algorithmE0ELj4294967295EEENS1_25partition_config_selectorILNS1_17partition_subalgoE4EjNS0_10empty_typeEbEEZZNS1_14partition_implILS8_4ELb0ES6_15HIP_vector_typeIjLj2EENS0_17counting_iteratorIjlEEPS9_SG_NS0_5tupleIJPjSI_NS0_16reverse_iteratorISI_EEEEENSH_IJSG_SG_SG_EEES9_SI_JZNS1_25segmented_radix_sort_implINS0_14default_configELb1EPKaPaPKlPlN2at6native12_GLOBAL__N_18offset_tEEE10hipError_tPvRmT1_PNSt15iterator_traitsIS12_E10value_typeET2_T3_PNS13_IS18_E10value_typeET4_jRbjT5_S1E_jjP12ihipStream_tbEUljE_ZNSN_ISO_Lb1ESQ_SR_ST_SU_SY_EESZ_S10_S11_S12_S16_S17_S18_S1B_S1C_jS1D_jS1E_S1E_jjS1G_bEUljE0_EEESZ_S10_S11_S18_S1C_S1E_T6_T7_T9_mT8_S1G_bDpT10_ENKUlT_T0_E_clISt17integral_constantIbLb0EES1U_EEDaS1P_S1Q_EUlS1P_E_NS1_11comp_targetILNS1_3genE5ELNS1_11target_archE942ELNS1_3gpuE9ELNS1_3repE0EEENS1_30default_config_static_selectorELNS0_4arch9wavefront6targetE0EEEvS12_
	.p2align	8
	.type	_ZN7rocprim17ROCPRIM_400000_NS6detail17trampoline_kernelINS0_13select_configILj256ELj13ELNS0_17block_load_methodE3ELS4_3ELS4_3ELNS0_20block_scan_algorithmE0ELj4294967295EEENS1_25partition_config_selectorILNS1_17partition_subalgoE4EjNS0_10empty_typeEbEEZZNS1_14partition_implILS8_4ELb0ES6_15HIP_vector_typeIjLj2EENS0_17counting_iteratorIjlEEPS9_SG_NS0_5tupleIJPjSI_NS0_16reverse_iteratorISI_EEEEENSH_IJSG_SG_SG_EEES9_SI_JZNS1_25segmented_radix_sort_implINS0_14default_configELb1EPKaPaPKlPlN2at6native12_GLOBAL__N_18offset_tEEE10hipError_tPvRmT1_PNSt15iterator_traitsIS12_E10value_typeET2_T3_PNS13_IS18_E10value_typeET4_jRbjT5_S1E_jjP12ihipStream_tbEUljE_ZNSN_ISO_Lb1ESQ_SR_ST_SU_SY_EESZ_S10_S11_S12_S16_S17_S18_S1B_S1C_jS1D_jS1E_S1E_jjS1G_bEUljE0_EEESZ_S10_S11_S18_S1C_S1E_T6_T7_T9_mT8_S1G_bDpT10_ENKUlT_T0_E_clISt17integral_constantIbLb0EES1U_EEDaS1P_S1Q_EUlS1P_E_NS1_11comp_targetILNS1_3genE5ELNS1_11target_archE942ELNS1_3gpuE9ELNS1_3repE0EEENS1_30default_config_static_selectorELNS0_4arch9wavefront6targetE0EEEvS12_,@function
_ZN7rocprim17ROCPRIM_400000_NS6detail17trampoline_kernelINS0_13select_configILj256ELj13ELNS0_17block_load_methodE3ELS4_3ELS4_3ELNS0_20block_scan_algorithmE0ELj4294967295EEENS1_25partition_config_selectorILNS1_17partition_subalgoE4EjNS0_10empty_typeEbEEZZNS1_14partition_implILS8_4ELb0ES6_15HIP_vector_typeIjLj2EENS0_17counting_iteratorIjlEEPS9_SG_NS0_5tupleIJPjSI_NS0_16reverse_iteratorISI_EEEEENSH_IJSG_SG_SG_EEES9_SI_JZNS1_25segmented_radix_sort_implINS0_14default_configELb1EPKaPaPKlPlN2at6native12_GLOBAL__N_18offset_tEEE10hipError_tPvRmT1_PNSt15iterator_traitsIS12_E10value_typeET2_T3_PNS13_IS18_E10value_typeET4_jRbjT5_S1E_jjP12ihipStream_tbEUljE_ZNSN_ISO_Lb1ESQ_SR_ST_SU_SY_EESZ_S10_S11_S12_S16_S17_S18_S1B_S1C_jS1D_jS1E_S1E_jjS1G_bEUljE0_EEESZ_S10_S11_S18_S1C_S1E_T6_T7_T9_mT8_S1G_bDpT10_ENKUlT_T0_E_clISt17integral_constantIbLb0EES1U_EEDaS1P_S1Q_EUlS1P_E_NS1_11comp_targetILNS1_3genE5ELNS1_11target_archE942ELNS1_3gpuE9ELNS1_3repE0EEENS1_30default_config_static_selectorELNS0_4arch9wavefront6targetE0EEEvS12_: ; @_ZN7rocprim17ROCPRIM_400000_NS6detail17trampoline_kernelINS0_13select_configILj256ELj13ELNS0_17block_load_methodE3ELS4_3ELS4_3ELNS0_20block_scan_algorithmE0ELj4294967295EEENS1_25partition_config_selectorILNS1_17partition_subalgoE4EjNS0_10empty_typeEbEEZZNS1_14partition_implILS8_4ELb0ES6_15HIP_vector_typeIjLj2EENS0_17counting_iteratorIjlEEPS9_SG_NS0_5tupleIJPjSI_NS0_16reverse_iteratorISI_EEEEENSH_IJSG_SG_SG_EEES9_SI_JZNS1_25segmented_radix_sort_implINS0_14default_configELb1EPKaPaPKlPlN2at6native12_GLOBAL__N_18offset_tEEE10hipError_tPvRmT1_PNSt15iterator_traitsIS12_E10value_typeET2_T3_PNS13_IS18_E10value_typeET4_jRbjT5_S1E_jjP12ihipStream_tbEUljE_ZNSN_ISO_Lb1ESQ_SR_ST_SU_SY_EESZ_S10_S11_S12_S16_S17_S18_S1B_S1C_jS1D_jS1E_S1E_jjS1G_bEUljE0_EEESZ_S10_S11_S18_S1C_S1E_T6_T7_T9_mT8_S1G_bDpT10_ENKUlT_T0_E_clISt17integral_constantIbLb0EES1U_EEDaS1P_S1Q_EUlS1P_E_NS1_11comp_targetILNS1_3genE5ELNS1_11target_archE942ELNS1_3gpuE9ELNS1_3repE0EEENS1_30default_config_static_selectorELNS0_4arch9wavefront6targetE0EEEvS12_
; %bb.0:
	.section	.rodata,"a",@progbits
	.p2align	6, 0x0
	.amdhsa_kernel _ZN7rocprim17ROCPRIM_400000_NS6detail17trampoline_kernelINS0_13select_configILj256ELj13ELNS0_17block_load_methodE3ELS4_3ELS4_3ELNS0_20block_scan_algorithmE0ELj4294967295EEENS1_25partition_config_selectorILNS1_17partition_subalgoE4EjNS0_10empty_typeEbEEZZNS1_14partition_implILS8_4ELb0ES6_15HIP_vector_typeIjLj2EENS0_17counting_iteratorIjlEEPS9_SG_NS0_5tupleIJPjSI_NS0_16reverse_iteratorISI_EEEEENSH_IJSG_SG_SG_EEES9_SI_JZNS1_25segmented_radix_sort_implINS0_14default_configELb1EPKaPaPKlPlN2at6native12_GLOBAL__N_18offset_tEEE10hipError_tPvRmT1_PNSt15iterator_traitsIS12_E10value_typeET2_T3_PNS13_IS18_E10value_typeET4_jRbjT5_S1E_jjP12ihipStream_tbEUljE_ZNSN_ISO_Lb1ESQ_SR_ST_SU_SY_EESZ_S10_S11_S12_S16_S17_S18_S1B_S1C_jS1D_jS1E_S1E_jjS1G_bEUljE0_EEESZ_S10_S11_S18_S1C_S1E_T6_T7_T9_mT8_S1G_bDpT10_ENKUlT_T0_E_clISt17integral_constantIbLb0EES1U_EEDaS1P_S1Q_EUlS1P_E_NS1_11comp_targetILNS1_3genE5ELNS1_11target_archE942ELNS1_3gpuE9ELNS1_3repE0EEENS1_30default_config_static_selectorELNS0_4arch9wavefront6targetE0EEEvS12_
		.amdhsa_group_segment_fixed_size 0
		.amdhsa_private_segment_fixed_size 0
		.amdhsa_kernarg_size 176
		.amdhsa_user_sgpr_count 2
		.amdhsa_user_sgpr_dispatch_ptr 0
		.amdhsa_user_sgpr_queue_ptr 0
		.amdhsa_user_sgpr_kernarg_segment_ptr 1
		.amdhsa_user_sgpr_dispatch_id 0
		.amdhsa_user_sgpr_private_segment_size 0
		.amdhsa_wavefront_size32 1
		.amdhsa_uses_dynamic_stack 0
		.amdhsa_enable_private_segment 0
		.amdhsa_system_sgpr_workgroup_id_x 1
		.amdhsa_system_sgpr_workgroup_id_y 0
		.amdhsa_system_sgpr_workgroup_id_z 0
		.amdhsa_system_sgpr_workgroup_info 0
		.amdhsa_system_vgpr_workitem_id 0
		.amdhsa_next_free_vgpr 1
		.amdhsa_next_free_sgpr 1
		.amdhsa_reserve_vcc 0
		.amdhsa_float_round_mode_32 0
		.amdhsa_float_round_mode_16_64 0
		.amdhsa_float_denorm_mode_32 3
		.amdhsa_float_denorm_mode_16_64 3
		.amdhsa_fp16_overflow 0
		.amdhsa_workgroup_processor_mode 1
		.amdhsa_memory_ordered 1
		.amdhsa_forward_progress 1
		.amdhsa_inst_pref_size 0
		.amdhsa_round_robin_scheduling 0
		.amdhsa_exception_fp_ieee_invalid_op 0
		.amdhsa_exception_fp_denorm_src 0
		.amdhsa_exception_fp_ieee_div_zero 0
		.amdhsa_exception_fp_ieee_overflow 0
		.amdhsa_exception_fp_ieee_underflow 0
		.amdhsa_exception_fp_ieee_inexact 0
		.amdhsa_exception_int_div_zero 0
	.end_amdhsa_kernel
	.section	.text._ZN7rocprim17ROCPRIM_400000_NS6detail17trampoline_kernelINS0_13select_configILj256ELj13ELNS0_17block_load_methodE3ELS4_3ELS4_3ELNS0_20block_scan_algorithmE0ELj4294967295EEENS1_25partition_config_selectorILNS1_17partition_subalgoE4EjNS0_10empty_typeEbEEZZNS1_14partition_implILS8_4ELb0ES6_15HIP_vector_typeIjLj2EENS0_17counting_iteratorIjlEEPS9_SG_NS0_5tupleIJPjSI_NS0_16reverse_iteratorISI_EEEEENSH_IJSG_SG_SG_EEES9_SI_JZNS1_25segmented_radix_sort_implINS0_14default_configELb1EPKaPaPKlPlN2at6native12_GLOBAL__N_18offset_tEEE10hipError_tPvRmT1_PNSt15iterator_traitsIS12_E10value_typeET2_T3_PNS13_IS18_E10value_typeET4_jRbjT5_S1E_jjP12ihipStream_tbEUljE_ZNSN_ISO_Lb1ESQ_SR_ST_SU_SY_EESZ_S10_S11_S12_S16_S17_S18_S1B_S1C_jS1D_jS1E_S1E_jjS1G_bEUljE0_EEESZ_S10_S11_S18_S1C_S1E_T6_T7_T9_mT8_S1G_bDpT10_ENKUlT_T0_E_clISt17integral_constantIbLb0EES1U_EEDaS1P_S1Q_EUlS1P_E_NS1_11comp_targetILNS1_3genE5ELNS1_11target_archE942ELNS1_3gpuE9ELNS1_3repE0EEENS1_30default_config_static_selectorELNS0_4arch9wavefront6targetE0EEEvS12_,"axG",@progbits,_ZN7rocprim17ROCPRIM_400000_NS6detail17trampoline_kernelINS0_13select_configILj256ELj13ELNS0_17block_load_methodE3ELS4_3ELS4_3ELNS0_20block_scan_algorithmE0ELj4294967295EEENS1_25partition_config_selectorILNS1_17partition_subalgoE4EjNS0_10empty_typeEbEEZZNS1_14partition_implILS8_4ELb0ES6_15HIP_vector_typeIjLj2EENS0_17counting_iteratorIjlEEPS9_SG_NS0_5tupleIJPjSI_NS0_16reverse_iteratorISI_EEEEENSH_IJSG_SG_SG_EEES9_SI_JZNS1_25segmented_radix_sort_implINS0_14default_configELb1EPKaPaPKlPlN2at6native12_GLOBAL__N_18offset_tEEE10hipError_tPvRmT1_PNSt15iterator_traitsIS12_E10value_typeET2_T3_PNS13_IS18_E10value_typeET4_jRbjT5_S1E_jjP12ihipStream_tbEUljE_ZNSN_ISO_Lb1ESQ_SR_ST_SU_SY_EESZ_S10_S11_S12_S16_S17_S18_S1B_S1C_jS1D_jS1E_S1E_jjS1G_bEUljE0_EEESZ_S10_S11_S18_S1C_S1E_T6_T7_T9_mT8_S1G_bDpT10_ENKUlT_T0_E_clISt17integral_constantIbLb0EES1U_EEDaS1P_S1Q_EUlS1P_E_NS1_11comp_targetILNS1_3genE5ELNS1_11target_archE942ELNS1_3gpuE9ELNS1_3repE0EEENS1_30default_config_static_selectorELNS0_4arch9wavefront6targetE0EEEvS12_,comdat
.Lfunc_end227:
	.size	_ZN7rocprim17ROCPRIM_400000_NS6detail17trampoline_kernelINS0_13select_configILj256ELj13ELNS0_17block_load_methodE3ELS4_3ELS4_3ELNS0_20block_scan_algorithmE0ELj4294967295EEENS1_25partition_config_selectorILNS1_17partition_subalgoE4EjNS0_10empty_typeEbEEZZNS1_14partition_implILS8_4ELb0ES6_15HIP_vector_typeIjLj2EENS0_17counting_iteratorIjlEEPS9_SG_NS0_5tupleIJPjSI_NS0_16reverse_iteratorISI_EEEEENSH_IJSG_SG_SG_EEES9_SI_JZNS1_25segmented_radix_sort_implINS0_14default_configELb1EPKaPaPKlPlN2at6native12_GLOBAL__N_18offset_tEEE10hipError_tPvRmT1_PNSt15iterator_traitsIS12_E10value_typeET2_T3_PNS13_IS18_E10value_typeET4_jRbjT5_S1E_jjP12ihipStream_tbEUljE_ZNSN_ISO_Lb1ESQ_SR_ST_SU_SY_EESZ_S10_S11_S12_S16_S17_S18_S1B_S1C_jS1D_jS1E_S1E_jjS1G_bEUljE0_EEESZ_S10_S11_S18_S1C_S1E_T6_T7_T9_mT8_S1G_bDpT10_ENKUlT_T0_E_clISt17integral_constantIbLb0EES1U_EEDaS1P_S1Q_EUlS1P_E_NS1_11comp_targetILNS1_3genE5ELNS1_11target_archE942ELNS1_3gpuE9ELNS1_3repE0EEENS1_30default_config_static_selectorELNS0_4arch9wavefront6targetE0EEEvS12_, .Lfunc_end227-_ZN7rocprim17ROCPRIM_400000_NS6detail17trampoline_kernelINS0_13select_configILj256ELj13ELNS0_17block_load_methodE3ELS4_3ELS4_3ELNS0_20block_scan_algorithmE0ELj4294967295EEENS1_25partition_config_selectorILNS1_17partition_subalgoE4EjNS0_10empty_typeEbEEZZNS1_14partition_implILS8_4ELb0ES6_15HIP_vector_typeIjLj2EENS0_17counting_iteratorIjlEEPS9_SG_NS0_5tupleIJPjSI_NS0_16reverse_iteratorISI_EEEEENSH_IJSG_SG_SG_EEES9_SI_JZNS1_25segmented_radix_sort_implINS0_14default_configELb1EPKaPaPKlPlN2at6native12_GLOBAL__N_18offset_tEEE10hipError_tPvRmT1_PNSt15iterator_traitsIS12_E10value_typeET2_T3_PNS13_IS18_E10value_typeET4_jRbjT5_S1E_jjP12ihipStream_tbEUljE_ZNSN_ISO_Lb1ESQ_SR_ST_SU_SY_EESZ_S10_S11_S12_S16_S17_S18_S1B_S1C_jS1D_jS1E_S1E_jjS1G_bEUljE0_EEESZ_S10_S11_S18_S1C_S1E_T6_T7_T9_mT8_S1G_bDpT10_ENKUlT_T0_E_clISt17integral_constantIbLb0EES1U_EEDaS1P_S1Q_EUlS1P_E_NS1_11comp_targetILNS1_3genE5ELNS1_11target_archE942ELNS1_3gpuE9ELNS1_3repE0EEENS1_30default_config_static_selectorELNS0_4arch9wavefront6targetE0EEEvS12_
                                        ; -- End function
	.set _ZN7rocprim17ROCPRIM_400000_NS6detail17trampoline_kernelINS0_13select_configILj256ELj13ELNS0_17block_load_methodE3ELS4_3ELS4_3ELNS0_20block_scan_algorithmE0ELj4294967295EEENS1_25partition_config_selectorILNS1_17partition_subalgoE4EjNS0_10empty_typeEbEEZZNS1_14partition_implILS8_4ELb0ES6_15HIP_vector_typeIjLj2EENS0_17counting_iteratorIjlEEPS9_SG_NS0_5tupleIJPjSI_NS0_16reverse_iteratorISI_EEEEENSH_IJSG_SG_SG_EEES9_SI_JZNS1_25segmented_radix_sort_implINS0_14default_configELb1EPKaPaPKlPlN2at6native12_GLOBAL__N_18offset_tEEE10hipError_tPvRmT1_PNSt15iterator_traitsIS12_E10value_typeET2_T3_PNS13_IS18_E10value_typeET4_jRbjT5_S1E_jjP12ihipStream_tbEUljE_ZNSN_ISO_Lb1ESQ_SR_ST_SU_SY_EESZ_S10_S11_S12_S16_S17_S18_S1B_S1C_jS1D_jS1E_S1E_jjS1G_bEUljE0_EEESZ_S10_S11_S18_S1C_S1E_T6_T7_T9_mT8_S1G_bDpT10_ENKUlT_T0_E_clISt17integral_constantIbLb0EES1U_EEDaS1P_S1Q_EUlS1P_E_NS1_11comp_targetILNS1_3genE5ELNS1_11target_archE942ELNS1_3gpuE9ELNS1_3repE0EEENS1_30default_config_static_selectorELNS0_4arch9wavefront6targetE0EEEvS12_.num_vgpr, 0
	.set _ZN7rocprim17ROCPRIM_400000_NS6detail17trampoline_kernelINS0_13select_configILj256ELj13ELNS0_17block_load_methodE3ELS4_3ELS4_3ELNS0_20block_scan_algorithmE0ELj4294967295EEENS1_25partition_config_selectorILNS1_17partition_subalgoE4EjNS0_10empty_typeEbEEZZNS1_14partition_implILS8_4ELb0ES6_15HIP_vector_typeIjLj2EENS0_17counting_iteratorIjlEEPS9_SG_NS0_5tupleIJPjSI_NS0_16reverse_iteratorISI_EEEEENSH_IJSG_SG_SG_EEES9_SI_JZNS1_25segmented_radix_sort_implINS0_14default_configELb1EPKaPaPKlPlN2at6native12_GLOBAL__N_18offset_tEEE10hipError_tPvRmT1_PNSt15iterator_traitsIS12_E10value_typeET2_T3_PNS13_IS18_E10value_typeET4_jRbjT5_S1E_jjP12ihipStream_tbEUljE_ZNSN_ISO_Lb1ESQ_SR_ST_SU_SY_EESZ_S10_S11_S12_S16_S17_S18_S1B_S1C_jS1D_jS1E_S1E_jjS1G_bEUljE0_EEESZ_S10_S11_S18_S1C_S1E_T6_T7_T9_mT8_S1G_bDpT10_ENKUlT_T0_E_clISt17integral_constantIbLb0EES1U_EEDaS1P_S1Q_EUlS1P_E_NS1_11comp_targetILNS1_3genE5ELNS1_11target_archE942ELNS1_3gpuE9ELNS1_3repE0EEENS1_30default_config_static_selectorELNS0_4arch9wavefront6targetE0EEEvS12_.num_agpr, 0
	.set _ZN7rocprim17ROCPRIM_400000_NS6detail17trampoline_kernelINS0_13select_configILj256ELj13ELNS0_17block_load_methodE3ELS4_3ELS4_3ELNS0_20block_scan_algorithmE0ELj4294967295EEENS1_25partition_config_selectorILNS1_17partition_subalgoE4EjNS0_10empty_typeEbEEZZNS1_14partition_implILS8_4ELb0ES6_15HIP_vector_typeIjLj2EENS0_17counting_iteratorIjlEEPS9_SG_NS0_5tupleIJPjSI_NS0_16reverse_iteratorISI_EEEEENSH_IJSG_SG_SG_EEES9_SI_JZNS1_25segmented_radix_sort_implINS0_14default_configELb1EPKaPaPKlPlN2at6native12_GLOBAL__N_18offset_tEEE10hipError_tPvRmT1_PNSt15iterator_traitsIS12_E10value_typeET2_T3_PNS13_IS18_E10value_typeET4_jRbjT5_S1E_jjP12ihipStream_tbEUljE_ZNSN_ISO_Lb1ESQ_SR_ST_SU_SY_EESZ_S10_S11_S12_S16_S17_S18_S1B_S1C_jS1D_jS1E_S1E_jjS1G_bEUljE0_EEESZ_S10_S11_S18_S1C_S1E_T6_T7_T9_mT8_S1G_bDpT10_ENKUlT_T0_E_clISt17integral_constantIbLb0EES1U_EEDaS1P_S1Q_EUlS1P_E_NS1_11comp_targetILNS1_3genE5ELNS1_11target_archE942ELNS1_3gpuE9ELNS1_3repE0EEENS1_30default_config_static_selectorELNS0_4arch9wavefront6targetE0EEEvS12_.numbered_sgpr, 0
	.set _ZN7rocprim17ROCPRIM_400000_NS6detail17trampoline_kernelINS0_13select_configILj256ELj13ELNS0_17block_load_methodE3ELS4_3ELS4_3ELNS0_20block_scan_algorithmE0ELj4294967295EEENS1_25partition_config_selectorILNS1_17partition_subalgoE4EjNS0_10empty_typeEbEEZZNS1_14partition_implILS8_4ELb0ES6_15HIP_vector_typeIjLj2EENS0_17counting_iteratorIjlEEPS9_SG_NS0_5tupleIJPjSI_NS0_16reverse_iteratorISI_EEEEENSH_IJSG_SG_SG_EEES9_SI_JZNS1_25segmented_radix_sort_implINS0_14default_configELb1EPKaPaPKlPlN2at6native12_GLOBAL__N_18offset_tEEE10hipError_tPvRmT1_PNSt15iterator_traitsIS12_E10value_typeET2_T3_PNS13_IS18_E10value_typeET4_jRbjT5_S1E_jjP12ihipStream_tbEUljE_ZNSN_ISO_Lb1ESQ_SR_ST_SU_SY_EESZ_S10_S11_S12_S16_S17_S18_S1B_S1C_jS1D_jS1E_S1E_jjS1G_bEUljE0_EEESZ_S10_S11_S18_S1C_S1E_T6_T7_T9_mT8_S1G_bDpT10_ENKUlT_T0_E_clISt17integral_constantIbLb0EES1U_EEDaS1P_S1Q_EUlS1P_E_NS1_11comp_targetILNS1_3genE5ELNS1_11target_archE942ELNS1_3gpuE9ELNS1_3repE0EEENS1_30default_config_static_selectorELNS0_4arch9wavefront6targetE0EEEvS12_.num_named_barrier, 0
	.set _ZN7rocprim17ROCPRIM_400000_NS6detail17trampoline_kernelINS0_13select_configILj256ELj13ELNS0_17block_load_methodE3ELS4_3ELS4_3ELNS0_20block_scan_algorithmE0ELj4294967295EEENS1_25partition_config_selectorILNS1_17partition_subalgoE4EjNS0_10empty_typeEbEEZZNS1_14partition_implILS8_4ELb0ES6_15HIP_vector_typeIjLj2EENS0_17counting_iteratorIjlEEPS9_SG_NS0_5tupleIJPjSI_NS0_16reverse_iteratorISI_EEEEENSH_IJSG_SG_SG_EEES9_SI_JZNS1_25segmented_radix_sort_implINS0_14default_configELb1EPKaPaPKlPlN2at6native12_GLOBAL__N_18offset_tEEE10hipError_tPvRmT1_PNSt15iterator_traitsIS12_E10value_typeET2_T3_PNS13_IS18_E10value_typeET4_jRbjT5_S1E_jjP12ihipStream_tbEUljE_ZNSN_ISO_Lb1ESQ_SR_ST_SU_SY_EESZ_S10_S11_S12_S16_S17_S18_S1B_S1C_jS1D_jS1E_S1E_jjS1G_bEUljE0_EEESZ_S10_S11_S18_S1C_S1E_T6_T7_T9_mT8_S1G_bDpT10_ENKUlT_T0_E_clISt17integral_constantIbLb0EES1U_EEDaS1P_S1Q_EUlS1P_E_NS1_11comp_targetILNS1_3genE5ELNS1_11target_archE942ELNS1_3gpuE9ELNS1_3repE0EEENS1_30default_config_static_selectorELNS0_4arch9wavefront6targetE0EEEvS12_.private_seg_size, 0
	.set _ZN7rocprim17ROCPRIM_400000_NS6detail17trampoline_kernelINS0_13select_configILj256ELj13ELNS0_17block_load_methodE3ELS4_3ELS4_3ELNS0_20block_scan_algorithmE0ELj4294967295EEENS1_25partition_config_selectorILNS1_17partition_subalgoE4EjNS0_10empty_typeEbEEZZNS1_14partition_implILS8_4ELb0ES6_15HIP_vector_typeIjLj2EENS0_17counting_iteratorIjlEEPS9_SG_NS0_5tupleIJPjSI_NS0_16reverse_iteratorISI_EEEEENSH_IJSG_SG_SG_EEES9_SI_JZNS1_25segmented_radix_sort_implINS0_14default_configELb1EPKaPaPKlPlN2at6native12_GLOBAL__N_18offset_tEEE10hipError_tPvRmT1_PNSt15iterator_traitsIS12_E10value_typeET2_T3_PNS13_IS18_E10value_typeET4_jRbjT5_S1E_jjP12ihipStream_tbEUljE_ZNSN_ISO_Lb1ESQ_SR_ST_SU_SY_EESZ_S10_S11_S12_S16_S17_S18_S1B_S1C_jS1D_jS1E_S1E_jjS1G_bEUljE0_EEESZ_S10_S11_S18_S1C_S1E_T6_T7_T9_mT8_S1G_bDpT10_ENKUlT_T0_E_clISt17integral_constantIbLb0EES1U_EEDaS1P_S1Q_EUlS1P_E_NS1_11comp_targetILNS1_3genE5ELNS1_11target_archE942ELNS1_3gpuE9ELNS1_3repE0EEENS1_30default_config_static_selectorELNS0_4arch9wavefront6targetE0EEEvS12_.uses_vcc, 0
	.set _ZN7rocprim17ROCPRIM_400000_NS6detail17trampoline_kernelINS0_13select_configILj256ELj13ELNS0_17block_load_methodE3ELS4_3ELS4_3ELNS0_20block_scan_algorithmE0ELj4294967295EEENS1_25partition_config_selectorILNS1_17partition_subalgoE4EjNS0_10empty_typeEbEEZZNS1_14partition_implILS8_4ELb0ES6_15HIP_vector_typeIjLj2EENS0_17counting_iteratorIjlEEPS9_SG_NS0_5tupleIJPjSI_NS0_16reverse_iteratorISI_EEEEENSH_IJSG_SG_SG_EEES9_SI_JZNS1_25segmented_radix_sort_implINS0_14default_configELb1EPKaPaPKlPlN2at6native12_GLOBAL__N_18offset_tEEE10hipError_tPvRmT1_PNSt15iterator_traitsIS12_E10value_typeET2_T3_PNS13_IS18_E10value_typeET4_jRbjT5_S1E_jjP12ihipStream_tbEUljE_ZNSN_ISO_Lb1ESQ_SR_ST_SU_SY_EESZ_S10_S11_S12_S16_S17_S18_S1B_S1C_jS1D_jS1E_S1E_jjS1G_bEUljE0_EEESZ_S10_S11_S18_S1C_S1E_T6_T7_T9_mT8_S1G_bDpT10_ENKUlT_T0_E_clISt17integral_constantIbLb0EES1U_EEDaS1P_S1Q_EUlS1P_E_NS1_11comp_targetILNS1_3genE5ELNS1_11target_archE942ELNS1_3gpuE9ELNS1_3repE0EEENS1_30default_config_static_selectorELNS0_4arch9wavefront6targetE0EEEvS12_.uses_flat_scratch, 0
	.set _ZN7rocprim17ROCPRIM_400000_NS6detail17trampoline_kernelINS0_13select_configILj256ELj13ELNS0_17block_load_methodE3ELS4_3ELS4_3ELNS0_20block_scan_algorithmE0ELj4294967295EEENS1_25partition_config_selectorILNS1_17partition_subalgoE4EjNS0_10empty_typeEbEEZZNS1_14partition_implILS8_4ELb0ES6_15HIP_vector_typeIjLj2EENS0_17counting_iteratorIjlEEPS9_SG_NS0_5tupleIJPjSI_NS0_16reverse_iteratorISI_EEEEENSH_IJSG_SG_SG_EEES9_SI_JZNS1_25segmented_radix_sort_implINS0_14default_configELb1EPKaPaPKlPlN2at6native12_GLOBAL__N_18offset_tEEE10hipError_tPvRmT1_PNSt15iterator_traitsIS12_E10value_typeET2_T3_PNS13_IS18_E10value_typeET4_jRbjT5_S1E_jjP12ihipStream_tbEUljE_ZNSN_ISO_Lb1ESQ_SR_ST_SU_SY_EESZ_S10_S11_S12_S16_S17_S18_S1B_S1C_jS1D_jS1E_S1E_jjS1G_bEUljE0_EEESZ_S10_S11_S18_S1C_S1E_T6_T7_T9_mT8_S1G_bDpT10_ENKUlT_T0_E_clISt17integral_constantIbLb0EES1U_EEDaS1P_S1Q_EUlS1P_E_NS1_11comp_targetILNS1_3genE5ELNS1_11target_archE942ELNS1_3gpuE9ELNS1_3repE0EEENS1_30default_config_static_selectorELNS0_4arch9wavefront6targetE0EEEvS12_.has_dyn_sized_stack, 0
	.set _ZN7rocprim17ROCPRIM_400000_NS6detail17trampoline_kernelINS0_13select_configILj256ELj13ELNS0_17block_load_methodE3ELS4_3ELS4_3ELNS0_20block_scan_algorithmE0ELj4294967295EEENS1_25partition_config_selectorILNS1_17partition_subalgoE4EjNS0_10empty_typeEbEEZZNS1_14partition_implILS8_4ELb0ES6_15HIP_vector_typeIjLj2EENS0_17counting_iteratorIjlEEPS9_SG_NS0_5tupleIJPjSI_NS0_16reverse_iteratorISI_EEEEENSH_IJSG_SG_SG_EEES9_SI_JZNS1_25segmented_radix_sort_implINS0_14default_configELb1EPKaPaPKlPlN2at6native12_GLOBAL__N_18offset_tEEE10hipError_tPvRmT1_PNSt15iterator_traitsIS12_E10value_typeET2_T3_PNS13_IS18_E10value_typeET4_jRbjT5_S1E_jjP12ihipStream_tbEUljE_ZNSN_ISO_Lb1ESQ_SR_ST_SU_SY_EESZ_S10_S11_S12_S16_S17_S18_S1B_S1C_jS1D_jS1E_S1E_jjS1G_bEUljE0_EEESZ_S10_S11_S18_S1C_S1E_T6_T7_T9_mT8_S1G_bDpT10_ENKUlT_T0_E_clISt17integral_constantIbLb0EES1U_EEDaS1P_S1Q_EUlS1P_E_NS1_11comp_targetILNS1_3genE5ELNS1_11target_archE942ELNS1_3gpuE9ELNS1_3repE0EEENS1_30default_config_static_selectorELNS0_4arch9wavefront6targetE0EEEvS12_.has_recursion, 0
	.set _ZN7rocprim17ROCPRIM_400000_NS6detail17trampoline_kernelINS0_13select_configILj256ELj13ELNS0_17block_load_methodE3ELS4_3ELS4_3ELNS0_20block_scan_algorithmE0ELj4294967295EEENS1_25partition_config_selectorILNS1_17partition_subalgoE4EjNS0_10empty_typeEbEEZZNS1_14partition_implILS8_4ELb0ES6_15HIP_vector_typeIjLj2EENS0_17counting_iteratorIjlEEPS9_SG_NS0_5tupleIJPjSI_NS0_16reverse_iteratorISI_EEEEENSH_IJSG_SG_SG_EEES9_SI_JZNS1_25segmented_radix_sort_implINS0_14default_configELb1EPKaPaPKlPlN2at6native12_GLOBAL__N_18offset_tEEE10hipError_tPvRmT1_PNSt15iterator_traitsIS12_E10value_typeET2_T3_PNS13_IS18_E10value_typeET4_jRbjT5_S1E_jjP12ihipStream_tbEUljE_ZNSN_ISO_Lb1ESQ_SR_ST_SU_SY_EESZ_S10_S11_S12_S16_S17_S18_S1B_S1C_jS1D_jS1E_S1E_jjS1G_bEUljE0_EEESZ_S10_S11_S18_S1C_S1E_T6_T7_T9_mT8_S1G_bDpT10_ENKUlT_T0_E_clISt17integral_constantIbLb0EES1U_EEDaS1P_S1Q_EUlS1P_E_NS1_11comp_targetILNS1_3genE5ELNS1_11target_archE942ELNS1_3gpuE9ELNS1_3repE0EEENS1_30default_config_static_selectorELNS0_4arch9wavefront6targetE0EEEvS12_.has_indirect_call, 0
	.section	.AMDGPU.csdata,"",@progbits
; Kernel info:
; codeLenInByte = 0
; TotalNumSgprs: 0
; NumVgprs: 0
; ScratchSize: 0
; MemoryBound: 0
; FloatMode: 240
; IeeeMode: 1
; LDSByteSize: 0 bytes/workgroup (compile time only)
; SGPRBlocks: 0
; VGPRBlocks: 0
; NumSGPRsForWavesPerEU: 1
; NumVGPRsForWavesPerEU: 1
; Occupancy: 16
; WaveLimiterHint : 0
; COMPUTE_PGM_RSRC2:SCRATCH_EN: 0
; COMPUTE_PGM_RSRC2:USER_SGPR: 2
; COMPUTE_PGM_RSRC2:TRAP_HANDLER: 0
; COMPUTE_PGM_RSRC2:TGID_X_EN: 1
; COMPUTE_PGM_RSRC2:TGID_Y_EN: 0
; COMPUTE_PGM_RSRC2:TGID_Z_EN: 0
; COMPUTE_PGM_RSRC2:TIDIG_COMP_CNT: 0
	.section	.text._ZN7rocprim17ROCPRIM_400000_NS6detail17trampoline_kernelINS0_13select_configILj256ELj13ELNS0_17block_load_methodE3ELS4_3ELS4_3ELNS0_20block_scan_algorithmE0ELj4294967295EEENS1_25partition_config_selectorILNS1_17partition_subalgoE4EjNS0_10empty_typeEbEEZZNS1_14partition_implILS8_4ELb0ES6_15HIP_vector_typeIjLj2EENS0_17counting_iteratorIjlEEPS9_SG_NS0_5tupleIJPjSI_NS0_16reverse_iteratorISI_EEEEENSH_IJSG_SG_SG_EEES9_SI_JZNS1_25segmented_radix_sort_implINS0_14default_configELb1EPKaPaPKlPlN2at6native12_GLOBAL__N_18offset_tEEE10hipError_tPvRmT1_PNSt15iterator_traitsIS12_E10value_typeET2_T3_PNS13_IS18_E10value_typeET4_jRbjT5_S1E_jjP12ihipStream_tbEUljE_ZNSN_ISO_Lb1ESQ_SR_ST_SU_SY_EESZ_S10_S11_S12_S16_S17_S18_S1B_S1C_jS1D_jS1E_S1E_jjS1G_bEUljE0_EEESZ_S10_S11_S18_S1C_S1E_T6_T7_T9_mT8_S1G_bDpT10_ENKUlT_T0_E_clISt17integral_constantIbLb0EES1U_EEDaS1P_S1Q_EUlS1P_E_NS1_11comp_targetILNS1_3genE4ELNS1_11target_archE910ELNS1_3gpuE8ELNS1_3repE0EEENS1_30default_config_static_selectorELNS0_4arch9wavefront6targetE0EEEvS12_,"axG",@progbits,_ZN7rocprim17ROCPRIM_400000_NS6detail17trampoline_kernelINS0_13select_configILj256ELj13ELNS0_17block_load_methodE3ELS4_3ELS4_3ELNS0_20block_scan_algorithmE0ELj4294967295EEENS1_25partition_config_selectorILNS1_17partition_subalgoE4EjNS0_10empty_typeEbEEZZNS1_14partition_implILS8_4ELb0ES6_15HIP_vector_typeIjLj2EENS0_17counting_iteratorIjlEEPS9_SG_NS0_5tupleIJPjSI_NS0_16reverse_iteratorISI_EEEEENSH_IJSG_SG_SG_EEES9_SI_JZNS1_25segmented_radix_sort_implINS0_14default_configELb1EPKaPaPKlPlN2at6native12_GLOBAL__N_18offset_tEEE10hipError_tPvRmT1_PNSt15iterator_traitsIS12_E10value_typeET2_T3_PNS13_IS18_E10value_typeET4_jRbjT5_S1E_jjP12ihipStream_tbEUljE_ZNSN_ISO_Lb1ESQ_SR_ST_SU_SY_EESZ_S10_S11_S12_S16_S17_S18_S1B_S1C_jS1D_jS1E_S1E_jjS1G_bEUljE0_EEESZ_S10_S11_S18_S1C_S1E_T6_T7_T9_mT8_S1G_bDpT10_ENKUlT_T0_E_clISt17integral_constantIbLb0EES1U_EEDaS1P_S1Q_EUlS1P_E_NS1_11comp_targetILNS1_3genE4ELNS1_11target_archE910ELNS1_3gpuE8ELNS1_3repE0EEENS1_30default_config_static_selectorELNS0_4arch9wavefront6targetE0EEEvS12_,comdat
	.globl	_ZN7rocprim17ROCPRIM_400000_NS6detail17trampoline_kernelINS0_13select_configILj256ELj13ELNS0_17block_load_methodE3ELS4_3ELS4_3ELNS0_20block_scan_algorithmE0ELj4294967295EEENS1_25partition_config_selectorILNS1_17partition_subalgoE4EjNS0_10empty_typeEbEEZZNS1_14partition_implILS8_4ELb0ES6_15HIP_vector_typeIjLj2EENS0_17counting_iteratorIjlEEPS9_SG_NS0_5tupleIJPjSI_NS0_16reverse_iteratorISI_EEEEENSH_IJSG_SG_SG_EEES9_SI_JZNS1_25segmented_radix_sort_implINS0_14default_configELb1EPKaPaPKlPlN2at6native12_GLOBAL__N_18offset_tEEE10hipError_tPvRmT1_PNSt15iterator_traitsIS12_E10value_typeET2_T3_PNS13_IS18_E10value_typeET4_jRbjT5_S1E_jjP12ihipStream_tbEUljE_ZNSN_ISO_Lb1ESQ_SR_ST_SU_SY_EESZ_S10_S11_S12_S16_S17_S18_S1B_S1C_jS1D_jS1E_S1E_jjS1G_bEUljE0_EEESZ_S10_S11_S18_S1C_S1E_T6_T7_T9_mT8_S1G_bDpT10_ENKUlT_T0_E_clISt17integral_constantIbLb0EES1U_EEDaS1P_S1Q_EUlS1P_E_NS1_11comp_targetILNS1_3genE4ELNS1_11target_archE910ELNS1_3gpuE8ELNS1_3repE0EEENS1_30default_config_static_selectorELNS0_4arch9wavefront6targetE0EEEvS12_ ; -- Begin function _ZN7rocprim17ROCPRIM_400000_NS6detail17trampoline_kernelINS0_13select_configILj256ELj13ELNS0_17block_load_methodE3ELS4_3ELS4_3ELNS0_20block_scan_algorithmE0ELj4294967295EEENS1_25partition_config_selectorILNS1_17partition_subalgoE4EjNS0_10empty_typeEbEEZZNS1_14partition_implILS8_4ELb0ES6_15HIP_vector_typeIjLj2EENS0_17counting_iteratorIjlEEPS9_SG_NS0_5tupleIJPjSI_NS0_16reverse_iteratorISI_EEEEENSH_IJSG_SG_SG_EEES9_SI_JZNS1_25segmented_radix_sort_implINS0_14default_configELb1EPKaPaPKlPlN2at6native12_GLOBAL__N_18offset_tEEE10hipError_tPvRmT1_PNSt15iterator_traitsIS12_E10value_typeET2_T3_PNS13_IS18_E10value_typeET4_jRbjT5_S1E_jjP12ihipStream_tbEUljE_ZNSN_ISO_Lb1ESQ_SR_ST_SU_SY_EESZ_S10_S11_S12_S16_S17_S18_S1B_S1C_jS1D_jS1E_S1E_jjS1G_bEUljE0_EEESZ_S10_S11_S18_S1C_S1E_T6_T7_T9_mT8_S1G_bDpT10_ENKUlT_T0_E_clISt17integral_constantIbLb0EES1U_EEDaS1P_S1Q_EUlS1P_E_NS1_11comp_targetILNS1_3genE4ELNS1_11target_archE910ELNS1_3gpuE8ELNS1_3repE0EEENS1_30default_config_static_selectorELNS0_4arch9wavefront6targetE0EEEvS12_
	.p2align	8
	.type	_ZN7rocprim17ROCPRIM_400000_NS6detail17trampoline_kernelINS0_13select_configILj256ELj13ELNS0_17block_load_methodE3ELS4_3ELS4_3ELNS0_20block_scan_algorithmE0ELj4294967295EEENS1_25partition_config_selectorILNS1_17partition_subalgoE4EjNS0_10empty_typeEbEEZZNS1_14partition_implILS8_4ELb0ES6_15HIP_vector_typeIjLj2EENS0_17counting_iteratorIjlEEPS9_SG_NS0_5tupleIJPjSI_NS0_16reverse_iteratorISI_EEEEENSH_IJSG_SG_SG_EEES9_SI_JZNS1_25segmented_radix_sort_implINS0_14default_configELb1EPKaPaPKlPlN2at6native12_GLOBAL__N_18offset_tEEE10hipError_tPvRmT1_PNSt15iterator_traitsIS12_E10value_typeET2_T3_PNS13_IS18_E10value_typeET4_jRbjT5_S1E_jjP12ihipStream_tbEUljE_ZNSN_ISO_Lb1ESQ_SR_ST_SU_SY_EESZ_S10_S11_S12_S16_S17_S18_S1B_S1C_jS1D_jS1E_S1E_jjS1G_bEUljE0_EEESZ_S10_S11_S18_S1C_S1E_T6_T7_T9_mT8_S1G_bDpT10_ENKUlT_T0_E_clISt17integral_constantIbLb0EES1U_EEDaS1P_S1Q_EUlS1P_E_NS1_11comp_targetILNS1_3genE4ELNS1_11target_archE910ELNS1_3gpuE8ELNS1_3repE0EEENS1_30default_config_static_selectorELNS0_4arch9wavefront6targetE0EEEvS12_,@function
_ZN7rocprim17ROCPRIM_400000_NS6detail17trampoline_kernelINS0_13select_configILj256ELj13ELNS0_17block_load_methodE3ELS4_3ELS4_3ELNS0_20block_scan_algorithmE0ELj4294967295EEENS1_25partition_config_selectorILNS1_17partition_subalgoE4EjNS0_10empty_typeEbEEZZNS1_14partition_implILS8_4ELb0ES6_15HIP_vector_typeIjLj2EENS0_17counting_iteratorIjlEEPS9_SG_NS0_5tupleIJPjSI_NS0_16reverse_iteratorISI_EEEEENSH_IJSG_SG_SG_EEES9_SI_JZNS1_25segmented_radix_sort_implINS0_14default_configELb1EPKaPaPKlPlN2at6native12_GLOBAL__N_18offset_tEEE10hipError_tPvRmT1_PNSt15iterator_traitsIS12_E10value_typeET2_T3_PNS13_IS18_E10value_typeET4_jRbjT5_S1E_jjP12ihipStream_tbEUljE_ZNSN_ISO_Lb1ESQ_SR_ST_SU_SY_EESZ_S10_S11_S12_S16_S17_S18_S1B_S1C_jS1D_jS1E_S1E_jjS1G_bEUljE0_EEESZ_S10_S11_S18_S1C_S1E_T6_T7_T9_mT8_S1G_bDpT10_ENKUlT_T0_E_clISt17integral_constantIbLb0EES1U_EEDaS1P_S1Q_EUlS1P_E_NS1_11comp_targetILNS1_3genE4ELNS1_11target_archE910ELNS1_3gpuE8ELNS1_3repE0EEENS1_30default_config_static_selectorELNS0_4arch9wavefront6targetE0EEEvS12_: ; @_ZN7rocprim17ROCPRIM_400000_NS6detail17trampoline_kernelINS0_13select_configILj256ELj13ELNS0_17block_load_methodE3ELS4_3ELS4_3ELNS0_20block_scan_algorithmE0ELj4294967295EEENS1_25partition_config_selectorILNS1_17partition_subalgoE4EjNS0_10empty_typeEbEEZZNS1_14partition_implILS8_4ELb0ES6_15HIP_vector_typeIjLj2EENS0_17counting_iteratorIjlEEPS9_SG_NS0_5tupleIJPjSI_NS0_16reverse_iteratorISI_EEEEENSH_IJSG_SG_SG_EEES9_SI_JZNS1_25segmented_radix_sort_implINS0_14default_configELb1EPKaPaPKlPlN2at6native12_GLOBAL__N_18offset_tEEE10hipError_tPvRmT1_PNSt15iterator_traitsIS12_E10value_typeET2_T3_PNS13_IS18_E10value_typeET4_jRbjT5_S1E_jjP12ihipStream_tbEUljE_ZNSN_ISO_Lb1ESQ_SR_ST_SU_SY_EESZ_S10_S11_S12_S16_S17_S18_S1B_S1C_jS1D_jS1E_S1E_jjS1G_bEUljE0_EEESZ_S10_S11_S18_S1C_S1E_T6_T7_T9_mT8_S1G_bDpT10_ENKUlT_T0_E_clISt17integral_constantIbLb0EES1U_EEDaS1P_S1Q_EUlS1P_E_NS1_11comp_targetILNS1_3genE4ELNS1_11target_archE910ELNS1_3gpuE8ELNS1_3repE0EEENS1_30default_config_static_selectorELNS0_4arch9wavefront6targetE0EEEvS12_
; %bb.0:
	.section	.rodata,"a",@progbits
	.p2align	6, 0x0
	.amdhsa_kernel _ZN7rocprim17ROCPRIM_400000_NS6detail17trampoline_kernelINS0_13select_configILj256ELj13ELNS0_17block_load_methodE3ELS4_3ELS4_3ELNS0_20block_scan_algorithmE0ELj4294967295EEENS1_25partition_config_selectorILNS1_17partition_subalgoE4EjNS0_10empty_typeEbEEZZNS1_14partition_implILS8_4ELb0ES6_15HIP_vector_typeIjLj2EENS0_17counting_iteratorIjlEEPS9_SG_NS0_5tupleIJPjSI_NS0_16reverse_iteratorISI_EEEEENSH_IJSG_SG_SG_EEES9_SI_JZNS1_25segmented_radix_sort_implINS0_14default_configELb1EPKaPaPKlPlN2at6native12_GLOBAL__N_18offset_tEEE10hipError_tPvRmT1_PNSt15iterator_traitsIS12_E10value_typeET2_T3_PNS13_IS18_E10value_typeET4_jRbjT5_S1E_jjP12ihipStream_tbEUljE_ZNSN_ISO_Lb1ESQ_SR_ST_SU_SY_EESZ_S10_S11_S12_S16_S17_S18_S1B_S1C_jS1D_jS1E_S1E_jjS1G_bEUljE0_EEESZ_S10_S11_S18_S1C_S1E_T6_T7_T9_mT8_S1G_bDpT10_ENKUlT_T0_E_clISt17integral_constantIbLb0EES1U_EEDaS1P_S1Q_EUlS1P_E_NS1_11comp_targetILNS1_3genE4ELNS1_11target_archE910ELNS1_3gpuE8ELNS1_3repE0EEENS1_30default_config_static_selectorELNS0_4arch9wavefront6targetE0EEEvS12_
		.amdhsa_group_segment_fixed_size 0
		.amdhsa_private_segment_fixed_size 0
		.amdhsa_kernarg_size 176
		.amdhsa_user_sgpr_count 2
		.amdhsa_user_sgpr_dispatch_ptr 0
		.amdhsa_user_sgpr_queue_ptr 0
		.amdhsa_user_sgpr_kernarg_segment_ptr 1
		.amdhsa_user_sgpr_dispatch_id 0
		.amdhsa_user_sgpr_private_segment_size 0
		.amdhsa_wavefront_size32 1
		.amdhsa_uses_dynamic_stack 0
		.amdhsa_enable_private_segment 0
		.amdhsa_system_sgpr_workgroup_id_x 1
		.amdhsa_system_sgpr_workgroup_id_y 0
		.amdhsa_system_sgpr_workgroup_id_z 0
		.amdhsa_system_sgpr_workgroup_info 0
		.amdhsa_system_vgpr_workitem_id 0
		.amdhsa_next_free_vgpr 1
		.amdhsa_next_free_sgpr 1
		.amdhsa_reserve_vcc 0
		.amdhsa_float_round_mode_32 0
		.amdhsa_float_round_mode_16_64 0
		.amdhsa_float_denorm_mode_32 3
		.amdhsa_float_denorm_mode_16_64 3
		.amdhsa_fp16_overflow 0
		.amdhsa_workgroup_processor_mode 1
		.amdhsa_memory_ordered 1
		.amdhsa_forward_progress 1
		.amdhsa_inst_pref_size 0
		.amdhsa_round_robin_scheduling 0
		.amdhsa_exception_fp_ieee_invalid_op 0
		.amdhsa_exception_fp_denorm_src 0
		.amdhsa_exception_fp_ieee_div_zero 0
		.amdhsa_exception_fp_ieee_overflow 0
		.amdhsa_exception_fp_ieee_underflow 0
		.amdhsa_exception_fp_ieee_inexact 0
		.amdhsa_exception_int_div_zero 0
	.end_amdhsa_kernel
	.section	.text._ZN7rocprim17ROCPRIM_400000_NS6detail17trampoline_kernelINS0_13select_configILj256ELj13ELNS0_17block_load_methodE3ELS4_3ELS4_3ELNS0_20block_scan_algorithmE0ELj4294967295EEENS1_25partition_config_selectorILNS1_17partition_subalgoE4EjNS0_10empty_typeEbEEZZNS1_14partition_implILS8_4ELb0ES6_15HIP_vector_typeIjLj2EENS0_17counting_iteratorIjlEEPS9_SG_NS0_5tupleIJPjSI_NS0_16reverse_iteratorISI_EEEEENSH_IJSG_SG_SG_EEES9_SI_JZNS1_25segmented_radix_sort_implINS0_14default_configELb1EPKaPaPKlPlN2at6native12_GLOBAL__N_18offset_tEEE10hipError_tPvRmT1_PNSt15iterator_traitsIS12_E10value_typeET2_T3_PNS13_IS18_E10value_typeET4_jRbjT5_S1E_jjP12ihipStream_tbEUljE_ZNSN_ISO_Lb1ESQ_SR_ST_SU_SY_EESZ_S10_S11_S12_S16_S17_S18_S1B_S1C_jS1D_jS1E_S1E_jjS1G_bEUljE0_EEESZ_S10_S11_S18_S1C_S1E_T6_T7_T9_mT8_S1G_bDpT10_ENKUlT_T0_E_clISt17integral_constantIbLb0EES1U_EEDaS1P_S1Q_EUlS1P_E_NS1_11comp_targetILNS1_3genE4ELNS1_11target_archE910ELNS1_3gpuE8ELNS1_3repE0EEENS1_30default_config_static_selectorELNS0_4arch9wavefront6targetE0EEEvS12_,"axG",@progbits,_ZN7rocprim17ROCPRIM_400000_NS6detail17trampoline_kernelINS0_13select_configILj256ELj13ELNS0_17block_load_methodE3ELS4_3ELS4_3ELNS0_20block_scan_algorithmE0ELj4294967295EEENS1_25partition_config_selectorILNS1_17partition_subalgoE4EjNS0_10empty_typeEbEEZZNS1_14partition_implILS8_4ELb0ES6_15HIP_vector_typeIjLj2EENS0_17counting_iteratorIjlEEPS9_SG_NS0_5tupleIJPjSI_NS0_16reverse_iteratorISI_EEEEENSH_IJSG_SG_SG_EEES9_SI_JZNS1_25segmented_radix_sort_implINS0_14default_configELb1EPKaPaPKlPlN2at6native12_GLOBAL__N_18offset_tEEE10hipError_tPvRmT1_PNSt15iterator_traitsIS12_E10value_typeET2_T3_PNS13_IS18_E10value_typeET4_jRbjT5_S1E_jjP12ihipStream_tbEUljE_ZNSN_ISO_Lb1ESQ_SR_ST_SU_SY_EESZ_S10_S11_S12_S16_S17_S18_S1B_S1C_jS1D_jS1E_S1E_jjS1G_bEUljE0_EEESZ_S10_S11_S18_S1C_S1E_T6_T7_T9_mT8_S1G_bDpT10_ENKUlT_T0_E_clISt17integral_constantIbLb0EES1U_EEDaS1P_S1Q_EUlS1P_E_NS1_11comp_targetILNS1_3genE4ELNS1_11target_archE910ELNS1_3gpuE8ELNS1_3repE0EEENS1_30default_config_static_selectorELNS0_4arch9wavefront6targetE0EEEvS12_,comdat
.Lfunc_end228:
	.size	_ZN7rocprim17ROCPRIM_400000_NS6detail17trampoline_kernelINS0_13select_configILj256ELj13ELNS0_17block_load_methodE3ELS4_3ELS4_3ELNS0_20block_scan_algorithmE0ELj4294967295EEENS1_25partition_config_selectorILNS1_17partition_subalgoE4EjNS0_10empty_typeEbEEZZNS1_14partition_implILS8_4ELb0ES6_15HIP_vector_typeIjLj2EENS0_17counting_iteratorIjlEEPS9_SG_NS0_5tupleIJPjSI_NS0_16reverse_iteratorISI_EEEEENSH_IJSG_SG_SG_EEES9_SI_JZNS1_25segmented_radix_sort_implINS0_14default_configELb1EPKaPaPKlPlN2at6native12_GLOBAL__N_18offset_tEEE10hipError_tPvRmT1_PNSt15iterator_traitsIS12_E10value_typeET2_T3_PNS13_IS18_E10value_typeET4_jRbjT5_S1E_jjP12ihipStream_tbEUljE_ZNSN_ISO_Lb1ESQ_SR_ST_SU_SY_EESZ_S10_S11_S12_S16_S17_S18_S1B_S1C_jS1D_jS1E_S1E_jjS1G_bEUljE0_EEESZ_S10_S11_S18_S1C_S1E_T6_T7_T9_mT8_S1G_bDpT10_ENKUlT_T0_E_clISt17integral_constantIbLb0EES1U_EEDaS1P_S1Q_EUlS1P_E_NS1_11comp_targetILNS1_3genE4ELNS1_11target_archE910ELNS1_3gpuE8ELNS1_3repE0EEENS1_30default_config_static_selectorELNS0_4arch9wavefront6targetE0EEEvS12_, .Lfunc_end228-_ZN7rocprim17ROCPRIM_400000_NS6detail17trampoline_kernelINS0_13select_configILj256ELj13ELNS0_17block_load_methodE3ELS4_3ELS4_3ELNS0_20block_scan_algorithmE0ELj4294967295EEENS1_25partition_config_selectorILNS1_17partition_subalgoE4EjNS0_10empty_typeEbEEZZNS1_14partition_implILS8_4ELb0ES6_15HIP_vector_typeIjLj2EENS0_17counting_iteratorIjlEEPS9_SG_NS0_5tupleIJPjSI_NS0_16reverse_iteratorISI_EEEEENSH_IJSG_SG_SG_EEES9_SI_JZNS1_25segmented_radix_sort_implINS0_14default_configELb1EPKaPaPKlPlN2at6native12_GLOBAL__N_18offset_tEEE10hipError_tPvRmT1_PNSt15iterator_traitsIS12_E10value_typeET2_T3_PNS13_IS18_E10value_typeET4_jRbjT5_S1E_jjP12ihipStream_tbEUljE_ZNSN_ISO_Lb1ESQ_SR_ST_SU_SY_EESZ_S10_S11_S12_S16_S17_S18_S1B_S1C_jS1D_jS1E_S1E_jjS1G_bEUljE0_EEESZ_S10_S11_S18_S1C_S1E_T6_T7_T9_mT8_S1G_bDpT10_ENKUlT_T0_E_clISt17integral_constantIbLb0EES1U_EEDaS1P_S1Q_EUlS1P_E_NS1_11comp_targetILNS1_3genE4ELNS1_11target_archE910ELNS1_3gpuE8ELNS1_3repE0EEENS1_30default_config_static_selectorELNS0_4arch9wavefront6targetE0EEEvS12_
                                        ; -- End function
	.set _ZN7rocprim17ROCPRIM_400000_NS6detail17trampoline_kernelINS0_13select_configILj256ELj13ELNS0_17block_load_methodE3ELS4_3ELS4_3ELNS0_20block_scan_algorithmE0ELj4294967295EEENS1_25partition_config_selectorILNS1_17partition_subalgoE4EjNS0_10empty_typeEbEEZZNS1_14partition_implILS8_4ELb0ES6_15HIP_vector_typeIjLj2EENS0_17counting_iteratorIjlEEPS9_SG_NS0_5tupleIJPjSI_NS0_16reverse_iteratorISI_EEEEENSH_IJSG_SG_SG_EEES9_SI_JZNS1_25segmented_radix_sort_implINS0_14default_configELb1EPKaPaPKlPlN2at6native12_GLOBAL__N_18offset_tEEE10hipError_tPvRmT1_PNSt15iterator_traitsIS12_E10value_typeET2_T3_PNS13_IS18_E10value_typeET4_jRbjT5_S1E_jjP12ihipStream_tbEUljE_ZNSN_ISO_Lb1ESQ_SR_ST_SU_SY_EESZ_S10_S11_S12_S16_S17_S18_S1B_S1C_jS1D_jS1E_S1E_jjS1G_bEUljE0_EEESZ_S10_S11_S18_S1C_S1E_T6_T7_T9_mT8_S1G_bDpT10_ENKUlT_T0_E_clISt17integral_constantIbLb0EES1U_EEDaS1P_S1Q_EUlS1P_E_NS1_11comp_targetILNS1_3genE4ELNS1_11target_archE910ELNS1_3gpuE8ELNS1_3repE0EEENS1_30default_config_static_selectorELNS0_4arch9wavefront6targetE0EEEvS12_.num_vgpr, 0
	.set _ZN7rocprim17ROCPRIM_400000_NS6detail17trampoline_kernelINS0_13select_configILj256ELj13ELNS0_17block_load_methodE3ELS4_3ELS4_3ELNS0_20block_scan_algorithmE0ELj4294967295EEENS1_25partition_config_selectorILNS1_17partition_subalgoE4EjNS0_10empty_typeEbEEZZNS1_14partition_implILS8_4ELb0ES6_15HIP_vector_typeIjLj2EENS0_17counting_iteratorIjlEEPS9_SG_NS0_5tupleIJPjSI_NS0_16reverse_iteratorISI_EEEEENSH_IJSG_SG_SG_EEES9_SI_JZNS1_25segmented_radix_sort_implINS0_14default_configELb1EPKaPaPKlPlN2at6native12_GLOBAL__N_18offset_tEEE10hipError_tPvRmT1_PNSt15iterator_traitsIS12_E10value_typeET2_T3_PNS13_IS18_E10value_typeET4_jRbjT5_S1E_jjP12ihipStream_tbEUljE_ZNSN_ISO_Lb1ESQ_SR_ST_SU_SY_EESZ_S10_S11_S12_S16_S17_S18_S1B_S1C_jS1D_jS1E_S1E_jjS1G_bEUljE0_EEESZ_S10_S11_S18_S1C_S1E_T6_T7_T9_mT8_S1G_bDpT10_ENKUlT_T0_E_clISt17integral_constantIbLb0EES1U_EEDaS1P_S1Q_EUlS1P_E_NS1_11comp_targetILNS1_3genE4ELNS1_11target_archE910ELNS1_3gpuE8ELNS1_3repE0EEENS1_30default_config_static_selectorELNS0_4arch9wavefront6targetE0EEEvS12_.num_agpr, 0
	.set _ZN7rocprim17ROCPRIM_400000_NS6detail17trampoline_kernelINS0_13select_configILj256ELj13ELNS0_17block_load_methodE3ELS4_3ELS4_3ELNS0_20block_scan_algorithmE0ELj4294967295EEENS1_25partition_config_selectorILNS1_17partition_subalgoE4EjNS0_10empty_typeEbEEZZNS1_14partition_implILS8_4ELb0ES6_15HIP_vector_typeIjLj2EENS0_17counting_iteratorIjlEEPS9_SG_NS0_5tupleIJPjSI_NS0_16reverse_iteratorISI_EEEEENSH_IJSG_SG_SG_EEES9_SI_JZNS1_25segmented_radix_sort_implINS0_14default_configELb1EPKaPaPKlPlN2at6native12_GLOBAL__N_18offset_tEEE10hipError_tPvRmT1_PNSt15iterator_traitsIS12_E10value_typeET2_T3_PNS13_IS18_E10value_typeET4_jRbjT5_S1E_jjP12ihipStream_tbEUljE_ZNSN_ISO_Lb1ESQ_SR_ST_SU_SY_EESZ_S10_S11_S12_S16_S17_S18_S1B_S1C_jS1D_jS1E_S1E_jjS1G_bEUljE0_EEESZ_S10_S11_S18_S1C_S1E_T6_T7_T9_mT8_S1G_bDpT10_ENKUlT_T0_E_clISt17integral_constantIbLb0EES1U_EEDaS1P_S1Q_EUlS1P_E_NS1_11comp_targetILNS1_3genE4ELNS1_11target_archE910ELNS1_3gpuE8ELNS1_3repE0EEENS1_30default_config_static_selectorELNS0_4arch9wavefront6targetE0EEEvS12_.numbered_sgpr, 0
	.set _ZN7rocprim17ROCPRIM_400000_NS6detail17trampoline_kernelINS0_13select_configILj256ELj13ELNS0_17block_load_methodE3ELS4_3ELS4_3ELNS0_20block_scan_algorithmE0ELj4294967295EEENS1_25partition_config_selectorILNS1_17partition_subalgoE4EjNS0_10empty_typeEbEEZZNS1_14partition_implILS8_4ELb0ES6_15HIP_vector_typeIjLj2EENS0_17counting_iteratorIjlEEPS9_SG_NS0_5tupleIJPjSI_NS0_16reverse_iteratorISI_EEEEENSH_IJSG_SG_SG_EEES9_SI_JZNS1_25segmented_radix_sort_implINS0_14default_configELb1EPKaPaPKlPlN2at6native12_GLOBAL__N_18offset_tEEE10hipError_tPvRmT1_PNSt15iterator_traitsIS12_E10value_typeET2_T3_PNS13_IS18_E10value_typeET4_jRbjT5_S1E_jjP12ihipStream_tbEUljE_ZNSN_ISO_Lb1ESQ_SR_ST_SU_SY_EESZ_S10_S11_S12_S16_S17_S18_S1B_S1C_jS1D_jS1E_S1E_jjS1G_bEUljE0_EEESZ_S10_S11_S18_S1C_S1E_T6_T7_T9_mT8_S1G_bDpT10_ENKUlT_T0_E_clISt17integral_constantIbLb0EES1U_EEDaS1P_S1Q_EUlS1P_E_NS1_11comp_targetILNS1_3genE4ELNS1_11target_archE910ELNS1_3gpuE8ELNS1_3repE0EEENS1_30default_config_static_selectorELNS0_4arch9wavefront6targetE0EEEvS12_.num_named_barrier, 0
	.set _ZN7rocprim17ROCPRIM_400000_NS6detail17trampoline_kernelINS0_13select_configILj256ELj13ELNS0_17block_load_methodE3ELS4_3ELS4_3ELNS0_20block_scan_algorithmE0ELj4294967295EEENS1_25partition_config_selectorILNS1_17partition_subalgoE4EjNS0_10empty_typeEbEEZZNS1_14partition_implILS8_4ELb0ES6_15HIP_vector_typeIjLj2EENS0_17counting_iteratorIjlEEPS9_SG_NS0_5tupleIJPjSI_NS0_16reverse_iteratorISI_EEEEENSH_IJSG_SG_SG_EEES9_SI_JZNS1_25segmented_radix_sort_implINS0_14default_configELb1EPKaPaPKlPlN2at6native12_GLOBAL__N_18offset_tEEE10hipError_tPvRmT1_PNSt15iterator_traitsIS12_E10value_typeET2_T3_PNS13_IS18_E10value_typeET4_jRbjT5_S1E_jjP12ihipStream_tbEUljE_ZNSN_ISO_Lb1ESQ_SR_ST_SU_SY_EESZ_S10_S11_S12_S16_S17_S18_S1B_S1C_jS1D_jS1E_S1E_jjS1G_bEUljE0_EEESZ_S10_S11_S18_S1C_S1E_T6_T7_T9_mT8_S1G_bDpT10_ENKUlT_T0_E_clISt17integral_constantIbLb0EES1U_EEDaS1P_S1Q_EUlS1P_E_NS1_11comp_targetILNS1_3genE4ELNS1_11target_archE910ELNS1_3gpuE8ELNS1_3repE0EEENS1_30default_config_static_selectorELNS0_4arch9wavefront6targetE0EEEvS12_.private_seg_size, 0
	.set _ZN7rocprim17ROCPRIM_400000_NS6detail17trampoline_kernelINS0_13select_configILj256ELj13ELNS0_17block_load_methodE3ELS4_3ELS4_3ELNS0_20block_scan_algorithmE0ELj4294967295EEENS1_25partition_config_selectorILNS1_17partition_subalgoE4EjNS0_10empty_typeEbEEZZNS1_14partition_implILS8_4ELb0ES6_15HIP_vector_typeIjLj2EENS0_17counting_iteratorIjlEEPS9_SG_NS0_5tupleIJPjSI_NS0_16reverse_iteratorISI_EEEEENSH_IJSG_SG_SG_EEES9_SI_JZNS1_25segmented_radix_sort_implINS0_14default_configELb1EPKaPaPKlPlN2at6native12_GLOBAL__N_18offset_tEEE10hipError_tPvRmT1_PNSt15iterator_traitsIS12_E10value_typeET2_T3_PNS13_IS18_E10value_typeET4_jRbjT5_S1E_jjP12ihipStream_tbEUljE_ZNSN_ISO_Lb1ESQ_SR_ST_SU_SY_EESZ_S10_S11_S12_S16_S17_S18_S1B_S1C_jS1D_jS1E_S1E_jjS1G_bEUljE0_EEESZ_S10_S11_S18_S1C_S1E_T6_T7_T9_mT8_S1G_bDpT10_ENKUlT_T0_E_clISt17integral_constantIbLb0EES1U_EEDaS1P_S1Q_EUlS1P_E_NS1_11comp_targetILNS1_3genE4ELNS1_11target_archE910ELNS1_3gpuE8ELNS1_3repE0EEENS1_30default_config_static_selectorELNS0_4arch9wavefront6targetE0EEEvS12_.uses_vcc, 0
	.set _ZN7rocprim17ROCPRIM_400000_NS6detail17trampoline_kernelINS0_13select_configILj256ELj13ELNS0_17block_load_methodE3ELS4_3ELS4_3ELNS0_20block_scan_algorithmE0ELj4294967295EEENS1_25partition_config_selectorILNS1_17partition_subalgoE4EjNS0_10empty_typeEbEEZZNS1_14partition_implILS8_4ELb0ES6_15HIP_vector_typeIjLj2EENS0_17counting_iteratorIjlEEPS9_SG_NS0_5tupleIJPjSI_NS0_16reverse_iteratorISI_EEEEENSH_IJSG_SG_SG_EEES9_SI_JZNS1_25segmented_radix_sort_implINS0_14default_configELb1EPKaPaPKlPlN2at6native12_GLOBAL__N_18offset_tEEE10hipError_tPvRmT1_PNSt15iterator_traitsIS12_E10value_typeET2_T3_PNS13_IS18_E10value_typeET4_jRbjT5_S1E_jjP12ihipStream_tbEUljE_ZNSN_ISO_Lb1ESQ_SR_ST_SU_SY_EESZ_S10_S11_S12_S16_S17_S18_S1B_S1C_jS1D_jS1E_S1E_jjS1G_bEUljE0_EEESZ_S10_S11_S18_S1C_S1E_T6_T7_T9_mT8_S1G_bDpT10_ENKUlT_T0_E_clISt17integral_constantIbLb0EES1U_EEDaS1P_S1Q_EUlS1P_E_NS1_11comp_targetILNS1_3genE4ELNS1_11target_archE910ELNS1_3gpuE8ELNS1_3repE0EEENS1_30default_config_static_selectorELNS0_4arch9wavefront6targetE0EEEvS12_.uses_flat_scratch, 0
	.set _ZN7rocprim17ROCPRIM_400000_NS6detail17trampoline_kernelINS0_13select_configILj256ELj13ELNS0_17block_load_methodE3ELS4_3ELS4_3ELNS0_20block_scan_algorithmE0ELj4294967295EEENS1_25partition_config_selectorILNS1_17partition_subalgoE4EjNS0_10empty_typeEbEEZZNS1_14partition_implILS8_4ELb0ES6_15HIP_vector_typeIjLj2EENS0_17counting_iteratorIjlEEPS9_SG_NS0_5tupleIJPjSI_NS0_16reverse_iteratorISI_EEEEENSH_IJSG_SG_SG_EEES9_SI_JZNS1_25segmented_radix_sort_implINS0_14default_configELb1EPKaPaPKlPlN2at6native12_GLOBAL__N_18offset_tEEE10hipError_tPvRmT1_PNSt15iterator_traitsIS12_E10value_typeET2_T3_PNS13_IS18_E10value_typeET4_jRbjT5_S1E_jjP12ihipStream_tbEUljE_ZNSN_ISO_Lb1ESQ_SR_ST_SU_SY_EESZ_S10_S11_S12_S16_S17_S18_S1B_S1C_jS1D_jS1E_S1E_jjS1G_bEUljE0_EEESZ_S10_S11_S18_S1C_S1E_T6_T7_T9_mT8_S1G_bDpT10_ENKUlT_T0_E_clISt17integral_constantIbLb0EES1U_EEDaS1P_S1Q_EUlS1P_E_NS1_11comp_targetILNS1_3genE4ELNS1_11target_archE910ELNS1_3gpuE8ELNS1_3repE0EEENS1_30default_config_static_selectorELNS0_4arch9wavefront6targetE0EEEvS12_.has_dyn_sized_stack, 0
	.set _ZN7rocprim17ROCPRIM_400000_NS6detail17trampoline_kernelINS0_13select_configILj256ELj13ELNS0_17block_load_methodE3ELS4_3ELS4_3ELNS0_20block_scan_algorithmE0ELj4294967295EEENS1_25partition_config_selectorILNS1_17partition_subalgoE4EjNS0_10empty_typeEbEEZZNS1_14partition_implILS8_4ELb0ES6_15HIP_vector_typeIjLj2EENS0_17counting_iteratorIjlEEPS9_SG_NS0_5tupleIJPjSI_NS0_16reverse_iteratorISI_EEEEENSH_IJSG_SG_SG_EEES9_SI_JZNS1_25segmented_radix_sort_implINS0_14default_configELb1EPKaPaPKlPlN2at6native12_GLOBAL__N_18offset_tEEE10hipError_tPvRmT1_PNSt15iterator_traitsIS12_E10value_typeET2_T3_PNS13_IS18_E10value_typeET4_jRbjT5_S1E_jjP12ihipStream_tbEUljE_ZNSN_ISO_Lb1ESQ_SR_ST_SU_SY_EESZ_S10_S11_S12_S16_S17_S18_S1B_S1C_jS1D_jS1E_S1E_jjS1G_bEUljE0_EEESZ_S10_S11_S18_S1C_S1E_T6_T7_T9_mT8_S1G_bDpT10_ENKUlT_T0_E_clISt17integral_constantIbLb0EES1U_EEDaS1P_S1Q_EUlS1P_E_NS1_11comp_targetILNS1_3genE4ELNS1_11target_archE910ELNS1_3gpuE8ELNS1_3repE0EEENS1_30default_config_static_selectorELNS0_4arch9wavefront6targetE0EEEvS12_.has_recursion, 0
	.set _ZN7rocprim17ROCPRIM_400000_NS6detail17trampoline_kernelINS0_13select_configILj256ELj13ELNS0_17block_load_methodE3ELS4_3ELS4_3ELNS0_20block_scan_algorithmE0ELj4294967295EEENS1_25partition_config_selectorILNS1_17partition_subalgoE4EjNS0_10empty_typeEbEEZZNS1_14partition_implILS8_4ELb0ES6_15HIP_vector_typeIjLj2EENS0_17counting_iteratorIjlEEPS9_SG_NS0_5tupleIJPjSI_NS0_16reverse_iteratorISI_EEEEENSH_IJSG_SG_SG_EEES9_SI_JZNS1_25segmented_radix_sort_implINS0_14default_configELb1EPKaPaPKlPlN2at6native12_GLOBAL__N_18offset_tEEE10hipError_tPvRmT1_PNSt15iterator_traitsIS12_E10value_typeET2_T3_PNS13_IS18_E10value_typeET4_jRbjT5_S1E_jjP12ihipStream_tbEUljE_ZNSN_ISO_Lb1ESQ_SR_ST_SU_SY_EESZ_S10_S11_S12_S16_S17_S18_S1B_S1C_jS1D_jS1E_S1E_jjS1G_bEUljE0_EEESZ_S10_S11_S18_S1C_S1E_T6_T7_T9_mT8_S1G_bDpT10_ENKUlT_T0_E_clISt17integral_constantIbLb0EES1U_EEDaS1P_S1Q_EUlS1P_E_NS1_11comp_targetILNS1_3genE4ELNS1_11target_archE910ELNS1_3gpuE8ELNS1_3repE0EEENS1_30default_config_static_selectorELNS0_4arch9wavefront6targetE0EEEvS12_.has_indirect_call, 0
	.section	.AMDGPU.csdata,"",@progbits
; Kernel info:
; codeLenInByte = 0
; TotalNumSgprs: 0
; NumVgprs: 0
; ScratchSize: 0
; MemoryBound: 0
; FloatMode: 240
; IeeeMode: 1
; LDSByteSize: 0 bytes/workgroup (compile time only)
; SGPRBlocks: 0
; VGPRBlocks: 0
; NumSGPRsForWavesPerEU: 1
; NumVGPRsForWavesPerEU: 1
; Occupancy: 16
; WaveLimiterHint : 0
; COMPUTE_PGM_RSRC2:SCRATCH_EN: 0
; COMPUTE_PGM_RSRC2:USER_SGPR: 2
; COMPUTE_PGM_RSRC2:TRAP_HANDLER: 0
; COMPUTE_PGM_RSRC2:TGID_X_EN: 1
; COMPUTE_PGM_RSRC2:TGID_Y_EN: 0
; COMPUTE_PGM_RSRC2:TGID_Z_EN: 0
; COMPUTE_PGM_RSRC2:TIDIG_COMP_CNT: 0
	.section	.text._ZN7rocprim17ROCPRIM_400000_NS6detail17trampoline_kernelINS0_13select_configILj256ELj13ELNS0_17block_load_methodE3ELS4_3ELS4_3ELNS0_20block_scan_algorithmE0ELj4294967295EEENS1_25partition_config_selectorILNS1_17partition_subalgoE4EjNS0_10empty_typeEbEEZZNS1_14partition_implILS8_4ELb0ES6_15HIP_vector_typeIjLj2EENS0_17counting_iteratorIjlEEPS9_SG_NS0_5tupleIJPjSI_NS0_16reverse_iteratorISI_EEEEENSH_IJSG_SG_SG_EEES9_SI_JZNS1_25segmented_radix_sort_implINS0_14default_configELb1EPKaPaPKlPlN2at6native12_GLOBAL__N_18offset_tEEE10hipError_tPvRmT1_PNSt15iterator_traitsIS12_E10value_typeET2_T3_PNS13_IS18_E10value_typeET4_jRbjT5_S1E_jjP12ihipStream_tbEUljE_ZNSN_ISO_Lb1ESQ_SR_ST_SU_SY_EESZ_S10_S11_S12_S16_S17_S18_S1B_S1C_jS1D_jS1E_S1E_jjS1G_bEUljE0_EEESZ_S10_S11_S18_S1C_S1E_T6_T7_T9_mT8_S1G_bDpT10_ENKUlT_T0_E_clISt17integral_constantIbLb0EES1U_EEDaS1P_S1Q_EUlS1P_E_NS1_11comp_targetILNS1_3genE3ELNS1_11target_archE908ELNS1_3gpuE7ELNS1_3repE0EEENS1_30default_config_static_selectorELNS0_4arch9wavefront6targetE0EEEvS12_,"axG",@progbits,_ZN7rocprim17ROCPRIM_400000_NS6detail17trampoline_kernelINS0_13select_configILj256ELj13ELNS0_17block_load_methodE3ELS4_3ELS4_3ELNS0_20block_scan_algorithmE0ELj4294967295EEENS1_25partition_config_selectorILNS1_17partition_subalgoE4EjNS0_10empty_typeEbEEZZNS1_14partition_implILS8_4ELb0ES6_15HIP_vector_typeIjLj2EENS0_17counting_iteratorIjlEEPS9_SG_NS0_5tupleIJPjSI_NS0_16reverse_iteratorISI_EEEEENSH_IJSG_SG_SG_EEES9_SI_JZNS1_25segmented_radix_sort_implINS0_14default_configELb1EPKaPaPKlPlN2at6native12_GLOBAL__N_18offset_tEEE10hipError_tPvRmT1_PNSt15iterator_traitsIS12_E10value_typeET2_T3_PNS13_IS18_E10value_typeET4_jRbjT5_S1E_jjP12ihipStream_tbEUljE_ZNSN_ISO_Lb1ESQ_SR_ST_SU_SY_EESZ_S10_S11_S12_S16_S17_S18_S1B_S1C_jS1D_jS1E_S1E_jjS1G_bEUljE0_EEESZ_S10_S11_S18_S1C_S1E_T6_T7_T9_mT8_S1G_bDpT10_ENKUlT_T0_E_clISt17integral_constantIbLb0EES1U_EEDaS1P_S1Q_EUlS1P_E_NS1_11comp_targetILNS1_3genE3ELNS1_11target_archE908ELNS1_3gpuE7ELNS1_3repE0EEENS1_30default_config_static_selectorELNS0_4arch9wavefront6targetE0EEEvS12_,comdat
	.globl	_ZN7rocprim17ROCPRIM_400000_NS6detail17trampoline_kernelINS0_13select_configILj256ELj13ELNS0_17block_load_methodE3ELS4_3ELS4_3ELNS0_20block_scan_algorithmE0ELj4294967295EEENS1_25partition_config_selectorILNS1_17partition_subalgoE4EjNS0_10empty_typeEbEEZZNS1_14partition_implILS8_4ELb0ES6_15HIP_vector_typeIjLj2EENS0_17counting_iteratorIjlEEPS9_SG_NS0_5tupleIJPjSI_NS0_16reverse_iteratorISI_EEEEENSH_IJSG_SG_SG_EEES9_SI_JZNS1_25segmented_radix_sort_implINS0_14default_configELb1EPKaPaPKlPlN2at6native12_GLOBAL__N_18offset_tEEE10hipError_tPvRmT1_PNSt15iterator_traitsIS12_E10value_typeET2_T3_PNS13_IS18_E10value_typeET4_jRbjT5_S1E_jjP12ihipStream_tbEUljE_ZNSN_ISO_Lb1ESQ_SR_ST_SU_SY_EESZ_S10_S11_S12_S16_S17_S18_S1B_S1C_jS1D_jS1E_S1E_jjS1G_bEUljE0_EEESZ_S10_S11_S18_S1C_S1E_T6_T7_T9_mT8_S1G_bDpT10_ENKUlT_T0_E_clISt17integral_constantIbLb0EES1U_EEDaS1P_S1Q_EUlS1P_E_NS1_11comp_targetILNS1_3genE3ELNS1_11target_archE908ELNS1_3gpuE7ELNS1_3repE0EEENS1_30default_config_static_selectorELNS0_4arch9wavefront6targetE0EEEvS12_ ; -- Begin function _ZN7rocprim17ROCPRIM_400000_NS6detail17trampoline_kernelINS0_13select_configILj256ELj13ELNS0_17block_load_methodE3ELS4_3ELS4_3ELNS0_20block_scan_algorithmE0ELj4294967295EEENS1_25partition_config_selectorILNS1_17partition_subalgoE4EjNS0_10empty_typeEbEEZZNS1_14partition_implILS8_4ELb0ES6_15HIP_vector_typeIjLj2EENS0_17counting_iteratorIjlEEPS9_SG_NS0_5tupleIJPjSI_NS0_16reverse_iteratorISI_EEEEENSH_IJSG_SG_SG_EEES9_SI_JZNS1_25segmented_radix_sort_implINS0_14default_configELb1EPKaPaPKlPlN2at6native12_GLOBAL__N_18offset_tEEE10hipError_tPvRmT1_PNSt15iterator_traitsIS12_E10value_typeET2_T3_PNS13_IS18_E10value_typeET4_jRbjT5_S1E_jjP12ihipStream_tbEUljE_ZNSN_ISO_Lb1ESQ_SR_ST_SU_SY_EESZ_S10_S11_S12_S16_S17_S18_S1B_S1C_jS1D_jS1E_S1E_jjS1G_bEUljE0_EEESZ_S10_S11_S18_S1C_S1E_T6_T7_T9_mT8_S1G_bDpT10_ENKUlT_T0_E_clISt17integral_constantIbLb0EES1U_EEDaS1P_S1Q_EUlS1P_E_NS1_11comp_targetILNS1_3genE3ELNS1_11target_archE908ELNS1_3gpuE7ELNS1_3repE0EEENS1_30default_config_static_selectorELNS0_4arch9wavefront6targetE0EEEvS12_
	.p2align	8
	.type	_ZN7rocprim17ROCPRIM_400000_NS6detail17trampoline_kernelINS0_13select_configILj256ELj13ELNS0_17block_load_methodE3ELS4_3ELS4_3ELNS0_20block_scan_algorithmE0ELj4294967295EEENS1_25partition_config_selectorILNS1_17partition_subalgoE4EjNS0_10empty_typeEbEEZZNS1_14partition_implILS8_4ELb0ES6_15HIP_vector_typeIjLj2EENS0_17counting_iteratorIjlEEPS9_SG_NS0_5tupleIJPjSI_NS0_16reverse_iteratorISI_EEEEENSH_IJSG_SG_SG_EEES9_SI_JZNS1_25segmented_radix_sort_implINS0_14default_configELb1EPKaPaPKlPlN2at6native12_GLOBAL__N_18offset_tEEE10hipError_tPvRmT1_PNSt15iterator_traitsIS12_E10value_typeET2_T3_PNS13_IS18_E10value_typeET4_jRbjT5_S1E_jjP12ihipStream_tbEUljE_ZNSN_ISO_Lb1ESQ_SR_ST_SU_SY_EESZ_S10_S11_S12_S16_S17_S18_S1B_S1C_jS1D_jS1E_S1E_jjS1G_bEUljE0_EEESZ_S10_S11_S18_S1C_S1E_T6_T7_T9_mT8_S1G_bDpT10_ENKUlT_T0_E_clISt17integral_constantIbLb0EES1U_EEDaS1P_S1Q_EUlS1P_E_NS1_11comp_targetILNS1_3genE3ELNS1_11target_archE908ELNS1_3gpuE7ELNS1_3repE0EEENS1_30default_config_static_selectorELNS0_4arch9wavefront6targetE0EEEvS12_,@function
_ZN7rocprim17ROCPRIM_400000_NS6detail17trampoline_kernelINS0_13select_configILj256ELj13ELNS0_17block_load_methodE3ELS4_3ELS4_3ELNS0_20block_scan_algorithmE0ELj4294967295EEENS1_25partition_config_selectorILNS1_17partition_subalgoE4EjNS0_10empty_typeEbEEZZNS1_14partition_implILS8_4ELb0ES6_15HIP_vector_typeIjLj2EENS0_17counting_iteratorIjlEEPS9_SG_NS0_5tupleIJPjSI_NS0_16reverse_iteratorISI_EEEEENSH_IJSG_SG_SG_EEES9_SI_JZNS1_25segmented_radix_sort_implINS0_14default_configELb1EPKaPaPKlPlN2at6native12_GLOBAL__N_18offset_tEEE10hipError_tPvRmT1_PNSt15iterator_traitsIS12_E10value_typeET2_T3_PNS13_IS18_E10value_typeET4_jRbjT5_S1E_jjP12ihipStream_tbEUljE_ZNSN_ISO_Lb1ESQ_SR_ST_SU_SY_EESZ_S10_S11_S12_S16_S17_S18_S1B_S1C_jS1D_jS1E_S1E_jjS1G_bEUljE0_EEESZ_S10_S11_S18_S1C_S1E_T6_T7_T9_mT8_S1G_bDpT10_ENKUlT_T0_E_clISt17integral_constantIbLb0EES1U_EEDaS1P_S1Q_EUlS1P_E_NS1_11comp_targetILNS1_3genE3ELNS1_11target_archE908ELNS1_3gpuE7ELNS1_3repE0EEENS1_30default_config_static_selectorELNS0_4arch9wavefront6targetE0EEEvS12_: ; @_ZN7rocprim17ROCPRIM_400000_NS6detail17trampoline_kernelINS0_13select_configILj256ELj13ELNS0_17block_load_methodE3ELS4_3ELS4_3ELNS0_20block_scan_algorithmE0ELj4294967295EEENS1_25partition_config_selectorILNS1_17partition_subalgoE4EjNS0_10empty_typeEbEEZZNS1_14partition_implILS8_4ELb0ES6_15HIP_vector_typeIjLj2EENS0_17counting_iteratorIjlEEPS9_SG_NS0_5tupleIJPjSI_NS0_16reverse_iteratorISI_EEEEENSH_IJSG_SG_SG_EEES9_SI_JZNS1_25segmented_radix_sort_implINS0_14default_configELb1EPKaPaPKlPlN2at6native12_GLOBAL__N_18offset_tEEE10hipError_tPvRmT1_PNSt15iterator_traitsIS12_E10value_typeET2_T3_PNS13_IS18_E10value_typeET4_jRbjT5_S1E_jjP12ihipStream_tbEUljE_ZNSN_ISO_Lb1ESQ_SR_ST_SU_SY_EESZ_S10_S11_S12_S16_S17_S18_S1B_S1C_jS1D_jS1E_S1E_jjS1G_bEUljE0_EEESZ_S10_S11_S18_S1C_S1E_T6_T7_T9_mT8_S1G_bDpT10_ENKUlT_T0_E_clISt17integral_constantIbLb0EES1U_EEDaS1P_S1Q_EUlS1P_E_NS1_11comp_targetILNS1_3genE3ELNS1_11target_archE908ELNS1_3gpuE7ELNS1_3repE0EEENS1_30default_config_static_selectorELNS0_4arch9wavefront6targetE0EEEvS12_
; %bb.0:
	.section	.rodata,"a",@progbits
	.p2align	6, 0x0
	.amdhsa_kernel _ZN7rocprim17ROCPRIM_400000_NS6detail17trampoline_kernelINS0_13select_configILj256ELj13ELNS0_17block_load_methodE3ELS4_3ELS4_3ELNS0_20block_scan_algorithmE0ELj4294967295EEENS1_25partition_config_selectorILNS1_17partition_subalgoE4EjNS0_10empty_typeEbEEZZNS1_14partition_implILS8_4ELb0ES6_15HIP_vector_typeIjLj2EENS0_17counting_iteratorIjlEEPS9_SG_NS0_5tupleIJPjSI_NS0_16reverse_iteratorISI_EEEEENSH_IJSG_SG_SG_EEES9_SI_JZNS1_25segmented_radix_sort_implINS0_14default_configELb1EPKaPaPKlPlN2at6native12_GLOBAL__N_18offset_tEEE10hipError_tPvRmT1_PNSt15iterator_traitsIS12_E10value_typeET2_T3_PNS13_IS18_E10value_typeET4_jRbjT5_S1E_jjP12ihipStream_tbEUljE_ZNSN_ISO_Lb1ESQ_SR_ST_SU_SY_EESZ_S10_S11_S12_S16_S17_S18_S1B_S1C_jS1D_jS1E_S1E_jjS1G_bEUljE0_EEESZ_S10_S11_S18_S1C_S1E_T6_T7_T9_mT8_S1G_bDpT10_ENKUlT_T0_E_clISt17integral_constantIbLb0EES1U_EEDaS1P_S1Q_EUlS1P_E_NS1_11comp_targetILNS1_3genE3ELNS1_11target_archE908ELNS1_3gpuE7ELNS1_3repE0EEENS1_30default_config_static_selectorELNS0_4arch9wavefront6targetE0EEEvS12_
		.amdhsa_group_segment_fixed_size 0
		.amdhsa_private_segment_fixed_size 0
		.amdhsa_kernarg_size 176
		.amdhsa_user_sgpr_count 2
		.amdhsa_user_sgpr_dispatch_ptr 0
		.amdhsa_user_sgpr_queue_ptr 0
		.amdhsa_user_sgpr_kernarg_segment_ptr 1
		.amdhsa_user_sgpr_dispatch_id 0
		.amdhsa_user_sgpr_private_segment_size 0
		.amdhsa_wavefront_size32 1
		.amdhsa_uses_dynamic_stack 0
		.amdhsa_enable_private_segment 0
		.amdhsa_system_sgpr_workgroup_id_x 1
		.amdhsa_system_sgpr_workgroup_id_y 0
		.amdhsa_system_sgpr_workgroup_id_z 0
		.amdhsa_system_sgpr_workgroup_info 0
		.amdhsa_system_vgpr_workitem_id 0
		.amdhsa_next_free_vgpr 1
		.amdhsa_next_free_sgpr 1
		.amdhsa_reserve_vcc 0
		.amdhsa_float_round_mode_32 0
		.amdhsa_float_round_mode_16_64 0
		.amdhsa_float_denorm_mode_32 3
		.amdhsa_float_denorm_mode_16_64 3
		.amdhsa_fp16_overflow 0
		.amdhsa_workgroup_processor_mode 1
		.amdhsa_memory_ordered 1
		.amdhsa_forward_progress 1
		.amdhsa_inst_pref_size 0
		.amdhsa_round_robin_scheduling 0
		.amdhsa_exception_fp_ieee_invalid_op 0
		.amdhsa_exception_fp_denorm_src 0
		.amdhsa_exception_fp_ieee_div_zero 0
		.amdhsa_exception_fp_ieee_overflow 0
		.amdhsa_exception_fp_ieee_underflow 0
		.amdhsa_exception_fp_ieee_inexact 0
		.amdhsa_exception_int_div_zero 0
	.end_amdhsa_kernel
	.section	.text._ZN7rocprim17ROCPRIM_400000_NS6detail17trampoline_kernelINS0_13select_configILj256ELj13ELNS0_17block_load_methodE3ELS4_3ELS4_3ELNS0_20block_scan_algorithmE0ELj4294967295EEENS1_25partition_config_selectorILNS1_17partition_subalgoE4EjNS0_10empty_typeEbEEZZNS1_14partition_implILS8_4ELb0ES6_15HIP_vector_typeIjLj2EENS0_17counting_iteratorIjlEEPS9_SG_NS0_5tupleIJPjSI_NS0_16reverse_iteratorISI_EEEEENSH_IJSG_SG_SG_EEES9_SI_JZNS1_25segmented_radix_sort_implINS0_14default_configELb1EPKaPaPKlPlN2at6native12_GLOBAL__N_18offset_tEEE10hipError_tPvRmT1_PNSt15iterator_traitsIS12_E10value_typeET2_T3_PNS13_IS18_E10value_typeET4_jRbjT5_S1E_jjP12ihipStream_tbEUljE_ZNSN_ISO_Lb1ESQ_SR_ST_SU_SY_EESZ_S10_S11_S12_S16_S17_S18_S1B_S1C_jS1D_jS1E_S1E_jjS1G_bEUljE0_EEESZ_S10_S11_S18_S1C_S1E_T6_T7_T9_mT8_S1G_bDpT10_ENKUlT_T0_E_clISt17integral_constantIbLb0EES1U_EEDaS1P_S1Q_EUlS1P_E_NS1_11comp_targetILNS1_3genE3ELNS1_11target_archE908ELNS1_3gpuE7ELNS1_3repE0EEENS1_30default_config_static_selectorELNS0_4arch9wavefront6targetE0EEEvS12_,"axG",@progbits,_ZN7rocprim17ROCPRIM_400000_NS6detail17trampoline_kernelINS0_13select_configILj256ELj13ELNS0_17block_load_methodE3ELS4_3ELS4_3ELNS0_20block_scan_algorithmE0ELj4294967295EEENS1_25partition_config_selectorILNS1_17partition_subalgoE4EjNS0_10empty_typeEbEEZZNS1_14partition_implILS8_4ELb0ES6_15HIP_vector_typeIjLj2EENS0_17counting_iteratorIjlEEPS9_SG_NS0_5tupleIJPjSI_NS0_16reverse_iteratorISI_EEEEENSH_IJSG_SG_SG_EEES9_SI_JZNS1_25segmented_radix_sort_implINS0_14default_configELb1EPKaPaPKlPlN2at6native12_GLOBAL__N_18offset_tEEE10hipError_tPvRmT1_PNSt15iterator_traitsIS12_E10value_typeET2_T3_PNS13_IS18_E10value_typeET4_jRbjT5_S1E_jjP12ihipStream_tbEUljE_ZNSN_ISO_Lb1ESQ_SR_ST_SU_SY_EESZ_S10_S11_S12_S16_S17_S18_S1B_S1C_jS1D_jS1E_S1E_jjS1G_bEUljE0_EEESZ_S10_S11_S18_S1C_S1E_T6_T7_T9_mT8_S1G_bDpT10_ENKUlT_T0_E_clISt17integral_constantIbLb0EES1U_EEDaS1P_S1Q_EUlS1P_E_NS1_11comp_targetILNS1_3genE3ELNS1_11target_archE908ELNS1_3gpuE7ELNS1_3repE0EEENS1_30default_config_static_selectorELNS0_4arch9wavefront6targetE0EEEvS12_,comdat
.Lfunc_end229:
	.size	_ZN7rocprim17ROCPRIM_400000_NS6detail17trampoline_kernelINS0_13select_configILj256ELj13ELNS0_17block_load_methodE3ELS4_3ELS4_3ELNS0_20block_scan_algorithmE0ELj4294967295EEENS1_25partition_config_selectorILNS1_17partition_subalgoE4EjNS0_10empty_typeEbEEZZNS1_14partition_implILS8_4ELb0ES6_15HIP_vector_typeIjLj2EENS0_17counting_iteratorIjlEEPS9_SG_NS0_5tupleIJPjSI_NS0_16reverse_iteratorISI_EEEEENSH_IJSG_SG_SG_EEES9_SI_JZNS1_25segmented_radix_sort_implINS0_14default_configELb1EPKaPaPKlPlN2at6native12_GLOBAL__N_18offset_tEEE10hipError_tPvRmT1_PNSt15iterator_traitsIS12_E10value_typeET2_T3_PNS13_IS18_E10value_typeET4_jRbjT5_S1E_jjP12ihipStream_tbEUljE_ZNSN_ISO_Lb1ESQ_SR_ST_SU_SY_EESZ_S10_S11_S12_S16_S17_S18_S1B_S1C_jS1D_jS1E_S1E_jjS1G_bEUljE0_EEESZ_S10_S11_S18_S1C_S1E_T6_T7_T9_mT8_S1G_bDpT10_ENKUlT_T0_E_clISt17integral_constantIbLb0EES1U_EEDaS1P_S1Q_EUlS1P_E_NS1_11comp_targetILNS1_3genE3ELNS1_11target_archE908ELNS1_3gpuE7ELNS1_3repE0EEENS1_30default_config_static_selectorELNS0_4arch9wavefront6targetE0EEEvS12_, .Lfunc_end229-_ZN7rocprim17ROCPRIM_400000_NS6detail17trampoline_kernelINS0_13select_configILj256ELj13ELNS0_17block_load_methodE3ELS4_3ELS4_3ELNS0_20block_scan_algorithmE0ELj4294967295EEENS1_25partition_config_selectorILNS1_17partition_subalgoE4EjNS0_10empty_typeEbEEZZNS1_14partition_implILS8_4ELb0ES6_15HIP_vector_typeIjLj2EENS0_17counting_iteratorIjlEEPS9_SG_NS0_5tupleIJPjSI_NS0_16reverse_iteratorISI_EEEEENSH_IJSG_SG_SG_EEES9_SI_JZNS1_25segmented_radix_sort_implINS0_14default_configELb1EPKaPaPKlPlN2at6native12_GLOBAL__N_18offset_tEEE10hipError_tPvRmT1_PNSt15iterator_traitsIS12_E10value_typeET2_T3_PNS13_IS18_E10value_typeET4_jRbjT5_S1E_jjP12ihipStream_tbEUljE_ZNSN_ISO_Lb1ESQ_SR_ST_SU_SY_EESZ_S10_S11_S12_S16_S17_S18_S1B_S1C_jS1D_jS1E_S1E_jjS1G_bEUljE0_EEESZ_S10_S11_S18_S1C_S1E_T6_T7_T9_mT8_S1G_bDpT10_ENKUlT_T0_E_clISt17integral_constantIbLb0EES1U_EEDaS1P_S1Q_EUlS1P_E_NS1_11comp_targetILNS1_3genE3ELNS1_11target_archE908ELNS1_3gpuE7ELNS1_3repE0EEENS1_30default_config_static_selectorELNS0_4arch9wavefront6targetE0EEEvS12_
                                        ; -- End function
	.set _ZN7rocprim17ROCPRIM_400000_NS6detail17trampoline_kernelINS0_13select_configILj256ELj13ELNS0_17block_load_methodE3ELS4_3ELS4_3ELNS0_20block_scan_algorithmE0ELj4294967295EEENS1_25partition_config_selectorILNS1_17partition_subalgoE4EjNS0_10empty_typeEbEEZZNS1_14partition_implILS8_4ELb0ES6_15HIP_vector_typeIjLj2EENS0_17counting_iteratorIjlEEPS9_SG_NS0_5tupleIJPjSI_NS0_16reverse_iteratorISI_EEEEENSH_IJSG_SG_SG_EEES9_SI_JZNS1_25segmented_radix_sort_implINS0_14default_configELb1EPKaPaPKlPlN2at6native12_GLOBAL__N_18offset_tEEE10hipError_tPvRmT1_PNSt15iterator_traitsIS12_E10value_typeET2_T3_PNS13_IS18_E10value_typeET4_jRbjT5_S1E_jjP12ihipStream_tbEUljE_ZNSN_ISO_Lb1ESQ_SR_ST_SU_SY_EESZ_S10_S11_S12_S16_S17_S18_S1B_S1C_jS1D_jS1E_S1E_jjS1G_bEUljE0_EEESZ_S10_S11_S18_S1C_S1E_T6_T7_T9_mT8_S1G_bDpT10_ENKUlT_T0_E_clISt17integral_constantIbLb0EES1U_EEDaS1P_S1Q_EUlS1P_E_NS1_11comp_targetILNS1_3genE3ELNS1_11target_archE908ELNS1_3gpuE7ELNS1_3repE0EEENS1_30default_config_static_selectorELNS0_4arch9wavefront6targetE0EEEvS12_.num_vgpr, 0
	.set _ZN7rocprim17ROCPRIM_400000_NS6detail17trampoline_kernelINS0_13select_configILj256ELj13ELNS0_17block_load_methodE3ELS4_3ELS4_3ELNS0_20block_scan_algorithmE0ELj4294967295EEENS1_25partition_config_selectorILNS1_17partition_subalgoE4EjNS0_10empty_typeEbEEZZNS1_14partition_implILS8_4ELb0ES6_15HIP_vector_typeIjLj2EENS0_17counting_iteratorIjlEEPS9_SG_NS0_5tupleIJPjSI_NS0_16reverse_iteratorISI_EEEEENSH_IJSG_SG_SG_EEES9_SI_JZNS1_25segmented_radix_sort_implINS0_14default_configELb1EPKaPaPKlPlN2at6native12_GLOBAL__N_18offset_tEEE10hipError_tPvRmT1_PNSt15iterator_traitsIS12_E10value_typeET2_T3_PNS13_IS18_E10value_typeET4_jRbjT5_S1E_jjP12ihipStream_tbEUljE_ZNSN_ISO_Lb1ESQ_SR_ST_SU_SY_EESZ_S10_S11_S12_S16_S17_S18_S1B_S1C_jS1D_jS1E_S1E_jjS1G_bEUljE0_EEESZ_S10_S11_S18_S1C_S1E_T6_T7_T9_mT8_S1G_bDpT10_ENKUlT_T0_E_clISt17integral_constantIbLb0EES1U_EEDaS1P_S1Q_EUlS1P_E_NS1_11comp_targetILNS1_3genE3ELNS1_11target_archE908ELNS1_3gpuE7ELNS1_3repE0EEENS1_30default_config_static_selectorELNS0_4arch9wavefront6targetE0EEEvS12_.num_agpr, 0
	.set _ZN7rocprim17ROCPRIM_400000_NS6detail17trampoline_kernelINS0_13select_configILj256ELj13ELNS0_17block_load_methodE3ELS4_3ELS4_3ELNS0_20block_scan_algorithmE0ELj4294967295EEENS1_25partition_config_selectorILNS1_17partition_subalgoE4EjNS0_10empty_typeEbEEZZNS1_14partition_implILS8_4ELb0ES6_15HIP_vector_typeIjLj2EENS0_17counting_iteratorIjlEEPS9_SG_NS0_5tupleIJPjSI_NS0_16reverse_iteratorISI_EEEEENSH_IJSG_SG_SG_EEES9_SI_JZNS1_25segmented_radix_sort_implINS0_14default_configELb1EPKaPaPKlPlN2at6native12_GLOBAL__N_18offset_tEEE10hipError_tPvRmT1_PNSt15iterator_traitsIS12_E10value_typeET2_T3_PNS13_IS18_E10value_typeET4_jRbjT5_S1E_jjP12ihipStream_tbEUljE_ZNSN_ISO_Lb1ESQ_SR_ST_SU_SY_EESZ_S10_S11_S12_S16_S17_S18_S1B_S1C_jS1D_jS1E_S1E_jjS1G_bEUljE0_EEESZ_S10_S11_S18_S1C_S1E_T6_T7_T9_mT8_S1G_bDpT10_ENKUlT_T0_E_clISt17integral_constantIbLb0EES1U_EEDaS1P_S1Q_EUlS1P_E_NS1_11comp_targetILNS1_3genE3ELNS1_11target_archE908ELNS1_3gpuE7ELNS1_3repE0EEENS1_30default_config_static_selectorELNS0_4arch9wavefront6targetE0EEEvS12_.numbered_sgpr, 0
	.set _ZN7rocprim17ROCPRIM_400000_NS6detail17trampoline_kernelINS0_13select_configILj256ELj13ELNS0_17block_load_methodE3ELS4_3ELS4_3ELNS0_20block_scan_algorithmE0ELj4294967295EEENS1_25partition_config_selectorILNS1_17partition_subalgoE4EjNS0_10empty_typeEbEEZZNS1_14partition_implILS8_4ELb0ES6_15HIP_vector_typeIjLj2EENS0_17counting_iteratorIjlEEPS9_SG_NS0_5tupleIJPjSI_NS0_16reverse_iteratorISI_EEEEENSH_IJSG_SG_SG_EEES9_SI_JZNS1_25segmented_radix_sort_implINS0_14default_configELb1EPKaPaPKlPlN2at6native12_GLOBAL__N_18offset_tEEE10hipError_tPvRmT1_PNSt15iterator_traitsIS12_E10value_typeET2_T3_PNS13_IS18_E10value_typeET4_jRbjT5_S1E_jjP12ihipStream_tbEUljE_ZNSN_ISO_Lb1ESQ_SR_ST_SU_SY_EESZ_S10_S11_S12_S16_S17_S18_S1B_S1C_jS1D_jS1E_S1E_jjS1G_bEUljE0_EEESZ_S10_S11_S18_S1C_S1E_T6_T7_T9_mT8_S1G_bDpT10_ENKUlT_T0_E_clISt17integral_constantIbLb0EES1U_EEDaS1P_S1Q_EUlS1P_E_NS1_11comp_targetILNS1_3genE3ELNS1_11target_archE908ELNS1_3gpuE7ELNS1_3repE0EEENS1_30default_config_static_selectorELNS0_4arch9wavefront6targetE0EEEvS12_.num_named_barrier, 0
	.set _ZN7rocprim17ROCPRIM_400000_NS6detail17trampoline_kernelINS0_13select_configILj256ELj13ELNS0_17block_load_methodE3ELS4_3ELS4_3ELNS0_20block_scan_algorithmE0ELj4294967295EEENS1_25partition_config_selectorILNS1_17partition_subalgoE4EjNS0_10empty_typeEbEEZZNS1_14partition_implILS8_4ELb0ES6_15HIP_vector_typeIjLj2EENS0_17counting_iteratorIjlEEPS9_SG_NS0_5tupleIJPjSI_NS0_16reverse_iteratorISI_EEEEENSH_IJSG_SG_SG_EEES9_SI_JZNS1_25segmented_radix_sort_implINS0_14default_configELb1EPKaPaPKlPlN2at6native12_GLOBAL__N_18offset_tEEE10hipError_tPvRmT1_PNSt15iterator_traitsIS12_E10value_typeET2_T3_PNS13_IS18_E10value_typeET4_jRbjT5_S1E_jjP12ihipStream_tbEUljE_ZNSN_ISO_Lb1ESQ_SR_ST_SU_SY_EESZ_S10_S11_S12_S16_S17_S18_S1B_S1C_jS1D_jS1E_S1E_jjS1G_bEUljE0_EEESZ_S10_S11_S18_S1C_S1E_T6_T7_T9_mT8_S1G_bDpT10_ENKUlT_T0_E_clISt17integral_constantIbLb0EES1U_EEDaS1P_S1Q_EUlS1P_E_NS1_11comp_targetILNS1_3genE3ELNS1_11target_archE908ELNS1_3gpuE7ELNS1_3repE0EEENS1_30default_config_static_selectorELNS0_4arch9wavefront6targetE0EEEvS12_.private_seg_size, 0
	.set _ZN7rocprim17ROCPRIM_400000_NS6detail17trampoline_kernelINS0_13select_configILj256ELj13ELNS0_17block_load_methodE3ELS4_3ELS4_3ELNS0_20block_scan_algorithmE0ELj4294967295EEENS1_25partition_config_selectorILNS1_17partition_subalgoE4EjNS0_10empty_typeEbEEZZNS1_14partition_implILS8_4ELb0ES6_15HIP_vector_typeIjLj2EENS0_17counting_iteratorIjlEEPS9_SG_NS0_5tupleIJPjSI_NS0_16reverse_iteratorISI_EEEEENSH_IJSG_SG_SG_EEES9_SI_JZNS1_25segmented_radix_sort_implINS0_14default_configELb1EPKaPaPKlPlN2at6native12_GLOBAL__N_18offset_tEEE10hipError_tPvRmT1_PNSt15iterator_traitsIS12_E10value_typeET2_T3_PNS13_IS18_E10value_typeET4_jRbjT5_S1E_jjP12ihipStream_tbEUljE_ZNSN_ISO_Lb1ESQ_SR_ST_SU_SY_EESZ_S10_S11_S12_S16_S17_S18_S1B_S1C_jS1D_jS1E_S1E_jjS1G_bEUljE0_EEESZ_S10_S11_S18_S1C_S1E_T6_T7_T9_mT8_S1G_bDpT10_ENKUlT_T0_E_clISt17integral_constantIbLb0EES1U_EEDaS1P_S1Q_EUlS1P_E_NS1_11comp_targetILNS1_3genE3ELNS1_11target_archE908ELNS1_3gpuE7ELNS1_3repE0EEENS1_30default_config_static_selectorELNS0_4arch9wavefront6targetE0EEEvS12_.uses_vcc, 0
	.set _ZN7rocprim17ROCPRIM_400000_NS6detail17trampoline_kernelINS0_13select_configILj256ELj13ELNS0_17block_load_methodE3ELS4_3ELS4_3ELNS0_20block_scan_algorithmE0ELj4294967295EEENS1_25partition_config_selectorILNS1_17partition_subalgoE4EjNS0_10empty_typeEbEEZZNS1_14partition_implILS8_4ELb0ES6_15HIP_vector_typeIjLj2EENS0_17counting_iteratorIjlEEPS9_SG_NS0_5tupleIJPjSI_NS0_16reverse_iteratorISI_EEEEENSH_IJSG_SG_SG_EEES9_SI_JZNS1_25segmented_radix_sort_implINS0_14default_configELb1EPKaPaPKlPlN2at6native12_GLOBAL__N_18offset_tEEE10hipError_tPvRmT1_PNSt15iterator_traitsIS12_E10value_typeET2_T3_PNS13_IS18_E10value_typeET4_jRbjT5_S1E_jjP12ihipStream_tbEUljE_ZNSN_ISO_Lb1ESQ_SR_ST_SU_SY_EESZ_S10_S11_S12_S16_S17_S18_S1B_S1C_jS1D_jS1E_S1E_jjS1G_bEUljE0_EEESZ_S10_S11_S18_S1C_S1E_T6_T7_T9_mT8_S1G_bDpT10_ENKUlT_T0_E_clISt17integral_constantIbLb0EES1U_EEDaS1P_S1Q_EUlS1P_E_NS1_11comp_targetILNS1_3genE3ELNS1_11target_archE908ELNS1_3gpuE7ELNS1_3repE0EEENS1_30default_config_static_selectorELNS0_4arch9wavefront6targetE0EEEvS12_.uses_flat_scratch, 0
	.set _ZN7rocprim17ROCPRIM_400000_NS6detail17trampoline_kernelINS0_13select_configILj256ELj13ELNS0_17block_load_methodE3ELS4_3ELS4_3ELNS0_20block_scan_algorithmE0ELj4294967295EEENS1_25partition_config_selectorILNS1_17partition_subalgoE4EjNS0_10empty_typeEbEEZZNS1_14partition_implILS8_4ELb0ES6_15HIP_vector_typeIjLj2EENS0_17counting_iteratorIjlEEPS9_SG_NS0_5tupleIJPjSI_NS0_16reverse_iteratorISI_EEEEENSH_IJSG_SG_SG_EEES9_SI_JZNS1_25segmented_radix_sort_implINS0_14default_configELb1EPKaPaPKlPlN2at6native12_GLOBAL__N_18offset_tEEE10hipError_tPvRmT1_PNSt15iterator_traitsIS12_E10value_typeET2_T3_PNS13_IS18_E10value_typeET4_jRbjT5_S1E_jjP12ihipStream_tbEUljE_ZNSN_ISO_Lb1ESQ_SR_ST_SU_SY_EESZ_S10_S11_S12_S16_S17_S18_S1B_S1C_jS1D_jS1E_S1E_jjS1G_bEUljE0_EEESZ_S10_S11_S18_S1C_S1E_T6_T7_T9_mT8_S1G_bDpT10_ENKUlT_T0_E_clISt17integral_constantIbLb0EES1U_EEDaS1P_S1Q_EUlS1P_E_NS1_11comp_targetILNS1_3genE3ELNS1_11target_archE908ELNS1_3gpuE7ELNS1_3repE0EEENS1_30default_config_static_selectorELNS0_4arch9wavefront6targetE0EEEvS12_.has_dyn_sized_stack, 0
	.set _ZN7rocprim17ROCPRIM_400000_NS6detail17trampoline_kernelINS0_13select_configILj256ELj13ELNS0_17block_load_methodE3ELS4_3ELS4_3ELNS0_20block_scan_algorithmE0ELj4294967295EEENS1_25partition_config_selectorILNS1_17partition_subalgoE4EjNS0_10empty_typeEbEEZZNS1_14partition_implILS8_4ELb0ES6_15HIP_vector_typeIjLj2EENS0_17counting_iteratorIjlEEPS9_SG_NS0_5tupleIJPjSI_NS0_16reverse_iteratorISI_EEEEENSH_IJSG_SG_SG_EEES9_SI_JZNS1_25segmented_radix_sort_implINS0_14default_configELb1EPKaPaPKlPlN2at6native12_GLOBAL__N_18offset_tEEE10hipError_tPvRmT1_PNSt15iterator_traitsIS12_E10value_typeET2_T3_PNS13_IS18_E10value_typeET4_jRbjT5_S1E_jjP12ihipStream_tbEUljE_ZNSN_ISO_Lb1ESQ_SR_ST_SU_SY_EESZ_S10_S11_S12_S16_S17_S18_S1B_S1C_jS1D_jS1E_S1E_jjS1G_bEUljE0_EEESZ_S10_S11_S18_S1C_S1E_T6_T7_T9_mT8_S1G_bDpT10_ENKUlT_T0_E_clISt17integral_constantIbLb0EES1U_EEDaS1P_S1Q_EUlS1P_E_NS1_11comp_targetILNS1_3genE3ELNS1_11target_archE908ELNS1_3gpuE7ELNS1_3repE0EEENS1_30default_config_static_selectorELNS0_4arch9wavefront6targetE0EEEvS12_.has_recursion, 0
	.set _ZN7rocprim17ROCPRIM_400000_NS6detail17trampoline_kernelINS0_13select_configILj256ELj13ELNS0_17block_load_methodE3ELS4_3ELS4_3ELNS0_20block_scan_algorithmE0ELj4294967295EEENS1_25partition_config_selectorILNS1_17partition_subalgoE4EjNS0_10empty_typeEbEEZZNS1_14partition_implILS8_4ELb0ES6_15HIP_vector_typeIjLj2EENS0_17counting_iteratorIjlEEPS9_SG_NS0_5tupleIJPjSI_NS0_16reverse_iteratorISI_EEEEENSH_IJSG_SG_SG_EEES9_SI_JZNS1_25segmented_radix_sort_implINS0_14default_configELb1EPKaPaPKlPlN2at6native12_GLOBAL__N_18offset_tEEE10hipError_tPvRmT1_PNSt15iterator_traitsIS12_E10value_typeET2_T3_PNS13_IS18_E10value_typeET4_jRbjT5_S1E_jjP12ihipStream_tbEUljE_ZNSN_ISO_Lb1ESQ_SR_ST_SU_SY_EESZ_S10_S11_S12_S16_S17_S18_S1B_S1C_jS1D_jS1E_S1E_jjS1G_bEUljE0_EEESZ_S10_S11_S18_S1C_S1E_T6_T7_T9_mT8_S1G_bDpT10_ENKUlT_T0_E_clISt17integral_constantIbLb0EES1U_EEDaS1P_S1Q_EUlS1P_E_NS1_11comp_targetILNS1_3genE3ELNS1_11target_archE908ELNS1_3gpuE7ELNS1_3repE0EEENS1_30default_config_static_selectorELNS0_4arch9wavefront6targetE0EEEvS12_.has_indirect_call, 0
	.section	.AMDGPU.csdata,"",@progbits
; Kernel info:
; codeLenInByte = 0
; TotalNumSgprs: 0
; NumVgprs: 0
; ScratchSize: 0
; MemoryBound: 0
; FloatMode: 240
; IeeeMode: 1
; LDSByteSize: 0 bytes/workgroup (compile time only)
; SGPRBlocks: 0
; VGPRBlocks: 0
; NumSGPRsForWavesPerEU: 1
; NumVGPRsForWavesPerEU: 1
; Occupancy: 16
; WaveLimiterHint : 0
; COMPUTE_PGM_RSRC2:SCRATCH_EN: 0
; COMPUTE_PGM_RSRC2:USER_SGPR: 2
; COMPUTE_PGM_RSRC2:TRAP_HANDLER: 0
; COMPUTE_PGM_RSRC2:TGID_X_EN: 1
; COMPUTE_PGM_RSRC2:TGID_Y_EN: 0
; COMPUTE_PGM_RSRC2:TGID_Z_EN: 0
; COMPUTE_PGM_RSRC2:TIDIG_COMP_CNT: 0
	.section	.text._ZN7rocprim17ROCPRIM_400000_NS6detail17trampoline_kernelINS0_13select_configILj256ELj13ELNS0_17block_load_methodE3ELS4_3ELS4_3ELNS0_20block_scan_algorithmE0ELj4294967295EEENS1_25partition_config_selectorILNS1_17partition_subalgoE4EjNS0_10empty_typeEbEEZZNS1_14partition_implILS8_4ELb0ES6_15HIP_vector_typeIjLj2EENS0_17counting_iteratorIjlEEPS9_SG_NS0_5tupleIJPjSI_NS0_16reverse_iteratorISI_EEEEENSH_IJSG_SG_SG_EEES9_SI_JZNS1_25segmented_radix_sort_implINS0_14default_configELb1EPKaPaPKlPlN2at6native12_GLOBAL__N_18offset_tEEE10hipError_tPvRmT1_PNSt15iterator_traitsIS12_E10value_typeET2_T3_PNS13_IS18_E10value_typeET4_jRbjT5_S1E_jjP12ihipStream_tbEUljE_ZNSN_ISO_Lb1ESQ_SR_ST_SU_SY_EESZ_S10_S11_S12_S16_S17_S18_S1B_S1C_jS1D_jS1E_S1E_jjS1G_bEUljE0_EEESZ_S10_S11_S18_S1C_S1E_T6_T7_T9_mT8_S1G_bDpT10_ENKUlT_T0_E_clISt17integral_constantIbLb0EES1U_EEDaS1P_S1Q_EUlS1P_E_NS1_11comp_targetILNS1_3genE2ELNS1_11target_archE906ELNS1_3gpuE6ELNS1_3repE0EEENS1_30default_config_static_selectorELNS0_4arch9wavefront6targetE0EEEvS12_,"axG",@progbits,_ZN7rocprim17ROCPRIM_400000_NS6detail17trampoline_kernelINS0_13select_configILj256ELj13ELNS0_17block_load_methodE3ELS4_3ELS4_3ELNS0_20block_scan_algorithmE0ELj4294967295EEENS1_25partition_config_selectorILNS1_17partition_subalgoE4EjNS0_10empty_typeEbEEZZNS1_14partition_implILS8_4ELb0ES6_15HIP_vector_typeIjLj2EENS0_17counting_iteratorIjlEEPS9_SG_NS0_5tupleIJPjSI_NS0_16reverse_iteratorISI_EEEEENSH_IJSG_SG_SG_EEES9_SI_JZNS1_25segmented_radix_sort_implINS0_14default_configELb1EPKaPaPKlPlN2at6native12_GLOBAL__N_18offset_tEEE10hipError_tPvRmT1_PNSt15iterator_traitsIS12_E10value_typeET2_T3_PNS13_IS18_E10value_typeET4_jRbjT5_S1E_jjP12ihipStream_tbEUljE_ZNSN_ISO_Lb1ESQ_SR_ST_SU_SY_EESZ_S10_S11_S12_S16_S17_S18_S1B_S1C_jS1D_jS1E_S1E_jjS1G_bEUljE0_EEESZ_S10_S11_S18_S1C_S1E_T6_T7_T9_mT8_S1G_bDpT10_ENKUlT_T0_E_clISt17integral_constantIbLb0EES1U_EEDaS1P_S1Q_EUlS1P_E_NS1_11comp_targetILNS1_3genE2ELNS1_11target_archE906ELNS1_3gpuE6ELNS1_3repE0EEENS1_30default_config_static_selectorELNS0_4arch9wavefront6targetE0EEEvS12_,comdat
	.globl	_ZN7rocprim17ROCPRIM_400000_NS6detail17trampoline_kernelINS0_13select_configILj256ELj13ELNS0_17block_load_methodE3ELS4_3ELS4_3ELNS0_20block_scan_algorithmE0ELj4294967295EEENS1_25partition_config_selectorILNS1_17partition_subalgoE4EjNS0_10empty_typeEbEEZZNS1_14partition_implILS8_4ELb0ES6_15HIP_vector_typeIjLj2EENS0_17counting_iteratorIjlEEPS9_SG_NS0_5tupleIJPjSI_NS0_16reverse_iteratorISI_EEEEENSH_IJSG_SG_SG_EEES9_SI_JZNS1_25segmented_radix_sort_implINS0_14default_configELb1EPKaPaPKlPlN2at6native12_GLOBAL__N_18offset_tEEE10hipError_tPvRmT1_PNSt15iterator_traitsIS12_E10value_typeET2_T3_PNS13_IS18_E10value_typeET4_jRbjT5_S1E_jjP12ihipStream_tbEUljE_ZNSN_ISO_Lb1ESQ_SR_ST_SU_SY_EESZ_S10_S11_S12_S16_S17_S18_S1B_S1C_jS1D_jS1E_S1E_jjS1G_bEUljE0_EEESZ_S10_S11_S18_S1C_S1E_T6_T7_T9_mT8_S1G_bDpT10_ENKUlT_T0_E_clISt17integral_constantIbLb0EES1U_EEDaS1P_S1Q_EUlS1P_E_NS1_11comp_targetILNS1_3genE2ELNS1_11target_archE906ELNS1_3gpuE6ELNS1_3repE0EEENS1_30default_config_static_selectorELNS0_4arch9wavefront6targetE0EEEvS12_ ; -- Begin function _ZN7rocprim17ROCPRIM_400000_NS6detail17trampoline_kernelINS0_13select_configILj256ELj13ELNS0_17block_load_methodE3ELS4_3ELS4_3ELNS0_20block_scan_algorithmE0ELj4294967295EEENS1_25partition_config_selectorILNS1_17partition_subalgoE4EjNS0_10empty_typeEbEEZZNS1_14partition_implILS8_4ELb0ES6_15HIP_vector_typeIjLj2EENS0_17counting_iteratorIjlEEPS9_SG_NS0_5tupleIJPjSI_NS0_16reverse_iteratorISI_EEEEENSH_IJSG_SG_SG_EEES9_SI_JZNS1_25segmented_radix_sort_implINS0_14default_configELb1EPKaPaPKlPlN2at6native12_GLOBAL__N_18offset_tEEE10hipError_tPvRmT1_PNSt15iterator_traitsIS12_E10value_typeET2_T3_PNS13_IS18_E10value_typeET4_jRbjT5_S1E_jjP12ihipStream_tbEUljE_ZNSN_ISO_Lb1ESQ_SR_ST_SU_SY_EESZ_S10_S11_S12_S16_S17_S18_S1B_S1C_jS1D_jS1E_S1E_jjS1G_bEUljE0_EEESZ_S10_S11_S18_S1C_S1E_T6_T7_T9_mT8_S1G_bDpT10_ENKUlT_T0_E_clISt17integral_constantIbLb0EES1U_EEDaS1P_S1Q_EUlS1P_E_NS1_11comp_targetILNS1_3genE2ELNS1_11target_archE906ELNS1_3gpuE6ELNS1_3repE0EEENS1_30default_config_static_selectorELNS0_4arch9wavefront6targetE0EEEvS12_
	.p2align	8
	.type	_ZN7rocprim17ROCPRIM_400000_NS6detail17trampoline_kernelINS0_13select_configILj256ELj13ELNS0_17block_load_methodE3ELS4_3ELS4_3ELNS0_20block_scan_algorithmE0ELj4294967295EEENS1_25partition_config_selectorILNS1_17partition_subalgoE4EjNS0_10empty_typeEbEEZZNS1_14partition_implILS8_4ELb0ES6_15HIP_vector_typeIjLj2EENS0_17counting_iteratorIjlEEPS9_SG_NS0_5tupleIJPjSI_NS0_16reverse_iteratorISI_EEEEENSH_IJSG_SG_SG_EEES9_SI_JZNS1_25segmented_radix_sort_implINS0_14default_configELb1EPKaPaPKlPlN2at6native12_GLOBAL__N_18offset_tEEE10hipError_tPvRmT1_PNSt15iterator_traitsIS12_E10value_typeET2_T3_PNS13_IS18_E10value_typeET4_jRbjT5_S1E_jjP12ihipStream_tbEUljE_ZNSN_ISO_Lb1ESQ_SR_ST_SU_SY_EESZ_S10_S11_S12_S16_S17_S18_S1B_S1C_jS1D_jS1E_S1E_jjS1G_bEUljE0_EEESZ_S10_S11_S18_S1C_S1E_T6_T7_T9_mT8_S1G_bDpT10_ENKUlT_T0_E_clISt17integral_constantIbLb0EES1U_EEDaS1P_S1Q_EUlS1P_E_NS1_11comp_targetILNS1_3genE2ELNS1_11target_archE906ELNS1_3gpuE6ELNS1_3repE0EEENS1_30default_config_static_selectorELNS0_4arch9wavefront6targetE0EEEvS12_,@function
_ZN7rocprim17ROCPRIM_400000_NS6detail17trampoline_kernelINS0_13select_configILj256ELj13ELNS0_17block_load_methodE3ELS4_3ELS4_3ELNS0_20block_scan_algorithmE0ELj4294967295EEENS1_25partition_config_selectorILNS1_17partition_subalgoE4EjNS0_10empty_typeEbEEZZNS1_14partition_implILS8_4ELb0ES6_15HIP_vector_typeIjLj2EENS0_17counting_iteratorIjlEEPS9_SG_NS0_5tupleIJPjSI_NS0_16reverse_iteratorISI_EEEEENSH_IJSG_SG_SG_EEES9_SI_JZNS1_25segmented_radix_sort_implINS0_14default_configELb1EPKaPaPKlPlN2at6native12_GLOBAL__N_18offset_tEEE10hipError_tPvRmT1_PNSt15iterator_traitsIS12_E10value_typeET2_T3_PNS13_IS18_E10value_typeET4_jRbjT5_S1E_jjP12ihipStream_tbEUljE_ZNSN_ISO_Lb1ESQ_SR_ST_SU_SY_EESZ_S10_S11_S12_S16_S17_S18_S1B_S1C_jS1D_jS1E_S1E_jjS1G_bEUljE0_EEESZ_S10_S11_S18_S1C_S1E_T6_T7_T9_mT8_S1G_bDpT10_ENKUlT_T0_E_clISt17integral_constantIbLb0EES1U_EEDaS1P_S1Q_EUlS1P_E_NS1_11comp_targetILNS1_3genE2ELNS1_11target_archE906ELNS1_3gpuE6ELNS1_3repE0EEENS1_30default_config_static_selectorELNS0_4arch9wavefront6targetE0EEEvS12_: ; @_ZN7rocprim17ROCPRIM_400000_NS6detail17trampoline_kernelINS0_13select_configILj256ELj13ELNS0_17block_load_methodE3ELS4_3ELS4_3ELNS0_20block_scan_algorithmE0ELj4294967295EEENS1_25partition_config_selectorILNS1_17partition_subalgoE4EjNS0_10empty_typeEbEEZZNS1_14partition_implILS8_4ELb0ES6_15HIP_vector_typeIjLj2EENS0_17counting_iteratorIjlEEPS9_SG_NS0_5tupleIJPjSI_NS0_16reverse_iteratorISI_EEEEENSH_IJSG_SG_SG_EEES9_SI_JZNS1_25segmented_radix_sort_implINS0_14default_configELb1EPKaPaPKlPlN2at6native12_GLOBAL__N_18offset_tEEE10hipError_tPvRmT1_PNSt15iterator_traitsIS12_E10value_typeET2_T3_PNS13_IS18_E10value_typeET4_jRbjT5_S1E_jjP12ihipStream_tbEUljE_ZNSN_ISO_Lb1ESQ_SR_ST_SU_SY_EESZ_S10_S11_S12_S16_S17_S18_S1B_S1C_jS1D_jS1E_S1E_jjS1G_bEUljE0_EEESZ_S10_S11_S18_S1C_S1E_T6_T7_T9_mT8_S1G_bDpT10_ENKUlT_T0_E_clISt17integral_constantIbLb0EES1U_EEDaS1P_S1Q_EUlS1P_E_NS1_11comp_targetILNS1_3genE2ELNS1_11target_archE906ELNS1_3gpuE6ELNS1_3repE0EEENS1_30default_config_static_selectorELNS0_4arch9wavefront6targetE0EEEvS12_
; %bb.0:
	.section	.rodata,"a",@progbits
	.p2align	6, 0x0
	.amdhsa_kernel _ZN7rocprim17ROCPRIM_400000_NS6detail17trampoline_kernelINS0_13select_configILj256ELj13ELNS0_17block_load_methodE3ELS4_3ELS4_3ELNS0_20block_scan_algorithmE0ELj4294967295EEENS1_25partition_config_selectorILNS1_17partition_subalgoE4EjNS0_10empty_typeEbEEZZNS1_14partition_implILS8_4ELb0ES6_15HIP_vector_typeIjLj2EENS0_17counting_iteratorIjlEEPS9_SG_NS0_5tupleIJPjSI_NS0_16reverse_iteratorISI_EEEEENSH_IJSG_SG_SG_EEES9_SI_JZNS1_25segmented_radix_sort_implINS0_14default_configELb1EPKaPaPKlPlN2at6native12_GLOBAL__N_18offset_tEEE10hipError_tPvRmT1_PNSt15iterator_traitsIS12_E10value_typeET2_T3_PNS13_IS18_E10value_typeET4_jRbjT5_S1E_jjP12ihipStream_tbEUljE_ZNSN_ISO_Lb1ESQ_SR_ST_SU_SY_EESZ_S10_S11_S12_S16_S17_S18_S1B_S1C_jS1D_jS1E_S1E_jjS1G_bEUljE0_EEESZ_S10_S11_S18_S1C_S1E_T6_T7_T9_mT8_S1G_bDpT10_ENKUlT_T0_E_clISt17integral_constantIbLb0EES1U_EEDaS1P_S1Q_EUlS1P_E_NS1_11comp_targetILNS1_3genE2ELNS1_11target_archE906ELNS1_3gpuE6ELNS1_3repE0EEENS1_30default_config_static_selectorELNS0_4arch9wavefront6targetE0EEEvS12_
		.amdhsa_group_segment_fixed_size 0
		.amdhsa_private_segment_fixed_size 0
		.amdhsa_kernarg_size 176
		.amdhsa_user_sgpr_count 2
		.amdhsa_user_sgpr_dispatch_ptr 0
		.amdhsa_user_sgpr_queue_ptr 0
		.amdhsa_user_sgpr_kernarg_segment_ptr 1
		.amdhsa_user_sgpr_dispatch_id 0
		.amdhsa_user_sgpr_private_segment_size 0
		.amdhsa_wavefront_size32 1
		.amdhsa_uses_dynamic_stack 0
		.amdhsa_enable_private_segment 0
		.amdhsa_system_sgpr_workgroup_id_x 1
		.amdhsa_system_sgpr_workgroup_id_y 0
		.amdhsa_system_sgpr_workgroup_id_z 0
		.amdhsa_system_sgpr_workgroup_info 0
		.amdhsa_system_vgpr_workitem_id 0
		.amdhsa_next_free_vgpr 1
		.amdhsa_next_free_sgpr 1
		.amdhsa_reserve_vcc 0
		.amdhsa_float_round_mode_32 0
		.amdhsa_float_round_mode_16_64 0
		.amdhsa_float_denorm_mode_32 3
		.amdhsa_float_denorm_mode_16_64 3
		.amdhsa_fp16_overflow 0
		.amdhsa_workgroup_processor_mode 1
		.amdhsa_memory_ordered 1
		.amdhsa_forward_progress 1
		.amdhsa_inst_pref_size 0
		.amdhsa_round_robin_scheduling 0
		.amdhsa_exception_fp_ieee_invalid_op 0
		.amdhsa_exception_fp_denorm_src 0
		.amdhsa_exception_fp_ieee_div_zero 0
		.amdhsa_exception_fp_ieee_overflow 0
		.amdhsa_exception_fp_ieee_underflow 0
		.amdhsa_exception_fp_ieee_inexact 0
		.amdhsa_exception_int_div_zero 0
	.end_amdhsa_kernel
	.section	.text._ZN7rocprim17ROCPRIM_400000_NS6detail17trampoline_kernelINS0_13select_configILj256ELj13ELNS0_17block_load_methodE3ELS4_3ELS4_3ELNS0_20block_scan_algorithmE0ELj4294967295EEENS1_25partition_config_selectorILNS1_17partition_subalgoE4EjNS0_10empty_typeEbEEZZNS1_14partition_implILS8_4ELb0ES6_15HIP_vector_typeIjLj2EENS0_17counting_iteratorIjlEEPS9_SG_NS0_5tupleIJPjSI_NS0_16reverse_iteratorISI_EEEEENSH_IJSG_SG_SG_EEES9_SI_JZNS1_25segmented_radix_sort_implINS0_14default_configELb1EPKaPaPKlPlN2at6native12_GLOBAL__N_18offset_tEEE10hipError_tPvRmT1_PNSt15iterator_traitsIS12_E10value_typeET2_T3_PNS13_IS18_E10value_typeET4_jRbjT5_S1E_jjP12ihipStream_tbEUljE_ZNSN_ISO_Lb1ESQ_SR_ST_SU_SY_EESZ_S10_S11_S12_S16_S17_S18_S1B_S1C_jS1D_jS1E_S1E_jjS1G_bEUljE0_EEESZ_S10_S11_S18_S1C_S1E_T6_T7_T9_mT8_S1G_bDpT10_ENKUlT_T0_E_clISt17integral_constantIbLb0EES1U_EEDaS1P_S1Q_EUlS1P_E_NS1_11comp_targetILNS1_3genE2ELNS1_11target_archE906ELNS1_3gpuE6ELNS1_3repE0EEENS1_30default_config_static_selectorELNS0_4arch9wavefront6targetE0EEEvS12_,"axG",@progbits,_ZN7rocprim17ROCPRIM_400000_NS6detail17trampoline_kernelINS0_13select_configILj256ELj13ELNS0_17block_load_methodE3ELS4_3ELS4_3ELNS0_20block_scan_algorithmE0ELj4294967295EEENS1_25partition_config_selectorILNS1_17partition_subalgoE4EjNS0_10empty_typeEbEEZZNS1_14partition_implILS8_4ELb0ES6_15HIP_vector_typeIjLj2EENS0_17counting_iteratorIjlEEPS9_SG_NS0_5tupleIJPjSI_NS0_16reverse_iteratorISI_EEEEENSH_IJSG_SG_SG_EEES9_SI_JZNS1_25segmented_radix_sort_implINS0_14default_configELb1EPKaPaPKlPlN2at6native12_GLOBAL__N_18offset_tEEE10hipError_tPvRmT1_PNSt15iterator_traitsIS12_E10value_typeET2_T3_PNS13_IS18_E10value_typeET4_jRbjT5_S1E_jjP12ihipStream_tbEUljE_ZNSN_ISO_Lb1ESQ_SR_ST_SU_SY_EESZ_S10_S11_S12_S16_S17_S18_S1B_S1C_jS1D_jS1E_S1E_jjS1G_bEUljE0_EEESZ_S10_S11_S18_S1C_S1E_T6_T7_T9_mT8_S1G_bDpT10_ENKUlT_T0_E_clISt17integral_constantIbLb0EES1U_EEDaS1P_S1Q_EUlS1P_E_NS1_11comp_targetILNS1_3genE2ELNS1_11target_archE906ELNS1_3gpuE6ELNS1_3repE0EEENS1_30default_config_static_selectorELNS0_4arch9wavefront6targetE0EEEvS12_,comdat
.Lfunc_end230:
	.size	_ZN7rocprim17ROCPRIM_400000_NS6detail17trampoline_kernelINS0_13select_configILj256ELj13ELNS0_17block_load_methodE3ELS4_3ELS4_3ELNS0_20block_scan_algorithmE0ELj4294967295EEENS1_25partition_config_selectorILNS1_17partition_subalgoE4EjNS0_10empty_typeEbEEZZNS1_14partition_implILS8_4ELb0ES6_15HIP_vector_typeIjLj2EENS0_17counting_iteratorIjlEEPS9_SG_NS0_5tupleIJPjSI_NS0_16reverse_iteratorISI_EEEEENSH_IJSG_SG_SG_EEES9_SI_JZNS1_25segmented_radix_sort_implINS0_14default_configELb1EPKaPaPKlPlN2at6native12_GLOBAL__N_18offset_tEEE10hipError_tPvRmT1_PNSt15iterator_traitsIS12_E10value_typeET2_T3_PNS13_IS18_E10value_typeET4_jRbjT5_S1E_jjP12ihipStream_tbEUljE_ZNSN_ISO_Lb1ESQ_SR_ST_SU_SY_EESZ_S10_S11_S12_S16_S17_S18_S1B_S1C_jS1D_jS1E_S1E_jjS1G_bEUljE0_EEESZ_S10_S11_S18_S1C_S1E_T6_T7_T9_mT8_S1G_bDpT10_ENKUlT_T0_E_clISt17integral_constantIbLb0EES1U_EEDaS1P_S1Q_EUlS1P_E_NS1_11comp_targetILNS1_3genE2ELNS1_11target_archE906ELNS1_3gpuE6ELNS1_3repE0EEENS1_30default_config_static_selectorELNS0_4arch9wavefront6targetE0EEEvS12_, .Lfunc_end230-_ZN7rocprim17ROCPRIM_400000_NS6detail17trampoline_kernelINS0_13select_configILj256ELj13ELNS0_17block_load_methodE3ELS4_3ELS4_3ELNS0_20block_scan_algorithmE0ELj4294967295EEENS1_25partition_config_selectorILNS1_17partition_subalgoE4EjNS0_10empty_typeEbEEZZNS1_14partition_implILS8_4ELb0ES6_15HIP_vector_typeIjLj2EENS0_17counting_iteratorIjlEEPS9_SG_NS0_5tupleIJPjSI_NS0_16reverse_iteratorISI_EEEEENSH_IJSG_SG_SG_EEES9_SI_JZNS1_25segmented_radix_sort_implINS0_14default_configELb1EPKaPaPKlPlN2at6native12_GLOBAL__N_18offset_tEEE10hipError_tPvRmT1_PNSt15iterator_traitsIS12_E10value_typeET2_T3_PNS13_IS18_E10value_typeET4_jRbjT5_S1E_jjP12ihipStream_tbEUljE_ZNSN_ISO_Lb1ESQ_SR_ST_SU_SY_EESZ_S10_S11_S12_S16_S17_S18_S1B_S1C_jS1D_jS1E_S1E_jjS1G_bEUljE0_EEESZ_S10_S11_S18_S1C_S1E_T6_T7_T9_mT8_S1G_bDpT10_ENKUlT_T0_E_clISt17integral_constantIbLb0EES1U_EEDaS1P_S1Q_EUlS1P_E_NS1_11comp_targetILNS1_3genE2ELNS1_11target_archE906ELNS1_3gpuE6ELNS1_3repE0EEENS1_30default_config_static_selectorELNS0_4arch9wavefront6targetE0EEEvS12_
                                        ; -- End function
	.set _ZN7rocprim17ROCPRIM_400000_NS6detail17trampoline_kernelINS0_13select_configILj256ELj13ELNS0_17block_load_methodE3ELS4_3ELS4_3ELNS0_20block_scan_algorithmE0ELj4294967295EEENS1_25partition_config_selectorILNS1_17partition_subalgoE4EjNS0_10empty_typeEbEEZZNS1_14partition_implILS8_4ELb0ES6_15HIP_vector_typeIjLj2EENS0_17counting_iteratorIjlEEPS9_SG_NS0_5tupleIJPjSI_NS0_16reverse_iteratorISI_EEEEENSH_IJSG_SG_SG_EEES9_SI_JZNS1_25segmented_radix_sort_implINS0_14default_configELb1EPKaPaPKlPlN2at6native12_GLOBAL__N_18offset_tEEE10hipError_tPvRmT1_PNSt15iterator_traitsIS12_E10value_typeET2_T3_PNS13_IS18_E10value_typeET4_jRbjT5_S1E_jjP12ihipStream_tbEUljE_ZNSN_ISO_Lb1ESQ_SR_ST_SU_SY_EESZ_S10_S11_S12_S16_S17_S18_S1B_S1C_jS1D_jS1E_S1E_jjS1G_bEUljE0_EEESZ_S10_S11_S18_S1C_S1E_T6_T7_T9_mT8_S1G_bDpT10_ENKUlT_T0_E_clISt17integral_constantIbLb0EES1U_EEDaS1P_S1Q_EUlS1P_E_NS1_11comp_targetILNS1_3genE2ELNS1_11target_archE906ELNS1_3gpuE6ELNS1_3repE0EEENS1_30default_config_static_selectorELNS0_4arch9wavefront6targetE0EEEvS12_.num_vgpr, 0
	.set _ZN7rocprim17ROCPRIM_400000_NS6detail17trampoline_kernelINS0_13select_configILj256ELj13ELNS0_17block_load_methodE3ELS4_3ELS4_3ELNS0_20block_scan_algorithmE0ELj4294967295EEENS1_25partition_config_selectorILNS1_17partition_subalgoE4EjNS0_10empty_typeEbEEZZNS1_14partition_implILS8_4ELb0ES6_15HIP_vector_typeIjLj2EENS0_17counting_iteratorIjlEEPS9_SG_NS0_5tupleIJPjSI_NS0_16reverse_iteratorISI_EEEEENSH_IJSG_SG_SG_EEES9_SI_JZNS1_25segmented_radix_sort_implINS0_14default_configELb1EPKaPaPKlPlN2at6native12_GLOBAL__N_18offset_tEEE10hipError_tPvRmT1_PNSt15iterator_traitsIS12_E10value_typeET2_T3_PNS13_IS18_E10value_typeET4_jRbjT5_S1E_jjP12ihipStream_tbEUljE_ZNSN_ISO_Lb1ESQ_SR_ST_SU_SY_EESZ_S10_S11_S12_S16_S17_S18_S1B_S1C_jS1D_jS1E_S1E_jjS1G_bEUljE0_EEESZ_S10_S11_S18_S1C_S1E_T6_T7_T9_mT8_S1G_bDpT10_ENKUlT_T0_E_clISt17integral_constantIbLb0EES1U_EEDaS1P_S1Q_EUlS1P_E_NS1_11comp_targetILNS1_3genE2ELNS1_11target_archE906ELNS1_3gpuE6ELNS1_3repE0EEENS1_30default_config_static_selectorELNS0_4arch9wavefront6targetE0EEEvS12_.num_agpr, 0
	.set _ZN7rocprim17ROCPRIM_400000_NS6detail17trampoline_kernelINS0_13select_configILj256ELj13ELNS0_17block_load_methodE3ELS4_3ELS4_3ELNS0_20block_scan_algorithmE0ELj4294967295EEENS1_25partition_config_selectorILNS1_17partition_subalgoE4EjNS0_10empty_typeEbEEZZNS1_14partition_implILS8_4ELb0ES6_15HIP_vector_typeIjLj2EENS0_17counting_iteratorIjlEEPS9_SG_NS0_5tupleIJPjSI_NS0_16reverse_iteratorISI_EEEEENSH_IJSG_SG_SG_EEES9_SI_JZNS1_25segmented_radix_sort_implINS0_14default_configELb1EPKaPaPKlPlN2at6native12_GLOBAL__N_18offset_tEEE10hipError_tPvRmT1_PNSt15iterator_traitsIS12_E10value_typeET2_T3_PNS13_IS18_E10value_typeET4_jRbjT5_S1E_jjP12ihipStream_tbEUljE_ZNSN_ISO_Lb1ESQ_SR_ST_SU_SY_EESZ_S10_S11_S12_S16_S17_S18_S1B_S1C_jS1D_jS1E_S1E_jjS1G_bEUljE0_EEESZ_S10_S11_S18_S1C_S1E_T6_T7_T9_mT8_S1G_bDpT10_ENKUlT_T0_E_clISt17integral_constantIbLb0EES1U_EEDaS1P_S1Q_EUlS1P_E_NS1_11comp_targetILNS1_3genE2ELNS1_11target_archE906ELNS1_3gpuE6ELNS1_3repE0EEENS1_30default_config_static_selectorELNS0_4arch9wavefront6targetE0EEEvS12_.numbered_sgpr, 0
	.set _ZN7rocprim17ROCPRIM_400000_NS6detail17trampoline_kernelINS0_13select_configILj256ELj13ELNS0_17block_load_methodE3ELS4_3ELS4_3ELNS0_20block_scan_algorithmE0ELj4294967295EEENS1_25partition_config_selectorILNS1_17partition_subalgoE4EjNS0_10empty_typeEbEEZZNS1_14partition_implILS8_4ELb0ES6_15HIP_vector_typeIjLj2EENS0_17counting_iteratorIjlEEPS9_SG_NS0_5tupleIJPjSI_NS0_16reverse_iteratorISI_EEEEENSH_IJSG_SG_SG_EEES9_SI_JZNS1_25segmented_radix_sort_implINS0_14default_configELb1EPKaPaPKlPlN2at6native12_GLOBAL__N_18offset_tEEE10hipError_tPvRmT1_PNSt15iterator_traitsIS12_E10value_typeET2_T3_PNS13_IS18_E10value_typeET4_jRbjT5_S1E_jjP12ihipStream_tbEUljE_ZNSN_ISO_Lb1ESQ_SR_ST_SU_SY_EESZ_S10_S11_S12_S16_S17_S18_S1B_S1C_jS1D_jS1E_S1E_jjS1G_bEUljE0_EEESZ_S10_S11_S18_S1C_S1E_T6_T7_T9_mT8_S1G_bDpT10_ENKUlT_T0_E_clISt17integral_constantIbLb0EES1U_EEDaS1P_S1Q_EUlS1P_E_NS1_11comp_targetILNS1_3genE2ELNS1_11target_archE906ELNS1_3gpuE6ELNS1_3repE0EEENS1_30default_config_static_selectorELNS0_4arch9wavefront6targetE0EEEvS12_.num_named_barrier, 0
	.set _ZN7rocprim17ROCPRIM_400000_NS6detail17trampoline_kernelINS0_13select_configILj256ELj13ELNS0_17block_load_methodE3ELS4_3ELS4_3ELNS0_20block_scan_algorithmE0ELj4294967295EEENS1_25partition_config_selectorILNS1_17partition_subalgoE4EjNS0_10empty_typeEbEEZZNS1_14partition_implILS8_4ELb0ES6_15HIP_vector_typeIjLj2EENS0_17counting_iteratorIjlEEPS9_SG_NS0_5tupleIJPjSI_NS0_16reverse_iteratorISI_EEEEENSH_IJSG_SG_SG_EEES9_SI_JZNS1_25segmented_radix_sort_implINS0_14default_configELb1EPKaPaPKlPlN2at6native12_GLOBAL__N_18offset_tEEE10hipError_tPvRmT1_PNSt15iterator_traitsIS12_E10value_typeET2_T3_PNS13_IS18_E10value_typeET4_jRbjT5_S1E_jjP12ihipStream_tbEUljE_ZNSN_ISO_Lb1ESQ_SR_ST_SU_SY_EESZ_S10_S11_S12_S16_S17_S18_S1B_S1C_jS1D_jS1E_S1E_jjS1G_bEUljE0_EEESZ_S10_S11_S18_S1C_S1E_T6_T7_T9_mT8_S1G_bDpT10_ENKUlT_T0_E_clISt17integral_constantIbLb0EES1U_EEDaS1P_S1Q_EUlS1P_E_NS1_11comp_targetILNS1_3genE2ELNS1_11target_archE906ELNS1_3gpuE6ELNS1_3repE0EEENS1_30default_config_static_selectorELNS0_4arch9wavefront6targetE0EEEvS12_.private_seg_size, 0
	.set _ZN7rocprim17ROCPRIM_400000_NS6detail17trampoline_kernelINS0_13select_configILj256ELj13ELNS0_17block_load_methodE3ELS4_3ELS4_3ELNS0_20block_scan_algorithmE0ELj4294967295EEENS1_25partition_config_selectorILNS1_17partition_subalgoE4EjNS0_10empty_typeEbEEZZNS1_14partition_implILS8_4ELb0ES6_15HIP_vector_typeIjLj2EENS0_17counting_iteratorIjlEEPS9_SG_NS0_5tupleIJPjSI_NS0_16reverse_iteratorISI_EEEEENSH_IJSG_SG_SG_EEES9_SI_JZNS1_25segmented_radix_sort_implINS0_14default_configELb1EPKaPaPKlPlN2at6native12_GLOBAL__N_18offset_tEEE10hipError_tPvRmT1_PNSt15iterator_traitsIS12_E10value_typeET2_T3_PNS13_IS18_E10value_typeET4_jRbjT5_S1E_jjP12ihipStream_tbEUljE_ZNSN_ISO_Lb1ESQ_SR_ST_SU_SY_EESZ_S10_S11_S12_S16_S17_S18_S1B_S1C_jS1D_jS1E_S1E_jjS1G_bEUljE0_EEESZ_S10_S11_S18_S1C_S1E_T6_T7_T9_mT8_S1G_bDpT10_ENKUlT_T0_E_clISt17integral_constantIbLb0EES1U_EEDaS1P_S1Q_EUlS1P_E_NS1_11comp_targetILNS1_3genE2ELNS1_11target_archE906ELNS1_3gpuE6ELNS1_3repE0EEENS1_30default_config_static_selectorELNS0_4arch9wavefront6targetE0EEEvS12_.uses_vcc, 0
	.set _ZN7rocprim17ROCPRIM_400000_NS6detail17trampoline_kernelINS0_13select_configILj256ELj13ELNS0_17block_load_methodE3ELS4_3ELS4_3ELNS0_20block_scan_algorithmE0ELj4294967295EEENS1_25partition_config_selectorILNS1_17partition_subalgoE4EjNS0_10empty_typeEbEEZZNS1_14partition_implILS8_4ELb0ES6_15HIP_vector_typeIjLj2EENS0_17counting_iteratorIjlEEPS9_SG_NS0_5tupleIJPjSI_NS0_16reverse_iteratorISI_EEEEENSH_IJSG_SG_SG_EEES9_SI_JZNS1_25segmented_radix_sort_implINS0_14default_configELb1EPKaPaPKlPlN2at6native12_GLOBAL__N_18offset_tEEE10hipError_tPvRmT1_PNSt15iterator_traitsIS12_E10value_typeET2_T3_PNS13_IS18_E10value_typeET4_jRbjT5_S1E_jjP12ihipStream_tbEUljE_ZNSN_ISO_Lb1ESQ_SR_ST_SU_SY_EESZ_S10_S11_S12_S16_S17_S18_S1B_S1C_jS1D_jS1E_S1E_jjS1G_bEUljE0_EEESZ_S10_S11_S18_S1C_S1E_T6_T7_T9_mT8_S1G_bDpT10_ENKUlT_T0_E_clISt17integral_constantIbLb0EES1U_EEDaS1P_S1Q_EUlS1P_E_NS1_11comp_targetILNS1_3genE2ELNS1_11target_archE906ELNS1_3gpuE6ELNS1_3repE0EEENS1_30default_config_static_selectorELNS0_4arch9wavefront6targetE0EEEvS12_.uses_flat_scratch, 0
	.set _ZN7rocprim17ROCPRIM_400000_NS6detail17trampoline_kernelINS0_13select_configILj256ELj13ELNS0_17block_load_methodE3ELS4_3ELS4_3ELNS0_20block_scan_algorithmE0ELj4294967295EEENS1_25partition_config_selectorILNS1_17partition_subalgoE4EjNS0_10empty_typeEbEEZZNS1_14partition_implILS8_4ELb0ES6_15HIP_vector_typeIjLj2EENS0_17counting_iteratorIjlEEPS9_SG_NS0_5tupleIJPjSI_NS0_16reverse_iteratorISI_EEEEENSH_IJSG_SG_SG_EEES9_SI_JZNS1_25segmented_radix_sort_implINS0_14default_configELb1EPKaPaPKlPlN2at6native12_GLOBAL__N_18offset_tEEE10hipError_tPvRmT1_PNSt15iterator_traitsIS12_E10value_typeET2_T3_PNS13_IS18_E10value_typeET4_jRbjT5_S1E_jjP12ihipStream_tbEUljE_ZNSN_ISO_Lb1ESQ_SR_ST_SU_SY_EESZ_S10_S11_S12_S16_S17_S18_S1B_S1C_jS1D_jS1E_S1E_jjS1G_bEUljE0_EEESZ_S10_S11_S18_S1C_S1E_T6_T7_T9_mT8_S1G_bDpT10_ENKUlT_T0_E_clISt17integral_constantIbLb0EES1U_EEDaS1P_S1Q_EUlS1P_E_NS1_11comp_targetILNS1_3genE2ELNS1_11target_archE906ELNS1_3gpuE6ELNS1_3repE0EEENS1_30default_config_static_selectorELNS0_4arch9wavefront6targetE0EEEvS12_.has_dyn_sized_stack, 0
	.set _ZN7rocprim17ROCPRIM_400000_NS6detail17trampoline_kernelINS0_13select_configILj256ELj13ELNS0_17block_load_methodE3ELS4_3ELS4_3ELNS0_20block_scan_algorithmE0ELj4294967295EEENS1_25partition_config_selectorILNS1_17partition_subalgoE4EjNS0_10empty_typeEbEEZZNS1_14partition_implILS8_4ELb0ES6_15HIP_vector_typeIjLj2EENS0_17counting_iteratorIjlEEPS9_SG_NS0_5tupleIJPjSI_NS0_16reverse_iteratorISI_EEEEENSH_IJSG_SG_SG_EEES9_SI_JZNS1_25segmented_radix_sort_implINS0_14default_configELb1EPKaPaPKlPlN2at6native12_GLOBAL__N_18offset_tEEE10hipError_tPvRmT1_PNSt15iterator_traitsIS12_E10value_typeET2_T3_PNS13_IS18_E10value_typeET4_jRbjT5_S1E_jjP12ihipStream_tbEUljE_ZNSN_ISO_Lb1ESQ_SR_ST_SU_SY_EESZ_S10_S11_S12_S16_S17_S18_S1B_S1C_jS1D_jS1E_S1E_jjS1G_bEUljE0_EEESZ_S10_S11_S18_S1C_S1E_T6_T7_T9_mT8_S1G_bDpT10_ENKUlT_T0_E_clISt17integral_constantIbLb0EES1U_EEDaS1P_S1Q_EUlS1P_E_NS1_11comp_targetILNS1_3genE2ELNS1_11target_archE906ELNS1_3gpuE6ELNS1_3repE0EEENS1_30default_config_static_selectorELNS0_4arch9wavefront6targetE0EEEvS12_.has_recursion, 0
	.set _ZN7rocprim17ROCPRIM_400000_NS6detail17trampoline_kernelINS0_13select_configILj256ELj13ELNS0_17block_load_methodE3ELS4_3ELS4_3ELNS0_20block_scan_algorithmE0ELj4294967295EEENS1_25partition_config_selectorILNS1_17partition_subalgoE4EjNS0_10empty_typeEbEEZZNS1_14partition_implILS8_4ELb0ES6_15HIP_vector_typeIjLj2EENS0_17counting_iteratorIjlEEPS9_SG_NS0_5tupleIJPjSI_NS0_16reverse_iteratorISI_EEEEENSH_IJSG_SG_SG_EEES9_SI_JZNS1_25segmented_radix_sort_implINS0_14default_configELb1EPKaPaPKlPlN2at6native12_GLOBAL__N_18offset_tEEE10hipError_tPvRmT1_PNSt15iterator_traitsIS12_E10value_typeET2_T3_PNS13_IS18_E10value_typeET4_jRbjT5_S1E_jjP12ihipStream_tbEUljE_ZNSN_ISO_Lb1ESQ_SR_ST_SU_SY_EESZ_S10_S11_S12_S16_S17_S18_S1B_S1C_jS1D_jS1E_S1E_jjS1G_bEUljE0_EEESZ_S10_S11_S18_S1C_S1E_T6_T7_T9_mT8_S1G_bDpT10_ENKUlT_T0_E_clISt17integral_constantIbLb0EES1U_EEDaS1P_S1Q_EUlS1P_E_NS1_11comp_targetILNS1_3genE2ELNS1_11target_archE906ELNS1_3gpuE6ELNS1_3repE0EEENS1_30default_config_static_selectorELNS0_4arch9wavefront6targetE0EEEvS12_.has_indirect_call, 0
	.section	.AMDGPU.csdata,"",@progbits
; Kernel info:
; codeLenInByte = 0
; TotalNumSgprs: 0
; NumVgprs: 0
; ScratchSize: 0
; MemoryBound: 0
; FloatMode: 240
; IeeeMode: 1
; LDSByteSize: 0 bytes/workgroup (compile time only)
; SGPRBlocks: 0
; VGPRBlocks: 0
; NumSGPRsForWavesPerEU: 1
; NumVGPRsForWavesPerEU: 1
; Occupancy: 16
; WaveLimiterHint : 0
; COMPUTE_PGM_RSRC2:SCRATCH_EN: 0
; COMPUTE_PGM_RSRC2:USER_SGPR: 2
; COMPUTE_PGM_RSRC2:TRAP_HANDLER: 0
; COMPUTE_PGM_RSRC2:TGID_X_EN: 1
; COMPUTE_PGM_RSRC2:TGID_Y_EN: 0
; COMPUTE_PGM_RSRC2:TGID_Z_EN: 0
; COMPUTE_PGM_RSRC2:TIDIG_COMP_CNT: 0
	.section	.text._ZN7rocprim17ROCPRIM_400000_NS6detail17trampoline_kernelINS0_13select_configILj256ELj13ELNS0_17block_load_methodE3ELS4_3ELS4_3ELNS0_20block_scan_algorithmE0ELj4294967295EEENS1_25partition_config_selectorILNS1_17partition_subalgoE4EjNS0_10empty_typeEbEEZZNS1_14partition_implILS8_4ELb0ES6_15HIP_vector_typeIjLj2EENS0_17counting_iteratorIjlEEPS9_SG_NS0_5tupleIJPjSI_NS0_16reverse_iteratorISI_EEEEENSH_IJSG_SG_SG_EEES9_SI_JZNS1_25segmented_radix_sort_implINS0_14default_configELb1EPKaPaPKlPlN2at6native12_GLOBAL__N_18offset_tEEE10hipError_tPvRmT1_PNSt15iterator_traitsIS12_E10value_typeET2_T3_PNS13_IS18_E10value_typeET4_jRbjT5_S1E_jjP12ihipStream_tbEUljE_ZNSN_ISO_Lb1ESQ_SR_ST_SU_SY_EESZ_S10_S11_S12_S16_S17_S18_S1B_S1C_jS1D_jS1E_S1E_jjS1G_bEUljE0_EEESZ_S10_S11_S18_S1C_S1E_T6_T7_T9_mT8_S1G_bDpT10_ENKUlT_T0_E_clISt17integral_constantIbLb0EES1U_EEDaS1P_S1Q_EUlS1P_E_NS1_11comp_targetILNS1_3genE10ELNS1_11target_archE1200ELNS1_3gpuE4ELNS1_3repE0EEENS1_30default_config_static_selectorELNS0_4arch9wavefront6targetE0EEEvS12_,"axG",@progbits,_ZN7rocprim17ROCPRIM_400000_NS6detail17trampoline_kernelINS0_13select_configILj256ELj13ELNS0_17block_load_methodE3ELS4_3ELS4_3ELNS0_20block_scan_algorithmE0ELj4294967295EEENS1_25partition_config_selectorILNS1_17partition_subalgoE4EjNS0_10empty_typeEbEEZZNS1_14partition_implILS8_4ELb0ES6_15HIP_vector_typeIjLj2EENS0_17counting_iteratorIjlEEPS9_SG_NS0_5tupleIJPjSI_NS0_16reverse_iteratorISI_EEEEENSH_IJSG_SG_SG_EEES9_SI_JZNS1_25segmented_radix_sort_implINS0_14default_configELb1EPKaPaPKlPlN2at6native12_GLOBAL__N_18offset_tEEE10hipError_tPvRmT1_PNSt15iterator_traitsIS12_E10value_typeET2_T3_PNS13_IS18_E10value_typeET4_jRbjT5_S1E_jjP12ihipStream_tbEUljE_ZNSN_ISO_Lb1ESQ_SR_ST_SU_SY_EESZ_S10_S11_S12_S16_S17_S18_S1B_S1C_jS1D_jS1E_S1E_jjS1G_bEUljE0_EEESZ_S10_S11_S18_S1C_S1E_T6_T7_T9_mT8_S1G_bDpT10_ENKUlT_T0_E_clISt17integral_constantIbLb0EES1U_EEDaS1P_S1Q_EUlS1P_E_NS1_11comp_targetILNS1_3genE10ELNS1_11target_archE1200ELNS1_3gpuE4ELNS1_3repE0EEENS1_30default_config_static_selectorELNS0_4arch9wavefront6targetE0EEEvS12_,comdat
	.globl	_ZN7rocprim17ROCPRIM_400000_NS6detail17trampoline_kernelINS0_13select_configILj256ELj13ELNS0_17block_load_methodE3ELS4_3ELS4_3ELNS0_20block_scan_algorithmE0ELj4294967295EEENS1_25partition_config_selectorILNS1_17partition_subalgoE4EjNS0_10empty_typeEbEEZZNS1_14partition_implILS8_4ELb0ES6_15HIP_vector_typeIjLj2EENS0_17counting_iteratorIjlEEPS9_SG_NS0_5tupleIJPjSI_NS0_16reverse_iteratorISI_EEEEENSH_IJSG_SG_SG_EEES9_SI_JZNS1_25segmented_radix_sort_implINS0_14default_configELb1EPKaPaPKlPlN2at6native12_GLOBAL__N_18offset_tEEE10hipError_tPvRmT1_PNSt15iterator_traitsIS12_E10value_typeET2_T3_PNS13_IS18_E10value_typeET4_jRbjT5_S1E_jjP12ihipStream_tbEUljE_ZNSN_ISO_Lb1ESQ_SR_ST_SU_SY_EESZ_S10_S11_S12_S16_S17_S18_S1B_S1C_jS1D_jS1E_S1E_jjS1G_bEUljE0_EEESZ_S10_S11_S18_S1C_S1E_T6_T7_T9_mT8_S1G_bDpT10_ENKUlT_T0_E_clISt17integral_constantIbLb0EES1U_EEDaS1P_S1Q_EUlS1P_E_NS1_11comp_targetILNS1_3genE10ELNS1_11target_archE1200ELNS1_3gpuE4ELNS1_3repE0EEENS1_30default_config_static_selectorELNS0_4arch9wavefront6targetE0EEEvS12_ ; -- Begin function _ZN7rocprim17ROCPRIM_400000_NS6detail17trampoline_kernelINS0_13select_configILj256ELj13ELNS0_17block_load_methodE3ELS4_3ELS4_3ELNS0_20block_scan_algorithmE0ELj4294967295EEENS1_25partition_config_selectorILNS1_17partition_subalgoE4EjNS0_10empty_typeEbEEZZNS1_14partition_implILS8_4ELb0ES6_15HIP_vector_typeIjLj2EENS0_17counting_iteratorIjlEEPS9_SG_NS0_5tupleIJPjSI_NS0_16reverse_iteratorISI_EEEEENSH_IJSG_SG_SG_EEES9_SI_JZNS1_25segmented_radix_sort_implINS0_14default_configELb1EPKaPaPKlPlN2at6native12_GLOBAL__N_18offset_tEEE10hipError_tPvRmT1_PNSt15iterator_traitsIS12_E10value_typeET2_T3_PNS13_IS18_E10value_typeET4_jRbjT5_S1E_jjP12ihipStream_tbEUljE_ZNSN_ISO_Lb1ESQ_SR_ST_SU_SY_EESZ_S10_S11_S12_S16_S17_S18_S1B_S1C_jS1D_jS1E_S1E_jjS1G_bEUljE0_EEESZ_S10_S11_S18_S1C_S1E_T6_T7_T9_mT8_S1G_bDpT10_ENKUlT_T0_E_clISt17integral_constantIbLb0EES1U_EEDaS1P_S1Q_EUlS1P_E_NS1_11comp_targetILNS1_3genE10ELNS1_11target_archE1200ELNS1_3gpuE4ELNS1_3repE0EEENS1_30default_config_static_selectorELNS0_4arch9wavefront6targetE0EEEvS12_
	.p2align	8
	.type	_ZN7rocprim17ROCPRIM_400000_NS6detail17trampoline_kernelINS0_13select_configILj256ELj13ELNS0_17block_load_methodE3ELS4_3ELS4_3ELNS0_20block_scan_algorithmE0ELj4294967295EEENS1_25partition_config_selectorILNS1_17partition_subalgoE4EjNS0_10empty_typeEbEEZZNS1_14partition_implILS8_4ELb0ES6_15HIP_vector_typeIjLj2EENS0_17counting_iteratorIjlEEPS9_SG_NS0_5tupleIJPjSI_NS0_16reverse_iteratorISI_EEEEENSH_IJSG_SG_SG_EEES9_SI_JZNS1_25segmented_radix_sort_implINS0_14default_configELb1EPKaPaPKlPlN2at6native12_GLOBAL__N_18offset_tEEE10hipError_tPvRmT1_PNSt15iterator_traitsIS12_E10value_typeET2_T3_PNS13_IS18_E10value_typeET4_jRbjT5_S1E_jjP12ihipStream_tbEUljE_ZNSN_ISO_Lb1ESQ_SR_ST_SU_SY_EESZ_S10_S11_S12_S16_S17_S18_S1B_S1C_jS1D_jS1E_S1E_jjS1G_bEUljE0_EEESZ_S10_S11_S18_S1C_S1E_T6_T7_T9_mT8_S1G_bDpT10_ENKUlT_T0_E_clISt17integral_constantIbLb0EES1U_EEDaS1P_S1Q_EUlS1P_E_NS1_11comp_targetILNS1_3genE10ELNS1_11target_archE1200ELNS1_3gpuE4ELNS1_3repE0EEENS1_30default_config_static_selectorELNS0_4arch9wavefront6targetE0EEEvS12_,@function
_ZN7rocprim17ROCPRIM_400000_NS6detail17trampoline_kernelINS0_13select_configILj256ELj13ELNS0_17block_load_methodE3ELS4_3ELS4_3ELNS0_20block_scan_algorithmE0ELj4294967295EEENS1_25partition_config_selectorILNS1_17partition_subalgoE4EjNS0_10empty_typeEbEEZZNS1_14partition_implILS8_4ELb0ES6_15HIP_vector_typeIjLj2EENS0_17counting_iteratorIjlEEPS9_SG_NS0_5tupleIJPjSI_NS0_16reverse_iteratorISI_EEEEENSH_IJSG_SG_SG_EEES9_SI_JZNS1_25segmented_radix_sort_implINS0_14default_configELb1EPKaPaPKlPlN2at6native12_GLOBAL__N_18offset_tEEE10hipError_tPvRmT1_PNSt15iterator_traitsIS12_E10value_typeET2_T3_PNS13_IS18_E10value_typeET4_jRbjT5_S1E_jjP12ihipStream_tbEUljE_ZNSN_ISO_Lb1ESQ_SR_ST_SU_SY_EESZ_S10_S11_S12_S16_S17_S18_S1B_S1C_jS1D_jS1E_S1E_jjS1G_bEUljE0_EEESZ_S10_S11_S18_S1C_S1E_T6_T7_T9_mT8_S1G_bDpT10_ENKUlT_T0_E_clISt17integral_constantIbLb0EES1U_EEDaS1P_S1Q_EUlS1P_E_NS1_11comp_targetILNS1_3genE10ELNS1_11target_archE1200ELNS1_3gpuE4ELNS1_3repE0EEENS1_30default_config_static_selectorELNS0_4arch9wavefront6targetE0EEEvS12_: ; @_ZN7rocprim17ROCPRIM_400000_NS6detail17trampoline_kernelINS0_13select_configILj256ELj13ELNS0_17block_load_methodE3ELS4_3ELS4_3ELNS0_20block_scan_algorithmE0ELj4294967295EEENS1_25partition_config_selectorILNS1_17partition_subalgoE4EjNS0_10empty_typeEbEEZZNS1_14partition_implILS8_4ELb0ES6_15HIP_vector_typeIjLj2EENS0_17counting_iteratorIjlEEPS9_SG_NS0_5tupleIJPjSI_NS0_16reverse_iteratorISI_EEEEENSH_IJSG_SG_SG_EEES9_SI_JZNS1_25segmented_radix_sort_implINS0_14default_configELb1EPKaPaPKlPlN2at6native12_GLOBAL__N_18offset_tEEE10hipError_tPvRmT1_PNSt15iterator_traitsIS12_E10value_typeET2_T3_PNS13_IS18_E10value_typeET4_jRbjT5_S1E_jjP12ihipStream_tbEUljE_ZNSN_ISO_Lb1ESQ_SR_ST_SU_SY_EESZ_S10_S11_S12_S16_S17_S18_S1B_S1C_jS1D_jS1E_S1E_jjS1G_bEUljE0_EEESZ_S10_S11_S18_S1C_S1E_T6_T7_T9_mT8_S1G_bDpT10_ENKUlT_T0_E_clISt17integral_constantIbLb0EES1U_EEDaS1P_S1Q_EUlS1P_E_NS1_11comp_targetILNS1_3genE10ELNS1_11target_archE1200ELNS1_3gpuE4ELNS1_3repE0EEENS1_30default_config_static_selectorELNS0_4arch9wavefront6targetE0EEEvS12_
; %bb.0:
	s_clause 0x6
	s_load_b32 s6, s[0:1], 0x80
	s_load_b128 s[24:27], s[0:1], 0x58
	s_load_b64 s[34:35], s[0:1], 0x10
	s_load_b64 s[2:3], s[0:1], 0x68
	s_load_b32 s7, s[0:1], 0x8
	s_load_b64 s[42:43], s[0:1], 0xa8
	s_load_b256 s[16:23], s[0:1], 0x88
	s_mov_b32 s5, 0
	s_mul_i32 s40, ttmp9, 0xd00
	s_wait_kmcnt 0x0
	s_mul_i32 s4, s6, 0xd00
	s_load_b128 s[28:31], s[26:27], 0x0
	s_add_co_i32 s8, s4, s34
	s_add_co_i32 s6, s6, -1
	s_sub_co_i32 s33, s2, s8
	s_add_nc_u64 s[4:5], s[34:35], s[4:5]
	s_addk_co_i32 s33, 0xd00
	s_cmp_eq_u32 ttmp9, s6
	v_cmp_gt_u64_e64 s2, s[2:3], s[4:5]
	s_cselect_b32 s15, -1, 0
	s_cmp_lg_u32 ttmp9, s6
	s_mov_b32 s5, -1
	s_cselect_b32 s3, -1, 0
	s_add_co_i32 s4, s7, s40
	s_wait_alu 0xfffe
	s_or_b32 s3, s3, s2
	s_add_co_i32 s4, s4, s34
	s_wait_alu 0xfffe
	s_and_b32 vcc_lo, exec_lo, s3
	v_add_nc_u32_e32 v1, s4, v0
	s_cbranch_vccz .LBB231_2
; %bb.1:
	s_delay_alu instid0(VALU_DEP_1)
	v_add_nc_u32_e32 v2, 0x100, v1
	v_lshlrev_b32_e32 v10, 2, v0
	v_add_nc_u32_e32 v3, 0x200, v1
	v_add_nc_u32_e32 v4, 0x300, v1
	;; [unrolled: 1-line block ×11, first 2 shown]
	ds_store_2addr_stride64_b32 v10, v1, v2 offset1:4
	ds_store_2addr_stride64_b32 v10, v3, v4 offset0:8 offset1:12
	ds_store_2addr_stride64_b32 v10, v5, v6 offset0:16 offset1:20
	;; [unrolled: 1-line block ×5, first 2 shown]
	ds_store_b32 v10, v14 offset:12288
	s_wait_dscnt 0x0
	s_barrier_signal -1
	s_mov_b32 s5, 0
	s_barrier_wait -1
.LBB231_2:
	v_cmp_gt_u32_e64 s2, s33, v0
	v_or_b32_e32 v38, 0x100, v0
	v_or_b32_e32 v37, 0x200, v0
	v_or_b32_e32 v36, 0x300, v0
	v_or_b32_e32 v35, 0x400, v0
	v_or_b32_e32 v34, 0x500, v0
	v_or_b32_e32 v33, 0x600, v0
	v_or_b32_e32 v32, 0x700, v0
	v_or_b32_e32 v31, 0x800, v0
	v_or_b32_e32 v30, 0x900, v0
	v_or_b32_e32 v29, 0xa00, v0
	v_or_b32_e32 v28, 0xb00, v0
	v_or_b32_e32 v27, 0xc00, v0
	s_wait_alu 0xfffe
	s_and_not1_b32 vcc_lo, exec_lo, s5
	s_cbranch_vccnz .LBB231_4
; %bb.3:
	v_cmp_gt_u32_e32 vcc_lo, s33, v38
	v_add_nc_u32_e32 v3, s4, v37
	v_add_nc_u32_e32 v2, s4, v38
	v_cndmask_b32_e64 v1, 0, v1, s2
	v_lshlrev_b32_e32 v14, 2, v0
	s_delay_alu instid0(VALU_DEP_3)
	v_cndmask_b32_e32 v2, 0, v2, vcc_lo
	v_cmp_gt_u32_e32 vcc_lo, s33, v37
	s_wait_alu 0xfffd
	v_cndmask_b32_e32 v3, 0, v3, vcc_lo
	v_cmp_gt_u32_e32 vcc_lo, s33, v36
	v_add_nc_u32_e32 v5, s4, v35
	v_add_nc_u32_e32 v4, s4, v36
	s_wait_alu 0xfffd
	s_delay_alu instid0(VALU_DEP_1)
	v_cndmask_b32_e32 v4, 0, v4, vcc_lo
	v_cmp_gt_u32_e32 vcc_lo, s33, v35
	s_wait_alu 0xfffd
	v_cndmask_b32_e32 v5, 0, v5, vcc_lo
	v_cmp_gt_u32_e32 vcc_lo, s33, v34
	v_add_nc_u32_e32 v7, s4, v33
	v_add_nc_u32_e32 v6, s4, v34
	s_wait_alu 0xfffd
	s_delay_alu instid0(VALU_DEP_1)
	;; [unrolled: 9-line block ×5, first 2 shown]
	v_cndmask_b32_e32 v12, 0, v12, vcc_lo
	v_cmp_gt_u32_e32 vcc_lo, s33, v27
	s_wait_alu 0xfffd
	v_cndmask_b32_e32 v13, 0, v13, vcc_lo
	ds_store_2addr_stride64_b32 v14, v1, v2 offset1:4
	ds_store_2addr_stride64_b32 v14, v3, v4 offset0:8 offset1:12
	ds_store_2addr_stride64_b32 v14, v5, v6 offset0:16 offset1:20
	;; [unrolled: 1-line block ×5, first 2 shown]
	ds_store_b32 v14, v13 offset:12288
	s_wait_dscnt 0x0
	s_barrier_signal -1
	s_barrier_wait -1
.LBB231_4:
	v_mul_u32_u24_e32 v41, 13, v0
	s_clause 0x1
	s_load_b128 s[36:39], s[0:1], 0x28
	s_load_b64 s[26:27], s[0:1], 0x38
	global_inv scope:SCOPE_SE
	v_cndmask_b32_e64 v39, 0, 1, s3
	s_and_not1_b32 vcc_lo, exec_lo, s3
	v_lshlrev_b32_e32 v1, 2, v41
	ds_load_2addr_b32 v[19:20], v1 offset1:1
	ds_load_2addr_b32 v[17:18], v1 offset0:2 offset1:3
	ds_load_2addr_b32 v[15:16], v1 offset0:4 offset1:5
	;; [unrolled: 1-line block ×5, first 2 shown]
	ds_load_b32 v40, v1 offset:48
	s_wait_loadcnt_dscnt 0x0
	s_barrier_signal -1
	s_barrier_wait -1
	global_inv scope:SCOPE_SE
	s_wait_alu 0xfffe
	s_cbranch_vccnz .LBB231_32
; %bb.5:
	v_add_nc_u32_e32 v1, s17, v19
	v_add_nc_u32_e32 v2, s19, v19
	s_mov_b32 s44, 0
	s_mov_b32 s41, 0
	s_mov_b32 s3, exec_lo
	v_mul_lo_u32 v1, v1, s16
	v_mul_lo_u32 v2, v2, s18
	s_delay_alu instid0(VALU_DEP_1) | instskip(NEXT) | instid1(VALU_DEP_1)
	v_sub_nc_u32_e32 v1, v1, v2
	v_cmp_lt_u32_e32 vcc_lo, s20, v1
	v_cmpx_ge_u32_e64 s20, v1
	s_cbranch_execz .LBB231_7
; %bb.6:
	v_add_nc_u32_e32 v1, s22, v19
	v_add_nc_u32_e32 v2, s42, v19
	s_delay_alu instid0(VALU_DEP_2) | instskip(NEXT) | instid1(VALU_DEP_2)
	v_mul_lo_u32 v1, v1, s21
	v_mul_lo_u32 v2, v2, s23
	s_delay_alu instid0(VALU_DEP_1) | instskip(NEXT) | instid1(VALU_DEP_1)
	v_sub_nc_u32_e32 v1, v1, v2
	v_cmp_lt_u32_e64 s2, s43, v1
	s_and_b32 s41, s2, exec_lo
.LBB231_7:
	s_wait_alu 0xfffe
	s_or_b32 exec_lo, exec_lo, s3
	v_add_nc_u32_e32 v1, s17, v20
	v_add_nc_u32_e32 v2, s19, v20
	s_mov_b32 s4, exec_lo
	s_delay_alu instid0(VALU_DEP_2) | instskip(NEXT) | instid1(VALU_DEP_2)
	v_mul_lo_u32 v1, v1, s16
	v_mul_lo_u32 v2, v2, s18
	s_delay_alu instid0(VALU_DEP_1) | instskip(NEXT) | instid1(VALU_DEP_1)
	v_sub_nc_u32_e32 v1, v1, v2
	v_cmp_lt_u32_e64 s2, s20, v1
	v_cmpx_ge_u32_e64 s20, v1
	s_cbranch_execz .LBB231_9
; %bb.8:
	v_add_nc_u32_e32 v1, s22, v20
	v_add_nc_u32_e32 v2, s42, v20
	s_delay_alu instid0(VALU_DEP_2) | instskip(NEXT) | instid1(VALU_DEP_2)
	v_mul_lo_u32 v1, v1, s21
	v_mul_lo_u32 v2, v2, s23
	s_delay_alu instid0(VALU_DEP_1) | instskip(NEXT) | instid1(VALU_DEP_1)
	v_sub_nc_u32_e32 v1, v1, v2
	v_cmp_lt_u32_e64 s3, s43, v1
	s_and_b32 s44, s3, exec_lo
.LBB231_9:
	s_wait_alu 0xfffe
	s_or_b32 exec_lo, exec_lo, s4
	v_add_nc_u32_e32 v1, s17, v17
	v_add_nc_u32_e32 v2, s19, v17
	s_mov_b32 s46, 0
	s_mov_b32 s45, 0
	s_mov_b32 s5, exec_lo
	v_mul_lo_u32 v1, v1, s16
	v_mul_lo_u32 v2, v2, s18
	s_delay_alu instid0(VALU_DEP_1) | instskip(NEXT) | instid1(VALU_DEP_1)
	v_sub_nc_u32_e32 v1, v1, v2
	v_cmp_lt_u32_e64 s3, s20, v1
	v_cmpx_ge_u32_e64 s20, v1
	s_cbranch_execz .LBB231_11
; %bb.10:
	v_add_nc_u32_e32 v1, s22, v17
	v_add_nc_u32_e32 v2, s42, v17
	s_delay_alu instid0(VALU_DEP_2) | instskip(NEXT) | instid1(VALU_DEP_2)
	v_mul_lo_u32 v1, v1, s21
	v_mul_lo_u32 v2, v2, s23
	s_delay_alu instid0(VALU_DEP_1) | instskip(NEXT) | instid1(VALU_DEP_1)
	v_sub_nc_u32_e32 v1, v1, v2
	v_cmp_lt_u32_e64 s4, s43, v1
	s_and_b32 s45, s4, exec_lo
.LBB231_11:
	s_wait_alu 0xfffe
	s_or_b32 exec_lo, exec_lo, s5
	v_add_nc_u32_e32 v1, s17, v18
	v_add_nc_u32_e32 v2, s19, v18
	s_mov_b32 s6, exec_lo
	s_delay_alu instid0(VALU_DEP_2) | instskip(NEXT) | instid1(VALU_DEP_2)
	v_mul_lo_u32 v1, v1, s16
	v_mul_lo_u32 v2, v2, s18
	s_delay_alu instid0(VALU_DEP_1) | instskip(NEXT) | instid1(VALU_DEP_1)
	v_sub_nc_u32_e32 v1, v1, v2
	v_cmp_lt_u32_e64 s4, s20, v1
	v_cmpx_ge_u32_e64 s20, v1
	s_cbranch_execz .LBB231_13
; %bb.12:
	v_add_nc_u32_e32 v1, s22, v18
	v_add_nc_u32_e32 v2, s42, v18
	s_delay_alu instid0(VALU_DEP_2) | instskip(NEXT) | instid1(VALU_DEP_2)
	v_mul_lo_u32 v1, v1, s21
	v_mul_lo_u32 v2, v2, s23
	s_delay_alu instid0(VALU_DEP_1) | instskip(NEXT) | instid1(VALU_DEP_1)
	v_sub_nc_u32_e32 v1, v1, v2
	v_cmp_lt_u32_e64 s5, s43, v1
	s_and_b32 s46, s5, exec_lo
.LBB231_13:
	s_or_b32 exec_lo, exec_lo, s6
	v_add_nc_u32_e32 v1, s17, v15
	v_add_nc_u32_e32 v2, s19, v15
	s_mov_b32 s48, 0
	s_mov_b32 s47, 0
	s_mov_b32 s7, exec_lo
	v_mul_lo_u32 v1, v1, s16
	v_mul_lo_u32 v2, v2, s18
	s_delay_alu instid0(VALU_DEP_1) | instskip(NEXT) | instid1(VALU_DEP_1)
	v_sub_nc_u32_e32 v1, v1, v2
	v_cmp_lt_u32_e64 s5, s20, v1
	v_cmpx_ge_u32_e64 s20, v1
	s_cbranch_execz .LBB231_15
; %bb.14:
	v_add_nc_u32_e32 v1, s22, v15
	v_add_nc_u32_e32 v2, s42, v15
	s_delay_alu instid0(VALU_DEP_2) | instskip(NEXT) | instid1(VALU_DEP_2)
	v_mul_lo_u32 v1, v1, s21
	v_mul_lo_u32 v2, v2, s23
	s_delay_alu instid0(VALU_DEP_1) | instskip(NEXT) | instid1(VALU_DEP_1)
	v_sub_nc_u32_e32 v1, v1, v2
	v_cmp_lt_u32_e64 s6, s43, v1
	s_and_b32 s47, s6, exec_lo
.LBB231_15:
	s_or_b32 exec_lo, exec_lo, s7
	v_add_nc_u32_e32 v1, s17, v16
	v_add_nc_u32_e32 v2, s19, v16
	s_mov_b32 s8, exec_lo
	s_delay_alu instid0(VALU_DEP_2) | instskip(NEXT) | instid1(VALU_DEP_2)
	v_mul_lo_u32 v1, v1, s16
	v_mul_lo_u32 v2, v2, s18
	s_delay_alu instid0(VALU_DEP_1) | instskip(NEXT) | instid1(VALU_DEP_1)
	v_sub_nc_u32_e32 v1, v1, v2
	v_cmp_lt_u32_e64 s6, s20, v1
	v_cmpx_ge_u32_e64 s20, v1
	s_cbranch_execz .LBB231_17
; %bb.16:
	v_add_nc_u32_e32 v1, s22, v16
	v_add_nc_u32_e32 v2, s42, v16
	s_delay_alu instid0(VALU_DEP_2) | instskip(NEXT) | instid1(VALU_DEP_2)
	v_mul_lo_u32 v1, v1, s21
	v_mul_lo_u32 v2, v2, s23
	s_delay_alu instid0(VALU_DEP_1) | instskip(NEXT) | instid1(VALU_DEP_1)
	v_sub_nc_u32_e32 v1, v1, v2
	v_cmp_lt_u32_e64 s7, s43, v1
	s_and_b32 s48, s7, exec_lo
.LBB231_17:
	s_or_b32 exec_lo, exec_lo, s8
	v_add_nc_u32_e32 v1, s17, v13
	v_add_nc_u32_e32 v2, s19, v13
	s_mov_b32 s50, 0
	s_mov_b32 s49, 0
	s_mov_b32 s9, exec_lo
	v_mul_lo_u32 v1, v1, s16
	v_mul_lo_u32 v2, v2, s18
	s_delay_alu instid0(VALU_DEP_1) | instskip(NEXT) | instid1(VALU_DEP_1)
	v_sub_nc_u32_e32 v1, v1, v2
	v_cmp_lt_u32_e64 s7, s20, v1
	v_cmpx_ge_u32_e64 s20, v1
	s_cbranch_execz .LBB231_19
; %bb.18:
	v_add_nc_u32_e32 v1, s22, v13
	v_add_nc_u32_e32 v2, s42, v13
	s_delay_alu instid0(VALU_DEP_2) | instskip(NEXT) | instid1(VALU_DEP_2)
	v_mul_lo_u32 v1, v1, s21
	v_mul_lo_u32 v2, v2, s23
	s_delay_alu instid0(VALU_DEP_1) | instskip(NEXT) | instid1(VALU_DEP_1)
	v_sub_nc_u32_e32 v1, v1, v2
	v_cmp_lt_u32_e64 s8, s43, v1
	s_and_b32 s49, s8, exec_lo
.LBB231_19:
	;; [unrolled: 47-line block ×5, first 2 shown]
	s_or_b32 exec_lo, exec_lo, s57
	v_cndmask_b32_e64 v2, 0, 1, s2
	s_wait_alu 0xf1ff
	v_cndmask_b32_e64 v4, 0, 1, s4
	s_wait_alu 0xfffd
	v_cndmask_b32_e64 v1, 0, 1, vcc_lo
	v_cndmask_b32_e64 v3, 0, 1, s3
	v_cndmask_b32_e64 v6, 0, 1, s6
	v_lshlrev_b16 v2, 8, v2
	v_lshlrev_b16 v4, 8, v4
	v_cndmask_b32_e64 v8, 0, 1, s8
	v_cndmask_b32_e64 v22, 0, 1, s10
	;; [unrolled: 1-line block ×3, first 2 shown]
	v_or_b32_e32 v1, v1, v2
	v_or_b32_e32 v2, v3, v4
	v_cndmask_b32_e64 v51, 0, 1, s41
	v_cndmask_b32_e64 v5, 0, 1, s5
	;; [unrolled: 1-line block ×3, first 2 shown]
	v_and_b32_e32 v1, 0xffff, v1
	v_lshlrev_b32_e32 v2, 16, v2
	v_cndmask_b32_e64 v21, 0, 1, s9
	v_cndmask_b32_e64 v23, 0, 1, s11
	;; [unrolled: 1-line block ×8, first 2 shown]
	v_or_b32_e32 v42, v1, v2
	v_lshlrev_b16 v1, 8, v6
	v_lshlrev_b16 v2, 8, v8
	;; [unrolled: 1-line block ×5, first 2 shown]
	v_cndmask_b32_e64 v26, 0, 1, s53
	v_cndmask_b32_e64 v44, 0, 1, s50
	;; [unrolled: 1-line block ×5, first 2 shown]
	v_or_b32_e32 v1, v5, v1
	v_or_b32_e32 v2, v7, v2
	;; [unrolled: 1-line block ×5, first 2 shown]
	v_lshlrev_b16 v4, 8, v4
	v_lshlrev_b16 v8, 8, v49
	;; [unrolled: 1-line block ×5, first 2 shown]
	v_or_b32_e32 v4, v50, v4
	v_or_b32_e32 v3, v3, v8
	;; [unrolled: 1-line block ×5, first 2 shown]
	v_and_b32_e32 v1, 0xffff, v1
	v_lshlrev_b32_e32 v2, 16, v2
	v_and_b32_e32 v5, 0xffff, v5
	v_lshlrev_b32_e32 v6, 16, v6
	;; [unrolled: 2-line block ×5, first 2 shown]
	v_cndmask_b32_e64 v45, 0, 1, s54
	v_cndmask_b32_e64 v48, 0, 1, s56
	v_or_b32_e32 v44, v1, v2
	v_or_b32_e32 v47, v5, v6
	;; [unrolled: 1-line block ×5, first 2 shown]
	s_load_b64 s[4:5], s[0:1], 0x78
	s_and_b32 vcc_lo, exec_lo, s51
	s_wait_alu 0xfffe
	s_cbranch_vccnz .LBB231_33
	s_branch .LBB231_110
.LBB231_32:
                                        ; implicit-def: $vgpr48
                                        ; implicit-def: $vgpr45
                                        ; implicit-def: $vgpr46
                                        ; implicit-def: $vgpr43
                                        ; implicit-def: $vgpr49
                                        ; implicit-def: $vgpr47
                                        ; implicit-def: $vgpr44
                                        ; implicit-def: $vgpr42
	s_load_b64 s[4:5], s[0:1], 0x78
	s_cbranch_execz .LBB231_110
.LBB231_33:
	v_dual_mov_b32 v2, 0 :: v_dual_mov_b32 v1, 0
	s_mov_b32 s1, exec_lo
	v_cmpx_gt_u32_e64 s33, v41
	s_cbranch_execz .LBB231_37
; %bb.34:
	v_add_nc_u32_e32 v1, s17, v19
	v_add_nc_u32_e32 v2, s19, v19
	s_mov_b32 s3, 0
	s_mov_b32 s2, exec_lo
	s_delay_alu instid0(VALU_DEP_2) | instskip(NEXT) | instid1(VALU_DEP_2)
	v_mul_lo_u32 v1, v1, s16
	v_mul_lo_u32 v2, v2, s18
	s_delay_alu instid0(VALU_DEP_1) | instskip(NEXT) | instid1(VALU_DEP_1)
	v_sub_nc_u32_e32 v1, v1, v2
	v_cmp_lt_u32_e32 vcc_lo, s20, v1
	v_cmpx_ge_u32_e64 s20, v1
	s_cbranch_execz .LBB231_36
; %bb.35:
	v_add_nc_u32_e32 v1, s22, v19
	v_add_nc_u32_e32 v2, s42, v19
	s_delay_alu instid0(VALU_DEP_2) | instskip(NEXT) | instid1(VALU_DEP_2)
	v_mul_lo_u32 v1, v1, s21
	v_mul_lo_u32 v2, v2, s23
	s_delay_alu instid0(VALU_DEP_1) | instskip(NEXT) | instid1(VALU_DEP_1)
	v_sub_nc_u32_e32 v1, v1, v2
	v_cmp_lt_u32_e64 s0, s43, v1
	s_and_b32 s3, s0, exec_lo
.LBB231_36:
	s_wait_alu 0xfffe
	s_or_b32 exec_lo, exec_lo, s2
	v_cndmask_b32_e64 v2, 0, 1, s3
	s_wait_alu 0xfffd
	v_cndmask_b32_e64 v1, 0, 1, vcc_lo
.LBB231_37:
	s_or_b32 exec_lo, exec_lo, s1
	s_delay_alu instid0(VALU_DEP_2) | instskip(SKIP_1) | instid1(VALU_DEP_3)
	v_lshlrev_b16 v2, 8, v2
	v_add_nc_u32_e32 v3, 1, v41
	v_and_b32_e32 v6, 0xff, v1
	v_lshlrev_b16 v1, 8, 0
                                        ; implicit-def: $vgpr5
                                        ; implicit-def: $vgpr8
                                        ; implicit-def: $vgpr4
	s_delay_alu instid0(VALU_DEP_4) | instskip(NEXT) | instid1(VALU_DEP_4)
	v_and_b32_e32 v2, 0xffff, v2
	v_cmp_le_u32_e32 vcc_lo, s33, v3
                                        ; implicit-def: $vgpr3
	s_delay_alu instid0(VALU_DEP_2) | instskip(SKIP_2) | instid1(SALU_CYCLE_1)
	v_lshrrev_b32_e32 v21, 8, v2
	v_and_b32_e32 v7, 0xff, v2
                                        ; implicit-def: $vgpr2
	s_and_saveexec_b32 s0, vcc_lo
	s_xor_b32 s0, exec_lo, s0
	s_cbranch_execz .LBB231_39
; %bb.38:
	v_lshlrev_b16 v2, 8, v21
	v_and_b32_e32 v4, 0xffff, v1
                                        ; implicit-def: $vgpr21
	v_mov_b32_e32 v5, 0
	s_delay_alu instid0(VALU_DEP_3) | instskip(SKIP_1) | instid1(VALU_DEP_2)
	v_or_b32_e32 v3, v7, v2
	v_mov_b32_e32 v2, 0
                                        ; implicit-def: $vgpr7
	v_and_b32_e32 v8, 0xffff, v3
	v_and_b32_e32 v3, 0xffff, v1
                                        ; implicit-def: $vgpr1
.LBB231_39:
	s_and_not1_saveexec_b32 s1, s0
	s_cbranch_execz .LBB231_43
; %bb.40:
	v_add_nc_u32_e32 v2, s17, v20
	v_add_nc_u32_e32 v3, s19, v20
	s_mov_b32 s2, 0
	s_mov_b32 s3, exec_lo
	s_delay_alu instid0(VALU_DEP_2) | instskip(NEXT) | instid1(VALU_DEP_2)
	v_mul_lo_u32 v2, v2, s16
	v_mul_lo_u32 v3, v3, s18
	s_delay_alu instid0(VALU_DEP_1) | instskip(NEXT) | instid1(VALU_DEP_1)
	v_sub_nc_u32_e32 v2, v2, v3
	v_cmp_lt_u32_e32 vcc_lo, s20, v2
	v_cmpx_ge_u32_e64 s20, v2
	s_cbranch_execz .LBB231_42
; %bb.41:
	v_add_nc_u32_e32 v2, s22, v20
	v_add_nc_u32_e32 v3, s42, v20
	s_delay_alu instid0(VALU_DEP_2) | instskip(NEXT) | instid1(VALU_DEP_2)
	v_mul_lo_u32 v2, v2, s21
	v_mul_lo_u32 v3, v3, s23
	s_delay_alu instid0(VALU_DEP_1) | instskip(NEXT) | instid1(VALU_DEP_1)
	v_sub_nc_u32_e32 v2, v2, v3
	v_cmp_lt_u32_e64 s0, s43, v2
	s_and_b32 s2, s0, exec_lo
.LBB231_42:
	s_wait_alu 0xfffe
	s_or_b32 exec_lo, exec_lo, s3
	s_wait_alu 0xfffd
	v_cndmask_b32_e64 v2, 0, 1, vcc_lo
	v_lshlrev_b16 v3, 8, v21
	v_dual_mov_b32 v5, 0 :: v_dual_and_b32 v4, 0xffff, v1
	s_delay_alu instid0(VALU_DEP_3) | instskip(NEXT) | instid1(VALU_DEP_3)
	v_lshlrev_b16 v2, 8, v2
	v_or_b32_e32 v3, v7, v3
	v_cndmask_b32_e64 v7, 0, 1, s2
	s_delay_alu instid0(VALU_DEP_3) | instskip(NEXT) | instid1(VALU_DEP_3)
	v_or_b32_e32 v6, v6, v2
	v_dual_mov_b32 v2, 0 :: v_dual_and_b32 v3, 0xffff, v3
	s_delay_alu instid0(VALU_DEP_2) | instskip(NEXT) | instid1(VALU_DEP_2)
	v_and_b32_e32 v6, 0xffff, v6
	v_lshl_or_b32 v8, v7, 16, v3
	v_and_b32_e32 v3, 0xffff, v1
.LBB231_43:
	s_or_b32 exec_lo, exec_lo, s1
	v_add_nc_u32_e32 v1, 2, v41
	v_and_b32_e32 v21, 0xff, v6
	v_lshrrev_b32_e32 v22, 8, v6
                                        ; implicit-def: $vgpr7
	s_delay_alu instid0(VALU_DEP_3) | instskip(SKIP_1) | instid1(SALU_CYCLE_1)
	v_cmp_le_u32_e32 vcc_lo, s33, v1
                                        ; implicit-def: $vgpr1
	s_and_saveexec_b32 s0, vcc_lo
	s_xor_b32 s0, exec_lo, s0
	s_cbranch_execz .LBB231_45
; %bb.44:
	v_lshlrev_b16 v1, 8, v22
	v_perm_b32 v4, v4, v4, 0x3060504
                                        ; implicit-def: $vgpr22
	s_delay_alu instid0(VALU_DEP_2) | instskip(SKIP_1) | instid1(VALU_DEP_2)
	v_or_b32_e32 v1, v21, v1
	v_and_b32_e32 v21, 0xff0000, v8
	v_and_b32_e32 v1, 0xffff, v1
	s_delay_alu instid0(VALU_DEP_1) | instskip(NEXT) | instid1(VALU_DEP_3)
	v_and_or_b32 v7, 0xff000000, v6, v1
	v_perm_b32 v1, v8, v21, 0x3020504
                                        ; implicit-def: $vgpr21
                                        ; implicit-def: $vgpr6
                                        ; implicit-def: $vgpr8
.LBB231_45:
	s_and_not1_saveexec_b32 s1, s0
	s_cbranch_execz .LBB231_49
; %bb.46:
	v_add_nc_u32_e32 v1, s17, v17
	v_add_nc_u32_e32 v7, s19, v17
	s_mov_b32 s2, 0
	s_mov_b32 s3, exec_lo
	s_delay_alu instid0(VALU_DEP_2) | instskip(NEXT) | instid1(VALU_DEP_2)
	v_mul_lo_u32 v1, v1, s16
	v_mul_lo_u32 v7, v7, s18
	s_delay_alu instid0(VALU_DEP_1) | instskip(NEXT) | instid1(VALU_DEP_1)
	v_sub_nc_u32_e32 v1, v1, v7
	v_cmp_lt_u32_e32 vcc_lo, s20, v1
	v_cmpx_ge_u32_e64 s20, v1
	s_cbranch_execz .LBB231_48
; %bb.47:
	v_add_nc_u32_e32 v1, s22, v17
	v_add_nc_u32_e32 v7, s42, v17
	s_delay_alu instid0(VALU_DEP_2) | instskip(NEXT) | instid1(VALU_DEP_2)
	v_mul_lo_u32 v1, v1, s21
	v_mul_lo_u32 v7, v7, s23
	s_delay_alu instid0(VALU_DEP_1) | instskip(NEXT) | instid1(VALU_DEP_1)
	v_sub_nc_u32_e32 v1, v1, v7
	v_cmp_lt_u32_e64 s0, s43, v1
	s_and_b32 s2, s0, exec_lo
.LBB231_48:
	s_wait_alu 0xfffe
	s_or_b32 exec_lo, exec_lo, s3
	v_lshrrev_b32_e32 v6, 24, v6
	v_cndmask_b32_e64 v7, 0, 1, s2
	v_lshrrev_b32_e32 v23, 8, v8
	v_lshrrev_b32_e32 v24, 16, v8
	s_wait_alu 0xfffd
	v_cndmask_b32_e64 v1, 0, 1, vcc_lo
	v_lshlrev_b16 v22, 8, v22
	v_lshlrev_b16 v6, 8, v6
	v_and_b32_e32 v8, 0xff, v8
	v_lshlrev_b16 v23, 8, v23
	v_lshlrev_b16 v7, 8, v7
	v_and_b32_e32 v24, 0xff, v24
	v_or_b32_e32 v21, v21, v22
	v_or_b32_e32 v1, v1, v6
	v_or_b32_e32 v6, v8, v23
	s_delay_alu instid0(VALU_DEP_4) | instskip(NEXT) | instid1(VALU_DEP_4)
	v_or_b32_e32 v7, v24, v7
	v_and_b32_e32 v8, 0xffff, v21
	s_delay_alu instid0(VALU_DEP_4) | instskip(NEXT) | instid1(VALU_DEP_4)
	v_lshlrev_b32_e32 v1, 16, v1
	v_and_b32_e32 v6, 0xffff, v6
	s_delay_alu instid0(VALU_DEP_4) | instskip(NEXT) | instid1(VALU_DEP_3)
	v_lshlrev_b32_e32 v21, 16, v7
	v_or_b32_e32 v7, v8, v1
	s_delay_alu instid0(VALU_DEP_2)
	v_or_b32_e32 v1, v6, v21
.LBB231_49:
	s_or_b32 exec_lo, exec_lo, s1
	v_add_nc_u32_e32 v6, 3, v41
	v_lshrrev_b32_e32 v8, 24, v5
	v_lshrrev_b32_e32 v21, 16, v5
	;; [unrolled: 1-line block ×3, first 2 shown]
                                        ; implicit-def: $vgpr42
	s_delay_alu instid0(VALU_DEP_4) | instskip(SKIP_1) | instid1(SALU_CYCLE_1)
	v_cmp_le_u32_e32 vcc_lo, s33, v6
                                        ; implicit-def: $vgpr6
	s_and_saveexec_b32 s0, vcc_lo
	s_xor_b32 s0, exec_lo, s0
	s_cbranch_execz .LBB231_51
; %bb.50:
	v_lshlrev_b16 v6, 8, v8
	v_and_b32_e32 v8, 0xff, v21
	v_lshlrev_b16 v5, 8, v5
	v_perm_b32 v4, v4, v4, 0x3060504
	v_perm_b32 v3, v3, v3, 0x3060504
                                        ; implicit-def: $vgpr21
	s_delay_alu instid0(VALU_DEP_4) | instskip(SKIP_2) | instid1(VALU_DEP_3)
	v_or_b32_e32 v6, v8, v6
	v_and_b32_e32 v8, 0xff0000, v7
	v_and_b32_e32 v5, 0xffff, v5
	v_lshlrev_b32_e32 v6, 16, v6
	s_delay_alu instid0(VALU_DEP_3) | instskip(NEXT) | instid1(VALU_DEP_2)
	v_perm_b32 v42, v7, v8, 0x3020504
                                        ; implicit-def: $vgpr7
                                        ; implicit-def: $vgpr8
	v_or_b32_e32 v6, v5, v6
                                        ; implicit-def: $vgpr5
.LBB231_51:
	s_and_not1_saveexec_b32 s1, s0
	s_cbranch_execz .LBB231_55
; %bb.52:
	v_add_nc_u32_e32 v6, s17, v18
	v_add_nc_u32_e32 v22, s19, v18
	s_mov_b32 s2, 0
	s_mov_b32 s3, exec_lo
	s_delay_alu instid0(VALU_DEP_2) | instskip(NEXT) | instid1(VALU_DEP_2)
	v_mul_lo_u32 v6, v6, s16
	v_mul_lo_u32 v22, v22, s18
	s_delay_alu instid0(VALU_DEP_1) | instskip(NEXT) | instid1(VALU_DEP_1)
	v_sub_nc_u32_e32 v6, v6, v22
	v_cmp_lt_u32_e32 vcc_lo, s20, v6
	v_cmpx_ge_u32_e64 s20, v6
	s_cbranch_execz .LBB231_54
; %bb.53:
	v_add_nc_u32_e32 v6, s22, v18
	v_add_nc_u32_e32 v22, s42, v18
	s_delay_alu instid0(VALU_DEP_2) | instskip(NEXT) | instid1(VALU_DEP_2)
	v_mul_lo_u32 v6, v6, s21
	v_mul_lo_u32 v22, v22, s23
	s_delay_alu instid0(VALU_DEP_1) | instskip(NEXT) | instid1(VALU_DEP_1)
	v_sub_nc_u32_e32 v6, v6, v22
	v_cmp_lt_u32_e64 s0, s43, v6
	s_and_b32 s2, s0, exec_lo
.LBB231_54:
	s_wait_alu 0xfffe
	s_or_b32 exec_lo, exec_lo, s3
	v_lshrrev_b32_e32 v6, 8, v7
	s_wait_alu 0xfffd
	v_cndmask_b32_e64 v22, 0, 1, vcc_lo
	v_lshrrev_b32_e32 v23, 16, v7
	v_cndmask_b32_e64 v24, 0, 1, s2
	v_and_b32_e32 v7, 0xff, v7
	v_lshlrev_b16 v6, 8, v6
	v_lshlrev_b16 v22, 8, v22
	v_and_b32_e32 v23, 0xff, v23
	v_lshlrev_b16 v8, 8, v8
	v_and_b32_e32 v21, 0xff, v21
	v_lshlrev_b16 v5, 8, v5
	v_or_b32_e32 v6, v7, v6
	v_or_b32_e32 v7, v23, v22
	s_delay_alu instid0(VALU_DEP_4) | instskip(NEXT) | instid1(VALU_DEP_4)
	v_or_b32_e32 v8, v21, v8
	v_or_b32_e32 v5, v24, v5
	s_delay_alu instid0(VALU_DEP_4) | instskip(NEXT) | instid1(VALU_DEP_4)
	v_and_b32_e32 v6, 0xffff, v6
	v_lshlrev_b32_e32 v7, 16, v7
	s_delay_alu instid0(VALU_DEP_4) | instskip(NEXT) | instid1(VALU_DEP_4)
	v_lshlrev_b32_e32 v8, 16, v8
	v_and_b32_e32 v5, 0xffff, v5
	s_delay_alu instid0(VALU_DEP_3) | instskip(NEXT) | instid1(VALU_DEP_2)
	v_or_b32_e32 v42, v6, v7
	v_or_b32_e32 v6, v5, v8
.LBB231_55:
	s_or_b32 exec_lo, exec_lo, s1
	v_add_nc_u32_e32 v5, 4, v41
	v_lshrrev_b32_e32 v21, 8, v4
	v_lshrrev_b32_e32 v22, 16, v4
	;; [unrolled: 1-line block ×4, first 2 shown]
	v_cmp_le_u32_e32 vcc_lo, s33, v5
	v_lshrrev_b32_e32 v8, 16, v6
                                        ; implicit-def: $vgpr4
                                        ; implicit-def: $vgpr5
	s_and_saveexec_b32 s0, vcc_lo
	s_delay_alu instid0(SALU_CYCLE_1)
	s_xor_b32 s0, exec_lo, s0
	s_cbranch_execz .LBB231_57
; %bb.56:
	v_lshlrev_b16 v4, 8, v23
	v_and_b32_e32 v5, 0xff, v22
	v_lshlrev_b16 v21, 8, v21
	v_lshlrev_b16 v7, 8, v7
	v_and_b32_e32 v8, 0xff, v8
	v_perm_b32 v3, v3, v3, 0x3060504
	v_or_b32_e32 v4, v5, v4
	v_and_b32_e32 v5, 0xffff, v21
                                        ; implicit-def: $vgpr21
                                        ; implicit-def: $vgpr22
                                        ; implicit-def: $vgpr23
	s_delay_alu instid0(VALU_DEP_4) | instskip(NEXT) | instid1(VALU_DEP_3)
	v_or_b32_e32 v7, v8, v7
	v_lshlrev_b32_e32 v8, 16, v4
	s_delay_alu instid0(VALU_DEP_2) | instskip(NEXT) | instid1(VALU_DEP_2)
	v_perm_b32 v4, v7, v6, 0x5040c00
                                        ; implicit-def: $vgpr6
                                        ; implicit-def: $vgpr7
	v_or_b32_e32 v5, v5, v8
                                        ; implicit-def: $vgpr8
.LBB231_57:
	s_and_not1_saveexec_b32 s1, s0
	s_cbranch_execz .LBB231_61
; %bb.58:
	v_add_nc_u32_e32 v4, s17, v15
	v_add_nc_u32_e32 v5, s19, v15
	s_mov_b32 s2, 0
	s_mov_b32 s3, exec_lo
	s_delay_alu instid0(VALU_DEP_2) | instskip(NEXT) | instid1(VALU_DEP_2)
	v_mul_lo_u32 v4, v4, s16
	v_mul_lo_u32 v5, v5, s18
	s_delay_alu instid0(VALU_DEP_1) | instskip(NEXT) | instid1(VALU_DEP_1)
	v_sub_nc_u32_e32 v4, v4, v5
	v_cmp_lt_u32_e32 vcc_lo, s20, v4
	v_cmpx_ge_u32_e64 s20, v4
	s_cbranch_execz .LBB231_60
; %bb.59:
	v_add_nc_u32_e32 v4, s22, v15
	v_add_nc_u32_e32 v5, s42, v15
	s_delay_alu instid0(VALU_DEP_2) | instskip(NEXT) | instid1(VALU_DEP_2)
	v_mul_lo_u32 v4, v4, s21
	v_mul_lo_u32 v5, v5, s23
	s_delay_alu instid0(VALU_DEP_1) | instskip(NEXT) | instid1(VALU_DEP_1)
	v_sub_nc_u32_e32 v4, v4, v5
	v_cmp_lt_u32_e64 s0, s43, v4
	s_and_b32 s2, s0, exec_lo
.LBB231_60:
	s_wait_alu 0xfffe
	s_or_b32 exec_lo, exec_lo, s3
	v_cndmask_b32_e64 v4, 0, 1, s2
	s_wait_alu 0xfffd
	v_cndmask_b32_e64 v5, 0, 1, vcc_lo
	v_lshlrev_b16 v23, 8, v23
	v_and_b32_e32 v22, 0xff, v22
	v_lshlrev_b16 v21, 8, v21
	v_lshlrev_b16 v4, 8, v4
	v_and_b32_e32 v6, 0xff, v6
	v_lshlrev_b16 v7, 8, v7
	v_and_b32_e32 v8, 0xff, v8
	v_or_b32_e32 v22, v22, v23
	v_or_b32_e32 v5, v5, v21
	;; [unrolled: 1-line block ×3, first 2 shown]
	s_delay_alu instid0(VALU_DEP_4) | instskip(NEXT) | instid1(VALU_DEP_4)
	v_or_b32_e32 v6, v8, v7
	v_lshlrev_b32_e32 v7, 16, v22
	s_delay_alu instid0(VALU_DEP_4) | instskip(NEXT) | instid1(VALU_DEP_4)
	v_and_b32_e32 v5, 0xffff, v5
	v_and_b32_e32 v4, 0xffff, v4
	s_delay_alu instid0(VALU_DEP_4) | instskip(NEXT) | instid1(VALU_DEP_3)
	v_lshlrev_b32_e32 v6, 16, v6
	v_or_b32_e32 v5, v5, v7
	s_delay_alu instid0(VALU_DEP_2)
	v_or_b32_e32 v4, v4, v6
.LBB231_61:
	s_or_b32 exec_lo, exec_lo, s1
	v_add_nc_u32_e32 v6, 5, v41
	s_delay_alu instid0(VALU_DEP_2)
	v_lshrrev_b32_e32 v21, 16, v5
	v_lshrrev_b32_e32 v23, 24, v5
	v_and_b32_e32 v8, 0xff, v4
	v_lshrrev_b32_e32 v22, 8, v4
	v_cmp_le_u32_e32 vcc_lo, s33, v6
                                        ; implicit-def: $vgpr6
                                        ; implicit-def: $vgpr7
	s_and_saveexec_b32 s0, vcc_lo
	s_delay_alu instid0(SALU_CYCLE_1)
	s_xor_b32 s0, exec_lo, s0
	s_cbranch_execz .LBB231_63
; %bb.62:
	v_lshlrev_b16 v6, 8, v22
	v_lshlrev_b16 v7, 8, v23
	v_and_b32_e32 v21, 0xff, v21
	v_perm_b32 v3, v3, v3, 0x3060504
                                        ; implicit-def: $vgpr23
                                        ; implicit-def: $vgpr22
	s_delay_alu instid0(VALU_DEP_4) | instskip(NEXT) | instid1(VALU_DEP_3)
	v_or_b32_e32 v6, v8, v6
                                        ; implicit-def: $vgpr8
	v_or_b32_e32 v7, v21, v7
                                        ; implicit-def: $vgpr21
	s_delay_alu instid0(VALU_DEP_2) | instskip(NEXT) | instid1(VALU_DEP_2)
	v_and_b32_e32 v6, 0xffff, v6
	v_perm_b32 v7, v7, v5, 0x5040c00
                                        ; implicit-def: $vgpr5
	s_delay_alu instid0(VALU_DEP_2)
	v_and_or_b32 v6, 0xff000000, v4, v6
                                        ; implicit-def: $vgpr4
.LBB231_63:
	s_and_not1_saveexec_b32 s1, s0
	s_cbranch_execz .LBB231_67
; %bb.64:
	v_add_nc_u32_e32 v6, s17, v16
	v_add_nc_u32_e32 v7, s19, v16
	s_mov_b32 s2, 0
	s_mov_b32 s3, exec_lo
	s_delay_alu instid0(VALU_DEP_2) | instskip(NEXT) | instid1(VALU_DEP_2)
	v_mul_lo_u32 v6, v6, s16
	v_mul_lo_u32 v7, v7, s18
	s_delay_alu instid0(VALU_DEP_1) | instskip(NEXT) | instid1(VALU_DEP_1)
	v_sub_nc_u32_e32 v6, v6, v7
	v_cmp_lt_u32_e32 vcc_lo, s20, v6
	v_cmpx_ge_u32_e64 s20, v6
	s_cbranch_execz .LBB231_66
; %bb.65:
	v_add_nc_u32_e32 v6, s22, v16
	v_add_nc_u32_e32 v7, s42, v16
	s_delay_alu instid0(VALU_DEP_2) | instskip(NEXT) | instid1(VALU_DEP_2)
	v_mul_lo_u32 v6, v6, s21
	v_mul_lo_u32 v7, v7, s23
	s_delay_alu instid0(VALU_DEP_1) | instskip(NEXT) | instid1(VALU_DEP_1)
	v_sub_nc_u32_e32 v6, v6, v7
	v_cmp_lt_u32_e64 s0, s43, v6
	s_and_b32 s2, s0, exec_lo
.LBB231_66:
	s_wait_alu 0xfffe
	s_or_b32 exec_lo, exec_lo, s3
	s_wait_alu 0xfffd
	v_cndmask_b32_e64 v6, 0, 1, vcc_lo
	v_lshrrev_b32_e32 v4, 24, v4
	v_cndmask_b32_e64 v7, 0, 1, s2
	v_lshlrev_b16 v23, 8, v23
	v_and_b32_e32 v21, 0xff, v21
	v_lshlrev_b16 v6, 8, v6
	v_lshlrev_b16 v22, 8, v22
	v_and_b32_e32 v5, 0xff, v5
	v_lshlrev_b16 v4, 8, v4
	v_or_b32_e32 v21, v21, v23
	s_delay_alu instid0(VALU_DEP_4) | instskip(NEXT) | instid1(VALU_DEP_4)
	v_or_b32_e32 v8, v8, v22
	v_or_b32_e32 v5, v5, v6
	s_delay_alu instid0(VALU_DEP_4) | instskip(NEXT) | instid1(VALU_DEP_4)
	v_or_b32_e32 v4, v7, v4
	v_lshlrev_b32_e32 v6, 16, v21
	s_delay_alu instid0(VALU_DEP_4) | instskip(NEXT) | instid1(VALU_DEP_4)
	v_and_b32_e32 v8, 0xffff, v8
	v_and_b32_e32 v5, 0xffff, v5
	s_delay_alu instid0(VALU_DEP_4) | instskip(NEXT) | instid1(VALU_DEP_2)
	v_lshlrev_b32_e32 v4, 16, v4
	v_or_b32_e32 v7, v5, v6
	s_delay_alu instid0(VALU_DEP_2)
	v_or_b32_e32 v6, v8, v4
.LBB231_67:
	s_or_b32 exec_lo, exec_lo, s1
	v_add_nc_u32_e32 v4, 6, v41
	s_delay_alu instid0(VALU_DEP_3) | instskip(NEXT) | instid1(VALU_DEP_2)
	v_lshrrev_b32_e32 v8, 8, v7
                                        ; implicit-def: $vgpr43
                                        ; implicit-def: $vgpr5
	v_cmp_le_u32_e32 vcc_lo, s33, v4
	v_and_b32_e32 v4, 0xff, v7
	s_and_saveexec_b32 s0, vcc_lo
	s_delay_alu instid0(SALU_CYCLE_1)
	s_xor_b32 s0, exec_lo, s0
	s_cbranch_execz .LBB231_69
; %bb.68:
	v_lshlrev_b16 v5, 8, v8
	v_perm_b32 v3, v3, v3, 0x3060504
                                        ; implicit-def: $vgpr8
	s_delay_alu instid0(VALU_DEP_2) | instskip(SKIP_1) | instid1(VALU_DEP_2)
	v_or_b32_e32 v4, v4, v5
	v_and_b32_e32 v5, 0xff0000, v6
	v_and_b32_e32 v4, 0xffff, v4
	s_delay_alu instid0(VALU_DEP_2) | instskip(NEXT) | instid1(VALU_DEP_2)
	v_perm_b32 v43, v6, v5, 0x3020504
                                        ; implicit-def: $vgpr6
	v_and_or_b32 v5, 0xff000000, v7, v4
                                        ; implicit-def: $vgpr4
                                        ; implicit-def: $vgpr7
.LBB231_69:
	s_and_not1_saveexec_b32 s1, s0
	s_cbranch_execz .LBB231_73
; %bb.70:
	v_add_nc_u32_e32 v5, s17, v13
	v_add_nc_u32_e32 v21, s19, v13
	s_mov_b32 s2, 0
	s_mov_b32 s3, exec_lo
	s_delay_alu instid0(VALU_DEP_2) | instskip(NEXT) | instid1(VALU_DEP_2)
	v_mul_lo_u32 v5, v5, s16
	v_mul_lo_u32 v21, v21, s18
	s_delay_alu instid0(VALU_DEP_1) | instskip(NEXT) | instid1(VALU_DEP_1)
	v_sub_nc_u32_e32 v5, v5, v21
	v_cmp_lt_u32_e32 vcc_lo, s20, v5
	v_cmpx_ge_u32_e64 s20, v5
	s_cbranch_execz .LBB231_72
; %bb.71:
	v_add_nc_u32_e32 v5, s22, v13
	v_add_nc_u32_e32 v21, s42, v13
	s_delay_alu instid0(VALU_DEP_2) | instskip(NEXT) | instid1(VALU_DEP_2)
	v_mul_lo_u32 v5, v5, s21
	v_mul_lo_u32 v21, v21, s23
	s_delay_alu instid0(VALU_DEP_1) | instskip(NEXT) | instid1(VALU_DEP_1)
	v_sub_nc_u32_e32 v5, v5, v21
	v_cmp_lt_u32_e64 s0, s43, v5
	s_and_b32 s2, s0, exec_lo
.LBB231_72:
	s_wait_alu 0xfffe
	s_or_b32 exec_lo, exec_lo, s3
	v_lshrrev_b32_e32 v7, 24, v7
	v_cndmask_b32_e64 v21, 0, 1, s2
	v_lshrrev_b32_e32 v22, 8, v6
	v_lshrrev_b32_e32 v23, 16, v6
	s_wait_alu 0xfffd
	v_cndmask_b32_e64 v5, 0, 1, vcc_lo
	v_lshlrev_b16 v8, 8, v8
	v_lshlrev_b16 v7, 8, v7
	v_and_b32_e32 v6, 0xff, v6
	v_lshlrev_b16 v22, 8, v22
	v_lshlrev_b16 v21, 8, v21
	v_and_b32_e32 v23, 0xff, v23
	v_or_b32_e32 v4, v4, v8
	v_or_b32_e32 v5, v5, v7
	;; [unrolled: 1-line block ×3, first 2 shown]
	s_delay_alu instid0(VALU_DEP_4) | instskip(NEXT) | instid1(VALU_DEP_4)
	v_or_b32_e32 v7, v23, v21
	v_and_b32_e32 v4, 0xffff, v4
	s_delay_alu instid0(VALU_DEP_4) | instskip(NEXT) | instid1(VALU_DEP_4)
	v_lshlrev_b32_e32 v5, 16, v5
	v_and_b32_e32 v6, 0xffff, v6
	s_delay_alu instid0(VALU_DEP_4) | instskip(NEXT) | instid1(VALU_DEP_3)
	v_lshlrev_b32_e32 v7, 16, v7
	v_or_b32_e32 v5, v4, v5
	s_delay_alu instid0(VALU_DEP_2)
	v_or_b32_e32 v43, v6, v7
.LBB231_73:
	s_or_b32 exec_lo, exec_lo, s1
	v_add_nc_u32_e32 v4, 7, v41
	v_lshrrev_b32_e32 v6, 8, v3
	v_lshrrev_b32_e32 v7, 16, v3
	;; [unrolled: 1-line block ×3, first 2 shown]
                                        ; implicit-def: $vgpr44
	s_delay_alu instid0(VALU_DEP_4) | instskip(SKIP_1) | instid1(SALU_CYCLE_1)
	v_cmp_le_u32_e32 vcc_lo, s33, v4
                                        ; implicit-def: $vgpr4
	s_and_saveexec_b32 s0, vcc_lo
	s_xor_b32 s0, exec_lo, s0
	s_cbranch_execz .LBB231_75
; %bb.74:
	v_lshlrev_b16 v3, 8, v3
	v_and_b32_e32 v4, 0xff, v7
                                        ; implicit-def: $vgpr7
	s_delay_alu instid0(VALU_DEP_1) | instskip(SKIP_2) | instid1(VALU_DEP_3)
	v_or_b32_e32 v3, v4, v3
	v_lshlrev_b16 v4, 8, v6
	v_and_b32_e32 v6, 0xff0000, v5
	v_lshlrev_b32_e32 v3, 16, v3
	s_delay_alu instid0(VALU_DEP_3) | instskip(NEXT) | instid1(VALU_DEP_3)
	v_and_b32_e32 v4, 0xffff, v4
	v_perm_b32 v44, v5, v6, 0x3020504
                                        ; implicit-def: $vgpr5
                                        ; implicit-def: $vgpr6
	s_delay_alu instid0(VALU_DEP_2)
	v_or_b32_e32 v4, v4, v3
                                        ; implicit-def: $vgpr3
.LBB231_75:
	s_and_not1_saveexec_b32 s1, s0
	s_cbranch_execz .LBB231_79
; %bb.76:
	v_add_nc_u32_e32 v4, s17, v14
	v_add_nc_u32_e32 v8, s19, v14
	s_mov_b32 s2, 0
	s_mov_b32 s3, exec_lo
	s_delay_alu instid0(VALU_DEP_2) | instskip(NEXT) | instid1(VALU_DEP_2)
	v_mul_lo_u32 v4, v4, s16
	v_mul_lo_u32 v8, v8, s18
	s_delay_alu instid0(VALU_DEP_1) | instskip(NEXT) | instid1(VALU_DEP_1)
	v_sub_nc_u32_e32 v4, v4, v8
	v_cmp_lt_u32_e32 vcc_lo, s20, v4
	v_cmpx_ge_u32_e64 s20, v4
	s_cbranch_execz .LBB231_78
; %bb.77:
	v_add_nc_u32_e32 v4, s22, v14
	v_add_nc_u32_e32 v8, s42, v14
	s_delay_alu instid0(VALU_DEP_2) | instskip(NEXT) | instid1(VALU_DEP_2)
	v_mul_lo_u32 v4, v4, s21
	v_mul_lo_u32 v8, v8, s23
	s_delay_alu instid0(VALU_DEP_1) | instskip(NEXT) | instid1(VALU_DEP_1)
	v_sub_nc_u32_e32 v4, v4, v8
	v_cmp_lt_u32_e64 s0, s43, v4
	s_and_b32 s2, s0, exec_lo
.LBB231_78:
	s_wait_alu 0xfffe
	s_or_b32 exec_lo, exec_lo, s3
	v_lshrrev_b32_e32 v4, 8, v5
	s_wait_alu 0xfffd
	v_cndmask_b32_e64 v8, 0, 1, vcc_lo
	v_lshrrev_b32_e32 v21, 16, v5
	v_cndmask_b32_e64 v22, 0, 1, s2
	v_and_b32_e32 v5, 0xff, v5
	v_lshlrev_b16 v4, 8, v4
	v_lshlrev_b16 v8, 8, v8
	v_and_b32_e32 v21, 0xff, v21
	v_lshlrev_b16 v3, 8, v3
	v_and_b32_e32 v7, 0xff, v7
	v_lshlrev_b16 v6, 8, v6
	v_or_b32_e32 v4, v5, v4
	v_or_b32_e32 v5, v21, v8
	s_delay_alu instid0(VALU_DEP_4) | instskip(NEXT) | instid1(VALU_DEP_4)
	v_or_b32_e32 v3, v7, v3
	v_or_b32_e32 v6, v22, v6
	s_delay_alu instid0(VALU_DEP_4) | instskip(NEXT) | instid1(VALU_DEP_4)
	v_and_b32_e32 v4, 0xffff, v4
	v_lshlrev_b32_e32 v5, 16, v5
	s_delay_alu instid0(VALU_DEP_4) | instskip(NEXT) | instid1(VALU_DEP_4)
	v_lshlrev_b32_e32 v3, 16, v3
	v_and_b32_e32 v6, 0xffff, v6
	s_delay_alu instid0(VALU_DEP_3) | instskip(NEXT) | instid1(VALU_DEP_2)
	v_or_b32_e32 v44, v4, v5
	v_or_b32_e32 v4, v6, v3
.LBB231_79:
	s_or_b32 exec_lo, exec_lo, s1
	v_add_nc_u32_e32 v3, 8, v41
	s_delay_alu instid0(VALU_DEP_2)
	v_lshrrev_b32_e32 v5, 16, v4
	v_lshrrev_b32_e32 v6, 24, v4
	;; [unrolled: 1-line block ×4, first 2 shown]
	v_cmp_le_u32_e32 vcc_lo, s33, v3
	v_lshrrev_b32_e32 v7, 8, v2
                                        ; implicit-def: $vgpr2
                                        ; implicit-def: $vgpr3
	s_and_saveexec_b32 s0, vcc_lo
	s_delay_alu instid0(SALU_CYCLE_1)
	s_xor_b32 s0, exec_lo, s0
	s_cbranch_execz .LBB231_81
; %bb.80:
	v_lshlrev_b16 v2, 8, v8
	v_and_b32_e32 v3, 0xff, v21
	v_lshlrev_b16 v7, 8, v7
	v_lshlrev_b16 v6, 8, v6
	v_perm_b32 v1, v1, v1, 0x3060504
                                        ; implicit-def: $vgpr8
                                        ; implicit-def: $vgpr21
	s_delay_alu instid0(VALU_DEP_4) | instskip(SKIP_2) | instid1(VALU_DEP_3)
	v_or_b32_e32 v2, v3, v2
	v_and_b32_e32 v3, 0xff, v5
	v_and_b32_e32 v5, 0xffff, v7
                                        ; implicit-def: $vgpr7
	v_lshlrev_b32_e32 v2, 16, v2
	s_delay_alu instid0(VALU_DEP_3) | instskip(NEXT) | instid1(VALU_DEP_2)
	v_or_b32_e32 v6, v3, v6
	v_or_b32_e32 v3, v5, v2
	s_delay_alu instid0(VALU_DEP_2)
	v_perm_b32 v2, v6, v4, 0x5040c00
                                        ; implicit-def: $vgpr4
                                        ; implicit-def: $vgpr5
                                        ; implicit-def: $vgpr6
.LBB231_81:
	s_and_not1_saveexec_b32 s1, s0
	s_cbranch_execz .LBB231_85
; %bb.82:
	v_add_nc_u32_e32 v2, s17, v11
	v_add_nc_u32_e32 v3, s19, v11
	s_mov_b32 s2, 0
	s_mov_b32 s3, exec_lo
	s_delay_alu instid0(VALU_DEP_2) | instskip(NEXT) | instid1(VALU_DEP_2)
	v_mul_lo_u32 v2, v2, s16
	v_mul_lo_u32 v3, v3, s18
	s_delay_alu instid0(VALU_DEP_1) | instskip(NEXT) | instid1(VALU_DEP_1)
	v_sub_nc_u32_e32 v2, v2, v3
	v_cmp_lt_u32_e32 vcc_lo, s20, v2
	v_cmpx_ge_u32_e64 s20, v2
	s_cbranch_execz .LBB231_84
; %bb.83:
	v_add_nc_u32_e32 v2, s22, v11
	v_add_nc_u32_e32 v3, s42, v11
	s_delay_alu instid0(VALU_DEP_2) | instskip(NEXT) | instid1(VALU_DEP_2)
	v_mul_lo_u32 v2, v2, s21
	v_mul_lo_u32 v3, v3, s23
	s_delay_alu instid0(VALU_DEP_1) | instskip(NEXT) | instid1(VALU_DEP_1)
	v_sub_nc_u32_e32 v2, v2, v3
	v_cmp_lt_u32_e64 s0, s43, v2
	s_and_b32 s2, s0, exec_lo
.LBB231_84:
	s_wait_alu 0xfffe
	s_or_b32 exec_lo, exec_lo, s3
	v_cndmask_b32_e64 v2, 0, 1, s2
	s_wait_alu 0xfffd
	v_cndmask_b32_e64 v3, 0, 1, vcc_lo
	v_lshlrev_b16 v8, 8, v8
	v_and_b32_e32 v21, 0xff, v21
	v_lshlrev_b16 v7, 8, v7
	v_lshlrev_b16 v2, 8, v2
	v_and_b32_e32 v4, 0xff, v4
	v_lshlrev_b16 v6, 8, v6
	v_and_b32_e32 v5, 0xff, v5
	v_or_b32_e32 v8, v21, v8
	v_or_b32_e32 v3, v3, v7
	;; [unrolled: 1-line block ×3, first 2 shown]
	s_delay_alu instid0(VALU_DEP_4) | instskip(NEXT) | instid1(VALU_DEP_4)
	v_or_b32_e32 v4, v5, v6
	v_lshlrev_b32_e32 v5, 16, v8
	s_delay_alu instid0(VALU_DEP_4) | instskip(NEXT) | instid1(VALU_DEP_4)
	v_and_b32_e32 v3, 0xffff, v3
	v_and_b32_e32 v2, 0xffff, v2
	s_delay_alu instid0(VALU_DEP_4) | instskip(NEXT) | instid1(VALU_DEP_3)
	v_lshlrev_b32_e32 v4, 16, v4
	v_or_b32_e32 v3, v3, v5
	s_delay_alu instid0(VALU_DEP_2)
	v_or_b32_e32 v2, v2, v4
.LBB231_85:
	s_or_b32 exec_lo, exec_lo, s1
	v_add_nc_u32_e32 v4, 9, v41
	s_delay_alu instid0(VALU_DEP_2)
	v_lshrrev_b32_e32 v6, 8, v2
	v_lshrrev_b32_e32 v21, 24, v3
	;; [unrolled: 1-line block ×3, first 2 shown]
	v_and_b32_e32 v7, 0xff, v2
	v_cmp_le_u32_e32 vcc_lo, s33, v4
                                        ; implicit-def: $vgpr4
                                        ; implicit-def: $vgpr5
	s_and_saveexec_b32 s0, vcc_lo
	s_delay_alu instid0(SALU_CYCLE_1)
	s_xor_b32 s0, exec_lo, s0
	s_cbranch_execz .LBB231_87
; %bb.86:
	v_lshlrev_b16 v4, 8, v6
	v_lshlrev_b16 v5, 8, v21
	v_and_b32_e32 v6, 0xff, v8
	v_perm_b32 v1, v1, v1, 0x3060504
                                        ; implicit-def: $vgpr21
                                        ; implicit-def: $vgpr8
	s_delay_alu instid0(VALU_DEP_4) | instskip(NEXT) | instid1(VALU_DEP_3)
	v_or_b32_e32 v4, v7, v4
                                        ; implicit-def: $vgpr7
	v_or_b32_e32 v5, v6, v5
                                        ; implicit-def: $vgpr6
	s_delay_alu instid0(VALU_DEP_2) | instskip(NEXT) | instid1(VALU_DEP_2)
	v_and_b32_e32 v4, 0xffff, v4
	v_perm_b32 v5, v5, v3, 0x5040c00
                                        ; implicit-def: $vgpr3
	s_delay_alu instid0(VALU_DEP_2)
	v_and_or_b32 v4, 0xff000000, v2, v4
                                        ; implicit-def: $vgpr2
.LBB231_87:
	s_and_not1_saveexec_b32 s1, s0
	s_cbranch_execz .LBB231_91
; %bb.88:
	v_add_nc_u32_e32 v4, s17, v12
	v_add_nc_u32_e32 v5, s19, v12
	s_mov_b32 s2, 0
	s_mov_b32 s3, exec_lo
	s_delay_alu instid0(VALU_DEP_2) | instskip(NEXT) | instid1(VALU_DEP_2)
	v_mul_lo_u32 v4, v4, s16
	v_mul_lo_u32 v5, v5, s18
	s_delay_alu instid0(VALU_DEP_1) | instskip(NEXT) | instid1(VALU_DEP_1)
	v_sub_nc_u32_e32 v4, v4, v5
	v_cmp_lt_u32_e32 vcc_lo, s20, v4
	v_cmpx_ge_u32_e64 s20, v4
	s_cbranch_execz .LBB231_90
; %bb.89:
	v_add_nc_u32_e32 v4, s22, v12
	v_add_nc_u32_e32 v5, s42, v12
	s_delay_alu instid0(VALU_DEP_2) | instskip(NEXT) | instid1(VALU_DEP_2)
	v_mul_lo_u32 v4, v4, s21
	v_mul_lo_u32 v5, v5, s23
	s_delay_alu instid0(VALU_DEP_1) | instskip(NEXT) | instid1(VALU_DEP_1)
	v_sub_nc_u32_e32 v4, v4, v5
	v_cmp_lt_u32_e64 s0, s43, v4
	s_and_b32 s2, s0, exec_lo
.LBB231_90:
	s_wait_alu 0xfffe
	s_or_b32 exec_lo, exec_lo, s3
	s_wait_alu 0xfffd
	v_cndmask_b32_e64 v4, 0, 1, vcc_lo
	v_lshrrev_b32_e32 v2, 24, v2
	v_cndmask_b32_e64 v5, 0, 1, s2
	v_lshlrev_b16 v21, 8, v21
	v_and_b32_e32 v8, 0xff, v8
	v_lshlrev_b16 v4, 8, v4
	v_lshlrev_b16 v6, 8, v6
	v_and_b32_e32 v3, 0xff, v3
	v_lshlrev_b16 v2, 8, v2
	v_or_b32_e32 v8, v8, v21
	s_delay_alu instid0(VALU_DEP_4) | instskip(NEXT) | instid1(VALU_DEP_4)
	v_or_b32_e32 v6, v7, v6
	v_or_b32_e32 v3, v3, v4
	s_delay_alu instid0(VALU_DEP_4) | instskip(NEXT) | instid1(VALU_DEP_4)
	v_or_b32_e32 v2, v5, v2
	v_lshlrev_b32_e32 v4, 16, v8
	s_delay_alu instid0(VALU_DEP_4) | instskip(NEXT) | instid1(VALU_DEP_4)
	v_and_b32_e32 v6, 0xffff, v6
	v_and_b32_e32 v3, 0xffff, v3
	s_delay_alu instid0(VALU_DEP_4) | instskip(NEXT) | instid1(VALU_DEP_2)
	v_lshlrev_b32_e32 v2, 16, v2
	v_or_b32_e32 v5, v3, v4
	s_delay_alu instid0(VALU_DEP_2)
	v_or_b32_e32 v4, v6, v2
.LBB231_91:
	s_or_b32 exec_lo, exec_lo, s1
	v_add_nc_u32_e32 v2, 10, v41
	s_delay_alu instid0(VALU_DEP_3) | instskip(SKIP_1) | instid1(VALU_DEP_3)
	v_and_b32_e32 v3, 0xff, v5
	v_lshrrev_b32_e32 v6, 8, v5
                                        ; implicit-def: $vgpr46
	v_cmp_le_u32_e32 vcc_lo, s33, v2
                                        ; implicit-def: $vgpr2
	s_and_saveexec_b32 s0, vcc_lo
	s_delay_alu instid0(SALU_CYCLE_1)
	s_xor_b32 s0, exec_lo, s0
	s_cbranch_execz .LBB231_93
; %bb.92:
	v_lshlrev_b16 v2, 8, v6
	v_perm_b32 v1, v1, v1, 0x3060504
                                        ; implicit-def: $vgpr6
	s_delay_alu instid0(VALU_DEP_2) | instskip(SKIP_1) | instid1(VALU_DEP_2)
	v_or_b32_e32 v2, v3, v2
	v_and_b32_e32 v3, 0xff0000, v4
	v_and_b32_e32 v2, 0xffff, v2
	s_delay_alu instid0(VALU_DEP_2) | instskip(NEXT) | instid1(VALU_DEP_2)
	v_perm_b32 v46, v4, v3, 0x3020504
                                        ; implicit-def: $vgpr3
                                        ; implicit-def: $vgpr4
	v_and_or_b32 v2, 0xff000000, v5, v2
                                        ; implicit-def: $vgpr5
.LBB231_93:
	s_and_not1_saveexec_b32 s1, s0
	s_cbranch_execz .LBB231_97
; %bb.94:
	v_add_nc_u32_e32 v2, s17, v9
	v_add_nc_u32_e32 v7, s19, v9
	s_mov_b32 s2, 0
	s_mov_b32 s3, exec_lo
	s_delay_alu instid0(VALU_DEP_2) | instskip(NEXT) | instid1(VALU_DEP_2)
	v_mul_lo_u32 v2, v2, s16
	v_mul_lo_u32 v7, v7, s18
	s_delay_alu instid0(VALU_DEP_1) | instskip(NEXT) | instid1(VALU_DEP_1)
	v_sub_nc_u32_e32 v2, v2, v7
	v_cmp_lt_u32_e32 vcc_lo, s20, v2
	v_cmpx_ge_u32_e64 s20, v2
	s_cbranch_execz .LBB231_96
; %bb.95:
	v_add_nc_u32_e32 v2, s22, v9
	v_add_nc_u32_e32 v7, s42, v9
	s_delay_alu instid0(VALU_DEP_2) | instskip(NEXT) | instid1(VALU_DEP_2)
	v_mul_lo_u32 v2, v2, s21
	v_mul_lo_u32 v7, v7, s23
	s_delay_alu instid0(VALU_DEP_1) | instskip(NEXT) | instid1(VALU_DEP_1)
	v_sub_nc_u32_e32 v2, v2, v7
	v_cmp_lt_u32_e64 s0, s43, v2
	s_and_b32 s2, s0, exec_lo
.LBB231_96:
	s_wait_alu 0xfffe
	s_or_b32 exec_lo, exec_lo, s3
	v_lshrrev_b32_e32 v5, 24, v5
	v_cndmask_b32_e64 v7, 0, 1, s2
	v_lshrrev_b32_e32 v8, 8, v4
	v_lshrrev_b32_e32 v21, 16, v4
	s_wait_alu 0xfffd
	v_cndmask_b32_e64 v2, 0, 1, vcc_lo
	v_lshlrev_b16 v6, 8, v6
	v_lshlrev_b16 v5, 8, v5
	v_and_b32_e32 v4, 0xff, v4
	v_lshlrev_b16 v8, 8, v8
	v_lshlrev_b16 v7, 8, v7
	v_and_b32_e32 v21, 0xff, v21
	v_or_b32_e32 v3, v3, v6
	v_or_b32_e32 v2, v2, v5
	;; [unrolled: 1-line block ×3, first 2 shown]
	s_delay_alu instid0(VALU_DEP_4) | instskip(NEXT) | instid1(VALU_DEP_4)
	v_or_b32_e32 v5, v21, v7
	v_and_b32_e32 v3, 0xffff, v3
	s_delay_alu instid0(VALU_DEP_4) | instskip(NEXT) | instid1(VALU_DEP_4)
	v_lshlrev_b32_e32 v2, 16, v2
	v_and_b32_e32 v4, 0xffff, v4
	s_delay_alu instid0(VALU_DEP_4) | instskip(NEXT) | instid1(VALU_DEP_3)
	v_lshlrev_b32_e32 v5, 16, v5
	v_or_b32_e32 v2, v3, v2
	s_delay_alu instid0(VALU_DEP_2)
	v_or_b32_e32 v46, v4, v5
.LBB231_97:
	s_or_b32 exec_lo, exec_lo, s1
	v_add_nc_u32_e32 v3, 11, v41
	v_mov_b32_e32 v45, 0
	s_mov_b32 s0, exec_lo
                                        ; implicit-def: $vgpr47
	s_delay_alu instid0(VALU_DEP_2)
	v_cmpx_le_u32_e64 s33, v3
	s_xor_b32 s0, exec_lo, s0
; %bb.98:
	v_and_b32_e32 v3, 0xff0000, v2
	v_perm_b32 v1, v1, v1, 0x3060504
	s_delay_alu instid0(VALU_DEP_2)
	v_perm_b32 v47, v2, v3, 0x3020504
                                        ; implicit-def: $vgpr2
; %bb.99:
	s_and_not1_saveexec_b32 s1, s0
	s_cbranch_execz .LBB231_103
; %bb.100:
	v_add_nc_u32_e32 v3, s17, v10
	v_add_nc_u32_e32 v4, s19, v10
	s_mov_b32 s2, 0
	s_mov_b32 s3, exec_lo
	s_delay_alu instid0(VALU_DEP_2) | instskip(NEXT) | instid1(VALU_DEP_2)
	v_mul_lo_u32 v3, v3, s16
	v_mul_lo_u32 v4, v4, s18
	s_delay_alu instid0(VALU_DEP_1) | instskip(NEXT) | instid1(VALU_DEP_1)
	v_sub_nc_u32_e32 v3, v3, v4
	v_cmp_lt_u32_e32 vcc_lo, s20, v3
	v_cmpx_ge_u32_e64 s20, v3
	s_cbranch_execz .LBB231_102
; %bb.101:
	v_add_nc_u32_e32 v3, s22, v10
	v_add_nc_u32_e32 v4, s42, v10
	s_delay_alu instid0(VALU_DEP_2) | instskip(NEXT) | instid1(VALU_DEP_2)
	v_mul_lo_u32 v3, v3, s21
	v_mul_lo_u32 v4, v4, s23
	s_delay_alu instid0(VALU_DEP_1) | instskip(NEXT) | instid1(VALU_DEP_1)
	v_sub_nc_u32_e32 v3, v3, v4
	v_cmp_lt_u32_e64 s0, s43, v3
	s_and_b32 s2, s0, exec_lo
.LBB231_102:
	s_wait_alu 0xfffe
	s_or_b32 exec_lo, exec_lo, s3
	v_lshrrev_b32_e32 v3, 8, v2
	s_wait_alu 0xfffd
	v_cndmask_b32_e64 v4, 0, 1, vcc_lo
	v_lshrrev_b32_e32 v5, 16, v2
	v_and_b32_e32 v2, 0xff, v2
	v_cndmask_b32_e64 v45, 0, 1, s2
	v_lshlrev_b16 v3, 8, v3
	v_lshlrev_b16 v4, 8, v4
	v_and_b32_e32 v5, 0xff, v5
	s_delay_alu instid0(VALU_DEP_3) | instskip(NEXT) | instid1(VALU_DEP_2)
	v_or_b32_e32 v2, v2, v3
	v_or_b32_e32 v3, v5, v4
	s_delay_alu instid0(VALU_DEP_2) | instskip(NEXT) | instid1(VALU_DEP_2)
	v_and_b32_e32 v2, 0xffff, v2
	v_lshlrev_b32_e32 v3, 16, v3
	s_delay_alu instid0(VALU_DEP_1)
	v_or_b32_e32 v47, v2, v3
.LBB231_103:
	s_or_b32 exec_lo, exec_lo, s1
	v_add_nc_u32_e32 v4, 12, v41
	v_lshrrev_b32_e32 v2, 8, v1
	v_lshrrev_b32_e32 v3, 16, v1
	;; [unrolled: 1-line block ×3, first 2 shown]
	s_mov_b32 s0, exec_lo
                                        ; implicit-def: $vgpr49
	v_cmpx_le_u32_e64 s33, v4
	s_xor_b32 s0, exec_lo, s0
	s_cbranch_execz .LBB231_105
; %bb.104:
	v_lshlrev_b16 v1, 8, v1
	v_and_b32_e32 v3, 0xff, v3
	v_lshlrev_b16 v2, 8, v2
	s_delay_alu instid0(VALU_DEP_2) | instskip(NEXT) | instid1(VALU_DEP_2)
	v_or_b32_e32 v1, v3, v1
	v_and_b32_e32 v2, 0xffff, v2
                                        ; implicit-def: $vgpr3
	s_delay_alu instid0(VALU_DEP_2) | instskip(NEXT) | instid1(VALU_DEP_1)
	v_lshlrev_b32_e32 v1, 16, v1
	v_or_b32_e32 v49, v2, v1
                                        ; implicit-def: $vgpr1
                                        ; implicit-def: $vgpr2
.LBB231_105:
	s_or_saveexec_b32 s1, s0
	v_mov_b32_e32 v48, 0
	s_xor_b32 exec_lo, exec_lo, s1
	s_cbranch_execz .LBB231_109
; %bb.106:
	v_add_nc_u32_e32 v4, s17, v40
	v_add_nc_u32_e32 v5, s19, v40
	s_mov_b32 s2, 0
	s_mov_b32 s3, exec_lo
	s_delay_alu instid0(VALU_DEP_2) | instskip(NEXT) | instid1(VALU_DEP_2)
	v_mul_lo_u32 v4, v4, s16
	v_mul_lo_u32 v5, v5, s18
	s_delay_alu instid0(VALU_DEP_1) | instskip(NEXT) | instid1(VALU_DEP_1)
	v_sub_nc_u32_e32 v4, v4, v5
	v_cmp_lt_u32_e32 vcc_lo, s20, v4
	v_cmpx_ge_u32_e64 s20, v4
	s_cbranch_execz .LBB231_108
; %bb.107:
	v_add_nc_u32_e32 v4, s22, v40
	v_add_nc_u32_e32 v5, s42, v40
	s_delay_alu instid0(VALU_DEP_2) | instskip(NEXT) | instid1(VALU_DEP_2)
	v_mul_lo_u32 v4, v4, s21
	v_mul_lo_u32 v5, v5, s23
	s_delay_alu instid0(VALU_DEP_1) | instskip(NEXT) | instid1(VALU_DEP_1)
	v_sub_nc_u32_e32 v4, v4, v5
	v_cmp_lt_u32_e64 s0, s43, v4
	s_and_b32 s2, s0, exec_lo
.LBB231_108:
	s_wait_alu 0xfffe
	s_or_b32 exec_lo, exec_lo, s3
	s_wait_alu 0xfffd
	v_cndmask_b32_e64 v4, 0, 1, vcc_lo
	v_lshlrev_b16 v1, 8, v1
	v_and_b32_e32 v3, 0xff, v3
	v_lshlrev_b16 v2, 8, v2
	v_cndmask_b32_e64 v48, 0, 1, s2
	s_delay_alu instid0(VALU_DEP_3) | instskip(NEXT) | instid1(VALU_DEP_3)
	v_or_b32_e32 v1, v3, v1
	v_or_b32_e32 v2, v4, v2
	s_delay_alu instid0(VALU_DEP_2) | instskip(NEXT) | instid1(VALU_DEP_2)
	v_lshlrev_b32_e32 v1, 16, v1
	v_and_b32_e32 v2, 0xffff, v2
	s_delay_alu instid0(VALU_DEP_1)
	v_or_b32_e32 v49, v2, v1
.LBB231_109:
	s_or_b32 exec_lo, exec_lo, s1
.LBB231_110:
	v_and_b32_e32 v72, 0xff, v42
	s_delay_alu instid0(VALU_DEP_2)
	v_bfe_u32 v73, v49, 8, 8
	v_bfe_u32 v70, v42, 8, 8
	;; [unrolled: 1-line block ×4, first 2 shown]
	v_lshrrev_b32_e32 v55, 24, v49
	v_lshrrev_b32_e32 v54, 24, v42
	v_and_b32_e32 v68, 0xff, v43
	v_and_b32_e32 v66, 0xff, v44
	v_bfe_u32 v67, v43, 8, 8
	v_add3_u32 v1, v70, v72, v69
	v_add3_u32 v2, v71, v73, v55
	v_bfe_u32 v64, v44, 8, 8
	v_bfe_u32 v65, v43, 16, 8
	;; [unrolled: 1-line block ×3, first 2 shown]
	v_lshrrev_b32_e32 v53, 24, v43
	v_add3_u32 v1, v1, v54, v66
	v_add3_u32 v2, v2, v68, v67
	v_lshrrev_b32_e32 v52, 24, v44
	v_and_b32_e32 v63, 0xff, v46
	v_and_b32_e32 v61, 0xff, v47
	v_bfe_u32 v62, v46, 8, 8
	v_add3_u32 v1, v1, v64, v59
	v_add3_u32 v2, v2, v65, v53
	v_bfe_u32 v58, v47, 8, 8
	v_bfe_u32 v60, v46, 16, 8
	;; [unrolled: 1-line block ×3, first 2 shown]
	v_lshrrev_b32_e32 v51, 24, v46
	v_add3_u32 v1, v1, v52, v61
	v_add3_u32 v2, v2, v63, v62
	v_mbcnt_lo_u32_b32 v74, -1, 0
	v_lshrrev_b32_e32 v50, 24, v47
	v_and_b32_e32 v57, 0xff, v45
	v_and_b32_e32 v3, 0xff, v49
	;; [unrolled: 1-line block ×3, first 2 shown]
	v_add3_u32 v1, v1, v58, v56
	v_add3_u32 v2, v2, v60, v51
	v_and_b32_e32 v76, 15, v74
	v_and_b32_e32 v78, 16, v74
	v_lshrrev_b32_e32 v75, 5, v0
	v_add3_u32 v79, v1, v50, v3
	v_add3_u32 v80, v2, v57, v4
	v_cmp_eq_u32_e64 s1, 0, v76
	v_cmp_lt_u32_e64 s0, 1, v76
	v_cmp_lt_u32_e64 s2, 3, v76
	v_or_b32_e32 v77, 31, v0
	s_cmp_lg_u32 ttmp9, 0
	s_mov_b32 s3, -1
	v_cmp_lt_u32_e32 vcc_lo, 7, v76
	s_cbranch_scc0 .LBB231_131
; %bb.111:
	v_mov_b32_dpp v2, v79 row_shr:1 row_mask:0xf bank_mask:0xf
	v_mov_b32_dpp v1, v80 row_shr:1 row_mask:0xf bank_mask:0xf
	s_mov_b32 s3, exec_lo
	s_delay_alu instid0(VALU_DEP_2) | instskip(NEXT) | instid1(VALU_DEP_2)
	v_add_nc_u32_e32 v2, v2, v79
	v_add_nc_u32_e32 v1, v1, v80
	s_delay_alu instid0(VALU_DEP_2) | instskip(NEXT) | instid1(VALU_DEP_2)
	v_cndmask_b32_e64 v2, v2, v79, s1
	v_cndmask_b32_e64 v1, v1, v80, s1
	s_delay_alu instid0(VALU_DEP_2) | instskip(NEXT) | instid1(VALU_DEP_2)
	v_mov_b32_dpp v4, v2 row_shr:2 row_mask:0xf bank_mask:0xf
	v_mov_b32_dpp v3, v1 row_shr:2 row_mask:0xf bank_mask:0xf
	s_delay_alu instid0(VALU_DEP_2) | instskip(NEXT) | instid1(VALU_DEP_1)
	v_add_nc_u32_e32 v4, v2, v4
	v_cndmask_b32_e64 v2, v2, v4, s0
	s_delay_alu instid0(VALU_DEP_1) | instskip(NEXT) | instid1(VALU_DEP_1)
	v_mov_b32_dpp v4, v2 row_shr:4 row_mask:0xf bank_mask:0xf
	v_add_nc_u32_e32 v4, v2, v4
	s_wait_alu 0xf1ff
	s_delay_alu instid0(VALU_DEP_1) | instskip(NEXT) | instid1(VALU_DEP_1)
	v_cndmask_b32_e64 v2, v2, v4, s2
	v_mov_b32_dpp v4, v2 row_shr:8 row_mask:0xf bank_mask:0xf
	s_delay_alu instid0(VALU_DEP_1) | instskip(SKIP_1) | instid1(VALU_DEP_1)
	v_add_nc_u32_e32 v4, v2, v4
	s_wait_alu 0xfffd
	v_dual_cndmask_b32 v2, v2, v4 :: v_dual_add_nc_u32 v3, v1, v3
	s_delay_alu instid0(VALU_DEP_1) | instskip(SKIP_2) | instid1(VALU_DEP_1)
	v_cndmask_b32_e64 v1, v1, v3, s0
	ds_swizzle_b32 v4, v2 offset:swizzle(BROADCAST,32,15)
	v_mov_b32_dpp v3, v1 row_shr:4 row_mask:0xf bank_mask:0xf
	v_add_nc_u32_e32 v3, v1, v3
	s_delay_alu instid0(VALU_DEP_1) | instskip(NEXT) | instid1(VALU_DEP_1)
	v_cndmask_b32_e64 v1, v1, v3, s2
	v_mov_b32_dpp v3, v1 row_shr:8 row_mask:0xf bank_mask:0xf
	s_wait_dscnt 0x0
	v_add_nc_u32_e32 v4, v2, v4
	s_delay_alu instid0(VALU_DEP_2) | instskip(NEXT) | instid1(VALU_DEP_1)
	v_add_nc_u32_e32 v3, v1, v3
	v_cndmask_b32_e32 v1, v1, v3, vcc_lo
	v_cmp_eq_u32_e32 vcc_lo, 0, v78
	ds_swizzle_b32 v3, v1 offset:swizzle(BROADCAST,32,15)
	s_wait_dscnt 0x0
	v_add_nc_u32_e32 v3, v1, v3
	v_cmpx_eq_u32_e64 v0, v77
; %bb.112:
	s_wait_alu 0xfffd
	s_delay_alu instid0(VALU_DEP_2)
	v_dual_cndmask_b32 v6, v3, v1 :: v_dual_lshlrev_b32 v7, 3, v75
	v_cndmask_b32_e32 v5, v4, v2, vcc_lo
	ds_store_b64 v7, v[5:6]
; %bb.113:
	s_wait_alu 0xfffe
	s_or_b32 exec_lo, exec_lo, s3
	s_delay_alu instid0(SALU_CYCLE_1)
	s_mov_b32 s3, exec_lo
	s_wait_loadcnt_dscnt 0x0
	s_barrier_signal -1
	s_barrier_wait -1
	global_inv scope:SCOPE_SE
	v_cmpx_gt_u32_e32 8, v0
	s_cbranch_execz .LBB231_115
; %bb.114:
	v_lshlrev_b32_e32 v7, 3, v0
	v_and_b32_e32 v22, 7, v74
	ds_load_b64 v[5:6], v7
	v_cmp_eq_u32_e64 s2, 0, v22
	s_wait_dscnt 0x0
	v_mov_b32_dpp v8, v5 row_shr:1 row_mask:0xf bank_mask:0xf
	v_mov_b32_dpp v21, v6 row_shr:1 row_mask:0xf bank_mask:0xf
	s_delay_alu instid0(VALU_DEP_2) | instskip(NEXT) | instid1(VALU_DEP_2)
	v_add_nc_u32_e32 v8, v8, v5
	v_add_nc_u32_e32 v21, v21, v6
	s_wait_alu 0xf1ff
	s_delay_alu instid0(VALU_DEP_2) | instskip(NEXT) | instid1(VALU_DEP_2)
	v_cndmask_b32_e64 v5, v8, v5, s2
	v_cndmask_b32_e64 v6, v21, v6, s2
	v_cmp_lt_u32_e64 s2, 1, v22
	s_delay_alu instid0(VALU_DEP_3) | instskip(NEXT) | instid1(VALU_DEP_3)
	v_mov_b32_dpp v8, v5 row_shr:2 row_mask:0xf bank_mask:0xf
	v_mov_b32_dpp v21, v6 row_shr:2 row_mask:0xf bank_mask:0xf
	s_delay_alu instid0(VALU_DEP_2) | instskip(NEXT) | instid1(VALU_DEP_2)
	v_add_nc_u32_e32 v8, v5, v8
	v_add_nc_u32_e32 v21, v6, v21
	s_wait_alu 0xf1ff
	s_delay_alu instid0(VALU_DEP_2) | instskip(NEXT) | instid1(VALU_DEP_2)
	v_cndmask_b32_e64 v5, v5, v8, s2
	v_cndmask_b32_e64 v6, v6, v21, s2
	v_cmp_lt_u32_e64 s2, 3, v22
	s_delay_alu instid0(VALU_DEP_3) | instskip(NEXT) | instid1(VALU_DEP_3)
	v_mov_b32_dpp v8, v5 row_shr:4 row_mask:0xf bank_mask:0xf
	v_mov_b32_dpp v21, v6 row_shr:4 row_mask:0xf bank_mask:0xf
	s_wait_alu 0xf1ff
	s_delay_alu instid0(VALU_DEP_2) | instskip(NEXT) | instid1(VALU_DEP_2)
	v_cndmask_b32_e64 v8, 0, v8, s2
	v_cndmask_b32_e64 v21, 0, v21, s2
	s_delay_alu instid0(VALU_DEP_2) | instskip(NEXT) | instid1(VALU_DEP_2)
	v_add_nc_u32_e32 v5, v8, v5
	v_add_nc_u32_e32 v6, v21, v6
	ds_store_b64 v7, v[5:6]
.LBB231_115:
	s_wait_alu 0xfffe
	s_or_b32 exec_lo, exec_lo, s3
	v_dual_cndmask_b32 v1, v3, v1 :: v_dual_cndmask_b32 v2, v4, v2
	s_mov_b32 s3, exec_lo
	v_cmp_gt_u32_e32 vcc_lo, 32, v0
	s_wait_loadcnt_dscnt 0x0
	s_barrier_signal -1
	s_barrier_wait -1
	global_inv scope:SCOPE_SE
                                        ; implicit-def: $vgpr21
	v_cmpx_lt_u32_e32 31, v0
	s_cbranch_execz .LBB231_117
; %bb.116:
	v_lshl_add_u32 v3, v75, 3, -8
	ds_load_b64 v[21:22], v3
	s_wait_dscnt 0x0
	v_add_nc_u32_e32 v1, v22, v1
	v_add_nc_u32_e32 v2, v21, v2
.LBB231_117:
	s_wait_alu 0xfffe
	s_or_b32 exec_lo, exec_lo, s3
	v_sub_co_u32 v3, s2, v74, 1
	s_delay_alu instid0(VALU_DEP_1) | instskip(SKIP_1) | instid1(VALU_DEP_1)
	v_cmp_gt_i32_e64 s3, 0, v3
	s_wait_alu 0xf1ff
	v_cndmask_b32_e64 v3, v3, v74, s3
	s_delay_alu instid0(VALU_DEP_1)
	v_lshlrev_b32_e32 v3, 2, v3
	ds_bpermute_b32 v81, v3, v2
	ds_bpermute_b32 v82, v3, v1
	s_and_saveexec_b32 s3, vcc_lo
	s_cbranch_execz .LBB231_136
; %bb.118:
	v_mov_b32_e32 v4, 0
	ds_load_b64 v[1:2], v4 offset:56
	s_and_saveexec_b32 s6, s2
	s_cbranch_execz .LBB231_120
; %bb.119:
	s_add_co_i32 s8, ttmp9, 32
	s_mov_b32 s9, 0
	s_wait_alu 0xfffe
	s_lshl_b64 s[8:9], s[8:9], 4
	s_wait_kmcnt 0x0
	s_wait_alu 0xfffe
	s_add_nc_u64 s[8:9], s[4:5], s[8:9]
	v_mov_b32_e32 v3, 1
	s_wait_alu 0xfffe
	v_dual_mov_b32 v5, s8 :: v_dual_mov_b32 v6, s9
	s_wait_dscnt 0x0
	;;#ASMSTART
	global_store_b128 v[5:6], v[1:4] off scope:SCOPE_DEV	
s_wait_storecnt 0x0
	;;#ASMEND
.LBB231_120:
	s_wait_alu 0xfffe
	s_or_b32 exec_lo, exec_lo, s6
	v_xad_u32 v23, v74, -1, ttmp9
	s_mov_b32 s7, 0
	s_mov_b32 s6, exec_lo
	s_delay_alu instid0(VALU_DEP_1) | instskip(NEXT) | instid1(VALU_DEP_1)
	v_add_nc_u32_e32 v3, 32, v23
	v_lshlrev_b64_e32 v[3:4], 4, v[3:4]
	s_wait_kmcnt 0x0
	s_delay_alu instid0(VALU_DEP_1) | instskip(SKIP_1) | instid1(VALU_DEP_2)
	v_add_co_u32 v3, vcc_lo, s4, v3
	s_wait_alu 0xfffd
	v_add_co_ci_u32_e64 v4, null, s5, v4, vcc_lo
	;;#ASMSTART
	global_load_b128 v[5:8], v[3:4] off scope:SCOPE_DEV	
s_wait_loadcnt 0x0
	;;#ASMEND
	v_and_b32_e32 v8, 0xff, v7
	s_delay_alu instid0(VALU_DEP_1)
	v_cmpx_eq_u16_e32 0, v8
	s_cbranch_execz .LBB231_123
.LBB231_121:                            ; =>This Inner Loop Header: Depth=1
	;;#ASMSTART
	global_load_b128 v[5:8], v[3:4] off scope:SCOPE_DEV	
s_wait_loadcnt 0x0
	;;#ASMEND
	v_and_b32_e32 v8, 0xff, v7
	s_delay_alu instid0(VALU_DEP_1)
	v_cmp_ne_u16_e32 vcc_lo, 0, v8
	s_wait_alu 0xfffe
	s_or_b32 s7, vcc_lo, s7
	s_wait_alu 0xfffe
	s_and_not1_b32 exec_lo, exec_lo, s7
	s_cbranch_execnz .LBB231_121
; %bb.122:
	s_or_b32 exec_lo, exec_lo, s7
.LBB231_123:
	s_wait_alu 0xfffe
	s_or_b32 exec_lo, exec_lo, s6
	v_cmp_ne_u32_e32 vcc_lo, 31, v74
	v_lshlrev_b32_e64 v84, v74, -1
	v_add_nc_u32_e32 v86, 2, v74
	v_add_nc_u32_e32 v88, 4, v74
	;; [unrolled: 1-line block ×3, first 2 shown]
	s_wait_alu 0xfffd
	v_add_co_ci_u32_e64 v3, null, 0, v74, vcc_lo
	v_lshl_or_b32 v91, v74, 2, 64
	v_add_nc_u32_e32 v92, 16, v74
	s_delay_alu instid0(VALU_DEP_3)
	v_lshlrev_b32_e32 v83, 2, v3
	v_and_b32_e32 v3, 0xff, v7
	ds_bpermute_b32 v4, v83, v6
	v_cmp_eq_u16_e32 vcc_lo, 2, v3
	s_wait_alu 0xfffd
	v_and_b32_e32 v8, vcc_lo, v84
	v_cmp_gt_u32_e32 vcc_lo, 30, v74
	s_delay_alu instid0(VALU_DEP_2) | instskip(SKIP_2) | instid1(VALU_DEP_2)
	v_or_b32_e32 v8, 0x80000000, v8
	s_wait_alu 0xfffd
	v_cndmask_b32_e64 v24, 0, 2, vcc_lo
	v_ctz_i32_b32_e32 v8, v8
	s_delay_alu instid0(VALU_DEP_2) | instskip(SKIP_2) | instid1(VALU_DEP_3)
	v_add_lshl_u32 v85, v24, v74, 2
	s_wait_dscnt 0x0
	v_add_nc_u32_e32 v4, v4, v6
	v_cmp_lt_u32_e32 vcc_lo, v74, v8
	s_wait_alu 0xfffd
	s_delay_alu instid0(VALU_DEP_2) | instskip(SKIP_3) | instid1(VALU_DEP_1)
	v_cndmask_b32_e32 v4, v6, v4, vcc_lo
	ds_bpermute_b32 v3, v83, v5
	s_wait_dscnt 0x0
	v_add_nc_u32_e32 v3, v3, v5
	v_cndmask_b32_e32 v3, v5, v3, vcc_lo
	ds_bpermute_b32 v5, v85, v4
	v_cmp_gt_u32_e32 vcc_lo, 28, v74
	ds_bpermute_b32 v6, v85, v3
	s_wait_alu 0xfffd
	v_cndmask_b32_e64 v24, 0, 4, vcc_lo
	v_cmp_gt_u32_e32 vcc_lo, v86, v8
	s_delay_alu instid0(VALU_DEP_2)
	v_add_lshl_u32 v87, v24, v74, 2
	s_wait_dscnt 0x1
	v_add_nc_u32_e32 v5, v4, v5
	s_wait_dscnt 0x0
	v_add_nc_u32_e32 v6, v3, v6
	s_wait_alu 0xfffd
	s_delay_alu instid0(VALU_DEP_1)
	v_dual_cndmask_b32 v4, v5, v4 :: v_dual_cndmask_b32 v3, v6, v3
	ds_bpermute_b32 v5, v87, v4
	v_cmp_gt_u32_e32 vcc_lo, 24, v74
	ds_bpermute_b32 v6, v87, v3
	s_wait_alu 0xfffd
	v_cndmask_b32_e64 v24, 0, 8, vcc_lo
	v_cmp_gt_u32_e32 vcc_lo, v88, v8
	s_delay_alu instid0(VALU_DEP_2)
	v_add_lshl_u32 v89, v24, v74, 2
	s_wait_dscnt 0x1
	v_dual_mov_b32 v24, 0 :: v_dual_add_nc_u32 v5, v4, v5
	s_wait_dscnt 0x0
	v_add_nc_u32_e32 v6, v3, v6
	s_wait_alu 0xfffd
	s_delay_alu instid0(VALU_DEP_1)
	v_dual_cndmask_b32 v4, v5, v4 :: v_dual_cndmask_b32 v3, v6, v3
	ds_bpermute_b32 v5, v89, v4
	v_cmp_gt_u32_e32 vcc_lo, v90, v8
	ds_bpermute_b32 v6, v89, v3
	s_wait_dscnt 0x1
	v_add_nc_u32_e32 v5, v4, v5
	s_wait_dscnt 0x0
	v_add_nc_u32_e32 v6, v3, v6
	s_wait_alu 0xfffd
	s_delay_alu instid0(VALU_DEP_1)
	v_dual_cndmask_b32 v4, v5, v4 :: v_dual_cndmask_b32 v3, v6, v3
	ds_bpermute_b32 v6, v91, v4
	v_cmp_le_u32_e32 vcc_lo, v92, v8
	ds_bpermute_b32 v5, v91, v3
	s_wait_dscnt 0x0
	s_wait_alu 0xfffd
	v_dual_cndmask_b32 v6, 0, v6 :: v_dual_cndmask_b32 v5, 0, v5
	s_delay_alu instid0(VALU_DEP_1) | instskip(NEXT) | instid1(VALU_DEP_2)
	v_add_nc_u32_e32 v6, v6, v4
	v_add_nc_u32_e32 v5, v5, v3
	s_branch .LBB231_127
.LBB231_124:                            ;   in Loop: Header=BB231_127 Depth=1
	s_or_b32 exec_lo, exec_lo, s7
.LBB231_125:                            ;   in Loop: Header=BB231_127 Depth=1
	s_wait_alu 0xfffe
	s_or_b32 exec_lo, exec_lo, s6
	ds_bpermute_b32 v8, v83, v5
	ds_bpermute_b32 v25, v83, v6
	v_subrev_nc_u32_e32 v23, 32, v23
	s_mov_b32 s6, 0
	s_wait_dscnt 0x1
	v_add_nc_u32_e32 v8, v8, v5
	v_and_b32_e32 v26, 0xff, v7
	s_wait_dscnt 0x0
	v_add_nc_u32_e32 v25, v25, v6
	s_delay_alu instid0(VALU_DEP_2) | instskip(SKIP_2) | instid1(VALU_DEP_1)
	v_cmp_eq_u16_e32 vcc_lo, 2, v26
	s_wait_alu 0xfffd
	v_and_or_b32 v26, vcc_lo, v84, 0x80000000
	v_ctz_i32_b32_e32 v26, v26
	s_delay_alu instid0(VALU_DEP_1)
	v_cmp_lt_u32_e32 vcc_lo, v74, v26
	s_wait_alu 0xfffd
	v_dual_cndmask_b32 v6, v6, v25 :: v_dual_cndmask_b32 v5, v5, v8
	v_cmp_gt_u32_e32 vcc_lo, v86, v26
	ds_bpermute_b32 v25, v85, v6
	ds_bpermute_b32 v8, v85, v5
	s_wait_dscnt 0x1
	v_add_nc_u32_e32 v25, v6, v25
	s_wait_dscnt 0x0
	v_add_nc_u32_e32 v8, v5, v8
	s_wait_alu 0xfffd
	s_delay_alu instid0(VALU_DEP_1)
	v_dual_cndmask_b32 v6, v25, v6 :: v_dual_cndmask_b32 v5, v8, v5
	v_cmp_gt_u32_e32 vcc_lo, v88, v26
	ds_bpermute_b32 v25, v87, v6
	ds_bpermute_b32 v8, v87, v5
	s_wait_dscnt 0x1
	v_add_nc_u32_e32 v25, v6, v25
	s_wait_dscnt 0x0
	v_add_nc_u32_e32 v8, v5, v8
	s_wait_alu 0xfffd
	s_delay_alu instid0(VALU_DEP_1)
	;; [unrolled: 10-line block ×3, first 2 shown]
	v_dual_cndmask_b32 v6, v25, v6 :: v_dual_cndmask_b32 v5, v8, v5
	v_cmp_le_u32_e32 vcc_lo, v92, v26
	ds_bpermute_b32 v25, v91, v6
	ds_bpermute_b32 v8, v91, v5
	s_wait_dscnt 0x0
	s_wait_alu 0xfffd
	v_dual_cndmask_b32 v25, 0, v25 :: v_dual_cndmask_b32 v8, 0, v8
	s_delay_alu instid0(VALU_DEP_1) | instskip(NEXT) | instid1(VALU_DEP_2)
	v_add3_u32 v6, v6, v4, v25
	v_add3_u32 v5, v5, v3, v8
.LBB231_126:                            ;   in Loop: Header=BB231_127 Depth=1
	s_wait_alu 0xfffe
	s_and_b32 vcc_lo, exec_lo, s6
	s_wait_alu 0xfffe
	s_cbranch_vccnz .LBB231_132
.LBB231_127:                            ; =>This Loop Header: Depth=1
                                        ;     Child Loop BB231_130 Depth 2
	v_and_b32_e32 v3, 0xff, v7
	s_mov_b32 s6, -1
                                        ; implicit-def: $vgpr7
	s_delay_alu instid0(VALU_DEP_1)
	v_cmp_ne_u16_e32 vcc_lo, 2, v3
	v_dual_mov_b32 v3, v5 :: v_dual_mov_b32 v4, v6
                                        ; implicit-def: $vgpr5_vgpr6
	s_cmp_lg_u32 vcc_lo, exec_lo
	s_cbranch_scc1 .LBB231_126
; %bb.128:                              ;   in Loop: Header=BB231_127 Depth=1
	v_lshlrev_b64_e32 v[5:6], 4, v[23:24]
	s_mov_b32 s6, exec_lo
	s_delay_alu instid0(VALU_DEP_1) | instskip(SKIP_1) | instid1(VALU_DEP_2)
	v_add_co_u32 v25, vcc_lo, s4, v5
	s_wait_alu 0xfffd
	v_add_co_ci_u32_e64 v26, null, s5, v6, vcc_lo
	;;#ASMSTART
	global_load_b128 v[5:8], v[25:26] off scope:SCOPE_DEV	
s_wait_loadcnt 0x0
	;;#ASMEND
	v_and_b32_e32 v8, 0xff, v7
	s_delay_alu instid0(VALU_DEP_1)
	v_cmpx_eq_u16_e32 0, v8
	s_cbranch_execz .LBB231_125
; %bb.129:                              ;   in Loop: Header=BB231_127 Depth=1
	s_mov_b32 s7, 0
.LBB231_130:                            ;   Parent Loop BB231_127 Depth=1
                                        ; =>  This Inner Loop Header: Depth=2
	;;#ASMSTART
	global_load_b128 v[5:8], v[25:26] off scope:SCOPE_DEV	
s_wait_loadcnt 0x0
	;;#ASMEND
	v_and_b32_e32 v8, 0xff, v7
	s_delay_alu instid0(VALU_DEP_1)
	v_cmp_ne_u16_e32 vcc_lo, 0, v8
	s_wait_alu 0xfffe
	s_or_b32 s7, vcc_lo, s7
	s_wait_alu 0xfffe
	s_and_not1_b32 exec_lo, exec_lo, s7
	s_cbranch_execnz .LBB231_130
	s_branch .LBB231_124
.LBB231_131:
                                        ; implicit-def: $vgpr81
                                        ; implicit-def: $vgpr3
                                        ; implicit-def: $vgpr82
	s_wait_alu 0xfffe
	s_and_b32 vcc_lo, exec_lo, s3
	s_wait_alu 0xfffe
	s_cbranch_vccnz .LBB231_137
	s_branch .LBB231_146
.LBB231_132:
	s_and_saveexec_b32 s6, s2
	s_cbranch_execnz .LBB231_374
; %bb.133:
	s_wait_alu 0xfffe
	s_or_b32 exec_lo, exec_lo, s6
	s_and_saveexec_b32 s6, s2
	s_cbranch_execnz .LBB231_375
.LBB231_134:
	s_wait_alu 0xfffe
	s_or_b32 exec_lo, exec_lo, s6
	v_cmp_eq_u32_e32 vcc_lo, 0, v0
	s_and_b32 exec_lo, exec_lo, vcc_lo
.LBB231_135:
	v_mov_b32_e32 v1, 0
	ds_store_b64 v1, v[3:4] offset:56
.LBB231_136:
	s_wait_alu 0xfffe
	s_or_b32 exec_lo, exec_lo, s3
	s_wait_dscnt 0x0
	v_cndmask_b32_e64 v8, v82, v22, s2
	v_mov_b32_e32 v1, 0
	s_wait_loadcnt 0x0
	s_barrier_signal -1
	s_barrier_wait -1
	global_inv scope:SCOPE_SE
	ds_load_b64 v[5:6], v1 offset:56
	s_wait_loadcnt_dscnt 0x0
	s_barrier_signal -1
	s_barrier_wait -1
	global_inv scope:SCOPE_SE
	v_cndmask_b32_e64 v7, v81, v21, s2
	v_cmp_eq_u32_e32 vcc_lo, 0, v0
	v_add_nc_u32_e32 v8, v6, v8
	ds_load_b128 v[1:4], v1 offset:13312
	v_add_nc_u32_e32 v7, v5, v7
	s_wait_alu 0xfffd
	s_delay_alu instid0(VALU_DEP_1)
	v_dual_cndmask_b32 v81, v8, v6 :: v_dual_cndmask_b32 v82, v7, v5
	s_branch .LBB231_146
.LBB231_137:
	s_wait_dscnt 0x0
	v_mov_b32_dpp v2, v80 row_shr:1 row_mask:0xf bank_mask:0xf
	v_cmp_lt_u32_e32 vcc_lo, 3, v76
	v_mov_b32_dpp v1, v79 row_shr:1 row_mask:0xf bank_mask:0xf
	s_delay_alu instid0(VALU_DEP_3) | instskip(NEXT) | instid1(VALU_DEP_1)
	v_add_nc_u32_e32 v2, v2, v80
	v_cndmask_b32_e64 v2, v2, v80, s1
	s_delay_alu instid0(VALU_DEP_1) | instskip(NEXT) | instid1(VALU_DEP_1)
	v_mov_b32_dpp v4, v2 row_shr:2 row_mask:0xf bank_mask:0xf
	v_add_nc_u32_e32 v4, v2, v4
	s_delay_alu instid0(VALU_DEP_1) | instskip(NEXT) | instid1(VALU_DEP_1)
	v_cndmask_b32_e64 v2, v2, v4, s0
	v_mov_b32_dpp v4, v2 row_shr:4 row_mask:0xf bank_mask:0xf
	s_delay_alu instid0(VALU_DEP_1) | instskip(SKIP_1) | instid1(VALU_DEP_1)
	v_add_nc_u32_e32 v4, v2, v4
	s_wait_alu 0xfffd
	v_dual_cndmask_b32 v2, v2, v4 :: v_dual_add_nc_u32 v1, v1, v79
	s_delay_alu instid0(VALU_DEP_1) | instskip(SKIP_1) | instid1(VALU_DEP_2)
	v_cndmask_b32_e64 v1, v1, v79, s1
	s_mov_b32 s1, exec_lo
	v_mov_b32_dpp v4, v2 row_shr:8 row_mask:0xf bank_mask:0xf
	s_delay_alu instid0(VALU_DEP_2) | instskip(NEXT) | instid1(VALU_DEP_1)
	v_mov_b32_dpp v3, v1 row_shr:2 row_mask:0xf bank_mask:0xf
	v_add_nc_u32_e32 v3, v1, v3
	s_delay_alu instid0(VALU_DEP_1) | instskip(NEXT) | instid1(VALU_DEP_1)
	v_cndmask_b32_e64 v1, v1, v3, s0
	v_mov_b32_dpp v3, v1 row_shr:4 row_mask:0xf bank_mask:0xf
	s_delay_alu instid0(VALU_DEP_1) | instskip(NEXT) | instid1(VALU_DEP_1)
	v_add_nc_u32_e32 v3, v1, v3
	v_cndmask_b32_e32 v3, v1, v3, vcc_lo
	v_cmp_lt_u32_e32 vcc_lo, 7, v76
	s_delay_alu instid0(VALU_DEP_2) | instskip(NEXT) | instid1(VALU_DEP_1)
	v_mov_b32_dpp v1, v3 row_shr:8 row_mask:0xf bank_mask:0xf
	v_add_nc_u32_e32 v5, v3, v1
	v_add_nc_u32_e32 v1, v2, v4
	s_wait_alu 0xfffd
	s_delay_alu instid0(VALU_DEP_1) | instskip(NEXT) | instid1(VALU_DEP_3)
	v_cndmask_b32_e32 v1, v2, v1, vcc_lo
	v_cndmask_b32_e32 v2, v3, v5, vcc_lo
	v_cmp_eq_u32_e32 vcc_lo, 0, v78
	ds_swizzle_b32 v3, v1 offset:swizzle(BROADCAST,32,15)
	ds_swizzle_b32 v4, v2 offset:swizzle(BROADCAST,32,15)
	s_wait_dscnt 0x1
	v_add_nc_u32_e32 v3, v1, v3
	s_wait_dscnt 0x0
	v_add_nc_u32_e32 v4, v2, v4
	v_cmpx_eq_u32_e64 v0, v77
; %bb.138:
	s_wait_alu 0xfffd
	s_delay_alu instid0(VALU_DEP_2)
	v_dual_cndmask_b32 v5, v4, v2 :: v_dual_cndmask_b32 v6, v3, v1
	v_lshlrev_b32_e32 v7, 3, v75
	ds_store_b64 v7, v[5:6]
; %bb.139:
	s_wait_alu 0xfffe
	s_or_b32 exec_lo, exec_lo, s1
	s_delay_alu instid0(SALU_CYCLE_1)
	s_mov_b32 s1, exec_lo
	s_wait_loadcnt_dscnt 0x0
	s_barrier_signal -1
	s_barrier_wait -1
	global_inv scope:SCOPE_SE
	v_cmpx_gt_u32_e32 8, v0
	s_cbranch_execz .LBB231_141
; %bb.140:
	v_lshlrev_b32_e32 v7, 3, v0
	v_and_b32_e32 v22, 7, v74
	ds_load_b64 v[5:6], v7
	v_cmp_eq_u32_e64 s0, 0, v22
	s_wait_dscnt 0x0
	v_mov_b32_dpp v8, v5 row_shr:1 row_mask:0xf bank_mask:0xf
	v_mov_b32_dpp v21, v6 row_shr:1 row_mask:0xf bank_mask:0xf
	s_delay_alu instid0(VALU_DEP_2) | instskip(NEXT) | instid1(VALU_DEP_2)
	v_add_nc_u32_e32 v8, v8, v5
	v_add_nc_u32_e32 v21, v21, v6
	s_wait_alu 0xf1ff
	s_delay_alu instid0(VALU_DEP_2) | instskip(NEXT) | instid1(VALU_DEP_2)
	v_cndmask_b32_e64 v5, v8, v5, s0
	v_cndmask_b32_e64 v6, v21, v6, s0
	v_cmp_lt_u32_e64 s0, 1, v22
	s_delay_alu instid0(VALU_DEP_3) | instskip(NEXT) | instid1(VALU_DEP_3)
	v_mov_b32_dpp v8, v5 row_shr:2 row_mask:0xf bank_mask:0xf
	v_mov_b32_dpp v21, v6 row_shr:2 row_mask:0xf bank_mask:0xf
	s_delay_alu instid0(VALU_DEP_2) | instskip(NEXT) | instid1(VALU_DEP_2)
	v_add_nc_u32_e32 v8, v5, v8
	v_add_nc_u32_e32 v21, v6, v21
	s_wait_alu 0xf1ff
	s_delay_alu instid0(VALU_DEP_2) | instskip(NEXT) | instid1(VALU_DEP_2)
	v_cndmask_b32_e64 v5, v5, v8, s0
	v_cndmask_b32_e64 v6, v6, v21, s0
	v_cmp_lt_u32_e64 s0, 3, v22
	s_delay_alu instid0(VALU_DEP_3) | instskip(NEXT) | instid1(VALU_DEP_3)
	v_mov_b32_dpp v8, v5 row_shr:4 row_mask:0xf bank_mask:0xf
	v_mov_b32_dpp v21, v6 row_shr:4 row_mask:0xf bank_mask:0xf
	s_wait_alu 0xf1ff
	s_delay_alu instid0(VALU_DEP_2) | instskip(NEXT) | instid1(VALU_DEP_2)
	v_cndmask_b32_e64 v8, 0, v8, s0
	v_cndmask_b32_e64 v21, 0, v21, s0
	s_delay_alu instid0(VALU_DEP_2) | instskip(NEXT) | instid1(VALU_DEP_2)
	v_add_nc_u32_e32 v5, v8, v5
	v_add_nc_u32_e32 v6, v21, v6
	ds_store_b64 v7, v[5:6]
.LBB231_141:
	s_wait_alu 0xfffe
	s_or_b32 exec_lo, exec_lo, s1
	v_dual_mov_b32 v7, 0 :: v_dual_mov_b32 v6, 0
	v_mov_b32_e32 v5, 0
	s_mov_b32 s1, exec_lo
	s_wait_loadcnt_dscnt 0x0
	s_barrier_signal -1
	s_barrier_wait -1
	global_inv scope:SCOPE_SE
	v_cmpx_lt_u32_e32 31, v0
; %bb.142:
	v_lshl_add_u32 v5, v75, 3, -8
	ds_load_b64 v[5:6], v5
; %bb.143:
	s_wait_alu 0xfffe
	s_or_b32 exec_lo, exec_lo, s1
	v_sub_co_u32 v8, s0, v74, 1
	v_dual_cndmask_b32 v2, v4, v2 :: v_dual_cndmask_b32 v1, v3, v1
	v_cmp_eq_u32_e32 vcc_lo, 0, v0
	s_delay_alu instid0(VALU_DEP_3) | instskip(SKIP_1) | instid1(VALU_DEP_3)
	v_cmp_gt_i32_e64 s1, 0, v8
	s_wait_dscnt 0x0
	v_add_nc_u32_e32 v2, v5, v2
	v_add_nc_u32_e32 v1, v6, v1
	s_wait_alu 0xf1ff
	v_cndmask_b32_e64 v4, v8, v74, s1
	s_delay_alu instid0(VALU_DEP_1)
	v_lshlrev_b32_e32 v3, 2, v4
	ds_bpermute_b32 v8, v3, v2
	ds_bpermute_b32 v21, v3, v1
	ds_load_b64 v[1:2], v7 offset:56
	s_and_saveexec_b32 s1, vcc_lo
	s_cbranch_execz .LBB231_145
; %bb.144:
	s_wait_kmcnt 0x0
	s_add_nc_u64 s[2:3], s[4:5], 0x200
	v_dual_mov_b32 v3, 2 :: v_dual_mov_b32 v4, 0
	s_wait_alu 0xfffe
	v_dual_mov_b32 v23, s3 :: v_dual_mov_b32 v22, s2
	s_wait_dscnt 0x0
	;;#ASMSTART
	global_store_b128 v[22:23], v[1:4] off scope:SCOPE_DEV	
s_wait_storecnt 0x0
	;;#ASMEND
.LBB231_145:
	s_wait_alu 0xfffe
	s_or_b32 exec_lo, exec_lo, s1
	s_wait_dscnt 0x1
	v_cndmask_b32_e64 v3, v21, v6, s0
	v_cndmask_b32_e64 v5, v8, v5, s0
	v_mov_b32_e32 v4, 0
	s_wait_loadcnt_dscnt 0x0
	s_barrier_signal -1
	v_cndmask_b32_e64 v81, v3, 0, vcc_lo
	v_cndmask_b32_e64 v82, v5, 0, vcc_lo
	v_mov_b32_e32 v3, 0
	s_barrier_wait -1
	global_inv scope:SCOPE_SE
.LBB231_146:
	v_lshrrev_b32_e32 v77, 8, v49
	s_delay_alu instid0(VALU_DEP_2)
	v_add_nc_u32_e32 v73, v81, v73
	s_wait_dscnt 0x0
	v_sub_nc_u32_e32 v81, v81, v4
	v_lshlrev_b32_e32 v84, 1, v1
	v_lshrrev_b32_e32 v75, 16, v49
	v_and_b32_e32 v77, 1, v77
	v_add_nc_u32_e32 v71, v73, v71
	v_add_nc_u32_e32 v81, v81, v1
	v_add3_u32 v87, v84, v2, v41
	v_and_b32_e32 v75, 1, v75
	v_cmp_eq_u32_e32 vcc_lo, 1, v77
	v_add_nc_u32_e32 v72, v82, v72
	v_sub_nc_u32_e32 v82, v82, v3
	v_sub_nc_u32_e32 v73, v73, v4
	v_lshrrev_b32_e32 v76, 8, v42
	v_lshrrev_b32_e32 v74, 16, v42
	v_and_b32_e32 v42, 1, v42
	v_add_nc_u32_e32 v41, v82, v81
	v_add_nc_u32_e32 v73, v73, v1
	v_and_b32_e32 v76, 1, v76
	s_wait_kmcnt 0x0
	v_add_co_u32 v5, s0, s28, v3
	v_sub_nc_u32_e32 v41, v87, v41
	s_wait_alu 0xf1ff
	v_add_co_ci_u32_e64 v6, null, s29, 0, s0
	v_sub_co_u32 v80, s0, s30, v1
	s_wait_alu 0xfffd
	v_cndmask_b32_e32 v41, v41, v81, vcc_lo
	v_cmp_eq_u32_e32 vcc_lo, 1, v75
	v_add_nc_u32_e32 v78, v71, v55
	v_sub_nc_u32_e32 v71, v71, v4
	s_wait_alu 0xf1ff
	v_sub_co_ci_u32_e64 v83, null, s31, 0, s0
	v_and_b32_e32 v55, 1, v55
	v_and_b32_e32 v74, 1, v74
	v_add_nc_u32_e32 v71, v71, v1
	v_add_nc_u32_e32 v70, v72, v70
	v_sub_nc_u32_e32 v72, v72, v3
	v_lshrrev_b32_e32 v26, 8, v43
	v_lshrrev_b32_e32 v25, 16, v43
	v_and_b32_e32 v43, 1, v43
	v_lshrrev_b32_e32 v23, 16, v44
	v_add_nc_u32_e32 v88, v73, v72
	v_and_b32_e32 v26, 1, v26
	v_lshrrev_b32_e32 v24, 8, v44
	v_and_b32_e32 v44, 1, v44
	v_lshrrev_b32_e32 v8, 16, v46
	v_sub_nc_u32_e32 v88, v87, v88
	v_lshrrev_b32_e32 v22, 8, v46
	v_and_b32_e32 v24, 1, v24
	v_lshrrev_b32_e32 v21, 8, v47
	v_and_b32_e32 v8, 1, v8
	v_add_nc_u32_e32 v88, 1, v88
	v_and_b32_e32 v22, 1, v22
	v_lshrrev_b32_e32 v7, 16, v47
	s_mov_b32 s41, 0
	s_wait_alu 0xfffd
	v_cndmask_b32_e32 v73, v88, v73, vcc_lo
	v_cmp_eq_u32_e32 vcc_lo, 1, v42
	v_add_nc_u32_e32 v68, v78, v68
	v_and_b32_e32 v7, 1, v7
	s_wait_alu 0xfffd
	v_cndmask_b32_e32 v81, v41, v82, vcc_lo
	v_cmp_eq_u32_e32 vcc_lo, 1, v76
	v_add_nc_u32_e32 v69, v70, v69
	v_sub_nc_u32_e32 v70, v70, v3
	v_sub_nc_u32_e32 v76, v78, v4
	s_wait_alu 0xfffd
	v_dual_cndmask_b32 v72, v73, v72 :: v_dual_add_nc_u32 v67, v68, v67
	v_add_co_u32 v41, vcc_lo, v80, v4
	v_add_nc_u32_e32 v75, v71, v70
	s_wait_alu 0xfffd
	v_add_co_ci_u32_e64 v42, null, 0, v83, vcc_lo
	v_cmp_eq_u32_e32 vcc_lo, 1, v55
	v_add_nc_u32_e32 v79, v69, v54
	v_sub_nc_u32_e32 v73, v87, v75
	v_sub_nc_u32_e32 v69, v69, v3
	;; [unrolled: 1-line block ×3, first 2 shown]
	v_lshlrev_b32_e32 v75, 2, v81
	v_lshlrev_b32_e32 v72, 2, v72
	v_add_nc_u32_e32 v73, 2, v73
	ds_store_b32 v75, v19
	ds_store_b32 v72, v20
	s_wait_alu 0xfffd
	v_dual_cndmask_b32 v55, v73, v71 :: v_dual_add_nc_u32 v68, v68, v1
	v_add_nc_u32_e32 v71, v76, v1
	v_cmp_eq_u32_e32 vcc_lo, 1, v74
	v_and_b32_e32 v54, 1, v54
	s_delay_alu instid0(VALU_DEP_3) | instskip(SKIP_4) | instid1(VALU_DEP_3)
	v_add_nc_u32_e32 v73, v69, v71
	s_wait_alu 0xfffd
	v_cndmask_b32_e32 v55, v55, v70, vcc_lo
	v_sub_nc_u32_e32 v70, v79, v3
	v_cmp_eq_u32_e32 vcc_lo, 1, v43
	v_lshlrev_b32_e32 v19, 2, v55
	s_delay_alu instid0(VALU_DEP_3)
	v_add_nc_u32_e32 v20, v70, v68
	v_sub_nc_u32_e32 v55, v87, v73
	ds_store_b32 v19, v17
	v_sub_nc_u32_e32 v20, v87, v20
	v_add_nc_u32_e32 v55, 3, v55
	v_and_b32_e32 v19, 1, v25
	s_wait_alu 0xfffd
	s_delay_alu instid0(VALU_DEP_2) | instskip(SKIP_2) | instid1(VALU_DEP_2)
	v_dual_cndmask_b32 v43, v55, v71 :: v_dual_add_nc_u32 v20, 4, v20
	v_cmp_eq_u32_e32 vcc_lo, 1, v26
	s_wait_alu 0xfffd
	v_cndmask_b32_e32 v20, v20, v68, vcc_lo
	v_cmp_eq_u32_e32 vcc_lo, 1, v54
	s_wait_alu 0xfffd
	v_cndmask_b32_e32 v26, v43, v69, vcc_lo
	v_cmp_eq_u32_e32 vcc_lo, 1, v44
	v_add_nc_u32_e32 v65, v67, v65
	v_sub_nc_u32_e32 v67, v67, v4
	s_delay_alu instid0(VALU_DEP_4)
	v_lshlrev_b32_e32 v17, 2, v26
	s_wait_alu 0xfffd
	v_cndmask_b32_e32 v20, v20, v70, vcc_lo
	v_cmp_eq_u32_e32 vcc_lo, 1, v19
	v_add_nc_u32_e32 v67, v67, v1
	v_add_nc_u32_e32 v66, v79, v66
	;; [unrolled: 1-line block ×3, first 2 shown]
	v_sub_nc_u32_e32 v26, v65, v4
	v_lshlrev_b32_e32 v20, 2, v20
	ds_store_b32 v17, v18
	ds_store_b32 v20, v15
	v_add_nc_u32_e32 v64, v66, v64
	v_sub_nc_u32_e32 v66, v66, v3
	v_add_nc_u32_e32 v26, v26, v1
	v_add_nc_u32_e32 v63, v85, v63
	v_and_b32_e32 v20, 1, v53
	s_delay_alu instid0(VALU_DEP_4) | instskip(NEXT) | instid1(VALU_DEP_1)
	v_add_nc_u32_e32 v55, v66, v67
	v_sub_nc_u32_e32 v43, v87, v55
	s_delay_alu instid0(VALU_DEP_1) | instskip(SKIP_2) | instid1(VALU_DEP_2)
	v_add_nc_u32_e32 v25, 5, v43
	v_sub_nc_u32_e32 v43, v85, v4
	s_wait_alu 0xfffd
	v_cndmask_b32_e32 v19, v25, v67, vcc_lo
	v_cmp_eq_u32_e32 vcc_lo, 1, v24
	s_delay_alu instid0(VALU_DEP_3) | instskip(SKIP_1) | instid1(VALU_DEP_3)
	v_add_nc_u32_e32 v43, v43, v1
	s_wait_alu 0xfffd
	v_cndmask_b32_e32 v19, v19, v66, vcc_lo
	v_add_nc_u32_e32 v59, v64, v59
	v_sub_nc_u32_e32 v25, v64, v3
	v_cmp_eq_u32_e32 vcc_lo, 1, v20
	v_and_b32_e32 v20, 1, v52
	v_lshlrev_b32_e32 v15, 2, v19
	v_sub_nc_u32_e32 v24, v59, v3
	v_add_nc_u32_e32 v44, v25, v26
	v_add_nc_u32_e32 v86, v59, v52
	v_and_b32_e32 v19, 1, v23
	v_sub_nc_u32_e32 v23, v63, v4
	v_add_nc_u32_e32 v17, v24, v43
	v_sub_nc_u32_e32 v18, v87, v44
	v_and_b32_e32 v44, 1, v46
	v_sub_nc_u32_e32 v46, v86, v3
	v_add_nc_u32_e32 v23, v23, v1
	v_sub_nc_u32_e32 v17, v87, v17
	v_add_nc_u32_e32 v18, 6, v18
	v_add_nc_u32_e32 v61, v86, v61
	s_wait_alu 0xfffd
	s_delay_alu instid0(VALU_DEP_2)
	v_dual_cndmask_b32 v18, v18, v26 :: v_dual_add_nc_u32 v17, 7, v17
	v_cmp_eq_u32_e32 vcc_lo, 1, v44
	v_add_nc_u32_e32 v26, v46, v23
	v_add_nc_u32_e32 v58, v61, v58
	s_wait_alu 0xfffd
	v_cndmask_b32_e32 v17, v17, v43, vcc_lo
	v_cmp_eq_u32_e32 vcc_lo, 1, v19
	v_sub_nc_u32_e32 v19, v87, v26
	s_wait_alu 0xfffd
	v_cndmask_b32_e32 v18, v18, v25, vcc_lo
	v_cmp_eq_u32_e32 vcc_lo, 1, v20
	v_add_nc_u32_e32 v62, v63, v62
	v_add_nc_u32_e32 v19, 8, v19
	v_sub_nc_u32_e32 v25, v61, v3
	s_wait_alu 0xfffd
	v_dual_cndmask_b32 v17, v17, v24 :: v_dual_lshlrev_b32 v18, 2, v18
	v_sub_nc_u32_e32 v20, v62, v4
	v_and_b32_e32 v24, 1, v47
	v_cmp_eq_u32_e32 vcc_lo, 1, v22
	s_delay_alu instid0(VALU_DEP_4) | instskip(NEXT) | instid1(VALU_DEP_4)
	v_lshlrev_b32_e32 v17, 2, v17
	v_add_nc_u32_e32 v20, v20, v1
	ds_store_b32 v15, v16
	ds_store_b32 v18, v13
	;; [unrolled: 1-line block ×3, first 2 shown]
	s_wait_alu 0xfffd
	v_cndmask_b32_e32 v19, v19, v23, vcc_lo
	v_cmp_eq_u32_e32 vcc_lo, 1, v24
	v_add_nc_u32_e32 v60, v62, v60
	v_add_nc_u32_e32 v22, v25, v20
	v_sub_nc_u32_e32 v17, v58, v3
	v_and_b32_e32 v15, 1, v21
	s_wait_alu 0xfffd
	v_cndmask_b32_e32 v19, v19, v46, vcc_lo
	v_sub_nc_u32_e32 v16, v60, v4
	v_sub_nc_u32_e32 v13, v87, v22
	v_cmp_eq_u32_e32 vcc_lo, 1, v8
	v_add_nc_u32_e32 v89, v60, v51
	v_lshlrev_b32_e32 v14, 2, v19
	v_add_nc_u32_e32 v16, v16, v1
	v_add_nc_u32_e32 v13, 9, v13
	s_delay_alu instid0(VALU_DEP_4)
	v_sub_nc_u32_e32 v18, v89, v4
	ds_store_b32 v14, v11
	v_add_nc_u32_e32 v19, v17, v16
	s_wait_alu 0xfffd
	v_cndmask_b32_e32 v8, v13, v20, vcc_lo
	v_cmp_eq_u32_e32 vcc_lo, 1, v15
	v_and_b32_e32 v15, 1, v51
	v_and_b32_e32 v20, 1, v45
	v_sub_nc_u32_e32 v14, v87, v19
	v_add_nc_u32_e32 v18, v18, v1
	s_wait_alu 0xfffd
	v_cndmask_b32_e32 v8, v8, v25, vcc_lo
	v_cmp_eq_u32_e32 vcc_lo, 1, v15
	v_add_nc_u32_e32 v57, v89, v57
	v_add_nc_u32_e32 v14, 10, v14
	v_and_b32_e32 v15, 1, v50
	v_lshlrev_b32_e32 v8, 2, v8
	s_delay_alu instid0(VALU_DEP_4)
	v_sub_nc_u32_e32 v19, v57, v4
	s_wait_alu 0xfffd
	v_cndmask_b32_e32 v14, v14, v16, vcc_lo
	v_cmp_eq_u32_e32 vcc_lo, 1, v20
	v_add_nc_u32_e32 v56, v58, v56
	v_add_nc_u32_e32 v19, v19, v1
	s_delay_alu instid0(VALU_DEP_2) | instskip(NEXT) | instid1(VALU_DEP_1)
	v_sub_nc_u32_e32 v13, v56, v3
	v_add_nc_u32_e32 v11, v13, v18
	s_delay_alu instid0(VALU_DEP_1) | instskip(NEXT) | instid1(VALU_DEP_1)
	v_sub_nc_u32_e32 v11, v87, v11
	v_add_nc_u32_e32 v11, 11, v11
	s_wait_alu 0xfffd
	s_delay_alu instid0(VALU_DEP_1) | instskip(SKIP_2) | instid1(VALU_DEP_2)
	v_cndmask_b32_e32 v11, v11, v18, vcc_lo
	v_add_nc_u32_e32 v77, v56, v50
	v_cmp_eq_u32_e32 vcc_lo, 1, v7
	v_sub_nc_u32_e32 v3, v77, v3
	s_wait_alu 0xfffd
	v_cndmask_b32_e32 v7, v14, v17, vcc_lo
	v_cmp_eq_u32_e32 vcc_lo, 1, v15
	v_and_b32_e32 v15, 1, v49
	v_add_nc_u32_e32 v16, v3, v19
	s_delay_alu instid0(VALU_DEP_4) | instskip(SKIP_4) | instid1(VALU_DEP_3)
	v_lshlrev_b32_e32 v7, 2, v7
	s_wait_alu 0xfffd
	v_cndmask_b32_e32 v11, v11, v13, vcc_lo
	v_and_b32_e32 v13, 1, v48
	v_sub_nc_u32_e32 v14, v87, v16
	v_lshlrev_b32_e32 v11, 2, v11
	s_delay_alu instid0(VALU_DEP_3)
	v_cmp_eq_u32_e32 vcc_lo, 1, v13
	ds_store_b32 v8, v12
	ds_store_b32 v7, v9
	;; [unrolled: 1-line block ×3, first 2 shown]
	v_add_nc_u32_e32 v14, 12, v14
	v_add_co_u32 v7, s0, v2, v84
	s_wait_alu 0xf1ff
	v_add_co_ci_u32_e64 v8, null, 0, 0, s0
	s_wait_alu 0xfffd
	v_cndmask_b32_e32 v13, v14, v19, vcc_lo
	v_cmp_eq_u32_e32 vcc_lo, 1, v15
	s_wait_alu 0xfffe
	s_add_nc_u64 s[0:1], s[34:35], s[40:41]
	v_lshlrev_b64_e32 v[9:10], 2, v[5:6]
	v_add_nc_u32_e32 v12, v1, v2
	s_wait_alu 0xfffd
	v_cndmask_b32_e32 v3, v13, v3, vcc_lo
	v_add_co_u32 v7, vcc_lo, v7, v41
	s_wait_alu 0xfffd
	v_add_co_ci_u32_e64 v8, null, v8, v42, vcc_lo
	s_delay_alu instid0(VALU_DEP_3)
	v_lshlrev_b32_e32 v3, 2, v3
	ds_store_b32 v3, v40
	v_add_co_u32 v3, vcc_lo, v7, v5
	s_wait_alu 0xfffd
	v_add_co_ci_u32_e64 v7, null, v8, v6, vcc_lo
	s_wait_loadcnt_dscnt 0x0
	s_wait_alu 0xfffe
	v_sub_co_u32 v3, vcc_lo, s0, v3
	s_wait_alu 0xfffd
	v_sub_co_ci_u32_e64 v11, null, s1, v7, vcc_lo
	v_lshlrev_b64_e32 v[7:8], 2, v[41:42]
	v_add_co_u32 v9, s0, s36, v9
	s_wait_alu 0xf1ff
	v_add_co_ci_u32_e64 v10, null, s37, v10, s0
	s_mov_b32 s0, -1
	v_add_co_u32 v7, vcc_lo, s38, v7
	s_wait_alu 0xfffd
	v_add_co_ci_u32_e64 v8, null, s39, v8, vcc_lo
	v_cmp_ne_u32_e32 vcc_lo, 1, v39
	s_barrier_signal -1
	s_barrier_wait -1
	global_inv scope:SCOPE_SE
	s_cbranch_vccz .LBB231_150
; %bb.147:
	s_wait_alu 0xfffe
	s_and_b32 vcc_lo, exec_lo, s0
	s_wait_alu 0xfffe
	s_cbranch_vccnz .LBB231_255
.LBB231_148:
	v_cmp_eq_u32_e32 vcc_lo, 0, v0
	s_and_b32 s0, vcc_lo, s15
	s_wait_alu 0xfffe
	s_and_saveexec_b32 s1, s0
	s_cbranch_execnz .LBB231_373
.LBB231_149:
	s_endpgm
.LBB231_150:
	s_mov_b32 s0, exec_lo
	v_cmpx_ge_u32_e64 v0, v1
	s_wait_alu 0xfffe
	s_xor_b32 s0, exec_lo, s0
	s_cbranch_execz .LBB231_156
; %bb.151:
	s_mov_b32 s1, exec_lo
	v_cmpx_ge_u32_e64 v0, v12
	s_wait_alu 0xfffe
	s_xor_b32 s1, exec_lo, s1
	s_cbranch_execz .LBB231_153
; %bb.152:
	v_lshlrev_b32_e32 v13, 2, v0
	ds_load_b32 v15, v13
	v_add_co_u32 v13, vcc_lo, v3, v0
	s_wait_alu 0xfffd
	v_add_co_ci_u32_e64 v14, null, 0, v11, vcc_lo
	s_delay_alu instid0(VALU_DEP_1) | instskip(NEXT) | instid1(VALU_DEP_1)
	v_lshlrev_b64_e32 v[13:14], 2, v[13:14]
	v_sub_co_u32 v13, vcc_lo, s26, v13
	s_wait_alu 0xfffd
	s_delay_alu instid0(VALU_DEP_2)
	v_sub_co_ci_u32_e64 v14, null, s27, v14, vcc_lo
	s_wait_dscnt 0x0
	global_store_b32 v[13:14], v15, off offset:-4
.LBB231_153:
	s_wait_alu 0xfffe
	s_and_not1_saveexec_b32 s1, s1
	s_cbranch_execz .LBB231_155
; %bb.154:
	v_lshlrev_b32_e32 v13, 2, v0
	v_readfirstlane_b32 s2, v7
	v_readfirstlane_b32 s3, v8
	ds_load_b32 v14, v13
	s_wait_dscnt 0x0
	global_store_b32 v13, v14, s[2:3]
.LBB231_155:
	s_wait_alu 0xfffe
	s_or_b32 exec_lo, exec_lo, s1
.LBB231_156:
	s_wait_alu 0xfffe
	s_and_not1_saveexec_b32 s0, s0
	s_cbranch_execz .LBB231_158
; %bb.157:
	v_lshlrev_b32_e32 v13, 2, v0
	v_readfirstlane_b32 s2, v9
	v_readfirstlane_b32 s3, v10
	ds_load_b32 v14, v13
	s_wait_dscnt 0x0
	global_store_b32 v13, v14, s[2:3]
.LBB231_158:
	s_wait_alu 0xfffe
	s_or_b32 exec_lo, exec_lo, s0
	s_delay_alu instid0(SALU_CYCLE_1)
	s_mov_b32 s0, exec_lo
	v_cmpx_ge_u32_e64 v38, v1
	s_wait_alu 0xfffe
	s_xor_b32 s0, exec_lo, s0
	s_cbranch_execz .LBB231_164
; %bb.159:
	s_mov_b32 s1, exec_lo
	v_cmpx_ge_u32_e64 v38, v12
	s_wait_alu 0xfffe
	s_xor_b32 s1, exec_lo, s1
	s_cbranch_execz .LBB231_161
; %bb.160:
	v_lshlrev_b32_e32 v13, 2, v0
	ds_load_b32 v15, v13 offset:1024
	v_add_co_u32 v13, vcc_lo, v3, v0
	s_wait_alu 0xfffd
	v_add_co_ci_u32_e64 v14, null, 0, v11, vcc_lo
	s_delay_alu instid0(VALU_DEP_1) | instskip(NEXT) | instid1(VALU_DEP_1)
	v_lshlrev_b64_e32 v[13:14], 2, v[13:14]
	v_sub_co_u32 v13, vcc_lo, s26, v13
	s_wait_alu 0xfffd
	s_delay_alu instid0(VALU_DEP_2)
	v_sub_co_ci_u32_e64 v14, null, s27, v14, vcc_lo
	s_wait_dscnt 0x0
	global_store_b32 v[13:14], v15, off offset:-1028
.LBB231_161:
	s_wait_alu 0xfffe
	s_and_not1_saveexec_b32 s1, s1
	s_cbranch_execz .LBB231_163
; %bb.162:
	v_lshlrev_b32_e32 v13, 2, v0
	v_readfirstlane_b32 s2, v7
	v_readfirstlane_b32 s3, v8
	ds_load_b32 v14, v13 offset:1024
	s_wait_dscnt 0x0
	global_store_b32 v13, v14, s[2:3] offset:1024
.LBB231_163:
	s_wait_alu 0xfffe
	s_or_b32 exec_lo, exec_lo, s1
.LBB231_164:
	s_wait_alu 0xfffe
	s_and_not1_saveexec_b32 s0, s0
	s_cbranch_execz .LBB231_166
; %bb.165:
	v_lshlrev_b32_e32 v13, 2, v0
	v_readfirstlane_b32 s2, v9
	v_readfirstlane_b32 s3, v10
	ds_load_b32 v14, v13 offset:1024
	s_wait_dscnt 0x0
	global_store_b32 v13, v14, s[2:3] offset:1024
.LBB231_166:
	s_wait_alu 0xfffe
	s_or_b32 exec_lo, exec_lo, s0
	s_delay_alu instid0(SALU_CYCLE_1)
	s_mov_b32 s0, exec_lo
	v_cmpx_ge_u32_e64 v37, v1
	s_wait_alu 0xfffe
	s_xor_b32 s0, exec_lo, s0
	s_cbranch_execz .LBB231_172
; %bb.167:
	s_mov_b32 s1, exec_lo
	v_cmpx_ge_u32_e64 v37, v12
	s_wait_alu 0xfffe
	s_xor_b32 s1, exec_lo, s1
	s_cbranch_execz .LBB231_169
; %bb.168:
	v_lshlrev_b32_e32 v13, 2, v0
	ds_load_b32 v15, v13 offset:2048
	v_add_co_u32 v13, vcc_lo, v3, v0
	s_wait_alu 0xfffd
	v_add_co_ci_u32_e64 v14, null, 0, v11, vcc_lo
	s_delay_alu instid0(VALU_DEP_1) | instskip(NEXT) | instid1(VALU_DEP_1)
	v_lshlrev_b64_e32 v[13:14], 2, v[13:14]
	v_sub_co_u32 v13, vcc_lo, s26, v13
	s_wait_alu 0xfffd
	s_delay_alu instid0(VALU_DEP_2)
	v_sub_co_ci_u32_e64 v14, null, s27, v14, vcc_lo
	s_wait_dscnt 0x0
	global_store_b32 v[13:14], v15, off offset:-2052
.LBB231_169:
	s_wait_alu 0xfffe
	s_and_not1_saveexec_b32 s1, s1
	s_cbranch_execz .LBB231_171
; %bb.170:
	v_lshlrev_b32_e32 v13, 2, v0
	v_readfirstlane_b32 s2, v7
	v_readfirstlane_b32 s3, v8
	ds_load_b32 v14, v13 offset:2048
	s_wait_dscnt 0x0
	global_store_b32 v13, v14, s[2:3] offset:2048
.LBB231_171:
	s_wait_alu 0xfffe
	s_or_b32 exec_lo, exec_lo, s1
.LBB231_172:
	s_wait_alu 0xfffe
	s_and_not1_saveexec_b32 s0, s0
	s_cbranch_execz .LBB231_174
; %bb.173:
	v_lshlrev_b32_e32 v13, 2, v0
	v_readfirstlane_b32 s2, v9
	v_readfirstlane_b32 s3, v10
	ds_load_b32 v14, v13 offset:2048
	s_wait_dscnt 0x0
	global_store_b32 v13, v14, s[2:3] offset:2048
.LBB231_174:
	s_wait_alu 0xfffe
	s_or_b32 exec_lo, exec_lo, s0
	s_delay_alu instid0(SALU_CYCLE_1)
	s_mov_b32 s0, exec_lo
	v_cmpx_ge_u32_e64 v36, v1
	s_wait_alu 0xfffe
	s_xor_b32 s0, exec_lo, s0
	s_cbranch_execz .LBB231_180
; %bb.175:
	s_mov_b32 s1, exec_lo
	v_cmpx_ge_u32_e64 v36, v12
	s_wait_alu 0xfffe
	s_xor_b32 s1, exec_lo, s1
	s_cbranch_execz .LBB231_177
; %bb.176:
	v_lshlrev_b32_e32 v13, 2, v0
	ds_load_b32 v15, v13 offset:3072
	v_add_co_u32 v13, vcc_lo, v3, v0
	s_wait_alu 0xfffd
	v_add_co_ci_u32_e64 v14, null, 0, v11, vcc_lo
	s_delay_alu instid0(VALU_DEP_1) | instskip(NEXT) | instid1(VALU_DEP_1)
	v_lshlrev_b64_e32 v[13:14], 2, v[13:14]
	v_sub_co_u32 v13, vcc_lo, s26, v13
	s_wait_alu 0xfffd
	s_delay_alu instid0(VALU_DEP_2)
	v_sub_co_ci_u32_e64 v14, null, s27, v14, vcc_lo
	s_wait_dscnt 0x0
	global_store_b32 v[13:14], v15, off offset:-3076
.LBB231_177:
	s_wait_alu 0xfffe
	s_and_not1_saveexec_b32 s1, s1
	s_cbranch_execz .LBB231_179
; %bb.178:
	v_lshlrev_b32_e32 v13, 2, v0
	v_readfirstlane_b32 s2, v7
	v_readfirstlane_b32 s3, v8
	ds_load_b32 v14, v13 offset:3072
	s_wait_dscnt 0x0
	global_store_b32 v13, v14, s[2:3] offset:3072
.LBB231_179:
	s_wait_alu 0xfffe
	s_or_b32 exec_lo, exec_lo, s1
.LBB231_180:
	s_wait_alu 0xfffe
	s_and_not1_saveexec_b32 s0, s0
	s_cbranch_execz .LBB231_182
; %bb.181:
	v_lshlrev_b32_e32 v13, 2, v0
	v_readfirstlane_b32 s2, v9
	v_readfirstlane_b32 s3, v10
	ds_load_b32 v14, v13 offset:3072
	s_wait_dscnt 0x0
	global_store_b32 v13, v14, s[2:3] offset:3072
.LBB231_182:
	s_wait_alu 0xfffe
	s_or_b32 exec_lo, exec_lo, s0
	s_delay_alu instid0(SALU_CYCLE_1)
	s_mov_b32 s0, exec_lo
	v_cmpx_ge_u32_e64 v35, v1
	s_wait_alu 0xfffe
	s_xor_b32 s0, exec_lo, s0
	s_cbranch_execz .LBB231_188
; %bb.183:
	s_mov_b32 s1, exec_lo
	v_cmpx_ge_u32_e64 v35, v12
	s_wait_alu 0xfffe
	s_xor_b32 s1, exec_lo, s1
	s_cbranch_execz .LBB231_185
; %bb.184:
	v_lshlrev_b32_e32 v13, 2, v0
	ds_load_b32 v15, v13 offset:4096
	v_add_co_u32 v13, vcc_lo, v3, v0
	s_wait_alu 0xfffd
	v_add_co_ci_u32_e64 v14, null, 0, v11, vcc_lo
	s_delay_alu instid0(VALU_DEP_1) | instskip(NEXT) | instid1(VALU_DEP_1)
	v_lshlrev_b64_e32 v[13:14], 2, v[13:14]
	v_sub_co_u32 v13, vcc_lo, s26, v13
	s_wait_alu 0xfffd
	s_delay_alu instid0(VALU_DEP_2)
	v_sub_co_ci_u32_e64 v14, null, s27, v14, vcc_lo
	s_wait_dscnt 0x0
	global_store_b32 v[13:14], v15, off offset:-4100
.LBB231_185:
	s_wait_alu 0xfffe
	s_and_not1_saveexec_b32 s1, s1
	s_cbranch_execz .LBB231_187
; %bb.186:
	v_lshlrev_b32_e32 v13, 2, v0
	v_readfirstlane_b32 s2, v7
	v_readfirstlane_b32 s3, v8
	ds_load_b32 v14, v13 offset:4096
	s_wait_dscnt 0x0
	global_store_b32 v13, v14, s[2:3] offset:4096
.LBB231_187:
	s_wait_alu 0xfffe
	s_or_b32 exec_lo, exec_lo, s1
.LBB231_188:
	s_wait_alu 0xfffe
	s_and_not1_saveexec_b32 s0, s0
	s_cbranch_execz .LBB231_190
; %bb.189:
	v_lshlrev_b32_e32 v13, 2, v0
	v_readfirstlane_b32 s2, v9
	v_readfirstlane_b32 s3, v10
	ds_load_b32 v14, v13 offset:4096
	s_wait_dscnt 0x0
	global_store_b32 v13, v14, s[2:3] offset:4096
.LBB231_190:
	s_wait_alu 0xfffe
	s_or_b32 exec_lo, exec_lo, s0
	s_delay_alu instid0(SALU_CYCLE_1)
	s_mov_b32 s0, exec_lo
	v_cmpx_ge_u32_e64 v34, v1
	s_wait_alu 0xfffe
	s_xor_b32 s0, exec_lo, s0
	s_cbranch_execz .LBB231_196
; %bb.191:
	s_mov_b32 s1, exec_lo
	v_cmpx_ge_u32_e64 v34, v12
	s_wait_alu 0xfffe
	s_xor_b32 s1, exec_lo, s1
	s_cbranch_execz .LBB231_193
; %bb.192:
	v_lshlrev_b32_e32 v13, 2, v0
	ds_load_b32 v15, v13 offset:5120
	v_add_co_u32 v13, vcc_lo, v3, v0
	s_wait_alu 0xfffd
	v_add_co_ci_u32_e64 v14, null, 0, v11, vcc_lo
	s_delay_alu instid0(VALU_DEP_1) | instskip(NEXT) | instid1(VALU_DEP_1)
	v_lshlrev_b64_e32 v[13:14], 2, v[13:14]
	v_sub_co_u32 v13, vcc_lo, s26, v13
	s_wait_alu 0xfffd
	s_delay_alu instid0(VALU_DEP_2)
	v_sub_co_ci_u32_e64 v14, null, s27, v14, vcc_lo
	s_wait_dscnt 0x0
	global_store_b32 v[13:14], v15, off offset:-5124
.LBB231_193:
	s_wait_alu 0xfffe
	s_and_not1_saveexec_b32 s1, s1
	s_cbranch_execz .LBB231_195
; %bb.194:
	v_lshlrev_b32_e32 v13, 2, v0
	v_readfirstlane_b32 s2, v7
	v_readfirstlane_b32 s3, v8
	ds_load_b32 v14, v13 offset:5120
	s_wait_dscnt 0x0
	global_store_b32 v13, v14, s[2:3] offset:5120
.LBB231_195:
	s_wait_alu 0xfffe
	s_or_b32 exec_lo, exec_lo, s1
.LBB231_196:
	s_wait_alu 0xfffe
	s_and_not1_saveexec_b32 s0, s0
	s_cbranch_execz .LBB231_198
; %bb.197:
	v_lshlrev_b32_e32 v13, 2, v0
	v_readfirstlane_b32 s2, v9
	v_readfirstlane_b32 s3, v10
	ds_load_b32 v14, v13 offset:5120
	s_wait_dscnt 0x0
	global_store_b32 v13, v14, s[2:3] offset:5120
.LBB231_198:
	s_wait_alu 0xfffe
	s_or_b32 exec_lo, exec_lo, s0
	s_delay_alu instid0(SALU_CYCLE_1)
	s_mov_b32 s0, exec_lo
	v_cmpx_ge_u32_e64 v33, v1
	s_wait_alu 0xfffe
	s_xor_b32 s0, exec_lo, s0
	s_cbranch_execz .LBB231_204
; %bb.199:
	s_mov_b32 s1, exec_lo
	v_cmpx_ge_u32_e64 v33, v12
	s_wait_alu 0xfffe
	s_xor_b32 s1, exec_lo, s1
	s_cbranch_execz .LBB231_201
; %bb.200:
	v_lshlrev_b32_e32 v13, 2, v0
	ds_load_b32 v15, v13 offset:6144
	v_add_co_u32 v13, vcc_lo, v3, v0
	s_wait_alu 0xfffd
	v_add_co_ci_u32_e64 v14, null, 0, v11, vcc_lo
	s_delay_alu instid0(VALU_DEP_1) | instskip(NEXT) | instid1(VALU_DEP_1)
	v_lshlrev_b64_e32 v[13:14], 2, v[13:14]
	v_sub_co_u32 v13, vcc_lo, s26, v13
	s_wait_alu 0xfffd
	s_delay_alu instid0(VALU_DEP_2)
	v_sub_co_ci_u32_e64 v14, null, s27, v14, vcc_lo
	s_wait_dscnt 0x0
	global_store_b32 v[13:14], v15, off offset:-6148
.LBB231_201:
	s_wait_alu 0xfffe
	s_and_not1_saveexec_b32 s1, s1
	s_cbranch_execz .LBB231_203
; %bb.202:
	v_lshlrev_b32_e32 v13, 2, v0
	v_readfirstlane_b32 s2, v7
	v_readfirstlane_b32 s3, v8
	ds_load_b32 v14, v13 offset:6144
	s_wait_dscnt 0x0
	global_store_b32 v13, v14, s[2:3] offset:6144
.LBB231_203:
	s_wait_alu 0xfffe
	s_or_b32 exec_lo, exec_lo, s1
.LBB231_204:
	s_wait_alu 0xfffe
	s_and_not1_saveexec_b32 s0, s0
	s_cbranch_execz .LBB231_206
; %bb.205:
	v_lshlrev_b32_e32 v13, 2, v0
	v_readfirstlane_b32 s2, v9
	v_readfirstlane_b32 s3, v10
	ds_load_b32 v14, v13 offset:6144
	s_wait_dscnt 0x0
	global_store_b32 v13, v14, s[2:3] offset:6144
.LBB231_206:
	s_wait_alu 0xfffe
	s_or_b32 exec_lo, exec_lo, s0
	s_delay_alu instid0(SALU_CYCLE_1)
	s_mov_b32 s0, exec_lo
	v_cmpx_ge_u32_e64 v32, v1
	s_wait_alu 0xfffe
	s_xor_b32 s0, exec_lo, s0
	s_cbranch_execz .LBB231_212
; %bb.207:
	s_mov_b32 s1, exec_lo
	v_cmpx_ge_u32_e64 v32, v12
	s_wait_alu 0xfffe
	s_xor_b32 s1, exec_lo, s1
	s_cbranch_execz .LBB231_209
; %bb.208:
	v_lshlrev_b32_e32 v13, 2, v0
	ds_load_b32 v15, v13 offset:7168
	v_add_co_u32 v13, vcc_lo, v3, v0
	s_wait_alu 0xfffd
	v_add_co_ci_u32_e64 v14, null, 0, v11, vcc_lo
	s_delay_alu instid0(VALU_DEP_1) | instskip(NEXT) | instid1(VALU_DEP_1)
	v_lshlrev_b64_e32 v[13:14], 2, v[13:14]
	v_sub_co_u32 v13, vcc_lo, s26, v13
	s_wait_alu 0xfffd
	s_delay_alu instid0(VALU_DEP_2)
	v_sub_co_ci_u32_e64 v14, null, s27, v14, vcc_lo
	s_wait_dscnt 0x0
	global_store_b32 v[13:14], v15, off offset:-7172
.LBB231_209:
	s_wait_alu 0xfffe
	s_and_not1_saveexec_b32 s1, s1
	s_cbranch_execz .LBB231_211
; %bb.210:
	v_lshlrev_b32_e32 v13, 2, v0
	v_readfirstlane_b32 s2, v7
	v_readfirstlane_b32 s3, v8
	ds_load_b32 v14, v13 offset:7168
	s_wait_dscnt 0x0
	global_store_b32 v13, v14, s[2:3] offset:7168
.LBB231_211:
	s_wait_alu 0xfffe
	s_or_b32 exec_lo, exec_lo, s1
.LBB231_212:
	s_wait_alu 0xfffe
	s_and_not1_saveexec_b32 s0, s0
	s_cbranch_execz .LBB231_214
; %bb.213:
	v_lshlrev_b32_e32 v13, 2, v0
	v_readfirstlane_b32 s2, v9
	v_readfirstlane_b32 s3, v10
	ds_load_b32 v14, v13 offset:7168
	s_wait_dscnt 0x0
	global_store_b32 v13, v14, s[2:3] offset:7168
.LBB231_214:
	s_wait_alu 0xfffe
	s_or_b32 exec_lo, exec_lo, s0
	s_delay_alu instid0(SALU_CYCLE_1)
	s_mov_b32 s0, exec_lo
	v_cmpx_ge_u32_e64 v31, v1
	s_wait_alu 0xfffe
	s_xor_b32 s0, exec_lo, s0
	s_cbranch_execz .LBB231_220
; %bb.215:
	s_mov_b32 s1, exec_lo
	v_cmpx_ge_u32_e64 v31, v12
	s_wait_alu 0xfffe
	s_xor_b32 s1, exec_lo, s1
	s_cbranch_execz .LBB231_217
; %bb.216:
	v_lshlrev_b32_e32 v13, 2, v0
	ds_load_b32 v15, v13 offset:8192
	v_add_co_u32 v13, vcc_lo, v3, v0
	s_wait_alu 0xfffd
	v_add_co_ci_u32_e64 v14, null, 0, v11, vcc_lo
	s_delay_alu instid0(VALU_DEP_1) | instskip(NEXT) | instid1(VALU_DEP_1)
	v_lshlrev_b64_e32 v[13:14], 2, v[13:14]
	v_sub_co_u32 v13, vcc_lo, s26, v13
	s_wait_alu 0xfffd
	s_delay_alu instid0(VALU_DEP_2)
	v_sub_co_ci_u32_e64 v14, null, s27, v14, vcc_lo
	s_wait_dscnt 0x0
	global_store_b32 v[13:14], v15, off offset:-8196
.LBB231_217:
	s_wait_alu 0xfffe
	s_and_not1_saveexec_b32 s1, s1
	s_cbranch_execz .LBB231_219
; %bb.218:
	v_lshlrev_b32_e32 v13, 2, v0
	v_readfirstlane_b32 s2, v7
	v_readfirstlane_b32 s3, v8
	ds_load_b32 v14, v13 offset:8192
	s_wait_dscnt 0x0
	global_store_b32 v13, v14, s[2:3] offset:8192
.LBB231_219:
	s_wait_alu 0xfffe
	s_or_b32 exec_lo, exec_lo, s1
.LBB231_220:
	s_wait_alu 0xfffe
	s_and_not1_saveexec_b32 s0, s0
	s_cbranch_execz .LBB231_222
; %bb.221:
	v_lshlrev_b32_e32 v13, 2, v0
	v_readfirstlane_b32 s2, v9
	v_readfirstlane_b32 s3, v10
	ds_load_b32 v14, v13 offset:8192
	s_wait_dscnt 0x0
	global_store_b32 v13, v14, s[2:3] offset:8192
.LBB231_222:
	s_wait_alu 0xfffe
	s_or_b32 exec_lo, exec_lo, s0
	s_delay_alu instid0(SALU_CYCLE_1)
	s_mov_b32 s0, exec_lo
	v_cmpx_ge_u32_e64 v30, v1
	s_wait_alu 0xfffe
	s_xor_b32 s0, exec_lo, s0
	s_cbranch_execz .LBB231_228
; %bb.223:
	s_mov_b32 s1, exec_lo
	v_cmpx_ge_u32_e64 v30, v12
	s_wait_alu 0xfffe
	s_xor_b32 s1, exec_lo, s1
	s_cbranch_execz .LBB231_225
; %bb.224:
	v_lshlrev_b32_e32 v13, 2, v0
	ds_load_b32 v15, v13 offset:9216
	v_add_co_u32 v13, vcc_lo, v3, v0
	s_wait_alu 0xfffd
	v_add_co_ci_u32_e64 v14, null, 0, v11, vcc_lo
	s_delay_alu instid0(VALU_DEP_1) | instskip(NEXT) | instid1(VALU_DEP_1)
	v_lshlrev_b64_e32 v[13:14], 2, v[13:14]
	v_sub_co_u32 v13, vcc_lo, s26, v13
	s_wait_alu 0xfffd
	s_delay_alu instid0(VALU_DEP_2)
	v_sub_co_ci_u32_e64 v14, null, s27, v14, vcc_lo
	s_wait_dscnt 0x0
	global_store_b32 v[13:14], v15, off offset:-9220
.LBB231_225:
	s_wait_alu 0xfffe
	s_and_not1_saveexec_b32 s1, s1
	s_cbranch_execz .LBB231_227
; %bb.226:
	v_lshlrev_b32_e32 v13, 2, v0
	v_readfirstlane_b32 s2, v7
	v_readfirstlane_b32 s3, v8
	ds_load_b32 v14, v13 offset:9216
	s_wait_dscnt 0x0
	global_store_b32 v13, v14, s[2:3] offset:9216
.LBB231_227:
	s_wait_alu 0xfffe
	s_or_b32 exec_lo, exec_lo, s1
.LBB231_228:
	s_wait_alu 0xfffe
	s_and_not1_saveexec_b32 s0, s0
	s_cbranch_execz .LBB231_230
; %bb.229:
	v_lshlrev_b32_e32 v13, 2, v0
	v_readfirstlane_b32 s2, v9
	v_readfirstlane_b32 s3, v10
	ds_load_b32 v14, v13 offset:9216
	s_wait_dscnt 0x0
	global_store_b32 v13, v14, s[2:3] offset:9216
.LBB231_230:
	s_wait_alu 0xfffe
	s_or_b32 exec_lo, exec_lo, s0
	s_delay_alu instid0(SALU_CYCLE_1)
	s_mov_b32 s0, exec_lo
	v_cmpx_ge_u32_e64 v29, v1
	s_wait_alu 0xfffe
	s_xor_b32 s0, exec_lo, s0
	s_cbranch_execz .LBB231_236
; %bb.231:
	s_mov_b32 s1, exec_lo
	v_cmpx_ge_u32_e64 v29, v12
	s_wait_alu 0xfffe
	s_xor_b32 s1, exec_lo, s1
	s_cbranch_execz .LBB231_233
; %bb.232:
	v_lshlrev_b32_e32 v13, 2, v0
	ds_load_b32 v15, v13 offset:10240
	v_add_co_u32 v13, vcc_lo, v3, v0
	s_wait_alu 0xfffd
	v_add_co_ci_u32_e64 v14, null, 0, v11, vcc_lo
	s_delay_alu instid0(VALU_DEP_1) | instskip(NEXT) | instid1(VALU_DEP_1)
	v_lshlrev_b64_e32 v[13:14], 2, v[13:14]
	v_sub_co_u32 v13, vcc_lo, s26, v13
	s_wait_alu 0xfffd
	s_delay_alu instid0(VALU_DEP_2)
	v_sub_co_ci_u32_e64 v14, null, s27, v14, vcc_lo
	s_wait_dscnt 0x0
	global_store_b32 v[13:14], v15, off offset:-10244
.LBB231_233:
	s_wait_alu 0xfffe
	s_and_not1_saveexec_b32 s1, s1
	s_cbranch_execz .LBB231_235
; %bb.234:
	v_lshlrev_b32_e32 v13, 2, v0
	v_readfirstlane_b32 s2, v7
	v_readfirstlane_b32 s3, v8
	ds_load_b32 v14, v13 offset:10240
	s_wait_dscnt 0x0
	global_store_b32 v13, v14, s[2:3] offset:10240
.LBB231_235:
	s_wait_alu 0xfffe
	s_or_b32 exec_lo, exec_lo, s1
.LBB231_236:
	s_wait_alu 0xfffe
	s_and_not1_saveexec_b32 s0, s0
	s_cbranch_execz .LBB231_238
; %bb.237:
	v_lshlrev_b32_e32 v13, 2, v0
	v_readfirstlane_b32 s2, v9
	v_readfirstlane_b32 s3, v10
	ds_load_b32 v14, v13 offset:10240
	s_wait_dscnt 0x0
	global_store_b32 v13, v14, s[2:3] offset:10240
.LBB231_238:
	s_wait_alu 0xfffe
	s_or_b32 exec_lo, exec_lo, s0
	s_delay_alu instid0(SALU_CYCLE_1)
	s_mov_b32 s0, exec_lo
	v_cmpx_ge_u32_e64 v28, v1
	s_wait_alu 0xfffe
	s_xor_b32 s0, exec_lo, s0
	s_cbranch_execz .LBB231_244
; %bb.239:
	s_mov_b32 s1, exec_lo
	v_cmpx_ge_u32_e64 v28, v12
	s_wait_alu 0xfffe
	s_xor_b32 s1, exec_lo, s1
	s_cbranch_execz .LBB231_241
; %bb.240:
	v_lshlrev_b32_e32 v13, 2, v0
	ds_load_b32 v15, v13 offset:11264
	v_add_co_u32 v13, vcc_lo, v3, v0
	s_wait_alu 0xfffd
	v_add_co_ci_u32_e64 v14, null, 0, v11, vcc_lo
	s_delay_alu instid0(VALU_DEP_1) | instskip(NEXT) | instid1(VALU_DEP_1)
	v_lshlrev_b64_e32 v[13:14], 2, v[13:14]
	v_sub_co_u32 v13, vcc_lo, s26, v13
	s_wait_alu 0xfffd
	s_delay_alu instid0(VALU_DEP_2)
	v_sub_co_ci_u32_e64 v14, null, s27, v14, vcc_lo
	s_wait_dscnt 0x0
	global_store_b32 v[13:14], v15, off offset:-11268
.LBB231_241:
	s_wait_alu 0xfffe
	s_and_not1_saveexec_b32 s1, s1
	s_cbranch_execz .LBB231_243
; %bb.242:
	v_lshlrev_b32_e32 v13, 2, v0
	v_readfirstlane_b32 s2, v7
	v_readfirstlane_b32 s3, v8
	ds_load_b32 v14, v13 offset:11264
	s_wait_dscnt 0x0
	global_store_b32 v13, v14, s[2:3] offset:11264
.LBB231_243:
	s_wait_alu 0xfffe
	s_or_b32 exec_lo, exec_lo, s1
.LBB231_244:
	s_wait_alu 0xfffe
	s_and_not1_saveexec_b32 s0, s0
	s_cbranch_execz .LBB231_246
; %bb.245:
	v_lshlrev_b32_e32 v13, 2, v0
	v_readfirstlane_b32 s2, v9
	v_readfirstlane_b32 s3, v10
	ds_load_b32 v14, v13 offset:11264
	s_wait_dscnt 0x0
	global_store_b32 v13, v14, s[2:3] offset:11264
.LBB231_246:
	s_wait_alu 0xfffe
	s_or_b32 exec_lo, exec_lo, s0
	s_delay_alu instid0(SALU_CYCLE_1)
	s_mov_b32 s0, exec_lo
	v_cmpx_ge_u32_e64 v27, v1
	s_wait_alu 0xfffe
	s_xor_b32 s0, exec_lo, s0
	s_cbranch_execz .LBB231_252
; %bb.247:
	s_mov_b32 s1, exec_lo
	v_cmpx_ge_u32_e64 v27, v12
	s_wait_alu 0xfffe
	s_xor_b32 s1, exec_lo, s1
	s_cbranch_execz .LBB231_249
; %bb.248:
	v_lshlrev_b32_e32 v13, 2, v0
	ds_load_b32 v15, v13 offset:12288
	v_add_co_u32 v13, vcc_lo, v3, v0
	s_wait_alu 0xfffd
	v_add_co_ci_u32_e64 v14, null, 0, v11, vcc_lo
	s_delay_alu instid0(VALU_DEP_1) | instskip(NEXT) | instid1(VALU_DEP_1)
	v_lshlrev_b64_e32 v[13:14], 2, v[13:14]
	v_sub_co_u32 v13, vcc_lo, s26, v13
	s_wait_alu 0xfffd
	s_delay_alu instid0(VALU_DEP_2)
	v_sub_co_ci_u32_e64 v14, null, s27, v14, vcc_lo
	s_wait_dscnt 0x0
	global_store_b32 v[13:14], v15, off offset:-12292
.LBB231_249:
	s_wait_alu 0xfffe
	s_and_not1_saveexec_b32 s1, s1
	s_cbranch_execz .LBB231_251
; %bb.250:
	v_lshlrev_b32_e32 v13, 2, v0
	v_readfirstlane_b32 s2, v7
	v_readfirstlane_b32 s3, v8
	ds_load_b32 v14, v13 offset:12288
	s_wait_dscnt 0x0
	global_store_b32 v13, v14, s[2:3] offset:12288
.LBB231_251:
	s_wait_alu 0xfffe
	s_or_b32 exec_lo, exec_lo, s1
.LBB231_252:
	s_wait_alu 0xfffe
	s_and_not1_saveexec_b32 s0, s0
	s_cbranch_execz .LBB231_254
; %bb.253:
	v_lshlrev_b32_e32 v13, 2, v0
	v_readfirstlane_b32 s2, v9
	v_readfirstlane_b32 s3, v10
	ds_load_b32 v14, v13 offset:12288
	s_wait_dscnt 0x0
	global_store_b32 v13, v14, s[2:3] offset:12288
.LBB231_254:
	s_wait_alu 0xfffe
	s_or_b32 exec_lo, exec_lo, s0
	s_branch .LBB231_148
.LBB231_255:
	s_mov_b32 s0, exec_lo
	v_cmpx_gt_u32_e64 s33, v0
	s_cbranch_execz .LBB231_264
; %bb.256:
	s_mov_b32 s1, exec_lo
	v_cmpx_ge_u32_e64 v0, v1
	s_wait_alu 0xfffe
	s_xor_b32 s1, exec_lo, s1
	s_cbranch_execz .LBB231_262
; %bb.257:
	s_mov_b32 s2, exec_lo
	v_cmpx_ge_u32_e64 v0, v12
	s_wait_alu 0xfffe
	s_xor_b32 s2, exec_lo, s2
	s_cbranch_execz .LBB231_259
; %bb.258:
	v_lshlrev_b32_e32 v13, 2, v0
	ds_load_b32 v15, v13
	v_add_co_u32 v13, vcc_lo, v3, v0
	s_wait_alu 0xfffd
	v_add_co_ci_u32_e64 v14, null, 0, v11, vcc_lo
	s_delay_alu instid0(VALU_DEP_1) | instskip(NEXT) | instid1(VALU_DEP_1)
	v_lshlrev_b64_e32 v[13:14], 2, v[13:14]
	v_sub_co_u32 v13, vcc_lo, s26, v13
	s_wait_alu 0xfffd
	s_delay_alu instid0(VALU_DEP_2)
	v_sub_co_ci_u32_e64 v14, null, s27, v14, vcc_lo
	s_wait_dscnt 0x0
	global_store_b32 v[13:14], v15, off offset:-4
.LBB231_259:
	s_wait_alu 0xfffe
	s_and_not1_saveexec_b32 s2, s2
	s_cbranch_execz .LBB231_261
; %bb.260:
	v_lshlrev_b32_e32 v13, 2, v0
	v_readfirstlane_b32 s4, v7
	v_readfirstlane_b32 s5, v8
	ds_load_b32 v14, v13
	s_wait_dscnt 0x0
	global_store_b32 v13, v14, s[4:5]
.LBB231_261:
	s_wait_alu 0xfffe
	s_or_b32 exec_lo, exec_lo, s2
.LBB231_262:
	s_wait_alu 0xfffe
	s_and_not1_saveexec_b32 s1, s1
	s_cbranch_execz .LBB231_264
; %bb.263:
	v_lshlrev_b32_e32 v13, 2, v0
	v_readfirstlane_b32 s2, v9
	v_readfirstlane_b32 s3, v10
	ds_load_b32 v14, v13
	s_wait_dscnt 0x0
	global_store_b32 v13, v14, s[2:3]
.LBB231_264:
	s_wait_alu 0xfffe
	s_or_b32 exec_lo, exec_lo, s0
	s_delay_alu instid0(SALU_CYCLE_1)
	s_mov_b32 s0, exec_lo
	v_cmpx_gt_u32_e64 s33, v38
	s_cbranch_execz .LBB231_273
; %bb.265:
	s_mov_b32 s1, exec_lo
	v_cmpx_ge_u32_e64 v38, v1
	s_wait_alu 0xfffe
	s_xor_b32 s1, exec_lo, s1
	s_cbranch_execz .LBB231_271
; %bb.266:
	s_mov_b32 s2, exec_lo
	v_cmpx_ge_u32_e64 v38, v12
	s_wait_alu 0xfffe
	s_xor_b32 s2, exec_lo, s2
	s_cbranch_execz .LBB231_268
; %bb.267:
	v_lshlrev_b32_e32 v13, 2, v0
	ds_load_b32 v15, v13 offset:1024
	v_add_co_u32 v13, vcc_lo, v3, v0
	s_wait_alu 0xfffd
	v_add_co_ci_u32_e64 v14, null, 0, v11, vcc_lo
	s_delay_alu instid0(VALU_DEP_1) | instskip(NEXT) | instid1(VALU_DEP_1)
	v_lshlrev_b64_e32 v[13:14], 2, v[13:14]
	v_sub_co_u32 v13, vcc_lo, s26, v13
	s_wait_alu 0xfffd
	s_delay_alu instid0(VALU_DEP_2)
	v_sub_co_ci_u32_e64 v14, null, s27, v14, vcc_lo
	s_wait_dscnt 0x0
	global_store_b32 v[13:14], v15, off offset:-1028
.LBB231_268:
	s_wait_alu 0xfffe
	s_and_not1_saveexec_b32 s2, s2
	s_cbranch_execz .LBB231_270
; %bb.269:
	v_lshlrev_b32_e32 v13, 2, v0
	v_readfirstlane_b32 s4, v7
	v_readfirstlane_b32 s5, v8
	ds_load_b32 v14, v13 offset:1024
	s_wait_dscnt 0x0
	global_store_b32 v13, v14, s[4:5] offset:1024
.LBB231_270:
	s_wait_alu 0xfffe
	s_or_b32 exec_lo, exec_lo, s2
.LBB231_271:
	s_wait_alu 0xfffe
	s_and_not1_saveexec_b32 s1, s1
	s_cbranch_execz .LBB231_273
; %bb.272:
	v_lshlrev_b32_e32 v13, 2, v0
	v_readfirstlane_b32 s2, v9
	v_readfirstlane_b32 s3, v10
	ds_load_b32 v14, v13 offset:1024
	s_wait_dscnt 0x0
	global_store_b32 v13, v14, s[2:3] offset:1024
.LBB231_273:
	s_wait_alu 0xfffe
	s_or_b32 exec_lo, exec_lo, s0
	s_delay_alu instid0(SALU_CYCLE_1)
	s_mov_b32 s0, exec_lo
	v_cmpx_gt_u32_e64 s33, v37
	s_cbranch_execz .LBB231_282
; %bb.274:
	s_mov_b32 s1, exec_lo
	v_cmpx_ge_u32_e64 v37, v1
	s_wait_alu 0xfffe
	s_xor_b32 s1, exec_lo, s1
	s_cbranch_execz .LBB231_280
; %bb.275:
	s_mov_b32 s2, exec_lo
	v_cmpx_ge_u32_e64 v37, v12
	s_wait_alu 0xfffe
	s_xor_b32 s2, exec_lo, s2
	s_cbranch_execz .LBB231_277
; %bb.276:
	v_lshlrev_b32_e32 v13, 2, v0
	ds_load_b32 v15, v13 offset:2048
	v_add_co_u32 v13, vcc_lo, v3, v0
	s_wait_alu 0xfffd
	v_add_co_ci_u32_e64 v14, null, 0, v11, vcc_lo
	s_delay_alu instid0(VALU_DEP_1) | instskip(NEXT) | instid1(VALU_DEP_1)
	v_lshlrev_b64_e32 v[13:14], 2, v[13:14]
	v_sub_co_u32 v13, vcc_lo, s26, v13
	s_wait_alu 0xfffd
	s_delay_alu instid0(VALU_DEP_2)
	v_sub_co_ci_u32_e64 v14, null, s27, v14, vcc_lo
	s_wait_dscnt 0x0
	global_store_b32 v[13:14], v15, off offset:-2052
.LBB231_277:
	s_wait_alu 0xfffe
	s_and_not1_saveexec_b32 s2, s2
	s_cbranch_execz .LBB231_279
; %bb.278:
	v_lshlrev_b32_e32 v13, 2, v0
	v_readfirstlane_b32 s4, v7
	v_readfirstlane_b32 s5, v8
	ds_load_b32 v14, v13 offset:2048
	s_wait_dscnt 0x0
	global_store_b32 v13, v14, s[4:5] offset:2048
.LBB231_279:
	s_wait_alu 0xfffe
	s_or_b32 exec_lo, exec_lo, s2
.LBB231_280:
	s_wait_alu 0xfffe
	s_and_not1_saveexec_b32 s1, s1
	s_cbranch_execz .LBB231_282
; %bb.281:
	v_lshlrev_b32_e32 v13, 2, v0
	v_readfirstlane_b32 s2, v9
	v_readfirstlane_b32 s3, v10
	ds_load_b32 v14, v13 offset:2048
	s_wait_dscnt 0x0
	global_store_b32 v13, v14, s[2:3] offset:2048
.LBB231_282:
	;; [unrolled: 58-line block ×11, first 2 shown]
	s_wait_alu 0xfffe
	s_or_b32 exec_lo, exec_lo, s0
	s_delay_alu instid0(SALU_CYCLE_1)
	s_mov_b32 s0, exec_lo
	v_cmpx_gt_u32_e64 s33, v27
	s_cbranch_execz .LBB231_372
; %bb.364:
	s_mov_b32 s1, exec_lo
	v_cmpx_ge_u32_e64 v27, v1
	s_wait_alu 0xfffe
	s_xor_b32 s1, exec_lo, s1
	s_cbranch_execz .LBB231_370
; %bb.365:
	s_mov_b32 s2, exec_lo
	v_cmpx_ge_u32_e64 v27, v12
	s_wait_alu 0xfffe
	s_xor_b32 s2, exec_lo, s2
	s_cbranch_execz .LBB231_367
; %bb.366:
	v_lshlrev_b32_e32 v7, 2, v0
	ds_load_b32 v9, v7 offset:12288
	v_add_co_u32 v7, vcc_lo, v3, v0
	s_wait_alu 0xfffd
	v_add_co_ci_u32_e64 v8, null, 0, v11, vcc_lo
	s_delay_alu instid0(VALU_DEP_1) | instskip(NEXT) | instid1(VALU_DEP_1)
	v_lshlrev_b64_e32 v[7:8], 2, v[7:8]
	v_sub_co_u32 v7, vcc_lo, s26, v7
	s_wait_alu 0xfffd
	s_delay_alu instid0(VALU_DEP_2)
	v_sub_co_ci_u32_e64 v8, null, s27, v8, vcc_lo
	s_wait_dscnt 0x0
	global_store_b32 v[7:8], v9, off offset:-12292
                                        ; implicit-def: $vgpr7_vgpr8
.LBB231_367:
	s_wait_alu 0xfffe
	s_and_not1_saveexec_b32 s2, s2
	s_cbranch_execz .LBB231_369
; %bb.368:
	v_lshlrev_b32_e32 v3, 2, v0
	v_readfirstlane_b32 s4, v7
	v_readfirstlane_b32 s5, v8
	ds_load_b32 v9, v3 offset:12288
	s_wait_dscnt 0x0
	global_store_b32 v3, v9, s[4:5] offset:12288
.LBB231_369:
	s_wait_alu 0xfffe
	s_or_b32 exec_lo, exec_lo, s2
                                        ; implicit-def: $vgpr9_vgpr10
.LBB231_370:
	s_wait_alu 0xfffe
	s_and_not1_saveexec_b32 s1, s1
	s_cbranch_execz .LBB231_372
; %bb.371:
	v_lshlrev_b32_e32 v3, 2, v0
	v_readfirstlane_b32 s2, v9
	v_readfirstlane_b32 s3, v10
	ds_load_b32 v7, v3 offset:12288
	s_wait_dscnt 0x0
	global_store_b32 v3, v7, s[2:3] offset:12288
.LBB231_372:
	s_wait_alu 0xfffe
	s_or_b32 exec_lo, exec_lo, s0
	v_cmp_eq_u32_e32 vcc_lo, 0, v0
	s_and_b32 s0, vcc_lo, s15
	s_wait_alu 0xfffe
	s_and_saveexec_b32 s1, s0
	s_cbranch_execz .LBB231_149
.LBB231_373:
	v_add_co_u32 v0, s0, s30, v2
	s_wait_alu 0xf1ff
	v_add_co_ci_u32_e64 v3, null, s31, 0, s0
	v_mov_b32_e32 v7, 0
	s_delay_alu instid0(VALU_DEP_3) | instskip(SKIP_1) | instid1(VALU_DEP_3)
	v_add_co_u32 v2, vcc_lo, v0, v4
	s_wait_alu 0xfffd
	v_add_co_ci_u32_e64 v3, null, 0, v3, vcc_lo
	v_add_co_u32 v0, vcc_lo, v5, v1
	s_wait_alu 0xfffd
	v_add_co_ci_u32_e64 v1, null, 0, v6, vcc_lo
	global_store_b128 v7, v[0:3], s[24:25]
	s_endpgm
.LBB231_374:
	s_add_co_i32 s8, ttmp9, 32
	s_mov_b32 s9, 0
	v_dual_mov_b32 v7, 2 :: v_dual_add_nc_u32 v6, v4, v2
	s_wait_alu 0xfffe
	s_lshl_b64 s[8:9], s[8:9], 4
	v_dual_mov_b32 v8, 0 :: v_dual_add_nc_u32 v5, v3, v1
	s_wait_alu 0xfffe
	s_add_nc_u64 s[8:9], s[4:5], s[8:9]
	s_wait_alu 0xfffe
	v_dual_mov_b32 v24, s9 :: v_dual_mov_b32 v23, s8
	;;#ASMSTART
	global_store_b128 v[23:24], v[5:8] off scope:SCOPE_DEV	
s_wait_storecnt 0x0
	;;#ASMEND
	s_or_b32 exec_lo, exec_lo, s6
	s_and_saveexec_b32 s6, s2
	s_cbranch_execz .LBB231_134
.LBB231_375:
	v_mov_b32_e32 v5, 0
	ds_store_b128 v5, v[1:4] offset:13312
	s_wait_alu 0xfffe
	s_or_b32 exec_lo, exec_lo, s6
	v_cmp_eq_u32_e32 vcc_lo, 0, v0
	s_and_b32 exec_lo, exec_lo, vcc_lo
	s_cbranch_execnz .LBB231_135
	s_branch .LBB231_136
	.section	.rodata,"a",@progbits
	.p2align	6, 0x0
	.amdhsa_kernel _ZN7rocprim17ROCPRIM_400000_NS6detail17trampoline_kernelINS0_13select_configILj256ELj13ELNS0_17block_load_methodE3ELS4_3ELS4_3ELNS0_20block_scan_algorithmE0ELj4294967295EEENS1_25partition_config_selectorILNS1_17partition_subalgoE4EjNS0_10empty_typeEbEEZZNS1_14partition_implILS8_4ELb0ES6_15HIP_vector_typeIjLj2EENS0_17counting_iteratorIjlEEPS9_SG_NS0_5tupleIJPjSI_NS0_16reverse_iteratorISI_EEEEENSH_IJSG_SG_SG_EEES9_SI_JZNS1_25segmented_radix_sort_implINS0_14default_configELb1EPKaPaPKlPlN2at6native12_GLOBAL__N_18offset_tEEE10hipError_tPvRmT1_PNSt15iterator_traitsIS12_E10value_typeET2_T3_PNS13_IS18_E10value_typeET4_jRbjT5_S1E_jjP12ihipStream_tbEUljE_ZNSN_ISO_Lb1ESQ_SR_ST_SU_SY_EESZ_S10_S11_S12_S16_S17_S18_S1B_S1C_jS1D_jS1E_S1E_jjS1G_bEUljE0_EEESZ_S10_S11_S18_S1C_S1E_T6_T7_T9_mT8_S1G_bDpT10_ENKUlT_T0_E_clISt17integral_constantIbLb0EES1U_EEDaS1P_S1Q_EUlS1P_E_NS1_11comp_targetILNS1_3genE10ELNS1_11target_archE1200ELNS1_3gpuE4ELNS1_3repE0EEENS1_30default_config_static_selectorELNS0_4arch9wavefront6targetE0EEEvS12_
		.amdhsa_group_segment_fixed_size 13328
		.amdhsa_private_segment_fixed_size 0
		.amdhsa_kernarg_size 176
		.amdhsa_user_sgpr_count 2
		.amdhsa_user_sgpr_dispatch_ptr 0
		.amdhsa_user_sgpr_queue_ptr 0
		.amdhsa_user_sgpr_kernarg_segment_ptr 1
		.amdhsa_user_sgpr_dispatch_id 0
		.amdhsa_user_sgpr_private_segment_size 0
		.amdhsa_wavefront_size32 1
		.amdhsa_uses_dynamic_stack 0
		.amdhsa_enable_private_segment 0
		.amdhsa_system_sgpr_workgroup_id_x 1
		.amdhsa_system_sgpr_workgroup_id_y 0
		.amdhsa_system_sgpr_workgroup_id_z 0
		.amdhsa_system_sgpr_workgroup_info 0
		.amdhsa_system_vgpr_workitem_id 0
		.amdhsa_next_free_vgpr 93
		.amdhsa_next_free_sgpr 58
		.amdhsa_reserve_vcc 1
		.amdhsa_float_round_mode_32 0
		.amdhsa_float_round_mode_16_64 0
		.amdhsa_float_denorm_mode_32 3
		.amdhsa_float_denorm_mode_16_64 3
		.amdhsa_fp16_overflow 0
		.amdhsa_workgroup_processor_mode 1
		.amdhsa_memory_ordered 1
		.amdhsa_forward_progress 1
		.amdhsa_inst_pref_size 148
		.amdhsa_round_robin_scheduling 0
		.amdhsa_exception_fp_ieee_invalid_op 0
		.amdhsa_exception_fp_denorm_src 0
		.amdhsa_exception_fp_ieee_div_zero 0
		.amdhsa_exception_fp_ieee_overflow 0
		.amdhsa_exception_fp_ieee_underflow 0
		.amdhsa_exception_fp_ieee_inexact 0
		.amdhsa_exception_int_div_zero 0
	.end_amdhsa_kernel
	.section	.text._ZN7rocprim17ROCPRIM_400000_NS6detail17trampoline_kernelINS0_13select_configILj256ELj13ELNS0_17block_load_methodE3ELS4_3ELS4_3ELNS0_20block_scan_algorithmE0ELj4294967295EEENS1_25partition_config_selectorILNS1_17partition_subalgoE4EjNS0_10empty_typeEbEEZZNS1_14partition_implILS8_4ELb0ES6_15HIP_vector_typeIjLj2EENS0_17counting_iteratorIjlEEPS9_SG_NS0_5tupleIJPjSI_NS0_16reverse_iteratorISI_EEEEENSH_IJSG_SG_SG_EEES9_SI_JZNS1_25segmented_radix_sort_implINS0_14default_configELb1EPKaPaPKlPlN2at6native12_GLOBAL__N_18offset_tEEE10hipError_tPvRmT1_PNSt15iterator_traitsIS12_E10value_typeET2_T3_PNS13_IS18_E10value_typeET4_jRbjT5_S1E_jjP12ihipStream_tbEUljE_ZNSN_ISO_Lb1ESQ_SR_ST_SU_SY_EESZ_S10_S11_S12_S16_S17_S18_S1B_S1C_jS1D_jS1E_S1E_jjS1G_bEUljE0_EEESZ_S10_S11_S18_S1C_S1E_T6_T7_T9_mT8_S1G_bDpT10_ENKUlT_T0_E_clISt17integral_constantIbLb0EES1U_EEDaS1P_S1Q_EUlS1P_E_NS1_11comp_targetILNS1_3genE10ELNS1_11target_archE1200ELNS1_3gpuE4ELNS1_3repE0EEENS1_30default_config_static_selectorELNS0_4arch9wavefront6targetE0EEEvS12_,"axG",@progbits,_ZN7rocprim17ROCPRIM_400000_NS6detail17trampoline_kernelINS0_13select_configILj256ELj13ELNS0_17block_load_methodE3ELS4_3ELS4_3ELNS0_20block_scan_algorithmE0ELj4294967295EEENS1_25partition_config_selectorILNS1_17partition_subalgoE4EjNS0_10empty_typeEbEEZZNS1_14partition_implILS8_4ELb0ES6_15HIP_vector_typeIjLj2EENS0_17counting_iteratorIjlEEPS9_SG_NS0_5tupleIJPjSI_NS0_16reverse_iteratorISI_EEEEENSH_IJSG_SG_SG_EEES9_SI_JZNS1_25segmented_radix_sort_implINS0_14default_configELb1EPKaPaPKlPlN2at6native12_GLOBAL__N_18offset_tEEE10hipError_tPvRmT1_PNSt15iterator_traitsIS12_E10value_typeET2_T3_PNS13_IS18_E10value_typeET4_jRbjT5_S1E_jjP12ihipStream_tbEUljE_ZNSN_ISO_Lb1ESQ_SR_ST_SU_SY_EESZ_S10_S11_S12_S16_S17_S18_S1B_S1C_jS1D_jS1E_S1E_jjS1G_bEUljE0_EEESZ_S10_S11_S18_S1C_S1E_T6_T7_T9_mT8_S1G_bDpT10_ENKUlT_T0_E_clISt17integral_constantIbLb0EES1U_EEDaS1P_S1Q_EUlS1P_E_NS1_11comp_targetILNS1_3genE10ELNS1_11target_archE1200ELNS1_3gpuE4ELNS1_3repE0EEENS1_30default_config_static_selectorELNS0_4arch9wavefront6targetE0EEEvS12_,comdat
.Lfunc_end231:
	.size	_ZN7rocprim17ROCPRIM_400000_NS6detail17trampoline_kernelINS0_13select_configILj256ELj13ELNS0_17block_load_methodE3ELS4_3ELS4_3ELNS0_20block_scan_algorithmE0ELj4294967295EEENS1_25partition_config_selectorILNS1_17partition_subalgoE4EjNS0_10empty_typeEbEEZZNS1_14partition_implILS8_4ELb0ES6_15HIP_vector_typeIjLj2EENS0_17counting_iteratorIjlEEPS9_SG_NS0_5tupleIJPjSI_NS0_16reverse_iteratorISI_EEEEENSH_IJSG_SG_SG_EEES9_SI_JZNS1_25segmented_radix_sort_implINS0_14default_configELb1EPKaPaPKlPlN2at6native12_GLOBAL__N_18offset_tEEE10hipError_tPvRmT1_PNSt15iterator_traitsIS12_E10value_typeET2_T3_PNS13_IS18_E10value_typeET4_jRbjT5_S1E_jjP12ihipStream_tbEUljE_ZNSN_ISO_Lb1ESQ_SR_ST_SU_SY_EESZ_S10_S11_S12_S16_S17_S18_S1B_S1C_jS1D_jS1E_S1E_jjS1G_bEUljE0_EEESZ_S10_S11_S18_S1C_S1E_T6_T7_T9_mT8_S1G_bDpT10_ENKUlT_T0_E_clISt17integral_constantIbLb0EES1U_EEDaS1P_S1Q_EUlS1P_E_NS1_11comp_targetILNS1_3genE10ELNS1_11target_archE1200ELNS1_3gpuE4ELNS1_3repE0EEENS1_30default_config_static_selectorELNS0_4arch9wavefront6targetE0EEEvS12_, .Lfunc_end231-_ZN7rocprim17ROCPRIM_400000_NS6detail17trampoline_kernelINS0_13select_configILj256ELj13ELNS0_17block_load_methodE3ELS4_3ELS4_3ELNS0_20block_scan_algorithmE0ELj4294967295EEENS1_25partition_config_selectorILNS1_17partition_subalgoE4EjNS0_10empty_typeEbEEZZNS1_14partition_implILS8_4ELb0ES6_15HIP_vector_typeIjLj2EENS0_17counting_iteratorIjlEEPS9_SG_NS0_5tupleIJPjSI_NS0_16reverse_iteratorISI_EEEEENSH_IJSG_SG_SG_EEES9_SI_JZNS1_25segmented_radix_sort_implINS0_14default_configELb1EPKaPaPKlPlN2at6native12_GLOBAL__N_18offset_tEEE10hipError_tPvRmT1_PNSt15iterator_traitsIS12_E10value_typeET2_T3_PNS13_IS18_E10value_typeET4_jRbjT5_S1E_jjP12ihipStream_tbEUljE_ZNSN_ISO_Lb1ESQ_SR_ST_SU_SY_EESZ_S10_S11_S12_S16_S17_S18_S1B_S1C_jS1D_jS1E_S1E_jjS1G_bEUljE0_EEESZ_S10_S11_S18_S1C_S1E_T6_T7_T9_mT8_S1G_bDpT10_ENKUlT_T0_E_clISt17integral_constantIbLb0EES1U_EEDaS1P_S1Q_EUlS1P_E_NS1_11comp_targetILNS1_3genE10ELNS1_11target_archE1200ELNS1_3gpuE4ELNS1_3repE0EEENS1_30default_config_static_selectorELNS0_4arch9wavefront6targetE0EEEvS12_
                                        ; -- End function
	.set _ZN7rocprim17ROCPRIM_400000_NS6detail17trampoline_kernelINS0_13select_configILj256ELj13ELNS0_17block_load_methodE3ELS4_3ELS4_3ELNS0_20block_scan_algorithmE0ELj4294967295EEENS1_25partition_config_selectorILNS1_17partition_subalgoE4EjNS0_10empty_typeEbEEZZNS1_14partition_implILS8_4ELb0ES6_15HIP_vector_typeIjLj2EENS0_17counting_iteratorIjlEEPS9_SG_NS0_5tupleIJPjSI_NS0_16reverse_iteratorISI_EEEEENSH_IJSG_SG_SG_EEES9_SI_JZNS1_25segmented_radix_sort_implINS0_14default_configELb1EPKaPaPKlPlN2at6native12_GLOBAL__N_18offset_tEEE10hipError_tPvRmT1_PNSt15iterator_traitsIS12_E10value_typeET2_T3_PNS13_IS18_E10value_typeET4_jRbjT5_S1E_jjP12ihipStream_tbEUljE_ZNSN_ISO_Lb1ESQ_SR_ST_SU_SY_EESZ_S10_S11_S12_S16_S17_S18_S1B_S1C_jS1D_jS1E_S1E_jjS1G_bEUljE0_EEESZ_S10_S11_S18_S1C_S1E_T6_T7_T9_mT8_S1G_bDpT10_ENKUlT_T0_E_clISt17integral_constantIbLb0EES1U_EEDaS1P_S1Q_EUlS1P_E_NS1_11comp_targetILNS1_3genE10ELNS1_11target_archE1200ELNS1_3gpuE4ELNS1_3repE0EEENS1_30default_config_static_selectorELNS0_4arch9wavefront6targetE0EEEvS12_.num_vgpr, 93
	.set _ZN7rocprim17ROCPRIM_400000_NS6detail17trampoline_kernelINS0_13select_configILj256ELj13ELNS0_17block_load_methodE3ELS4_3ELS4_3ELNS0_20block_scan_algorithmE0ELj4294967295EEENS1_25partition_config_selectorILNS1_17partition_subalgoE4EjNS0_10empty_typeEbEEZZNS1_14partition_implILS8_4ELb0ES6_15HIP_vector_typeIjLj2EENS0_17counting_iteratorIjlEEPS9_SG_NS0_5tupleIJPjSI_NS0_16reverse_iteratorISI_EEEEENSH_IJSG_SG_SG_EEES9_SI_JZNS1_25segmented_radix_sort_implINS0_14default_configELb1EPKaPaPKlPlN2at6native12_GLOBAL__N_18offset_tEEE10hipError_tPvRmT1_PNSt15iterator_traitsIS12_E10value_typeET2_T3_PNS13_IS18_E10value_typeET4_jRbjT5_S1E_jjP12ihipStream_tbEUljE_ZNSN_ISO_Lb1ESQ_SR_ST_SU_SY_EESZ_S10_S11_S12_S16_S17_S18_S1B_S1C_jS1D_jS1E_S1E_jjS1G_bEUljE0_EEESZ_S10_S11_S18_S1C_S1E_T6_T7_T9_mT8_S1G_bDpT10_ENKUlT_T0_E_clISt17integral_constantIbLb0EES1U_EEDaS1P_S1Q_EUlS1P_E_NS1_11comp_targetILNS1_3genE10ELNS1_11target_archE1200ELNS1_3gpuE4ELNS1_3repE0EEENS1_30default_config_static_selectorELNS0_4arch9wavefront6targetE0EEEvS12_.num_agpr, 0
	.set _ZN7rocprim17ROCPRIM_400000_NS6detail17trampoline_kernelINS0_13select_configILj256ELj13ELNS0_17block_load_methodE3ELS4_3ELS4_3ELNS0_20block_scan_algorithmE0ELj4294967295EEENS1_25partition_config_selectorILNS1_17partition_subalgoE4EjNS0_10empty_typeEbEEZZNS1_14partition_implILS8_4ELb0ES6_15HIP_vector_typeIjLj2EENS0_17counting_iteratorIjlEEPS9_SG_NS0_5tupleIJPjSI_NS0_16reverse_iteratorISI_EEEEENSH_IJSG_SG_SG_EEES9_SI_JZNS1_25segmented_radix_sort_implINS0_14default_configELb1EPKaPaPKlPlN2at6native12_GLOBAL__N_18offset_tEEE10hipError_tPvRmT1_PNSt15iterator_traitsIS12_E10value_typeET2_T3_PNS13_IS18_E10value_typeET4_jRbjT5_S1E_jjP12ihipStream_tbEUljE_ZNSN_ISO_Lb1ESQ_SR_ST_SU_SY_EESZ_S10_S11_S12_S16_S17_S18_S1B_S1C_jS1D_jS1E_S1E_jjS1G_bEUljE0_EEESZ_S10_S11_S18_S1C_S1E_T6_T7_T9_mT8_S1G_bDpT10_ENKUlT_T0_E_clISt17integral_constantIbLb0EES1U_EEDaS1P_S1Q_EUlS1P_E_NS1_11comp_targetILNS1_3genE10ELNS1_11target_archE1200ELNS1_3gpuE4ELNS1_3repE0EEENS1_30default_config_static_selectorELNS0_4arch9wavefront6targetE0EEEvS12_.numbered_sgpr, 58
	.set _ZN7rocprim17ROCPRIM_400000_NS6detail17trampoline_kernelINS0_13select_configILj256ELj13ELNS0_17block_load_methodE3ELS4_3ELS4_3ELNS0_20block_scan_algorithmE0ELj4294967295EEENS1_25partition_config_selectorILNS1_17partition_subalgoE4EjNS0_10empty_typeEbEEZZNS1_14partition_implILS8_4ELb0ES6_15HIP_vector_typeIjLj2EENS0_17counting_iteratorIjlEEPS9_SG_NS0_5tupleIJPjSI_NS0_16reverse_iteratorISI_EEEEENSH_IJSG_SG_SG_EEES9_SI_JZNS1_25segmented_radix_sort_implINS0_14default_configELb1EPKaPaPKlPlN2at6native12_GLOBAL__N_18offset_tEEE10hipError_tPvRmT1_PNSt15iterator_traitsIS12_E10value_typeET2_T3_PNS13_IS18_E10value_typeET4_jRbjT5_S1E_jjP12ihipStream_tbEUljE_ZNSN_ISO_Lb1ESQ_SR_ST_SU_SY_EESZ_S10_S11_S12_S16_S17_S18_S1B_S1C_jS1D_jS1E_S1E_jjS1G_bEUljE0_EEESZ_S10_S11_S18_S1C_S1E_T6_T7_T9_mT8_S1G_bDpT10_ENKUlT_T0_E_clISt17integral_constantIbLb0EES1U_EEDaS1P_S1Q_EUlS1P_E_NS1_11comp_targetILNS1_3genE10ELNS1_11target_archE1200ELNS1_3gpuE4ELNS1_3repE0EEENS1_30default_config_static_selectorELNS0_4arch9wavefront6targetE0EEEvS12_.num_named_barrier, 0
	.set _ZN7rocprim17ROCPRIM_400000_NS6detail17trampoline_kernelINS0_13select_configILj256ELj13ELNS0_17block_load_methodE3ELS4_3ELS4_3ELNS0_20block_scan_algorithmE0ELj4294967295EEENS1_25partition_config_selectorILNS1_17partition_subalgoE4EjNS0_10empty_typeEbEEZZNS1_14partition_implILS8_4ELb0ES6_15HIP_vector_typeIjLj2EENS0_17counting_iteratorIjlEEPS9_SG_NS0_5tupleIJPjSI_NS0_16reverse_iteratorISI_EEEEENSH_IJSG_SG_SG_EEES9_SI_JZNS1_25segmented_radix_sort_implINS0_14default_configELb1EPKaPaPKlPlN2at6native12_GLOBAL__N_18offset_tEEE10hipError_tPvRmT1_PNSt15iterator_traitsIS12_E10value_typeET2_T3_PNS13_IS18_E10value_typeET4_jRbjT5_S1E_jjP12ihipStream_tbEUljE_ZNSN_ISO_Lb1ESQ_SR_ST_SU_SY_EESZ_S10_S11_S12_S16_S17_S18_S1B_S1C_jS1D_jS1E_S1E_jjS1G_bEUljE0_EEESZ_S10_S11_S18_S1C_S1E_T6_T7_T9_mT8_S1G_bDpT10_ENKUlT_T0_E_clISt17integral_constantIbLb0EES1U_EEDaS1P_S1Q_EUlS1P_E_NS1_11comp_targetILNS1_3genE10ELNS1_11target_archE1200ELNS1_3gpuE4ELNS1_3repE0EEENS1_30default_config_static_selectorELNS0_4arch9wavefront6targetE0EEEvS12_.private_seg_size, 0
	.set _ZN7rocprim17ROCPRIM_400000_NS6detail17trampoline_kernelINS0_13select_configILj256ELj13ELNS0_17block_load_methodE3ELS4_3ELS4_3ELNS0_20block_scan_algorithmE0ELj4294967295EEENS1_25partition_config_selectorILNS1_17partition_subalgoE4EjNS0_10empty_typeEbEEZZNS1_14partition_implILS8_4ELb0ES6_15HIP_vector_typeIjLj2EENS0_17counting_iteratorIjlEEPS9_SG_NS0_5tupleIJPjSI_NS0_16reverse_iteratorISI_EEEEENSH_IJSG_SG_SG_EEES9_SI_JZNS1_25segmented_radix_sort_implINS0_14default_configELb1EPKaPaPKlPlN2at6native12_GLOBAL__N_18offset_tEEE10hipError_tPvRmT1_PNSt15iterator_traitsIS12_E10value_typeET2_T3_PNS13_IS18_E10value_typeET4_jRbjT5_S1E_jjP12ihipStream_tbEUljE_ZNSN_ISO_Lb1ESQ_SR_ST_SU_SY_EESZ_S10_S11_S12_S16_S17_S18_S1B_S1C_jS1D_jS1E_S1E_jjS1G_bEUljE0_EEESZ_S10_S11_S18_S1C_S1E_T6_T7_T9_mT8_S1G_bDpT10_ENKUlT_T0_E_clISt17integral_constantIbLb0EES1U_EEDaS1P_S1Q_EUlS1P_E_NS1_11comp_targetILNS1_3genE10ELNS1_11target_archE1200ELNS1_3gpuE4ELNS1_3repE0EEENS1_30default_config_static_selectorELNS0_4arch9wavefront6targetE0EEEvS12_.uses_vcc, 1
	.set _ZN7rocprim17ROCPRIM_400000_NS6detail17trampoline_kernelINS0_13select_configILj256ELj13ELNS0_17block_load_methodE3ELS4_3ELS4_3ELNS0_20block_scan_algorithmE0ELj4294967295EEENS1_25partition_config_selectorILNS1_17partition_subalgoE4EjNS0_10empty_typeEbEEZZNS1_14partition_implILS8_4ELb0ES6_15HIP_vector_typeIjLj2EENS0_17counting_iteratorIjlEEPS9_SG_NS0_5tupleIJPjSI_NS0_16reverse_iteratorISI_EEEEENSH_IJSG_SG_SG_EEES9_SI_JZNS1_25segmented_radix_sort_implINS0_14default_configELb1EPKaPaPKlPlN2at6native12_GLOBAL__N_18offset_tEEE10hipError_tPvRmT1_PNSt15iterator_traitsIS12_E10value_typeET2_T3_PNS13_IS18_E10value_typeET4_jRbjT5_S1E_jjP12ihipStream_tbEUljE_ZNSN_ISO_Lb1ESQ_SR_ST_SU_SY_EESZ_S10_S11_S12_S16_S17_S18_S1B_S1C_jS1D_jS1E_S1E_jjS1G_bEUljE0_EEESZ_S10_S11_S18_S1C_S1E_T6_T7_T9_mT8_S1G_bDpT10_ENKUlT_T0_E_clISt17integral_constantIbLb0EES1U_EEDaS1P_S1Q_EUlS1P_E_NS1_11comp_targetILNS1_3genE10ELNS1_11target_archE1200ELNS1_3gpuE4ELNS1_3repE0EEENS1_30default_config_static_selectorELNS0_4arch9wavefront6targetE0EEEvS12_.uses_flat_scratch, 0
	.set _ZN7rocprim17ROCPRIM_400000_NS6detail17trampoline_kernelINS0_13select_configILj256ELj13ELNS0_17block_load_methodE3ELS4_3ELS4_3ELNS0_20block_scan_algorithmE0ELj4294967295EEENS1_25partition_config_selectorILNS1_17partition_subalgoE4EjNS0_10empty_typeEbEEZZNS1_14partition_implILS8_4ELb0ES6_15HIP_vector_typeIjLj2EENS0_17counting_iteratorIjlEEPS9_SG_NS0_5tupleIJPjSI_NS0_16reverse_iteratorISI_EEEEENSH_IJSG_SG_SG_EEES9_SI_JZNS1_25segmented_radix_sort_implINS0_14default_configELb1EPKaPaPKlPlN2at6native12_GLOBAL__N_18offset_tEEE10hipError_tPvRmT1_PNSt15iterator_traitsIS12_E10value_typeET2_T3_PNS13_IS18_E10value_typeET4_jRbjT5_S1E_jjP12ihipStream_tbEUljE_ZNSN_ISO_Lb1ESQ_SR_ST_SU_SY_EESZ_S10_S11_S12_S16_S17_S18_S1B_S1C_jS1D_jS1E_S1E_jjS1G_bEUljE0_EEESZ_S10_S11_S18_S1C_S1E_T6_T7_T9_mT8_S1G_bDpT10_ENKUlT_T0_E_clISt17integral_constantIbLb0EES1U_EEDaS1P_S1Q_EUlS1P_E_NS1_11comp_targetILNS1_3genE10ELNS1_11target_archE1200ELNS1_3gpuE4ELNS1_3repE0EEENS1_30default_config_static_selectorELNS0_4arch9wavefront6targetE0EEEvS12_.has_dyn_sized_stack, 0
	.set _ZN7rocprim17ROCPRIM_400000_NS6detail17trampoline_kernelINS0_13select_configILj256ELj13ELNS0_17block_load_methodE3ELS4_3ELS4_3ELNS0_20block_scan_algorithmE0ELj4294967295EEENS1_25partition_config_selectorILNS1_17partition_subalgoE4EjNS0_10empty_typeEbEEZZNS1_14partition_implILS8_4ELb0ES6_15HIP_vector_typeIjLj2EENS0_17counting_iteratorIjlEEPS9_SG_NS0_5tupleIJPjSI_NS0_16reverse_iteratorISI_EEEEENSH_IJSG_SG_SG_EEES9_SI_JZNS1_25segmented_radix_sort_implINS0_14default_configELb1EPKaPaPKlPlN2at6native12_GLOBAL__N_18offset_tEEE10hipError_tPvRmT1_PNSt15iterator_traitsIS12_E10value_typeET2_T3_PNS13_IS18_E10value_typeET4_jRbjT5_S1E_jjP12ihipStream_tbEUljE_ZNSN_ISO_Lb1ESQ_SR_ST_SU_SY_EESZ_S10_S11_S12_S16_S17_S18_S1B_S1C_jS1D_jS1E_S1E_jjS1G_bEUljE0_EEESZ_S10_S11_S18_S1C_S1E_T6_T7_T9_mT8_S1G_bDpT10_ENKUlT_T0_E_clISt17integral_constantIbLb0EES1U_EEDaS1P_S1Q_EUlS1P_E_NS1_11comp_targetILNS1_3genE10ELNS1_11target_archE1200ELNS1_3gpuE4ELNS1_3repE0EEENS1_30default_config_static_selectorELNS0_4arch9wavefront6targetE0EEEvS12_.has_recursion, 0
	.set _ZN7rocprim17ROCPRIM_400000_NS6detail17trampoline_kernelINS0_13select_configILj256ELj13ELNS0_17block_load_methodE3ELS4_3ELS4_3ELNS0_20block_scan_algorithmE0ELj4294967295EEENS1_25partition_config_selectorILNS1_17partition_subalgoE4EjNS0_10empty_typeEbEEZZNS1_14partition_implILS8_4ELb0ES6_15HIP_vector_typeIjLj2EENS0_17counting_iteratorIjlEEPS9_SG_NS0_5tupleIJPjSI_NS0_16reverse_iteratorISI_EEEEENSH_IJSG_SG_SG_EEES9_SI_JZNS1_25segmented_radix_sort_implINS0_14default_configELb1EPKaPaPKlPlN2at6native12_GLOBAL__N_18offset_tEEE10hipError_tPvRmT1_PNSt15iterator_traitsIS12_E10value_typeET2_T3_PNS13_IS18_E10value_typeET4_jRbjT5_S1E_jjP12ihipStream_tbEUljE_ZNSN_ISO_Lb1ESQ_SR_ST_SU_SY_EESZ_S10_S11_S12_S16_S17_S18_S1B_S1C_jS1D_jS1E_S1E_jjS1G_bEUljE0_EEESZ_S10_S11_S18_S1C_S1E_T6_T7_T9_mT8_S1G_bDpT10_ENKUlT_T0_E_clISt17integral_constantIbLb0EES1U_EEDaS1P_S1Q_EUlS1P_E_NS1_11comp_targetILNS1_3genE10ELNS1_11target_archE1200ELNS1_3gpuE4ELNS1_3repE0EEENS1_30default_config_static_selectorELNS0_4arch9wavefront6targetE0EEEvS12_.has_indirect_call, 0
	.section	.AMDGPU.csdata,"",@progbits
; Kernel info:
; codeLenInByte = 18900
; TotalNumSgprs: 60
; NumVgprs: 93
; ScratchSize: 0
; MemoryBound: 0
; FloatMode: 240
; IeeeMode: 1
; LDSByteSize: 13328 bytes/workgroup (compile time only)
; SGPRBlocks: 0
; VGPRBlocks: 11
; NumSGPRsForWavesPerEU: 60
; NumVGPRsForWavesPerEU: 93
; Occupancy: 16
; WaveLimiterHint : 1
; COMPUTE_PGM_RSRC2:SCRATCH_EN: 0
; COMPUTE_PGM_RSRC2:USER_SGPR: 2
; COMPUTE_PGM_RSRC2:TRAP_HANDLER: 0
; COMPUTE_PGM_RSRC2:TGID_X_EN: 1
; COMPUTE_PGM_RSRC2:TGID_Y_EN: 0
; COMPUTE_PGM_RSRC2:TGID_Z_EN: 0
; COMPUTE_PGM_RSRC2:TIDIG_COMP_CNT: 0
	.section	.text._ZN7rocprim17ROCPRIM_400000_NS6detail17trampoline_kernelINS0_13select_configILj256ELj13ELNS0_17block_load_methodE3ELS4_3ELS4_3ELNS0_20block_scan_algorithmE0ELj4294967295EEENS1_25partition_config_selectorILNS1_17partition_subalgoE4EjNS0_10empty_typeEbEEZZNS1_14partition_implILS8_4ELb0ES6_15HIP_vector_typeIjLj2EENS0_17counting_iteratorIjlEEPS9_SG_NS0_5tupleIJPjSI_NS0_16reverse_iteratorISI_EEEEENSH_IJSG_SG_SG_EEES9_SI_JZNS1_25segmented_radix_sort_implINS0_14default_configELb1EPKaPaPKlPlN2at6native12_GLOBAL__N_18offset_tEEE10hipError_tPvRmT1_PNSt15iterator_traitsIS12_E10value_typeET2_T3_PNS13_IS18_E10value_typeET4_jRbjT5_S1E_jjP12ihipStream_tbEUljE_ZNSN_ISO_Lb1ESQ_SR_ST_SU_SY_EESZ_S10_S11_S12_S16_S17_S18_S1B_S1C_jS1D_jS1E_S1E_jjS1G_bEUljE0_EEESZ_S10_S11_S18_S1C_S1E_T6_T7_T9_mT8_S1G_bDpT10_ENKUlT_T0_E_clISt17integral_constantIbLb0EES1U_EEDaS1P_S1Q_EUlS1P_E_NS1_11comp_targetILNS1_3genE9ELNS1_11target_archE1100ELNS1_3gpuE3ELNS1_3repE0EEENS1_30default_config_static_selectorELNS0_4arch9wavefront6targetE0EEEvS12_,"axG",@progbits,_ZN7rocprim17ROCPRIM_400000_NS6detail17trampoline_kernelINS0_13select_configILj256ELj13ELNS0_17block_load_methodE3ELS4_3ELS4_3ELNS0_20block_scan_algorithmE0ELj4294967295EEENS1_25partition_config_selectorILNS1_17partition_subalgoE4EjNS0_10empty_typeEbEEZZNS1_14partition_implILS8_4ELb0ES6_15HIP_vector_typeIjLj2EENS0_17counting_iteratorIjlEEPS9_SG_NS0_5tupleIJPjSI_NS0_16reverse_iteratorISI_EEEEENSH_IJSG_SG_SG_EEES9_SI_JZNS1_25segmented_radix_sort_implINS0_14default_configELb1EPKaPaPKlPlN2at6native12_GLOBAL__N_18offset_tEEE10hipError_tPvRmT1_PNSt15iterator_traitsIS12_E10value_typeET2_T3_PNS13_IS18_E10value_typeET4_jRbjT5_S1E_jjP12ihipStream_tbEUljE_ZNSN_ISO_Lb1ESQ_SR_ST_SU_SY_EESZ_S10_S11_S12_S16_S17_S18_S1B_S1C_jS1D_jS1E_S1E_jjS1G_bEUljE0_EEESZ_S10_S11_S18_S1C_S1E_T6_T7_T9_mT8_S1G_bDpT10_ENKUlT_T0_E_clISt17integral_constantIbLb0EES1U_EEDaS1P_S1Q_EUlS1P_E_NS1_11comp_targetILNS1_3genE9ELNS1_11target_archE1100ELNS1_3gpuE3ELNS1_3repE0EEENS1_30default_config_static_selectorELNS0_4arch9wavefront6targetE0EEEvS12_,comdat
	.globl	_ZN7rocprim17ROCPRIM_400000_NS6detail17trampoline_kernelINS0_13select_configILj256ELj13ELNS0_17block_load_methodE3ELS4_3ELS4_3ELNS0_20block_scan_algorithmE0ELj4294967295EEENS1_25partition_config_selectorILNS1_17partition_subalgoE4EjNS0_10empty_typeEbEEZZNS1_14partition_implILS8_4ELb0ES6_15HIP_vector_typeIjLj2EENS0_17counting_iteratorIjlEEPS9_SG_NS0_5tupleIJPjSI_NS0_16reverse_iteratorISI_EEEEENSH_IJSG_SG_SG_EEES9_SI_JZNS1_25segmented_radix_sort_implINS0_14default_configELb1EPKaPaPKlPlN2at6native12_GLOBAL__N_18offset_tEEE10hipError_tPvRmT1_PNSt15iterator_traitsIS12_E10value_typeET2_T3_PNS13_IS18_E10value_typeET4_jRbjT5_S1E_jjP12ihipStream_tbEUljE_ZNSN_ISO_Lb1ESQ_SR_ST_SU_SY_EESZ_S10_S11_S12_S16_S17_S18_S1B_S1C_jS1D_jS1E_S1E_jjS1G_bEUljE0_EEESZ_S10_S11_S18_S1C_S1E_T6_T7_T9_mT8_S1G_bDpT10_ENKUlT_T0_E_clISt17integral_constantIbLb0EES1U_EEDaS1P_S1Q_EUlS1P_E_NS1_11comp_targetILNS1_3genE9ELNS1_11target_archE1100ELNS1_3gpuE3ELNS1_3repE0EEENS1_30default_config_static_selectorELNS0_4arch9wavefront6targetE0EEEvS12_ ; -- Begin function _ZN7rocprim17ROCPRIM_400000_NS6detail17trampoline_kernelINS0_13select_configILj256ELj13ELNS0_17block_load_methodE3ELS4_3ELS4_3ELNS0_20block_scan_algorithmE0ELj4294967295EEENS1_25partition_config_selectorILNS1_17partition_subalgoE4EjNS0_10empty_typeEbEEZZNS1_14partition_implILS8_4ELb0ES6_15HIP_vector_typeIjLj2EENS0_17counting_iteratorIjlEEPS9_SG_NS0_5tupleIJPjSI_NS0_16reverse_iteratorISI_EEEEENSH_IJSG_SG_SG_EEES9_SI_JZNS1_25segmented_radix_sort_implINS0_14default_configELb1EPKaPaPKlPlN2at6native12_GLOBAL__N_18offset_tEEE10hipError_tPvRmT1_PNSt15iterator_traitsIS12_E10value_typeET2_T3_PNS13_IS18_E10value_typeET4_jRbjT5_S1E_jjP12ihipStream_tbEUljE_ZNSN_ISO_Lb1ESQ_SR_ST_SU_SY_EESZ_S10_S11_S12_S16_S17_S18_S1B_S1C_jS1D_jS1E_S1E_jjS1G_bEUljE0_EEESZ_S10_S11_S18_S1C_S1E_T6_T7_T9_mT8_S1G_bDpT10_ENKUlT_T0_E_clISt17integral_constantIbLb0EES1U_EEDaS1P_S1Q_EUlS1P_E_NS1_11comp_targetILNS1_3genE9ELNS1_11target_archE1100ELNS1_3gpuE3ELNS1_3repE0EEENS1_30default_config_static_selectorELNS0_4arch9wavefront6targetE0EEEvS12_
	.p2align	8
	.type	_ZN7rocprim17ROCPRIM_400000_NS6detail17trampoline_kernelINS0_13select_configILj256ELj13ELNS0_17block_load_methodE3ELS4_3ELS4_3ELNS0_20block_scan_algorithmE0ELj4294967295EEENS1_25partition_config_selectorILNS1_17partition_subalgoE4EjNS0_10empty_typeEbEEZZNS1_14partition_implILS8_4ELb0ES6_15HIP_vector_typeIjLj2EENS0_17counting_iteratorIjlEEPS9_SG_NS0_5tupleIJPjSI_NS0_16reverse_iteratorISI_EEEEENSH_IJSG_SG_SG_EEES9_SI_JZNS1_25segmented_radix_sort_implINS0_14default_configELb1EPKaPaPKlPlN2at6native12_GLOBAL__N_18offset_tEEE10hipError_tPvRmT1_PNSt15iterator_traitsIS12_E10value_typeET2_T3_PNS13_IS18_E10value_typeET4_jRbjT5_S1E_jjP12ihipStream_tbEUljE_ZNSN_ISO_Lb1ESQ_SR_ST_SU_SY_EESZ_S10_S11_S12_S16_S17_S18_S1B_S1C_jS1D_jS1E_S1E_jjS1G_bEUljE0_EEESZ_S10_S11_S18_S1C_S1E_T6_T7_T9_mT8_S1G_bDpT10_ENKUlT_T0_E_clISt17integral_constantIbLb0EES1U_EEDaS1P_S1Q_EUlS1P_E_NS1_11comp_targetILNS1_3genE9ELNS1_11target_archE1100ELNS1_3gpuE3ELNS1_3repE0EEENS1_30default_config_static_selectorELNS0_4arch9wavefront6targetE0EEEvS12_,@function
_ZN7rocprim17ROCPRIM_400000_NS6detail17trampoline_kernelINS0_13select_configILj256ELj13ELNS0_17block_load_methodE3ELS4_3ELS4_3ELNS0_20block_scan_algorithmE0ELj4294967295EEENS1_25partition_config_selectorILNS1_17partition_subalgoE4EjNS0_10empty_typeEbEEZZNS1_14partition_implILS8_4ELb0ES6_15HIP_vector_typeIjLj2EENS0_17counting_iteratorIjlEEPS9_SG_NS0_5tupleIJPjSI_NS0_16reverse_iteratorISI_EEEEENSH_IJSG_SG_SG_EEES9_SI_JZNS1_25segmented_radix_sort_implINS0_14default_configELb1EPKaPaPKlPlN2at6native12_GLOBAL__N_18offset_tEEE10hipError_tPvRmT1_PNSt15iterator_traitsIS12_E10value_typeET2_T3_PNS13_IS18_E10value_typeET4_jRbjT5_S1E_jjP12ihipStream_tbEUljE_ZNSN_ISO_Lb1ESQ_SR_ST_SU_SY_EESZ_S10_S11_S12_S16_S17_S18_S1B_S1C_jS1D_jS1E_S1E_jjS1G_bEUljE0_EEESZ_S10_S11_S18_S1C_S1E_T6_T7_T9_mT8_S1G_bDpT10_ENKUlT_T0_E_clISt17integral_constantIbLb0EES1U_EEDaS1P_S1Q_EUlS1P_E_NS1_11comp_targetILNS1_3genE9ELNS1_11target_archE1100ELNS1_3gpuE3ELNS1_3repE0EEENS1_30default_config_static_selectorELNS0_4arch9wavefront6targetE0EEEvS12_: ; @_ZN7rocprim17ROCPRIM_400000_NS6detail17trampoline_kernelINS0_13select_configILj256ELj13ELNS0_17block_load_methodE3ELS4_3ELS4_3ELNS0_20block_scan_algorithmE0ELj4294967295EEENS1_25partition_config_selectorILNS1_17partition_subalgoE4EjNS0_10empty_typeEbEEZZNS1_14partition_implILS8_4ELb0ES6_15HIP_vector_typeIjLj2EENS0_17counting_iteratorIjlEEPS9_SG_NS0_5tupleIJPjSI_NS0_16reverse_iteratorISI_EEEEENSH_IJSG_SG_SG_EEES9_SI_JZNS1_25segmented_radix_sort_implINS0_14default_configELb1EPKaPaPKlPlN2at6native12_GLOBAL__N_18offset_tEEE10hipError_tPvRmT1_PNSt15iterator_traitsIS12_E10value_typeET2_T3_PNS13_IS18_E10value_typeET4_jRbjT5_S1E_jjP12ihipStream_tbEUljE_ZNSN_ISO_Lb1ESQ_SR_ST_SU_SY_EESZ_S10_S11_S12_S16_S17_S18_S1B_S1C_jS1D_jS1E_S1E_jjS1G_bEUljE0_EEESZ_S10_S11_S18_S1C_S1E_T6_T7_T9_mT8_S1G_bDpT10_ENKUlT_T0_E_clISt17integral_constantIbLb0EES1U_EEDaS1P_S1Q_EUlS1P_E_NS1_11comp_targetILNS1_3genE9ELNS1_11target_archE1100ELNS1_3gpuE3ELNS1_3repE0EEENS1_30default_config_static_selectorELNS0_4arch9wavefront6targetE0EEEvS12_
; %bb.0:
	.section	.rodata,"a",@progbits
	.p2align	6, 0x0
	.amdhsa_kernel _ZN7rocprim17ROCPRIM_400000_NS6detail17trampoline_kernelINS0_13select_configILj256ELj13ELNS0_17block_load_methodE3ELS4_3ELS4_3ELNS0_20block_scan_algorithmE0ELj4294967295EEENS1_25partition_config_selectorILNS1_17partition_subalgoE4EjNS0_10empty_typeEbEEZZNS1_14partition_implILS8_4ELb0ES6_15HIP_vector_typeIjLj2EENS0_17counting_iteratorIjlEEPS9_SG_NS0_5tupleIJPjSI_NS0_16reverse_iteratorISI_EEEEENSH_IJSG_SG_SG_EEES9_SI_JZNS1_25segmented_radix_sort_implINS0_14default_configELb1EPKaPaPKlPlN2at6native12_GLOBAL__N_18offset_tEEE10hipError_tPvRmT1_PNSt15iterator_traitsIS12_E10value_typeET2_T3_PNS13_IS18_E10value_typeET4_jRbjT5_S1E_jjP12ihipStream_tbEUljE_ZNSN_ISO_Lb1ESQ_SR_ST_SU_SY_EESZ_S10_S11_S12_S16_S17_S18_S1B_S1C_jS1D_jS1E_S1E_jjS1G_bEUljE0_EEESZ_S10_S11_S18_S1C_S1E_T6_T7_T9_mT8_S1G_bDpT10_ENKUlT_T0_E_clISt17integral_constantIbLb0EES1U_EEDaS1P_S1Q_EUlS1P_E_NS1_11comp_targetILNS1_3genE9ELNS1_11target_archE1100ELNS1_3gpuE3ELNS1_3repE0EEENS1_30default_config_static_selectorELNS0_4arch9wavefront6targetE0EEEvS12_
		.amdhsa_group_segment_fixed_size 0
		.amdhsa_private_segment_fixed_size 0
		.amdhsa_kernarg_size 176
		.amdhsa_user_sgpr_count 2
		.amdhsa_user_sgpr_dispatch_ptr 0
		.amdhsa_user_sgpr_queue_ptr 0
		.amdhsa_user_sgpr_kernarg_segment_ptr 1
		.amdhsa_user_sgpr_dispatch_id 0
		.amdhsa_user_sgpr_private_segment_size 0
		.amdhsa_wavefront_size32 1
		.amdhsa_uses_dynamic_stack 0
		.amdhsa_enable_private_segment 0
		.amdhsa_system_sgpr_workgroup_id_x 1
		.amdhsa_system_sgpr_workgroup_id_y 0
		.amdhsa_system_sgpr_workgroup_id_z 0
		.amdhsa_system_sgpr_workgroup_info 0
		.amdhsa_system_vgpr_workitem_id 0
		.amdhsa_next_free_vgpr 1
		.amdhsa_next_free_sgpr 1
		.amdhsa_reserve_vcc 0
		.amdhsa_float_round_mode_32 0
		.amdhsa_float_round_mode_16_64 0
		.amdhsa_float_denorm_mode_32 3
		.amdhsa_float_denorm_mode_16_64 3
		.amdhsa_fp16_overflow 0
		.amdhsa_workgroup_processor_mode 1
		.amdhsa_memory_ordered 1
		.amdhsa_forward_progress 1
		.amdhsa_inst_pref_size 0
		.amdhsa_round_robin_scheduling 0
		.amdhsa_exception_fp_ieee_invalid_op 0
		.amdhsa_exception_fp_denorm_src 0
		.amdhsa_exception_fp_ieee_div_zero 0
		.amdhsa_exception_fp_ieee_overflow 0
		.amdhsa_exception_fp_ieee_underflow 0
		.amdhsa_exception_fp_ieee_inexact 0
		.amdhsa_exception_int_div_zero 0
	.end_amdhsa_kernel
	.section	.text._ZN7rocprim17ROCPRIM_400000_NS6detail17trampoline_kernelINS0_13select_configILj256ELj13ELNS0_17block_load_methodE3ELS4_3ELS4_3ELNS0_20block_scan_algorithmE0ELj4294967295EEENS1_25partition_config_selectorILNS1_17partition_subalgoE4EjNS0_10empty_typeEbEEZZNS1_14partition_implILS8_4ELb0ES6_15HIP_vector_typeIjLj2EENS0_17counting_iteratorIjlEEPS9_SG_NS0_5tupleIJPjSI_NS0_16reverse_iteratorISI_EEEEENSH_IJSG_SG_SG_EEES9_SI_JZNS1_25segmented_radix_sort_implINS0_14default_configELb1EPKaPaPKlPlN2at6native12_GLOBAL__N_18offset_tEEE10hipError_tPvRmT1_PNSt15iterator_traitsIS12_E10value_typeET2_T3_PNS13_IS18_E10value_typeET4_jRbjT5_S1E_jjP12ihipStream_tbEUljE_ZNSN_ISO_Lb1ESQ_SR_ST_SU_SY_EESZ_S10_S11_S12_S16_S17_S18_S1B_S1C_jS1D_jS1E_S1E_jjS1G_bEUljE0_EEESZ_S10_S11_S18_S1C_S1E_T6_T7_T9_mT8_S1G_bDpT10_ENKUlT_T0_E_clISt17integral_constantIbLb0EES1U_EEDaS1P_S1Q_EUlS1P_E_NS1_11comp_targetILNS1_3genE9ELNS1_11target_archE1100ELNS1_3gpuE3ELNS1_3repE0EEENS1_30default_config_static_selectorELNS0_4arch9wavefront6targetE0EEEvS12_,"axG",@progbits,_ZN7rocprim17ROCPRIM_400000_NS6detail17trampoline_kernelINS0_13select_configILj256ELj13ELNS0_17block_load_methodE3ELS4_3ELS4_3ELNS0_20block_scan_algorithmE0ELj4294967295EEENS1_25partition_config_selectorILNS1_17partition_subalgoE4EjNS0_10empty_typeEbEEZZNS1_14partition_implILS8_4ELb0ES6_15HIP_vector_typeIjLj2EENS0_17counting_iteratorIjlEEPS9_SG_NS0_5tupleIJPjSI_NS0_16reverse_iteratorISI_EEEEENSH_IJSG_SG_SG_EEES9_SI_JZNS1_25segmented_radix_sort_implINS0_14default_configELb1EPKaPaPKlPlN2at6native12_GLOBAL__N_18offset_tEEE10hipError_tPvRmT1_PNSt15iterator_traitsIS12_E10value_typeET2_T3_PNS13_IS18_E10value_typeET4_jRbjT5_S1E_jjP12ihipStream_tbEUljE_ZNSN_ISO_Lb1ESQ_SR_ST_SU_SY_EESZ_S10_S11_S12_S16_S17_S18_S1B_S1C_jS1D_jS1E_S1E_jjS1G_bEUljE0_EEESZ_S10_S11_S18_S1C_S1E_T6_T7_T9_mT8_S1G_bDpT10_ENKUlT_T0_E_clISt17integral_constantIbLb0EES1U_EEDaS1P_S1Q_EUlS1P_E_NS1_11comp_targetILNS1_3genE9ELNS1_11target_archE1100ELNS1_3gpuE3ELNS1_3repE0EEENS1_30default_config_static_selectorELNS0_4arch9wavefront6targetE0EEEvS12_,comdat
.Lfunc_end232:
	.size	_ZN7rocprim17ROCPRIM_400000_NS6detail17trampoline_kernelINS0_13select_configILj256ELj13ELNS0_17block_load_methodE3ELS4_3ELS4_3ELNS0_20block_scan_algorithmE0ELj4294967295EEENS1_25partition_config_selectorILNS1_17partition_subalgoE4EjNS0_10empty_typeEbEEZZNS1_14partition_implILS8_4ELb0ES6_15HIP_vector_typeIjLj2EENS0_17counting_iteratorIjlEEPS9_SG_NS0_5tupleIJPjSI_NS0_16reverse_iteratorISI_EEEEENSH_IJSG_SG_SG_EEES9_SI_JZNS1_25segmented_radix_sort_implINS0_14default_configELb1EPKaPaPKlPlN2at6native12_GLOBAL__N_18offset_tEEE10hipError_tPvRmT1_PNSt15iterator_traitsIS12_E10value_typeET2_T3_PNS13_IS18_E10value_typeET4_jRbjT5_S1E_jjP12ihipStream_tbEUljE_ZNSN_ISO_Lb1ESQ_SR_ST_SU_SY_EESZ_S10_S11_S12_S16_S17_S18_S1B_S1C_jS1D_jS1E_S1E_jjS1G_bEUljE0_EEESZ_S10_S11_S18_S1C_S1E_T6_T7_T9_mT8_S1G_bDpT10_ENKUlT_T0_E_clISt17integral_constantIbLb0EES1U_EEDaS1P_S1Q_EUlS1P_E_NS1_11comp_targetILNS1_3genE9ELNS1_11target_archE1100ELNS1_3gpuE3ELNS1_3repE0EEENS1_30default_config_static_selectorELNS0_4arch9wavefront6targetE0EEEvS12_, .Lfunc_end232-_ZN7rocprim17ROCPRIM_400000_NS6detail17trampoline_kernelINS0_13select_configILj256ELj13ELNS0_17block_load_methodE3ELS4_3ELS4_3ELNS0_20block_scan_algorithmE0ELj4294967295EEENS1_25partition_config_selectorILNS1_17partition_subalgoE4EjNS0_10empty_typeEbEEZZNS1_14partition_implILS8_4ELb0ES6_15HIP_vector_typeIjLj2EENS0_17counting_iteratorIjlEEPS9_SG_NS0_5tupleIJPjSI_NS0_16reverse_iteratorISI_EEEEENSH_IJSG_SG_SG_EEES9_SI_JZNS1_25segmented_radix_sort_implINS0_14default_configELb1EPKaPaPKlPlN2at6native12_GLOBAL__N_18offset_tEEE10hipError_tPvRmT1_PNSt15iterator_traitsIS12_E10value_typeET2_T3_PNS13_IS18_E10value_typeET4_jRbjT5_S1E_jjP12ihipStream_tbEUljE_ZNSN_ISO_Lb1ESQ_SR_ST_SU_SY_EESZ_S10_S11_S12_S16_S17_S18_S1B_S1C_jS1D_jS1E_S1E_jjS1G_bEUljE0_EEESZ_S10_S11_S18_S1C_S1E_T6_T7_T9_mT8_S1G_bDpT10_ENKUlT_T0_E_clISt17integral_constantIbLb0EES1U_EEDaS1P_S1Q_EUlS1P_E_NS1_11comp_targetILNS1_3genE9ELNS1_11target_archE1100ELNS1_3gpuE3ELNS1_3repE0EEENS1_30default_config_static_selectorELNS0_4arch9wavefront6targetE0EEEvS12_
                                        ; -- End function
	.set _ZN7rocprim17ROCPRIM_400000_NS6detail17trampoline_kernelINS0_13select_configILj256ELj13ELNS0_17block_load_methodE3ELS4_3ELS4_3ELNS0_20block_scan_algorithmE0ELj4294967295EEENS1_25partition_config_selectorILNS1_17partition_subalgoE4EjNS0_10empty_typeEbEEZZNS1_14partition_implILS8_4ELb0ES6_15HIP_vector_typeIjLj2EENS0_17counting_iteratorIjlEEPS9_SG_NS0_5tupleIJPjSI_NS0_16reverse_iteratorISI_EEEEENSH_IJSG_SG_SG_EEES9_SI_JZNS1_25segmented_radix_sort_implINS0_14default_configELb1EPKaPaPKlPlN2at6native12_GLOBAL__N_18offset_tEEE10hipError_tPvRmT1_PNSt15iterator_traitsIS12_E10value_typeET2_T3_PNS13_IS18_E10value_typeET4_jRbjT5_S1E_jjP12ihipStream_tbEUljE_ZNSN_ISO_Lb1ESQ_SR_ST_SU_SY_EESZ_S10_S11_S12_S16_S17_S18_S1B_S1C_jS1D_jS1E_S1E_jjS1G_bEUljE0_EEESZ_S10_S11_S18_S1C_S1E_T6_T7_T9_mT8_S1G_bDpT10_ENKUlT_T0_E_clISt17integral_constantIbLb0EES1U_EEDaS1P_S1Q_EUlS1P_E_NS1_11comp_targetILNS1_3genE9ELNS1_11target_archE1100ELNS1_3gpuE3ELNS1_3repE0EEENS1_30default_config_static_selectorELNS0_4arch9wavefront6targetE0EEEvS12_.num_vgpr, 0
	.set _ZN7rocprim17ROCPRIM_400000_NS6detail17trampoline_kernelINS0_13select_configILj256ELj13ELNS0_17block_load_methodE3ELS4_3ELS4_3ELNS0_20block_scan_algorithmE0ELj4294967295EEENS1_25partition_config_selectorILNS1_17partition_subalgoE4EjNS0_10empty_typeEbEEZZNS1_14partition_implILS8_4ELb0ES6_15HIP_vector_typeIjLj2EENS0_17counting_iteratorIjlEEPS9_SG_NS0_5tupleIJPjSI_NS0_16reverse_iteratorISI_EEEEENSH_IJSG_SG_SG_EEES9_SI_JZNS1_25segmented_radix_sort_implINS0_14default_configELb1EPKaPaPKlPlN2at6native12_GLOBAL__N_18offset_tEEE10hipError_tPvRmT1_PNSt15iterator_traitsIS12_E10value_typeET2_T3_PNS13_IS18_E10value_typeET4_jRbjT5_S1E_jjP12ihipStream_tbEUljE_ZNSN_ISO_Lb1ESQ_SR_ST_SU_SY_EESZ_S10_S11_S12_S16_S17_S18_S1B_S1C_jS1D_jS1E_S1E_jjS1G_bEUljE0_EEESZ_S10_S11_S18_S1C_S1E_T6_T7_T9_mT8_S1G_bDpT10_ENKUlT_T0_E_clISt17integral_constantIbLb0EES1U_EEDaS1P_S1Q_EUlS1P_E_NS1_11comp_targetILNS1_3genE9ELNS1_11target_archE1100ELNS1_3gpuE3ELNS1_3repE0EEENS1_30default_config_static_selectorELNS0_4arch9wavefront6targetE0EEEvS12_.num_agpr, 0
	.set _ZN7rocprim17ROCPRIM_400000_NS6detail17trampoline_kernelINS0_13select_configILj256ELj13ELNS0_17block_load_methodE3ELS4_3ELS4_3ELNS0_20block_scan_algorithmE0ELj4294967295EEENS1_25partition_config_selectorILNS1_17partition_subalgoE4EjNS0_10empty_typeEbEEZZNS1_14partition_implILS8_4ELb0ES6_15HIP_vector_typeIjLj2EENS0_17counting_iteratorIjlEEPS9_SG_NS0_5tupleIJPjSI_NS0_16reverse_iteratorISI_EEEEENSH_IJSG_SG_SG_EEES9_SI_JZNS1_25segmented_radix_sort_implINS0_14default_configELb1EPKaPaPKlPlN2at6native12_GLOBAL__N_18offset_tEEE10hipError_tPvRmT1_PNSt15iterator_traitsIS12_E10value_typeET2_T3_PNS13_IS18_E10value_typeET4_jRbjT5_S1E_jjP12ihipStream_tbEUljE_ZNSN_ISO_Lb1ESQ_SR_ST_SU_SY_EESZ_S10_S11_S12_S16_S17_S18_S1B_S1C_jS1D_jS1E_S1E_jjS1G_bEUljE0_EEESZ_S10_S11_S18_S1C_S1E_T6_T7_T9_mT8_S1G_bDpT10_ENKUlT_T0_E_clISt17integral_constantIbLb0EES1U_EEDaS1P_S1Q_EUlS1P_E_NS1_11comp_targetILNS1_3genE9ELNS1_11target_archE1100ELNS1_3gpuE3ELNS1_3repE0EEENS1_30default_config_static_selectorELNS0_4arch9wavefront6targetE0EEEvS12_.numbered_sgpr, 0
	.set _ZN7rocprim17ROCPRIM_400000_NS6detail17trampoline_kernelINS0_13select_configILj256ELj13ELNS0_17block_load_methodE3ELS4_3ELS4_3ELNS0_20block_scan_algorithmE0ELj4294967295EEENS1_25partition_config_selectorILNS1_17partition_subalgoE4EjNS0_10empty_typeEbEEZZNS1_14partition_implILS8_4ELb0ES6_15HIP_vector_typeIjLj2EENS0_17counting_iteratorIjlEEPS9_SG_NS0_5tupleIJPjSI_NS0_16reverse_iteratorISI_EEEEENSH_IJSG_SG_SG_EEES9_SI_JZNS1_25segmented_radix_sort_implINS0_14default_configELb1EPKaPaPKlPlN2at6native12_GLOBAL__N_18offset_tEEE10hipError_tPvRmT1_PNSt15iterator_traitsIS12_E10value_typeET2_T3_PNS13_IS18_E10value_typeET4_jRbjT5_S1E_jjP12ihipStream_tbEUljE_ZNSN_ISO_Lb1ESQ_SR_ST_SU_SY_EESZ_S10_S11_S12_S16_S17_S18_S1B_S1C_jS1D_jS1E_S1E_jjS1G_bEUljE0_EEESZ_S10_S11_S18_S1C_S1E_T6_T7_T9_mT8_S1G_bDpT10_ENKUlT_T0_E_clISt17integral_constantIbLb0EES1U_EEDaS1P_S1Q_EUlS1P_E_NS1_11comp_targetILNS1_3genE9ELNS1_11target_archE1100ELNS1_3gpuE3ELNS1_3repE0EEENS1_30default_config_static_selectorELNS0_4arch9wavefront6targetE0EEEvS12_.num_named_barrier, 0
	.set _ZN7rocprim17ROCPRIM_400000_NS6detail17trampoline_kernelINS0_13select_configILj256ELj13ELNS0_17block_load_methodE3ELS4_3ELS4_3ELNS0_20block_scan_algorithmE0ELj4294967295EEENS1_25partition_config_selectorILNS1_17partition_subalgoE4EjNS0_10empty_typeEbEEZZNS1_14partition_implILS8_4ELb0ES6_15HIP_vector_typeIjLj2EENS0_17counting_iteratorIjlEEPS9_SG_NS0_5tupleIJPjSI_NS0_16reverse_iteratorISI_EEEEENSH_IJSG_SG_SG_EEES9_SI_JZNS1_25segmented_radix_sort_implINS0_14default_configELb1EPKaPaPKlPlN2at6native12_GLOBAL__N_18offset_tEEE10hipError_tPvRmT1_PNSt15iterator_traitsIS12_E10value_typeET2_T3_PNS13_IS18_E10value_typeET4_jRbjT5_S1E_jjP12ihipStream_tbEUljE_ZNSN_ISO_Lb1ESQ_SR_ST_SU_SY_EESZ_S10_S11_S12_S16_S17_S18_S1B_S1C_jS1D_jS1E_S1E_jjS1G_bEUljE0_EEESZ_S10_S11_S18_S1C_S1E_T6_T7_T9_mT8_S1G_bDpT10_ENKUlT_T0_E_clISt17integral_constantIbLb0EES1U_EEDaS1P_S1Q_EUlS1P_E_NS1_11comp_targetILNS1_3genE9ELNS1_11target_archE1100ELNS1_3gpuE3ELNS1_3repE0EEENS1_30default_config_static_selectorELNS0_4arch9wavefront6targetE0EEEvS12_.private_seg_size, 0
	.set _ZN7rocprim17ROCPRIM_400000_NS6detail17trampoline_kernelINS0_13select_configILj256ELj13ELNS0_17block_load_methodE3ELS4_3ELS4_3ELNS0_20block_scan_algorithmE0ELj4294967295EEENS1_25partition_config_selectorILNS1_17partition_subalgoE4EjNS0_10empty_typeEbEEZZNS1_14partition_implILS8_4ELb0ES6_15HIP_vector_typeIjLj2EENS0_17counting_iteratorIjlEEPS9_SG_NS0_5tupleIJPjSI_NS0_16reverse_iteratorISI_EEEEENSH_IJSG_SG_SG_EEES9_SI_JZNS1_25segmented_radix_sort_implINS0_14default_configELb1EPKaPaPKlPlN2at6native12_GLOBAL__N_18offset_tEEE10hipError_tPvRmT1_PNSt15iterator_traitsIS12_E10value_typeET2_T3_PNS13_IS18_E10value_typeET4_jRbjT5_S1E_jjP12ihipStream_tbEUljE_ZNSN_ISO_Lb1ESQ_SR_ST_SU_SY_EESZ_S10_S11_S12_S16_S17_S18_S1B_S1C_jS1D_jS1E_S1E_jjS1G_bEUljE0_EEESZ_S10_S11_S18_S1C_S1E_T6_T7_T9_mT8_S1G_bDpT10_ENKUlT_T0_E_clISt17integral_constantIbLb0EES1U_EEDaS1P_S1Q_EUlS1P_E_NS1_11comp_targetILNS1_3genE9ELNS1_11target_archE1100ELNS1_3gpuE3ELNS1_3repE0EEENS1_30default_config_static_selectorELNS0_4arch9wavefront6targetE0EEEvS12_.uses_vcc, 0
	.set _ZN7rocprim17ROCPRIM_400000_NS6detail17trampoline_kernelINS0_13select_configILj256ELj13ELNS0_17block_load_methodE3ELS4_3ELS4_3ELNS0_20block_scan_algorithmE0ELj4294967295EEENS1_25partition_config_selectorILNS1_17partition_subalgoE4EjNS0_10empty_typeEbEEZZNS1_14partition_implILS8_4ELb0ES6_15HIP_vector_typeIjLj2EENS0_17counting_iteratorIjlEEPS9_SG_NS0_5tupleIJPjSI_NS0_16reverse_iteratorISI_EEEEENSH_IJSG_SG_SG_EEES9_SI_JZNS1_25segmented_radix_sort_implINS0_14default_configELb1EPKaPaPKlPlN2at6native12_GLOBAL__N_18offset_tEEE10hipError_tPvRmT1_PNSt15iterator_traitsIS12_E10value_typeET2_T3_PNS13_IS18_E10value_typeET4_jRbjT5_S1E_jjP12ihipStream_tbEUljE_ZNSN_ISO_Lb1ESQ_SR_ST_SU_SY_EESZ_S10_S11_S12_S16_S17_S18_S1B_S1C_jS1D_jS1E_S1E_jjS1G_bEUljE0_EEESZ_S10_S11_S18_S1C_S1E_T6_T7_T9_mT8_S1G_bDpT10_ENKUlT_T0_E_clISt17integral_constantIbLb0EES1U_EEDaS1P_S1Q_EUlS1P_E_NS1_11comp_targetILNS1_3genE9ELNS1_11target_archE1100ELNS1_3gpuE3ELNS1_3repE0EEENS1_30default_config_static_selectorELNS0_4arch9wavefront6targetE0EEEvS12_.uses_flat_scratch, 0
	.set _ZN7rocprim17ROCPRIM_400000_NS6detail17trampoline_kernelINS0_13select_configILj256ELj13ELNS0_17block_load_methodE3ELS4_3ELS4_3ELNS0_20block_scan_algorithmE0ELj4294967295EEENS1_25partition_config_selectorILNS1_17partition_subalgoE4EjNS0_10empty_typeEbEEZZNS1_14partition_implILS8_4ELb0ES6_15HIP_vector_typeIjLj2EENS0_17counting_iteratorIjlEEPS9_SG_NS0_5tupleIJPjSI_NS0_16reverse_iteratorISI_EEEEENSH_IJSG_SG_SG_EEES9_SI_JZNS1_25segmented_radix_sort_implINS0_14default_configELb1EPKaPaPKlPlN2at6native12_GLOBAL__N_18offset_tEEE10hipError_tPvRmT1_PNSt15iterator_traitsIS12_E10value_typeET2_T3_PNS13_IS18_E10value_typeET4_jRbjT5_S1E_jjP12ihipStream_tbEUljE_ZNSN_ISO_Lb1ESQ_SR_ST_SU_SY_EESZ_S10_S11_S12_S16_S17_S18_S1B_S1C_jS1D_jS1E_S1E_jjS1G_bEUljE0_EEESZ_S10_S11_S18_S1C_S1E_T6_T7_T9_mT8_S1G_bDpT10_ENKUlT_T0_E_clISt17integral_constantIbLb0EES1U_EEDaS1P_S1Q_EUlS1P_E_NS1_11comp_targetILNS1_3genE9ELNS1_11target_archE1100ELNS1_3gpuE3ELNS1_3repE0EEENS1_30default_config_static_selectorELNS0_4arch9wavefront6targetE0EEEvS12_.has_dyn_sized_stack, 0
	.set _ZN7rocprim17ROCPRIM_400000_NS6detail17trampoline_kernelINS0_13select_configILj256ELj13ELNS0_17block_load_methodE3ELS4_3ELS4_3ELNS0_20block_scan_algorithmE0ELj4294967295EEENS1_25partition_config_selectorILNS1_17partition_subalgoE4EjNS0_10empty_typeEbEEZZNS1_14partition_implILS8_4ELb0ES6_15HIP_vector_typeIjLj2EENS0_17counting_iteratorIjlEEPS9_SG_NS0_5tupleIJPjSI_NS0_16reverse_iteratorISI_EEEEENSH_IJSG_SG_SG_EEES9_SI_JZNS1_25segmented_radix_sort_implINS0_14default_configELb1EPKaPaPKlPlN2at6native12_GLOBAL__N_18offset_tEEE10hipError_tPvRmT1_PNSt15iterator_traitsIS12_E10value_typeET2_T3_PNS13_IS18_E10value_typeET4_jRbjT5_S1E_jjP12ihipStream_tbEUljE_ZNSN_ISO_Lb1ESQ_SR_ST_SU_SY_EESZ_S10_S11_S12_S16_S17_S18_S1B_S1C_jS1D_jS1E_S1E_jjS1G_bEUljE0_EEESZ_S10_S11_S18_S1C_S1E_T6_T7_T9_mT8_S1G_bDpT10_ENKUlT_T0_E_clISt17integral_constantIbLb0EES1U_EEDaS1P_S1Q_EUlS1P_E_NS1_11comp_targetILNS1_3genE9ELNS1_11target_archE1100ELNS1_3gpuE3ELNS1_3repE0EEENS1_30default_config_static_selectorELNS0_4arch9wavefront6targetE0EEEvS12_.has_recursion, 0
	.set _ZN7rocprim17ROCPRIM_400000_NS6detail17trampoline_kernelINS0_13select_configILj256ELj13ELNS0_17block_load_methodE3ELS4_3ELS4_3ELNS0_20block_scan_algorithmE0ELj4294967295EEENS1_25partition_config_selectorILNS1_17partition_subalgoE4EjNS0_10empty_typeEbEEZZNS1_14partition_implILS8_4ELb0ES6_15HIP_vector_typeIjLj2EENS0_17counting_iteratorIjlEEPS9_SG_NS0_5tupleIJPjSI_NS0_16reverse_iteratorISI_EEEEENSH_IJSG_SG_SG_EEES9_SI_JZNS1_25segmented_radix_sort_implINS0_14default_configELb1EPKaPaPKlPlN2at6native12_GLOBAL__N_18offset_tEEE10hipError_tPvRmT1_PNSt15iterator_traitsIS12_E10value_typeET2_T3_PNS13_IS18_E10value_typeET4_jRbjT5_S1E_jjP12ihipStream_tbEUljE_ZNSN_ISO_Lb1ESQ_SR_ST_SU_SY_EESZ_S10_S11_S12_S16_S17_S18_S1B_S1C_jS1D_jS1E_S1E_jjS1G_bEUljE0_EEESZ_S10_S11_S18_S1C_S1E_T6_T7_T9_mT8_S1G_bDpT10_ENKUlT_T0_E_clISt17integral_constantIbLb0EES1U_EEDaS1P_S1Q_EUlS1P_E_NS1_11comp_targetILNS1_3genE9ELNS1_11target_archE1100ELNS1_3gpuE3ELNS1_3repE0EEENS1_30default_config_static_selectorELNS0_4arch9wavefront6targetE0EEEvS12_.has_indirect_call, 0
	.section	.AMDGPU.csdata,"",@progbits
; Kernel info:
; codeLenInByte = 0
; TotalNumSgprs: 0
; NumVgprs: 0
; ScratchSize: 0
; MemoryBound: 0
; FloatMode: 240
; IeeeMode: 1
; LDSByteSize: 0 bytes/workgroup (compile time only)
; SGPRBlocks: 0
; VGPRBlocks: 0
; NumSGPRsForWavesPerEU: 1
; NumVGPRsForWavesPerEU: 1
; Occupancy: 16
; WaveLimiterHint : 0
; COMPUTE_PGM_RSRC2:SCRATCH_EN: 0
; COMPUTE_PGM_RSRC2:USER_SGPR: 2
; COMPUTE_PGM_RSRC2:TRAP_HANDLER: 0
; COMPUTE_PGM_RSRC2:TGID_X_EN: 1
; COMPUTE_PGM_RSRC2:TGID_Y_EN: 0
; COMPUTE_PGM_RSRC2:TGID_Z_EN: 0
; COMPUTE_PGM_RSRC2:TIDIG_COMP_CNT: 0
	.section	.text._ZN7rocprim17ROCPRIM_400000_NS6detail17trampoline_kernelINS0_13select_configILj256ELj13ELNS0_17block_load_methodE3ELS4_3ELS4_3ELNS0_20block_scan_algorithmE0ELj4294967295EEENS1_25partition_config_selectorILNS1_17partition_subalgoE4EjNS0_10empty_typeEbEEZZNS1_14partition_implILS8_4ELb0ES6_15HIP_vector_typeIjLj2EENS0_17counting_iteratorIjlEEPS9_SG_NS0_5tupleIJPjSI_NS0_16reverse_iteratorISI_EEEEENSH_IJSG_SG_SG_EEES9_SI_JZNS1_25segmented_radix_sort_implINS0_14default_configELb1EPKaPaPKlPlN2at6native12_GLOBAL__N_18offset_tEEE10hipError_tPvRmT1_PNSt15iterator_traitsIS12_E10value_typeET2_T3_PNS13_IS18_E10value_typeET4_jRbjT5_S1E_jjP12ihipStream_tbEUljE_ZNSN_ISO_Lb1ESQ_SR_ST_SU_SY_EESZ_S10_S11_S12_S16_S17_S18_S1B_S1C_jS1D_jS1E_S1E_jjS1G_bEUljE0_EEESZ_S10_S11_S18_S1C_S1E_T6_T7_T9_mT8_S1G_bDpT10_ENKUlT_T0_E_clISt17integral_constantIbLb0EES1U_EEDaS1P_S1Q_EUlS1P_E_NS1_11comp_targetILNS1_3genE8ELNS1_11target_archE1030ELNS1_3gpuE2ELNS1_3repE0EEENS1_30default_config_static_selectorELNS0_4arch9wavefront6targetE0EEEvS12_,"axG",@progbits,_ZN7rocprim17ROCPRIM_400000_NS6detail17trampoline_kernelINS0_13select_configILj256ELj13ELNS0_17block_load_methodE3ELS4_3ELS4_3ELNS0_20block_scan_algorithmE0ELj4294967295EEENS1_25partition_config_selectorILNS1_17partition_subalgoE4EjNS0_10empty_typeEbEEZZNS1_14partition_implILS8_4ELb0ES6_15HIP_vector_typeIjLj2EENS0_17counting_iteratorIjlEEPS9_SG_NS0_5tupleIJPjSI_NS0_16reverse_iteratorISI_EEEEENSH_IJSG_SG_SG_EEES9_SI_JZNS1_25segmented_radix_sort_implINS0_14default_configELb1EPKaPaPKlPlN2at6native12_GLOBAL__N_18offset_tEEE10hipError_tPvRmT1_PNSt15iterator_traitsIS12_E10value_typeET2_T3_PNS13_IS18_E10value_typeET4_jRbjT5_S1E_jjP12ihipStream_tbEUljE_ZNSN_ISO_Lb1ESQ_SR_ST_SU_SY_EESZ_S10_S11_S12_S16_S17_S18_S1B_S1C_jS1D_jS1E_S1E_jjS1G_bEUljE0_EEESZ_S10_S11_S18_S1C_S1E_T6_T7_T9_mT8_S1G_bDpT10_ENKUlT_T0_E_clISt17integral_constantIbLb0EES1U_EEDaS1P_S1Q_EUlS1P_E_NS1_11comp_targetILNS1_3genE8ELNS1_11target_archE1030ELNS1_3gpuE2ELNS1_3repE0EEENS1_30default_config_static_selectorELNS0_4arch9wavefront6targetE0EEEvS12_,comdat
	.globl	_ZN7rocprim17ROCPRIM_400000_NS6detail17trampoline_kernelINS0_13select_configILj256ELj13ELNS0_17block_load_methodE3ELS4_3ELS4_3ELNS0_20block_scan_algorithmE0ELj4294967295EEENS1_25partition_config_selectorILNS1_17partition_subalgoE4EjNS0_10empty_typeEbEEZZNS1_14partition_implILS8_4ELb0ES6_15HIP_vector_typeIjLj2EENS0_17counting_iteratorIjlEEPS9_SG_NS0_5tupleIJPjSI_NS0_16reverse_iteratorISI_EEEEENSH_IJSG_SG_SG_EEES9_SI_JZNS1_25segmented_radix_sort_implINS0_14default_configELb1EPKaPaPKlPlN2at6native12_GLOBAL__N_18offset_tEEE10hipError_tPvRmT1_PNSt15iterator_traitsIS12_E10value_typeET2_T3_PNS13_IS18_E10value_typeET4_jRbjT5_S1E_jjP12ihipStream_tbEUljE_ZNSN_ISO_Lb1ESQ_SR_ST_SU_SY_EESZ_S10_S11_S12_S16_S17_S18_S1B_S1C_jS1D_jS1E_S1E_jjS1G_bEUljE0_EEESZ_S10_S11_S18_S1C_S1E_T6_T7_T9_mT8_S1G_bDpT10_ENKUlT_T0_E_clISt17integral_constantIbLb0EES1U_EEDaS1P_S1Q_EUlS1P_E_NS1_11comp_targetILNS1_3genE8ELNS1_11target_archE1030ELNS1_3gpuE2ELNS1_3repE0EEENS1_30default_config_static_selectorELNS0_4arch9wavefront6targetE0EEEvS12_ ; -- Begin function _ZN7rocprim17ROCPRIM_400000_NS6detail17trampoline_kernelINS0_13select_configILj256ELj13ELNS0_17block_load_methodE3ELS4_3ELS4_3ELNS0_20block_scan_algorithmE0ELj4294967295EEENS1_25partition_config_selectorILNS1_17partition_subalgoE4EjNS0_10empty_typeEbEEZZNS1_14partition_implILS8_4ELb0ES6_15HIP_vector_typeIjLj2EENS0_17counting_iteratorIjlEEPS9_SG_NS0_5tupleIJPjSI_NS0_16reverse_iteratorISI_EEEEENSH_IJSG_SG_SG_EEES9_SI_JZNS1_25segmented_radix_sort_implINS0_14default_configELb1EPKaPaPKlPlN2at6native12_GLOBAL__N_18offset_tEEE10hipError_tPvRmT1_PNSt15iterator_traitsIS12_E10value_typeET2_T3_PNS13_IS18_E10value_typeET4_jRbjT5_S1E_jjP12ihipStream_tbEUljE_ZNSN_ISO_Lb1ESQ_SR_ST_SU_SY_EESZ_S10_S11_S12_S16_S17_S18_S1B_S1C_jS1D_jS1E_S1E_jjS1G_bEUljE0_EEESZ_S10_S11_S18_S1C_S1E_T6_T7_T9_mT8_S1G_bDpT10_ENKUlT_T0_E_clISt17integral_constantIbLb0EES1U_EEDaS1P_S1Q_EUlS1P_E_NS1_11comp_targetILNS1_3genE8ELNS1_11target_archE1030ELNS1_3gpuE2ELNS1_3repE0EEENS1_30default_config_static_selectorELNS0_4arch9wavefront6targetE0EEEvS12_
	.p2align	8
	.type	_ZN7rocprim17ROCPRIM_400000_NS6detail17trampoline_kernelINS0_13select_configILj256ELj13ELNS0_17block_load_methodE3ELS4_3ELS4_3ELNS0_20block_scan_algorithmE0ELj4294967295EEENS1_25partition_config_selectorILNS1_17partition_subalgoE4EjNS0_10empty_typeEbEEZZNS1_14partition_implILS8_4ELb0ES6_15HIP_vector_typeIjLj2EENS0_17counting_iteratorIjlEEPS9_SG_NS0_5tupleIJPjSI_NS0_16reverse_iteratorISI_EEEEENSH_IJSG_SG_SG_EEES9_SI_JZNS1_25segmented_radix_sort_implINS0_14default_configELb1EPKaPaPKlPlN2at6native12_GLOBAL__N_18offset_tEEE10hipError_tPvRmT1_PNSt15iterator_traitsIS12_E10value_typeET2_T3_PNS13_IS18_E10value_typeET4_jRbjT5_S1E_jjP12ihipStream_tbEUljE_ZNSN_ISO_Lb1ESQ_SR_ST_SU_SY_EESZ_S10_S11_S12_S16_S17_S18_S1B_S1C_jS1D_jS1E_S1E_jjS1G_bEUljE0_EEESZ_S10_S11_S18_S1C_S1E_T6_T7_T9_mT8_S1G_bDpT10_ENKUlT_T0_E_clISt17integral_constantIbLb0EES1U_EEDaS1P_S1Q_EUlS1P_E_NS1_11comp_targetILNS1_3genE8ELNS1_11target_archE1030ELNS1_3gpuE2ELNS1_3repE0EEENS1_30default_config_static_selectorELNS0_4arch9wavefront6targetE0EEEvS12_,@function
_ZN7rocprim17ROCPRIM_400000_NS6detail17trampoline_kernelINS0_13select_configILj256ELj13ELNS0_17block_load_methodE3ELS4_3ELS4_3ELNS0_20block_scan_algorithmE0ELj4294967295EEENS1_25partition_config_selectorILNS1_17partition_subalgoE4EjNS0_10empty_typeEbEEZZNS1_14partition_implILS8_4ELb0ES6_15HIP_vector_typeIjLj2EENS0_17counting_iteratorIjlEEPS9_SG_NS0_5tupleIJPjSI_NS0_16reverse_iteratorISI_EEEEENSH_IJSG_SG_SG_EEES9_SI_JZNS1_25segmented_radix_sort_implINS0_14default_configELb1EPKaPaPKlPlN2at6native12_GLOBAL__N_18offset_tEEE10hipError_tPvRmT1_PNSt15iterator_traitsIS12_E10value_typeET2_T3_PNS13_IS18_E10value_typeET4_jRbjT5_S1E_jjP12ihipStream_tbEUljE_ZNSN_ISO_Lb1ESQ_SR_ST_SU_SY_EESZ_S10_S11_S12_S16_S17_S18_S1B_S1C_jS1D_jS1E_S1E_jjS1G_bEUljE0_EEESZ_S10_S11_S18_S1C_S1E_T6_T7_T9_mT8_S1G_bDpT10_ENKUlT_T0_E_clISt17integral_constantIbLb0EES1U_EEDaS1P_S1Q_EUlS1P_E_NS1_11comp_targetILNS1_3genE8ELNS1_11target_archE1030ELNS1_3gpuE2ELNS1_3repE0EEENS1_30default_config_static_selectorELNS0_4arch9wavefront6targetE0EEEvS12_: ; @_ZN7rocprim17ROCPRIM_400000_NS6detail17trampoline_kernelINS0_13select_configILj256ELj13ELNS0_17block_load_methodE3ELS4_3ELS4_3ELNS0_20block_scan_algorithmE0ELj4294967295EEENS1_25partition_config_selectorILNS1_17partition_subalgoE4EjNS0_10empty_typeEbEEZZNS1_14partition_implILS8_4ELb0ES6_15HIP_vector_typeIjLj2EENS0_17counting_iteratorIjlEEPS9_SG_NS0_5tupleIJPjSI_NS0_16reverse_iteratorISI_EEEEENSH_IJSG_SG_SG_EEES9_SI_JZNS1_25segmented_radix_sort_implINS0_14default_configELb1EPKaPaPKlPlN2at6native12_GLOBAL__N_18offset_tEEE10hipError_tPvRmT1_PNSt15iterator_traitsIS12_E10value_typeET2_T3_PNS13_IS18_E10value_typeET4_jRbjT5_S1E_jjP12ihipStream_tbEUljE_ZNSN_ISO_Lb1ESQ_SR_ST_SU_SY_EESZ_S10_S11_S12_S16_S17_S18_S1B_S1C_jS1D_jS1E_S1E_jjS1G_bEUljE0_EEESZ_S10_S11_S18_S1C_S1E_T6_T7_T9_mT8_S1G_bDpT10_ENKUlT_T0_E_clISt17integral_constantIbLb0EES1U_EEDaS1P_S1Q_EUlS1P_E_NS1_11comp_targetILNS1_3genE8ELNS1_11target_archE1030ELNS1_3gpuE2ELNS1_3repE0EEENS1_30default_config_static_selectorELNS0_4arch9wavefront6targetE0EEEvS12_
; %bb.0:
	.section	.rodata,"a",@progbits
	.p2align	6, 0x0
	.amdhsa_kernel _ZN7rocprim17ROCPRIM_400000_NS6detail17trampoline_kernelINS0_13select_configILj256ELj13ELNS0_17block_load_methodE3ELS4_3ELS4_3ELNS0_20block_scan_algorithmE0ELj4294967295EEENS1_25partition_config_selectorILNS1_17partition_subalgoE4EjNS0_10empty_typeEbEEZZNS1_14partition_implILS8_4ELb0ES6_15HIP_vector_typeIjLj2EENS0_17counting_iteratorIjlEEPS9_SG_NS0_5tupleIJPjSI_NS0_16reverse_iteratorISI_EEEEENSH_IJSG_SG_SG_EEES9_SI_JZNS1_25segmented_radix_sort_implINS0_14default_configELb1EPKaPaPKlPlN2at6native12_GLOBAL__N_18offset_tEEE10hipError_tPvRmT1_PNSt15iterator_traitsIS12_E10value_typeET2_T3_PNS13_IS18_E10value_typeET4_jRbjT5_S1E_jjP12ihipStream_tbEUljE_ZNSN_ISO_Lb1ESQ_SR_ST_SU_SY_EESZ_S10_S11_S12_S16_S17_S18_S1B_S1C_jS1D_jS1E_S1E_jjS1G_bEUljE0_EEESZ_S10_S11_S18_S1C_S1E_T6_T7_T9_mT8_S1G_bDpT10_ENKUlT_T0_E_clISt17integral_constantIbLb0EES1U_EEDaS1P_S1Q_EUlS1P_E_NS1_11comp_targetILNS1_3genE8ELNS1_11target_archE1030ELNS1_3gpuE2ELNS1_3repE0EEENS1_30default_config_static_selectorELNS0_4arch9wavefront6targetE0EEEvS12_
		.amdhsa_group_segment_fixed_size 0
		.amdhsa_private_segment_fixed_size 0
		.amdhsa_kernarg_size 176
		.amdhsa_user_sgpr_count 2
		.amdhsa_user_sgpr_dispatch_ptr 0
		.amdhsa_user_sgpr_queue_ptr 0
		.amdhsa_user_sgpr_kernarg_segment_ptr 1
		.amdhsa_user_sgpr_dispatch_id 0
		.amdhsa_user_sgpr_private_segment_size 0
		.amdhsa_wavefront_size32 1
		.amdhsa_uses_dynamic_stack 0
		.amdhsa_enable_private_segment 0
		.amdhsa_system_sgpr_workgroup_id_x 1
		.amdhsa_system_sgpr_workgroup_id_y 0
		.amdhsa_system_sgpr_workgroup_id_z 0
		.amdhsa_system_sgpr_workgroup_info 0
		.amdhsa_system_vgpr_workitem_id 0
		.amdhsa_next_free_vgpr 1
		.amdhsa_next_free_sgpr 1
		.amdhsa_reserve_vcc 0
		.amdhsa_float_round_mode_32 0
		.amdhsa_float_round_mode_16_64 0
		.amdhsa_float_denorm_mode_32 3
		.amdhsa_float_denorm_mode_16_64 3
		.amdhsa_fp16_overflow 0
		.amdhsa_workgroup_processor_mode 1
		.amdhsa_memory_ordered 1
		.amdhsa_forward_progress 1
		.amdhsa_inst_pref_size 0
		.amdhsa_round_robin_scheduling 0
		.amdhsa_exception_fp_ieee_invalid_op 0
		.amdhsa_exception_fp_denorm_src 0
		.amdhsa_exception_fp_ieee_div_zero 0
		.amdhsa_exception_fp_ieee_overflow 0
		.amdhsa_exception_fp_ieee_underflow 0
		.amdhsa_exception_fp_ieee_inexact 0
		.amdhsa_exception_int_div_zero 0
	.end_amdhsa_kernel
	.section	.text._ZN7rocprim17ROCPRIM_400000_NS6detail17trampoline_kernelINS0_13select_configILj256ELj13ELNS0_17block_load_methodE3ELS4_3ELS4_3ELNS0_20block_scan_algorithmE0ELj4294967295EEENS1_25partition_config_selectorILNS1_17partition_subalgoE4EjNS0_10empty_typeEbEEZZNS1_14partition_implILS8_4ELb0ES6_15HIP_vector_typeIjLj2EENS0_17counting_iteratorIjlEEPS9_SG_NS0_5tupleIJPjSI_NS0_16reverse_iteratorISI_EEEEENSH_IJSG_SG_SG_EEES9_SI_JZNS1_25segmented_radix_sort_implINS0_14default_configELb1EPKaPaPKlPlN2at6native12_GLOBAL__N_18offset_tEEE10hipError_tPvRmT1_PNSt15iterator_traitsIS12_E10value_typeET2_T3_PNS13_IS18_E10value_typeET4_jRbjT5_S1E_jjP12ihipStream_tbEUljE_ZNSN_ISO_Lb1ESQ_SR_ST_SU_SY_EESZ_S10_S11_S12_S16_S17_S18_S1B_S1C_jS1D_jS1E_S1E_jjS1G_bEUljE0_EEESZ_S10_S11_S18_S1C_S1E_T6_T7_T9_mT8_S1G_bDpT10_ENKUlT_T0_E_clISt17integral_constantIbLb0EES1U_EEDaS1P_S1Q_EUlS1P_E_NS1_11comp_targetILNS1_3genE8ELNS1_11target_archE1030ELNS1_3gpuE2ELNS1_3repE0EEENS1_30default_config_static_selectorELNS0_4arch9wavefront6targetE0EEEvS12_,"axG",@progbits,_ZN7rocprim17ROCPRIM_400000_NS6detail17trampoline_kernelINS0_13select_configILj256ELj13ELNS0_17block_load_methodE3ELS4_3ELS4_3ELNS0_20block_scan_algorithmE0ELj4294967295EEENS1_25partition_config_selectorILNS1_17partition_subalgoE4EjNS0_10empty_typeEbEEZZNS1_14partition_implILS8_4ELb0ES6_15HIP_vector_typeIjLj2EENS0_17counting_iteratorIjlEEPS9_SG_NS0_5tupleIJPjSI_NS0_16reverse_iteratorISI_EEEEENSH_IJSG_SG_SG_EEES9_SI_JZNS1_25segmented_radix_sort_implINS0_14default_configELb1EPKaPaPKlPlN2at6native12_GLOBAL__N_18offset_tEEE10hipError_tPvRmT1_PNSt15iterator_traitsIS12_E10value_typeET2_T3_PNS13_IS18_E10value_typeET4_jRbjT5_S1E_jjP12ihipStream_tbEUljE_ZNSN_ISO_Lb1ESQ_SR_ST_SU_SY_EESZ_S10_S11_S12_S16_S17_S18_S1B_S1C_jS1D_jS1E_S1E_jjS1G_bEUljE0_EEESZ_S10_S11_S18_S1C_S1E_T6_T7_T9_mT8_S1G_bDpT10_ENKUlT_T0_E_clISt17integral_constantIbLb0EES1U_EEDaS1P_S1Q_EUlS1P_E_NS1_11comp_targetILNS1_3genE8ELNS1_11target_archE1030ELNS1_3gpuE2ELNS1_3repE0EEENS1_30default_config_static_selectorELNS0_4arch9wavefront6targetE0EEEvS12_,comdat
.Lfunc_end233:
	.size	_ZN7rocprim17ROCPRIM_400000_NS6detail17trampoline_kernelINS0_13select_configILj256ELj13ELNS0_17block_load_methodE3ELS4_3ELS4_3ELNS0_20block_scan_algorithmE0ELj4294967295EEENS1_25partition_config_selectorILNS1_17partition_subalgoE4EjNS0_10empty_typeEbEEZZNS1_14partition_implILS8_4ELb0ES6_15HIP_vector_typeIjLj2EENS0_17counting_iteratorIjlEEPS9_SG_NS0_5tupleIJPjSI_NS0_16reverse_iteratorISI_EEEEENSH_IJSG_SG_SG_EEES9_SI_JZNS1_25segmented_radix_sort_implINS0_14default_configELb1EPKaPaPKlPlN2at6native12_GLOBAL__N_18offset_tEEE10hipError_tPvRmT1_PNSt15iterator_traitsIS12_E10value_typeET2_T3_PNS13_IS18_E10value_typeET4_jRbjT5_S1E_jjP12ihipStream_tbEUljE_ZNSN_ISO_Lb1ESQ_SR_ST_SU_SY_EESZ_S10_S11_S12_S16_S17_S18_S1B_S1C_jS1D_jS1E_S1E_jjS1G_bEUljE0_EEESZ_S10_S11_S18_S1C_S1E_T6_T7_T9_mT8_S1G_bDpT10_ENKUlT_T0_E_clISt17integral_constantIbLb0EES1U_EEDaS1P_S1Q_EUlS1P_E_NS1_11comp_targetILNS1_3genE8ELNS1_11target_archE1030ELNS1_3gpuE2ELNS1_3repE0EEENS1_30default_config_static_selectorELNS0_4arch9wavefront6targetE0EEEvS12_, .Lfunc_end233-_ZN7rocprim17ROCPRIM_400000_NS6detail17trampoline_kernelINS0_13select_configILj256ELj13ELNS0_17block_load_methodE3ELS4_3ELS4_3ELNS0_20block_scan_algorithmE0ELj4294967295EEENS1_25partition_config_selectorILNS1_17partition_subalgoE4EjNS0_10empty_typeEbEEZZNS1_14partition_implILS8_4ELb0ES6_15HIP_vector_typeIjLj2EENS0_17counting_iteratorIjlEEPS9_SG_NS0_5tupleIJPjSI_NS0_16reverse_iteratorISI_EEEEENSH_IJSG_SG_SG_EEES9_SI_JZNS1_25segmented_radix_sort_implINS0_14default_configELb1EPKaPaPKlPlN2at6native12_GLOBAL__N_18offset_tEEE10hipError_tPvRmT1_PNSt15iterator_traitsIS12_E10value_typeET2_T3_PNS13_IS18_E10value_typeET4_jRbjT5_S1E_jjP12ihipStream_tbEUljE_ZNSN_ISO_Lb1ESQ_SR_ST_SU_SY_EESZ_S10_S11_S12_S16_S17_S18_S1B_S1C_jS1D_jS1E_S1E_jjS1G_bEUljE0_EEESZ_S10_S11_S18_S1C_S1E_T6_T7_T9_mT8_S1G_bDpT10_ENKUlT_T0_E_clISt17integral_constantIbLb0EES1U_EEDaS1P_S1Q_EUlS1P_E_NS1_11comp_targetILNS1_3genE8ELNS1_11target_archE1030ELNS1_3gpuE2ELNS1_3repE0EEENS1_30default_config_static_selectorELNS0_4arch9wavefront6targetE0EEEvS12_
                                        ; -- End function
	.set _ZN7rocprim17ROCPRIM_400000_NS6detail17trampoline_kernelINS0_13select_configILj256ELj13ELNS0_17block_load_methodE3ELS4_3ELS4_3ELNS0_20block_scan_algorithmE0ELj4294967295EEENS1_25partition_config_selectorILNS1_17partition_subalgoE4EjNS0_10empty_typeEbEEZZNS1_14partition_implILS8_4ELb0ES6_15HIP_vector_typeIjLj2EENS0_17counting_iteratorIjlEEPS9_SG_NS0_5tupleIJPjSI_NS0_16reverse_iteratorISI_EEEEENSH_IJSG_SG_SG_EEES9_SI_JZNS1_25segmented_radix_sort_implINS0_14default_configELb1EPKaPaPKlPlN2at6native12_GLOBAL__N_18offset_tEEE10hipError_tPvRmT1_PNSt15iterator_traitsIS12_E10value_typeET2_T3_PNS13_IS18_E10value_typeET4_jRbjT5_S1E_jjP12ihipStream_tbEUljE_ZNSN_ISO_Lb1ESQ_SR_ST_SU_SY_EESZ_S10_S11_S12_S16_S17_S18_S1B_S1C_jS1D_jS1E_S1E_jjS1G_bEUljE0_EEESZ_S10_S11_S18_S1C_S1E_T6_T7_T9_mT8_S1G_bDpT10_ENKUlT_T0_E_clISt17integral_constantIbLb0EES1U_EEDaS1P_S1Q_EUlS1P_E_NS1_11comp_targetILNS1_3genE8ELNS1_11target_archE1030ELNS1_3gpuE2ELNS1_3repE0EEENS1_30default_config_static_selectorELNS0_4arch9wavefront6targetE0EEEvS12_.num_vgpr, 0
	.set _ZN7rocprim17ROCPRIM_400000_NS6detail17trampoline_kernelINS0_13select_configILj256ELj13ELNS0_17block_load_methodE3ELS4_3ELS4_3ELNS0_20block_scan_algorithmE0ELj4294967295EEENS1_25partition_config_selectorILNS1_17partition_subalgoE4EjNS0_10empty_typeEbEEZZNS1_14partition_implILS8_4ELb0ES6_15HIP_vector_typeIjLj2EENS0_17counting_iteratorIjlEEPS9_SG_NS0_5tupleIJPjSI_NS0_16reverse_iteratorISI_EEEEENSH_IJSG_SG_SG_EEES9_SI_JZNS1_25segmented_radix_sort_implINS0_14default_configELb1EPKaPaPKlPlN2at6native12_GLOBAL__N_18offset_tEEE10hipError_tPvRmT1_PNSt15iterator_traitsIS12_E10value_typeET2_T3_PNS13_IS18_E10value_typeET4_jRbjT5_S1E_jjP12ihipStream_tbEUljE_ZNSN_ISO_Lb1ESQ_SR_ST_SU_SY_EESZ_S10_S11_S12_S16_S17_S18_S1B_S1C_jS1D_jS1E_S1E_jjS1G_bEUljE0_EEESZ_S10_S11_S18_S1C_S1E_T6_T7_T9_mT8_S1G_bDpT10_ENKUlT_T0_E_clISt17integral_constantIbLb0EES1U_EEDaS1P_S1Q_EUlS1P_E_NS1_11comp_targetILNS1_3genE8ELNS1_11target_archE1030ELNS1_3gpuE2ELNS1_3repE0EEENS1_30default_config_static_selectorELNS0_4arch9wavefront6targetE0EEEvS12_.num_agpr, 0
	.set _ZN7rocprim17ROCPRIM_400000_NS6detail17trampoline_kernelINS0_13select_configILj256ELj13ELNS0_17block_load_methodE3ELS4_3ELS4_3ELNS0_20block_scan_algorithmE0ELj4294967295EEENS1_25partition_config_selectorILNS1_17partition_subalgoE4EjNS0_10empty_typeEbEEZZNS1_14partition_implILS8_4ELb0ES6_15HIP_vector_typeIjLj2EENS0_17counting_iteratorIjlEEPS9_SG_NS0_5tupleIJPjSI_NS0_16reverse_iteratorISI_EEEEENSH_IJSG_SG_SG_EEES9_SI_JZNS1_25segmented_radix_sort_implINS0_14default_configELb1EPKaPaPKlPlN2at6native12_GLOBAL__N_18offset_tEEE10hipError_tPvRmT1_PNSt15iterator_traitsIS12_E10value_typeET2_T3_PNS13_IS18_E10value_typeET4_jRbjT5_S1E_jjP12ihipStream_tbEUljE_ZNSN_ISO_Lb1ESQ_SR_ST_SU_SY_EESZ_S10_S11_S12_S16_S17_S18_S1B_S1C_jS1D_jS1E_S1E_jjS1G_bEUljE0_EEESZ_S10_S11_S18_S1C_S1E_T6_T7_T9_mT8_S1G_bDpT10_ENKUlT_T0_E_clISt17integral_constantIbLb0EES1U_EEDaS1P_S1Q_EUlS1P_E_NS1_11comp_targetILNS1_3genE8ELNS1_11target_archE1030ELNS1_3gpuE2ELNS1_3repE0EEENS1_30default_config_static_selectorELNS0_4arch9wavefront6targetE0EEEvS12_.numbered_sgpr, 0
	.set _ZN7rocprim17ROCPRIM_400000_NS6detail17trampoline_kernelINS0_13select_configILj256ELj13ELNS0_17block_load_methodE3ELS4_3ELS4_3ELNS0_20block_scan_algorithmE0ELj4294967295EEENS1_25partition_config_selectorILNS1_17partition_subalgoE4EjNS0_10empty_typeEbEEZZNS1_14partition_implILS8_4ELb0ES6_15HIP_vector_typeIjLj2EENS0_17counting_iteratorIjlEEPS9_SG_NS0_5tupleIJPjSI_NS0_16reverse_iteratorISI_EEEEENSH_IJSG_SG_SG_EEES9_SI_JZNS1_25segmented_radix_sort_implINS0_14default_configELb1EPKaPaPKlPlN2at6native12_GLOBAL__N_18offset_tEEE10hipError_tPvRmT1_PNSt15iterator_traitsIS12_E10value_typeET2_T3_PNS13_IS18_E10value_typeET4_jRbjT5_S1E_jjP12ihipStream_tbEUljE_ZNSN_ISO_Lb1ESQ_SR_ST_SU_SY_EESZ_S10_S11_S12_S16_S17_S18_S1B_S1C_jS1D_jS1E_S1E_jjS1G_bEUljE0_EEESZ_S10_S11_S18_S1C_S1E_T6_T7_T9_mT8_S1G_bDpT10_ENKUlT_T0_E_clISt17integral_constantIbLb0EES1U_EEDaS1P_S1Q_EUlS1P_E_NS1_11comp_targetILNS1_3genE8ELNS1_11target_archE1030ELNS1_3gpuE2ELNS1_3repE0EEENS1_30default_config_static_selectorELNS0_4arch9wavefront6targetE0EEEvS12_.num_named_barrier, 0
	.set _ZN7rocprim17ROCPRIM_400000_NS6detail17trampoline_kernelINS0_13select_configILj256ELj13ELNS0_17block_load_methodE3ELS4_3ELS4_3ELNS0_20block_scan_algorithmE0ELj4294967295EEENS1_25partition_config_selectorILNS1_17partition_subalgoE4EjNS0_10empty_typeEbEEZZNS1_14partition_implILS8_4ELb0ES6_15HIP_vector_typeIjLj2EENS0_17counting_iteratorIjlEEPS9_SG_NS0_5tupleIJPjSI_NS0_16reverse_iteratorISI_EEEEENSH_IJSG_SG_SG_EEES9_SI_JZNS1_25segmented_radix_sort_implINS0_14default_configELb1EPKaPaPKlPlN2at6native12_GLOBAL__N_18offset_tEEE10hipError_tPvRmT1_PNSt15iterator_traitsIS12_E10value_typeET2_T3_PNS13_IS18_E10value_typeET4_jRbjT5_S1E_jjP12ihipStream_tbEUljE_ZNSN_ISO_Lb1ESQ_SR_ST_SU_SY_EESZ_S10_S11_S12_S16_S17_S18_S1B_S1C_jS1D_jS1E_S1E_jjS1G_bEUljE0_EEESZ_S10_S11_S18_S1C_S1E_T6_T7_T9_mT8_S1G_bDpT10_ENKUlT_T0_E_clISt17integral_constantIbLb0EES1U_EEDaS1P_S1Q_EUlS1P_E_NS1_11comp_targetILNS1_3genE8ELNS1_11target_archE1030ELNS1_3gpuE2ELNS1_3repE0EEENS1_30default_config_static_selectorELNS0_4arch9wavefront6targetE0EEEvS12_.private_seg_size, 0
	.set _ZN7rocprim17ROCPRIM_400000_NS6detail17trampoline_kernelINS0_13select_configILj256ELj13ELNS0_17block_load_methodE3ELS4_3ELS4_3ELNS0_20block_scan_algorithmE0ELj4294967295EEENS1_25partition_config_selectorILNS1_17partition_subalgoE4EjNS0_10empty_typeEbEEZZNS1_14partition_implILS8_4ELb0ES6_15HIP_vector_typeIjLj2EENS0_17counting_iteratorIjlEEPS9_SG_NS0_5tupleIJPjSI_NS0_16reverse_iteratorISI_EEEEENSH_IJSG_SG_SG_EEES9_SI_JZNS1_25segmented_radix_sort_implINS0_14default_configELb1EPKaPaPKlPlN2at6native12_GLOBAL__N_18offset_tEEE10hipError_tPvRmT1_PNSt15iterator_traitsIS12_E10value_typeET2_T3_PNS13_IS18_E10value_typeET4_jRbjT5_S1E_jjP12ihipStream_tbEUljE_ZNSN_ISO_Lb1ESQ_SR_ST_SU_SY_EESZ_S10_S11_S12_S16_S17_S18_S1B_S1C_jS1D_jS1E_S1E_jjS1G_bEUljE0_EEESZ_S10_S11_S18_S1C_S1E_T6_T7_T9_mT8_S1G_bDpT10_ENKUlT_T0_E_clISt17integral_constantIbLb0EES1U_EEDaS1P_S1Q_EUlS1P_E_NS1_11comp_targetILNS1_3genE8ELNS1_11target_archE1030ELNS1_3gpuE2ELNS1_3repE0EEENS1_30default_config_static_selectorELNS0_4arch9wavefront6targetE0EEEvS12_.uses_vcc, 0
	.set _ZN7rocprim17ROCPRIM_400000_NS6detail17trampoline_kernelINS0_13select_configILj256ELj13ELNS0_17block_load_methodE3ELS4_3ELS4_3ELNS0_20block_scan_algorithmE0ELj4294967295EEENS1_25partition_config_selectorILNS1_17partition_subalgoE4EjNS0_10empty_typeEbEEZZNS1_14partition_implILS8_4ELb0ES6_15HIP_vector_typeIjLj2EENS0_17counting_iteratorIjlEEPS9_SG_NS0_5tupleIJPjSI_NS0_16reverse_iteratorISI_EEEEENSH_IJSG_SG_SG_EEES9_SI_JZNS1_25segmented_radix_sort_implINS0_14default_configELb1EPKaPaPKlPlN2at6native12_GLOBAL__N_18offset_tEEE10hipError_tPvRmT1_PNSt15iterator_traitsIS12_E10value_typeET2_T3_PNS13_IS18_E10value_typeET4_jRbjT5_S1E_jjP12ihipStream_tbEUljE_ZNSN_ISO_Lb1ESQ_SR_ST_SU_SY_EESZ_S10_S11_S12_S16_S17_S18_S1B_S1C_jS1D_jS1E_S1E_jjS1G_bEUljE0_EEESZ_S10_S11_S18_S1C_S1E_T6_T7_T9_mT8_S1G_bDpT10_ENKUlT_T0_E_clISt17integral_constantIbLb0EES1U_EEDaS1P_S1Q_EUlS1P_E_NS1_11comp_targetILNS1_3genE8ELNS1_11target_archE1030ELNS1_3gpuE2ELNS1_3repE0EEENS1_30default_config_static_selectorELNS0_4arch9wavefront6targetE0EEEvS12_.uses_flat_scratch, 0
	.set _ZN7rocprim17ROCPRIM_400000_NS6detail17trampoline_kernelINS0_13select_configILj256ELj13ELNS0_17block_load_methodE3ELS4_3ELS4_3ELNS0_20block_scan_algorithmE0ELj4294967295EEENS1_25partition_config_selectorILNS1_17partition_subalgoE4EjNS0_10empty_typeEbEEZZNS1_14partition_implILS8_4ELb0ES6_15HIP_vector_typeIjLj2EENS0_17counting_iteratorIjlEEPS9_SG_NS0_5tupleIJPjSI_NS0_16reverse_iteratorISI_EEEEENSH_IJSG_SG_SG_EEES9_SI_JZNS1_25segmented_radix_sort_implINS0_14default_configELb1EPKaPaPKlPlN2at6native12_GLOBAL__N_18offset_tEEE10hipError_tPvRmT1_PNSt15iterator_traitsIS12_E10value_typeET2_T3_PNS13_IS18_E10value_typeET4_jRbjT5_S1E_jjP12ihipStream_tbEUljE_ZNSN_ISO_Lb1ESQ_SR_ST_SU_SY_EESZ_S10_S11_S12_S16_S17_S18_S1B_S1C_jS1D_jS1E_S1E_jjS1G_bEUljE0_EEESZ_S10_S11_S18_S1C_S1E_T6_T7_T9_mT8_S1G_bDpT10_ENKUlT_T0_E_clISt17integral_constantIbLb0EES1U_EEDaS1P_S1Q_EUlS1P_E_NS1_11comp_targetILNS1_3genE8ELNS1_11target_archE1030ELNS1_3gpuE2ELNS1_3repE0EEENS1_30default_config_static_selectorELNS0_4arch9wavefront6targetE0EEEvS12_.has_dyn_sized_stack, 0
	.set _ZN7rocprim17ROCPRIM_400000_NS6detail17trampoline_kernelINS0_13select_configILj256ELj13ELNS0_17block_load_methodE3ELS4_3ELS4_3ELNS0_20block_scan_algorithmE0ELj4294967295EEENS1_25partition_config_selectorILNS1_17partition_subalgoE4EjNS0_10empty_typeEbEEZZNS1_14partition_implILS8_4ELb0ES6_15HIP_vector_typeIjLj2EENS0_17counting_iteratorIjlEEPS9_SG_NS0_5tupleIJPjSI_NS0_16reverse_iteratorISI_EEEEENSH_IJSG_SG_SG_EEES9_SI_JZNS1_25segmented_radix_sort_implINS0_14default_configELb1EPKaPaPKlPlN2at6native12_GLOBAL__N_18offset_tEEE10hipError_tPvRmT1_PNSt15iterator_traitsIS12_E10value_typeET2_T3_PNS13_IS18_E10value_typeET4_jRbjT5_S1E_jjP12ihipStream_tbEUljE_ZNSN_ISO_Lb1ESQ_SR_ST_SU_SY_EESZ_S10_S11_S12_S16_S17_S18_S1B_S1C_jS1D_jS1E_S1E_jjS1G_bEUljE0_EEESZ_S10_S11_S18_S1C_S1E_T6_T7_T9_mT8_S1G_bDpT10_ENKUlT_T0_E_clISt17integral_constantIbLb0EES1U_EEDaS1P_S1Q_EUlS1P_E_NS1_11comp_targetILNS1_3genE8ELNS1_11target_archE1030ELNS1_3gpuE2ELNS1_3repE0EEENS1_30default_config_static_selectorELNS0_4arch9wavefront6targetE0EEEvS12_.has_recursion, 0
	.set _ZN7rocprim17ROCPRIM_400000_NS6detail17trampoline_kernelINS0_13select_configILj256ELj13ELNS0_17block_load_methodE3ELS4_3ELS4_3ELNS0_20block_scan_algorithmE0ELj4294967295EEENS1_25partition_config_selectorILNS1_17partition_subalgoE4EjNS0_10empty_typeEbEEZZNS1_14partition_implILS8_4ELb0ES6_15HIP_vector_typeIjLj2EENS0_17counting_iteratorIjlEEPS9_SG_NS0_5tupleIJPjSI_NS0_16reverse_iteratorISI_EEEEENSH_IJSG_SG_SG_EEES9_SI_JZNS1_25segmented_radix_sort_implINS0_14default_configELb1EPKaPaPKlPlN2at6native12_GLOBAL__N_18offset_tEEE10hipError_tPvRmT1_PNSt15iterator_traitsIS12_E10value_typeET2_T3_PNS13_IS18_E10value_typeET4_jRbjT5_S1E_jjP12ihipStream_tbEUljE_ZNSN_ISO_Lb1ESQ_SR_ST_SU_SY_EESZ_S10_S11_S12_S16_S17_S18_S1B_S1C_jS1D_jS1E_S1E_jjS1G_bEUljE0_EEESZ_S10_S11_S18_S1C_S1E_T6_T7_T9_mT8_S1G_bDpT10_ENKUlT_T0_E_clISt17integral_constantIbLb0EES1U_EEDaS1P_S1Q_EUlS1P_E_NS1_11comp_targetILNS1_3genE8ELNS1_11target_archE1030ELNS1_3gpuE2ELNS1_3repE0EEENS1_30default_config_static_selectorELNS0_4arch9wavefront6targetE0EEEvS12_.has_indirect_call, 0
	.section	.AMDGPU.csdata,"",@progbits
; Kernel info:
; codeLenInByte = 0
; TotalNumSgprs: 0
; NumVgprs: 0
; ScratchSize: 0
; MemoryBound: 0
; FloatMode: 240
; IeeeMode: 1
; LDSByteSize: 0 bytes/workgroup (compile time only)
; SGPRBlocks: 0
; VGPRBlocks: 0
; NumSGPRsForWavesPerEU: 1
; NumVGPRsForWavesPerEU: 1
; Occupancy: 16
; WaveLimiterHint : 0
; COMPUTE_PGM_RSRC2:SCRATCH_EN: 0
; COMPUTE_PGM_RSRC2:USER_SGPR: 2
; COMPUTE_PGM_RSRC2:TRAP_HANDLER: 0
; COMPUTE_PGM_RSRC2:TGID_X_EN: 1
; COMPUTE_PGM_RSRC2:TGID_Y_EN: 0
; COMPUTE_PGM_RSRC2:TGID_Z_EN: 0
; COMPUTE_PGM_RSRC2:TIDIG_COMP_CNT: 0
	.section	.text._ZN7rocprim17ROCPRIM_400000_NS6detail17trampoline_kernelINS0_13select_configILj256ELj13ELNS0_17block_load_methodE3ELS4_3ELS4_3ELNS0_20block_scan_algorithmE0ELj4294967295EEENS1_25partition_config_selectorILNS1_17partition_subalgoE4EjNS0_10empty_typeEbEEZZNS1_14partition_implILS8_4ELb0ES6_15HIP_vector_typeIjLj2EENS0_17counting_iteratorIjlEEPS9_SG_NS0_5tupleIJPjSI_NS0_16reverse_iteratorISI_EEEEENSH_IJSG_SG_SG_EEES9_SI_JZNS1_25segmented_radix_sort_implINS0_14default_configELb1EPKaPaPKlPlN2at6native12_GLOBAL__N_18offset_tEEE10hipError_tPvRmT1_PNSt15iterator_traitsIS12_E10value_typeET2_T3_PNS13_IS18_E10value_typeET4_jRbjT5_S1E_jjP12ihipStream_tbEUljE_ZNSN_ISO_Lb1ESQ_SR_ST_SU_SY_EESZ_S10_S11_S12_S16_S17_S18_S1B_S1C_jS1D_jS1E_S1E_jjS1G_bEUljE0_EEESZ_S10_S11_S18_S1C_S1E_T6_T7_T9_mT8_S1G_bDpT10_ENKUlT_T0_E_clISt17integral_constantIbLb1EES1U_EEDaS1P_S1Q_EUlS1P_E_NS1_11comp_targetILNS1_3genE0ELNS1_11target_archE4294967295ELNS1_3gpuE0ELNS1_3repE0EEENS1_30default_config_static_selectorELNS0_4arch9wavefront6targetE0EEEvS12_,"axG",@progbits,_ZN7rocprim17ROCPRIM_400000_NS6detail17trampoline_kernelINS0_13select_configILj256ELj13ELNS0_17block_load_methodE3ELS4_3ELS4_3ELNS0_20block_scan_algorithmE0ELj4294967295EEENS1_25partition_config_selectorILNS1_17partition_subalgoE4EjNS0_10empty_typeEbEEZZNS1_14partition_implILS8_4ELb0ES6_15HIP_vector_typeIjLj2EENS0_17counting_iteratorIjlEEPS9_SG_NS0_5tupleIJPjSI_NS0_16reverse_iteratorISI_EEEEENSH_IJSG_SG_SG_EEES9_SI_JZNS1_25segmented_radix_sort_implINS0_14default_configELb1EPKaPaPKlPlN2at6native12_GLOBAL__N_18offset_tEEE10hipError_tPvRmT1_PNSt15iterator_traitsIS12_E10value_typeET2_T3_PNS13_IS18_E10value_typeET4_jRbjT5_S1E_jjP12ihipStream_tbEUljE_ZNSN_ISO_Lb1ESQ_SR_ST_SU_SY_EESZ_S10_S11_S12_S16_S17_S18_S1B_S1C_jS1D_jS1E_S1E_jjS1G_bEUljE0_EEESZ_S10_S11_S18_S1C_S1E_T6_T7_T9_mT8_S1G_bDpT10_ENKUlT_T0_E_clISt17integral_constantIbLb1EES1U_EEDaS1P_S1Q_EUlS1P_E_NS1_11comp_targetILNS1_3genE0ELNS1_11target_archE4294967295ELNS1_3gpuE0ELNS1_3repE0EEENS1_30default_config_static_selectorELNS0_4arch9wavefront6targetE0EEEvS12_,comdat
	.globl	_ZN7rocprim17ROCPRIM_400000_NS6detail17trampoline_kernelINS0_13select_configILj256ELj13ELNS0_17block_load_methodE3ELS4_3ELS4_3ELNS0_20block_scan_algorithmE0ELj4294967295EEENS1_25partition_config_selectorILNS1_17partition_subalgoE4EjNS0_10empty_typeEbEEZZNS1_14partition_implILS8_4ELb0ES6_15HIP_vector_typeIjLj2EENS0_17counting_iteratorIjlEEPS9_SG_NS0_5tupleIJPjSI_NS0_16reverse_iteratorISI_EEEEENSH_IJSG_SG_SG_EEES9_SI_JZNS1_25segmented_radix_sort_implINS0_14default_configELb1EPKaPaPKlPlN2at6native12_GLOBAL__N_18offset_tEEE10hipError_tPvRmT1_PNSt15iterator_traitsIS12_E10value_typeET2_T3_PNS13_IS18_E10value_typeET4_jRbjT5_S1E_jjP12ihipStream_tbEUljE_ZNSN_ISO_Lb1ESQ_SR_ST_SU_SY_EESZ_S10_S11_S12_S16_S17_S18_S1B_S1C_jS1D_jS1E_S1E_jjS1G_bEUljE0_EEESZ_S10_S11_S18_S1C_S1E_T6_T7_T9_mT8_S1G_bDpT10_ENKUlT_T0_E_clISt17integral_constantIbLb1EES1U_EEDaS1P_S1Q_EUlS1P_E_NS1_11comp_targetILNS1_3genE0ELNS1_11target_archE4294967295ELNS1_3gpuE0ELNS1_3repE0EEENS1_30default_config_static_selectorELNS0_4arch9wavefront6targetE0EEEvS12_ ; -- Begin function _ZN7rocprim17ROCPRIM_400000_NS6detail17trampoline_kernelINS0_13select_configILj256ELj13ELNS0_17block_load_methodE3ELS4_3ELS4_3ELNS0_20block_scan_algorithmE0ELj4294967295EEENS1_25partition_config_selectorILNS1_17partition_subalgoE4EjNS0_10empty_typeEbEEZZNS1_14partition_implILS8_4ELb0ES6_15HIP_vector_typeIjLj2EENS0_17counting_iteratorIjlEEPS9_SG_NS0_5tupleIJPjSI_NS0_16reverse_iteratorISI_EEEEENSH_IJSG_SG_SG_EEES9_SI_JZNS1_25segmented_radix_sort_implINS0_14default_configELb1EPKaPaPKlPlN2at6native12_GLOBAL__N_18offset_tEEE10hipError_tPvRmT1_PNSt15iterator_traitsIS12_E10value_typeET2_T3_PNS13_IS18_E10value_typeET4_jRbjT5_S1E_jjP12ihipStream_tbEUljE_ZNSN_ISO_Lb1ESQ_SR_ST_SU_SY_EESZ_S10_S11_S12_S16_S17_S18_S1B_S1C_jS1D_jS1E_S1E_jjS1G_bEUljE0_EEESZ_S10_S11_S18_S1C_S1E_T6_T7_T9_mT8_S1G_bDpT10_ENKUlT_T0_E_clISt17integral_constantIbLb1EES1U_EEDaS1P_S1Q_EUlS1P_E_NS1_11comp_targetILNS1_3genE0ELNS1_11target_archE4294967295ELNS1_3gpuE0ELNS1_3repE0EEENS1_30default_config_static_selectorELNS0_4arch9wavefront6targetE0EEEvS12_
	.p2align	8
	.type	_ZN7rocprim17ROCPRIM_400000_NS6detail17trampoline_kernelINS0_13select_configILj256ELj13ELNS0_17block_load_methodE3ELS4_3ELS4_3ELNS0_20block_scan_algorithmE0ELj4294967295EEENS1_25partition_config_selectorILNS1_17partition_subalgoE4EjNS0_10empty_typeEbEEZZNS1_14partition_implILS8_4ELb0ES6_15HIP_vector_typeIjLj2EENS0_17counting_iteratorIjlEEPS9_SG_NS0_5tupleIJPjSI_NS0_16reverse_iteratorISI_EEEEENSH_IJSG_SG_SG_EEES9_SI_JZNS1_25segmented_radix_sort_implINS0_14default_configELb1EPKaPaPKlPlN2at6native12_GLOBAL__N_18offset_tEEE10hipError_tPvRmT1_PNSt15iterator_traitsIS12_E10value_typeET2_T3_PNS13_IS18_E10value_typeET4_jRbjT5_S1E_jjP12ihipStream_tbEUljE_ZNSN_ISO_Lb1ESQ_SR_ST_SU_SY_EESZ_S10_S11_S12_S16_S17_S18_S1B_S1C_jS1D_jS1E_S1E_jjS1G_bEUljE0_EEESZ_S10_S11_S18_S1C_S1E_T6_T7_T9_mT8_S1G_bDpT10_ENKUlT_T0_E_clISt17integral_constantIbLb1EES1U_EEDaS1P_S1Q_EUlS1P_E_NS1_11comp_targetILNS1_3genE0ELNS1_11target_archE4294967295ELNS1_3gpuE0ELNS1_3repE0EEENS1_30default_config_static_selectorELNS0_4arch9wavefront6targetE0EEEvS12_,@function
_ZN7rocprim17ROCPRIM_400000_NS6detail17trampoline_kernelINS0_13select_configILj256ELj13ELNS0_17block_load_methodE3ELS4_3ELS4_3ELNS0_20block_scan_algorithmE0ELj4294967295EEENS1_25partition_config_selectorILNS1_17partition_subalgoE4EjNS0_10empty_typeEbEEZZNS1_14partition_implILS8_4ELb0ES6_15HIP_vector_typeIjLj2EENS0_17counting_iteratorIjlEEPS9_SG_NS0_5tupleIJPjSI_NS0_16reverse_iteratorISI_EEEEENSH_IJSG_SG_SG_EEES9_SI_JZNS1_25segmented_radix_sort_implINS0_14default_configELb1EPKaPaPKlPlN2at6native12_GLOBAL__N_18offset_tEEE10hipError_tPvRmT1_PNSt15iterator_traitsIS12_E10value_typeET2_T3_PNS13_IS18_E10value_typeET4_jRbjT5_S1E_jjP12ihipStream_tbEUljE_ZNSN_ISO_Lb1ESQ_SR_ST_SU_SY_EESZ_S10_S11_S12_S16_S17_S18_S1B_S1C_jS1D_jS1E_S1E_jjS1G_bEUljE0_EEESZ_S10_S11_S18_S1C_S1E_T6_T7_T9_mT8_S1G_bDpT10_ENKUlT_T0_E_clISt17integral_constantIbLb1EES1U_EEDaS1P_S1Q_EUlS1P_E_NS1_11comp_targetILNS1_3genE0ELNS1_11target_archE4294967295ELNS1_3gpuE0ELNS1_3repE0EEENS1_30default_config_static_selectorELNS0_4arch9wavefront6targetE0EEEvS12_: ; @_ZN7rocprim17ROCPRIM_400000_NS6detail17trampoline_kernelINS0_13select_configILj256ELj13ELNS0_17block_load_methodE3ELS4_3ELS4_3ELNS0_20block_scan_algorithmE0ELj4294967295EEENS1_25partition_config_selectorILNS1_17partition_subalgoE4EjNS0_10empty_typeEbEEZZNS1_14partition_implILS8_4ELb0ES6_15HIP_vector_typeIjLj2EENS0_17counting_iteratorIjlEEPS9_SG_NS0_5tupleIJPjSI_NS0_16reverse_iteratorISI_EEEEENSH_IJSG_SG_SG_EEES9_SI_JZNS1_25segmented_radix_sort_implINS0_14default_configELb1EPKaPaPKlPlN2at6native12_GLOBAL__N_18offset_tEEE10hipError_tPvRmT1_PNSt15iterator_traitsIS12_E10value_typeET2_T3_PNS13_IS18_E10value_typeET4_jRbjT5_S1E_jjP12ihipStream_tbEUljE_ZNSN_ISO_Lb1ESQ_SR_ST_SU_SY_EESZ_S10_S11_S12_S16_S17_S18_S1B_S1C_jS1D_jS1E_S1E_jjS1G_bEUljE0_EEESZ_S10_S11_S18_S1C_S1E_T6_T7_T9_mT8_S1G_bDpT10_ENKUlT_T0_E_clISt17integral_constantIbLb1EES1U_EEDaS1P_S1Q_EUlS1P_E_NS1_11comp_targetILNS1_3genE0ELNS1_11target_archE4294967295ELNS1_3gpuE0ELNS1_3repE0EEENS1_30default_config_static_selectorELNS0_4arch9wavefront6targetE0EEEvS12_
; %bb.0:
	.section	.rodata,"a",@progbits
	.p2align	6, 0x0
	.amdhsa_kernel _ZN7rocprim17ROCPRIM_400000_NS6detail17trampoline_kernelINS0_13select_configILj256ELj13ELNS0_17block_load_methodE3ELS4_3ELS4_3ELNS0_20block_scan_algorithmE0ELj4294967295EEENS1_25partition_config_selectorILNS1_17partition_subalgoE4EjNS0_10empty_typeEbEEZZNS1_14partition_implILS8_4ELb0ES6_15HIP_vector_typeIjLj2EENS0_17counting_iteratorIjlEEPS9_SG_NS0_5tupleIJPjSI_NS0_16reverse_iteratorISI_EEEEENSH_IJSG_SG_SG_EEES9_SI_JZNS1_25segmented_radix_sort_implINS0_14default_configELb1EPKaPaPKlPlN2at6native12_GLOBAL__N_18offset_tEEE10hipError_tPvRmT1_PNSt15iterator_traitsIS12_E10value_typeET2_T3_PNS13_IS18_E10value_typeET4_jRbjT5_S1E_jjP12ihipStream_tbEUljE_ZNSN_ISO_Lb1ESQ_SR_ST_SU_SY_EESZ_S10_S11_S12_S16_S17_S18_S1B_S1C_jS1D_jS1E_S1E_jjS1G_bEUljE0_EEESZ_S10_S11_S18_S1C_S1E_T6_T7_T9_mT8_S1G_bDpT10_ENKUlT_T0_E_clISt17integral_constantIbLb1EES1U_EEDaS1P_S1Q_EUlS1P_E_NS1_11comp_targetILNS1_3genE0ELNS1_11target_archE4294967295ELNS1_3gpuE0ELNS1_3repE0EEENS1_30default_config_static_selectorELNS0_4arch9wavefront6targetE0EEEvS12_
		.amdhsa_group_segment_fixed_size 0
		.amdhsa_private_segment_fixed_size 0
		.amdhsa_kernarg_size 184
		.amdhsa_user_sgpr_count 2
		.amdhsa_user_sgpr_dispatch_ptr 0
		.amdhsa_user_sgpr_queue_ptr 0
		.amdhsa_user_sgpr_kernarg_segment_ptr 1
		.amdhsa_user_sgpr_dispatch_id 0
		.amdhsa_user_sgpr_private_segment_size 0
		.amdhsa_wavefront_size32 1
		.amdhsa_uses_dynamic_stack 0
		.amdhsa_enable_private_segment 0
		.amdhsa_system_sgpr_workgroup_id_x 1
		.amdhsa_system_sgpr_workgroup_id_y 0
		.amdhsa_system_sgpr_workgroup_id_z 0
		.amdhsa_system_sgpr_workgroup_info 0
		.amdhsa_system_vgpr_workitem_id 0
		.amdhsa_next_free_vgpr 1
		.amdhsa_next_free_sgpr 1
		.amdhsa_reserve_vcc 0
		.amdhsa_float_round_mode_32 0
		.amdhsa_float_round_mode_16_64 0
		.amdhsa_float_denorm_mode_32 3
		.amdhsa_float_denorm_mode_16_64 3
		.amdhsa_fp16_overflow 0
		.amdhsa_workgroup_processor_mode 1
		.amdhsa_memory_ordered 1
		.amdhsa_forward_progress 1
		.amdhsa_inst_pref_size 0
		.amdhsa_round_robin_scheduling 0
		.amdhsa_exception_fp_ieee_invalid_op 0
		.amdhsa_exception_fp_denorm_src 0
		.amdhsa_exception_fp_ieee_div_zero 0
		.amdhsa_exception_fp_ieee_overflow 0
		.amdhsa_exception_fp_ieee_underflow 0
		.amdhsa_exception_fp_ieee_inexact 0
		.amdhsa_exception_int_div_zero 0
	.end_amdhsa_kernel
	.section	.text._ZN7rocprim17ROCPRIM_400000_NS6detail17trampoline_kernelINS0_13select_configILj256ELj13ELNS0_17block_load_methodE3ELS4_3ELS4_3ELNS0_20block_scan_algorithmE0ELj4294967295EEENS1_25partition_config_selectorILNS1_17partition_subalgoE4EjNS0_10empty_typeEbEEZZNS1_14partition_implILS8_4ELb0ES6_15HIP_vector_typeIjLj2EENS0_17counting_iteratorIjlEEPS9_SG_NS0_5tupleIJPjSI_NS0_16reverse_iteratorISI_EEEEENSH_IJSG_SG_SG_EEES9_SI_JZNS1_25segmented_radix_sort_implINS0_14default_configELb1EPKaPaPKlPlN2at6native12_GLOBAL__N_18offset_tEEE10hipError_tPvRmT1_PNSt15iterator_traitsIS12_E10value_typeET2_T3_PNS13_IS18_E10value_typeET4_jRbjT5_S1E_jjP12ihipStream_tbEUljE_ZNSN_ISO_Lb1ESQ_SR_ST_SU_SY_EESZ_S10_S11_S12_S16_S17_S18_S1B_S1C_jS1D_jS1E_S1E_jjS1G_bEUljE0_EEESZ_S10_S11_S18_S1C_S1E_T6_T7_T9_mT8_S1G_bDpT10_ENKUlT_T0_E_clISt17integral_constantIbLb1EES1U_EEDaS1P_S1Q_EUlS1P_E_NS1_11comp_targetILNS1_3genE0ELNS1_11target_archE4294967295ELNS1_3gpuE0ELNS1_3repE0EEENS1_30default_config_static_selectorELNS0_4arch9wavefront6targetE0EEEvS12_,"axG",@progbits,_ZN7rocprim17ROCPRIM_400000_NS6detail17trampoline_kernelINS0_13select_configILj256ELj13ELNS0_17block_load_methodE3ELS4_3ELS4_3ELNS0_20block_scan_algorithmE0ELj4294967295EEENS1_25partition_config_selectorILNS1_17partition_subalgoE4EjNS0_10empty_typeEbEEZZNS1_14partition_implILS8_4ELb0ES6_15HIP_vector_typeIjLj2EENS0_17counting_iteratorIjlEEPS9_SG_NS0_5tupleIJPjSI_NS0_16reverse_iteratorISI_EEEEENSH_IJSG_SG_SG_EEES9_SI_JZNS1_25segmented_radix_sort_implINS0_14default_configELb1EPKaPaPKlPlN2at6native12_GLOBAL__N_18offset_tEEE10hipError_tPvRmT1_PNSt15iterator_traitsIS12_E10value_typeET2_T3_PNS13_IS18_E10value_typeET4_jRbjT5_S1E_jjP12ihipStream_tbEUljE_ZNSN_ISO_Lb1ESQ_SR_ST_SU_SY_EESZ_S10_S11_S12_S16_S17_S18_S1B_S1C_jS1D_jS1E_S1E_jjS1G_bEUljE0_EEESZ_S10_S11_S18_S1C_S1E_T6_T7_T9_mT8_S1G_bDpT10_ENKUlT_T0_E_clISt17integral_constantIbLb1EES1U_EEDaS1P_S1Q_EUlS1P_E_NS1_11comp_targetILNS1_3genE0ELNS1_11target_archE4294967295ELNS1_3gpuE0ELNS1_3repE0EEENS1_30default_config_static_selectorELNS0_4arch9wavefront6targetE0EEEvS12_,comdat
.Lfunc_end234:
	.size	_ZN7rocprim17ROCPRIM_400000_NS6detail17trampoline_kernelINS0_13select_configILj256ELj13ELNS0_17block_load_methodE3ELS4_3ELS4_3ELNS0_20block_scan_algorithmE0ELj4294967295EEENS1_25partition_config_selectorILNS1_17partition_subalgoE4EjNS0_10empty_typeEbEEZZNS1_14partition_implILS8_4ELb0ES6_15HIP_vector_typeIjLj2EENS0_17counting_iteratorIjlEEPS9_SG_NS0_5tupleIJPjSI_NS0_16reverse_iteratorISI_EEEEENSH_IJSG_SG_SG_EEES9_SI_JZNS1_25segmented_radix_sort_implINS0_14default_configELb1EPKaPaPKlPlN2at6native12_GLOBAL__N_18offset_tEEE10hipError_tPvRmT1_PNSt15iterator_traitsIS12_E10value_typeET2_T3_PNS13_IS18_E10value_typeET4_jRbjT5_S1E_jjP12ihipStream_tbEUljE_ZNSN_ISO_Lb1ESQ_SR_ST_SU_SY_EESZ_S10_S11_S12_S16_S17_S18_S1B_S1C_jS1D_jS1E_S1E_jjS1G_bEUljE0_EEESZ_S10_S11_S18_S1C_S1E_T6_T7_T9_mT8_S1G_bDpT10_ENKUlT_T0_E_clISt17integral_constantIbLb1EES1U_EEDaS1P_S1Q_EUlS1P_E_NS1_11comp_targetILNS1_3genE0ELNS1_11target_archE4294967295ELNS1_3gpuE0ELNS1_3repE0EEENS1_30default_config_static_selectorELNS0_4arch9wavefront6targetE0EEEvS12_, .Lfunc_end234-_ZN7rocprim17ROCPRIM_400000_NS6detail17trampoline_kernelINS0_13select_configILj256ELj13ELNS0_17block_load_methodE3ELS4_3ELS4_3ELNS0_20block_scan_algorithmE0ELj4294967295EEENS1_25partition_config_selectorILNS1_17partition_subalgoE4EjNS0_10empty_typeEbEEZZNS1_14partition_implILS8_4ELb0ES6_15HIP_vector_typeIjLj2EENS0_17counting_iteratorIjlEEPS9_SG_NS0_5tupleIJPjSI_NS0_16reverse_iteratorISI_EEEEENSH_IJSG_SG_SG_EEES9_SI_JZNS1_25segmented_radix_sort_implINS0_14default_configELb1EPKaPaPKlPlN2at6native12_GLOBAL__N_18offset_tEEE10hipError_tPvRmT1_PNSt15iterator_traitsIS12_E10value_typeET2_T3_PNS13_IS18_E10value_typeET4_jRbjT5_S1E_jjP12ihipStream_tbEUljE_ZNSN_ISO_Lb1ESQ_SR_ST_SU_SY_EESZ_S10_S11_S12_S16_S17_S18_S1B_S1C_jS1D_jS1E_S1E_jjS1G_bEUljE0_EEESZ_S10_S11_S18_S1C_S1E_T6_T7_T9_mT8_S1G_bDpT10_ENKUlT_T0_E_clISt17integral_constantIbLb1EES1U_EEDaS1P_S1Q_EUlS1P_E_NS1_11comp_targetILNS1_3genE0ELNS1_11target_archE4294967295ELNS1_3gpuE0ELNS1_3repE0EEENS1_30default_config_static_selectorELNS0_4arch9wavefront6targetE0EEEvS12_
                                        ; -- End function
	.set _ZN7rocprim17ROCPRIM_400000_NS6detail17trampoline_kernelINS0_13select_configILj256ELj13ELNS0_17block_load_methodE3ELS4_3ELS4_3ELNS0_20block_scan_algorithmE0ELj4294967295EEENS1_25partition_config_selectorILNS1_17partition_subalgoE4EjNS0_10empty_typeEbEEZZNS1_14partition_implILS8_4ELb0ES6_15HIP_vector_typeIjLj2EENS0_17counting_iteratorIjlEEPS9_SG_NS0_5tupleIJPjSI_NS0_16reverse_iteratorISI_EEEEENSH_IJSG_SG_SG_EEES9_SI_JZNS1_25segmented_radix_sort_implINS0_14default_configELb1EPKaPaPKlPlN2at6native12_GLOBAL__N_18offset_tEEE10hipError_tPvRmT1_PNSt15iterator_traitsIS12_E10value_typeET2_T3_PNS13_IS18_E10value_typeET4_jRbjT5_S1E_jjP12ihipStream_tbEUljE_ZNSN_ISO_Lb1ESQ_SR_ST_SU_SY_EESZ_S10_S11_S12_S16_S17_S18_S1B_S1C_jS1D_jS1E_S1E_jjS1G_bEUljE0_EEESZ_S10_S11_S18_S1C_S1E_T6_T7_T9_mT8_S1G_bDpT10_ENKUlT_T0_E_clISt17integral_constantIbLb1EES1U_EEDaS1P_S1Q_EUlS1P_E_NS1_11comp_targetILNS1_3genE0ELNS1_11target_archE4294967295ELNS1_3gpuE0ELNS1_3repE0EEENS1_30default_config_static_selectorELNS0_4arch9wavefront6targetE0EEEvS12_.num_vgpr, 0
	.set _ZN7rocprim17ROCPRIM_400000_NS6detail17trampoline_kernelINS0_13select_configILj256ELj13ELNS0_17block_load_methodE3ELS4_3ELS4_3ELNS0_20block_scan_algorithmE0ELj4294967295EEENS1_25partition_config_selectorILNS1_17partition_subalgoE4EjNS0_10empty_typeEbEEZZNS1_14partition_implILS8_4ELb0ES6_15HIP_vector_typeIjLj2EENS0_17counting_iteratorIjlEEPS9_SG_NS0_5tupleIJPjSI_NS0_16reverse_iteratorISI_EEEEENSH_IJSG_SG_SG_EEES9_SI_JZNS1_25segmented_radix_sort_implINS0_14default_configELb1EPKaPaPKlPlN2at6native12_GLOBAL__N_18offset_tEEE10hipError_tPvRmT1_PNSt15iterator_traitsIS12_E10value_typeET2_T3_PNS13_IS18_E10value_typeET4_jRbjT5_S1E_jjP12ihipStream_tbEUljE_ZNSN_ISO_Lb1ESQ_SR_ST_SU_SY_EESZ_S10_S11_S12_S16_S17_S18_S1B_S1C_jS1D_jS1E_S1E_jjS1G_bEUljE0_EEESZ_S10_S11_S18_S1C_S1E_T6_T7_T9_mT8_S1G_bDpT10_ENKUlT_T0_E_clISt17integral_constantIbLb1EES1U_EEDaS1P_S1Q_EUlS1P_E_NS1_11comp_targetILNS1_3genE0ELNS1_11target_archE4294967295ELNS1_3gpuE0ELNS1_3repE0EEENS1_30default_config_static_selectorELNS0_4arch9wavefront6targetE0EEEvS12_.num_agpr, 0
	.set _ZN7rocprim17ROCPRIM_400000_NS6detail17trampoline_kernelINS0_13select_configILj256ELj13ELNS0_17block_load_methodE3ELS4_3ELS4_3ELNS0_20block_scan_algorithmE0ELj4294967295EEENS1_25partition_config_selectorILNS1_17partition_subalgoE4EjNS0_10empty_typeEbEEZZNS1_14partition_implILS8_4ELb0ES6_15HIP_vector_typeIjLj2EENS0_17counting_iteratorIjlEEPS9_SG_NS0_5tupleIJPjSI_NS0_16reverse_iteratorISI_EEEEENSH_IJSG_SG_SG_EEES9_SI_JZNS1_25segmented_radix_sort_implINS0_14default_configELb1EPKaPaPKlPlN2at6native12_GLOBAL__N_18offset_tEEE10hipError_tPvRmT1_PNSt15iterator_traitsIS12_E10value_typeET2_T3_PNS13_IS18_E10value_typeET4_jRbjT5_S1E_jjP12ihipStream_tbEUljE_ZNSN_ISO_Lb1ESQ_SR_ST_SU_SY_EESZ_S10_S11_S12_S16_S17_S18_S1B_S1C_jS1D_jS1E_S1E_jjS1G_bEUljE0_EEESZ_S10_S11_S18_S1C_S1E_T6_T7_T9_mT8_S1G_bDpT10_ENKUlT_T0_E_clISt17integral_constantIbLb1EES1U_EEDaS1P_S1Q_EUlS1P_E_NS1_11comp_targetILNS1_3genE0ELNS1_11target_archE4294967295ELNS1_3gpuE0ELNS1_3repE0EEENS1_30default_config_static_selectorELNS0_4arch9wavefront6targetE0EEEvS12_.numbered_sgpr, 0
	.set _ZN7rocprim17ROCPRIM_400000_NS6detail17trampoline_kernelINS0_13select_configILj256ELj13ELNS0_17block_load_methodE3ELS4_3ELS4_3ELNS0_20block_scan_algorithmE0ELj4294967295EEENS1_25partition_config_selectorILNS1_17partition_subalgoE4EjNS0_10empty_typeEbEEZZNS1_14partition_implILS8_4ELb0ES6_15HIP_vector_typeIjLj2EENS0_17counting_iteratorIjlEEPS9_SG_NS0_5tupleIJPjSI_NS0_16reverse_iteratorISI_EEEEENSH_IJSG_SG_SG_EEES9_SI_JZNS1_25segmented_radix_sort_implINS0_14default_configELb1EPKaPaPKlPlN2at6native12_GLOBAL__N_18offset_tEEE10hipError_tPvRmT1_PNSt15iterator_traitsIS12_E10value_typeET2_T3_PNS13_IS18_E10value_typeET4_jRbjT5_S1E_jjP12ihipStream_tbEUljE_ZNSN_ISO_Lb1ESQ_SR_ST_SU_SY_EESZ_S10_S11_S12_S16_S17_S18_S1B_S1C_jS1D_jS1E_S1E_jjS1G_bEUljE0_EEESZ_S10_S11_S18_S1C_S1E_T6_T7_T9_mT8_S1G_bDpT10_ENKUlT_T0_E_clISt17integral_constantIbLb1EES1U_EEDaS1P_S1Q_EUlS1P_E_NS1_11comp_targetILNS1_3genE0ELNS1_11target_archE4294967295ELNS1_3gpuE0ELNS1_3repE0EEENS1_30default_config_static_selectorELNS0_4arch9wavefront6targetE0EEEvS12_.num_named_barrier, 0
	.set _ZN7rocprim17ROCPRIM_400000_NS6detail17trampoline_kernelINS0_13select_configILj256ELj13ELNS0_17block_load_methodE3ELS4_3ELS4_3ELNS0_20block_scan_algorithmE0ELj4294967295EEENS1_25partition_config_selectorILNS1_17partition_subalgoE4EjNS0_10empty_typeEbEEZZNS1_14partition_implILS8_4ELb0ES6_15HIP_vector_typeIjLj2EENS0_17counting_iteratorIjlEEPS9_SG_NS0_5tupleIJPjSI_NS0_16reverse_iteratorISI_EEEEENSH_IJSG_SG_SG_EEES9_SI_JZNS1_25segmented_radix_sort_implINS0_14default_configELb1EPKaPaPKlPlN2at6native12_GLOBAL__N_18offset_tEEE10hipError_tPvRmT1_PNSt15iterator_traitsIS12_E10value_typeET2_T3_PNS13_IS18_E10value_typeET4_jRbjT5_S1E_jjP12ihipStream_tbEUljE_ZNSN_ISO_Lb1ESQ_SR_ST_SU_SY_EESZ_S10_S11_S12_S16_S17_S18_S1B_S1C_jS1D_jS1E_S1E_jjS1G_bEUljE0_EEESZ_S10_S11_S18_S1C_S1E_T6_T7_T9_mT8_S1G_bDpT10_ENKUlT_T0_E_clISt17integral_constantIbLb1EES1U_EEDaS1P_S1Q_EUlS1P_E_NS1_11comp_targetILNS1_3genE0ELNS1_11target_archE4294967295ELNS1_3gpuE0ELNS1_3repE0EEENS1_30default_config_static_selectorELNS0_4arch9wavefront6targetE0EEEvS12_.private_seg_size, 0
	.set _ZN7rocprim17ROCPRIM_400000_NS6detail17trampoline_kernelINS0_13select_configILj256ELj13ELNS0_17block_load_methodE3ELS4_3ELS4_3ELNS0_20block_scan_algorithmE0ELj4294967295EEENS1_25partition_config_selectorILNS1_17partition_subalgoE4EjNS0_10empty_typeEbEEZZNS1_14partition_implILS8_4ELb0ES6_15HIP_vector_typeIjLj2EENS0_17counting_iteratorIjlEEPS9_SG_NS0_5tupleIJPjSI_NS0_16reverse_iteratorISI_EEEEENSH_IJSG_SG_SG_EEES9_SI_JZNS1_25segmented_radix_sort_implINS0_14default_configELb1EPKaPaPKlPlN2at6native12_GLOBAL__N_18offset_tEEE10hipError_tPvRmT1_PNSt15iterator_traitsIS12_E10value_typeET2_T3_PNS13_IS18_E10value_typeET4_jRbjT5_S1E_jjP12ihipStream_tbEUljE_ZNSN_ISO_Lb1ESQ_SR_ST_SU_SY_EESZ_S10_S11_S12_S16_S17_S18_S1B_S1C_jS1D_jS1E_S1E_jjS1G_bEUljE0_EEESZ_S10_S11_S18_S1C_S1E_T6_T7_T9_mT8_S1G_bDpT10_ENKUlT_T0_E_clISt17integral_constantIbLb1EES1U_EEDaS1P_S1Q_EUlS1P_E_NS1_11comp_targetILNS1_3genE0ELNS1_11target_archE4294967295ELNS1_3gpuE0ELNS1_3repE0EEENS1_30default_config_static_selectorELNS0_4arch9wavefront6targetE0EEEvS12_.uses_vcc, 0
	.set _ZN7rocprim17ROCPRIM_400000_NS6detail17trampoline_kernelINS0_13select_configILj256ELj13ELNS0_17block_load_methodE3ELS4_3ELS4_3ELNS0_20block_scan_algorithmE0ELj4294967295EEENS1_25partition_config_selectorILNS1_17partition_subalgoE4EjNS0_10empty_typeEbEEZZNS1_14partition_implILS8_4ELb0ES6_15HIP_vector_typeIjLj2EENS0_17counting_iteratorIjlEEPS9_SG_NS0_5tupleIJPjSI_NS0_16reverse_iteratorISI_EEEEENSH_IJSG_SG_SG_EEES9_SI_JZNS1_25segmented_radix_sort_implINS0_14default_configELb1EPKaPaPKlPlN2at6native12_GLOBAL__N_18offset_tEEE10hipError_tPvRmT1_PNSt15iterator_traitsIS12_E10value_typeET2_T3_PNS13_IS18_E10value_typeET4_jRbjT5_S1E_jjP12ihipStream_tbEUljE_ZNSN_ISO_Lb1ESQ_SR_ST_SU_SY_EESZ_S10_S11_S12_S16_S17_S18_S1B_S1C_jS1D_jS1E_S1E_jjS1G_bEUljE0_EEESZ_S10_S11_S18_S1C_S1E_T6_T7_T9_mT8_S1G_bDpT10_ENKUlT_T0_E_clISt17integral_constantIbLb1EES1U_EEDaS1P_S1Q_EUlS1P_E_NS1_11comp_targetILNS1_3genE0ELNS1_11target_archE4294967295ELNS1_3gpuE0ELNS1_3repE0EEENS1_30default_config_static_selectorELNS0_4arch9wavefront6targetE0EEEvS12_.uses_flat_scratch, 0
	.set _ZN7rocprim17ROCPRIM_400000_NS6detail17trampoline_kernelINS0_13select_configILj256ELj13ELNS0_17block_load_methodE3ELS4_3ELS4_3ELNS0_20block_scan_algorithmE0ELj4294967295EEENS1_25partition_config_selectorILNS1_17partition_subalgoE4EjNS0_10empty_typeEbEEZZNS1_14partition_implILS8_4ELb0ES6_15HIP_vector_typeIjLj2EENS0_17counting_iteratorIjlEEPS9_SG_NS0_5tupleIJPjSI_NS0_16reverse_iteratorISI_EEEEENSH_IJSG_SG_SG_EEES9_SI_JZNS1_25segmented_radix_sort_implINS0_14default_configELb1EPKaPaPKlPlN2at6native12_GLOBAL__N_18offset_tEEE10hipError_tPvRmT1_PNSt15iterator_traitsIS12_E10value_typeET2_T3_PNS13_IS18_E10value_typeET4_jRbjT5_S1E_jjP12ihipStream_tbEUljE_ZNSN_ISO_Lb1ESQ_SR_ST_SU_SY_EESZ_S10_S11_S12_S16_S17_S18_S1B_S1C_jS1D_jS1E_S1E_jjS1G_bEUljE0_EEESZ_S10_S11_S18_S1C_S1E_T6_T7_T9_mT8_S1G_bDpT10_ENKUlT_T0_E_clISt17integral_constantIbLb1EES1U_EEDaS1P_S1Q_EUlS1P_E_NS1_11comp_targetILNS1_3genE0ELNS1_11target_archE4294967295ELNS1_3gpuE0ELNS1_3repE0EEENS1_30default_config_static_selectorELNS0_4arch9wavefront6targetE0EEEvS12_.has_dyn_sized_stack, 0
	.set _ZN7rocprim17ROCPRIM_400000_NS6detail17trampoline_kernelINS0_13select_configILj256ELj13ELNS0_17block_load_methodE3ELS4_3ELS4_3ELNS0_20block_scan_algorithmE0ELj4294967295EEENS1_25partition_config_selectorILNS1_17partition_subalgoE4EjNS0_10empty_typeEbEEZZNS1_14partition_implILS8_4ELb0ES6_15HIP_vector_typeIjLj2EENS0_17counting_iteratorIjlEEPS9_SG_NS0_5tupleIJPjSI_NS0_16reverse_iteratorISI_EEEEENSH_IJSG_SG_SG_EEES9_SI_JZNS1_25segmented_radix_sort_implINS0_14default_configELb1EPKaPaPKlPlN2at6native12_GLOBAL__N_18offset_tEEE10hipError_tPvRmT1_PNSt15iterator_traitsIS12_E10value_typeET2_T3_PNS13_IS18_E10value_typeET4_jRbjT5_S1E_jjP12ihipStream_tbEUljE_ZNSN_ISO_Lb1ESQ_SR_ST_SU_SY_EESZ_S10_S11_S12_S16_S17_S18_S1B_S1C_jS1D_jS1E_S1E_jjS1G_bEUljE0_EEESZ_S10_S11_S18_S1C_S1E_T6_T7_T9_mT8_S1G_bDpT10_ENKUlT_T0_E_clISt17integral_constantIbLb1EES1U_EEDaS1P_S1Q_EUlS1P_E_NS1_11comp_targetILNS1_3genE0ELNS1_11target_archE4294967295ELNS1_3gpuE0ELNS1_3repE0EEENS1_30default_config_static_selectorELNS0_4arch9wavefront6targetE0EEEvS12_.has_recursion, 0
	.set _ZN7rocprim17ROCPRIM_400000_NS6detail17trampoline_kernelINS0_13select_configILj256ELj13ELNS0_17block_load_methodE3ELS4_3ELS4_3ELNS0_20block_scan_algorithmE0ELj4294967295EEENS1_25partition_config_selectorILNS1_17partition_subalgoE4EjNS0_10empty_typeEbEEZZNS1_14partition_implILS8_4ELb0ES6_15HIP_vector_typeIjLj2EENS0_17counting_iteratorIjlEEPS9_SG_NS0_5tupleIJPjSI_NS0_16reverse_iteratorISI_EEEEENSH_IJSG_SG_SG_EEES9_SI_JZNS1_25segmented_radix_sort_implINS0_14default_configELb1EPKaPaPKlPlN2at6native12_GLOBAL__N_18offset_tEEE10hipError_tPvRmT1_PNSt15iterator_traitsIS12_E10value_typeET2_T3_PNS13_IS18_E10value_typeET4_jRbjT5_S1E_jjP12ihipStream_tbEUljE_ZNSN_ISO_Lb1ESQ_SR_ST_SU_SY_EESZ_S10_S11_S12_S16_S17_S18_S1B_S1C_jS1D_jS1E_S1E_jjS1G_bEUljE0_EEESZ_S10_S11_S18_S1C_S1E_T6_T7_T9_mT8_S1G_bDpT10_ENKUlT_T0_E_clISt17integral_constantIbLb1EES1U_EEDaS1P_S1Q_EUlS1P_E_NS1_11comp_targetILNS1_3genE0ELNS1_11target_archE4294967295ELNS1_3gpuE0ELNS1_3repE0EEENS1_30default_config_static_selectorELNS0_4arch9wavefront6targetE0EEEvS12_.has_indirect_call, 0
	.section	.AMDGPU.csdata,"",@progbits
; Kernel info:
; codeLenInByte = 0
; TotalNumSgprs: 0
; NumVgprs: 0
; ScratchSize: 0
; MemoryBound: 0
; FloatMode: 240
; IeeeMode: 1
; LDSByteSize: 0 bytes/workgroup (compile time only)
; SGPRBlocks: 0
; VGPRBlocks: 0
; NumSGPRsForWavesPerEU: 1
; NumVGPRsForWavesPerEU: 1
; Occupancy: 16
; WaveLimiterHint : 0
; COMPUTE_PGM_RSRC2:SCRATCH_EN: 0
; COMPUTE_PGM_RSRC2:USER_SGPR: 2
; COMPUTE_PGM_RSRC2:TRAP_HANDLER: 0
; COMPUTE_PGM_RSRC2:TGID_X_EN: 1
; COMPUTE_PGM_RSRC2:TGID_Y_EN: 0
; COMPUTE_PGM_RSRC2:TGID_Z_EN: 0
; COMPUTE_PGM_RSRC2:TIDIG_COMP_CNT: 0
	.section	.text._ZN7rocprim17ROCPRIM_400000_NS6detail17trampoline_kernelINS0_13select_configILj256ELj13ELNS0_17block_load_methodE3ELS4_3ELS4_3ELNS0_20block_scan_algorithmE0ELj4294967295EEENS1_25partition_config_selectorILNS1_17partition_subalgoE4EjNS0_10empty_typeEbEEZZNS1_14partition_implILS8_4ELb0ES6_15HIP_vector_typeIjLj2EENS0_17counting_iteratorIjlEEPS9_SG_NS0_5tupleIJPjSI_NS0_16reverse_iteratorISI_EEEEENSH_IJSG_SG_SG_EEES9_SI_JZNS1_25segmented_radix_sort_implINS0_14default_configELb1EPKaPaPKlPlN2at6native12_GLOBAL__N_18offset_tEEE10hipError_tPvRmT1_PNSt15iterator_traitsIS12_E10value_typeET2_T3_PNS13_IS18_E10value_typeET4_jRbjT5_S1E_jjP12ihipStream_tbEUljE_ZNSN_ISO_Lb1ESQ_SR_ST_SU_SY_EESZ_S10_S11_S12_S16_S17_S18_S1B_S1C_jS1D_jS1E_S1E_jjS1G_bEUljE0_EEESZ_S10_S11_S18_S1C_S1E_T6_T7_T9_mT8_S1G_bDpT10_ENKUlT_T0_E_clISt17integral_constantIbLb1EES1U_EEDaS1P_S1Q_EUlS1P_E_NS1_11comp_targetILNS1_3genE5ELNS1_11target_archE942ELNS1_3gpuE9ELNS1_3repE0EEENS1_30default_config_static_selectorELNS0_4arch9wavefront6targetE0EEEvS12_,"axG",@progbits,_ZN7rocprim17ROCPRIM_400000_NS6detail17trampoline_kernelINS0_13select_configILj256ELj13ELNS0_17block_load_methodE3ELS4_3ELS4_3ELNS0_20block_scan_algorithmE0ELj4294967295EEENS1_25partition_config_selectorILNS1_17partition_subalgoE4EjNS0_10empty_typeEbEEZZNS1_14partition_implILS8_4ELb0ES6_15HIP_vector_typeIjLj2EENS0_17counting_iteratorIjlEEPS9_SG_NS0_5tupleIJPjSI_NS0_16reverse_iteratorISI_EEEEENSH_IJSG_SG_SG_EEES9_SI_JZNS1_25segmented_radix_sort_implINS0_14default_configELb1EPKaPaPKlPlN2at6native12_GLOBAL__N_18offset_tEEE10hipError_tPvRmT1_PNSt15iterator_traitsIS12_E10value_typeET2_T3_PNS13_IS18_E10value_typeET4_jRbjT5_S1E_jjP12ihipStream_tbEUljE_ZNSN_ISO_Lb1ESQ_SR_ST_SU_SY_EESZ_S10_S11_S12_S16_S17_S18_S1B_S1C_jS1D_jS1E_S1E_jjS1G_bEUljE0_EEESZ_S10_S11_S18_S1C_S1E_T6_T7_T9_mT8_S1G_bDpT10_ENKUlT_T0_E_clISt17integral_constantIbLb1EES1U_EEDaS1P_S1Q_EUlS1P_E_NS1_11comp_targetILNS1_3genE5ELNS1_11target_archE942ELNS1_3gpuE9ELNS1_3repE0EEENS1_30default_config_static_selectorELNS0_4arch9wavefront6targetE0EEEvS12_,comdat
	.globl	_ZN7rocprim17ROCPRIM_400000_NS6detail17trampoline_kernelINS0_13select_configILj256ELj13ELNS0_17block_load_methodE3ELS4_3ELS4_3ELNS0_20block_scan_algorithmE0ELj4294967295EEENS1_25partition_config_selectorILNS1_17partition_subalgoE4EjNS0_10empty_typeEbEEZZNS1_14partition_implILS8_4ELb0ES6_15HIP_vector_typeIjLj2EENS0_17counting_iteratorIjlEEPS9_SG_NS0_5tupleIJPjSI_NS0_16reverse_iteratorISI_EEEEENSH_IJSG_SG_SG_EEES9_SI_JZNS1_25segmented_radix_sort_implINS0_14default_configELb1EPKaPaPKlPlN2at6native12_GLOBAL__N_18offset_tEEE10hipError_tPvRmT1_PNSt15iterator_traitsIS12_E10value_typeET2_T3_PNS13_IS18_E10value_typeET4_jRbjT5_S1E_jjP12ihipStream_tbEUljE_ZNSN_ISO_Lb1ESQ_SR_ST_SU_SY_EESZ_S10_S11_S12_S16_S17_S18_S1B_S1C_jS1D_jS1E_S1E_jjS1G_bEUljE0_EEESZ_S10_S11_S18_S1C_S1E_T6_T7_T9_mT8_S1G_bDpT10_ENKUlT_T0_E_clISt17integral_constantIbLb1EES1U_EEDaS1P_S1Q_EUlS1P_E_NS1_11comp_targetILNS1_3genE5ELNS1_11target_archE942ELNS1_3gpuE9ELNS1_3repE0EEENS1_30default_config_static_selectorELNS0_4arch9wavefront6targetE0EEEvS12_ ; -- Begin function _ZN7rocprim17ROCPRIM_400000_NS6detail17trampoline_kernelINS0_13select_configILj256ELj13ELNS0_17block_load_methodE3ELS4_3ELS4_3ELNS0_20block_scan_algorithmE0ELj4294967295EEENS1_25partition_config_selectorILNS1_17partition_subalgoE4EjNS0_10empty_typeEbEEZZNS1_14partition_implILS8_4ELb0ES6_15HIP_vector_typeIjLj2EENS0_17counting_iteratorIjlEEPS9_SG_NS0_5tupleIJPjSI_NS0_16reverse_iteratorISI_EEEEENSH_IJSG_SG_SG_EEES9_SI_JZNS1_25segmented_radix_sort_implINS0_14default_configELb1EPKaPaPKlPlN2at6native12_GLOBAL__N_18offset_tEEE10hipError_tPvRmT1_PNSt15iterator_traitsIS12_E10value_typeET2_T3_PNS13_IS18_E10value_typeET4_jRbjT5_S1E_jjP12ihipStream_tbEUljE_ZNSN_ISO_Lb1ESQ_SR_ST_SU_SY_EESZ_S10_S11_S12_S16_S17_S18_S1B_S1C_jS1D_jS1E_S1E_jjS1G_bEUljE0_EEESZ_S10_S11_S18_S1C_S1E_T6_T7_T9_mT8_S1G_bDpT10_ENKUlT_T0_E_clISt17integral_constantIbLb1EES1U_EEDaS1P_S1Q_EUlS1P_E_NS1_11comp_targetILNS1_3genE5ELNS1_11target_archE942ELNS1_3gpuE9ELNS1_3repE0EEENS1_30default_config_static_selectorELNS0_4arch9wavefront6targetE0EEEvS12_
	.p2align	8
	.type	_ZN7rocprim17ROCPRIM_400000_NS6detail17trampoline_kernelINS0_13select_configILj256ELj13ELNS0_17block_load_methodE3ELS4_3ELS4_3ELNS0_20block_scan_algorithmE0ELj4294967295EEENS1_25partition_config_selectorILNS1_17partition_subalgoE4EjNS0_10empty_typeEbEEZZNS1_14partition_implILS8_4ELb0ES6_15HIP_vector_typeIjLj2EENS0_17counting_iteratorIjlEEPS9_SG_NS0_5tupleIJPjSI_NS0_16reverse_iteratorISI_EEEEENSH_IJSG_SG_SG_EEES9_SI_JZNS1_25segmented_radix_sort_implINS0_14default_configELb1EPKaPaPKlPlN2at6native12_GLOBAL__N_18offset_tEEE10hipError_tPvRmT1_PNSt15iterator_traitsIS12_E10value_typeET2_T3_PNS13_IS18_E10value_typeET4_jRbjT5_S1E_jjP12ihipStream_tbEUljE_ZNSN_ISO_Lb1ESQ_SR_ST_SU_SY_EESZ_S10_S11_S12_S16_S17_S18_S1B_S1C_jS1D_jS1E_S1E_jjS1G_bEUljE0_EEESZ_S10_S11_S18_S1C_S1E_T6_T7_T9_mT8_S1G_bDpT10_ENKUlT_T0_E_clISt17integral_constantIbLb1EES1U_EEDaS1P_S1Q_EUlS1P_E_NS1_11comp_targetILNS1_3genE5ELNS1_11target_archE942ELNS1_3gpuE9ELNS1_3repE0EEENS1_30default_config_static_selectorELNS0_4arch9wavefront6targetE0EEEvS12_,@function
_ZN7rocprim17ROCPRIM_400000_NS6detail17trampoline_kernelINS0_13select_configILj256ELj13ELNS0_17block_load_methodE3ELS4_3ELS4_3ELNS0_20block_scan_algorithmE0ELj4294967295EEENS1_25partition_config_selectorILNS1_17partition_subalgoE4EjNS0_10empty_typeEbEEZZNS1_14partition_implILS8_4ELb0ES6_15HIP_vector_typeIjLj2EENS0_17counting_iteratorIjlEEPS9_SG_NS0_5tupleIJPjSI_NS0_16reverse_iteratorISI_EEEEENSH_IJSG_SG_SG_EEES9_SI_JZNS1_25segmented_radix_sort_implINS0_14default_configELb1EPKaPaPKlPlN2at6native12_GLOBAL__N_18offset_tEEE10hipError_tPvRmT1_PNSt15iterator_traitsIS12_E10value_typeET2_T3_PNS13_IS18_E10value_typeET4_jRbjT5_S1E_jjP12ihipStream_tbEUljE_ZNSN_ISO_Lb1ESQ_SR_ST_SU_SY_EESZ_S10_S11_S12_S16_S17_S18_S1B_S1C_jS1D_jS1E_S1E_jjS1G_bEUljE0_EEESZ_S10_S11_S18_S1C_S1E_T6_T7_T9_mT8_S1G_bDpT10_ENKUlT_T0_E_clISt17integral_constantIbLb1EES1U_EEDaS1P_S1Q_EUlS1P_E_NS1_11comp_targetILNS1_3genE5ELNS1_11target_archE942ELNS1_3gpuE9ELNS1_3repE0EEENS1_30default_config_static_selectorELNS0_4arch9wavefront6targetE0EEEvS12_: ; @_ZN7rocprim17ROCPRIM_400000_NS6detail17trampoline_kernelINS0_13select_configILj256ELj13ELNS0_17block_load_methodE3ELS4_3ELS4_3ELNS0_20block_scan_algorithmE0ELj4294967295EEENS1_25partition_config_selectorILNS1_17partition_subalgoE4EjNS0_10empty_typeEbEEZZNS1_14partition_implILS8_4ELb0ES6_15HIP_vector_typeIjLj2EENS0_17counting_iteratorIjlEEPS9_SG_NS0_5tupleIJPjSI_NS0_16reverse_iteratorISI_EEEEENSH_IJSG_SG_SG_EEES9_SI_JZNS1_25segmented_radix_sort_implINS0_14default_configELb1EPKaPaPKlPlN2at6native12_GLOBAL__N_18offset_tEEE10hipError_tPvRmT1_PNSt15iterator_traitsIS12_E10value_typeET2_T3_PNS13_IS18_E10value_typeET4_jRbjT5_S1E_jjP12ihipStream_tbEUljE_ZNSN_ISO_Lb1ESQ_SR_ST_SU_SY_EESZ_S10_S11_S12_S16_S17_S18_S1B_S1C_jS1D_jS1E_S1E_jjS1G_bEUljE0_EEESZ_S10_S11_S18_S1C_S1E_T6_T7_T9_mT8_S1G_bDpT10_ENKUlT_T0_E_clISt17integral_constantIbLb1EES1U_EEDaS1P_S1Q_EUlS1P_E_NS1_11comp_targetILNS1_3genE5ELNS1_11target_archE942ELNS1_3gpuE9ELNS1_3repE0EEENS1_30default_config_static_selectorELNS0_4arch9wavefront6targetE0EEEvS12_
; %bb.0:
	.section	.rodata,"a",@progbits
	.p2align	6, 0x0
	.amdhsa_kernel _ZN7rocprim17ROCPRIM_400000_NS6detail17trampoline_kernelINS0_13select_configILj256ELj13ELNS0_17block_load_methodE3ELS4_3ELS4_3ELNS0_20block_scan_algorithmE0ELj4294967295EEENS1_25partition_config_selectorILNS1_17partition_subalgoE4EjNS0_10empty_typeEbEEZZNS1_14partition_implILS8_4ELb0ES6_15HIP_vector_typeIjLj2EENS0_17counting_iteratorIjlEEPS9_SG_NS0_5tupleIJPjSI_NS0_16reverse_iteratorISI_EEEEENSH_IJSG_SG_SG_EEES9_SI_JZNS1_25segmented_radix_sort_implINS0_14default_configELb1EPKaPaPKlPlN2at6native12_GLOBAL__N_18offset_tEEE10hipError_tPvRmT1_PNSt15iterator_traitsIS12_E10value_typeET2_T3_PNS13_IS18_E10value_typeET4_jRbjT5_S1E_jjP12ihipStream_tbEUljE_ZNSN_ISO_Lb1ESQ_SR_ST_SU_SY_EESZ_S10_S11_S12_S16_S17_S18_S1B_S1C_jS1D_jS1E_S1E_jjS1G_bEUljE0_EEESZ_S10_S11_S18_S1C_S1E_T6_T7_T9_mT8_S1G_bDpT10_ENKUlT_T0_E_clISt17integral_constantIbLb1EES1U_EEDaS1P_S1Q_EUlS1P_E_NS1_11comp_targetILNS1_3genE5ELNS1_11target_archE942ELNS1_3gpuE9ELNS1_3repE0EEENS1_30default_config_static_selectorELNS0_4arch9wavefront6targetE0EEEvS12_
		.amdhsa_group_segment_fixed_size 0
		.amdhsa_private_segment_fixed_size 0
		.amdhsa_kernarg_size 184
		.amdhsa_user_sgpr_count 2
		.amdhsa_user_sgpr_dispatch_ptr 0
		.amdhsa_user_sgpr_queue_ptr 0
		.amdhsa_user_sgpr_kernarg_segment_ptr 1
		.amdhsa_user_sgpr_dispatch_id 0
		.amdhsa_user_sgpr_private_segment_size 0
		.amdhsa_wavefront_size32 1
		.amdhsa_uses_dynamic_stack 0
		.amdhsa_enable_private_segment 0
		.amdhsa_system_sgpr_workgroup_id_x 1
		.amdhsa_system_sgpr_workgroup_id_y 0
		.amdhsa_system_sgpr_workgroup_id_z 0
		.amdhsa_system_sgpr_workgroup_info 0
		.amdhsa_system_vgpr_workitem_id 0
		.amdhsa_next_free_vgpr 1
		.amdhsa_next_free_sgpr 1
		.amdhsa_reserve_vcc 0
		.amdhsa_float_round_mode_32 0
		.amdhsa_float_round_mode_16_64 0
		.amdhsa_float_denorm_mode_32 3
		.amdhsa_float_denorm_mode_16_64 3
		.amdhsa_fp16_overflow 0
		.amdhsa_workgroup_processor_mode 1
		.amdhsa_memory_ordered 1
		.amdhsa_forward_progress 1
		.amdhsa_inst_pref_size 0
		.amdhsa_round_robin_scheduling 0
		.amdhsa_exception_fp_ieee_invalid_op 0
		.amdhsa_exception_fp_denorm_src 0
		.amdhsa_exception_fp_ieee_div_zero 0
		.amdhsa_exception_fp_ieee_overflow 0
		.amdhsa_exception_fp_ieee_underflow 0
		.amdhsa_exception_fp_ieee_inexact 0
		.amdhsa_exception_int_div_zero 0
	.end_amdhsa_kernel
	.section	.text._ZN7rocprim17ROCPRIM_400000_NS6detail17trampoline_kernelINS0_13select_configILj256ELj13ELNS0_17block_load_methodE3ELS4_3ELS4_3ELNS0_20block_scan_algorithmE0ELj4294967295EEENS1_25partition_config_selectorILNS1_17partition_subalgoE4EjNS0_10empty_typeEbEEZZNS1_14partition_implILS8_4ELb0ES6_15HIP_vector_typeIjLj2EENS0_17counting_iteratorIjlEEPS9_SG_NS0_5tupleIJPjSI_NS0_16reverse_iteratorISI_EEEEENSH_IJSG_SG_SG_EEES9_SI_JZNS1_25segmented_radix_sort_implINS0_14default_configELb1EPKaPaPKlPlN2at6native12_GLOBAL__N_18offset_tEEE10hipError_tPvRmT1_PNSt15iterator_traitsIS12_E10value_typeET2_T3_PNS13_IS18_E10value_typeET4_jRbjT5_S1E_jjP12ihipStream_tbEUljE_ZNSN_ISO_Lb1ESQ_SR_ST_SU_SY_EESZ_S10_S11_S12_S16_S17_S18_S1B_S1C_jS1D_jS1E_S1E_jjS1G_bEUljE0_EEESZ_S10_S11_S18_S1C_S1E_T6_T7_T9_mT8_S1G_bDpT10_ENKUlT_T0_E_clISt17integral_constantIbLb1EES1U_EEDaS1P_S1Q_EUlS1P_E_NS1_11comp_targetILNS1_3genE5ELNS1_11target_archE942ELNS1_3gpuE9ELNS1_3repE0EEENS1_30default_config_static_selectorELNS0_4arch9wavefront6targetE0EEEvS12_,"axG",@progbits,_ZN7rocprim17ROCPRIM_400000_NS6detail17trampoline_kernelINS0_13select_configILj256ELj13ELNS0_17block_load_methodE3ELS4_3ELS4_3ELNS0_20block_scan_algorithmE0ELj4294967295EEENS1_25partition_config_selectorILNS1_17partition_subalgoE4EjNS0_10empty_typeEbEEZZNS1_14partition_implILS8_4ELb0ES6_15HIP_vector_typeIjLj2EENS0_17counting_iteratorIjlEEPS9_SG_NS0_5tupleIJPjSI_NS0_16reverse_iteratorISI_EEEEENSH_IJSG_SG_SG_EEES9_SI_JZNS1_25segmented_radix_sort_implINS0_14default_configELb1EPKaPaPKlPlN2at6native12_GLOBAL__N_18offset_tEEE10hipError_tPvRmT1_PNSt15iterator_traitsIS12_E10value_typeET2_T3_PNS13_IS18_E10value_typeET4_jRbjT5_S1E_jjP12ihipStream_tbEUljE_ZNSN_ISO_Lb1ESQ_SR_ST_SU_SY_EESZ_S10_S11_S12_S16_S17_S18_S1B_S1C_jS1D_jS1E_S1E_jjS1G_bEUljE0_EEESZ_S10_S11_S18_S1C_S1E_T6_T7_T9_mT8_S1G_bDpT10_ENKUlT_T0_E_clISt17integral_constantIbLb1EES1U_EEDaS1P_S1Q_EUlS1P_E_NS1_11comp_targetILNS1_3genE5ELNS1_11target_archE942ELNS1_3gpuE9ELNS1_3repE0EEENS1_30default_config_static_selectorELNS0_4arch9wavefront6targetE0EEEvS12_,comdat
.Lfunc_end235:
	.size	_ZN7rocprim17ROCPRIM_400000_NS6detail17trampoline_kernelINS0_13select_configILj256ELj13ELNS0_17block_load_methodE3ELS4_3ELS4_3ELNS0_20block_scan_algorithmE0ELj4294967295EEENS1_25partition_config_selectorILNS1_17partition_subalgoE4EjNS0_10empty_typeEbEEZZNS1_14partition_implILS8_4ELb0ES6_15HIP_vector_typeIjLj2EENS0_17counting_iteratorIjlEEPS9_SG_NS0_5tupleIJPjSI_NS0_16reverse_iteratorISI_EEEEENSH_IJSG_SG_SG_EEES9_SI_JZNS1_25segmented_radix_sort_implINS0_14default_configELb1EPKaPaPKlPlN2at6native12_GLOBAL__N_18offset_tEEE10hipError_tPvRmT1_PNSt15iterator_traitsIS12_E10value_typeET2_T3_PNS13_IS18_E10value_typeET4_jRbjT5_S1E_jjP12ihipStream_tbEUljE_ZNSN_ISO_Lb1ESQ_SR_ST_SU_SY_EESZ_S10_S11_S12_S16_S17_S18_S1B_S1C_jS1D_jS1E_S1E_jjS1G_bEUljE0_EEESZ_S10_S11_S18_S1C_S1E_T6_T7_T9_mT8_S1G_bDpT10_ENKUlT_T0_E_clISt17integral_constantIbLb1EES1U_EEDaS1P_S1Q_EUlS1P_E_NS1_11comp_targetILNS1_3genE5ELNS1_11target_archE942ELNS1_3gpuE9ELNS1_3repE0EEENS1_30default_config_static_selectorELNS0_4arch9wavefront6targetE0EEEvS12_, .Lfunc_end235-_ZN7rocprim17ROCPRIM_400000_NS6detail17trampoline_kernelINS0_13select_configILj256ELj13ELNS0_17block_load_methodE3ELS4_3ELS4_3ELNS0_20block_scan_algorithmE0ELj4294967295EEENS1_25partition_config_selectorILNS1_17partition_subalgoE4EjNS0_10empty_typeEbEEZZNS1_14partition_implILS8_4ELb0ES6_15HIP_vector_typeIjLj2EENS0_17counting_iteratorIjlEEPS9_SG_NS0_5tupleIJPjSI_NS0_16reverse_iteratorISI_EEEEENSH_IJSG_SG_SG_EEES9_SI_JZNS1_25segmented_radix_sort_implINS0_14default_configELb1EPKaPaPKlPlN2at6native12_GLOBAL__N_18offset_tEEE10hipError_tPvRmT1_PNSt15iterator_traitsIS12_E10value_typeET2_T3_PNS13_IS18_E10value_typeET4_jRbjT5_S1E_jjP12ihipStream_tbEUljE_ZNSN_ISO_Lb1ESQ_SR_ST_SU_SY_EESZ_S10_S11_S12_S16_S17_S18_S1B_S1C_jS1D_jS1E_S1E_jjS1G_bEUljE0_EEESZ_S10_S11_S18_S1C_S1E_T6_T7_T9_mT8_S1G_bDpT10_ENKUlT_T0_E_clISt17integral_constantIbLb1EES1U_EEDaS1P_S1Q_EUlS1P_E_NS1_11comp_targetILNS1_3genE5ELNS1_11target_archE942ELNS1_3gpuE9ELNS1_3repE0EEENS1_30default_config_static_selectorELNS0_4arch9wavefront6targetE0EEEvS12_
                                        ; -- End function
	.set _ZN7rocprim17ROCPRIM_400000_NS6detail17trampoline_kernelINS0_13select_configILj256ELj13ELNS0_17block_load_methodE3ELS4_3ELS4_3ELNS0_20block_scan_algorithmE0ELj4294967295EEENS1_25partition_config_selectorILNS1_17partition_subalgoE4EjNS0_10empty_typeEbEEZZNS1_14partition_implILS8_4ELb0ES6_15HIP_vector_typeIjLj2EENS0_17counting_iteratorIjlEEPS9_SG_NS0_5tupleIJPjSI_NS0_16reverse_iteratorISI_EEEEENSH_IJSG_SG_SG_EEES9_SI_JZNS1_25segmented_radix_sort_implINS0_14default_configELb1EPKaPaPKlPlN2at6native12_GLOBAL__N_18offset_tEEE10hipError_tPvRmT1_PNSt15iterator_traitsIS12_E10value_typeET2_T3_PNS13_IS18_E10value_typeET4_jRbjT5_S1E_jjP12ihipStream_tbEUljE_ZNSN_ISO_Lb1ESQ_SR_ST_SU_SY_EESZ_S10_S11_S12_S16_S17_S18_S1B_S1C_jS1D_jS1E_S1E_jjS1G_bEUljE0_EEESZ_S10_S11_S18_S1C_S1E_T6_T7_T9_mT8_S1G_bDpT10_ENKUlT_T0_E_clISt17integral_constantIbLb1EES1U_EEDaS1P_S1Q_EUlS1P_E_NS1_11comp_targetILNS1_3genE5ELNS1_11target_archE942ELNS1_3gpuE9ELNS1_3repE0EEENS1_30default_config_static_selectorELNS0_4arch9wavefront6targetE0EEEvS12_.num_vgpr, 0
	.set _ZN7rocprim17ROCPRIM_400000_NS6detail17trampoline_kernelINS0_13select_configILj256ELj13ELNS0_17block_load_methodE3ELS4_3ELS4_3ELNS0_20block_scan_algorithmE0ELj4294967295EEENS1_25partition_config_selectorILNS1_17partition_subalgoE4EjNS0_10empty_typeEbEEZZNS1_14partition_implILS8_4ELb0ES6_15HIP_vector_typeIjLj2EENS0_17counting_iteratorIjlEEPS9_SG_NS0_5tupleIJPjSI_NS0_16reverse_iteratorISI_EEEEENSH_IJSG_SG_SG_EEES9_SI_JZNS1_25segmented_radix_sort_implINS0_14default_configELb1EPKaPaPKlPlN2at6native12_GLOBAL__N_18offset_tEEE10hipError_tPvRmT1_PNSt15iterator_traitsIS12_E10value_typeET2_T3_PNS13_IS18_E10value_typeET4_jRbjT5_S1E_jjP12ihipStream_tbEUljE_ZNSN_ISO_Lb1ESQ_SR_ST_SU_SY_EESZ_S10_S11_S12_S16_S17_S18_S1B_S1C_jS1D_jS1E_S1E_jjS1G_bEUljE0_EEESZ_S10_S11_S18_S1C_S1E_T6_T7_T9_mT8_S1G_bDpT10_ENKUlT_T0_E_clISt17integral_constantIbLb1EES1U_EEDaS1P_S1Q_EUlS1P_E_NS1_11comp_targetILNS1_3genE5ELNS1_11target_archE942ELNS1_3gpuE9ELNS1_3repE0EEENS1_30default_config_static_selectorELNS0_4arch9wavefront6targetE0EEEvS12_.num_agpr, 0
	.set _ZN7rocprim17ROCPRIM_400000_NS6detail17trampoline_kernelINS0_13select_configILj256ELj13ELNS0_17block_load_methodE3ELS4_3ELS4_3ELNS0_20block_scan_algorithmE0ELj4294967295EEENS1_25partition_config_selectorILNS1_17partition_subalgoE4EjNS0_10empty_typeEbEEZZNS1_14partition_implILS8_4ELb0ES6_15HIP_vector_typeIjLj2EENS0_17counting_iteratorIjlEEPS9_SG_NS0_5tupleIJPjSI_NS0_16reverse_iteratorISI_EEEEENSH_IJSG_SG_SG_EEES9_SI_JZNS1_25segmented_radix_sort_implINS0_14default_configELb1EPKaPaPKlPlN2at6native12_GLOBAL__N_18offset_tEEE10hipError_tPvRmT1_PNSt15iterator_traitsIS12_E10value_typeET2_T3_PNS13_IS18_E10value_typeET4_jRbjT5_S1E_jjP12ihipStream_tbEUljE_ZNSN_ISO_Lb1ESQ_SR_ST_SU_SY_EESZ_S10_S11_S12_S16_S17_S18_S1B_S1C_jS1D_jS1E_S1E_jjS1G_bEUljE0_EEESZ_S10_S11_S18_S1C_S1E_T6_T7_T9_mT8_S1G_bDpT10_ENKUlT_T0_E_clISt17integral_constantIbLb1EES1U_EEDaS1P_S1Q_EUlS1P_E_NS1_11comp_targetILNS1_3genE5ELNS1_11target_archE942ELNS1_3gpuE9ELNS1_3repE0EEENS1_30default_config_static_selectorELNS0_4arch9wavefront6targetE0EEEvS12_.numbered_sgpr, 0
	.set _ZN7rocprim17ROCPRIM_400000_NS6detail17trampoline_kernelINS0_13select_configILj256ELj13ELNS0_17block_load_methodE3ELS4_3ELS4_3ELNS0_20block_scan_algorithmE0ELj4294967295EEENS1_25partition_config_selectorILNS1_17partition_subalgoE4EjNS0_10empty_typeEbEEZZNS1_14partition_implILS8_4ELb0ES6_15HIP_vector_typeIjLj2EENS0_17counting_iteratorIjlEEPS9_SG_NS0_5tupleIJPjSI_NS0_16reverse_iteratorISI_EEEEENSH_IJSG_SG_SG_EEES9_SI_JZNS1_25segmented_radix_sort_implINS0_14default_configELb1EPKaPaPKlPlN2at6native12_GLOBAL__N_18offset_tEEE10hipError_tPvRmT1_PNSt15iterator_traitsIS12_E10value_typeET2_T3_PNS13_IS18_E10value_typeET4_jRbjT5_S1E_jjP12ihipStream_tbEUljE_ZNSN_ISO_Lb1ESQ_SR_ST_SU_SY_EESZ_S10_S11_S12_S16_S17_S18_S1B_S1C_jS1D_jS1E_S1E_jjS1G_bEUljE0_EEESZ_S10_S11_S18_S1C_S1E_T6_T7_T9_mT8_S1G_bDpT10_ENKUlT_T0_E_clISt17integral_constantIbLb1EES1U_EEDaS1P_S1Q_EUlS1P_E_NS1_11comp_targetILNS1_3genE5ELNS1_11target_archE942ELNS1_3gpuE9ELNS1_3repE0EEENS1_30default_config_static_selectorELNS0_4arch9wavefront6targetE0EEEvS12_.num_named_barrier, 0
	.set _ZN7rocprim17ROCPRIM_400000_NS6detail17trampoline_kernelINS0_13select_configILj256ELj13ELNS0_17block_load_methodE3ELS4_3ELS4_3ELNS0_20block_scan_algorithmE0ELj4294967295EEENS1_25partition_config_selectorILNS1_17partition_subalgoE4EjNS0_10empty_typeEbEEZZNS1_14partition_implILS8_4ELb0ES6_15HIP_vector_typeIjLj2EENS0_17counting_iteratorIjlEEPS9_SG_NS0_5tupleIJPjSI_NS0_16reverse_iteratorISI_EEEEENSH_IJSG_SG_SG_EEES9_SI_JZNS1_25segmented_radix_sort_implINS0_14default_configELb1EPKaPaPKlPlN2at6native12_GLOBAL__N_18offset_tEEE10hipError_tPvRmT1_PNSt15iterator_traitsIS12_E10value_typeET2_T3_PNS13_IS18_E10value_typeET4_jRbjT5_S1E_jjP12ihipStream_tbEUljE_ZNSN_ISO_Lb1ESQ_SR_ST_SU_SY_EESZ_S10_S11_S12_S16_S17_S18_S1B_S1C_jS1D_jS1E_S1E_jjS1G_bEUljE0_EEESZ_S10_S11_S18_S1C_S1E_T6_T7_T9_mT8_S1G_bDpT10_ENKUlT_T0_E_clISt17integral_constantIbLb1EES1U_EEDaS1P_S1Q_EUlS1P_E_NS1_11comp_targetILNS1_3genE5ELNS1_11target_archE942ELNS1_3gpuE9ELNS1_3repE0EEENS1_30default_config_static_selectorELNS0_4arch9wavefront6targetE0EEEvS12_.private_seg_size, 0
	.set _ZN7rocprim17ROCPRIM_400000_NS6detail17trampoline_kernelINS0_13select_configILj256ELj13ELNS0_17block_load_methodE3ELS4_3ELS4_3ELNS0_20block_scan_algorithmE0ELj4294967295EEENS1_25partition_config_selectorILNS1_17partition_subalgoE4EjNS0_10empty_typeEbEEZZNS1_14partition_implILS8_4ELb0ES6_15HIP_vector_typeIjLj2EENS0_17counting_iteratorIjlEEPS9_SG_NS0_5tupleIJPjSI_NS0_16reverse_iteratorISI_EEEEENSH_IJSG_SG_SG_EEES9_SI_JZNS1_25segmented_radix_sort_implINS0_14default_configELb1EPKaPaPKlPlN2at6native12_GLOBAL__N_18offset_tEEE10hipError_tPvRmT1_PNSt15iterator_traitsIS12_E10value_typeET2_T3_PNS13_IS18_E10value_typeET4_jRbjT5_S1E_jjP12ihipStream_tbEUljE_ZNSN_ISO_Lb1ESQ_SR_ST_SU_SY_EESZ_S10_S11_S12_S16_S17_S18_S1B_S1C_jS1D_jS1E_S1E_jjS1G_bEUljE0_EEESZ_S10_S11_S18_S1C_S1E_T6_T7_T9_mT8_S1G_bDpT10_ENKUlT_T0_E_clISt17integral_constantIbLb1EES1U_EEDaS1P_S1Q_EUlS1P_E_NS1_11comp_targetILNS1_3genE5ELNS1_11target_archE942ELNS1_3gpuE9ELNS1_3repE0EEENS1_30default_config_static_selectorELNS0_4arch9wavefront6targetE0EEEvS12_.uses_vcc, 0
	.set _ZN7rocprim17ROCPRIM_400000_NS6detail17trampoline_kernelINS0_13select_configILj256ELj13ELNS0_17block_load_methodE3ELS4_3ELS4_3ELNS0_20block_scan_algorithmE0ELj4294967295EEENS1_25partition_config_selectorILNS1_17partition_subalgoE4EjNS0_10empty_typeEbEEZZNS1_14partition_implILS8_4ELb0ES6_15HIP_vector_typeIjLj2EENS0_17counting_iteratorIjlEEPS9_SG_NS0_5tupleIJPjSI_NS0_16reverse_iteratorISI_EEEEENSH_IJSG_SG_SG_EEES9_SI_JZNS1_25segmented_radix_sort_implINS0_14default_configELb1EPKaPaPKlPlN2at6native12_GLOBAL__N_18offset_tEEE10hipError_tPvRmT1_PNSt15iterator_traitsIS12_E10value_typeET2_T3_PNS13_IS18_E10value_typeET4_jRbjT5_S1E_jjP12ihipStream_tbEUljE_ZNSN_ISO_Lb1ESQ_SR_ST_SU_SY_EESZ_S10_S11_S12_S16_S17_S18_S1B_S1C_jS1D_jS1E_S1E_jjS1G_bEUljE0_EEESZ_S10_S11_S18_S1C_S1E_T6_T7_T9_mT8_S1G_bDpT10_ENKUlT_T0_E_clISt17integral_constantIbLb1EES1U_EEDaS1P_S1Q_EUlS1P_E_NS1_11comp_targetILNS1_3genE5ELNS1_11target_archE942ELNS1_3gpuE9ELNS1_3repE0EEENS1_30default_config_static_selectorELNS0_4arch9wavefront6targetE0EEEvS12_.uses_flat_scratch, 0
	.set _ZN7rocprim17ROCPRIM_400000_NS6detail17trampoline_kernelINS0_13select_configILj256ELj13ELNS0_17block_load_methodE3ELS4_3ELS4_3ELNS0_20block_scan_algorithmE0ELj4294967295EEENS1_25partition_config_selectorILNS1_17partition_subalgoE4EjNS0_10empty_typeEbEEZZNS1_14partition_implILS8_4ELb0ES6_15HIP_vector_typeIjLj2EENS0_17counting_iteratorIjlEEPS9_SG_NS0_5tupleIJPjSI_NS0_16reverse_iteratorISI_EEEEENSH_IJSG_SG_SG_EEES9_SI_JZNS1_25segmented_radix_sort_implINS0_14default_configELb1EPKaPaPKlPlN2at6native12_GLOBAL__N_18offset_tEEE10hipError_tPvRmT1_PNSt15iterator_traitsIS12_E10value_typeET2_T3_PNS13_IS18_E10value_typeET4_jRbjT5_S1E_jjP12ihipStream_tbEUljE_ZNSN_ISO_Lb1ESQ_SR_ST_SU_SY_EESZ_S10_S11_S12_S16_S17_S18_S1B_S1C_jS1D_jS1E_S1E_jjS1G_bEUljE0_EEESZ_S10_S11_S18_S1C_S1E_T6_T7_T9_mT8_S1G_bDpT10_ENKUlT_T0_E_clISt17integral_constantIbLb1EES1U_EEDaS1P_S1Q_EUlS1P_E_NS1_11comp_targetILNS1_3genE5ELNS1_11target_archE942ELNS1_3gpuE9ELNS1_3repE0EEENS1_30default_config_static_selectorELNS0_4arch9wavefront6targetE0EEEvS12_.has_dyn_sized_stack, 0
	.set _ZN7rocprim17ROCPRIM_400000_NS6detail17trampoline_kernelINS0_13select_configILj256ELj13ELNS0_17block_load_methodE3ELS4_3ELS4_3ELNS0_20block_scan_algorithmE0ELj4294967295EEENS1_25partition_config_selectorILNS1_17partition_subalgoE4EjNS0_10empty_typeEbEEZZNS1_14partition_implILS8_4ELb0ES6_15HIP_vector_typeIjLj2EENS0_17counting_iteratorIjlEEPS9_SG_NS0_5tupleIJPjSI_NS0_16reverse_iteratorISI_EEEEENSH_IJSG_SG_SG_EEES9_SI_JZNS1_25segmented_radix_sort_implINS0_14default_configELb1EPKaPaPKlPlN2at6native12_GLOBAL__N_18offset_tEEE10hipError_tPvRmT1_PNSt15iterator_traitsIS12_E10value_typeET2_T3_PNS13_IS18_E10value_typeET4_jRbjT5_S1E_jjP12ihipStream_tbEUljE_ZNSN_ISO_Lb1ESQ_SR_ST_SU_SY_EESZ_S10_S11_S12_S16_S17_S18_S1B_S1C_jS1D_jS1E_S1E_jjS1G_bEUljE0_EEESZ_S10_S11_S18_S1C_S1E_T6_T7_T9_mT8_S1G_bDpT10_ENKUlT_T0_E_clISt17integral_constantIbLb1EES1U_EEDaS1P_S1Q_EUlS1P_E_NS1_11comp_targetILNS1_3genE5ELNS1_11target_archE942ELNS1_3gpuE9ELNS1_3repE0EEENS1_30default_config_static_selectorELNS0_4arch9wavefront6targetE0EEEvS12_.has_recursion, 0
	.set _ZN7rocprim17ROCPRIM_400000_NS6detail17trampoline_kernelINS0_13select_configILj256ELj13ELNS0_17block_load_methodE3ELS4_3ELS4_3ELNS0_20block_scan_algorithmE0ELj4294967295EEENS1_25partition_config_selectorILNS1_17partition_subalgoE4EjNS0_10empty_typeEbEEZZNS1_14partition_implILS8_4ELb0ES6_15HIP_vector_typeIjLj2EENS0_17counting_iteratorIjlEEPS9_SG_NS0_5tupleIJPjSI_NS0_16reverse_iteratorISI_EEEEENSH_IJSG_SG_SG_EEES9_SI_JZNS1_25segmented_radix_sort_implINS0_14default_configELb1EPKaPaPKlPlN2at6native12_GLOBAL__N_18offset_tEEE10hipError_tPvRmT1_PNSt15iterator_traitsIS12_E10value_typeET2_T3_PNS13_IS18_E10value_typeET4_jRbjT5_S1E_jjP12ihipStream_tbEUljE_ZNSN_ISO_Lb1ESQ_SR_ST_SU_SY_EESZ_S10_S11_S12_S16_S17_S18_S1B_S1C_jS1D_jS1E_S1E_jjS1G_bEUljE0_EEESZ_S10_S11_S18_S1C_S1E_T6_T7_T9_mT8_S1G_bDpT10_ENKUlT_T0_E_clISt17integral_constantIbLb1EES1U_EEDaS1P_S1Q_EUlS1P_E_NS1_11comp_targetILNS1_3genE5ELNS1_11target_archE942ELNS1_3gpuE9ELNS1_3repE0EEENS1_30default_config_static_selectorELNS0_4arch9wavefront6targetE0EEEvS12_.has_indirect_call, 0
	.section	.AMDGPU.csdata,"",@progbits
; Kernel info:
; codeLenInByte = 0
; TotalNumSgprs: 0
; NumVgprs: 0
; ScratchSize: 0
; MemoryBound: 0
; FloatMode: 240
; IeeeMode: 1
; LDSByteSize: 0 bytes/workgroup (compile time only)
; SGPRBlocks: 0
; VGPRBlocks: 0
; NumSGPRsForWavesPerEU: 1
; NumVGPRsForWavesPerEU: 1
; Occupancy: 16
; WaveLimiterHint : 0
; COMPUTE_PGM_RSRC2:SCRATCH_EN: 0
; COMPUTE_PGM_RSRC2:USER_SGPR: 2
; COMPUTE_PGM_RSRC2:TRAP_HANDLER: 0
; COMPUTE_PGM_RSRC2:TGID_X_EN: 1
; COMPUTE_PGM_RSRC2:TGID_Y_EN: 0
; COMPUTE_PGM_RSRC2:TGID_Z_EN: 0
; COMPUTE_PGM_RSRC2:TIDIG_COMP_CNT: 0
	.section	.text._ZN7rocprim17ROCPRIM_400000_NS6detail17trampoline_kernelINS0_13select_configILj256ELj13ELNS0_17block_load_methodE3ELS4_3ELS4_3ELNS0_20block_scan_algorithmE0ELj4294967295EEENS1_25partition_config_selectorILNS1_17partition_subalgoE4EjNS0_10empty_typeEbEEZZNS1_14partition_implILS8_4ELb0ES6_15HIP_vector_typeIjLj2EENS0_17counting_iteratorIjlEEPS9_SG_NS0_5tupleIJPjSI_NS0_16reverse_iteratorISI_EEEEENSH_IJSG_SG_SG_EEES9_SI_JZNS1_25segmented_radix_sort_implINS0_14default_configELb1EPKaPaPKlPlN2at6native12_GLOBAL__N_18offset_tEEE10hipError_tPvRmT1_PNSt15iterator_traitsIS12_E10value_typeET2_T3_PNS13_IS18_E10value_typeET4_jRbjT5_S1E_jjP12ihipStream_tbEUljE_ZNSN_ISO_Lb1ESQ_SR_ST_SU_SY_EESZ_S10_S11_S12_S16_S17_S18_S1B_S1C_jS1D_jS1E_S1E_jjS1G_bEUljE0_EEESZ_S10_S11_S18_S1C_S1E_T6_T7_T9_mT8_S1G_bDpT10_ENKUlT_T0_E_clISt17integral_constantIbLb1EES1U_EEDaS1P_S1Q_EUlS1P_E_NS1_11comp_targetILNS1_3genE4ELNS1_11target_archE910ELNS1_3gpuE8ELNS1_3repE0EEENS1_30default_config_static_selectorELNS0_4arch9wavefront6targetE0EEEvS12_,"axG",@progbits,_ZN7rocprim17ROCPRIM_400000_NS6detail17trampoline_kernelINS0_13select_configILj256ELj13ELNS0_17block_load_methodE3ELS4_3ELS4_3ELNS0_20block_scan_algorithmE0ELj4294967295EEENS1_25partition_config_selectorILNS1_17partition_subalgoE4EjNS0_10empty_typeEbEEZZNS1_14partition_implILS8_4ELb0ES6_15HIP_vector_typeIjLj2EENS0_17counting_iteratorIjlEEPS9_SG_NS0_5tupleIJPjSI_NS0_16reverse_iteratorISI_EEEEENSH_IJSG_SG_SG_EEES9_SI_JZNS1_25segmented_radix_sort_implINS0_14default_configELb1EPKaPaPKlPlN2at6native12_GLOBAL__N_18offset_tEEE10hipError_tPvRmT1_PNSt15iterator_traitsIS12_E10value_typeET2_T3_PNS13_IS18_E10value_typeET4_jRbjT5_S1E_jjP12ihipStream_tbEUljE_ZNSN_ISO_Lb1ESQ_SR_ST_SU_SY_EESZ_S10_S11_S12_S16_S17_S18_S1B_S1C_jS1D_jS1E_S1E_jjS1G_bEUljE0_EEESZ_S10_S11_S18_S1C_S1E_T6_T7_T9_mT8_S1G_bDpT10_ENKUlT_T0_E_clISt17integral_constantIbLb1EES1U_EEDaS1P_S1Q_EUlS1P_E_NS1_11comp_targetILNS1_3genE4ELNS1_11target_archE910ELNS1_3gpuE8ELNS1_3repE0EEENS1_30default_config_static_selectorELNS0_4arch9wavefront6targetE0EEEvS12_,comdat
	.globl	_ZN7rocprim17ROCPRIM_400000_NS6detail17trampoline_kernelINS0_13select_configILj256ELj13ELNS0_17block_load_methodE3ELS4_3ELS4_3ELNS0_20block_scan_algorithmE0ELj4294967295EEENS1_25partition_config_selectorILNS1_17partition_subalgoE4EjNS0_10empty_typeEbEEZZNS1_14partition_implILS8_4ELb0ES6_15HIP_vector_typeIjLj2EENS0_17counting_iteratorIjlEEPS9_SG_NS0_5tupleIJPjSI_NS0_16reverse_iteratorISI_EEEEENSH_IJSG_SG_SG_EEES9_SI_JZNS1_25segmented_radix_sort_implINS0_14default_configELb1EPKaPaPKlPlN2at6native12_GLOBAL__N_18offset_tEEE10hipError_tPvRmT1_PNSt15iterator_traitsIS12_E10value_typeET2_T3_PNS13_IS18_E10value_typeET4_jRbjT5_S1E_jjP12ihipStream_tbEUljE_ZNSN_ISO_Lb1ESQ_SR_ST_SU_SY_EESZ_S10_S11_S12_S16_S17_S18_S1B_S1C_jS1D_jS1E_S1E_jjS1G_bEUljE0_EEESZ_S10_S11_S18_S1C_S1E_T6_T7_T9_mT8_S1G_bDpT10_ENKUlT_T0_E_clISt17integral_constantIbLb1EES1U_EEDaS1P_S1Q_EUlS1P_E_NS1_11comp_targetILNS1_3genE4ELNS1_11target_archE910ELNS1_3gpuE8ELNS1_3repE0EEENS1_30default_config_static_selectorELNS0_4arch9wavefront6targetE0EEEvS12_ ; -- Begin function _ZN7rocprim17ROCPRIM_400000_NS6detail17trampoline_kernelINS0_13select_configILj256ELj13ELNS0_17block_load_methodE3ELS4_3ELS4_3ELNS0_20block_scan_algorithmE0ELj4294967295EEENS1_25partition_config_selectorILNS1_17partition_subalgoE4EjNS0_10empty_typeEbEEZZNS1_14partition_implILS8_4ELb0ES6_15HIP_vector_typeIjLj2EENS0_17counting_iteratorIjlEEPS9_SG_NS0_5tupleIJPjSI_NS0_16reverse_iteratorISI_EEEEENSH_IJSG_SG_SG_EEES9_SI_JZNS1_25segmented_radix_sort_implINS0_14default_configELb1EPKaPaPKlPlN2at6native12_GLOBAL__N_18offset_tEEE10hipError_tPvRmT1_PNSt15iterator_traitsIS12_E10value_typeET2_T3_PNS13_IS18_E10value_typeET4_jRbjT5_S1E_jjP12ihipStream_tbEUljE_ZNSN_ISO_Lb1ESQ_SR_ST_SU_SY_EESZ_S10_S11_S12_S16_S17_S18_S1B_S1C_jS1D_jS1E_S1E_jjS1G_bEUljE0_EEESZ_S10_S11_S18_S1C_S1E_T6_T7_T9_mT8_S1G_bDpT10_ENKUlT_T0_E_clISt17integral_constantIbLb1EES1U_EEDaS1P_S1Q_EUlS1P_E_NS1_11comp_targetILNS1_3genE4ELNS1_11target_archE910ELNS1_3gpuE8ELNS1_3repE0EEENS1_30default_config_static_selectorELNS0_4arch9wavefront6targetE0EEEvS12_
	.p2align	8
	.type	_ZN7rocprim17ROCPRIM_400000_NS6detail17trampoline_kernelINS0_13select_configILj256ELj13ELNS0_17block_load_methodE3ELS4_3ELS4_3ELNS0_20block_scan_algorithmE0ELj4294967295EEENS1_25partition_config_selectorILNS1_17partition_subalgoE4EjNS0_10empty_typeEbEEZZNS1_14partition_implILS8_4ELb0ES6_15HIP_vector_typeIjLj2EENS0_17counting_iteratorIjlEEPS9_SG_NS0_5tupleIJPjSI_NS0_16reverse_iteratorISI_EEEEENSH_IJSG_SG_SG_EEES9_SI_JZNS1_25segmented_radix_sort_implINS0_14default_configELb1EPKaPaPKlPlN2at6native12_GLOBAL__N_18offset_tEEE10hipError_tPvRmT1_PNSt15iterator_traitsIS12_E10value_typeET2_T3_PNS13_IS18_E10value_typeET4_jRbjT5_S1E_jjP12ihipStream_tbEUljE_ZNSN_ISO_Lb1ESQ_SR_ST_SU_SY_EESZ_S10_S11_S12_S16_S17_S18_S1B_S1C_jS1D_jS1E_S1E_jjS1G_bEUljE0_EEESZ_S10_S11_S18_S1C_S1E_T6_T7_T9_mT8_S1G_bDpT10_ENKUlT_T0_E_clISt17integral_constantIbLb1EES1U_EEDaS1P_S1Q_EUlS1P_E_NS1_11comp_targetILNS1_3genE4ELNS1_11target_archE910ELNS1_3gpuE8ELNS1_3repE0EEENS1_30default_config_static_selectorELNS0_4arch9wavefront6targetE0EEEvS12_,@function
_ZN7rocprim17ROCPRIM_400000_NS6detail17trampoline_kernelINS0_13select_configILj256ELj13ELNS0_17block_load_methodE3ELS4_3ELS4_3ELNS0_20block_scan_algorithmE0ELj4294967295EEENS1_25partition_config_selectorILNS1_17partition_subalgoE4EjNS0_10empty_typeEbEEZZNS1_14partition_implILS8_4ELb0ES6_15HIP_vector_typeIjLj2EENS0_17counting_iteratorIjlEEPS9_SG_NS0_5tupleIJPjSI_NS0_16reverse_iteratorISI_EEEEENSH_IJSG_SG_SG_EEES9_SI_JZNS1_25segmented_radix_sort_implINS0_14default_configELb1EPKaPaPKlPlN2at6native12_GLOBAL__N_18offset_tEEE10hipError_tPvRmT1_PNSt15iterator_traitsIS12_E10value_typeET2_T3_PNS13_IS18_E10value_typeET4_jRbjT5_S1E_jjP12ihipStream_tbEUljE_ZNSN_ISO_Lb1ESQ_SR_ST_SU_SY_EESZ_S10_S11_S12_S16_S17_S18_S1B_S1C_jS1D_jS1E_S1E_jjS1G_bEUljE0_EEESZ_S10_S11_S18_S1C_S1E_T6_T7_T9_mT8_S1G_bDpT10_ENKUlT_T0_E_clISt17integral_constantIbLb1EES1U_EEDaS1P_S1Q_EUlS1P_E_NS1_11comp_targetILNS1_3genE4ELNS1_11target_archE910ELNS1_3gpuE8ELNS1_3repE0EEENS1_30default_config_static_selectorELNS0_4arch9wavefront6targetE0EEEvS12_: ; @_ZN7rocprim17ROCPRIM_400000_NS6detail17trampoline_kernelINS0_13select_configILj256ELj13ELNS0_17block_load_methodE3ELS4_3ELS4_3ELNS0_20block_scan_algorithmE0ELj4294967295EEENS1_25partition_config_selectorILNS1_17partition_subalgoE4EjNS0_10empty_typeEbEEZZNS1_14partition_implILS8_4ELb0ES6_15HIP_vector_typeIjLj2EENS0_17counting_iteratorIjlEEPS9_SG_NS0_5tupleIJPjSI_NS0_16reverse_iteratorISI_EEEEENSH_IJSG_SG_SG_EEES9_SI_JZNS1_25segmented_radix_sort_implINS0_14default_configELb1EPKaPaPKlPlN2at6native12_GLOBAL__N_18offset_tEEE10hipError_tPvRmT1_PNSt15iterator_traitsIS12_E10value_typeET2_T3_PNS13_IS18_E10value_typeET4_jRbjT5_S1E_jjP12ihipStream_tbEUljE_ZNSN_ISO_Lb1ESQ_SR_ST_SU_SY_EESZ_S10_S11_S12_S16_S17_S18_S1B_S1C_jS1D_jS1E_S1E_jjS1G_bEUljE0_EEESZ_S10_S11_S18_S1C_S1E_T6_T7_T9_mT8_S1G_bDpT10_ENKUlT_T0_E_clISt17integral_constantIbLb1EES1U_EEDaS1P_S1Q_EUlS1P_E_NS1_11comp_targetILNS1_3genE4ELNS1_11target_archE910ELNS1_3gpuE8ELNS1_3repE0EEENS1_30default_config_static_selectorELNS0_4arch9wavefront6targetE0EEEvS12_
; %bb.0:
	.section	.rodata,"a",@progbits
	.p2align	6, 0x0
	.amdhsa_kernel _ZN7rocprim17ROCPRIM_400000_NS6detail17trampoline_kernelINS0_13select_configILj256ELj13ELNS0_17block_load_methodE3ELS4_3ELS4_3ELNS0_20block_scan_algorithmE0ELj4294967295EEENS1_25partition_config_selectorILNS1_17partition_subalgoE4EjNS0_10empty_typeEbEEZZNS1_14partition_implILS8_4ELb0ES6_15HIP_vector_typeIjLj2EENS0_17counting_iteratorIjlEEPS9_SG_NS0_5tupleIJPjSI_NS0_16reverse_iteratorISI_EEEEENSH_IJSG_SG_SG_EEES9_SI_JZNS1_25segmented_radix_sort_implINS0_14default_configELb1EPKaPaPKlPlN2at6native12_GLOBAL__N_18offset_tEEE10hipError_tPvRmT1_PNSt15iterator_traitsIS12_E10value_typeET2_T3_PNS13_IS18_E10value_typeET4_jRbjT5_S1E_jjP12ihipStream_tbEUljE_ZNSN_ISO_Lb1ESQ_SR_ST_SU_SY_EESZ_S10_S11_S12_S16_S17_S18_S1B_S1C_jS1D_jS1E_S1E_jjS1G_bEUljE0_EEESZ_S10_S11_S18_S1C_S1E_T6_T7_T9_mT8_S1G_bDpT10_ENKUlT_T0_E_clISt17integral_constantIbLb1EES1U_EEDaS1P_S1Q_EUlS1P_E_NS1_11comp_targetILNS1_3genE4ELNS1_11target_archE910ELNS1_3gpuE8ELNS1_3repE0EEENS1_30default_config_static_selectorELNS0_4arch9wavefront6targetE0EEEvS12_
		.amdhsa_group_segment_fixed_size 0
		.amdhsa_private_segment_fixed_size 0
		.amdhsa_kernarg_size 184
		.amdhsa_user_sgpr_count 2
		.amdhsa_user_sgpr_dispatch_ptr 0
		.amdhsa_user_sgpr_queue_ptr 0
		.amdhsa_user_sgpr_kernarg_segment_ptr 1
		.amdhsa_user_sgpr_dispatch_id 0
		.amdhsa_user_sgpr_private_segment_size 0
		.amdhsa_wavefront_size32 1
		.amdhsa_uses_dynamic_stack 0
		.amdhsa_enable_private_segment 0
		.amdhsa_system_sgpr_workgroup_id_x 1
		.amdhsa_system_sgpr_workgroup_id_y 0
		.amdhsa_system_sgpr_workgroup_id_z 0
		.amdhsa_system_sgpr_workgroup_info 0
		.amdhsa_system_vgpr_workitem_id 0
		.amdhsa_next_free_vgpr 1
		.amdhsa_next_free_sgpr 1
		.amdhsa_reserve_vcc 0
		.amdhsa_float_round_mode_32 0
		.amdhsa_float_round_mode_16_64 0
		.amdhsa_float_denorm_mode_32 3
		.amdhsa_float_denorm_mode_16_64 3
		.amdhsa_fp16_overflow 0
		.amdhsa_workgroup_processor_mode 1
		.amdhsa_memory_ordered 1
		.amdhsa_forward_progress 1
		.amdhsa_inst_pref_size 0
		.amdhsa_round_robin_scheduling 0
		.amdhsa_exception_fp_ieee_invalid_op 0
		.amdhsa_exception_fp_denorm_src 0
		.amdhsa_exception_fp_ieee_div_zero 0
		.amdhsa_exception_fp_ieee_overflow 0
		.amdhsa_exception_fp_ieee_underflow 0
		.amdhsa_exception_fp_ieee_inexact 0
		.amdhsa_exception_int_div_zero 0
	.end_amdhsa_kernel
	.section	.text._ZN7rocprim17ROCPRIM_400000_NS6detail17trampoline_kernelINS0_13select_configILj256ELj13ELNS0_17block_load_methodE3ELS4_3ELS4_3ELNS0_20block_scan_algorithmE0ELj4294967295EEENS1_25partition_config_selectorILNS1_17partition_subalgoE4EjNS0_10empty_typeEbEEZZNS1_14partition_implILS8_4ELb0ES6_15HIP_vector_typeIjLj2EENS0_17counting_iteratorIjlEEPS9_SG_NS0_5tupleIJPjSI_NS0_16reverse_iteratorISI_EEEEENSH_IJSG_SG_SG_EEES9_SI_JZNS1_25segmented_radix_sort_implINS0_14default_configELb1EPKaPaPKlPlN2at6native12_GLOBAL__N_18offset_tEEE10hipError_tPvRmT1_PNSt15iterator_traitsIS12_E10value_typeET2_T3_PNS13_IS18_E10value_typeET4_jRbjT5_S1E_jjP12ihipStream_tbEUljE_ZNSN_ISO_Lb1ESQ_SR_ST_SU_SY_EESZ_S10_S11_S12_S16_S17_S18_S1B_S1C_jS1D_jS1E_S1E_jjS1G_bEUljE0_EEESZ_S10_S11_S18_S1C_S1E_T6_T7_T9_mT8_S1G_bDpT10_ENKUlT_T0_E_clISt17integral_constantIbLb1EES1U_EEDaS1P_S1Q_EUlS1P_E_NS1_11comp_targetILNS1_3genE4ELNS1_11target_archE910ELNS1_3gpuE8ELNS1_3repE0EEENS1_30default_config_static_selectorELNS0_4arch9wavefront6targetE0EEEvS12_,"axG",@progbits,_ZN7rocprim17ROCPRIM_400000_NS6detail17trampoline_kernelINS0_13select_configILj256ELj13ELNS0_17block_load_methodE3ELS4_3ELS4_3ELNS0_20block_scan_algorithmE0ELj4294967295EEENS1_25partition_config_selectorILNS1_17partition_subalgoE4EjNS0_10empty_typeEbEEZZNS1_14partition_implILS8_4ELb0ES6_15HIP_vector_typeIjLj2EENS0_17counting_iteratorIjlEEPS9_SG_NS0_5tupleIJPjSI_NS0_16reverse_iteratorISI_EEEEENSH_IJSG_SG_SG_EEES9_SI_JZNS1_25segmented_radix_sort_implINS0_14default_configELb1EPKaPaPKlPlN2at6native12_GLOBAL__N_18offset_tEEE10hipError_tPvRmT1_PNSt15iterator_traitsIS12_E10value_typeET2_T3_PNS13_IS18_E10value_typeET4_jRbjT5_S1E_jjP12ihipStream_tbEUljE_ZNSN_ISO_Lb1ESQ_SR_ST_SU_SY_EESZ_S10_S11_S12_S16_S17_S18_S1B_S1C_jS1D_jS1E_S1E_jjS1G_bEUljE0_EEESZ_S10_S11_S18_S1C_S1E_T6_T7_T9_mT8_S1G_bDpT10_ENKUlT_T0_E_clISt17integral_constantIbLb1EES1U_EEDaS1P_S1Q_EUlS1P_E_NS1_11comp_targetILNS1_3genE4ELNS1_11target_archE910ELNS1_3gpuE8ELNS1_3repE0EEENS1_30default_config_static_selectorELNS0_4arch9wavefront6targetE0EEEvS12_,comdat
.Lfunc_end236:
	.size	_ZN7rocprim17ROCPRIM_400000_NS6detail17trampoline_kernelINS0_13select_configILj256ELj13ELNS0_17block_load_methodE3ELS4_3ELS4_3ELNS0_20block_scan_algorithmE0ELj4294967295EEENS1_25partition_config_selectorILNS1_17partition_subalgoE4EjNS0_10empty_typeEbEEZZNS1_14partition_implILS8_4ELb0ES6_15HIP_vector_typeIjLj2EENS0_17counting_iteratorIjlEEPS9_SG_NS0_5tupleIJPjSI_NS0_16reverse_iteratorISI_EEEEENSH_IJSG_SG_SG_EEES9_SI_JZNS1_25segmented_radix_sort_implINS0_14default_configELb1EPKaPaPKlPlN2at6native12_GLOBAL__N_18offset_tEEE10hipError_tPvRmT1_PNSt15iterator_traitsIS12_E10value_typeET2_T3_PNS13_IS18_E10value_typeET4_jRbjT5_S1E_jjP12ihipStream_tbEUljE_ZNSN_ISO_Lb1ESQ_SR_ST_SU_SY_EESZ_S10_S11_S12_S16_S17_S18_S1B_S1C_jS1D_jS1E_S1E_jjS1G_bEUljE0_EEESZ_S10_S11_S18_S1C_S1E_T6_T7_T9_mT8_S1G_bDpT10_ENKUlT_T0_E_clISt17integral_constantIbLb1EES1U_EEDaS1P_S1Q_EUlS1P_E_NS1_11comp_targetILNS1_3genE4ELNS1_11target_archE910ELNS1_3gpuE8ELNS1_3repE0EEENS1_30default_config_static_selectorELNS0_4arch9wavefront6targetE0EEEvS12_, .Lfunc_end236-_ZN7rocprim17ROCPRIM_400000_NS6detail17trampoline_kernelINS0_13select_configILj256ELj13ELNS0_17block_load_methodE3ELS4_3ELS4_3ELNS0_20block_scan_algorithmE0ELj4294967295EEENS1_25partition_config_selectorILNS1_17partition_subalgoE4EjNS0_10empty_typeEbEEZZNS1_14partition_implILS8_4ELb0ES6_15HIP_vector_typeIjLj2EENS0_17counting_iteratorIjlEEPS9_SG_NS0_5tupleIJPjSI_NS0_16reverse_iteratorISI_EEEEENSH_IJSG_SG_SG_EEES9_SI_JZNS1_25segmented_radix_sort_implINS0_14default_configELb1EPKaPaPKlPlN2at6native12_GLOBAL__N_18offset_tEEE10hipError_tPvRmT1_PNSt15iterator_traitsIS12_E10value_typeET2_T3_PNS13_IS18_E10value_typeET4_jRbjT5_S1E_jjP12ihipStream_tbEUljE_ZNSN_ISO_Lb1ESQ_SR_ST_SU_SY_EESZ_S10_S11_S12_S16_S17_S18_S1B_S1C_jS1D_jS1E_S1E_jjS1G_bEUljE0_EEESZ_S10_S11_S18_S1C_S1E_T6_T7_T9_mT8_S1G_bDpT10_ENKUlT_T0_E_clISt17integral_constantIbLb1EES1U_EEDaS1P_S1Q_EUlS1P_E_NS1_11comp_targetILNS1_3genE4ELNS1_11target_archE910ELNS1_3gpuE8ELNS1_3repE0EEENS1_30default_config_static_selectorELNS0_4arch9wavefront6targetE0EEEvS12_
                                        ; -- End function
	.set _ZN7rocprim17ROCPRIM_400000_NS6detail17trampoline_kernelINS0_13select_configILj256ELj13ELNS0_17block_load_methodE3ELS4_3ELS4_3ELNS0_20block_scan_algorithmE0ELj4294967295EEENS1_25partition_config_selectorILNS1_17partition_subalgoE4EjNS0_10empty_typeEbEEZZNS1_14partition_implILS8_4ELb0ES6_15HIP_vector_typeIjLj2EENS0_17counting_iteratorIjlEEPS9_SG_NS0_5tupleIJPjSI_NS0_16reverse_iteratorISI_EEEEENSH_IJSG_SG_SG_EEES9_SI_JZNS1_25segmented_radix_sort_implINS0_14default_configELb1EPKaPaPKlPlN2at6native12_GLOBAL__N_18offset_tEEE10hipError_tPvRmT1_PNSt15iterator_traitsIS12_E10value_typeET2_T3_PNS13_IS18_E10value_typeET4_jRbjT5_S1E_jjP12ihipStream_tbEUljE_ZNSN_ISO_Lb1ESQ_SR_ST_SU_SY_EESZ_S10_S11_S12_S16_S17_S18_S1B_S1C_jS1D_jS1E_S1E_jjS1G_bEUljE0_EEESZ_S10_S11_S18_S1C_S1E_T6_T7_T9_mT8_S1G_bDpT10_ENKUlT_T0_E_clISt17integral_constantIbLb1EES1U_EEDaS1P_S1Q_EUlS1P_E_NS1_11comp_targetILNS1_3genE4ELNS1_11target_archE910ELNS1_3gpuE8ELNS1_3repE0EEENS1_30default_config_static_selectorELNS0_4arch9wavefront6targetE0EEEvS12_.num_vgpr, 0
	.set _ZN7rocprim17ROCPRIM_400000_NS6detail17trampoline_kernelINS0_13select_configILj256ELj13ELNS0_17block_load_methodE3ELS4_3ELS4_3ELNS0_20block_scan_algorithmE0ELj4294967295EEENS1_25partition_config_selectorILNS1_17partition_subalgoE4EjNS0_10empty_typeEbEEZZNS1_14partition_implILS8_4ELb0ES6_15HIP_vector_typeIjLj2EENS0_17counting_iteratorIjlEEPS9_SG_NS0_5tupleIJPjSI_NS0_16reverse_iteratorISI_EEEEENSH_IJSG_SG_SG_EEES9_SI_JZNS1_25segmented_radix_sort_implINS0_14default_configELb1EPKaPaPKlPlN2at6native12_GLOBAL__N_18offset_tEEE10hipError_tPvRmT1_PNSt15iterator_traitsIS12_E10value_typeET2_T3_PNS13_IS18_E10value_typeET4_jRbjT5_S1E_jjP12ihipStream_tbEUljE_ZNSN_ISO_Lb1ESQ_SR_ST_SU_SY_EESZ_S10_S11_S12_S16_S17_S18_S1B_S1C_jS1D_jS1E_S1E_jjS1G_bEUljE0_EEESZ_S10_S11_S18_S1C_S1E_T6_T7_T9_mT8_S1G_bDpT10_ENKUlT_T0_E_clISt17integral_constantIbLb1EES1U_EEDaS1P_S1Q_EUlS1P_E_NS1_11comp_targetILNS1_3genE4ELNS1_11target_archE910ELNS1_3gpuE8ELNS1_3repE0EEENS1_30default_config_static_selectorELNS0_4arch9wavefront6targetE0EEEvS12_.num_agpr, 0
	.set _ZN7rocprim17ROCPRIM_400000_NS6detail17trampoline_kernelINS0_13select_configILj256ELj13ELNS0_17block_load_methodE3ELS4_3ELS4_3ELNS0_20block_scan_algorithmE0ELj4294967295EEENS1_25partition_config_selectorILNS1_17partition_subalgoE4EjNS0_10empty_typeEbEEZZNS1_14partition_implILS8_4ELb0ES6_15HIP_vector_typeIjLj2EENS0_17counting_iteratorIjlEEPS9_SG_NS0_5tupleIJPjSI_NS0_16reverse_iteratorISI_EEEEENSH_IJSG_SG_SG_EEES9_SI_JZNS1_25segmented_radix_sort_implINS0_14default_configELb1EPKaPaPKlPlN2at6native12_GLOBAL__N_18offset_tEEE10hipError_tPvRmT1_PNSt15iterator_traitsIS12_E10value_typeET2_T3_PNS13_IS18_E10value_typeET4_jRbjT5_S1E_jjP12ihipStream_tbEUljE_ZNSN_ISO_Lb1ESQ_SR_ST_SU_SY_EESZ_S10_S11_S12_S16_S17_S18_S1B_S1C_jS1D_jS1E_S1E_jjS1G_bEUljE0_EEESZ_S10_S11_S18_S1C_S1E_T6_T7_T9_mT8_S1G_bDpT10_ENKUlT_T0_E_clISt17integral_constantIbLb1EES1U_EEDaS1P_S1Q_EUlS1P_E_NS1_11comp_targetILNS1_3genE4ELNS1_11target_archE910ELNS1_3gpuE8ELNS1_3repE0EEENS1_30default_config_static_selectorELNS0_4arch9wavefront6targetE0EEEvS12_.numbered_sgpr, 0
	.set _ZN7rocprim17ROCPRIM_400000_NS6detail17trampoline_kernelINS0_13select_configILj256ELj13ELNS0_17block_load_methodE3ELS4_3ELS4_3ELNS0_20block_scan_algorithmE0ELj4294967295EEENS1_25partition_config_selectorILNS1_17partition_subalgoE4EjNS0_10empty_typeEbEEZZNS1_14partition_implILS8_4ELb0ES6_15HIP_vector_typeIjLj2EENS0_17counting_iteratorIjlEEPS9_SG_NS0_5tupleIJPjSI_NS0_16reverse_iteratorISI_EEEEENSH_IJSG_SG_SG_EEES9_SI_JZNS1_25segmented_radix_sort_implINS0_14default_configELb1EPKaPaPKlPlN2at6native12_GLOBAL__N_18offset_tEEE10hipError_tPvRmT1_PNSt15iterator_traitsIS12_E10value_typeET2_T3_PNS13_IS18_E10value_typeET4_jRbjT5_S1E_jjP12ihipStream_tbEUljE_ZNSN_ISO_Lb1ESQ_SR_ST_SU_SY_EESZ_S10_S11_S12_S16_S17_S18_S1B_S1C_jS1D_jS1E_S1E_jjS1G_bEUljE0_EEESZ_S10_S11_S18_S1C_S1E_T6_T7_T9_mT8_S1G_bDpT10_ENKUlT_T0_E_clISt17integral_constantIbLb1EES1U_EEDaS1P_S1Q_EUlS1P_E_NS1_11comp_targetILNS1_3genE4ELNS1_11target_archE910ELNS1_3gpuE8ELNS1_3repE0EEENS1_30default_config_static_selectorELNS0_4arch9wavefront6targetE0EEEvS12_.num_named_barrier, 0
	.set _ZN7rocprim17ROCPRIM_400000_NS6detail17trampoline_kernelINS0_13select_configILj256ELj13ELNS0_17block_load_methodE3ELS4_3ELS4_3ELNS0_20block_scan_algorithmE0ELj4294967295EEENS1_25partition_config_selectorILNS1_17partition_subalgoE4EjNS0_10empty_typeEbEEZZNS1_14partition_implILS8_4ELb0ES6_15HIP_vector_typeIjLj2EENS0_17counting_iteratorIjlEEPS9_SG_NS0_5tupleIJPjSI_NS0_16reverse_iteratorISI_EEEEENSH_IJSG_SG_SG_EEES9_SI_JZNS1_25segmented_radix_sort_implINS0_14default_configELb1EPKaPaPKlPlN2at6native12_GLOBAL__N_18offset_tEEE10hipError_tPvRmT1_PNSt15iterator_traitsIS12_E10value_typeET2_T3_PNS13_IS18_E10value_typeET4_jRbjT5_S1E_jjP12ihipStream_tbEUljE_ZNSN_ISO_Lb1ESQ_SR_ST_SU_SY_EESZ_S10_S11_S12_S16_S17_S18_S1B_S1C_jS1D_jS1E_S1E_jjS1G_bEUljE0_EEESZ_S10_S11_S18_S1C_S1E_T6_T7_T9_mT8_S1G_bDpT10_ENKUlT_T0_E_clISt17integral_constantIbLb1EES1U_EEDaS1P_S1Q_EUlS1P_E_NS1_11comp_targetILNS1_3genE4ELNS1_11target_archE910ELNS1_3gpuE8ELNS1_3repE0EEENS1_30default_config_static_selectorELNS0_4arch9wavefront6targetE0EEEvS12_.private_seg_size, 0
	.set _ZN7rocprim17ROCPRIM_400000_NS6detail17trampoline_kernelINS0_13select_configILj256ELj13ELNS0_17block_load_methodE3ELS4_3ELS4_3ELNS0_20block_scan_algorithmE0ELj4294967295EEENS1_25partition_config_selectorILNS1_17partition_subalgoE4EjNS0_10empty_typeEbEEZZNS1_14partition_implILS8_4ELb0ES6_15HIP_vector_typeIjLj2EENS0_17counting_iteratorIjlEEPS9_SG_NS0_5tupleIJPjSI_NS0_16reverse_iteratorISI_EEEEENSH_IJSG_SG_SG_EEES9_SI_JZNS1_25segmented_radix_sort_implINS0_14default_configELb1EPKaPaPKlPlN2at6native12_GLOBAL__N_18offset_tEEE10hipError_tPvRmT1_PNSt15iterator_traitsIS12_E10value_typeET2_T3_PNS13_IS18_E10value_typeET4_jRbjT5_S1E_jjP12ihipStream_tbEUljE_ZNSN_ISO_Lb1ESQ_SR_ST_SU_SY_EESZ_S10_S11_S12_S16_S17_S18_S1B_S1C_jS1D_jS1E_S1E_jjS1G_bEUljE0_EEESZ_S10_S11_S18_S1C_S1E_T6_T7_T9_mT8_S1G_bDpT10_ENKUlT_T0_E_clISt17integral_constantIbLb1EES1U_EEDaS1P_S1Q_EUlS1P_E_NS1_11comp_targetILNS1_3genE4ELNS1_11target_archE910ELNS1_3gpuE8ELNS1_3repE0EEENS1_30default_config_static_selectorELNS0_4arch9wavefront6targetE0EEEvS12_.uses_vcc, 0
	.set _ZN7rocprim17ROCPRIM_400000_NS6detail17trampoline_kernelINS0_13select_configILj256ELj13ELNS0_17block_load_methodE3ELS4_3ELS4_3ELNS0_20block_scan_algorithmE0ELj4294967295EEENS1_25partition_config_selectorILNS1_17partition_subalgoE4EjNS0_10empty_typeEbEEZZNS1_14partition_implILS8_4ELb0ES6_15HIP_vector_typeIjLj2EENS0_17counting_iteratorIjlEEPS9_SG_NS0_5tupleIJPjSI_NS0_16reverse_iteratorISI_EEEEENSH_IJSG_SG_SG_EEES9_SI_JZNS1_25segmented_radix_sort_implINS0_14default_configELb1EPKaPaPKlPlN2at6native12_GLOBAL__N_18offset_tEEE10hipError_tPvRmT1_PNSt15iterator_traitsIS12_E10value_typeET2_T3_PNS13_IS18_E10value_typeET4_jRbjT5_S1E_jjP12ihipStream_tbEUljE_ZNSN_ISO_Lb1ESQ_SR_ST_SU_SY_EESZ_S10_S11_S12_S16_S17_S18_S1B_S1C_jS1D_jS1E_S1E_jjS1G_bEUljE0_EEESZ_S10_S11_S18_S1C_S1E_T6_T7_T9_mT8_S1G_bDpT10_ENKUlT_T0_E_clISt17integral_constantIbLb1EES1U_EEDaS1P_S1Q_EUlS1P_E_NS1_11comp_targetILNS1_3genE4ELNS1_11target_archE910ELNS1_3gpuE8ELNS1_3repE0EEENS1_30default_config_static_selectorELNS0_4arch9wavefront6targetE0EEEvS12_.uses_flat_scratch, 0
	.set _ZN7rocprim17ROCPRIM_400000_NS6detail17trampoline_kernelINS0_13select_configILj256ELj13ELNS0_17block_load_methodE3ELS4_3ELS4_3ELNS0_20block_scan_algorithmE0ELj4294967295EEENS1_25partition_config_selectorILNS1_17partition_subalgoE4EjNS0_10empty_typeEbEEZZNS1_14partition_implILS8_4ELb0ES6_15HIP_vector_typeIjLj2EENS0_17counting_iteratorIjlEEPS9_SG_NS0_5tupleIJPjSI_NS0_16reverse_iteratorISI_EEEEENSH_IJSG_SG_SG_EEES9_SI_JZNS1_25segmented_radix_sort_implINS0_14default_configELb1EPKaPaPKlPlN2at6native12_GLOBAL__N_18offset_tEEE10hipError_tPvRmT1_PNSt15iterator_traitsIS12_E10value_typeET2_T3_PNS13_IS18_E10value_typeET4_jRbjT5_S1E_jjP12ihipStream_tbEUljE_ZNSN_ISO_Lb1ESQ_SR_ST_SU_SY_EESZ_S10_S11_S12_S16_S17_S18_S1B_S1C_jS1D_jS1E_S1E_jjS1G_bEUljE0_EEESZ_S10_S11_S18_S1C_S1E_T6_T7_T9_mT8_S1G_bDpT10_ENKUlT_T0_E_clISt17integral_constantIbLb1EES1U_EEDaS1P_S1Q_EUlS1P_E_NS1_11comp_targetILNS1_3genE4ELNS1_11target_archE910ELNS1_3gpuE8ELNS1_3repE0EEENS1_30default_config_static_selectorELNS0_4arch9wavefront6targetE0EEEvS12_.has_dyn_sized_stack, 0
	.set _ZN7rocprim17ROCPRIM_400000_NS6detail17trampoline_kernelINS0_13select_configILj256ELj13ELNS0_17block_load_methodE3ELS4_3ELS4_3ELNS0_20block_scan_algorithmE0ELj4294967295EEENS1_25partition_config_selectorILNS1_17partition_subalgoE4EjNS0_10empty_typeEbEEZZNS1_14partition_implILS8_4ELb0ES6_15HIP_vector_typeIjLj2EENS0_17counting_iteratorIjlEEPS9_SG_NS0_5tupleIJPjSI_NS0_16reverse_iteratorISI_EEEEENSH_IJSG_SG_SG_EEES9_SI_JZNS1_25segmented_radix_sort_implINS0_14default_configELb1EPKaPaPKlPlN2at6native12_GLOBAL__N_18offset_tEEE10hipError_tPvRmT1_PNSt15iterator_traitsIS12_E10value_typeET2_T3_PNS13_IS18_E10value_typeET4_jRbjT5_S1E_jjP12ihipStream_tbEUljE_ZNSN_ISO_Lb1ESQ_SR_ST_SU_SY_EESZ_S10_S11_S12_S16_S17_S18_S1B_S1C_jS1D_jS1E_S1E_jjS1G_bEUljE0_EEESZ_S10_S11_S18_S1C_S1E_T6_T7_T9_mT8_S1G_bDpT10_ENKUlT_T0_E_clISt17integral_constantIbLb1EES1U_EEDaS1P_S1Q_EUlS1P_E_NS1_11comp_targetILNS1_3genE4ELNS1_11target_archE910ELNS1_3gpuE8ELNS1_3repE0EEENS1_30default_config_static_selectorELNS0_4arch9wavefront6targetE0EEEvS12_.has_recursion, 0
	.set _ZN7rocprim17ROCPRIM_400000_NS6detail17trampoline_kernelINS0_13select_configILj256ELj13ELNS0_17block_load_methodE3ELS4_3ELS4_3ELNS0_20block_scan_algorithmE0ELj4294967295EEENS1_25partition_config_selectorILNS1_17partition_subalgoE4EjNS0_10empty_typeEbEEZZNS1_14partition_implILS8_4ELb0ES6_15HIP_vector_typeIjLj2EENS0_17counting_iteratorIjlEEPS9_SG_NS0_5tupleIJPjSI_NS0_16reverse_iteratorISI_EEEEENSH_IJSG_SG_SG_EEES9_SI_JZNS1_25segmented_radix_sort_implINS0_14default_configELb1EPKaPaPKlPlN2at6native12_GLOBAL__N_18offset_tEEE10hipError_tPvRmT1_PNSt15iterator_traitsIS12_E10value_typeET2_T3_PNS13_IS18_E10value_typeET4_jRbjT5_S1E_jjP12ihipStream_tbEUljE_ZNSN_ISO_Lb1ESQ_SR_ST_SU_SY_EESZ_S10_S11_S12_S16_S17_S18_S1B_S1C_jS1D_jS1E_S1E_jjS1G_bEUljE0_EEESZ_S10_S11_S18_S1C_S1E_T6_T7_T9_mT8_S1G_bDpT10_ENKUlT_T0_E_clISt17integral_constantIbLb1EES1U_EEDaS1P_S1Q_EUlS1P_E_NS1_11comp_targetILNS1_3genE4ELNS1_11target_archE910ELNS1_3gpuE8ELNS1_3repE0EEENS1_30default_config_static_selectorELNS0_4arch9wavefront6targetE0EEEvS12_.has_indirect_call, 0
	.section	.AMDGPU.csdata,"",@progbits
; Kernel info:
; codeLenInByte = 0
; TotalNumSgprs: 0
; NumVgprs: 0
; ScratchSize: 0
; MemoryBound: 0
; FloatMode: 240
; IeeeMode: 1
; LDSByteSize: 0 bytes/workgroup (compile time only)
; SGPRBlocks: 0
; VGPRBlocks: 0
; NumSGPRsForWavesPerEU: 1
; NumVGPRsForWavesPerEU: 1
; Occupancy: 16
; WaveLimiterHint : 0
; COMPUTE_PGM_RSRC2:SCRATCH_EN: 0
; COMPUTE_PGM_RSRC2:USER_SGPR: 2
; COMPUTE_PGM_RSRC2:TRAP_HANDLER: 0
; COMPUTE_PGM_RSRC2:TGID_X_EN: 1
; COMPUTE_PGM_RSRC2:TGID_Y_EN: 0
; COMPUTE_PGM_RSRC2:TGID_Z_EN: 0
; COMPUTE_PGM_RSRC2:TIDIG_COMP_CNT: 0
	.section	.text._ZN7rocprim17ROCPRIM_400000_NS6detail17trampoline_kernelINS0_13select_configILj256ELj13ELNS0_17block_load_methodE3ELS4_3ELS4_3ELNS0_20block_scan_algorithmE0ELj4294967295EEENS1_25partition_config_selectorILNS1_17partition_subalgoE4EjNS0_10empty_typeEbEEZZNS1_14partition_implILS8_4ELb0ES6_15HIP_vector_typeIjLj2EENS0_17counting_iteratorIjlEEPS9_SG_NS0_5tupleIJPjSI_NS0_16reverse_iteratorISI_EEEEENSH_IJSG_SG_SG_EEES9_SI_JZNS1_25segmented_radix_sort_implINS0_14default_configELb1EPKaPaPKlPlN2at6native12_GLOBAL__N_18offset_tEEE10hipError_tPvRmT1_PNSt15iterator_traitsIS12_E10value_typeET2_T3_PNS13_IS18_E10value_typeET4_jRbjT5_S1E_jjP12ihipStream_tbEUljE_ZNSN_ISO_Lb1ESQ_SR_ST_SU_SY_EESZ_S10_S11_S12_S16_S17_S18_S1B_S1C_jS1D_jS1E_S1E_jjS1G_bEUljE0_EEESZ_S10_S11_S18_S1C_S1E_T6_T7_T9_mT8_S1G_bDpT10_ENKUlT_T0_E_clISt17integral_constantIbLb1EES1U_EEDaS1P_S1Q_EUlS1P_E_NS1_11comp_targetILNS1_3genE3ELNS1_11target_archE908ELNS1_3gpuE7ELNS1_3repE0EEENS1_30default_config_static_selectorELNS0_4arch9wavefront6targetE0EEEvS12_,"axG",@progbits,_ZN7rocprim17ROCPRIM_400000_NS6detail17trampoline_kernelINS0_13select_configILj256ELj13ELNS0_17block_load_methodE3ELS4_3ELS4_3ELNS0_20block_scan_algorithmE0ELj4294967295EEENS1_25partition_config_selectorILNS1_17partition_subalgoE4EjNS0_10empty_typeEbEEZZNS1_14partition_implILS8_4ELb0ES6_15HIP_vector_typeIjLj2EENS0_17counting_iteratorIjlEEPS9_SG_NS0_5tupleIJPjSI_NS0_16reverse_iteratorISI_EEEEENSH_IJSG_SG_SG_EEES9_SI_JZNS1_25segmented_radix_sort_implINS0_14default_configELb1EPKaPaPKlPlN2at6native12_GLOBAL__N_18offset_tEEE10hipError_tPvRmT1_PNSt15iterator_traitsIS12_E10value_typeET2_T3_PNS13_IS18_E10value_typeET4_jRbjT5_S1E_jjP12ihipStream_tbEUljE_ZNSN_ISO_Lb1ESQ_SR_ST_SU_SY_EESZ_S10_S11_S12_S16_S17_S18_S1B_S1C_jS1D_jS1E_S1E_jjS1G_bEUljE0_EEESZ_S10_S11_S18_S1C_S1E_T6_T7_T9_mT8_S1G_bDpT10_ENKUlT_T0_E_clISt17integral_constantIbLb1EES1U_EEDaS1P_S1Q_EUlS1P_E_NS1_11comp_targetILNS1_3genE3ELNS1_11target_archE908ELNS1_3gpuE7ELNS1_3repE0EEENS1_30default_config_static_selectorELNS0_4arch9wavefront6targetE0EEEvS12_,comdat
	.globl	_ZN7rocprim17ROCPRIM_400000_NS6detail17trampoline_kernelINS0_13select_configILj256ELj13ELNS0_17block_load_methodE3ELS4_3ELS4_3ELNS0_20block_scan_algorithmE0ELj4294967295EEENS1_25partition_config_selectorILNS1_17partition_subalgoE4EjNS0_10empty_typeEbEEZZNS1_14partition_implILS8_4ELb0ES6_15HIP_vector_typeIjLj2EENS0_17counting_iteratorIjlEEPS9_SG_NS0_5tupleIJPjSI_NS0_16reverse_iteratorISI_EEEEENSH_IJSG_SG_SG_EEES9_SI_JZNS1_25segmented_radix_sort_implINS0_14default_configELb1EPKaPaPKlPlN2at6native12_GLOBAL__N_18offset_tEEE10hipError_tPvRmT1_PNSt15iterator_traitsIS12_E10value_typeET2_T3_PNS13_IS18_E10value_typeET4_jRbjT5_S1E_jjP12ihipStream_tbEUljE_ZNSN_ISO_Lb1ESQ_SR_ST_SU_SY_EESZ_S10_S11_S12_S16_S17_S18_S1B_S1C_jS1D_jS1E_S1E_jjS1G_bEUljE0_EEESZ_S10_S11_S18_S1C_S1E_T6_T7_T9_mT8_S1G_bDpT10_ENKUlT_T0_E_clISt17integral_constantIbLb1EES1U_EEDaS1P_S1Q_EUlS1P_E_NS1_11comp_targetILNS1_3genE3ELNS1_11target_archE908ELNS1_3gpuE7ELNS1_3repE0EEENS1_30default_config_static_selectorELNS0_4arch9wavefront6targetE0EEEvS12_ ; -- Begin function _ZN7rocprim17ROCPRIM_400000_NS6detail17trampoline_kernelINS0_13select_configILj256ELj13ELNS0_17block_load_methodE3ELS4_3ELS4_3ELNS0_20block_scan_algorithmE0ELj4294967295EEENS1_25partition_config_selectorILNS1_17partition_subalgoE4EjNS0_10empty_typeEbEEZZNS1_14partition_implILS8_4ELb0ES6_15HIP_vector_typeIjLj2EENS0_17counting_iteratorIjlEEPS9_SG_NS0_5tupleIJPjSI_NS0_16reverse_iteratorISI_EEEEENSH_IJSG_SG_SG_EEES9_SI_JZNS1_25segmented_radix_sort_implINS0_14default_configELb1EPKaPaPKlPlN2at6native12_GLOBAL__N_18offset_tEEE10hipError_tPvRmT1_PNSt15iterator_traitsIS12_E10value_typeET2_T3_PNS13_IS18_E10value_typeET4_jRbjT5_S1E_jjP12ihipStream_tbEUljE_ZNSN_ISO_Lb1ESQ_SR_ST_SU_SY_EESZ_S10_S11_S12_S16_S17_S18_S1B_S1C_jS1D_jS1E_S1E_jjS1G_bEUljE0_EEESZ_S10_S11_S18_S1C_S1E_T6_T7_T9_mT8_S1G_bDpT10_ENKUlT_T0_E_clISt17integral_constantIbLb1EES1U_EEDaS1P_S1Q_EUlS1P_E_NS1_11comp_targetILNS1_3genE3ELNS1_11target_archE908ELNS1_3gpuE7ELNS1_3repE0EEENS1_30default_config_static_selectorELNS0_4arch9wavefront6targetE0EEEvS12_
	.p2align	8
	.type	_ZN7rocprim17ROCPRIM_400000_NS6detail17trampoline_kernelINS0_13select_configILj256ELj13ELNS0_17block_load_methodE3ELS4_3ELS4_3ELNS0_20block_scan_algorithmE0ELj4294967295EEENS1_25partition_config_selectorILNS1_17partition_subalgoE4EjNS0_10empty_typeEbEEZZNS1_14partition_implILS8_4ELb0ES6_15HIP_vector_typeIjLj2EENS0_17counting_iteratorIjlEEPS9_SG_NS0_5tupleIJPjSI_NS0_16reverse_iteratorISI_EEEEENSH_IJSG_SG_SG_EEES9_SI_JZNS1_25segmented_radix_sort_implINS0_14default_configELb1EPKaPaPKlPlN2at6native12_GLOBAL__N_18offset_tEEE10hipError_tPvRmT1_PNSt15iterator_traitsIS12_E10value_typeET2_T3_PNS13_IS18_E10value_typeET4_jRbjT5_S1E_jjP12ihipStream_tbEUljE_ZNSN_ISO_Lb1ESQ_SR_ST_SU_SY_EESZ_S10_S11_S12_S16_S17_S18_S1B_S1C_jS1D_jS1E_S1E_jjS1G_bEUljE0_EEESZ_S10_S11_S18_S1C_S1E_T6_T7_T9_mT8_S1G_bDpT10_ENKUlT_T0_E_clISt17integral_constantIbLb1EES1U_EEDaS1P_S1Q_EUlS1P_E_NS1_11comp_targetILNS1_3genE3ELNS1_11target_archE908ELNS1_3gpuE7ELNS1_3repE0EEENS1_30default_config_static_selectorELNS0_4arch9wavefront6targetE0EEEvS12_,@function
_ZN7rocprim17ROCPRIM_400000_NS6detail17trampoline_kernelINS0_13select_configILj256ELj13ELNS0_17block_load_methodE3ELS4_3ELS4_3ELNS0_20block_scan_algorithmE0ELj4294967295EEENS1_25partition_config_selectorILNS1_17partition_subalgoE4EjNS0_10empty_typeEbEEZZNS1_14partition_implILS8_4ELb0ES6_15HIP_vector_typeIjLj2EENS0_17counting_iteratorIjlEEPS9_SG_NS0_5tupleIJPjSI_NS0_16reverse_iteratorISI_EEEEENSH_IJSG_SG_SG_EEES9_SI_JZNS1_25segmented_radix_sort_implINS0_14default_configELb1EPKaPaPKlPlN2at6native12_GLOBAL__N_18offset_tEEE10hipError_tPvRmT1_PNSt15iterator_traitsIS12_E10value_typeET2_T3_PNS13_IS18_E10value_typeET4_jRbjT5_S1E_jjP12ihipStream_tbEUljE_ZNSN_ISO_Lb1ESQ_SR_ST_SU_SY_EESZ_S10_S11_S12_S16_S17_S18_S1B_S1C_jS1D_jS1E_S1E_jjS1G_bEUljE0_EEESZ_S10_S11_S18_S1C_S1E_T6_T7_T9_mT8_S1G_bDpT10_ENKUlT_T0_E_clISt17integral_constantIbLb1EES1U_EEDaS1P_S1Q_EUlS1P_E_NS1_11comp_targetILNS1_3genE3ELNS1_11target_archE908ELNS1_3gpuE7ELNS1_3repE0EEENS1_30default_config_static_selectorELNS0_4arch9wavefront6targetE0EEEvS12_: ; @_ZN7rocprim17ROCPRIM_400000_NS6detail17trampoline_kernelINS0_13select_configILj256ELj13ELNS0_17block_load_methodE3ELS4_3ELS4_3ELNS0_20block_scan_algorithmE0ELj4294967295EEENS1_25partition_config_selectorILNS1_17partition_subalgoE4EjNS0_10empty_typeEbEEZZNS1_14partition_implILS8_4ELb0ES6_15HIP_vector_typeIjLj2EENS0_17counting_iteratorIjlEEPS9_SG_NS0_5tupleIJPjSI_NS0_16reverse_iteratorISI_EEEEENSH_IJSG_SG_SG_EEES9_SI_JZNS1_25segmented_radix_sort_implINS0_14default_configELb1EPKaPaPKlPlN2at6native12_GLOBAL__N_18offset_tEEE10hipError_tPvRmT1_PNSt15iterator_traitsIS12_E10value_typeET2_T3_PNS13_IS18_E10value_typeET4_jRbjT5_S1E_jjP12ihipStream_tbEUljE_ZNSN_ISO_Lb1ESQ_SR_ST_SU_SY_EESZ_S10_S11_S12_S16_S17_S18_S1B_S1C_jS1D_jS1E_S1E_jjS1G_bEUljE0_EEESZ_S10_S11_S18_S1C_S1E_T6_T7_T9_mT8_S1G_bDpT10_ENKUlT_T0_E_clISt17integral_constantIbLb1EES1U_EEDaS1P_S1Q_EUlS1P_E_NS1_11comp_targetILNS1_3genE3ELNS1_11target_archE908ELNS1_3gpuE7ELNS1_3repE0EEENS1_30default_config_static_selectorELNS0_4arch9wavefront6targetE0EEEvS12_
; %bb.0:
	.section	.rodata,"a",@progbits
	.p2align	6, 0x0
	.amdhsa_kernel _ZN7rocprim17ROCPRIM_400000_NS6detail17trampoline_kernelINS0_13select_configILj256ELj13ELNS0_17block_load_methodE3ELS4_3ELS4_3ELNS0_20block_scan_algorithmE0ELj4294967295EEENS1_25partition_config_selectorILNS1_17partition_subalgoE4EjNS0_10empty_typeEbEEZZNS1_14partition_implILS8_4ELb0ES6_15HIP_vector_typeIjLj2EENS0_17counting_iteratorIjlEEPS9_SG_NS0_5tupleIJPjSI_NS0_16reverse_iteratorISI_EEEEENSH_IJSG_SG_SG_EEES9_SI_JZNS1_25segmented_radix_sort_implINS0_14default_configELb1EPKaPaPKlPlN2at6native12_GLOBAL__N_18offset_tEEE10hipError_tPvRmT1_PNSt15iterator_traitsIS12_E10value_typeET2_T3_PNS13_IS18_E10value_typeET4_jRbjT5_S1E_jjP12ihipStream_tbEUljE_ZNSN_ISO_Lb1ESQ_SR_ST_SU_SY_EESZ_S10_S11_S12_S16_S17_S18_S1B_S1C_jS1D_jS1E_S1E_jjS1G_bEUljE0_EEESZ_S10_S11_S18_S1C_S1E_T6_T7_T9_mT8_S1G_bDpT10_ENKUlT_T0_E_clISt17integral_constantIbLb1EES1U_EEDaS1P_S1Q_EUlS1P_E_NS1_11comp_targetILNS1_3genE3ELNS1_11target_archE908ELNS1_3gpuE7ELNS1_3repE0EEENS1_30default_config_static_selectorELNS0_4arch9wavefront6targetE0EEEvS12_
		.amdhsa_group_segment_fixed_size 0
		.amdhsa_private_segment_fixed_size 0
		.amdhsa_kernarg_size 184
		.amdhsa_user_sgpr_count 2
		.amdhsa_user_sgpr_dispatch_ptr 0
		.amdhsa_user_sgpr_queue_ptr 0
		.amdhsa_user_sgpr_kernarg_segment_ptr 1
		.amdhsa_user_sgpr_dispatch_id 0
		.amdhsa_user_sgpr_private_segment_size 0
		.amdhsa_wavefront_size32 1
		.amdhsa_uses_dynamic_stack 0
		.amdhsa_enable_private_segment 0
		.amdhsa_system_sgpr_workgroup_id_x 1
		.amdhsa_system_sgpr_workgroup_id_y 0
		.amdhsa_system_sgpr_workgroup_id_z 0
		.amdhsa_system_sgpr_workgroup_info 0
		.amdhsa_system_vgpr_workitem_id 0
		.amdhsa_next_free_vgpr 1
		.amdhsa_next_free_sgpr 1
		.amdhsa_reserve_vcc 0
		.amdhsa_float_round_mode_32 0
		.amdhsa_float_round_mode_16_64 0
		.amdhsa_float_denorm_mode_32 3
		.amdhsa_float_denorm_mode_16_64 3
		.amdhsa_fp16_overflow 0
		.amdhsa_workgroup_processor_mode 1
		.amdhsa_memory_ordered 1
		.amdhsa_forward_progress 1
		.amdhsa_inst_pref_size 0
		.amdhsa_round_robin_scheduling 0
		.amdhsa_exception_fp_ieee_invalid_op 0
		.amdhsa_exception_fp_denorm_src 0
		.amdhsa_exception_fp_ieee_div_zero 0
		.amdhsa_exception_fp_ieee_overflow 0
		.amdhsa_exception_fp_ieee_underflow 0
		.amdhsa_exception_fp_ieee_inexact 0
		.amdhsa_exception_int_div_zero 0
	.end_amdhsa_kernel
	.section	.text._ZN7rocprim17ROCPRIM_400000_NS6detail17trampoline_kernelINS0_13select_configILj256ELj13ELNS0_17block_load_methodE3ELS4_3ELS4_3ELNS0_20block_scan_algorithmE0ELj4294967295EEENS1_25partition_config_selectorILNS1_17partition_subalgoE4EjNS0_10empty_typeEbEEZZNS1_14partition_implILS8_4ELb0ES6_15HIP_vector_typeIjLj2EENS0_17counting_iteratorIjlEEPS9_SG_NS0_5tupleIJPjSI_NS0_16reverse_iteratorISI_EEEEENSH_IJSG_SG_SG_EEES9_SI_JZNS1_25segmented_radix_sort_implINS0_14default_configELb1EPKaPaPKlPlN2at6native12_GLOBAL__N_18offset_tEEE10hipError_tPvRmT1_PNSt15iterator_traitsIS12_E10value_typeET2_T3_PNS13_IS18_E10value_typeET4_jRbjT5_S1E_jjP12ihipStream_tbEUljE_ZNSN_ISO_Lb1ESQ_SR_ST_SU_SY_EESZ_S10_S11_S12_S16_S17_S18_S1B_S1C_jS1D_jS1E_S1E_jjS1G_bEUljE0_EEESZ_S10_S11_S18_S1C_S1E_T6_T7_T9_mT8_S1G_bDpT10_ENKUlT_T0_E_clISt17integral_constantIbLb1EES1U_EEDaS1P_S1Q_EUlS1P_E_NS1_11comp_targetILNS1_3genE3ELNS1_11target_archE908ELNS1_3gpuE7ELNS1_3repE0EEENS1_30default_config_static_selectorELNS0_4arch9wavefront6targetE0EEEvS12_,"axG",@progbits,_ZN7rocprim17ROCPRIM_400000_NS6detail17trampoline_kernelINS0_13select_configILj256ELj13ELNS0_17block_load_methodE3ELS4_3ELS4_3ELNS0_20block_scan_algorithmE0ELj4294967295EEENS1_25partition_config_selectorILNS1_17partition_subalgoE4EjNS0_10empty_typeEbEEZZNS1_14partition_implILS8_4ELb0ES6_15HIP_vector_typeIjLj2EENS0_17counting_iteratorIjlEEPS9_SG_NS0_5tupleIJPjSI_NS0_16reverse_iteratorISI_EEEEENSH_IJSG_SG_SG_EEES9_SI_JZNS1_25segmented_radix_sort_implINS0_14default_configELb1EPKaPaPKlPlN2at6native12_GLOBAL__N_18offset_tEEE10hipError_tPvRmT1_PNSt15iterator_traitsIS12_E10value_typeET2_T3_PNS13_IS18_E10value_typeET4_jRbjT5_S1E_jjP12ihipStream_tbEUljE_ZNSN_ISO_Lb1ESQ_SR_ST_SU_SY_EESZ_S10_S11_S12_S16_S17_S18_S1B_S1C_jS1D_jS1E_S1E_jjS1G_bEUljE0_EEESZ_S10_S11_S18_S1C_S1E_T6_T7_T9_mT8_S1G_bDpT10_ENKUlT_T0_E_clISt17integral_constantIbLb1EES1U_EEDaS1P_S1Q_EUlS1P_E_NS1_11comp_targetILNS1_3genE3ELNS1_11target_archE908ELNS1_3gpuE7ELNS1_3repE0EEENS1_30default_config_static_selectorELNS0_4arch9wavefront6targetE0EEEvS12_,comdat
.Lfunc_end237:
	.size	_ZN7rocprim17ROCPRIM_400000_NS6detail17trampoline_kernelINS0_13select_configILj256ELj13ELNS0_17block_load_methodE3ELS4_3ELS4_3ELNS0_20block_scan_algorithmE0ELj4294967295EEENS1_25partition_config_selectorILNS1_17partition_subalgoE4EjNS0_10empty_typeEbEEZZNS1_14partition_implILS8_4ELb0ES6_15HIP_vector_typeIjLj2EENS0_17counting_iteratorIjlEEPS9_SG_NS0_5tupleIJPjSI_NS0_16reverse_iteratorISI_EEEEENSH_IJSG_SG_SG_EEES9_SI_JZNS1_25segmented_radix_sort_implINS0_14default_configELb1EPKaPaPKlPlN2at6native12_GLOBAL__N_18offset_tEEE10hipError_tPvRmT1_PNSt15iterator_traitsIS12_E10value_typeET2_T3_PNS13_IS18_E10value_typeET4_jRbjT5_S1E_jjP12ihipStream_tbEUljE_ZNSN_ISO_Lb1ESQ_SR_ST_SU_SY_EESZ_S10_S11_S12_S16_S17_S18_S1B_S1C_jS1D_jS1E_S1E_jjS1G_bEUljE0_EEESZ_S10_S11_S18_S1C_S1E_T6_T7_T9_mT8_S1G_bDpT10_ENKUlT_T0_E_clISt17integral_constantIbLb1EES1U_EEDaS1P_S1Q_EUlS1P_E_NS1_11comp_targetILNS1_3genE3ELNS1_11target_archE908ELNS1_3gpuE7ELNS1_3repE0EEENS1_30default_config_static_selectorELNS0_4arch9wavefront6targetE0EEEvS12_, .Lfunc_end237-_ZN7rocprim17ROCPRIM_400000_NS6detail17trampoline_kernelINS0_13select_configILj256ELj13ELNS0_17block_load_methodE3ELS4_3ELS4_3ELNS0_20block_scan_algorithmE0ELj4294967295EEENS1_25partition_config_selectorILNS1_17partition_subalgoE4EjNS0_10empty_typeEbEEZZNS1_14partition_implILS8_4ELb0ES6_15HIP_vector_typeIjLj2EENS0_17counting_iteratorIjlEEPS9_SG_NS0_5tupleIJPjSI_NS0_16reverse_iteratorISI_EEEEENSH_IJSG_SG_SG_EEES9_SI_JZNS1_25segmented_radix_sort_implINS0_14default_configELb1EPKaPaPKlPlN2at6native12_GLOBAL__N_18offset_tEEE10hipError_tPvRmT1_PNSt15iterator_traitsIS12_E10value_typeET2_T3_PNS13_IS18_E10value_typeET4_jRbjT5_S1E_jjP12ihipStream_tbEUljE_ZNSN_ISO_Lb1ESQ_SR_ST_SU_SY_EESZ_S10_S11_S12_S16_S17_S18_S1B_S1C_jS1D_jS1E_S1E_jjS1G_bEUljE0_EEESZ_S10_S11_S18_S1C_S1E_T6_T7_T9_mT8_S1G_bDpT10_ENKUlT_T0_E_clISt17integral_constantIbLb1EES1U_EEDaS1P_S1Q_EUlS1P_E_NS1_11comp_targetILNS1_3genE3ELNS1_11target_archE908ELNS1_3gpuE7ELNS1_3repE0EEENS1_30default_config_static_selectorELNS0_4arch9wavefront6targetE0EEEvS12_
                                        ; -- End function
	.set _ZN7rocprim17ROCPRIM_400000_NS6detail17trampoline_kernelINS0_13select_configILj256ELj13ELNS0_17block_load_methodE3ELS4_3ELS4_3ELNS0_20block_scan_algorithmE0ELj4294967295EEENS1_25partition_config_selectorILNS1_17partition_subalgoE4EjNS0_10empty_typeEbEEZZNS1_14partition_implILS8_4ELb0ES6_15HIP_vector_typeIjLj2EENS0_17counting_iteratorIjlEEPS9_SG_NS0_5tupleIJPjSI_NS0_16reverse_iteratorISI_EEEEENSH_IJSG_SG_SG_EEES9_SI_JZNS1_25segmented_radix_sort_implINS0_14default_configELb1EPKaPaPKlPlN2at6native12_GLOBAL__N_18offset_tEEE10hipError_tPvRmT1_PNSt15iterator_traitsIS12_E10value_typeET2_T3_PNS13_IS18_E10value_typeET4_jRbjT5_S1E_jjP12ihipStream_tbEUljE_ZNSN_ISO_Lb1ESQ_SR_ST_SU_SY_EESZ_S10_S11_S12_S16_S17_S18_S1B_S1C_jS1D_jS1E_S1E_jjS1G_bEUljE0_EEESZ_S10_S11_S18_S1C_S1E_T6_T7_T9_mT8_S1G_bDpT10_ENKUlT_T0_E_clISt17integral_constantIbLb1EES1U_EEDaS1P_S1Q_EUlS1P_E_NS1_11comp_targetILNS1_3genE3ELNS1_11target_archE908ELNS1_3gpuE7ELNS1_3repE0EEENS1_30default_config_static_selectorELNS0_4arch9wavefront6targetE0EEEvS12_.num_vgpr, 0
	.set _ZN7rocprim17ROCPRIM_400000_NS6detail17trampoline_kernelINS0_13select_configILj256ELj13ELNS0_17block_load_methodE3ELS4_3ELS4_3ELNS0_20block_scan_algorithmE0ELj4294967295EEENS1_25partition_config_selectorILNS1_17partition_subalgoE4EjNS0_10empty_typeEbEEZZNS1_14partition_implILS8_4ELb0ES6_15HIP_vector_typeIjLj2EENS0_17counting_iteratorIjlEEPS9_SG_NS0_5tupleIJPjSI_NS0_16reverse_iteratorISI_EEEEENSH_IJSG_SG_SG_EEES9_SI_JZNS1_25segmented_radix_sort_implINS0_14default_configELb1EPKaPaPKlPlN2at6native12_GLOBAL__N_18offset_tEEE10hipError_tPvRmT1_PNSt15iterator_traitsIS12_E10value_typeET2_T3_PNS13_IS18_E10value_typeET4_jRbjT5_S1E_jjP12ihipStream_tbEUljE_ZNSN_ISO_Lb1ESQ_SR_ST_SU_SY_EESZ_S10_S11_S12_S16_S17_S18_S1B_S1C_jS1D_jS1E_S1E_jjS1G_bEUljE0_EEESZ_S10_S11_S18_S1C_S1E_T6_T7_T9_mT8_S1G_bDpT10_ENKUlT_T0_E_clISt17integral_constantIbLb1EES1U_EEDaS1P_S1Q_EUlS1P_E_NS1_11comp_targetILNS1_3genE3ELNS1_11target_archE908ELNS1_3gpuE7ELNS1_3repE0EEENS1_30default_config_static_selectorELNS0_4arch9wavefront6targetE0EEEvS12_.num_agpr, 0
	.set _ZN7rocprim17ROCPRIM_400000_NS6detail17trampoline_kernelINS0_13select_configILj256ELj13ELNS0_17block_load_methodE3ELS4_3ELS4_3ELNS0_20block_scan_algorithmE0ELj4294967295EEENS1_25partition_config_selectorILNS1_17partition_subalgoE4EjNS0_10empty_typeEbEEZZNS1_14partition_implILS8_4ELb0ES6_15HIP_vector_typeIjLj2EENS0_17counting_iteratorIjlEEPS9_SG_NS0_5tupleIJPjSI_NS0_16reverse_iteratorISI_EEEEENSH_IJSG_SG_SG_EEES9_SI_JZNS1_25segmented_radix_sort_implINS0_14default_configELb1EPKaPaPKlPlN2at6native12_GLOBAL__N_18offset_tEEE10hipError_tPvRmT1_PNSt15iterator_traitsIS12_E10value_typeET2_T3_PNS13_IS18_E10value_typeET4_jRbjT5_S1E_jjP12ihipStream_tbEUljE_ZNSN_ISO_Lb1ESQ_SR_ST_SU_SY_EESZ_S10_S11_S12_S16_S17_S18_S1B_S1C_jS1D_jS1E_S1E_jjS1G_bEUljE0_EEESZ_S10_S11_S18_S1C_S1E_T6_T7_T9_mT8_S1G_bDpT10_ENKUlT_T0_E_clISt17integral_constantIbLb1EES1U_EEDaS1P_S1Q_EUlS1P_E_NS1_11comp_targetILNS1_3genE3ELNS1_11target_archE908ELNS1_3gpuE7ELNS1_3repE0EEENS1_30default_config_static_selectorELNS0_4arch9wavefront6targetE0EEEvS12_.numbered_sgpr, 0
	.set _ZN7rocprim17ROCPRIM_400000_NS6detail17trampoline_kernelINS0_13select_configILj256ELj13ELNS0_17block_load_methodE3ELS4_3ELS4_3ELNS0_20block_scan_algorithmE0ELj4294967295EEENS1_25partition_config_selectorILNS1_17partition_subalgoE4EjNS0_10empty_typeEbEEZZNS1_14partition_implILS8_4ELb0ES6_15HIP_vector_typeIjLj2EENS0_17counting_iteratorIjlEEPS9_SG_NS0_5tupleIJPjSI_NS0_16reverse_iteratorISI_EEEEENSH_IJSG_SG_SG_EEES9_SI_JZNS1_25segmented_radix_sort_implINS0_14default_configELb1EPKaPaPKlPlN2at6native12_GLOBAL__N_18offset_tEEE10hipError_tPvRmT1_PNSt15iterator_traitsIS12_E10value_typeET2_T3_PNS13_IS18_E10value_typeET4_jRbjT5_S1E_jjP12ihipStream_tbEUljE_ZNSN_ISO_Lb1ESQ_SR_ST_SU_SY_EESZ_S10_S11_S12_S16_S17_S18_S1B_S1C_jS1D_jS1E_S1E_jjS1G_bEUljE0_EEESZ_S10_S11_S18_S1C_S1E_T6_T7_T9_mT8_S1G_bDpT10_ENKUlT_T0_E_clISt17integral_constantIbLb1EES1U_EEDaS1P_S1Q_EUlS1P_E_NS1_11comp_targetILNS1_3genE3ELNS1_11target_archE908ELNS1_3gpuE7ELNS1_3repE0EEENS1_30default_config_static_selectorELNS0_4arch9wavefront6targetE0EEEvS12_.num_named_barrier, 0
	.set _ZN7rocprim17ROCPRIM_400000_NS6detail17trampoline_kernelINS0_13select_configILj256ELj13ELNS0_17block_load_methodE3ELS4_3ELS4_3ELNS0_20block_scan_algorithmE0ELj4294967295EEENS1_25partition_config_selectorILNS1_17partition_subalgoE4EjNS0_10empty_typeEbEEZZNS1_14partition_implILS8_4ELb0ES6_15HIP_vector_typeIjLj2EENS0_17counting_iteratorIjlEEPS9_SG_NS0_5tupleIJPjSI_NS0_16reverse_iteratorISI_EEEEENSH_IJSG_SG_SG_EEES9_SI_JZNS1_25segmented_radix_sort_implINS0_14default_configELb1EPKaPaPKlPlN2at6native12_GLOBAL__N_18offset_tEEE10hipError_tPvRmT1_PNSt15iterator_traitsIS12_E10value_typeET2_T3_PNS13_IS18_E10value_typeET4_jRbjT5_S1E_jjP12ihipStream_tbEUljE_ZNSN_ISO_Lb1ESQ_SR_ST_SU_SY_EESZ_S10_S11_S12_S16_S17_S18_S1B_S1C_jS1D_jS1E_S1E_jjS1G_bEUljE0_EEESZ_S10_S11_S18_S1C_S1E_T6_T7_T9_mT8_S1G_bDpT10_ENKUlT_T0_E_clISt17integral_constantIbLb1EES1U_EEDaS1P_S1Q_EUlS1P_E_NS1_11comp_targetILNS1_3genE3ELNS1_11target_archE908ELNS1_3gpuE7ELNS1_3repE0EEENS1_30default_config_static_selectorELNS0_4arch9wavefront6targetE0EEEvS12_.private_seg_size, 0
	.set _ZN7rocprim17ROCPRIM_400000_NS6detail17trampoline_kernelINS0_13select_configILj256ELj13ELNS0_17block_load_methodE3ELS4_3ELS4_3ELNS0_20block_scan_algorithmE0ELj4294967295EEENS1_25partition_config_selectorILNS1_17partition_subalgoE4EjNS0_10empty_typeEbEEZZNS1_14partition_implILS8_4ELb0ES6_15HIP_vector_typeIjLj2EENS0_17counting_iteratorIjlEEPS9_SG_NS0_5tupleIJPjSI_NS0_16reverse_iteratorISI_EEEEENSH_IJSG_SG_SG_EEES9_SI_JZNS1_25segmented_radix_sort_implINS0_14default_configELb1EPKaPaPKlPlN2at6native12_GLOBAL__N_18offset_tEEE10hipError_tPvRmT1_PNSt15iterator_traitsIS12_E10value_typeET2_T3_PNS13_IS18_E10value_typeET4_jRbjT5_S1E_jjP12ihipStream_tbEUljE_ZNSN_ISO_Lb1ESQ_SR_ST_SU_SY_EESZ_S10_S11_S12_S16_S17_S18_S1B_S1C_jS1D_jS1E_S1E_jjS1G_bEUljE0_EEESZ_S10_S11_S18_S1C_S1E_T6_T7_T9_mT8_S1G_bDpT10_ENKUlT_T0_E_clISt17integral_constantIbLb1EES1U_EEDaS1P_S1Q_EUlS1P_E_NS1_11comp_targetILNS1_3genE3ELNS1_11target_archE908ELNS1_3gpuE7ELNS1_3repE0EEENS1_30default_config_static_selectorELNS0_4arch9wavefront6targetE0EEEvS12_.uses_vcc, 0
	.set _ZN7rocprim17ROCPRIM_400000_NS6detail17trampoline_kernelINS0_13select_configILj256ELj13ELNS0_17block_load_methodE3ELS4_3ELS4_3ELNS0_20block_scan_algorithmE0ELj4294967295EEENS1_25partition_config_selectorILNS1_17partition_subalgoE4EjNS0_10empty_typeEbEEZZNS1_14partition_implILS8_4ELb0ES6_15HIP_vector_typeIjLj2EENS0_17counting_iteratorIjlEEPS9_SG_NS0_5tupleIJPjSI_NS0_16reverse_iteratorISI_EEEEENSH_IJSG_SG_SG_EEES9_SI_JZNS1_25segmented_radix_sort_implINS0_14default_configELb1EPKaPaPKlPlN2at6native12_GLOBAL__N_18offset_tEEE10hipError_tPvRmT1_PNSt15iterator_traitsIS12_E10value_typeET2_T3_PNS13_IS18_E10value_typeET4_jRbjT5_S1E_jjP12ihipStream_tbEUljE_ZNSN_ISO_Lb1ESQ_SR_ST_SU_SY_EESZ_S10_S11_S12_S16_S17_S18_S1B_S1C_jS1D_jS1E_S1E_jjS1G_bEUljE0_EEESZ_S10_S11_S18_S1C_S1E_T6_T7_T9_mT8_S1G_bDpT10_ENKUlT_T0_E_clISt17integral_constantIbLb1EES1U_EEDaS1P_S1Q_EUlS1P_E_NS1_11comp_targetILNS1_3genE3ELNS1_11target_archE908ELNS1_3gpuE7ELNS1_3repE0EEENS1_30default_config_static_selectorELNS0_4arch9wavefront6targetE0EEEvS12_.uses_flat_scratch, 0
	.set _ZN7rocprim17ROCPRIM_400000_NS6detail17trampoline_kernelINS0_13select_configILj256ELj13ELNS0_17block_load_methodE3ELS4_3ELS4_3ELNS0_20block_scan_algorithmE0ELj4294967295EEENS1_25partition_config_selectorILNS1_17partition_subalgoE4EjNS0_10empty_typeEbEEZZNS1_14partition_implILS8_4ELb0ES6_15HIP_vector_typeIjLj2EENS0_17counting_iteratorIjlEEPS9_SG_NS0_5tupleIJPjSI_NS0_16reverse_iteratorISI_EEEEENSH_IJSG_SG_SG_EEES9_SI_JZNS1_25segmented_radix_sort_implINS0_14default_configELb1EPKaPaPKlPlN2at6native12_GLOBAL__N_18offset_tEEE10hipError_tPvRmT1_PNSt15iterator_traitsIS12_E10value_typeET2_T3_PNS13_IS18_E10value_typeET4_jRbjT5_S1E_jjP12ihipStream_tbEUljE_ZNSN_ISO_Lb1ESQ_SR_ST_SU_SY_EESZ_S10_S11_S12_S16_S17_S18_S1B_S1C_jS1D_jS1E_S1E_jjS1G_bEUljE0_EEESZ_S10_S11_S18_S1C_S1E_T6_T7_T9_mT8_S1G_bDpT10_ENKUlT_T0_E_clISt17integral_constantIbLb1EES1U_EEDaS1P_S1Q_EUlS1P_E_NS1_11comp_targetILNS1_3genE3ELNS1_11target_archE908ELNS1_3gpuE7ELNS1_3repE0EEENS1_30default_config_static_selectorELNS0_4arch9wavefront6targetE0EEEvS12_.has_dyn_sized_stack, 0
	.set _ZN7rocprim17ROCPRIM_400000_NS6detail17trampoline_kernelINS0_13select_configILj256ELj13ELNS0_17block_load_methodE3ELS4_3ELS4_3ELNS0_20block_scan_algorithmE0ELj4294967295EEENS1_25partition_config_selectorILNS1_17partition_subalgoE4EjNS0_10empty_typeEbEEZZNS1_14partition_implILS8_4ELb0ES6_15HIP_vector_typeIjLj2EENS0_17counting_iteratorIjlEEPS9_SG_NS0_5tupleIJPjSI_NS0_16reverse_iteratorISI_EEEEENSH_IJSG_SG_SG_EEES9_SI_JZNS1_25segmented_radix_sort_implINS0_14default_configELb1EPKaPaPKlPlN2at6native12_GLOBAL__N_18offset_tEEE10hipError_tPvRmT1_PNSt15iterator_traitsIS12_E10value_typeET2_T3_PNS13_IS18_E10value_typeET4_jRbjT5_S1E_jjP12ihipStream_tbEUljE_ZNSN_ISO_Lb1ESQ_SR_ST_SU_SY_EESZ_S10_S11_S12_S16_S17_S18_S1B_S1C_jS1D_jS1E_S1E_jjS1G_bEUljE0_EEESZ_S10_S11_S18_S1C_S1E_T6_T7_T9_mT8_S1G_bDpT10_ENKUlT_T0_E_clISt17integral_constantIbLb1EES1U_EEDaS1P_S1Q_EUlS1P_E_NS1_11comp_targetILNS1_3genE3ELNS1_11target_archE908ELNS1_3gpuE7ELNS1_3repE0EEENS1_30default_config_static_selectorELNS0_4arch9wavefront6targetE0EEEvS12_.has_recursion, 0
	.set _ZN7rocprim17ROCPRIM_400000_NS6detail17trampoline_kernelINS0_13select_configILj256ELj13ELNS0_17block_load_methodE3ELS4_3ELS4_3ELNS0_20block_scan_algorithmE0ELj4294967295EEENS1_25partition_config_selectorILNS1_17partition_subalgoE4EjNS0_10empty_typeEbEEZZNS1_14partition_implILS8_4ELb0ES6_15HIP_vector_typeIjLj2EENS0_17counting_iteratorIjlEEPS9_SG_NS0_5tupleIJPjSI_NS0_16reverse_iteratorISI_EEEEENSH_IJSG_SG_SG_EEES9_SI_JZNS1_25segmented_radix_sort_implINS0_14default_configELb1EPKaPaPKlPlN2at6native12_GLOBAL__N_18offset_tEEE10hipError_tPvRmT1_PNSt15iterator_traitsIS12_E10value_typeET2_T3_PNS13_IS18_E10value_typeET4_jRbjT5_S1E_jjP12ihipStream_tbEUljE_ZNSN_ISO_Lb1ESQ_SR_ST_SU_SY_EESZ_S10_S11_S12_S16_S17_S18_S1B_S1C_jS1D_jS1E_S1E_jjS1G_bEUljE0_EEESZ_S10_S11_S18_S1C_S1E_T6_T7_T9_mT8_S1G_bDpT10_ENKUlT_T0_E_clISt17integral_constantIbLb1EES1U_EEDaS1P_S1Q_EUlS1P_E_NS1_11comp_targetILNS1_3genE3ELNS1_11target_archE908ELNS1_3gpuE7ELNS1_3repE0EEENS1_30default_config_static_selectorELNS0_4arch9wavefront6targetE0EEEvS12_.has_indirect_call, 0
	.section	.AMDGPU.csdata,"",@progbits
; Kernel info:
; codeLenInByte = 0
; TotalNumSgprs: 0
; NumVgprs: 0
; ScratchSize: 0
; MemoryBound: 0
; FloatMode: 240
; IeeeMode: 1
; LDSByteSize: 0 bytes/workgroup (compile time only)
; SGPRBlocks: 0
; VGPRBlocks: 0
; NumSGPRsForWavesPerEU: 1
; NumVGPRsForWavesPerEU: 1
; Occupancy: 16
; WaveLimiterHint : 0
; COMPUTE_PGM_RSRC2:SCRATCH_EN: 0
; COMPUTE_PGM_RSRC2:USER_SGPR: 2
; COMPUTE_PGM_RSRC2:TRAP_HANDLER: 0
; COMPUTE_PGM_RSRC2:TGID_X_EN: 1
; COMPUTE_PGM_RSRC2:TGID_Y_EN: 0
; COMPUTE_PGM_RSRC2:TGID_Z_EN: 0
; COMPUTE_PGM_RSRC2:TIDIG_COMP_CNT: 0
	.section	.text._ZN7rocprim17ROCPRIM_400000_NS6detail17trampoline_kernelINS0_13select_configILj256ELj13ELNS0_17block_load_methodE3ELS4_3ELS4_3ELNS0_20block_scan_algorithmE0ELj4294967295EEENS1_25partition_config_selectorILNS1_17partition_subalgoE4EjNS0_10empty_typeEbEEZZNS1_14partition_implILS8_4ELb0ES6_15HIP_vector_typeIjLj2EENS0_17counting_iteratorIjlEEPS9_SG_NS0_5tupleIJPjSI_NS0_16reverse_iteratorISI_EEEEENSH_IJSG_SG_SG_EEES9_SI_JZNS1_25segmented_radix_sort_implINS0_14default_configELb1EPKaPaPKlPlN2at6native12_GLOBAL__N_18offset_tEEE10hipError_tPvRmT1_PNSt15iterator_traitsIS12_E10value_typeET2_T3_PNS13_IS18_E10value_typeET4_jRbjT5_S1E_jjP12ihipStream_tbEUljE_ZNSN_ISO_Lb1ESQ_SR_ST_SU_SY_EESZ_S10_S11_S12_S16_S17_S18_S1B_S1C_jS1D_jS1E_S1E_jjS1G_bEUljE0_EEESZ_S10_S11_S18_S1C_S1E_T6_T7_T9_mT8_S1G_bDpT10_ENKUlT_T0_E_clISt17integral_constantIbLb1EES1U_EEDaS1P_S1Q_EUlS1P_E_NS1_11comp_targetILNS1_3genE2ELNS1_11target_archE906ELNS1_3gpuE6ELNS1_3repE0EEENS1_30default_config_static_selectorELNS0_4arch9wavefront6targetE0EEEvS12_,"axG",@progbits,_ZN7rocprim17ROCPRIM_400000_NS6detail17trampoline_kernelINS0_13select_configILj256ELj13ELNS0_17block_load_methodE3ELS4_3ELS4_3ELNS0_20block_scan_algorithmE0ELj4294967295EEENS1_25partition_config_selectorILNS1_17partition_subalgoE4EjNS0_10empty_typeEbEEZZNS1_14partition_implILS8_4ELb0ES6_15HIP_vector_typeIjLj2EENS0_17counting_iteratorIjlEEPS9_SG_NS0_5tupleIJPjSI_NS0_16reverse_iteratorISI_EEEEENSH_IJSG_SG_SG_EEES9_SI_JZNS1_25segmented_radix_sort_implINS0_14default_configELb1EPKaPaPKlPlN2at6native12_GLOBAL__N_18offset_tEEE10hipError_tPvRmT1_PNSt15iterator_traitsIS12_E10value_typeET2_T3_PNS13_IS18_E10value_typeET4_jRbjT5_S1E_jjP12ihipStream_tbEUljE_ZNSN_ISO_Lb1ESQ_SR_ST_SU_SY_EESZ_S10_S11_S12_S16_S17_S18_S1B_S1C_jS1D_jS1E_S1E_jjS1G_bEUljE0_EEESZ_S10_S11_S18_S1C_S1E_T6_T7_T9_mT8_S1G_bDpT10_ENKUlT_T0_E_clISt17integral_constantIbLb1EES1U_EEDaS1P_S1Q_EUlS1P_E_NS1_11comp_targetILNS1_3genE2ELNS1_11target_archE906ELNS1_3gpuE6ELNS1_3repE0EEENS1_30default_config_static_selectorELNS0_4arch9wavefront6targetE0EEEvS12_,comdat
	.globl	_ZN7rocprim17ROCPRIM_400000_NS6detail17trampoline_kernelINS0_13select_configILj256ELj13ELNS0_17block_load_methodE3ELS4_3ELS4_3ELNS0_20block_scan_algorithmE0ELj4294967295EEENS1_25partition_config_selectorILNS1_17partition_subalgoE4EjNS0_10empty_typeEbEEZZNS1_14partition_implILS8_4ELb0ES6_15HIP_vector_typeIjLj2EENS0_17counting_iteratorIjlEEPS9_SG_NS0_5tupleIJPjSI_NS0_16reverse_iteratorISI_EEEEENSH_IJSG_SG_SG_EEES9_SI_JZNS1_25segmented_radix_sort_implINS0_14default_configELb1EPKaPaPKlPlN2at6native12_GLOBAL__N_18offset_tEEE10hipError_tPvRmT1_PNSt15iterator_traitsIS12_E10value_typeET2_T3_PNS13_IS18_E10value_typeET4_jRbjT5_S1E_jjP12ihipStream_tbEUljE_ZNSN_ISO_Lb1ESQ_SR_ST_SU_SY_EESZ_S10_S11_S12_S16_S17_S18_S1B_S1C_jS1D_jS1E_S1E_jjS1G_bEUljE0_EEESZ_S10_S11_S18_S1C_S1E_T6_T7_T9_mT8_S1G_bDpT10_ENKUlT_T0_E_clISt17integral_constantIbLb1EES1U_EEDaS1P_S1Q_EUlS1P_E_NS1_11comp_targetILNS1_3genE2ELNS1_11target_archE906ELNS1_3gpuE6ELNS1_3repE0EEENS1_30default_config_static_selectorELNS0_4arch9wavefront6targetE0EEEvS12_ ; -- Begin function _ZN7rocprim17ROCPRIM_400000_NS6detail17trampoline_kernelINS0_13select_configILj256ELj13ELNS0_17block_load_methodE3ELS4_3ELS4_3ELNS0_20block_scan_algorithmE0ELj4294967295EEENS1_25partition_config_selectorILNS1_17partition_subalgoE4EjNS0_10empty_typeEbEEZZNS1_14partition_implILS8_4ELb0ES6_15HIP_vector_typeIjLj2EENS0_17counting_iteratorIjlEEPS9_SG_NS0_5tupleIJPjSI_NS0_16reverse_iteratorISI_EEEEENSH_IJSG_SG_SG_EEES9_SI_JZNS1_25segmented_radix_sort_implINS0_14default_configELb1EPKaPaPKlPlN2at6native12_GLOBAL__N_18offset_tEEE10hipError_tPvRmT1_PNSt15iterator_traitsIS12_E10value_typeET2_T3_PNS13_IS18_E10value_typeET4_jRbjT5_S1E_jjP12ihipStream_tbEUljE_ZNSN_ISO_Lb1ESQ_SR_ST_SU_SY_EESZ_S10_S11_S12_S16_S17_S18_S1B_S1C_jS1D_jS1E_S1E_jjS1G_bEUljE0_EEESZ_S10_S11_S18_S1C_S1E_T6_T7_T9_mT8_S1G_bDpT10_ENKUlT_T0_E_clISt17integral_constantIbLb1EES1U_EEDaS1P_S1Q_EUlS1P_E_NS1_11comp_targetILNS1_3genE2ELNS1_11target_archE906ELNS1_3gpuE6ELNS1_3repE0EEENS1_30default_config_static_selectorELNS0_4arch9wavefront6targetE0EEEvS12_
	.p2align	8
	.type	_ZN7rocprim17ROCPRIM_400000_NS6detail17trampoline_kernelINS0_13select_configILj256ELj13ELNS0_17block_load_methodE3ELS4_3ELS4_3ELNS0_20block_scan_algorithmE0ELj4294967295EEENS1_25partition_config_selectorILNS1_17partition_subalgoE4EjNS0_10empty_typeEbEEZZNS1_14partition_implILS8_4ELb0ES6_15HIP_vector_typeIjLj2EENS0_17counting_iteratorIjlEEPS9_SG_NS0_5tupleIJPjSI_NS0_16reverse_iteratorISI_EEEEENSH_IJSG_SG_SG_EEES9_SI_JZNS1_25segmented_radix_sort_implINS0_14default_configELb1EPKaPaPKlPlN2at6native12_GLOBAL__N_18offset_tEEE10hipError_tPvRmT1_PNSt15iterator_traitsIS12_E10value_typeET2_T3_PNS13_IS18_E10value_typeET4_jRbjT5_S1E_jjP12ihipStream_tbEUljE_ZNSN_ISO_Lb1ESQ_SR_ST_SU_SY_EESZ_S10_S11_S12_S16_S17_S18_S1B_S1C_jS1D_jS1E_S1E_jjS1G_bEUljE0_EEESZ_S10_S11_S18_S1C_S1E_T6_T7_T9_mT8_S1G_bDpT10_ENKUlT_T0_E_clISt17integral_constantIbLb1EES1U_EEDaS1P_S1Q_EUlS1P_E_NS1_11comp_targetILNS1_3genE2ELNS1_11target_archE906ELNS1_3gpuE6ELNS1_3repE0EEENS1_30default_config_static_selectorELNS0_4arch9wavefront6targetE0EEEvS12_,@function
_ZN7rocprim17ROCPRIM_400000_NS6detail17trampoline_kernelINS0_13select_configILj256ELj13ELNS0_17block_load_methodE3ELS4_3ELS4_3ELNS0_20block_scan_algorithmE0ELj4294967295EEENS1_25partition_config_selectorILNS1_17partition_subalgoE4EjNS0_10empty_typeEbEEZZNS1_14partition_implILS8_4ELb0ES6_15HIP_vector_typeIjLj2EENS0_17counting_iteratorIjlEEPS9_SG_NS0_5tupleIJPjSI_NS0_16reverse_iteratorISI_EEEEENSH_IJSG_SG_SG_EEES9_SI_JZNS1_25segmented_radix_sort_implINS0_14default_configELb1EPKaPaPKlPlN2at6native12_GLOBAL__N_18offset_tEEE10hipError_tPvRmT1_PNSt15iterator_traitsIS12_E10value_typeET2_T3_PNS13_IS18_E10value_typeET4_jRbjT5_S1E_jjP12ihipStream_tbEUljE_ZNSN_ISO_Lb1ESQ_SR_ST_SU_SY_EESZ_S10_S11_S12_S16_S17_S18_S1B_S1C_jS1D_jS1E_S1E_jjS1G_bEUljE0_EEESZ_S10_S11_S18_S1C_S1E_T6_T7_T9_mT8_S1G_bDpT10_ENKUlT_T0_E_clISt17integral_constantIbLb1EES1U_EEDaS1P_S1Q_EUlS1P_E_NS1_11comp_targetILNS1_3genE2ELNS1_11target_archE906ELNS1_3gpuE6ELNS1_3repE0EEENS1_30default_config_static_selectorELNS0_4arch9wavefront6targetE0EEEvS12_: ; @_ZN7rocprim17ROCPRIM_400000_NS6detail17trampoline_kernelINS0_13select_configILj256ELj13ELNS0_17block_load_methodE3ELS4_3ELS4_3ELNS0_20block_scan_algorithmE0ELj4294967295EEENS1_25partition_config_selectorILNS1_17partition_subalgoE4EjNS0_10empty_typeEbEEZZNS1_14partition_implILS8_4ELb0ES6_15HIP_vector_typeIjLj2EENS0_17counting_iteratorIjlEEPS9_SG_NS0_5tupleIJPjSI_NS0_16reverse_iteratorISI_EEEEENSH_IJSG_SG_SG_EEES9_SI_JZNS1_25segmented_radix_sort_implINS0_14default_configELb1EPKaPaPKlPlN2at6native12_GLOBAL__N_18offset_tEEE10hipError_tPvRmT1_PNSt15iterator_traitsIS12_E10value_typeET2_T3_PNS13_IS18_E10value_typeET4_jRbjT5_S1E_jjP12ihipStream_tbEUljE_ZNSN_ISO_Lb1ESQ_SR_ST_SU_SY_EESZ_S10_S11_S12_S16_S17_S18_S1B_S1C_jS1D_jS1E_S1E_jjS1G_bEUljE0_EEESZ_S10_S11_S18_S1C_S1E_T6_T7_T9_mT8_S1G_bDpT10_ENKUlT_T0_E_clISt17integral_constantIbLb1EES1U_EEDaS1P_S1Q_EUlS1P_E_NS1_11comp_targetILNS1_3genE2ELNS1_11target_archE906ELNS1_3gpuE6ELNS1_3repE0EEENS1_30default_config_static_selectorELNS0_4arch9wavefront6targetE0EEEvS12_
; %bb.0:
	.section	.rodata,"a",@progbits
	.p2align	6, 0x0
	.amdhsa_kernel _ZN7rocprim17ROCPRIM_400000_NS6detail17trampoline_kernelINS0_13select_configILj256ELj13ELNS0_17block_load_methodE3ELS4_3ELS4_3ELNS0_20block_scan_algorithmE0ELj4294967295EEENS1_25partition_config_selectorILNS1_17partition_subalgoE4EjNS0_10empty_typeEbEEZZNS1_14partition_implILS8_4ELb0ES6_15HIP_vector_typeIjLj2EENS0_17counting_iteratorIjlEEPS9_SG_NS0_5tupleIJPjSI_NS0_16reverse_iteratorISI_EEEEENSH_IJSG_SG_SG_EEES9_SI_JZNS1_25segmented_radix_sort_implINS0_14default_configELb1EPKaPaPKlPlN2at6native12_GLOBAL__N_18offset_tEEE10hipError_tPvRmT1_PNSt15iterator_traitsIS12_E10value_typeET2_T3_PNS13_IS18_E10value_typeET4_jRbjT5_S1E_jjP12ihipStream_tbEUljE_ZNSN_ISO_Lb1ESQ_SR_ST_SU_SY_EESZ_S10_S11_S12_S16_S17_S18_S1B_S1C_jS1D_jS1E_S1E_jjS1G_bEUljE0_EEESZ_S10_S11_S18_S1C_S1E_T6_T7_T9_mT8_S1G_bDpT10_ENKUlT_T0_E_clISt17integral_constantIbLb1EES1U_EEDaS1P_S1Q_EUlS1P_E_NS1_11comp_targetILNS1_3genE2ELNS1_11target_archE906ELNS1_3gpuE6ELNS1_3repE0EEENS1_30default_config_static_selectorELNS0_4arch9wavefront6targetE0EEEvS12_
		.amdhsa_group_segment_fixed_size 0
		.amdhsa_private_segment_fixed_size 0
		.amdhsa_kernarg_size 184
		.amdhsa_user_sgpr_count 2
		.amdhsa_user_sgpr_dispatch_ptr 0
		.amdhsa_user_sgpr_queue_ptr 0
		.amdhsa_user_sgpr_kernarg_segment_ptr 1
		.amdhsa_user_sgpr_dispatch_id 0
		.amdhsa_user_sgpr_private_segment_size 0
		.amdhsa_wavefront_size32 1
		.amdhsa_uses_dynamic_stack 0
		.amdhsa_enable_private_segment 0
		.amdhsa_system_sgpr_workgroup_id_x 1
		.amdhsa_system_sgpr_workgroup_id_y 0
		.amdhsa_system_sgpr_workgroup_id_z 0
		.amdhsa_system_sgpr_workgroup_info 0
		.amdhsa_system_vgpr_workitem_id 0
		.amdhsa_next_free_vgpr 1
		.amdhsa_next_free_sgpr 1
		.amdhsa_reserve_vcc 0
		.amdhsa_float_round_mode_32 0
		.amdhsa_float_round_mode_16_64 0
		.amdhsa_float_denorm_mode_32 3
		.amdhsa_float_denorm_mode_16_64 3
		.amdhsa_fp16_overflow 0
		.amdhsa_workgroup_processor_mode 1
		.amdhsa_memory_ordered 1
		.amdhsa_forward_progress 1
		.amdhsa_inst_pref_size 0
		.amdhsa_round_robin_scheduling 0
		.amdhsa_exception_fp_ieee_invalid_op 0
		.amdhsa_exception_fp_denorm_src 0
		.amdhsa_exception_fp_ieee_div_zero 0
		.amdhsa_exception_fp_ieee_overflow 0
		.amdhsa_exception_fp_ieee_underflow 0
		.amdhsa_exception_fp_ieee_inexact 0
		.amdhsa_exception_int_div_zero 0
	.end_amdhsa_kernel
	.section	.text._ZN7rocprim17ROCPRIM_400000_NS6detail17trampoline_kernelINS0_13select_configILj256ELj13ELNS0_17block_load_methodE3ELS4_3ELS4_3ELNS0_20block_scan_algorithmE0ELj4294967295EEENS1_25partition_config_selectorILNS1_17partition_subalgoE4EjNS0_10empty_typeEbEEZZNS1_14partition_implILS8_4ELb0ES6_15HIP_vector_typeIjLj2EENS0_17counting_iteratorIjlEEPS9_SG_NS0_5tupleIJPjSI_NS0_16reverse_iteratorISI_EEEEENSH_IJSG_SG_SG_EEES9_SI_JZNS1_25segmented_radix_sort_implINS0_14default_configELb1EPKaPaPKlPlN2at6native12_GLOBAL__N_18offset_tEEE10hipError_tPvRmT1_PNSt15iterator_traitsIS12_E10value_typeET2_T3_PNS13_IS18_E10value_typeET4_jRbjT5_S1E_jjP12ihipStream_tbEUljE_ZNSN_ISO_Lb1ESQ_SR_ST_SU_SY_EESZ_S10_S11_S12_S16_S17_S18_S1B_S1C_jS1D_jS1E_S1E_jjS1G_bEUljE0_EEESZ_S10_S11_S18_S1C_S1E_T6_T7_T9_mT8_S1G_bDpT10_ENKUlT_T0_E_clISt17integral_constantIbLb1EES1U_EEDaS1P_S1Q_EUlS1P_E_NS1_11comp_targetILNS1_3genE2ELNS1_11target_archE906ELNS1_3gpuE6ELNS1_3repE0EEENS1_30default_config_static_selectorELNS0_4arch9wavefront6targetE0EEEvS12_,"axG",@progbits,_ZN7rocprim17ROCPRIM_400000_NS6detail17trampoline_kernelINS0_13select_configILj256ELj13ELNS0_17block_load_methodE3ELS4_3ELS4_3ELNS0_20block_scan_algorithmE0ELj4294967295EEENS1_25partition_config_selectorILNS1_17partition_subalgoE4EjNS0_10empty_typeEbEEZZNS1_14partition_implILS8_4ELb0ES6_15HIP_vector_typeIjLj2EENS0_17counting_iteratorIjlEEPS9_SG_NS0_5tupleIJPjSI_NS0_16reverse_iteratorISI_EEEEENSH_IJSG_SG_SG_EEES9_SI_JZNS1_25segmented_radix_sort_implINS0_14default_configELb1EPKaPaPKlPlN2at6native12_GLOBAL__N_18offset_tEEE10hipError_tPvRmT1_PNSt15iterator_traitsIS12_E10value_typeET2_T3_PNS13_IS18_E10value_typeET4_jRbjT5_S1E_jjP12ihipStream_tbEUljE_ZNSN_ISO_Lb1ESQ_SR_ST_SU_SY_EESZ_S10_S11_S12_S16_S17_S18_S1B_S1C_jS1D_jS1E_S1E_jjS1G_bEUljE0_EEESZ_S10_S11_S18_S1C_S1E_T6_T7_T9_mT8_S1G_bDpT10_ENKUlT_T0_E_clISt17integral_constantIbLb1EES1U_EEDaS1P_S1Q_EUlS1P_E_NS1_11comp_targetILNS1_3genE2ELNS1_11target_archE906ELNS1_3gpuE6ELNS1_3repE0EEENS1_30default_config_static_selectorELNS0_4arch9wavefront6targetE0EEEvS12_,comdat
.Lfunc_end238:
	.size	_ZN7rocprim17ROCPRIM_400000_NS6detail17trampoline_kernelINS0_13select_configILj256ELj13ELNS0_17block_load_methodE3ELS4_3ELS4_3ELNS0_20block_scan_algorithmE0ELj4294967295EEENS1_25partition_config_selectorILNS1_17partition_subalgoE4EjNS0_10empty_typeEbEEZZNS1_14partition_implILS8_4ELb0ES6_15HIP_vector_typeIjLj2EENS0_17counting_iteratorIjlEEPS9_SG_NS0_5tupleIJPjSI_NS0_16reverse_iteratorISI_EEEEENSH_IJSG_SG_SG_EEES9_SI_JZNS1_25segmented_radix_sort_implINS0_14default_configELb1EPKaPaPKlPlN2at6native12_GLOBAL__N_18offset_tEEE10hipError_tPvRmT1_PNSt15iterator_traitsIS12_E10value_typeET2_T3_PNS13_IS18_E10value_typeET4_jRbjT5_S1E_jjP12ihipStream_tbEUljE_ZNSN_ISO_Lb1ESQ_SR_ST_SU_SY_EESZ_S10_S11_S12_S16_S17_S18_S1B_S1C_jS1D_jS1E_S1E_jjS1G_bEUljE0_EEESZ_S10_S11_S18_S1C_S1E_T6_T7_T9_mT8_S1G_bDpT10_ENKUlT_T0_E_clISt17integral_constantIbLb1EES1U_EEDaS1P_S1Q_EUlS1P_E_NS1_11comp_targetILNS1_3genE2ELNS1_11target_archE906ELNS1_3gpuE6ELNS1_3repE0EEENS1_30default_config_static_selectorELNS0_4arch9wavefront6targetE0EEEvS12_, .Lfunc_end238-_ZN7rocprim17ROCPRIM_400000_NS6detail17trampoline_kernelINS0_13select_configILj256ELj13ELNS0_17block_load_methodE3ELS4_3ELS4_3ELNS0_20block_scan_algorithmE0ELj4294967295EEENS1_25partition_config_selectorILNS1_17partition_subalgoE4EjNS0_10empty_typeEbEEZZNS1_14partition_implILS8_4ELb0ES6_15HIP_vector_typeIjLj2EENS0_17counting_iteratorIjlEEPS9_SG_NS0_5tupleIJPjSI_NS0_16reverse_iteratorISI_EEEEENSH_IJSG_SG_SG_EEES9_SI_JZNS1_25segmented_radix_sort_implINS0_14default_configELb1EPKaPaPKlPlN2at6native12_GLOBAL__N_18offset_tEEE10hipError_tPvRmT1_PNSt15iterator_traitsIS12_E10value_typeET2_T3_PNS13_IS18_E10value_typeET4_jRbjT5_S1E_jjP12ihipStream_tbEUljE_ZNSN_ISO_Lb1ESQ_SR_ST_SU_SY_EESZ_S10_S11_S12_S16_S17_S18_S1B_S1C_jS1D_jS1E_S1E_jjS1G_bEUljE0_EEESZ_S10_S11_S18_S1C_S1E_T6_T7_T9_mT8_S1G_bDpT10_ENKUlT_T0_E_clISt17integral_constantIbLb1EES1U_EEDaS1P_S1Q_EUlS1P_E_NS1_11comp_targetILNS1_3genE2ELNS1_11target_archE906ELNS1_3gpuE6ELNS1_3repE0EEENS1_30default_config_static_selectorELNS0_4arch9wavefront6targetE0EEEvS12_
                                        ; -- End function
	.set _ZN7rocprim17ROCPRIM_400000_NS6detail17trampoline_kernelINS0_13select_configILj256ELj13ELNS0_17block_load_methodE3ELS4_3ELS4_3ELNS0_20block_scan_algorithmE0ELj4294967295EEENS1_25partition_config_selectorILNS1_17partition_subalgoE4EjNS0_10empty_typeEbEEZZNS1_14partition_implILS8_4ELb0ES6_15HIP_vector_typeIjLj2EENS0_17counting_iteratorIjlEEPS9_SG_NS0_5tupleIJPjSI_NS0_16reverse_iteratorISI_EEEEENSH_IJSG_SG_SG_EEES9_SI_JZNS1_25segmented_radix_sort_implINS0_14default_configELb1EPKaPaPKlPlN2at6native12_GLOBAL__N_18offset_tEEE10hipError_tPvRmT1_PNSt15iterator_traitsIS12_E10value_typeET2_T3_PNS13_IS18_E10value_typeET4_jRbjT5_S1E_jjP12ihipStream_tbEUljE_ZNSN_ISO_Lb1ESQ_SR_ST_SU_SY_EESZ_S10_S11_S12_S16_S17_S18_S1B_S1C_jS1D_jS1E_S1E_jjS1G_bEUljE0_EEESZ_S10_S11_S18_S1C_S1E_T6_T7_T9_mT8_S1G_bDpT10_ENKUlT_T0_E_clISt17integral_constantIbLb1EES1U_EEDaS1P_S1Q_EUlS1P_E_NS1_11comp_targetILNS1_3genE2ELNS1_11target_archE906ELNS1_3gpuE6ELNS1_3repE0EEENS1_30default_config_static_selectorELNS0_4arch9wavefront6targetE0EEEvS12_.num_vgpr, 0
	.set _ZN7rocprim17ROCPRIM_400000_NS6detail17trampoline_kernelINS0_13select_configILj256ELj13ELNS0_17block_load_methodE3ELS4_3ELS4_3ELNS0_20block_scan_algorithmE0ELj4294967295EEENS1_25partition_config_selectorILNS1_17partition_subalgoE4EjNS0_10empty_typeEbEEZZNS1_14partition_implILS8_4ELb0ES6_15HIP_vector_typeIjLj2EENS0_17counting_iteratorIjlEEPS9_SG_NS0_5tupleIJPjSI_NS0_16reverse_iteratorISI_EEEEENSH_IJSG_SG_SG_EEES9_SI_JZNS1_25segmented_radix_sort_implINS0_14default_configELb1EPKaPaPKlPlN2at6native12_GLOBAL__N_18offset_tEEE10hipError_tPvRmT1_PNSt15iterator_traitsIS12_E10value_typeET2_T3_PNS13_IS18_E10value_typeET4_jRbjT5_S1E_jjP12ihipStream_tbEUljE_ZNSN_ISO_Lb1ESQ_SR_ST_SU_SY_EESZ_S10_S11_S12_S16_S17_S18_S1B_S1C_jS1D_jS1E_S1E_jjS1G_bEUljE0_EEESZ_S10_S11_S18_S1C_S1E_T6_T7_T9_mT8_S1G_bDpT10_ENKUlT_T0_E_clISt17integral_constantIbLb1EES1U_EEDaS1P_S1Q_EUlS1P_E_NS1_11comp_targetILNS1_3genE2ELNS1_11target_archE906ELNS1_3gpuE6ELNS1_3repE0EEENS1_30default_config_static_selectorELNS0_4arch9wavefront6targetE0EEEvS12_.num_agpr, 0
	.set _ZN7rocprim17ROCPRIM_400000_NS6detail17trampoline_kernelINS0_13select_configILj256ELj13ELNS0_17block_load_methodE3ELS4_3ELS4_3ELNS0_20block_scan_algorithmE0ELj4294967295EEENS1_25partition_config_selectorILNS1_17partition_subalgoE4EjNS0_10empty_typeEbEEZZNS1_14partition_implILS8_4ELb0ES6_15HIP_vector_typeIjLj2EENS0_17counting_iteratorIjlEEPS9_SG_NS0_5tupleIJPjSI_NS0_16reverse_iteratorISI_EEEEENSH_IJSG_SG_SG_EEES9_SI_JZNS1_25segmented_radix_sort_implINS0_14default_configELb1EPKaPaPKlPlN2at6native12_GLOBAL__N_18offset_tEEE10hipError_tPvRmT1_PNSt15iterator_traitsIS12_E10value_typeET2_T3_PNS13_IS18_E10value_typeET4_jRbjT5_S1E_jjP12ihipStream_tbEUljE_ZNSN_ISO_Lb1ESQ_SR_ST_SU_SY_EESZ_S10_S11_S12_S16_S17_S18_S1B_S1C_jS1D_jS1E_S1E_jjS1G_bEUljE0_EEESZ_S10_S11_S18_S1C_S1E_T6_T7_T9_mT8_S1G_bDpT10_ENKUlT_T0_E_clISt17integral_constantIbLb1EES1U_EEDaS1P_S1Q_EUlS1P_E_NS1_11comp_targetILNS1_3genE2ELNS1_11target_archE906ELNS1_3gpuE6ELNS1_3repE0EEENS1_30default_config_static_selectorELNS0_4arch9wavefront6targetE0EEEvS12_.numbered_sgpr, 0
	.set _ZN7rocprim17ROCPRIM_400000_NS6detail17trampoline_kernelINS0_13select_configILj256ELj13ELNS0_17block_load_methodE3ELS4_3ELS4_3ELNS0_20block_scan_algorithmE0ELj4294967295EEENS1_25partition_config_selectorILNS1_17partition_subalgoE4EjNS0_10empty_typeEbEEZZNS1_14partition_implILS8_4ELb0ES6_15HIP_vector_typeIjLj2EENS0_17counting_iteratorIjlEEPS9_SG_NS0_5tupleIJPjSI_NS0_16reverse_iteratorISI_EEEEENSH_IJSG_SG_SG_EEES9_SI_JZNS1_25segmented_radix_sort_implINS0_14default_configELb1EPKaPaPKlPlN2at6native12_GLOBAL__N_18offset_tEEE10hipError_tPvRmT1_PNSt15iterator_traitsIS12_E10value_typeET2_T3_PNS13_IS18_E10value_typeET4_jRbjT5_S1E_jjP12ihipStream_tbEUljE_ZNSN_ISO_Lb1ESQ_SR_ST_SU_SY_EESZ_S10_S11_S12_S16_S17_S18_S1B_S1C_jS1D_jS1E_S1E_jjS1G_bEUljE0_EEESZ_S10_S11_S18_S1C_S1E_T6_T7_T9_mT8_S1G_bDpT10_ENKUlT_T0_E_clISt17integral_constantIbLb1EES1U_EEDaS1P_S1Q_EUlS1P_E_NS1_11comp_targetILNS1_3genE2ELNS1_11target_archE906ELNS1_3gpuE6ELNS1_3repE0EEENS1_30default_config_static_selectorELNS0_4arch9wavefront6targetE0EEEvS12_.num_named_barrier, 0
	.set _ZN7rocprim17ROCPRIM_400000_NS6detail17trampoline_kernelINS0_13select_configILj256ELj13ELNS0_17block_load_methodE3ELS4_3ELS4_3ELNS0_20block_scan_algorithmE0ELj4294967295EEENS1_25partition_config_selectorILNS1_17partition_subalgoE4EjNS0_10empty_typeEbEEZZNS1_14partition_implILS8_4ELb0ES6_15HIP_vector_typeIjLj2EENS0_17counting_iteratorIjlEEPS9_SG_NS0_5tupleIJPjSI_NS0_16reverse_iteratorISI_EEEEENSH_IJSG_SG_SG_EEES9_SI_JZNS1_25segmented_radix_sort_implINS0_14default_configELb1EPKaPaPKlPlN2at6native12_GLOBAL__N_18offset_tEEE10hipError_tPvRmT1_PNSt15iterator_traitsIS12_E10value_typeET2_T3_PNS13_IS18_E10value_typeET4_jRbjT5_S1E_jjP12ihipStream_tbEUljE_ZNSN_ISO_Lb1ESQ_SR_ST_SU_SY_EESZ_S10_S11_S12_S16_S17_S18_S1B_S1C_jS1D_jS1E_S1E_jjS1G_bEUljE0_EEESZ_S10_S11_S18_S1C_S1E_T6_T7_T9_mT8_S1G_bDpT10_ENKUlT_T0_E_clISt17integral_constantIbLb1EES1U_EEDaS1P_S1Q_EUlS1P_E_NS1_11comp_targetILNS1_3genE2ELNS1_11target_archE906ELNS1_3gpuE6ELNS1_3repE0EEENS1_30default_config_static_selectorELNS0_4arch9wavefront6targetE0EEEvS12_.private_seg_size, 0
	.set _ZN7rocprim17ROCPRIM_400000_NS6detail17trampoline_kernelINS0_13select_configILj256ELj13ELNS0_17block_load_methodE3ELS4_3ELS4_3ELNS0_20block_scan_algorithmE0ELj4294967295EEENS1_25partition_config_selectorILNS1_17partition_subalgoE4EjNS0_10empty_typeEbEEZZNS1_14partition_implILS8_4ELb0ES6_15HIP_vector_typeIjLj2EENS0_17counting_iteratorIjlEEPS9_SG_NS0_5tupleIJPjSI_NS0_16reverse_iteratorISI_EEEEENSH_IJSG_SG_SG_EEES9_SI_JZNS1_25segmented_radix_sort_implINS0_14default_configELb1EPKaPaPKlPlN2at6native12_GLOBAL__N_18offset_tEEE10hipError_tPvRmT1_PNSt15iterator_traitsIS12_E10value_typeET2_T3_PNS13_IS18_E10value_typeET4_jRbjT5_S1E_jjP12ihipStream_tbEUljE_ZNSN_ISO_Lb1ESQ_SR_ST_SU_SY_EESZ_S10_S11_S12_S16_S17_S18_S1B_S1C_jS1D_jS1E_S1E_jjS1G_bEUljE0_EEESZ_S10_S11_S18_S1C_S1E_T6_T7_T9_mT8_S1G_bDpT10_ENKUlT_T0_E_clISt17integral_constantIbLb1EES1U_EEDaS1P_S1Q_EUlS1P_E_NS1_11comp_targetILNS1_3genE2ELNS1_11target_archE906ELNS1_3gpuE6ELNS1_3repE0EEENS1_30default_config_static_selectorELNS0_4arch9wavefront6targetE0EEEvS12_.uses_vcc, 0
	.set _ZN7rocprim17ROCPRIM_400000_NS6detail17trampoline_kernelINS0_13select_configILj256ELj13ELNS0_17block_load_methodE3ELS4_3ELS4_3ELNS0_20block_scan_algorithmE0ELj4294967295EEENS1_25partition_config_selectorILNS1_17partition_subalgoE4EjNS0_10empty_typeEbEEZZNS1_14partition_implILS8_4ELb0ES6_15HIP_vector_typeIjLj2EENS0_17counting_iteratorIjlEEPS9_SG_NS0_5tupleIJPjSI_NS0_16reverse_iteratorISI_EEEEENSH_IJSG_SG_SG_EEES9_SI_JZNS1_25segmented_radix_sort_implINS0_14default_configELb1EPKaPaPKlPlN2at6native12_GLOBAL__N_18offset_tEEE10hipError_tPvRmT1_PNSt15iterator_traitsIS12_E10value_typeET2_T3_PNS13_IS18_E10value_typeET4_jRbjT5_S1E_jjP12ihipStream_tbEUljE_ZNSN_ISO_Lb1ESQ_SR_ST_SU_SY_EESZ_S10_S11_S12_S16_S17_S18_S1B_S1C_jS1D_jS1E_S1E_jjS1G_bEUljE0_EEESZ_S10_S11_S18_S1C_S1E_T6_T7_T9_mT8_S1G_bDpT10_ENKUlT_T0_E_clISt17integral_constantIbLb1EES1U_EEDaS1P_S1Q_EUlS1P_E_NS1_11comp_targetILNS1_3genE2ELNS1_11target_archE906ELNS1_3gpuE6ELNS1_3repE0EEENS1_30default_config_static_selectorELNS0_4arch9wavefront6targetE0EEEvS12_.uses_flat_scratch, 0
	.set _ZN7rocprim17ROCPRIM_400000_NS6detail17trampoline_kernelINS0_13select_configILj256ELj13ELNS0_17block_load_methodE3ELS4_3ELS4_3ELNS0_20block_scan_algorithmE0ELj4294967295EEENS1_25partition_config_selectorILNS1_17partition_subalgoE4EjNS0_10empty_typeEbEEZZNS1_14partition_implILS8_4ELb0ES6_15HIP_vector_typeIjLj2EENS0_17counting_iteratorIjlEEPS9_SG_NS0_5tupleIJPjSI_NS0_16reverse_iteratorISI_EEEEENSH_IJSG_SG_SG_EEES9_SI_JZNS1_25segmented_radix_sort_implINS0_14default_configELb1EPKaPaPKlPlN2at6native12_GLOBAL__N_18offset_tEEE10hipError_tPvRmT1_PNSt15iterator_traitsIS12_E10value_typeET2_T3_PNS13_IS18_E10value_typeET4_jRbjT5_S1E_jjP12ihipStream_tbEUljE_ZNSN_ISO_Lb1ESQ_SR_ST_SU_SY_EESZ_S10_S11_S12_S16_S17_S18_S1B_S1C_jS1D_jS1E_S1E_jjS1G_bEUljE0_EEESZ_S10_S11_S18_S1C_S1E_T6_T7_T9_mT8_S1G_bDpT10_ENKUlT_T0_E_clISt17integral_constantIbLb1EES1U_EEDaS1P_S1Q_EUlS1P_E_NS1_11comp_targetILNS1_3genE2ELNS1_11target_archE906ELNS1_3gpuE6ELNS1_3repE0EEENS1_30default_config_static_selectorELNS0_4arch9wavefront6targetE0EEEvS12_.has_dyn_sized_stack, 0
	.set _ZN7rocprim17ROCPRIM_400000_NS6detail17trampoline_kernelINS0_13select_configILj256ELj13ELNS0_17block_load_methodE3ELS4_3ELS4_3ELNS0_20block_scan_algorithmE0ELj4294967295EEENS1_25partition_config_selectorILNS1_17partition_subalgoE4EjNS0_10empty_typeEbEEZZNS1_14partition_implILS8_4ELb0ES6_15HIP_vector_typeIjLj2EENS0_17counting_iteratorIjlEEPS9_SG_NS0_5tupleIJPjSI_NS0_16reverse_iteratorISI_EEEEENSH_IJSG_SG_SG_EEES9_SI_JZNS1_25segmented_radix_sort_implINS0_14default_configELb1EPKaPaPKlPlN2at6native12_GLOBAL__N_18offset_tEEE10hipError_tPvRmT1_PNSt15iterator_traitsIS12_E10value_typeET2_T3_PNS13_IS18_E10value_typeET4_jRbjT5_S1E_jjP12ihipStream_tbEUljE_ZNSN_ISO_Lb1ESQ_SR_ST_SU_SY_EESZ_S10_S11_S12_S16_S17_S18_S1B_S1C_jS1D_jS1E_S1E_jjS1G_bEUljE0_EEESZ_S10_S11_S18_S1C_S1E_T6_T7_T9_mT8_S1G_bDpT10_ENKUlT_T0_E_clISt17integral_constantIbLb1EES1U_EEDaS1P_S1Q_EUlS1P_E_NS1_11comp_targetILNS1_3genE2ELNS1_11target_archE906ELNS1_3gpuE6ELNS1_3repE0EEENS1_30default_config_static_selectorELNS0_4arch9wavefront6targetE0EEEvS12_.has_recursion, 0
	.set _ZN7rocprim17ROCPRIM_400000_NS6detail17trampoline_kernelINS0_13select_configILj256ELj13ELNS0_17block_load_methodE3ELS4_3ELS4_3ELNS0_20block_scan_algorithmE0ELj4294967295EEENS1_25partition_config_selectorILNS1_17partition_subalgoE4EjNS0_10empty_typeEbEEZZNS1_14partition_implILS8_4ELb0ES6_15HIP_vector_typeIjLj2EENS0_17counting_iteratorIjlEEPS9_SG_NS0_5tupleIJPjSI_NS0_16reverse_iteratorISI_EEEEENSH_IJSG_SG_SG_EEES9_SI_JZNS1_25segmented_radix_sort_implINS0_14default_configELb1EPKaPaPKlPlN2at6native12_GLOBAL__N_18offset_tEEE10hipError_tPvRmT1_PNSt15iterator_traitsIS12_E10value_typeET2_T3_PNS13_IS18_E10value_typeET4_jRbjT5_S1E_jjP12ihipStream_tbEUljE_ZNSN_ISO_Lb1ESQ_SR_ST_SU_SY_EESZ_S10_S11_S12_S16_S17_S18_S1B_S1C_jS1D_jS1E_S1E_jjS1G_bEUljE0_EEESZ_S10_S11_S18_S1C_S1E_T6_T7_T9_mT8_S1G_bDpT10_ENKUlT_T0_E_clISt17integral_constantIbLb1EES1U_EEDaS1P_S1Q_EUlS1P_E_NS1_11comp_targetILNS1_3genE2ELNS1_11target_archE906ELNS1_3gpuE6ELNS1_3repE0EEENS1_30default_config_static_selectorELNS0_4arch9wavefront6targetE0EEEvS12_.has_indirect_call, 0
	.section	.AMDGPU.csdata,"",@progbits
; Kernel info:
; codeLenInByte = 0
; TotalNumSgprs: 0
; NumVgprs: 0
; ScratchSize: 0
; MemoryBound: 0
; FloatMode: 240
; IeeeMode: 1
; LDSByteSize: 0 bytes/workgroup (compile time only)
; SGPRBlocks: 0
; VGPRBlocks: 0
; NumSGPRsForWavesPerEU: 1
; NumVGPRsForWavesPerEU: 1
; Occupancy: 16
; WaveLimiterHint : 0
; COMPUTE_PGM_RSRC2:SCRATCH_EN: 0
; COMPUTE_PGM_RSRC2:USER_SGPR: 2
; COMPUTE_PGM_RSRC2:TRAP_HANDLER: 0
; COMPUTE_PGM_RSRC2:TGID_X_EN: 1
; COMPUTE_PGM_RSRC2:TGID_Y_EN: 0
; COMPUTE_PGM_RSRC2:TGID_Z_EN: 0
; COMPUTE_PGM_RSRC2:TIDIG_COMP_CNT: 0
	.section	.text._ZN7rocprim17ROCPRIM_400000_NS6detail17trampoline_kernelINS0_13select_configILj256ELj13ELNS0_17block_load_methodE3ELS4_3ELS4_3ELNS0_20block_scan_algorithmE0ELj4294967295EEENS1_25partition_config_selectorILNS1_17partition_subalgoE4EjNS0_10empty_typeEbEEZZNS1_14partition_implILS8_4ELb0ES6_15HIP_vector_typeIjLj2EENS0_17counting_iteratorIjlEEPS9_SG_NS0_5tupleIJPjSI_NS0_16reverse_iteratorISI_EEEEENSH_IJSG_SG_SG_EEES9_SI_JZNS1_25segmented_radix_sort_implINS0_14default_configELb1EPKaPaPKlPlN2at6native12_GLOBAL__N_18offset_tEEE10hipError_tPvRmT1_PNSt15iterator_traitsIS12_E10value_typeET2_T3_PNS13_IS18_E10value_typeET4_jRbjT5_S1E_jjP12ihipStream_tbEUljE_ZNSN_ISO_Lb1ESQ_SR_ST_SU_SY_EESZ_S10_S11_S12_S16_S17_S18_S1B_S1C_jS1D_jS1E_S1E_jjS1G_bEUljE0_EEESZ_S10_S11_S18_S1C_S1E_T6_T7_T9_mT8_S1G_bDpT10_ENKUlT_T0_E_clISt17integral_constantIbLb1EES1U_EEDaS1P_S1Q_EUlS1P_E_NS1_11comp_targetILNS1_3genE10ELNS1_11target_archE1200ELNS1_3gpuE4ELNS1_3repE0EEENS1_30default_config_static_selectorELNS0_4arch9wavefront6targetE0EEEvS12_,"axG",@progbits,_ZN7rocprim17ROCPRIM_400000_NS6detail17trampoline_kernelINS0_13select_configILj256ELj13ELNS0_17block_load_methodE3ELS4_3ELS4_3ELNS0_20block_scan_algorithmE0ELj4294967295EEENS1_25partition_config_selectorILNS1_17partition_subalgoE4EjNS0_10empty_typeEbEEZZNS1_14partition_implILS8_4ELb0ES6_15HIP_vector_typeIjLj2EENS0_17counting_iteratorIjlEEPS9_SG_NS0_5tupleIJPjSI_NS0_16reverse_iteratorISI_EEEEENSH_IJSG_SG_SG_EEES9_SI_JZNS1_25segmented_radix_sort_implINS0_14default_configELb1EPKaPaPKlPlN2at6native12_GLOBAL__N_18offset_tEEE10hipError_tPvRmT1_PNSt15iterator_traitsIS12_E10value_typeET2_T3_PNS13_IS18_E10value_typeET4_jRbjT5_S1E_jjP12ihipStream_tbEUljE_ZNSN_ISO_Lb1ESQ_SR_ST_SU_SY_EESZ_S10_S11_S12_S16_S17_S18_S1B_S1C_jS1D_jS1E_S1E_jjS1G_bEUljE0_EEESZ_S10_S11_S18_S1C_S1E_T6_T7_T9_mT8_S1G_bDpT10_ENKUlT_T0_E_clISt17integral_constantIbLb1EES1U_EEDaS1P_S1Q_EUlS1P_E_NS1_11comp_targetILNS1_3genE10ELNS1_11target_archE1200ELNS1_3gpuE4ELNS1_3repE0EEENS1_30default_config_static_selectorELNS0_4arch9wavefront6targetE0EEEvS12_,comdat
	.globl	_ZN7rocprim17ROCPRIM_400000_NS6detail17trampoline_kernelINS0_13select_configILj256ELj13ELNS0_17block_load_methodE3ELS4_3ELS4_3ELNS0_20block_scan_algorithmE0ELj4294967295EEENS1_25partition_config_selectorILNS1_17partition_subalgoE4EjNS0_10empty_typeEbEEZZNS1_14partition_implILS8_4ELb0ES6_15HIP_vector_typeIjLj2EENS0_17counting_iteratorIjlEEPS9_SG_NS0_5tupleIJPjSI_NS0_16reverse_iteratorISI_EEEEENSH_IJSG_SG_SG_EEES9_SI_JZNS1_25segmented_radix_sort_implINS0_14default_configELb1EPKaPaPKlPlN2at6native12_GLOBAL__N_18offset_tEEE10hipError_tPvRmT1_PNSt15iterator_traitsIS12_E10value_typeET2_T3_PNS13_IS18_E10value_typeET4_jRbjT5_S1E_jjP12ihipStream_tbEUljE_ZNSN_ISO_Lb1ESQ_SR_ST_SU_SY_EESZ_S10_S11_S12_S16_S17_S18_S1B_S1C_jS1D_jS1E_S1E_jjS1G_bEUljE0_EEESZ_S10_S11_S18_S1C_S1E_T6_T7_T9_mT8_S1G_bDpT10_ENKUlT_T0_E_clISt17integral_constantIbLb1EES1U_EEDaS1P_S1Q_EUlS1P_E_NS1_11comp_targetILNS1_3genE10ELNS1_11target_archE1200ELNS1_3gpuE4ELNS1_3repE0EEENS1_30default_config_static_selectorELNS0_4arch9wavefront6targetE0EEEvS12_ ; -- Begin function _ZN7rocprim17ROCPRIM_400000_NS6detail17trampoline_kernelINS0_13select_configILj256ELj13ELNS0_17block_load_methodE3ELS4_3ELS4_3ELNS0_20block_scan_algorithmE0ELj4294967295EEENS1_25partition_config_selectorILNS1_17partition_subalgoE4EjNS0_10empty_typeEbEEZZNS1_14partition_implILS8_4ELb0ES6_15HIP_vector_typeIjLj2EENS0_17counting_iteratorIjlEEPS9_SG_NS0_5tupleIJPjSI_NS0_16reverse_iteratorISI_EEEEENSH_IJSG_SG_SG_EEES9_SI_JZNS1_25segmented_radix_sort_implINS0_14default_configELb1EPKaPaPKlPlN2at6native12_GLOBAL__N_18offset_tEEE10hipError_tPvRmT1_PNSt15iterator_traitsIS12_E10value_typeET2_T3_PNS13_IS18_E10value_typeET4_jRbjT5_S1E_jjP12ihipStream_tbEUljE_ZNSN_ISO_Lb1ESQ_SR_ST_SU_SY_EESZ_S10_S11_S12_S16_S17_S18_S1B_S1C_jS1D_jS1E_S1E_jjS1G_bEUljE0_EEESZ_S10_S11_S18_S1C_S1E_T6_T7_T9_mT8_S1G_bDpT10_ENKUlT_T0_E_clISt17integral_constantIbLb1EES1U_EEDaS1P_S1Q_EUlS1P_E_NS1_11comp_targetILNS1_3genE10ELNS1_11target_archE1200ELNS1_3gpuE4ELNS1_3repE0EEENS1_30default_config_static_selectorELNS0_4arch9wavefront6targetE0EEEvS12_
	.p2align	8
	.type	_ZN7rocprim17ROCPRIM_400000_NS6detail17trampoline_kernelINS0_13select_configILj256ELj13ELNS0_17block_load_methodE3ELS4_3ELS4_3ELNS0_20block_scan_algorithmE0ELj4294967295EEENS1_25partition_config_selectorILNS1_17partition_subalgoE4EjNS0_10empty_typeEbEEZZNS1_14partition_implILS8_4ELb0ES6_15HIP_vector_typeIjLj2EENS0_17counting_iteratorIjlEEPS9_SG_NS0_5tupleIJPjSI_NS0_16reverse_iteratorISI_EEEEENSH_IJSG_SG_SG_EEES9_SI_JZNS1_25segmented_radix_sort_implINS0_14default_configELb1EPKaPaPKlPlN2at6native12_GLOBAL__N_18offset_tEEE10hipError_tPvRmT1_PNSt15iterator_traitsIS12_E10value_typeET2_T3_PNS13_IS18_E10value_typeET4_jRbjT5_S1E_jjP12ihipStream_tbEUljE_ZNSN_ISO_Lb1ESQ_SR_ST_SU_SY_EESZ_S10_S11_S12_S16_S17_S18_S1B_S1C_jS1D_jS1E_S1E_jjS1G_bEUljE0_EEESZ_S10_S11_S18_S1C_S1E_T6_T7_T9_mT8_S1G_bDpT10_ENKUlT_T0_E_clISt17integral_constantIbLb1EES1U_EEDaS1P_S1Q_EUlS1P_E_NS1_11comp_targetILNS1_3genE10ELNS1_11target_archE1200ELNS1_3gpuE4ELNS1_3repE0EEENS1_30default_config_static_selectorELNS0_4arch9wavefront6targetE0EEEvS12_,@function
_ZN7rocprim17ROCPRIM_400000_NS6detail17trampoline_kernelINS0_13select_configILj256ELj13ELNS0_17block_load_methodE3ELS4_3ELS4_3ELNS0_20block_scan_algorithmE0ELj4294967295EEENS1_25partition_config_selectorILNS1_17partition_subalgoE4EjNS0_10empty_typeEbEEZZNS1_14partition_implILS8_4ELb0ES6_15HIP_vector_typeIjLj2EENS0_17counting_iteratorIjlEEPS9_SG_NS0_5tupleIJPjSI_NS0_16reverse_iteratorISI_EEEEENSH_IJSG_SG_SG_EEES9_SI_JZNS1_25segmented_radix_sort_implINS0_14default_configELb1EPKaPaPKlPlN2at6native12_GLOBAL__N_18offset_tEEE10hipError_tPvRmT1_PNSt15iterator_traitsIS12_E10value_typeET2_T3_PNS13_IS18_E10value_typeET4_jRbjT5_S1E_jjP12ihipStream_tbEUljE_ZNSN_ISO_Lb1ESQ_SR_ST_SU_SY_EESZ_S10_S11_S12_S16_S17_S18_S1B_S1C_jS1D_jS1E_S1E_jjS1G_bEUljE0_EEESZ_S10_S11_S18_S1C_S1E_T6_T7_T9_mT8_S1G_bDpT10_ENKUlT_T0_E_clISt17integral_constantIbLb1EES1U_EEDaS1P_S1Q_EUlS1P_E_NS1_11comp_targetILNS1_3genE10ELNS1_11target_archE1200ELNS1_3gpuE4ELNS1_3repE0EEENS1_30default_config_static_selectorELNS0_4arch9wavefront6targetE0EEEvS12_: ; @_ZN7rocprim17ROCPRIM_400000_NS6detail17trampoline_kernelINS0_13select_configILj256ELj13ELNS0_17block_load_methodE3ELS4_3ELS4_3ELNS0_20block_scan_algorithmE0ELj4294967295EEENS1_25partition_config_selectorILNS1_17partition_subalgoE4EjNS0_10empty_typeEbEEZZNS1_14partition_implILS8_4ELb0ES6_15HIP_vector_typeIjLj2EENS0_17counting_iteratorIjlEEPS9_SG_NS0_5tupleIJPjSI_NS0_16reverse_iteratorISI_EEEEENSH_IJSG_SG_SG_EEES9_SI_JZNS1_25segmented_radix_sort_implINS0_14default_configELb1EPKaPaPKlPlN2at6native12_GLOBAL__N_18offset_tEEE10hipError_tPvRmT1_PNSt15iterator_traitsIS12_E10value_typeET2_T3_PNS13_IS18_E10value_typeET4_jRbjT5_S1E_jjP12ihipStream_tbEUljE_ZNSN_ISO_Lb1ESQ_SR_ST_SU_SY_EESZ_S10_S11_S12_S16_S17_S18_S1B_S1C_jS1D_jS1E_S1E_jjS1G_bEUljE0_EEESZ_S10_S11_S18_S1C_S1E_T6_T7_T9_mT8_S1G_bDpT10_ENKUlT_T0_E_clISt17integral_constantIbLb1EES1U_EEDaS1P_S1Q_EUlS1P_E_NS1_11comp_targetILNS1_3genE10ELNS1_11target_archE1200ELNS1_3gpuE4ELNS1_3repE0EEENS1_30default_config_static_selectorELNS0_4arch9wavefront6targetE0EEEvS12_
; %bb.0:
	s_endpgm
	.section	.rodata,"a",@progbits
	.p2align	6, 0x0
	.amdhsa_kernel _ZN7rocprim17ROCPRIM_400000_NS6detail17trampoline_kernelINS0_13select_configILj256ELj13ELNS0_17block_load_methodE3ELS4_3ELS4_3ELNS0_20block_scan_algorithmE0ELj4294967295EEENS1_25partition_config_selectorILNS1_17partition_subalgoE4EjNS0_10empty_typeEbEEZZNS1_14partition_implILS8_4ELb0ES6_15HIP_vector_typeIjLj2EENS0_17counting_iteratorIjlEEPS9_SG_NS0_5tupleIJPjSI_NS0_16reverse_iteratorISI_EEEEENSH_IJSG_SG_SG_EEES9_SI_JZNS1_25segmented_radix_sort_implINS0_14default_configELb1EPKaPaPKlPlN2at6native12_GLOBAL__N_18offset_tEEE10hipError_tPvRmT1_PNSt15iterator_traitsIS12_E10value_typeET2_T3_PNS13_IS18_E10value_typeET4_jRbjT5_S1E_jjP12ihipStream_tbEUljE_ZNSN_ISO_Lb1ESQ_SR_ST_SU_SY_EESZ_S10_S11_S12_S16_S17_S18_S1B_S1C_jS1D_jS1E_S1E_jjS1G_bEUljE0_EEESZ_S10_S11_S18_S1C_S1E_T6_T7_T9_mT8_S1G_bDpT10_ENKUlT_T0_E_clISt17integral_constantIbLb1EES1U_EEDaS1P_S1Q_EUlS1P_E_NS1_11comp_targetILNS1_3genE10ELNS1_11target_archE1200ELNS1_3gpuE4ELNS1_3repE0EEENS1_30default_config_static_selectorELNS0_4arch9wavefront6targetE0EEEvS12_
		.amdhsa_group_segment_fixed_size 0
		.amdhsa_private_segment_fixed_size 0
		.amdhsa_kernarg_size 184
		.amdhsa_user_sgpr_count 2
		.amdhsa_user_sgpr_dispatch_ptr 0
		.amdhsa_user_sgpr_queue_ptr 0
		.amdhsa_user_sgpr_kernarg_segment_ptr 1
		.amdhsa_user_sgpr_dispatch_id 0
		.amdhsa_user_sgpr_private_segment_size 0
		.amdhsa_wavefront_size32 1
		.amdhsa_uses_dynamic_stack 0
		.amdhsa_enable_private_segment 0
		.amdhsa_system_sgpr_workgroup_id_x 1
		.amdhsa_system_sgpr_workgroup_id_y 0
		.amdhsa_system_sgpr_workgroup_id_z 0
		.amdhsa_system_sgpr_workgroup_info 0
		.amdhsa_system_vgpr_workitem_id 0
		.amdhsa_next_free_vgpr 1
		.amdhsa_next_free_sgpr 1
		.amdhsa_reserve_vcc 0
		.amdhsa_float_round_mode_32 0
		.amdhsa_float_round_mode_16_64 0
		.amdhsa_float_denorm_mode_32 3
		.amdhsa_float_denorm_mode_16_64 3
		.amdhsa_fp16_overflow 0
		.amdhsa_workgroup_processor_mode 1
		.amdhsa_memory_ordered 1
		.amdhsa_forward_progress 1
		.amdhsa_inst_pref_size 1
		.amdhsa_round_robin_scheduling 0
		.amdhsa_exception_fp_ieee_invalid_op 0
		.amdhsa_exception_fp_denorm_src 0
		.amdhsa_exception_fp_ieee_div_zero 0
		.amdhsa_exception_fp_ieee_overflow 0
		.amdhsa_exception_fp_ieee_underflow 0
		.amdhsa_exception_fp_ieee_inexact 0
		.amdhsa_exception_int_div_zero 0
	.end_amdhsa_kernel
	.section	.text._ZN7rocprim17ROCPRIM_400000_NS6detail17trampoline_kernelINS0_13select_configILj256ELj13ELNS0_17block_load_methodE3ELS4_3ELS4_3ELNS0_20block_scan_algorithmE0ELj4294967295EEENS1_25partition_config_selectorILNS1_17partition_subalgoE4EjNS0_10empty_typeEbEEZZNS1_14partition_implILS8_4ELb0ES6_15HIP_vector_typeIjLj2EENS0_17counting_iteratorIjlEEPS9_SG_NS0_5tupleIJPjSI_NS0_16reverse_iteratorISI_EEEEENSH_IJSG_SG_SG_EEES9_SI_JZNS1_25segmented_radix_sort_implINS0_14default_configELb1EPKaPaPKlPlN2at6native12_GLOBAL__N_18offset_tEEE10hipError_tPvRmT1_PNSt15iterator_traitsIS12_E10value_typeET2_T3_PNS13_IS18_E10value_typeET4_jRbjT5_S1E_jjP12ihipStream_tbEUljE_ZNSN_ISO_Lb1ESQ_SR_ST_SU_SY_EESZ_S10_S11_S12_S16_S17_S18_S1B_S1C_jS1D_jS1E_S1E_jjS1G_bEUljE0_EEESZ_S10_S11_S18_S1C_S1E_T6_T7_T9_mT8_S1G_bDpT10_ENKUlT_T0_E_clISt17integral_constantIbLb1EES1U_EEDaS1P_S1Q_EUlS1P_E_NS1_11comp_targetILNS1_3genE10ELNS1_11target_archE1200ELNS1_3gpuE4ELNS1_3repE0EEENS1_30default_config_static_selectorELNS0_4arch9wavefront6targetE0EEEvS12_,"axG",@progbits,_ZN7rocprim17ROCPRIM_400000_NS6detail17trampoline_kernelINS0_13select_configILj256ELj13ELNS0_17block_load_methodE3ELS4_3ELS4_3ELNS0_20block_scan_algorithmE0ELj4294967295EEENS1_25partition_config_selectorILNS1_17partition_subalgoE4EjNS0_10empty_typeEbEEZZNS1_14partition_implILS8_4ELb0ES6_15HIP_vector_typeIjLj2EENS0_17counting_iteratorIjlEEPS9_SG_NS0_5tupleIJPjSI_NS0_16reverse_iteratorISI_EEEEENSH_IJSG_SG_SG_EEES9_SI_JZNS1_25segmented_radix_sort_implINS0_14default_configELb1EPKaPaPKlPlN2at6native12_GLOBAL__N_18offset_tEEE10hipError_tPvRmT1_PNSt15iterator_traitsIS12_E10value_typeET2_T3_PNS13_IS18_E10value_typeET4_jRbjT5_S1E_jjP12ihipStream_tbEUljE_ZNSN_ISO_Lb1ESQ_SR_ST_SU_SY_EESZ_S10_S11_S12_S16_S17_S18_S1B_S1C_jS1D_jS1E_S1E_jjS1G_bEUljE0_EEESZ_S10_S11_S18_S1C_S1E_T6_T7_T9_mT8_S1G_bDpT10_ENKUlT_T0_E_clISt17integral_constantIbLb1EES1U_EEDaS1P_S1Q_EUlS1P_E_NS1_11comp_targetILNS1_3genE10ELNS1_11target_archE1200ELNS1_3gpuE4ELNS1_3repE0EEENS1_30default_config_static_selectorELNS0_4arch9wavefront6targetE0EEEvS12_,comdat
.Lfunc_end239:
	.size	_ZN7rocprim17ROCPRIM_400000_NS6detail17trampoline_kernelINS0_13select_configILj256ELj13ELNS0_17block_load_methodE3ELS4_3ELS4_3ELNS0_20block_scan_algorithmE0ELj4294967295EEENS1_25partition_config_selectorILNS1_17partition_subalgoE4EjNS0_10empty_typeEbEEZZNS1_14partition_implILS8_4ELb0ES6_15HIP_vector_typeIjLj2EENS0_17counting_iteratorIjlEEPS9_SG_NS0_5tupleIJPjSI_NS0_16reverse_iteratorISI_EEEEENSH_IJSG_SG_SG_EEES9_SI_JZNS1_25segmented_radix_sort_implINS0_14default_configELb1EPKaPaPKlPlN2at6native12_GLOBAL__N_18offset_tEEE10hipError_tPvRmT1_PNSt15iterator_traitsIS12_E10value_typeET2_T3_PNS13_IS18_E10value_typeET4_jRbjT5_S1E_jjP12ihipStream_tbEUljE_ZNSN_ISO_Lb1ESQ_SR_ST_SU_SY_EESZ_S10_S11_S12_S16_S17_S18_S1B_S1C_jS1D_jS1E_S1E_jjS1G_bEUljE0_EEESZ_S10_S11_S18_S1C_S1E_T6_T7_T9_mT8_S1G_bDpT10_ENKUlT_T0_E_clISt17integral_constantIbLb1EES1U_EEDaS1P_S1Q_EUlS1P_E_NS1_11comp_targetILNS1_3genE10ELNS1_11target_archE1200ELNS1_3gpuE4ELNS1_3repE0EEENS1_30default_config_static_selectorELNS0_4arch9wavefront6targetE0EEEvS12_, .Lfunc_end239-_ZN7rocprim17ROCPRIM_400000_NS6detail17trampoline_kernelINS0_13select_configILj256ELj13ELNS0_17block_load_methodE3ELS4_3ELS4_3ELNS0_20block_scan_algorithmE0ELj4294967295EEENS1_25partition_config_selectorILNS1_17partition_subalgoE4EjNS0_10empty_typeEbEEZZNS1_14partition_implILS8_4ELb0ES6_15HIP_vector_typeIjLj2EENS0_17counting_iteratorIjlEEPS9_SG_NS0_5tupleIJPjSI_NS0_16reverse_iteratorISI_EEEEENSH_IJSG_SG_SG_EEES9_SI_JZNS1_25segmented_radix_sort_implINS0_14default_configELb1EPKaPaPKlPlN2at6native12_GLOBAL__N_18offset_tEEE10hipError_tPvRmT1_PNSt15iterator_traitsIS12_E10value_typeET2_T3_PNS13_IS18_E10value_typeET4_jRbjT5_S1E_jjP12ihipStream_tbEUljE_ZNSN_ISO_Lb1ESQ_SR_ST_SU_SY_EESZ_S10_S11_S12_S16_S17_S18_S1B_S1C_jS1D_jS1E_S1E_jjS1G_bEUljE0_EEESZ_S10_S11_S18_S1C_S1E_T6_T7_T9_mT8_S1G_bDpT10_ENKUlT_T0_E_clISt17integral_constantIbLb1EES1U_EEDaS1P_S1Q_EUlS1P_E_NS1_11comp_targetILNS1_3genE10ELNS1_11target_archE1200ELNS1_3gpuE4ELNS1_3repE0EEENS1_30default_config_static_selectorELNS0_4arch9wavefront6targetE0EEEvS12_
                                        ; -- End function
	.set _ZN7rocprim17ROCPRIM_400000_NS6detail17trampoline_kernelINS0_13select_configILj256ELj13ELNS0_17block_load_methodE3ELS4_3ELS4_3ELNS0_20block_scan_algorithmE0ELj4294967295EEENS1_25partition_config_selectorILNS1_17partition_subalgoE4EjNS0_10empty_typeEbEEZZNS1_14partition_implILS8_4ELb0ES6_15HIP_vector_typeIjLj2EENS0_17counting_iteratorIjlEEPS9_SG_NS0_5tupleIJPjSI_NS0_16reverse_iteratorISI_EEEEENSH_IJSG_SG_SG_EEES9_SI_JZNS1_25segmented_radix_sort_implINS0_14default_configELb1EPKaPaPKlPlN2at6native12_GLOBAL__N_18offset_tEEE10hipError_tPvRmT1_PNSt15iterator_traitsIS12_E10value_typeET2_T3_PNS13_IS18_E10value_typeET4_jRbjT5_S1E_jjP12ihipStream_tbEUljE_ZNSN_ISO_Lb1ESQ_SR_ST_SU_SY_EESZ_S10_S11_S12_S16_S17_S18_S1B_S1C_jS1D_jS1E_S1E_jjS1G_bEUljE0_EEESZ_S10_S11_S18_S1C_S1E_T6_T7_T9_mT8_S1G_bDpT10_ENKUlT_T0_E_clISt17integral_constantIbLb1EES1U_EEDaS1P_S1Q_EUlS1P_E_NS1_11comp_targetILNS1_3genE10ELNS1_11target_archE1200ELNS1_3gpuE4ELNS1_3repE0EEENS1_30default_config_static_selectorELNS0_4arch9wavefront6targetE0EEEvS12_.num_vgpr, 0
	.set _ZN7rocprim17ROCPRIM_400000_NS6detail17trampoline_kernelINS0_13select_configILj256ELj13ELNS0_17block_load_methodE3ELS4_3ELS4_3ELNS0_20block_scan_algorithmE0ELj4294967295EEENS1_25partition_config_selectorILNS1_17partition_subalgoE4EjNS0_10empty_typeEbEEZZNS1_14partition_implILS8_4ELb0ES6_15HIP_vector_typeIjLj2EENS0_17counting_iteratorIjlEEPS9_SG_NS0_5tupleIJPjSI_NS0_16reverse_iteratorISI_EEEEENSH_IJSG_SG_SG_EEES9_SI_JZNS1_25segmented_radix_sort_implINS0_14default_configELb1EPKaPaPKlPlN2at6native12_GLOBAL__N_18offset_tEEE10hipError_tPvRmT1_PNSt15iterator_traitsIS12_E10value_typeET2_T3_PNS13_IS18_E10value_typeET4_jRbjT5_S1E_jjP12ihipStream_tbEUljE_ZNSN_ISO_Lb1ESQ_SR_ST_SU_SY_EESZ_S10_S11_S12_S16_S17_S18_S1B_S1C_jS1D_jS1E_S1E_jjS1G_bEUljE0_EEESZ_S10_S11_S18_S1C_S1E_T6_T7_T9_mT8_S1G_bDpT10_ENKUlT_T0_E_clISt17integral_constantIbLb1EES1U_EEDaS1P_S1Q_EUlS1P_E_NS1_11comp_targetILNS1_3genE10ELNS1_11target_archE1200ELNS1_3gpuE4ELNS1_3repE0EEENS1_30default_config_static_selectorELNS0_4arch9wavefront6targetE0EEEvS12_.num_agpr, 0
	.set _ZN7rocprim17ROCPRIM_400000_NS6detail17trampoline_kernelINS0_13select_configILj256ELj13ELNS0_17block_load_methodE3ELS4_3ELS4_3ELNS0_20block_scan_algorithmE0ELj4294967295EEENS1_25partition_config_selectorILNS1_17partition_subalgoE4EjNS0_10empty_typeEbEEZZNS1_14partition_implILS8_4ELb0ES6_15HIP_vector_typeIjLj2EENS0_17counting_iteratorIjlEEPS9_SG_NS0_5tupleIJPjSI_NS0_16reverse_iteratorISI_EEEEENSH_IJSG_SG_SG_EEES9_SI_JZNS1_25segmented_radix_sort_implINS0_14default_configELb1EPKaPaPKlPlN2at6native12_GLOBAL__N_18offset_tEEE10hipError_tPvRmT1_PNSt15iterator_traitsIS12_E10value_typeET2_T3_PNS13_IS18_E10value_typeET4_jRbjT5_S1E_jjP12ihipStream_tbEUljE_ZNSN_ISO_Lb1ESQ_SR_ST_SU_SY_EESZ_S10_S11_S12_S16_S17_S18_S1B_S1C_jS1D_jS1E_S1E_jjS1G_bEUljE0_EEESZ_S10_S11_S18_S1C_S1E_T6_T7_T9_mT8_S1G_bDpT10_ENKUlT_T0_E_clISt17integral_constantIbLb1EES1U_EEDaS1P_S1Q_EUlS1P_E_NS1_11comp_targetILNS1_3genE10ELNS1_11target_archE1200ELNS1_3gpuE4ELNS1_3repE0EEENS1_30default_config_static_selectorELNS0_4arch9wavefront6targetE0EEEvS12_.numbered_sgpr, 0
	.set _ZN7rocprim17ROCPRIM_400000_NS6detail17trampoline_kernelINS0_13select_configILj256ELj13ELNS0_17block_load_methodE3ELS4_3ELS4_3ELNS0_20block_scan_algorithmE0ELj4294967295EEENS1_25partition_config_selectorILNS1_17partition_subalgoE4EjNS0_10empty_typeEbEEZZNS1_14partition_implILS8_4ELb0ES6_15HIP_vector_typeIjLj2EENS0_17counting_iteratorIjlEEPS9_SG_NS0_5tupleIJPjSI_NS0_16reverse_iteratorISI_EEEEENSH_IJSG_SG_SG_EEES9_SI_JZNS1_25segmented_radix_sort_implINS0_14default_configELb1EPKaPaPKlPlN2at6native12_GLOBAL__N_18offset_tEEE10hipError_tPvRmT1_PNSt15iterator_traitsIS12_E10value_typeET2_T3_PNS13_IS18_E10value_typeET4_jRbjT5_S1E_jjP12ihipStream_tbEUljE_ZNSN_ISO_Lb1ESQ_SR_ST_SU_SY_EESZ_S10_S11_S12_S16_S17_S18_S1B_S1C_jS1D_jS1E_S1E_jjS1G_bEUljE0_EEESZ_S10_S11_S18_S1C_S1E_T6_T7_T9_mT8_S1G_bDpT10_ENKUlT_T0_E_clISt17integral_constantIbLb1EES1U_EEDaS1P_S1Q_EUlS1P_E_NS1_11comp_targetILNS1_3genE10ELNS1_11target_archE1200ELNS1_3gpuE4ELNS1_3repE0EEENS1_30default_config_static_selectorELNS0_4arch9wavefront6targetE0EEEvS12_.num_named_barrier, 0
	.set _ZN7rocprim17ROCPRIM_400000_NS6detail17trampoline_kernelINS0_13select_configILj256ELj13ELNS0_17block_load_methodE3ELS4_3ELS4_3ELNS0_20block_scan_algorithmE0ELj4294967295EEENS1_25partition_config_selectorILNS1_17partition_subalgoE4EjNS0_10empty_typeEbEEZZNS1_14partition_implILS8_4ELb0ES6_15HIP_vector_typeIjLj2EENS0_17counting_iteratorIjlEEPS9_SG_NS0_5tupleIJPjSI_NS0_16reverse_iteratorISI_EEEEENSH_IJSG_SG_SG_EEES9_SI_JZNS1_25segmented_radix_sort_implINS0_14default_configELb1EPKaPaPKlPlN2at6native12_GLOBAL__N_18offset_tEEE10hipError_tPvRmT1_PNSt15iterator_traitsIS12_E10value_typeET2_T3_PNS13_IS18_E10value_typeET4_jRbjT5_S1E_jjP12ihipStream_tbEUljE_ZNSN_ISO_Lb1ESQ_SR_ST_SU_SY_EESZ_S10_S11_S12_S16_S17_S18_S1B_S1C_jS1D_jS1E_S1E_jjS1G_bEUljE0_EEESZ_S10_S11_S18_S1C_S1E_T6_T7_T9_mT8_S1G_bDpT10_ENKUlT_T0_E_clISt17integral_constantIbLb1EES1U_EEDaS1P_S1Q_EUlS1P_E_NS1_11comp_targetILNS1_3genE10ELNS1_11target_archE1200ELNS1_3gpuE4ELNS1_3repE0EEENS1_30default_config_static_selectorELNS0_4arch9wavefront6targetE0EEEvS12_.private_seg_size, 0
	.set _ZN7rocprim17ROCPRIM_400000_NS6detail17trampoline_kernelINS0_13select_configILj256ELj13ELNS0_17block_load_methodE3ELS4_3ELS4_3ELNS0_20block_scan_algorithmE0ELj4294967295EEENS1_25partition_config_selectorILNS1_17partition_subalgoE4EjNS0_10empty_typeEbEEZZNS1_14partition_implILS8_4ELb0ES6_15HIP_vector_typeIjLj2EENS0_17counting_iteratorIjlEEPS9_SG_NS0_5tupleIJPjSI_NS0_16reverse_iteratorISI_EEEEENSH_IJSG_SG_SG_EEES9_SI_JZNS1_25segmented_radix_sort_implINS0_14default_configELb1EPKaPaPKlPlN2at6native12_GLOBAL__N_18offset_tEEE10hipError_tPvRmT1_PNSt15iterator_traitsIS12_E10value_typeET2_T3_PNS13_IS18_E10value_typeET4_jRbjT5_S1E_jjP12ihipStream_tbEUljE_ZNSN_ISO_Lb1ESQ_SR_ST_SU_SY_EESZ_S10_S11_S12_S16_S17_S18_S1B_S1C_jS1D_jS1E_S1E_jjS1G_bEUljE0_EEESZ_S10_S11_S18_S1C_S1E_T6_T7_T9_mT8_S1G_bDpT10_ENKUlT_T0_E_clISt17integral_constantIbLb1EES1U_EEDaS1P_S1Q_EUlS1P_E_NS1_11comp_targetILNS1_3genE10ELNS1_11target_archE1200ELNS1_3gpuE4ELNS1_3repE0EEENS1_30default_config_static_selectorELNS0_4arch9wavefront6targetE0EEEvS12_.uses_vcc, 0
	.set _ZN7rocprim17ROCPRIM_400000_NS6detail17trampoline_kernelINS0_13select_configILj256ELj13ELNS0_17block_load_methodE3ELS4_3ELS4_3ELNS0_20block_scan_algorithmE0ELj4294967295EEENS1_25partition_config_selectorILNS1_17partition_subalgoE4EjNS0_10empty_typeEbEEZZNS1_14partition_implILS8_4ELb0ES6_15HIP_vector_typeIjLj2EENS0_17counting_iteratorIjlEEPS9_SG_NS0_5tupleIJPjSI_NS0_16reverse_iteratorISI_EEEEENSH_IJSG_SG_SG_EEES9_SI_JZNS1_25segmented_radix_sort_implINS0_14default_configELb1EPKaPaPKlPlN2at6native12_GLOBAL__N_18offset_tEEE10hipError_tPvRmT1_PNSt15iterator_traitsIS12_E10value_typeET2_T3_PNS13_IS18_E10value_typeET4_jRbjT5_S1E_jjP12ihipStream_tbEUljE_ZNSN_ISO_Lb1ESQ_SR_ST_SU_SY_EESZ_S10_S11_S12_S16_S17_S18_S1B_S1C_jS1D_jS1E_S1E_jjS1G_bEUljE0_EEESZ_S10_S11_S18_S1C_S1E_T6_T7_T9_mT8_S1G_bDpT10_ENKUlT_T0_E_clISt17integral_constantIbLb1EES1U_EEDaS1P_S1Q_EUlS1P_E_NS1_11comp_targetILNS1_3genE10ELNS1_11target_archE1200ELNS1_3gpuE4ELNS1_3repE0EEENS1_30default_config_static_selectorELNS0_4arch9wavefront6targetE0EEEvS12_.uses_flat_scratch, 0
	.set _ZN7rocprim17ROCPRIM_400000_NS6detail17trampoline_kernelINS0_13select_configILj256ELj13ELNS0_17block_load_methodE3ELS4_3ELS4_3ELNS0_20block_scan_algorithmE0ELj4294967295EEENS1_25partition_config_selectorILNS1_17partition_subalgoE4EjNS0_10empty_typeEbEEZZNS1_14partition_implILS8_4ELb0ES6_15HIP_vector_typeIjLj2EENS0_17counting_iteratorIjlEEPS9_SG_NS0_5tupleIJPjSI_NS0_16reverse_iteratorISI_EEEEENSH_IJSG_SG_SG_EEES9_SI_JZNS1_25segmented_radix_sort_implINS0_14default_configELb1EPKaPaPKlPlN2at6native12_GLOBAL__N_18offset_tEEE10hipError_tPvRmT1_PNSt15iterator_traitsIS12_E10value_typeET2_T3_PNS13_IS18_E10value_typeET4_jRbjT5_S1E_jjP12ihipStream_tbEUljE_ZNSN_ISO_Lb1ESQ_SR_ST_SU_SY_EESZ_S10_S11_S12_S16_S17_S18_S1B_S1C_jS1D_jS1E_S1E_jjS1G_bEUljE0_EEESZ_S10_S11_S18_S1C_S1E_T6_T7_T9_mT8_S1G_bDpT10_ENKUlT_T0_E_clISt17integral_constantIbLb1EES1U_EEDaS1P_S1Q_EUlS1P_E_NS1_11comp_targetILNS1_3genE10ELNS1_11target_archE1200ELNS1_3gpuE4ELNS1_3repE0EEENS1_30default_config_static_selectorELNS0_4arch9wavefront6targetE0EEEvS12_.has_dyn_sized_stack, 0
	.set _ZN7rocprim17ROCPRIM_400000_NS6detail17trampoline_kernelINS0_13select_configILj256ELj13ELNS0_17block_load_methodE3ELS4_3ELS4_3ELNS0_20block_scan_algorithmE0ELj4294967295EEENS1_25partition_config_selectorILNS1_17partition_subalgoE4EjNS0_10empty_typeEbEEZZNS1_14partition_implILS8_4ELb0ES6_15HIP_vector_typeIjLj2EENS0_17counting_iteratorIjlEEPS9_SG_NS0_5tupleIJPjSI_NS0_16reverse_iteratorISI_EEEEENSH_IJSG_SG_SG_EEES9_SI_JZNS1_25segmented_radix_sort_implINS0_14default_configELb1EPKaPaPKlPlN2at6native12_GLOBAL__N_18offset_tEEE10hipError_tPvRmT1_PNSt15iterator_traitsIS12_E10value_typeET2_T3_PNS13_IS18_E10value_typeET4_jRbjT5_S1E_jjP12ihipStream_tbEUljE_ZNSN_ISO_Lb1ESQ_SR_ST_SU_SY_EESZ_S10_S11_S12_S16_S17_S18_S1B_S1C_jS1D_jS1E_S1E_jjS1G_bEUljE0_EEESZ_S10_S11_S18_S1C_S1E_T6_T7_T9_mT8_S1G_bDpT10_ENKUlT_T0_E_clISt17integral_constantIbLb1EES1U_EEDaS1P_S1Q_EUlS1P_E_NS1_11comp_targetILNS1_3genE10ELNS1_11target_archE1200ELNS1_3gpuE4ELNS1_3repE0EEENS1_30default_config_static_selectorELNS0_4arch9wavefront6targetE0EEEvS12_.has_recursion, 0
	.set _ZN7rocprim17ROCPRIM_400000_NS6detail17trampoline_kernelINS0_13select_configILj256ELj13ELNS0_17block_load_methodE3ELS4_3ELS4_3ELNS0_20block_scan_algorithmE0ELj4294967295EEENS1_25partition_config_selectorILNS1_17partition_subalgoE4EjNS0_10empty_typeEbEEZZNS1_14partition_implILS8_4ELb0ES6_15HIP_vector_typeIjLj2EENS0_17counting_iteratorIjlEEPS9_SG_NS0_5tupleIJPjSI_NS0_16reverse_iteratorISI_EEEEENSH_IJSG_SG_SG_EEES9_SI_JZNS1_25segmented_radix_sort_implINS0_14default_configELb1EPKaPaPKlPlN2at6native12_GLOBAL__N_18offset_tEEE10hipError_tPvRmT1_PNSt15iterator_traitsIS12_E10value_typeET2_T3_PNS13_IS18_E10value_typeET4_jRbjT5_S1E_jjP12ihipStream_tbEUljE_ZNSN_ISO_Lb1ESQ_SR_ST_SU_SY_EESZ_S10_S11_S12_S16_S17_S18_S1B_S1C_jS1D_jS1E_S1E_jjS1G_bEUljE0_EEESZ_S10_S11_S18_S1C_S1E_T6_T7_T9_mT8_S1G_bDpT10_ENKUlT_T0_E_clISt17integral_constantIbLb1EES1U_EEDaS1P_S1Q_EUlS1P_E_NS1_11comp_targetILNS1_3genE10ELNS1_11target_archE1200ELNS1_3gpuE4ELNS1_3repE0EEENS1_30default_config_static_selectorELNS0_4arch9wavefront6targetE0EEEvS12_.has_indirect_call, 0
	.section	.AMDGPU.csdata,"",@progbits
; Kernel info:
; codeLenInByte = 4
; TotalNumSgprs: 0
; NumVgprs: 0
; ScratchSize: 0
; MemoryBound: 0
; FloatMode: 240
; IeeeMode: 1
; LDSByteSize: 0 bytes/workgroup (compile time only)
; SGPRBlocks: 0
; VGPRBlocks: 0
; NumSGPRsForWavesPerEU: 1
; NumVGPRsForWavesPerEU: 1
; Occupancy: 16
; WaveLimiterHint : 0
; COMPUTE_PGM_RSRC2:SCRATCH_EN: 0
; COMPUTE_PGM_RSRC2:USER_SGPR: 2
; COMPUTE_PGM_RSRC2:TRAP_HANDLER: 0
; COMPUTE_PGM_RSRC2:TGID_X_EN: 1
; COMPUTE_PGM_RSRC2:TGID_Y_EN: 0
; COMPUTE_PGM_RSRC2:TGID_Z_EN: 0
; COMPUTE_PGM_RSRC2:TIDIG_COMP_CNT: 0
	.section	.text._ZN7rocprim17ROCPRIM_400000_NS6detail17trampoline_kernelINS0_13select_configILj256ELj13ELNS0_17block_load_methodE3ELS4_3ELS4_3ELNS0_20block_scan_algorithmE0ELj4294967295EEENS1_25partition_config_selectorILNS1_17partition_subalgoE4EjNS0_10empty_typeEbEEZZNS1_14partition_implILS8_4ELb0ES6_15HIP_vector_typeIjLj2EENS0_17counting_iteratorIjlEEPS9_SG_NS0_5tupleIJPjSI_NS0_16reverse_iteratorISI_EEEEENSH_IJSG_SG_SG_EEES9_SI_JZNS1_25segmented_radix_sort_implINS0_14default_configELb1EPKaPaPKlPlN2at6native12_GLOBAL__N_18offset_tEEE10hipError_tPvRmT1_PNSt15iterator_traitsIS12_E10value_typeET2_T3_PNS13_IS18_E10value_typeET4_jRbjT5_S1E_jjP12ihipStream_tbEUljE_ZNSN_ISO_Lb1ESQ_SR_ST_SU_SY_EESZ_S10_S11_S12_S16_S17_S18_S1B_S1C_jS1D_jS1E_S1E_jjS1G_bEUljE0_EEESZ_S10_S11_S18_S1C_S1E_T6_T7_T9_mT8_S1G_bDpT10_ENKUlT_T0_E_clISt17integral_constantIbLb1EES1U_EEDaS1P_S1Q_EUlS1P_E_NS1_11comp_targetILNS1_3genE9ELNS1_11target_archE1100ELNS1_3gpuE3ELNS1_3repE0EEENS1_30default_config_static_selectorELNS0_4arch9wavefront6targetE0EEEvS12_,"axG",@progbits,_ZN7rocprim17ROCPRIM_400000_NS6detail17trampoline_kernelINS0_13select_configILj256ELj13ELNS0_17block_load_methodE3ELS4_3ELS4_3ELNS0_20block_scan_algorithmE0ELj4294967295EEENS1_25partition_config_selectorILNS1_17partition_subalgoE4EjNS0_10empty_typeEbEEZZNS1_14partition_implILS8_4ELb0ES6_15HIP_vector_typeIjLj2EENS0_17counting_iteratorIjlEEPS9_SG_NS0_5tupleIJPjSI_NS0_16reverse_iteratorISI_EEEEENSH_IJSG_SG_SG_EEES9_SI_JZNS1_25segmented_radix_sort_implINS0_14default_configELb1EPKaPaPKlPlN2at6native12_GLOBAL__N_18offset_tEEE10hipError_tPvRmT1_PNSt15iterator_traitsIS12_E10value_typeET2_T3_PNS13_IS18_E10value_typeET4_jRbjT5_S1E_jjP12ihipStream_tbEUljE_ZNSN_ISO_Lb1ESQ_SR_ST_SU_SY_EESZ_S10_S11_S12_S16_S17_S18_S1B_S1C_jS1D_jS1E_S1E_jjS1G_bEUljE0_EEESZ_S10_S11_S18_S1C_S1E_T6_T7_T9_mT8_S1G_bDpT10_ENKUlT_T0_E_clISt17integral_constantIbLb1EES1U_EEDaS1P_S1Q_EUlS1P_E_NS1_11comp_targetILNS1_3genE9ELNS1_11target_archE1100ELNS1_3gpuE3ELNS1_3repE0EEENS1_30default_config_static_selectorELNS0_4arch9wavefront6targetE0EEEvS12_,comdat
	.globl	_ZN7rocprim17ROCPRIM_400000_NS6detail17trampoline_kernelINS0_13select_configILj256ELj13ELNS0_17block_load_methodE3ELS4_3ELS4_3ELNS0_20block_scan_algorithmE0ELj4294967295EEENS1_25partition_config_selectorILNS1_17partition_subalgoE4EjNS0_10empty_typeEbEEZZNS1_14partition_implILS8_4ELb0ES6_15HIP_vector_typeIjLj2EENS0_17counting_iteratorIjlEEPS9_SG_NS0_5tupleIJPjSI_NS0_16reverse_iteratorISI_EEEEENSH_IJSG_SG_SG_EEES9_SI_JZNS1_25segmented_radix_sort_implINS0_14default_configELb1EPKaPaPKlPlN2at6native12_GLOBAL__N_18offset_tEEE10hipError_tPvRmT1_PNSt15iterator_traitsIS12_E10value_typeET2_T3_PNS13_IS18_E10value_typeET4_jRbjT5_S1E_jjP12ihipStream_tbEUljE_ZNSN_ISO_Lb1ESQ_SR_ST_SU_SY_EESZ_S10_S11_S12_S16_S17_S18_S1B_S1C_jS1D_jS1E_S1E_jjS1G_bEUljE0_EEESZ_S10_S11_S18_S1C_S1E_T6_T7_T9_mT8_S1G_bDpT10_ENKUlT_T0_E_clISt17integral_constantIbLb1EES1U_EEDaS1P_S1Q_EUlS1P_E_NS1_11comp_targetILNS1_3genE9ELNS1_11target_archE1100ELNS1_3gpuE3ELNS1_3repE0EEENS1_30default_config_static_selectorELNS0_4arch9wavefront6targetE0EEEvS12_ ; -- Begin function _ZN7rocprim17ROCPRIM_400000_NS6detail17trampoline_kernelINS0_13select_configILj256ELj13ELNS0_17block_load_methodE3ELS4_3ELS4_3ELNS0_20block_scan_algorithmE0ELj4294967295EEENS1_25partition_config_selectorILNS1_17partition_subalgoE4EjNS0_10empty_typeEbEEZZNS1_14partition_implILS8_4ELb0ES6_15HIP_vector_typeIjLj2EENS0_17counting_iteratorIjlEEPS9_SG_NS0_5tupleIJPjSI_NS0_16reverse_iteratorISI_EEEEENSH_IJSG_SG_SG_EEES9_SI_JZNS1_25segmented_radix_sort_implINS0_14default_configELb1EPKaPaPKlPlN2at6native12_GLOBAL__N_18offset_tEEE10hipError_tPvRmT1_PNSt15iterator_traitsIS12_E10value_typeET2_T3_PNS13_IS18_E10value_typeET4_jRbjT5_S1E_jjP12ihipStream_tbEUljE_ZNSN_ISO_Lb1ESQ_SR_ST_SU_SY_EESZ_S10_S11_S12_S16_S17_S18_S1B_S1C_jS1D_jS1E_S1E_jjS1G_bEUljE0_EEESZ_S10_S11_S18_S1C_S1E_T6_T7_T9_mT8_S1G_bDpT10_ENKUlT_T0_E_clISt17integral_constantIbLb1EES1U_EEDaS1P_S1Q_EUlS1P_E_NS1_11comp_targetILNS1_3genE9ELNS1_11target_archE1100ELNS1_3gpuE3ELNS1_3repE0EEENS1_30default_config_static_selectorELNS0_4arch9wavefront6targetE0EEEvS12_
	.p2align	8
	.type	_ZN7rocprim17ROCPRIM_400000_NS6detail17trampoline_kernelINS0_13select_configILj256ELj13ELNS0_17block_load_methodE3ELS4_3ELS4_3ELNS0_20block_scan_algorithmE0ELj4294967295EEENS1_25partition_config_selectorILNS1_17partition_subalgoE4EjNS0_10empty_typeEbEEZZNS1_14partition_implILS8_4ELb0ES6_15HIP_vector_typeIjLj2EENS0_17counting_iteratorIjlEEPS9_SG_NS0_5tupleIJPjSI_NS0_16reverse_iteratorISI_EEEEENSH_IJSG_SG_SG_EEES9_SI_JZNS1_25segmented_radix_sort_implINS0_14default_configELb1EPKaPaPKlPlN2at6native12_GLOBAL__N_18offset_tEEE10hipError_tPvRmT1_PNSt15iterator_traitsIS12_E10value_typeET2_T3_PNS13_IS18_E10value_typeET4_jRbjT5_S1E_jjP12ihipStream_tbEUljE_ZNSN_ISO_Lb1ESQ_SR_ST_SU_SY_EESZ_S10_S11_S12_S16_S17_S18_S1B_S1C_jS1D_jS1E_S1E_jjS1G_bEUljE0_EEESZ_S10_S11_S18_S1C_S1E_T6_T7_T9_mT8_S1G_bDpT10_ENKUlT_T0_E_clISt17integral_constantIbLb1EES1U_EEDaS1P_S1Q_EUlS1P_E_NS1_11comp_targetILNS1_3genE9ELNS1_11target_archE1100ELNS1_3gpuE3ELNS1_3repE0EEENS1_30default_config_static_selectorELNS0_4arch9wavefront6targetE0EEEvS12_,@function
_ZN7rocprim17ROCPRIM_400000_NS6detail17trampoline_kernelINS0_13select_configILj256ELj13ELNS0_17block_load_methodE3ELS4_3ELS4_3ELNS0_20block_scan_algorithmE0ELj4294967295EEENS1_25partition_config_selectorILNS1_17partition_subalgoE4EjNS0_10empty_typeEbEEZZNS1_14partition_implILS8_4ELb0ES6_15HIP_vector_typeIjLj2EENS0_17counting_iteratorIjlEEPS9_SG_NS0_5tupleIJPjSI_NS0_16reverse_iteratorISI_EEEEENSH_IJSG_SG_SG_EEES9_SI_JZNS1_25segmented_radix_sort_implINS0_14default_configELb1EPKaPaPKlPlN2at6native12_GLOBAL__N_18offset_tEEE10hipError_tPvRmT1_PNSt15iterator_traitsIS12_E10value_typeET2_T3_PNS13_IS18_E10value_typeET4_jRbjT5_S1E_jjP12ihipStream_tbEUljE_ZNSN_ISO_Lb1ESQ_SR_ST_SU_SY_EESZ_S10_S11_S12_S16_S17_S18_S1B_S1C_jS1D_jS1E_S1E_jjS1G_bEUljE0_EEESZ_S10_S11_S18_S1C_S1E_T6_T7_T9_mT8_S1G_bDpT10_ENKUlT_T0_E_clISt17integral_constantIbLb1EES1U_EEDaS1P_S1Q_EUlS1P_E_NS1_11comp_targetILNS1_3genE9ELNS1_11target_archE1100ELNS1_3gpuE3ELNS1_3repE0EEENS1_30default_config_static_selectorELNS0_4arch9wavefront6targetE0EEEvS12_: ; @_ZN7rocprim17ROCPRIM_400000_NS6detail17trampoline_kernelINS0_13select_configILj256ELj13ELNS0_17block_load_methodE3ELS4_3ELS4_3ELNS0_20block_scan_algorithmE0ELj4294967295EEENS1_25partition_config_selectorILNS1_17partition_subalgoE4EjNS0_10empty_typeEbEEZZNS1_14partition_implILS8_4ELb0ES6_15HIP_vector_typeIjLj2EENS0_17counting_iteratorIjlEEPS9_SG_NS0_5tupleIJPjSI_NS0_16reverse_iteratorISI_EEEEENSH_IJSG_SG_SG_EEES9_SI_JZNS1_25segmented_radix_sort_implINS0_14default_configELb1EPKaPaPKlPlN2at6native12_GLOBAL__N_18offset_tEEE10hipError_tPvRmT1_PNSt15iterator_traitsIS12_E10value_typeET2_T3_PNS13_IS18_E10value_typeET4_jRbjT5_S1E_jjP12ihipStream_tbEUljE_ZNSN_ISO_Lb1ESQ_SR_ST_SU_SY_EESZ_S10_S11_S12_S16_S17_S18_S1B_S1C_jS1D_jS1E_S1E_jjS1G_bEUljE0_EEESZ_S10_S11_S18_S1C_S1E_T6_T7_T9_mT8_S1G_bDpT10_ENKUlT_T0_E_clISt17integral_constantIbLb1EES1U_EEDaS1P_S1Q_EUlS1P_E_NS1_11comp_targetILNS1_3genE9ELNS1_11target_archE1100ELNS1_3gpuE3ELNS1_3repE0EEENS1_30default_config_static_selectorELNS0_4arch9wavefront6targetE0EEEvS12_
; %bb.0:
	.section	.rodata,"a",@progbits
	.p2align	6, 0x0
	.amdhsa_kernel _ZN7rocprim17ROCPRIM_400000_NS6detail17trampoline_kernelINS0_13select_configILj256ELj13ELNS0_17block_load_methodE3ELS4_3ELS4_3ELNS0_20block_scan_algorithmE0ELj4294967295EEENS1_25partition_config_selectorILNS1_17partition_subalgoE4EjNS0_10empty_typeEbEEZZNS1_14partition_implILS8_4ELb0ES6_15HIP_vector_typeIjLj2EENS0_17counting_iteratorIjlEEPS9_SG_NS0_5tupleIJPjSI_NS0_16reverse_iteratorISI_EEEEENSH_IJSG_SG_SG_EEES9_SI_JZNS1_25segmented_radix_sort_implINS0_14default_configELb1EPKaPaPKlPlN2at6native12_GLOBAL__N_18offset_tEEE10hipError_tPvRmT1_PNSt15iterator_traitsIS12_E10value_typeET2_T3_PNS13_IS18_E10value_typeET4_jRbjT5_S1E_jjP12ihipStream_tbEUljE_ZNSN_ISO_Lb1ESQ_SR_ST_SU_SY_EESZ_S10_S11_S12_S16_S17_S18_S1B_S1C_jS1D_jS1E_S1E_jjS1G_bEUljE0_EEESZ_S10_S11_S18_S1C_S1E_T6_T7_T9_mT8_S1G_bDpT10_ENKUlT_T0_E_clISt17integral_constantIbLb1EES1U_EEDaS1P_S1Q_EUlS1P_E_NS1_11comp_targetILNS1_3genE9ELNS1_11target_archE1100ELNS1_3gpuE3ELNS1_3repE0EEENS1_30default_config_static_selectorELNS0_4arch9wavefront6targetE0EEEvS12_
		.amdhsa_group_segment_fixed_size 0
		.amdhsa_private_segment_fixed_size 0
		.amdhsa_kernarg_size 184
		.amdhsa_user_sgpr_count 2
		.amdhsa_user_sgpr_dispatch_ptr 0
		.amdhsa_user_sgpr_queue_ptr 0
		.amdhsa_user_sgpr_kernarg_segment_ptr 1
		.amdhsa_user_sgpr_dispatch_id 0
		.amdhsa_user_sgpr_private_segment_size 0
		.amdhsa_wavefront_size32 1
		.amdhsa_uses_dynamic_stack 0
		.amdhsa_enable_private_segment 0
		.amdhsa_system_sgpr_workgroup_id_x 1
		.amdhsa_system_sgpr_workgroup_id_y 0
		.amdhsa_system_sgpr_workgroup_id_z 0
		.amdhsa_system_sgpr_workgroup_info 0
		.amdhsa_system_vgpr_workitem_id 0
		.amdhsa_next_free_vgpr 1
		.amdhsa_next_free_sgpr 1
		.amdhsa_reserve_vcc 0
		.amdhsa_float_round_mode_32 0
		.amdhsa_float_round_mode_16_64 0
		.amdhsa_float_denorm_mode_32 3
		.amdhsa_float_denorm_mode_16_64 3
		.amdhsa_fp16_overflow 0
		.amdhsa_workgroup_processor_mode 1
		.amdhsa_memory_ordered 1
		.amdhsa_forward_progress 1
		.amdhsa_inst_pref_size 0
		.amdhsa_round_robin_scheduling 0
		.amdhsa_exception_fp_ieee_invalid_op 0
		.amdhsa_exception_fp_denorm_src 0
		.amdhsa_exception_fp_ieee_div_zero 0
		.amdhsa_exception_fp_ieee_overflow 0
		.amdhsa_exception_fp_ieee_underflow 0
		.amdhsa_exception_fp_ieee_inexact 0
		.amdhsa_exception_int_div_zero 0
	.end_amdhsa_kernel
	.section	.text._ZN7rocprim17ROCPRIM_400000_NS6detail17trampoline_kernelINS0_13select_configILj256ELj13ELNS0_17block_load_methodE3ELS4_3ELS4_3ELNS0_20block_scan_algorithmE0ELj4294967295EEENS1_25partition_config_selectorILNS1_17partition_subalgoE4EjNS0_10empty_typeEbEEZZNS1_14partition_implILS8_4ELb0ES6_15HIP_vector_typeIjLj2EENS0_17counting_iteratorIjlEEPS9_SG_NS0_5tupleIJPjSI_NS0_16reverse_iteratorISI_EEEEENSH_IJSG_SG_SG_EEES9_SI_JZNS1_25segmented_radix_sort_implINS0_14default_configELb1EPKaPaPKlPlN2at6native12_GLOBAL__N_18offset_tEEE10hipError_tPvRmT1_PNSt15iterator_traitsIS12_E10value_typeET2_T3_PNS13_IS18_E10value_typeET4_jRbjT5_S1E_jjP12ihipStream_tbEUljE_ZNSN_ISO_Lb1ESQ_SR_ST_SU_SY_EESZ_S10_S11_S12_S16_S17_S18_S1B_S1C_jS1D_jS1E_S1E_jjS1G_bEUljE0_EEESZ_S10_S11_S18_S1C_S1E_T6_T7_T9_mT8_S1G_bDpT10_ENKUlT_T0_E_clISt17integral_constantIbLb1EES1U_EEDaS1P_S1Q_EUlS1P_E_NS1_11comp_targetILNS1_3genE9ELNS1_11target_archE1100ELNS1_3gpuE3ELNS1_3repE0EEENS1_30default_config_static_selectorELNS0_4arch9wavefront6targetE0EEEvS12_,"axG",@progbits,_ZN7rocprim17ROCPRIM_400000_NS6detail17trampoline_kernelINS0_13select_configILj256ELj13ELNS0_17block_load_methodE3ELS4_3ELS4_3ELNS0_20block_scan_algorithmE0ELj4294967295EEENS1_25partition_config_selectorILNS1_17partition_subalgoE4EjNS0_10empty_typeEbEEZZNS1_14partition_implILS8_4ELb0ES6_15HIP_vector_typeIjLj2EENS0_17counting_iteratorIjlEEPS9_SG_NS0_5tupleIJPjSI_NS0_16reverse_iteratorISI_EEEEENSH_IJSG_SG_SG_EEES9_SI_JZNS1_25segmented_radix_sort_implINS0_14default_configELb1EPKaPaPKlPlN2at6native12_GLOBAL__N_18offset_tEEE10hipError_tPvRmT1_PNSt15iterator_traitsIS12_E10value_typeET2_T3_PNS13_IS18_E10value_typeET4_jRbjT5_S1E_jjP12ihipStream_tbEUljE_ZNSN_ISO_Lb1ESQ_SR_ST_SU_SY_EESZ_S10_S11_S12_S16_S17_S18_S1B_S1C_jS1D_jS1E_S1E_jjS1G_bEUljE0_EEESZ_S10_S11_S18_S1C_S1E_T6_T7_T9_mT8_S1G_bDpT10_ENKUlT_T0_E_clISt17integral_constantIbLb1EES1U_EEDaS1P_S1Q_EUlS1P_E_NS1_11comp_targetILNS1_3genE9ELNS1_11target_archE1100ELNS1_3gpuE3ELNS1_3repE0EEENS1_30default_config_static_selectorELNS0_4arch9wavefront6targetE0EEEvS12_,comdat
.Lfunc_end240:
	.size	_ZN7rocprim17ROCPRIM_400000_NS6detail17trampoline_kernelINS0_13select_configILj256ELj13ELNS0_17block_load_methodE3ELS4_3ELS4_3ELNS0_20block_scan_algorithmE0ELj4294967295EEENS1_25partition_config_selectorILNS1_17partition_subalgoE4EjNS0_10empty_typeEbEEZZNS1_14partition_implILS8_4ELb0ES6_15HIP_vector_typeIjLj2EENS0_17counting_iteratorIjlEEPS9_SG_NS0_5tupleIJPjSI_NS0_16reverse_iteratorISI_EEEEENSH_IJSG_SG_SG_EEES9_SI_JZNS1_25segmented_radix_sort_implINS0_14default_configELb1EPKaPaPKlPlN2at6native12_GLOBAL__N_18offset_tEEE10hipError_tPvRmT1_PNSt15iterator_traitsIS12_E10value_typeET2_T3_PNS13_IS18_E10value_typeET4_jRbjT5_S1E_jjP12ihipStream_tbEUljE_ZNSN_ISO_Lb1ESQ_SR_ST_SU_SY_EESZ_S10_S11_S12_S16_S17_S18_S1B_S1C_jS1D_jS1E_S1E_jjS1G_bEUljE0_EEESZ_S10_S11_S18_S1C_S1E_T6_T7_T9_mT8_S1G_bDpT10_ENKUlT_T0_E_clISt17integral_constantIbLb1EES1U_EEDaS1P_S1Q_EUlS1P_E_NS1_11comp_targetILNS1_3genE9ELNS1_11target_archE1100ELNS1_3gpuE3ELNS1_3repE0EEENS1_30default_config_static_selectorELNS0_4arch9wavefront6targetE0EEEvS12_, .Lfunc_end240-_ZN7rocprim17ROCPRIM_400000_NS6detail17trampoline_kernelINS0_13select_configILj256ELj13ELNS0_17block_load_methodE3ELS4_3ELS4_3ELNS0_20block_scan_algorithmE0ELj4294967295EEENS1_25partition_config_selectorILNS1_17partition_subalgoE4EjNS0_10empty_typeEbEEZZNS1_14partition_implILS8_4ELb0ES6_15HIP_vector_typeIjLj2EENS0_17counting_iteratorIjlEEPS9_SG_NS0_5tupleIJPjSI_NS0_16reverse_iteratorISI_EEEEENSH_IJSG_SG_SG_EEES9_SI_JZNS1_25segmented_radix_sort_implINS0_14default_configELb1EPKaPaPKlPlN2at6native12_GLOBAL__N_18offset_tEEE10hipError_tPvRmT1_PNSt15iterator_traitsIS12_E10value_typeET2_T3_PNS13_IS18_E10value_typeET4_jRbjT5_S1E_jjP12ihipStream_tbEUljE_ZNSN_ISO_Lb1ESQ_SR_ST_SU_SY_EESZ_S10_S11_S12_S16_S17_S18_S1B_S1C_jS1D_jS1E_S1E_jjS1G_bEUljE0_EEESZ_S10_S11_S18_S1C_S1E_T6_T7_T9_mT8_S1G_bDpT10_ENKUlT_T0_E_clISt17integral_constantIbLb1EES1U_EEDaS1P_S1Q_EUlS1P_E_NS1_11comp_targetILNS1_3genE9ELNS1_11target_archE1100ELNS1_3gpuE3ELNS1_3repE0EEENS1_30default_config_static_selectorELNS0_4arch9wavefront6targetE0EEEvS12_
                                        ; -- End function
	.set _ZN7rocprim17ROCPRIM_400000_NS6detail17trampoline_kernelINS0_13select_configILj256ELj13ELNS0_17block_load_methodE3ELS4_3ELS4_3ELNS0_20block_scan_algorithmE0ELj4294967295EEENS1_25partition_config_selectorILNS1_17partition_subalgoE4EjNS0_10empty_typeEbEEZZNS1_14partition_implILS8_4ELb0ES6_15HIP_vector_typeIjLj2EENS0_17counting_iteratorIjlEEPS9_SG_NS0_5tupleIJPjSI_NS0_16reverse_iteratorISI_EEEEENSH_IJSG_SG_SG_EEES9_SI_JZNS1_25segmented_radix_sort_implINS0_14default_configELb1EPKaPaPKlPlN2at6native12_GLOBAL__N_18offset_tEEE10hipError_tPvRmT1_PNSt15iterator_traitsIS12_E10value_typeET2_T3_PNS13_IS18_E10value_typeET4_jRbjT5_S1E_jjP12ihipStream_tbEUljE_ZNSN_ISO_Lb1ESQ_SR_ST_SU_SY_EESZ_S10_S11_S12_S16_S17_S18_S1B_S1C_jS1D_jS1E_S1E_jjS1G_bEUljE0_EEESZ_S10_S11_S18_S1C_S1E_T6_T7_T9_mT8_S1G_bDpT10_ENKUlT_T0_E_clISt17integral_constantIbLb1EES1U_EEDaS1P_S1Q_EUlS1P_E_NS1_11comp_targetILNS1_3genE9ELNS1_11target_archE1100ELNS1_3gpuE3ELNS1_3repE0EEENS1_30default_config_static_selectorELNS0_4arch9wavefront6targetE0EEEvS12_.num_vgpr, 0
	.set _ZN7rocprim17ROCPRIM_400000_NS6detail17trampoline_kernelINS0_13select_configILj256ELj13ELNS0_17block_load_methodE3ELS4_3ELS4_3ELNS0_20block_scan_algorithmE0ELj4294967295EEENS1_25partition_config_selectorILNS1_17partition_subalgoE4EjNS0_10empty_typeEbEEZZNS1_14partition_implILS8_4ELb0ES6_15HIP_vector_typeIjLj2EENS0_17counting_iteratorIjlEEPS9_SG_NS0_5tupleIJPjSI_NS0_16reverse_iteratorISI_EEEEENSH_IJSG_SG_SG_EEES9_SI_JZNS1_25segmented_radix_sort_implINS0_14default_configELb1EPKaPaPKlPlN2at6native12_GLOBAL__N_18offset_tEEE10hipError_tPvRmT1_PNSt15iterator_traitsIS12_E10value_typeET2_T3_PNS13_IS18_E10value_typeET4_jRbjT5_S1E_jjP12ihipStream_tbEUljE_ZNSN_ISO_Lb1ESQ_SR_ST_SU_SY_EESZ_S10_S11_S12_S16_S17_S18_S1B_S1C_jS1D_jS1E_S1E_jjS1G_bEUljE0_EEESZ_S10_S11_S18_S1C_S1E_T6_T7_T9_mT8_S1G_bDpT10_ENKUlT_T0_E_clISt17integral_constantIbLb1EES1U_EEDaS1P_S1Q_EUlS1P_E_NS1_11comp_targetILNS1_3genE9ELNS1_11target_archE1100ELNS1_3gpuE3ELNS1_3repE0EEENS1_30default_config_static_selectorELNS0_4arch9wavefront6targetE0EEEvS12_.num_agpr, 0
	.set _ZN7rocprim17ROCPRIM_400000_NS6detail17trampoline_kernelINS0_13select_configILj256ELj13ELNS0_17block_load_methodE3ELS4_3ELS4_3ELNS0_20block_scan_algorithmE0ELj4294967295EEENS1_25partition_config_selectorILNS1_17partition_subalgoE4EjNS0_10empty_typeEbEEZZNS1_14partition_implILS8_4ELb0ES6_15HIP_vector_typeIjLj2EENS0_17counting_iteratorIjlEEPS9_SG_NS0_5tupleIJPjSI_NS0_16reverse_iteratorISI_EEEEENSH_IJSG_SG_SG_EEES9_SI_JZNS1_25segmented_radix_sort_implINS0_14default_configELb1EPKaPaPKlPlN2at6native12_GLOBAL__N_18offset_tEEE10hipError_tPvRmT1_PNSt15iterator_traitsIS12_E10value_typeET2_T3_PNS13_IS18_E10value_typeET4_jRbjT5_S1E_jjP12ihipStream_tbEUljE_ZNSN_ISO_Lb1ESQ_SR_ST_SU_SY_EESZ_S10_S11_S12_S16_S17_S18_S1B_S1C_jS1D_jS1E_S1E_jjS1G_bEUljE0_EEESZ_S10_S11_S18_S1C_S1E_T6_T7_T9_mT8_S1G_bDpT10_ENKUlT_T0_E_clISt17integral_constantIbLb1EES1U_EEDaS1P_S1Q_EUlS1P_E_NS1_11comp_targetILNS1_3genE9ELNS1_11target_archE1100ELNS1_3gpuE3ELNS1_3repE0EEENS1_30default_config_static_selectorELNS0_4arch9wavefront6targetE0EEEvS12_.numbered_sgpr, 0
	.set _ZN7rocprim17ROCPRIM_400000_NS6detail17trampoline_kernelINS0_13select_configILj256ELj13ELNS0_17block_load_methodE3ELS4_3ELS4_3ELNS0_20block_scan_algorithmE0ELj4294967295EEENS1_25partition_config_selectorILNS1_17partition_subalgoE4EjNS0_10empty_typeEbEEZZNS1_14partition_implILS8_4ELb0ES6_15HIP_vector_typeIjLj2EENS0_17counting_iteratorIjlEEPS9_SG_NS0_5tupleIJPjSI_NS0_16reverse_iteratorISI_EEEEENSH_IJSG_SG_SG_EEES9_SI_JZNS1_25segmented_radix_sort_implINS0_14default_configELb1EPKaPaPKlPlN2at6native12_GLOBAL__N_18offset_tEEE10hipError_tPvRmT1_PNSt15iterator_traitsIS12_E10value_typeET2_T3_PNS13_IS18_E10value_typeET4_jRbjT5_S1E_jjP12ihipStream_tbEUljE_ZNSN_ISO_Lb1ESQ_SR_ST_SU_SY_EESZ_S10_S11_S12_S16_S17_S18_S1B_S1C_jS1D_jS1E_S1E_jjS1G_bEUljE0_EEESZ_S10_S11_S18_S1C_S1E_T6_T7_T9_mT8_S1G_bDpT10_ENKUlT_T0_E_clISt17integral_constantIbLb1EES1U_EEDaS1P_S1Q_EUlS1P_E_NS1_11comp_targetILNS1_3genE9ELNS1_11target_archE1100ELNS1_3gpuE3ELNS1_3repE0EEENS1_30default_config_static_selectorELNS0_4arch9wavefront6targetE0EEEvS12_.num_named_barrier, 0
	.set _ZN7rocprim17ROCPRIM_400000_NS6detail17trampoline_kernelINS0_13select_configILj256ELj13ELNS0_17block_load_methodE3ELS4_3ELS4_3ELNS0_20block_scan_algorithmE0ELj4294967295EEENS1_25partition_config_selectorILNS1_17partition_subalgoE4EjNS0_10empty_typeEbEEZZNS1_14partition_implILS8_4ELb0ES6_15HIP_vector_typeIjLj2EENS0_17counting_iteratorIjlEEPS9_SG_NS0_5tupleIJPjSI_NS0_16reverse_iteratorISI_EEEEENSH_IJSG_SG_SG_EEES9_SI_JZNS1_25segmented_radix_sort_implINS0_14default_configELb1EPKaPaPKlPlN2at6native12_GLOBAL__N_18offset_tEEE10hipError_tPvRmT1_PNSt15iterator_traitsIS12_E10value_typeET2_T3_PNS13_IS18_E10value_typeET4_jRbjT5_S1E_jjP12ihipStream_tbEUljE_ZNSN_ISO_Lb1ESQ_SR_ST_SU_SY_EESZ_S10_S11_S12_S16_S17_S18_S1B_S1C_jS1D_jS1E_S1E_jjS1G_bEUljE0_EEESZ_S10_S11_S18_S1C_S1E_T6_T7_T9_mT8_S1G_bDpT10_ENKUlT_T0_E_clISt17integral_constantIbLb1EES1U_EEDaS1P_S1Q_EUlS1P_E_NS1_11comp_targetILNS1_3genE9ELNS1_11target_archE1100ELNS1_3gpuE3ELNS1_3repE0EEENS1_30default_config_static_selectorELNS0_4arch9wavefront6targetE0EEEvS12_.private_seg_size, 0
	.set _ZN7rocprim17ROCPRIM_400000_NS6detail17trampoline_kernelINS0_13select_configILj256ELj13ELNS0_17block_load_methodE3ELS4_3ELS4_3ELNS0_20block_scan_algorithmE0ELj4294967295EEENS1_25partition_config_selectorILNS1_17partition_subalgoE4EjNS0_10empty_typeEbEEZZNS1_14partition_implILS8_4ELb0ES6_15HIP_vector_typeIjLj2EENS0_17counting_iteratorIjlEEPS9_SG_NS0_5tupleIJPjSI_NS0_16reverse_iteratorISI_EEEEENSH_IJSG_SG_SG_EEES9_SI_JZNS1_25segmented_radix_sort_implINS0_14default_configELb1EPKaPaPKlPlN2at6native12_GLOBAL__N_18offset_tEEE10hipError_tPvRmT1_PNSt15iterator_traitsIS12_E10value_typeET2_T3_PNS13_IS18_E10value_typeET4_jRbjT5_S1E_jjP12ihipStream_tbEUljE_ZNSN_ISO_Lb1ESQ_SR_ST_SU_SY_EESZ_S10_S11_S12_S16_S17_S18_S1B_S1C_jS1D_jS1E_S1E_jjS1G_bEUljE0_EEESZ_S10_S11_S18_S1C_S1E_T6_T7_T9_mT8_S1G_bDpT10_ENKUlT_T0_E_clISt17integral_constantIbLb1EES1U_EEDaS1P_S1Q_EUlS1P_E_NS1_11comp_targetILNS1_3genE9ELNS1_11target_archE1100ELNS1_3gpuE3ELNS1_3repE0EEENS1_30default_config_static_selectorELNS0_4arch9wavefront6targetE0EEEvS12_.uses_vcc, 0
	.set _ZN7rocprim17ROCPRIM_400000_NS6detail17trampoline_kernelINS0_13select_configILj256ELj13ELNS0_17block_load_methodE3ELS4_3ELS4_3ELNS0_20block_scan_algorithmE0ELj4294967295EEENS1_25partition_config_selectorILNS1_17partition_subalgoE4EjNS0_10empty_typeEbEEZZNS1_14partition_implILS8_4ELb0ES6_15HIP_vector_typeIjLj2EENS0_17counting_iteratorIjlEEPS9_SG_NS0_5tupleIJPjSI_NS0_16reverse_iteratorISI_EEEEENSH_IJSG_SG_SG_EEES9_SI_JZNS1_25segmented_radix_sort_implINS0_14default_configELb1EPKaPaPKlPlN2at6native12_GLOBAL__N_18offset_tEEE10hipError_tPvRmT1_PNSt15iterator_traitsIS12_E10value_typeET2_T3_PNS13_IS18_E10value_typeET4_jRbjT5_S1E_jjP12ihipStream_tbEUljE_ZNSN_ISO_Lb1ESQ_SR_ST_SU_SY_EESZ_S10_S11_S12_S16_S17_S18_S1B_S1C_jS1D_jS1E_S1E_jjS1G_bEUljE0_EEESZ_S10_S11_S18_S1C_S1E_T6_T7_T9_mT8_S1G_bDpT10_ENKUlT_T0_E_clISt17integral_constantIbLb1EES1U_EEDaS1P_S1Q_EUlS1P_E_NS1_11comp_targetILNS1_3genE9ELNS1_11target_archE1100ELNS1_3gpuE3ELNS1_3repE0EEENS1_30default_config_static_selectorELNS0_4arch9wavefront6targetE0EEEvS12_.uses_flat_scratch, 0
	.set _ZN7rocprim17ROCPRIM_400000_NS6detail17trampoline_kernelINS0_13select_configILj256ELj13ELNS0_17block_load_methodE3ELS4_3ELS4_3ELNS0_20block_scan_algorithmE0ELj4294967295EEENS1_25partition_config_selectorILNS1_17partition_subalgoE4EjNS0_10empty_typeEbEEZZNS1_14partition_implILS8_4ELb0ES6_15HIP_vector_typeIjLj2EENS0_17counting_iteratorIjlEEPS9_SG_NS0_5tupleIJPjSI_NS0_16reverse_iteratorISI_EEEEENSH_IJSG_SG_SG_EEES9_SI_JZNS1_25segmented_radix_sort_implINS0_14default_configELb1EPKaPaPKlPlN2at6native12_GLOBAL__N_18offset_tEEE10hipError_tPvRmT1_PNSt15iterator_traitsIS12_E10value_typeET2_T3_PNS13_IS18_E10value_typeET4_jRbjT5_S1E_jjP12ihipStream_tbEUljE_ZNSN_ISO_Lb1ESQ_SR_ST_SU_SY_EESZ_S10_S11_S12_S16_S17_S18_S1B_S1C_jS1D_jS1E_S1E_jjS1G_bEUljE0_EEESZ_S10_S11_S18_S1C_S1E_T6_T7_T9_mT8_S1G_bDpT10_ENKUlT_T0_E_clISt17integral_constantIbLb1EES1U_EEDaS1P_S1Q_EUlS1P_E_NS1_11comp_targetILNS1_3genE9ELNS1_11target_archE1100ELNS1_3gpuE3ELNS1_3repE0EEENS1_30default_config_static_selectorELNS0_4arch9wavefront6targetE0EEEvS12_.has_dyn_sized_stack, 0
	.set _ZN7rocprim17ROCPRIM_400000_NS6detail17trampoline_kernelINS0_13select_configILj256ELj13ELNS0_17block_load_methodE3ELS4_3ELS4_3ELNS0_20block_scan_algorithmE0ELj4294967295EEENS1_25partition_config_selectorILNS1_17partition_subalgoE4EjNS0_10empty_typeEbEEZZNS1_14partition_implILS8_4ELb0ES6_15HIP_vector_typeIjLj2EENS0_17counting_iteratorIjlEEPS9_SG_NS0_5tupleIJPjSI_NS0_16reverse_iteratorISI_EEEEENSH_IJSG_SG_SG_EEES9_SI_JZNS1_25segmented_radix_sort_implINS0_14default_configELb1EPKaPaPKlPlN2at6native12_GLOBAL__N_18offset_tEEE10hipError_tPvRmT1_PNSt15iterator_traitsIS12_E10value_typeET2_T3_PNS13_IS18_E10value_typeET4_jRbjT5_S1E_jjP12ihipStream_tbEUljE_ZNSN_ISO_Lb1ESQ_SR_ST_SU_SY_EESZ_S10_S11_S12_S16_S17_S18_S1B_S1C_jS1D_jS1E_S1E_jjS1G_bEUljE0_EEESZ_S10_S11_S18_S1C_S1E_T6_T7_T9_mT8_S1G_bDpT10_ENKUlT_T0_E_clISt17integral_constantIbLb1EES1U_EEDaS1P_S1Q_EUlS1P_E_NS1_11comp_targetILNS1_3genE9ELNS1_11target_archE1100ELNS1_3gpuE3ELNS1_3repE0EEENS1_30default_config_static_selectorELNS0_4arch9wavefront6targetE0EEEvS12_.has_recursion, 0
	.set _ZN7rocprim17ROCPRIM_400000_NS6detail17trampoline_kernelINS0_13select_configILj256ELj13ELNS0_17block_load_methodE3ELS4_3ELS4_3ELNS0_20block_scan_algorithmE0ELj4294967295EEENS1_25partition_config_selectorILNS1_17partition_subalgoE4EjNS0_10empty_typeEbEEZZNS1_14partition_implILS8_4ELb0ES6_15HIP_vector_typeIjLj2EENS0_17counting_iteratorIjlEEPS9_SG_NS0_5tupleIJPjSI_NS0_16reverse_iteratorISI_EEEEENSH_IJSG_SG_SG_EEES9_SI_JZNS1_25segmented_radix_sort_implINS0_14default_configELb1EPKaPaPKlPlN2at6native12_GLOBAL__N_18offset_tEEE10hipError_tPvRmT1_PNSt15iterator_traitsIS12_E10value_typeET2_T3_PNS13_IS18_E10value_typeET4_jRbjT5_S1E_jjP12ihipStream_tbEUljE_ZNSN_ISO_Lb1ESQ_SR_ST_SU_SY_EESZ_S10_S11_S12_S16_S17_S18_S1B_S1C_jS1D_jS1E_S1E_jjS1G_bEUljE0_EEESZ_S10_S11_S18_S1C_S1E_T6_T7_T9_mT8_S1G_bDpT10_ENKUlT_T0_E_clISt17integral_constantIbLb1EES1U_EEDaS1P_S1Q_EUlS1P_E_NS1_11comp_targetILNS1_3genE9ELNS1_11target_archE1100ELNS1_3gpuE3ELNS1_3repE0EEENS1_30default_config_static_selectorELNS0_4arch9wavefront6targetE0EEEvS12_.has_indirect_call, 0
	.section	.AMDGPU.csdata,"",@progbits
; Kernel info:
; codeLenInByte = 0
; TotalNumSgprs: 0
; NumVgprs: 0
; ScratchSize: 0
; MemoryBound: 0
; FloatMode: 240
; IeeeMode: 1
; LDSByteSize: 0 bytes/workgroup (compile time only)
; SGPRBlocks: 0
; VGPRBlocks: 0
; NumSGPRsForWavesPerEU: 1
; NumVGPRsForWavesPerEU: 1
; Occupancy: 16
; WaveLimiterHint : 0
; COMPUTE_PGM_RSRC2:SCRATCH_EN: 0
; COMPUTE_PGM_RSRC2:USER_SGPR: 2
; COMPUTE_PGM_RSRC2:TRAP_HANDLER: 0
; COMPUTE_PGM_RSRC2:TGID_X_EN: 1
; COMPUTE_PGM_RSRC2:TGID_Y_EN: 0
; COMPUTE_PGM_RSRC2:TGID_Z_EN: 0
; COMPUTE_PGM_RSRC2:TIDIG_COMP_CNT: 0
	.section	.text._ZN7rocprim17ROCPRIM_400000_NS6detail17trampoline_kernelINS0_13select_configILj256ELj13ELNS0_17block_load_methodE3ELS4_3ELS4_3ELNS0_20block_scan_algorithmE0ELj4294967295EEENS1_25partition_config_selectorILNS1_17partition_subalgoE4EjNS0_10empty_typeEbEEZZNS1_14partition_implILS8_4ELb0ES6_15HIP_vector_typeIjLj2EENS0_17counting_iteratorIjlEEPS9_SG_NS0_5tupleIJPjSI_NS0_16reverse_iteratorISI_EEEEENSH_IJSG_SG_SG_EEES9_SI_JZNS1_25segmented_radix_sort_implINS0_14default_configELb1EPKaPaPKlPlN2at6native12_GLOBAL__N_18offset_tEEE10hipError_tPvRmT1_PNSt15iterator_traitsIS12_E10value_typeET2_T3_PNS13_IS18_E10value_typeET4_jRbjT5_S1E_jjP12ihipStream_tbEUljE_ZNSN_ISO_Lb1ESQ_SR_ST_SU_SY_EESZ_S10_S11_S12_S16_S17_S18_S1B_S1C_jS1D_jS1E_S1E_jjS1G_bEUljE0_EEESZ_S10_S11_S18_S1C_S1E_T6_T7_T9_mT8_S1G_bDpT10_ENKUlT_T0_E_clISt17integral_constantIbLb1EES1U_EEDaS1P_S1Q_EUlS1P_E_NS1_11comp_targetILNS1_3genE8ELNS1_11target_archE1030ELNS1_3gpuE2ELNS1_3repE0EEENS1_30default_config_static_selectorELNS0_4arch9wavefront6targetE0EEEvS12_,"axG",@progbits,_ZN7rocprim17ROCPRIM_400000_NS6detail17trampoline_kernelINS0_13select_configILj256ELj13ELNS0_17block_load_methodE3ELS4_3ELS4_3ELNS0_20block_scan_algorithmE0ELj4294967295EEENS1_25partition_config_selectorILNS1_17partition_subalgoE4EjNS0_10empty_typeEbEEZZNS1_14partition_implILS8_4ELb0ES6_15HIP_vector_typeIjLj2EENS0_17counting_iteratorIjlEEPS9_SG_NS0_5tupleIJPjSI_NS0_16reverse_iteratorISI_EEEEENSH_IJSG_SG_SG_EEES9_SI_JZNS1_25segmented_radix_sort_implINS0_14default_configELb1EPKaPaPKlPlN2at6native12_GLOBAL__N_18offset_tEEE10hipError_tPvRmT1_PNSt15iterator_traitsIS12_E10value_typeET2_T3_PNS13_IS18_E10value_typeET4_jRbjT5_S1E_jjP12ihipStream_tbEUljE_ZNSN_ISO_Lb1ESQ_SR_ST_SU_SY_EESZ_S10_S11_S12_S16_S17_S18_S1B_S1C_jS1D_jS1E_S1E_jjS1G_bEUljE0_EEESZ_S10_S11_S18_S1C_S1E_T6_T7_T9_mT8_S1G_bDpT10_ENKUlT_T0_E_clISt17integral_constantIbLb1EES1U_EEDaS1P_S1Q_EUlS1P_E_NS1_11comp_targetILNS1_3genE8ELNS1_11target_archE1030ELNS1_3gpuE2ELNS1_3repE0EEENS1_30default_config_static_selectorELNS0_4arch9wavefront6targetE0EEEvS12_,comdat
	.globl	_ZN7rocprim17ROCPRIM_400000_NS6detail17trampoline_kernelINS0_13select_configILj256ELj13ELNS0_17block_load_methodE3ELS4_3ELS4_3ELNS0_20block_scan_algorithmE0ELj4294967295EEENS1_25partition_config_selectorILNS1_17partition_subalgoE4EjNS0_10empty_typeEbEEZZNS1_14partition_implILS8_4ELb0ES6_15HIP_vector_typeIjLj2EENS0_17counting_iteratorIjlEEPS9_SG_NS0_5tupleIJPjSI_NS0_16reverse_iteratorISI_EEEEENSH_IJSG_SG_SG_EEES9_SI_JZNS1_25segmented_radix_sort_implINS0_14default_configELb1EPKaPaPKlPlN2at6native12_GLOBAL__N_18offset_tEEE10hipError_tPvRmT1_PNSt15iterator_traitsIS12_E10value_typeET2_T3_PNS13_IS18_E10value_typeET4_jRbjT5_S1E_jjP12ihipStream_tbEUljE_ZNSN_ISO_Lb1ESQ_SR_ST_SU_SY_EESZ_S10_S11_S12_S16_S17_S18_S1B_S1C_jS1D_jS1E_S1E_jjS1G_bEUljE0_EEESZ_S10_S11_S18_S1C_S1E_T6_T7_T9_mT8_S1G_bDpT10_ENKUlT_T0_E_clISt17integral_constantIbLb1EES1U_EEDaS1P_S1Q_EUlS1P_E_NS1_11comp_targetILNS1_3genE8ELNS1_11target_archE1030ELNS1_3gpuE2ELNS1_3repE0EEENS1_30default_config_static_selectorELNS0_4arch9wavefront6targetE0EEEvS12_ ; -- Begin function _ZN7rocprim17ROCPRIM_400000_NS6detail17trampoline_kernelINS0_13select_configILj256ELj13ELNS0_17block_load_methodE3ELS4_3ELS4_3ELNS0_20block_scan_algorithmE0ELj4294967295EEENS1_25partition_config_selectorILNS1_17partition_subalgoE4EjNS0_10empty_typeEbEEZZNS1_14partition_implILS8_4ELb0ES6_15HIP_vector_typeIjLj2EENS0_17counting_iteratorIjlEEPS9_SG_NS0_5tupleIJPjSI_NS0_16reverse_iteratorISI_EEEEENSH_IJSG_SG_SG_EEES9_SI_JZNS1_25segmented_radix_sort_implINS0_14default_configELb1EPKaPaPKlPlN2at6native12_GLOBAL__N_18offset_tEEE10hipError_tPvRmT1_PNSt15iterator_traitsIS12_E10value_typeET2_T3_PNS13_IS18_E10value_typeET4_jRbjT5_S1E_jjP12ihipStream_tbEUljE_ZNSN_ISO_Lb1ESQ_SR_ST_SU_SY_EESZ_S10_S11_S12_S16_S17_S18_S1B_S1C_jS1D_jS1E_S1E_jjS1G_bEUljE0_EEESZ_S10_S11_S18_S1C_S1E_T6_T7_T9_mT8_S1G_bDpT10_ENKUlT_T0_E_clISt17integral_constantIbLb1EES1U_EEDaS1P_S1Q_EUlS1P_E_NS1_11comp_targetILNS1_3genE8ELNS1_11target_archE1030ELNS1_3gpuE2ELNS1_3repE0EEENS1_30default_config_static_selectorELNS0_4arch9wavefront6targetE0EEEvS12_
	.p2align	8
	.type	_ZN7rocprim17ROCPRIM_400000_NS6detail17trampoline_kernelINS0_13select_configILj256ELj13ELNS0_17block_load_methodE3ELS4_3ELS4_3ELNS0_20block_scan_algorithmE0ELj4294967295EEENS1_25partition_config_selectorILNS1_17partition_subalgoE4EjNS0_10empty_typeEbEEZZNS1_14partition_implILS8_4ELb0ES6_15HIP_vector_typeIjLj2EENS0_17counting_iteratorIjlEEPS9_SG_NS0_5tupleIJPjSI_NS0_16reverse_iteratorISI_EEEEENSH_IJSG_SG_SG_EEES9_SI_JZNS1_25segmented_radix_sort_implINS0_14default_configELb1EPKaPaPKlPlN2at6native12_GLOBAL__N_18offset_tEEE10hipError_tPvRmT1_PNSt15iterator_traitsIS12_E10value_typeET2_T3_PNS13_IS18_E10value_typeET4_jRbjT5_S1E_jjP12ihipStream_tbEUljE_ZNSN_ISO_Lb1ESQ_SR_ST_SU_SY_EESZ_S10_S11_S12_S16_S17_S18_S1B_S1C_jS1D_jS1E_S1E_jjS1G_bEUljE0_EEESZ_S10_S11_S18_S1C_S1E_T6_T7_T9_mT8_S1G_bDpT10_ENKUlT_T0_E_clISt17integral_constantIbLb1EES1U_EEDaS1P_S1Q_EUlS1P_E_NS1_11comp_targetILNS1_3genE8ELNS1_11target_archE1030ELNS1_3gpuE2ELNS1_3repE0EEENS1_30default_config_static_selectorELNS0_4arch9wavefront6targetE0EEEvS12_,@function
_ZN7rocprim17ROCPRIM_400000_NS6detail17trampoline_kernelINS0_13select_configILj256ELj13ELNS0_17block_load_methodE3ELS4_3ELS4_3ELNS0_20block_scan_algorithmE0ELj4294967295EEENS1_25partition_config_selectorILNS1_17partition_subalgoE4EjNS0_10empty_typeEbEEZZNS1_14partition_implILS8_4ELb0ES6_15HIP_vector_typeIjLj2EENS0_17counting_iteratorIjlEEPS9_SG_NS0_5tupleIJPjSI_NS0_16reverse_iteratorISI_EEEEENSH_IJSG_SG_SG_EEES9_SI_JZNS1_25segmented_radix_sort_implINS0_14default_configELb1EPKaPaPKlPlN2at6native12_GLOBAL__N_18offset_tEEE10hipError_tPvRmT1_PNSt15iterator_traitsIS12_E10value_typeET2_T3_PNS13_IS18_E10value_typeET4_jRbjT5_S1E_jjP12ihipStream_tbEUljE_ZNSN_ISO_Lb1ESQ_SR_ST_SU_SY_EESZ_S10_S11_S12_S16_S17_S18_S1B_S1C_jS1D_jS1E_S1E_jjS1G_bEUljE0_EEESZ_S10_S11_S18_S1C_S1E_T6_T7_T9_mT8_S1G_bDpT10_ENKUlT_T0_E_clISt17integral_constantIbLb1EES1U_EEDaS1P_S1Q_EUlS1P_E_NS1_11comp_targetILNS1_3genE8ELNS1_11target_archE1030ELNS1_3gpuE2ELNS1_3repE0EEENS1_30default_config_static_selectorELNS0_4arch9wavefront6targetE0EEEvS12_: ; @_ZN7rocprim17ROCPRIM_400000_NS6detail17trampoline_kernelINS0_13select_configILj256ELj13ELNS0_17block_load_methodE3ELS4_3ELS4_3ELNS0_20block_scan_algorithmE0ELj4294967295EEENS1_25partition_config_selectorILNS1_17partition_subalgoE4EjNS0_10empty_typeEbEEZZNS1_14partition_implILS8_4ELb0ES6_15HIP_vector_typeIjLj2EENS0_17counting_iteratorIjlEEPS9_SG_NS0_5tupleIJPjSI_NS0_16reverse_iteratorISI_EEEEENSH_IJSG_SG_SG_EEES9_SI_JZNS1_25segmented_radix_sort_implINS0_14default_configELb1EPKaPaPKlPlN2at6native12_GLOBAL__N_18offset_tEEE10hipError_tPvRmT1_PNSt15iterator_traitsIS12_E10value_typeET2_T3_PNS13_IS18_E10value_typeET4_jRbjT5_S1E_jjP12ihipStream_tbEUljE_ZNSN_ISO_Lb1ESQ_SR_ST_SU_SY_EESZ_S10_S11_S12_S16_S17_S18_S1B_S1C_jS1D_jS1E_S1E_jjS1G_bEUljE0_EEESZ_S10_S11_S18_S1C_S1E_T6_T7_T9_mT8_S1G_bDpT10_ENKUlT_T0_E_clISt17integral_constantIbLb1EES1U_EEDaS1P_S1Q_EUlS1P_E_NS1_11comp_targetILNS1_3genE8ELNS1_11target_archE1030ELNS1_3gpuE2ELNS1_3repE0EEENS1_30default_config_static_selectorELNS0_4arch9wavefront6targetE0EEEvS12_
; %bb.0:
	.section	.rodata,"a",@progbits
	.p2align	6, 0x0
	.amdhsa_kernel _ZN7rocprim17ROCPRIM_400000_NS6detail17trampoline_kernelINS0_13select_configILj256ELj13ELNS0_17block_load_methodE3ELS4_3ELS4_3ELNS0_20block_scan_algorithmE0ELj4294967295EEENS1_25partition_config_selectorILNS1_17partition_subalgoE4EjNS0_10empty_typeEbEEZZNS1_14partition_implILS8_4ELb0ES6_15HIP_vector_typeIjLj2EENS0_17counting_iteratorIjlEEPS9_SG_NS0_5tupleIJPjSI_NS0_16reverse_iteratorISI_EEEEENSH_IJSG_SG_SG_EEES9_SI_JZNS1_25segmented_radix_sort_implINS0_14default_configELb1EPKaPaPKlPlN2at6native12_GLOBAL__N_18offset_tEEE10hipError_tPvRmT1_PNSt15iterator_traitsIS12_E10value_typeET2_T3_PNS13_IS18_E10value_typeET4_jRbjT5_S1E_jjP12ihipStream_tbEUljE_ZNSN_ISO_Lb1ESQ_SR_ST_SU_SY_EESZ_S10_S11_S12_S16_S17_S18_S1B_S1C_jS1D_jS1E_S1E_jjS1G_bEUljE0_EEESZ_S10_S11_S18_S1C_S1E_T6_T7_T9_mT8_S1G_bDpT10_ENKUlT_T0_E_clISt17integral_constantIbLb1EES1U_EEDaS1P_S1Q_EUlS1P_E_NS1_11comp_targetILNS1_3genE8ELNS1_11target_archE1030ELNS1_3gpuE2ELNS1_3repE0EEENS1_30default_config_static_selectorELNS0_4arch9wavefront6targetE0EEEvS12_
		.amdhsa_group_segment_fixed_size 0
		.amdhsa_private_segment_fixed_size 0
		.amdhsa_kernarg_size 184
		.amdhsa_user_sgpr_count 2
		.amdhsa_user_sgpr_dispatch_ptr 0
		.amdhsa_user_sgpr_queue_ptr 0
		.amdhsa_user_sgpr_kernarg_segment_ptr 1
		.amdhsa_user_sgpr_dispatch_id 0
		.amdhsa_user_sgpr_private_segment_size 0
		.amdhsa_wavefront_size32 1
		.amdhsa_uses_dynamic_stack 0
		.amdhsa_enable_private_segment 0
		.amdhsa_system_sgpr_workgroup_id_x 1
		.amdhsa_system_sgpr_workgroup_id_y 0
		.amdhsa_system_sgpr_workgroup_id_z 0
		.amdhsa_system_sgpr_workgroup_info 0
		.amdhsa_system_vgpr_workitem_id 0
		.amdhsa_next_free_vgpr 1
		.amdhsa_next_free_sgpr 1
		.amdhsa_reserve_vcc 0
		.amdhsa_float_round_mode_32 0
		.amdhsa_float_round_mode_16_64 0
		.amdhsa_float_denorm_mode_32 3
		.amdhsa_float_denorm_mode_16_64 3
		.amdhsa_fp16_overflow 0
		.amdhsa_workgroup_processor_mode 1
		.amdhsa_memory_ordered 1
		.amdhsa_forward_progress 1
		.amdhsa_inst_pref_size 0
		.amdhsa_round_robin_scheduling 0
		.amdhsa_exception_fp_ieee_invalid_op 0
		.amdhsa_exception_fp_denorm_src 0
		.amdhsa_exception_fp_ieee_div_zero 0
		.amdhsa_exception_fp_ieee_overflow 0
		.amdhsa_exception_fp_ieee_underflow 0
		.amdhsa_exception_fp_ieee_inexact 0
		.amdhsa_exception_int_div_zero 0
	.end_amdhsa_kernel
	.section	.text._ZN7rocprim17ROCPRIM_400000_NS6detail17trampoline_kernelINS0_13select_configILj256ELj13ELNS0_17block_load_methodE3ELS4_3ELS4_3ELNS0_20block_scan_algorithmE0ELj4294967295EEENS1_25partition_config_selectorILNS1_17partition_subalgoE4EjNS0_10empty_typeEbEEZZNS1_14partition_implILS8_4ELb0ES6_15HIP_vector_typeIjLj2EENS0_17counting_iteratorIjlEEPS9_SG_NS0_5tupleIJPjSI_NS0_16reverse_iteratorISI_EEEEENSH_IJSG_SG_SG_EEES9_SI_JZNS1_25segmented_radix_sort_implINS0_14default_configELb1EPKaPaPKlPlN2at6native12_GLOBAL__N_18offset_tEEE10hipError_tPvRmT1_PNSt15iterator_traitsIS12_E10value_typeET2_T3_PNS13_IS18_E10value_typeET4_jRbjT5_S1E_jjP12ihipStream_tbEUljE_ZNSN_ISO_Lb1ESQ_SR_ST_SU_SY_EESZ_S10_S11_S12_S16_S17_S18_S1B_S1C_jS1D_jS1E_S1E_jjS1G_bEUljE0_EEESZ_S10_S11_S18_S1C_S1E_T6_T7_T9_mT8_S1G_bDpT10_ENKUlT_T0_E_clISt17integral_constantIbLb1EES1U_EEDaS1P_S1Q_EUlS1P_E_NS1_11comp_targetILNS1_3genE8ELNS1_11target_archE1030ELNS1_3gpuE2ELNS1_3repE0EEENS1_30default_config_static_selectorELNS0_4arch9wavefront6targetE0EEEvS12_,"axG",@progbits,_ZN7rocprim17ROCPRIM_400000_NS6detail17trampoline_kernelINS0_13select_configILj256ELj13ELNS0_17block_load_methodE3ELS4_3ELS4_3ELNS0_20block_scan_algorithmE0ELj4294967295EEENS1_25partition_config_selectorILNS1_17partition_subalgoE4EjNS0_10empty_typeEbEEZZNS1_14partition_implILS8_4ELb0ES6_15HIP_vector_typeIjLj2EENS0_17counting_iteratorIjlEEPS9_SG_NS0_5tupleIJPjSI_NS0_16reverse_iteratorISI_EEEEENSH_IJSG_SG_SG_EEES9_SI_JZNS1_25segmented_radix_sort_implINS0_14default_configELb1EPKaPaPKlPlN2at6native12_GLOBAL__N_18offset_tEEE10hipError_tPvRmT1_PNSt15iterator_traitsIS12_E10value_typeET2_T3_PNS13_IS18_E10value_typeET4_jRbjT5_S1E_jjP12ihipStream_tbEUljE_ZNSN_ISO_Lb1ESQ_SR_ST_SU_SY_EESZ_S10_S11_S12_S16_S17_S18_S1B_S1C_jS1D_jS1E_S1E_jjS1G_bEUljE0_EEESZ_S10_S11_S18_S1C_S1E_T6_T7_T9_mT8_S1G_bDpT10_ENKUlT_T0_E_clISt17integral_constantIbLb1EES1U_EEDaS1P_S1Q_EUlS1P_E_NS1_11comp_targetILNS1_3genE8ELNS1_11target_archE1030ELNS1_3gpuE2ELNS1_3repE0EEENS1_30default_config_static_selectorELNS0_4arch9wavefront6targetE0EEEvS12_,comdat
.Lfunc_end241:
	.size	_ZN7rocprim17ROCPRIM_400000_NS6detail17trampoline_kernelINS0_13select_configILj256ELj13ELNS0_17block_load_methodE3ELS4_3ELS4_3ELNS0_20block_scan_algorithmE0ELj4294967295EEENS1_25partition_config_selectorILNS1_17partition_subalgoE4EjNS0_10empty_typeEbEEZZNS1_14partition_implILS8_4ELb0ES6_15HIP_vector_typeIjLj2EENS0_17counting_iteratorIjlEEPS9_SG_NS0_5tupleIJPjSI_NS0_16reverse_iteratorISI_EEEEENSH_IJSG_SG_SG_EEES9_SI_JZNS1_25segmented_radix_sort_implINS0_14default_configELb1EPKaPaPKlPlN2at6native12_GLOBAL__N_18offset_tEEE10hipError_tPvRmT1_PNSt15iterator_traitsIS12_E10value_typeET2_T3_PNS13_IS18_E10value_typeET4_jRbjT5_S1E_jjP12ihipStream_tbEUljE_ZNSN_ISO_Lb1ESQ_SR_ST_SU_SY_EESZ_S10_S11_S12_S16_S17_S18_S1B_S1C_jS1D_jS1E_S1E_jjS1G_bEUljE0_EEESZ_S10_S11_S18_S1C_S1E_T6_T7_T9_mT8_S1G_bDpT10_ENKUlT_T0_E_clISt17integral_constantIbLb1EES1U_EEDaS1P_S1Q_EUlS1P_E_NS1_11comp_targetILNS1_3genE8ELNS1_11target_archE1030ELNS1_3gpuE2ELNS1_3repE0EEENS1_30default_config_static_selectorELNS0_4arch9wavefront6targetE0EEEvS12_, .Lfunc_end241-_ZN7rocprim17ROCPRIM_400000_NS6detail17trampoline_kernelINS0_13select_configILj256ELj13ELNS0_17block_load_methodE3ELS4_3ELS4_3ELNS0_20block_scan_algorithmE0ELj4294967295EEENS1_25partition_config_selectorILNS1_17partition_subalgoE4EjNS0_10empty_typeEbEEZZNS1_14partition_implILS8_4ELb0ES6_15HIP_vector_typeIjLj2EENS0_17counting_iteratorIjlEEPS9_SG_NS0_5tupleIJPjSI_NS0_16reverse_iteratorISI_EEEEENSH_IJSG_SG_SG_EEES9_SI_JZNS1_25segmented_radix_sort_implINS0_14default_configELb1EPKaPaPKlPlN2at6native12_GLOBAL__N_18offset_tEEE10hipError_tPvRmT1_PNSt15iterator_traitsIS12_E10value_typeET2_T3_PNS13_IS18_E10value_typeET4_jRbjT5_S1E_jjP12ihipStream_tbEUljE_ZNSN_ISO_Lb1ESQ_SR_ST_SU_SY_EESZ_S10_S11_S12_S16_S17_S18_S1B_S1C_jS1D_jS1E_S1E_jjS1G_bEUljE0_EEESZ_S10_S11_S18_S1C_S1E_T6_T7_T9_mT8_S1G_bDpT10_ENKUlT_T0_E_clISt17integral_constantIbLb1EES1U_EEDaS1P_S1Q_EUlS1P_E_NS1_11comp_targetILNS1_3genE8ELNS1_11target_archE1030ELNS1_3gpuE2ELNS1_3repE0EEENS1_30default_config_static_selectorELNS0_4arch9wavefront6targetE0EEEvS12_
                                        ; -- End function
	.set _ZN7rocprim17ROCPRIM_400000_NS6detail17trampoline_kernelINS0_13select_configILj256ELj13ELNS0_17block_load_methodE3ELS4_3ELS4_3ELNS0_20block_scan_algorithmE0ELj4294967295EEENS1_25partition_config_selectorILNS1_17partition_subalgoE4EjNS0_10empty_typeEbEEZZNS1_14partition_implILS8_4ELb0ES6_15HIP_vector_typeIjLj2EENS0_17counting_iteratorIjlEEPS9_SG_NS0_5tupleIJPjSI_NS0_16reverse_iteratorISI_EEEEENSH_IJSG_SG_SG_EEES9_SI_JZNS1_25segmented_radix_sort_implINS0_14default_configELb1EPKaPaPKlPlN2at6native12_GLOBAL__N_18offset_tEEE10hipError_tPvRmT1_PNSt15iterator_traitsIS12_E10value_typeET2_T3_PNS13_IS18_E10value_typeET4_jRbjT5_S1E_jjP12ihipStream_tbEUljE_ZNSN_ISO_Lb1ESQ_SR_ST_SU_SY_EESZ_S10_S11_S12_S16_S17_S18_S1B_S1C_jS1D_jS1E_S1E_jjS1G_bEUljE0_EEESZ_S10_S11_S18_S1C_S1E_T6_T7_T9_mT8_S1G_bDpT10_ENKUlT_T0_E_clISt17integral_constantIbLb1EES1U_EEDaS1P_S1Q_EUlS1P_E_NS1_11comp_targetILNS1_3genE8ELNS1_11target_archE1030ELNS1_3gpuE2ELNS1_3repE0EEENS1_30default_config_static_selectorELNS0_4arch9wavefront6targetE0EEEvS12_.num_vgpr, 0
	.set _ZN7rocprim17ROCPRIM_400000_NS6detail17trampoline_kernelINS0_13select_configILj256ELj13ELNS0_17block_load_methodE3ELS4_3ELS4_3ELNS0_20block_scan_algorithmE0ELj4294967295EEENS1_25partition_config_selectorILNS1_17partition_subalgoE4EjNS0_10empty_typeEbEEZZNS1_14partition_implILS8_4ELb0ES6_15HIP_vector_typeIjLj2EENS0_17counting_iteratorIjlEEPS9_SG_NS0_5tupleIJPjSI_NS0_16reverse_iteratorISI_EEEEENSH_IJSG_SG_SG_EEES9_SI_JZNS1_25segmented_radix_sort_implINS0_14default_configELb1EPKaPaPKlPlN2at6native12_GLOBAL__N_18offset_tEEE10hipError_tPvRmT1_PNSt15iterator_traitsIS12_E10value_typeET2_T3_PNS13_IS18_E10value_typeET4_jRbjT5_S1E_jjP12ihipStream_tbEUljE_ZNSN_ISO_Lb1ESQ_SR_ST_SU_SY_EESZ_S10_S11_S12_S16_S17_S18_S1B_S1C_jS1D_jS1E_S1E_jjS1G_bEUljE0_EEESZ_S10_S11_S18_S1C_S1E_T6_T7_T9_mT8_S1G_bDpT10_ENKUlT_T0_E_clISt17integral_constantIbLb1EES1U_EEDaS1P_S1Q_EUlS1P_E_NS1_11comp_targetILNS1_3genE8ELNS1_11target_archE1030ELNS1_3gpuE2ELNS1_3repE0EEENS1_30default_config_static_selectorELNS0_4arch9wavefront6targetE0EEEvS12_.num_agpr, 0
	.set _ZN7rocprim17ROCPRIM_400000_NS6detail17trampoline_kernelINS0_13select_configILj256ELj13ELNS0_17block_load_methodE3ELS4_3ELS4_3ELNS0_20block_scan_algorithmE0ELj4294967295EEENS1_25partition_config_selectorILNS1_17partition_subalgoE4EjNS0_10empty_typeEbEEZZNS1_14partition_implILS8_4ELb0ES6_15HIP_vector_typeIjLj2EENS0_17counting_iteratorIjlEEPS9_SG_NS0_5tupleIJPjSI_NS0_16reverse_iteratorISI_EEEEENSH_IJSG_SG_SG_EEES9_SI_JZNS1_25segmented_radix_sort_implINS0_14default_configELb1EPKaPaPKlPlN2at6native12_GLOBAL__N_18offset_tEEE10hipError_tPvRmT1_PNSt15iterator_traitsIS12_E10value_typeET2_T3_PNS13_IS18_E10value_typeET4_jRbjT5_S1E_jjP12ihipStream_tbEUljE_ZNSN_ISO_Lb1ESQ_SR_ST_SU_SY_EESZ_S10_S11_S12_S16_S17_S18_S1B_S1C_jS1D_jS1E_S1E_jjS1G_bEUljE0_EEESZ_S10_S11_S18_S1C_S1E_T6_T7_T9_mT8_S1G_bDpT10_ENKUlT_T0_E_clISt17integral_constantIbLb1EES1U_EEDaS1P_S1Q_EUlS1P_E_NS1_11comp_targetILNS1_3genE8ELNS1_11target_archE1030ELNS1_3gpuE2ELNS1_3repE0EEENS1_30default_config_static_selectorELNS0_4arch9wavefront6targetE0EEEvS12_.numbered_sgpr, 0
	.set _ZN7rocprim17ROCPRIM_400000_NS6detail17trampoline_kernelINS0_13select_configILj256ELj13ELNS0_17block_load_methodE3ELS4_3ELS4_3ELNS0_20block_scan_algorithmE0ELj4294967295EEENS1_25partition_config_selectorILNS1_17partition_subalgoE4EjNS0_10empty_typeEbEEZZNS1_14partition_implILS8_4ELb0ES6_15HIP_vector_typeIjLj2EENS0_17counting_iteratorIjlEEPS9_SG_NS0_5tupleIJPjSI_NS0_16reverse_iteratorISI_EEEEENSH_IJSG_SG_SG_EEES9_SI_JZNS1_25segmented_radix_sort_implINS0_14default_configELb1EPKaPaPKlPlN2at6native12_GLOBAL__N_18offset_tEEE10hipError_tPvRmT1_PNSt15iterator_traitsIS12_E10value_typeET2_T3_PNS13_IS18_E10value_typeET4_jRbjT5_S1E_jjP12ihipStream_tbEUljE_ZNSN_ISO_Lb1ESQ_SR_ST_SU_SY_EESZ_S10_S11_S12_S16_S17_S18_S1B_S1C_jS1D_jS1E_S1E_jjS1G_bEUljE0_EEESZ_S10_S11_S18_S1C_S1E_T6_T7_T9_mT8_S1G_bDpT10_ENKUlT_T0_E_clISt17integral_constantIbLb1EES1U_EEDaS1P_S1Q_EUlS1P_E_NS1_11comp_targetILNS1_3genE8ELNS1_11target_archE1030ELNS1_3gpuE2ELNS1_3repE0EEENS1_30default_config_static_selectorELNS0_4arch9wavefront6targetE0EEEvS12_.num_named_barrier, 0
	.set _ZN7rocprim17ROCPRIM_400000_NS6detail17trampoline_kernelINS0_13select_configILj256ELj13ELNS0_17block_load_methodE3ELS4_3ELS4_3ELNS0_20block_scan_algorithmE0ELj4294967295EEENS1_25partition_config_selectorILNS1_17partition_subalgoE4EjNS0_10empty_typeEbEEZZNS1_14partition_implILS8_4ELb0ES6_15HIP_vector_typeIjLj2EENS0_17counting_iteratorIjlEEPS9_SG_NS0_5tupleIJPjSI_NS0_16reverse_iteratorISI_EEEEENSH_IJSG_SG_SG_EEES9_SI_JZNS1_25segmented_radix_sort_implINS0_14default_configELb1EPKaPaPKlPlN2at6native12_GLOBAL__N_18offset_tEEE10hipError_tPvRmT1_PNSt15iterator_traitsIS12_E10value_typeET2_T3_PNS13_IS18_E10value_typeET4_jRbjT5_S1E_jjP12ihipStream_tbEUljE_ZNSN_ISO_Lb1ESQ_SR_ST_SU_SY_EESZ_S10_S11_S12_S16_S17_S18_S1B_S1C_jS1D_jS1E_S1E_jjS1G_bEUljE0_EEESZ_S10_S11_S18_S1C_S1E_T6_T7_T9_mT8_S1G_bDpT10_ENKUlT_T0_E_clISt17integral_constantIbLb1EES1U_EEDaS1P_S1Q_EUlS1P_E_NS1_11comp_targetILNS1_3genE8ELNS1_11target_archE1030ELNS1_3gpuE2ELNS1_3repE0EEENS1_30default_config_static_selectorELNS0_4arch9wavefront6targetE0EEEvS12_.private_seg_size, 0
	.set _ZN7rocprim17ROCPRIM_400000_NS6detail17trampoline_kernelINS0_13select_configILj256ELj13ELNS0_17block_load_methodE3ELS4_3ELS4_3ELNS0_20block_scan_algorithmE0ELj4294967295EEENS1_25partition_config_selectorILNS1_17partition_subalgoE4EjNS0_10empty_typeEbEEZZNS1_14partition_implILS8_4ELb0ES6_15HIP_vector_typeIjLj2EENS0_17counting_iteratorIjlEEPS9_SG_NS0_5tupleIJPjSI_NS0_16reverse_iteratorISI_EEEEENSH_IJSG_SG_SG_EEES9_SI_JZNS1_25segmented_radix_sort_implINS0_14default_configELb1EPKaPaPKlPlN2at6native12_GLOBAL__N_18offset_tEEE10hipError_tPvRmT1_PNSt15iterator_traitsIS12_E10value_typeET2_T3_PNS13_IS18_E10value_typeET4_jRbjT5_S1E_jjP12ihipStream_tbEUljE_ZNSN_ISO_Lb1ESQ_SR_ST_SU_SY_EESZ_S10_S11_S12_S16_S17_S18_S1B_S1C_jS1D_jS1E_S1E_jjS1G_bEUljE0_EEESZ_S10_S11_S18_S1C_S1E_T6_T7_T9_mT8_S1G_bDpT10_ENKUlT_T0_E_clISt17integral_constantIbLb1EES1U_EEDaS1P_S1Q_EUlS1P_E_NS1_11comp_targetILNS1_3genE8ELNS1_11target_archE1030ELNS1_3gpuE2ELNS1_3repE0EEENS1_30default_config_static_selectorELNS0_4arch9wavefront6targetE0EEEvS12_.uses_vcc, 0
	.set _ZN7rocprim17ROCPRIM_400000_NS6detail17trampoline_kernelINS0_13select_configILj256ELj13ELNS0_17block_load_methodE3ELS4_3ELS4_3ELNS0_20block_scan_algorithmE0ELj4294967295EEENS1_25partition_config_selectorILNS1_17partition_subalgoE4EjNS0_10empty_typeEbEEZZNS1_14partition_implILS8_4ELb0ES6_15HIP_vector_typeIjLj2EENS0_17counting_iteratorIjlEEPS9_SG_NS0_5tupleIJPjSI_NS0_16reverse_iteratorISI_EEEEENSH_IJSG_SG_SG_EEES9_SI_JZNS1_25segmented_radix_sort_implINS0_14default_configELb1EPKaPaPKlPlN2at6native12_GLOBAL__N_18offset_tEEE10hipError_tPvRmT1_PNSt15iterator_traitsIS12_E10value_typeET2_T3_PNS13_IS18_E10value_typeET4_jRbjT5_S1E_jjP12ihipStream_tbEUljE_ZNSN_ISO_Lb1ESQ_SR_ST_SU_SY_EESZ_S10_S11_S12_S16_S17_S18_S1B_S1C_jS1D_jS1E_S1E_jjS1G_bEUljE0_EEESZ_S10_S11_S18_S1C_S1E_T6_T7_T9_mT8_S1G_bDpT10_ENKUlT_T0_E_clISt17integral_constantIbLb1EES1U_EEDaS1P_S1Q_EUlS1P_E_NS1_11comp_targetILNS1_3genE8ELNS1_11target_archE1030ELNS1_3gpuE2ELNS1_3repE0EEENS1_30default_config_static_selectorELNS0_4arch9wavefront6targetE0EEEvS12_.uses_flat_scratch, 0
	.set _ZN7rocprim17ROCPRIM_400000_NS6detail17trampoline_kernelINS0_13select_configILj256ELj13ELNS0_17block_load_methodE3ELS4_3ELS4_3ELNS0_20block_scan_algorithmE0ELj4294967295EEENS1_25partition_config_selectorILNS1_17partition_subalgoE4EjNS0_10empty_typeEbEEZZNS1_14partition_implILS8_4ELb0ES6_15HIP_vector_typeIjLj2EENS0_17counting_iteratorIjlEEPS9_SG_NS0_5tupleIJPjSI_NS0_16reverse_iteratorISI_EEEEENSH_IJSG_SG_SG_EEES9_SI_JZNS1_25segmented_radix_sort_implINS0_14default_configELb1EPKaPaPKlPlN2at6native12_GLOBAL__N_18offset_tEEE10hipError_tPvRmT1_PNSt15iterator_traitsIS12_E10value_typeET2_T3_PNS13_IS18_E10value_typeET4_jRbjT5_S1E_jjP12ihipStream_tbEUljE_ZNSN_ISO_Lb1ESQ_SR_ST_SU_SY_EESZ_S10_S11_S12_S16_S17_S18_S1B_S1C_jS1D_jS1E_S1E_jjS1G_bEUljE0_EEESZ_S10_S11_S18_S1C_S1E_T6_T7_T9_mT8_S1G_bDpT10_ENKUlT_T0_E_clISt17integral_constantIbLb1EES1U_EEDaS1P_S1Q_EUlS1P_E_NS1_11comp_targetILNS1_3genE8ELNS1_11target_archE1030ELNS1_3gpuE2ELNS1_3repE0EEENS1_30default_config_static_selectorELNS0_4arch9wavefront6targetE0EEEvS12_.has_dyn_sized_stack, 0
	.set _ZN7rocprim17ROCPRIM_400000_NS6detail17trampoline_kernelINS0_13select_configILj256ELj13ELNS0_17block_load_methodE3ELS4_3ELS4_3ELNS0_20block_scan_algorithmE0ELj4294967295EEENS1_25partition_config_selectorILNS1_17partition_subalgoE4EjNS0_10empty_typeEbEEZZNS1_14partition_implILS8_4ELb0ES6_15HIP_vector_typeIjLj2EENS0_17counting_iteratorIjlEEPS9_SG_NS0_5tupleIJPjSI_NS0_16reverse_iteratorISI_EEEEENSH_IJSG_SG_SG_EEES9_SI_JZNS1_25segmented_radix_sort_implINS0_14default_configELb1EPKaPaPKlPlN2at6native12_GLOBAL__N_18offset_tEEE10hipError_tPvRmT1_PNSt15iterator_traitsIS12_E10value_typeET2_T3_PNS13_IS18_E10value_typeET4_jRbjT5_S1E_jjP12ihipStream_tbEUljE_ZNSN_ISO_Lb1ESQ_SR_ST_SU_SY_EESZ_S10_S11_S12_S16_S17_S18_S1B_S1C_jS1D_jS1E_S1E_jjS1G_bEUljE0_EEESZ_S10_S11_S18_S1C_S1E_T6_T7_T9_mT8_S1G_bDpT10_ENKUlT_T0_E_clISt17integral_constantIbLb1EES1U_EEDaS1P_S1Q_EUlS1P_E_NS1_11comp_targetILNS1_3genE8ELNS1_11target_archE1030ELNS1_3gpuE2ELNS1_3repE0EEENS1_30default_config_static_selectorELNS0_4arch9wavefront6targetE0EEEvS12_.has_recursion, 0
	.set _ZN7rocprim17ROCPRIM_400000_NS6detail17trampoline_kernelINS0_13select_configILj256ELj13ELNS0_17block_load_methodE3ELS4_3ELS4_3ELNS0_20block_scan_algorithmE0ELj4294967295EEENS1_25partition_config_selectorILNS1_17partition_subalgoE4EjNS0_10empty_typeEbEEZZNS1_14partition_implILS8_4ELb0ES6_15HIP_vector_typeIjLj2EENS0_17counting_iteratorIjlEEPS9_SG_NS0_5tupleIJPjSI_NS0_16reverse_iteratorISI_EEEEENSH_IJSG_SG_SG_EEES9_SI_JZNS1_25segmented_radix_sort_implINS0_14default_configELb1EPKaPaPKlPlN2at6native12_GLOBAL__N_18offset_tEEE10hipError_tPvRmT1_PNSt15iterator_traitsIS12_E10value_typeET2_T3_PNS13_IS18_E10value_typeET4_jRbjT5_S1E_jjP12ihipStream_tbEUljE_ZNSN_ISO_Lb1ESQ_SR_ST_SU_SY_EESZ_S10_S11_S12_S16_S17_S18_S1B_S1C_jS1D_jS1E_S1E_jjS1G_bEUljE0_EEESZ_S10_S11_S18_S1C_S1E_T6_T7_T9_mT8_S1G_bDpT10_ENKUlT_T0_E_clISt17integral_constantIbLb1EES1U_EEDaS1P_S1Q_EUlS1P_E_NS1_11comp_targetILNS1_3genE8ELNS1_11target_archE1030ELNS1_3gpuE2ELNS1_3repE0EEENS1_30default_config_static_selectorELNS0_4arch9wavefront6targetE0EEEvS12_.has_indirect_call, 0
	.section	.AMDGPU.csdata,"",@progbits
; Kernel info:
; codeLenInByte = 0
; TotalNumSgprs: 0
; NumVgprs: 0
; ScratchSize: 0
; MemoryBound: 0
; FloatMode: 240
; IeeeMode: 1
; LDSByteSize: 0 bytes/workgroup (compile time only)
; SGPRBlocks: 0
; VGPRBlocks: 0
; NumSGPRsForWavesPerEU: 1
; NumVGPRsForWavesPerEU: 1
; Occupancy: 16
; WaveLimiterHint : 0
; COMPUTE_PGM_RSRC2:SCRATCH_EN: 0
; COMPUTE_PGM_RSRC2:USER_SGPR: 2
; COMPUTE_PGM_RSRC2:TRAP_HANDLER: 0
; COMPUTE_PGM_RSRC2:TGID_X_EN: 1
; COMPUTE_PGM_RSRC2:TGID_Y_EN: 0
; COMPUTE_PGM_RSRC2:TGID_Z_EN: 0
; COMPUTE_PGM_RSRC2:TIDIG_COMP_CNT: 0
	.section	.text._ZN7rocprim17ROCPRIM_400000_NS6detail17trampoline_kernelINS0_13select_configILj256ELj13ELNS0_17block_load_methodE3ELS4_3ELS4_3ELNS0_20block_scan_algorithmE0ELj4294967295EEENS1_25partition_config_selectorILNS1_17partition_subalgoE4EjNS0_10empty_typeEbEEZZNS1_14partition_implILS8_4ELb0ES6_15HIP_vector_typeIjLj2EENS0_17counting_iteratorIjlEEPS9_SG_NS0_5tupleIJPjSI_NS0_16reverse_iteratorISI_EEEEENSH_IJSG_SG_SG_EEES9_SI_JZNS1_25segmented_radix_sort_implINS0_14default_configELb1EPKaPaPKlPlN2at6native12_GLOBAL__N_18offset_tEEE10hipError_tPvRmT1_PNSt15iterator_traitsIS12_E10value_typeET2_T3_PNS13_IS18_E10value_typeET4_jRbjT5_S1E_jjP12ihipStream_tbEUljE_ZNSN_ISO_Lb1ESQ_SR_ST_SU_SY_EESZ_S10_S11_S12_S16_S17_S18_S1B_S1C_jS1D_jS1E_S1E_jjS1G_bEUljE0_EEESZ_S10_S11_S18_S1C_S1E_T6_T7_T9_mT8_S1G_bDpT10_ENKUlT_T0_E_clISt17integral_constantIbLb1EES1T_IbLb0EEEEDaS1P_S1Q_EUlS1P_E_NS1_11comp_targetILNS1_3genE0ELNS1_11target_archE4294967295ELNS1_3gpuE0ELNS1_3repE0EEENS1_30default_config_static_selectorELNS0_4arch9wavefront6targetE0EEEvS12_,"axG",@progbits,_ZN7rocprim17ROCPRIM_400000_NS6detail17trampoline_kernelINS0_13select_configILj256ELj13ELNS0_17block_load_methodE3ELS4_3ELS4_3ELNS0_20block_scan_algorithmE0ELj4294967295EEENS1_25partition_config_selectorILNS1_17partition_subalgoE4EjNS0_10empty_typeEbEEZZNS1_14partition_implILS8_4ELb0ES6_15HIP_vector_typeIjLj2EENS0_17counting_iteratorIjlEEPS9_SG_NS0_5tupleIJPjSI_NS0_16reverse_iteratorISI_EEEEENSH_IJSG_SG_SG_EEES9_SI_JZNS1_25segmented_radix_sort_implINS0_14default_configELb1EPKaPaPKlPlN2at6native12_GLOBAL__N_18offset_tEEE10hipError_tPvRmT1_PNSt15iterator_traitsIS12_E10value_typeET2_T3_PNS13_IS18_E10value_typeET4_jRbjT5_S1E_jjP12ihipStream_tbEUljE_ZNSN_ISO_Lb1ESQ_SR_ST_SU_SY_EESZ_S10_S11_S12_S16_S17_S18_S1B_S1C_jS1D_jS1E_S1E_jjS1G_bEUljE0_EEESZ_S10_S11_S18_S1C_S1E_T6_T7_T9_mT8_S1G_bDpT10_ENKUlT_T0_E_clISt17integral_constantIbLb1EES1T_IbLb0EEEEDaS1P_S1Q_EUlS1P_E_NS1_11comp_targetILNS1_3genE0ELNS1_11target_archE4294967295ELNS1_3gpuE0ELNS1_3repE0EEENS1_30default_config_static_selectorELNS0_4arch9wavefront6targetE0EEEvS12_,comdat
	.globl	_ZN7rocprim17ROCPRIM_400000_NS6detail17trampoline_kernelINS0_13select_configILj256ELj13ELNS0_17block_load_methodE3ELS4_3ELS4_3ELNS0_20block_scan_algorithmE0ELj4294967295EEENS1_25partition_config_selectorILNS1_17partition_subalgoE4EjNS0_10empty_typeEbEEZZNS1_14partition_implILS8_4ELb0ES6_15HIP_vector_typeIjLj2EENS0_17counting_iteratorIjlEEPS9_SG_NS0_5tupleIJPjSI_NS0_16reverse_iteratorISI_EEEEENSH_IJSG_SG_SG_EEES9_SI_JZNS1_25segmented_radix_sort_implINS0_14default_configELb1EPKaPaPKlPlN2at6native12_GLOBAL__N_18offset_tEEE10hipError_tPvRmT1_PNSt15iterator_traitsIS12_E10value_typeET2_T3_PNS13_IS18_E10value_typeET4_jRbjT5_S1E_jjP12ihipStream_tbEUljE_ZNSN_ISO_Lb1ESQ_SR_ST_SU_SY_EESZ_S10_S11_S12_S16_S17_S18_S1B_S1C_jS1D_jS1E_S1E_jjS1G_bEUljE0_EEESZ_S10_S11_S18_S1C_S1E_T6_T7_T9_mT8_S1G_bDpT10_ENKUlT_T0_E_clISt17integral_constantIbLb1EES1T_IbLb0EEEEDaS1P_S1Q_EUlS1P_E_NS1_11comp_targetILNS1_3genE0ELNS1_11target_archE4294967295ELNS1_3gpuE0ELNS1_3repE0EEENS1_30default_config_static_selectorELNS0_4arch9wavefront6targetE0EEEvS12_ ; -- Begin function _ZN7rocprim17ROCPRIM_400000_NS6detail17trampoline_kernelINS0_13select_configILj256ELj13ELNS0_17block_load_methodE3ELS4_3ELS4_3ELNS0_20block_scan_algorithmE0ELj4294967295EEENS1_25partition_config_selectorILNS1_17partition_subalgoE4EjNS0_10empty_typeEbEEZZNS1_14partition_implILS8_4ELb0ES6_15HIP_vector_typeIjLj2EENS0_17counting_iteratorIjlEEPS9_SG_NS0_5tupleIJPjSI_NS0_16reverse_iteratorISI_EEEEENSH_IJSG_SG_SG_EEES9_SI_JZNS1_25segmented_radix_sort_implINS0_14default_configELb1EPKaPaPKlPlN2at6native12_GLOBAL__N_18offset_tEEE10hipError_tPvRmT1_PNSt15iterator_traitsIS12_E10value_typeET2_T3_PNS13_IS18_E10value_typeET4_jRbjT5_S1E_jjP12ihipStream_tbEUljE_ZNSN_ISO_Lb1ESQ_SR_ST_SU_SY_EESZ_S10_S11_S12_S16_S17_S18_S1B_S1C_jS1D_jS1E_S1E_jjS1G_bEUljE0_EEESZ_S10_S11_S18_S1C_S1E_T6_T7_T9_mT8_S1G_bDpT10_ENKUlT_T0_E_clISt17integral_constantIbLb1EES1T_IbLb0EEEEDaS1P_S1Q_EUlS1P_E_NS1_11comp_targetILNS1_3genE0ELNS1_11target_archE4294967295ELNS1_3gpuE0ELNS1_3repE0EEENS1_30default_config_static_selectorELNS0_4arch9wavefront6targetE0EEEvS12_
	.p2align	8
	.type	_ZN7rocprim17ROCPRIM_400000_NS6detail17trampoline_kernelINS0_13select_configILj256ELj13ELNS0_17block_load_methodE3ELS4_3ELS4_3ELNS0_20block_scan_algorithmE0ELj4294967295EEENS1_25partition_config_selectorILNS1_17partition_subalgoE4EjNS0_10empty_typeEbEEZZNS1_14partition_implILS8_4ELb0ES6_15HIP_vector_typeIjLj2EENS0_17counting_iteratorIjlEEPS9_SG_NS0_5tupleIJPjSI_NS0_16reverse_iteratorISI_EEEEENSH_IJSG_SG_SG_EEES9_SI_JZNS1_25segmented_radix_sort_implINS0_14default_configELb1EPKaPaPKlPlN2at6native12_GLOBAL__N_18offset_tEEE10hipError_tPvRmT1_PNSt15iterator_traitsIS12_E10value_typeET2_T3_PNS13_IS18_E10value_typeET4_jRbjT5_S1E_jjP12ihipStream_tbEUljE_ZNSN_ISO_Lb1ESQ_SR_ST_SU_SY_EESZ_S10_S11_S12_S16_S17_S18_S1B_S1C_jS1D_jS1E_S1E_jjS1G_bEUljE0_EEESZ_S10_S11_S18_S1C_S1E_T6_T7_T9_mT8_S1G_bDpT10_ENKUlT_T0_E_clISt17integral_constantIbLb1EES1T_IbLb0EEEEDaS1P_S1Q_EUlS1P_E_NS1_11comp_targetILNS1_3genE0ELNS1_11target_archE4294967295ELNS1_3gpuE0ELNS1_3repE0EEENS1_30default_config_static_selectorELNS0_4arch9wavefront6targetE0EEEvS12_,@function
_ZN7rocprim17ROCPRIM_400000_NS6detail17trampoline_kernelINS0_13select_configILj256ELj13ELNS0_17block_load_methodE3ELS4_3ELS4_3ELNS0_20block_scan_algorithmE0ELj4294967295EEENS1_25partition_config_selectorILNS1_17partition_subalgoE4EjNS0_10empty_typeEbEEZZNS1_14partition_implILS8_4ELb0ES6_15HIP_vector_typeIjLj2EENS0_17counting_iteratorIjlEEPS9_SG_NS0_5tupleIJPjSI_NS0_16reverse_iteratorISI_EEEEENSH_IJSG_SG_SG_EEES9_SI_JZNS1_25segmented_radix_sort_implINS0_14default_configELb1EPKaPaPKlPlN2at6native12_GLOBAL__N_18offset_tEEE10hipError_tPvRmT1_PNSt15iterator_traitsIS12_E10value_typeET2_T3_PNS13_IS18_E10value_typeET4_jRbjT5_S1E_jjP12ihipStream_tbEUljE_ZNSN_ISO_Lb1ESQ_SR_ST_SU_SY_EESZ_S10_S11_S12_S16_S17_S18_S1B_S1C_jS1D_jS1E_S1E_jjS1G_bEUljE0_EEESZ_S10_S11_S18_S1C_S1E_T6_T7_T9_mT8_S1G_bDpT10_ENKUlT_T0_E_clISt17integral_constantIbLb1EES1T_IbLb0EEEEDaS1P_S1Q_EUlS1P_E_NS1_11comp_targetILNS1_3genE0ELNS1_11target_archE4294967295ELNS1_3gpuE0ELNS1_3repE0EEENS1_30default_config_static_selectorELNS0_4arch9wavefront6targetE0EEEvS12_: ; @_ZN7rocprim17ROCPRIM_400000_NS6detail17trampoline_kernelINS0_13select_configILj256ELj13ELNS0_17block_load_methodE3ELS4_3ELS4_3ELNS0_20block_scan_algorithmE0ELj4294967295EEENS1_25partition_config_selectorILNS1_17partition_subalgoE4EjNS0_10empty_typeEbEEZZNS1_14partition_implILS8_4ELb0ES6_15HIP_vector_typeIjLj2EENS0_17counting_iteratorIjlEEPS9_SG_NS0_5tupleIJPjSI_NS0_16reverse_iteratorISI_EEEEENSH_IJSG_SG_SG_EEES9_SI_JZNS1_25segmented_radix_sort_implINS0_14default_configELb1EPKaPaPKlPlN2at6native12_GLOBAL__N_18offset_tEEE10hipError_tPvRmT1_PNSt15iterator_traitsIS12_E10value_typeET2_T3_PNS13_IS18_E10value_typeET4_jRbjT5_S1E_jjP12ihipStream_tbEUljE_ZNSN_ISO_Lb1ESQ_SR_ST_SU_SY_EESZ_S10_S11_S12_S16_S17_S18_S1B_S1C_jS1D_jS1E_S1E_jjS1G_bEUljE0_EEESZ_S10_S11_S18_S1C_S1E_T6_T7_T9_mT8_S1G_bDpT10_ENKUlT_T0_E_clISt17integral_constantIbLb1EES1T_IbLb0EEEEDaS1P_S1Q_EUlS1P_E_NS1_11comp_targetILNS1_3genE0ELNS1_11target_archE4294967295ELNS1_3gpuE0ELNS1_3repE0EEENS1_30default_config_static_selectorELNS0_4arch9wavefront6targetE0EEEvS12_
; %bb.0:
	.section	.rodata,"a",@progbits
	.p2align	6, 0x0
	.amdhsa_kernel _ZN7rocprim17ROCPRIM_400000_NS6detail17trampoline_kernelINS0_13select_configILj256ELj13ELNS0_17block_load_methodE3ELS4_3ELS4_3ELNS0_20block_scan_algorithmE0ELj4294967295EEENS1_25partition_config_selectorILNS1_17partition_subalgoE4EjNS0_10empty_typeEbEEZZNS1_14partition_implILS8_4ELb0ES6_15HIP_vector_typeIjLj2EENS0_17counting_iteratorIjlEEPS9_SG_NS0_5tupleIJPjSI_NS0_16reverse_iteratorISI_EEEEENSH_IJSG_SG_SG_EEES9_SI_JZNS1_25segmented_radix_sort_implINS0_14default_configELb1EPKaPaPKlPlN2at6native12_GLOBAL__N_18offset_tEEE10hipError_tPvRmT1_PNSt15iterator_traitsIS12_E10value_typeET2_T3_PNS13_IS18_E10value_typeET4_jRbjT5_S1E_jjP12ihipStream_tbEUljE_ZNSN_ISO_Lb1ESQ_SR_ST_SU_SY_EESZ_S10_S11_S12_S16_S17_S18_S1B_S1C_jS1D_jS1E_S1E_jjS1G_bEUljE0_EEESZ_S10_S11_S18_S1C_S1E_T6_T7_T9_mT8_S1G_bDpT10_ENKUlT_T0_E_clISt17integral_constantIbLb1EES1T_IbLb0EEEEDaS1P_S1Q_EUlS1P_E_NS1_11comp_targetILNS1_3genE0ELNS1_11target_archE4294967295ELNS1_3gpuE0ELNS1_3repE0EEENS1_30default_config_static_selectorELNS0_4arch9wavefront6targetE0EEEvS12_
		.amdhsa_group_segment_fixed_size 0
		.amdhsa_private_segment_fixed_size 0
		.amdhsa_kernarg_size 176
		.amdhsa_user_sgpr_count 2
		.amdhsa_user_sgpr_dispatch_ptr 0
		.amdhsa_user_sgpr_queue_ptr 0
		.amdhsa_user_sgpr_kernarg_segment_ptr 1
		.amdhsa_user_sgpr_dispatch_id 0
		.amdhsa_user_sgpr_private_segment_size 0
		.amdhsa_wavefront_size32 1
		.amdhsa_uses_dynamic_stack 0
		.amdhsa_enable_private_segment 0
		.amdhsa_system_sgpr_workgroup_id_x 1
		.amdhsa_system_sgpr_workgroup_id_y 0
		.amdhsa_system_sgpr_workgroup_id_z 0
		.amdhsa_system_sgpr_workgroup_info 0
		.amdhsa_system_vgpr_workitem_id 0
		.amdhsa_next_free_vgpr 1
		.amdhsa_next_free_sgpr 1
		.amdhsa_reserve_vcc 0
		.amdhsa_float_round_mode_32 0
		.amdhsa_float_round_mode_16_64 0
		.amdhsa_float_denorm_mode_32 3
		.amdhsa_float_denorm_mode_16_64 3
		.amdhsa_fp16_overflow 0
		.amdhsa_workgroup_processor_mode 1
		.amdhsa_memory_ordered 1
		.amdhsa_forward_progress 1
		.amdhsa_inst_pref_size 0
		.amdhsa_round_robin_scheduling 0
		.amdhsa_exception_fp_ieee_invalid_op 0
		.amdhsa_exception_fp_denorm_src 0
		.amdhsa_exception_fp_ieee_div_zero 0
		.amdhsa_exception_fp_ieee_overflow 0
		.amdhsa_exception_fp_ieee_underflow 0
		.amdhsa_exception_fp_ieee_inexact 0
		.amdhsa_exception_int_div_zero 0
	.end_amdhsa_kernel
	.section	.text._ZN7rocprim17ROCPRIM_400000_NS6detail17trampoline_kernelINS0_13select_configILj256ELj13ELNS0_17block_load_methodE3ELS4_3ELS4_3ELNS0_20block_scan_algorithmE0ELj4294967295EEENS1_25partition_config_selectorILNS1_17partition_subalgoE4EjNS0_10empty_typeEbEEZZNS1_14partition_implILS8_4ELb0ES6_15HIP_vector_typeIjLj2EENS0_17counting_iteratorIjlEEPS9_SG_NS0_5tupleIJPjSI_NS0_16reverse_iteratorISI_EEEEENSH_IJSG_SG_SG_EEES9_SI_JZNS1_25segmented_radix_sort_implINS0_14default_configELb1EPKaPaPKlPlN2at6native12_GLOBAL__N_18offset_tEEE10hipError_tPvRmT1_PNSt15iterator_traitsIS12_E10value_typeET2_T3_PNS13_IS18_E10value_typeET4_jRbjT5_S1E_jjP12ihipStream_tbEUljE_ZNSN_ISO_Lb1ESQ_SR_ST_SU_SY_EESZ_S10_S11_S12_S16_S17_S18_S1B_S1C_jS1D_jS1E_S1E_jjS1G_bEUljE0_EEESZ_S10_S11_S18_S1C_S1E_T6_T7_T9_mT8_S1G_bDpT10_ENKUlT_T0_E_clISt17integral_constantIbLb1EES1T_IbLb0EEEEDaS1P_S1Q_EUlS1P_E_NS1_11comp_targetILNS1_3genE0ELNS1_11target_archE4294967295ELNS1_3gpuE0ELNS1_3repE0EEENS1_30default_config_static_selectorELNS0_4arch9wavefront6targetE0EEEvS12_,"axG",@progbits,_ZN7rocprim17ROCPRIM_400000_NS6detail17trampoline_kernelINS0_13select_configILj256ELj13ELNS0_17block_load_methodE3ELS4_3ELS4_3ELNS0_20block_scan_algorithmE0ELj4294967295EEENS1_25partition_config_selectorILNS1_17partition_subalgoE4EjNS0_10empty_typeEbEEZZNS1_14partition_implILS8_4ELb0ES6_15HIP_vector_typeIjLj2EENS0_17counting_iteratorIjlEEPS9_SG_NS0_5tupleIJPjSI_NS0_16reverse_iteratorISI_EEEEENSH_IJSG_SG_SG_EEES9_SI_JZNS1_25segmented_radix_sort_implINS0_14default_configELb1EPKaPaPKlPlN2at6native12_GLOBAL__N_18offset_tEEE10hipError_tPvRmT1_PNSt15iterator_traitsIS12_E10value_typeET2_T3_PNS13_IS18_E10value_typeET4_jRbjT5_S1E_jjP12ihipStream_tbEUljE_ZNSN_ISO_Lb1ESQ_SR_ST_SU_SY_EESZ_S10_S11_S12_S16_S17_S18_S1B_S1C_jS1D_jS1E_S1E_jjS1G_bEUljE0_EEESZ_S10_S11_S18_S1C_S1E_T6_T7_T9_mT8_S1G_bDpT10_ENKUlT_T0_E_clISt17integral_constantIbLb1EES1T_IbLb0EEEEDaS1P_S1Q_EUlS1P_E_NS1_11comp_targetILNS1_3genE0ELNS1_11target_archE4294967295ELNS1_3gpuE0ELNS1_3repE0EEENS1_30default_config_static_selectorELNS0_4arch9wavefront6targetE0EEEvS12_,comdat
.Lfunc_end242:
	.size	_ZN7rocprim17ROCPRIM_400000_NS6detail17trampoline_kernelINS0_13select_configILj256ELj13ELNS0_17block_load_methodE3ELS4_3ELS4_3ELNS0_20block_scan_algorithmE0ELj4294967295EEENS1_25partition_config_selectorILNS1_17partition_subalgoE4EjNS0_10empty_typeEbEEZZNS1_14partition_implILS8_4ELb0ES6_15HIP_vector_typeIjLj2EENS0_17counting_iteratorIjlEEPS9_SG_NS0_5tupleIJPjSI_NS0_16reverse_iteratorISI_EEEEENSH_IJSG_SG_SG_EEES9_SI_JZNS1_25segmented_radix_sort_implINS0_14default_configELb1EPKaPaPKlPlN2at6native12_GLOBAL__N_18offset_tEEE10hipError_tPvRmT1_PNSt15iterator_traitsIS12_E10value_typeET2_T3_PNS13_IS18_E10value_typeET4_jRbjT5_S1E_jjP12ihipStream_tbEUljE_ZNSN_ISO_Lb1ESQ_SR_ST_SU_SY_EESZ_S10_S11_S12_S16_S17_S18_S1B_S1C_jS1D_jS1E_S1E_jjS1G_bEUljE0_EEESZ_S10_S11_S18_S1C_S1E_T6_T7_T9_mT8_S1G_bDpT10_ENKUlT_T0_E_clISt17integral_constantIbLb1EES1T_IbLb0EEEEDaS1P_S1Q_EUlS1P_E_NS1_11comp_targetILNS1_3genE0ELNS1_11target_archE4294967295ELNS1_3gpuE0ELNS1_3repE0EEENS1_30default_config_static_selectorELNS0_4arch9wavefront6targetE0EEEvS12_, .Lfunc_end242-_ZN7rocprim17ROCPRIM_400000_NS6detail17trampoline_kernelINS0_13select_configILj256ELj13ELNS0_17block_load_methodE3ELS4_3ELS4_3ELNS0_20block_scan_algorithmE0ELj4294967295EEENS1_25partition_config_selectorILNS1_17partition_subalgoE4EjNS0_10empty_typeEbEEZZNS1_14partition_implILS8_4ELb0ES6_15HIP_vector_typeIjLj2EENS0_17counting_iteratorIjlEEPS9_SG_NS0_5tupleIJPjSI_NS0_16reverse_iteratorISI_EEEEENSH_IJSG_SG_SG_EEES9_SI_JZNS1_25segmented_radix_sort_implINS0_14default_configELb1EPKaPaPKlPlN2at6native12_GLOBAL__N_18offset_tEEE10hipError_tPvRmT1_PNSt15iterator_traitsIS12_E10value_typeET2_T3_PNS13_IS18_E10value_typeET4_jRbjT5_S1E_jjP12ihipStream_tbEUljE_ZNSN_ISO_Lb1ESQ_SR_ST_SU_SY_EESZ_S10_S11_S12_S16_S17_S18_S1B_S1C_jS1D_jS1E_S1E_jjS1G_bEUljE0_EEESZ_S10_S11_S18_S1C_S1E_T6_T7_T9_mT8_S1G_bDpT10_ENKUlT_T0_E_clISt17integral_constantIbLb1EES1T_IbLb0EEEEDaS1P_S1Q_EUlS1P_E_NS1_11comp_targetILNS1_3genE0ELNS1_11target_archE4294967295ELNS1_3gpuE0ELNS1_3repE0EEENS1_30default_config_static_selectorELNS0_4arch9wavefront6targetE0EEEvS12_
                                        ; -- End function
	.set _ZN7rocprim17ROCPRIM_400000_NS6detail17trampoline_kernelINS0_13select_configILj256ELj13ELNS0_17block_load_methodE3ELS4_3ELS4_3ELNS0_20block_scan_algorithmE0ELj4294967295EEENS1_25partition_config_selectorILNS1_17partition_subalgoE4EjNS0_10empty_typeEbEEZZNS1_14partition_implILS8_4ELb0ES6_15HIP_vector_typeIjLj2EENS0_17counting_iteratorIjlEEPS9_SG_NS0_5tupleIJPjSI_NS0_16reverse_iteratorISI_EEEEENSH_IJSG_SG_SG_EEES9_SI_JZNS1_25segmented_radix_sort_implINS0_14default_configELb1EPKaPaPKlPlN2at6native12_GLOBAL__N_18offset_tEEE10hipError_tPvRmT1_PNSt15iterator_traitsIS12_E10value_typeET2_T3_PNS13_IS18_E10value_typeET4_jRbjT5_S1E_jjP12ihipStream_tbEUljE_ZNSN_ISO_Lb1ESQ_SR_ST_SU_SY_EESZ_S10_S11_S12_S16_S17_S18_S1B_S1C_jS1D_jS1E_S1E_jjS1G_bEUljE0_EEESZ_S10_S11_S18_S1C_S1E_T6_T7_T9_mT8_S1G_bDpT10_ENKUlT_T0_E_clISt17integral_constantIbLb1EES1T_IbLb0EEEEDaS1P_S1Q_EUlS1P_E_NS1_11comp_targetILNS1_3genE0ELNS1_11target_archE4294967295ELNS1_3gpuE0ELNS1_3repE0EEENS1_30default_config_static_selectorELNS0_4arch9wavefront6targetE0EEEvS12_.num_vgpr, 0
	.set _ZN7rocprim17ROCPRIM_400000_NS6detail17trampoline_kernelINS0_13select_configILj256ELj13ELNS0_17block_load_methodE3ELS4_3ELS4_3ELNS0_20block_scan_algorithmE0ELj4294967295EEENS1_25partition_config_selectorILNS1_17partition_subalgoE4EjNS0_10empty_typeEbEEZZNS1_14partition_implILS8_4ELb0ES6_15HIP_vector_typeIjLj2EENS0_17counting_iteratorIjlEEPS9_SG_NS0_5tupleIJPjSI_NS0_16reverse_iteratorISI_EEEEENSH_IJSG_SG_SG_EEES9_SI_JZNS1_25segmented_radix_sort_implINS0_14default_configELb1EPKaPaPKlPlN2at6native12_GLOBAL__N_18offset_tEEE10hipError_tPvRmT1_PNSt15iterator_traitsIS12_E10value_typeET2_T3_PNS13_IS18_E10value_typeET4_jRbjT5_S1E_jjP12ihipStream_tbEUljE_ZNSN_ISO_Lb1ESQ_SR_ST_SU_SY_EESZ_S10_S11_S12_S16_S17_S18_S1B_S1C_jS1D_jS1E_S1E_jjS1G_bEUljE0_EEESZ_S10_S11_S18_S1C_S1E_T6_T7_T9_mT8_S1G_bDpT10_ENKUlT_T0_E_clISt17integral_constantIbLb1EES1T_IbLb0EEEEDaS1P_S1Q_EUlS1P_E_NS1_11comp_targetILNS1_3genE0ELNS1_11target_archE4294967295ELNS1_3gpuE0ELNS1_3repE0EEENS1_30default_config_static_selectorELNS0_4arch9wavefront6targetE0EEEvS12_.num_agpr, 0
	.set _ZN7rocprim17ROCPRIM_400000_NS6detail17trampoline_kernelINS0_13select_configILj256ELj13ELNS0_17block_load_methodE3ELS4_3ELS4_3ELNS0_20block_scan_algorithmE0ELj4294967295EEENS1_25partition_config_selectorILNS1_17partition_subalgoE4EjNS0_10empty_typeEbEEZZNS1_14partition_implILS8_4ELb0ES6_15HIP_vector_typeIjLj2EENS0_17counting_iteratorIjlEEPS9_SG_NS0_5tupleIJPjSI_NS0_16reverse_iteratorISI_EEEEENSH_IJSG_SG_SG_EEES9_SI_JZNS1_25segmented_radix_sort_implINS0_14default_configELb1EPKaPaPKlPlN2at6native12_GLOBAL__N_18offset_tEEE10hipError_tPvRmT1_PNSt15iterator_traitsIS12_E10value_typeET2_T3_PNS13_IS18_E10value_typeET4_jRbjT5_S1E_jjP12ihipStream_tbEUljE_ZNSN_ISO_Lb1ESQ_SR_ST_SU_SY_EESZ_S10_S11_S12_S16_S17_S18_S1B_S1C_jS1D_jS1E_S1E_jjS1G_bEUljE0_EEESZ_S10_S11_S18_S1C_S1E_T6_T7_T9_mT8_S1G_bDpT10_ENKUlT_T0_E_clISt17integral_constantIbLb1EES1T_IbLb0EEEEDaS1P_S1Q_EUlS1P_E_NS1_11comp_targetILNS1_3genE0ELNS1_11target_archE4294967295ELNS1_3gpuE0ELNS1_3repE0EEENS1_30default_config_static_selectorELNS0_4arch9wavefront6targetE0EEEvS12_.numbered_sgpr, 0
	.set _ZN7rocprim17ROCPRIM_400000_NS6detail17trampoline_kernelINS0_13select_configILj256ELj13ELNS0_17block_load_methodE3ELS4_3ELS4_3ELNS0_20block_scan_algorithmE0ELj4294967295EEENS1_25partition_config_selectorILNS1_17partition_subalgoE4EjNS0_10empty_typeEbEEZZNS1_14partition_implILS8_4ELb0ES6_15HIP_vector_typeIjLj2EENS0_17counting_iteratorIjlEEPS9_SG_NS0_5tupleIJPjSI_NS0_16reverse_iteratorISI_EEEEENSH_IJSG_SG_SG_EEES9_SI_JZNS1_25segmented_radix_sort_implINS0_14default_configELb1EPKaPaPKlPlN2at6native12_GLOBAL__N_18offset_tEEE10hipError_tPvRmT1_PNSt15iterator_traitsIS12_E10value_typeET2_T3_PNS13_IS18_E10value_typeET4_jRbjT5_S1E_jjP12ihipStream_tbEUljE_ZNSN_ISO_Lb1ESQ_SR_ST_SU_SY_EESZ_S10_S11_S12_S16_S17_S18_S1B_S1C_jS1D_jS1E_S1E_jjS1G_bEUljE0_EEESZ_S10_S11_S18_S1C_S1E_T6_T7_T9_mT8_S1G_bDpT10_ENKUlT_T0_E_clISt17integral_constantIbLb1EES1T_IbLb0EEEEDaS1P_S1Q_EUlS1P_E_NS1_11comp_targetILNS1_3genE0ELNS1_11target_archE4294967295ELNS1_3gpuE0ELNS1_3repE0EEENS1_30default_config_static_selectorELNS0_4arch9wavefront6targetE0EEEvS12_.num_named_barrier, 0
	.set _ZN7rocprim17ROCPRIM_400000_NS6detail17trampoline_kernelINS0_13select_configILj256ELj13ELNS0_17block_load_methodE3ELS4_3ELS4_3ELNS0_20block_scan_algorithmE0ELj4294967295EEENS1_25partition_config_selectorILNS1_17partition_subalgoE4EjNS0_10empty_typeEbEEZZNS1_14partition_implILS8_4ELb0ES6_15HIP_vector_typeIjLj2EENS0_17counting_iteratorIjlEEPS9_SG_NS0_5tupleIJPjSI_NS0_16reverse_iteratorISI_EEEEENSH_IJSG_SG_SG_EEES9_SI_JZNS1_25segmented_radix_sort_implINS0_14default_configELb1EPKaPaPKlPlN2at6native12_GLOBAL__N_18offset_tEEE10hipError_tPvRmT1_PNSt15iterator_traitsIS12_E10value_typeET2_T3_PNS13_IS18_E10value_typeET4_jRbjT5_S1E_jjP12ihipStream_tbEUljE_ZNSN_ISO_Lb1ESQ_SR_ST_SU_SY_EESZ_S10_S11_S12_S16_S17_S18_S1B_S1C_jS1D_jS1E_S1E_jjS1G_bEUljE0_EEESZ_S10_S11_S18_S1C_S1E_T6_T7_T9_mT8_S1G_bDpT10_ENKUlT_T0_E_clISt17integral_constantIbLb1EES1T_IbLb0EEEEDaS1P_S1Q_EUlS1P_E_NS1_11comp_targetILNS1_3genE0ELNS1_11target_archE4294967295ELNS1_3gpuE0ELNS1_3repE0EEENS1_30default_config_static_selectorELNS0_4arch9wavefront6targetE0EEEvS12_.private_seg_size, 0
	.set _ZN7rocprim17ROCPRIM_400000_NS6detail17trampoline_kernelINS0_13select_configILj256ELj13ELNS0_17block_load_methodE3ELS4_3ELS4_3ELNS0_20block_scan_algorithmE0ELj4294967295EEENS1_25partition_config_selectorILNS1_17partition_subalgoE4EjNS0_10empty_typeEbEEZZNS1_14partition_implILS8_4ELb0ES6_15HIP_vector_typeIjLj2EENS0_17counting_iteratorIjlEEPS9_SG_NS0_5tupleIJPjSI_NS0_16reverse_iteratorISI_EEEEENSH_IJSG_SG_SG_EEES9_SI_JZNS1_25segmented_radix_sort_implINS0_14default_configELb1EPKaPaPKlPlN2at6native12_GLOBAL__N_18offset_tEEE10hipError_tPvRmT1_PNSt15iterator_traitsIS12_E10value_typeET2_T3_PNS13_IS18_E10value_typeET4_jRbjT5_S1E_jjP12ihipStream_tbEUljE_ZNSN_ISO_Lb1ESQ_SR_ST_SU_SY_EESZ_S10_S11_S12_S16_S17_S18_S1B_S1C_jS1D_jS1E_S1E_jjS1G_bEUljE0_EEESZ_S10_S11_S18_S1C_S1E_T6_T7_T9_mT8_S1G_bDpT10_ENKUlT_T0_E_clISt17integral_constantIbLb1EES1T_IbLb0EEEEDaS1P_S1Q_EUlS1P_E_NS1_11comp_targetILNS1_3genE0ELNS1_11target_archE4294967295ELNS1_3gpuE0ELNS1_3repE0EEENS1_30default_config_static_selectorELNS0_4arch9wavefront6targetE0EEEvS12_.uses_vcc, 0
	.set _ZN7rocprim17ROCPRIM_400000_NS6detail17trampoline_kernelINS0_13select_configILj256ELj13ELNS0_17block_load_methodE3ELS4_3ELS4_3ELNS0_20block_scan_algorithmE0ELj4294967295EEENS1_25partition_config_selectorILNS1_17partition_subalgoE4EjNS0_10empty_typeEbEEZZNS1_14partition_implILS8_4ELb0ES6_15HIP_vector_typeIjLj2EENS0_17counting_iteratorIjlEEPS9_SG_NS0_5tupleIJPjSI_NS0_16reverse_iteratorISI_EEEEENSH_IJSG_SG_SG_EEES9_SI_JZNS1_25segmented_radix_sort_implINS0_14default_configELb1EPKaPaPKlPlN2at6native12_GLOBAL__N_18offset_tEEE10hipError_tPvRmT1_PNSt15iterator_traitsIS12_E10value_typeET2_T3_PNS13_IS18_E10value_typeET4_jRbjT5_S1E_jjP12ihipStream_tbEUljE_ZNSN_ISO_Lb1ESQ_SR_ST_SU_SY_EESZ_S10_S11_S12_S16_S17_S18_S1B_S1C_jS1D_jS1E_S1E_jjS1G_bEUljE0_EEESZ_S10_S11_S18_S1C_S1E_T6_T7_T9_mT8_S1G_bDpT10_ENKUlT_T0_E_clISt17integral_constantIbLb1EES1T_IbLb0EEEEDaS1P_S1Q_EUlS1P_E_NS1_11comp_targetILNS1_3genE0ELNS1_11target_archE4294967295ELNS1_3gpuE0ELNS1_3repE0EEENS1_30default_config_static_selectorELNS0_4arch9wavefront6targetE0EEEvS12_.uses_flat_scratch, 0
	.set _ZN7rocprim17ROCPRIM_400000_NS6detail17trampoline_kernelINS0_13select_configILj256ELj13ELNS0_17block_load_methodE3ELS4_3ELS4_3ELNS0_20block_scan_algorithmE0ELj4294967295EEENS1_25partition_config_selectorILNS1_17partition_subalgoE4EjNS0_10empty_typeEbEEZZNS1_14partition_implILS8_4ELb0ES6_15HIP_vector_typeIjLj2EENS0_17counting_iteratorIjlEEPS9_SG_NS0_5tupleIJPjSI_NS0_16reverse_iteratorISI_EEEEENSH_IJSG_SG_SG_EEES9_SI_JZNS1_25segmented_radix_sort_implINS0_14default_configELb1EPKaPaPKlPlN2at6native12_GLOBAL__N_18offset_tEEE10hipError_tPvRmT1_PNSt15iterator_traitsIS12_E10value_typeET2_T3_PNS13_IS18_E10value_typeET4_jRbjT5_S1E_jjP12ihipStream_tbEUljE_ZNSN_ISO_Lb1ESQ_SR_ST_SU_SY_EESZ_S10_S11_S12_S16_S17_S18_S1B_S1C_jS1D_jS1E_S1E_jjS1G_bEUljE0_EEESZ_S10_S11_S18_S1C_S1E_T6_T7_T9_mT8_S1G_bDpT10_ENKUlT_T0_E_clISt17integral_constantIbLb1EES1T_IbLb0EEEEDaS1P_S1Q_EUlS1P_E_NS1_11comp_targetILNS1_3genE0ELNS1_11target_archE4294967295ELNS1_3gpuE0ELNS1_3repE0EEENS1_30default_config_static_selectorELNS0_4arch9wavefront6targetE0EEEvS12_.has_dyn_sized_stack, 0
	.set _ZN7rocprim17ROCPRIM_400000_NS6detail17trampoline_kernelINS0_13select_configILj256ELj13ELNS0_17block_load_methodE3ELS4_3ELS4_3ELNS0_20block_scan_algorithmE0ELj4294967295EEENS1_25partition_config_selectorILNS1_17partition_subalgoE4EjNS0_10empty_typeEbEEZZNS1_14partition_implILS8_4ELb0ES6_15HIP_vector_typeIjLj2EENS0_17counting_iteratorIjlEEPS9_SG_NS0_5tupleIJPjSI_NS0_16reverse_iteratorISI_EEEEENSH_IJSG_SG_SG_EEES9_SI_JZNS1_25segmented_radix_sort_implINS0_14default_configELb1EPKaPaPKlPlN2at6native12_GLOBAL__N_18offset_tEEE10hipError_tPvRmT1_PNSt15iterator_traitsIS12_E10value_typeET2_T3_PNS13_IS18_E10value_typeET4_jRbjT5_S1E_jjP12ihipStream_tbEUljE_ZNSN_ISO_Lb1ESQ_SR_ST_SU_SY_EESZ_S10_S11_S12_S16_S17_S18_S1B_S1C_jS1D_jS1E_S1E_jjS1G_bEUljE0_EEESZ_S10_S11_S18_S1C_S1E_T6_T7_T9_mT8_S1G_bDpT10_ENKUlT_T0_E_clISt17integral_constantIbLb1EES1T_IbLb0EEEEDaS1P_S1Q_EUlS1P_E_NS1_11comp_targetILNS1_3genE0ELNS1_11target_archE4294967295ELNS1_3gpuE0ELNS1_3repE0EEENS1_30default_config_static_selectorELNS0_4arch9wavefront6targetE0EEEvS12_.has_recursion, 0
	.set _ZN7rocprim17ROCPRIM_400000_NS6detail17trampoline_kernelINS0_13select_configILj256ELj13ELNS0_17block_load_methodE3ELS4_3ELS4_3ELNS0_20block_scan_algorithmE0ELj4294967295EEENS1_25partition_config_selectorILNS1_17partition_subalgoE4EjNS0_10empty_typeEbEEZZNS1_14partition_implILS8_4ELb0ES6_15HIP_vector_typeIjLj2EENS0_17counting_iteratorIjlEEPS9_SG_NS0_5tupleIJPjSI_NS0_16reverse_iteratorISI_EEEEENSH_IJSG_SG_SG_EEES9_SI_JZNS1_25segmented_radix_sort_implINS0_14default_configELb1EPKaPaPKlPlN2at6native12_GLOBAL__N_18offset_tEEE10hipError_tPvRmT1_PNSt15iterator_traitsIS12_E10value_typeET2_T3_PNS13_IS18_E10value_typeET4_jRbjT5_S1E_jjP12ihipStream_tbEUljE_ZNSN_ISO_Lb1ESQ_SR_ST_SU_SY_EESZ_S10_S11_S12_S16_S17_S18_S1B_S1C_jS1D_jS1E_S1E_jjS1G_bEUljE0_EEESZ_S10_S11_S18_S1C_S1E_T6_T7_T9_mT8_S1G_bDpT10_ENKUlT_T0_E_clISt17integral_constantIbLb1EES1T_IbLb0EEEEDaS1P_S1Q_EUlS1P_E_NS1_11comp_targetILNS1_3genE0ELNS1_11target_archE4294967295ELNS1_3gpuE0ELNS1_3repE0EEENS1_30default_config_static_selectorELNS0_4arch9wavefront6targetE0EEEvS12_.has_indirect_call, 0
	.section	.AMDGPU.csdata,"",@progbits
; Kernel info:
; codeLenInByte = 0
; TotalNumSgprs: 0
; NumVgprs: 0
; ScratchSize: 0
; MemoryBound: 0
; FloatMode: 240
; IeeeMode: 1
; LDSByteSize: 0 bytes/workgroup (compile time only)
; SGPRBlocks: 0
; VGPRBlocks: 0
; NumSGPRsForWavesPerEU: 1
; NumVGPRsForWavesPerEU: 1
; Occupancy: 16
; WaveLimiterHint : 0
; COMPUTE_PGM_RSRC2:SCRATCH_EN: 0
; COMPUTE_PGM_RSRC2:USER_SGPR: 2
; COMPUTE_PGM_RSRC2:TRAP_HANDLER: 0
; COMPUTE_PGM_RSRC2:TGID_X_EN: 1
; COMPUTE_PGM_RSRC2:TGID_Y_EN: 0
; COMPUTE_PGM_RSRC2:TGID_Z_EN: 0
; COMPUTE_PGM_RSRC2:TIDIG_COMP_CNT: 0
	.section	.text._ZN7rocprim17ROCPRIM_400000_NS6detail17trampoline_kernelINS0_13select_configILj256ELj13ELNS0_17block_load_methodE3ELS4_3ELS4_3ELNS0_20block_scan_algorithmE0ELj4294967295EEENS1_25partition_config_selectorILNS1_17partition_subalgoE4EjNS0_10empty_typeEbEEZZNS1_14partition_implILS8_4ELb0ES6_15HIP_vector_typeIjLj2EENS0_17counting_iteratorIjlEEPS9_SG_NS0_5tupleIJPjSI_NS0_16reverse_iteratorISI_EEEEENSH_IJSG_SG_SG_EEES9_SI_JZNS1_25segmented_radix_sort_implINS0_14default_configELb1EPKaPaPKlPlN2at6native12_GLOBAL__N_18offset_tEEE10hipError_tPvRmT1_PNSt15iterator_traitsIS12_E10value_typeET2_T3_PNS13_IS18_E10value_typeET4_jRbjT5_S1E_jjP12ihipStream_tbEUljE_ZNSN_ISO_Lb1ESQ_SR_ST_SU_SY_EESZ_S10_S11_S12_S16_S17_S18_S1B_S1C_jS1D_jS1E_S1E_jjS1G_bEUljE0_EEESZ_S10_S11_S18_S1C_S1E_T6_T7_T9_mT8_S1G_bDpT10_ENKUlT_T0_E_clISt17integral_constantIbLb1EES1T_IbLb0EEEEDaS1P_S1Q_EUlS1P_E_NS1_11comp_targetILNS1_3genE5ELNS1_11target_archE942ELNS1_3gpuE9ELNS1_3repE0EEENS1_30default_config_static_selectorELNS0_4arch9wavefront6targetE0EEEvS12_,"axG",@progbits,_ZN7rocprim17ROCPRIM_400000_NS6detail17trampoline_kernelINS0_13select_configILj256ELj13ELNS0_17block_load_methodE3ELS4_3ELS4_3ELNS0_20block_scan_algorithmE0ELj4294967295EEENS1_25partition_config_selectorILNS1_17partition_subalgoE4EjNS0_10empty_typeEbEEZZNS1_14partition_implILS8_4ELb0ES6_15HIP_vector_typeIjLj2EENS0_17counting_iteratorIjlEEPS9_SG_NS0_5tupleIJPjSI_NS0_16reverse_iteratorISI_EEEEENSH_IJSG_SG_SG_EEES9_SI_JZNS1_25segmented_radix_sort_implINS0_14default_configELb1EPKaPaPKlPlN2at6native12_GLOBAL__N_18offset_tEEE10hipError_tPvRmT1_PNSt15iterator_traitsIS12_E10value_typeET2_T3_PNS13_IS18_E10value_typeET4_jRbjT5_S1E_jjP12ihipStream_tbEUljE_ZNSN_ISO_Lb1ESQ_SR_ST_SU_SY_EESZ_S10_S11_S12_S16_S17_S18_S1B_S1C_jS1D_jS1E_S1E_jjS1G_bEUljE0_EEESZ_S10_S11_S18_S1C_S1E_T6_T7_T9_mT8_S1G_bDpT10_ENKUlT_T0_E_clISt17integral_constantIbLb1EES1T_IbLb0EEEEDaS1P_S1Q_EUlS1P_E_NS1_11comp_targetILNS1_3genE5ELNS1_11target_archE942ELNS1_3gpuE9ELNS1_3repE0EEENS1_30default_config_static_selectorELNS0_4arch9wavefront6targetE0EEEvS12_,comdat
	.globl	_ZN7rocprim17ROCPRIM_400000_NS6detail17trampoline_kernelINS0_13select_configILj256ELj13ELNS0_17block_load_methodE3ELS4_3ELS4_3ELNS0_20block_scan_algorithmE0ELj4294967295EEENS1_25partition_config_selectorILNS1_17partition_subalgoE4EjNS0_10empty_typeEbEEZZNS1_14partition_implILS8_4ELb0ES6_15HIP_vector_typeIjLj2EENS0_17counting_iteratorIjlEEPS9_SG_NS0_5tupleIJPjSI_NS0_16reverse_iteratorISI_EEEEENSH_IJSG_SG_SG_EEES9_SI_JZNS1_25segmented_radix_sort_implINS0_14default_configELb1EPKaPaPKlPlN2at6native12_GLOBAL__N_18offset_tEEE10hipError_tPvRmT1_PNSt15iterator_traitsIS12_E10value_typeET2_T3_PNS13_IS18_E10value_typeET4_jRbjT5_S1E_jjP12ihipStream_tbEUljE_ZNSN_ISO_Lb1ESQ_SR_ST_SU_SY_EESZ_S10_S11_S12_S16_S17_S18_S1B_S1C_jS1D_jS1E_S1E_jjS1G_bEUljE0_EEESZ_S10_S11_S18_S1C_S1E_T6_T7_T9_mT8_S1G_bDpT10_ENKUlT_T0_E_clISt17integral_constantIbLb1EES1T_IbLb0EEEEDaS1P_S1Q_EUlS1P_E_NS1_11comp_targetILNS1_3genE5ELNS1_11target_archE942ELNS1_3gpuE9ELNS1_3repE0EEENS1_30default_config_static_selectorELNS0_4arch9wavefront6targetE0EEEvS12_ ; -- Begin function _ZN7rocprim17ROCPRIM_400000_NS6detail17trampoline_kernelINS0_13select_configILj256ELj13ELNS0_17block_load_methodE3ELS4_3ELS4_3ELNS0_20block_scan_algorithmE0ELj4294967295EEENS1_25partition_config_selectorILNS1_17partition_subalgoE4EjNS0_10empty_typeEbEEZZNS1_14partition_implILS8_4ELb0ES6_15HIP_vector_typeIjLj2EENS0_17counting_iteratorIjlEEPS9_SG_NS0_5tupleIJPjSI_NS0_16reverse_iteratorISI_EEEEENSH_IJSG_SG_SG_EEES9_SI_JZNS1_25segmented_radix_sort_implINS0_14default_configELb1EPKaPaPKlPlN2at6native12_GLOBAL__N_18offset_tEEE10hipError_tPvRmT1_PNSt15iterator_traitsIS12_E10value_typeET2_T3_PNS13_IS18_E10value_typeET4_jRbjT5_S1E_jjP12ihipStream_tbEUljE_ZNSN_ISO_Lb1ESQ_SR_ST_SU_SY_EESZ_S10_S11_S12_S16_S17_S18_S1B_S1C_jS1D_jS1E_S1E_jjS1G_bEUljE0_EEESZ_S10_S11_S18_S1C_S1E_T6_T7_T9_mT8_S1G_bDpT10_ENKUlT_T0_E_clISt17integral_constantIbLb1EES1T_IbLb0EEEEDaS1P_S1Q_EUlS1P_E_NS1_11comp_targetILNS1_3genE5ELNS1_11target_archE942ELNS1_3gpuE9ELNS1_3repE0EEENS1_30default_config_static_selectorELNS0_4arch9wavefront6targetE0EEEvS12_
	.p2align	8
	.type	_ZN7rocprim17ROCPRIM_400000_NS6detail17trampoline_kernelINS0_13select_configILj256ELj13ELNS0_17block_load_methodE3ELS4_3ELS4_3ELNS0_20block_scan_algorithmE0ELj4294967295EEENS1_25partition_config_selectorILNS1_17partition_subalgoE4EjNS0_10empty_typeEbEEZZNS1_14partition_implILS8_4ELb0ES6_15HIP_vector_typeIjLj2EENS0_17counting_iteratorIjlEEPS9_SG_NS0_5tupleIJPjSI_NS0_16reverse_iteratorISI_EEEEENSH_IJSG_SG_SG_EEES9_SI_JZNS1_25segmented_radix_sort_implINS0_14default_configELb1EPKaPaPKlPlN2at6native12_GLOBAL__N_18offset_tEEE10hipError_tPvRmT1_PNSt15iterator_traitsIS12_E10value_typeET2_T3_PNS13_IS18_E10value_typeET4_jRbjT5_S1E_jjP12ihipStream_tbEUljE_ZNSN_ISO_Lb1ESQ_SR_ST_SU_SY_EESZ_S10_S11_S12_S16_S17_S18_S1B_S1C_jS1D_jS1E_S1E_jjS1G_bEUljE0_EEESZ_S10_S11_S18_S1C_S1E_T6_T7_T9_mT8_S1G_bDpT10_ENKUlT_T0_E_clISt17integral_constantIbLb1EES1T_IbLb0EEEEDaS1P_S1Q_EUlS1P_E_NS1_11comp_targetILNS1_3genE5ELNS1_11target_archE942ELNS1_3gpuE9ELNS1_3repE0EEENS1_30default_config_static_selectorELNS0_4arch9wavefront6targetE0EEEvS12_,@function
_ZN7rocprim17ROCPRIM_400000_NS6detail17trampoline_kernelINS0_13select_configILj256ELj13ELNS0_17block_load_methodE3ELS4_3ELS4_3ELNS0_20block_scan_algorithmE0ELj4294967295EEENS1_25partition_config_selectorILNS1_17partition_subalgoE4EjNS0_10empty_typeEbEEZZNS1_14partition_implILS8_4ELb0ES6_15HIP_vector_typeIjLj2EENS0_17counting_iteratorIjlEEPS9_SG_NS0_5tupleIJPjSI_NS0_16reverse_iteratorISI_EEEEENSH_IJSG_SG_SG_EEES9_SI_JZNS1_25segmented_radix_sort_implINS0_14default_configELb1EPKaPaPKlPlN2at6native12_GLOBAL__N_18offset_tEEE10hipError_tPvRmT1_PNSt15iterator_traitsIS12_E10value_typeET2_T3_PNS13_IS18_E10value_typeET4_jRbjT5_S1E_jjP12ihipStream_tbEUljE_ZNSN_ISO_Lb1ESQ_SR_ST_SU_SY_EESZ_S10_S11_S12_S16_S17_S18_S1B_S1C_jS1D_jS1E_S1E_jjS1G_bEUljE0_EEESZ_S10_S11_S18_S1C_S1E_T6_T7_T9_mT8_S1G_bDpT10_ENKUlT_T0_E_clISt17integral_constantIbLb1EES1T_IbLb0EEEEDaS1P_S1Q_EUlS1P_E_NS1_11comp_targetILNS1_3genE5ELNS1_11target_archE942ELNS1_3gpuE9ELNS1_3repE0EEENS1_30default_config_static_selectorELNS0_4arch9wavefront6targetE0EEEvS12_: ; @_ZN7rocprim17ROCPRIM_400000_NS6detail17trampoline_kernelINS0_13select_configILj256ELj13ELNS0_17block_load_methodE3ELS4_3ELS4_3ELNS0_20block_scan_algorithmE0ELj4294967295EEENS1_25partition_config_selectorILNS1_17partition_subalgoE4EjNS0_10empty_typeEbEEZZNS1_14partition_implILS8_4ELb0ES6_15HIP_vector_typeIjLj2EENS0_17counting_iteratorIjlEEPS9_SG_NS0_5tupleIJPjSI_NS0_16reverse_iteratorISI_EEEEENSH_IJSG_SG_SG_EEES9_SI_JZNS1_25segmented_radix_sort_implINS0_14default_configELb1EPKaPaPKlPlN2at6native12_GLOBAL__N_18offset_tEEE10hipError_tPvRmT1_PNSt15iterator_traitsIS12_E10value_typeET2_T3_PNS13_IS18_E10value_typeET4_jRbjT5_S1E_jjP12ihipStream_tbEUljE_ZNSN_ISO_Lb1ESQ_SR_ST_SU_SY_EESZ_S10_S11_S12_S16_S17_S18_S1B_S1C_jS1D_jS1E_S1E_jjS1G_bEUljE0_EEESZ_S10_S11_S18_S1C_S1E_T6_T7_T9_mT8_S1G_bDpT10_ENKUlT_T0_E_clISt17integral_constantIbLb1EES1T_IbLb0EEEEDaS1P_S1Q_EUlS1P_E_NS1_11comp_targetILNS1_3genE5ELNS1_11target_archE942ELNS1_3gpuE9ELNS1_3repE0EEENS1_30default_config_static_selectorELNS0_4arch9wavefront6targetE0EEEvS12_
; %bb.0:
	.section	.rodata,"a",@progbits
	.p2align	6, 0x0
	.amdhsa_kernel _ZN7rocprim17ROCPRIM_400000_NS6detail17trampoline_kernelINS0_13select_configILj256ELj13ELNS0_17block_load_methodE3ELS4_3ELS4_3ELNS0_20block_scan_algorithmE0ELj4294967295EEENS1_25partition_config_selectorILNS1_17partition_subalgoE4EjNS0_10empty_typeEbEEZZNS1_14partition_implILS8_4ELb0ES6_15HIP_vector_typeIjLj2EENS0_17counting_iteratorIjlEEPS9_SG_NS0_5tupleIJPjSI_NS0_16reverse_iteratorISI_EEEEENSH_IJSG_SG_SG_EEES9_SI_JZNS1_25segmented_radix_sort_implINS0_14default_configELb1EPKaPaPKlPlN2at6native12_GLOBAL__N_18offset_tEEE10hipError_tPvRmT1_PNSt15iterator_traitsIS12_E10value_typeET2_T3_PNS13_IS18_E10value_typeET4_jRbjT5_S1E_jjP12ihipStream_tbEUljE_ZNSN_ISO_Lb1ESQ_SR_ST_SU_SY_EESZ_S10_S11_S12_S16_S17_S18_S1B_S1C_jS1D_jS1E_S1E_jjS1G_bEUljE0_EEESZ_S10_S11_S18_S1C_S1E_T6_T7_T9_mT8_S1G_bDpT10_ENKUlT_T0_E_clISt17integral_constantIbLb1EES1T_IbLb0EEEEDaS1P_S1Q_EUlS1P_E_NS1_11comp_targetILNS1_3genE5ELNS1_11target_archE942ELNS1_3gpuE9ELNS1_3repE0EEENS1_30default_config_static_selectorELNS0_4arch9wavefront6targetE0EEEvS12_
		.amdhsa_group_segment_fixed_size 0
		.amdhsa_private_segment_fixed_size 0
		.amdhsa_kernarg_size 176
		.amdhsa_user_sgpr_count 2
		.amdhsa_user_sgpr_dispatch_ptr 0
		.amdhsa_user_sgpr_queue_ptr 0
		.amdhsa_user_sgpr_kernarg_segment_ptr 1
		.amdhsa_user_sgpr_dispatch_id 0
		.amdhsa_user_sgpr_private_segment_size 0
		.amdhsa_wavefront_size32 1
		.amdhsa_uses_dynamic_stack 0
		.amdhsa_enable_private_segment 0
		.amdhsa_system_sgpr_workgroup_id_x 1
		.amdhsa_system_sgpr_workgroup_id_y 0
		.amdhsa_system_sgpr_workgroup_id_z 0
		.amdhsa_system_sgpr_workgroup_info 0
		.amdhsa_system_vgpr_workitem_id 0
		.amdhsa_next_free_vgpr 1
		.amdhsa_next_free_sgpr 1
		.amdhsa_reserve_vcc 0
		.amdhsa_float_round_mode_32 0
		.amdhsa_float_round_mode_16_64 0
		.amdhsa_float_denorm_mode_32 3
		.amdhsa_float_denorm_mode_16_64 3
		.amdhsa_fp16_overflow 0
		.amdhsa_workgroup_processor_mode 1
		.amdhsa_memory_ordered 1
		.amdhsa_forward_progress 1
		.amdhsa_inst_pref_size 0
		.amdhsa_round_robin_scheduling 0
		.amdhsa_exception_fp_ieee_invalid_op 0
		.amdhsa_exception_fp_denorm_src 0
		.amdhsa_exception_fp_ieee_div_zero 0
		.amdhsa_exception_fp_ieee_overflow 0
		.amdhsa_exception_fp_ieee_underflow 0
		.amdhsa_exception_fp_ieee_inexact 0
		.amdhsa_exception_int_div_zero 0
	.end_amdhsa_kernel
	.section	.text._ZN7rocprim17ROCPRIM_400000_NS6detail17trampoline_kernelINS0_13select_configILj256ELj13ELNS0_17block_load_methodE3ELS4_3ELS4_3ELNS0_20block_scan_algorithmE0ELj4294967295EEENS1_25partition_config_selectorILNS1_17partition_subalgoE4EjNS0_10empty_typeEbEEZZNS1_14partition_implILS8_4ELb0ES6_15HIP_vector_typeIjLj2EENS0_17counting_iteratorIjlEEPS9_SG_NS0_5tupleIJPjSI_NS0_16reverse_iteratorISI_EEEEENSH_IJSG_SG_SG_EEES9_SI_JZNS1_25segmented_radix_sort_implINS0_14default_configELb1EPKaPaPKlPlN2at6native12_GLOBAL__N_18offset_tEEE10hipError_tPvRmT1_PNSt15iterator_traitsIS12_E10value_typeET2_T3_PNS13_IS18_E10value_typeET4_jRbjT5_S1E_jjP12ihipStream_tbEUljE_ZNSN_ISO_Lb1ESQ_SR_ST_SU_SY_EESZ_S10_S11_S12_S16_S17_S18_S1B_S1C_jS1D_jS1E_S1E_jjS1G_bEUljE0_EEESZ_S10_S11_S18_S1C_S1E_T6_T7_T9_mT8_S1G_bDpT10_ENKUlT_T0_E_clISt17integral_constantIbLb1EES1T_IbLb0EEEEDaS1P_S1Q_EUlS1P_E_NS1_11comp_targetILNS1_3genE5ELNS1_11target_archE942ELNS1_3gpuE9ELNS1_3repE0EEENS1_30default_config_static_selectorELNS0_4arch9wavefront6targetE0EEEvS12_,"axG",@progbits,_ZN7rocprim17ROCPRIM_400000_NS6detail17trampoline_kernelINS0_13select_configILj256ELj13ELNS0_17block_load_methodE3ELS4_3ELS4_3ELNS0_20block_scan_algorithmE0ELj4294967295EEENS1_25partition_config_selectorILNS1_17partition_subalgoE4EjNS0_10empty_typeEbEEZZNS1_14partition_implILS8_4ELb0ES6_15HIP_vector_typeIjLj2EENS0_17counting_iteratorIjlEEPS9_SG_NS0_5tupleIJPjSI_NS0_16reverse_iteratorISI_EEEEENSH_IJSG_SG_SG_EEES9_SI_JZNS1_25segmented_radix_sort_implINS0_14default_configELb1EPKaPaPKlPlN2at6native12_GLOBAL__N_18offset_tEEE10hipError_tPvRmT1_PNSt15iterator_traitsIS12_E10value_typeET2_T3_PNS13_IS18_E10value_typeET4_jRbjT5_S1E_jjP12ihipStream_tbEUljE_ZNSN_ISO_Lb1ESQ_SR_ST_SU_SY_EESZ_S10_S11_S12_S16_S17_S18_S1B_S1C_jS1D_jS1E_S1E_jjS1G_bEUljE0_EEESZ_S10_S11_S18_S1C_S1E_T6_T7_T9_mT8_S1G_bDpT10_ENKUlT_T0_E_clISt17integral_constantIbLb1EES1T_IbLb0EEEEDaS1P_S1Q_EUlS1P_E_NS1_11comp_targetILNS1_3genE5ELNS1_11target_archE942ELNS1_3gpuE9ELNS1_3repE0EEENS1_30default_config_static_selectorELNS0_4arch9wavefront6targetE0EEEvS12_,comdat
.Lfunc_end243:
	.size	_ZN7rocprim17ROCPRIM_400000_NS6detail17trampoline_kernelINS0_13select_configILj256ELj13ELNS0_17block_load_methodE3ELS4_3ELS4_3ELNS0_20block_scan_algorithmE0ELj4294967295EEENS1_25partition_config_selectorILNS1_17partition_subalgoE4EjNS0_10empty_typeEbEEZZNS1_14partition_implILS8_4ELb0ES6_15HIP_vector_typeIjLj2EENS0_17counting_iteratorIjlEEPS9_SG_NS0_5tupleIJPjSI_NS0_16reverse_iteratorISI_EEEEENSH_IJSG_SG_SG_EEES9_SI_JZNS1_25segmented_radix_sort_implINS0_14default_configELb1EPKaPaPKlPlN2at6native12_GLOBAL__N_18offset_tEEE10hipError_tPvRmT1_PNSt15iterator_traitsIS12_E10value_typeET2_T3_PNS13_IS18_E10value_typeET4_jRbjT5_S1E_jjP12ihipStream_tbEUljE_ZNSN_ISO_Lb1ESQ_SR_ST_SU_SY_EESZ_S10_S11_S12_S16_S17_S18_S1B_S1C_jS1D_jS1E_S1E_jjS1G_bEUljE0_EEESZ_S10_S11_S18_S1C_S1E_T6_T7_T9_mT8_S1G_bDpT10_ENKUlT_T0_E_clISt17integral_constantIbLb1EES1T_IbLb0EEEEDaS1P_S1Q_EUlS1P_E_NS1_11comp_targetILNS1_3genE5ELNS1_11target_archE942ELNS1_3gpuE9ELNS1_3repE0EEENS1_30default_config_static_selectorELNS0_4arch9wavefront6targetE0EEEvS12_, .Lfunc_end243-_ZN7rocprim17ROCPRIM_400000_NS6detail17trampoline_kernelINS0_13select_configILj256ELj13ELNS0_17block_load_methodE3ELS4_3ELS4_3ELNS0_20block_scan_algorithmE0ELj4294967295EEENS1_25partition_config_selectorILNS1_17partition_subalgoE4EjNS0_10empty_typeEbEEZZNS1_14partition_implILS8_4ELb0ES6_15HIP_vector_typeIjLj2EENS0_17counting_iteratorIjlEEPS9_SG_NS0_5tupleIJPjSI_NS0_16reverse_iteratorISI_EEEEENSH_IJSG_SG_SG_EEES9_SI_JZNS1_25segmented_radix_sort_implINS0_14default_configELb1EPKaPaPKlPlN2at6native12_GLOBAL__N_18offset_tEEE10hipError_tPvRmT1_PNSt15iterator_traitsIS12_E10value_typeET2_T3_PNS13_IS18_E10value_typeET4_jRbjT5_S1E_jjP12ihipStream_tbEUljE_ZNSN_ISO_Lb1ESQ_SR_ST_SU_SY_EESZ_S10_S11_S12_S16_S17_S18_S1B_S1C_jS1D_jS1E_S1E_jjS1G_bEUljE0_EEESZ_S10_S11_S18_S1C_S1E_T6_T7_T9_mT8_S1G_bDpT10_ENKUlT_T0_E_clISt17integral_constantIbLb1EES1T_IbLb0EEEEDaS1P_S1Q_EUlS1P_E_NS1_11comp_targetILNS1_3genE5ELNS1_11target_archE942ELNS1_3gpuE9ELNS1_3repE0EEENS1_30default_config_static_selectorELNS0_4arch9wavefront6targetE0EEEvS12_
                                        ; -- End function
	.set _ZN7rocprim17ROCPRIM_400000_NS6detail17trampoline_kernelINS0_13select_configILj256ELj13ELNS0_17block_load_methodE3ELS4_3ELS4_3ELNS0_20block_scan_algorithmE0ELj4294967295EEENS1_25partition_config_selectorILNS1_17partition_subalgoE4EjNS0_10empty_typeEbEEZZNS1_14partition_implILS8_4ELb0ES6_15HIP_vector_typeIjLj2EENS0_17counting_iteratorIjlEEPS9_SG_NS0_5tupleIJPjSI_NS0_16reverse_iteratorISI_EEEEENSH_IJSG_SG_SG_EEES9_SI_JZNS1_25segmented_radix_sort_implINS0_14default_configELb1EPKaPaPKlPlN2at6native12_GLOBAL__N_18offset_tEEE10hipError_tPvRmT1_PNSt15iterator_traitsIS12_E10value_typeET2_T3_PNS13_IS18_E10value_typeET4_jRbjT5_S1E_jjP12ihipStream_tbEUljE_ZNSN_ISO_Lb1ESQ_SR_ST_SU_SY_EESZ_S10_S11_S12_S16_S17_S18_S1B_S1C_jS1D_jS1E_S1E_jjS1G_bEUljE0_EEESZ_S10_S11_S18_S1C_S1E_T6_T7_T9_mT8_S1G_bDpT10_ENKUlT_T0_E_clISt17integral_constantIbLb1EES1T_IbLb0EEEEDaS1P_S1Q_EUlS1P_E_NS1_11comp_targetILNS1_3genE5ELNS1_11target_archE942ELNS1_3gpuE9ELNS1_3repE0EEENS1_30default_config_static_selectorELNS0_4arch9wavefront6targetE0EEEvS12_.num_vgpr, 0
	.set _ZN7rocprim17ROCPRIM_400000_NS6detail17trampoline_kernelINS0_13select_configILj256ELj13ELNS0_17block_load_methodE3ELS4_3ELS4_3ELNS0_20block_scan_algorithmE0ELj4294967295EEENS1_25partition_config_selectorILNS1_17partition_subalgoE4EjNS0_10empty_typeEbEEZZNS1_14partition_implILS8_4ELb0ES6_15HIP_vector_typeIjLj2EENS0_17counting_iteratorIjlEEPS9_SG_NS0_5tupleIJPjSI_NS0_16reverse_iteratorISI_EEEEENSH_IJSG_SG_SG_EEES9_SI_JZNS1_25segmented_radix_sort_implINS0_14default_configELb1EPKaPaPKlPlN2at6native12_GLOBAL__N_18offset_tEEE10hipError_tPvRmT1_PNSt15iterator_traitsIS12_E10value_typeET2_T3_PNS13_IS18_E10value_typeET4_jRbjT5_S1E_jjP12ihipStream_tbEUljE_ZNSN_ISO_Lb1ESQ_SR_ST_SU_SY_EESZ_S10_S11_S12_S16_S17_S18_S1B_S1C_jS1D_jS1E_S1E_jjS1G_bEUljE0_EEESZ_S10_S11_S18_S1C_S1E_T6_T7_T9_mT8_S1G_bDpT10_ENKUlT_T0_E_clISt17integral_constantIbLb1EES1T_IbLb0EEEEDaS1P_S1Q_EUlS1P_E_NS1_11comp_targetILNS1_3genE5ELNS1_11target_archE942ELNS1_3gpuE9ELNS1_3repE0EEENS1_30default_config_static_selectorELNS0_4arch9wavefront6targetE0EEEvS12_.num_agpr, 0
	.set _ZN7rocprim17ROCPRIM_400000_NS6detail17trampoline_kernelINS0_13select_configILj256ELj13ELNS0_17block_load_methodE3ELS4_3ELS4_3ELNS0_20block_scan_algorithmE0ELj4294967295EEENS1_25partition_config_selectorILNS1_17partition_subalgoE4EjNS0_10empty_typeEbEEZZNS1_14partition_implILS8_4ELb0ES6_15HIP_vector_typeIjLj2EENS0_17counting_iteratorIjlEEPS9_SG_NS0_5tupleIJPjSI_NS0_16reverse_iteratorISI_EEEEENSH_IJSG_SG_SG_EEES9_SI_JZNS1_25segmented_radix_sort_implINS0_14default_configELb1EPKaPaPKlPlN2at6native12_GLOBAL__N_18offset_tEEE10hipError_tPvRmT1_PNSt15iterator_traitsIS12_E10value_typeET2_T3_PNS13_IS18_E10value_typeET4_jRbjT5_S1E_jjP12ihipStream_tbEUljE_ZNSN_ISO_Lb1ESQ_SR_ST_SU_SY_EESZ_S10_S11_S12_S16_S17_S18_S1B_S1C_jS1D_jS1E_S1E_jjS1G_bEUljE0_EEESZ_S10_S11_S18_S1C_S1E_T6_T7_T9_mT8_S1G_bDpT10_ENKUlT_T0_E_clISt17integral_constantIbLb1EES1T_IbLb0EEEEDaS1P_S1Q_EUlS1P_E_NS1_11comp_targetILNS1_3genE5ELNS1_11target_archE942ELNS1_3gpuE9ELNS1_3repE0EEENS1_30default_config_static_selectorELNS0_4arch9wavefront6targetE0EEEvS12_.numbered_sgpr, 0
	.set _ZN7rocprim17ROCPRIM_400000_NS6detail17trampoline_kernelINS0_13select_configILj256ELj13ELNS0_17block_load_methodE3ELS4_3ELS4_3ELNS0_20block_scan_algorithmE0ELj4294967295EEENS1_25partition_config_selectorILNS1_17partition_subalgoE4EjNS0_10empty_typeEbEEZZNS1_14partition_implILS8_4ELb0ES6_15HIP_vector_typeIjLj2EENS0_17counting_iteratorIjlEEPS9_SG_NS0_5tupleIJPjSI_NS0_16reverse_iteratorISI_EEEEENSH_IJSG_SG_SG_EEES9_SI_JZNS1_25segmented_radix_sort_implINS0_14default_configELb1EPKaPaPKlPlN2at6native12_GLOBAL__N_18offset_tEEE10hipError_tPvRmT1_PNSt15iterator_traitsIS12_E10value_typeET2_T3_PNS13_IS18_E10value_typeET4_jRbjT5_S1E_jjP12ihipStream_tbEUljE_ZNSN_ISO_Lb1ESQ_SR_ST_SU_SY_EESZ_S10_S11_S12_S16_S17_S18_S1B_S1C_jS1D_jS1E_S1E_jjS1G_bEUljE0_EEESZ_S10_S11_S18_S1C_S1E_T6_T7_T9_mT8_S1G_bDpT10_ENKUlT_T0_E_clISt17integral_constantIbLb1EES1T_IbLb0EEEEDaS1P_S1Q_EUlS1P_E_NS1_11comp_targetILNS1_3genE5ELNS1_11target_archE942ELNS1_3gpuE9ELNS1_3repE0EEENS1_30default_config_static_selectorELNS0_4arch9wavefront6targetE0EEEvS12_.num_named_barrier, 0
	.set _ZN7rocprim17ROCPRIM_400000_NS6detail17trampoline_kernelINS0_13select_configILj256ELj13ELNS0_17block_load_methodE3ELS4_3ELS4_3ELNS0_20block_scan_algorithmE0ELj4294967295EEENS1_25partition_config_selectorILNS1_17partition_subalgoE4EjNS0_10empty_typeEbEEZZNS1_14partition_implILS8_4ELb0ES6_15HIP_vector_typeIjLj2EENS0_17counting_iteratorIjlEEPS9_SG_NS0_5tupleIJPjSI_NS0_16reverse_iteratorISI_EEEEENSH_IJSG_SG_SG_EEES9_SI_JZNS1_25segmented_radix_sort_implINS0_14default_configELb1EPKaPaPKlPlN2at6native12_GLOBAL__N_18offset_tEEE10hipError_tPvRmT1_PNSt15iterator_traitsIS12_E10value_typeET2_T3_PNS13_IS18_E10value_typeET4_jRbjT5_S1E_jjP12ihipStream_tbEUljE_ZNSN_ISO_Lb1ESQ_SR_ST_SU_SY_EESZ_S10_S11_S12_S16_S17_S18_S1B_S1C_jS1D_jS1E_S1E_jjS1G_bEUljE0_EEESZ_S10_S11_S18_S1C_S1E_T6_T7_T9_mT8_S1G_bDpT10_ENKUlT_T0_E_clISt17integral_constantIbLb1EES1T_IbLb0EEEEDaS1P_S1Q_EUlS1P_E_NS1_11comp_targetILNS1_3genE5ELNS1_11target_archE942ELNS1_3gpuE9ELNS1_3repE0EEENS1_30default_config_static_selectorELNS0_4arch9wavefront6targetE0EEEvS12_.private_seg_size, 0
	.set _ZN7rocprim17ROCPRIM_400000_NS6detail17trampoline_kernelINS0_13select_configILj256ELj13ELNS0_17block_load_methodE3ELS4_3ELS4_3ELNS0_20block_scan_algorithmE0ELj4294967295EEENS1_25partition_config_selectorILNS1_17partition_subalgoE4EjNS0_10empty_typeEbEEZZNS1_14partition_implILS8_4ELb0ES6_15HIP_vector_typeIjLj2EENS0_17counting_iteratorIjlEEPS9_SG_NS0_5tupleIJPjSI_NS0_16reverse_iteratorISI_EEEEENSH_IJSG_SG_SG_EEES9_SI_JZNS1_25segmented_radix_sort_implINS0_14default_configELb1EPKaPaPKlPlN2at6native12_GLOBAL__N_18offset_tEEE10hipError_tPvRmT1_PNSt15iterator_traitsIS12_E10value_typeET2_T3_PNS13_IS18_E10value_typeET4_jRbjT5_S1E_jjP12ihipStream_tbEUljE_ZNSN_ISO_Lb1ESQ_SR_ST_SU_SY_EESZ_S10_S11_S12_S16_S17_S18_S1B_S1C_jS1D_jS1E_S1E_jjS1G_bEUljE0_EEESZ_S10_S11_S18_S1C_S1E_T6_T7_T9_mT8_S1G_bDpT10_ENKUlT_T0_E_clISt17integral_constantIbLb1EES1T_IbLb0EEEEDaS1P_S1Q_EUlS1P_E_NS1_11comp_targetILNS1_3genE5ELNS1_11target_archE942ELNS1_3gpuE9ELNS1_3repE0EEENS1_30default_config_static_selectorELNS0_4arch9wavefront6targetE0EEEvS12_.uses_vcc, 0
	.set _ZN7rocprim17ROCPRIM_400000_NS6detail17trampoline_kernelINS0_13select_configILj256ELj13ELNS0_17block_load_methodE3ELS4_3ELS4_3ELNS0_20block_scan_algorithmE0ELj4294967295EEENS1_25partition_config_selectorILNS1_17partition_subalgoE4EjNS0_10empty_typeEbEEZZNS1_14partition_implILS8_4ELb0ES6_15HIP_vector_typeIjLj2EENS0_17counting_iteratorIjlEEPS9_SG_NS0_5tupleIJPjSI_NS0_16reverse_iteratorISI_EEEEENSH_IJSG_SG_SG_EEES9_SI_JZNS1_25segmented_radix_sort_implINS0_14default_configELb1EPKaPaPKlPlN2at6native12_GLOBAL__N_18offset_tEEE10hipError_tPvRmT1_PNSt15iterator_traitsIS12_E10value_typeET2_T3_PNS13_IS18_E10value_typeET4_jRbjT5_S1E_jjP12ihipStream_tbEUljE_ZNSN_ISO_Lb1ESQ_SR_ST_SU_SY_EESZ_S10_S11_S12_S16_S17_S18_S1B_S1C_jS1D_jS1E_S1E_jjS1G_bEUljE0_EEESZ_S10_S11_S18_S1C_S1E_T6_T7_T9_mT8_S1G_bDpT10_ENKUlT_T0_E_clISt17integral_constantIbLb1EES1T_IbLb0EEEEDaS1P_S1Q_EUlS1P_E_NS1_11comp_targetILNS1_3genE5ELNS1_11target_archE942ELNS1_3gpuE9ELNS1_3repE0EEENS1_30default_config_static_selectorELNS0_4arch9wavefront6targetE0EEEvS12_.uses_flat_scratch, 0
	.set _ZN7rocprim17ROCPRIM_400000_NS6detail17trampoline_kernelINS0_13select_configILj256ELj13ELNS0_17block_load_methodE3ELS4_3ELS4_3ELNS0_20block_scan_algorithmE0ELj4294967295EEENS1_25partition_config_selectorILNS1_17partition_subalgoE4EjNS0_10empty_typeEbEEZZNS1_14partition_implILS8_4ELb0ES6_15HIP_vector_typeIjLj2EENS0_17counting_iteratorIjlEEPS9_SG_NS0_5tupleIJPjSI_NS0_16reverse_iteratorISI_EEEEENSH_IJSG_SG_SG_EEES9_SI_JZNS1_25segmented_radix_sort_implINS0_14default_configELb1EPKaPaPKlPlN2at6native12_GLOBAL__N_18offset_tEEE10hipError_tPvRmT1_PNSt15iterator_traitsIS12_E10value_typeET2_T3_PNS13_IS18_E10value_typeET4_jRbjT5_S1E_jjP12ihipStream_tbEUljE_ZNSN_ISO_Lb1ESQ_SR_ST_SU_SY_EESZ_S10_S11_S12_S16_S17_S18_S1B_S1C_jS1D_jS1E_S1E_jjS1G_bEUljE0_EEESZ_S10_S11_S18_S1C_S1E_T6_T7_T9_mT8_S1G_bDpT10_ENKUlT_T0_E_clISt17integral_constantIbLb1EES1T_IbLb0EEEEDaS1P_S1Q_EUlS1P_E_NS1_11comp_targetILNS1_3genE5ELNS1_11target_archE942ELNS1_3gpuE9ELNS1_3repE0EEENS1_30default_config_static_selectorELNS0_4arch9wavefront6targetE0EEEvS12_.has_dyn_sized_stack, 0
	.set _ZN7rocprim17ROCPRIM_400000_NS6detail17trampoline_kernelINS0_13select_configILj256ELj13ELNS0_17block_load_methodE3ELS4_3ELS4_3ELNS0_20block_scan_algorithmE0ELj4294967295EEENS1_25partition_config_selectorILNS1_17partition_subalgoE4EjNS0_10empty_typeEbEEZZNS1_14partition_implILS8_4ELb0ES6_15HIP_vector_typeIjLj2EENS0_17counting_iteratorIjlEEPS9_SG_NS0_5tupleIJPjSI_NS0_16reverse_iteratorISI_EEEEENSH_IJSG_SG_SG_EEES9_SI_JZNS1_25segmented_radix_sort_implINS0_14default_configELb1EPKaPaPKlPlN2at6native12_GLOBAL__N_18offset_tEEE10hipError_tPvRmT1_PNSt15iterator_traitsIS12_E10value_typeET2_T3_PNS13_IS18_E10value_typeET4_jRbjT5_S1E_jjP12ihipStream_tbEUljE_ZNSN_ISO_Lb1ESQ_SR_ST_SU_SY_EESZ_S10_S11_S12_S16_S17_S18_S1B_S1C_jS1D_jS1E_S1E_jjS1G_bEUljE0_EEESZ_S10_S11_S18_S1C_S1E_T6_T7_T9_mT8_S1G_bDpT10_ENKUlT_T0_E_clISt17integral_constantIbLb1EES1T_IbLb0EEEEDaS1P_S1Q_EUlS1P_E_NS1_11comp_targetILNS1_3genE5ELNS1_11target_archE942ELNS1_3gpuE9ELNS1_3repE0EEENS1_30default_config_static_selectorELNS0_4arch9wavefront6targetE0EEEvS12_.has_recursion, 0
	.set _ZN7rocprim17ROCPRIM_400000_NS6detail17trampoline_kernelINS0_13select_configILj256ELj13ELNS0_17block_load_methodE3ELS4_3ELS4_3ELNS0_20block_scan_algorithmE0ELj4294967295EEENS1_25partition_config_selectorILNS1_17partition_subalgoE4EjNS0_10empty_typeEbEEZZNS1_14partition_implILS8_4ELb0ES6_15HIP_vector_typeIjLj2EENS0_17counting_iteratorIjlEEPS9_SG_NS0_5tupleIJPjSI_NS0_16reverse_iteratorISI_EEEEENSH_IJSG_SG_SG_EEES9_SI_JZNS1_25segmented_radix_sort_implINS0_14default_configELb1EPKaPaPKlPlN2at6native12_GLOBAL__N_18offset_tEEE10hipError_tPvRmT1_PNSt15iterator_traitsIS12_E10value_typeET2_T3_PNS13_IS18_E10value_typeET4_jRbjT5_S1E_jjP12ihipStream_tbEUljE_ZNSN_ISO_Lb1ESQ_SR_ST_SU_SY_EESZ_S10_S11_S12_S16_S17_S18_S1B_S1C_jS1D_jS1E_S1E_jjS1G_bEUljE0_EEESZ_S10_S11_S18_S1C_S1E_T6_T7_T9_mT8_S1G_bDpT10_ENKUlT_T0_E_clISt17integral_constantIbLb1EES1T_IbLb0EEEEDaS1P_S1Q_EUlS1P_E_NS1_11comp_targetILNS1_3genE5ELNS1_11target_archE942ELNS1_3gpuE9ELNS1_3repE0EEENS1_30default_config_static_selectorELNS0_4arch9wavefront6targetE0EEEvS12_.has_indirect_call, 0
	.section	.AMDGPU.csdata,"",@progbits
; Kernel info:
; codeLenInByte = 0
; TotalNumSgprs: 0
; NumVgprs: 0
; ScratchSize: 0
; MemoryBound: 0
; FloatMode: 240
; IeeeMode: 1
; LDSByteSize: 0 bytes/workgroup (compile time only)
; SGPRBlocks: 0
; VGPRBlocks: 0
; NumSGPRsForWavesPerEU: 1
; NumVGPRsForWavesPerEU: 1
; Occupancy: 16
; WaveLimiterHint : 0
; COMPUTE_PGM_RSRC2:SCRATCH_EN: 0
; COMPUTE_PGM_RSRC2:USER_SGPR: 2
; COMPUTE_PGM_RSRC2:TRAP_HANDLER: 0
; COMPUTE_PGM_RSRC2:TGID_X_EN: 1
; COMPUTE_PGM_RSRC2:TGID_Y_EN: 0
; COMPUTE_PGM_RSRC2:TGID_Z_EN: 0
; COMPUTE_PGM_RSRC2:TIDIG_COMP_CNT: 0
	.section	.text._ZN7rocprim17ROCPRIM_400000_NS6detail17trampoline_kernelINS0_13select_configILj256ELj13ELNS0_17block_load_methodE3ELS4_3ELS4_3ELNS0_20block_scan_algorithmE0ELj4294967295EEENS1_25partition_config_selectorILNS1_17partition_subalgoE4EjNS0_10empty_typeEbEEZZNS1_14partition_implILS8_4ELb0ES6_15HIP_vector_typeIjLj2EENS0_17counting_iteratorIjlEEPS9_SG_NS0_5tupleIJPjSI_NS0_16reverse_iteratorISI_EEEEENSH_IJSG_SG_SG_EEES9_SI_JZNS1_25segmented_radix_sort_implINS0_14default_configELb1EPKaPaPKlPlN2at6native12_GLOBAL__N_18offset_tEEE10hipError_tPvRmT1_PNSt15iterator_traitsIS12_E10value_typeET2_T3_PNS13_IS18_E10value_typeET4_jRbjT5_S1E_jjP12ihipStream_tbEUljE_ZNSN_ISO_Lb1ESQ_SR_ST_SU_SY_EESZ_S10_S11_S12_S16_S17_S18_S1B_S1C_jS1D_jS1E_S1E_jjS1G_bEUljE0_EEESZ_S10_S11_S18_S1C_S1E_T6_T7_T9_mT8_S1G_bDpT10_ENKUlT_T0_E_clISt17integral_constantIbLb1EES1T_IbLb0EEEEDaS1P_S1Q_EUlS1P_E_NS1_11comp_targetILNS1_3genE4ELNS1_11target_archE910ELNS1_3gpuE8ELNS1_3repE0EEENS1_30default_config_static_selectorELNS0_4arch9wavefront6targetE0EEEvS12_,"axG",@progbits,_ZN7rocprim17ROCPRIM_400000_NS6detail17trampoline_kernelINS0_13select_configILj256ELj13ELNS0_17block_load_methodE3ELS4_3ELS4_3ELNS0_20block_scan_algorithmE0ELj4294967295EEENS1_25partition_config_selectorILNS1_17partition_subalgoE4EjNS0_10empty_typeEbEEZZNS1_14partition_implILS8_4ELb0ES6_15HIP_vector_typeIjLj2EENS0_17counting_iteratorIjlEEPS9_SG_NS0_5tupleIJPjSI_NS0_16reverse_iteratorISI_EEEEENSH_IJSG_SG_SG_EEES9_SI_JZNS1_25segmented_radix_sort_implINS0_14default_configELb1EPKaPaPKlPlN2at6native12_GLOBAL__N_18offset_tEEE10hipError_tPvRmT1_PNSt15iterator_traitsIS12_E10value_typeET2_T3_PNS13_IS18_E10value_typeET4_jRbjT5_S1E_jjP12ihipStream_tbEUljE_ZNSN_ISO_Lb1ESQ_SR_ST_SU_SY_EESZ_S10_S11_S12_S16_S17_S18_S1B_S1C_jS1D_jS1E_S1E_jjS1G_bEUljE0_EEESZ_S10_S11_S18_S1C_S1E_T6_T7_T9_mT8_S1G_bDpT10_ENKUlT_T0_E_clISt17integral_constantIbLb1EES1T_IbLb0EEEEDaS1P_S1Q_EUlS1P_E_NS1_11comp_targetILNS1_3genE4ELNS1_11target_archE910ELNS1_3gpuE8ELNS1_3repE0EEENS1_30default_config_static_selectorELNS0_4arch9wavefront6targetE0EEEvS12_,comdat
	.globl	_ZN7rocprim17ROCPRIM_400000_NS6detail17trampoline_kernelINS0_13select_configILj256ELj13ELNS0_17block_load_methodE3ELS4_3ELS4_3ELNS0_20block_scan_algorithmE0ELj4294967295EEENS1_25partition_config_selectorILNS1_17partition_subalgoE4EjNS0_10empty_typeEbEEZZNS1_14partition_implILS8_4ELb0ES6_15HIP_vector_typeIjLj2EENS0_17counting_iteratorIjlEEPS9_SG_NS0_5tupleIJPjSI_NS0_16reverse_iteratorISI_EEEEENSH_IJSG_SG_SG_EEES9_SI_JZNS1_25segmented_radix_sort_implINS0_14default_configELb1EPKaPaPKlPlN2at6native12_GLOBAL__N_18offset_tEEE10hipError_tPvRmT1_PNSt15iterator_traitsIS12_E10value_typeET2_T3_PNS13_IS18_E10value_typeET4_jRbjT5_S1E_jjP12ihipStream_tbEUljE_ZNSN_ISO_Lb1ESQ_SR_ST_SU_SY_EESZ_S10_S11_S12_S16_S17_S18_S1B_S1C_jS1D_jS1E_S1E_jjS1G_bEUljE0_EEESZ_S10_S11_S18_S1C_S1E_T6_T7_T9_mT8_S1G_bDpT10_ENKUlT_T0_E_clISt17integral_constantIbLb1EES1T_IbLb0EEEEDaS1P_S1Q_EUlS1P_E_NS1_11comp_targetILNS1_3genE4ELNS1_11target_archE910ELNS1_3gpuE8ELNS1_3repE0EEENS1_30default_config_static_selectorELNS0_4arch9wavefront6targetE0EEEvS12_ ; -- Begin function _ZN7rocprim17ROCPRIM_400000_NS6detail17trampoline_kernelINS0_13select_configILj256ELj13ELNS0_17block_load_methodE3ELS4_3ELS4_3ELNS0_20block_scan_algorithmE0ELj4294967295EEENS1_25partition_config_selectorILNS1_17partition_subalgoE4EjNS0_10empty_typeEbEEZZNS1_14partition_implILS8_4ELb0ES6_15HIP_vector_typeIjLj2EENS0_17counting_iteratorIjlEEPS9_SG_NS0_5tupleIJPjSI_NS0_16reverse_iteratorISI_EEEEENSH_IJSG_SG_SG_EEES9_SI_JZNS1_25segmented_radix_sort_implINS0_14default_configELb1EPKaPaPKlPlN2at6native12_GLOBAL__N_18offset_tEEE10hipError_tPvRmT1_PNSt15iterator_traitsIS12_E10value_typeET2_T3_PNS13_IS18_E10value_typeET4_jRbjT5_S1E_jjP12ihipStream_tbEUljE_ZNSN_ISO_Lb1ESQ_SR_ST_SU_SY_EESZ_S10_S11_S12_S16_S17_S18_S1B_S1C_jS1D_jS1E_S1E_jjS1G_bEUljE0_EEESZ_S10_S11_S18_S1C_S1E_T6_T7_T9_mT8_S1G_bDpT10_ENKUlT_T0_E_clISt17integral_constantIbLb1EES1T_IbLb0EEEEDaS1P_S1Q_EUlS1P_E_NS1_11comp_targetILNS1_3genE4ELNS1_11target_archE910ELNS1_3gpuE8ELNS1_3repE0EEENS1_30default_config_static_selectorELNS0_4arch9wavefront6targetE0EEEvS12_
	.p2align	8
	.type	_ZN7rocprim17ROCPRIM_400000_NS6detail17trampoline_kernelINS0_13select_configILj256ELj13ELNS0_17block_load_methodE3ELS4_3ELS4_3ELNS0_20block_scan_algorithmE0ELj4294967295EEENS1_25partition_config_selectorILNS1_17partition_subalgoE4EjNS0_10empty_typeEbEEZZNS1_14partition_implILS8_4ELb0ES6_15HIP_vector_typeIjLj2EENS0_17counting_iteratorIjlEEPS9_SG_NS0_5tupleIJPjSI_NS0_16reverse_iteratorISI_EEEEENSH_IJSG_SG_SG_EEES9_SI_JZNS1_25segmented_radix_sort_implINS0_14default_configELb1EPKaPaPKlPlN2at6native12_GLOBAL__N_18offset_tEEE10hipError_tPvRmT1_PNSt15iterator_traitsIS12_E10value_typeET2_T3_PNS13_IS18_E10value_typeET4_jRbjT5_S1E_jjP12ihipStream_tbEUljE_ZNSN_ISO_Lb1ESQ_SR_ST_SU_SY_EESZ_S10_S11_S12_S16_S17_S18_S1B_S1C_jS1D_jS1E_S1E_jjS1G_bEUljE0_EEESZ_S10_S11_S18_S1C_S1E_T6_T7_T9_mT8_S1G_bDpT10_ENKUlT_T0_E_clISt17integral_constantIbLb1EES1T_IbLb0EEEEDaS1P_S1Q_EUlS1P_E_NS1_11comp_targetILNS1_3genE4ELNS1_11target_archE910ELNS1_3gpuE8ELNS1_3repE0EEENS1_30default_config_static_selectorELNS0_4arch9wavefront6targetE0EEEvS12_,@function
_ZN7rocprim17ROCPRIM_400000_NS6detail17trampoline_kernelINS0_13select_configILj256ELj13ELNS0_17block_load_methodE3ELS4_3ELS4_3ELNS0_20block_scan_algorithmE0ELj4294967295EEENS1_25partition_config_selectorILNS1_17partition_subalgoE4EjNS0_10empty_typeEbEEZZNS1_14partition_implILS8_4ELb0ES6_15HIP_vector_typeIjLj2EENS0_17counting_iteratorIjlEEPS9_SG_NS0_5tupleIJPjSI_NS0_16reverse_iteratorISI_EEEEENSH_IJSG_SG_SG_EEES9_SI_JZNS1_25segmented_radix_sort_implINS0_14default_configELb1EPKaPaPKlPlN2at6native12_GLOBAL__N_18offset_tEEE10hipError_tPvRmT1_PNSt15iterator_traitsIS12_E10value_typeET2_T3_PNS13_IS18_E10value_typeET4_jRbjT5_S1E_jjP12ihipStream_tbEUljE_ZNSN_ISO_Lb1ESQ_SR_ST_SU_SY_EESZ_S10_S11_S12_S16_S17_S18_S1B_S1C_jS1D_jS1E_S1E_jjS1G_bEUljE0_EEESZ_S10_S11_S18_S1C_S1E_T6_T7_T9_mT8_S1G_bDpT10_ENKUlT_T0_E_clISt17integral_constantIbLb1EES1T_IbLb0EEEEDaS1P_S1Q_EUlS1P_E_NS1_11comp_targetILNS1_3genE4ELNS1_11target_archE910ELNS1_3gpuE8ELNS1_3repE0EEENS1_30default_config_static_selectorELNS0_4arch9wavefront6targetE0EEEvS12_: ; @_ZN7rocprim17ROCPRIM_400000_NS6detail17trampoline_kernelINS0_13select_configILj256ELj13ELNS0_17block_load_methodE3ELS4_3ELS4_3ELNS0_20block_scan_algorithmE0ELj4294967295EEENS1_25partition_config_selectorILNS1_17partition_subalgoE4EjNS0_10empty_typeEbEEZZNS1_14partition_implILS8_4ELb0ES6_15HIP_vector_typeIjLj2EENS0_17counting_iteratorIjlEEPS9_SG_NS0_5tupleIJPjSI_NS0_16reverse_iteratorISI_EEEEENSH_IJSG_SG_SG_EEES9_SI_JZNS1_25segmented_radix_sort_implINS0_14default_configELb1EPKaPaPKlPlN2at6native12_GLOBAL__N_18offset_tEEE10hipError_tPvRmT1_PNSt15iterator_traitsIS12_E10value_typeET2_T3_PNS13_IS18_E10value_typeET4_jRbjT5_S1E_jjP12ihipStream_tbEUljE_ZNSN_ISO_Lb1ESQ_SR_ST_SU_SY_EESZ_S10_S11_S12_S16_S17_S18_S1B_S1C_jS1D_jS1E_S1E_jjS1G_bEUljE0_EEESZ_S10_S11_S18_S1C_S1E_T6_T7_T9_mT8_S1G_bDpT10_ENKUlT_T0_E_clISt17integral_constantIbLb1EES1T_IbLb0EEEEDaS1P_S1Q_EUlS1P_E_NS1_11comp_targetILNS1_3genE4ELNS1_11target_archE910ELNS1_3gpuE8ELNS1_3repE0EEENS1_30default_config_static_selectorELNS0_4arch9wavefront6targetE0EEEvS12_
; %bb.0:
	.section	.rodata,"a",@progbits
	.p2align	6, 0x0
	.amdhsa_kernel _ZN7rocprim17ROCPRIM_400000_NS6detail17trampoline_kernelINS0_13select_configILj256ELj13ELNS0_17block_load_methodE3ELS4_3ELS4_3ELNS0_20block_scan_algorithmE0ELj4294967295EEENS1_25partition_config_selectorILNS1_17partition_subalgoE4EjNS0_10empty_typeEbEEZZNS1_14partition_implILS8_4ELb0ES6_15HIP_vector_typeIjLj2EENS0_17counting_iteratorIjlEEPS9_SG_NS0_5tupleIJPjSI_NS0_16reverse_iteratorISI_EEEEENSH_IJSG_SG_SG_EEES9_SI_JZNS1_25segmented_radix_sort_implINS0_14default_configELb1EPKaPaPKlPlN2at6native12_GLOBAL__N_18offset_tEEE10hipError_tPvRmT1_PNSt15iterator_traitsIS12_E10value_typeET2_T3_PNS13_IS18_E10value_typeET4_jRbjT5_S1E_jjP12ihipStream_tbEUljE_ZNSN_ISO_Lb1ESQ_SR_ST_SU_SY_EESZ_S10_S11_S12_S16_S17_S18_S1B_S1C_jS1D_jS1E_S1E_jjS1G_bEUljE0_EEESZ_S10_S11_S18_S1C_S1E_T6_T7_T9_mT8_S1G_bDpT10_ENKUlT_T0_E_clISt17integral_constantIbLb1EES1T_IbLb0EEEEDaS1P_S1Q_EUlS1P_E_NS1_11comp_targetILNS1_3genE4ELNS1_11target_archE910ELNS1_3gpuE8ELNS1_3repE0EEENS1_30default_config_static_selectorELNS0_4arch9wavefront6targetE0EEEvS12_
		.amdhsa_group_segment_fixed_size 0
		.amdhsa_private_segment_fixed_size 0
		.amdhsa_kernarg_size 176
		.amdhsa_user_sgpr_count 2
		.amdhsa_user_sgpr_dispatch_ptr 0
		.amdhsa_user_sgpr_queue_ptr 0
		.amdhsa_user_sgpr_kernarg_segment_ptr 1
		.amdhsa_user_sgpr_dispatch_id 0
		.amdhsa_user_sgpr_private_segment_size 0
		.amdhsa_wavefront_size32 1
		.amdhsa_uses_dynamic_stack 0
		.amdhsa_enable_private_segment 0
		.amdhsa_system_sgpr_workgroup_id_x 1
		.amdhsa_system_sgpr_workgroup_id_y 0
		.amdhsa_system_sgpr_workgroup_id_z 0
		.amdhsa_system_sgpr_workgroup_info 0
		.amdhsa_system_vgpr_workitem_id 0
		.amdhsa_next_free_vgpr 1
		.amdhsa_next_free_sgpr 1
		.amdhsa_reserve_vcc 0
		.amdhsa_float_round_mode_32 0
		.amdhsa_float_round_mode_16_64 0
		.amdhsa_float_denorm_mode_32 3
		.amdhsa_float_denorm_mode_16_64 3
		.amdhsa_fp16_overflow 0
		.amdhsa_workgroup_processor_mode 1
		.amdhsa_memory_ordered 1
		.amdhsa_forward_progress 1
		.amdhsa_inst_pref_size 0
		.amdhsa_round_robin_scheduling 0
		.amdhsa_exception_fp_ieee_invalid_op 0
		.amdhsa_exception_fp_denorm_src 0
		.amdhsa_exception_fp_ieee_div_zero 0
		.amdhsa_exception_fp_ieee_overflow 0
		.amdhsa_exception_fp_ieee_underflow 0
		.amdhsa_exception_fp_ieee_inexact 0
		.amdhsa_exception_int_div_zero 0
	.end_amdhsa_kernel
	.section	.text._ZN7rocprim17ROCPRIM_400000_NS6detail17trampoline_kernelINS0_13select_configILj256ELj13ELNS0_17block_load_methodE3ELS4_3ELS4_3ELNS0_20block_scan_algorithmE0ELj4294967295EEENS1_25partition_config_selectorILNS1_17partition_subalgoE4EjNS0_10empty_typeEbEEZZNS1_14partition_implILS8_4ELb0ES6_15HIP_vector_typeIjLj2EENS0_17counting_iteratorIjlEEPS9_SG_NS0_5tupleIJPjSI_NS0_16reverse_iteratorISI_EEEEENSH_IJSG_SG_SG_EEES9_SI_JZNS1_25segmented_radix_sort_implINS0_14default_configELb1EPKaPaPKlPlN2at6native12_GLOBAL__N_18offset_tEEE10hipError_tPvRmT1_PNSt15iterator_traitsIS12_E10value_typeET2_T3_PNS13_IS18_E10value_typeET4_jRbjT5_S1E_jjP12ihipStream_tbEUljE_ZNSN_ISO_Lb1ESQ_SR_ST_SU_SY_EESZ_S10_S11_S12_S16_S17_S18_S1B_S1C_jS1D_jS1E_S1E_jjS1G_bEUljE0_EEESZ_S10_S11_S18_S1C_S1E_T6_T7_T9_mT8_S1G_bDpT10_ENKUlT_T0_E_clISt17integral_constantIbLb1EES1T_IbLb0EEEEDaS1P_S1Q_EUlS1P_E_NS1_11comp_targetILNS1_3genE4ELNS1_11target_archE910ELNS1_3gpuE8ELNS1_3repE0EEENS1_30default_config_static_selectorELNS0_4arch9wavefront6targetE0EEEvS12_,"axG",@progbits,_ZN7rocprim17ROCPRIM_400000_NS6detail17trampoline_kernelINS0_13select_configILj256ELj13ELNS0_17block_load_methodE3ELS4_3ELS4_3ELNS0_20block_scan_algorithmE0ELj4294967295EEENS1_25partition_config_selectorILNS1_17partition_subalgoE4EjNS0_10empty_typeEbEEZZNS1_14partition_implILS8_4ELb0ES6_15HIP_vector_typeIjLj2EENS0_17counting_iteratorIjlEEPS9_SG_NS0_5tupleIJPjSI_NS0_16reverse_iteratorISI_EEEEENSH_IJSG_SG_SG_EEES9_SI_JZNS1_25segmented_radix_sort_implINS0_14default_configELb1EPKaPaPKlPlN2at6native12_GLOBAL__N_18offset_tEEE10hipError_tPvRmT1_PNSt15iterator_traitsIS12_E10value_typeET2_T3_PNS13_IS18_E10value_typeET4_jRbjT5_S1E_jjP12ihipStream_tbEUljE_ZNSN_ISO_Lb1ESQ_SR_ST_SU_SY_EESZ_S10_S11_S12_S16_S17_S18_S1B_S1C_jS1D_jS1E_S1E_jjS1G_bEUljE0_EEESZ_S10_S11_S18_S1C_S1E_T6_T7_T9_mT8_S1G_bDpT10_ENKUlT_T0_E_clISt17integral_constantIbLb1EES1T_IbLb0EEEEDaS1P_S1Q_EUlS1P_E_NS1_11comp_targetILNS1_3genE4ELNS1_11target_archE910ELNS1_3gpuE8ELNS1_3repE0EEENS1_30default_config_static_selectorELNS0_4arch9wavefront6targetE0EEEvS12_,comdat
.Lfunc_end244:
	.size	_ZN7rocprim17ROCPRIM_400000_NS6detail17trampoline_kernelINS0_13select_configILj256ELj13ELNS0_17block_load_methodE3ELS4_3ELS4_3ELNS0_20block_scan_algorithmE0ELj4294967295EEENS1_25partition_config_selectorILNS1_17partition_subalgoE4EjNS0_10empty_typeEbEEZZNS1_14partition_implILS8_4ELb0ES6_15HIP_vector_typeIjLj2EENS0_17counting_iteratorIjlEEPS9_SG_NS0_5tupleIJPjSI_NS0_16reverse_iteratorISI_EEEEENSH_IJSG_SG_SG_EEES9_SI_JZNS1_25segmented_radix_sort_implINS0_14default_configELb1EPKaPaPKlPlN2at6native12_GLOBAL__N_18offset_tEEE10hipError_tPvRmT1_PNSt15iterator_traitsIS12_E10value_typeET2_T3_PNS13_IS18_E10value_typeET4_jRbjT5_S1E_jjP12ihipStream_tbEUljE_ZNSN_ISO_Lb1ESQ_SR_ST_SU_SY_EESZ_S10_S11_S12_S16_S17_S18_S1B_S1C_jS1D_jS1E_S1E_jjS1G_bEUljE0_EEESZ_S10_S11_S18_S1C_S1E_T6_T7_T9_mT8_S1G_bDpT10_ENKUlT_T0_E_clISt17integral_constantIbLb1EES1T_IbLb0EEEEDaS1P_S1Q_EUlS1P_E_NS1_11comp_targetILNS1_3genE4ELNS1_11target_archE910ELNS1_3gpuE8ELNS1_3repE0EEENS1_30default_config_static_selectorELNS0_4arch9wavefront6targetE0EEEvS12_, .Lfunc_end244-_ZN7rocprim17ROCPRIM_400000_NS6detail17trampoline_kernelINS0_13select_configILj256ELj13ELNS0_17block_load_methodE3ELS4_3ELS4_3ELNS0_20block_scan_algorithmE0ELj4294967295EEENS1_25partition_config_selectorILNS1_17partition_subalgoE4EjNS0_10empty_typeEbEEZZNS1_14partition_implILS8_4ELb0ES6_15HIP_vector_typeIjLj2EENS0_17counting_iteratorIjlEEPS9_SG_NS0_5tupleIJPjSI_NS0_16reverse_iteratorISI_EEEEENSH_IJSG_SG_SG_EEES9_SI_JZNS1_25segmented_radix_sort_implINS0_14default_configELb1EPKaPaPKlPlN2at6native12_GLOBAL__N_18offset_tEEE10hipError_tPvRmT1_PNSt15iterator_traitsIS12_E10value_typeET2_T3_PNS13_IS18_E10value_typeET4_jRbjT5_S1E_jjP12ihipStream_tbEUljE_ZNSN_ISO_Lb1ESQ_SR_ST_SU_SY_EESZ_S10_S11_S12_S16_S17_S18_S1B_S1C_jS1D_jS1E_S1E_jjS1G_bEUljE0_EEESZ_S10_S11_S18_S1C_S1E_T6_T7_T9_mT8_S1G_bDpT10_ENKUlT_T0_E_clISt17integral_constantIbLb1EES1T_IbLb0EEEEDaS1P_S1Q_EUlS1P_E_NS1_11comp_targetILNS1_3genE4ELNS1_11target_archE910ELNS1_3gpuE8ELNS1_3repE0EEENS1_30default_config_static_selectorELNS0_4arch9wavefront6targetE0EEEvS12_
                                        ; -- End function
	.set _ZN7rocprim17ROCPRIM_400000_NS6detail17trampoline_kernelINS0_13select_configILj256ELj13ELNS0_17block_load_methodE3ELS4_3ELS4_3ELNS0_20block_scan_algorithmE0ELj4294967295EEENS1_25partition_config_selectorILNS1_17partition_subalgoE4EjNS0_10empty_typeEbEEZZNS1_14partition_implILS8_4ELb0ES6_15HIP_vector_typeIjLj2EENS0_17counting_iteratorIjlEEPS9_SG_NS0_5tupleIJPjSI_NS0_16reverse_iteratorISI_EEEEENSH_IJSG_SG_SG_EEES9_SI_JZNS1_25segmented_radix_sort_implINS0_14default_configELb1EPKaPaPKlPlN2at6native12_GLOBAL__N_18offset_tEEE10hipError_tPvRmT1_PNSt15iterator_traitsIS12_E10value_typeET2_T3_PNS13_IS18_E10value_typeET4_jRbjT5_S1E_jjP12ihipStream_tbEUljE_ZNSN_ISO_Lb1ESQ_SR_ST_SU_SY_EESZ_S10_S11_S12_S16_S17_S18_S1B_S1C_jS1D_jS1E_S1E_jjS1G_bEUljE0_EEESZ_S10_S11_S18_S1C_S1E_T6_T7_T9_mT8_S1G_bDpT10_ENKUlT_T0_E_clISt17integral_constantIbLb1EES1T_IbLb0EEEEDaS1P_S1Q_EUlS1P_E_NS1_11comp_targetILNS1_3genE4ELNS1_11target_archE910ELNS1_3gpuE8ELNS1_3repE0EEENS1_30default_config_static_selectorELNS0_4arch9wavefront6targetE0EEEvS12_.num_vgpr, 0
	.set _ZN7rocprim17ROCPRIM_400000_NS6detail17trampoline_kernelINS0_13select_configILj256ELj13ELNS0_17block_load_methodE3ELS4_3ELS4_3ELNS0_20block_scan_algorithmE0ELj4294967295EEENS1_25partition_config_selectorILNS1_17partition_subalgoE4EjNS0_10empty_typeEbEEZZNS1_14partition_implILS8_4ELb0ES6_15HIP_vector_typeIjLj2EENS0_17counting_iteratorIjlEEPS9_SG_NS0_5tupleIJPjSI_NS0_16reverse_iteratorISI_EEEEENSH_IJSG_SG_SG_EEES9_SI_JZNS1_25segmented_radix_sort_implINS0_14default_configELb1EPKaPaPKlPlN2at6native12_GLOBAL__N_18offset_tEEE10hipError_tPvRmT1_PNSt15iterator_traitsIS12_E10value_typeET2_T3_PNS13_IS18_E10value_typeET4_jRbjT5_S1E_jjP12ihipStream_tbEUljE_ZNSN_ISO_Lb1ESQ_SR_ST_SU_SY_EESZ_S10_S11_S12_S16_S17_S18_S1B_S1C_jS1D_jS1E_S1E_jjS1G_bEUljE0_EEESZ_S10_S11_S18_S1C_S1E_T6_T7_T9_mT8_S1G_bDpT10_ENKUlT_T0_E_clISt17integral_constantIbLb1EES1T_IbLb0EEEEDaS1P_S1Q_EUlS1P_E_NS1_11comp_targetILNS1_3genE4ELNS1_11target_archE910ELNS1_3gpuE8ELNS1_3repE0EEENS1_30default_config_static_selectorELNS0_4arch9wavefront6targetE0EEEvS12_.num_agpr, 0
	.set _ZN7rocprim17ROCPRIM_400000_NS6detail17trampoline_kernelINS0_13select_configILj256ELj13ELNS0_17block_load_methodE3ELS4_3ELS4_3ELNS0_20block_scan_algorithmE0ELj4294967295EEENS1_25partition_config_selectorILNS1_17partition_subalgoE4EjNS0_10empty_typeEbEEZZNS1_14partition_implILS8_4ELb0ES6_15HIP_vector_typeIjLj2EENS0_17counting_iteratorIjlEEPS9_SG_NS0_5tupleIJPjSI_NS0_16reverse_iteratorISI_EEEEENSH_IJSG_SG_SG_EEES9_SI_JZNS1_25segmented_radix_sort_implINS0_14default_configELb1EPKaPaPKlPlN2at6native12_GLOBAL__N_18offset_tEEE10hipError_tPvRmT1_PNSt15iterator_traitsIS12_E10value_typeET2_T3_PNS13_IS18_E10value_typeET4_jRbjT5_S1E_jjP12ihipStream_tbEUljE_ZNSN_ISO_Lb1ESQ_SR_ST_SU_SY_EESZ_S10_S11_S12_S16_S17_S18_S1B_S1C_jS1D_jS1E_S1E_jjS1G_bEUljE0_EEESZ_S10_S11_S18_S1C_S1E_T6_T7_T9_mT8_S1G_bDpT10_ENKUlT_T0_E_clISt17integral_constantIbLb1EES1T_IbLb0EEEEDaS1P_S1Q_EUlS1P_E_NS1_11comp_targetILNS1_3genE4ELNS1_11target_archE910ELNS1_3gpuE8ELNS1_3repE0EEENS1_30default_config_static_selectorELNS0_4arch9wavefront6targetE0EEEvS12_.numbered_sgpr, 0
	.set _ZN7rocprim17ROCPRIM_400000_NS6detail17trampoline_kernelINS0_13select_configILj256ELj13ELNS0_17block_load_methodE3ELS4_3ELS4_3ELNS0_20block_scan_algorithmE0ELj4294967295EEENS1_25partition_config_selectorILNS1_17partition_subalgoE4EjNS0_10empty_typeEbEEZZNS1_14partition_implILS8_4ELb0ES6_15HIP_vector_typeIjLj2EENS0_17counting_iteratorIjlEEPS9_SG_NS0_5tupleIJPjSI_NS0_16reverse_iteratorISI_EEEEENSH_IJSG_SG_SG_EEES9_SI_JZNS1_25segmented_radix_sort_implINS0_14default_configELb1EPKaPaPKlPlN2at6native12_GLOBAL__N_18offset_tEEE10hipError_tPvRmT1_PNSt15iterator_traitsIS12_E10value_typeET2_T3_PNS13_IS18_E10value_typeET4_jRbjT5_S1E_jjP12ihipStream_tbEUljE_ZNSN_ISO_Lb1ESQ_SR_ST_SU_SY_EESZ_S10_S11_S12_S16_S17_S18_S1B_S1C_jS1D_jS1E_S1E_jjS1G_bEUljE0_EEESZ_S10_S11_S18_S1C_S1E_T6_T7_T9_mT8_S1G_bDpT10_ENKUlT_T0_E_clISt17integral_constantIbLb1EES1T_IbLb0EEEEDaS1P_S1Q_EUlS1P_E_NS1_11comp_targetILNS1_3genE4ELNS1_11target_archE910ELNS1_3gpuE8ELNS1_3repE0EEENS1_30default_config_static_selectorELNS0_4arch9wavefront6targetE0EEEvS12_.num_named_barrier, 0
	.set _ZN7rocprim17ROCPRIM_400000_NS6detail17trampoline_kernelINS0_13select_configILj256ELj13ELNS0_17block_load_methodE3ELS4_3ELS4_3ELNS0_20block_scan_algorithmE0ELj4294967295EEENS1_25partition_config_selectorILNS1_17partition_subalgoE4EjNS0_10empty_typeEbEEZZNS1_14partition_implILS8_4ELb0ES6_15HIP_vector_typeIjLj2EENS0_17counting_iteratorIjlEEPS9_SG_NS0_5tupleIJPjSI_NS0_16reverse_iteratorISI_EEEEENSH_IJSG_SG_SG_EEES9_SI_JZNS1_25segmented_radix_sort_implINS0_14default_configELb1EPKaPaPKlPlN2at6native12_GLOBAL__N_18offset_tEEE10hipError_tPvRmT1_PNSt15iterator_traitsIS12_E10value_typeET2_T3_PNS13_IS18_E10value_typeET4_jRbjT5_S1E_jjP12ihipStream_tbEUljE_ZNSN_ISO_Lb1ESQ_SR_ST_SU_SY_EESZ_S10_S11_S12_S16_S17_S18_S1B_S1C_jS1D_jS1E_S1E_jjS1G_bEUljE0_EEESZ_S10_S11_S18_S1C_S1E_T6_T7_T9_mT8_S1G_bDpT10_ENKUlT_T0_E_clISt17integral_constantIbLb1EES1T_IbLb0EEEEDaS1P_S1Q_EUlS1P_E_NS1_11comp_targetILNS1_3genE4ELNS1_11target_archE910ELNS1_3gpuE8ELNS1_3repE0EEENS1_30default_config_static_selectorELNS0_4arch9wavefront6targetE0EEEvS12_.private_seg_size, 0
	.set _ZN7rocprim17ROCPRIM_400000_NS6detail17trampoline_kernelINS0_13select_configILj256ELj13ELNS0_17block_load_methodE3ELS4_3ELS4_3ELNS0_20block_scan_algorithmE0ELj4294967295EEENS1_25partition_config_selectorILNS1_17partition_subalgoE4EjNS0_10empty_typeEbEEZZNS1_14partition_implILS8_4ELb0ES6_15HIP_vector_typeIjLj2EENS0_17counting_iteratorIjlEEPS9_SG_NS0_5tupleIJPjSI_NS0_16reverse_iteratorISI_EEEEENSH_IJSG_SG_SG_EEES9_SI_JZNS1_25segmented_radix_sort_implINS0_14default_configELb1EPKaPaPKlPlN2at6native12_GLOBAL__N_18offset_tEEE10hipError_tPvRmT1_PNSt15iterator_traitsIS12_E10value_typeET2_T3_PNS13_IS18_E10value_typeET4_jRbjT5_S1E_jjP12ihipStream_tbEUljE_ZNSN_ISO_Lb1ESQ_SR_ST_SU_SY_EESZ_S10_S11_S12_S16_S17_S18_S1B_S1C_jS1D_jS1E_S1E_jjS1G_bEUljE0_EEESZ_S10_S11_S18_S1C_S1E_T6_T7_T9_mT8_S1G_bDpT10_ENKUlT_T0_E_clISt17integral_constantIbLb1EES1T_IbLb0EEEEDaS1P_S1Q_EUlS1P_E_NS1_11comp_targetILNS1_3genE4ELNS1_11target_archE910ELNS1_3gpuE8ELNS1_3repE0EEENS1_30default_config_static_selectorELNS0_4arch9wavefront6targetE0EEEvS12_.uses_vcc, 0
	.set _ZN7rocprim17ROCPRIM_400000_NS6detail17trampoline_kernelINS0_13select_configILj256ELj13ELNS0_17block_load_methodE3ELS4_3ELS4_3ELNS0_20block_scan_algorithmE0ELj4294967295EEENS1_25partition_config_selectorILNS1_17partition_subalgoE4EjNS0_10empty_typeEbEEZZNS1_14partition_implILS8_4ELb0ES6_15HIP_vector_typeIjLj2EENS0_17counting_iteratorIjlEEPS9_SG_NS0_5tupleIJPjSI_NS0_16reverse_iteratorISI_EEEEENSH_IJSG_SG_SG_EEES9_SI_JZNS1_25segmented_radix_sort_implINS0_14default_configELb1EPKaPaPKlPlN2at6native12_GLOBAL__N_18offset_tEEE10hipError_tPvRmT1_PNSt15iterator_traitsIS12_E10value_typeET2_T3_PNS13_IS18_E10value_typeET4_jRbjT5_S1E_jjP12ihipStream_tbEUljE_ZNSN_ISO_Lb1ESQ_SR_ST_SU_SY_EESZ_S10_S11_S12_S16_S17_S18_S1B_S1C_jS1D_jS1E_S1E_jjS1G_bEUljE0_EEESZ_S10_S11_S18_S1C_S1E_T6_T7_T9_mT8_S1G_bDpT10_ENKUlT_T0_E_clISt17integral_constantIbLb1EES1T_IbLb0EEEEDaS1P_S1Q_EUlS1P_E_NS1_11comp_targetILNS1_3genE4ELNS1_11target_archE910ELNS1_3gpuE8ELNS1_3repE0EEENS1_30default_config_static_selectorELNS0_4arch9wavefront6targetE0EEEvS12_.uses_flat_scratch, 0
	.set _ZN7rocprim17ROCPRIM_400000_NS6detail17trampoline_kernelINS0_13select_configILj256ELj13ELNS0_17block_load_methodE3ELS4_3ELS4_3ELNS0_20block_scan_algorithmE0ELj4294967295EEENS1_25partition_config_selectorILNS1_17partition_subalgoE4EjNS0_10empty_typeEbEEZZNS1_14partition_implILS8_4ELb0ES6_15HIP_vector_typeIjLj2EENS0_17counting_iteratorIjlEEPS9_SG_NS0_5tupleIJPjSI_NS0_16reverse_iteratorISI_EEEEENSH_IJSG_SG_SG_EEES9_SI_JZNS1_25segmented_radix_sort_implINS0_14default_configELb1EPKaPaPKlPlN2at6native12_GLOBAL__N_18offset_tEEE10hipError_tPvRmT1_PNSt15iterator_traitsIS12_E10value_typeET2_T3_PNS13_IS18_E10value_typeET4_jRbjT5_S1E_jjP12ihipStream_tbEUljE_ZNSN_ISO_Lb1ESQ_SR_ST_SU_SY_EESZ_S10_S11_S12_S16_S17_S18_S1B_S1C_jS1D_jS1E_S1E_jjS1G_bEUljE0_EEESZ_S10_S11_S18_S1C_S1E_T6_T7_T9_mT8_S1G_bDpT10_ENKUlT_T0_E_clISt17integral_constantIbLb1EES1T_IbLb0EEEEDaS1P_S1Q_EUlS1P_E_NS1_11comp_targetILNS1_3genE4ELNS1_11target_archE910ELNS1_3gpuE8ELNS1_3repE0EEENS1_30default_config_static_selectorELNS0_4arch9wavefront6targetE0EEEvS12_.has_dyn_sized_stack, 0
	.set _ZN7rocprim17ROCPRIM_400000_NS6detail17trampoline_kernelINS0_13select_configILj256ELj13ELNS0_17block_load_methodE3ELS4_3ELS4_3ELNS0_20block_scan_algorithmE0ELj4294967295EEENS1_25partition_config_selectorILNS1_17partition_subalgoE4EjNS0_10empty_typeEbEEZZNS1_14partition_implILS8_4ELb0ES6_15HIP_vector_typeIjLj2EENS0_17counting_iteratorIjlEEPS9_SG_NS0_5tupleIJPjSI_NS0_16reverse_iteratorISI_EEEEENSH_IJSG_SG_SG_EEES9_SI_JZNS1_25segmented_radix_sort_implINS0_14default_configELb1EPKaPaPKlPlN2at6native12_GLOBAL__N_18offset_tEEE10hipError_tPvRmT1_PNSt15iterator_traitsIS12_E10value_typeET2_T3_PNS13_IS18_E10value_typeET4_jRbjT5_S1E_jjP12ihipStream_tbEUljE_ZNSN_ISO_Lb1ESQ_SR_ST_SU_SY_EESZ_S10_S11_S12_S16_S17_S18_S1B_S1C_jS1D_jS1E_S1E_jjS1G_bEUljE0_EEESZ_S10_S11_S18_S1C_S1E_T6_T7_T9_mT8_S1G_bDpT10_ENKUlT_T0_E_clISt17integral_constantIbLb1EES1T_IbLb0EEEEDaS1P_S1Q_EUlS1P_E_NS1_11comp_targetILNS1_3genE4ELNS1_11target_archE910ELNS1_3gpuE8ELNS1_3repE0EEENS1_30default_config_static_selectorELNS0_4arch9wavefront6targetE0EEEvS12_.has_recursion, 0
	.set _ZN7rocprim17ROCPRIM_400000_NS6detail17trampoline_kernelINS0_13select_configILj256ELj13ELNS0_17block_load_methodE3ELS4_3ELS4_3ELNS0_20block_scan_algorithmE0ELj4294967295EEENS1_25partition_config_selectorILNS1_17partition_subalgoE4EjNS0_10empty_typeEbEEZZNS1_14partition_implILS8_4ELb0ES6_15HIP_vector_typeIjLj2EENS0_17counting_iteratorIjlEEPS9_SG_NS0_5tupleIJPjSI_NS0_16reverse_iteratorISI_EEEEENSH_IJSG_SG_SG_EEES9_SI_JZNS1_25segmented_radix_sort_implINS0_14default_configELb1EPKaPaPKlPlN2at6native12_GLOBAL__N_18offset_tEEE10hipError_tPvRmT1_PNSt15iterator_traitsIS12_E10value_typeET2_T3_PNS13_IS18_E10value_typeET4_jRbjT5_S1E_jjP12ihipStream_tbEUljE_ZNSN_ISO_Lb1ESQ_SR_ST_SU_SY_EESZ_S10_S11_S12_S16_S17_S18_S1B_S1C_jS1D_jS1E_S1E_jjS1G_bEUljE0_EEESZ_S10_S11_S18_S1C_S1E_T6_T7_T9_mT8_S1G_bDpT10_ENKUlT_T0_E_clISt17integral_constantIbLb1EES1T_IbLb0EEEEDaS1P_S1Q_EUlS1P_E_NS1_11comp_targetILNS1_3genE4ELNS1_11target_archE910ELNS1_3gpuE8ELNS1_3repE0EEENS1_30default_config_static_selectorELNS0_4arch9wavefront6targetE0EEEvS12_.has_indirect_call, 0
	.section	.AMDGPU.csdata,"",@progbits
; Kernel info:
; codeLenInByte = 0
; TotalNumSgprs: 0
; NumVgprs: 0
; ScratchSize: 0
; MemoryBound: 0
; FloatMode: 240
; IeeeMode: 1
; LDSByteSize: 0 bytes/workgroup (compile time only)
; SGPRBlocks: 0
; VGPRBlocks: 0
; NumSGPRsForWavesPerEU: 1
; NumVGPRsForWavesPerEU: 1
; Occupancy: 16
; WaveLimiterHint : 0
; COMPUTE_PGM_RSRC2:SCRATCH_EN: 0
; COMPUTE_PGM_RSRC2:USER_SGPR: 2
; COMPUTE_PGM_RSRC2:TRAP_HANDLER: 0
; COMPUTE_PGM_RSRC2:TGID_X_EN: 1
; COMPUTE_PGM_RSRC2:TGID_Y_EN: 0
; COMPUTE_PGM_RSRC2:TGID_Z_EN: 0
; COMPUTE_PGM_RSRC2:TIDIG_COMP_CNT: 0
	.section	.text._ZN7rocprim17ROCPRIM_400000_NS6detail17trampoline_kernelINS0_13select_configILj256ELj13ELNS0_17block_load_methodE3ELS4_3ELS4_3ELNS0_20block_scan_algorithmE0ELj4294967295EEENS1_25partition_config_selectorILNS1_17partition_subalgoE4EjNS0_10empty_typeEbEEZZNS1_14partition_implILS8_4ELb0ES6_15HIP_vector_typeIjLj2EENS0_17counting_iteratorIjlEEPS9_SG_NS0_5tupleIJPjSI_NS0_16reverse_iteratorISI_EEEEENSH_IJSG_SG_SG_EEES9_SI_JZNS1_25segmented_radix_sort_implINS0_14default_configELb1EPKaPaPKlPlN2at6native12_GLOBAL__N_18offset_tEEE10hipError_tPvRmT1_PNSt15iterator_traitsIS12_E10value_typeET2_T3_PNS13_IS18_E10value_typeET4_jRbjT5_S1E_jjP12ihipStream_tbEUljE_ZNSN_ISO_Lb1ESQ_SR_ST_SU_SY_EESZ_S10_S11_S12_S16_S17_S18_S1B_S1C_jS1D_jS1E_S1E_jjS1G_bEUljE0_EEESZ_S10_S11_S18_S1C_S1E_T6_T7_T9_mT8_S1G_bDpT10_ENKUlT_T0_E_clISt17integral_constantIbLb1EES1T_IbLb0EEEEDaS1P_S1Q_EUlS1P_E_NS1_11comp_targetILNS1_3genE3ELNS1_11target_archE908ELNS1_3gpuE7ELNS1_3repE0EEENS1_30default_config_static_selectorELNS0_4arch9wavefront6targetE0EEEvS12_,"axG",@progbits,_ZN7rocprim17ROCPRIM_400000_NS6detail17trampoline_kernelINS0_13select_configILj256ELj13ELNS0_17block_load_methodE3ELS4_3ELS4_3ELNS0_20block_scan_algorithmE0ELj4294967295EEENS1_25partition_config_selectorILNS1_17partition_subalgoE4EjNS0_10empty_typeEbEEZZNS1_14partition_implILS8_4ELb0ES6_15HIP_vector_typeIjLj2EENS0_17counting_iteratorIjlEEPS9_SG_NS0_5tupleIJPjSI_NS0_16reverse_iteratorISI_EEEEENSH_IJSG_SG_SG_EEES9_SI_JZNS1_25segmented_radix_sort_implINS0_14default_configELb1EPKaPaPKlPlN2at6native12_GLOBAL__N_18offset_tEEE10hipError_tPvRmT1_PNSt15iterator_traitsIS12_E10value_typeET2_T3_PNS13_IS18_E10value_typeET4_jRbjT5_S1E_jjP12ihipStream_tbEUljE_ZNSN_ISO_Lb1ESQ_SR_ST_SU_SY_EESZ_S10_S11_S12_S16_S17_S18_S1B_S1C_jS1D_jS1E_S1E_jjS1G_bEUljE0_EEESZ_S10_S11_S18_S1C_S1E_T6_T7_T9_mT8_S1G_bDpT10_ENKUlT_T0_E_clISt17integral_constantIbLb1EES1T_IbLb0EEEEDaS1P_S1Q_EUlS1P_E_NS1_11comp_targetILNS1_3genE3ELNS1_11target_archE908ELNS1_3gpuE7ELNS1_3repE0EEENS1_30default_config_static_selectorELNS0_4arch9wavefront6targetE0EEEvS12_,comdat
	.globl	_ZN7rocprim17ROCPRIM_400000_NS6detail17trampoline_kernelINS0_13select_configILj256ELj13ELNS0_17block_load_methodE3ELS4_3ELS4_3ELNS0_20block_scan_algorithmE0ELj4294967295EEENS1_25partition_config_selectorILNS1_17partition_subalgoE4EjNS0_10empty_typeEbEEZZNS1_14partition_implILS8_4ELb0ES6_15HIP_vector_typeIjLj2EENS0_17counting_iteratorIjlEEPS9_SG_NS0_5tupleIJPjSI_NS0_16reverse_iteratorISI_EEEEENSH_IJSG_SG_SG_EEES9_SI_JZNS1_25segmented_radix_sort_implINS0_14default_configELb1EPKaPaPKlPlN2at6native12_GLOBAL__N_18offset_tEEE10hipError_tPvRmT1_PNSt15iterator_traitsIS12_E10value_typeET2_T3_PNS13_IS18_E10value_typeET4_jRbjT5_S1E_jjP12ihipStream_tbEUljE_ZNSN_ISO_Lb1ESQ_SR_ST_SU_SY_EESZ_S10_S11_S12_S16_S17_S18_S1B_S1C_jS1D_jS1E_S1E_jjS1G_bEUljE0_EEESZ_S10_S11_S18_S1C_S1E_T6_T7_T9_mT8_S1G_bDpT10_ENKUlT_T0_E_clISt17integral_constantIbLb1EES1T_IbLb0EEEEDaS1P_S1Q_EUlS1P_E_NS1_11comp_targetILNS1_3genE3ELNS1_11target_archE908ELNS1_3gpuE7ELNS1_3repE0EEENS1_30default_config_static_selectorELNS0_4arch9wavefront6targetE0EEEvS12_ ; -- Begin function _ZN7rocprim17ROCPRIM_400000_NS6detail17trampoline_kernelINS0_13select_configILj256ELj13ELNS0_17block_load_methodE3ELS4_3ELS4_3ELNS0_20block_scan_algorithmE0ELj4294967295EEENS1_25partition_config_selectorILNS1_17partition_subalgoE4EjNS0_10empty_typeEbEEZZNS1_14partition_implILS8_4ELb0ES6_15HIP_vector_typeIjLj2EENS0_17counting_iteratorIjlEEPS9_SG_NS0_5tupleIJPjSI_NS0_16reverse_iteratorISI_EEEEENSH_IJSG_SG_SG_EEES9_SI_JZNS1_25segmented_radix_sort_implINS0_14default_configELb1EPKaPaPKlPlN2at6native12_GLOBAL__N_18offset_tEEE10hipError_tPvRmT1_PNSt15iterator_traitsIS12_E10value_typeET2_T3_PNS13_IS18_E10value_typeET4_jRbjT5_S1E_jjP12ihipStream_tbEUljE_ZNSN_ISO_Lb1ESQ_SR_ST_SU_SY_EESZ_S10_S11_S12_S16_S17_S18_S1B_S1C_jS1D_jS1E_S1E_jjS1G_bEUljE0_EEESZ_S10_S11_S18_S1C_S1E_T6_T7_T9_mT8_S1G_bDpT10_ENKUlT_T0_E_clISt17integral_constantIbLb1EES1T_IbLb0EEEEDaS1P_S1Q_EUlS1P_E_NS1_11comp_targetILNS1_3genE3ELNS1_11target_archE908ELNS1_3gpuE7ELNS1_3repE0EEENS1_30default_config_static_selectorELNS0_4arch9wavefront6targetE0EEEvS12_
	.p2align	8
	.type	_ZN7rocprim17ROCPRIM_400000_NS6detail17trampoline_kernelINS0_13select_configILj256ELj13ELNS0_17block_load_methodE3ELS4_3ELS4_3ELNS0_20block_scan_algorithmE0ELj4294967295EEENS1_25partition_config_selectorILNS1_17partition_subalgoE4EjNS0_10empty_typeEbEEZZNS1_14partition_implILS8_4ELb0ES6_15HIP_vector_typeIjLj2EENS0_17counting_iteratorIjlEEPS9_SG_NS0_5tupleIJPjSI_NS0_16reverse_iteratorISI_EEEEENSH_IJSG_SG_SG_EEES9_SI_JZNS1_25segmented_radix_sort_implINS0_14default_configELb1EPKaPaPKlPlN2at6native12_GLOBAL__N_18offset_tEEE10hipError_tPvRmT1_PNSt15iterator_traitsIS12_E10value_typeET2_T3_PNS13_IS18_E10value_typeET4_jRbjT5_S1E_jjP12ihipStream_tbEUljE_ZNSN_ISO_Lb1ESQ_SR_ST_SU_SY_EESZ_S10_S11_S12_S16_S17_S18_S1B_S1C_jS1D_jS1E_S1E_jjS1G_bEUljE0_EEESZ_S10_S11_S18_S1C_S1E_T6_T7_T9_mT8_S1G_bDpT10_ENKUlT_T0_E_clISt17integral_constantIbLb1EES1T_IbLb0EEEEDaS1P_S1Q_EUlS1P_E_NS1_11comp_targetILNS1_3genE3ELNS1_11target_archE908ELNS1_3gpuE7ELNS1_3repE0EEENS1_30default_config_static_selectorELNS0_4arch9wavefront6targetE0EEEvS12_,@function
_ZN7rocprim17ROCPRIM_400000_NS6detail17trampoline_kernelINS0_13select_configILj256ELj13ELNS0_17block_load_methodE3ELS4_3ELS4_3ELNS0_20block_scan_algorithmE0ELj4294967295EEENS1_25partition_config_selectorILNS1_17partition_subalgoE4EjNS0_10empty_typeEbEEZZNS1_14partition_implILS8_4ELb0ES6_15HIP_vector_typeIjLj2EENS0_17counting_iteratorIjlEEPS9_SG_NS0_5tupleIJPjSI_NS0_16reverse_iteratorISI_EEEEENSH_IJSG_SG_SG_EEES9_SI_JZNS1_25segmented_radix_sort_implINS0_14default_configELb1EPKaPaPKlPlN2at6native12_GLOBAL__N_18offset_tEEE10hipError_tPvRmT1_PNSt15iterator_traitsIS12_E10value_typeET2_T3_PNS13_IS18_E10value_typeET4_jRbjT5_S1E_jjP12ihipStream_tbEUljE_ZNSN_ISO_Lb1ESQ_SR_ST_SU_SY_EESZ_S10_S11_S12_S16_S17_S18_S1B_S1C_jS1D_jS1E_S1E_jjS1G_bEUljE0_EEESZ_S10_S11_S18_S1C_S1E_T6_T7_T9_mT8_S1G_bDpT10_ENKUlT_T0_E_clISt17integral_constantIbLb1EES1T_IbLb0EEEEDaS1P_S1Q_EUlS1P_E_NS1_11comp_targetILNS1_3genE3ELNS1_11target_archE908ELNS1_3gpuE7ELNS1_3repE0EEENS1_30default_config_static_selectorELNS0_4arch9wavefront6targetE0EEEvS12_: ; @_ZN7rocprim17ROCPRIM_400000_NS6detail17trampoline_kernelINS0_13select_configILj256ELj13ELNS0_17block_load_methodE3ELS4_3ELS4_3ELNS0_20block_scan_algorithmE0ELj4294967295EEENS1_25partition_config_selectorILNS1_17partition_subalgoE4EjNS0_10empty_typeEbEEZZNS1_14partition_implILS8_4ELb0ES6_15HIP_vector_typeIjLj2EENS0_17counting_iteratorIjlEEPS9_SG_NS0_5tupleIJPjSI_NS0_16reverse_iteratorISI_EEEEENSH_IJSG_SG_SG_EEES9_SI_JZNS1_25segmented_radix_sort_implINS0_14default_configELb1EPKaPaPKlPlN2at6native12_GLOBAL__N_18offset_tEEE10hipError_tPvRmT1_PNSt15iterator_traitsIS12_E10value_typeET2_T3_PNS13_IS18_E10value_typeET4_jRbjT5_S1E_jjP12ihipStream_tbEUljE_ZNSN_ISO_Lb1ESQ_SR_ST_SU_SY_EESZ_S10_S11_S12_S16_S17_S18_S1B_S1C_jS1D_jS1E_S1E_jjS1G_bEUljE0_EEESZ_S10_S11_S18_S1C_S1E_T6_T7_T9_mT8_S1G_bDpT10_ENKUlT_T0_E_clISt17integral_constantIbLb1EES1T_IbLb0EEEEDaS1P_S1Q_EUlS1P_E_NS1_11comp_targetILNS1_3genE3ELNS1_11target_archE908ELNS1_3gpuE7ELNS1_3repE0EEENS1_30default_config_static_selectorELNS0_4arch9wavefront6targetE0EEEvS12_
; %bb.0:
	.section	.rodata,"a",@progbits
	.p2align	6, 0x0
	.amdhsa_kernel _ZN7rocprim17ROCPRIM_400000_NS6detail17trampoline_kernelINS0_13select_configILj256ELj13ELNS0_17block_load_methodE3ELS4_3ELS4_3ELNS0_20block_scan_algorithmE0ELj4294967295EEENS1_25partition_config_selectorILNS1_17partition_subalgoE4EjNS0_10empty_typeEbEEZZNS1_14partition_implILS8_4ELb0ES6_15HIP_vector_typeIjLj2EENS0_17counting_iteratorIjlEEPS9_SG_NS0_5tupleIJPjSI_NS0_16reverse_iteratorISI_EEEEENSH_IJSG_SG_SG_EEES9_SI_JZNS1_25segmented_radix_sort_implINS0_14default_configELb1EPKaPaPKlPlN2at6native12_GLOBAL__N_18offset_tEEE10hipError_tPvRmT1_PNSt15iterator_traitsIS12_E10value_typeET2_T3_PNS13_IS18_E10value_typeET4_jRbjT5_S1E_jjP12ihipStream_tbEUljE_ZNSN_ISO_Lb1ESQ_SR_ST_SU_SY_EESZ_S10_S11_S12_S16_S17_S18_S1B_S1C_jS1D_jS1E_S1E_jjS1G_bEUljE0_EEESZ_S10_S11_S18_S1C_S1E_T6_T7_T9_mT8_S1G_bDpT10_ENKUlT_T0_E_clISt17integral_constantIbLb1EES1T_IbLb0EEEEDaS1P_S1Q_EUlS1P_E_NS1_11comp_targetILNS1_3genE3ELNS1_11target_archE908ELNS1_3gpuE7ELNS1_3repE0EEENS1_30default_config_static_selectorELNS0_4arch9wavefront6targetE0EEEvS12_
		.amdhsa_group_segment_fixed_size 0
		.amdhsa_private_segment_fixed_size 0
		.amdhsa_kernarg_size 176
		.amdhsa_user_sgpr_count 2
		.amdhsa_user_sgpr_dispatch_ptr 0
		.amdhsa_user_sgpr_queue_ptr 0
		.amdhsa_user_sgpr_kernarg_segment_ptr 1
		.amdhsa_user_sgpr_dispatch_id 0
		.amdhsa_user_sgpr_private_segment_size 0
		.amdhsa_wavefront_size32 1
		.amdhsa_uses_dynamic_stack 0
		.amdhsa_enable_private_segment 0
		.amdhsa_system_sgpr_workgroup_id_x 1
		.amdhsa_system_sgpr_workgroup_id_y 0
		.amdhsa_system_sgpr_workgroup_id_z 0
		.amdhsa_system_sgpr_workgroup_info 0
		.amdhsa_system_vgpr_workitem_id 0
		.amdhsa_next_free_vgpr 1
		.amdhsa_next_free_sgpr 1
		.amdhsa_reserve_vcc 0
		.amdhsa_float_round_mode_32 0
		.amdhsa_float_round_mode_16_64 0
		.amdhsa_float_denorm_mode_32 3
		.amdhsa_float_denorm_mode_16_64 3
		.amdhsa_fp16_overflow 0
		.amdhsa_workgroup_processor_mode 1
		.amdhsa_memory_ordered 1
		.amdhsa_forward_progress 1
		.amdhsa_inst_pref_size 0
		.amdhsa_round_robin_scheduling 0
		.amdhsa_exception_fp_ieee_invalid_op 0
		.amdhsa_exception_fp_denorm_src 0
		.amdhsa_exception_fp_ieee_div_zero 0
		.amdhsa_exception_fp_ieee_overflow 0
		.amdhsa_exception_fp_ieee_underflow 0
		.amdhsa_exception_fp_ieee_inexact 0
		.amdhsa_exception_int_div_zero 0
	.end_amdhsa_kernel
	.section	.text._ZN7rocprim17ROCPRIM_400000_NS6detail17trampoline_kernelINS0_13select_configILj256ELj13ELNS0_17block_load_methodE3ELS4_3ELS4_3ELNS0_20block_scan_algorithmE0ELj4294967295EEENS1_25partition_config_selectorILNS1_17partition_subalgoE4EjNS0_10empty_typeEbEEZZNS1_14partition_implILS8_4ELb0ES6_15HIP_vector_typeIjLj2EENS0_17counting_iteratorIjlEEPS9_SG_NS0_5tupleIJPjSI_NS0_16reverse_iteratorISI_EEEEENSH_IJSG_SG_SG_EEES9_SI_JZNS1_25segmented_radix_sort_implINS0_14default_configELb1EPKaPaPKlPlN2at6native12_GLOBAL__N_18offset_tEEE10hipError_tPvRmT1_PNSt15iterator_traitsIS12_E10value_typeET2_T3_PNS13_IS18_E10value_typeET4_jRbjT5_S1E_jjP12ihipStream_tbEUljE_ZNSN_ISO_Lb1ESQ_SR_ST_SU_SY_EESZ_S10_S11_S12_S16_S17_S18_S1B_S1C_jS1D_jS1E_S1E_jjS1G_bEUljE0_EEESZ_S10_S11_S18_S1C_S1E_T6_T7_T9_mT8_S1G_bDpT10_ENKUlT_T0_E_clISt17integral_constantIbLb1EES1T_IbLb0EEEEDaS1P_S1Q_EUlS1P_E_NS1_11comp_targetILNS1_3genE3ELNS1_11target_archE908ELNS1_3gpuE7ELNS1_3repE0EEENS1_30default_config_static_selectorELNS0_4arch9wavefront6targetE0EEEvS12_,"axG",@progbits,_ZN7rocprim17ROCPRIM_400000_NS6detail17trampoline_kernelINS0_13select_configILj256ELj13ELNS0_17block_load_methodE3ELS4_3ELS4_3ELNS0_20block_scan_algorithmE0ELj4294967295EEENS1_25partition_config_selectorILNS1_17partition_subalgoE4EjNS0_10empty_typeEbEEZZNS1_14partition_implILS8_4ELb0ES6_15HIP_vector_typeIjLj2EENS0_17counting_iteratorIjlEEPS9_SG_NS0_5tupleIJPjSI_NS0_16reverse_iteratorISI_EEEEENSH_IJSG_SG_SG_EEES9_SI_JZNS1_25segmented_radix_sort_implINS0_14default_configELb1EPKaPaPKlPlN2at6native12_GLOBAL__N_18offset_tEEE10hipError_tPvRmT1_PNSt15iterator_traitsIS12_E10value_typeET2_T3_PNS13_IS18_E10value_typeET4_jRbjT5_S1E_jjP12ihipStream_tbEUljE_ZNSN_ISO_Lb1ESQ_SR_ST_SU_SY_EESZ_S10_S11_S12_S16_S17_S18_S1B_S1C_jS1D_jS1E_S1E_jjS1G_bEUljE0_EEESZ_S10_S11_S18_S1C_S1E_T6_T7_T9_mT8_S1G_bDpT10_ENKUlT_T0_E_clISt17integral_constantIbLb1EES1T_IbLb0EEEEDaS1P_S1Q_EUlS1P_E_NS1_11comp_targetILNS1_3genE3ELNS1_11target_archE908ELNS1_3gpuE7ELNS1_3repE0EEENS1_30default_config_static_selectorELNS0_4arch9wavefront6targetE0EEEvS12_,comdat
.Lfunc_end245:
	.size	_ZN7rocprim17ROCPRIM_400000_NS6detail17trampoline_kernelINS0_13select_configILj256ELj13ELNS0_17block_load_methodE3ELS4_3ELS4_3ELNS0_20block_scan_algorithmE0ELj4294967295EEENS1_25partition_config_selectorILNS1_17partition_subalgoE4EjNS0_10empty_typeEbEEZZNS1_14partition_implILS8_4ELb0ES6_15HIP_vector_typeIjLj2EENS0_17counting_iteratorIjlEEPS9_SG_NS0_5tupleIJPjSI_NS0_16reverse_iteratorISI_EEEEENSH_IJSG_SG_SG_EEES9_SI_JZNS1_25segmented_radix_sort_implINS0_14default_configELb1EPKaPaPKlPlN2at6native12_GLOBAL__N_18offset_tEEE10hipError_tPvRmT1_PNSt15iterator_traitsIS12_E10value_typeET2_T3_PNS13_IS18_E10value_typeET4_jRbjT5_S1E_jjP12ihipStream_tbEUljE_ZNSN_ISO_Lb1ESQ_SR_ST_SU_SY_EESZ_S10_S11_S12_S16_S17_S18_S1B_S1C_jS1D_jS1E_S1E_jjS1G_bEUljE0_EEESZ_S10_S11_S18_S1C_S1E_T6_T7_T9_mT8_S1G_bDpT10_ENKUlT_T0_E_clISt17integral_constantIbLb1EES1T_IbLb0EEEEDaS1P_S1Q_EUlS1P_E_NS1_11comp_targetILNS1_3genE3ELNS1_11target_archE908ELNS1_3gpuE7ELNS1_3repE0EEENS1_30default_config_static_selectorELNS0_4arch9wavefront6targetE0EEEvS12_, .Lfunc_end245-_ZN7rocprim17ROCPRIM_400000_NS6detail17trampoline_kernelINS0_13select_configILj256ELj13ELNS0_17block_load_methodE3ELS4_3ELS4_3ELNS0_20block_scan_algorithmE0ELj4294967295EEENS1_25partition_config_selectorILNS1_17partition_subalgoE4EjNS0_10empty_typeEbEEZZNS1_14partition_implILS8_4ELb0ES6_15HIP_vector_typeIjLj2EENS0_17counting_iteratorIjlEEPS9_SG_NS0_5tupleIJPjSI_NS0_16reverse_iteratorISI_EEEEENSH_IJSG_SG_SG_EEES9_SI_JZNS1_25segmented_radix_sort_implINS0_14default_configELb1EPKaPaPKlPlN2at6native12_GLOBAL__N_18offset_tEEE10hipError_tPvRmT1_PNSt15iterator_traitsIS12_E10value_typeET2_T3_PNS13_IS18_E10value_typeET4_jRbjT5_S1E_jjP12ihipStream_tbEUljE_ZNSN_ISO_Lb1ESQ_SR_ST_SU_SY_EESZ_S10_S11_S12_S16_S17_S18_S1B_S1C_jS1D_jS1E_S1E_jjS1G_bEUljE0_EEESZ_S10_S11_S18_S1C_S1E_T6_T7_T9_mT8_S1G_bDpT10_ENKUlT_T0_E_clISt17integral_constantIbLb1EES1T_IbLb0EEEEDaS1P_S1Q_EUlS1P_E_NS1_11comp_targetILNS1_3genE3ELNS1_11target_archE908ELNS1_3gpuE7ELNS1_3repE0EEENS1_30default_config_static_selectorELNS0_4arch9wavefront6targetE0EEEvS12_
                                        ; -- End function
	.set _ZN7rocprim17ROCPRIM_400000_NS6detail17trampoline_kernelINS0_13select_configILj256ELj13ELNS0_17block_load_methodE3ELS4_3ELS4_3ELNS0_20block_scan_algorithmE0ELj4294967295EEENS1_25partition_config_selectorILNS1_17partition_subalgoE4EjNS0_10empty_typeEbEEZZNS1_14partition_implILS8_4ELb0ES6_15HIP_vector_typeIjLj2EENS0_17counting_iteratorIjlEEPS9_SG_NS0_5tupleIJPjSI_NS0_16reverse_iteratorISI_EEEEENSH_IJSG_SG_SG_EEES9_SI_JZNS1_25segmented_radix_sort_implINS0_14default_configELb1EPKaPaPKlPlN2at6native12_GLOBAL__N_18offset_tEEE10hipError_tPvRmT1_PNSt15iterator_traitsIS12_E10value_typeET2_T3_PNS13_IS18_E10value_typeET4_jRbjT5_S1E_jjP12ihipStream_tbEUljE_ZNSN_ISO_Lb1ESQ_SR_ST_SU_SY_EESZ_S10_S11_S12_S16_S17_S18_S1B_S1C_jS1D_jS1E_S1E_jjS1G_bEUljE0_EEESZ_S10_S11_S18_S1C_S1E_T6_T7_T9_mT8_S1G_bDpT10_ENKUlT_T0_E_clISt17integral_constantIbLb1EES1T_IbLb0EEEEDaS1P_S1Q_EUlS1P_E_NS1_11comp_targetILNS1_3genE3ELNS1_11target_archE908ELNS1_3gpuE7ELNS1_3repE0EEENS1_30default_config_static_selectorELNS0_4arch9wavefront6targetE0EEEvS12_.num_vgpr, 0
	.set _ZN7rocprim17ROCPRIM_400000_NS6detail17trampoline_kernelINS0_13select_configILj256ELj13ELNS0_17block_load_methodE3ELS4_3ELS4_3ELNS0_20block_scan_algorithmE0ELj4294967295EEENS1_25partition_config_selectorILNS1_17partition_subalgoE4EjNS0_10empty_typeEbEEZZNS1_14partition_implILS8_4ELb0ES6_15HIP_vector_typeIjLj2EENS0_17counting_iteratorIjlEEPS9_SG_NS0_5tupleIJPjSI_NS0_16reverse_iteratorISI_EEEEENSH_IJSG_SG_SG_EEES9_SI_JZNS1_25segmented_radix_sort_implINS0_14default_configELb1EPKaPaPKlPlN2at6native12_GLOBAL__N_18offset_tEEE10hipError_tPvRmT1_PNSt15iterator_traitsIS12_E10value_typeET2_T3_PNS13_IS18_E10value_typeET4_jRbjT5_S1E_jjP12ihipStream_tbEUljE_ZNSN_ISO_Lb1ESQ_SR_ST_SU_SY_EESZ_S10_S11_S12_S16_S17_S18_S1B_S1C_jS1D_jS1E_S1E_jjS1G_bEUljE0_EEESZ_S10_S11_S18_S1C_S1E_T6_T7_T9_mT8_S1G_bDpT10_ENKUlT_T0_E_clISt17integral_constantIbLb1EES1T_IbLb0EEEEDaS1P_S1Q_EUlS1P_E_NS1_11comp_targetILNS1_3genE3ELNS1_11target_archE908ELNS1_3gpuE7ELNS1_3repE0EEENS1_30default_config_static_selectorELNS0_4arch9wavefront6targetE0EEEvS12_.num_agpr, 0
	.set _ZN7rocprim17ROCPRIM_400000_NS6detail17trampoline_kernelINS0_13select_configILj256ELj13ELNS0_17block_load_methodE3ELS4_3ELS4_3ELNS0_20block_scan_algorithmE0ELj4294967295EEENS1_25partition_config_selectorILNS1_17partition_subalgoE4EjNS0_10empty_typeEbEEZZNS1_14partition_implILS8_4ELb0ES6_15HIP_vector_typeIjLj2EENS0_17counting_iteratorIjlEEPS9_SG_NS0_5tupleIJPjSI_NS0_16reverse_iteratorISI_EEEEENSH_IJSG_SG_SG_EEES9_SI_JZNS1_25segmented_radix_sort_implINS0_14default_configELb1EPKaPaPKlPlN2at6native12_GLOBAL__N_18offset_tEEE10hipError_tPvRmT1_PNSt15iterator_traitsIS12_E10value_typeET2_T3_PNS13_IS18_E10value_typeET4_jRbjT5_S1E_jjP12ihipStream_tbEUljE_ZNSN_ISO_Lb1ESQ_SR_ST_SU_SY_EESZ_S10_S11_S12_S16_S17_S18_S1B_S1C_jS1D_jS1E_S1E_jjS1G_bEUljE0_EEESZ_S10_S11_S18_S1C_S1E_T6_T7_T9_mT8_S1G_bDpT10_ENKUlT_T0_E_clISt17integral_constantIbLb1EES1T_IbLb0EEEEDaS1P_S1Q_EUlS1P_E_NS1_11comp_targetILNS1_3genE3ELNS1_11target_archE908ELNS1_3gpuE7ELNS1_3repE0EEENS1_30default_config_static_selectorELNS0_4arch9wavefront6targetE0EEEvS12_.numbered_sgpr, 0
	.set _ZN7rocprim17ROCPRIM_400000_NS6detail17trampoline_kernelINS0_13select_configILj256ELj13ELNS0_17block_load_methodE3ELS4_3ELS4_3ELNS0_20block_scan_algorithmE0ELj4294967295EEENS1_25partition_config_selectorILNS1_17partition_subalgoE4EjNS0_10empty_typeEbEEZZNS1_14partition_implILS8_4ELb0ES6_15HIP_vector_typeIjLj2EENS0_17counting_iteratorIjlEEPS9_SG_NS0_5tupleIJPjSI_NS0_16reverse_iteratorISI_EEEEENSH_IJSG_SG_SG_EEES9_SI_JZNS1_25segmented_radix_sort_implINS0_14default_configELb1EPKaPaPKlPlN2at6native12_GLOBAL__N_18offset_tEEE10hipError_tPvRmT1_PNSt15iterator_traitsIS12_E10value_typeET2_T3_PNS13_IS18_E10value_typeET4_jRbjT5_S1E_jjP12ihipStream_tbEUljE_ZNSN_ISO_Lb1ESQ_SR_ST_SU_SY_EESZ_S10_S11_S12_S16_S17_S18_S1B_S1C_jS1D_jS1E_S1E_jjS1G_bEUljE0_EEESZ_S10_S11_S18_S1C_S1E_T6_T7_T9_mT8_S1G_bDpT10_ENKUlT_T0_E_clISt17integral_constantIbLb1EES1T_IbLb0EEEEDaS1P_S1Q_EUlS1P_E_NS1_11comp_targetILNS1_3genE3ELNS1_11target_archE908ELNS1_3gpuE7ELNS1_3repE0EEENS1_30default_config_static_selectorELNS0_4arch9wavefront6targetE0EEEvS12_.num_named_barrier, 0
	.set _ZN7rocprim17ROCPRIM_400000_NS6detail17trampoline_kernelINS0_13select_configILj256ELj13ELNS0_17block_load_methodE3ELS4_3ELS4_3ELNS0_20block_scan_algorithmE0ELj4294967295EEENS1_25partition_config_selectorILNS1_17partition_subalgoE4EjNS0_10empty_typeEbEEZZNS1_14partition_implILS8_4ELb0ES6_15HIP_vector_typeIjLj2EENS0_17counting_iteratorIjlEEPS9_SG_NS0_5tupleIJPjSI_NS0_16reverse_iteratorISI_EEEEENSH_IJSG_SG_SG_EEES9_SI_JZNS1_25segmented_radix_sort_implINS0_14default_configELb1EPKaPaPKlPlN2at6native12_GLOBAL__N_18offset_tEEE10hipError_tPvRmT1_PNSt15iterator_traitsIS12_E10value_typeET2_T3_PNS13_IS18_E10value_typeET4_jRbjT5_S1E_jjP12ihipStream_tbEUljE_ZNSN_ISO_Lb1ESQ_SR_ST_SU_SY_EESZ_S10_S11_S12_S16_S17_S18_S1B_S1C_jS1D_jS1E_S1E_jjS1G_bEUljE0_EEESZ_S10_S11_S18_S1C_S1E_T6_T7_T9_mT8_S1G_bDpT10_ENKUlT_T0_E_clISt17integral_constantIbLb1EES1T_IbLb0EEEEDaS1P_S1Q_EUlS1P_E_NS1_11comp_targetILNS1_3genE3ELNS1_11target_archE908ELNS1_3gpuE7ELNS1_3repE0EEENS1_30default_config_static_selectorELNS0_4arch9wavefront6targetE0EEEvS12_.private_seg_size, 0
	.set _ZN7rocprim17ROCPRIM_400000_NS6detail17trampoline_kernelINS0_13select_configILj256ELj13ELNS0_17block_load_methodE3ELS4_3ELS4_3ELNS0_20block_scan_algorithmE0ELj4294967295EEENS1_25partition_config_selectorILNS1_17partition_subalgoE4EjNS0_10empty_typeEbEEZZNS1_14partition_implILS8_4ELb0ES6_15HIP_vector_typeIjLj2EENS0_17counting_iteratorIjlEEPS9_SG_NS0_5tupleIJPjSI_NS0_16reverse_iteratorISI_EEEEENSH_IJSG_SG_SG_EEES9_SI_JZNS1_25segmented_radix_sort_implINS0_14default_configELb1EPKaPaPKlPlN2at6native12_GLOBAL__N_18offset_tEEE10hipError_tPvRmT1_PNSt15iterator_traitsIS12_E10value_typeET2_T3_PNS13_IS18_E10value_typeET4_jRbjT5_S1E_jjP12ihipStream_tbEUljE_ZNSN_ISO_Lb1ESQ_SR_ST_SU_SY_EESZ_S10_S11_S12_S16_S17_S18_S1B_S1C_jS1D_jS1E_S1E_jjS1G_bEUljE0_EEESZ_S10_S11_S18_S1C_S1E_T6_T7_T9_mT8_S1G_bDpT10_ENKUlT_T0_E_clISt17integral_constantIbLb1EES1T_IbLb0EEEEDaS1P_S1Q_EUlS1P_E_NS1_11comp_targetILNS1_3genE3ELNS1_11target_archE908ELNS1_3gpuE7ELNS1_3repE0EEENS1_30default_config_static_selectorELNS0_4arch9wavefront6targetE0EEEvS12_.uses_vcc, 0
	.set _ZN7rocprim17ROCPRIM_400000_NS6detail17trampoline_kernelINS0_13select_configILj256ELj13ELNS0_17block_load_methodE3ELS4_3ELS4_3ELNS0_20block_scan_algorithmE0ELj4294967295EEENS1_25partition_config_selectorILNS1_17partition_subalgoE4EjNS0_10empty_typeEbEEZZNS1_14partition_implILS8_4ELb0ES6_15HIP_vector_typeIjLj2EENS0_17counting_iteratorIjlEEPS9_SG_NS0_5tupleIJPjSI_NS0_16reverse_iteratorISI_EEEEENSH_IJSG_SG_SG_EEES9_SI_JZNS1_25segmented_radix_sort_implINS0_14default_configELb1EPKaPaPKlPlN2at6native12_GLOBAL__N_18offset_tEEE10hipError_tPvRmT1_PNSt15iterator_traitsIS12_E10value_typeET2_T3_PNS13_IS18_E10value_typeET4_jRbjT5_S1E_jjP12ihipStream_tbEUljE_ZNSN_ISO_Lb1ESQ_SR_ST_SU_SY_EESZ_S10_S11_S12_S16_S17_S18_S1B_S1C_jS1D_jS1E_S1E_jjS1G_bEUljE0_EEESZ_S10_S11_S18_S1C_S1E_T6_T7_T9_mT8_S1G_bDpT10_ENKUlT_T0_E_clISt17integral_constantIbLb1EES1T_IbLb0EEEEDaS1P_S1Q_EUlS1P_E_NS1_11comp_targetILNS1_3genE3ELNS1_11target_archE908ELNS1_3gpuE7ELNS1_3repE0EEENS1_30default_config_static_selectorELNS0_4arch9wavefront6targetE0EEEvS12_.uses_flat_scratch, 0
	.set _ZN7rocprim17ROCPRIM_400000_NS6detail17trampoline_kernelINS0_13select_configILj256ELj13ELNS0_17block_load_methodE3ELS4_3ELS4_3ELNS0_20block_scan_algorithmE0ELj4294967295EEENS1_25partition_config_selectorILNS1_17partition_subalgoE4EjNS0_10empty_typeEbEEZZNS1_14partition_implILS8_4ELb0ES6_15HIP_vector_typeIjLj2EENS0_17counting_iteratorIjlEEPS9_SG_NS0_5tupleIJPjSI_NS0_16reverse_iteratorISI_EEEEENSH_IJSG_SG_SG_EEES9_SI_JZNS1_25segmented_radix_sort_implINS0_14default_configELb1EPKaPaPKlPlN2at6native12_GLOBAL__N_18offset_tEEE10hipError_tPvRmT1_PNSt15iterator_traitsIS12_E10value_typeET2_T3_PNS13_IS18_E10value_typeET4_jRbjT5_S1E_jjP12ihipStream_tbEUljE_ZNSN_ISO_Lb1ESQ_SR_ST_SU_SY_EESZ_S10_S11_S12_S16_S17_S18_S1B_S1C_jS1D_jS1E_S1E_jjS1G_bEUljE0_EEESZ_S10_S11_S18_S1C_S1E_T6_T7_T9_mT8_S1G_bDpT10_ENKUlT_T0_E_clISt17integral_constantIbLb1EES1T_IbLb0EEEEDaS1P_S1Q_EUlS1P_E_NS1_11comp_targetILNS1_3genE3ELNS1_11target_archE908ELNS1_3gpuE7ELNS1_3repE0EEENS1_30default_config_static_selectorELNS0_4arch9wavefront6targetE0EEEvS12_.has_dyn_sized_stack, 0
	.set _ZN7rocprim17ROCPRIM_400000_NS6detail17trampoline_kernelINS0_13select_configILj256ELj13ELNS0_17block_load_methodE3ELS4_3ELS4_3ELNS0_20block_scan_algorithmE0ELj4294967295EEENS1_25partition_config_selectorILNS1_17partition_subalgoE4EjNS0_10empty_typeEbEEZZNS1_14partition_implILS8_4ELb0ES6_15HIP_vector_typeIjLj2EENS0_17counting_iteratorIjlEEPS9_SG_NS0_5tupleIJPjSI_NS0_16reverse_iteratorISI_EEEEENSH_IJSG_SG_SG_EEES9_SI_JZNS1_25segmented_radix_sort_implINS0_14default_configELb1EPKaPaPKlPlN2at6native12_GLOBAL__N_18offset_tEEE10hipError_tPvRmT1_PNSt15iterator_traitsIS12_E10value_typeET2_T3_PNS13_IS18_E10value_typeET4_jRbjT5_S1E_jjP12ihipStream_tbEUljE_ZNSN_ISO_Lb1ESQ_SR_ST_SU_SY_EESZ_S10_S11_S12_S16_S17_S18_S1B_S1C_jS1D_jS1E_S1E_jjS1G_bEUljE0_EEESZ_S10_S11_S18_S1C_S1E_T6_T7_T9_mT8_S1G_bDpT10_ENKUlT_T0_E_clISt17integral_constantIbLb1EES1T_IbLb0EEEEDaS1P_S1Q_EUlS1P_E_NS1_11comp_targetILNS1_3genE3ELNS1_11target_archE908ELNS1_3gpuE7ELNS1_3repE0EEENS1_30default_config_static_selectorELNS0_4arch9wavefront6targetE0EEEvS12_.has_recursion, 0
	.set _ZN7rocprim17ROCPRIM_400000_NS6detail17trampoline_kernelINS0_13select_configILj256ELj13ELNS0_17block_load_methodE3ELS4_3ELS4_3ELNS0_20block_scan_algorithmE0ELj4294967295EEENS1_25partition_config_selectorILNS1_17partition_subalgoE4EjNS0_10empty_typeEbEEZZNS1_14partition_implILS8_4ELb0ES6_15HIP_vector_typeIjLj2EENS0_17counting_iteratorIjlEEPS9_SG_NS0_5tupleIJPjSI_NS0_16reverse_iteratorISI_EEEEENSH_IJSG_SG_SG_EEES9_SI_JZNS1_25segmented_radix_sort_implINS0_14default_configELb1EPKaPaPKlPlN2at6native12_GLOBAL__N_18offset_tEEE10hipError_tPvRmT1_PNSt15iterator_traitsIS12_E10value_typeET2_T3_PNS13_IS18_E10value_typeET4_jRbjT5_S1E_jjP12ihipStream_tbEUljE_ZNSN_ISO_Lb1ESQ_SR_ST_SU_SY_EESZ_S10_S11_S12_S16_S17_S18_S1B_S1C_jS1D_jS1E_S1E_jjS1G_bEUljE0_EEESZ_S10_S11_S18_S1C_S1E_T6_T7_T9_mT8_S1G_bDpT10_ENKUlT_T0_E_clISt17integral_constantIbLb1EES1T_IbLb0EEEEDaS1P_S1Q_EUlS1P_E_NS1_11comp_targetILNS1_3genE3ELNS1_11target_archE908ELNS1_3gpuE7ELNS1_3repE0EEENS1_30default_config_static_selectorELNS0_4arch9wavefront6targetE0EEEvS12_.has_indirect_call, 0
	.section	.AMDGPU.csdata,"",@progbits
; Kernel info:
; codeLenInByte = 0
; TotalNumSgprs: 0
; NumVgprs: 0
; ScratchSize: 0
; MemoryBound: 0
; FloatMode: 240
; IeeeMode: 1
; LDSByteSize: 0 bytes/workgroup (compile time only)
; SGPRBlocks: 0
; VGPRBlocks: 0
; NumSGPRsForWavesPerEU: 1
; NumVGPRsForWavesPerEU: 1
; Occupancy: 16
; WaveLimiterHint : 0
; COMPUTE_PGM_RSRC2:SCRATCH_EN: 0
; COMPUTE_PGM_RSRC2:USER_SGPR: 2
; COMPUTE_PGM_RSRC2:TRAP_HANDLER: 0
; COMPUTE_PGM_RSRC2:TGID_X_EN: 1
; COMPUTE_PGM_RSRC2:TGID_Y_EN: 0
; COMPUTE_PGM_RSRC2:TGID_Z_EN: 0
; COMPUTE_PGM_RSRC2:TIDIG_COMP_CNT: 0
	.section	.text._ZN7rocprim17ROCPRIM_400000_NS6detail17trampoline_kernelINS0_13select_configILj256ELj13ELNS0_17block_load_methodE3ELS4_3ELS4_3ELNS0_20block_scan_algorithmE0ELj4294967295EEENS1_25partition_config_selectorILNS1_17partition_subalgoE4EjNS0_10empty_typeEbEEZZNS1_14partition_implILS8_4ELb0ES6_15HIP_vector_typeIjLj2EENS0_17counting_iteratorIjlEEPS9_SG_NS0_5tupleIJPjSI_NS0_16reverse_iteratorISI_EEEEENSH_IJSG_SG_SG_EEES9_SI_JZNS1_25segmented_radix_sort_implINS0_14default_configELb1EPKaPaPKlPlN2at6native12_GLOBAL__N_18offset_tEEE10hipError_tPvRmT1_PNSt15iterator_traitsIS12_E10value_typeET2_T3_PNS13_IS18_E10value_typeET4_jRbjT5_S1E_jjP12ihipStream_tbEUljE_ZNSN_ISO_Lb1ESQ_SR_ST_SU_SY_EESZ_S10_S11_S12_S16_S17_S18_S1B_S1C_jS1D_jS1E_S1E_jjS1G_bEUljE0_EEESZ_S10_S11_S18_S1C_S1E_T6_T7_T9_mT8_S1G_bDpT10_ENKUlT_T0_E_clISt17integral_constantIbLb1EES1T_IbLb0EEEEDaS1P_S1Q_EUlS1P_E_NS1_11comp_targetILNS1_3genE2ELNS1_11target_archE906ELNS1_3gpuE6ELNS1_3repE0EEENS1_30default_config_static_selectorELNS0_4arch9wavefront6targetE0EEEvS12_,"axG",@progbits,_ZN7rocprim17ROCPRIM_400000_NS6detail17trampoline_kernelINS0_13select_configILj256ELj13ELNS0_17block_load_methodE3ELS4_3ELS4_3ELNS0_20block_scan_algorithmE0ELj4294967295EEENS1_25partition_config_selectorILNS1_17partition_subalgoE4EjNS0_10empty_typeEbEEZZNS1_14partition_implILS8_4ELb0ES6_15HIP_vector_typeIjLj2EENS0_17counting_iteratorIjlEEPS9_SG_NS0_5tupleIJPjSI_NS0_16reverse_iteratorISI_EEEEENSH_IJSG_SG_SG_EEES9_SI_JZNS1_25segmented_radix_sort_implINS0_14default_configELb1EPKaPaPKlPlN2at6native12_GLOBAL__N_18offset_tEEE10hipError_tPvRmT1_PNSt15iterator_traitsIS12_E10value_typeET2_T3_PNS13_IS18_E10value_typeET4_jRbjT5_S1E_jjP12ihipStream_tbEUljE_ZNSN_ISO_Lb1ESQ_SR_ST_SU_SY_EESZ_S10_S11_S12_S16_S17_S18_S1B_S1C_jS1D_jS1E_S1E_jjS1G_bEUljE0_EEESZ_S10_S11_S18_S1C_S1E_T6_T7_T9_mT8_S1G_bDpT10_ENKUlT_T0_E_clISt17integral_constantIbLb1EES1T_IbLb0EEEEDaS1P_S1Q_EUlS1P_E_NS1_11comp_targetILNS1_3genE2ELNS1_11target_archE906ELNS1_3gpuE6ELNS1_3repE0EEENS1_30default_config_static_selectorELNS0_4arch9wavefront6targetE0EEEvS12_,comdat
	.globl	_ZN7rocprim17ROCPRIM_400000_NS6detail17trampoline_kernelINS0_13select_configILj256ELj13ELNS0_17block_load_methodE3ELS4_3ELS4_3ELNS0_20block_scan_algorithmE0ELj4294967295EEENS1_25partition_config_selectorILNS1_17partition_subalgoE4EjNS0_10empty_typeEbEEZZNS1_14partition_implILS8_4ELb0ES6_15HIP_vector_typeIjLj2EENS0_17counting_iteratorIjlEEPS9_SG_NS0_5tupleIJPjSI_NS0_16reverse_iteratorISI_EEEEENSH_IJSG_SG_SG_EEES9_SI_JZNS1_25segmented_radix_sort_implINS0_14default_configELb1EPKaPaPKlPlN2at6native12_GLOBAL__N_18offset_tEEE10hipError_tPvRmT1_PNSt15iterator_traitsIS12_E10value_typeET2_T3_PNS13_IS18_E10value_typeET4_jRbjT5_S1E_jjP12ihipStream_tbEUljE_ZNSN_ISO_Lb1ESQ_SR_ST_SU_SY_EESZ_S10_S11_S12_S16_S17_S18_S1B_S1C_jS1D_jS1E_S1E_jjS1G_bEUljE0_EEESZ_S10_S11_S18_S1C_S1E_T6_T7_T9_mT8_S1G_bDpT10_ENKUlT_T0_E_clISt17integral_constantIbLb1EES1T_IbLb0EEEEDaS1P_S1Q_EUlS1P_E_NS1_11comp_targetILNS1_3genE2ELNS1_11target_archE906ELNS1_3gpuE6ELNS1_3repE0EEENS1_30default_config_static_selectorELNS0_4arch9wavefront6targetE0EEEvS12_ ; -- Begin function _ZN7rocprim17ROCPRIM_400000_NS6detail17trampoline_kernelINS0_13select_configILj256ELj13ELNS0_17block_load_methodE3ELS4_3ELS4_3ELNS0_20block_scan_algorithmE0ELj4294967295EEENS1_25partition_config_selectorILNS1_17partition_subalgoE4EjNS0_10empty_typeEbEEZZNS1_14partition_implILS8_4ELb0ES6_15HIP_vector_typeIjLj2EENS0_17counting_iteratorIjlEEPS9_SG_NS0_5tupleIJPjSI_NS0_16reverse_iteratorISI_EEEEENSH_IJSG_SG_SG_EEES9_SI_JZNS1_25segmented_radix_sort_implINS0_14default_configELb1EPKaPaPKlPlN2at6native12_GLOBAL__N_18offset_tEEE10hipError_tPvRmT1_PNSt15iterator_traitsIS12_E10value_typeET2_T3_PNS13_IS18_E10value_typeET4_jRbjT5_S1E_jjP12ihipStream_tbEUljE_ZNSN_ISO_Lb1ESQ_SR_ST_SU_SY_EESZ_S10_S11_S12_S16_S17_S18_S1B_S1C_jS1D_jS1E_S1E_jjS1G_bEUljE0_EEESZ_S10_S11_S18_S1C_S1E_T6_T7_T9_mT8_S1G_bDpT10_ENKUlT_T0_E_clISt17integral_constantIbLb1EES1T_IbLb0EEEEDaS1P_S1Q_EUlS1P_E_NS1_11comp_targetILNS1_3genE2ELNS1_11target_archE906ELNS1_3gpuE6ELNS1_3repE0EEENS1_30default_config_static_selectorELNS0_4arch9wavefront6targetE0EEEvS12_
	.p2align	8
	.type	_ZN7rocprim17ROCPRIM_400000_NS6detail17trampoline_kernelINS0_13select_configILj256ELj13ELNS0_17block_load_methodE3ELS4_3ELS4_3ELNS0_20block_scan_algorithmE0ELj4294967295EEENS1_25partition_config_selectorILNS1_17partition_subalgoE4EjNS0_10empty_typeEbEEZZNS1_14partition_implILS8_4ELb0ES6_15HIP_vector_typeIjLj2EENS0_17counting_iteratorIjlEEPS9_SG_NS0_5tupleIJPjSI_NS0_16reverse_iteratorISI_EEEEENSH_IJSG_SG_SG_EEES9_SI_JZNS1_25segmented_radix_sort_implINS0_14default_configELb1EPKaPaPKlPlN2at6native12_GLOBAL__N_18offset_tEEE10hipError_tPvRmT1_PNSt15iterator_traitsIS12_E10value_typeET2_T3_PNS13_IS18_E10value_typeET4_jRbjT5_S1E_jjP12ihipStream_tbEUljE_ZNSN_ISO_Lb1ESQ_SR_ST_SU_SY_EESZ_S10_S11_S12_S16_S17_S18_S1B_S1C_jS1D_jS1E_S1E_jjS1G_bEUljE0_EEESZ_S10_S11_S18_S1C_S1E_T6_T7_T9_mT8_S1G_bDpT10_ENKUlT_T0_E_clISt17integral_constantIbLb1EES1T_IbLb0EEEEDaS1P_S1Q_EUlS1P_E_NS1_11comp_targetILNS1_3genE2ELNS1_11target_archE906ELNS1_3gpuE6ELNS1_3repE0EEENS1_30default_config_static_selectorELNS0_4arch9wavefront6targetE0EEEvS12_,@function
_ZN7rocprim17ROCPRIM_400000_NS6detail17trampoline_kernelINS0_13select_configILj256ELj13ELNS0_17block_load_methodE3ELS4_3ELS4_3ELNS0_20block_scan_algorithmE0ELj4294967295EEENS1_25partition_config_selectorILNS1_17partition_subalgoE4EjNS0_10empty_typeEbEEZZNS1_14partition_implILS8_4ELb0ES6_15HIP_vector_typeIjLj2EENS0_17counting_iteratorIjlEEPS9_SG_NS0_5tupleIJPjSI_NS0_16reverse_iteratorISI_EEEEENSH_IJSG_SG_SG_EEES9_SI_JZNS1_25segmented_radix_sort_implINS0_14default_configELb1EPKaPaPKlPlN2at6native12_GLOBAL__N_18offset_tEEE10hipError_tPvRmT1_PNSt15iterator_traitsIS12_E10value_typeET2_T3_PNS13_IS18_E10value_typeET4_jRbjT5_S1E_jjP12ihipStream_tbEUljE_ZNSN_ISO_Lb1ESQ_SR_ST_SU_SY_EESZ_S10_S11_S12_S16_S17_S18_S1B_S1C_jS1D_jS1E_S1E_jjS1G_bEUljE0_EEESZ_S10_S11_S18_S1C_S1E_T6_T7_T9_mT8_S1G_bDpT10_ENKUlT_T0_E_clISt17integral_constantIbLb1EES1T_IbLb0EEEEDaS1P_S1Q_EUlS1P_E_NS1_11comp_targetILNS1_3genE2ELNS1_11target_archE906ELNS1_3gpuE6ELNS1_3repE0EEENS1_30default_config_static_selectorELNS0_4arch9wavefront6targetE0EEEvS12_: ; @_ZN7rocprim17ROCPRIM_400000_NS6detail17trampoline_kernelINS0_13select_configILj256ELj13ELNS0_17block_load_methodE3ELS4_3ELS4_3ELNS0_20block_scan_algorithmE0ELj4294967295EEENS1_25partition_config_selectorILNS1_17partition_subalgoE4EjNS0_10empty_typeEbEEZZNS1_14partition_implILS8_4ELb0ES6_15HIP_vector_typeIjLj2EENS0_17counting_iteratorIjlEEPS9_SG_NS0_5tupleIJPjSI_NS0_16reverse_iteratorISI_EEEEENSH_IJSG_SG_SG_EEES9_SI_JZNS1_25segmented_radix_sort_implINS0_14default_configELb1EPKaPaPKlPlN2at6native12_GLOBAL__N_18offset_tEEE10hipError_tPvRmT1_PNSt15iterator_traitsIS12_E10value_typeET2_T3_PNS13_IS18_E10value_typeET4_jRbjT5_S1E_jjP12ihipStream_tbEUljE_ZNSN_ISO_Lb1ESQ_SR_ST_SU_SY_EESZ_S10_S11_S12_S16_S17_S18_S1B_S1C_jS1D_jS1E_S1E_jjS1G_bEUljE0_EEESZ_S10_S11_S18_S1C_S1E_T6_T7_T9_mT8_S1G_bDpT10_ENKUlT_T0_E_clISt17integral_constantIbLb1EES1T_IbLb0EEEEDaS1P_S1Q_EUlS1P_E_NS1_11comp_targetILNS1_3genE2ELNS1_11target_archE906ELNS1_3gpuE6ELNS1_3repE0EEENS1_30default_config_static_selectorELNS0_4arch9wavefront6targetE0EEEvS12_
; %bb.0:
	.section	.rodata,"a",@progbits
	.p2align	6, 0x0
	.amdhsa_kernel _ZN7rocprim17ROCPRIM_400000_NS6detail17trampoline_kernelINS0_13select_configILj256ELj13ELNS0_17block_load_methodE3ELS4_3ELS4_3ELNS0_20block_scan_algorithmE0ELj4294967295EEENS1_25partition_config_selectorILNS1_17partition_subalgoE4EjNS0_10empty_typeEbEEZZNS1_14partition_implILS8_4ELb0ES6_15HIP_vector_typeIjLj2EENS0_17counting_iteratorIjlEEPS9_SG_NS0_5tupleIJPjSI_NS0_16reverse_iteratorISI_EEEEENSH_IJSG_SG_SG_EEES9_SI_JZNS1_25segmented_radix_sort_implINS0_14default_configELb1EPKaPaPKlPlN2at6native12_GLOBAL__N_18offset_tEEE10hipError_tPvRmT1_PNSt15iterator_traitsIS12_E10value_typeET2_T3_PNS13_IS18_E10value_typeET4_jRbjT5_S1E_jjP12ihipStream_tbEUljE_ZNSN_ISO_Lb1ESQ_SR_ST_SU_SY_EESZ_S10_S11_S12_S16_S17_S18_S1B_S1C_jS1D_jS1E_S1E_jjS1G_bEUljE0_EEESZ_S10_S11_S18_S1C_S1E_T6_T7_T9_mT8_S1G_bDpT10_ENKUlT_T0_E_clISt17integral_constantIbLb1EES1T_IbLb0EEEEDaS1P_S1Q_EUlS1P_E_NS1_11comp_targetILNS1_3genE2ELNS1_11target_archE906ELNS1_3gpuE6ELNS1_3repE0EEENS1_30default_config_static_selectorELNS0_4arch9wavefront6targetE0EEEvS12_
		.amdhsa_group_segment_fixed_size 0
		.amdhsa_private_segment_fixed_size 0
		.amdhsa_kernarg_size 176
		.amdhsa_user_sgpr_count 2
		.amdhsa_user_sgpr_dispatch_ptr 0
		.amdhsa_user_sgpr_queue_ptr 0
		.amdhsa_user_sgpr_kernarg_segment_ptr 1
		.amdhsa_user_sgpr_dispatch_id 0
		.amdhsa_user_sgpr_private_segment_size 0
		.amdhsa_wavefront_size32 1
		.amdhsa_uses_dynamic_stack 0
		.amdhsa_enable_private_segment 0
		.amdhsa_system_sgpr_workgroup_id_x 1
		.amdhsa_system_sgpr_workgroup_id_y 0
		.amdhsa_system_sgpr_workgroup_id_z 0
		.amdhsa_system_sgpr_workgroup_info 0
		.amdhsa_system_vgpr_workitem_id 0
		.amdhsa_next_free_vgpr 1
		.amdhsa_next_free_sgpr 1
		.amdhsa_reserve_vcc 0
		.amdhsa_float_round_mode_32 0
		.amdhsa_float_round_mode_16_64 0
		.amdhsa_float_denorm_mode_32 3
		.amdhsa_float_denorm_mode_16_64 3
		.amdhsa_fp16_overflow 0
		.amdhsa_workgroup_processor_mode 1
		.amdhsa_memory_ordered 1
		.amdhsa_forward_progress 1
		.amdhsa_inst_pref_size 0
		.amdhsa_round_robin_scheduling 0
		.amdhsa_exception_fp_ieee_invalid_op 0
		.amdhsa_exception_fp_denorm_src 0
		.amdhsa_exception_fp_ieee_div_zero 0
		.amdhsa_exception_fp_ieee_overflow 0
		.amdhsa_exception_fp_ieee_underflow 0
		.amdhsa_exception_fp_ieee_inexact 0
		.amdhsa_exception_int_div_zero 0
	.end_amdhsa_kernel
	.section	.text._ZN7rocprim17ROCPRIM_400000_NS6detail17trampoline_kernelINS0_13select_configILj256ELj13ELNS0_17block_load_methodE3ELS4_3ELS4_3ELNS0_20block_scan_algorithmE0ELj4294967295EEENS1_25partition_config_selectorILNS1_17partition_subalgoE4EjNS0_10empty_typeEbEEZZNS1_14partition_implILS8_4ELb0ES6_15HIP_vector_typeIjLj2EENS0_17counting_iteratorIjlEEPS9_SG_NS0_5tupleIJPjSI_NS0_16reverse_iteratorISI_EEEEENSH_IJSG_SG_SG_EEES9_SI_JZNS1_25segmented_radix_sort_implINS0_14default_configELb1EPKaPaPKlPlN2at6native12_GLOBAL__N_18offset_tEEE10hipError_tPvRmT1_PNSt15iterator_traitsIS12_E10value_typeET2_T3_PNS13_IS18_E10value_typeET4_jRbjT5_S1E_jjP12ihipStream_tbEUljE_ZNSN_ISO_Lb1ESQ_SR_ST_SU_SY_EESZ_S10_S11_S12_S16_S17_S18_S1B_S1C_jS1D_jS1E_S1E_jjS1G_bEUljE0_EEESZ_S10_S11_S18_S1C_S1E_T6_T7_T9_mT8_S1G_bDpT10_ENKUlT_T0_E_clISt17integral_constantIbLb1EES1T_IbLb0EEEEDaS1P_S1Q_EUlS1P_E_NS1_11comp_targetILNS1_3genE2ELNS1_11target_archE906ELNS1_3gpuE6ELNS1_3repE0EEENS1_30default_config_static_selectorELNS0_4arch9wavefront6targetE0EEEvS12_,"axG",@progbits,_ZN7rocprim17ROCPRIM_400000_NS6detail17trampoline_kernelINS0_13select_configILj256ELj13ELNS0_17block_load_methodE3ELS4_3ELS4_3ELNS0_20block_scan_algorithmE0ELj4294967295EEENS1_25partition_config_selectorILNS1_17partition_subalgoE4EjNS0_10empty_typeEbEEZZNS1_14partition_implILS8_4ELb0ES6_15HIP_vector_typeIjLj2EENS0_17counting_iteratorIjlEEPS9_SG_NS0_5tupleIJPjSI_NS0_16reverse_iteratorISI_EEEEENSH_IJSG_SG_SG_EEES9_SI_JZNS1_25segmented_radix_sort_implINS0_14default_configELb1EPKaPaPKlPlN2at6native12_GLOBAL__N_18offset_tEEE10hipError_tPvRmT1_PNSt15iterator_traitsIS12_E10value_typeET2_T3_PNS13_IS18_E10value_typeET4_jRbjT5_S1E_jjP12ihipStream_tbEUljE_ZNSN_ISO_Lb1ESQ_SR_ST_SU_SY_EESZ_S10_S11_S12_S16_S17_S18_S1B_S1C_jS1D_jS1E_S1E_jjS1G_bEUljE0_EEESZ_S10_S11_S18_S1C_S1E_T6_T7_T9_mT8_S1G_bDpT10_ENKUlT_T0_E_clISt17integral_constantIbLb1EES1T_IbLb0EEEEDaS1P_S1Q_EUlS1P_E_NS1_11comp_targetILNS1_3genE2ELNS1_11target_archE906ELNS1_3gpuE6ELNS1_3repE0EEENS1_30default_config_static_selectorELNS0_4arch9wavefront6targetE0EEEvS12_,comdat
.Lfunc_end246:
	.size	_ZN7rocprim17ROCPRIM_400000_NS6detail17trampoline_kernelINS0_13select_configILj256ELj13ELNS0_17block_load_methodE3ELS4_3ELS4_3ELNS0_20block_scan_algorithmE0ELj4294967295EEENS1_25partition_config_selectorILNS1_17partition_subalgoE4EjNS0_10empty_typeEbEEZZNS1_14partition_implILS8_4ELb0ES6_15HIP_vector_typeIjLj2EENS0_17counting_iteratorIjlEEPS9_SG_NS0_5tupleIJPjSI_NS0_16reverse_iteratorISI_EEEEENSH_IJSG_SG_SG_EEES9_SI_JZNS1_25segmented_radix_sort_implINS0_14default_configELb1EPKaPaPKlPlN2at6native12_GLOBAL__N_18offset_tEEE10hipError_tPvRmT1_PNSt15iterator_traitsIS12_E10value_typeET2_T3_PNS13_IS18_E10value_typeET4_jRbjT5_S1E_jjP12ihipStream_tbEUljE_ZNSN_ISO_Lb1ESQ_SR_ST_SU_SY_EESZ_S10_S11_S12_S16_S17_S18_S1B_S1C_jS1D_jS1E_S1E_jjS1G_bEUljE0_EEESZ_S10_S11_S18_S1C_S1E_T6_T7_T9_mT8_S1G_bDpT10_ENKUlT_T0_E_clISt17integral_constantIbLb1EES1T_IbLb0EEEEDaS1P_S1Q_EUlS1P_E_NS1_11comp_targetILNS1_3genE2ELNS1_11target_archE906ELNS1_3gpuE6ELNS1_3repE0EEENS1_30default_config_static_selectorELNS0_4arch9wavefront6targetE0EEEvS12_, .Lfunc_end246-_ZN7rocprim17ROCPRIM_400000_NS6detail17trampoline_kernelINS0_13select_configILj256ELj13ELNS0_17block_load_methodE3ELS4_3ELS4_3ELNS0_20block_scan_algorithmE0ELj4294967295EEENS1_25partition_config_selectorILNS1_17partition_subalgoE4EjNS0_10empty_typeEbEEZZNS1_14partition_implILS8_4ELb0ES6_15HIP_vector_typeIjLj2EENS0_17counting_iteratorIjlEEPS9_SG_NS0_5tupleIJPjSI_NS0_16reverse_iteratorISI_EEEEENSH_IJSG_SG_SG_EEES9_SI_JZNS1_25segmented_radix_sort_implINS0_14default_configELb1EPKaPaPKlPlN2at6native12_GLOBAL__N_18offset_tEEE10hipError_tPvRmT1_PNSt15iterator_traitsIS12_E10value_typeET2_T3_PNS13_IS18_E10value_typeET4_jRbjT5_S1E_jjP12ihipStream_tbEUljE_ZNSN_ISO_Lb1ESQ_SR_ST_SU_SY_EESZ_S10_S11_S12_S16_S17_S18_S1B_S1C_jS1D_jS1E_S1E_jjS1G_bEUljE0_EEESZ_S10_S11_S18_S1C_S1E_T6_T7_T9_mT8_S1G_bDpT10_ENKUlT_T0_E_clISt17integral_constantIbLb1EES1T_IbLb0EEEEDaS1P_S1Q_EUlS1P_E_NS1_11comp_targetILNS1_3genE2ELNS1_11target_archE906ELNS1_3gpuE6ELNS1_3repE0EEENS1_30default_config_static_selectorELNS0_4arch9wavefront6targetE0EEEvS12_
                                        ; -- End function
	.set _ZN7rocprim17ROCPRIM_400000_NS6detail17trampoline_kernelINS0_13select_configILj256ELj13ELNS0_17block_load_methodE3ELS4_3ELS4_3ELNS0_20block_scan_algorithmE0ELj4294967295EEENS1_25partition_config_selectorILNS1_17partition_subalgoE4EjNS0_10empty_typeEbEEZZNS1_14partition_implILS8_4ELb0ES6_15HIP_vector_typeIjLj2EENS0_17counting_iteratorIjlEEPS9_SG_NS0_5tupleIJPjSI_NS0_16reverse_iteratorISI_EEEEENSH_IJSG_SG_SG_EEES9_SI_JZNS1_25segmented_radix_sort_implINS0_14default_configELb1EPKaPaPKlPlN2at6native12_GLOBAL__N_18offset_tEEE10hipError_tPvRmT1_PNSt15iterator_traitsIS12_E10value_typeET2_T3_PNS13_IS18_E10value_typeET4_jRbjT5_S1E_jjP12ihipStream_tbEUljE_ZNSN_ISO_Lb1ESQ_SR_ST_SU_SY_EESZ_S10_S11_S12_S16_S17_S18_S1B_S1C_jS1D_jS1E_S1E_jjS1G_bEUljE0_EEESZ_S10_S11_S18_S1C_S1E_T6_T7_T9_mT8_S1G_bDpT10_ENKUlT_T0_E_clISt17integral_constantIbLb1EES1T_IbLb0EEEEDaS1P_S1Q_EUlS1P_E_NS1_11comp_targetILNS1_3genE2ELNS1_11target_archE906ELNS1_3gpuE6ELNS1_3repE0EEENS1_30default_config_static_selectorELNS0_4arch9wavefront6targetE0EEEvS12_.num_vgpr, 0
	.set _ZN7rocprim17ROCPRIM_400000_NS6detail17trampoline_kernelINS0_13select_configILj256ELj13ELNS0_17block_load_methodE3ELS4_3ELS4_3ELNS0_20block_scan_algorithmE0ELj4294967295EEENS1_25partition_config_selectorILNS1_17partition_subalgoE4EjNS0_10empty_typeEbEEZZNS1_14partition_implILS8_4ELb0ES6_15HIP_vector_typeIjLj2EENS0_17counting_iteratorIjlEEPS9_SG_NS0_5tupleIJPjSI_NS0_16reverse_iteratorISI_EEEEENSH_IJSG_SG_SG_EEES9_SI_JZNS1_25segmented_radix_sort_implINS0_14default_configELb1EPKaPaPKlPlN2at6native12_GLOBAL__N_18offset_tEEE10hipError_tPvRmT1_PNSt15iterator_traitsIS12_E10value_typeET2_T3_PNS13_IS18_E10value_typeET4_jRbjT5_S1E_jjP12ihipStream_tbEUljE_ZNSN_ISO_Lb1ESQ_SR_ST_SU_SY_EESZ_S10_S11_S12_S16_S17_S18_S1B_S1C_jS1D_jS1E_S1E_jjS1G_bEUljE0_EEESZ_S10_S11_S18_S1C_S1E_T6_T7_T9_mT8_S1G_bDpT10_ENKUlT_T0_E_clISt17integral_constantIbLb1EES1T_IbLb0EEEEDaS1P_S1Q_EUlS1P_E_NS1_11comp_targetILNS1_3genE2ELNS1_11target_archE906ELNS1_3gpuE6ELNS1_3repE0EEENS1_30default_config_static_selectorELNS0_4arch9wavefront6targetE0EEEvS12_.num_agpr, 0
	.set _ZN7rocprim17ROCPRIM_400000_NS6detail17trampoline_kernelINS0_13select_configILj256ELj13ELNS0_17block_load_methodE3ELS4_3ELS4_3ELNS0_20block_scan_algorithmE0ELj4294967295EEENS1_25partition_config_selectorILNS1_17partition_subalgoE4EjNS0_10empty_typeEbEEZZNS1_14partition_implILS8_4ELb0ES6_15HIP_vector_typeIjLj2EENS0_17counting_iteratorIjlEEPS9_SG_NS0_5tupleIJPjSI_NS0_16reverse_iteratorISI_EEEEENSH_IJSG_SG_SG_EEES9_SI_JZNS1_25segmented_radix_sort_implINS0_14default_configELb1EPKaPaPKlPlN2at6native12_GLOBAL__N_18offset_tEEE10hipError_tPvRmT1_PNSt15iterator_traitsIS12_E10value_typeET2_T3_PNS13_IS18_E10value_typeET4_jRbjT5_S1E_jjP12ihipStream_tbEUljE_ZNSN_ISO_Lb1ESQ_SR_ST_SU_SY_EESZ_S10_S11_S12_S16_S17_S18_S1B_S1C_jS1D_jS1E_S1E_jjS1G_bEUljE0_EEESZ_S10_S11_S18_S1C_S1E_T6_T7_T9_mT8_S1G_bDpT10_ENKUlT_T0_E_clISt17integral_constantIbLb1EES1T_IbLb0EEEEDaS1P_S1Q_EUlS1P_E_NS1_11comp_targetILNS1_3genE2ELNS1_11target_archE906ELNS1_3gpuE6ELNS1_3repE0EEENS1_30default_config_static_selectorELNS0_4arch9wavefront6targetE0EEEvS12_.numbered_sgpr, 0
	.set _ZN7rocprim17ROCPRIM_400000_NS6detail17trampoline_kernelINS0_13select_configILj256ELj13ELNS0_17block_load_methodE3ELS4_3ELS4_3ELNS0_20block_scan_algorithmE0ELj4294967295EEENS1_25partition_config_selectorILNS1_17partition_subalgoE4EjNS0_10empty_typeEbEEZZNS1_14partition_implILS8_4ELb0ES6_15HIP_vector_typeIjLj2EENS0_17counting_iteratorIjlEEPS9_SG_NS0_5tupleIJPjSI_NS0_16reverse_iteratorISI_EEEEENSH_IJSG_SG_SG_EEES9_SI_JZNS1_25segmented_radix_sort_implINS0_14default_configELb1EPKaPaPKlPlN2at6native12_GLOBAL__N_18offset_tEEE10hipError_tPvRmT1_PNSt15iterator_traitsIS12_E10value_typeET2_T3_PNS13_IS18_E10value_typeET4_jRbjT5_S1E_jjP12ihipStream_tbEUljE_ZNSN_ISO_Lb1ESQ_SR_ST_SU_SY_EESZ_S10_S11_S12_S16_S17_S18_S1B_S1C_jS1D_jS1E_S1E_jjS1G_bEUljE0_EEESZ_S10_S11_S18_S1C_S1E_T6_T7_T9_mT8_S1G_bDpT10_ENKUlT_T0_E_clISt17integral_constantIbLb1EES1T_IbLb0EEEEDaS1P_S1Q_EUlS1P_E_NS1_11comp_targetILNS1_3genE2ELNS1_11target_archE906ELNS1_3gpuE6ELNS1_3repE0EEENS1_30default_config_static_selectorELNS0_4arch9wavefront6targetE0EEEvS12_.num_named_barrier, 0
	.set _ZN7rocprim17ROCPRIM_400000_NS6detail17trampoline_kernelINS0_13select_configILj256ELj13ELNS0_17block_load_methodE3ELS4_3ELS4_3ELNS0_20block_scan_algorithmE0ELj4294967295EEENS1_25partition_config_selectorILNS1_17partition_subalgoE4EjNS0_10empty_typeEbEEZZNS1_14partition_implILS8_4ELb0ES6_15HIP_vector_typeIjLj2EENS0_17counting_iteratorIjlEEPS9_SG_NS0_5tupleIJPjSI_NS0_16reverse_iteratorISI_EEEEENSH_IJSG_SG_SG_EEES9_SI_JZNS1_25segmented_radix_sort_implINS0_14default_configELb1EPKaPaPKlPlN2at6native12_GLOBAL__N_18offset_tEEE10hipError_tPvRmT1_PNSt15iterator_traitsIS12_E10value_typeET2_T3_PNS13_IS18_E10value_typeET4_jRbjT5_S1E_jjP12ihipStream_tbEUljE_ZNSN_ISO_Lb1ESQ_SR_ST_SU_SY_EESZ_S10_S11_S12_S16_S17_S18_S1B_S1C_jS1D_jS1E_S1E_jjS1G_bEUljE0_EEESZ_S10_S11_S18_S1C_S1E_T6_T7_T9_mT8_S1G_bDpT10_ENKUlT_T0_E_clISt17integral_constantIbLb1EES1T_IbLb0EEEEDaS1P_S1Q_EUlS1P_E_NS1_11comp_targetILNS1_3genE2ELNS1_11target_archE906ELNS1_3gpuE6ELNS1_3repE0EEENS1_30default_config_static_selectorELNS0_4arch9wavefront6targetE0EEEvS12_.private_seg_size, 0
	.set _ZN7rocprim17ROCPRIM_400000_NS6detail17trampoline_kernelINS0_13select_configILj256ELj13ELNS0_17block_load_methodE3ELS4_3ELS4_3ELNS0_20block_scan_algorithmE0ELj4294967295EEENS1_25partition_config_selectorILNS1_17partition_subalgoE4EjNS0_10empty_typeEbEEZZNS1_14partition_implILS8_4ELb0ES6_15HIP_vector_typeIjLj2EENS0_17counting_iteratorIjlEEPS9_SG_NS0_5tupleIJPjSI_NS0_16reverse_iteratorISI_EEEEENSH_IJSG_SG_SG_EEES9_SI_JZNS1_25segmented_radix_sort_implINS0_14default_configELb1EPKaPaPKlPlN2at6native12_GLOBAL__N_18offset_tEEE10hipError_tPvRmT1_PNSt15iterator_traitsIS12_E10value_typeET2_T3_PNS13_IS18_E10value_typeET4_jRbjT5_S1E_jjP12ihipStream_tbEUljE_ZNSN_ISO_Lb1ESQ_SR_ST_SU_SY_EESZ_S10_S11_S12_S16_S17_S18_S1B_S1C_jS1D_jS1E_S1E_jjS1G_bEUljE0_EEESZ_S10_S11_S18_S1C_S1E_T6_T7_T9_mT8_S1G_bDpT10_ENKUlT_T0_E_clISt17integral_constantIbLb1EES1T_IbLb0EEEEDaS1P_S1Q_EUlS1P_E_NS1_11comp_targetILNS1_3genE2ELNS1_11target_archE906ELNS1_3gpuE6ELNS1_3repE0EEENS1_30default_config_static_selectorELNS0_4arch9wavefront6targetE0EEEvS12_.uses_vcc, 0
	.set _ZN7rocprim17ROCPRIM_400000_NS6detail17trampoline_kernelINS0_13select_configILj256ELj13ELNS0_17block_load_methodE3ELS4_3ELS4_3ELNS0_20block_scan_algorithmE0ELj4294967295EEENS1_25partition_config_selectorILNS1_17partition_subalgoE4EjNS0_10empty_typeEbEEZZNS1_14partition_implILS8_4ELb0ES6_15HIP_vector_typeIjLj2EENS0_17counting_iteratorIjlEEPS9_SG_NS0_5tupleIJPjSI_NS0_16reverse_iteratorISI_EEEEENSH_IJSG_SG_SG_EEES9_SI_JZNS1_25segmented_radix_sort_implINS0_14default_configELb1EPKaPaPKlPlN2at6native12_GLOBAL__N_18offset_tEEE10hipError_tPvRmT1_PNSt15iterator_traitsIS12_E10value_typeET2_T3_PNS13_IS18_E10value_typeET4_jRbjT5_S1E_jjP12ihipStream_tbEUljE_ZNSN_ISO_Lb1ESQ_SR_ST_SU_SY_EESZ_S10_S11_S12_S16_S17_S18_S1B_S1C_jS1D_jS1E_S1E_jjS1G_bEUljE0_EEESZ_S10_S11_S18_S1C_S1E_T6_T7_T9_mT8_S1G_bDpT10_ENKUlT_T0_E_clISt17integral_constantIbLb1EES1T_IbLb0EEEEDaS1P_S1Q_EUlS1P_E_NS1_11comp_targetILNS1_3genE2ELNS1_11target_archE906ELNS1_3gpuE6ELNS1_3repE0EEENS1_30default_config_static_selectorELNS0_4arch9wavefront6targetE0EEEvS12_.uses_flat_scratch, 0
	.set _ZN7rocprim17ROCPRIM_400000_NS6detail17trampoline_kernelINS0_13select_configILj256ELj13ELNS0_17block_load_methodE3ELS4_3ELS4_3ELNS0_20block_scan_algorithmE0ELj4294967295EEENS1_25partition_config_selectorILNS1_17partition_subalgoE4EjNS0_10empty_typeEbEEZZNS1_14partition_implILS8_4ELb0ES6_15HIP_vector_typeIjLj2EENS0_17counting_iteratorIjlEEPS9_SG_NS0_5tupleIJPjSI_NS0_16reverse_iteratorISI_EEEEENSH_IJSG_SG_SG_EEES9_SI_JZNS1_25segmented_radix_sort_implINS0_14default_configELb1EPKaPaPKlPlN2at6native12_GLOBAL__N_18offset_tEEE10hipError_tPvRmT1_PNSt15iterator_traitsIS12_E10value_typeET2_T3_PNS13_IS18_E10value_typeET4_jRbjT5_S1E_jjP12ihipStream_tbEUljE_ZNSN_ISO_Lb1ESQ_SR_ST_SU_SY_EESZ_S10_S11_S12_S16_S17_S18_S1B_S1C_jS1D_jS1E_S1E_jjS1G_bEUljE0_EEESZ_S10_S11_S18_S1C_S1E_T6_T7_T9_mT8_S1G_bDpT10_ENKUlT_T0_E_clISt17integral_constantIbLb1EES1T_IbLb0EEEEDaS1P_S1Q_EUlS1P_E_NS1_11comp_targetILNS1_3genE2ELNS1_11target_archE906ELNS1_3gpuE6ELNS1_3repE0EEENS1_30default_config_static_selectorELNS0_4arch9wavefront6targetE0EEEvS12_.has_dyn_sized_stack, 0
	.set _ZN7rocprim17ROCPRIM_400000_NS6detail17trampoline_kernelINS0_13select_configILj256ELj13ELNS0_17block_load_methodE3ELS4_3ELS4_3ELNS0_20block_scan_algorithmE0ELj4294967295EEENS1_25partition_config_selectorILNS1_17partition_subalgoE4EjNS0_10empty_typeEbEEZZNS1_14partition_implILS8_4ELb0ES6_15HIP_vector_typeIjLj2EENS0_17counting_iteratorIjlEEPS9_SG_NS0_5tupleIJPjSI_NS0_16reverse_iteratorISI_EEEEENSH_IJSG_SG_SG_EEES9_SI_JZNS1_25segmented_radix_sort_implINS0_14default_configELb1EPKaPaPKlPlN2at6native12_GLOBAL__N_18offset_tEEE10hipError_tPvRmT1_PNSt15iterator_traitsIS12_E10value_typeET2_T3_PNS13_IS18_E10value_typeET4_jRbjT5_S1E_jjP12ihipStream_tbEUljE_ZNSN_ISO_Lb1ESQ_SR_ST_SU_SY_EESZ_S10_S11_S12_S16_S17_S18_S1B_S1C_jS1D_jS1E_S1E_jjS1G_bEUljE0_EEESZ_S10_S11_S18_S1C_S1E_T6_T7_T9_mT8_S1G_bDpT10_ENKUlT_T0_E_clISt17integral_constantIbLb1EES1T_IbLb0EEEEDaS1P_S1Q_EUlS1P_E_NS1_11comp_targetILNS1_3genE2ELNS1_11target_archE906ELNS1_3gpuE6ELNS1_3repE0EEENS1_30default_config_static_selectorELNS0_4arch9wavefront6targetE0EEEvS12_.has_recursion, 0
	.set _ZN7rocprim17ROCPRIM_400000_NS6detail17trampoline_kernelINS0_13select_configILj256ELj13ELNS0_17block_load_methodE3ELS4_3ELS4_3ELNS0_20block_scan_algorithmE0ELj4294967295EEENS1_25partition_config_selectorILNS1_17partition_subalgoE4EjNS0_10empty_typeEbEEZZNS1_14partition_implILS8_4ELb0ES6_15HIP_vector_typeIjLj2EENS0_17counting_iteratorIjlEEPS9_SG_NS0_5tupleIJPjSI_NS0_16reverse_iteratorISI_EEEEENSH_IJSG_SG_SG_EEES9_SI_JZNS1_25segmented_radix_sort_implINS0_14default_configELb1EPKaPaPKlPlN2at6native12_GLOBAL__N_18offset_tEEE10hipError_tPvRmT1_PNSt15iterator_traitsIS12_E10value_typeET2_T3_PNS13_IS18_E10value_typeET4_jRbjT5_S1E_jjP12ihipStream_tbEUljE_ZNSN_ISO_Lb1ESQ_SR_ST_SU_SY_EESZ_S10_S11_S12_S16_S17_S18_S1B_S1C_jS1D_jS1E_S1E_jjS1G_bEUljE0_EEESZ_S10_S11_S18_S1C_S1E_T6_T7_T9_mT8_S1G_bDpT10_ENKUlT_T0_E_clISt17integral_constantIbLb1EES1T_IbLb0EEEEDaS1P_S1Q_EUlS1P_E_NS1_11comp_targetILNS1_3genE2ELNS1_11target_archE906ELNS1_3gpuE6ELNS1_3repE0EEENS1_30default_config_static_selectorELNS0_4arch9wavefront6targetE0EEEvS12_.has_indirect_call, 0
	.section	.AMDGPU.csdata,"",@progbits
; Kernel info:
; codeLenInByte = 0
; TotalNumSgprs: 0
; NumVgprs: 0
; ScratchSize: 0
; MemoryBound: 0
; FloatMode: 240
; IeeeMode: 1
; LDSByteSize: 0 bytes/workgroup (compile time only)
; SGPRBlocks: 0
; VGPRBlocks: 0
; NumSGPRsForWavesPerEU: 1
; NumVGPRsForWavesPerEU: 1
; Occupancy: 16
; WaveLimiterHint : 0
; COMPUTE_PGM_RSRC2:SCRATCH_EN: 0
; COMPUTE_PGM_RSRC2:USER_SGPR: 2
; COMPUTE_PGM_RSRC2:TRAP_HANDLER: 0
; COMPUTE_PGM_RSRC2:TGID_X_EN: 1
; COMPUTE_PGM_RSRC2:TGID_Y_EN: 0
; COMPUTE_PGM_RSRC2:TGID_Z_EN: 0
; COMPUTE_PGM_RSRC2:TIDIG_COMP_CNT: 0
	.section	.text._ZN7rocprim17ROCPRIM_400000_NS6detail17trampoline_kernelINS0_13select_configILj256ELj13ELNS0_17block_load_methodE3ELS4_3ELS4_3ELNS0_20block_scan_algorithmE0ELj4294967295EEENS1_25partition_config_selectorILNS1_17partition_subalgoE4EjNS0_10empty_typeEbEEZZNS1_14partition_implILS8_4ELb0ES6_15HIP_vector_typeIjLj2EENS0_17counting_iteratorIjlEEPS9_SG_NS0_5tupleIJPjSI_NS0_16reverse_iteratorISI_EEEEENSH_IJSG_SG_SG_EEES9_SI_JZNS1_25segmented_radix_sort_implINS0_14default_configELb1EPKaPaPKlPlN2at6native12_GLOBAL__N_18offset_tEEE10hipError_tPvRmT1_PNSt15iterator_traitsIS12_E10value_typeET2_T3_PNS13_IS18_E10value_typeET4_jRbjT5_S1E_jjP12ihipStream_tbEUljE_ZNSN_ISO_Lb1ESQ_SR_ST_SU_SY_EESZ_S10_S11_S12_S16_S17_S18_S1B_S1C_jS1D_jS1E_S1E_jjS1G_bEUljE0_EEESZ_S10_S11_S18_S1C_S1E_T6_T7_T9_mT8_S1G_bDpT10_ENKUlT_T0_E_clISt17integral_constantIbLb1EES1T_IbLb0EEEEDaS1P_S1Q_EUlS1P_E_NS1_11comp_targetILNS1_3genE10ELNS1_11target_archE1200ELNS1_3gpuE4ELNS1_3repE0EEENS1_30default_config_static_selectorELNS0_4arch9wavefront6targetE0EEEvS12_,"axG",@progbits,_ZN7rocprim17ROCPRIM_400000_NS6detail17trampoline_kernelINS0_13select_configILj256ELj13ELNS0_17block_load_methodE3ELS4_3ELS4_3ELNS0_20block_scan_algorithmE0ELj4294967295EEENS1_25partition_config_selectorILNS1_17partition_subalgoE4EjNS0_10empty_typeEbEEZZNS1_14partition_implILS8_4ELb0ES6_15HIP_vector_typeIjLj2EENS0_17counting_iteratorIjlEEPS9_SG_NS0_5tupleIJPjSI_NS0_16reverse_iteratorISI_EEEEENSH_IJSG_SG_SG_EEES9_SI_JZNS1_25segmented_radix_sort_implINS0_14default_configELb1EPKaPaPKlPlN2at6native12_GLOBAL__N_18offset_tEEE10hipError_tPvRmT1_PNSt15iterator_traitsIS12_E10value_typeET2_T3_PNS13_IS18_E10value_typeET4_jRbjT5_S1E_jjP12ihipStream_tbEUljE_ZNSN_ISO_Lb1ESQ_SR_ST_SU_SY_EESZ_S10_S11_S12_S16_S17_S18_S1B_S1C_jS1D_jS1E_S1E_jjS1G_bEUljE0_EEESZ_S10_S11_S18_S1C_S1E_T6_T7_T9_mT8_S1G_bDpT10_ENKUlT_T0_E_clISt17integral_constantIbLb1EES1T_IbLb0EEEEDaS1P_S1Q_EUlS1P_E_NS1_11comp_targetILNS1_3genE10ELNS1_11target_archE1200ELNS1_3gpuE4ELNS1_3repE0EEENS1_30default_config_static_selectorELNS0_4arch9wavefront6targetE0EEEvS12_,comdat
	.globl	_ZN7rocprim17ROCPRIM_400000_NS6detail17trampoline_kernelINS0_13select_configILj256ELj13ELNS0_17block_load_methodE3ELS4_3ELS4_3ELNS0_20block_scan_algorithmE0ELj4294967295EEENS1_25partition_config_selectorILNS1_17partition_subalgoE4EjNS0_10empty_typeEbEEZZNS1_14partition_implILS8_4ELb0ES6_15HIP_vector_typeIjLj2EENS0_17counting_iteratorIjlEEPS9_SG_NS0_5tupleIJPjSI_NS0_16reverse_iteratorISI_EEEEENSH_IJSG_SG_SG_EEES9_SI_JZNS1_25segmented_radix_sort_implINS0_14default_configELb1EPKaPaPKlPlN2at6native12_GLOBAL__N_18offset_tEEE10hipError_tPvRmT1_PNSt15iterator_traitsIS12_E10value_typeET2_T3_PNS13_IS18_E10value_typeET4_jRbjT5_S1E_jjP12ihipStream_tbEUljE_ZNSN_ISO_Lb1ESQ_SR_ST_SU_SY_EESZ_S10_S11_S12_S16_S17_S18_S1B_S1C_jS1D_jS1E_S1E_jjS1G_bEUljE0_EEESZ_S10_S11_S18_S1C_S1E_T6_T7_T9_mT8_S1G_bDpT10_ENKUlT_T0_E_clISt17integral_constantIbLb1EES1T_IbLb0EEEEDaS1P_S1Q_EUlS1P_E_NS1_11comp_targetILNS1_3genE10ELNS1_11target_archE1200ELNS1_3gpuE4ELNS1_3repE0EEENS1_30default_config_static_selectorELNS0_4arch9wavefront6targetE0EEEvS12_ ; -- Begin function _ZN7rocprim17ROCPRIM_400000_NS6detail17trampoline_kernelINS0_13select_configILj256ELj13ELNS0_17block_load_methodE3ELS4_3ELS4_3ELNS0_20block_scan_algorithmE0ELj4294967295EEENS1_25partition_config_selectorILNS1_17partition_subalgoE4EjNS0_10empty_typeEbEEZZNS1_14partition_implILS8_4ELb0ES6_15HIP_vector_typeIjLj2EENS0_17counting_iteratorIjlEEPS9_SG_NS0_5tupleIJPjSI_NS0_16reverse_iteratorISI_EEEEENSH_IJSG_SG_SG_EEES9_SI_JZNS1_25segmented_radix_sort_implINS0_14default_configELb1EPKaPaPKlPlN2at6native12_GLOBAL__N_18offset_tEEE10hipError_tPvRmT1_PNSt15iterator_traitsIS12_E10value_typeET2_T3_PNS13_IS18_E10value_typeET4_jRbjT5_S1E_jjP12ihipStream_tbEUljE_ZNSN_ISO_Lb1ESQ_SR_ST_SU_SY_EESZ_S10_S11_S12_S16_S17_S18_S1B_S1C_jS1D_jS1E_S1E_jjS1G_bEUljE0_EEESZ_S10_S11_S18_S1C_S1E_T6_T7_T9_mT8_S1G_bDpT10_ENKUlT_T0_E_clISt17integral_constantIbLb1EES1T_IbLb0EEEEDaS1P_S1Q_EUlS1P_E_NS1_11comp_targetILNS1_3genE10ELNS1_11target_archE1200ELNS1_3gpuE4ELNS1_3repE0EEENS1_30default_config_static_selectorELNS0_4arch9wavefront6targetE0EEEvS12_
	.p2align	8
	.type	_ZN7rocprim17ROCPRIM_400000_NS6detail17trampoline_kernelINS0_13select_configILj256ELj13ELNS0_17block_load_methodE3ELS4_3ELS4_3ELNS0_20block_scan_algorithmE0ELj4294967295EEENS1_25partition_config_selectorILNS1_17partition_subalgoE4EjNS0_10empty_typeEbEEZZNS1_14partition_implILS8_4ELb0ES6_15HIP_vector_typeIjLj2EENS0_17counting_iteratorIjlEEPS9_SG_NS0_5tupleIJPjSI_NS0_16reverse_iteratorISI_EEEEENSH_IJSG_SG_SG_EEES9_SI_JZNS1_25segmented_radix_sort_implINS0_14default_configELb1EPKaPaPKlPlN2at6native12_GLOBAL__N_18offset_tEEE10hipError_tPvRmT1_PNSt15iterator_traitsIS12_E10value_typeET2_T3_PNS13_IS18_E10value_typeET4_jRbjT5_S1E_jjP12ihipStream_tbEUljE_ZNSN_ISO_Lb1ESQ_SR_ST_SU_SY_EESZ_S10_S11_S12_S16_S17_S18_S1B_S1C_jS1D_jS1E_S1E_jjS1G_bEUljE0_EEESZ_S10_S11_S18_S1C_S1E_T6_T7_T9_mT8_S1G_bDpT10_ENKUlT_T0_E_clISt17integral_constantIbLb1EES1T_IbLb0EEEEDaS1P_S1Q_EUlS1P_E_NS1_11comp_targetILNS1_3genE10ELNS1_11target_archE1200ELNS1_3gpuE4ELNS1_3repE0EEENS1_30default_config_static_selectorELNS0_4arch9wavefront6targetE0EEEvS12_,@function
_ZN7rocprim17ROCPRIM_400000_NS6detail17trampoline_kernelINS0_13select_configILj256ELj13ELNS0_17block_load_methodE3ELS4_3ELS4_3ELNS0_20block_scan_algorithmE0ELj4294967295EEENS1_25partition_config_selectorILNS1_17partition_subalgoE4EjNS0_10empty_typeEbEEZZNS1_14partition_implILS8_4ELb0ES6_15HIP_vector_typeIjLj2EENS0_17counting_iteratorIjlEEPS9_SG_NS0_5tupleIJPjSI_NS0_16reverse_iteratorISI_EEEEENSH_IJSG_SG_SG_EEES9_SI_JZNS1_25segmented_radix_sort_implINS0_14default_configELb1EPKaPaPKlPlN2at6native12_GLOBAL__N_18offset_tEEE10hipError_tPvRmT1_PNSt15iterator_traitsIS12_E10value_typeET2_T3_PNS13_IS18_E10value_typeET4_jRbjT5_S1E_jjP12ihipStream_tbEUljE_ZNSN_ISO_Lb1ESQ_SR_ST_SU_SY_EESZ_S10_S11_S12_S16_S17_S18_S1B_S1C_jS1D_jS1E_S1E_jjS1G_bEUljE0_EEESZ_S10_S11_S18_S1C_S1E_T6_T7_T9_mT8_S1G_bDpT10_ENKUlT_T0_E_clISt17integral_constantIbLb1EES1T_IbLb0EEEEDaS1P_S1Q_EUlS1P_E_NS1_11comp_targetILNS1_3genE10ELNS1_11target_archE1200ELNS1_3gpuE4ELNS1_3repE0EEENS1_30default_config_static_selectorELNS0_4arch9wavefront6targetE0EEEvS12_: ; @_ZN7rocprim17ROCPRIM_400000_NS6detail17trampoline_kernelINS0_13select_configILj256ELj13ELNS0_17block_load_methodE3ELS4_3ELS4_3ELNS0_20block_scan_algorithmE0ELj4294967295EEENS1_25partition_config_selectorILNS1_17partition_subalgoE4EjNS0_10empty_typeEbEEZZNS1_14partition_implILS8_4ELb0ES6_15HIP_vector_typeIjLj2EENS0_17counting_iteratorIjlEEPS9_SG_NS0_5tupleIJPjSI_NS0_16reverse_iteratorISI_EEEEENSH_IJSG_SG_SG_EEES9_SI_JZNS1_25segmented_radix_sort_implINS0_14default_configELb1EPKaPaPKlPlN2at6native12_GLOBAL__N_18offset_tEEE10hipError_tPvRmT1_PNSt15iterator_traitsIS12_E10value_typeET2_T3_PNS13_IS18_E10value_typeET4_jRbjT5_S1E_jjP12ihipStream_tbEUljE_ZNSN_ISO_Lb1ESQ_SR_ST_SU_SY_EESZ_S10_S11_S12_S16_S17_S18_S1B_S1C_jS1D_jS1E_S1E_jjS1G_bEUljE0_EEESZ_S10_S11_S18_S1C_S1E_T6_T7_T9_mT8_S1G_bDpT10_ENKUlT_T0_E_clISt17integral_constantIbLb1EES1T_IbLb0EEEEDaS1P_S1Q_EUlS1P_E_NS1_11comp_targetILNS1_3genE10ELNS1_11target_archE1200ELNS1_3gpuE4ELNS1_3repE0EEENS1_30default_config_static_selectorELNS0_4arch9wavefront6targetE0EEEvS12_
; %bb.0:
	s_endpgm
	.section	.rodata,"a",@progbits
	.p2align	6, 0x0
	.amdhsa_kernel _ZN7rocprim17ROCPRIM_400000_NS6detail17trampoline_kernelINS0_13select_configILj256ELj13ELNS0_17block_load_methodE3ELS4_3ELS4_3ELNS0_20block_scan_algorithmE0ELj4294967295EEENS1_25partition_config_selectorILNS1_17partition_subalgoE4EjNS0_10empty_typeEbEEZZNS1_14partition_implILS8_4ELb0ES6_15HIP_vector_typeIjLj2EENS0_17counting_iteratorIjlEEPS9_SG_NS0_5tupleIJPjSI_NS0_16reverse_iteratorISI_EEEEENSH_IJSG_SG_SG_EEES9_SI_JZNS1_25segmented_radix_sort_implINS0_14default_configELb1EPKaPaPKlPlN2at6native12_GLOBAL__N_18offset_tEEE10hipError_tPvRmT1_PNSt15iterator_traitsIS12_E10value_typeET2_T3_PNS13_IS18_E10value_typeET4_jRbjT5_S1E_jjP12ihipStream_tbEUljE_ZNSN_ISO_Lb1ESQ_SR_ST_SU_SY_EESZ_S10_S11_S12_S16_S17_S18_S1B_S1C_jS1D_jS1E_S1E_jjS1G_bEUljE0_EEESZ_S10_S11_S18_S1C_S1E_T6_T7_T9_mT8_S1G_bDpT10_ENKUlT_T0_E_clISt17integral_constantIbLb1EES1T_IbLb0EEEEDaS1P_S1Q_EUlS1P_E_NS1_11comp_targetILNS1_3genE10ELNS1_11target_archE1200ELNS1_3gpuE4ELNS1_3repE0EEENS1_30default_config_static_selectorELNS0_4arch9wavefront6targetE0EEEvS12_
		.amdhsa_group_segment_fixed_size 0
		.amdhsa_private_segment_fixed_size 0
		.amdhsa_kernarg_size 176
		.amdhsa_user_sgpr_count 2
		.amdhsa_user_sgpr_dispatch_ptr 0
		.amdhsa_user_sgpr_queue_ptr 0
		.amdhsa_user_sgpr_kernarg_segment_ptr 1
		.amdhsa_user_sgpr_dispatch_id 0
		.amdhsa_user_sgpr_private_segment_size 0
		.amdhsa_wavefront_size32 1
		.amdhsa_uses_dynamic_stack 0
		.amdhsa_enable_private_segment 0
		.amdhsa_system_sgpr_workgroup_id_x 1
		.amdhsa_system_sgpr_workgroup_id_y 0
		.amdhsa_system_sgpr_workgroup_id_z 0
		.amdhsa_system_sgpr_workgroup_info 0
		.amdhsa_system_vgpr_workitem_id 0
		.amdhsa_next_free_vgpr 1
		.amdhsa_next_free_sgpr 1
		.amdhsa_reserve_vcc 0
		.amdhsa_float_round_mode_32 0
		.amdhsa_float_round_mode_16_64 0
		.amdhsa_float_denorm_mode_32 3
		.amdhsa_float_denorm_mode_16_64 3
		.amdhsa_fp16_overflow 0
		.amdhsa_workgroup_processor_mode 1
		.amdhsa_memory_ordered 1
		.amdhsa_forward_progress 1
		.amdhsa_inst_pref_size 1
		.amdhsa_round_robin_scheduling 0
		.amdhsa_exception_fp_ieee_invalid_op 0
		.amdhsa_exception_fp_denorm_src 0
		.amdhsa_exception_fp_ieee_div_zero 0
		.amdhsa_exception_fp_ieee_overflow 0
		.amdhsa_exception_fp_ieee_underflow 0
		.amdhsa_exception_fp_ieee_inexact 0
		.amdhsa_exception_int_div_zero 0
	.end_amdhsa_kernel
	.section	.text._ZN7rocprim17ROCPRIM_400000_NS6detail17trampoline_kernelINS0_13select_configILj256ELj13ELNS0_17block_load_methodE3ELS4_3ELS4_3ELNS0_20block_scan_algorithmE0ELj4294967295EEENS1_25partition_config_selectorILNS1_17partition_subalgoE4EjNS0_10empty_typeEbEEZZNS1_14partition_implILS8_4ELb0ES6_15HIP_vector_typeIjLj2EENS0_17counting_iteratorIjlEEPS9_SG_NS0_5tupleIJPjSI_NS0_16reverse_iteratorISI_EEEEENSH_IJSG_SG_SG_EEES9_SI_JZNS1_25segmented_radix_sort_implINS0_14default_configELb1EPKaPaPKlPlN2at6native12_GLOBAL__N_18offset_tEEE10hipError_tPvRmT1_PNSt15iterator_traitsIS12_E10value_typeET2_T3_PNS13_IS18_E10value_typeET4_jRbjT5_S1E_jjP12ihipStream_tbEUljE_ZNSN_ISO_Lb1ESQ_SR_ST_SU_SY_EESZ_S10_S11_S12_S16_S17_S18_S1B_S1C_jS1D_jS1E_S1E_jjS1G_bEUljE0_EEESZ_S10_S11_S18_S1C_S1E_T6_T7_T9_mT8_S1G_bDpT10_ENKUlT_T0_E_clISt17integral_constantIbLb1EES1T_IbLb0EEEEDaS1P_S1Q_EUlS1P_E_NS1_11comp_targetILNS1_3genE10ELNS1_11target_archE1200ELNS1_3gpuE4ELNS1_3repE0EEENS1_30default_config_static_selectorELNS0_4arch9wavefront6targetE0EEEvS12_,"axG",@progbits,_ZN7rocprim17ROCPRIM_400000_NS6detail17trampoline_kernelINS0_13select_configILj256ELj13ELNS0_17block_load_methodE3ELS4_3ELS4_3ELNS0_20block_scan_algorithmE0ELj4294967295EEENS1_25partition_config_selectorILNS1_17partition_subalgoE4EjNS0_10empty_typeEbEEZZNS1_14partition_implILS8_4ELb0ES6_15HIP_vector_typeIjLj2EENS0_17counting_iteratorIjlEEPS9_SG_NS0_5tupleIJPjSI_NS0_16reverse_iteratorISI_EEEEENSH_IJSG_SG_SG_EEES9_SI_JZNS1_25segmented_radix_sort_implINS0_14default_configELb1EPKaPaPKlPlN2at6native12_GLOBAL__N_18offset_tEEE10hipError_tPvRmT1_PNSt15iterator_traitsIS12_E10value_typeET2_T3_PNS13_IS18_E10value_typeET4_jRbjT5_S1E_jjP12ihipStream_tbEUljE_ZNSN_ISO_Lb1ESQ_SR_ST_SU_SY_EESZ_S10_S11_S12_S16_S17_S18_S1B_S1C_jS1D_jS1E_S1E_jjS1G_bEUljE0_EEESZ_S10_S11_S18_S1C_S1E_T6_T7_T9_mT8_S1G_bDpT10_ENKUlT_T0_E_clISt17integral_constantIbLb1EES1T_IbLb0EEEEDaS1P_S1Q_EUlS1P_E_NS1_11comp_targetILNS1_3genE10ELNS1_11target_archE1200ELNS1_3gpuE4ELNS1_3repE0EEENS1_30default_config_static_selectorELNS0_4arch9wavefront6targetE0EEEvS12_,comdat
.Lfunc_end247:
	.size	_ZN7rocprim17ROCPRIM_400000_NS6detail17trampoline_kernelINS0_13select_configILj256ELj13ELNS0_17block_load_methodE3ELS4_3ELS4_3ELNS0_20block_scan_algorithmE0ELj4294967295EEENS1_25partition_config_selectorILNS1_17partition_subalgoE4EjNS0_10empty_typeEbEEZZNS1_14partition_implILS8_4ELb0ES6_15HIP_vector_typeIjLj2EENS0_17counting_iteratorIjlEEPS9_SG_NS0_5tupleIJPjSI_NS0_16reverse_iteratorISI_EEEEENSH_IJSG_SG_SG_EEES9_SI_JZNS1_25segmented_radix_sort_implINS0_14default_configELb1EPKaPaPKlPlN2at6native12_GLOBAL__N_18offset_tEEE10hipError_tPvRmT1_PNSt15iterator_traitsIS12_E10value_typeET2_T3_PNS13_IS18_E10value_typeET4_jRbjT5_S1E_jjP12ihipStream_tbEUljE_ZNSN_ISO_Lb1ESQ_SR_ST_SU_SY_EESZ_S10_S11_S12_S16_S17_S18_S1B_S1C_jS1D_jS1E_S1E_jjS1G_bEUljE0_EEESZ_S10_S11_S18_S1C_S1E_T6_T7_T9_mT8_S1G_bDpT10_ENKUlT_T0_E_clISt17integral_constantIbLb1EES1T_IbLb0EEEEDaS1P_S1Q_EUlS1P_E_NS1_11comp_targetILNS1_3genE10ELNS1_11target_archE1200ELNS1_3gpuE4ELNS1_3repE0EEENS1_30default_config_static_selectorELNS0_4arch9wavefront6targetE0EEEvS12_, .Lfunc_end247-_ZN7rocprim17ROCPRIM_400000_NS6detail17trampoline_kernelINS0_13select_configILj256ELj13ELNS0_17block_load_methodE3ELS4_3ELS4_3ELNS0_20block_scan_algorithmE0ELj4294967295EEENS1_25partition_config_selectorILNS1_17partition_subalgoE4EjNS0_10empty_typeEbEEZZNS1_14partition_implILS8_4ELb0ES6_15HIP_vector_typeIjLj2EENS0_17counting_iteratorIjlEEPS9_SG_NS0_5tupleIJPjSI_NS0_16reverse_iteratorISI_EEEEENSH_IJSG_SG_SG_EEES9_SI_JZNS1_25segmented_radix_sort_implINS0_14default_configELb1EPKaPaPKlPlN2at6native12_GLOBAL__N_18offset_tEEE10hipError_tPvRmT1_PNSt15iterator_traitsIS12_E10value_typeET2_T3_PNS13_IS18_E10value_typeET4_jRbjT5_S1E_jjP12ihipStream_tbEUljE_ZNSN_ISO_Lb1ESQ_SR_ST_SU_SY_EESZ_S10_S11_S12_S16_S17_S18_S1B_S1C_jS1D_jS1E_S1E_jjS1G_bEUljE0_EEESZ_S10_S11_S18_S1C_S1E_T6_T7_T9_mT8_S1G_bDpT10_ENKUlT_T0_E_clISt17integral_constantIbLb1EES1T_IbLb0EEEEDaS1P_S1Q_EUlS1P_E_NS1_11comp_targetILNS1_3genE10ELNS1_11target_archE1200ELNS1_3gpuE4ELNS1_3repE0EEENS1_30default_config_static_selectorELNS0_4arch9wavefront6targetE0EEEvS12_
                                        ; -- End function
	.set _ZN7rocprim17ROCPRIM_400000_NS6detail17trampoline_kernelINS0_13select_configILj256ELj13ELNS0_17block_load_methodE3ELS4_3ELS4_3ELNS0_20block_scan_algorithmE0ELj4294967295EEENS1_25partition_config_selectorILNS1_17partition_subalgoE4EjNS0_10empty_typeEbEEZZNS1_14partition_implILS8_4ELb0ES6_15HIP_vector_typeIjLj2EENS0_17counting_iteratorIjlEEPS9_SG_NS0_5tupleIJPjSI_NS0_16reverse_iteratorISI_EEEEENSH_IJSG_SG_SG_EEES9_SI_JZNS1_25segmented_radix_sort_implINS0_14default_configELb1EPKaPaPKlPlN2at6native12_GLOBAL__N_18offset_tEEE10hipError_tPvRmT1_PNSt15iterator_traitsIS12_E10value_typeET2_T3_PNS13_IS18_E10value_typeET4_jRbjT5_S1E_jjP12ihipStream_tbEUljE_ZNSN_ISO_Lb1ESQ_SR_ST_SU_SY_EESZ_S10_S11_S12_S16_S17_S18_S1B_S1C_jS1D_jS1E_S1E_jjS1G_bEUljE0_EEESZ_S10_S11_S18_S1C_S1E_T6_T7_T9_mT8_S1G_bDpT10_ENKUlT_T0_E_clISt17integral_constantIbLb1EES1T_IbLb0EEEEDaS1P_S1Q_EUlS1P_E_NS1_11comp_targetILNS1_3genE10ELNS1_11target_archE1200ELNS1_3gpuE4ELNS1_3repE0EEENS1_30default_config_static_selectorELNS0_4arch9wavefront6targetE0EEEvS12_.num_vgpr, 0
	.set _ZN7rocprim17ROCPRIM_400000_NS6detail17trampoline_kernelINS0_13select_configILj256ELj13ELNS0_17block_load_methodE3ELS4_3ELS4_3ELNS0_20block_scan_algorithmE0ELj4294967295EEENS1_25partition_config_selectorILNS1_17partition_subalgoE4EjNS0_10empty_typeEbEEZZNS1_14partition_implILS8_4ELb0ES6_15HIP_vector_typeIjLj2EENS0_17counting_iteratorIjlEEPS9_SG_NS0_5tupleIJPjSI_NS0_16reverse_iteratorISI_EEEEENSH_IJSG_SG_SG_EEES9_SI_JZNS1_25segmented_radix_sort_implINS0_14default_configELb1EPKaPaPKlPlN2at6native12_GLOBAL__N_18offset_tEEE10hipError_tPvRmT1_PNSt15iterator_traitsIS12_E10value_typeET2_T3_PNS13_IS18_E10value_typeET4_jRbjT5_S1E_jjP12ihipStream_tbEUljE_ZNSN_ISO_Lb1ESQ_SR_ST_SU_SY_EESZ_S10_S11_S12_S16_S17_S18_S1B_S1C_jS1D_jS1E_S1E_jjS1G_bEUljE0_EEESZ_S10_S11_S18_S1C_S1E_T6_T7_T9_mT8_S1G_bDpT10_ENKUlT_T0_E_clISt17integral_constantIbLb1EES1T_IbLb0EEEEDaS1P_S1Q_EUlS1P_E_NS1_11comp_targetILNS1_3genE10ELNS1_11target_archE1200ELNS1_3gpuE4ELNS1_3repE0EEENS1_30default_config_static_selectorELNS0_4arch9wavefront6targetE0EEEvS12_.num_agpr, 0
	.set _ZN7rocprim17ROCPRIM_400000_NS6detail17trampoline_kernelINS0_13select_configILj256ELj13ELNS0_17block_load_methodE3ELS4_3ELS4_3ELNS0_20block_scan_algorithmE0ELj4294967295EEENS1_25partition_config_selectorILNS1_17partition_subalgoE4EjNS0_10empty_typeEbEEZZNS1_14partition_implILS8_4ELb0ES6_15HIP_vector_typeIjLj2EENS0_17counting_iteratorIjlEEPS9_SG_NS0_5tupleIJPjSI_NS0_16reverse_iteratorISI_EEEEENSH_IJSG_SG_SG_EEES9_SI_JZNS1_25segmented_radix_sort_implINS0_14default_configELb1EPKaPaPKlPlN2at6native12_GLOBAL__N_18offset_tEEE10hipError_tPvRmT1_PNSt15iterator_traitsIS12_E10value_typeET2_T3_PNS13_IS18_E10value_typeET4_jRbjT5_S1E_jjP12ihipStream_tbEUljE_ZNSN_ISO_Lb1ESQ_SR_ST_SU_SY_EESZ_S10_S11_S12_S16_S17_S18_S1B_S1C_jS1D_jS1E_S1E_jjS1G_bEUljE0_EEESZ_S10_S11_S18_S1C_S1E_T6_T7_T9_mT8_S1G_bDpT10_ENKUlT_T0_E_clISt17integral_constantIbLb1EES1T_IbLb0EEEEDaS1P_S1Q_EUlS1P_E_NS1_11comp_targetILNS1_3genE10ELNS1_11target_archE1200ELNS1_3gpuE4ELNS1_3repE0EEENS1_30default_config_static_selectorELNS0_4arch9wavefront6targetE0EEEvS12_.numbered_sgpr, 0
	.set _ZN7rocprim17ROCPRIM_400000_NS6detail17trampoline_kernelINS0_13select_configILj256ELj13ELNS0_17block_load_methodE3ELS4_3ELS4_3ELNS0_20block_scan_algorithmE0ELj4294967295EEENS1_25partition_config_selectorILNS1_17partition_subalgoE4EjNS0_10empty_typeEbEEZZNS1_14partition_implILS8_4ELb0ES6_15HIP_vector_typeIjLj2EENS0_17counting_iteratorIjlEEPS9_SG_NS0_5tupleIJPjSI_NS0_16reverse_iteratorISI_EEEEENSH_IJSG_SG_SG_EEES9_SI_JZNS1_25segmented_radix_sort_implINS0_14default_configELb1EPKaPaPKlPlN2at6native12_GLOBAL__N_18offset_tEEE10hipError_tPvRmT1_PNSt15iterator_traitsIS12_E10value_typeET2_T3_PNS13_IS18_E10value_typeET4_jRbjT5_S1E_jjP12ihipStream_tbEUljE_ZNSN_ISO_Lb1ESQ_SR_ST_SU_SY_EESZ_S10_S11_S12_S16_S17_S18_S1B_S1C_jS1D_jS1E_S1E_jjS1G_bEUljE0_EEESZ_S10_S11_S18_S1C_S1E_T6_T7_T9_mT8_S1G_bDpT10_ENKUlT_T0_E_clISt17integral_constantIbLb1EES1T_IbLb0EEEEDaS1P_S1Q_EUlS1P_E_NS1_11comp_targetILNS1_3genE10ELNS1_11target_archE1200ELNS1_3gpuE4ELNS1_3repE0EEENS1_30default_config_static_selectorELNS0_4arch9wavefront6targetE0EEEvS12_.num_named_barrier, 0
	.set _ZN7rocprim17ROCPRIM_400000_NS6detail17trampoline_kernelINS0_13select_configILj256ELj13ELNS0_17block_load_methodE3ELS4_3ELS4_3ELNS0_20block_scan_algorithmE0ELj4294967295EEENS1_25partition_config_selectorILNS1_17partition_subalgoE4EjNS0_10empty_typeEbEEZZNS1_14partition_implILS8_4ELb0ES6_15HIP_vector_typeIjLj2EENS0_17counting_iteratorIjlEEPS9_SG_NS0_5tupleIJPjSI_NS0_16reverse_iteratorISI_EEEEENSH_IJSG_SG_SG_EEES9_SI_JZNS1_25segmented_radix_sort_implINS0_14default_configELb1EPKaPaPKlPlN2at6native12_GLOBAL__N_18offset_tEEE10hipError_tPvRmT1_PNSt15iterator_traitsIS12_E10value_typeET2_T3_PNS13_IS18_E10value_typeET4_jRbjT5_S1E_jjP12ihipStream_tbEUljE_ZNSN_ISO_Lb1ESQ_SR_ST_SU_SY_EESZ_S10_S11_S12_S16_S17_S18_S1B_S1C_jS1D_jS1E_S1E_jjS1G_bEUljE0_EEESZ_S10_S11_S18_S1C_S1E_T6_T7_T9_mT8_S1G_bDpT10_ENKUlT_T0_E_clISt17integral_constantIbLb1EES1T_IbLb0EEEEDaS1P_S1Q_EUlS1P_E_NS1_11comp_targetILNS1_3genE10ELNS1_11target_archE1200ELNS1_3gpuE4ELNS1_3repE0EEENS1_30default_config_static_selectorELNS0_4arch9wavefront6targetE0EEEvS12_.private_seg_size, 0
	.set _ZN7rocprim17ROCPRIM_400000_NS6detail17trampoline_kernelINS0_13select_configILj256ELj13ELNS0_17block_load_methodE3ELS4_3ELS4_3ELNS0_20block_scan_algorithmE0ELj4294967295EEENS1_25partition_config_selectorILNS1_17partition_subalgoE4EjNS0_10empty_typeEbEEZZNS1_14partition_implILS8_4ELb0ES6_15HIP_vector_typeIjLj2EENS0_17counting_iteratorIjlEEPS9_SG_NS0_5tupleIJPjSI_NS0_16reverse_iteratorISI_EEEEENSH_IJSG_SG_SG_EEES9_SI_JZNS1_25segmented_radix_sort_implINS0_14default_configELb1EPKaPaPKlPlN2at6native12_GLOBAL__N_18offset_tEEE10hipError_tPvRmT1_PNSt15iterator_traitsIS12_E10value_typeET2_T3_PNS13_IS18_E10value_typeET4_jRbjT5_S1E_jjP12ihipStream_tbEUljE_ZNSN_ISO_Lb1ESQ_SR_ST_SU_SY_EESZ_S10_S11_S12_S16_S17_S18_S1B_S1C_jS1D_jS1E_S1E_jjS1G_bEUljE0_EEESZ_S10_S11_S18_S1C_S1E_T6_T7_T9_mT8_S1G_bDpT10_ENKUlT_T0_E_clISt17integral_constantIbLb1EES1T_IbLb0EEEEDaS1P_S1Q_EUlS1P_E_NS1_11comp_targetILNS1_3genE10ELNS1_11target_archE1200ELNS1_3gpuE4ELNS1_3repE0EEENS1_30default_config_static_selectorELNS0_4arch9wavefront6targetE0EEEvS12_.uses_vcc, 0
	.set _ZN7rocprim17ROCPRIM_400000_NS6detail17trampoline_kernelINS0_13select_configILj256ELj13ELNS0_17block_load_methodE3ELS4_3ELS4_3ELNS0_20block_scan_algorithmE0ELj4294967295EEENS1_25partition_config_selectorILNS1_17partition_subalgoE4EjNS0_10empty_typeEbEEZZNS1_14partition_implILS8_4ELb0ES6_15HIP_vector_typeIjLj2EENS0_17counting_iteratorIjlEEPS9_SG_NS0_5tupleIJPjSI_NS0_16reverse_iteratorISI_EEEEENSH_IJSG_SG_SG_EEES9_SI_JZNS1_25segmented_radix_sort_implINS0_14default_configELb1EPKaPaPKlPlN2at6native12_GLOBAL__N_18offset_tEEE10hipError_tPvRmT1_PNSt15iterator_traitsIS12_E10value_typeET2_T3_PNS13_IS18_E10value_typeET4_jRbjT5_S1E_jjP12ihipStream_tbEUljE_ZNSN_ISO_Lb1ESQ_SR_ST_SU_SY_EESZ_S10_S11_S12_S16_S17_S18_S1B_S1C_jS1D_jS1E_S1E_jjS1G_bEUljE0_EEESZ_S10_S11_S18_S1C_S1E_T6_T7_T9_mT8_S1G_bDpT10_ENKUlT_T0_E_clISt17integral_constantIbLb1EES1T_IbLb0EEEEDaS1P_S1Q_EUlS1P_E_NS1_11comp_targetILNS1_3genE10ELNS1_11target_archE1200ELNS1_3gpuE4ELNS1_3repE0EEENS1_30default_config_static_selectorELNS0_4arch9wavefront6targetE0EEEvS12_.uses_flat_scratch, 0
	.set _ZN7rocprim17ROCPRIM_400000_NS6detail17trampoline_kernelINS0_13select_configILj256ELj13ELNS0_17block_load_methodE3ELS4_3ELS4_3ELNS0_20block_scan_algorithmE0ELj4294967295EEENS1_25partition_config_selectorILNS1_17partition_subalgoE4EjNS0_10empty_typeEbEEZZNS1_14partition_implILS8_4ELb0ES6_15HIP_vector_typeIjLj2EENS0_17counting_iteratorIjlEEPS9_SG_NS0_5tupleIJPjSI_NS0_16reverse_iteratorISI_EEEEENSH_IJSG_SG_SG_EEES9_SI_JZNS1_25segmented_radix_sort_implINS0_14default_configELb1EPKaPaPKlPlN2at6native12_GLOBAL__N_18offset_tEEE10hipError_tPvRmT1_PNSt15iterator_traitsIS12_E10value_typeET2_T3_PNS13_IS18_E10value_typeET4_jRbjT5_S1E_jjP12ihipStream_tbEUljE_ZNSN_ISO_Lb1ESQ_SR_ST_SU_SY_EESZ_S10_S11_S12_S16_S17_S18_S1B_S1C_jS1D_jS1E_S1E_jjS1G_bEUljE0_EEESZ_S10_S11_S18_S1C_S1E_T6_T7_T9_mT8_S1G_bDpT10_ENKUlT_T0_E_clISt17integral_constantIbLb1EES1T_IbLb0EEEEDaS1P_S1Q_EUlS1P_E_NS1_11comp_targetILNS1_3genE10ELNS1_11target_archE1200ELNS1_3gpuE4ELNS1_3repE0EEENS1_30default_config_static_selectorELNS0_4arch9wavefront6targetE0EEEvS12_.has_dyn_sized_stack, 0
	.set _ZN7rocprim17ROCPRIM_400000_NS6detail17trampoline_kernelINS0_13select_configILj256ELj13ELNS0_17block_load_methodE3ELS4_3ELS4_3ELNS0_20block_scan_algorithmE0ELj4294967295EEENS1_25partition_config_selectorILNS1_17partition_subalgoE4EjNS0_10empty_typeEbEEZZNS1_14partition_implILS8_4ELb0ES6_15HIP_vector_typeIjLj2EENS0_17counting_iteratorIjlEEPS9_SG_NS0_5tupleIJPjSI_NS0_16reverse_iteratorISI_EEEEENSH_IJSG_SG_SG_EEES9_SI_JZNS1_25segmented_radix_sort_implINS0_14default_configELb1EPKaPaPKlPlN2at6native12_GLOBAL__N_18offset_tEEE10hipError_tPvRmT1_PNSt15iterator_traitsIS12_E10value_typeET2_T3_PNS13_IS18_E10value_typeET4_jRbjT5_S1E_jjP12ihipStream_tbEUljE_ZNSN_ISO_Lb1ESQ_SR_ST_SU_SY_EESZ_S10_S11_S12_S16_S17_S18_S1B_S1C_jS1D_jS1E_S1E_jjS1G_bEUljE0_EEESZ_S10_S11_S18_S1C_S1E_T6_T7_T9_mT8_S1G_bDpT10_ENKUlT_T0_E_clISt17integral_constantIbLb1EES1T_IbLb0EEEEDaS1P_S1Q_EUlS1P_E_NS1_11comp_targetILNS1_3genE10ELNS1_11target_archE1200ELNS1_3gpuE4ELNS1_3repE0EEENS1_30default_config_static_selectorELNS0_4arch9wavefront6targetE0EEEvS12_.has_recursion, 0
	.set _ZN7rocprim17ROCPRIM_400000_NS6detail17trampoline_kernelINS0_13select_configILj256ELj13ELNS0_17block_load_methodE3ELS4_3ELS4_3ELNS0_20block_scan_algorithmE0ELj4294967295EEENS1_25partition_config_selectorILNS1_17partition_subalgoE4EjNS0_10empty_typeEbEEZZNS1_14partition_implILS8_4ELb0ES6_15HIP_vector_typeIjLj2EENS0_17counting_iteratorIjlEEPS9_SG_NS0_5tupleIJPjSI_NS0_16reverse_iteratorISI_EEEEENSH_IJSG_SG_SG_EEES9_SI_JZNS1_25segmented_radix_sort_implINS0_14default_configELb1EPKaPaPKlPlN2at6native12_GLOBAL__N_18offset_tEEE10hipError_tPvRmT1_PNSt15iterator_traitsIS12_E10value_typeET2_T3_PNS13_IS18_E10value_typeET4_jRbjT5_S1E_jjP12ihipStream_tbEUljE_ZNSN_ISO_Lb1ESQ_SR_ST_SU_SY_EESZ_S10_S11_S12_S16_S17_S18_S1B_S1C_jS1D_jS1E_S1E_jjS1G_bEUljE0_EEESZ_S10_S11_S18_S1C_S1E_T6_T7_T9_mT8_S1G_bDpT10_ENKUlT_T0_E_clISt17integral_constantIbLb1EES1T_IbLb0EEEEDaS1P_S1Q_EUlS1P_E_NS1_11comp_targetILNS1_3genE10ELNS1_11target_archE1200ELNS1_3gpuE4ELNS1_3repE0EEENS1_30default_config_static_selectorELNS0_4arch9wavefront6targetE0EEEvS12_.has_indirect_call, 0
	.section	.AMDGPU.csdata,"",@progbits
; Kernel info:
; codeLenInByte = 4
; TotalNumSgprs: 0
; NumVgprs: 0
; ScratchSize: 0
; MemoryBound: 0
; FloatMode: 240
; IeeeMode: 1
; LDSByteSize: 0 bytes/workgroup (compile time only)
; SGPRBlocks: 0
; VGPRBlocks: 0
; NumSGPRsForWavesPerEU: 1
; NumVGPRsForWavesPerEU: 1
; Occupancy: 16
; WaveLimiterHint : 0
; COMPUTE_PGM_RSRC2:SCRATCH_EN: 0
; COMPUTE_PGM_RSRC2:USER_SGPR: 2
; COMPUTE_PGM_RSRC2:TRAP_HANDLER: 0
; COMPUTE_PGM_RSRC2:TGID_X_EN: 1
; COMPUTE_PGM_RSRC2:TGID_Y_EN: 0
; COMPUTE_PGM_RSRC2:TGID_Z_EN: 0
; COMPUTE_PGM_RSRC2:TIDIG_COMP_CNT: 0
	.section	.text._ZN7rocprim17ROCPRIM_400000_NS6detail17trampoline_kernelINS0_13select_configILj256ELj13ELNS0_17block_load_methodE3ELS4_3ELS4_3ELNS0_20block_scan_algorithmE0ELj4294967295EEENS1_25partition_config_selectorILNS1_17partition_subalgoE4EjNS0_10empty_typeEbEEZZNS1_14partition_implILS8_4ELb0ES6_15HIP_vector_typeIjLj2EENS0_17counting_iteratorIjlEEPS9_SG_NS0_5tupleIJPjSI_NS0_16reverse_iteratorISI_EEEEENSH_IJSG_SG_SG_EEES9_SI_JZNS1_25segmented_radix_sort_implINS0_14default_configELb1EPKaPaPKlPlN2at6native12_GLOBAL__N_18offset_tEEE10hipError_tPvRmT1_PNSt15iterator_traitsIS12_E10value_typeET2_T3_PNS13_IS18_E10value_typeET4_jRbjT5_S1E_jjP12ihipStream_tbEUljE_ZNSN_ISO_Lb1ESQ_SR_ST_SU_SY_EESZ_S10_S11_S12_S16_S17_S18_S1B_S1C_jS1D_jS1E_S1E_jjS1G_bEUljE0_EEESZ_S10_S11_S18_S1C_S1E_T6_T7_T9_mT8_S1G_bDpT10_ENKUlT_T0_E_clISt17integral_constantIbLb1EES1T_IbLb0EEEEDaS1P_S1Q_EUlS1P_E_NS1_11comp_targetILNS1_3genE9ELNS1_11target_archE1100ELNS1_3gpuE3ELNS1_3repE0EEENS1_30default_config_static_selectorELNS0_4arch9wavefront6targetE0EEEvS12_,"axG",@progbits,_ZN7rocprim17ROCPRIM_400000_NS6detail17trampoline_kernelINS0_13select_configILj256ELj13ELNS0_17block_load_methodE3ELS4_3ELS4_3ELNS0_20block_scan_algorithmE0ELj4294967295EEENS1_25partition_config_selectorILNS1_17partition_subalgoE4EjNS0_10empty_typeEbEEZZNS1_14partition_implILS8_4ELb0ES6_15HIP_vector_typeIjLj2EENS0_17counting_iteratorIjlEEPS9_SG_NS0_5tupleIJPjSI_NS0_16reverse_iteratorISI_EEEEENSH_IJSG_SG_SG_EEES9_SI_JZNS1_25segmented_radix_sort_implINS0_14default_configELb1EPKaPaPKlPlN2at6native12_GLOBAL__N_18offset_tEEE10hipError_tPvRmT1_PNSt15iterator_traitsIS12_E10value_typeET2_T3_PNS13_IS18_E10value_typeET4_jRbjT5_S1E_jjP12ihipStream_tbEUljE_ZNSN_ISO_Lb1ESQ_SR_ST_SU_SY_EESZ_S10_S11_S12_S16_S17_S18_S1B_S1C_jS1D_jS1E_S1E_jjS1G_bEUljE0_EEESZ_S10_S11_S18_S1C_S1E_T6_T7_T9_mT8_S1G_bDpT10_ENKUlT_T0_E_clISt17integral_constantIbLb1EES1T_IbLb0EEEEDaS1P_S1Q_EUlS1P_E_NS1_11comp_targetILNS1_3genE9ELNS1_11target_archE1100ELNS1_3gpuE3ELNS1_3repE0EEENS1_30default_config_static_selectorELNS0_4arch9wavefront6targetE0EEEvS12_,comdat
	.globl	_ZN7rocprim17ROCPRIM_400000_NS6detail17trampoline_kernelINS0_13select_configILj256ELj13ELNS0_17block_load_methodE3ELS4_3ELS4_3ELNS0_20block_scan_algorithmE0ELj4294967295EEENS1_25partition_config_selectorILNS1_17partition_subalgoE4EjNS0_10empty_typeEbEEZZNS1_14partition_implILS8_4ELb0ES6_15HIP_vector_typeIjLj2EENS0_17counting_iteratorIjlEEPS9_SG_NS0_5tupleIJPjSI_NS0_16reverse_iteratorISI_EEEEENSH_IJSG_SG_SG_EEES9_SI_JZNS1_25segmented_radix_sort_implINS0_14default_configELb1EPKaPaPKlPlN2at6native12_GLOBAL__N_18offset_tEEE10hipError_tPvRmT1_PNSt15iterator_traitsIS12_E10value_typeET2_T3_PNS13_IS18_E10value_typeET4_jRbjT5_S1E_jjP12ihipStream_tbEUljE_ZNSN_ISO_Lb1ESQ_SR_ST_SU_SY_EESZ_S10_S11_S12_S16_S17_S18_S1B_S1C_jS1D_jS1E_S1E_jjS1G_bEUljE0_EEESZ_S10_S11_S18_S1C_S1E_T6_T7_T9_mT8_S1G_bDpT10_ENKUlT_T0_E_clISt17integral_constantIbLb1EES1T_IbLb0EEEEDaS1P_S1Q_EUlS1P_E_NS1_11comp_targetILNS1_3genE9ELNS1_11target_archE1100ELNS1_3gpuE3ELNS1_3repE0EEENS1_30default_config_static_selectorELNS0_4arch9wavefront6targetE0EEEvS12_ ; -- Begin function _ZN7rocprim17ROCPRIM_400000_NS6detail17trampoline_kernelINS0_13select_configILj256ELj13ELNS0_17block_load_methodE3ELS4_3ELS4_3ELNS0_20block_scan_algorithmE0ELj4294967295EEENS1_25partition_config_selectorILNS1_17partition_subalgoE4EjNS0_10empty_typeEbEEZZNS1_14partition_implILS8_4ELb0ES6_15HIP_vector_typeIjLj2EENS0_17counting_iteratorIjlEEPS9_SG_NS0_5tupleIJPjSI_NS0_16reverse_iteratorISI_EEEEENSH_IJSG_SG_SG_EEES9_SI_JZNS1_25segmented_radix_sort_implINS0_14default_configELb1EPKaPaPKlPlN2at6native12_GLOBAL__N_18offset_tEEE10hipError_tPvRmT1_PNSt15iterator_traitsIS12_E10value_typeET2_T3_PNS13_IS18_E10value_typeET4_jRbjT5_S1E_jjP12ihipStream_tbEUljE_ZNSN_ISO_Lb1ESQ_SR_ST_SU_SY_EESZ_S10_S11_S12_S16_S17_S18_S1B_S1C_jS1D_jS1E_S1E_jjS1G_bEUljE0_EEESZ_S10_S11_S18_S1C_S1E_T6_T7_T9_mT8_S1G_bDpT10_ENKUlT_T0_E_clISt17integral_constantIbLb1EES1T_IbLb0EEEEDaS1P_S1Q_EUlS1P_E_NS1_11comp_targetILNS1_3genE9ELNS1_11target_archE1100ELNS1_3gpuE3ELNS1_3repE0EEENS1_30default_config_static_selectorELNS0_4arch9wavefront6targetE0EEEvS12_
	.p2align	8
	.type	_ZN7rocprim17ROCPRIM_400000_NS6detail17trampoline_kernelINS0_13select_configILj256ELj13ELNS0_17block_load_methodE3ELS4_3ELS4_3ELNS0_20block_scan_algorithmE0ELj4294967295EEENS1_25partition_config_selectorILNS1_17partition_subalgoE4EjNS0_10empty_typeEbEEZZNS1_14partition_implILS8_4ELb0ES6_15HIP_vector_typeIjLj2EENS0_17counting_iteratorIjlEEPS9_SG_NS0_5tupleIJPjSI_NS0_16reverse_iteratorISI_EEEEENSH_IJSG_SG_SG_EEES9_SI_JZNS1_25segmented_radix_sort_implINS0_14default_configELb1EPKaPaPKlPlN2at6native12_GLOBAL__N_18offset_tEEE10hipError_tPvRmT1_PNSt15iterator_traitsIS12_E10value_typeET2_T3_PNS13_IS18_E10value_typeET4_jRbjT5_S1E_jjP12ihipStream_tbEUljE_ZNSN_ISO_Lb1ESQ_SR_ST_SU_SY_EESZ_S10_S11_S12_S16_S17_S18_S1B_S1C_jS1D_jS1E_S1E_jjS1G_bEUljE0_EEESZ_S10_S11_S18_S1C_S1E_T6_T7_T9_mT8_S1G_bDpT10_ENKUlT_T0_E_clISt17integral_constantIbLb1EES1T_IbLb0EEEEDaS1P_S1Q_EUlS1P_E_NS1_11comp_targetILNS1_3genE9ELNS1_11target_archE1100ELNS1_3gpuE3ELNS1_3repE0EEENS1_30default_config_static_selectorELNS0_4arch9wavefront6targetE0EEEvS12_,@function
_ZN7rocprim17ROCPRIM_400000_NS6detail17trampoline_kernelINS0_13select_configILj256ELj13ELNS0_17block_load_methodE3ELS4_3ELS4_3ELNS0_20block_scan_algorithmE0ELj4294967295EEENS1_25partition_config_selectorILNS1_17partition_subalgoE4EjNS0_10empty_typeEbEEZZNS1_14partition_implILS8_4ELb0ES6_15HIP_vector_typeIjLj2EENS0_17counting_iteratorIjlEEPS9_SG_NS0_5tupleIJPjSI_NS0_16reverse_iteratorISI_EEEEENSH_IJSG_SG_SG_EEES9_SI_JZNS1_25segmented_radix_sort_implINS0_14default_configELb1EPKaPaPKlPlN2at6native12_GLOBAL__N_18offset_tEEE10hipError_tPvRmT1_PNSt15iterator_traitsIS12_E10value_typeET2_T3_PNS13_IS18_E10value_typeET4_jRbjT5_S1E_jjP12ihipStream_tbEUljE_ZNSN_ISO_Lb1ESQ_SR_ST_SU_SY_EESZ_S10_S11_S12_S16_S17_S18_S1B_S1C_jS1D_jS1E_S1E_jjS1G_bEUljE0_EEESZ_S10_S11_S18_S1C_S1E_T6_T7_T9_mT8_S1G_bDpT10_ENKUlT_T0_E_clISt17integral_constantIbLb1EES1T_IbLb0EEEEDaS1P_S1Q_EUlS1P_E_NS1_11comp_targetILNS1_3genE9ELNS1_11target_archE1100ELNS1_3gpuE3ELNS1_3repE0EEENS1_30default_config_static_selectorELNS0_4arch9wavefront6targetE0EEEvS12_: ; @_ZN7rocprim17ROCPRIM_400000_NS6detail17trampoline_kernelINS0_13select_configILj256ELj13ELNS0_17block_load_methodE3ELS4_3ELS4_3ELNS0_20block_scan_algorithmE0ELj4294967295EEENS1_25partition_config_selectorILNS1_17partition_subalgoE4EjNS0_10empty_typeEbEEZZNS1_14partition_implILS8_4ELb0ES6_15HIP_vector_typeIjLj2EENS0_17counting_iteratorIjlEEPS9_SG_NS0_5tupleIJPjSI_NS0_16reverse_iteratorISI_EEEEENSH_IJSG_SG_SG_EEES9_SI_JZNS1_25segmented_radix_sort_implINS0_14default_configELb1EPKaPaPKlPlN2at6native12_GLOBAL__N_18offset_tEEE10hipError_tPvRmT1_PNSt15iterator_traitsIS12_E10value_typeET2_T3_PNS13_IS18_E10value_typeET4_jRbjT5_S1E_jjP12ihipStream_tbEUljE_ZNSN_ISO_Lb1ESQ_SR_ST_SU_SY_EESZ_S10_S11_S12_S16_S17_S18_S1B_S1C_jS1D_jS1E_S1E_jjS1G_bEUljE0_EEESZ_S10_S11_S18_S1C_S1E_T6_T7_T9_mT8_S1G_bDpT10_ENKUlT_T0_E_clISt17integral_constantIbLb1EES1T_IbLb0EEEEDaS1P_S1Q_EUlS1P_E_NS1_11comp_targetILNS1_3genE9ELNS1_11target_archE1100ELNS1_3gpuE3ELNS1_3repE0EEENS1_30default_config_static_selectorELNS0_4arch9wavefront6targetE0EEEvS12_
; %bb.0:
	.section	.rodata,"a",@progbits
	.p2align	6, 0x0
	.amdhsa_kernel _ZN7rocprim17ROCPRIM_400000_NS6detail17trampoline_kernelINS0_13select_configILj256ELj13ELNS0_17block_load_methodE3ELS4_3ELS4_3ELNS0_20block_scan_algorithmE0ELj4294967295EEENS1_25partition_config_selectorILNS1_17partition_subalgoE4EjNS0_10empty_typeEbEEZZNS1_14partition_implILS8_4ELb0ES6_15HIP_vector_typeIjLj2EENS0_17counting_iteratorIjlEEPS9_SG_NS0_5tupleIJPjSI_NS0_16reverse_iteratorISI_EEEEENSH_IJSG_SG_SG_EEES9_SI_JZNS1_25segmented_radix_sort_implINS0_14default_configELb1EPKaPaPKlPlN2at6native12_GLOBAL__N_18offset_tEEE10hipError_tPvRmT1_PNSt15iterator_traitsIS12_E10value_typeET2_T3_PNS13_IS18_E10value_typeET4_jRbjT5_S1E_jjP12ihipStream_tbEUljE_ZNSN_ISO_Lb1ESQ_SR_ST_SU_SY_EESZ_S10_S11_S12_S16_S17_S18_S1B_S1C_jS1D_jS1E_S1E_jjS1G_bEUljE0_EEESZ_S10_S11_S18_S1C_S1E_T6_T7_T9_mT8_S1G_bDpT10_ENKUlT_T0_E_clISt17integral_constantIbLb1EES1T_IbLb0EEEEDaS1P_S1Q_EUlS1P_E_NS1_11comp_targetILNS1_3genE9ELNS1_11target_archE1100ELNS1_3gpuE3ELNS1_3repE0EEENS1_30default_config_static_selectorELNS0_4arch9wavefront6targetE0EEEvS12_
		.amdhsa_group_segment_fixed_size 0
		.amdhsa_private_segment_fixed_size 0
		.amdhsa_kernarg_size 176
		.amdhsa_user_sgpr_count 2
		.amdhsa_user_sgpr_dispatch_ptr 0
		.amdhsa_user_sgpr_queue_ptr 0
		.amdhsa_user_sgpr_kernarg_segment_ptr 1
		.amdhsa_user_sgpr_dispatch_id 0
		.amdhsa_user_sgpr_private_segment_size 0
		.amdhsa_wavefront_size32 1
		.amdhsa_uses_dynamic_stack 0
		.amdhsa_enable_private_segment 0
		.amdhsa_system_sgpr_workgroup_id_x 1
		.amdhsa_system_sgpr_workgroup_id_y 0
		.amdhsa_system_sgpr_workgroup_id_z 0
		.amdhsa_system_sgpr_workgroup_info 0
		.amdhsa_system_vgpr_workitem_id 0
		.amdhsa_next_free_vgpr 1
		.amdhsa_next_free_sgpr 1
		.amdhsa_reserve_vcc 0
		.amdhsa_float_round_mode_32 0
		.amdhsa_float_round_mode_16_64 0
		.amdhsa_float_denorm_mode_32 3
		.amdhsa_float_denorm_mode_16_64 3
		.amdhsa_fp16_overflow 0
		.amdhsa_workgroup_processor_mode 1
		.amdhsa_memory_ordered 1
		.amdhsa_forward_progress 1
		.amdhsa_inst_pref_size 0
		.amdhsa_round_robin_scheduling 0
		.amdhsa_exception_fp_ieee_invalid_op 0
		.amdhsa_exception_fp_denorm_src 0
		.amdhsa_exception_fp_ieee_div_zero 0
		.amdhsa_exception_fp_ieee_overflow 0
		.amdhsa_exception_fp_ieee_underflow 0
		.amdhsa_exception_fp_ieee_inexact 0
		.amdhsa_exception_int_div_zero 0
	.end_amdhsa_kernel
	.section	.text._ZN7rocprim17ROCPRIM_400000_NS6detail17trampoline_kernelINS0_13select_configILj256ELj13ELNS0_17block_load_methodE3ELS4_3ELS4_3ELNS0_20block_scan_algorithmE0ELj4294967295EEENS1_25partition_config_selectorILNS1_17partition_subalgoE4EjNS0_10empty_typeEbEEZZNS1_14partition_implILS8_4ELb0ES6_15HIP_vector_typeIjLj2EENS0_17counting_iteratorIjlEEPS9_SG_NS0_5tupleIJPjSI_NS0_16reverse_iteratorISI_EEEEENSH_IJSG_SG_SG_EEES9_SI_JZNS1_25segmented_radix_sort_implINS0_14default_configELb1EPKaPaPKlPlN2at6native12_GLOBAL__N_18offset_tEEE10hipError_tPvRmT1_PNSt15iterator_traitsIS12_E10value_typeET2_T3_PNS13_IS18_E10value_typeET4_jRbjT5_S1E_jjP12ihipStream_tbEUljE_ZNSN_ISO_Lb1ESQ_SR_ST_SU_SY_EESZ_S10_S11_S12_S16_S17_S18_S1B_S1C_jS1D_jS1E_S1E_jjS1G_bEUljE0_EEESZ_S10_S11_S18_S1C_S1E_T6_T7_T9_mT8_S1G_bDpT10_ENKUlT_T0_E_clISt17integral_constantIbLb1EES1T_IbLb0EEEEDaS1P_S1Q_EUlS1P_E_NS1_11comp_targetILNS1_3genE9ELNS1_11target_archE1100ELNS1_3gpuE3ELNS1_3repE0EEENS1_30default_config_static_selectorELNS0_4arch9wavefront6targetE0EEEvS12_,"axG",@progbits,_ZN7rocprim17ROCPRIM_400000_NS6detail17trampoline_kernelINS0_13select_configILj256ELj13ELNS0_17block_load_methodE3ELS4_3ELS4_3ELNS0_20block_scan_algorithmE0ELj4294967295EEENS1_25partition_config_selectorILNS1_17partition_subalgoE4EjNS0_10empty_typeEbEEZZNS1_14partition_implILS8_4ELb0ES6_15HIP_vector_typeIjLj2EENS0_17counting_iteratorIjlEEPS9_SG_NS0_5tupleIJPjSI_NS0_16reverse_iteratorISI_EEEEENSH_IJSG_SG_SG_EEES9_SI_JZNS1_25segmented_radix_sort_implINS0_14default_configELb1EPKaPaPKlPlN2at6native12_GLOBAL__N_18offset_tEEE10hipError_tPvRmT1_PNSt15iterator_traitsIS12_E10value_typeET2_T3_PNS13_IS18_E10value_typeET4_jRbjT5_S1E_jjP12ihipStream_tbEUljE_ZNSN_ISO_Lb1ESQ_SR_ST_SU_SY_EESZ_S10_S11_S12_S16_S17_S18_S1B_S1C_jS1D_jS1E_S1E_jjS1G_bEUljE0_EEESZ_S10_S11_S18_S1C_S1E_T6_T7_T9_mT8_S1G_bDpT10_ENKUlT_T0_E_clISt17integral_constantIbLb1EES1T_IbLb0EEEEDaS1P_S1Q_EUlS1P_E_NS1_11comp_targetILNS1_3genE9ELNS1_11target_archE1100ELNS1_3gpuE3ELNS1_3repE0EEENS1_30default_config_static_selectorELNS0_4arch9wavefront6targetE0EEEvS12_,comdat
.Lfunc_end248:
	.size	_ZN7rocprim17ROCPRIM_400000_NS6detail17trampoline_kernelINS0_13select_configILj256ELj13ELNS0_17block_load_methodE3ELS4_3ELS4_3ELNS0_20block_scan_algorithmE0ELj4294967295EEENS1_25partition_config_selectorILNS1_17partition_subalgoE4EjNS0_10empty_typeEbEEZZNS1_14partition_implILS8_4ELb0ES6_15HIP_vector_typeIjLj2EENS0_17counting_iteratorIjlEEPS9_SG_NS0_5tupleIJPjSI_NS0_16reverse_iteratorISI_EEEEENSH_IJSG_SG_SG_EEES9_SI_JZNS1_25segmented_radix_sort_implINS0_14default_configELb1EPKaPaPKlPlN2at6native12_GLOBAL__N_18offset_tEEE10hipError_tPvRmT1_PNSt15iterator_traitsIS12_E10value_typeET2_T3_PNS13_IS18_E10value_typeET4_jRbjT5_S1E_jjP12ihipStream_tbEUljE_ZNSN_ISO_Lb1ESQ_SR_ST_SU_SY_EESZ_S10_S11_S12_S16_S17_S18_S1B_S1C_jS1D_jS1E_S1E_jjS1G_bEUljE0_EEESZ_S10_S11_S18_S1C_S1E_T6_T7_T9_mT8_S1G_bDpT10_ENKUlT_T0_E_clISt17integral_constantIbLb1EES1T_IbLb0EEEEDaS1P_S1Q_EUlS1P_E_NS1_11comp_targetILNS1_3genE9ELNS1_11target_archE1100ELNS1_3gpuE3ELNS1_3repE0EEENS1_30default_config_static_selectorELNS0_4arch9wavefront6targetE0EEEvS12_, .Lfunc_end248-_ZN7rocprim17ROCPRIM_400000_NS6detail17trampoline_kernelINS0_13select_configILj256ELj13ELNS0_17block_load_methodE3ELS4_3ELS4_3ELNS0_20block_scan_algorithmE0ELj4294967295EEENS1_25partition_config_selectorILNS1_17partition_subalgoE4EjNS0_10empty_typeEbEEZZNS1_14partition_implILS8_4ELb0ES6_15HIP_vector_typeIjLj2EENS0_17counting_iteratorIjlEEPS9_SG_NS0_5tupleIJPjSI_NS0_16reverse_iteratorISI_EEEEENSH_IJSG_SG_SG_EEES9_SI_JZNS1_25segmented_radix_sort_implINS0_14default_configELb1EPKaPaPKlPlN2at6native12_GLOBAL__N_18offset_tEEE10hipError_tPvRmT1_PNSt15iterator_traitsIS12_E10value_typeET2_T3_PNS13_IS18_E10value_typeET4_jRbjT5_S1E_jjP12ihipStream_tbEUljE_ZNSN_ISO_Lb1ESQ_SR_ST_SU_SY_EESZ_S10_S11_S12_S16_S17_S18_S1B_S1C_jS1D_jS1E_S1E_jjS1G_bEUljE0_EEESZ_S10_S11_S18_S1C_S1E_T6_T7_T9_mT8_S1G_bDpT10_ENKUlT_T0_E_clISt17integral_constantIbLb1EES1T_IbLb0EEEEDaS1P_S1Q_EUlS1P_E_NS1_11comp_targetILNS1_3genE9ELNS1_11target_archE1100ELNS1_3gpuE3ELNS1_3repE0EEENS1_30default_config_static_selectorELNS0_4arch9wavefront6targetE0EEEvS12_
                                        ; -- End function
	.set _ZN7rocprim17ROCPRIM_400000_NS6detail17trampoline_kernelINS0_13select_configILj256ELj13ELNS0_17block_load_methodE3ELS4_3ELS4_3ELNS0_20block_scan_algorithmE0ELj4294967295EEENS1_25partition_config_selectorILNS1_17partition_subalgoE4EjNS0_10empty_typeEbEEZZNS1_14partition_implILS8_4ELb0ES6_15HIP_vector_typeIjLj2EENS0_17counting_iteratorIjlEEPS9_SG_NS0_5tupleIJPjSI_NS0_16reverse_iteratorISI_EEEEENSH_IJSG_SG_SG_EEES9_SI_JZNS1_25segmented_radix_sort_implINS0_14default_configELb1EPKaPaPKlPlN2at6native12_GLOBAL__N_18offset_tEEE10hipError_tPvRmT1_PNSt15iterator_traitsIS12_E10value_typeET2_T3_PNS13_IS18_E10value_typeET4_jRbjT5_S1E_jjP12ihipStream_tbEUljE_ZNSN_ISO_Lb1ESQ_SR_ST_SU_SY_EESZ_S10_S11_S12_S16_S17_S18_S1B_S1C_jS1D_jS1E_S1E_jjS1G_bEUljE0_EEESZ_S10_S11_S18_S1C_S1E_T6_T7_T9_mT8_S1G_bDpT10_ENKUlT_T0_E_clISt17integral_constantIbLb1EES1T_IbLb0EEEEDaS1P_S1Q_EUlS1P_E_NS1_11comp_targetILNS1_3genE9ELNS1_11target_archE1100ELNS1_3gpuE3ELNS1_3repE0EEENS1_30default_config_static_selectorELNS0_4arch9wavefront6targetE0EEEvS12_.num_vgpr, 0
	.set _ZN7rocprim17ROCPRIM_400000_NS6detail17trampoline_kernelINS0_13select_configILj256ELj13ELNS0_17block_load_methodE3ELS4_3ELS4_3ELNS0_20block_scan_algorithmE0ELj4294967295EEENS1_25partition_config_selectorILNS1_17partition_subalgoE4EjNS0_10empty_typeEbEEZZNS1_14partition_implILS8_4ELb0ES6_15HIP_vector_typeIjLj2EENS0_17counting_iteratorIjlEEPS9_SG_NS0_5tupleIJPjSI_NS0_16reverse_iteratorISI_EEEEENSH_IJSG_SG_SG_EEES9_SI_JZNS1_25segmented_radix_sort_implINS0_14default_configELb1EPKaPaPKlPlN2at6native12_GLOBAL__N_18offset_tEEE10hipError_tPvRmT1_PNSt15iterator_traitsIS12_E10value_typeET2_T3_PNS13_IS18_E10value_typeET4_jRbjT5_S1E_jjP12ihipStream_tbEUljE_ZNSN_ISO_Lb1ESQ_SR_ST_SU_SY_EESZ_S10_S11_S12_S16_S17_S18_S1B_S1C_jS1D_jS1E_S1E_jjS1G_bEUljE0_EEESZ_S10_S11_S18_S1C_S1E_T6_T7_T9_mT8_S1G_bDpT10_ENKUlT_T0_E_clISt17integral_constantIbLb1EES1T_IbLb0EEEEDaS1P_S1Q_EUlS1P_E_NS1_11comp_targetILNS1_3genE9ELNS1_11target_archE1100ELNS1_3gpuE3ELNS1_3repE0EEENS1_30default_config_static_selectorELNS0_4arch9wavefront6targetE0EEEvS12_.num_agpr, 0
	.set _ZN7rocprim17ROCPRIM_400000_NS6detail17trampoline_kernelINS0_13select_configILj256ELj13ELNS0_17block_load_methodE3ELS4_3ELS4_3ELNS0_20block_scan_algorithmE0ELj4294967295EEENS1_25partition_config_selectorILNS1_17partition_subalgoE4EjNS0_10empty_typeEbEEZZNS1_14partition_implILS8_4ELb0ES6_15HIP_vector_typeIjLj2EENS0_17counting_iteratorIjlEEPS9_SG_NS0_5tupleIJPjSI_NS0_16reverse_iteratorISI_EEEEENSH_IJSG_SG_SG_EEES9_SI_JZNS1_25segmented_radix_sort_implINS0_14default_configELb1EPKaPaPKlPlN2at6native12_GLOBAL__N_18offset_tEEE10hipError_tPvRmT1_PNSt15iterator_traitsIS12_E10value_typeET2_T3_PNS13_IS18_E10value_typeET4_jRbjT5_S1E_jjP12ihipStream_tbEUljE_ZNSN_ISO_Lb1ESQ_SR_ST_SU_SY_EESZ_S10_S11_S12_S16_S17_S18_S1B_S1C_jS1D_jS1E_S1E_jjS1G_bEUljE0_EEESZ_S10_S11_S18_S1C_S1E_T6_T7_T9_mT8_S1G_bDpT10_ENKUlT_T0_E_clISt17integral_constantIbLb1EES1T_IbLb0EEEEDaS1P_S1Q_EUlS1P_E_NS1_11comp_targetILNS1_3genE9ELNS1_11target_archE1100ELNS1_3gpuE3ELNS1_3repE0EEENS1_30default_config_static_selectorELNS0_4arch9wavefront6targetE0EEEvS12_.numbered_sgpr, 0
	.set _ZN7rocprim17ROCPRIM_400000_NS6detail17trampoline_kernelINS0_13select_configILj256ELj13ELNS0_17block_load_methodE3ELS4_3ELS4_3ELNS0_20block_scan_algorithmE0ELj4294967295EEENS1_25partition_config_selectorILNS1_17partition_subalgoE4EjNS0_10empty_typeEbEEZZNS1_14partition_implILS8_4ELb0ES6_15HIP_vector_typeIjLj2EENS0_17counting_iteratorIjlEEPS9_SG_NS0_5tupleIJPjSI_NS0_16reverse_iteratorISI_EEEEENSH_IJSG_SG_SG_EEES9_SI_JZNS1_25segmented_radix_sort_implINS0_14default_configELb1EPKaPaPKlPlN2at6native12_GLOBAL__N_18offset_tEEE10hipError_tPvRmT1_PNSt15iterator_traitsIS12_E10value_typeET2_T3_PNS13_IS18_E10value_typeET4_jRbjT5_S1E_jjP12ihipStream_tbEUljE_ZNSN_ISO_Lb1ESQ_SR_ST_SU_SY_EESZ_S10_S11_S12_S16_S17_S18_S1B_S1C_jS1D_jS1E_S1E_jjS1G_bEUljE0_EEESZ_S10_S11_S18_S1C_S1E_T6_T7_T9_mT8_S1G_bDpT10_ENKUlT_T0_E_clISt17integral_constantIbLb1EES1T_IbLb0EEEEDaS1P_S1Q_EUlS1P_E_NS1_11comp_targetILNS1_3genE9ELNS1_11target_archE1100ELNS1_3gpuE3ELNS1_3repE0EEENS1_30default_config_static_selectorELNS0_4arch9wavefront6targetE0EEEvS12_.num_named_barrier, 0
	.set _ZN7rocprim17ROCPRIM_400000_NS6detail17trampoline_kernelINS0_13select_configILj256ELj13ELNS0_17block_load_methodE3ELS4_3ELS4_3ELNS0_20block_scan_algorithmE0ELj4294967295EEENS1_25partition_config_selectorILNS1_17partition_subalgoE4EjNS0_10empty_typeEbEEZZNS1_14partition_implILS8_4ELb0ES6_15HIP_vector_typeIjLj2EENS0_17counting_iteratorIjlEEPS9_SG_NS0_5tupleIJPjSI_NS0_16reverse_iteratorISI_EEEEENSH_IJSG_SG_SG_EEES9_SI_JZNS1_25segmented_radix_sort_implINS0_14default_configELb1EPKaPaPKlPlN2at6native12_GLOBAL__N_18offset_tEEE10hipError_tPvRmT1_PNSt15iterator_traitsIS12_E10value_typeET2_T3_PNS13_IS18_E10value_typeET4_jRbjT5_S1E_jjP12ihipStream_tbEUljE_ZNSN_ISO_Lb1ESQ_SR_ST_SU_SY_EESZ_S10_S11_S12_S16_S17_S18_S1B_S1C_jS1D_jS1E_S1E_jjS1G_bEUljE0_EEESZ_S10_S11_S18_S1C_S1E_T6_T7_T9_mT8_S1G_bDpT10_ENKUlT_T0_E_clISt17integral_constantIbLb1EES1T_IbLb0EEEEDaS1P_S1Q_EUlS1P_E_NS1_11comp_targetILNS1_3genE9ELNS1_11target_archE1100ELNS1_3gpuE3ELNS1_3repE0EEENS1_30default_config_static_selectorELNS0_4arch9wavefront6targetE0EEEvS12_.private_seg_size, 0
	.set _ZN7rocprim17ROCPRIM_400000_NS6detail17trampoline_kernelINS0_13select_configILj256ELj13ELNS0_17block_load_methodE3ELS4_3ELS4_3ELNS0_20block_scan_algorithmE0ELj4294967295EEENS1_25partition_config_selectorILNS1_17partition_subalgoE4EjNS0_10empty_typeEbEEZZNS1_14partition_implILS8_4ELb0ES6_15HIP_vector_typeIjLj2EENS0_17counting_iteratorIjlEEPS9_SG_NS0_5tupleIJPjSI_NS0_16reverse_iteratorISI_EEEEENSH_IJSG_SG_SG_EEES9_SI_JZNS1_25segmented_radix_sort_implINS0_14default_configELb1EPKaPaPKlPlN2at6native12_GLOBAL__N_18offset_tEEE10hipError_tPvRmT1_PNSt15iterator_traitsIS12_E10value_typeET2_T3_PNS13_IS18_E10value_typeET4_jRbjT5_S1E_jjP12ihipStream_tbEUljE_ZNSN_ISO_Lb1ESQ_SR_ST_SU_SY_EESZ_S10_S11_S12_S16_S17_S18_S1B_S1C_jS1D_jS1E_S1E_jjS1G_bEUljE0_EEESZ_S10_S11_S18_S1C_S1E_T6_T7_T9_mT8_S1G_bDpT10_ENKUlT_T0_E_clISt17integral_constantIbLb1EES1T_IbLb0EEEEDaS1P_S1Q_EUlS1P_E_NS1_11comp_targetILNS1_3genE9ELNS1_11target_archE1100ELNS1_3gpuE3ELNS1_3repE0EEENS1_30default_config_static_selectorELNS0_4arch9wavefront6targetE0EEEvS12_.uses_vcc, 0
	.set _ZN7rocprim17ROCPRIM_400000_NS6detail17trampoline_kernelINS0_13select_configILj256ELj13ELNS0_17block_load_methodE3ELS4_3ELS4_3ELNS0_20block_scan_algorithmE0ELj4294967295EEENS1_25partition_config_selectorILNS1_17partition_subalgoE4EjNS0_10empty_typeEbEEZZNS1_14partition_implILS8_4ELb0ES6_15HIP_vector_typeIjLj2EENS0_17counting_iteratorIjlEEPS9_SG_NS0_5tupleIJPjSI_NS0_16reverse_iteratorISI_EEEEENSH_IJSG_SG_SG_EEES9_SI_JZNS1_25segmented_radix_sort_implINS0_14default_configELb1EPKaPaPKlPlN2at6native12_GLOBAL__N_18offset_tEEE10hipError_tPvRmT1_PNSt15iterator_traitsIS12_E10value_typeET2_T3_PNS13_IS18_E10value_typeET4_jRbjT5_S1E_jjP12ihipStream_tbEUljE_ZNSN_ISO_Lb1ESQ_SR_ST_SU_SY_EESZ_S10_S11_S12_S16_S17_S18_S1B_S1C_jS1D_jS1E_S1E_jjS1G_bEUljE0_EEESZ_S10_S11_S18_S1C_S1E_T6_T7_T9_mT8_S1G_bDpT10_ENKUlT_T0_E_clISt17integral_constantIbLb1EES1T_IbLb0EEEEDaS1P_S1Q_EUlS1P_E_NS1_11comp_targetILNS1_3genE9ELNS1_11target_archE1100ELNS1_3gpuE3ELNS1_3repE0EEENS1_30default_config_static_selectorELNS0_4arch9wavefront6targetE0EEEvS12_.uses_flat_scratch, 0
	.set _ZN7rocprim17ROCPRIM_400000_NS6detail17trampoline_kernelINS0_13select_configILj256ELj13ELNS0_17block_load_methodE3ELS4_3ELS4_3ELNS0_20block_scan_algorithmE0ELj4294967295EEENS1_25partition_config_selectorILNS1_17partition_subalgoE4EjNS0_10empty_typeEbEEZZNS1_14partition_implILS8_4ELb0ES6_15HIP_vector_typeIjLj2EENS0_17counting_iteratorIjlEEPS9_SG_NS0_5tupleIJPjSI_NS0_16reverse_iteratorISI_EEEEENSH_IJSG_SG_SG_EEES9_SI_JZNS1_25segmented_radix_sort_implINS0_14default_configELb1EPKaPaPKlPlN2at6native12_GLOBAL__N_18offset_tEEE10hipError_tPvRmT1_PNSt15iterator_traitsIS12_E10value_typeET2_T3_PNS13_IS18_E10value_typeET4_jRbjT5_S1E_jjP12ihipStream_tbEUljE_ZNSN_ISO_Lb1ESQ_SR_ST_SU_SY_EESZ_S10_S11_S12_S16_S17_S18_S1B_S1C_jS1D_jS1E_S1E_jjS1G_bEUljE0_EEESZ_S10_S11_S18_S1C_S1E_T6_T7_T9_mT8_S1G_bDpT10_ENKUlT_T0_E_clISt17integral_constantIbLb1EES1T_IbLb0EEEEDaS1P_S1Q_EUlS1P_E_NS1_11comp_targetILNS1_3genE9ELNS1_11target_archE1100ELNS1_3gpuE3ELNS1_3repE0EEENS1_30default_config_static_selectorELNS0_4arch9wavefront6targetE0EEEvS12_.has_dyn_sized_stack, 0
	.set _ZN7rocprim17ROCPRIM_400000_NS6detail17trampoline_kernelINS0_13select_configILj256ELj13ELNS0_17block_load_methodE3ELS4_3ELS4_3ELNS0_20block_scan_algorithmE0ELj4294967295EEENS1_25partition_config_selectorILNS1_17partition_subalgoE4EjNS0_10empty_typeEbEEZZNS1_14partition_implILS8_4ELb0ES6_15HIP_vector_typeIjLj2EENS0_17counting_iteratorIjlEEPS9_SG_NS0_5tupleIJPjSI_NS0_16reverse_iteratorISI_EEEEENSH_IJSG_SG_SG_EEES9_SI_JZNS1_25segmented_radix_sort_implINS0_14default_configELb1EPKaPaPKlPlN2at6native12_GLOBAL__N_18offset_tEEE10hipError_tPvRmT1_PNSt15iterator_traitsIS12_E10value_typeET2_T3_PNS13_IS18_E10value_typeET4_jRbjT5_S1E_jjP12ihipStream_tbEUljE_ZNSN_ISO_Lb1ESQ_SR_ST_SU_SY_EESZ_S10_S11_S12_S16_S17_S18_S1B_S1C_jS1D_jS1E_S1E_jjS1G_bEUljE0_EEESZ_S10_S11_S18_S1C_S1E_T6_T7_T9_mT8_S1G_bDpT10_ENKUlT_T0_E_clISt17integral_constantIbLb1EES1T_IbLb0EEEEDaS1P_S1Q_EUlS1P_E_NS1_11comp_targetILNS1_3genE9ELNS1_11target_archE1100ELNS1_3gpuE3ELNS1_3repE0EEENS1_30default_config_static_selectorELNS0_4arch9wavefront6targetE0EEEvS12_.has_recursion, 0
	.set _ZN7rocprim17ROCPRIM_400000_NS6detail17trampoline_kernelINS0_13select_configILj256ELj13ELNS0_17block_load_methodE3ELS4_3ELS4_3ELNS0_20block_scan_algorithmE0ELj4294967295EEENS1_25partition_config_selectorILNS1_17partition_subalgoE4EjNS0_10empty_typeEbEEZZNS1_14partition_implILS8_4ELb0ES6_15HIP_vector_typeIjLj2EENS0_17counting_iteratorIjlEEPS9_SG_NS0_5tupleIJPjSI_NS0_16reverse_iteratorISI_EEEEENSH_IJSG_SG_SG_EEES9_SI_JZNS1_25segmented_radix_sort_implINS0_14default_configELb1EPKaPaPKlPlN2at6native12_GLOBAL__N_18offset_tEEE10hipError_tPvRmT1_PNSt15iterator_traitsIS12_E10value_typeET2_T3_PNS13_IS18_E10value_typeET4_jRbjT5_S1E_jjP12ihipStream_tbEUljE_ZNSN_ISO_Lb1ESQ_SR_ST_SU_SY_EESZ_S10_S11_S12_S16_S17_S18_S1B_S1C_jS1D_jS1E_S1E_jjS1G_bEUljE0_EEESZ_S10_S11_S18_S1C_S1E_T6_T7_T9_mT8_S1G_bDpT10_ENKUlT_T0_E_clISt17integral_constantIbLb1EES1T_IbLb0EEEEDaS1P_S1Q_EUlS1P_E_NS1_11comp_targetILNS1_3genE9ELNS1_11target_archE1100ELNS1_3gpuE3ELNS1_3repE0EEENS1_30default_config_static_selectorELNS0_4arch9wavefront6targetE0EEEvS12_.has_indirect_call, 0
	.section	.AMDGPU.csdata,"",@progbits
; Kernel info:
; codeLenInByte = 0
; TotalNumSgprs: 0
; NumVgprs: 0
; ScratchSize: 0
; MemoryBound: 0
; FloatMode: 240
; IeeeMode: 1
; LDSByteSize: 0 bytes/workgroup (compile time only)
; SGPRBlocks: 0
; VGPRBlocks: 0
; NumSGPRsForWavesPerEU: 1
; NumVGPRsForWavesPerEU: 1
; Occupancy: 16
; WaveLimiterHint : 0
; COMPUTE_PGM_RSRC2:SCRATCH_EN: 0
; COMPUTE_PGM_RSRC2:USER_SGPR: 2
; COMPUTE_PGM_RSRC2:TRAP_HANDLER: 0
; COMPUTE_PGM_RSRC2:TGID_X_EN: 1
; COMPUTE_PGM_RSRC2:TGID_Y_EN: 0
; COMPUTE_PGM_RSRC2:TGID_Z_EN: 0
; COMPUTE_PGM_RSRC2:TIDIG_COMP_CNT: 0
	.section	.text._ZN7rocprim17ROCPRIM_400000_NS6detail17trampoline_kernelINS0_13select_configILj256ELj13ELNS0_17block_load_methodE3ELS4_3ELS4_3ELNS0_20block_scan_algorithmE0ELj4294967295EEENS1_25partition_config_selectorILNS1_17partition_subalgoE4EjNS0_10empty_typeEbEEZZNS1_14partition_implILS8_4ELb0ES6_15HIP_vector_typeIjLj2EENS0_17counting_iteratorIjlEEPS9_SG_NS0_5tupleIJPjSI_NS0_16reverse_iteratorISI_EEEEENSH_IJSG_SG_SG_EEES9_SI_JZNS1_25segmented_radix_sort_implINS0_14default_configELb1EPKaPaPKlPlN2at6native12_GLOBAL__N_18offset_tEEE10hipError_tPvRmT1_PNSt15iterator_traitsIS12_E10value_typeET2_T3_PNS13_IS18_E10value_typeET4_jRbjT5_S1E_jjP12ihipStream_tbEUljE_ZNSN_ISO_Lb1ESQ_SR_ST_SU_SY_EESZ_S10_S11_S12_S16_S17_S18_S1B_S1C_jS1D_jS1E_S1E_jjS1G_bEUljE0_EEESZ_S10_S11_S18_S1C_S1E_T6_T7_T9_mT8_S1G_bDpT10_ENKUlT_T0_E_clISt17integral_constantIbLb1EES1T_IbLb0EEEEDaS1P_S1Q_EUlS1P_E_NS1_11comp_targetILNS1_3genE8ELNS1_11target_archE1030ELNS1_3gpuE2ELNS1_3repE0EEENS1_30default_config_static_selectorELNS0_4arch9wavefront6targetE0EEEvS12_,"axG",@progbits,_ZN7rocprim17ROCPRIM_400000_NS6detail17trampoline_kernelINS0_13select_configILj256ELj13ELNS0_17block_load_methodE3ELS4_3ELS4_3ELNS0_20block_scan_algorithmE0ELj4294967295EEENS1_25partition_config_selectorILNS1_17partition_subalgoE4EjNS0_10empty_typeEbEEZZNS1_14partition_implILS8_4ELb0ES6_15HIP_vector_typeIjLj2EENS0_17counting_iteratorIjlEEPS9_SG_NS0_5tupleIJPjSI_NS0_16reverse_iteratorISI_EEEEENSH_IJSG_SG_SG_EEES9_SI_JZNS1_25segmented_radix_sort_implINS0_14default_configELb1EPKaPaPKlPlN2at6native12_GLOBAL__N_18offset_tEEE10hipError_tPvRmT1_PNSt15iterator_traitsIS12_E10value_typeET2_T3_PNS13_IS18_E10value_typeET4_jRbjT5_S1E_jjP12ihipStream_tbEUljE_ZNSN_ISO_Lb1ESQ_SR_ST_SU_SY_EESZ_S10_S11_S12_S16_S17_S18_S1B_S1C_jS1D_jS1E_S1E_jjS1G_bEUljE0_EEESZ_S10_S11_S18_S1C_S1E_T6_T7_T9_mT8_S1G_bDpT10_ENKUlT_T0_E_clISt17integral_constantIbLb1EES1T_IbLb0EEEEDaS1P_S1Q_EUlS1P_E_NS1_11comp_targetILNS1_3genE8ELNS1_11target_archE1030ELNS1_3gpuE2ELNS1_3repE0EEENS1_30default_config_static_selectorELNS0_4arch9wavefront6targetE0EEEvS12_,comdat
	.globl	_ZN7rocprim17ROCPRIM_400000_NS6detail17trampoline_kernelINS0_13select_configILj256ELj13ELNS0_17block_load_methodE3ELS4_3ELS4_3ELNS0_20block_scan_algorithmE0ELj4294967295EEENS1_25partition_config_selectorILNS1_17partition_subalgoE4EjNS0_10empty_typeEbEEZZNS1_14partition_implILS8_4ELb0ES6_15HIP_vector_typeIjLj2EENS0_17counting_iteratorIjlEEPS9_SG_NS0_5tupleIJPjSI_NS0_16reverse_iteratorISI_EEEEENSH_IJSG_SG_SG_EEES9_SI_JZNS1_25segmented_radix_sort_implINS0_14default_configELb1EPKaPaPKlPlN2at6native12_GLOBAL__N_18offset_tEEE10hipError_tPvRmT1_PNSt15iterator_traitsIS12_E10value_typeET2_T3_PNS13_IS18_E10value_typeET4_jRbjT5_S1E_jjP12ihipStream_tbEUljE_ZNSN_ISO_Lb1ESQ_SR_ST_SU_SY_EESZ_S10_S11_S12_S16_S17_S18_S1B_S1C_jS1D_jS1E_S1E_jjS1G_bEUljE0_EEESZ_S10_S11_S18_S1C_S1E_T6_T7_T9_mT8_S1G_bDpT10_ENKUlT_T0_E_clISt17integral_constantIbLb1EES1T_IbLb0EEEEDaS1P_S1Q_EUlS1P_E_NS1_11comp_targetILNS1_3genE8ELNS1_11target_archE1030ELNS1_3gpuE2ELNS1_3repE0EEENS1_30default_config_static_selectorELNS0_4arch9wavefront6targetE0EEEvS12_ ; -- Begin function _ZN7rocprim17ROCPRIM_400000_NS6detail17trampoline_kernelINS0_13select_configILj256ELj13ELNS0_17block_load_methodE3ELS4_3ELS4_3ELNS0_20block_scan_algorithmE0ELj4294967295EEENS1_25partition_config_selectorILNS1_17partition_subalgoE4EjNS0_10empty_typeEbEEZZNS1_14partition_implILS8_4ELb0ES6_15HIP_vector_typeIjLj2EENS0_17counting_iteratorIjlEEPS9_SG_NS0_5tupleIJPjSI_NS0_16reverse_iteratorISI_EEEEENSH_IJSG_SG_SG_EEES9_SI_JZNS1_25segmented_radix_sort_implINS0_14default_configELb1EPKaPaPKlPlN2at6native12_GLOBAL__N_18offset_tEEE10hipError_tPvRmT1_PNSt15iterator_traitsIS12_E10value_typeET2_T3_PNS13_IS18_E10value_typeET4_jRbjT5_S1E_jjP12ihipStream_tbEUljE_ZNSN_ISO_Lb1ESQ_SR_ST_SU_SY_EESZ_S10_S11_S12_S16_S17_S18_S1B_S1C_jS1D_jS1E_S1E_jjS1G_bEUljE0_EEESZ_S10_S11_S18_S1C_S1E_T6_T7_T9_mT8_S1G_bDpT10_ENKUlT_T0_E_clISt17integral_constantIbLb1EES1T_IbLb0EEEEDaS1P_S1Q_EUlS1P_E_NS1_11comp_targetILNS1_3genE8ELNS1_11target_archE1030ELNS1_3gpuE2ELNS1_3repE0EEENS1_30default_config_static_selectorELNS0_4arch9wavefront6targetE0EEEvS12_
	.p2align	8
	.type	_ZN7rocprim17ROCPRIM_400000_NS6detail17trampoline_kernelINS0_13select_configILj256ELj13ELNS0_17block_load_methodE3ELS4_3ELS4_3ELNS0_20block_scan_algorithmE0ELj4294967295EEENS1_25partition_config_selectorILNS1_17partition_subalgoE4EjNS0_10empty_typeEbEEZZNS1_14partition_implILS8_4ELb0ES6_15HIP_vector_typeIjLj2EENS0_17counting_iteratorIjlEEPS9_SG_NS0_5tupleIJPjSI_NS0_16reverse_iteratorISI_EEEEENSH_IJSG_SG_SG_EEES9_SI_JZNS1_25segmented_radix_sort_implINS0_14default_configELb1EPKaPaPKlPlN2at6native12_GLOBAL__N_18offset_tEEE10hipError_tPvRmT1_PNSt15iterator_traitsIS12_E10value_typeET2_T3_PNS13_IS18_E10value_typeET4_jRbjT5_S1E_jjP12ihipStream_tbEUljE_ZNSN_ISO_Lb1ESQ_SR_ST_SU_SY_EESZ_S10_S11_S12_S16_S17_S18_S1B_S1C_jS1D_jS1E_S1E_jjS1G_bEUljE0_EEESZ_S10_S11_S18_S1C_S1E_T6_T7_T9_mT8_S1G_bDpT10_ENKUlT_T0_E_clISt17integral_constantIbLb1EES1T_IbLb0EEEEDaS1P_S1Q_EUlS1P_E_NS1_11comp_targetILNS1_3genE8ELNS1_11target_archE1030ELNS1_3gpuE2ELNS1_3repE0EEENS1_30default_config_static_selectorELNS0_4arch9wavefront6targetE0EEEvS12_,@function
_ZN7rocprim17ROCPRIM_400000_NS6detail17trampoline_kernelINS0_13select_configILj256ELj13ELNS0_17block_load_methodE3ELS4_3ELS4_3ELNS0_20block_scan_algorithmE0ELj4294967295EEENS1_25partition_config_selectorILNS1_17partition_subalgoE4EjNS0_10empty_typeEbEEZZNS1_14partition_implILS8_4ELb0ES6_15HIP_vector_typeIjLj2EENS0_17counting_iteratorIjlEEPS9_SG_NS0_5tupleIJPjSI_NS0_16reverse_iteratorISI_EEEEENSH_IJSG_SG_SG_EEES9_SI_JZNS1_25segmented_radix_sort_implINS0_14default_configELb1EPKaPaPKlPlN2at6native12_GLOBAL__N_18offset_tEEE10hipError_tPvRmT1_PNSt15iterator_traitsIS12_E10value_typeET2_T3_PNS13_IS18_E10value_typeET4_jRbjT5_S1E_jjP12ihipStream_tbEUljE_ZNSN_ISO_Lb1ESQ_SR_ST_SU_SY_EESZ_S10_S11_S12_S16_S17_S18_S1B_S1C_jS1D_jS1E_S1E_jjS1G_bEUljE0_EEESZ_S10_S11_S18_S1C_S1E_T6_T7_T9_mT8_S1G_bDpT10_ENKUlT_T0_E_clISt17integral_constantIbLb1EES1T_IbLb0EEEEDaS1P_S1Q_EUlS1P_E_NS1_11comp_targetILNS1_3genE8ELNS1_11target_archE1030ELNS1_3gpuE2ELNS1_3repE0EEENS1_30default_config_static_selectorELNS0_4arch9wavefront6targetE0EEEvS12_: ; @_ZN7rocprim17ROCPRIM_400000_NS6detail17trampoline_kernelINS0_13select_configILj256ELj13ELNS0_17block_load_methodE3ELS4_3ELS4_3ELNS0_20block_scan_algorithmE0ELj4294967295EEENS1_25partition_config_selectorILNS1_17partition_subalgoE4EjNS0_10empty_typeEbEEZZNS1_14partition_implILS8_4ELb0ES6_15HIP_vector_typeIjLj2EENS0_17counting_iteratorIjlEEPS9_SG_NS0_5tupleIJPjSI_NS0_16reverse_iteratorISI_EEEEENSH_IJSG_SG_SG_EEES9_SI_JZNS1_25segmented_radix_sort_implINS0_14default_configELb1EPKaPaPKlPlN2at6native12_GLOBAL__N_18offset_tEEE10hipError_tPvRmT1_PNSt15iterator_traitsIS12_E10value_typeET2_T3_PNS13_IS18_E10value_typeET4_jRbjT5_S1E_jjP12ihipStream_tbEUljE_ZNSN_ISO_Lb1ESQ_SR_ST_SU_SY_EESZ_S10_S11_S12_S16_S17_S18_S1B_S1C_jS1D_jS1E_S1E_jjS1G_bEUljE0_EEESZ_S10_S11_S18_S1C_S1E_T6_T7_T9_mT8_S1G_bDpT10_ENKUlT_T0_E_clISt17integral_constantIbLb1EES1T_IbLb0EEEEDaS1P_S1Q_EUlS1P_E_NS1_11comp_targetILNS1_3genE8ELNS1_11target_archE1030ELNS1_3gpuE2ELNS1_3repE0EEENS1_30default_config_static_selectorELNS0_4arch9wavefront6targetE0EEEvS12_
; %bb.0:
	.section	.rodata,"a",@progbits
	.p2align	6, 0x0
	.amdhsa_kernel _ZN7rocprim17ROCPRIM_400000_NS6detail17trampoline_kernelINS0_13select_configILj256ELj13ELNS0_17block_load_methodE3ELS4_3ELS4_3ELNS0_20block_scan_algorithmE0ELj4294967295EEENS1_25partition_config_selectorILNS1_17partition_subalgoE4EjNS0_10empty_typeEbEEZZNS1_14partition_implILS8_4ELb0ES6_15HIP_vector_typeIjLj2EENS0_17counting_iteratorIjlEEPS9_SG_NS0_5tupleIJPjSI_NS0_16reverse_iteratorISI_EEEEENSH_IJSG_SG_SG_EEES9_SI_JZNS1_25segmented_radix_sort_implINS0_14default_configELb1EPKaPaPKlPlN2at6native12_GLOBAL__N_18offset_tEEE10hipError_tPvRmT1_PNSt15iterator_traitsIS12_E10value_typeET2_T3_PNS13_IS18_E10value_typeET4_jRbjT5_S1E_jjP12ihipStream_tbEUljE_ZNSN_ISO_Lb1ESQ_SR_ST_SU_SY_EESZ_S10_S11_S12_S16_S17_S18_S1B_S1C_jS1D_jS1E_S1E_jjS1G_bEUljE0_EEESZ_S10_S11_S18_S1C_S1E_T6_T7_T9_mT8_S1G_bDpT10_ENKUlT_T0_E_clISt17integral_constantIbLb1EES1T_IbLb0EEEEDaS1P_S1Q_EUlS1P_E_NS1_11comp_targetILNS1_3genE8ELNS1_11target_archE1030ELNS1_3gpuE2ELNS1_3repE0EEENS1_30default_config_static_selectorELNS0_4arch9wavefront6targetE0EEEvS12_
		.amdhsa_group_segment_fixed_size 0
		.amdhsa_private_segment_fixed_size 0
		.amdhsa_kernarg_size 176
		.amdhsa_user_sgpr_count 2
		.amdhsa_user_sgpr_dispatch_ptr 0
		.amdhsa_user_sgpr_queue_ptr 0
		.amdhsa_user_sgpr_kernarg_segment_ptr 1
		.amdhsa_user_sgpr_dispatch_id 0
		.amdhsa_user_sgpr_private_segment_size 0
		.amdhsa_wavefront_size32 1
		.amdhsa_uses_dynamic_stack 0
		.amdhsa_enable_private_segment 0
		.amdhsa_system_sgpr_workgroup_id_x 1
		.amdhsa_system_sgpr_workgroup_id_y 0
		.amdhsa_system_sgpr_workgroup_id_z 0
		.amdhsa_system_sgpr_workgroup_info 0
		.amdhsa_system_vgpr_workitem_id 0
		.amdhsa_next_free_vgpr 1
		.amdhsa_next_free_sgpr 1
		.amdhsa_reserve_vcc 0
		.amdhsa_float_round_mode_32 0
		.amdhsa_float_round_mode_16_64 0
		.amdhsa_float_denorm_mode_32 3
		.amdhsa_float_denorm_mode_16_64 3
		.amdhsa_fp16_overflow 0
		.amdhsa_workgroup_processor_mode 1
		.amdhsa_memory_ordered 1
		.amdhsa_forward_progress 1
		.amdhsa_inst_pref_size 0
		.amdhsa_round_robin_scheduling 0
		.amdhsa_exception_fp_ieee_invalid_op 0
		.amdhsa_exception_fp_denorm_src 0
		.amdhsa_exception_fp_ieee_div_zero 0
		.amdhsa_exception_fp_ieee_overflow 0
		.amdhsa_exception_fp_ieee_underflow 0
		.amdhsa_exception_fp_ieee_inexact 0
		.amdhsa_exception_int_div_zero 0
	.end_amdhsa_kernel
	.section	.text._ZN7rocprim17ROCPRIM_400000_NS6detail17trampoline_kernelINS0_13select_configILj256ELj13ELNS0_17block_load_methodE3ELS4_3ELS4_3ELNS0_20block_scan_algorithmE0ELj4294967295EEENS1_25partition_config_selectorILNS1_17partition_subalgoE4EjNS0_10empty_typeEbEEZZNS1_14partition_implILS8_4ELb0ES6_15HIP_vector_typeIjLj2EENS0_17counting_iteratorIjlEEPS9_SG_NS0_5tupleIJPjSI_NS0_16reverse_iteratorISI_EEEEENSH_IJSG_SG_SG_EEES9_SI_JZNS1_25segmented_radix_sort_implINS0_14default_configELb1EPKaPaPKlPlN2at6native12_GLOBAL__N_18offset_tEEE10hipError_tPvRmT1_PNSt15iterator_traitsIS12_E10value_typeET2_T3_PNS13_IS18_E10value_typeET4_jRbjT5_S1E_jjP12ihipStream_tbEUljE_ZNSN_ISO_Lb1ESQ_SR_ST_SU_SY_EESZ_S10_S11_S12_S16_S17_S18_S1B_S1C_jS1D_jS1E_S1E_jjS1G_bEUljE0_EEESZ_S10_S11_S18_S1C_S1E_T6_T7_T9_mT8_S1G_bDpT10_ENKUlT_T0_E_clISt17integral_constantIbLb1EES1T_IbLb0EEEEDaS1P_S1Q_EUlS1P_E_NS1_11comp_targetILNS1_3genE8ELNS1_11target_archE1030ELNS1_3gpuE2ELNS1_3repE0EEENS1_30default_config_static_selectorELNS0_4arch9wavefront6targetE0EEEvS12_,"axG",@progbits,_ZN7rocprim17ROCPRIM_400000_NS6detail17trampoline_kernelINS0_13select_configILj256ELj13ELNS0_17block_load_methodE3ELS4_3ELS4_3ELNS0_20block_scan_algorithmE0ELj4294967295EEENS1_25partition_config_selectorILNS1_17partition_subalgoE4EjNS0_10empty_typeEbEEZZNS1_14partition_implILS8_4ELb0ES6_15HIP_vector_typeIjLj2EENS0_17counting_iteratorIjlEEPS9_SG_NS0_5tupleIJPjSI_NS0_16reverse_iteratorISI_EEEEENSH_IJSG_SG_SG_EEES9_SI_JZNS1_25segmented_radix_sort_implINS0_14default_configELb1EPKaPaPKlPlN2at6native12_GLOBAL__N_18offset_tEEE10hipError_tPvRmT1_PNSt15iterator_traitsIS12_E10value_typeET2_T3_PNS13_IS18_E10value_typeET4_jRbjT5_S1E_jjP12ihipStream_tbEUljE_ZNSN_ISO_Lb1ESQ_SR_ST_SU_SY_EESZ_S10_S11_S12_S16_S17_S18_S1B_S1C_jS1D_jS1E_S1E_jjS1G_bEUljE0_EEESZ_S10_S11_S18_S1C_S1E_T6_T7_T9_mT8_S1G_bDpT10_ENKUlT_T0_E_clISt17integral_constantIbLb1EES1T_IbLb0EEEEDaS1P_S1Q_EUlS1P_E_NS1_11comp_targetILNS1_3genE8ELNS1_11target_archE1030ELNS1_3gpuE2ELNS1_3repE0EEENS1_30default_config_static_selectorELNS0_4arch9wavefront6targetE0EEEvS12_,comdat
.Lfunc_end249:
	.size	_ZN7rocprim17ROCPRIM_400000_NS6detail17trampoline_kernelINS0_13select_configILj256ELj13ELNS0_17block_load_methodE3ELS4_3ELS4_3ELNS0_20block_scan_algorithmE0ELj4294967295EEENS1_25partition_config_selectorILNS1_17partition_subalgoE4EjNS0_10empty_typeEbEEZZNS1_14partition_implILS8_4ELb0ES6_15HIP_vector_typeIjLj2EENS0_17counting_iteratorIjlEEPS9_SG_NS0_5tupleIJPjSI_NS0_16reverse_iteratorISI_EEEEENSH_IJSG_SG_SG_EEES9_SI_JZNS1_25segmented_radix_sort_implINS0_14default_configELb1EPKaPaPKlPlN2at6native12_GLOBAL__N_18offset_tEEE10hipError_tPvRmT1_PNSt15iterator_traitsIS12_E10value_typeET2_T3_PNS13_IS18_E10value_typeET4_jRbjT5_S1E_jjP12ihipStream_tbEUljE_ZNSN_ISO_Lb1ESQ_SR_ST_SU_SY_EESZ_S10_S11_S12_S16_S17_S18_S1B_S1C_jS1D_jS1E_S1E_jjS1G_bEUljE0_EEESZ_S10_S11_S18_S1C_S1E_T6_T7_T9_mT8_S1G_bDpT10_ENKUlT_T0_E_clISt17integral_constantIbLb1EES1T_IbLb0EEEEDaS1P_S1Q_EUlS1P_E_NS1_11comp_targetILNS1_3genE8ELNS1_11target_archE1030ELNS1_3gpuE2ELNS1_3repE0EEENS1_30default_config_static_selectorELNS0_4arch9wavefront6targetE0EEEvS12_, .Lfunc_end249-_ZN7rocprim17ROCPRIM_400000_NS6detail17trampoline_kernelINS0_13select_configILj256ELj13ELNS0_17block_load_methodE3ELS4_3ELS4_3ELNS0_20block_scan_algorithmE0ELj4294967295EEENS1_25partition_config_selectorILNS1_17partition_subalgoE4EjNS0_10empty_typeEbEEZZNS1_14partition_implILS8_4ELb0ES6_15HIP_vector_typeIjLj2EENS0_17counting_iteratorIjlEEPS9_SG_NS0_5tupleIJPjSI_NS0_16reverse_iteratorISI_EEEEENSH_IJSG_SG_SG_EEES9_SI_JZNS1_25segmented_radix_sort_implINS0_14default_configELb1EPKaPaPKlPlN2at6native12_GLOBAL__N_18offset_tEEE10hipError_tPvRmT1_PNSt15iterator_traitsIS12_E10value_typeET2_T3_PNS13_IS18_E10value_typeET4_jRbjT5_S1E_jjP12ihipStream_tbEUljE_ZNSN_ISO_Lb1ESQ_SR_ST_SU_SY_EESZ_S10_S11_S12_S16_S17_S18_S1B_S1C_jS1D_jS1E_S1E_jjS1G_bEUljE0_EEESZ_S10_S11_S18_S1C_S1E_T6_T7_T9_mT8_S1G_bDpT10_ENKUlT_T0_E_clISt17integral_constantIbLb1EES1T_IbLb0EEEEDaS1P_S1Q_EUlS1P_E_NS1_11comp_targetILNS1_3genE8ELNS1_11target_archE1030ELNS1_3gpuE2ELNS1_3repE0EEENS1_30default_config_static_selectorELNS0_4arch9wavefront6targetE0EEEvS12_
                                        ; -- End function
	.set _ZN7rocprim17ROCPRIM_400000_NS6detail17trampoline_kernelINS0_13select_configILj256ELj13ELNS0_17block_load_methodE3ELS4_3ELS4_3ELNS0_20block_scan_algorithmE0ELj4294967295EEENS1_25partition_config_selectorILNS1_17partition_subalgoE4EjNS0_10empty_typeEbEEZZNS1_14partition_implILS8_4ELb0ES6_15HIP_vector_typeIjLj2EENS0_17counting_iteratorIjlEEPS9_SG_NS0_5tupleIJPjSI_NS0_16reverse_iteratorISI_EEEEENSH_IJSG_SG_SG_EEES9_SI_JZNS1_25segmented_radix_sort_implINS0_14default_configELb1EPKaPaPKlPlN2at6native12_GLOBAL__N_18offset_tEEE10hipError_tPvRmT1_PNSt15iterator_traitsIS12_E10value_typeET2_T3_PNS13_IS18_E10value_typeET4_jRbjT5_S1E_jjP12ihipStream_tbEUljE_ZNSN_ISO_Lb1ESQ_SR_ST_SU_SY_EESZ_S10_S11_S12_S16_S17_S18_S1B_S1C_jS1D_jS1E_S1E_jjS1G_bEUljE0_EEESZ_S10_S11_S18_S1C_S1E_T6_T7_T9_mT8_S1G_bDpT10_ENKUlT_T0_E_clISt17integral_constantIbLb1EES1T_IbLb0EEEEDaS1P_S1Q_EUlS1P_E_NS1_11comp_targetILNS1_3genE8ELNS1_11target_archE1030ELNS1_3gpuE2ELNS1_3repE0EEENS1_30default_config_static_selectorELNS0_4arch9wavefront6targetE0EEEvS12_.num_vgpr, 0
	.set _ZN7rocprim17ROCPRIM_400000_NS6detail17trampoline_kernelINS0_13select_configILj256ELj13ELNS0_17block_load_methodE3ELS4_3ELS4_3ELNS0_20block_scan_algorithmE0ELj4294967295EEENS1_25partition_config_selectorILNS1_17partition_subalgoE4EjNS0_10empty_typeEbEEZZNS1_14partition_implILS8_4ELb0ES6_15HIP_vector_typeIjLj2EENS0_17counting_iteratorIjlEEPS9_SG_NS0_5tupleIJPjSI_NS0_16reverse_iteratorISI_EEEEENSH_IJSG_SG_SG_EEES9_SI_JZNS1_25segmented_radix_sort_implINS0_14default_configELb1EPKaPaPKlPlN2at6native12_GLOBAL__N_18offset_tEEE10hipError_tPvRmT1_PNSt15iterator_traitsIS12_E10value_typeET2_T3_PNS13_IS18_E10value_typeET4_jRbjT5_S1E_jjP12ihipStream_tbEUljE_ZNSN_ISO_Lb1ESQ_SR_ST_SU_SY_EESZ_S10_S11_S12_S16_S17_S18_S1B_S1C_jS1D_jS1E_S1E_jjS1G_bEUljE0_EEESZ_S10_S11_S18_S1C_S1E_T6_T7_T9_mT8_S1G_bDpT10_ENKUlT_T0_E_clISt17integral_constantIbLb1EES1T_IbLb0EEEEDaS1P_S1Q_EUlS1P_E_NS1_11comp_targetILNS1_3genE8ELNS1_11target_archE1030ELNS1_3gpuE2ELNS1_3repE0EEENS1_30default_config_static_selectorELNS0_4arch9wavefront6targetE0EEEvS12_.num_agpr, 0
	.set _ZN7rocprim17ROCPRIM_400000_NS6detail17trampoline_kernelINS0_13select_configILj256ELj13ELNS0_17block_load_methodE3ELS4_3ELS4_3ELNS0_20block_scan_algorithmE0ELj4294967295EEENS1_25partition_config_selectorILNS1_17partition_subalgoE4EjNS0_10empty_typeEbEEZZNS1_14partition_implILS8_4ELb0ES6_15HIP_vector_typeIjLj2EENS0_17counting_iteratorIjlEEPS9_SG_NS0_5tupleIJPjSI_NS0_16reverse_iteratorISI_EEEEENSH_IJSG_SG_SG_EEES9_SI_JZNS1_25segmented_radix_sort_implINS0_14default_configELb1EPKaPaPKlPlN2at6native12_GLOBAL__N_18offset_tEEE10hipError_tPvRmT1_PNSt15iterator_traitsIS12_E10value_typeET2_T3_PNS13_IS18_E10value_typeET4_jRbjT5_S1E_jjP12ihipStream_tbEUljE_ZNSN_ISO_Lb1ESQ_SR_ST_SU_SY_EESZ_S10_S11_S12_S16_S17_S18_S1B_S1C_jS1D_jS1E_S1E_jjS1G_bEUljE0_EEESZ_S10_S11_S18_S1C_S1E_T6_T7_T9_mT8_S1G_bDpT10_ENKUlT_T0_E_clISt17integral_constantIbLb1EES1T_IbLb0EEEEDaS1P_S1Q_EUlS1P_E_NS1_11comp_targetILNS1_3genE8ELNS1_11target_archE1030ELNS1_3gpuE2ELNS1_3repE0EEENS1_30default_config_static_selectorELNS0_4arch9wavefront6targetE0EEEvS12_.numbered_sgpr, 0
	.set _ZN7rocprim17ROCPRIM_400000_NS6detail17trampoline_kernelINS0_13select_configILj256ELj13ELNS0_17block_load_methodE3ELS4_3ELS4_3ELNS0_20block_scan_algorithmE0ELj4294967295EEENS1_25partition_config_selectorILNS1_17partition_subalgoE4EjNS0_10empty_typeEbEEZZNS1_14partition_implILS8_4ELb0ES6_15HIP_vector_typeIjLj2EENS0_17counting_iteratorIjlEEPS9_SG_NS0_5tupleIJPjSI_NS0_16reverse_iteratorISI_EEEEENSH_IJSG_SG_SG_EEES9_SI_JZNS1_25segmented_radix_sort_implINS0_14default_configELb1EPKaPaPKlPlN2at6native12_GLOBAL__N_18offset_tEEE10hipError_tPvRmT1_PNSt15iterator_traitsIS12_E10value_typeET2_T3_PNS13_IS18_E10value_typeET4_jRbjT5_S1E_jjP12ihipStream_tbEUljE_ZNSN_ISO_Lb1ESQ_SR_ST_SU_SY_EESZ_S10_S11_S12_S16_S17_S18_S1B_S1C_jS1D_jS1E_S1E_jjS1G_bEUljE0_EEESZ_S10_S11_S18_S1C_S1E_T6_T7_T9_mT8_S1G_bDpT10_ENKUlT_T0_E_clISt17integral_constantIbLb1EES1T_IbLb0EEEEDaS1P_S1Q_EUlS1P_E_NS1_11comp_targetILNS1_3genE8ELNS1_11target_archE1030ELNS1_3gpuE2ELNS1_3repE0EEENS1_30default_config_static_selectorELNS0_4arch9wavefront6targetE0EEEvS12_.num_named_barrier, 0
	.set _ZN7rocprim17ROCPRIM_400000_NS6detail17trampoline_kernelINS0_13select_configILj256ELj13ELNS0_17block_load_methodE3ELS4_3ELS4_3ELNS0_20block_scan_algorithmE0ELj4294967295EEENS1_25partition_config_selectorILNS1_17partition_subalgoE4EjNS0_10empty_typeEbEEZZNS1_14partition_implILS8_4ELb0ES6_15HIP_vector_typeIjLj2EENS0_17counting_iteratorIjlEEPS9_SG_NS0_5tupleIJPjSI_NS0_16reverse_iteratorISI_EEEEENSH_IJSG_SG_SG_EEES9_SI_JZNS1_25segmented_radix_sort_implINS0_14default_configELb1EPKaPaPKlPlN2at6native12_GLOBAL__N_18offset_tEEE10hipError_tPvRmT1_PNSt15iterator_traitsIS12_E10value_typeET2_T3_PNS13_IS18_E10value_typeET4_jRbjT5_S1E_jjP12ihipStream_tbEUljE_ZNSN_ISO_Lb1ESQ_SR_ST_SU_SY_EESZ_S10_S11_S12_S16_S17_S18_S1B_S1C_jS1D_jS1E_S1E_jjS1G_bEUljE0_EEESZ_S10_S11_S18_S1C_S1E_T6_T7_T9_mT8_S1G_bDpT10_ENKUlT_T0_E_clISt17integral_constantIbLb1EES1T_IbLb0EEEEDaS1P_S1Q_EUlS1P_E_NS1_11comp_targetILNS1_3genE8ELNS1_11target_archE1030ELNS1_3gpuE2ELNS1_3repE0EEENS1_30default_config_static_selectorELNS0_4arch9wavefront6targetE0EEEvS12_.private_seg_size, 0
	.set _ZN7rocprim17ROCPRIM_400000_NS6detail17trampoline_kernelINS0_13select_configILj256ELj13ELNS0_17block_load_methodE3ELS4_3ELS4_3ELNS0_20block_scan_algorithmE0ELj4294967295EEENS1_25partition_config_selectorILNS1_17partition_subalgoE4EjNS0_10empty_typeEbEEZZNS1_14partition_implILS8_4ELb0ES6_15HIP_vector_typeIjLj2EENS0_17counting_iteratorIjlEEPS9_SG_NS0_5tupleIJPjSI_NS0_16reverse_iteratorISI_EEEEENSH_IJSG_SG_SG_EEES9_SI_JZNS1_25segmented_radix_sort_implINS0_14default_configELb1EPKaPaPKlPlN2at6native12_GLOBAL__N_18offset_tEEE10hipError_tPvRmT1_PNSt15iterator_traitsIS12_E10value_typeET2_T3_PNS13_IS18_E10value_typeET4_jRbjT5_S1E_jjP12ihipStream_tbEUljE_ZNSN_ISO_Lb1ESQ_SR_ST_SU_SY_EESZ_S10_S11_S12_S16_S17_S18_S1B_S1C_jS1D_jS1E_S1E_jjS1G_bEUljE0_EEESZ_S10_S11_S18_S1C_S1E_T6_T7_T9_mT8_S1G_bDpT10_ENKUlT_T0_E_clISt17integral_constantIbLb1EES1T_IbLb0EEEEDaS1P_S1Q_EUlS1P_E_NS1_11comp_targetILNS1_3genE8ELNS1_11target_archE1030ELNS1_3gpuE2ELNS1_3repE0EEENS1_30default_config_static_selectorELNS0_4arch9wavefront6targetE0EEEvS12_.uses_vcc, 0
	.set _ZN7rocprim17ROCPRIM_400000_NS6detail17trampoline_kernelINS0_13select_configILj256ELj13ELNS0_17block_load_methodE3ELS4_3ELS4_3ELNS0_20block_scan_algorithmE0ELj4294967295EEENS1_25partition_config_selectorILNS1_17partition_subalgoE4EjNS0_10empty_typeEbEEZZNS1_14partition_implILS8_4ELb0ES6_15HIP_vector_typeIjLj2EENS0_17counting_iteratorIjlEEPS9_SG_NS0_5tupleIJPjSI_NS0_16reverse_iteratorISI_EEEEENSH_IJSG_SG_SG_EEES9_SI_JZNS1_25segmented_radix_sort_implINS0_14default_configELb1EPKaPaPKlPlN2at6native12_GLOBAL__N_18offset_tEEE10hipError_tPvRmT1_PNSt15iterator_traitsIS12_E10value_typeET2_T3_PNS13_IS18_E10value_typeET4_jRbjT5_S1E_jjP12ihipStream_tbEUljE_ZNSN_ISO_Lb1ESQ_SR_ST_SU_SY_EESZ_S10_S11_S12_S16_S17_S18_S1B_S1C_jS1D_jS1E_S1E_jjS1G_bEUljE0_EEESZ_S10_S11_S18_S1C_S1E_T6_T7_T9_mT8_S1G_bDpT10_ENKUlT_T0_E_clISt17integral_constantIbLb1EES1T_IbLb0EEEEDaS1P_S1Q_EUlS1P_E_NS1_11comp_targetILNS1_3genE8ELNS1_11target_archE1030ELNS1_3gpuE2ELNS1_3repE0EEENS1_30default_config_static_selectorELNS0_4arch9wavefront6targetE0EEEvS12_.uses_flat_scratch, 0
	.set _ZN7rocprim17ROCPRIM_400000_NS6detail17trampoline_kernelINS0_13select_configILj256ELj13ELNS0_17block_load_methodE3ELS4_3ELS4_3ELNS0_20block_scan_algorithmE0ELj4294967295EEENS1_25partition_config_selectorILNS1_17partition_subalgoE4EjNS0_10empty_typeEbEEZZNS1_14partition_implILS8_4ELb0ES6_15HIP_vector_typeIjLj2EENS0_17counting_iteratorIjlEEPS9_SG_NS0_5tupleIJPjSI_NS0_16reverse_iteratorISI_EEEEENSH_IJSG_SG_SG_EEES9_SI_JZNS1_25segmented_radix_sort_implINS0_14default_configELb1EPKaPaPKlPlN2at6native12_GLOBAL__N_18offset_tEEE10hipError_tPvRmT1_PNSt15iterator_traitsIS12_E10value_typeET2_T3_PNS13_IS18_E10value_typeET4_jRbjT5_S1E_jjP12ihipStream_tbEUljE_ZNSN_ISO_Lb1ESQ_SR_ST_SU_SY_EESZ_S10_S11_S12_S16_S17_S18_S1B_S1C_jS1D_jS1E_S1E_jjS1G_bEUljE0_EEESZ_S10_S11_S18_S1C_S1E_T6_T7_T9_mT8_S1G_bDpT10_ENKUlT_T0_E_clISt17integral_constantIbLb1EES1T_IbLb0EEEEDaS1P_S1Q_EUlS1P_E_NS1_11comp_targetILNS1_3genE8ELNS1_11target_archE1030ELNS1_3gpuE2ELNS1_3repE0EEENS1_30default_config_static_selectorELNS0_4arch9wavefront6targetE0EEEvS12_.has_dyn_sized_stack, 0
	.set _ZN7rocprim17ROCPRIM_400000_NS6detail17trampoline_kernelINS0_13select_configILj256ELj13ELNS0_17block_load_methodE3ELS4_3ELS4_3ELNS0_20block_scan_algorithmE0ELj4294967295EEENS1_25partition_config_selectorILNS1_17partition_subalgoE4EjNS0_10empty_typeEbEEZZNS1_14partition_implILS8_4ELb0ES6_15HIP_vector_typeIjLj2EENS0_17counting_iteratorIjlEEPS9_SG_NS0_5tupleIJPjSI_NS0_16reverse_iteratorISI_EEEEENSH_IJSG_SG_SG_EEES9_SI_JZNS1_25segmented_radix_sort_implINS0_14default_configELb1EPKaPaPKlPlN2at6native12_GLOBAL__N_18offset_tEEE10hipError_tPvRmT1_PNSt15iterator_traitsIS12_E10value_typeET2_T3_PNS13_IS18_E10value_typeET4_jRbjT5_S1E_jjP12ihipStream_tbEUljE_ZNSN_ISO_Lb1ESQ_SR_ST_SU_SY_EESZ_S10_S11_S12_S16_S17_S18_S1B_S1C_jS1D_jS1E_S1E_jjS1G_bEUljE0_EEESZ_S10_S11_S18_S1C_S1E_T6_T7_T9_mT8_S1G_bDpT10_ENKUlT_T0_E_clISt17integral_constantIbLb1EES1T_IbLb0EEEEDaS1P_S1Q_EUlS1P_E_NS1_11comp_targetILNS1_3genE8ELNS1_11target_archE1030ELNS1_3gpuE2ELNS1_3repE0EEENS1_30default_config_static_selectorELNS0_4arch9wavefront6targetE0EEEvS12_.has_recursion, 0
	.set _ZN7rocprim17ROCPRIM_400000_NS6detail17trampoline_kernelINS0_13select_configILj256ELj13ELNS0_17block_load_methodE3ELS4_3ELS4_3ELNS0_20block_scan_algorithmE0ELj4294967295EEENS1_25partition_config_selectorILNS1_17partition_subalgoE4EjNS0_10empty_typeEbEEZZNS1_14partition_implILS8_4ELb0ES6_15HIP_vector_typeIjLj2EENS0_17counting_iteratorIjlEEPS9_SG_NS0_5tupleIJPjSI_NS0_16reverse_iteratorISI_EEEEENSH_IJSG_SG_SG_EEES9_SI_JZNS1_25segmented_radix_sort_implINS0_14default_configELb1EPKaPaPKlPlN2at6native12_GLOBAL__N_18offset_tEEE10hipError_tPvRmT1_PNSt15iterator_traitsIS12_E10value_typeET2_T3_PNS13_IS18_E10value_typeET4_jRbjT5_S1E_jjP12ihipStream_tbEUljE_ZNSN_ISO_Lb1ESQ_SR_ST_SU_SY_EESZ_S10_S11_S12_S16_S17_S18_S1B_S1C_jS1D_jS1E_S1E_jjS1G_bEUljE0_EEESZ_S10_S11_S18_S1C_S1E_T6_T7_T9_mT8_S1G_bDpT10_ENKUlT_T0_E_clISt17integral_constantIbLb1EES1T_IbLb0EEEEDaS1P_S1Q_EUlS1P_E_NS1_11comp_targetILNS1_3genE8ELNS1_11target_archE1030ELNS1_3gpuE2ELNS1_3repE0EEENS1_30default_config_static_selectorELNS0_4arch9wavefront6targetE0EEEvS12_.has_indirect_call, 0
	.section	.AMDGPU.csdata,"",@progbits
; Kernel info:
; codeLenInByte = 0
; TotalNumSgprs: 0
; NumVgprs: 0
; ScratchSize: 0
; MemoryBound: 0
; FloatMode: 240
; IeeeMode: 1
; LDSByteSize: 0 bytes/workgroup (compile time only)
; SGPRBlocks: 0
; VGPRBlocks: 0
; NumSGPRsForWavesPerEU: 1
; NumVGPRsForWavesPerEU: 1
; Occupancy: 16
; WaveLimiterHint : 0
; COMPUTE_PGM_RSRC2:SCRATCH_EN: 0
; COMPUTE_PGM_RSRC2:USER_SGPR: 2
; COMPUTE_PGM_RSRC2:TRAP_HANDLER: 0
; COMPUTE_PGM_RSRC2:TGID_X_EN: 1
; COMPUTE_PGM_RSRC2:TGID_Y_EN: 0
; COMPUTE_PGM_RSRC2:TGID_Z_EN: 0
; COMPUTE_PGM_RSRC2:TIDIG_COMP_CNT: 0
	.section	.text._ZN7rocprim17ROCPRIM_400000_NS6detail17trampoline_kernelINS0_13select_configILj256ELj13ELNS0_17block_load_methodE3ELS4_3ELS4_3ELNS0_20block_scan_algorithmE0ELj4294967295EEENS1_25partition_config_selectorILNS1_17partition_subalgoE4EjNS0_10empty_typeEbEEZZNS1_14partition_implILS8_4ELb0ES6_15HIP_vector_typeIjLj2EENS0_17counting_iteratorIjlEEPS9_SG_NS0_5tupleIJPjSI_NS0_16reverse_iteratorISI_EEEEENSH_IJSG_SG_SG_EEES9_SI_JZNS1_25segmented_radix_sort_implINS0_14default_configELb1EPKaPaPKlPlN2at6native12_GLOBAL__N_18offset_tEEE10hipError_tPvRmT1_PNSt15iterator_traitsIS12_E10value_typeET2_T3_PNS13_IS18_E10value_typeET4_jRbjT5_S1E_jjP12ihipStream_tbEUljE_ZNSN_ISO_Lb1ESQ_SR_ST_SU_SY_EESZ_S10_S11_S12_S16_S17_S18_S1B_S1C_jS1D_jS1E_S1E_jjS1G_bEUljE0_EEESZ_S10_S11_S18_S1C_S1E_T6_T7_T9_mT8_S1G_bDpT10_ENKUlT_T0_E_clISt17integral_constantIbLb0EES1T_IbLb1EEEEDaS1P_S1Q_EUlS1P_E_NS1_11comp_targetILNS1_3genE0ELNS1_11target_archE4294967295ELNS1_3gpuE0ELNS1_3repE0EEENS1_30default_config_static_selectorELNS0_4arch9wavefront6targetE0EEEvS12_,"axG",@progbits,_ZN7rocprim17ROCPRIM_400000_NS6detail17trampoline_kernelINS0_13select_configILj256ELj13ELNS0_17block_load_methodE3ELS4_3ELS4_3ELNS0_20block_scan_algorithmE0ELj4294967295EEENS1_25partition_config_selectorILNS1_17partition_subalgoE4EjNS0_10empty_typeEbEEZZNS1_14partition_implILS8_4ELb0ES6_15HIP_vector_typeIjLj2EENS0_17counting_iteratorIjlEEPS9_SG_NS0_5tupleIJPjSI_NS0_16reverse_iteratorISI_EEEEENSH_IJSG_SG_SG_EEES9_SI_JZNS1_25segmented_radix_sort_implINS0_14default_configELb1EPKaPaPKlPlN2at6native12_GLOBAL__N_18offset_tEEE10hipError_tPvRmT1_PNSt15iterator_traitsIS12_E10value_typeET2_T3_PNS13_IS18_E10value_typeET4_jRbjT5_S1E_jjP12ihipStream_tbEUljE_ZNSN_ISO_Lb1ESQ_SR_ST_SU_SY_EESZ_S10_S11_S12_S16_S17_S18_S1B_S1C_jS1D_jS1E_S1E_jjS1G_bEUljE0_EEESZ_S10_S11_S18_S1C_S1E_T6_T7_T9_mT8_S1G_bDpT10_ENKUlT_T0_E_clISt17integral_constantIbLb0EES1T_IbLb1EEEEDaS1P_S1Q_EUlS1P_E_NS1_11comp_targetILNS1_3genE0ELNS1_11target_archE4294967295ELNS1_3gpuE0ELNS1_3repE0EEENS1_30default_config_static_selectorELNS0_4arch9wavefront6targetE0EEEvS12_,comdat
	.globl	_ZN7rocprim17ROCPRIM_400000_NS6detail17trampoline_kernelINS0_13select_configILj256ELj13ELNS0_17block_load_methodE3ELS4_3ELS4_3ELNS0_20block_scan_algorithmE0ELj4294967295EEENS1_25partition_config_selectorILNS1_17partition_subalgoE4EjNS0_10empty_typeEbEEZZNS1_14partition_implILS8_4ELb0ES6_15HIP_vector_typeIjLj2EENS0_17counting_iteratorIjlEEPS9_SG_NS0_5tupleIJPjSI_NS0_16reverse_iteratorISI_EEEEENSH_IJSG_SG_SG_EEES9_SI_JZNS1_25segmented_radix_sort_implINS0_14default_configELb1EPKaPaPKlPlN2at6native12_GLOBAL__N_18offset_tEEE10hipError_tPvRmT1_PNSt15iterator_traitsIS12_E10value_typeET2_T3_PNS13_IS18_E10value_typeET4_jRbjT5_S1E_jjP12ihipStream_tbEUljE_ZNSN_ISO_Lb1ESQ_SR_ST_SU_SY_EESZ_S10_S11_S12_S16_S17_S18_S1B_S1C_jS1D_jS1E_S1E_jjS1G_bEUljE0_EEESZ_S10_S11_S18_S1C_S1E_T6_T7_T9_mT8_S1G_bDpT10_ENKUlT_T0_E_clISt17integral_constantIbLb0EES1T_IbLb1EEEEDaS1P_S1Q_EUlS1P_E_NS1_11comp_targetILNS1_3genE0ELNS1_11target_archE4294967295ELNS1_3gpuE0ELNS1_3repE0EEENS1_30default_config_static_selectorELNS0_4arch9wavefront6targetE0EEEvS12_ ; -- Begin function _ZN7rocprim17ROCPRIM_400000_NS6detail17trampoline_kernelINS0_13select_configILj256ELj13ELNS0_17block_load_methodE3ELS4_3ELS4_3ELNS0_20block_scan_algorithmE0ELj4294967295EEENS1_25partition_config_selectorILNS1_17partition_subalgoE4EjNS0_10empty_typeEbEEZZNS1_14partition_implILS8_4ELb0ES6_15HIP_vector_typeIjLj2EENS0_17counting_iteratorIjlEEPS9_SG_NS0_5tupleIJPjSI_NS0_16reverse_iteratorISI_EEEEENSH_IJSG_SG_SG_EEES9_SI_JZNS1_25segmented_radix_sort_implINS0_14default_configELb1EPKaPaPKlPlN2at6native12_GLOBAL__N_18offset_tEEE10hipError_tPvRmT1_PNSt15iterator_traitsIS12_E10value_typeET2_T3_PNS13_IS18_E10value_typeET4_jRbjT5_S1E_jjP12ihipStream_tbEUljE_ZNSN_ISO_Lb1ESQ_SR_ST_SU_SY_EESZ_S10_S11_S12_S16_S17_S18_S1B_S1C_jS1D_jS1E_S1E_jjS1G_bEUljE0_EEESZ_S10_S11_S18_S1C_S1E_T6_T7_T9_mT8_S1G_bDpT10_ENKUlT_T0_E_clISt17integral_constantIbLb0EES1T_IbLb1EEEEDaS1P_S1Q_EUlS1P_E_NS1_11comp_targetILNS1_3genE0ELNS1_11target_archE4294967295ELNS1_3gpuE0ELNS1_3repE0EEENS1_30default_config_static_selectorELNS0_4arch9wavefront6targetE0EEEvS12_
	.p2align	8
	.type	_ZN7rocprim17ROCPRIM_400000_NS6detail17trampoline_kernelINS0_13select_configILj256ELj13ELNS0_17block_load_methodE3ELS4_3ELS4_3ELNS0_20block_scan_algorithmE0ELj4294967295EEENS1_25partition_config_selectorILNS1_17partition_subalgoE4EjNS0_10empty_typeEbEEZZNS1_14partition_implILS8_4ELb0ES6_15HIP_vector_typeIjLj2EENS0_17counting_iteratorIjlEEPS9_SG_NS0_5tupleIJPjSI_NS0_16reverse_iteratorISI_EEEEENSH_IJSG_SG_SG_EEES9_SI_JZNS1_25segmented_radix_sort_implINS0_14default_configELb1EPKaPaPKlPlN2at6native12_GLOBAL__N_18offset_tEEE10hipError_tPvRmT1_PNSt15iterator_traitsIS12_E10value_typeET2_T3_PNS13_IS18_E10value_typeET4_jRbjT5_S1E_jjP12ihipStream_tbEUljE_ZNSN_ISO_Lb1ESQ_SR_ST_SU_SY_EESZ_S10_S11_S12_S16_S17_S18_S1B_S1C_jS1D_jS1E_S1E_jjS1G_bEUljE0_EEESZ_S10_S11_S18_S1C_S1E_T6_T7_T9_mT8_S1G_bDpT10_ENKUlT_T0_E_clISt17integral_constantIbLb0EES1T_IbLb1EEEEDaS1P_S1Q_EUlS1P_E_NS1_11comp_targetILNS1_3genE0ELNS1_11target_archE4294967295ELNS1_3gpuE0ELNS1_3repE0EEENS1_30default_config_static_selectorELNS0_4arch9wavefront6targetE0EEEvS12_,@function
_ZN7rocprim17ROCPRIM_400000_NS6detail17trampoline_kernelINS0_13select_configILj256ELj13ELNS0_17block_load_methodE3ELS4_3ELS4_3ELNS0_20block_scan_algorithmE0ELj4294967295EEENS1_25partition_config_selectorILNS1_17partition_subalgoE4EjNS0_10empty_typeEbEEZZNS1_14partition_implILS8_4ELb0ES6_15HIP_vector_typeIjLj2EENS0_17counting_iteratorIjlEEPS9_SG_NS0_5tupleIJPjSI_NS0_16reverse_iteratorISI_EEEEENSH_IJSG_SG_SG_EEES9_SI_JZNS1_25segmented_radix_sort_implINS0_14default_configELb1EPKaPaPKlPlN2at6native12_GLOBAL__N_18offset_tEEE10hipError_tPvRmT1_PNSt15iterator_traitsIS12_E10value_typeET2_T3_PNS13_IS18_E10value_typeET4_jRbjT5_S1E_jjP12ihipStream_tbEUljE_ZNSN_ISO_Lb1ESQ_SR_ST_SU_SY_EESZ_S10_S11_S12_S16_S17_S18_S1B_S1C_jS1D_jS1E_S1E_jjS1G_bEUljE0_EEESZ_S10_S11_S18_S1C_S1E_T6_T7_T9_mT8_S1G_bDpT10_ENKUlT_T0_E_clISt17integral_constantIbLb0EES1T_IbLb1EEEEDaS1P_S1Q_EUlS1P_E_NS1_11comp_targetILNS1_3genE0ELNS1_11target_archE4294967295ELNS1_3gpuE0ELNS1_3repE0EEENS1_30default_config_static_selectorELNS0_4arch9wavefront6targetE0EEEvS12_: ; @_ZN7rocprim17ROCPRIM_400000_NS6detail17trampoline_kernelINS0_13select_configILj256ELj13ELNS0_17block_load_methodE3ELS4_3ELS4_3ELNS0_20block_scan_algorithmE0ELj4294967295EEENS1_25partition_config_selectorILNS1_17partition_subalgoE4EjNS0_10empty_typeEbEEZZNS1_14partition_implILS8_4ELb0ES6_15HIP_vector_typeIjLj2EENS0_17counting_iteratorIjlEEPS9_SG_NS0_5tupleIJPjSI_NS0_16reverse_iteratorISI_EEEEENSH_IJSG_SG_SG_EEES9_SI_JZNS1_25segmented_radix_sort_implINS0_14default_configELb1EPKaPaPKlPlN2at6native12_GLOBAL__N_18offset_tEEE10hipError_tPvRmT1_PNSt15iterator_traitsIS12_E10value_typeET2_T3_PNS13_IS18_E10value_typeET4_jRbjT5_S1E_jjP12ihipStream_tbEUljE_ZNSN_ISO_Lb1ESQ_SR_ST_SU_SY_EESZ_S10_S11_S12_S16_S17_S18_S1B_S1C_jS1D_jS1E_S1E_jjS1G_bEUljE0_EEESZ_S10_S11_S18_S1C_S1E_T6_T7_T9_mT8_S1G_bDpT10_ENKUlT_T0_E_clISt17integral_constantIbLb0EES1T_IbLb1EEEEDaS1P_S1Q_EUlS1P_E_NS1_11comp_targetILNS1_3genE0ELNS1_11target_archE4294967295ELNS1_3gpuE0ELNS1_3repE0EEENS1_30default_config_static_selectorELNS0_4arch9wavefront6targetE0EEEvS12_
; %bb.0:
	.section	.rodata,"a",@progbits
	.p2align	6, 0x0
	.amdhsa_kernel _ZN7rocprim17ROCPRIM_400000_NS6detail17trampoline_kernelINS0_13select_configILj256ELj13ELNS0_17block_load_methodE3ELS4_3ELS4_3ELNS0_20block_scan_algorithmE0ELj4294967295EEENS1_25partition_config_selectorILNS1_17partition_subalgoE4EjNS0_10empty_typeEbEEZZNS1_14partition_implILS8_4ELb0ES6_15HIP_vector_typeIjLj2EENS0_17counting_iteratorIjlEEPS9_SG_NS0_5tupleIJPjSI_NS0_16reverse_iteratorISI_EEEEENSH_IJSG_SG_SG_EEES9_SI_JZNS1_25segmented_radix_sort_implINS0_14default_configELb1EPKaPaPKlPlN2at6native12_GLOBAL__N_18offset_tEEE10hipError_tPvRmT1_PNSt15iterator_traitsIS12_E10value_typeET2_T3_PNS13_IS18_E10value_typeET4_jRbjT5_S1E_jjP12ihipStream_tbEUljE_ZNSN_ISO_Lb1ESQ_SR_ST_SU_SY_EESZ_S10_S11_S12_S16_S17_S18_S1B_S1C_jS1D_jS1E_S1E_jjS1G_bEUljE0_EEESZ_S10_S11_S18_S1C_S1E_T6_T7_T9_mT8_S1G_bDpT10_ENKUlT_T0_E_clISt17integral_constantIbLb0EES1T_IbLb1EEEEDaS1P_S1Q_EUlS1P_E_NS1_11comp_targetILNS1_3genE0ELNS1_11target_archE4294967295ELNS1_3gpuE0ELNS1_3repE0EEENS1_30default_config_static_selectorELNS0_4arch9wavefront6targetE0EEEvS12_
		.amdhsa_group_segment_fixed_size 0
		.amdhsa_private_segment_fixed_size 0
		.amdhsa_kernarg_size 184
		.amdhsa_user_sgpr_count 2
		.amdhsa_user_sgpr_dispatch_ptr 0
		.amdhsa_user_sgpr_queue_ptr 0
		.amdhsa_user_sgpr_kernarg_segment_ptr 1
		.amdhsa_user_sgpr_dispatch_id 0
		.amdhsa_user_sgpr_private_segment_size 0
		.amdhsa_wavefront_size32 1
		.amdhsa_uses_dynamic_stack 0
		.amdhsa_enable_private_segment 0
		.amdhsa_system_sgpr_workgroup_id_x 1
		.amdhsa_system_sgpr_workgroup_id_y 0
		.amdhsa_system_sgpr_workgroup_id_z 0
		.amdhsa_system_sgpr_workgroup_info 0
		.amdhsa_system_vgpr_workitem_id 0
		.amdhsa_next_free_vgpr 1
		.amdhsa_next_free_sgpr 1
		.amdhsa_reserve_vcc 0
		.amdhsa_float_round_mode_32 0
		.amdhsa_float_round_mode_16_64 0
		.amdhsa_float_denorm_mode_32 3
		.amdhsa_float_denorm_mode_16_64 3
		.amdhsa_fp16_overflow 0
		.amdhsa_workgroup_processor_mode 1
		.amdhsa_memory_ordered 1
		.amdhsa_forward_progress 1
		.amdhsa_inst_pref_size 0
		.amdhsa_round_robin_scheduling 0
		.amdhsa_exception_fp_ieee_invalid_op 0
		.amdhsa_exception_fp_denorm_src 0
		.amdhsa_exception_fp_ieee_div_zero 0
		.amdhsa_exception_fp_ieee_overflow 0
		.amdhsa_exception_fp_ieee_underflow 0
		.amdhsa_exception_fp_ieee_inexact 0
		.amdhsa_exception_int_div_zero 0
	.end_amdhsa_kernel
	.section	.text._ZN7rocprim17ROCPRIM_400000_NS6detail17trampoline_kernelINS0_13select_configILj256ELj13ELNS0_17block_load_methodE3ELS4_3ELS4_3ELNS0_20block_scan_algorithmE0ELj4294967295EEENS1_25partition_config_selectorILNS1_17partition_subalgoE4EjNS0_10empty_typeEbEEZZNS1_14partition_implILS8_4ELb0ES6_15HIP_vector_typeIjLj2EENS0_17counting_iteratorIjlEEPS9_SG_NS0_5tupleIJPjSI_NS0_16reverse_iteratorISI_EEEEENSH_IJSG_SG_SG_EEES9_SI_JZNS1_25segmented_radix_sort_implINS0_14default_configELb1EPKaPaPKlPlN2at6native12_GLOBAL__N_18offset_tEEE10hipError_tPvRmT1_PNSt15iterator_traitsIS12_E10value_typeET2_T3_PNS13_IS18_E10value_typeET4_jRbjT5_S1E_jjP12ihipStream_tbEUljE_ZNSN_ISO_Lb1ESQ_SR_ST_SU_SY_EESZ_S10_S11_S12_S16_S17_S18_S1B_S1C_jS1D_jS1E_S1E_jjS1G_bEUljE0_EEESZ_S10_S11_S18_S1C_S1E_T6_T7_T9_mT8_S1G_bDpT10_ENKUlT_T0_E_clISt17integral_constantIbLb0EES1T_IbLb1EEEEDaS1P_S1Q_EUlS1P_E_NS1_11comp_targetILNS1_3genE0ELNS1_11target_archE4294967295ELNS1_3gpuE0ELNS1_3repE0EEENS1_30default_config_static_selectorELNS0_4arch9wavefront6targetE0EEEvS12_,"axG",@progbits,_ZN7rocprim17ROCPRIM_400000_NS6detail17trampoline_kernelINS0_13select_configILj256ELj13ELNS0_17block_load_methodE3ELS4_3ELS4_3ELNS0_20block_scan_algorithmE0ELj4294967295EEENS1_25partition_config_selectorILNS1_17partition_subalgoE4EjNS0_10empty_typeEbEEZZNS1_14partition_implILS8_4ELb0ES6_15HIP_vector_typeIjLj2EENS0_17counting_iteratorIjlEEPS9_SG_NS0_5tupleIJPjSI_NS0_16reverse_iteratorISI_EEEEENSH_IJSG_SG_SG_EEES9_SI_JZNS1_25segmented_radix_sort_implINS0_14default_configELb1EPKaPaPKlPlN2at6native12_GLOBAL__N_18offset_tEEE10hipError_tPvRmT1_PNSt15iterator_traitsIS12_E10value_typeET2_T3_PNS13_IS18_E10value_typeET4_jRbjT5_S1E_jjP12ihipStream_tbEUljE_ZNSN_ISO_Lb1ESQ_SR_ST_SU_SY_EESZ_S10_S11_S12_S16_S17_S18_S1B_S1C_jS1D_jS1E_S1E_jjS1G_bEUljE0_EEESZ_S10_S11_S18_S1C_S1E_T6_T7_T9_mT8_S1G_bDpT10_ENKUlT_T0_E_clISt17integral_constantIbLb0EES1T_IbLb1EEEEDaS1P_S1Q_EUlS1P_E_NS1_11comp_targetILNS1_3genE0ELNS1_11target_archE4294967295ELNS1_3gpuE0ELNS1_3repE0EEENS1_30default_config_static_selectorELNS0_4arch9wavefront6targetE0EEEvS12_,comdat
.Lfunc_end250:
	.size	_ZN7rocprim17ROCPRIM_400000_NS6detail17trampoline_kernelINS0_13select_configILj256ELj13ELNS0_17block_load_methodE3ELS4_3ELS4_3ELNS0_20block_scan_algorithmE0ELj4294967295EEENS1_25partition_config_selectorILNS1_17partition_subalgoE4EjNS0_10empty_typeEbEEZZNS1_14partition_implILS8_4ELb0ES6_15HIP_vector_typeIjLj2EENS0_17counting_iteratorIjlEEPS9_SG_NS0_5tupleIJPjSI_NS0_16reverse_iteratorISI_EEEEENSH_IJSG_SG_SG_EEES9_SI_JZNS1_25segmented_radix_sort_implINS0_14default_configELb1EPKaPaPKlPlN2at6native12_GLOBAL__N_18offset_tEEE10hipError_tPvRmT1_PNSt15iterator_traitsIS12_E10value_typeET2_T3_PNS13_IS18_E10value_typeET4_jRbjT5_S1E_jjP12ihipStream_tbEUljE_ZNSN_ISO_Lb1ESQ_SR_ST_SU_SY_EESZ_S10_S11_S12_S16_S17_S18_S1B_S1C_jS1D_jS1E_S1E_jjS1G_bEUljE0_EEESZ_S10_S11_S18_S1C_S1E_T6_T7_T9_mT8_S1G_bDpT10_ENKUlT_T0_E_clISt17integral_constantIbLb0EES1T_IbLb1EEEEDaS1P_S1Q_EUlS1P_E_NS1_11comp_targetILNS1_3genE0ELNS1_11target_archE4294967295ELNS1_3gpuE0ELNS1_3repE0EEENS1_30default_config_static_selectorELNS0_4arch9wavefront6targetE0EEEvS12_, .Lfunc_end250-_ZN7rocprim17ROCPRIM_400000_NS6detail17trampoline_kernelINS0_13select_configILj256ELj13ELNS0_17block_load_methodE3ELS4_3ELS4_3ELNS0_20block_scan_algorithmE0ELj4294967295EEENS1_25partition_config_selectorILNS1_17partition_subalgoE4EjNS0_10empty_typeEbEEZZNS1_14partition_implILS8_4ELb0ES6_15HIP_vector_typeIjLj2EENS0_17counting_iteratorIjlEEPS9_SG_NS0_5tupleIJPjSI_NS0_16reverse_iteratorISI_EEEEENSH_IJSG_SG_SG_EEES9_SI_JZNS1_25segmented_radix_sort_implINS0_14default_configELb1EPKaPaPKlPlN2at6native12_GLOBAL__N_18offset_tEEE10hipError_tPvRmT1_PNSt15iterator_traitsIS12_E10value_typeET2_T3_PNS13_IS18_E10value_typeET4_jRbjT5_S1E_jjP12ihipStream_tbEUljE_ZNSN_ISO_Lb1ESQ_SR_ST_SU_SY_EESZ_S10_S11_S12_S16_S17_S18_S1B_S1C_jS1D_jS1E_S1E_jjS1G_bEUljE0_EEESZ_S10_S11_S18_S1C_S1E_T6_T7_T9_mT8_S1G_bDpT10_ENKUlT_T0_E_clISt17integral_constantIbLb0EES1T_IbLb1EEEEDaS1P_S1Q_EUlS1P_E_NS1_11comp_targetILNS1_3genE0ELNS1_11target_archE4294967295ELNS1_3gpuE0ELNS1_3repE0EEENS1_30default_config_static_selectorELNS0_4arch9wavefront6targetE0EEEvS12_
                                        ; -- End function
	.set _ZN7rocprim17ROCPRIM_400000_NS6detail17trampoline_kernelINS0_13select_configILj256ELj13ELNS0_17block_load_methodE3ELS4_3ELS4_3ELNS0_20block_scan_algorithmE0ELj4294967295EEENS1_25partition_config_selectorILNS1_17partition_subalgoE4EjNS0_10empty_typeEbEEZZNS1_14partition_implILS8_4ELb0ES6_15HIP_vector_typeIjLj2EENS0_17counting_iteratorIjlEEPS9_SG_NS0_5tupleIJPjSI_NS0_16reverse_iteratorISI_EEEEENSH_IJSG_SG_SG_EEES9_SI_JZNS1_25segmented_radix_sort_implINS0_14default_configELb1EPKaPaPKlPlN2at6native12_GLOBAL__N_18offset_tEEE10hipError_tPvRmT1_PNSt15iterator_traitsIS12_E10value_typeET2_T3_PNS13_IS18_E10value_typeET4_jRbjT5_S1E_jjP12ihipStream_tbEUljE_ZNSN_ISO_Lb1ESQ_SR_ST_SU_SY_EESZ_S10_S11_S12_S16_S17_S18_S1B_S1C_jS1D_jS1E_S1E_jjS1G_bEUljE0_EEESZ_S10_S11_S18_S1C_S1E_T6_T7_T9_mT8_S1G_bDpT10_ENKUlT_T0_E_clISt17integral_constantIbLb0EES1T_IbLb1EEEEDaS1P_S1Q_EUlS1P_E_NS1_11comp_targetILNS1_3genE0ELNS1_11target_archE4294967295ELNS1_3gpuE0ELNS1_3repE0EEENS1_30default_config_static_selectorELNS0_4arch9wavefront6targetE0EEEvS12_.num_vgpr, 0
	.set _ZN7rocprim17ROCPRIM_400000_NS6detail17trampoline_kernelINS0_13select_configILj256ELj13ELNS0_17block_load_methodE3ELS4_3ELS4_3ELNS0_20block_scan_algorithmE0ELj4294967295EEENS1_25partition_config_selectorILNS1_17partition_subalgoE4EjNS0_10empty_typeEbEEZZNS1_14partition_implILS8_4ELb0ES6_15HIP_vector_typeIjLj2EENS0_17counting_iteratorIjlEEPS9_SG_NS0_5tupleIJPjSI_NS0_16reverse_iteratorISI_EEEEENSH_IJSG_SG_SG_EEES9_SI_JZNS1_25segmented_radix_sort_implINS0_14default_configELb1EPKaPaPKlPlN2at6native12_GLOBAL__N_18offset_tEEE10hipError_tPvRmT1_PNSt15iterator_traitsIS12_E10value_typeET2_T3_PNS13_IS18_E10value_typeET4_jRbjT5_S1E_jjP12ihipStream_tbEUljE_ZNSN_ISO_Lb1ESQ_SR_ST_SU_SY_EESZ_S10_S11_S12_S16_S17_S18_S1B_S1C_jS1D_jS1E_S1E_jjS1G_bEUljE0_EEESZ_S10_S11_S18_S1C_S1E_T6_T7_T9_mT8_S1G_bDpT10_ENKUlT_T0_E_clISt17integral_constantIbLb0EES1T_IbLb1EEEEDaS1P_S1Q_EUlS1P_E_NS1_11comp_targetILNS1_3genE0ELNS1_11target_archE4294967295ELNS1_3gpuE0ELNS1_3repE0EEENS1_30default_config_static_selectorELNS0_4arch9wavefront6targetE0EEEvS12_.num_agpr, 0
	.set _ZN7rocprim17ROCPRIM_400000_NS6detail17trampoline_kernelINS0_13select_configILj256ELj13ELNS0_17block_load_methodE3ELS4_3ELS4_3ELNS0_20block_scan_algorithmE0ELj4294967295EEENS1_25partition_config_selectorILNS1_17partition_subalgoE4EjNS0_10empty_typeEbEEZZNS1_14partition_implILS8_4ELb0ES6_15HIP_vector_typeIjLj2EENS0_17counting_iteratorIjlEEPS9_SG_NS0_5tupleIJPjSI_NS0_16reverse_iteratorISI_EEEEENSH_IJSG_SG_SG_EEES9_SI_JZNS1_25segmented_radix_sort_implINS0_14default_configELb1EPKaPaPKlPlN2at6native12_GLOBAL__N_18offset_tEEE10hipError_tPvRmT1_PNSt15iterator_traitsIS12_E10value_typeET2_T3_PNS13_IS18_E10value_typeET4_jRbjT5_S1E_jjP12ihipStream_tbEUljE_ZNSN_ISO_Lb1ESQ_SR_ST_SU_SY_EESZ_S10_S11_S12_S16_S17_S18_S1B_S1C_jS1D_jS1E_S1E_jjS1G_bEUljE0_EEESZ_S10_S11_S18_S1C_S1E_T6_T7_T9_mT8_S1G_bDpT10_ENKUlT_T0_E_clISt17integral_constantIbLb0EES1T_IbLb1EEEEDaS1P_S1Q_EUlS1P_E_NS1_11comp_targetILNS1_3genE0ELNS1_11target_archE4294967295ELNS1_3gpuE0ELNS1_3repE0EEENS1_30default_config_static_selectorELNS0_4arch9wavefront6targetE0EEEvS12_.numbered_sgpr, 0
	.set _ZN7rocprim17ROCPRIM_400000_NS6detail17trampoline_kernelINS0_13select_configILj256ELj13ELNS0_17block_load_methodE3ELS4_3ELS4_3ELNS0_20block_scan_algorithmE0ELj4294967295EEENS1_25partition_config_selectorILNS1_17partition_subalgoE4EjNS0_10empty_typeEbEEZZNS1_14partition_implILS8_4ELb0ES6_15HIP_vector_typeIjLj2EENS0_17counting_iteratorIjlEEPS9_SG_NS0_5tupleIJPjSI_NS0_16reverse_iteratorISI_EEEEENSH_IJSG_SG_SG_EEES9_SI_JZNS1_25segmented_radix_sort_implINS0_14default_configELb1EPKaPaPKlPlN2at6native12_GLOBAL__N_18offset_tEEE10hipError_tPvRmT1_PNSt15iterator_traitsIS12_E10value_typeET2_T3_PNS13_IS18_E10value_typeET4_jRbjT5_S1E_jjP12ihipStream_tbEUljE_ZNSN_ISO_Lb1ESQ_SR_ST_SU_SY_EESZ_S10_S11_S12_S16_S17_S18_S1B_S1C_jS1D_jS1E_S1E_jjS1G_bEUljE0_EEESZ_S10_S11_S18_S1C_S1E_T6_T7_T9_mT8_S1G_bDpT10_ENKUlT_T0_E_clISt17integral_constantIbLb0EES1T_IbLb1EEEEDaS1P_S1Q_EUlS1P_E_NS1_11comp_targetILNS1_3genE0ELNS1_11target_archE4294967295ELNS1_3gpuE0ELNS1_3repE0EEENS1_30default_config_static_selectorELNS0_4arch9wavefront6targetE0EEEvS12_.num_named_barrier, 0
	.set _ZN7rocprim17ROCPRIM_400000_NS6detail17trampoline_kernelINS0_13select_configILj256ELj13ELNS0_17block_load_methodE3ELS4_3ELS4_3ELNS0_20block_scan_algorithmE0ELj4294967295EEENS1_25partition_config_selectorILNS1_17partition_subalgoE4EjNS0_10empty_typeEbEEZZNS1_14partition_implILS8_4ELb0ES6_15HIP_vector_typeIjLj2EENS0_17counting_iteratorIjlEEPS9_SG_NS0_5tupleIJPjSI_NS0_16reverse_iteratorISI_EEEEENSH_IJSG_SG_SG_EEES9_SI_JZNS1_25segmented_radix_sort_implINS0_14default_configELb1EPKaPaPKlPlN2at6native12_GLOBAL__N_18offset_tEEE10hipError_tPvRmT1_PNSt15iterator_traitsIS12_E10value_typeET2_T3_PNS13_IS18_E10value_typeET4_jRbjT5_S1E_jjP12ihipStream_tbEUljE_ZNSN_ISO_Lb1ESQ_SR_ST_SU_SY_EESZ_S10_S11_S12_S16_S17_S18_S1B_S1C_jS1D_jS1E_S1E_jjS1G_bEUljE0_EEESZ_S10_S11_S18_S1C_S1E_T6_T7_T9_mT8_S1G_bDpT10_ENKUlT_T0_E_clISt17integral_constantIbLb0EES1T_IbLb1EEEEDaS1P_S1Q_EUlS1P_E_NS1_11comp_targetILNS1_3genE0ELNS1_11target_archE4294967295ELNS1_3gpuE0ELNS1_3repE0EEENS1_30default_config_static_selectorELNS0_4arch9wavefront6targetE0EEEvS12_.private_seg_size, 0
	.set _ZN7rocprim17ROCPRIM_400000_NS6detail17trampoline_kernelINS0_13select_configILj256ELj13ELNS0_17block_load_methodE3ELS4_3ELS4_3ELNS0_20block_scan_algorithmE0ELj4294967295EEENS1_25partition_config_selectorILNS1_17partition_subalgoE4EjNS0_10empty_typeEbEEZZNS1_14partition_implILS8_4ELb0ES6_15HIP_vector_typeIjLj2EENS0_17counting_iteratorIjlEEPS9_SG_NS0_5tupleIJPjSI_NS0_16reverse_iteratorISI_EEEEENSH_IJSG_SG_SG_EEES9_SI_JZNS1_25segmented_radix_sort_implINS0_14default_configELb1EPKaPaPKlPlN2at6native12_GLOBAL__N_18offset_tEEE10hipError_tPvRmT1_PNSt15iterator_traitsIS12_E10value_typeET2_T3_PNS13_IS18_E10value_typeET4_jRbjT5_S1E_jjP12ihipStream_tbEUljE_ZNSN_ISO_Lb1ESQ_SR_ST_SU_SY_EESZ_S10_S11_S12_S16_S17_S18_S1B_S1C_jS1D_jS1E_S1E_jjS1G_bEUljE0_EEESZ_S10_S11_S18_S1C_S1E_T6_T7_T9_mT8_S1G_bDpT10_ENKUlT_T0_E_clISt17integral_constantIbLb0EES1T_IbLb1EEEEDaS1P_S1Q_EUlS1P_E_NS1_11comp_targetILNS1_3genE0ELNS1_11target_archE4294967295ELNS1_3gpuE0ELNS1_3repE0EEENS1_30default_config_static_selectorELNS0_4arch9wavefront6targetE0EEEvS12_.uses_vcc, 0
	.set _ZN7rocprim17ROCPRIM_400000_NS6detail17trampoline_kernelINS0_13select_configILj256ELj13ELNS0_17block_load_methodE3ELS4_3ELS4_3ELNS0_20block_scan_algorithmE0ELj4294967295EEENS1_25partition_config_selectorILNS1_17partition_subalgoE4EjNS0_10empty_typeEbEEZZNS1_14partition_implILS8_4ELb0ES6_15HIP_vector_typeIjLj2EENS0_17counting_iteratorIjlEEPS9_SG_NS0_5tupleIJPjSI_NS0_16reverse_iteratorISI_EEEEENSH_IJSG_SG_SG_EEES9_SI_JZNS1_25segmented_radix_sort_implINS0_14default_configELb1EPKaPaPKlPlN2at6native12_GLOBAL__N_18offset_tEEE10hipError_tPvRmT1_PNSt15iterator_traitsIS12_E10value_typeET2_T3_PNS13_IS18_E10value_typeET4_jRbjT5_S1E_jjP12ihipStream_tbEUljE_ZNSN_ISO_Lb1ESQ_SR_ST_SU_SY_EESZ_S10_S11_S12_S16_S17_S18_S1B_S1C_jS1D_jS1E_S1E_jjS1G_bEUljE0_EEESZ_S10_S11_S18_S1C_S1E_T6_T7_T9_mT8_S1G_bDpT10_ENKUlT_T0_E_clISt17integral_constantIbLb0EES1T_IbLb1EEEEDaS1P_S1Q_EUlS1P_E_NS1_11comp_targetILNS1_3genE0ELNS1_11target_archE4294967295ELNS1_3gpuE0ELNS1_3repE0EEENS1_30default_config_static_selectorELNS0_4arch9wavefront6targetE0EEEvS12_.uses_flat_scratch, 0
	.set _ZN7rocprim17ROCPRIM_400000_NS6detail17trampoline_kernelINS0_13select_configILj256ELj13ELNS0_17block_load_methodE3ELS4_3ELS4_3ELNS0_20block_scan_algorithmE0ELj4294967295EEENS1_25partition_config_selectorILNS1_17partition_subalgoE4EjNS0_10empty_typeEbEEZZNS1_14partition_implILS8_4ELb0ES6_15HIP_vector_typeIjLj2EENS0_17counting_iteratorIjlEEPS9_SG_NS0_5tupleIJPjSI_NS0_16reverse_iteratorISI_EEEEENSH_IJSG_SG_SG_EEES9_SI_JZNS1_25segmented_radix_sort_implINS0_14default_configELb1EPKaPaPKlPlN2at6native12_GLOBAL__N_18offset_tEEE10hipError_tPvRmT1_PNSt15iterator_traitsIS12_E10value_typeET2_T3_PNS13_IS18_E10value_typeET4_jRbjT5_S1E_jjP12ihipStream_tbEUljE_ZNSN_ISO_Lb1ESQ_SR_ST_SU_SY_EESZ_S10_S11_S12_S16_S17_S18_S1B_S1C_jS1D_jS1E_S1E_jjS1G_bEUljE0_EEESZ_S10_S11_S18_S1C_S1E_T6_T7_T9_mT8_S1G_bDpT10_ENKUlT_T0_E_clISt17integral_constantIbLb0EES1T_IbLb1EEEEDaS1P_S1Q_EUlS1P_E_NS1_11comp_targetILNS1_3genE0ELNS1_11target_archE4294967295ELNS1_3gpuE0ELNS1_3repE0EEENS1_30default_config_static_selectorELNS0_4arch9wavefront6targetE0EEEvS12_.has_dyn_sized_stack, 0
	.set _ZN7rocprim17ROCPRIM_400000_NS6detail17trampoline_kernelINS0_13select_configILj256ELj13ELNS0_17block_load_methodE3ELS4_3ELS4_3ELNS0_20block_scan_algorithmE0ELj4294967295EEENS1_25partition_config_selectorILNS1_17partition_subalgoE4EjNS0_10empty_typeEbEEZZNS1_14partition_implILS8_4ELb0ES6_15HIP_vector_typeIjLj2EENS0_17counting_iteratorIjlEEPS9_SG_NS0_5tupleIJPjSI_NS0_16reverse_iteratorISI_EEEEENSH_IJSG_SG_SG_EEES9_SI_JZNS1_25segmented_radix_sort_implINS0_14default_configELb1EPKaPaPKlPlN2at6native12_GLOBAL__N_18offset_tEEE10hipError_tPvRmT1_PNSt15iterator_traitsIS12_E10value_typeET2_T3_PNS13_IS18_E10value_typeET4_jRbjT5_S1E_jjP12ihipStream_tbEUljE_ZNSN_ISO_Lb1ESQ_SR_ST_SU_SY_EESZ_S10_S11_S12_S16_S17_S18_S1B_S1C_jS1D_jS1E_S1E_jjS1G_bEUljE0_EEESZ_S10_S11_S18_S1C_S1E_T6_T7_T9_mT8_S1G_bDpT10_ENKUlT_T0_E_clISt17integral_constantIbLb0EES1T_IbLb1EEEEDaS1P_S1Q_EUlS1P_E_NS1_11comp_targetILNS1_3genE0ELNS1_11target_archE4294967295ELNS1_3gpuE0ELNS1_3repE0EEENS1_30default_config_static_selectorELNS0_4arch9wavefront6targetE0EEEvS12_.has_recursion, 0
	.set _ZN7rocprim17ROCPRIM_400000_NS6detail17trampoline_kernelINS0_13select_configILj256ELj13ELNS0_17block_load_methodE3ELS4_3ELS4_3ELNS0_20block_scan_algorithmE0ELj4294967295EEENS1_25partition_config_selectorILNS1_17partition_subalgoE4EjNS0_10empty_typeEbEEZZNS1_14partition_implILS8_4ELb0ES6_15HIP_vector_typeIjLj2EENS0_17counting_iteratorIjlEEPS9_SG_NS0_5tupleIJPjSI_NS0_16reverse_iteratorISI_EEEEENSH_IJSG_SG_SG_EEES9_SI_JZNS1_25segmented_radix_sort_implINS0_14default_configELb1EPKaPaPKlPlN2at6native12_GLOBAL__N_18offset_tEEE10hipError_tPvRmT1_PNSt15iterator_traitsIS12_E10value_typeET2_T3_PNS13_IS18_E10value_typeET4_jRbjT5_S1E_jjP12ihipStream_tbEUljE_ZNSN_ISO_Lb1ESQ_SR_ST_SU_SY_EESZ_S10_S11_S12_S16_S17_S18_S1B_S1C_jS1D_jS1E_S1E_jjS1G_bEUljE0_EEESZ_S10_S11_S18_S1C_S1E_T6_T7_T9_mT8_S1G_bDpT10_ENKUlT_T0_E_clISt17integral_constantIbLb0EES1T_IbLb1EEEEDaS1P_S1Q_EUlS1P_E_NS1_11comp_targetILNS1_3genE0ELNS1_11target_archE4294967295ELNS1_3gpuE0ELNS1_3repE0EEENS1_30default_config_static_selectorELNS0_4arch9wavefront6targetE0EEEvS12_.has_indirect_call, 0
	.section	.AMDGPU.csdata,"",@progbits
; Kernel info:
; codeLenInByte = 0
; TotalNumSgprs: 0
; NumVgprs: 0
; ScratchSize: 0
; MemoryBound: 0
; FloatMode: 240
; IeeeMode: 1
; LDSByteSize: 0 bytes/workgroup (compile time only)
; SGPRBlocks: 0
; VGPRBlocks: 0
; NumSGPRsForWavesPerEU: 1
; NumVGPRsForWavesPerEU: 1
; Occupancy: 16
; WaveLimiterHint : 0
; COMPUTE_PGM_RSRC2:SCRATCH_EN: 0
; COMPUTE_PGM_RSRC2:USER_SGPR: 2
; COMPUTE_PGM_RSRC2:TRAP_HANDLER: 0
; COMPUTE_PGM_RSRC2:TGID_X_EN: 1
; COMPUTE_PGM_RSRC2:TGID_Y_EN: 0
; COMPUTE_PGM_RSRC2:TGID_Z_EN: 0
; COMPUTE_PGM_RSRC2:TIDIG_COMP_CNT: 0
	.section	.text._ZN7rocprim17ROCPRIM_400000_NS6detail17trampoline_kernelINS0_13select_configILj256ELj13ELNS0_17block_load_methodE3ELS4_3ELS4_3ELNS0_20block_scan_algorithmE0ELj4294967295EEENS1_25partition_config_selectorILNS1_17partition_subalgoE4EjNS0_10empty_typeEbEEZZNS1_14partition_implILS8_4ELb0ES6_15HIP_vector_typeIjLj2EENS0_17counting_iteratorIjlEEPS9_SG_NS0_5tupleIJPjSI_NS0_16reverse_iteratorISI_EEEEENSH_IJSG_SG_SG_EEES9_SI_JZNS1_25segmented_radix_sort_implINS0_14default_configELb1EPKaPaPKlPlN2at6native12_GLOBAL__N_18offset_tEEE10hipError_tPvRmT1_PNSt15iterator_traitsIS12_E10value_typeET2_T3_PNS13_IS18_E10value_typeET4_jRbjT5_S1E_jjP12ihipStream_tbEUljE_ZNSN_ISO_Lb1ESQ_SR_ST_SU_SY_EESZ_S10_S11_S12_S16_S17_S18_S1B_S1C_jS1D_jS1E_S1E_jjS1G_bEUljE0_EEESZ_S10_S11_S18_S1C_S1E_T6_T7_T9_mT8_S1G_bDpT10_ENKUlT_T0_E_clISt17integral_constantIbLb0EES1T_IbLb1EEEEDaS1P_S1Q_EUlS1P_E_NS1_11comp_targetILNS1_3genE5ELNS1_11target_archE942ELNS1_3gpuE9ELNS1_3repE0EEENS1_30default_config_static_selectorELNS0_4arch9wavefront6targetE0EEEvS12_,"axG",@progbits,_ZN7rocprim17ROCPRIM_400000_NS6detail17trampoline_kernelINS0_13select_configILj256ELj13ELNS0_17block_load_methodE3ELS4_3ELS4_3ELNS0_20block_scan_algorithmE0ELj4294967295EEENS1_25partition_config_selectorILNS1_17partition_subalgoE4EjNS0_10empty_typeEbEEZZNS1_14partition_implILS8_4ELb0ES6_15HIP_vector_typeIjLj2EENS0_17counting_iteratorIjlEEPS9_SG_NS0_5tupleIJPjSI_NS0_16reverse_iteratorISI_EEEEENSH_IJSG_SG_SG_EEES9_SI_JZNS1_25segmented_radix_sort_implINS0_14default_configELb1EPKaPaPKlPlN2at6native12_GLOBAL__N_18offset_tEEE10hipError_tPvRmT1_PNSt15iterator_traitsIS12_E10value_typeET2_T3_PNS13_IS18_E10value_typeET4_jRbjT5_S1E_jjP12ihipStream_tbEUljE_ZNSN_ISO_Lb1ESQ_SR_ST_SU_SY_EESZ_S10_S11_S12_S16_S17_S18_S1B_S1C_jS1D_jS1E_S1E_jjS1G_bEUljE0_EEESZ_S10_S11_S18_S1C_S1E_T6_T7_T9_mT8_S1G_bDpT10_ENKUlT_T0_E_clISt17integral_constantIbLb0EES1T_IbLb1EEEEDaS1P_S1Q_EUlS1P_E_NS1_11comp_targetILNS1_3genE5ELNS1_11target_archE942ELNS1_3gpuE9ELNS1_3repE0EEENS1_30default_config_static_selectorELNS0_4arch9wavefront6targetE0EEEvS12_,comdat
	.globl	_ZN7rocprim17ROCPRIM_400000_NS6detail17trampoline_kernelINS0_13select_configILj256ELj13ELNS0_17block_load_methodE3ELS4_3ELS4_3ELNS0_20block_scan_algorithmE0ELj4294967295EEENS1_25partition_config_selectorILNS1_17partition_subalgoE4EjNS0_10empty_typeEbEEZZNS1_14partition_implILS8_4ELb0ES6_15HIP_vector_typeIjLj2EENS0_17counting_iteratorIjlEEPS9_SG_NS0_5tupleIJPjSI_NS0_16reverse_iteratorISI_EEEEENSH_IJSG_SG_SG_EEES9_SI_JZNS1_25segmented_radix_sort_implINS0_14default_configELb1EPKaPaPKlPlN2at6native12_GLOBAL__N_18offset_tEEE10hipError_tPvRmT1_PNSt15iterator_traitsIS12_E10value_typeET2_T3_PNS13_IS18_E10value_typeET4_jRbjT5_S1E_jjP12ihipStream_tbEUljE_ZNSN_ISO_Lb1ESQ_SR_ST_SU_SY_EESZ_S10_S11_S12_S16_S17_S18_S1B_S1C_jS1D_jS1E_S1E_jjS1G_bEUljE0_EEESZ_S10_S11_S18_S1C_S1E_T6_T7_T9_mT8_S1G_bDpT10_ENKUlT_T0_E_clISt17integral_constantIbLb0EES1T_IbLb1EEEEDaS1P_S1Q_EUlS1P_E_NS1_11comp_targetILNS1_3genE5ELNS1_11target_archE942ELNS1_3gpuE9ELNS1_3repE0EEENS1_30default_config_static_selectorELNS0_4arch9wavefront6targetE0EEEvS12_ ; -- Begin function _ZN7rocprim17ROCPRIM_400000_NS6detail17trampoline_kernelINS0_13select_configILj256ELj13ELNS0_17block_load_methodE3ELS4_3ELS4_3ELNS0_20block_scan_algorithmE0ELj4294967295EEENS1_25partition_config_selectorILNS1_17partition_subalgoE4EjNS0_10empty_typeEbEEZZNS1_14partition_implILS8_4ELb0ES6_15HIP_vector_typeIjLj2EENS0_17counting_iteratorIjlEEPS9_SG_NS0_5tupleIJPjSI_NS0_16reverse_iteratorISI_EEEEENSH_IJSG_SG_SG_EEES9_SI_JZNS1_25segmented_radix_sort_implINS0_14default_configELb1EPKaPaPKlPlN2at6native12_GLOBAL__N_18offset_tEEE10hipError_tPvRmT1_PNSt15iterator_traitsIS12_E10value_typeET2_T3_PNS13_IS18_E10value_typeET4_jRbjT5_S1E_jjP12ihipStream_tbEUljE_ZNSN_ISO_Lb1ESQ_SR_ST_SU_SY_EESZ_S10_S11_S12_S16_S17_S18_S1B_S1C_jS1D_jS1E_S1E_jjS1G_bEUljE0_EEESZ_S10_S11_S18_S1C_S1E_T6_T7_T9_mT8_S1G_bDpT10_ENKUlT_T0_E_clISt17integral_constantIbLb0EES1T_IbLb1EEEEDaS1P_S1Q_EUlS1P_E_NS1_11comp_targetILNS1_3genE5ELNS1_11target_archE942ELNS1_3gpuE9ELNS1_3repE0EEENS1_30default_config_static_selectorELNS0_4arch9wavefront6targetE0EEEvS12_
	.p2align	8
	.type	_ZN7rocprim17ROCPRIM_400000_NS6detail17trampoline_kernelINS0_13select_configILj256ELj13ELNS0_17block_load_methodE3ELS4_3ELS4_3ELNS0_20block_scan_algorithmE0ELj4294967295EEENS1_25partition_config_selectorILNS1_17partition_subalgoE4EjNS0_10empty_typeEbEEZZNS1_14partition_implILS8_4ELb0ES6_15HIP_vector_typeIjLj2EENS0_17counting_iteratorIjlEEPS9_SG_NS0_5tupleIJPjSI_NS0_16reverse_iteratorISI_EEEEENSH_IJSG_SG_SG_EEES9_SI_JZNS1_25segmented_radix_sort_implINS0_14default_configELb1EPKaPaPKlPlN2at6native12_GLOBAL__N_18offset_tEEE10hipError_tPvRmT1_PNSt15iterator_traitsIS12_E10value_typeET2_T3_PNS13_IS18_E10value_typeET4_jRbjT5_S1E_jjP12ihipStream_tbEUljE_ZNSN_ISO_Lb1ESQ_SR_ST_SU_SY_EESZ_S10_S11_S12_S16_S17_S18_S1B_S1C_jS1D_jS1E_S1E_jjS1G_bEUljE0_EEESZ_S10_S11_S18_S1C_S1E_T6_T7_T9_mT8_S1G_bDpT10_ENKUlT_T0_E_clISt17integral_constantIbLb0EES1T_IbLb1EEEEDaS1P_S1Q_EUlS1P_E_NS1_11comp_targetILNS1_3genE5ELNS1_11target_archE942ELNS1_3gpuE9ELNS1_3repE0EEENS1_30default_config_static_selectorELNS0_4arch9wavefront6targetE0EEEvS12_,@function
_ZN7rocprim17ROCPRIM_400000_NS6detail17trampoline_kernelINS0_13select_configILj256ELj13ELNS0_17block_load_methodE3ELS4_3ELS4_3ELNS0_20block_scan_algorithmE0ELj4294967295EEENS1_25partition_config_selectorILNS1_17partition_subalgoE4EjNS0_10empty_typeEbEEZZNS1_14partition_implILS8_4ELb0ES6_15HIP_vector_typeIjLj2EENS0_17counting_iteratorIjlEEPS9_SG_NS0_5tupleIJPjSI_NS0_16reverse_iteratorISI_EEEEENSH_IJSG_SG_SG_EEES9_SI_JZNS1_25segmented_radix_sort_implINS0_14default_configELb1EPKaPaPKlPlN2at6native12_GLOBAL__N_18offset_tEEE10hipError_tPvRmT1_PNSt15iterator_traitsIS12_E10value_typeET2_T3_PNS13_IS18_E10value_typeET4_jRbjT5_S1E_jjP12ihipStream_tbEUljE_ZNSN_ISO_Lb1ESQ_SR_ST_SU_SY_EESZ_S10_S11_S12_S16_S17_S18_S1B_S1C_jS1D_jS1E_S1E_jjS1G_bEUljE0_EEESZ_S10_S11_S18_S1C_S1E_T6_T7_T9_mT8_S1G_bDpT10_ENKUlT_T0_E_clISt17integral_constantIbLb0EES1T_IbLb1EEEEDaS1P_S1Q_EUlS1P_E_NS1_11comp_targetILNS1_3genE5ELNS1_11target_archE942ELNS1_3gpuE9ELNS1_3repE0EEENS1_30default_config_static_selectorELNS0_4arch9wavefront6targetE0EEEvS12_: ; @_ZN7rocprim17ROCPRIM_400000_NS6detail17trampoline_kernelINS0_13select_configILj256ELj13ELNS0_17block_load_methodE3ELS4_3ELS4_3ELNS0_20block_scan_algorithmE0ELj4294967295EEENS1_25partition_config_selectorILNS1_17partition_subalgoE4EjNS0_10empty_typeEbEEZZNS1_14partition_implILS8_4ELb0ES6_15HIP_vector_typeIjLj2EENS0_17counting_iteratorIjlEEPS9_SG_NS0_5tupleIJPjSI_NS0_16reverse_iteratorISI_EEEEENSH_IJSG_SG_SG_EEES9_SI_JZNS1_25segmented_radix_sort_implINS0_14default_configELb1EPKaPaPKlPlN2at6native12_GLOBAL__N_18offset_tEEE10hipError_tPvRmT1_PNSt15iterator_traitsIS12_E10value_typeET2_T3_PNS13_IS18_E10value_typeET4_jRbjT5_S1E_jjP12ihipStream_tbEUljE_ZNSN_ISO_Lb1ESQ_SR_ST_SU_SY_EESZ_S10_S11_S12_S16_S17_S18_S1B_S1C_jS1D_jS1E_S1E_jjS1G_bEUljE0_EEESZ_S10_S11_S18_S1C_S1E_T6_T7_T9_mT8_S1G_bDpT10_ENKUlT_T0_E_clISt17integral_constantIbLb0EES1T_IbLb1EEEEDaS1P_S1Q_EUlS1P_E_NS1_11comp_targetILNS1_3genE5ELNS1_11target_archE942ELNS1_3gpuE9ELNS1_3repE0EEENS1_30default_config_static_selectorELNS0_4arch9wavefront6targetE0EEEvS12_
; %bb.0:
	.section	.rodata,"a",@progbits
	.p2align	6, 0x0
	.amdhsa_kernel _ZN7rocprim17ROCPRIM_400000_NS6detail17trampoline_kernelINS0_13select_configILj256ELj13ELNS0_17block_load_methodE3ELS4_3ELS4_3ELNS0_20block_scan_algorithmE0ELj4294967295EEENS1_25partition_config_selectorILNS1_17partition_subalgoE4EjNS0_10empty_typeEbEEZZNS1_14partition_implILS8_4ELb0ES6_15HIP_vector_typeIjLj2EENS0_17counting_iteratorIjlEEPS9_SG_NS0_5tupleIJPjSI_NS0_16reverse_iteratorISI_EEEEENSH_IJSG_SG_SG_EEES9_SI_JZNS1_25segmented_radix_sort_implINS0_14default_configELb1EPKaPaPKlPlN2at6native12_GLOBAL__N_18offset_tEEE10hipError_tPvRmT1_PNSt15iterator_traitsIS12_E10value_typeET2_T3_PNS13_IS18_E10value_typeET4_jRbjT5_S1E_jjP12ihipStream_tbEUljE_ZNSN_ISO_Lb1ESQ_SR_ST_SU_SY_EESZ_S10_S11_S12_S16_S17_S18_S1B_S1C_jS1D_jS1E_S1E_jjS1G_bEUljE0_EEESZ_S10_S11_S18_S1C_S1E_T6_T7_T9_mT8_S1G_bDpT10_ENKUlT_T0_E_clISt17integral_constantIbLb0EES1T_IbLb1EEEEDaS1P_S1Q_EUlS1P_E_NS1_11comp_targetILNS1_3genE5ELNS1_11target_archE942ELNS1_3gpuE9ELNS1_3repE0EEENS1_30default_config_static_selectorELNS0_4arch9wavefront6targetE0EEEvS12_
		.amdhsa_group_segment_fixed_size 0
		.amdhsa_private_segment_fixed_size 0
		.amdhsa_kernarg_size 184
		.amdhsa_user_sgpr_count 2
		.amdhsa_user_sgpr_dispatch_ptr 0
		.amdhsa_user_sgpr_queue_ptr 0
		.amdhsa_user_sgpr_kernarg_segment_ptr 1
		.amdhsa_user_sgpr_dispatch_id 0
		.amdhsa_user_sgpr_private_segment_size 0
		.amdhsa_wavefront_size32 1
		.amdhsa_uses_dynamic_stack 0
		.amdhsa_enable_private_segment 0
		.amdhsa_system_sgpr_workgroup_id_x 1
		.amdhsa_system_sgpr_workgroup_id_y 0
		.amdhsa_system_sgpr_workgroup_id_z 0
		.amdhsa_system_sgpr_workgroup_info 0
		.amdhsa_system_vgpr_workitem_id 0
		.amdhsa_next_free_vgpr 1
		.amdhsa_next_free_sgpr 1
		.amdhsa_reserve_vcc 0
		.amdhsa_float_round_mode_32 0
		.amdhsa_float_round_mode_16_64 0
		.amdhsa_float_denorm_mode_32 3
		.amdhsa_float_denorm_mode_16_64 3
		.amdhsa_fp16_overflow 0
		.amdhsa_workgroup_processor_mode 1
		.amdhsa_memory_ordered 1
		.amdhsa_forward_progress 1
		.amdhsa_inst_pref_size 0
		.amdhsa_round_robin_scheduling 0
		.amdhsa_exception_fp_ieee_invalid_op 0
		.amdhsa_exception_fp_denorm_src 0
		.amdhsa_exception_fp_ieee_div_zero 0
		.amdhsa_exception_fp_ieee_overflow 0
		.amdhsa_exception_fp_ieee_underflow 0
		.amdhsa_exception_fp_ieee_inexact 0
		.amdhsa_exception_int_div_zero 0
	.end_amdhsa_kernel
	.section	.text._ZN7rocprim17ROCPRIM_400000_NS6detail17trampoline_kernelINS0_13select_configILj256ELj13ELNS0_17block_load_methodE3ELS4_3ELS4_3ELNS0_20block_scan_algorithmE0ELj4294967295EEENS1_25partition_config_selectorILNS1_17partition_subalgoE4EjNS0_10empty_typeEbEEZZNS1_14partition_implILS8_4ELb0ES6_15HIP_vector_typeIjLj2EENS0_17counting_iteratorIjlEEPS9_SG_NS0_5tupleIJPjSI_NS0_16reverse_iteratorISI_EEEEENSH_IJSG_SG_SG_EEES9_SI_JZNS1_25segmented_radix_sort_implINS0_14default_configELb1EPKaPaPKlPlN2at6native12_GLOBAL__N_18offset_tEEE10hipError_tPvRmT1_PNSt15iterator_traitsIS12_E10value_typeET2_T3_PNS13_IS18_E10value_typeET4_jRbjT5_S1E_jjP12ihipStream_tbEUljE_ZNSN_ISO_Lb1ESQ_SR_ST_SU_SY_EESZ_S10_S11_S12_S16_S17_S18_S1B_S1C_jS1D_jS1E_S1E_jjS1G_bEUljE0_EEESZ_S10_S11_S18_S1C_S1E_T6_T7_T9_mT8_S1G_bDpT10_ENKUlT_T0_E_clISt17integral_constantIbLb0EES1T_IbLb1EEEEDaS1P_S1Q_EUlS1P_E_NS1_11comp_targetILNS1_3genE5ELNS1_11target_archE942ELNS1_3gpuE9ELNS1_3repE0EEENS1_30default_config_static_selectorELNS0_4arch9wavefront6targetE0EEEvS12_,"axG",@progbits,_ZN7rocprim17ROCPRIM_400000_NS6detail17trampoline_kernelINS0_13select_configILj256ELj13ELNS0_17block_load_methodE3ELS4_3ELS4_3ELNS0_20block_scan_algorithmE0ELj4294967295EEENS1_25partition_config_selectorILNS1_17partition_subalgoE4EjNS0_10empty_typeEbEEZZNS1_14partition_implILS8_4ELb0ES6_15HIP_vector_typeIjLj2EENS0_17counting_iteratorIjlEEPS9_SG_NS0_5tupleIJPjSI_NS0_16reverse_iteratorISI_EEEEENSH_IJSG_SG_SG_EEES9_SI_JZNS1_25segmented_radix_sort_implINS0_14default_configELb1EPKaPaPKlPlN2at6native12_GLOBAL__N_18offset_tEEE10hipError_tPvRmT1_PNSt15iterator_traitsIS12_E10value_typeET2_T3_PNS13_IS18_E10value_typeET4_jRbjT5_S1E_jjP12ihipStream_tbEUljE_ZNSN_ISO_Lb1ESQ_SR_ST_SU_SY_EESZ_S10_S11_S12_S16_S17_S18_S1B_S1C_jS1D_jS1E_S1E_jjS1G_bEUljE0_EEESZ_S10_S11_S18_S1C_S1E_T6_T7_T9_mT8_S1G_bDpT10_ENKUlT_T0_E_clISt17integral_constantIbLb0EES1T_IbLb1EEEEDaS1P_S1Q_EUlS1P_E_NS1_11comp_targetILNS1_3genE5ELNS1_11target_archE942ELNS1_3gpuE9ELNS1_3repE0EEENS1_30default_config_static_selectorELNS0_4arch9wavefront6targetE0EEEvS12_,comdat
.Lfunc_end251:
	.size	_ZN7rocprim17ROCPRIM_400000_NS6detail17trampoline_kernelINS0_13select_configILj256ELj13ELNS0_17block_load_methodE3ELS4_3ELS4_3ELNS0_20block_scan_algorithmE0ELj4294967295EEENS1_25partition_config_selectorILNS1_17partition_subalgoE4EjNS0_10empty_typeEbEEZZNS1_14partition_implILS8_4ELb0ES6_15HIP_vector_typeIjLj2EENS0_17counting_iteratorIjlEEPS9_SG_NS0_5tupleIJPjSI_NS0_16reverse_iteratorISI_EEEEENSH_IJSG_SG_SG_EEES9_SI_JZNS1_25segmented_radix_sort_implINS0_14default_configELb1EPKaPaPKlPlN2at6native12_GLOBAL__N_18offset_tEEE10hipError_tPvRmT1_PNSt15iterator_traitsIS12_E10value_typeET2_T3_PNS13_IS18_E10value_typeET4_jRbjT5_S1E_jjP12ihipStream_tbEUljE_ZNSN_ISO_Lb1ESQ_SR_ST_SU_SY_EESZ_S10_S11_S12_S16_S17_S18_S1B_S1C_jS1D_jS1E_S1E_jjS1G_bEUljE0_EEESZ_S10_S11_S18_S1C_S1E_T6_T7_T9_mT8_S1G_bDpT10_ENKUlT_T0_E_clISt17integral_constantIbLb0EES1T_IbLb1EEEEDaS1P_S1Q_EUlS1P_E_NS1_11comp_targetILNS1_3genE5ELNS1_11target_archE942ELNS1_3gpuE9ELNS1_3repE0EEENS1_30default_config_static_selectorELNS0_4arch9wavefront6targetE0EEEvS12_, .Lfunc_end251-_ZN7rocprim17ROCPRIM_400000_NS6detail17trampoline_kernelINS0_13select_configILj256ELj13ELNS0_17block_load_methodE3ELS4_3ELS4_3ELNS0_20block_scan_algorithmE0ELj4294967295EEENS1_25partition_config_selectorILNS1_17partition_subalgoE4EjNS0_10empty_typeEbEEZZNS1_14partition_implILS8_4ELb0ES6_15HIP_vector_typeIjLj2EENS0_17counting_iteratorIjlEEPS9_SG_NS0_5tupleIJPjSI_NS0_16reverse_iteratorISI_EEEEENSH_IJSG_SG_SG_EEES9_SI_JZNS1_25segmented_radix_sort_implINS0_14default_configELb1EPKaPaPKlPlN2at6native12_GLOBAL__N_18offset_tEEE10hipError_tPvRmT1_PNSt15iterator_traitsIS12_E10value_typeET2_T3_PNS13_IS18_E10value_typeET4_jRbjT5_S1E_jjP12ihipStream_tbEUljE_ZNSN_ISO_Lb1ESQ_SR_ST_SU_SY_EESZ_S10_S11_S12_S16_S17_S18_S1B_S1C_jS1D_jS1E_S1E_jjS1G_bEUljE0_EEESZ_S10_S11_S18_S1C_S1E_T6_T7_T9_mT8_S1G_bDpT10_ENKUlT_T0_E_clISt17integral_constantIbLb0EES1T_IbLb1EEEEDaS1P_S1Q_EUlS1P_E_NS1_11comp_targetILNS1_3genE5ELNS1_11target_archE942ELNS1_3gpuE9ELNS1_3repE0EEENS1_30default_config_static_selectorELNS0_4arch9wavefront6targetE0EEEvS12_
                                        ; -- End function
	.set _ZN7rocprim17ROCPRIM_400000_NS6detail17trampoline_kernelINS0_13select_configILj256ELj13ELNS0_17block_load_methodE3ELS4_3ELS4_3ELNS0_20block_scan_algorithmE0ELj4294967295EEENS1_25partition_config_selectorILNS1_17partition_subalgoE4EjNS0_10empty_typeEbEEZZNS1_14partition_implILS8_4ELb0ES6_15HIP_vector_typeIjLj2EENS0_17counting_iteratorIjlEEPS9_SG_NS0_5tupleIJPjSI_NS0_16reverse_iteratorISI_EEEEENSH_IJSG_SG_SG_EEES9_SI_JZNS1_25segmented_radix_sort_implINS0_14default_configELb1EPKaPaPKlPlN2at6native12_GLOBAL__N_18offset_tEEE10hipError_tPvRmT1_PNSt15iterator_traitsIS12_E10value_typeET2_T3_PNS13_IS18_E10value_typeET4_jRbjT5_S1E_jjP12ihipStream_tbEUljE_ZNSN_ISO_Lb1ESQ_SR_ST_SU_SY_EESZ_S10_S11_S12_S16_S17_S18_S1B_S1C_jS1D_jS1E_S1E_jjS1G_bEUljE0_EEESZ_S10_S11_S18_S1C_S1E_T6_T7_T9_mT8_S1G_bDpT10_ENKUlT_T0_E_clISt17integral_constantIbLb0EES1T_IbLb1EEEEDaS1P_S1Q_EUlS1P_E_NS1_11comp_targetILNS1_3genE5ELNS1_11target_archE942ELNS1_3gpuE9ELNS1_3repE0EEENS1_30default_config_static_selectorELNS0_4arch9wavefront6targetE0EEEvS12_.num_vgpr, 0
	.set _ZN7rocprim17ROCPRIM_400000_NS6detail17trampoline_kernelINS0_13select_configILj256ELj13ELNS0_17block_load_methodE3ELS4_3ELS4_3ELNS0_20block_scan_algorithmE0ELj4294967295EEENS1_25partition_config_selectorILNS1_17partition_subalgoE4EjNS0_10empty_typeEbEEZZNS1_14partition_implILS8_4ELb0ES6_15HIP_vector_typeIjLj2EENS0_17counting_iteratorIjlEEPS9_SG_NS0_5tupleIJPjSI_NS0_16reverse_iteratorISI_EEEEENSH_IJSG_SG_SG_EEES9_SI_JZNS1_25segmented_radix_sort_implINS0_14default_configELb1EPKaPaPKlPlN2at6native12_GLOBAL__N_18offset_tEEE10hipError_tPvRmT1_PNSt15iterator_traitsIS12_E10value_typeET2_T3_PNS13_IS18_E10value_typeET4_jRbjT5_S1E_jjP12ihipStream_tbEUljE_ZNSN_ISO_Lb1ESQ_SR_ST_SU_SY_EESZ_S10_S11_S12_S16_S17_S18_S1B_S1C_jS1D_jS1E_S1E_jjS1G_bEUljE0_EEESZ_S10_S11_S18_S1C_S1E_T6_T7_T9_mT8_S1G_bDpT10_ENKUlT_T0_E_clISt17integral_constantIbLb0EES1T_IbLb1EEEEDaS1P_S1Q_EUlS1P_E_NS1_11comp_targetILNS1_3genE5ELNS1_11target_archE942ELNS1_3gpuE9ELNS1_3repE0EEENS1_30default_config_static_selectorELNS0_4arch9wavefront6targetE0EEEvS12_.num_agpr, 0
	.set _ZN7rocprim17ROCPRIM_400000_NS6detail17trampoline_kernelINS0_13select_configILj256ELj13ELNS0_17block_load_methodE3ELS4_3ELS4_3ELNS0_20block_scan_algorithmE0ELj4294967295EEENS1_25partition_config_selectorILNS1_17partition_subalgoE4EjNS0_10empty_typeEbEEZZNS1_14partition_implILS8_4ELb0ES6_15HIP_vector_typeIjLj2EENS0_17counting_iteratorIjlEEPS9_SG_NS0_5tupleIJPjSI_NS0_16reverse_iteratorISI_EEEEENSH_IJSG_SG_SG_EEES9_SI_JZNS1_25segmented_radix_sort_implINS0_14default_configELb1EPKaPaPKlPlN2at6native12_GLOBAL__N_18offset_tEEE10hipError_tPvRmT1_PNSt15iterator_traitsIS12_E10value_typeET2_T3_PNS13_IS18_E10value_typeET4_jRbjT5_S1E_jjP12ihipStream_tbEUljE_ZNSN_ISO_Lb1ESQ_SR_ST_SU_SY_EESZ_S10_S11_S12_S16_S17_S18_S1B_S1C_jS1D_jS1E_S1E_jjS1G_bEUljE0_EEESZ_S10_S11_S18_S1C_S1E_T6_T7_T9_mT8_S1G_bDpT10_ENKUlT_T0_E_clISt17integral_constantIbLb0EES1T_IbLb1EEEEDaS1P_S1Q_EUlS1P_E_NS1_11comp_targetILNS1_3genE5ELNS1_11target_archE942ELNS1_3gpuE9ELNS1_3repE0EEENS1_30default_config_static_selectorELNS0_4arch9wavefront6targetE0EEEvS12_.numbered_sgpr, 0
	.set _ZN7rocprim17ROCPRIM_400000_NS6detail17trampoline_kernelINS0_13select_configILj256ELj13ELNS0_17block_load_methodE3ELS4_3ELS4_3ELNS0_20block_scan_algorithmE0ELj4294967295EEENS1_25partition_config_selectorILNS1_17partition_subalgoE4EjNS0_10empty_typeEbEEZZNS1_14partition_implILS8_4ELb0ES6_15HIP_vector_typeIjLj2EENS0_17counting_iteratorIjlEEPS9_SG_NS0_5tupleIJPjSI_NS0_16reverse_iteratorISI_EEEEENSH_IJSG_SG_SG_EEES9_SI_JZNS1_25segmented_radix_sort_implINS0_14default_configELb1EPKaPaPKlPlN2at6native12_GLOBAL__N_18offset_tEEE10hipError_tPvRmT1_PNSt15iterator_traitsIS12_E10value_typeET2_T3_PNS13_IS18_E10value_typeET4_jRbjT5_S1E_jjP12ihipStream_tbEUljE_ZNSN_ISO_Lb1ESQ_SR_ST_SU_SY_EESZ_S10_S11_S12_S16_S17_S18_S1B_S1C_jS1D_jS1E_S1E_jjS1G_bEUljE0_EEESZ_S10_S11_S18_S1C_S1E_T6_T7_T9_mT8_S1G_bDpT10_ENKUlT_T0_E_clISt17integral_constantIbLb0EES1T_IbLb1EEEEDaS1P_S1Q_EUlS1P_E_NS1_11comp_targetILNS1_3genE5ELNS1_11target_archE942ELNS1_3gpuE9ELNS1_3repE0EEENS1_30default_config_static_selectorELNS0_4arch9wavefront6targetE0EEEvS12_.num_named_barrier, 0
	.set _ZN7rocprim17ROCPRIM_400000_NS6detail17trampoline_kernelINS0_13select_configILj256ELj13ELNS0_17block_load_methodE3ELS4_3ELS4_3ELNS0_20block_scan_algorithmE0ELj4294967295EEENS1_25partition_config_selectorILNS1_17partition_subalgoE4EjNS0_10empty_typeEbEEZZNS1_14partition_implILS8_4ELb0ES6_15HIP_vector_typeIjLj2EENS0_17counting_iteratorIjlEEPS9_SG_NS0_5tupleIJPjSI_NS0_16reverse_iteratorISI_EEEEENSH_IJSG_SG_SG_EEES9_SI_JZNS1_25segmented_radix_sort_implINS0_14default_configELb1EPKaPaPKlPlN2at6native12_GLOBAL__N_18offset_tEEE10hipError_tPvRmT1_PNSt15iterator_traitsIS12_E10value_typeET2_T3_PNS13_IS18_E10value_typeET4_jRbjT5_S1E_jjP12ihipStream_tbEUljE_ZNSN_ISO_Lb1ESQ_SR_ST_SU_SY_EESZ_S10_S11_S12_S16_S17_S18_S1B_S1C_jS1D_jS1E_S1E_jjS1G_bEUljE0_EEESZ_S10_S11_S18_S1C_S1E_T6_T7_T9_mT8_S1G_bDpT10_ENKUlT_T0_E_clISt17integral_constantIbLb0EES1T_IbLb1EEEEDaS1P_S1Q_EUlS1P_E_NS1_11comp_targetILNS1_3genE5ELNS1_11target_archE942ELNS1_3gpuE9ELNS1_3repE0EEENS1_30default_config_static_selectorELNS0_4arch9wavefront6targetE0EEEvS12_.private_seg_size, 0
	.set _ZN7rocprim17ROCPRIM_400000_NS6detail17trampoline_kernelINS0_13select_configILj256ELj13ELNS0_17block_load_methodE3ELS4_3ELS4_3ELNS0_20block_scan_algorithmE0ELj4294967295EEENS1_25partition_config_selectorILNS1_17partition_subalgoE4EjNS0_10empty_typeEbEEZZNS1_14partition_implILS8_4ELb0ES6_15HIP_vector_typeIjLj2EENS0_17counting_iteratorIjlEEPS9_SG_NS0_5tupleIJPjSI_NS0_16reverse_iteratorISI_EEEEENSH_IJSG_SG_SG_EEES9_SI_JZNS1_25segmented_radix_sort_implINS0_14default_configELb1EPKaPaPKlPlN2at6native12_GLOBAL__N_18offset_tEEE10hipError_tPvRmT1_PNSt15iterator_traitsIS12_E10value_typeET2_T3_PNS13_IS18_E10value_typeET4_jRbjT5_S1E_jjP12ihipStream_tbEUljE_ZNSN_ISO_Lb1ESQ_SR_ST_SU_SY_EESZ_S10_S11_S12_S16_S17_S18_S1B_S1C_jS1D_jS1E_S1E_jjS1G_bEUljE0_EEESZ_S10_S11_S18_S1C_S1E_T6_T7_T9_mT8_S1G_bDpT10_ENKUlT_T0_E_clISt17integral_constantIbLb0EES1T_IbLb1EEEEDaS1P_S1Q_EUlS1P_E_NS1_11comp_targetILNS1_3genE5ELNS1_11target_archE942ELNS1_3gpuE9ELNS1_3repE0EEENS1_30default_config_static_selectorELNS0_4arch9wavefront6targetE0EEEvS12_.uses_vcc, 0
	.set _ZN7rocprim17ROCPRIM_400000_NS6detail17trampoline_kernelINS0_13select_configILj256ELj13ELNS0_17block_load_methodE3ELS4_3ELS4_3ELNS0_20block_scan_algorithmE0ELj4294967295EEENS1_25partition_config_selectorILNS1_17partition_subalgoE4EjNS0_10empty_typeEbEEZZNS1_14partition_implILS8_4ELb0ES6_15HIP_vector_typeIjLj2EENS0_17counting_iteratorIjlEEPS9_SG_NS0_5tupleIJPjSI_NS0_16reverse_iteratorISI_EEEEENSH_IJSG_SG_SG_EEES9_SI_JZNS1_25segmented_radix_sort_implINS0_14default_configELb1EPKaPaPKlPlN2at6native12_GLOBAL__N_18offset_tEEE10hipError_tPvRmT1_PNSt15iterator_traitsIS12_E10value_typeET2_T3_PNS13_IS18_E10value_typeET4_jRbjT5_S1E_jjP12ihipStream_tbEUljE_ZNSN_ISO_Lb1ESQ_SR_ST_SU_SY_EESZ_S10_S11_S12_S16_S17_S18_S1B_S1C_jS1D_jS1E_S1E_jjS1G_bEUljE0_EEESZ_S10_S11_S18_S1C_S1E_T6_T7_T9_mT8_S1G_bDpT10_ENKUlT_T0_E_clISt17integral_constantIbLb0EES1T_IbLb1EEEEDaS1P_S1Q_EUlS1P_E_NS1_11comp_targetILNS1_3genE5ELNS1_11target_archE942ELNS1_3gpuE9ELNS1_3repE0EEENS1_30default_config_static_selectorELNS0_4arch9wavefront6targetE0EEEvS12_.uses_flat_scratch, 0
	.set _ZN7rocprim17ROCPRIM_400000_NS6detail17trampoline_kernelINS0_13select_configILj256ELj13ELNS0_17block_load_methodE3ELS4_3ELS4_3ELNS0_20block_scan_algorithmE0ELj4294967295EEENS1_25partition_config_selectorILNS1_17partition_subalgoE4EjNS0_10empty_typeEbEEZZNS1_14partition_implILS8_4ELb0ES6_15HIP_vector_typeIjLj2EENS0_17counting_iteratorIjlEEPS9_SG_NS0_5tupleIJPjSI_NS0_16reverse_iteratorISI_EEEEENSH_IJSG_SG_SG_EEES9_SI_JZNS1_25segmented_radix_sort_implINS0_14default_configELb1EPKaPaPKlPlN2at6native12_GLOBAL__N_18offset_tEEE10hipError_tPvRmT1_PNSt15iterator_traitsIS12_E10value_typeET2_T3_PNS13_IS18_E10value_typeET4_jRbjT5_S1E_jjP12ihipStream_tbEUljE_ZNSN_ISO_Lb1ESQ_SR_ST_SU_SY_EESZ_S10_S11_S12_S16_S17_S18_S1B_S1C_jS1D_jS1E_S1E_jjS1G_bEUljE0_EEESZ_S10_S11_S18_S1C_S1E_T6_T7_T9_mT8_S1G_bDpT10_ENKUlT_T0_E_clISt17integral_constantIbLb0EES1T_IbLb1EEEEDaS1P_S1Q_EUlS1P_E_NS1_11comp_targetILNS1_3genE5ELNS1_11target_archE942ELNS1_3gpuE9ELNS1_3repE0EEENS1_30default_config_static_selectorELNS0_4arch9wavefront6targetE0EEEvS12_.has_dyn_sized_stack, 0
	.set _ZN7rocprim17ROCPRIM_400000_NS6detail17trampoline_kernelINS0_13select_configILj256ELj13ELNS0_17block_load_methodE3ELS4_3ELS4_3ELNS0_20block_scan_algorithmE0ELj4294967295EEENS1_25partition_config_selectorILNS1_17partition_subalgoE4EjNS0_10empty_typeEbEEZZNS1_14partition_implILS8_4ELb0ES6_15HIP_vector_typeIjLj2EENS0_17counting_iteratorIjlEEPS9_SG_NS0_5tupleIJPjSI_NS0_16reverse_iteratorISI_EEEEENSH_IJSG_SG_SG_EEES9_SI_JZNS1_25segmented_radix_sort_implINS0_14default_configELb1EPKaPaPKlPlN2at6native12_GLOBAL__N_18offset_tEEE10hipError_tPvRmT1_PNSt15iterator_traitsIS12_E10value_typeET2_T3_PNS13_IS18_E10value_typeET4_jRbjT5_S1E_jjP12ihipStream_tbEUljE_ZNSN_ISO_Lb1ESQ_SR_ST_SU_SY_EESZ_S10_S11_S12_S16_S17_S18_S1B_S1C_jS1D_jS1E_S1E_jjS1G_bEUljE0_EEESZ_S10_S11_S18_S1C_S1E_T6_T7_T9_mT8_S1G_bDpT10_ENKUlT_T0_E_clISt17integral_constantIbLb0EES1T_IbLb1EEEEDaS1P_S1Q_EUlS1P_E_NS1_11comp_targetILNS1_3genE5ELNS1_11target_archE942ELNS1_3gpuE9ELNS1_3repE0EEENS1_30default_config_static_selectorELNS0_4arch9wavefront6targetE0EEEvS12_.has_recursion, 0
	.set _ZN7rocprim17ROCPRIM_400000_NS6detail17trampoline_kernelINS0_13select_configILj256ELj13ELNS0_17block_load_methodE3ELS4_3ELS4_3ELNS0_20block_scan_algorithmE0ELj4294967295EEENS1_25partition_config_selectorILNS1_17partition_subalgoE4EjNS0_10empty_typeEbEEZZNS1_14partition_implILS8_4ELb0ES6_15HIP_vector_typeIjLj2EENS0_17counting_iteratorIjlEEPS9_SG_NS0_5tupleIJPjSI_NS0_16reverse_iteratorISI_EEEEENSH_IJSG_SG_SG_EEES9_SI_JZNS1_25segmented_radix_sort_implINS0_14default_configELb1EPKaPaPKlPlN2at6native12_GLOBAL__N_18offset_tEEE10hipError_tPvRmT1_PNSt15iterator_traitsIS12_E10value_typeET2_T3_PNS13_IS18_E10value_typeET4_jRbjT5_S1E_jjP12ihipStream_tbEUljE_ZNSN_ISO_Lb1ESQ_SR_ST_SU_SY_EESZ_S10_S11_S12_S16_S17_S18_S1B_S1C_jS1D_jS1E_S1E_jjS1G_bEUljE0_EEESZ_S10_S11_S18_S1C_S1E_T6_T7_T9_mT8_S1G_bDpT10_ENKUlT_T0_E_clISt17integral_constantIbLb0EES1T_IbLb1EEEEDaS1P_S1Q_EUlS1P_E_NS1_11comp_targetILNS1_3genE5ELNS1_11target_archE942ELNS1_3gpuE9ELNS1_3repE0EEENS1_30default_config_static_selectorELNS0_4arch9wavefront6targetE0EEEvS12_.has_indirect_call, 0
	.section	.AMDGPU.csdata,"",@progbits
; Kernel info:
; codeLenInByte = 0
; TotalNumSgprs: 0
; NumVgprs: 0
; ScratchSize: 0
; MemoryBound: 0
; FloatMode: 240
; IeeeMode: 1
; LDSByteSize: 0 bytes/workgroup (compile time only)
; SGPRBlocks: 0
; VGPRBlocks: 0
; NumSGPRsForWavesPerEU: 1
; NumVGPRsForWavesPerEU: 1
; Occupancy: 16
; WaveLimiterHint : 0
; COMPUTE_PGM_RSRC2:SCRATCH_EN: 0
; COMPUTE_PGM_RSRC2:USER_SGPR: 2
; COMPUTE_PGM_RSRC2:TRAP_HANDLER: 0
; COMPUTE_PGM_RSRC2:TGID_X_EN: 1
; COMPUTE_PGM_RSRC2:TGID_Y_EN: 0
; COMPUTE_PGM_RSRC2:TGID_Z_EN: 0
; COMPUTE_PGM_RSRC2:TIDIG_COMP_CNT: 0
	.section	.text._ZN7rocprim17ROCPRIM_400000_NS6detail17trampoline_kernelINS0_13select_configILj256ELj13ELNS0_17block_load_methodE3ELS4_3ELS4_3ELNS0_20block_scan_algorithmE0ELj4294967295EEENS1_25partition_config_selectorILNS1_17partition_subalgoE4EjNS0_10empty_typeEbEEZZNS1_14partition_implILS8_4ELb0ES6_15HIP_vector_typeIjLj2EENS0_17counting_iteratorIjlEEPS9_SG_NS0_5tupleIJPjSI_NS0_16reverse_iteratorISI_EEEEENSH_IJSG_SG_SG_EEES9_SI_JZNS1_25segmented_radix_sort_implINS0_14default_configELb1EPKaPaPKlPlN2at6native12_GLOBAL__N_18offset_tEEE10hipError_tPvRmT1_PNSt15iterator_traitsIS12_E10value_typeET2_T3_PNS13_IS18_E10value_typeET4_jRbjT5_S1E_jjP12ihipStream_tbEUljE_ZNSN_ISO_Lb1ESQ_SR_ST_SU_SY_EESZ_S10_S11_S12_S16_S17_S18_S1B_S1C_jS1D_jS1E_S1E_jjS1G_bEUljE0_EEESZ_S10_S11_S18_S1C_S1E_T6_T7_T9_mT8_S1G_bDpT10_ENKUlT_T0_E_clISt17integral_constantIbLb0EES1T_IbLb1EEEEDaS1P_S1Q_EUlS1P_E_NS1_11comp_targetILNS1_3genE4ELNS1_11target_archE910ELNS1_3gpuE8ELNS1_3repE0EEENS1_30default_config_static_selectorELNS0_4arch9wavefront6targetE0EEEvS12_,"axG",@progbits,_ZN7rocprim17ROCPRIM_400000_NS6detail17trampoline_kernelINS0_13select_configILj256ELj13ELNS0_17block_load_methodE3ELS4_3ELS4_3ELNS0_20block_scan_algorithmE0ELj4294967295EEENS1_25partition_config_selectorILNS1_17partition_subalgoE4EjNS0_10empty_typeEbEEZZNS1_14partition_implILS8_4ELb0ES6_15HIP_vector_typeIjLj2EENS0_17counting_iteratorIjlEEPS9_SG_NS0_5tupleIJPjSI_NS0_16reverse_iteratorISI_EEEEENSH_IJSG_SG_SG_EEES9_SI_JZNS1_25segmented_radix_sort_implINS0_14default_configELb1EPKaPaPKlPlN2at6native12_GLOBAL__N_18offset_tEEE10hipError_tPvRmT1_PNSt15iterator_traitsIS12_E10value_typeET2_T3_PNS13_IS18_E10value_typeET4_jRbjT5_S1E_jjP12ihipStream_tbEUljE_ZNSN_ISO_Lb1ESQ_SR_ST_SU_SY_EESZ_S10_S11_S12_S16_S17_S18_S1B_S1C_jS1D_jS1E_S1E_jjS1G_bEUljE0_EEESZ_S10_S11_S18_S1C_S1E_T6_T7_T9_mT8_S1G_bDpT10_ENKUlT_T0_E_clISt17integral_constantIbLb0EES1T_IbLb1EEEEDaS1P_S1Q_EUlS1P_E_NS1_11comp_targetILNS1_3genE4ELNS1_11target_archE910ELNS1_3gpuE8ELNS1_3repE0EEENS1_30default_config_static_selectorELNS0_4arch9wavefront6targetE0EEEvS12_,comdat
	.globl	_ZN7rocprim17ROCPRIM_400000_NS6detail17trampoline_kernelINS0_13select_configILj256ELj13ELNS0_17block_load_methodE3ELS4_3ELS4_3ELNS0_20block_scan_algorithmE0ELj4294967295EEENS1_25partition_config_selectorILNS1_17partition_subalgoE4EjNS0_10empty_typeEbEEZZNS1_14partition_implILS8_4ELb0ES6_15HIP_vector_typeIjLj2EENS0_17counting_iteratorIjlEEPS9_SG_NS0_5tupleIJPjSI_NS0_16reverse_iteratorISI_EEEEENSH_IJSG_SG_SG_EEES9_SI_JZNS1_25segmented_radix_sort_implINS0_14default_configELb1EPKaPaPKlPlN2at6native12_GLOBAL__N_18offset_tEEE10hipError_tPvRmT1_PNSt15iterator_traitsIS12_E10value_typeET2_T3_PNS13_IS18_E10value_typeET4_jRbjT5_S1E_jjP12ihipStream_tbEUljE_ZNSN_ISO_Lb1ESQ_SR_ST_SU_SY_EESZ_S10_S11_S12_S16_S17_S18_S1B_S1C_jS1D_jS1E_S1E_jjS1G_bEUljE0_EEESZ_S10_S11_S18_S1C_S1E_T6_T7_T9_mT8_S1G_bDpT10_ENKUlT_T0_E_clISt17integral_constantIbLb0EES1T_IbLb1EEEEDaS1P_S1Q_EUlS1P_E_NS1_11comp_targetILNS1_3genE4ELNS1_11target_archE910ELNS1_3gpuE8ELNS1_3repE0EEENS1_30default_config_static_selectorELNS0_4arch9wavefront6targetE0EEEvS12_ ; -- Begin function _ZN7rocprim17ROCPRIM_400000_NS6detail17trampoline_kernelINS0_13select_configILj256ELj13ELNS0_17block_load_methodE3ELS4_3ELS4_3ELNS0_20block_scan_algorithmE0ELj4294967295EEENS1_25partition_config_selectorILNS1_17partition_subalgoE4EjNS0_10empty_typeEbEEZZNS1_14partition_implILS8_4ELb0ES6_15HIP_vector_typeIjLj2EENS0_17counting_iteratorIjlEEPS9_SG_NS0_5tupleIJPjSI_NS0_16reverse_iteratorISI_EEEEENSH_IJSG_SG_SG_EEES9_SI_JZNS1_25segmented_radix_sort_implINS0_14default_configELb1EPKaPaPKlPlN2at6native12_GLOBAL__N_18offset_tEEE10hipError_tPvRmT1_PNSt15iterator_traitsIS12_E10value_typeET2_T3_PNS13_IS18_E10value_typeET4_jRbjT5_S1E_jjP12ihipStream_tbEUljE_ZNSN_ISO_Lb1ESQ_SR_ST_SU_SY_EESZ_S10_S11_S12_S16_S17_S18_S1B_S1C_jS1D_jS1E_S1E_jjS1G_bEUljE0_EEESZ_S10_S11_S18_S1C_S1E_T6_T7_T9_mT8_S1G_bDpT10_ENKUlT_T0_E_clISt17integral_constantIbLb0EES1T_IbLb1EEEEDaS1P_S1Q_EUlS1P_E_NS1_11comp_targetILNS1_3genE4ELNS1_11target_archE910ELNS1_3gpuE8ELNS1_3repE0EEENS1_30default_config_static_selectorELNS0_4arch9wavefront6targetE0EEEvS12_
	.p2align	8
	.type	_ZN7rocprim17ROCPRIM_400000_NS6detail17trampoline_kernelINS0_13select_configILj256ELj13ELNS0_17block_load_methodE3ELS4_3ELS4_3ELNS0_20block_scan_algorithmE0ELj4294967295EEENS1_25partition_config_selectorILNS1_17partition_subalgoE4EjNS0_10empty_typeEbEEZZNS1_14partition_implILS8_4ELb0ES6_15HIP_vector_typeIjLj2EENS0_17counting_iteratorIjlEEPS9_SG_NS0_5tupleIJPjSI_NS0_16reverse_iteratorISI_EEEEENSH_IJSG_SG_SG_EEES9_SI_JZNS1_25segmented_radix_sort_implINS0_14default_configELb1EPKaPaPKlPlN2at6native12_GLOBAL__N_18offset_tEEE10hipError_tPvRmT1_PNSt15iterator_traitsIS12_E10value_typeET2_T3_PNS13_IS18_E10value_typeET4_jRbjT5_S1E_jjP12ihipStream_tbEUljE_ZNSN_ISO_Lb1ESQ_SR_ST_SU_SY_EESZ_S10_S11_S12_S16_S17_S18_S1B_S1C_jS1D_jS1E_S1E_jjS1G_bEUljE0_EEESZ_S10_S11_S18_S1C_S1E_T6_T7_T9_mT8_S1G_bDpT10_ENKUlT_T0_E_clISt17integral_constantIbLb0EES1T_IbLb1EEEEDaS1P_S1Q_EUlS1P_E_NS1_11comp_targetILNS1_3genE4ELNS1_11target_archE910ELNS1_3gpuE8ELNS1_3repE0EEENS1_30default_config_static_selectorELNS0_4arch9wavefront6targetE0EEEvS12_,@function
_ZN7rocprim17ROCPRIM_400000_NS6detail17trampoline_kernelINS0_13select_configILj256ELj13ELNS0_17block_load_methodE3ELS4_3ELS4_3ELNS0_20block_scan_algorithmE0ELj4294967295EEENS1_25partition_config_selectorILNS1_17partition_subalgoE4EjNS0_10empty_typeEbEEZZNS1_14partition_implILS8_4ELb0ES6_15HIP_vector_typeIjLj2EENS0_17counting_iteratorIjlEEPS9_SG_NS0_5tupleIJPjSI_NS0_16reverse_iteratorISI_EEEEENSH_IJSG_SG_SG_EEES9_SI_JZNS1_25segmented_radix_sort_implINS0_14default_configELb1EPKaPaPKlPlN2at6native12_GLOBAL__N_18offset_tEEE10hipError_tPvRmT1_PNSt15iterator_traitsIS12_E10value_typeET2_T3_PNS13_IS18_E10value_typeET4_jRbjT5_S1E_jjP12ihipStream_tbEUljE_ZNSN_ISO_Lb1ESQ_SR_ST_SU_SY_EESZ_S10_S11_S12_S16_S17_S18_S1B_S1C_jS1D_jS1E_S1E_jjS1G_bEUljE0_EEESZ_S10_S11_S18_S1C_S1E_T6_T7_T9_mT8_S1G_bDpT10_ENKUlT_T0_E_clISt17integral_constantIbLb0EES1T_IbLb1EEEEDaS1P_S1Q_EUlS1P_E_NS1_11comp_targetILNS1_3genE4ELNS1_11target_archE910ELNS1_3gpuE8ELNS1_3repE0EEENS1_30default_config_static_selectorELNS0_4arch9wavefront6targetE0EEEvS12_: ; @_ZN7rocprim17ROCPRIM_400000_NS6detail17trampoline_kernelINS0_13select_configILj256ELj13ELNS0_17block_load_methodE3ELS4_3ELS4_3ELNS0_20block_scan_algorithmE0ELj4294967295EEENS1_25partition_config_selectorILNS1_17partition_subalgoE4EjNS0_10empty_typeEbEEZZNS1_14partition_implILS8_4ELb0ES6_15HIP_vector_typeIjLj2EENS0_17counting_iteratorIjlEEPS9_SG_NS0_5tupleIJPjSI_NS0_16reverse_iteratorISI_EEEEENSH_IJSG_SG_SG_EEES9_SI_JZNS1_25segmented_radix_sort_implINS0_14default_configELb1EPKaPaPKlPlN2at6native12_GLOBAL__N_18offset_tEEE10hipError_tPvRmT1_PNSt15iterator_traitsIS12_E10value_typeET2_T3_PNS13_IS18_E10value_typeET4_jRbjT5_S1E_jjP12ihipStream_tbEUljE_ZNSN_ISO_Lb1ESQ_SR_ST_SU_SY_EESZ_S10_S11_S12_S16_S17_S18_S1B_S1C_jS1D_jS1E_S1E_jjS1G_bEUljE0_EEESZ_S10_S11_S18_S1C_S1E_T6_T7_T9_mT8_S1G_bDpT10_ENKUlT_T0_E_clISt17integral_constantIbLb0EES1T_IbLb1EEEEDaS1P_S1Q_EUlS1P_E_NS1_11comp_targetILNS1_3genE4ELNS1_11target_archE910ELNS1_3gpuE8ELNS1_3repE0EEENS1_30default_config_static_selectorELNS0_4arch9wavefront6targetE0EEEvS12_
; %bb.0:
	.section	.rodata,"a",@progbits
	.p2align	6, 0x0
	.amdhsa_kernel _ZN7rocprim17ROCPRIM_400000_NS6detail17trampoline_kernelINS0_13select_configILj256ELj13ELNS0_17block_load_methodE3ELS4_3ELS4_3ELNS0_20block_scan_algorithmE0ELj4294967295EEENS1_25partition_config_selectorILNS1_17partition_subalgoE4EjNS0_10empty_typeEbEEZZNS1_14partition_implILS8_4ELb0ES6_15HIP_vector_typeIjLj2EENS0_17counting_iteratorIjlEEPS9_SG_NS0_5tupleIJPjSI_NS0_16reverse_iteratorISI_EEEEENSH_IJSG_SG_SG_EEES9_SI_JZNS1_25segmented_radix_sort_implINS0_14default_configELb1EPKaPaPKlPlN2at6native12_GLOBAL__N_18offset_tEEE10hipError_tPvRmT1_PNSt15iterator_traitsIS12_E10value_typeET2_T3_PNS13_IS18_E10value_typeET4_jRbjT5_S1E_jjP12ihipStream_tbEUljE_ZNSN_ISO_Lb1ESQ_SR_ST_SU_SY_EESZ_S10_S11_S12_S16_S17_S18_S1B_S1C_jS1D_jS1E_S1E_jjS1G_bEUljE0_EEESZ_S10_S11_S18_S1C_S1E_T6_T7_T9_mT8_S1G_bDpT10_ENKUlT_T0_E_clISt17integral_constantIbLb0EES1T_IbLb1EEEEDaS1P_S1Q_EUlS1P_E_NS1_11comp_targetILNS1_3genE4ELNS1_11target_archE910ELNS1_3gpuE8ELNS1_3repE0EEENS1_30default_config_static_selectorELNS0_4arch9wavefront6targetE0EEEvS12_
		.amdhsa_group_segment_fixed_size 0
		.amdhsa_private_segment_fixed_size 0
		.amdhsa_kernarg_size 184
		.amdhsa_user_sgpr_count 2
		.amdhsa_user_sgpr_dispatch_ptr 0
		.amdhsa_user_sgpr_queue_ptr 0
		.amdhsa_user_sgpr_kernarg_segment_ptr 1
		.amdhsa_user_sgpr_dispatch_id 0
		.amdhsa_user_sgpr_private_segment_size 0
		.amdhsa_wavefront_size32 1
		.amdhsa_uses_dynamic_stack 0
		.amdhsa_enable_private_segment 0
		.amdhsa_system_sgpr_workgroup_id_x 1
		.amdhsa_system_sgpr_workgroup_id_y 0
		.amdhsa_system_sgpr_workgroup_id_z 0
		.amdhsa_system_sgpr_workgroup_info 0
		.amdhsa_system_vgpr_workitem_id 0
		.amdhsa_next_free_vgpr 1
		.amdhsa_next_free_sgpr 1
		.amdhsa_reserve_vcc 0
		.amdhsa_float_round_mode_32 0
		.amdhsa_float_round_mode_16_64 0
		.amdhsa_float_denorm_mode_32 3
		.amdhsa_float_denorm_mode_16_64 3
		.amdhsa_fp16_overflow 0
		.amdhsa_workgroup_processor_mode 1
		.amdhsa_memory_ordered 1
		.amdhsa_forward_progress 1
		.amdhsa_inst_pref_size 0
		.amdhsa_round_robin_scheduling 0
		.amdhsa_exception_fp_ieee_invalid_op 0
		.amdhsa_exception_fp_denorm_src 0
		.amdhsa_exception_fp_ieee_div_zero 0
		.amdhsa_exception_fp_ieee_overflow 0
		.amdhsa_exception_fp_ieee_underflow 0
		.amdhsa_exception_fp_ieee_inexact 0
		.amdhsa_exception_int_div_zero 0
	.end_amdhsa_kernel
	.section	.text._ZN7rocprim17ROCPRIM_400000_NS6detail17trampoline_kernelINS0_13select_configILj256ELj13ELNS0_17block_load_methodE3ELS4_3ELS4_3ELNS0_20block_scan_algorithmE0ELj4294967295EEENS1_25partition_config_selectorILNS1_17partition_subalgoE4EjNS0_10empty_typeEbEEZZNS1_14partition_implILS8_4ELb0ES6_15HIP_vector_typeIjLj2EENS0_17counting_iteratorIjlEEPS9_SG_NS0_5tupleIJPjSI_NS0_16reverse_iteratorISI_EEEEENSH_IJSG_SG_SG_EEES9_SI_JZNS1_25segmented_radix_sort_implINS0_14default_configELb1EPKaPaPKlPlN2at6native12_GLOBAL__N_18offset_tEEE10hipError_tPvRmT1_PNSt15iterator_traitsIS12_E10value_typeET2_T3_PNS13_IS18_E10value_typeET4_jRbjT5_S1E_jjP12ihipStream_tbEUljE_ZNSN_ISO_Lb1ESQ_SR_ST_SU_SY_EESZ_S10_S11_S12_S16_S17_S18_S1B_S1C_jS1D_jS1E_S1E_jjS1G_bEUljE0_EEESZ_S10_S11_S18_S1C_S1E_T6_T7_T9_mT8_S1G_bDpT10_ENKUlT_T0_E_clISt17integral_constantIbLb0EES1T_IbLb1EEEEDaS1P_S1Q_EUlS1P_E_NS1_11comp_targetILNS1_3genE4ELNS1_11target_archE910ELNS1_3gpuE8ELNS1_3repE0EEENS1_30default_config_static_selectorELNS0_4arch9wavefront6targetE0EEEvS12_,"axG",@progbits,_ZN7rocprim17ROCPRIM_400000_NS6detail17trampoline_kernelINS0_13select_configILj256ELj13ELNS0_17block_load_methodE3ELS4_3ELS4_3ELNS0_20block_scan_algorithmE0ELj4294967295EEENS1_25partition_config_selectorILNS1_17partition_subalgoE4EjNS0_10empty_typeEbEEZZNS1_14partition_implILS8_4ELb0ES6_15HIP_vector_typeIjLj2EENS0_17counting_iteratorIjlEEPS9_SG_NS0_5tupleIJPjSI_NS0_16reverse_iteratorISI_EEEEENSH_IJSG_SG_SG_EEES9_SI_JZNS1_25segmented_radix_sort_implINS0_14default_configELb1EPKaPaPKlPlN2at6native12_GLOBAL__N_18offset_tEEE10hipError_tPvRmT1_PNSt15iterator_traitsIS12_E10value_typeET2_T3_PNS13_IS18_E10value_typeET4_jRbjT5_S1E_jjP12ihipStream_tbEUljE_ZNSN_ISO_Lb1ESQ_SR_ST_SU_SY_EESZ_S10_S11_S12_S16_S17_S18_S1B_S1C_jS1D_jS1E_S1E_jjS1G_bEUljE0_EEESZ_S10_S11_S18_S1C_S1E_T6_T7_T9_mT8_S1G_bDpT10_ENKUlT_T0_E_clISt17integral_constantIbLb0EES1T_IbLb1EEEEDaS1P_S1Q_EUlS1P_E_NS1_11comp_targetILNS1_3genE4ELNS1_11target_archE910ELNS1_3gpuE8ELNS1_3repE0EEENS1_30default_config_static_selectorELNS0_4arch9wavefront6targetE0EEEvS12_,comdat
.Lfunc_end252:
	.size	_ZN7rocprim17ROCPRIM_400000_NS6detail17trampoline_kernelINS0_13select_configILj256ELj13ELNS0_17block_load_methodE3ELS4_3ELS4_3ELNS0_20block_scan_algorithmE0ELj4294967295EEENS1_25partition_config_selectorILNS1_17partition_subalgoE4EjNS0_10empty_typeEbEEZZNS1_14partition_implILS8_4ELb0ES6_15HIP_vector_typeIjLj2EENS0_17counting_iteratorIjlEEPS9_SG_NS0_5tupleIJPjSI_NS0_16reverse_iteratorISI_EEEEENSH_IJSG_SG_SG_EEES9_SI_JZNS1_25segmented_radix_sort_implINS0_14default_configELb1EPKaPaPKlPlN2at6native12_GLOBAL__N_18offset_tEEE10hipError_tPvRmT1_PNSt15iterator_traitsIS12_E10value_typeET2_T3_PNS13_IS18_E10value_typeET4_jRbjT5_S1E_jjP12ihipStream_tbEUljE_ZNSN_ISO_Lb1ESQ_SR_ST_SU_SY_EESZ_S10_S11_S12_S16_S17_S18_S1B_S1C_jS1D_jS1E_S1E_jjS1G_bEUljE0_EEESZ_S10_S11_S18_S1C_S1E_T6_T7_T9_mT8_S1G_bDpT10_ENKUlT_T0_E_clISt17integral_constantIbLb0EES1T_IbLb1EEEEDaS1P_S1Q_EUlS1P_E_NS1_11comp_targetILNS1_3genE4ELNS1_11target_archE910ELNS1_3gpuE8ELNS1_3repE0EEENS1_30default_config_static_selectorELNS0_4arch9wavefront6targetE0EEEvS12_, .Lfunc_end252-_ZN7rocprim17ROCPRIM_400000_NS6detail17trampoline_kernelINS0_13select_configILj256ELj13ELNS0_17block_load_methodE3ELS4_3ELS4_3ELNS0_20block_scan_algorithmE0ELj4294967295EEENS1_25partition_config_selectorILNS1_17partition_subalgoE4EjNS0_10empty_typeEbEEZZNS1_14partition_implILS8_4ELb0ES6_15HIP_vector_typeIjLj2EENS0_17counting_iteratorIjlEEPS9_SG_NS0_5tupleIJPjSI_NS0_16reverse_iteratorISI_EEEEENSH_IJSG_SG_SG_EEES9_SI_JZNS1_25segmented_radix_sort_implINS0_14default_configELb1EPKaPaPKlPlN2at6native12_GLOBAL__N_18offset_tEEE10hipError_tPvRmT1_PNSt15iterator_traitsIS12_E10value_typeET2_T3_PNS13_IS18_E10value_typeET4_jRbjT5_S1E_jjP12ihipStream_tbEUljE_ZNSN_ISO_Lb1ESQ_SR_ST_SU_SY_EESZ_S10_S11_S12_S16_S17_S18_S1B_S1C_jS1D_jS1E_S1E_jjS1G_bEUljE0_EEESZ_S10_S11_S18_S1C_S1E_T6_T7_T9_mT8_S1G_bDpT10_ENKUlT_T0_E_clISt17integral_constantIbLb0EES1T_IbLb1EEEEDaS1P_S1Q_EUlS1P_E_NS1_11comp_targetILNS1_3genE4ELNS1_11target_archE910ELNS1_3gpuE8ELNS1_3repE0EEENS1_30default_config_static_selectorELNS0_4arch9wavefront6targetE0EEEvS12_
                                        ; -- End function
	.set _ZN7rocprim17ROCPRIM_400000_NS6detail17trampoline_kernelINS0_13select_configILj256ELj13ELNS0_17block_load_methodE3ELS4_3ELS4_3ELNS0_20block_scan_algorithmE0ELj4294967295EEENS1_25partition_config_selectorILNS1_17partition_subalgoE4EjNS0_10empty_typeEbEEZZNS1_14partition_implILS8_4ELb0ES6_15HIP_vector_typeIjLj2EENS0_17counting_iteratorIjlEEPS9_SG_NS0_5tupleIJPjSI_NS0_16reverse_iteratorISI_EEEEENSH_IJSG_SG_SG_EEES9_SI_JZNS1_25segmented_radix_sort_implINS0_14default_configELb1EPKaPaPKlPlN2at6native12_GLOBAL__N_18offset_tEEE10hipError_tPvRmT1_PNSt15iterator_traitsIS12_E10value_typeET2_T3_PNS13_IS18_E10value_typeET4_jRbjT5_S1E_jjP12ihipStream_tbEUljE_ZNSN_ISO_Lb1ESQ_SR_ST_SU_SY_EESZ_S10_S11_S12_S16_S17_S18_S1B_S1C_jS1D_jS1E_S1E_jjS1G_bEUljE0_EEESZ_S10_S11_S18_S1C_S1E_T6_T7_T9_mT8_S1G_bDpT10_ENKUlT_T0_E_clISt17integral_constantIbLb0EES1T_IbLb1EEEEDaS1P_S1Q_EUlS1P_E_NS1_11comp_targetILNS1_3genE4ELNS1_11target_archE910ELNS1_3gpuE8ELNS1_3repE0EEENS1_30default_config_static_selectorELNS0_4arch9wavefront6targetE0EEEvS12_.num_vgpr, 0
	.set _ZN7rocprim17ROCPRIM_400000_NS6detail17trampoline_kernelINS0_13select_configILj256ELj13ELNS0_17block_load_methodE3ELS4_3ELS4_3ELNS0_20block_scan_algorithmE0ELj4294967295EEENS1_25partition_config_selectorILNS1_17partition_subalgoE4EjNS0_10empty_typeEbEEZZNS1_14partition_implILS8_4ELb0ES6_15HIP_vector_typeIjLj2EENS0_17counting_iteratorIjlEEPS9_SG_NS0_5tupleIJPjSI_NS0_16reverse_iteratorISI_EEEEENSH_IJSG_SG_SG_EEES9_SI_JZNS1_25segmented_radix_sort_implINS0_14default_configELb1EPKaPaPKlPlN2at6native12_GLOBAL__N_18offset_tEEE10hipError_tPvRmT1_PNSt15iterator_traitsIS12_E10value_typeET2_T3_PNS13_IS18_E10value_typeET4_jRbjT5_S1E_jjP12ihipStream_tbEUljE_ZNSN_ISO_Lb1ESQ_SR_ST_SU_SY_EESZ_S10_S11_S12_S16_S17_S18_S1B_S1C_jS1D_jS1E_S1E_jjS1G_bEUljE0_EEESZ_S10_S11_S18_S1C_S1E_T6_T7_T9_mT8_S1G_bDpT10_ENKUlT_T0_E_clISt17integral_constantIbLb0EES1T_IbLb1EEEEDaS1P_S1Q_EUlS1P_E_NS1_11comp_targetILNS1_3genE4ELNS1_11target_archE910ELNS1_3gpuE8ELNS1_3repE0EEENS1_30default_config_static_selectorELNS0_4arch9wavefront6targetE0EEEvS12_.num_agpr, 0
	.set _ZN7rocprim17ROCPRIM_400000_NS6detail17trampoline_kernelINS0_13select_configILj256ELj13ELNS0_17block_load_methodE3ELS4_3ELS4_3ELNS0_20block_scan_algorithmE0ELj4294967295EEENS1_25partition_config_selectorILNS1_17partition_subalgoE4EjNS0_10empty_typeEbEEZZNS1_14partition_implILS8_4ELb0ES6_15HIP_vector_typeIjLj2EENS0_17counting_iteratorIjlEEPS9_SG_NS0_5tupleIJPjSI_NS0_16reverse_iteratorISI_EEEEENSH_IJSG_SG_SG_EEES9_SI_JZNS1_25segmented_radix_sort_implINS0_14default_configELb1EPKaPaPKlPlN2at6native12_GLOBAL__N_18offset_tEEE10hipError_tPvRmT1_PNSt15iterator_traitsIS12_E10value_typeET2_T3_PNS13_IS18_E10value_typeET4_jRbjT5_S1E_jjP12ihipStream_tbEUljE_ZNSN_ISO_Lb1ESQ_SR_ST_SU_SY_EESZ_S10_S11_S12_S16_S17_S18_S1B_S1C_jS1D_jS1E_S1E_jjS1G_bEUljE0_EEESZ_S10_S11_S18_S1C_S1E_T6_T7_T9_mT8_S1G_bDpT10_ENKUlT_T0_E_clISt17integral_constantIbLb0EES1T_IbLb1EEEEDaS1P_S1Q_EUlS1P_E_NS1_11comp_targetILNS1_3genE4ELNS1_11target_archE910ELNS1_3gpuE8ELNS1_3repE0EEENS1_30default_config_static_selectorELNS0_4arch9wavefront6targetE0EEEvS12_.numbered_sgpr, 0
	.set _ZN7rocprim17ROCPRIM_400000_NS6detail17trampoline_kernelINS0_13select_configILj256ELj13ELNS0_17block_load_methodE3ELS4_3ELS4_3ELNS0_20block_scan_algorithmE0ELj4294967295EEENS1_25partition_config_selectorILNS1_17partition_subalgoE4EjNS0_10empty_typeEbEEZZNS1_14partition_implILS8_4ELb0ES6_15HIP_vector_typeIjLj2EENS0_17counting_iteratorIjlEEPS9_SG_NS0_5tupleIJPjSI_NS0_16reverse_iteratorISI_EEEEENSH_IJSG_SG_SG_EEES9_SI_JZNS1_25segmented_radix_sort_implINS0_14default_configELb1EPKaPaPKlPlN2at6native12_GLOBAL__N_18offset_tEEE10hipError_tPvRmT1_PNSt15iterator_traitsIS12_E10value_typeET2_T3_PNS13_IS18_E10value_typeET4_jRbjT5_S1E_jjP12ihipStream_tbEUljE_ZNSN_ISO_Lb1ESQ_SR_ST_SU_SY_EESZ_S10_S11_S12_S16_S17_S18_S1B_S1C_jS1D_jS1E_S1E_jjS1G_bEUljE0_EEESZ_S10_S11_S18_S1C_S1E_T6_T7_T9_mT8_S1G_bDpT10_ENKUlT_T0_E_clISt17integral_constantIbLb0EES1T_IbLb1EEEEDaS1P_S1Q_EUlS1P_E_NS1_11comp_targetILNS1_3genE4ELNS1_11target_archE910ELNS1_3gpuE8ELNS1_3repE0EEENS1_30default_config_static_selectorELNS0_4arch9wavefront6targetE0EEEvS12_.num_named_barrier, 0
	.set _ZN7rocprim17ROCPRIM_400000_NS6detail17trampoline_kernelINS0_13select_configILj256ELj13ELNS0_17block_load_methodE3ELS4_3ELS4_3ELNS0_20block_scan_algorithmE0ELj4294967295EEENS1_25partition_config_selectorILNS1_17partition_subalgoE4EjNS0_10empty_typeEbEEZZNS1_14partition_implILS8_4ELb0ES6_15HIP_vector_typeIjLj2EENS0_17counting_iteratorIjlEEPS9_SG_NS0_5tupleIJPjSI_NS0_16reverse_iteratorISI_EEEEENSH_IJSG_SG_SG_EEES9_SI_JZNS1_25segmented_radix_sort_implINS0_14default_configELb1EPKaPaPKlPlN2at6native12_GLOBAL__N_18offset_tEEE10hipError_tPvRmT1_PNSt15iterator_traitsIS12_E10value_typeET2_T3_PNS13_IS18_E10value_typeET4_jRbjT5_S1E_jjP12ihipStream_tbEUljE_ZNSN_ISO_Lb1ESQ_SR_ST_SU_SY_EESZ_S10_S11_S12_S16_S17_S18_S1B_S1C_jS1D_jS1E_S1E_jjS1G_bEUljE0_EEESZ_S10_S11_S18_S1C_S1E_T6_T7_T9_mT8_S1G_bDpT10_ENKUlT_T0_E_clISt17integral_constantIbLb0EES1T_IbLb1EEEEDaS1P_S1Q_EUlS1P_E_NS1_11comp_targetILNS1_3genE4ELNS1_11target_archE910ELNS1_3gpuE8ELNS1_3repE0EEENS1_30default_config_static_selectorELNS0_4arch9wavefront6targetE0EEEvS12_.private_seg_size, 0
	.set _ZN7rocprim17ROCPRIM_400000_NS6detail17trampoline_kernelINS0_13select_configILj256ELj13ELNS0_17block_load_methodE3ELS4_3ELS4_3ELNS0_20block_scan_algorithmE0ELj4294967295EEENS1_25partition_config_selectorILNS1_17partition_subalgoE4EjNS0_10empty_typeEbEEZZNS1_14partition_implILS8_4ELb0ES6_15HIP_vector_typeIjLj2EENS0_17counting_iteratorIjlEEPS9_SG_NS0_5tupleIJPjSI_NS0_16reverse_iteratorISI_EEEEENSH_IJSG_SG_SG_EEES9_SI_JZNS1_25segmented_radix_sort_implINS0_14default_configELb1EPKaPaPKlPlN2at6native12_GLOBAL__N_18offset_tEEE10hipError_tPvRmT1_PNSt15iterator_traitsIS12_E10value_typeET2_T3_PNS13_IS18_E10value_typeET4_jRbjT5_S1E_jjP12ihipStream_tbEUljE_ZNSN_ISO_Lb1ESQ_SR_ST_SU_SY_EESZ_S10_S11_S12_S16_S17_S18_S1B_S1C_jS1D_jS1E_S1E_jjS1G_bEUljE0_EEESZ_S10_S11_S18_S1C_S1E_T6_T7_T9_mT8_S1G_bDpT10_ENKUlT_T0_E_clISt17integral_constantIbLb0EES1T_IbLb1EEEEDaS1P_S1Q_EUlS1P_E_NS1_11comp_targetILNS1_3genE4ELNS1_11target_archE910ELNS1_3gpuE8ELNS1_3repE0EEENS1_30default_config_static_selectorELNS0_4arch9wavefront6targetE0EEEvS12_.uses_vcc, 0
	.set _ZN7rocprim17ROCPRIM_400000_NS6detail17trampoline_kernelINS0_13select_configILj256ELj13ELNS0_17block_load_methodE3ELS4_3ELS4_3ELNS0_20block_scan_algorithmE0ELj4294967295EEENS1_25partition_config_selectorILNS1_17partition_subalgoE4EjNS0_10empty_typeEbEEZZNS1_14partition_implILS8_4ELb0ES6_15HIP_vector_typeIjLj2EENS0_17counting_iteratorIjlEEPS9_SG_NS0_5tupleIJPjSI_NS0_16reverse_iteratorISI_EEEEENSH_IJSG_SG_SG_EEES9_SI_JZNS1_25segmented_radix_sort_implINS0_14default_configELb1EPKaPaPKlPlN2at6native12_GLOBAL__N_18offset_tEEE10hipError_tPvRmT1_PNSt15iterator_traitsIS12_E10value_typeET2_T3_PNS13_IS18_E10value_typeET4_jRbjT5_S1E_jjP12ihipStream_tbEUljE_ZNSN_ISO_Lb1ESQ_SR_ST_SU_SY_EESZ_S10_S11_S12_S16_S17_S18_S1B_S1C_jS1D_jS1E_S1E_jjS1G_bEUljE0_EEESZ_S10_S11_S18_S1C_S1E_T6_T7_T9_mT8_S1G_bDpT10_ENKUlT_T0_E_clISt17integral_constantIbLb0EES1T_IbLb1EEEEDaS1P_S1Q_EUlS1P_E_NS1_11comp_targetILNS1_3genE4ELNS1_11target_archE910ELNS1_3gpuE8ELNS1_3repE0EEENS1_30default_config_static_selectorELNS0_4arch9wavefront6targetE0EEEvS12_.uses_flat_scratch, 0
	.set _ZN7rocprim17ROCPRIM_400000_NS6detail17trampoline_kernelINS0_13select_configILj256ELj13ELNS0_17block_load_methodE3ELS4_3ELS4_3ELNS0_20block_scan_algorithmE0ELj4294967295EEENS1_25partition_config_selectorILNS1_17partition_subalgoE4EjNS0_10empty_typeEbEEZZNS1_14partition_implILS8_4ELb0ES6_15HIP_vector_typeIjLj2EENS0_17counting_iteratorIjlEEPS9_SG_NS0_5tupleIJPjSI_NS0_16reverse_iteratorISI_EEEEENSH_IJSG_SG_SG_EEES9_SI_JZNS1_25segmented_radix_sort_implINS0_14default_configELb1EPKaPaPKlPlN2at6native12_GLOBAL__N_18offset_tEEE10hipError_tPvRmT1_PNSt15iterator_traitsIS12_E10value_typeET2_T3_PNS13_IS18_E10value_typeET4_jRbjT5_S1E_jjP12ihipStream_tbEUljE_ZNSN_ISO_Lb1ESQ_SR_ST_SU_SY_EESZ_S10_S11_S12_S16_S17_S18_S1B_S1C_jS1D_jS1E_S1E_jjS1G_bEUljE0_EEESZ_S10_S11_S18_S1C_S1E_T6_T7_T9_mT8_S1G_bDpT10_ENKUlT_T0_E_clISt17integral_constantIbLb0EES1T_IbLb1EEEEDaS1P_S1Q_EUlS1P_E_NS1_11comp_targetILNS1_3genE4ELNS1_11target_archE910ELNS1_3gpuE8ELNS1_3repE0EEENS1_30default_config_static_selectorELNS0_4arch9wavefront6targetE0EEEvS12_.has_dyn_sized_stack, 0
	.set _ZN7rocprim17ROCPRIM_400000_NS6detail17trampoline_kernelINS0_13select_configILj256ELj13ELNS0_17block_load_methodE3ELS4_3ELS4_3ELNS0_20block_scan_algorithmE0ELj4294967295EEENS1_25partition_config_selectorILNS1_17partition_subalgoE4EjNS0_10empty_typeEbEEZZNS1_14partition_implILS8_4ELb0ES6_15HIP_vector_typeIjLj2EENS0_17counting_iteratorIjlEEPS9_SG_NS0_5tupleIJPjSI_NS0_16reverse_iteratorISI_EEEEENSH_IJSG_SG_SG_EEES9_SI_JZNS1_25segmented_radix_sort_implINS0_14default_configELb1EPKaPaPKlPlN2at6native12_GLOBAL__N_18offset_tEEE10hipError_tPvRmT1_PNSt15iterator_traitsIS12_E10value_typeET2_T3_PNS13_IS18_E10value_typeET4_jRbjT5_S1E_jjP12ihipStream_tbEUljE_ZNSN_ISO_Lb1ESQ_SR_ST_SU_SY_EESZ_S10_S11_S12_S16_S17_S18_S1B_S1C_jS1D_jS1E_S1E_jjS1G_bEUljE0_EEESZ_S10_S11_S18_S1C_S1E_T6_T7_T9_mT8_S1G_bDpT10_ENKUlT_T0_E_clISt17integral_constantIbLb0EES1T_IbLb1EEEEDaS1P_S1Q_EUlS1P_E_NS1_11comp_targetILNS1_3genE4ELNS1_11target_archE910ELNS1_3gpuE8ELNS1_3repE0EEENS1_30default_config_static_selectorELNS0_4arch9wavefront6targetE0EEEvS12_.has_recursion, 0
	.set _ZN7rocprim17ROCPRIM_400000_NS6detail17trampoline_kernelINS0_13select_configILj256ELj13ELNS0_17block_load_methodE3ELS4_3ELS4_3ELNS0_20block_scan_algorithmE0ELj4294967295EEENS1_25partition_config_selectorILNS1_17partition_subalgoE4EjNS0_10empty_typeEbEEZZNS1_14partition_implILS8_4ELb0ES6_15HIP_vector_typeIjLj2EENS0_17counting_iteratorIjlEEPS9_SG_NS0_5tupleIJPjSI_NS0_16reverse_iteratorISI_EEEEENSH_IJSG_SG_SG_EEES9_SI_JZNS1_25segmented_radix_sort_implINS0_14default_configELb1EPKaPaPKlPlN2at6native12_GLOBAL__N_18offset_tEEE10hipError_tPvRmT1_PNSt15iterator_traitsIS12_E10value_typeET2_T3_PNS13_IS18_E10value_typeET4_jRbjT5_S1E_jjP12ihipStream_tbEUljE_ZNSN_ISO_Lb1ESQ_SR_ST_SU_SY_EESZ_S10_S11_S12_S16_S17_S18_S1B_S1C_jS1D_jS1E_S1E_jjS1G_bEUljE0_EEESZ_S10_S11_S18_S1C_S1E_T6_T7_T9_mT8_S1G_bDpT10_ENKUlT_T0_E_clISt17integral_constantIbLb0EES1T_IbLb1EEEEDaS1P_S1Q_EUlS1P_E_NS1_11comp_targetILNS1_3genE4ELNS1_11target_archE910ELNS1_3gpuE8ELNS1_3repE0EEENS1_30default_config_static_selectorELNS0_4arch9wavefront6targetE0EEEvS12_.has_indirect_call, 0
	.section	.AMDGPU.csdata,"",@progbits
; Kernel info:
; codeLenInByte = 0
; TotalNumSgprs: 0
; NumVgprs: 0
; ScratchSize: 0
; MemoryBound: 0
; FloatMode: 240
; IeeeMode: 1
; LDSByteSize: 0 bytes/workgroup (compile time only)
; SGPRBlocks: 0
; VGPRBlocks: 0
; NumSGPRsForWavesPerEU: 1
; NumVGPRsForWavesPerEU: 1
; Occupancy: 16
; WaveLimiterHint : 0
; COMPUTE_PGM_RSRC2:SCRATCH_EN: 0
; COMPUTE_PGM_RSRC2:USER_SGPR: 2
; COMPUTE_PGM_RSRC2:TRAP_HANDLER: 0
; COMPUTE_PGM_RSRC2:TGID_X_EN: 1
; COMPUTE_PGM_RSRC2:TGID_Y_EN: 0
; COMPUTE_PGM_RSRC2:TGID_Z_EN: 0
; COMPUTE_PGM_RSRC2:TIDIG_COMP_CNT: 0
	.section	.text._ZN7rocprim17ROCPRIM_400000_NS6detail17trampoline_kernelINS0_13select_configILj256ELj13ELNS0_17block_load_methodE3ELS4_3ELS4_3ELNS0_20block_scan_algorithmE0ELj4294967295EEENS1_25partition_config_selectorILNS1_17partition_subalgoE4EjNS0_10empty_typeEbEEZZNS1_14partition_implILS8_4ELb0ES6_15HIP_vector_typeIjLj2EENS0_17counting_iteratorIjlEEPS9_SG_NS0_5tupleIJPjSI_NS0_16reverse_iteratorISI_EEEEENSH_IJSG_SG_SG_EEES9_SI_JZNS1_25segmented_radix_sort_implINS0_14default_configELb1EPKaPaPKlPlN2at6native12_GLOBAL__N_18offset_tEEE10hipError_tPvRmT1_PNSt15iterator_traitsIS12_E10value_typeET2_T3_PNS13_IS18_E10value_typeET4_jRbjT5_S1E_jjP12ihipStream_tbEUljE_ZNSN_ISO_Lb1ESQ_SR_ST_SU_SY_EESZ_S10_S11_S12_S16_S17_S18_S1B_S1C_jS1D_jS1E_S1E_jjS1G_bEUljE0_EEESZ_S10_S11_S18_S1C_S1E_T6_T7_T9_mT8_S1G_bDpT10_ENKUlT_T0_E_clISt17integral_constantIbLb0EES1T_IbLb1EEEEDaS1P_S1Q_EUlS1P_E_NS1_11comp_targetILNS1_3genE3ELNS1_11target_archE908ELNS1_3gpuE7ELNS1_3repE0EEENS1_30default_config_static_selectorELNS0_4arch9wavefront6targetE0EEEvS12_,"axG",@progbits,_ZN7rocprim17ROCPRIM_400000_NS6detail17trampoline_kernelINS0_13select_configILj256ELj13ELNS0_17block_load_methodE3ELS4_3ELS4_3ELNS0_20block_scan_algorithmE0ELj4294967295EEENS1_25partition_config_selectorILNS1_17partition_subalgoE4EjNS0_10empty_typeEbEEZZNS1_14partition_implILS8_4ELb0ES6_15HIP_vector_typeIjLj2EENS0_17counting_iteratorIjlEEPS9_SG_NS0_5tupleIJPjSI_NS0_16reverse_iteratorISI_EEEEENSH_IJSG_SG_SG_EEES9_SI_JZNS1_25segmented_radix_sort_implINS0_14default_configELb1EPKaPaPKlPlN2at6native12_GLOBAL__N_18offset_tEEE10hipError_tPvRmT1_PNSt15iterator_traitsIS12_E10value_typeET2_T3_PNS13_IS18_E10value_typeET4_jRbjT5_S1E_jjP12ihipStream_tbEUljE_ZNSN_ISO_Lb1ESQ_SR_ST_SU_SY_EESZ_S10_S11_S12_S16_S17_S18_S1B_S1C_jS1D_jS1E_S1E_jjS1G_bEUljE0_EEESZ_S10_S11_S18_S1C_S1E_T6_T7_T9_mT8_S1G_bDpT10_ENKUlT_T0_E_clISt17integral_constantIbLb0EES1T_IbLb1EEEEDaS1P_S1Q_EUlS1P_E_NS1_11comp_targetILNS1_3genE3ELNS1_11target_archE908ELNS1_3gpuE7ELNS1_3repE0EEENS1_30default_config_static_selectorELNS0_4arch9wavefront6targetE0EEEvS12_,comdat
	.globl	_ZN7rocprim17ROCPRIM_400000_NS6detail17trampoline_kernelINS0_13select_configILj256ELj13ELNS0_17block_load_methodE3ELS4_3ELS4_3ELNS0_20block_scan_algorithmE0ELj4294967295EEENS1_25partition_config_selectorILNS1_17partition_subalgoE4EjNS0_10empty_typeEbEEZZNS1_14partition_implILS8_4ELb0ES6_15HIP_vector_typeIjLj2EENS0_17counting_iteratorIjlEEPS9_SG_NS0_5tupleIJPjSI_NS0_16reverse_iteratorISI_EEEEENSH_IJSG_SG_SG_EEES9_SI_JZNS1_25segmented_radix_sort_implINS0_14default_configELb1EPKaPaPKlPlN2at6native12_GLOBAL__N_18offset_tEEE10hipError_tPvRmT1_PNSt15iterator_traitsIS12_E10value_typeET2_T3_PNS13_IS18_E10value_typeET4_jRbjT5_S1E_jjP12ihipStream_tbEUljE_ZNSN_ISO_Lb1ESQ_SR_ST_SU_SY_EESZ_S10_S11_S12_S16_S17_S18_S1B_S1C_jS1D_jS1E_S1E_jjS1G_bEUljE0_EEESZ_S10_S11_S18_S1C_S1E_T6_T7_T9_mT8_S1G_bDpT10_ENKUlT_T0_E_clISt17integral_constantIbLb0EES1T_IbLb1EEEEDaS1P_S1Q_EUlS1P_E_NS1_11comp_targetILNS1_3genE3ELNS1_11target_archE908ELNS1_3gpuE7ELNS1_3repE0EEENS1_30default_config_static_selectorELNS0_4arch9wavefront6targetE0EEEvS12_ ; -- Begin function _ZN7rocprim17ROCPRIM_400000_NS6detail17trampoline_kernelINS0_13select_configILj256ELj13ELNS0_17block_load_methodE3ELS4_3ELS4_3ELNS0_20block_scan_algorithmE0ELj4294967295EEENS1_25partition_config_selectorILNS1_17partition_subalgoE4EjNS0_10empty_typeEbEEZZNS1_14partition_implILS8_4ELb0ES6_15HIP_vector_typeIjLj2EENS0_17counting_iteratorIjlEEPS9_SG_NS0_5tupleIJPjSI_NS0_16reverse_iteratorISI_EEEEENSH_IJSG_SG_SG_EEES9_SI_JZNS1_25segmented_radix_sort_implINS0_14default_configELb1EPKaPaPKlPlN2at6native12_GLOBAL__N_18offset_tEEE10hipError_tPvRmT1_PNSt15iterator_traitsIS12_E10value_typeET2_T3_PNS13_IS18_E10value_typeET4_jRbjT5_S1E_jjP12ihipStream_tbEUljE_ZNSN_ISO_Lb1ESQ_SR_ST_SU_SY_EESZ_S10_S11_S12_S16_S17_S18_S1B_S1C_jS1D_jS1E_S1E_jjS1G_bEUljE0_EEESZ_S10_S11_S18_S1C_S1E_T6_T7_T9_mT8_S1G_bDpT10_ENKUlT_T0_E_clISt17integral_constantIbLb0EES1T_IbLb1EEEEDaS1P_S1Q_EUlS1P_E_NS1_11comp_targetILNS1_3genE3ELNS1_11target_archE908ELNS1_3gpuE7ELNS1_3repE0EEENS1_30default_config_static_selectorELNS0_4arch9wavefront6targetE0EEEvS12_
	.p2align	8
	.type	_ZN7rocprim17ROCPRIM_400000_NS6detail17trampoline_kernelINS0_13select_configILj256ELj13ELNS0_17block_load_methodE3ELS4_3ELS4_3ELNS0_20block_scan_algorithmE0ELj4294967295EEENS1_25partition_config_selectorILNS1_17partition_subalgoE4EjNS0_10empty_typeEbEEZZNS1_14partition_implILS8_4ELb0ES6_15HIP_vector_typeIjLj2EENS0_17counting_iteratorIjlEEPS9_SG_NS0_5tupleIJPjSI_NS0_16reverse_iteratorISI_EEEEENSH_IJSG_SG_SG_EEES9_SI_JZNS1_25segmented_radix_sort_implINS0_14default_configELb1EPKaPaPKlPlN2at6native12_GLOBAL__N_18offset_tEEE10hipError_tPvRmT1_PNSt15iterator_traitsIS12_E10value_typeET2_T3_PNS13_IS18_E10value_typeET4_jRbjT5_S1E_jjP12ihipStream_tbEUljE_ZNSN_ISO_Lb1ESQ_SR_ST_SU_SY_EESZ_S10_S11_S12_S16_S17_S18_S1B_S1C_jS1D_jS1E_S1E_jjS1G_bEUljE0_EEESZ_S10_S11_S18_S1C_S1E_T6_T7_T9_mT8_S1G_bDpT10_ENKUlT_T0_E_clISt17integral_constantIbLb0EES1T_IbLb1EEEEDaS1P_S1Q_EUlS1P_E_NS1_11comp_targetILNS1_3genE3ELNS1_11target_archE908ELNS1_3gpuE7ELNS1_3repE0EEENS1_30default_config_static_selectorELNS0_4arch9wavefront6targetE0EEEvS12_,@function
_ZN7rocprim17ROCPRIM_400000_NS6detail17trampoline_kernelINS0_13select_configILj256ELj13ELNS0_17block_load_methodE3ELS4_3ELS4_3ELNS0_20block_scan_algorithmE0ELj4294967295EEENS1_25partition_config_selectorILNS1_17partition_subalgoE4EjNS0_10empty_typeEbEEZZNS1_14partition_implILS8_4ELb0ES6_15HIP_vector_typeIjLj2EENS0_17counting_iteratorIjlEEPS9_SG_NS0_5tupleIJPjSI_NS0_16reverse_iteratorISI_EEEEENSH_IJSG_SG_SG_EEES9_SI_JZNS1_25segmented_radix_sort_implINS0_14default_configELb1EPKaPaPKlPlN2at6native12_GLOBAL__N_18offset_tEEE10hipError_tPvRmT1_PNSt15iterator_traitsIS12_E10value_typeET2_T3_PNS13_IS18_E10value_typeET4_jRbjT5_S1E_jjP12ihipStream_tbEUljE_ZNSN_ISO_Lb1ESQ_SR_ST_SU_SY_EESZ_S10_S11_S12_S16_S17_S18_S1B_S1C_jS1D_jS1E_S1E_jjS1G_bEUljE0_EEESZ_S10_S11_S18_S1C_S1E_T6_T7_T9_mT8_S1G_bDpT10_ENKUlT_T0_E_clISt17integral_constantIbLb0EES1T_IbLb1EEEEDaS1P_S1Q_EUlS1P_E_NS1_11comp_targetILNS1_3genE3ELNS1_11target_archE908ELNS1_3gpuE7ELNS1_3repE0EEENS1_30default_config_static_selectorELNS0_4arch9wavefront6targetE0EEEvS12_: ; @_ZN7rocprim17ROCPRIM_400000_NS6detail17trampoline_kernelINS0_13select_configILj256ELj13ELNS0_17block_load_methodE3ELS4_3ELS4_3ELNS0_20block_scan_algorithmE0ELj4294967295EEENS1_25partition_config_selectorILNS1_17partition_subalgoE4EjNS0_10empty_typeEbEEZZNS1_14partition_implILS8_4ELb0ES6_15HIP_vector_typeIjLj2EENS0_17counting_iteratorIjlEEPS9_SG_NS0_5tupleIJPjSI_NS0_16reverse_iteratorISI_EEEEENSH_IJSG_SG_SG_EEES9_SI_JZNS1_25segmented_radix_sort_implINS0_14default_configELb1EPKaPaPKlPlN2at6native12_GLOBAL__N_18offset_tEEE10hipError_tPvRmT1_PNSt15iterator_traitsIS12_E10value_typeET2_T3_PNS13_IS18_E10value_typeET4_jRbjT5_S1E_jjP12ihipStream_tbEUljE_ZNSN_ISO_Lb1ESQ_SR_ST_SU_SY_EESZ_S10_S11_S12_S16_S17_S18_S1B_S1C_jS1D_jS1E_S1E_jjS1G_bEUljE0_EEESZ_S10_S11_S18_S1C_S1E_T6_T7_T9_mT8_S1G_bDpT10_ENKUlT_T0_E_clISt17integral_constantIbLb0EES1T_IbLb1EEEEDaS1P_S1Q_EUlS1P_E_NS1_11comp_targetILNS1_3genE3ELNS1_11target_archE908ELNS1_3gpuE7ELNS1_3repE0EEENS1_30default_config_static_selectorELNS0_4arch9wavefront6targetE0EEEvS12_
; %bb.0:
	.section	.rodata,"a",@progbits
	.p2align	6, 0x0
	.amdhsa_kernel _ZN7rocprim17ROCPRIM_400000_NS6detail17trampoline_kernelINS0_13select_configILj256ELj13ELNS0_17block_load_methodE3ELS4_3ELS4_3ELNS0_20block_scan_algorithmE0ELj4294967295EEENS1_25partition_config_selectorILNS1_17partition_subalgoE4EjNS0_10empty_typeEbEEZZNS1_14partition_implILS8_4ELb0ES6_15HIP_vector_typeIjLj2EENS0_17counting_iteratorIjlEEPS9_SG_NS0_5tupleIJPjSI_NS0_16reverse_iteratorISI_EEEEENSH_IJSG_SG_SG_EEES9_SI_JZNS1_25segmented_radix_sort_implINS0_14default_configELb1EPKaPaPKlPlN2at6native12_GLOBAL__N_18offset_tEEE10hipError_tPvRmT1_PNSt15iterator_traitsIS12_E10value_typeET2_T3_PNS13_IS18_E10value_typeET4_jRbjT5_S1E_jjP12ihipStream_tbEUljE_ZNSN_ISO_Lb1ESQ_SR_ST_SU_SY_EESZ_S10_S11_S12_S16_S17_S18_S1B_S1C_jS1D_jS1E_S1E_jjS1G_bEUljE0_EEESZ_S10_S11_S18_S1C_S1E_T6_T7_T9_mT8_S1G_bDpT10_ENKUlT_T0_E_clISt17integral_constantIbLb0EES1T_IbLb1EEEEDaS1P_S1Q_EUlS1P_E_NS1_11comp_targetILNS1_3genE3ELNS1_11target_archE908ELNS1_3gpuE7ELNS1_3repE0EEENS1_30default_config_static_selectorELNS0_4arch9wavefront6targetE0EEEvS12_
		.amdhsa_group_segment_fixed_size 0
		.amdhsa_private_segment_fixed_size 0
		.amdhsa_kernarg_size 184
		.amdhsa_user_sgpr_count 2
		.amdhsa_user_sgpr_dispatch_ptr 0
		.amdhsa_user_sgpr_queue_ptr 0
		.amdhsa_user_sgpr_kernarg_segment_ptr 1
		.amdhsa_user_sgpr_dispatch_id 0
		.amdhsa_user_sgpr_private_segment_size 0
		.amdhsa_wavefront_size32 1
		.amdhsa_uses_dynamic_stack 0
		.amdhsa_enable_private_segment 0
		.amdhsa_system_sgpr_workgroup_id_x 1
		.amdhsa_system_sgpr_workgroup_id_y 0
		.amdhsa_system_sgpr_workgroup_id_z 0
		.amdhsa_system_sgpr_workgroup_info 0
		.amdhsa_system_vgpr_workitem_id 0
		.amdhsa_next_free_vgpr 1
		.amdhsa_next_free_sgpr 1
		.amdhsa_reserve_vcc 0
		.amdhsa_float_round_mode_32 0
		.amdhsa_float_round_mode_16_64 0
		.amdhsa_float_denorm_mode_32 3
		.amdhsa_float_denorm_mode_16_64 3
		.amdhsa_fp16_overflow 0
		.amdhsa_workgroup_processor_mode 1
		.amdhsa_memory_ordered 1
		.amdhsa_forward_progress 1
		.amdhsa_inst_pref_size 0
		.amdhsa_round_robin_scheduling 0
		.amdhsa_exception_fp_ieee_invalid_op 0
		.amdhsa_exception_fp_denorm_src 0
		.amdhsa_exception_fp_ieee_div_zero 0
		.amdhsa_exception_fp_ieee_overflow 0
		.amdhsa_exception_fp_ieee_underflow 0
		.amdhsa_exception_fp_ieee_inexact 0
		.amdhsa_exception_int_div_zero 0
	.end_amdhsa_kernel
	.section	.text._ZN7rocprim17ROCPRIM_400000_NS6detail17trampoline_kernelINS0_13select_configILj256ELj13ELNS0_17block_load_methodE3ELS4_3ELS4_3ELNS0_20block_scan_algorithmE0ELj4294967295EEENS1_25partition_config_selectorILNS1_17partition_subalgoE4EjNS0_10empty_typeEbEEZZNS1_14partition_implILS8_4ELb0ES6_15HIP_vector_typeIjLj2EENS0_17counting_iteratorIjlEEPS9_SG_NS0_5tupleIJPjSI_NS0_16reverse_iteratorISI_EEEEENSH_IJSG_SG_SG_EEES9_SI_JZNS1_25segmented_radix_sort_implINS0_14default_configELb1EPKaPaPKlPlN2at6native12_GLOBAL__N_18offset_tEEE10hipError_tPvRmT1_PNSt15iterator_traitsIS12_E10value_typeET2_T3_PNS13_IS18_E10value_typeET4_jRbjT5_S1E_jjP12ihipStream_tbEUljE_ZNSN_ISO_Lb1ESQ_SR_ST_SU_SY_EESZ_S10_S11_S12_S16_S17_S18_S1B_S1C_jS1D_jS1E_S1E_jjS1G_bEUljE0_EEESZ_S10_S11_S18_S1C_S1E_T6_T7_T9_mT8_S1G_bDpT10_ENKUlT_T0_E_clISt17integral_constantIbLb0EES1T_IbLb1EEEEDaS1P_S1Q_EUlS1P_E_NS1_11comp_targetILNS1_3genE3ELNS1_11target_archE908ELNS1_3gpuE7ELNS1_3repE0EEENS1_30default_config_static_selectorELNS0_4arch9wavefront6targetE0EEEvS12_,"axG",@progbits,_ZN7rocprim17ROCPRIM_400000_NS6detail17trampoline_kernelINS0_13select_configILj256ELj13ELNS0_17block_load_methodE3ELS4_3ELS4_3ELNS0_20block_scan_algorithmE0ELj4294967295EEENS1_25partition_config_selectorILNS1_17partition_subalgoE4EjNS0_10empty_typeEbEEZZNS1_14partition_implILS8_4ELb0ES6_15HIP_vector_typeIjLj2EENS0_17counting_iteratorIjlEEPS9_SG_NS0_5tupleIJPjSI_NS0_16reverse_iteratorISI_EEEEENSH_IJSG_SG_SG_EEES9_SI_JZNS1_25segmented_radix_sort_implINS0_14default_configELb1EPKaPaPKlPlN2at6native12_GLOBAL__N_18offset_tEEE10hipError_tPvRmT1_PNSt15iterator_traitsIS12_E10value_typeET2_T3_PNS13_IS18_E10value_typeET4_jRbjT5_S1E_jjP12ihipStream_tbEUljE_ZNSN_ISO_Lb1ESQ_SR_ST_SU_SY_EESZ_S10_S11_S12_S16_S17_S18_S1B_S1C_jS1D_jS1E_S1E_jjS1G_bEUljE0_EEESZ_S10_S11_S18_S1C_S1E_T6_T7_T9_mT8_S1G_bDpT10_ENKUlT_T0_E_clISt17integral_constantIbLb0EES1T_IbLb1EEEEDaS1P_S1Q_EUlS1P_E_NS1_11comp_targetILNS1_3genE3ELNS1_11target_archE908ELNS1_3gpuE7ELNS1_3repE0EEENS1_30default_config_static_selectorELNS0_4arch9wavefront6targetE0EEEvS12_,comdat
.Lfunc_end253:
	.size	_ZN7rocprim17ROCPRIM_400000_NS6detail17trampoline_kernelINS0_13select_configILj256ELj13ELNS0_17block_load_methodE3ELS4_3ELS4_3ELNS0_20block_scan_algorithmE0ELj4294967295EEENS1_25partition_config_selectorILNS1_17partition_subalgoE4EjNS0_10empty_typeEbEEZZNS1_14partition_implILS8_4ELb0ES6_15HIP_vector_typeIjLj2EENS0_17counting_iteratorIjlEEPS9_SG_NS0_5tupleIJPjSI_NS0_16reverse_iteratorISI_EEEEENSH_IJSG_SG_SG_EEES9_SI_JZNS1_25segmented_radix_sort_implINS0_14default_configELb1EPKaPaPKlPlN2at6native12_GLOBAL__N_18offset_tEEE10hipError_tPvRmT1_PNSt15iterator_traitsIS12_E10value_typeET2_T3_PNS13_IS18_E10value_typeET4_jRbjT5_S1E_jjP12ihipStream_tbEUljE_ZNSN_ISO_Lb1ESQ_SR_ST_SU_SY_EESZ_S10_S11_S12_S16_S17_S18_S1B_S1C_jS1D_jS1E_S1E_jjS1G_bEUljE0_EEESZ_S10_S11_S18_S1C_S1E_T6_T7_T9_mT8_S1G_bDpT10_ENKUlT_T0_E_clISt17integral_constantIbLb0EES1T_IbLb1EEEEDaS1P_S1Q_EUlS1P_E_NS1_11comp_targetILNS1_3genE3ELNS1_11target_archE908ELNS1_3gpuE7ELNS1_3repE0EEENS1_30default_config_static_selectorELNS0_4arch9wavefront6targetE0EEEvS12_, .Lfunc_end253-_ZN7rocprim17ROCPRIM_400000_NS6detail17trampoline_kernelINS0_13select_configILj256ELj13ELNS0_17block_load_methodE3ELS4_3ELS4_3ELNS0_20block_scan_algorithmE0ELj4294967295EEENS1_25partition_config_selectorILNS1_17partition_subalgoE4EjNS0_10empty_typeEbEEZZNS1_14partition_implILS8_4ELb0ES6_15HIP_vector_typeIjLj2EENS0_17counting_iteratorIjlEEPS9_SG_NS0_5tupleIJPjSI_NS0_16reverse_iteratorISI_EEEEENSH_IJSG_SG_SG_EEES9_SI_JZNS1_25segmented_radix_sort_implINS0_14default_configELb1EPKaPaPKlPlN2at6native12_GLOBAL__N_18offset_tEEE10hipError_tPvRmT1_PNSt15iterator_traitsIS12_E10value_typeET2_T3_PNS13_IS18_E10value_typeET4_jRbjT5_S1E_jjP12ihipStream_tbEUljE_ZNSN_ISO_Lb1ESQ_SR_ST_SU_SY_EESZ_S10_S11_S12_S16_S17_S18_S1B_S1C_jS1D_jS1E_S1E_jjS1G_bEUljE0_EEESZ_S10_S11_S18_S1C_S1E_T6_T7_T9_mT8_S1G_bDpT10_ENKUlT_T0_E_clISt17integral_constantIbLb0EES1T_IbLb1EEEEDaS1P_S1Q_EUlS1P_E_NS1_11comp_targetILNS1_3genE3ELNS1_11target_archE908ELNS1_3gpuE7ELNS1_3repE0EEENS1_30default_config_static_selectorELNS0_4arch9wavefront6targetE0EEEvS12_
                                        ; -- End function
	.set _ZN7rocprim17ROCPRIM_400000_NS6detail17trampoline_kernelINS0_13select_configILj256ELj13ELNS0_17block_load_methodE3ELS4_3ELS4_3ELNS0_20block_scan_algorithmE0ELj4294967295EEENS1_25partition_config_selectorILNS1_17partition_subalgoE4EjNS0_10empty_typeEbEEZZNS1_14partition_implILS8_4ELb0ES6_15HIP_vector_typeIjLj2EENS0_17counting_iteratorIjlEEPS9_SG_NS0_5tupleIJPjSI_NS0_16reverse_iteratorISI_EEEEENSH_IJSG_SG_SG_EEES9_SI_JZNS1_25segmented_radix_sort_implINS0_14default_configELb1EPKaPaPKlPlN2at6native12_GLOBAL__N_18offset_tEEE10hipError_tPvRmT1_PNSt15iterator_traitsIS12_E10value_typeET2_T3_PNS13_IS18_E10value_typeET4_jRbjT5_S1E_jjP12ihipStream_tbEUljE_ZNSN_ISO_Lb1ESQ_SR_ST_SU_SY_EESZ_S10_S11_S12_S16_S17_S18_S1B_S1C_jS1D_jS1E_S1E_jjS1G_bEUljE0_EEESZ_S10_S11_S18_S1C_S1E_T6_T7_T9_mT8_S1G_bDpT10_ENKUlT_T0_E_clISt17integral_constantIbLb0EES1T_IbLb1EEEEDaS1P_S1Q_EUlS1P_E_NS1_11comp_targetILNS1_3genE3ELNS1_11target_archE908ELNS1_3gpuE7ELNS1_3repE0EEENS1_30default_config_static_selectorELNS0_4arch9wavefront6targetE0EEEvS12_.num_vgpr, 0
	.set _ZN7rocprim17ROCPRIM_400000_NS6detail17trampoline_kernelINS0_13select_configILj256ELj13ELNS0_17block_load_methodE3ELS4_3ELS4_3ELNS0_20block_scan_algorithmE0ELj4294967295EEENS1_25partition_config_selectorILNS1_17partition_subalgoE4EjNS0_10empty_typeEbEEZZNS1_14partition_implILS8_4ELb0ES6_15HIP_vector_typeIjLj2EENS0_17counting_iteratorIjlEEPS9_SG_NS0_5tupleIJPjSI_NS0_16reverse_iteratorISI_EEEEENSH_IJSG_SG_SG_EEES9_SI_JZNS1_25segmented_radix_sort_implINS0_14default_configELb1EPKaPaPKlPlN2at6native12_GLOBAL__N_18offset_tEEE10hipError_tPvRmT1_PNSt15iterator_traitsIS12_E10value_typeET2_T3_PNS13_IS18_E10value_typeET4_jRbjT5_S1E_jjP12ihipStream_tbEUljE_ZNSN_ISO_Lb1ESQ_SR_ST_SU_SY_EESZ_S10_S11_S12_S16_S17_S18_S1B_S1C_jS1D_jS1E_S1E_jjS1G_bEUljE0_EEESZ_S10_S11_S18_S1C_S1E_T6_T7_T9_mT8_S1G_bDpT10_ENKUlT_T0_E_clISt17integral_constantIbLb0EES1T_IbLb1EEEEDaS1P_S1Q_EUlS1P_E_NS1_11comp_targetILNS1_3genE3ELNS1_11target_archE908ELNS1_3gpuE7ELNS1_3repE0EEENS1_30default_config_static_selectorELNS0_4arch9wavefront6targetE0EEEvS12_.num_agpr, 0
	.set _ZN7rocprim17ROCPRIM_400000_NS6detail17trampoline_kernelINS0_13select_configILj256ELj13ELNS0_17block_load_methodE3ELS4_3ELS4_3ELNS0_20block_scan_algorithmE0ELj4294967295EEENS1_25partition_config_selectorILNS1_17partition_subalgoE4EjNS0_10empty_typeEbEEZZNS1_14partition_implILS8_4ELb0ES6_15HIP_vector_typeIjLj2EENS0_17counting_iteratorIjlEEPS9_SG_NS0_5tupleIJPjSI_NS0_16reverse_iteratorISI_EEEEENSH_IJSG_SG_SG_EEES9_SI_JZNS1_25segmented_radix_sort_implINS0_14default_configELb1EPKaPaPKlPlN2at6native12_GLOBAL__N_18offset_tEEE10hipError_tPvRmT1_PNSt15iterator_traitsIS12_E10value_typeET2_T3_PNS13_IS18_E10value_typeET4_jRbjT5_S1E_jjP12ihipStream_tbEUljE_ZNSN_ISO_Lb1ESQ_SR_ST_SU_SY_EESZ_S10_S11_S12_S16_S17_S18_S1B_S1C_jS1D_jS1E_S1E_jjS1G_bEUljE0_EEESZ_S10_S11_S18_S1C_S1E_T6_T7_T9_mT8_S1G_bDpT10_ENKUlT_T0_E_clISt17integral_constantIbLb0EES1T_IbLb1EEEEDaS1P_S1Q_EUlS1P_E_NS1_11comp_targetILNS1_3genE3ELNS1_11target_archE908ELNS1_3gpuE7ELNS1_3repE0EEENS1_30default_config_static_selectorELNS0_4arch9wavefront6targetE0EEEvS12_.numbered_sgpr, 0
	.set _ZN7rocprim17ROCPRIM_400000_NS6detail17trampoline_kernelINS0_13select_configILj256ELj13ELNS0_17block_load_methodE3ELS4_3ELS4_3ELNS0_20block_scan_algorithmE0ELj4294967295EEENS1_25partition_config_selectorILNS1_17partition_subalgoE4EjNS0_10empty_typeEbEEZZNS1_14partition_implILS8_4ELb0ES6_15HIP_vector_typeIjLj2EENS0_17counting_iteratorIjlEEPS9_SG_NS0_5tupleIJPjSI_NS0_16reverse_iteratorISI_EEEEENSH_IJSG_SG_SG_EEES9_SI_JZNS1_25segmented_radix_sort_implINS0_14default_configELb1EPKaPaPKlPlN2at6native12_GLOBAL__N_18offset_tEEE10hipError_tPvRmT1_PNSt15iterator_traitsIS12_E10value_typeET2_T3_PNS13_IS18_E10value_typeET4_jRbjT5_S1E_jjP12ihipStream_tbEUljE_ZNSN_ISO_Lb1ESQ_SR_ST_SU_SY_EESZ_S10_S11_S12_S16_S17_S18_S1B_S1C_jS1D_jS1E_S1E_jjS1G_bEUljE0_EEESZ_S10_S11_S18_S1C_S1E_T6_T7_T9_mT8_S1G_bDpT10_ENKUlT_T0_E_clISt17integral_constantIbLb0EES1T_IbLb1EEEEDaS1P_S1Q_EUlS1P_E_NS1_11comp_targetILNS1_3genE3ELNS1_11target_archE908ELNS1_3gpuE7ELNS1_3repE0EEENS1_30default_config_static_selectorELNS0_4arch9wavefront6targetE0EEEvS12_.num_named_barrier, 0
	.set _ZN7rocprim17ROCPRIM_400000_NS6detail17trampoline_kernelINS0_13select_configILj256ELj13ELNS0_17block_load_methodE3ELS4_3ELS4_3ELNS0_20block_scan_algorithmE0ELj4294967295EEENS1_25partition_config_selectorILNS1_17partition_subalgoE4EjNS0_10empty_typeEbEEZZNS1_14partition_implILS8_4ELb0ES6_15HIP_vector_typeIjLj2EENS0_17counting_iteratorIjlEEPS9_SG_NS0_5tupleIJPjSI_NS0_16reverse_iteratorISI_EEEEENSH_IJSG_SG_SG_EEES9_SI_JZNS1_25segmented_radix_sort_implINS0_14default_configELb1EPKaPaPKlPlN2at6native12_GLOBAL__N_18offset_tEEE10hipError_tPvRmT1_PNSt15iterator_traitsIS12_E10value_typeET2_T3_PNS13_IS18_E10value_typeET4_jRbjT5_S1E_jjP12ihipStream_tbEUljE_ZNSN_ISO_Lb1ESQ_SR_ST_SU_SY_EESZ_S10_S11_S12_S16_S17_S18_S1B_S1C_jS1D_jS1E_S1E_jjS1G_bEUljE0_EEESZ_S10_S11_S18_S1C_S1E_T6_T7_T9_mT8_S1G_bDpT10_ENKUlT_T0_E_clISt17integral_constantIbLb0EES1T_IbLb1EEEEDaS1P_S1Q_EUlS1P_E_NS1_11comp_targetILNS1_3genE3ELNS1_11target_archE908ELNS1_3gpuE7ELNS1_3repE0EEENS1_30default_config_static_selectorELNS0_4arch9wavefront6targetE0EEEvS12_.private_seg_size, 0
	.set _ZN7rocprim17ROCPRIM_400000_NS6detail17trampoline_kernelINS0_13select_configILj256ELj13ELNS0_17block_load_methodE3ELS4_3ELS4_3ELNS0_20block_scan_algorithmE0ELj4294967295EEENS1_25partition_config_selectorILNS1_17partition_subalgoE4EjNS0_10empty_typeEbEEZZNS1_14partition_implILS8_4ELb0ES6_15HIP_vector_typeIjLj2EENS0_17counting_iteratorIjlEEPS9_SG_NS0_5tupleIJPjSI_NS0_16reverse_iteratorISI_EEEEENSH_IJSG_SG_SG_EEES9_SI_JZNS1_25segmented_radix_sort_implINS0_14default_configELb1EPKaPaPKlPlN2at6native12_GLOBAL__N_18offset_tEEE10hipError_tPvRmT1_PNSt15iterator_traitsIS12_E10value_typeET2_T3_PNS13_IS18_E10value_typeET4_jRbjT5_S1E_jjP12ihipStream_tbEUljE_ZNSN_ISO_Lb1ESQ_SR_ST_SU_SY_EESZ_S10_S11_S12_S16_S17_S18_S1B_S1C_jS1D_jS1E_S1E_jjS1G_bEUljE0_EEESZ_S10_S11_S18_S1C_S1E_T6_T7_T9_mT8_S1G_bDpT10_ENKUlT_T0_E_clISt17integral_constantIbLb0EES1T_IbLb1EEEEDaS1P_S1Q_EUlS1P_E_NS1_11comp_targetILNS1_3genE3ELNS1_11target_archE908ELNS1_3gpuE7ELNS1_3repE0EEENS1_30default_config_static_selectorELNS0_4arch9wavefront6targetE0EEEvS12_.uses_vcc, 0
	.set _ZN7rocprim17ROCPRIM_400000_NS6detail17trampoline_kernelINS0_13select_configILj256ELj13ELNS0_17block_load_methodE3ELS4_3ELS4_3ELNS0_20block_scan_algorithmE0ELj4294967295EEENS1_25partition_config_selectorILNS1_17partition_subalgoE4EjNS0_10empty_typeEbEEZZNS1_14partition_implILS8_4ELb0ES6_15HIP_vector_typeIjLj2EENS0_17counting_iteratorIjlEEPS9_SG_NS0_5tupleIJPjSI_NS0_16reverse_iteratorISI_EEEEENSH_IJSG_SG_SG_EEES9_SI_JZNS1_25segmented_radix_sort_implINS0_14default_configELb1EPKaPaPKlPlN2at6native12_GLOBAL__N_18offset_tEEE10hipError_tPvRmT1_PNSt15iterator_traitsIS12_E10value_typeET2_T3_PNS13_IS18_E10value_typeET4_jRbjT5_S1E_jjP12ihipStream_tbEUljE_ZNSN_ISO_Lb1ESQ_SR_ST_SU_SY_EESZ_S10_S11_S12_S16_S17_S18_S1B_S1C_jS1D_jS1E_S1E_jjS1G_bEUljE0_EEESZ_S10_S11_S18_S1C_S1E_T6_T7_T9_mT8_S1G_bDpT10_ENKUlT_T0_E_clISt17integral_constantIbLb0EES1T_IbLb1EEEEDaS1P_S1Q_EUlS1P_E_NS1_11comp_targetILNS1_3genE3ELNS1_11target_archE908ELNS1_3gpuE7ELNS1_3repE0EEENS1_30default_config_static_selectorELNS0_4arch9wavefront6targetE0EEEvS12_.uses_flat_scratch, 0
	.set _ZN7rocprim17ROCPRIM_400000_NS6detail17trampoline_kernelINS0_13select_configILj256ELj13ELNS0_17block_load_methodE3ELS4_3ELS4_3ELNS0_20block_scan_algorithmE0ELj4294967295EEENS1_25partition_config_selectorILNS1_17partition_subalgoE4EjNS0_10empty_typeEbEEZZNS1_14partition_implILS8_4ELb0ES6_15HIP_vector_typeIjLj2EENS0_17counting_iteratorIjlEEPS9_SG_NS0_5tupleIJPjSI_NS0_16reverse_iteratorISI_EEEEENSH_IJSG_SG_SG_EEES9_SI_JZNS1_25segmented_radix_sort_implINS0_14default_configELb1EPKaPaPKlPlN2at6native12_GLOBAL__N_18offset_tEEE10hipError_tPvRmT1_PNSt15iterator_traitsIS12_E10value_typeET2_T3_PNS13_IS18_E10value_typeET4_jRbjT5_S1E_jjP12ihipStream_tbEUljE_ZNSN_ISO_Lb1ESQ_SR_ST_SU_SY_EESZ_S10_S11_S12_S16_S17_S18_S1B_S1C_jS1D_jS1E_S1E_jjS1G_bEUljE0_EEESZ_S10_S11_S18_S1C_S1E_T6_T7_T9_mT8_S1G_bDpT10_ENKUlT_T0_E_clISt17integral_constantIbLb0EES1T_IbLb1EEEEDaS1P_S1Q_EUlS1P_E_NS1_11comp_targetILNS1_3genE3ELNS1_11target_archE908ELNS1_3gpuE7ELNS1_3repE0EEENS1_30default_config_static_selectorELNS0_4arch9wavefront6targetE0EEEvS12_.has_dyn_sized_stack, 0
	.set _ZN7rocprim17ROCPRIM_400000_NS6detail17trampoline_kernelINS0_13select_configILj256ELj13ELNS0_17block_load_methodE3ELS4_3ELS4_3ELNS0_20block_scan_algorithmE0ELj4294967295EEENS1_25partition_config_selectorILNS1_17partition_subalgoE4EjNS0_10empty_typeEbEEZZNS1_14partition_implILS8_4ELb0ES6_15HIP_vector_typeIjLj2EENS0_17counting_iteratorIjlEEPS9_SG_NS0_5tupleIJPjSI_NS0_16reverse_iteratorISI_EEEEENSH_IJSG_SG_SG_EEES9_SI_JZNS1_25segmented_radix_sort_implINS0_14default_configELb1EPKaPaPKlPlN2at6native12_GLOBAL__N_18offset_tEEE10hipError_tPvRmT1_PNSt15iterator_traitsIS12_E10value_typeET2_T3_PNS13_IS18_E10value_typeET4_jRbjT5_S1E_jjP12ihipStream_tbEUljE_ZNSN_ISO_Lb1ESQ_SR_ST_SU_SY_EESZ_S10_S11_S12_S16_S17_S18_S1B_S1C_jS1D_jS1E_S1E_jjS1G_bEUljE0_EEESZ_S10_S11_S18_S1C_S1E_T6_T7_T9_mT8_S1G_bDpT10_ENKUlT_T0_E_clISt17integral_constantIbLb0EES1T_IbLb1EEEEDaS1P_S1Q_EUlS1P_E_NS1_11comp_targetILNS1_3genE3ELNS1_11target_archE908ELNS1_3gpuE7ELNS1_3repE0EEENS1_30default_config_static_selectorELNS0_4arch9wavefront6targetE0EEEvS12_.has_recursion, 0
	.set _ZN7rocprim17ROCPRIM_400000_NS6detail17trampoline_kernelINS0_13select_configILj256ELj13ELNS0_17block_load_methodE3ELS4_3ELS4_3ELNS0_20block_scan_algorithmE0ELj4294967295EEENS1_25partition_config_selectorILNS1_17partition_subalgoE4EjNS0_10empty_typeEbEEZZNS1_14partition_implILS8_4ELb0ES6_15HIP_vector_typeIjLj2EENS0_17counting_iteratorIjlEEPS9_SG_NS0_5tupleIJPjSI_NS0_16reverse_iteratorISI_EEEEENSH_IJSG_SG_SG_EEES9_SI_JZNS1_25segmented_radix_sort_implINS0_14default_configELb1EPKaPaPKlPlN2at6native12_GLOBAL__N_18offset_tEEE10hipError_tPvRmT1_PNSt15iterator_traitsIS12_E10value_typeET2_T3_PNS13_IS18_E10value_typeET4_jRbjT5_S1E_jjP12ihipStream_tbEUljE_ZNSN_ISO_Lb1ESQ_SR_ST_SU_SY_EESZ_S10_S11_S12_S16_S17_S18_S1B_S1C_jS1D_jS1E_S1E_jjS1G_bEUljE0_EEESZ_S10_S11_S18_S1C_S1E_T6_T7_T9_mT8_S1G_bDpT10_ENKUlT_T0_E_clISt17integral_constantIbLb0EES1T_IbLb1EEEEDaS1P_S1Q_EUlS1P_E_NS1_11comp_targetILNS1_3genE3ELNS1_11target_archE908ELNS1_3gpuE7ELNS1_3repE0EEENS1_30default_config_static_selectorELNS0_4arch9wavefront6targetE0EEEvS12_.has_indirect_call, 0
	.section	.AMDGPU.csdata,"",@progbits
; Kernel info:
; codeLenInByte = 0
; TotalNumSgprs: 0
; NumVgprs: 0
; ScratchSize: 0
; MemoryBound: 0
; FloatMode: 240
; IeeeMode: 1
; LDSByteSize: 0 bytes/workgroup (compile time only)
; SGPRBlocks: 0
; VGPRBlocks: 0
; NumSGPRsForWavesPerEU: 1
; NumVGPRsForWavesPerEU: 1
; Occupancy: 16
; WaveLimiterHint : 0
; COMPUTE_PGM_RSRC2:SCRATCH_EN: 0
; COMPUTE_PGM_RSRC2:USER_SGPR: 2
; COMPUTE_PGM_RSRC2:TRAP_HANDLER: 0
; COMPUTE_PGM_RSRC2:TGID_X_EN: 1
; COMPUTE_PGM_RSRC2:TGID_Y_EN: 0
; COMPUTE_PGM_RSRC2:TGID_Z_EN: 0
; COMPUTE_PGM_RSRC2:TIDIG_COMP_CNT: 0
	.section	.text._ZN7rocprim17ROCPRIM_400000_NS6detail17trampoline_kernelINS0_13select_configILj256ELj13ELNS0_17block_load_methodE3ELS4_3ELS4_3ELNS0_20block_scan_algorithmE0ELj4294967295EEENS1_25partition_config_selectorILNS1_17partition_subalgoE4EjNS0_10empty_typeEbEEZZNS1_14partition_implILS8_4ELb0ES6_15HIP_vector_typeIjLj2EENS0_17counting_iteratorIjlEEPS9_SG_NS0_5tupleIJPjSI_NS0_16reverse_iteratorISI_EEEEENSH_IJSG_SG_SG_EEES9_SI_JZNS1_25segmented_radix_sort_implINS0_14default_configELb1EPKaPaPKlPlN2at6native12_GLOBAL__N_18offset_tEEE10hipError_tPvRmT1_PNSt15iterator_traitsIS12_E10value_typeET2_T3_PNS13_IS18_E10value_typeET4_jRbjT5_S1E_jjP12ihipStream_tbEUljE_ZNSN_ISO_Lb1ESQ_SR_ST_SU_SY_EESZ_S10_S11_S12_S16_S17_S18_S1B_S1C_jS1D_jS1E_S1E_jjS1G_bEUljE0_EEESZ_S10_S11_S18_S1C_S1E_T6_T7_T9_mT8_S1G_bDpT10_ENKUlT_T0_E_clISt17integral_constantIbLb0EES1T_IbLb1EEEEDaS1P_S1Q_EUlS1P_E_NS1_11comp_targetILNS1_3genE2ELNS1_11target_archE906ELNS1_3gpuE6ELNS1_3repE0EEENS1_30default_config_static_selectorELNS0_4arch9wavefront6targetE0EEEvS12_,"axG",@progbits,_ZN7rocprim17ROCPRIM_400000_NS6detail17trampoline_kernelINS0_13select_configILj256ELj13ELNS0_17block_load_methodE3ELS4_3ELS4_3ELNS0_20block_scan_algorithmE0ELj4294967295EEENS1_25partition_config_selectorILNS1_17partition_subalgoE4EjNS0_10empty_typeEbEEZZNS1_14partition_implILS8_4ELb0ES6_15HIP_vector_typeIjLj2EENS0_17counting_iteratorIjlEEPS9_SG_NS0_5tupleIJPjSI_NS0_16reverse_iteratorISI_EEEEENSH_IJSG_SG_SG_EEES9_SI_JZNS1_25segmented_radix_sort_implINS0_14default_configELb1EPKaPaPKlPlN2at6native12_GLOBAL__N_18offset_tEEE10hipError_tPvRmT1_PNSt15iterator_traitsIS12_E10value_typeET2_T3_PNS13_IS18_E10value_typeET4_jRbjT5_S1E_jjP12ihipStream_tbEUljE_ZNSN_ISO_Lb1ESQ_SR_ST_SU_SY_EESZ_S10_S11_S12_S16_S17_S18_S1B_S1C_jS1D_jS1E_S1E_jjS1G_bEUljE0_EEESZ_S10_S11_S18_S1C_S1E_T6_T7_T9_mT8_S1G_bDpT10_ENKUlT_T0_E_clISt17integral_constantIbLb0EES1T_IbLb1EEEEDaS1P_S1Q_EUlS1P_E_NS1_11comp_targetILNS1_3genE2ELNS1_11target_archE906ELNS1_3gpuE6ELNS1_3repE0EEENS1_30default_config_static_selectorELNS0_4arch9wavefront6targetE0EEEvS12_,comdat
	.globl	_ZN7rocprim17ROCPRIM_400000_NS6detail17trampoline_kernelINS0_13select_configILj256ELj13ELNS0_17block_load_methodE3ELS4_3ELS4_3ELNS0_20block_scan_algorithmE0ELj4294967295EEENS1_25partition_config_selectorILNS1_17partition_subalgoE4EjNS0_10empty_typeEbEEZZNS1_14partition_implILS8_4ELb0ES6_15HIP_vector_typeIjLj2EENS0_17counting_iteratorIjlEEPS9_SG_NS0_5tupleIJPjSI_NS0_16reverse_iteratorISI_EEEEENSH_IJSG_SG_SG_EEES9_SI_JZNS1_25segmented_radix_sort_implINS0_14default_configELb1EPKaPaPKlPlN2at6native12_GLOBAL__N_18offset_tEEE10hipError_tPvRmT1_PNSt15iterator_traitsIS12_E10value_typeET2_T3_PNS13_IS18_E10value_typeET4_jRbjT5_S1E_jjP12ihipStream_tbEUljE_ZNSN_ISO_Lb1ESQ_SR_ST_SU_SY_EESZ_S10_S11_S12_S16_S17_S18_S1B_S1C_jS1D_jS1E_S1E_jjS1G_bEUljE0_EEESZ_S10_S11_S18_S1C_S1E_T6_T7_T9_mT8_S1G_bDpT10_ENKUlT_T0_E_clISt17integral_constantIbLb0EES1T_IbLb1EEEEDaS1P_S1Q_EUlS1P_E_NS1_11comp_targetILNS1_3genE2ELNS1_11target_archE906ELNS1_3gpuE6ELNS1_3repE0EEENS1_30default_config_static_selectorELNS0_4arch9wavefront6targetE0EEEvS12_ ; -- Begin function _ZN7rocprim17ROCPRIM_400000_NS6detail17trampoline_kernelINS0_13select_configILj256ELj13ELNS0_17block_load_methodE3ELS4_3ELS4_3ELNS0_20block_scan_algorithmE0ELj4294967295EEENS1_25partition_config_selectorILNS1_17partition_subalgoE4EjNS0_10empty_typeEbEEZZNS1_14partition_implILS8_4ELb0ES6_15HIP_vector_typeIjLj2EENS0_17counting_iteratorIjlEEPS9_SG_NS0_5tupleIJPjSI_NS0_16reverse_iteratorISI_EEEEENSH_IJSG_SG_SG_EEES9_SI_JZNS1_25segmented_radix_sort_implINS0_14default_configELb1EPKaPaPKlPlN2at6native12_GLOBAL__N_18offset_tEEE10hipError_tPvRmT1_PNSt15iterator_traitsIS12_E10value_typeET2_T3_PNS13_IS18_E10value_typeET4_jRbjT5_S1E_jjP12ihipStream_tbEUljE_ZNSN_ISO_Lb1ESQ_SR_ST_SU_SY_EESZ_S10_S11_S12_S16_S17_S18_S1B_S1C_jS1D_jS1E_S1E_jjS1G_bEUljE0_EEESZ_S10_S11_S18_S1C_S1E_T6_T7_T9_mT8_S1G_bDpT10_ENKUlT_T0_E_clISt17integral_constantIbLb0EES1T_IbLb1EEEEDaS1P_S1Q_EUlS1P_E_NS1_11comp_targetILNS1_3genE2ELNS1_11target_archE906ELNS1_3gpuE6ELNS1_3repE0EEENS1_30default_config_static_selectorELNS0_4arch9wavefront6targetE0EEEvS12_
	.p2align	8
	.type	_ZN7rocprim17ROCPRIM_400000_NS6detail17trampoline_kernelINS0_13select_configILj256ELj13ELNS0_17block_load_methodE3ELS4_3ELS4_3ELNS0_20block_scan_algorithmE0ELj4294967295EEENS1_25partition_config_selectorILNS1_17partition_subalgoE4EjNS0_10empty_typeEbEEZZNS1_14partition_implILS8_4ELb0ES6_15HIP_vector_typeIjLj2EENS0_17counting_iteratorIjlEEPS9_SG_NS0_5tupleIJPjSI_NS0_16reverse_iteratorISI_EEEEENSH_IJSG_SG_SG_EEES9_SI_JZNS1_25segmented_radix_sort_implINS0_14default_configELb1EPKaPaPKlPlN2at6native12_GLOBAL__N_18offset_tEEE10hipError_tPvRmT1_PNSt15iterator_traitsIS12_E10value_typeET2_T3_PNS13_IS18_E10value_typeET4_jRbjT5_S1E_jjP12ihipStream_tbEUljE_ZNSN_ISO_Lb1ESQ_SR_ST_SU_SY_EESZ_S10_S11_S12_S16_S17_S18_S1B_S1C_jS1D_jS1E_S1E_jjS1G_bEUljE0_EEESZ_S10_S11_S18_S1C_S1E_T6_T7_T9_mT8_S1G_bDpT10_ENKUlT_T0_E_clISt17integral_constantIbLb0EES1T_IbLb1EEEEDaS1P_S1Q_EUlS1P_E_NS1_11comp_targetILNS1_3genE2ELNS1_11target_archE906ELNS1_3gpuE6ELNS1_3repE0EEENS1_30default_config_static_selectorELNS0_4arch9wavefront6targetE0EEEvS12_,@function
_ZN7rocprim17ROCPRIM_400000_NS6detail17trampoline_kernelINS0_13select_configILj256ELj13ELNS0_17block_load_methodE3ELS4_3ELS4_3ELNS0_20block_scan_algorithmE0ELj4294967295EEENS1_25partition_config_selectorILNS1_17partition_subalgoE4EjNS0_10empty_typeEbEEZZNS1_14partition_implILS8_4ELb0ES6_15HIP_vector_typeIjLj2EENS0_17counting_iteratorIjlEEPS9_SG_NS0_5tupleIJPjSI_NS0_16reverse_iteratorISI_EEEEENSH_IJSG_SG_SG_EEES9_SI_JZNS1_25segmented_radix_sort_implINS0_14default_configELb1EPKaPaPKlPlN2at6native12_GLOBAL__N_18offset_tEEE10hipError_tPvRmT1_PNSt15iterator_traitsIS12_E10value_typeET2_T3_PNS13_IS18_E10value_typeET4_jRbjT5_S1E_jjP12ihipStream_tbEUljE_ZNSN_ISO_Lb1ESQ_SR_ST_SU_SY_EESZ_S10_S11_S12_S16_S17_S18_S1B_S1C_jS1D_jS1E_S1E_jjS1G_bEUljE0_EEESZ_S10_S11_S18_S1C_S1E_T6_T7_T9_mT8_S1G_bDpT10_ENKUlT_T0_E_clISt17integral_constantIbLb0EES1T_IbLb1EEEEDaS1P_S1Q_EUlS1P_E_NS1_11comp_targetILNS1_3genE2ELNS1_11target_archE906ELNS1_3gpuE6ELNS1_3repE0EEENS1_30default_config_static_selectorELNS0_4arch9wavefront6targetE0EEEvS12_: ; @_ZN7rocprim17ROCPRIM_400000_NS6detail17trampoline_kernelINS0_13select_configILj256ELj13ELNS0_17block_load_methodE3ELS4_3ELS4_3ELNS0_20block_scan_algorithmE0ELj4294967295EEENS1_25partition_config_selectorILNS1_17partition_subalgoE4EjNS0_10empty_typeEbEEZZNS1_14partition_implILS8_4ELb0ES6_15HIP_vector_typeIjLj2EENS0_17counting_iteratorIjlEEPS9_SG_NS0_5tupleIJPjSI_NS0_16reverse_iteratorISI_EEEEENSH_IJSG_SG_SG_EEES9_SI_JZNS1_25segmented_radix_sort_implINS0_14default_configELb1EPKaPaPKlPlN2at6native12_GLOBAL__N_18offset_tEEE10hipError_tPvRmT1_PNSt15iterator_traitsIS12_E10value_typeET2_T3_PNS13_IS18_E10value_typeET4_jRbjT5_S1E_jjP12ihipStream_tbEUljE_ZNSN_ISO_Lb1ESQ_SR_ST_SU_SY_EESZ_S10_S11_S12_S16_S17_S18_S1B_S1C_jS1D_jS1E_S1E_jjS1G_bEUljE0_EEESZ_S10_S11_S18_S1C_S1E_T6_T7_T9_mT8_S1G_bDpT10_ENKUlT_T0_E_clISt17integral_constantIbLb0EES1T_IbLb1EEEEDaS1P_S1Q_EUlS1P_E_NS1_11comp_targetILNS1_3genE2ELNS1_11target_archE906ELNS1_3gpuE6ELNS1_3repE0EEENS1_30default_config_static_selectorELNS0_4arch9wavefront6targetE0EEEvS12_
; %bb.0:
	.section	.rodata,"a",@progbits
	.p2align	6, 0x0
	.amdhsa_kernel _ZN7rocprim17ROCPRIM_400000_NS6detail17trampoline_kernelINS0_13select_configILj256ELj13ELNS0_17block_load_methodE3ELS4_3ELS4_3ELNS0_20block_scan_algorithmE0ELj4294967295EEENS1_25partition_config_selectorILNS1_17partition_subalgoE4EjNS0_10empty_typeEbEEZZNS1_14partition_implILS8_4ELb0ES6_15HIP_vector_typeIjLj2EENS0_17counting_iteratorIjlEEPS9_SG_NS0_5tupleIJPjSI_NS0_16reverse_iteratorISI_EEEEENSH_IJSG_SG_SG_EEES9_SI_JZNS1_25segmented_radix_sort_implINS0_14default_configELb1EPKaPaPKlPlN2at6native12_GLOBAL__N_18offset_tEEE10hipError_tPvRmT1_PNSt15iterator_traitsIS12_E10value_typeET2_T3_PNS13_IS18_E10value_typeET4_jRbjT5_S1E_jjP12ihipStream_tbEUljE_ZNSN_ISO_Lb1ESQ_SR_ST_SU_SY_EESZ_S10_S11_S12_S16_S17_S18_S1B_S1C_jS1D_jS1E_S1E_jjS1G_bEUljE0_EEESZ_S10_S11_S18_S1C_S1E_T6_T7_T9_mT8_S1G_bDpT10_ENKUlT_T0_E_clISt17integral_constantIbLb0EES1T_IbLb1EEEEDaS1P_S1Q_EUlS1P_E_NS1_11comp_targetILNS1_3genE2ELNS1_11target_archE906ELNS1_3gpuE6ELNS1_3repE0EEENS1_30default_config_static_selectorELNS0_4arch9wavefront6targetE0EEEvS12_
		.amdhsa_group_segment_fixed_size 0
		.amdhsa_private_segment_fixed_size 0
		.amdhsa_kernarg_size 184
		.amdhsa_user_sgpr_count 2
		.amdhsa_user_sgpr_dispatch_ptr 0
		.amdhsa_user_sgpr_queue_ptr 0
		.amdhsa_user_sgpr_kernarg_segment_ptr 1
		.amdhsa_user_sgpr_dispatch_id 0
		.amdhsa_user_sgpr_private_segment_size 0
		.amdhsa_wavefront_size32 1
		.amdhsa_uses_dynamic_stack 0
		.amdhsa_enable_private_segment 0
		.amdhsa_system_sgpr_workgroup_id_x 1
		.amdhsa_system_sgpr_workgroup_id_y 0
		.amdhsa_system_sgpr_workgroup_id_z 0
		.amdhsa_system_sgpr_workgroup_info 0
		.amdhsa_system_vgpr_workitem_id 0
		.amdhsa_next_free_vgpr 1
		.amdhsa_next_free_sgpr 1
		.amdhsa_reserve_vcc 0
		.amdhsa_float_round_mode_32 0
		.amdhsa_float_round_mode_16_64 0
		.amdhsa_float_denorm_mode_32 3
		.amdhsa_float_denorm_mode_16_64 3
		.amdhsa_fp16_overflow 0
		.amdhsa_workgroup_processor_mode 1
		.amdhsa_memory_ordered 1
		.amdhsa_forward_progress 1
		.amdhsa_inst_pref_size 0
		.amdhsa_round_robin_scheduling 0
		.amdhsa_exception_fp_ieee_invalid_op 0
		.amdhsa_exception_fp_denorm_src 0
		.amdhsa_exception_fp_ieee_div_zero 0
		.amdhsa_exception_fp_ieee_overflow 0
		.amdhsa_exception_fp_ieee_underflow 0
		.amdhsa_exception_fp_ieee_inexact 0
		.amdhsa_exception_int_div_zero 0
	.end_amdhsa_kernel
	.section	.text._ZN7rocprim17ROCPRIM_400000_NS6detail17trampoline_kernelINS0_13select_configILj256ELj13ELNS0_17block_load_methodE3ELS4_3ELS4_3ELNS0_20block_scan_algorithmE0ELj4294967295EEENS1_25partition_config_selectorILNS1_17partition_subalgoE4EjNS0_10empty_typeEbEEZZNS1_14partition_implILS8_4ELb0ES6_15HIP_vector_typeIjLj2EENS0_17counting_iteratorIjlEEPS9_SG_NS0_5tupleIJPjSI_NS0_16reverse_iteratorISI_EEEEENSH_IJSG_SG_SG_EEES9_SI_JZNS1_25segmented_radix_sort_implINS0_14default_configELb1EPKaPaPKlPlN2at6native12_GLOBAL__N_18offset_tEEE10hipError_tPvRmT1_PNSt15iterator_traitsIS12_E10value_typeET2_T3_PNS13_IS18_E10value_typeET4_jRbjT5_S1E_jjP12ihipStream_tbEUljE_ZNSN_ISO_Lb1ESQ_SR_ST_SU_SY_EESZ_S10_S11_S12_S16_S17_S18_S1B_S1C_jS1D_jS1E_S1E_jjS1G_bEUljE0_EEESZ_S10_S11_S18_S1C_S1E_T6_T7_T9_mT8_S1G_bDpT10_ENKUlT_T0_E_clISt17integral_constantIbLb0EES1T_IbLb1EEEEDaS1P_S1Q_EUlS1P_E_NS1_11comp_targetILNS1_3genE2ELNS1_11target_archE906ELNS1_3gpuE6ELNS1_3repE0EEENS1_30default_config_static_selectorELNS0_4arch9wavefront6targetE0EEEvS12_,"axG",@progbits,_ZN7rocprim17ROCPRIM_400000_NS6detail17trampoline_kernelINS0_13select_configILj256ELj13ELNS0_17block_load_methodE3ELS4_3ELS4_3ELNS0_20block_scan_algorithmE0ELj4294967295EEENS1_25partition_config_selectorILNS1_17partition_subalgoE4EjNS0_10empty_typeEbEEZZNS1_14partition_implILS8_4ELb0ES6_15HIP_vector_typeIjLj2EENS0_17counting_iteratorIjlEEPS9_SG_NS0_5tupleIJPjSI_NS0_16reverse_iteratorISI_EEEEENSH_IJSG_SG_SG_EEES9_SI_JZNS1_25segmented_radix_sort_implINS0_14default_configELb1EPKaPaPKlPlN2at6native12_GLOBAL__N_18offset_tEEE10hipError_tPvRmT1_PNSt15iterator_traitsIS12_E10value_typeET2_T3_PNS13_IS18_E10value_typeET4_jRbjT5_S1E_jjP12ihipStream_tbEUljE_ZNSN_ISO_Lb1ESQ_SR_ST_SU_SY_EESZ_S10_S11_S12_S16_S17_S18_S1B_S1C_jS1D_jS1E_S1E_jjS1G_bEUljE0_EEESZ_S10_S11_S18_S1C_S1E_T6_T7_T9_mT8_S1G_bDpT10_ENKUlT_T0_E_clISt17integral_constantIbLb0EES1T_IbLb1EEEEDaS1P_S1Q_EUlS1P_E_NS1_11comp_targetILNS1_3genE2ELNS1_11target_archE906ELNS1_3gpuE6ELNS1_3repE0EEENS1_30default_config_static_selectorELNS0_4arch9wavefront6targetE0EEEvS12_,comdat
.Lfunc_end254:
	.size	_ZN7rocprim17ROCPRIM_400000_NS6detail17trampoline_kernelINS0_13select_configILj256ELj13ELNS0_17block_load_methodE3ELS4_3ELS4_3ELNS0_20block_scan_algorithmE0ELj4294967295EEENS1_25partition_config_selectorILNS1_17partition_subalgoE4EjNS0_10empty_typeEbEEZZNS1_14partition_implILS8_4ELb0ES6_15HIP_vector_typeIjLj2EENS0_17counting_iteratorIjlEEPS9_SG_NS0_5tupleIJPjSI_NS0_16reverse_iteratorISI_EEEEENSH_IJSG_SG_SG_EEES9_SI_JZNS1_25segmented_radix_sort_implINS0_14default_configELb1EPKaPaPKlPlN2at6native12_GLOBAL__N_18offset_tEEE10hipError_tPvRmT1_PNSt15iterator_traitsIS12_E10value_typeET2_T3_PNS13_IS18_E10value_typeET4_jRbjT5_S1E_jjP12ihipStream_tbEUljE_ZNSN_ISO_Lb1ESQ_SR_ST_SU_SY_EESZ_S10_S11_S12_S16_S17_S18_S1B_S1C_jS1D_jS1E_S1E_jjS1G_bEUljE0_EEESZ_S10_S11_S18_S1C_S1E_T6_T7_T9_mT8_S1G_bDpT10_ENKUlT_T0_E_clISt17integral_constantIbLb0EES1T_IbLb1EEEEDaS1P_S1Q_EUlS1P_E_NS1_11comp_targetILNS1_3genE2ELNS1_11target_archE906ELNS1_3gpuE6ELNS1_3repE0EEENS1_30default_config_static_selectorELNS0_4arch9wavefront6targetE0EEEvS12_, .Lfunc_end254-_ZN7rocprim17ROCPRIM_400000_NS6detail17trampoline_kernelINS0_13select_configILj256ELj13ELNS0_17block_load_methodE3ELS4_3ELS4_3ELNS0_20block_scan_algorithmE0ELj4294967295EEENS1_25partition_config_selectorILNS1_17partition_subalgoE4EjNS0_10empty_typeEbEEZZNS1_14partition_implILS8_4ELb0ES6_15HIP_vector_typeIjLj2EENS0_17counting_iteratorIjlEEPS9_SG_NS0_5tupleIJPjSI_NS0_16reverse_iteratorISI_EEEEENSH_IJSG_SG_SG_EEES9_SI_JZNS1_25segmented_radix_sort_implINS0_14default_configELb1EPKaPaPKlPlN2at6native12_GLOBAL__N_18offset_tEEE10hipError_tPvRmT1_PNSt15iterator_traitsIS12_E10value_typeET2_T3_PNS13_IS18_E10value_typeET4_jRbjT5_S1E_jjP12ihipStream_tbEUljE_ZNSN_ISO_Lb1ESQ_SR_ST_SU_SY_EESZ_S10_S11_S12_S16_S17_S18_S1B_S1C_jS1D_jS1E_S1E_jjS1G_bEUljE0_EEESZ_S10_S11_S18_S1C_S1E_T6_T7_T9_mT8_S1G_bDpT10_ENKUlT_T0_E_clISt17integral_constantIbLb0EES1T_IbLb1EEEEDaS1P_S1Q_EUlS1P_E_NS1_11comp_targetILNS1_3genE2ELNS1_11target_archE906ELNS1_3gpuE6ELNS1_3repE0EEENS1_30default_config_static_selectorELNS0_4arch9wavefront6targetE0EEEvS12_
                                        ; -- End function
	.set _ZN7rocprim17ROCPRIM_400000_NS6detail17trampoline_kernelINS0_13select_configILj256ELj13ELNS0_17block_load_methodE3ELS4_3ELS4_3ELNS0_20block_scan_algorithmE0ELj4294967295EEENS1_25partition_config_selectorILNS1_17partition_subalgoE4EjNS0_10empty_typeEbEEZZNS1_14partition_implILS8_4ELb0ES6_15HIP_vector_typeIjLj2EENS0_17counting_iteratorIjlEEPS9_SG_NS0_5tupleIJPjSI_NS0_16reverse_iteratorISI_EEEEENSH_IJSG_SG_SG_EEES9_SI_JZNS1_25segmented_radix_sort_implINS0_14default_configELb1EPKaPaPKlPlN2at6native12_GLOBAL__N_18offset_tEEE10hipError_tPvRmT1_PNSt15iterator_traitsIS12_E10value_typeET2_T3_PNS13_IS18_E10value_typeET4_jRbjT5_S1E_jjP12ihipStream_tbEUljE_ZNSN_ISO_Lb1ESQ_SR_ST_SU_SY_EESZ_S10_S11_S12_S16_S17_S18_S1B_S1C_jS1D_jS1E_S1E_jjS1G_bEUljE0_EEESZ_S10_S11_S18_S1C_S1E_T6_T7_T9_mT8_S1G_bDpT10_ENKUlT_T0_E_clISt17integral_constantIbLb0EES1T_IbLb1EEEEDaS1P_S1Q_EUlS1P_E_NS1_11comp_targetILNS1_3genE2ELNS1_11target_archE906ELNS1_3gpuE6ELNS1_3repE0EEENS1_30default_config_static_selectorELNS0_4arch9wavefront6targetE0EEEvS12_.num_vgpr, 0
	.set _ZN7rocprim17ROCPRIM_400000_NS6detail17trampoline_kernelINS0_13select_configILj256ELj13ELNS0_17block_load_methodE3ELS4_3ELS4_3ELNS0_20block_scan_algorithmE0ELj4294967295EEENS1_25partition_config_selectorILNS1_17partition_subalgoE4EjNS0_10empty_typeEbEEZZNS1_14partition_implILS8_4ELb0ES6_15HIP_vector_typeIjLj2EENS0_17counting_iteratorIjlEEPS9_SG_NS0_5tupleIJPjSI_NS0_16reverse_iteratorISI_EEEEENSH_IJSG_SG_SG_EEES9_SI_JZNS1_25segmented_radix_sort_implINS0_14default_configELb1EPKaPaPKlPlN2at6native12_GLOBAL__N_18offset_tEEE10hipError_tPvRmT1_PNSt15iterator_traitsIS12_E10value_typeET2_T3_PNS13_IS18_E10value_typeET4_jRbjT5_S1E_jjP12ihipStream_tbEUljE_ZNSN_ISO_Lb1ESQ_SR_ST_SU_SY_EESZ_S10_S11_S12_S16_S17_S18_S1B_S1C_jS1D_jS1E_S1E_jjS1G_bEUljE0_EEESZ_S10_S11_S18_S1C_S1E_T6_T7_T9_mT8_S1G_bDpT10_ENKUlT_T0_E_clISt17integral_constantIbLb0EES1T_IbLb1EEEEDaS1P_S1Q_EUlS1P_E_NS1_11comp_targetILNS1_3genE2ELNS1_11target_archE906ELNS1_3gpuE6ELNS1_3repE0EEENS1_30default_config_static_selectorELNS0_4arch9wavefront6targetE0EEEvS12_.num_agpr, 0
	.set _ZN7rocprim17ROCPRIM_400000_NS6detail17trampoline_kernelINS0_13select_configILj256ELj13ELNS0_17block_load_methodE3ELS4_3ELS4_3ELNS0_20block_scan_algorithmE0ELj4294967295EEENS1_25partition_config_selectorILNS1_17partition_subalgoE4EjNS0_10empty_typeEbEEZZNS1_14partition_implILS8_4ELb0ES6_15HIP_vector_typeIjLj2EENS0_17counting_iteratorIjlEEPS9_SG_NS0_5tupleIJPjSI_NS0_16reverse_iteratorISI_EEEEENSH_IJSG_SG_SG_EEES9_SI_JZNS1_25segmented_radix_sort_implINS0_14default_configELb1EPKaPaPKlPlN2at6native12_GLOBAL__N_18offset_tEEE10hipError_tPvRmT1_PNSt15iterator_traitsIS12_E10value_typeET2_T3_PNS13_IS18_E10value_typeET4_jRbjT5_S1E_jjP12ihipStream_tbEUljE_ZNSN_ISO_Lb1ESQ_SR_ST_SU_SY_EESZ_S10_S11_S12_S16_S17_S18_S1B_S1C_jS1D_jS1E_S1E_jjS1G_bEUljE0_EEESZ_S10_S11_S18_S1C_S1E_T6_T7_T9_mT8_S1G_bDpT10_ENKUlT_T0_E_clISt17integral_constantIbLb0EES1T_IbLb1EEEEDaS1P_S1Q_EUlS1P_E_NS1_11comp_targetILNS1_3genE2ELNS1_11target_archE906ELNS1_3gpuE6ELNS1_3repE0EEENS1_30default_config_static_selectorELNS0_4arch9wavefront6targetE0EEEvS12_.numbered_sgpr, 0
	.set _ZN7rocprim17ROCPRIM_400000_NS6detail17trampoline_kernelINS0_13select_configILj256ELj13ELNS0_17block_load_methodE3ELS4_3ELS4_3ELNS0_20block_scan_algorithmE0ELj4294967295EEENS1_25partition_config_selectorILNS1_17partition_subalgoE4EjNS0_10empty_typeEbEEZZNS1_14partition_implILS8_4ELb0ES6_15HIP_vector_typeIjLj2EENS0_17counting_iteratorIjlEEPS9_SG_NS0_5tupleIJPjSI_NS0_16reverse_iteratorISI_EEEEENSH_IJSG_SG_SG_EEES9_SI_JZNS1_25segmented_radix_sort_implINS0_14default_configELb1EPKaPaPKlPlN2at6native12_GLOBAL__N_18offset_tEEE10hipError_tPvRmT1_PNSt15iterator_traitsIS12_E10value_typeET2_T3_PNS13_IS18_E10value_typeET4_jRbjT5_S1E_jjP12ihipStream_tbEUljE_ZNSN_ISO_Lb1ESQ_SR_ST_SU_SY_EESZ_S10_S11_S12_S16_S17_S18_S1B_S1C_jS1D_jS1E_S1E_jjS1G_bEUljE0_EEESZ_S10_S11_S18_S1C_S1E_T6_T7_T9_mT8_S1G_bDpT10_ENKUlT_T0_E_clISt17integral_constantIbLb0EES1T_IbLb1EEEEDaS1P_S1Q_EUlS1P_E_NS1_11comp_targetILNS1_3genE2ELNS1_11target_archE906ELNS1_3gpuE6ELNS1_3repE0EEENS1_30default_config_static_selectorELNS0_4arch9wavefront6targetE0EEEvS12_.num_named_barrier, 0
	.set _ZN7rocprim17ROCPRIM_400000_NS6detail17trampoline_kernelINS0_13select_configILj256ELj13ELNS0_17block_load_methodE3ELS4_3ELS4_3ELNS0_20block_scan_algorithmE0ELj4294967295EEENS1_25partition_config_selectorILNS1_17partition_subalgoE4EjNS0_10empty_typeEbEEZZNS1_14partition_implILS8_4ELb0ES6_15HIP_vector_typeIjLj2EENS0_17counting_iteratorIjlEEPS9_SG_NS0_5tupleIJPjSI_NS0_16reverse_iteratorISI_EEEEENSH_IJSG_SG_SG_EEES9_SI_JZNS1_25segmented_radix_sort_implINS0_14default_configELb1EPKaPaPKlPlN2at6native12_GLOBAL__N_18offset_tEEE10hipError_tPvRmT1_PNSt15iterator_traitsIS12_E10value_typeET2_T3_PNS13_IS18_E10value_typeET4_jRbjT5_S1E_jjP12ihipStream_tbEUljE_ZNSN_ISO_Lb1ESQ_SR_ST_SU_SY_EESZ_S10_S11_S12_S16_S17_S18_S1B_S1C_jS1D_jS1E_S1E_jjS1G_bEUljE0_EEESZ_S10_S11_S18_S1C_S1E_T6_T7_T9_mT8_S1G_bDpT10_ENKUlT_T0_E_clISt17integral_constantIbLb0EES1T_IbLb1EEEEDaS1P_S1Q_EUlS1P_E_NS1_11comp_targetILNS1_3genE2ELNS1_11target_archE906ELNS1_3gpuE6ELNS1_3repE0EEENS1_30default_config_static_selectorELNS0_4arch9wavefront6targetE0EEEvS12_.private_seg_size, 0
	.set _ZN7rocprim17ROCPRIM_400000_NS6detail17trampoline_kernelINS0_13select_configILj256ELj13ELNS0_17block_load_methodE3ELS4_3ELS4_3ELNS0_20block_scan_algorithmE0ELj4294967295EEENS1_25partition_config_selectorILNS1_17partition_subalgoE4EjNS0_10empty_typeEbEEZZNS1_14partition_implILS8_4ELb0ES6_15HIP_vector_typeIjLj2EENS0_17counting_iteratorIjlEEPS9_SG_NS0_5tupleIJPjSI_NS0_16reverse_iteratorISI_EEEEENSH_IJSG_SG_SG_EEES9_SI_JZNS1_25segmented_radix_sort_implINS0_14default_configELb1EPKaPaPKlPlN2at6native12_GLOBAL__N_18offset_tEEE10hipError_tPvRmT1_PNSt15iterator_traitsIS12_E10value_typeET2_T3_PNS13_IS18_E10value_typeET4_jRbjT5_S1E_jjP12ihipStream_tbEUljE_ZNSN_ISO_Lb1ESQ_SR_ST_SU_SY_EESZ_S10_S11_S12_S16_S17_S18_S1B_S1C_jS1D_jS1E_S1E_jjS1G_bEUljE0_EEESZ_S10_S11_S18_S1C_S1E_T6_T7_T9_mT8_S1G_bDpT10_ENKUlT_T0_E_clISt17integral_constantIbLb0EES1T_IbLb1EEEEDaS1P_S1Q_EUlS1P_E_NS1_11comp_targetILNS1_3genE2ELNS1_11target_archE906ELNS1_3gpuE6ELNS1_3repE0EEENS1_30default_config_static_selectorELNS0_4arch9wavefront6targetE0EEEvS12_.uses_vcc, 0
	.set _ZN7rocprim17ROCPRIM_400000_NS6detail17trampoline_kernelINS0_13select_configILj256ELj13ELNS0_17block_load_methodE3ELS4_3ELS4_3ELNS0_20block_scan_algorithmE0ELj4294967295EEENS1_25partition_config_selectorILNS1_17partition_subalgoE4EjNS0_10empty_typeEbEEZZNS1_14partition_implILS8_4ELb0ES6_15HIP_vector_typeIjLj2EENS0_17counting_iteratorIjlEEPS9_SG_NS0_5tupleIJPjSI_NS0_16reverse_iteratorISI_EEEEENSH_IJSG_SG_SG_EEES9_SI_JZNS1_25segmented_radix_sort_implINS0_14default_configELb1EPKaPaPKlPlN2at6native12_GLOBAL__N_18offset_tEEE10hipError_tPvRmT1_PNSt15iterator_traitsIS12_E10value_typeET2_T3_PNS13_IS18_E10value_typeET4_jRbjT5_S1E_jjP12ihipStream_tbEUljE_ZNSN_ISO_Lb1ESQ_SR_ST_SU_SY_EESZ_S10_S11_S12_S16_S17_S18_S1B_S1C_jS1D_jS1E_S1E_jjS1G_bEUljE0_EEESZ_S10_S11_S18_S1C_S1E_T6_T7_T9_mT8_S1G_bDpT10_ENKUlT_T0_E_clISt17integral_constantIbLb0EES1T_IbLb1EEEEDaS1P_S1Q_EUlS1P_E_NS1_11comp_targetILNS1_3genE2ELNS1_11target_archE906ELNS1_3gpuE6ELNS1_3repE0EEENS1_30default_config_static_selectorELNS0_4arch9wavefront6targetE0EEEvS12_.uses_flat_scratch, 0
	.set _ZN7rocprim17ROCPRIM_400000_NS6detail17trampoline_kernelINS0_13select_configILj256ELj13ELNS0_17block_load_methodE3ELS4_3ELS4_3ELNS0_20block_scan_algorithmE0ELj4294967295EEENS1_25partition_config_selectorILNS1_17partition_subalgoE4EjNS0_10empty_typeEbEEZZNS1_14partition_implILS8_4ELb0ES6_15HIP_vector_typeIjLj2EENS0_17counting_iteratorIjlEEPS9_SG_NS0_5tupleIJPjSI_NS0_16reverse_iteratorISI_EEEEENSH_IJSG_SG_SG_EEES9_SI_JZNS1_25segmented_radix_sort_implINS0_14default_configELb1EPKaPaPKlPlN2at6native12_GLOBAL__N_18offset_tEEE10hipError_tPvRmT1_PNSt15iterator_traitsIS12_E10value_typeET2_T3_PNS13_IS18_E10value_typeET4_jRbjT5_S1E_jjP12ihipStream_tbEUljE_ZNSN_ISO_Lb1ESQ_SR_ST_SU_SY_EESZ_S10_S11_S12_S16_S17_S18_S1B_S1C_jS1D_jS1E_S1E_jjS1G_bEUljE0_EEESZ_S10_S11_S18_S1C_S1E_T6_T7_T9_mT8_S1G_bDpT10_ENKUlT_T0_E_clISt17integral_constantIbLb0EES1T_IbLb1EEEEDaS1P_S1Q_EUlS1P_E_NS1_11comp_targetILNS1_3genE2ELNS1_11target_archE906ELNS1_3gpuE6ELNS1_3repE0EEENS1_30default_config_static_selectorELNS0_4arch9wavefront6targetE0EEEvS12_.has_dyn_sized_stack, 0
	.set _ZN7rocprim17ROCPRIM_400000_NS6detail17trampoline_kernelINS0_13select_configILj256ELj13ELNS0_17block_load_methodE3ELS4_3ELS4_3ELNS0_20block_scan_algorithmE0ELj4294967295EEENS1_25partition_config_selectorILNS1_17partition_subalgoE4EjNS0_10empty_typeEbEEZZNS1_14partition_implILS8_4ELb0ES6_15HIP_vector_typeIjLj2EENS0_17counting_iteratorIjlEEPS9_SG_NS0_5tupleIJPjSI_NS0_16reverse_iteratorISI_EEEEENSH_IJSG_SG_SG_EEES9_SI_JZNS1_25segmented_radix_sort_implINS0_14default_configELb1EPKaPaPKlPlN2at6native12_GLOBAL__N_18offset_tEEE10hipError_tPvRmT1_PNSt15iterator_traitsIS12_E10value_typeET2_T3_PNS13_IS18_E10value_typeET4_jRbjT5_S1E_jjP12ihipStream_tbEUljE_ZNSN_ISO_Lb1ESQ_SR_ST_SU_SY_EESZ_S10_S11_S12_S16_S17_S18_S1B_S1C_jS1D_jS1E_S1E_jjS1G_bEUljE0_EEESZ_S10_S11_S18_S1C_S1E_T6_T7_T9_mT8_S1G_bDpT10_ENKUlT_T0_E_clISt17integral_constantIbLb0EES1T_IbLb1EEEEDaS1P_S1Q_EUlS1P_E_NS1_11comp_targetILNS1_3genE2ELNS1_11target_archE906ELNS1_3gpuE6ELNS1_3repE0EEENS1_30default_config_static_selectorELNS0_4arch9wavefront6targetE0EEEvS12_.has_recursion, 0
	.set _ZN7rocprim17ROCPRIM_400000_NS6detail17trampoline_kernelINS0_13select_configILj256ELj13ELNS0_17block_load_methodE3ELS4_3ELS4_3ELNS0_20block_scan_algorithmE0ELj4294967295EEENS1_25partition_config_selectorILNS1_17partition_subalgoE4EjNS0_10empty_typeEbEEZZNS1_14partition_implILS8_4ELb0ES6_15HIP_vector_typeIjLj2EENS0_17counting_iteratorIjlEEPS9_SG_NS0_5tupleIJPjSI_NS0_16reverse_iteratorISI_EEEEENSH_IJSG_SG_SG_EEES9_SI_JZNS1_25segmented_radix_sort_implINS0_14default_configELb1EPKaPaPKlPlN2at6native12_GLOBAL__N_18offset_tEEE10hipError_tPvRmT1_PNSt15iterator_traitsIS12_E10value_typeET2_T3_PNS13_IS18_E10value_typeET4_jRbjT5_S1E_jjP12ihipStream_tbEUljE_ZNSN_ISO_Lb1ESQ_SR_ST_SU_SY_EESZ_S10_S11_S12_S16_S17_S18_S1B_S1C_jS1D_jS1E_S1E_jjS1G_bEUljE0_EEESZ_S10_S11_S18_S1C_S1E_T6_T7_T9_mT8_S1G_bDpT10_ENKUlT_T0_E_clISt17integral_constantIbLb0EES1T_IbLb1EEEEDaS1P_S1Q_EUlS1P_E_NS1_11comp_targetILNS1_3genE2ELNS1_11target_archE906ELNS1_3gpuE6ELNS1_3repE0EEENS1_30default_config_static_selectorELNS0_4arch9wavefront6targetE0EEEvS12_.has_indirect_call, 0
	.section	.AMDGPU.csdata,"",@progbits
; Kernel info:
; codeLenInByte = 0
; TotalNumSgprs: 0
; NumVgprs: 0
; ScratchSize: 0
; MemoryBound: 0
; FloatMode: 240
; IeeeMode: 1
; LDSByteSize: 0 bytes/workgroup (compile time only)
; SGPRBlocks: 0
; VGPRBlocks: 0
; NumSGPRsForWavesPerEU: 1
; NumVGPRsForWavesPerEU: 1
; Occupancy: 16
; WaveLimiterHint : 0
; COMPUTE_PGM_RSRC2:SCRATCH_EN: 0
; COMPUTE_PGM_RSRC2:USER_SGPR: 2
; COMPUTE_PGM_RSRC2:TRAP_HANDLER: 0
; COMPUTE_PGM_RSRC2:TGID_X_EN: 1
; COMPUTE_PGM_RSRC2:TGID_Y_EN: 0
; COMPUTE_PGM_RSRC2:TGID_Z_EN: 0
; COMPUTE_PGM_RSRC2:TIDIG_COMP_CNT: 0
	.section	.text._ZN7rocprim17ROCPRIM_400000_NS6detail17trampoline_kernelINS0_13select_configILj256ELj13ELNS0_17block_load_methodE3ELS4_3ELS4_3ELNS0_20block_scan_algorithmE0ELj4294967295EEENS1_25partition_config_selectorILNS1_17partition_subalgoE4EjNS0_10empty_typeEbEEZZNS1_14partition_implILS8_4ELb0ES6_15HIP_vector_typeIjLj2EENS0_17counting_iteratorIjlEEPS9_SG_NS0_5tupleIJPjSI_NS0_16reverse_iteratorISI_EEEEENSH_IJSG_SG_SG_EEES9_SI_JZNS1_25segmented_radix_sort_implINS0_14default_configELb1EPKaPaPKlPlN2at6native12_GLOBAL__N_18offset_tEEE10hipError_tPvRmT1_PNSt15iterator_traitsIS12_E10value_typeET2_T3_PNS13_IS18_E10value_typeET4_jRbjT5_S1E_jjP12ihipStream_tbEUljE_ZNSN_ISO_Lb1ESQ_SR_ST_SU_SY_EESZ_S10_S11_S12_S16_S17_S18_S1B_S1C_jS1D_jS1E_S1E_jjS1G_bEUljE0_EEESZ_S10_S11_S18_S1C_S1E_T6_T7_T9_mT8_S1G_bDpT10_ENKUlT_T0_E_clISt17integral_constantIbLb0EES1T_IbLb1EEEEDaS1P_S1Q_EUlS1P_E_NS1_11comp_targetILNS1_3genE10ELNS1_11target_archE1200ELNS1_3gpuE4ELNS1_3repE0EEENS1_30default_config_static_selectorELNS0_4arch9wavefront6targetE0EEEvS12_,"axG",@progbits,_ZN7rocprim17ROCPRIM_400000_NS6detail17trampoline_kernelINS0_13select_configILj256ELj13ELNS0_17block_load_methodE3ELS4_3ELS4_3ELNS0_20block_scan_algorithmE0ELj4294967295EEENS1_25partition_config_selectorILNS1_17partition_subalgoE4EjNS0_10empty_typeEbEEZZNS1_14partition_implILS8_4ELb0ES6_15HIP_vector_typeIjLj2EENS0_17counting_iteratorIjlEEPS9_SG_NS0_5tupleIJPjSI_NS0_16reverse_iteratorISI_EEEEENSH_IJSG_SG_SG_EEES9_SI_JZNS1_25segmented_radix_sort_implINS0_14default_configELb1EPKaPaPKlPlN2at6native12_GLOBAL__N_18offset_tEEE10hipError_tPvRmT1_PNSt15iterator_traitsIS12_E10value_typeET2_T3_PNS13_IS18_E10value_typeET4_jRbjT5_S1E_jjP12ihipStream_tbEUljE_ZNSN_ISO_Lb1ESQ_SR_ST_SU_SY_EESZ_S10_S11_S12_S16_S17_S18_S1B_S1C_jS1D_jS1E_S1E_jjS1G_bEUljE0_EEESZ_S10_S11_S18_S1C_S1E_T6_T7_T9_mT8_S1G_bDpT10_ENKUlT_T0_E_clISt17integral_constantIbLb0EES1T_IbLb1EEEEDaS1P_S1Q_EUlS1P_E_NS1_11comp_targetILNS1_3genE10ELNS1_11target_archE1200ELNS1_3gpuE4ELNS1_3repE0EEENS1_30default_config_static_selectorELNS0_4arch9wavefront6targetE0EEEvS12_,comdat
	.globl	_ZN7rocprim17ROCPRIM_400000_NS6detail17trampoline_kernelINS0_13select_configILj256ELj13ELNS0_17block_load_methodE3ELS4_3ELS4_3ELNS0_20block_scan_algorithmE0ELj4294967295EEENS1_25partition_config_selectorILNS1_17partition_subalgoE4EjNS0_10empty_typeEbEEZZNS1_14partition_implILS8_4ELb0ES6_15HIP_vector_typeIjLj2EENS0_17counting_iteratorIjlEEPS9_SG_NS0_5tupleIJPjSI_NS0_16reverse_iteratorISI_EEEEENSH_IJSG_SG_SG_EEES9_SI_JZNS1_25segmented_radix_sort_implINS0_14default_configELb1EPKaPaPKlPlN2at6native12_GLOBAL__N_18offset_tEEE10hipError_tPvRmT1_PNSt15iterator_traitsIS12_E10value_typeET2_T3_PNS13_IS18_E10value_typeET4_jRbjT5_S1E_jjP12ihipStream_tbEUljE_ZNSN_ISO_Lb1ESQ_SR_ST_SU_SY_EESZ_S10_S11_S12_S16_S17_S18_S1B_S1C_jS1D_jS1E_S1E_jjS1G_bEUljE0_EEESZ_S10_S11_S18_S1C_S1E_T6_T7_T9_mT8_S1G_bDpT10_ENKUlT_T0_E_clISt17integral_constantIbLb0EES1T_IbLb1EEEEDaS1P_S1Q_EUlS1P_E_NS1_11comp_targetILNS1_3genE10ELNS1_11target_archE1200ELNS1_3gpuE4ELNS1_3repE0EEENS1_30default_config_static_selectorELNS0_4arch9wavefront6targetE0EEEvS12_ ; -- Begin function _ZN7rocprim17ROCPRIM_400000_NS6detail17trampoline_kernelINS0_13select_configILj256ELj13ELNS0_17block_load_methodE3ELS4_3ELS4_3ELNS0_20block_scan_algorithmE0ELj4294967295EEENS1_25partition_config_selectorILNS1_17partition_subalgoE4EjNS0_10empty_typeEbEEZZNS1_14partition_implILS8_4ELb0ES6_15HIP_vector_typeIjLj2EENS0_17counting_iteratorIjlEEPS9_SG_NS0_5tupleIJPjSI_NS0_16reverse_iteratorISI_EEEEENSH_IJSG_SG_SG_EEES9_SI_JZNS1_25segmented_radix_sort_implINS0_14default_configELb1EPKaPaPKlPlN2at6native12_GLOBAL__N_18offset_tEEE10hipError_tPvRmT1_PNSt15iterator_traitsIS12_E10value_typeET2_T3_PNS13_IS18_E10value_typeET4_jRbjT5_S1E_jjP12ihipStream_tbEUljE_ZNSN_ISO_Lb1ESQ_SR_ST_SU_SY_EESZ_S10_S11_S12_S16_S17_S18_S1B_S1C_jS1D_jS1E_S1E_jjS1G_bEUljE0_EEESZ_S10_S11_S18_S1C_S1E_T6_T7_T9_mT8_S1G_bDpT10_ENKUlT_T0_E_clISt17integral_constantIbLb0EES1T_IbLb1EEEEDaS1P_S1Q_EUlS1P_E_NS1_11comp_targetILNS1_3genE10ELNS1_11target_archE1200ELNS1_3gpuE4ELNS1_3repE0EEENS1_30default_config_static_selectorELNS0_4arch9wavefront6targetE0EEEvS12_
	.p2align	8
	.type	_ZN7rocprim17ROCPRIM_400000_NS6detail17trampoline_kernelINS0_13select_configILj256ELj13ELNS0_17block_load_methodE3ELS4_3ELS4_3ELNS0_20block_scan_algorithmE0ELj4294967295EEENS1_25partition_config_selectorILNS1_17partition_subalgoE4EjNS0_10empty_typeEbEEZZNS1_14partition_implILS8_4ELb0ES6_15HIP_vector_typeIjLj2EENS0_17counting_iteratorIjlEEPS9_SG_NS0_5tupleIJPjSI_NS0_16reverse_iteratorISI_EEEEENSH_IJSG_SG_SG_EEES9_SI_JZNS1_25segmented_radix_sort_implINS0_14default_configELb1EPKaPaPKlPlN2at6native12_GLOBAL__N_18offset_tEEE10hipError_tPvRmT1_PNSt15iterator_traitsIS12_E10value_typeET2_T3_PNS13_IS18_E10value_typeET4_jRbjT5_S1E_jjP12ihipStream_tbEUljE_ZNSN_ISO_Lb1ESQ_SR_ST_SU_SY_EESZ_S10_S11_S12_S16_S17_S18_S1B_S1C_jS1D_jS1E_S1E_jjS1G_bEUljE0_EEESZ_S10_S11_S18_S1C_S1E_T6_T7_T9_mT8_S1G_bDpT10_ENKUlT_T0_E_clISt17integral_constantIbLb0EES1T_IbLb1EEEEDaS1P_S1Q_EUlS1P_E_NS1_11comp_targetILNS1_3genE10ELNS1_11target_archE1200ELNS1_3gpuE4ELNS1_3repE0EEENS1_30default_config_static_selectorELNS0_4arch9wavefront6targetE0EEEvS12_,@function
_ZN7rocprim17ROCPRIM_400000_NS6detail17trampoline_kernelINS0_13select_configILj256ELj13ELNS0_17block_load_methodE3ELS4_3ELS4_3ELNS0_20block_scan_algorithmE0ELj4294967295EEENS1_25partition_config_selectorILNS1_17partition_subalgoE4EjNS0_10empty_typeEbEEZZNS1_14partition_implILS8_4ELb0ES6_15HIP_vector_typeIjLj2EENS0_17counting_iteratorIjlEEPS9_SG_NS0_5tupleIJPjSI_NS0_16reverse_iteratorISI_EEEEENSH_IJSG_SG_SG_EEES9_SI_JZNS1_25segmented_radix_sort_implINS0_14default_configELb1EPKaPaPKlPlN2at6native12_GLOBAL__N_18offset_tEEE10hipError_tPvRmT1_PNSt15iterator_traitsIS12_E10value_typeET2_T3_PNS13_IS18_E10value_typeET4_jRbjT5_S1E_jjP12ihipStream_tbEUljE_ZNSN_ISO_Lb1ESQ_SR_ST_SU_SY_EESZ_S10_S11_S12_S16_S17_S18_S1B_S1C_jS1D_jS1E_S1E_jjS1G_bEUljE0_EEESZ_S10_S11_S18_S1C_S1E_T6_T7_T9_mT8_S1G_bDpT10_ENKUlT_T0_E_clISt17integral_constantIbLb0EES1T_IbLb1EEEEDaS1P_S1Q_EUlS1P_E_NS1_11comp_targetILNS1_3genE10ELNS1_11target_archE1200ELNS1_3gpuE4ELNS1_3repE0EEENS1_30default_config_static_selectorELNS0_4arch9wavefront6targetE0EEEvS12_: ; @_ZN7rocprim17ROCPRIM_400000_NS6detail17trampoline_kernelINS0_13select_configILj256ELj13ELNS0_17block_load_methodE3ELS4_3ELS4_3ELNS0_20block_scan_algorithmE0ELj4294967295EEENS1_25partition_config_selectorILNS1_17partition_subalgoE4EjNS0_10empty_typeEbEEZZNS1_14partition_implILS8_4ELb0ES6_15HIP_vector_typeIjLj2EENS0_17counting_iteratorIjlEEPS9_SG_NS0_5tupleIJPjSI_NS0_16reverse_iteratorISI_EEEEENSH_IJSG_SG_SG_EEES9_SI_JZNS1_25segmented_radix_sort_implINS0_14default_configELb1EPKaPaPKlPlN2at6native12_GLOBAL__N_18offset_tEEE10hipError_tPvRmT1_PNSt15iterator_traitsIS12_E10value_typeET2_T3_PNS13_IS18_E10value_typeET4_jRbjT5_S1E_jjP12ihipStream_tbEUljE_ZNSN_ISO_Lb1ESQ_SR_ST_SU_SY_EESZ_S10_S11_S12_S16_S17_S18_S1B_S1C_jS1D_jS1E_S1E_jjS1G_bEUljE0_EEESZ_S10_S11_S18_S1C_S1E_T6_T7_T9_mT8_S1G_bDpT10_ENKUlT_T0_E_clISt17integral_constantIbLb0EES1T_IbLb1EEEEDaS1P_S1Q_EUlS1P_E_NS1_11comp_targetILNS1_3genE10ELNS1_11target_archE1200ELNS1_3gpuE4ELNS1_3repE0EEENS1_30default_config_static_selectorELNS0_4arch9wavefront6targetE0EEEvS12_
; %bb.0:
	s_clause 0x7
	s_load_b64 s[34:35], s[0:1], 0x10
	s_load_b128 s[28:31], s[0:1], 0x28
	s_load_b64 s[14:15], s[0:1], 0x38
	s_load_b128 s[24:27], s[0:1], 0x58
	s_load_b64 s[4:5], s[0:1], 0x68
	s_load_b64 s[36:37], s[0:1], 0x78
	;; [unrolled: 1-line block ×3, first 2 shown]
	s_load_b256 s[16:23], s[0:1], 0x90
	v_cmp_eq_u32_e64 s2, 0, v0
	s_and_saveexec_b32 s3, s2
	s_cbranch_execz .LBB255_4
; %bb.1:
	s_mov_b32 s7, exec_lo
	s_mov_b32 s6, exec_lo
	v_mbcnt_lo_u32_b32 v1, s7, 0
                                        ; implicit-def: $vgpr2
	s_delay_alu instid0(VALU_DEP_1)
	v_cmpx_eq_u32_e32 0, v1
	s_cbranch_execz .LBB255_3
; %bb.2:
	s_load_b64 s[8:9], s[0:1], 0x88
	s_bcnt1_i32_b32 s7, s7
	s_wait_alu 0xfffe
	v_dual_mov_b32 v2, 0 :: v_dual_mov_b32 v3, s7
	s_wait_kmcnt 0x0
	global_atomic_add_u32 v2, v2, v3, s[8:9] th:TH_ATOMIC_RETURN scope:SCOPE_DEV
.LBB255_3:
	s_or_b32 exec_lo, exec_lo, s6
	s_wait_loadcnt 0x0
	v_readfirstlane_b32 s6, v2
	s_wait_alu 0xf1ff
	s_delay_alu instid0(VALU_DEP_1)
	v_dual_mov_b32 v2, 0 :: v_dual_add_nc_u32 v1, s6, v1
	ds_store_b32 v2, v1
.LBB255_4:
	s_or_b32 exec_lo, exec_lo, s3
	v_mov_b32_e32 v1, 0
	s_clause 0x1
	s_load_b32 s3, s[0:1], 0x8
	s_load_b32 s0, s[0:1], 0x80
	s_wait_dscnt 0x0
	s_barrier_signal -1
	s_barrier_wait -1
	global_inv scope:SCOPE_SE
	ds_load_b32 v5, v1
	s_wait_loadcnt_dscnt 0x0
	s_barrier_signal -1
	s_barrier_wait -1
	global_inv scope:SCOPE_SE
	s_wait_kmcnt 0x0
	global_load_b128 v[1:4], v1, s[26:27]
	s_mov_b32 s1, 0
	s_add_co_i32 s3, s3, s34
	s_add_co_i32 s6, s0, -1
	s_mulk_i32 s0, 0xd00
	s_delay_alu instid0(SALU_CYCLE_1)
	s_add_co_i32 s7, s0, s34
	s_add_nc_u64 s[0:1], s[34:35], s[0:1]
	v_readfirstlane_b32 s33, v5
	v_cmp_gt_u64_e64 s0, s[4:5], s[0:1]
	s_wait_alu 0xfffe
	s_sub_co_i32 s27, s4, s7
	v_cmp_ne_u32_e32 vcc_lo, s6, v5
	v_mul_lo_u32 v43, 0xd00, v5
	s_addk_co_i32 s27, 0xd00
	s_cmp_eq_u32 s33, s6
	s_mov_b32 s4, -1
	s_cselect_b32 s26, -1, 0
	s_or_b32 s1, s0, vcc_lo
	s_wait_alu 0xfffe
	s_and_b32 vcc_lo, exec_lo, s1
	s_cbranch_vccz .LBB255_6
; %bb.5:
	v_add3_u32 v5, v43, s3, v0
	v_lshlrev_b32_e32 v14, 2, v0
	s_mov_b32 s4, 0
	s_delay_alu instid0(VALU_DEP_2)
	v_add_nc_u32_e32 v6, 0x100, v5
	v_add_nc_u32_e32 v7, 0x200, v5
	;; [unrolled: 1-line block ×12, first 2 shown]
	ds_store_2addr_stride64_b32 v14, v5, v6 offset1:4
	ds_store_2addr_stride64_b32 v14, v7, v8 offset0:8 offset1:12
	ds_store_2addr_stride64_b32 v14, v9, v10 offset0:16 offset1:20
	;; [unrolled: 1-line block ×5, first 2 shown]
	ds_store_b32 v14, v18 offset:12288
	s_wait_loadcnt_dscnt 0x0
	s_barrier_signal -1
	s_barrier_wait -1
.LBB255_6:
	v_cmp_gt_u32_e64 s0, s27, v0
	v_or_b32_e32 v42, 0x100, v0
	v_or_b32_e32 v41, 0x200, v0
	v_or_b32_e32 v40, 0x300, v0
	v_or_b32_e32 v39, 0x400, v0
	v_or_b32_e32 v38, 0x500, v0
	v_or_b32_e32 v37, 0x600, v0
	v_or_b32_e32 v36, 0x700, v0
	v_or_b32_e32 v35, 0x800, v0
	v_or_b32_e32 v34, 0x900, v0
	v_or_b32_e32 v33, 0xa00, v0
	v_or_b32_e32 v32, 0xb00, v0
	v_or_b32_e32 v31, 0xc00, v0
	s_wait_alu 0xfffe
	s_and_not1_b32 vcc_lo, exec_lo, s4
	s_cbranch_vccnz .LBB255_8
; %bb.7:
	v_add_nc_u32_e32 v5, s3, v43
	v_cmp_gt_u32_e32 vcc_lo, s27, v42
	s_delay_alu instid0(VALU_DEP_2) | instskip(NEXT) | instid1(VALU_DEP_1)
	v_add_nc_u32_e32 v7, v5, v42
	v_dual_cndmask_b32 v7, 0, v7 :: v_dual_add_nc_u32 v8, v5, v41
	v_cmp_gt_u32_e32 vcc_lo, s27, v41
	s_wait_alu 0xfffd
	s_delay_alu instid0(VALU_DEP_2)
	v_cndmask_b32_e32 v8, 0, v8, vcc_lo
	v_cmp_gt_u32_e32 vcc_lo, s27, v40
	v_add_nc_u32_e32 v17, v5, v32
	v_add_nc_u32_e32 v14, v5, v35
	;; [unrolled: 1-line block ×9, first 2 shown]
	s_wait_alu 0xfffd
	v_cndmask_b32_e32 v9, 0, v9, vcc_lo
	v_cmp_gt_u32_e32 vcc_lo, s27, v39
	v_cndmask_b32_e64 v6, 0, v6, s0
	s_wait_alu 0xfffd
	v_cndmask_b32_e32 v10, 0, v10, vcc_lo
	v_cmp_gt_u32_e32 vcc_lo, s27, v38
	v_add_nc_u32_e32 v12, v5, v37
	v_add_nc_u32_e32 v5, v5, v31
	s_wait_alu 0xfffd
	v_cndmask_b32_e32 v11, 0, v11, vcc_lo
	v_cmp_gt_u32_e32 vcc_lo, s27, v37
	s_wait_alu 0xfffd
	v_cndmask_b32_e32 v12, 0, v12, vcc_lo
	v_cmp_gt_u32_e32 vcc_lo, s27, v36
	;; [unrolled: 3-line block ×7, first 2 shown]
	s_wait_alu 0xfffd
	v_dual_cndmask_b32 v5, 0, v5 :: v_dual_lshlrev_b32 v18, 2, v0
	ds_store_2addr_stride64_b32 v18, v6, v7 offset1:4
	ds_store_2addr_stride64_b32 v18, v8, v9 offset0:8 offset1:12
	ds_store_2addr_stride64_b32 v18, v10, v11 offset0:16 offset1:20
	;; [unrolled: 1-line block ×5, first 2 shown]
	ds_store_b32 v18, v5 offset:12288
	s_wait_loadcnt_dscnt 0x0
	s_barrier_signal -1
	s_barrier_wait -1
.LBB255_8:
	v_mul_u32_u24_e32 v46, 13, v0
	s_wait_loadcnt 0x0
	global_inv scope:SCOPE_SE
	v_cndmask_b32_e64 v44, 0, 1, s1
	s_and_not1_b32 vcc_lo, exec_lo, s1
	v_lshlrev_b32_e32 v5, 2, v46
	ds_load_2addr_b32 v[23:24], v5 offset1:1
	ds_load_2addr_b32 v[21:22], v5 offset0:2 offset1:3
	ds_load_2addr_b32 v[19:20], v5 offset0:4 offset1:5
	ds_load_2addr_b32 v[17:18], v5 offset0:6 offset1:7
	ds_load_2addr_b32 v[15:16], v5 offset0:8 offset1:9
	ds_load_2addr_b32 v[13:14], v5 offset0:10 offset1:11
	ds_load_b32 v45, v5 offset:48
	s_wait_loadcnt_dscnt 0x0
	s_barrier_signal -1
	s_barrier_wait -1
	global_inv scope:SCOPE_SE
	s_wait_alu 0xfffe
	s_cbranch_vccnz .LBB255_36
; %bb.9:
	v_add_nc_u32_e32 v5, s17, v23
	v_add_nc_u32_e32 v6, s19, v23
	s_mov_b32 s41, 0
	s_mov_b32 s40, 0
	s_mov_b32 s1, exec_lo
	v_mul_lo_u32 v5, v5, s16
	v_mul_lo_u32 v6, v6, s18
	s_delay_alu instid0(VALU_DEP_1) | instskip(NEXT) | instid1(VALU_DEP_1)
	v_sub_nc_u32_e32 v5, v5, v6
	v_cmp_lt_u32_e32 vcc_lo, s20, v5
	v_cmpx_ge_u32_e64 s20, v5
	s_cbranch_execz .LBB255_11
; %bb.10:
	v_add_nc_u32_e32 v5, s22, v23
	v_add_nc_u32_e32 v6, s38, v23
	s_delay_alu instid0(VALU_DEP_2) | instskip(NEXT) | instid1(VALU_DEP_2)
	v_mul_lo_u32 v5, v5, s21
	v_mul_lo_u32 v6, v6, s23
	s_delay_alu instid0(VALU_DEP_1) | instskip(NEXT) | instid1(VALU_DEP_1)
	v_sub_nc_u32_e32 v5, v5, v6
	v_cmp_lt_u32_e64 s0, s39, v5
	s_and_b32 s40, s0, exec_lo
.LBB255_11:
	s_wait_alu 0xfffe
	s_or_b32 exec_lo, exec_lo, s1
	v_add_nc_u32_e32 v5, s17, v24
	v_add_nc_u32_e32 v6, s19, v24
	s_mov_b32 s3, exec_lo
	s_delay_alu instid0(VALU_DEP_2) | instskip(NEXT) | instid1(VALU_DEP_2)
	v_mul_lo_u32 v5, v5, s16
	v_mul_lo_u32 v6, v6, s18
	s_delay_alu instid0(VALU_DEP_1) | instskip(NEXT) | instid1(VALU_DEP_1)
	v_sub_nc_u32_e32 v5, v5, v6
	v_cmp_lt_u32_e64 s0, s20, v5
	v_cmpx_ge_u32_e64 s20, v5
	s_cbranch_execz .LBB255_13
; %bb.12:
	v_add_nc_u32_e32 v5, s22, v24
	v_add_nc_u32_e32 v6, s38, v24
	s_delay_alu instid0(VALU_DEP_2) | instskip(NEXT) | instid1(VALU_DEP_2)
	v_mul_lo_u32 v5, v5, s21
	v_mul_lo_u32 v6, v6, s23
	s_delay_alu instid0(VALU_DEP_1) | instskip(NEXT) | instid1(VALU_DEP_1)
	v_sub_nc_u32_e32 v5, v5, v6
	v_cmp_lt_u32_e64 s1, s39, v5
	s_and_b32 s41, s1, exec_lo
.LBB255_13:
	s_wait_alu 0xfffe
	s_or_b32 exec_lo, exec_lo, s3
	v_add_nc_u32_e32 v5, s17, v21
	v_add_nc_u32_e32 v6, s19, v21
	s_mov_b32 s43, 0
	s_mov_b32 s42, 0
	s_mov_b32 s4, exec_lo
	v_mul_lo_u32 v5, v5, s16
	v_mul_lo_u32 v6, v6, s18
	s_delay_alu instid0(VALU_DEP_1) | instskip(NEXT) | instid1(VALU_DEP_1)
	v_sub_nc_u32_e32 v5, v5, v6
	v_cmp_lt_u32_e64 s1, s20, v5
	v_cmpx_ge_u32_e64 s20, v5
	s_cbranch_execz .LBB255_15
; %bb.14:
	v_add_nc_u32_e32 v5, s22, v21
	v_add_nc_u32_e32 v6, s38, v21
	s_delay_alu instid0(VALU_DEP_2) | instskip(NEXT) | instid1(VALU_DEP_2)
	v_mul_lo_u32 v5, v5, s21
	v_mul_lo_u32 v6, v6, s23
	s_delay_alu instid0(VALU_DEP_1) | instskip(NEXT) | instid1(VALU_DEP_1)
	v_sub_nc_u32_e32 v5, v5, v6
	v_cmp_lt_u32_e64 s3, s39, v5
	s_and_b32 s42, s3, exec_lo
.LBB255_15:
	s_wait_alu 0xfffe
	s_or_b32 exec_lo, exec_lo, s4
	v_add_nc_u32_e32 v5, s17, v22
	v_add_nc_u32_e32 v6, s19, v22
	s_mov_b32 s5, exec_lo
	s_delay_alu instid0(VALU_DEP_2) | instskip(NEXT) | instid1(VALU_DEP_2)
	v_mul_lo_u32 v5, v5, s16
	v_mul_lo_u32 v6, v6, s18
	s_delay_alu instid0(VALU_DEP_1) | instskip(NEXT) | instid1(VALU_DEP_1)
	v_sub_nc_u32_e32 v5, v5, v6
	v_cmp_lt_u32_e64 s3, s20, v5
	v_cmpx_ge_u32_e64 s20, v5
	s_cbranch_execz .LBB255_17
; %bb.16:
	v_add_nc_u32_e32 v5, s22, v22
	v_add_nc_u32_e32 v6, s38, v22
	s_delay_alu instid0(VALU_DEP_2) | instskip(NEXT) | instid1(VALU_DEP_2)
	v_mul_lo_u32 v5, v5, s21
	v_mul_lo_u32 v6, v6, s23
	s_delay_alu instid0(VALU_DEP_1) | instskip(NEXT) | instid1(VALU_DEP_1)
	v_sub_nc_u32_e32 v5, v5, v6
	v_cmp_lt_u32_e64 s4, s39, v5
	s_and_b32 s43, s4, exec_lo
.LBB255_17:
	s_wait_alu 0xfffe
	s_or_b32 exec_lo, exec_lo, s5
	v_add_nc_u32_e32 v5, s17, v19
	v_add_nc_u32_e32 v6, s19, v19
	s_mov_b32 s45, 0
	s_mov_b32 s44, 0
	s_mov_b32 s6, exec_lo
	v_mul_lo_u32 v5, v5, s16
	v_mul_lo_u32 v6, v6, s18
	s_delay_alu instid0(VALU_DEP_1) | instskip(NEXT) | instid1(VALU_DEP_1)
	v_sub_nc_u32_e32 v5, v5, v6
	v_cmp_lt_u32_e64 s4, s20, v5
	;; [unrolled: 49-line block ×3, first 2 shown]
	v_cmpx_ge_u32_e64 s20, v5
	s_cbranch_execz .LBB255_23
; %bb.22:
	v_add_nc_u32_e32 v5, s22, v17
	v_add_nc_u32_e32 v6, s38, v17
	s_delay_alu instid0(VALU_DEP_2) | instskip(NEXT) | instid1(VALU_DEP_2)
	v_mul_lo_u32 v5, v5, s21
	v_mul_lo_u32 v6, v6, s23
	s_delay_alu instid0(VALU_DEP_1) | instskip(NEXT) | instid1(VALU_DEP_1)
	v_sub_nc_u32_e32 v5, v5, v6
	v_cmp_lt_u32_e64 s7, s39, v5
	s_and_b32 s46, s7, exec_lo
.LBB255_23:
	s_or_b32 exec_lo, exec_lo, s8
	v_add_nc_u32_e32 v5, s17, v18
	v_add_nc_u32_e32 v6, s19, v18
	s_mov_b32 s9, exec_lo
	s_delay_alu instid0(VALU_DEP_2) | instskip(NEXT) | instid1(VALU_DEP_2)
	v_mul_lo_u32 v5, v5, s16
	v_mul_lo_u32 v6, v6, s18
	s_delay_alu instid0(VALU_DEP_1) | instskip(NEXT) | instid1(VALU_DEP_1)
	v_sub_nc_u32_e32 v5, v5, v6
	v_cmp_lt_u32_e64 s7, s20, v5
	v_cmpx_ge_u32_e64 s20, v5
	s_cbranch_execz .LBB255_25
; %bb.24:
	v_add_nc_u32_e32 v5, s22, v18
	v_add_nc_u32_e32 v6, s38, v18
	s_delay_alu instid0(VALU_DEP_2) | instskip(NEXT) | instid1(VALU_DEP_2)
	v_mul_lo_u32 v5, v5, s21
	v_mul_lo_u32 v6, v6, s23
	s_delay_alu instid0(VALU_DEP_1) | instskip(NEXT) | instid1(VALU_DEP_1)
	v_sub_nc_u32_e32 v5, v5, v6
	v_cmp_lt_u32_e64 s8, s39, v5
	s_and_b32 s47, s8, exec_lo
.LBB255_25:
	s_or_b32 exec_lo, exec_lo, s9
	v_add_nc_u32_e32 v5, s17, v15
	v_add_nc_u32_e32 v6, s19, v15
	s_mov_b32 s50, 0
	s_mov_b32 s49, 0
	s_mov_b32 s10, exec_lo
	v_mul_lo_u32 v5, v5, s16
	v_mul_lo_u32 v6, v6, s18
	s_delay_alu instid0(VALU_DEP_1) | instskip(NEXT) | instid1(VALU_DEP_1)
	v_sub_nc_u32_e32 v5, v5, v6
	v_cmp_lt_u32_e64 s8, s20, v5
	v_cmpx_ge_u32_e64 s20, v5
	s_cbranch_execz .LBB255_27
; %bb.26:
	v_add_nc_u32_e32 v5, s22, v15
	v_add_nc_u32_e32 v6, s38, v15
	s_delay_alu instid0(VALU_DEP_2) | instskip(NEXT) | instid1(VALU_DEP_2)
	v_mul_lo_u32 v5, v5, s21
	v_mul_lo_u32 v6, v6, s23
	s_delay_alu instid0(VALU_DEP_1) | instskip(NEXT) | instid1(VALU_DEP_1)
	v_sub_nc_u32_e32 v5, v5, v6
	v_cmp_lt_u32_e64 s9, s39, v5
	s_and_b32 s49, s9, exec_lo
.LBB255_27:
	s_or_b32 exec_lo, exec_lo, s10
	v_add_nc_u32_e32 v5, s17, v16
	v_add_nc_u32_e32 v6, s19, v16
	s_mov_b32 s11, exec_lo
	s_delay_alu instid0(VALU_DEP_2) | instskip(NEXT) | instid1(VALU_DEP_2)
	v_mul_lo_u32 v5, v5, s16
	v_mul_lo_u32 v6, v6, s18
	s_delay_alu instid0(VALU_DEP_1) | instskip(NEXT) | instid1(VALU_DEP_1)
	v_sub_nc_u32_e32 v5, v5, v6
	v_cmp_lt_u32_e64 s9, s20, v5
	v_cmpx_ge_u32_e64 s20, v5
	s_cbranch_execz .LBB255_29
; %bb.28:
	v_add_nc_u32_e32 v5, s22, v16
	v_add_nc_u32_e32 v6, s38, v16
	s_delay_alu instid0(VALU_DEP_2) | instskip(NEXT) | instid1(VALU_DEP_2)
	v_mul_lo_u32 v5, v5, s21
	v_mul_lo_u32 v6, v6, s23
	s_delay_alu instid0(VALU_DEP_1) | instskip(NEXT) | instid1(VALU_DEP_1)
	v_sub_nc_u32_e32 v5, v5, v6
	v_cmp_lt_u32_e64 s10, s39, v5
	s_and_b32 s50, s10, exec_lo
.LBB255_29:
	s_or_b32 exec_lo, exec_lo, s11
	v_add_nc_u32_e32 v5, s17, v13
	v_add_nc_u32_e32 v6, s19, v13
	s_mov_b32 s51, 0
	s_mov_b32 s52, 0
	s_mov_b32 s12, exec_lo
	v_mul_lo_u32 v5, v5, s16
	v_mul_lo_u32 v6, v6, s18
	s_delay_alu instid0(VALU_DEP_1) | instskip(NEXT) | instid1(VALU_DEP_1)
	v_sub_nc_u32_e32 v5, v5, v6
	v_cmp_lt_u32_e64 s10, s20, v5
	;; [unrolled: 47-line block ×3, first 2 shown]
	v_cmpx_ge_u32_e64 s20, v5
	s_cbranch_execz .LBB255_35
; %bb.34:
	v_add_nc_u32_e32 v5, s22, v45
	v_add_nc_u32_e32 v6, s38, v45
	s_delay_alu instid0(VALU_DEP_2) | instskip(NEXT) | instid1(VALU_DEP_2)
	v_mul_lo_u32 v5, v5, s21
	v_mul_lo_u32 v6, v6, s23
	s_delay_alu instid0(VALU_DEP_1) | instskip(NEXT) | instid1(VALU_DEP_1)
	v_sub_nc_u32_e32 v5, v5, v6
	v_cmp_lt_u32_e64 s13, s39, v5
	s_and_b32 s53, s13, exec_lo
.LBB255_35:
	s_or_b32 exec_lo, exec_lo, s54
	v_cndmask_b32_e64 v6, 0, 1, s0
	v_cndmask_b32_e64 v8, 0, 1, s3
	s_wait_alu 0xfffd
	v_cndmask_b32_e64 v5, 0, 1, vcc_lo
	v_cndmask_b32_e64 v7, 0, 1, s1
	v_cndmask_b32_e64 v10, 0, 1, s5
	v_lshlrev_b16 v6, 8, v6
	v_lshlrev_b16 v8, 8, v8
	s_wait_alu 0xf1ff
	v_cndmask_b32_e64 v12, 0, 1, s7
	v_cndmask_b32_e64 v26, 0, 1, s9
	;; [unrolled: 1-line block ×3, first 2 shown]
	v_or_b32_e32 v5, v5, v6
	v_or_b32_e32 v6, v7, v8
	v_cndmask_b32_e64 v56, 0, 1, s40
	v_cndmask_b32_e64 v9, 0, 1, s4
	;; [unrolled: 1-line block ×3, first 2 shown]
	v_and_b32_e32 v5, 0xffff, v5
	v_lshlrev_b32_e32 v6, 16, v6
	v_cndmask_b32_e64 v25, 0, 1, s8
	v_cndmask_b32_e64 v27, 0, 1, s10
	;; [unrolled: 1-line block ×8, first 2 shown]
	v_or_b32_e32 v47, v5, v6
	v_lshlrev_b16 v5, 8, v10
	v_lshlrev_b16 v6, 8, v12
	v_lshlrev_b16 v10, 8, v26
	v_lshlrev_b16 v12, 8, v29
	v_lshlrev_b16 v26, 8, v56
	v_cndmask_b32_e64 v30, 0, 1, s50
	v_cndmask_b32_e64 v49, 0, 1, s47
	;; [unrolled: 1-line block ×5, first 2 shown]
	v_or_b32_e32 v5, v9, v5
	v_or_b32_e32 v6, v11, v6
	;; [unrolled: 1-line block ×5, first 2 shown]
	v_lshlrev_b16 v8, 8, v8
	v_lshlrev_b16 v12, 8, v54
	;; [unrolled: 1-line block ×5, first 2 shown]
	v_or_b32_e32 v8, v55, v8
	v_or_b32_e32 v7, v7, v12
	v_or_b32_e32 v12, v52, v25
	v_or_b32_e32 v25, v49, v26
	v_or_b32_e32 v26, v30, v27
	v_and_b32_e32 v5, 0xffff, v5
	v_lshlrev_b32_e32 v6, 16, v6
	v_and_b32_e32 v9, 0xffff, v9
	v_lshlrev_b32_e32 v10, 16, v10
	;; [unrolled: 2-line block ×5, first 2 shown]
	v_cndmask_b32_e64 v50, 0, 1, s51
	v_cndmask_b32_e64 v53, 0, 1, s53
	v_or_b32_e32 v49, v5, v6
	v_or_b32_e32 v52, v9, v10
	;; [unrolled: 1-line block ×5, first 2 shown]
	s_and_b32 vcc_lo, exec_lo, s48
	s_wait_alu 0xfffe
	s_cbranch_vccnz .LBB255_37
	s_branch .LBB255_114
.LBB255_36:
                                        ; implicit-def: $vgpr53
                                        ; implicit-def: $vgpr50
                                        ; implicit-def: $vgpr51
                                        ; implicit-def: $vgpr48
                                        ; implicit-def: $vgpr54
                                        ; implicit-def: $vgpr52
                                        ; implicit-def: $vgpr49
                                        ; implicit-def: $vgpr47
	s_cbranch_execz .LBB255_114
.LBB255_37:
	v_dual_mov_b32 v6, 0 :: v_dual_mov_b32 v5, 0
	s_mov_b32 s1, exec_lo
	v_cmpx_gt_u32_e64 s27, v46
	s_cbranch_execz .LBB255_41
; %bb.38:
	v_add_nc_u32_e32 v5, s17, v23
	v_add_nc_u32_e32 v6, s19, v23
	s_mov_b32 s4, 0
	s_mov_b32 s3, exec_lo
	s_delay_alu instid0(VALU_DEP_2) | instskip(NEXT) | instid1(VALU_DEP_2)
	v_mul_lo_u32 v5, v5, s16
	v_mul_lo_u32 v6, v6, s18
	s_delay_alu instid0(VALU_DEP_1) | instskip(NEXT) | instid1(VALU_DEP_1)
	v_sub_nc_u32_e32 v5, v5, v6
	v_cmp_lt_u32_e32 vcc_lo, s20, v5
	v_cmpx_ge_u32_e64 s20, v5
	s_cbranch_execz .LBB255_40
; %bb.39:
	v_add_nc_u32_e32 v5, s22, v23
	v_add_nc_u32_e32 v6, s38, v23
	s_delay_alu instid0(VALU_DEP_2) | instskip(NEXT) | instid1(VALU_DEP_2)
	v_mul_lo_u32 v5, v5, s21
	v_mul_lo_u32 v6, v6, s23
	s_delay_alu instid0(VALU_DEP_1) | instskip(NEXT) | instid1(VALU_DEP_1)
	v_sub_nc_u32_e32 v5, v5, v6
	v_cmp_lt_u32_e64 s0, s39, v5
	s_and_b32 s4, s0, exec_lo
.LBB255_40:
	s_wait_alu 0xfffe
	s_or_b32 exec_lo, exec_lo, s3
	v_cndmask_b32_e64 v6, 0, 1, s4
	s_wait_alu 0xfffd
	v_cndmask_b32_e64 v5, 0, 1, vcc_lo
.LBB255_41:
	s_wait_alu 0xfffe
	s_or_b32 exec_lo, exec_lo, s1
	v_lshlrev_b16 v6, 8, v6
	v_add_nc_u32_e32 v7, 1, v46
	v_and_b32_e32 v10, 0xff, v5
	v_lshlrev_b16 v5, 8, 0
                                        ; implicit-def: $vgpr9
                                        ; implicit-def: $vgpr12
                                        ; implicit-def: $vgpr8
	s_delay_alu instid0(VALU_DEP_4) | instskip(NEXT) | instid1(VALU_DEP_4)
	v_and_b32_e32 v6, 0xffff, v6
	v_cmp_le_u32_e32 vcc_lo, s27, v7
                                        ; implicit-def: $vgpr7
	s_delay_alu instid0(VALU_DEP_2)
	v_lshrrev_b32_e32 v25, 8, v6
	v_and_b32_e32 v11, 0xff, v6
                                        ; implicit-def: $vgpr6
	s_and_saveexec_b32 s0, vcc_lo
	s_wait_alu 0xfffe
	s_xor_b32 s0, exec_lo, s0
	s_cbranch_execz .LBB255_43
; %bb.42:
	v_lshlrev_b16 v6, 8, v25
	v_and_b32_e32 v8, 0xffff, v5
                                        ; implicit-def: $vgpr25
	v_mov_b32_e32 v9, 0
	s_delay_alu instid0(VALU_DEP_3) | instskip(SKIP_1) | instid1(VALU_DEP_2)
	v_or_b32_e32 v7, v11, v6
	v_mov_b32_e32 v6, 0
                                        ; implicit-def: $vgpr11
	v_and_b32_e32 v12, 0xffff, v7
	v_and_b32_e32 v7, 0xffff, v5
                                        ; implicit-def: $vgpr5
.LBB255_43:
	s_wait_alu 0xfffe
	s_and_not1_saveexec_b32 s1, s0
	s_cbranch_execz .LBB255_47
; %bb.44:
	v_add_nc_u32_e32 v6, s17, v24
	v_add_nc_u32_e32 v7, s19, v24
	s_mov_b32 s3, 0
	s_mov_b32 s4, exec_lo
	s_delay_alu instid0(VALU_DEP_2) | instskip(NEXT) | instid1(VALU_DEP_2)
	v_mul_lo_u32 v6, v6, s16
	v_mul_lo_u32 v7, v7, s18
	s_delay_alu instid0(VALU_DEP_1) | instskip(NEXT) | instid1(VALU_DEP_1)
	v_sub_nc_u32_e32 v6, v6, v7
	v_cmp_lt_u32_e32 vcc_lo, s20, v6
	v_cmpx_ge_u32_e64 s20, v6
	s_cbranch_execz .LBB255_46
; %bb.45:
	v_add_nc_u32_e32 v6, s22, v24
	v_add_nc_u32_e32 v7, s38, v24
	s_delay_alu instid0(VALU_DEP_2) | instskip(NEXT) | instid1(VALU_DEP_2)
	v_mul_lo_u32 v6, v6, s21
	v_mul_lo_u32 v7, v7, s23
	s_delay_alu instid0(VALU_DEP_1) | instskip(NEXT) | instid1(VALU_DEP_1)
	v_sub_nc_u32_e32 v6, v6, v7
	v_cmp_lt_u32_e64 s0, s39, v6
	s_and_b32 s3, s0, exec_lo
.LBB255_46:
	s_wait_alu 0xfffe
	s_or_b32 exec_lo, exec_lo, s4
	s_wait_alu 0xfffd
	v_cndmask_b32_e64 v6, 0, 1, vcc_lo
	v_lshlrev_b16 v7, 8, v25
	v_dual_mov_b32 v9, 0 :: v_dual_and_b32 v8, 0xffff, v5
	s_delay_alu instid0(VALU_DEP_3) | instskip(NEXT) | instid1(VALU_DEP_3)
	v_lshlrev_b16 v6, 8, v6
	v_or_b32_e32 v7, v11, v7
	v_cndmask_b32_e64 v11, 0, 1, s3
	s_delay_alu instid0(VALU_DEP_3) | instskip(NEXT) | instid1(VALU_DEP_3)
	v_or_b32_e32 v10, v10, v6
	v_dual_mov_b32 v6, 0 :: v_dual_and_b32 v7, 0xffff, v7
	s_delay_alu instid0(VALU_DEP_2) | instskip(NEXT) | instid1(VALU_DEP_2)
	v_and_b32_e32 v10, 0xffff, v10
	v_lshl_or_b32 v12, v11, 16, v7
	v_and_b32_e32 v7, 0xffff, v5
.LBB255_47:
	s_wait_alu 0xfffe
	s_or_b32 exec_lo, exec_lo, s1
	v_add_nc_u32_e32 v5, 2, v46
	v_and_b32_e32 v25, 0xff, v10
	v_lshrrev_b32_e32 v26, 8, v10
                                        ; implicit-def: $vgpr11
	s_delay_alu instid0(VALU_DEP_3)
	v_cmp_le_u32_e32 vcc_lo, s27, v5
                                        ; implicit-def: $vgpr5
	s_and_saveexec_b32 s0, vcc_lo
	s_wait_alu 0xfffe
	s_xor_b32 s0, exec_lo, s0
	s_cbranch_execz .LBB255_49
; %bb.48:
	v_lshlrev_b16 v5, 8, v26
	v_perm_b32 v8, v8, v8, 0x3060504
                                        ; implicit-def: $vgpr26
	s_delay_alu instid0(VALU_DEP_2) | instskip(SKIP_1) | instid1(VALU_DEP_2)
	v_or_b32_e32 v5, v25, v5
	v_and_b32_e32 v25, 0xff0000, v12
	v_and_b32_e32 v5, 0xffff, v5
	s_delay_alu instid0(VALU_DEP_1) | instskip(NEXT) | instid1(VALU_DEP_3)
	v_and_or_b32 v11, 0xff000000, v10, v5
	v_perm_b32 v5, v12, v25, 0x3020504
                                        ; implicit-def: $vgpr25
                                        ; implicit-def: $vgpr10
                                        ; implicit-def: $vgpr12
.LBB255_49:
	s_wait_alu 0xfffe
	s_and_not1_saveexec_b32 s1, s0
	s_cbranch_execz .LBB255_53
; %bb.50:
	v_add_nc_u32_e32 v5, s17, v21
	v_add_nc_u32_e32 v11, s19, v21
	s_mov_b32 s3, 0
	s_mov_b32 s4, exec_lo
	s_delay_alu instid0(VALU_DEP_2) | instskip(NEXT) | instid1(VALU_DEP_2)
	v_mul_lo_u32 v5, v5, s16
	v_mul_lo_u32 v11, v11, s18
	s_delay_alu instid0(VALU_DEP_1) | instskip(NEXT) | instid1(VALU_DEP_1)
	v_sub_nc_u32_e32 v5, v5, v11
	v_cmp_lt_u32_e32 vcc_lo, s20, v5
	v_cmpx_ge_u32_e64 s20, v5
	s_cbranch_execz .LBB255_52
; %bb.51:
	v_add_nc_u32_e32 v5, s22, v21
	v_add_nc_u32_e32 v11, s38, v21
	s_delay_alu instid0(VALU_DEP_2) | instskip(NEXT) | instid1(VALU_DEP_2)
	v_mul_lo_u32 v5, v5, s21
	v_mul_lo_u32 v11, v11, s23
	s_delay_alu instid0(VALU_DEP_1) | instskip(NEXT) | instid1(VALU_DEP_1)
	v_sub_nc_u32_e32 v5, v5, v11
	v_cmp_lt_u32_e64 s0, s39, v5
	s_and_b32 s3, s0, exec_lo
.LBB255_52:
	s_wait_alu 0xfffe
	s_or_b32 exec_lo, exec_lo, s4
	v_lshrrev_b32_e32 v10, 24, v10
	v_cndmask_b32_e64 v11, 0, 1, s3
	v_lshrrev_b32_e32 v27, 8, v12
	v_lshrrev_b32_e32 v28, 16, v12
	s_wait_alu 0xfffd
	v_cndmask_b32_e64 v5, 0, 1, vcc_lo
	v_lshlrev_b16 v26, 8, v26
	v_lshlrev_b16 v10, 8, v10
	v_and_b32_e32 v12, 0xff, v12
	v_lshlrev_b16 v27, 8, v27
	v_lshlrev_b16 v11, 8, v11
	v_and_b32_e32 v28, 0xff, v28
	v_or_b32_e32 v25, v25, v26
	v_or_b32_e32 v5, v5, v10
	;; [unrolled: 1-line block ×3, first 2 shown]
	s_delay_alu instid0(VALU_DEP_4) | instskip(NEXT) | instid1(VALU_DEP_4)
	v_or_b32_e32 v11, v28, v11
	v_and_b32_e32 v12, 0xffff, v25
	s_delay_alu instid0(VALU_DEP_4) | instskip(NEXT) | instid1(VALU_DEP_4)
	v_lshlrev_b32_e32 v5, 16, v5
	v_and_b32_e32 v10, 0xffff, v10
	s_delay_alu instid0(VALU_DEP_4) | instskip(NEXT) | instid1(VALU_DEP_3)
	v_lshlrev_b32_e32 v25, 16, v11
	v_or_b32_e32 v11, v12, v5
	s_delay_alu instid0(VALU_DEP_2)
	v_or_b32_e32 v5, v10, v25
.LBB255_53:
	s_wait_alu 0xfffe
	s_or_b32 exec_lo, exec_lo, s1
	v_add_nc_u32_e32 v10, 3, v46
	v_lshrrev_b32_e32 v12, 24, v9
	v_lshrrev_b32_e32 v25, 16, v9
	v_lshrrev_b32_e32 v9, 8, v9
                                        ; implicit-def: $vgpr47
	s_delay_alu instid0(VALU_DEP_4)
	v_cmp_le_u32_e32 vcc_lo, s27, v10
                                        ; implicit-def: $vgpr10
	s_and_saveexec_b32 s0, vcc_lo
	s_wait_alu 0xfffe
	s_xor_b32 s0, exec_lo, s0
	s_cbranch_execz .LBB255_55
; %bb.54:
	v_lshlrev_b16 v10, 8, v12
	v_and_b32_e32 v12, 0xff, v25
	v_lshlrev_b16 v9, 8, v9
	v_perm_b32 v8, v8, v8, 0x3060504
	v_perm_b32 v7, v7, v7, 0x3060504
                                        ; implicit-def: $vgpr25
	s_delay_alu instid0(VALU_DEP_4) | instskip(SKIP_2) | instid1(VALU_DEP_3)
	v_or_b32_e32 v10, v12, v10
	v_and_b32_e32 v12, 0xff0000, v11
	v_and_b32_e32 v9, 0xffff, v9
	v_lshlrev_b32_e32 v10, 16, v10
	s_delay_alu instid0(VALU_DEP_3) | instskip(NEXT) | instid1(VALU_DEP_2)
	v_perm_b32 v47, v11, v12, 0x3020504
                                        ; implicit-def: $vgpr11
                                        ; implicit-def: $vgpr12
	v_or_b32_e32 v10, v9, v10
                                        ; implicit-def: $vgpr9
.LBB255_55:
	s_wait_alu 0xfffe
	s_and_not1_saveexec_b32 s1, s0
	s_cbranch_execz .LBB255_59
; %bb.56:
	v_add_nc_u32_e32 v10, s17, v22
	v_add_nc_u32_e32 v26, s19, v22
	s_mov_b32 s3, 0
	s_mov_b32 s4, exec_lo
	s_delay_alu instid0(VALU_DEP_2) | instskip(NEXT) | instid1(VALU_DEP_2)
	v_mul_lo_u32 v10, v10, s16
	v_mul_lo_u32 v26, v26, s18
	s_delay_alu instid0(VALU_DEP_1) | instskip(NEXT) | instid1(VALU_DEP_1)
	v_sub_nc_u32_e32 v10, v10, v26
	v_cmp_lt_u32_e32 vcc_lo, s20, v10
	v_cmpx_ge_u32_e64 s20, v10
	s_cbranch_execz .LBB255_58
; %bb.57:
	v_add_nc_u32_e32 v10, s22, v22
	v_add_nc_u32_e32 v26, s38, v22
	s_delay_alu instid0(VALU_DEP_2) | instskip(NEXT) | instid1(VALU_DEP_2)
	v_mul_lo_u32 v10, v10, s21
	v_mul_lo_u32 v26, v26, s23
	s_delay_alu instid0(VALU_DEP_1) | instskip(NEXT) | instid1(VALU_DEP_1)
	v_sub_nc_u32_e32 v10, v10, v26
	v_cmp_lt_u32_e64 s0, s39, v10
	s_and_b32 s3, s0, exec_lo
.LBB255_58:
	s_wait_alu 0xfffe
	s_or_b32 exec_lo, exec_lo, s4
	v_lshrrev_b32_e32 v10, 8, v11
	s_wait_alu 0xfffd
	v_cndmask_b32_e64 v26, 0, 1, vcc_lo
	v_lshrrev_b32_e32 v27, 16, v11
	v_cndmask_b32_e64 v28, 0, 1, s3
	v_and_b32_e32 v11, 0xff, v11
	v_lshlrev_b16 v10, 8, v10
	v_lshlrev_b16 v26, 8, v26
	v_and_b32_e32 v27, 0xff, v27
	v_lshlrev_b16 v12, 8, v12
	v_and_b32_e32 v25, 0xff, v25
	v_lshlrev_b16 v9, 8, v9
	v_or_b32_e32 v10, v11, v10
	v_or_b32_e32 v11, v27, v26
	s_delay_alu instid0(VALU_DEP_4) | instskip(NEXT) | instid1(VALU_DEP_4)
	v_or_b32_e32 v12, v25, v12
	v_or_b32_e32 v9, v28, v9
	s_delay_alu instid0(VALU_DEP_4) | instskip(NEXT) | instid1(VALU_DEP_4)
	v_and_b32_e32 v10, 0xffff, v10
	v_lshlrev_b32_e32 v11, 16, v11
	s_delay_alu instid0(VALU_DEP_4) | instskip(NEXT) | instid1(VALU_DEP_4)
	v_lshlrev_b32_e32 v12, 16, v12
	v_and_b32_e32 v9, 0xffff, v9
	s_delay_alu instid0(VALU_DEP_3) | instskip(NEXT) | instid1(VALU_DEP_2)
	v_or_b32_e32 v47, v10, v11
	v_or_b32_e32 v10, v9, v12
.LBB255_59:
	s_wait_alu 0xfffe
	s_or_b32 exec_lo, exec_lo, s1
	v_add_nc_u32_e32 v9, 4, v46
	v_lshrrev_b32_e32 v25, 8, v8
	v_lshrrev_b32_e32 v26, 16, v8
	;; [unrolled: 1-line block ×4, first 2 shown]
	v_cmp_le_u32_e32 vcc_lo, s27, v9
	v_lshrrev_b32_e32 v12, 16, v10
                                        ; implicit-def: $vgpr8
                                        ; implicit-def: $vgpr9
	s_and_saveexec_b32 s0, vcc_lo
	s_wait_alu 0xfffe
	s_xor_b32 s0, exec_lo, s0
	s_cbranch_execz .LBB255_61
; %bb.60:
	v_lshlrev_b16 v8, 8, v27
	v_and_b32_e32 v9, 0xff, v26
	v_lshlrev_b16 v25, 8, v25
	v_lshlrev_b16 v11, 8, v11
	v_and_b32_e32 v12, 0xff, v12
	v_perm_b32 v7, v7, v7, 0x3060504
	v_or_b32_e32 v8, v9, v8
	v_and_b32_e32 v9, 0xffff, v25
                                        ; implicit-def: $vgpr25
                                        ; implicit-def: $vgpr26
                                        ; implicit-def: $vgpr27
	s_delay_alu instid0(VALU_DEP_4) | instskip(NEXT) | instid1(VALU_DEP_3)
	v_or_b32_e32 v11, v12, v11
	v_lshlrev_b32_e32 v12, 16, v8
	s_delay_alu instid0(VALU_DEP_2) | instskip(NEXT) | instid1(VALU_DEP_2)
	v_perm_b32 v8, v11, v10, 0x5040c00
                                        ; implicit-def: $vgpr10
                                        ; implicit-def: $vgpr11
	v_or_b32_e32 v9, v9, v12
                                        ; implicit-def: $vgpr12
.LBB255_61:
	s_wait_alu 0xfffe
	s_and_not1_saveexec_b32 s1, s0
	s_cbranch_execz .LBB255_65
; %bb.62:
	v_add_nc_u32_e32 v8, s17, v19
	v_add_nc_u32_e32 v9, s19, v19
	s_mov_b32 s3, 0
	s_mov_b32 s4, exec_lo
	s_delay_alu instid0(VALU_DEP_2) | instskip(NEXT) | instid1(VALU_DEP_2)
	v_mul_lo_u32 v8, v8, s16
	v_mul_lo_u32 v9, v9, s18
	s_delay_alu instid0(VALU_DEP_1) | instskip(NEXT) | instid1(VALU_DEP_1)
	v_sub_nc_u32_e32 v8, v8, v9
	v_cmp_lt_u32_e32 vcc_lo, s20, v8
	v_cmpx_ge_u32_e64 s20, v8
	s_cbranch_execz .LBB255_64
; %bb.63:
	v_add_nc_u32_e32 v8, s22, v19
	v_add_nc_u32_e32 v9, s38, v19
	s_delay_alu instid0(VALU_DEP_2) | instskip(NEXT) | instid1(VALU_DEP_2)
	v_mul_lo_u32 v8, v8, s21
	v_mul_lo_u32 v9, v9, s23
	s_delay_alu instid0(VALU_DEP_1) | instskip(NEXT) | instid1(VALU_DEP_1)
	v_sub_nc_u32_e32 v8, v8, v9
	v_cmp_lt_u32_e64 s0, s39, v8
	s_and_b32 s3, s0, exec_lo
.LBB255_64:
	s_wait_alu 0xfffe
	s_or_b32 exec_lo, exec_lo, s4
	v_cndmask_b32_e64 v8, 0, 1, s3
	s_wait_alu 0xfffd
	v_cndmask_b32_e64 v9, 0, 1, vcc_lo
	v_lshlrev_b16 v27, 8, v27
	v_and_b32_e32 v26, 0xff, v26
	v_lshlrev_b16 v25, 8, v25
	v_lshlrev_b16 v8, 8, v8
	v_and_b32_e32 v10, 0xff, v10
	v_lshlrev_b16 v11, 8, v11
	v_and_b32_e32 v12, 0xff, v12
	v_or_b32_e32 v26, v26, v27
	v_or_b32_e32 v9, v9, v25
	;; [unrolled: 1-line block ×3, first 2 shown]
	s_delay_alu instid0(VALU_DEP_4) | instskip(NEXT) | instid1(VALU_DEP_4)
	v_or_b32_e32 v10, v12, v11
	v_lshlrev_b32_e32 v11, 16, v26
	s_delay_alu instid0(VALU_DEP_4) | instskip(NEXT) | instid1(VALU_DEP_4)
	v_and_b32_e32 v9, 0xffff, v9
	v_and_b32_e32 v8, 0xffff, v8
	s_delay_alu instid0(VALU_DEP_4) | instskip(NEXT) | instid1(VALU_DEP_3)
	v_lshlrev_b32_e32 v10, 16, v10
	v_or_b32_e32 v9, v9, v11
	s_delay_alu instid0(VALU_DEP_2)
	v_or_b32_e32 v8, v8, v10
.LBB255_65:
	s_wait_alu 0xfffe
	s_or_b32 exec_lo, exec_lo, s1
	v_add_nc_u32_e32 v10, 5, v46
	v_lshrrev_b32_e32 v25, 16, v9
	v_lshrrev_b32_e32 v27, 24, v9
	v_and_b32_e32 v12, 0xff, v8
	v_lshrrev_b32_e32 v26, 8, v8
	v_cmp_le_u32_e32 vcc_lo, s27, v10
                                        ; implicit-def: $vgpr10
                                        ; implicit-def: $vgpr11
	s_and_saveexec_b32 s0, vcc_lo
	s_wait_alu 0xfffe
	s_xor_b32 s0, exec_lo, s0
	s_cbranch_execz .LBB255_67
; %bb.66:
	v_lshlrev_b16 v10, 8, v26
	v_lshlrev_b16 v11, 8, v27
	v_and_b32_e32 v25, 0xff, v25
	v_perm_b32 v7, v7, v7, 0x3060504
                                        ; implicit-def: $vgpr27
                                        ; implicit-def: $vgpr26
	s_delay_alu instid0(VALU_DEP_4) | instskip(NEXT) | instid1(VALU_DEP_3)
	v_or_b32_e32 v10, v12, v10
                                        ; implicit-def: $vgpr12
	v_or_b32_e32 v11, v25, v11
                                        ; implicit-def: $vgpr25
	s_delay_alu instid0(VALU_DEP_2) | instskip(NEXT) | instid1(VALU_DEP_2)
	v_and_b32_e32 v10, 0xffff, v10
	v_perm_b32 v11, v11, v9, 0x5040c00
                                        ; implicit-def: $vgpr9
	s_delay_alu instid0(VALU_DEP_2)
	v_and_or_b32 v10, 0xff000000, v8, v10
                                        ; implicit-def: $vgpr8
.LBB255_67:
	s_wait_alu 0xfffe
	s_and_not1_saveexec_b32 s1, s0
	s_cbranch_execz .LBB255_71
; %bb.68:
	v_add_nc_u32_e32 v10, s17, v20
	v_add_nc_u32_e32 v11, s19, v20
	s_mov_b32 s3, 0
	s_mov_b32 s4, exec_lo
	s_delay_alu instid0(VALU_DEP_2) | instskip(NEXT) | instid1(VALU_DEP_2)
	v_mul_lo_u32 v10, v10, s16
	v_mul_lo_u32 v11, v11, s18
	s_delay_alu instid0(VALU_DEP_1) | instskip(NEXT) | instid1(VALU_DEP_1)
	v_sub_nc_u32_e32 v10, v10, v11
	v_cmp_lt_u32_e32 vcc_lo, s20, v10
	v_cmpx_ge_u32_e64 s20, v10
	s_cbranch_execz .LBB255_70
; %bb.69:
	v_add_nc_u32_e32 v10, s22, v20
	v_add_nc_u32_e32 v11, s38, v20
	s_delay_alu instid0(VALU_DEP_2) | instskip(NEXT) | instid1(VALU_DEP_2)
	v_mul_lo_u32 v10, v10, s21
	v_mul_lo_u32 v11, v11, s23
	s_delay_alu instid0(VALU_DEP_1) | instskip(NEXT) | instid1(VALU_DEP_1)
	v_sub_nc_u32_e32 v10, v10, v11
	v_cmp_lt_u32_e64 s0, s39, v10
	s_and_b32 s3, s0, exec_lo
.LBB255_70:
	s_wait_alu 0xfffe
	s_or_b32 exec_lo, exec_lo, s4
	s_wait_alu 0xfffd
	v_cndmask_b32_e64 v10, 0, 1, vcc_lo
	v_lshrrev_b32_e32 v8, 24, v8
	v_cndmask_b32_e64 v11, 0, 1, s3
	v_lshlrev_b16 v27, 8, v27
	v_and_b32_e32 v25, 0xff, v25
	v_lshlrev_b16 v10, 8, v10
	v_lshlrev_b16 v26, 8, v26
	v_and_b32_e32 v9, 0xff, v9
	v_lshlrev_b16 v8, 8, v8
	v_or_b32_e32 v25, v25, v27
	s_delay_alu instid0(VALU_DEP_4) | instskip(NEXT) | instid1(VALU_DEP_4)
	v_or_b32_e32 v12, v12, v26
	v_or_b32_e32 v9, v9, v10
	s_delay_alu instid0(VALU_DEP_4) | instskip(NEXT) | instid1(VALU_DEP_4)
	v_or_b32_e32 v8, v11, v8
	v_lshlrev_b32_e32 v10, 16, v25
	s_delay_alu instid0(VALU_DEP_4) | instskip(NEXT) | instid1(VALU_DEP_4)
	v_and_b32_e32 v12, 0xffff, v12
	v_and_b32_e32 v9, 0xffff, v9
	s_delay_alu instid0(VALU_DEP_4) | instskip(NEXT) | instid1(VALU_DEP_2)
	v_lshlrev_b32_e32 v8, 16, v8
	v_or_b32_e32 v11, v9, v10
	s_delay_alu instid0(VALU_DEP_2)
	v_or_b32_e32 v10, v12, v8
.LBB255_71:
	s_wait_alu 0xfffe
	s_or_b32 exec_lo, exec_lo, s1
	v_add_nc_u32_e32 v8, 6, v46
	v_lshrrev_b32_e32 v12, 8, v11
                                        ; implicit-def: $vgpr48
                                        ; implicit-def: $vgpr9
	s_delay_alu instid0(VALU_DEP_2)
	v_cmp_le_u32_e32 vcc_lo, s27, v8
	v_and_b32_e32 v8, 0xff, v11
	s_and_saveexec_b32 s0, vcc_lo
	s_wait_alu 0xfffe
	s_xor_b32 s0, exec_lo, s0
	s_cbranch_execz .LBB255_73
; %bb.72:
	v_lshlrev_b16 v9, 8, v12
	v_perm_b32 v7, v7, v7, 0x3060504
                                        ; implicit-def: $vgpr12
	s_delay_alu instid0(VALU_DEP_2) | instskip(SKIP_1) | instid1(VALU_DEP_2)
	v_or_b32_e32 v8, v8, v9
	v_and_b32_e32 v9, 0xff0000, v10
	v_and_b32_e32 v8, 0xffff, v8
	s_delay_alu instid0(VALU_DEP_2) | instskip(NEXT) | instid1(VALU_DEP_2)
	v_perm_b32 v48, v10, v9, 0x3020504
                                        ; implicit-def: $vgpr10
	v_and_or_b32 v9, 0xff000000, v11, v8
                                        ; implicit-def: $vgpr8
                                        ; implicit-def: $vgpr11
.LBB255_73:
	s_wait_alu 0xfffe
	s_and_not1_saveexec_b32 s1, s0
	s_cbranch_execz .LBB255_77
; %bb.74:
	v_add_nc_u32_e32 v9, s17, v17
	v_add_nc_u32_e32 v25, s19, v17
	s_mov_b32 s3, 0
	s_mov_b32 s4, exec_lo
	s_delay_alu instid0(VALU_DEP_2) | instskip(NEXT) | instid1(VALU_DEP_2)
	v_mul_lo_u32 v9, v9, s16
	v_mul_lo_u32 v25, v25, s18
	s_delay_alu instid0(VALU_DEP_1) | instskip(NEXT) | instid1(VALU_DEP_1)
	v_sub_nc_u32_e32 v9, v9, v25
	v_cmp_lt_u32_e32 vcc_lo, s20, v9
	v_cmpx_ge_u32_e64 s20, v9
	s_cbranch_execz .LBB255_76
; %bb.75:
	v_add_nc_u32_e32 v9, s22, v17
	v_add_nc_u32_e32 v25, s38, v17
	s_delay_alu instid0(VALU_DEP_2) | instskip(NEXT) | instid1(VALU_DEP_2)
	v_mul_lo_u32 v9, v9, s21
	v_mul_lo_u32 v25, v25, s23
	s_delay_alu instid0(VALU_DEP_1) | instskip(NEXT) | instid1(VALU_DEP_1)
	v_sub_nc_u32_e32 v9, v9, v25
	v_cmp_lt_u32_e64 s0, s39, v9
	s_and_b32 s3, s0, exec_lo
.LBB255_76:
	s_wait_alu 0xfffe
	s_or_b32 exec_lo, exec_lo, s4
	v_lshrrev_b32_e32 v11, 24, v11
	v_cndmask_b32_e64 v25, 0, 1, s3
	v_lshrrev_b32_e32 v26, 8, v10
	v_lshrrev_b32_e32 v27, 16, v10
	s_wait_alu 0xfffd
	v_cndmask_b32_e64 v9, 0, 1, vcc_lo
	v_lshlrev_b16 v12, 8, v12
	v_lshlrev_b16 v11, 8, v11
	v_and_b32_e32 v10, 0xff, v10
	v_lshlrev_b16 v26, 8, v26
	v_lshlrev_b16 v25, 8, v25
	v_and_b32_e32 v27, 0xff, v27
	v_or_b32_e32 v8, v8, v12
	v_or_b32_e32 v9, v9, v11
	;; [unrolled: 1-line block ×3, first 2 shown]
	s_delay_alu instid0(VALU_DEP_4) | instskip(NEXT) | instid1(VALU_DEP_4)
	v_or_b32_e32 v11, v27, v25
	v_and_b32_e32 v8, 0xffff, v8
	s_delay_alu instid0(VALU_DEP_4) | instskip(NEXT) | instid1(VALU_DEP_4)
	v_lshlrev_b32_e32 v9, 16, v9
	v_and_b32_e32 v10, 0xffff, v10
	s_delay_alu instid0(VALU_DEP_4) | instskip(NEXT) | instid1(VALU_DEP_3)
	v_lshlrev_b32_e32 v11, 16, v11
	v_or_b32_e32 v9, v8, v9
	s_delay_alu instid0(VALU_DEP_2)
	v_or_b32_e32 v48, v10, v11
.LBB255_77:
	s_wait_alu 0xfffe
	s_or_b32 exec_lo, exec_lo, s1
	v_add_nc_u32_e32 v8, 7, v46
	v_lshrrev_b32_e32 v10, 8, v7
	v_lshrrev_b32_e32 v11, 16, v7
	;; [unrolled: 1-line block ×3, first 2 shown]
                                        ; implicit-def: $vgpr49
	s_delay_alu instid0(VALU_DEP_4)
	v_cmp_le_u32_e32 vcc_lo, s27, v8
                                        ; implicit-def: $vgpr8
	s_and_saveexec_b32 s0, vcc_lo
	s_wait_alu 0xfffe
	s_xor_b32 s0, exec_lo, s0
	s_cbranch_execz .LBB255_79
; %bb.78:
	v_lshlrev_b16 v7, 8, v7
	v_and_b32_e32 v8, 0xff, v11
                                        ; implicit-def: $vgpr11
	s_delay_alu instid0(VALU_DEP_1) | instskip(SKIP_2) | instid1(VALU_DEP_3)
	v_or_b32_e32 v7, v8, v7
	v_lshlrev_b16 v8, 8, v10
	v_and_b32_e32 v10, 0xff0000, v9
	v_lshlrev_b32_e32 v7, 16, v7
	s_delay_alu instid0(VALU_DEP_3) | instskip(NEXT) | instid1(VALU_DEP_3)
	v_and_b32_e32 v8, 0xffff, v8
	v_perm_b32 v49, v9, v10, 0x3020504
                                        ; implicit-def: $vgpr9
                                        ; implicit-def: $vgpr10
	s_delay_alu instid0(VALU_DEP_2)
	v_or_b32_e32 v8, v8, v7
                                        ; implicit-def: $vgpr7
.LBB255_79:
	s_wait_alu 0xfffe
	s_and_not1_saveexec_b32 s1, s0
	s_cbranch_execz .LBB255_83
; %bb.80:
	v_add_nc_u32_e32 v8, s17, v18
	v_add_nc_u32_e32 v12, s19, v18
	s_mov_b32 s3, 0
	s_mov_b32 s4, exec_lo
	s_delay_alu instid0(VALU_DEP_2) | instskip(NEXT) | instid1(VALU_DEP_2)
	v_mul_lo_u32 v8, v8, s16
	v_mul_lo_u32 v12, v12, s18
	s_delay_alu instid0(VALU_DEP_1) | instskip(NEXT) | instid1(VALU_DEP_1)
	v_sub_nc_u32_e32 v8, v8, v12
	v_cmp_lt_u32_e32 vcc_lo, s20, v8
	v_cmpx_ge_u32_e64 s20, v8
	s_cbranch_execz .LBB255_82
; %bb.81:
	v_add_nc_u32_e32 v8, s22, v18
	v_add_nc_u32_e32 v12, s38, v18
	s_delay_alu instid0(VALU_DEP_2) | instskip(NEXT) | instid1(VALU_DEP_2)
	v_mul_lo_u32 v8, v8, s21
	v_mul_lo_u32 v12, v12, s23
	s_delay_alu instid0(VALU_DEP_1) | instskip(NEXT) | instid1(VALU_DEP_1)
	v_sub_nc_u32_e32 v8, v8, v12
	v_cmp_lt_u32_e64 s0, s39, v8
	s_and_b32 s3, s0, exec_lo
.LBB255_82:
	s_wait_alu 0xfffe
	s_or_b32 exec_lo, exec_lo, s4
	v_lshrrev_b32_e32 v8, 8, v9
	s_wait_alu 0xfffd
	v_cndmask_b32_e64 v12, 0, 1, vcc_lo
	v_lshrrev_b32_e32 v25, 16, v9
	v_cndmask_b32_e64 v26, 0, 1, s3
	v_and_b32_e32 v9, 0xff, v9
	v_lshlrev_b16 v8, 8, v8
	v_lshlrev_b16 v12, 8, v12
	v_and_b32_e32 v25, 0xff, v25
	v_lshlrev_b16 v7, 8, v7
	v_and_b32_e32 v11, 0xff, v11
	v_lshlrev_b16 v10, 8, v10
	v_or_b32_e32 v8, v9, v8
	v_or_b32_e32 v9, v25, v12
	s_delay_alu instid0(VALU_DEP_4) | instskip(NEXT) | instid1(VALU_DEP_4)
	v_or_b32_e32 v7, v11, v7
	v_or_b32_e32 v10, v26, v10
	s_delay_alu instid0(VALU_DEP_4) | instskip(NEXT) | instid1(VALU_DEP_4)
	v_and_b32_e32 v8, 0xffff, v8
	v_lshlrev_b32_e32 v9, 16, v9
	s_delay_alu instid0(VALU_DEP_4) | instskip(NEXT) | instid1(VALU_DEP_4)
	v_lshlrev_b32_e32 v7, 16, v7
	v_and_b32_e32 v10, 0xffff, v10
	s_delay_alu instid0(VALU_DEP_3) | instskip(NEXT) | instid1(VALU_DEP_2)
	v_or_b32_e32 v49, v8, v9
	v_or_b32_e32 v8, v10, v7
.LBB255_83:
	s_wait_alu 0xfffe
	s_or_b32 exec_lo, exec_lo, s1
	v_add_nc_u32_e32 v7, 8, v46
	s_delay_alu instid0(VALU_DEP_2)
	v_lshrrev_b32_e32 v9, 16, v8
	v_lshrrev_b32_e32 v10, 24, v8
	;; [unrolled: 1-line block ×4, first 2 shown]
	v_cmp_le_u32_e32 vcc_lo, s27, v7
	v_lshrrev_b32_e32 v11, 8, v6
                                        ; implicit-def: $vgpr6
                                        ; implicit-def: $vgpr7
	s_and_saveexec_b32 s0, vcc_lo
	s_wait_alu 0xfffe
	s_xor_b32 s0, exec_lo, s0
	s_cbranch_execz .LBB255_85
; %bb.84:
	v_lshlrev_b16 v6, 8, v12
	v_and_b32_e32 v7, 0xff, v25
	v_lshlrev_b16 v11, 8, v11
	v_lshlrev_b16 v10, 8, v10
	v_perm_b32 v5, v5, v5, 0x3060504
                                        ; implicit-def: $vgpr12
                                        ; implicit-def: $vgpr25
	s_delay_alu instid0(VALU_DEP_4) | instskip(SKIP_2) | instid1(VALU_DEP_3)
	v_or_b32_e32 v6, v7, v6
	v_and_b32_e32 v7, 0xff, v9
	v_and_b32_e32 v9, 0xffff, v11
                                        ; implicit-def: $vgpr11
	v_lshlrev_b32_e32 v6, 16, v6
	s_delay_alu instid0(VALU_DEP_3) | instskip(NEXT) | instid1(VALU_DEP_2)
	v_or_b32_e32 v10, v7, v10
	v_or_b32_e32 v7, v9, v6
	s_delay_alu instid0(VALU_DEP_2)
	v_perm_b32 v6, v10, v8, 0x5040c00
                                        ; implicit-def: $vgpr8
                                        ; implicit-def: $vgpr9
                                        ; implicit-def: $vgpr10
.LBB255_85:
	s_wait_alu 0xfffe
	s_and_not1_saveexec_b32 s1, s0
	s_cbranch_execz .LBB255_89
; %bb.86:
	v_add_nc_u32_e32 v6, s17, v15
	v_add_nc_u32_e32 v7, s19, v15
	s_mov_b32 s3, 0
	s_mov_b32 s4, exec_lo
	s_delay_alu instid0(VALU_DEP_2) | instskip(NEXT) | instid1(VALU_DEP_2)
	v_mul_lo_u32 v6, v6, s16
	v_mul_lo_u32 v7, v7, s18
	s_delay_alu instid0(VALU_DEP_1) | instskip(NEXT) | instid1(VALU_DEP_1)
	v_sub_nc_u32_e32 v6, v6, v7
	v_cmp_lt_u32_e32 vcc_lo, s20, v6
	v_cmpx_ge_u32_e64 s20, v6
	s_cbranch_execz .LBB255_88
; %bb.87:
	v_add_nc_u32_e32 v6, s22, v15
	v_add_nc_u32_e32 v7, s38, v15
	s_delay_alu instid0(VALU_DEP_2) | instskip(NEXT) | instid1(VALU_DEP_2)
	v_mul_lo_u32 v6, v6, s21
	v_mul_lo_u32 v7, v7, s23
	s_delay_alu instid0(VALU_DEP_1) | instskip(NEXT) | instid1(VALU_DEP_1)
	v_sub_nc_u32_e32 v6, v6, v7
	v_cmp_lt_u32_e64 s0, s39, v6
	s_and_b32 s3, s0, exec_lo
.LBB255_88:
	s_wait_alu 0xfffe
	s_or_b32 exec_lo, exec_lo, s4
	v_cndmask_b32_e64 v6, 0, 1, s3
	s_wait_alu 0xfffd
	v_cndmask_b32_e64 v7, 0, 1, vcc_lo
	v_lshlrev_b16 v12, 8, v12
	v_and_b32_e32 v25, 0xff, v25
	v_lshlrev_b16 v11, 8, v11
	v_lshlrev_b16 v6, 8, v6
	v_and_b32_e32 v8, 0xff, v8
	v_lshlrev_b16 v10, 8, v10
	v_and_b32_e32 v9, 0xff, v9
	v_or_b32_e32 v12, v25, v12
	v_or_b32_e32 v7, v7, v11
	;; [unrolled: 1-line block ×3, first 2 shown]
	s_delay_alu instid0(VALU_DEP_4) | instskip(NEXT) | instid1(VALU_DEP_4)
	v_or_b32_e32 v8, v9, v10
	v_lshlrev_b32_e32 v9, 16, v12
	s_delay_alu instid0(VALU_DEP_4) | instskip(NEXT) | instid1(VALU_DEP_4)
	v_and_b32_e32 v7, 0xffff, v7
	v_and_b32_e32 v6, 0xffff, v6
	s_delay_alu instid0(VALU_DEP_4) | instskip(NEXT) | instid1(VALU_DEP_3)
	v_lshlrev_b32_e32 v8, 16, v8
	v_or_b32_e32 v7, v7, v9
	s_delay_alu instid0(VALU_DEP_2)
	v_or_b32_e32 v6, v6, v8
.LBB255_89:
	s_wait_alu 0xfffe
	s_or_b32 exec_lo, exec_lo, s1
	v_add_nc_u32_e32 v8, 9, v46
	s_delay_alu instid0(VALU_DEP_2)
	v_lshrrev_b32_e32 v10, 8, v6
	v_lshrrev_b32_e32 v25, 24, v7
	;; [unrolled: 1-line block ×3, first 2 shown]
	v_and_b32_e32 v11, 0xff, v6
	v_cmp_le_u32_e32 vcc_lo, s27, v8
                                        ; implicit-def: $vgpr8
                                        ; implicit-def: $vgpr9
	s_and_saveexec_b32 s0, vcc_lo
	s_wait_alu 0xfffe
	s_xor_b32 s0, exec_lo, s0
	s_cbranch_execz .LBB255_91
; %bb.90:
	v_lshlrev_b16 v8, 8, v10
	v_lshlrev_b16 v9, 8, v25
	v_and_b32_e32 v10, 0xff, v12
	v_perm_b32 v5, v5, v5, 0x3060504
                                        ; implicit-def: $vgpr25
                                        ; implicit-def: $vgpr12
	s_delay_alu instid0(VALU_DEP_4) | instskip(NEXT) | instid1(VALU_DEP_3)
	v_or_b32_e32 v8, v11, v8
                                        ; implicit-def: $vgpr11
	v_or_b32_e32 v9, v10, v9
                                        ; implicit-def: $vgpr10
	s_delay_alu instid0(VALU_DEP_2) | instskip(NEXT) | instid1(VALU_DEP_2)
	v_and_b32_e32 v8, 0xffff, v8
	v_perm_b32 v9, v9, v7, 0x5040c00
                                        ; implicit-def: $vgpr7
	s_delay_alu instid0(VALU_DEP_2)
	v_and_or_b32 v8, 0xff000000, v6, v8
                                        ; implicit-def: $vgpr6
.LBB255_91:
	s_wait_alu 0xfffe
	s_and_not1_saveexec_b32 s1, s0
	s_cbranch_execz .LBB255_95
; %bb.92:
	v_add_nc_u32_e32 v8, s17, v16
	v_add_nc_u32_e32 v9, s19, v16
	s_mov_b32 s3, 0
	s_mov_b32 s4, exec_lo
	s_delay_alu instid0(VALU_DEP_2) | instskip(NEXT) | instid1(VALU_DEP_2)
	v_mul_lo_u32 v8, v8, s16
	v_mul_lo_u32 v9, v9, s18
	s_delay_alu instid0(VALU_DEP_1) | instskip(NEXT) | instid1(VALU_DEP_1)
	v_sub_nc_u32_e32 v8, v8, v9
	v_cmp_lt_u32_e32 vcc_lo, s20, v8
	v_cmpx_ge_u32_e64 s20, v8
	s_cbranch_execz .LBB255_94
; %bb.93:
	v_add_nc_u32_e32 v8, s22, v16
	v_add_nc_u32_e32 v9, s38, v16
	s_delay_alu instid0(VALU_DEP_2) | instskip(NEXT) | instid1(VALU_DEP_2)
	v_mul_lo_u32 v8, v8, s21
	v_mul_lo_u32 v9, v9, s23
	s_delay_alu instid0(VALU_DEP_1) | instskip(NEXT) | instid1(VALU_DEP_1)
	v_sub_nc_u32_e32 v8, v8, v9
	v_cmp_lt_u32_e64 s0, s39, v8
	s_and_b32 s3, s0, exec_lo
.LBB255_94:
	s_wait_alu 0xfffe
	s_or_b32 exec_lo, exec_lo, s4
	s_wait_alu 0xfffd
	v_cndmask_b32_e64 v8, 0, 1, vcc_lo
	v_lshrrev_b32_e32 v6, 24, v6
	v_cndmask_b32_e64 v9, 0, 1, s3
	v_lshlrev_b16 v25, 8, v25
	v_and_b32_e32 v12, 0xff, v12
	v_lshlrev_b16 v8, 8, v8
	v_lshlrev_b16 v10, 8, v10
	v_and_b32_e32 v7, 0xff, v7
	v_lshlrev_b16 v6, 8, v6
	v_or_b32_e32 v12, v12, v25
	s_delay_alu instid0(VALU_DEP_4) | instskip(NEXT) | instid1(VALU_DEP_4)
	v_or_b32_e32 v10, v11, v10
	v_or_b32_e32 v7, v7, v8
	s_delay_alu instid0(VALU_DEP_4) | instskip(NEXT) | instid1(VALU_DEP_4)
	v_or_b32_e32 v6, v9, v6
	v_lshlrev_b32_e32 v8, 16, v12
	s_delay_alu instid0(VALU_DEP_4) | instskip(NEXT) | instid1(VALU_DEP_4)
	v_and_b32_e32 v10, 0xffff, v10
	v_and_b32_e32 v7, 0xffff, v7
	s_delay_alu instid0(VALU_DEP_4) | instskip(NEXT) | instid1(VALU_DEP_2)
	v_lshlrev_b32_e32 v6, 16, v6
	v_or_b32_e32 v9, v7, v8
	s_delay_alu instid0(VALU_DEP_2)
	v_or_b32_e32 v8, v10, v6
.LBB255_95:
	s_wait_alu 0xfffe
	s_or_b32 exec_lo, exec_lo, s1
	v_add_nc_u32_e32 v6, 10, v46
	v_and_b32_e32 v7, 0xff, v9
	v_lshrrev_b32_e32 v10, 8, v9
                                        ; implicit-def: $vgpr51
	s_delay_alu instid0(VALU_DEP_3)
	v_cmp_le_u32_e32 vcc_lo, s27, v6
                                        ; implicit-def: $vgpr6
	s_and_saveexec_b32 s0, vcc_lo
	s_wait_alu 0xfffe
	s_xor_b32 s0, exec_lo, s0
	s_cbranch_execz .LBB255_97
; %bb.96:
	v_lshlrev_b16 v6, 8, v10
	v_perm_b32 v5, v5, v5, 0x3060504
                                        ; implicit-def: $vgpr10
	s_delay_alu instid0(VALU_DEP_2) | instskip(SKIP_1) | instid1(VALU_DEP_2)
	v_or_b32_e32 v6, v7, v6
	v_and_b32_e32 v7, 0xff0000, v8
	v_and_b32_e32 v6, 0xffff, v6
	s_delay_alu instid0(VALU_DEP_2) | instskip(NEXT) | instid1(VALU_DEP_2)
	v_perm_b32 v51, v8, v7, 0x3020504
                                        ; implicit-def: $vgpr7
                                        ; implicit-def: $vgpr8
	v_and_or_b32 v6, 0xff000000, v9, v6
                                        ; implicit-def: $vgpr9
.LBB255_97:
	s_wait_alu 0xfffe
	s_and_not1_saveexec_b32 s1, s0
	s_cbranch_execz .LBB255_101
; %bb.98:
	v_add_nc_u32_e32 v6, s17, v13
	v_add_nc_u32_e32 v11, s19, v13
	s_mov_b32 s3, 0
	s_mov_b32 s4, exec_lo
	s_delay_alu instid0(VALU_DEP_2) | instskip(NEXT) | instid1(VALU_DEP_2)
	v_mul_lo_u32 v6, v6, s16
	v_mul_lo_u32 v11, v11, s18
	s_delay_alu instid0(VALU_DEP_1) | instskip(NEXT) | instid1(VALU_DEP_1)
	v_sub_nc_u32_e32 v6, v6, v11
	v_cmp_lt_u32_e32 vcc_lo, s20, v6
	v_cmpx_ge_u32_e64 s20, v6
	s_cbranch_execz .LBB255_100
; %bb.99:
	v_add_nc_u32_e32 v6, s22, v13
	v_add_nc_u32_e32 v11, s38, v13
	s_delay_alu instid0(VALU_DEP_2) | instskip(NEXT) | instid1(VALU_DEP_2)
	v_mul_lo_u32 v6, v6, s21
	v_mul_lo_u32 v11, v11, s23
	s_delay_alu instid0(VALU_DEP_1) | instskip(NEXT) | instid1(VALU_DEP_1)
	v_sub_nc_u32_e32 v6, v6, v11
	v_cmp_lt_u32_e64 s0, s39, v6
	s_and_b32 s3, s0, exec_lo
.LBB255_100:
	s_wait_alu 0xfffe
	s_or_b32 exec_lo, exec_lo, s4
	v_lshrrev_b32_e32 v9, 24, v9
	v_cndmask_b32_e64 v11, 0, 1, s3
	v_lshrrev_b32_e32 v12, 8, v8
	v_lshrrev_b32_e32 v25, 16, v8
	s_wait_alu 0xfffd
	v_cndmask_b32_e64 v6, 0, 1, vcc_lo
	v_lshlrev_b16 v10, 8, v10
	v_lshlrev_b16 v9, 8, v9
	v_and_b32_e32 v8, 0xff, v8
	v_lshlrev_b16 v12, 8, v12
	v_lshlrev_b16 v11, 8, v11
	v_and_b32_e32 v25, 0xff, v25
	v_or_b32_e32 v7, v7, v10
	v_or_b32_e32 v6, v6, v9
	;; [unrolled: 1-line block ×3, first 2 shown]
	s_delay_alu instid0(VALU_DEP_4) | instskip(NEXT) | instid1(VALU_DEP_4)
	v_or_b32_e32 v9, v25, v11
	v_and_b32_e32 v7, 0xffff, v7
	s_delay_alu instid0(VALU_DEP_4) | instskip(NEXT) | instid1(VALU_DEP_4)
	v_lshlrev_b32_e32 v6, 16, v6
	v_and_b32_e32 v8, 0xffff, v8
	s_delay_alu instid0(VALU_DEP_4) | instskip(NEXT) | instid1(VALU_DEP_3)
	v_lshlrev_b32_e32 v9, 16, v9
	v_or_b32_e32 v6, v7, v6
	s_delay_alu instid0(VALU_DEP_2)
	v_or_b32_e32 v51, v8, v9
.LBB255_101:
	s_wait_alu 0xfffe
	s_or_b32 exec_lo, exec_lo, s1
	v_dual_mov_b32 v50, 0 :: v_dual_add_nc_u32 v7, 11, v46
	s_mov_b32 s0, exec_lo
                                        ; implicit-def: $vgpr52
	s_delay_alu instid0(VALU_DEP_1)
	v_cmpx_le_u32_e64 s27, v7
	s_wait_alu 0xfffe
	s_xor_b32 s0, exec_lo, s0
; %bb.102:
	v_and_b32_e32 v7, 0xff0000, v6
	v_perm_b32 v5, v5, v5, 0x3060504
	s_delay_alu instid0(VALU_DEP_2)
	v_perm_b32 v52, v6, v7, 0x3020504
                                        ; implicit-def: $vgpr6
; %bb.103:
	s_wait_alu 0xfffe
	s_and_not1_saveexec_b32 s1, s0
	s_cbranch_execz .LBB255_107
; %bb.104:
	v_add_nc_u32_e32 v7, s17, v14
	v_add_nc_u32_e32 v8, s19, v14
	s_mov_b32 s3, 0
	s_mov_b32 s4, exec_lo
	s_delay_alu instid0(VALU_DEP_2) | instskip(NEXT) | instid1(VALU_DEP_2)
	v_mul_lo_u32 v7, v7, s16
	v_mul_lo_u32 v8, v8, s18
	s_delay_alu instid0(VALU_DEP_1) | instskip(NEXT) | instid1(VALU_DEP_1)
	v_sub_nc_u32_e32 v7, v7, v8
	v_cmp_lt_u32_e32 vcc_lo, s20, v7
	v_cmpx_ge_u32_e64 s20, v7
	s_cbranch_execz .LBB255_106
; %bb.105:
	v_add_nc_u32_e32 v7, s22, v14
	v_add_nc_u32_e32 v8, s38, v14
	s_delay_alu instid0(VALU_DEP_2) | instskip(NEXT) | instid1(VALU_DEP_2)
	v_mul_lo_u32 v7, v7, s21
	v_mul_lo_u32 v8, v8, s23
	s_delay_alu instid0(VALU_DEP_1) | instskip(NEXT) | instid1(VALU_DEP_1)
	v_sub_nc_u32_e32 v7, v7, v8
	v_cmp_lt_u32_e64 s0, s39, v7
	s_and_b32 s3, s0, exec_lo
.LBB255_106:
	s_wait_alu 0xfffe
	s_or_b32 exec_lo, exec_lo, s4
	v_lshrrev_b32_e32 v7, 8, v6
	s_wait_alu 0xfffd
	v_cndmask_b32_e64 v8, 0, 1, vcc_lo
	v_lshrrev_b32_e32 v9, 16, v6
	v_and_b32_e32 v6, 0xff, v6
	v_cndmask_b32_e64 v50, 0, 1, s3
	v_lshlrev_b16 v7, 8, v7
	v_lshlrev_b16 v8, 8, v8
	v_and_b32_e32 v9, 0xff, v9
	s_delay_alu instid0(VALU_DEP_3) | instskip(NEXT) | instid1(VALU_DEP_2)
	v_or_b32_e32 v6, v6, v7
	v_or_b32_e32 v7, v9, v8
	s_delay_alu instid0(VALU_DEP_2) | instskip(NEXT) | instid1(VALU_DEP_2)
	v_and_b32_e32 v6, 0xffff, v6
	v_lshlrev_b32_e32 v7, 16, v7
	s_delay_alu instid0(VALU_DEP_1)
	v_or_b32_e32 v52, v6, v7
.LBB255_107:
	s_wait_alu 0xfffe
	s_or_b32 exec_lo, exec_lo, s1
	v_add_nc_u32_e32 v8, 12, v46
	v_lshrrev_b32_e32 v6, 8, v5
	v_lshrrev_b32_e32 v7, 16, v5
	;; [unrolled: 1-line block ×3, first 2 shown]
	s_mov_b32 s0, exec_lo
                                        ; implicit-def: $vgpr54
	v_cmpx_le_u32_e64 s27, v8
	s_wait_alu 0xfffe
	s_xor_b32 s0, exec_lo, s0
	s_cbranch_execz .LBB255_109
; %bb.108:
	v_lshlrev_b16 v5, 8, v5
	v_and_b32_e32 v7, 0xff, v7
	v_lshlrev_b16 v6, 8, v6
	s_delay_alu instid0(VALU_DEP_2) | instskip(NEXT) | instid1(VALU_DEP_2)
	v_or_b32_e32 v5, v7, v5
	v_and_b32_e32 v6, 0xffff, v6
                                        ; implicit-def: $vgpr7
	s_delay_alu instid0(VALU_DEP_2) | instskip(NEXT) | instid1(VALU_DEP_1)
	v_lshlrev_b32_e32 v5, 16, v5
	v_or_b32_e32 v54, v6, v5
                                        ; implicit-def: $vgpr5
                                        ; implicit-def: $vgpr6
.LBB255_109:
	s_wait_alu 0xfffe
	s_or_saveexec_b32 s1, s0
	v_mov_b32_e32 v53, 0
	s_wait_alu 0xfffe
	s_xor_b32 exec_lo, exec_lo, s1
	s_cbranch_execz .LBB255_113
; %bb.110:
	v_add_nc_u32_e32 v8, s17, v45
	v_add_nc_u32_e32 v9, s19, v45
	s_mov_b32 s3, 0
	s_mov_b32 s4, exec_lo
	s_delay_alu instid0(VALU_DEP_2) | instskip(NEXT) | instid1(VALU_DEP_2)
	v_mul_lo_u32 v8, v8, s16
	v_mul_lo_u32 v9, v9, s18
	s_delay_alu instid0(VALU_DEP_1) | instskip(NEXT) | instid1(VALU_DEP_1)
	v_sub_nc_u32_e32 v8, v8, v9
	v_cmp_lt_u32_e32 vcc_lo, s20, v8
	v_cmpx_ge_u32_e64 s20, v8
	s_cbranch_execz .LBB255_112
; %bb.111:
	v_add_nc_u32_e32 v8, s22, v45
	v_add_nc_u32_e32 v9, s38, v45
	s_delay_alu instid0(VALU_DEP_2) | instskip(NEXT) | instid1(VALU_DEP_2)
	v_mul_lo_u32 v8, v8, s21
	v_mul_lo_u32 v9, v9, s23
	s_delay_alu instid0(VALU_DEP_1) | instskip(NEXT) | instid1(VALU_DEP_1)
	v_sub_nc_u32_e32 v8, v8, v9
	v_cmp_lt_u32_e64 s0, s39, v8
	s_and_b32 s3, s0, exec_lo
.LBB255_112:
	s_wait_alu 0xfffe
	s_or_b32 exec_lo, exec_lo, s4
	s_wait_alu 0xfffd
	v_cndmask_b32_e64 v8, 0, 1, vcc_lo
	v_lshlrev_b16 v5, 8, v5
	v_and_b32_e32 v7, 0xff, v7
	v_lshlrev_b16 v6, 8, v6
	v_cndmask_b32_e64 v53, 0, 1, s3
	s_delay_alu instid0(VALU_DEP_3) | instskip(NEXT) | instid1(VALU_DEP_3)
	v_or_b32_e32 v5, v7, v5
	v_or_b32_e32 v6, v8, v6
	s_delay_alu instid0(VALU_DEP_2) | instskip(NEXT) | instid1(VALU_DEP_2)
	v_lshlrev_b32_e32 v5, 16, v5
	v_and_b32_e32 v6, 0xffff, v6
	s_delay_alu instid0(VALU_DEP_1)
	v_or_b32_e32 v54, v6, v5
.LBB255_113:
	s_or_b32 exec_lo, exec_lo, s1
.LBB255_114:
	v_and_b32_e32 v77, 0xff, v47
	s_delay_alu instid0(VALU_DEP_2)
	v_bfe_u32 v78, v54, 8, 8
	v_bfe_u32 v74, v47, 8, 8
	;; [unrolled: 1-line block ×4, first 2 shown]
	v_lshrrev_b32_e32 v60, 24, v54
	v_lshrrev_b32_e32 v59, 24, v47
	v_and_b32_e32 v73, 0xff, v48
	v_and_b32_e32 v71, 0xff, v49
	v_bfe_u32 v72, v48, 8, 8
	v_add3_u32 v5, v74, v77, v76
	v_add3_u32 v6, v75, v78, v60
	v_bfe_u32 v69, v49, 8, 8
	v_bfe_u32 v70, v48, 16, 8
	;; [unrolled: 1-line block ×3, first 2 shown]
	v_lshrrev_b32_e32 v58, 24, v48
	v_add3_u32 v5, v5, v59, v71
	v_add3_u32 v6, v6, v73, v72
	v_lshrrev_b32_e32 v57, 24, v49
	v_and_b32_e32 v68, 0xff, v51
	v_and_b32_e32 v66, 0xff, v52
	v_bfe_u32 v67, v51, 8, 8
	v_add3_u32 v5, v5, v69, v65
	v_add3_u32 v6, v6, v70, v58
	v_bfe_u32 v63, v52, 8, 8
	v_bfe_u32 v64, v51, 16, 8
	;; [unrolled: 1-line block ×3, first 2 shown]
	v_lshrrev_b32_e32 v56, 24, v51
	v_add3_u32 v5, v5, v57, v66
	v_add3_u32 v6, v6, v68, v67
	v_mbcnt_lo_u32_b32 v79, -1, 0
	v_lshrrev_b32_e32 v55, 24, v52
	v_and_b32_e32 v61, 0xff, v50
	v_and_b32_e32 v7, 0xff, v54
	;; [unrolled: 1-line block ×3, first 2 shown]
	v_add3_u32 v5, v5, v63, v62
	v_add3_u32 v6, v6, v64, v56
	v_and_b32_e32 v81, 15, v79
	v_and_b32_e32 v83, 16, v79
	v_lshrrev_b32_e32 v80, 5, v0
	v_add3_u32 v84, v5, v55, v7
	v_add3_u32 v85, v6, v61, v8
	v_cmp_eq_u32_e64 s1, 0, v81
	v_cmp_lt_u32_e64 s0, 1, v81
	v_cmp_lt_u32_e64 s3, 3, v81
	v_or_b32_e32 v82, 31, v0
	s_cmp_lg_u32 s33, 0
	s_mov_b32 s4, -1
	v_cmp_lt_u32_e32 vcc_lo, 7, v81
	s_cbranch_scc0 .LBB255_135
; %bb.115:
	v_mov_b32_dpp v6, v84 row_shr:1 row_mask:0xf bank_mask:0xf
	v_mov_b32_dpp v5, v85 row_shr:1 row_mask:0xf bank_mask:0xf
	s_mov_b32 s4, exec_lo
	s_delay_alu instid0(VALU_DEP_2) | instskip(SKIP_1) | instid1(VALU_DEP_1)
	v_add_nc_u32_e32 v6, v6, v84
	s_wait_alu 0xf1ff
	v_cndmask_b32_e64 v6, v6, v84, s1
	s_delay_alu instid0(VALU_DEP_1) | instskip(NEXT) | instid1(VALU_DEP_1)
	v_mov_b32_dpp v8, v6 row_shr:2 row_mask:0xf bank_mask:0xf
	v_add_nc_u32_e32 v8, v6, v8
	s_delay_alu instid0(VALU_DEP_1) | instskip(NEXT) | instid1(VALU_DEP_1)
	v_cndmask_b32_e64 v6, v6, v8, s0
	v_mov_b32_dpp v8, v6 row_shr:4 row_mask:0xf bank_mask:0xf
	s_delay_alu instid0(VALU_DEP_1) | instskip(NEXT) | instid1(VALU_DEP_1)
	v_add_nc_u32_e32 v8, v6, v8
	v_cndmask_b32_e64 v6, v6, v8, s3
	s_delay_alu instid0(VALU_DEP_1) | instskip(NEXT) | instid1(VALU_DEP_1)
	v_mov_b32_dpp v8, v6 row_shr:8 row_mask:0xf bank_mask:0xf
	v_add_nc_u32_e32 v8, v6, v8
	s_wait_alu 0xfffd
	s_delay_alu instid0(VALU_DEP_1) | instskip(NEXT) | instid1(VALU_DEP_1)
	v_dual_cndmask_b32 v6, v6, v8 :: v_dual_add_nc_u32 v5, v5, v85
	v_cndmask_b32_e64 v5, v5, v85, s1
	ds_swizzle_b32 v8, v6 offset:swizzle(BROADCAST,32,15)
	v_mov_b32_dpp v7, v5 row_shr:2 row_mask:0xf bank_mask:0xf
	s_delay_alu instid0(VALU_DEP_1) | instskip(NEXT) | instid1(VALU_DEP_1)
	v_add_nc_u32_e32 v7, v5, v7
	v_cndmask_b32_e64 v5, v5, v7, s0
	s_delay_alu instid0(VALU_DEP_1) | instskip(SKIP_2) | instid1(VALU_DEP_2)
	v_mov_b32_dpp v7, v5 row_shr:4 row_mask:0xf bank_mask:0xf
	s_wait_dscnt 0x0
	v_add_nc_u32_e32 v8, v6, v8
	v_add_nc_u32_e32 v7, v5, v7
	s_delay_alu instid0(VALU_DEP_1) | instskip(NEXT) | instid1(VALU_DEP_1)
	v_cndmask_b32_e64 v5, v5, v7, s3
	v_mov_b32_dpp v7, v5 row_shr:8 row_mask:0xf bank_mask:0xf
	s_delay_alu instid0(VALU_DEP_1) | instskip(NEXT) | instid1(VALU_DEP_1)
	v_add_nc_u32_e32 v7, v5, v7
	v_cndmask_b32_e32 v5, v5, v7, vcc_lo
	v_cmp_eq_u32_e32 vcc_lo, 0, v83
	ds_swizzle_b32 v7, v5 offset:swizzle(BROADCAST,32,15)
	s_wait_dscnt 0x0
	v_add_nc_u32_e32 v7, v5, v7
	v_cmpx_eq_u32_e64 v0, v82
; %bb.116:
	s_wait_alu 0xfffd
	s_delay_alu instid0(VALU_DEP_2)
	v_dual_cndmask_b32 v10, v7, v5 :: v_dual_lshlrev_b32 v11, 3, v80
	v_cndmask_b32_e32 v9, v8, v6, vcc_lo
	ds_store_b64 v11, v[9:10]
; %bb.117:
	s_wait_alu 0xfffe
	s_or_b32 exec_lo, exec_lo, s4
	s_delay_alu instid0(SALU_CYCLE_1)
	s_mov_b32 s4, exec_lo
	s_wait_loadcnt_dscnt 0x0
	s_barrier_signal -1
	s_barrier_wait -1
	global_inv scope:SCOPE_SE
	v_cmpx_gt_u32_e32 8, v0
	s_cbranch_execz .LBB255_119
; %bb.118:
	v_lshlrev_b32_e32 v11, 3, v0
	v_and_b32_e32 v26, 7, v79
	ds_load_b64 v[9:10], v11
	v_cmp_eq_u32_e64 s3, 0, v26
	s_wait_dscnt 0x0
	v_mov_b32_dpp v12, v9 row_shr:1 row_mask:0xf bank_mask:0xf
	v_mov_b32_dpp v25, v10 row_shr:1 row_mask:0xf bank_mask:0xf
	s_delay_alu instid0(VALU_DEP_2) | instskip(NEXT) | instid1(VALU_DEP_2)
	v_add_nc_u32_e32 v12, v12, v9
	v_add_nc_u32_e32 v25, v25, v10
	s_wait_alu 0xf1ff
	s_delay_alu instid0(VALU_DEP_2) | instskip(NEXT) | instid1(VALU_DEP_2)
	v_cndmask_b32_e64 v9, v12, v9, s3
	v_cndmask_b32_e64 v10, v25, v10, s3
	v_cmp_lt_u32_e64 s3, 1, v26
	s_delay_alu instid0(VALU_DEP_3) | instskip(NEXT) | instid1(VALU_DEP_3)
	v_mov_b32_dpp v12, v9 row_shr:2 row_mask:0xf bank_mask:0xf
	v_mov_b32_dpp v25, v10 row_shr:2 row_mask:0xf bank_mask:0xf
	s_delay_alu instid0(VALU_DEP_2) | instskip(NEXT) | instid1(VALU_DEP_2)
	v_add_nc_u32_e32 v12, v9, v12
	v_add_nc_u32_e32 v25, v10, v25
	s_wait_alu 0xf1ff
	s_delay_alu instid0(VALU_DEP_2) | instskip(NEXT) | instid1(VALU_DEP_2)
	v_cndmask_b32_e64 v9, v9, v12, s3
	v_cndmask_b32_e64 v10, v10, v25, s3
	v_cmp_lt_u32_e64 s3, 3, v26
	s_delay_alu instid0(VALU_DEP_3) | instskip(NEXT) | instid1(VALU_DEP_3)
	v_mov_b32_dpp v12, v9 row_shr:4 row_mask:0xf bank_mask:0xf
	v_mov_b32_dpp v25, v10 row_shr:4 row_mask:0xf bank_mask:0xf
	s_wait_alu 0xf1ff
	s_delay_alu instid0(VALU_DEP_2) | instskip(NEXT) | instid1(VALU_DEP_2)
	v_cndmask_b32_e64 v12, 0, v12, s3
	v_cndmask_b32_e64 v25, 0, v25, s3
	s_delay_alu instid0(VALU_DEP_2) | instskip(NEXT) | instid1(VALU_DEP_2)
	v_add_nc_u32_e32 v9, v12, v9
	v_add_nc_u32_e32 v10, v25, v10
	ds_store_b64 v11, v[9:10]
.LBB255_119:
	s_wait_alu 0xfffe
	s_or_b32 exec_lo, exec_lo, s4
	v_dual_cndmask_b32 v5, v7, v5 :: v_dual_cndmask_b32 v6, v8, v6
	s_mov_b32 s4, exec_lo
	v_cmp_gt_u32_e32 vcc_lo, 32, v0
	s_wait_loadcnt_dscnt 0x0
	s_barrier_signal -1
	s_barrier_wait -1
	global_inv scope:SCOPE_SE
                                        ; implicit-def: $vgpr25
	v_cmpx_lt_u32_e32 31, v0
	s_cbranch_execz .LBB255_121
; %bb.120:
	v_lshl_add_u32 v7, v80, 3, -8
	ds_load_b64 v[25:26], v7
	s_wait_dscnt 0x0
	v_add_nc_u32_e32 v5, v26, v5
	v_add_nc_u32_e32 v6, v25, v6
.LBB255_121:
	s_wait_alu 0xfffe
	s_or_b32 exec_lo, exec_lo, s4
	v_sub_co_u32 v7, s3, v79, 1
	s_delay_alu instid0(VALU_DEP_1) | instskip(SKIP_1) | instid1(VALU_DEP_1)
	v_cmp_gt_i32_e64 s4, 0, v7
	s_wait_alu 0xf1ff
	v_cndmask_b32_e64 v7, v7, v79, s4
	s_delay_alu instid0(VALU_DEP_1)
	v_lshlrev_b32_e32 v7, 2, v7
	ds_bpermute_b32 v86, v7, v6
	ds_bpermute_b32 v87, v7, v5
	s_and_saveexec_b32 s4, vcc_lo
	s_cbranch_execz .LBB255_140
; %bb.122:
	v_mov_b32_e32 v8, 0
	ds_load_b64 v[5:6], v8 offset:56
	s_and_saveexec_b32 s5, s3
	s_cbranch_execz .LBB255_124
; %bb.123:
	s_add_co_i32 s6, s33, 32
	s_mov_b32 s7, 0
	s_wait_alu 0xfffe
	s_lshl_b64 s[6:7], s[6:7], 4
	s_wait_alu 0xfffe
	s_add_nc_u64 s[6:7], s[36:37], s[6:7]
	s_wait_alu 0xfffe
	v_dual_mov_b32 v7, 1 :: v_dual_mov_b32 v10, s7
	v_mov_b32_e32 v9, s6
	s_wait_dscnt 0x0
	;;#ASMSTART
	global_store_b128 v[9:10], v[5:8] off scope:SCOPE_DEV	
s_wait_storecnt 0x0
	;;#ASMEND
.LBB255_124:
	s_wait_alu 0xfffe
	s_or_b32 exec_lo, exec_lo, s5
	v_xad_u32 v27, v79, -1, s33
	s_mov_b32 s6, 0
	s_mov_b32 s5, exec_lo
	s_delay_alu instid0(VALU_DEP_1) | instskip(NEXT) | instid1(VALU_DEP_1)
	v_add_nc_u32_e32 v7, 32, v27
	v_lshlrev_b64_e32 v[7:8], 4, v[7:8]
	s_delay_alu instid0(VALU_DEP_1) | instskip(SKIP_1) | instid1(VALU_DEP_2)
	v_add_co_u32 v7, vcc_lo, s36, v7
	s_wait_alu 0xfffd
	v_add_co_ci_u32_e64 v8, null, s37, v8, vcc_lo
	;;#ASMSTART
	global_load_b128 v[9:12], v[7:8] off scope:SCOPE_DEV	
s_wait_loadcnt 0x0
	;;#ASMEND
	v_and_b32_e32 v12, 0xff, v11
	s_delay_alu instid0(VALU_DEP_1)
	v_cmpx_eq_u16_e32 0, v12
	s_cbranch_execz .LBB255_127
.LBB255_125:                            ; =>This Inner Loop Header: Depth=1
	;;#ASMSTART
	global_load_b128 v[9:12], v[7:8] off scope:SCOPE_DEV	
s_wait_loadcnt 0x0
	;;#ASMEND
	v_and_b32_e32 v12, 0xff, v11
	s_delay_alu instid0(VALU_DEP_1)
	v_cmp_ne_u16_e32 vcc_lo, 0, v12
	s_wait_alu 0xfffe
	s_or_b32 s6, vcc_lo, s6
	s_wait_alu 0xfffe
	s_and_not1_b32 exec_lo, exec_lo, s6
	s_cbranch_execnz .LBB255_125
; %bb.126:
	s_or_b32 exec_lo, exec_lo, s6
.LBB255_127:
	s_wait_alu 0xfffe
	s_or_b32 exec_lo, exec_lo, s5
	v_cmp_ne_u32_e32 vcc_lo, 31, v79
	v_lshlrev_b32_e64 v89, v79, -1
	v_add_nc_u32_e32 v91, 2, v79
	v_add_nc_u32_e32 v93, 4, v79
	v_add_nc_u32_e32 v95, 8, v79
	s_wait_alu 0xfffd
	v_add_co_ci_u32_e64 v7, null, 0, v79, vcc_lo
	v_lshl_or_b32 v96, v79, 2, 64
	v_add_nc_u32_e32 v97, 16, v79
	s_delay_alu instid0(VALU_DEP_3) | instskip(SKIP_4) | instid1(VALU_DEP_1)
	v_lshlrev_b32_e32 v88, 2, v7
	ds_bpermute_b32 v8, v88, v10
	s_wait_dscnt 0x0
	v_add_nc_u32_e32 v8, v8, v10
	v_and_b32_e32 v7, 0xff, v11
	v_cmp_eq_u16_e32 vcc_lo, 2, v7
	ds_bpermute_b32 v7, v88, v9
	s_wait_dscnt 0x0
	v_add_nc_u32_e32 v7, v7, v9
	s_wait_alu 0xfffd
	v_and_b32_e32 v12, vcc_lo, v89
	v_cmp_gt_u32_e32 vcc_lo, 30, v79
	s_delay_alu instid0(VALU_DEP_2) | instskip(SKIP_2) | instid1(VALU_DEP_2)
	v_or_b32_e32 v12, 0x80000000, v12
	s_wait_alu 0xfffd
	v_cndmask_b32_e64 v28, 0, 2, vcc_lo
	v_ctz_i32_b32_e32 v12, v12
	s_delay_alu instid0(VALU_DEP_2) | instskip(NEXT) | instid1(VALU_DEP_2)
	v_add_lshl_u32 v90, v28, v79, 2
	v_cmp_lt_u32_e32 vcc_lo, v79, v12
	s_wait_alu 0xfffd
	v_dual_cndmask_b32 v8, v10, v8 :: v_dual_cndmask_b32 v7, v9, v7
	v_cmp_gt_u32_e32 vcc_lo, 28, v79
	ds_bpermute_b32 v9, v90, v8
	ds_bpermute_b32 v10, v90, v7
	s_wait_alu 0xfffd
	v_cndmask_b32_e64 v28, 0, 4, vcc_lo
	v_cmp_gt_u32_e32 vcc_lo, v91, v12
	s_delay_alu instid0(VALU_DEP_2)
	v_add_lshl_u32 v92, v28, v79, 2
	s_wait_dscnt 0x1
	v_add_nc_u32_e32 v9, v8, v9
	s_wait_dscnt 0x0
	v_add_nc_u32_e32 v10, v7, v10
	s_wait_alu 0xfffd
	s_delay_alu instid0(VALU_DEP_1)
	v_dual_cndmask_b32 v8, v9, v8 :: v_dual_cndmask_b32 v7, v10, v7
	v_cmp_gt_u32_e32 vcc_lo, 24, v79
	ds_bpermute_b32 v9, v92, v8
	ds_bpermute_b32 v10, v92, v7
	s_wait_alu 0xfffd
	v_cndmask_b32_e64 v28, 0, 8, vcc_lo
	v_cmp_gt_u32_e32 vcc_lo, v93, v12
	s_delay_alu instid0(VALU_DEP_2)
	v_add_lshl_u32 v94, v28, v79, 2
	s_wait_dscnt 0x1
	v_dual_mov_b32 v28, 0 :: v_dual_add_nc_u32 v9, v8, v9
	s_wait_dscnt 0x0
	v_add_nc_u32_e32 v10, v7, v10
	s_wait_alu 0xfffd
	s_delay_alu instid0(VALU_DEP_1)
	v_dual_cndmask_b32 v8, v9, v8 :: v_dual_cndmask_b32 v7, v10, v7
	v_cmp_gt_u32_e32 vcc_lo, v95, v12
	ds_bpermute_b32 v9, v94, v8
	ds_bpermute_b32 v10, v94, v7
	s_wait_dscnt 0x1
	v_add_nc_u32_e32 v9, v8, v9
	s_wait_dscnt 0x0
	v_add_nc_u32_e32 v10, v7, v10
	s_wait_alu 0xfffd
	s_delay_alu instid0(VALU_DEP_1)
	v_dual_cndmask_b32 v8, v9, v8 :: v_dual_cndmask_b32 v7, v10, v7
	v_cmp_le_u32_e32 vcc_lo, v97, v12
	ds_bpermute_b32 v10, v96, v8
	ds_bpermute_b32 v9, v96, v7
	s_wait_dscnt 0x0
	s_wait_alu 0xfffd
	v_dual_cndmask_b32 v10, 0, v10 :: v_dual_cndmask_b32 v9, 0, v9
	s_delay_alu instid0(VALU_DEP_1) | instskip(NEXT) | instid1(VALU_DEP_2)
	v_add_nc_u32_e32 v10, v10, v8
	v_add_nc_u32_e32 v9, v9, v7
	s_branch .LBB255_131
.LBB255_128:                            ;   in Loop: Header=BB255_131 Depth=1
	s_or_b32 exec_lo, exec_lo, s6
.LBB255_129:                            ;   in Loop: Header=BB255_131 Depth=1
	s_wait_alu 0xfffe
	s_or_b32 exec_lo, exec_lo, s5
	ds_bpermute_b32 v12, v88, v9
	ds_bpermute_b32 v29, v88, v10
	v_subrev_nc_u32_e32 v27, 32, v27
	s_mov_b32 s5, 0
	s_wait_dscnt 0x1
	v_add_nc_u32_e32 v12, v12, v9
	v_and_b32_e32 v30, 0xff, v11
	s_wait_dscnt 0x0
	v_add_nc_u32_e32 v29, v29, v10
	s_delay_alu instid0(VALU_DEP_2) | instskip(SKIP_2) | instid1(VALU_DEP_1)
	v_cmp_eq_u16_e32 vcc_lo, 2, v30
	s_wait_alu 0xfffd
	v_and_or_b32 v30, vcc_lo, v89, 0x80000000
	v_ctz_i32_b32_e32 v30, v30
	s_delay_alu instid0(VALU_DEP_1)
	v_cmp_lt_u32_e32 vcc_lo, v79, v30
	s_wait_alu 0xfffd
	v_dual_cndmask_b32 v10, v10, v29 :: v_dual_cndmask_b32 v9, v9, v12
	v_cmp_gt_u32_e32 vcc_lo, v91, v30
	ds_bpermute_b32 v29, v90, v10
	ds_bpermute_b32 v12, v90, v9
	s_wait_dscnt 0x1
	v_add_nc_u32_e32 v29, v10, v29
	s_wait_dscnt 0x0
	v_add_nc_u32_e32 v12, v9, v12
	s_wait_alu 0xfffd
	s_delay_alu instid0(VALU_DEP_1)
	v_dual_cndmask_b32 v10, v29, v10 :: v_dual_cndmask_b32 v9, v12, v9
	v_cmp_gt_u32_e32 vcc_lo, v93, v30
	ds_bpermute_b32 v29, v92, v10
	ds_bpermute_b32 v12, v92, v9
	s_wait_dscnt 0x1
	v_add_nc_u32_e32 v29, v10, v29
	s_wait_dscnt 0x0
	v_add_nc_u32_e32 v12, v9, v12
	s_wait_alu 0xfffd
	s_delay_alu instid0(VALU_DEP_1)
	;; [unrolled: 10-line block ×3, first 2 shown]
	v_dual_cndmask_b32 v10, v29, v10 :: v_dual_cndmask_b32 v9, v12, v9
	v_cmp_le_u32_e32 vcc_lo, v97, v30
	ds_bpermute_b32 v29, v96, v10
	ds_bpermute_b32 v12, v96, v9
	s_wait_dscnt 0x0
	s_wait_alu 0xfffd
	v_dual_cndmask_b32 v29, 0, v29 :: v_dual_cndmask_b32 v12, 0, v12
	s_delay_alu instid0(VALU_DEP_1) | instskip(NEXT) | instid1(VALU_DEP_2)
	v_add3_u32 v10, v10, v8, v29
	v_add3_u32 v9, v9, v7, v12
.LBB255_130:                            ;   in Loop: Header=BB255_131 Depth=1
	s_wait_alu 0xfffe
	s_and_b32 vcc_lo, exec_lo, s5
	s_wait_alu 0xfffe
	s_cbranch_vccnz .LBB255_136
.LBB255_131:                            ; =>This Loop Header: Depth=1
                                        ;     Child Loop BB255_134 Depth 2
	v_and_b32_e32 v7, 0xff, v11
	s_mov_b32 s5, -1
                                        ; implicit-def: $vgpr11
	s_delay_alu instid0(VALU_DEP_1)
	v_cmp_ne_u16_e32 vcc_lo, 2, v7
	v_dual_mov_b32 v7, v9 :: v_dual_mov_b32 v8, v10
                                        ; implicit-def: $vgpr9_vgpr10
	s_cmp_lg_u32 vcc_lo, exec_lo
	s_cbranch_scc1 .LBB255_130
; %bb.132:                              ;   in Loop: Header=BB255_131 Depth=1
	v_lshlrev_b64_e32 v[9:10], 4, v[27:28]
	s_mov_b32 s5, exec_lo
	s_delay_alu instid0(VALU_DEP_1) | instskip(SKIP_1) | instid1(VALU_DEP_2)
	v_add_co_u32 v29, vcc_lo, s36, v9
	s_wait_alu 0xfffd
	v_add_co_ci_u32_e64 v30, null, s37, v10, vcc_lo
	;;#ASMSTART
	global_load_b128 v[9:12], v[29:30] off scope:SCOPE_DEV	
s_wait_loadcnt 0x0
	;;#ASMEND
	v_and_b32_e32 v12, 0xff, v11
	s_delay_alu instid0(VALU_DEP_1)
	v_cmpx_eq_u16_e32 0, v12
	s_cbranch_execz .LBB255_129
; %bb.133:                              ;   in Loop: Header=BB255_131 Depth=1
	s_mov_b32 s6, 0
.LBB255_134:                            ;   Parent Loop BB255_131 Depth=1
                                        ; =>  This Inner Loop Header: Depth=2
	;;#ASMSTART
	global_load_b128 v[9:12], v[29:30] off scope:SCOPE_DEV	
s_wait_loadcnt 0x0
	;;#ASMEND
	v_and_b32_e32 v12, 0xff, v11
	s_delay_alu instid0(VALU_DEP_1)
	v_cmp_ne_u16_e32 vcc_lo, 0, v12
	s_wait_alu 0xfffe
	s_or_b32 s6, vcc_lo, s6
	s_wait_alu 0xfffe
	s_and_not1_b32 exec_lo, exec_lo, s6
	s_cbranch_execnz .LBB255_134
	s_branch .LBB255_128
.LBB255_135:
                                        ; implicit-def: $vgpr29
                                        ; implicit-def: $vgpr7
                                        ; implicit-def: $vgpr86
	s_wait_alu 0xfffe
	s_and_b32 vcc_lo, exec_lo, s4
	s_wait_alu 0xfffe
	s_cbranch_vccnz .LBB255_141
	s_branch .LBB255_150
.LBB255_136:
	s_and_saveexec_b32 s5, s3
	s_cbranch_execnz .LBB255_378
; %bb.137:
	s_wait_alu 0xfffe
	s_or_b32 exec_lo, exec_lo, s5
	s_and_saveexec_b32 s5, s3
	s_cbranch_execnz .LBB255_379
.LBB255_138:
	s_wait_alu 0xfffe
	s_or_b32 exec_lo, exec_lo, s5
	s_delay_alu instid0(SALU_CYCLE_1)
	s_and_b32 exec_lo, exec_lo, s2
.LBB255_139:
	v_mov_b32_e32 v5, 0
	ds_store_b64 v5, v[7:8] offset:56
.LBB255_140:
	s_wait_alu 0xfffe
	s_or_b32 exec_lo, exec_lo, s4
	s_wait_dscnt 0x1
	v_cndmask_b32_e64 v12, v86, v25, s3
	v_mov_b32_e32 v5, 0
	s_wait_loadcnt_dscnt 0x0
	s_barrier_signal -1
	s_barrier_wait -1
	global_inv scope:SCOPE_SE
	ds_load_b64 v[9:10], v5 offset:56
	s_wait_loadcnt_dscnt 0x0
	s_barrier_signal -1
	s_barrier_wait -1
	global_inv scope:SCOPE_SE
	v_cndmask_b32_e64 v11, v87, v26, s3
	v_add_nc_u32_e32 v12, v9, v12
	ds_load_b128 v[5:8], v5 offset:13312
	v_add_nc_u32_e32 v11, v10, v11
	v_cndmask_b32_e64 v86, v12, v9, s2
	s_delay_alu instid0(VALU_DEP_2)
	v_cndmask_b32_e64 v29, v11, v10, s2
	s_branch .LBB255_150
.LBB255_141:
	s_wait_dscnt 0x0
	v_mov_b32_dpp v5, v84 row_shr:1 row_mask:0xf bank_mask:0xf
	v_cmp_lt_u32_e32 vcc_lo, 3, v81
	v_mov_b32_dpp v6, v85 row_shr:1 row_mask:0xf bank_mask:0xf
	s_delay_alu instid0(VALU_DEP_3) | instskip(NEXT) | instid1(VALU_DEP_1)
	v_add_nc_u32_e32 v5, v5, v84
	v_cndmask_b32_e64 v5, v5, v84, s1
	s_delay_alu instid0(VALU_DEP_1) | instskip(NEXT) | instid1(VALU_DEP_1)
	v_mov_b32_dpp v7, v5 row_shr:2 row_mask:0xf bank_mask:0xf
	v_add_nc_u32_e32 v7, v5, v7
	s_delay_alu instid0(VALU_DEP_1) | instskip(NEXT) | instid1(VALU_DEP_1)
	v_cndmask_b32_e64 v5, v5, v7, s0
	v_mov_b32_dpp v7, v5 row_shr:4 row_mask:0xf bank_mask:0xf
	s_delay_alu instid0(VALU_DEP_1) | instskip(SKIP_1) | instid1(VALU_DEP_1)
	v_add_nc_u32_e32 v7, v5, v7
	s_wait_alu 0xfffd
	v_dual_cndmask_b32 v7, v5, v7 :: v_dual_add_nc_u32 v6, v6, v85
	s_delay_alu instid0(VALU_DEP_1) | instskip(SKIP_1) | instid1(VALU_DEP_2)
	v_cndmask_b32_e64 v6, v6, v85, s1
	s_mov_b32 s1, exec_lo
	v_mov_b32_dpp v5, v7 row_shr:8 row_mask:0xf bank_mask:0xf
	s_delay_alu instid0(VALU_DEP_2) | instskip(NEXT) | instid1(VALU_DEP_2)
	v_mov_b32_dpp v8, v6 row_shr:2 row_mask:0xf bank_mask:0xf
	v_add_nc_u32_e32 v9, v7, v5
	s_delay_alu instid0(VALU_DEP_2) | instskip(NEXT) | instid1(VALU_DEP_1)
	v_add_nc_u32_e32 v8, v6, v8
	v_cndmask_b32_e64 v6, v6, v8, s0
	s_delay_alu instid0(VALU_DEP_1) | instskip(NEXT) | instid1(VALU_DEP_1)
	v_mov_b32_dpp v8, v6 row_shr:4 row_mask:0xf bank_mask:0xf
	v_add_nc_u32_e32 v8, v6, v8
	s_delay_alu instid0(VALU_DEP_1) | instskip(SKIP_1) | instid1(VALU_DEP_2)
	v_cndmask_b32_e32 v6, v6, v8, vcc_lo
	v_cmp_lt_u32_e32 vcc_lo, 7, v81
	v_mov_b32_dpp v8, v6 row_shr:8 row_mask:0xf bank_mask:0xf
	s_delay_alu instid0(VALU_DEP_1) | instskip(SKIP_1) | instid1(VALU_DEP_1)
	v_add_nc_u32_e32 v5, v6, v8
	s_wait_alu 0xfffd
	v_cndmask_b32_e32 v5, v6, v5, vcc_lo
	v_cndmask_b32_e32 v6, v7, v9, vcc_lo
	v_cmp_eq_u32_e32 vcc_lo, 0, v83
	ds_swizzle_b32 v7, v5 offset:swizzle(BROADCAST,32,15)
	ds_swizzle_b32 v8, v6 offset:swizzle(BROADCAST,32,15)
	s_wait_dscnt 0x1
	v_add_nc_u32_e32 v7, v5, v7
	s_wait_dscnt 0x0
	v_add_nc_u32_e32 v8, v6, v8
	v_cmpx_eq_u32_e64 v0, v82
; %bb.142:
	s_wait_alu 0xfffd
	s_delay_alu instid0(VALU_DEP_2)
	v_dual_cndmask_b32 v9, v8, v6 :: v_dual_cndmask_b32 v10, v7, v5
	v_lshlrev_b32_e32 v11, 3, v80
	ds_store_b64 v11, v[9:10]
; %bb.143:
	s_wait_alu 0xfffe
	s_or_b32 exec_lo, exec_lo, s1
	s_delay_alu instid0(SALU_CYCLE_1)
	s_mov_b32 s1, exec_lo
	s_wait_loadcnt_dscnt 0x0
	s_barrier_signal -1
	s_barrier_wait -1
	global_inv scope:SCOPE_SE
	v_cmpx_gt_u32_e32 8, v0
	s_cbranch_execz .LBB255_145
; %bb.144:
	v_lshlrev_b32_e32 v11, 3, v0
	v_and_b32_e32 v26, 7, v79
	ds_load_b64 v[9:10], v11
	v_cmp_eq_u32_e64 s0, 0, v26
	s_wait_dscnt 0x0
	v_mov_b32_dpp v12, v9 row_shr:1 row_mask:0xf bank_mask:0xf
	v_mov_b32_dpp v25, v10 row_shr:1 row_mask:0xf bank_mask:0xf
	s_delay_alu instid0(VALU_DEP_2) | instskip(NEXT) | instid1(VALU_DEP_2)
	v_add_nc_u32_e32 v12, v12, v9
	v_add_nc_u32_e32 v25, v25, v10
	s_wait_alu 0xf1ff
	s_delay_alu instid0(VALU_DEP_2) | instskip(NEXT) | instid1(VALU_DEP_2)
	v_cndmask_b32_e64 v9, v12, v9, s0
	v_cndmask_b32_e64 v10, v25, v10, s0
	v_cmp_lt_u32_e64 s0, 1, v26
	s_delay_alu instid0(VALU_DEP_3) | instskip(NEXT) | instid1(VALU_DEP_3)
	v_mov_b32_dpp v12, v9 row_shr:2 row_mask:0xf bank_mask:0xf
	v_mov_b32_dpp v25, v10 row_shr:2 row_mask:0xf bank_mask:0xf
	s_delay_alu instid0(VALU_DEP_2) | instskip(NEXT) | instid1(VALU_DEP_2)
	v_add_nc_u32_e32 v12, v9, v12
	v_add_nc_u32_e32 v25, v10, v25
	s_wait_alu 0xf1ff
	s_delay_alu instid0(VALU_DEP_2) | instskip(NEXT) | instid1(VALU_DEP_2)
	v_cndmask_b32_e64 v9, v9, v12, s0
	v_cndmask_b32_e64 v10, v10, v25, s0
	v_cmp_lt_u32_e64 s0, 3, v26
	s_delay_alu instid0(VALU_DEP_3) | instskip(NEXT) | instid1(VALU_DEP_3)
	v_mov_b32_dpp v12, v9 row_shr:4 row_mask:0xf bank_mask:0xf
	v_mov_b32_dpp v25, v10 row_shr:4 row_mask:0xf bank_mask:0xf
	s_wait_alu 0xf1ff
	s_delay_alu instid0(VALU_DEP_2) | instskip(NEXT) | instid1(VALU_DEP_2)
	v_cndmask_b32_e64 v12, 0, v12, s0
	v_cndmask_b32_e64 v25, 0, v25, s0
	s_delay_alu instid0(VALU_DEP_2) | instskip(NEXT) | instid1(VALU_DEP_2)
	v_add_nc_u32_e32 v9, v12, v9
	v_add_nc_u32_e32 v10, v25, v10
	ds_store_b64 v11, v[9:10]
.LBB255_145:
	s_wait_alu 0xfffe
	s_or_b32 exec_lo, exec_lo, s1
	v_dual_mov_b32 v11, 0 :: v_dual_mov_b32 v10, 0
	v_mov_b32_e32 v9, 0
	s_mov_b32 s1, exec_lo
	s_wait_loadcnt_dscnt 0x0
	s_barrier_signal -1
	s_barrier_wait -1
	global_inv scope:SCOPE_SE
	v_cmpx_lt_u32_e32 31, v0
; %bb.146:
	v_lshl_add_u32 v9, v80, 3, -8
	ds_load_b64 v[9:10], v9
; %bb.147:
	s_wait_alu 0xfffe
	s_or_b32 exec_lo, exec_lo, s1
	v_sub_co_u32 v12, s0, v79, 1
	v_dual_cndmask_b32 v6, v8, v6 :: v_dual_cndmask_b32 v5, v7, v5
	s_delay_alu instid0(VALU_DEP_2) | instskip(SKIP_1) | instid1(VALU_DEP_2)
	v_cmp_gt_i32_e64 s1, 0, v12
	s_wait_dscnt 0x0
	v_add_nc_u32_e32 v6, v9, v6
	s_delay_alu instid0(VALU_DEP_3) | instskip(SKIP_2) | instid1(VALU_DEP_1)
	v_add_nc_u32_e32 v5, v10, v5
	s_wait_alu 0xf1ff
	v_cndmask_b32_e64 v8, v12, v79, s1
	v_lshlrev_b32_e32 v7, 2, v8
	ds_bpermute_b32 v12, v7, v6
	ds_bpermute_b32 v25, v7, v5
	ds_load_b64 v[5:6], v11 offset:56
	s_and_saveexec_b32 s1, s2
	s_cbranch_execz .LBB255_149
; %bb.148:
	s_add_nc_u64 s[4:5], s[36:37], 0x200
	v_dual_mov_b32 v7, 2 :: v_dual_mov_b32 v8, 0
	s_wait_alu 0xfffe
	v_dual_mov_b32 v27, s5 :: v_dual_mov_b32 v26, s4
	s_wait_dscnt 0x0
	;;#ASMSTART
	global_store_b128 v[26:27], v[5:8] off scope:SCOPE_DEV	
s_wait_storecnt 0x0
	;;#ASMEND
.LBB255_149:
	s_wait_alu 0xfffe
	s_or_b32 exec_lo, exec_lo, s1
	s_wait_dscnt 0x1
	v_cndmask_b32_e64 v7, v25, v10, s0
	v_cndmask_b32_e64 v9, v12, v9, s0
	v_mov_b32_e32 v8, 0
	s_wait_loadcnt_dscnt 0x0
	s_barrier_signal -1
	v_cndmask_b32_e64 v29, v7, 0, s2
	v_cndmask_b32_e64 v86, v9, 0, s2
	v_mov_b32_e32 v7, 0
	s_barrier_wait -1
	global_inv scope:SCOPE_SE
.LBB255_150:
	v_lshrrev_b32_e32 v81, 8, v54
	s_wait_dscnt 0x0
	v_add_co_u32 v1, vcc_lo, v1, v7
	s_wait_alu 0xfffd
	v_add_co_ci_u32_e64 v2, null, 0, v2, vcc_lo
	v_and_b32_e32 v81, 1, v81
	v_sub_co_u32 v84, vcc_lo, v3, v5
	s_wait_alu 0xfffd
	v_subrev_co_ci_u32_e64 v85, null, 0, v4, vcc_lo
	s_delay_alu instid0(VALU_DEP_3)
	v_cmp_eq_u32_e32 vcc_lo, 1, v81
	v_add_nc_u32_e32 v78, v29, v78
	v_sub_nc_u32_e32 v29, v29, v8
	v_lshlrev_b32_e32 v87, 1, v5
	v_lshrrev_b32_e32 v79, 16, v54
	v_lshrrev_b32_e32 v80, 8, v47
	v_add_nc_u32_e32 v75, v78, v75
	v_sub_nc_u32_e32 v78, v78, v8
	v_add_nc_u32_e32 v29, v29, v5
	v_add3_u32 v90, v87, v6, v46
	v_and_b32_e32 v79, 1, v79
	v_lshrrev_b32_e32 v30, 16, v47
	v_add_nc_u32_e32 v78, v78, v5
	v_add_nc_u32_e32 v77, v86, v77
	v_sub_nc_u32_e32 v86, v86, v7
	v_and_b32_e32 v47, 1, v47
	v_and_b32_e32 v80, 1, v80
	;; [unrolled: 1-line block ×3, first 2 shown]
	v_add_nc_u32_e32 v74, v77, v74
	v_sub_nc_u32_e32 v77, v77, v7
	v_add_nc_u32_e32 v46, v86, v29
	v_lshrrev_b32_e32 v28, 8, v48
	v_lshrrev_b32_e32 v27, 16, v48
	v_and_b32_e32 v48, 1, v48
	v_add_nc_u32_e32 v91, v78, v77
	v_sub_nc_u32_e32 v46, v90, v46
	v_and_b32_e32 v28, 1, v28
	v_lshrrev_b32_e32 v25, 16, v49
	v_lshrrev_b32_e32 v26, 8, v49
	v_sub_nc_u32_e32 v91, v90, v91
	s_wait_alu 0xfffd
	v_cndmask_b32_e32 v29, v46, v29, vcc_lo
	v_cmp_eq_u32_e32 vcc_lo, 1, v79
	v_lshrrev_b32_e32 v12, 8, v51
	v_and_b32_e32 v26, 1, v26
	v_add_nc_u32_e32 v91, 1, v91
	v_lshrrev_b32_e32 v10, 16, v51
	v_lshrrev_b32_e32 v11, 8, v52
	v_and_b32_e32 v12, 1, v12
	v_lshrrev_b32_e32 v9, 16, v52
	s_wait_alu 0xfffd
	v_cndmask_b32_e32 v46, v91, v78, vcc_lo
	v_cmp_eq_u32_e32 vcc_lo, 1, v47
	v_add_nc_u32_e32 v82, v75, v60
	v_sub_nc_u32_e32 v75, v75, v8
	v_and_b32_e32 v60, 1, v60
	v_and_b32_e32 v10, 1, v10
	s_wait_alu 0xfffd
	v_cndmask_b32_e32 v29, v29, v86, vcc_lo
	v_cmp_eq_u32_e32 vcc_lo, 1, v80
	v_add_nc_u32_e32 v75, v75, v5
	v_sub_nc_u32_e32 v80, v82, v8
	v_and_b32_e32 v11, 1, v11
	v_lshlrev_b32_e32 v29, 2, v29
	s_wait_alu 0xfffd
	v_cndmask_b32_e32 v77, v46, v77, vcc_lo
	v_add_nc_u32_e32 v76, v74, v76
	v_sub_nc_u32_e32 v74, v74, v7
	v_add_co_u32 v46, vcc_lo, v84, v8
	s_wait_alu 0xfffd
	v_add_co_ci_u32_e64 v47, null, 0, v85, vcc_lo
	s_delay_alu instid0(VALU_DEP_3)
	v_add_nc_u32_e32 v79, v75, v74
	v_cmp_eq_u32_e32 vcc_lo, 1, v60
	v_add_nc_u32_e32 v83, v76, v59
	v_lshlrev_b32_e32 v77, 2, v77
	ds_store_b32 v29, v23
	ds_store_b32 v77, v24
	v_sub_nc_u32_e32 v79, v90, v79
	v_and_b32_e32 v9, 1, v9
	s_delay_alu instid0(VALU_DEP_2) | instskip(SKIP_1) | instid1(VALU_DEP_1)
	v_add_nc_u32_e32 v79, 2, v79
	s_wait_alu 0xfffd
	v_dual_cndmask_b32 v60, v79, v75 :: v_dual_add_nc_u32 v73, v82, v73
	s_delay_alu instid0(VALU_DEP_1)
	v_add_nc_u32_e32 v72, v73, v72
	v_sub_nc_u32_e32 v75, v76, v7
	v_sub_nc_u32_e32 v73, v73, v8
	v_add_nc_u32_e32 v76, v80, v5
	v_cmp_eq_u32_e32 vcc_lo, 1, v30
	s_wait_alu 0xfffd
	s_delay_alu instid0(VALU_DEP_3)
	v_dual_cndmask_b32 v30, v60, v74 :: v_dual_add_nc_u32 v73, v73, v5
	v_sub_nc_u32_e32 v60, v83, v7
	v_add_nc_u32_e32 v74, v75, v76
	v_cmp_eq_u32_e32 vcc_lo, 1, v48
	v_and_b32_e32 v48, 1, v49
	v_lshlrev_b32_e32 v23, 2, v30
	v_add_nc_u32_e32 v24, v60, v73
	v_sub_nc_u32_e32 v29, v90, v74
	v_and_b32_e32 v30, 1, v59
	v_sub_nc_u32_e32 v59, v72, v8
	ds_store_b32 v23, v21
	v_sub_nc_u32_e32 v24, v90, v24
	v_add_nc_u32_e32 v29, 3, v29
	v_and_b32_e32 v23, 1, v27
	v_add_nc_u32_e32 v59, v59, v5
	s_delay_alu instid0(VALU_DEP_4)
	v_add_nc_u32_e32 v24, 4, v24
	s_wait_alu 0xfffd
	v_cndmask_b32_e32 v29, v29, v76, vcc_lo
	v_cmp_eq_u32_e32 vcc_lo, 1, v28
	s_wait_alu 0xfffd
	v_dual_cndmask_b32 v24, v24, v73 :: v_dual_add_nc_u32 v71, v83, v71
	s_delay_alu instid0(VALU_DEP_1) | instskip(SKIP_2) | instid1(VALU_DEP_3)
	v_add_nc_u32_e32 v69, v71, v69
	v_sub_nc_u32_e32 v71, v71, v7
	v_cmp_eq_u32_e32 vcc_lo, 1, v30
	v_add_nc_u32_e32 v65, v69, v65
	s_delay_alu instid0(VALU_DEP_3)
	v_add_nc_u32_e32 v49, v71, v59
	s_wait_alu 0xfffd
	v_cndmask_b32_e32 v28, v29, v75, vcc_lo
	v_cmp_eq_u32_e32 vcc_lo, 1, v48
	v_add_nc_u32_e32 v89, v65, v57
	v_sub_nc_u32_e32 v29, v90, v49
	s_delay_alu instid0(VALU_DEP_4)
	v_lshlrev_b32_e32 v21, 2, v28
	s_wait_alu 0xfffd
	v_cndmask_b32_e32 v24, v24, v60, vcc_lo
	v_cmp_eq_u32_e32 vcc_lo, 1, v23
	v_sub_nc_u32_e32 v48, v89, v7
	v_add_nc_u32_e32 v27, 5, v29
	v_add_nc_u32_e32 v66, v89, v66
	v_lshlrev_b32_e32 v24, 2, v24
	ds_store_b32 v21, v22
	ds_store_b32 v24, v19
	s_wait_alu 0xfffd
	v_cndmask_b32_e32 v23, v27, v59, vcc_lo
	v_cmp_eq_u32_e32 vcc_lo, 1, v26
	v_sub_nc_u32_e32 v27, v69, v7
	v_sub_nc_u32_e32 v26, v65, v7
	v_and_b32_e32 v24, 1, v58
	v_add_nc_u32_e32 v63, v66, v63
	s_wait_alu 0xfffd
	v_dual_cndmask_b32 v23, v23, v71 :: v_dual_add_nc_u32 v70, v72, v70
	s_delay_alu instid0(VALU_DEP_3) | instskip(SKIP_1) | instid1(VALU_DEP_3)
	v_cmp_eq_u32_e32 vcc_lo, 1, v24
	v_and_b32_e32 v24, 1, v57
	v_lshlrev_b32_e32 v19, 2, v23
	s_delay_alu instid0(VALU_DEP_4) | instskip(SKIP_3) | instid1(VALU_DEP_4)
	v_add_nc_u32_e32 v88, v70, v58
	v_sub_nc_u32_e32 v28, v70, v8
	v_and_b32_e32 v23, 1, v25
	v_add_nc_u32_e32 v62, v63, v62
	v_sub_nc_u32_e32 v29, v88, v8
	s_delay_alu instid0(VALU_DEP_4) | instskip(SKIP_1) | instid1(VALU_DEP_4)
	v_add_nc_u32_e32 v28, v28, v5
	v_add_nc_u32_e32 v68, v88, v68
	;; [unrolled: 1-line block ×3, first 2 shown]
	s_delay_alu instid0(VALU_DEP_4) | instskip(NEXT) | instid1(VALU_DEP_4)
	v_add_nc_u32_e32 v29, v29, v5
	v_add_nc_u32_e32 v30, v27, v28
	s_delay_alu instid0(VALU_DEP_4) | instskip(SKIP_1) | instid1(VALU_DEP_4)
	v_sub_nc_u32_e32 v25, v68, v8
	v_add_nc_u32_e32 v67, v68, v67
	v_add_nc_u32_e32 v21, v26, v29
	s_delay_alu instid0(VALU_DEP_4)
	v_sub_nc_u32_e32 v22, v90, v30
	v_and_b32_e32 v30, 1, v51
	v_add_nc_u32_e32 v25, v25, v5
	v_add_nc_u32_e32 v64, v67, v64
	v_sub_nc_u32_e32 v21, v90, v21
	v_add_nc_u32_e32 v22, 6, v22
	s_delay_alu instid0(VALU_DEP_3) | instskip(SKIP_1) | instid1(VALU_DEP_2)
	v_add_nc_u32_e32 v92, v64, v56
	s_wait_alu 0xfffd
	v_dual_cndmask_b32 v22, v22, v28 :: v_dual_add_nc_u32 v21, 7, v21
	v_cmp_eq_u32_e32 vcc_lo, 1, v30
	v_add_nc_u32_e32 v28, v48, v25
	v_add_nc_u32_e32 v61, v92, v61
	s_wait_alu 0xfffd
	v_cndmask_b32_e32 v21, v21, v29, vcc_lo
	v_cmp_eq_u32_e32 vcc_lo, 1, v23
	v_sub_nc_u32_e32 v23, v90, v28
	s_wait_alu 0xfffd
	v_cndmask_b32_e32 v22, v22, v27, vcc_lo
	v_cmp_eq_u32_e32 vcc_lo, 1, v24
	v_sub_nc_u32_e32 v24, v67, v8
	v_add_nc_u32_e32 v23, 8, v23
	v_sub_nc_u32_e32 v27, v66, v7
	v_lshlrev_b32_e32 v22, 2, v22
	s_wait_alu 0xfffd
	v_dual_cndmask_b32 v21, v21, v26 :: v_dual_add_nc_u32 v24, v24, v5
	v_cmp_eq_u32_e32 vcc_lo, 1, v12
	v_and_b32_e32 v26, 1, v52
	s_delay_alu instid0(VALU_DEP_3)
	v_lshlrev_b32_e32 v21, 2, v21
	ds_store_b32 v19, v20
	ds_store_b32 v22, v17
	;; [unrolled: 1-line block ×3, first 2 shown]
	s_wait_alu 0xfffd
	v_cndmask_b32_e32 v12, v23, v25, vcc_lo
	v_add_nc_u32_e32 v23, v27, v24
	v_cmp_eq_u32_e32 vcc_lo, 1, v26
	v_sub_nc_u32_e32 v18, v64, v8
	v_sub_nc_u32_e32 v19, v63, v7
	v_sub_nc_u32_e32 v20, v92, v8
	v_sub_nc_u32_e32 v17, v90, v23
	s_wait_alu 0xfffd
	v_cndmask_b32_e32 v12, v12, v48, vcc_lo
	v_add_nc_u32_e32 v18, v18, v5
	v_cmp_eq_u32_e32 vcc_lo, 1, v10
	v_add_nc_u32_e32 v20, v20, v5
	v_add_nc_u32_e32 v17, 9, v17
	v_lshlrev_b32_e32 v12, 2, v12
	v_add_nc_u32_e32 v21, v19, v18
	v_and_b32_e32 v22, 1, v50
	s_wait_alu 0xfffd
	v_cndmask_b32_e32 v10, v17, v24, vcc_lo
	v_sub_nc_u32_e32 v17, v62, v7
	ds_store_b32 v12, v15
	v_cmp_eq_u32_e32 vcc_lo, 1, v11
	v_sub_nc_u32_e32 v12, v90, v21
	v_and_b32_e32 v15, 1, v56
	v_add_nc_u32_e32 v11, v17, v20
	v_sub_nc_u32_e32 v21, v61, v8
	s_wait_alu 0xfffd
	v_cndmask_b32_e32 v10, v10, v27, vcc_lo
	v_add_nc_u32_e32 v12, 10, v12
	v_cmp_eq_u32_e32 vcc_lo, 1, v15
	v_sub_nc_u32_e32 v11, v90, v11
	v_sub_nc_u32_e32 v7, v78, v7
	v_add_nc_u32_e32 v21, v21, v5
	s_wait_alu 0xfffd
	v_dual_cndmask_b32 v12, v12, v18 :: v_dual_and_b32 v15, 1, v55
	v_add_nc_u32_e32 v11, 11, v11
	v_cmp_eq_u32_e32 vcc_lo, 1, v22
	v_add_nc_u32_e32 v18, v7, v21
	s_wait_alu 0xfffd
	s_delay_alu instid0(VALU_DEP_3)
	v_dual_cndmask_b32 v11, v11, v20 :: v_dual_lshlrev_b32 v10, 2, v10
	v_cmp_eq_u32_e32 vcc_lo, 1, v9
	s_wait_alu 0xfffd
	v_cndmask_b32_e32 v9, v12, v19, vcc_lo
	v_cmp_eq_u32_e32 vcc_lo, 1, v15
	v_sub_nc_u32_e32 v12, v90, v18
	v_and_b32_e32 v15, 1, v53
	s_delay_alu instid0(VALU_DEP_4) | instskip(SKIP_1) | instid1(VALU_DEP_3)
	v_lshlrev_b32_e32 v9, 2, v9
	s_wait_alu 0xfffd
	v_dual_cndmask_b32 v11, v11, v17 :: v_dual_add_nc_u32 v12, 12, v12
	v_and_b32_e32 v17, 1, v54
	v_cmp_eq_u32_e32 vcc_lo, 1, v15
	s_delay_alu instid0(VALU_DEP_3)
	v_lshlrev_b32_e32 v11, 2, v11
	ds_store_b32 v10, v16
	ds_store_b32 v9, v13
	;; [unrolled: 1-line block ×3, first 2 shown]
	s_wait_alu 0xfffd
	v_cndmask_b32_e32 v12, v12, v21, vcc_lo
	v_cmp_eq_u32_e32 vcc_lo, 1, v17
	v_add_co_u32 v9, s0, v6, v87
	s_wait_alu 0xf1ff
	v_add_co_ci_u32_e64 v10, null, 0, 0, s0
	s_wait_alu 0xfffd
	v_cndmask_b32_e32 v7, v12, v7, vcc_lo
	v_add_co_u32 v9, vcc_lo, v9, v46
	s_wait_alu 0xfffd
	v_add_co_ci_u32_e64 v10, null, v10, v47, vcc_lo
	s_delay_alu instid0(VALU_DEP_3)
	v_lshlrev_b32_e32 v7, 2, v7
	v_add_co_u32 v11, s0, s34, v43
	v_add_co_u32 v9, vcc_lo, v9, v1
	s_wait_alu 0xf1ff
	v_add_co_ci_u32_e64 v12, null, s35, 0, s0
	s_wait_alu 0xfffd
	v_add_co_ci_u32_e64 v10, null, v10, v2, vcc_lo
	ds_store_b32 v7, v45
	v_sub_co_u32 v7, vcc_lo, v11, v9
	s_wait_alu 0xfffd
	v_sub_co_ci_u32_e64 v13, null, v12, v10, vcc_lo
	v_lshlrev_b64_e32 v[9:10], 2, v[46:47]
	v_lshlrev_b64_e32 v[11:12], 2, v[1:2]
	v_add_nc_u32_e32 v14, v5, v6
	s_wait_loadcnt_dscnt 0x0
	s_barrier_signal -1
	s_barrier_wait -1
	v_add_co_u32 v9, vcc_lo, s30, v9
	s_wait_alu 0xfffd
	v_add_co_ci_u32_e64 v10, null, s31, v10, vcc_lo
	v_cmp_ne_u32_e32 vcc_lo, 1, v44
	v_add_co_u32 v11, s0, s28, v11
	s_wait_alu 0xf1ff
	v_add_co_ci_u32_e64 v12, null, s29, v12, s0
	s_mov_b32 s0, -1
	global_inv scope:SCOPE_SE
	s_cbranch_vccz .LBB255_154
; %bb.151:
	s_wait_alu 0xfffe
	s_and_b32 vcc_lo, exec_lo, s0
	s_wait_alu 0xfffe
	s_cbranch_vccnz .LBB255_259
.LBB255_152:
	s_and_b32 s0, s2, s26
	s_wait_alu 0xfffe
	s_and_saveexec_b32 s1, s0
	s_cbranch_execnz .LBB255_377
.LBB255_153:
	s_nop 0
	s_sendmsg sendmsg(MSG_DEALLOC_VGPRS)
	s_endpgm
.LBB255_154:
	s_mov_b32 s0, exec_lo
	v_cmpx_ge_u32_e64 v0, v5
	s_wait_alu 0xfffe
	s_xor_b32 s0, exec_lo, s0
	s_cbranch_execz .LBB255_160
; %bb.155:
	s_mov_b32 s1, exec_lo
	v_cmpx_ge_u32_e64 v0, v14
	s_wait_alu 0xfffe
	s_xor_b32 s1, exec_lo, s1
	s_cbranch_execz .LBB255_157
; %bb.156:
	v_lshlrev_b32_e32 v15, 2, v0
	ds_load_b32 v17, v15
	v_add_co_u32 v15, vcc_lo, v7, v0
	s_wait_alu 0xfffd
	v_add_co_ci_u32_e64 v16, null, 0, v13, vcc_lo
	s_delay_alu instid0(VALU_DEP_1) | instskip(NEXT) | instid1(VALU_DEP_1)
	v_lshlrev_b64_e32 v[15:16], 2, v[15:16]
	v_sub_co_u32 v15, vcc_lo, s14, v15
	s_wait_alu 0xfffd
	s_delay_alu instid0(VALU_DEP_2)
	v_sub_co_ci_u32_e64 v16, null, s15, v16, vcc_lo
	s_wait_dscnt 0x0
	global_store_b32 v[15:16], v17, off offset:-4
.LBB255_157:
	s_wait_alu 0xfffe
	s_and_not1_saveexec_b32 s1, s1
	s_cbranch_execz .LBB255_159
; %bb.158:
	v_lshlrev_b32_e32 v15, 2, v0
	v_readfirstlane_b32 s4, v9
	v_readfirstlane_b32 s5, v10
	ds_load_b32 v16, v15
	s_wait_dscnt 0x0
	global_store_b32 v15, v16, s[4:5]
.LBB255_159:
	s_wait_alu 0xfffe
	s_or_b32 exec_lo, exec_lo, s1
.LBB255_160:
	s_wait_alu 0xfffe
	s_and_not1_saveexec_b32 s0, s0
	s_cbranch_execz .LBB255_162
; %bb.161:
	v_lshlrev_b32_e32 v15, 2, v0
	v_readfirstlane_b32 s4, v11
	v_readfirstlane_b32 s5, v12
	ds_load_b32 v16, v15
	s_wait_dscnt 0x0
	global_store_b32 v15, v16, s[4:5]
.LBB255_162:
	s_wait_alu 0xfffe
	s_or_b32 exec_lo, exec_lo, s0
	s_delay_alu instid0(SALU_CYCLE_1)
	s_mov_b32 s0, exec_lo
	v_cmpx_ge_u32_e64 v42, v5
	s_wait_alu 0xfffe
	s_xor_b32 s0, exec_lo, s0
	s_cbranch_execz .LBB255_168
; %bb.163:
	s_mov_b32 s1, exec_lo
	v_cmpx_ge_u32_e64 v42, v14
	s_wait_alu 0xfffe
	s_xor_b32 s1, exec_lo, s1
	s_cbranch_execz .LBB255_165
; %bb.164:
	v_lshlrev_b32_e32 v15, 2, v0
	ds_load_b32 v17, v15 offset:1024
	v_add_co_u32 v15, vcc_lo, v7, v0
	s_wait_alu 0xfffd
	v_add_co_ci_u32_e64 v16, null, 0, v13, vcc_lo
	s_delay_alu instid0(VALU_DEP_1) | instskip(NEXT) | instid1(VALU_DEP_1)
	v_lshlrev_b64_e32 v[15:16], 2, v[15:16]
	v_sub_co_u32 v15, vcc_lo, s14, v15
	s_wait_alu 0xfffd
	s_delay_alu instid0(VALU_DEP_2)
	v_sub_co_ci_u32_e64 v16, null, s15, v16, vcc_lo
	s_wait_dscnt 0x0
	global_store_b32 v[15:16], v17, off offset:-1028
.LBB255_165:
	s_wait_alu 0xfffe
	s_and_not1_saveexec_b32 s1, s1
	s_cbranch_execz .LBB255_167
; %bb.166:
	v_lshlrev_b32_e32 v15, 2, v0
	v_readfirstlane_b32 s4, v9
	v_readfirstlane_b32 s5, v10
	ds_load_b32 v16, v15 offset:1024
	s_wait_dscnt 0x0
	global_store_b32 v15, v16, s[4:5] offset:1024
.LBB255_167:
	s_wait_alu 0xfffe
	s_or_b32 exec_lo, exec_lo, s1
.LBB255_168:
	s_wait_alu 0xfffe
	s_and_not1_saveexec_b32 s0, s0
	s_cbranch_execz .LBB255_170
; %bb.169:
	v_lshlrev_b32_e32 v15, 2, v0
	v_readfirstlane_b32 s4, v11
	v_readfirstlane_b32 s5, v12
	ds_load_b32 v16, v15 offset:1024
	s_wait_dscnt 0x0
	global_store_b32 v15, v16, s[4:5] offset:1024
.LBB255_170:
	s_wait_alu 0xfffe
	s_or_b32 exec_lo, exec_lo, s0
	s_delay_alu instid0(SALU_CYCLE_1)
	s_mov_b32 s0, exec_lo
	v_cmpx_ge_u32_e64 v41, v5
	s_wait_alu 0xfffe
	s_xor_b32 s0, exec_lo, s0
	s_cbranch_execz .LBB255_176
; %bb.171:
	s_mov_b32 s1, exec_lo
	v_cmpx_ge_u32_e64 v41, v14
	s_wait_alu 0xfffe
	s_xor_b32 s1, exec_lo, s1
	s_cbranch_execz .LBB255_173
; %bb.172:
	v_lshlrev_b32_e32 v15, 2, v0
	ds_load_b32 v17, v15 offset:2048
	v_add_co_u32 v15, vcc_lo, v7, v0
	s_wait_alu 0xfffd
	v_add_co_ci_u32_e64 v16, null, 0, v13, vcc_lo
	s_delay_alu instid0(VALU_DEP_1) | instskip(NEXT) | instid1(VALU_DEP_1)
	v_lshlrev_b64_e32 v[15:16], 2, v[15:16]
	v_sub_co_u32 v15, vcc_lo, s14, v15
	s_wait_alu 0xfffd
	s_delay_alu instid0(VALU_DEP_2)
	v_sub_co_ci_u32_e64 v16, null, s15, v16, vcc_lo
	s_wait_dscnt 0x0
	global_store_b32 v[15:16], v17, off offset:-2052
.LBB255_173:
	s_wait_alu 0xfffe
	s_and_not1_saveexec_b32 s1, s1
	s_cbranch_execz .LBB255_175
; %bb.174:
	v_lshlrev_b32_e32 v15, 2, v0
	v_readfirstlane_b32 s4, v9
	v_readfirstlane_b32 s5, v10
	ds_load_b32 v16, v15 offset:2048
	s_wait_dscnt 0x0
	global_store_b32 v15, v16, s[4:5] offset:2048
.LBB255_175:
	s_wait_alu 0xfffe
	s_or_b32 exec_lo, exec_lo, s1
.LBB255_176:
	s_wait_alu 0xfffe
	s_and_not1_saveexec_b32 s0, s0
	s_cbranch_execz .LBB255_178
; %bb.177:
	v_lshlrev_b32_e32 v15, 2, v0
	v_readfirstlane_b32 s4, v11
	v_readfirstlane_b32 s5, v12
	ds_load_b32 v16, v15 offset:2048
	s_wait_dscnt 0x0
	global_store_b32 v15, v16, s[4:5] offset:2048
.LBB255_178:
	;; [unrolled: 54-line block ×12, first 2 shown]
	s_wait_alu 0xfffe
	s_or_b32 exec_lo, exec_lo, s0
	s_branch .LBB255_152
.LBB255_259:
	s_mov_b32 s0, exec_lo
	v_cmpx_gt_u32_e64 s27, v0
	s_cbranch_execz .LBB255_268
; %bb.260:
	s_mov_b32 s1, exec_lo
	v_cmpx_ge_u32_e64 v0, v5
	s_wait_alu 0xfffe
	s_xor_b32 s1, exec_lo, s1
	s_cbranch_execz .LBB255_266
; %bb.261:
	s_mov_b32 s3, exec_lo
	v_cmpx_ge_u32_e64 v0, v14
	s_wait_alu 0xfffe
	s_xor_b32 s3, exec_lo, s3
	s_cbranch_execz .LBB255_263
; %bb.262:
	v_lshlrev_b32_e32 v15, 2, v0
	ds_load_b32 v17, v15
	v_add_co_u32 v15, vcc_lo, v7, v0
	s_wait_alu 0xfffd
	v_add_co_ci_u32_e64 v16, null, 0, v13, vcc_lo
	s_delay_alu instid0(VALU_DEP_1) | instskip(NEXT) | instid1(VALU_DEP_1)
	v_lshlrev_b64_e32 v[15:16], 2, v[15:16]
	v_sub_co_u32 v15, vcc_lo, s14, v15
	s_wait_alu 0xfffd
	s_delay_alu instid0(VALU_DEP_2)
	v_sub_co_ci_u32_e64 v16, null, s15, v16, vcc_lo
	s_wait_dscnt 0x0
	global_store_b32 v[15:16], v17, off offset:-4
.LBB255_263:
	s_wait_alu 0xfffe
	s_and_not1_saveexec_b32 s3, s3
	s_cbranch_execz .LBB255_265
; %bb.264:
	v_lshlrev_b32_e32 v15, 2, v0
	v_readfirstlane_b32 s4, v9
	v_readfirstlane_b32 s5, v10
	ds_load_b32 v16, v15
	s_wait_dscnt 0x0
	global_store_b32 v15, v16, s[4:5]
.LBB255_265:
	s_wait_alu 0xfffe
	s_or_b32 exec_lo, exec_lo, s3
.LBB255_266:
	s_wait_alu 0xfffe
	s_and_not1_saveexec_b32 s1, s1
	s_cbranch_execz .LBB255_268
; %bb.267:
	v_lshlrev_b32_e32 v15, 2, v0
	v_readfirstlane_b32 s4, v11
	v_readfirstlane_b32 s5, v12
	ds_load_b32 v16, v15
	s_wait_dscnt 0x0
	global_store_b32 v15, v16, s[4:5]
.LBB255_268:
	s_wait_alu 0xfffe
	s_or_b32 exec_lo, exec_lo, s0
	s_delay_alu instid0(SALU_CYCLE_1)
	s_mov_b32 s0, exec_lo
	v_cmpx_gt_u32_e64 s27, v42
	s_cbranch_execz .LBB255_277
; %bb.269:
	s_mov_b32 s1, exec_lo
	v_cmpx_ge_u32_e64 v42, v5
	s_wait_alu 0xfffe
	s_xor_b32 s1, exec_lo, s1
	s_cbranch_execz .LBB255_275
; %bb.270:
	s_mov_b32 s3, exec_lo
	v_cmpx_ge_u32_e64 v42, v14
	s_wait_alu 0xfffe
	s_xor_b32 s3, exec_lo, s3
	s_cbranch_execz .LBB255_272
; %bb.271:
	v_lshlrev_b32_e32 v15, 2, v0
	ds_load_b32 v17, v15 offset:1024
	v_add_co_u32 v15, vcc_lo, v7, v0
	s_wait_alu 0xfffd
	v_add_co_ci_u32_e64 v16, null, 0, v13, vcc_lo
	s_delay_alu instid0(VALU_DEP_1) | instskip(NEXT) | instid1(VALU_DEP_1)
	v_lshlrev_b64_e32 v[15:16], 2, v[15:16]
	v_sub_co_u32 v15, vcc_lo, s14, v15
	s_wait_alu 0xfffd
	s_delay_alu instid0(VALU_DEP_2)
	v_sub_co_ci_u32_e64 v16, null, s15, v16, vcc_lo
	s_wait_dscnt 0x0
	global_store_b32 v[15:16], v17, off offset:-1028
.LBB255_272:
	s_wait_alu 0xfffe
	s_and_not1_saveexec_b32 s3, s3
	s_cbranch_execz .LBB255_274
; %bb.273:
	v_lshlrev_b32_e32 v15, 2, v0
	v_readfirstlane_b32 s4, v9
	v_readfirstlane_b32 s5, v10
	ds_load_b32 v16, v15 offset:1024
	s_wait_dscnt 0x0
	global_store_b32 v15, v16, s[4:5] offset:1024
.LBB255_274:
	s_wait_alu 0xfffe
	s_or_b32 exec_lo, exec_lo, s3
.LBB255_275:
	s_wait_alu 0xfffe
	s_and_not1_saveexec_b32 s1, s1
	s_cbranch_execz .LBB255_277
; %bb.276:
	v_lshlrev_b32_e32 v15, 2, v0
	v_readfirstlane_b32 s4, v11
	v_readfirstlane_b32 s5, v12
	ds_load_b32 v16, v15 offset:1024
	s_wait_dscnt 0x0
	global_store_b32 v15, v16, s[4:5] offset:1024
.LBB255_277:
	s_wait_alu 0xfffe
	s_or_b32 exec_lo, exec_lo, s0
	s_delay_alu instid0(SALU_CYCLE_1)
	s_mov_b32 s0, exec_lo
	v_cmpx_gt_u32_e64 s27, v41
	s_cbranch_execz .LBB255_286
; %bb.278:
	s_mov_b32 s1, exec_lo
	v_cmpx_ge_u32_e64 v41, v5
	s_wait_alu 0xfffe
	s_xor_b32 s1, exec_lo, s1
	s_cbranch_execz .LBB255_284
; %bb.279:
	s_mov_b32 s3, exec_lo
	v_cmpx_ge_u32_e64 v41, v14
	s_wait_alu 0xfffe
	s_xor_b32 s3, exec_lo, s3
	s_cbranch_execz .LBB255_281
; %bb.280:
	v_lshlrev_b32_e32 v15, 2, v0
	ds_load_b32 v17, v15 offset:2048
	v_add_co_u32 v15, vcc_lo, v7, v0
	s_wait_alu 0xfffd
	v_add_co_ci_u32_e64 v16, null, 0, v13, vcc_lo
	s_delay_alu instid0(VALU_DEP_1) | instskip(NEXT) | instid1(VALU_DEP_1)
	v_lshlrev_b64_e32 v[15:16], 2, v[15:16]
	v_sub_co_u32 v15, vcc_lo, s14, v15
	s_wait_alu 0xfffd
	s_delay_alu instid0(VALU_DEP_2)
	v_sub_co_ci_u32_e64 v16, null, s15, v16, vcc_lo
	s_wait_dscnt 0x0
	global_store_b32 v[15:16], v17, off offset:-2052
.LBB255_281:
	s_wait_alu 0xfffe
	s_and_not1_saveexec_b32 s3, s3
	s_cbranch_execz .LBB255_283
; %bb.282:
	v_lshlrev_b32_e32 v15, 2, v0
	v_readfirstlane_b32 s4, v9
	v_readfirstlane_b32 s5, v10
	ds_load_b32 v16, v15 offset:2048
	s_wait_dscnt 0x0
	global_store_b32 v15, v16, s[4:5] offset:2048
.LBB255_283:
	s_wait_alu 0xfffe
	s_or_b32 exec_lo, exec_lo, s3
.LBB255_284:
	s_wait_alu 0xfffe
	s_and_not1_saveexec_b32 s1, s1
	s_cbranch_execz .LBB255_286
; %bb.285:
	v_lshlrev_b32_e32 v15, 2, v0
	v_readfirstlane_b32 s4, v11
	v_readfirstlane_b32 s5, v12
	ds_load_b32 v16, v15 offset:2048
	s_wait_dscnt 0x0
	global_store_b32 v15, v16, s[4:5] offset:2048
.LBB255_286:
	;; [unrolled: 58-line block ×11, first 2 shown]
	s_wait_alu 0xfffe
	s_or_b32 exec_lo, exec_lo, s0
	s_delay_alu instid0(SALU_CYCLE_1)
	s_mov_b32 s0, exec_lo
	v_cmpx_gt_u32_e64 s27, v31
	s_cbranch_execz .LBB255_376
; %bb.368:
	s_mov_b32 s1, exec_lo
	v_cmpx_ge_u32_e64 v31, v5
	s_wait_alu 0xfffe
	s_xor_b32 s1, exec_lo, s1
	s_cbranch_execz .LBB255_374
; %bb.369:
	s_mov_b32 s3, exec_lo
	v_cmpx_ge_u32_e64 v31, v14
	s_wait_alu 0xfffe
	s_xor_b32 s3, exec_lo, s3
	s_cbranch_execz .LBB255_371
; %bb.370:
	v_lshlrev_b32_e32 v9, 2, v0
	ds_load_b32 v11, v9 offset:12288
	v_add_co_u32 v9, vcc_lo, v7, v0
	s_wait_alu 0xfffd
	v_add_co_ci_u32_e64 v10, null, 0, v13, vcc_lo
                                        ; implicit-def: $vgpr0
	s_delay_alu instid0(VALU_DEP_1) | instskip(NEXT) | instid1(VALU_DEP_1)
	v_lshlrev_b64_e32 v[9:10], 2, v[9:10]
	v_sub_co_u32 v9, vcc_lo, s14, v9
	s_wait_alu 0xfffd
	s_delay_alu instid0(VALU_DEP_2)
	v_sub_co_ci_u32_e64 v10, null, s15, v10, vcc_lo
	s_wait_dscnt 0x0
	global_store_b32 v[9:10], v11, off offset:-12292
                                        ; implicit-def: $vgpr9_vgpr10
.LBB255_371:
	s_wait_alu 0xfffe
	s_and_not1_saveexec_b32 s3, s3
	s_cbranch_execz .LBB255_373
; %bb.372:
	v_lshlrev_b32_e32 v0, 2, v0
	v_readfirstlane_b32 s4, v9
	v_readfirstlane_b32 s5, v10
	ds_load_b32 v7, v0 offset:12288
	s_wait_dscnt 0x0
	global_store_b32 v0, v7, s[4:5] offset:12288
.LBB255_373:
	s_wait_alu 0xfffe
	s_or_b32 exec_lo, exec_lo, s3
                                        ; implicit-def: $vgpr0
                                        ; implicit-def: $vgpr11_vgpr12
.LBB255_374:
	s_wait_alu 0xfffe
	s_and_not1_saveexec_b32 s1, s1
	s_cbranch_execz .LBB255_376
; %bb.375:
	v_lshlrev_b32_e32 v0, 2, v0
	v_readfirstlane_b32 s4, v11
	v_readfirstlane_b32 s5, v12
	ds_load_b32 v7, v0 offset:12288
	s_wait_dscnt 0x0
	global_store_b32 v0, v7, s[4:5] offset:12288
.LBB255_376:
	s_wait_alu 0xfffe
	s_or_b32 exec_lo, exec_lo, s0
	s_and_b32 s0, s2, s26
	s_wait_alu 0xfffe
	s_and_saveexec_b32 s1, s0
	s_cbranch_execz .LBB255_153
.LBB255_377:
	v_add_co_u32 v0, vcc_lo, v3, v6
	s_wait_alu 0xfffd
	v_add_co_ci_u32_e64 v4, null, 0, v4, vcc_lo
	v_mov_b32_e32 v6, 0
	s_delay_alu instid0(VALU_DEP_3) | instskip(SKIP_1) | instid1(VALU_DEP_3)
	v_add_co_u32 v3, vcc_lo, v0, v8
	s_wait_alu 0xfffd
	v_add_co_ci_u32_e64 v4, null, 0, v4, vcc_lo
	v_add_co_u32 v1, vcc_lo, v1, v5
	s_wait_alu 0xfffd
	v_add_co_ci_u32_e64 v2, null, 0, v2, vcc_lo
	global_store_b128 v6, v[1:4], s[24:25]
	s_nop 0
	s_sendmsg sendmsg(MSG_DEALLOC_VGPRS)
	s_endpgm
.LBB255_378:
	s_add_co_i32 s6, s33, 32
	s_mov_b32 s7, 0
	v_dual_mov_b32 v11, 2 :: v_dual_add_nc_u32 v10, v8, v6
	s_wait_alu 0xfffe
	s_lshl_b64 s[6:7], s[6:7], 4
	v_dual_mov_b32 v12, 0 :: v_dual_add_nc_u32 v9, v7, v5
	s_wait_alu 0xfffe
	s_add_nc_u64 s[6:7], s[36:37], s[6:7]
	s_wait_alu 0xfffe
	v_dual_mov_b32 v28, s7 :: v_dual_mov_b32 v27, s6
	;;#ASMSTART
	global_store_b128 v[27:28], v[9:12] off scope:SCOPE_DEV	
s_wait_storecnt 0x0
	;;#ASMEND
	s_or_b32 exec_lo, exec_lo, s5
	s_and_saveexec_b32 s5, s3
	s_cbranch_execz .LBB255_138
.LBB255_379:
	v_mov_b32_e32 v9, 0
	ds_store_b128 v9, v[5:8] offset:13312
	s_wait_alu 0xfffe
	s_or_b32 exec_lo, exec_lo, s5
	s_delay_alu instid0(SALU_CYCLE_1)
	s_and_b32 exec_lo, exec_lo, s2
	s_cbranch_execnz .LBB255_139
	s_branch .LBB255_140
	.section	.rodata,"a",@progbits
	.p2align	6, 0x0
	.amdhsa_kernel _ZN7rocprim17ROCPRIM_400000_NS6detail17trampoline_kernelINS0_13select_configILj256ELj13ELNS0_17block_load_methodE3ELS4_3ELS4_3ELNS0_20block_scan_algorithmE0ELj4294967295EEENS1_25partition_config_selectorILNS1_17partition_subalgoE4EjNS0_10empty_typeEbEEZZNS1_14partition_implILS8_4ELb0ES6_15HIP_vector_typeIjLj2EENS0_17counting_iteratorIjlEEPS9_SG_NS0_5tupleIJPjSI_NS0_16reverse_iteratorISI_EEEEENSH_IJSG_SG_SG_EEES9_SI_JZNS1_25segmented_radix_sort_implINS0_14default_configELb1EPKaPaPKlPlN2at6native12_GLOBAL__N_18offset_tEEE10hipError_tPvRmT1_PNSt15iterator_traitsIS12_E10value_typeET2_T3_PNS13_IS18_E10value_typeET4_jRbjT5_S1E_jjP12ihipStream_tbEUljE_ZNSN_ISO_Lb1ESQ_SR_ST_SU_SY_EESZ_S10_S11_S12_S16_S17_S18_S1B_S1C_jS1D_jS1E_S1E_jjS1G_bEUljE0_EEESZ_S10_S11_S18_S1C_S1E_T6_T7_T9_mT8_S1G_bDpT10_ENKUlT_T0_E_clISt17integral_constantIbLb0EES1T_IbLb1EEEEDaS1P_S1Q_EUlS1P_E_NS1_11comp_targetILNS1_3genE10ELNS1_11target_archE1200ELNS1_3gpuE4ELNS1_3repE0EEENS1_30default_config_static_selectorELNS0_4arch9wavefront6targetE0EEEvS12_
		.amdhsa_group_segment_fixed_size 13328
		.amdhsa_private_segment_fixed_size 0
		.amdhsa_kernarg_size 184
		.amdhsa_user_sgpr_count 2
		.amdhsa_user_sgpr_dispatch_ptr 0
		.amdhsa_user_sgpr_queue_ptr 0
		.amdhsa_user_sgpr_kernarg_segment_ptr 1
		.amdhsa_user_sgpr_dispatch_id 0
		.amdhsa_user_sgpr_private_segment_size 0
		.amdhsa_wavefront_size32 1
		.amdhsa_uses_dynamic_stack 0
		.amdhsa_enable_private_segment 0
		.amdhsa_system_sgpr_workgroup_id_x 1
		.amdhsa_system_sgpr_workgroup_id_y 0
		.amdhsa_system_sgpr_workgroup_id_z 0
		.amdhsa_system_sgpr_workgroup_info 0
		.amdhsa_system_vgpr_workitem_id 0
		.amdhsa_next_free_vgpr 98
		.amdhsa_next_free_sgpr 55
		.amdhsa_reserve_vcc 1
		.amdhsa_float_round_mode_32 0
		.amdhsa_float_round_mode_16_64 0
		.amdhsa_float_denorm_mode_32 3
		.amdhsa_float_denorm_mode_16_64 3
		.amdhsa_fp16_overflow 0
		.amdhsa_workgroup_processor_mode 1
		.amdhsa_memory_ordered 1
		.amdhsa_forward_progress 1
		.amdhsa_inst_pref_size 151
		.amdhsa_round_robin_scheduling 0
		.amdhsa_exception_fp_ieee_invalid_op 0
		.amdhsa_exception_fp_denorm_src 0
		.amdhsa_exception_fp_ieee_div_zero 0
		.amdhsa_exception_fp_ieee_overflow 0
		.amdhsa_exception_fp_ieee_underflow 0
		.amdhsa_exception_fp_ieee_inexact 0
		.amdhsa_exception_int_div_zero 0
	.end_amdhsa_kernel
	.section	.text._ZN7rocprim17ROCPRIM_400000_NS6detail17trampoline_kernelINS0_13select_configILj256ELj13ELNS0_17block_load_methodE3ELS4_3ELS4_3ELNS0_20block_scan_algorithmE0ELj4294967295EEENS1_25partition_config_selectorILNS1_17partition_subalgoE4EjNS0_10empty_typeEbEEZZNS1_14partition_implILS8_4ELb0ES6_15HIP_vector_typeIjLj2EENS0_17counting_iteratorIjlEEPS9_SG_NS0_5tupleIJPjSI_NS0_16reverse_iteratorISI_EEEEENSH_IJSG_SG_SG_EEES9_SI_JZNS1_25segmented_radix_sort_implINS0_14default_configELb1EPKaPaPKlPlN2at6native12_GLOBAL__N_18offset_tEEE10hipError_tPvRmT1_PNSt15iterator_traitsIS12_E10value_typeET2_T3_PNS13_IS18_E10value_typeET4_jRbjT5_S1E_jjP12ihipStream_tbEUljE_ZNSN_ISO_Lb1ESQ_SR_ST_SU_SY_EESZ_S10_S11_S12_S16_S17_S18_S1B_S1C_jS1D_jS1E_S1E_jjS1G_bEUljE0_EEESZ_S10_S11_S18_S1C_S1E_T6_T7_T9_mT8_S1G_bDpT10_ENKUlT_T0_E_clISt17integral_constantIbLb0EES1T_IbLb1EEEEDaS1P_S1Q_EUlS1P_E_NS1_11comp_targetILNS1_3genE10ELNS1_11target_archE1200ELNS1_3gpuE4ELNS1_3repE0EEENS1_30default_config_static_selectorELNS0_4arch9wavefront6targetE0EEEvS12_,"axG",@progbits,_ZN7rocprim17ROCPRIM_400000_NS6detail17trampoline_kernelINS0_13select_configILj256ELj13ELNS0_17block_load_methodE3ELS4_3ELS4_3ELNS0_20block_scan_algorithmE0ELj4294967295EEENS1_25partition_config_selectorILNS1_17partition_subalgoE4EjNS0_10empty_typeEbEEZZNS1_14partition_implILS8_4ELb0ES6_15HIP_vector_typeIjLj2EENS0_17counting_iteratorIjlEEPS9_SG_NS0_5tupleIJPjSI_NS0_16reverse_iteratorISI_EEEEENSH_IJSG_SG_SG_EEES9_SI_JZNS1_25segmented_radix_sort_implINS0_14default_configELb1EPKaPaPKlPlN2at6native12_GLOBAL__N_18offset_tEEE10hipError_tPvRmT1_PNSt15iterator_traitsIS12_E10value_typeET2_T3_PNS13_IS18_E10value_typeET4_jRbjT5_S1E_jjP12ihipStream_tbEUljE_ZNSN_ISO_Lb1ESQ_SR_ST_SU_SY_EESZ_S10_S11_S12_S16_S17_S18_S1B_S1C_jS1D_jS1E_S1E_jjS1G_bEUljE0_EEESZ_S10_S11_S18_S1C_S1E_T6_T7_T9_mT8_S1G_bDpT10_ENKUlT_T0_E_clISt17integral_constantIbLb0EES1T_IbLb1EEEEDaS1P_S1Q_EUlS1P_E_NS1_11comp_targetILNS1_3genE10ELNS1_11target_archE1200ELNS1_3gpuE4ELNS1_3repE0EEENS1_30default_config_static_selectorELNS0_4arch9wavefront6targetE0EEEvS12_,comdat
.Lfunc_end255:
	.size	_ZN7rocprim17ROCPRIM_400000_NS6detail17trampoline_kernelINS0_13select_configILj256ELj13ELNS0_17block_load_methodE3ELS4_3ELS4_3ELNS0_20block_scan_algorithmE0ELj4294967295EEENS1_25partition_config_selectorILNS1_17partition_subalgoE4EjNS0_10empty_typeEbEEZZNS1_14partition_implILS8_4ELb0ES6_15HIP_vector_typeIjLj2EENS0_17counting_iteratorIjlEEPS9_SG_NS0_5tupleIJPjSI_NS0_16reverse_iteratorISI_EEEEENSH_IJSG_SG_SG_EEES9_SI_JZNS1_25segmented_radix_sort_implINS0_14default_configELb1EPKaPaPKlPlN2at6native12_GLOBAL__N_18offset_tEEE10hipError_tPvRmT1_PNSt15iterator_traitsIS12_E10value_typeET2_T3_PNS13_IS18_E10value_typeET4_jRbjT5_S1E_jjP12ihipStream_tbEUljE_ZNSN_ISO_Lb1ESQ_SR_ST_SU_SY_EESZ_S10_S11_S12_S16_S17_S18_S1B_S1C_jS1D_jS1E_S1E_jjS1G_bEUljE0_EEESZ_S10_S11_S18_S1C_S1E_T6_T7_T9_mT8_S1G_bDpT10_ENKUlT_T0_E_clISt17integral_constantIbLb0EES1T_IbLb1EEEEDaS1P_S1Q_EUlS1P_E_NS1_11comp_targetILNS1_3genE10ELNS1_11target_archE1200ELNS1_3gpuE4ELNS1_3repE0EEENS1_30default_config_static_selectorELNS0_4arch9wavefront6targetE0EEEvS12_, .Lfunc_end255-_ZN7rocprim17ROCPRIM_400000_NS6detail17trampoline_kernelINS0_13select_configILj256ELj13ELNS0_17block_load_methodE3ELS4_3ELS4_3ELNS0_20block_scan_algorithmE0ELj4294967295EEENS1_25partition_config_selectorILNS1_17partition_subalgoE4EjNS0_10empty_typeEbEEZZNS1_14partition_implILS8_4ELb0ES6_15HIP_vector_typeIjLj2EENS0_17counting_iteratorIjlEEPS9_SG_NS0_5tupleIJPjSI_NS0_16reverse_iteratorISI_EEEEENSH_IJSG_SG_SG_EEES9_SI_JZNS1_25segmented_radix_sort_implINS0_14default_configELb1EPKaPaPKlPlN2at6native12_GLOBAL__N_18offset_tEEE10hipError_tPvRmT1_PNSt15iterator_traitsIS12_E10value_typeET2_T3_PNS13_IS18_E10value_typeET4_jRbjT5_S1E_jjP12ihipStream_tbEUljE_ZNSN_ISO_Lb1ESQ_SR_ST_SU_SY_EESZ_S10_S11_S12_S16_S17_S18_S1B_S1C_jS1D_jS1E_S1E_jjS1G_bEUljE0_EEESZ_S10_S11_S18_S1C_S1E_T6_T7_T9_mT8_S1G_bDpT10_ENKUlT_T0_E_clISt17integral_constantIbLb0EES1T_IbLb1EEEEDaS1P_S1Q_EUlS1P_E_NS1_11comp_targetILNS1_3genE10ELNS1_11target_archE1200ELNS1_3gpuE4ELNS1_3repE0EEENS1_30default_config_static_selectorELNS0_4arch9wavefront6targetE0EEEvS12_
                                        ; -- End function
	.set _ZN7rocprim17ROCPRIM_400000_NS6detail17trampoline_kernelINS0_13select_configILj256ELj13ELNS0_17block_load_methodE3ELS4_3ELS4_3ELNS0_20block_scan_algorithmE0ELj4294967295EEENS1_25partition_config_selectorILNS1_17partition_subalgoE4EjNS0_10empty_typeEbEEZZNS1_14partition_implILS8_4ELb0ES6_15HIP_vector_typeIjLj2EENS0_17counting_iteratorIjlEEPS9_SG_NS0_5tupleIJPjSI_NS0_16reverse_iteratorISI_EEEEENSH_IJSG_SG_SG_EEES9_SI_JZNS1_25segmented_radix_sort_implINS0_14default_configELb1EPKaPaPKlPlN2at6native12_GLOBAL__N_18offset_tEEE10hipError_tPvRmT1_PNSt15iterator_traitsIS12_E10value_typeET2_T3_PNS13_IS18_E10value_typeET4_jRbjT5_S1E_jjP12ihipStream_tbEUljE_ZNSN_ISO_Lb1ESQ_SR_ST_SU_SY_EESZ_S10_S11_S12_S16_S17_S18_S1B_S1C_jS1D_jS1E_S1E_jjS1G_bEUljE0_EEESZ_S10_S11_S18_S1C_S1E_T6_T7_T9_mT8_S1G_bDpT10_ENKUlT_T0_E_clISt17integral_constantIbLb0EES1T_IbLb1EEEEDaS1P_S1Q_EUlS1P_E_NS1_11comp_targetILNS1_3genE10ELNS1_11target_archE1200ELNS1_3gpuE4ELNS1_3repE0EEENS1_30default_config_static_selectorELNS0_4arch9wavefront6targetE0EEEvS12_.num_vgpr, 98
	.set _ZN7rocprim17ROCPRIM_400000_NS6detail17trampoline_kernelINS0_13select_configILj256ELj13ELNS0_17block_load_methodE3ELS4_3ELS4_3ELNS0_20block_scan_algorithmE0ELj4294967295EEENS1_25partition_config_selectorILNS1_17partition_subalgoE4EjNS0_10empty_typeEbEEZZNS1_14partition_implILS8_4ELb0ES6_15HIP_vector_typeIjLj2EENS0_17counting_iteratorIjlEEPS9_SG_NS0_5tupleIJPjSI_NS0_16reverse_iteratorISI_EEEEENSH_IJSG_SG_SG_EEES9_SI_JZNS1_25segmented_radix_sort_implINS0_14default_configELb1EPKaPaPKlPlN2at6native12_GLOBAL__N_18offset_tEEE10hipError_tPvRmT1_PNSt15iterator_traitsIS12_E10value_typeET2_T3_PNS13_IS18_E10value_typeET4_jRbjT5_S1E_jjP12ihipStream_tbEUljE_ZNSN_ISO_Lb1ESQ_SR_ST_SU_SY_EESZ_S10_S11_S12_S16_S17_S18_S1B_S1C_jS1D_jS1E_S1E_jjS1G_bEUljE0_EEESZ_S10_S11_S18_S1C_S1E_T6_T7_T9_mT8_S1G_bDpT10_ENKUlT_T0_E_clISt17integral_constantIbLb0EES1T_IbLb1EEEEDaS1P_S1Q_EUlS1P_E_NS1_11comp_targetILNS1_3genE10ELNS1_11target_archE1200ELNS1_3gpuE4ELNS1_3repE0EEENS1_30default_config_static_selectorELNS0_4arch9wavefront6targetE0EEEvS12_.num_agpr, 0
	.set _ZN7rocprim17ROCPRIM_400000_NS6detail17trampoline_kernelINS0_13select_configILj256ELj13ELNS0_17block_load_methodE3ELS4_3ELS4_3ELNS0_20block_scan_algorithmE0ELj4294967295EEENS1_25partition_config_selectorILNS1_17partition_subalgoE4EjNS0_10empty_typeEbEEZZNS1_14partition_implILS8_4ELb0ES6_15HIP_vector_typeIjLj2EENS0_17counting_iteratorIjlEEPS9_SG_NS0_5tupleIJPjSI_NS0_16reverse_iteratorISI_EEEEENSH_IJSG_SG_SG_EEES9_SI_JZNS1_25segmented_radix_sort_implINS0_14default_configELb1EPKaPaPKlPlN2at6native12_GLOBAL__N_18offset_tEEE10hipError_tPvRmT1_PNSt15iterator_traitsIS12_E10value_typeET2_T3_PNS13_IS18_E10value_typeET4_jRbjT5_S1E_jjP12ihipStream_tbEUljE_ZNSN_ISO_Lb1ESQ_SR_ST_SU_SY_EESZ_S10_S11_S12_S16_S17_S18_S1B_S1C_jS1D_jS1E_S1E_jjS1G_bEUljE0_EEESZ_S10_S11_S18_S1C_S1E_T6_T7_T9_mT8_S1G_bDpT10_ENKUlT_T0_E_clISt17integral_constantIbLb0EES1T_IbLb1EEEEDaS1P_S1Q_EUlS1P_E_NS1_11comp_targetILNS1_3genE10ELNS1_11target_archE1200ELNS1_3gpuE4ELNS1_3repE0EEENS1_30default_config_static_selectorELNS0_4arch9wavefront6targetE0EEEvS12_.numbered_sgpr, 55
	.set _ZN7rocprim17ROCPRIM_400000_NS6detail17trampoline_kernelINS0_13select_configILj256ELj13ELNS0_17block_load_methodE3ELS4_3ELS4_3ELNS0_20block_scan_algorithmE0ELj4294967295EEENS1_25partition_config_selectorILNS1_17partition_subalgoE4EjNS0_10empty_typeEbEEZZNS1_14partition_implILS8_4ELb0ES6_15HIP_vector_typeIjLj2EENS0_17counting_iteratorIjlEEPS9_SG_NS0_5tupleIJPjSI_NS0_16reverse_iteratorISI_EEEEENSH_IJSG_SG_SG_EEES9_SI_JZNS1_25segmented_radix_sort_implINS0_14default_configELb1EPKaPaPKlPlN2at6native12_GLOBAL__N_18offset_tEEE10hipError_tPvRmT1_PNSt15iterator_traitsIS12_E10value_typeET2_T3_PNS13_IS18_E10value_typeET4_jRbjT5_S1E_jjP12ihipStream_tbEUljE_ZNSN_ISO_Lb1ESQ_SR_ST_SU_SY_EESZ_S10_S11_S12_S16_S17_S18_S1B_S1C_jS1D_jS1E_S1E_jjS1G_bEUljE0_EEESZ_S10_S11_S18_S1C_S1E_T6_T7_T9_mT8_S1G_bDpT10_ENKUlT_T0_E_clISt17integral_constantIbLb0EES1T_IbLb1EEEEDaS1P_S1Q_EUlS1P_E_NS1_11comp_targetILNS1_3genE10ELNS1_11target_archE1200ELNS1_3gpuE4ELNS1_3repE0EEENS1_30default_config_static_selectorELNS0_4arch9wavefront6targetE0EEEvS12_.num_named_barrier, 0
	.set _ZN7rocprim17ROCPRIM_400000_NS6detail17trampoline_kernelINS0_13select_configILj256ELj13ELNS0_17block_load_methodE3ELS4_3ELS4_3ELNS0_20block_scan_algorithmE0ELj4294967295EEENS1_25partition_config_selectorILNS1_17partition_subalgoE4EjNS0_10empty_typeEbEEZZNS1_14partition_implILS8_4ELb0ES6_15HIP_vector_typeIjLj2EENS0_17counting_iteratorIjlEEPS9_SG_NS0_5tupleIJPjSI_NS0_16reverse_iteratorISI_EEEEENSH_IJSG_SG_SG_EEES9_SI_JZNS1_25segmented_radix_sort_implINS0_14default_configELb1EPKaPaPKlPlN2at6native12_GLOBAL__N_18offset_tEEE10hipError_tPvRmT1_PNSt15iterator_traitsIS12_E10value_typeET2_T3_PNS13_IS18_E10value_typeET4_jRbjT5_S1E_jjP12ihipStream_tbEUljE_ZNSN_ISO_Lb1ESQ_SR_ST_SU_SY_EESZ_S10_S11_S12_S16_S17_S18_S1B_S1C_jS1D_jS1E_S1E_jjS1G_bEUljE0_EEESZ_S10_S11_S18_S1C_S1E_T6_T7_T9_mT8_S1G_bDpT10_ENKUlT_T0_E_clISt17integral_constantIbLb0EES1T_IbLb1EEEEDaS1P_S1Q_EUlS1P_E_NS1_11comp_targetILNS1_3genE10ELNS1_11target_archE1200ELNS1_3gpuE4ELNS1_3repE0EEENS1_30default_config_static_selectorELNS0_4arch9wavefront6targetE0EEEvS12_.private_seg_size, 0
	.set _ZN7rocprim17ROCPRIM_400000_NS6detail17trampoline_kernelINS0_13select_configILj256ELj13ELNS0_17block_load_methodE3ELS4_3ELS4_3ELNS0_20block_scan_algorithmE0ELj4294967295EEENS1_25partition_config_selectorILNS1_17partition_subalgoE4EjNS0_10empty_typeEbEEZZNS1_14partition_implILS8_4ELb0ES6_15HIP_vector_typeIjLj2EENS0_17counting_iteratorIjlEEPS9_SG_NS0_5tupleIJPjSI_NS0_16reverse_iteratorISI_EEEEENSH_IJSG_SG_SG_EEES9_SI_JZNS1_25segmented_radix_sort_implINS0_14default_configELb1EPKaPaPKlPlN2at6native12_GLOBAL__N_18offset_tEEE10hipError_tPvRmT1_PNSt15iterator_traitsIS12_E10value_typeET2_T3_PNS13_IS18_E10value_typeET4_jRbjT5_S1E_jjP12ihipStream_tbEUljE_ZNSN_ISO_Lb1ESQ_SR_ST_SU_SY_EESZ_S10_S11_S12_S16_S17_S18_S1B_S1C_jS1D_jS1E_S1E_jjS1G_bEUljE0_EEESZ_S10_S11_S18_S1C_S1E_T6_T7_T9_mT8_S1G_bDpT10_ENKUlT_T0_E_clISt17integral_constantIbLb0EES1T_IbLb1EEEEDaS1P_S1Q_EUlS1P_E_NS1_11comp_targetILNS1_3genE10ELNS1_11target_archE1200ELNS1_3gpuE4ELNS1_3repE0EEENS1_30default_config_static_selectorELNS0_4arch9wavefront6targetE0EEEvS12_.uses_vcc, 1
	.set _ZN7rocprim17ROCPRIM_400000_NS6detail17trampoline_kernelINS0_13select_configILj256ELj13ELNS0_17block_load_methodE3ELS4_3ELS4_3ELNS0_20block_scan_algorithmE0ELj4294967295EEENS1_25partition_config_selectorILNS1_17partition_subalgoE4EjNS0_10empty_typeEbEEZZNS1_14partition_implILS8_4ELb0ES6_15HIP_vector_typeIjLj2EENS0_17counting_iteratorIjlEEPS9_SG_NS0_5tupleIJPjSI_NS0_16reverse_iteratorISI_EEEEENSH_IJSG_SG_SG_EEES9_SI_JZNS1_25segmented_radix_sort_implINS0_14default_configELb1EPKaPaPKlPlN2at6native12_GLOBAL__N_18offset_tEEE10hipError_tPvRmT1_PNSt15iterator_traitsIS12_E10value_typeET2_T3_PNS13_IS18_E10value_typeET4_jRbjT5_S1E_jjP12ihipStream_tbEUljE_ZNSN_ISO_Lb1ESQ_SR_ST_SU_SY_EESZ_S10_S11_S12_S16_S17_S18_S1B_S1C_jS1D_jS1E_S1E_jjS1G_bEUljE0_EEESZ_S10_S11_S18_S1C_S1E_T6_T7_T9_mT8_S1G_bDpT10_ENKUlT_T0_E_clISt17integral_constantIbLb0EES1T_IbLb1EEEEDaS1P_S1Q_EUlS1P_E_NS1_11comp_targetILNS1_3genE10ELNS1_11target_archE1200ELNS1_3gpuE4ELNS1_3repE0EEENS1_30default_config_static_selectorELNS0_4arch9wavefront6targetE0EEEvS12_.uses_flat_scratch, 0
	.set _ZN7rocprim17ROCPRIM_400000_NS6detail17trampoline_kernelINS0_13select_configILj256ELj13ELNS0_17block_load_methodE3ELS4_3ELS4_3ELNS0_20block_scan_algorithmE0ELj4294967295EEENS1_25partition_config_selectorILNS1_17partition_subalgoE4EjNS0_10empty_typeEbEEZZNS1_14partition_implILS8_4ELb0ES6_15HIP_vector_typeIjLj2EENS0_17counting_iteratorIjlEEPS9_SG_NS0_5tupleIJPjSI_NS0_16reverse_iteratorISI_EEEEENSH_IJSG_SG_SG_EEES9_SI_JZNS1_25segmented_radix_sort_implINS0_14default_configELb1EPKaPaPKlPlN2at6native12_GLOBAL__N_18offset_tEEE10hipError_tPvRmT1_PNSt15iterator_traitsIS12_E10value_typeET2_T3_PNS13_IS18_E10value_typeET4_jRbjT5_S1E_jjP12ihipStream_tbEUljE_ZNSN_ISO_Lb1ESQ_SR_ST_SU_SY_EESZ_S10_S11_S12_S16_S17_S18_S1B_S1C_jS1D_jS1E_S1E_jjS1G_bEUljE0_EEESZ_S10_S11_S18_S1C_S1E_T6_T7_T9_mT8_S1G_bDpT10_ENKUlT_T0_E_clISt17integral_constantIbLb0EES1T_IbLb1EEEEDaS1P_S1Q_EUlS1P_E_NS1_11comp_targetILNS1_3genE10ELNS1_11target_archE1200ELNS1_3gpuE4ELNS1_3repE0EEENS1_30default_config_static_selectorELNS0_4arch9wavefront6targetE0EEEvS12_.has_dyn_sized_stack, 0
	.set _ZN7rocprim17ROCPRIM_400000_NS6detail17trampoline_kernelINS0_13select_configILj256ELj13ELNS0_17block_load_methodE3ELS4_3ELS4_3ELNS0_20block_scan_algorithmE0ELj4294967295EEENS1_25partition_config_selectorILNS1_17partition_subalgoE4EjNS0_10empty_typeEbEEZZNS1_14partition_implILS8_4ELb0ES6_15HIP_vector_typeIjLj2EENS0_17counting_iteratorIjlEEPS9_SG_NS0_5tupleIJPjSI_NS0_16reverse_iteratorISI_EEEEENSH_IJSG_SG_SG_EEES9_SI_JZNS1_25segmented_radix_sort_implINS0_14default_configELb1EPKaPaPKlPlN2at6native12_GLOBAL__N_18offset_tEEE10hipError_tPvRmT1_PNSt15iterator_traitsIS12_E10value_typeET2_T3_PNS13_IS18_E10value_typeET4_jRbjT5_S1E_jjP12ihipStream_tbEUljE_ZNSN_ISO_Lb1ESQ_SR_ST_SU_SY_EESZ_S10_S11_S12_S16_S17_S18_S1B_S1C_jS1D_jS1E_S1E_jjS1G_bEUljE0_EEESZ_S10_S11_S18_S1C_S1E_T6_T7_T9_mT8_S1G_bDpT10_ENKUlT_T0_E_clISt17integral_constantIbLb0EES1T_IbLb1EEEEDaS1P_S1Q_EUlS1P_E_NS1_11comp_targetILNS1_3genE10ELNS1_11target_archE1200ELNS1_3gpuE4ELNS1_3repE0EEENS1_30default_config_static_selectorELNS0_4arch9wavefront6targetE0EEEvS12_.has_recursion, 0
	.set _ZN7rocprim17ROCPRIM_400000_NS6detail17trampoline_kernelINS0_13select_configILj256ELj13ELNS0_17block_load_methodE3ELS4_3ELS4_3ELNS0_20block_scan_algorithmE0ELj4294967295EEENS1_25partition_config_selectorILNS1_17partition_subalgoE4EjNS0_10empty_typeEbEEZZNS1_14partition_implILS8_4ELb0ES6_15HIP_vector_typeIjLj2EENS0_17counting_iteratorIjlEEPS9_SG_NS0_5tupleIJPjSI_NS0_16reverse_iteratorISI_EEEEENSH_IJSG_SG_SG_EEES9_SI_JZNS1_25segmented_radix_sort_implINS0_14default_configELb1EPKaPaPKlPlN2at6native12_GLOBAL__N_18offset_tEEE10hipError_tPvRmT1_PNSt15iterator_traitsIS12_E10value_typeET2_T3_PNS13_IS18_E10value_typeET4_jRbjT5_S1E_jjP12ihipStream_tbEUljE_ZNSN_ISO_Lb1ESQ_SR_ST_SU_SY_EESZ_S10_S11_S12_S16_S17_S18_S1B_S1C_jS1D_jS1E_S1E_jjS1G_bEUljE0_EEESZ_S10_S11_S18_S1C_S1E_T6_T7_T9_mT8_S1G_bDpT10_ENKUlT_T0_E_clISt17integral_constantIbLb0EES1T_IbLb1EEEEDaS1P_S1Q_EUlS1P_E_NS1_11comp_targetILNS1_3genE10ELNS1_11target_archE1200ELNS1_3gpuE4ELNS1_3repE0EEENS1_30default_config_static_selectorELNS0_4arch9wavefront6targetE0EEEvS12_.has_indirect_call, 0
	.section	.AMDGPU.csdata,"",@progbits
; Kernel info:
; codeLenInByte = 19208
; TotalNumSgprs: 57
; NumVgprs: 98
; ScratchSize: 0
; MemoryBound: 0
; FloatMode: 240
; IeeeMode: 1
; LDSByteSize: 13328 bytes/workgroup (compile time only)
; SGPRBlocks: 0
; VGPRBlocks: 12
; NumSGPRsForWavesPerEU: 57
; NumVGPRsForWavesPerEU: 98
; Occupancy: 12
; WaveLimiterHint : 1
; COMPUTE_PGM_RSRC2:SCRATCH_EN: 0
; COMPUTE_PGM_RSRC2:USER_SGPR: 2
; COMPUTE_PGM_RSRC2:TRAP_HANDLER: 0
; COMPUTE_PGM_RSRC2:TGID_X_EN: 1
; COMPUTE_PGM_RSRC2:TGID_Y_EN: 0
; COMPUTE_PGM_RSRC2:TGID_Z_EN: 0
; COMPUTE_PGM_RSRC2:TIDIG_COMP_CNT: 0
	.section	.text._ZN7rocprim17ROCPRIM_400000_NS6detail17trampoline_kernelINS0_13select_configILj256ELj13ELNS0_17block_load_methodE3ELS4_3ELS4_3ELNS0_20block_scan_algorithmE0ELj4294967295EEENS1_25partition_config_selectorILNS1_17partition_subalgoE4EjNS0_10empty_typeEbEEZZNS1_14partition_implILS8_4ELb0ES6_15HIP_vector_typeIjLj2EENS0_17counting_iteratorIjlEEPS9_SG_NS0_5tupleIJPjSI_NS0_16reverse_iteratorISI_EEEEENSH_IJSG_SG_SG_EEES9_SI_JZNS1_25segmented_radix_sort_implINS0_14default_configELb1EPKaPaPKlPlN2at6native12_GLOBAL__N_18offset_tEEE10hipError_tPvRmT1_PNSt15iterator_traitsIS12_E10value_typeET2_T3_PNS13_IS18_E10value_typeET4_jRbjT5_S1E_jjP12ihipStream_tbEUljE_ZNSN_ISO_Lb1ESQ_SR_ST_SU_SY_EESZ_S10_S11_S12_S16_S17_S18_S1B_S1C_jS1D_jS1E_S1E_jjS1G_bEUljE0_EEESZ_S10_S11_S18_S1C_S1E_T6_T7_T9_mT8_S1G_bDpT10_ENKUlT_T0_E_clISt17integral_constantIbLb0EES1T_IbLb1EEEEDaS1P_S1Q_EUlS1P_E_NS1_11comp_targetILNS1_3genE9ELNS1_11target_archE1100ELNS1_3gpuE3ELNS1_3repE0EEENS1_30default_config_static_selectorELNS0_4arch9wavefront6targetE0EEEvS12_,"axG",@progbits,_ZN7rocprim17ROCPRIM_400000_NS6detail17trampoline_kernelINS0_13select_configILj256ELj13ELNS0_17block_load_methodE3ELS4_3ELS4_3ELNS0_20block_scan_algorithmE0ELj4294967295EEENS1_25partition_config_selectorILNS1_17partition_subalgoE4EjNS0_10empty_typeEbEEZZNS1_14partition_implILS8_4ELb0ES6_15HIP_vector_typeIjLj2EENS0_17counting_iteratorIjlEEPS9_SG_NS0_5tupleIJPjSI_NS0_16reverse_iteratorISI_EEEEENSH_IJSG_SG_SG_EEES9_SI_JZNS1_25segmented_radix_sort_implINS0_14default_configELb1EPKaPaPKlPlN2at6native12_GLOBAL__N_18offset_tEEE10hipError_tPvRmT1_PNSt15iterator_traitsIS12_E10value_typeET2_T3_PNS13_IS18_E10value_typeET4_jRbjT5_S1E_jjP12ihipStream_tbEUljE_ZNSN_ISO_Lb1ESQ_SR_ST_SU_SY_EESZ_S10_S11_S12_S16_S17_S18_S1B_S1C_jS1D_jS1E_S1E_jjS1G_bEUljE0_EEESZ_S10_S11_S18_S1C_S1E_T6_T7_T9_mT8_S1G_bDpT10_ENKUlT_T0_E_clISt17integral_constantIbLb0EES1T_IbLb1EEEEDaS1P_S1Q_EUlS1P_E_NS1_11comp_targetILNS1_3genE9ELNS1_11target_archE1100ELNS1_3gpuE3ELNS1_3repE0EEENS1_30default_config_static_selectorELNS0_4arch9wavefront6targetE0EEEvS12_,comdat
	.globl	_ZN7rocprim17ROCPRIM_400000_NS6detail17trampoline_kernelINS0_13select_configILj256ELj13ELNS0_17block_load_methodE3ELS4_3ELS4_3ELNS0_20block_scan_algorithmE0ELj4294967295EEENS1_25partition_config_selectorILNS1_17partition_subalgoE4EjNS0_10empty_typeEbEEZZNS1_14partition_implILS8_4ELb0ES6_15HIP_vector_typeIjLj2EENS0_17counting_iteratorIjlEEPS9_SG_NS0_5tupleIJPjSI_NS0_16reverse_iteratorISI_EEEEENSH_IJSG_SG_SG_EEES9_SI_JZNS1_25segmented_radix_sort_implINS0_14default_configELb1EPKaPaPKlPlN2at6native12_GLOBAL__N_18offset_tEEE10hipError_tPvRmT1_PNSt15iterator_traitsIS12_E10value_typeET2_T3_PNS13_IS18_E10value_typeET4_jRbjT5_S1E_jjP12ihipStream_tbEUljE_ZNSN_ISO_Lb1ESQ_SR_ST_SU_SY_EESZ_S10_S11_S12_S16_S17_S18_S1B_S1C_jS1D_jS1E_S1E_jjS1G_bEUljE0_EEESZ_S10_S11_S18_S1C_S1E_T6_T7_T9_mT8_S1G_bDpT10_ENKUlT_T0_E_clISt17integral_constantIbLb0EES1T_IbLb1EEEEDaS1P_S1Q_EUlS1P_E_NS1_11comp_targetILNS1_3genE9ELNS1_11target_archE1100ELNS1_3gpuE3ELNS1_3repE0EEENS1_30default_config_static_selectorELNS0_4arch9wavefront6targetE0EEEvS12_ ; -- Begin function _ZN7rocprim17ROCPRIM_400000_NS6detail17trampoline_kernelINS0_13select_configILj256ELj13ELNS0_17block_load_methodE3ELS4_3ELS4_3ELNS0_20block_scan_algorithmE0ELj4294967295EEENS1_25partition_config_selectorILNS1_17partition_subalgoE4EjNS0_10empty_typeEbEEZZNS1_14partition_implILS8_4ELb0ES6_15HIP_vector_typeIjLj2EENS0_17counting_iteratorIjlEEPS9_SG_NS0_5tupleIJPjSI_NS0_16reverse_iteratorISI_EEEEENSH_IJSG_SG_SG_EEES9_SI_JZNS1_25segmented_radix_sort_implINS0_14default_configELb1EPKaPaPKlPlN2at6native12_GLOBAL__N_18offset_tEEE10hipError_tPvRmT1_PNSt15iterator_traitsIS12_E10value_typeET2_T3_PNS13_IS18_E10value_typeET4_jRbjT5_S1E_jjP12ihipStream_tbEUljE_ZNSN_ISO_Lb1ESQ_SR_ST_SU_SY_EESZ_S10_S11_S12_S16_S17_S18_S1B_S1C_jS1D_jS1E_S1E_jjS1G_bEUljE0_EEESZ_S10_S11_S18_S1C_S1E_T6_T7_T9_mT8_S1G_bDpT10_ENKUlT_T0_E_clISt17integral_constantIbLb0EES1T_IbLb1EEEEDaS1P_S1Q_EUlS1P_E_NS1_11comp_targetILNS1_3genE9ELNS1_11target_archE1100ELNS1_3gpuE3ELNS1_3repE0EEENS1_30default_config_static_selectorELNS0_4arch9wavefront6targetE0EEEvS12_
	.p2align	8
	.type	_ZN7rocprim17ROCPRIM_400000_NS6detail17trampoline_kernelINS0_13select_configILj256ELj13ELNS0_17block_load_methodE3ELS4_3ELS4_3ELNS0_20block_scan_algorithmE0ELj4294967295EEENS1_25partition_config_selectorILNS1_17partition_subalgoE4EjNS0_10empty_typeEbEEZZNS1_14partition_implILS8_4ELb0ES6_15HIP_vector_typeIjLj2EENS0_17counting_iteratorIjlEEPS9_SG_NS0_5tupleIJPjSI_NS0_16reverse_iteratorISI_EEEEENSH_IJSG_SG_SG_EEES9_SI_JZNS1_25segmented_radix_sort_implINS0_14default_configELb1EPKaPaPKlPlN2at6native12_GLOBAL__N_18offset_tEEE10hipError_tPvRmT1_PNSt15iterator_traitsIS12_E10value_typeET2_T3_PNS13_IS18_E10value_typeET4_jRbjT5_S1E_jjP12ihipStream_tbEUljE_ZNSN_ISO_Lb1ESQ_SR_ST_SU_SY_EESZ_S10_S11_S12_S16_S17_S18_S1B_S1C_jS1D_jS1E_S1E_jjS1G_bEUljE0_EEESZ_S10_S11_S18_S1C_S1E_T6_T7_T9_mT8_S1G_bDpT10_ENKUlT_T0_E_clISt17integral_constantIbLb0EES1T_IbLb1EEEEDaS1P_S1Q_EUlS1P_E_NS1_11comp_targetILNS1_3genE9ELNS1_11target_archE1100ELNS1_3gpuE3ELNS1_3repE0EEENS1_30default_config_static_selectorELNS0_4arch9wavefront6targetE0EEEvS12_,@function
_ZN7rocprim17ROCPRIM_400000_NS6detail17trampoline_kernelINS0_13select_configILj256ELj13ELNS0_17block_load_methodE3ELS4_3ELS4_3ELNS0_20block_scan_algorithmE0ELj4294967295EEENS1_25partition_config_selectorILNS1_17partition_subalgoE4EjNS0_10empty_typeEbEEZZNS1_14partition_implILS8_4ELb0ES6_15HIP_vector_typeIjLj2EENS0_17counting_iteratorIjlEEPS9_SG_NS0_5tupleIJPjSI_NS0_16reverse_iteratorISI_EEEEENSH_IJSG_SG_SG_EEES9_SI_JZNS1_25segmented_radix_sort_implINS0_14default_configELb1EPKaPaPKlPlN2at6native12_GLOBAL__N_18offset_tEEE10hipError_tPvRmT1_PNSt15iterator_traitsIS12_E10value_typeET2_T3_PNS13_IS18_E10value_typeET4_jRbjT5_S1E_jjP12ihipStream_tbEUljE_ZNSN_ISO_Lb1ESQ_SR_ST_SU_SY_EESZ_S10_S11_S12_S16_S17_S18_S1B_S1C_jS1D_jS1E_S1E_jjS1G_bEUljE0_EEESZ_S10_S11_S18_S1C_S1E_T6_T7_T9_mT8_S1G_bDpT10_ENKUlT_T0_E_clISt17integral_constantIbLb0EES1T_IbLb1EEEEDaS1P_S1Q_EUlS1P_E_NS1_11comp_targetILNS1_3genE9ELNS1_11target_archE1100ELNS1_3gpuE3ELNS1_3repE0EEENS1_30default_config_static_selectorELNS0_4arch9wavefront6targetE0EEEvS12_: ; @_ZN7rocprim17ROCPRIM_400000_NS6detail17trampoline_kernelINS0_13select_configILj256ELj13ELNS0_17block_load_methodE3ELS4_3ELS4_3ELNS0_20block_scan_algorithmE0ELj4294967295EEENS1_25partition_config_selectorILNS1_17partition_subalgoE4EjNS0_10empty_typeEbEEZZNS1_14partition_implILS8_4ELb0ES6_15HIP_vector_typeIjLj2EENS0_17counting_iteratorIjlEEPS9_SG_NS0_5tupleIJPjSI_NS0_16reverse_iteratorISI_EEEEENSH_IJSG_SG_SG_EEES9_SI_JZNS1_25segmented_radix_sort_implINS0_14default_configELb1EPKaPaPKlPlN2at6native12_GLOBAL__N_18offset_tEEE10hipError_tPvRmT1_PNSt15iterator_traitsIS12_E10value_typeET2_T3_PNS13_IS18_E10value_typeET4_jRbjT5_S1E_jjP12ihipStream_tbEUljE_ZNSN_ISO_Lb1ESQ_SR_ST_SU_SY_EESZ_S10_S11_S12_S16_S17_S18_S1B_S1C_jS1D_jS1E_S1E_jjS1G_bEUljE0_EEESZ_S10_S11_S18_S1C_S1E_T6_T7_T9_mT8_S1G_bDpT10_ENKUlT_T0_E_clISt17integral_constantIbLb0EES1T_IbLb1EEEEDaS1P_S1Q_EUlS1P_E_NS1_11comp_targetILNS1_3genE9ELNS1_11target_archE1100ELNS1_3gpuE3ELNS1_3repE0EEENS1_30default_config_static_selectorELNS0_4arch9wavefront6targetE0EEEvS12_
; %bb.0:
	.section	.rodata,"a",@progbits
	.p2align	6, 0x0
	.amdhsa_kernel _ZN7rocprim17ROCPRIM_400000_NS6detail17trampoline_kernelINS0_13select_configILj256ELj13ELNS0_17block_load_methodE3ELS4_3ELS4_3ELNS0_20block_scan_algorithmE0ELj4294967295EEENS1_25partition_config_selectorILNS1_17partition_subalgoE4EjNS0_10empty_typeEbEEZZNS1_14partition_implILS8_4ELb0ES6_15HIP_vector_typeIjLj2EENS0_17counting_iteratorIjlEEPS9_SG_NS0_5tupleIJPjSI_NS0_16reverse_iteratorISI_EEEEENSH_IJSG_SG_SG_EEES9_SI_JZNS1_25segmented_radix_sort_implINS0_14default_configELb1EPKaPaPKlPlN2at6native12_GLOBAL__N_18offset_tEEE10hipError_tPvRmT1_PNSt15iterator_traitsIS12_E10value_typeET2_T3_PNS13_IS18_E10value_typeET4_jRbjT5_S1E_jjP12ihipStream_tbEUljE_ZNSN_ISO_Lb1ESQ_SR_ST_SU_SY_EESZ_S10_S11_S12_S16_S17_S18_S1B_S1C_jS1D_jS1E_S1E_jjS1G_bEUljE0_EEESZ_S10_S11_S18_S1C_S1E_T6_T7_T9_mT8_S1G_bDpT10_ENKUlT_T0_E_clISt17integral_constantIbLb0EES1T_IbLb1EEEEDaS1P_S1Q_EUlS1P_E_NS1_11comp_targetILNS1_3genE9ELNS1_11target_archE1100ELNS1_3gpuE3ELNS1_3repE0EEENS1_30default_config_static_selectorELNS0_4arch9wavefront6targetE0EEEvS12_
		.amdhsa_group_segment_fixed_size 0
		.amdhsa_private_segment_fixed_size 0
		.amdhsa_kernarg_size 184
		.amdhsa_user_sgpr_count 2
		.amdhsa_user_sgpr_dispatch_ptr 0
		.amdhsa_user_sgpr_queue_ptr 0
		.amdhsa_user_sgpr_kernarg_segment_ptr 1
		.amdhsa_user_sgpr_dispatch_id 0
		.amdhsa_user_sgpr_private_segment_size 0
		.amdhsa_wavefront_size32 1
		.amdhsa_uses_dynamic_stack 0
		.amdhsa_enable_private_segment 0
		.amdhsa_system_sgpr_workgroup_id_x 1
		.amdhsa_system_sgpr_workgroup_id_y 0
		.amdhsa_system_sgpr_workgroup_id_z 0
		.amdhsa_system_sgpr_workgroup_info 0
		.amdhsa_system_vgpr_workitem_id 0
		.amdhsa_next_free_vgpr 1
		.amdhsa_next_free_sgpr 1
		.amdhsa_reserve_vcc 0
		.amdhsa_float_round_mode_32 0
		.amdhsa_float_round_mode_16_64 0
		.amdhsa_float_denorm_mode_32 3
		.amdhsa_float_denorm_mode_16_64 3
		.amdhsa_fp16_overflow 0
		.amdhsa_workgroup_processor_mode 1
		.amdhsa_memory_ordered 1
		.amdhsa_forward_progress 1
		.amdhsa_inst_pref_size 0
		.amdhsa_round_robin_scheduling 0
		.amdhsa_exception_fp_ieee_invalid_op 0
		.amdhsa_exception_fp_denorm_src 0
		.amdhsa_exception_fp_ieee_div_zero 0
		.amdhsa_exception_fp_ieee_overflow 0
		.amdhsa_exception_fp_ieee_underflow 0
		.amdhsa_exception_fp_ieee_inexact 0
		.amdhsa_exception_int_div_zero 0
	.end_amdhsa_kernel
	.section	.text._ZN7rocprim17ROCPRIM_400000_NS6detail17trampoline_kernelINS0_13select_configILj256ELj13ELNS0_17block_load_methodE3ELS4_3ELS4_3ELNS0_20block_scan_algorithmE0ELj4294967295EEENS1_25partition_config_selectorILNS1_17partition_subalgoE4EjNS0_10empty_typeEbEEZZNS1_14partition_implILS8_4ELb0ES6_15HIP_vector_typeIjLj2EENS0_17counting_iteratorIjlEEPS9_SG_NS0_5tupleIJPjSI_NS0_16reverse_iteratorISI_EEEEENSH_IJSG_SG_SG_EEES9_SI_JZNS1_25segmented_radix_sort_implINS0_14default_configELb1EPKaPaPKlPlN2at6native12_GLOBAL__N_18offset_tEEE10hipError_tPvRmT1_PNSt15iterator_traitsIS12_E10value_typeET2_T3_PNS13_IS18_E10value_typeET4_jRbjT5_S1E_jjP12ihipStream_tbEUljE_ZNSN_ISO_Lb1ESQ_SR_ST_SU_SY_EESZ_S10_S11_S12_S16_S17_S18_S1B_S1C_jS1D_jS1E_S1E_jjS1G_bEUljE0_EEESZ_S10_S11_S18_S1C_S1E_T6_T7_T9_mT8_S1G_bDpT10_ENKUlT_T0_E_clISt17integral_constantIbLb0EES1T_IbLb1EEEEDaS1P_S1Q_EUlS1P_E_NS1_11comp_targetILNS1_3genE9ELNS1_11target_archE1100ELNS1_3gpuE3ELNS1_3repE0EEENS1_30default_config_static_selectorELNS0_4arch9wavefront6targetE0EEEvS12_,"axG",@progbits,_ZN7rocprim17ROCPRIM_400000_NS6detail17trampoline_kernelINS0_13select_configILj256ELj13ELNS0_17block_load_methodE3ELS4_3ELS4_3ELNS0_20block_scan_algorithmE0ELj4294967295EEENS1_25partition_config_selectorILNS1_17partition_subalgoE4EjNS0_10empty_typeEbEEZZNS1_14partition_implILS8_4ELb0ES6_15HIP_vector_typeIjLj2EENS0_17counting_iteratorIjlEEPS9_SG_NS0_5tupleIJPjSI_NS0_16reverse_iteratorISI_EEEEENSH_IJSG_SG_SG_EEES9_SI_JZNS1_25segmented_radix_sort_implINS0_14default_configELb1EPKaPaPKlPlN2at6native12_GLOBAL__N_18offset_tEEE10hipError_tPvRmT1_PNSt15iterator_traitsIS12_E10value_typeET2_T3_PNS13_IS18_E10value_typeET4_jRbjT5_S1E_jjP12ihipStream_tbEUljE_ZNSN_ISO_Lb1ESQ_SR_ST_SU_SY_EESZ_S10_S11_S12_S16_S17_S18_S1B_S1C_jS1D_jS1E_S1E_jjS1G_bEUljE0_EEESZ_S10_S11_S18_S1C_S1E_T6_T7_T9_mT8_S1G_bDpT10_ENKUlT_T0_E_clISt17integral_constantIbLb0EES1T_IbLb1EEEEDaS1P_S1Q_EUlS1P_E_NS1_11comp_targetILNS1_3genE9ELNS1_11target_archE1100ELNS1_3gpuE3ELNS1_3repE0EEENS1_30default_config_static_selectorELNS0_4arch9wavefront6targetE0EEEvS12_,comdat
.Lfunc_end256:
	.size	_ZN7rocprim17ROCPRIM_400000_NS6detail17trampoline_kernelINS0_13select_configILj256ELj13ELNS0_17block_load_methodE3ELS4_3ELS4_3ELNS0_20block_scan_algorithmE0ELj4294967295EEENS1_25partition_config_selectorILNS1_17partition_subalgoE4EjNS0_10empty_typeEbEEZZNS1_14partition_implILS8_4ELb0ES6_15HIP_vector_typeIjLj2EENS0_17counting_iteratorIjlEEPS9_SG_NS0_5tupleIJPjSI_NS0_16reverse_iteratorISI_EEEEENSH_IJSG_SG_SG_EEES9_SI_JZNS1_25segmented_radix_sort_implINS0_14default_configELb1EPKaPaPKlPlN2at6native12_GLOBAL__N_18offset_tEEE10hipError_tPvRmT1_PNSt15iterator_traitsIS12_E10value_typeET2_T3_PNS13_IS18_E10value_typeET4_jRbjT5_S1E_jjP12ihipStream_tbEUljE_ZNSN_ISO_Lb1ESQ_SR_ST_SU_SY_EESZ_S10_S11_S12_S16_S17_S18_S1B_S1C_jS1D_jS1E_S1E_jjS1G_bEUljE0_EEESZ_S10_S11_S18_S1C_S1E_T6_T7_T9_mT8_S1G_bDpT10_ENKUlT_T0_E_clISt17integral_constantIbLb0EES1T_IbLb1EEEEDaS1P_S1Q_EUlS1P_E_NS1_11comp_targetILNS1_3genE9ELNS1_11target_archE1100ELNS1_3gpuE3ELNS1_3repE0EEENS1_30default_config_static_selectorELNS0_4arch9wavefront6targetE0EEEvS12_, .Lfunc_end256-_ZN7rocprim17ROCPRIM_400000_NS6detail17trampoline_kernelINS0_13select_configILj256ELj13ELNS0_17block_load_methodE3ELS4_3ELS4_3ELNS0_20block_scan_algorithmE0ELj4294967295EEENS1_25partition_config_selectorILNS1_17partition_subalgoE4EjNS0_10empty_typeEbEEZZNS1_14partition_implILS8_4ELb0ES6_15HIP_vector_typeIjLj2EENS0_17counting_iteratorIjlEEPS9_SG_NS0_5tupleIJPjSI_NS0_16reverse_iteratorISI_EEEEENSH_IJSG_SG_SG_EEES9_SI_JZNS1_25segmented_radix_sort_implINS0_14default_configELb1EPKaPaPKlPlN2at6native12_GLOBAL__N_18offset_tEEE10hipError_tPvRmT1_PNSt15iterator_traitsIS12_E10value_typeET2_T3_PNS13_IS18_E10value_typeET4_jRbjT5_S1E_jjP12ihipStream_tbEUljE_ZNSN_ISO_Lb1ESQ_SR_ST_SU_SY_EESZ_S10_S11_S12_S16_S17_S18_S1B_S1C_jS1D_jS1E_S1E_jjS1G_bEUljE0_EEESZ_S10_S11_S18_S1C_S1E_T6_T7_T9_mT8_S1G_bDpT10_ENKUlT_T0_E_clISt17integral_constantIbLb0EES1T_IbLb1EEEEDaS1P_S1Q_EUlS1P_E_NS1_11comp_targetILNS1_3genE9ELNS1_11target_archE1100ELNS1_3gpuE3ELNS1_3repE0EEENS1_30default_config_static_selectorELNS0_4arch9wavefront6targetE0EEEvS12_
                                        ; -- End function
	.set _ZN7rocprim17ROCPRIM_400000_NS6detail17trampoline_kernelINS0_13select_configILj256ELj13ELNS0_17block_load_methodE3ELS4_3ELS4_3ELNS0_20block_scan_algorithmE0ELj4294967295EEENS1_25partition_config_selectorILNS1_17partition_subalgoE4EjNS0_10empty_typeEbEEZZNS1_14partition_implILS8_4ELb0ES6_15HIP_vector_typeIjLj2EENS0_17counting_iteratorIjlEEPS9_SG_NS0_5tupleIJPjSI_NS0_16reverse_iteratorISI_EEEEENSH_IJSG_SG_SG_EEES9_SI_JZNS1_25segmented_radix_sort_implINS0_14default_configELb1EPKaPaPKlPlN2at6native12_GLOBAL__N_18offset_tEEE10hipError_tPvRmT1_PNSt15iterator_traitsIS12_E10value_typeET2_T3_PNS13_IS18_E10value_typeET4_jRbjT5_S1E_jjP12ihipStream_tbEUljE_ZNSN_ISO_Lb1ESQ_SR_ST_SU_SY_EESZ_S10_S11_S12_S16_S17_S18_S1B_S1C_jS1D_jS1E_S1E_jjS1G_bEUljE0_EEESZ_S10_S11_S18_S1C_S1E_T6_T7_T9_mT8_S1G_bDpT10_ENKUlT_T0_E_clISt17integral_constantIbLb0EES1T_IbLb1EEEEDaS1P_S1Q_EUlS1P_E_NS1_11comp_targetILNS1_3genE9ELNS1_11target_archE1100ELNS1_3gpuE3ELNS1_3repE0EEENS1_30default_config_static_selectorELNS0_4arch9wavefront6targetE0EEEvS12_.num_vgpr, 0
	.set _ZN7rocprim17ROCPRIM_400000_NS6detail17trampoline_kernelINS0_13select_configILj256ELj13ELNS0_17block_load_methodE3ELS4_3ELS4_3ELNS0_20block_scan_algorithmE0ELj4294967295EEENS1_25partition_config_selectorILNS1_17partition_subalgoE4EjNS0_10empty_typeEbEEZZNS1_14partition_implILS8_4ELb0ES6_15HIP_vector_typeIjLj2EENS0_17counting_iteratorIjlEEPS9_SG_NS0_5tupleIJPjSI_NS0_16reverse_iteratorISI_EEEEENSH_IJSG_SG_SG_EEES9_SI_JZNS1_25segmented_radix_sort_implINS0_14default_configELb1EPKaPaPKlPlN2at6native12_GLOBAL__N_18offset_tEEE10hipError_tPvRmT1_PNSt15iterator_traitsIS12_E10value_typeET2_T3_PNS13_IS18_E10value_typeET4_jRbjT5_S1E_jjP12ihipStream_tbEUljE_ZNSN_ISO_Lb1ESQ_SR_ST_SU_SY_EESZ_S10_S11_S12_S16_S17_S18_S1B_S1C_jS1D_jS1E_S1E_jjS1G_bEUljE0_EEESZ_S10_S11_S18_S1C_S1E_T6_T7_T9_mT8_S1G_bDpT10_ENKUlT_T0_E_clISt17integral_constantIbLb0EES1T_IbLb1EEEEDaS1P_S1Q_EUlS1P_E_NS1_11comp_targetILNS1_3genE9ELNS1_11target_archE1100ELNS1_3gpuE3ELNS1_3repE0EEENS1_30default_config_static_selectorELNS0_4arch9wavefront6targetE0EEEvS12_.num_agpr, 0
	.set _ZN7rocprim17ROCPRIM_400000_NS6detail17trampoline_kernelINS0_13select_configILj256ELj13ELNS0_17block_load_methodE3ELS4_3ELS4_3ELNS0_20block_scan_algorithmE0ELj4294967295EEENS1_25partition_config_selectorILNS1_17partition_subalgoE4EjNS0_10empty_typeEbEEZZNS1_14partition_implILS8_4ELb0ES6_15HIP_vector_typeIjLj2EENS0_17counting_iteratorIjlEEPS9_SG_NS0_5tupleIJPjSI_NS0_16reverse_iteratorISI_EEEEENSH_IJSG_SG_SG_EEES9_SI_JZNS1_25segmented_radix_sort_implINS0_14default_configELb1EPKaPaPKlPlN2at6native12_GLOBAL__N_18offset_tEEE10hipError_tPvRmT1_PNSt15iterator_traitsIS12_E10value_typeET2_T3_PNS13_IS18_E10value_typeET4_jRbjT5_S1E_jjP12ihipStream_tbEUljE_ZNSN_ISO_Lb1ESQ_SR_ST_SU_SY_EESZ_S10_S11_S12_S16_S17_S18_S1B_S1C_jS1D_jS1E_S1E_jjS1G_bEUljE0_EEESZ_S10_S11_S18_S1C_S1E_T6_T7_T9_mT8_S1G_bDpT10_ENKUlT_T0_E_clISt17integral_constantIbLb0EES1T_IbLb1EEEEDaS1P_S1Q_EUlS1P_E_NS1_11comp_targetILNS1_3genE9ELNS1_11target_archE1100ELNS1_3gpuE3ELNS1_3repE0EEENS1_30default_config_static_selectorELNS0_4arch9wavefront6targetE0EEEvS12_.numbered_sgpr, 0
	.set _ZN7rocprim17ROCPRIM_400000_NS6detail17trampoline_kernelINS0_13select_configILj256ELj13ELNS0_17block_load_methodE3ELS4_3ELS4_3ELNS0_20block_scan_algorithmE0ELj4294967295EEENS1_25partition_config_selectorILNS1_17partition_subalgoE4EjNS0_10empty_typeEbEEZZNS1_14partition_implILS8_4ELb0ES6_15HIP_vector_typeIjLj2EENS0_17counting_iteratorIjlEEPS9_SG_NS0_5tupleIJPjSI_NS0_16reverse_iteratorISI_EEEEENSH_IJSG_SG_SG_EEES9_SI_JZNS1_25segmented_radix_sort_implINS0_14default_configELb1EPKaPaPKlPlN2at6native12_GLOBAL__N_18offset_tEEE10hipError_tPvRmT1_PNSt15iterator_traitsIS12_E10value_typeET2_T3_PNS13_IS18_E10value_typeET4_jRbjT5_S1E_jjP12ihipStream_tbEUljE_ZNSN_ISO_Lb1ESQ_SR_ST_SU_SY_EESZ_S10_S11_S12_S16_S17_S18_S1B_S1C_jS1D_jS1E_S1E_jjS1G_bEUljE0_EEESZ_S10_S11_S18_S1C_S1E_T6_T7_T9_mT8_S1G_bDpT10_ENKUlT_T0_E_clISt17integral_constantIbLb0EES1T_IbLb1EEEEDaS1P_S1Q_EUlS1P_E_NS1_11comp_targetILNS1_3genE9ELNS1_11target_archE1100ELNS1_3gpuE3ELNS1_3repE0EEENS1_30default_config_static_selectorELNS0_4arch9wavefront6targetE0EEEvS12_.num_named_barrier, 0
	.set _ZN7rocprim17ROCPRIM_400000_NS6detail17trampoline_kernelINS0_13select_configILj256ELj13ELNS0_17block_load_methodE3ELS4_3ELS4_3ELNS0_20block_scan_algorithmE0ELj4294967295EEENS1_25partition_config_selectorILNS1_17partition_subalgoE4EjNS0_10empty_typeEbEEZZNS1_14partition_implILS8_4ELb0ES6_15HIP_vector_typeIjLj2EENS0_17counting_iteratorIjlEEPS9_SG_NS0_5tupleIJPjSI_NS0_16reverse_iteratorISI_EEEEENSH_IJSG_SG_SG_EEES9_SI_JZNS1_25segmented_radix_sort_implINS0_14default_configELb1EPKaPaPKlPlN2at6native12_GLOBAL__N_18offset_tEEE10hipError_tPvRmT1_PNSt15iterator_traitsIS12_E10value_typeET2_T3_PNS13_IS18_E10value_typeET4_jRbjT5_S1E_jjP12ihipStream_tbEUljE_ZNSN_ISO_Lb1ESQ_SR_ST_SU_SY_EESZ_S10_S11_S12_S16_S17_S18_S1B_S1C_jS1D_jS1E_S1E_jjS1G_bEUljE0_EEESZ_S10_S11_S18_S1C_S1E_T6_T7_T9_mT8_S1G_bDpT10_ENKUlT_T0_E_clISt17integral_constantIbLb0EES1T_IbLb1EEEEDaS1P_S1Q_EUlS1P_E_NS1_11comp_targetILNS1_3genE9ELNS1_11target_archE1100ELNS1_3gpuE3ELNS1_3repE0EEENS1_30default_config_static_selectorELNS0_4arch9wavefront6targetE0EEEvS12_.private_seg_size, 0
	.set _ZN7rocprim17ROCPRIM_400000_NS6detail17trampoline_kernelINS0_13select_configILj256ELj13ELNS0_17block_load_methodE3ELS4_3ELS4_3ELNS0_20block_scan_algorithmE0ELj4294967295EEENS1_25partition_config_selectorILNS1_17partition_subalgoE4EjNS0_10empty_typeEbEEZZNS1_14partition_implILS8_4ELb0ES6_15HIP_vector_typeIjLj2EENS0_17counting_iteratorIjlEEPS9_SG_NS0_5tupleIJPjSI_NS0_16reverse_iteratorISI_EEEEENSH_IJSG_SG_SG_EEES9_SI_JZNS1_25segmented_radix_sort_implINS0_14default_configELb1EPKaPaPKlPlN2at6native12_GLOBAL__N_18offset_tEEE10hipError_tPvRmT1_PNSt15iterator_traitsIS12_E10value_typeET2_T3_PNS13_IS18_E10value_typeET4_jRbjT5_S1E_jjP12ihipStream_tbEUljE_ZNSN_ISO_Lb1ESQ_SR_ST_SU_SY_EESZ_S10_S11_S12_S16_S17_S18_S1B_S1C_jS1D_jS1E_S1E_jjS1G_bEUljE0_EEESZ_S10_S11_S18_S1C_S1E_T6_T7_T9_mT8_S1G_bDpT10_ENKUlT_T0_E_clISt17integral_constantIbLb0EES1T_IbLb1EEEEDaS1P_S1Q_EUlS1P_E_NS1_11comp_targetILNS1_3genE9ELNS1_11target_archE1100ELNS1_3gpuE3ELNS1_3repE0EEENS1_30default_config_static_selectorELNS0_4arch9wavefront6targetE0EEEvS12_.uses_vcc, 0
	.set _ZN7rocprim17ROCPRIM_400000_NS6detail17trampoline_kernelINS0_13select_configILj256ELj13ELNS0_17block_load_methodE3ELS4_3ELS4_3ELNS0_20block_scan_algorithmE0ELj4294967295EEENS1_25partition_config_selectorILNS1_17partition_subalgoE4EjNS0_10empty_typeEbEEZZNS1_14partition_implILS8_4ELb0ES6_15HIP_vector_typeIjLj2EENS0_17counting_iteratorIjlEEPS9_SG_NS0_5tupleIJPjSI_NS0_16reverse_iteratorISI_EEEEENSH_IJSG_SG_SG_EEES9_SI_JZNS1_25segmented_radix_sort_implINS0_14default_configELb1EPKaPaPKlPlN2at6native12_GLOBAL__N_18offset_tEEE10hipError_tPvRmT1_PNSt15iterator_traitsIS12_E10value_typeET2_T3_PNS13_IS18_E10value_typeET4_jRbjT5_S1E_jjP12ihipStream_tbEUljE_ZNSN_ISO_Lb1ESQ_SR_ST_SU_SY_EESZ_S10_S11_S12_S16_S17_S18_S1B_S1C_jS1D_jS1E_S1E_jjS1G_bEUljE0_EEESZ_S10_S11_S18_S1C_S1E_T6_T7_T9_mT8_S1G_bDpT10_ENKUlT_T0_E_clISt17integral_constantIbLb0EES1T_IbLb1EEEEDaS1P_S1Q_EUlS1P_E_NS1_11comp_targetILNS1_3genE9ELNS1_11target_archE1100ELNS1_3gpuE3ELNS1_3repE0EEENS1_30default_config_static_selectorELNS0_4arch9wavefront6targetE0EEEvS12_.uses_flat_scratch, 0
	.set _ZN7rocprim17ROCPRIM_400000_NS6detail17trampoline_kernelINS0_13select_configILj256ELj13ELNS0_17block_load_methodE3ELS4_3ELS4_3ELNS0_20block_scan_algorithmE0ELj4294967295EEENS1_25partition_config_selectorILNS1_17partition_subalgoE4EjNS0_10empty_typeEbEEZZNS1_14partition_implILS8_4ELb0ES6_15HIP_vector_typeIjLj2EENS0_17counting_iteratorIjlEEPS9_SG_NS0_5tupleIJPjSI_NS0_16reverse_iteratorISI_EEEEENSH_IJSG_SG_SG_EEES9_SI_JZNS1_25segmented_radix_sort_implINS0_14default_configELb1EPKaPaPKlPlN2at6native12_GLOBAL__N_18offset_tEEE10hipError_tPvRmT1_PNSt15iterator_traitsIS12_E10value_typeET2_T3_PNS13_IS18_E10value_typeET4_jRbjT5_S1E_jjP12ihipStream_tbEUljE_ZNSN_ISO_Lb1ESQ_SR_ST_SU_SY_EESZ_S10_S11_S12_S16_S17_S18_S1B_S1C_jS1D_jS1E_S1E_jjS1G_bEUljE0_EEESZ_S10_S11_S18_S1C_S1E_T6_T7_T9_mT8_S1G_bDpT10_ENKUlT_T0_E_clISt17integral_constantIbLb0EES1T_IbLb1EEEEDaS1P_S1Q_EUlS1P_E_NS1_11comp_targetILNS1_3genE9ELNS1_11target_archE1100ELNS1_3gpuE3ELNS1_3repE0EEENS1_30default_config_static_selectorELNS0_4arch9wavefront6targetE0EEEvS12_.has_dyn_sized_stack, 0
	.set _ZN7rocprim17ROCPRIM_400000_NS6detail17trampoline_kernelINS0_13select_configILj256ELj13ELNS0_17block_load_methodE3ELS4_3ELS4_3ELNS0_20block_scan_algorithmE0ELj4294967295EEENS1_25partition_config_selectorILNS1_17partition_subalgoE4EjNS0_10empty_typeEbEEZZNS1_14partition_implILS8_4ELb0ES6_15HIP_vector_typeIjLj2EENS0_17counting_iteratorIjlEEPS9_SG_NS0_5tupleIJPjSI_NS0_16reverse_iteratorISI_EEEEENSH_IJSG_SG_SG_EEES9_SI_JZNS1_25segmented_radix_sort_implINS0_14default_configELb1EPKaPaPKlPlN2at6native12_GLOBAL__N_18offset_tEEE10hipError_tPvRmT1_PNSt15iterator_traitsIS12_E10value_typeET2_T3_PNS13_IS18_E10value_typeET4_jRbjT5_S1E_jjP12ihipStream_tbEUljE_ZNSN_ISO_Lb1ESQ_SR_ST_SU_SY_EESZ_S10_S11_S12_S16_S17_S18_S1B_S1C_jS1D_jS1E_S1E_jjS1G_bEUljE0_EEESZ_S10_S11_S18_S1C_S1E_T6_T7_T9_mT8_S1G_bDpT10_ENKUlT_T0_E_clISt17integral_constantIbLb0EES1T_IbLb1EEEEDaS1P_S1Q_EUlS1P_E_NS1_11comp_targetILNS1_3genE9ELNS1_11target_archE1100ELNS1_3gpuE3ELNS1_3repE0EEENS1_30default_config_static_selectorELNS0_4arch9wavefront6targetE0EEEvS12_.has_recursion, 0
	.set _ZN7rocprim17ROCPRIM_400000_NS6detail17trampoline_kernelINS0_13select_configILj256ELj13ELNS0_17block_load_methodE3ELS4_3ELS4_3ELNS0_20block_scan_algorithmE0ELj4294967295EEENS1_25partition_config_selectorILNS1_17partition_subalgoE4EjNS0_10empty_typeEbEEZZNS1_14partition_implILS8_4ELb0ES6_15HIP_vector_typeIjLj2EENS0_17counting_iteratorIjlEEPS9_SG_NS0_5tupleIJPjSI_NS0_16reverse_iteratorISI_EEEEENSH_IJSG_SG_SG_EEES9_SI_JZNS1_25segmented_radix_sort_implINS0_14default_configELb1EPKaPaPKlPlN2at6native12_GLOBAL__N_18offset_tEEE10hipError_tPvRmT1_PNSt15iterator_traitsIS12_E10value_typeET2_T3_PNS13_IS18_E10value_typeET4_jRbjT5_S1E_jjP12ihipStream_tbEUljE_ZNSN_ISO_Lb1ESQ_SR_ST_SU_SY_EESZ_S10_S11_S12_S16_S17_S18_S1B_S1C_jS1D_jS1E_S1E_jjS1G_bEUljE0_EEESZ_S10_S11_S18_S1C_S1E_T6_T7_T9_mT8_S1G_bDpT10_ENKUlT_T0_E_clISt17integral_constantIbLb0EES1T_IbLb1EEEEDaS1P_S1Q_EUlS1P_E_NS1_11comp_targetILNS1_3genE9ELNS1_11target_archE1100ELNS1_3gpuE3ELNS1_3repE0EEENS1_30default_config_static_selectorELNS0_4arch9wavefront6targetE0EEEvS12_.has_indirect_call, 0
	.section	.AMDGPU.csdata,"",@progbits
; Kernel info:
; codeLenInByte = 0
; TotalNumSgprs: 0
; NumVgprs: 0
; ScratchSize: 0
; MemoryBound: 0
; FloatMode: 240
; IeeeMode: 1
; LDSByteSize: 0 bytes/workgroup (compile time only)
; SGPRBlocks: 0
; VGPRBlocks: 0
; NumSGPRsForWavesPerEU: 1
; NumVGPRsForWavesPerEU: 1
; Occupancy: 16
; WaveLimiterHint : 0
; COMPUTE_PGM_RSRC2:SCRATCH_EN: 0
; COMPUTE_PGM_RSRC2:USER_SGPR: 2
; COMPUTE_PGM_RSRC2:TRAP_HANDLER: 0
; COMPUTE_PGM_RSRC2:TGID_X_EN: 1
; COMPUTE_PGM_RSRC2:TGID_Y_EN: 0
; COMPUTE_PGM_RSRC2:TGID_Z_EN: 0
; COMPUTE_PGM_RSRC2:TIDIG_COMP_CNT: 0
	.section	.text._ZN7rocprim17ROCPRIM_400000_NS6detail17trampoline_kernelINS0_13select_configILj256ELj13ELNS0_17block_load_methodE3ELS4_3ELS4_3ELNS0_20block_scan_algorithmE0ELj4294967295EEENS1_25partition_config_selectorILNS1_17partition_subalgoE4EjNS0_10empty_typeEbEEZZNS1_14partition_implILS8_4ELb0ES6_15HIP_vector_typeIjLj2EENS0_17counting_iteratorIjlEEPS9_SG_NS0_5tupleIJPjSI_NS0_16reverse_iteratorISI_EEEEENSH_IJSG_SG_SG_EEES9_SI_JZNS1_25segmented_radix_sort_implINS0_14default_configELb1EPKaPaPKlPlN2at6native12_GLOBAL__N_18offset_tEEE10hipError_tPvRmT1_PNSt15iterator_traitsIS12_E10value_typeET2_T3_PNS13_IS18_E10value_typeET4_jRbjT5_S1E_jjP12ihipStream_tbEUljE_ZNSN_ISO_Lb1ESQ_SR_ST_SU_SY_EESZ_S10_S11_S12_S16_S17_S18_S1B_S1C_jS1D_jS1E_S1E_jjS1G_bEUljE0_EEESZ_S10_S11_S18_S1C_S1E_T6_T7_T9_mT8_S1G_bDpT10_ENKUlT_T0_E_clISt17integral_constantIbLb0EES1T_IbLb1EEEEDaS1P_S1Q_EUlS1P_E_NS1_11comp_targetILNS1_3genE8ELNS1_11target_archE1030ELNS1_3gpuE2ELNS1_3repE0EEENS1_30default_config_static_selectorELNS0_4arch9wavefront6targetE0EEEvS12_,"axG",@progbits,_ZN7rocprim17ROCPRIM_400000_NS6detail17trampoline_kernelINS0_13select_configILj256ELj13ELNS0_17block_load_methodE3ELS4_3ELS4_3ELNS0_20block_scan_algorithmE0ELj4294967295EEENS1_25partition_config_selectorILNS1_17partition_subalgoE4EjNS0_10empty_typeEbEEZZNS1_14partition_implILS8_4ELb0ES6_15HIP_vector_typeIjLj2EENS0_17counting_iteratorIjlEEPS9_SG_NS0_5tupleIJPjSI_NS0_16reverse_iteratorISI_EEEEENSH_IJSG_SG_SG_EEES9_SI_JZNS1_25segmented_radix_sort_implINS0_14default_configELb1EPKaPaPKlPlN2at6native12_GLOBAL__N_18offset_tEEE10hipError_tPvRmT1_PNSt15iterator_traitsIS12_E10value_typeET2_T3_PNS13_IS18_E10value_typeET4_jRbjT5_S1E_jjP12ihipStream_tbEUljE_ZNSN_ISO_Lb1ESQ_SR_ST_SU_SY_EESZ_S10_S11_S12_S16_S17_S18_S1B_S1C_jS1D_jS1E_S1E_jjS1G_bEUljE0_EEESZ_S10_S11_S18_S1C_S1E_T6_T7_T9_mT8_S1G_bDpT10_ENKUlT_T0_E_clISt17integral_constantIbLb0EES1T_IbLb1EEEEDaS1P_S1Q_EUlS1P_E_NS1_11comp_targetILNS1_3genE8ELNS1_11target_archE1030ELNS1_3gpuE2ELNS1_3repE0EEENS1_30default_config_static_selectorELNS0_4arch9wavefront6targetE0EEEvS12_,comdat
	.globl	_ZN7rocprim17ROCPRIM_400000_NS6detail17trampoline_kernelINS0_13select_configILj256ELj13ELNS0_17block_load_methodE3ELS4_3ELS4_3ELNS0_20block_scan_algorithmE0ELj4294967295EEENS1_25partition_config_selectorILNS1_17partition_subalgoE4EjNS0_10empty_typeEbEEZZNS1_14partition_implILS8_4ELb0ES6_15HIP_vector_typeIjLj2EENS0_17counting_iteratorIjlEEPS9_SG_NS0_5tupleIJPjSI_NS0_16reverse_iteratorISI_EEEEENSH_IJSG_SG_SG_EEES9_SI_JZNS1_25segmented_radix_sort_implINS0_14default_configELb1EPKaPaPKlPlN2at6native12_GLOBAL__N_18offset_tEEE10hipError_tPvRmT1_PNSt15iterator_traitsIS12_E10value_typeET2_T3_PNS13_IS18_E10value_typeET4_jRbjT5_S1E_jjP12ihipStream_tbEUljE_ZNSN_ISO_Lb1ESQ_SR_ST_SU_SY_EESZ_S10_S11_S12_S16_S17_S18_S1B_S1C_jS1D_jS1E_S1E_jjS1G_bEUljE0_EEESZ_S10_S11_S18_S1C_S1E_T6_T7_T9_mT8_S1G_bDpT10_ENKUlT_T0_E_clISt17integral_constantIbLb0EES1T_IbLb1EEEEDaS1P_S1Q_EUlS1P_E_NS1_11comp_targetILNS1_3genE8ELNS1_11target_archE1030ELNS1_3gpuE2ELNS1_3repE0EEENS1_30default_config_static_selectorELNS0_4arch9wavefront6targetE0EEEvS12_ ; -- Begin function _ZN7rocprim17ROCPRIM_400000_NS6detail17trampoline_kernelINS0_13select_configILj256ELj13ELNS0_17block_load_methodE3ELS4_3ELS4_3ELNS0_20block_scan_algorithmE0ELj4294967295EEENS1_25partition_config_selectorILNS1_17partition_subalgoE4EjNS0_10empty_typeEbEEZZNS1_14partition_implILS8_4ELb0ES6_15HIP_vector_typeIjLj2EENS0_17counting_iteratorIjlEEPS9_SG_NS0_5tupleIJPjSI_NS0_16reverse_iteratorISI_EEEEENSH_IJSG_SG_SG_EEES9_SI_JZNS1_25segmented_radix_sort_implINS0_14default_configELb1EPKaPaPKlPlN2at6native12_GLOBAL__N_18offset_tEEE10hipError_tPvRmT1_PNSt15iterator_traitsIS12_E10value_typeET2_T3_PNS13_IS18_E10value_typeET4_jRbjT5_S1E_jjP12ihipStream_tbEUljE_ZNSN_ISO_Lb1ESQ_SR_ST_SU_SY_EESZ_S10_S11_S12_S16_S17_S18_S1B_S1C_jS1D_jS1E_S1E_jjS1G_bEUljE0_EEESZ_S10_S11_S18_S1C_S1E_T6_T7_T9_mT8_S1G_bDpT10_ENKUlT_T0_E_clISt17integral_constantIbLb0EES1T_IbLb1EEEEDaS1P_S1Q_EUlS1P_E_NS1_11comp_targetILNS1_3genE8ELNS1_11target_archE1030ELNS1_3gpuE2ELNS1_3repE0EEENS1_30default_config_static_selectorELNS0_4arch9wavefront6targetE0EEEvS12_
	.p2align	8
	.type	_ZN7rocprim17ROCPRIM_400000_NS6detail17trampoline_kernelINS0_13select_configILj256ELj13ELNS0_17block_load_methodE3ELS4_3ELS4_3ELNS0_20block_scan_algorithmE0ELj4294967295EEENS1_25partition_config_selectorILNS1_17partition_subalgoE4EjNS0_10empty_typeEbEEZZNS1_14partition_implILS8_4ELb0ES6_15HIP_vector_typeIjLj2EENS0_17counting_iteratorIjlEEPS9_SG_NS0_5tupleIJPjSI_NS0_16reverse_iteratorISI_EEEEENSH_IJSG_SG_SG_EEES9_SI_JZNS1_25segmented_radix_sort_implINS0_14default_configELb1EPKaPaPKlPlN2at6native12_GLOBAL__N_18offset_tEEE10hipError_tPvRmT1_PNSt15iterator_traitsIS12_E10value_typeET2_T3_PNS13_IS18_E10value_typeET4_jRbjT5_S1E_jjP12ihipStream_tbEUljE_ZNSN_ISO_Lb1ESQ_SR_ST_SU_SY_EESZ_S10_S11_S12_S16_S17_S18_S1B_S1C_jS1D_jS1E_S1E_jjS1G_bEUljE0_EEESZ_S10_S11_S18_S1C_S1E_T6_T7_T9_mT8_S1G_bDpT10_ENKUlT_T0_E_clISt17integral_constantIbLb0EES1T_IbLb1EEEEDaS1P_S1Q_EUlS1P_E_NS1_11comp_targetILNS1_3genE8ELNS1_11target_archE1030ELNS1_3gpuE2ELNS1_3repE0EEENS1_30default_config_static_selectorELNS0_4arch9wavefront6targetE0EEEvS12_,@function
_ZN7rocprim17ROCPRIM_400000_NS6detail17trampoline_kernelINS0_13select_configILj256ELj13ELNS0_17block_load_methodE3ELS4_3ELS4_3ELNS0_20block_scan_algorithmE0ELj4294967295EEENS1_25partition_config_selectorILNS1_17partition_subalgoE4EjNS0_10empty_typeEbEEZZNS1_14partition_implILS8_4ELb0ES6_15HIP_vector_typeIjLj2EENS0_17counting_iteratorIjlEEPS9_SG_NS0_5tupleIJPjSI_NS0_16reverse_iteratorISI_EEEEENSH_IJSG_SG_SG_EEES9_SI_JZNS1_25segmented_radix_sort_implINS0_14default_configELb1EPKaPaPKlPlN2at6native12_GLOBAL__N_18offset_tEEE10hipError_tPvRmT1_PNSt15iterator_traitsIS12_E10value_typeET2_T3_PNS13_IS18_E10value_typeET4_jRbjT5_S1E_jjP12ihipStream_tbEUljE_ZNSN_ISO_Lb1ESQ_SR_ST_SU_SY_EESZ_S10_S11_S12_S16_S17_S18_S1B_S1C_jS1D_jS1E_S1E_jjS1G_bEUljE0_EEESZ_S10_S11_S18_S1C_S1E_T6_T7_T9_mT8_S1G_bDpT10_ENKUlT_T0_E_clISt17integral_constantIbLb0EES1T_IbLb1EEEEDaS1P_S1Q_EUlS1P_E_NS1_11comp_targetILNS1_3genE8ELNS1_11target_archE1030ELNS1_3gpuE2ELNS1_3repE0EEENS1_30default_config_static_selectorELNS0_4arch9wavefront6targetE0EEEvS12_: ; @_ZN7rocprim17ROCPRIM_400000_NS6detail17trampoline_kernelINS0_13select_configILj256ELj13ELNS0_17block_load_methodE3ELS4_3ELS4_3ELNS0_20block_scan_algorithmE0ELj4294967295EEENS1_25partition_config_selectorILNS1_17partition_subalgoE4EjNS0_10empty_typeEbEEZZNS1_14partition_implILS8_4ELb0ES6_15HIP_vector_typeIjLj2EENS0_17counting_iteratorIjlEEPS9_SG_NS0_5tupleIJPjSI_NS0_16reverse_iteratorISI_EEEEENSH_IJSG_SG_SG_EEES9_SI_JZNS1_25segmented_radix_sort_implINS0_14default_configELb1EPKaPaPKlPlN2at6native12_GLOBAL__N_18offset_tEEE10hipError_tPvRmT1_PNSt15iterator_traitsIS12_E10value_typeET2_T3_PNS13_IS18_E10value_typeET4_jRbjT5_S1E_jjP12ihipStream_tbEUljE_ZNSN_ISO_Lb1ESQ_SR_ST_SU_SY_EESZ_S10_S11_S12_S16_S17_S18_S1B_S1C_jS1D_jS1E_S1E_jjS1G_bEUljE0_EEESZ_S10_S11_S18_S1C_S1E_T6_T7_T9_mT8_S1G_bDpT10_ENKUlT_T0_E_clISt17integral_constantIbLb0EES1T_IbLb1EEEEDaS1P_S1Q_EUlS1P_E_NS1_11comp_targetILNS1_3genE8ELNS1_11target_archE1030ELNS1_3gpuE2ELNS1_3repE0EEENS1_30default_config_static_selectorELNS0_4arch9wavefront6targetE0EEEvS12_
; %bb.0:
	.section	.rodata,"a",@progbits
	.p2align	6, 0x0
	.amdhsa_kernel _ZN7rocprim17ROCPRIM_400000_NS6detail17trampoline_kernelINS0_13select_configILj256ELj13ELNS0_17block_load_methodE3ELS4_3ELS4_3ELNS0_20block_scan_algorithmE0ELj4294967295EEENS1_25partition_config_selectorILNS1_17partition_subalgoE4EjNS0_10empty_typeEbEEZZNS1_14partition_implILS8_4ELb0ES6_15HIP_vector_typeIjLj2EENS0_17counting_iteratorIjlEEPS9_SG_NS0_5tupleIJPjSI_NS0_16reverse_iteratorISI_EEEEENSH_IJSG_SG_SG_EEES9_SI_JZNS1_25segmented_radix_sort_implINS0_14default_configELb1EPKaPaPKlPlN2at6native12_GLOBAL__N_18offset_tEEE10hipError_tPvRmT1_PNSt15iterator_traitsIS12_E10value_typeET2_T3_PNS13_IS18_E10value_typeET4_jRbjT5_S1E_jjP12ihipStream_tbEUljE_ZNSN_ISO_Lb1ESQ_SR_ST_SU_SY_EESZ_S10_S11_S12_S16_S17_S18_S1B_S1C_jS1D_jS1E_S1E_jjS1G_bEUljE0_EEESZ_S10_S11_S18_S1C_S1E_T6_T7_T9_mT8_S1G_bDpT10_ENKUlT_T0_E_clISt17integral_constantIbLb0EES1T_IbLb1EEEEDaS1P_S1Q_EUlS1P_E_NS1_11comp_targetILNS1_3genE8ELNS1_11target_archE1030ELNS1_3gpuE2ELNS1_3repE0EEENS1_30default_config_static_selectorELNS0_4arch9wavefront6targetE0EEEvS12_
		.amdhsa_group_segment_fixed_size 0
		.amdhsa_private_segment_fixed_size 0
		.amdhsa_kernarg_size 184
		.amdhsa_user_sgpr_count 2
		.amdhsa_user_sgpr_dispatch_ptr 0
		.amdhsa_user_sgpr_queue_ptr 0
		.amdhsa_user_sgpr_kernarg_segment_ptr 1
		.amdhsa_user_sgpr_dispatch_id 0
		.amdhsa_user_sgpr_private_segment_size 0
		.amdhsa_wavefront_size32 1
		.amdhsa_uses_dynamic_stack 0
		.amdhsa_enable_private_segment 0
		.amdhsa_system_sgpr_workgroup_id_x 1
		.amdhsa_system_sgpr_workgroup_id_y 0
		.amdhsa_system_sgpr_workgroup_id_z 0
		.amdhsa_system_sgpr_workgroup_info 0
		.amdhsa_system_vgpr_workitem_id 0
		.amdhsa_next_free_vgpr 1
		.amdhsa_next_free_sgpr 1
		.amdhsa_reserve_vcc 0
		.amdhsa_float_round_mode_32 0
		.amdhsa_float_round_mode_16_64 0
		.amdhsa_float_denorm_mode_32 3
		.amdhsa_float_denorm_mode_16_64 3
		.amdhsa_fp16_overflow 0
		.amdhsa_workgroup_processor_mode 1
		.amdhsa_memory_ordered 1
		.amdhsa_forward_progress 1
		.amdhsa_inst_pref_size 0
		.amdhsa_round_robin_scheduling 0
		.amdhsa_exception_fp_ieee_invalid_op 0
		.amdhsa_exception_fp_denorm_src 0
		.amdhsa_exception_fp_ieee_div_zero 0
		.amdhsa_exception_fp_ieee_overflow 0
		.amdhsa_exception_fp_ieee_underflow 0
		.amdhsa_exception_fp_ieee_inexact 0
		.amdhsa_exception_int_div_zero 0
	.end_amdhsa_kernel
	.section	.text._ZN7rocprim17ROCPRIM_400000_NS6detail17trampoline_kernelINS0_13select_configILj256ELj13ELNS0_17block_load_methodE3ELS4_3ELS4_3ELNS0_20block_scan_algorithmE0ELj4294967295EEENS1_25partition_config_selectorILNS1_17partition_subalgoE4EjNS0_10empty_typeEbEEZZNS1_14partition_implILS8_4ELb0ES6_15HIP_vector_typeIjLj2EENS0_17counting_iteratorIjlEEPS9_SG_NS0_5tupleIJPjSI_NS0_16reverse_iteratorISI_EEEEENSH_IJSG_SG_SG_EEES9_SI_JZNS1_25segmented_radix_sort_implINS0_14default_configELb1EPKaPaPKlPlN2at6native12_GLOBAL__N_18offset_tEEE10hipError_tPvRmT1_PNSt15iterator_traitsIS12_E10value_typeET2_T3_PNS13_IS18_E10value_typeET4_jRbjT5_S1E_jjP12ihipStream_tbEUljE_ZNSN_ISO_Lb1ESQ_SR_ST_SU_SY_EESZ_S10_S11_S12_S16_S17_S18_S1B_S1C_jS1D_jS1E_S1E_jjS1G_bEUljE0_EEESZ_S10_S11_S18_S1C_S1E_T6_T7_T9_mT8_S1G_bDpT10_ENKUlT_T0_E_clISt17integral_constantIbLb0EES1T_IbLb1EEEEDaS1P_S1Q_EUlS1P_E_NS1_11comp_targetILNS1_3genE8ELNS1_11target_archE1030ELNS1_3gpuE2ELNS1_3repE0EEENS1_30default_config_static_selectorELNS0_4arch9wavefront6targetE0EEEvS12_,"axG",@progbits,_ZN7rocprim17ROCPRIM_400000_NS6detail17trampoline_kernelINS0_13select_configILj256ELj13ELNS0_17block_load_methodE3ELS4_3ELS4_3ELNS0_20block_scan_algorithmE0ELj4294967295EEENS1_25partition_config_selectorILNS1_17partition_subalgoE4EjNS0_10empty_typeEbEEZZNS1_14partition_implILS8_4ELb0ES6_15HIP_vector_typeIjLj2EENS0_17counting_iteratorIjlEEPS9_SG_NS0_5tupleIJPjSI_NS0_16reverse_iteratorISI_EEEEENSH_IJSG_SG_SG_EEES9_SI_JZNS1_25segmented_radix_sort_implINS0_14default_configELb1EPKaPaPKlPlN2at6native12_GLOBAL__N_18offset_tEEE10hipError_tPvRmT1_PNSt15iterator_traitsIS12_E10value_typeET2_T3_PNS13_IS18_E10value_typeET4_jRbjT5_S1E_jjP12ihipStream_tbEUljE_ZNSN_ISO_Lb1ESQ_SR_ST_SU_SY_EESZ_S10_S11_S12_S16_S17_S18_S1B_S1C_jS1D_jS1E_S1E_jjS1G_bEUljE0_EEESZ_S10_S11_S18_S1C_S1E_T6_T7_T9_mT8_S1G_bDpT10_ENKUlT_T0_E_clISt17integral_constantIbLb0EES1T_IbLb1EEEEDaS1P_S1Q_EUlS1P_E_NS1_11comp_targetILNS1_3genE8ELNS1_11target_archE1030ELNS1_3gpuE2ELNS1_3repE0EEENS1_30default_config_static_selectorELNS0_4arch9wavefront6targetE0EEEvS12_,comdat
.Lfunc_end257:
	.size	_ZN7rocprim17ROCPRIM_400000_NS6detail17trampoline_kernelINS0_13select_configILj256ELj13ELNS0_17block_load_methodE3ELS4_3ELS4_3ELNS0_20block_scan_algorithmE0ELj4294967295EEENS1_25partition_config_selectorILNS1_17partition_subalgoE4EjNS0_10empty_typeEbEEZZNS1_14partition_implILS8_4ELb0ES6_15HIP_vector_typeIjLj2EENS0_17counting_iteratorIjlEEPS9_SG_NS0_5tupleIJPjSI_NS0_16reverse_iteratorISI_EEEEENSH_IJSG_SG_SG_EEES9_SI_JZNS1_25segmented_radix_sort_implINS0_14default_configELb1EPKaPaPKlPlN2at6native12_GLOBAL__N_18offset_tEEE10hipError_tPvRmT1_PNSt15iterator_traitsIS12_E10value_typeET2_T3_PNS13_IS18_E10value_typeET4_jRbjT5_S1E_jjP12ihipStream_tbEUljE_ZNSN_ISO_Lb1ESQ_SR_ST_SU_SY_EESZ_S10_S11_S12_S16_S17_S18_S1B_S1C_jS1D_jS1E_S1E_jjS1G_bEUljE0_EEESZ_S10_S11_S18_S1C_S1E_T6_T7_T9_mT8_S1G_bDpT10_ENKUlT_T0_E_clISt17integral_constantIbLb0EES1T_IbLb1EEEEDaS1P_S1Q_EUlS1P_E_NS1_11comp_targetILNS1_3genE8ELNS1_11target_archE1030ELNS1_3gpuE2ELNS1_3repE0EEENS1_30default_config_static_selectorELNS0_4arch9wavefront6targetE0EEEvS12_, .Lfunc_end257-_ZN7rocprim17ROCPRIM_400000_NS6detail17trampoline_kernelINS0_13select_configILj256ELj13ELNS0_17block_load_methodE3ELS4_3ELS4_3ELNS0_20block_scan_algorithmE0ELj4294967295EEENS1_25partition_config_selectorILNS1_17partition_subalgoE4EjNS0_10empty_typeEbEEZZNS1_14partition_implILS8_4ELb0ES6_15HIP_vector_typeIjLj2EENS0_17counting_iteratorIjlEEPS9_SG_NS0_5tupleIJPjSI_NS0_16reverse_iteratorISI_EEEEENSH_IJSG_SG_SG_EEES9_SI_JZNS1_25segmented_radix_sort_implINS0_14default_configELb1EPKaPaPKlPlN2at6native12_GLOBAL__N_18offset_tEEE10hipError_tPvRmT1_PNSt15iterator_traitsIS12_E10value_typeET2_T3_PNS13_IS18_E10value_typeET4_jRbjT5_S1E_jjP12ihipStream_tbEUljE_ZNSN_ISO_Lb1ESQ_SR_ST_SU_SY_EESZ_S10_S11_S12_S16_S17_S18_S1B_S1C_jS1D_jS1E_S1E_jjS1G_bEUljE0_EEESZ_S10_S11_S18_S1C_S1E_T6_T7_T9_mT8_S1G_bDpT10_ENKUlT_T0_E_clISt17integral_constantIbLb0EES1T_IbLb1EEEEDaS1P_S1Q_EUlS1P_E_NS1_11comp_targetILNS1_3genE8ELNS1_11target_archE1030ELNS1_3gpuE2ELNS1_3repE0EEENS1_30default_config_static_selectorELNS0_4arch9wavefront6targetE0EEEvS12_
                                        ; -- End function
	.set _ZN7rocprim17ROCPRIM_400000_NS6detail17trampoline_kernelINS0_13select_configILj256ELj13ELNS0_17block_load_methodE3ELS4_3ELS4_3ELNS0_20block_scan_algorithmE0ELj4294967295EEENS1_25partition_config_selectorILNS1_17partition_subalgoE4EjNS0_10empty_typeEbEEZZNS1_14partition_implILS8_4ELb0ES6_15HIP_vector_typeIjLj2EENS0_17counting_iteratorIjlEEPS9_SG_NS0_5tupleIJPjSI_NS0_16reverse_iteratorISI_EEEEENSH_IJSG_SG_SG_EEES9_SI_JZNS1_25segmented_radix_sort_implINS0_14default_configELb1EPKaPaPKlPlN2at6native12_GLOBAL__N_18offset_tEEE10hipError_tPvRmT1_PNSt15iterator_traitsIS12_E10value_typeET2_T3_PNS13_IS18_E10value_typeET4_jRbjT5_S1E_jjP12ihipStream_tbEUljE_ZNSN_ISO_Lb1ESQ_SR_ST_SU_SY_EESZ_S10_S11_S12_S16_S17_S18_S1B_S1C_jS1D_jS1E_S1E_jjS1G_bEUljE0_EEESZ_S10_S11_S18_S1C_S1E_T6_T7_T9_mT8_S1G_bDpT10_ENKUlT_T0_E_clISt17integral_constantIbLb0EES1T_IbLb1EEEEDaS1P_S1Q_EUlS1P_E_NS1_11comp_targetILNS1_3genE8ELNS1_11target_archE1030ELNS1_3gpuE2ELNS1_3repE0EEENS1_30default_config_static_selectorELNS0_4arch9wavefront6targetE0EEEvS12_.num_vgpr, 0
	.set _ZN7rocprim17ROCPRIM_400000_NS6detail17trampoline_kernelINS0_13select_configILj256ELj13ELNS0_17block_load_methodE3ELS4_3ELS4_3ELNS0_20block_scan_algorithmE0ELj4294967295EEENS1_25partition_config_selectorILNS1_17partition_subalgoE4EjNS0_10empty_typeEbEEZZNS1_14partition_implILS8_4ELb0ES6_15HIP_vector_typeIjLj2EENS0_17counting_iteratorIjlEEPS9_SG_NS0_5tupleIJPjSI_NS0_16reverse_iteratorISI_EEEEENSH_IJSG_SG_SG_EEES9_SI_JZNS1_25segmented_radix_sort_implINS0_14default_configELb1EPKaPaPKlPlN2at6native12_GLOBAL__N_18offset_tEEE10hipError_tPvRmT1_PNSt15iterator_traitsIS12_E10value_typeET2_T3_PNS13_IS18_E10value_typeET4_jRbjT5_S1E_jjP12ihipStream_tbEUljE_ZNSN_ISO_Lb1ESQ_SR_ST_SU_SY_EESZ_S10_S11_S12_S16_S17_S18_S1B_S1C_jS1D_jS1E_S1E_jjS1G_bEUljE0_EEESZ_S10_S11_S18_S1C_S1E_T6_T7_T9_mT8_S1G_bDpT10_ENKUlT_T0_E_clISt17integral_constantIbLb0EES1T_IbLb1EEEEDaS1P_S1Q_EUlS1P_E_NS1_11comp_targetILNS1_3genE8ELNS1_11target_archE1030ELNS1_3gpuE2ELNS1_3repE0EEENS1_30default_config_static_selectorELNS0_4arch9wavefront6targetE0EEEvS12_.num_agpr, 0
	.set _ZN7rocprim17ROCPRIM_400000_NS6detail17trampoline_kernelINS0_13select_configILj256ELj13ELNS0_17block_load_methodE3ELS4_3ELS4_3ELNS0_20block_scan_algorithmE0ELj4294967295EEENS1_25partition_config_selectorILNS1_17partition_subalgoE4EjNS0_10empty_typeEbEEZZNS1_14partition_implILS8_4ELb0ES6_15HIP_vector_typeIjLj2EENS0_17counting_iteratorIjlEEPS9_SG_NS0_5tupleIJPjSI_NS0_16reverse_iteratorISI_EEEEENSH_IJSG_SG_SG_EEES9_SI_JZNS1_25segmented_radix_sort_implINS0_14default_configELb1EPKaPaPKlPlN2at6native12_GLOBAL__N_18offset_tEEE10hipError_tPvRmT1_PNSt15iterator_traitsIS12_E10value_typeET2_T3_PNS13_IS18_E10value_typeET4_jRbjT5_S1E_jjP12ihipStream_tbEUljE_ZNSN_ISO_Lb1ESQ_SR_ST_SU_SY_EESZ_S10_S11_S12_S16_S17_S18_S1B_S1C_jS1D_jS1E_S1E_jjS1G_bEUljE0_EEESZ_S10_S11_S18_S1C_S1E_T6_T7_T9_mT8_S1G_bDpT10_ENKUlT_T0_E_clISt17integral_constantIbLb0EES1T_IbLb1EEEEDaS1P_S1Q_EUlS1P_E_NS1_11comp_targetILNS1_3genE8ELNS1_11target_archE1030ELNS1_3gpuE2ELNS1_3repE0EEENS1_30default_config_static_selectorELNS0_4arch9wavefront6targetE0EEEvS12_.numbered_sgpr, 0
	.set _ZN7rocprim17ROCPRIM_400000_NS6detail17trampoline_kernelINS0_13select_configILj256ELj13ELNS0_17block_load_methodE3ELS4_3ELS4_3ELNS0_20block_scan_algorithmE0ELj4294967295EEENS1_25partition_config_selectorILNS1_17partition_subalgoE4EjNS0_10empty_typeEbEEZZNS1_14partition_implILS8_4ELb0ES6_15HIP_vector_typeIjLj2EENS0_17counting_iteratorIjlEEPS9_SG_NS0_5tupleIJPjSI_NS0_16reverse_iteratorISI_EEEEENSH_IJSG_SG_SG_EEES9_SI_JZNS1_25segmented_radix_sort_implINS0_14default_configELb1EPKaPaPKlPlN2at6native12_GLOBAL__N_18offset_tEEE10hipError_tPvRmT1_PNSt15iterator_traitsIS12_E10value_typeET2_T3_PNS13_IS18_E10value_typeET4_jRbjT5_S1E_jjP12ihipStream_tbEUljE_ZNSN_ISO_Lb1ESQ_SR_ST_SU_SY_EESZ_S10_S11_S12_S16_S17_S18_S1B_S1C_jS1D_jS1E_S1E_jjS1G_bEUljE0_EEESZ_S10_S11_S18_S1C_S1E_T6_T7_T9_mT8_S1G_bDpT10_ENKUlT_T0_E_clISt17integral_constantIbLb0EES1T_IbLb1EEEEDaS1P_S1Q_EUlS1P_E_NS1_11comp_targetILNS1_3genE8ELNS1_11target_archE1030ELNS1_3gpuE2ELNS1_3repE0EEENS1_30default_config_static_selectorELNS0_4arch9wavefront6targetE0EEEvS12_.num_named_barrier, 0
	.set _ZN7rocprim17ROCPRIM_400000_NS6detail17trampoline_kernelINS0_13select_configILj256ELj13ELNS0_17block_load_methodE3ELS4_3ELS4_3ELNS0_20block_scan_algorithmE0ELj4294967295EEENS1_25partition_config_selectorILNS1_17partition_subalgoE4EjNS0_10empty_typeEbEEZZNS1_14partition_implILS8_4ELb0ES6_15HIP_vector_typeIjLj2EENS0_17counting_iteratorIjlEEPS9_SG_NS0_5tupleIJPjSI_NS0_16reverse_iteratorISI_EEEEENSH_IJSG_SG_SG_EEES9_SI_JZNS1_25segmented_radix_sort_implINS0_14default_configELb1EPKaPaPKlPlN2at6native12_GLOBAL__N_18offset_tEEE10hipError_tPvRmT1_PNSt15iterator_traitsIS12_E10value_typeET2_T3_PNS13_IS18_E10value_typeET4_jRbjT5_S1E_jjP12ihipStream_tbEUljE_ZNSN_ISO_Lb1ESQ_SR_ST_SU_SY_EESZ_S10_S11_S12_S16_S17_S18_S1B_S1C_jS1D_jS1E_S1E_jjS1G_bEUljE0_EEESZ_S10_S11_S18_S1C_S1E_T6_T7_T9_mT8_S1G_bDpT10_ENKUlT_T0_E_clISt17integral_constantIbLb0EES1T_IbLb1EEEEDaS1P_S1Q_EUlS1P_E_NS1_11comp_targetILNS1_3genE8ELNS1_11target_archE1030ELNS1_3gpuE2ELNS1_3repE0EEENS1_30default_config_static_selectorELNS0_4arch9wavefront6targetE0EEEvS12_.private_seg_size, 0
	.set _ZN7rocprim17ROCPRIM_400000_NS6detail17trampoline_kernelINS0_13select_configILj256ELj13ELNS0_17block_load_methodE3ELS4_3ELS4_3ELNS0_20block_scan_algorithmE0ELj4294967295EEENS1_25partition_config_selectorILNS1_17partition_subalgoE4EjNS0_10empty_typeEbEEZZNS1_14partition_implILS8_4ELb0ES6_15HIP_vector_typeIjLj2EENS0_17counting_iteratorIjlEEPS9_SG_NS0_5tupleIJPjSI_NS0_16reverse_iteratorISI_EEEEENSH_IJSG_SG_SG_EEES9_SI_JZNS1_25segmented_radix_sort_implINS0_14default_configELb1EPKaPaPKlPlN2at6native12_GLOBAL__N_18offset_tEEE10hipError_tPvRmT1_PNSt15iterator_traitsIS12_E10value_typeET2_T3_PNS13_IS18_E10value_typeET4_jRbjT5_S1E_jjP12ihipStream_tbEUljE_ZNSN_ISO_Lb1ESQ_SR_ST_SU_SY_EESZ_S10_S11_S12_S16_S17_S18_S1B_S1C_jS1D_jS1E_S1E_jjS1G_bEUljE0_EEESZ_S10_S11_S18_S1C_S1E_T6_T7_T9_mT8_S1G_bDpT10_ENKUlT_T0_E_clISt17integral_constantIbLb0EES1T_IbLb1EEEEDaS1P_S1Q_EUlS1P_E_NS1_11comp_targetILNS1_3genE8ELNS1_11target_archE1030ELNS1_3gpuE2ELNS1_3repE0EEENS1_30default_config_static_selectorELNS0_4arch9wavefront6targetE0EEEvS12_.uses_vcc, 0
	.set _ZN7rocprim17ROCPRIM_400000_NS6detail17trampoline_kernelINS0_13select_configILj256ELj13ELNS0_17block_load_methodE3ELS4_3ELS4_3ELNS0_20block_scan_algorithmE0ELj4294967295EEENS1_25partition_config_selectorILNS1_17partition_subalgoE4EjNS0_10empty_typeEbEEZZNS1_14partition_implILS8_4ELb0ES6_15HIP_vector_typeIjLj2EENS0_17counting_iteratorIjlEEPS9_SG_NS0_5tupleIJPjSI_NS0_16reverse_iteratorISI_EEEEENSH_IJSG_SG_SG_EEES9_SI_JZNS1_25segmented_radix_sort_implINS0_14default_configELb1EPKaPaPKlPlN2at6native12_GLOBAL__N_18offset_tEEE10hipError_tPvRmT1_PNSt15iterator_traitsIS12_E10value_typeET2_T3_PNS13_IS18_E10value_typeET4_jRbjT5_S1E_jjP12ihipStream_tbEUljE_ZNSN_ISO_Lb1ESQ_SR_ST_SU_SY_EESZ_S10_S11_S12_S16_S17_S18_S1B_S1C_jS1D_jS1E_S1E_jjS1G_bEUljE0_EEESZ_S10_S11_S18_S1C_S1E_T6_T7_T9_mT8_S1G_bDpT10_ENKUlT_T0_E_clISt17integral_constantIbLb0EES1T_IbLb1EEEEDaS1P_S1Q_EUlS1P_E_NS1_11comp_targetILNS1_3genE8ELNS1_11target_archE1030ELNS1_3gpuE2ELNS1_3repE0EEENS1_30default_config_static_selectorELNS0_4arch9wavefront6targetE0EEEvS12_.uses_flat_scratch, 0
	.set _ZN7rocprim17ROCPRIM_400000_NS6detail17trampoline_kernelINS0_13select_configILj256ELj13ELNS0_17block_load_methodE3ELS4_3ELS4_3ELNS0_20block_scan_algorithmE0ELj4294967295EEENS1_25partition_config_selectorILNS1_17partition_subalgoE4EjNS0_10empty_typeEbEEZZNS1_14partition_implILS8_4ELb0ES6_15HIP_vector_typeIjLj2EENS0_17counting_iteratorIjlEEPS9_SG_NS0_5tupleIJPjSI_NS0_16reverse_iteratorISI_EEEEENSH_IJSG_SG_SG_EEES9_SI_JZNS1_25segmented_radix_sort_implINS0_14default_configELb1EPKaPaPKlPlN2at6native12_GLOBAL__N_18offset_tEEE10hipError_tPvRmT1_PNSt15iterator_traitsIS12_E10value_typeET2_T3_PNS13_IS18_E10value_typeET4_jRbjT5_S1E_jjP12ihipStream_tbEUljE_ZNSN_ISO_Lb1ESQ_SR_ST_SU_SY_EESZ_S10_S11_S12_S16_S17_S18_S1B_S1C_jS1D_jS1E_S1E_jjS1G_bEUljE0_EEESZ_S10_S11_S18_S1C_S1E_T6_T7_T9_mT8_S1G_bDpT10_ENKUlT_T0_E_clISt17integral_constantIbLb0EES1T_IbLb1EEEEDaS1P_S1Q_EUlS1P_E_NS1_11comp_targetILNS1_3genE8ELNS1_11target_archE1030ELNS1_3gpuE2ELNS1_3repE0EEENS1_30default_config_static_selectorELNS0_4arch9wavefront6targetE0EEEvS12_.has_dyn_sized_stack, 0
	.set _ZN7rocprim17ROCPRIM_400000_NS6detail17trampoline_kernelINS0_13select_configILj256ELj13ELNS0_17block_load_methodE3ELS4_3ELS4_3ELNS0_20block_scan_algorithmE0ELj4294967295EEENS1_25partition_config_selectorILNS1_17partition_subalgoE4EjNS0_10empty_typeEbEEZZNS1_14partition_implILS8_4ELb0ES6_15HIP_vector_typeIjLj2EENS0_17counting_iteratorIjlEEPS9_SG_NS0_5tupleIJPjSI_NS0_16reverse_iteratorISI_EEEEENSH_IJSG_SG_SG_EEES9_SI_JZNS1_25segmented_radix_sort_implINS0_14default_configELb1EPKaPaPKlPlN2at6native12_GLOBAL__N_18offset_tEEE10hipError_tPvRmT1_PNSt15iterator_traitsIS12_E10value_typeET2_T3_PNS13_IS18_E10value_typeET4_jRbjT5_S1E_jjP12ihipStream_tbEUljE_ZNSN_ISO_Lb1ESQ_SR_ST_SU_SY_EESZ_S10_S11_S12_S16_S17_S18_S1B_S1C_jS1D_jS1E_S1E_jjS1G_bEUljE0_EEESZ_S10_S11_S18_S1C_S1E_T6_T7_T9_mT8_S1G_bDpT10_ENKUlT_T0_E_clISt17integral_constantIbLb0EES1T_IbLb1EEEEDaS1P_S1Q_EUlS1P_E_NS1_11comp_targetILNS1_3genE8ELNS1_11target_archE1030ELNS1_3gpuE2ELNS1_3repE0EEENS1_30default_config_static_selectorELNS0_4arch9wavefront6targetE0EEEvS12_.has_recursion, 0
	.set _ZN7rocprim17ROCPRIM_400000_NS6detail17trampoline_kernelINS0_13select_configILj256ELj13ELNS0_17block_load_methodE3ELS4_3ELS4_3ELNS0_20block_scan_algorithmE0ELj4294967295EEENS1_25partition_config_selectorILNS1_17partition_subalgoE4EjNS0_10empty_typeEbEEZZNS1_14partition_implILS8_4ELb0ES6_15HIP_vector_typeIjLj2EENS0_17counting_iteratorIjlEEPS9_SG_NS0_5tupleIJPjSI_NS0_16reverse_iteratorISI_EEEEENSH_IJSG_SG_SG_EEES9_SI_JZNS1_25segmented_radix_sort_implINS0_14default_configELb1EPKaPaPKlPlN2at6native12_GLOBAL__N_18offset_tEEE10hipError_tPvRmT1_PNSt15iterator_traitsIS12_E10value_typeET2_T3_PNS13_IS18_E10value_typeET4_jRbjT5_S1E_jjP12ihipStream_tbEUljE_ZNSN_ISO_Lb1ESQ_SR_ST_SU_SY_EESZ_S10_S11_S12_S16_S17_S18_S1B_S1C_jS1D_jS1E_S1E_jjS1G_bEUljE0_EEESZ_S10_S11_S18_S1C_S1E_T6_T7_T9_mT8_S1G_bDpT10_ENKUlT_T0_E_clISt17integral_constantIbLb0EES1T_IbLb1EEEEDaS1P_S1Q_EUlS1P_E_NS1_11comp_targetILNS1_3genE8ELNS1_11target_archE1030ELNS1_3gpuE2ELNS1_3repE0EEENS1_30default_config_static_selectorELNS0_4arch9wavefront6targetE0EEEvS12_.has_indirect_call, 0
	.section	.AMDGPU.csdata,"",@progbits
; Kernel info:
; codeLenInByte = 0
; TotalNumSgprs: 0
; NumVgprs: 0
; ScratchSize: 0
; MemoryBound: 0
; FloatMode: 240
; IeeeMode: 1
; LDSByteSize: 0 bytes/workgroup (compile time only)
; SGPRBlocks: 0
; VGPRBlocks: 0
; NumSGPRsForWavesPerEU: 1
; NumVGPRsForWavesPerEU: 1
; Occupancy: 16
; WaveLimiterHint : 0
; COMPUTE_PGM_RSRC2:SCRATCH_EN: 0
; COMPUTE_PGM_RSRC2:USER_SGPR: 2
; COMPUTE_PGM_RSRC2:TRAP_HANDLER: 0
; COMPUTE_PGM_RSRC2:TGID_X_EN: 1
; COMPUTE_PGM_RSRC2:TGID_Y_EN: 0
; COMPUTE_PGM_RSRC2:TGID_Z_EN: 0
; COMPUTE_PGM_RSRC2:TIDIG_COMP_CNT: 0
	.section	.text._ZN7rocprim17ROCPRIM_400000_NS6detail17trampoline_kernelINS0_13select_configILj256ELj13ELNS0_17block_load_methodE3ELS4_3ELS4_3ELNS0_20block_scan_algorithmE0ELj4294967295EEENS1_25partition_config_selectorILNS1_17partition_subalgoE3EjNS0_10empty_typeEbEEZZNS1_14partition_implILS8_3ELb0ES6_jNS0_17counting_iteratorIjlEEPS9_SE_NS0_5tupleIJPjSE_EEENSF_IJSE_SE_EEES9_SG_JZNS1_25segmented_radix_sort_implINS0_14default_configELb1EPKaPaPKlPlN2at6native12_GLOBAL__N_18offset_tEEE10hipError_tPvRmT1_PNSt15iterator_traitsISY_E10value_typeET2_T3_PNSZ_IS14_E10value_typeET4_jRbjT5_S1A_jjP12ihipStream_tbEUljE_EEESV_SW_SX_S14_S18_S1A_T6_T7_T9_mT8_S1C_bDpT10_ENKUlT_T0_E_clISt17integral_constantIbLb0EES1P_EEDaS1K_S1L_EUlS1K_E_NS1_11comp_targetILNS1_3genE0ELNS1_11target_archE4294967295ELNS1_3gpuE0ELNS1_3repE0EEENS1_30default_config_static_selectorELNS0_4arch9wavefront6targetE0EEEvSY_,"axG",@progbits,_ZN7rocprim17ROCPRIM_400000_NS6detail17trampoline_kernelINS0_13select_configILj256ELj13ELNS0_17block_load_methodE3ELS4_3ELS4_3ELNS0_20block_scan_algorithmE0ELj4294967295EEENS1_25partition_config_selectorILNS1_17partition_subalgoE3EjNS0_10empty_typeEbEEZZNS1_14partition_implILS8_3ELb0ES6_jNS0_17counting_iteratorIjlEEPS9_SE_NS0_5tupleIJPjSE_EEENSF_IJSE_SE_EEES9_SG_JZNS1_25segmented_radix_sort_implINS0_14default_configELb1EPKaPaPKlPlN2at6native12_GLOBAL__N_18offset_tEEE10hipError_tPvRmT1_PNSt15iterator_traitsISY_E10value_typeET2_T3_PNSZ_IS14_E10value_typeET4_jRbjT5_S1A_jjP12ihipStream_tbEUljE_EEESV_SW_SX_S14_S18_S1A_T6_T7_T9_mT8_S1C_bDpT10_ENKUlT_T0_E_clISt17integral_constantIbLb0EES1P_EEDaS1K_S1L_EUlS1K_E_NS1_11comp_targetILNS1_3genE0ELNS1_11target_archE4294967295ELNS1_3gpuE0ELNS1_3repE0EEENS1_30default_config_static_selectorELNS0_4arch9wavefront6targetE0EEEvSY_,comdat
	.globl	_ZN7rocprim17ROCPRIM_400000_NS6detail17trampoline_kernelINS0_13select_configILj256ELj13ELNS0_17block_load_methodE3ELS4_3ELS4_3ELNS0_20block_scan_algorithmE0ELj4294967295EEENS1_25partition_config_selectorILNS1_17partition_subalgoE3EjNS0_10empty_typeEbEEZZNS1_14partition_implILS8_3ELb0ES6_jNS0_17counting_iteratorIjlEEPS9_SE_NS0_5tupleIJPjSE_EEENSF_IJSE_SE_EEES9_SG_JZNS1_25segmented_radix_sort_implINS0_14default_configELb1EPKaPaPKlPlN2at6native12_GLOBAL__N_18offset_tEEE10hipError_tPvRmT1_PNSt15iterator_traitsISY_E10value_typeET2_T3_PNSZ_IS14_E10value_typeET4_jRbjT5_S1A_jjP12ihipStream_tbEUljE_EEESV_SW_SX_S14_S18_S1A_T6_T7_T9_mT8_S1C_bDpT10_ENKUlT_T0_E_clISt17integral_constantIbLb0EES1P_EEDaS1K_S1L_EUlS1K_E_NS1_11comp_targetILNS1_3genE0ELNS1_11target_archE4294967295ELNS1_3gpuE0ELNS1_3repE0EEENS1_30default_config_static_selectorELNS0_4arch9wavefront6targetE0EEEvSY_ ; -- Begin function _ZN7rocprim17ROCPRIM_400000_NS6detail17trampoline_kernelINS0_13select_configILj256ELj13ELNS0_17block_load_methodE3ELS4_3ELS4_3ELNS0_20block_scan_algorithmE0ELj4294967295EEENS1_25partition_config_selectorILNS1_17partition_subalgoE3EjNS0_10empty_typeEbEEZZNS1_14partition_implILS8_3ELb0ES6_jNS0_17counting_iteratorIjlEEPS9_SE_NS0_5tupleIJPjSE_EEENSF_IJSE_SE_EEES9_SG_JZNS1_25segmented_radix_sort_implINS0_14default_configELb1EPKaPaPKlPlN2at6native12_GLOBAL__N_18offset_tEEE10hipError_tPvRmT1_PNSt15iterator_traitsISY_E10value_typeET2_T3_PNSZ_IS14_E10value_typeET4_jRbjT5_S1A_jjP12ihipStream_tbEUljE_EEESV_SW_SX_S14_S18_S1A_T6_T7_T9_mT8_S1C_bDpT10_ENKUlT_T0_E_clISt17integral_constantIbLb0EES1P_EEDaS1K_S1L_EUlS1K_E_NS1_11comp_targetILNS1_3genE0ELNS1_11target_archE4294967295ELNS1_3gpuE0ELNS1_3repE0EEENS1_30default_config_static_selectorELNS0_4arch9wavefront6targetE0EEEvSY_
	.p2align	8
	.type	_ZN7rocprim17ROCPRIM_400000_NS6detail17trampoline_kernelINS0_13select_configILj256ELj13ELNS0_17block_load_methodE3ELS4_3ELS4_3ELNS0_20block_scan_algorithmE0ELj4294967295EEENS1_25partition_config_selectorILNS1_17partition_subalgoE3EjNS0_10empty_typeEbEEZZNS1_14partition_implILS8_3ELb0ES6_jNS0_17counting_iteratorIjlEEPS9_SE_NS0_5tupleIJPjSE_EEENSF_IJSE_SE_EEES9_SG_JZNS1_25segmented_radix_sort_implINS0_14default_configELb1EPKaPaPKlPlN2at6native12_GLOBAL__N_18offset_tEEE10hipError_tPvRmT1_PNSt15iterator_traitsISY_E10value_typeET2_T3_PNSZ_IS14_E10value_typeET4_jRbjT5_S1A_jjP12ihipStream_tbEUljE_EEESV_SW_SX_S14_S18_S1A_T6_T7_T9_mT8_S1C_bDpT10_ENKUlT_T0_E_clISt17integral_constantIbLb0EES1P_EEDaS1K_S1L_EUlS1K_E_NS1_11comp_targetILNS1_3genE0ELNS1_11target_archE4294967295ELNS1_3gpuE0ELNS1_3repE0EEENS1_30default_config_static_selectorELNS0_4arch9wavefront6targetE0EEEvSY_,@function
_ZN7rocprim17ROCPRIM_400000_NS6detail17trampoline_kernelINS0_13select_configILj256ELj13ELNS0_17block_load_methodE3ELS4_3ELS4_3ELNS0_20block_scan_algorithmE0ELj4294967295EEENS1_25partition_config_selectorILNS1_17partition_subalgoE3EjNS0_10empty_typeEbEEZZNS1_14partition_implILS8_3ELb0ES6_jNS0_17counting_iteratorIjlEEPS9_SE_NS0_5tupleIJPjSE_EEENSF_IJSE_SE_EEES9_SG_JZNS1_25segmented_radix_sort_implINS0_14default_configELb1EPKaPaPKlPlN2at6native12_GLOBAL__N_18offset_tEEE10hipError_tPvRmT1_PNSt15iterator_traitsISY_E10value_typeET2_T3_PNSZ_IS14_E10value_typeET4_jRbjT5_S1A_jjP12ihipStream_tbEUljE_EEESV_SW_SX_S14_S18_S1A_T6_T7_T9_mT8_S1C_bDpT10_ENKUlT_T0_E_clISt17integral_constantIbLb0EES1P_EEDaS1K_S1L_EUlS1K_E_NS1_11comp_targetILNS1_3genE0ELNS1_11target_archE4294967295ELNS1_3gpuE0ELNS1_3repE0EEENS1_30default_config_static_selectorELNS0_4arch9wavefront6targetE0EEEvSY_: ; @_ZN7rocprim17ROCPRIM_400000_NS6detail17trampoline_kernelINS0_13select_configILj256ELj13ELNS0_17block_load_methodE3ELS4_3ELS4_3ELNS0_20block_scan_algorithmE0ELj4294967295EEENS1_25partition_config_selectorILNS1_17partition_subalgoE3EjNS0_10empty_typeEbEEZZNS1_14partition_implILS8_3ELb0ES6_jNS0_17counting_iteratorIjlEEPS9_SE_NS0_5tupleIJPjSE_EEENSF_IJSE_SE_EEES9_SG_JZNS1_25segmented_radix_sort_implINS0_14default_configELb1EPKaPaPKlPlN2at6native12_GLOBAL__N_18offset_tEEE10hipError_tPvRmT1_PNSt15iterator_traitsISY_E10value_typeET2_T3_PNSZ_IS14_E10value_typeET4_jRbjT5_S1A_jjP12ihipStream_tbEUljE_EEESV_SW_SX_S14_S18_S1A_T6_T7_T9_mT8_S1C_bDpT10_ENKUlT_T0_E_clISt17integral_constantIbLb0EES1P_EEDaS1K_S1L_EUlS1K_E_NS1_11comp_targetILNS1_3genE0ELNS1_11target_archE4294967295ELNS1_3gpuE0ELNS1_3repE0EEENS1_30default_config_static_selectorELNS0_4arch9wavefront6targetE0EEEvSY_
; %bb.0:
	.section	.rodata,"a",@progbits
	.p2align	6, 0x0
	.amdhsa_kernel _ZN7rocprim17ROCPRIM_400000_NS6detail17trampoline_kernelINS0_13select_configILj256ELj13ELNS0_17block_load_methodE3ELS4_3ELS4_3ELNS0_20block_scan_algorithmE0ELj4294967295EEENS1_25partition_config_selectorILNS1_17partition_subalgoE3EjNS0_10empty_typeEbEEZZNS1_14partition_implILS8_3ELb0ES6_jNS0_17counting_iteratorIjlEEPS9_SE_NS0_5tupleIJPjSE_EEENSF_IJSE_SE_EEES9_SG_JZNS1_25segmented_radix_sort_implINS0_14default_configELb1EPKaPaPKlPlN2at6native12_GLOBAL__N_18offset_tEEE10hipError_tPvRmT1_PNSt15iterator_traitsISY_E10value_typeET2_T3_PNSZ_IS14_E10value_typeET4_jRbjT5_S1A_jjP12ihipStream_tbEUljE_EEESV_SW_SX_S14_S18_S1A_T6_T7_T9_mT8_S1C_bDpT10_ENKUlT_T0_E_clISt17integral_constantIbLb0EES1P_EEDaS1K_S1L_EUlS1K_E_NS1_11comp_targetILNS1_3genE0ELNS1_11target_archE4294967295ELNS1_3gpuE0ELNS1_3repE0EEENS1_30default_config_static_selectorELNS0_4arch9wavefront6targetE0EEEvSY_
		.amdhsa_group_segment_fixed_size 0
		.amdhsa_private_segment_fixed_size 0
		.amdhsa_kernarg_size 144
		.amdhsa_user_sgpr_count 2
		.amdhsa_user_sgpr_dispatch_ptr 0
		.amdhsa_user_sgpr_queue_ptr 0
		.amdhsa_user_sgpr_kernarg_segment_ptr 1
		.amdhsa_user_sgpr_dispatch_id 0
		.amdhsa_user_sgpr_private_segment_size 0
		.amdhsa_wavefront_size32 1
		.amdhsa_uses_dynamic_stack 0
		.amdhsa_enable_private_segment 0
		.amdhsa_system_sgpr_workgroup_id_x 1
		.amdhsa_system_sgpr_workgroup_id_y 0
		.amdhsa_system_sgpr_workgroup_id_z 0
		.amdhsa_system_sgpr_workgroup_info 0
		.amdhsa_system_vgpr_workitem_id 0
		.amdhsa_next_free_vgpr 1
		.amdhsa_next_free_sgpr 1
		.amdhsa_reserve_vcc 0
		.amdhsa_float_round_mode_32 0
		.amdhsa_float_round_mode_16_64 0
		.amdhsa_float_denorm_mode_32 3
		.amdhsa_float_denorm_mode_16_64 3
		.amdhsa_fp16_overflow 0
		.amdhsa_workgroup_processor_mode 1
		.amdhsa_memory_ordered 1
		.amdhsa_forward_progress 1
		.amdhsa_inst_pref_size 0
		.amdhsa_round_robin_scheduling 0
		.amdhsa_exception_fp_ieee_invalid_op 0
		.amdhsa_exception_fp_denorm_src 0
		.amdhsa_exception_fp_ieee_div_zero 0
		.amdhsa_exception_fp_ieee_overflow 0
		.amdhsa_exception_fp_ieee_underflow 0
		.amdhsa_exception_fp_ieee_inexact 0
		.amdhsa_exception_int_div_zero 0
	.end_amdhsa_kernel
	.section	.text._ZN7rocprim17ROCPRIM_400000_NS6detail17trampoline_kernelINS0_13select_configILj256ELj13ELNS0_17block_load_methodE3ELS4_3ELS4_3ELNS0_20block_scan_algorithmE0ELj4294967295EEENS1_25partition_config_selectorILNS1_17partition_subalgoE3EjNS0_10empty_typeEbEEZZNS1_14partition_implILS8_3ELb0ES6_jNS0_17counting_iteratorIjlEEPS9_SE_NS0_5tupleIJPjSE_EEENSF_IJSE_SE_EEES9_SG_JZNS1_25segmented_radix_sort_implINS0_14default_configELb1EPKaPaPKlPlN2at6native12_GLOBAL__N_18offset_tEEE10hipError_tPvRmT1_PNSt15iterator_traitsISY_E10value_typeET2_T3_PNSZ_IS14_E10value_typeET4_jRbjT5_S1A_jjP12ihipStream_tbEUljE_EEESV_SW_SX_S14_S18_S1A_T6_T7_T9_mT8_S1C_bDpT10_ENKUlT_T0_E_clISt17integral_constantIbLb0EES1P_EEDaS1K_S1L_EUlS1K_E_NS1_11comp_targetILNS1_3genE0ELNS1_11target_archE4294967295ELNS1_3gpuE0ELNS1_3repE0EEENS1_30default_config_static_selectorELNS0_4arch9wavefront6targetE0EEEvSY_,"axG",@progbits,_ZN7rocprim17ROCPRIM_400000_NS6detail17trampoline_kernelINS0_13select_configILj256ELj13ELNS0_17block_load_methodE3ELS4_3ELS4_3ELNS0_20block_scan_algorithmE0ELj4294967295EEENS1_25partition_config_selectorILNS1_17partition_subalgoE3EjNS0_10empty_typeEbEEZZNS1_14partition_implILS8_3ELb0ES6_jNS0_17counting_iteratorIjlEEPS9_SE_NS0_5tupleIJPjSE_EEENSF_IJSE_SE_EEES9_SG_JZNS1_25segmented_radix_sort_implINS0_14default_configELb1EPKaPaPKlPlN2at6native12_GLOBAL__N_18offset_tEEE10hipError_tPvRmT1_PNSt15iterator_traitsISY_E10value_typeET2_T3_PNSZ_IS14_E10value_typeET4_jRbjT5_S1A_jjP12ihipStream_tbEUljE_EEESV_SW_SX_S14_S18_S1A_T6_T7_T9_mT8_S1C_bDpT10_ENKUlT_T0_E_clISt17integral_constantIbLb0EES1P_EEDaS1K_S1L_EUlS1K_E_NS1_11comp_targetILNS1_3genE0ELNS1_11target_archE4294967295ELNS1_3gpuE0ELNS1_3repE0EEENS1_30default_config_static_selectorELNS0_4arch9wavefront6targetE0EEEvSY_,comdat
.Lfunc_end258:
	.size	_ZN7rocprim17ROCPRIM_400000_NS6detail17trampoline_kernelINS0_13select_configILj256ELj13ELNS0_17block_load_methodE3ELS4_3ELS4_3ELNS0_20block_scan_algorithmE0ELj4294967295EEENS1_25partition_config_selectorILNS1_17partition_subalgoE3EjNS0_10empty_typeEbEEZZNS1_14partition_implILS8_3ELb0ES6_jNS0_17counting_iteratorIjlEEPS9_SE_NS0_5tupleIJPjSE_EEENSF_IJSE_SE_EEES9_SG_JZNS1_25segmented_radix_sort_implINS0_14default_configELb1EPKaPaPKlPlN2at6native12_GLOBAL__N_18offset_tEEE10hipError_tPvRmT1_PNSt15iterator_traitsISY_E10value_typeET2_T3_PNSZ_IS14_E10value_typeET4_jRbjT5_S1A_jjP12ihipStream_tbEUljE_EEESV_SW_SX_S14_S18_S1A_T6_T7_T9_mT8_S1C_bDpT10_ENKUlT_T0_E_clISt17integral_constantIbLb0EES1P_EEDaS1K_S1L_EUlS1K_E_NS1_11comp_targetILNS1_3genE0ELNS1_11target_archE4294967295ELNS1_3gpuE0ELNS1_3repE0EEENS1_30default_config_static_selectorELNS0_4arch9wavefront6targetE0EEEvSY_, .Lfunc_end258-_ZN7rocprim17ROCPRIM_400000_NS6detail17trampoline_kernelINS0_13select_configILj256ELj13ELNS0_17block_load_methodE3ELS4_3ELS4_3ELNS0_20block_scan_algorithmE0ELj4294967295EEENS1_25partition_config_selectorILNS1_17partition_subalgoE3EjNS0_10empty_typeEbEEZZNS1_14partition_implILS8_3ELb0ES6_jNS0_17counting_iteratorIjlEEPS9_SE_NS0_5tupleIJPjSE_EEENSF_IJSE_SE_EEES9_SG_JZNS1_25segmented_radix_sort_implINS0_14default_configELb1EPKaPaPKlPlN2at6native12_GLOBAL__N_18offset_tEEE10hipError_tPvRmT1_PNSt15iterator_traitsISY_E10value_typeET2_T3_PNSZ_IS14_E10value_typeET4_jRbjT5_S1A_jjP12ihipStream_tbEUljE_EEESV_SW_SX_S14_S18_S1A_T6_T7_T9_mT8_S1C_bDpT10_ENKUlT_T0_E_clISt17integral_constantIbLb0EES1P_EEDaS1K_S1L_EUlS1K_E_NS1_11comp_targetILNS1_3genE0ELNS1_11target_archE4294967295ELNS1_3gpuE0ELNS1_3repE0EEENS1_30default_config_static_selectorELNS0_4arch9wavefront6targetE0EEEvSY_
                                        ; -- End function
	.set _ZN7rocprim17ROCPRIM_400000_NS6detail17trampoline_kernelINS0_13select_configILj256ELj13ELNS0_17block_load_methodE3ELS4_3ELS4_3ELNS0_20block_scan_algorithmE0ELj4294967295EEENS1_25partition_config_selectorILNS1_17partition_subalgoE3EjNS0_10empty_typeEbEEZZNS1_14partition_implILS8_3ELb0ES6_jNS0_17counting_iteratorIjlEEPS9_SE_NS0_5tupleIJPjSE_EEENSF_IJSE_SE_EEES9_SG_JZNS1_25segmented_radix_sort_implINS0_14default_configELb1EPKaPaPKlPlN2at6native12_GLOBAL__N_18offset_tEEE10hipError_tPvRmT1_PNSt15iterator_traitsISY_E10value_typeET2_T3_PNSZ_IS14_E10value_typeET4_jRbjT5_S1A_jjP12ihipStream_tbEUljE_EEESV_SW_SX_S14_S18_S1A_T6_T7_T9_mT8_S1C_bDpT10_ENKUlT_T0_E_clISt17integral_constantIbLb0EES1P_EEDaS1K_S1L_EUlS1K_E_NS1_11comp_targetILNS1_3genE0ELNS1_11target_archE4294967295ELNS1_3gpuE0ELNS1_3repE0EEENS1_30default_config_static_selectorELNS0_4arch9wavefront6targetE0EEEvSY_.num_vgpr, 0
	.set _ZN7rocprim17ROCPRIM_400000_NS6detail17trampoline_kernelINS0_13select_configILj256ELj13ELNS0_17block_load_methodE3ELS4_3ELS4_3ELNS0_20block_scan_algorithmE0ELj4294967295EEENS1_25partition_config_selectorILNS1_17partition_subalgoE3EjNS0_10empty_typeEbEEZZNS1_14partition_implILS8_3ELb0ES6_jNS0_17counting_iteratorIjlEEPS9_SE_NS0_5tupleIJPjSE_EEENSF_IJSE_SE_EEES9_SG_JZNS1_25segmented_radix_sort_implINS0_14default_configELb1EPKaPaPKlPlN2at6native12_GLOBAL__N_18offset_tEEE10hipError_tPvRmT1_PNSt15iterator_traitsISY_E10value_typeET2_T3_PNSZ_IS14_E10value_typeET4_jRbjT5_S1A_jjP12ihipStream_tbEUljE_EEESV_SW_SX_S14_S18_S1A_T6_T7_T9_mT8_S1C_bDpT10_ENKUlT_T0_E_clISt17integral_constantIbLb0EES1P_EEDaS1K_S1L_EUlS1K_E_NS1_11comp_targetILNS1_3genE0ELNS1_11target_archE4294967295ELNS1_3gpuE0ELNS1_3repE0EEENS1_30default_config_static_selectorELNS0_4arch9wavefront6targetE0EEEvSY_.num_agpr, 0
	.set _ZN7rocprim17ROCPRIM_400000_NS6detail17trampoline_kernelINS0_13select_configILj256ELj13ELNS0_17block_load_methodE3ELS4_3ELS4_3ELNS0_20block_scan_algorithmE0ELj4294967295EEENS1_25partition_config_selectorILNS1_17partition_subalgoE3EjNS0_10empty_typeEbEEZZNS1_14partition_implILS8_3ELb0ES6_jNS0_17counting_iteratorIjlEEPS9_SE_NS0_5tupleIJPjSE_EEENSF_IJSE_SE_EEES9_SG_JZNS1_25segmented_radix_sort_implINS0_14default_configELb1EPKaPaPKlPlN2at6native12_GLOBAL__N_18offset_tEEE10hipError_tPvRmT1_PNSt15iterator_traitsISY_E10value_typeET2_T3_PNSZ_IS14_E10value_typeET4_jRbjT5_S1A_jjP12ihipStream_tbEUljE_EEESV_SW_SX_S14_S18_S1A_T6_T7_T9_mT8_S1C_bDpT10_ENKUlT_T0_E_clISt17integral_constantIbLb0EES1P_EEDaS1K_S1L_EUlS1K_E_NS1_11comp_targetILNS1_3genE0ELNS1_11target_archE4294967295ELNS1_3gpuE0ELNS1_3repE0EEENS1_30default_config_static_selectorELNS0_4arch9wavefront6targetE0EEEvSY_.numbered_sgpr, 0
	.set _ZN7rocprim17ROCPRIM_400000_NS6detail17trampoline_kernelINS0_13select_configILj256ELj13ELNS0_17block_load_methodE3ELS4_3ELS4_3ELNS0_20block_scan_algorithmE0ELj4294967295EEENS1_25partition_config_selectorILNS1_17partition_subalgoE3EjNS0_10empty_typeEbEEZZNS1_14partition_implILS8_3ELb0ES6_jNS0_17counting_iteratorIjlEEPS9_SE_NS0_5tupleIJPjSE_EEENSF_IJSE_SE_EEES9_SG_JZNS1_25segmented_radix_sort_implINS0_14default_configELb1EPKaPaPKlPlN2at6native12_GLOBAL__N_18offset_tEEE10hipError_tPvRmT1_PNSt15iterator_traitsISY_E10value_typeET2_T3_PNSZ_IS14_E10value_typeET4_jRbjT5_S1A_jjP12ihipStream_tbEUljE_EEESV_SW_SX_S14_S18_S1A_T6_T7_T9_mT8_S1C_bDpT10_ENKUlT_T0_E_clISt17integral_constantIbLb0EES1P_EEDaS1K_S1L_EUlS1K_E_NS1_11comp_targetILNS1_3genE0ELNS1_11target_archE4294967295ELNS1_3gpuE0ELNS1_3repE0EEENS1_30default_config_static_selectorELNS0_4arch9wavefront6targetE0EEEvSY_.num_named_barrier, 0
	.set _ZN7rocprim17ROCPRIM_400000_NS6detail17trampoline_kernelINS0_13select_configILj256ELj13ELNS0_17block_load_methodE3ELS4_3ELS4_3ELNS0_20block_scan_algorithmE0ELj4294967295EEENS1_25partition_config_selectorILNS1_17partition_subalgoE3EjNS0_10empty_typeEbEEZZNS1_14partition_implILS8_3ELb0ES6_jNS0_17counting_iteratorIjlEEPS9_SE_NS0_5tupleIJPjSE_EEENSF_IJSE_SE_EEES9_SG_JZNS1_25segmented_radix_sort_implINS0_14default_configELb1EPKaPaPKlPlN2at6native12_GLOBAL__N_18offset_tEEE10hipError_tPvRmT1_PNSt15iterator_traitsISY_E10value_typeET2_T3_PNSZ_IS14_E10value_typeET4_jRbjT5_S1A_jjP12ihipStream_tbEUljE_EEESV_SW_SX_S14_S18_S1A_T6_T7_T9_mT8_S1C_bDpT10_ENKUlT_T0_E_clISt17integral_constantIbLb0EES1P_EEDaS1K_S1L_EUlS1K_E_NS1_11comp_targetILNS1_3genE0ELNS1_11target_archE4294967295ELNS1_3gpuE0ELNS1_3repE0EEENS1_30default_config_static_selectorELNS0_4arch9wavefront6targetE0EEEvSY_.private_seg_size, 0
	.set _ZN7rocprim17ROCPRIM_400000_NS6detail17trampoline_kernelINS0_13select_configILj256ELj13ELNS0_17block_load_methodE3ELS4_3ELS4_3ELNS0_20block_scan_algorithmE0ELj4294967295EEENS1_25partition_config_selectorILNS1_17partition_subalgoE3EjNS0_10empty_typeEbEEZZNS1_14partition_implILS8_3ELb0ES6_jNS0_17counting_iteratorIjlEEPS9_SE_NS0_5tupleIJPjSE_EEENSF_IJSE_SE_EEES9_SG_JZNS1_25segmented_radix_sort_implINS0_14default_configELb1EPKaPaPKlPlN2at6native12_GLOBAL__N_18offset_tEEE10hipError_tPvRmT1_PNSt15iterator_traitsISY_E10value_typeET2_T3_PNSZ_IS14_E10value_typeET4_jRbjT5_S1A_jjP12ihipStream_tbEUljE_EEESV_SW_SX_S14_S18_S1A_T6_T7_T9_mT8_S1C_bDpT10_ENKUlT_T0_E_clISt17integral_constantIbLb0EES1P_EEDaS1K_S1L_EUlS1K_E_NS1_11comp_targetILNS1_3genE0ELNS1_11target_archE4294967295ELNS1_3gpuE0ELNS1_3repE0EEENS1_30default_config_static_selectorELNS0_4arch9wavefront6targetE0EEEvSY_.uses_vcc, 0
	.set _ZN7rocprim17ROCPRIM_400000_NS6detail17trampoline_kernelINS0_13select_configILj256ELj13ELNS0_17block_load_methodE3ELS4_3ELS4_3ELNS0_20block_scan_algorithmE0ELj4294967295EEENS1_25partition_config_selectorILNS1_17partition_subalgoE3EjNS0_10empty_typeEbEEZZNS1_14partition_implILS8_3ELb0ES6_jNS0_17counting_iteratorIjlEEPS9_SE_NS0_5tupleIJPjSE_EEENSF_IJSE_SE_EEES9_SG_JZNS1_25segmented_radix_sort_implINS0_14default_configELb1EPKaPaPKlPlN2at6native12_GLOBAL__N_18offset_tEEE10hipError_tPvRmT1_PNSt15iterator_traitsISY_E10value_typeET2_T3_PNSZ_IS14_E10value_typeET4_jRbjT5_S1A_jjP12ihipStream_tbEUljE_EEESV_SW_SX_S14_S18_S1A_T6_T7_T9_mT8_S1C_bDpT10_ENKUlT_T0_E_clISt17integral_constantIbLb0EES1P_EEDaS1K_S1L_EUlS1K_E_NS1_11comp_targetILNS1_3genE0ELNS1_11target_archE4294967295ELNS1_3gpuE0ELNS1_3repE0EEENS1_30default_config_static_selectorELNS0_4arch9wavefront6targetE0EEEvSY_.uses_flat_scratch, 0
	.set _ZN7rocprim17ROCPRIM_400000_NS6detail17trampoline_kernelINS0_13select_configILj256ELj13ELNS0_17block_load_methodE3ELS4_3ELS4_3ELNS0_20block_scan_algorithmE0ELj4294967295EEENS1_25partition_config_selectorILNS1_17partition_subalgoE3EjNS0_10empty_typeEbEEZZNS1_14partition_implILS8_3ELb0ES6_jNS0_17counting_iteratorIjlEEPS9_SE_NS0_5tupleIJPjSE_EEENSF_IJSE_SE_EEES9_SG_JZNS1_25segmented_radix_sort_implINS0_14default_configELb1EPKaPaPKlPlN2at6native12_GLOBAL__N_18offset_tEEE10hipError_tPvRmT1_PNSt15iterator_traitsISY_E10value_typeET2_T3_PNSZ_IS14_E10value_typeET4_jRbjT5_S1A_jjP12ihipStream_tbEUljE_EEESV_SW_SX_S14_S18_S1A_T6_T7_T9_mT8_S1C_bDpT10_ENKUlT_T0_E_clISt17integral_constantIbLb0EES1P_EEDaS1K_S1L_EUlS1K_E_NS1_11comp_targetILNS1_3genE0ELNS1_11target_archE4294967295ELNS1_3gpuE0ELNS1_3repE0EEENS1_30default_config_static_selectorELNS0_4arch9wavefront6targetE0EEEvSY_.has_dyn_sized_stack, 0
	.set _ZN7rocprim17ROCPRIM_400000_NS6detail17trampoline_kernelINS0_13select_configILj256ELj13ELNS0_17block_load_methodE3ELS4_3ELS4_3ELNS0_20block_scan_algorithmE0ELj4294967295EEENS1_25partition_config_selectorILNS1_17partition_subalgoE3EjNS0_10empty_typeEbEEZZNS1_14partition_implILS8_3ELb0ES6_jNS0_17counting_iteratorIjlEEPS9_SE_NS0_5tupleIJPjSE_EEENSF_IJSE_SE_EEES9_SG_JZNS1_25segmented_radix_sort_implINS0_14default_configELb1EPKaPaPKlPlN2at6native12_GLOBAL__N_18offset_tEEE10hipError_tPvRmT1_PNSt15iterator_traitsISY_E10value_typeET2_T3_PNSZ_IS14_E10value_typeET4_jRbjT5_S1A_jjP12ihipStream_tbEUljE_EEESV_SW_SX_S14_S18_S1A_T6_T7_T9_mT8_S1C_bDpT10_ENKUlT_T0_E_clISt17integral_constantIbLb0EES1P_EEDaS1K_S1L_EUlS1K_E_NS1_11comp_targetILNS1_3genE0ELNS1_11target_archE4294967295ELNS1_3gpuE0ELNS1_3repE0EEENS1_30default_config_static_selectorELNS0_4arch9wavefront6targetE0EEEvSY_.has_recursion, 0
	.set _ZN7rocprim17ROCPRIM_400000_NS6detail17trampoline_kernelINS0_13select_configILj256ELj13ELNS0_17block_load_methodE3ELS4_3ELS4_3ELNS0_20block_scan_algorithmE0ELj4294967295EEENS1_25partition_config_selectorILNS1_17partition_subalgoE3EjNS0_10empty_typeEbEEZZNS1_14partition_implILS8_3ELb0ES6_jNS0_17counting_iteratorIjlEEPS9_SE_NS0_5tupleIJPjSE_EEENSF_IJSE_SE_EEES9_SG_JZNS1_25segmented_radix_sort_implINS0_14default_configELb1EPKaPaPKlPlN2at6native12_GLOBAL__N_18offset_tEEE10hipError_tPvRmT1_PNSt15iterator_traitsISY_E10value_typeET2_T3_PNSZ_IS14_E10value_typeET4_jRbjT5_S1A_jjP12ihipStream_tbEUljE_EEESV_SW_SX_S14_S18_S1A_T6_T7_T9_mT8_S1C_bDpT10_ENKUlT_T0_E_clISt17integral_constantIbLb0EES1P_EEDaS1K_S1L_EUlS1K_E_NS1_11comp_targetILNS1_3genE0ELNS1_11target_archE4294967295ELNS1_3gpuE0ELNS1_3repE0EEENS1_30default_config_static_selectorELNS0_4arch9wavefront6targetE0EEEvSY_.has_indirect_call, 0
	.section	.AMDGPU.csdata,"",@progbits
; Kernel info:
; codeLenInByte = 0
; TotalNumSgprs: 0
; NumVgprs: 0
; ScratchSize: 0
; MemoryBound: 0
; FloatMode: 240
; IeeeMode: 1
; LDSByteSize: 0 bytes/workgroup (compile time only)
; SGPRBlocks: 0
; VGPRBlocks: 0
; NumSGPRsForWavesPerEU: 1
; NumVGPRsForWavesPerEU: 1
; Occupancy: 16
; WaveLimiterHint : 0
; COMPUTE_PGM_RSRC2:SCRATCH_EN: 0
; COMPUTE_PGM_RSRC2:USER_SGPR: 2
; COMPUTE_PGM_RSRC2:TRAP_HANDLER: 0
; COMPUTE_PGM_RSRC2:TGID_X_EN: 1
; COMPUTE_PGM_RSRC2:TGID_Y_EN: 0
; COMPUTE_PGM_RSRC2:TGID_Z_EN: 0
; COMPUTE_PGM_RSRC2:TIDIG_COMP_CNT: 0
	.section	.text._ZN7rocprim17ROCPRIM_400000_NS6detail17trampoline_kernelINS0_13select_configILj256ELj13ELNS0_17block_load_methodE3ELS4_3ELS4_3ELNS0_20block_scan_algorithmE0ELj4294967295EEENS1_25partition_config_selectorILNS1_17partition_subalgoE3EjNS0_10empty_typeEbEEZZNS1_14partition_implILS8_3ELb0ES6_jNS0_17counting_iteratorIjlEEPS9_SE_NS0_5tupleIJPjSE_EEENSF_IJSE_SE_EEES9_SG_JZNS1_25segmented_radix_sort_implINS0_14default_configELb1EPKaPaPKlPlN2at6native12_GLOBAL__N_18offset_tEEE10hipError_tPvRmT1_PNSt15iterator_traitsISY_E10value_typeET2_T3_PNSZ_IS14_E10value_typeET4_jRbjT5_S1A_jjP12ihipStream_tbEUljE_EEESV_SW_SX_S14_S18_S1A_T6_T7_T9_mT8_S1C_bDpT10_ENKUlT_T0_E_clISt17integral_constantIbLb0EES1P_EEDaS1K_S1L_EUlS1K_E_NS1_11comp_targetILNS1_3genE5ELNS1_11target_archE942ELNS1_3gpuE9ELNS1_3repE0EEENS1_30default_config_static_selectorELNS0_4arch9wavefront6targetE0EEEvSY_,"axG",@progbits,_ZN7rocprim17ROCPRIM_400000_NS6detail17trampoline_kernelINS0_13select_configILj256ELj13ELNS0_17block_load_methodE3ELS4_3ELS4_3ELNS0_20block_scan_algorithmE0ELj4294967295EEENS1_25partition_config_selectorILNS1_17partition_subalgoE3EjNS0_10empty_typeEbEEZZNS1_14partition_implILS8_3ELb0ES6_jNS0_17counting_iteratorIjlEEPS9_SE_NS0_5tupleIJPjSE_EEENSF_IJSE_SE_EEES9_SG_JZNS1_25segmented_radix_sort_implINS0_14default_configELb1EPKaPaPKlPlN2at6native12_GLOBAL__N_18offset_tEEE10hipError_tPvRmT1_PNSt15iterator_traitsISY_E10value_typeET2_T3_PNSZ_IS14_E10value_typeET4_jRbjT5_S1A_jjP12ihipStream_tbEUljE_EEESV_SW_SX_S14_S18_S1A_T6_T7_T9_mT8_S1C_bDpT10_ENKUlT_T0_E_clISt17integral_constantIbLb0EES1P_EEDaS1K_S1L_EUlS1K_E_NS1_11comp_targetILNS1_3genE5ELNS1_11target_archE942ELNS1_3gpuE9ELNS1_3repE0EEENS1_30default_config_static_selectorELNS0_4arch9wavefront6targetE0EEEvSY_,comdat
	.globl	_ZN7rocprim17ROCPRIM_400000_NS6detail17trampoline_kernelINS0_13select_configILj256ELj13ELNS0_17block_load_methodE3ELS4_3ELS4_3ELNS0_20block_scan_algorithmE0ELj4294967295EEENS1_25partition_config_selectorILNS1_17partition_subalgoE3EjNS0_10empty_typeEbEEZZNS1_14partition_implILS8_3ELb0ES6_jNS0_17counting_iteratorIjlEEPS9_SE_NS0_5tupleIJPjSE_EEENSF_IJSE_SE_EEES9_SG_JZNS1_25segmented_radix_sort_implINS0_14default_configELb1EPKaPaPKlPlN2at6native12_GLOBAL__N_18offset_tEEE10hipError_tPvRmT1_PNSt15iterator_traitsISY_E10value_typeET2_T3_PNSZ_IS14_E10value_typeET4_jRbjT5_S1A_jjP12ihipStream_tbEUljE_EEESV_SW_SX_S14_S18_S1A_T6_T7_T9_mT8_S1C_bDpT10_ENKUlT_T0_E_clISt17integral_constantIbLb0EES1P_EEDaS1K_S1L_EUlS1K_E_NS1_11comp_targetILNS1_3genE5ELNS1_11target_archE942ELNS1_3gpuE9ELNS1_3repE0EEENS1_30default_config_static_selectorELNS0_4arch9wavefront6targetE0EEEvSY_ ; -- Begin function _ZN7rocprim17ROCPRIM_400000_NS6detail17trampoline_kernelINS0_13select_configILj256ELj13ELNS0_17block_load_methodE3ELS4_3ELS4_3ELNS0_20block_scan_algorithmE0ELj4294967295EEENS1_25partition_config_selectorILNS1_17partition_subalgoE3EjNS0_10empty_typeEbEEZZNS1_14partition_implILS8_3ELb0ES6_jNS0_17counting_iteratorIjlEEPS9_SE_NS0_5tupleIJPjSE_EEENSF_IJSE_SE_EEES9_SG_JZNS1_25segmented_radix_sort_implINS0_14default_configELb1EPKaPaPKlPlN2at6native12_GLOBAL__N_18offset_tEEE10hipError_tPvRmT1_PNSt15iterator_traitsISY_E10value_typeET2_T3_PNSZ_IS14_E10value_typeET4_jRbjT5_S1A_jjP12ihipStream_tbEUljE_EEESV_SW_SX_S14_S18_S1A_T6_T7_T9_mT8_S1C_bDpT10_ENKUlT_T0_E_clISt17integral_constantIbLb0EES1P_EEDaS1K_S1L_EUlS1K_E_NS1_11comp_targetILNS1_3genE5ELNS1_11target_archE942ELNS1_3gpuE9ELNS1_3repE0EEENS1_30default_config_static_selectorELNS0_4arch9wavefront6targetE0EEEvSY_
	.p2align	8
	.type	_ZN7rocprim17ROCPRIM_400000_NS6detail17trampoline_kernelINS0_13select_configILj256ELj13ELNS0_17block_load_methodE3ELS4_3ELS4_3ELNS0_20block_scan_algorithmE0ELj4294967295EEENS1_25partition_config_selectorILNS1_17partition_subalgoE3EjNS0_10empty_typeEbEEZZNS1_14partition_implILS8_3ELb0ES6_jNS0_17counting_iteratorIjlEEPS9_SE_NS0_5tupleIJPjSE_EEENSF_IJSE_SE_EEES9_SG_JZNS1_25segmented_radix_sort_implINS0_14default_configELb1EPKaPaPKlPlN2at6native12_GLOBAL__N_18offset_tEEE10hipError_tPvRmT1_PNSt15iterator_traitsISY_E10value_typeET2_T3_PNSZ_IS14_E10value_typeET4_jRbjT5_S1A_jjP12ihipStream_tbEUljE_EEESV_SW_SX_S14_S18_S1A_T6_T7_T9_mT8_S1C_bDpT10_ENKUlT_T0_E_clISt17integral_constantIbLb0EES1P_EEDaS1K_S1L_EUlS1K_E_NS1_11comp_targetILNS1_3genE5ELNS1_11target_archE942ELNS1_3gpuE9ELNS1_3repE0EEENS1_30default_config_static_selectorELNS0_4arch9wavefront6targetE0EEEvSY_,@function
_ZN7rocprim17ROCPRIM_400000_NS6detail17trampoline_kernelINS0_13select_configILj256ELj13ELNS0_17block_load_methodE3ELS4_3ELS4_3ELNS0_20block_scan_algorithmE0ELj4294967295EEENS1_25partition_config_selectorILNS1_17partition_subalgoE3EjNS0_10empty_typeEbEEZZNS1_14partition_implILS8_3ELb0ES6_jNS0_17counting_iteratorIjlEEPS9_SE_NS0_5tupleIJPjSE_EEENSF_IJSE_SE_EEES9_SG_JZNS1_25segmented_radix_sort_implINS0_14default_configELb1EPKaPaPKlPlN2at6native12_GLOBAL__N_18offset_tEEE10hipError_tPvRmT1_PNSt15iterator_traitsISY_E10value_typeET2_T3_PNSZ_IS14_E10value_typeET4_jRbjT5_S1A_jjP12ihipStream_tbEUljE_EEESV_SW_SX_S14_S18_S1A_T6_T7_T9_mT8_S1C_bDpT10_ENKUlT_T0_E_clISt17integral_constantIbLb0EES1P_EEDaS1K_S1L_EUlS1K_E_NS1_11comp_targetILNS1_3genE5ELNS1_11target_archE942ELNS1_3gpuE9ELNS1_3repE0EEENS1_30default_config_static_selectorELNS0_4arch9wavefront6targetE0EEEvSY_: ; @_ZN7rocprim17ROCPRIM_400000_NS6detail17trampoline_kernelINS0_13select_configILj256ELj13ELNS0_17block_load_methodE3ELS4_3ELS4_3ELNS0_20block_scan_algorithmE0ELj4294967295EEENS1_25partition_config_selectorILNS1_17partition_subalgoE3EjNS0_10empty_typeEbEEZZNS1_14partition_implILS8_3ELb0ES6_jNS0_17counting_iteratorIjlEEPS9_SE_NS0_5tupleIJPjSE_EEENSF_IJSE_SE_EEES9_SG_JZNS1_25segmented_radix_sort_implINS0_14default_configELb1EPKaPaPKlPlN2at6native12_GLOBAL__N_18offset_tEEE10hipError_tPvRmT1_PNSt15iterator_traitsISY_E10value_typeET2_T3_PNSZ_IS14_E10value_typeET4_jRbjT5_S1A_jjP12ihipStream_tbEUljE_EEESV_SW_SX_S14_S18_S1A_T6_T7_T9_mT8_S1C_bDpT10_ENKUlT_T0_E_clISt17integral_constantIbLb0EES1P_EEDaS1K_S1L_EUlS1K_E_NS1_11comp_targetILNS1_3genE5ELNS1_11target_archE942ELNS1_3gpuE9ELNS1_3repE0EEENS1_30default_config_static_selectorELNS0_4arch9wavefront6targetE0EEEvSY_
; %bb.0:
	.section	.rodata,"a",@progbits
	.p2align	6, 0x0
	.amdhsa_kernel _ZN7rocprim17ROCPRIM_400000_NS6detail17trampoline_kernelINS0_13select_configILj256ELj13ELNS0_17block_load_methodE3ELS4_3ELS4_3ELNS0_20block_scan_algorithmE0ELj4294967295EEENS1_25partition_config_selectorILNS1_17partition_subalgoE3EjNS0_10empty_typeEbEEZZNS1_14partition_implILS8_3ELb0ES6_jNS0_17counting_iteratorIjlEEPS9_SE_NS0_5tupleIJPjSE_EEENSF_IJSE_SE_EEES9_SG_JZNS1_25segmented_radix_sort_implINS0_14default_configELb1EPKaPaPKlPlN2at6native12_GLOBAL__N_18offset_tEEE10hipError_tPvRmT1_PNSt15iterator_traitsISY_E10value_typeET2_T3_PNSZ_IS14_E10value_typeET4_jRbjT5_S1A_jjP12ihipStream_tbEUljE_EEESV_SW_SX_S14_S18_S1A_T6_T7_T9_mT8_S1C_bDpT10_ENKUlT_T0_E_clISt17integral_constantIbLb0EES1P_EEDaS1K_S1L_EUlS1K_E_NS1_11comp_targetILNS1_3genE5ELNS1_11target_archE942ELNS1_3gpuE9ELNS1_3repE0EEENS1_30default_config_static_selectorELNS0_4arch9wavefront6targetE0EEEvSY_
		.amdhsa_group_segment_fixed_size 0
		.amdhsa_private_segment_fixed_size 0
		.amdhsa_kernarg_size 144
		.amdhsa_user_sgpr_count 2
		.amdhsa_user_sgpr_dispatch_ptr 0
		.amdhsa_user_sgpr_queue_ptr 0
		.amdhsa_user_sgpr_kernarg_segment_ptr 1
		.amdhsa_user_sgpr_dispatch_id 0
		.amdhsa_user_sgpr_private_segment_size 0
		.amdhsa_wavefront_size32 1
		.amdhsa_uses_dynamic_stack 0
		.amdhsa_enable_private_segment 0
		.amdhsa_system_sgpr_workgroup_id_x 1
		.amdhsa_system_sgpr_workgroup_id_y 0
		.amdhsa_system_sgpr_workgroup_id_z 0
		.amdhsa_system_sgpr_workgroup_info 0
		.amdhsa_system_vgpr_workitem_id 0
		.amdhsa_next_free_vgpr 1
		.amdhsa_next_free_sgpr 1
		.amdhsa_reserve_vcc 0
		.amdhsa_float_round_mode_32 0
		.amdhsa_float_round_mode_16_64 0
		.amdhsa_float_denorm_mode_32 3
		.amdhsa_float_denorm_mode_16_64 3
		.amdhsa_fp16_overflow 0
		.amdhsa_workgroup_processor_mode 1
		.amdhsa_memory_ordered 1
		.amdhsa_forward_progress 1
		.amdhsa_inst_pref_size 0
		.amdhsa_round_robin_scheduling 0
		.amdhsa_exception_fp_ieee_invalid_op 0
		.amdhsa_exception_fp_denorm_src 0
		.amdhsa_exception_fp_ieee_div_zero 0
		.amdhsa_exception_fp_ieee_overflow 0
		.amdhsa_exception_fp_ieee_underflow 0
		.amdhsa_exception_fp_ieee_inexact 0
		.amdhsa_exception_int_div_zero 0
	.end_amdhsa_kernel
	.section	.text._ZN7rocprim17ROCPRIM_400000_NS6detail17trampoline_kernelINS0_13select_configILj256ELj13ELNS0_17block_load_methodE3ELS4_3ELS4_3ELNS0_20block_scan_algorithmE0ELj4294967295EEENS1_25partition_config_selectorILNS1_17partition_subalgoE3EjNS0_10empty_typeEbEEZZNS1_14partition_implILS8_3ELb0ES6_jNS0_17counting_iteratorIjlEEPS9_SE_NS0_5tupleIJPjSE_EEENSF_IJSE_SE_EEES9_SG_JZNS1_25segmented_radix_sort_implINS0_14default_configELb1EPKaPaPKlPlN2at6native12_GLOBAL__N_18offset_tEEE10hipError_tPvRmT1_PNSt15iterator_traitsISY_E10value_typeET2_T3_PNSZ_IS14_E10value_typeET4_jRbjT5_S1A_jjP12ihipStream_tbEUljE_EEESV_SW_SX_S14_S18_S1A_T6_T7_T9_mT8_S1C_bDpT10_ENKUlT_T0_E_clISt17integral_constantIbLb0EES1P_EEDaS1K_S1L_EUlS1K_E_NS1_11comp_targetILNS1_3genE5ELNS1_11target_archE942ELNS1_3gpuE9ELNS1_3repE0EEENS1_30default_config_static_selectorELNS0_4arch9wavefront6targetE0EEEvSY_,"axG",@progbits,_ZN7rocprim17ROCPRIM_400000_NS6detail17trampoline_kernelINS0_13select_configILj256ELj13ELNS0_17block_load_methodE3ELS4_3ELS4_3ELNS0_20block_scan_algorithmE0ELj4294967295EEENS1_25partition_config_selectorILNS1_17partition_subalgoE3EjNS0_10empty_typeEbEEZZNS1_14partition_implILS8_3ELb0ES6_jNS0_17counting_iteratorIjlEEPS9_SE_NS0_5tupleIJPjSE_EEENSF_IJSE_SE_EEES9_SG_JZNS1_25segmented_radix_sort_implINS0_14default_configELb1EPKaPaPKlPlN2at6native12_GLOBAL__N_18offset_tEEE10hipError_tPvRmT1_PNSt15iterator_traitsISY_E10value_typeET2_T3_PNSZ_IS14_E10value_typeET4_jRbjT5_S1A_jjP12ihipStream_tbEUljE_EEESV_SW_SX_S14_S18_S1A_T6_T7_T9_mT8_S1C_bDpT10_ENKUlT_T0_E_clISt17integral_constantIbLb0EES1P_EEDaS1K_S1L_EUlS1K_E_NS1_11comp_targetILNS1_3genE5ELNS1_11target_archE942ELNS1_3gpuE9ELNS1_3repE0EEENS1_30default_config_static_selectorELNS0_4arch9wavefront6targetE0EEEvSY_,comdat
.Lfunc_end259:
	.size	_ZN7rocprim17ROCPRIM_400000_NS6detail17trampoline_kernelINS0_13select_configILj256ELj13ELNS0_17block_load_methodE3ELS4_3ELS4_3ELNS0_20block_scan_algorithmE0ELj4294967295EEENS1_25partition_config_selectorILNS1_17partition_subalgoE3EjNS0_10empty_typeEbEEZZNS1_14partition_implILS8_3ELb0ES6_jNS0_17counting_iteratorIjlEEPS9_SE_NS0_5tupleIJPjSE_EEENSF_IJSE_SE_EEES9_SG_JZNS1_25segmented_radix_sort_implINS0_14default_configELb1EPKaPaPKlPlN2at6native12_GLOBAL__N_18offset_tEEE10hipError_tPvRmT1_PNSt15iterator_traitsISY_E10value_typeET2_T3_PNSZ_IS14_E10value_typeET4_jRbjT5_S1A_jjP12ihipStream_tbEUljE_EEESV_SW_SX_S14_S18_S1A_T6_T7_T9_mT8_S1C_bDpT10_ENKUlT_T0_E_clISt17integral_constantIbLb0EES1P_EEDaS1K_S1L_EUlS1K_E_NS1_11comp_targetILNS1_3genE5ELNS1_11target_archE942ELNS1_3gpuE9ELNS1_3repE0EEENS1_30default_config_static_selectorELNS0_4arch9wavefront6targetE0EEEvSY_, .Lfunc_end259-_ZN7rocprim17ROCPRIM_400000_NS6detail17trampoline_kernelINS0_13select_configILj256ELj13ELNS0_17block_load_methodE3ELS4_3ELS4_3ELNS0_20block_scan_algorithmE0ELj4294967295EEENS1_25partition_config_selectorILNS1_17partition_subalgoE3EjNS0_10empty_typeEbEEZZNS1_14partition_implILS8_3ELb0ES6_jNS0_17counting_iteratorIjlEEPS9_SE_NS0_5tupleIJPjSE_EEENSF_IJSE_SE_EEES9_SG_JZNS1_25segmented_radix_sort_implINS0_14default_configELb1EPKaPaPKlPlN2at6native12_GLOBAL__N_18offset_tEEE10hipError_tPvRmT1_PNSt15iterator_traitsISY_E10value_typeET2_T3_PNSZ_IS14_E10value_typeET4_jRbjT5_S1A_jjP12ihipStream_tbEUljE_EEESV_SW_SX_S14_S18_S1A_T6_T7_T9_mT8_S1C_bDpT10_ENKUlT_T0_E_clISt17integral_constantIbLb0EES1P_EEDaS1K_S1L_EUlS1K_E_NS1_11comp_targetILNS1_3genE5ELNS1_11target_archE942ELNS1_3gpuE9ELNS1_3repE0EEENS1_30default_config_static_selectorELNS0_4arch9wavefront6targetE0EEEvSY_
                                        ; -- End function
	.set _ZN7rocprim17ROCPRIM_400000_NS6detail17trampoline_kernelINS0_13select_configILj256ELj13ELNS0_17block_load_methodE3ELS4_3ELS4_3ELNS0_20block_scan_algorithmE0ELj4294967295EEENS1_25partition_config_selectorILNS1_17partition_subalgoE3EjNS0_10empty_typeEbEEZZNS1_14partition_implILS8_3ELb0ES6_jNS0_17counting_iteratorIjlEEPS9_SE_NS0_5tupleIJPjSE_EEENSF_IJSE_SE_EEES9_SG_JZNS1_25segmented_radix_sort_implINS0_14default_configELb1EPKaPaPKlPlN2at6native12_GLOBAL__N_18offset_tEEE10hipError_tPvRmT1_PNSt15iterator_traitsISY_E10value_typeET2_T3_PNSZ_IS14_E10value_typeET4_jRbjT5_S1A_jjP12ihipStream_tbEUljE_EEESV_SW_SX_S14_S18_S1A_T6_T7_T9_mT8_S1C_bDpT10_ENKUlT_T0_E_clISt17integral_constantIbLb0EES1P_EEDaS1K_S1L_EUlS1K_E_NS1_11comp_targetILNS1_3genE5ELNS1_11target_archE942ELNS1_3gpuE9ELNS1_3repE0EEENS1_30default_config_static_selectorELNS0_4arch9wavefront6targetE0EEEvSY_.num_vgpr, 0
	.set _ZN7rocprim17ROCPRIM_400000_NS6detail17trampoline_kernelINS0_13select_configILj256ELj13ELNS0_17block_load_methodE3ELS4_3ELS4_3ELNS0_20block_scan_algorithmE0ELj4294967295EEENS1_25partition_config_selectorILNS1_17partition_subalgoE3EjNS0_10empty_typeEbEEZZNS1_14partition_implILS8_3ELb0ES6_jNS0_17counting_iteratorIjlEEPS9_SE_NS0_5tupleIJPjSE_EEENSF_IJSE_SE_EEES9_SG_JZNS1_25segmented_radix_sort_implINS0_14default_configELb1EPKaPaPKlPlN2at6native12_GLOBAL__N_18offset_tEEE10hipError_tPvRmT1_PNSt15iterator_traitsISY_E10value_typeET2_T3_PNSZ_IS14_E10value_typeET4_jRbjT5_S1A_jjP12ihipStream_tbEUljE_EEESV_SW_SX_S14_S18_S1A_T6_T7_T9_mT8_S1C_bDpT10_ENKUlT_T0_E_clISt17integral_constantIbLb0EES1P_EEDaS1K_S1L_EUlS1K_E_NS1_11comp_targetILNS1_3genE5ELNS1_11target_archE942ELNS1_3gpuE9ELNS1_3repE0EEENS1_30default_config_static_selectorELNS0_4arch9wavefront6targetE0EEEvSY_.num_agpr, 0
	.set _ZN7rocprim17ROCPRIM_400000_NS6detail17trampoline_kernelINS0_13select_configILj256ELj13ELNS0_17block_load_methodE3ELS4_3ELS4_3ELNS0_20block_scan_algorithmE0ELj4294967295EEENS1_25partition_config_selectorILNS1_17partition_subalgoE3EjNS0_10empty_typeEbEEZZNS1_14partition_implILS8_3ELb0ES6_jNS0_17counting_iteratorIjlEEPS9_SE_NS0_5tupleIJPjSE_EEENSF_IJSE_SE_EEES9_SG_JZNS1_25segmented_radix_sort_implINS0_14default_configELb1EPKaPaPKlPlN2at6native12_GLOBAL__N_18offset_tEEE10hipError_tPvRmT1_PNSt15iterator_traitsISY_E10value_typeET2_T3_PNSZ_IS14_E10value_typeET4_jRbjT5_S1A_jjP12ihipStream_tbEUljE_EEESV_SW_SX_S14_S18_S1A_T6_T7_T9_mT8_S1C_bDpT10_ENKUlT_T0_E_clISt17integral_constantIbLb0EES1P_EEDaS1K_S1L_EUlS1K_E_NS1_11comp_targetILNS1_3genE5ELNS1_11target_archE942ELNS1_3gpuE9ELNS1_3repE0EEENS1_30default_config_static_selectorELNS0_4arch9wavefront6targetE0EEEvSY_.numbered_sgpr, 0
	.set _ZN7rocprim17ROCPRIM_400000_NS6detail17trampoline_kernelINS0_13select_configILj256ELj13ELNS0_17block_load_methodE3ELS4_3ELS4_3ELNS0_20block_scan_algorithmE0ELj4294967295EEENS1_25partition_config_selectorILNS1_17partition_subalgoE3EjNS0_10empty_typeEbEEZZNS1_14partition_implILS8_3ELb0ES6_jNS0_17counting_iteratorIjlEEPS9_SE_NS0_5tupleIJPjSE_EEENSF_IJSE_SE_EEES9_SG_JZNS1_25segmented_radix_sort_implINS0_14default_configELb1EPKaPaPKlPlN2at6native12_GLOBAL__N_18offset_tEEE10hipError_tPvRmT1_PNSt15iterator_traitsISY_E10value_typeET2_T3_PNSZ_IS14_E10value_typeET4_jRbjT5_S1A_jjP12ihipStream_tbEUljE_EEESV_SW_SX_S14_S18_S1A_T6_T7_T9_mT8_S1C_bDpT10_ENKUlT_T0_E_clISt17integral_constantIbLb0EES1P_EEDaS1K_S1L_EUlS1K_E_NS1_11comp_targetILNS1_3genE5ELNS1_11target_archE942ELNS1_3gpuE9ELNS1_3repE0EEENS1_30default_config_static_selectorELNS0_4arch9wavefront6targetE0EEEvSY_.num_named_barrier, 0
	.set _ZN7rocprim17ROCPRIM_400000_NS6detail17trampoline_kernelINS0_13select_configILj256ELj13ELNS0_17block_load_methodE3ELS4_3ELS4_3ELNS0_20block_scan_algorithmE0ELj4294967295EEENS1_25partition_config_selectorILNS1_17partition_subalgoE3EjNS0_10empty_typeEbEEZZNS1_14partition_implILS8_3ELb0ES6_jNS0_17counting_iteratorIjlEEPS9_SE_NS0_5tupleIJPjSE_EEENSF_IJSE_SE_EEES9_SG_JZNS1_25segmented_radix_sort_implINS0_14default_configELb1EPKaPaPKlPlN2at6native12_GLOBAL__N_18offset_tEEE10hipError_tPvRmT1_PNSt15iterator_traitsISY_E10value_typeET2_T3_PNSZ_IS14_E10value_typeET4_jRbjT5_S1A_jjP12ihipStream_tbEUljE_EEESV_SW_SX_S14_S18_S1A_T6_T7_T9_mT8_S1C_bDpT10_ENKUlT_T0_E_clISt17integral_constantIbLb0EES1P_EEDaS1K_S1L_EUlS1K_E_NS1_11comp_targetILNS1_3genE5ELNS1_11target_archE942ELNS1_3gpuE9ELNS1_3repE0EEENS1_30default_config_static_selectorELNS0_4arch9wavefront6targetE0EEEvSY_.private_seg_size, 0
	.set _ZN7rocprim17ROCPRIM_400000_NS6detail17trampoline_kernelINS0_13select_configILj256ELj13ELNS0_17block_load_methodE3ELS4_3ELS4_3ELNS0_20block_scan_algorithmE0ELj4294967295EEENS1_25partition_config_selectorILNS1_17partition_subalgoE3EjNS0_10empty_typeEbEEZZNS1_14partition_implILS8_3ELb0ES6_jNS0_17counting_iteratorIjlEEPS9_SE_NS0_5tupleIJPjSE_EEENSF_IJSE_SE_EEES9_SG_JZNS1_25segmented_radix_sort_implINS0_14default_configELb1EPKaPaPKlPlN2at6native12_GLOBAL__N_18offset_tEEE10hipError_tPvRmT1_PNSt15iterator_traitsISY_E10value_typeET2_T3_PNSZ_IS14_E10value_typeET4_jRbjT5_S1A_jjP12ihipStream_tbEUljE_EEESV_SW_SX_S14_S18_S1A_T6_T7_T9_mT8_S1C_bDpT10_ENKUlT_T0_E_clISt17integral_constantIbLb0EES1P_EEDaS1K_S1L_EUlS1K_E_NS1_11comp_targetILNS1_3genE5ELNS1_11target_archE942ELNS1_3gpuE9ELNS1_3repE0EEENS1_30default_config_static_selectorELNS0_4arch9wavefront6targetE0EEEvSY_.uses_vcc, 0
	.set _ZN7rocprim17ROCPRIM_400000_NS6detail17trampoline_kernelINS0_13select_configILj256ELj13ELNS0_17block_load_methodE3ELS4_3ELS4_3ELNS0_20block_scan_algorithmE0ELj4294967295EEENS1_25partition_config_selectorILNS1_17partition_subalgoE3EjNS0_10empty_typeEbEEZZNS1_14partition_implILS8_3ELb0ES6_jNS0_17counting_iteratorIjlEEPS9_SE_NS0_5tupleIJPjSE_EEENSF_IJSE_SE_EEES9_SG_JZNS1_25segmented_radix_sort_implINS0_14default_configELb1EPKaPaPKlPlN2at6native12_GLOBAL__N_18offset_tEEE10hipError_tPvRmT1_PNSt15iterator_traitsISY_E10value_typeET2_T3_PNSZ_IS14_E10value_typeET4_jRbjT5_S1A_jjP12ihipStream_tbEUljE_EEESV_SW_SX_S14_S18_S1A_T6_T7_T9_mT8_S1C_bDpT10_ENKUlT_T0_E_clISt17integral_constantIbLb0EES1P_EEDaS1K_S1L_EUlS1K_E_NS1_11comp_targetILNS1_3genE5ELNS1_11target_archE942ELNS1_3gpuE9ELNS1_3repE0EEENS1_30default_config_static_selectorELNS0_4arch9wavefront6targetE0EEEvSY_.uses_flat_scratch, 0
	.set _ZN7rocprim17ROCPRIM_400000_NS6detail17trampoline_kernelINS0_13select_configILj256ELj13ELNS0_17block_load_methodE3ELS4_3ELS4_3ELNS0_20block_scan_algorithmE0ELj4294967295EEENS1_25partition_config_selectorILNS1_17partition_subalgoE3EjNS0_10empty_typeEbEEZZNS1_14partition_implILS8_3ELb0ES6_jNS0_17counting_iteratorIjlEEPS9_SE_NS0_5tupleIJPjSE_EEENSF_IJSE_SE_EEES9_SG_JZNS1_25segmented_radix_sort_implINS0_14default_configELb1EPKaPaPKlPlN2at6native12_GLOBAL__N_18offset_tEEE10hipError_tPvRmT1_PNSt15iterator_traitsISY_E10value_typeET2_T3_PNSZ_IS14_E10value_typeET4_jRbjT5_S1A_jjP12ihipStream_tbEUljE_EEESV_SW_SX_S14_S18_S1A_T6_T7_T9_mT8_S1C_bDpT10_ENKUlT_T0_E_clISt17integral_constantIbLb0EES1P_EEDaS1K_S1L_EUlS1K_E_NS1_11comp_targetILNS1_3genE5ELNS1_11target_archE942ELNS1_3gpuE9ELNS1_3repE0EEENS1_30default_config_static_selectorELNS0_4arch9wavefront6targetE0EEEvSY_.has_dyn_sized_stack, 0
	.set _ZN7rocprim17ROCPRIM_400000_NS6detail17trampoline_kernelINS0_13select_configILj256ELj13ELNS0_17block_load_methodE3ELS4_3ELS4_3ELNS0_20block_scan_algorithmE0ELj4294967295EEENS1_25partition_config_selectorILNS1_17partition_subalgoE3EjNS0_10empty_typeEbEEZZNS1_14partition_implILS8_3ELb0ES6_jNS0_17counting_iteratorIjlEEPS9_SE_NS0_5tupleIJPjSE_EEENSF_IJSE_SE_EEES9_SG_JZNS1_25segmented_radix_sort_implINS0_14default_configELb1EPKaPaPKlPlN2at6native12_GLOBAL__N_18offset_tEEE10hipError_tPvRmT1_PNSt15iterator_traitsISY_E10value_typeET2_T3_PNSZ_IS14_E10value_typeET4_jRbjT5_S1A_jjP12ihipStream_tbEUljE_EEESV_SW_SX_S14_S18_S1A_T6_T7_T9_mT8_S1C_bDpT10_ENKUlT_T0_E_clISt17integral_constantIbLb0EES1P_EEDaS1K_S1L_EUlS1K_E_NS1_11comp_targetILNS1_3genE5ELNS1_11target_archE942ELNS1_3gpuE9ELNS1_3repE0EEENS1_30default_config_static_selectorELNS0_4arch9wavefront6targetE0EEEvSY_.has_recursion, 0
	.set _ZN7rocprim17ROCPRIM_400000_NS6detail17trampoline_kernelINS0_13select_configILj256ELj13ELNS0_17block_load_methodE3ELS4_3ELS4_3ELNS0_20block_scan_algorithmE0ELj4294967295EEENS1_25partition_config_selectorILNS1_17partition_subalgoE3EjNS0_10empty_typeEbEEZZNS1_14partition_implILS8_3ELb0ES6_jNS0_17counting_iteratorIjlEEPS9_SE_NS0_5tupleIJPjSE_EEENSF_IJSE_SE_EEES9_SG_JZNS1_25segmented_radix_sort_implINS0_14default_configELb1EPKaPaPKlPlN2at6native12_GLOBAL__N_18offset_tEEE10hipError_tPvRmT1_PNSt15iterator_traitsISY_E10value_typeET2_T3_PNSZ_IS14_E10value_typeET4_jRbjT5_S1A_jjP12ihipStream_tbEUljE_EEESV_SW_SX_S14_S18_S1A_T6_T7_T9_mT8_S1C_bDpT10_ENKUlT_T0_E_clISt17integral_constantIbLb0EES1P_EEDaS1K_S1L_EUlS1K_E_NS1_11comp_targetILNS1_3genE5ELNS1_11target_archE942ELNS1_3gpuE9ELNS1_3repE0EEENS1_30default_config_static_selectorELNS0_4arch9wavefront6targetE0EEEvSY_.has_indirect_call, 0
	.section	.AMDGPU.csdata,"",@progbits
; Kernel info:
; codeLenInByte = 0
; TotalNumSgprs: 0
; NumVgprs: 0
; ScratchSize: 0
; MemoryBound: 0
; FloatMode: 240
; IeeeMode: 1
; LDSByteSize: 0 bytes/workgroup (compile time only)
; SGPRBlocks: 0
; VGPRBlocks: 0
; NumSGPRsForWavesPerEU: 1
; NumVGPRsForWavesPerEU: 1
; Occupancy: 16
; WaveLimiterHint : 0
; COMPUTE_PGM_RSRC2:SCRATCH_EN: 0
; COMPUTE_PGM_RSRC2:USER_SGPR: 2
; COMPUTE_PGM_RSRC2:TRAP_HANDLER: 0
; COMPUTE_PGM_RSRC2:TGID_X_EN: 1
; COMPUTE_PGM_RSRC2:TGID_Y_EN: 0
; COMPUTE_PGM_RSRC2:TGID_Z_EN: 0
; COMPUTE_PGM_RSRC2:TIDIG_COMP_CNT: 0
	.section	.text._ZN7rocprim17ROCPRIM_400000_NS6detail17trampoline_kernelINS0_13select_configILj256ELj13ELNS0_17block_load_methodE3ELS4_3ELS4_3ELNS0_20block_scan_algorithmE0ELj4294967295EEENS1_25partition_config_selectorILNS1_17partition_subalgoE3EjNS0_10empty_typeEbEEZZNS1_14partition_implILS8_3ELb0ES6_jNS0_17counting_iteratorIjlEEPS9_SE_NS0_5tupleIJPjSE_EEENSF_IJSE_SE_EEES9_SG_JZNS1_25segmented_radix_sort_implINS0_14default_configELb1EPKaPaPKlPlN2at6native12_GLOBAL__N_18offset_tEEE10hipError_tPvRmT1_PNSt15iterator_traitsISY_E10value_typeET2_T3_PNSZ_IS14_E10value_typeET4_jRbjT5_S1A_jjP12ihipStream_tbEUljE_EEESV_SW_SX_S14_S18_S1A_T6_T7_T9_mT8_S1C_bDpT10_ENKUlT_T0_E_clISt17integral_constantIbLb0EES1P_EEDaS1K_S1L_EUlS1K_E_NS1_11comp_targetILNS1_3genE4ELNS1_11target_archE910ELNS1_3gpuE8ELNS1_3repE0EEENS1_30default_config_static_selectorELNS0_4arch9wavefront6targetE0EEEvSY_,"axG",@progbits,_ZN7rocprim17ROCPRIM_400000_NS6detail17trampoline_kernelINS0_13select_configILj256ELj13ELNS0_17block_load_methodE3ELS4_3ELS4_3ELNS0_20block_scan_algorithmE0ELj4294967295EEENS1_25partition_config_selectorILNS1_17partition_subalgoE3EjNS0_10empty_typeEbEEZZNS1_14partition_implILS8_3ELb0ES6_jNS0_17counting_iteratorIjlEEPS9_SE_NS0_5tupleIJPjSE_EEENSF_IJSE_SE_EEES9_SG_JZNS1_25segmented_radix_sort_implINS0_14default_configELb1EPKaPaPKlPlN2at6native12_GLOBAL__N_18offset_tEEE10hipError_tPvRmT1_PNSt15iterator_traitsISY_E10value_typeET2_T3_PNSZ_IS14_E10value_typeET4_jRbjT5_S1A_jjP12ihipStream_tbEUljE_EEESV_SW_SX_S14_S18_S1A_T6_T7_T9_mT8_S1C_bDpT10_ENKUlT_T0_E_clISt17integral_constantIbLb0EES1P_EEDaS1K_S1L_EUlS1K_E_NS1_11comp_targetILNS1_3genE4ELNS1_11target_archE910ELNS1_3gpuE8ELNS1_3repE0EEENS1_30default_config_static_selectorELNS0_4arch9wavefront6targetE0EEEvSY_,comdat
	.globl	_ZN7rocprim17ROCPRIM_400000_NS6detail17trampoline_kernelINS0_13select_configILj256ELj13ELNS0_17block_load_methodE3ELS4_3ELS4_3ELNS0_20block_scan_algorithmE0ELj4294967295EEENS1_25partition_config_selectorILNS1_17partition_subalgoE3EjNS0_10empty_typeEbEEZZNS1_14partition_implILS8_3ELb0ES6_jNS0_17counting_iteratorIjlEEPS9_SE_NS0_5tupleIJPjSE_EEENSF_IJSE_SE_EEES9_SG_JZNS1_25segmented_radix_sort_implINS0_14default_configELb1EPKaPaPKlPlN2at6native12_GLOBAL__N_18offset_tEEE10hipError_tPvRmT1_PNSt15iterator_traitsISY_E10value_typeET2_T3_PNSZ_IS14_E10value_typeET4_jRbjT5_S1A_jjP12ihipStream_tbEUljE_EEESV_SW_SX_S14_S18_S1A_T6_T7_T9_mT8_S1C_bDpT10_ENKUlT_T0_E_clISt17integral_constantIbLb0EES1P_EEDaS1K_S1L_EUlS1K_E_NS1_11comp_targetILNS1_3genE4ELNS1_11target_archE910ELNS1_3gpuE8ELNS1_3repE0EEENS1_30default_config_static_selectorELNS0_4arch9wavefront6targetE0EEEvSY_ ; -- Begin function _ZN7rocprim17ROCPRIM_400000_NS6detail17trampoline_kernelINS0_13select_configILj256ELj13ELNS0_17block_load_methodE3ELS4_3ELS4_3ELNS0_20block_scan_algorithmE0ELj4294967295EEENS1_25partition_config_selectorILNS1_17partition_subalgoE3EjNS0_10empty_typeEbEEZZNS1_14partition_implILS8_3ELb0ES6_jNS0_17counting_iteratorIjlEEPS9_SE_NS0_5tupleIJPjSE_EEENSF_IJSE_SE_EEES9_SG_JZNS1_25segmented_radix_sort_implINS0_14default_configELb1EPKaPaPKlPlN2at6native12_GLOBAL__N_18offset_tEEE10hipError_tPvRmT1_PNSt15iterator_traitsISY_E10value_typeET2_T3_PNSZ_IS14_E10value_typeET4_jRbjT5_S1A_jjP12ihipStream_tbEUljE_EEESV_SW_SX_S14_S18_S1A_T6_T7_T9_mT8_S1C_bDpT10_ENKUlT_T0_E_clISt17integral_constantIbLb0EES1P_EEDaS1K_S1L_EUlS1K_E_NS1_11comp_targetILNS1_3genE4ELNS1_11target_archE910ELNS1_3gpuE8ELNS1_3repE0EEENS1_30default_config_static_selectorELNS0_4arch9wavefront6targetE0EEEvSY_
	.p2align	8
	.type	_ZN7rocprim17ROCPRIM_400000_NS6detail17trampoline_kernelINS0_13select_configILj256ELj13ELNS0_17block_load_methodE3ELS4_3ELS4_3ELNS0_20block_scan_algorithmE0ELj4294967295EEENS1_25partition_config_selectorILNS1_17partition_subalgoE3EjNS0_10empty_typeEbEEZZNS1_14partition_implILS8_3ELb0ES6_jNS0_17counting_iteratorIjlEEPS9_SE_NS0_5tupleIJPjSE_EEENSF_IJSE_SE_EEES9_SG_JZNS1_25segmented_radix_sort_implINS0_14default_configELb1EPKaPaPKlPlN2at6native12_GLOBAL__N_18offset_tEEE10hipError_tPvRmT1_PNSt15iterator_traitsISY_E10value_typeET2_T3_PNSZ_IS14_E10value_typeET4_jRbjT5_S1A_jjP12ihipStream_tbEUljE_EEESV_SW_SX_S14_S18_S1A_T6_T7_T9_mT8_S1C_bDpT10_ENKUlT_T0_E_clISt17integral_constantIbLb0EES1P_EEDaS1K_S1L_EUlS1K_E_NS1_11comp_targetILNS1_3genE4ELNS1_11target_archE910ELNS1_3gpuE8ELNS1_3repE0EEENS1_30default_config_static_selectorELNS0_4arch9wavefront6targetE0EEEvSY_,@function
_ZN7rocprim17ROCPRIM_400000_NS6detail17trampoline_kernelINS0_13select_configILj256ELj13ELNS0_17block_load_methodE3ELS4_3ELS4_3ELNS0_20block_scan_algorithmE0ELj4294967295EEENS1_25partition_config_selectorILNS1_17partition_subalgoE3EjNS0_10empty_typeEbEEZZNS1_14partition_implILS8_3ELb0ES6_jNS0_17counting_iteratorIjlEEPS9_SE_NS0_5tupleIJPjSE_EEENSF_IJSE_SE_EEES9_SG_JZNS1_25segmented_radix_sort_implINS0_14default_configELb1EPKaPaPKlPlN2at6native12_GLOBAL__N_18offset_tEEE10hipError_tPvRmT1_PNSt15iterator_traitsISY_E10value_typeET2_T3_PNSZ_IS14_E10value_typeET4_jRbjT5_S1A_jjP12ihipStream_tbEUljE_EEESV_SW_SX_S14_S18_S1A_T6_T7_T9_mT8_S1C_bDpT10_ENKUlT_T0_E_clISt17integral_constantIbLb0EES1P_EEDaS1K_S1L_EUlS1K_E_NS1_11comp_targetILNS1_3genE4ELNS1_11target_archE910ELNS1_3gpuE8ELNS1_3repE0EEENS1_30default_config_static_selectorELNS0_4arch9wavefront6targetE0EEEvSY_: ; @_ZN7rocprim17ROCPRIM_400000_NS6detail17trampoline_kernelINS0_13select_configILj256ELj13ELNS0_17block_load_methodE3ELS4_3ELS4_3ELNS0_20block_scan_algorithmE0ELj4294967295EEENS1_25partition_config_selectorILNS1_17partition_subalgoE3EjNS0_10empty_typeEbEEZZNS1_14partition_implILS8_3ELb0ES6_jNS0_17counting_iteratorIjlEEPS9_SE_NS0_5tupleIJPjSE_EEENSF_IJSE_SE_EEES9_SG_JZNS1_25segmented_radix_sort_implINS0_14default_configELb1EPKaPaPKlPlN2at6native12_GLOBAL__N_18offset_tEEE10hipError_tPvRmT1_PNSt15iterator_traitsISY_E10value_typeET2_T3_PNSZ_IS14_E10value_typeET4_jRbjT5_S1A_jjP12ihipStream_tbEUljE_EEESV_SW_SX_S14_S18_S1A_T6_T7_T9_mT8_S1C_bDpT10_ENKUlT_T0_E_clISt17integral_constantIbLb0EES1P_EEDaS1K_S1L_EUlS1K_E_NS1_11comp_targetILNS1_3genE4ELNS1_11target_archE910ELNS1_3gpuE8ELNS1_3repE0EEENS1_30default_config_static_selectorELNS0_4arch9wavefront6targetE0EEEvSY_
; %bb.0:
	.section	.rodata,"a",@progbits
	.p2align	6, 0x0
	.amdhsa_kernel _ZN7rocprim17ROCPRIM_400000_NS6detail17trampoline_kernelINS0_13select_configILj256ELj13ELNS0_17block_load_methodE3ELS4_3ELS4_3ELNS0_20block_scan_algorithmE0ELj4294967295EEENS1_25partition_config_selectorILNS1_17partition_subalgoE3EjNS0_10empty_typeEbEEZZNS1_14partition_implILS8_3ELb0ES6_jNS0_17counting_iteratorIjlEEPS9_SE_NS0_5tupleIJPjSE_EEENSF_IJSE_SE_EEES9_SG_JZNS1_25segmented_radix_sort_implINS0_14default_configELb1EPKaPaPKlPlN2at6native12_GLOBAL__N_18offset_tEEE10hipError_tPvRmT1_PNSt15iterator_traitsISY_E10value_typeET2_T3_PNSZ_IS14_E10value_typeET4_jRbjT5_S1A_jjP12ihipStream_tbEUljE_EEESV_SW_SX_S14_S18_S1A_T6_T7_T9_mT8_S1C_bDpT10_ENKUlT_T0_E_clISt17integral_constantIbLb0EES1P_EEDaS1K_S1L_EUlS1K_E_NS1_11comp_targetILNS1_3genE4ELNS1_11target_archE910ELNS1_3gpuE8ELNS1_3repE0EEENS1_30default_config_static_selectorELNS0_4arch9wavefront6targetE0EEEvSY_
		.amdhsa_group_segment_fixed_size 0
		.amdhsa_private_segment_fixed_size 0
		.amdhsa_kernarg_size 144
		.amdhsa_user_sgpr_count 2
		.amdhsa_user_sgpr_dispatch_ptr 0
		.amdhsa_user_sgpr_queue_ptr 0
		.amdhsa_user_sgpr_kernarg_segment_ptr 1
		.amdhsa_user_sgpr_dispatch_id 0
		.amdhsa_user_sgpr_private_segment_size 0
		.amdhsa_wavefront_size32 1
		.amdhsa_uses_dynamic_stack 0
		.amdhsa_enable_private_segment 0
		.amdhsa_system_sgpr_workgroup_id_x 1
		.amdhsa_system_sgpr_workgroup_id_y 0
		.amdhsa_system_sgpr_workgroup_id_z 0
		.amdhsa_system_sgpr_workgroup_info 0
		.amdhsa_system_vgpr_workitem_id 0
		.amdhsa_next_free_vgpr 1
		.amdhsa_next_free_sgpr 1
		.amdhsa_reserve_vcc 0
		.amdhsa_float_round_mode_32 0
		.amdhsa_float_round_mode_16_64 0
		.amdhsa_float_denorm_mode_32 3
		.amdhsa_float_denorm_mode_16_64 3
		.amdhsa_fp16_overflow 0
		.amdhsa_workgroup_processor_mode 1
		.amdhsa_memory_ordered 1
		.amdhsa_forward_progress 1
		.amdhsa_inst_pref_size 0
		.amdhsa_round_robin_scheduling 0
		.amdhsa_exception_fp_ieee_invalid_op 0
		.amdhsa_exception_fp_denorm_src 0
		.amdhsa_exception_fp_ieee_div_zero 0
		.amdhsa_exception_fp_ieee_overflow 0
		.amdhsa_exception_fp_ieee_underflow 0
		.amdhsa_exception_fp_ieee_inexact 0
		.amdhsa_exception_int_div_zero 0
	.end_amdhsa_kernel
	.section	.text._ZN7rocprim17ROCPRIM_400000_NS6detail17trampoline_kernelINS0_13select_configILj256ELj13ELNS0_17block_load_methodE3ELS4_3ELS4_3ELNS0_20block_scan_algorithmE0ELj4294967295EEENS1_25partition_config_selectorILNS1_17partition_subalgoE3EjNS0_10empty_typeEbEEZZNS1_14partition_implILS8_3ELb0ES6_jNS0_17counting_iteratorIjlEEPS9_SE_NS0_5tupleIJPjSE_EEENSF_IJSE_SE_EEES9_SG_JZNS1_25segmented_radix_sort_implINS0_14default_configELb1EPKaPaPKlPlN2at6native12_GLOBAL__N_18offset_tEEE10hipError_tPvRmT1_PNSt15iterator_traitsISY_E10value_typeET2_T3_PNSZ_IS14_E10value_typeET4_jRbjT5_S1A_jjP12ihipStream_tbEUljE_EEESV_SW_SX_S14_S18_S1A_T6_T7_T9_mT8_S1C_bDpT10_ENKUlT_T0_E_clISt17integral_constantIbLb0EES1P_EEDaS1K_S1L_EUlS1K_E_NS1_11comp_targetILNS1_3genE4ELNS1_11target_archE910ELNS1_3gpuE8ELNS1_3repE0EEENS1_30default_config_static_selectorELNS0_4arch9wavefront6targetE0EEEvSY_,"axG",@progbits,_ZN7rocprim17ROCPRIM_400000_NS6detail17trampoline_kernelINS0_13select_configILj256ELj13ELNS0_17block_load_methodE3ELS4_3ELS4_3ELNS0_20block_scan_algorithmE0ELj4294967295EEENS1_25partition_config_selectorILNS1_17partition_subalgoE3EjNS0_10empty_typeEbEEZZNS1_14partition_implILS8_3ELb0ES6_jNS0_17counting_iteratorIjlEEPS9_SE_NS0_5tupleIJPjSE_EEENSF_IJSE_SE_EEES9_SG_JZNS1_25segmented_radix_sort_implINS0_14default_configELb1EPKaPaPKlPlN2at6native12_GLOBAL__N_18offset_tEEE10hipError_tPvRmT1_PNSt15iterator_traitsISY_E10value_typeET2_T3_PNSZ_IS14_E10value_typeET4_jRbjT5_S1A_jjP12ihipStream_tbEUljE_EEESV_SW_SX_S14_S18_S1A_T6_T7_T9_mT8_S1C_bDpT10_ENKUlT_T0_E_clISt17integral_constantIbLb0EES1P_EEDaS1K_S1L_EUlS1K_E_NS1_11comp_targetILNS1_3genE4ELNS1_11target_archE910ELNS1_3gpuE8ELNS1_3repE0EEENS1_30default_config_static_selectorELNS0_4arch9wavefront6targetE0EEEvSY_,comdat
.Lfunc_end260:
	.size	_ZN7rocprim17ROCPRIM_400000_NS6detail17trampoline_kernelINS0_13select_configILj256ELj13ELNS0_17block_load_methodE3ELS4_3ELS4_3ELNS0_20block_scan_algorithmE0ELj4294967295EEENS1_25partition_config_selectorILNS1_17partition_subalgoE3EjNS0_10empty_typeEbEEZZNS1_14partition_implILS8_3ELb0ES6_jNS0_17counting_iteratorIjlEEPS9_SE_NS0_5tupleIJPjSE_EEENSF_IJSE_SE_EEES9_SG_JZNS1_25segmented_radix_sort_implINS0_14default_configELb1EPKaPaPKlPlN2at6native12_GLOBAL__N_18offset_tEEE10hipError_tPvRmT1_PNSt15iterator_traitsISY_E10value_typeET2_T3_PNSZ_IS14_E10value_typeET4_jRbjT5_S1A_jjP12ihipStream_tbEUljE_EEESV_SW_SX_S14_S18_S1A_T6_T7_T9_mT8_S1C_bDpT10_ENKUlT_T0_E_clISt17integral_constantIbLb0EES1P_EEDaS1K_S1L_EUlS1K_E_NS1_11comp_targetILNS1_3genE4ELNS1_11target_archE910ELNS1_3gpuE8ELNS1_3repE0EEENS1_30default_config_static_selectorELNS0_4arch9wavefront6targetE0EEEvSY_, .Lfunc_end260-_ZN7rocprim17ROCPRIM_400000_NS6detail17trampoline_kernelINS0_13select_configILj256ELj13ELNS0_17block_load_methodE3ELS4_3ELS4_3ELNS0_20block_scan_algorithmE0ELj4294967295EEENS1_25partition_config_selectorILNS1_17partition_subalgoE3EjNS0_10empty_typeEbEEZZNS1_14partition_implILS8_3ELb0ES6_jNS0_17counting_iteratorIjlEEPS9_SE_NS0_5tupleIJPjSE_EEENSF_IJSE_SE_EEES9_SG_JZNS1_25segmented_radix_sort_implINS0_14default_configELb1EPKaPaPKlPlN2at6native12_GLOBAL__N_18offset_tEEE10hipError_tPvRmT1_PNSt15iterator_traitsISY_E10value_typeET2_T3_PNSZ_IS14_E10value_typeET4_jRbjT5_S1A_jjP12ihipStream_tbEUljE_EEESV_SW_SX_S14_S18_S1A_T6_T7_T9_mT8_S1C_bDpT10_ENKUlT_T0_E_clISt17integral_constantIbLb0EES1P_EEDaS1K_S1L_EUlS1K_E_NS1_11comp_targetILNS1_3genE4ELNS1_11target_archE910ELNS1_3gpuE8ELNS1_3repE0EEENS1_30default_config_static_selectorELNS0_4arch9wavefront6targetE0EEEvSY_
                                        ; -- End function
	.set _ZN7rocprim17ROCPRIM_400000_NS6detail17trampoline_kernelINS0_13select_configILj256ELj13ELNS0_17block_load_methodE3ELS4_3ELS4_3ELNS0_20block_scan_algorithmE0ELj4294967295EEENS1_25partition_config_selectorILNS1_17partition_subalgoE3EjNS0_10empty_typeEbEEZZNS1_14partition_implILS8_3ELb0ES6_jNS0_17counting_iteratorIjlEEPS9_SE_NS0_5tupleIJPjSE_EEENSF_IJSE_SE_EEES9_SG_JZNS1_25segmented_radix_sort_implINS0_14default_configELb1EPKaPaPKlPlN2at6native12_GLOBAL__N_18offset_tEEE10hipError_tPvRmT1_PNSt15iterator_traitsISY_E10value_typeET2_T3_PNSZ_IS14_E10value_typeET4_jRbjT5_S1A_jjP12ihipStream_tbEUljE_EEESV_SW_SX_S14_S18_S1A_T6_T7_T9_mT8_S1C_bDpT10_ENKUlT_T0_E_clISt17integral_constantIbLb0EES1P_EEDaS1K_S1L_EUlS1K_E_NS1_11comp_targetILNS1_3genE4ELNS1_11target_archE910ELNS1_3gpuE8ELNS1_3repE0EEENS1_30default_config_static_selectorELNS0_4arch9wavefront6targetE0EEEvSY_.num_vgpr, 0
	.set _ZN7rocprim17ROCPRIM_400000_NS6detail17trampoline_kernelINS0_13select_configILj256ELj13ELNS0_17block_load_methodE3ELS4_3ELS4_3ELNS0_20block_scan_algorithmE0ELj4294967295EEENS1_25partition_config_selectorILNS1_17partition_subalgoE3EjNS0_10empty_typeEbEEZZNS1_14partition_implILS8_3ELb0ES6_jNS0_17counting_iteratorIjlEEPS9_SE_NS0_5tupleIJPjSE_EEENSF_IJSE_SE_EEES9_SG_JZNS1_25segmented_radix_sort_implINS0_14default_configELb1EPKaPaPKlPlN2at6native12_GLOBAL__N_18offset_tEEE10hipError_tPvRmT1_PNSt15iterator_traitsISY_E10value_typeET2_T3_PNSZ_IS14_E10value_typeET4_jRbjT5_S1A_jjP12ihipStream_tbEUljE_EEESV_SW_SX_S14_S18_S1A_T6_T7_T9_mT8_S1C_bDpT10_ENKUlT_T0_E_clISt17integral_constantIbLb0EES1P_EEDaS1K_S1L_EUlS1K_E_NS1_11comp_targetILNS1_3genE4ELNS1_11target_archE910ELNS1_3gpuE8ELNS1_3repE0EEENS1_30default_config_static_selectorELNS0_4arch9wavefront6targetE0EEEvSY_.num_agpr, 0
	.set _ZN7rocprim17ROCPRIM_400000_NS6detail17trampoline_kernelINS0_13select_configILj256ELj13ELNS0_17block_load_methodE3ELS4_3ELS4_3ELNS0_20block_scan_algorithmE0ELj4294967295EEENS1_25partition_config_selectorILNS1_17partition_subalgoE3EjNS0_10empty_typeEbEEZZNS1_14partition_implILS8_3ELb0ES6_jNS0_17counting_iteratorIjlEEPS9_SE_NS0_5tupleIJPjSE_EEENSF_IJSE_SE_EEES9_SG_JZNS1_25segmented_radix_sort_implINS0_14default_configELb1EPKaPaPKlPlN2at6native12_GLOBAL__N_18offset_tEEE10hipError_tPvRmT1_PNSt15iterator_traitsISY_E10value_typeET2_T3_PNSZ_IS14_E10value_typeET4_jRbjT5_S1A_jjP12ihipStream_tbEUljE_EEESV_SW_SX_S14_S18_S1A_T6_T7_T9_mT8_S1C_bDpT10_ENKUlT_T0_E_clISt17integral_constantIbLb0EES1P_EEDaS1K_S1L_EUlS1K_E_NS1_11comp_targetILNS1_3genE4ELNS1_11target_archE910ELNS1_3gpuE8ELNS1_3repE0EEENS1_30default_config_static_selectorELNS0_4arch9wavefront6targetE0EEEvSY_.numbered_sgpr, 0
	.set _ZN7rocprim17ROCPRIM_400000_NS6detail17trampoline_kernelINS0_13select_configILj256ELj13ELNS0_17block_load_methodE3ELS4_3ELS4_3ELNS0_20block_scan_algorithmE0ELj4294967295EEENS1_25partition_config_selectorILNS1_17partition_subalgoE3EjNS0_10empty_typeEbEEZZNS1_14partition_implILS8_3ELb0ES6_jNS0_17counting_iteratorIjlEEPS9_SE_NS0_5tupleIJPjSE_EEENSF_IJSE_SE_EEES9_SG_JZNS1_25segmented_radix_sort_implINS0_14default_configELb1EPKaPaPKlPlN2at6native12_GLOBAL__N_18offset_tEEE10hipError_tPvRmT1_PNSt15iterator_traitsISY_E10value_typeET2_T3_PNSZ_IS14_E10value_typeET4_jRbjT5_S1A_jjP12ihipStream_tbEUljE_EEESV_SW_SX_S14_S18_S1A_T6_T7_T9_mT8_S1C_bDpT10_ENKUlT_T0_E_clISt17integral_constantIbLb0EES1P_EEDaS1K_S1L_EUlS1K_E_NS1_11comp_targetILNS1_3genE4ELNS1_11target_archE910ELNS1_3gpuE8ELNS1_3repE0EEENS1_30default_config_static_selectorELNS0_4arch9wavefront6targetE0EEEvSY_.num_named_barrier, 0
	.set _ZN7rocprim17ROCPRIM_400000_NS6detail17trampoline_kernelINS0_13select_configILj256ELj13ELNS0_17block_load_methodE3ELS4_3ELS4_3ELNS0_20block_scan_algorithmE0ELj4294967295EEENS1_25partition_config_selectorILNS1_17partition_subalgoE3EjNS0_10empty_typeEbEEZZNS1_14partition_implILS8_3ELb0ES6_jNS0_17counting_iteratorIjlEEPS9_SE_NS0_5tupleIJPjSE_EEENSF_IJSE_SE_EEES9_SG_JZNS1_25segmented_radix_sort_implINS0_14default_configELb1EPKaPaPKlPlN2at6native12_GLOBAL__N_18offset_tEEE10hipError_tPvRmT1_PNSt15iterator_traitsISY_E10value_typeET2_T3_PNSZ_IS14_E10value_typeET4_jRbjT5_S1A_jjP12ihipStream_tbEUljE_EEESV_SW_SX_S14_S18_S1A_T6_T7_T9_mT8_S1C_bDpT10_ENKUlT_T0_E_clISt17integral_constantIbLb0EES1P_EEDaS1K_S1L_EUlS1K_E_NS1_11comp_targetILNS1_3genE4ELNS1_11target_archE910ELNS1_3gpuE8ELNS1_3repE0EEENS1_30default_config_static_selectorELNS0_4arch9wavefront6targetE0EEEvSY_.private_seg_size, 0
	.set _ZN7rocprim17ROCPRIM_400000_NS6detail17trampoline_kernelINS0_13select_configILj256ELj13ELNS0_17block_load_methodE3ELS4_3ELS4_3ELNS0_20block_scan_algorithmE0ELj4294967295EEENS1_25partition_config_selectorILNS1_17partition_subalgoE3EjNS0_10empty_typeEbEEZZNS1_14partition_implILS8_3ELb0ES6_jNS0_17counting_iteratorIjlEEPS9_SE_NS0_5tupleIJPjSE_EEENSF_IJSE_SE_EEES9_SG_JZNS1_25segmented_radix_sort_implINS0_14default_configELb1EPKaPaPKlPlN2at6native12_GLOBAL__N_18offset_tEEE10hipError_tPvRmT1_PNSt15iterator_traitsISY_E10value_typeET2_T3_PNSZ_IS14_E10value_typeET4_jRbjT5_S1A_jjP12ihipStream_tbEUljE_EEESV_SW_SX_S14_S18_S1A_T6_T7_T9_mT8_S1C_bDpT10_ENKUlT_T0_E_clISt17integral_constantIbLb0EES1P_EEDaS1K_S1L_EUlS1K_E_NS1_11comp_targetILNS1_3genE4ELNS1_11target_archE910ELNS1_3gpuE8ELNS1_3repE0EEENS1_30default_config_static_selectorELNS0_4arch9wavefront6targetE0EEEvSY_.uses_vcc, 0
	.set _ZN7rocprim17ROCPRIM_400000_NS6detail17trampoline_kernelINS0_13select_configILj256ELj13ELNS0_17block_load_methodE3ELS4_3ELS4_3ELNS0_20block_scan_algorithmE0ELj4294967295EEENS1_25partition_config_selectorILNS1_17partition_subalgoE3EjNS0_10empty_typeEbEEZZNS1_14partition_implILS8_3ELb0ES6_jNS0_17counting_iteratorIjlEEPS9_SE_NS0_5tupleIJPjSE_EEENSF_IJSE_SE_EEES9_SG_JZNS1_25segmented_radix_sort_implINS0_14default_configELb1EPKaPaPKlPlN2at6native12_GLOBAL__N_18offset_tEEE10hipError_tPvRmT1_PNSt15iterator_traitsISY_E10value_typeET2_T3_PNSZ_IS14_E10value_typeET4_jRbjT5_S1A_jjP12ihipStream_tbEUljE_EEESV_SW_SX_S14_S18_S1A_T6_T7_T9_mT8_S1C_bDpT10_ENKUlT_T0_E_clISt17integral_constantIbLb0EES1P_EEDaS1K_S1L_EUlS1K_E_NS1_11comp_targetILNS1_3genE4ELNS1_11target_archE910ELNS1_3gpuE8ELNS1_3repE0EEENS1_30default_config_static_selectorELNS0_4arch9wavefront6targetE0EEEvSY_.uses_flat_scratch, 0
	.set _ZN7rocprim17ROCPRIM_400000_NS6detail17trampoline_kernelINS0_13select_configILj256ELj13ELNS0_17block_load_methodE3ELS4_3ELS4_3ELNS0_20block_scan_algorithmE0ELj4294967295EEENS1_25partition_config_selectorILNS1_17partition_subalgoE3EjNS0_10empty_typeEbEEZZNS1_14partition_implILS8_3ELb0ES6_jNS0_17counting_iteratorIjlEEPS9_SE_NS0_5tupleIJPjSE_EEENSF_IJSE_SE_EEES9_SG_JZNS1_25segmented_radix_sort_implINS0_14default_configELb1EPKaPaPKlPlN2at6native12_GLOBAL__N_18offset_tEEE10hipError_tPvRmT1_PNSt15iterator_traitsISY_E10value_typeET2_T3_PNSZ_IS14_E10value_typeET4_jRbjT5_S1A_jjP12ihipStream_tbEUljE_EEESV_SW_SX_S14_S18_S1A_T6_T7_T9_mT8_S1C_bDpT10_ENKUlT_T0_E_clISt17integral_constantIbLb0EES1P_EEDaS1K_S1L_EUlS1K_E_NS1_11comp_targetILNS1_3genE4ELNS1_11target_archE910ELNS1_3gpuE8ELNS1_3repE0EEENS1_30default_config_static_selectorELNS0_4arch9wavefront6targetE0EEEvSY_.has_dyn_sized_stack, 0
	.set _ZN7rocprim17ROCPRIM_400000_NS6detail17trampoline_kernelINS0_13select_configILj256ELj13ELNS0_17block_load_methodE3ELS4_3ELS4_3ELNS0_20block_scan_algorithmE0ELj4294967295EEENS1_25partition_config_selectorILNS1_17partition_subalgoE3EjNS0_10empty_typeEbEEZZNS1_14partition_implILS8_3ELb0ES6_jNS0_17counting_iteratorIjlEEPS9_SE_NS0_5tupleIJPjSE_EEENSF_IJSE_SE_EEES9_SG_JZNS1_25segmented_radix_sort_implINS0_14default_configELb1EPKaPaPKlPlN2at6native12_GLOBAL__N_18offset_tEEE10hipError_tPvRmT1_PNSt15iterator_traitsISY_E10value_typeET2_T3_PNSZ_IS14_E10value_typeET4_jRbjT5_S1A_jjP12ihipStream_tbEUljE_EEESV_SW_SX_S14_S18_S1A_T6_T7_T9_mT8_S1C_bDpT10_ENKUlT_T0_E_clISt17integral_constantIbLb0EES1P_EEDaS1K_S1L_EUlS1K_E_NS1_11comp_targetILNS1_3genE4ELNS1_11target_archE910ELNS1_3gpuE8ELNS1_3repE0EEENS1_30default_config_static_selectorELNS0_4arch9wavefront6targetE0EEEvSY_.has_recursion, 0
	.set _ZN7rocprim17ROCPRIM_400000_NS6detail17trampoline_kernelINS0_13select_configILj256ELj13ELNS0_17block_load_methodE3ELS4_3ELS4_3ELNS0_20block_scan_algorithmE0ELj4294967295EEENS1_25partition_config_selectorILNS1_17partition_subalgoE3EjNS0_10empty_typeEbEEZZNS1_14partition_implILS8_3ELb0ES6_jNS0_17counting_iteratorIjlEEPS9_SE_NS0_5tupleIJPjSE_EEENSF_IJSE_SE_EEES9_SG_JZNS1_25segmented_radix_sort_implINS0_14default_configELb1EPKaPaPKlPlN2at6native12_GLOBAL__N_18offset_tEEE10hipError_tPvRmT1_PNSt15iterator_traitsISY_E10value_typeET2_T3_PNSZ_IS14_E10value_typeET4_jRbjT5_S1A_jjP12ihipStream_tbEUljE_EEESV_SW_SX_S14_S18_S1A_T6_T7_T9_mT8_S1C_bDpT10_ENKUlT_T0_E_clISt17integral_constantIbLb0EES1P_EEDaS1K_S1L_EUlS1K_E_NS1_11comp_targetILNS1_3genE4ELNS1_11target_archE910ELNS1_3gpuE8ELNS1_3repE0EEENS1_30default_config_static_selectorELNS0_4arch9wavefront6targetE0EEEvSY_.has_indirect_call, 0
	.section	.AMDGPU.csdata,"",@progbits
; Kernel info:
; codeLenInByte = 0
; TotalNumSgprs: 0
; NumVgprs: 0
; ScratchSize: 0
; MemoryBound: 0
; FloatMode: 240
; IeeeMode: 1
; LDSByteSize: 0 bytes/workgroup (compile time only)
; SGPRBlocks: 0
; VGPRBlocks: 0
; NumSGPRsForWavesPerEU: 1
; NumVGPRsForWavesPerEU: 1
; Occupancy: 16
; WaveLimiterHint : 0
; COMPUTE_PGM_RSRC2:SCRATCH_EN: 0
; COMPUTE_PGM_RSRC2:USER_SGPR: 2
; COMPUTE_PGM_RSRC2:TRAP_HANDLER: 0
; COMPUTE_PGM_RSRC2:TGID_X_EN: 1
; COMPUTE_PGM_RSRC2:TGID_Y_EN: 0
; COMPUTE_PGM_RSRC2:TGID_Z_EN: 0
; COMPUTE_PGM_RSRC2:TIDIG_COMP_CNT: 0
	.section	.text._ZN7rocprim17ROCPRIM_400000_NS6detail17trampoline_kernelINS0_13select_configILj256ELj13ELNS0_17block_load_methodE3ELS4_3ELS4_3ELNS0_20block_scan_algorithmE0ELj4294967295EEENS1_25partition_config_selectorILNS1_17partition_subalgoE3EjNS0_10empty_typeEbEEZZNS1_14partition_implILS8_3ELb0ES6_jNS0_17counting_iteratorIjlEEPS9_SE_NS0_5tupleIJPjSE_EEENSF_IJSE_SE_EEES9_SG_JZNS1_25segmented_radix_sort_implINS0_14default_configELb1EPKaPaPKlPlN2at6native12_GLOBAL__N_18offset_tEEE10hipError_tPvRmT1_PNSt15iterator_traitsISY_E10value_typeET2_T3_PNSZ_IS14_E10value_typeET4_jRbjT5_S1A_jjP12ihipStream_tbEUljE_EEESV_SW_SX_S14_S18_S1A_T6_T7_T9_mT8_S1C_bDpT10_ENKUlT_T0_E_clISt17integral_constantIbLb0EES1P_EEDaS1K_S1L_EUlS1K_E_NS1_11comp_targetILNS1_3genE3ELNS1_11target_archE908ELNS1_3gpuE7ELNS1_3repE0EEENS1_30default_config_static_selectorELNS0_4arch9wavefront6targetE0EEEvSY_,"axG",@progbits,_ZN7rocprim17ROCPRIM_400000_NS6detail17trampoline_kernelINS0_13select_configILj256ELj13ELNS0_17block_load_methodE3ELS4_3ELS4_3ELNS0_20block_scan_algorithmE0ELj4294967295EEENS1_25partition_config_selectorILNS1_17partition_subalgoE3EjNS0_10empty_typeEbEEZZNS1_14partition_implILS8_3ELb0ES6_jNS0_17counting_iteratorIjlEEPS9_SE_NS0_5tupleIJPjSE_EEENSF_IJSE_SE_EEES9_SG_JZNS1_25segmented_radix_sort_implINS0_14default_configELb1EPKaPaPKlPlN2at6native12_GLOBAL__N_18offset_tEEE10hipError_tPvRmT1_PNSt15iterator_traitsISY_E10value_typeET2_T3_PNSZ_IS14_E10value_typeET4_jRbjT5_S1A_jjP12ihipStream_tbEUljE_EEESV_SW_SX_S14_S18_S1A_T6_T7_T9_mT8_S1C_bDpT10_ENKUlT_T0_E_clISt17integral_constantIbLb0EES1P_EEDaS1K_S1L_EUlS1K_E_NS1_11comp_targetILNS1_3genE3ELNS1_11target_archE908ELNS1_3gpuE7ELNS1_3repE0EEENS1_30default_config_static_selectorELNS0_4arch9wavefront6targetE0EEEvSY_,comdat
	.globl	_ZN7rocprim17ROCPRIM_400000_NS6detail17trampoline_kernelINS0_13select_configILj256ELj13ELNS0_17block_load_methodE3ELS4_3ELS4_3ELNS0_20block_scan_algorithmE0ELj4294967295EEENS1_25partition_config_selectorILNS1_17partition_subalgoE3EjNS0_10empty_typeEbEEZZNS1_14partition_implILS8_3ELb0ES6_jNS0_17counting_iteratorIjlEEPS9_SE_NS0_5tupleIJPjSE_EEENSF_IJSE_SE_EEES9_SG_JZNS1_25segmented_radix_sort_implINS0_14default_configELb1EPKaPaPKlPlN2at6native12_GLOBAL__N_18offset_tEEE10hipError_tPvRmT1_PNSt15iterator_traitsISY_E10value_typeET2_T3_PNSZ_IS14_E10value_typeET4_jRbjT5_S1A_jjP12ihipStream_tbEUljE_EEESV_SW_SX_S14_S18_S1A_T6_T7_T9_mT8_S1C_bDpT10_ENKUlT_T0_E_clISt17integral_constantIbLb0EES1P_EEDaS1K_S1L_EUlS1K_E_NS1_11comp_targetILNS1_3genE3ELNS1_11target_archE908ELNS1_3gpuE7ELNS1_3repE0EEENS1_30default_config_static_selectorELNS0_4arch9wavefront6targetE0EEEvSY_ ; -- Begin function _ZN7rocprim17ROCPRIM_400000_NS6detail17trampoline_kernelINS0_13select_configILj256ELj13ELNS0_17block_load_methodE3ELS4_3ELS4_3ELNS0_20block_scan_algorithmE0ELj4294967295EEENS1_25partition_config_selectorILNS1_17partition_subalgoE3EjNS0_10empty_typeEbEEZZNS1_14partition_implILS8_3ELb0ES6_jNS0_17counting_iteratorIjlEEPS9_SE_NS0_5tupleIJPjSE_EEENSF_IJSE_SE_EEES9_SG_JZNS1_25segmented_radix_sort_implINS0_14default_configELb1EPKaPaPKlPlN2at6native12_GLOBAL__N_18offset_tEEE10hipError_tPvRmT1_PNSt15iterator_traitsISY_E10value_typeET2_T3_PNSZ_IS14_E10value_typeET4_jRbjT5_S1A_jjP12ihipStream_tbEUljE_EEESV_SW_SX_S14_S18_S1A_T6_T7_T9_mT8_S1C_bDpT10_ENKUlT_T0_E_clISt17integral_constantIbLb0EES1P_EEDaS1K_S1L_EUlS1K_E_NS1_11comp_targetILNS1_3genE3ELNS1_11target_archE908ELNS1_3gpuE7ELNS1_3repE0EEENS1_30default_config_static_selectorELNS0_4arch9wavefront6targetE0EEEvSY_
	.p2align	8
	.type	_ZN7rocprim17ROCPRIM_400000_NS6detail17trampoline_kernelINS0_13select_configILj256ELj13ELNS0_17block_load_methodE3ELS4_3ELS4_3ELNS0_20block_scan_algorithmE0ELj4294967295EEENS1_25partition_config_selectorILNS1_17partition_subalgoE3EjNS0_10empty_typeEbEEZZNS1_14partition_implILS8_3ELb0ES6_jNS0_17counting_iteratorIjlEEPS9_SE_NS0_5tupleIJPjSE_EEENSF_IJSE_SE_EEES9_SG_JZNS1_25segmented_radix_sort_implINS0_14default_configELb1EPKaPaPKlPlN2at6native12_GLOBAL__N_18offset_tEEE10hipError_tPvRmT1_PNSt15iterator_traitsISY_E10value_typeET2_T3_PNSZ_IS14_E10value_typeET4_jRbjT5_S1A_jjP12ihipStream_tbEUljE_EEESV_SW_SX_S14_S18_S1A_T6_T7_T9_mT8_S1C_bDpT10_ENKUlT_T0_E_clISt17integral_constantIbLb0EES1P_EEDaS1K_S1L_EUlS1K_E_NS1_11comp_targetILNS1_3genE3ELNS1_11target_archE908ELNS1_3gpuE7ELNS1_3repE0EEENS1_30default_config_static_selectorELNS0_4arch9wavefront6targetE0EEEvSY_,@function
_ZN7rocprim17ROCPRIM_400000_NS6detail17trampoline_kernelINS0_13select_configILj256ELj13ELNS0_17block_load_methodE3ELS4_3ELS4_3ELNS0_20block_scan_algorithmE0ELj4294967295EEENS1_25partition_config_selectorILNS1_17partition_subalgoE3EjNS0_10empty_typeEbEEZZNS1_14partition_implILS8_3ELb0ES6_jNS0_17counting_iteratorIjlEEPS9_SE_NS0_5tupleIJPjSE_EEENSF_IJSE_SE_EEES9_SG_JZNS1_25segmented_radix_sort_implINS0_14default_configELb1EPKaPaPKlPlN2at6native12_GLOBAL__N_18offset_tEEE10hipError_tPvRmT1_PNSt15iterator_traitsISY_E10value_typeET2_T3_PNSZ_IS14_E10value_typeET4_jRbjT5_S1A_jjP12ihipStream_tbEUljE_EEESV_SW_SX_S14_S18_S1A_T6_T7_T9_mT8_S1C_bDpT10_ENKUlT_T0_E_clISt17integral_constantIbLb0EES1P_EEDaS1K_S1L_EUlS1K_E_NS1_11comp_targetILNS1_3genE3ELNS1_11target_archE908ELNS1_3gpuE7ELNS1_3repE0EEENS1_30default_config_static_selectorELNS0_4arch9wavefront6targetE0EEEvSY_: ; @_ZN7rocprim17ROCPRIM_400000_NS6detail17trampoline_kernelINS0_13select_configILj256ELj13ELNS0_17block_load_methodE3ELS4_3ELS4_3ELNS0_20block_scan_algorithmE0ELj4294967295EEENS1_25partition_config_selectorILNS1_17partition_subalgoE3EjNS0_10empty_typeEbEEZZNS1_14partition_implILS8_3ELb0ES6_jNS0_17counting_iteratorIjlEEPS9_SE_NS0_5tupleIJPjSE_EEENSF_IJSE_SE_EEES9_SG_JZNS1_25segmented_radix_sort_implINS0_14default_configELb1EPKaPaPKlPlN2at6native12_GLOBAL__N_18offset_tEEE10hipError_tPvRmT1_PNSt15iterator_traitsISY_E10value_typeET2_T3_PNSZ_IS14_E10value_typeET4_jRbjT5_S1A_jjP12ihipStream_tbEUljE_EEESV_SW_SX_S14_S18_S1A_T6_T7_T9_mT8_S1C_bDpT10_ENKUlT_T0_E_clISt17integral_constantIbLb0EES1P_EEDaS1K_S1L_EUlS1K_E_NS1_11comp_targetILNS1_3genE3ELNS1_11target_archE908ELNS1_3gpuE7ELNS1_3repE0EEENS1_30default_config_static_selectorELNS0_4arch9wavefront6targetE0EEEvSY_
; %bb.0:
	.section	.rodata,"a",@progbits
	.p2align	6, 0x0
	.amdhsa_kernel _ZN7rocprim17ROCPRIM_400000_NS6detail17trampoline_kernelINS0_13select_configILj256ELj13ELNS0_17block_load_methodE3ELS4_3ELS4_3ELNS0_20block_scan_algorithmE0ELj4294967295EEENS1_25partition_config_selectorILNS1_17partition_subalgoE3EjNS0_10empty_typeEbEEZZNS1_14partition_implILS8_3ELb0ES6_jNS0_17counting_iteratorIjlEEPS9_SE_NS0_5tupleIJPjSE_EEENSF_IJSE_SE_EEES9_SG_JZNS1_25segmented_radix_sort_implINS0_14default_configELb1EPKaPaPKlPlN2at6native12_GLOBAL__N_18offset_tEEE10hipError_tPvRmT1_PNSt15iterator_traitsISY_E10value_typeET2_T3_PNSZ_IS14_E10value_typeET4_jRbjT5_S1A_jjP12ihipStream_tbEUljE_EEESV_SW_SX_S14_S18_S1A_T6_T7_T9_mT8_S1C_bDpT10_ENKUlT_T0_E_clISt17integral_constantIbLb0EES1P_EEDaS1K_S1L_EUlS1K_E_NS1_11comp_targetILNS1_3genE3ELNS1_11target_archE908ELNS1_3gpuE7ELNS1_3repE0EEENS1_30default_config_static_selectorELNS0_4arch9wavefront6targetE0EEEvSY_
		.amdhsa_group_segment_fixed_size 0
		.amdhsa_private_segment_fixed_size 0
		.amdhsa_kernarg_size 144
		.amdhsa_user_sgpr_count 2
		.amdhsa_user_sgpr_dispatch_ptr 0
		.amdhsa_user_sgpr_queue_ptr 0
		.amdhsa_user_sgpr_kernarg_segment_ptr 1
		.amdhsa_user_sgpr_dispatch_id 0
		.amdhsa_user_sgpr_private_segment_size 0
		.amdhsa_wavefront_size32 1
		.amdhsa_uses_dynamic_stack 0
		.amdhsa_enable_private_segment 0
		.amdhsa_system_sgpr_workgroup_id_x 1
		.amdhsa_system_sgpr_workgroup_id_y 0
		.amdhsa_system_sgpr_workgroup_id_z 0
		.amdhsa_system_sgpr_workgroup_info 0
		.amdhsa_system_vgpr_workitem_id 0
		.amdhsa_next_free_vgpr 1
		.amdhsa_next_free_sgpr 1
		.amdhsa_reserve_vcc 0
		.amdhsa_float_round_mode_32 0
		.amdhsa_float_round_mode_16_64 0
		.amdhsa_float_denorm_mode_32 3
		.amdhsa_float_denorm_mode_16_64 3
		.amdhsa_fp16_overflow 0
		.amdhsa_workgroup_processor_mode 1
		.amdhsa_memory_ordered 1
		.amdhsa_forward_progress 1
		.amdhsa_inst_pref_size 0
		.amdhsa_round_robin_scheduling 0
		.amdhsa_exception_fp_ieee_invalid_op 0
		.amdhsa_exception_fp_denorm_src 0
		.amdhsa_exception_fp_ieee_div_zero 0
		.amdhsa_exception_fp_ieee_overflow 0
		.amdhsa_exception_fp_ieee_underflow 0
		.amdhsa_exception_fp_ieee_inexact 0
		.amdhsa_exception_int_div_zero 0
	.end_amdhsa_kernel
	.section	.text._ZN7rocprim17ROCPRIM_400000_NS6detail17trampoline_kernelINS0_13select_configILj256ELj13ELNS0_17block_load_methodE3ELS4_3ELS4_3ELNS0_20block_scan_algorithmE0ELj4294967295EEENS1_25partition_config_selectorILNS1_17partition_subalgoE3EjNS0_10empty_typeEbEEZZNS1_14partition_implILS8_3ELb0ES6_jNS0_17counting_iteratorIjlEEPS9_SE_NS0_5tupleIJPjSE_EEENSF_IJSE_SE_EEES9_SG_JZNS1_25segmented_radix_sort_implINS0_14default_configELb1EPKaPaPKlPlN2at6native12_GLOBAL__N_18offset_tEEE10hipError_tPvRmT1_PNSt15iterator_traitsISY_E10value_typeET2_T3_PNSZ_IS14_E10value_typeET4_jRbjT5_S1A_jjP12ihipStream_tbEUljE_EEESV_SW_SX_S14_S18_S1A_T6_T7_T9_mT8_S1C_bDpT10_ENKUlT_T0_E_clISt17integral_constantIbLb0EES1P_EEDaS1K_S1L_EUlS1K_E_NS1_11comp_targetILNS1_3genE3ELNS1_11target_archE908ELNS1_3gpuE7ELNS1_3repE0EEENS1_30default_config_static_selectorELNS0_4arch9wavefront6targetE0EEEvSY_,"axG",@progbits,_ZN7rocprim17ROCPRIM_400000_NS6detail17trampoline_kernelINS0_13select_configILj256ELj13ELNS0_17block_load_methodE3ELS4_3ELS4_3ELNS0_20block_scan_algorithmE0ELj4294967295EEENS1_25partition_config_selectorILNS1_17partition_subalgoE3EjNS0_10empty_typeEbEEZZNS1_14partition_implILS8_3ELb0ES6_jNS0_17counting_iteratorIjlEEPS9_SE_NS0_5tupleIJPjSE_EEENSF_IJSE_SE_EEES9_SG_JZNS1_25segmented_radix_sort_implINS0_14default_configELb1EPKaPaPKlPlN2at6native12_GLOBAL__N_18offset_tEEE10hipError_tPvRmT1_PNSt15iterator_traitsISY_E10value_typeET2_T3_PNSZ_IS14_E10value_typeET4_jRbjT5_S1A_jjP12ihipStream_tbEUljE_EEESV_SW_SX_S14_S18_S1A_T6_T7_T9_mT8_S1C_bDpT10_ENKUlT_T0_E_clISt17integral_constantIbLb0EES1P_EEDaS1K_S1L_EUlS1K_E_NS1_11comp_targetILNS1_3genE3ELNS1_11target_archE908ELNS1_3gpuE7ELNS1_3repE0EEENS1_30default_config_static_selectorELNS0_4arch9wavefront6targetE0EEEvSY_,comdat
.Lfunc_end261:
	.size	_ZN7rocprim17ROCPRIM_400000_NS6detail17trampoline_kernelINS0_13select_configILj256ELj13ELNS0_17block_load_methodE3ELS4_3ELS4_3ELNS0_20block_scan_algorithmE0ELj4294967295EEENS1_25partition_config_selectorILNS1_17partition_subalgoE3EjNS0_10empty_typeEbEEZZNS1_14partition_implILS8_3ELb0ES6_jNS0_17counting_iteratorIjlEEPS9_SE_NS0_5tupleIJPjSE_EEENSF_IJSE_SE_EEES9_SG_JZNS1_25segmented_radix_sort_implINS0_14default_configELb1EPKaPaPKlPlN2at6native12_GLOBAL__N_18offset_tEEE10hipError_tPvRmT1_PNSt15iterator_traitsISY_E10value_typeET2_T3_PNSZ_IS14_E10value_typeET4_jRbjT5_S1A_jjP12ihipStream_tbEUljE_EEESV_SW_SX_S14_S18_S1A_T6_T7_T9_mT8_S1C_bDpT10_ENKUlT_T0_E_clISt17integral_constantIbLb0EES1P_EEDaS1K_S1L_EUlS1K_E_NS1_11comp_targetILNS1_3genE3ELNS1_11target_archE908ELNS1_3gpuE7ELNS1_3repE0EEENS1_30default_config_static_selectorELNS0_4arch9wavefront6targetE0EEEvSY_, .Lfunc_end261-_ZN7rocprim17ROCPRIM_400000_NS6detail17trampoline_kernelINS0_13select_configILj256ELj13ELNS0_17block_load_methodE3ELS4_3ELS4_3ELNS0_20block_scan_algorithmE0ELj4294967295EEENS1_25partition_config_selectorILNS1_17partition_subalgoE3EjNS0_10empty_typeEbEEZZNS1_14partition_implILS8_3ELb0ES6_jNS0_17counting_iteratorIjlEEPS9_SE_NS0_5tupleIJPjSE_EEENSF_IJSE_SE_EEES9_SG_JZNS1_25segmented_radix_sort_implINS0_14default_configELb1EPKaPaPKlPlN2at6native12_GLOBAL__N_18offset_tEEE10hipError_tPvRmT1_PNSt15iterator_traitsISY_E10value_typeET2_T3_PNSZ_IS14_E10value_typeET4_jRbjT5_S1A_jjP12ihipStream_tbEUljE_EEESV_SW_SX_S14_S18_S1A_T6_T7_T9_mT8_S1C_bDpT10_ENKUlT_T0_E_clISt17integral_constantIbLb0EES1P_EEDaS1K_S1L_EUlS1K_E_NS1_11comp_targetILNS1_3genE3ELNS1_11target_archE908ELNS1_3gpuE7ELNS1_3repE0EEENS1_30default_config_static_selectorELNS0_4arch9wavefront6targetE0EEEvSY_
                                        ; -- End function
	.set _ZN7rocprim17ROCPRIM_400000_NS6detail17trampoline_kernelINS0_13select_configILj256ELj13ELNS0_17block_load_methodE3ELS4_3ELS4_3ELNS0_20block_scan_algorithmE0ELj4294967295EEENS1_25partition_config_selectorILNS1_17partition_subalgoE3EjNS0_10empty_typeEbEEZZNS1_14partition_implILS8_3ELb0ES6_jNS0_17counting_iteratorIjlEEPS9_SE_NS0_5tupleIJPjSE_EEENSF_IJSE_SE_EEES9_SG_JZNS1_25segmented_radix_sort_implINS0_14default_configELb1EPKaPaPKlPlN2at6native12_GLOBAL__N_18offset_tEEE10hipError_tPvRmT1_PNSt15iterator_traitsISY_E10value_typeET2_T3_PNSZ_IS14_E10value_typeET4_jRbjT5_S1A_jjP12ihipStream_tbEUljE_EEESV_SW_SX_S14_S18_S1A_T6_T7_T9_mT8_S1C_bDpT10_ENKUlT_T0_E_clISt17integral_constantIbLb0EES1P_EEDaS1K_S1L_EUlS1K_E_NS1_11comp_targetILNS1_3genE3ELNS1_11target_archE908ELNS1_3gpuE7ELNS1_3repE0EEENS1_30default_config_static_selectorELNS0_4arch9wavefront6targetE0EEEvSY_.num_vgpr, 0
	.set _ZN7rocprim17ROCPRIM_400000_NS6detail17trampoline_kernelINS0_13select_configILj256ELj13ELNS0_17block_load_methodE3ELS4_3ELS4_3ELNS0_20block_scan_algorithmE0ELj4294967295EEENS1_25partition_config_selectorILNS1_17partition_subalgoE3EjNS0_10empty_typeEbEEZZNS1_14partition_implILS8_3ELb0ES6_jNS0_17counting_iteratorIjlEEPS9_SE_NS0_5tupleIJPjSE_EEENSF_IJSE_SE_EEES9_SG_JZNS1_25segmented_radix_sort_implINS0_14default_configELb1EPKaPaPKlPlN2at6native12_GLOBAL__N_18offset_tEEE10hipError_tPvRmT1_PNSt15iterator_traitsISY_E10value_typeET2_T3_PNSZ_IS14_E10value_typeET4_jRbjT5_S1A_jjP12ihipStream_tbEUljE_EEESV_SW_SX_S14_S18_S1A_T6_T7_T9_mT8_S1C_bDpT10_ENKUlT_T0_E_clISt17integral_constantIbLb0EES1P_EEDaS1K_S1L_EUlS1K_E_NS1_11comp_targetILNS1_3genE3ELNS1_11target_archE908ELNS1_3gpuE7ELNS1_3repE0EEENS1_30default_config_static_selectorELNS0_4arch9wavefront6targetE0EEEvSY_.num_agpr, 0
	.set _ZN7rocprim17ROCPRIM_400000_NS6detail17trampoline_kernelINS0_13select_configILj256ELj13ELNS0_17block_load_methodE3ELS4_3ELS4_3ELNS0_20block_scan_algorithmE0ELj4294967295EEENS1_25partition_config_selectorILNS1_17partition_subalgoE3EjNS0_10empty_typeEbEEZZNS1_14partition_implILS8_3ELb0ES6_jNS0_17counting_iteratorIjlEEPS9_SE_NS0_5tupleIJPjSE_EEENSF_IJSE_SE_EEES9_SG_JZNS1_25segmented_radix_sort_implINS0_14default_configELb1EPKaPaPKlPlN2at6native12_GLOBAL__N_18offset_tEEE10hipError_tPvRmT1_PNSt15iterator_traitsISY_E10value_typeET2_T3_PNSZ_IS14_E10value_typeET4_jRbjT5_S1A_jjP12ihipStream_tbEUljE_EEESV_SW_SX_S14_S18_S1A_T6_T7_T9_mT8_S1C_bDpT10_ENKUlT_T0_E_clISt17integral_constantIbLb0EES1P_EEDaS1K_S1L_EUlS1K_E_NS1_11comp_targetILNS1_3genE3ELNS1_11target_archE908ELNS1_3gpuE7ELNS1_3repE0EEENS1_30default_config_static_selectorELNS0_4arch9wavefront6targetE0EEEvSY_.numbered_sgpr, 0
	.set _ZN7rocprim17ROCPRIM_400000_NS6detail17trampoline_kernelINS0_13select_configILj256ELj13ELNS0_17block_load_methodE3ELS4_3ELS4_3ELNS0_20block_scan_algorithmE0ELj4294967295EEENS1_25partition_config_selectorILNS1_17partition_subalgoE3EjNS0_10empty_typeEbEEZZNS1_14partition_implILS8_3ELb0ES6_jNS0_17counting_iteratorIjlEEPS9_SE_NS0_5tupleIJPjSE_EEENSF_IJSE_SE_EEES9_SG_JZNS1_25segmented_radix_sort_implINS0_14default_configELb1EPKaPaPKlPlN2at6native12_GLOBAL__N_18offset_tEEE10hipError_tPvRmT1_PNSt15iterator_traitsISY_E10value_typeET2_T3_PNSZ_IS14_E10value_typeET4_jRbjT5_S1A_jjP12ihipStream_tbEUljE_EEESV_SW_SX_S14_S18_S1A_T6_T7_T9_mT8_S1C_bDpT10_ENKUlT_T0_E_clISt17integral_constantIbLb0EES1P_EEDaS1K_S1L_EUlS1K_E_NS1_11comp_targetILNS1_3genE3ELNS1_11target_archE908ELNS1_3gpuE7ELNS1_3repE0EEENS1_30default_config_static_selectorELNS0_4arch9wavefront6targetE0EEEvSY_.num_named_barrier, 0
	.set _ZN7rocprim17ROCPRIM_400000_NS6detail17trampoline_kernelINS0_13select_configILj256ELj13ELNS0_17block_load_methodE3ELS4_3ELS4_3ELNS0_20block_scan_algorithmE0ELj4294967295EEENS1_25partition_config_selectorILNS1_17partition_subalgoE3EjNS0_10empty_typeEbEEZZNS1_14partition_implILS8_3ELb0ES6_jNS0_17counting_iteratorIjlEEPS9_SE_NS0_5tupleIJPjSE_EEENSF_IJSE_SE_EEES9_SG_JZNS1_25segmented_radix_sort_implINS0_14default_configELb1EPKaPaPKlPlN2at6native12_GLOBAL__N_18offset_tEEE10hipError_tPvRmT1_PNSt15iterator_traitsISY_E10value_typeET2_T3_PNSZ_IS14_E10value_typeET4_jRbjT5_S1A_jjP12ihipStream_tbEUljE_EEESV_SW_SX_S14_S18_S1A_T6_T7_T9_mT8_S1C_bDpT10_ENKUlT_T0_E_clISt17integral_constantIbLb0EES1P_EEDaS1K_S1L_EUlS1K_E_NS1_11comp_targetILNS1_3genE3ELNS1_11target_archE908ELNS1_3gpuE7ELNS1_3repE0EEENS1_30default_config_static_selectorELNS0_4arch9wavefront6targetE0EEEvSY_.private_seg_size, 0
	.set _ZN7rocprim17ROCPRIM_400000_NS6detail17trampoline_kernelINS0_13select_configILj256ELj13ELNS0_17block_load_methodE3ELS4_3ELS4_3ELNS0_20block_scan_algorithmE0ELj4294967295EEENS1_25partition_config_selectorILNS1_17partition_subalgoE3EjNS0_10empty_typeEbEEZZNS1_14partition_implILS8_3ELb0ES6_jNS0_17counting_iteratorIjlEEPS9_SE_NS0_5tupleIJPjSE_EEENSF_IJSE_SE_EEES9_SG_JZNS1_25segmented_radix_sort_implINS0_14default_configELb1EPKaPaPKlPlN2at6native12_GLOBAL__N_18offset_tEEE10hipError_tPvRmT1_PNSt15iterator_traitsISY_E10value_typeET2_T3_PNSZ_IS14_E10value_typeET4_jRbjT5_S1A_jjP12ihipStream_tbEUljE_EEESV_SW_SX_S14_S18_S1A_T6_T7_T9_mT8_S1C_bDpT10_ENKUlT_T0_E_clISt17integral_constantIbLb0EES1P_EEDaS1K_S1L_EUlS1K_E_NS1_11comp_targetILNS1_3genE3ELNS1_11target_archE908ELNS1_3gpuE7ELNS1_3repE0EEENS1_30default_config_static_selectorELNS0_4arch9wavefront6targetE0EEEvSY_.uses_vcc, 0
	.set _ZN7rocprim17ROCPRIM_400000_NS6detail17trampoline_kernelINS0_13select_configILj256ELj13ELNS0_17block_load_methodE3ELS4_3ELS4_3ELNS0_20block_scan_algorithmE0ELj4294967295EEENS1_25partition_config_selectorILNS1_17partition_subalgoE3EjNS0_10empty_typeEbEEZZNS1_14partition_implILS8_3ELb0ES6_jNS0_17counting_iteratorIjlEEPS9_SE_NS0_5tupleIJPjSE_EEENSF_IJSE_SE_EEES9_SG_JZNS1_25segmented_radix_sort_implINS0_14default_configELb1EPKaPaPKlPlN2at6native12_GLOBAL__N_18offset_tEEE10hipError_tPvRmT1_PNSt15iterator_traitsISY_E10value_typeET2_T3_PNSZ_IS14_E10value_typeET4_jRbjT5_S1A_jjP12ihipStream_tbEUljE_EEESV_SW_SX_S14_S18_S1A_T6_T7_T9_mT8_S1C_bDpT10_ENKUlT_T0_E_clISt17integral_constantIbLb0EES1P_EEDaS1K_S1L_EUlS1K_E_NS1_11comp_targetILNS1_3genE3ELNS1_11target_archE908ELNS1_3gpuE7ELNS1_3repE0EEENS1_30default_config_static_selectorELNS0_4arch9wavefront6targetE0EEEvSY_.uses_flat_scratch, 0
	.set _ZN7rocprim17ROCPRIM_400000_NS6detail17trampoline_kernelINS0_13select_configILj256ELj13ELNS0_17block_load_methodE3ELS4_3ELS4_3ELNS0_20block_scan_algorithmE0ELj4294967295EEENS1_25partition_config_selectorILNS1_17partition_subalgoE3EjNS0_10empty_typeEbEEZZNS1_14partition_implILS8_3ELb0ES6_jNS0_17counting_iteratorIjlEEPS9_SE_NS0_5tupleIJPjSE_EEENSF_IJSE_SE_EEES9_SG_JZNS1_25segmented_radix_sort_implINS0_14default_configELb1EPKaPaPKlPlN2at6native12_GLOBAL__N_18offset_tEEE10hipError_tPvRmT1_PNSt15iterator_traitsISY_E10value_typeET2_T3_PNSZ_IS14_E10value_typeET4_jRbjT5_S1A_jjP12ihipStream_tbEUljE_EEESV_SW_SX_S14_S18_S1A_T6_T7_T9_mT8_S1C_bDpT10_ENKUlT_T0_E_clISt17integral_constantIbLb0EES1P_EEDaS1K_S1L_EUlS1K_E_NS1_11comp_targetILNS1_3genE3ELNS1_11target_archE908ELNS1_3gpuE7ELNS1_3repE0EEENS1_30default_config_static_selectorELNS0_4arch9wavefront6targetE0EEEvSY_.has_dyn_sized_stack, 0
	.set _ZN7rocprim17ROCPRIM_400000_NS6detail17trampoline_kernelINS0_13select_configILj256ELj13ELNS0_17block_load_methodE3ELS4_3ELS4_3ELNS0_20block_scan_algorithmE0ELj4294967295EEENS1_25partition_config_selectorILNS1_17partition_subalgoE3EjNS0_10empty_typeEbEEZZNS1_14partition_implILS8_3ELb0ES6_jNS0_17counting_iteratorIjlEEPS9_SE_NS0_5tupleIJPjSE_EEENSF_IJSE_SE_EEES9_SG_JZNS1_25segmented_radix_sort_implINS0_14default_configELb1EPKaPaPKlPlN2at6native12_GLOBAL__N_18offset_tEEE10hipError_tPvRmT1_PNSt15iterator_traitsISY_E10value_typeET2_T3_PNSZ_IS14_E10value_typeET4_jRbjT5_S1A_jjP12ihipStream_tbEUljE_EEESV_SW_SX_S14_S18_S1A_T6_T7_T9_mT8_S1C_bDpT10_ENKUlT_T0_E_clISt17integral_constantIbLb0EES1P_EEDaS1K_S1L_EUlS1K_E_NS1_11comp_targetILNS1_3genE3ELNS1_11target_archE908ELNS1_3gpuE7ELNS1_3repE0EEENS1_30default_config_static_selectorELNS0_4arch9wavefront6targetE0EEEvSY_.has_recursion, 0
	.set _ZN7rocprim17ROCPRIM_400000_NS6detail17trampoline_kernelINS0_13select_configILj256ELj13ELNS0_17block_load_methodE3ELS4_3ELS4_3ELNS0_20block_scan_algorithmE0ELj4294967295EEENS1_25partition_config_selectorILNS1_17partition_subalgoE3EjNS0_10empty_typeEbEEZZNS1_14partition_implILS8_3ELb0ES6_jNS0_17counting_iteratorIjlEEPS9_SE_NS0_5tupleIJPjSE_EEENSF_IJSE_SE_EEES9_SG_JZNS1_25segmented_radix_sort_implINS0_14default_configELb1EPKaPaPKlPlN2at6native12_GLOBAL__N_18offset_tEEE10hipError_tPvRmT1_PNSt15iterator_traitsISY_E10value_typeET2_T3_PNSZ_IS14_E10value_typeET4_jRbjT5_S1A_jjP12ihipStream_tbEUljE_EEESV_SW_SX_S14_S18_S1A_T6_T7_T9_mT8_S1C_bDpT10_ENKUlT_T0_E_clISt17integral_constantIbLb0EES1P_EEDaS1K_S1L_EUlS1K_E_NS1_11comp_targetILNS1_3genE3ELNS1_11target_archE908ELNS1_3gpuE7ELNS1_3repE0EEENS1_30default_config_static_selectorELNS0_4arch9wavefront6targetE0EEEvSY_.has_indirect_call, 0
	.section	.AMDGPU.csdata,"",@progbits
; Kernel info:
; codeLenInByte = 0
; TotalNumSgprs: 0
; NumVgprs: 0
; ScratchSize: 0
; MemoryBound: 0
; FloatMode: 240
; IeeeMode: 1
; LDSByteSize: 0 bytes/workgroup (compile time only)
; SGPRBlocks: 0
; VGPRBlocks: 0
; NumSGPRsForWavesPerEU: 1
; NumVGPRsForWavesPerEU: 1
; Occupancy: 16
; WaveLimiterHint : 0
; COMPUTE_PGM_RSRC2:SCRATCH_EN: 0
; COMPUTE_PGM_RSRC2:USER_SGPR: 2
; COMPUTE_PGM_RSRC2:TRAP_HANDLER: 0
; COMPUTE_PGM_RSRC2:TGID_X_EN: 1
; COMPUTE_PGM_RSRC2:TGID_Y_EN: 0
; COMPUTE_PGM_RSRC2:TGID_Z_EN: 0
; COMPUTE_PGM_RSRC2:TIDIG_COMP_CNT: 0
	.section	.text._ZN7rocprim17ROCPRIM_400000_NS6detail17trampoline_kernelINS0_13select_configILj256ELj13ELNS0_17block_load_methodE3ELS4_3ELS4_3ELNS0_20block_scan_algorithmE0ELj4294967295EEENS1_25partition_config_selectorILNS1_17partition_subalgoE3EjNS0_10empty_typeEbEEZZNS1_14partition_implILS8_3ELb0ES6_jNS0_17counting_iteratorIjlEEPS9_SE_NS0_5tupleIJPjSE_EEENSF_IJSE_SE_EEES9_SG_JZNS1_25segmented_radix_sort_implINS0_14default_configELb1EPKaPaPKlPlN2at6native12_GLOBAL__N_18offset_tEEE10hipError_tPvRmT1_PNSt15iterator_traitsISY_E10value_typeET2_T3_PNSZ_IS14_E10value_typeET4_jRbjT5_S1A_jjP12ihipStream_tbEUljE_EEESV_SW_SX_S14_S18_S1A_T6_T7_T9_mT8_S1C_bDpT10_ENKUlT_T0_E_clISt17integral_constantIbLb0EES1P_EEDaS1K_S1L_EUlS1K_E_NS1_11comp_targetILNS1_3genE2ELNS1_11target_archE906ELNS1_3gpuE6ELNS1_3repE0EEENS1_30default_config_static_selectorELNS0_4arch9wavefront6targetE0EEEvSY_,"axG",@progbits,_ZN7rocprim17ROCPRIM_400000_NS6detail17trampoline_kernelINS0_13select_configILj256ELj13ELNS0_17block_load_methodE3ELS4_3ELS4_3ELNS0_20block_scan_algorithmE0ELj4294967295EEENS1_25partition_config_selectorILNS1_17partition_subalgoE3EjNS0_10empty_typeEbEEZZNS1_14partition_implILS8_3ELb0ES6_jNS0_17counting_iteratorIjlEEPS9_SE_NS0_5tupleIJPjSE_EEENSF_IJSE_SE_EEES9_SG_JZNS1_25segmented_radix_sort_implINS0_14default_configELb1EPKaPaPKlPlN2at6native12_GLOBAL__N_18offset_tEEE10hipError_tPvRmT1_PNSt15iterator_traitsISY_E10value_typeET2_T3_PNSZ_IS14_E10value_typeET4_jRbjT5_S1A_jjP12ihipStream_tbEUljE_EEESV_SW_SX_S14_S18_S1A_T6_T7_T9_mT8_S1C_bDpT10_ENKUlT_T0_E_clISt17integral_constantIbLb0EES1P_EEDaS1K_S1L_EUlS1K_E_NS1_11comp_targetILNS1_3genE2ELNS1_11target_archE906ELNS1_3gpuE6ELNS1_3repE0EEENS1_30default_config_static_selectorELNS0_4arch9wavefront6targetE0EEEvSY_,comdat
	.globl	_ZN7rocprim17ROCPRIM_400000_NS6detail17trampoline_kernelINS0_13select_configILj256ELj13ELNS0_17block_load_methodE3ELS4_3ELS4_3ELNS0_20block_scan_algorithmE0ELj4294967295EEENS1_25partition_config_selectorILNS1_17partition_subalgoE3EjNS0_10empty_typeEbEEZZNS1_14partition_implILS8_3ELb0ES6_jNS0_17counting_iteratorIjlEEPS9_SE_NS0_5tupleIJPjSE_EEENSF_IJSE_SE_EEES9_SG_JZNS1_25segmented_radix_sort_implINS0_14default_configELb1EPKaPaPKlPlN2at6native12_GLOBAL__N_18offset_tEEE10hipError_tPvRmT1_PNSt15iterator_traitsISY_E10value_typeET2_T3_PNSZ_IS14_E10value_typeET4_jRbjT5_S1A_jjP12ihipStream_tbEUljE_EEESV_SW_SX_S14_S18_S1A_T6_T7_T9_mT8_S1C_bDpT10_ENKUlT_T0_E_clISt17integral_constantIbLb0EES1P_EEDaS1K_S1L_EUlS1K_E_NS1_11comp_targetILNS1_3genE2ELNS1_11target_archE906ELNS1_3gpuE6ELNS1_3repE0EEENS1_30default_config_static_selectorELNS0_4arch9wavefront6targetE0EEEvSY_ ; -- Begin function _ZN7rocprim17ROCPRIM_400000_NS6detail17trampoline_kernelINS0_13select_configILj256ELj13ELNS0_17block_load_methodE3ELS4_3ELS4_3ELNS0_20block_scan_algorithmE0ELj4294967295EEENS1_25partition_config_selectorILNS1_17partition_subalgoE3EjNS0_10empty_typeEbEEZZNS1_14partition_implILS8_3ELb0ES6_jNS0_17counting_iteratorIjlEEPS9_SE_NS0_5tupleIJPjSE_EEENSF_IJSE_SE_EEES9_SG_JZNS1_25segmented_radix_sort_implINS0_14default_configELb1EPKaPaPKlPlN2at6native12_GLOBAL__N_18offset_tEEE10hipError_tPvRmT1_PNSt15iterator_traitsISY_E10value_typeET2_T3_PNSZ_IS14_E10value_typeET4_jRbjT5_S1A_jjP12ihipStream_tbEUljE_EEESV_SW_SX_S14_S18_S1A_T6_T7_T9_mT8_S1C_bDpT10_ENKUlT_T0_E_clISt17integral_constantIbLb0EES1P_EEDaS1K_S1L_EUlS1K_E_NS1_11comp_targetILNS1_3genE2ELNS1_11target_archE906ELNS1_3gpuE6ELNS1_3repE0EEENS1_30default_config_static_selectorELNS0_4arch9wavefront6targetE0EEEvSY_
	.p2align	8
	.type	_ZN7rocprim17ROCPRIM_400000_NS6detail17trampoline_kernelINS0_13select_configILj256ELj13ELNS0_17block_load_methodE3ELS4_3ELS4_3ELNS0_20block_scan_algorithmE0ELj4294967295EEENS1_25partition_config_selectorILNS1_17partition_subalgoE3EjNS0_10empty_typeEbEEZZNS1_14partition_implILS8_3ELb0ES6_jNS0_17counting_iteratorIjlEEPS9_SE_NS0_5tupleIJPjSE_EEENSF_IJSE_SE_EEES9_SG_JZNS1_25segmented_radix_sort_implINS0_14default_configELb1EPKaPaPKlPlN2at6native12_GLOBAL__N_18offset_tEEE10hipError_tPvRmT1_PNSt15iterator_traitsISY_E10value_typeET2_T3_PNSZ_IS14_E10value_typeET4_jRbjT5_S1A_jjP12ihipStream_tbEUljE_EEESV_SW_SX_S14_S18_S1A_T6_T7_T9_mT8_S1C_bDpT10_ENKUlT_T0_E_clISt17integral_constantIbLb0EES1P_EEDaS1K_S1L_EUlS1K_E_NS1_11comp_targetILNS1_3genE2ELNS1_11target_archE906ELNS1_3gpuE6ELNS1_3repE0EEENS1_30default_config_static_selectorELNS0_4arch9wavefront6targetE0EEEvSY_,@function
_ZN7rocprim17ROCPRIM_400000_NS6detail17trampoline_kernelINS0_13select_configILj256ELj13ELNS0_17block_load_methodE3ELS4_3ELS4_3ELNS0_20block_scan_algorithmE0ELj4294967295EEENS1_25partition_config_selectorILNS1_17partition_subalgoE3EjNS0_10empty_typeEbEEZZNS1_14partition_implILS8_3ELb0ES6_jNS0_17counting_iteratorIjlEEPS9_SE_NS0_5tupleIJPjSE_EEENSF_IJSE_SE_EEES9_SG_JZNS1_25segmented_radix_sort_implINS0_14default_configELb1EPKaPaPKlPlN2at6native12_GLOBAL__N_18offset_tEEE10hipError_tPvRmT1_PNSt15iterator_traitsISY_E10value_typeET2_T3_PNSZ_IS14_E10value_typeET4_jRbjT5_S1A_jjP12ihipStream_tbEUljE_EEESV_SW_SX_S14_S18_S1A_T6_T7_T9_mT8_S1C_bDpT10_ENKUlT_T0_E_clISt17integral_constantIbLb0EES1P_EEDaS1K_S1L_EUlS1K_E_NS1_11comp_targetILNS1_3genE2ELNS1_11target_archE906ELNS1_3gpuE6ELNS1_3repE0EEENS1_30default_config_static_selectorELNS0_4arch9wavefront6targetE0EEEvSY_: ; @_ZN7rocprim17ROCPRIM_400000_NS6detail17trampoline_kernelINS0_13select_configILj256ELj13ELNS0_17block_load_methodE3ELS4_3ELS4_3ELNS0_20block_scan_algorithmE0ELj4294967295EEENS1_25partition_config_selectorILNS1_17partition_subalgoE3EjNS0_10empty_typeEbEEZZNS1_14partition_implILS8_3ELb0ES6_jNS0_17counting_iteratorIjlEEPS9_SE_NS0_5tupleIJPjSE_EEENSF_IJSE_SE_EEES9_SG_JZNS1_25segmented_radix_sort_implINS0_14default_configELb1EPKaPaPKlPlN2at6native12_GLOBAL__N_18offset_tEEE10hipError_tPvRmT1_PNSt15iterator_traitsISY_E10value_typeET2_T3_PNSZ_IS14_E10value_typeET4_jRbjT5_S1A_jjP12ihipStream_tbEUljE_EEESV_SW_SX_S14_S18_S1A_T6_T7_T9_mT8_S1C_bDpT10_ENKUlT_T0_E_clISt17integral_constantIbLb0EES1P_EEDaS1K_S1L_EUlS1K_E_NS1_11comp_targetILNS1_3genE2ELNS1_11target_archE906ELNS1_3gpuE6ELNS1_3repE0EEENS1_30default_config_static_selectorELNS0_4arch9wavefront6targetE0EEEvSY_
; %bb.0:
	.section	.rodata,"a",@progbits
	.p2align	6, 0x0
	.amdhsa_kernel _ZN7rocprim17ROCPRIM_400000_NS6detail17trampoline_kernelINS0_13select_configILj256ELj13ELNS0_17block_load_methodE3ELS4_3ELS4_3ELNS0_20block_scan_algorithmE0ELj4294967295EEENS1_25partition_config_selectorILNS1_17partition_subalgoE3EjNS0_10empty_typeEbEEZZNS1_14partition_implILS8_3ELb0ES6_jNS0_17counting_iteratorIjlEEPS9_SE_NS0_5tupleIJPjSE_EEENSF_IJSE_SE_EEES9_SG_JZNS1_25segmented_radix_sort_implINS0_14default_configELb1EPKaPaPKlPlN2at6native12_GLOBAL__N_18offset_tEEE10hipError_tPvRmT1_PNSt15iterator_traitsISY_E10value_typeET2_T3_PNSZ_IS14_E10value_typeET4_jRbjT5_S1A_jjP12ihipStream_tbEUljE_EEESV_SW_SX_S14_S18_S1A_T6_T7_T9_mT8_S1C_bDpT10_ENKUlT_T0_E_clISt17integral_constantIbLb0EES1P_EEDaS1K_S1L_EUlS1K_E_NS1_11comp_targetILNS1_3genE2ELNS1_11target_archE906ELNS1_3gpuE6ELNS1_3repE0EEENS1_30default_config_static_selectorELNS0_4arch9wavefront6targetE0EEEvSY_
		.amdhsa_group_segment_fixed_size 0
		.amdhsa_private_segment_fixed_size 0
		.amdhsa_kernarg_size 144
		.amdhsa_user_sgpr_count 2
		.amdhsa_user_sgpr_dispatch_ptr 0
		.amdhsa_user_sgpr_queue_ptr 0
		.amdhsa_user_sgpr_kernarg_segment_ptr 1
		.amdhsa_user_sgpr_dispatch_id 0
		.amdhsa_user_sgpr_private_segment_size 0
		.amdhsa_wavefront_size32 1
		.amdhsa_uses_dynamic_stack 0
		.amdhsa_enable_private_segment 0
		.amdhsa_system_sgpr_workgroup_id_x 1
		.amdhsa_system_sgpr_workgroup_id_y 0
		.amdhsa_system_sgpr_workgroup_id_z 0
		.amdhsa_system_sgpr_workgroup_info 0
		.amdhsa_system_vgpr_workitem_id 0
		.amdhsa_next_free_vgpr 1
		.amdhsa_next_free_sgpr 1
		.amdhsa_reserve_vcc 0
		.amdhsa_float_round_mode_32 0
		.amdhsa_float_round_mode_16_64 0
		.amdhsa_float_denorm_mode_32 3
		.amdhsa_float_denorm_mode_16_64 3
		.amdhsa_fp16_overflow 0
		.amdhsa_workgroup_processor_mode 1
		.amdhsa_memory_ordered 1
		.amdhsa_forward_progress 1
		.amdhsa_inst_pref_size 0
		.amdhsa_round_robin_scheduling 0
		.amdhsa_exception_fp_ieee_invalid_op 0
		.amdhsa_exception_fp_denorm_src 0
		.amdhsa_exception_fp_ieee_div_zero 0
		.amdhsa_exception_fp_ieee_overflow 0
		.amdhsa_exception_fp_ieee_underflow 0
		.amdhsa_exception_fp_ieee_inexact 0
		.amdhsa_exception_int_div_zero 0
	.end_amdhsa_kernel
	.section	.text._ZN7rocprim17ROCPRIM_400000_NS6detail17trampoline_kernelINS0_13select_configILj256ELj13ELNS0_17block_load_methodE3ELS4_3ELS4_3ELNS0_20block_scan_algorithmE0ELj4294967295EEENS1_25partition_config_selectorILNS1_17partition_subalgoE3EjNS0_10empty_typeEbEEZZNS1_14partition_implILS8_3ELb0ES6_jNS0_17counting_iteratorIjlEEPS9_SE_NS0_5tupleIJPjSE_EEENSF_IJSE_SE_EEES9_SG_JZNS1_25segmented_radix_sort_implINS0_14default_configELb1EPKaPaPKlPlN2at6native12_GLOBAL__N_18offset_tEEE10hipError_tPvRmT1_PNSt15iterator_traitsISY_E10value_typeET2_T3_PNSZ_IS14_E10value_typeET4_jRbjT5_S1A_jjP12ihipStream_tbEUljE_EEESV_SW_SX_S14_S18_S1A_T6_T7_T9_mT8_S1C_bDpT10_ENKUlT_T0_E_clISt17integral_constantIbLb0EES1P_EEDaS1K_S1L_EUlS1K_E_NS1_11comp_targetILNS1_3genE2ELNS1_11target_archE906ELNS1_3gpuE6ELNS1_3repE0EEENS1_30default_config_static_selectorELNS0_4arch9wavefront6targetE0EEEvSY_,"axG",@progbits,_ZN7rocprim17ROCPRIM_400000_NS6detail17trampoline_kernelINS0_13select_configILj256ELj13ELNS0_17block_load_methodE3ELS4_3ELS4_3ELNS0_20block_scan_algorithmE0ELj4294967295EEENS1_25partition_config_selectorILNS1_17partition_subalgoE3EjNS0_10empty_typeEbEEZZNS1_14partition_implILS8_3ELb0ES6_jNS0_17counting_iteratorIjlEEPS9_SE_NS0_5tupleIJPjSE_EEENSF_IJSE_SE_EEES9_SG_JZNS1_25segmented_radix_sort_implINS0_14default_configELb1EPKaPaPKlPlN2at6native12_GLOBAL__N_18offset_tEEE10hipError_tPvRmT1_PNSt15iterator_traitsISY_E10value_typeET2_T3_PNSZ_IS14_E10value_typeET4_jRbjT5_S1A_jjP12ihipStream_tbEUljE_EEESV_SW_SX_S14_S18_S1A_T6_T7_T9_mT8_S1C_bDpT10_ENKUlT_T0_E_clISt17integral_constantIbLb0EES1P_EEDaS1K_S1L_EUlS1K_E_NS1_11comp_targetILNS1_3genE2ELNS1_11target_archE906ELNS1_3gpuE6ELNS1_3repE0EEENS1_30default_config_static_selectorELNS0_4arch9wavefront6targetE0EEEvSY_,comdat
.Lfunc_end262:
	.size	_ZN7rocprim17ROCPRIM_400000_NS6detail17trampoline_kernelINS0_13select_configILj256ELj13ELNS0_17block_load_methodE3ELS4_3ELS4_3ELNS0_20block_scan_algorithmE0ELj4294967295EEENS1_25partition_config_selectorILNS1_17partition_subalgoE3EjNS0_10empty_typeEbEEZZNS1_14partition_implILS8_3ELb0ES6_jNS0_17counting_iteratorIjlEEPS9_SE_NS0_5tupleIJPjSE_EEENSF_IJSE_SE_EEES9_SG_JZNS1_25segmented_radix_sort_implINS0_14default_configELb1EPKaPaPKlPlN2at6native12_GLOBAL__N_18offset_tEEE10hipError_tPvRmT1_PNSt15iterator_traitsISY_E10value_typeET2_T3_PNSZ_IS14_E10value_typeET4_jRbjT5_S1A_jjP12ihipStream_tbEUljE_EEESV_SW_SX_S14_S18_S1A_T6_T7_T9_mT8_S1C_bDpT10_ENKUlT_T0_E_clISt17integral_constantIbLb0EES1P_EEDaS1K_S1L_EUlS1K_E_NS1_11comp_targetILNS1_3genE2ELNS1_11target_archE906ELNS1_3gpuE6ELNS1_3repE0EEENS1_30default_config_static_selectorELNS0_4arch9wavefront6targetE0EEEvSY_, .Lfunc_end262-_ZN7rocprim17ROCPRIM_400000_NS6detail17trampoline_kernelINS0_13select_configILj256ELj13ELNS0_17block_load_methodE3ELS4_3ELS4_3ELNS0_20block_scan_algorithmE0ELj4294967295EEENS1_25partition_config_selectorILNS1_17partition_subalgoE3EjNS0_10empty_typeEbEEZZNS1_14partition_implILS8_3ELb0ES6_jNS0_17counting_iteratorIjlEEPS9_SE_NS0_5tupleIJPjSE_EEENSF_IJSE_SE_EEES9_SG_JZNS1_25segmented_radix_sort_implINS0_14default_configELb1EPKaPaPKlPlN2at6native12_GLOBAL__N_18offset_tEEE10hipError_tPvRmT1_PNSt15iterator_traitsISY_E10value_typeET2_T3_PNSZ_IS14_E10value_typeET4_jRbjT5_S1A_jjP12ihipStream_tbEUljE_EEESV_SW_SX_S14_S18_S1A_T6_T7_T9_mT8_S1C_bDpT10_ENKUlT_T0_E_clISt17integral_constantIbLb0EES1P_EEDaS1K_S1L_EUlS1K_E_NS1_11comp_targetILNS1_3genE2ELNS1_11target_archE906ELNS1_3gpuE6ELNS1_3repE0EEENS1_30default_config_static_selectorELNS0_4arch9wavefront6targetE0EEEvSY_
                                        ; -- End function
	.set _ZN7rocprim17ROCPRIM_400000_NS6detail17trampoline_kernelINS0_13select_configILj256ELj13ELNS0_17block_load_methodE3ELS4_3ELS4_3ELNS0_20block_scan_algorithmE0ELj4294967295EEENS1_25partition_config_selectorILNS1_17partition_subalgoE3EjNS0_10empty_typeEbEEZZNS1_14partition_implILS8_3ELb0ES6_jNS0_17counting_iteratorIjlEEPS9_SE_NS0_5tupleIJPjSE_EEENSF_IJSE_SE_EEES9_SG_JZNS1_25segmented_radix_sort_implINS0_14default_configELb1EPKaPaPKlPlN2at6native12_GLOBAL__N_18offset_tEEE10hipError_tPvRmT1_PNSt15iterator_traitsISY_E10value_typeET2_T3_PNSZ_IS14_E10value_typeET4_jRbjT5_S1A_jjP12ihipStream_tbEUljE_EEESV_SW_SX_S14_S18_S1A_T6_T7_T9_mT8_S1C_bDpT10_ENKUlT_T0_E_clISt17integral_constantIbLb0EES1P_EEDaS1K_S1L_EUlS1K_E_NS1_11comp_targetILNS1_3genE2ELNS1_11target_archE906ELNS1_3gpuE6ELNS1_3repE0EEENS1_30default_config_static_selectorELNS0_4arch9wavefront6targetE0EEEvSY_.num_vgpr, 0
	.set _ZN7rocprim17ROCPRIM_400000_NS6detail17trampoline_kernelINS0_13select_configILj256ELj13ELNS0_17block_load_methodE3ELS4_3ELS4_3ELNS0_20block_scan_algorithmE0ELj4294967295EEENS1_25partition_config_selectorILNS1_17partition_subalgoE3EjNS0_10empty_typeEbEEZZNS1_14partition_implILS8_3ELb0ES6_jNS0_17counting_iteratorIjlEEPS9_SE_NS0_5tupleIJPjSE_EEENSF_IJSE_SE_EEES9_SG_JZNS1_25segmented_radix_sort_implINS0_14default_configELb1EPKaPaPKlPlN2at6native12_GLOBAL__N_18offset_tEEE10hipError_tPvRmT1_PNSt15iterator_traitsISY_E10value_typeET2_T3_PNSZ_IS14_E10value_typeET4_jRbjT5_S1A_jjP12ihipStream_tbEUljE_EEESV_SW_SX_S14_S18_S1A_T6_T7_T9_mT8_S1C_bDpT10_ENKUlT_T0_E_clISt17integral_constantIbLb0EES1P_EEDaS1K_S1L_EUlS1K_E_NS1_11comp_targetILNS1_3genE2ELNS1_11target_archE906ELNS1_3gpuE6ELNS1_3repE0EEENS1_30default_config_static_selectorELNS0_4arch9wavefront6targetE0EEEvSY_.num_agpr, 0
	.set _ZN7rocprim17ROCPRIM_400000_NS6detail17trampoline_kernelINS0_13select_configILj256ELj13ELNS0_17block_load_methodE3ELS4_3ELS4_3ELNS0_20block_scan_algorithmE0ELj4294967295EEENS1_25partition_config_selectorILNS1_17partition_subalgoE3EjNS0_10empty_typeEbEEZZNS1_14partition_implILS8_3ELb0ES6_jNS0_17counting_iteratorIjlEEPS9_SE_NS0_5tupleIJPjSE_EEENSF_IJSE_SE_EEES9_SG_JZNS1_25segmented_radix_sort_implINS0_14default_configELb1EPKaPaPKlPlN2at6native12_GLOBAL__N_18offset_tEEE10hipError_tPvRmT1_PNSt15iterator_traitsISY_E10value_typeET2_T3_PNSZ_IS14_E10value_typeET4_jRbjT5_S1A_jjP12ihipStream_tbEUljE_EEESV_SW_SX_S14_S18_S1A_T6_T7_T9_mT8_S1C_bDpT10_ENKUlT_T0_E_clISt17integral_constantIbLb0EES1P_EEDaS1K_S1L_EUlS1K_E_NS1_11comp_targetILNS1_3genE2ELNS1_11target_archE906ELNS1_3gpuE6ELNS1_3repE0EEENS1_30default_config_static_selectorELNS0_4arch9wavefront6targetE0EEEvSY_.numbered_sgpr, 0
	.set _ZN7rocprim17ROCPRIM_400000_NS6detail17trampoline_kernelINS0_13select_configILj256ELj13ELNS0_17block_load_methodE3ELS4_3ELS4_3ELNS0_20block_scan_algorithmE0ELj4294967295EEENS1_25partition_config_selectorILNS1_17partition_subalgoE3EjNS0_10empty_typeEbEEZZNS1_14partition_implILS8_3ELb0ES6_jNS0_17counting_iteratorIjlEEPS9_SE_NS0_5tupleIJPjSE_EEENSF_IJSE_SE_EEES9_SG_JZNS1_25segmented_radix_sort_implINS0_14default_configELb1EPKaPaPKlPlN2at6native12_GLOBAL__N_18offset_tEEE10hipError_tPvRmT1_PNSt15iterator_traitsISY_E10value_typeET2_T3_PNSZ_IS14_E10value_typeET4_jRbjT5_S1A_jjP12ihipStream_tbEUljE_EEESV_SW_SX_S14_S18_S1A_T6_T7_T9_mT8_S1C_bDpT10_ENKUlT_T0_E_clISt17integral_constantIbLb0EES1P_EEDaS1K_S1L_EUlS1K_E_NS1_11comp_targetILNS1_3genE2ELNS1_11target_archE906ELNS1_3gpuE6ELNS1_3repE0EEENS1_30default_config_static_selectorELNS0_4arch9wavefront6targetE0EEEvSY_.num_named_barrier, 0
	.set _ZN7rocprim17ROCPRIM_400000_NS6detail17trampoline_kernelINS0_13select_configILj256ELj13ELNS0_17block_load_methodE3ELS4_3ELS4_3ELNS0_20block_scan_algorithmE0ELj4294967295EEENS1_25partition_config_selectorILNS1_17partition_subalgoE3EjNS0_10empty_typeEbEEZZNS1_14partition_implILS8_3ELb0ES6_jNS0_17counting_iteratorIjlEEPS9_SE_NS0_5tupleIJPjSE_EEENSF_IJSE_SE_EEES9_SG_JZNS1_25segmented_radix_sort_implINS0_14default_configELb1EPKaPaPKlPlN2at6native12_GLOBAL__N_18offset_tEEE10hipError_tPvRmT1_PNSt15iterator_traitsISY_E10value_typeET2_T3_PNSZ_IS14_E10value_typeET4_jRbjT5_S1A_jjP12ihipStream_tbEUljE_EEESV_SW_SX_S14_S18_S1A_T6_T7_T9_mT8_S1C_bDpT10_ENKUlT_T0_E_clISt17integral_constantIbLb0EES1P_EEDaS1K_S1L_EUlS1K_E_NS1_11comp_targetILNS1_3genE2ELNS1_11target_archE906ELNS1_3gpuE6ELNS1_3repE0EEENS1_30default_config_static_selectorELNS0_4arch9wavefront6targetE0EEEvSY_.private_seg_size, 0
	.set _ZN7rocprim17ROCPRIM_400000_NS6detail17trampoline_kernelINS0_13select_configILj256ELj13ELNS0_17block_load_methodE3ELS4_3ELS4_3ELNS0_20block_scan_algorithmE0ELj4294967295EEENS1_25partition_config_selectorILNS1_17partition_subalgoE3EjNS0_10empty_typeEbEEZZNS1_14partition_implILS8_3ELb0ES6_jNS0_17counting_iteratorIjlEEPS9_SE_NS0_5tupleIJPjSE_EEENSF_IJSE_SE_EEES9_SG_JZNS1_25segmented_radix_sort_implINS0_14default_configELb1EPKaPaPKlPlN2at6native12_GLOBAL__N_18offset_tEEE10hipError_tPvRmT1_PNSt15iterator_traitsISY_E10value_typeET2_T3_PNSZ_IS14_E10value_typeET4_jRbjT5_S1A_jjP12ihipStream_tbEUljE_EEESV_SW_SX_S14_S18_S1A_T6_T7_T9_mT8_S1C_bDpT10_ENKUlT_T0_E_clISt17integral_constantIbLb0EES1P_EEDaS1K_S1L_EUlS1K_E_NS1_11comp_targetILNS1_3genE2ELNS1_11target_archE906ELNS1_3gpuE6ELNS1_3repE0EEENS1_30default_config_static_selectorELNS0_4arch9wavefront6targetE0EEEvSY_.uses_vcc, 0
	.set _ZN7rocprim17ROCPRIM_400000_NS6detail17trampoline_kernelINS0_13select_configILj256ELj13ELNS0_17block_load_methodE3ELS4_3ELS4_3ELNS0_20block_scan_algorithmE0ELj4294967295EEENS1_25partition_config_selectorILNS1_17partition_subalgoE3EjNS0_10empty_typeEbEEZZNS1_14partition_implILS8_3ELb0ES6_jNS0_17counting_iteratorIjlEEPS9_SE_NS0_5tupleIJPjSE_EEENSF_IJSE_SE_EEES9_SG_JZNS1_25segmented_radix_sort_implINS0_14default_configELb1EPKaPaPKlPlN2at6native12_GLOBAL__N_18offset_tEEE10hipError_tPvRmT1_PNSt15iterator_traitsISY_E10value_typeET2_T3_PNSZ_IS14_E10value_typeET4_jRbjT5_S1A_jjP12ihipStream_tbEUljE_EEESV_SW_SX_S14_S18_S1A_T6_T7_T9_mT8_S1C_bDpT10_ENKUlT_T0_E_clISt17integral_constantIbLb0EES1P_EEDaS1K_S1L_EUlS1K_E_NS1_11comp_targetILNS1_3genE2ELNS1_11target_archE906ELNS1_3gpuE6ELNS1_3repE0EEENS1_30default_config_static_selectorELNS0_4arch9wavefront6targetE0EEEvSY_.uses_flat_scratch, 0
	.set _ZN7rocprim17ROCPRIM_400000_NS6detail17trampoline_kernelINS0_13select_configILj256ELj13ELNS0_17block_load_methodE3ELS4_3ELS4_3ELNS0_20block_scan_algorithmE0ELj4294967295EEENS1_25partition_config_selectorILNS1_17partition_subalgoE3EjNS0_10empty_typeEbEEZZNS1_14partition_implILS8_3ELb0ES6_jNS0_17counting_iteratorIjlEEPS9_SE_NS0_5tupleIJPjSE_EEENSF_IJSE_SE_EEES9_SG_JZNS1_25segmented_radix_sort_implINS0_14default_configELb1EPKaPaPKlPlN2at6native12_GLOBAL__N_18offset_tEEE10hipError_tPvRmT1_PNSt15iterator_traitsISY_E10value_typeET2_T3_PNSZ_IS14_E10value_typeET4_jRbjT5_S1A_jjP12ihipStream_tbEUljE_EEESV_SW_SX_S14_S18_S1A_T6_T7_T9_mT8_S1C_bDpT10_ENKUlT_T0_E_clISt17integral_constantIbLb0EES1P_EEDaS1K_S1L_EUlS1K_E_NS1_11comp_targetILNS1_3genE2ELNS1_11target_archE906ELNS1_3gpuE6ELNS1_3repE0EEENS1_30default_config_static_selectorELNS0_4arch9wavefront6targetE0EEEvSY_.has_dyn_sized_stack, 0
	.set _ZN7rocprim17ROCPRIM_400000_NS6detail17trampoline_kernelINS0_13select_configILj256ELj13ELNS0_17block_load_methodE3ELS4_3ELS4_3ELNS0_20block_scan_algorithmE0ELj4294967295EEENS1_25partition_config_selectorILNS1_17partition_subalgoE3EjNS0_10empty_typeEbEEZZNS1_14partition_implILS8_3ELb0ES6_jNS0_17counting_iteratorIjlEEPS9_SE_NS0_5tupleIJPjSE_EEENSF_IJSE_SE_EEES9_SG_JZNS1_25segmented_radix_sort_implINS0_14default_configELb1EPKaPaPKlPlN2at6native12_GLOBAL__N_18offset_tEEE10hipError_tPvRmT1_PNSt15iterator_traitsISY_E10value_typeET2_T3_PNSZ_IS14_E10value_typeET4_jRbjT5_S1A_jjP12ihipStream_tbEUljE_EEESV_SW_SX_S14_S18_S1A_T6_T7_T9_mT8_S1C_bDpT10_ENKUlT_T0_E_clISt17integral_constantIbLb0EES1P_EEDaS1K_S1L_EUlS1K_E_NS1_11comp_targetILNS1_3genE2ELNS1_11target_archE906ELNS1_3gpuE6ELNS1_3repE0EEENS1_30default_config_static_selectorELNS0_4arch9wavefront6targetE0EEEvSY_.has_recursion, 0
	.set _ZN7rocprim17ROCPRIM_400000_NS6detail17trampoline_kernelINS0_13select_configILj256ELj13ELNS0_17block_load_methodE3ELS4_3ELS4_3ELNS0_20block_scan_algorithmE0ELj4294967295EEENS1_25partition_config_selectorILNS1_17partition_subalgoE3EjNS0_10empty_typeEbEEZZNS1_14partition_implILS8_3ELb0ES6_jNS0_17counting_iteratorIjlEEPS9_SE_NS0_5tupleIJPjSE_EEENSF_IJSE_SE_EEES9_SG_JZNS1_25segmented_radix_sort_implINS0_14default_configELb1EPKaPaPKlPlN2at6native12_GLOBAL__N_18offset_tEEE10hipError_tPvRmT1_PNSt15iterator_traitsISY_E10value_typeET2_T3_PNSZ_IS14_E10value_typeET4_jRbjT5_S1A_jjP12ihipStream_tbEUljE_EEESV_SW_SX_S14_S18_S1A_T6_T7_T9_mT8_S1C_bDpT10_ENKUlT_T0_E_clISt17integral_constantIbLb0EES1P_EEDaS1K_S1L_EUlS1K_E_NS1_11comp_targetILNS1_3genE2ELNS1_11target_archE906ELNS1_3gpuE6ELNS1_3repE0EEENS1_30default_config_static_selectorELNS0_4arch9wavefront6targetE0EEEvSY_.has_indirect_call, 0
	.section	.AMDGPU.csdata,"",@progbits
; Kernel info:
; codeLenInByte = 0
; TotalNumSgprs: 0
; NumVgprs: 0
; ScratchSize: 0
; MemoryBound: 0
; FloatMode: 240
; IeeeMode: 1
; LDSByteSize: 0 bytes/workgroup (compile time only)
; SGPRBlocks: 0
; VGPRBlocks: 0
; NumSGPRsForWavesPerEU: 1
; NumVGPRsForWavesPerEU: 1
; Occupancy: 16
; WaveLimiterHint : 0
; COMPUTE_PGM_RSRC2:SCRATCH_EN: 0
; COMPUTE_PGM_RSRC2:USER_SGPR: 2
; COMPUTE_PGM_RSRC2:TRAP_HANDLER: 0
; COMPUTE_PGM_RSRC2:TGID_X_EN: 1
; COMPUTE_PGM_RSRC2:TGID_Y_EN: 0
; COMPUTE_PGM_RSRC2:TGID_Z_EN: 0
; COMPUTE_PGM_RSRC2:TIDIG_COMP_CNT: 0
	.section	.text._ZN7rocprim17ROCPRIM_400000_NS6detail17trampoline_kernelINS0_13select_configILj256ELj13ELNS0_17block_load_methodE3ELS4_3ELS4_3ELNS0_20block_scan_algorithmE0ELj4294967295EEENS1_25partition_config_selectorILNS1_17partition_subalgoE3EjNS0_10empty_typeEbEEZZNS1_14partition_implILS8_3ELb0ES6_jNS0_17counting_iteratorIjlEEPS9_SE_NS0_5tupleIJPjSE_EEENSF_IJSE_SE_EEES9_SG_JZNS1_25segmented_radix_sort_implINS0_14default_configELb1EPKaPaPKlPlN2at6native12_GLOBAL__N_18offset_tEEE10hipError_tPvRmT1_PNSt15iterator_traitsISY_E10value_typeET2_T3_PNSZ_IS14_E10value_typeET4_jRbjT5_S1A_jjP12ihipStream_tbEUljE_EEESV_SW_SX_S14_S18_S1A_T6_T7_T9_mT8_S1C_bDpT10_ENKUlT_T0_E_clISt17integral_constantIbLb0EES1P_EEDaS1K_S1L_EUlS1K_E_NS1_11comp_targetILNS1_3genE10ELNS1_11target_archE1200ELNS1_3gpuE4ELNS1_3repE0EEENS1_30default_config_static_selectorELNS0_4arch9wavefront6targetE0EEEvSY_,"axG",@progbits,_ZN7rocprim17ROCPRIM_400000_NS6detail17trampoline_kernelINS0_13select_configILj256ELj13ELNS0_17block_load_methodE3ELS4_3ELS4_3ELNS0_20block_scan_algorithmE0ELj4294967295EEENS1_25partition_config_selectorILNS1_17partition_subalgoE3EjNS0_10empty_typeEbEEZZNS1_14partition_implILS8_3ELb0ES6_jNS0_17counting_iteratorIjlEEPS9_SE_NS0_5tupleIJPjSE_EEENSF_IJSE_SE_EEES9_SG_JZNS1_25segmented_radix_sort_implINS0_14default_configELb1EPKaPaPKlPlN2at6native12_GLOBAL__N_18offset_tEEE10hipError_tPvRmT1_PNSt15iterator_traitsISY_E10value_typeET2_T3_PNSZ_IS14_E10value_typeET4_jRbjT5_S1A_jjP12ihipStream_tbEUljE_EEESV_SW_SX_S14_S18_S1A_T6_T7_T9_mT8_S1C_bDpT10_ENKUlT_T0_E_clISt17integral_constantIbLb0EES1P_EEDaS1K_S1L_EUlS1K_E_NS1_11comp_targetILNS1_3genE10ELNS1_11target_archE1200ELNS1_3gpuE4ELNS1_3repE0EEENS1_30default_config_static_selectorELNS0_4arch9wavefront6targetE0EEEvSY_,comdat
	.globl	_ZN7rocprim17ROCPRIM_400000_NS6detail17trampoline_kernelINS0_13select_configILj256ELj13ELNS0_17block_load_methodE3ELS4_3ELS4_3ELNS0_20block_scan_algorithmE0ELj4294967295EEENS1_25partition_config_selectorILNS1_17partition_subalgoE3EjNS0_10empty_typeEbEEZZNS1_14partition_implILS8_3ELb0ES6_jNS0_17counting_iteratorIjlEEPS9_SE_NS0_5tupleIJPjSE_EEENSF_IJSE_SE_EEES9_SG_JZNS1_25segmented_radix_sort_implINS0_14default_configELb1EPKaPaPKlPlN2at6native12_GLOBAL__N_18offset_tEEE10hipError_tPvRmT1_PNSt15iterator_traitsISY_E10value_typeET2_T3_PNSZ_IS14_E10value_typeET4_jRbjT5_S1A_jjP12ihipStream_tbEUljE_EEESV_SW_SX_S14_S18_S1A_T6_T7_T9_mT8_S1C_bDpT10_ENKUlT_T0_E_clISt17integral_constantIbLb0EES1P_EEDaS1K_S1L_EUlS1K_E_NS1_11comp_targetILNS1_3genE10ELNS1_11target_archE1200ELNS1_3gpuE4ELNS1_3repE0EEENS1_30default_config_static_selectorELNS0_4arch9wavefront6targetE0EEEvSY_ ; -- Begin function _ZN7rocprim17ROCPRIM_400000_NS6detail17trampoline_kernelINS0_13select_configILj256ELj13ELNS0_17block_load_methodE3ELS4_3ELS4_3ELNS0_20block_scan_algorithmE0ELj4294967295EEENS1_25partition_config_selectorILNS1_17partition_subalgoE3EjNS0_10empty_typeEbEEZZNS1_14partition_implILS8_3ELb0ES6_jNS0_17counting_iteratorIjlEEPS9_SE_NS0_5tupleIJPjSE_EEENSF_IJSE_SE_EEES9_SG_JZNS1_25segmented_radix_sort_implINS0_14default_configELb1EPKaPaPKlPlN2at6native12_GLOBAL__N_18offset_tEEE10hipError_tPvRmT1_PNSt15iterator_traitsISY_E10value_typeET2_T3_PNSZ_IS14_E10value_typeET4_jRbjT5_S1A_jjP12ihipStream_tbEUljE_EEESV_SW_SX_S14_S18_S1A_T6_T7_T9_mT8_S1C_bDpT10_ENKUlT_T0_E_clISt17integral_constantIbLb0EES1P_EEDaS1K_S1L_EUlS1K_E_NS1_11comp_targetILNS1_3genE10ELNS1_11target_archE1200ELNS1_3gpuE4ELNS1_3repE0EEENS1_30default_config_static_selectorELNS0_4arch9wavefront6targetE0EEEvSY_
	.p2align	8
	.type	_ZN7rocprim17ROCPRIM_400000_NS6detail17trampoline_kernelINS0_13select_configILj256ELj13ELNS0_17block_load_methodE3ELS4_3ELS4_3ELNS0_20block_scan_algorithmE0ELj4294967295EEENS1_25partition_config_selectorILNS1_17partition_subalgoE3EjNS0_10empty_typeEbEEZZNS1_14partition_implILS8_3ELb0ES6_jNS0_17counting_iteratorIjlEEPS9_SE_NS0_5tupleIJPjSE_EEENSF_IJSE_SE_EEES9_SG_JZNS1_25segmented_radix_sort_implINS0_14default_configELb1EPKaPaPKlPlN2at6native12_GLOBAL__N_18offset_tEEE10hipError_tPvRmT1_PNSt15iterator_traitsISY_E10value_typeET2_T3_PNSZ_IS14_E10value_typeET4_jRbjT5_S1A_jjP12ihipStream_tbEUljE_EEESV_SW_SX_S14_S18_S1A_T6_T7_T9_mT8_S1C_bDpT10_ENKUlT_T0_E_clISt17integral_constantIbLb0EES1P_EEDaS1K_S1L_EUlS1K_E_NS1_11comp_targetILNS1_3genE10ELNS1_11target_archE1200ELNS1_3gpuE4ELNS1_3repE0EEENS1_30default_config_static_selectorELNS0_4arch9wavefront6targetE0EEEvSY_,@function
_ZN7rocprim17ROCPRIM_400000_NS6detail17trampoline_kernelINS0_13select_configILj256ELj13ELNS0_17block_load_methodE3ELS4_3ELS4_3ELNS0_20block_scan_algorithmE0ELj4294967295EEENS1_25partition_config_selectorILNS1_17partition_subalgoE3EjNS0_10empty_typeEbEEZZNS1_14partition_implILS8_3ELb0ES6_jNS0_17counting_iteratorIjlEEPS9_SE_NS0_5tupleIJPjSE_EEENSF_IJSE_SE_EEES9_SG_JZNS1_25segmented_radix_sort_implINS0_14default_configELb1EPKaPaPKlPlN2at6native12_GLOBAL__N_18offset_tEEE10hipError_tPvRmT1_PNSt15iterator_traitsISY_E10value_typeET2_T3_PNSZ_IS14_E10value_typeET4_jRbjT5_S1A_jjP12ihipStream_tbEUljE_EEESV_SW_SX_S14_S18_S1A_T6_T7_T9_mT8_S1C_bDpT10_ENKUlT_T0_E_clISt17integral_constantIbLb0EES1P_EEDaS1K_S1L_EUlS1K_E_NS1_11comp_targetILNS1_3genE10ELNS1_11target_archE1200ELNS1_3gpuE4ELNS1_3repE0EEENS1_30default_config_static_selectorELNS0_4arch9wavefront6targetE0EEEvSY_: ; @_ZN7rocprim17ROCPRIM_400000_NS6detail17trampoline_kernelINS0_13select_configILj256ELj13ELNS0_17block_load_methodE3ELS4_3ELS4_3ELNS0_20block_scan_algorithmE0ELj4294967295EEENS1_25partition_config_selectorILNS1_17partition_subalgoE3EjNS0_10empty_typeEbEEZZNS1_14partition_implILS8_3ELb0ES6_jNS0_17counting_iteratorIjlEEPS9_SE_NS0_5tupleIJPjSE_EEENSF_IJSE_SE_EEES9_SG_JZNS1_25segmented_radix_sort_implINS0_14default_configELb1EPKaPaPKlPlN2at6native12_GLOBAL__N_18offset_tEEE10hipError_tPvRmT1_PNSt15iterator_traitsISY_E10value_typeET2_T3_PNSZ_IS14_E10value_typeET4_jRbjT5_S1A_jjP12ihipStream_tbEUljE_EEESV_SW_SX_S14_S18_S1A_T6_T7_T9_mT8_S1C_bDpT10_ENKUlT_T0_E_clISt17integral_constantIbLb0EES1P_EEDaS1K_S1L_EUlS1K_E_NS1_11comp_targetILNS1_3genE10ELNS1_11target_archE1200ELNS1_3gpuE4ELNS1_3repE0EEENS1_30default_config_static_selectorELNS0_4arch9wavefront6targetE0EEEvSY_
; %bb.0:
	s_clause 0x6
	s_load_b32 s2, s[0:1], 0x70
	s_load_b128 s[8:11], s[0:1], 0x48
	s_load_b64 s[12:13], s[0:1], 0x10
	s_load_b64 s[14:15], s[0:1], 0x58
	s_load_b32 s20, s[0:1], 0x8
	s_load_b32 s3, s[0:1], 0x88
	s_load_b128 s[4:7], s[0:1], 0x78
	s_mov_b32 s17, 0
	v_lshlrev_b32_e32 v42, 2, v0
	s_wait_kmcnt 0x0
	s_mul_i32 s16, s2, 0xd00
	s_load_b64 s[18:19], s[10:11], 0x0
	s_add_co_i32 s10, s16, s12
	s_add_co_i32 s2, s2, -1
	s_sub_co_i32 s23, s14, s10
	s_add_nc_u64 s[10:11], s[12:13], s[16:17]
	s_addk_co_i32 s23, 0xd00
	s_cmp_eq_u32 ttmp9, s2
	s_mul_i32 s16, ttmp9, 0xd00
	s_cselect_b32 s22, -1, 0
	s_cmp_lg_u32 ttmp9, s2
	v_cmp_gt_u64_e64 s10, s[14:15], s[10:11]
	s_cselect_b32 s2, -1, 0
	s_add_co_i32 s11, s20, s16
	s_mov_b32 s17, -1
	s_wait_alu 0xfffe
	s_add_co_i32 s11, s11, s12
	s_wait_alu 0xfffe
	v_add_nc_u32_e32 v1, s11, v0
	s_or_b32 s10, s2, s10
	s_wait_alu 0xfffe
	s_and_b32 vcc_lo, exec_lo, s10
	s_cbranch_vccz .LBB263_2
; %bb.1:
	v_add_nc_u32_e32 v2, 0x100, v1
	v_add_nc_u32_e32 v3, 0x200, v1
	;; [unrolled: 1-line block ×12, first 2 shown]
	ds_store_2addr_stride64_b32 v42, v1, v2 offset1:4
	ds_store_2addr_stride64_b32 v42, v3, v4 offset0:8 offset1:12
	ds_store_2addr_stride64_b32 v42, v5, v6 offset0:16 offset1:20
	;; [unrolled: 1-line block ×5, first 2 shown]
	ds_store_b32 v42, v13 offset:12288
	s_wait_dscnt 0x0
	s_barrier_signal -1
	s_mov_b32 s17, 0
	s_barrier_wait -1
.LBB263_2:
	v_cmp_gt_u32_e64 s2, s23, v0
	v_or_b32_e32 v41, 0x100, v0
	v_or_b32_e32 v40, 0x200, v0
	v_or_b32_e32 v39, 0x300, v0
	v_or_b32_e32 v38, 0x400, v0
	v_or_b32_e32 v37, 0x500, v0
	v_or_b32_e32 v36, 0x600, v0
	v_or_b32_e32 v35, 0x700, v0
	v_or_b32_e32 v34, 0x800, v0
	v_or_b32_e32 v33, 0x900, v0
	v_or_b32_e32 v32, 0xa00, v0
	v_or_b32_e32 v31, 0xb00, v0
	v_or_b32_e32 v30, 0xc00, v0
	s_and_not1_b32 vcc_lo, exec_lo, s17
	s_cbranch_vccnz .LBB263_4
; %bb.3:
	v_cmp_gt_u32_e32 vcc_lo, s23, v41
	v_add_nc_u32_e32 v3, s11, v40
	v_add_nc_u32_e32 v2, s11, v41
	v_cndmask_b32_e64 v1, 0, v1, s2
	s_delay_alu instid0(VALU_DEP_2)
	v_cndmask_b32_e32 v2, 0, v2, vcc_lo
	v_cmp_gt_u32_e32 vcc_lo, s23, v40
	s_wait_alu 0xfffd
	v_cndmask_b32_e32 v3, 0, v3, vcc_lo
	v_cmp_gt_u32_e32 vcc_lo, s23, v39
	v_add_nc_u32_e32 v5, s11, v38
	v_add_nc_u32_e32 v4, s11, v39
	s_wait_alu 0xfffd
	s_delay_alu instid0(VALU_DEP_1)
	v_cndmask_b32_e32 v4, 0, v4, vcc_lo
	v_cmp_gt_u32_e32 vcc_lo, s23, v38
	s_wait_alu 0xfffd
	v_cndmask_b32_e32 v5, 0, v5, vcc_lo
	v_cmp_gt_u32_e32 vcc_lo, s23, v37
	v_add_nc_u32_e32 v7, s11, v36
	v_add_nc_u32_e32 v6, s11, v37
	s_wait_alu 0xfffd
	s_delay_alu instid0(VALU_DEP_1)
	;; [unrolled: 9-line block ×5, first 2 shown]
	v_cndmask_b32_e32 v12, 0, v12, vcc_lo
	v_cmp_gt_u32_e32 vcc_lo, s23, v30
	s_wait_alu 0xfffd
	v_cndmask_b32_e32 v13, 0, v13, vcc_lo
	ds_store_2addr_stride64_b32 v42, v1, v2 offset1:4
	ds_store_2addr_stride64_b32 v42, v3, v4 offset0:8 offset1:12
	ds_store_2addr_stride64_b32 v42, v5, v6 offset0:16 offset1:20
	;; [unrolled: 1-line block ×5, first 2 shown]
	ds_store_b32 v42, v13 offset:12288
	s_wait_dscnt 0x0
	s_barrier_signal -1
	s_barrier_wait -1
.LBB263_4:
	v_mul_u32_u24_e32 v45, 13, v0
	global_inv scope:SCOPE_SE
	v_cndmask_b32_e64 v43, 0, 1, s10
	s_and_not1_b32 vcc_lo, exec_lo, s10
	v_lshlrev_b32_e32 v1, 2, v45
	ds_load_2addr_b32 v[26:27], v1 offset0:2 offset1:3
	ds_load_2addr_b32 v[22:23], v1 offset0:6 offset1:7
	;; [unrolled: 1-line block ×3, first 2 shown]
	ds_load_2addr_b32 v[28:29], v1 offset1:1
	ds_load_2addr_b32 v[18:19], v1 offset0:10 offset1:11
	ds_load_b32 v44, v1 offset:48
	ds_load_2addr_b32 v[20:21], v1 offset0:8 offset1:9
	s_wait_loadcnt_dscnt 0x0
	s_barrier_signal -1
	s_barrier_wait -1
	global_inv scope:SCOPE_SE
	s_wait_alu 0xfffe
	s_cbranch_vccnz .LBB263_6
; %bb.5:
	v_add_nc_u32_e32 v1, s5, v27
	v_add_nc_u32_e32 v2, s7, v27
	;; [unrolled: 1-line block ×5, first 2 shown]
	v_mul_lo_u32 v1, v1, s4
	v_mul_lo_u32 v2, v2, s6
	v_add_nc_u32_e32 v8, s7, v26
	v_add_nc_u32_e32 v3, s5, v29
	;; [unrolled: 1-line block ×3, first 2 shown]
	v_mul_lo_u32 v5, v5, s4
	v_mul_lo_u32 v4, v4, s4
	v_add_nc_u32_e32 v9, s5, v24
	v_mul_lo_u32 v3, v3, s4
	v_sub_nc_u32_e32 v1, v1, v2
	v_mul_lo_u32 v2, v7, s6
	v_mul_lo_u32 v7, v8, s6
	v_mul_lo_u32 v6, v6, s6
	v_add_nc_u32_e32 v8, s5, v25
	v_add_nc_u32_e32 v10, s7, v24
	v_mul_lo_u32 v9, v9, s4
	v_cmp_lt_u32_e32 vcc_lo, s3, v1
	v_add_nc_u32_e32 v14, s7, v19
	v_sub_nc_u32_e32 v2, v4, v2
	v_sub_nc_u32_e32 v4, v5, v7
	v_add_nc_u32_e32 v5, s7, v25
	v_sub_nc_u32_e32 v3, v3, v6
	v_add_nc_u32_e32 v6, s5, v23
	v_add_nc_u32_e32 v7, s7, v23
	v_mul_lo_u32 v8, v8, s4
	v_mul_lo_u32 v5, v5, s6
	;; [unrolled: 1-line block ×5, first 2 shown]
	s_wait_alu 0xfffd
	v_cndmask_b32_e64 v1, 0, 1, vcc_lo
	v_cmp_lt_u32_e32 vcc_lo, s3, v3
	v_mul_lo_u32 v14, v14, s6
	v_add_nc_u32_e32 v15, s7, v21
	v_sub_nc_u32_e32 v5, v8, v5
	v_add_nc_u32_e32 v8, s7, v22
	s_wait_alu 0xfffd
	v_cndmask_b32_e64 v3, 0, 1, vcc_lo
	v_sub_nc_u32_e32 v6, v6, v7
	v_mul_lo_u32 v15, v15, s6
	v_cmp_lt_u32_e32 vcc_lo, s3, v5
	v_mul_lo_u32 v7, v8, s6
	v_sub_nc_u32_e32 v8, v9, v10
	v_add_nc_u32_e32 v9, s5, v19
	v_add_nc_u32_e32 v10, s5, v21
	s_wait_alu 0xfffd
	v_cndmask_b32_e64 v5, 0, 1, vcc_lo
	v_cmp_lt_u32_e32 vcc_lo, s3, v6
	v_add_nc_u32_e32 v11, s5, v22
	v_mul_lo_u32 v9, v9, s4
	v_mul_lo_u32 v10, v10, s4
	v_add_nc_u32_e32 v12, s5, v20
	s_wait_alu 0xfffd
	v_cndmask_b32_e64 v6, 0, 1, vcc_lo
	v_mul_lo_u32 v11, v11, s4
	v_add_nc_u32_e32 v16, s7, v20
	v_lshlrev_b16 v3, 8, v3
	v_add_nc_u32_e32 v13, s5, v18
	v_sub_nc_u32_e32 v9, v9, v14
	v_sub_nc_u32_e32 v10, v10, v15
	v_add_nc_u32_e32 v17, s7, v18
	v_mul_lo_u32 v12, v12, s4
	v_mul_lo_u32 v16, v16, s6
	v_cmp_lt_u32_e32 vcc_lo, s3, v9
	v_sub_nc_u32_e32 v7, v11, v7
	v_lshrrev_b32_e32 v3, 8, v3
	v_mul_lo_u32 v11, v13, s4
	v_mul_lo_u32 v13, v17, s6
	s_wait_alu 0xfffd
	v_cndmask_b32_e64 v9, 0, 1, vcc_lo
	v_cmp_lt_u32_e32 vcc_lo, s3, v2
	v_sub_nc_u32_e32 v12, v12, v16
	v_lshlrev_b16 v3, 8, v3
	v_lshlrev_b16 v1, 8, v1
	;; [unrolled: 1-line block ×3, first 2 shown]
	s_wait_alu 0xfffd
	v_cndmask_b32_e64 v2, 0, 1, vcc_lo
	v_cmp_lt_u32_e32 vcc_lo, s3, v10
	v_sub_nc_u32_e32 v11, v11, v13
	v_add_nc_u32_e32 v14, s5, v44
	v_add_nc_u32_e32 v15, s7, v44
	v_or_b32_e32 v2, v2, v3
	s_wait_alu 0xfffd
	v_cndmask_b32_e64 v10, 0, 1, vcc_lo
	v_cmp_lt_u32_e32 vcc_lo, s3, v4
	v_lshlrev_b16 v3, 8, v9
	v_lshrrev_b32_e32 v5, 8, v5
	v_lshrrev_b32_e32 v1, 8, v1
	v_lshlrev_b16 v9, 8, v10
	s_wait_alu 0xfffd
	v_cndmask_b32_e64 v4, 0, 1, vcc_lo
	v_cmp_lt_u32_e32 vcc_lo, s3, v8
	v_lshrrev_b32_e32 v3, 8, v3
	v_mul_lo_u32 v14, v14, s4
	v_lshrrev_b32_e32 v9, 8, v9
	v_mul_lo_u32 v15, v15, s6
	s_wait_alu 0xfffd
	v_cndmask_b32_e64 v8, 0, 1, vcc_lo
	v_cmp_lt_u32_e32 vcc_lo, s3, v7
	v_lshlrev_b16 v6, 8, v6
	v_lshlrev_b16 v1, 8, v1
	;; [unrolled: 1-line block ×4, first 2 shown]
	s_wait_alu 0xfffd
	v_cndmask_b32_e64 v7, 0, 1, vcc_lo
	v_cmp_lt_u32_e32 vcc_lo, s3, v12
	v_lshlrev_b16 v3, 8, v3
	v_sub_nc_u32_e32 v10, v14, v15
	v_or_b32_e32 v1, v4, v1
	v_or_b32_e32 v4, v8, v5
	s_wait_alu 0xfffd
	v_cndmask_b32_e64 v12, 0, 1, vcc_lo
	v_cmp_lt_u32_e32 vcc_lo, s3, v11
	v_or_b32_e32 v5, v7, v6
	v_and_b32_e32 v2, 0xffff, v2
	v_lshlrev_b32_e32 v1, 16, v1
	v_or_b32_e32 v6, v12, v9
	s_wait_alu 0xfffd
	v_cndmask_b32_e64 v11, 0, 1, vcc_lo
	v_and_b32_e32 v4, 0xffff, v4
	v_lshlrev_b32_e32 v5, 16, v5
	v_cmp_lt_u32_e32 vcc_lo, s3, v10
	v_and_b32_e32 v6, 0xffff, v6
	v_or_b32_e32 v3, v11, v3
	v_or_b32_e32 v51, v2, v1
	;; [unrolled: 1-line block ×3, first 2 shown]
	s_wait_alu 0xfffd
	v_cndmask_b32_e64 v46, 0, 1, vcc_lo
	v_lshlrev_b32_e32 v3, 16, v3
	s_delay_alu instid0(VALU_DEP_1)
	v_or_b32_e32 v47, v6, v3
	s_clause 0x1
	s_load_b64 s[10:11], s[0:1], 0x28
	s_load_b64 s[20:21], s[0:1], 0x68
	s_cbranch_execz .LBB263_7
	s_branch .LBB263_34
.LBB263_6:
                                        ; implicit-def: $vgpr46
                                        ; implicit-def: $vgpr47
                                        ; implicit-def: $vgpr49
                                        ; implicit-def: $vgpr51
	s_clause 0x1
	s_load_b64 s[10:11], s[0:1], 0x28
	s_load_b64 s[20:21], s[0:1], 0x68
.LBB263_7:
	v_dual_mov_b32 v2, 0 :: v_dual_mov_b32 v1, 0
	s_mov_b32 s0, exec_lo
	v_cmpx_gt_u32_e64 s23, v45
	s_cbranch_execz .LBB263_9
; %bb.8:
	v_add_nc_u32_e32 v1, s5, v28
	v_add_nc_u32_e32 v3, s7, v28
	s_delay_alu instid0(VALU_DEP_2) | instskip(NEXT) | instid1(VALU_DEP_2)
	v_mul_lo_u32 v1, v1, s4
	v_mul_lo_u32 v3, v3, s6
	s_delay_alu instid0(VALU_DEP_1) | instskip(NEXT) | instid1(VALU_DEP_1)
	v_sub_nc_u32_e32 v1, v1, v3
	v_cmp_lt_u32_e32 vcc_lo, s3, v1
	s_wait_alu 0xfffd
	v_cndmask_b32_e64 v1, 0, 1, vcc_lo
.LBB263_9:
	s_or_b32 exec_lo, exec_lo, s0
	v_add_nc_u32_e32 v3, 1, v45
	s_mov_b32 s0, exec_lo
	s_delay_alu instid0(VALU_DEP_1)
	v_cmpx_gt_u32_e64 s23, v3
	s_cbranch_execz .LBB263_11
; %bb.10:
	v_add_nc_u32_e32 v2, s5, v29
	v_add_nc_u32_e32 v3, s7, v29
	s_delay_alu instid0(VALU_DEP_2) | instskip(NEXT) | instid1(VALU_DEP_2)
	v_mul_lo_u32 v2, v2, s4
	v_mul_lo_u32 v3, v3, s6
	s_delay_alu instid0(VALU_DEP_1) | instskip(NEXT) | instid1(VALU_DEP_1)
	v_sub_nc_u32_e32 v2, v2, v3
	v_cmp_lt_u32_e32 vcc_lo, s3, v2
	s_wait_alu 0xfffd
	v_cndmask_b32_e64 v2, 0, 1, vcc_lo
.LBB263_11:
	s_or_b32 exec_lo, exec_lo, s0
	v_dual_mov_b32 v4, 0 :: v_dual_add_nc_u32 v3, 2, v45
	s_delay_alu instid0(VALU_DEP_1)
	v_cmp_gt_u32_e32 vcc_lo, s23, v3
	v_mov_b32_e32 v3, 0
	s_and_saveexec_b32 s0, vcc_lo
	s_cbranch_execz .LBB263_13
; %bb.12:
	v_add_nc_u32_e32 v3, s5, v26
	v_add_nc_u32_e32 v5, s7, v26
	s_delay_alu instid0(VALU_DEP_2) | instskip(NEXT) | instid1(VALU_DEP_2)
	v_mul_lo_u32 v3, v3, s4
	v_mul_lo_u32 v5, v5, s6
	s_delay_alu instid0(VALU_DEP_1) | instskip(NEXT) | instid1(VALU_DEP_1)
	v_sub_nc_u32_e32 v3, v3, v5
	v_cmp_lt_u32_e32 vcc_lo, s3, v3
	s_wait_alu 0xfffd
	v_cndmask_b32_e64 v3, 0, 1, vcc_lo
.LBB263_13:
	s_or_b32 exec_lo, exec_lo, s0
	v_add_nc_u32_e32 v5, 3, v45
	s_mov_b32 s0, exec_lo
	s_delay_alu instid0(VALU_DEP_1)
	v_cmpx_gt_u32_e64 s23, v5
	s_cbranch_execz .LBB263_15
; %bb.14:
	v_add_nc_u32_e32 v4, s5, v27
	v_add_nc_u32_e32 v5, s7, v27
	s_delay_alu instid0(VALU_DEP_2) | instskip(NEXT) | instid1(VALU_DEP_2)
	v_mul_lo_u32 v4, v4, s4
	v_mul_lo_u32 v5, v5, s6
	s_delay_alu instid0(VALU_DEP_1) | instskip(NEXT) | instid1(VALU_DEP_1)
	v_sub_nc_u32_e32 v4, v4, v5
	v_cmp_lt_u32_e32 vcc_lo, s3, v4
	s_wait_alu 0xfffd
	v_cndmask_b32_e64 v4, 0, 1, vcc_lo
.LBB263_15:
	s_or_b32 exec_lo, exec_lo, s0
	v_dual_mov_b32 v6, 0 :: v_dual_add_nc_u32 v5, 4, v45
	s_delay_alu instid0(VALU_DEP_1)
	v_cmp_gt_u32_e32 vcc_lo, s23, v5
	v_mov_b32_e32 v5, 0
	s_and_saveexec_b32 s0, vcc_lo
	;; [unrolled: 37-line block ×5, first 2 shown]
	s_cbranch_execz .LBB263_29
; %bb.28:
	v_add_nc_u32_e32 v11, s5, v18
	v_add_nc_u32_e32 v13, s7, v18
	s_delay_alu instid0(VALU_DEP_2) | instskip(NEXT) | instid1(VALU_DEP_2)
	v_mul_lo_u32 v11, v11, s4
	v_mul_lo_u32 v13, v13, s6
	s_delay_alu instid0(VALU_DEP_1) | instskip(NEXT) | instid1(VALU_DEP_1)
	v_sub_nc_u32_e32 v11, v11, v13
	v_cmp_lt_u32_e32 vcc_lo, s3, v11
	s_wait_alu 0xfffd
	v_cndmask_b32_e64 v11, 0, 1, vcc_lo
.LBB263_29:
	s_or_b32 exec_lo, exec_lo, s0
	v_add_nc_u32_e32 v13, 11, v45
	s_mov_b32 s0, exec_lo
	s_delay_alu instid0(VALU_DEP_1)
	v_cmpx_gt_u32_e64 s23, v13
	s_cbranch_execz .LBB263_31
; %bb.30:
	v_add_nc_u32_e32 v12, s5, v19
	v_add_nc_u32_e32 v13, s7, v19
	s_delay_alu instid0(VALU_DEP_2) | instskip(NEXT) | instid1(VALU_DEP_2)
	v_mul_lo_u32 v12, v12, s4
	v_mul_lo_u32 v13, v13, s6
	s_delay_alu instid0(VALU_DEP_1) | instskip(NEXT) | instid1(VALU_DEP_1)
	v_sub_nc_u32_e32 v12, v12, v13
	v_cmp_lt_u32_e32 vcc_lo, s3, v12
	s_wait_alu 0xfffd
	v_cndmask_b32_e64 v12, 0, 1, vcc_lo
.LBB263_31:
	s_or_b32 exec_lo, exec_lo, s0
	v_dual_mov_b32 v46, 0 :: v_dual_add_nc_u32 v13, 12, v45
	s_mov_b32 s0, exec_lo
	s_delay_alu instid0(VALU_DEP_1)
	v_cmpx_gt_u32_e64 s23, v13
	s_cbranch_execz .LBB263_33
; %bb.32:
	v_add_nc_u32_e32 v13, s5, v44
	v_add_nc_u32_e32 v14, s7, v44
	s_delay_alu instid0(VALU_DEP_2) | instskip(NEXT) | instid1(VALU_DEP_2)
	v_mul_lo_u32 v13, v13, s4
	v_mul_lo_u32 v14, v14, s6
	s_delay_alu instid0(VALU_DEP_1) | instskip(NEXT) | instid1(VALU_DEP_1)
	v_sub_nc_u32_e32 v13, v13, v14
	v_cmp_lt_u32_e32 vcc_lo, s3, v13
	s_wait_alu 0xfffd
	v_cndmask_b32_e64 v46, 0, 1, vcc_lo
.LBB263_33:
	s_or_b32 exec_lo, exec_lo, s0
	v_lshlrev_b16 v2, 8, v2
	v_lshlrev_b16 v4, 8, v4
	;; [unrolled: 1-line block ×5, first 2 shown]
	v_or_b32_e32 v1, v1, v2
	v_lshlrev_b16 v2, 8, v12
	v_or_b32_e32 v3, v3, v4
	v_or_b32_e32 v4, v5, v6
	;; [unrolled: 1-line block ×5, first 2 shown]
	v_and_b32_e32 v1, 0xffff, v1
	v_lshlrev_b32_e32 v3, 16, v3
	v_and_b32_e32 v4, 0xffff, v4
	v_lshlrev_b32_e32 v5, 16, v5
	;; [unrolled: 2-line block ×3, first 2 shown]
	v_or_b32_e32 v51, v1, v3
	s_delay_alu instid0(VALU_DEP_4) | instskip(NEXT) | instid1(VALU_DEP_3)
	v_or_b32_e32 v49, v4, v5
	v_or_b32_e32 v47, v6, v2
.LBB263_34:
	s_delay_alu instid0(VALU_DEP_3)
	v_and_b32_e32 v53, 0xff, v51
	v_bfe_u32 v54, v51, 8, 8
	v_bfe_u32 v55, v51, 16, 8
	v_lshrrev_b32_e32 v52, 24, v51
	v_and_b32_e32 v56, 0xff, v49
	v_bfe_u32 v57, v49, 8, 8
	v_bfe_u32 v58, v49, 16, 8
	v_add3_u32 v1, v54, v53, v55
	v_lshrrev_b32_e32 v50, 24, v49
	v_and_b32_e32 v59, 0xff, v47
	v_bfe_u32 v60, v47, 8, 8
	v_mbcnt_lo_u32_b32 v62, -1, 0
	v_add3_u32 v1, v1, v52, v56
	v_bfe_u32 v61, v47, 16, 8
	v_lshrrev_b32_e32 v48, 24, v47
	v_and_b32_e32 v2, 0xff, v46
	v_and_b32_e32 v3, 15, v62
	v_add3_u32 v1, v1, v57, v58
	v_or_b32_e32 v4, 31, v0
	v_and_b32_e32 v5, 16, v62
	v_lshrrev_b32_e32 v63, 5, v0
	v_cmp_eq_u32_e64 s5, 0, v3
	v_add3_u32 v1, v1, v50, v59
	v_cmp_lt_u32_e64 s4, 1, v3
	v_cmp_lt_u32_e64 s3, 3, v3
	;; [unrolled: 1-line block ×3, first 2 shown]
	v_cmp_eq_u32_e64 s1, 0, v5
	v_add3_u32 v1, v1, v60, v61
	v_cmp_eq_u32_e64 s0, v0, v4
	s_cmp_lg_u32 ttmp9, 0
	s_mov_b32 s6, -1
	v_add3_u32 v64, v1, v48, v2
	s_cbranch_scc0 .LBB263_55
; %bb.35:
	s_delay_alu instid0(VALU_DEP_1) | instskip(SKIP_1) | instid1(VALU_DEP_1)
	v_mov_b32_dpp v1, v64 row_shr:1 row_mask:0xf bank_mask:0xf
	s_wait_alu 0xf1ff
	v_cndmask_b32_e64 v1, v1, 0, s5
	s_delay_alu instid0(VALU_DEP_1) | instskip(NEXT) | instid1(VALU_DEP_1)
	v_add_nc_u32_e32 v1, v1, v64
	v_mov_b32_dpp v2, v1 row_shr:2 row_mask:0xf bank_mask:0xf
	s_delay_alu instid0(VALU_DEP_1) | instskip(NEXT) | instid1(VALU_DEP_1)
	v_cndmask_b32_e64 v2, 0, v2, s4
	v_add_nc_u32_e32 v1, v1, v2
	s_delay_alu instid0(VALU_DEP_1) | instskip(NEXT) | instid1(VALU_DEP_1)
	v_mov_b32_dpp v2, v1 row_shr:4 row_mask:0xf bank_mask:0xf
	v_cndmask_b32_e64 v2, 0, v2, s3
	s_delay_alu instid0(VALU_DEP_1) | instskip(NEXT) | instid1(VALU_DEP_1)
	v_add_nc_u32_e32 v1, v1, v2
	v_mov_b32_dpp v2, v1 row_shr:8 row_mask:0xf bank_mask:0xf
	s_delay_alu instid0(VALU_DEP_1) | instskip(NEXT) | instid1(VALU_DEP_1)
	v_cndmask_b32_e64 v2, 0, v2, s2
	v_add_nc_u32_e32 v1, v1, v2
	ds_swizzle_b32 v2, v1 offset:swizzle(BROADCAST,32,15)
	s_wait_dscnt 0x0
	v_cndmask_b32_e64 v2, v2, 0, s1
	s_delay_alu instid0(VALU_DEP_1)
	v_add_nc_u32_e32 v1, v1, v2
	s_and_saveexec_b32 s6, s0
; %bb.36:
	v_lshlrev_b32_e32 v2, 2, v63
	ds_store_b32 v2, v1
; %bb.37:
	s_wait_alu 0xfffe
	s_or_b32 exec_lo, exec_lo, s6
	s_delay_alu instid0(SALU_CYCLE_1)
	s_mov_b32 s6, exec_lo
	s_wait_loadcnt_dscnt 0x0
	s_barrier_signal -1
	s_barrier_wait -1
	global_inv scope:SCOPE_SE
	v_cmpx_gt_u32_e32 8, v0
	s_cbranch_execz .LBB263_39
; %bb.38:
	ds_load_b32 v2, v42
	s_wait_dscnt 0x0
	v_mov_b32_dpp v4, v2 row_shr:1 row_mask:0xf bank_mask:0xf
	v_and_b32_e32 v3, 7, v62
	s_delay_alu instid0(VALU_DEP_1) | instskip(SKIP_1) | instid1(VALU_DEP_3)
	v_cmp_ne_u32_e32 vcc_lo, 0, v3
	s_wait_alu 0xfffd
	v_cndmask_b32_e32 v4, 0, v4, vcc_lo
	v_cmp_lt_u32_e32 vcc_lo, 1, v3
	s_delay_alu instid0(VALU_DEP_2) | instskip(NEXT) | instid1(VALU_DEP_1)
	v_add_nc_u32_e32 v2, v4, v2
	v_mov_b32_dpp v4, v2 row_shr:2 row_mask:0xf bank_mask:0xf
	s_wait_alu 0xfffd
	s_delay_alu instid0(VALU_DEP_1) | instskip(SKIP_1) | instid1(VALU_DEP_2)
	v_cndmask_b32_e32 v4, 0, v4, vcc_lo
	v_cmp_lt_u32_e32 vcc_lo, 3, v3
	v_add_nc_u32_e32 v2, v2, v4
	s_delay_alu instid0(VALU_DEP_1) | instskip(SKIP_1) | instid1(VALU_DEP_1)
	v_mov_b32_dpp v4, v2 row_shr:4 row_mask:0xf bank_mask:0xf
	s_wait_alu 0xfffd
	v_cndmask_b32_e32 v3, 0, v4, vcc_lo
	s_delay_alu instid0(VALU_DEP_1)
	v_add_nc_u32_e32 v2, v2, v3
	ds_store_b32 v42, v2
.LBB263_39:
	s_wait_alu 0xfffe
	s_or_b32 exec_lo, exec_lo, s6
	s_delay_alu instid0(SALU_CYCLE_1)
	s_mov_b32 s7, exec_lo
	v_cmp_gt_u32_e32 vcc_lo, 32, v0
	s_wait_loadcnt_dscnt 0x0
	s_barrier_signal -1
	s_barrier_wait -1
	global_inv scope:SCOPE_SE
                                        ; implicit-def: $vgpr9
	v_cmpx_lt_u32_e32 31, v0
	s_cbranch_execz .LBB263_41
; %bb.40:
	v_lshl_add_u32 v2, v63, 2, -4
	ds_load_b32 v9, v2
	s_wait_dscnt 0x0
	v_add_nc_u32_e32 v1, v9, v1
.LBB263_41:
	s_wait_alu 0xfffe
	s_or_b32 exec_lo, exec_lo, s7
	v_sub_co_u32 v2, s6, v62, 1
	s_delay_alu instid0(VALU_DEP_1) | instskip(SKIP_1) | instid1(VALU_DEP_1)
	v_cmp_gt_i32_e64 s7, 0, v2
	s_wait_alu 0xf1ff
	v_cndmask_b32_e64 v2, v2, v62, s7
	s_delay_alu instid0(VALU_DEP_1)
	v_lshlrev_b32_e32 v2, 2, v2
	ds_bpermute_b32 v10, v2, v1
	s_and_saveexec_b32 s7, vcc_lo
	s_cbranch_execz .LBB263_60
; %bb.42:
	v_mov_b32_e32 v5, 0
	ds_load_b32 v1, v5 offset:28
	s_and_saveexec_b32 s17, s6
	s_cbranch_execz .LBB263_44
; %bb.43:
	s_add_co_i32 s24, ttmp9, 32
	s_mov_b32 s25, 0
	v_mov_b32_e32 v2, 1
	s_lshl_b64 s[24:25], s[24:25], 3
	s_wait_kmcnt 0x0
	s_add_nc_u64 s[24:25], s[20:21], s[24:25]
	s_wait_dscnt 0x0
	global_store_b64 v5, v[1:2], s[24:25] scope:SCOPE_DEV
.LBB263_44:
	s_or_b32 exec_lo, exec_lo, s17
	v_xad_u32 v3, v62, -1, ttmp9
	s_mov_b32 s24, 0
	s_mov_b32 s17, exec_lo
	s_delay_alu instid0(VALU_DEP_1) | instskip(NEXT) | instid1(VALU_DEP_1)
	v_add_nc_u32_e32 v4, 32, v3
	v_lshlrev_b64_e32 v[4:5], 3, v[4:5]
	s_wait_kmcnt 0x0
	s_delay_alu instid0(VALU_DEP_1) | instskip(SKIP_1) | instid1(VALU_DEP_2)
	v_add_co_u32 v7, vcc_lo, s20, v4
	s_wait_alu 0xfffd
	v_add_co_ci_u32_e64 v8, null, s21, v5, vcc_lo
	global_load_b64 v[5:6], v[7:8], off scope:SCOPE_DEV
	s_wait_loadcnt 0x0
	v_and_b32_e32 v2, 0xff, v6
	s_delay_alu instid0(VALU_DEP_1)
	v_cmpx_eq_u16_e32 0, v2
	s_cbranch_execz .LBB263_47
.LBB263_45:                             ; =>This Inner Loop Header: Depth=1
	global_load_b64 v[5:6], v[7:8], off scope:SCOPE_DEV
	s_wait_loadcnt 0x0
	v_and_b32_e32 v2, 0xff, v6
	s_delay_alu instid0(VALU_DEP_1) | instskip(SKIP_1) | instid1(SALU_CYCLE_1)
	v_cmp_ne_u16_e32 vcc_lo, 0, v2
	s_or_b32 s24, vcc_lo, s24
	s_and_not1_b32 exec_lo, exec_lo, s24
	s_cbranch_execnz .LBB263_45
; %bb.46:
	s_or_b32 exec_lo, exec_lo, s24
.LBB263_47:
	s_delay_alu instid0(SALU_CYCLE_1)
	s_or_b32 exec_lo, exec_lo, s17
	v_cmp_ne_u32_e32 vcc_lo, 31, v62
	v_lshlrev_b32_e64 v12, v62, -1
	v_add_nc_u32_e32 v14, 2, v62
	v_add_nc_u32_e32 v16, 4, v62
	;; [unrolled: 1-line block ×3, first 2 shown]
	s_wait_alu 0xfffd
	v_add_co_ci_u32_e64 v2, null, 0, v62, vcc_lo
	v_lshl_or_b32 v66, v62, 2, 64
	v_add_nc_u32_e32 v67, 16, v62
	s_delay_alu instid0(VALU_DEP_3)
	v_lshlrev_b32_e32 v11, 2, v2
	v_and_b32_e32 v2, 0xff, v6
	ds_bpermute_b32 v4, v11, v5
	v_cmp_eq_u16_e32 vcc_lo, 2, v2
	s_wait_alu 0xfffd
	v_and_or_b32 v2, vcc_lo, v12, 0x80000000
	v_cmp_gt_u32_e32 vcc_lo, 30, v62
	s_delay_alu instid0(VALU_DEP_2) | instskip(SKIP_2) | instid1(VALU_DEP_2)
	v_ctz_i32_b32_e32 v2, v2
	s_wait_alu 0xfffd
	v_cndmask_b32_e64 v7, 0, 2, vcc_lo
	v_cmp_lt_u32_e32 vcc_lo, v62, v2
	s_delay_alu instid0(VALU_DEP_2) | instskip(SKIP_4) | instid1(VALU_DEP_2)
	v_add_lshl_u32 v13, v7, v62, 2
	s_wait_dscnt 0x0
	s_wait_alu 0xfffd
	v_cndmask_b32_e32 v4, 0, v4, vcc_lo
	v_cmp_gt_u32_e32 vcc_lo, 28, v62
	v_add_nc_u32_e32 v4, v4, v5
	s_wait_alu 0xfffd
	v_cndmask_b32_e64 v7, 0, 4, vcc_lo
	v_cmp_le_u32_e32 vcc_lo, v14, v2
	ds_bpermute_b32 v5, v13, v4
	v_add_lshl_u32 v15, v7, v62, 2
	s_wait_dscnt 0x0
	s_wait_alu 0xfffd
	v_cndmask_b32_e32 v5, 0, v5, vcc_lo
	v_cmp_gt_u32_e32 vcc_lo, 24, v62
	s_delay_alu instid0(VALU_DEP_2)
	v_add_nc_u32_e32 v4, v4, v5
	s_wait_alu 0xfffd
	v_cndmask_b32_e64 v7, 0, 8, vcc_lo
	v_cmp_le_u32_e32 vcc_lo, v16, v2
	ds_bpermute_b32 v5, v15, v4
	v_add_lshl_u32 v17, v7, v62, 2
	s_wait_dscnt 0x0
	s_wait_alu 0xfffd
	v_cndmask_b32_e32 v5, 0, v5, vcc_lo
	v_cmp_le_u32_e32 vcc_lo, v65, v2
	s_delay_alu instid0(VALU_DEP_2)
	v_add_nc_u32_e32 v4, v4, v5
	ds_bpermute_b32 v5, v17, v4
	s_wait_dscnt 0x0
	s_wait_alu 0xfffd
	v_cndmask_b32_e32 v5, 0, v5, vcc_lo
	v_cmp_le_u32_e32 vcc_lo, v67, v2
	s_delay_alu instid0(VALU_DEP_2) | instskip(SKIP_4) | instid1(VALU_DEP_1)
	v_add_nc_u32_e32 v4, v4, v5
	ds_bpermute_b32 v5, v66, v4
	s_wait_dscnt 0x0
	s_wait_alu 0xfffd
	v_cndmask_b32_e32 v2, 0, v5, vcc_lo
	v_dual_mov_b32 v4, 0 :: v_dual_add_nc_u32 v5, v4, v2
	s_branch .LBB263_51
.LBB263_48:                             ;   in Loop: Header=BB263_51 Depth=1
	s_or_b32 exec_lo, exec_lo, s24
.LBB263_49:                             ;   in Loop: Header=BB263_51 Depth=1
	s_delay_alu instid0(SALU_CYCLE_1) | instskip(SKIP_4) | instid1(VALU_DEP_2)
	s_or_b32 exec_lo, exec_lo, s17
	ds_bpermute_b32 v8, v11, v5
	v_and_b32_e32 v7, 0xff, v6
	v_subrev_nc_u32_e32 v3, 32, v3
	s_mov_b32 s17, 0
	v_cmp_eq_u16_e32 vcc_lo, 2, v7
	s_wait_alu 0xfffd
	v_and_or_b32 v7, vcc_lo, v12, 0x80000000
	s_delay_alu instid0(VALU_DEP_1) | instskip(NEXT) | instid1(VALU_DEP_1)
	v_ctz_i32_b32_e32 v7, v7
	v_cmp_lt_u32_e32 vcc_lo, v62, v7
	s_wait_dscnt 0x0
	s_wait_alu 0xfffd
	v_cndmask_b32_e32 v8, 0, v8, vcc_lo
	v_cmp_le_u32_e32 vcc_lo, v14, v7
	s_delay_alu instid0(VALU_DEP_2)
	v_add_nc_u32_e32 v5, v8, v5
	ds_bpermute_b32 v8, v13, v5
	s_wait_dscnt 0x0
	s_wait_alu 0xfffd
	v_cndmask_b32_e32 v8, 0, v8, vcc_lo
	v_cmp_le_u32_e32 vcc_lo, v16, v7
	s_delay_alu instid0(VALU_DEP_2)
	v_add_nc_u32_e32 v5, v5, v8
	ds_bpermute_b32 v8, v15, v5
	;; [unrolled: 7-line block ×3, first 2 shown]
	s_wait_dscnt 0x0
	s_wait_alu 0xfffd
	v_cndmask_b32_e32 v8, 0, v8, vcc_lo
	v_cmp_le_u32_e32 vcc_lo, v67, v7
	s_delay_alu instid0(VALU_DEP_2) | instskip(SKIP_4) | instid1(VALU_DEP_1)
	v_add_nc_u32_e32 v5, v5, v8
	ds_bpermute_b32 v8, v66, v5
	s_wait_dscnt 0x0
	s_wait_alu 0xfffd
	v_cndmask_b32_e32 v7, 0, v8, vcc_lo
	v_add3_u32 v5, v7, v2, v5
.LBB263_50:                             ;   in Loop: Header=BB263_51 Depth=1
	s_and_b32 vcc_lo, exec_lo, s17
	s_wait_alu 0xfffe
	s_cbranch_vccnz .LBB263_56
.LBB263_51:                             ; =>This Loop Header: Depth=1
                                        ;     Child Loop BB263_54 Depth 2
	v_and_b32_e32 v2, 0xff, v6
	s_mov_b32 s17, -1
                                        ; implicit-def: $vgpr6
	s_delay_alu instid0(VALU_DEP_1)
	v_cmp_ne_u16_e32 vcc_lo, 2, v2
	v_mov_b32_e32 v2, v5
                                        ; implicit-def: $vgpr5
	s_cmp_lg_u32 vcc_lo, exec_lo
	s_cbranch_scc1 .LBB263_50
; %bb.52:                               ;   in Loop: Header=BB263_51 Depth=1
	v_lshlrev_b64_e32 v[5:6], 3, v[3:4]
	s_mov_b32 s17, exec_lo
	s_delay_alu instid0(VALU_DEP_1) | instskip(SKIP_1) | instid1(VALU_DEP_2)
	v_add_co_u32 v7, vcc_lo, s20, v5
	s_wait_alu 0xfffd
	v_add_co_ci_u32_e64 v8, null, s21, v6, vcc_lo
	global_load_b64 v[5:6], v[7:8], off scope:SCOPE_DEV
	s_wait_loadcnt 0x0
	v_and_b32_e32 v68, 0xff, v6
	s_delay_alu instid0(VALU_DEP_1)
	v_cmpx_eq_u16_e32 0, v68
	s_cbranch_execz .LBB263_49
; %bb.53:                               ;   in Loop: Header=BB263_51 Depth=1
	s_mov_b32 s24, 0
.LBB263_54:                             ;   Parent Loop BB263_51 Depth=1
                                        ; =>  This Inner Loop Header: Depth=2
	global_load_b64 v[5:6], v[7:8], off scope:SCOPE_DEV
	s_wait_loadcnt 0x0
	v_and_b32_e32 v68, 0xff, v6
	s_delay_alu instid0(VALU_DEP_1) | instskip(SKIP_1) | instid1(SALU_CYCLE_1)
	v_cmp_ne_u16_e32 vcc_lo, 0, v68
	s_or_b32 s24, vcc_lo, s24
	s_and_not1_b32 exec_lo, exec_lo, s24
	s_cbranch_execnz .LBB263_54
	s_branch .LBB263_48
.LBB263_55:
                                        ; implicit-def: $vgpr17
                                        ; implicit-def: $vgpr1_vgpr2_vgpr3_vgpr4_vgpr5_vgpr6_vgpr7_vgpr8_vgpr9_vgpr10_vgpr11_vgpr12_vgpr13_vgpr14_vgpr15_vgpr16
	s_wait_alu 0xfffe
	s_and_b32 vcc_lo, exec_lo, s6
	s_wait_alu 0xfffe
	s_cbranch_vccnz .LBB263_61
	s_branch .LBB263_70
.LBB263_56:
	s_and_saveexec_b32 s17, s6
	s_cbranch_execz .LBB263_58
; %bb.57:
	s_add_co_i32 s24, ttmp9, 32
	s_mov_b32 s25, 0
	v_dual_mov_b32 v4, 2 :: v_dual_add_nc_u32 v3, v2, v1
	v_mov_b32_e32 v5, 0
	s_lshl_b64 s[24:25], s[24:25], 3
	s_delay_alu instid0(SALU_CYCLE_1)
	s_add_nc_u64 s[24:25], s[20:21], s[24:25]
	global_store_b64 v5, v[3:4], s[24:25] scope:SCOPE_DEV
	ds_store_b64 v5, v[1:2] offset:13312
.LBB263_58:
	s_or_b32 exec_lo, exec_lo, s17
	v_cmp_eq_u32_e32 vcc_lo, 0, v0
	s_and_b32 exec_lo, exec_lo, vcc_lo
; %bb.59:
	v_mov_b32_e32 v1, 0
	ds_store_b32 v1, v2 offset:28
.LBB263_60:
	s_wait_alu 0xfffe
	s_or_b32 exec_lo, exec_lo, s7
	s_wait_dscnt 0x0
	v_cndmask_b32_e64 v2, v10, v9, s6
	v_cmp_ne_u32_e32 vcc_lo, 0, v0
	v_mov_b32_e32 v11, 0
	s_wait_loadcnt 0x0
	s_wait_storecnt 0x0
	s_barrier_signal -1
	s_barrier_wait -1
	global_inv scope:SCOPE_SE
	s_wait_alu 0xfffd
	v_cndmask_b32_e32 v2, 0, v2, vcc_lo
	ds_load_b32 v1, v11 offset:28
	s_wait_loadcnt_dscnt 0x0
	s_barrier_signal -1
	s_barrier_wait -1
	global_inv scope:SCOPE_SE
	ds_load_b64 v[16:17], v11 offset:13312
	v_add_nc_u32_e32 v1, v1, v2
	s_delay_alu instid0(VALU_DEP_1) | instskip(NEXT) | instid1(VALU_DEP_1)
	v_add_nc_u32_e32 v2, v1, v53
	v_add_nc_u32_e32 v3, v2, v54
	s_delay_alu instid0(VALU_DEP_1) | instskip(NEXT) | instid1(VALU_DEP_1)
	v_add_nc_u32_e32 v4, v3, v55
	;; [unrolled: 3-line block ×6, first 2 shown]
	v_add_nc_u32_e32 v13, v12, v48
	s_branch .LBB263_70
.LBB263_61:
	v_mov_b32_dpp v1, v64 row_shr:1 row_mask:0xf bank_mask:0xf
	s_delay_alu instid0(VALU_DEP_1) | instskip(NEXT) | instid1(VALU_DEP_1)
	v_cndmask_b32_e64 v1, v1, 0, s5
	v_add_nc_u32_e32 v1, v1, v64
	s_delay_alu instid0(VALU_DEP_1) | instskip(NEXT) | instid1(VALU_DEP_1)
	v_mov_b32_dpp v2, v1 row_shr:2 row_mask:0xf bank_mask:0xf
	v_cndmask_b32_e64 v2, 0, v2, s4
	s_delay_alu instid0(VALU_DEP_1) | instskip(NEXT) | instid1(VALU_DEP_1)
	v_add_nc_u32_e32 v1, v1, v2
	v_mov_b32_dpp v2, v1 row_shr:4 row_mask:0xf bank_mask:0xf
	s_delay_alu instid0(VALU_DEP_1) | instskip(NEXT) | instid1(VALU_DEP_1)
	v_cndmask_b32_e64 v2, 0, v2, s3
	v_add_nc_u32_e32 v1, v1, v2
	s_delay_alu instid0(VALU_DEP_1) | instskip(NEXT) | instid1(VALU_DEP_1)
	v_mov_b32_dpp v2, v1 row_shr:8 row_mask:0xf bank_mask:0xf
	v_cndmask_b32_e64 v2, 0, v2, s2
	s_delay_alu instid0(VALU_DEP_1) | instskip(SKIP_3) | instid1(VALU_DEP_1)
	v_add_nc_u32_e32 v1, v1, v2
	ds_swizzle_b32 v2, v1 offset:swizzle(BROADCAST,32,15)
	s_wait_dscnt 0x0
	v_cndmask_b32_e64 v2, v2, 0, s1
	v_add_nc_u32_e32 v1, v1, v2
	s_and_saveexec_b32 s1, s0
; %bb.62:
	v_lshlrev_b32_e32 v2, 2, v63
	ds_store_b32 v2, v1
; %bb.63:
	s_wait_alu 0xfffe
	s_or_b32 exec_lo, exec_lo, s1
	s_delay_alu instid0(SALU_CYCLE_1)
	s_mov_b32 s0, exec_lo
	s_wait_loadcnt_dscnt 0x0
	s_barrier_signal -1
	s_barrier_wait -1
	global_inv scope:SCOPE_SE
	v_cmpx_gt_u32_e32 8, v0
	s_cbranch_execz .LBB263_65
; %bb.64:
	ds_load_b32 v2, v42
	s_wait_dscnt 0x0
	v_mov_b32_dpp v4, v2 row_shr:1 row_mask:0xf bank_mask:0xf
	v_and_b32_e32 v3, 7, v62
	s_delay_alu instid0(VALU_DEP_1) | instskip(SKIP_1) | instid1(VALU_DEP_3)
	v_cmp_ne_u32_e32 vcc_lo, 0, v3
	s_wait_alu 0xfffd
	v_cndmask_b32_e32 v4, 0, v4, vcc_lo
	v_cmp_lt_u32_e32 vcc_lo, 1, v3
	s_delay_alu instid0(VALU_DEP_2) | instskip(NEXT) | instid1(VALU_DEP_1)
	v_add_nc_u32_e32 v2, v4, v2
	v_mov_b32_dpp v4, v2 row_shr:2 row_mask:0xf bank_mask:0xf
	s_wait_alu 0xfffd
	s_delay_alu instid0(VALU_DEP_1) | instskip(SKIP_1) | instid1(VALU_DEP_2)
	v_cndmask_b32_e32 v4, 0, v4, vcc_lo
	v_cmp_lt_u32_e32 vcc_lo, 3, v3
	v_add_nc_u32_e32 v2, v2, v4
	s_delay_alu instid0(VALU_DEP_1) | instskip(SKIP_1) | instid1(VALU_DEP_1)
	v_mov_b32_dpp v4, v2 row_shr:4 row_mask:0xf bank_mask:0xf
	s_wait_alu 0xfffd
	v_cndmask_b32_e32 v3, 0, v4, vcc_lo
	s_delay_alu instid0(VALU_DEP_1)
	v_add_nc_u32_e32 v2, v2, v3
	ds_store_b32 v42, v2
.LBB263_65:
	s_wait_alu 0xfffe
	s_or_b32 exec_lo, exec_lo, s0
	v_dual_mov_b32 v3, 0 :: v_dual_mov_b32 v2, 0
	s_mov_b32 s0, exec_lo
	s_wait_loadcnt_dscnt 0x0
	s_barrier_signal -1
	s_barrier_wait -1
	global_inv scope:SCOPE_SE
	v_cmpx_lt_u32_e32 31, v0
; %bb.66:
	v_lshl_add_u32 v2, v63, 2, -4
	ds_load_b32 v2, v2
; %bb.67:
	s_wait_alu 0xfffe
	s_or_b32 exec_lo, exec_lo, s0
	v_sub_co_u32 v4, vcc_lo, v62, 1
	s_wait_dscnt 0x0
	v_add_nc_u32_e32 v1, v2, v1
	ds_load_b32 v16, v3 offset:28
	v_cmp_gt_i32_e64 s0, 0, v4
	s_wait_alu 0xf1ff
	s_delay_alu instid0(VALU_DEP_1) | instskip(SKIP_1) | instid1(VALU_DEP_2)
	v_cndmask_b32_e64 v4, v4, v62, s0
	v_cmp_eq_u32_e64 s0, 0, v0
	v_lshlrev_b32_e32 v4, 2, v4
	ds_bpermute_b32 v1, v4, v1
	s_and_saveexec_b32 s1, s0
	s_cbranch_execz .LBB263_69
; %bb.68:
	v_mov_b32_e32 v3, 0
	v_mov_b32_e32 v17, 2
	s_wait_dscnt 0x1
	s_wait_kmcnt 0x0
	global_store_b64 v3, v[16:17], s[20:21] offset:256 scope:SCOPE_DEV
.LBB263_69:
	s_wait_alu 0xfffe
	s_or_b32 exec_lo, exec_lo, s1
	s_wait_dscnt 0x0
	s_wait_alu 0xfffd
	v_cndmask_b32_e32 v1, v1, v2, vcc_lo
	s_wait_loadcnt 0x0
	s_wait_storecnt 0x0
	s_barrier_signal -1
	s_barrier_wait -1
	global_inv scope:SCOPE_SE
	v_cndmask_b32_e64 v1, v1, 0, s0
	s_delay_alu instid0(VALU_DEP_1) | instskip(NEXT) | instid1(VALU_DEP_1)
	v_dual_mov_b32 v17, 0 :: v_dual_add_nc_u32 v2, v1, v53
	v_add_nc_u32_e32 v3, v2, v54
	s_delay_alu instid0(VALU_DEP_1) | instskip(NEXT) | instid1(VALU_DEP_1)
	v_add_nc_u32_e32 v4, v3, v55
	v_add_nc_u32_e32 v5, v4, v52
	s_delay_alu instid0(VALU_DEP_1) | instskip(NEXT) | instid1(VALU_DEP_1)
	v_add_nc_u32_e32 v6, v5, v56
	;; [unrolled: 3-line block ×5, first 2 shown]
	v_add_nc_u32_e32 v13, v12, v48
.LBB263_70:
	v_lshrrev_b32_e32 v56, 8, v51
	v_lshrrev_b32_e32 v55, 16, v51
	s_wait_dscnt 0x0
	v_sub_nc_u32_e32 v1, v1, v17
	v_and_b32_e32 v51, 1, v51
	v_sub_nc_u32_e32 v3, v3, v17
	v_add_nc_u32_e32 v45, v16, v45
	v_sub_nc_u32_e32 v2, v2, v17
	v_sub_nc_u32_e32 v4, v4, v17
	v_cmp_eq_u32_e32 vcc_lo, 1, v51
	v_and_b32_e32 v51, 1, v55
	v_sub_nc_u32_e32 v57, v45, v1
	v_and_b32_e32 v56, 1, v56
	v_sub_nc_u32_e32 v55, v45, v2
	v_lshrrev_b32_e32 v54, 8, v49
	v_lshrrev_b32_e32 v53, 16, v49
	s_wait_alu 0xfffd
	v_cndmask_b32_e32 v1, v57, v1, vcc_lo
	v_sub_nc_u32_e32 v57, v45, v3
	v_add_nc_u32_e32 v55, 1, v55
	v_cmp_eq_u32_e32 vcc_lo, 1, v56
	v_and_b32_e32 v52, 1, v52
	v_lshlrev_b32_e32 v1, 2, v1
	v_add_nc_u32_e32 v57, 2, v57
	v_lshrrev_b32_e32 v15, 8, v47
	v_lshrrev_b32_e32 v14, 16, v47
	ds_store_b32 v1, v28
	s_wait_alu 0xfffd
	v_cndmask_b32_e32 v1, v55, v2, vcc_lo
	v_cmp_eq_u32_e32 vcc_lo, 1, v51
	s_wait_alu 0xfffd
	s_delay_alu instid0(VALU_DEP_2)
	v_dual_cndmask_b32 v2, v57, v3 :: v_dual_lshlrev_b32 v1, 2, v1
	v_sub_nc_u32_e32 v58, v45, v4
	v_cmp_eq_u32_e32 vcc_lo, 1, v52
	ds_store_b32 v1, v29
	v_lshlrev_b32_e32 v2, 2, v2
	v_add_nc_u32_e32 v58, 3, v58
	s_wait_alu 0xfffd
	s_delay_alu instid0(VALU_DEP_1) | instskip(SKIP_2) | instid1(VALU_DEP_3)
	v_cndmask_b32_e32 v3, v58, v4, vcc_lo
	v_sub_nc_u32_e32 v4, v5, v17
	v_sub_nc_u32_e32 v5, v6, v17
	v_lshlrev_b32_e32 v3, 2, v3
	s_delay_alu instid0(VALU_DEP_3) | instskip(NEXT) | instid1(VALU_DEP_3)
	v_sub_nc_u32_e32 v1, v45, v4
	v_sub_nc_u32_e32 v6, v45, v5
	ds_store_b32 v2, v26
	ds_store_b32 v3, v27
	v_and_b32_e32 v2, 1, v49
	v_add_nc_u32_e32 v1, 4, v1
	v_add_nc_u32_e32 v3, 5, v6
	v_sub_nc_u32_e32 v6, v7, v17
	v_and_b32_e32 v7, 1, v54
	v_cmp_eq_u32_e32 vcc_lo, 1, v2
	v_sub_nc_u32_e32 v2, v8, v17
	s_wait_alu 0xfffd
	v_dual_cndmask_b32 v1, v1, v4 :: v_dual_and_b32 v8, 1, v50
	v_sub_nc_u32_e32 v4, v45, v6
	v_cmp_eq_u32_e32 vcc_lo, 1, v7
	v_and_b32_e32 v7, 1, v53
	s_delay_alu instid0(VALU_DEP_4)
	v_lshlrev_b32_e32 v1, 2, v1
	s_wait_alu 0xfffd
	v_dual_cndmask_b32 v3, v3, v5 :: v_dual_add_nc_u32 v4, 6, v4
	v_sub_nc_u32_e32 v5, v45, v2
	v_cmp_eq_u32_e32 vcc_lo, 1, v7
	v_sub_nc_u32_e32 v7, v13, v17
	s_delay_alu instid0(VALU_DEP_4)
	v_lshlrev_b32_e32 v3, 2, v3
	s_wait_alu 0xfffd
	v_dual_cndmask_b32 v4, v4, v6 :: v_dual_add_nc_u32 v5, 7, v5
	v_cmp_eq_u32_e32 vcc_lo, 1, v8
	v_sub_nc_u32_e32 v6, v9, v17
	ds_store_b32 v1, v24
	ds_store_b32 v3, v25
	s_wait_alu 0xfffd
	v_dual_cndmask_b32 v2, v5, v2 :: v_dual_lshlrev_b32 v3, 2, v4
	v_and_b32_e32 v5, 1, v47
	v_sub_nc_u32_e32 v1, v45, v6
	v_sub_nc_u32_e32 v4, v10, v17
	v_and_b32_e32 v10, 1, v48
	s_delay_alu instid0(VALU_DEP_4) | instskip(SKIP_2) | instid1(VALU_DEP_2)
	v_cmp_eq_u32_e32 vcc_lo, 1, v5
	v_sub_nc_u32_e32 v5, v12, v17
	v_add_nc_u32_e32 v1, 8, v1
	v_sub_nc_u32_e32 v9, v45, v5
	s_wait_alu 0xfffd
	s_delay_alu instid0(VALU_DEP_2)
	v_dual_cndmask_b32 v1, v1, v6 :: v_dual_and_b32 v6, 1, v15
	s_wait_kmcnt 0x0
	v_add_co_u32 v15, s0, s18, v17
	v_add_nc_u32_e32 v9, 11, v9
	v_lshlrev_b32_e32 v2, 2, v2
	ds_store_b32 v3, v22
	ds_store_b32 v2, v23
	v_sub_nc_u32_e32 v3, v11, v17
	v_sub_nc_u32_e32 v2, v45, v4
	v_cmp_eq_u32_e32 vcc_lo, 1, v6
	v_and_b32_e32 v11, 1, v46
	v_lshlrev_b32_e32 v1, 2, v1
	v_sub_nc_u32_e32 v8, v45, v3
	v_add_nc_u32_e32 v2, 9, v2
	s_wait_alu 0xf1ff
	v_add_co_ci_u32_e64 v17, null, s19, 0, s0
	s_delay_alu instid0(VALU_DEP_3) | instskip(SKIP_4) | instid1(VALU_DEP_3)
	v_add_nc_u32_e32 v6, 10, v8
	v_and_b32_e32 v8, 1, v14
	s_wait_alu 0xfffd
	v_cndmask_b32_e32 v2, v2, v4, vcc_lo
	v_sub_nc_u32_e32 v4, v45, v7
	v_cmp_eq_u32_e32 vcc_lo, 1, v8
	s_delay_alu instid0(VALU_DEP_3) | instskip(SKIP_1) | instid1(VALU_DEP_3)
	v_lshlrev_b32_e32 v2, 2, v2
	s_wait_alu 0xfffd
	v_dual_cndmask_b32 v3, v6, v3 :: v_dual_add_nc_u32 v4, 12, v4
	v_cmp_eq_u32_e32 vcc_lo, 1, v10
	s_delay_alu instid0(VALU_DEP_2) | instskip(SKIP_4) | instid1(VALU_DEP_2)
	v_lshlrev_b32_e32 v3, 2, v3
	s_wait_alu 0xfffd
	v_cndmask_b32_e32 v5, v9, v5, vcc_lo
	v_cmp_eq_u32_e32 vcc_lo, 1, v11
	s_wait_alu 0xfffd
	v_dual_cndmask_b32 v4, v4, v7 :: v_dual_lshlrev_b32 v5, 2, v5
	v_cmp_ne_u32_e32 vcc_lo, 1, v43
	s_delay_alu instid0(VALU_DEP_2)
	v_lshlrev_b32_e32 v4, 2, v4
	ds_store_b32 v1, v20
	ds_store_b32 v2, v21
	;; [unrolled: 1-line block ×5, first 2 shown]
	s_wait_loadcnt_dscnt 0x0
	s_barrier_signal -1
	s_barrier_wait -1
	global_inv scope:SCOPE_SE
	ds_load_2addr_stride64_b32 v[11:12], v42 offset1:4
	ds_load_2addr_stride64_b32 v[9:10], v42 offset0:8 offset1:12
	ds_load_2addr_stride64_b32 v[7:8], v42 offset0:16 offset1:20
	;; [unrolled: 1-line block ×5, first 2 shown]
	ds_load_b32 v18, v42 offset:12288
	s_cbranch_vccnz .LBB263_124
; %bb.71:
	s_mov_b32 s17, 0
	v_sub_co_u32 v13, vcc_lo, v15, s12
	s_sub_nc_u64 s[0:1], s[14:15], s[16:17]
	s_wait_alu 0xfffd
	v_subrev_co_ci_u32_e64 v14, null, s13, v17, vcc_lo
	s_wait_alu 0xfffe
	v_add_co_u32 v19, s0, s0, v16
	s_wait_alu 0xf1ff
	v_add_co_ci_u32_e64 v20, null, s1, 0, s0
	s_mov_b32 s0, exec_lo
	v_add_co_u32 v19, vcc_lo, v19, v13
	s_wait_alu 0xfffd
	v_add_co_ci_u32_e64 v20, null, v20, v14, vcc_lo
                                        ; implicit-def: $vgpr13_vgpr14
	v_cmpx_ge_u32_e64 v0, v16
	s_wait_alu 0xfffe
	s_xor_b32 s0, exec_lo, s0
; %bb.72:
	v_not_b32_e32 v13, v0
	s_delay_alu instid0(VALU_DEP_1) | instskip(SKIP_2) | instid1(VALU_DEP_2)
	v_ashrrev_i32_e32 v14, 31, v13
	v_add_co_u32 v13, vcc_lo, v19, v13
	s_wait_alu 0xfffd
	v_add_co_ci_u32_e64 v14, null, v20, v14, vcc_lo
; %bb.73:
	s_wait_alu 0xfffe
	s_and_not1_saveexec_b32 s0, s0
; %bb.74:
	v_add_co_u32 v13, vcc_lo, v15, v0
	s_wait_alu 0xfffd
	v_add_co_ci_u32_e64 v14, null, 0, v17, vcc_lo
; %bb.75:
	s_wait_alu 0xfffe
	s_or_b32 exec_lo, exec_lo, s0
	s_delay_alu instid0(VALU_DEP_1) | instskip(SKIP_1) | instid1(VALU_DEP_1)
	v_lshlrev_b64_e32 v[13:14], 2, v[13:14]
	s_mov_b32 s0, exec_lo
	v_add_co_u32 v13, vcc_lo, s10, v13
	s_wait_alu 0xfffd
	s_delay_alu instid0(VALU_DEP_2)
	v_add_co_ci_u32_e64 v14, null, s11, v14, vcc_lo
	s_wait_dscnt 0x6
	global_store_b32 v[13:14], v11, off
                                        ; implicit-def: $vgpr13_vgpr14
	v_cmpx_ge_u32_e64 v41, v16
	s_wait_alu 0xfffe
	s_xor_b32 s0, exec_lo, s0
; %bb.76:
	v_xor_b32_e32 v13, 0xfffffeff, v0
	s_delay_alu instid0(VALU_DEP_1) | instskip(SKIP_2) | instid1(VALU_DEP_2)
	v_ashrrev_i32_e32 v14, 31, v13
	v_add_co_u32 v13, vcc_lo, v19, v13
	s_wait_alu 0xfffd
	v_add_co_ci_u32_e64 v14, null, v20, v14, vcc_lo
; %bb.77:
	s_wait_alu 0xfffe
	s_and_not1_saveexec_b32 s0, s0
; %bb.78:
	v_add_co_u32 v13, vcc_lo, v15, v41
	s_wait_alu 0xfffd
	v_add_co_ci_u32_e64 v14, null, 0, v17, vcc_lo
; %bb.79:
	s_wait_alu 0xfffe
	s_or_b32 exec_lo, exec_lo, s0
	s_delay_alu instid0(VALU_DEP_1) | instskip(SKIP_1) | instid1(VALU_DEP_1)
	v_lshlrev_b64_e32 v[13:14], 2, v[13:14]
	s_mov_b32 s0, exec_lo
	v_add_co_u32 v13, vcc_lo, s10, v13
	s_wait_alu 0xfffd
	s_delay_alu instid0(VALU_DEP_2)
	v_add_co_ci_u32_e64 v14, null, s11, v14, vcc_lo
	global_store_b32 v[13:14], v12, off
                                        ; implicit-def: $vgpr13_vgpr14
	v_cmpx_ge_u32_e64 v40, v16
	s_wait_alu 0xfffe
	s_xor_b32 s0, exec_lo, s0
; %bb.80:
	v_xor_b32_e32 v13, 0xfffffdff, v0
	s_delay_alu instid0(VALU_DEP_1) | instskip(SKIP_2) | instid1(VALU_DEP_2)
	v_ashrrev_i32_e32 v14, 31, v13
	v_add_co_u32 v13, vcc_lo, v19, v13
	s_wait_alu 0xfffd
	v_add_co_ci_u32_e64 v14, null, v20, v14, vcc_lo
; %bb.81:
	s_wait_alu 0xfffe
	s_and_not1_saveexec_b32 s0, s0
; %bb.82:
	v_add_co_u32 v13, vcc_lo, v15, v40
	s_wait_alu 0xfffd
	v_add_co_ci_u32_e64 v14, null, 0, v17, vcc_lo
; %bb.83:
	s_wait_alu 0xfffe
	s_or_b32 exec_lo, exec_lo, s0
	s_delay_alu instid0(VALU_DEP_1) | instskip(SKIP_1) | instid1(VALU_DEP_1)
	v_lshlrev_b64_e32 v[13:14], 2, v[13:14]
	s_mov_b32 s0, exec_lo
	v_add_co_u32 v13, vcc_lo, s10, v13
	s_wait_alu 0xfffd
	s_delay_alu instid0(VALU_DEP_2)
	v_add_co_ci_u32_e64 v14, null, s11, v14, vcc_lo
	s_wait_dscnt 0x5
	global_store_b32 v[13:14], v9, off
                                        ; implicit-def: $vgpr13_vgpr14
	v_cmpx_ge_u32_e64 v39, v16
	s_wait_alu 0xfffe
	s_xor_b32 s0, exec_lo, s0
; %bb.84:
	v_xor_b32_e32 v13, 0xfffffcff, v0
	s_delay_alu instid0(VALU_DEP_1) | instskip(SKIP_2) | instid1(VALU_DEP_2)
	v_ashrrev_i32_e32 v14, 31, v13
	v_add_co_u32 v13, vcc_lo, v19, v13
	s_wait_alu 0xfffd
	v_add_co_ci_u32_e64 v14, null, v20, v14, vcc_lo
; %bb.85:
	s_wait_alu 0xfffe
	s_and_not1_saveexec_b32 s0, s0
; %bb.86:
	v_add_co_u32 v13, vcc_lo, v15, v39
	s_wait_alu 0xfffd
	v_add_co_ci_u32_e64 v14, null, 0, v17, vcc_lo
; %bb.87:
	s_wait_alu 0xfffe
	s_or_b32 exec_lo, exec_lo, s0
	s_delay_alu instid0(VALU_DEP_1) | instskip(SKIP_1) | instid1(VALU_DEP_1)
	v_lshlrev_b64_e32 v[13:14], 2, v[13:14]
	s_mov_b32 s0, exec_lo
	v_add_co_u32 v13, vcc_lo, s10, v13
	s_wait_alu 0xfffd
	s_delay_alu instid0(VALU_DEP_2)
	v_add_co_ci_u32_e64 v14, null, s11, v14, vcc_lo
	global_store_b32 v[13:14], v10, off
                                        ; implicit-def: $vgpr13_vgpr14
	v_cmpx_ge_u32_e64 v38, v16
	s_wait_alu 0xfffe
	s_xor_b32 s0, exec_lo, s0
; %bb.88:
	v_xor_b32_e32 v13, 0xfffffbff, v0
	;; [unrolled: 59-line block ×6, first 2 shown]
	s_delay_alu instid0(VALU_DEP_1) | instskip(SKIP_2) | instid1(VALU_DEP_2)
	v_ashrrev_i32_e32 v14, 31, v13
	v_add_co_u32 v13, vcc_lo, v19, v13
	s_wait_alu 0xfffd
	v_add_co_ci_u32_e64 v14, null, v20, v14, vcc_lo
; %bb.121:
	s_wait_alu 0xfffe
	s_and_not1_saveexec_b32 s0, s0
; %bb.122:
	v_add_co_u32 v13, vcc_lo, v15, v30
	s_wait_alu 0xfffd
	v_add_co_ci_u32_e64 v14, null, 0, v17, vcc_lo
; %bb.123:
	s_wait_alu 0xfffe
	s_or_b32 exec_lo, exec_lo, s0
	s_mov_b32 s0, -1
	s_branch .LBB263_204
.LBB263_124:
	s_mov_b32 s0, 0
                                        ; implicit-def: $vgpr13_vgpr14
	s_cbranch_execz .LBB263_204
; %bb.125:
	s_mov_b32 s17, 0
	s_delay_alu instid0(SALU_CYCLE_1)
	s_add_nc_u64 s[2:3], s[12:13], s[16:17]
	s_wait_alu 0xfffe
	s_sub_nc_u64 s[2:3], s[14:15], s[2:3]
	s_wait_alu 0xfffe
	v_add_co_u32 v13, s1, s2, v16
	s_wait_alu 0xf1ff
	v_add_co_ci_u32_e64 v14, null, s3, 0, s1
	s_mov_b32 s1, exec_lo
	v_add_co_u32 v19, vcc_lo, v13, v15
	s_wait_alu 0xfffd
	v_add_co_ci_u32_e64 v20, null, v14, v17, vcc_lo
	v_cmpx_gt_u32_e64 s23, v0
	s_cbranch_execz .LBB263_161
; %bb.126:
	s_mov_b32 s2, exec_lo
                                        ; implicit-def: $vgpr13_vgpr14
	v_cmpx_ge_u32_e64 v0, v16
	s_wait_alu 0xfffe
	s_xor_b32 s2, exec_lo, s2
; %bb.127:
	v_not_b32_e32 v13, v0
	s_delay_alu instid0(VALU_DEP_1) | instskip(SKIP_2) | instid1(VALU_DEP_2)
	v_ashrrev_i32_e32 v14, 31, v13
	v_add_co_u32 v13, vcc_lo, v19, v13
	s_wait_alu 0xfffd
	v_add_co_ci_u32_e64 v14, null, v20, v14, vcc_lo
; %bb.128:
	s_wait_alu 0xfffe
	s_and_not1_saveexec_b32 s2, s2
; %bb.129:
	v_add_co_u32 v13, vcc_lo, v15, v0
	s_wait_alu 0xfffd
	v_add_co_ci_u32_e64 v14, null, 0, v17, vcc_lo
; %bb.130:
	s_wait_alu 0xfffe
	s_or_b32 exec_lo, exec_lo, s2
	s_delay_alu instid0(VALU_DEP_1) | instskip(NEXT) | instid1(VALU_DEP_1)
	v_lshlrev_b64_e32 v[13:14], 2, v[13:14]
	v_add_co_u32 v13, vcc_lo, s10, v13
	s_wait_alu 0xfffd
	s_delay_alu instid0(VALU_DEP_2) | instskip(SKIP_3) | instid1(SALU_CYCLE_1)
	v_add_co_ci_u32_e64 v14, null, s11, v14, vcc_lo
	s_wait_dscnt 0x6
	global_store_b32 v[13:14], v11, off
	s_or_b32 exec_lo, exec_lo, s1
	s_mov_b32 s1, exec_lo
	v_cmpx_gt_u32_e64 s23, v41
	s_cbranch_execnz .LBB263_162
.LBB263_131:
	s_wait_alu 0xfffe
	s_or_b32 exec_lo, exec_lo, s1
	s_delay_alu instid0(SALU_CYCLE_1)
	s_mov_b32 s1, exec_lo
	v_cmpx_gt_u32_e64 s23, v40
	s_cbranch_execz .LBB263_167
.LBB263_132:
	s_mov_b32 s2, exec_lo
                                        ; implicit-def: $vgpr11_vgpr12
	v_cmpx_ge_u32_e64 v40, v16
	s_wait_alu 0xfffe
	s_xor_b32 s2, exec_lo, s2
	s_cbranch_execz .LBB263_134
; %bb.133:
	s_wait_dscnt 0x6
	v_xor_b32_e32 v11, 0xfffffdff, v0
                                        ; implicit-def: $vgpr40
	s_delay_alu instid0(VALU_DEP_1) | instskip(SKIP_2) | instid1(VALU_DEP_2)
	v_ashrrev_i32_e32 v12, 31, v11
	v_add_co_u32 v11, vcc_lo, v19, v11
	s_wait_alu 0xfffd
	v_add_co_ci_u32_e64 v12, null, v20, v12, vcc_lo
.LBB263_134:
	s_wait_alu 0xfffe
	s_and_not1_saveexec_b32 s2, s2
	s_cbranch_execz .LBB263_136
; %bb.135:
	s_wait_dscnt 0x6
	v_add_co_u32 v11, vcc_lo, v15, v40
	s_wait_alu 0xfffd
	v_add_co_ci_u32_e64 v12, null, 0, v17, vcc_lo
.LBB263_136:
	s_wait_alu 0xfffe
	s_or_b32 exec_lo, exec_lo, s2
	s_wait_dscnt 0x6
	s_delay_alu instid0(VALU_DEP_1) | instskip(NEXT) | instid1(VALU_DEP_1)
	v_lshlrev_b64_e32 v[11:12], 2, v[11:12]
	v_add_co_u32 v11, vcc_lo, s10, v11
	s_wait_alu 0xfffd
	s_delay_alu instid0(VALU_DEP_2) | instskip(SKIP_3) | instid1(SALU_CYCLE_1)
	v_add_co_ci_u32_e64 v12, null, s11, v12, vcc_lo
	s_wait_dscnt 0x5
	global_store_b32 v[11:12], v9, off
	s_or_b32 exec_lo, exec_lo, s1
	s_mov_b32 s1, exec_lo
	v_cmpx_gt_u32_e64 s23, v39
	s_cbranch_execnz .LBB263_168
.LBB263_137:
	s_wait_alu 0xfffe
	s_or_b32 exec_lo, exec_lo, s1
	s_delay_alu instid0(SALU_CYCLE_1)
	s_mov_b32 s1, exec_lo
	v_cmpx_gt_u32_e64 s23, v38
	s_cbranch_execz .LBB263_173
.LBB263_138:
	s_mov_b32 s2, exec_lo
                                        ; implicit-def: $vgpr9_vgpr10
	v_cmpx_ge_u32_e64 v38, v16
	s_wait_alu 0xfffe
	s_xor_b32 s2, exec_lo, s2
	s_cbranch_execz .LBB263_140
; %bb.139:
	s_wait_dscnt 0x5
	v_xor_b32_e32 v9, 0xfffffbff, v0
                                        ; implicit-def: $vgpr38
	s_delay_alu instid0(VALU_DEP_1) | instskip(SKIP_2) | instid1(VALU_DEP_2)
	v_ashrrev_i32_e32 v10, 31, v9
	v_add_co_u32 v9, vcc_lo, v19, v9
	s_wait_alu 0xfffd
	v_add_co_ci_u32_e64 v10, null, v20, v10, vcc_lo
.LBB263_140:
	s_wait_alu 0xfffe
	s_and_not1_saveexec_b32 s2, s2
	s_cbranch_execz .LBB263_142
; %bb.141:
	s_wait_dscnt 0x5
	v_add_co_u32 v9, vcc_lo, v15, v38
	s_wait_alu 0xfffd
	v_add_co_ci_u32_e64 v10, null, 0, v17, vcc_lo
.LBB263_142:
	s_wait_alu 0xfffe
	s_or_b32 exec_lo, exec_lo, s2
	s_wait_dscnt 0x5
	s_delay_alu instid0(VALU_DEP_1) | instskip(NEXT) | instid1(VALU_DEP_1)
	v_lshlrev_b64_e32 v[9:10], 2, v[9:10]
	v_add_co_u32 v9, vcc_lo, s10, v9
	s_wait_alu 0xfffd
	s_delay_alu instid0(VALU_DEP_2) | instskip(SKIP_3) | instid1(SALU_CYCLE_1)
	v_add_co_ci_u32_e64 v10, null, s11, v10, vcc_lo
	s_wait_dscnt 0x4
	global_store_b32 v[9:10], v7, off
	s_or_b32 exec_lo, exec_lo, s1
	s_mov_b32 s1, exec_lo
	v_cmpx_gt_u32_e64 s23, v37
	s_cbranch_execnz .LBB263_174
.LBB263_143:
	s_wait_alu 0xfffe
	s_or_b32 exec_lo, exec_lo, s1
	s_delay_alu instid0(SALU_CYCLE_1)
	s_mov_b32 s1, exec_lo
	v_cmpx_gt_u32_e64 s23, v36
	s_cbranch_execz .LBB263_179
.LBB263_144:
	s_mov_b32 s2, exec_lo
                                        ; implicit-def: $vgpr7_vgpr8
	v_cmpx_ge_u32_e64 v36, v16
	s_wait_alu 0xfffe
	s_xor_b32 s2, exec_lo, s2
	s_cbranch_execz .LBB263_146
; %bb.145:
	s_wait_dscnt 0x4
	v_xor_b32_e32 v7, 0xfffff9ff, v0
                                        ; implicit-def: $vgpr36
	s_delay_alu instid0(VALU_DEP_1) | instskip(SKIP_2) | instid1(VALU_DEP_2)
	v_ashrrev_i32_e32 v8, 31, v7
	v_add_co_u32 v7, vcc_lo, v19, v7
	s_wait_alu 0xfffd
	v_add_co_ci_u32_e64 v8, null, v20, v8, vcc_lo
.LBB263_146:
	s_wait_alu 0xfffe
	s_and_not1_saveexec_b32 s2, s2
	s_cbranch_execz .LBB263_148
; %bb.147:
	s_wait_dscnt 0x4
	v_add_co_u32 v7, vcc_lo, v15, v36
	s_wait_alu 0xfffd
	v_add_co_ci_u32_e64 v8, null, 0, v17, vcc_lo
.LBB263_148:
	s_wait_alu 0xfffe
	s_or_b32 exec_lo, exec_lo, s2
	s_wait_dscnt 0x4
	s_delay_alu instid0(VALU_DEP_1) | instskip(NEXT) | instid1(VALU_DEP_1)
	v_lshlrev_b64_e32 v[7:8], 2, v[7:8]
	v_add_co_u32 v7, vcc_lo, s10, v7
	s_wait_alu 0xfffd
	s_delay_alu instid0(VALU_DEP_2) | instskip(SKIP_3) | instid1(SALU_CYCLE_1)
	v_add_co_ci_u32_e64 v8, null, s11, v8, vcc_lo
	s_wait_dscnt 0x3
	global_store_b32 v[7:8], v5, off
	s_or_b32 exec_lo, exec_lo, s1
	s_mov_b32 s1, exec_lo
	v_cmpx_gt_u32_e64 s23, v35
	s_cbranch_execnz .LBB263_180
.LBB263_149:
	s_wait_alu 0xfffe
	s_or_b32 exec_lo, exec_lo, s1
	s_delay_alu instid0(SALU_CYCLE_1)
	s_mov_b32 s1, exec_lo
	v_cmpx_gt_u32_e64 s23, v34
	s_cbranch_execz .LBB263_185
.LBB263_150:
	s_mov_b32 s2, exec_lo
                                        ; implicit-def: $vgpr5_vgpr6
	v_cmpx_ge_u32_e64 v34, v16
	s_wait_alu 0xfffe
	s_xor_b32 s2, exec_lo, s2
	s_cbranch_execz .LBB263_152
; %bb.151:
	s_wait_dscnt 0x3
	v_xor_b32_e32 v5, 0xfffff7ff, v0
                                        ; implicit-def: $vgpr34
	s_delay_alu instid0(VALU_DEP_1) | instskip(SKIP_2) | instid1(VALU_DEP_2)
	v_ashrrev_i32_e32 v6, 31, v5
	v_add_co_u32 v5, vcc_lo, v19, v5
	s_wait_alu 0xfffd
	v_add_co_ci_u32_e64 v6, null, v20, v6, vcc_lo
.LBB263_152:
	s_wait_alu 0xfffe
	s_and_not1_saveexec_b32 s2, s2
	s_cbranch_execz .LBB263_154
; %bb.153:
	s_wait_dscnt 0x3
	v_add_co_u32 v5, vcc_lo, v15, v34
	s_wait_alu 0xfffd
	v_add_co_ci_u32_e64 v6, null, 0, v17, vcc_lo
.LBB263_154:
	s_wait_alu 0xfffe
	s_or_b32 exec_lo, exec_lo, s2
	s_wait_dscnt 0x3
	s_delay_alu instid0(VALU_DEP_1) | instskip(NEXT) | instid1(VALU_DEP_1)
	v_lshlrev_b64_e32 v[5:6], 2, v[5:6]
	v_add_co_u32 v5, vcc_lo, s10, v5
	s_wait_alu 0xfffd
	s_delay_alu instid0(VALU_DEP_2) | instskip(SKIP_3) | instid1(SALU_CYCLE_1)
	v_add_co_ci_u32_e64 v6, null, s11, v6, vcc_lo
	s_wait_dscnt 0x2
	global_store_b32 v[5:6], v3, off
	s_or_b32 exec_lo, exec_lo, s1
	s_mov_b32 s1, exec_lo
	v_cmpx_gt_u32_e64 s23, v33
	s_cbranch_execnz .LBB263_186
.LBB263_155:
	s_wait_alu 0xfffe
	s_or_b32 exec_lo, exec_lo, s1
	s_delay_alu instid0(SALU_CYCLE_1)
	s_mov_b32 s1, exec_lo
	v_cmpx_gt_u32_e64 s23, v32
	s_cbranch_execz .LBB263_191
.LBB263_156:
	s_mov_b32 s2, exec_lo
                                        ; implicit-def: $vgpr3_vgpr4
	v_cmpx_ge_u32_e64 v32, v16
	s_wait_alu 0xfffe
	s_xor_b32 s2, exec_lo, s2
	s_cbranch_execz .LBB263_158
; %bb.157:
	s_wait_dscnt 0x2
	v_xor_b32_e32 v3, 0xfffff5ff, v0
                                        ; implicit-def: $vgpr32
	s_delay_alu instid0(VALU_DEP_1) | instskip(SKIP_2) | instid1(VALU_DEP_2)
	v_ashrrev_i32_e32 v4, 31, v3
	v_add_co_u32 v3, vcc_lo, v19, v3
	s_wait_alu 0xfffd
	v_add_co_ci_u32_e64 v4, null, v20, v4, vcc_lo
.LBB263_158:
	s_wait_alu 0xfffe
	s_and_not1_saveexec_b32 s2, s2
	s_cbranch_execz .LBB263_160
; %bb.159:
	s_wait_dscnt 0x2
	v_add_co_u32 v3, vcc_lo, v15, v32
	s_wait_alu 0xfffd
	v_add_co_ci_u32_e64 v4, null, 0, v17, vcc_lo
.LBB263_160:
	s_wait_alu 0xfffe
	s_or_b32 exec_lo, exec_lo, s2
	s_wait_dscnt 0x2
	s_delay_alu instid0(VALU_DEP_1) | instskip(NEXT) | instid1(VALU_DEP_1)
	v_lshlrev_b64_e32 v[3:4], 2, v[3:4]
	v_add_co_u32 v3, vcc_lo, s10, v3
	s_wait_alu 0xfffd
	s_delay_alu instid0(VALU_DEP_2) | instskip(SKIP_3) | instid1(SALU_CYCLE_1)
	v_add_co_ci_u32_e64 v4, null, s11, v4, vcc_lo
	s_wait_dscnt 0x1
	global_store_b32 v[3:4], v1, off
	s_or_b32 exec_lo, exec_lo, s1
	s_mov_b32 s1, exec_lo
	v_cmpx_gt_u32_e64 s23, v31
	s_cbranch_execz .LBB263_197
	s_branch .LBB263_192
.LBB263_161:
	s_wait_alu 0xfffe
	s_or_b32 exec_lo, exec_lo, s1
	s_delay_alu instid0(SALU_CYCLE_1)
	s_mov_b32 s1, exec_lo
	v_cmpx_gt_u32_e64 s23, v41
	s_cbranch_execz .LBB263_131
.LBB263_162:
	s_mov_b32 s2, exec_lo
                                        ; implicit-def: $vgpr13_vgpr14
	v_cmpx_ge_u32_e64 v41, v16
	s_wait_alu 0xfffe
	s_xor_b32 s2, exec_lo, s2
	s_cbranch_execz .LBB263_164
; %bb.163:
	s_wait_dscnt 0x6
	v_xor_b32_e32 v11, 0xfffffeff, v0
                                        ; implicit-def: $vgpr41
	s_delay_alu instid0(VALU_DEP_1) | instskip(SKIP_2) | instid1(VALU_DEP_2)
	v_ashrrev_i32_e32 v14, 31, v11
	v_add_co_u32 v13, vcc_lo, v19, v11
	s_wait_alu 0xfffd
	v_add_co_ci_u32_e64 v14, null, v20, v14, vcc_lo
.LBB263_164:
	s_wait_alu 0xfffe
	s_and_not1_saveexec_b32 s2, s2
; %bb.165:
	v_add_co_u32 v13, vcc_lo, v15, v41
	s_wait_alu 0xfffd
	v_add_co_ci_u32_e64 v14, null, 0, v17, vcc_lo
; %bb.166:
	s_wait_alu 0xfffe
	s_or_b32 exec_lo, exec_lo, s2
	s_delay_alu instid0(VALU_DEP_1) | instskip(NEXT) | instid1(VALU_DEP_1)
	v_lshlrev_b64_e32 v[13:14], 2, v[13:14]
	v_add_co_u32 v13, vcc_lo, s10, v13
	s_wait_alu 0xfffd
	s_delay_alu instid0(VALU_DEP_2) | instskip(SKIP_3) | instid1(SALU_CYCLE_1)
	v_add_co_ci_u32_e64 v14, null, s11, v14, vcc_lo
	s_wait_dscnt 0x6
	global_store_b32 v[13:14], v12, off
	s_or_b32 exec_lo, exec_lo, s1
	s_mov_b32 s1, exec_lo
	v_cmpx_gt_u32_e64 s23, v40
	s_cbranch_execnz .LBB263_132
.LBB263_167:
	s_wait_alu 0xfffe
	s_or_b32 exec_lo, exec_lo, s1
	s_delay_alu instid0(SALU_CYCLE_1)
	s_mov_b32 s1, exec_lo
	v_cmpx_gt_u32_e64 s23, v39
	s_cbranch_execz .LBB263_137
.LBB263_168:
	s_mov_b32 s2, exec_lo
                                        ; implicit-def: $vgpr11_vgpr12
	v_cmpx_ge_u32_e64 v39, v16
	s_wait_alu 0xfffe
	s_xor_b32 s2, exec_lo, s2
	s_cbranch_execz .LBB263_170
; %bb.169:
	s_wait_dscnt 0x5
	v_xor_b32_e32 v9, 0xfffffcff, v0
                                        ; implicit-def: $vgpr39
	s_delay_alu instid0(VALU_DEP_1) | instskip(SKIP_2) | instid1(VALU_DEP_2)
	v_ashrrev_i32_e32 v12, 31, v9
	v_add_co_u32 v11, vcc_lo, v19, v9
	s_wait_alu 0xfffd
	v_add_co_ci_u32_e64 v12, null, v20, v12, vcc_lo
.LBB263_170:
	s_wait_alu 0xfffe
	s_and_not1_saveexec_b32 s2, s2
	s_cbranch_execz .LBB263_172
; %bb.171:
	s_wait_dscnt 0x6
	v_add_co_u32 v11, vcc_lo, v15, v39
	s_wait_alu 0xfffd
	v_add_co_ci_u32_e64 v12, null, 0, v17, vcc_lo
.LBB263_172:
	s_wait_alu 0xfffe
	s_or_b32 exec_lo, exec_lo, s2
	s_wait_dscnt 0x6
	s_delay_alu instid0(VALU_DEP_1) | instskip(NEXT) | instid1(VALU_DEP_1)
	v_lshlrev_b64_e32 v[11:12], 2, v[11:12]
	v_add_co_u32 v11, vcc_lo, s10, v11
	s_wait_alu 0xfffd
	s_delay_alu instid0(VALU_DEP_2) | instskip(SKIP_3) | instid1(SALU_CYCLE_1)
	v_add_co_ci_u32_e64 v12, null, s11, v12, vcc_lo
	s_wait_dscnt 0x5
	global_store_b32 v[11:12], v10, off
	s_or_b32 exec_lo, exec_lo, s1
	s_mov_b32 s1, exec_lo
	v_cmpx_gt_u32_e64 s23, v38
	s_cbranch_execnz .LBB263_138
.LBB263_173:
	s_wait_alu 0xfffe
	s_or_b32 exec_lo, exec_lo, s1
	s_delay_alu instid0(SALU_CYCLE_1)
	s_mov_b32 s1, exec_lo
	v_cmpx_gt_u32_e64 s23, v37
	s_cbranch_execz .LBB263_143
.LBB263_174:
	s_mov_b32 s2, exec_lo
                                        ; implicit-def: $vgpr9_vgpr10
	v_cmpx_ge_u32_e64 v37, v16
	s_wait_alu 0xfffe
	s_xor_b32 s2, exec_lo, s2
	s_cbranch_execz .LBB263_176
; %bb.175:
	s_wait_dscnt 0x4
	v_xor_b32_e32 v7, 0xfffffaff, v0
                                        ; implicit-def: $vgpr37
	s_delay_alu instid0(VALU_DEP_1) | instskip(SKIP_2) | instid1(VALU_DEP_2)
	v_ashrrev_i32_e32 v10, 31, v7
	v_add_co_u32 v9, vcc_lo, v19, v7
	s_wait_alu 0xfffd
	v_add_co_ci_u32_e64 v10, null, v20, v10, vcc_lo
.LBB263_176:
	s_wait_alu 0xfffe
	s_and_not1_saveexec_b32 s2, s2
	s_cbranch_execz .LBB263_178
; %bb.177:
	s_wait_dscnt 0x5
	v_add_co_u32 v9, vcc_lo, v15, v37
	s_wait_alu 0xfffd
	v_add_co_ci_u32_e64 v10, null, 0, v17, vcc_lo
.LBB263_178:
	s_wait_alu 0xfffe
	s_or_b32 exec_lo, exec_lo, s2
	s_wait_dscnt 0x5
	s_delay_alu instid0(VALU_DEP_1) | instskip(NEXT) | instid1(VALU_DEP_1)
	v_lshlrev_b64_e32 v[9:10], 2, v[9:10]
	v_add_co_u32 v9, vcc_lo, s10, v9
	s_wait_alu 0xfffd
	s_delay_alu instid0(VALU_DEP_2) | instskip(SKIP_3) | instid1(SALU_CYCLE_1)
	v_add_co_ci_u32_e64 v10, null, s11, v10, vcc_lo
	s_wait_dscnt 0x4
	global_store_b32 v[9:10], v8, off
	s_or_b32 exec_lo, exec_lo, s1
	s_mov_b32 s1, exec_lo
	v_cmpx_gt_u32_e64 s23, v36
	s_cbranch_execnz .LBB263_144
.LBB263_179:
	s_wait_alu 0xfffe
	s_or_b32 exec_lo, exec_lo, s1
	s_delay_alu instid0(SALU_CYCLE_1)
	s_mov_b32 s1, exec_lo
	v_cmpx_gt_u32_e64 s23, v35
	s_cbranch_execz .LBB263_149
.LBB263_180:
	s_mov_b32 s2, exec_lo
                                        ; implicit-def: $vgpr7_vgpr8
	v_cmpx_ge_u32_e64 v35, v16
	s_wait_alu 0xfffe
	s_xor_b32 s2, exec_lo, s2
	s_cbranch_execz .LBB263_182
; %bb.181:
	s_wait_dscnt 0x3
	v_xor_b32_e32 v5, 0xfffff8ff, v0
                                        ; implicit-def: $vgpr35
	s_delay_alu instid0(VALU_DEP_1) | instskip(SKIP_2) | instid1(VALU_DEP_2)
	v_ashrrev_i32_e32 v8, 31, v5
	v_add_co_u32 v7, vcc_lo, v19, v5
	s_wait_alu 0xfffd
	v_add_co_ci_u32_e64 v8, null, v20, v8, vcc_lo
.LBB263_182:
	s_wait_alu 0xfffe
	s_and_not1_saveexec_b32 s2, s2
	s_cbranch_execz .LBB263_184
; %bb.183:
	s_wait_dscnt 0x4
	v_add_co_u32 v7, vcc_lo, v15, v35
	s_wait_alu 0xfffd
	v_add_co_ci_u32_e64 v8, null, 0, v17, vcc_lo
.LBB263_184:
	s_wait_alu 0xfffe
	s_or_b32 exec_lo, exec_lo, s2
	s_wait_dscnt 0x4
	s_delay_alu instid0(VALU_DEP_1) | instskip(NEXT) | instid1(VALU_DEP_1)
	v_lshlrev_b64_e32 v[7:8], 2, v[7:8]
	v_add_co_u32 v7, vcc_lo, s10, v7
	s_wait_alu 0xfffd
	s_delay_alu instid0(VALU_DEP_2) | instskip(SKIP_3) | instid1(SALU_CYCLE_1)
	v_add_co_ci_u32_e64 v8, null, s11, v8, vcc_lo
	s_wait_dscnt 0x3
	global_store_b32 v[7:8], v6, off
	s_or_b32 exec_lo, exec_lo, s1
	s_mov_b32 s1, exec_lo
	v_cmpx_gt_u32_e64 s23, v34
	s_cbranch_execnz .LBB263_150
.LBB263_185:
	s_wait_alu 0xfffe
	s_or_b32 exec_lo, exec_lo, s1
	s_delay_alu instid0(SALU_CYCLE_1)
	s_mov_b32 s1, exec_lo
	v_cmpx_gt_u32_e64 s23, v33
	s_cbranch_execz .LBB263_155
.LBB263_186:
	s_mov_b32 s2, exec_lo
                                        ; implicit-def: $vgpr5_vgpr6
	v_cmpx_ge_u32_e64 v33, v16
	s_wait_alu 0xfffe
	s_xor_b32 s2, exec_lo, s2
	s_cbranch_execz .LBB263_188
; %bb.187:
	s_wait_dscnt 0x2
	v_xor_b32_e32 v3, 0xfffff6ff, v0
                                        ; implicit-def: $vgpr33
	s_delay_alu instid0(VALU_DEP_1) | instskip(SKIP_2) | instid1(VALU_DEP_2)
	v_ashrrev_i32_e32 v6, 31, v3
	v_add_co_u32 v5, vcc_lo, v19, v3
	s_wait_alu 0xfffd
	v_add_co_ci_u32_e64 v6, null, v20, v6, vcc_lo
.LBB263_188:
	s_wait_alu 0xfffe
	s_and_not1_saveexec_b32 s2, s2
	s_cbranch_execz .LBB263_190
; %bb.189:
	s_wait_dscnt 0x3
	v_add_co_u32 v5, vcc_lo, v15, v33
	s_wait_alu 0xfffd
	v_add_co_ci_u32_e64 v6, null, 0, v17, vcc_lo
.LBB263_190:
	s_wait_alu 0xfffe
	s_or_b32 exec_lo, exec_lo, s2
	s_wait_dscnt 0x3
	s_delay_alu instid0(VALU_DEP_1) | instskip(NEXT) | instid1(VALU_DEP_1)
	v_lshlrev_b64_e32 v[5:6], 2, v[5:6]
	v_add_co_u32 v5, vcc_lo, s10, v5
	s_wait_alu 0xfffd
	s_delay_alu instid0(VALU_DEP_2) | instskip(SKIP_3) | instid1(SALU_CYCLE_1)
	v_add_co_ci_u32_e64 v6, null, s11, v6, vcc_lo
	s_wait_dscnt 0x2
	global_store_b32 v[5:6], v4, off
	s_or_b32 exec_lo, exec_lo, s1
	s_mov_b32 s1, exec_lo
	v_cmpx_gt_u32_e64 s23, v32
	s_cbranch_execnz .LBB263_156
.LBB263_191:
	s_wait_alu 0xfffe
	s_or_b32 exec_lo, exec_lo, s1
	s_delay_alu instid0(SALU_CYCLE_1)
	s_mov_b32 s1, exec_lo
	v_cmpx_gt_u32_e64 s23, v31
	s_cbranch_execz .LBB263_197
.LBB263_192:
	s_mov_b32 s2, exec_lo
                                        ; implicit-def: $vgpr3_vgpr4
	v_cmpx_ge_u32_e64 v31, v16
	s_wait_alu 0xfffe
	s_xor_b32 s2, exec_lo, s2
	s_cbranch_execz .LBB263_194
; %bb.193:
	s_wait_dscnt 0x1
	v_xor_b32_e32 v1, 0xfffff4ff, v0
                                        ; implicit-def: $vgpr31
	s_delay_alu instid0(VALU_DEP_1) | instskip(SKIP_2) | instid1(VALU_DEP_2)
	v_ashrrev_i32_e32 v4, 31, v1
	v_add_co_u32 v3, vcc_lo, v19, v1
	s_wait_alu 0xfffd
	v_add_co_ci_u32_e64 v4, null, v20, v4, vcc_lo
.LBB263_194:
	s_wait_alu 0xfffe
	s_and_not1_saveexec_b32 s2, s2
	s_cbranch_execz .LBB263_196
; %bb.195:
	s_wait_dscnt 0x2
	v_add_co_u32 v3, vcc_lo, v15, v31
	s_wait_alu 0xfffd
	v_add_co_ci_u32_e64 v4, null, 0, v17, vcc_lo
.LBB263_196:
	s_wait_alu 0xfffe
	s_or_b32 exec_lo, exec_lo, s2
	s_wait_dscnt 0x2
	s_delay_alu instid0(VALU_DEP_1) | instskip(NEXT) | instid1(VALU_DEP_1)
	v_lshlrev_b64_e32 v[3:4], 2, v[3:4]
	v_add_co_u32 v3, vcc_lo, s10, v3
	s_wait_alu 0xfffd
	s_delay_alu instid0(VALU_DEP_2)
	v_add_co_ci_u32_e64 v4, null, s11, v4, vcc_lo
	s_wait_dscnt 0x1
	global_store_b32 v[3:4], v2, off
.LBB263_197:
	s_wait_alu 0xfffe
	s_or_b32 exec_lo, exec_lo, s1
	s_delay_alu instid0(SALU_CYCLE_1)
	s_mov_b32 s1, exec_lo
                                        ; implicit-def: $vgpr13_vgpr14
	v_cmpx_gt_u32_e64 s23, v30
	s_cbranch_execz .LBB263_203
; %bb.198:
	s_mov_b32 s2, exec_lo
                                        ; implicit-def: $vgpr13_vgpr14
	v_cmpx_ge_u32_e64 v30, v16
	s_wait_alu 0xfffe
	s_xor_b32 s2, exec_lo, s2
	s_cbranch_execz .LBB263_200
; %bb.199:
	s_wait_dscnt 0x1
	v_xor_b32_e32 v1, 0xfffff3ff, v0
                                        ; implicit-def: $vgpr30
	s_delay_alu instid0(VALU_DEP_1) | instskip(SKIP_2) | instid1(VALU_DEP_2)
	v_ashrrev_i32_e32 v2, 31, v1
	v_add_co_u32 v13, vcc_lo, v19, v1
	s_wait_alu 0xfffd
	v_add_co_ci_u32_e64 v14, null, v20, v2, vcc_lo
.LBB263_200:
	s_wait_alu 0xfffe
	s_and_not1_saveexec_b32 s2, s2
; %bb.201:
	v_add_co_u32 v13, vcc_lo, v15, v30
	s_wait_alu 0xfffd
	v_add_co_ci_u32_e64 v14, null, 0, v17, vcc_lo
; %bb.202:
	s_wait_alu 0xfffe
	s_or_b32 exec_lo, exec_lo, s2
	s_delay_alu instid0(SALU_CYCLE_1)
	s_or_b32 s0, s0, exec_lo
.LBB263_203:
	s_wait_alu 0xfffe
	s_or_b32 exec_lo, exec_lo, s1
.LBB263_204:
	s_wait_alu 0xfffe
	s_and_saveexec_b32 s1, s0
	s_cbranch_execz .LBB263_206
; %bb.205:
	s_wait_dscnt 0x1
	v_lshlrev_b64_e32 v[1:2], 2, v[13:14]
	s_delay_alu instid0(VALU_DEP_1) | instskip(SKIP_1) | instid1(VALU_DEP_2)
	v_add_co_u32 v1, vcc_lo, s10, v1
	s_wait_alu 0xfffd
	v_add_co_ci_u32_e64 v2, null, s11, v2, vcc_lo
	s_wait_dscnt 0x0
	global_store_b32 v[1:2], v18, off
.LBB263_206:
	s_wait_alu 0xfffe
	s_or_b32 exec_lo, exec_lo, s1
	v_cmp_eq_u32_e32 vcc_lo, 0, v0
	s_and_b32 s0, vcc_lo, s22
	s_wait_alu 0xfffe
	s_and_saveexec_b32 s1, s0
	s_cbranch_execz .LBB263_208
; %bb.207:
	v_add_co_u32 v0, vcc_lo, v15, v16
	s_wait_dscnt 0x1
	v_mov_b32_e32 v2, 0
	s_wait_alu 0xfffd
	v_add_co_ci_u32_e64 v1, null, 0, v17, vcc_lo
	global_store_b64 v2, v[0:1], s[8:9]
.LBB263_208:
	s_endpgm
	.section	.rodata,"a",@progbits
	.p2align	6, 0x0
	.amdhsa_kernel _ZN7rocprim17ROCPRIM_400000_NS6detail17trampoline_kernelINS0_13select_configILj256ELj13ELNS0_17block_load_methodE3ELS4_3ELS4_3ELNS0_20block_scan_algorithmE0ELj4294967295EEENS1_25partition_config_selectorILNS1_17partition_subalgoE3EjNS0_10empty_typeEbEEZZNS1_14partition_implILS8_3ELb0ES6_jNS0_17counting_iteratorIjlEEPS9_SE_NS0_5tupleIJPjSE_EEENSF_IJSE_SE_EEES9_SG_JZNS1_25segmented_radix_sort_implINS0_14default_configELb1EPKaPaPKlPlN2at6native12_GLOBAL__N_18offset_tEEE10hipError_tPvRmT1_PNSt15iterator_traitsISY_E10value_typeET2_T3_PNSZ_IS14_E10value_typeET4_jRbjT5_S1A_jjP12ihipStream_tbEUljE_EEESV_SW_SX_S14_S18_S1A_T6_T7_T9_mT8_S1C_bDpT10_ENKUlT_T0_E_clISt17integral_constantIbLb0EES1P_EEDaS1K_S1L_EUlS1K_E_NS1_11comp_targetILNS1_3genE10ELNS1_11target_archE1200ELNS1_3gpuE4ELNS1_3repE0EEENS1_30default_config_static_selectorELNS0_4arch9wavefront6targetE0EEEvSY_
		.amdhsa_group_segment_fixed_size 13320
		.amdhsa_private_segment_fixed_size 0
		.amdhsa_kernarg_size 144
		.amdhsa_user_sgpr_count 2
		.amdhsa_user_sgpr_dispatch_ptr 0
		.amdhsa_user_sgpr_queue_ptr 0
		.amdhsa_user_sgpr_kernarg_segment_ptr 1
		.amdhsa_user_sgpr_dispatch_id 0
		.amdhsa_user_sgpr_private_segment_size 0
		.amdhsa_wavefront_size32 1
		.amdhsa_uses_dynamic_stack 0
		.amdhsa_enable_private_segment 0
		.amdhsa_system_sgpr_workgroup_id_x 1
		.amdhsa_system_sgpr_workgroup_id_y 0
		.amdhsa_system_sgpr_workgroup_id_z 0
		.amdhsa_system_sgpr_workgroup_info 0
		.amdhsa_system_vgpr_workitem_id 0
		.amdhsa_next_free_vgpr 69
		.amdhsa_next_free_sgpr 26
		.amdhsa_reserve_vcc 1
		.amdhsa_float_round_mode_32 0
		.amdhsa_float_round_mode_16_64 0
		.amdhsa_float_denorm_mode_32 3
		.amdhsa_float_denorm_mode_16_64 3
		.amdhsa_fp16_overflow 0
		.amdhsa_workgroup_processor_mode 1
		.amdhsa_memory_ordered 1
		.amdhsa_forward_progress 1
		.amdhsa_inst_pref_size 84
		.amdhsa_round_robin_scheduling 0
		.amdhsa_exception_fp_ieee_invalid_op 0
		.amdhsa_exception_fp_denorm_src 0
		.amdhsa_exception_fp_ieee_div_zero 0
		.amdhsa_exception_fp_ieee_overflow 0
		.amdhsa_exception_fp_ieee_underflow 0
		.amdhsa_exception_fp_ieee_inexact 0
		.amdhsa_exception_int_div_zero 0
	.end_amdhsa_kernel
	.section	.text._ZN7rocprim17ROCPRIM_400000_NS6detail17trampoline_kernelINS0_13select_configILj256ELj13ELNS0_17block_load_methodE3ELS4_3ELS4_3ELNS0_20block_scan_algorithmE0ELj4294967295EEENS1_25partition_config_selectorILNS1_17partition_subalgoE3EjNS0_10empty_typeEbEEZZNS1_14partition_implILS8_3ELb0ES6_jNS0_17counting_iteratorIjlEEPS9_SE_NS0_5tupleIJPjSE_EEENSF_IJSE_SE_EEES9_SG_JZNS1_25segmented_radix_sort_implINS0_14default_configELb1EPKaPaPKlPlN2at6native12_GLOBAL__N_18offset_tEEE10hipError_tPvRmT1_PNSt15iterator_traitsISY_E10value_typeET2_T3_PNSZ_IS14_E10value_typeET4_jRbjT5_S1A_jjP12ihipStream_tbEUljE_EEESV_SW_SX_S14_S18_S1A_T6_T7_T9_mT8_S1C_bDpT10_ENKUlT_T0_E_clISt17integral_constantIbLb0EES1P_EEDaS1K_S1L_EUlS1K_E_NS1_11comp_targetILNS1_3genE10ELNS1_11target_archE1200ELNS1_3gpuE4ELNS1_3repE0EEENS1_30default_config_static_selectorELNS0_4arch9wavefront6targetE0EEEvSY_,"axG",@progbits,_ZN7rocprim17ROCPRIM_400000_NS6detail17trampoline_kernelINS0_13select_configILj256ELj13ELNS0_17block_load_methodE3ELS4_3ELS4_3ELNS0_20block_scan_algorithmE0ELj4294967295EEENS1_25partition_config_selectorILNS1_17partition_subalgoE3EjNS0_10empty_typeEbEEZZNS1_14partition_implILS8_3ELb0ES6_jNS0_17counting_iteratorIjlEEPS9_SE_NS0_5tupleIJPjSE_EEENSF_IJSE_SE_EEES9_SG_JZNS1_25segmented_radix_sort_implINS0_14default_configELb1EPKaPaPKlPlN2at6native12_GLOBAL__N_18offset_tEEE10hipError_tPvRmT1_PNSt15iterator_traitsISY_E10value_typeET2_T3_PNSZ_IS14_E10value_typeET4_jRbjT5_S1A_jjP12ihipStream_tbEUljE_EEESV_SW_SX_S14_S18_S1A_T6_T7_T9_mT8_S1C_bDpT10_ENKUlT_T0_E_clISt17integral_constantIbLb0EES1P_EEDaS1K_S1L_EUlS1K_E_NS1_11comp_targetILNS1_3genE10ELNS1_11target_archE1200ELNS1_3gpuE4ELNS1_3repE0EEENS1_30default_config_static_selectorELNS0_4arch9wavefront6targetE0EEEvSY_,comdat
.Lfunc_end263:
	.size	_ZN7rocprim17ROCPRIM_400000_NS6detail17trampoline_kernelINS0_13select_configILj256ELj13ELNS0_17block_load_methodE3ELS4_3ELS4_3ELNS0_20block_scan_algorithmE0ELj4294967295EEENS1_25partition_config_selectorILNS1_17partition_subalgoE3EjNS0_10empty_typeEbEEZZNS1_14partition_implILS8_3ELb0ES6_jNS0_17counting_iteratorIjlEEPS9_SE_NS0_5tupleIJPjSE_EEENSF_IJSE_SE_EEES9_SG_JZNS1_25segmented_radix_sort_implINS0_14default_configELb1EPKaPaPKlPlN2at6native12_GLOBAL__N_18offset_tEEE10hipError_tPvRmT1_PNSt15iterator_traitsISY_E10value_typeET2_T3_PNSZ_IS14_E10value_typeET4_jRbjT5_S1A_jjP12ihipStream_tbEUljE_EEESV_SW_SX_S14_S18_S1A_T6_T7_T9_mT8_S1C_bDpT10_ENKUlT_T0_E_clISt17integral_constantIbLb0EES1P_EEDaS1K_S1L_EUlS1K_E_NS1_11comp_targetILNS1_3genE10ELNS1_11target_archE1200ELNS1_3gpuE4ELNS1_3repE0EEENS1_30default_config_static_selectorELNS0_4arch9wavefront6targetE0EEEvSY_, .Lfunc_end263-_ZN7rocprim17ROCPRIM_400000_NS6detail17trampoline_kernelINS0_13select_configILj256ELj13ELNS0_17block_load_methodE3ELS4_3ELS4_3ELNS0_20block_scan_algorithmE0ELj4294967295EEENS1_25partition_config_selectorILNS1_17partition_subalgoE3EjNS0_10empty_typeEbEEZZNS1_14partition_implILS8_3ELb0ES6_jNS0_17counting_iteratorIjlEEPS9_SE_NS0_5tupleIJPjSE_EEENSF_IJSE_SE_EEES9_SG_JZNS1_25segmented_radix_sort_implINS0_14default_configELb1EPKaPaPKlPlN2at6native12_GLOBAL__N_18offset_tEEE10hipError_tPvRmT1_PNSt15iterator_traitsISY_E10value_typeET2_T3_PNSZ_IS14_E10value_typeET4_jRbjT5_S1A_jjP12ihipStream_tbEUljE_EEESV_SW_SX_S14_S18_S1A_T6_T7_T9_mT8_S1C_bDpT10_ENKUlT_T0_E_clISt17integral_constantIbLb0EES1P_EEDaS1K_S1L_EUlS1K_E_NS1_11comp_targetILNS1_3genE10ELNS1_11target_archE1200ELNS1_3gpuE4ELNS1_3repE0EEENS1_30default_config_static_selectorELNS0_4arch9wavefront6targetE0EEEvSY_
                                        ; -- End function
	.set _ZN7rocprim17ROCPRIM_400000_NS6detail17trampoline_kernelINS0_13select_configILj256ELj13ELNS0_17block_load_methodE3ELS4_3ELS4_3ELNS0_20block_scan_algorithmE0ELj4294967295EEENS1_25partition_config_selectorILNS1_17partition_subalgoE3EjNS0_10empty_typeEbEEZZNS1_14partition_implILS8_3ELb0ES6_jNS0_17counting_iteratorIjlEEPS9_SE_NS0_5tupleIJPjSE_EEENSF_IJSE_SE_EEES9_SG_JZNS1_25segmented_radix_sort_implINS0_14default_configELb1EPKaPaPKlPlN2at6native12_GLOBAL__N_18offset_tEEE10hipError_tPvRmT1_PNSt15iterator_traitsISY_E10value_typeET2_T3_PNSZ_IS14_E10value_typeET4_jRbjT5_S1A_jjP12ihipStream_tbEUljE_EEESV_SW_SX_S14_S18_S1A_T6_T7_T9_mT8_S1C_bDpT10_ENKUlT_T0_E_clISt17integral_constantIbLb0EES1P_EEDaS1K_S1L_EUlS1K_E_NS1_11comp_targetILNS1_3genE10ELNS1_11target_archE1200ELNS1_3gpuE4ELNS1_3repE0EEENS1_30default_config_static_selectorELNS0_4arch9wavefront6targetE0EEEvSY_.num_vgpr, 69
	.set _ZN7rocprim17ROCPRIM_400000_NS6detail17trampoline_kernelINS0_13select_configILj256ELj13ELNS0_17block_load_methodE3ELS4_3ELS4_3ELNS0_20block_scan_algorithmE0ELj4294967295EEENS1_25partition_config_selectorILNS1_17partition_subalgoE3EjNS0_10empty_typeEbEEZZNS1_14partition_implILS8_3ELb0ES6_jNS0_17counting_iteratorIjlEEPS9_SE_NS0_5tupleIJPjSE_EEENSF_IJSE_SE_EEES9_SG_JZNS1_25segmented_radix_sort_implINS0_14default_configELb1EPKaPaPKlPlN2at6native12_GLOBAL__N_18offset_tEEE10hipError_tPvRmT1_PNSt15iterator_traitsISY_E10value_typeET2_T3_PNSZ_IS14_E10value_typeET4_jRbjT5_S1A_jjP12ihipStream_tbEUljE_EEESV_SW_SX_S14_S18_S1A_T6_T7_T9_mT8_S1C_bDpT10_ENKUlT_T0_E_clISt17integral_constantIbLb0EES1P_EEDaS1K_S1L_EUlS1K_E_NS1_11comp_targetILNS1_3genE10ELNS1_11target_archE1200ELNS1_3gpuE4ELNS1_3repE0EEENS1_30default_config_static_selectorELNS0_4arch9wavefront6targetE0EEEvSY_.num_agpr, 0
	.set _ZN7rocprim17ROCPRIM_400000_NS6detail17trampoline_kernelINS0_13select_configILj256ELj13ELNS0_17block_load_methodE3ELS4_3ELS4_3ELNS0_20block_scan_algorithmE0ELj4294967295EEENS1_25partition_config_selectorILNS1_17partition_subalgoE3EjNS0_10empty_typeEbEEZZNS1_14partition_implILS8_3ELb0ES6_jNS0_17counting_iteratorIjlEEPS9_SE_NS0_5tupleIJPjSE_EEENSF_IJSE_SE_EEES9_SG_JZNS1_25segmented_radix_sort_implINS0_14default_configELb1EPKaPaPKlPlN2at6native12_GLOBAL__N_18offset_tEEE10hipError_tPvRmT1_PNSt15iterator_traitsISY_E10value_typeET2_T3_PNSZ_IS14_E10value_typeET4_jRbjT5_S1A_jjP12ihipStream_tbEUljE_EEESV_SW_SX_S14_S18_S1A_T6_T7_T9_mT8_S1C_bDpT10_ENKUlT_T0_E_clISt17integral_constantIbLb0EES1P_EEDaS1K_S1L_EUlS1K_E_NS1_11comp_targetILNS1_3genE10ELNS1_11target_archE1200ELNS1_3gpuE4ELNS1_3repE0EEENS1_30default_config_static_selectorELNS0_4arch9wavefront6targetE0EEEvSY_.numbered_sgpr, 26
	.set _ZN7rocprim17ROCPRIM_400000_NS6detail17trampoline_kernelINS0_13select_configILj256ELj13ELNS0_17block_load_methodE3ELS4_3ELS4_3ELNS0_20block_scan_algorithmE0ELj4294967295EEENS1_25partition_config_selectorILNS1_17partition_subalgoE3EjNS0_10empty_typeEbEEZZNS1_14partition_implILS8_3ELb0ES6_jNS0_17counting_iteratorIjlEEPS9_SE_NS0_5tupleIJPjSE_EEENSF_IJSE_SE_EEES9_SG_JZNS1_25segmented_radix_sort_implINS0_14default_configELb1EPKaPaPKlPlN2at6native12_GLOBAL__N_18offset_tEEE10hipError_tPvRmT1_PNSt15iterator_traitsISY_E10value_typeET2_T3_PNSZ_IS14_E10value_typeET4_jRbjT5_S1A_jjP12ihipStream_tbEUljE_EEESV_SW_SX_S14_S18_S1A_T6_T7_T9_mT8_S1C_bDpT10_ENKUlT_T0_E_clISt17integral_constantIbLb0EES1P_EEDaS1K_S1L_EUlS1K_E_NS1_11comp_targetILNS1_3genE10ELNS1_11target_archE1200ELNS1_3gpuE4ELNS1_3repE0EEENS1_30default_config_static_selectorELNS0_4arch9wavefront6targetE0EEEvSY_.num_named_barrier, 0
	.set _ZN7rocprim17ROCPRIM_400000_NS6detail17trampoline_kernelINS0_13select_configILj256ELj13ELNS0_17block_load_methodE3ELS4_3ELS4_3ELNS0_20block_scan_algorithmE0ELj4294967295EEENS1_25partition_config_selectorILNS1_17partition_subalgoE3EjNS0_10empty_typeEbEEZZNS1_14partition_implILS8_3ELb0ES6_jNS0_17counting_iteratorIjlEEPS9_SE_NS0_5tupleIJPjSE_EEENSF_IJSE_SE_EEES9_SG_JZNS1_25segmented_radix_sort_implINS0_14default_configELb1EPKaPaPKlPlN2at6native12_GLOBAL__N_18offset_tEEE10hipError_tPvRmT1_PNSt15iterator_traitsISY_E10value_typeET2_T3_PNSZ_IS14_E10value_typeET4_jRbjT5_S1A_jjP12ihipStream_tbEUljE_EEESV_SW_SX_S14_S18_S1A_T6_T7_T9_mT8_S1C_bDpT10_ENKUlT_T0_E_clISt17integral_constantIbLb0EES1P_EEDaS1K_S1L_EUlS1K_E_NS1_11comp_targetILNS1_3genE10ELNS1_11target_archE1200ELNS1_3gpuE4ELNS1_3repE0EEENS1_30default_config_static_selectorELNS0_4arch9wavefront6targetE0EEEvSY_.private_seg_size, 0
	.set _ZN7rocprim17ROCPRIM_400000_NS6detail17trampoline_kernelINS0_13select_configILj256ELj13ELNS0_17block_load_methodE3ELS4_3ELS4_3ELNS0_20block_scan_algorithmE0ELj4294967295EEENS1_25partition_config_selectorILNS1_17partition_subalgoE3EjNS0_10empty_typeEbEEZZNS1_14partition_implILS8_3ELb0ES6_jNS0_17counting_iteratorIjlEEPS9_SE_NS0_5tupleIJPjSE_EEENSF_IJSE_SE_EEES9_SG_JZNS1_25segmented_radix_sort_implINS0_14default_configELb1EPKaPaPKlPlN2at6native12_GLOBAL__N_18offset_tEEE10hipError_tPvRmT1_PNSt15iterator_traitsISY_E10value_typeET2_T3_PNSZ_IS14_E10value_typeET4_jRbjT5_S1A_jjP12ihipStream_tbEUljE_EEESV_SW_SX_S14_S18_S1A_T6_T7_T9_mT8_S1C_bDpT10_ENKUlT_T0_E_clISt17integral_constantIbLb0EES1P_EEDaS1K_S1L_EUlS1K_E_NS1_11comp_targetILNS1_3genE10ELNS1_11target_archE1200ELNS1_3gpuE4ELNS1_3repE0EEENS1_30default_config_static_selectorELNS0_4arch9wavefront6targetE0EEEvSY_.uses_vcc, 1
	.set _ZN7rocprim17ROCPRIM_400000_NS6detail17trampoline_kernelINS0_13select_configILj256ELj13ELNS0_17block_load_methodE3ELS4_3ELS4_3ELNS0_20block_scan_algorithmE0ELj4294967295EEENS1_25partition_config_selectorILNS1_17partition_subalgoE3EjNS0_10empty_typeEbEEZZNS1_14partition_implILS8_3ELb0ES6_jNS0_17counting_iteratorIjlEEPS9_SE_NS0_5tupleIJPjSE_EEENSF_IJSE_SE_EEES9_SG_JZNS1_25segmented_radix_sort_implINS0_14default_configELb1EPKaPaPKlPlN2at6native12_GLOBAL__N_18offset_tEEE10hipError_tPvRmT1_PNSt15iterator_traitsISY_E10value_typeET2_T3_PNSZ_IS14_E10value_typeET4_jRbjT5_S1A_jjP12ihipStream_tbEUljE_EEESV_SW_SX_S14_S18_S1A_T6_T7_T9_mT8_S1C_bDpT10_ENKUlT_T0_E_clISt17integral_constantIbLb0EES1P_EEDaS1K_S1L_EUlS1K_E_NS1_11comp_targetILNS1_3genE10ELNS1_11target_archE1200ELNS1_3gpuE4ELNS1_3repE0EEENS1_30default_config_static_selectorELNS0_4arch9wavefront6targetE0EEEvSY_.uses_flat_scratch, 0
	.set _ZN7rocprim17ROCPRIM_400000_NS6detail17trampoline_kernelINS0_13select_configILj256ELj13ELNS0_17block_load_methodE3ELS4_3ELS4_3ELNS0_20block_scan_algorithmE0ELj4294967295EEENS1_25partition_config_selectorILNS1_17partition_subalgoE3EjNS0_10empty_typeEbEEZZNS1_14partition_implILS8_3ELb0ES6_jNS0_17counting_iteratorIjlEEPS9_SE_NS0_5tupleIJPjSE_EEENSF_IJSE_SE_EEES9_SG_JZNS1_25segmented_radix_sort_implINS0_14default_configELb1EPKaPaPKlPlN2at6native12_GLOBAL__N_18offset_tEEE10hipError_tPvRmT1_PNSt15iterator_traitsISY_E10value_typeET2_T3_PNSZ_IS14_E10value_typeET4_jRbjT5_S1A_jjP12ihipStream_tbEUljE_EEESV_SW_SX_S14_S18_S1A_T6_T7_T9_mT8_S1C_bDpT10_ENKUlT_T0_E_clISt17integral_constantIbLb0EES1P_EEDaS1K_S1L_EUlS1K_E_NS1_11comp_targetILNS1_3genE10ELNS1_11target_archE1200ELNS1_3gpuE4ELNS1_3repE0EEENS1_30default_config_static_selectorELNS0_4arch9wavefront6targetE0EEEvSY_.has_dyn_sized_stack, 0
	.set _ZN7rocprim17ROCPRIM_400000_NS6detail17trampoline_kernelINS0_13select_configILj256ELj13ELNS0_17block_load_methodE3ELS4_3ELS4_3ELNS0_20block_scan_algorithmE0ELj4294967295EEENS1_25partition_config_selectorILNS1_17partition_subalgoE3EjNS0_10empty_typeEbEEZZNS1_14partition_implILS8_3ELb0ES6_jNS0_17counting_iteratorIjlEEPS9_SE_NS0_5tupleIJPjSE_EEENSF_IJSE_SE_EEES9_SG_JZNS1_25segmented_radix_sort_implINS0_14default_configELb1EPKaPaPKlPlN2at6native12_GLOBAL__N_18offset_tEEE10hipError_tPvRmT1_PNSt15iterator_traitsISY_E10value_typeET2_T3_PNSZ_IS14_E10value_typeET4_jRbjT5_S1A_jjP12ihipStream_tbEUljE_EEESV_SW_SX_S14_S18_S1A_T6_T7_T9_mT8_S1C_bDpT10_ENKUlT_T0_E_clISt17integral_constantIbLb0EES1P_EEDaS1K_S1L_EUlS1K_E_NS1_11comp_targetILNS1_3genE10ELNS1_11target_archE1200ELNS1_3gpuE4ELNS1_3repE0EEENS1_30default_config_static_selectorELNS0_4arch9wavefront6targetE0EEEvSY_.has_recursion, 0
	.set _ZN7rocprim17ROCPRIM_400000_NS6detail17trampoline_kernelINS0_13select_configILj256ELj13ELNS0_17block_load_methodE3ELS4_3ELS4_3ELNS0_20block_scan_algorithmE0ELj4294967295EEENS1_25partition_config_selectorILNS1_17partition_subalgoE3EjNS0_10empty_typeEbEEZZNS1_14partition_implILS8_3ELb0ES6_jNS0_17counting_iteratorIjlEEPS9_SE_NS0_5tupleIJPjSE_EEENSF_IJSE_SE_EEES9_SG_JZNS1_25segmented_radix_sort_implINS0_14default_configELb1EPKaPaPKlPlN2at6native12_GLOBAL__N_18offset_tEEE10hipError_tPvRmT1_PNSt15iterator_traitsISY_E10value_typeET2_T3_PNSZ_IS14_E10value_typeET4_jRbjT5_S1A_jjP12ihipStream_tbEUljE_EEESV_SW_SX_S14_S18_S1A_T6_T7_T9_mT8_S1C_bDpT10_ENKUlT_T0_E_clISt17integral_constantIbLb0EES1P_EEDaS1K_S1L_EUlS1K_E_NS1_11comp_targetILNS1_3genE10ELNS1_11target_archE1200ELNS1_3gpuE4ELNS1_3repE0EEENS1_30default_config_static_selectorELNS0_4arch9wavefront6targetE0EEEvSY_.has_indirect_call, 0
	.section	.AMDGPU.csdata,"",@progbits
; Kernel info:
; codeLenInByte = 10676
; TotalNumSgprs: 28
; NumVgprs: 69
; ScratchSize: 0
; MemoryBound: 0
; FloatMode: 240
; IeeeMode: 1
; LDSByteSize: 13320 bytes/workgroup (compile time only)
; SGPRBlocks: 0
; VGPRBlocks: 8
; NumSGPRsForWavesPerEU: 28
; NumVGPRsForWavesPerEU: 69
; Occupancy: 16
; WaveLimiterHint : 0
; COMPUTE_PGM_RSRC2:SCRATCH_EN: 0
; COMPUTE_PGM_RSRC2:USER_SGPR: 2
; COMPUTE_PGM_RSRC2:TRAP_HANDLER: 0
; COMPUTE_PGM_RSRC2:TGID_X_EN: 1
; COMPUTE_PGM_RSRC2:TGID_Y_EN: 0
; COMPUTE_PGM_RSRC2:TGID_Z_EN: 0
; COMPUTE_PGM_RSRC2:TIDIG_COMP_CNT: 0
	.section	.text._ZN7rocprim17ROCPRIM_400000_NS6detail17trampoline_kernelINS0_13select_configILj256ELj13ELNS0_17block_load_methodE3ELS4_3ELS4_3ELNS0_20block_scan_algorithmE0ELj4294967295EEENS1_25partition_config_selectorILNS1_17partition_subalgoE3EjNS0_10empty_typeEbEEZZNS1_14partition_implILS8_3ELb0ES6_jNS0_17counting_iteratorIjlEEPS9_SE_NS0_5tupleIJPjSE_EEENSF_IJSE_SE_EEES9_SG_JZNS1_25segmented_radix_sort_implINS0_14default_configELb1EPKaPaPKlPlN2at6native12_GLOBAL__N_18offset_tEEE10hipError_tPvRmT1_PNSt15iterator_traitsISY_E10value_typeET2_T3_PNSZ_IS14_E10value_typeET4_jRbjT5_S1A_jjP12ihipStream_tbEUljE_EEESV_SW_SX_S14_S18_S1A_T6_T7_T9_mT8_S1C_bDpT10_ENKUlT_T0_E_clISt17integral_constantIbLb0EES1P_EEDaS1K_S1L_EUlS1K_E_NS1_11comp_targetILNS1_3genE9ELNS1_11target_archE1100ELNS1_3gpuE3ELNS1_3repE0EEENS1_30default_config_static_selectorELNS0_4arch9wavefront6targetE0EEEvSY_,"axG",@progbits,_ZN7rocprim17ROCPRIM_400000_NS6detail17trampoline_kernelINS0_13select_configILj256ELj13ELNS0_17block_load_methodE3ELS4_3ELS4_3ELNS0_20block_scan_algorithmE0ELj4294967295EEENS1_25partition_config_selectorILNS1_17partition_subalgoE3EjNS0_10empty_typeEbEEZZNS1_14partition_implILS8_3ELb0ES6_jNS0_17counting_iteratorIjlEEPS9_SE_NS0_5tupleIJPjSE_EEENSF_IJSE_SE_EEES9_SG_JZNS1_25segmented_radix_sort_implINS0_14default_configELb1EPKaPaPKlPlN2at6native12_GLOBAL__N_18offset_tEEE10hipError_tPvRmT1_PNSt15iterator_traitsISY_E10value_typeET2_T3_PNSZ_IS14_E10value_typeET4_jRbjT5_S1A_jjP12ihipStream_tbEUljE_EEESV_SW_SX_S14_S18_S1A_T6_T7_T9_mT8_S1C_bDpT10_ENKUlT_T0_E_clISt17integral_constantIbLb0EES1P_EEDaS1K_S1L_EUlS1K_E_NS1_11comp_targetILNS1_3genE9ELNS1_11target_archE1100ELNS1_3gpuE3ELNS1_3repE0EEENS1_30default_config_static_selectorELNS0_4arch9wavefront6targetE0EEEvSY_,comdat
	.globl	_ZN7rocprim17ROCPRIM_400000_NS6detail17trampoline_kernelINS0_13select_configILj256ELj13ELNS0_17block_load_methodE3ELS4_3ELS4_3ELNS0_20block_scan_algorithmE0ELj4294967295EEENS1_25partition_config_selectorILNS1_17partition_subalgoE3EjNS0_10empty_typeEbEEZZNS1_14partition_implILS8_3ELb0ES6_jNS0_17counting_iteratorIjlEEPS9_SE_NS0_5tupleIJPjSE_EEENSF_IJSE_SE_EEES9_SG_JZNS1_25segmented_radix_sort_implINS0_14default_configELb1EPKaPaPKlPlN2at6native12_GLOBAL__N_18offset_tEEE10hipError_tPvRmT1_PNSt15iterator_traitsISY_E10value_typeET2_T3_PNSZ_IS14_E10value_typeET4_jRbjT5_S1A_jjP12ihipStream_tbEUljE_EEESV_SW_SX_S14_S18_S1A_T6_T7_T9_mT8_S1C_bDpT10_ENKUlT_T0_E_clISt17integral_constantIbLb0EES1P_EEDaS1K_S1L_EUlS1K_E_NS1_11comp_targetILNS1_3genE9ELNS1_11target_archE1100ELNS1_3gpuE3ELNS1_3repE0EEENS1_30default_config_static_selectorELNS0_4arch9wavefront6targetE0EEEvSY_ ; -- Begin function _ZN7rocprim17ROCPRIM_400000_NS6detail17trampoline_kernelINS0_13select_configILj256ELj13ELNS0_17block_load_methodE3ELS4_3ELS4_3ELNS0_20block_scan_algorithmE0ELj4294967295EEENS1_25partition_config_selectorILNS1_17partition_subalgoE3EjNS0_10empty_typeEbEEZZNS1_14partition_implILS8_3ELb0ES6_jNS0_17counting_iteratorIjlEEPS9_SE_NS0_5tupleIJPjSE_EEENSF_IJSE_SE_EEES9_SG_JZNS1_25segmented_radix_sort_implINS0_14default_configELb1EPKaPaPKlPlN2at6native12_GLOBAL__N_18offset_tEEE10hipError_tPvRmT1_PNSt15iterator_traitsISY_E10value_typeET2_T3_PNSZ_IS14_E10value_typeET4_jRbjT5_S1A_jjP12ihipStream_tbEUljE_EEESV_SW_SX_S14_S18_S1A_T6_T7_T9_mT8_S1C_bDpT10_ENKUlT_T0_E_clISt17integral_constantIbLb0EES1P_EEDaS1K_S1L_EUlS1K_E_NS1_11comp_targetILNS1_3genE9ELNS1_11target_archE1100ELNS1_3gpuE3ELNS1_3repE0EEENS1_30default_config_static_selectorELNS0_4arch9wavefront6targetE0EEEvSY_
	.p2align	8
	.type	_ZN7rocprim17ROCPRIM_400000_NS6detail17trampoline_kernelINS0_13select_configILj256ELj13ELNS0_17block_load_methodE3ELS4_3ELS4_3ELNS0_20block_scan_algorithmE0ELj4294967295EEENS1_25partition_config_selectorILNS1_17partition_subalgoE3EjNS0_10empty_typeEbEEZZNS1_14partition_implILS8_3ELb0ES6_jNS0_17counting_iteratorIjlEEPS9_SE_NS0_5tupleIJPjSE_EEENSF_IJSE_SE_EEES9_SG_JZNS1_25segmented_radix_sort_implINS0_14default_configELb1EPKaPaPKlPlN2at6native12_GLOBAL__N_18offset_tEEE10hipError_tPvRmT1_PNSt15iterator_traitsISY_E10value_typeET2_T3_PNSZ_IS14_E10value_typeET4_jRbjT5_S1A_jjP12ihipStream_tbEUljE_EEESV_SW_SX_S14_S18_S1A_T6_T7_T9_mT8_S1C_bDpT10_ENKUlT_T0_E_clISt17integral_constantIbLb0EES1P_EEDaS1K_S1L_EUlS1K_E_NS1_11comp_targetILNS1_3genE9ELNS1_11target_archE1100ELNS1_3gpuE3ELNS1_3repE0EEENS1_30default_config_static_selectorELNS0_4arch9wavefront6targetE0EEEvSY_,@function
_ZN7rocprim17ROCPRIM_400000_NS6detail17trampoline_kernelINS0_13select_configILj256ELj13ELNS0_17block_load_methodE3ELS4_3ELS4_3ELNS0_20block_scan_algorithmE0ELj4294967295EEENS1_25partition_config_selectorILNS1_17partition_subalgoE3EjNS0_10empty_typeEbEEZZNS1_14partition_implILS8_3ELb0ES6_jNS0_17counting_iteratorIjlEEPS9_SE_NS0_5tupleIJPjSE_EEENSF_IJSE_SE_EEES9_SG_JZNS1_25segmented_radix_sort_implINS0_14default_configELb1EPKaPaPKlPlN2at6native12_GLOBAL__N_18offset_tEEE10hipError_tPvRmT1_PNSt15iterator_traitsISY_E10value_typeET2_T3_PNSZ_IS14_E10value_typeET4_jRbjT5_S1A_jjP12ihipStream_tbEUljE_EEESV_SW_SX_S14_S18_S1A_T6_T7_T9_mT8_S1C_bDpT10_ENKUlT_T0_E_clISt17integral_constantIbLb0EES1P_EEDaS1K_S1L_EUlS1K_E_NS1_11comp_targetILNS1_3genE9ELNS1_11target_archE1100ELNS1_3gpuE3ELNS1_3repE0EEENS1_30default_config_static_selectorELNS0_4arch9wavefront6targetE0EEEvSY_: ; @_ZN7rocprim17ROCPRIM_400000_NS6detail17trampoline_kernelINS0_13select_configILj256ELj13ELNS0_17block_load_methodE3ELS4_3ELS4_3ELNS0_20block_scan_algorithmE0ELj4294967295EEENS1_25partition_config_selectorILNS1_17partition_subalgoE3EjNS0_10empty_typeEbEEZZNS1_14partition_implILS8_3ELb0ES6_jNS0_17counting_iteratorIjlEEPS9_SE_NS0_5tupleIJPjSE_EEENSF_IJSE_SE_EEES9_SG_JZNS1_25segmented_radix_sort_implINS0_14default_configELb1EPKaPaPKlPlN2at6native12_GLOBAL__N_18offset_tEEE10hipError_tPvRmT1_PNSt15iterator_traitsISY_E10value_typeET2_T3_PNSZ_IS14_E10value_typeET4_jRbjT5_S1A_jjP12ihipStream_tbEUljE_EEESV_SW_SX_S14_S18_S1A_T6_T7_T9_mT8_S1C_bDpT10_ENKUlT_T0_E_clISt17integral_constantIbLb0EES1P_EEDaS1K_S1L_EUlS1K_E_NS1_11comp_targetILNS1_3genE9ELNS1_11target_archE1100ELNS1_3gpuE3ELNS1_3repE0EEENS1_30default_config_static_selectorELNS0_4arch9wavefront6targetE0EEEvSY_
; %bb.0:
	.section	.rodata,"a",@progbits
	.p2align	6, 0x0
	.amdhsa_kernel _ZN7rocprim17ROCPRIM_400000_NS6detail17trampoline_kernelINS0_13select_configILj256ELj13ELNS0_17block_load_methodE3ELS4_3ELS4_3ELNS0_20block_scan_algorithmE0ELj4294967295EEENS1_25partition_config_selectorILNS1_17partition_subalgoE3EjNS0_10empty_typeEbEEZZNS1_14partition_implILS8_3ELb0ES6_jNS0_17counting_iteratorIjlEEPS9_SE_NS0_5tupleIJPjSE_EEENSF_IJSE_SE_EEES9_SG_JZNS1_25segmented_radix_sort_implINS0_14default_configELb1EPKaPaPKlPlN2at6native12_GLOBAL__N_18offset_tEEE10hipError_tPvRmT1_PNSt15iterator_traitsISY_E10value_typeET2_T3_PNSZ_IS14_E10value_typeET4_jRbjT5_S1A_jjP12ihipStream_tbEUljE_EEESV_SW_SX_S14_S18_S1A_T6_T7_T9_mT8_S1C_bDpT10_ENKUlT_T0_E_clISt17integral_constantIbLb0EES1P_EEDaS1K_S1L_EUlS1K_E_NS1_11comp_targetILNS1_3genE9ELNS1_11target_archE1100ELNS1_3gpuE3ELNS1_3repE0EEENS1_30default_config_static_selectorELNS0_4arch9wavefront6targetE0EEEvSY_
		.amdhsa_group_segment_fixed_size 0
		.amdhsa_private_segment_fixed_size 0
		.amdhsa_kernarg_size 144
		.amdhsa_user_sgpr_count 2
		.amdhsa_user_sgpr_dispatch_ptr 0
		.amdhsa_user_sgpr_queue_ptr 0
		.amdhsa_user_sgpr_kernarg_segment_ptr 1
		.amdhsa_user_sgpr_dispatch_id 0
		.amdhsa_user_sgpr_private_segment_size 0
		.amdhsa_wavefront_size32 1
		.amdhsa_uses_dynamic_stack 0
		.amdhsa_enable_private_segment 0
		.amdhsa_system_sgpr_workgroup_id_x 1
		.amdhsa_system_sgpr_workgroup_id_y 0
		.amdhsa_system_sgpr_workgroup_id_z 0
		.amdhsa_system_sgpr_workgroup_info 0
		.amdhsa_system_vgpr_workitem_id 0
		.amdhsa_next_free_vgpr 1
		.amdhsa_next_free_sgpr 1
		.amdhsa_reserve_vcc 0
		.amdhsa_float_round_mode_32 0
		.amdhsa_float_round_mode_16_64 0
		.amdhsa_float_denorm_mode_32 3
		.amdhsa_float_denorm_mode_16_64 3
		.amdhsa_fp16_overflow 0
		.amdhsa_workgroup_processor_mode 1
		.amdhsa_memory_ordered 1
		.amdhsa_forward_progress 1
		.amdhsa_inst_pref_size 0
		.amdhsa_round_robin_scheduling 0
		.amdhsa_exception_fp_ieee_invalid_op 0
		.amdhsa_exception_fp_denorm_src 0
		.amdhsa_exception_fp_ieee_div_zero 0
		.amdhsa_exception_fp_ieee_overflow 0
		.amdhsa_exception_fp_ieee_underflow 0
		.amdhsa_exception_fp_ieee_inexact 0
		.amdhsa_exception_int_div_zero 0
	.end_amdhsa_kernel
	.section	.text._ZN7rocprim17ROCPRIM_400000_NS6detail17trampoline_kernelINS0_13select_configILj256ELj13ELNS0_17block_load_methodE3ELS4_3ELS4_3ELNS0_20block_scan_algorithmE0ELj4294967295EEENS1_25partition_config_selectorILNS1_17partition_subalgoE3EjNS0_10empty_typeEbEEZZNS1_14partition_implILS8_3ELb0ES6_jNS0_17counting_iteratorIjlEEPS9_SE_NS0_5tupleIJPjSE_EEENSF_IJSE_SE_EEES9_SG_JZNS1_25segmented_radix_sort_implINS0_14default_configELb1EPKaPaPKlPlN2at6native12_GLOBAL__N_18offset_tEEE10hipError_tPvRmT1_PNSt15iterator_traitsISY_E10value_typeET2_T3_PNSZ_IS14_E10value_typeET4_jRbjT5_S1A_jjP12ihipStream_tbEUljE_EEESV_SW_SX_S14_S18_S1A_T6_T7_T9_mT8_S1C_bDpT10_ENKUlT_T0_E_clISt17integral_constantIbLb0EES1P_EEDaS1K_S1L_EUlS1K_E_NS1_11comp_targetILNS1_3genE9ELNS1_11target_archE1100ELNS1_3gpuE3ELNS1_3repE0EEENS1_30default_config_static_selectorELNS0_4arch9wavefront6targetE0EEEvSY_,"axG",@progbits,_ZN7rocprim17ROCPRIM_400000_NS6detail17trampoline_kernelINS0_13select_configILj256ELj13ELNS0_17block_load_methodE3ELS4_3ELS4_3ELNS0_20block_scan_algorithmE0ELj4294967295EEENS1_25partition_config_selectorILNS1_17partition_subalgoE3EjNS0_10empty_typeEbEEZZNS1_14partition_implILS8_3ELb0ES6_jNS0_17counting_iteratorIjlEEPS9_SE_NS0_5tupleIJPjSE_EEENSF_IJSE_SE_EEES9_SG_JZNS1_25segmented_radix_sort_implINS0_14default_configELb1EPKaPaPKlPlN2at6native12_GLOBAL__N_18offset_tEEE10hipError_tPvRmT1_PNSt15iterator_traitsISY_E10value_typeET2_T3_PNSZ_IS14_E10value_typeET4_jRbjT5_S1A_jjP12ihipStream_tbEUljE_EEESV_SW_SX_S14_S18_S1A_T6_T7_T9_mT8_S1C_bDpT10_ENKUlT_T0_E_clISt17integral_constantIbLb0EES1P_EEDaS1K_S1L_EUlS1K_E_NS1_11comp_targetILNS1_3genE9ELNS1_11target_archE1100ELNS1_3gpuE3ELNS1_3repE0EEENS1_30default_config_static_selectorELNS0_4arch9wavefront6targetE0EEEvSY_,comdat
.Lfunc_end264:
	.size	_ZN7rocprim17ROCPRIM_400000_NS6detail17trampoline_kernelINS0_13select_configILj256ELj13ELNS0_17block_load_methodE3ELS4_3ELS4_3ELNS0_20block_scan_algorithmE0ELj4294967295EEENS1_25partition_config_selectorILNS1_17partition_subalgoE3EjNS0_10empty_typeEbEEZZNS1_14partition_implILS8_3ELb0ES6_jNS0_17counting_iteratorIjlEEPS9_SE_NS0_5tupleIJPjSE_EEENSF_IJSE_SE_EEES9_SG_JZNS1_25segmented_radix_sort_implINS0_14default_configELb1EPKaPaPKlPlN2at6native12_GLOBAL__N_18offset_tEEE10hipError_tPvRmT1_PNSt15iterator_traitsISY_E10value_typeET2_T3_PNSZ_IS14_E10value_typeET4_jRbjT5_S1A_jjP12ihipStream_tbEUljE_EEESV_SW_SX_S14_S18_S1A_T6_T7_T9_mT8_S1C_bDpT10_ENKUlT_T0_E_clISt17integral_constantIbLb0EES1P_EEDaS1K_S1L_EUlS1K_E_NS1_11comp_targetILNS1_3genE9ELNS1_11target_archE1100ELNS1_3gpuE3ELNS1_3repE0EEENS1_30default_config_static_selectorELNS0_4arch9wavefront6targetE0EEEvSY_, .Lfunc_end264-_ZN7rocprim17ROCPRIM_400000_NS6detail17trampoline_kernelINS0_13select_configILj256ELj13ELNS0_17block_load_methodE3ELS4_3ELS4_3ELNS0_20block_scan_algorithmE0ELj4294967295EEENS1_25partition_config_selectorILNS1_17partition_subalgoE3EjNS0_10empty_typeEbEEZZNS1_14partition_implILS8_3ELb0ES6_jNS0_17counting_iteratorIjlEEPS9_SE_NS0_5tupleIJPjSE_EEENSF_IJSE_SE_EEES9_SG_JZNS1_25segmented_radix_sort_implINS0_14default_configELb1EPKaPaPKlPlN2at6native12_GLOBAL__N_18offset_tEEE10hipError_tPvRmT1_PNSt15iterator_traitsISY_E10value_typeET2_T3_PNSZ_IS14_E10value_typeET4_jRbjT5_S1A_jjP12ihipStream_tbEUljE_EEESV_SW_SX_S14_S18_S1A_T6_T7_T9_mT8_S1C_bDpT10_ENKUlT_T0_E_clISt17integral_constantIbLb0EES1P_EEDaS1K_S1L_EUlS1K_E_NS1_11comp_targetILNS1_3genE9ELNS1_11target_archE1100ELNS1_3gpuE3ELNS1_3repE0EEENS1_30default_config_static_selectorELNS0_4arch9wavefront6targetE0EEEvSY_
                                        ; -- End function
	.set _ZN7rocprim17ROCPRIM_400000_NS6detail17trampoline_kernelINS0_13select_configILj256ELj13ELNS0_17block_load_methodE3ELS4_3ELS4_3ELNS0_20block_scan_algorithmE0ELj4294967295EEENS1_25partition_config_selectorILNS1_17partition_subalgoE3EjNS0_10empty_typeEbEEZZNS1_14partition_implILS8_3ELb0ES6_jNS0_17counting_iteratorIjlEEPS9_SE_NS0_5tupleIJPjSE_EEENSF_IJSE_SE_EEES9_SG_JZNS1_25segmented_radix_sort_implINS0_14default_configELb1EPKaPaPKlPlN2at6native12_GLOBAL__N_18offset_tEEE10hipError_tPvRmT1_PNSt15iterator_traitsISY_E10value_typeET2_T3_PNSZ_IS14_E10value_typeET4_jRbjT5_S1A_jjP12ihipStream_tbEUljE_EEESV_SW_SX_S14_S18_S1A_T6_T7_T9_mT8_S1C_bDpT10_ENKUlT_T0_E_clISt17integral_constantIbLb0EES1P_EEDaS1K_S1L_EUlS1K_E_NS1_11comp_targetILNS1_3genE9ELNS1_11target_archE1100ELNS1_3gpuE3ELNS1_3repE0EEENS1_30default_config_static_selectorELNS0_4arch9wavefront6targetE0EEEvSY_.num_vgpr, 0
	.set _ZN7rocprim17ROCPRIM_400000_NS6detail17trampoline_kernelINS0_13select_configILj256ELj13ELNS0_17block_load_methodE3ELS4_3ELS4_3ELNS0_20block_scan_algorithmE0ELj4294967295EEENS1_25partition_config_selectorILNS1_17partition_subalgoE3EjNS0_10empty_typeEbEEZZNS1_14partition_implILS8_3ELb0ES6_jNS0_17counting_iteratorIjlEEPS9_SE_NS0_5tupleIJPjSE_EEENSF_IJSE_SE_EEES9_SG_JZNS1_25segmented_radix_sort_implINS0_14default_configELb1EPKaPaPKlPlN2at6native12_GLOBAL__N_18offset_tEEE10hipError_tPvRmT1_PNSt15iterator_traitsISY_E10value_typeET2_T3_PNSZ_IS14_E10value_typeET4_jRbjT5_S1A_jjP12ihipStream_tbEUljE_EEESV_SW_SX_S14_S18_S1A_T6_T7_T9_mT8_S1C_bDpT10_ENKUlT_T0_E_clISt17integral_constantIbLb0EES1P_EEDaS1K_S1L_EUlS1K_E_NS1_11comp_targetILNS1_3genE9ELNS1_11target_archE1100ELNS1_3gpuE3ELNS1_3repE0EEENS1_30default_config_static_selectorELNS0_4arch9wavefront6targetE0EEEvSY_.num_agpr, 0
	.set _ZN7rocprim17ROCPRIM_400000_NS6detail17trampoline_kernelINS0_13select_configILj256ELj13ELNS0_17block_load_methodE3ELS4_3ELS4_3ELNS0_20block_scan_algorithmE0ELj4294967295EEENS1_25partition_config_selectorILNS1_17partition_subalgoE3EjNS0_10empty_typeEbEEZZNS1_14partition_implILS8_3ELb0ES6_jNS0_17counting_iteratorIjlEEPS9_SE_NS0_5tupleIJPjSE_EEENSF_IJSE_SE_EEES9_SG_JZNS1_25segmented_radix_sort_implINS0_14default_configELb1EPKaPaPKlPlN2at6native12_GLOBAL__N_18offset_tEEE10hipError_tPvRmT1_PNSt15iterator_traitsISY_E10value_typeET2_T3_PNSZ_IS14_E10value_typeET4_jRbjT5_S1A_jjP12ihipStream_tbEUljE_EEESV_SW_SX_S14_S18_S1A_T6_T7_T9_mT8_S1C_bDpT10_ENKUlT_T0_E_clISt17integral_constantIbLb0EES1P_EEDaS1K_S1L_EUlS1K_E_NS1_11comp_targetILNS1_3genE9ELNS1_11target_archE1100ELNS1_3gpuE3ELNS1_3repE0EEENS1_30default_config_static_selectorELNS0_4arch9wavefront6targetE0EEEvSY_.numbered_sgpr, 0
	.set _ZN7rocprim17ROCPRIM_400000_NS6detail17trampoline_kernelINS0_13select_configILj256ELj13ELNS0_17block_load_methodE3ELS4_3ELS4_3ELNS0_20block_scan_algorithmE0ELj4294967295EEENS1_25partition_config_selectorILNS1_17partition_subalgoE3EjNS0_10empty_typeEbEEZZNS1_14partition_implILS8_3ELb0ES6_jNS0_17counting_iteratorIjlEEPS9_SE_NS0_5tupleIJPjSE_EEENSF_IJSE_SE_EEES9_SG_JZNS1_25segmented_radix_sort_implINS0_14default_configELb1EPKaPaPKlPlN2at6native12_GLOBAL__N_18offset_tEEE10hipError_tPvRmT1_PNSt15iterator_traitsISY_E10value_typeET2_T3_PNSZ_IS14_E10value_typeET4_jRbjT5_S1A_jjP12ihipStream_tbEUljE_EEESV_SW_SX_S14_S18_S1A_T6_T7_T9_mT8_S1C_bDpT10_ENKUlT_T0_E_clISt17integral_constantIbLb0EES1P_EEDaS1K_S1L_EUlS1K_E_NS1_11comp_targetILNS1_3genE9ELNS1_11target_archE1100ELNS1_3gpuE3ELNS1_3repE0EEENS1_30default_config_static_selectorELNS0_4arch9wavefront6targetE0EEEvSY_.num_named_barrier, 0
	.set _ZN7rocprim17ROCPRIM_400000_NS6detail17trampoline_kernelINS0_13select_configILj256ELj13ELNS0_17block_load_methodE3ELS4_3ELS4_3ELNS0_20block_scan_algorithmE0ELj4294967295EEENS1_25partition_config_selectorILNS1_17partition_subalgoE3EjNS0_10empty_typeEbEEZZNS1_14partition_implILS8_3ELb0ES6_jNS0_17counting_iteratorIjlEEPS9_SE_NS0_5tupleIJPjSE_EEENSF_IJSE_SE_EEES9_SG_JZNS1_25segmented_radix_sort_implINS0_14default_configELb1EPKaPaPKlPlN2at6native12_GLOBAL__N_18offset_tEEE10hipError_tPvRmT1_PNSt15iterator_traitsISY_E10value_typeET2_T3_PNSZ_IS14_E10value_typeET4_jRbjT5_S1A_jjP12ihipStream_tbEUljE_EEESV_SW_SX_S14_S18_S1A_T6_T7_T9_mT8_S1C_bDpT10_ENKUlT_T0_E_clISt17integral_constantIbLb0EES1P_EEDaS1K_S1L_EUlS1K_E_NS1_11comp_targetILNS1_3genE9ELNS1_11target_archE1100ELNS1_3gpuE3ELNS1_3repE0EEENS1_30default_config_static_selectorELNS0_4arch9wavefront6targetE0EEEvSY_.private_seg_size, 0
	.set _ZN7rocprim17ROCPRIM_400000_NS6detail17trampoline_kernelINS0_13select_configILj256ELj13ELNS0_17block_load_methodE3ELS4_3ELS4_3ELNS0_20block_scan_algorithmE0ELj4294967295EEENS1_25partition_config_selectorILNS1_17partition_subalgoE3EjNS0_10empty_typeEbEEZZNS1_14partition_implILS8_3ELb0ES6_jNS0_17counting_iteratorIjlEEPS9_SE_NS0_5tupleIJPjSE_EEENSF_IJSE_SE_EEES9_SG_JZNS1_25segmented_radix_sort_implINS0_14default_configELb1EPKaPaPKlPlN2at6native12_GLOBAL__N_18offset_tEEE10hipError_tPvRmT1_PNSt15iterator_traitsISY_E10value_typeET2_T3_PNSZ_IS14_E10value_typeET4_jRbjT5_S1A_jjP12ihipStream_tbEUljE_EEESV_SW_SX_S14_S18_S1A_T6_T7_T9_mT8_S1C_bDpT10_ENKUlT_T0_E_clISt17integral_constantIbLb0EES1P_EEDaS1K_S1L_EUlS1K_E_NS1_11comp_targetILNS1_3genE9ELNS1_11target_archE1100ELNS1_3gpuE3ELNS1_3repE0EEENS1_30default_config_static_selectorELNS0_4arch9wavefront6targetE0EEEvSY_.uses_vcc, 0
	.set _ZN7rocprim17ROCPRIM_400000_NS6detail17trampoline_kernelINS0_13select_configILj256ELj13ELNS0_17block_load_methodE3ELS4_3ELS4_3ELNS0_20block_scan_algorithmE0ELj4294967295EEENS1_25partition_config_selectorILNS1_17partition_subalgoE3EjNS0_10empty_typeEbEEZZNS1_14partition_implILS8_3ELb0ES6_jNS0_17counting_iteratorIjlEEPS9_SE_NS0_5tupleIJPjSE_EEENSF_IJSE_SE_EEES9_SG_JZNS1_25segmented_radix_sort_implINS0_14default_configELb1EPKaPaPKlPlN2at6native12_GLOBAL__N_18offset_tEEE10hipError_tPvRmT1_PNSt15iterator_traitsISY_E10value_typeET2_T3_PNSZ_IS14_E10value_typeET4_jRbjT5_S1A_jjP12ihipStream_tbEUljE_EEESV_SW_SX_S14_S18_S1A_T6_T7_T9_mT8_S1C_bDpT10_ENKUlT_T0_E_clISt17integral_constantIbLb0EES1P_EEDaS1K_S1L_EUlS1K_E_NS1_11comp_targetILNS1_3genE9ELNS1_11target_archE1100ELNS1_3gpuE3ELNS1_3repE0EEENS1_30default_config_static_selectorELNS0_4arch9wavefront6targetE0EEEvSY_.uses_flat_scratch, 0
	.set _ZN7rocprim17ROCPRIM_400000_NS6detail17trampoline_kernelINS0_13select_configILj256ELj13ELNS0_17block_load_methodE3ELS4_3ELS4_3ELNS0_20block_scan_algorithmE0ELj4294967295EEENS1_25partition_config_selectorILNS1_17partition_subalgoE3EjNS0_10empty_typeEbEEZZNS1_14partition_implILS8_3ELb0ES6_jNS0_17counting_iteratorIjlEEPS9_SE_NS0_5tupleIJPjSE_EEENSF_IJSE_SE_EEES9_SG_JZNS1_25segmented_radix_sort_implINS0_14default_configELb1EPKaPaPKlPlN2at6native12_GLOBAL__N_18offset_tEEE10hipError_tPvRmT1_PNSt15iterator_traitsISY_E10value_typeET2_T3_PNSZ_IS14_E10value_typeET4_jRbjT5_S1A_jjP12ihipStream_tbEUljE_EEESV_SW_SX_S14_S18_S1A_T6_T7_T9_mT8_S1C_bDpT10_ENKUlT_T0_E_clISt17integral_constantIbLb0EES1P_EEDaS1K_S1L_EUlS1K_E_NS1_11comp_targetILNS1_3genE9ELNS1_11target_archE1100ELNS1_3gpuE3ELNS1_3repE0EEENS1_30default_config_static_selectorELNS0_4arch9wavefront6targetE0EEEvSY_.has_dyn_sized_stack, 0
	.set _ZN7rocprim17ROCPRIM_400000_NS6detail17trampoline_kernelINS0_13select_configILj256ELj13ELNS0_17block_load_methodE3ELS4_3ELS4_3ELNS0_20block_scan_algorithmE0ELj4294967295EEENS1_25partition_config_selectorILNS1_17partition_subalgoE3EjNS0_10empty_typeEbEEZZNS1_14partition_implILS8_3ELb0ES6_jNS0_17counting_iteratorIjlEEPS9_SE_NS0_5tupleIJPjSE_EEENSF_IJSE_SE_EEES9_SG_JZNS1_25segmented_radix_sort_implINS0_14default_configELb1EPKaPaPKlPlN2at6native12_GLOBAL__N_18offset_tEEE10hipError_tPvRmT1_PNSt15iterator_traitsISY_E10value_typeET2_T3_PNSZ_IS14_E10value_typeET4_jRbjT5_S1A_jjP12ihipStream_tbEUljE_EEESV_SW_SX_S14_S18_S1A_T6_T7_T9_mT8_S1C_bDpT10_ENKUlT_T0_E_clISt17integral_constantIbLb0EES1P_EEDaS1K_S1L_EUlS1K_E_NS1_11comp_targetILNS1_3genE9ELNS1_11target_archE1100ELNS1_3gpuE3ELNS1_3repE0EEENS1_30default_config_static_selectorELNS0_4arch9wavefront6targetE0EEEvSY_.has_recursion, 0
	.set _ZN7rocprim17ROCPRIM_400000_NS6detail17trampoline_kernelINS0_13select_configILj256ELj13ELNS0_17block_load_methodE3ELS4_3ELS4_3ELNS0_20block_scan_algorithmE0ELj4294967295EEENS1_25partition_config_selectorILNS1_17partition_subalgoE3EjNS0_10empty_typeEbEEZZNS1_14partition_implILS8_3ELb0ES6_jNS0_17counting_iteratorIjlEEPS9_SE_NS0_5tupleIJPjSE_EEENSF_IJSE_SE_EEES9_SG_JZNS1_25segmented_radix_sort_implINS0_14default_configELb1EPKaPaPKlPlN2at6native12_GLOBAL__N_18offset_tEEE10hipError_tPvRmT1_PNSt15iterator_traitsISY_E10value_typeET2_T3_PNSZ_IS14_E10value_typeET4_jRbjT5_S1A_jjP12ihipStream_tbEUljE_EEESV_SW_SX_S14_S18_S1A_T6_T7_T9_mT8_S1C_bDpT10_ENKUlT_T0_E_clISt17integral_constantIbLb0EES1P_EEDaS1K_S1L_EUlS1K_E_NS1_11comp_targetILNS1_3genE9ELNS1_11target_archE1100ELNS1_3gpuE3ELNS1_3repE0EEENS1_30default_config_static_selectorELNS0_4arch9wavefront6targetE0EEEvSY_.has_indirect_call, 0
	.section	.AMDGPU.csdata,"",@progbits
; Kernel info:
; codeLenInByte = 0
; TotalNumSgprs: 0
; NumVgprs: 0
; ScratchSize: 0
; MemoryBound: 0
; FloatMode: 240
; IeeeMode: 1
; LDSByteSize: 0 bytes/workgroup (compile time only)
; SGPRBlocks: 0
; VGPRBlocks: 0
; NumSGPRsForWavesPerEU: 1
; NumVGPRsForWavesPerEU: 1
; Occupancy: 16
; WaveLimiterHint : 0
; COMPUTE_PGM_RSRC2:SCRATCH_EN: 0
; COMPUTE_PGM_RSRC2:USER_SGPR: 2
; COMPUTE_PGM_RSRC2:TRAP_HANDLER: 0
; COMPUTE_PGM_RSRC2:TGID_X_EN: 1
; COMPUTE_PGM_RSRC2:TGID_Y_EN: 0
; COMPUTE_PGM_RSRC2:TGID_Z_EN: 0
; COMPUTE_PGM_RSRC2:TIDIG_COMP_CNT: 0
	.section	.text._ZN7rocprim17ROCPRIM_400000_NS6detail17trampoline_kernelINS0_13select_configILj256ELj13ELNS0_17block_load_methodE3ELS4_3ELS4_3ELNS0_20block_scan_algorithmE0ELj4294967295EEENS1_25partition_config_selectorILNS1_17partition_subalgoE3EjNS0_10empty_typeEbEEZZNS1_14partition_implILS8_3ELb0ES6_jNS0_17counting_iteratorIjlEEPS9_SE_NS0_5tupleIJPjSE_EEENSF_IJSE_SE_EEES9_SG_JZNS1_25segmented_radix_sort_implINS0_14default_configELb1EPKaPaPKlPlN2at6native12_GLOBAL__N_18offset_tEEE10hipError_tPvRmT1_PNSt15iterator_traitsISY_E10value_typeET2_T3_PNSZ_IS14_E10value_typeET4_jRbjT5_S1A_jjP12ihipStream_tbEUljE_EEESV_SW_SX_S14_S18_S1A_T6_T7_T9_mT8_S1C_bDpT10_ENKUlT_T0_E_clISt17integral_constantIbLb0EES1P_EEDaS1K_S1L_EUlS1K_E_NS1_11comp_targetILNS1_3genE8ELNS1_11target_archE1030ELNS1_3gpuE2ELNS1_3repE0EEENS1_30default_config_static_selectorELNS0_4arch9wavefront6targetE0EEEvSY_,"axG",@progbits,_ZN7rocprim17ROCPRIM_400000_NS6detail17trampoline_kernelINS0_13select_configILj256ELj13ELNS0_17block_load_methodE3ELS4_3ELS4_3ELNS0_20block_scan_algorithmE0ELj4294967295EEENS1_25partition_config_selectorILNS1_17partition_subalgoE3EjNS0_10empty_typeEbEEZZNS1_14partition_implILS8_3ELb0ES6_jNS0_17counting_iteratorIjlEEPS9_SE_NS0_5tupleIJPjSE_EEENSF_IJSE_SE_EEES9_SG_JZNS1_25segmented_radix_sort_implINS0_14default_configELb1EPKaPaPKlPlN2at6native12_GLOBAL__N_18offset_tEEE10hipError_tPvRmT1_PNSt15iterator_traitsISY_E10value_typeET2_T3_PNSZ_IS14_E10value_typeET4_jRbjT5_S1A_jjP12ihipStream_tbEUljE_EEESV_SW_SX_S14_S18_S1A_T6_T7_T9_mT8_S1C_bDpT10_ENKUlT_T0_E_clISt17integral_constantIbLb0EES1P_EEDaS1K_S1L_EUlS1K_E_NS1_11comp_targetILNS1_3genE8ELNS1_11target_archE1030ELNS1_3gpuE2ELNS1_3repE0EEENS1_30default_config_static_selectorELNS0_4arch9wavefront6targetE0EEEvSY_,comdat
	.globl	_ZN7rocprim17ROCPRIM_400000_NS6detail17trampoline_kernelINS0_13select_configILj256ELj13ELNS0_17block_load_methodE3ELS4_3ELS4_3ELNS0_20block_scan_algorithmE0ELj4294967295EEENS1_25partition_config_selectorILNS1_17partition_subalgoE3EjNS0_10empty_typeEbEEZZNS1_14partition_implILS8_3ELb0ES6_jNS0_17counting_iteratorIjlEEPS9_SE_NS0_5tupleIJPjSE_EEENSF_IJSE_SE_EEES9_SG_JZNS1_25segmented_radix_sort_implINS0_14default_configELb1EPKaPaPKlPlN2at6native12_GLOBAL__N_18offset_tEEE10hipError_tPvRmT1_PNSt15iterator_traitsISY_E10value_typeET2_T3_PNSZ_IS14_E10value_typeET4_jRbjT5_S1A_jjP12ihipStream_tbEUljE_EEESV_SW_SX_S14_S18_S1A_T6_T7_T9_mT8_S1C_bDpT10_ENKUlT_T0_E_clISt17integral_constantIbLb0EES1P_EEDaS1K_S1L_EUlS1K_E_NS1_11comp_targetILNS1_3genE8ELNS1_11target_archE1030ELNS1_3gpuE2ELNS1_3repE0EEENS1_30default_config_static_selectorELNS0_4arch9wavefront6targetE0EEEvSY_ ; -- Begin function _ZN7rocprim17ROCPRIM_400000_NS6detail17trampoline_kernelINS0_13select_configILj256ELj13ELNS0_17block_load_methodE3ELS4_3ELS4_3ELNS0_20block_scan_algorithmE0ELj4294967295EEENS1_25partition_config_selectorILNS1_17partition_subalgoE3EjNS0_10empty_typeEbEEZZNS1_14partition_implILS8_3ELb0ES6_jNS0_17counting_iteratorIjlEEPS9_SE_NS0_5tupleIJPjSE_EEENSF_IJSE_SE_EEES9_SG_JZNS1_25segmented_radix_sort_implINS0_14default_configELb1EPKaPaPKlPlN2at6native12_GLOBAL__N_18offset_tEEE10hipError_tPvRmT1_PNSt15iterator_traitsISY_E10value_typeET2_T3_PNSZ_IS14_E10value_typeET4_jRbjT5_S1A_jjP12ihipStream_tbEUljE_EEESV_SW_SX_S14_S18_S1A_T6_T7_T9_mT8_S1C_bDpT10_ENKUlT_T0_E_clISt17integral_constantIbLb0EES1P_EEDaS1K_S1L_EUlS1K_E_NS1_11comp_targetILNS1_3genE8ELNS1_11target_archE1030ELNS1_3gpuE2ELNS1_3repE0EEENS1_30default_config_static_selectorELNS0_4arch9wavefront6targetE0EEEvSY_
	.p2align	8
	.type	_ZN7rocprim17ROCPRIM_400000_NS6detail17trampoline_kernelINS0_13select_configILj256ELj13ELNS0_17block_load_methodE3ELS4_3ELS4_3ELNS0_20block_scan_algorithmE0ELj4294967295EEENS1_25partition_config_selectorILNS1_17partition_subalgoE3EjNS0_10empty_typeEbEEZZNS1_14partition_implILS8_3ELb0ES6_jNS0_17counting_iteratorIjlEEPS9_SE_NS0_5tupleIJPjSE_EEENSF_IJSE_SE_EEES9_SG_JZNS1_25segmented_radix_sort_implINS0_14default_configELb1EPKaPaPKlPlN2at6native12_GLOBAL__N_18offset_tEEE10hipError_tPvRmT1_PNSt15iterator_traitsISY_E10value_typeET2_T3_PNSZ_IS14_E10value_typeET4_jRbjT5_S1A_jjP12ihipStream_tbEUljE_EEESV_SW_SX_S14_S18_S1A_T6_T7_T9_mT8_S1C_bDpT10_ENKUlT_T0_E_clISt17integral_constantIbLb0EES1P_EEDaS1K_S1L_EUlS1K_E_NS1_11comp_targetILNS1_3genE8ELNS1_11target_archE1030ELNS1_3gpuE2ELNS1_3repE0EEENS1_30default_config_static_selectorELNS0_4arch9wavefront6targetE0EEEvSY_,@function
_ZN7rocprim17ROCPRIM_400000_NS6detail17trampoline_kernelINS0_13select_configILj256ELj13ELNS0_17block_load_methodE3ELS4_3ELS4_3ELNS0_20block_scan_algorithmE0ELj4294967295EEENS1_25partition_config_selectorILNS1_17partition_subalgoE3EjNS0_10empty_typeEbEEZZNS1_14partition_implILS8_3ELb0ES6_jNS0_17counting_iteratorIjlEEPS9_SE_NS0_5tupleIJPjSE_EEENSF_IJSE_SE_EEES9_SG_JZNS1_25segmented_radix_sort_implINS0_14default_configELb1EPKaPaPKlPlN2at6native12_GLOBAL__N_18offset_tEEE10hipError_tPvRmT1_PNSt15iterator_traitsISY_E10value_typeET2_T3_PNSZ_IS14_E10value_typeET4_jRbjT5_S1A_jjP12ihipStream_tbEUljE_EEESV_SW_SX_S14_S18_S1A_T6_T7_T9_mT8_S1C_bDpT10_ENKUlT_T0_E_clISt17integral_constantIbLb0EES1P_EEDaS1K_S1L_EUlS1K_E_NS1_11comp_targetILNS1_3genE8ELNS1_11target_archE1030ELNS1_3gpuE2ELNS1_3repE0EEENS1_30default_config_static_selectorELNS0_4arch9wavefront6targetE0EEEvSY_: ; @_ZN7rocprim17ROCPRIM_400000_NS6detail17trampoline_kernelINS0_13select_configILj256ELj13ELNS0_17block_load_methodE3ELS4_3ELS4_3ELNS0_20block_scan_algorithmE0ELj4294967295EEENS1_25partition_config_selectorILNS1_17partition_subalgoE3EjNS0_10empty_typeEbEEZZNS1_14partition_implILS8_3ELb0ES6_jNS0_17counting_iteratorIjlEEPS9_SE_NS0_5tupleIJPjSE_EEENSF_IJSE_SE_EEES9_SG_JZNS1_25segmented_radix_sort_implINS0_14default_configELb1EPKaPaPKlPlN2at6native12_GLOBAL__N_18offset_tEEE10hipError_tPvRmT1_PNSt15iterator_traitsISY_E10value_typeET2_T3_PNSZ_IS14_E10value_typeET4_jRbjT5_S1A_jjP12ihipStream_tbEUljE_EEESV_SW_SX_S14_S18_S1A_T6_T7_T9_mT8_S1C_bDpT10_ENKUlT_T0_E_clISt17integral_constantIbLb0EES1P_EEDaS1K_S1L_EUlS1K_E_NS1_11comp_targetILNS1_3genE8ELNS1_11target_archE1030ELNS1_3gpuE2ELNS1_3repE0EEENS1_30default_config_static_selectorELNS0_4arch9wavefront6targetE0EEEvSY_
; %bb.0:
	.section	.rodata,"a",@progbits
	.p2align	6, 0x0
	.amdhsa_kernel _ZN7rocprim17ROCPRIM_400000_NS6detail17trampoline_kernelINS0_13select_configILj256ELj13ELNS0_17block_load_methodE3ELS4_3ELS4_3ELNS0_20block_scan_algorithmE0ELj4294967295EEENS1_25partition_config_selectorILNS1_17partition_subalgoE3EjNS0_10empty_typeEbEEZZNS1_14partition_implILS8_3ELb0ES6_jNS0_17counting_iteratorIjlEEPS9_SE_NS0_5tupleIJPjSE_EEENSF_IJSE_SE_EEES9_SG_JZNS1_25segmented_radix_sort_implINS0_14default_configELb1EPKaPaPKlPlN2at6native12_GLOBAL__N_18offset_tEEE10hipError_tPvRmT1_PNSt15iterator_traitsISY_E10value_typeET2_T3_PNSZ_IS14_E10value_typeET4_jRbjT5_S1A_jjP12ihipStream_tbEUljE_EEESV_SW_SX_S14_S18_S1A_T6_T7_T9_mT8_S1C_bDpT10_ENKUlT_T0_E_clISt17integral_constantIbLb0EES1P_EEDaS1K_S1L_EUlS1K_E_NS1_11comp_targetILNS1_3genE8ELNS1_11target_archE1030ELNS1_3gpuE2ELNS1_3repE0EEENS1_30default_config_static_selectorELNS0_4arch9wavefront6targetE0EEEvSY_
		.amdhsa_group_segment_fixed_size 0
		.amdhsa_private_segment_fixed_size 0
		.amdhsa_kernarg_size 144
		.amdhsa_user_sgpr_count 2
		.amdhsa_user_sgpr_dispatch_ptr 0
		.amdhsa_user_sgpr_queue_ptr 0
		.amdhsa_user_sgpr_kernarg_segment_ptr 1
		.amdhsa_user_sgpr_dispatch_id 0
		.amdhsa_user_sgpr_private_segment_size 0
		.amdhsa_wavefront_size32 1
		.amdhsa_uses_dynamic_stack 0
		.amdhsa_enable_private_segment 0
		.amdhsa_system_sgpr_workgroup_id_x 1
		.amdhsa_system_sgpr_workgroup_id_y 0
		.amdhsa_system_sgpr_workgroup_id_z 0
		.amdhsa_system_sgpr_workgroup_info 0
		.amdhsa_system_vgpr_workitem_id 0
		.amdhsa_next_free_vgpr 1
		.amdhsa_next_free_sgpr 1
		.amdhsa_reserve_vcc 0
		.amdhsa_float_round_mode_32 0
		.amdhsa_float_round_mode_16_64 0
		.amdhsa_float_denorm_mode_32 3
		.amdhsa_float_denorm_mode_16_64 3
		.amdhsa_fp16_overflow 0
		.amdhsa_workgroup_processor_mode 1
		.amdhsa_memory_ordered 1
		.amdhsa_forward_progress 1
		.amdhsa_inst_pref_size 0
		.amdhsa_round_robin_scheduling 0
		.amdhsa_exception_fp_ieee_invalid_op 0
		.amdhsa_exception_fp_denorm_src 0
		.amdhsa_exception_fp_ieee_div_zero 0
		.amdhsa_exception_fp_ieee_overflow 0
		.amdhsa_exception_fp_ieee_underflow 0
		.amdhsa_exception_fp_ieee_inexact 0
		.amdhsa_exception_int_div_zero 0
	.end_amdhsa_kernel
	.section	.text._ZN7rocprim17ROCPRIM_400000_NS6detail17trampoline_kernelINS0_13select_configILj256ELj13ELNS0_17block_load_methodE3ELS4_3ELS4_3ELNS0_20block_scan_algorithmE0ELj4294967295EEENS1_25partition_config_selectorILNS1_17partition_subalgoE3EjNS0_10empty_typeEbEEZZNS1_14partition_implILS8_3ELb0ES6_jNS0_17counting_iteratorIjlEEPS9_SE_NS0_5tupleIJPjSE_EEENSF_IJSE_SE_EEES9_SG_JZNS1_25segmented_radix_sort_implINS0_14default_configELb1EPKaPaPKlPlN2at6native12_GLOBAL__N_18offset_tEEE10hipError_tPvRmT1_PNSt15iterator_traitsISY_E10value_typeET2_T3_PNSZ_IS14_E10value_typeET4_jRbjT5_S1A_jjP12ihipStream_tbEUljE_EEESV_SW_SX_S14_S18_S1A_T6_T7_T9_mT8_S1C_bDpT10_ENKUlT_T0_E_clISt17integral_constantIbLb0EES1P_EEDaS1K_S1L_EUlS1K_E_NS1_11comp_targetILNS1_3genE8ELNS1_11target_archE1030ELNS1_3gpuE2ELNS1_3repE0EEENS1_30default_config_static_selectorELNS0_4arch9wavefront6targetE0EEEvSY_,"axG",@progbits,_ZN7rocprim17ROCPRIM_400000_NS6detail17trampoline_kernelINS0_13select_configILj256ELj13ELNS0_17block_load_methodE3ELS4_3ELS4_3ELNS0_20block_scan_algorithmE0ELj4294967295EEENS1_25partition_config_selectorILNS1_17partition_subalgoE3EjNS0_10empty_typeEbEEZZNS1_14partition_implILS8_3ELb0ES6_jNS0_17counting_iteratorIjlEEPS9_SE_NS0_5tupleIJPjSE_EEENSF_IJSE_SE_EEES9_SG_JZNS1_25segmented_radix_sort_implINS0_14default_configELb1EPKaPaPKlPlN2at6native12_GLOBAL__N_18offset_tEEE10hipError_tPvRmT1_PNSt15iterator_traitsISY_E10value_typeET2_T3_PNSZ_IS14_E10value_typeET4_jRbjT5_S1A_jjP12ihipStream_tbEUljE_EEESV_SW_SX_S14_S18_S1A_T6_T7_T9_mT8_S1C_bDpT10_ENKUlT_T0_E_clISt17integral_constantIbLb0EES1P_EEDaS1K_S1L_EUlS1K_E_NS1_11comp_targetILNS1_3genE8ELNS1_11target_archE1030ELNS1_3gpuE2ELNS1_3repE0EEENS1_30default_config_static_selectorELNS0_4arch9wavefront6targetE0EEEvSY_,comdat
.Lfunc_end265:
	.size	_ZN7rocprim17ROCPRIM_400000_NS6detail17trampoline_kernelINS0_13select_configILj256ELj13ELNS0_17block_load_methodE3ELS4_3ELS4_3ELNS0_20block_scan_algorithmE0ELj4294967295EEENS1_25partition_config_selectorILNS1_17partition_subalgoE3EjNS0_10empty_typeEbEEZZNS1_14partition_implILS8_3ELb0ES6_jNS0_17counting_iteratorIjlEEPS9_SE_NS0_5tupleIJPjSE_EEENSF_IJSE_SE_EEES9_SG_JZNS1_25segmented_radix_sort_implINS0_14default_configELb1EPKaPaPKlPlN2at6native12_GLOBAL__N_18offset_tEEE10hipError_tPvRmT1_PNSt15iterator_traitsISY_E10value_typeET2_T3_PNSZ_IS14_E10value_typeET4_jRbjT5_S1A_jjP12ihipStream_tbEUljE_EEESV_SW_SX_S14_S18_S1A_T6_T7_T9_mT8_S1C_bDpT10_ENKUlT_T0_E_clISt17integral_constantIbLb0EES1P_EEDaS1K_S1L_EUlS1K_E_NS1_11comp_targetILNS1_3genE8ELNS1_11target_archE1030ELNS1_3gpuE2ELNS1_3repE0EEENS1_30default_config_static_selectorELNS0_4arch9wavefront6targetE0EEEvSY_, .Lfunc_end265-_ZN7rocprim17ROCPRIM_400000_NS6detail17trampoline_kernelINS0_13select_configILj256ELj13ELNS0_17block_load_methodE3ELS4_3ELS4_3ELNS0_20block_scan_algorithmE0ELj4294967295EEENS1_25partition_config_selectorILNS1_17partition_subalgoE3EjNS0_10empty_typeEbEEZZNS1_14partition_implILS8_3ELb0ES6_jNS0_17counting_iteratorIjlEEPS9_SE_NS0_5tupleIJPjSE_EEENSF_IJSE_SE_EEES9_SG_JZNS1_25segmented_radix_sort_implINS0_14default_configELb1EPKaPaPKlPlN2at6native12_GLOBAL__N_18offset_tEEE10hipError_tPvRmT1_PNSt15iterator_traitsISY_E10value_typeET2_T3_PNSZ_IS14_E10value_typeET4_jRbjT5_S1A_jjP12ihipStream_tbEUljE_EEESV_SW_SX_S14_S18_S1A_T6_T7_T9_mT8_S1C_bDpT10_ENKUlT_T0_E_clISt17integral_constantIbLb0EES1P_EEDaS1K_S1L_EUlS1K_E_NS1_11comp_targetILNS1_3genE8ELNS1_11target_archE1030ELNS1_3gpuE2ELNS1_3repE0EEENS1_30default_config_static_selectorELNS0_4arch9wavefront6targetE0EEEvSY_
                                        ; -- End function
	.set _ZN7rocprim17ROCPRIM_400000_NS6detail17trampoline_kernelINS0_13select_configILj256ELj13ELNS0_17block_load_methodE3ELS4_3ELS4_3ELNS0_20block_scan_algorithmE0ELj4294967295EEENS1_25partition_config_selectorILNS1_17partition_subalgoE3EjNS0_10empty_typeEbEEZZNS1_14partition_implILS8_3ELb0ES6_jNS0_17counting_iteratorIjlEEPS9_SE_NS0_5tupleIJPjSE_EEENSF_IJSE_SE_EEES9_SG_JZNS1_25segmented_radix_sort_implINS0_14default_configELb1EPKaPaPKlPlN2at6native12_GLOBAL__N_18offset_tEEE10hipError_tPvRmT1_PNSt15iterator_traitsISY_E10value_typeET2_T3_PNSZ_IS14_E10value_typeET4_jRbjT5_S1A_jjP12ihipStream_tbEUljE_EEESV_SW_SX_S14_S18_S1A_T6_T7_T9_mT8_S1C_bDpT10_ENKUlT_T0_E_clISt17integral_constantIbLb0EES1P_EEDaS1K_S1L_EUlS1K_E_NS1_11comp_targetILNS1_3genE8ELNS1_11target_archE1030ELNS1_3gpuE2ELNS1_3repE0EEENS1_30default_config_static_selectorELNS0_4arch9wavefront6targetE0EEEvSY_.num_vgpr, 0
	.set _ZN7rocprim17ROCPRIM_400000_NS6detail17trampoline_kernelINS0_13select_configILj256ELj13ELNS0_17block_load_methodE3ELS4_3ELS4_3ELNS0_20block_scan_algorithmE0ELj4294967295EEENS1_25partition_config_selectorILNS1_17partition_subalgoE3EjNS0_10empty_typeEbEEZZNS1_14partition_implILS8_3ELb0ES6_jNS0_17counting_iteratorIjlEEPS9_SE_NS0_5tupleIJPjSE_EEENSF_IJSE_SE_EEES9_SG_JZNS1_25segmented_radix_sort_implINS0_14default_configELb1EPKaPaPKlPlN2at6native12_GLOBAL__N_18offset_tEEE10hipError_tPvRmT1_PNSt15iterator_traitsISY_E10value_typeET2_T3_PNSZ_IS14_E10value_typeET4_jRbjT5_S1A_jjP12ihipStream_tbEUljE_EEESV_SW_SX_S14_S18_S1A_T6_T7_T9_mT8_S1C_bDpT10_ENKUlT_T0_E_clISt17integral_constantIbLb0EES1P_EEDaS1K_S1L_EUlS1K_E_NS1_11comp_targetILNS1_3genE8ELNS1_11target_archE1030ELNS1_3gpuE2ELNS1_3repE0EEENS1_30default_config_static_selectorELNS0_4arch9wavefront6targetE0EEEvSY_.num_agpr, 0
	.set _ZN7rocprim17ROCPRIM_400000_NS6detail17trampoline_kernelINS0_13select_configILj256ELj13ELNS0_17block_load_methodE3ELS4_3ELS4_3ELNS0_20block_scan_algorithmE0ELj4294967295EEENS1_25partition_config_selectorILNS1_17partition_subalgoE3EjNS0_10empty_typeEbEEZZNS1_14partition_implILS8_3ELb0ES6_jNS0_17counting_iteratorIjlEEPS9_SE_NS0_5tupleIJPjSE_EEENSF_IJSE_SE_EEES9_SG_JZNS1_25segmented_radix_sort_implINS0_14default_configELb1EPKaPaPKlPlN2at6native12_GLOBAL__N_18offset_tEEE10hipError_tPvRmT1_PNSt15iterator_traitsISY_E10value_typeET2_T3_PNSZ_IS14_E10value_typeET4_jRbjT5_S1A_jjP12ihipStream_tbEUljE_EEESV_SW_SX_S14_S18_S1A_T6_T7_T9_mT8_S1C_bDpT10_ENKUlT_T0_E_clISt17integral_constantIbLb0EES1P_EEDaS1K_S1L_EUlS1K_E_NS1_11comp_targetILNS1_3genE8ELNS1_11target_archE1030ELNS1_3gpuE2ELNS1_3repE0EEENS1_30default_config_static_selectorELNS0_4arch9wavefront6targetE0EEEvSY_.numbered_sgpr, 0
	.set _ZN7rocprim17ROCPRIM_400000_NS6detail17trampoline_kernelINS0_13select_configILj256ELj13ELNS0_17block_load_methodE3ELS4_3ELS4_3ELNS0_20block_scan_algorithmE0ELj4294967295EEENS1_25partition_config_selectorILNS1_17partition_subalgoE3EjNS0_10empty_typeEbEEZZNS1_14partition_implILS8_3ELb0ES6_jNS0_17counting_iteratorIjlEEPS9_SE_NS0_5tupleIJPjSE_EEENSF_IJSE_SE_EEES9_SG_JZNS1_25segmented_radix_sort_implINS0_14default_configELb1EPKaPaPKlPlN2at6native12_GLOBAL__N_18offset_tEEE10hipError_tPvRmT1_PNSt15iterator_traitsISY_E10value_typeET2_T3_PNSZ_IS14_E10value_typeET4_jRbjT5_S1A_jjP12ihipStream_tbEUljE_EEESV_SW_SX_S14_S18_S1A_T6_T7_T9_mT8_S1C_bDpT10_ENKUlT_T0_E_clISt17integral_constantIbLb0EES1P_EEDaS1K_S1L_EUlS1K_E_NS1_11comp_targetILNS1_3genE8ELNS1_11target_archE1030ELNS1_3gpuE2ELNS1_3repE0EEENS1_30default_config_static_selectorELNS0_4arch9wavefront6targetE0EEEvSY_.num_named_barrier, 0
	.set _ZN7rocprim17ROCPRIM_400000_NS6detail17trampoline_kernelINS0_13select_configILj256ELj13ELNS0_17block_load_methodE3ELS4_3ELS4_3ELNS0_20block_scan_algorithmE0ELj4294967295EEENS1_25partition_config_selectorILNS1_17partition_subalgoE3EjNS0_10empty_typeEbEEZZNS1_14partition_implILS8_3ELb0ES6_jNS0_17counting_iteratorIjlEEPS9_SE_NS0_5tupleIJPjSE_EEENSF_IJSE_SE_EEES9_SG_JZNS1_25segmented_radix_sort_implINS0_14default_configELb1EPKaPaPKlPlN2at6native12_GLOBAL__N_18offset_tEEE10hipError_tPvRmT1_PNSt15iterator_traitsISY_E10value_typeET2_T3_PNSZ_IS14_E10value_typeET4_jRbjT5_S1A_jjP12ihipStream_tbEUljE_EEESV_SW_SX_S14_S18_S1A_T6_T7_T9_mT8_S1C_bDpT10_ENKUlT_T0_E_clISt17integral_constantIbLb0EES1P_EEDaS1K_S1L_EUlS1K_E_NS1_11comp_targetILNS1_3genE8ELNS1_11target_archE1030ELNS1_3gpuE2ELNS1_3repE0EEENS1_30default_config_static_selectorELNS0_4arch9wavefront6targetE0EEEvSY_.private_seg_size, 0
	.set _ZN7rocprim17ROCPRIM_400000_NS6detail17trampoline_kernelINS0_13select_configILj256ELj13ELNS0_17block_load_methodE3ELS4_3ELS4_3ELNS0_20block_scan_algorithmE0ELj4294967295EEENS1_25partition_config_selectorILNS1_17partition_subalgoE3EjNS0_10empty_typeEbEEZZNS1_14partition_implILS8_3ELb0ES6_jNS0_17counting_iteratorIjlEEPS9_SE_NS0_5tupleIJPjSE_EEENSF_IJSE_SE_EEES9_SG_JZNS1_25segmented_radix_sort_implINS0_14default_configELb1EPKaPaPKlPlN2at6native12_GLOBAL__N_18offset_tEEE10hipError_tPvRmT1_PNSt15iterator_traitsISY_E10value_typeET2_T3_PNSZ_IS14_E10value_typeET4_jRbjT5_S1A_jjP12ihipStream_tbEUljE_EEESV_SW_SX_S14_S18_S1A_T6_T7_T9_mT8_S1C_bDpT10_ENKUlT_T0_E_clISt17integral_constantIbLb0EES1P_EEDaS1K_S1L_EUlS1K_E_NS1_11comp_targetILNS1_3genE8ELNS1_11target_archE1030ELNS1_3gpuE2ELNS1_3repE0EEENS1_30default_config_static_selectorELNS0_4arch9wavefront6targetE0EEEvSY_.uses_vcc, 0
	.set _ZN7rocprim17ROCPRIM_400000_NS6detail17trampoline_kernelINS0_13select_configILj256ELj13ELNS0_17block_load_methodE3ELS4_3ELS4_3ELNS0_20block_scan_algorithmE0ELj4294967295EEENS1_25partition_config_selectorILNS1_17partition_subalgoE3EjNS0_10empty_typeEbEEZZNS1_14partition_implILS8_3ELb0ES6_jNS0_17counting_iteratorIjlEEPS9_SE_NS0_5tupleIJPjSE_EEENSF_IJSE_SE_EEES9_SG_JZNS1_25segmented_radix_sort_implINS0_14default_configELb1EPKaPaPKlPlN2at6native12_GLOBAL__N_18offset_tEEE10hipError_tPvRmT1_PNSt15iterator_traitsISY_E10value_typeET2_T3_PNSZ_IS14_E10value_typeET4_jRbjT5_S1A_jjP12ihipStream_tbEUljE_EEESV_SW_SX_S14_S18_S1A_T6_T7_T9_mT8_S1C_bDpT10_ENKUlT_T0_E_clISt17integral_constantIbLb0EES1P_EEDaS1K_S1L_EUlS1K_E_NS1_11comp_targetILNS1_3genE8ELNS1_11target_archE1030ELNS1_3gpuE2ELNS1_3repE0EEENS1_30default_config_static_selectorELNS0_4arch9wavefront6targetE0EEEvSY_.uses_flat_scratch, 0
	.set _ZN7rocprim17ROCPRIM_400000_NS6detail17trampoline_kernelINS0_13select_configILj256ELj13ELNS0_17block_load_methodE3ELS4_3ELS4_3ELNS0_20block_scan_algorithmE0ELj4294967295EEENS1_25partition_config_selectorILNS1_17partition_subalgoE3EjNS0_10empty_typeEbEEZZNS1_14partition_implILS8_3ELb0ES6_jNS0_17counting_iteratorIjlEEPS9_SE_NS0_5tupleIJPjSE_EEENSF_IJSE_SE_EEES9_SG_JZNS1_25segmented_radix_sort_implINS0_14default_configELb1EPKaPaPKlPlN2at6native12_GLOBAL__N_18offset_tEEE10hipError_tPvRmT1_PNSt15iterator_traitsISY_E10value_typeET2_T3_PNSZ_IS14_E10value_typeET4_jRbjT5_S1A_jjP12ihipStream_tbEUljE_EEESV_SW_SX_S14_S18_S1A_T6_T7_T9_mT8_S1C_bDpT10_ENKUlT_T0_E_clISt17integral_constantIbLb0EES1P_EEDaS1K_S1L_EUlS1K_E_NS1_11comp_targetILNS1_3genE8ELNS1_11target_archE1030ELNS1_3gpuE2ELNS1_3repE0EEENS1_30default_config_static_selectorELNS0_4arch9wavefront6targetE0EEEvSY_.has_dyn_sized_stack, 0
	.set _ZN7rocprim17ROCPRIM_400000_NS6detail17trampoline_kernelINS0_13select_configILj256ELj13ELNS0_17block_load_methodE3ELS4_3ELS4_3ELNS0_20block_scan_algorithmE0ELj4294967295EEENS1_25partition_config_selectorILNS1_17partition_subalgoE3EjNS0_10empty_typeEbEEZZNS1_14partition_implILS8_3ELb0ES6_jNS0_17counting_iteratorIjlEEPS9_SE_NS0_5tupleIJPjSE_EEENSF_IJSE_SE_EEES9_SG_JZNS1_25segmented_radix_sort_implINS0_14default_configELb1EPKaPaPKlPlN2at6native12_GLOBAL__N_18offset_tEEE10hipError_tPvRmT1_PNSt15iterator_traitsISY_E10value_typeET2_T3_PNSZ_IS14_E10value_typeET4_jRbjT5_S1A_jjP12ihipStream_tbEUljE_EEESV_SW_SX_S14_S18_S1A_T6_T7_T9_mT8_S1C_bDpT10_ENKUlT_T0_E_clISt17integral_constantIbLb0EES1P_EEDaS1K_S1L_EUlS1K_E_NS1_11comp_targetILNS1_3genE8ELNS1_11target_archE1030ELNS1_3gpuE2ELNS1_3repE0EEENS1_30default_config_static_selectorELNS0_4arch9wavefront6targetE0EEEvSY_.has_recursion, 0
	.set _ZN7rocprim17ROCPRIM_400000_NS6detail17trampoline_kernelINS0_13select_configILj256ELj13ELNS0_17block_load_methodE3ELS4_3ELS4_3ELNS0_20block_scan_algorithmE0ELj4294967295EEENS1_25partition_config_selectorILNS1_17partition_subalgoE3EjNS0_10empty_typeEbEEZZNS1_14partition_implILS8_3ELb0ES6_jNS0_17counting_iteratorIjlEEPS9_SE_NS0_5tupleIJPjSE_EEENSF_IJSE_SE_EEES9_SG_JZNS1_25segmented_radix_sort_implINS0_14default_configELb1EPKaPaPKlPlN2at6native12_GLOBAL__N_18offset_tEEE10hipError_tPvRmT1_PNSt15iterator_traitsISY_E10value_typeET2_T3_PNSZ_IS14_E10value_typeET4_jRbjT5_S1A_jjP12ihipStream_tbEUljE_EEESV_SW_SX_S14_S18_S1A_T6_T7_T9_mT8_S1C_bDpT10_ENKUlT_T0_E_clISt17integral_constantIbLb0EES1P_EEDaS1K_S1L_EUlS1K_E_NS1_11comp_targetILNS1_3genE8ELNS1_11target_archE1030ELNS1_3gpuE2ELNS1_3repE0EEENS1_30default_config_static_selectorELNS0_4arch9wavefront6targetE0EEEvSY_.has_indirect_call, 0
	.section	.AMDGPU.csdata,"",@progbits
; Kernel info:
; codeLenInByte = 0
; TotalNumSgprs: 0
; NumVgprs: 0
; ScratchSize: 0
; MemoryBound: 0
; FloatMode: 240
; IeeeMode: 1
; LDSByteSize: 0 bytes/workgroup (compile time only)
; SGPRBlocks: 0
; VGPRBlocks: 0
; NumSGPRsForWavesPerEU: 1
; NumVGPRsForWavesPerEU: 1
; Occupancy: 16
; WaveLimiterHint : 0
; COMPUTE_PGM_RSRC2:SCRATCH_EN: 0
; COMPUTE_PGM_RSRC2:USER_SGPR: 2
; COMPUTE_PGM_RSRC2:TRAP_HANDLER: 0
; COMPUTE_PGM_RSRC2:TGID_X_EN: 1
; COMPUTE_PGM_RSRC2:TGID_Y_EN: 0
; COMPUTE_PGM_RSRC2:TGID_Z_EN: 0
; COMPUTE_PGM_RSRC2:TIDIG_COMP_CNT: 0
	.section	.text._ZN7rocprim17ROCPRIM_400000_NS6detail17trampoline_kernelINS0_13select_configILj256ELj13ELNS0_17block_load_methodE3ELS4_3ELS4_3ELNS0_20block_scan_algorithmE0ELj4294967295EEENS1_25partition_config_selectorILNS1_17partition_subalgoE3EjNS0_10empty_typeEbEEZZNS1_14partition_implILS8_3ELb0ES6_jNS0_17counting_iteratorIjlEEPS9_SE_NS0_5tupleIJPjSE_EEENSF_IJSE_SE_EEES9_SG_JZNS1_25segmented_radix_sort_implINS0_14default_configELb1EPKaPaPKlPlN2at6native12_GLOBAL__N_18offset_tEEE10hipError_tPvRmT1_PNSt15iterator_traitsISY_E10value_typeET2_T3_PNSZ_IS14_E10value_typeET4_jRbjT5_S1A_jjP12ihipStream_tbEUljE_EEESV_SW_SX_S14_S18_S1A_T6_T7_T9_mT8_S1C_bDpT10_ENKUlT_T0_E_clISt17integral_constantIbLb1EES1P_EEDaS1K_S1L_EUlS1K_E_NS1_11comp_targetILNS1_3genE0ELNS1_11target_archE4294967295ELNS1_3gpuE0ELNS1_3repE0EEENS1_30default_config_static_selectorELNS0_4arch9wavefront6targetE0EEEvSY_,"axG",@progbits,_ZN7rocprim17ROCPRIM_400000_NS6detail17trampoline_kernelINS0_13select_configILj256ELj13ELNS0_17block_load_methodE3ELS4_3ELS4_3ELNS0_20block_scan_algorithmE0ELj4294967295EEENS1_25partition_config_selectorILNS1_17partition_subalgoE3EjNS0_10empty_typeEbEEZZNS1_14partition_implILS8_3ELb0ES6_jNS0_17counting_iteratorIjlEEPS9_SE_NS0_5tupleIJPjSE_EEENSF_IJSE_SE_EEES9_SG_JZNS1_25segmented_radix_sort_implINS0_14default_configELb1EPKaPaPKlPlN2at6native12_GLOBAL__N_18offset_tEEE10hipError_tPvRmT1_PNSt15iterator_traitsISY_E10value_typeET2_T3_PNSZ_IS14_E10value_typeET4_jRbjT5_S1A_jjP12ihipStream_tbEUljE_EEESV_SW_SX_S14_S18_S1A_T6_T7_T9_mT8_S1C_bDpT10_ENKUlT_T0_E_clISt17integral_constantIbLb1EES1P_EEDaS1K_S1L_EUlS1K_E_NS1_11comp_targetILNS1_3genE0ELNS1_11target_archE4294967295ELNS1_3gpuE0ELNS1_3repE0EEENS1_30default_config_static_selectorELNS0_4arch9wavefront6targetE0EEEvSY_,comdat
	.globl	_ZN7rocprim17ROCPRIM_400000_NS6detail17trampoline_kernelINS0_13select_configILj256ELj13ELNS0_17block_load_methodE3ELS4_3ELS4_3ELNS0_20block_scan_algorithmE0ELj4294967295EEENS1_25partition_config_selectorILNS1_17partition_subalgoE3EjNS0_10empty_typeEbEEZZNS1_14partition_implILS8_3ELb0ES6_jNS0_17counting_iteratorIjlEEPS9_SE_NS0_5tupleIJPjSE_EEENSF_IJSE_SE_EEES9_SG_JZNS1_25segmented_radix_sort_implINS0_14default_configELb1EPKaPaPKlPlN2at6native12_GLOBAL__N_18offset_tEEE10hipError_tPvRmT1_PNSt15iterator_traitsISY_E10value_typeET2_T3_PNSZ_IS14_E10value_typeET4_jRbjT5_S1A_jjP12ihipStream_tbEUljE_EEESV_SW_SX_S14_S18_S1A_T6_T7_T9_mT8_S1C_bDpT10_ENKUlT_T0_E_clISt17integral_constantIbLb1EES1P_EEDaS1K_S1L_EUlS1K_E_NS1_11comp_targetILNS1_3genE0ELNS1_11target_archE4294967295ELNS1_3gpuE0ELNS1_3repE0EEENS1_30default_config_static_selectorELNS0_4arch9wavefront6targetE0EEEvSY_ ; -- Begin function _ZN7rocprim17ROCPRIM_400000_NS6detail17trampoline_kernelINS0_13select_configILj256ELj13ELNS0_17block_load_methodE3ELS4_3ELS4_3ELNS0_20block_scan_algorithmE0ELj4294967295EEENS1_25partition_config_selectorILNS1_17partition_subalgoE3EjNS0_10empty_typeEbEEZZNS1_14partition_implILS8_3ELb0ES6_jNS0_17counting_iteratorIjlEEPS9_SE_NS0_5tupleIJPjSE_EEENSF_IJSE_SE_EEES9_SG_JZNS1_25segmented_radix_sort_implINS0_14default_configELb1EPKaPaPKlPlN2at6native12_GLOBAL__N_18offset_tEEE10hipError_tPvRmT1_PNSt15iterator_traitsISY_E10value_typeET2_T3_PNSZ_IS14_E10value_typeET4_jRbjT5_S1A_jjP12ihipStream_tbEUljE_EEESV_SW_SX_S14_S18_S1A_T6_T7_T9_mT8_S1C_bDpT10_ENKUlT_T0_E_clISt17integral_constantIbLb1EES1P_EEDaS1K_S1L_EUlS1K_E_NS1_11comp_targetILNS1_3genE0ELNS1_11target_archE4294967295ELNS1_3gpuE0ELNS1_3repE0EEENS1_30default_config_static_selectorELNS0_4arch9wavefront6targetE0EEEvSY_
	.p2align	8
	.type	_ZN7rocprim17ROCPRIM_400000_NS6detail17trampoline_kernelINS0_13select_configILj256ELj13ELNS0_17block_load_methodE3ELS4_3ELS4_3ELNS0_20block_scan_algorithmE0ELj4294967295EEENS1_25partition_config_selectorILNS1_17partition_subalgoE3EjNS0_10empty_typeEbEEZZNS1_14partition_implILS8_3ELb0ES6_jNS0_17counting_iteratorIjlEEPS9_SE_NS0_5tupleIJPjSE_EEENSF_IJSE_SE_EEES9_SG_JZNS1_25segmented_radix_sort_implINS0_14default_configELb1EPKaPaPKlPlN2at6native12_GLOBAL__N_18offset_tEEE10hipError_tPvRmT1_PNSt15iterator_traitsISY_E10value_typeET2_T3_PNSZ_IS14_E10value_typeET4_jRbjT5_S1A_jjP12ihipStream_tbEUljE_EEESV_SW_SX_S14_S18_S1A_T6_T7_T9_mT8_S1C_bDpT10_ENKUlT_T0_E_clISt17integral_constantIbLb1EES1P_EEDaS1K_S1L_EUlS1K_E_NS1_11comp_targetILNS1_3genE0ELNS1_11target_archE4294967295ELNS1_3gpuE0ELNS1_3repE0EEENS1_30default_config_static_selectorELNS0_4arch9wavefront6targetE0EEEvSY_,@function
_ZN7rocprim17ROCPRIM_400000_NS6detail17trampoline_kernelINS0_13select_configILj256ELj13ELNS0_17block_load_methodE3ELS4_3ELS4_3ELNS0_20block_scan_algorithmE0ELj4294967295EEENS1_25partition_config_selectorILNS1_17partition_subalgoE3EjNS0_10empty_typeEbEEZZNS1_14partition_implILS8_3ELb0ES6_jNS0_17counting_iteratorIjlEEPS9_SE_NS0_5tupleIJPjSE_EEENSF_IJSE_SE_EEES9_SG_JZNS1_25segmented_radix_sort_implINS0_14default_configELb1EPKaPaPKlPlN2at6native12_GLOBAL__N_18offset_tEEE10hipError_tPvRmT1_PNSt15iterator_traitsISY_E10value_typeET2_T3_PNSZ_IS14_E10value_typeET4_jRbjT5_S1A_jjP12ihipStream_tbEUljE_EEESV_SW_SX_S14_S18_S1A_T6_T7_T9_mT8_S1C_bDpT10_ENKUlT_T0_E_clISt17integral_constantIbLb1EES1P_EEDaS1K_S1L_EUlS1K_E_NS1_11comp_targetILNS1_3genE0ELNS1_11target_archE4294967295ELNS1_3gpuE0ELNS1_3repE0EEENS1_30default_config_static_selectorELNS0_4arch9wavefront6targetE0EEEvSY_: ; @_ZN7rocprim17ROCPRIM_400000_NS6detail17trampoline_kernelINS0_13select_configILj256ELj13ELNS0_17block_load_methodE3ELS4_3ELS4_3ELNS0_20block_scan_algorithmE0ELj4294967295EEENS1_25partition_config_selectorILNS1_17partition_subalgoE3EjNS0_10empty_typeEbEEZZNS1_14partition_implILS8_3ELb0ES6_jNS0_17counting_iteratorIjlEEPS9_SE_NS0_5tupleIJPjSE_EEENSF_IJSE_SE_EEES9_SG_JZNS1_25segmented_radix_sort_implINS0_14default_configELb1EPKaPaPKlPlN2at6native12_GLOBAL__N_18offset_tEEE10hipError_tPvRmT1_PNSt15iterator_traitsISY_E10value_typeET2_T3_PNSZ_IS14_E10value_typeET4_jRbjT5_S1A_jjP12ihipStream_tbEUljE_EEESV_SW_SX_S14_S18_S1A_T6_T7_T9_mT8_S1C_bDpT10_ENKUlT_T0_E_clISt17integral_constantIbLb1EES1P_EEDaS1K_S1L_EUlS1K_E_NS1_11comp_targetILNS1_3genE0ELNS1_11target_archE4294967295ELNS1_3gpuE0ELNS1_3repE0EEENS1_30default_config_static_selectorELNS0_4arch9wavefront6targetE0EEEvSY_
; %bb.0:
	.section	.rodata,"a",@progbits
	.p2align	6, 0x0
	.amdhsa_kernel _ZN7rocprim17ROCPRIM_400000_NS6detail17trampoline_kernelINS0_13select_configILj256ELj13ELNS0_17block_load_methodE3ELS4_3ELS4_3ELNS0_20block_scan_algorithmE0ELj4294967295EEENS1_25partition_config_selectorILNS1_17partition_subalgoE3EjNS0_10empty_typeEbEEZZNS1_14partition_implILS8_3ELb0ES6_jNS0_17counting_iteratorIjlEEPS9_SE_NS0_5tupleIJPjSE_EEENSF_IJSE_SE_EEES9_SG_JZNS1_25segmented_radix_sort_implINS0_14default_configELb1EPKaPaPKlPlN2at6native12_GLOBAL__N_18offset_tEEE10hipError_tPvRmT1_PNSt15iterator_traitsISY_E10value_typeET2_T3_PNSZ_IS14_E10value_typeET4_jRbjT5_S1A_jjP12ihipStream_tbEUljE_EEESV_SW_SX_S14_S18_S1A_T6_T7_T9_mT8_S1C_bDpT10_ENKUlT_T0_E_clISt17integral_constantIbLb1EES1P_EEDaS1K_S1L_EUlS1K_E_NS1_11comp_targetILNS1_3genE0ELNS1_11target_archE4294967295ELNS1_3gpuE0ELNS1_3repE0EEENS1_30default_config_static_selectorELNS0_4arch9wavefront6targetE0EEEvSY_
		.amdhsa_group_segment_fixed_size 0
		.amdhsa_private_segment_fixed_size 0
		.amdhsa_kernarg_size 152
		.amdhsa_user_sgpr_count 2
		.amdhsa_user_sgpr_dispatch_ptr 0
		.amdhsa_user_sgpr_queue_ptr 0
		.amdhsa_user_sgpr_kernarg_segment_ptr 1
		.amdhsa_user_sgpr_dispatch_id 0
		.amdhsa_user_sgpr_private_segment_size 0
		.amdhsa_wavefront_size32 1
		.amdhsa_uses_dynamic_stack 0
		.amdhsa_enable_private_segment 0
		.amdhsa_system_sgpr_workgroup_id_x 1
		.amdhsa_system_sgpr_workgroup_id_y 0
		.amdhsa_system_sgpr_workgroup_id_z 0
		.amdhsa_system_sgpr_workgroup_info 0
		.amdhsa_system_vgpr_workitem_id 0
		.amdhsa_next_free_vgpr 1
		.amdhsa_next_free_sgpr 1
		.amdhsa_reserve_vcc 0
		.amdhsa_float_round_mode_32 0
		.amdhsa_float_round_mode_16_64 0
		.amdhsa_float_denorm_mode_32 3
		.amdhsa_float_denorm_mode_16_64 3
		.amdhsa_fp16_overflow 0
		.amdhsa_workgroup_processor_mode 1
		.amdhsa_memory_ordered 1
		.amdhsa_forward_progress 1
		.amdhsa_inst_pref_size 0
		.amdhsa_round_robin_scheduling 0
		.amdhsa_exception_fp_ieee_invalid_op 0
		.amdhsa_exception_fp_denorm_src 0
		.amdhsa_exception_fp_ieee_div_zero 0
		.amdhsa_exception_fp_ieee_overflow 0
		.amdhsa_exception_fp_ieee_underflow 0
		.amdhsa_exception_fp_ieee_inexact 0
		.amdhsa_exception_int_div_zero 0
	.end_amdhsa_kernel
	.section	.text._ZN7rocprim17ROCPRIM_400000_NS6detail17trampoline_kernelINS0_13select_configILj256ELj13ELNS0_17block_load_methodE3ELS4_3ELS4_3ELNS0_20block_scan_algorithmE0ELj4294967295EEENS1_25partition_config_selectorILNS1_17partition_subalgoE3EjNS0_10empty_typeEbEEZZNS1_14partition_implILS8_3ELb0ES6_jNS0_17counting_iteratorIjlEEPS9_SE_NS0_5tupleIJPjSE_EEENSF_IJSE_SE_EEES9_SG_JZNS1_25segmented_radix_sort_implINS0_14default_configELb1EPKaPaPKlPlN2at6native12_GLOBAL__N_18offset_tEEE10hipError_tPvRmT1_PNSt15iterator_traitsISY_E10value_typeET2_T3_PNSZ_IS14_E10value_typeET4_jRbjT5_S1A_jjP12ihipStream_tbEUljE_EEESV_SW_SX_S14_S18_S1A_T6_T7_T9_mT8_S1C_bDpT10_ENKUlT_T0_E_clISt17integral_constantIbLb1EES1P_EEDaS1K_S1L_EUlS1K_E_NS1_11comp_targetILNS1_3genE0ELNS1_11target_archE4294967295ELNS1_3gpuE0ELNS1_3repE0EEENS1_30default_config_static_selectorELNS0_4arch9wavefront6targetE0EEEvSY_,"axG",@progbits,_ZN7rocprim17ROCPRIM_400000_NS6detail17trampoline_kernelINS0_13select_configILj256ELj13ELNS0_17block_load_methodE3ELS4_3ELS4_3ELNS0_20block_scan_algorithmE0ELj4294967295EEENS1_25partition_config_selectorILNS1_17partition_subalgoE3EjNS0_10empty_typeEbEEZZNS1_14partition_implILS8_3ELb0ES6_jNS0_17counting_iteratorIjlEEPS9_SE_NS0_5tupleIJPjSE_EEENSF_IJSE_SE_EEES9_SG_JZNS1_25segmented_radix_sort_implINS0_14default_configELb1EPKaPaPKlPlN2at6native12_GLOBAL__N_18offset_tEEE10hipError_tPvRmT1_PNSt15iterator_traitsISY_E10value_typeET2_T3_PNSZ_IS14_E10value_typeET4_jRbjT5_S1A_jjP12ihipStream_tbEUljE_EEESV_SW_SX_S14_S18_S1A_T6_T7_T9_mT8_S1C_bDpT10_ENKUlT_T0_E_clISt17integral_constantIbLb1EES1P_EEDaS1K_S1L_EUlS1K_E_NS1_11comp_targetILNS1_3genE0ELNS1_11target_archE4294967295ELNS1_3gpuE0ELNS1_3repE0EEENS1_30default_config_static_selectorELNS0_4arch9wavefront6targetE0EEEvSY_,comdat
.Lfunc_end266:
	.size	_ZN7rocprim17ROCPRIM_400000_NS6detail17trampoline_kernelINS0_13select_configILj256ELj13ELNS0_17block_load_methodE3ELS4_3ELS4_3ELNS0_20block_scan_algorithmE0ELj4294967295EEENS1_25partition_config_selectorILNS1_17partition_subalgoE3EjNS0_10empty_typeEbEEZZNS1_14partition_implILS8_3ELb0ES6_jNS0_17counting_iteratorIjlEEPS9_SE_NS0_5tupleIJPjSE_EEENSF_IJSE_SE_EEES9_SG_JZNS1_25segmented_radix_sort_implINS0_14default_configELb1EPKaPaPKlPlN2at6native12_GLOBAL__N_18offset_tEEE10hipError_tPvRmT1_PNSt15iterator_traitsISY_E10value_typeET2_T3_PNSZ_IS14_E10value_typeET4_jRbjT5_S1A_jjP12ihipStream_tbEUljE_EEESV_SW_SX_S14_S18_S1A_T6_T7_T9_mT8_S1C_bDpT10_ENKUlT_T0_E_clISt17integral_constantIbLb1EES1P_EEDaS1K_S1L_EUlS1K_E_NS1_11comp_targetILNS1_3genE0ELNS1_11target_archE4294967295ELNS1_3gpuE0ELNS1_3repE0EEENS1_30default_config_static_selectorELNS0_4arch9wavefront6targetE0EEEvSY_, .Lfunc_end266-_ZN7rocprim17ROCPRIM_400000_NS6detail17trampoline_kernelINS0_13select_configILj256ELj13ELNS0_17block_load_methodE3ELS4_3ELS4_3ELNS0_20block_scan_algorithmE0ELj4294967295EEENS1_25partition_config_selectorILNS1_17partition_subalgoE3EjNS0_10empty_typeEbEEZZNS1_14partition_implILS8_3ELb0ES6_jNS0_17counting_iteratorIjlEEPS9_SE_NS0_5tupleIJPjSE_EEENSF_IJSE_SE_EEES9_SG_JZNS1_25segmented_radix_sort_implINS0_14default_configELb1EPKaPaPKlPlN2at6native12_GLOBAL__N_18offset_tEEE10hipError_tPvRmT1_PNSt15iterator_traitsISY_E10value_typeET2_T3_PNSZ_IS14_E10value_typeET4_jRbjT5_S1A_jjP12ihipStream_tbEUljE_EEESV_SW_SX_S14_S18_S1A_T6_T7_T9_mT8_S1C_bDpT10_ENKUlT_T0_E_clISt17integral_constantIbLb1EES1P_EEDaS1K_S1L_EUlS1K_E_NS1_11comp_targetILNS1_3genE0ELNS1_11target_archE4294967295ELNS1_3gpuE0ELNS1_3repE0EEENS1_30default_config_static_selectorELNS0_4arch9wavefront6targetE0EEEvSY_
                                        ; -- End function
	.set _ZN7rocprim17ROCPRIM_400000_NS6detail17trampoline_kernelINS0_13select_configILj256ELj13ELNS0_17block_load_methodE3ELS4_3ELS4_3ELNS0_20block_scan_algorithmE0ELj4294967295EEENS1_25partition_config_selectorILNS1_17partition_subalgoE3EjNS0_10empty_typeEbEEZZNS1_14partition_implILS8_3ELb0ES6_jNS0_17counting_iteratorIjlEEPS9_SE_NS0_5tupleIJPjSE_EEENSF_IJSE_SE_EEES9_SG_JZNS1_25segmented_radix_sort_implINS0_14default_configELb1EPKaPaPKlPlN2at6native12_GLOBAL__N_18offset_tEEE10hipError_tPvRmT1_PNSt15iterator_traitsISY_E10value_typeET2_T3_PNSZ_IS14_E10value_typeET4_jRbjT5_S1A_jjP12ihipStream_tbEUljE_EEESV_SW_SX_S14_S18_S1A_T6_T7_T9_mT8_S1C_bDpT10_ENKUlT_T0_E_clISt17integral_constantIbLb1EES1P_EEDaS1K_S1L_EUlS1K_E_NS1_11comp_targetILNS1_3genE0ELNS1_11target_archE4294967295ELNS1_3gpuE0ELNS1_3repE0EEENS1_30default_config_static_selectorELNS0_4arch9wavefront6targetE0EEEvSY_.num_vgpr, 0
	.set _ZN7rocprim17ROCPRIM_400000_NS6detail17trampoline_kernelINS0_13select_configILj256ELj13ELNS0_17block_load_methodE3ELS4_3ELS4_3ELNS0_20block_scan_algorithmE0ELj4294967295EEENS1_25partition_config_selectorILNS1_17partition_subalgoE3EjNS0_10empty_typeEbEEZZNS1_14partition_implILS8_3ELb0ES6_jNS0_17counting_iteratorIjlEEPS9_SE_NS0_5tupleIJPjSE_EEENSF_IJSE_SE_EEES9_SG_JZNS1_25segmented_radix_sort_implINS0_14default_configELb1EPKaPaPKlPlN2at6native12_GLOBAL__N_18offset_tEEE10hipError_tPvRmT1_PNSt15iterator_traitsISY_E10value_typeET2_T3_PNSZ_IS14_E10value_typeET4_jRbjT5_S1A_jjP12ihipStream_tbEUljE_EEESV_SW_SX_S14_S18_S1A_T6_T7_T9_mT8_S1C_bDpT10_ENKUlT_T0_E_clISt17integral_constantIbLb1EES1P_EEDaS1K_S1L_EUlS1K_E_NS1_11comp_targetILNS1_3genE0ELNS1_11target_archE4294967295ELNS1_3gpuE0ELNS1_3repE0EEENS1_30default_config_static_selectorELNS0_4arch9wavefront6targetE0EEEvSY_.num_agpr, 0
	.set _ZN7rocprim17ROCPRIM_400000_NS6detail17trampoline_kernelINS0_13select_configILj256ELj13ELNS0_17block_load_methodE3ELS4_3ELS4_3ELNS0_20block_scan_algorithmE0ELj4294967295EEENS1_25partition_config_selectorILNS1_17partition_subalgoE3EjNS0_10empty_typeEbEEZZNS1_14partition_implILS8_3ELb0ES6_jNS0_17counting_iteratorIjlEEPS9_SE_NS0_5tupleIJPjSE_EEENSF_IJSE_SE_EEES9_SG_JZNS1_25segmented_radix_sort_implINS0_14default_configELb1EPKaPaPKlPlN2at6native12_GLOBAL__N_18offset_tEEE10hipError_tPvRmT1_PNSt15iterator_traitsISY_E10value_typeET2_T3_PNSZ_IS14_E10value_typeET4_jRbjT5_S1A_jjP12ihipStream_tbEUljE_EEESV_SW_SX_S14_S18_S1A_T6_T7_T9_mT8_S1C_bDpT10_ENKUlT_T0_E_clISt17integral_constantIbLb1EES1P_EEDaS1K_S1L_EUlS1K_E_NS1_11comp_targetILNS1_3genE0ELNS1_11target_archE4294967295ELNS1_3gpuE0ELNS1_3repE0EEENS1_30default_config_static_selectorELNS0_4arch9wavefront6targetE0EEEvSY_.numbered_sgpr, 0
	.set _ZN7rocprim17ROCPRIM_400000_NS6detail17trampoline_kernelINS0_13select_configILj256ELj13ELNS0_17block_load_methodE3ELS4_3ELS4_3ELNS0_20block_scan_algorithmE0ELj4294967295EEENS1_25partition_config_selectorILNS1_17partition_subalgoE3EjNS0_10empty_typeEbEEZZNS1_14partition_implILS8_3ELb0ES6_jNS0_17counting_iteratorIjlEEPS9_SE_NS0_5tupleIJPjSE_EEENSF_IJSE_SE_EEES9_SG_JZNS1_25segmented_radix_sort_implINS0_14default_configELb1EPKaPaPKlPlN2at6native12_GLOBAL__N_18offset_tEEE10hipError_tPvRmT1_PNSt15iterator_traitsISY_E10value_typeET2_T3_PNSZ_IS14_E10value_typeET4_jRbjT5_S1A_jjP12ihipStream_tbEUljE_EEESV_SW_SX_S14_S18_S1A_T6_T7_T9_mT8_S1C_bDpT10_ENKUlT_T0_E_clISt17integral_constantIbLb1EES1P_EEDaS1K_S1L_EUlS1K_E_NS1_11comp_targetILNS1_3genE0ELNS1_11target_archE4294967295ELNS1_3gpuE0ELNS1_3repE0EEENS1_30default_config_static_selectorELNS0_4arch9wavefront6targetE0EEEvSY_.num_named_barrier, 0
	.set _ZN7rocprim17ROCPRIM_400000_NS6detail17trampoline_kernelINS0_13select_configILj256ELj13ELNS0_17block_load_methodE3ELS4_3ELS4_3ELNS0_20block_scan_algorithmE0ELj4294967295EEENS1_25partition_config_selectorILNS1_17partition_subalgoE3EjNS0_10empty_typeEbEEZZNS1_14partition_implILS8_3ELb0ES6_jNS0_17counting_iteratorIjlEEPS9_SE_NS0_5tupleIJPjSE_EEENSF_IJSE_SE_EEES9_SG_JZNS1_25segmented_radix_sort_implINS0_14default_configELb1EPKaPaPKlPlN2at6native12_GLOBAL__N_18offset_tEEE10hipError_tPvRmT1_PNSt15iterator_traitsISY_E10value_typeET2_T3_PNSZ_IS14_E10value_typeET4_jRbjT5_S1A_jjP12ihipStream_tbEUljE_EEESV_SW_SX_S14_S18_S1A_T6_T7_T9_mT8_S1C_bDpT10_ENKUlT_T0_E_clISt17integral_constantIbLb1EES1P_EEDaS1K_S1L_EUlS1K_E_NS1_11comp_targetILNS1_3genE0ELNS1_11target_archE4294967295ELNS1_3gpuE0ELNS1_3repE0EEENS1_30default_config_static_selectorELNS0_4arch9wavefront6targetE0EEEvSY_.private_seg_size, 0
	.set _ZN7rocprim17ROCPRIM_400000_NS6detail17trampoline_kernelINS0_13select_configILj256ELj13ELNS0_17block_load_methodE3ELS4_3ELS4_3ELNS0_20block_scan_algorithmE0ELj4294967295EEENS1_25partition_config_selectorILNS1_17partition_subalgoE3EjNS0_10empty_typeEbEEZZNS1_14partition_implILS8_3ELb0ES6_jNS0_17counting_iteratorIjlEEPS9_SE_NS0_5tupleIJPjSE_EEENSF_IJSE_SE_EEES9_SG_JZNS1_25segmented_radix_sort_implINS0_14default_configELb1EPKaPaPKlPlN2at6native12_GLOBAL__N_18offset_tEEE10hipError_tPvRmT1_PNSt15iterator_traitsISY_E10value_typeET2_T3_PNSZ_IS14_E10value_typeET4_jRbjT5_S1A_jjP12ihipStream_tbEUljE_EEESV_SW_SX_S14_S18_S1A_T6_T7_T9_mT8_S1C_bDpT10_ENKUlT_T0_E_clISt17integral_constantIbLb1EES1P_EEDaS1K_S1L_EUlS1K_E_NS1_11comp_targetILNS1_3genE0ELNS1_11target_archE4294967295ELNS1_3gpuE0ELNS1_3repE0EEENS1_30default_config_static_selectorELNS0_4arch9wavefront6targetE0EEEvSY_.uses_vcc, 0
	.set _ZN7rocprim17ROCPRIM_400000_NS6detail17trampoline_kernelINS0_13select_configILj256ELj13ELNS0_17block_load_methodE3ELS4_3ELS4_3ELNS0_20block_scan_algorithmE0ELj4294967295EEENS1_25partition_config_selectorILNS1_17partition_subalgoE3EjNS0_10empty_typeEbEEZZNS1_14partition_implILS8_3ELb0ES6_jNS0_17counting_iteratorIjlEEPS9_SE_NS0_5tupleIJPjSE_EEENSF_IJSE_SE_EEES9_SG_JZNS1_25segmented_radix_sort_implINS0_14default_configELb1EPKaPaPKlPlN2at6native12_GLOBAL__N_18offset_tEEE10hipError_tPvRmT1_PNSt15iterator_traitsISY_E10value_typeET2_T3_PNSZ_IS14_E10value_typeET4_jRbjT5_S1A_jjP12ihipStream_tbEUljE_EEESV_SW_SX_S14_S18_S1A_T6_T7_T9_mT8_S1C_bDpT10_ENKUlT_T0_E_clISt17integral_constantIbLb1EES1P_EEDaS1K_S1L_EUlS1K_E_NS1_11comp_targetILNS1_3genE0ELNS1_11target_archE4294967295ELNS1_3gpuE0ELNS1_3repE0EEENS1_30default_config_static_selectorELNS0_4arch9wavefront6targetE0EEEvSY_.uses_flat_scratch, 0
	.set _ZN7rocprim17ROCPRIM_400000_NS6detail17trampoline_kernelINS0_13select_configILj256ELj13ELNS0_17block_load_methodE3ELS4_3ELS4_3ELNS0_20block_scan_algorithmE0ELj4294967295EEENS1_25partition_config_selectorILNS1_17partition_subalgoE3EjNS0_10empty_typeEbEEZZNS1_14partition_implILS8_3ELb0ES6_jNS0_17counting_iteratorIjlEEPS9_SE_NS0_5tupleIJPjSE_EEENSF_IJSE_SE_EEES9_SG_JZNS1_25segmented_radix_sort_implINS0_14default_configELb1EPKaPaPKlPlN2at6native12_GLOBAL__N_18offset_tEEE10hipError_tPvRmT1_PNSt15iterator_traitsISY_E10value_typeET2_T3_PNSZ_IS14_E10value_typeET4_jRbjT5_S1A_jjP12ihipStream_tbEUljE_EEESV_SW_SX_S14_S18_S1A_T6_T7_T9_mT8_S1C_bDpT10_ENKUlT_T0_E_clISt17integral_constantIbLb1EES1P_EEDaS1K_S1L_EUlS1K_E_NS1_11comp_targetILNS1_3genE0ELNS1_11target_archE4294967295ELNS1_3gpuE0ELNS1_3repE0EEENS1_30default_config_static_selectorELNS0_4arch9wavefront6targetE0EEEvSY_.has_dyn_sized_stack, 0
	.set _ZN7rocprim17ROCPRIM_400000_NS6detail17trampoline_kernelINS0_13select_configILj256ELj13ELNS0_17block_load_methodE3ELS4_3ELS4_3ELNS0_20block_scan_algorithmE0ELj4294967295EEENS1_25partition_config_selectorILNS1_17partition_subalgoE3EjNS0_10empty_typeEbEEZZNS1_14partition_implILS8_3ELb0ES6_jNS0_17counting_iteratorIjlEEPS9_SE_NS0_5tupleIJPjSE_EEENSF_IJSE_SE_EEES9_SG_JZNS1_25segmented_radix_sort_implINS0_14default_configELb1EPKaPaPKlPlN2at6native12_GLOBAL__N_18offset_tEEE10hipError_tPvRmT1_PNSt15iterator_traitsISY_E10value_typeET2_T3_PNSZ_IS14_E10value_typeET4_jRbjT5_S1A_jjP12ihipStream_tbEUljE_EEESV_SW_SX_S14_S18_S1A_T6_T7_T9_mT8_S1C_bDpT10_ENKUlT_T0_E_clISt17integral_constantIbLb1EES1P_EEDaS1K_S1L_EUlS1K_E_NS1_11comp_targetILNS1_3genE0ELNS1_11target_archE4294967295ELNS1_3gpuE0ELNS1_3repE0EEENS1_30default_config_static_selectorELNS0_4arch9wavefront6targetE0EEEvSY_.has_recursion, 0
	.set _ZN7rocprim17ROCPRIM_400000_NS6detail17trampoline_kernelINS0_13select_configILj256ELj13ELNS0_17block_load_methodE3ELS4_3ELS4_3ELNS0_20block_scan_algorithmE0ELj4294967295EEENS1_25partition_config_selectorILNS1_17partition_subalgoE3EjNS0_10empty_typeEbEEZZNS1_14partition_implILS8_3ELb0ES6_jNS0_17counting_iteratorIjlEEPS9_SE_NS0_5tupleIJPjSE_EEENSF_IJSE_SE_EEES9_SG_JZNS1_25segmented_radix_sort_implINS0_14default_configELb1EPKaPaPKlPlN2at6native12_GLOBAL__N_18offset_tEEE10hipError_tPvRmT1_PNSt15iterator_traitsISY_E10value_typeET2_T3_PNSZ_IS14_E10value_typeET4_jRbjT5_S1A_jjP12ihipStream_tbEUljE_EEESV_SW_SX_S14_S18_S1A_T6_T7_T9_mT8_S1C_bDpT10_ENKUlT_T0_E_clISt17integral_constantIbLb1EES1P_EEDaS1K_S1L_EUlS1K_E_NS1_11comp_targetILNS1_3genE0ELNS1_11target_archE4294967295ELNS1_3gpuE0ELNS1_3repE0EEENS1_30default_config_static_selectorELNS0_4arch9wavefront6targetE0EEEvSY_.has_indirect_call, 0
	.section	.AMDGPU.csdata,"",@progbits
; Kernel info:
; codeLenInByte = 0
; TotalNumSgprs: 0
; NumVgprs: 0
; ScratchSize: 0
; MemoryBound: 0
; FloatMode: 240
; IeeeMode: 1
; LDSByteSize: 0 bytes/workgroup (compile time only)
; SGPRBlocks: 0
; VGPRBlocks: 0
; NumSGPRsForWavesPerEU: 1
; NumVGPRsForWavesPerEU: 1
; Occupancy: 16
; WaveLimiterHint : 0
; COMPUTE_PGM_RSRC2:SCRATCH_EN: 0
; COMPUTE_PGM_RSRC2:USER_SGPR: 2
; COMPUTE_PGM_RSRC2:TRAP_HANDLER: 0
; COMPUTE_PGM_RSRC2:TGID_X_EN: 1
; COMPUTE_PGM_RSRC2:TGID_Y_EN: 0
; COMPUTE_PGM_RSRC2:TGID_Z_EN: 0
; COMPUTE_PGM_RSRC2:TIDIG_COMP_CNT: 0
	.section	.text._ZN7rocprim17ROCPRIM_400000_NS6detail17trampoline_kernelINS0_13select_configILj256ELj13ELNS0_17block_load_methodE3ELS4_3ELS4_3ELNS0_20block_scan_algorithmE0ELj4294967295EEENS1_25partition_config_selectorILNS1_17partition_subalgoE3EjNS0_10empty_typeEbEEZZNS1_14partition_implILS8_3ELb0ES6_jNS0_17counting_iteratorIjlEEPS9_SE_NS0_5tupleIJPjSE_EEENSF_IJSE_SE_EEES9_SG_JZNS1_25segmented_radix_sort_implINS0_14default_configELb1EPKaPaPKlPlN2at6native12_GLOBAL__N_18offset_tEEE10hipError_tPvRmT1_PNSt15iterator_traitsISY_E10value_typeET2_T3_PNSZ_IS14_E10value_typeET4_jRbjT5_S1A_jjP12ihipStream_tbEUljE_EEESV_SW_SX_S14_S18_S1A_T6_T7_T9_mT8_S1C_bDpT10_ENKUlT_T0_E_clISt17integral_constantIbLb1EES1P_EEDaS1K_S1L_EUlS1K_E_NS1_11comp_targetILNS1_3genE5ELNS1_11target_archE942ELNS1_3gpuE9ELNS1_3repE0EEENS1_30default_config_static_selectorELNS0_4arch9wavefront6targetE0EEEvSY_,"axG",@progbits,_ZN7rocprim17ROCPRIM_400000_NS6detail17trampoline_kernelINS0_13select_configILj256ELj13ELNS0_17block_load_methodE3ELS4_3ELS4_3ELNS0_20block_scan_algorithmE0ELj4294967295EEENS1_25partition_config_selectorILNS1_17partition_subalgoE3EjNS0_10empty_typeEbEEZZNS1_14partition_implILS8_3ELb0ES6_jNS0_17counting_iteratorIjlEEPS9_SE_NS0_5tupleIJPjSE_EEENSF_IJSE_SE_EEES9_SG_JZNS1_25segmented_radix_sort_implINS0_14default_configELb1EPKaPaPKlPlN2at6native12_GLOBAL__N_18offset_tEEE10hipError_tPvRmT1_PNSt15iterator_traitsISY_E10value_typeET2_T3_PNSZ_IS14_E10value_typeET4_jRbjT5_S1A_jjP12ihipStream_tbEUljE_EEESV_SW_SX_S14_S18_S1A_T6_T7_T9_mT8_S1C_bDpT10_ENKUlT_T0_E_clISt17integral_constantIbLb1EES1P_EEDaS1K_S1L_EUlS1K_E_NS1_11comp_targetILNS1_3genE5ELNS1_11target_archE942ELNS1_3gpuE9ELNS1_3repE0EEENS1_30default_config_static_selectorELNS0_4arch9wavefront6targetE0EEEvSY_,comdat
	.globl	_ZN7rocprim17ROCPRIM_400000_NS6detail17trampoline_kernelINS0_13select_configILj256ELj13ELNS0_17block_load_methodE3ELS4_3ELS4_3ELNS0_20block_scan_algorithmE0ELj4294967295EEENS1_25partition_config_selectorILNS1_17partition_subalgoE3EjNS0_10empty_typeEbEEZZNS1_14partition_implILS8_3ELb0ES6_jNS0_17counting_iteratorIjlEEPS9_SE_NS0_5tupleIJPjSE_EEENSF_IJSE_SE_EEES9_SG_JZNS1_25segmented_radix_sort_implINS0_14default_configELb1EPKaPaPKlPlN2at6native12_GLOBAL__N_18offset_tEEE10hipError_tPvRmT1_PNSt15iterator_traitsISY_E10value_typeET2_T3_PNSZ_IS14_E10value_typeET4_jRbjT5_S1A_jjP12ihipStream_tbEUljE_EEESV_SW_SX_S14_S18_S1A_T6_T7_T9_mT8_S1C_bDpT10_ENKUlT_T0_E_clISt17integral_constantIbLb1EES1P_EEDaS1K_S1L_EUlS1K_E_NS1_11comp_targetILNS1_3genE5ELNS1_11target_archE942ELNS1_3gpuE9ELNS1_3repE0EEENS1_30default_config_static_selectorELNS0_4arch9wavefront6targetE0EEEvSY_ ; -- Begin function _ZN7rocprim17ROCPRIM_400000_NS6detail17trampoline_kernelINS0_13select_configILj256ELj13ELNS0_17block_load_methodE3ELS4_3ELS4_3ELNS0_20block_scan_algorithmE0ELj4294967295EEENS1_25partition_config_selectorILNS1_17partition_subalgoE3EjNS0_10empty_typeEbEEZZNS1_14partition_implILS8_3ELb0ES6_jNS0_17counting_iteratorIjlEEPS9_SE_NS0_5tupleIJPjSE_EEENSF_IJSE_SE_EEES9_SG_JZNS1_25segmented_radix_sort_implINS0_14default_configELb1EPKaPaPKlPlN2at6native12_GLOBAL__N_18offset_tEEE10hipError_tPvRmT1_PNSt15iterator_traitsISY_E10value_typeET2_T3_PNSZ_IS14_E10value_typeET4_jRbjT5_S1A_jjP12ihipStream_tbEUljE_EEESV_SW_SX_S14_S18_S1A_T6_T7_T9_mT8_S1C_bDpT10_ENKUlT_T0_E_clISt17integral_constantIbLb1EES1P_EEDaS1K_S1L_EUlS1K_E_NS1_11comp_targetILNS1_3genE5ELNS1_11target_archE942ELNS1_3gpuE9ELNS1_3repE0EEENS1_30default_config_static_selectorELNS0_4arch9wavefront6targetE0EEEvSY_
	.p2align	8
	.type	_ZN7rocprim17ROCPRIM_400000_NS6detail17trampoline_kernelINS0_13select_configILj256ELj13ELNS0_17block_load_methodE3ELS4_3ELS4_3ELNS0_20block_scan_algorithmE0ELj4294967295EEENS1_25partition_config_selectorILNS1_17partition_subalgoE3EjNS0_10empty_typeEbEEZZNS1_14partition_implILS8_3ELb0ES6_jNS0_17counting_iteratorIjlEEPS9_SE_NS0_5tupleIJPjSE_EEENSF_IJSE_SE_EEES9_SG_JZNS1_25segmented_radix_sort_implINS0_14default_configELb1EPKaPaPKlPlN2at6native12_GLOBAL__N_18offset_tEEE10hipError_tPvRmT1_PNSt15iterator_traitsISY_E10value_typeET2_T3_PNSZ_IS14_E10value_typeET4_jRbjT5_S1A_jjP12ihipStream_tbEUljE_EEESV_SW_SX_S14_S18_S1A_T6_T7_T9_mT8_S1C_bDpT10_ENKUlT_T0_E_clISt17integral_constantIbLb1EES1P_EEDaS1K_S1L_EUlS1K_E_NS1_11comp_targetILNS1_3genE5ELNS1_11target_archE942ELNS1_3gpuE9ELNS1_3repE0EEENS1_30default_config_static_selectorELNS0_4arch9wavefront6targetE0EEEvSY_,@function
_ZN7rocprim17ROCPRIM_400000_NS6detail17trampoline_kernelINS0_13select_configILj256ELj13ELNS0_17block_load_methodE3ELS4_3ELS4_3ELNS0_20block_scan_algorithmE0ELj4294967295EEENS1_25partition_config_selectorILNS1_17partition_subalgoE3EjNS0_10empty_typeEbEEZZNS1_14partition_implILS8_3ELb0ES6_jNS0_17counting_iteratorIjlEEPS9_SE_NS0_5tupleIJPjSE_EEENSF_IJSE_SE_EEES9_SG_JZNS1_25segmented_radix_sort_implINS0_14default_configELb1EPKaPaPKlPlN2at6native12_GLOBAL__N_18offset_tEEE10hipError_tPvRmT1_PNSt15iterator_traitsISY_E10value_typeET2_T3_PNSZ_IS14_E10value_typeET4_jRbjT5_S1A_jjP12ihipStream_tbEUljE_EEESV_SW_SX_S14_S18_S1A_T6_T7_T9_mT8_S1C_bDpT10_ENKUlT_T0_E_clISt17integral_constantIbLb1EES1P_EEDaS1K_S1L_EUlS1K_E_NS1_11comp_targetILNS1_3genE5ELNS1_11target_archE942ELNS1_3gpuE9ELNS1_3repE0EEENS1_30default_config_static_selectorELNS0_4arch9wavefront6targetE0EEEvSY_: ; @_ZN7rocprim17ROCPRIM_400000_NS6detail17trampoline_kernelINS0_13select_configILj256ELj13ELNS0_17block_load_methodE3ELS4_3ELS4_3ELNS0_20block_scan_algorithmE0ELj4294967295EEENS1_25partition_config_selectorILNS1_17partition_subalgoE3EjNS0_10empty_typeEbEEZZNS1_14partition_implILS8_3ELb0ES6_jNS0_17counting_iteratorIjlEEPS9_SE_NS0_5tupleIJPjSE_EEENSF_IJSE_SE_EEES9_SG_JZNS1_25segmented_radix_sort_implINS0_14default_configELb1EPKaPaPKlPlN2at6native12_GLOBAL__N_18offset_tEEE10hipError_tPvRmT1_PNSt15iterator_traitsISY_E10value_typeET2_T3_PNSZ_IS14_E10value_typeET4_jRbjT5_S1A_jjP12ihipStream_tbEUljE_EEESV_SW_SX_S14_S18_S1A_T6_T7_T9_mT8_S1C_bDpT10_ENKUlT_T0_E_clISt17integral_constantIbLb1EES1P_EEDaS1K_S1L_EUlS1K_E_NS1_11comp_targetILNS1_3genE5ELNS1_11target_archE942ELNS1_3gpuE9ELNS1_3repE0EEENS1_30default_config_static_selectorELNS0_4arch9wavefront6targetE0EEEvSY_
; %bb.0:
	.section	.rodata,"a",@progbits
	.p2align	6, 0x0
	.amdhsa_kernel _ZN7rocprim17ROCPRIM_400000_NS6detail17trampoline_kernelINS0_13select_configILj256ELj13ELNS0_17block_load_methodE3ELS4_3ELS4_3ELNS0_20block_scan_algorithmE0ELj4294967295EEENS1_25partition_config_selectorILNS1_17partition_subalgoE3EjNS0_10empty_typeEbEEZZNS1_14partition_implILS8_3ELb0ES6_jNS0_17counting_iteratorIjlEEPS9_SE_NS0_5tupleIJPjSE_EEENSF_IJSE_SE_EEES9_SG_JZNS1_25segmented_radix_sort_implINS0_14default_configELb1EPKaPaPKlPlN2at6native12_GLOBAL__N_18offset_tEEE10hipError_tPvRmT1_PNSt15iterator_traitsISY_E10value_typeET2_T3_PNSZ_IS14_E10value_typeET4_jRbjT5_S1A_jjP12ihipStream_tbEUljE_EEESV_SW_SX_S14_S18_S1A_T6_T7_T9_mT8_S1C_bDpT10_ENKUlT_T0_E_clISt17integral_constantIbLb1EES1P_EEDaS1K_S1L_EUlS1K_E_NS1_11comp_targetILNS1_3genE5ELNS1_11target_archE942ELNS1_3gpuE9ELNS1_3repE0EEENS1_30default_config_static_selectorELNS0_4arch9wavefront6targetE0EEEvSY_
		.amdhsa_group_segment_fixed_size 0
		.amdhsa_private_segment_fixed_size 0
		.amdhsa_kernarg_size 152
		.amdhsa_user_sgpr_count 2
		.amdhsa_user_sgpr_dispatch_ptr 0
		.amdhsa_user_sgpr_queue_ptr 0
		.amdhsa_user_sgpr_kernarg_segment_ptr 1
		.amdhsa_user_sgpr_dispatch_id 0
		.amdhsa_user_sgpr_private_segment_size 0
		.amdhsa_wavefront_size32 1
		.amdhsa_uses_dynamic_stack 0
		.amdhsa_enable_private_segment 0
		.amdhsa_system_sgpr_workgroup_id_x 1
		.amdhsa_system_sgpr_workgroup_id_y 0
		.amdhsa_system_sgpr_workgroup_id_z 0
		.amdhsa_system_sgpr_workgroup_info 0
		.amdhsa_system_vgpr_workitem_id 0
		.amdhsa_next_free_vgpr 1
		.amdhsa_next_free_sgpr 1
		.amdhsa_reserve_vcc 0
		.amdhsa_float_round_mode_32 0
		.amdhsa_float_round_mode_16_64 0
		.amdhsa_float_denorm_mode_32 3
		.amdhsa_float_denorm_mode_16_64 3
		.amdhsa_fp16_overflow 0
		.amdhsa_workgroup_processor_mode 1
		.amdhsa_memory_ordered 1
		.amdhsa_forward_progress 1
		.amdhsa_inst_pref_size 0
		.amdhsa_round_robin_scheduling 0
		.amdhsa_exception_fp_ieee_invalid_op 0
		.amdhsa_exception_fp_denorm_src 0
		.amdhsa_exception_fp_ieee_div_zero 0
		.amdhsa_exception_fp_ieee_overflow 0
		.amdhsa_exception_fp_ieee_underflow 0
		.amdhsa_exception_fp_ieee_inexact 0
		.amdhsa_exception_int_div_zero 0
	.end_amdhsa_kernel
	.section	.text._ZN7rocprim17ROCPRIM_400000_NS6detail17trampoline_kernelINS0_13select_configILj256ELj13ELNS0_17block_load_methodE3ELS4_3ELS4_3ELNS0_20block_scan_algorithmE0ELj4294967295EEENS1_25partition_config_selectorILNS1_17partition_subalgoE3EjNS0_10empty_typeEbEEZZNS1_14partition_implILS8_3ELb0ES6_jNS0_17counting_iteratorIjlEEPS9_SE_NS0_5tupleIJPjSE_EEENSF_IJSE_SE_EEES9_SG_JZNS1_25segmented_radix_sort_implINS0_14default_configELb1EPKaPaPKlPlN2at6native12_GLOBAL__N_18offset_tEEE10hipError_tPvRmT1_PNSt15iterator_traitsISY_E10value_typeET2_T3_PNSZ_IS14_E10value_typeET4_jRbjT5_S1A_jjP12ihipStream_tbEUljE_EEESV_SW_SX_S14_S18_S1A_T6_T7_T9_mT8_S1C_bDpT10_ENKUlT_T0_E_clISt17integral_constantIbLb1EES1P_EEDaS1K_S1L_EUlS1K_E_NS1_11comp_targetILNS1_3genE5ELNS1_11target_archE942ELNS1_3gpuE9ELNS1_3repE0EEENS1_30default_config_static_selectorELNS0_4arch9wavefront6targetE0EEEvSY_,"axG",@progbits,_ZN7rocprim17ROCPRIM_400000_NS6detail17trampoline_kernelINS0_13select_configILj256ELj13ELNS0_17block_load_methodE3ELS4_3ELS4_3ELNS0_20block_scan_algorithmE0ELj4294967295EEENS1_25partition_config_selectorILNS1_17partition_subalgoE3EjNS0_10empty_typeEbEEZZNS1_14partition_implILS8_3ELb0ES6_jNS0_17counting_iteratorIjlEEPS9_SE_NS0_5tupleIJPjSE_EEENSF_IJSE_SE_EEES9_SG_JZNS1_25segmented_radix_sort_implINS0_14default_configELb1EPKaPaPKlPlN2at6native12_GLOBAL__N_18offset_tEEE10hipError_tPvRmT1_PNSt15iterator_traitsISY_E10value_typeET2_T3_PNSZ_IS14_E10value_typeET4_jRbjT5_S1A_jjP12ihipStream_tbEUljE_EEESV_SW_SX_S14_S18_S1A_T6_T7_T9_mT8_S1C_bDpT10_ENKUlT_T0_E_clISt17integral_constantIbLb1EES1P_EEDaS1K_S1L_EUlS1K_E_NS1_11comp_targetILNS1_3genE5ELNS1_11target_archE942ELNS1_3gpuE9ELNS1_3repE0EEENS1_30default_config_static_selectorELNS0_4arch9wavefront6targetE0EEEvSY_,comdat
.Lfunc_end267:
	.size	_ZN7rocprim17ROCPRIM_400000_NS6detail17trampoline_kernelINS0_13select_configILj256ELj13ELNS0_17block_load_methodE3ELS4_3ELS4_3ELNS0_20block_scan_algorithmE0ELj4294967295EEENS1_25partition_config_selectorILNS1_17partition_subalgoE3EjNS0_10empty_typeEbEEZZNS1_14partition_implILS8_3ELb0ES6_jNS0_17counting_iteratorIjlEEPS9_SE_NS0_5tupleIJPjSE_EEENSF_IJSE_SE_EEES9_SG_JZNS1_25segmented_radix_sort_implINS0_14default_configELb1EPKaPaPKlPlN2at6native12_GLOBAL__N_18offset_tEEE10hipError_tPvRmT1_PNSt15iterator_traitsISY_E10value_typeET2_T3_PNSZ_IS14_E10value_typeET4_jRbjT5_S1A_jjP12ihipStream_tbEUljE_EEESV_SW_SX_S14_S18_S1A_T6_T7_T9_mT8_S1C_bDpT10_ENKUlT_T0_E_clISt17integral_constantIbLb1EES1P_EEDaS1K_S1L_EUlS1K_E_NS1_11comp_targetILNS1_3genE5ELNS1_11target_archE942ELNS1_3gpuE9ELNS1_3repE0EEENS1_30default_config_static_selectorELNS0_4arch9wavefront6targetE0EEEvSY_, .Lfunc_end267-_ZN7rocprim17ROCPRIM_400000_NS6detail17trampoline_kernelINS0_13select_configILj256ELj13ELNS0_17block_load_methodE3ELS4_3ELS4_3ELNS0_20block_scan_algorithmE0ELj4294967295EEENS1_25partition_config_selectorILNS1_17partition_subalgoE3EjNS0_10empty_typeEbEEZZNS1_14partition_implILS8_3ELb0ES6_jNS0_17counting_iteratorIjlEEPS9_SE_NS0_5tupleIJPjSE_EEENSF_IJSE_SE_EEES9_SG_JZNS1_25segmented_radix_sort_implINS0_14default_configELb1EPKaPaPKlPlN2at6native12_GLOBAL__N_18offset_tEEE10hipError_tPvRmT1_PNSt15iterator_traitsISY_E10value_typeET2_T3_PNSZ_IS14_E10value_typeET4_jRbjT5_S1A_jjP12ihipStream_tbEUljE_EEESV_SW_SX_S14_S18_S1A_T6_T7_T9_mT8_S1C_bDpT10_ENKUlT_T0_E_clISt17integral_constantIbLb1EES1P_EEDaS1K_S1L_EUlS1K_E_NS1_11comp_targetILNS1_3genE5ELNS1_11target_archE942ELNS1_3gpuE9ELNS1_3repE0EEENS1_30default_config_static_selectorELNS0_4arch9wavefront6targetE0EEEvSY_
                                        ; -- End function
	.set _ZN7rocprim17ROCPRIM_400000_NS6detail17trampoline_kernelINS0_13select_configILj256ELj13ELNS0_17block_load_methodE3ELS4_3ELS4_3ELNS0_20block_scan_algorithmE0ELj4294967295EEENS1_25partition_config_selectorILNS1_17partition_subalgoE3EjNS0_10empty_typeEbEEZZNS1_14partition_implILS8_3ELb0ES6_jNS0_17counting_iteratorIjlEEPS9_SE_NS0_5tupleIJPjSE_EEENSF_IJSE_SE_EEES9_SG_JZNS1_25segmented_radix_sort_implINS0_14default_configELb1EPKaPaPKlPlN2at6native12_GLOBAL__N_18offset_tEEE10hipError_tPvRmT1_PNSt15iterator_traitsISY_E10value_typeET2_T3_PNSZ_IS14_E10value_typeET4_jRbjT5_S1A_jjP12ihipStream_tbEUljE_EEESV_SW_SX_S14_S18_S1A_T6_T7_T9_mT8_S1C_bDpT10_ENKUlT_T0_E_clISt17integral_constantIbLb1EES1P_EEDaS1K_S1L_EUlS1K_E_NS1_11comp_targetILNS1_3genE5ELNS1_11target_archE942ELNS1_3gpuE9ELNS1_3repE0EEENS1_30default_config_static_selectorELNS0_4arch9wavefront6targetE0EEEvSY_.num_vgpr, 0
	.set _ZN7rocprim17ROCPRIM_400000_NS6detail17trampoline_kernelINS0_13select_configILj256ELj13ELNS0_17block_load_methodE3ELS4_3ELS4_3ELNS0_20block_scan_algorithmE0ELj4294967295EEENS1_25partition_config_selectorILNS1_17partition_subalgoE3EjNS0_10empty_typeEbEEZZNS1_14partition_implILS8_3ELb0ES6_jNS0_17counting_iteratorIjlEEPS9_SE_NS0_5tupleIJPjSE_EEENSF_IJSE_SE_EEES9_SG_JZNS1_25segmented_radix_sort_implINS0_14default_configELb1EPKaPaPKlPlN2at6native12_GLOBAL__N_18offset_tEEE10hipError_tPvRmT1_PNSt15iterator_traitsISY_E10value_typeET2_T3_PNSZ_IS14_E10value_typeET4_jRbjT5_S1A_jjP12ihipStream_tbEUljE_EEESV_SW_SX_S14_S18_S1A_T6_T7_T9_mT8_S1C_bDpT10_ENKUlT_T0_E_clISt17integral_constantIbLb1EES1P_EEDaS1K_S1L_EUlS1K_E_NS1_11comp_targetILNS1_3genE5ELNS1_11target_archE942ELNS1_3gpuE9ELNS1_3repE0EEENS1_30default_config_static_selectorELNS0_4arch9wavefront6targetE0EEEvSY_.num_agpr, 0
	.set _ZN7rocprim17ROCPRIM_400000_NS6detail17trampoline_kernelINS0_13select_configILj256ELj13ELNS0_17block_load_methodE3ELS4_3ELS4_3ELNS0_20block_scan_algorithmE0ELj4294967295EEENS1_25partition_config_selectorILNS1_17partition_subalgoE3EjNS0_10empty_typeEbEEZZNS1_14partition_implILS8_3ELb0ES6_jNS0_17counting_iteratorIjlEEPS9_SE_NS0_5tupleIJPjSE_EEENSF_IJSE_SE_EEES9_SG_JZNS1_25segmented_radix_sort_implINS0_14default_configELb1EPKaPaPKlPlN2at6native12_GLOBAL__N_18offset_tEEE10hipError_tPvRmT1_PNSt15iterator_traitsISY_E10value_typeET2_T3_PNSZ_IS14_E10value_typeET4_jRbjT5_S1A_jjP12ihipStream_tbEUljE_EEESV_SW_SX_S14_S18_S1A_T6_T7_T9_mT8_S1C_bDpT10_ENKUlT_T0_E_clISt17integral_constantIbLb1EES1P_EEDaS1K_S1L_EUlS1K_E_NS1_11comp_targetILNS1_3genE5ELNS1_11target_archE942ELNS1_3gpuE9ELNS1_3repE0EEENS1_30default_config_static_selectorELNS0_4arch9wavefront6targetE0EEEvSY_.numbered_sgpr, 0
	.set _ZN7rocprim17ROCPRIM_400000_NS6detail17trampoline_kernelINS0_13select_configILj256ELj13ELNS0_17block_load_methodE3ELS4_3ELS4_3ELNS0_20block_scan_algorithmE0ELj4294967295EEENS1_25partition_config_selectorILNS1_17partition_subalgoE3EjNS0_10empty_typeEbEEZZNS1_14partition_implILS8_3ELb0ES6_jNS0_17counting_iteratorIjlEEPS9_SE_NS0_5tupleIJPjSE_EEENSF_IJSE_SE_EEES9_SG_JZNS1_25segmented_radix_sort_implINS0_14default_configELb1EPKaPaPKlPlN2at6native12_GLOBAL__N_18offset_tEEE10hipError_tPvRmT1_PNSt15iterator_traitsISY_E10value_typeET2_T3_PNSZ_IS14_E10value_typeET4_jRbjT5_S1A_jjP12ihipStream_tbEUljE_EEESV_SW_SX_S14_S18_S1A_T6_T7_T9_mT8_S1C_bDpT10_ENKUlT_T0_E_clISt17integral_constantIbLb1EES1P_EEDaS1K_S1L_EUlS1K_E_NS1_11comp_targetILNS1_3genE5ELNS1_11target_archE942ELNS1_3gpuE9ELNS1_3repE0EEENS1_30default_config_static_selectorELNS0_4arch9wavefront6targetE0EEEvSY_.num_named_barrier, 0
	.set _ZN7rocprim17ROCPRIM_400000_NS6detail17trampoline_kernelINS0_13select_configILj256ELj13ELNS0_17block_load_methodE3ELS4_3ELS4_3ELNS0_20block_scan_algorithmE0ELj4294967295EEENS1_25partition_config_selectorILNS1_17partition_subalgoE3EjNS0_10empty_typeEbEEZZNS1_14partition_implILS8_3ELb0ES6_jNS0_17counting_iteratorIjlEEPS9_SE_NS0_5tupleIJPjSE_EEENSF_IJSE_SE_EEES9_SG_JZNS1_25segmented_radix_sort_implINS0_14default_configELb1EPKaPaPKlPlN2at6native12_GLOBAL__N_18offset_tEEE10hipError_tPvRmT1_PNSt15iterator_traitsISY_E10value_typeET2_T3_PNSZ_IS14_E10value_typeET4_jRbjT5_S1A_jjP12ihipStream_tbEUljE_EEESV_SW_SX_S14_S18_S1A_T6_T7_T9_mT8_S1C_bDpT10_ENKUlT_T0_E_clISt17integral_constantIbLb1EES1P_EEDaS1K_S1L_EUlS1K_E_NS1_11comp_targetILNS1_3genE5ELNS1_11target_archE942ELNS1_3gpuE9ELNS1_3repE0EEENS1_30default_config_static_selectorELNS0_4arch9wavefront6targetE0EEEvSY_.private_seg_size, 0
	.set _ZN7rocprim17ROCPRIM_400000_NS6detail17trampoline_kernelINS0_13select_configILj256ELj13ELNS0_17block_load_methodE3ELS4_3ELS4_3ELNS0_20block_scan_algorithmE0ELj4294967295EEENS1_25partition_config_selectorILNS1_17partition_subalgoE3EjNS0_10empty_typeEbEEZZNS1_14partition_implILS8_3ELb0ES6_jNS0_17counting_iteratorIjlEEPS9_SE_NS0_5tupleIJPjSE_EEENSF_IJSE_SE_EEES9_SG_JZNS1_25segmented_radix_sort_implINS0_14default_configELb1EPKaPaPKlPlN2at6native12_GLOBAL__N_18offset_tEEE10hipError_tPvRmT1_PNSt15iterator_traitsISY_E10value_typeET2_T3_PNSZ_IS14_E10value_typeET4_jRbjT5_S1A_jjP12ihipStream_tbEUljE_EEESV_SW_SX_S14_S18_S1A_T6_T7_T9_mT8_S1C_bDpT10_ENKUlT_T0_E_clISt17integral_constantIbLb1EES1P_EEDaS1K_S1L_EUlS1K_E_NS1_11comp_targetILNS1_3genE5ELNS1_11target_archE942ELNS1_3gpuE9ELNS1_3repE0EEENS1_30default_config_static_selectorELNS0_4arch9wavefront6targetE0EEEvSY_.uses_vcc, 0
	.set _ZN7rocprim17ROCPRIM_400000_NS6detail17trampoline_kernelINS0_13select_configILj256ELj13ELNS0_17block_load_methodE3ELS4_3ELS4_3ELNS0_20block_scan_algorithmE0ELj4294967295EEENS1_25partition_config_selectorILNS1_17partition_subalgoE3EjNS0_10empty_typeEbEEZZNS1_14partition_implILS8_3ELb0ES6_jNS0_17counting_iteratorIjlEEPS9_SE_NS0_5tupleIJPjSE_EEENSF_IJSE_SE_EEES9_SG_JZNS1_25segmented_radix_sort_implINS0_14default_configELb1EPKaPaPKlPlN2at6native12_GLOBAL__N_18offset_tEEE10hipError_tPvRmT1_PNSt15iterator_traitsISY_E10value_typeET2_T3_PNSZ_IS14_E10value_typeET4_jRbjT5_S1A_jjP12ihipStream_tbEUljE_EEESV_SW_SX_S14_S18_S1A_T6_T7_T9_mT8_S1C_bDpT10_ENKUlT_T0_E_clISt17integral_constantIbLb1EES1P_EEDaS1K_S1L_EUlS1K_E_NS1_11comp_targetILNS1_3genE5ELNS1_11target_archE942ELNS1_3gpuE9ELNS1_3repE0EEENS1_30default_config_static_selectorELNS0_4arch9wavefront6targetE0EEEvSY_.uses_flat_scratch, 0
	.set _ZN7rocprim17ROCPRIM_400000_NS6detail17trampoline_kernelINS0_13select_configILj256ELj13ELNS0_17block_load_methodE3ELS4_3ELS4_3ELNS0_20block_scan_algorithmE0ELj4294967295EEENS1_25partition_config_selectorILNS1_17partition_subalgoE3EjNS0_10empty_typeEbEEZZNS1_14partition_implILS8_3ELb0ES6_jNS0_17counting_iteratorIjlEEPS9_SE_NS0_5tupleIJPjSE_EEENSF_IJSE_SE_EEES9_SG_JZNS1_25segmented_radix_sort_implINS0_14default_configELb1EPKaPaPKlPlN2at6native12_GLOBAL__N_18offset_tEEE10hipError_tPvRmT1_PNSt15iterator_traitsISY_E10value_typeET2_T3_PNSZ_IS14_E10value_typeET4_jRbjT5_S1A_jjP12ihipStream_tbEUljE_EEESV_SW_SX_S14_S18_S1A_T6_T7_T9_mT8_S1C_bDpT10_ENKUlT_T0_E_clISt17integral_constantIbLb1EES1P_EEDaS1K_S1L_EUlS1K_E_NS1_11comp_targetILNS1_3genE5ELNS1_11target_archE942ELNS1_3gpuE9ELNS1_3repE0EEENS1_30default_config_static_selectorELNS0_4arch9wavefront6targetE0EEEvSY_.has_dyn_sized_stack, 0
	.set _ZN7rocprim17ROCPRIM_400000_NS6detail17trampoline_kernelINS0_13select_configILj256ELj13ELNS0_17block_load_methodE3ELS4_3ELS4_3ELNS0_20block_scan_algorithmE0ELj4294967295EEENS1_25partition_config_selectorILNS1_17partition_subalgoE3EjNS0_10empty_typeEbEEZZNS1_14partition_implILS8_3ELb0ES6_jNS0_17counting_iteratorIjlEEPS9_SE_NS0_5tupleIJPjSE_EEENSF_IJSE_SE_EEES9_SG_JZNS1_25segmented_radix_sort_implINS0_14default_configELb1EPKaPaPKlPlN2at6native12_GLOBAL__N_18offset_tEEE10hipError_tPvRmT1_PNSt15iterator_traitsISY_E10value_typeET2_T3_PNSZ_IS14_E10value_typeET4_jRbjT5_S1A_jjP12ihipStream_tbEUljE_EEESV_SW_SX_S14_S18_S1A_T6_T7_T9_mT8_S1C_bDpT10_ENKUlT_T0_E_clISt17integral_constantIbLb1EES1P_EEDaS1K_S1L_EUlS1K_E_NS1_11comp_targetILNS1_3genE5ELNS1_11target_archE942ELNS1_3gpuE9ELNS1_3repE0EEENS1_30default_config_static_selectorELNS0_4arch9wavefront6targetE0EEEvSY_.has_recursion, 0
	.set _ZN7rocprim17ROCPRIM_400000_NS6detail17trampoline_kernelINS0_13select_configILj256ELj13ELNS0_17block_load_methodE3ELS4_3ELS4_3ELNS0_20block_scan_algorithmE0ELj4294967295EEENS1_25partition_config_selectorILNS1_17partition_subalgoE3EjNS0_10empty_typeEbEEZZNS1_14partition_implILS8_3ELb0ES6_jNS0_17counting_iteratorIjlEEPS9_SE_NS0_5tupleIJPjSE_EEENSF_IJSE_SE_EEES9_SG_JZNS1_25segmented_radix_sort_implINS0_14default_configELb1EPKaPaPKlPlN2at6native12_GLOBAL__N_18offset_tEEE10hipError_tPvRmT1_PNSt15iterator_traitsISY_E10value_typeET2_T3_PNSZ_IS14_E10value_typeET4_jRbjT5_S1A_jjP12ihipStream_tbEUljE_EEESV_SW_SX_S14_S18_S1A_T6_T7_T9_mT8_S1C_bDpT10_ENKUlT_T0_E_clISt17integral_constantIbLb1EES1P_EEDaS1K_S1L_EUlS1K_E_NS1_11comp_targetILNS1_3genE5ELNS1_11target_archE942ELNS1_3gpuE9ELNS1_3repE0EEENS1_30default_config_static_selectorELNS0_4arch9wavefront6targetE0EEEvSY_.has_indirect_call, 0
	.section	.AMDGPU.csdata,"",@progbits
; Kernel info:
; codeLenInByte = 0
; TotalNumSgprs: 0
; NumVgprs: 0
; ScratchSize: 0
; MemoryBound: 0
; FloatMode: 240
; IeeeMode: 1
; LDSByteSize: 0 bytes/workgroup (compile time only)
; SGPRBlocks: 0
; VGPRBlocks: 0
; NumSGPRsForWavesPerEU: 1
; NumVGPRsForWavesPerEU: 1
; Occupancy: 16
; WaveLimiterHint : 0
; COMPUTE_PGM_RSRC2:SCRATCH_EN: 0
; COMPUTE_PGM_RSRC2:USER_SGPR: 2
; COMPUTE_PGM_RSRC2:TRAP_HANDLER: 0
; COMPUTE_PGM_RSRC2:TGID_X_EN: 1
; COMPUTE_PGM_RSRC2:TGID_Y_EN: 0
; COMPUTE_PGM_RSRC2:TGID_Z_EN: 0
; COMPUTE_PGM_RSRC2:TIDIG_COMP_CNT: 0
	.section	.text._ZN7rocprim17ROCPRIM_400000_NS6detail17trampoline_kernelINS0_13select_configILj256ELj13ELNS0_17block_load_methodE3ELS4_3ELS4_3ELNS0_20block_scan_algorithmE0ELj4294967295EEENS1_25partition_config_selectorILNS1_17partition_subalgoE3EjNS0_10empty_typeEbEEZZNS1_14partition_implILS8_3ELb0ES6_jNS0_17counting_iteratorIjlEEPS9_SE_NS0_5tupleIJPjSE_EEENSF_IJSE_SE_EEES9_SG_JZNS1_25segmented_radix_sort_implINS0_14default_configELb1EPKaPaPKlPlN2at6native12_GLOBAL__N_18offset_tEEE10hipError_tPvRmT1_PNSt15iterator_traitsISY_E10value_typeET2_T3_PNSZ_IS14_E10value_typeET4_jRbjT5_S1A_jjP12ihipStream_tbEUljE_EEESV_SW_SX_S14_S18_S1A_T6_T7_T9_mT8_S1C_bDpT10_ENKUlT_T0_E_clISt17integral_constantIbLb1EES1P_EEDaS1K_S1L_EUlS1K_E_NS1_11comp_targetILNS1_3genE4ELNS1_11target_archE910ELNS1_3gpuE8ELNS1_3repE0EEENS1_30default_config_static_selectorELNS0_4arch9wavefront6targetE0EEEvSY_,"axG",@progbits,_ZN7rocprim17ROCPRIM_400000_NS6detail17trampoline_kernelINS0_13select_configILj256ELj13ELNS0_17block_load_methodE3ELS4_3ELS4_3ELNS0_20block_scan_algorithmE0ELj4294967295EEENS1_25partition_config_selectorILNS1_17partition_subalgoE3EjNS0_10empty_typeEbEEZZNS1_14partition_implILS8_3ELb0ES6_jNS0_17counting_iteratorIjlEEPS9_SE_NS0_5tupleIJPjSE_EEENSF_IJSE_SE_EEES9_SG_JZNS1_25segmented_radix_sort_implINS0_14default_configELb1EPKaPaPKlPlN2at6native12_GLOBAL__N_18offset_tEEE10hipError_tPvRmT1_PNSt15iterator_traitsISY_E10value_typeET2_T3_PNSZ_IS14_E10value_typeET4_jRbjT5_S1A_jjP12ihipStream_tbEUljE_EEESV_SW_SX_S14_S18_S1A_T6_T7_T9_mT8_S1C_bDpT10_ENKUlT_T0_E_clISt17integral_constantIbLb1EES1P_EEDaS1K_S1L_EUlS1K_E_NS1_11comp_targetILNS1_3genE4ELNS1_11target_archE910ELNS1_3gpuE8ELNS1_3repE0EEENS1_30default_config_static_selectorELNS0_4arch9wavefront6targetE0EEEvSY_,comdat
	.globl	_ZN7rocprim17ROCPRIM_400000_NS6detail17trampoline_kernelINS0_13select_configILj256ELj13ELNS0_17block_load_methodE3ELS4_3ELS4_3ELNS0_20block_scan_algorithmE0ELj4294967295EEENS1_25partition_config_selectorILNS1_17partition_subalgoE3EjNS0_10empty_typeEbEEZZNS1_14partition_implILS8_3ELb0ES6_jNS0_17counting_iteratorIjlEEPS9_SE_NS0_5tupleIJPjSE_EEENSF_IJSE_SE_EEES9_SG_JZNS1_25segmented_radix_sort_implINS0_14default_configELb1EPKaPaPKlPlN2at6native12_GLOBAL__N_18offset_tEEE10hipError_tPvRmT1_PNSt15iterator_traitsISY_E10value_typeET2_T3_PNSZ_IS14_E10value_typeET4_jRbjT5_S1A_jjP12ihipStream_tbEUljE_EEESV_SW_SX_S14_S18_S1A_T6_T7_T9_mT8_S1C_bDpT10_ENKUlT_T0_E_clISt17integral_constantIbLb1EES1P_EEDaS1K_S1L_EUlS1K_E_NS1_11comp_targetILNS1_3genE4ELNS1_11target_archE910ELNS1_3gpuE8ELNS1_3repE0EEENS1_30default_config_static_selectorELNS0_4arch9wavefront6targetE0EEEvSY_ ; -- Begin function _ZN7rocprim17ROCPRIM_400000_NS6detail17trampoline_kernelINS0_13select_configILj256ELj13ELNS0_17block_load_methodE3ELS4_3ELS4_3ELNS0_20block_scan_algorithmE0ELj4294967295EEENS1_25partition_config_selectorILNS1_17partition_subalgoE3EjNS0_10empty_typeEbEEZZNS1_14partition_implILS8_3ELb0ES6_jNS0_17counting_iteratorIjlEEPS9_SE_NS0_5tupleIJPjSE_EEENSF_IJSE_SE_EEES9_SG_JZNS1_25segmented_radix_sort_implINS0_14default_configELb1EPKaPaPKlPlN2at6native12_GLOBAL__N_18offset_tEEE10hipError_tPvRmT1_PNSt15iterator_traitsISY_E10value_typeET2_T3_PNSZ_IS14_E10value_typeET4_jRbjT5_S1A_jjP12ihipStream_tbEUljE_EEESV_SW_SX_S14_S18_S1A_T6_T7_T9_mT8_S1C_bDpT10_ENKUlT_T0_E_clISt17integral_constantIbLb1EES1P_EEDaS1K_S1L_EUlS1K_E_NS1_11comp_targetILNS1_3genE4ELNS1_11target_archE910ELNS1_3gpuE8ELNS1_3repE0EEENS1_30default_config_static_selectorELNS0_4arch9wavefront6targetE0EEEvSY_
	.p2align	8
	.type	_ZN7rocprim17ROCPRIM_400000_NS6detail17trampoline_kernelINS0_13select_configILj256ELj13ELNS0_17block_load_methodE3ELS4_3ELS4_3ELNS0_20block_scan_algorithmE0ELj4294967295EEENS1_25partition_config_selectorILNS1_17partition_subalgoE3EjNS0_10empty_typeEbEEZZNS1_14partition_implILS8_3ELb0ES6_jNS0_17counting_iteratorIjlEEPS9_SE_NS0_5tupleIJPjSE_EEENSF_IJSE_SE_EEES9_SG_JZNS1_25segmented_radix_sort_implINS0_14default_configELb1EPKaPaPKlPlN2at6native12_GLOBAL__N_18offset_tEEE10hipError_tPvRmT1_PNSt15iterator_traitsISY_E10value_typeET2_T3_PNSZ_IS14_E10value_typeET4_jRbjT5_S1A_jjP12ihipStream_tbEUljE_EEESV_SW_SX_S14_S18_S1A_T6_T7_T9_mT8_S1C_bDpT10_ENKUlT_T0_E_clISt17integral_constantIbLb1EES1P_EEDaS1K_S1L_EUlS1K_E_NS1_11comp_targetILNS1_3genE4ELNS1_11target_archE910ELNS1_3gpuE8ELNS1_3repE0EEENS1_30default_config_static_selectorELNS0_4arch9wavefront6targetE0EEEvSY_,@function
_ZN7rocprim17ROCPRIM_400000_NS6detail17trampoline_kernelINS0_13select_configILj256ELj13ELNS0_17block_load_methodE3ELS4_3ELS4_3ELNS0_20block_scan_algorithmE0ELj4294967295EEENS1_25partition_config_selectorILNS1_17partition_subalgoE3EjNS0_10empty_typeEbEEZZNS1_14partition_implILS8_3ELb0ES6_jNS0_17counting_iteratorIjlEEPS9_SE_NS0_5tupleIJPjSE_EEENSF_IJSE_SE_EEES9_SG_JZNS1_25segmented_radix_sort_implINS0_14default_configELb1EPKaPaPKlPlN2at6native12_GLOBAL__N_18offset_tEEE10hipError_tPvRmT1_PNSt15iterator_traitsISY_E10value_typeET2_T3_PNSZ_IS14_E10value_typeET4_jRbjT5_S1A_jjP12ihipStream_tbEUljE_EEESV_SW_SX_S14_S18_S1A_T6_T7_T9_mT8_S1C_bDpT10_ENKUlT_T0_E_clISt17integral_constantIbLb1EES1P_EEDaS1K_S1L_EUlS1K_E_NS1_11comp_targetILNS1_3genE4ELNS1_11target_archE910ELNS1_3gpuE8ELNS1_3repE0EEENS1_30default_config_static_selectorELNS0_4arch9wavefront6targetE0EEEvSY_: ; @_ZN7rocprim17ROCPRIM_400000_NS6detail17trampoline_kernelINS0_13select_configILj256ELj13ELNS0_17block_load_methodE3ELS4_3ELS4_3ELNS0_20block_scan_algorithmE0ELj4294967295EEENS1_25partition_config_selectorILNS1_17partition_subalgoE3EjNS0_10empty_typeEbEEZZNS1_14partition_implILS8_3ELb0ES6_jNS0_17counting_iteratorIjlEEPS9_SE_NS0_5tupleIJPjSE_EEENSF_IJSE_SE_EEES9_SG_JZNS1_25segmented_radix_sort_implINS0_14default_configELb1EPKaPaPKlPlN2at6native12_GLOBAL__N_18offset_tEEE10hipError_tPvRmT1_PNSt15iterator_traitsISY_E10value_typeET2_T3_PNSZ_IS14_E10value_typeET4_jRbjT5_S1A_jjP12ihipStream_tbEUljE_EEESV_SW_SX_S14_S18_S1A_T6_T7_T9_mT8_S1C_bDpT10_ENKUlT_T0_E_clISt17integral_constantIbLb1EES1P_EEDaS1K_S1L_EUlS1K_E_NS1_11comp_targetILNS1_3genE4ELNS1_11target_archE910ELNS1_3gpuE8ELNS1_3repE0EEENS1_30default_config_static_selectorELNS0_4arch9wavefront6targetE0EEEvSY_
; %bb.0:
	.section	.rodata,"a",@progbits
	.p2align	6, 0x0
	.amdhsa_kernel _ZN7rocprim17ROCPRIM_400000_NS6detail17trampoline_kernelINS0_13select_configILj256ELj13ELNS0_17block_load_methodE3ELS4_3ELS4_3ELNS0_20block_scan_algorithmE0ELj4294967295EEENS1_25partition_config_selectorILNS1_17partition_subalgoE3EjNS0_10empty_typeEbEEZZNS1_14partition_implILS8_3ELb0ES6_jNS0_17counting_iteratorIjlEEPS9_SE_NS0_5tupleIJPjSE_EEENSF_IJSE_SE_EEES9_SG_JZNS1_25segmented_radix_sort_implINS0_14default_configELb1EPKaPaPKlPlN2at6native12_GLOBAL__N_18offset_tEEE10hipError_tPvRmT1_PNSt15iterator_traitsISY_E10value_typeET2_T3_PNSZ_IS14_E10value_typeET4_jRbjT5_S1A_jjP12ihipStream_tbEUljE_EEESV_SW_SX_S14_S18_S1A_T6_T7_T9_mT8_S1C_bDpT10_ENKUlT_T0_E_clISt17integral_constantIbLb1EES1P_EEDaS1K_S1L_EUlS1K_E_NS1_11comp_targetILNS1_3genE4ELNS1_11target_archE910ELNS1_3gpuE8ELNS1_3repE0EEENS1_30default_config_static_selectorELNS0_4arch9wavefront6targetE0EEEvSY_
		.amdhsa_group_segment_fixed_size 0
		.amdhsa_private_segment_fixed_size 0
		.amdhsa_kernarg_size 152
		.amdhsa_user_sgpr_count 2
		.amdhsa_user_sgpr_dispatch_ptr 0
		.amdhsa_user_sgpr_queue_ptr 0
		.amdhsa_user_sgpr_kernarg_segment_ptr 1
		.amdhsa_user_sgpr_dispatch_id 0
		.amdhsa_user_sgpr_private_segment_size 0
		.amdhsa_wavefront_size32 1
		.amdhsa_uses_dynamic_stack 0
		.amdhsa_enable_private_segment 0
		.amdhsa_system_sgpr_workgroup_id_x 1
		.amdhsa_system_sgpr_workgroup_id_y 0
		.amdhsa_system_sgpr_workgroup_id_z 0
		.amdhsa_system_sgpr_workgroup_info 0
		.amdhsa_system_vgpr_workitem_id 0
		.amdhsa_next_free_vgpr 1
		.amdhsa_next_free_sgpr 1
		.amdhsa_reserve_vcc 0
		.amdhsa_float_round_mode_32 0
		.amdhsa_float_round_mode_16_64 0
		.amdhsa_float_denorm_mode_32 3
		.amdhsa_float_denorm_mode_16_64 3
		.amdhsa_fp16_overflow 0
		.amdhsa_workgroup_processor_mode 1
		.amdhsa_memory_ordered 1
		.amdhsa_forward_progress 1
		.amdhsa_inst_pref_size 0
		.amdhsa_round_robin_scheduling 0
		.amdhsa_exception_fp_ieee_invalid_op 0
		.amdhsa_exception_fp_denorm_src 0
		.amdhsa_exception_fp_ieee_div_zero 0
		.amdhsa_exception_fp_ieee_overflow 0
		.amdhsa_exception_fp_ieee_underflow 0
		.amdhsa_exception_fp_ieee_inexact 0
		.amdhsa_exception_int_div_zero 0
	.end_amdhsa_kernel
	.section	.text._ZN7rocprim17ROCPRIM_400000_NS6detail17trampoline_kernelINS0_13select_configILj256ELj13ELNS0_17block_load_methodE3ELS4_3ELS4_3ELNS0_20block_scan_algorithmE0ELj4294967295EEENS1_25partition_config_selectorILNS1_17partition_subalgoE3EjNS0_10empty_typeEbEEZZNS1_14partition_implILS8_3ELb0ES6_jNS0_17counting_iteratorIjlEEPS9_SE_NS0_5tupleIJPjSE_EEENSF_IJSE_SE_EEES9_SG_JZNS1_25segmented_radix_sort_implINS0_14default_configELb1EPKaPaPKlPlN2at6native12_GLOBAL__N_18offset_tEEE10hipError_tPvRmT1_PNSt15iterator_traitsISY_E10value_typeET2_T3_PNSZ_IS14_E10value_typeET4_jRbjT5_S1A_jjP12ihipStream_tbEUljE_EEESV_SW_SX_S14_S18_S1A_T6_T7_T9_mT8_S1C_bDpT10_ENKUlT_T0_E_clISt17integral_constantIbLb1EES1P_EEDaS1K_S1L_EUlS1K_E_NS1_11comp_targetILNS1_3genE4ELNS1_11target_archE910ELNS1_3gpuE8ELNS1_3repE0EEENS1_30default_config_static_selectorELNS0_4arch9wavefront6targetE0EEEvSY_,"axG",@progbits,_ZN7rocprim17ROCPRIM_400000_NS6detail17trampoline_kernelINS0_13select_configILj256ELj13ELNS0_17block_load_methodE3ELS4_3ELS4_3ELNS0_20block_scan_algorithmE0ELj4294967295EEENS1_25partition_config_selectorILNS1_17partition_subalgoE3EjNS0_10empty_typeEbEEZZNS1_14partition_implILS8_3ELb0ES6_jNS0_17counting_iteratorIjlEEPS9_SE_NS0_5tupleIJPjSE_EEENSF_IJSE_SE_EEES9_SG_JZNS1_25segmented_radix_sort_implINS0_14default_configELb1EPKaPaPKlPlN2at6native12_GLOBAL__N_18offset_tEEE10hipError_tPvRmT1_PNSt15iterator_traitsISY_E10value_typeET2_T3_PNSZ_IS14_E10value_typeET4_jRbjT5_S1A_jjP12ihipStream_tbEUljE_EEESV_SW_SX_S14_S18_S1A_T6_T7_T9_mT8_S1C_bDpT10_ENKUlT_T0_E_clISt17integral_constantIbLb1EES1P_EEDaS1K_S1L_EUlS1K_E_NS1_11comp_targetILNS1_3genE4ELNS1_11target_archE910ELNS1_3gpuE8ELNS1_3repE0EEENS1_30default_config_static_selectorELNS0_4arch9wavefront6targetE0EEEvSY_,comdat
.Lfunc_end268:
	.size	_ZN7rocprim17ROCPRIM_400000_NS6detail17trampoline_kernelINS0_13select_configILj256ELj13ELNS0_17block_load_methodE3ELS4_3ELS4_3ELNS0_20block_scan_algorithmE0ELj4294967295EEENS1_25partition_config_selectorILNS1_17partition_subalgoE3EjNS0_10empty_typeEbEEZZNS1_14partition_implILS8_3ELb0ES6_jNS0_17counting_iteratorIjlEEPS9_SE_NS0_5tupleIJPjSE_EEENSF_IJSE_SE_EEES9_SG_JZNS1_25segmented_radix_sort_implINS0_14default_configELb1EPKaPaPKlPlN2at6native12_GLOBAL__N_18offset_tEEE10hipError_tPvRmT1_PNSt15iterator_traitsISY_E10value_typeET2_T3_PNSZ_IS14_E10value_typeET4_jRbjT5_S1A_jjP12ihipStream_tbEUljE_EEESV_SW_SX_S14_S18_S1A_T6_T7_T9_mT8_S1C_bDpT10_ENKUlT_T0_E_clISt17integral_constantIbLb1EES1P_EEDaS1K_S1L_EUlS1K_E_NS1_11comp_targetILNS1_3genE4ELNS1_11target_archE910ELNS1_3gpuE8ELNS1_3repE0EEENS1_30default_config_static_selectorELNS0_4arch9wavefront6targetE0EEEvSY_, .Lfunc_end268-_ZN7rocprim17ROCPRIM_400000_NS6detail17trampoline_kernelINS0_13select_configILj256ELj13ELNS0_17block_load_methodE3ELS4_3ELS4_3ELNS0_20block_scan_algorithmE0ELj4294967295EEENS1_25partition_config_selectorILNS1_17partition_subalgoE3EjNS0_10empty_typeEbEEZZNS1_14partition_implILS8_3ELb0ES6_jNS0_17counting_iteratorIjlEEPS9_SE_NS0_5tupleIJPjSE_EEENSF_IJSE_SE_EEES9_SG_JZNS1_25segmented_radix_sort_implINS0_14default_configELb1EPKaPaPKlPlN2at6native12_GLOBAL__N_18offset_tEEE10hipError_tPvRmT1_PNSt15iterator_traitsISY_E10value_typeET2_T3_PNSZ_IS14_E10value_typeET4_jRbjT5_S1A_jjP12ihipStream_tbEUljE_EEESV_SW_SX_S14_S18_S1A_T6_T7_T9_mT8_S1C_bDpT10_ENKUlT_T0_E_clISt17integral_constantIbLb1EES1P_EEDaS1K_S1L_EUlS1K_E_NS1_11comp_targetILNS1_3genE4ELNS1_11target_archE910ELNS1_3gpuE8ELNS1_3repE0EEENS1_30default_config_static_selectorELNS0_4arch9wavefront6targetE0EEEvSY_
                                        ; -- End function
	.set _ZN7rocprim17ROCPRIM_400000_NS6detail17trampoline_kernelINS0_13select_configILj256ELj13ELNS0_17block_load_methodE3ELS4_3ELS4_3ELNS0_20block_scan_algorithmE0ELj4294967295EEENS1_25partition_config_selectorILNS1_17partition_subalgoE3EjNS0_10empty_typeEbEEZZNS1_14partition_implILS8_3ELb0ES6_jNS0_17counting_iteratorIjlEEPS9_SE_NS0_5tupleIJPjSE_EEENSF_IJSE_SE_EEES9_SG_JZNS1_25segmented_radix_sort_implINS0_14default_configELb1EPKaPaPKlPlN2at6native12_GLOBAL__N_18offset_tEEE10hipError_tPvRmT1_PNSt15iterator_traitsISY_E10value_typeET2_T3_PNSZ_IS14_E10value_typeET4_jRbjT5_S1A_jjP12ihipStream_tbEUljE_EEESV_SW_SX_S14_S18_S1A_T6_T7_T9_mT8_S1C_bDpT10_ENKUlT_T0_E_clISt17integral_constantIbLb1EES1P_EEDaS1K_S1L_EUlS1K_E_NS1_11comp_targetILNS1_3genE4ELNS1_11target_archE910ELNS1_3gpuE8ELNS1_3repE0EEENS1_30default_config_static_selectorELNS0_4arch9wavefront6targetE0EEEvSY_.num_vgpr, 0
	.set _ZN7rocprim17ROCPRIM_400000_NS6detail17trampoline_kernelINS0_13select_configILj256ELj13ELNS0_17block_load_methodE3ELS4_3ELS4_3ELNS0_20block_scan_algorithmE0ELj4294967295EEENS1_25partition_config_selectorILNS1_17partition_subalgoE3EjNS0_10empty_typeEbEEZZNS1_14partition_implILS8_3ELb0ES6_jNS0_17counting_iteratorIjlEEPS9_SE_NS0_5tupleIJPjSE_EEENSF_IJSE_SE_EEES9_SG_JZNS1_25segmented_radix_sort_implINS0_14default_configELb1EPKaPaPKlPlN2at6native12_GLOBAL__N_18offset_tEEE10hipError_tPvRmT1_PNSt15iterator_traitsISY_E10value_typeET2_T3_PNSZ_IS14_E10value_typeET4_jRbjT5_S1A_jjP12ihipStream_tbEUljE_EEESV_SW_SX_S14_S18_S1A_T6_T7_T9_mT8_S1C_bDpT10_ENKUlT_T0_E_clISt17integral_constantIbLb1EES1P_EEDaS1K_S1L_EUlS1K_E_NS1_11comp_targetILNS1_3genE4ELNS1_11target_archE910ELNS1_3gpuE8ELNS1_3repE0EEENS1_30default_config_static_selectorELNS0_4arch9wavefront6targetE0EEEvSY_.num_agpr, 0
	.set _ZN7rocprim17ROCPRIM_400000_NS6detail17trampoline_kernelINS0_13select_configILj256ELj13ELNS0_17block_load_methodE3ELS4_3ELS4_3ELNS0_20block_scan_algorithmE0ELj4294967295EEENS1_25partition_config_selectorILNS1_17partition_subalgoE3EjNS0_10empty_typeEbEEZZNS1_14partition_implILS8_3ELb0ES6_jNS0_17counting_iteratorIjlEEPS9_SE_NS0_5tupleIJPjSE_EEENSF_IJSE_SE_EEES9_SG_JZNS1_25segmented_radix_sort_implINS0_14default_configELb1EPKaPaPKlPlN2at6native12_GLOBAL__N_18offset_tEEE10hipError_tPvRmT1_PNSt15iterator_traitsISY_E10value_typeET2_T3_PNSZ_IS14_E10value_typeET4_jRbjT5_S1A_jjP12ihipStream_tbEUljE_EEESV_SW_SX_S14_S18_S1A_T6_T7_T9_mT8_S1C_bDpT10_ENKUlT_T0_E_clISt17integral_constantIbLb1EES1P_EEDaS1K_S1L_EUlS1K_E_NS1_11comp_targetILNS1_3genE4ELNS1_11target_archE910ELNS1_3gpuE8ELNS1_3repE0EEENS1_30default_config_static_selectorELNS0_4arch9wavefront6targetE0EEEvSY_.numbered_sgpr, 0
	.set _ZN7rocprim17ROCPRIM_400000_NS6detail17trampoline_kernelINS0_13select_configILj256ELj13ELNS0_17block_load_methodE3ELS4_3ELS4_3ELNS0_20block_scan_algorithmE0ELj4294967295EEENS1_25partition_config_selectorILNS1_17partition_subalgoE3EjNS0_10empty_typeEbEEZZNS1_14partition_implILS8_3ELb0ES6_jNS0_17counting_iteratorIjlEEPS9_SE_NS0_5tupleIJPjSE_EEENSF_IJSE_SE_EEES9_SG_JZNS1_25segmented_radix_sort_implINS0_14default_configELb1EPKaPaPKlPlN2at6native12_GLOBAL__N_18offset_tEEE10hipError_tPvRmT1_PNSt15iterator_traitsISY_E10value_typeET2_T3_PNSZ_IS14_E10value_typeET4_jRbjT5_S1A_jjP12ihipStream_tbEUljE_EEESV_SW_SX_S14_S18_S1A_T6_T7_T9_mT8_S1C_bDpT10_ENKUlT_T0_E_clISt17integral_constantIbLb1EES1P_EEDaS1K_S1L_EUlS1K_E_NS1_11comp_targetILNS1_3genE4ELNS1_11target_archE910ELNS1_3gpuE8ELNS1_3repE0EEENS1_30default_config_static_selectorELNS0_4arch9wavefront6targetE0EEEvSY_.num_named_barrier, 0
	.set _ZN7rocprim17ROCPRIM_400000_NS6detail17trampoline_kernelINS0_13select_configILj256ELj13ELNS0_17block_load_methodE3ELS4_3ELS4_3ELNS0_20block_scan_algorithmE0ELj4294967295EEENS1_25partition_config_selectorILNS1_17partition_subalgoE3EjNS0_10empty_typeEbEEZZNS1_14partition_implILS8_3ELb0ES6_jNS0_17counting_iteratorIjlEEPS9_SE_NS0_5tupleIJPjSE_EEENSF_IJSE_SE_EEES9_SG_JZNS1_25segmented_radix_sort_implINS0_14default_configELb1EPKaPaPKlPlN2at6native12_GLOBAL__N_18offset_tEEE10hipError_tPvRmT1_PNSt15iterator_traitsISY_E10value_typeET2_T3_PNSZ_IS14_E10value_typeET4_jRbjT5_S1A_jjP12ihipStream_tbEUljE_EEESV_SW_SX_S14_S18_S1A_T6_T7_T9_mT8_S1C_bDpT10_ENKUlT_T0_E_clISt17integral_constantIbLb1EES1P_EEDaS1K_S1L_EUlS1K_E_NS1_11comp_targetILNS1_3genE4ELNS1_11target_archE910ELNS1_3gpuE8ELNS1_3repE0EEENS1_30default_config_static_selectorELNS0_4arch9wavefront6targetE0EEEvSY_.private_seg_size, 0
	.set _ZN7rocprim17ROCPRIM_400000_NS6detail17trampoline_kernelINS0_13select_configILj256ELj13ELNS0_17block_load_methodE3ELS4_3ELS4_3ELNS0_20block_scan_algorithmE0ELj4294967295EEENS1_25partition_config_selectorILNS1_17partition_subalgoE3EjNS0_10empty_typeEbEEZZNS1_14partition_implILS8_3ELb0ES6_jNS0_17counting_iteratorIjlEEPS9_SE_NS0_5tupleIJPjSE_EEENSF_IJSE_SE_EEES9_SG_JZNS1_25segmented_radix_sort_implINS0_14default_configELb1EPKaPaPKlPlN2at6native12_GLOBAL__N_18offset_tEEE10hipError_tPvRmT1_PNSt15iterator_traitsISY_E10value_typeET2_T3_PNSZ_IS14_E10value_typeET4_jRbjT5_S1A_jjP12ihipStream_tbEUljE_EEESV_SW_SX_S14_S18_S1A_T6_T7_T9_mT8_S1C_bDpT10_ENKUlT_T0_E_clISt17integral_constantIbLb1EES1P_EEDaS1K_S1L_EUlS1K_E_NS1_11comp_targetILNS1_3genE4ELNS1_11target_archE910ELNS1_3gpuE8ELNS1_3repE0EEENS1_30default_config_static_selectorELNS0_4arch9wavefront6targetE0EEEvSY_.uses_vcc, 0
	.set _ZN7rocprim17ROCPRIM_400000_NS6detail17trampoline_kernelINS0_13select_configILj256ELj13ELNS0_17block_load_methodE3ELS4_3ELS4_3ELNS0_20block_scan_algorithmE0ELj4294967295EEENS1_25partition_config_selectorILNS1_17partition_subalgoE3EjNS0_10empty_typeEbEEZZNS1_14partition_implILS8_3ELb0ES6_jNS0_17counting_iteratorIjlEEPS9_SE_NS0_5tupleIJPjSE_EEENSF_IJSE_SE_EEES9_SG_JZNS1_25segmented_radix_sort_implINS0_14default_configELb1EPKaPaPKlPlN2at6native12_GLOBAL__N_18offset_tEEE10hipError_tPvRmT1_PNSt15iterator_traitsISY_E10value_typeET2_T3_PNSZ_IS14_E10value_typeET4_jRbjT5_S1A_jjP12ihipStream_tbEUljE_EEESV_SW_SX_S14_S18_S1A_T6_T7_T9_mT8_S1C_bDpT10_ENKUlT_T0_E_clISt17integral_constantIbLb1EES1P_EEDaS1K_S1L_EUlS1K_E_NS1_11comp_targetILNS1_3genE4ELNS1_11target_archE910ELNS1_3gpuE8ELNS1_3repE0EEENS1_30default_config_static_selectorELNS0_4arch9wavefront6targetE0EEEvSY_.uses_flat_scratch, 0
	.set _ZN7rocprim17ROCPRIM_400000_NS6detail17trampoline_kernelINS0_13select_configILj256ELj13ELNS0_17block_load_methodE3ELS4_3ELS4_3ELNS0_20block_scan_algorithmE0ELj4294967295EEENS1_25partition_config_selectorILNS1_17partition_subalgoE3EjNS0_10empty_typeEbEEZZNS1_14partition_implILS8_3ELb0ES6_jNS0_17counting_iteratorIjlEEPS9_SE_NS0_5tupleIJPjSE_EEENSF_IJSE_SE_EEES9_SG_JZNS1_25segmented_radix_sort_implINS0_14default_configELb1EPKaPaPKlPlN2at6native12_GLOBAL__N_18offset_tEEE10hipError_tPvRmT1_PNSt15iterator_traitsISY_E10value_typeET2_T3_PNSZ_IS14_E10value_typeET4_jRbjT5_S1A_jjP12ihipStream_tbEUljE_EEESV_SW_SX_S14_S18_S1A_T6_T7_T9_mT8_S1C_bDpT10_ENKUlT_T0_E_clISt17integral_constantIbLb1EES1P_EEDaS1K_S1L_EUlS1K_E_NS1_11comp_targetILNS1_3genE4ELNS1_11target_archE910ELNS1_3gpuE8ELNS1_3repE0EEENS1_30default_config_static_selectorELNS0_4arch9wavefront6targetE0EEEvSY_.has_dyn_sized_stack, 0
	.set _ZN7rocprim17ROCPRIM_400000_NS6detail17trampoline_kernelINS0_13select_configILj256ELj13ELNS0_17block_load_methodE3ELS4_3ELS4_3ELNS0_20block_scan_algorithmE0ELj4294967295EEENS1_25partition_config_selectorILNS1_17partition_subalgoE3EjNS0_10empty_typeEbEEZZNS1_14partition_implILS8_3ELb0ES6_jNS0_17counting_iteratorIjlEEPS9_SE_NS0_5tupleIJPjSE_EEENSF_IJSE_SE_EEES9_SG_JZNS1_25segmented_radix_sort_implINS0_14default_configELb1EPKaPaPKlPlN2at6native12_GLOBAL__N_18offset_tEEE10hipError_tPvRmT1_PNSt15iterator_traitsISY_E10value_typeET2_T3_PNSZ_IS14_E10value_typeET4_jRbjT5_S1A_jjP12ihipStream_tbEUljE_EEESV_SW_SX_S14_S18_S1A_T6_T7_T9_mT8_S1C_bDpT10_ENKUlT_T0_E_clISt17integral_constantIbLb1EES1P_EEDaS1K_S1L_EUlS1K_E_NS1_11comp_targetILNS1_3genE4ELNS1_11target_archE910ELNS1_3gpuE8ELNS1_3repE0EEENS1_30default_config_static_selectorELNS0_4arch9wavefront6targetE0EEEvSY_.has_recursion, 0
	.set _ZN7rocprim17ROCPRIM_400000_NS6detail17trampoline_kernelINS0_13select_configILj256ELj13ELNS0_17block_load_methodE3ELS4_3ELS4_3ELNS0_20block_scan_algorithmE0ELj4294967295EEENS1_25partition_config_selectorILNS1_17partition_subalgoE3EjNS0_10empty_typeEbEEZZNS1_14partition_implILS8_3ELb0ES6_jNS0_17counting_iteratorIjlEEPS9_SE_NS0_5tupleIJPjSE_EEENSF_IJSE_SE_EEES9_SG_JZNS1_25segmented_radix_sort_implINS0_14default_configELb1EPKaPaPKlPlN2at6native12_GLOBAL__N_18offset_tEEE10hipError_tPvRmT1_PNSt15iterator_traitsISY_E10value_typeET2_T3_PNSZ_IS14_E10value_typeET4_jRbjT5_S1A_jjP12ihipStream_tbEUljE_EEESV_SW_SX_S14_S18_S1A_T6_T7_T9_mT8_S1C_bDpT10_ENKUlT_T0_E_clISt17integral_constantIbLb1EES1P_EEDaS1K_S1L_EUlS1K_E_NS1_11comp_targetILNS1_3genE4ELNS1_11target_archE910ELNS1_3gpuE8ELNS1_3repE0EEENS1_30default_config_static_selectorELNS0_4arch9wavefront6targetE0EEEvSY_.has_indirect_call, 0
	.section	.AMDGPU.csdata,"",@progbits
; Kernel info:
; codeLenInByte = 0
; TotalNumSgprs: 0
; NumVgprs: 0
; ScratchSize: 0
; MemoryBound: 0
; FloatMode: 240
; IeeeMode: 1
; LDSByteSize: 0 bytes/workgroup (compile time only)
; SGPRBlocks: 0
; VGPRBlocks: 0
; NumSGPRsForWavesPerEU: 1
; NumVGPRsForWavesPerEU: 1
; Occupancy: 16
; WaveLimiterHint : 0
; COMPUTE_PGM_RSRC2:SCRATCH_EN: 0
; COMPUTE_PGM_RSRC2:USER_SGPR: 2
; COMPUTE_PGM_RSRC2:TRAP_HANDLER: 0
; COMPUTE_PGM_RSRC2:TGID_X_EN: 1
; COMPUTE_PGM_RSRC2:TGID_Y_EN: 0
; COMPUTE_PGM_RSRC2:TGID_Z_EN: 0
; COMPUTE_PGM_RSRC2:TIDIG_COMP_CNT: 0
	.section	.text._ZN7rocprim17ROCPRIM_400000_NS6detail17trampoline_kernelINS0_13select_configILj256ELj13ELNS0_17block_load_methodE3ELS4_3ELS4_3ELNS0_20block_scan_algorithmE0ELj4294967295EEENS1_25partition_config_selectorILNS1_17partition_subalgoE3EjNS0_10empty_typeEbEEZZNS1_14partition_implILS8_3ELb0ES6_jNS0_17counting_iteratorIjlEEPS9_SE_NS0_5tupleIJPjSE_EEENSF_IJSE_SE_EEES9_SG_JZNS1_25segmented_radix_sort_implINS0_14default_configELb1EPKaPaPKlPlN2at6native12_GLOBAL__N_18offset_tEEE10hipError_tPvRmT1_PNSt15iterator_traitsISY_E10value_typeET2_T3_PNSZ_IS14_E10value_typeET4_jRbjT5_S1A_jjP12ihipStream_tbEUljE_EEESV_SW_SX_S14_S18_S1A_T6_T7_T9_mT8_S1C_bDpT10_ENKUlT_T0_E_clISt17integral_constantIbLb1EES1P_EEDaS1K_S1L_EUlS1K_E_NS1_11comp_targetILNS1_3genE3ELNS1_11target_archE908ELNS1_3gpuE7ELNS1_3repE0EEENS1_30default_config_static_selectorELNS0_4arch9wavefront6targetE0EEEvSY_,"axG",@progbits,_ZN7rocprim17ROCPRIM_400000_NS6detail17trampoline_kernelINS0_13select_configILj256ELj13ELNS0_17block_load_methodE3ELS4_3ELS4_3ELNS0_20block_scan_algorithmE0ELj4294967295EEENS1_25partition_config_selectorILNS1_17partition_subalgoE3EjNS0_10empty_typeEbEEZZNS1_14partition_implILS8_3ELb0ES6_jNS0_17counting_iteratorIjlEEPS9_SE_NS0_5tupleIJPjSE_EEENSF_IJSE_SE_EEES9_SG_JZNS1_25segmented_radix_sort_implINS0_14default_configELb1EPKaPaPKlPlN2at6native12_GLOBAL__N_18offset_tEEE10hipError_tPvRmT1_PNSt15iterator_traitsISY_E10value_typeET2_T3_PNSZ_IS14_E10value_typeET4_jRbjT5_S1A_jjP12ihipStream_tbEUljE_EEESV_SW_SX_S14_S18_S1A_T6_T7_T9_mT8_S1C_bDpT10_ENKUlT_T0_E_clISt17integral_constantIbLb1EES1P_EEDaS1K_S1L_EUlS1K_E_NS1_11comp_targetILNS1_3genE3ELNS1_11target_archE908ELNS1_3gpuE7ELNS1_3repE0EEENS1_30default_config_static_selectorELNS0_4arch9wavefront6targetE0EEEvSY_,comdat
	.globl	_ZN7rocprim17ROCPRIM_400000_NS6detail17trampoline_kernelINS0_13select_configILj256ELj13ELNS0_17block_load_methodE3ELS4_3ELS4_3ELNS0_20block_scan_algorithmE0ELj4294967295EEENS1_25partition_config_selectorILNS1_17partition_subalgoE3EjNS0_10empty_typeEbEEZZNS1_14partition_implILS8_3ELb0ES6_jNS0_17counting_iteratorIjlEEPS9_SE_NS0_5tupleIJPjSE_EEENSF_IJSE_SE_EEES9_SG_JZNS1_25segmented_radix_sort_implINS0_14default_configELb1EPKaPaPKlPlN2at6native12_GLOBAL__N_18offset_tEEE10hipError_tPvRmT1_PNSt15iterator_traitsISY_E10value_typeET2_T3_PNSZ_IS14_E10value_typeET4_jRbjT5_S1A_jjP12ihipStream_tbEUljE_EEESV_SW_SX_S14_S18_S1A_T6_T7_T9_mT8_S1C_bDpT10_ENKUlT_T0_E_clISt17integral_constantIbLb1EES1P_EEDaS1K_S1L_EUlS1K_E_NS1_11comp_targetILNS1_3genE3ELNS1_11target_archE908ELNS1_3gpuE7ELNS1_3repE0EEENS1_30default_config_static_selectorELNS0_4arch9wavefront6targetE0EEEvSY_ ; -- Begin function _ZN7rocprim17ROCPRIM_400000_NS6detail17trampoline_kernelINS0_13select_configILj256ELj13ELNS0_17block_load_methodE3ELS4_3ELS4_3ELNS0_20block_scan_algorithmE0ELj4294967295EEENS1_25partition_config_selectorILNS1_17partition_subalgoE3EjNS0_10empty_typeEbEEZZNS1_14partition_implILS8_3ELb0ES6_jNS0_17counting_iteratorIjlEEPS9_SE_NS0_5tupleIJPjSE_EEENSF_IJSE_SE_EEES9_SG_JZNS1_25segmented_radix_sort_implINS0_14default_configELb1EPKaPaPKlPlN2at6native12_GLOBAL__N_18offset_tEEE10hipError_tPvRmT1_PNSt15iterator_traitsISY_E10value_typeET2_T3_PNSZ_IS14_E10value_typeET4_jRbjT5_S1A_jjP12ihipStream_tbEUljE_EEESV_SW_SX_S14_S18_S1A_T6_T7_T9_mT8_S1C_bDpT10_ENKUlT_T0_E_clISt17integral_constantIbLb1EES1P_EEDaS1K_S1L_EUlS1K_E_NS1_11comp_targetILNS1_3genE3ELNS1_11target_archE908ELNS1_3gpuE7ELNS1_3repE0EEENS1_30default_config_static_selectorELNS0_4arch9wavefront6targetE0EEEvSY_
	.p2align	8
	.type	_ZN7rocprim17ROCPRIM_400000_NS6detail17trampoline_kernelINS0_13select_configILj256ELj13ELNS0_17block_load_methodE3ELS4_3ELS4_3ELNS0_20block_scan_algorithmE0ELj4294967295EEENS1_25partition_config_selectorILNS1_17partition_subalgoE3EjNS0_10empty_typeEbEEZZNS1_14partition_implILS8_3ELb0ES6_jNS0_17counting_iteratorIjlEEPS9_SE_NS0_5tupleIJPjSE_EEENSF_IJSE_SE_EEES9_SG_JZNS1_25segmented_radix_sort_implINS0_14default_configELb1EPKaPaPKlPlN2at6native12_GLOBAL__N_18offset_tEEE10hipError_tPvRmT1_PNSt15iterator_traitsISY_E10value_typeET2_T3_PNSZ_IS14_E10value_typeET4_jRbjT5_S1A_jjP12ihipStream_tbEUljE_EEESV_SW_SX_S14_S18_S1A_T6_T7_T9_mT8_S1C_bDpT10_ENKUlT_T0_E_clISt17integral_constantIbLb1EES1P_EEDaS1K_S1L_EUlS1K_E_NS1_11comp_targetILNS1_3genE3ELNS1_11target_archE908ELNS1_3gpuE7ELNS1_3repE0EEENS1_30default_config_static_selectorELNS0_4arch9wavefront6targetE0EEEvSY_,@function
_ZN7rocprim17ROCPRIM_400000_NS6detail17trampoline_kernelINS0_13select_configILj256ELj13ELNS0_17block_load_methodE3ELS4_3ELS4_3ELNS0_20block_scan_algorithmE0ELj4294967295EEENS1_25partition_config_selectorILNS1_17partition_subalgoE3EjNS0_10empty_typeEbEEZZNS1_14partition_implILS8_3ELb0ES6_jNS0_17counting_iteratorIjlEEPS9_SE_NS0_5tupleIJPjSE_EEENSF_IJSE_SE_EEES9_SG_JZNS1_25segmented_radix_sort_implINS0_14default_configELb1EPKaPaPKlPlN2at6native12_GLOBAL__N_18offset_tEEE10hipError_tPvRmT1_PNSt15iterator_traitsISY_E10value_typeET2_T3_PNSZ_IS14_E10value_typeET4_jRbjT5_S1A_jjP12ihipStream_tbEUljE_EEESV_SW_SX_S14_S18_S1A_T6_T7_T9_mT8_S1C_bDpT10_ENKUlT_T0_E_clISt17integral_constantIbLb1EES1P_EEDaS1K_S1L_EUlS1K_E_NS1_11comp_targetILNS1_3genE3ELNS1_11target_archE908ELNS1_3gpuE7ELNS1_3repE0EEENS1_30default_config_static_selectorELNS0_4arch9wavefront6targetE0EEEvSY_: ; @_ZN7rocprim17ROCPRIM_400000_NS6detail17trampoline_kernelINS0_13select_configILj256ELj13ELNS0_17block_load_methodE3ELS4_3ELS4_3ELNS0_20block_scan_algorithmE0ELj4294967295EEENS1_25partition_config_selectorILNS1_17partition_subalgoE3EjNS0_10empty_typeEbEEZZNS1_14partition_implILS8_3ELb0ES6_jNS0_17counting_iteratorIjlEEPS9_SE_NS0_5tupleIJPjSE_EEENSF_IJSE_SE_EEES9_SG_JZNS1_25segmented_radix_sort_implINS0_14default_configELb1EPKaPaPKlPlN2at6native12_GLOBAL__N_18offset_tEEE10hipError_tPvRmT1_PNSt15iterator_traitsISY_E10value_typeET2_T3_PNSZ_IS14_E10value_typeET4_jRbjT5_S1A_jjP12ihipStream_tbEUljE_EEESV_SW_SX_S14_S18_S1A_T6_T7_T9_mT8_S1C_bDpT10_ENKUlT_T0_E_clISt17integral_constantIbLb1EES1P_EEDaS1K_S1L_EUlS1K_E_NS1_11comp_targetILNS1_3genE3ELNS1_11target_archE908ELNS1_3gpuE7ELNS1_3repE0EEENS1_30default_config_static_selectorELNS0_4arch9wavefront6targetE0EEEvSY_
; %bb.0:
	.section	.rodata,"a",@progbits
	.p2align	6, 0x0
	.amdhsa_kernel _ZN7rocprim17ROCPRIM_400000_NS6detail17trampoline_kernelINS0_13select_configILj256ELj13ELNS0_17block_load_methodE3ELS4_3ELS4_3ELNS0_20block_scan_algorithmE0ELj4294967295EEENS1_25partition_config_selectorILNS1_17partition_subalgoE3EjNS0_10empty_typeEbEEZZNS1_14partition_implILS8_3ELb0ES6_jNS0_17counting_iteratorIjlEEPS9_SE_NS0_5tupleIJPjSE_EEENSF_IJSE_SE_EEES9_SG_JZNS1_25segmented_radix_sort_implINS0_14default_configELb1EPKaPaPKlPlN2at6native12_GLOBAL__N_18offset_tEEE10hipError_tPvRmT1_PNSt15iterator_traitsISY_E10value_typeET2_T3_PNSZ_IS14_E10value_typeET4_jRbjT5_S1A_jjP12ihipStream_tbEUljE_EEESV_SW_SX_S14_S18_S1A_T6_T7_T9_mT8_S1C_bDpT10_ENKUlT_T0_E_clISt17integral_constantIbLb1EES1P_EEDaS1K_S1L_EUlS1K_E_NS1_11comp_targetILNS1_3genE3ELNS1_11target_archE908ELNS1_3gpuE7ELNS1_3repE0EEENS1_30default_config_static_selectorELNS0_4arch9wavefront6targetE0EEEvSY_
		.amdhsa_group_segment_fixed_size 0
		.amdhsa_private_segment_fixed_size 0
		.amdhsa_kernarg_size 152
		.amdhsa_user_sgpr_count 2
		.amdhsa_user_sgpr_dispatch_ptr 0
		.amdhsa_user_sgpr_queue_ptr 0
		.amdhsa_user_sgpr_kernarg_segment_ptr 1
		.amdhsa_user_sgpr_dispatch_id 0
		.amdhsa_user_sgpr_private_segment_size 0
		.amdhsa_wavefront_size32 1
		.amdhsa_uses_dynamic_stack 0
		.amdhsa_enable_private_segment 0
		.amdhsa_system_sgpr_workgroup_id_x 1
		.amdhsa_system_sgpr_workgroup_id_y 0
		.amdhsa_system_sgpr_workgroup_id_z 0
		.amdhsa_system_sgpr_workgroup_info 0
		.amdhsa_system_vgpr_workitem_id 0
		.amdhsa_next_free_vgpr 1
		.amdhsa_next_free_sgpr 1
		.amdhsa_reserve_vcc 0
		.amdhsa_float_round_mode_32 0
		.amdhsa_float_round_mode_16_64 0
		.amdhsa_float_denorm_mode_32 3
		.amdhsa_float_denorm_mode_16_64 3
		.amdhsa_fp16_overflow 0
		.amdhsa_workgroup_processor_mode 1
		.amdhsa_memory_ordered 1
		.amdhsa_forward_progress 1
		.amdhsa_inst_pref_size 0
		.amdhsa_round_robin_scheduling 0
		.amdhsa_exception_fp_ieee_invalid_op 0
		.amdhsa_exception_fp_denorm_src 0
		.amdhsa_exception_fp_ieee_div_zero 0
		.amdhsa_exception_fp_ieee_overflow 0
		.amdhsa_exception_fp_ieee_underflow 0
		.amdhsa_exception_fp_ieee_inexact 0
		.amdhsa_exception_int_div_zero 0
	.end_amdhsa_kernel
	.section	.text._ZN7rocprim17ROCPRIM_400000_NS6detail17trampoline_kernelINS0_13select_configILj256ELj13ELNS0_17block_load_methodE3ELS4_3ELS4_3ELNS0_20block_scan_algorithmE0ELj4294967295EEENS1_25partition_config_selectorILNS1_17partition_subalgoE3EjNS0_10empty_typeEbEEZZNS1_14partition_implILS8_3ELb0ES6_jNS0_17counting_iteratorIjlEEPS9_SE_NS0_5tupleIJPjSE_EEENSF_IJSE_SE_EEES9_SG_JZNS1_25segmented_radix_sort_implINS0_14default_configELb1EPKaPaPKlPlN2at6native12_GLOBAL__N_18offset_tEEE10hipError_tPvRmT1_PNSt15iterator_traitsISY_E10value_typeET2_T3_PNSZ_IS14_E10value_typeET4_jRbjT5_S1A_jjP12ihipStream_tbEUljE_EEESV_SW_SX_S14_S18_S1A_T6_T7_T9_mT8_S1C_bDpT10_ENKUlT_T0_E_clISt17integral_constantIbLb1EES1P_EEDaS1K_S1L_EUlS1K_E_NS1_11comp_targetILNS1_3genE3ELNS1_11target_archE908ELNS1_3gpuE7ELNS1_3repE0EEENS1_30default_config_static_selectorELNS0_4arch9wavefront6targetE0EEEvSY_,"axG",@progbits,_ZN7rocprim17ROCPRIM_400000_NS6detail17trampoline_kernelINS0_13select_configILj256ELj13ELNS0_17block_load_methodE3ELS4_3ELS4_3ELNS0_20block_scan_algorithmE0ELj4294967295EEENS1_25partition_config_selectorILNS1_17partition_subalgoE3EjNS0_10empty_typeEbEEZZNS1_14partition_implILS8_3ELb0ES6_jNS0_17counting_iteratorIjlEEPS9_SE_NS0_5tupleIJPjSE_EEENSF_IJSE_SE_EEES9_SG_JZNS1_25segmented_radix_sort_implINS0_14default_configELb1EPKaPaPKlPlN2at6native12_GLOBAL__N_18offset_tEEE10hipError_tPvRmT1_PNSt15iterator_traitsISY_E10value_typeET2_T3_PNSZ_IS14_E10value_typeET4_jRbjT5_S1A_jjP12ihipStream_tbEUljE_EEESV_SW_SX_S14_S18_S1A_T6_T7_T9_mT8_S1C_bDpT10_ENKUlT_T0_E_clISt17integral_constantIbLb1EES1P_EEDaS1K_S1L_EUlS1K_E_NS1_11comp_targetILNS1_3genE3ELNS1_11target_archE908ELNS1_3gpuE7ELNS1_3repE0EEENS1_30default_config_static_selectorELNS0_4arch9wavefront6targetE0EEEvSY_,comdat
.Lfunc_end269:
	.size	_ZN7rocprim17ROCPRIM_400000_NS6detail17trampoline_kernelINS0_13select_configILj256ELj13ELNS0_17block_load_methodE3ELS4_3ELS4_3ELNS0_20block_scan_algorithmE0ELj4294967295EEENS1_25partition_config_selectorILNS1_17partition_subalgoE3EjNS0_10empty_typeEbEEZZNS1_14partition_implILS8_3ELb0ES6_jNS0_17counting_iteratorIjlEEPS9_SE_NS0_5tupleIJPjSE_EEENSF_IJSE_SE_EEES9_SG_JZNS1_25segmented_radix_sort_implINS0_14default_configELb1EPKaPaPKlPlN2at6native12_GLOBAL__N_18offset_tEEE10hipError_tPvRmT1_PNSt15iterator_traitsISY_E10value_typeET2_T3_PNSZ_IS14_E10value_typeET4_jRbjT5_S1A_jjP12ihipStream_tbEUljE_EEESV_SW_SX_S14_S18_S1A_T6_T7_T9_mT8_S1C_bDpT10_ENKUlT_T0_E_clISt17integral_constantIbLb1EES1P_EEDaS1K_S1L_EUlS1K_E_NS1_11comp_targetILNS1_3genE3ELNS1_11target_archE908ELNS1_3gpuE7ELNS1_3repE0EEENS1_30default_config_static_selectorELNS0_4arch9wavefront6targetE0EEEvSY_, .Lfunc_end269-_ZN7rocprim17ROCPRIM_400000_NS6detail17trampoline_kernelINS0_13select_configILj256ELj13ELNS0_17block_load_methodE3ELS4_3ELS4_3ELNS0_20block_scan_algorithmE0ELj4294967295EEENS1_25partition_config_selectorILNS1_17partition_subalgoE3EjNS0_10empty_typeEbEEZZNS1_14partition_implILS8_3ELb0ES6_jNS0_17counting_iteratorIjlEEPS9_SE_NS0_5tupleIJPjSE_EEENSF_IJSE_SE_EEES9_SG_JZNS1_25segmented_radix_sort_implINS0_14default_configELb1EPKaPaPKlPlN2at6native12_GLOBAL__N_18offset_tEEE10hipError_tPvRmT1_PNSt15iterator_traitsISY_E10value_typeET2_T3_PNSZ_IS14_E10value_typeET4_jRbjT5_S1A_jjP12ihipStream_tbEUljE_EEESV_SW_SX_S14_S18_S1A_T6_T7_T9_mT8_S1C_bDpT10_ENKUlT_T0_E_clISt17integral_constantIbLb1EES1P_EEDaS1K_S1L_EUlS1K_E_NS1_11comp_targetILNS1_3genE3ELNS1_11target_archE908ELNS1_3gpuE7ELNS1_3repE0EEENS1_30default_config_static_selectorELNS0_4arch9wavefront6targetE0EEEvSY_
                                        ; -- End function
	.set _ZN7rocprim17ROCPRIM_400000_NS6detail17trampoline_kernelINS0_13select_configILj256ELj13ELNS0_17block_load_methodE3ELS4_3ELS4_3ELNS0_20block_scan_algorithmE0ELj4294967295EEENS1_25partition_config_selectorILNS1_17partition_subalgoE3EjNS0_10empty_typeEbEEZZNS1_14partition_implILS8_3ELb0ES6_jNS0_17counting_iteratorIjlEEPS9_SE_NS0_5tupleIJPjSE_EEENSF_IJSE_SE_EEES9_SG_JZNS1_25segmented_radix_sort_implINS0_14default_configELb1EPKaPaPKlPlN2at6native12_GLOBAL__N_18offset_tEEE10hipError_tPvRmT1_PNSt15iterator_traitsISY_E10value_typeET2_T3_PNSZ_IS14_E10value_typeET4_jRbjT5_S1A_jjP12ihipStream_tbEUljE_EEESV_SW_SX_S14_S18_S1A_T6_T7_T9_mT8_S1C_bDpT10_ENKUlT_T0_E_clISt17integral_constantIbLb1EES1P_EEDaS1K_S1L_EUlS1K_E_NS1_11comp_targetILNS1_3genE3ELNS1_11target_archE908ELNS1_3gpuE7ELNS1_3repE0EEENS1_30default_config_static_selectorELNS0_4arch9wavefront6targetE0EEEvSY_.num_vgpr, 0
	.set _ZN7rocprim17ROCPRIM_400000_NS6detail17trampoline_kernelINS0_13select_configILj256ELj13ELNS0_17block_load_methodE3ELS4_3ELS4_3ELNS0_20block_scan_algorithmE0ELj4294967295EEENS1_25partition_config_selectorILNS1_17partition_subalgoE3EjNS0_10empty_typeEbEEZZNS1_14partition_implILS8_3ELb0ES6_jNS0_17counting_iteratorIjlEEPS9_SE_NS0_5tupleIJPjSE_EEENSF_IJSE_SE_EEES9_SG_JZNS1_25segmented_radix_sort_implINS0_14default_configELb1EPKaPaPKlPlN2at6native12_GLOBAL__N_18offset_tEEE10hipError_tPvRmT1_PNSt15iterator_traitsISY_E10value_typeET2_T3_PNSZ_IS14_E10value_typeET4_jRbjT5_S1A_jjP12ihipStream_tbEUljE_EEESV_SW_SX_S14_S18_S1A_T6_T7_T9_mT8_S1C_bDpT10_ENKUlT_T0_E_clISt17integral_constantIbLb1EES1P_EEDaS1K_S1L_EUlS1K_E_NS1_11comp_targetILNS1_3genE3ELNS1_11target_archE908ELNS1_3gpuE7ELNS1_3repE0EEENS1_30default_config_static_selectorELNS0_4arch9wavefront6targetE0EEEvSY_.num_agpr, 0
	.set _ZN7rocprim17ROCPRIM_400000_NS6detail17trampoline_kernelINS0_13select_configILj256ELj13ELNS0_17block_load_methodE3ELS4_3ELS4_3ELNS0_20block_scan_algorithmE0ELj4294967295EEENS1_25partition_config_selectorILNS1_17partition_subalgoE3EjNS0_10empty_typeEbEEZZNS1_14partition_implILS8_3ELb0ES6_jNS0_17counting_iteratorIjlEEPS9_SE_NS0_5tupleIJPjSE_EEENSF_IJSE_SE_EEES9_SG_JZNS1_25segmented_radix_sort_implINS0_14default_configELb1EPKaPaPKlPlN2at6native12_GLOBAL__N_18offset_tEEE10hipError_tPvRmT1_PNSt15iterator_traitsISY_E10value_typeET2_T3_PNSZ_IS14_E10value_typeET4_jRbjT5_S1A_jjP12ihipStream_tbEUljE_EEESV_SW_SX_S14_S18_S1A_T6_T7_T9_mT8_S1C_bDpT10_ENKUlT_T0_E_clISt17integral_constantIbLb1EES1P_EEDaS1K_S1L_EUlS1K_E_NS1_11comp_targetILNS1_3genE3ELNS1_11target_archE908ELNS1_3gpuE7ELNS1_3repE0EEENS1_30default_config_static_selectorELNS0_4arch9wavefront6targetE0EEEvSY_.numbered_sgpr, 0
	.set _ZN7rocprim17ROCPRIM_400000_NS6detail17trampoline_kernelINS0_13select_configILj256ELj13ELNS0_17block_load_methodE3ELS4_3ELS4_3ELNS0_20block_scan_algorithmE0ELj4294967295EEENS1_25partition_config_selectorILNS1_17partition_subalgoE3EjNS0_10empty_typeEbEEZZNS1_14partition_implILS8_3ELb0ES6_jNS0_17counting_iteratorIjlEEPS9_SE_NS0_5tupleIJPjSE_EEENSF_IJSE_SE_EEES9_SG_JZNS1_25segmented_radix_sort_implINS0_14default_configELb1EPKaPaPKlPlN2at6native12_GLOBAL__N_18offset_tEEE10hipError_tPvRmT1_PNSt15iterator_traitsISY_E10value_typeET2_T3_PNSZ_IS14_E10value_typeET4_jRbjT5_S1A_jjP12ihipStream_tbEUljE_EEESV_SW_SX_S14_S18_S1A_T6_T7_T9_mT8_S1C_bDpT10_ENKUlT_T0_E_clISt17integral_constantIbLb1EES1P_EEDaS1K_S1L_EUlS1K_E_NS1_11comp_targetILNS1_3genE3ELNS1_11target_archE908ELNS1_3gpuE7ELNS1_3repE0EEENS1_30default_config_static_selectorELNS0_4arch9wavefront6targetE0EEEvSY_.num_named_barrier, 0
	.set _ZN7rocprim17ROCPRIM_400000_NS6detail17trampoline_kernelINS0_13select_configILj256ELj13ELNS0_17block_load_methodE3ELS4_3ELS4_3ELNS0_20block_scan_algorithmE0ELj4294967295EEENS1_25partition_config_selectorILNS1_17partition_subalgoE3EjNS0_10empty_typeEbEEZZNS1_14partition_implILS8_3ELb0ES6_jNS0_17counting_iteratorIjlEEPS9_SE_NS0_5tupleIJPjSE_EEENSF_IJSE_SE_EEES9_SG_JZNS1_25segmented_radix_sort_implINS0_14default_configELb1EPKaPaPKlPlN2at6native12_GLOBAL__N_18offset_tEEE10hipError_tPvRmT1_PNSt15iterator_traitsISY_E10value_typeET2_T3_PNSZ_IS14_E10value_typeET4_jRbjT5_S1A_jjP12ihipStream_tbEUljE_EEESV_SW_SX_S14_S18_S1A_T6_T7_T9_mT8_S1C_bDpT10_ENKUlT_T0_E_clISt17integral_constantIbLb1EES1P_EEDaS1K_S1L_EUlS1K_E_NS1_11comp_targetILNS1_3genE3ELNS1_11target_archE908ELNS1_3gpuE7ELNS1_3repE0EEENS1_30default_config_static_selectorELNS0_4arch9wavefront6targetE0EEEvSY_.private_seg_size, 0
	.set _ZN7rocprim17ROCPRIM_400000_NS6detail17trampoline_kernelINS0_13select_configILj256ELj13ELNS0_17block_load_methodE3ELS4_3ELS4_3ELNS0_20block_scan_algorithmE0ELj4294967295EEENS1_25partition_config_selectorILNS1_17partition_subalgoE3EjNS0_10empty_typeEbEEZZNS1_14partition_implILS8_3ELb0ES6_jNS0_17counting_iteratorIjlEEPS9_SE_NS0_5tupleIJPjSE_EEENSF_IJSE_SE_EEES9_SG_JZNS1_25segmented_radix_sort_implINS0_14default_configELb1EPKaPaPKlPlN2at6native12_GLOBAL__N_18offset_tEEE10hipError_tPvRmT1_PNSt15iterator_traitsISY_E10value_typeET2_T3_PNSZ_IS14_E10value_typeET4_jRbjT5_S1A_jjP12ihipStream_tbEUljE_EEESV_SW_SX_S14_S18_S1A_T6_T7_T9_mT8_S1C_bDpT10_ENKUlT_T0_E_clISt17integral_constantIbLb1EES1P_EEDaS1K_S1L_EUlS1K_E_NS1_11comp_targetILNS1_3genE3ELNS1_11target_archE908ELNS1_3gpuE7ELNS1_3repE0EEENS1_30default_config_static_selectorELNS0_4arch9wavefront6targetE0EEEvSY_.uses_vcc, 0
	.set _ZN7rocprim17ROCPRIM_400000_NS6detail17trampoline_kernelINS0_13select_configILj256ELj13ELNS0_17block_load_methodE3ELS4_3ELS4_3ELNS0_20block_scan_algorithmE0ELj4294967295EEENS1_25partition_config_selectorILNS1_17partition_subalgoE3EjNS0_10empty_typeEbEEZZNS1_14partition_implILS8_3ELb0ES6_jNS0_17counting_iteratorIjlEEPS9_SE_NS0_5tupleIJPjSE_EEENSF_IJSE_SE_EEES9_SG_JZNS1_25segmented_radix_sort_implINS0_14default_configELb1EPKaPaPKlPlN2at6native12_GLOBAL__N_18offset_tEEE10hipError_tPvRmT1_PNSt15iterator_traitsISY_E10value_typeET2_T3_PNSZ_IS14_E10value_typeET4_jRbjT5_S1A_jjP12ihipStream_tbEUljE_EEESV_SW_SX_S14_S18_S1A_T6_T7_T9_mT8_S1C_bDpT10_ENKUlT_T0_E_clISt17integral_constantIbLb1EES1P_EEDaS1K_S1L_EUlS1K_E_NS1_11comp_targetILNS1_3genE3ELNS1_11target_archE908ELNS1_3gpuE7ELNS1_3repE0EEENS1_30default_config_static_selectorELNS0_4arch9wavefront6targetE0EEEvSY_.uses_flat_scratch, 0
	.set _ZN7rocprim17ROCPRIM_400000_NS6detail17trampoline_kernelINS0_13select_configILj256ELj13ELNS0_17block_load_methodE3ELS4_3ELS4_3ELNS0_20block_scan_algorithmE0ELj4294967295EEENS1_25partition_config_selectorILNS1_17partition_subalgoE3EjNS0_10empty_typeEbEEZZNS1_14partition_implILS8_3ELb0ES6_jNS0_17counting_iteratorIjlEEPS9_SE_NS0_5tupleIJPjSE_EEENSF_IJSE_SE_EEES9_SG_JZNS1_25segmented_radix_sort_implINS0_14default_configELb1EPKaPaPKlPlN2at6native12_GLOBAL__N_18offset_tEEE10hipError_tPvRmT1_PNSt15iterator_traitsISY_E10value_typeET2_T3_PNSZ_IS14_E10value_typeET4_jRbjT5_S1A_jjP12ihipStream_tbEUljE_EEESV_SW_SX_S14_S18_S1A_T6_T7_T9_mT8_S1C_bDpT10_ENKUlT_T0_E_clISt17integral_constantIbLb1EES1P_EEDaS1K_S1L_EUlS1K_E_NS1_11comp_targetILNS1_3genE3ELNS1_11target_archE908ELNS1_3gpuE7ELNS1_3repE0EEENS1_30default_config_static_selectorELNS0_4arch9wavefront6targetE0EEEvSY_.has_dyn_sized_stack, 0
	.set _ZN7rocprim17ROCPRIM_400000_NS6detail17trampoline_kernelINS0_13select_configILj256ELj13ELNS0_17block_load_methodE3ELS4_3ELS4_3ELNS0_20block_scan_algorithmE0ELj4294967295EEENS1_25partition_config_selectorILNS1_17partition_subalgoE3EjNS0_10empty_typeEbEEZZNS1_14partition_implILS8_3ELb0ES6_jNS0_17counting_iteratorIjlEEPS9_SE_NS0_5tupleIJPjSE_EEENSF_IJSE_SE_EEES9_SG_JZNS1_25segmented_radix_sort_implINS0_14default_configELb1EPKaPaPKlPlN2at6native12_GLOBAL__N_18offset_tEEE10hipError_tPvRmT1_PNSt15iterator_traitsISY_E10value_typeET2_T3_PNSZ_IS14_E10value_typeET4_jRbjT5_S1A_jjP12ihipStream_tbEUljE_EEESV_SW_SX_S14_S18_S1A_T6_T7_T9_mT8_S1C_bDpT10_ENKUlT_T0_E_clISt17integral_constantIbLb1EES1P_EEDaS1K_S1L_EUlS1K_E_NS1_11comp_targetILNS1_3genE3ELNS1_11target_archE908ELNS1_3gpuE7ELNS1_3repE0EEENS1_30default_config_static_selectorELNS0_4arch9wavefront6targetE0EEEvSY_.has_recursion, 0
	.set _ZN7rocprim17ROCPRIM_400000_NS6detail17trampoline_kernelINS0_13select_configILj256ELj13ELNS0_17block_load_methodE3ELS4_3ELS4_3ELNS0_20block_scan_algorithmE0ELj4294967295EEENS1_25partition_config_selectorILNS1_17partition_subalgoE3EjNS0_10empty_typeEbEEZZNS1_14partition_implILS8_3ELb0ES6_jNS0_17counting_iteratorIjlEEPS9_SE_NS0_5tupleIJPjSE_EEENSF_IJSE_SE_EEES9_SG_JZNS1_25segmented_radix_sort_implINS0_14default_configELb1EPKaPaPKlPlN2at6native12_GLOBAL__N_18offset_tEEE10hipError_tPvRmT1_PNSt15iterator_traitsISY_E10value_typeET2_T3_PNSZ_IS14_E10value_typeET4_jRbjT5_S1A_jjP12ihipStream_tbEUljE_EEESV_SW_SX_S14_S18_S1A_T6_T7_T9_mT8_S1C_bDpT10_ENKUlT_T0_E_clISt17integral_constantIbLb1EES1P_EEDaS1K_S1L_EUlS1K_E_NS1_11comp_targetILNS1_3genE3ELNS1_11target_archE908ELNS1_3gpuE7ELNS1_3repE0EEENS1_30default_config_static_selectorELNS0_4arch9wavefront6targetE0EEEvSY_.has_indirect_call, 0
	.section	.AMDGPU.csdata,"",@progbits
; Kernel info:
; codeLenInByte = 0
; TotalNumSgprs: 0
; NumVgprs: 0
; ScratchSize: 0
; MemoryBound: 0
; FloatMode: 240
; IeeeMode: 1
; LDSByteSize: 0 bytes/workgroup (compile time only)
; SGPRBlocks: 0
; VGPRBlocks: 0
; NumSGPRsForWavesPerEU: 1
; NumVGPRsForWavesPerEU: 1
; Occupancy: 16
; WaveLimiterHint : 0
; COMPUTE_PGM_RSRC2:SCRATCH_EN: 0
; COMPUTE_PGM_RSRC2:USER_SGPR: 2
; COMPUTE_PGM_RSRC2:TRAP_HANDLER: 0
; COMPUTE_PGM_RSRC2:TGID_X_EN: 1
; COMPUTE_PGM_RSRC2:TGID_Y_EN: 0
; COMPUTE_PGM_RSRC2:TGID_Z_EN: 0
; COMPUTE_PGM_RSRC2:TIDIG_COMP_CNT: 0
	.section	.text._ZN7rocprim17ROCPRIM_400000_NS6detail17trampoline_kernelINS0_13select_configILj256ELj13ELNS0_17block_load_methodE3ELS4_3ELS4_3ELNS0_20block_scan_algorithmE0ELj4294967295EEENS1_25partition_config_selectorILNS1_17partition_subalgoE3EjNS0_10empty_typeEbEEZZNS1_14partition_implILS8_3ELb0ES6_jNS0_17counting_iteratorIjlEEPS9_SE_NS0_5tupleIJPjSE_EEENSF_IJSE_SE_EEES9_SG_JZNS1_25segmented_radix_sort_implINS0_14default_configELb1EPKaPaPKlPlN2at6native12_GLOBAL__N_18offset_tEEE10hipError_tPvRmT1_PNSt15iterator_traitsISY_E10value_typeET2_T3_PNSZ_IS14_E10value_typeET4_jRbjT5_S1A_jjP12ihipStream_tbEUljE_EEESV_SW_SX_S14_S18_S1A_T6_T7_T9_mT8_S1C_bDpT10_ENKUlT_T0_E_clISt17integral_constantIbLb1EES1P_EEDaS1K_S1L_EUlS1K_E_NS1_11comp_targetILNS1_3genE2ELNS1_11target_archE906ELNS1_3gpuE6ELNS1_3repE0EEENS1_30default_config_static_selectorELNS0_4arch9wavefront6targetE0EEEvSY_,"axG",@progbits,_ZN7rocprim17ROCPRIM_400000_NS6detail17trampoline_kernelINS0_13select_configILj256ELj13ELNS0_17block_load_methodE3ELS4_3ELS4_3ELNS0_20block_scan_algorithmE0ELj4294967295EEENS1_25partition_config_selectorILNS1_17partition_subalgoE3EjNS0_10empty_typeEbEEZZNS1_14partition_implILS8_3ELb0ES6_jNS0_17counting_iteratorIjlEEPS9_SE_NS0_5tupleIJPjSE_EEENSF_IJSE_SE_EEES9_SG_JZNS1_25segmented_radix_sort_implINS0_14default_configELb1EPKaPaPKlPlN2at6native12_GLOBAL__N_18offset_tEEE10hipError_tPvRmT1_PNSt15iterator_traitsISY_E10value_typeET2_T3_PNSZ_IS14_E10value_typeET4_jRbjT5_S1A_jjP12ihipStream_tbEUljE_EEESV_SW_SX_S14_S18_S1A_T6_T7_T9_mT8_S1C_bDpT10_ENKUlT_T0_E_clISt17integral_constantIbLb1EES1P_EEDaS1K_S1L_EUlS1K_E_NS1_11comp_targetILNS1_3genE2ELNS1_11target_archE906ELNS1_3gpuE6ELNS1_3repE0EEENS1_30default_config_static_selectorELNS0_4arch9wavefront6targetE0EEEvSY_,comdat
	.globl	_ZN7rocprim17ROCPRIM_400000_NS6detail17trampoline_kernelINS0_13select_configILj256ELj13ELNS0_17block_load_methodE3ELS4_3ELS4_3ELNS0_20block_scan_algorithmE0ELj4294967295EEENS1_25partition_config_selectorILNS1_17partition_subalgoE3EjNS0_10empty_typeEbEEZZNS1_14partition_implILS8_3ELb0ES6_jNS0_17counting_iteratorIjlEEPS9_SE_NS0_5tupleIJPjSE_EEENSF_IJSE_SE_EEES9_SG_JZNS1_25segmented_radix_sort_implINS0_14default_configELb1EPKaPaPKlPlN2at6native12_GLOBAL__N_18offset_tEEE10hipError_tPvRmT1_PNSt15iterator_traitsISY_E10value_typeET2_T3_PNSZ_IS14_E10value_typeET4_jRbjT5_S1A_jjP12ihipStream_tbEUljE_EEESV_SW_SX_S14_S18_S1A_T6_T7_T9_mT8_S1C_bDpT10_ENKUlT_T0_E_clISt17integral_constantIbLb1EES1P_EEDaS1K_S1L_EUlS1K_E_NS1_11comp_targetILNS1_3genE2ELNS1_11target_archE906ELNS1_3gpuE6ELNS1_3repE0EEENS1_30default_config_static_selectorELNS0_4arch9wavefront6targetE0EEEvSY_ ; -- Begin function _ZN7rocprim17ROCPRIM_400000_NS6detail17trampoline_kernelINS0_13select_configILj256ELj13ELNS0_17block_load_methodE3ELS4_3ELS4_3ELNS0_20block_scan_algorithmE0ELj4294967295EEENS1_25partition_config_selectorILNS1_17partition_subalgoE3EjNS0_10empty_typeEbEEZZNS1_14partition_implILS8_3ELb0ES6_jNS0_17counting_iteratorIjlEEPS9_SE_NS0_5tupleIJPjSE_EEENSF_IJSE_SE_EEES9_SG_JZNS1_25segmented_radix_sort_implINS0_14default_configELb1EPKaPaPKlPlN2at6native12_GLOBAL__N_18offset_tEEE10hipError_tPvRmT1_PNSt15iterator_traitsISY_E10value_typeET2_T3_PNSZ_IS14_E10value_typeET4_jRbjT5_S1A_jjP12ihipStream_tbEUljE_EEESV_SW_SX_S14_S18_S1A_T6_T7_T9_mT8_S1C_bDpT10_ENKUlT_T0_E_clISt17integral_constantIbLb1EES1P_EEDaS1K_S1L_EUlS1K_E_NS1_11comp_targetILNS1_3genE2ELNS1_11target_archE906ELNS1_3gpuE6ELNS1_3repE0EEENS1_30default_config_static_selectorELNS0_4arch9wavefront6targetE0EEEvSY_
	.p2align	8
	.type	_ZN7rocprim17ROCPRIM_400000_NS6detail17trampoline_kernelINS0_13select_configILj256ELj13ELNS0_17block_load_methodE3ELS4_3ELS4_3ELNS0_20block_scan_algorithmE0ELj4294967295EEENS1_25partition_config_selectorILNS1_17partition_subalgoE3EjNS0_10empty_typeEbEEZZNS1_14partition_implILS8_3ELb0ES6_jNS0_17counting_iteratorIjlEEPS9_SE_NS0_5tupleIJPjSE_EEENSF_IJSE_SE_EEES9_SG_JZNS1_25segmented_radix_sort_implINS0_14default_configELb1EPKaPaPKlPlN2at6native12_GLOBAL__N_18offset_tEEE10hipError_tPvRmT1_PNSt15iterator_traitsISY_E10value_typeET2_T3_PNSZ_IS14_E10value_typeET4_jRbjT5_S1A_jjP12ihipStream_tbEUljE_EEESV_SW_SX_S14_S18_S1A_T6_T7_T9_mT8_S1C_bDpT10_ENKUlT_T0_E_clISt17integral_constantIbLb1EES1P_EEDaS1K_S1L_EUlS1K_E_NS1_11comp_targetILNS1_3genE2ELNS1_11target_archE906ELNS1_3gpuE6ELNS1_3repE0EEENS1_30default_config_static_selectorELNS0_4arch9wavefront6targetE0EEEvSY_,@function
_ZN7rocprim17ROCPRIM_400000_NS6detail17trampoline_kernelINS0_13select_configILj256ELj13ELNS0_17block_load_methodE3ELS4_3ELS4_3ELNS0_20block_scan_algorithmE0ELj4294967295EEENS1_25partition_config_selectorILNS1_17partition_subalgoE3EjNS0_10empty_typeEbEEZZNS1_14partition_implILS8_3ELb0ES6_jNS0_17counting_iteratorIjlEEPS9_SE_NS0_5tupleIJPjSE_EEENSF_IJSE_SE_EEES9_SG_JZNS1_25segmented_radix_sort_implINS0_14default_configELb1EPKaPaPKlPlN2at6native12_GLOBAL__N_18offset_tEEE10hipError_tPvRmT1_PNSt15iterator_traitsISY_E10value_typeET2_T3_PNSZ_IS14_E10value_typeET4_jRbjT5_S1A_jjP12ihipStream_tbEUljE_EEESV_SW_SX_S14_S18_S1A_T6_T7_T9_mT8_S1C_bDpT10_ENKUlT_T0_E_clISt17integral_constantIbLb1EES1P_EEDaS1K_S1L_EUlS1K_E_NS1_11comp_targetILNS1_3genE2ELNS1_11target_archE906ELNS1_3gpuE6ELNS1_3repE0EEENS1_30default_config_static_selectorELNS0_4arch9wavefront6targetE0EEEvSY_: ; @_ZN7rocprim17ROCPRIM_400000_NS6detail17trampoline_kernelINS0_13select_configILj256ELj13ELNS0_17block_load_methodE3ELS4_3ELS4_3ELNS0_20block_scan_algorithmE0ELj4294967295EEENS1_25partition_config_selectorILNS1_17partition_subalgoE3EjNS0_10empty_typeEbEEZZNS1_14partition_implILS8_3ELb0ES6_jNS0_17counting_iteratorIjlEEPS9_SE_NS0_5tupleIJPjSE_EEENSF_IJSE_SE_EEES9_SG_JZNS1_25segmented_radix_sort_implINS0_14default_configELb1EPKaPaPKlPlN2at6native12_GLOBAL__N_18offset_tEEE10hipError_tPvRmT1_PNSt15iterator_traitsISY_E10value_typeET2_T3_PNSZ_IS14_E10value_typeET4_jRbjT5_S1A_jjP12ihipStream_tbEUljE_EEESV_SW_SX_S14_S18_S1A_T6_T7_T9_mT8_S1C_bDpT10_ENKUlT_T0_E_clISt17integral_constantIbLb1EES1P_EEDaS1K_S1L_EUlS1K_E_NS1_11comp_targetILNS1_3genE2ELNS1_11target_archE906ELNS1_3gpuE6ELNS1_3repE0EEENS1_30default_config_static_selectorELNS0_4arch9wavefront6targetE0EEEvSY_
; %bb.0:
	.section	.rodata,"a",@progbits
	.p2align	6, 0x0
	.amdhsa_kernel _ZN7rocprim17ROCPRIM_400000_NS6detail17trampoline_kernelINS0_13select_configILj256ELj13ELNS0_17block_load_methodE3ELS4_3ELS4_3ELNS0_20block_scan_algorithmE0ELj4294967295EEENS1_25partition_config_selectorILNS1_17partition_subalgoE3EjNS0_10empty_typeEbEEZZNS1_14partition_implILS8_3ELb0ES6_jNS0_17counting_iteratorIjlEEPS9_SE_NS0_5tupleIJPjSE_EEENSF_IJSE_SE_EEES9_SG_JZNS1_25segmented_radix_sort_implINS0_14default_configELb1EPKaPaPKlPlN2at6native12_GLOBAL__N_18offset_tEEE10hipError_tPvRmT1_PNSt15iterator_traitsISY_E10value_typeET2_T3_PNSZ_IS14_E10value_typeET4_jRbjT5_S1A_jjP12ihipStream_tbEUljE_EEESV_SW_SX_S14_S18_S1A_T6_T7_T9_mT8_S1C_bDpT10_ENKUlT_T0_E_clISt17integral_constantIbLb1EES1P_EEDaS1K_S1L_EUlS1K_E_NS1_11comp_targetILNS1_3genE2ELNS1_11target_archE906ELNS1_3gpuE6ELNS1_3repE0EEENS1_30default_config_static_selectorELNS0_4arch9wavefront6targetE0EEEvSY_
		.amdhsa_group_segment_fixed_size 0
		.amdhsa_private_segment_fixed_size 0
		.amdhsa_kernarg_size 152
		.amdhsa_user_sgpr_count 2
		.amdhsa_user_sgpr_dispatch_ptr 0
		.amdhsa_user_sgpr_queue_ptr 0
		.amdhsa_user_sgpr_kernarg_segment_ptr 1
		.amdhsa_user_sgpr_dispatch_id 0
		.amdhsa_user_sgpr_private_segment_size 0
		.amdhsa_wavefront_size32 1
		.amdhsa_uses_dynamic_stack 0
		.amdhsa_enable_private_segment 0
		.amdhsa_system_sgpr_workgroup_id_x 1
		.amdhsa_system_sgpr_workgroup_id_y 0
		.amdhsa_system_sgpr_workgroup_id_z 0
		.amdhsa_system_sgpr_workgroup_info 0
		.amdhsa_system_vgpr_workitem_id 0
		.amdhsa_next_free_vgpr 1
		.amdhsa_next_free_sgpr 1
		.amdhsa_reserve_vcc 0
		.amdhsa_float_round_mode_32 0
		.amdhsa_float_round_mode_16_64 0
		.amdhsa_float_denorm_mode_32 3
		.amdhsa_float_denorm_mode_16_64 3
		.amdhsa_fp16_overflow 0
		.amdhsa_workgroup_processor_mode 1
		.amdhsa_memory_ordered 1
		.amdhsa_forward_progress 1
		.amdhsa_inst_pref_size 0
		.amdhsa_round_robin_scheduling 0
		.amdhsa_exception_fp_ieee_invalid_op 0
		.amdhsa_exception_fp_denorm_src 0
		.amdhsa_exception_fp_ieee_div_zero 0
		.amdhsa_exception_fp_ieee_overflow 0
		.amdhsa_exception_fp_ieee_underflow 0
		.amdhsa_exception_fp_ieee_inexact 0
		.amdhsa_exception_int_div_zero 0
	.end_amdhsa_kernel
	.section	.text._ZN7rocprim17ROCPRIM_400000_NS6detail17trampoline_kernelINS0_13select_configILj256ELj13ELNS0_17block_load_methodE3ELS4_3ELS4_3ELNS0_20block_scan_algorithmE0ELj4294967295EEENS1_25partition_config_selectorILNS1_17partition_subalgoE3EjNS0_10empty_typeEbEEZZNS1_14partition_implILS8_3ELb0ES6_jNS0_17counting_iteratorIjlEEPS9_SE_NS0_5tupleIJPjSE_EEENSF_IJSE_SE_EEES9_SG_JZNS1_25segmented_radix_sort_implINS0_14default_configELb1EPKaPaPKlPlN2at6native12_GLOBAL__N_18offset_tEEE10hipError_tPvRmT1_PNSt15iterator_traitsISY_E10value_typeET2_T3_PNSZ_IS14_E10value_typeET4_jRbjT5_S1A_jjP12ihipStream_tbEUljE_EEESV_SW_SX_S14_S18_S1A_T6_T7_T9_mT8_S1C_bDpT10_ENKUlT_T0_E_clISt17integral_constantIbLb1EES1P_EEDaS1K_S1L_EUlS1K_E_NS1_11comp_targetILNS1_3genE2ELNS1_11target_archE906ELNS1_3gpuE6ELNS1_3repE0EEENS1_30default_config_static_selectorELNS0_4arch9wavefront6targetE0EEEvSY_,"axG",@progbits,_ZN7rocprim17ROCPRIM_400000_NS6detail17trampoline_kernelINS0_13select_configILj256ELj13ELNS0_17block_load_methodE3ELS4_3ELS4_3ELNS0_20block_scan_algorithmE0ELj4294967295EEENS1_25partition_config_selectorILNS1_17partition_subalgoE3EjNS0_10empty_typeEbEEZZNS1_14partition_implILS8_3ELb0ES6_jNS0_17counting_iteratorIjlEEPS9_SE_NS0_5tupleIJPjSE_EEENSF_IJSE_SE_EEES9_SG_JZNS1_25segmented_radix_sort_implINS0_14default_configELb1EPKaPaPKlPlN2at6native12_GLOBAL__N_18offset_tEEE10hipError_tPvRmT1_PNSt15iterator_traitsISY_E10value_typeET2_T3_PNSZ_IS14_E10value_typeET4_jRbjT5_S1A_jjP12ihipStream_tbEUljE_EEESV_SW_SX_S14_S18_S1A_T6_T7_T9_mT8_S1C_bDpT10_ENKUlT_T0_E_clISt17integral_constantIbLb1EES1P_EEDaS1K_S1L_EUlS1K_E_NS1_11comp_targetILNS1_3genE2ELNS1_11target_archE906ELNS1_3gpuE6ELNS1_3repE0EEENS1_30default_config_static_selectorELNS0_4arch9wavefront6targetE0EEEvSY_,comdat
.Lfunc_end270:
	.size	_ZN7rocprim17ROCPRIM_400000_NS6detail17trampoline_kernelINS0_13select_configILj256ELj13ELNS0_17block_load_methodE3ELS4_3ELS4_3ELNS0_20block_scan_algorithmE0ELj4294967295EEENS1_25partition_config_selectorILNS1_17partition_subalgoE3EjNS0_10empty_typeEbEEZZNS1_14partition_implILS8_3ELb0ES6_jNS0_17counting_iteratorIjlEEPS9_SE_NS0_5tupleIJPjSE_EEENSF_IJSE_SE_EEES9_SG_JZNS1_25segmented_radix_sort_implINS0_14default_configELb1EPKaPaPKlPlN2at6native12_GLOBAL__N_18offset_tEEE10hipError_tPvRmT1_PNSt15iterator_traitsISY_E10value_typeET2_T3_PNSZ_IS14_E10value_typeET4_jRbjT5_S1A_jjP12ihipStream_tbEUljE_EEESV_SW_SX_S14_S18_S1A_T6_T7_T9_mT8_S1C_bDpT10_ENKUlT_T0_E_clISt17integral_constantIbLb1EES1P_EEDaS1K_S1L_EUlS1K_E_NS1_11comp_targetILNS1_3genE2ELNS1_11target_archE906ELNS1_3gpuE6ELNS1_3repE0EEENS1_30default_config_static_selectorELNS0_4arch9wavefront6targetE0EEEvSY_, .Lfunc_end270-_ZN7rocprim17ROCPRIM_400000_NS6detail17trampoline_kernelINS0_13select_configILj256ELj13ELNS0_17block_load_methodE3ELS4_3ELS4_3ELNS0_20block_scan_algorithmE0ELj4294967295EEENS1_25partition_config_selectorILNS1_17partition_subalgoE3EjNS0_10empty_typeEbEEZZNS1_14partition_implILS8_3ELb0ES6_jNS0_17counting_iteratorIjlEEPS9_SE_NS0_5tupleIJPjSE_EEENSF_IJSE_SE_EEES9_SG_JZNS1_25segmented_radix_sort_implINS0_14default_configELb1EPKaPaPKlPlN2at6native12_GLOBAL__N_18offset_tEEE10hipError_tPvRmT1_PNSt15iterator_traitsISY_E10value_typeET2_T3_PNSZ_IS14_E10value_typeET4_jRbjT5_S1A_jjP12ihipStream_tbEUljE_EEESV_SW_SX_S14_S18_S1A_T6_T7_T9_mT8_S1C_bDpT10_ENKUlT_T0_E_clISt17integral_constantIbLb1EES1P_EEDaS1K_S1L_EUlS1K_E_NS1_11comp_targetILNS1_3genE2ELNS1_11target_archE906ELNS1_3gpuE6ELNS1_3repE0EEENS1_30default_config_static_selectorELNS0_4arch9wavefront6targetE0EEEvSY_
                                        ; -- End function
	.set _ZN7rocprim17ROCPRIM_400000_NS6detail17trampoline_kernelINS0_13select_configILj256ELj13ELNS0_17block_load_methodE3ELS4_3ELS4_3ELNS0_20block_scan_algorithmE0ELj4294967295EEENS1_25partition_config_selectorILNS1_17partition_subalgoE3EjNS0_10empty_typeEbEEZZNS1_14partition_implILS8_3ELb0ES6_jNS0_17counting_iteratorIjlEEPS9_SE_NS0_5tupleIJPjSE_EEENSF_IJSE_SE_EEES9_SG_JZNS1_25segmented_radix_sort_implINS0_14default_configELb1EPKaPaPKlPlN2at6native12_GLOBAL__N_18offset_tEEE10hipError_tPvRmT1_PNSt15iterator_traitsISY_E10value_typeET2_T3_PNSZ_IS14_E10value_typeET4_jRbjT5_S1A_jjP12ihipStream_tbEUljE_EEESV_SW_SX_S14_S18_S1A_T6_T7_T9_mT8_S1C_bDpT10_ENKUlT_T0_E_clISt17integral_constantIbLb1EES1P_EEDaS1K_S1L_EUlS1K_E_NS1_11comp_targetILNS1_3genE2ELNS1_11target_archE906ELNS1_3gpuE6ELNS1_3repE0EEENS1_30default_config_static_selectorELNS0_4arch9wavefront6targetE0EEEvSY_.num_vgpr, 0
	.set _ZN7rocprim17ROCPRIM_400000_NS6detail17trampoline_kernelINS0_13select_configILj256ELj13ELNS0_17block_load_methodE3ELS4_3ELS4_3ELNS0_20block_scan_algorithmE0ELj4294967295EEENS1_25partition_config_selectorILNS1_17partition_subalgoE3EjNS0_10empty_typeEbEEZZNS1_14partition_implILS8_3ELb0ES6_jNS0_17counting_iteratorIjlEEPS9_SE_NS0_5tupleIJPjSE_EEENSF_IJSE_SE_EEES9_SG_JZNS1_25segmented_radix_sort_implINS0_14default_configELb1EPKaPaPKlPlN2at6native12_GLOBAL__N_18offset_tEEE10hipError_tPvRmT1_PNSt15iterator_traitsISY_E10value_typeET2_T3_PNSZ_IS14_E10value_typeET4_jRbjT5_S1A_jjP12ihipStream_tbEUljE_EEESV_SW_SX_S14_S18_S1A_T6_T7_T9_mT8_S1C_bDpT10_ENKUlT_T0_E_clISt17integral_constantIbLb1EES1P_EEDaS1K_S1L_EUlS1K_E_NS1_11comp_targetILNS1_3genE2ELNS1_11target_archE906ELNS1_3gpuE6ELNS1_3repE0EEENS1_30default_config_static_selectorELNS0_4arch9wavefront6targetE0EEEvSY_.num_agpr, 0
	.set _ZN7rocprim17ROCPRIM_400000_NS6detail17trampoline_kernelINS0_13select_configILj256ELj13ELNS0_17block_load_methodE3ELS4_3ELS4_3ELNS0_20block_scan_algorithmE0ELj4294967295EEENS1_25partition_config_selectorILNS1_17partition_subalgoE3EjNS0_10empty_typeEbEEZZNS1_14partition_implILS8_3ELb0ES6_jNS0_17counting_iteratorIjlEEPS9_SE_NS0_5tupleIJPjSE_EEENSF_IJSE_SE_EEES9_SG_JZNS1_25segmented_radix_sort_implINS0_14default_configELb1EPKaPaPKlPlN2at6native12_GLOBAL__N_18offset_tEEE10hipError_tPvRmT1_PNSt15iterator_traitsISY_E10value_typeET2_T3_PNSZ_IS14_E10value_typeET4_jRbjT5_S1A_jjP12ihipStream_tbEUljE_EEESV_SW_SX_S14_S18_S1A_T6_T7_T9_mT8_S1C_bDpT10_ENKUlT_T0_E_clISt17integral_constantIbLb1EES1P_EEDaS1K_S1L_EUlS1K_E_NS1_11comp_targetILNS1_3genE2ELNS1_11target_archE906ELNS1_3gpuE6ELNS1_3repE0EEENS1_30default_config_static_selectorELNS0_4arch9wavefront6targetE0EEEvSY_.numbered_sgpr, 0
	.set _ZN7rocprim17ROCPRIM_400000_NS6detail17trampoline_kernelINS0_13select_configILj256ELj13ELNS0_17block_load_methodE3ELS4_3ELS4_3ELNS0_20block_scan_algorithmE0ELj4294967295EEENS1_25partition_config_selectorILNS1_17partition_subalgoE3EjNS0_10empty_typeEbEEZZNS1_14partition_implILS8_3ELb0ES6_jNS0_17counting_iteratorIjlEEPS9_SE_NS0_5tupleIJPjSE_EEENSF_IJSE_SE_EEES9_SG_JZNS1_25segmented_radix_sort_implINS0_14default_configELb1EPKaPaPKlPlN2at6native12_GLOBAL__N_18offset_tEEE10hipError_tPvRmT1_PNSt15iterator_traitsISY_E10value_typeET2_T3_PNSZ_IS14_E10value_typeET4_jRbjT5_S1A_jjP12ihipStream_tbEUljE_EEESV_SW_SX_S14_S18_S1A_T6_T7_T9_mT8_S1C_bDpT10_ENKUlT_T0_E_clISt17integral_constantIbLb1EES1P_EEDaS1K_S1L_EUlS1K_E_NS1_11comp_targetILNS1_3genE2ELNS1_11target_archE906ELNS1_3gpuE6ELNS1_3repE0EEENS1_30default_config_static_selectorELNS0_4arch9wavefront6targetE0EEEvSY_.num_named_barrier, 0
	.set _ZN7rocprim17ROCPRIM_400000_NS6detail17trampoline_kernelINS0_13select_configILj256ELj13ELNS0_17block_load_methodE3ELS4_3ELS4_3ELNS0_20block_scan_algorithmE0ELj4294967295EEENS1_25partition_config_selectorILNS1_17partition_subalgoE3EjNS0_10empty_typeEbEEZZNS1_14partition_implILS8_3ELb0ES6_jNS0_17counting_iteratorIjlEEPS9_SE_NS0_5tupleIJPjSE_EEENSF_IJSE_SE_EEES9_SG_JZNS1_25segmented_radix_sort_implINS0_14default_configELb1EPKaPaPKlPlN2at6native12_GLOBAL__N_18offset_tEEE10hipError_tPvRmT1_PNSt15iterator_traitsISY_E10value_typeET2_T3_PNSZ_IS14_E10value_typeET4_jRbjT5_S1A_jjP12ihipStream_tbEUljE_EEESV_SW_SX_S14_S18_S1A_T6_T7_T9_mT8_S1C_bDpT10_ENKUlT_T0_E_clISt17integral_constantIbLb1EES1P_EEDaS1K_S1L_EUlS1K_E_NS1_11comp_targetILNS1_3genE2ELNS1_11target_archE906ELNS1_3gpuE6ELNS1_3repE0EEENS1_30default_config_static_selectorELNS0_4arch9wavefront6targetE0EEEvSY_.private_seg_size, 0
	.set _ZN7rocprim17ROCPRIM_400000_NS6detail17trampoline_kernelINS0_13select_configILj256ELj13ELNS0_17block_load_methodE3ELS4_3ELS4_3ELNS0_20block_scan_algorithmE0ELj4294967295EEENS1_25partition_config_selectorILNS1_17partition_subalgoE3EjNS0_10empty_typeEbEEZZNS1_14partition_implILS8_3ELb0ES6_jNS0_17counting_iteratorIjlEEPS9_SE_NS0_5tupleIJPjSE_EEENSF_IJSE_SE_EEES9_SG_JZNS1_25segmented_radix_sort_implINS0_14default_configELb1EPKaPaPKlPlN2at6native12_GLOBAL__N_18offset_tEEE10hipError_tPvRmT1_PNSt15iterator_traitsISY_E10value_typeET2_T3_PNSZ_IS14_E10value_typeET4_jRbjT5_S1A_jjP12ihipStream_tbEUljE_EEESV_SW_SX_S14_S18_S1A_T6_T7_T9_mT8_S1C_bDpT10_ENKUlT_T0_E_clISt17integral_constantIbLb1EES1P_EEDaS1K_S1L_EUlS1K_E_NS1_11comp_targetILNS1_3genE2ELNS1_11target_archE906ELNS1_3gpuE6ELNS1_3repE0EEENS1_30default_config_static_selectorELNS0_4arch9wavefront6targetE0EEEvSY_.uses_vcc, 0
	.set _ZN7rocprim17ROCPRIM_400000_NS6detail17trampoline_kernelINS0_13select_configILj256ELj13ELNS0_17block_load_methodE3ELS4_3ELS4_3ELNS0_20block_scan_algorithmE0ELj4294967295EEENS1_25partition_config_selectorILNS1_17partition_subalgoE3EjNS0_10empty_typeEbEEZZNS1_14partition_implILS8_3ELb0ES6_jNS0_17counting_iteratorIjlEEPS9_SE_NS0_5tupleIJPjSE_EEENSF_IJSE_SE_EEES9_SG_JZNS1_25segmented_radix_sort_implINS0_14default_configELb1EPKaPaPKlPlN2at6native12_GLOBAL__N_18offset_tEEE10hipError_tPvRmT1_PNSt15iterator_traitsISY_E10value_typeET2_T3_PNSZ_IS14_E10value_typeET4_jRbjT5_S1A_jjP12ihipStream_tbEUljE_EEESV_SW_SX_S14_S18_S1A_T6_T7_T9_mT8_S1C_bDpT10_ENKUlT_T0_E_clISt17integral_constantIbLb1EES1P_EEDaS1K_S1L_EUlS1K_E_NS1_11comp_targetILNS1_3genE2ELNS1_11target_archE906ELNS1_3gpuE6ELNS1_3repE0EEENS1_30default_config_static_selectorELNS0_4arch9wavefront6targetE0EEEvSY_.uses_flat_scratch, 0
	.set _ZN7rocprim17ROCPRIM_400000_NS6detail17trampoline_kernelINS0_13select_configILj256ELj13ELNS0_17block_load_methodE3ELS4_3ELS4_3ELNS0_20block_scan_algorithmE0ELj4294967295EEENS1_25partition_config_selectorILNS1_17partition_subalgoE3EjNS0_10empty_typeEbEEZZNS1_14partition_implILS8_3ELb0ES6_jNS0_17counting_iteratorIjlEEPS9_SE_NS0_5tupleIJPjSE_EEENSF_IJSE_SE_EEES9_SG_JZNS1_25segmented_radix_sort_implINS0_14default_configELb1EPKaPaPKlPlN2at6native12_GLOBAL__N_18offset_tEEE10hipError_tPvRmT1_PNSt15iterator_traitsISY_E10value_typeET2_T3_PNSZ_IS14_E10value_typeET4_jRbjT5_S1A_jjP12ihipStream_tbEUljE_EEESV_SW_SX_S14_S18_S1A_T6_T7_T9_mT8_S1C_bDpT10_ENKUlT_T0_E_clISt17integral_constantIbLb1EES1P_EEDaS1K_S1L_EUlS1K_E_NS1_11comp_targetILNS1_3genE2ELNS1_11target_archE906ELNS1_3gpuE6ELNS1_3repE0EEENS1_30default_config_static_selectorELNS0_4arch9wavefront6targetE0EEEvSY_.has_dyn_sized_stack, 0
	.set _ZN7rocprim17ROCPRIM_400000_NS6detail17trampoline_kernelINS0_13select_configILj256ELj13ELNS0_17block_load_methodE3ELS4_3ELS4_3ELNS0_20block_scan_algorithmE0ELj4294967295EEENS1_25partition_config_selectorILNS1_17partition_subalgoE3EjNS0_10empty_typeEbEEZZNS1_14partition_implILS8_3ELb0ES6_jNS0_17counting_iteratorIjlEEPS9_SE_NS0_5tupleIJPjSE_EEENSF_IJSE_SE_EEES9_SG_JZNS1_25segmented_radix_sort_implINS0_14default_configELb1EPKaPaPKlPlN2at6native12_GLOBAL__N_18offset_tEEE10hipError_tPvRmT1_PNSt15iterator_traitsISY_E10value_typeET2_T3_PNSZ_IS14_E10value_typeET4_jRbjT5_S1A_jjP12ihipStream_tbEUljE_EEESV_SW_SX_S14_S18_S1A_T6_T7_T9_mT8_S1C_bDpT10_ENKUlT_T0_E_clISt17integral_constantIbLb1EES1P_EEDaS1K_S1L_EUlS1K_E_NS1_11comp_targetILNS1_3genE2ELNS1_11target_archE906ELNS1_3gpuE6ELNS1_3repE0EEENS1_30default_config_static_selectorELNS0_4arch9wavefront6targetE0EEEvSY_.has_recursion, 0
	.set _ZN7rocprim17ROCPRIM_400000_NS6detail17trampoline_kernelINS0_13select_configILj256ELj13ELNS0_17block_load_methodE3ELS4_3ELS4_3ELNS0_20block_scan_algorithmE0ELj4294967295EEENS1_25partition_config_selectorILNS1_17partition_subalgoE3EjNS0_10empty_typeEbEEZZNS1_14partition_implILS8_3ELb0ES6_jNS0_17counting_iteratorIjlEEPS9_SE_NS0_5tupleIJPjSE_EEENSF_IJSE_SE_EEES9_SG_JZNS1_25segmented_radix_sort_implINS0_14default_configELb1EPKaPaPKlPlN2at6native12_GLOBAL__N_18offset_tEEE10hipError_tPvRmT1_PNSt15iterator_traitsISY_E10value_typeET2_T3_PNSZ_IS14_E10value_typeET4_jRbjT5_S1A_jjP12ihipStream_tbEUljE_EEESV_SW_SX_S14_S18_S1A_T6_T7_T9_mT8_S1C_bDpT10_ENKUlT_T0_E_clISt17integral_constantIbLb1EES1P_EEDaS1K_S1L_EUlS1K_E_NS1_11comp_targetILNS1_3genE2ELNS1_11target_archE906ELNS1_3gpuE6ELNS1_3repE0EEENS1_30default_config_static_selectorELNS0_4arch9wavefront6targetE0EEEvSY_.has_indirect_call, 0
	.section	.AMDGPU.csdata,"",@progbits
; Kernel info:
; codeLenInByte = 0
; TotalNumSgprs: 0
; NumVgprs: 0
; ScratchSize: 0
; MemoryBound: 0
; FloatMode: 240
; IeeeMode: 1
; LDSByteSize: 0 bytes/workgroup (compile time only)
; SGPRBlocks: 0
; VGPRBlocks: 0
; NumSGPRsForWavesPerEU: 1
; NumVGPRsForWavesPerEU: 1
; Occupancy: 16
; WaveLimiterHint : 0
; COMPUTE_PGM_RSRC2:SCRATCH_EN: 0
; COMPUTE_PGM_RSRC2:USER_SGPR: 2
; COMPUTE_PGM_RSRC2:TRAP_HANDLER: 0
; COMPUTE_PGM_RSRC2:TGID_X_EN: 1
; COMPUTE_PGM_RSRC2:TGID_Y_EN: 0
; COMPUTE_PGM_RSRC2:TGID_Z_EN: 0
; COMPUTE_PGM_RSRC2:TIDIG_COMP_CNT: 0
	.section	.text._ZN7rocprim17ROCPRIM_400000_NS6detail17trampoline_kernelINS0_13select_configILj256ELj13ELNS0_17block_load_methodE3ELS4_3ELS4_3ELNS0_20block_scan_algorithmE0ELj4294967295EEENS1_25partition_config_selectorILNS1_17partition_subalgoE3EjNS0_10empty_typeEbEEZZNS1_14partition_implILS8_3ELb0ES6_jNS0_17counting_iteratorIjlEEPS9_SE_NS0_5tupleIJPjSE_EEENSF_IJSE_SE_EEES9_SG_JZNS1_25segmented_radix_sort_implINS0_14default_configELb1EPKaPaPKlPlN2at6native12_GLOBAL__N_18offset_tEEE10hipError_tPvRmT1_PNSt15iterator_traitsISY_E10value_typeET2_T3_PNSZ_IS14_E10value_typeET4_jRbjT5_S1A_jjP12ihipStream_tbEUljE_EEESV_SW_SX_S14_S18_S1A_T6_T7_T9_mT8_S1C_bDpT10_ENKUlT_T0_E_clISt17integral_constantIbLb1EES1P_EEDaS1K_S1L_EUlS1K_E_NS1_11comp_targetILNS1_3genE10ELNS1_11target_archE1200ELNS1_3gpuE4ELNS1_3repE0EEENS1_30default_config_static_selectorELNS0_4arch9wavefront6targetE0EEEvSY_,"axG",@progbits,_ZN7rocprim17ROCPRIM_400000_NS6detail17trampoline_kernelINS0_13select_configILj256ELj13ELNS0_17block_load_methodE3ELS4_3ELS4_3ELNS0_20block_scan_algorithmE0ELj4294967295EEENS1_25partition_config_selectorILNS1_17partition_subalgoE3EjNS0_10empty_typeEbEEZZNS1_14partition_implILS8_3ELb0ES6_jNS0_17counting_iteratorIjlEEPS9_SE_NS0_5tupleIJPjSE_EEENSF_IJSE_SE_EEES9_SG_JZNS1_25segmented_radix_sort_implINS0_14default_configELb1EPKaPaPKlPlN2at6native12_GLOBAL__N_18offset_tEEE10hipError_tPvRmT1_PNSt15iterator_traitsISY_E10value_typeET2_T3_PNSZ_IS14_E10value_typeET4_jRbjT5_S1A_jjP12ihipStream_tbEUljE_EEESV_SW_SX_S14_S18_S1A_T6_T7_T9_mT8_S1C_bDpT10_ENKUlT_T0_E_clISt17integral_constantIbLb1EES1P_EEDaS1K_S1L_EUlS1K_E_NS1_11comp_targetILNS1_3genE10ELNS1_11target_archE1200ELNS1_3gpuE4ELNS1_3repE0EEENS1_30default_config_static_selectorELNS0_4arch9wavefront6targetE0EEEvSY_,comdat
	.globl	_ZN7rocprim17ROCPRIM_400000_NS6detail17trampoline_kernelINS0_13select_configILj256ELj13ELNS0_17block_load_methodE3ELS4_3ELS4_3ELNS0_20block_scan_algorithmE0ELj4294967295EEENS1_25partition_config_selectorILNS1_17partition_subalgoE3EjNS0_10empty_typeEbEEZZNS1_14partition_implILS8_3ELb0ES6_jNS0_17counting_iteratorIjlEEPS9_SE_NS0_5tupleIJPjSE_EEENSF_IJSE_SE_EEES9_SG_JZNS1_25segmented_radix_sort_implINS0_14default_configELb1EPKaPaPKlPlN2at6native12_GLOBAL__N_18offset_tEEE10hipError_tPvRmT1_PNSt15iterator_traitsISY_E10value_typeET2_T3_PNSZ_IS14_E10value_typeET4_jRbjT5_S1A_jjP12ihipStream_tbEUljE_EEESV_SW_SX_S14_S18_S1A_T6_T7_T9_mT8_S1C_bDpT10_ENKUlT_T0_E_clISt17integral_constantIbLb1EES1P_EEDaS1K_S1L_EUlS1K_E_NS1_11comp_targetILNS1_3genE10ELNS1_11target_archE1200ELNS1_3gpuE4ELNS1_3repE0EEENS1_30default_config_static_selectorELNS0_4arch9wavefront6targetE0EEEvSY_ ; -- Begin function _ZN7rocprim17ROCPRIM_400000_NS6detail17trampoline_kernelINS0_13select_configILj256ELj13ELNS0_17block_load_methodE3ELS4_3ELS4_3ELNS0_20block_scan_algorithmE0ELj4294967295EEENS1_25partition_config_selectorILNS1_17partition_subalgoE3EjNS0_10empty_typeEbEEZZNS1_14partition_implILS8_3ELb0ES6_jNS0_17counting_iteratorIjlEEPS9_SE_NS0_5tupleIJPjSE_EEENSF_IJSE_SE_EEES9_SG_JZNS1_25segmented_radix_sort_implINS0_14default_configELb1EPKaPaPKlPlN2at6native12_GLOBAL__N_18offset_tEEE10hipError_tPvRmT1_PNSt15iterator_traitsISY_E10value_typeET2_T3_PNSZ_IS14_E10value_typeET4_jRbjT5_S1A_jjP12ihipStream_tbEUljE_EEESV_SW_SX_S14_S18_S1A_T6_T7_T9_mT8_S1C_bDpT10_ENKUlT_T0_E_clISt17integral_constantIbLb1EES1P_EEDaS1K_S1L_EUlS1K_E_NS1_11comp_targetILNS1_3genE10ELNS1_11target_archE1200ELNS1_3gpuE4ELNS1_3repE0EEENS1_30default_config_static_selectorELNS0_4arch9wavefront6targetE0EEEvSY_
	.p2align	8
	.type	_ZN7rocprim17ROCPRIM_400000_NS6detail17trampoline_kernelINS0_13select_configILj256ELj13ELNS0_17block_load_methodE3ELS4_3ELS4_3ELNS0_20block_scan_algorithmE0ELj4294967295EEENS1_25partition_config_selectorILNS1_17partition_subalgoE3EjNS0_10empty_typeEbEEZZNS1_14partition_implILS8_3ELb0ES6_jNS0_17counting_iteratorIjlEEPS9_SE_NS0_5tupleIJPjSE_EEENSF_IJSE_SE_EEES9_SG_JZNS1_25segmented_radix_sort_implINS0_14default_configELb1EPKaPaPKlPlN2at6native12_GLOBAL__N_18offset_tEEE10hipError_tPvRmT1_PNSt15iterator_traitsISY_E10value_typeET2_T3_PNSZ_IS14_E10value_typeET4_jRbjT5_S1A_jjP12ihipStream_tbEUljE_EEESV_SW_SX_S14_S18_S1A_T6_T7_T9_mT8_S1C_bDpT10_ENKUlT_T0_E_clISt17integral_constantIbLb1EES1P_EEDaS1K_S1L_EUlS1K_E_NS1_11comp_targetILNS1_3genE10ELNS1_11target_archE1200ELNS1_3gpuE4ELNS1_3repE0EEENS1_30default_config_static_selectorELNS0_4arch9wavefront6targetE0EEEvSY_,@function
_ZN7rocprim17ROCPRIM_400000_NS6detail17trampoline_kernelINS0_13select_configILj256ELj13ELNS0_17block_load_methodE3ELS4_3ELS4_3ELNS0_20block_scan_algorithmE0ELj4294967295EEENS1_25partition_config_selectorILNS1_17partition_subalgoE3EjNS0_10empty_typeEbEEZZNS1_14partition_implILS8_3ELb0ES6_jNS0_17counting_iteratorIjlEEPS9_SE_NS0_5tupleIJPjSE_EEENSF_IJSE_SE_EEES9_SG_JZNS1_25segmented_radix_sort_implINS0_14default_configELb1EPKaPaPKlPlN2at6native12_GLOBAL__N_18offset_tEEE10hipError_tPvRmT1_PNSt15iterator_traitsISY_E10value_typeET2_T3_PNSZ_IS14_E10value_typeET4_jRbjT5_S1A_jjP12ihipStream_tbEUljE_EEESV_SW_SX_S14_S18_S1A_T6_T7_T9_mT8_S1C_bDpT10_ENKUlT_T0_E_clISt17integral_constantIbLb1EES1P_EEDaS1K_S1L_EUlS1K_E_NS1_11comp_targetILNS1_3genE10ELNS1_11target_archE1200ELNS1_3gpuE4ELNS1_3repE0EEENS1_30default_config_static_selectorELNS0_4arch9wavefront6targetE0EEEvSY_: ; @_ZN7rocprim17ROCPRIM_400000_NS6detail17trampoline_kernelINS0_13select_configILj256ELj13ELNS0_17block_load_methodE3ELS4_3ELS4_3ELNS0_20block_scan_algorithmE0ELj4294967295EEENS1_25partition_config_selectorILNS1_17partition_subalgoE3EjNS0_10empty_typeEbEEZZNS1_14partition_implILS8_3ELb0ES6_jNS0_17counting_iteratorIjlEEPS9_SE_NS0_5tupleIJPjSE_EEENSF_IJSE_SE_EEES9_SG_JZNS1_25segmented_radix_sort_implINS0_14default_configELb1EPKaPaPKlPlN2at6native12_GLOBAL__N_18offset_tEEE10hipError_tPvRmT1_PNSt15iterator_traitsISY_E10value_typeET2_T3_PNSZ_IS14_E10value_typeET4_jRbjT5_S1A_jjP12ihipStream_tbEUljE_EEESV_SW_SX_S14_S18_S1A_T6_T7_T9_mT8_S1C_bDpT10_ENKUlT_T0_E_clISt17integral_constantIbLb1EES1P_EEDaS1K_S1L_EUlS1K_E_NS1_11comp_targetILNS1_3genE10ELNS1_11target_archE1200ELNS1_3gpuE4ELNS1_3repE0EEENS1_30default_config_static_selectorELNS0_4arch9wavefront6targetE0EEEvSY_
; %bb.0:
	s_endpgm
	.section	.rodata,"a",@progbits
	.p2align	6, 0x0
	.amdhsa_kernel _ZN7rocprim17ROCPRIM_400000_NS6detail17trampoline_kernelINS0_13select_configILj256ELj13ELNS0_17block_load_methodE3ELS4_3ELS4_3ELNS0_20block_scan_algorithmE0ELj4294967295EEENS1_25partition_config_selectorILNS1_17partition_subalgoE3EjNS0_10empty_typeEbEEZZNS1_14partition_implILS8_3ELb0ES6_jNS0_17counting_iteratorIjlEEPS9_SE_NS0_5tupleIJPjSE_EEENSF_IJSE_SE_EEES9_SG_JZNS1_25segmented_radix_sort_implINS0_14default_configELb1EPKaPaPKlPlN2at6native12_GLOBAL__N_18offset_tEEE10hipError_tPvRmT1_PNSt15iterator_traitsISY_E10value_typeET2_T3_PNSZ_IS14_E10value_typeET4_jRbjT5_S1A_jjP12ihipStream_tbEUljE_EEESV_SW_SX_S14_S18_S1A_T6_T7_T9_mT8_S1C_bDpT10_ENKUlT_T0_E_clISt17integral_constantIbLb1EES1P_EEDaS1K_S1L_EUlS1K_E_NS1_11comp_targetILNS1_3genE10ELNS1_11target_archE1200ELNS1_3gpuE4ELNS1_3repE0EEENS1_30default_config_static_selectorELNS0_4arch9wavefront6targetE0EEEvSY_
		.amdhsa_group_segment_fixed_size 0
		.amdhsa_private_segment_fixed_size 0
		.amdhsa_kernarg_size 152
		.amdhsa_user_sgpr_count 2
		.amdhsa_user_sgpr_dispatch_ptr 0
		.amdhsa_user_sgpr_queue_ptr 0
		.amdhsa_user_sgpr_kernarg_segment_ptr 1
		.amdhsa_user_sgpr_dispatch_id 0
		.amdhsa_user_sgpr_private_segment_size 0
		.amdhsa_wavefront_size32 1
		.amdhsa_uses_dynamic_stack 0
		.amdhsa_enable_private_segment 0
		.amdhsa_system_sgpr_workgroup_id_x 1
		.amdhsa_system_sgpr_workgroup_id_y 0
		.amdhsa_system_sgpr_workgroup_id_z 0
		.amdhsa_system_sgpr_workgroup_info 0
		.amdhsa_system_vgpr_workitem_id 0
		.amdhsa_next_free_vgpr 1
		.amdhsa_next_free_sgpr 1
		.amdhsa_reserve_vcc 0
		.amdhsa_float_round_mode_32 0
		.amdhsa_float_round_mode_16_64 0
		.amdhsa_float_denorm_mode_32 3
		.amdhsa_float_denorm_mode_16_64 3
		.amdhsa_fp16_overflow 0
		.amdhsa_workgroup_processor_mode 1
		.amdhsa_memory_ordered 1
		.amdhsa_forward_progress 1
		.amdhsa_inst_pref_size 1
		.amdhsa_round_robin_scheduling 0
		.amdhsa_exception_fp_ieee_invalid_op 0
		.amdhsa_exception_fp_denorm_src 0
		.amdhsa_exception_fp_ieee_div_zero 0
		.amdhsa_exception_fp_ieee_overflow 0
		.amdhsa_exception_fp_ieee_underflow 0
		.amdhsa_exception_fp_ieee_inexact 0
		.amdhsa_exception_int_div_zero 0
	.end_amdhsa_kernel
	.section	.text._ZN7rocprim17ROCPRIM_400000_NS6detail17trampoline_kernelINS0_13select_configILj256ELj13ELNS0_17block_load_methodE3ELS4_3ELS4_3ELNS0_20block_scan_algorithmE0ELj4294967295EEENS1_25partition_config_selectorILNS1_17partition_subalgoE3EjNS0_10empty_typeEbEEZZNS1_14partition_implILS8_3ELb0ES6_jNS0_17counting_iteratorIjlEEPS9_SE_NS0_5tupleIJPjSE_EEENSF_IJSE_SE_EEES9_SG_JZNS1_25segmented_radix_sort_implINS0_14default_configELb1EPKaPaPKlPlN2at6native12_GLOBAL__N_18offset_tEEE10hipError_tPvRmT1_PNSt15iterator_traitsISY_E10value_typeET2_T3_PNSZ_IS14_E10value_typeET4_jRbjT5_S1A_jjP12ihipStream_tbEUljE_EEESV_SW_SX_S14_S18_S1A_T6_T7_T9_mT8_S1C_bDpT10_ENKUlT_T0_E_clISt17integral_constantIbLb1EES1P_EEDaS1K_S1L_EUlS1K_E_NS1_11comp_targetILNS1_3genE10ELNS1_11target_archE1200ELNS1_3gpuE4ELNS1_3repE0EEENS1_30default_config_static_selectorELNS0_4arch9wavefront6targetE0EEEvSY_,"axG",@progbits,_ZN7rocprim17ROCPRIM_400000_NS6detail17trampoline_kernelINS0_13select_configILj256ELj13ELNS0_17block_load_methodE3ELS4_3ELS4_3ELNS0_20block_scan_algorithmE0ELj4294967295EEENS1_25partition_config_selectorILNS1_17partition_subalgoE3EjNS0_10empty_typeEbEEZZNS1_14partition_implILS8_3ELb0ES6_jNS0_17counting_iteratorIjlEEPS9_SE_NS0_5tupleIJPjSE_EEENSF_IJSE_SE_EEES9_SG_JZNS1_25segmented_radix_sort_implINS0_14default_configELb1EPKaPaPKlPlN2at6native12_GLOBAL__N_18offset_tEEE10hipError_tPvRmT1_PNSt15iterator_traitsISY_E10value_typeET2_T3_PNSZ_IS14_E10value_typeET4_jRbjT5_S1A_jjP12ihipStream_tbEUljE_EEESV_SW_SX_S14_S18_S1A_T6_T7_T9_mT8_S1C_bDpT10_ENKUlT_T0_E_clISt17integral_constantIbLb1EES1P_EEDaS1K_S1L_EUlS1K_E_NS1_11comp_targetILNS1_3genE10ELNS1_11target_archE1200ELNS1_3gpuE4ELNS1_3repE0EEENS1_30default_config_static_selectorELNS0_4arch9wavefront6targetE0EEEvSY_,comdat
.Lfunc_end271:
	.size	_ZN7rocprim17ROCPRIM_400000_NS6detail17trampoline_kernelINS0_13select_configILj256ELj13ELNS0_17block_load_methodE3ELS4_3ELS4_3ELNS0_20block_scan_algorithmE0ELj4294967295EEENS1_25partition_config_selectorILNS1_17partition_subalgoE3EjNS0_10empty_typeEbEEZZNS1_14partition_implILS8_3ELb0ES6_jNS0_17counting_iteratorIjlEEPS9_SE_NS0_5tupleIJPjSE_EEENSF_IJSE_SE_EEES9_SG_JZNS1_25segmented_radix_sort_implINS0_14default_configELb1EPKaPaPKlPlN2at6native12_GLOBAL__N_18offset_tEEE10hipError_tPvRmT1_PNSt15iterator_traitsISY_E10value_typeET2_T3_PNSZ_IS14_E10value_typeET4_jRbjT5_S1A_jjP12ihipStream_tbEUljE_EEESV_SW_SX_S14_S18_S1A_T6_T7_T9_mT8_S1C_bDpT10_ENKUlT_T0_E_clISt17integral_constantIbLb1EES1P_EEDaS1K_S1L_EUlS1K_E_NS1_11comp_targetILNS1_3genE10ELNS1_11target_archE1200ELNS1_3gpuE4ELNS1_3repE0EEENS1_30default_config_static_selectorELNS0_4arch9wavefront6targetE0EEEvSY_, .Lfunc_end271-_ZN7rocprim17ROCPRIM_400000_NS6detail17trampoline_kernelINS0_13select_configILj256ELj13ELNS0_17block_load_methodE3ELS4_3ELS4_3ELNS0_20block_scan_algorithmE0ELj4294967295EEENS1_25partition_config_selectorILNS1_17partition_subalgoE3EjNS0_10empty_typeEbEEZZNS1_14partition_implILS8_3ELb0ES6_jNS0_17counting_iteratorIjlEEPS9_SE_NS0_5tupleIJPjSE_EEENSF_IJSE_SE_EEES9_SG_JZNS1_25segmented_radix_sort_implINS0_14default_configELb1EPKaPaPKlPlN2at6native12_GLOBAL__N_18offset_tEEE10hipError_tPvRmT1_PNSt15iterator_traitsISY_E10value_typeET2_T3_PNSZ_IS14_E10value_typeET4_jRbjT5_S1A_jjP12ihipStream_tbEUljE_EEESV_SW_SX_S14_S18_S1A_T6_T7_T9_mT8_S1C_bDpT10_ENKUlT_T0_E_clISt17integral_constantIbLb1EES1P_EEDaS1K_S1L_EUlS1K_E_NS1_11comp_targetILNS1_3genE10ELNS1_11target_archE1200ELNS1_3gpuE4ELNS1_3repE0EEENS1_30default_config_static_selectorELNS0_4arch9wavefront6targetE0EEEvSY_
                                        ; -- End function
	.set _ZN7rocprim17ROCPRIM_400000_NS6detail17trampoline_kernelINS0_13select_configILj256ELj13ELNS0_17block_load_methodE3ELS4_3ELS4_3ELNS0_20block_scan_algorithmE0ELj4294967295EEENS1_25partition_config_selectorILNS1_17partition_subalgoE3EjNS0_10empty_typeEbEEZZNS1_14partition_implILS8_3ELb0ES6_jNS0_17counting_iteratorIjlEEPS9_SE_NS0_5tupleIJPjSE_EEENSF_IJSE_SE_EEES9_SG_JZNS1_25segmented_radix_sort_implINS0_14default_configELb1EPKaPaPKlPlN2at6native12_GLOBAL__N_18offset_tEEE10hipError_tPvRmT1_PNSt15iterator_traitsISY_E10value_typeET2_T3_PNSZ_IS14_E10value_typeET4_jRbjT5_S1A_jjP12ihipStream_tbEUljE_EEESV_SW_SX_S14_S18_S1A_T6_T7_T9_mT8_S1C_bDpT10_ENKUlT_T0_E_clISt17integral_constantIbLb1EES1P_EEDaS1K_S1L_EUlS1K_E_NS1_11comp_targetILNS1_3genE10ELNS1_11target_archE1200ELNS1_3gpuE4ELNS1_3repE0EEENS1_30default_config_static_selectorELNS0_4arch9wavefront6targetE0EEEvSY_.num_vgpr, 0
	.set _ZN7rocprim17ROCPRIM_400000_NS6detail17trampoline_kernelINS0_13select_configILj256ELj13ELNS0_17block_load_methodE3ELS4_3ELS4_3ELNS0_20block_scan_algorithmE0ELj4294967295EEENS1_25partition_config_selectorILNS1_17partition_subalgoE3EjNS0_10empty_typeEbEEZZNS1_14partition_implILS8_3ELb0ES6_jNS0_17counting_iteratorIjlEEPS9_SE_NS0_5tupleIJPjSE_EEENSF_IJSE_SE_EEES9_SG_JZNS1_25segmented_radix_sort_implINS0_14default_configELb1EPKaPaPKlPlN2at6native12_GLOBAL__N_18offset_tEEE10hipError_tPvRmT1_PNSt15iterator_traitsISY_E10value_typeET2_T3_PNSZ_IS14_E10value_typeET4_jRbjT5_S1A_jjP12ihipStream_tbEUljE_EEESV_SW_SX_S14_S18_S1A_T6_T7_T9_mT8_S1C_bDpT10_ENKUlT_T0_E_clISt17integral_constantIbLb1EES1P_EEDaS1K_S1L_EUlS1K_E_NS1_11comp_targetILNS1_3genE10ELNS1_11target_archE1200ELNS1_3gpuE4ELNS1_3repE0EEENS1_30default_config_static_selectorELNS0_4arch9wavefront6targetE0EEEvSY_.num_agpr, 0
	.set _ZN7rocprim17ROCPRIM_400000_NS6detail17trampoline_kernelINS0_13select_configILj256ELj13ELNS0_17block_load_methodE3ELS4_3ELS4_3ELNS0_20block_scan_algorithmE0ELj4294967295EEENS1_25partition_config_selectorILNS1_17partition_subalgoE3EjNS0_10empty_typeEbEEZZNS1_14partition_implILS8_3ELb0ES6_jNS0_17counting_iteratorIjlEEPS9_SE_NS0_5tupleIJPjSE_EEENSF_IJSE_SE_EEES9_SG_JZNS1_25segmented_radix_sort_implINS0_14default_configELb1EPKaPaPKlPlN2at6native12_GLOBAL__N_18offset_tEEE10hipError_tPvRmT1_PNSt15iterator_traitsISY_E10value_typeET2_T3_PNSZ_IS14_E10value_typeET4_jRbjT5_S1A_jjP12ihipStream_tbEUljE_EEESV_SW_SX_S14_S18_S1A_T6_T7_T9_mT8_S1C_bDpT10_ENKUlT_T0_E_clISt17integral_constantIbLb1EES1P_EEDaS1K_S1L_EUlS1K_E_NS1_11comp_targetILNS1_3genE10ELNS1_11target_archE1200ELNS1_3gpuE4ELNS1_3repE0EEENS1_30default_config_static_selectorELNS0_4arch9wavefront6targetE0EEEvSY_.numbered_sgpr, 0
	.set _ZN7rocprim17ROCPRIM_400000_NS6detail17trampoline_kernelINS0_13select_configILj256ELj13ELNS0_17block_load_methodE3ELS4_3ELS4_3ELNS0_20block_scan_algorithmE0ELj4294967295EEENS1_25partition_config_selectorILNS1_17partition_subalgoE3EjNS0_10empty_typeEbEEZZNS1_14partition_implILS8_3ELb0ES6_jNS0_17counting_iteratorIjlEEPS9_SE_NS0_5tupleIJPjSE_EEENSF_IJSE_SE_EEES9_SG_JZNS1_25segmented_radix_sort_implINS0_14default_configELb1EPKaPaPKlPlN2at6native12_GLOBAL__N_18offset_tEEE10hipError_tPvRmT1_PNSt15iterator_traitsISY_E10value_typeET2_T3_PNSZ_IS14_E10value_typeET4_jRbjT5_S1A_jjP12ihipStream_tbEUljE_EEESV_SW_SX_S14_S18_S1A_T6_T7_T9_mT8_S1C_bDpT10_ENKUlT_T0_E_clISt17integral_constantIbLb1EES1P_EEDaS1K_S1L_EUlS1K_E_NS1_11comp_targetILNS1_3genE10ELNS1_11target_archE1200ELNS1_3gpuE4ELNS1_3repE0EEENS1_30default_config_static_selectorELNS0_4arch9wavefront6targetE0EEEvSY_.num_named_barrier, 0
	.set _ZN7rocprim17ROCPRIM_400000_NS6detail17trampoline_kernelINS0_13select_configILj256ELj13ELNS0_17block_load_methodE3ELS4_3ELS4_3ELNS0_20block_scan_algorithmE0ELj4294967295EEENS1_25partition_config_selectorILNS1_17partition_subalgoE3EjNS0_10empty_typeEbEEZZNS1_14partition_implILS8_3ELb0ES6_jNS0_17counting_iteratorIjlEEPS9_SE_NS0_5tupleIJPjSE_EEENSF_IJSE_SE_EEES9_SG_JZNS1_25segmented_radix_sort_implINS0_14default_configELb1EPKaPaPKlPlN2at6native12_GLOBAL__N_18offset_tEEE10hipError_tPvRmT1_PNSt15iterator_traitsISY_E10value_typeET2_T3_PNSZ_IS14_E10value_typeET4_jRbjT5_S1A_jjP12ihipStream_tbEUljE_EEESV_SW_SX_S14_S18_S1A_T6_T7_T9_mT8_S1C_bDpT10_ENKUlT_T0_E_clISt17integral_constantIbLb1EES1P_EEDaS1K_S1L_EUlS1K_E_NS1_11comp_targetILNS1_3genE10ELNS1_11target_archE1200ELNS1_3gpuE4ELNS1_3repE0EEENS1_30default_config_static_selectorELNS0_4arch9wavefront6targetE0EEEvSY_.private_seg_size, 0
	.set _ZN7rocprim17ROCPRIM_400000_NS6detail17trampoline_kernelINS0_13select_configILj256ELj13ELNS0_17block_load_methodE3ELS4_3ELS4_3ELNS0_20block_scan_algorithmE0ELj4294967295EEENS1_25partition_config_selectorILNS1_17partition_subalgoE3EjNS0_10empty_typeEbEEZZNS1_14partition_implILS8_3ELb0ES6_jNS0_17counting_iteratorIjlEEPS9_SE_NS0_5tupleIJPjSE_EEENSF_IJSE_SE_EEES9_SG_JZNS1_25segmented_radix_sort_implINS0_14default_configELb1EPKaPaPKlPlN2at6native12_GLOBAL__N_18offset_tEEE10hipError_tPvRmT1_PNSt15iterator_traitsISY_E10value_typeET2_T3_PNSZ_IS14_E10value_typeET4_jRbjT5_S1A_jjP12ihipStream_tbEUljE_EEESV_SW_SX_S14_S18_S1A_T6_T7_T9_mT8_S1C_bDpT10_ENKUlT_T0_E_clISt17integral_constantIbLb1EES1P_EEDaS1K_S1L_EUlS1K_E_NS1_11comp_targetILNS1_3genE10ELNS1_11target_archE1200ELNS1_3gpuE4ELNS1_3repE0EEENS1_30default_config_static_selectorELNS0_4arch9wavefront6targetE0EEEvSY_.uses_vcc, 0
	.set _ZN7rocprim17ROCPRIM_400000_NS6detail17trampoline_kernelINS0_13select_configILj256ELj13ELNS0_17block_load_methodE3ELS4_3ELS4_3ELNS0_20block_scan_algorithmE0ELj4294967295EEENS1_25partition_config_selectorILNS1_17partition_subalgoE3EjNS0_10empty_typeEbEEZZNS1_14partition_implILS8_3ELb0ES6_jNS0_17counting_iteratorIjlEEPS9_SE_NS0_5tupleIJPjSE_EEENSF_IJSE_SE_EEES9_SG_JZNS1_25segmented_radix_sort_implINS0_14default_configELb1EPKaPaPKlPlN2at6native12_GLOBAL__N_18offset_tEEE10hipError_tPvRmT1_PNSt15iterator_traitsISY_E10value_typeET2_T3_PNSZ_IS14_E10value_typeET4_jRbjT5_S1A_jjP12ihipStream_tbEUljE_EEESV_SW_SX_S14_S18_S1A_T6_T7_T9_mT8_S1C_bDpT10_ENKUlT_T0_E_clISt17integral_constantIbLb1EES1P_EEDaS1K_S1L_EUlS1K_E_NS1_11comp_targetILNS1_3genE10ELNS1_11target_archE1200ELNS1_3gpuE4ELNS1_3repE0EEENS1_30default_config_static_selectorELNS0_4arch9wavefront6targetE0EEEvSY_.uses_flat_scratch, 0
	.set _ZN7rocprim17ROCPRIM_400000_NS6detail17trampoline_kernelINS0_13select_configILj256ELj13ELNS0_17block_load_methodE3ELS4_3ELS4_3ELNS0_20block_scan_algorithmE0ELj4294967295EEENS1_25partition_config_selectorILNS1_17partition_subalgoE3EjNS0_10empty_typeEbEEZZNS1_14partition_implILS8_3ELb0ES6_jNS0_17counting_iteratorIjlEEPS9_SE_NS0_5tupleIJPjSE_EEENSF_IJSE_SE_EEES9_SG_JZNS1_25segmented_radix_sort_implINS0_14default_configELb1EPKaPaPKlPlN2at6native12_GLOBAL__N_18offset_tEEE10hipError_tPvRmT1_PNSt15iterator_traitsISY_E10value_typeET2_T3_PNSZ_IS14_E10value_typeET4_jRbjT5_S1A_jjP12ihipStream_tbEUljE_EEESV_SW_SX_S14_S18_S1A_T6_T7_T9_mT8_S1C_bDpT10_ENKUlT_T0_E_clISt17integral_constantIbLb1EES1P_EEDaS1K_S1L_EUlS1K_E_NS1_11comp_targetILNS1_3genE10ELNS1_11target_archE1200ELNS1_3gpuE4ELNS1_3repE0EEENS1_30default_config_static_selectorELNS0_4arch9wavefront6targetE0EEEvSY_.has_dyn_sized_stack, 0
	.set _ZN7rocprim17ROCPRIM_400000_NS6detail17trampoline_kernelINS0_13select_configILj256ELj13ELNS0_17block_load_methodE3ELS4_3ELS4_3ELNS0_20block_scan_algorithmE0ELj4294967295EEENS1_25partition_config_selectorILNS1_17partition_subalgoE3EjNS0_10empty_typeEbEEZZNS1_14partition_implILS8_3ELb0ES6_jNS0_17counting_iteratorIjlEEPS9_SE_NS0_5tupleIJPjSE_EEENSF_IJSE_SE_EEES9_SG_JZNS1_25segmented_radix_sort_implINS0_14default_configELb1EPKaPaPKlPlN2at6native12_GLOBAL__N_18offset_tEEE10hipError_tPvRmT1_PNSt15iterator_traitsISY_E10value_typeET2_T3_PNSZ_IS14_E10value_typeET4_jRbjT5_S1A_jjP12ihipStream_tbEUljE_EEESV_SW_SX_S14_S18_S1A_T6_T7_T9_mT8_S1C_bDpT10_ENKUlT_T0_E_clISt17integral_constantIbLb1EES1P_EEDaS1K_S1L_EUlS1K_E_NS1_11comp_targetILNS1_3genE10ELNS1_11target_archE1200ELNS1_3gpuE4ELNS1_3repE0EEENS1_30default_config_static_selectorELNS0_4arch9wavefront6targetE0EEEvSY_.has_recursion, 0
	.set _ZN7rocprim17ROCPRIM_400000_NS6detail17trampoline_kernelINS0_13select_configILj256ELj13ELNS0_17block_load_methodE3ELS4_3ELS4_3ELNS0_20block_scan_algorithmE0ELj4294967295EEENS1_25partition_config_selectorILNS1_17partition_subalgoE3EjNS0_10empty_typeEbEEZZNS1_14partition_implILS8_3ELb0ES6_jNS0_17counting_iteratorIjlEEPS9_SE_NS0_5tupleIJPjSE_EEENSF_IJSE_SE_EEES9_SG_JZNS1_25segmented_radix_sort_implINS0_14default_configELb1EPKaPaPKlPlN2at6native12_GLOBAL__N_18offset_tEEE10hipError_tPvRmT1_PNSt15iterator_traitsISY_E10value_typeET2_T3_PNSZ_IS14_E10value_typeET4_jRbjT5_S1A_jjP12ihipStream_tbEUljE_EEESV_SW_SX_S14_S18_S1A_T6_T7_T9_mT8_S1C_bDpT10_ENKUlT_T0_E_clISt17integral_constantIbLb1EES1P_EEDaS1K_S1L_EUlS1K_E_NS1_11comp_targetILNS1_3genE10ELNS1_11target_archE1200ELNS1_3gpuE4ELNS1_3repE0EEENS1_30default_config_static_selectorELNS0_4arch9wavefront6targetE0EEEvSY_.has_indirect_call, 0
	.section	.AMDGPU.csdata,"",@progbits
; Kernel info:
; codeLenInByte = 4
; TotalNumSgprs: 0
; NumVgprs: 0
; ScratchSize: 0
; MemoryBound: 0
; FloatMode: 240
; IeeeMode: 1
; LDSByteSize: 0 bytes/workgroup (compile time only)
; SGPRBlocks: 0
; VGPRBlocks: 0
; NumSGPRsForWavesPerEU: 1
; NumVGPRsForWavesPerEU: 1
; Occupancy: 16
; WaveLimiterHint : 0
; COMPUTE_PGM_RSRC2:SCRATCH_EN: 0
; COMPUTE_PGM_RSRC2:USER_SGPR: 2
; COMPUTE_PGM_RSRC2:TRAP_HANDLER: 0
; COMPUTE_PGM_RSRC2:TGID_X_EN: 1
; COMPUTE_PGM_RSRC2:TGID_Y_EN: 0
; COMPUTE_PGM_RSRC2:TGID_Z_EN: 0
; COMPUTE_PGM_RSRC2:TIDIG_COMP_CNT: 0
	.section	.text._ZN7rocprim17ROCPRIM_400000_NS6detail17trampoline_kernelINS0_13select_configILj256ELj13ELNS0_17block_load_methodE3ELS4_3ELS4_3ELNS0_20block_scan_algorithmE0ELj4294967295EEENS1_25partition_config_selectorILNS1_17partition_subalgoE3EjNS0_10empty_typeEbEEZZNS1_14partition_implILS8_3ELb0ES6_jNS0_17counting_iteratorIjlEEPS9_SE_NS0_5tupleIJPjSE_EEENSF_IJSE_SE_EEES9_SG_JZNS1_25segmented_radix_sort_implINS0_14default_configELb1EPKaPaPKlPlN2at6native12_GLOBAL__N_18offset_tEEE10hipError_tPvRmT1_PNSt15iterator_traitsISY_E10value_typeET2_T3_PNSZ_IS14_E10value_typeET4_jRbjT5_S1A_jjP12ihipStream_tbEUljE_EEESV_SW_SX_S14_S18_S1A_T6_T7_T9_mT8_S1C_bDpT10_ENKUlT_T0_E_clISt17integral_constantIbLb1EES1P_EEDaS1K_S1L_EUlS1K_E_NS1_11comp_targetILNS1_3genE9ELNS1_11target_archE1100ELNS1_3gpuE3ELNS1_3repE0EEENS1_30default_config_static_selectorELNS0_4arch9wavefront6targetE0EEEvSY_,"axG",@progbits,_ZN7rocprim17ROCPRIM_400000_NS6detail17trampoline_kernelINS0_13select_configILj256ELj13ELNS0_17block_load_methodE3ELS4_3ELS4_3ELNS0_20block_scan_algorithmE0ELj4294967295EEENS1_25partition_config_selectorILNS1_17partition_subalgoE3EjNS0_10empty_typeEbEEZZNS1_14partition_implILS8_3ELb0ES6_jNS0_17counting_iteratorIjlEEPS9_SE_NS0_5tupleIJPjSE_EEENSF_IJSE_SE_EEES9_SG_JZNS1_25segmented_radix_sort_implINS0_14default_configELb1EPKaPaPKlPlN2at6native12_GLOBAL__N_18offset_tEEE10hipError_tPvRmT1_PNSt15iterator_traitsISY_E10value_typeET2_T3_PNSZ_IS14_E10value_typeET4_jRbjT5_S1A_jjP12ihipStream_tbEUljE_EEESV_SW_SX_S14_S18_S1A_T6_T7_T9_mT8_S1C_bDpT10_ENKUlT_T0_E_clISt17integral_constantIbLb1EES1P_EEDaS1K_S1L_EUlS1K_E_NS1_11comp_targetILNS1_3genE9ELNS1_11target_archE1100ELNS1_3gpuE3ELNS1_3repE0EEENS1_30default_config_static_selectorELNS0_4arch9wavefront6targetE0EEEvSY_,comdat
	.globl	_ZN7rocprim17ROCPRIM_400000_NS6detail17trampoline_kernelINS0_13select_configILj256ELj13ELNS0_17block_load_methodE3ELS4_3ELS4_3ELNS0_20block_scan_algorithmE0ELj4294967295EEENS1_25partition_config_selectorILNS1_17partition_subalgoE3EjNS0_10empty_typeEbEEZZNS1_14partition_implILS8_3ELb0ES6_jNS0_17counting_iteratorIjlEEPS9_SE_NS0_5tupleIJPjSE_EEENSF_IJSE_SE_EEES9_SG_JZNS1_25segmented_radix_sort_implINS0_14default_configELb1EPKaPaPKlPlN2at6native12_GLOBAL__N_18offset_tEEE10hipError_tPvRmT1_PNSt15iterator_traitsISY_E10value_typeET2_T3_PNSZ_IS14_E10value_typeET4_jRbjT5_S1A_jjP12ihipStream_tbEUljE_EEESV_SW_SX_S14_S18_S1A_T6_T7_T9_mT8_S1C_bDpT10_ENKUlT_T0_E_clISt17integral_constantIbLb1EES1P_EEDaS1K_S1L_EUlS1K_E_NS1_11comp_targetILNS1_3genE9ELNS1_11target_archE1100ELNS1_3gpuE3ELNS1_3repE0EEENS1_30default_config_static_selectorELNS0_4arch9wavefront6targetE0EEEvSY_ ; -- Begin function _ZN7rocprim17ROCPRIM_400000_NS6detail17trampoline_kernelINS0_13select_configILj256ELj13ELNS0_17block_load_methodE3ELS4_3ELS4_3ELNS0_20block_scan_algorithmE0ELj4294967295EEENS1_25partition_config_selectorILNS1_17partition_subalgoE3EjNS0_10empty_typeEbEEZZNS1_14partition_implILS8_3ELb0ES6_jNS0_17counting_iteratorIjlEEPS9_SE_NS0_5tupleIJPjSE_EEENSF_IJSE_SE_EEES9_SG_JZNS1_25segmented_radix_sort_implINS0_14default_configELb1EPKaPaPKlPlN2at6native12_GLOBAL__N_18offset_tEEE10hipError_tPvRmT1_PNSt15iterator_traitsISY_E10value_typeET2_T3_PNSZ_IS14_E10value_typeET4_jRbjT5_S1A_jjP12ihipStream_tbEUljE_EEESV_SW_SX_S14_S18_S1A_T6_T7_T9_mT8_S1C_bDpT10_ENKUlT_T0_E_clISt17integral_constantIbLb1EES1P_EEDaS1K_S1L_EUlS1K_E_NS1_11comp_targetILNS1_3genE9ELNS1_11target_archE1100ELNS1_3gpuE3ELNS1_3repE0EEENS1_30default_config_static_selectorELNS0_4arch9wavefront6targetE0EEEvSY_
	.p2align	8
	.type	_ZN7rocprim17ROCPRIM_400000_NS6detail17trampoline_kernelINS0_13select_configILj256ELj13ELNS0_17block_load_methodE3ELS4_3ELS4_3ELNS0_20block_scan_algorithmE0ELj4294967295EEENS1_25partition_config_selectorILNS1_17partition_subalgoE3EjNS0_10empty_typeEbEEZZNS1_14partition_implILS8_3ELb0ES6_jNS0_17counting_iteratorIjlEEPS9_SE_NS0_5tupleIJPjSE_EEENSF_IJSE_SE_EEES9_SG_JZNS1_25segmented_radix_sort_implINS0_14default_configELb1EPKaPaPKlPlN2at6native12_GLOBAL__N_18offset_tEEE10hipError_tPvRmT1_PNSt15iterator_traitsISY_E10value_typeET2_T3_PNSZ_IS14_E10value_typeET4_jRbjT5_S1A_jjP12ihipStream_tbEUljE_EEESV_SW_SX_S14_S18_S1A_T6_T7_T9_mT8_S1C_bDpT10_ENKUlT_T0_E_clISt17integral_constantIbLb1EES1P_EEDaS1K_S1L_EUlS1K_E_NS1_11comp_targetILNS1_3genE9ELNS1_11target_archE1100ELNS1_3gpuE3ELNS1_3repE0EEENS1_30default_config_static_selectorELNS0_4arch9wavefront6targetE0EEEvSY_,@function
_ZN7rocprim17ROCPRIM_400000_NS6detail17trampoline_kernelINS0_13select_configILj256ELj13ELNS0_17block_load_methodE3ELS4_3ELS4_3ELNS0_20block_scan_algorithmE0ELj4294967295EEENS1_25partition_config_selectorILNS1_17partition_subalgoE3EjNS0_10empty_typeEbEEZZNS1_14partition_implILS8_3ELb0ES6_jNS0_17counting_iteratorIjlEEPS9_SE_NS0_5tupleIJPjSE_EEENSF_IJSE_SE_EEES9_SG_JZNS1_25segmented_radix_sort_implINS0_14default_configELb1EPKaPaPKlPlN2at6native12_GLOBAL__N_18offset_tEEE10hipError_tPvRmT1_PNSt15iterator_traitsISY_E10value_typeET2_T3_PNSZ_IS14_E10value_typeET4_jRbjT5_S1A_jjP12ihipStream_tbEUljE_EEESV_SW_SX_S14_S18_S1A_T6_T7_T9_mT8_S1C_bDpT10_ENKUlT_T0_E_clISt17integral_constantIbLb1EES1P_EEDaS1K_S1L_EUlS1K_E_NS1_11comp_targetILNS1_3genE9ELNS1_11target_archE1100ELNS1_3gpuE3ELNS1_3repE0EEENS1_30default_config_static_selectorELNS0_4arch9wavefront6targetE0EEEvSY_: ; @_ZN7rocprim17ROCPRIM_400000_NS6detail17trampoline_kernelINS0_13select_configILj256ELj13ELNS0_17block_load_methodE3ELS4_3ELS4_3ELNS0_20block_scan_algorithmE0ELj4294967295EEENS1_25partition_config_selectorILNS1_17partition_subalgoE3EjNS0_10empty_typeEbEEZZNS1_14partition_implILS8_3ELb0ES6_jNS0_17counting_iteratorIjlEEPS9_SE_NS0_5tupleIJPjSE_EEENSF_IJSE_SE_EEES9_SG_JZNS1_25segmented_radix_sort_implINS0_14default_configELb1EPKaPaPKlPlN2at6native12_GLOBAL__N_18offset_tEEE10hipError_tPvRmT1_PNSt15iterator_traitsISY_E10value_typeET2_T3_PNSZ_IS14_E10value_typeET4_jRbjT5_S1A_jjP12ihipStream_tbEUljE_EEESV_SW_SX_S14_S18_S1A_T6_T7_T9_mT8_S1C_bDpT10_ENKUlT_T0_E_clISt17integral_constantIbLb1EES1P_EEDaS1K_S1L_EUlS1K_E_NS1_11comp_targetILNS1_3genE9ELNS1_11target_archE1100ELNS1_3gpuE3ELNS1_3repE0EEENS1_30default_config_static_selectorELNS0_4arch9wavefront6targetE0EEEvSY_
; %bb.0:
	.section	.rodata,"a",@progbits
	.p2align	6, 0x0
	.amdhsa_kernel _ZN7rocprim17ROCPRIM_400000_NS6detail17trampoline_kernelINS0_13select_configILj256ELj13ELNS0_17block_load_methodE3ELS4_3ELS4_3ELNS0_20block_scan_algorithmE0ELj4294967295EEENS1_25partition_config_selectorILNS1_17partition_subalgoE3EjNS0_10empty_typeEbEEZZNS1_14partition_implILS8_3ELb0ES6_jNS0_17counting_iteratorIjlEEPS9_SE_NS0_5tupleIJPjSE_EEENSF_IJSE_SE_EEES9_SG_JZNS1_25segmented_radix_sort_implINS0_14default_configELb1EPKaPaPKlPlN2at6native12_GLOBAL__N_18offset_tEEE10hipError_tPvRmT1_PNSt15iterator_traitsISY_E10value_typeET2_T3_PNSZ_IS14_E10value_typeET4_jRbjT5_S1A_jjP12ihipStream_tbEUljE_EEESV_SW_SX_S14_S18_S1A_T6_T7_T9_mT8_S1C_bDpT10_ENKUlT_T0_E_clISt17integral_constantIbLb1EES1P_EEDaS1K_S1L_EUlS1K_E_NS1_11comp_targetILNS1_3genE9ELNS1_11target_archE1100ELNS1_3gpuE3ELNS1_3repE0EEENS1_30default_config_static_selectorELNS0_4arch9wavefront6targetE0EEEvSY_
		.amdhsa_group_segment_fixed_size 0
		.amdhsa_private_segment_fixed_size 0
		.amdhsa_kernarg_size 152
		.amdhsa_user_sgpr_count 2
		.amdhsa_user_sgpr_dispatch_ptr 0
		.amdhsa_user_sgpr_queue_ptr 0
		.amdhsa_user_sgpr_kernarg_segment_ptr 1
		.amdhsa_user_sgpr_dispatch_id 0
		.amdhsa_user_sgpr_private_segment_size 0
		.amdhsa_wavefront_size32 1
		.amdhsa_uses_dynamic_stack 0
		.amdhsa_enable_private_segment 0
		.amdhsa_system_sgpr_workgroup_id_x 1
		.amdhsa_system_sgpr_workgroup_id_y 0
		.amdhsa_system_sgpr_workgroup_id_z 0
		.amdhsa_system_sgpr_workgroup_info 0
		.amdhsa_system_vgpr_workitem_id 0
		.amdhsa_next_free_vgpr 1
		.amdhsa_next_free_sgpr 1
		.amdhsa_reserve_vcc 0
		.amdhsa_float_round_mode_32 0
		.amdhsa_float_round_mode_16_64 0
		.amdhsa_float_denorm_mode_32 3
		.amdhsa_float_denorm_mode_16_64 3
		.amdhsa_fp16_overflow 0
		.amdhsa_workgroup_processor_mode 1
		.amdhsa_memory_ordered 1
		.amdhsa_forward_progress 1
		.amdhsa_inst_pref_size 0
		.amdhsa_round_robin_scheduling 0
		.amdhsa_exception_fp_ieee_invalid_op 0
		.amdhsa_exception_fp_denorm_src 0
		.amdhsa_exception_fp_ieee_div_zero 0
		.amdhsa_exception_fp_ieee_overflow 0
		.amdhsa_exception_fp_ieee_underflow 0
		.amdhsa_exception_fp_ieee_inexact 0
		.amdhsa_exception_int_div_zero 0
	.end_amdhsa_kernel
	.section	.text._ZN7rocprim17ROCPRIM_400000_NS6detail17trampoline_kernelINS0_13select_configILj256ELj13ELNS0_17block_load_methodE3ELS4_3ELS4_3ELNS0_20block_scan_algorithmE0ELj4294967295EEENS1_25partition_config_selectorILNS1_17partition_subalgoE3EjNS0_10empty_typeEbEEZZNS1_14partition_implILS8_3ELb0ES6_jNS0_17counting_iteratorIjlEEPS9_SE_NS0_5tupleIJPjSE_EEENSF_IJSE_SE_EEES9_SG_JZNS1_25segmented_radix_sort_implINS0_14default_configELb1EPKaPaPKlPlN2at6native12_GLOBAL__N_18offset_tEEE10hipError_tPvRmT1_PNSt15iterator_traitsISY_E10value_typeET2_T3_PNSZ_IS14_E10value_typeET4_jRbjT5_S1A_jjP12ihipStream_tbEUljE_EEESV_SW_SX_S14_S18_S1A_T6_T7_T9_mT8_S1C_bDpT10_ENKUlT_T0_E_clISt17integral_constantIbLb1EES1P_EEDaS1K_S1L_EUlS1K_E_NS1_11comp_targetILNS1_3genE9ELNS1_11target_archE1100ELNS1_3gpuE3ELNS1_3repE0EEENS1_30default_config_static_selectorELNS0_4arch9wavefront6targetE0EEEvSY_,"axG",@progbits,_ZN7rocprim17ROCPRIM_400000_NS6detail17trampoline_kernelINS0_13select_configILj256ELj13ELNS0_17block_load_methodE3ELS4_3ELS4_3ELNS0_20block_scan_algorithmE0ELj4294967295EEENS1_25partition_config_selectorILNS1_17partition_subalgoE3EjNS0_10empty_typeEbEEZZNS1_14partition_implILS8_3ELb0ES6_jNS0_17counting_iteratorIjlEEPS9_SE_NS0_5tupleIJPjSE_EEENSF_IJSE_SE_EEES9_SG_JZNS1_25segmented_radix_sort_implINS0_14default_configELb1EPKaPaPKlPlN2at6native12_GLOBAL__N_18offset_tEEE10hipError_tPvRmT1_PNSt15iterator_traitsISY_E10value_typeET2_T3_PNSZ_IS14_E10value_typeET4_jRbjT5_S1A_jjP12ihipStream_tbEUljE_EEESV_SW_SX_S14_S18_S1A_T6_T7_T9_mT8_S1C_bDpT10_ENKUlT_T0_E_clISt17integral_constantIbLb1EES1P_EEDaS1K_S1L_EUlS1K_E_NS1_11comp_targetILNS1_3genE9ELNS1_11target_archE1100ELNS1_3gpuE3ELNS1_3repE0EEENS1_30default_config_static_selectorELNS0_4arch9wavefront6targetE0EEEvSY_,comdat
.Lfunc_end272:
	.size	_ZN7rocprim17ROCPRIM_400000_NS6detail17trampoline_kernelINS0_13select_configILj256ELj13ELNS0_17block_load_methodE3ELS4_3ELS4_3ELNS0_20block_scan_algorithmE0ELj4294967295EEENS1_25partition_config_selectorILNS1_17partition_subalgoE3EjNS0_10empty_typeEbEEZZNS1_14partition_implILS8_3ELb0ES6_jNS0_17counting_iteratorIjlEEPS9_SE_NS0_5tupleIJPjSE_EEENSF_IJSE_SE_EEES9_SG_JZNS1_25segmented_radix_sort_implINS0_14default_configELb1EPKaPaPKlPlN2at6native12_GLOBAL__N_18offset_tEEE10hipError_tPvRmT1_PNSt15iterator_traitsISY_E10value_typeET2_T3_PNSZ_IS14_E10value_typeET4_jRbjT5_S1A_jjP12ihipStream_tbEUljE_EEESV_SW_SX_S14_S18_S1A_T6_T7_T9_mT8_S1C_bDpT10_ENKUlT_T0_E_clISt17integral_constantIbLb1EES1P_EEDaS1K_S1L_EUlS1K_E_NS1_11comp_targetILNS1_3genE9ELNS1_11target_archE1100ELNS1_3gpuE3ELNS1_3repE0EEENS1_30default_config_static_selectorELNS0_4arch9wavefront6targetE0EEEvSY_, .Lfunc_end272-_ZN7rocprim17ROCPRIM_400000_NS6detail17trampoline_kernelINS0_13select_configILj256ELj13ELNS0_17block_load_methodE3ELS4_3ELS4_3ELNS0_20block_scan_algorithmE0ELj4294967295EEENS1_25partition_config_selectorILNS1_17partition_subalgoE3EjNS0_10empty_typeEbEEZZNS1_14partition_implILS8_3ELb0ES6_jNS0_17counting_iteratorIjlEEPS9_SE_NS0_5tupleIJPjSE_EEENSF_IJSE_SE_EEES9_SG_JZNS1_25segmented_radix_sort_implINS0_14default_configELb1EPKaPaPKlPlN2at6native12_GLOBAL__N_18offset_tEEE10hipError_tPvRmT1_PNSt15iterator_traitsISY_E10value_typeET2_T3_PNSZ_IS14_E10value_typeET4_jRbjT5_S1A_jjP12ihipStream_tbEUljE_EEESV_SW_SX_S14_S18_S1A_T6_T7_T9_mT8_S1C_bDpT10_ENKUlT_T0_E_clISt17integral_constantIbLb1EES1P_EEDaS1K_S1L_EUlS1K_E_NS1_11comp_targetILNS1_3genE9ELNS1_11target_archE1100ELNS1_3gpuE3ELNS1_3repE0EEENS1_30default_config_static_selectorELNS0_4arch9wavefront6targetE0EEEvSY_
                                        ; -- End function
	.set _ZN7rocprim17ROCPRIM_400000_NS6detail17trampoline_kernelINS0_13select_configILj256ELj13ELNS0_17block_load_methodE3ELS4_3ELS4_3ELNS0_20block_scan_algorithmE0ELj4294967295EEENS1_25partition_config_selectorILNS1_17partition_subalgoE3EjNS0_10empty_typeEbEEZZNS1_14partition_implILS8_3ELb0ES6_jNS0_17counting_iteratorIjlEEPS9_SE_NS0_5tupleIJPjSE_EEENSF_IJSE_SE_EEES9_SG_JZNS1_25segmented_radix_sort_implINS0_14default_configELb1EPKaPaPKlPlN2at6native12_GLOBAL__N_18offset_tEEE10hipError_tPvRmT1_PNSt15iterator_traitsISY_E10value_typeET2_T3_PNSZ_IS14_E10value_typeET4_jRbjT5_S1A_jjP12ihipStream_tbEUljE_EEESV_SW_SX_S14_S18_S1A_T6_T7_T9_mT8_S1C_bDpT10_ENKUlT_T0_E_clISt17integral_constantIbLb1EES1P_EEDaS1K_S1L_EUlS1K_E_NS1_11comp_targetILNS1_3genE9ELNS1_11target_archE1100ELNS1_3gpuE3ELNS1_3repE0EEENS1_30default_config_static_selectorELNS0_4arch9wavefront6targetE0EEEvSY_.num_vgpr, 0
	.set _ZN7rocprim17ROCPRIM_400000_NS6detail17trampoline_kernelINS0_13select_configILj256ELj13ELNS0_17block_load_methodE3ELS4_3ELS4_3ELNS0_20block_scan_algorithmE0ELj4294967295EEENS1_25partition_config_selectorILNS1_17partition_subalgoE3EjNS0_10empty_typeEbEEZZNS1_14partition_implILS8_3ELb0ES6_jNS0_17counting_iteratorIjlEEPS9_SE_NS0_5tupleIJPjSE_EEENSF_IJSE_SE_EEES9_SG_JZNS1_25segmented_radix_sort_implINS0_14default_configELb1EPKaPaPKlPlN2at6native12_GLOBAL__N_18offset_tEEE10hipError_tPvRmT1_PNSt15iterator_traitsISY_E10value_typeET2_T3_PNSZ_IS14_E10value_typeET4_jRbjT5_S1A_jjP12ihipStream_tbEUljE_EEESV_SW_SX_S14_S18_S1A_T6_T7_T9_mT8_S1C_bDpT10_ENKUlT_T0_E_clISt17integral_constantIbLb1EES1P_EEDaS1K_S1L_EUlS1K_E_NS1_11comp_targetILNS1_3genE9ELNS1_11target_archE1100ELNS1_3gpuE3ELNS1_3repE0EEENS1_30default_config_static_selectorELNS0_4arch9wavefront6targetE0EEEvSY_.num_agpr, 0
	.set _ZN7rocprim17ROCPRIM_400000_NS6detail17trampoline_kernelINS0_13select_configILj256ELj13ELNS0_17block_load_methodE3ELS4_3ELS4_3ELNS0_20block_scan_algorithmE0ELj4294967295EEENS1_25partition_config_selectorILNS1_17partition_subalgoE3EjNS0_10empty_typeEbEEZZNS1_14partition_implILS8_3ELb0ES6_jNS0_17counting_iteratorIjlEEPS9_SE_NS0_5tupleIJPjSE_EEENSF_IJSE_SE_EEES9_SG_JZNS1_25segmented_radix_sort_implINS0_14default_configELb1EPKaPaPKlPlN2at6native12_GLOBAL__N_18offset_tEEE10hipError_tPvRmT1_PNSt15iterator_traitsISY_E10value_typeET2_T3_PNSZ_IS14_E10value_typeET4_jRbjT5_S1A_jjP12ihipStream_tbEUljE_EEESV_SW_SX_S14_S18_S1A_T6_T7_T9_mT8_S1C_bDpT10_ENKUlT_T0_E_clISt17integral_constantIbLb1EES1P_EEDaS1K_S1L_EUlS1K_E_NS1_11comp_targetILNS1_3genE9ELNS1_11target_archE1100ELNS1_3gpuE3ELNS1_3repE0EEENS1_30default_config_static_selectorELNS0_4arch9wavefront6targetE0EEEvSY_.numbered_sgpr, 0
	.set _ZN7rocprim17ROCPRIM_400000_NS6detail17trampoline_kernelINS0_13select_configILj256ELj13ELNS0_17block_load_methodE3ELS4_3ELS4_3ELNS0_20block_scan_algorithmE0ELj4294967295EEENS1_25partition_config_selectorILNS1_17partition_subalgoE3EjNS0_10empty_typeEbEEZZNS1_14partition_implILS8_3ELb0ES6_jNS0_17counting_iteratorIjlEEPS9_SE_NS0_5tupleIJPjSE_EEENSF_IJSE_SE_EEES9_SG_JZNS1_25segmented_radix_sort_implINS0_14default_configELb1EPKaPaPKlPlN2at6native12_GLOBAL__N_18offset_tEEE10hipError_tPvRmT1_PNSt15iterator_traitsISY_E10value_typeET2_T3_PNSZ_IS14_E10value_typeET4_jRbjT5_S1A_jjP12ihipStream_tbEUljE_EEESV_SW_SX_S14_S18_S1A_T6_T7_T9_mT8_S1C_bDpT10_ENKUlT_T0_E_clISt17integral_constantIbLb1EES1P_EEDaS1K_S1L_EUlS1K_E_NS1_11comp_targetILNS1_3genE9ELNS1_11target_archE1100ELNS1_3gpuE3ELNS1_3repE0EEENS1_30default_config_static_selectorELNS0_4arch9wavefront6targetE0EEEvSY_.num_named_barrier, 0
	.set _ZN7rocprim17ROCPRIM_400000_NS6detail17trampoline_kernelINS0_13select_configILj256ELj13ELNS0_17block_load_methodE3ELS4_3ELS4_3ELNS0_20block_scan_algorithmE0ELj4294967295EEENS1_25partition_config_selectorILNS1_17partition_subalgoE3EjNS0_10empty_typeEbEEZZNS1_14partition_implILS8_3ELb0ES6_jNS0_17counting_iteratorIjlEEPS9_SE_NS0_5tupleIJPjSE_EEENSF_IJSE_SE_EEES9_SG_JZNS1_25segmented_radix_sort_implINS0_14default_configELb1EPKaPaPKlPlN2at6native12_GLOBAL__N_18offset_tEEE10hipError_tPvRmT1_PNSt15iterator_traitsISY_E10value_typeET2_T3_PNSZ_IS14_E10value_typeET4_jRbjT5_S1A_jjP12ihipStream_tbEUljE_EEESV_SW_SX_S14_S18_S1A_T6_T7_T9_mT8_S1C_bDpT10_ENKUlT_T0_E_clISt17integral_constantIbLb1EES1P_EEDaS1K_S1L_EUlS1K_E_NS1_11comp_targetILNS1_3genE9ELNS1_11target_archE1100ELNS1_3gpuE3ELNS1_3repE0EEENS1_30default_config_static_selectorELNS0_4arch9wavefront6targetE0EEEvSY_.private_seg_size, 0
	.set _ZN7rocprim17ROCPRIM_400000_NS6detail17trampoline_kernelINS0_13select_configILj256ELj13ELNS0_17block_load_methodE3ELS4_3ELS4_3ELNS0_20block_scan_algorithmE0ELj4294967295EEENS1_25partition_config_selectorILNS1_17partition_subalgoE3EjNS0_10empty_typeEbEEZZNS1_14partition_implILS8_3ELb0ES6_jNS0_17counting_iteratorIjlEEPS9_SE_NS0_5tupleIJPjSE_EEENSF_IJSE_SE_EEES9_SG_JZNS1_25segmented_radix_sort_implINS0_14default_configELb1EPKaPaPKlPlN2at6native12_GLOBAL__N_18offset_tEEE10hipError_tPvRmT1_PNSt15iterator_traitsISY_E10value_typeET2_T3_PNSZ_IS14_E10value_typeET4_jRbjT5_S1A_jjP12ihipStream_tbEUljE_EEESV_SW_SX_S14_S18_S1A_T6_T7_T9_mT8_S1C_bDpT10_ENKUlT_T0_E_clISt17integral_constantIbLb1EES1P_EEDaS1K_S1L_EUlS1K_E_NS1_11comp_targetILNS1_3genE9ELNS1_11target_archE1100ELNS1_3gpuE3ELNS1_3repE0EEENS1_30default_config_static_selectorELNS0_4arch9wavefront6targetE0EEEvSY_.uses_vcc, 0
	.set _ZN7rocprim17ROCPRIM_400000_NS6detail17trampoline_kernelINS0_13select_configILj256ELj13ELNS0_17block_load_methodE3ELS4_3ELS4_3ELNS0_20block_scan_algorithmE0ELj4294967295EEENS1_25partition_config_selectorILNS1_17partition_subalgoE3EjNS0_10empty_typeEbEEZZNS1_14partition_implILS8_3ELb0ES6_jNS0_17counting_iteratorIjlEEPS9_SE_NS0_5tupleIJPjSE_EEENSF_IJSE_SE_EEES9_SG_JZNS1_25segmented_radix_sort_implINS0_14default_configELb1EPKaPaPKlPlN2at6native12_GLOBAL__N_18offset_tEEE10hipError_tPvRmT1_PNSt15iterator_traitsISY_E10value_typeET2_T3_PNSZ_IS14_E10value_typeET4_jRbjT5_S1A_jjP12ihipStream_tbEUljE_EEESV_SW_SX_S14_S18_S1A_T6_T7_T9_mT8_S1C_bDpT10_ENKUlT_T0_E_clISt17integral_constantIbLb1EES1P_EEDaS1K_S1L_EUlS1K_E_NS1_11comp_targetILNS1_3genE9ELNS1_11target_archE1100ELNS1_3gpuE3ELNS1_3repE0EEENS1_30default_config_static_selectorELNS0_4arch9wavefront6targetE0EEEvSY_.uses_flat_scratch, 0
	.set _ZN7rocprim17ROCPRIM_400000_NS6detail17trampoline_kernelINS0_13select_configILj256ELj13ELNS0_17block_load_methodE3ELS4_3ELS4_3ELNS0_20block_scan_algorithmE0ELj4294967295EEENS1_25partition_config_selectorILNS1_17partition_subalgoE3EjNS0_10empty_typeEbEEZZNS1_14partition_implILS8_3ELb0ES6_jNS0_17counting_iteratorIjlEEPS9_SE_NS0_5tupleIJPjSE_EEENSF_IJSE_SE_EEES9_SG_JZNS1_25segmented_radix_sort_implINS0_14default_configELb1EPKaPaPKlPlN2at6native12_GLOBAL__N_18offset_tEEE10hipError_tPvRmT1_PNSt15iterator_traitsISY_E10value_typeET2_T3_PNSZ_IS14_E10value_typeET4_jRbjT5_S1A_jjP12ihipStream_tbEUljE_EEESV_SW_SX_S14_S18_S1A_T6_T7_T9_mT8_S1C_bDpT10_ENKUlT_T0_E_clISt17integral_constantIbLb1EES1P_EEDaS1K_S1L_EUlS1K_E_NS1_11comp_targetILNS1_3genE9ELNS1_11target_archE1100ELNS1_3gpuE3ELNS1_3repE0EEENS1_30default_config_static_selectorELNS0_4arch9wavefront6targetE0EEEvSY_.has_dyn_sized_stack, 0
	.set _ZN7rocprim17ROCPRIM_400000_NS6detail17trampoline_kernelINS0_13select_configILj256ELj13ELNS0_17block_load_methodE3ELS4_3ELS4_3ELNS0_20block_scan_algorithmE0ELj4294967295EEENS1_25partition_config_selectorILNS1_17partition_subalgoE3EjNS0_10empty_typeEbEEZZNS1_14partition_implILS8_3ELb0ES6_jNS0_17counting_iteratorIjlEEPS9_SE_NS0_5tupleIJPjSE_EEENSF_IJSE_SE_EEES9_SG_JZNS1_25segmented_radix_sort_implINS0_14default_configELb1EPKaPaPKlPlN2at6native12_GLOBAL__N_18offset_tEEE10hipError_tPvRmT1_PNSt15iterator_traitsISY_E10value_typeET2_T3_PNSZ_IS14_E10value_typeET4_jRbjT5_S1A_jjP12ihipStream_tbEUljE_EEESV_SW_SX_S14_S18_S1A_T6_T7_T9_mT8_S1C_bDpT10_ENKUlT_T0_E_clISt17integral_constantIbLb1EES1P_EEDaS1K_S1L_EUlS1K_E_NS1_11comp_targetILNS1_3genE9ELNS1_11target_archE1100ELNS1_3gpuE3ELNS1_3repE0EEENS1_30default_config_static_selectorELNS0_4arch9wavefront6targetE0EEEvSY_.has_recursion, 0
	.set _ZN7rocprim17ROCPRIM_400000_NS6detail17trampoline_kernelINS0_13select_configILj256ELj13ELNS0_17block_load_methodE3ELS4_3ELS4_3ELNS0_20block_scan_algorithmE0ELj4294967295EEENS1_25partition_config_selectorILNS1_17partition_subalgoE3EjNS0_10empty_typeEbEEZZNS1_14partition_implILS8_3ELb0ES6_jNS0_17counting_iteratorIjlEEPS9_SE_NS0_5tupleIJPjSE_EEENSF_IJSE_SE_EEES9_SG_JZNS1_25segmented_radix_sort_implINS0_14default_configELb1EPKaPaPKlPlN2at6native12_GLOBAL__N_18offset_tEEE10hipError_tPvRmT1_PNSt15iterator_traitsISY_E10value_typeET2_T3_PNSZ_IS14_E10value_typeET4_jRbjT5_S1A_jjP12ihipStream_tbEUljE_EEESV_SW_SX_S14_S18_S1A_T6_T7_T9_mT8_S1C_bDpT10_ENKUlT_T0_E_clISt17integral_constantIbLb1EES1P_EEDaS1K_S1L_EUlS1K_E_NS1_11comp_targetILNS1_3genE9ELNS1_11target_archE1100ELNS1_3gpuE3ELNS1_3repE0EEENS1_30default_config_static_selectorELNS0_4arch9wavefront6targetE0EEEvSY_.has_indirect_call, 0
	.section	.AMDGPU.csdata,"",@progbits
; Kernel info:
; codeLenInByte = 0
; TotalNumSgprs: 0
; NumVgprs: 0
; ScratchSize: 0
; MemoryBound: 0
; FloatMode: 240
; IeeeMode: 1
; LDSByteSize: 0 bytes/workgroup (compile time only)
; SGPRBlocks: 0
; VGPRBlocks: 0
; NumSGPRsForWavesPerEU: 1
; NumVGPRsForWavesPerEU: 1
; Occupancy: 16
; WaveLimiterHint : 0
; COMPUTE_PGM_RSRC2:SCRATCH_EN: 0
; COMPUTE_PGM_RSRC2:USER_SGPR: 2
; COMPUTE_PGM_RSRC2:TRAP_HANDLER: 0
; COMPUTE_PGM_RSRC2:TGID_X_EN: 1
; COMPUTE_PGM_RSRC2:TGID_Y_EN: 0
; COMPUTE_PGM_RSRC2:TGID_Z_EN: 0
; COMPUTE_PGM_RSRC2:TIDIG_COMP_CNT: 0
	.section	.text._ZN7rocprim17ROCPRIM_400000_NS6detail17trampoline_kernelINS0_13select_configILj256ELj13ELNS0_17block_load_methodE3ELS4_3ELS4_3ELNS0_20block_scan_algorithmE0ELj4294967295EEENS1_25partition_config_selectorILNS1_17partition_subalgoE3EjNS0_10empty_typeEbEEZZNS1_14partition_implILS8_3ELb0ES6_jNS0_17counting_iteratorIjlEEPS9_SE_NS0_5tupleIJPjSE_EEENSF_IJSE_SE_EEES9_SG_JZNS1_25segmented_radix_sort_implINS0_14default_configELb1EPKaPaPKlPlN2at6native12_GLOBAL__N_18offset_tEEE10hipError_tPvRmT1_PNSt15iterator_traitsISY_E10value_typeET2_T3_PNSZ_IS14_E10value_typeET4_jRbjT5_S1A_jjP12ihipStream_tbEUljE_EEESV_SW_SX_S14_S18_S1A_T6_T7_T9_mT8_S1C_bDpT10_ENKUlT_T0_E_clISt17integral_constantIbLb1EES1P_EEDaS1K_S1L_EUlS1K_E_NS1_11comp_targetILNS1_3genE8ELNS1_11target_archE1030ELNS1_3gpuE2ELNS1_3repE0EEENS1_30default_config_static_selectorELNS0_4arch9wavefront6targetE0EEEvSY_,"axG",@progbits,_ZN7rocprim17ROCPRIM_400000_NS6detail17trampoline_kernelINS0_13select_configILj256ELj13ELNS0_17block_load_methodE3ELS4_3ELS4_3ELNS0_20block_scan_algorithmE0ELj4294967295EEENS1_25partition_config_selectorILNS1_17partition_subalgoE3EjNS0_10empty_typeEbEEZZNS1_14partition_implILS8_3ELb0ES6_jNS0_17counting_iteratorIjlEEPS9_SE_NS0_5tupleIJPjSE_EEENSF_IJSE_SE_EEES9_SG_JZNS1_25segmented_radix_sort_implINS0_14default_configELb1EPKaPaPKlPlN2at6native12_GLOBAL__N_18offset_tEEE10hipError_tPvRmT1_PNSt15iterator_traitsISY_E10value_typeET2_T3_PNSZ_IS14_E10value_typeET4_jRbjT5_S1A_jjP12ihipStream_tbEUljE_EEESV_SW_SX_S14_S18_S1A_T6_T7_T9_mT8_S1C_bDpT10_ENKUlT_T0_E_clISt17integral_constantIbLb1EES1P_EEDaS1K_S1L_EUlS1K_E_NS1_11comp_targetILNS1_3genE8ELNS1_11target_archE1030ELNS1_3gpuE2ELNS1_3repE0EEENS1_30default_config_static_selectorELNS0_4arch9wavefront6targetE0EEEvSY_,comdat
	.globl	_ZN7rocprim17ROCPRIM_400000_NS6detail17trampoline_kernelINS0_13select_configILj256ELj13ELNS0_17block_load_methodE3ELS4_3ELS4_3ELNS0_20block_scan_algorithmE0ELj4294967295EEENS1_25partition_config_selectorILNS1_17partition_subalgoE3EjNS0_10empty_typeEbEEZZNS1_14partition_implILS8_3ELb0ES6_jNS0_17counting_iteratorIjlEEPS9_SE_NS0_5tupleIJPjSE_EEENSF_IJSE_SE_EEES9_SG_JZNS1_25segmented_radix_sort_implINS0_14default_configELb1EPKaPaPKlPlN2at6native12_GLOBAL__N_18offset_tEEE10hipError_tPvRmT1_PNSt15iterator_traitsISY_E10value_typeET2_T3_PNSZ_IS14_E10value_typeET4_jRbjT5_S1A_jjP12ihipStream_tbEUljE_EEESV_SW_SX_S14_S18_S1A_T6_T7_T9_mT8_S1C_bDpT10_ENKUlT_T0_E_clISt17integral_constantIbLb1EES1P_EEDaS1K_S1L_EUlS1K_E_NS1_11comp_targetILNS1_3genE8ELNS1_11target_archE1030ELNS1_3gpuE2ELNS1_3repE0EEENS1_30default_config_static_selectorELNS0_4arch9wavefront6targetE0EEEvSY_ ; -- Begin function _ZN7rocprim17ROCPRIM_400000_NS6detail17trampoline_kernelINS0_13select_configILj256ELj13ELNS0_17block_load_methodE3ELS4_3ELS4_3ELNS0_20block_scan_algorithmE0ELj4294967295EEENS1_25partition_config_selectorILNS1_17partition_subalgoE3EjNS0_10empty_typeEbEEZZNS1_14partition_implILS8_3ELb0ES6_jNS0_17counting_iteratorIjlEEPS9_SE_NS0_5tupleIJPjSE_EEENSF_IJSE_SE_EEES9_SG_JZNS1_25segmented_radix_sort_implINS0_14default_configELb1EPKaPaPKlPlN2at6native12_GLOBAL__N_18offset_tEEE10hipError_tPvRmT1_PNSt15iterator_traitsISY_E10value_typeET2_T3_PNSZ_IS14_E10value_typeET4_jRbjT5_S1A_jjP12ihipStream_tbEUljE_EEESV_SW_SX_S14_S18_S1A_T6_T7_T9_mT8_S1C_bDpT10_ENKUlT_T0_E_clISt17integral_constantIbLb1EES1P_EEDaS1K_S1L_EUlS1K_E_NS1_11comp_targetILNS1_3genE8ELNS1_11target_archE1030ELNS1_3gpuE2ELNS1_3repE0EEENS1_30default_config_static_selectorELNS0_4arch9wavefront6targetE0EEEvSY_
	.p2align	8
	.type	_ZN7rocprim17ROCPRIM_400000_NS6detail17trampoline_kernelINS0_13select_configILj256ELj13ELNS0_17block_load_methodE3ELS4_3ELS4_3ELNS0_20block_scan_algorithmE0ELj4294967295EEENS1_25partition_config_selectorILNS1_17partition_subalgoE3EjNS0_10empty_typeEbEEZZNS1_14partition_implILS8_3ELb0ES6_jNS0_17counting_iteratorIjlEEPS9_SE_NS0_5tupleIJPjSE_EEENSF_IJSE_SE_EEES9_SG_JZNS1_25segmented_radix_sort_implINS0_14default_configELb1EPKaPaPKlPlN2at6native12_GLOBAL__N_18offset_tEEE10hipError_tPvRmT1_PNSt15iterator_traitsISY_E10value_typeET2_T3_PNSZ_IS14_E10value_typeET4_jRbjT5_S1A_jjP12ihipStream_tbEUljE_EEESV_SW_SX_S14_S18_S1A_T6_T7_T9_mT8_S1C_bDpT10_ENKUlT_T0_E_clISt17integral_constantIbLb1EES1P_EEDaS1K_S1L_EUlS1K_E_NS1_11comp_targetILNS1_3genE8ELNS1_11target_archE1030ELNS1_3gpuE2ELNS1_3repE0EEENS1_30default_config_static_selectorELNS0_4arch9wavefront6targetE0EEEvSY_,@function
_ZN7rocprim17ROCPRIM_400000_NS6detail17trampoline_kernelINS0_13select_configILj256ELj13ELNS0_17block_load_methodE3ELS4_3ELS4_3ELNS0_20block_scan_algorithmE0ELj4294967295EEENS1_25partition_config_selectorILNS1_17partition_subalgoE3EjNS0_10empty_typeEbEEZZNS1_14partition_implILS8_3ELb0ES6_jNS0_17counting_iteratorIjlEEPS9_SE_NS0_5tupleIJPjSE_EEENSF_IJSE_SE_EEES9_SG_JZNS1_25segmented_radix_sort_implINS0_14default_configELb1EPKaPaPKlPlN2at6native12_GLOBAL__N_18offset_tEEE10hipError_tPvRmT1_PNSt15iterator_traitsISY_E10value_typeET2_T3_PNSZ_IS14_E10value_typeET4_jRbjT5_S1A_jjP12ihipStream_tbEUljE_EEESV_SW_SX_S14_S18_S1A_T6_T7_T9_mT8_S1C_bDpT10_ENKUlT_T0_E_clISt17integral_constantIbLb1EES1P_EEDaS1K_S1L_EUlS1K_E_NS1_11comp_targetILNS1_3genE8ELNS1_11target_archE1030ELNS1_3gpuE2ELNS1_3repE0EEENS1_30default_config_static_selectorELNS0_4arch9wavefront6targetE0EEEvSY_: ; @_ZN7rocprim17ROCPRIM_400000_NS6detail17trampoline_kernelINS0_13select_configILj256ELj13ELNS0_17block_load_methodE3ELS4_3ELS4_3ELNS0_20block_scan_algorithmE0ELj4294967295EEENS1_25partition_config_selectorILNS1_17partition_subalgoE3EjNS0_10empty_typeEbEEZZNS1_14partition_implILS8_3ELb0ES6_jNS0_17counting_iteratorIjlEEPS9_SE_NS0_5tupleIJPjSE_EEENSF_IJSE_SE_EEES9_SG_JZNS1_25segmented_radix_sort_implINS0_14default_configELb1EPKaPaPKlPlN2at6native12_GLOBAL__N_18offset_tEEE10hipError_tPvRmT1_PNSt15iterator_traitsISY_E10value_typeET2_T3_PNSZ_IS14_E10value_typeET4_jRbjT5_S1A_jjP12ihipStream_tbEUljE_EEESV_SW_SX_S14_S18_S1A_T6_T7_T9_mT8_S1C_bDpT10_ENKUlT_T0_E_clISt17integral_constantIbLb1EES1P_EEDaS1K_S1L_EUlS1K_E_NS1_11comp_targetILNS1_3genE8ELNS1_11target_archE1030ELNS1_3gpuE2ELNS1_3repE0EEENS1_30default_config_static_selectorELNS0_4arch9wavefront6targetE0EEEvSY_
; %bb.0:
	.section	.rodata,"a",@progbits
	.p2align	6, 0x0
	.amdhsa_kernel _ZN7rocprim17ROCPRIM_400000_NS6detail17trampoline_kernelINS0_13select_configILj256ELj13ELNS0_17block_load_methodE3ELS4_3ELS4_3ELNS0_20block_scan_algorithmE0ELj4294967295EEENS1_25partition_config_selectorILNS1_17partition_subalgoE3EjNS0_10empty_typeEbEEZZNS1_14partition_implILS8_3ELb0ES6_jNS0_17counting_iteratorIjlEEPS9_SE_NS0_5tupleIJPjSE_EEENSF_IJSE_SE_EEES9_SG_JZNS1_25segmented_radix_sort_implINS0_14default_configELb1EPKaPaPKlPlN2at6native12_GLOBAL__N_18offset_tEEE10hipError_tPvRmT1_PNSt15iterator_traitsISY_E10value_typeET2_T3_PNSZ_IS14_E10value_typeET4_jRbjT5_S1A_jjP12ihipStream_tbEUljE_EEESV_SW_SX_S14_S18_S1A_T6_T7_T9_mT8_S1C_bDpT10_ENKUlT_T0_E_clISt17integral_constantIbLb1EES1P_EEDaS1K_S1L_EUlS1K_E_NS1_11comp_targetILNS1_3genE8ELNS1_11target_archE1030ELNS1_3gpuE2ELNS1_3repE0EEENS1_30default_config_static_selectorELNS0_4arch9wavefront6targetE0EEEvSY_
		.amdhsa_group_segment_fixed_size 0
		.amdhsa_private_segment_fixed_size 0
		.amdhsa_kernarg_size 152
		.amdhsa_user_sgpr_count 2
		.amdhsa_user_sgpr_dispatch_ptr 0
		.amdhsa_user_sgpr_queue_ptr 0
		.amdhsa_user_sgpr_kernarg_segment_ptr 1
		.amdhsa_user_sgpr_dispatch_id 0
		.amdhsa_user_sgpr_private_segment_size 0
		.amdhsa_wavefront_size32 1
		.amdhsa_uses_dynamic_stack 0
		.amdhsa_enable_private_segment 0
		.amdhsa_system_sgpr_workgroup_id_x 1
		.amdhsa_system_sgpr_workgroup_id_y 0
		.amdhsa_system_sgpr_workgroup_id_z 0
		.amdhsa_system_sgpr_workgroup_info 0
		.amdhsa_system_vgpr_workitem_id 0
		.amdhsa_next_free_vgpr 1
		.amdhsa_next_free_sgpr 1
		.amdhsa_reserve_vcc 0
		.amdhsa_float_round_mode_32 0
		.amdhsa_float_round_mode_16_64 0
		.amdhsa_float_denorm_mode_32 3
		.amdhsa_float_denorm_mode_16_64 3
		.amdhsa_fp16_overflow 0
		.amdhsa_workgroup_processor_mode 1
		.amdhsa_memory_ordered 1
		.amdhsa_forward_progress 1
		.amdhsa_inst_pref_size 0
		.amdhsa_round_robin_scheduling 0
		.amdhsa_exception_fp_ieee_invalid_op 0
		.amdhsa_exception_fp_denorm_src 0
		.amdhsa_exception_fp_ieee_div_zero 0
		.amdhsa_exception_fp_ieee_overflow 0
		.amdhsa_exception_fp_ieee_underflow 0
		.amdhsa_exception_fp_ieee_inexact 0
		.amdhsa_exception_int_div_zero 0
	.end_amdhsa_kernel
	.section	.text._ZN7rocprim17ROCPRIM_400000_NS6detail17trampoline_kernelINS0_13select_configILj256ELj13ELNS0_17block_load_methodE3ELS4_3ELS4_3ELNS0_20block_scan_algorithmE0ELj4294967295EEENS1_25partition_config_selectorILNS1_17partition_subalgoE3EjNS0_10empty_typeEbEEZZNS1_14partition_implILS8_3ELb0ES6_jNS0_17counting_iteratorIjlEEPS9_SE_NS0_5tupleIJPjSE_EEENSF_IJSE_SE_EEES9_SG_JZNS1_25segmented_radix_sort_implINS0_14default_configELb1EPKaPaPKlPlN2at6native12_GLOBAL__N_18offset_tEEE10hipError_tPvRmT1_PNSt15iterator_traitsISY_E10value_typeET2_T3_PNSZ_IS14_E10value_typeET4_jRbjT5_S1A_jjP12ihipStream_tbEUljE_EEESV_SW_SX_S14_S18_S1A_T6_T7_T9_mT8_S1C_bDpT10_ENKUlT_T0_E_clISt17integral_constantIbLb1EES1P_EEDaS1K_S1L_EUlS1K_E_NS1_11comp_targetILNS1_3genE8ELNS1_11target_archE1030ELNS1_3gpuE2ELNS1_3repE0EEENS1_30default_config_static_selectorELNS0_4arch9wavefront6targetE0EEEvSY_,"axG",@progbits,_ZN7rocprim17ROCPRIM_400000_NS6detail17trampoline_kernelINS0_13select_configILj256ELj13ELNS0_17block_load_methodE3ELS4_3ELS4_3ELNS0_20block_scan_algorithmE0ELj4294967295EEENS1_25partition_config_selectorILNS1_17partition_subalgoE3EjNS0_10empty_typeEbEEZZNS1_14partition_implILS8_3ELb0ES6_jNS0_17counting_iteratorIjlEEPS9_SE_NS0_5tupleIJPjSE_EEENSF_IJSE_SE_EEES9_SG_JZNS1_25segmented_radix_sort_implINS0_14default_configELb1EPKaPaPKlPlN2at6native12_GLOBAL__N_18offset_tEEE10hipError_tPvRmT1_PNSt15iterator_traitsISY_E10value_typeET2_T3_PNSZ_IS14_E10value_typeET4_jRbjT5_S1A_jjP12ihipStream_tbEUljE_EEESV_SW_SX_S14_S18_S1A_T6_T7_T9_mT8_S1C_bDpT10_ENKUlT_T0_E_clISt17integral_constantIbLb1EES1P_EEDaS1K_S1L_EUlS1K_E_NS1_11comp_targetILNS1_3genE8ELNS1_11target_archE1030ELNS1_3gpuE2ELNS1_3repE0EEENS1_30default_config_static_selectorELNS0_4arch9wavefront6targetE0EEEvSY_,comdat
.Lfunc_end273:
	.size	_ZN7rocprim17ROCPRIM_400000_NS6detail17trampoline_kernelINS0_13select_configILj256ELj13ELNS0_17block_load_methodE3ELS4_3ELS4_3ELNS0_20block_scan_algorithmE0ELj4294967295EEENS1_25partition_config_selectorILNS1_17partition_subalgoE3EjNS0_10empty_typeEbEEZZNS1_14partition_implILS8_3ELb0ES6_jNS0_17counting_iteratorIjlEEPS9_SE_NS0_5tupleIJPjSE_EEENSF_IJSE_SE_EEES9_SG_JZNS1_25segmented_radix_sort_implINS0_14default_configELb1EPKaPaPKlPlN2at6native12_GLOBAL__N_18offset_tEEE10hipError_tPvRmT1_PNSt15iterator_traitsISY_E10value_typeET2_T3_PNSZ_IS14_E10value_typeET4_jRbjT5_S1A_jjP12ihipStream_tbEUljE_EEESV_SW_SX_S14_S18_S1A_T6_T7_T9_mT8_S1C_bDpT10_ENKUlT_T0_E_clISt17integral_constantIbLb1EES1P_EEDaS1K_S1L_EUlS1K_E_NS1_11comp_targetILNS1_3genE8ELNS1_11target_archE1030ELNS1_3gpuE2ELNS1_3repE0EEENS1_30default_config_static_selectorELNS0_4arch9wavefront6targetE0EEEvSY_, .Lfunc_end273-_ZN7rocprim17ROCPRIM_400000_NS6detail17trampoline_kernelINS0_13select_configILj256ELj13ELNS0_17block_load_methodE3ELS4_3ELS4_3ELNS0_20block_scan_algorithmE0ELj4294967295EEENS1_25partition_config_selectorILNS1_17partition_subalgoE3EjNS0_10empty_typeEbEEZZNS1_14partition_implILS8_3ELb0ES6_jNS0_17counting_iteratorIjlEEPS9_SE_NS0_5tupleIJPjSE_EEENSF_IJSE_SE_EEES9_SG_JZNS1_25segmented_radix_sort_implINS0_14default_configELb1EPKaPaPKlPlN2at6native12_GLOBAL__N_18offset_tEEE10hipError_tPvRmT1_PNSt15iterator_traitsISY_E10value_typeET2_T3_PNSZ_IS14_E10value_typeET4_jRbjT5_S1A_jjP12ihipStream_tbEUljE_EEESV_SW_SX_S14_S18_S1A_T6_T7_T9_mT8_S1C_bDpT10_ENKUlT_T0_E_clISt17integral_constantIbLb1EES1P_EEDaS1K_S1L_EUlS1K_E_NS1_11comp_targetILNS1_3genE8ELNS1_11target_archE1030ELNS1_3gpuE2ELNS1_3repE0EEENS1_30default_config_static_selectorELNS0_4arch9wavefront6targetE0EEEvSY_
                                        ; -- End function
	.set _ZN7rocprim17ROCPRIM_400000_NS6detail17trampoline_kernelINS0_13select_configILj256ELj13ELNS0_17block_load_methodE3ELS4_3ELS4_3ELNS0_20block_scan_algorithmE0ELj4294967295EEENS1_25partition_config_selectorILNS1_17partition_subalgoE3EjNS0_10empty_typeEbEEZZNS1_14partition_implILS8_3ELb0ES6_jNS0_17counting_iteratorIjlEEPS9_SE_NS0_5tupleIJPjSE_EEENSF_IJSE_SE_EEES9_SG_JZNS1_25segmented_radix_sort_implINS0_14default_configELb1EPKaPaPKlPlN2at6native12_GLOBAL__N_18offset_tEEE10hipError_tPvRmT1_PNSt15iterator_traitsISY_E10value_typeET2_T3_PNSZ_IS14_E10value_typeET4_jRbjT5_S1A_jjP12ihipStream_tbEUljE_EEESV_SW_SX_S14_S18_S1A_T6_T7_T9_mT8_S1C_bDpT10_ENKUlT_T0_E_clISt17integral_constantIbLb1EES1P_EEDaS1K_S1L_EUlS1K_E_NS1_11comp_targetILNS1_3genE8ELNS1_11target_archE1030ELNS1_3gpuE2ELNS1_3repE0EEENS1_30default_config_static_selectorELNS0_4arch9wavefront6targetE0EEEvSY_.num_vgpr, 0
	.set _ZN7rocprim17ROCPRIM_400000_NS6detail17trampoline_kernelINS0_13select_configILj256ELj13ELNS0_17block_load_methodE3ELS4_3ELS4_3ELNS0_20block_scan_algorithmE0ELj4294967295EEENS1_25partition_config_selectorILNS1_17partition_subalgoE3EjNS0_10empty_typeEbEEZZNS1_14partition_implILS8_3ELb0ES6_jNS0_17counting_iteratorIjlEEPS9_SE_NS0_5tupleIJPjSE_EEENSF_IJSE_SE_EEES9_SG_JZNS1_25segmented_radix_sort_implINS0_14default_configELb1EPKaPaPKlPlN2at6native12_GLOBAL__N_18offset_tEEE10hipError_tPvRmT1_PNSt15iterator_traitsISY_E10value_typeET2_T3_PNSZ_IS14_E10value_typeET4_jRbjT5_S1A_jjP12ihipStream_tbEUljE_EEESV_SW_SX_S14_S18_S1A_T6_T7_T9_mT8_S1C_bDpT10_ENKUlT_T0_E_clISt17integral_constantIbLb1EES1P_EEDaS1K_S1L_EUlS1K_E_NS1_11comp_targetILNS1_3genE8ELNS1_11target_archE1030ELNS1_3gpuE2ELNS1_3repE0EEENS1_30default_config_static_selectorELNS0_4arch9wavefront6targetE0EEEvSY_.num_agpr, 0
	.set _ZN7rocprim17ROCPRIM_400000_NS6detail17trampoline_kernelINS0_13select_configILj256ELj13ELNS0_17block_load_methodE3ELS4_3ELS4_3ELNS0_20block_scan_algorithmE0ELj4294967295EEENS1_25partition_config_selectorILNS1_17partition_subalgoE3EjNS0_10empty_typeEbEEZZNS1_14partition_implILS8_3ELb0ES6_jNS0_17counting_iteratorIjlEEPS9_SE_NS0_5tupleIJPjSE_EEENSF_IJSE_SE_EEES9_SG_JZNS1_25segmented_radix_sort_implINS0_14default_configELb1EPKaPaPKlPlN2at6native12_GLOBAL__N_18offset_tEEE10hipError_tPvRmT1_PNSt15iterator_traitsISY_E10value_typeET2_T3_PNSZ_IS14_E10value_typeET4_jRbjT5_S1A_jjP12ihipStream_tbEUljE_EEESV_SW_SX_S14_S18_S1A_T6_T7_T9_mT8_S1C_bDpT10_ENKUlT_T0_E_clISt17integral_constantIbLb1EES1P_EEDaS1K_S1L_EUlS1K_E_NS1_11comp_targetILNS1_3genE8ELNS1_11target_archE1030ELNS1_3gpuE2ELNS1_3repE0EEENS1_30default_config_static_selectorELNS0_4arch9wavefront6targetE0EEEvSY_.numbered_sgpr, 0
	.set _ZN7rocprim17ROCPRIM_400000_NS6detail17trampoline_kernelINS0_13select_configILj256ELj13ELNS0_17block_load_methodE3ELS4_3ELS4_3ELNS0_20block_scan_algorithmE0ELj4294967295EEENS1_25partition_config_selectorILNS1_17partition_subalgoE3EjNS0_10empty_typeEbEEZZNS1_14partition_implILS8_3ELb0ES6_jNS0_17counting_iteratorIjlEEPS9_SE_NS0_5tupleIJPjSE_EEENSF_IJSE_SE_EEES9_SG_JZNS1_25segmented_radix_sort_implINS0_14default_configELb1EPKaPaPKlPlN2at6native12_GLOBAL__N_18offset_tEEE10hipError_tPvRmT1_PNSt15iterator_traitsISY_E10value_typeET2_T3_PNSZ_IS14_E10value_typeET4_jRbjT5_S1A_jjP12ihipStream_tbEUljE_EEESV_SW_SX_S14_S18_S1A_T6_T7_T9_mT8_S1C_bDpT10_ENKUlT_T0_E_clISt17integral_constantIbLb1EES1P_EEDaS1K_S1L_EUlS1K_E_NS1_11comp_targetILNS1_3genE8ELNS1_11target_archE1030ELNS1_3gpuE2ELNS1_3repE0EEENS1_30default_config_static_selectorELNS0_4arch9wavefront6targetE0EEEvSY_.num_named_barrier, 0
	.set _ZN7rocprim17ROCPRIM_400000_NS6detail17trampoline_kernelINS0_13select_configILj256ELj13ELNS0_17block_load_methodE3ELS4_3ELS4_3ELNS0_20block_scan_algorithmE0ELj4294967295EEENS1_25partition_config_selectorILNS1_17partition_subalgoE3EjNS0_10empty_typeEbEEZZNS1_14partition_implILS8_3ELb0ES6_jNS0_17counting_iteratorIjlEEPS9_SE_NS0_5tupleIJPjSE_EEENSF_IJSE_SE_EEES9_SG_JZNS1_25segmented_radix_sort_implINS0_14default_configELb1EPKaPaPKlPlN2at6native12_GLOBAL__N_18offset_tEEE10hipError_tPvRmT1_PNSt15iterator_traitsISY_E10value_typeET2_T3_PNSZ_IS14_E10value_typeET4_jRbjT5_S1A_jjP12ihipStream_tbEUljE_EEESV_SW_SX_S14_S18_S1A_T6_T7_T9_mT8_S1C_bDpT10_ENKUlT_T0_E_clISt17integral_constantIbLb1EES1P_EEDaS1K_S1L_EUlS1K_E_NS1_11comp_targetILNS1_3genE8ELNS1_11target_archE1030ELNS1_3gpuE2ELNS1_3repE0EEENS1_30default_config_static_selectorELNS0_4arch9wavefront6targetE0EEEvSY_.private_seg_size, 0
	.set _ZN7rocprim17ROCPRIM_400000_NS6detail17trampoline_kernelINS0_13select_configILj256ELj13ELNS0_17block_load_methodE3ELS4_3ELS4_3ELNS0_20block_scan_algorithmE0ELj4294967295EEENS1_25partition_config_selectorILNS1_17partition_subalgoE3EjNS0_10empty_typeEbEEZZNS1_14partition_implILS8_3ELb0ES6_jNS0_17counting_iteratorIjlEEPS9_SE_NS0_5tupleIJPjSE_EEENSF_IJSE_SE_EEES9_SG_JZNS1_25segmented_radix_sort_implINS0_14default_configELb1EPKaPaPKlPlN2at6native12_GLOBAL__N_18offset_tEEE10hipError_tPvRmT1_PNSt15iterator_traitsISY_E10value_typeET2_T3_PNSZ_IS14_E10value_typeET4_jRbjT5_S1A_jjP12ihipStream_tbEUljE_EEESV_SW_SX_S14_S18_S1A_T6_T7_T9_mT8_S1C_bDpT10_ENKUlT_T0_E_clISt17integral_constantIbLb1EES1P_EEDaS1K_S1L_EUlS1K_E_NS1_11comp_targetILNS1_3genE8ELNS1_11target_archE1030ELNS1_3gpuE2ELNS1_3repE0EEENS1_30default_config_static_selectorELNS0_4arch9wavefront6targetE0EEEvSY_.uses_vcc, 0
	.set _ZN7rocprim17ROCPRIM_400000_NS6detail17trampoline_kernelINS0_13select_configILj256ELj13ELNS0_17block_load_methodE3ELS4_3ELS4_3ELNS0_20block_scan_algorithmE0ELj4294967295EEENS1_25partition_config_selectorILNS1_17partition_subalgoE3EjNS0_10empty_typeEbEEZZNS1_14partition_implILS8_3ELb0ES6_jNS0_17counting_iteratorIjlEEPS9_SE_NS0_5tupleIJPjSE_EEENSF_IJSE_SE_EEES9_SG_JZNS1_25segmented_radix_sort_implINS0_14default_configELb1EPKaPaPKlPlN2at6native12_GLOBAL__N_18offset_tEEE10hipError_tPvRmT1_PNSt15iterator_traitsISY_E10value_typeET2_T3_PNSZ_IS14_E10value_typeET4_jRbjT5_S1A_jjP12ihipStream_tbEUljE_EEESV_SW_SX_S14_S18_S1A_T6_T7_T9_mT8_S1C_bDpT10_ENKUlT_T0_E_clISt17integral_constantIbLb1EES1P_EEDaS1K_S1L_EUlS1K_E_NS1_11comp_targetILNS1_3genE8ELNS1_11target_archE1030ELNS1_3gpuE2ELNS1_3repE0EEENS1_30default_config_static_selectorELNS0_4arch9wavefront6targetE0EEEvSY_.uses_flat_scratch, 0
	.set _ZN7rocprim17ROCPRIM_400000_NS6detail17trampoline_kernelINS0_13select_configILj256ELj13ELNS0_17block_load_methodE3ELS4_3ELS4_3ELNS0_20block_scan_algorithmE0ELj4294967295EEENS1_25partition_config_selectorILNS1_17partition_subalgoE3EjNS0_10empty_typeEbEEZZNS1_14partition_implILS8_3ELb0ES6_jNS0_17counting_iteratorIjlEEPS9_SE_NS0_5tupleIJPjSE_EEENSF_IJSE_SE_EEES9_SG_JZNS1_25segmented_radix_sort_implINS0_14default_configELb1EPKaPaPKlPlN2at6native12_GLOBAL__N_18offset_tEEE10hipError_tPvRmT1_PNSt15iterator_traitsISY_E10value_typeET2_T3_PNSZ_IS14_E10value_typeET4_jRbjT5_S1A_jjP12ihipStream_tbEUljE_EEESV_SW_SX_S14_S18_S1A_T6_T7_T9_mT8_S1C_bDpT10_ENKUlT_T0_E_clISt17integral_constantIbLb1EES1P_EEDaS1K_S1L_EUlS1K_E_NS1_11comp_targetILNS1_3genE8ELNS1_11target_archE1030ELNS1_3gpuE2ELNS1_3repE0EEENS1_30default_config_static_selectorELNS0_4arch9wavefront6targetE0EEEvSY_.has_dyn_sized_stack, 0
	.set _ZN7rocprim17ROCPRIM_400000_NS6detail17trampoline_kernelINS0_13select_configILj256ELj13ELNS0_17block_load_methodE3ELS4_3ELS4_3ELNS0_20block_scan_algorithmE0ELj4294967295EEENS1_25partition_config_selectorILNS1_17partition_subalgoE3EjNS0_10empty_typeEbEEZZNS1_14partition_implILS8_3ELb0ES6_jNS0_17counting_iteratorIjlEEPS9_SE_NS0_5tupleIJPjSE_EEENSF_IJSE_SE_EEES9_SG_JZNS1_25segmented_radix_sort_implINS0_14default_configELb1EPKaPaPKlPlN2at6native12_GLOBAL__N_18offset_tEEE10hipError_tPvRmT1_PNSt15iterator_traitsISY_E10value_typeET2_T3_PNSZ_IS14_E10value_typeET4_jRbjT5_S1A_jjP12ihipStream_tbEUljE_EEESV_SW_SX_S14_S18_S1A_T6_T7_T9_mT8_S1C_bDpT10_ENKUlT_T0_E_clISt17integral_constantIbLb1EES1P_EEDaS1K_S1L_EUlS1K_E_NS1_11comp_targetILNS1_3genE8ELNS1_11target_archE1030ELNS1_3gpuE2ELNS1_3repE0EEENS1_30default_config_static_selectorELNS0_4arch9wavefront6targetE0EEEvSY_.has_recursion, 0
	.set _ZN7rocprim17ROCPRIM_400000_NS6detail17trampoline_kernelINS0_13select_configILj256ELj13ELNS0_17block_load_methodE3ELS4_3ELS4_3ELNS0_20block_scan_algorithmE0ELj4294967295EEENS1_25partition_config_selectorILNS1_17partition_subalgoE3EjNS0_10empty_typeEbEEZZNS1_14partition_implILS8_3ELb0ES6_jNS0_17counting_iteratorIjlEEPS9_SE_NS0_5tupleIJPjSE_EEENSF_IJSE_SE_EEES9_SG_JZNS1_25segmented_radix_sort_implINS0_14default_configELb1EPKaPaPKlPlN2at6native12_GLOBAL__N_18offset_tEEE10hipError_tPvRmT1_PNSt15iterator_traitsISY_E10value_typeET2_T3_PNSZ_IS14_E10value_typeET4_jRbjT5_S1A_jjP12ihipStream_tbEUljE_EEESV_SW_SX_S14_S18_S1A_T6_T7_T9_mT8_S1C_bDpT10_ENKUlT_T0_E_clISt17integral_constantIbLb1EES1P_EEDaS1K_S1L_EUlS1K_E_NS1_11comp_targetILNS1_3genE8ELNS1_11target_archE1030ELNS1_3gpuE2ELNS1_3repE0EEENS1_30default_config_static_selectorELNS0_4arch9wavefront6targetE0EEEvSY_.has_indirect_call, 0
	.section	.AMDGPU.csdata,"",@progbits
; Kernel info:
; codeLenInByte = 0
; TotalNumSgprs: 0
; NumVgprs: 0
; ScratchSize: 0
; MemoryBound: 0
; FloatMode: 240
; IeeeMode: 1
; LDSByteSize: 0 bytes/workgroup (compile time only)
; SGPRBlocks: 0
; VGPRBlocks: 0
; NumSGPRsForWavesPerEU: 1
; NumVGPRsForWavesPerEU: 1
; Occupancy: 16
; WaveLimiterHint : 0
; COMPUTE_PGM_RSRC2:SCRATCH_EN: 0
; COMPUTE_PGM_RSRC2:USER_SGPR: 2
; COMPUTE_PGM_RSRC2:TRAP_HANDLER: 0
; COMPUTE_PGM_RSRC2:TGID_X_EN: 1
; COMPUTE_PGM_RSRC2:TGID_Y_EN: 0
; COMPUTE_PGM_RSRC2:TGID_Z_EN: 0
; COMPUTE_PGM_RSRC2:TIDIG_COMP_CNT: 0
	.section	.text._ZN7rocprim17ROCPRIM_400000_NS6detail17trampoline_kernelINS0_13select_configILj256ELj13ELNS0_17block_load_methodE3ELS4_3ELS4_3ELNS0_20block_scan_algorithmE0ELj4294967295EEENS1_25partition_config_selectorILNS1_17partition_subalgoE3EjNS0_10empty_typeEbEEZZNS1_14partition_implILS8_3ELb0ES6_jNS0_17counting_iteratorIjlEEPS9_SE_NS0_5tupleIJPjSE_EEENSF_IJSE_SE_EEES9_SG_JZNS1_25segmented_radix_sort_implINS0_14default_configELb1EPKaPaPKlPlN2at6native12_GLOBAL__N_18offset_tEEE10hipError_tPvRmT1_PNSt15iterator_traitsISY_E10value_typeET2_T3_PNSZ_IS14_E10value_typeET4_jRbjT5_S1A_jjP12ihipStream_tbEUljE_EEESV_SW_SX_S14_S18_S1A_T6_T7_T9_mT8_S1C_bDpT10_ENKUlT_T0_E_clISt17integral_constantIbLb1EES1O_IbLb0EEEEDaS1K_S1L_EUlS1K_E_NS1_11comp_targetILNS1_3genE0ELNS1_11target_archE4294967295ELNS1_3gpuE0ELNS1_3repE0EEENS1_30default_config_static_selectorELNS0_4arch9wavefront6targetE0EEEvSY_,"axG",@progbits,_ZN7rocprim17ROCPRIM_400000_NS6detail17trampoline_kernelINS0_13select_configILj256ELj13ELNS0_17block_load_methodE3ELS4_3ELS4_3ELNS0_20block_scan_algorithmE0ELj4294967295EEENS1_25partition_config_selectorILNS1_17partition_subalgoE3EjNS0_10empty_typeEbEEZZNS1_14partition_implILS8_3ELb0ES6_jNS0_17counting_iteratorIjlEEPS9_SE_NS0_5tupleIJPjSE_EEENSF_IJSE_SE_EEES9_SG_JZNS1_25segmented_radix_sort_implINS0_14default_configELb1EPKaPaPKlPlN2at6native12_GLOBAL__N_18offset_tEEE10hipError_tPvRmT1_PNSt15iterator_traitsISY_E10value_typeET2_T3_PNSZ_IS14_E10value_typeET4_jRbjT5_S1A_jjP12ihipStream_tbEUljE_EEESV_SW_SX_S14_S18_S1A_T6_T7_T9_mT8_S1C_bDpT10_ENKUlT_T0_E_clISt17integral_constantIbLb1EES1O_IbLb0EEEEDaS1K_S1L_EUlS1K_E_NS1_11comp_targetILNS1_3genE0ELNS1_11target_archE4294967295ELNS1_3gpuE0ELNS1_3repE0EEENS1_30default_config_static_selectorELNS0_4arch9wavefront6targetE0EEEvSY_,comdat
	.globl	_ZN7rocprim17ROCPRIM_400000_NS6detail17trampoline_kernelINS0_13select_configILj256ELj13ELNS0_17block_load_methodE3ELS4_3ELS4_3ELNS0_20block_scan_algorithmE0ELj4294967295EEENS1_25partition_config_selectorILNS1_17partition_subalgoE3EjNS0_10empty_typeEbEEZZNS1_14partition_implILS8_3ELb0ES6_jNS0_17counting_iteratorIjlEEPS9_SE_NS0_5tupleIJPjSE_EEENSF_IJSE_SE_EEES9_SG_JZNS1_25segmented_radix_sort_implINS0_14default_configELb1EPKaPaPKlPlN2at6native12_GLOBAL__N_18offset_tEEE10hipError_tPvRmT1_PNSt15iterator_traitsISY_E10value_typeET2_T3_PNSZ_IS14_E10value_typeET4_jRbjT5_S1A_jjP12ihipStream_tbEUljE_EEESV_SW_SX_S14_S18_S1A_T6_T7_T9_mT8_S1C_bDpT10_ENKUlT_T0_E_clISt17integral_constantIbLb1EES1O_IbLb0EEEEDaS1K_S1L_EUlS1K_E_NS1_11comp_targetILNS1_3genE0ELNS1_11target_archE4294967295ELNS1_3gpuE0ELNS1_3repE0EEENS1_30default_config_static_selectorELNS0_4arch9wavefront6targetE0EEEvSY_ ; -- Begin function _ZN7rocprim17ROCPRIM_400000_NS6detail17trampoline_kernelINS0_13select_configILj256ELj13ELNS0_17block_load_methodE3ELS4_3ELS4_3ELNS0_20block_scan_algorithmE0ELj4294967295EEENS1_25partition_config_selectorILNS1_17partition_subalgoE3EjNS0_10empty_typeEbEEZZNS1_14partition_implILS8_3ELb0ES6_jNS0_17counting_iteratorIjlEEPS9_SE_NS0_5tupleIJPjSE_EEENSF_IJSE_SE_EEES9_SG_JZNS1_25segmented_radix_sort_implINS0_14default_configELb1EPKaPaPKlPlN2at6native12_GLOBAL__N_18offset_tEEE10hipError_tPvRmT1_PNSt15iterator_traitsISY_E10value_typeET2_T3_PNSZ_IS14_E10value_typeET4_jRbjT5_S1A_jjP12ihipStream_tbEUljE_EEESV_SW_SX_S14_S18_S1A_T6_T7_T9_mT8_S1C_bDpT10_ENKUlT_T0_E_clISt17integral_constantIbLb1EES1O_IbLb0EEEEDaS1K_S1L_EUlS1K_E_NS1_11comp_targetILNS1_3genE0ELNS1_11target_archE4294967295ELNS1_3gpuE0ELNS1_3repE0EEENS1_30default_config_static_selectorELNS0_4arch9wavefront6targetE0EEEvSY_
	.p2align	8
	.type	_ZN7rocprim17ROCPRIM_400000_NS6detail17trampoline_kernelINS0_13select_configILj256ELj13ELNS0_17block_load_methodE3ELS4_3ELS4_3ELNS0_20block_scan_algorithmE0ELj4294967295EEENS1_25partition_config_selectorILNS1_17partition_subalgoE3EjNS0_10empty_typeEbEEZZNS1_14partition_implILS8_3ELb0ES6_jNS0_17counting_iteratorIjlEEPS9_SE_NS0_5tupleIJPjSE_EEENSF_IJSE_SE_EEES9_SG_JZNS1_25segmented_radix_sort_implINS0_14default_configELb1EPKaPaPKlPlN2at6native12_GLOBAL__N_18offset_tEEE10hipError_tPvRmT1_PNSt15iterator_traitsISY_E10value_typeET2_T3_PNSZ_IS14_E10value_typeET4_jRbjT5_S1A_jjP12ihipStream_tbEUljE_EEESV_SW_SX_S14_S18_S1A_T6_T7_T9_mT8_S1C_bDpT10_ENKUlT_T0_E_clISt17integral_constantIbLb1EES1O_IbLb0EEEEDaS1K_S1L_EUlS1K_E_NS1_11comp_targetILNS1_3genE0ELNS1_11target_archE4294967295ELNS1_3gpuE0ELNS1_3repE0EEENS1_30default_config_static_selectorELNS0_4arch9wavefront6targetE0EEEvSY_,@function
_ZN7rocprim17ROCPRIM_400000_NS6detail17trampoline_kernelINS0_13select_configILj256ELj13ELNS0_17block_load_methodE3ELS4_3ELS4_3ELNS0_20block_scan_algorithmE0ELj4294967295EEENS1_25partition_config_selectorILNS1_17partition_subalgoE3EjNS0_10empty_typeEbEEZZNS1_14partition_implILS8_3ELb0ES6_jNS0_17counting_iteratorIjlEEPS9_SE_NS0_5tupleIJPjSE_EEENSF_IJSE_SE_EEES9_SG_JZNS1_25segmented_radix_sort_implINS0_14default_configELb1EPKaPaPKlPlN2at6native12_GLOBAL__N_18offset_tEEE10hipError_tPvRmT1_PNSt15iterator_traitsISY_E10value_typeET2_T3_PNSZ_IS14_E10value_typeET4_jRbjT5_S1A_jjP12ihipStream_tbEUljE_EEESV_SW_SX_S14_S18_S1A_T6_T7_T9_mT8_S1C_bDpT10_ENKUlT_T0_E_clISt17integral_constantIbLb1EES1O_IbLb0EEEEDaS1K_S1L_EUlS1K_E_NS1_11comp_targetILNS1_3genE0ELNS1_11target_archE4294967295ELNS1_3gpuE0ELNS1_3repE0EEENS1_30default_config_static_selectorELNS0_4arch9wavefront6targetE0EEEvSY_: ; @_ZN7rocprim17ROCPRIM_400000_NS6detail17trampoline_kernelINS0_13select_configILj256ELj13ELNS0_17block_load_methodE3ELS4_3ELS4_3ELNS0_20block_scan_algorithmE0ELj4294967295EEENS1_25partition_config_selectorILNS1_17partition_subalgoE3EjNS0_10empty_typeEbEEZZNS1_14partition_implILS8_3ELb0ES6_jNS0_17counting_iteratorIjlEEPS9_SE_NS0_5tupleIJPjSE_EEENSF_IJSE_SE_EEES9_SG_JZNS1_25segmented_radix_sort_implINS0_14default_configELb1EPKaPaPKlPlN2at6native12_GLOBAL__N_18offset_tEEE10hipError_tPvRmT1_PNSt15iterator_traitsISY_E10value_typeET2_T3_PNSZ_IS14_E10value_typeET4_jRbjT5_S1A_jjP12ihipStream_tbEUljE_EEESV_SW_SX_S14_S18_S1A_T6_T7_T9_mT8_S1C_bDpT10_ENKUlT_T0_E_clISt17integral_constantIbLb1EES1O_IbLb0EEEEDaS1K_S1L_EUlS1K_E_NS1_11comp_targetILNS1_3genE0ELNS1_11target_archE4294967295ELNS1_3gpuE0ELNS1_3repE0EEENS1_30default_config_static_selectorELNS0_4arch9wavefront6targetE0EEEvSY_
; %bb.0:
	.section	.rodata,"a",@progbits
	.p2align	6, 0x0
	.amdhsa_kernel _ZN7rocprim17ROCPRIM_400000_NS6detail17trampoline_kernelINS0_13select_configILj256ELj13ELNS0_17block_load_methodE3ELS4_3ELS4_3ELNS0_20block_scan_algorithmE0ELj4294967295EEENS1_25partition_config_selectorILNS1_17partition_subalgoE3EjNS0_10empty_typeEbEEZZNS1_14partition_implILS8_3ELb0ES6_jNS0_17counting_iteratorIjlEEPS9_SE_NS0_5tupleIJPjSE_EEENSF_IJSE_SE_EEES9_SG_JZNS1_25segmented_radix_sort_implINS0_14default_configELb1EPKaPaPKlPlN2at6native12_GLOBAL__N_18offset_tEEE10hipError_tPvRmT1_PNSt15iterator_traitsISY_E10value_typeET2_T3_PNSZ_IS14_E10value_typeET4_jRbjT5_S1A_jjP12ihipStream_tbEUljE_EEESV_SW_SX_S14_S18_S1A_T6_T7_T9_mT8_S1C_bDpT10_ENKUlT_T0_E_clISt17integral_constantIbLb1EES1O_IbLb0EEEEDaS1K_S1L_EUlS1K_E_NS1_11comp_targetILNS1_3genE0ELNS1_11target_archE4294967295ELNS1_3gpuE0ELNS1_3repE0EEENS1_30default_config_static_selectorELNS0_4arch9wavefront6targetE0EEEvSY_
		.amdhsa_group_segment_fixed_size 0
		.amdhsa_private_segment_fixed_size 0
		.amdhsa_kernarg_size 144
		.amdhsa_user_sgpr_count 2
		.amdhsa_user_sgpr_dispatch_ptr 0
		.amdhsa_user_sgpr_queue_ptr 0
		.amdhsa_user_sgpr_kernarg_segment_ptr 1
		.amdhsa_user_sgpr_dispatch_id 0
		.amdhsa_user_sgpr_private_segment_size 0
		.amdhsa_wavefront_size32 1
		.amdhsa_uses_dynamic_stack 0
		.amdhsa_enable_private_segment 0
		.amdhsa_system_sgpr_workgroup_id_x 1
		.amdhsa_system_sgpr_workgroup_id_y 0
		.amdhsa_system_sgpr_workgroup_id_z 0
		.amdhsa_system_sgpr_workgroup_info 0
		.amdhsa_system_vgpr_workitem_id 0
		.amdhsa_next_free_vgpr 1
		.amdhsa_next_free_sgpr 1
		.amdhsa_reserve_vcc 0
		.amdhsa_float_round_mode_32 0
		.amdhsa_float_round_mode_16_64 0
		.amdhsa_float_denorm_mode_32 3
		.amdhsa_float_denorm_mode_16_64 3
		.amdhsa_fp16_overflow 0
		.amdhsa_workgroup_processor_mode 1
		.amdhsa_memory_ordered 1
		.amdhsa_forward_progress 1
		.amdhsa_inst_pref_size 0
		.amdhsa_round_robin_scheduling 0
		.amdhsa_exception_fp_ieee_invalid_op 0
		.amdhsa_exception_fp_denorm_src 0
		.amdhsa_exception_fp_ieee_div_zero 0
		.amdhsa_exception_fp_ieee_overflow 0
		.amdhsa_exception_fp_ieee_underflow 0
		.amdhsa_exception_fp_ieee_inexact 0
		.amdhsa_exception_int_div_zero 0
	.end_amdhsa_kernel
	.section	.text._ZN7rocprim17ROCPRIM_400000_NS6detail17trampoline_kernelINS0_13select_configILj256ELj13ELNS0_17block_load_methodE3ELS4_3ELS4_3ELNS0_20block_scan_algorithmE0ELj4294967295EEENS1_25partition_config_selectorILNS1_17partition_subalgoE3EjNS0_10empty_typeEbEEZZNS1_14partition_implILS8_3ELb0ES6_jNS0_17counting_iteratorIjlEEPS9_SE_NS0_5tupleIJPjSE_EEENSF_IJSE_SE_EEES9_SG_JZNS1_25segmented_radix_sort_implINS0_14default_configELb1EPKaPaPKlPlN2at6native12_GLOBAL__N_18offset_tEEE10hipError_tPvRmT1_PNSt15iterator_traitsISY_E10value_typeET2_T3_PNSZ_IS14_E10value_typeET4_jRbjT5_S1A_jjP12ihipStream_tbEUljE_EEESV_SW_SX_S14_S18_S1A_T6_T7_T9_mT8_S1C_bDpT10_ENKUlT_T0_E_clISt17integral_constantIbLb1EES1O_IbLb0EEEEDaS1K_S1L_EUlS1K_E_NS1_11comp_targetILNS1_3genE0ELNS1_11target_archE4294967295ELNS1_3gpuE0ELNS1_3repE0EEENS1_30default_config_static_selectorELNS0_4arch9wavefront6targetE0EEEvSY_,"axG",@progbits,_ZN7rocprim17ROCPRIM_400000_NS6detail17trampoline_kernelINS0_13select_configILj256ELj13ELNS0_17block_load_methodE3ELS4_3ELS4_3ELNS0_20block_scan_algorithmE0ELj4294967295EEENS1_25partition_config_selectorILNS1_17partition_subalgoE3EjNS0_10empty_typeEbEEZZNS1_14partition_implILS8_3ELb0ES6_jNS0_17counting_iteratorIjlEEPS9_SE_NS0_5tupleIJPjSE_EEENSF_IJSE_SE_EEES9_SG_JZNS1_25segmented_radix_sort_implINS0_14default_configELb1EPKaPaPKlPlN2at6native12_GLOBAL__N_18offset_tEEE10hipError_tPvRmT1_PNSt15iterator_traitsISY_E10value_typeET2_T3_PNSZ_IS14_E10value_typeET4_jRbjT5_S1A_jjP12ihipStream_tbEUljE_EEESV_SW_SX_S14_S18_S1A_T6_T7_T9_mT8_S1C_bDpT10_ENKUlT_T0_E_clISt17integral_constantIbLb1EES1O_IbLb0EEEEDaS1K_S1L_EUlS1K_E_NS1_11comp_targetILNS1_3genE0ELNS1_11target_archE4294967295ELNS1_3gpuE0ELNS1_3repE0EEENS1_30default_config_static_selectorELNS0_4arch9wavefront6targetE0EEEvSY_,comdat
.Lfunc_end274:
	.size	_ZN7rocprim17ROCPRIM_400000_NS6detail17trampoline_kernelINS0_13select_configILj256ELj13ELNS0_17block_load_methodE3ELS4_3ELS4_3ELNS0_20block_scan_algorithmE0ELj4294967295EEENS1_25partition_config_selectorILNS1_17partition_subalgoE3EjNS0_10empty_typeEbEEZZNS1_14partition_implILS8_3ELb0ES6_jNS0_17counting_iteratorIjlEEPS9_SE_NS0_5tupleIJPjSE_EEENSF_IJSE_SE_EEES9_SG_JZNS1_25segmented_radix_sort_implINS0_14default_configELb1EPKaPaPKlPlN2at6native12_GLOBAL__N_18offset_tEEE10hipError_tPvRmT1_PNSt15iterator_traitsISY_E10value_typeET2_T3_PNSZ_IS14_E10value_typeET4_jRbjT5_S1A_jjP12ihipStream_tbEUljE_EEESV_SW_SX_S14_S18_S1A_T6_T7_T9_mT8_S1C_bDpT10_ENKUlT_T0_E_clISt17integral_constantIbLb1EES1O_IbLb0EEEEDaS1K_S1L_EUlS1K_E_NS1_11comp_targetILNS1_3genE0ELNS1_11target_archE4294967295ELNS1_3gpuE0ELNS1_3repE0EEENS1_30default_config_static_selectorELNS0_4arch9wavefront6targetE0EEEvSY_, .Lfunc_end274-_ZN7rocprim17ROCPRIM_400000_NS6detail17trampoline_kernelINS0_13select_configILj256ELj13ELNS0_17block_load_methodE3ELS4_3ELS4_3ELNS0_20block_scan_algorithmE0ELj4294967295EEENS1_25partition_config_selectorILNS1_17partition_subalgoE3EjNS0_10empty_typeEbEEZZNS1_14partition_implILS8_3ELb0ES6_jNS0_17counting_iteratorIjlEEPS9_SE_NS0_5tupleIJPjSE_EEENSF_IJSE_SE_EEES9_SG_JZNS1_25segmented_radix_sort_implINS0_14default_configELb1EPKaPaPKlPlN2at6native12_GLOBAL__N_18offset_tEEE10hipError_tPvRmT1_PNSt15iterator_traitsISY_E10value_typeET2_T3_PNSZ_IS14_E10value_typeET4_jRbjT5_S1A_jjP12ihipStream_tbEUljE_EEESV_SW_SX_S14_S18_S1A_T6_T7_T9_mT8_S1C_bDpT10_ENKUlT_T0_E_clISt17integral_constantIbLb1EES1O_IbLb0EEEEDaS1K_S1L_EUlS1K_E_NS1_11comp_targetILNS1_3genE0ELNS1_11target_archE4294967295ELNS1_3gpuE0ELNS1_3repE0EEENS1_30default_config_static_selectorELNS0_4arch9wavefront6targetE0EEEvSY_
                                        ; -- End function
	.set _ZN7rocprim17ROCPRIM_400000_NS6detail17trampoline_kernelINS0_13select_configILj256ELj13ELNS0_17block_load_methodE3ELS4_3ELS4_3ELNS0_20block_scan_algorithmE0ELj4294967295EEENS1_25partition_config_selectorILNS1_17partition_subalgoE3EjNS0_10empty_typeEbEEZZNS1_14partition_implILS8_3ELb0ES6_jNS0_17counting_iteratorIjlEEPS9_SE_NS0_5tupleIJPjSE_EEENSF_IJSE_SE_EEES9_SG_JZNS1_25segmented_radix_sort_implINS0_14default_configELb1EPKaPaPKlPlN2at6native12_GLOBAL__N_18offset_tEEE10hipError_tPvRmT1_PNSt15iterator_traitsISY_E10value_typeET2_T3_PNSZ_IS14_E10value_typeET4_jRbjT5_S1A_jjP12ihipStream_tbEUljE_EEESV_SW_SX_S14_S18_S1A_T6_T7_T9_mT8_S1C_bDpT10_ENKUlT_T0_E_clISt17integral_constantIbLb1EES1O_IbLb0EEEEDaS1K_S1L_EUlS1K_E_NS1_11comp_targetILNS1_3genE0ELNS1_11target_archE4294967295ELNS1_3gpuE0ELNS1_3repE0EEENS1_30default_config_static_selectorELNS0_4arch9wavefront6targetE0EEEvSY_.num_vgpr, 0
	.set _ZN7rocprim17ROCPRIM_400000_NS6detail17trampoline_kernelINS0_13select_configILj256ELj13ELNS0_17block_load_methodE3ELS4_3ELS4_3ELNS0_20block_scan_algorithmE0ELj4294967295EEENS1_25partition_config_selectorILNS1_17partition_subalgoE3EjNS0_10empty_typeEbEEZZNS1_14partition_implILS8_3ELb0ES6_jNS0_17counting_iteratorIjlEEPS9_SE_NS0_5tupleIJPjSE_EEENSF_IJSE_SE_EEES9_SG_JZNS1_25segmented_radix_sort_implINS0_14default_configELb1EPKaPaPKlPlN2at6native12_GLOBAL__N_18offset_tEEE10hipError_tPvRmT1_PNSt15iterator_traitsISY_E10value_typeET2_T3_PNSZ_IS14_E10value_typeET4_jRbjT5_S1A_jjP12ihipStream_tbEUljE_EEESV_SW_SX_S14_S18_S1A_T6_T7_T9_mT8_S1C_bDpT10_ENKUlT_T0_E_clISt17integral_constantIbLb1EES1O_IbLb0EEEEDaS1K_S1L_EUlS1K_E_NS1_11comp_targetILNS1_3genE0ELNS1_11target_archE4294967295ELNS1_3gpuE0ELNS1_3repE0EEENS1_30default_config_static_selectorELNS0_4arch9wavefront6targetE0EEEvSY_.num_agpr, 0
	.set _ZN7rocprim17ROCPRIM_400000_NS6detail17trampoline_kernelINS0_13select_configILj256ELj13ELNS0_17block_load_methodE3ELS4_3ELS4_3ELNS0_20block_scan_algorithmE0ELj4294967295EEENS1_25partition_config_selectorILNS1_17partition_subalgoE3EjNS0_10empty_typeEbEEZZNS1_14partition_implILS8_3ELb0ES6_jNS0_17counting_iteratorIjlEEPS9_SE_NS0_5tupleIJPjSE_EEENSF_IJSE_SE_EEES9_SG_JZNS1_25segmented_radix_sort_implINS0_14default_configELb1EPKaPaPKlPlN2at6native12_GLOBAL__N_18offset_tEEE10hipError_tPvRmT1_PNSt15iterator_traitsISY_E10value_typeET2_T3_PNSZ_IS14_E10value_typeET4_jRbjT5_S1A_jjP12ihipStream_tbEUljE_EEESV_SW_SX_S14_S18_S1A_T6_T7_T9_mT8_S1C_bDpT10_ENKUlT_T0_E_clISt17integral_constantIbLb1EES1O_IbLb0EEEEDaS1K_S1L_EUlS1K_E_NS1_11comp_targetILNS1_3genE0ELNS1_11target_archE4294967295ELNS1_3gpuE0ELNS1_3repE0EEENS1_30default_config_static_selectorELNS0_4arch9wavefront6targetE0EEEvSY_.numbered_sgpr, 0
	.set _ZN7rocprim17ROCPRIM_400000_NS6detail17trampoline_kernelINS0_13select_configILj256ELj13ELNS0_17block_load_methodE3ELS4_3ELS4_3ELNS0_20block_scan_algorithmE0ELj4294967295EEENS1_25partition_config_selectorILNS1_17partition_subalgoE3EjNS0_10empty_typeEbEEZZNS1_14partition_implILS8_3ELb0ES6_jNS0_17counting_iteratorIjlEEPS9_SE_NS0_5tupleIJPjSE_EEENSF_IJSE_SE_EEES9_SG_JZNS1_25segmented_radix_sort_implINS0_14default_configELb1EPKaPaPKlPlN2at6native12_GLOBAL__N_18offset_tEEE10hipError_tPvRmT1_PNSt15iterator_traitsISY_E10value_typeET2_T3_PNSZ_IS14_E10value_typeET4_jRbjT5_S1A_jjP12ihipStream_tbEUljE_EEESV_SW_SX_S14_S18_S1A_T6_T7_T9_mT8_S1C_bDpT10_ENKUlT_T0_E_clISt17integral_constantIbLb1EES1O_IbLb0EEEEDaS1K_S1L_EUlS1K_E_NS1_11comp_targetILNS1_3genE0ELNS1_11target_archE4294967295ELNS1_3gpuE0ELNS1_3repE0EEENS1_30default_config_static_selectorELNS0_4arch9wavefront6targetE0EEEvSY_.num_named_barrier, 0
	.set _ZN7rocprim17ROCPRIM_400000_NS6detail17trampoline_kernelINS0_13select_configILj256ELj13ELNS0_17block_load_methodE3ELS4_3ELS4_3ELNS0_20block_scan_algorithmE0ELj4294967295EEENS1_25partition_config_selectorILNS1_17partition_subalgoE3EjNS0_10empty_typeEbEEZZNS1_14partition_implILS8_3ELb0ES6_jNS0_17counting_iteratorIjlEEPS9_SE_NS0_5tupleIJPjSE_EEENSF_IJSE_SE_EEES9_SG_JZNS1_25segmented_radix_sort_implINS0_14default_configELb1EPKaPaPKlPlN2at6native12_GLOBAL__N_18offset_tEEE10hipError_tPvRmT1_PNSt15iterator_traitsISY_E10value_typeET2_T3_PNSZ_IS14_E10value_typeET4_jRbjT5_S1A_jjP12ihipStream_tbEUljE_EEESV_SW_SX_S14_S18_S1A_T6_T7_T9_mT8_S1C_bDpT10_ENKUlT_T0_E_clISt17integral_constantIbLb1EES1O_IbLb0EEEEDaS1K_S1L_EUlS1K_E_NS1_11comp_targetILNS1_3genE0ELNS1_11target_archE4294967295ELNS1_3gpuE0ELNS1_3repE0EEENS1_30default_config_static_selectorELNS0_4arch9wavefront6targetE0EEEvSY_.private_seg_size, 0
	.set _ZN7rocprim17ROCPRIM_400000_NS6detail17trampoline_kernelINS0_13select_configILj256ELj13ELNS0_17block_load_methodE3ELS4_3ELS4_3ELNS0_20block_scan_algorithmE0ELj4294967295EEENS1_25partition_config_selectorILNS1_17partition_subalgoE3EjNS0_10empty_typeEbEEZZNS1_14partition_implILS8_3ELb0ES6_jNS0_17counting_iteratorIjlEEPS9_SE_NS0_5tupleIJPjSE_EEENSF_IJSE_SE_EEES9_SG_JZNS1_25segmented_radix_sort_implINS0_14default_configELb1EPKaPaPKlPlN2at6native12_GLOBAL__N_18offset_tEEE10hipError_tPvRmT1_PNSt15iterator_traitsISY_E10value_typeET2_T3_PNSZ_IS14_E10value_typeET4_jRbjT5_S1A_jjP12ihipStream_tbEUljE_EEESV_SW_SX_S14_S18_S1A_T6_T7_T9_mT8_S1C_bDpT10_ENKUlT_T0_E_clISt17integral_constantIbLb1EES1O_IbLb0EEEEDaS1K_S1L_EUlS1K_E_NS1_11comp_targetILNS1_3genE0ELNS1_11target_archE4294967295ELNS1_3gpuE0ELNS1_3repE0EEENS1_30default_config_static_selectorELNS0_4arch9wavefront6targetE0EEEvSY_.uses_vcc, 0
	.set _ZN7rocprim17ROCPRIM_400000_NS6detail17trampoline_kernelINS0_13select_configILj256ELj13ELNS0_17block_load_methodE3ELS4_3ELS4_3ELNS0_20block_scan_algorithmE0ELj4294967295EEENS1_25partition_config_selectorILNS1_17partition_subalgoE3EjNS0_10empty_typeEbEEZZNS1_14partition_implILS8_3ELb0ES6_jNS0_17counting_iteratorIjlEEPS9_SE_NS0_5tupleIJPjSE_EEENSF_IJSE_SE_EEES9_SG_JZNS1_25segmented_radix_sort_implINS0_14default_configELb1EPKaPaPKlPlN2at6native12_GLOBAL__N_18offset_tEEE10hipError_tPvRmT1_PNSt15iterator_traitsISY_E10value_typeET2_T3_PNSZ_IS14_E10value_typeET4_jRbjT5_S1A_jjP12ihipStream_tbEUljE_EEESV_SW_SX_S14_S18_S1A_T6_T7_T9_mT8_S1C_bDpT10_ENKUlT_T0_E_clISt17integral_constantIbLb1EES1O_IbLb0EEEEDaS1K_S1L_EUlS1K_E_NS1_11comp_targetILNS1_3genE0ELNS1_11target_archE4294967295ELNS1_3gpuE0ELNS1_3repE0EEENS1_30default_config_static_selectorELNS0_4arch9wavefront6targetE0EEEvSY_.uses_flat_scratch, 0
	.set _ZN7rocprim17ROCPRIM_400000_NS6detail17trampoline_kernelINS0_13select_configILj256ELj13ELNS0_17block_load_methodE3ELS4_3ELS4_3ELNS0_20block_scan_algorithmE0ELj4294967295EEENS1_25partition_config_selectorILNS1_17partition_subalgoE3EjNS0_10empty_typeEbEEZZNS1_14partition_implILS8_3ELb0ES6_jNS0_17counting_iteratorIjlEEPS9_SE_NS0_5tupleIJPjSE_EEENSF_IJSE_SE_EEES9_SG_JZNS1_25segmented_radix_sort_implINS0_14default_configELb1EPKaPaPKlPlN2at6native12_GLOBAL__N_18offset_tEEE10hipError_tPvRmT1_PNSt15iterator_traitsISY_E10value_typeET2_T3_PNSZ_IS14_E10value_typeET4_jRbjT5_S1A_jjP12ihipStream_tbEUljE_EEESV_SW_SX_S14_S18_S1A_T6_T7_T9_mT8_S1C_bDpT10_ENKUlT_T0_E_clISt17integral_constantIbLb1EES1O_IbLb0EEEEDaS1K_S1L_EUlS1K_E_NS1_11comp_targetILNS1_3genE0ELNS1_11target_archE4294967295ELNS1_3gpuE0ELNS1_3repE0EEENS1_30default_config_static_selectorELNS0_4arch9wavefront6targetE0EEEvSY_.has_dyn_sized_stack, 0
	.set _ZN7rocprim17ROCPRIM_400000_NS6detail17trampoline_kernelINS0_13select_configILj256ELj13ELNS0_17block_load_methodE3ELS4_3ELS4_3ELNS0_20block_scan_algorithmE0ELj4294967295EEENS1_25partition_config_selectorILNS1_17partition_subalgoE3EjNS0_10empty_typeEbEEZZNS1_14partition_implILS8_3ELb0ES6_jNS0_17counting_iteratorIjlEEPS9_SE_NS0_5tupleIJPjSE_EEENSF_IJSE_SE_EEES9_SG_JZNS1_25segmented_radix_sort_implINS0_14default_configELb1EPKaPaPKlPlN2at6native12_GLOBAL__N_18offset_tEEE10hipError_tPvRmT1_PNSt15iterator_traitsISY_E10value_typeET2_T3_PNSZ_IS14_E10value_typeET4_jRbjT5_S1A_jjP12ihipStream_tbEUljE_EEESV_SW_SX_S14_S18_S1A_T6_T7_T9_mT8_S1C_bDpT10_ENKUlT_T0_E_clISt17integral_constantIbLb1EES1O_IbLb0EEEEDaS1K_S1L_EUlS1K_E_NS1_11comp_targetILNS1_3genE0ELNS1_11target_archE4294967295ELNS1_3gpuE0ELNS1_3repE0EEENS1_30default_config_static_selectorELNS0_4arch9wavefront6targetE0EEEvSY_.has_recursion, 0
	.set _ZN7rocprim17ROCPRIM_400000_NS6detail17trampoline_kernelINS0_13select_configILj256ELj13ELNS0_17block_load_methodE3ELS4_3ELS4_3ELNS0_20block_scan_algorithmE0ELj4294967295EEENS1_25partition_config_selectorILNS1_17partition_subalgoE3EjNS0_10empty_typeEbEEZZNS1_14partition_implILS8_3ELb0ES6_jNS0_17counting_iteratorIjlEEPS9_SE_NS0_5tupleIJPjSE_EEENSF_IJSE_SE_EEES9_SG_JZNS1_25segmented_radix_sort_implINS0_14default_configELb1EPKaPaPKlPlN2at6native12_GLOBAL__N_18offset_tEEE10hipError_tPvRmT1_PNSt15iterator_traitsISY_E10value_typeET2_T3_PNSZ_IS14_E10value_typeET4_jRbjT5_S1A_jjP12ihipStream_tbEUljE_EEESV_SW_SX_S14_S18_S1A_T6_T7_T9_mT8_S1C_bDpT10_ENKUlT_T0_E_clISt17integral_constantIbLb1EES1O_IbLb0EEEEDaS1K_S1L_EUlS1K_E_NS1_11comp_targetILNS1_3genE0ELNS1_11target_archE4294967295ELNS1_3gpuE0ELNS1_3repE0EEENS1_30default_config_static_selectorELNS0_4arch9wavefront6targetE0EEEvSY_.has_indirect_call, 0
	.section	.AMDGPU.csdata,"",@progbits
; Kernel info:
; codeLenInByte = 0
; TotalNumSgprs: 0
; NumVgprs: 0
; ScratchSize: 0
; MemoryBound: 0
; FloatMode: 240
; IeeeMode: 1
; LDSByteSize: 0 bytes/workgroup (compile time only)
; SGPRBlocks: 0
; VGPRBlocks: 0
; NumSGPRsForWavesPerEU: 1
; NumVGPRsForWavesPerEU: 1
; Occupancy: 16
; WaveLimiterHint : 0
; COMPUTE_PGM_RSRC2:SCRATCH_EN: 0
; COMPUTE_PGM_RSRC2:USER_SGPR: 2
; COMPUTE_PGM_RSRC2:TRAP_HANDLER: 0
; COMPUTE_PGM_RSRC2:TGID_X_EN: 1
; COMPUTE_PGM_RSRC2:TGID_Y_EN: 0
; COMPUTE_PGM_RSRC2:TGID_Z_EN: 0
; COMPUTE_PGM_RSRC2:TIDIG_COMP_CNT: 0
	.section	.text._ZN7rocprim17ROCPRIM_400000_NS6detail17trampoline_kernelINS0_13select_configILj256ELj13ELNS0_17block_load_methodE3ELS4_3ELS4_3ELNS0_20block_scan_algorithmE0ELj4294967295EEENS1_25partition_config_selectorILNS1_17partition_subalgoE3EjNS0_10empty_typeEbEEZZNS1_14partition_implILS8_3ELb0ES6_jNS0_17counting_iteratorIjlEEPS9_SE_NS0_5tupleIJPjSE_EEENSF_IJSE_SE_EEES9_SG_JZNS1_25segmented_radix_sort_implINS0_14default_configELb1EPKaPaPKlPlN2at6native12_GLOBAL__N_18offset_tEEE10hipError_tPvRmT1_PNSt15iterator_traitsISY_E10value_typeET2_T3_PNSZ_IS14_E10value_typeET4_jRbjT5_S1A_jjP12ihipStream_tbEUljE_EEESV_SW_SX_S14_S18_S1A_T6_T7_T9_mT8_S1C_bDpT10_ENKUlT_T0_E_clISt17integral_constantIbLb1EES1O_IbLb0EEEEDaS1K_S1L_EUlS1K_E_NS1_11comp_targetILNS1_3genE5ELNS1_11target_archE942ELNS1_3gpuE9ELNS1_3repE0EEENS1_30default_config_static_selectorELNS0_4arch9wavefront6targetE0EEEvSY_,"axG",@progbits,_ZN7rocprim17ROCPRIM_400000_NS6detail17trampoline_kernelINS0_13select_configILj256ELj13ELNS0_17block_load_methodE3ELS4_3ELS4_3ELNS0_20block_scan_algorithmE0ELj4294967295EEENS1_25partition_config_selectorILNS1_17partition_subalgoE3EjNS0_10empty_typeEbEEZZNS1_14partition_implILS8_3ELb0ES6_jNS0_17counting_iteratorIjlEEPS9_SE_NS0_5tupleIJPjSE_EEENSF_IJSE_SE_EEES9_SG_JZNS1_25segmented_radix_sort_implINS0_14default_configELb1EPKaPaPKlPlN2at6native12_GLOBAL__N_18offset_tEEE10hipError_tPvRmT1_PNSt15iterator_traitsISY_E10value_typeET2_T3_PNSZ_IS14_E10value_typeET4_jRbjT5_S1A_jjP12ihipStream_tbEUljE_EEESV_SW_SX_S14_S18_S1A_T6_T7_T9_mT8_S1C_bDpT10_ENKUlT_T0_E_clISt17integral_constantIbLb1EES1O_IbLb0EEEEDaS1K_S1L_EUlS1K_E_NS1_11comp_targetILNS1_3genE5ELNS1_11target_archE942ELNS1_3gpuE9ELNS1_3repE0EEENS1_30default_config_static_selectorELNS0_4arch9wavefront6targetE0EEEvSY_,comdat
	.globl	_ZN7rocprim17ROCPRIM_400000_NS6detail17trampoline_kernelINS0_13select_configILj256ELj13ELNS0_17block_load_methodE3ELS4_3ELS4_3ELNS0_20block_scan_algorithmE0ELj4294967295EEENS1_25partition_config_selectorILNS1_17partition_subalgoE3EjNS0_10empty_typeEbEEZZNS1_14partition_implILS8_3ELb0ES6_jNS0_17counting_iteratorIjlEEPS9_SE_NS0_5tupleIJPjSE_EEENSF_IJSE_SE_EEES9_SG_JZNS1_25segmented_radix_sort_implINS0_14default_configELb1EPKaPaPKlPlN2at6native12_GLOBAL__N_18offset_tEEE10hipError_tPvRmT1_PNSt15iterator_traitsISY_E10value_typeET2_T3_PNSZ_IS14_E10value_typeET4_jRbjT5_S1A_jjP12ihipStream_tbEUljE_EEESV_SW_SX_S14_S18_S1A_T6_T7_T9_mT8_S1C_bDpT10_ENKUlT_T0_E_clISt17integral_constantIbLb1EES1O_IbLb0EEEEDaS1K_S1L_EUlS1K_E_NS1_11comp_targetILNS1_3genE5ELNS1_11target_archE942ELNS1_3gpuE9ELNS1_3repE0EEENS1_30default_config_static_selectorELNS0_4arch9wavefront6targetE0EEEvSY_ ; -- Begin function _ZN7rocprim17ROCPRIM_400000_NS6detail17trampoline_kernelINS0_13select_configILj256ELj13ELNS0_17block_load_methodE3ELS4_3ELS4_3ELNS0_20block_scan_algorithmE0ELj4294967295EEENS1_25partition_config_selectorILNS1_17partition_subalgoE3EjNS0_10empty_typeEbEEZZNS1_14partition_implILS8_3ELb0ES6_jNS0_17counting_iteratorIjlEEPS9_SE_NS0_5tupleIJPjSE_EEENSF_IJSE_SE_EEES9_SG_JZNS1_25segmented_radix_sort_implINS0_14default_configELb1EPKaPaPKlPlN2at6native12_GLOBAL__N_18offset_tEEE10hipError_tPvRmT1_PNSt15iterator_traitsISY_E10value_typeET2_T3_PNSZ_IS14_E10value_typeET4_jRbjT5_S1A_jjP12ihipStream_tbEUljE_EEESV_SW_SX_S14_S18_S1A_T6_T7_T9_mT8_S1C_bDpT10_ENKUlT_T0_E_clISt17integral_constantIbLb1EES1O_IbLb0EEEEDaS1K_S1L_EUlS1K_E_NS1_11comp_targetILNS1_3genE5ELNS1_11target_archE942ELNS1_3gpuE9ELNS1_3repE0EEENS1_30default_config_static_selectorELNS0_4arch9wavefront6targetE0EEEvSY_
	.p2align	8
	.type	_ZN7rocprim17ROCPRIM_400000_NS6detail17trampoline_kernelINS0_13select_configILj256ELj13ELNS0_17block_load_methodE3ELS4_3ELS4_3ELNS0_20block_scan_algorithmE0ELj4294967295EEENS1_25partition_config_selectorILNS1_17partition_subalgoE3EjNS0_10empty_typeEbEEZZNS1_14partition_implILS8_3ELb0ES6_jNS0_17counting_iteratorIjlEEPS9_SE_NS0_5tupleIJPjSE_EEENSF_IJSE_SE_EEES9_SG_JZNS1_25segmented_radix_sort_implINS0_14default_configELb1EPKaPaPKlPlN2at6native12_GLOBAL__N_18offset_tEEE10hipError_tPvRmT1_PNSt15iterator_traitsISY_E10value_typeET2_T3_PNSZ_IS14_E10value_typeET4_jRbjT5_S1A_jjP12ihipStream_tbEUljE_EEESV_SW_SX_S14_S18_S1A_T6_T7_T9_mT8_S1C_bDpT10_ENKUlT_T0_E_clISt17integral_constantIbLb1EES1O_IbLb0EEEEDaS1K_S1L_EUlS1K_E_NS1_11comp_targetILNS1_3genE5ELNS1_11target_archE942ELNS1_3gpuE9ELNS1_3repE0EEENS1_30default_config_static_selectorELNS0_4arch9wavefront6targetE0EEEvSY_,@function
_ZN7rocprim17ROCPRIM_400000_NS6detail17trampoline_kernelINS0_13select_configILj256ELj13ELNS0_17block_load_methodE3ELS4_3ELS4_3ELNS0_20block_scan_algorithmE0ELj4294967295EEENS1_25partition_config_selectorILNS1_17partition_subalgoE3EjNS0_10empty_typeEbEEZZNS1_14partition_implILS8_3ELb0ES6_jNS0_17counting_iteratorIjlEEPS9_SE_NS0_5tupleIJPjSE_EEENSF_IJSE_SE_EEES9_SG_JZNS1_25segmented_radix_sort_implINS0_14default_configELb1EPKaPaPKlPlN2at6native12_GLOBAL__N_18offset_tEEE10hipError_tPvRmT1_PNSt15iterator_traitsISY_E10value_typeET2_T3_PNSZ_IS14_E10value_typeET4_jRbjT5_S1A_jjP12ihipStream_tbEUljE_EEESV_SW_SX_S14_S18_S1A_T6_T7_T9_mT8_S1C_bDpT10_ENKUlT_T0_E_clISt17integral_constantIbLb1EES1O_IbLb0EEEEDaS1K_S1L_EUlS1K_E_NS1_11comp_targetILNS1_3genE5ELNS1_11target_archE942ELNS1_3gpuE9ELNS1_3repE0EEENS1_30default_config_static_selectorELNS0_4arch9wavefront6targetE0EEEvSY_: ; @_ZN7rocprim17ROCPRIM_400000_NS6detail17trampoline_kernelINS0_13select_configILj256ELj13ELNS0_17block_load_methodE3ELS4_3ELS4_3ELNS0_20block_scan_algorithmE0ELj4294967295EEENS1_25partition_config_selectorILNS1_17partition_subalgoE3EjNS0_10empty_typeEbEEZZNS1_14partition_implILS8_3ELb0ES6_jNS0_17counting_iteratorIjlEEPS9_SE_NS0_5tupleIJPjSE_EEENSF_IJSE_SE_EEES9_SG_JZNS1_25segmented_radix_sort_implINS0_14default_configELb1EPKaPaPKlPlN2at6native12_GLOBAL__N_18offset_tEEE10hipError_tPvRmT1_PNSt15iterator_traitsISY_E10value_typeET2_T3_PNSZ_IS14_E10value_typeET4_jRbjT5_S1A_jjP12ihipStream_tbEUljE_EEESV_SW_SX_S14_S18_S1A_T6_T7_T9_mT8_S1C_bDpT10_ENKUlT_T0_E_clISt17integral_constantIbLb1EES1O_IbLb0EEEEDaS1K_S1L_EUlS1K_E_NS1_11comp_targetILNS1_3genE5ELNS1_11target_archE942ELNS1_3gpuE9ELNS1_3repE0EEENS1_30default_config_static_selectorELNS0_4arch9wavefront6targetE0EEEvSY_
; %bb.0:
	.section	.rodata,"a",@progbits
	.p2align	6, 0x0
	.amdhsa_kernel _ZN7rocprim17ROCPRIM_400000_NS6detail17trampoline_kernelINS0_13select_configILj256ELj13ELNS0_17block_load_methodE3ELS4_3ELS4_3ELNS0_20block_scan_algorithmE0ELj4294967295EEENS1_25partition_config_selectorILNS1_17partition_subalgoE3EjNS0_10empty_typeEbEEZZNS1_14partition_implILS8_3ELb0ES6_jNS0_17counting_iteratorIjlEEPS9_SE_NS0_5tupleIJPjSE_EEENSF_IJSE_SE_EEES9_SG_JZNS1_25segmented_radix_sort_implINS0_14default_configELb1EPKaPaPKlPlN2at6native12_GLOBAL__N_18offset_tEEE10hipError_tPvRmT1_PNSt15iterator_traitsISY_E10value_typeET2_T3_PNSZ_IS14_E10value_typeET4_jRbjT5_S1A_jjP12ihipStream_tbEUljE_EEESV_SW_SX_S14_S18_S1A_T6_T7_T9_mT8_S1C_bDpT10_ENKUlT_T0_E_clISt17integral_constantIbLb1EES1O_IbLb0EEEEDaS1K_S1L_EUlS1K_E_NS1_11comp_targetILNS1_3genE5ELNS1_11target_archE942ELNS1_3gpuE9ELNS1_3repE0EEENS1_30default_config_static_selectorELNS0_4arch9wavefront6targetE0EEEvSY_
		.amdhsa_group_segment_fixed_size 0
		.amdhsa_private_segment_fixed_size 0
		.amdhsa_kernarg_size 144
		.amdhsa_user_sgpr_count 2
		.amdhsa_user_sgpr_dispatch_ptr 0
		.amdhsa_user_sgpr_queue_ptr 0
		.amdhsa_user_sgpr_kernarg_segment_ptr 1
		.amdhsa_user_sgpr_dispatch_id 0
		.amdhsa_user_sgpr_private_segment_size 0
		.amdhsa_wavefront_size32 1
		.amdhsa_uses_dynamic_stack 0
		.amdhsa_enable_private_segment 0
		.amdhsa_system_sgpr_workgroup_id_x 1
		.amdhsa_system_sgpr_workgroup_id_y 0
		.amdhsa_system_sgpr_workgroup_id_z 0
		.amdhsa_system_sgpr_workgroup_info 0
		.amdhsa_system_vgpr_workitem_id 0
		.amdhsa_next_free_vgpr 1
		.amdhsa_next_free_sgpr 1
		.amdhsa_reserve_vcc 0
		.amdhsa_float_round_mode_32 0
		.amdhsa_float_round_mode_16_64 0
		.amdhsa_float_denorm_mode_32 3
		.amdhsa_float_denorm_mode_16_64 3
		.amdhsa_fp16_overflow 0
		.amdhsa_workgroup_processor_mode 1
		.amdhsa_memory_ordered 1
		.amdhsa_forward_progress 1
		.amdhsa_inst_pref_size 0
		.amdhsa_round_robin_scheduling 0
		.amdhsa_exception_fp_ieee_invalid_op 0
		.amdhsa_exception_fp_denorm_src 0
		.amdhsa_exception_fp_ieee_div_zero 0
		.amdhsa_exception_fp_ieee_overflow 0
		.amdhsa_exception_fp_ieee_underflow 0
		.amdhsa_exception_fp_ieee_inexact 0
		.amdhsa_exception_int_div_zero 0
	.end_amdhsa_kernel
	.section	.text._ZN7rocprim17ROCPRIM_400000_NS6detail17trampoline_kernelINS0_13select_configILj256ELj13ELNS0_17block_load_methodE3ELS4_3ELS4_3ELNS0_20block_scan_algorithmE0ELj4294967295EEENS1_25partition_config_selectorILNS1_17partition_subalgoE3EjNS0_10empty_typeEbEEZZNS1_14partition_implILS8_3ELb0ES6_jNS0_17counting_iteratorIjlEEPS9_SE_NS0_5tupleIJPjSE_EEENSF_IJSE_SE_EEES9_SG_JZNS1_25segmented_radix_sort_implINS0_14default_configELb1EPKaPaPKlPlN2at6native12_GLOBAL__N_18offset_tEEE10hipError_tPvRmT1_PNSt15iterator_traitsISY_E10value_typeET2_T3_PNSZ_IS14_E10value_typeET4_jRbjT5_S1A_jjP12ihipStream_tbEUljE_EEESV_SW_SX_S14_S18_S1A_T6_T7_T9_mT8_S1C_bDpT10_ENKUlT_T0_E_clISt17integral_constantIbLb1EES1O_IbLb0EEEEDaS1K_S1L_EUlS1K_E_NS1_11comp_targetILNS1_3genE5ELNS1_11target_archE942ELNS1_3gpuE9ELNS1_3repE0EEENS1_30default_config_static_selectorELNS0_4arch9wavefront6targetE0EEEvSY_,"axG",@progbits,_ZN7rocprim17ROCPRIM_400000_NS6detail17trampoline_kernelINS0_13select_configILj256ELj13ELNS0_17block_load_methodE3ELS4_3ELS4_3ELNS0_20block_scan_algorithmE0ELj4294967295EEENS1_25partition_config_selectorILNS1_17partition_subalgoE3EjNS0_10empty_typeEbEEZZNS1_14partition_implILS8_3ELb0ES6_jNS0_17counting_iteratorIjlEEPS9_SE_NS0_5tupleIJPjSE_EEENSF_IJSE_SE_EEES9_SG_JZNS1_25segmented_radix_sort_implINS0_14default_configELb1EPKaPaPKlPlN2at6native12_GLOBAL__N_18offset_tEEE10hipError_tPvRmT1_PNSt15iterator_traitsISY_E10value_typeET2_T3_PNSZ_IS14_E10value_typeET4_jRbjT5_S1A_jjP12ihipStream_tbEUljE_EEESV_SW_SX_S14_S18_S1A_T6_T7_T9_mT8_S1C_bDpT10_ENKUlT_T0_E_clISt17integral_constantIbLb1EES1O_IbLb0EEEEDaS1K_S1L_EUlS1K_E_NS1_11comp_targetILNS1_3genE5ELNS1_11target_archE942ELNS1_3gpuE9ELNS1_3repE0EEENS1_30default_config_static_selectorELNS0_4arch9wavefront6targetE0EEEvSY_,comdat
.Lfunc_end275:
	.size	_ZN7rocprim17ROCPRIM_400000_NS6detail17trampoline_kernelINS0_13select_configILj256ELj13ELNS0_17block_load_methodE3ELS4_3ELS4_3ELNS0_20block_scan_algorithmE0ELj4294967295EEENS1_25partition_config_selectorILNS1_17partition_subalgoE3EjNS0_10empty_typeEbEEZZNS1_14partition_implILS8_3ELb0ES6_jNS0_17counting_iteratorIjlEEPS9_SE_NS0_5tupleIJPjSE_EEENSF_IJSE_SE_EEES9_SG_JZNS1_25segmented_radix_sort_implINS0_14default_configELb1EPKaPaPKlPlN2at6native12_GLOBAL__N_18offset_tEEE10hipError_tPvRmT1_PNSt15iterator_traitsISY_E10value_typeET2_T3_PNSZ_IS14_E10value_typeET4_jRbjT5_S1A_jjP12ihipStream_tbEUljE_EEESV_SW_SX_S14_S18_S1A_T6_T7_T9_mT8_S1C_bDpT10_ENKUlT_T0_E_clISt17integral_constantIbLb1EES1O_IbLb0EEEEDaS1K_S1L_EUlS1K_E_NS1_11comp_targetILNS1_3genE5ELNS1_11target_archE942ELNS1_3gpuE9ELNS1_3repE0EEENS1_30default_config_static_selectorELNS0_4arch9wavefront6targetE0EEEvSY_, .Lfunc_end275-_ZN7rocprim17ROCPRIM_400000_NS6detail17trampoline_kernelINS0_13select_configILj256ELj13ELNS0_17block_load_methodE3ELS4_3ELS4_3ELNS0_20block_scan_algorithmE0ELj4294967295EEENS1_25partition_config_selectorILNS1_17partition_subalgoE3EjNS0_10empty_typeEbEEZZNS1_14partition_implILS8_3ELb0ES6_jNS0_17counting_iteratorIjlEEPS9_SE_NS0_5tupleIJPjSE_EEENSF_IJSE_SE_EEES9_SG_JZNS1_25segmented_radix_sort_implINS0_14default_configELb1EPKaPaPKlPlN2at6native12_GLOBAL__N_18offset_tEEE10hipError_tPvRmT1_PNSt15iterator_traitsISY_E10value_typeET2_T3_PNSZ_IS14_E10value_typeET4_jRbjT5_S1A_jjP12ihipStream_tbEUljE_EEESV_SW_SX_S14_S18_S1A_T6_T7_T9_mT8_S1C_bDpT10_ENKUlT_T0_E_clISt17integral_constantIbLb1EES1O_IbLb0EEEEDaS1K_S1L_EUlS1K_E_NS1_11comp_targetILNS1_3genE5ELNS1_11target_archE942ELNS1_3gpuE9ELNS1_3repE0EEENS1_30default_config_static_selectorELNS0_4arch9wavefront6targetE0EEEvSY_
                                        ; -- End function
	.set _ZN7rocprim17ROCPRIM_400000_NS6detail17trampoline_kernelINS0_13select_configILj256ELj13ELNS0_17block_load_methodE3ELS4_3ELS4_3ELNS0_20block_scan_algorithmE0ELj4294967295EEENS1_25partition_config_selectorILNS1_17partition_subalgoE3EjNS0_10empty_typeEbEEZZNS1_14partition_implILS8_3ELb0ES6_jNS0_17counting_iteratorIjlEEPS9_SE_NS0_5tupleIJPjSE_EEENSF_IJSE_SE_EEES9_SG_JZNS1_25segmented_radix_sort_implINS0_14default_configELb1EPKaPaPKlPlN2at6native12_GLOBAL__N_18offset_tEEE10hipError_tPvRmT1_PNSt15iterator_traitsISY_E10value_typeET2_T3_PNSZ_IS14_E10value_typeET4_jRbjT5_S1A_jjP12ihipStream_tbEUljE_EEESV_SW_SX_S14_S18_S1A_T6_T7_T9_mT8_S1C_bDpT10_ENKUlT_T0_E_clISt17integral_constantIbLb1EES1O_IbLb0EEEEDaS1K_S1L_EUlS1K_E_NS1_11comp_targetILNS1_3genE5ELNS1_11target_archE942ELNS1_3gpuE9ELNS1_3repE0EEENS1_30default_config_static_selectorELNS0_4arch9wavefront6targetE0EEEvSY_.num_vgpr, 0
	.set _ZN7rocprim17ROCPRIM_400000_NS6detail17trampoline_kernelINS0_13select_configILj256ELj13ELNS0_17block_load_methodE3ELS4_3ELS4_3ELNS0_20block_scan_algorithmE0ELj4294967295EEENS1_25partition_config_selectorILNS1_17partition_subalgoE3EjNS0_10empty_typeEbEEZZNS1_14partition_implILS8_3ELb0ES6_jNS0_17counting_iteratorIjlEEPS9_SE_NS0_5tupleIJPjSE_EEENSF_IJSE_SE_EEES9_SG_JZNS1_25segmented_radix_sort_implINS0_14default_configELb1EPKaPaPKlPlN2at6native12_GLOBAL__N_18offset_tEEE10hipError_tPvRmT1_PNSt15iterator_traitsISY_E10value_typeET2_T3_PNSZ_IS14_E10value_typeET4_jRbjT5_S1A_jjP12ihipStream_tbEUljE_EEESV_SW_SX_S14_S18_S1A_T6_T7_T9_mT8_S1C_bDpT10_ENKUlT_T0_E_clISt17integral_constantIbLb1EES1O_IbLb0EEEEDaS1K_S1L_EUlS1K_E_NS1_11comp_targetILNS1_3genE5ELNS1_11target_archE942ELNS1_3gpuE9ELNS1_3repE0EEENS1_30default_config_static_selectorELNS0_4arch9wavefront6targetE0EEEvSY_.num_agpr, 0
	.set _ZN7rocprim17ROCPRIM_400000_NS6detail17trampoline_kernelINS0_13select_configILj256ELj13ELNS0_17block_load_methodE3ELS4_3ELS4_3ELNS0_20block_scan_algorithmE0ELj4294967295EEENS1_25partition_config_selectorILNS1_17partition_subalgoE3EjNS0_10empty_typeEbEEZZNS1_14partition_implILS8_3ELb0ES6_jNS0_17counting_iteratorIjlEEPS9_SE_NS0_5tupleIJPjSE_EEENSF_IJSE_SE_EEES9_SG_JZNS1_25segmented_radix_sort_implINS0_14default_configELb1EPKaPaPKlPlN2at6native12_GLOBAL__N_18offset_tEEE10hipError_tPvRmT1_PNSt15iterator_traitsISY_E10value_typeET2_T3_PNSZ_IS14_E10value_typeET4_jRbjT5_S1A_jjP12ihipStream_tbEUljE_EEESV_SW_SX_S14_S18_S1A_T6_T7_T9_mT8_S1C_bDpT10_ENKUlT_T0_E_clISt17integral_constantIbLb1EES1O_IbLb0EEEEDaS1K_S1L_EUlS1K_E_NS1_11comp_targetILNS1_3genE5ELNS1_11target_archE942ELNS1_3gpuE9ELNS1_3repE0EEENS1_30default_config_static_selectorELNS0_4arch9wavefront6targetE0EEEvSY_.numbered_sgpr, 0
	.set _ZN7rocprim17ROCPRIM_400000_NS6detail17trampoline_kernelINS0_13select_configILj256ELj13ELNS0_17block_load_methodE3ELS4_3ELS4_3ELNS0_20block_scan_algorithmE0ELj4294967295EEENS1_25partition_config_selectorILNS1_17partition_subalgoE3EjNS0_10empty_typeEbEEZZNS1_14partition_implILS8_3ELb0ES6_jNS0_17counting_iteratorIjlEEPS9_SE_NS0_5tupleIJPjSE_EEENSF_IJSE_SE_EEES9_SG_JZNS1_25segmented_radix_sort_implINS0_14default_configELb1EPKaPaPKlPlN2at6native12_GLOBAL__N_18offset_tEEE10hipError_tPvRmT1_PNSt15iterator_traitsISY_E10value_typeET2_T3_PNSZ_IS14_E10value_typeET4_jRbjT5_S1A_jjP12ihipStream_tbEUljE_EEESV_SW_SX_S14_S18_S1A_T6_T7_T9_mT8_S1C_bDpT10_ENKUlT_T0_E_clISt17integral_constantIbLb1EES1O_IbLb0EEEEDaS1K_S1L_EUlS1K_E_NS1_11comp_targetILNS1_3genE5ELNS1_11target_archE942ELNS1_3gpuE9ELNS1_3repE0EEENS1_30default_config_static_selectorELNS0_4arch9wavefront6targetE0EEEvSY_.num_named_barrier, 0
	.set _ZN7rocprim17ROCPRIM_400000_NS6detail17trampoline_kernelINS0_13select_configILj256ELj13ELNS0_17block_load_methodE3ELS4_3ELS4_3ELNS0_20block_scan_algorithmE0ELj4294967295EEENS1_25partition_config_selectorILNS1_17partition_subalgoE3EjNS0_10empty_typeEbEEZZNS1_14partition_implILS8_3ELb0ES6_jNS0_17counting_iteratorIjlEEPS9_SE_NS0_5tupleIJPjSE_EEENSF_IJSE_SE_EEES9_SG_JZNS1_25segmented_radix_sort_implINS0_14default_configELb1EPKaPaPKlPlN2at6native12_GLOBAL__N_18offset_tEEE10hipError_tPvRmT1_PNSt15iterator_traitsISY_E10value_typeET2_T3_PNSZ_IS14_E10value_typeET4_jRbjT5_S1A_jjP12ihipStream_tbEUljE_EEESV_SW_SX_S14_S18_S1A_T6_T7_T9_mT8_S1C_bDpT10_ENKUlT_T0_E_clISt17integral_constantIbLb1EES1O_IbLb0EEEEDaS1K_S1L_EUlS1K_E_NS1_11comp_targetILNS1_3genE5ELNS1_11target_archE942ELNS1_3gpuE9ELNS1_3repE0EEENS1_30default_config_static_selectorELNS0_4arch9wavefront6targetE0EEEvSY_.private_seg_size, 0
	.set _ZN7rocprim17ROCPRIM_400000_NS6detail17trampoline_kernelINS0_13select_configILj256ELj13ELNS0_17block_load_methodE3ELS4_3ELS4_3ELNS0_20block_scan_algorithmE0ELj4294967295EEENS1_25partition_config_selectorILNS1_17partition_subalgoE3EjNS0_10empty_typeEbEEZZNS1_14partition_implILS8_3ELb0ES6_jNS0_17counting_iteratorIjlEEPS9_SE_NS0_5tupleIJPjSE_EEENSF_IJSE_SE_EEES9_SG_JZNS1_25segmented_radix_sort_implINS0_14default_configELb1EPKaPaPKlPlN2at6native12_GLOBAL__N_18offset_tEEE10hipError_tPvRmT1_PNSt15iterator_traitsISY_E10value_typeET2_T3_PNSZ_IS14_E10value_typeET4_jRbjT5_S1A_jjP12ihipStream_tbEUljE_EEESV_SW_SX_S14_S18_S1A_T6_T7_T9_mT8_S1C_bDpT10_ENKUlT_T0_E_clISt17integral_constantIbLb1EES1O_IbLb0EEEEDaS1K_S1L_EUlS1K_E_NS1_11comp_targetILNS1_3genE5ELNS1_11target_archE942ELNS1_3gpuE9ELNS1_3repE0EEENS1_30default_config_static_selectorELNS0_4arch9wavefront6targetE0EEEvSY_.uses_vcc, 0
	.set _ZN7rocprim17ROCPRIM_400000_NS6detail17trampoline_kernelINS0_13select_configILj256ELj13ELNS0_17block_load_methodE3ELS4_3ELS4_3ELNS0_20block_scan_algorithmE0ELj4294967295EEENS1_25partition_config_selectorILNS1_17partition_subalgoE3EjNS0_10empty_typeEbEEZZNS1_14partition_implILS8_3ELb0ES6_jNS0_17counting_iteratorIjlEEPS9_SE_NS0_5tupleIJPjSE_EEENSF_IJSE_SE_EEES9_SG_JZNS1_25segmented_radix_sort_implINS0_14default_configELb1EPKaPaPKlPlN2at6native12_GLOBAL__N_18offset_tEEE10hipError_tPvRmT1_PNSt15iterator_traitsISY_E10value_typeET2_T3_PNSZ_IS14_E10value_typeET4_jRbjT5_S1A_jjP12ihipStream_tbEUljE_EEESV_SW_SX_S14_S18_S1A_T6_T7_T9_mT8_S1C_bDpT10_ENKUlT_T0_E_clISt17integral_constantIbLb1EES1O_IbLb0EEEEDaS1K_S1L_EUlS1K_E_NS1_11comp_targetILNS1_3genE5ELNS1_11target_archE942ELNS1_3gpuE9ELNS1_3repE0EEENS1_30default_config_static_selectorELNS0_4arch9wavefront6targetE0EEEvSY_.uses_flat_scratch, 0
	.set _ZN7rocprim17ROCPRIM_400000_NS6detail17trampoline_kernelINS0_13select_configILj256ELj13ELNS0_17block_load_methodE3ELS4_3ELS4_3ELNS0_20block_scan_algorithmE0ELj4294967295EEENS1_25partition_config_selectorILNS1_17partition_subalgoE3EjNS0_10empty_typeEbEEZZNS1_14partition_implILS8_3ELb0ES6_jNS0_17counting_iteratorIjlEEPS9_SE_NS0_5tupleIJPjSE_EEENSF_IJSE_SE_EEES9_SG_JZNS1_25segmented_radix_sort_implINS0_14default_configELb1EPKaPaPKlPlN2at6native12_GLOBAL__N_18offset_tEEE10hipError_tPvRmT1_PNSt15iterator_traitsISY_E10value_typeET2_T3_PNSZ_IS14_E10value_typeET4_jRbjT5_S1A_jjP12ihipStream_tbEUljE_EEESV_SW_SX_S14_S18_S1A_T6_T7_T9_mT8_S1C_bDpT10_ENKUlT_T0_E_clISt17integral_constantIbLb1EES1O_IbLb0EEEEDaS1K_S1L_EUlS1K_E_NS1_11comp_targetILNS1_3genE5ELNS1_11target_archE942ELNS1_3gpuE9ELNS1_3repE0EEENS1_30default_config_static_selectorELNS0_4arch9wavefront6targetE0EEEvSY_.has_dyn_sized_stack, 0
	.set _ZN7rocprim17ROCPRIM_400000_NS6detail17trampoline_kernelINS0_13select_configILj256ELj13ELNS0_17block_load_methodE3ELS4_3ELS4_3ELNS0_20block_scan_algorithmE0ELj4294967295EEENS1_25partition_config_selectorILNS1_17partition_subalgoE3EjNS0_10empty_typeEbEEZZNS1_14partition_implILS8_3ELb0ES6_jNS0_17counting_iteratorIjlEEPS9_SE_NS0_5tupleIJPjSE_EEENSF_IJSE_SE_EEES9_SG_JZNS1_25segmented_radix_sort_implINS0_14default_configELb1EPKaPaPKlPlN2at6native12_GLOBAL__N_18offset_tEEE10hipError_tPvRmT1_PNSt15iterator_traitsISY_E10value_typeET2_T3_PNSZ_IS14_E10value_typeET4_jRbjT5_S1A_jjP12ihipStream_tbEUljE_EEESV_SW_SX_S14_S18_S1A_T6_T7_T9_mT8_S1C_bDpT10_ENKUlT_T0_E_clISt17integral_constantIbLb1EES1O_IbLb0EEEEDaS1K_S1L_EUlS1K_E_NS1_11comp_targetILNS1_3genE5ELNS1_11target_archE942ELNS1_3gpuE9ELNS1_3repE0EEENS1_30default_config_static_selectorELNS0_4arch9wavefront6targetE0EEEvSY_.has_recursion, 0
	.set _ZN7rocprim17ROCPRIM_400000_NS6detail17trampoline_kernelINS0_13select_configILj256ELj13ELNS0_17block_load_methodE3ELS4_3ELS4_3ELNS0_20block_scan_algorithmE0ELj4294967295EEENS1_25partition_config_selectorILNS1_17partition_subalgoE3EjNS0_10empty_typeEbEEZZNS1_14partition_implILS8_3ELb0ES6_jNS0_17counting_iteratorIjlEEPS9_SE_NS0_5tupleIJPjSE_EEENSF_IJSE_SE_EEES9_SG_JZNS1_25segmented_radix_sort_implINS0_14default_configELb1EPKaPaPKlPlN2at6native12_GLOBAL__N_18offset_tEEE10hipError_tPvRmT1_PNSt15iterator_traitsISY_E10value_typeET2_T3_PNSZ_IS14_E10value_typeET4_jRbjT5_S1A_jjP12ihipStream_tbEUljE_EEESV_SW_SX_S14_S18_S1A_T6_T7_T9_mT8_S1C_bDpT10_ENKUlT_T0_E_clISt17integral_constantIbLb1EES1O_IbLb0EEEEDaS1K_S1L_EUlS1K_E_NS1_11comp_targetILNS1_3genE5ELNS1_11target_archE942ELNS1_3gpuE9ELNS1_3repE0EEENS1_30default_config_static_selectorELNS0_4arch9wavefront6targetE0EEEvSY_.has_indirect_call, 0
	.section	.AMDGPU.csdata,"",@progbits
; Kernel info:
; codeLenInByte = 0
; TotalNumSgprs: 0
; NumVgprs: 0
; ScratchSize: 0
; MemoryBound: 0
; FloatMode: 240
; IeeeMode: 1
; LDSByteSize: 0 bytes/workgroup (compile time only)
; SGPRBlocks: 0
; VGPRBlocks: 0
; NumSGPRsForWavesPerEU: 1
; NumVGPRsForWavesPerEU: 1
; Occupancy: 16
; WaveLimiterHint : 0
; COMPUTE_PGM_RSRC2:SCRATCH_EN: 0
; COMPUTE_PGM_RSRC2:USER_SGPR: 2
; COMPUTE_PGM_RSRC2:TRAP_HANDLER: 0
; COMPUTE_PGM_RSRC2:TGID_X_EN: 1
; COMPUTE_PGM_RSRC2:TGID_Y_EN: 0
; COMPUTE_PGM_RSRC2:TGID_Z_EN: 0
; COMPUTE_PGM_RSRC2:TIDIG_COMP_CNT: 0
	.section	.text._ZN7rocprim17ROCPRIM_400000_NS6detail17trampoline_kernelINS0_13select_configILj256ELj13ELNS0_17block_load_methodE3ELS4_3ELS4_3ELNS0_20block_scan_algorithmE0ELj4294967295EEENS1_25partition_config_selectorILNS1_17partition_subalgoE3EjNS0_10empty_typeEbEEZZNS1_14partition_implILS8_3ELb0ES6_jNS0_17counting_iteratorIjlEEPS9_SE_NS0_5tupleIJPjSE_EEENSF_IJSE_SE_EEES9_SG_JZNS1_25segmented_radix_sort_implINS0_14default_configELb1EPKaPaPKlPlN2at6native12_GLOBAL__N_18offset_tEEE10hipError_tPvRmT1_PNSt15iterator_traitsISY_E10value_typeET2_T3_PNSZ_IS14_E10value_typeET4_jRbjT5_S1A_jjP12ihipStream_tbEUljE_EEESV_SW_SX_S14_S18_S1A_T6_T7_T9_mT8_S1C_bDpT10_ENKUlT_T0_E_clISt17integral_constantIbLb1EES1O_IbLb0EEEEDaS1K_S1L_EUlS1K_E_NS1_11comp_targetILNS1_3genE4ELNS1_11target_archE910ELNS1_3gpuE8ELNS1_3repE0EEENS1_30default_config_static_selectorELNS0_4arch9wavefront6targetE0EEEvSY_,"axG",@progbits,_ZN7rocprim17ROCPRIM_400000_NS6detail17trampoline_kernelINS0_13select_configILj256ELj13ELNS0_17block_load_methodE3ELS4_3ELS4_3ELNS0_20block_scan_algorithmE0ELj4294967295EEENS1_25partition_config_selectorILNS1_17partition_subalgoE3EjNS0_10empty_typeEbEEZZNS1_14partition_implILS8_3ELb0ES6_jNS0_17counting_iteratorIjlEEPS9_SE_NS0_5tupleIJPjSE_EEENSF_IJSE_SE_EEES9_SG_JZNS1_25segmented_radix_sort_implINS0_14default_configELb1EPKaPaPKlPlN2at6native12_GLOBAL__N_18offset_tEEE10hipError_tPvRmT1_PNSt15iterator_traitsISY_E10value_typeET2_T3_PNSZ_IS14_E10value_typeET4_jRbjT5_S1A_jjP12ihipStream_tbEUljE_EEESV_SW_SX_S14_S18_S1A_T6_T7_T9_mT8_S1C_bDpT10_ENKUlT_T0_E_clISt17integral_constantIbLb1EES1O_IbLb0EEEEDaS1K_S1L_EUlS1K_E_NS1_11comp_targetILNS1_3genE4ELNS1_11target_archE910ELNS1_3gpuE8ELNS1_3repE0EEENS1_30default_config_static_selectorELNS0_4arch9wavefront6targetE0EEEvSY_,comdat
	.globl	_ZN7rocprim17ROCPRIM_400000_NS6detail17trampoline_kernelINS0_13select_configILj256ELj13ELNS0_17block_load_methodE3ELS4_3ELS4_3ELNS0_20block_scan_algorithmE0ELj4294967295EEENS1_25partition_config_selectorILNS1_17partition_subalgoE3EjNS0_10empty_typeEbEEZZNS1_14partition_implILS8_3ELb0ES6_jNS0_17counting_iteratorIjlEEPS9_SE_NS0_5tupleIJPjSE_EEENSF_IJSE_SE_EEES9_SG_JZNS1_25segmented_radix_sort_implINS0_14default_configELb1EPKaPaPKlPlN2at6native12_GLOBAL__N_18offset_tEEE10hipError_tPvRmT1_PNSt15iterator_traitsISY_E10value_typeET2_T3_PNSZ_IS14_E10value_typeET4_jRbjT5_S1A_jjP12ihipStream_tbEUljE_EEESV_SW_SX_S14_S18_S1A_T6_T7_T9_mT8_S1C_bDpT10_ENKUlT_T0_E_clISt17integral_constantIbLb1EES1O_IbLb0EEEEDaS1K_S1L_EUlS1K_E_NS1_11comp_targetILNS1_3genE4ELNS1_11target_archE910ELNS1_3gpuE8ELNS1_3repE0EEENS1_30default_config_static_selectorELNS0_4arch9wavefront6targetE0EEEvSY_ ; -- Begin function _ZN7rocprim17ROCPRIM_400000_NS6detail17trampoline_kernelINS0_13select_configILj256ELj13ELNS0_17block_load_methodE3ELS4_3ELS4_3ELNS0_20block_scan_algorithmE0ELj4294967295EEENS1_25partition_config_selectorILNS1_17partition_subalgoE3EjNS0_10empty_typeEbEEZZNS1_14partition_implILS8_3ELb0ES6_jNS0_17counting_iteratorIjlEEPS9_SE_NS0_5tupleIJPjSE_EEENSF_IJSE_SE_EEES9_SG_JZNS1_25segmented_radix_sort_implINS0_14default_configELb1EPKaPaPKlPlN2at6native12_GLOBAL__N_18offset_tEEE10hipError_tPvRmT1_PNSt15iterator_traitsISY_E10value_typeET2_T3_PNSZ_IS14_E10value_typeET4_jRbjT5_S1A_jjP12ihipStream_tbEUljE_EEESV_SW_SX_S14_S18_S1A_T6_T7_T9_mT8_S1C_bDpT10_ENKUlT_T0_E_clISt17integral_constantIbLb1EES1O_IbLb0EEEEDaS1K_S1L_EUlS1K_E_NS1_11comp_targetILNS1_3genE4ELNS1_11target_archE910ELNS1_3gpuE8ELNS1_3repE0EEENS1_30default_config_static_selectorELNS0_4arch9wavefront6targetE0EEEvSY_
	.p2align	8
	.type	_ZN7rocprim17ROCPRIM_400000_NS6detail17trampoline_kernelINS0_13select_configILj256ELj13ELNS0_17block_load_methodE3ELS4_3ELS4_3ELNS0_20block_scan_algorithmE0ELj4294967295EEENS1_25partition_config_selectorILNS1_17partition_subalgoE3EjNS0_10empty_typeEbEEZZNS1_14partition_implILS8_3ELb0ES6_jNS0_17counting_iteratorIjlEEPS9_SE_NS0_5tupleIJPjSE_EEENSF_IJSE_SE_EEES9_SG_JZNS1_25segmented_radix_sort_implINS0_14default_configELb1EPKaPaPKlPlN2at6native12_GLOBAL__N_18offset_tEEE10hipError_tPvRmT1_PNSt15iterator_traitsISY_E10value_typeET2_T3_PNSZ_IS14_E10value_typeET4_jRbjT5_S1A_jjP12ihipStream_tbEUljE_EEESV_SW_SX_S14_S18_S1A_T6_T7_T9_mT8_S1C_bDpT10_ENKUlT_T0_E_clISt17integral_constantIbLb1EES1O_IbLb0EEEEDaS1K_S1L_EUlS1K_E_NS1_11comp_targetILNS1_3genE4ELNS1_11target_archE910ELNS1_3gpuE8ELNS1_3repE0EEENS1_30default_config_static_selectorELNS0_4arch9wavefront6targetE0EEEvSY_,@function
_ZN7rocprim17ROCPRIM_400000_NS6detail17trampoline_kernelINS0_13select_configILj256ELj13ELNS0_17block_load_methodE3ELS4_3ELS4_3ELNS0_20block_scan_algorithmE0ELj4294967295EEENS1_25partition_config_selectorILNS1_17partition_subalgoE3EjNS0_10empty_typeEbEEZZNS1_14partition_implILS8_3ELb0ES6_jNS0_17counting_iteratorIjlEEPS9_SE_NS0_5tupleIJPjSE_EEENSF_IJSE_SE_EEES9_SG_JZNS1_25segmented_radix_sort_implINS0_14default_configELb1EPKaPaPKlPlN2at6native12_GLOBAL__N_18offset_tEEE10hipError_tPvRmT1_PNSt15iterator_traitsISY_E10value_typeET2_T3_PNSZ_IS14_E10value_typeET4_jRbjT5_S1A_jjP12ihipStream_tbEUljE_EEESV_SW_SX_S14_S18_S1A_T6_T7_T9_mT8_S1C_bDpT10_ENKUlT_T0_E_clISt17integral_constantIbLb1EES1O_IbLb0EEEEDaS1K_S1L_EUlS1K_E_NS1_11comp_targetILNS1_3genE4ELNS1_11target_archE910ELNS1_3gpuE8ELNS1_3repE0EEENS1_30default_config_static_selectorELNS0_4arch9wavefront6targetE0EEEvSY_: ; @_ZN7rocprim17ROCPRIM_400000_NS6detail17trampoline_kernelINS0_13select_configILj256ELj13ELNS0_17block_load_methodE3ELS4_3ELS4_3ELNS0_20block_scan_algorithmE0ELj4294967295EEENS1_25partition_config_selectorILNS1_17partition_subalgoE3EjNS0_10empty_typeEbEEZZNS1_14partition_implILS8_3ELb0ES6_jNS0_17counting_iteratorIjlEEPS9_SE_NS0_5tupleIJPjSE_EEENSF_IJSE_SE_EEES9_SG_JZNS1_25segmented_radix_sort_implINS0_14default_configELb1EPKaPaPKlPlN2at6native12_GLOBAL__N_18offset_tEEE10hipError_tPvRmT1_PNSt15iterator_traitsISY_E10value_typeET2_T3_PNSZ_IS14_E10value_typeET4_jRbjT5_S1A_jjP12ihipStream_tbEUljE_EEESV_SW_SX_S14_S18_S1A_T6_T7_T9_mT8_S1C_bDpT10_ENKUlT_T0_E_clISt17integral_constantIbLb1EES1O_IbLb0EEEEDaS1K_S1L_EUlS1K_E_NS1_11comp_targetILNS1_3genE4ELNS1_11target_archE910ELNS1_3gpuE8ELNS1_3repE0EEENS1_30default_config_static_selectorELNS0_4arch9wavefront6targetE0EEEvSY_
; %bb.0:
	.section	.rodata,"a",@progbits
	.p2align	6, 0x0
	.amdhsa_kernel _ZN7rocprim17ROCPRIM_400000_NS6detail17trampoline_kernelINS0_13select_configILj256ELj13ELNS0_17block_load_methodE3ELS4_3ELS4_3ELNS0_20block_scan_algorithmE0ELj4294967295EEENS1_25partition_config_selectorILNS1_17partition_subalgoE3EjNS0_10empty_typeEbEEZZNS1_14partition_implILS8_3ELb0ES6_jNS0_17counting_iteratorIjlEEPS9_SE_NS0_5tupleIJPjSE_EEENSF_IJSE_SE_EEES9_SG_JZNS1_25segmented_radix_sort_implINS0_14default_configELb1EPKaPaPKlPlN2at6native12_GLOBAL__N_18offset_tEEE10hipError_tPvRmT1_PNSt15iterator_traitsISY_E10value_typeET2_T3_PNSZ_IS14_E10value_typeET4_jRbjT5_S1A_jjP12ihipStream_tbEUljE_EEESV_SW_SX_S14_S18_S1A_T6_T7_T9_mT8_S1C_bDpT10_ENKUlT_T0_E_clISt17integral_constantIbLb1EES1O_IbLb0EEEEDaS1K_S1L_EUlS1K_E_NS1_11comp_targetILNS1_3genE4ELNS1_11target_archE910ELNS1_3gpuE8ELNS1_3repE0EEENS1_30default_config_static_selectorELNS0_4arch9wavefront6targetE0EEEvSY_
		.amdhsa_group_segment_fixed_size 0
		.amdhsa_private_segment_fixed_size 0
		.amdhsa_kernarg_size 144
		.amdhsa_user_sgpr_count 2
		.amdhsa_user_sgpr_dispatch_ptr 0
		.amdhsa_user_sgpr_queue_ptr 0
		.amdhsa_user_sgpr_kernarg_segment_ptr 1
		.amdhsa_user_sgpr_dispatch_id 0
		.amdhsa_user_sgpr_private_segment_size 0
		.amdhsa_wavefront_size32 1
		.amdhsa_uses_dynamic_stack 0
		.amdhsa_enable_private_segment 0
		.amdhsa_system_sgpr_workgroup_id_x 1
		.amdhsa_system_sgpr_workgroup_id_y 0
		.amdhsa_system_sgpr_workgroup_id_z 0
		.amdhsa_system_sgpr_workgroup_info 0
		.amdhsa_system_vgpr_workitem_id 0
		.amdhsa_next_free_vgpr 1
		.amdhsa_next_free_sgpr 1
		.amdhsa_reserve_vcc 0
		.amdhsa_float_round_mode_32 0
		.amdhsa_float_round_mode_16_64 0
		.amdhsa_float_denorm_mode_32 3
		.amdhsa_float_denorm_mode_16_64 3
		.amdhsa_fp16_overflow 0
		.amdhsa_workgroup_processor_mode 1
		.amdhsa_memory_ordered 1
		.amdhsa_forward_progress 1
		.amdhsa_inst_pref_size 0
		.amdhsa_round_robin_scheduling 0
		.amdhsa_exception_fp_ieee_invalid_op 0
		.amdhsa_exception_fp_denorm_src 0
		.amdhsa_exception_fp_ieee_div_zero 0
		.amdhsa_exception_fp_ieee_overflow 0
		.amdhsa_exception_fp_ieee_underflow 0
		.amdhsa_exception_fp_ieee_inexact 0
		.amdhsa_exception_int_div_zero 0
	.end_amdhsa_kernel
	.section	.text._ZN7rocprim17ROCPRIM_400000_NS6detail17trampoline_kernelINS0_13select_configILj256ELj13ELNS0_17block_load_methodE3ELS4_3ELS4_3ELNS0_20block_scan_algorithmE0ELj4294967295EEENS1_25partition_config_selectorILNS1_17partition_subalgoE3EjNS0_10empty_typeEbEEZZNS1_14partition_implILS8_3ELb0ES6_jNS0_17counting_iteratorIjlEEPS9_SE_NS0_5tupleIJPjSE_EEENSF_IJSE_SE_EEES9_SG_JZNS1_25segmented_radix_sort_implINS0_14default_configELb1EPKaPaPKlPlN2at6native12_GLOBAL__N_18offset_tEEE10hipError_tPvRmT1_PNSt15iterator_traitsISY_E10value_typeET2_T3_PNSZ_IS14_E10value_typeET4_jRbjT5_S1A_jjP12ihipStream_tbEUljE_EEESV_SW_SX_S14_S18_S1A_T6_T7_T9_mT8_S1C_bDpT10_ENKUlT_T0_E_clISt17integral_constantIbLb1EES1O_IbLb0EEEEDaS1K_S1L_EUlS1K_E_NS1_11comp_targetILNS1_3genE4ELNS1_11target_archE910ELNS1_3gpuE8ELNS1_3repE0EEENS1_30default_config_static_selectorELNS0_4arch9wavefront6targetE0EEEvSY_,"axG",@progbits,_ZN7rocprim17ROCPRIM_400000_NS6detail17trampoline_kernelINS0_13select_configILj256ELj13ELNS0_17block_load_methodE3ELS4_3ELS4_3ELNS0_20block_scan_algorithmE0ELj4294967295EEENS1_25partition_config_selectorILNS1_17partition_subalgoE3EjNS0_10empty_typeEbEEZZNS1_14partition_implILS8_3ELb0ES6_jNS0_17counting_iteratorIjlEEPS9_SE_NS0_5tupleIJPjSE_EEENSF_IJSE_SE_EEES9_SG_JZNS1_25segmented_radix_sort_implINS0_14default_configELb1EPKaPaPKlPlN2at6native12_GLOBAL__N_18offset_tEEE10hipError_tPvRmT1_PNSt15iterator_traitsISY_E10value_typeET2_T3_PNSZ_IS14_E10value_typeET4_jRbjT5_S1A_jjP12ihipStream_tbEUljE_EEESV_SW_SX_S14_S18_S1A_T6_T7_T9_mT8_S1C_bDpT10_ENKUlT_T0_E_clISt17integral_constantIbLb1EES1O_IbLb0EEEEDaS1K_S1L_EUlS1K_E_NS1_11comp_targetILNS1_3genE4ELNS1_11target_archE910ELNS1_3gpuE8ELNS1_3repE0EEENS1_30default_config_static_selectorELNS0_4arch9wavefront6targetE0EEEvSY_,comdat
.Lfunc_end276:
	.size	_ZN7rocprim17ROCPRIM_400000_NS6detail17trampoline_kernelINS0_13select_configILj256ELj13ELNS0_17block_load_methodE3ELS4_3ELS4_3ELNS0_20block_scan_algorithmE0ELj4294967295EEENS1_25partition_config_selectorILNS1_17partition_subalgoE3EjNS0_10empty_typeEbEEZZNS1_14partition_implILS8_3ELb0ES6_jNS0_17counting_iteratorIjlEEPS9_SE_NS0_5tupleIJPjSE_EEENSF_IJSE_SE_EEES9_SG_JZNS1_25segmented_radix_sort_implINS0_14default_configELb1EPKaPaPKlPlN2at6native12_GLOBAL__N_18offset_tEEE10hipError_tPvRmT1_PNSt15iterator_traitsISY_E10value_typeET2_T3_PNSZ_IS14_E10value_typeET4_jRbjT5_S1A_jjP12ihipStream_tbEUljE_EEESV_SW_SX_S14_S18_S1A_T6_T7_T9_mT8_S1C_bDpT10_ENKUlT_T0_E_clISt17integral_constantIbLb1EES1O_IbLb0EEEEDaS1K_S1L_EUlS1K_E_NS1_11comp_targetILNS1_3genE4ELNS1_11target_archE910ELNS1_3gpuE8ELNS1_3repE0EEENS1_30default_config_static_selectorELNS0_4arch9wavefront6targetE0EEEvSY_, .Lfunc_end276-_ZN7rocprim17ROCPRIM_400000_NS6detail17trampoline_kernelINS0_13select_configILj256ELj13ELNS0_17block_load_methodE3ELS4_3ELS4_3ELNS0_20block_scan_algorithmE0ELj4294967295EEENS1_25partition_config_selectorILNS1_17partition_subalgoE3EjNS0_10empty_typeEbEEZZNS1_14partition_implILS8_3ELb0ES6_jNS0_17counting_iteratorIjlEEPS9_SE_NS0_5tupleIJPjSE_EEENSF_IJSE_SE_EEES9_SG_JZNS1_25segmented_radix_sort_implINS0_14default_configELb1EPKaPaPKlPlN2at6native12_GLOBAL__N_18offset_tEEE10hipError_tPvRmT1_PNSt15iterator_traitsISY_E10value_typeET2_T3_PNSZ_IS14_E10value_typeET4_jRbjT5_S1A_jjP12ihipStream_tbEUljE_EEESV_SW_SX_S14_S18_S1A_T6_T7_T9_mT8_S1C_bDpT10_ENKUlT_T0_E_clISt17integral_constantIbLb1EES1O_IbLb0EEEEDaS1K_S1L_EUlS1K_E_NS1_11comp_targetILNS1_3genE4ELNS1_11target_archE910ELNS1_3gpuE8ELNS1_3repE0EEENS1_30default_config_static_selectorELNS0_4arch9wavefront6targetE0EEEvSY_
                                        ; -- End function
	.set _ZN7rocprim17ROCPRIM_400000_NS6detail17trampoline_kernelINS0_13select_configILj256ELj13ELNS0_17block_load_methodE3ELS4_3ELS4_3ELNS0_20block_scan_algorithmE0ELj4294967295EEENS1_25partition_config_selectorILNS1_17partition_subalgoE3EjNS0_10empty_typeEbEEZZNS1_14partition_implILS8_3ELb0ES6_jNS0_17counting_iteratorIjlEEPS9_SE_NS0_5tupleIJPjSE_EEENSF_IJSE_SE_EEES9_SG_JZNS1_25segmented_radix_sort_implINS0_14default_configELb1EPKaPaPKlPlN2at6native12_GLOBAL__N_18offset_tEEE10hipError_tPvRmT1_PNSt15iterator_traitsISY_E10value_typeET2_T3_PNSZ_IS14_E10value_typeET4_jRbjT5_S1A_jjP12ihipStream_tbEUljE_EEESV_SW_SX_S14_S18_S1A_T6_T7_T9_mT8_S1C_bDpT10_ENKUlT_T0_E_clISt17integral_constantIbLb1EES1O_IbLb0EEEEDaS1K_S1L_EUlS1K_E_NS1_11comp_targetILNS1_3genE4ELNS1_11target_archE910ELNS1_3gpuE8ELNS1_3repE0EEENS1_30default_config_static_selectorELNS0_4arch9wavefront6targetE0EEEvSY_.num_vgpr, 0
	.set _ZN7rocprim17ROCPRIM_400000_NS6detail17trampoline_kernelINS0_13select_configILj256ELj13ELNS0_17block_load_methodE3ELS4_3ELS4_3ELNS0_20block_scan_algorithmE0ELj4294967295EEENS1_25partition_config_selectorILNS1_17partition_subalgoE3EjNS0_10empty_typeEbEEZZNS1_14partition_implILS8_3ELb0ES6_jNS0_17counting_iteratorIjlEEPS9_SE_NS0_5tupleIJPjSE_EEENSF_IJSE_SE_EEES9_SG_JZNS1_25segmented_radix_sort_implINS0_14default_configELb1EPKaPaPKlPlN2at6native12_GLOBAL__N_18offset_tEEE10hipError_tPvRmT1_PNSt15iterator_traitsISY_E10value_typeET2_T3_PNSZ_IS14_E10value_typeET4_jRbjT5_S1A_jjP12ihipStream_tbEUljE_EEESV_SW_SX_S14_S18_S1A_T6_T7_T9_mT8_S1C_bDpT10_ENKUlT_T0_E_clISt17integral_constantIbLb1EES1O_IbLb0EEEEDaS1K_S1L_EUlS1K_E_NS1_11comp_targetILNS1_3genE4ELNS1_11target_archE910ELNS1_3gpuE8ELNS1_3repE0EEENS1_30default_config_static_selectorELNS0_4arch9wavefront6targetE0EEEvSY_.num_agpr, 0
	.set _ZN7rocprim17ROCPRIM_400000_NS6detail17trampoline_kernelINS0_13select_configILj256ELj13ELNS0_17block_load_methodE3ELS4_3ELS4_3ELNS0_20block_scan_algorithmE0ELj4294967295EEENS1_25partition_config_selectorILNS1_17partition_subalgoE3EjNS0_10empty_typeEbEEZZNS1_14partition_implILS8_3ELb0ES6_jNS0_17counting_iteratorIjlEEPS9_SE_NS0_5tupleIJPjSE_EEENSF_IJSE_SE_EEES9_SG_JZNS1_25segmented_radix_sort_implINS0_14default_configELb1EPKaPaPKlPlN2at6native12_GLOBAL__N_18offset_tEEE10hipError_tPvRmT1_PNSt15iterator_traitsISY_E10value_typeET2_T3_PNSZ_IS14_E10value_typeET4_jRbjT5_S1A_jjP12ihipStream_tbEUljE_EEESV_SW_SX_S14_S18_S1A_T6_T7_T9_mT8_S1C_bDpT10_ENKUlT_T0_E_clISt17integral_constantIbLb1EES1O_IbLb0EEEEDaS1K_S1L_EUlS1K_E_NS1_11comp_targetILNS1_3genE4ELNS1_11target_archE910ELNS1_3gpuE8ELNS1_3repE0EEENS1_30default_config_static_selectorELNS0_4arch9wavefront6targetE0EEEvSY_.numbered_sgpr, 0
	.set _ZN7rocprim17ROCPRIM_400000_NS6detail17trampoline_kernelINS0_13select_configILj256ELj13ELNS0_17block_load_methodE3ELS4_3ELS4_3ELNS0_20block_scan_algorithmE0ELj4294967295EEENS1_25partition_config_selectorILNS1_17partition_subalgoE3EjNS0_10empty_typeEbEEZZNS1_14partition_implILS8_3ELb0ES6_jNS0_17counting_iteratorIjlEEPS9_SE_NS0_5tupleIJPjSE_EEENSF_IJSE_SE_EEES9_SG_JZNS1_25segmented_radix_sort_implINS0_14default_configELb1EPKaPaPKlPlN2at6native12_GLOBAL__N_18offset_tEEE10hipError_tPvRmT1_PNSt15iterator_traitsISY_E10value_typeET2_T3_PNSZ_IS14_E10value_typeET4_jRbjT5_S1A_jjP12ihipStream_tbEUljE_EEESV_SW_SX_S14_S18_S1A_T6_T7_T9_mT8_S1C_bDpT10_ENKUlT_T0_E_clISt17integral_constantIbLb1EES1O_IbLb0EEEEDaS1K_S1L_EUlS1K_E_NS1_11comp_targetILNS1_3genE4ELNS1_11target_archE910ELNS1_3gpuE8ELNS1_3repE0EEENS1_30default_config_static_selectorELNS0_4arch9wavefront6targetE0EEEvSY_.num_named_barrier, 0
	.set _ZN7rocprim17ROCPRIM_400000_NS6detail17trampoline_kernelINS0_13select_configILj256ELj13ELNS0_17block_load_methodE3ELS4_3ELS4_3ELNS0_20block_scan_algorithmE0ELj4294967295EEENS1_25partition_config_selectorILNS1_17partition_subalgoE3EjNS0_10empty_typeEbEEZZNS1_14partition_implILS8_3ELb0ES6_jNS0_17counting_iteratorIjlEEPS9_SE_NS0_5tupleIJPjSE_EEENSF_IJSE_SE_EEES9_SG_JZNS1_25segmented_radix_sort_implINS0_14default_configELb1EPKaPaPKlPlN2at6native12_GLOBAL__N_18offset_tEEE10hipError_tPvRmT1_PNSt15iterator_traitsISY_E10value_typeET2_T3_PNSZ_IS14_E10value_typeET4_jRbjT5_S1A_jjP12ihipStream_tbEUljE_EEESV_SW_SX_S14_S18_S1A_T6_T7_T9_mT8_S1C_bDpT10_ENKUlT_T0_E_clISt17integral_constantIbLb1EES1O_IbLb0EEEEDaS1K_S1L_EUlS1K_E_NS1_11comp_targetILNS1_3genE4ELNS1_11target_archE910ELNS1_3gpuE8ELNS1_3repE0EEENS1_30default_config_static_selectorELNS0_4arch9wavefront6targetE0EEEvSY_.private_seg_size, 0
	.set _ZN7rocprim17ROCPRIM_400000_NS6detail17trampoline_kernelINS0_13select_configILj256ELj13ELNS0_17block_load_methodE3ELS4_3ELS4_3ELNS0_20block_scan_algorithmE0ELj4294967295EEENS1_25partition_config_selectorILNS1_17partition_subalgoE3EjNS0_10empty_typeEbEEZZNS1_14partition_implILS8_3ELb0ES6_jNS0_17counting_iteratorIjlEEPS9_SE_NS0_5tupleIJPjSE_EEENSF_IJSE_SE_EEES9_SG_JZNS1_25segmented_radix_sort_implINS0_14default_configELb1EPKaPaPKlPlN2at6native12_GLOBAL__N_18offset_tEEE10hipError_tPvRmT1_PNSt15iterator_traitsISY_E10value_typeET2_T3_PNSZ_IS14_E10value_typeET4_jRbjT5_S1A_jjP12ihipStream_tbEUljE_EEESV_SW_SX_S14_S18_S1A_T6_T7_T9_mT8_S1C_bDpT10_ENKUlT_T0_E_clISt17integral_constantIbLb1EES1O_IbLb0EEEEDaS1K_S1L_EUlS1K_E_NS1_11comp_targetILNS1_3genE4ELNS1_11target_archE910ELNS1_3gpuE8ELNS1_3repE0EEENS1_30default_config_static_selectorELNS0_4arch9wavefront6targetE0EEEvSY_.uses_vcc, 0
	.set _ZN7rocprim17ROCPRIM_400000_NS6detail17trampoline_kernelINS0_13select_configILj256ELj13ELNS0_17block_load_methodE3ELS4_3ELS4_3ELNS0_20block_scan_algorithmE0ELj4294967295EEENS1_25partition_config_selectorILNS1_17partition_subalgoE3EjNS0_10empty_typeEbEEZZNS1_14partition_implILS8_3ELb0ES6_jNS0_17counting_iteratorIjlEEPS9_SE_NS0_5tupleIJPjSE_EEENSF_IJSE_SE_EEES9_SG_JZNS1_25segmented_radix_sort_implINS0_14default_configELb1EPKaPaPKlPlN2at6native12_GLOBAL__N_18offset_tEEE10hipError_tPvRmT1_PNSt15iterator_traitsISY_E10value_typeET2_T3_PNSZ_IS14_E10value_typeET4_jRbjT5_S1A_jjP12ihipStream_tbEUljE_EEESV_SW_SX_S14_S18_S1A_T6_T7_T9_mT8_S1C_bDpT10_ENKUlT_T0_E_clISt17integral_constantIbLb1EES1O_IbLb0EEEEDaS1K_S1L_EUlS1K_E_NS1_11comp_targetILNS1_3genE4ELNS1_11target_archE910ELNS1_3gpuE8ELNS1_3repE0EEENS1_30default_config_static_selectorELNS0_4arch9wavefront6targetE0EEEvSY_.uses_flat_scratch, 0
	.set _ZN7rocprim17ROCPRIM_400000_NS6detail17trampoline_kernelINS0_13select_configILj256ELj13ELNS0_17block_load_methodE3ELS4_3ELS4_3ELNS0_20block_scan_algorithmE0ELj4294967295EEENS1_25partition_config_selectorILNS1_17partition_subalgoE3EjNS0_10empty_typeEbEEZZNS1_14partition_implILS8_3ELb0ES6_jNS0_17counting_iteratorIjlEEPS9_SE_NS0_5tupleIJPjSE_EEENSF_IJSE_SE_EEES9_SG_JZNS1_25segmented_radix_sort_implINS0_14default_configELb1EPKaPaPKlPlN2at6native12_GLOBAL__N_18offset_tEEE10hipError_tPvRmT1_PNSt15iterator_traitsISY_E10value_typeET2_T3_PNSZ_IS14_E10value_typeET4_jRbjT5_S1A_jjP12ihipStream_tbEUljE_EEESV_SW_SX_S14_S18_S1A_T6_T7_T9_mT8_S1C_bDpT10_ENKUlT_T0_E_clISt17integral_constantIbLb1EES1O_IbLb0EEEEDaS1K_S1L_EUlS1K_E_NS1_11comp_targetILNS1_3genE4ELNS1_11target_archE910ELNS1_3gpuE8ELNS1_3repE0EEENS1_30default_config_static_selectorELNS0_4arch9wavefront6targetE0EEEvSY_.has_dyn_sized_stack, 0
	.set _ZN7rocprim17ROCPRIM_400000_NS6detail17trampoline_kernelINS0_13select_configILj256ELj13ELNS0_17block_load_methodE3ELS4_3ELS4_3ELNS0_20block_scan_algorithmE0ELj4294967295EEENS1_25partition_config_selectorILNS1_17partition_subalgoE3EjNS0_10empty_typeEbEEZZNS1_14partition_implILS8_3ELb0ES6_jNS0_17counting_iteratorIjlEEPS9_SE_NS0_5tupleIJPjSE_EEENSF_IJSE_SE_EEES9_SG_JZNS1_25segmented_radix_sort_implINS0_14default_configELb1EPKaPaPKlPlN2at6native12_GLOBAL__N_18offset_tEEE10hipError_tPvRmT1_PNSt15iterator_traitsISY_E10value_typeET2_T3_PNSZ_IS14_E10value_typeET4_jRbjT5_S1A_jjP12ihipStream_tbEUljE_EEESV_SW_SX_S14_S18_S1A_T6_T7_T9_mT8_S1C_bDpT10_ENKUlT_T0_E_clISt17integral_constantIbLb1EES1O_IbLb0EEEEDaS1K_S1L_EUlS1K_E_NS1_11comp_targetILNS1_3genE4ELNS1_11target_archE910ELNS1_3gpuE8ELNS1_3repE0EEENS1_30default_config_static_selectorELNS0_4arch9wavefront6targetE0EEEvSY_.has_recursion, 0
	.set _ZN7rocprim17ROCPRIM_400000_NS6detail17trampoline_kernelINS0_13select_configILj256ELj13ELNS0_17block_load_methodE3ELS4_3ELS4_3ELNS0_20block_scan_algorithmE0ELj4294967295EEENS1_25partition_config_selectorILNS1_17partition_subalgoE3EjNS0_10empty_typeEbEEZZNS1_14partition_implILS8_3ELb0ES6_jNS0_17counting_iteratorIjlEEPS9_SE_NS0_5tupleIJPjSE_EEENSF_IJSE_SE_EEES9_SG_JZNS1_25segmented_radix_sort_implINS0_14default_configELb1EPKaPaPKlPlN2at6native12_GLOBAL__N_18offset_tEEE10hipError_tPvRmT1_PNSt15iterator_traitsISY_E10value_typeET2_T3_PNSZ_IS14_E10value_typeET4_jRbjT5_S1A_jjP12ihipStream_tbEUljE_EEESV_SW_SX_S14_S18_S1A_T6_T7_T9_mT8_S1C_bDpT10_ENKUlT_T0_E_clISt17integral_constantIbLb1EES1O_IbLb0EEEEDaS1K_S1L_EUlS1K_E_NS1_11comp_targetILNS1_3genE4ELNS1_11target_archE910ELNS1_3gpuE8ELNS1_3repE0EEENS1_30default_config_static_selectorELNS0_4arch9wavefront6targetE0EEEvSY_.has_indirect_call, 0
	.section	.AMDGPU.csdata,"",@progbits
; Kernel info:
; codeLenInByte = 0
; TotalNumSgprs: 0
; NumVgprs: 0
; ScratchSize: 0
; MemoryBound: 0
; FloatMode: 240
; IeeeMode: 1
; LDSByteSize: 0 bytes/workgroup (compile time only)
; SGPRBlocks: 0
; VGPRBlocks: 0
; NumSGPRsForWavesPerEU: 1
; NumVGPRsForWavesPerEU: 1
; Occupancy: 16
; WaveLimiterHint : 0
; COMPUTE_PGM_RSRC2:SCRATCH_EN: 0
; COMPUTE_PGM_RSRC2:USER_SGPR: 2
; COMPUTE_PGM_RSRC2:TRAP_HANDLER: 0
; COMPUTE_PGM_RSRC2:TGID_X_EN: 1
; COMPUTE_PGM_RSRC2:TGID_Y_EN: 0
; COMPUTE_PGM_RSRC2:TGID_Z_EN: 0
; COMPUTE_PGM_RSRC2:TIDIG_COMP_CNT: 0
	.section	.text._ZN7rocprim17ROCPRIM_400000_NS6detail17trampoline_kernelINS0_13select_configILj256ELj13ELNS0_17block_load_methodE3ELS4_3ELS4_3ELNS0_20block_scan_algorithmE0ELj4294967295EEENS1_25partition_config_selectorILNS1_17partition_subalgoE3EjNS0_10empty_typeEbEEZZNS1_14partition_implILS8_3ELb0ES6_jNS0_17counting_iteratorIjlEEPS9_SE_NS0_5tupleIJPjSE_EEENSF_IJSE_SE_EEES9_SG_JZNS1_25segmented_radix_sort_implINS0_14default_configELb1EPKaPaPKlPlN2at6native12_GLOBAL__N_18offset_tEEE10hipError_tPvRmT1_PNSt15iterator_traitsISY_E10value_typeET2_T3_PNSZ_IS14_E10value_typeET4_jRbjT5_S1A_jjP12ihipStream_tbEUljE_EEESV_SW_SX_S14_S18_S1A_T6_T7_T9_mT8_S1C_bDpT10_ENKUlT_T0_E_clISt17integral_constantIbLb1EES1O_IbLb0EEEEDaS1K_S1L_EUlS1K_E_NS1_11comp_targetILNS1_3genE3ELNS1_11target_archE908ELNS1_3gpuE7ELNS1_3repE0EEENS1_30default_config_static_selectorELNS0_4arch9wavefront6targetE0EEEvSY_,"axG",@progbits,_ZN7rocprim17ROCPRIM_400000_NS6detail17trampoline_kernelINS0_13select_configILj256ELj13ELNS0_17block_load_methodE3ELS4_3ELS4_3ELNS0_20block_scan_algorithmE0ELj4294967295EEENS1_25partition_config_selectorILNS1_17partition_subalgoE3EjNS0_10empty_typeEbEEZZNS1_14partition_implILS8_3ELb0ES6_jNS0_17counting_iteratorIjlEEPS9_SE_NS0_5tupleIJPjSE_EEENSF_IJSE_SE_EEES9_SG_JZNS1_25segmented_radix_sort_implINS0_14default_configELb1EPKaPaPKlPlN2at6native12_GLOBAL__N_18offset_tEEE10hipError_tPvRmT1_PNSt15iterator_traitsISY_E10value_typeET2_T3_PNSZ_IS14_E10value_typeET4_jRbjT5_S1A_jjP12ihipStream_tbEUljE_EEESV_SW_SX_S14_S18_S1A_T6_T7_T9_mT8_S1C_bDpT10_ENKUlT_T0_E_clISt17integral_constantIbLb1EES1O_IbLb0EEEEDaS1K_S1L_EUlS1K_E_NS1_11comp_targetILNS1_3genE3ELNS1_11target_archE908ELNS1_3gpuE7ELNS1_3repE0EEENS1_30default_config_static_selectorELNS0_4arch9wavefront6targetE0EEEvSY_,comdat
	.globl	_ZN7rocprim17ROCPRIM_400000_NS6detail17trampoline_kernelINS0_13select_configILj256ELj13ELNS0_17block_load_methodE3ELS4_3ELS4_3ELNS0_20block_scan_algorithmE0ELj4294967295EEENS1_25partition_config_selectorILNS1_17partition_subalgoE3EjNS0_10empty_typeEbEEZZNS1_14partition_implILS8_3ELb0ES6_jNS0_17counting_iteratorIjlEEPS9_SE_NS0_5tupleIJPjSE_EEENSF_IJSE_SE_EEES9_SG_JZNS1_25segmented_radix_sort_implINS0_14default_configELb1EPKaPaPKlPlN2at6native12_GLOBAL__N_18offset_tEEE10hipError_tPvRmT1_PNSt15iterator_traitsISY_E10value_typeET2_T3_PNSZ_IS14_E10value_typeET4_jRbjT5_S1A_jjP12ihipStream_tbEUljE_EEESV_SW_SX_S14_S18_S1A_T6_T7_T9_mT8_S1C_bDpT10_ENKUlT_T0_E_clISt17integral_constantIbLb1EES1O_IbLb0EEEEDaS1K_S1L_EUlS1K_E_NS1_11comp_targetILNS1_3genE3ELNS1_11target_archE908ELNS1_3gpuE7ELNS1_3repE0EEENS1_30default_config_static_selectorELNS0_4arch9wavefront6targetE0EEEvSY_ ; -- Begin function _ZN7rocprim17ROCPRIM_400000_NS6detail17trampoline_kernelINS0_13select_configILj256ELj13ELNS0_17block_load_methodE3ELS4_3ELS4_3ELNS0_20block_scan_algorithmE0ELj4294967295EEENS1_25partition_config_selectorILNS1_17partition_subalgoE3EjNS0_10empty_typeEbEEZZNS1_14partition_implILS8_3ELb0ES6_jNS0_17counting_iteratorIjlEEPS9_SE_NS0_5tupleIJPjSE_EEENSF_IJSE_SE_EEES9_SG_JZNS1_25segmented_radix_sort_implINS0_14default_configELb1EPKaPaPKlPlN2at6native12_GLOBAL__N_18offset_tEEE10hipError_tPvRmT1_PNSt15iterator_traitsISY_E10value_typeET2_T3_PNSZ_IS14_E10value_typeET4_jRbjT5_S1A_jjP12ihipStream_tbEUljE_EEESV_SW_SX_S14_S18_S1A_T6_T7_T9_mT8_S1C_bDpT10_ENKUlT_T0_E_clISt17integral_constantIbLb1EES1O_IbLb0EEEEDaS1K_S1L_EUlS1K_E_NS1_11comp_targetILNS1_3genE3ELNS1_11target_archE908ELNS1_3gpuE7ELNS1_3repE0EEENS1_30default_config_static_selectorELNS0_4arch9wavefront6targetE0EEEvSY_
	.p2align	8
	.type	_ZN7rocprim17ROCPRIM_400000_NS6detail17trampoline_kernelINS0_13select_configILj256ELj13ELNS0_17block_load_methodE3ELS4_3ELS4_3ELNS0_20block_scan_algorithmE0ELj4294967295EEENS1_25partition_config_selectorILNS1_17partition_subalgoE3EjNS0_10empty_typeEbEEZZNS1_14partition_implILS8_3ELb0ES6_jNS0_17counting_iteratorIjlEEPS9_SE_NS0_5tupleIJPjSE_EEENSF_IJSE_SE_EEES9_SG_JZNS1_25segmented_radix_sort_implINS0_14default_configELb1EPKaPaPKlPlN2at6native12_GLOBAL__N_18offset_tEEE10hipError_tPvRmT1_PNSt15iterator_traitsISY_E10value_typeET2_T3_PNSZ_IS14_E10value_typeET4_jRbjT5_S1A_jjP12ihipStream_tbEUljE_EEESV_SW_SX_S14_S18_S1A_T6_T7_T9_mT8_S1C_bDpT10_ENKUlT_T0_E_clISt17integral_constantIbLb1EES1O_IbLb0EEEEDaS1K_S1L_EUlS1K_E_NS1_11comp_targetILNS1_3genE3ELNS1_11target_archE908ELNS1_3gpuE7ELNS1_3repE0EEENS1_30default_config_static_selectorELNS0_4arch9wavefront6targetE0EEEvSY_,@function
_ZN7rocprim17ROCPRIM_400000_NS6detail17trampoline_kernelINS0_13select_configILj256ELj13ELNS0_17block_load_methodE3ELS4_3ELS4_3ELNS0_20block_scan_algorithmE0ELj4294967295EEENS1_25partition_config_selectorILNS1_17partition_subalgoE3EjNS0_10empty_typeEbEEZZNS1_14partition_implILS8_3ELb0ES6_jNS0_17counting_iteratorIjlEEPS9_SE_NS0_5tupleIJPjSE_EEENSF_IJSE_SE_EEES9_SG_JZNS1_25segmented_radix_sort_implINS0_14default_configELb1EPKaPaPKlPlN2at6native12_GLOBAL__N_18offset_tEEE10hipError_tPvRmT1_PNSt15iterator_traitsISY_E10value_typeET2_T3_PNSZ_IS14_E10value_typeET4_jRbjT5_S1A_jjP12ihipStream_tbEUljE_EEESV_SW_SX_S14_S18_S1A_T6_T7_T9_mT8_S1C_bDpT10_ENKUlT_T0_E_clISt17integral_constantIbLb1EES1O_IbLb0EEEEDaS1K_S1L_EUlS1K_E_NS1_11comp_targetILNS1_3genE3ELNS1_11target_archE908ELNS1_3gpuE7ELNS1_3repE0EEENS1_30default_config_static_selectorELNS0_4arch9wavefront6targetE0EEEvSY_: ; @_ZN7rocprim17ROCPRIM_400000_NS6detail17trampoline_kernelINS0_13select_configILj256ELj13ELNS0_17block_load_methodE3ELS4_3ELS4_3ELNS0_20block_scan_algorithmE0ELj4294967295EEENS1_25partition_config_selectorILNS1_17partition_subalgoE3EjNS0_10empty_typeEbEEZZNS1_14partition_implILS8_3ELb0ES6_jNS0_17counting_iteratorIjlEEPS9_SE_NS0_5tupleIJPjSE_EEENSF_IJSE_SE_EEES9_SG_JZNS1_25segmented_radix_sort_implINS0_14default_configELb1EPKaPaPKlPlN2at6native12_GLOBAL__N_18offset_tEEE10hipError_tPvRmT1_PNSt15iterator_traitsISY_E10value_typeET2_T3_PNSZ_IS14_E10value_typeET4_jRbjT5_S1A_jjP12ihipStream_tbEUljE_EEESV_SW_SX_S14_S18_S1A_T6_T7_T9_mT8_S1C_bDpT10_ENKUlT_T0_E_clISt17integral_constantIbLb1EES1O_IbLb0EEEEDaS1K_S1L_EUlS1K_E_NS1_11comp_targetILNS1_3genE3ELNS1_11target_archE908ELNS1_3gpuE7ELNS1_3repE0EEENS1_30default_config_static_selectorELNS0_4arch9wavefront6targetE0EEEvSY_
; %bb.0:
	.section	.rodata,"a",@progbits
	.p2align	6, 0x0
	.amdhsa_kernel _ZN7rocprim17ROCPRIM_400000_NS6detail17trampoline_kernelINS0_13select_configILj256ELj13ELNS0_17block_load_methodE3ELS4_3ELS4_3ELNS0_20block_scan_algorithmE0ELj4294967295EEENS1_25partition_config_selectorILNS1_17partition_subalgoE3EjNS0_10empty_typeEbEEZZNS1_14partition_implILS8_3ELb0ES6_jNS0_17counting_iteratorIjlEEPS9_SE_NS0_5tupleIJPjSE_EEENSF_IJSE_SE_EEES9_SG_JZNS1_25segmented_radix_sort_implINS0_14default_configELb1EPKaPaPKlPlN2at6native12_GLOBAL__N_18offset_tEEE10hipError_tPvRmT1_PNSt15iterator_traitsISY_E10value_typeET2_T3_PNSZ_IS14_E10value_typeET4_jRbjT5_S1A_jjP12ihipStream_tbEUljE_EEESV_SW_SX_S14_S18_S1A_T6_T7_T9_mT8_S1C_bDpT10_ENKUlT_T0_E_clISt17integral_constantIbLb1EES1O_IbLb0EEEEDaS1K_S1L_EUlS1K_E_NS1_11comp_targetILNS1_3genE3ELNS1_11target_archE908ELNS1_3gpuE7ELNS1_3repE0EEENS1_30default_config_static_selectorELNS0_4arch9wavefront6targetE0EEEvSY_
		.amdhsa_group_segment_fixed_size 0
		.amdhsa_private_segment_fixed_size 0
		.amdhsa_kernarg_size 144
		.amdhsa_user_sgpr_count 2
		.amdhsa_user_sgpr_dispatch_ptr 0
		.amdhsa_user_sgpr_queue_ptr 0
		.amdhsa_user_sgpr_kernarg_segment_ptr 1
		.amdhsa_user_sgpr_dispatch_id 0
		.amdhsa_user_sgpr_private_segment_size 0
		.amdhsa_wavefront_size32 1
		.amdhsa_uses_dynamic_stack 0
		.amdhsa_enable_private_segment 0
		.amdhsa_system_sgpr_workgroup_id_x 1
		.amdhsa_system_sgpr_workgroup_id_y 0
		.amdhsa_system_sgpr_workgroup_id_z 0
		.amdhsa_system_sgpr_workgroup_info 0
		.amdhsa_system_vgpr_workitem_id 0
		.amdhsa_next_free_vgpr 1
		.amdhsa_next_free_sgpr 1
		.amdhsa_reserve_vcc 0
		.amdhsa_float_round_mode_32 0
		.amdhsa_float_round_mode_16_64 0
		.amdhsa_float_denorm_mode_32 3
		.amdhsa_float_denorm_mode_16_64 3
		.amdhsa_fp16_overflow 0
		.amdhsa_workgroup_processor_mode 1
		.amdhsa_memory_ordered 1
		.amdhsa_forward_progress 1
		.amdhsa_inst_pref_size 0
		.amdhsa_round_robin_scheduling 0
		.amdhsa_exception_fp_ieee_invalid_op 0
		.amdhsa_exception_fp_denorm_src 0
		.amdhsa_exception_fp_ieee_div_zero 0
		.amdhsa_exception_fp_ieee_overflow 0
		.amdhsa_exception_fp_ieee_underflow 0
		.amdhsa_exception_fp_ieee_inexact 0
		.amdhsa_exception_int_div_zero 0
	.end_amdhsa_kernel
	.section	.text._ZN7rocprim17ROCPRIM_400000_NS6detail17trampoline_kernelINS0_13select_configILj256ELj13ELNS0_17block_load_methodE3ELS4_3ELS4_3ELNS0_20block_scan_algorithmE0ELj4294967295EEENS1_25partition_config_selectorILNS1_17partition_subalgoE3EjNS0_10empty_typeEbEEZZNS1_14partition_implILS8_3ELb0ES6_jNS0_17counting_iteratorIjlEEPS9_SE_NS0_5tupleIJPjSE_EEENSF_IJSE_SE_EEES9_SG_JZNS1_25segmented_radix_sort_implINS0_14default_configELb1EPKaPaPKlPlN2at6native12_GLOBAL__N_18offset_tEEE10hipError_tPvRmT1_PNSt15iterator_traitsISY_E10value_typeET2_T3_PNSZ_IS14_E10value_typeET4_jRbjT5_S1A_jjP12ihipStream_tbEUljE_EEESV_SW_SX_S14_S18_S1A_T6_T7_T9_mT8_S1C_bDpT10_ENKUlT_T0_E_clISt17integral_constantIbLb1EES1O_IbLb0EEEEDaS1K_S1L_EUlS1K_E_NS1_11comp_targetILNS1_3genE3ELNS1_11target_archE908ELNS1_3gpuE7ELNS1_3repE0EEENS1_30default_config_static_selectorELNS0_4arch9wavefront6targetE0EEEvSY_,"axG",@progbits,_ZN7rocprim17ROCPRIM_400000_NS6detail17trampoline_kernelINS0_13select_configILj256ELj13ELNS0_17block_load_methodE3ELS4_3ELS4_3ELNS0_20block_scan_algorithmE0ELj4294967295EEENS1_25partition_config_selectorILNS1_17partition_subalgoE3EjNS0_10empty_typeEbEEZZNS1_14partition_implILS8_3ELb0ES6_jNS0_17counting_iteratorIjlEEPS9_SE_NS0_5tupleIJPjSE_EEENSF_IJSE_SE_EEES9_SG_JZNS1_25segmented_radix_sort_implINS0_14default_configELb1EPKaPaPKlPlN2at6native12_GLOBAL__N_18offset_tEEE10hipError_tPvRmT1_PNSt15iterator_traitsISY_E10value_typeET2_T3_PNSZ_IS14_E10value_typeET4_jRbjT5_S1A_jjP12ihipStream_tbEUljE_EEESV_SW_SX_S14_S18_S1A_T6_T7_T9_mT8_S1C_bDpT10_ENKUlT_T0_E_clISt17integral_constantIbLb1EES1O_IbLb0EEEEDaS1K_S1L_EUlS1K_E_NS1_11comp_targetILNS1_3genE3ELNS1_11target_archE908ELNS1_3gpuE7ELNS1_3repE0EEENS1_30default_config_static_selectorELNS0_4arch9wavefront6targetE0EEEvSY_,comdat
.Lfunc_end277:
	.size	_ZN7rocprim17ROCPRIM_400000_NS6detail17trampoline_kernelINS0_13select_configILj256ELj13ELNS0_17block_load_methodE3ELS4_3ELS4_3ELNS0_20block_scan_algorithmE0ELj4294967295EEENS1_25partition_config_selectorILNS1_17partition_subalgoE3EjNS0_10empty_typeEbEEZZNS1_14partition_implILS8_3ELb0ES6_jNS0_17counting_iteratorIjlEEPS9_SE_NS0_5tupleIJPjSE_EEENSF_IJSE_SE_EEES9_SG_JZNS1_25segmented_radix_sort_implINS0_14default_configELb1EPKaPaPKlPlN2at6native12_GLOBAL__N_18offset_tEEE10hipError_tPvRmT1_PNSt15iterator_traitsISY_E10value_typeET2_T3_PNSZ_IS14_E10value_typeET4_jRbjT5_S1A_jjP12ihipStream_tbEUljE_EEESV_SW_SX_S14_S18_S1A_T6_T7_T9_mT8_S1C_bDpT10_ENKUlT_T0_E_clISt17integral_constantIbLb1EES1O_IbLb0EEEEDaS1K_S1L_EUlS1K_E_NS1_11comp_targetILNS1_3genE3ELNS1_11target_archE908ELNS1_3gpuE7ELNS1_3repE0EEENS1_30default_config_static_selectorELNS0_4arch9wavefront6targetE0EEEvSY_, .Lfunc_end277-_ZN7rocprim17ROCPRIM_400000_NS6detail17trampoline_kernelINS0_13select_configILj256ELj13ELNS0_17block_load_methodE3ELS4_3ELS4_3ELNS0_20block_scan_algorithmE0ELj4294967295EEENS1_25partition_config_selectorILNS1_17partition_subalgoE3EjNS0_10empty_typeEbEEZZNS1_14partition_implILS8_3ELb0ES6_jNS0_17counting_iteratorIjlEEPS9_SE_NS0_5tupleIJPjSE_EEENSF_IJSE_SE_EEES9_SG_JZNS1_25segmented_radix_sort_implINS0_14default_configELb1EPKaPaPKlPlN2at6native12_GLOBAL__N_18offset_tEEE10hipError_tPvRmT1_PNSt15iterator_traitsISY_E10value_typeET2_T3_PNSZ_IS14_E10value_typeET4_jRbjT5_S1A_jjP12ihipStream_tbEUljE_EEESV_SW_SX_S14_S18_S1A_T6_T7_T9_mT8_S1C_bDpT10_ENKUlT_T0_E_clISt17integral_constantIbLb1EES1O_IbLb0EEEEDaS1K_S1L_EUlS1K_E_NS1_11comp_targetILNS1_3genE3ELNS1_11target_archE908ELNS1_3gpuE7ELNS1_3repE0EEENS1_30default_config_static_selectorELNS0_4arch9wavefront6targetE0EEEvSY_
                                        ; -- End function
	.set _ZN7rocprim17ROCPRIM_400000_NS6detail17trampoline_kernelINS0_13select_configILj256ELj13ELNS0_17block_load_methodE3ELS4_3ELS4_3ELNS0_20block_scan_algorithmE0ELj4294967295EEENS1_25partition_config_selectorILNS1_17partition_subalgoE3EjNS0_10empty_typeEbEEZZNS1_14partition_implILS8_3ELb0ES6_jNS0_17counting_iteratorIjlEEPS9_SE_NS0_5tupleIJPjSE_EEENSF_IJSE_SE_EEES9_SG_JZNS1_25segmented_radix_sort_implINS0_14default_configELb1EPKaPaPKlPlN2at6native12_GLOBAL__N_18offset_tEEE10hipError_tPvRmT1_PNSt15iterator_traitsISY_E10value_typeET2_T3_PNSZ_IS14_E10value_typeET4_jRbjT5_S1A_jjP12ihipStream_tbEUljE_EEESV_SW_SX_S14_S18_S1A_T6_T7_T9_mT8_S1C_bDpT10_ENKUlT_T0_E_clISt17integral_constantIbLb1EES1O_IbLb0EEEEDaS1K_S1L_EUlS1K_E_NS1_11comp_targetILNS1_3genE3ELNS1_11target_archE908ELNS1_3gpuE7ELNS1_3repE0EEENS1_30default_config_static_selectorELNS0_4arch9wavefront6targetE0EEEvSY_.num_vgpr, 0
	.set _ZN7rocprim17ROCPRIM_400000_NS6detail17trampoline_kernelINS0_13select_configILj256ELj13ELNS0_17block_load_methodE3ELS4_3ELS4_3ELNS0_20block_scan_algorithmE0ELj4294967295EEENS1_25partition_config_selectorILNS1_17partition_subalgoE3EjNS0_10empty_typeEbEEZZNS1_14partition_implILS8_3ELb0ES6_jNS0_17counting_iteratorIjlEEPS9_SE_NS0_5tupleIJPjSE_EEENSF_IJSE_SE_EEES9_SG_JZNS1_25segmented_radix_sort_implINS0_14default_configELb1EPKaPaPKlPlN2at6native12_GLOBAL__N_18offset_tEEE10hipError_tPvRmT1_PNSt15iterator_traitsISY_E10value_typeET2_T3_PNSZ_IS14_E10value_typeET4_jRbjT5_S1A_jjP12ihipStream_tbEUljE_EEESV_SW_SX_S14_S18_S1A_T6_T7_T9_mT8_S1C_bDpT10_ENKUlT_T0_E_clISt17integral_constantIbLb1EES1O_IbLb0EEEEDaS1K_S1L_EUlS1K_E_NS1_11comp_targetILNS1_3genE3ELNS1_11target_archE908ELNS1_3gpuE7ELNS1_3repE0EEENS1_30default_config_static_selectorELNS0_4arch9wavefront6targetE0EEEvSY_.num_agpr, 0
	.set _ZN7rocprim17ROCPRIM_400000_NS6detail17trampoline_kernelINS0_13select_configILj256ELj13ELNS0_17block_load_methodE3ELS4_3ELS4_3ELNS0_20block_scan_algorithmE0ELj4294967295EEENS1_25partition_config_selectorILNS1_17partition_subalgoE3EjNS0_10empty_typeEbEEZZNS1_14partition_implILS8_3ELb0ES6_jNS0_17counting_iteratorIjlEEPS9_SE_NS0_5tupleIJPjSE_EEENSF_IJSE_SE_EEES9_SG_JZNS1_25segmented_radix_sort_implINS0_14default_configELb1EPKaPaPKlPlN2at6native12_GLOBAL__N_18offset_tEEE10hipError_tPvRmT1_PNSt15iterator_traitsISY_E10value_typeET2_T3_PNSZ_IS14_E10value_typeET4_jRbjT5_S1A_jjP12ihipStream_tbEUljE_EEESV_SW_SX_S14_S18_S1A_T6_T7_T9_mT8_S1C_bDpT10_ENKUlT_T0_E_clISt17integral_constantIbLb1EES1O_IbLb0EEEEDaS1K_S1L_EUlS1K_E_NS1_11comp_targetILNS1_3genE3ELNS1_11target_archE908ELNS1_3gpuE7ELNS1_3repE0EEENS1_30default_config_static_selectorELNS0_4arch9wavefront6targetE0EEEvSY_.numbered_sgpr, 0
	.set _ZN7rocprim17ROCPRIM_400000_NS6detail17trampoline_kernelINS0_13select_configILj256ELj13ELNS0_17block_load_methodE3ELS4_3ELS4_3ELNS0_20block_scan_algorithmE0ELj4294967295EEENS1_25partition_config_selectorILNS1_17partition_subalgoE3EjNS0_10empty_typeEbEEZZNS1_14partition_implILS8_3ELb0ES6_jNS0_17counting_iteratorIjlEEPS9_SE_NS0_5tupleIJPjSE_EEENSF_IJSE_SE_EEES9_SG_JZNS1_25segmented_radix_sort_implINS0_14default_configELb1EPKaPaPKlPlN2at6native12_GLOBAL__N_18offset_tEEE10hipError_tPvRmT1_PNSt15iterator_traitsISY_E10value_typeET2_T3_PNSZ_IS14_E10value_typeET4_jRbjT5_S1A_jjP12ihipStream_tbEUljE_EEESV_SW_SX_S14_S18_S1A_T6_T7_T9_mT8_S1C_bDpT10_ENKUlT_T0_E_clISt17integral_constantIbLb1EES1O_IbLb0EEEEDaS1K_S1L_EUlS1K_E_NS1_11comp_targetILNS1_3genE3ELNS1_11target_archE908ELNS1_3gpuE7ELNS1_3repE0EEENS1_30default_config_static_selectorELNS0_4arch9wavefront6targetE0EEEvSY_.num_named_barrier, 0
	.set _ZN7rocprim17ROCPRIM_400000_NS6detail17trampoline_kernelINS0_13select_configILj256ELj13ELNS0_17block_load_methodE3ELS4_3ELS4_3ELNS0_20block_scan_algorithmE0ELj4294967295EEENS1_25partition_config_selectorILNS1_17partition_subalgoE3EjNS0_10empty_typeEbEEZZNS1_14partition_implILS8_3ELb0ES6_jNS0_17counting_iteratorIjlEEPS9_SE_NS0_5tupleIJPjSE_EEENSF_IJSE_SE_EEES9_SG_JZNS1_25segmented_radix_sort_implINS0_14default_configELb1EPKaPaPKlPlN2at6native12_GLOBAL__N_18offset_tEEE10hipError_tPvRmT1_PNSt15iterator_traitsISY_E10value_typeET2_T3_PNSZ_IS14_E10value_typeET4_jRbjT5_S1A_jjP12ihipStream_tbEUljE_EEESV_SW_SX_S14_S18_S1A_T6_T7_T9_mT8_S1C_bDpT10_ENKUlT_T0_E_clISt17integral_constantIbLb1EES1O_IbLb0EEEEDaS1K_S1L_EUlS1K_E_NS1_11comp_targetILNS1_3genE3ELNS1_11target_archE908ELNS1_3gpuE7ELNS1_3repE0EEENS1_30default_config_static_selectorELNS0_4arch9wavefront6targetE0EEEvSY_.private_seg_size, 0
	.set _ZN7rocprim17ROCPRIM_400000_NS6detail17trampoline_kernelINS0_13select_configILj256ELj13ELNS0_17block_load_methodE3ELS4_3ELS4_3ELNS0_20block_scan_algorithmE0ELj4294967295EEENS1_25partition_config_selectorILNS1_17partition_subalgoE3EjNS0_10empty_typeEbEEZZNS1_14partition_implILS8_3ELb0ES6_jNS0_17counting_iteratorIjlEEPS9_SE_NS0_5tupleIJPjSE_EEENSF_IJSE_SE_EEES9_SG_JZNS1_25segmented_radix_sort_implINS0_14default_configELb1EPKaPaPKlPlN2at6native12_GLOBAL__N_18offset_tEEE10hipError_tPvRmT1_PNSt15iterator_traitsISY_E10value_typeET2_T3_PNSZ_IS14_E10value_typeET4_jRbjT5_S1A_jjP12ihipStream_tbEUljE_EEESV_SW_SX_S14_S18_S1A_T6_T7_T9_mT8_S1C_bDpT10_ENKUlT_T0_E_clISt17integral_constantIbLb1EES1O_IbLb0EEEEDaS1K_S1L_EUlS1K_E_NS1_11comp_targetILNS1_3genE3ELNS1_11target_archE908ELNS1_3gpuE7ELNS1_3repE0EEENS1_30default_config_static_selectorELNS0_4arch9wavefront6targetE0EEEvSY_.uses_vcc, 0
	.set _ZN7rocprim17ROCPRIM_400000_NS6detail17trampoline_kernelINS0_13select_configILj256ELj13ELNS0_17block_load_methodE3ELS4_3ELS4_3ELNS0_20block_scan_algorithmE0ELj4294967295EEENS1_25partition_config_selectorILNS1_17partition_subalgoE3EjNS0_10empty_typeEbEEZZNS1_14partition_implILS8_3ELb0ES6_jNS0_17counting_iteratorIjlEEPS9_SE_NS0_5tupleIJPjSE_EEENSF_IJSE_SE_EEES9_SG_JZNS1_25segmented_radix_sort_implINS0_14default_configELb1EPKaPaPKlPlN2at6native12_GLOBAL__N_18offset_tEEE10hipError_tPvRmT1_PNSt15iterator_traitsISY_E10value_typeET2_T3_PNSZ_IS14_E10value_typeET4_jRbjT5_S1A_jjP12ihipStream_tbEUljE_EEESV_SW_SX_S14_S18_S1A_T6_T7_T9_mT8_S1C_bDpT10_ENKUlT_T0_E_clISt17integral_constantIbLb1EES1O_IbLb0EEEEDaS1K_S1L_EUlS1K_E_NS1_11comp_targetILNS1_3genE3ELNS1_11target_archE908ELNS1_3gpuE7ELNS1_3repE0EEENS1_30default_config_static_selectorELNS0_4arch9wavefront6targetE0EEEvSY_.uses_flat_scratch, 0
	.set _ZN7rocprim17ROCPRIM_400000_NS6detail17trampoline_kernelINS0_13select_configILj256ELj13ELNS0_17block_load_methodE3ELS4_3ELS4_3ELNS0_20block_scan_algorithmE0ELj4294967295EEENS1_25partition_config_selectorILNS1_17partition_subalgoE3EjNS0_10empty_typeEbEEZZNS1_14partition_implILS8_3ELb0ES6_jNS0_17counting_iteratorIjlEEPS9_SE_NS0_5tupleIJPjSE_EEENSF_IJSE_SE_EEES9_SG_JZNS1_25segmented_radix_sort_implINS0_14default_configELb1EPKaPaPKlPlN2at6native12_GLOBAL__N_18offset_tEEE10hipError_tPvRmT1_PNSt15iterator_traitsISY_E10value_typeET2_T3_PNSZ_IS14_E10value_typeET4_jRbjT5_S1A_jjP12ihipStream_tbEUljE_EEESV_SW_SX_S14_S18_S1A_T6_T7_T9_mT8_S1C_bDpT10_ENKUlT_T0_E_clISt17integral_constantIbLb1EES1O_IbLb0EEEEDaS1K_S1L_EUlS1K_E_NS1_11comp_targetILNS1_3genE3ELNS1_11target_archE908ELNS1_3gpuE7ELNS1_3repE0EEENS1_30default_config_static_selectorELNS0_4arch9wavefront6targetE0EEEvSY_.has_dyn_sized_stack, 0
	.set _ZN7rocprim17ROCPRIM_400000_NS6detail17trampoline_kernelINS0_13select_configILj256ELj13ELNS0_17block_load_methodE3ELS4_3ELS4_3ELNS0_20block_scan_algorithmE0ELj4294967295EEENS1_25partition_config_selectorILNS1_17partition_subalgoE3EjNS0_10empty_typeEbEEZZNS1_14partition_implILS8_3ELb0ES6_jNS0_17counting_iteratorIjlEEPS9_SE_NS0_5tupleIJPjSE_EEENSF_IJSE_SE_EEES9_SG_JZNS1_25segmented_radix_sort_implINS0_14default_configELb1EPKaPaPKlPlN2at6native12_GLOBAL__N_18offset_tEEE10hipError_tPvRmT1_PNSt15iterator_traitsISY_E10value_typeET2_T3_PNSZ_IS14_E10value_typeET4_jRbjT5_S1A_jjP12ihipStream_tbEUljE_EEESV_SW_SX_S14_S18_S1A_T6_T7_T9_mT8_S1C_bDpT10_ENKUlT_T0_E_clISt17integral_constantIbLb1EES1O_IbLb0EEEEDaS1K_S1L_EUlS1K_E_NS1_11comp_targetILNS1_3genE3ELNS1_11target_archE908ELNS1_3gpuE7ELNS1_3repE0EEENS1_30default_config_static_selectorELNS0_4arch9wavefront6targetE0EEEvSY_.has_recursion, 0
	.set _ZN7rocprim17ROCPRIM_400000_NS6detail17trampoline_kernelINS0_13select_configILj256ELj13ELNS0_17block_load_methodE3ELS4_3ELS4_3ELNS0_20block_scan_algorithmE0ELj4294967295EEENS1_25partition_config_selectorILNS1_17partition_subalgoE3EjNS0_10empty_typeEbEEZZNS1_14partition_implILS8_3ELb0ES6_jNS0_17counting_iteratorIjlEEPS9_SE_NS0_5tupleIJPjSE_EEENSF_IJSE_SE_EEES9_SG_JZNS1_25segmented_radix_sort_implINS0_14default_configELb1EPKaPaPKlPlN2at6native12_GLOBAL__N_18offset_tEEE10hipError_tPvRmT1_PNSt15iterator_traitsISY_E10value_typeET2_T3_PNSZ_IS14_E10value_typeET4_jRbjT5_S1A_jjP12ihipStream_tbEUljE_EEESV_SW_SX_S14_S18_S1A_T6_T7_T9_mT8_S1C_bDpT10_ENKUlT_T0_E_clISt17integral_constantIbLb1EES1O_IbLb0EEEEDaS1K_S1L_EUlS1K_E_NS1_11comp_targetILNS1_3genE3ELNS1_11target_archE908ELNS1_3gpuE7ELNS1_3repE0EEENS1_30default_config_static_selectorELNS0_4arch9wavefront6targetE0EEEvSY_.has_indirect_call, 0
	.section	.AMDGPU.csdata,"",@progbits
; Kernel info:
; codeLenInByte = 0
; TotalNumSgprs: 0
; NumVgprs: 0
; ScratchSize: 0
; MemoryBound: 0
; FloatMode: 240
; IeeeMode: 1
; LDSByteSize: 0 bytes/workgroup (compile time only)
; SGPRBlocks: 0
; VGPRBlocks: 0
; NumSGPRsForWavesPerEU: 1
; NumVGPRsForWavesPerEU: 1
; Occupancy: 16
; WaveLimiterHint : 0
; COMPUTE_PGM_RSRC2:SCRATCH_EN: 0
; COMPUTE_PGM_RSRC2:USER_SGPR: 2
; COMPUTE_PGM_RSRC2:TRAP_HANDLER: 0
; COMPUTE_PGM_RSRC2:TGID_X_EN: 1
; COMPUTE_PGM_RSRC2:TGID_Y_EN: 0
; COMPUTE_PGM_RSRC2:TGID_Z_EN: 0
; COMPUTE_PGM_RSRC2:TIDIG_COMP_CNT: 0
	.section	.text._ZN7rocprim17ROCPRIM_400000_NS6detail17trampoline_kernelINS0_13select_configILj256ELj13ELNS0_17block_load_methodE3ELS4_3ELS4_3ELNS0_20block_scan_algorithmE0ELj4294967295EEENS1_25partition_config_selectorILNS1_17partition_subalgoE3EjNS0_10empty_typeEbEEZZNS1_14partition_implILS8_3ELb0ES6_jNS0_17counting_iteratorIjlEEPS9_SE_NS0_5tupleIJPjSE_EEENSF_IJSE_SE_EEES9_SG_JZNS1_25segmented_radix_sort_implINS0_14default_configELb1EPKaPaPKlPlN2at6native12_GLOBAL__N_18offset_tEEE10hipError_tPvRmT1_PNSt15iterator_traitsISY_E10value_typeET2_T3_PNSZ_IS14_E10value_typeET4_jRbjT5_S1A_jjP12ihipStream_tbEUljE_EEESV_SW_SX_S14_S18_S1A_T6_T7_T9_mT8_S1C_bDpT10_ENKUlT_T0_E_clISt17integral_constantIbLb1EES1O_IbLb0EEEEDaS1K_S1L_EUlS1K_E_NS1_11comp_targetILNS1_3genE2ELNS1_11target_archE906ELNS1_3gpuE6ELNS1_3repE0EEENS1_30default_config_static_selectorELNS0_4arch9wavefront6targetE0EEEvSY_,"axG",@progbits,_ZN7rocprim17ROCPRIM_400000_NS6detail17trampoline_kernelINS0_13select_configILj256ELj13ELNS0_17block_load_methodE3ELS4_3ELS4_3ELNS0_20block_scan_algorithmE0ELj4294967295EEENS1_25partition_config_selectorILNS1_17partition_subalgoE3EjNS0_10empty_typeEbEEZZNS1_14partition_implILS8_3ELb0ES6_jNS0_17counting_iteratorIjlEEPS9_SE_NS0_5tupleIJPjSE_EEENSF_IJSE_SE_EEES9_SG_JZNS1_25segmented_radix_sort_implINS0_14default_configELb1EPKaPaPKlPlN2at6native12_GLOBAL__N_18offset_tEEE10hipError_tPvRmT1_PNSt15iterator_traitsISY_E10value_typeET2_T3_PNSZ_IS14_E10value_typeET4_jRbjT5_S1A_jjP12ihipStream_tbEUljE_EEESV_SW_SX_S14_S18_S1A_T6_T7_T9_mT8_S1C_bDpT10_ENKUlT_T0_E_clISt17integral_constantIbLb1EES1O_IbLb0EEEEDaS1K_S1L_EUlS1K_E_NS1_11comp_targetILNS1_3genE2ELNS1_11target_archE906ELNS1_3gpuE6ELNS1_3repE0EEENS1_30default_config_static_selectorELNS0_4arch9wavefront6targetE0EEEvSY_,comdat
	.globl	_ZN7rocprim17ROCPRIM_400000_NS6detail17trampoline_kernelINS0_13select_configILj256ELj13ELNS0_17block_load_methodE3ELS4_3ELS4_3ELNS0_20block_scan_algorithmE0ELj4294967295EEENS1_25partition_config_selectorILNS1_17partition_subalgoE3EjNS0_10empty_typeEbEEZZNS1_14partition_implILS8_3ELb0ES6_jNS0_17counting_iteratorIjlEEPS9_SE_NS0_5tupleIJPjSE_EEENSF_IJSE_SE_EEES9_SG_JZNS1_25segmented_radix_sort_implINS0_14default_configELb1EPKaPaPKlPlN2at6native12_GLOBAL__N_18offset_tEEE10hipError_tPvRmT1_PNSt15iterator_traitsISY_E10value_typeET2_T3_PNSZ_IS14_E10value_typeET4_jRbjT5_S1A_jjP12ihipStream_tbEUljE_EEESV_SW_SX_S14_S18_S1A_T6_T7_T9_mT8_S1C_bDpT10_ENKUlT_T0_E_clISt17integral_constantIbLb1EES1O_IbLb0EEEEDaS1K_S1L_EUlS1K_E_NS1_11comp_targetILNS1_3genE2ELNS1_11target_archE906ELNS1_3gpuE6ELNS1_3repE0EEENS1_30default_config_static_selectorELNS0_4arch9wavefront6targetE0EEEvSY_ ; -- Begin function _ZN7rocprim17ROCPRIM_400000_NS6detail17trampoline_kernelINS0_13select_configILj256ELj13ELNS0_17block_load_methodE3ELS4_3ELS4_3ELNS0_20block_scan_algorithmE0ELj4294967295EEENS1_25partition_config_selectorILNS1_17partition_subalgoE3EjNS0_10empty_typeEbEEZZNS1_14partition_implILS8_3ELb0ES6_jNS0_17counting_iteratorIjlEEPS9_SE_NS0_5tupleIJPjSE_EEENSF_IJSE_SE_EEES9_SG_JZNS1_25segmented_radix_sort_implINS0_14default_configELb1EPKaPaPKlPlN2at6native12_GLOBAL__N_18offset_tEEE10hipError_tPvRmT1_PNSt15iterator_traitsISY_E10value_typeET2_T3_PNSZ_IS14_E10value_typeET4_jRbjT5_S1A_jjP12ihipStream_tbEUljE_EEESV_SW_SX_S14_S18_S1A_T6_T7_T9_mT8_S1C_bDpT10_ENKUlT_T0_E_clISt17integral_constantIbLb1EES1O_IbLb0EEEEDaS1K_S1L_EUlS1K_E_NS1_11comp_targetILNS1_3genE2ELNS1_11target_archE906ELNS1_3gpuE6ELNS1_3repE0EEENS1_30default_config_static_selectorELNS0_4arch9wavefront6targetE0EEEvSY_
	.p2align	8
	.type	_ZN7rocprim17ROCPRIM_400000_NS6detail17trampoline_kernelINS0_13select_configILj256ELj13ELNS0_17block_load_methodE3ELS4_3ELS4_3ELNS0_20block_scan_algorithmE0ELj4294967295EEENS1_25partition_config_selectorILNS1_17partition_subalgoE3EjNS0_10empty_typeEbEEZZNS1_14partition_implILS8_3ELb0ES6_jNS0_17counting_iteratorIjlEEPS9_SE_NS0_5tupleIJPjSE_EEENSF_IJSE_SE_EEES9_SG_JZNS1_25segmented_radix_sort_implINS0_14default_configELb1EPKaPaPKlPlN2at6native12_GLOBAL__N_18offset_tEEE10hipError_tPvRmT1_PNSt15iterator_traitsISY_E10value_typeET2_T3_PNSZ_IS14_E10value_typeET4_jRbjT5_S1A_jjP12ihipStream_tbEUljE_EEESV_SW_SX_S14_S18_S1A_T6_T7_T9_mT8_S1C_bDpT10_ENKUlT_T0_E_clISt17integral_constantIbLb1EES1O_IbLb0EEEEDaS1K_S1L_EUlS1K_E_NS1_11comp_targetILNS1_3genE2ELNS1_11target_archE906ELNS1_3gpuE6ELNS1_3repE0EEENS1_30default_config_static_selectorELNS0_4arch9wavefront6targetE0EEEvSY_,@function
_ZN7rocprim17ROCPRIM_400000_NS6detail17trampoline_kernelINS0_13select_configILj256ELj13ELNS0_17block_load_methodE3ELS4_3ELS4_3ELNS0_20block_scan_algorithmE0ELj4294967295EEENS1_25partition_config_selectorILNS1_17partition_subalgoE3EjNS0_10empty_typeEbEEZZNS1_14partition_implILS8_3ELb0ES6_jNS0_17counting_iteratorIjlEEPS9_SE_NS0_5tupleIJPjSE_EEENSF_IJSE_SE_EEES9_SG_JZNS1_25segmented_radix_sort_implINS0_14default_configELb1EPKaPaPKlPlN2at6native12_GLOBAL__N_18offset_tEEE10hipError_tPvRmT1_PNSt15iterator_traitsISY_E10value_typeET2_T3_PNSZ_IS14_E10value_typeET4_jRbjT5_S1A_jjP12ihipStream_tbEUljE_EEESV_SW_SX_S14_S18_S1A_T6_T7_T9_mT8_S1C_bDpT10_ENKUlT_T0_E_clISt17integral_constantIbLb1EES1O_IbLb0EEEEDaS1K_S1L_EUlS1K_E_NS1_11comp_targetILNS1_3genE2ELNS1_11target_archE906ELNS1_3gpuE6ELNS1_3repE0EEENS1_30default_config_static_selectorELNS0_4arch9wavefront6targetE0EEEvSY_: ; @_ZN7rocprim17ROCPRIM_400000_NS6detail17trampoline_kernelINS0_13select_configILj256ELj13ELNS0_17block_load_methodE3ELS4_3ELS4_3ELNS0_20block_scan_algorithmE0ELj4294967295EEENS1_25partition_config_selectorILNS1_17partition_subalgoE3EjNS0_10empty_typeEbEEZZNS1_14partition_implILS8_3ELb0ES6_jNS0_17counting_iteratorIjlEEPS9_SE_NS0_5tupleIJPjSE_EEENSF_IJSE_SE_EEES9_SG_JZNS1_25segmented_radix_sort_implINS0_14default_configELb1EPKaPaPKlPlN2at6native12_GLOBAL__N_18offset_tEEE10hipError_tPvRmT1_PNSt15iterator_traitsISY_E10value_typeET2_T3_PNSZ_IS14_E10value_typeET4_jRbjT5_S1A_jjP12ihipStream_tbEUljE_EEESV_SW_SX_S14_S18_S1A_T6_T7_T9_mT8_S1C_bDpT10_ENKUlT_T0_E_clISt17integral_constantIbLb1EES1O_IbLb0EEEEDaS1K_S1L_EUlS1K_E_NS1_11comp_targetILNS1_3genE2ELNS1_11target_archE906ELNS1_3gpuE6ELNS1_3repE0EEENS1_30default_config_static_selectorELNS0_4arch9wavefront6targetE0EEEvSY_
; %bb.0:
	.section	.rodata,"a",@progbits
	.p2align	6, 0x0
	.amdhsa_kernel _ZN7rocprim17ROCPRIM_400000_NS6detail17trampoline_kernelINS0_13select_configILj256ELj13ELNS0_17block_load_methodE3ELS4_3ELS4_3ELNS0_20block_scan_algorithmE0ELj4294967295EEENS1_25partition_config_selectorILNS1_17partition_subalgoE3EjNS0_10empty_typeEbEEZZNS1_14partition_implILS8_3ELb0ES6_jNS0_17counting_iteratorIjlEEPS9_SE_NS0_5tupleIJPjSE_EEENSF_IJSE_SE_EEES9_SG_JZNS1_25segmented_radix_sort_implINS0_14default_configELb1EPKaPaPKlPlN2at6native12_GLOBAL__N_18offset_tEEE10hipError_tPvRmT1_PNSt15iterator_traitsISY_E10value_typeET2_T3_PNSZ_IS14_E10value_typeET4_jRbjT5_S1A_jjP12ihipStream_tbEUljE_EEESV_SW_SX_S14_S18_S1A_T6_T7_T9_mT8_S1C_bDpT10_ENKUlT_T0_E_clISt17integral_constantIbLb1EES1O_IbLb0EEEEDaS1K_S1L_EUlS1K_E_NS1_11comp_targetILNS1_3genE2ELNS1_11target_archE906ELNS1_3gpuE6ELNS1_3repE0EEENS1_30default_config_static_selectorELNS0_4arch9wavefront6targetE0EEEvSY_
		.amdhsa_group_segment_fixed_size 0
		.amdhsa_private_segment_fixed_size 0
		.amdhsa_kernarg_size 144
		.amdhsa_user_sgpr_count 2
		.amdhsa_user_sgpr_dispatch_ptr 0
		.amdhsa_user_sgpr_queue_ptr 0
		.amdhsa_user_sgpr_kernarg_segment_ptr 1
		.amdhsa_user_sgpr_dispatch_id 0
		.amdhsa_user_sgpr_private_segment_size 0
		.amdhsa_wavefront_size32 1
		.amdhsa_uses_dynamic_stack 0
		.amdhsa_enable_private_segment 0
		.amdhsa_system_sgpr_workgroup_id_x 1
		.amdhsa_system_sgpr_workgroup_id_y 0
		.amdhsa_system_sgpr_workgroup_id_z 0
		.amdhsa_system_sgpr_workgroup_info 0
		.amdhsa_system_vgpr_workitem_id 0
		.amdhsa_next_free_vgpr 1
		.amdhsa_next_free_sgpr 1
		.amdhsa_reserve_vcc 0
		.amdhsa_float_round_mode_32 0
		.amdhsa_float_round_mode_16_64 0
		.amdhsa_float_denorm_mode_32 3
		.amdhsa_float_denorm_mode_16_64 3
		.amdhsa_fp16_overflow 0
		.amdhsa_workgroup_processor_mode 1
		.amdhsa_memory_ordered 1
		.amdhsa_forward_progress 1
		.amdhsa_inst_pref_size 0
		.amdhsa_round_robin_scheduling 0
		.amdhsa_exception_fp_ieee_invalid_op 0
		.amdhsa_exception_fp_denorm_src 0
		.amdhsa_exception_fp_ieee_div_zero 0
		.amdhsa_exception_fp_ieee_overflow 0
		.amdhsa_exception_fp_ieee_underflow 0
		.amdhsa_exception_fp_ieee_inexact 0
		.amdhsa_exception_int_div_zero 0
	.end_amdhsa_kernel
	.section	.text._ZN7rocprim17ROCPRIM_400000_NS6detail17trampoline_kernelINS0_13select_configILj256ELj13ELNS0_17block_load_methodE3ELS4_3ELS4_3ELNS0_20block_scan_algorithmE0ELj4294967295EEENS1_25partition_config_selectorILNS1_17partition_subalgoE3EjNS0_10empty_typeEbEEZZNS1_14partition_implILS8_3ELb0ES6_jNS0_17counting_iteratorIjlEEPS9_SE_NS0_5tupleIJPjSE_EEENSF_IJSE_SE_EEES9_SG_JZNS1_25segmented_radix_sort_implINS0_14default_configELb1EPKaPaPKlPlN2at6native12_GLOBAL__N_18offset_tEEE10hipError_tPvRmT1_PNSt15iterator_traitsISY_E10value_typeET2_T3_PNSZ_IS14_E10value_typeET4_jRbjT5_S1A_jjP12ihipStream_tbEUljE_EEESV_SW_SX_S14_S18_S1A_T6_T7_T9_mT8_S1C_bDpT10_ENKUlT_T0_E_clISt17integral_constantIbLb1EES1O_IbLb0EEEEDaS1K_S1L_EUlS1K_E_NS1_11comp_targetILNS1_3genE2ELNS1_11target_archE906ELNS1_3gpuE6ELNS1_3repE0EEENS1_30default_config_static_selectorELNS0_4arch9wavefront6targetE0EEEvSY_,"axG",@progbits,_ZN7rocprim17ROCPRIM_400000_NS6detail17trampoline_kernelINS0_13select_configILj256ELj13ELNS0_17block_load_methodE3ELS4_3ELS4_3ELNS0_20block_scan_algorithmE0ELj4294967295EEENS1_25partition_config_selectorILNS1_17partition_subalgoE3EjNS0_10empty_typeEbEEZZNS1_14partition_implILS8_3ELb0ES6_jNS0_17counting_iteratorIjlEEPS9_SE_NS0_5tupleIJPjSE_EEENSF_IJSE_SE_EEES9_SG_JZNS1_25segmented_radix_sort_implINS0_14default_configELb1EPKaPaPKlPlN2at6native12_GLOBAL__N_18offset_tEEE10hipError_tPvRmT1_PNSt15iterator_traitsISY_E10value_typeET2_T3_PNSZ_IS14_E10value_typeET4_jRbjT5_S1A_jjP12ihipStream_tbEUljE_EEESV_SW_SX_S14_S18_S1A_T6_T7_T9_mT8_S1C_bDpT10_ENKUlT_T0_E_clISt17integral_constantIbLb1EES1O_IbLb0EEEEDaS1K_S1L_EUlS1K_E_NS1_11comp_targetILNS1_3genE2ELNS1_11target_archE906ELNS1_3gpuE6ELNS1_3repE0EEENS1_30default_config_static_selectorELNS0_4arch9wavefront6targetE0EEEvSY_,comdat
.Lfunc_end278:
	.size	_ZN7rocprim17ROCPRIM_400000_NS6detail17trampoline_kernelINS0_13select_configILj256ELj13ELNS0_17block_load_methodE3ELS4_3ELS4_3ELNS0_20block_scan_algorithmE0ELj4294967295EEENS1_25partition_config_selectorILNS1_17partition_subalgoE3EjNS0_10empty_typeEbEEZZNS1_14partition_implILS8_3ELb0ES6_jNS0_17counting_iteratorIjlEEPS9_SE_NS0_5tupleIJPjSE_EEENSF_IJSE_SE_EEES9_SG_JZNS1_25segmented_radix_sort_implINS0_14default_configELb1EPKaPaPKlPlN2at6native12_GLOBAL__N_18offset_tEEE10hipError_tPvRmT1_PNSt15iterator_traitsISY_E10value_typeET2_T3_PNSZ_IS14_E10value_typeET4_jRbjT5_S1A_jjP12ihipStream_tbEUljE_EEESV_SW_SX_S14_S18_S1A_T6_T7_T9_mT8_S1C_bDpT10_ENKUlT_T0_E_clISt17integral_constantIbLb1EES1O_IbLb0EEEEDaS1K_S1L_EUlS1K_E_NS1_11comp_targetILNS1_3genE2ELNS1_11target_archE906ELNS1_3gpuE6ELNS1_3repE0EEENS1_30default_config_static_selectorELNS0_4arch9wavefront6targetE0EEEvSY_, .Lfunc_end278-_ZN7rocprim17ROCPRIM_400000_NS6detail17trampoline_kernelINS0_13select_configILj256ELj13ELNS0_17block_load_methodE3ELS4_3ELS4_3ELNS0_20block_scan_algorithmE0ELj4294967295EEENS1_25partition_config_selectorILNS1_17partition_subalgoE3EjNS0_10empty_typeEbEEZZNS1_14partition_implILS8_3ELb0ES6_jNS0_17counting_iteratorIjlEEPS9_SE_NS0_5tupleIJPjSE_EEENSF_IJSE_SE_EEES9_SG_JZNS1_25segmented_radix_sort_implINS0_14default_configELb1EPKaPaPKlPlN2at6native12_GLOBAL__N_18offset_tEEE10hipError_tPvRmT1_PNSt15iterator_traitsISY_E10value_typeET2_T3_PNSZ_IS14_E10value_typeET4_jRbjT5_S1A_jjP12ihipStream_tbEUljE_EEESV_SW_SX_S14_S18_S1A_T6_T7_T9_mT8_S1C_bDpT10_ENKUlT_T0_E_clISt17integral_constantIbLb1EES1O_IbLb0EEEEDaS1K_S1L_EUlS1K_E_NS1_11comp_targetILNS1_3genE2ELNS1_11target_archE906ELNS1_3gpuE6ELNS1_3repE0EEENS1_30default_config_static_selectorELNS0_4arch9wavefront6targetE0EEEvSY_
                                        ; -- End function
	.set _ZN7rocprim17ROCPRIM_400000_NS6detail17trampoline_kernelINS0_13select_configILj256ELj13ELNS0_17block_load_methodE3ELS4_3ELS4_3ELNS0_20block_scan_algorithmE0ELj4294967295EEENS1_25partition_config_selectorILNS1_17partition_subalgoE3EjNS0_10empty_typeEbEEZZNS1_14partition_implILS8_3ELb0ES6_jNS0_17counting_iteratorIjlEEPS9_SE_NS0_5tupleIJPjSE_EEENSF_IJSE_SE_EEES9_SG_JZNS1_25segmented_radix_sort_implINS0_14default_configELb1EPKaPaPKlPlN2at6native12_GLOBAL__N_18offset_tEEE10hipError_tPvRmT1_PNSt15iterator_traitsISY_E10value_typeET2_T3_PNSZ_IS14_E10value_typeET4_jRbjT5_S1A_jjP12ihipStream_tbEUljE_EEESV_SW_SX_S14_S18_S1A_T6_T7_T9_mT8_S1C_bDpT10_ENKUlT_T0_E_clISt17integral_constantIbLb1EES1O_IbLb0EEEEDaS1K_S1L_EUlS1K_E_NS1_11comp_targetILNS1_3genE2ELNS1_11target_archE906ELNS1_3gpuE6ELNS1_3repE0EEENS1_30default_config_static_selectorELNS0_4arch9wavefront6targetE0EEEvSY_.num_vgpr, 0
	.set _ZN7rocprim17ROCPRIM_400000_NS6detail17trampoline_kernelINS0_13select_configILj256ELj13ELNS0_17block_load_methodE3ELS4_3ELS4_3ELNS0_20block_scan_algorithmE0ELj4294967295EEENS1_25partition_config_selectorILNS1_17partition_subalgoE3EjNS0_10empty_typeEbEEZZNS1_14partition_implILS8_3ELb0ES6_jNS0_17counting_iteratorIjlEEPS9_SE_NS0_5tupleIJPjSE_EEENSF_IJSE_SE_EEES9_SG_JZNS1_25segmented_radix_sort_implINS0_14default_configELb1EPKaPaPKlPlN2at6native12_GLOBAL__N_18offset_tEEE10hipError_tPvRmT1_PNSt15iterator_traitsISY_E10value_typeET2_T3_PNSZ_IS14_E10value_typeET4_jRbjT5_S1A_jjP12ihipStream_tbEUljE_EEESV_SW_SX_S14_S18_S1A_T6_T7_T9_mT8_S1C_bDpT10_ENKUlT_T0_E_clISt17integral_constantIbLb1EES1O_IbLb0EEEEDaS1K_S1L_EUlS1K_E_NS1_11comp_targetILNS1_3genE2ELNS1_11target_archE906ELNS1_3gpuE6ELNS1_3repE0EEENS1_30default_config_static_selectorELNS0_4arch9wavefront6targetE0EEEvSY_.num_agpr, 0
	.set _ZN7rocprim17ROCPRIM_400000_NS6detail17trampoline_kernelINS0_13select_configILj256ELj13ELNS0_17block_load_methodE3ELS4_3ELS4_3ELNS0_20block_scan_algorithmE0ELj4294967295EEENS1_25partition_config_selectorILNS1_17partition_subalgoE3EjNS0_10empty_typeEbEEZZNS1_14partition_implILS8_3ELb0ES6_jNS0_17counting_iteratorIjlEEPS9_SE_NS0_5tupleIJPjSE_EEENSF_IJSE_SE_EEES9_SG_JZNS1_25segmented_radix_sort_implINS0_14default_configELb1EPKaPaPKlPlN2at6native12_GLOBAL__N_18offset_tEEE10hipError_tPvRmT1_PNSt15iterator_traitsISY_E10value_typeET2_T3_PNSZ_IS14_E10value_typeET4_jRbjT5_S1A_jjP12ihipStream_tbEUljE_EEESV_SW_SX_S14_S18_S1A_T6_T7_T9_mT8_S1C_bDpT10_ENKUlT_T0_E_clISt17integral_constantIbLb1EES1O_IbLb0EEEEDaS1K_S1L_EUlS1K_E_NS1_11comp_targetILNS1_3genE2ELNS1_11target_archE906ELNS1_3gpuE6ELNS1_3repE0EEENS1_30default_config_static_selectorELNS0_4arch9wavefront6targetE0EEEvSY_.numbered_sgpr, 0
	.set _ZN7rocprim17ROCPRIM_400000_NS6detail17trampoline_kernelINS0_13select_configILj256ELj13ELNS0_17block_load_methodE3ELS4_3ELS4_3ELNS0_20block_scan_algorithmE0ELj4294967295EEENS1_25partition_config_selectorILNS1_17partition_subalgoE3EjNS0_10empty_typeEbEEZZNS1_14partition_implILS8_3ELb0ES6_jNS0_17counting_iteratorIjlEEPS9_SE_NS0_5tupleIJPjSE_EEENSF_IJSE_SE_EEES9_SG_JZNS1_25segmented_radix_sort_implINS0_14default_configELb1EPKaPaPKlPlN2at6native12_GLOBAL__N_18offset_tEEE10hipError_tPvRmT1_PNSt15iterator_traitsISY_E10value_typeET2_T3_PNSZ_IS14_E10value_typeET4_jRbjT5_S1A_jjP12ihipStream_tbEUljE_EEESV_SW_SX_S14_S18_S1A_T6_T7_T9_mT8_S1C_bDpT10_ENKUlT_T0_E_clISt17integral_constantIbLb1EES1O_IbLb0EEEEDaS1K_S1L_EUlS1K_E_NS1_11comp_targetILNS1_3genE2ELNS1_11target_archE906ELNS1_3gpuE6ELNS1_3repE0EEENS1_30default_config_static_selectorELNS0_4arch9wavefront6targetE0EEEvSY_.num_named_barrier, 0
	.set _ZN7rocprim17ROCPRIM_400000_NS6detail17trampoline_kernelINS0_13select_configILj256ELj13ELNS0_17block_load_methodE3ELS4_3ELS4_3ELNS0_20block_scan_algorithmE0ELj4294967295EEENS1_25partition_config_selectorILNS1_17partition_subalgoE3EjNS0_10empty_typeEbEEZZNS1_14partition_implILS8_3ELb0ES6_jNS0_17counting_iteratorIjlEEPS9_SE_NS0_5tupleIJPjSE_EEENSF_IJSE_SE_EEES9_SG_JZNS1_25segmented_radix_sort_implINS0_14default_configELb1EPKaPaPKlPlN2at6native12_GLOBAL__N_18offset_tEEE10hipError_tPvRmT1_PNSt15iterator_traitsISY_E10value_typeET2_T3_PNSZ_IS14_E10value_typeET4_jRbjT5_S1A_jjP12ihipStream_tbEUljE_EEESV_SW_SX_S14_S18_S1A_T6_T7_T9_mT8_S1C_bDpT10_ENKUlT_T0_E_clISt17integral_constantIbLb1EES1O_IbLb0EEEEDaS1K_S1L_EUlS1K_E_NS1_11comp_targetILNS1_3genE2ELNS1_11target_archE906ELNS1_3gpuE6ELNS1_3repE0EEENS1_30default_config_static_selectorELNS0_4arch9wavefront6targetE0EEEvSY_.private_seg_size, 0
	.set _ZN7rocprim17ROCPRIM_400000_NS6detail17trampoline_kernelINS0_13select_configILj256ELj13ELNS0_17block_load_methodE3ELS4_3ELS4_3ELNS0_20block_scan_algorithmE0ELj4294967295EEENS1_25partition_config_selectorILNS1_17partition_subalgoE3EjNS0_10empty_typeEbEEZZNS1_14partition_implILS8_3ELb0ES6_jNS0_17counting_iteratorIjlEEPS9_SE_NS0_5tupleIJPjSE_EEENSF_IJSE_SE_EEES9_SG_JZNS1_25segmented_radix_sort_implINS0_14default_configELb1EPKaPaPKlPlN2at6native12_GLOBAL__N_18offset_tEEE10hipError_tPvRmT1_PNSt15iterator_traitsISY_E10value_typeET2_T3_PNSZ_IS14_E10value_typeET4_jRbjT5_S1A_jjP12ihipStream_tbEUljE_EEESV_SW_SX_S14_S18_S1A_T6_T7_T9_mT8_S1C_bDpT10_ENKUlT_T0_E_clISt17integral_constantIbLb1EES1O_IbLb0EEEEDaS1K_S1L_EUlS1K_E_NS1_11comp_targetILNS1_3genE2ELNS1_11target_archE906ELNS1_3gpuE6ELNS1_3repE0EEENS1_30default_config_static_selectorELNS0_4arch9wavefront6targetE0EEEvSY_.uses_vcc, 0
	.set _ZN7rocprim17ROCPRIM_400000_NS6detail17trampoline_kernelINS0_13select_configILj256ELj13ELNS0_17block_load_methodE3ELS4_3ELS4_3ELNS0_20block_scan_algorithmE0ELj4294967295EEENS1_25partition_config_selectorILNS1_17partition_subalgoE3EjNS0_10empty_typeEbEEZZNS1_14partition_implILS8_3ELb0ES6_jNS0_17counting_iteratorIjlEEPS9_SE_NS0_5tupleIJPjSE_EEENSF_IJSE_SE_EEES9_SG_JZNS1_25segmented_radix_sort_implINS0_14default_configELb1EPKaPaPKlPlN2at6native12_GLOBAL__N_18offset_tEEE10hipError_tPvRmT1_PNSt15iterator_traitsISY_E10value_typeET2_T3_PNSZ_IS14_E10value_typeET4_jRbjT5_S1A_jjP12ihipStream_tbEUljE_EEESV_SW_SX_S14_S18_S1A_T6_T7_T9_mT8_S1C_bDpT10_ENKUlT_T0_E_clISt17integral_constantIbLb1EES1O_IbLb0EEEEDaS1K_S1L_EUlS1K_E_NS1_11comp_targetILNS1_3genE2ELNS1_11target_archE906ELNS1_3gpuE6ELNS1_3repE0EEENS1_30default_config_static_selectorELNS0_4arch9wavefront6targetE0EEEvSY_.uses_flat_scratch, 0
	.set _ZN7rocprim17ROCPRIM_400000_NS6detail17trampoline_kernelINS0_13select_configILj256ELj13ELNS0_17block_load_methodE3ELS4_3ELS4_3ELNS0_20block_scan_algorithmE0ELj4294967295EEENS1_25partition_config_selectorILNS1_17partition_subalgoE3EjNS0_10empty_typeEbEEZZNS1_14partition_implILS8_3ELb0ES6_jNS0_17counting_iteratorIjlEEPS9_SE_NS0_5tupleIJPjSE_EEENSF_IJSE_SE_EEES9_SG_JZNS1_25segmented_radix_sort_implINS0_14default_configELb1EPKaPaPKlPlN2at6native12_GLOBAL__N_18offset_tEEE10hipError_tPvRmT1_PNSt15iterator_traitsISY_E10value_typeET2_T3_PNSZ_IS14_E10value_typeET4_jRbjT5_S1A_jjP12ihipStream_tbEUljE_EEESV_SW_SX_S14_S18_S1A_T6_T7_T9_mT8_S1C_bDpT10_ENKUlT_T0_E_clISt17integral_constantIbLb1EES1O_IbLb0EEEEDaS1K_S1L_EUlS1K_E_NS1_11comp_targetILNS1_3genE2ELNS1_11target_archE906ELNS1_3gpuE6ELNS1_3repE0EEENS1_30default_config_static_selectorELNS0_4arch9wavefront6targetE0EEEvSY_.has_dyn_sized_stack, 0
	.set _ZN7rocprim17ROCPRIM_400000_NS6detail17trampoline_kernelINS0_13select_configILj256ELj13ELNS0_17block_load_methodE3ELS4_3ELS4_3ELNS0_20block_scan_algorithmE0ELj4294967295EEENS1_25partition_config_selectorILNS1_17partition_subalgoE3EjNS0_10empty_typeEbEEZZNS1_14partition_implILS8_3ELb0ES6_jNS0_17counting_iteratorIjlEEPS9_SE_NS0_5tupleIJPjSE_EEENSF_IJSE_SE_EEES9_SG_JZNS1_25segmented_radix_sort_implINS0_14default_configELb1EPKaPaPKlPlN2at6native12_GLOBAL__N_18offset_tEEE10hipError_tPvRmT1_PNSt15iterator_traitsISY_E10value_typeET2_T3_PNSZ_IS14_E10value_typeET4_jRbjT5_S1A_jjP12ihipStream_tbEUljE_EEESV_SW_SX_S14_S18_S1A_T6_T7_T9_mT8_S1C_bDpT10_ENKUlT_T0_E_clISt17integral_constantIbLb1EES1O_IbLb0EEEEDaS1K_S1L_EUlS1K_E_NS1_11comp_targetILNS1_3genE2ELNS1_11target_archE906ELNS1_3gpuE6ELNS1_3repE0EEENS1_30default_config_static_selectorELNS0_4arch9wavefront6targetE0EEEvSY_.has_recursion, 0
	.set _ZN7rocprim17ROCPRIM_400000_NS6detail17trampoline_kernelINS0_13select_configILj256ELj13ELNS0_17block_load_methodE3ELS4_3ELS4_3ELNS0_20block_scan_algorithmE0ELj4294967295EEENS1_25partition_config_selectorILNS1_17partition_subalgoE3EjNS0_10empty_typeEbEEZZNS1_14partition_implILS8_3ELb0ES6_jNS0_17counting_iteratorIjlEEPS9_SE_NS0_5tupleIJPjSE_EEENSF_IJSE_SE_EEES9_SG_JZNS1_25segmented_radix_sort_implINS0_14default_configELb1EPKaPaPKlPlN2at6native12_GLOBAL__N_18offset_tEEE10hipError_tPvRmT1_PNSt15iterator_traitsISY_E10value_typeET2_T3_PNSZ_IS14_E10value_typeET4_jRbjT5_S1A_jjP12ihipStream_tbEUljE_EEESV_SW_SX_S14_S18_S1A_T6_T7_T9_mT8_S1C_bDpT10_ENKUlT_T0_E_clISt17integral_constantIbLb1EES1O_IbLb0EEEEDaS1K_S1L_EUlS1K_E_NS1_11comp_targetILNS1_3genE2ELNS1_11target_archE906ELNS1_3gpuE6ELNS1_3repE0EEENS1_30default_config_static_selectorELNS0_4arch9wavefront6targetE0EEEvSY_.has_indirect_call, 0
	.section	.AMDGPU.csdata,"",@progbits
; Kernel info:
; codeLenInByte = 0
; TotalNumSgprs: 0
; NumVgprs: 0
; ScratchSize: 0
; MemoryBound: 0
; FloatMode: 240
; IeeeMode: 1
; LDSByteSize: 0 bytes/workgroup (compile time only)
; SGPRBlocks: 0
; VGPRBlocks: 0
; NumSGPRsForWavesPerEU: 1
; NumVGPRsForWavesPerEU: 1
; Occupancy: 16
; WaveLimiterHint : 0
; COMPUTE_PGM_RSRC2:SCRATCH_EN: 0
; COMPUTE_PGM_RSRC2:USER_SGPR: 2
; COMPUTE_PGM_RSRC2:TRAP_HANDLER: 0
; COMPUTE_PGM_RSRC2:TGID_X_EN: 1
; COMPUTE_PGM_RSRC2:TGID_Y_EN: 0
; COMPUTE_PGM_RSRC2:TGID_Z_EN: 0
; COMPUTE_PGM_RSRC2:TIDIG_COMP_CNT: 0
	.section	.text._ZN7rocprim17ROCPRIM_400000_NS6detail17trampoline_kernelINS0_13select_configILj256ELj13ELNS0_17block_load_methodE3ELS4_3ELS4_3ELNS0_20block_scan_algorithmE0ELj4294967295EEENS1_25partition_config_selectorILNS1_17partition_subalgoE3EjNS0_10empty_typeEbEEZZNS1_14partition_implILS8_3ELb0ES6_jNS0_17counting_iteratorIjlEEPS9_SE_NS0_5tupleIJPjSE_EEENSF_IJSE_SE_EEES9_SG_JZNS1_25segmented_radix_sort_implINS0_14default_configELb1EPKaPaPKlPlN2at6native12_GLOBAL__N_18offset_tEEE10hipError_tPvRmT1_PNSt15iterator_traitsISY_E10value_typeET2_T3_PNSZ_IS14_E10value_typeET4_jRbjT5_S1A_jjP12ihipStream_tbEUljE_EEESV_SW_SX_S14_S18_S1A_T6_T7_T9_mT8_S1C_bDpT10_ENKUlT_T0_E_clISt17integral_constantIbLb1EES1O_IbLb0EEEEDaS1K_S1L_EUlS1K_E_NS1_11comp_targetILNS1_3genE10ELNS1_11target_archE1200ELNS1_3gpuE4ELNS1_3repE0EEENS1_30default_config_static_selectorELNS0_4arch9wavefront6targetE0EEEvSY_,"axG",@progbits,_ZN7rocprim17ROCPRIM_400000_NS6detail17trampoline_kernelINS0_13select_configILj256ELj13ELNS0_17block_load_methodE3ELS4_3ELS4_3ELNS0_20block_scan_algorithmE0ELj4294967295EEENS1_25partition_config_selectorILNS1_17partition_subalgoE3EjNS0_10empty_typeEbEEZZNS1_14partition_implILS8_3ELb0ES6_jNS0_17counting_iteratorIjlEEPS9_SE_NS0_5tupleIJPjSE_EEENSF_IJSE_SE_EEES9_SG_JZNS1_25segmented_radix_sort_implINS0_14default_configELb1EPKaPaPKlPlN2at6native12_GLOBAL__N_18offset_tEEE10hipError_tPvRmT1_PNSt15iterator_traitsISY_E10value_typeET2_T3_PNSZ_IS14_E10value_typeET4_jRbjT5_S1A_jjP12ihipStream_tbEUljE_EEESV_SW_SX_S14_S18_S1A_T6_T7_T9_mT8_S1C_bDpT10_ENKUlT_T0_E_clISt17integral_constantIbLb1EES1O_IbLb0EEEEDaS1K_S1L_EUlS1K_E_NS1_11comp_targetILNS1_3genE10ELNS1_11target_archE1200ELNS1_3gpuE4ELNS1_3repE0EEENS1_30default_config_static_selectorELNS0_4arch9wavefront6targetE0EEEvSY_,comdat
	.globl	_ZN7rocprim17ROCPRIM_400000_NS6detail17trampoline_kernelINS0_13select_configILj256ELj13ELNS0_17block_load_methodE3ELS4_3ELS4_3ELNS0_20block_scan_algorithmE0ELj4294967295EEENS1_25partition_config_selectorILNS1_17partition_subalgoE3EjNS0_10empty_typeEbEEZZNS1_14partition_implILS8_3ELb0ES6_jNS0_17counting_iteratorIjlEEPS9_SE_NS0_5tupleIJPjSE_EEENSF_IJSE_SE_EEES9_SG_JZNS1_25segmented_radix_sort_implINS0_14default_configELb1EPKaPaPKlPlN2at6native12_GLOBAL__N_18offset_tEEE10hipError_tPvRmT1_PNSt15iterator_traitsISY_E10value_typeET2_T3_PNSZ_IS14_E10value_typeET4_jRbjT5_S1A_jjP12ihipStream_tbEUljE_EEESV_SW_SX_S14_S18_S1A_T6_T7_T9_mT8_S1C_bDpT10_ENKUlT_T0_E_clISt17integral_constantIbLb1EES1O_IbLb0EEEEDaS1K_S1L_EUlS1K_E_NS1_11comp_targetILNS1_3genE10ELNS1_11target_archE1200ELNS1_3gpuE4ELNS1_3repE0EEENS1_30default_config_static_selectorELNS0_4arch9wavefront6targetE0EEEvSY_ ; -- Begin function _ZN7rocprim17ROCPRIM_400000_NS6detail17trampoline_kernelINS0_13select_configILj256ELj13ELNS0_17block_load_methodE3ELS4_3ELS4_3ELNS0_20block_scan_algorithmE0ELj4294967295EEENS1_25partition_config_selectorILNS1_17partition_subalgoE3EjNS0_10empty_typeEbEEZZNS1_14partition_implILS8_3ELb0ES6_jNS0_17counting_iteratorIjlEEPS9_SE_NS0_5tupleIJPjSE_EEENSF_IJSE_SE_EEES9_SG_JZNS1_25segmented_radix_sort_implINS0_14default_configELb1EPKaPaPKlPlN2at6native12_GLOBAL__N_18offset_tEEE10hipError_tPvRmT1_PNSt15iterator_traitsISY_E10value_typeET2_T3_PNSZ_IS14_E10value_typeET4_jRbjT5_S1A_jjP12ihipStream_tbEUljE_EEESV_SW_SX_S14_S18_S1A_T6_T7_T9_mT8_S1C_bDpT10_ENKUlT_T0_E_clISt17integral_constantIbLb1EES1O_IbLb0EEEEDaS1K_S1L_EUlS1K_E_NS1_11comp_targetILNS1_3genE10ELNS1_11target_archE1200ELNS1_3gpuE4ELNS1_3repE0EEENS1_30default_config_static_selectorELNS0_4arch9wavefront6targetE0EEEvSY_
	.p2align	8
	.type	_ZN7rocprim17ROCPRIM_400000_NS6detail17trampoline_kernelINS0_13select_configILj256ELj13ELNS0_17block_load_methodE3ELS4_3ELS4_3ELNS0_20block_scan_algorithmE0ELj4294967295EEENS1_25partition_config_selectorILNS1_17partition_subalgoE3EjNS0_10empty_typeEbEEZZNS1_14partition_implILS8_3ELb0ES6_jNS0_17counting_iteratorIjlEEPS9_SE_NS0_5tupleIJPjSE_EEENSF_IJSE_SE_EEES9_SG_JZNS1_25segmented_radix_sort_implINS0_14default_configELb1EPKaPaPKlPlN2at6native12_GLOBAL__N_18offset_tEEE10hipError_tPvRmT1_PNSt15iterator_traitsISY_E10value_typeET2_T3_PNSZ_IS14_E10value_typeET4_jRbjT5_S1A_jjP12ihipStream_tbEUljE_EEESV_SW_SX_S14_S18_S1A_T6_T7_T9_mT8_S1C_bDpT10_ENKUlT_T0_E_clISt17integral_constantIbLb1EES1O_IbLb0EEEEDaS1K_S1L_EUlS1K_E_NS1_11comp_targetILNS1_3genE10ELNS1_11target_archE1200ELNS1_3gpuE4ELNS1_3repE0EEENS1_30default_config_static_selectorELNS0_4arch9wavefront6targetE0EEEvSY_,@function
_ZN7rocprim17ROCPRIM_400000_NS6detail17trampoline_kernelINS0_13select_configILj256ELj13ELNS0_17block_load_methodE3ELS4_3ELS4_3ELNS0_20block_scan_algorithmE0ELj4294967295EEENS1_25partition_config_selectorILNS1_17partition_subalgoE3EjNS0_10empty_typeEbEEZZNS1_14partition_implILS8_3ELb0ES6_jNS0_17counting_iteratorIjlEEPS9_SE_NS0_5tupleIJPjSE_EEENSF_IJSE_SE_EEES9_SG_JZNS1_25segmented_radix_sort_implINS0_14default_configELb1EPKaPaPKlPlN2at6native12_GLOBAL__N_18offset_tEEE10hipError_tPvRmT1_PNSt15iterator_traitsISY_E10value_typeET2_T3_PNSZ_IS14_E10value_typeET4_jRbjT5_S1A_jjP12ihipStream_tbEUljE_EEESV_SW_SX_S14_S18_S1A_T6_T7_T9_mT8_S1C_bDpT10_ENKUlT_T0_E_clISt17integral_constantIbLb1EES1O_IbLb0EEEEDaS1K_S1L_EUlS1K_E_NS1_11comp_targetILNS1_3genE10ELNS1_11target_archE1200ELNS1_3gpuE4ELNS1_3repE0EEENS1_30default_config_static_selectorELNS0_4arch9wavefront6targetE0EEEvSY_: ; @_ZN7rocprim17ROCPRIM_400000_NS6detail17trampoline_kernelINS0_13select_configILj256ELj13ELNS0_17block_load_methodE3ELS4_3ELS4_3ELNS0_20block_scan_algorithmE0ELj4294967295EEENS1_25partition_config_selectorILNS1_17partition_subalgoE3EjNS0_10empty_typeEbEEZZNS1_14partition_implILS8_3ELb0ES6_jNS0_17counting_iteratorIjlEEPS9_SE_NS0_5tupleIJPjSE_EEENSF_IJSE_SE_EEES9_SG_JZNS1_25segmented_radix_sort_implINS0_14default_configELb1EPKaPaPKlPlN2at6native12_GLOBAL__N_18offset_tEEE10hipError_tPvRmT1_PNSt15iterator_traitsISY_E10value_typeET2_T3_PNSZ_IS14_E10value_typeET4_jRbjT5_S1A_jjP12ihipStream_tbEUljE_EEESV_SW_SX_S14_S18_S1A_T6_T7_T9_mT8_S1C_bDpT10_ENKUlT_T0_E_clISt17integral_constantIbLb1EES1O_IbLb0EEEEDaS1K_S1L_EUlS1K_E_NS1_11comp_targetILNS1_3genE10ELNS1_11target_archE1200ELNS1_3gpuE4ELNS1_3repE0EEENS1_30default_config_static_selectorELNS0_4arch9wavefront6targetE0EEEvSY_
; %bb.0:
	s_endpgm
	.section	.rodata,"a",@progbits
	.p2align	6, 0x0
	.amdhsa_kernel _ZN7rocprim17ROCPRIM_400000_NS6detail17trampoline_kernelINS0_13select_configILj256ELj13ELNS0_17block_load_methodE3ELS4_3ELS4_3ELNS0_20block_scan_algorithmE0ELj4294967295EEENS1_25partition_config_selectorILNS1_17partition_subalgoE3EjNS0_10empty_typeEbEEZZNS1_14partition_implILS8_3ELb0ES6_jNS0_17counting_iteratorIjlEEPS9_SE_NS0_5tupleIJPjSE_EEENSF_IJSE_SE_EEES9_SG_JZNS1_25segmented_radix_sort_implINS0_14default_configELb1EPKaPaPKlPlN2at6native12_GLOBAL__N_18offset_tEEE10hipError_tPvRmT1_PNSt15iterator_traitsISY_E10value_typeET2_T3_PNSZ_IS14_E10value_typeET4_jRbjT5_S1A_jjP12ihipStream_tbEUljE_EEESV_SW_SX_S14_S18_S1A_T6_T7_T9_mT8_S1C_bDpT10_ENKUlT_T0_E_clISt17integral_constantIbLb1EES1O_IbLb0EEEEDaS1K_S1L_EUlS1K_E_NS1_11comp_targetILNS1_3genE10ELNS1_11target_archE1200ELNS1_3gpuE4ELNS1_3repE0EEENS1_30default_config_static_selectorELNS0_4arch9wavefront6targetE0EEEvSY_
		.amdhsa_group_segment_fixed_size 0
		.amdhsa_private_segment_fixed_size 0
		.amdhsa_kernarg_size 144
		.amdhsa_user_sgpr_count 2
		.amdhsa_user_sgpr_dispatch_ptr 0
		.amdhsa_user_sgpr_queue_ptr 0
		.amdhsa_user_sgpr_kernarg_segment_ptr 1
		.amdhsa_user_sgpr_dispatch_id 0
		.amdhsa_user_sgpr_private_segment_size 0
		.amdhsa_wavefront_size32 1
		.amdhsa_uses_dynamic_stack 0
		.amdhsa_enable_private_segment 0
		.amdhsa_system_sgpr_workgroup_id_x 1
		.amdhsa_system_sgpr_workgroup_id_y 0
		.amdhsa_system_sgpr_workgroup_id_z 0
		.amdhsa_system_sgpr_workgroup_info 0
		.amdhsa_system_vgpr_workitem_id 0
		.amdhsa_next_free_vgpr 1
		.amdhsa_next_free_sgpr 1
		.amdhsa_reserve_vcc 0
		.amdhsa_float_round_mode_32 0
		.amdhsa_float_round_mode_16_64 0
		.amdhsa_float_denorm_mode_32 3
		.amdhsa_float_denorm_mode_16_64 3
		.amdhsa_fp16_overflow 0
		.amdhsa_workgroup_processor_mode 1
		.amdhsa_memory_ordered 1
		.amdhsa_forward_progress 1
		.amdhsa_inst_pref_size 1
		.amdhsa_round_robin_scheduling 0
		.amdhsa_exception_fp_ieee_invalid_op 0
		.amdhsa_exception_fp_denorm_src 0
		.amdhsa_exception_fp_ieee_div_zero 0
		.amdhsa_exception_fp_ieee_overflow 0
		.amdhsa_exception_fp_ieee_underflow 0
		.amdhsa_exception_fp_ieee_inexact 0
		.amdhsa_exception_int_div_zero 0
	.end_amdhsa_kernel
	.section	.text._ZN7rocprim17ROCPRIM_400000_NS6detail17trampoline_kernelINS0_13select_configILj256ELj13ELNS0_17block_load_methodE3ELS4_3ELS4_3ELNS0_20block_scan_algorithmE0ELj4294967295EEENS1_25partition_config_selectorILNS1_17partition_subalgoE3EjNS0_10empty_typeEbEEZZNS1_14partition_implILS8_3ELb0ES6_jNS0_17counting_iteratorIjlEEPS9_SE_NS0_5tupleIJPjSE_EEENSF_IJSE_SE_EEES9_SG_JZNS1_25segmented_radix_sort_implINS0_14default_configELb1EPKaPaPKlPlN2at6native12_GLOBAL__N_18offset_tEEE10hipError_tPvRmT1_PNSt15iterator_traitsISY_E10value_typeET2_T3_PNSZ_IS14_E10value_typeET4_jRbjT5_S1A_jjP12ihipStream_tbEUljE_EEESV_SW_SX_S14_S18_S1A_T6_T7_T9_mT8_S1C_bDpT10_ENKUlT_T0_E_clISt17integral_constantIbLb1EES1O_IbLb0EEEEDaS1K_S1L_EUlS1K_E_NS1_11comp_targetILNS1_3genE10ELNS1_11target_archE1200ELNS1_3gpuE4ELNS1_3repE0EEENS1_30default_config_static_selectorELNS0_4arch9wavefront6targetE0EEEvSY_,"axG",@progbits,_ZN7rocprim17ROCPRIM_400000_NS6detail17trampoline_kernelINS0_13select_configILj256ELj13ELNS0_17block_load_methodE3ELS4_3ELS4_3ELNS0_20block_scan_algorithmE0ELj4294967295EEENS1_25partition_config_selectorILNS1_17partition_subalgoE3EjNS0_10empty_typeEbEEZZNS1_14partition_implILS8_3ELb0ES6_jNS0_17counting_iteratorIjlEEPS9_SE_NS0_5tupleIJPjSE_EEENSF_IJSE_SE_EEES9_SG_JZNS1_25segmented_radix_sort_implINS0_14default_configELb1EPKaPaPKlPlN2at6native12_GLOBAL__N_18offset_tEEE10hipError_tPvRmT1_PNSt15iterator_traitsISY_E10value_typeET2_T3_PNSZ_IS14_E10value_typeET4_jRbjT5_S1A_jjP12ihipStream_tbEUljE_EEESV_SW_SX_S14_S18_S1A_T6_T7_T9_mT8_S1C_bDpT10_ENKUlT_T0_E_clISt17integral_constantIbLb1EES1O_IbLb0EEEEDaS1K_S1L_EUlS1K_E_NS1_11comp_targetILNS1_3genE10ELNS1_11target_archE1200ELNS1_3gpuE4ELNS1_3repE0EEENS1_30default_config_static_selectorELNS0_4arch9wavefront6targetE0EEEvSY_,comdat
.Lfunc_end279:
	.size	_ZN7rocprim17ROCPRIM_400000_NS6detail17trampoline_kernelINS0_13select_configILj256ELj13ELNS0_17block_load_methodE3ELS4_3ELS4_3ELNS0_20block_scan_algorithmE0ELj4294967295EEENS1_25partition_config_selectorILNS1_17partition_subalgoE3EjNS0_10empty_typeEbEEZZNS1_14partition_implILS8_3ELb0ES6_jNS0_17counting_iteratorIjlEEPS9_SE_NS0_5tupleIJPjSE_EEENSF_IJSE_SE_EEES9_SG_JZNS1_25segmented_radix_sort_implINS0_14default_configELb1EPKaPaPKlPlN2at6native12_GLOBAL__N_18offset_tEEE10hipError_tPvRmT1_PNSt15iterator_traitsISY_E10value_typeET2_T3_PNSZ_IS14_E10value_typeET4_jRbjT5_S1A_jjP12ihipStream_tbEUljE_EEESV_SW_SX_S14_S18_S1A_T6_T7_T9_mT8_S1C_bDpT10_ENKUlT_T0_E_clISt17integral_constantIbLb1EES1O_IbLb0EEEEDaS1K_S1L_EUlS1K_E_NS1_11comp_targetILNS1_3genE10ELNS1_11target_archE1200ELNS1_3gpuE4ELNS1_3repE0EEENS1_30default_config_static_selectorELNS0_4arch9wavefront6targetE0EEEvSY_, .Lfunc_end279-_ZN7rocprim17ROCPRIM_400000_NS6detail17trampoline_kernelINS0_13select_configILj256ELj13ELNS0_17block_load_methodE3ELS4_3ELS4_3ELNS0_20block_scan_algorithmE0ELj4294967295EEENS1_25partition_config_selectorILNS1_17partition_subalgoE3EjNS0_10empty_typeEbEEZZNS1_14partition_implILS8_3ELb0ES6_jNS0_17counting_iteratorIjlEEPS9_SE_NS0_5tupleIJPjSE_EEENSF_IJSE_SE_EEES9_SG_JZNS1_25segmented_radix_sort_implINS0_14default_configELb1EPKaPaPKlPlN2at6native12_GLOBAL__N_18offset_tEEE10hipError_tPvRmT1_PNSt15iterator_traitsISY_E10value_typeET2_T3_PNSZ_IS14_E10value_typeET4_jRbjT5_S1A_jjP12ihipStream_tbEUljE_EEESV_SW_SX_S14_S18_S1A_T6_T7_T9_mT8_S1C_bDpT10_ENKUlT_T0_E_clISt17integral_constantIbLb1EES1O_IbLb0EEEEDaS1K_S1L_EUlS1K_E_NS1_11comp_targetILNS1_3genE10ELNS1_11target_archE1200ELNS1_3gpuE4ELNS1_3repE0EEENS1_30default_config_static_selectorELNS0_4arch9wavefront6targetE0EEEvSY_
                                        ; -- End function
	.set _ZN7rocprim17ROCPRIM_400000_NS6detail17trampoline_kernelINS0_13select_configILj256ELj13ELNS0_17block_load_methodE3ELS4_3ELS4_3ELNS0_20block_scan_algorithmE0ELj4294967295EEENS1_25partition_config_selectorILNS1_17partition_subalgoE3EjNS0_10empty_typeEbEEZZNS1_14partition_implILS8_3ELb0ES6_jNS0_17counting_iteratorIjlEEPS9_SE_NS0_5tupleIJPjSE_EEENSF_IJSE_SE_EEES9_SG_JZNS1_25segmented_radix_sort_implINS0_14default_configELb1EPKaPaPKlPlN2at6native12_GLOBAL__N_18offset_tEEE10hipError_tPvRmT1_PNSt15iterator_traitsISY_E10value_typeET2_T3_PNSZ_IS14_E10value_typeET4_jRbjT5_S1A_jjP12ihipStream_tbEUljE_EEESV_SW_SX_S14_S18_S1A_T6_T7_T9_mT8_S1C_bDpT10_ENKUlT_T0_E_clISt17integral_constantIbLb1EES1O_IbLb0EEEEDaS1K_S1L_EUlS1K_E_NS1_11comp_targetILNS1_3genE10ELNS1_11target_archE1200ELNS1_3gpuE4ELNS1_3repE0EEENS1_30default_config_static_selectorELNS0_4arch9wavefront6targetE0EEEvSY_.num_vgpr, 0
	.set _ZN7rocprim17ROCPRIM_400000_NS6detail17trampoline_kernelINS0_13select_configILj256ELj13ELNS0_17block_load_methodE3ELS4_3ELS4_3ELNS0_20block_scan_algorithmE0ELj4294967295EEENS1_25partition_config_selectorILNS1_17partition_subalgoE3EjNS0_10empty_typeEbEEZZNS1_14partition_implILS8_3ELb0ES6_jNS0_17counting_iteratorIjlEEPS9_SE_NS0_5tupleIJPjSE_EEENSF_IJSE_SE_EEES9_SG_JZNS1_25segmented_radix_sort_implINS0_14default_configELb1EPKaPaPKlPlN2at6native12_GLOBAL__N_18offset_tEEE10hipError_tPvRmT1_PNSt15iterator_traitsISY_E10value_typeET2_T3_PNSZ_IS14_E10value_typeET4_jRbjT5_S1A_jjP12ihipStream_tbEUljE_EEESV_SW_SX_S14_S18_S1A_T6_T7_T9_mT8_S1C_bDpT10_ENKUlT_T0_E_clISt17integral_constantIbLb1EES1O_IbLb0EEEEDaS1K_S1L_EUlS1K_E_NS1_11comp_targetILNS1_3genE10ELNS1_11target_archE1200ELNS1_3gpuE4ELNS1_3repE0EEENS1_30default_config_static_selectorELNS0_4arch9wavefront6targetE0EEEvSY_.num_agpr, 0
	.set _ZN7rocprim17ROCPRIM_400000_NS6detail17trampoline_kernelINS0_13select_configILj256ELj13ELNS0_17block_load_methodE3ELS4_3ELS4_3ELNS0_20block_scan_algorithmE0ELj4294967295EEENS1_25partition_config_selectorILNS1_17partition_subalgoE3EjNS0_10empty_typeEbEEZZNS1_14partition_implILS8_3ELb0ES6_jNS0_17counting_iteratorIjlEEPS9_SE_NS0_5tupleIJPjSE_EEENSF_IJSE_SE_EEES9_SG_JZNS1_25segmented_radix_sort_implINS0_14default_configELb1EPKaPaPKlPlN2at6native12_GLOBAL__N_18offset_tEEE10hipError_tPvRmT1_PNSt15iterator_traitsISY_E10value_typeET2_T3_PNSZ_IS14_E10value_typeET4_jRbjT5_S1A_jjP12ihipStream_tbEUljE_EEESV_SW_SX_S14_S18_S1A_T6_T7_T9_mT8_S1C_bDpT10_ENKUlT_T0_E_clISt17integral_constantIbLb1EES1O_IbLb0EEEEDaS1K_S1L_EUlS1K_E_NS1_11comp_targetILNS1_3genE10ELNS1_11target_archE1200ELNS1_3gpuE4ELNS1_3repE0EEENS1_30default_config_static_selectorELNS0_4arch9wavefront6targetE0EEEvSY_.numbered_sgpr, 0
	.set _ZN7rocprim17ROCPRIM_400000_NS6detail17trampoline_kernelINS0_13select_configILj256ELj13ELNS0_17block_load_methodE3ELS4_3ELS4_3ELNS0_20block_scan_algorithmE0ELj4294967295EEENS1_25partition_config_selectorILNS1_17partition_subalgoE3EjNS0_10empty_typeEbEEZZNS1_14partition_implILS8_3ELb0ES6_jNS0_17counting_iteratorIjlEEPS9_SE_NS0_5tupleIJPjSE_EEENSF_IJSE_SE_EEES9_SG_JZNS1_25segmented_radix_sort_implINS0_14default_configELb1EPKaPaPKlPlN2at6native12_GLOBAL__N_18offset_tEEE10hipError_tPvRmT1_PNSt15iterator_traitsISY_E10value_typeET2_T3_PNSZ_IS14_E10value_typeET4_jRbjT5_S1A_jjP12ihipStream_tbEUljE_EEESV_SW_SX_S14_S18_S1A_T6_T7_T9_mT8_S1C_bDpT10_ENKUlT_T0_E_clISt17integral_constantIbLb1EES1O_IbLb0EEEEDaS1K_S1L_EUlS1K_E_NS1_11comp_targetILNS1_3genE10ELNS1_11target_archE1200ELNS1_3gpuE4ELNS1_3repE0EEENS1_30default_config_static_selectorELNS0_4arch9wavefront6targetE0EEEvSY_.num_named_barrier, 0
	.set _ZN7rocprim17ROCPRIM_400000_NS6detail17trampoline_kernelINS0_13select_configILj256ELj13ELNS0_17block_load_methodE3ELS4_3ELS4_3ELNS0_20block_scan_algorithmE0ELj4294967295EEENS1_25partition_config_selectorILNS1_17partition_subalgoE3EjNS0_10empty_typeEbEEZZNS1_14partition_implILS8_3ELb0ES6_jNS0_17counting_iteratorIjlEEPS9_SE_NS0_5tupleIJPjSE_EEENSF_IJSE_SE_EEES9_SG_JZNS1_25segmented_radix_sort_implINS0_14default_configELb1EPKaPaPKlPlN2at6native12_GLOBAL__N_18offset_tEEE10hipError_tPvRmT1_PNSt15iterator_traitsISY_E10value_typeET2_T3_PNSZ_IS14_E10value_typeET4_jRbjT5_S1A_jjP12ihipStream_tbEUljE_EEESV_SW_SX_S14_S18_S1A_T6_T7_T9_mT8_S1C_bDpT10_ENKUlT_T0_E_clISt17integral_constantIbLb1EES1O_IbLb0EEEEDaS1K_S1L_EUlS1K_E_NS1_11comp_targetILNS1_3genE10ELNS1_11target_archE1200ELNS1_3gpuE4ELNS1_3repE0EEENS1_30default_config_static_selectorELNS0_4arch9wavefront6targetE0EEEvSY_.private_seg_size, 0
	.set _ZN7rocprim17ROCPRIM_400000_NS6detail17trampoline_kernelINS0_13select_configILj256ELj13ELNS0_17block_load_methodE3ELS4_3ELS4_3ELNS0_20block_scan_algorithmE0ELj4294967295EEENS1_25partition_config_selectorILNS1_17partition_subalgoE3EjNS0_10empty_typeEbEEZZNS1_14partition_implILS8_3ELb0ES6_jNS0_17counting_iteratorIjlEEPS9_SE_NS0_5tupleIJPjSE_EEENSF_IJSE_SE_EEES9_SG_JZNS1_25segmented_radix_sort_implINS0_14default_configELb1EPKaPaPKlPlN2at6native12_GLOBAL__N_18offset_tEEE10hipError_tPvRmT1_PNSt15iterator_traitsISY_E10value_typeET2_T3_PNSZ_IS14_E10value_typeET4_jRbjT5_S1A_jjP12ihipStream_tbEUljE_EEESV_SW_SX_S14_S18_S1A_T6_T7_T9_mT8_S1C_bDpT10_ENKUlT_T0_E_clISt17integral_constantIbLb1EES1O_IbLb0EEEEDaS1K_S1L_EUlS1K_E_NS1_11comp_targetILNS1_3genE10ELNS1_11target_archE1200ELNS1_3gpuE4ELNS1_3repE0EEENS1_30default_config_static_selectorELNS0_4arch9wavefront6targetE0EEEvSY_.uses_vcc, 0
	.set _ZN7rocprim17ROCPRIM_400000_NS6detail17trampoline_kernelINS0_13select_configILj256ELj13ELNS0_17block_load_methodE3ELS4_3ELS4_3ELNS0_20block_scan_algorithmE0ELj4294967295EEENS1_25partition_config_selectorILNS1_17partition_subalgoE3EjNS0_10empty_typeEbEEZZNS1_14partition_implILS8_3ELb0ES6_jNS0_17counting_iteratorIjlEEPS9_SE_NS0_5tupleIJPjSE_EEENSF_IJSE_SE_EEES9_SG_JZNS1_25segmented_radix_sort_implINS0_14default_configELb1EPKaPaPKlPlN2at6native12_GLOBAL__N_18offset_tEEE10hipError_tPvRmT1_PNSt15iterator_traitsISY_E10value_typeET2_T3_PNSZ_IS14_E10value_typeET4_jRbjT5_S1A_jjP12ihipStream_tbEUljE_EEESV_SW_SX_S14_S18_S1A_T6_T7_T9_mT8_S1C_bDpT10_ENKUlT_T0_E_clISt17integral_constantIbLb1EES1O_IbLb0EEEEDaS1K_S1L_EUlS1K_E_NS1_11comp_targetILNS1_3genE10ELNS1_11target_archE1200ELNS1_3gpuE4ELNS1_3repE0EEENS1_30default_config_static_selectorELNS0_4arch9wavefront6targetE0EEEvSY_.uses_flat_scratch, 0
	.set _ZN7rocprim17ROCPRIM_400000_NS6detail17trampoline_kernelINS0_13select_configILj256ELj13ELNS0_17block_load_methodE3ELS4_3ELS4_3ELNS0_20block_scan_algorithmE0ELj4294967295EEENS1_25partition_config_selectorILNS1_17partition_subalgoE3EjNS0_10empty_typeEbEEZZNS1_14partition_implILS8_3ELb0ES6_jNS0_17counting_iteratorIjlEEPS9_SE_NS0_5tupleIJPjSE_EEENSF_IJSE_SE_EEES9_SG_JZNS1_25segmented_radix_sort_implINS0_14default_configELb1EPKaPaPKlPlN2at6native12_GLOBAL__N_18offset_tEEE10hipError_tPvRmT1_PNSt15iterator_traitsISY_E10value_typeET2_T3_PNSZ_IS14_E10value_typeET4_jRbjT5_S1A_jjP12ihipStream_tbEUljE_EEESV_SW_SX_S14_S18_S1A_T6_T7_T9_mT8_S1C_bDpT10_ENKUlT_T0_E_clISt17integral_constantIbLb1EES1O_IbLb0EEEEDaS1K_S1L_EUlS1K_E_NS1_11comp_targetILNS1_3genE10ELNS1_11target_archE1200ELNS1_3gpuE4ELNS1_3repE0EEENS1_30default_config_static_selectorELNS0_4arch9wavefront6targetE0EEEvSY_.has_dyn_sized_stack, 0
	.set _ZN7rocprim17ROCPRIM_400000_NS6detail17trampoline_kernelINS0_13select_configILj256ELj13ELNS0_17block_load_methodE3ELS4_3ELS4_3ELNS0_20block_scan_algorithmE0ELj4294967295EEENS1_25partition_config_selectorILNS1_17partition_subalgoE3EjNS0_10empty_typeEbEEZZNS1_14partition_implILS8_3ELb0ES6_jNS0_17counting_iteratorIjlEEPS9_SE_NS0_5tupleIJPjSE_EEENSF_IJSE_SE_EEES9_SG_JZNS1_25segmented_radix_sort_implINS0_14default_configELb1EPKaPaPKlPlN2at6native12_GLOBAL__N_18offset_tEEE10hipError_tPvRmT1_PNSt15iterator_traitsISY_E10value_typeET2_T3_PNSZ_IS14_E10value_typeET4_jRbjT5_S1A_jjP12ihipStream_tbEUljE_EEESV_SW_SX_S14_S18_S1A_T6_T7_T9_mT8_S1C_bDpT10_ENKUlT_T0_E_clISt17integral_constantIbLb1EES1O_IbLb0EEEEDaS1K_S1L_EUlS1K_E_NS1_11comp_targetILNS1_3genE10ELNS1_11target_archE1200ELNS1_3gpuE4ELNS1_3repE0EEENS1_30default_config_static_selectorELNS0_4arch9wavefront6targetE0EEEvSY_.has_recursion, 0
	.set _ZN7rocprim17ROCPRIM_400000_NS6detail17trampoline_kernelINS0_13select_configILj256ELj13ELNS0_17block_load_methodE3ELS4_3ELS4_3ELNS0_20block_scan_algorithmE0ELj4294967295EEENS1_25partition_config_selectorILNS1_17partition_subalgoE3EjNS0_10empty_typeEbEEZZNS1_14partition_implILS8_3ELb0ES6_jNS0_17counting_iteratorIjlEEPS9_SE_NS0_5tupleIJPjSE_EEENSF_IJSE_SE_EEES9_SG_JZNS1_25segmented_radix_sort_implINS0_14default_configELb1EPKaPaPKlPlN2at6native12_GLOBAL__N_18offset_tEEE10hipError_tPvRmT1_PNSt15iterator_traitsISY_E10value_typeET2_T3_PNSZ_IS14_E10value_typeET4_jRbjT5_S1A_jjP12ihipStream_tbEUljE_EEESV_SW_SX_S14_S18_S1A_T6_T7_T9_mT8_S1C_bDpT10_ENKUlT_T0_E_clISt17integral_constantIbLb1EES1O_IbLb0EEEEDaS1K_S1L_EUlS1K_E_NS1_11comp_targetILNS1_3genE10ELNS1_11target_archE1200ELNS1_3gpuE4ELNS1_3repE0EEENS1_30default_config_static_selectorELNS0_4arch9wavefront6targetE0EEEvSY_.has_indirect_call, 0
	.section	.AMDGPU.csdata,"",@progbits
; Kernel info:
; codeLenInByte = 4
; TotalNumSgprs: 0
; NumVgprs: 0
; ScratchSize: 0
; MemoryBound: 0
; FloatMode: 240
; IeeeMode: 1
; LDSByteSize: 0 bytes/workgroup (compile time only)
; SGPRBlocks: 0
; VGPRBlocks: 0
; NumSGPRsForWavesPerEU: 1
; NumVGPRsForWavesPerEU: 1
; Occupancy: 16
; WaveLimiterHint : 0
; COMPUTE_PGM_RSRC2:SCRATCH_EN: 0
; COMPUTE_PGM_RSRC2:USER_SGPR: 2
; COMPUTE_PGM_RSRC2:TRAP_HANDLER: 0
; COMPUTE_PGM_RSRC2:TGID_X_EN: 1
; COMPUTE_PGM_RSRC2:TGID_Y_EN: 0
; COMPUTE_PGM_RSRC2:TGID_Z_EN: 0
; COMPUTE_PGM_RSRC2:TIDIG_COMP_CNT: 0
	.section	.text._ZN7rocprim17ROCPRIM_400000_NS6detail17trampoline_kernelINS0_13select_configILj256ELj13ELNS0_17block_load_methodE3ELS4_3ELS4_3ELNS0_20block_scan_algorithmE0ELj4294967295EEENS1_25partition_config_selectorILNS1_17partition_subalgoE3EjNS0_10empty_typeEbEEZZNS1_14partition_implILS8_3ELb0ES6_jNS0_17counting_iteratorIjlEEPS9_SE_NS0_5tupleIJPjSE_EEENSF_IJSE_SE_EEES9_SG_JZNS1_25segmented_radix_sort_implINS0_14default_configELb1EPKaPaPKlPlN2at6native12_GLOBAL__N_18offset_tEEE10hipError_tPvRmT1_PNSt15iterator_traitsISY_E10value_typeET2_T3_PNSZ_IS14_E10value_typeET4_jRbjT5_S1A_jjP12ihipStream_tbEUljE_EEESV_SW_SX_S14_S18_S1A_T6_T7_T9_mT8_S1C_bDpT10_ENKUlT_T0_E_clISt17integral_constantIbLb1EES1O_IbLb0EEEEDaS1K_S1L_EUlS1K_E_NS1_11comp_targetILNS1_3genE9ELNS1_11target_archE1100ELNS1_3gpuE3ELNS1_3repE0EEENS1_30default_config_static_selectorELNS0_4arch9wavefront6targetE0EEEvSY_,"axG",@progbits,_ZN7rocprim17ROCPRIM_400000_NS6detail17trampoline_kernelINS0_13select_configILj256ELj13ELNS0_17block_load_methodE3ELS4_3ELS4_3ELNS0_20block_scan_algorithmE0ELj4294967295EEENS1_25partition_config_selectorILNS1_17partition_subalgoE3EjNS0_10empty_typeEbEEZZNS1_14partition_implILS8_3ELb0ES6_jNS0_17counting_iteratorIjlEEPS9_SE_NS0_5tupleIJPjSE_EEENSF_IJSE_SE_EEES9_SG_JZNS1_25segmented_radix_sort_implINS0_14default_configELb1EPKaPaPKlPlN2at6native12_GLOBAL__N_18offset_tEEE10hipError_tPvRmT1_PNSt15iterator_traitsISY_E10value_typeET2_T3_PNSZ_IS14_E10value_typeET4_jRbjT5_S1A_jjP12ihipStream_tbEUljE_EEESV_SW_SX_S14_S18_S1A_T6_T7_T9_mT8_S1C_bDpT10_ENKUlT_T0_E_clISt17integral_constantIbLb1EES1O_IbLb0EEEEDaS1K_S1L_EUlS1K_E_NS1_11comp_targetILNS1_3genE9ELNS1_11target_archE1100ELNS1_3gpuE3ELNS1_3repE0EEENS1_30default_config_static_selectorELNS0_4arch9wavefront6targetE0EEEvSY_,comdat
	.globl	_ZN7rocprim17ROCPRIM_400000_NS6detail17trampoline_kernelINS0_13select_configILj256ELj13ELNS0_17block_load_methodE3ELS4_3ELS4_3ELNS0_20block_scan_algorithmE0ELj4294967295EEENS1_25partition_config_selectorILNS1_17partition_subalgoE3EjNS0_10empty_typeEbEEZZNS1_14partition_implILS8_3ELb0ES6_jNS0_17counting_iteratorIjlEEPS9_SE_NS0_5tupleIJPjSE_EEENSF_IJSE_SE_EEES9_SG_JZNS1_25segmented_radix_sort_implINS0_14default_configELb1EPKaPaPKlPlN2at6native12_GLOBAL__N_18offset_tEEE10hipError_tPvRmT1_PNSt15iterator_traitsISY_E10value_typeET2_T3_PNSZ_IS14_E10value_typeET4_jRbjT5_S1A_jjP12ihipStream_tbEUljE_EEESV_SW_SX_S14_S18_S1A_T6_T7_T9_mT8_S1C_bDpT10_ENKUlT_T0_E_clISt17integral_constantIbLb1EES1O_IbLb0EEEEDaS1K_S1L_EUlS1K_E_NS1_11comp_targetILNS1_3genE9ELNS1_11target_archE1100ELNS1_3gpuE3ELNS1_3repE0EEENS1_30default_config_static_selectorELNS0_4arch9wavefront6targetE0EEEvSY_ ; -- Begin function _ZN7rocprim17ROCPRIM_400000_NS6detail17trampoline_kernelINS0_13select_configILj256ELj13ELNS0_17block_load_methodE3ELS4_3ELS4_3ELNS0_20block_scan_algorithmE0ELj4294967295EEENS1_25partition_config_selectorILNS1_17partition_subalgoE3EjNS0_10empty_typeEbEEZZNS1_14partition_implILS8_3ELb0ES6_jNS0_17counting_iteratorIjlEEPS9_SE_NS0_5tupleIJPjSE_EEENSF_IJSE_SE_EEES9_SG_JZNS1_25segmented_radix_sort_implINS0_14default_configELb1EPKaPaPKlPlN2at6native12_GLOBAL__N_18offset_tEEE10hipError_tPvRmT1_PNSt15iterator_traitsISY_E10value_typeET2_T3_PNSZ_IS14_E10value_typeET4_jRbjT5_S1A_jjP12ihipStream_tbEUljE_EEESV_SW_SX_S14_S18_S1A_T6_T7_T9_mT8_S1C_bDpT10_ENKUlT_T0_E_clISt17integral_constantIbLb1EES1O_IbLb0EEEEDaS1K_S1L_EUlS1K_E_NS1_11comp_targetILNS1_3genE9ELNS1_11target_archE1100ELNS1_3gpuE3ELNS1_3repE0EEENS1_30default_config_static_selectorELNS0_4arch9wavefront6targetE0EEEvSY_
	.p2align	8
	.type	_ZN7rocprim17ROCPRIM_400000_NS6detail17trampoline_kernelINS0_13select_configILj256ELj13ELNS0_17block_load_methodE3ELS4_3ELS4_3ELNS0_20block_scan_algorithmE0ELj4294967295EEENS1_25partition_config_selectorILNS1_17partition_subalgoE3EjNS0_10empty_typeEbEEZZNS1_14partition_implILS8_3ELb0ES6_jNS0_17counting_iteratorIjlEEPS9_SE_NS0_5tupleIJPjSE_EEENSF_IJSE_SE_EEES9_SG_JZNS1_25segmented_radix_sort_implINS0_14default_configELb1EPKaPaPKlPlN2at6native12_GLOBAL__N_18offset_tEEE10hipError_tPvRmT1_PNSt15iterator_traitsISY_E10value_typeET2_T3_PNSZ_IS14_E10value_typeET4_jRbjT5_S1A_jjP12ihipStream_tbEUljE_EEESV_SW_SX_S14_S18_S1A_T6_T7_T9_mT8_S1C_bDpT10_ENKUlT_T0_E_clISt17integral_constantIbLb1EES1O_IbLb0EEEEDaS1K_S1L_EUlS1K_E_NS1_11comp_targetILNS1_3genE9ELNS1_11target_archE1100ELNS1_3gpuE3ELNS1_3repE0EEENS1_30default_config_static_selectorELNS0_4arch9wavefront6targetE0EEEvSY_,@function
_ZN7rocprim17ROCPRIM_400000_NS6detail17trampoline_kernelINS0_13select_configILj256ELj13ELNS0_17block_load_methodE3ELS4_3ELS4_3ELNS0_20block_scan_algorithmE0ELj4294967295EEENS1_25partition_config_selectorILNS1_17partition_subalgoE3EjNS0_10empty_typeEbEEZZNS1_14partition_implILS8_3ELb0ES6_jNS0_17counting_iteratorIjlEEPS9_SE_NS0_5tupleIJPjSE_EEENSF_IJSE_SE_EEES9_SG_JZNS1_25segmented_radix_sort_implINS0_14default_configELb1EPKaPaPKlPlN2at6native12_GLOBAL__N_18offset_tEEE10hipError_tPvRmT1_PNSt15iterator_traitsISY_E10value_typeET2_T3_PNSZ_IS14_E10value_typeET4_jRbjT5_S1A_jjP12ihipStream_tbEUljE_EEESV_SW_SX_S14_S18_S1A_T6_T7_T9_mT8_S1C_bDpT10_ENKUlT_T0_E_clISt17integral_constantIbLb1EES1O_IbLb0EEEEDaS1K_S1L_EUlS1K_E_NS1_11comp_targetILNS1_3genE9ELNS1_11target_archE1100ELNS1_3gpuE3ELNS1_3repE0EEENS1_30default_config_static_selectorELNS0_4arch9wavefront6targetE0EEEvSY_: ; @_ZN7rocprim17ROCPRIM_400000_NS6detail17trampoline_kernelINS0_13select_configILj256ELj13ELNS0_17block_load_methodE3ELS4_3ELS4_3ELNS0_20block_scan_algorithmE0ELj4294967295EEENS1_25partition_config_selectorILNS1_17partition_subalgoE3EjNS0_10empty_typeEbEEZZNS1_14partition_implILS8_3ELb0ES6_jNS0_17counting_iteratorIjlEEPS9_SE_NS0_5tupleIJPjSE_EEENSF_IJSE_SE_EEES9_SG_JZNS1_25segmented_radix_sort_implINS0_14default_configELb1EPKaPaPKlPlN2at6native12_GLOBAL__N_18offset_tEEE10hipError_tPvRmT1_PNSt15iterator_traitsISY_E10value_typeET2_T3_PNSZ_IS14_E10value_typeET4_jRbjT5_S1A_jjP12ihipStream_tbEUljE_EEESV_SW_SX_S14_S18_S1A_T6_T7_T9_mT8_S1C_bDpT10_ENKUlT_T0_E_clISt17integral_constantIbLb1EES1O_IbLb0EEEEDaS1K_S1L_EUlS1K_E_NS1_11comp_targetILNS1_3genE9ELNS1_11target_archE1100ELNS1_3gpuE3ELNS1_3repE0EEENS1_30default_config_static_selectorELNS0_4arch9wavefront6targetE0EEEvSY_
; %bb.0:
	.section	.rodata,"a",@progbits
	.p2align	6, 0x0
	.amdhsa_kernel _ZN7rocprim17ROCPRIM_400000_NS6detail17trampoline_kernelINS0_13select_configILj256ELj13ELNS0_17block_load_methodE3ELS4_3ELS4_3ELNS0_20block_scan_algorithmE0ELj4294967295EEENS1_25partition_config_selectorILNS1_17partition_subalgoE3EjNS0_10empty_typeEbEEZZNS1_14partition_implILS8_3ELb0ES6_jNS0_17counting_iteratorIjlEEPS9_SE_NS0_5tupleIJPjSE_EEENSF_IJSE_SE_EEES9_SG_JZNS1_25segmented_radix_sort_implINS0_14default_configELb1EPKaPaPKlPlN2at6native12_GLOBAL__N_18offset_tEEE10hipError_tPvRmT1_PNSt15iterator_traitsISY_E10value_typeET2_T3_PNSZ_IS14_E10value_typeET4_jRbjT5_S1A_jjP12ihipStream_tbEUljE_EEESV_SW_SX_S14_S18_S1A_T6_T7_T9_mT8_S1C_bDpT10_ENKUlT_T0_E_clISt17integral_constantIbLb1EES1O_IbLb0EEEEDaS1K_S1L_EUlS1K_E_NS1_11comp_targetILNS1_3genE9ELNS1_11target_archE1100ELNS1_3gpuE3ELNS1_3repE0EEENS1_30default_config_static_selectorELNS0_4arch9wavefront6targetE0EEEvSY_
		.amdhsa_group_segment_fixed_size 0
		.amdhsa_private_segment_fixed_size 0
		.amdhsa_kernarg_size 144
		.amdhsa_user_sgpr_count 2
		.amdhsa_user_sgpr_dispatch_ptr 0
		.amdhsa_user_sgpr_queue_ptr 0
		.amdhsa_user_sgpr_kernarg_segment_ptr 1
		.amdhsa_user_sgpr_dispatch_id 0
		.amdhsa_user_sgpr_private_segment_size 0
		.amdhsa_wavefront_size32 1
		.amdhsa_uses_dynamic_stack 0
		.amdhsa_enable_private_segment 0
		.amdhsa_system_sgpr_workgroup_id_x 1
		.amdhsa_system_sgpr_workgroup_id_y 0
		.amdhsa_system_sgpr_workgroup_id_z 0
		.amdhsa_system_sgpr_workgroup_info 0
		.amdhsa_system_vgpr_workitem_id 0
		.amdhsa_next_free_vgpr 1
		.amdhsa_next_free_sgpr 1
		.amdhsa_reserve_vcc 0
		.amdhsa_float_round_mode_32 0
		.amdhsa_float_round_mode_16_64 0
		.amdhsa_float_denorm_mode_32 3
		.amdhsa_float_denorm_mode_16_64 3
		.amdhsa_fp16_overflow 0
		.amdhsa_workgroup_processor_mode 1
		.amdhsa_memory_ordered 1
		.amdhsa_forward_progress 1
		.amdhsa_inst_pref_size 0
		.amdhsa_round_robin_scheduling 0
		.amdhsa_exception_fp_ieee_invalid_op 0
		.amdhsa_exception_fp_denorm_src 0
		.amdhsa_exception_fp_ieee_div_zero 0
		.amdhsa_exception_fp_ieee_overflow 0
		.amdhsa_exception_fp_ieee_underflow 0
		.amdhsa_exception_fp_ieee_inexact 0
		.amdhsa_exception_int_div_zero 0
	.end_amdhsa_kernel
	.section	.text._ZN7rocprim17ROCPRIM_400000_NS6detail17trampoline_kernelINS0_13select_configILj256ELj13ELNS0_17block_load_methodE3ELS4_3ELS4_3ELNS0_20block_scan_algorithmE0ELj4294967295EEENS1_25partition_config_selectorILNS1_17partition_subalgoE3EjNS0_10empty_typeEbEEZZNS1_14partition_implILS8_3ELb0ES6_jNS0_17counting_iteratorIjlEEPS9_SE_NS0_5tupleIJPjSE_EEENSF_IJSE_SE_EEES9_SG_JZNS1_25segmented_radix_sort_implINS0_14default_configELb1EPKaPaPKlPlN2at6native12_GLOBAL__N_18offset_tEEE10hipError_tPvRmT1_PNSt15iterator_traitsISY_E10value_typeET2_T3_PNSZ_IS14_E10value_typeET4_jRbjT5_S1A_jjP12ihipStream_tbEUljE_EEESV_SW_SX_S14_S18_S1A_T6_T7_T9_mT8_S1C_bDpT10_ENKUlT_T0_E_clISt17integral_constantIbLb1EES1O_IbLb0EEEEDaS1K_S1L_EUlS1K_E_NS1_11comp_targetILNS1_3genE9ELNS1_11target_archE1100ELNS1_3gpuE3ELNS1_3repE0EEENS1_30default_config_static_selectorELNS0_4arch9wavefront6targetE0EEEvSY_,"axG",@progbits,_ZN7rocprim17ROCPRIM_400000_NS6detail17trampoline_kernelINS0_13select_configILj256ELj13ELNS0_17block_load_methodE3ELS4_3ELS4_3ELNS0_20block_scan_algorithmE0ELj4294967295EEENS1_25partition_config_selectorILNS1_17partition_subalgoE3EjNS0_10empty_typeEbEEZZNS1_14partition_implILS8_3ELb0ES6_jNS0_17counting_iteratorIjlEEPS9_SE_NS0_5tupleIJPjSE_EEENSF_IJSE_SE_EEES9_SG_JZNS1_25segmented_radix_sort_implINS0_14default_configELb1EPKaPaPKlPlN2at6native12_GLOBAL__N_18offset_tEEE10hipError_tPvRmT1_PNSt15iterator_traitsISY_E10value_typeET2_T3_PNSZ_IS14_E10value_typeET4_jRbjT5_S1A_jjP12ihipStream_tbEUljE_EEESV_SW_SX_S14_S18_S1A_T6_T7_T9_mT8_S1C_bDpT10_ENKUlT_T0_E_clISt17integral_constantIbLb1EES1O_IbLb0EEEEDaS1K_S1L_EUlS1K_E_NS1_11comp_targetILNS1_3genE9ELNS1_11target_archE1100ELNS1_3gpuE3ELNS1_3repE0EEENS1_30default_config_static_selectorELNS0_4arch9wavefront6targetE0EEEvSY_,comdat
.Lfunc_end280:
	.size	_ZN7rocprim17ROCPRIM_400000_NS6detail17trampoline_kernelINS0_13select_configILj256ELj13ELNS0_17block_load_methodE3ELS4_3ELS4_3ELNS0_20block_scan_algorithmE0ELj4294967295EEENS1_25partition_config_selectorILNS1_17partition_subalgoE3EjNS0_10empty_typeEbEEZZNS1_14partition_implILS8_3ELb0ES6_jNS0_17counting_iteratorIjlEEPS9_SE_NS0_5tupleIJPjSE_EEENSF_IJSE_SE_EEES9_SG_JZNS1_25segmented_radix_sort_implINS0_14default_configELb1EPKaPaPKlPlN2at6native12_GLOBAL__N_18offset_tEEE10hipError_tPvRmT1_PNSt15iterator_traitsISY_E10value_typeET2_T3_PNSZ_IS14_E10value_typeET4_jRbjT5_S1A_jjP12ihipStream_tbEUljE_EEESV_SW_SX_S14_S18_S1A_T6_T7_T9_mT8_S1C_bDpT10_ENKUlT_T0_E_clISt17integral_constantIbLb1EES1O_IbLb0EEEEDaS1K_S1L_EUlS1K_E_NS1_11comp_targetILNS1_3genE9ELNS1_11target_archE1100ELNS1_3gpuE3ELNS1_3repE0EEENS1_30default_config_static_selectorELNS0_4arch9wavefront6targetE0EEEvSY_, .Lfunc_end280-_ZN7rocprim17ROCPRIM_400000_NS6detail17trampoline_kernelINS0_13select_configILj256ELj13ELNS0_17block_load_methodE3ELS4_3ELS4_3ELNS0_20block_scan_algorithmE0ELj4294967295EEENS1_25partition_config_selectorILNS1_17partition_subalgoE3EjNS0_10empty_typeEbEEZZNS1_14partition_implILS8_3ELb0ES6_jNS0_17counting_iteratorIjlEEPS9_SE_NS0_5tupleIJPjSE_EEENSF_IJSE_SE_EEES9_SG_JZNS1_25segmented_radix_sort_implINS0_14default_configELb1EPKaPaPKlPlN2at6native12_GLOBAL__N_18offset_tEEE10hipError_tPvRmT1_PNSt15iterator_traitsISY_E10value_typeET2_T3_PNSZ_IS14_E10value_typeET4_jRbjT5_S1A_jjP12ihipStream_tbEUljE_EEESV_SW_SX_S14_S18_S1A_T6_T7_T9_mT8_S1C_bDpT10_ENKUlT_T0_E_clISt17integral_constantIbLb1EES1O_IbLb0EEEEDaS1K_S1L_EUlS1K_E_NS1_11comp_targetILNS1_3genE9ELNS1_11target_archE1100ELNS1_3gpuE3ELNS1_3repE0EEENS1_30default_config_static_selectorELNS0_4arch9wavefront6targetE0EEEvSY_
                                        ; -- End function
	.set _ZN7rocprim17ROCPRIM_400000_NS6detail17trampoline_kernelINS0_13select_configILj256ELj13ELNS0_17block_load_methodE3ELS4_3ELS4_3ELNS0_20block_scan_algorithmE0ELj4294967295EEENS1_25partition_config_selectorILNS1_17partition_subalgoE3EjNS0_10empty_typeEbEEZZNS1_14partition_implILS8_3ELb0ES6_jNS0_17counting_iteratorIjlEEPS9_SE_NS0_5tupleIJPjSE_EEENSF_IJSE_SE_EEES9_SG_JZNS1_25segmented_radix_sort_implINS0_14default_configELb1EPKaPaPKlPlN2at6native12_GLOBAL__N_18offset_tEEE10hipError_tPvRmT1_PNSt15iterator_traitsISY_E10value_typeET2_T3_PNSZ_IS14_E10value_typeET4_jRbjT5_S1A_jjP12ihipStream_tbEUljE_EEESV_SW_SX_S14_S18_S1A_T6_T7_T9_mT8_S1C_bDpT10_ENKUlT_T0_E_clISt17integral_constantIbLb1EES1O_IbLb0EEEEDaS1K_S1L_EUlS1K_E_NS1_11comp_targetILNS1_3genE9ELNS1_11target_archE1100ELNS1_3gpuE3ELNS1_3repE0EEENS1_30default_config_static_selectorELNS0_4arch9wavefront6targetE0EEEvSY_.num_vgpr, 0
	.set _ZN7rocprim17ROCPRIM_400000_NS6detail17trampoline_kernelINS0_13select_configILj256ELj13ELNS0_17block_load_methodE3ELS4_3ELS4_3ELNS0_20block_scan_algorithmE0ELj4294967295EEENS1_25partition_config_selectorILNS1_17partition_subalgoE3EjNS0_10empty_typeEbEEZZNS1_14partition_implILS8_3ELb0ES6_jNS0_17counting_iteratorIjlEEPS9_SE_NS0_5tupleIJPjSE_EEENSF_IJSE_SE_EEES9_SG_JZNS1_25segmented_radix_sort_implINS0_14default_configELb1EPKaPaPKlPlN2at6native12_GLOBAL__N_18offset_tEEE10hipError_tPvRmT1_PNSt15iterator_traitsISY_E10value_typeET2_T3_PNSZ_IS14_E10value_typeET4_jRbjT5_S1A_jjP12ihipStream_tbEUljE_EEESV_SW_SX_S14_S18_S1A_T6_T7_T9_mT8_S1C_bDpT10_ENKUlT_T0_E_clISt17integral_constantIbLb1EES1O_IbLb0EEEEDaS1K_S1L_EUlS1K_E_NS1_11comp_targetILNS1_3genE9ELNS1_11target_archE1100ELNS1_3gpuE3ELNS1_3repE0EEENS1_30default_config_static_selectorELNS0_4arch9wavefront6targetE0EEEvSY_.num_agpr, 0
	.set _ZN7rocprim17ROCPRIM_400000_NS6detail17trampoline_kernelINS0_13select_configILj256ELj13ELNS0_17block_load_methodE3ELS4_3ELS4_3ELNS0_20block_scan_algorithmE0ELj4294967295EEENS1_25partition_config_selectorILNS1_17partition_subalgoE3EjNS0_10empty_typeEbEEZZNS1_14partition_implILS8_3ELb0ES6_jNS0_17counting_iteratorIjlEEPS9_SE_NS0_5tupleIJPjSE_EEENSF_IJSE_SE_EEES9_SG_JZNS1_25segmented_radix_sort_implINS0_14default_configELb1EPKaPaPKlPlN2at6native12_GLOBAL__N_18offset_tEEE10hipError_tPvRmT1_PNSt15iterator_traitsISY_E10value_typeET2_T3_PNSZ_IS14_E10value_typeET4_jRbjT5_S1A_jjP12ihipStream_tbEUljE_EEESV_SW_SX_S14_S18_S1A_T6_T7_T9_mT8_S1C_bDpT10_ENKUlT_T0_E_clISt17integral_constantIbLb1EES1O_IbLb0EEEEDaS1K_S1L_EUlS1K_E_NS1_11comp_targetILNS1_3genE9ELNS1_11target_archE1100ELNS1_3gpuE3ELNS1_3repE0EEENS1_30default_config_static_selectorELNS0_4arch9wavefront6targetE0EEEvSY_.numbered_sgpr, 0
	.set _ZN7rocprim17ROCPRIM_400000_NS6detail17trampoline_kernelINS0_13select_configILj256ELj13ELNS0_17block_load_methodE3ELS4_3ELS4_3ELNS0_20block_scan_algorithmE0ELj4294967295EEENS1_25partition_config_selectorILNS1_17partition_subalgoE3EjNS0_10empty_typeEbEEZZNS1_14partition_implILS8_3ELb0ES6_jNS0_17counting_iteratorIjlEEPS9_SE_NS0_5tupleIJPjSE_EEENSF_IJSE_SE_EEES9_SG_JZNS1_25segmented_radix_sort_implINS0_14default_configELb1EPKaPaPKlPlN2at6native12_GLOBAL__N_18offset_tEEE10hipError_tPvRmT1_PNSt15iterator_traitsISY_E10value_typeET2_T3_PNSZ_IS14_E10value_typeET4_jRbjT5_S1A_jjP12ihipStream_tbEUljE_EEESV_SW_SX_S14_S18_S1A_T6_T7_T9_mT8_S1C_bDpT10_ENKUlT_T0_E_clISt17integral_constantIbLb1EES1O_IbLb0EEEEDaS1K_S1L_EUlS1K_E_NS1_11comp_targetILNS1_3genE9ELNS1_11target_archE1100ELNS1_3gpuE3ELNS1_3repE0EEENS1_30default_config_static_selectorELNS0_4arch9wavefront6targetE0EEEvSY_.num_named_barrier, 0
	.set _ZN7rocprim17ROCPRIM_400000_NS6detail17trampoline_kernelINS0_13select_configILj256ELj13ELNS0_17block_load_methodE3ELS4_3ELS4_3ELNS0_20block_scan_algorithmE0ELj4294967295EEENS1_25partition_config_selectorILNS1_17partition_subalgoE3EjNS0_10empty_typeEbEEZZNS1_14partition_implILS8_3ELb0ES6_jNS0_17counting_iteratorIjlEEPS9_SE_NS0_5tupleIJPjSE_EEENSF_IJSE_SE_EEES9_SG_JZNS1_25segmented_radix_sort_implINS0_14default_configELb1EPKaPaPKlPlN2at6native12_GLOBAL__N_18offset_tEEE10hipError_tPvRmT1_PNSt15iterator_traitsISY_E10value_typeET2_T3_PNSZ_IS14_E10value_typeET4_jRbjT5_S1A_jjP12ihipStream_tbEUljE_EEESV_SW_SX_S14_S18_S1A_T6_T7_T9_mT8_S1C_bDpT10_ENKUlT_T0_E_clISt17integral_constantIbLb1EES1O_IbLb0EEEEDaS1K_S1L_EUlS1K_E_NS1_11comp_targetILNS1_3genE9ELNS1_11target_archE1100ELNS1_3gpuE3ELNS1_3repE0EEENS1_30default_config_static_selectorELNS0_4arch9wavefront6targetE0EEEvSY_.private_seg_size, 0
	.set _ZN7rocprim17ROCPRIM_400000_NS6detail17trampoline_kernelINS0_13select_configILj256ELj13ELNS0_17block_load_methodE3ELS4_3ELS4_3ELNS0_20block_scan_algorithmE0ELj4294967295EEENS1_25partition_config_selectorILNS1_17partition_subalgoE3EjNS0_10empty_typeEbEEZZNS1_14partition_implILS8_3ELb0ES6_jNS0_17counting_iteratorIjlEEPS9_SE_NS0_5tupleIJPjSE_EEENSF_IJSE_SE_EEES9_SG_JZNS1_25segmented_radix_sort_implINS0_14default_configELb1EPKaPaPKlPlN2at6native12_GLOBAL__N_18offset_tEEE10hipError_tPvRmT1_PNSt15iterator_traitsISY_E10value_typeET2_T3_PNSZ_IS14_E10value_typeET4_jRbjT5_S1A_jjP12ihipStream_tbEUljE_EEESV_SW_SX_S14_S18_S1A_T6_T7_T9_mT8_S1C_bDpT10_ENKUlT_T0_E_clISt17integral_constantIbLb1EES1O_IbLb0EEEEDaS1K_S1L_EUlS1K_E_NS1_11comp_targetILNS1_3genE9ELNS1_11target_archE1100ELNS1_3gpuE3ELNS1_3repE0EEENS1_30default_config_static_selectorELNS0_4arch9wavefront6targetE0EEEvSY_.uses_vcc, 0
	.set _ZN7rocprim17ROCPRIM_400000_NS6detail17trampoline_kernelINS0_13select_configILj256ELj13ELNS0_17block_load_methodE3ELS4_3ELS4_3ELNS0_20block_scan_algorithmE0ELj4294967295EEENS1_25partition_config_selectorILNS1_17partition_subalgoE3EjNS0_10empty_typeEbEEZZNS1_14partition_implILS8_3ELb0ES6_jNS0_17counting_iteratorIjlEEPS9_SE_NS0_5tupleIJPjSE_EEENSF_IJSE_SE_EEES9_SG_JZNS1_25segmented_radix_sort_implINS0_14default_configELb1EPKaPaPKlPlN2at6native12_GLOBAL__N_18offset_tEEE10hipError_tPvRmT1_PNSt15iterator_traitsISY_E10value_typeET2_T3_PNSZ_IS14_E10value_typeET4_jRbjT5_S1A_jjP12ihipStream_tbEUljE_EEESV_SW_SX_S14_S18_S1A_T6_T7_T9_mT8_S1C_bDpT10_ENKUlT_T0_E_clISt17integral_constantIbLb1EES1O_IbLb0EEEEDaS1K_S1L_EUlS1K_E_NS1_11comp_targetILNS1_3genE9ELNS1_11target_archE1100ELNS1_3gpuE3ELNS1_3repE0EEENS1_30default_config_static_selectorELNS0_4arch9wavefront6targetE0EEEvSY_.uses_flat_scratch, 0
	.set _ZN7rocprim17ROCPRIM_400000_NS6detail17trampoline_kernelINS0_13select_configILj256ELj13ELNS0_17block_load_methodE3ELS4_3ELS4_3ELNS0_20block_scan_algorithmE0ELj4294967295EEENS1_25partition_config_selectorILNS1_17partition_subalgoE3EjNS0_10empty_typeEbEEZZNS1_14partition_implILS8_3ELb0ES6_jNS0_17counting_iteratorIjlEEPS9_SE_NS0_5tupleIJPjSE_EEENSF_IJSE_SE_EEES9_SG_JZNS1_25segmented_radix_sort_implINS0_14default_configELb1EPKaPaPKlPlN2at6native12_GLOBAL__N_18offset_tEEE10hipError_tPvRmT1_PNSt15iterator_traitsISY_E10value_typeET2_T3_PNSZ_IS14_E10value_typeET4_jRbjT5_S1A_jjP12ihipStream_tbEUljE_EEESV_SW_SX_S14_S18_S1A_T6_T7_T9_mT8_S1C_bDpT10_ENKUlT_T0_E_clISt17integral_constantIbLb1EES1O_IbLb0EEEEDaS1K_S1L_EUlS1K_E_NS1_11comp_targetILNS1_3genE9ELNS1_11target_archE1100ELNS1_3gpuE3ELNS1_3repE0EEENS1_30default_config_static_selectorELNS0_4arch9wavefront6targetE0EEEvSY_.has_dyn_sized_stack, 0
	.set _ZN7rocprim17ROCPRIM_400000_NS6detail17trampoline_kernelINS0_13select_configILj256ELj13ELNS0_17block_load_methodE3ELS4_3ELS4_3ELNS0_20block_scan_algorithmE0ELj4294967295EEENS1_25partition_config_selectorILNS1_17partition_subalgoE3EjNS0_10empty_typeEbEEZZNS1_14partition_implILS8_3ELb0ES6_jNS0_17counting_iteratorIjlEEPS9_SE_NS0_5tupleIJPjSE_EEENSF_IJSE_SE_EEES9_SG_JZNS1_25segmented_radix_sort_implINS0_14default_configELb1EPKaPaPKlPlN2at6native12_GLOBAL__N_18offset_tEEE10hipError_tPvRmT1_PNSt15iterator_traitsISY_E10value_typeET2_T3_PNSZ_IS14_E10value_typeET4_jRbjT5_S1A_jjP12ihipStream_tbEUljE_EEESV_SW_SX_S14_S18_S1A_T6_T7_T9_mT8_S1C_bDpT10_ENKUlT_T0_E_clISt17integral_constantIbLb1EES1O_IbLb0EEEEDaS1K_S1L_EUlS1K_E_NS1_11comp_targetILNS1_3genE9ELNS1_11target_archE1100ELNS1_3gpuE3ELNS1_3repE0EEENS1_30default_config_static_selectorELNS0_4arch9wavefront6targetE0EEEvSY_.has_recursion, 0
	.set _ZN7rocprim17ROCPRIM_400000_NS6detail17trampoline_kernelINS0_13select_configILj256ELj13ELNS0_17block_load_methodE3ELS4_3ELS4_3ELNS0_20block_scan_algorithmE0ELj4294967295EEENS1_25partition_config_selectorILNS1_17partition_subalgoE3EjNS0_10empty_typeEbEEZZNS1_14partition_implILS8_3ELb0ES6_jNS0_17counting_iteratorIjlEEPS9_SE_NS0_5tupleIJPjSE_EEENSF_IJSE_SE_EEES9_SG_JZNS1_25segmented_radix_sort_implINS0_14default_configELb1EPKaPaPKlPlN2at6native12_GLOBAL__N_18offset_tEEE10hipError_tPvRmT1_PNSt15iterator_traitsISY_E10value_typeET2_T3_PNSZ_IS14_E10value_typeET4_jRbjT5_S1A_jjP12ihipStream_tbEUljE_EEESV_SW_SX_S14_S18_S1A_T6_T7_T9_mT8_S1C_bDpT10_ENKUlT_T0_E_clISt17integral_constantIbLb1EES1O_IbLb0EEEEDaS1K_S1L_EUlS1K_E_NS1_11comp_targetILNS1_3genE9ELNS1_11target_archE1100ELNS1_3gpuE3ELNS1_3repE0EEENS1_30default_config_static_selectorELNS0_4arch9wavefront6targetE0EEEvSY_.has_indirect_call, 0
	.section	.AMDGPU.csdata,"",@progbits
; Kernel info:
; codeLenInByte = 0
; TotalNumSgprs: 0
; NumVgprs: 0
; ScratchSize: 0
; MemoryBound: 0
; FloatMode: 240
; IeeeMode: 1
; LDSByteSize: 0 bytes/workgroup (compile time only)
; SGPRBlocks: 0
; VGPRBlocks: 0
; NumSGPRsForWavesPerEU: 1
; NumVGPRsForWavesPerEU: 1
; Occupancy: 16
; WaveLimiterHint : 0
; COMPUTE_PGM_RSRC2:SCRATCH_EN: 0
; COMPUTE_PGM_RSRC2:USER_SGPR: 2
; COMPUTE_PGM_RSRC2:TRAP_HANDLER: 0
; COMPUTE_PGM_RSRC2:TGID_X_EN: 1
; COMPUTE_PGM_RSRC2:TGID_Y_EN: 0
; COMPUTE_PGM_RSRC2:TGID_Z_EN: 0
; COMPUTE_PGM_RSRC2:TIDIG_COMP_CNT: 0
	.section	.text._ZN7rocprim17ROCPRIM_400000_NS6detail17trampoline_kernelINS0_13select_configILj256ELj13ELNS0_17block_load_methodE3ELS4_3ELS4_3ELNS0_20block_scan_algorithmE0ELj4294967295EEENS1_25partition_config_selectorILNS1_17partition_subalgoE3EjNS0_10empty_typeEbEEZZNS1_14partition_implILS8_3ELb0ES6_jNS0_17counting_iteratorIjlEEPS9_SE_NS0_5tupleIJPjSE_EEENSF_IJSE_SE_EEES9_SG_JZNS1_25segmented_radix_sort_implINS0_14default_configELb1EPKaPaPKlPlN2at6native12_GLOBAL__N_18offset_tEEE10hipError_tPvRmT1_PNSt15iterator_traitsISY_E10value_typeET2_T3_PNSZ_IS14_E10value_typeET4_jRbjT5_S1A_jjP12ihipStream_tbEUljE_EEESV_SW_SX_S14_S18_S1A_T6_T7_T9_mT8_S1C_bDpT10_ENKUlT_T0_E_clISt17integral_constantIbLb1EES1O_IbLb0EEEEDaS1K_S1L_EUlS1K_E_NS1_11comp_targetILNS1_3genE8ELNS1_11target_archE1030ELNS1_3gpuE2ELNS1_3repE0EEENS1_30default_config_static_selectorELNS0_4arch9wavefront6targetE0EEEvSY_,"axG",@progbits,_ZN7rocprim17ROCPRIM_400000_NS6detail17trampoline_kernelINS0_13select_configILj256ELj13ELNS0_17block_load_methodE3ELS4_3ELS4_3ELNS0_20block_scan_algorithmE0ELj4294967295EEENS1_25partition_config_selectorILNS1_17partition_subalgoE3EjNS0_10empty_typeEbEEZZNS1_14partition_implILS8_3ELb0ES6_jNS0_17counting_iteratorIjlEEPS9_SE_NS0_5tupleIJPjSE_EEENSF_IJSE_SE_EEES9_SG_JZNS1_25segmented_radix_sort_implINS0_14default_configELb1EPKaPaPKlPlN2at6native12_GLOBAL__N_18offset_tEEE10hipError_tPvRmT1_PNSt15iterator_traitsISY_E10value_typeET2_T3_PNSZ_IS14_E10value_typeET4_jRbjT5_S1A_jjP12ihipStream_tbEUljE_EEESV_SW_SX_S14_S18_S1A_T6_T7_T9_mT8_S1C_bDpT10_ENKUlT_T0_E_clISt17integral_constantIbLb1EES1O_IbLb0EEEEDaS1K_S1L_EUlS1K_E_NS1_11comp_targetILNS1_3genE8ELNS1_11target_archE1030ELNS1_3gpuE2ELNS1_3repE0EEENS1_30default_config_static_selectorELNS0_4arch9wavefront6targetE0EEEvSY_,comdat
	.globl	_ZN7rocprim17ROCPRIM_400000_NS6detail17trampoline_kernelINS0_13select_configILj256ELj13ELNS0_17block_load_methodE3ELS4_3ELS4_3ELNS0_20block_scan_algorithmE0ELj4294967295EEENS1_25partition_config_selectorILNS1_17partition_subalgoE3EjNS0_10empty_typeEbEEZZNS1_14partition_implILS8_3ELb0ES6_jNS0_17counting_iteratorIjlEEPS9_SE_NS0_5tupleIJPjSE_EEENSF_IJSE_SE_EEES9_SG_JZNS1_25segmented_radix_sort_implINS0_14default_configELb1EPKaPaPKlPlN2at6native12_GLOBAL__N_18offset_tEEE10hipError_tPvRmT1_PNSt15iterator_traitsISY_E10value_typeET2_T3_PNSZ_IS14_E10value_typeET4_jRbjT5_S1A_jjP12ihipStream_tbEUljE_EEESV_SW_SX_S14_S18_S1A_T6_T7_T9_mT8_S1C_bDpT10_ENKUlT_T0_E_clISt17integral_constantIbLb1EES1O_IbLb0EEEEDaS1K_S1L_EUlS1K_E_NS1_11comp_targetILNS1_3genE8ELNS1_11target_archE1030ELNS1_3gpuE2ELNS1_3repE0EEENS1_30default_config_static_selectorELNS0_4arch9wavefront6targetE0EEEvSY_ ; -- Begin function _ZN7rocprim17ROCPRIM_400000_NS6detail17trampoline_kernelINS0_13select_configILj256ELj13ELNS0_17block_load_methodE3ELS4_3ELS4_3ELNS0_20block_scan_algorithmE0ELj4294967295EEENS1_25partition_config_selectorILNS1_17partition_subalgoE3EjNS0_10empty_typeEbEEZZNS1_14partition_implILS8_3ELb0ES6_jNS0_17counting_iteratorIjlEEPS9_SE_NS0_5tupleIJPjSE_EEENSF_IJSE_SE_EEES9_SG_JZNS1_25segmented_radix_sort_implINS0_14default_configELb1EPKaPaPKlPlN2at6native12_GLOBAL__N_18offset_tEEE10hipError_tPvRmT1_PNSt15iterator_traitsISY_E10value_typeET2_T3_PNSZ_IS14_E10value_typeET4_jRbjT5_S1A_jjP12ihipStream_tbEUljE_EEESV_SW_SX_S14_S18_S1A_T6_T7_T9_mT8_S1C_bDpT10_ENKUlT_T0_E_clISt17integral_constantIbLb1EES1O_IbLb0EEEEDaS1K_S1L_EUlS1K_E_NS1_11comp_targetILNS1_3genE8ELNS1_11target_archE1030ELNS1_3gpuE2ELNS1_3repE0EEENS1_30default_config_static_selectorELNS0_4arch9wavefront6targetE0EEEvSY_
	.p2align	8
	.type	_ZN7rocprim17ROCPRIM_400000_NS6detail17trampoline_kernelINS0_13select_configILj256ELj13ELNS0_17block_load_methodE3ELS4_3ELS4_3ELNS0_20block_scan_algorithmE0ELj4294967295EEENS1_25partition_config_selectorILNS1_17partition_subalgoE3EjNS0_10empty_typeEbEEZZNS1_14partition_implILS8_3ELb0ES6_jNS0_17counting_iteratorIjlEEPS9_SE_NS0_5tupleIJPjSE_EEENSF_IJSE_SE_EEES9_SG_JZNS1_25segmented_radix_sort_implINS0_14default_configELb1EPKaPaPKlPlN2at6native12_GLOBAL__N_18offset_tEEE10hipError_tPvRmT1_PNSt15iterator_traitsISY_E10value_typeET2_T3_PNSZ_IS14_E10value_typeET4_jRbjT5_S1A_jjP12ihipStream_tbEUljE_EEESV_SW_SX_S14_S18_S1A_T6_T7_T9_mT8_S1C_bDpT10_ENKUlT_T0_E_clISt17integral_constantIbLb1EES1O_IbLb0EEEEDaS1K_S1L_EUlS1K_E_NS1_11comp_targetILNS1_3genE8ELNS1_11target_archE1030ELNS1_3gpuE2ELNS1_3repE0EEENS1_30default_config_static_selectorELNS0_4arch9wavefront6targetE0EEEvSY_,@function
_ZN7rocprim17ROCPRIM_400000_NS6detail17trampoline_kernelINS0_13select_configILj256ELj13ELNS0_17block_load_methodE3ELS4_3ELS4_3ELNS0_20block_scan_algorithmE0ELj4294967295EEENS1_25partition_config_selectorILNS1_17partition_subalgoE3EjNS0_10empty_typeEbEEZZNS1_14partition_implILS8_3ELb0ES6_jNS0_17counting_iteratorIjlEEPS9_SE_NS0_5tupleIJPjSE_EEENSF_IJSE_SE_EEES9_SG_JZNS1_25segmented_radix_sort_implINS0_14default_configELb1EPKaPaPKlPlN2at6native12_GLOBAL__N_18offset_tEEE10hipError_tPvRmT1_PNSt15iterator_traitsISY_E10value_typeET2_T3_PNSZ_IS14_E10value_typeET4_jRbjT5_S1A_jjP12ihipStream_tbEUljE_EEESV_SW_SX_S14_S18_S1A_T6_T7_T9_mT8_S1C_bDpT10_ENKUlT_T0_E_clISt17integral_constantIbLb1EES1O_IbLb0EEEEDaS1K_S1L_EUlS1K_E_NS1_11comp_targetILNS1_3genE8ELNS1_11target_archE1030ELNS1_3gpuE2ELNS1_3repE0EEENS1_30default_config_static_selectorELNS0_4arch9wavefront6targetE0EEEvSY_: ; @_ZN7rocprim17ROCPRIM_400000_NS6detail17trampoline_kernelINS0_13select_configILj256ELj13ELNS0_17block_load_methodE3ELS4_3ELS4_3ELNS0_20block_scan_algorithmE0ELj4294967295EEENS1_25partition_config_selectorILNS1_17partition_subalgoE3EjNS0_10empty_typeEbEEZZNS1_14partition_implILS8_3ELb0ES6_jNS0_17counting_iteratorIjlEEPS9_SE_NS0_5tupleIJPjSE_EEENSF_IJSE_SE_EEES9_SG_JZNS1_25segmented_radix_sort_implINS0_14default_configELb1EPKaPaPKlPlN2at6native12_GLOBAL__N_18offset_tEEE10hipError_tPvRmT1_PNSt15iterator_traitsISY_E10value_typeET2_T3_PNSZ_IS14_E10value_typeET4_jRbjT5_S1A_jjP12ihipStream_tbEUljE_EEESV_SW_SX_S14_S18_S1A_T6_T7_T9_mT8_S1C_bDpT10_ENKUlT_T0_E_clISt17integral_constantIbLb1EES1O_IbLb0EEEEDaS1K_S1L_EUlS1K_E_NS1_11comp_targetILNS1_3genE8ELNS1_11target_archE1030ELNS1_3gpuE2ELNS1_3repE0EEENS1_30default_config_static_selectorELNS0_4arch9wavefront6targetE0EEEvSY_
; %bb.0:
	.section	.rodata,"a",@progbits
	.p2align	6, 0x0
	.amdhsa_kernel _ZN7rocprim17ROCPRIM_400000_NS6detail17trampoline_kernelINS0_13select_configILj256ELj13ELNS0_17block_load_methodE3ELS4_3ELS4_3ELNS0_20block_scan_algorithmE0ELj4294967295EEENS1_25partition_config_selectorILNS1_17partition_subalgoE3EjNS0_10empty_typeEbEEZZNS1_14partition_implILS8_3ELb0ES6_jNS0_17counting_iteratorIjlEEPS9_SE_NS0_5tupleIJPjSE_EEENSF_IJSE_SE_EEES9_SG_JZNS1_25segmented_radix_sort_implINS0_14default_configELb1EPKaPaPKlPlN2at6native12_GLOBAL__N_18offset_tEEE10hipError_tPvRmT1_PNSt15iterator_traitsISY_E10value_typeET2_T3_PNSZ_IS14_E10value_typeET4_jRbjT5_S1A_jjP12ihipStream_tbEUljE_EEESV_SW_SX_S14_S18_S1A_T6_T7_T9_mT8_S1C_bDpT10_ENKUlT_T0_E_clISt17integral_constantIbLb1EES1O_IbLb0EEEEDaS1K_S1L_EUlS1K_E_NS1_11comp_targetILNS1_3genE8ELNS1_11target_archE1030ELNS1_3gpuE2ELNS1_3repE0EEENS1_30default_config_static_selectorELNS0_4arch9wavefront6targetE0EEEvSY_
		.amdhsa_group_segment_fixed_size 0
		.amdhsa_private_segment_fixed_size 0
		.amdhsa_kernarg_size 144
		.amdhsa_user_sgpr_count 2
		.amdhsa_user_sgpr_dispatch_ptr 0
		.amdhsa_user_sgpr_queue_ptr 0
		.amdhsa_user_sgpr_kernarg_segment_ptr 1
		.amdhsa_user_sgpr_dispatch_id 0
		.amdhsa_user_sgpr_private_segment_size 0
		.amdhsa_wavefront_size32 1
		.amdhsa_uses_dynamic_stack 0
		.amdhsa_enable_private_segment 0
		.amdhsa_system_sgpr_workgroup_id_x 1
		.amdhsa_system_sgpr_workgroup_id_y 0
		.amdhsa_system_sgpr_workgroup_id_z 0
		.amdhsa_system_sgpr_workgroup_info 0
		.amdhsa_system_vgpr_workitem_id 0
		.amdhsa_next_free_vgpr 1
		.amdhsa_next_free_sgpr 1
		.amdhsa_reserve_vcc 0
		.amdhsa_float_round_mode_32 0
		.amdhsa_float_round_mode_16_64 0
		.amdhsa_float_denorm_mode_32 3
		.amdhsa_float_denorm_mode_16_64 3
		.amdhsa_fp16_overflow 0
		.amdhsa_workgroup_processor_mode 1
		.amdhsa_memory_ordered 1
		.amdhsa_forward_progress 1
		.amdhsa_inst_pref_size 0
		.amdhsa_round_robin_scheduling 0
		.amdhsa_exception_fp_ieee_invalid_op 0
		.amdhsa_exception_fp_denorm_src 0
		.amdhsa_exception_fp_ieee_div_zero 0
		.amdhsa_exception_fp_ieee_overflow 0
		.amdhsa_exception_fp_ieee_underflow 0
		.amdhsa_exception_fp_ieee_inexact 0
		.amdhsa_exception_int_div_zero 0
	.end_amdhsa_kernel
	.section	.text._ZN7rocprim17ROCPRIM_400000_NS6detail17trampoline_kernelINS0_13select_configILj256ELj13ELNS0_17block_load_methodE3ELS4_3ELS4_3ELNS0_20block_scan_algorithmE0ELj4294967295EEENS1_25partition_config_selectorILNS1_17partition_subalgoE3EjNS0_10empty_typeEbEEZZNS1_14partition_implILS8_3ELb0ES6_jNS0_17counting_iteratorIjlEEPS9_SE_NS0_5tupleIJPjSE_EEENSF_IJSE_SE_EEES9_SG_JZNS1_25segmented_radix_sort_implINS0_14default_configELb1EPKaPaPKlPlN2at6native12_GLOBAL__N_18offset_tEEE10hipError_tPvRmT1_PNSt15iterator_traitsISY_E10value_typeET2_T3_PNSZ_IS14_E10value_typeET4_jRbjT5_S1A_jjP12ihipStream_tbEUljE_EEESV_SW_SX_S14_S18_S1A_T6_T7_T9_mT8_S1C_bDpT10_ENKUlT_T0_E_clISt17integral_constantIbLb1EES1O_IbLb0EEEEDaS1K_S1L_EUlS1K_E_NS1_11comp_targetILNS1_3genE8ELNS1_11target_archE1030ELNS1_3gpuE2ELNS1_3repE0EEENS1_30default_config_static_selectorELNS0_4arch9wavefront6targetE0EEEvSY_,"axG",@progbits,_ZN7rocprim17ROCPRIM_400000_NS6detail17trampoline_kernelINS0_13select_configILj256ELj13ELNS0_17block_load_methodE3ELS4_3ELS4_3ELNS0_20block_scan_algorithmE0ELj4294967295EEENS1_25partition_config_selectorILNS1_17partition_subalgoE3EjNS0_10empty_typeEbEEZZNS1_14partition_implILS8_3ELb0ES6_jNS0_17counting_iteratorIjlEEPS9_SE_NS0_5tupleIJPjSE_EEENSF_IJSE_SE_EEES9_SG_JZNS1_25segmented_radix_sort_implINS0_14default_configELb1EPKaPaPKlPlN2at6native12_GLOBAL__N_18offset_tEEE10hipError_tPvRmT1_PNSt15iterator_traitsISY_E10value_typeET2_T3_PNSZ_IS14_E10value_typeET4_jRbjT5_S1A_jjP12ihipStream_tbEUljE_EEESV_SW_SX_S14_S18_S1A_T6_T7_T9_mT8_S1C_bDpT10_ENKUlT_T0_E_clISt17integral_constantIbLb1EES1O_IbLb0EEEEDaS1K_S1L_EUlS1K_E_NS1_11comp_targetILNS1_3genE8ELNS1_11target_archE1030ELNS1_3gpuE2ELNS1_3repE0EEENS1_30default_config_static_selectorELNS0_4arch9wavefront6targetE0EEEvSY_,comdat
.Lfunc_end281:
	.size	_ZN7rocprim17ROCPRIM_400000_NS6detail17trampoline_kernelINS0_13select_configILj256ELj13ELNS0_17block_load_methodE3ELS4_3ELS4_3ELNS0_20block_scan_algorithmE0ELj4294967295EEENS1_25partition_config_selectorILNS1_17partition_subalgoE3EjNS0_10empty_typeEbEEZZNS1_14partition_implILS8_3ELb0ES6_jNS0_17counting_iteratorIjlEEPS9_SE_NS0_5tupleIJPjSE_EEENSF_IJSE_SE_EEES9_SG_JZNS1_25segmented_radix_sort_implINS0_14default_configELb1EPKaPaPKlPlN2at6native12_GLOBAL__N_18offset_tEEE10hipError_tPvRmT1_PNSt15iterator_traitsISY_E10value_typeET2_T3_PNSZ_IS14_E10value_typeET4_jRbjT5_S1A_jjP12ihipStream_tbEUljE_EEESV_SW_SX_S14_S18_S1A_T6_T7_T9_mT8_S1C_bDpT10_ENKUlT_T0_E_clISt17integral_constantIbLb1EES1O_IbLb0EEEEDaS1K_S1L_EUlS1K_E_NS1_11comp_targetILNS1_3genE8ELNS1_11target_archE1030ELNS1_3gpuE2ELNS1_3repE0EEENS1_30default_config_static_selectorELNS0_4arch9wavefront6targetE0EEEvSY_, .Lfunc_end281-_ZN7rocprim17ROCPRIM_400000_NS6detail17trampoline_kernelINS0_13select_configILj256ELj13ELNS0_17block_load_methodE3ELS4_3ELS4_3ELNS0_20block_scan_algorithmE0ELj4294967295EEENS1_25partition_config_selectorILNS1_17partition_subalgoE3EjNS0_10empty_typeEbEEZZNS1_14partition_implILS8_3ELb0ES6_jNS0_17counting_iteratorIjlEEPS9_SE_NS0_5tupleIJPjSE_EEENSF_IJSE_SE_EEES9_SG_JZNS1_25segmented_radix_sort_implINS0_14default_configELb1EPKaPaPKlPlN2at6native12_GLOBAL__N_18offset_tEEE10hipError_tPvRmT1_PNSt15iterator_traitsISY_E10value_typeET2_T3_PNSZ_IS14_E10value_typeET4_jRbjT5_S1A_jjP12ihipStream_tbEUljE_EEESV_SW_SX_S14_S18_S1A_T6_T7_T9_mT8_S1C_bDpT10_ENKUlT_T0_E_clISt17integral_constantIbLb1EES1O_IbLb0EEEEDaS1K_S1L_EUlS1K_E_NS1_11comp_targetILNS1_3genE8ELNS1_11target_archE1030ELNS1_3gpuE2ELNS1_3repE0EEENS1_30default_config_static_selectorELNS0_4arch9wavefront6targetE0EEEvSY_
                                        ; -- End function
	.set _ZN7rocprim17ROCPRIM_400000_NS6detail17trampoline_kernelINS0_13select_configILj256ELj13ELNS0_17block_load_methodE3ELS4_3ELS4_3ELNS0_20block_scan_algorithmE0ELj4294967295EEENS1_25partition_config_selectorILNS1_17partition_subalgoE3EjNS0_10empty_typeEbEEZZNS1_14partition_implILS8_3ELb0ES6_jNS0_17counting_iteratorIjlEEPS9_SE_NS0_5tupleIJPjSE_EEENSF_IJSE_SE_EEES9_SG_JZNS1_25segmented_radix_sort_implINS0_14default_configELb1EPKaPaPKlPlN2at6native12_GLOBAL__N_18offset_tEEE10hipError_tPvRmT1_PNSt15iterator_traitsISY_E10value_typeET2_T3_PNSZ_IS14_E10value_typeET4_jRbjT5_S1A_jjP12ihipStream_tbEUljE_EEESV_SW_SX_S14_S18_S1A_T6_T7_T9_mT8_S1C_bDpT10_ENKUlT_T0_E_clISt17integral_constantIbLb1EES1O_IbLb0EEEEDaS1K_S1L_EUlS1K_E_NS1_11comp_targetILNS1_3genE8ELNS1_11target_archE1030ELNS1_3gpuE2ELNS1_3repE0EEENS1_30default_config_static_selectorELNS0_4arch9wavefront6targetE0EEEvSY_.num_vgpr, 0
	.set _ZN7rocprim17ROCPRIM_400000_NS6detail17trampoline_kernelINS0_13select_configILj256ELj13ELNS0_17block_load_methodE3ELS4_3ELS4_3ELNS0_20block_scan_algorithmE0ELj4294967295EEENS1_25partition_config_selectorILNS1_17partition_subalgoE3EjNS0_10empty_typeEbEEZZNS1_14partition_implILS8_3ELb0ES6_jNS0_17counting_iteratorIjlEEPS9_SE_NS0_5tupleIJPjSE_EEENSF_IJSE_SE_EEES9_SG_JZNS1_25segmented_radix_sort_implINS0_14default_configELb1EPKaPaPKlPlN2at6native12_GLOBAL__N_18offset_tEEE10hipError_tPvRmT1_PNSt15iterator_traitsISY_E10value_typeET2_T3_PNSZ_IS14_E10value_typeET4_jRbjT5_S1A_jjP12ihipStream_tbEUljE_EEESV_SW_SX_S14_S18_S1A_T6_T7_T9_mT8_S1C_bDpT10_ENKUlT_T0_E_clISt17integral_constantIbLb1EES1O_IbLb0EEEEDaS1K_S1L_EUlS1K_E_NS1_11comp_targetILNS1_3genE8ELNS1_11target_archE1030ELNS1_3gpuE2ELNS1_3repE0EEENS1_30default_config_static_selectorELNS0_4arch9wavefront6targetE0EEEvSY_.num_agpr, 0
	.set _ZN7rocprim17ROCPRIM_400000_NS6detail17trampoline_kernelINS0_13select_configILj256ELj13ELNS0_17block_load_methodE3ELS4_3ELS4_3ELNS0_20block_scan_algorithmE0ELj4294967295EEENS1_25partition_config_selectorILNS1_17partition_subalgoE3EjNS0_10empty_typeEbEEZZNS1_14partition_implILS8_3ELb0ES6_jNS0_17counting_iteratorIjlEEPS9_SE_NS0_5tupleIJPjSE_EEENSF_IJSE_SE_EEES9_SG_JZNS1_25segmented_radix_sort_implINS0_14default_configELb1EPKaPaPKlPlN2at6native12_GLOBAL__N_18offset_tEEE10hipError_tPvRmT1_PNSt15iterator_traitsISY_E10value_typeET2_T3_PNSZ_IS14_E10value_typeET4_jRbjT5_S1A_jjP12ihipStream_tbEUljE_EEESV_SW_SX_S14_S18_S1A_T6_T7_T9_mT8_S1C_bDpT10_ENKUlT_T0_E_clISt17integral_constantIbLb1EES1O_IbLb0EEEEDaS1K_S1L_EUlS1K_E_NS1_11comp_targetILNS1_3genE8ELNS1_11target_archE1030ELNS1_3gpuE2ELNS1_3repE0EEENS1_30default_config_static_selectorELNS0_4arch9wavefront6targetE0EEEvSY_.numbered_sgpr, 0
	.set _ZN7rocprim17ROCPRIM_400000_NS6detail17trampoline_kernelINS0_13select_configILj256ELj13ELNS0_17block_load_methodE3ELS4_3ELS4_3ELNS0_20block_scan_algorithmE0ELj4294967295EEENS1_25partition_config_selectorILNS1_17partition_subalgoE3EjNS0_10empty_typeEbEEZZNS1_14partition_implILS8_3ELb0ES6_jNS0_17counting_iteratorIjlEEPS9_SE_NS0_5tupleIJPjSE_EEENSF_IJSE_SE_EEES9_SG_JZNS1_25segmented_radix_sort_implINS0_14default_configELb1EPKaPaPKlPlN2at6native12_GLOBAL__N_18offset_tEEE10hipError_tPvRmT1_PNSt15iterator_traitsISY_E10value_typeET2_T3_PNSZ_IS14_E10value_typeET4_jRbjT5_S1A_jjP12ihipStream_tbEUljE_EEESV_SW_SX_S14_S18_S1A_T6_T7_T9_mT8_S1C_bDpT10_ENKUlT_T0_E_clISt17integral_constantIbLb1EES1O_IbLb0EEEEDaS1K_S1L_EUlS1K_E_NS1_11comp_targetILNS1_3genE8ELNS1_11target_archE1030ELNS1_3gpuE2ELNS1_3repE0EEENS1_30default_config_static_selectorELNS0_4arch9wavefront6targetE0EEEvSY_.num_named_barrier, 0
	.set _ZN7rocprim17ROCPRIM_400000_NS6detail17trampoline_kernelINS0_13select_configILj256ELj13ELNS0_17block_load_methodE3ELS4_3ELS4_3ELNS0_20block_scan_algorithmE0ELj4294967295EEENS1_25partition_config_selectorILNS1_17partition_subalgoE3EjNS0_10empty_typeEbEEZZNS1_14partition_implILS8_3ELb0ES6_jNS0_17counting_iteratorIjlEEPS9_SE_NS0_5tupleIJPjSE_EEENSF_IJSE_SE_EEES9_SG_JZNS1_25segmented_radix_sort_implINS0_14default_configELb1EPKaPaPKlPlN2at6native12_GLOBAL__N_18offset_tEEE10hipError_tPvRmT1_PNSt15iterator_traitsISY_E10value_typeET2_T3_PNSZ_IS14_E10value_typeET4_jRbjT5_S1A_jjP12ihipStream_tbEUljE_EEESV_SW_SX_S14_S18_S1A_T6_T7_T9_mT8_S1C_bDpT10_ENKUlT_T0_E_clISt17integral_constantIbLb1EES1O_IbLb0EEEEDaS1K_S1L_EUlS1K_E_NS1_11comp_targetILNS1_3genE8ELNS1_11target_archE1030ELNS1_3gpuE2ELNS1_3repE0EEENS1_30default_config_static_selectorELNS0_4arch9wavefront6targetE0EEEvSY_.private_seg_size, 0
	.set _ZN7rocprim17ROCPRIM_400000_NS6detail17trampoline_kernelINS0_13select_configILj256ELj13ELNS0_17block_load_methodE3ELS4_3ELS4_3ELNS0_20block_scan_algorithmE0ELj4294967295EEENS1_25partition_config_selectorILNS1_17partition_subalgoE3EjNS0_10empty_typeEbEEZZNS1_14partition_implILS8_3ELb0ES6_jNS0_17counting_iteratorIjlEEPS9_SE_NS0_5tupleIJPjSE_EEENSF_IJSE_SE_EEES9_SG_JZNS1_25segmented_radix_sort_implINS0_14default_configELb1EPKaPaPKlPlN2at6native12_GLOBAL__N_18offset_tEEE10hipError_tPvRmT1_PNSt15iterator_traitsISY_E10value_typeET2_T3_PNSZ_IS14_E10value_typeET4_jRbjT5_S1A_jjP12ihipStream_tbEUljE_EEESV_SW_SX_S14_S18_S1A_T6_T7_T9_mT8_S1C_bDpT10_ENKUlT_T0_E_clISt17integral_constantIbLb1EES1O_IbLb0EEEEDaS1K_S1L_EUlS1K_E_NS1_11comp_targetILNS1_3genE8ELNS1_11target_archE1030ELNS1_3gpuE2ELNS1_3repE0EEENS1_30default_config_static_selectorELNS0_4arch9wavefront6targetE0EEEvSY_.uses_vcc, 0
	.set _ZN7rocprim17ROCPRIM_400000_NS6detail17trampoline_kernelINS0_13select_configILj256ELj13ELNS0_17block_load_methodE3ELS4_3ELS4_3ELNS0_20block_scan_algorithmE0ELj4294967295EEENS1_25partition_config_selectorILNS1_17partition_subalgoE3EjNS0_10empty_typeEbEEZZNS1_14partition_implILS8_3ELb0ES6_jNS0_17counting_iteratorIjlEEPS9_SE_NS0_5tupleIJPjSE_EEENSF_IJSE_SE_EEES9_SG_JZNS1_25segmented_radix_sort_implINS0_14default_configELb1EPKaPaPKlPlN2at6native12_GLOBAL__N_18offset_tEEE10hipError_tPvRmT1_PNSt15iterator_traitsISY_E10value_typeET2_T3_PNSZ_IS14_E10value_typeET4_jRbjT5_S1A_jjP12ihipStream_tbEUljE_EEESV_SW_SX_S14_S18_S1A_T6_T7_T9_mT8_S1C_bDpT10_ENKUlT_T0_E_clISt17integral_constantIbLb1EES1O_IbLb0EEEEDaS1K_S1L_EUlS1K_E_NS1_11comp_targetILNS1_3genE8ELNS1_11target_archE1030ELNS1_3gpuE2ELNS1_3repE0EEENS1_30default_config_static_selectorELNS0_4arch9wavefront6targetE0EEEvSY_.uses_flat_scratch, 0
	.set _ZN7rocprim17ROCPRIM_400000_NS6detail17trampoline_kernelINS0_13select_configILj256ELj13ELNS0_17block_load_methodE3ELS4_3ELS4_3ELNS0_20block_scan_algorithmE0ELj4294967295EEENS1_25partition_config_selectorILNS1_17partition_subalgoE3EjNS0_10empty_typeEbEEZZNS1_14partition_implILS8_3ELb0ES6_jNS0_17counting_iteratorIjlEEPS9_SE_NS0_5tupleIJPjSE_EEENSF_IJSE_SE_EEES9_SG_JZNS1_25segmented_radix_sort_implINS0_14default_configELb1EPKaPaPKlPlN2at6native12_GLOBAL__N_18offset_tEEE10hipError_tPvRmT1_PNSt15iterator_traitsISY_E10value_typeET2_T3_PNSZ_IS14_E10value_typeET4_jRbjT5_S1A_jjP12ihipStream_tbEUljE_EEESV_SW_SX_S14_S18_S1A_T6_T7_T9_mT8_S1C_bDpT10_ENKUlT_T0_E_clISt17integral_constantIbLb1EES1O_IbLb0EEEEDaS1K_S1L_EUlS1K_E_NS1_11comp_targetILNS1_3genE8ELNS1_11target_archE1030ELNS1_3gpuE2ELNS1_3repE0EEENS1_30default_config_static_selectorELNS0_4arch9wavefront6targetE0EEEvSY_.has_dyn_sized_stack, 0
	.set _ZN7rocprim17ROCPRIM_400000_NS6detail17trampoline_kernelINS0_13select_configILj256ELj13ELNS0_17block_load_methodE3ELS4_3ELS4_3ELNS0_20block_scan_algorithmE0ELj4294967295EEENS1_25partition_config_selectorILNS1_17partition_subalgoE3EjNS0_10empty_typeEbEEZZNS1_14partition_implILS8_3ELb0ES6_jNS0_17counting_iteratorIjlEEPS9_SE_NS0_5tupleIJPjSE_EEENSF_IJSE_SE_EEES9_SG_JZNS1_25segmented_radix_sort_implINS0_14default_configELb1EPKaPaPKlPlN2at6native12_GLOBAL__N_18offset_tEEE10hipError_tPvRmT1_PNSt15iterator_traitsISY_E10value_typeET2_T3_PNSZ_IS14_E10value_typeET4_jRbjT5_S1A_jjP12ihipStream_tbEUljE_EEESV_SW_SX_S14_S18_S1A_T6_T7_T9_mT8_S1C_bDpT10_ENKUlT_T0_E_clISt17integral_constantIbLb1EES1O_IbLb0EEEEDaS1K_S1L_EUlS1K_E_NS1_11comp_targetILNS1_3genE8ELNS1_11target_archE1030ELNS1_3gpuE2ELNS1_3repE0EEENS1_30default_config_static_selectorELNS0_4arch9wavefront6targetE0EEEvSY_.has_recursion, 0
	.set _ZN7rocprim17ROCPRIM_400000_NS6detail17trampoline_kernelINS0_13select_configILj256ELj13ELNS0_17block_load_methodE3ELS4_3ELS4_3ELNS0_20block_scan_algorithmE0ELj4294967295EEENS1_25partition_config_selectorILNS1_17partition_subalgoE3EjNS0_10empty_typeEbEEZZNS1_14partition_implILS8_3ELb0ES6_jNS0_17counting_iteratorIjlEEPS9_SE_NS0_5tupleIJPjSE_EEENSF_IJSE_SE_EEES9_SG_JZNS1_25segmented_radix_sort_implINS0_14default_configELb1EPKaPaPKlPlN2at6native12_GLOBAL__N_18offset_tEEE10hipError_tPvRmT1_PNSt15iterator_traitsISY_E10value_typeET2_T3_PNSZ_IS14_E10value_typeET4_jRbjT5_S1A_jjP12ihipStream_tbEUljE_EEESV_SW_SX_S14_S18_S1A_T6_T7_T9_mT8_S1C_bDpT10_ENKUlT_T0_E_clISt17integral_constantIbLb1EES1O_IbLb0EEEEDaS1K_S1L_EUlS1K_E_NS1_11comp_targetILNS1_3genE8ELNS1_11target_archE1030ELNS1_3gpuE2ELNS1_3repE0EEENS1_30default_config_static_selectorELNS0_4arch9wavefront6targetE0EEEvSY_.has_indirect_call, 0
	.section	.AMDGPU.csdata,"",@progbits
; Kernel info:
; codeLenInByte = 0
; TotalNumSgprs: 0
; NumVgprs: 0
; ScratchSize: 0
; MemoryBound: 0
; FloatMode: 240
; IeeeMode: 1
; LDSByteSize: 0 bytes/workgroup (compile time only)
; SGPRBlocks: 0
; VGPRBlocks: 0
; NumSGPRsForWavesPerEU: 1
; NumVGPRsForWavesPerEU: 1
; Occupancy: 16
; WaveLimiterHint : 0
; COMPUTE_PGM_RSRC2:SCRATCH_EN: 0
; COMPUTE_PGM_RSRC2:USER_SGPR: 2
; COMPUTE_PGM_RSRC2:TRAP_HANDLER: 0
; COMPUTE_PGM_RSRC2:TGID_X_EN: 1
; COMPUTE_PGM_RSRC2:TGID_Y_EN: 0
; COMPUTE_PGM_RSRC2:TGID_Z_EN: 0
; COMPUTE_PGM_RSRC2:TIDIG_COMP_CNT: 0
	.section	.text._ZN7rocprim17ROCPRIM_400000_NS6detail17trampoline_kernelINS0_13select_configILj256ELj13ELNS0_17block_load_methodE3ELS4_3ELS4_3ELNS0_20block_scan_algorithmE0ELj4294967295EEENS1_25partition_config_selectorILNS1_17partition_subalgoE3EjNS0_10empty_typeEbEEZZNS1_14partition_implILS8_3ELb0ES6_jNS0_17counting_iteratorIjlEEPS9_SE_NS0_5tupleIJPjSE_EEENSF_IJSE_SE_EEES9_SG_JZNS1_25segmented_radix_sort_implINS0_14default_configELb1EPKaPaPKlPlN2at6native12_GLOBAL__N_18offset_tEEE10hipError_tPvRmT1_PNSt15iterator_traitsISY_E10value_typeET2_T3_PNSZ_IS14_E10value_typeET4_jRbjT5_S1A_jjP12ihipStream_tbEUljE_EEESV_SW_SX_S14_S18_S1A_T6_T7_T9_mT8_S1C_bDpT10_ENKUlT_T0_E_clISt17integral_constantIbLb0EES1O_IbLb1EEEEDaS1K_S1L_EUlS1K_E_NS1_11comp_targetILNS1_3genE0ELNS1_11target_archE4294967295ELNS1_3gpuE0ELNS1_3repE0EEENS1_30default_config_static_selectorELNS0_4arch9wavefront6targetE0EEEvSY_,"axG",@progbits,_ZN7rocprim17ROCPRIM_400000_NS6detail17trampoline_kernelINS0_13select_configILj256ELj13ELNS0_17block_load_methodE3ELS4_3ELS4_3ELNS0_20block_scan_algorithmE0ELj4294967295EEENS1_25partition_config_selectorILNS1_17partition_subalgoE3EjNS0_10empty_typeEbEEZZNS1_14partition_implILS8_3ELb0ES6_jNS0_17counting_iteratorIjlEEPS9_SE_NS0_5tupleIJPjSE_EEENSF_IJSE_SE_EEES9_SG_JZNS1_25segmented_radix_sort_implINS0_14default_configELb1EPKaPaPKlPlN2at6native12_GLOBAL__N_18offset_tEEE10hipError_tPvRmT1_PNSt15iterator_traitsISY_E10value_typeET2_T3_PNSZ_IS14_E10value_typeET4_jRbjT5_S1A_jjP12ihipStream_tbEUljE_EEESV_SW_SX_S14_S18_S1A_T6_T7_T9_mT8_S1C_bDpT10_ENKUlT_T0_E_clISt17integral_constantIbLb0EES1O_IbLb1EEEEDaS1K_S1L_EUlS1K_E_NS1_11comp_targetILNS1_3genE0ELNS1_11target_archE4294967295ELNS1_3gpuE0ELNS1_3repE0EEENS1_30default_config_static_selectorELNS0_4arch9wavefront6targetE0EEEvSY_,comdat
	.globl	_ZN7rocprim17ROCPRIM_400000_NS6detail17trampoline_kernelINS0_13select_configILj256ELj13ELNS0_17block_load_methodE3ELS4_3ELS4_3ELNS0_20block_scan_algorithmE0ELj4294967295EEENS1_25partition_config_selectorILNS1_17partition_subalgoE3EjNS0_10empty_typeEbEEZZNS1_14partition_implILS8_3ELb0ES6_jNS0_17counting_iteratorIjlEEPS9_SE_NS0_5tupleIJPjSE_EEENSF_IJSE_SE_EEES9_SG_JZNS1_25segmented_radix_sort_implINS0_14default_configELb1EPKaPaPKlPlN2at6native12_GLOBAL__N_18offset_tEEE10hipError_tPvRmT1_PNSt15iterator_traitsISY_E10value_typeET2_T3_PNSZ_IS14_E10value_typeET4_jRbjT5_S1A_jjP12ihipStream_tbEUljE_EEESV_SW_SX_S14_S18_S1A_T6_T7_T9_mT8_S1C_bDpT10_ENKUlT_T0_E_clISt17integral_constantIbLb0EES1O_IbLb1EEEEDaS1K_S1L_EUlS1K_E_NS1_11comp_targetILNS1_3genE0ELNS1_11target_archE4294967295ELNS1_3gpuE0ELNS1_3repE0EEENS1_30default_config_static_selectorELNS0_4arch9wavefront6targetE0EEEvSY_ ; -- Begin function _ZN7rocprim17ROCPRIM_400000_NS6detail17trampoline_kernelINS0_13select_configILj256ELj13ELNS0_17block_load_methodE3ELS4_3ELS4_3ELNS0_20block_scan_algorithmE0ELj4294967295EEENS1_25partition_config_selectorILNS1_17partition_subalgoE3EjNS0_10empty_typeEbEEZZNS1_14partition_implILS8_3ELb0ES6_jNS0_17counting_iteratorIjlEEPS9_SE_NS0_5tupleIJPjSE_EEENSF_IJSE_SE_EEES9_SG_JZNS1_25segmented_radix_sort_implINS0_14default_configELb1EPKaPaPKlPlN2at6native12_GLOBAL__N_18offset_tEEE10hipError_tPvRmT1_PNSt15iterator_traitsISY_E10value_typeET2_T3_PNSZ_IS14_E10value_typeET4_jRbjT5_S1A_jjP12ihipStream_tbEUljE_EEESV_SW_SX_S14_S18_S1A_T6_T7_T9_mT8_S1C_bDpT10_ENKUlT_T0_E_clISt17integral_constantIbLb0EES1O_IbLb1EEEEDaS1K_S1L_EUlS1K_E_NS1_11comp_targetILNS1_3genE0ELNS1_11target_archE4294967295ELNS1_3gpuE0ELNS1_3repE0EEENS1_30default_config_static_selectorELNS0_4arch9wavefront6targetE0EEEvSY_
	.p2align	8
	.type	_ZN7rocprim17ROCPRIM_400000_NS6detail17trampoline_kernelINS0_13select_configILj256ELj13ELNS0_17block_load_methodE3ELS4_3ELS4_3ELNS0_20block_scan_algorithmE0ELj4294967295EEENS1_25partition_config_selectorILNS1_17partition_subalgoE3EjNS0_10empty_typeEbEEZZNS1_14partition_implILS8_3ELb0ES6_jNS0_17counting_iteratorIjlEEPS9_SE_NS0_5tupleIJPjSE_EEENSF_IJSE_SE_EEES9_SG_JZNS1_25segmented_radix_sort_implINS0_14default_configELb1EPKaPaPKlPlN2at6native12_GLOBAL__N_18offset_tEEE10hipError_tPvRmT1_PNSt15iterator_traitsISY_E10value_typeET2_T3_PNSZ_IS14_E10value_typeET4_jRbjT5_S1A_jjP12ihipStream_tbEUljE_EEESV_SW_SX_S14_S18_S1A_T6_T7_T9_mT8_S1C_bDpT10_ENKUlT_T0_E_clISt17integral_constantIbLb0EES1O_IbLb1EEEEDaS1K_S1L_EUlS1K_E_NS1_11comp_targetILNS1_3genE0ELNS1_11target_archE4294967295ELNS1_3gpuE0ELNS1_3repE0EEENS1_30default_config_static_selectorELNS0_4arch9wavefront6targetE0EEEvSY_,@function
_ZN7rocprim17ROCPRIM_400000_NS6detail17trampoline_kernelINS0_13select_configILj256ELj13ELNS0_17block_load_methodE3ELS4_3ELS4_3ELNS0_20block_scan_algorithmE0ELj4294967295EEENS1_25partition_config_selectorILNS1_17partition_subalgoE3EjNS0_10empty_typeEbEEZZNS1_14partition_implILS8_3ELb0ES6_jNS0_17counting_iteratorIjlEEPS9_SE_NS0_5tupleIJPjSE_EEENSF_IJSE_SE_EEES9_SG_JZNS1_25segmented_radix_sort_implINS0_14default_configELb1EPKaPaPKlPlN2at6native12_GLOBAL__N_18offset_tEEE10hipError_tPvRmT1_PNSt15iterator_traitsISY_E10value_typeET2_T3_PNSZ_IS14_E10value_typeET4_jRbjT5_S1A_jjP12ihipStream_tbEUljE_EEESV_SW_SX_S14_S18_S1A_T6_T7_T9_mT8_S1C_bDpT10_ENKUlT_T0_E_clISt17integral_constantIbLb0EES1O_IbLb1EEEEDaS1K_S1L_EUlS1K_E_NS1_11comp_targetILNS1_3genE0ELNS1_11target_archE4294967295ELNS1_3gpuE0ELNS1_3repE0EEENS1_30default_config_static_selectorELNS0_4arch9wavefront6targetE0EEEvSY_: ; @_ZN7rocprim17ROCPRIM_400000_NS6detail17trampoline_kernelINS0_13select_configILj256ELj13ELNS0_17block_load_methodE3ELS4_3ELS4_3ELNS0_20block_scan_algorithmE0ELj4294967295EEENS1_25partition_config_selectorILNS1_17partition_subalgoE3EjNS0_10empty_typeEbEEZZNS1_14partition_implILS8_3ELb0ES6_jNS0_17counting_iteratorIjlEEPS9_SE_NS0_5tupleIJPjSE_EEENSF_IJSE_SE_EEES9_SG_JZNS1_25segmented_radix_sort_implINS0_14default_configELb1EPKaPaPKlPlN2at6native12_GLOBAL__N_18offset_tEEE10hipError_tPvRmT1_PNSt15iterator_traitsISY_E10value_typeET2_T3_PNSZ_IS14_E10value_typeET4_jRbjT5_S1A_jjP12ihipStream_tbEUljE_EEESV_SW_SX_S14_S18_S1A_T6_T7_T9_mT8_S1C_bDpT10_ENKUlT_T0_E_clISt17integral_constantIbLb0EES1O_IbLb1EEEEDaS1K_S1L_EUlS1K_E_NS1_11comp_targetILNS1_3genE0ELNS1_11target_archE4294967295ELNS1_3gpuE0ELNS1_3repE0EEENS1_30default_config_static_selectorELNS0_4arch9wavefront6targetE0EEEvSY_
; %bb.0:
	.section	.rodata,"a",@progbits
	.p2align	6, 0x0
	.amdhsa_kernel _ZN7rocprim17ROCPRIM_400000_NS6detail17trampoline_kernelINS0_13select_configILj256ELj13ELNS0_17block_load_methodE3ELS4_3ELS4_3ELNS0_20block_scan_algorithmE0ELj4294967295EEENS1_25partition_config_selectorILNS1_17partition_subalgoE3EjNS0_10empty_typeEbEEZZNS1_14partition_implILS8_3ELb0ES6_jNS0_17counting_iteratorIjlEEPS9_SE_NS0_5tupleIJPjSE_EEENSF_IJSE_SE_EEES9_SG_JZNS1_25segmented_radix_sort_implINS0_14default_configELb1EPKaPaPKlPlN2at6native12_GLOBAL__N_18offset_tEEE10hipError_tPvRmT1_PNSt15iterator_traitsISY_E10value_typeET2_T3_PNSZ_IS14_E10value_typeET4_jRbjT5_S1A_jjP12ihipStream_tbEUljE_EEESV_SW_SX_S14_S18_S1A_T6_T7_T9_mT8_S1C_bDpT10_ENKUlT_T0_E_clISt17integral_constantIbLb0EES1O_IbLb1EEEEDaS1K_S1L_EUlS1K_E_NS1_11comp_targetILNS1_3genE0ELNS1_11target_archE4294967295ELNS1_3gpuE0ELNS1_3repE0EEENS1_30default_config_static_selectorELNS0_4arch9wavefront6targetE0EEEvSY_
		.amdhsa_group_segment_fixed_size 0
		.amdhsa_private_segment_fixed_size 0
		.amdhsa_kernarg_size 152
		.amdhsa_user_sgpr_count 2
		.amdhsa_user_sgpr_dispatch_ptr 0
		.amdhsa_user_sgpr_queue_ptr 0
		.amdhsa_user_sgpr_kernarg_segment_ptr 1
		.amdhsa_user_sgpr_dispatch_id 0
		.amdhsa_user_sgpr_private_segment_size 0
		.amdhsa_wavefront_size32 1
		.amdhsa_uses_dynamic_stack 0
		.amdhsa_enable_private_segment 0
		.amdhsa_system_sgpr_workgroup_id_x 1
		.amdhsa_system_sgpr_workgroup_id_y 0
		.amdhsa_system_sgpr_workgroup_id_z 0
		.amdhsa_system_sgpr_workgroup_info 0
		.amdhsa_system_vgpr_workitem_id 0
		.amdhsa_next_free_vgpr 1
		.amdhsa_next_free_sgpr 1
		.amdhsa_reserve_vcc 0
		.amdhsa_float_round_mode_32 0
		.amdhsa_float_round_mode_16_64 0
		.amdhsa_float_denorm_mode_32 3
		.amdhsa_float_denorm_mode_16_64 3
		.amdhsa_fp16_overflow 0
		.amdhsa_workgroup_processor_mode 1
		.amdhsa_memory_ordered 1
		.amdhsa_forward_progress 1
		.amdhsa_inst_pref_size 0
		.amdhsa_round_robin_scheduling 0
		.amdhsa_exception_fp_ieee_invalid_op 0
		.amdhsa_exception_fp_denorm_src 0
		.amdhsa_exception_fp_ieee_div_zero 0
		.amdhsa_exception_fp_ieee_overflow 0
		.amdhsa_exception_fp_ieee_underflow 0
		.amdhsa_exception_fp_ieee_inexact 0
		.amdhsa_exception_int_div_zero 0
	.end_amdhsa_kernel
	.section	.text._ZN7rocprim17ROCPRIM_400000_NS6detail17trampoline_kernelINS0_13select_configILj256ELj13ELNS0_17block_load_methodE3ELS4_3ELS4_3ELNS0_20block_scan_algorithmE0ELj4294967295EEENS1_25partition_config_selectorILNS1_17partition_subalgoE3EjNS0_10empty_typeEbEEZZNS1_14partition_implILS8_3ELb0ES6_jNS0_17counting_iteratorIjlEEPS9_SE_NS0_5tupleIJPjSE_EEENSF_IJSE_SE_EEES9_SG_JZNS1_25segmented_radix_sort_implINS0_14default_configELb1EPKaPaPKlPlN2at6native12_GLOBAL__N_18offset_tEEE10hipError_tPvRmT1_PNSt15iterator_traitsISY_E10value_typeET2_T3_PNSZ_IS14_E10value_typeET4_jRbjT5_S1A_jjP12ihipStream_tbEUljE_EEESV_SW_SX_S14_S18_S1A_T6_T7_T9_mT8_S1C_bDpT10_ENKUlT_T0_E_clISt17integral_constantIbLb0EES1O_IbLb1EEEEDaS1K_S1L_EUlS1K_E_NS1_11comp_targetILNS1_3genE0ELNS1_11target_archE4294967295ELNS1_3gpuE0ELNS1_3repE0EEENS1_30default_config_static_selectorELNS0_4arch9wavefront6targetE0EEEvSY_,"axG",@progbits,_ZN7rocprim17ROCPRIM_400000_NS6detail17trampoline_kernelINS0_13select_configILj256ELj13ELNS0_17block_load_methodE3ELS4_3ELS4_3ELNS0_20block_scan_algorithmE0ELj4294967295EEENS1_25partition_config_selectorILNS1_17partition_subalgoE3EjNS0_10empty_typeEbEEZZNS1_14partition_implILS8_3ELb0ES6_jNS0_17counting_iteratorIjlEEPS9_SE_NS0_5tupleIJPjSE_EEENSF_IJSE_SE_EEES9_SG_JZNS1_25segmented_radix_sort_implINS0_14default_configELb1EPKaPaPKlPlN2at6native12_GLOBAL__N_18offset_tEEE10hipError_tPvRmT1_PNSt15iterator_traitsISY_E10value_typeET2_T3_PNSZ_IS14_E10value_typeET4_jRbjT5_S1A_jjP12ihipStream_tbEUljE_EEESV_SW_SX_S14_S18_S1A_T6_T7_T9_mT8_S1C_bDpT10_ENKUlT_T0_E_clISt17integral_constantIbLb0EES1O_IbLb1EEEEDaS1K_S1L_EUlS1K_E_NS1_11comp_targetILNS1_3genE0ELNS1_11target_archE4294967295ELNS1_3gpuE0ELNS1_3repE0EEENS1_30default_config_static_selectorELNS0_4arch9wavefront6targetE0EEEvSY_,comdat
.Lfunc_end282:
	.size	_ZN7rocprim17ROCPRIM_400000_NS6detail17trampoline_kernelINS0_13select_configILj256ELj13ELNS0_17block_load_methodE3ELS4_3ELS4_3ELNS0_20block_scan_algorithmE0ELj4294967295EEENS1_25partition_config_selectorILNS1_17partition_subalgoE3EjNS0_10empty_typeEbEEZZNS1_14partition_implILS8_3ELb0ES6_jNS0_17counting_iteratorIjlEEPS9_SE_NS0_5tupleIJPjSE_EEENSF_IJSE_SE_EEES9_SG_JZNS1_25segmented_radix_sort_implINS0_14default_configELb1EPKaPaPKlPlN2at6native12_GLOBAL__N_18offset_tEEE10hipError_tPvRmT1_PNSt15iterator_traitsISY_E10value_typeET2_T3_PNSZ_IS14_E10value_typeET4_jRbjT5_S1A_jjP12ihipStream_tbEUljE_EEESV_SW_SX_S14_S18_S1A_T6_T7_T9_mT8_S1C_bDpT10_ENKUlT_T0_E_clISt17integral_constantIbLb0EES1O_IbLb1EEEEDaS1K_S1L_EUlS1K_E_NS1_11comp_targetILNS1_3genE0ELNS1_11target_archE4294967295ELNS1_3gpuE0ELNS1_3repE0EEENS1_30default_config_static_selectorELNS0_4arch9wavefront6targetE0EEEvSY_, .Lfunc_end282-_ZN7rocprim17ROCPRIM_400000_NS6detail17trampoline_kernelINS0_13select_configILj256ELj13ELNS0_17block_load_methodE3ELS4_3ELS4_3ELNS0_20block_scan_algorithmE0ELj4294967295EEENS1_25partition_config_selectorILNS1_17partition_subalgoE3EjNS0_10empty_typeEbEEZZNS1_14partition_implILS8_3ELb0ES6_jNS0_17counting_iteratorIjlEEPS9_SE_NS0_5tupleIJPjSE_EEENSF_IJSE_SE_EEES9_SG_JZNS1_25segmented_radix_sort_implINS0_14default_configELb1EPKaPaPKlPlN2at6native12_GLOBAL__N_18offset_tEEE10hipError_tPvRmT1_PNSt15iterator_traitsISY_E10value_typeET2_T3_PNSZ_IS14_E10value_typeET4_jRbjT5_S1A_jjP12ihipStream_tbEUljE_EEESV_SW_SX_S14_S18_S1A_T6_T7_T9_mT8_S1C_bDpT10_ENKUlT_T0_E_clISt17integral_constantIbLb0EES1O_IbLb1EEEEDaS1K_S1L_EUlS1K_E_NS1_11comp_targetILNS1_3genE0ELNS1_11target_archE4294967295ELNS1_3gpuE0ELNS1_3repE0EEENS1_30default_config_static_selectorELNS0_4arch9wavefront6targetE0EEEvSY_
                                        ; -- End function
	.set _ZN7rocprim17ROCPRIM_400000_NS6detail17trampoline_kernelINS0_13select_configILj256ELj13ELNS0_17block_load_methodE3ELS4_3ELS4_3ELNS0_20block_scan_algorithmE0ELj4294967295EEENS1_25partition_config_selectorILNS1_17partition_subalgoE3EjNS0_10empty_typeEbEEZZNS1_14partition_implILS8_3ELb0ES6_jNS0_17counting_iteratorIjlEEPS9_SE_NS0_5tupleIJPjSE_EEENSF_IJSE_SE_EEES9_SG_JZNS1_25segmented_radix_sort_implINS0_14default_configELb1EPKaPaPKlPlN2at6native12_GLOBAL__N_18offset_tEEE10hipError_tPvRmT1_PNSt15iterator_traitsISY_E10value_typeET2_T3_PNSZ_IS14_E10value_typeET4_jRbjT5_S1A_jjP12ihipStream_tbEUljE_EEESV_SW_SX_S14_S18_S1A_T6_T7_T9_mT8_S1C_bDpT10_ENKUlT_T0_E_clISt17integral_constantIbLb0EES1O_IbLb1EEEEDaS1K_S1L_EUlS1K_E_NS1_11comp_targetILNS1_3genE0ELNS1_11target_archE4294967295ELNS1_3gpuE0ELNS1_3repE0EEENS1_30default_config_static_selectorELNS0_4arch9wavefront6targetE0EEEvSY_.num_vgpr, 0
	.set _ZN7rocprim17ROCPRIM_400000_NS6detail17trampoline_kernelINS0_13select_configILj256ELj13ELNS0_17block_load_methodE3ELS4_3ELS4_3ELNS0_20block_scan_algorithmE0ELj4294967295EEENS1_25partition_config_selectorILNS1_17partition_subalgoE3EjNS0_10empty_typeEbEEZZNS1_14partition_implILS8_3ELb0ES6_jNS0_17counting_iteratorIjlEEPS9_SE_NS0_5tupleIJPjSE_EEENSF_IJSE_SE_EEES9_SG_JZNS1_25segmented_radix_sort_implINS0_14default_configELb1EPKaPaPKlPlN2at6native12_GLOBAL__N_18offset_tEEE10hipError_tPvRmT1_PNSt15iterator_traitsISY_E10value_typeET2_T3_PNSZ_IS14_E10value_typeET4_jRbjT5_S1A_jjP12ihipStream_tbEUljE_EEESV_SW_SX_S14_S18_S1A_T6_T7_T9_mT8_S1C_bDpT10_ENKUlT_T0_E_clISt17integral_constantIbLb0EES1O_IbLb1EEEEDaS1K_S1L_EUlS1K_E_NS1_11comp_targetILNS1_3genE0ELNS1_11target_archE4294967295ELNS1_3gpuE0ELNS1_3repE0EEENS1_30default_config_static_selectorELNS0_4arch9wavefront6targetE0EEEvSY_.num_agpr, 0
	.set _ZN7rocprim17ROCPRIM_400000_NS6detail17trampoline_kernelINS0_13select_configILj256ELj13ELNS0_17block_load_methodE3ELS4_3ELS4_3ELNS0_20block_scan_algorithmE0ELj4294967295EEENS1_25partition_config_selectorILNS1_17partition_subalgoE3EjNS0_10empty_typeEbEEZZNS1_14partition_implILS8_3ELb0ES6_jNS0_17counting_iteratorIjlEEPS9_SE_NS0_5tupleIJPjSE_EEENSF_IJSE_SE_EEES9_SG_JZNS1_25segmented_radix_sort_implINS0_14default_configELb1EPKaPaPKlPlN2at6native12_GLOBAL__N_18offset_tEEE10hipError_tPvRmT1_PNSt15iterator_traitsISY_E10value_typeET2_T3_PNSZ_IS14_E10value_typeET4_jRbjT5_S1A_jjP12ihipStream_tbEUljE_EEESV_SW_SX_S14_S18_S1A_T6_T7_T9_mT8_S1C_bDpT10_ENKUlT_T0_E_clISt17integral_constantIbLb0EES1O_IbLb1EEEEDaS1K_S1L_EUlS1K_E_NS1_11comp_targetILNS1_3genE0ELNS1_11target_archE4294967295ELNS1_3gpuE0ELNS1_3repE0EEENS1_30default_config_static_selectorELNS0_4arch9wavefront6targetE0EEEvSY_.numbered_sgpr, 0
	.set _ZN7rocprim17ROCPRIM_400000_NS6detail17trampoline_kernelINS0_13select_configILj256ELj13ELNS0_17block_load_methodE3ELS4_3ELS4_3ELNS0_20block_scan_algorithmE0ELj4294967295EEENS1_25partition_config_selectorILNS1_17partition_subalgoE3EjNS0_10empty_typeEbEEZZNS1_14partition_implILS8_3ELb0ES6_jNS0_17counting_iteratorIjlEEPS9_SE_NS0_5tupleIJPjSE_EEENSF_IJSE_SE_EEES9_SG_JZNS1_25segmented_radix_sort_implINS0_14default_configELb1EPKaPaPKlPlN2at6native12_GLOBAL__N_18offset_tEEE10hipError_tPvRmT1_PNSt15iterator_traitsISY_E10value_typeET2_T3_PNSZ_IS14_E10value_typeET4_jRbjT5_S1A_jjP12ihipStream_tbEUljE_EEESV_SW_SX_S14_S18_S1A_T6_T7_T9_mT8_S1C_bDpT10_ENKUlT_T0_E_clISt17integral_constantIbLb0EES1O_IbLb1EEEEDaS1K_S1L_EUlS1K_E_NS1_11comp_targetILNS1_3genE0ELNS1_11target_archE4294967295ELNS1_3gpuE0ELNS1_3repE0EEENS1_30default_config_static_selectorELNS0_4arch9wavefront6targetE0EEEvSY_.num_named_barrier, 0
	.set _ZN7rocprim17ROCPRIM_400000_NS6detail17trampoline_kernelINS0_13select_configILj256ELj13ELNS0_17block_load_methodE3ELS4_3ELS4_3ELNS0_20block_scan_algorithmE0ELj4294967295EEENS1_25partition_config_selectorILNS1_17partition_subalgoE3EjNS0_10empty_typeEbEEZZNS1_14partition_implILS8_3ELb0ES6_jNS0_17counting_iteratorIjlEEPS9_SE_NS0_5tupleIJPjSE_EEENSF_IJSE_SE_EEES9_SG_JZNS1_25segmented_radix_sort_implINS0_14default_configELb1EPKaPaPKlPlN2at6native12_GLOBAL__N_18offset_tEEE10hipError_tPvRmT1_PNSt15iterator_traitsISY_E10value_typeET2_T3_PNSZ_IS14_E10value_typeET4_jRbjT5_S1A_jjP12ihipStream_tbEUljE_EEESV_SW_SX_S14_S18_S1A_T6_T7_T9_mT8_S1C_bDpT10_ENKUlT_T0_E_clISt17integral_constantIbLb0EES1O_IbLb1EEEEDaS1K_S1L_EUlS1K_E_NS1_11comp_targetILNS1_3genE0ELNS1_11target_archE4294967295ELNS1_3gpuE0ELNS1_3repE0EEENS1_30default_config_static_selectorELNS0_4arch9wavefront6targetE0EEEvSY_.private_seg_size, 0
	.set _ZN7rocprim17ROCPRIM_400000_NS6detail17trampoline_kernelINS0_13select_configILj256ELj13ELNS0_17block_load_methodE3ELS4_3ELS4_3ELNS0_20block_scan_algorithmE0ELj4294967295EEENS1_25partition_config_selectorILNS1_17partition_subalgoE3EjNS0_10empty_typeEbEEZZNS1_14partition_implILS8_3ELb0ES6_jNS0_17counting_iteratorIjlEEPS9_SE_NS0_5tupleIJPjSE_EEENSF_IJSE_SE_EEES9_SG_JZNS1_25segmented_radix_sort_implINS0_14default_configELb1EPKaPaPKlPlN2at6native12_GLOBAL__N_18offset_tEEE10hipError_tPvRmT1_PNSt15iterator_traitsISY_E10value_typeET2_T3_PNSZ_IS14_E10value_typeET4_jRbjT5_S1A_jjP12ihipStream_tbEUljE_EEESV_SW_SX_S14_S18_S1A_T6_T7_T9_mT8_S1C_bDpT10_ENKUlT_T0_E_clISt17integral_constantIbLb0EES1O_IbLb1EEEEDaS1K_S1L_EUlS1K_E_NS1_11comp_targetILNS1_3genE0ELNS1_11target_archE4294967295ELNS1_3gpuE0ELNS1_3repE0EEENS1_30default_config_static_selectorELNS0_4arch9wavefront6targetE0EEEvSY_.uses_vcc, 0
	.set _ZN7rocprim17ROCPRIM_400000_NS6detail17trampoline_kernelINS0_13select_configILj256ELj13ELNS0_17block_load_methodE3ELS4_3ELS4_3ELNS0_20block_scan_algorithmE0ELj4294967295EEENS1_25partition_config_selectorILNS1_17partition_subalgoE3EjNS0_10empty_typeEbEEZZNS1_14partition_implILS8_3ELb0ES6_jNS0_17counting_iteratorIjlEEPS9_SE_NS0_5tupleIJPjSE_EEENSF_IJSE_SE_EEES9_SG_JZNS1_25segmented_radix_sort_implINS0_14default_configELb1EPKaPaPKlPlN2at6native12_GLOBAL__N_18offset_tEEE10hipError_tPvRmT1_PNSt15iterator_traitsISY_E10value_typeET2_T3_PNSZ_IS14_E10value_typeET4_jRbjT5_S1A_jjP12ihipStream_tbEUljE_EEESV_SW_SX_S14_S18_S1A_T6_T7_T9_mT8_S1C_bDpT10_ENKUlT_T0_E_clISt17integral_constantIbLb0EES1O_IbLb1EEEEDaS1K_S1L_EUlS1K_E_NS1_11comp_targetILNS1_3genE0ELNS1_11target_archE4294967295ELNS1_3gpuE0ELNS1_3repE0EEENS1_30default_config_static_selectorELNS0_4arch9wavefront6targetE0EEEvSY_.uses_flat_scratch, 0
	.set _ZN7rocprim17ROCPRIM_400000_NS6detail17trampoline_kernelINS0_13select_configILj256ELj13ELNS0_17block_load_methodE3ELS4_3ELS4_3ELNS0_20block_scan_algorithmE0ELj4294967295EEENS1_25partition_config_selectorILNS1_17partition_subalgoE3EjNS0_10empty_typeEbEEZZNS1_14partition_implILS8_3ELb0ES6_jNS0_17counting_iteratorIjlEEPS9_SE_NS0_5tupleIJPjSE_EEENSF_IJSE_SE_EEES9_SG_JZNS1_25segmented_radix_sort_implINS0_14default_configELb1EPKaPaPKlPlN2at6native12_GLOBAL__N_18offset_tEEE10hipError_tPvRmT1_PNSt15iterator_traitsISY_E10value_typeET2_T3_PNSZ_IS14_E10value_typeET4_jRbjT5_S1A_jjP12ihipStream_tbEUljE_EEESV_SW_SX_S14_S18_S1A_T6_T7_T9_mT8_S1C_bDpT10_ENKUlT_T0_E_clISt17integral_constantIbLb0EES1O_IbLb1EEEEDaS1K_S1L_EUlS1K_E_NS1_11comp_targetILNS1_3genE0ELNS1_11target_archE4294967295ELNS1_3gpuE0ELNS1_3repE0EEENS1_30default_config_static_selectorELNS0_4arch9wavefront6targetE0EEEvSY_.has_dyn_sized_stack, 0
	.set _ZN7rocprim17ROCPRIM_400000_NS6detail17trampoline_kernelINS0_13select_configILj256ELj13ELNS0_17block_load_methodE3ELS4_3ELS4_3ELNS0_20block_scan_algorithmE0ELj4294967295EEENS1_25partition_config_selectorILNS1_17partition_subalgoE3EjNS0_10empty_typeEbEEZZNS1_14partition_implILS8_3ELb0ES6_jNS0_17counting_iteratorIjlEEPS9_SE_NS0_5tupleIJPjSE_EEENSF_IJSE_SE_EEES9_SG_JZNS1_25segmented_radix_sort_implINS0_14default_configELb1EPKaPaPKlPlN2at6native12_GLOBAL__N_18offset_tEEE10hipError_tPvRmT1_PNSt15iterator_traitsISY_E10value_typeET2_T3_PNSZ_IS14_E10value_typeET4_jRbjT5_S1A_jjP12ihipStream_tbEUljE_EEESV_SW_SX_S14_S18_S1A_T6_T7_T9_mT8_S1C_bDpT10_ENKUlT_T0_E_clISt17integral_constantIbLb0EES1O_IbLb1EEEEDaS1K_S1L_EUlS1K_E_NS1_11comp_targetILNS1_3genE0ELNS1_11target_archE4294967295ELNS1_3gpuE0ELNS1_3repE0EEENS1_30default_config_static_selectorELNS0_4arch9wavefront6targetE0EEEvSY_.has_recursion, 0
	.set _ZN7rocprim17ROCPRIM_400000_NS6detail17trampoline_kernelINS0_13select_configILj256ELj13ELNS0_17block_load_methodE3ELS4_3ELS4_3ELNS0_20block_scan_algorithmE0ELj4294967295EEENS1_25partition_config_selectorILNS1_17partition_subalgoE3EjNS0_10empty_typeEbEEZZNS1_14partition_implILS8_3ELb0ES6_jNS0_17counting_iteratorIjlEEPS9_SE_NS0_5tupleIJPjSE_EEENSF_IJSE_SE_EEES9_SG_JZNS1_25segmented_radix_sort_implINS0_14default_configELb1EPKaPaPKlPlN2at6native12_GLOBAL__N_18offset_tEEE10hipError_tPvRmT1_PNSt15iterator_traitsISY_E10value_typeET2_T3_PNSZ_IS14_E10value_typeET4_jRbjT5_S1A_jjP12ihipStream_tbEUljE_EEESV_SW_SX_S14_S18_S1A_T6_T7_T9_mT8_S1C_bDpT10_ENKUlT_T0_E_clISt17integral_constantIbLb0EES1O_IbLb1EEEEDaS1K_S1L_EUlS1K_E_NS1_11comp_targetILNS1_3genE0ELNS1_11target_archE4294967295ELNS1_3gpuE0ELNS1_3repE0EEENS1_30default_config_static_selectorELNS0_4arch9wavefront6targetE0EEEvSY_.has_indirect_call, 0
	.section	.AMDGPU.csdata,"",@progbits
; Kernel info:
; codeLenInByte = 0
; TotalNumSgprs: 0
; NumVgprs: 0
; ScratchSize: 0
; MemoryBound: 0
; FloatMode: 240
; IeeeMode: 1
; LDSByteSize: 0 bytes/workgroup (compile time only)
; SGPRBlocks: 0
; VGPRBlocks: 0
; NumSGPRsForWavesPerEU: 1
; NumVGPRsForWavesPerEU: 1
; Occupancy: 16
; WaveLimiterHint : 0
; COMPUTE_PGM_RSRC2:SCRATCH_EN: 0
; COMPUTE_PGM_RSRC2:USER_SGPR: 2
; COMPUTE_PGM_RSRC2:TRAP_HANDLER: 0
; COMPUTE_PGM_RSRC2:TGID_X_EN: 1
; COMPUTE_PGM_RSRC2:TGID_Y_EN: 0
; COMPUTE_PGM_RSRC2:TGID_Z_EN: 0
; COMPUTE_PGM_RSRC2:TIDIG_COMP_CNT: 0
	.section	.text._ZN7rocprim17ROCPRIM_400000_NS6detail17trampoline_kernelINS0_13select_configILj256ELj13ELNS0_17block_load_methodE3ELS4_3ELS4_3ELNS0_20block_scan_algorithmE0ELj4294967295EEENS1_25partition_config_selectorILNS1_17partition_subalgoE3EjNS0_10empty_typeEbEEZZNS1_14partition_implILS8_3ELb0ES6_jNS0_17counting_iteratorIjlEEPS9_SE_NS0_5tupleIJPjSE_EEENSF_IJSE_SE_EEES9_SG_JZNS1_25segmented_radix_sort_implINS0_14default_configELb1EPKaPaPKlPlN2at6native12_GLOBAL__N_18offset_tEEE10hipError_tPvRmT1_PNSt15iterator_traitsISY_E10value_typeET2_T3_PNSZ_IS14_E10value_typeET4_jRbjT5_S1A_jjP12ihipStream_tbEUljE_EEESV_SW_SX_S14_S18_S1A_T6_T7_T9_mT8_S1C_bDpT10_ENKUlT_T0_E_clISt17integral_constantIbLb0EES1O_IbLb1EEEEDaS1K_S1L_EUlS1K_E_NS1_11comp_targetILNS1_3genE5ELNS1_11target_archE942ELNS1_3gpuE9ELNS1_3repE0EEENS1_30default_config_static_selectorELNS0_4arch9wavefront6targetE0EEEvSY_,"axG",@progbits,_ZN7rocprim17ROCPRIM_400000_NS6detail17trampoline_kernelINS0_13select_configILj256ELj13ELNS0_17block_load_methodE3ELS4_3ELS4_3ELNS0_20block_scan_algorithmE0ELj4294967295EEENS1_25partition_config_selectorILNS1_17partition_subalgoE3EjNS0_10empty_typeEbEEZZNS1_14partition_implILS8_3ELb0ES6_jNS0_17counting_iteratorIjlEEPS9_SE_NS0_5tupleIJPjSE_EEENSF_IJSE_SE_EEES9_SG_JZNS1_25segmented_radix_sort_implINS0_14default_configELb1EPKaPaPKlPlN2at6native12_GLOBAL__N_18offset_tEEE10hipError_tPvRmT1_PNSt15iterator_traitsISY_E10value_typeET2_T3_PNSZ_IS14_E10value_typeET4_jRbjT5_S1A_jjP12ihipStream_tbEUljE_EEESV_SW_SX_S14_S18_S1A_T6_T7_T9_mT8_S1C_bDpT10_ENKUlT_T0_E_clISt17integral_constantIbLb0EES1O_IbLb1EEEEDaS1K_S1L_EUlS1K_E_NS1_11comp_targetILNS1_3genE5ELNS1_11target_archE942ELNS1_3gpuE9ELNS1_3repE0EEENS1_30default_config_static_selectorELNS0_4arch9wavefront6targetE0EEEvSY_,comdat
	.globl	_ZN7rocprim17ROCPRIM_400000_NS6detail17trampoline_kernelINS0_13select_configILj256ELj13ELNS0_17block_load_methodE3ELS4_3ELS4_3ELNS0_20block_scan_algorithmE0ELj4294967295EEENS1_25partition_config_selectorILNS1_17partition_subalgoE3EjNS0_10empty_typeEbEEZZNS1_14partition_implILS8_3ELb0ES6_jNS0_17counting_iteratorIjlEEPS9_SE_NS0_5tupleIJPjSE_EEENSF_IJSE_SE_EEES9_SG_JZNS1_25segmented_radix_sort_implINS0_14default_configELb1EPKaPaPKlPlN2at6native12_GLOBAL__N_18offset_tEEE10hipError_tPvRmT1_PNSt15iterator_traitsISY_E10value_typeET2_T3_PNSZ_IS14_E10value_typeET4_jRbjT5_S1A_jjP12ihipStream_tbEUljE_EEESV_SW_SX_S14_S18_S1A_T6_T7_T9_mT8_S1C_bDpT10_ENKUlT_T0_E_clISt17integral_constantIbLb0EES1O_IbLb1EEEEDaS1K_S1L_EUlS1K_E_NS1_11comp_targetILNS1_3genE5ELNS1_11target_archE942ELNS1_3gpuE9ELNS1_3repE0EEENS1_30default_config_static_selectorELNS0_4arch9wavefront6targetE0EEEvSY_ ; -- Begin function _ZN7rocprim17ROCPRIM_400000_NS6detail17trampoline_kernelINS0_13select_configILj256ELj13ELNS0_17block_load_methodE3ELS4_3ELS4_3ELNS0_20block_scan_algorithmE0ELj4294967295EEENS1_25partition_config_selectorILNS1_17partition_subalgoE3EjNS0_10empty_typeEbEEZZNS1_14partition_implILS8_3ELb0ES6_jNS0_17counting_iteratorIjlEEPS9_SE_NS0_5tupleIJPjSE_EEENSF_IJSE_SE_EEES9_SG_JZNS1_25segmented_radix_sort_implINS0_14default_configELb1EPKaPaPKlPlN2at6native12_GLOBAL__N_18offset_tEEE10hipError_tPvRmT1_PNSt15iterator_traitsISY_E10value_typeET2_T3_PNSZ_IS14_E10value_typeET4_jRbjT5_S1A_jjP12ihipStream_tbEUljE_EEESV_SW_SX_S14_S18_S1A_T6_T7_T9_mT8_S1C_bDpT10_ENKUlT_T0_E_clISt17integral_constantIbLb0EES1O_IbLb1EEEEDaS1K_S1L_EUlS1K_E_NS1_11comp_targetILNS1_3genE5ELNS1_11target_archE942ELNS1_3gpuE9ELNS1_3repE0EEENS1_30default_config_static_selectorELNS0_4arch9wavefront6targetE0EEEvSY_
	.p2align	8
	.type	_ZN7rocprim17ROCPRIM_400000_NS6detail17trampoline_kernelINS0_13select_configILj256ELj13ELNS0_17block_load_methodE3ELS4_3ELS4_3ELNS0_20block_scan_algorithmE0ELj4294967295EEENS1_25partition_config_selectorILNS1_17partition_subalgoE3EjNS0_10empty_typeEbEEZZNS1_14partition_implILS8_3ELb0ES6_jNS0_17counting_iteratorIjlEEPS9_SE_NS0_5tupleIJPjSE_EEENSF_IJSE_SE_EEES9_SG_JZNS1_25segmented_radix_sort_implINS0_14default_configELb1EPKaPaPKlPlN2at6native12_GLOBAL__N_18offset_tEEE10hipError_tPvRmT1_PNSt15iterator_traitsISY_E10value_typeET2_T3_PNSZ_IS14_E10value_typeET4_jRbjT5_S1A_jjP12ihipStream_tbEUljE_EEESV_SW_SX_S14_S18_S1A_T6_T7_T9_mT8_S1C_bDpT10_ENKUlT_T0_E_clISt17integral_constantIbLb0EES1O_IbLb1EEEEDaS1K_S1L_EUlS1K_E_NS1_11comp_targetILNS1_3genE5ELNS1_11target_archE942ELNS1_3gpuE9ELNS1_3repE0EEENS1_30default_config_static_selectorELNS0_4arch9wavefront6targetE0EEEvSY_,@function
_ZN7rocprim17ROCPRIM_400000_NS6detail17trampoline_kernelINS0_13select_configILj256ELj13ELNS0_17block_load_methodE3ELS4_3ELS4_3ELNS0_20block_scan_algorithmE0ELj4294967295EEENS1_25partition_config_selectorILNS1_17partition_subalgoE3EjNS0_10empty_typeEbEEZZNS1_14partition_implILS8_3ELb0ES6_jNS0_17counting_iteratorIjlEEPS9_SE_NS0_5tupleIJPjSE_EEENSF_IJSE_SE_EEES9_SG_JZNS1_25segmented_radix_sort_implINS0_14default_configELb1EPKaPaPKlPlN2at6native12_GLOBAL__N_18offset_tEEE10hipError_tPvRmT1_PNSt15iterator_traitsISY_E10value_typeET2_T3_PNSZ_IS14_E10value_typeET4_jRbjT5_S1A_jjP12ihipStream_tbEUljE_EEESV_SW_SX_S14_S18_S1A_T6_T7_T9_mT8_S1C_bDpT10_ENKUlT_T0_E_clISt17integral_constantIbLb0EES1O_IbLb1EEEEDaS1K_S1L_EUlS1K_E_NS1_11comp_targetILNS1_3genE5ELNS1_11target_archE942ELNS1_3gpuE9ELNS1_3repE0EEENS1_30default_config_static_selectorELNS0_4arch9wavefront6targetE0EEEvSY_: ; @_ZN7rocprim17ROCPRIM_400000_NS6detail17trampoline_kernelINS0_13select_configILj256ELj13ELNS0_17block_load_methodE3ELS4_3ELS4_3ELNS0_20block_scan_algorithmE0ELj4294967295EEENS1_25partition_config_selectorILNS1_17partition_subalgoE3EjNS0_10empty_typeEbEEZZNS1_14partition_implILS8_3ELb0ES6_jNS0_17counting_iteratorIjlEEPS9_SE_NS0_5tupleIJPjSE_EEENSF_IJSE_SE_EEES9_SG_JZNS1_25segmented_radix_sort_implINS0_14default_configELb1EPKaPaPKlPlN2at6native12_GLOBAL__N_18offset_tEEE10hipError_tPvRmT1_PNSt15iterator_traitsISY_E10value_typeET2_T3_PNSZ_IS14_E10value_typeET4_jRbjT5_S1A_jjP12ihipStream_tbEUljE_EEESV_SW_SX_S14_S18_S1A_T6_T7_T9_mT8_S1C_bDpT10_ENKUlT_T0_E_clISt17integral_constantIbLb0EES1O_IbLb1EEEEDaS1K_S1L_EUlS1K_E_NS1_11comp_targetILNS1_3genE5ELNS1_11target_archE942ELNS1_3gpuE9ELNS1_3repE0EEENS1_30default_config_static_selectorELNS0_4arch9wavefront6targetE0EEEvSY_
; %bb.0:
	.section	.rodata,"a",@progbits
	.p2align	6, 0x0
	.amdhsa_kernel _ZN7rocprim17ROCPRIM_400000_NS6detail17trampoline_kernelINS0_13select_configILj256ELj13ELNS0_17block_load_methodE3ELS4_3ELS4_3ELNS0_20block_scan_algorithmE0ELj4294967295EEENS1_25partition_config_selectorILNS1_17partition_subalgoE3EjNS0_10empty_typeEbEEZZNS1_14partition_implILS8_3ELb0ES6_jNS0_17counting_iteratorIjlEEPS9_SE_NS0_5tupleIJPjSE_EEENSF_IJSE_SE_EEES9_SG_JZNS1_25segmented_radix_sort_implINS0_14default_configELb1EPKaPaPKlPlN2at6native12_GLOBAL__N_18offset_tEEE10hipError_tPvRmT1_PNSt15iterator_traitsISY_E10value_typeET2_T3_PNSZ_IS14_E10value_typeET4_jRbjT5_S1A_jjP12ihipStream_tbEUljE_EEESV_SW_SX_S14_S18_S1A_T6_T7_T9_mT8_S1C_bDpT10_ENKUlT_T0_E_clISt17integral_constantIbLb0EES1O_IbLb1EEEEDaS1K_S1L_EUlS1K_E_NS1_11comp_targetILNS1_3genE5ELNS1_11target_archE942ELNS1_3gpuE9ELNS1_3repE0EEENS1_30default_config_static_selectorELNS0_4arch9wavefront6targetE0EEEvSY_
		.amdhsa_group_segment_fixed_size 0
		.amdhsa_private_segment_fixed_size 0
		.amdhsa_kernarg_size 152
		.amdhsa_user_sgpr_count 2
		.amdhsa_user_sgpr_dispatch_ptr 0
		.amdhsa_user_sgpr_queue_ptr 0
		.amdhsa_user_sgpr_kernarg_segment_ptr 1
		.amdhsa_user_sgpr_dispatch_id 0
		.amdhsa_user_sgpr_private_segment_size 0
		.amdhsa_wavefront_size32 1
		.amdhsa_uses_dynamic_stack 0
		.amdhsa_enable_private_segment 0
		.amdhsa_system_sgpr_workgroup_id_x 1
		.amdhsa_system_sgpr_workgroup_id_y 0
		.amdhsa_system_sgpr_workgroup_id_z 0
		.amdhsa_system_sgpr_workgroup_info 0
		.amdhsa_system_vgpr_workitem_id 0
		.amdhsa_next_free_vgpr 1
		.amdhsa_next_free_sgpr 1
		.amdhsa_reserve_vcc 0
		.amdhsa_float_round_mode_32 0
		.amdhsa_float_round_mode_16_64 0
		.amdhsa_float_denorm_mode_32 3
		.amdhsa_float_denorm_mode_16_64 3
		.amdhsa_fp16_overflow 0
		.amdhsa_workgroup_processor_mode 1
		.amdhsa_memory_ordered 1
		.amdhsa_forward_progress 1
		.amdhsa_inst_pref_size 0
		.amdhsa_round_robin_scheduling 0
		.amdhsa_exception_fp_ieee_invalid_op 0
		.amdhsa_exception_fp_denorm_src 0
		.amdhsa_exception_fp_ieee_div_zero 0
		.amdhsa_exception_fp_ieee_overflow 0
		.amdhsa_exception_fp_ieee_underflow 0
		.amdhsa_exception_fp_ieee_inexact 0
		.amdhsa_exception_int_div_zero 0
	.end_amdhsa_kernel
	.section	.text._ZN7rocprim17ROCPRIM_400000_NS6detail17trampoline_kernelINS0_13select_configILj256ELj13ELNS0_17block_load_methodE3ELS4_3ELS4_3ELNS0_20block_scan_algorithmE0ELj4294967295EEENS1_25partition_config_selectorILNS1_17partition_subalgoE3EjNS0_10empty_typeEbEEZZNS1_14partition_implILS8_3ELb0ES6_jNS0_17counting_iteratorIjlEEPS9_SE_NS0_5tupleIJPjSE_EEENSF_IJSE_SE_EEES9_SG_JZNS1_25segmented_radix_sort_implINS0_14default_configELb1EPKaPaPKlPlN2at6native12_GLOBAL__N_18offset_tEEE10hipError_tPvRmT1_PNSt15iterator_traitsISY_E10value_typeET2_T3_PNSZ_IS14_E10value_typeET4_jRbjT5_S1A_jjP12ihipStream_tbEUljE_EEESV_SW_SX_S14_S18_S1A_T6_T7_T9_mT8_S1C_bDpT10_ENKUlT_T0_E_clISt17integral_constantIbLb0EES1O_IbLb1EEEEDaS1K_S1L_EUlS1K_E_NS1_11comp_targetILNS1_3genE5ELNS1_11target_archE942ELNS1_3gpuE9ELNS1_3repE0EEENS1_30default_config_static_selectorELNS0_4arch9wavefront6targetE0EEEvSY_,"axG",@progbits,_ZN7rocprim17ROCPRIM_400000_NS6detail17trampoline_kernelINS0_13select_configILj256ELj13ELNS0_17block_load_methodE3ELS4_3ELS4_3ELNS0_20block_scan_algorithmE0ELj4294967295EEENS1_25partition_config_selectorILNS1_17partition_subalgoE3EjNS0_10empty_typeEbEEZZNS1_14partition_implILS8_3ELb0ES6_jNS0_17counting_iteratorIjlEEPS9_SE_NS0_5tupleIJPjSE_EEENSF_IJSE_SE_EEES9_SG_JZNS1_25segmented_radix_sort_implINS0_14default_configELb1EPKaPaPKlPlN2at6native12_GLOBAL__N_18offset_tEEE10hipError_tPvRmT1_PNSt15iterator_traitsISY_E10value_typeET2_T3_PNSZ_IS14_E10value_typeET4_jRbjT5_S1A_jjP12ihipStream_tbEUljE_EEESV_SW_SX_S14_S18_S1A_T6_T7_T9_mT8_S1C_bDpT10_ENKUlT_T0_E_clISt17integral_constantIbLb0EES1O_IbLb1EEEEDaS1K_S1L_EUlS1K_E_NS1_11comp_targetILNS1_3genE5ELNS1_11target_archE942ELNS1_3gpuE9ELNS1_3repE0EEENS1_30default_config_static_selectorELNS0_4arch9wavefront6targetE0EEEvSY_,comdat
.Lfunc_end283:
	.size	_ZN7rocprim17ROCPRIM_400000_NS6detail17trampoline_kernelINS0_13select_configILj256ELj13ELNS0_17block_load_methodE3ELS4_3ELS4_3ELNS0_20block_scan_algorithmE0ELj4294967295EEENS1_25partition_config_selectorILNS1_17partition_subalgoE3EjNS0_10empty_typeEbEEZZNS1_14partition_implILS8_3ELb0ES6_jNS0_17counting_iteratorIjlEEPS9_SE_NS0_5tupleIJPjSE_EEENSF_IJSE_SE_EEES9_SG_JZNS1_25segmented_radix_sort_implINS0_14default_configELb1EPKaPaPKlPlN2at6native12_GLOBAL__N_18offset_tEEE10hipError_tPvRmT1_PNSt15iterator_traitsISY_E10value_typeET2_T3_PNSZ_IS14_E10value_typeET4_jRbjT5_S1A_jjP12ihipStream_tbEUljE_EEESV_SW_SX_S14_S18_S1A_T6_T7_T9_mT8_S1C_bDpT10_ENKUlT_T0_E_clISt17integral_constantIbLb0EES1O_IbLb1EEEEDaS1K_S1L_EUlS1K_E_NS1_11comp_targetILNS1_3genE5ELNS1_11target_archE942ELNS1_3gpuE9ELNS1_3repE0EEENS1_30default_config_static_selectorELNS0_4arch9wavefront6targetE0EEEvSY_, .Lfunc_end283-_ZN7rocprim17ROCPRIM_400000_NS6detail17trampoline_kernelINS0_13select_configILj256ELj13ELNS0_17block_load_methodE3ELS4_3ELS4_3ELNS0_20block_scan_algorithmE0ELj4294967295EEENS1_25partition_config_selectorILNS1_17partition_subalgoE3EjNS0_10empty_typeEbEEZZNS1_14partition_implILS8_3ELb0ES6_jNS0_17counting_iteratorIjlEEPS9_SE_NS0_5tupleIJPjSE_EEENSF_IJSE_SE_EEES9_SG_JZNS1_25segmented_radix_sort_implINS0_14default_configELb1EPKaPaPKlPlN2at6native12_GLOBAL__N_18offset_tEEE10hipError_tPvRmT1_PNSt15iterator_traitsISY_E10value_typeET2_T3_PNSZ_IS14_E10value_typeET4_jRbjT5_S1A_jjP12ihipStream_tbEUljE_EEESV_SW_SX_S14_S18_S1A_T6_T7_T9_mT8_S1C_bDpT10_ENKUlT_T0_E_clISt17integral_constantIbLb0EES1O_IbLb1EEEEDaS1K_S1L_EUlS1K_E_NS1_11comp_targetILNS1_3genE5ELNS1_11target_archE942ELNS1_3gpuE9ELNS1_3repE0EEENS1_30default_config_static_selectorELNS0_4arch9wavefront6targetE0EEEvSY_
                                        ; -- End function
	.set _ZN7rocprim17ROCPRIM_400000_NS6detail17trampoline_kernelINS0_13select_configILj256ELj13ELNS0_17block_load_methodE3ELS4_3ELS4_3ELNS0_20block_scan_algorithmE0ELj4294967295EEENS1_25partition_config_selectorILNS1_17partition_subalgoE3EjNS0_10empty_typeEbEEZZNS1_14partition_implILS8_3ELb0ES6_jNS0_17counting_iteratorIjlEEPS9_SE_NS0_5tupleIJPjSE_EEENSF_IJSE_SE_EEES9_SG_JZNS1_25segmented_radix_sort_implINS0_14default_configELb1EPKaPaPKlPlN2at6native12_GLOBAL__N_18offset_tEEE10hipError_tPvRmT1_PNSt15iterator_traitsISY_E10value_typeET2_T3_PNSZ_IS14_E10value_typeET4_jRbjT5_S1A_jjP12ihipStream_tbEUljE_EEESV_SW_SX_S14_S18_S1A_T6_T7_T9_mT8_S1C_bDpT10_ENKUlT_T0_E_clISt17integral_constantIbLb0EES1O_IbLb1EEEEDaS1K_S1L_EUlS1K_E_NS1_11comp_targetILNS1_3genE5ELNS1_11target_archE942ELNS1_3gpuE9ELNS1_3repE0EEENS1_30default_config_static_selectorELNS0_4arch9wavefront6targetE0EEEvSY_.num_vgpr, 0
	.set _ZN7rocprim17ROCPRIM_400000_NS6detail17trampoline_kernelINS0_13select_configILj256ELj13ELNS0_17block_load_methodE3ELS4_3ELS4_3ELNS0_20block_scan_algorithmE0ELj4294967295EEENS1_25partition_config_selectorILNS1_17partition_subalgoE3EjNS0_10empty_typeEbEEZZNS1_14partition_implILS8_3ELb0ES6_jNS0_17counting_iteratorIjlEEPS9_SE_NS0_5tupleIJPjSE_EEENSF_IJSE_SE_EEES9_SG_JZNS1_25segmented_radix_sort_implINS0_14default_configELb1EPKaPaPKlPlN2at6native12_GLOBAL__N_18offset_tEEE10hipError_tPvRmT1_PNSt15iterator_traitsISY_E10value_typeET2_T3_PNSZ_IS14_E10value_typeET4_jRbjT5_S1A_jjP12ihipStream_tbEUljE_EEESV_SW_SX_S14_S18_S1A_T6_T7_T9_mT8_S1C_bDpT10_ENKUlT_T0_E_clISt17integral_constantIbLb0EES1O_IbLb1EEEEDaS1K_S1L_EUlS1K_E_NS1_11comp_targetILNS1_3genE5ELNS1_11target_archE942ELNS1_3gpuE9ELNS1_3repE0EEENS1_30default_config_static_selectorELNS0_4arch9wavefront6targetE0EEEvSY_.num_agpr, 0
	.set _ZN7rocprim17ROCPRIM_400000_NS6detail17trampoline_kernelINS0_13select_configILj256ELj13ELNS0_17block_load_methodE3ELS4_3ELS4_3ELNS0_20block_scan_algorithmE0ELj4294967295EEENS1_25partition_config_selectorILNS1_17partition_subalgoE3EjNS0_10empty_typeEbEEZZNS1_14partition_implILS8_3ELb0ES6_jNS0_17counting_iteratorIjlEEPS9_SE_NS0_5tupleIJPjSE_EEENSF_IJSE_SE_EEES9_SG_JZNS1_25segmented_radix_sort_implINS0_14default_configELb1EPKaPaPKlPlN2at6native12_GLOBAL__N_18offset_tEEE10hipError_tPvRmT1_PNSt15iterator_traitsISY_E10value_typeET2_T3_PNSZ_IS14_E10value_typeET4_jRbjT5_S1A_jjP12ihipStream_tbEUljE_EEESV_SW_SX_S14_S18_S1A_T6_T7_T9_mT8_S1C_bDpT10_ENKUlT_T0_E_clISt17integral_constantIbLb0EES1O_IbLb1EEEEDaS1K_S1L_EUlS1K_E_NS1_11comp_targetILNS1_3genE5ELNS1_11target_archE942ELNS1_3gpuE9ELNS1_3repE0EEENS1_30default_config_static_selectorELNS0_4arch9wavefront6targetE0EEEvSY_.numbered_sgpr, 0
	.set _ZN7rocprim17ROCPRIM_400000_NS6detail17trampoline_kernelINS0_13select_configILj256ELj13ELNS0_17block_load_methodE3ELS4_3ELS4_3ELNS0_20block_scan_algorithmE0ELj4294967295EEENS1_25partition_config_selectorILNS1_17partition_subalgoE3EjNS0_10empty_typeEbEEZZNS1_14partition_implILS8_3ELb0ES6_jNS0_17counting_iteratorIjlEEPS9_SE_NS0_5tupleIJPjSE_EEENSF_IJSE_SE_EEES9_SG_JZNS1_25segmented_radix_sort_implINS0_14default_configELb1EPKaPaPKlPlN2at6native12_GLOBAL__N_18offset_tEEE10hipError_tPvRmT1_PNSt15iterator_traitsISY_E10value_typeET2_T3_PNSZ_IS14_E10value_typeET4_jRbjT5_S1A_jjP12ihipStream_tbEUljE_EEESV_SW_SX_S14_S18_S1A_T6_T7_T9_mT8_S1C_bDpT10_ENKUlT_T0_E_clISt17integral_constantIbLb0EES1O_IbLb1EEEEDaS1K_S1L_EUlS1K_E_NS1_11comp_targetILNS1_3genE5ELNS1_11target_archE942ELNS1_3gpuE9ELNS1_3repE0EEENS1_30default_config_static_selectorELNS0_4arch9wavefront6targetE0EEEvSY_.num_named_barrier, 0
	.set _ZN7rocprim17ROCPRIM_400000_NS6detail17trampoline_kernelINS0_13select_configILj256ELj13ELNS0_17block_load_methodE3ELS4_3ELS4_3ELNS0_20block_scan_algorithmE0ELj4294967295EEENS1_25partition_config_selectorILNS1_17partition_subalgoE3EjNS0_10empty_typeEbEEZZNS1_14partition_implILS8_3ELb0ES6_jNS0_17counting_iteratorIjlEEPS9_SE_NS0_5tupleIJPjSE_EEENSF_IJSE_SE_EEES9_SG_JZNS1_25segmented_radix_sort_implINS0_14default_configELb1EPKaPaPKlPlN2at6native12_GLOBAL__N_18offset_tEEE10hipError_tPvRmT1_PNSt15iterator_traitsISY_E10value_typeET2_T3_PNSZ_IS14_E10value_typeET4_jRbjT5_S1A_jjP12ihipStream_tbEUljE_EEESV_SW_SX_S14_S18_S1A_T6_T7_T9_mT8_S1C_bDpT10_ENKUlT_T0_E_clISt17integral_constantIbLb0EES1O_IbLb1EEEEDaS1K_S1L_EUlS1K_E_NS1_11comp_targetILNS1_3genE5ELNS1_11target_archE942ELNS1_3gpuE9ELNS1_3repE0EEENS1_30default_config_static_selectorELNS0_4arch9wavefront6targetE0EEEvSY_.private_seg_size, 0
	.set _ZN7rocprim17ROCPRIM_400000_NS6detail17trampoline_kernelINS0_13select_configILj256ELj13ELNS0_17block_load_methodE3ELS4_3ELS4_3ELNS0_20block_scan_algorithmE0ELj4294967295EEENS1_25partition_config_selectorILNS1_17partition_subalgoE3EjNS0_10empty_typeEbEEZZNS1_14partition_implILS8_3ELb0ES6_jNS0_17counting_iteratorIjlEEPS9_SE_NS0_5tupleIJPjSE_EEENSF_IJSE_SE_EEES9_SG_JZNS1_25segmented_radix_sort_implINS0_14default_configELb1EPKaPaPKlPlN2at6native12_GLOBAL__N_18offset_tEEE10hipError_tPvRmT1_PNSt15iterator_traitsISY_E10value_typeET2_T3_PNSZ_IS14_E10value_typeET4_jRbjT5_S1A_jjP12ihipStream_tbEUljE_EEESV_SW_SX_S14_S18_S1A_T6_T7_T9_mT8_S1C_bDpT10_ENKUlT_T0_E_clISt17integral_constantIbLb0EES1O_IbLb1EEEEDaS1K_S1L_EUlS1K_E_NS1_11comp_targetILNS1_3genE5ELNS1_11target_archE942ELNS1_3gpuE9ELNS1_3repE0EEENS1_30default_config_static_selectorELNS0_4arch9wavefront6targetE0EEEvSY_.uses_vcc, 0
	.set _ZN7rocprim17ROCPRIM_400000_NS6detail17trampoline_kernelINS0_13select_configILj256ELj13ELNS0_17block_load_methodE3ELS4_3ELS4_3ELNS0_20block_scan_algorithmE0ELj4294967295EEENS1_25partition_config_selectorILNS1_17partition_subalgoE3EjNS0_10empty_typeEbEEZZNS1_14partition_implILS8_3ELb0ES6_jNS0_17counting_iteratorIjlEEPS9_SE_NS0_5tupleIJPjSE_EEENSF_IJSE_SE_EEES9_SG_JZNS1_25segmented_radix_sort_implINS0_14default_configELb1EPKaPaPKlPlN2at6native12_GLOBAL__N_18offset_tEEE10hipError_tPvRmT1_PNSt15iterator_traitsISY_E10value_typeET2_T3_PNSZ_IS14_E10value_typeET4_jRbjT5_S1A_jjP12ihipStream_tbEUljE_EEESV_SW_SX_S14_S18_S1A_T6_T7_T9_mT8_S1C_bDpT10_ENKUlT_T0_E_clISt17integral_constantIbLb0EES1O_IbLb1EEEEDaS1K_S1L_EUlS1K_E_NS1_11comp_targetILNS1_3genE5ELNS1_11target_archE942ELNS1_3gpuE9ELNS1_3repE0EEENS1_30default_config_static_selectorELNS0_4arch9wavefront6targetE0EEEvSY_.uses_flat_scratch, 0
	.set _ZN7rocprim17ROCPRIM_400000_NS6detail17trampoline_kernelINS0_13select_configILj256ELj13ELNS0_17block_load_methodE3ELS4_3ELS4_3ELNS0_20block_scan_algorithmE0ELj4294967295EEENS1_25partition_config_selectorILNS1_17partition_subalgoE3EjNS0_10empty_typeEbEEZZNS1_14partition_implILS8_3ELb0ES6_jNS0_17counting_iteratorIjlEEPS9_SE_NS0_5tupleIJPjSE_EEENSF_IJSE_SE_EEES9_SG_JZNS1_25segmented_radix_sort_implINS0_14default_configELb1EPKaPaPKlPlN2at6native12_GLOBAL__N_18offset_tEEE10hipError_tPvRmT1_PNSt15iterator_traitsISY_E10value_typeET2_T3_PNSZ_IS14_E10value_typeET4_jRbjT5_S1A_jjP12ihipStream_tbEUljE_EEESV_SW_SX_S14_S18_S1A_T6_T7_T9_mT8_S1C_bDpT10_ENKUlT_T0_E_clISt17integral_constantIbLb0EES1O_IbLb1EEEEDaS1K_S1L_EUlS1K_E_NS1_11comp_targetILNS1_3genE5ELNS1_11target_archE942ELNS1_3gpuE9ELNS1_3repE0EEENS1_30default_config_static_selectorELNS0_4arch9wavefront6targetE0EEEvSY_.has_dyn_sized_stack, 0
	.set _ZN7rocprim17ROCPRIM_400000_NS6detail17trampoline_kernelINS0_13select_configILj256ELj13ELNS0_17block_load_methodE3ELS4_3ELS4_3ELNS0_20block_scan_algorithmE0ELj4294967295EEENS1_25partition_config_selectorILNS1_17partition_subalgoE3EjNS0_10empty_typeEbEEZZNS1_14partition_implILS8_3ELb0ES6_jNS0_17counting_iteratorIjlEEPS9_SE_NS0_5tupleIJPjSE_EEENSF_IJSE_SE_EEES9_SG_JZNS1_25segmented_radix_sort_implINS0_14default_configELb1EPKaPaPKlPlN2at6native12_GLOBAL__N_18offset_tEEE10hipError_tPvRmT1_PNSt15iterator_traitsISY_E10value_typeET2_T3_PNSZ_IS14_E10value_typeET4_jRbjT5_S1A_jjP12ihipStream_tbEUljE_EEESV_SW_SX_S14_S18_S1A_T6_T7_T9_mT8_S1C_bDpT10_ENKUlT_T0_E_clISt17integral_constantIbLb0EES1O_IbLb1EEEEDaS1K_S1L_EUlS1K_E_NS1_11comp_targetILNS1_3genE5ELNS1_11target_archE942ELNS1_3gpuE9ELNS1_3repE0EEENS1_30default_config_static_selectorELNS0_4arch9wavefront6targetE0EEEvSY_.has_recursion, 0
	.set _ZN7rocprim17ROCPRIM_400000_NS6detail17trampoline_kernelINS0_13select_configILj256ELj13ELNS0_17block_load_methodE3ELS4_3ELS4_3ELNS0_20block_scan_algorithmE0ELj4294967295EEENS1_25partition_config_selectorILNS1_17partition_subalgoE3EjNS0_10empty_typeEbEEZZNS1_14partition_implILS8_3ELb0ES6_jNS0_17counting_iteratorIjlEEPS9_SE_NS0_5tupleIJPjSE_EEENSF_IJSE_SE_EEES9_SG_JZNS1_25segmented_radix_sort_implINS0_14default_configELb1EPKaPaPKlPlN2at6native12_GLOBAL__N_18offset_tEEE10hipError_tPvRmT1_PNSt15iterator_traitsISY_E10value_typeET2_T3_PNSZ_IS14_E10value_typeET4_jRbjT5_S1A_jjP12ihipStream_tbEUljE_EEESV_SW_SX_S14_S18_S1A_T6_T7_T9_mT8_S1C_bDpT10_ENKUlT_T0_E_clISt17integral_constantIbLb0EES1O_IbLb1EEEEDaS1K_S1L_EUlS1K_E_NS1_11comp_targetILNS1_3genE5ELNS1_11target_archE942ELNS1_3gpuE9ELNS1_3repE0EEENS1_30default_config_static_selectorELNS0_4arch9wavefront6targetE0EEEvSY_.has_indirect_call, 0
	.section	.AMDGPU.csdata,"",@progbits
; Kernel info:
; codeLenInByte = 0
; TotalNumSgprs: 0
; NumVgprs: 0
; ScratchSize: 0
; MemoryBound: 0
; FloatMode: 240
; IeeeMode: 1
; LDSByteSize: 0 bytes/workgroup (compile time only)
; SGPRBlocks: 0
; VGPRBlocks: 0
; NumSGPRsForWavesPerEU: 1
; NumVGPRsForWavesPerEU: 1
; Occupancy: 16
; WaveLimiterHint : 0
; COMPUTE_PGM_RSRC2:SCRATCH_EN: 0
; COMPUTE_PGM_RSRC2:USER_SGPR: 2
; COMPUTE_PGM_RSRC2:TRAP_HANDLER: 0
; COMPUTE_PGM_RSRC2:TGID_X_EN: 1
; COMPUTE_PGM_RSRC2:TGID_Y_EN: 0
; COMPUTE_PGM_RSRC2:TGID_Z_EN: 0
; COMPUTE_PGM_RSRC2:TIDIG_COMP_CNT: 0
	.section	.text._ZN7rocprim17ROCPRIM_400000_NS6detail17trampoline_kernelINS0_13select_configILj256ELj13ELNS0_17block_load_methodE3ELS4_3ELS4_3ELNS0_20block_scan_algorithmE0ELj4294967295EEENS1_25partition_config_selectorILNS1_17partition_subalgoE3EjNS0_10empty_typeEbEEZZNS1_14partition_implILS8_3ELb0ES6_jNS0_17counting_iteratorIjlEEPS9_SE_NS0_5tupleIJPjSE_EEENSF_IJSE_SE_EEES9_SG_JZNS1_25segmented_radix_sort_implINS0_14default_configELb1EPKaPaPKlPlN2at6native12_GLOBAL__N_18offset_tEEE10hipError_tPvRmT1_PNSt15iterator_traitsISY_E10value_typeET2_T3_PNSZ_IS14_E10value_typeET4_jRbjT5_S1A_jjP12ihipStream_tbEUljE_EEESV_SW_SX_S14_S18_S1A_T6_T7_T9_mT8_S1C_bDpT10_ENKUlT_T0_E_clISt17integral_constantIbLb0EES1O_IbLb1EEEEDaS1K_S1L_EUlS1K_E_NS1_11comp_targetILNS1_3genE4ELNS1_11target_archE910ELNS1_3gpuE8ELNS1_3repE0EEENS1_30default_config_static_selectorELNS0_4arch9wavefront6targetE0EEEvSY_,"axG",@progbits,_ZN7rocprim17ROCPRIM_400000_NS6detail17trampoline_kernelINS0_13select_configILj256ELj13ELNS0_17block_load_methodE3ELS4_3ELS4_3ELNS0_20block_scan_algorithmE0ELj4294967295EEENS1_25partition_config_selectorILNS1_17partition_subalgoE3EjNS0_10empty_typeEbEEZZNS1_14partition_implILS8_3ELb0ES6_jNS0_17counting_iteratorIjlEEPS9_SE_NS0_5tupleIJPjSE_EEENSF_IJSE_SE_EEES9_SG_JZNS1_25segmented_radix_sort_implINS0_14default_configELb1EPKaPaPKlPlN2at6native12_GLOBAL__N_18offset_tEEE10hipError_tPvRmT1_PNSt15iterator_traitsISY_E10value_typeET2_T3_PNSZ_IS14_E10value_typeET4_jRbjT5_S1A_jjP12ihipStream_tbEUljE_EEESV_SW_SX_S14_S18_S1A_T6_T7_T9_mT8_S1C_bDpT10_ENKUlT_T0_E_clISt17integral_constantIbLb0EES1O_IbLb1EEEEDaS1K_S1L_EUlS1K_E_NS1_11comp_targetILNS1_3genE4ELNS1_11target_archE910ELNS1_3gpuE8ELNS1_3repE0EEENS1_30default_config_static_selectorELNS0_4arch9wavefront6targetE0EEEvSY_,comdat
	.globl	_ZN7rocprim17ROCPRIM_400000_NS6detail17trampoline_kernelINS0_13select_configILj256ELj13ELNS0_17block_load_methodE3ELS4_3ELS4_3ELNS0_20block_scan_algorithmE0ELj4294967295EEENS1_25partition_config_selectorILNS1_17partition_subalgoE3EjNS0_10empty_typeEbEEZZNS1_14partition_implILS8_3ELb0ES6_jNS0_17counting_iteratorIjlEEPS9_SE_NS0_5tupleIJPjSE_EEENSF_IJSE_SE_EEES9_SG_JZNS1_25segmented_radix_sort_implINS0_14default_configELb1EPKaPaPKlPlN2at6native12_GLOBAL__N_18offset_tEEE10hipError_tPvRmT1_PNSt15iterator_traitsISY_E10value_typeET2_T3_PNSZ_IS14_E10value_typeET4_jRbjT5_S1A_jjP12ihipStream_tbEUljE_EEESV_SW_SX_S14_S18_S1A_T6_T7_T9_mT8_S1C_bDpT10_ENKUlT_T0_E_clISt17integral_constantIbLb0EES1O_IbLb1EEEEDaS1K_S1L_EUlS1K_E_NS1_11comp_targetILNS1_3genE4ELNS1_11target_archE910ELNS1_3gpuE8ELNS1_3repE0EEENS1_30default_config_static_selectorELNS0_4arch9wavefront6targetE0EEEvSY_ ; -- Begin function _ZN7rocprim17ROCPRIM_400000_NS6detail17trampoline_kernelINS0_13select_configILj256ELj13ELNS0_17block_load_methodE3ELS4_3ELS4_3ELNS0_20block_scan_algorithmE0ELj4294967295EEENS1_25partition_config_selectorILNS1_17partition_subalgoE3EjNS0_10empty_typeEbEEZZNS1_14partition_implILS8_3ELb0ES6_jNS0_17counting_iteratorIjlEEPS9_SE_NS0_5tupleIJPjSE_EEENSF_IJSE_SE_EEES9_SG_JZNS1_25segmented_radix_sort_implINS0_14default_configELb1EPKaPaPKlPlN2at6native12_GLOBAL__N_18offset_tEEE10hipError_tPvRmT1_PNSt15iterator_traitsISY_E10value_typeET2_T3_PNSZ_IS14_E10value_typeET4_jRbjT5_S1A_jjP12ihipStream_tbEUljE_EEESV_SW_SX_S14_S18_S1A_T6_T7_T9_mT8_S1C_bDpT10_ENKUlT_T0_E_clISt17integral_constantIbLb0EES1O_IbLb1EEEEDaS1K_S1L_EUlS1K_E_NS1_11comp_targetILNS1_3genE4ELNS1_11target_archE910ELNS1_3gpuE8ELNS1_3repE0EEENS1_30default_config_static_selectorELNS0_4arch9wavefront6targetE0EEEvSY_
	.p2align	8
	.type	_ZN7rocprim17ROCPRIM_400000_NS6detail17trampoline_kernelINS0_13select_configILj256ELj13ELNS0_17block_load_methodE3ELS4_3ELS4_3ELNS0_20block_scan_algorithmE0ELj4294967295EEENS1_25partition_config_selectorILNS1_17partition_subalgoE3EjNS0_10empty_typeEbEEZZNS1_14partition_implILS8_3ELb0ES6_jNS0_17counting_iteratorIjlEEPS9_SE_NS0_5tupleIJPjSE_EEENSF_IJSE_SE_EEES9_SG_JZNS1_25segmented_radix_sort_implINS0_14default_configELb1EPKaPaPKlPlN2at6native12_GLOBAL__N_18offset_tEEE10hipError_tPvRmT1_PNSt15iterator_traitsISY_E10value_typeET2_T3_PNSZ_IS14_E10value_typeET4_jRbjT5_S1A_jjP12ihipStream_tbEUljE_EEESV_SW_SX_S14_S18_S1A_T6_T7_T9_mT8_S1C_bDpT10_ENKUlT_T0_E_clISt17integral_constantIbLb0EES1O_IbLb1EEEEDaS1K_S1L_EUlS1K_E_NS1_11comp_targetILNS1_3genE4ELNS1_11target_archE910ELNS1_3gpuE8ELNS1_3repE0EEENS1_30default_config_static_selectorELNS0_4arch9wavefront6targetE0EEEvSY_,@function
_ZN7rocprim17ROCPRIM_400000_NS6detail17trampoline_kernelINS0_13select_configILj256ELj13ELNS0_17block_load_methodE3ELS4_3ELS4_3ELNS0_20block_scan_algorithmE0ELj4294967295EEENS1_25partition_config_selectorILNS1_17partition_subalgoE3EjNS0_10empty_typeEbEEZZNS1_14partition_implILS8_3ELb0ES6_jNS0_17counting_iteratorIjlEEPS9_SE_NS0_5tupleIJPjSE_EEENSF_IJSE_SE_EEES9_SG_JZNS1_25segmented_radix_sort_implINS0_14default_configELb1EPKaPaPKlPlN2at6native12_GLOBAL__N_18offset_tEEE10hipError_tPvRmT1_PNSt15iterator_traitsISY_E10value_typeET2_T3_PNSZ_IS14_E10value_typeET4_jRbjT5_S1A_jjP12ihipStream_tbEUljE_EEESV_SW_SX_S14_S18_S1A_T6_T7_T9_mT8_S1C_bDpT10_ENKUlT_T0_E_clISt17integral_constantIbLb0EES1O_IbLb1EEEEDaS1K_S1L_EUlS1K_E_NS1_11comp_targetILNS1_3genE4ELNS1_11target_archE910ELNS1_3gpuE8ELNS1_3repE0EEENS1_30default_config_static_selectorELNS0_4arch9wavefront6targetE0EEEvSY_: ; @_ZN7rocprim17ROCPRIM_400000_NS6detail17trampoline_kernelINS0_13select_configILj256ELj13ELNS0_17block_load_methodE3ELS4_3ELS4_3ELNS0_20block_scan_algorithmE0ELj4294967295EEENS1_25partition_config_selectorILNS1_17partition_subalgoE3EjNS0_10empty_typeEbEEZZNS1_14partition_implILS8_3ELb0ES6_jNS0_17counting_iteratorIjlEEPS9_SE_NS0_5tupleIJPjSE_EEENSF_IJSE_SE_EEES9_SG_JZNS1_25segmented_radix_sort_implINS0_14default_configELb1EPKaPaPKlPlN2at6native12_GLOBAL__N_18offset_tEEE10hipError_tPvRmT1_PNSt15iterator_traitsISY_E10value_typeET2_T3_PNSZ_IS14_E10value_typeET4_jRbjT5_S1A_jjP12ihipStream_tbEUljE_EEESV_SW_SX_S14_S18_S1A_T6_T7_T9_mT8_S1C_bDpT10_ENKUlT_T0_E_clISt17integral_constantIbLb0EES1O_IbLb1EEEEDaS1K_S1L_EUlS1K_E_NS1_11comp_targetILNS1_3genE4ELNS1_11target_archE910ELNS1_3gpuE8ELNS1_3repE0EEENS1_30default_config_static_selectorELNS0_4arch9wavefront6targetE0EEEvSY_
; %bb.0:
	.section	.rodata,"a",@progbits
	.p2align	6, 0x0
	.amdhsa_kernel _ZN7rocprim17ROCPRIM_400000_NS6detail17trampoline_kernelINS0_13select_configILj256ELj13ELNS0_17block_load_methodE3ELS4_3ELS4_3ELNS0_20block_scan_algorithmE0ELj4294967295EEENS1_25partition_config_selectorILNS1_17partition_subalgoE3EjNS0_10empty_typeEbEEZZNS1_14partition_implILS8_3ELb0ES6_jNS0_17counting_iteratorIjlEEPS9_SE_NS0_5tupleIJPjSE_EEENSF_IJSE_SE_EEES9_SG_JZNS1_25segmented_radix_sort_implINS0_14default_configELb1EPKaPaPKlPlN2at6native12_GLOBAL__N_18offset_tEEE10hipError_tPvRmT1_PNSt15iterator_traitsISY_E10value_typeET2_T3_PNSZ_IS14_E10value_typeET4_jRbjT5_S1A_jjP12ihipStream_tbEUljE_EEESV_SW_SX_S14_S18_S1A_T6_T7_T9_mT8_S1C_bDpT10_ENKUlT_T0_E_clISt17integral_constantIbLb0EES1O_IbLb1EEEEDaS1K_S1L_EUlS1K_E_NS1_11comp_targetILNS1_3genE4ELNS1_11target_archE910ELNS1_3gpuE8ELNS1_3repE0EEENS1_30default_config_static_selectorELNS0_4arch9wavefront6targetE0EEEvSY_
		.amdhsa_group_segment_fixed_size 0
		.amdhsa_private_segment_fixed_size 0
		.amdhsa_kernarg_size 152
		.amdhsa_user_sgpr_count 2
		.amdhsa_user_sgpr_dispatch_ptr 0
		.amdhsa_user_sgpr_queue_ptr 0
		.amdhsa_user_sgpr_kernarg_segment_ptr 1
		.amdhsa_user_sgpr_dispatch_id 0
		.amdhsa_user_sgpr_private_segment_size 0
		.amdhsa_wavefront_size32 1
		.amdhsa_uses_dynamic_stack 0
		.amdhsa_enable_private_segment 0
		.amdhsa_system_sgpr_workgroup_id_x 1
		.amdhsa_system_sgpr_workgroup_id_y 0
		.amdhsa_system_sgpr_workgroup_id_z 0
		.amdhsa_system_sgpr_workgroup_info 0
		.amdhsa_system_vgpr_workitem_id 0
		.amdhsa_next_free_vgpr 1
		.amdhsa_next_free_sgpr 1
		.amdhsa_reserve_vcc 0
		.amdhsa_float_round_mode_32 0
		.amdhsa_float_round_mode_16_64 0
		.amdhsa_float_denorm_mode_32 3
		.amdhsa_float_denorm_mode_16_64 3
		.amdhsa_fp16_overflow 0
		.amdhsa_workgroup_processor_mode 1
		.amdhsa_memory_ordered 1
		.amdhsa_forward_progress 1
		.amdhsa_inst_pref_size 0
		.amdhsa_round_robin_scheduling 0
		.amdhsa_exception_fp_ieee_invalid_op 0
		.amdhsa_exception_fp_denorm_src 0
		.amdhsa_exception_fp_ieee_div_zero 0
		.amdhsa_exception_fp_ieee_overflow 0
		.amdhsa_exception_fp_ieee_underflow 0
		.amdhsa_exception_fp_ieee_inexact 0
		.amdhsa_exception_int_div_zero 0
	.end_amdhsa_kernel
	.section	.text._ZN7rocprim17ROCPRIM_400000_NS6detail17trampoline_kernelINS0_13select_configILj256ELj13ELNS0_17block_load_methodE3ELS4_3ELS4_3ELNS0_20block_scan_algorithmE0ELj4294967295EEENS1_25partition_config_selectorILNS1_17partition_subalgoE3EjNS0_10empty_typeEbEEZZNS1_14partition_implILS8_3ELb0ES6_jNS0_17counting_iteratorIjlEEPS9_SE_NS0_5tupleIJPjSE_EEENSF_IJSE_SE_EEES9_SG_JZNS1_25segmented_radix_sort_implINS0_14default_configELb1EPKaPaPKlPlN2at6native12_GLOBAL__N_18offset_tEEE10hipError_tPvRmT1_PNSt15iterator_traitsISY_E10value_typeET2_T3_PNSZ_IS14_E10value_typeET4_jRbjT5_S1A_jjP12ihipStream_tbEUljE_EEESV_SW_SX_S14_S18_S1A_T6_T7_T9_mT8_S1C_bDpT10_ENKUlT_T0_E_clISt17integral_constantIbLb0EES1O_IbLb1EEEEDaS1K_S1L_EUlS1K_E_NS1_11comp_targetILNS1_3genE4ELNS1_11target_archE910ELNS1_3gpuE8ELNS1_3repE0EEENS1_30default_config_static_selectorELNS0_4arch9wavefront6targetE0EEEvSY_,"axG",@progbits,_ZN7rocprim17ROCPRIM_400000_NS6detail17trampoline_kernelINS0_13select_configILj256ELj13ELNS0_17block_load_methodE3ELS4_3ELS4_3ELNS0_20block_scan_algorithmE0ELj4294967295EEENS1_25partition_config_selectorILNS1_17partition_subalgoE3EjNS0_10empty_typeEbEEZZNS1_14partition_implILS8_3ELb0ES6_jNS0_17counting_iteratorIjlEEPS9_SE_NS0_5tupleIJPjSE_EEENSF_IJSE_SE_EEES9_SG_JZNS1_25segmented_radix_sort_implINS0_14default_configELb1EPKaPaPKlPlN2at6native12_GLOBAL__N_18offset_tEEE10hipError_tPvRmT1_PNSt15iterator_traitsISY_E10value_typeET2_T3_PNSZ_IS14_E10value_typeET4_jRbjT5_S1A_jjP12ihipStream_tbEUljE_EEESV_SW_SX_S14_S18_S1A_T6_T7_T9_mT8_S1C_bDpT10_ENKUlT_T0_E_clISt17integral_constantIbLb0EES1O_IbLb1EEEEDaS1K_S1L_EUlS1K_E_NS1_11comp_targetILNS1_3genE4ELNS1_11target_archE910ELNS1_3gpuE8ELNS1_3repE0EEENS1_30default_config_static_selectorELNS0_4arch9wavefront6targetE0EEEvSY_,comdat
.Lfunc_end284:
	.size	_ZN7rocprim17ROCPRIM_400000_NS6detail17trampoline_kernelINS0_13select_configILj256ELj13ELNS0_17block_load_methodE3ELS4_3ELS4_3ELNS0_20block_scan_algorithmE0ELj4294967295EEENS1_25partition_config_selectorILNS1_17partition_subalgoE3EjNS0_10empty_typeEbEEZZNS1_14partition_implILS8_3ELb0ES6_jNS0_17counting_iteratorIjlEEPS9_SE_NS0_5tupleIJPjSE_EEENSF_IJSE_SE_EEES9_SG_JZNS1_25segmented_radix_sort_implINS0_14default_configELb1EPKaPaPKlPlN2at6native12_GLOBAL__N_18offset_tEEE10hipError_tPvRmT1_PNSt15iterator_traitsISY_E10value_typeET2_T3_PNSZ_IS14_E10value_typeET4_jRbjT5_S1A_jjP12ihipStream_tbEUljE_EEESV_SW_SX_S14_S18_S1A_T6_T7_T9_mT8_S1C_bDpT10_ENKUlT_T0_E_clISt17integral_constantIbLb0EES1O_IbLb1EEEEDaS1K_S1L_EUlS1K_E_NS1_11comp_targetILNS1_3genE4ELNS1_11target_archE910ELNS1_3gpuE8ELNS1_3repE0EEENS1_30default_config_static_selectorELNS0_4arch9wavefront6targetE0EEEvSY_, .Lfunc_end284-_ZN7rocprim17ROCPRIM_400000_NS6detail17trampoline_kernelINS0_13select_configILj256ELj13ELNS0_17block_load_methodE3ELS4_3ELS4_3ELNS0_20block_scan_algorithmE0ELj4294967295EEENS1_25partition_config_selectorILNS1_17partition_subalgoE3EjNS0_10empty_typeEbEEZZNS1_14partition_implILS8_3ELb0ES6_jNS0_17counting_iteratorIjlEEPS9_SE_NS0_5tupleIJPjSE_EEENSF_IJSE_SE_EEES9_SG_JZNS1_25segmented_radix_sort_implINS0_14default_configELb1EPKaPaPKlPlN2at6native12_GLOBAL__N_18offset_tEEE10hipError_tPvRmT1_PNSt15iterator_traitsISY_E10value_typeET2_T3_PNSZ_IS14_E10value_typeET4_jRbjT5_S1A_jjP12ihipStream_tbEUljE_EEESV_SW_SX_S14_S18_S1A_T6_T7_T9_mT8_S1C_bDpT10_ENKUlT_T0_E_clISt17integral_constantIbLb0EES1O_IbLb1EEEEDaS1K_S1L_EUlS1K_E_NS1_11comp_targetILNS1_3genE4ELNS1_11target_archE910ELNS1_3gpuE8ELNS1_3repE0EEENS1_30default_config_static_selectorELNS0_4arch9wavefront6targetE0EEEvSY_
                                        ; -- End function
	.set _ZN7rocprim17ROCPRIM_400000_NS6detail17trampoline_kernelINS0_13select_configILj256ELj13ELNS0_17block_load_methodE3ELS4_3ELS4_3ELNS0_20block_scan_algorithmE0ELj4294967295EEENS1_25partition_config_selectorILNS1_17partition_subalgoE3EjNS0_10empty_typeEbEEZZNS1_14partition_implILS8_3ELb0ES6_jNS0_17counting_iteratorIjlEEPS9_SE_NS0_5tupleIJPjSE_EEENSF_IJSE_SE_EEES9_SG_JZNS1_25segmented_radix_sort_implINS0_14default_configELb1EPKaPaPKlPlN2at6native12_GLOBAL__N_18offset_tEEE10hipError_tPvRmT1_PNSt15iterator_traitsISY_E10value_typeET2_T3_PNSZ_IS14_E10value_typeET4_jRbjT5_S1A_jjP12ihipStream_tbEUljE_EEESV_SW_SX_S14_S18_S1A_T6_T7_T9_mT8_S1C_bDpT10_ENKUlT_T0_E_clISt17integral_constantIbLb0EES1O_IbLb1EEEEDaS1K_S1L_EUlS1K_E_NS1_11comp_targetILNS1_3genE4ELNS1_11target_archE910ELNS1_3gpuE8ELNS1_3repE0EEENS1_30default_config_static_selectorELNS0_4arch9wavefront6targetE0EEEvSY_.num_vgpr, 0
	.set _ZN7rocprim17ROCPRIM_400000_NS6detail17trampoline_kernelINS0_13select_configILj256ELj13ELNS0_17block_load_methodE3ELS4_3ELS4_3ELNS0_20block_scan_algorithmE0ELj4294967295EEENS1_25partition_config_selectorILNS1_17partition_subalgoE3EjNS0_10empty_typeEbEEZZNS1_14partition_implILS8_3ELb0ES6_jNS0_17counting_iteratorIjlEEPS9_SE_NS0_5tupleIJPjSE_EEENSF_IJSE_SE_EEES9_SG_JZNS1_25segmented_radix_sort_implINS0_14default_configELb1EPKaPaPKlPlN2at6native12_GLOBAL__N_18offset_tEEE10hipError_tPvRmT1_PNSt15iterator_traitsISY_E10value_typeET2_T3_PNSZ_IS14_E10value_typeET4_jRbjT5_S1A_jjP12ihipStream_tbEUljE_EEESV_SW_SX_S14_S18_S1A_T6_T7_T9_mT8_S1C_bDpT10_ENKUlT_T0_E_clISt17integral_constantIbLb0EES1O_IbLb1EEEEDaS1K_S1L_EUlS1K_E_NS1_11comp_targetILNS1_3genE4ELNS1_11target_archE910ELNS1_3gpuE8ELNS1_3repE0EEENS1_30default_config_static_selectorELNS0_4arch9wavefront6targetE0EEEvSY_.num_agpr, 0
	.set _ZN7rocprim17ROCPRIM_400000_NS6detail17trampoline_kernelINS0_13select_configILj256ELj13ELNS0_17block_load_methodE3ELS4_3ELS4_3ELNS0_20block_scan_algorithmE0ELj4294967295EEENS1_25partition_config_selectorILNS1_17partition_subalgoE3EjNS0_10empty_typeEbEEZZNS1_14partition_implILS8_3ELb0ES6_jNS0_17counting_iteratorIjlEEPS9_SE_NS0_5tupleIJPjSE_EEENSF_IJSE_SE_EEES9_SG_JZNS1_25segmented_radix_sort_implINS0_14default_configELb1EPKaPaPKlPlN2at6native12_GLOBAL__N_18offset_tEEE10hipError_tPvRmT1_PNSt15iterator_traitsISY_E10value_typeET2_T3_PNSZ_IS14_E10value_typeET4_jRbjT5_S1A_jjP12ihipStream_tbEUljE_EEESV_SW_SX_S14_S18_S1A_T6_T7_T9_mT8_S1C_bDpT10_ENKUlT_T0_E_clISt17integral_constantIbLb0EES1O_IbLb1EEEEDaS1K_S1L_EUlS1K_E_NS1_11comp_targetILNS1_3genE4ELNS1_11target_archE910ELNS1_3gpuE8ELNS1_3repE0EEENS1_30default_config_static_selectorELNS0_4arch9wavefront6targetE0EEEvSY_.numbered_sgpr, 0
	.set _ZN7rocprim17ROCPRIM_400000_NS6detail17trampoline_kernelINS0_13select_configILj256ELj13ELNS0_17block_load_methodE3ELS4_3ELS4_3ELNS0_20block_scan_algorithmE0ELj4294967295EEENS1_25partition_config_selectorILNS1_17partition_subalgoE3EjNS0_10empty_typeEbEEZZNS1_14partition_implILS8_3ELb0ES6_jNS0_17counting_iteratorIjlEEPS9_SE_NS0_5tupleIJPjSE_EEENSF_IJSE_SE_EEES9_SG_JZNS1_25segmented_radix_sort_implINS0_14default_configELb1EPKaPaPKlPlN2at6native12_GLOBAL__N_18offset_tEEE10hipError_tPvRmT1_PNSt15iterator_traitsISY_E10value_typeET2_T3_PNSZ_IS14_E10value_typeET4_jRbjT5_S1A_jjP12ihipStream_tbEUljE_EEESV_SW_SX_S14_S18_S1A_T6_T7_T9_mT8_S1C_bDpT10_ENKUlT_T0_E_clISt17integral_constantIbLb0EES1O_IbLb1EEEEDaS1K_S1L_EUlS1K_E_NS1_11comp_targetILNS1_3genE4ELNS1_11target_archE910ELNS1_3gpuE8ELNS1_3repE0EEENS1_30default_config_static_selectorELNS0_4arch9wavefront6targetE0EEEvSY_.num_named_barrier, 0
	.set _ZN7rocprim17ROCPRIM_400000_NS6detail17trampoline_kernelINS0_13select_configILj256ELj13ELNS0_17block_load_methodE3ELS4_3ELS4_3ELNS0_20block_scan_algorithmE0ELj4294967295EEENS1_25partition_config_selectorILNS1_17partition_subalgoE3EjNS0_10empty_typeEbEEZZNS1_14partition_implILS8_3ELb0ES6_jNS0_17counting_iteratorIjlEEPS9_SE_NS0_5tupleIJPjSE_EEENSF_IJSE_SE_EEES9_SG_JZNS1_25segmented_radix_sort_implINS0_14default_configELb1EPKaPaPKlPlN2at6native12_GLOBAL__N_18offset_tEEE10hipError_tPvRmT1_PNSt15iterator_traitsISY_E10value_typeET2_T3_PNSZ_IS14_E10value_typeET4_jRbjT5_S1A_jjP12ihipStream_tbEUljE_EEESV_SW_SX_S14_S18_S1A_T6_T7_T9_mT8_S1C_bDpT10_ENKUlT_T0_E_clISt17integral_constantIbLb0EES1O_IbLb1EEEEDaS1K_S1L_EUlS1K_E_NS1_11comp_targetILNS1_3genE4ELNS1_11target_archE910ELNS1_3gpuE8ELNS1_3repE0EEENS1_30default_config_static_selectorELNS0_4arch9wavefront6targetE0EEEvSY_.private_seg_size, 0
	.set _ZN7rocprim17ROCPRIM_400000_NS6detail17trampoline_kernelINS0_13select_configILj256ELj13ELNS0_17block_load_methodE3ELS4_3ELS4_3ELNS0_20block_scan_algorithmE0ELj4294967295EEENS1_25partition_config_selectorILNS1_17partition_subalgoE3EjNS0_10empty_typeEbEEZZNS1_14partition_implILS8_3ELb0ES6_jNS0_17counting_iteratorIjlEEPS9_SE_NS0_5tupleIJPjSE_EEENSF_IJSE_SE_EEES9_SG_JZNS1_25segmented_radix_sort_implINS0_14default_configELb1EPKaPaPKlPlN2at6native12_GLOBAL__N_18offset_tEEE10hipError_tPvRmT1_PNSt15iterator_traitsISY_E10value_typeET2_T3_PNSZ_IS14_E10value_typeET4_jRbjT5_S1A_jjP12ihipStream_tbEUljE_EEESV_SW_SX_S14_S18_S1A_T6_T7_T9_mT8_S1C_bDpT10_ENKUlT_T0_E_clISt17integral_constantIbLb0EES1O_IbLb1EEEEDaS1K_S1L_EUlS1K_E_NS1_11comp_targetILNS1_3genE4ELNS1_11target_archE910ELNS1_3gpuE8ELNS1_3repE0EEENS1_30default_config_static_selectorELNS0_4arch9wavefront6targetE0EEEvSY_.uses_vcc, 0
	.set _ZN7rocprim17ROCPRIM_400000_NS6detail17trampoline_kernelINS0_13select_configILj256ELj13ELNS0_17block_load_methodE3ELS4_3ELS4_3ELNS0_20block_scan_algorithmE0ELj4294967295EEENS1_25partition_config_selectorILNS1_17partition_subalgoE3EjNS0_10empty_typeEbEEZZNS1_14partition_implILS8_3ELb0ES6_jNS0_17counting_iteratorIjlEEPS9_SE_NS0_5tupleIJPjSE_EEENSF_IJSE_SE_EEES9_SG_JZNS1_25segmented_radix_sort_implINS0_14default_configELb1EPKaPaPKlPlN2at6native12_GLOBAL__N_18offset_tEEE10hipError_tPvRmT1_PNSt15iterator_traitsISY_E10value_typeET2_T3_PNSZ_IS14_E10value_typeET4_jRbjT5_S1A_jjP12ihipStream_tbEUljE_EEESV_SW_SX_S14_S18_S1A_T6_T7_T9_mT8_S1C_bDpT10_ENKUlT_T0_E_clISt17integral_constantIbLb0EES1O_IbLb1EEEEDaS1K_S1L_EUlS1K_E_NS1_11comp_targetILNS1_3genE4ELNS1_11target_archE910ELNS1_3gpuE8ELNS1_3repE0EEENS1_30default_config_static_selectorELNS0_4arch9wavefront6targetE0EEEvSY_.uses_flat_scratch, 0
	.set _ZN7rocprim17ROCPRIM_400000_NS6detail17trampoline_kernelINS0_13select_configILj256ELj13ELNS0_17block_load_methodE3ELS4_3ELS4_3ELNS0_20block_scan_algorithmE0ELj4294967295EEENS1_25partition_config_selectorILNS1_17partition_subalgoE3EjNS0_10empty_typeEbEEZZNS1_14partition_implILS8_3ELb0ES6_jNS0_17counting_iteratorIjlEEPS9_SE_NS0_5tupleIJPjSE_EEENSF_IJSE_SE_EEES9_SG_JZNS1_25segmented_radix_sort_implINS0_14default_configELb1EPKaPaPKlPlN2at6native12_GLOBAL__N_18offset_tEEE10hipError_tPvRmT1_PNSt15iterator_traitsISY_E10value_typeET2_T3_PNSZ_IS14_E10value_typeET4_jRbjT5_S1A_jjP12ihipStream_tbEUljE_EEESV_SW_SX_S14_S18_S1A_T6_T7_T9_mT8_S1C_bDpT10_ENKUlT_T0_E_clISt17integral_constantIbLb0EES1O_IbLb1EEEEDaS1K_S1L_EUlS1K_E_NS1_11comp_targetILNS1_3genE4ELNS1_11target_archE910ELNS1_3gpuE8ELNS1_3repE0EEENS1_30default_config_static_selectorELNS0_4arch9wavefront6targetE0EEEvSY_.has_dyn_sized_stack, 0
	.set _ZN7rocprim17ROCPRIM_400000_NS6detail17trampoline_kernelINS0_13select_configILj256ELj13ELNS0_17block_load_methodE3ELS4_3ELS4_3ELNS0_20block_scan_algorithmE0ELj4294967295EEENS1_25partition_config_selectorILNS1_17partition_subalgoE3EjNS0_10empty_typeEbEEZZNS1_14partition_implILS8_3ELb0ES6_jNS0_17counting_iteratorIjlEEPS9_SE_NS0_5tupleIJPjSE_EEENSF_IJSE_SE_EEES9_SG_JZNS1_25segmented_radix_sort_implINS0_14default_configELb1EPKaPaPKlPlN2at6native12_GLOBAL__N_18offset_tEEE10hipError_tPvRmT1_PNSt15iterator_traitsISY_E10value_typeET2_T3_PNSZ_IS14_E10value_typeET4_jRbjT5_S1A_jjP12ihipStream_tbEUljE_EEESV_SW_SX_S14_S18_S1A_T6_T7_T9_mT8_S1C_bDpT10_ENKUlT_T0_E_clISt17integral_constantIbLb0EES1O_IbLb1EEEEDaS1K_S1L_EUlS1K_E_NS1_11comp_targetILNS1_3genE4ELNS1_11target_archE910ELNS1_3gpuE8ELNS1_3repE0EEENS1_30default_config_static_selectorELNS0_4arch9wavefront6targetE0EEEvSY_.has_recursion, 0
	.set _ZN7rocprim17ROCPRIM_400000_NS6detail17trampoline_kernelINS0_13select_configILj256ELj13ELNS0_17block_load_methodE3ELS4_3ELS4_3ELNS0_20block_scan_algorithmE0ELj4294967295EEENS1_25partition_config_selectorILNS1_17partition_subalgoE3EjNS0_10empty_typeEbEEZZNS1_14partition_implILS8_3ELb0ES6_jNS0_17counting_iteratorIjlEEPS9_SE_NS0_5tupleIJPjSE_EEENSF_IJSE_SE_EEES9_SG_JZNS1_25segmented_radix_sort_implINS0_14default_configELb1EPKaPaPKlPlN2at6native12_GLOBAL__N_18offset_tEEE10hipError_tPvRmT1_PNSt15iterator_traitsISY_E10value_typeET2_T3_PNSZ_IS14_E10value_typeET4_jRbjT5_S1A_jjP12ihipStream_tbEUljE_EEESV_SW_SX_S14_S18_S1A_T6_T7_T9_mT8_S1C_bDpT10_ENKUlT_T0_E_clISt17integral_constantIbLb0EES1O_IbLb1EEEEDaS1K_S1L_EUlS1K_E_NS1_11comp_targetILNS1_3genE4ELNS1_11target_archE910ELNS1_3gpuE8ELNS1_3repE0EEENS1_30default_config_static_selectorELNS0_4arch9wavefront6targetE0EEEvSY_.has_indirect_call, 0
	.section	.AMDGPU.csdata,"",@progbits
; Kernel info:
; codeLenInByte = 0
; TotalNumSgprs: 0
; NumVgprs: 0
; ScratchSize: 0
; MemoryBound: 0
; FloatMode: 240
; IeeeMode: 1
; LDSByteSize: 0 bytes/workgroup (compile time only)
; SGPRBlocks: 0
; VGPRBlocks: 0
; NumSGPRsForWavesPerEU: 1
; NumVGPRsForWavesPerEU: 1
; Occupancy: 16
; WaveLimiterHint : 0
; COMPUTE_PGM_RSRC2:SCRATCH_EN: 0
; COMPUTE_PGM_RSRC2:USER_SGPR: 2
; COMPUTE_PGM_RSRC2:TRAP_HANDLER: 0
; COMPUTE_PGM_RSRC2:TGID_X_EN: 1
; COMPUTE_PGM_RSRC2:TGID_Y_EN: 0
; COMPUTE_PGM_RSRC2:TGID_Z_EN: 0
; COMPUTE_PGM_RSRC2:TIDIG_COMP_CNT: 0
	.section	.text._ZN7rocprim17ROCPRIM_400000_NS6detail17trampoline_kernelINS0_13select_configILj256ELj13ELNS0_17block_load_methodE3ELS4_3ELS4_3ELNS0_20block_scan_algorithmE0ELj4294967295EEENS1_25partition_config_selectorILNS1_17partition_subalgoE3EjNS0_10empty_typeEbEEZZNS1_14partition_implILS8_3ELb0ES6_jNS0_17counting_iteratorIjlEEPS9_SE_NS0_5tupleIJPjSE_EEENSF_IJSE_SE_EEES9_SG_JZNS1_25segmented_radix_sort_implINS0_14default_configELb1EPKaPaPKlPlN2at6native12_GLOBAL__N_18offset_tEEE10hipError_tPvRmT1_PNSt15iterator_traitsISY_E10value_typeET2_T3_PNSZ_IS14_E10value_typeET4_jRbjT5_S1A_jjP12ihipStream_tbEUljE_EEESV_SW_SX_S14_S18_S1A_T6_T7_T9_mT8_S1C_bDpT10_ENKUlT_T0_E_clISt17integral_constantIbLb0EES1O_IbLb1EEEEDaS1K_S1L_EUlS1K_E_NS1_11comp_targetILNS1_3genE3ELNS1_11target_archE908ELNS1_3gpuE7ELNS1_3repE0EEENS1_30default_config_static_selectorELNS0_4arch9wavefront6targetE0EEEvSY_,"axG",@progbits,_ZN7rocprim17ROCPRIM_400000_NS6detail17trampoline_kernelINS0_13select_configILj256ELj13ELNS0_17block_load_methodE3ELS4_3ELS4_3ELNS0_20block_scan_algorithmE0ELj4294967295EEENS1_25partition_config_selectorILNS1_17partition_subalgoE3EjNS0_10empty_typeEbEEZZNS1_14partition_implILS8_3ELb0ES6_jNS0_17counting_iteratorIjlEEPS9_SE_NS0_5tupleIJPjSE_EEENSF_IJSE_SE_EEES9_SG_JZNS1_25segmented_radix_sort_implINS0_14default_configELb1EPKaPaPKlPlN2at6native12_GLOBAL__N_18offset_tEEE10hipError_tPvRmT1_PNSt15iterator_traitsISY_E10value_typeET2_T3_PNSZ_IS14_E10value_typeET4_jRbjT5_S1A_jjP12ihipStream_tbEUljE_EEESV_SW_SX_S14_S18_S1A_T6_T7_T9_mT8_S1C_bDpT10_ENKUlT_T0_E_clISt17integral_constantIbLb0EES1O_IbLb1EEEEDaS1K_S1L_EUlS1K_E_NS1_11comp_targetILNS1_3genE3ELNS1_11target_archE908ELNS1_3gpuE7ELNS1_3repE0EEENS1_30default_config_static_selectorELNS0_4arch9wavefront6targetE0EEEvSY_,comdat
	.globl	_ZN7rocprim17ROCPRIM_400000_NS6detail17trampoline_kernelINS0_13select_configILj256ELj13ELNS0_17block_load_methodE3ELS4_3ELS4_3ELNS0_20block_scan_algorithmE0ELj4294967295EEENS1_25partition_config_selectorILNS1_17partition_subalgoE3EjNS0_10empty_typeEbEEZZNS1_14partition_implILS8_3ELb0ES6_jNS0_17counting_iteratorIjlEEPS9_SE_NS0_5tupleIJPjSE_EEENSF_IJSE_SE_EEES9_SG_JZNS1_25segmented_radix_sort_implINS0_14default_configELb1EPKaPaPKlPlN2at6native12_GLOBAL__N_18offset_tEEE10hipError_tPvRmT1_PNSt15iterator_traitsISY_E10value_typeET2_T3_PNSZ_IS14_E10value_typeET4_jRbjT5_S1A_jjP12ihipStream_tbEUljE_EEESV_SW_SX_S14_S18_S1A_T6_T7_T9_mT8_S1C_bDpT10_ENKUlT_T0_E_clISt17integral_constantIbLb0EES1O_IbLb1EEEEDaS1K_S1L_EUlS1K_E_NS1_11comp_targetILNS1_3genE3ELNS1_11target_archE908ELNS1_3gpuE7ELNS1_3repE0EEENS1_30default_config_static_selectorELNS0_4arch9wavefront6targetE0EEEvSY_ ; -- Begin function _ZN7rocprim17ROCPRIM_400000_NS6detail17trampoline_kernelINS0_13select_configILj256ELj13ELNS0_17block_load_methodE3ELS4_3ELS4_3ELNS0_20block_scan_algorithmE0ELj4294967295EEENS1_25partition_config_selectorILNS1_17partition_subalgoE3EjNS0_10empty_typeEbEEZZNS1_14partition_implILS8_3ELb0ES6_jNS0_17counting_iteratorIjlEEPS9_SE_NS0_5tupleIJPjSE_EEENSF_IJSE_SE_EEES9_SG_JZNS1_25segmented_radix_sort_implINS0_14default_configELb1EPKaPaPKlPlN2at6native12_GLOBAL__N_18offset_tEEE10hipError_tPvRmT1_PNSt15iterator_traitsISY_E10value_typeET2_T3_PNSZ_IS14_E10value_typeET4_jRbjT5_S1A_jjP12ihipStream_tbEUljE_EEESV_SW_SX_S14_S18_S1A_T6_T7_T9_mT8_S1C_bDpT10_ENKUlT_T0_E_clISt17integral_constantIbLb0EES1O_IbLb1EEEEDaS1K_S1L_EUlS1K_E_NS1_11comp_targetILNS1_3genE3ELNS1_11target_archE908ELNS1_3gpuE7ELNS1_3repE0EEENS1_30default_config_static_selectorELNS0_4arch9wavefront6targetE0EEEvSY_
	.p2align	8
	.type	_ZN7rocprim17ROCPRIM_400000_NS6detail17trampoline_kernelINS0_13select_configILj256ELj13ELNS0_17block_load_methodE3ELS4_3ELS4_3ELNS0_20block_scan_algorithmE0ELj4294967295EEENS1_25partition_config_selectorILNS1_17partition_subalgoE3EjNS0_10empty_typeEbEEZZNS1_14partition_implILS8_3ELb0ES6_jNS0_17counting_iteratorIjlEEPS9_SE_NS0_5tupleIJPjSE_EEENSF_IJSE_SE_EEES9_SG_JZNS1_25segmented_radix_sort_implINS0_14default_configELb1EPKaPaPKlPlN2at6native12_GLOBAL__N_18offset_tEEE10hipError_tPvRmT1_PNSt15iterator_traitsISY_E10value_typeET2_T3_PNSZ_IS14_E10value_typeET4_jRbjT5_S1A_jjP12ihipStream_tbEUljE_EEESV_SW_SX_S14_S18_S1A_T6_T7_T9_mT8_S1C_bDpT10_ENKUlT_T0_E_clISt17integral_constantIbLb0EES1O_IbLb1EEEEDaS1K_S1L_EUlS1K_E_NS1_11comp_targetILNS1_3genE3ELNS1_11target_archE908ELNS1_3gpuE7ELNS1_3repE0EEENS1_30default_config_static_selectorELNS0_4arch9wavefront6targetE0EEEvSY_,@function
_ZN7rocprim17ROCPRIM_400000_NS6detail17trampoline_kernelINS0_13select_configILj256ELj13ELNS0_17block_load_methodE3ELS4_3ELS4_3ELNS0_20block_scan_algorithmE0ELj4294967295EEENS1_25partition_config_selectorILNS1_17partition_subalgoE3EjNS0_10empty_typeEbEEZZNS1_14partition_implILS8_3ELb0ES6_jNS0_17counting_iteratorIjlEEPS9_SE_NS0_5tupleIJPjSE_EEENSF_IJSE_SE_EEES9_SG_JZNS1_25segmented_radix_sort_implINS0_14default_configELb1EPKaPaPKlPlN2at6native12_GLOBAL__N_18offset_tEEE10hipError_tPvRmT1_PNSt15iterator_traitsISY_E10value_typeET2_T3_PNSZ_IS14_E10value_typeET4_jRbjT5_S1A_jjP12ihipStream_tbEUljE_EEESV_SW_SX_S14_S18_S1A_T6_T7_T9_mT8_S1C_bDpT10_ENKUlT_T0_E_clISt17integral_constantIbLb0EES1O_IbLb1EEEEDaS1K_S1L_EUlS1K_E_NS1_11comp_targetILNS1_3genE3ELNS1_11target_archE908ELNS1_3gpuE7ELNS1_3repE0EEENS1_30default_config_static_selectorELNS0_4arch9wavefront6targetE0EEEvSY_: ; @_ZN7rocprim17ROCPRIM_400000_NS6detail17trampoline_kernelINS0_13select_configILj256ELj13ELNS0_17block_load_methodE3ELS4_3ELS4_3ELNS0_20block_scan_algorithmE0ELj4294967295EEENS1_25partition_config_selectorILNS1_17partition_subalgoE3EjNS0_10empty_typeEbEEZZNS1_14partition_implILS8_3ELb0ES6_jNS0_17counting_iteratorIjlEEPS9_SE_NS0_5tupleIJPjSE_EEENSF_IJSE_SE_EEES9_SG_JZNS1_25segmented_radix_sort_implINS0_14default_configELb1EPKaPaPKlPlN2at6native12_GLOBAL__N_18offset_tEEE10hipError_tPvRmT1_PNSt15iterator_traitsISY_E10value_typeET2_T3_PNSZ_IS14_E10value_typeET4_jRbjT5_S1A_jjP12ihipStream_tbEUljE_EEESV_SW_SX_S14_S18_S1A_T6_T7_T9_mT8_S1C_bDpT10_ENKUlT_T0_E_clISt17integral_constantIbLb0EES1O_IbLb1EEEEDaS1K_S1L_EUlS1K_E_NS1_11comp_targetILNS1_3genE3ELNS1_11target_archE908ELNS1_3gpuE7ELNS1_3repE0EEENS1_30default_config_static_selectorELNS0_4arch9wavefront6targetE0EEEvSY_
; %bb.0:
	.section	.rodata,"a",@progbits
	.p2align	6, 0x0
	.amdhsa_kernel _ZN7rocprim17ROCPRIM_400000_NS6detail17trampoline_kernelINS0_13select_configILj256ELj13ELNS0_17block_load_methodE3ELS4_3ELS4_3ELNS0_20block_scan_algorithmE0ELj4294967295EEENS1_25partition_config_selectorILNS1_17partition_subalgoE3EjNS0_10empty_typeEbEEZZNS1_14partition_implILS8_3ELb0ES6_jNS0_17counting_iteratorIjlEEPS9_SE_NS0_5tupleIJPjSE_EEENSF_IJSE_SE_EEES9_SG_JZNS1_25segmented_radix_sort_implINS0_14default_configELb1EPKaPaPKlPlN2at6native12_GLOBAL__N_18offset_tEEE10hipError_tPvRmT1_PNSt15iterator_traitsISY_E10value_typeET2_T3_PNSZ_IS14_E10value_typeET4_jRbjT5_S1A_jjP12ihipStream_tbEUljE_EEESV_SW_SX_S14_S18_S1A_T6_T7_T9_mT8_S1C_bDpT10_ENKUlT_T0_E_clISt17integral_constantIbLb0EES1O_IbLb1EEEEDaS1K_S1L_EUlS1K_E_NS1_11comp_targetILNS1_3genE3ELNS1_11target_archE908ELNS1_3gpuE7ELNS1_3repE0EEENS1_30default_config_static_selectorELNS0_4arch9wavefront6targetE0EEEvSY_
		.amdhsa_group_segment_fixed_size 0
		.amdhsa_private_segment_fixed_size 0
		.amdhsa_kernarg_size 152
		.amdhsa_user_sgpr_count 2
		.amdhsa_user_sgpr_dispatch_ptr 0
		.amdhsa_user_sgpr_queue_ptr 0
		.amdhsa_user_sgpr_kernarg_segment_ptr 1
		.amdhsa_user_sgpr_dispatch_id 0
		.amdhsa_user_sgpr_private_segment_size 0
		.amdhsa_wavefront_size32 1
		.amdhsa_uses_dynamic_stack 0
		.amdhsa_enable_private_segment 0
		.amdhsa_system_sgpr_workgroup_id_x 1
		.amdhsa_system_sgpr_workgroup_id_y 0
		.amdhsa_system_sgpr_workgroup_id_z 0
		.amdhsa_system_sgpr_workgroup_info 0
		.amdhsa_system_vgpr_workitem_id 0
		.amdhsa_next_free_vgpr 1
		.amdhsa_next_free_sgpr 1
		.amdhsa_reserve_vcc 0
		.amdhsa_float_round_mode_32 0
		.amdhsa_float_round_mode_16_64 0
		.amdhsa_float_denorm_mode_32 3
		.amdhsa_float_denorm_mode_16_64 3
		.amdhsa_fp16_overflow 0
		.amdhsa_workgroup_processor_mode 1
		.amdhsa_memory_ordered 1
		.amdhsa_forward_progress 1
		.amdhsa_inst_pref_size 0
		.amdhsa_round_robin_scheduling 0
		.amdhsa_exception_fp_ieee_invalid_op 0
		.amdhsa_exception_fp_denorm_src 0
		.amdhsa_exception_fp_ieee_div_zero 0
		.amdhsa_exception_fp_ieee_overflow 0
		.amdhsa_exception_fp_ieee_underflow 0
		.amdhsa_exception_fp_ieee_inexact 0
		.amdhsa_exception_int_div_zero 0
	.end_amdhsa_kernel
	.section	.text._ZN7rocprim17ROCPRIM_400000_NS6detail17trampoline_kernelINS0_13select_configILj256ELj13ELNS0_17block_load_methodE3ELS4_3ELS4_3ELNS0_20block_scan_algorithmE0ELj4294967295EEENS1_25partition_config_selectorILNS1_17partition_subalgoE3EjNS0_10empty_typeEbEEZZNS1_14partition_implILS8_3ELb0ES6_jNS0_17counting_iteratorIjlEEPS9_SE_NS0_5tupleIJPjSE_EEENSF_IJSE_SE_EEES9_SG_JZNS1_25segmented_radix_sort_implINS0_14default_configELb1EPKaPaPKlPlN2at6native12_GLOBAL__N_18offset_tEEE10hipError_tPvRmT1_PNSt15iterator_traitsISY_E10value_typeET2_T3_PNSZ_IS14_E10value_typeET4_jRbjT5_S1A_jjP12ihipStream_tbEUljE_EEESV_SW_SX_S14_S18_S1A_T6_T7_T9_mT8_S1C_bDpT10_ENKUlT_T0_E_clISt17integral_constantIbLb0EES1O_IbLb1EEEEDaS1K_S1L_EUlS1K_E_NS1_11comp_targetILNS1_3genE3ELNS1_11target_archE908ELNS1_3gpuE7ELNS1_3repE0EEENS1_30default_config_static_selectorELNS0_4arch9wavefront6targetE0EEEvSY_,"axG",@progbits,_ZN7rocprim17ROCPRIM_400000_NS6detail17trampoline_kernelINS0_13select_configILj256ELj13ELNS0_17block_load_methodE3ELS4_3ELS4_3ELNS0_20block_scan_algorithmE0ELj4294967295EEENS1_25partition_config_selectorILNS1_17partition_subalgoE3EjNS0_10empty_typeEbEEZZNS1_14partition_implILS8_3ELb0ES6_jNS0_17counting_iteratorIjlEEPS9_SE_NS0_5tupleIJPjSE_EEENSF_IJSE_SE_EEES9_SG_JZNS1_25segmented_radix_sort_implINS0_14default_configELb1EPKaPaPKlPlN2at6native12_GLOBAL__N_18offset_tEEE10hipError_tPvRmT1_PNSt15iterator_traitsISY_E10value_typeET2_T3_PNSZ_IS14_E10value_typeET4_jRbjT5_S1A_jjP12ihipStream_tbEUljE_EEESV_SW_SX_S14_S18_S1A_T6_T7_T9_mT8_S1C_bDpT10_ENKUlT_T0_E_clISt17integral_constantIbLb0EES1O_IbLb1EEEEDaS1K_S1L_EUlS1K_E_NS1_11comp_targetILNS1_3genE3ELNS1_11target_archE908ELNS1_3gpuE7ELNS1_3repE0EEENS1_30default_config_static_selectorELNS0_4arch9wavefront6targetE0EEEvSY_,comdat
.Lfunc_end285:
	.size	_ZN7rocprim17ROCPRIM_400000_NS6detail17trampoline_kernelINS0_13select_configILj256ELj13ELNS0_17block_load_methodE3ELS4_3ELS4_3ELNS0_20block_scan_algorithmE0ELj4294967295EEENS1_25partition_config_selectorILNS1_17partition_subalgoE3EjNS0_10empty_typeEbEEZZNS1_14partition_implILS8_3ELb0ES6_jNS0_17counting_iteratorIjlEEPS9_SE_NS0_5tupleIJPjSE_EEENSF_IJSE_SE_EEES9_SG_JZNS1_25segmented_radix_sort_implINS0_14default_configELb1EPKaPaPKlPlN2at6native12_GLOBAL__N_18offset_tEEE10hipError_tPvRmT1_PNSt15iterator_traitsISY_E10value_typeET2_T3_PNSZ_IS14_E10value_typeET4_jRbjT5_S1A_jjP12ihipStream_tbEUljE_EEESV_SW_SX_S14_S18_S1A_T6_T7_T9_mT8_S1C_bDpT10_ENKUlT_T0_E_clISt17integral_constantIbLb0EES1O_IbLb1EEEEDaS1K_S1L_EUlS1K_E_NS1_11comp_targetILNS1_3genE3ELNS1_11target_archE908ELNS1_3gpuE7ELNS1_3repE0EEENS1_30default_config_static_selectorELNS0_4arch9wavefront6targetE0EEEvSY_, .Lfunc_end285-_ZN7rocprim17ROCPRIM_400000_NS6detail17trampoline_kernelINS0_13select_configILj256ELj13ELNS0_17block_load_methodE3ELS4_3ELS4_3ELNS0_20block_scan_algorithmE0ELj4294967295EEENS1_25partition_config_selectorILNS1_17partition_subalgoE3EjNS0_10empty_typeEbEEZZNS1_14partition_implILS8_3ELb0ES6_jNS0_17counting_iteratorIjlEEPS9_SE_NS0_5tupleIJPjSE_EEENSF_IJSE_SE_EEES9_SG_JZNS1_25segmented_radix_sort_implINS0_14default_configELb1EPKaPaPKlPlN2at6native12_GLOBAL__N_18offset_tEEE10hipError_tPvRmT1_PNSt15iterator_traitsISY_E10value_typeET2_T3_PNSZ_IS14_E10value_typeET4_jRbjT5_S1A_jjP12ihipStream_tbEUljE_EEESV_SW_SX_S14_S18_S1A_T6_T7_T9_mT8_S1C_bDpT10_ENKUlT_T0_E_clISt17integral_constantIbLb0EES1O_IbLb1EEEEDaS1K_S1L_EUlS1K_E_NS1_11comp_targetILNS1_3genE3ELNS1_11target_archE908ELNS1_3gpuE7ELNS1_3repE0EEENS1_30default_config_static_selectorELNS0_4arch9wavefront6targetE0EEEvSY_
                                        ; -- End function
	.set _ZN7rocprim17ROCPRIM_400000_NS6detail17trampoline_kernelINS0_13select_configILj256ELj13ELNS0_17block_load_methodE3ELS4_3ELS4_3ELNS0_20block_scan_algorithmE0ELj4294967295EEENS1_25partition_config_selectorILNS1_17partition_subalgoE3EjNS0_10empty_typeEbEEZZNS1_14partition_implILS8_3ELb0ES6_jNS0_17counting_iteratorIjlEEPS9_SE_NS0_5tupleIJPjSE_EEENSF_IJSE_SE_EEES9_SG_JZNS1_25segmented_radix_sort_implINS0_14default_configELb1EPKaPaPKlPlN2at6native12_GLOBAL__N_18offset_tEEE10hipError_tPvRmT1_PNSt15iterator_traitsISY_E10value_typeET2_T3_PNSZ_IS14_E10value_typeET4_jRbjT5_S1A_jjP12ihipStream_tbEUljE_EEESV_SW_SX_S14_S18_S1A_T6_T7_T9_mT8_S1C_bDpT10_ENKUlT_T0_E_clISt17integral_constantIbLb0EES1O_IbLb1EEEEDaS1K_S1L_EUlS1K_E_NS1_11comp_targetILNS1_3genE3ELNS1_11target_archE908ELNS1_3gpuE7ELNS1_3repE0EEENS1_30default_config_static_selectorELNS0_4arch9wavefront6targetE0EEEvSY_.num_vgpr, 0
	.set _ZN7rocprim17ROCPRIM_400000_NS6detail17trampoline_kernelINS0_13select_configILj256ELj13ELNS0_17block_load_methodE3ELS4_3ELS4_3ELNS0_20block_scan_algorithmE0ELj4294967295EEENS1_25partition_config_selectorILNS1_17partition_subalgoE3EjNS0_10empty_typeEbEEZZNS1_14partition_implILS8_3ELb0ES6_jNS0_17counting_iteratorIjlEEPS9_SE_NS0_5tupleIJPjSE_EEENSF_IJSE_SE_EEES9_SG_JZNS1_25segmented_radix_sort_implINS0_14default_configELb1EPKaPaPKlPlN2at6native12_GLOBAL__N_18offset_tEEE10hipError_tPvRmT1_PNSt15iterator_traitsISY_E10value_typeET2_T3_PNSZ_IS14_E10value_typeET4_jRbjT5_S1A_jjP12ihipStream_tbEUljE_EEESV_SW_SX_S14_S18_S1A_T6_T7_T9_mT8_S1C_bDpT10_ENKUlT_T0_E_clISt17integral_constantIbLb0EES1O_IbLb1EEEEDaS1K_S1L_EUlS1K_E_NS1_11comp_targetILNS1_3genE3ELNS1_11target_archE908ELNS1_3gpuE7ELNS1_3repE0EEENS1_30default_config_static_selectorELNS0_4arch9wavefront6targetE0EEEvSY_.num_agpr, 0
	.set _ZN7rocprim17ROCPRIM_400000_NS6detail17trampoline_kernelINS0_13select_configILj256ELj13ELNS0_17block_load_methodE3ELS4_3ELS4_3ELNS0_20block_scan_algorithmE0ELj4294967295EEENS1_25partition_config_selectorILNS1_17partition_subalgoE3EjNS0_10empty_typeEbEEZZNS1_14partition_implILS8_3ELb0ES6_jNS0_17counting_iteratorIjlEEPS9_SE_NS0_5tupleIJPjSE_EEENSF_IJSE_SE_EEES9_SG_JZNS1_25segmented_radix_sort_implINS0_14default_configELb1EPKaPaPKlPlN2at6native12_GLOBAL__N_18offset_tEEE10hipError_tPvRmT1_PNSt15iterator_traitsISY_E10value_typeET2_T3_PNSZ_IS14_E10value_typeET4_jRbjT5_S1A_jjP12ihipStream_tbEUljE_EEESV_SW_SX_S14_S18_S1A_T6_T7_T9_mT8_S1C_bDpT10_ENKUlT_T0_E_clISt17integral_constantIbLb0EES1O_IbLb1EEEEDaS1K_S1L_EUlS1K_E_NS1_11comp_targetILNS1_3genE3ELNS1_11target_archE908ELNS1_3gpuE7ELNS1_3repE0EEENS1_30default_config_static_selectorELNS0_4arch9wavefront6targetE0EEEvSY_.numbered_sgpr, 0
	.set _ZN7rocprim17ROCPRIM_400000_NS6detail17trampoline_kernelINS0_13select_configILj256ELj13ELNS0_17block_load_methodE3ELS4_3ELS4_3ELNS0_20block_scan_algorithmE0ELj4294967295EEENS1_25partition_config_selectorILNS1_17partition_subalgoE3EjNS0_10empty_typeEbEEZZNS1_14partition_implILS8_3ELb0ES6_jNS0_17counting_iteratorIjlEEPS9_SE_NS0_5tupleIJPjSE_EEENSF_IJSE_SE_EEES9_SG_JZNS1_25segmented_radix_sort_implINS0_14default_configELb1EPKaPaPKlPlN2at6native12_GLOBAL__N_18offset_tEEE10hipError_tPvRmT1_PNSt15iterator_traitsISY_E10value_typeET2_T3_PNSZ_IS14_E10value_typeET4_jRbjT5_S1A_jjP12ihipStream_tbEUljE_EEESV_SW_SX_S14_S18_S1A_T6_T7_T9_mT8_S1C_bDpT10_ENKUlT_T0_E_clISt17integral_constantIbLb0EES1O_IbLb1EEEEDaS1K_S1L_EUlS1K_E_NS1_11comp_targetILNS1_3genE3ELNS1_11target_archE908ELNS1_3gpuE7ELNS1_3repE0EEENS1_30default_config_static_selectorELNS0_4arch9wavefront6targetE0EEEvSY_.num_named_barrier, 0
	.set _ZN7rocprim17ROCPRIM_400000_NS6detail17trampoline_kernelINS0_13select_configILj256ELj13ELNS0_17block_load_methodE3ELS4_3ELS4_3ELNS0_20block_scan_algorithmE0ELj4294967295EEENS1_25partition_config_selectorILNS1_17partition_subalgoE3EjNS0_10empty_typeEbEEZZNS1_14partition_implILS8_3ELb0ES6_jNS0_17counting_iteratorIjlEEPS9_SE_NS0_5tupleIJPjSE_EEENSF_IJSE_SE_EEES9_SG_JZNS1_25segmented_radix_sort_implINS0_14default_configELb1EPKaPaPKlPlN2at6native12_GLOBAL__N_18offset_tEEE10hipError_tPvRmT1_PNSt15iterator_traitsISY_E10value_typeET2_T3_PNSZ_IS14_E10value_typeET4_jRbjT5_S1A_jjP12ihipStream_tbEUljE_EEESV_SW_SX_S14_S18_S1A_T6_T7_T9_mT8_S1C_bDpT10_ENKUlT_T0_E_clISt17integral_constantIbLb0EES1O_IbLb1EEEEDaS1K_S1L_EUlS1K_E_NS1_11comp_targetILNS1_3genE3ELNS1_11target_archE908ELNS1_3gpuE7ELNS1_3repE0EEENS1_30default_config_static_selectorELNS0_4arch9wavefront6targetE0EEEvSY_.private_seg_size, 0
	.set _ZN7rocprim17ROCPRIM_400000_NS6detail17trampoline_kernelINS0_13select_configILj256ELj13ELNS0_17block_load_methodE3ELS4_3ELS4_3ELNS0_20block_scan_algorithmE0ELj4294967295EEENS1_25partition_config_selectorILNS1_17partition_subalgoE3EjNS0_10empty_typeEbEEZZNS1_14partition_implILS8_3ELb0ES6_jNS0_17counting_iteratorIjlEEPS9_SE_NS0_5tupleIJPjSE_EEENSF_IJSE_SE_EEES9_SG_JZNS1_25segmented_radix_sort_implINS0_14default_configELb1EPKaPaPKlPlN2at6native12_GLOBAL__N_18offset_tEEE10hipError_tPvRmT1_PNSt15iterator_traitsISY_E10value_typeET2_T3_PNSZ_IS14_E10value_typeET4_jRbjT5_S1A_jjP12ihipStream_tbEUljE_EEESV_SW_SX_S14_S18_S1A_T6_T7_T9_mT8_S1C_bDpT10_ENKUlT_T0_E_clISt17integral_constantIbLb0EES1O_IbLb1EEEEDaS1K_S1L_EUlS1K_E_NS1_11comp_targetILNS1_3genE3ELNS1_11target_archE908ELNS1_3gpuE7ELNS1_3repE0EEENS1_30default_config_static_selectorELNS0_4arch9wavefront6targetE0EEEvSY_.uses_vcc, 0
	.set _ZN7rocprim17ROCPRIM_400000_NS6detail17trampoline_kernelINS0_13select_configILj256ELj13ELNS0_17block_load_methodE3ELS4_3ELS4_3ELNS0_20block_scan_algorithmE0ELj4294967295EEENS1_25partition_config_selectorILNS1_17partition_subalgoE3EjNS0_10empty_typeEbEEZZNS1_14partition_implILS8_3ELb0ES6_jNS0_17counting_iteratorIjlEEPS9_SE_NS0_5tupleIJPjSE_EEENSF_IJSE_SE_EEES9_SG_JZNS1_25segmented_radix_sort_implINS0_14default_configELb1EPKaPaPKlPlN2at6native12_GLOBAL__N_18offset_tEEE10hipError_tPvRmT1_PNSt15iterator_traitsISY_E10value_typeET2_T3_PNSZ_IS14_E10value_typeET4_jRbjT5_S1A_jjP12ihipStream_tbEUljE_EEESV_SW_SX_S14_S18_S1A_T6_T7_T9_mT8_S1C_bDpT10_ENKUlT_T0_E_clISt17integral_constantIbLb0EES1O_IbLb1EEEEDaS1K_S1L_EUlS1K_E_NS1_11comp_targetILNS1_3genE3ELNS1_11target_archE908ELNS1_3gpuE7ELNS1_3repE0EEENS1_30default_config_static_selectorELNS0_4arch9wavefront6targetE0EEEvSY_.uses_flat_scratch, 0
	.set _ZN7rocprim17ROCPRIM_400000_NS6detail17trampoline_kernelINS0_13select_configILj256ELj13ELNS0_17block_load_methodE3ELS4_3ELS4_3ELNS0_20block_scan_algorithmE0ELj4294967295EEENS1_25partition_config_selectorILNS1_17partition_subalgoE3EjNS0_10empty_typeEbEEZZNS1_14partition_implILS8_3ELb0ES6_jNS0_17counting_iteratorIjlEEPS9_SE_NS0_5tupleIJPjSE_EEENSF_IJSE_SE_EEES9_SG_JZNS1_25segmented_radix_sort_implINS0_14default_configELb1EPKaPaPKlPlN2at6native12_GLOBAL__N_18offset_tEEE10hipError_tPvRmT1_PNSt15iterator_traitsISY_E10value_typeET2_T3_PNSZ_IS14_E10value_typeET4_jRbjT5_S1A_jjP12ihipStream_tbEUljE_EEESV_SW_SX_S14_S18_S1A_T6_T7_T9_mT8_S1C_bDpT10_ENKUlT_T0_E_clISt17integral_constantIbLb0EES1O_IbLb1EEEEDaS1K_S1L_EUlS1K_E_NS1_11comp_targetILNS1_3genE3ELNS1_11target_archE908ELNS1_3gpuE7ELNS1_3repE0EEENS1_30default_config_static_selectorELNS0_4arch9wavefront6targetE0EEEvSY_.has_dyn_sized_stack, 0
	.set _ZN7rocprim17ROCPRIM_400000_NS6detail17trampoline_kernelINS0_13select_configILj256ELj13ELNS0_17block_load_methodE3ELS4_3ELS4_3ELNS0_20block_scan_algorithmE0ELj4294967295EEENS1_25partition_config_selectorILNS1_17partition_subalgoE3EjNS0_10empty_typeEbEEZZNS1_14partition_implILS8_3ELb0ES6_jNS0_17counting_iteratorIjlEEPS9_SE_NS0_5tupleIJPjSE_EEENSF_IJSE_SE_EEES9_SG_JZNS1_25segmented_radix_sort_implINS0_14default_configELb1EPKaPaPKlPlN2at6native12_GLOBAL__N_18offset_tEEE10hipError_tPvRmT1_PNSt15iterator_traitsISY_E10value_typeET2_T3_PNSZ_IS14_E10value_typeET4_jRbjT5_S1A_jjP12ihipStream_tbEUljE_EEESV_SW_SX_S14_S18_S1A_T6_T7_T9_mT8_S1C_bDpT10_ENKUlT_T0_E_clISt17integral_constantIbLb0EES1O_IbLb1EEEEDaS1K_S1L_EUlS1K_E_NS1_11comp_targetILNS1_3genE3ELNS1_11target_archE908ELNS1_3gpuE7ELNS1_3repE0EEENS1_30default_config_static_selectorELNS0_4arch9wavefront6targetE0EEEvSY_.has_recursion, 0
	.set _ZN7rocprim17ROCPRIM_400000_NS6detail17trampoline_kernelINS0_13select_configILj256ELj13ELNS0_17block_load_methodE3ELS4_3ELS4_3ELNS0_20block_scan_algorithmE0ELj4294967295EEENS1_25partition_config_selectorILNS1_17partition_subalgoE3EjNS0_10empty_typeEbEEZZNS1_14partition_implILS8_3ELb0ES6_jNS0_17counting_iteratorIjlEEPS9_SE_NS0_5tupleIJPjSE_EEENSF_IJSE_SE_EEES9_SG_JZNS1_25segmented_radix_sort_implINS0_14default_configELb1EPKaPaPKlPlN2at6native12_GLOBAL__N_18offset_tEEE10hipError_tPvRmT1_PNSt15iterator_traitsISY_E10value_typeET2_T3_PNSZ_IS14_E10value_typeET4_jRbjT5_S1A_jjP12ihipStream_tbEUljE_EEESV_SW_SX_S14_S18_S1A_T6_T7_T9_mT8_S1C_bDpT10_ENKUlT_T0_E_clISt17integral_constantIbLb0EES1O_IbLb1EEEEDaS1K_S1L_EUlS1K_E_NS1_11comp_targetILNS1_3genE3ELNS1_11target_archE908ELNS1_3gpuE7ELNS1_3repE0EEENS1_30default_config_static_selectorELNS0_4arch9wavefront6targetE0EEEvSY_.has_indirect_call, 0
	.section	.AMDGPU.csdata,"",@progbits
; Kernel info:
; codeLenInByte = 0
; TotalNumSgprs: 0
; NumVgprs: 0
; ScratchSize: 0
; MemoryBound: 0
; FloatMode: 240
; IeeeMode: 1
; LDSByteSize: 0 bytes/workgroup (compile time only)
; SGPRBlocks: 0
; VGPRBlocks: 0
; NumSGPRsForWavesPerEU: 1
; NumVGPRsForWavesPerEU: 1
; Occupancy: 16
; WaveLimiterHint : 0
; COMPUTE_PGM_RSRC2:SCRATCH_EN: 0
; COMPUTE_PGM_RSRC2:USER_SGPR: 2
; COMPUTE_PGM_RSRC2:TRAP_HANDLER: 0
; COMPUTE_PGM_RSRC2:TGID_X_EN: 1
; COMPUTE_PGM_RSRC2:TGID_Y_EN: 0
; COMPUTE_PGM_RSRC2:TGID_Z_EN: 0
; COMPUTE_PGM_RSRC2:TIDIG_COMP_CNT: 0
	.section	.text._ZN7rocprim17ROCPRIM_400000_NS6detail17trampoline_kernelINS0_13select_configILj256ELj13ELNS0_17block_load_methodE3ELS4_3ELS4_3ELNS0_20block_scan_algorithmE0ELj4294967295EEENS1_25partition_config_selectorILNS1_17partition_subalgoE3EjNS0_10empty_typeEbEEZZNS1_14partition_implILS8_3ELb0ES6_jNS0_17counting_iteratorIjlEEPS9_SE_NS0_5tupleIJPjSE_EEENSF_IJSE_SE_EEES9_SG_JZNS1_25segmented_radix_sort_implINS0_14default_configELb1EPKaPaPKlPlN2at6native12_GLOBAL__N_18offset_tEEE10hipError_tPvRmT1_PNSt15iterator_traitsISY_E10value_typeET2_T3_PNSZ_IS14_E10value_typeET4_jRbjT5_S1A_jjP12ihipStream_tbEUljE_EEESV_SW_SX_S14_S18_S1A_T6_T7_T9_mT8_S1C_bDpT10_ENKUlT_T0_E_clISt17integral_constantIbLb0EES1O_IbLb1EEEEDaS1K_S1L_EUlS1K_E_NS1_11comp_targetILNS1_3genE2ELNS1_11target_archE906ELNS1_3gpuE6ELNS1_3repE0EEENS1_30default_config_static_selectorELNS0_4arch9wavefront6targetE0EEEvSY_,"axG",@progbits,_ZN7rocprim17ROCPRIM_400000_NS6detail17trampoline_kernelINS0_13select_configILj256ELj13ELNS0_17block_load_methodE3ELS4_3ELS4_3ELNS0_20block_scan_algorithmE0ELj4294967295EEENS1_25partition_config_selectorILNS1_17partition_subalgoE3EjNS0_10empty_typeEbEEZZNS1_14partition_implILS8_3ELb0ES6_jNS0_17counting_iteratorIjlEEPS9_SE_NS0_5tupleIJPjSE_EEENSF_IJSE_SE_EEES9_SG_JZNS1_25segmented_radix_sort_implINS0_14default_configELb1EPKaPaPKlPlN2at6native12_GLOBAL__N_18offset_tEEE10hipError_tPvRmT1_PNSt15iterator_traitsISY_E10value_typeET2_T3_PNSZ_IS14_E10value_typeET4_jRbjT5_S1A_jjP12ihipStream_tbEUljE_EEESV_SW_SX_S14_S18_S1A_T6_T7_T9_mT8_S1C_bDpT10_ENKUlT_T0_E_clISt17integral_constantIbLb0EES1O_IbLb1EEEEDaS1K_S1L_EUlS1K_E_NS1_11comp_targetILNS1_3genE2ELNS1_11target_archE906ELNS1_3gpuE6ELNS1_3repE0EEENS1_30default_config_static_selectorELNS0_4arch9wavefront6targetE0EEEvSY_,comdat
	.globl	_ZN7rocprim17ROCPRIM_400000_NS6detail17trampoline_kernelINS0_13select_configILj256ELj13ELNS0_17block_load_methodE3ELS4_3ELS4_3ELNS0_20block_scan_algorithmE0ELj4294967295EEENS1_25partition_config_selectorILNS1_17partition_subalgoE3EjNS0_10empty_typeEbEEZZNS1_14partition_implILS8_3ELb0ES6_jNS0_17counting_iteratorIjlEEPS9_SE_NS0_5tupleIJPjSE_EEENSF_IJSE_SE_EEES9_SG_JZNS1_25segmented_radix_sort_implINS0_14default_configELb1EPKaPaPKlPlN2at6native12_GLOBAL__N_18offset_tEEE10hipError_tPvRmT1_PNSt15iterator_traitsISY_E10value_typeET2_T3_PNSZ_IS14_E10value_typeET4_jRbjT5_S1A_jjP12ihipStream_tbEUljE_EEESV_SW_SX_S14_S18_S1A_T6_T7_T9_mT8_S1C_bDpT10_ENKUlT_T0_E_clISt17integral_constantIbLb0EES1O_IbLb1EEEEDaS1K_S1L_EUlS1K_E_NS1_11comp_targetILNS1_3genE2ELNS1_11target_archE906ELNS1_3gpuE6ELNS1_3repE0EEENS1_30default_config_static_selectorELNS0_4arch9wavefront6targetE0EEEvSY_ ; -- Begin function _ZN7rocprim17ROCPRIM_400000_NS6detail17trampoline_kernelINS0_13select_configILj256ELj13ELNS0_17block_load_methodE3ELS4_3ELS4_3ELNS0_20block_scan_algorithmE0ELj4294967295EEENS1_25partition_config_selectorILNS1_17partition_subalgoE3EjNS0_10empty_typeEbEEZZNS1_14partition_implILS8_3ELb0ES6_jNS0_17counting_iteratorIjlEEPS9_SE_NS0_5tupleIJPjSE_EEENSF_IJSE_SE_EEES9_SG_JZNS1_25segmented_radix_sort_implINS0_14default_configELb1EPKaPaPKlPlN2at6native12_GLOBAL__N_18offset_tEEE10hipError_tPvRmT1_PNSt15iterator_traitsISY_E10value_typeET2_T3_PNSZ_IS14_E10value_typeET4_jRbjT5_S1A_jjP12ihipStream_tbEUljE_EEESV_SW_SX_S14_S18_S1A_T6_T7_T9_mT8_S1C_bDpT10_ENKUlT_T0_E_clISt17integral_constantIbLb0EES1O_IbLb1EEEEDaS1K_S1L_EUlS1K_E_NS1_11comp_targetILNS1_3genE2ELNS1_11target_archE906ELNS1_3gpuE6ELNS1_3repE0EEENS1_30default_config_static_selectorELNS0_4arch9wavefront6targetE0EEEvSY_
	.p2align	8
	.type	_ZN7rocprim17ROCPRIM_400000_NS6detail17trampoline_kernelINS0_13select_configILj256ELj13ELNS0_17block_load_methodE3ELS4_3ELS4_3ELNS0_20block_scan_algorithmE0ELj4294967295EEENS1_25partition_config_selectorILNS1_17partition_subalgoE3EjNS0_10empty_typeEbEEZZNS1_14partition_implILS8_3ELb0ES6_jNS0_17counting_iteratorIjlEEPS9_SE_NS0_5tupleIJPjSE_EEENSF_IJSE_SE_EEES9_SG_JZNS1_25segmented_radix_sort_implINS0_14default_configELb1EPKaPaPKlPlN2at6native12_GLOBAL__N_18offset_tEEE10hipError_tPvRmT1_PNSt15iterator_traitsISY_E10value_typeET2_T3_PNSZ_IS14_E10value_typeET4_jRbjT5_S1A_jjP12ihipStream_tbEUljE_EEESV_SW_SX_S14_S18_S1A_T6_T7_T9_mT8_S1C_bDpT10_ENKUlT_T0_E_clISt17integral_constantIbLb0EES1O_IbLb1EEEEDaS1K_S1L_EUlS1K_E_NS1_11comp_targetILNS1_3genE2ELNS1_11target_archE906ELNS1_3gpuE6ELNS1_3repE0EEENS1_30default_config_static_selectorELNS0_4arch9wavefront6targetE0EEEvSY_,@function
_ZN7rocprim17ROCPRIM_400000_NS6detail17trampoline_kernelINS0_13select_configILj256ELj13ELNS0_17block_load_methodE3ELS4_3ELS4_3ELNS0_20block_scan_algorithmE0ELj4294967295EEENS1_25partition_config_selectorILNS1_17partition_subalgoE3EjNS0_10empty_typeEbEEZZNS1_14partition_implILS8_3ELb0ES6_jNS0_17counting_iteratorIjlEEPS9_SE_NS0_5tupleIJPjSE_EEENSF_IJSE_SE_EEES9_SG_JZNS1_25segmented_radix_sort_implINS0_14default_configELb1EPKaPaPKlPlN2at6native12_GLOBAL__N_18offset_tEEE10hipError_tPvRmT1_PNSt15iterator_traitsISY_E10value_typeET2_T3_PNSZ_IS14_E10value_typeET4_jRbjT5_S1A_jjP12ihipStream_tbEUljE_EEESV_SW_SX_S14_S18_S1A_T6_T7_T9_mT8_S1C_bDpT10_ENKUlT_T0_E_clISt17integral_constantIbLb0EES1O_IbLb1EEEEDaS1K_S1L_EUlS1K_E_NS1_11comp_targetILNS1_3genE2ELNS1_11target_archE906ELNS1_3gpuE6ELNS1_3repE0EEENS1_30default_config_static_selectorELNS0_4arch9wavefront6targetE0EEEvSY_: ; @_ZN7rocprim17ROCPRIM_400000_NS6detail17trampoline_kernelINS0_13select_configILj256ELj13ELNS0_17block_load_methodE3ELS4_3ELS4_3ELNS0_20block_scan_algorithmE0ELj4294967295EEENS1_25partition_config_selectorILNS1_17partition_subalgoE3EjNS0_10empty_typeEbEEZZNS1_14partition_implILS8_3ELb0ES6_jNS0_17counting_iteratorIjlEEPS9_SE_NS0_5tupleIJPjSE_EEENSF_IJSE_SE_EEES9_SG_JZNS1_25segmented_radix_sort_implINS0_14default_configELb1EPKaPaPKlPlN2at6native12_GLOBAL__N_18offset_tEEE10hipError_tPvRmT1_PNSt15iterator_traitsISY_E10value_typeET2_T3_PNSZ_IS14_E10value_typeET4_jRbjT5_S1A_jjP12ihipStream_tbEUljE_EEESV_SW_SX_S14_S18_S1A_T6_T7_T9_mT8_S1C_bDpT10_ENKUlT_T0_E_clISt17integral_constantIbLb0EES1O_IbLb1EEEEDaS1K_S1L_EUlS1K_E_NS1_11comp_targetILNS1_3genE2ELNS1_11target_archE906ELNS1_3gpuE6ELNS1_3repE0EEENS1_30default_config_static_selectorELNS0_4arch9wavefront6targetE0EEEvSY_
; %bb.0:
	.section	.rodata,"a",@progbits
	.p2align	6, 0x0
	.amdhsa_kernel _ZN7rocprim17ROCPRIM_400000_NS6detail17trampoline_kernelINS0_13select_configILj256ELj13ELNS0_17block_load_methodE3ELS4_3ELS4_3ELNS0_20block_scan_algorithmE0ELj4294967295EEENS1_25partition_config_selectorILNS1_17partition_subalgoE3EjNS0_10empty_typeEbEEZZNS1_14partition_implILS8_3ELb0ES6_jNS0_17counting_iteratorIjlEEPS9_SE_NS0_5tupleIJPjSE_EEENSF_IJSE_SE_EEES9_SG_JZNS1_25segmented_radix_sort_implINS0_14default_configELb1EPKaPaPKlPlN2at6native12_GLOBAL__N_18offset_tEEE10hipError_tPvRmT1_PNSt15iterator_traitsISY_E10value_typeET2_T3_PNSZ_IS14_E10value_typeET4_jRbjT5_S1A_jjP12ihipStream_tbEUljE_EEESV_SW_SX_S14_S18_S1A_T6_T7_T9_mT8_S1C_bDpT10_ENKUlT_T0_E_clISt17integral_constantIbLb0EES1O_IbLb1EEEEDaS1K_S1L_EUlS1K_E_NS1_11comp_targetILNS1_3genE2ELNS1_11target_archE906ELNS1_3gpuE6ELNS1_3repE0EEENS1_30default_config_static_selectorELNS0_4arch9wavefront6targetE0EEEvSY_
		.amdhsa_group_segment_fixed_size 0
		.amdhsa_private_segment_fixed_size 0
		.amdhsa_kernarg_size 152
		.amdhsa_user_sgpr_count 2
		.amdhsa_user_sgpr_dispatch_ptr 0
		.amdhsa_user_sgpr_queue_ptr 0
		.amdhsa_user_sgpr_kernarg_segment_ptr 1
		.amdhsa_user_sgpr_dispatch_id 0
		.amdhsa_user_sgpr_private_segment_size 0
		.amdhsa_wavefront_size32 1
		.amdhsa_uses_dynamic_stack 0
		.amdhsa_enable_private_segment 0
		.amdhsa_system_sgpr_workgroup_id_x 1
		.amdhsa_system_sgpr_workgroup_id_y 0
		.amdhsa_system_sgpr_workgroup_id_z 0
		.amdhsa_system_sgpr_workgroup_info 0
		.amdhsa_system_vgpr_workitem_id 0
		.amdhsa_next_free_vgpr 1
		.amdhsa_next_free_sgpr 1
		.amdhsa_reserve_vcc 0
		.amdhsa_float_round_mode_32 0
		.amdhsa_float_round_mode_16_64 0
		.amdhsa_float_denorm_mode_32 3
		.amdhsa_float_denorm_mode_16_64 3
		.amdhsa_fp16_overflow 0
		.amdhsa_workgroup_processor_mode 1
		.amdhsa_memory_ordered 1
		.amdhsa_forward_progress 1
		.amdhsa_inst_pref_size 0
		.amdhsa_round_robin_scheduling 0
		.amdhsa_exception_fp_ieee_invalid_op 0
		.amdhsa_exception_fp_denorm_src 0
		.amdhsa_exception_fp_ieee_div_zero 0
		.amdhsa_exception_fp_ieee_overflow 0
		.amdhsa_exception_fp_ieee_underflow 0
		.amdhsa_exception_fp_ieee_inexact 0
		.amdhsa_exception_int_div_zero 0
	.end_amdhsa_kernel
	.section	.text._ZN7rocprim17ROCPRIM_400000_NS6detail17trampoline_kernelINS0_13select_configILj256ELj13ELNS0_17block_load_methodE3ELS4_3ELS4_3ELNS0_20block_scan_algorithmE0ELj4294967295EEENS1_25partition_config_selectorILNS1_17partition_subalgoE3EjNS0_10empty_typeEbEEZZNS1_14partition_implILS8_3ELb0ES6_jNS0_17counting_iteratorIjlEEPS9_SE_NS0_5tupleIJPjSE_EEENSF_IJSE_SE_EEES9_SG_JZNS1_25segmented_radix_sort_implINS0_14default_configELb1EPKaPaPKlPlN2at6native12_GLOBAL__N_18offset_tEEE10hipError_tPvRmT1_PNSt15iterator_traitsISY_E10value_typeET2_T3_PNSZ_IS14_E10value_typeET4_jRbjT5_S1A_jjP12ihipStream_tbEUljE_EEESV_SW_SX_S14_S18_S1A_T6_T7_T9_mT8_S1C_bDpT10_ENKUlT_T0_E_clISt17integral_constantIbLb0EES1O_IbLb1EEEEDaS1K_S1L_EUlS1K_E_NS1_11comp_targetILNS1_3genE2ELNS1_11target_archE906ELNS1_3gpuE6ELNS1_3repE0EEENS1_30default_config_static_selectorELNS0_4arch9wavefront6targetE0EEEvSY_,"axG",@progbits,_ZN7rocprim17ROCPRIM_400000_NS6detail17trampoline_kernelINS0_13select_configILj256ELj13ELNS0_17block_load_methodE3ELS4_3ELS4_3ELNS0_20block_scan_algorithmE0ELj4294967295EEENS1_25partition_config_selectorILNS1_17partition_subalgoE3EjNS0_10empty_typeEbEEZZNS1_14partition_implILS8_3ELb0ES6_jNS0_17counting_iteratorIjlEEPS9_SE_NS0_5tupleIJPjSE_EEENSF_IJSE_SE_EEES9_SG_JZNS1_25segmented_radix_sort_implINS0_14default_configELb1EPKaPaPKlPlN2at6native12_GLOBAL__N_18offset_tEEE10hipError_tPvRmT1_PNSt15iterator_traitsISY_E10value_typeET2_T3_PNSZ_IS14_E10value_typeET4_jRbjT5_S1A_jjP12ihipStream_tbEUljE_EEESV_SW_SX_S14_S18_S1A_T6_T7_T9_mT8_S1C_bDpT10_ENKUlT_T0_E_clISt17integral_constantIbLb0EES1O_IbLb1EEEEDaS1K_S1L_EUlS1K_E_NS1_11comp_targetILNS1_3genE2ELNS1_11target_archE906ELNS1_3gpuE6ELNS1_3repE0EEENS1_30default_config_static_selectorELNS0_4arch9wavefront6targetE0EEEvSY_,comdat
.Lfunc_end286:
	.size	_ZN7rocprim17ROCPRIM_400000_NS6detail17trampoline_kernelINS0_13select_configILj256ELj13ELNS0_17block_load_methodE3ELS4_3ELS4_3ELNS0_20block_scan_algorithmE0ELj4294967295EEENS1_25partition_config_selectorILNS1_17partition_subalgoE3EjNS0_10empty_typeEbEEZZNS1_14partition_implILS8_3ELb0ES6_jNS0_17counting_iteratorIjlEEPS9_SE_NS0_5tupleIJPjSE_EEENSF_IJSE_SE_EEES9_SG_JZNS1_25segmented_radix_sort_implINS0_14default_configELb1EPKaPaPKlPlN2at6native12_GLOBAL__N_18offset_tEEE10hipError_tPvRmT1_PNSt15iterator_traitsISY_E10value_typeET2_T3_PNSZ_IS14_E10value_typeET4_jRbjT5_S1A_jjP12ihipStream_tbEUljE_EEESV_SW_SX_S14_S18_S1A_T6_T7_T9_mT8_S1C_bDpT10_ENKUlT_T0_E_clISt17integral_constantIbLb0EES1O_IbLb1EEEEDaS1K_S1L_EUlS1K_E_NS1_11comp_targetILNS1_3genE2ELNS1_11target_archE906ELNS1_3gpuE6ELNS1_3repE0EEENS1_30default_config_static_selectorELNS0_4arch9wavefront6targetE0EEEvSY_, .Lfunc_end286-_ZN7rocprim17ROCPRIM_400000_NS6detail17trampoline_kernelINS0_13select_configILj256ELj13ELNS0_17block_load_methodE3ELS4_3ELS4_3ELNS0_20block_scan_algorithmE0ELj4294967295EEENS1_25partition_config_selectorILNS1_17partition_subalgoE3EjNS0_10empty_typeEbEEZZNS1_14partition_implILS8_3ELb0ES6_jNS0_17counting_iteratorIjlEEPS9_SE_NS0_5tupleIJPjSE_EEENSF_IJSE_SE_EEES9_SG_JZNS1_25segmented_radix_sort_implINS0_14default_configELb1EPKaPaPKlPlN2at6native12_GLOBAL__N_18offset_tEEE10hipError_tPvRmT1_PNSt15iterator_traitsISY_E10value_typeET2_T3_PNSZ_IS14_E10value_typeET4_jRbjT5_S1A_jjP12ihipStream_tbEUljE_EEESV_SW_SX_S14_S18_S1A_T6_T7_T9_mT8_S1C_bDpT10_ENKUlT_T0_E_clISt17integral_constantIbLb0EES1O_IbLb1EEEEDaS1K_S1L_EUlS1K_E_NS1_11comp_targetILNS1_3genE2ELNS1_11target_archE906ELNS1_3gpuE6ELNS1_3repE0EEENS1_30default_config_static_selectorELNS0_4arch9wavefront6targetE0EEEvSY_
                                        ; -- End function
	.set _ZN7rocprim17ROCPRIM_400000_NS6detail17trampoline_kernelINS0_13select_configILj256ELj13ELNS0_17block_load_methodE3ELS4_3ELS4_3ELNS0_20block_scan_algorithmE0ELj4294967295EEENS1_25partition_config_selectorILNS1_17partition_subalgoE3EjNS0_10empty_typeEbEEZZNS1_14partition_implILS8_3ELb0ES6_jNS0_17counting_iteratorIjlEEPS9_SE_NS0_5tupleIJPjSE_EEENSF_IJSE_SE_EEES9_SG_JZNS1_25segmented_radix_sort_implINS0_14default_configELb1EPKaPaPKlPlN2at6native12_GLOBAL__N_18offset_tEEE10hipError_tPvRmT1_PNSt15iterator_traitsISY_E10value_typeET2_T3_PNSZ_IS14_E10value_typeET4_jRbjT5_S1A_jjP12ihipStream_tbEUljE_EEESV_SW_SX_S14_S18_S1A_T6_T7_T9_mT8_S1C_bDpT10_ENKUlT_T0_E_clISt17integral_constantIbLb0EES1O_IbLb1EEEEDaS1K_S1L_EUlS1K_E_NS1_11comp_targetILNS1_3genE2ELNS1_11target_archE906ELNS1_3gpuE6ELNS1_3repE0EEENS1_30default_config_static_selectorELNS0_4arch9wavefront6targetE0EEEvSY_.num_vgpr, 0
	.set _ZN7rocprim17ROCPRIM_400000_NS6detail17trampoline_kernelINS0_13select_configILj256ELj13ELNS0_17block_load_methodE3ELS4_3ELS4_3ELNS0_20block_scan_algorithmE0ELj4294967295EEENS1_25partition_config_selectorILNS1_17partition_subalgoE3EjNS0_10empty_typeEbEEZZNS1_14partition_implILS8_3ELb0ES6_jNS0_17counting_iteratorIjlEEPS9_SE_NS0_5tupleIJPjSE_EEENSF_IJSE_SE_EEES9_SG_JZNS1_25segmented_radix_sort_implINS0_14default_configELb1EPKaPaPKlPlN2at6native12_GLOBAL__N_18offset_tEEE10hipError_tPvRmT1_PNSt15iterator_traitsISY_E10value_typeET2_T3_PNSZ_IS14_E10value_typeET4_jRbjT5_S1A_jjP12ihipStream_tbEUljE_EEESV_SW_SX_S14_S18_S1A_T6_T7_T9_mT8_S1C_bDpT10_ENKUlT_T0_E_clISt17integral_constantIbLb0EES1O_IbLb1EEEEDaS1K_S1L_EUlS1K_E_NS1_11comp_targetILNS1_3genE2ELNS1_11target_archE906ELNS1_3gpuE6ELNS1_3repE0EEENS1_30default_config_static_selectorELNS0_4arch9wavefront6targetE0EEEvSY_.num_agpr, 0
	.set _ZN7rocprim17ROCPRIM_400000_NS6detail17trampoline_kernelINS0_13select_configILj256ELj13ELNS0_17block_load_methodE3ELS4_3ELS4_3ELNS0_20block_scan_algorithmE0ELj4294967295EEENS1_25partition_config_selectorILNS1_17partition_subalgoE3EjNS0_10empty_typeEbEEZZNS1_14partition_implILS8_3ELb0ES6_jNS0_17counting_iteratorIjlEEPS9_SE_NS0_5tupleIJPjSE_EEENSF_IJSE_SE_EEES9_SG_JZNS1_25segmented_radix_sort_implINS0_14default_configELb1EPKaPaPKlPlN2at6native12_GLOBAL__N_18offset_tEEE10hipError_tPvRmT1_PNSt15iterator_traitsISY_E10value_typeET2_T3_PNSZ_IS14_E10value_typeET4_jRbjT5_S1A_jjP12ihipStream_tbEUljE_EEESV_SW_SX_S14_S18_S1A_T6_T7_T9_mT8_S1C_bDpT10_ENKUlT_T0_E_clISt17integral_constantIbLb0EES1O_IbLb1EEEEDaS1K_S1L_EUlS1K_E_NS1_11comp_targetILNS1_3genE2ELNS1_11target_archE906ELNS1_3gpuE6ELNS1_3repE0EEENS1_30default_config_static_selectorELNS0_4arch9wavefront6targetE0EEEvSY_.numbered_sgpr, 0
	.set _ZN7rocprim17ROCPRIM_400000_NS6detail17trampoline_kernelINS0_13select_configILj256ELj13ELNS0_17block_load_methodE3ELS4_3ELS4_3ELNS0_20block_scan_algorithmE0ELj4294967295EEENS1_25partition_config_selectorILNS1_17partition_subalgoE3EjNS0_10empty_typeEbEEZZNS1_14partition_implILS8_3ELb0ES6_jNS0_17counting_iteratorIjlEEPS9_SE_NS0_5tupleIJPjSE_EEENSF_IJSE_SE_EEES9_SG_JZNS1_25segmented_radix_sort_implINS0_14default_configELb1EPKaPaPKlPlN2at6native12_GLOBAL__N_18offset_tEEE10hipError_tPvRmT1_PNSt15iterator_traitsISY_E10value_typeET2_T3_PNSZ_IS14_E10value_typeET4_jRbjT5_S1A_jjP12ihipStream_tbEUljE_EEESV_SW_SX_S14_S18_S1A_T6_T7_T9_mT8_S1C_bDpT10_ENKUlT_T0_E_clISt17integral_constantIbLb0EES1O_IbLb1EEEEDaS1K_S1L_EUlS1K_E_NS1_11comp_targetILNS1_3genE2ELNS1_11target_archE906ELNS1_3gpuE6ELNS1_3repE0EEENS1_30default_config_static_selectorELNS0_4arch9wavefront6targetE0EEEvSY_.num_named_barrier, 0
	.set _ZN7rocprim17ROCPRIM_400000_NS6detail17trampoline_kernelINS0_13select_configILj256ELj13ELNS0_17block_load_methodE3ELS4_3ELS4_3ELNS0_20block_scan_algorithmE0ELj4294967295EEENS1_25partition_config_selectorILNS1_17partition_subalgoE3EjNS0_10empty_typeEbEEZZNS1_14partition_implILS8_3ELb0ES6_jNS0_17counting_iteratorIjlEEPS9_SE_NS0_5tupleIJPjSE_EEENSF_IJSE_SE_EEES9_SG_JZNS1_25segmented_radix_sort_implINS0_14default_configELb1EPKaPaPKlPlN2at6native12_GLOBAL__N_18offset_tEEE10hipError_tPvRmT1_PNSt15iterator_traitsISY_E10value_typeET2_T3_PNSZ_IS14_E10value_typeET4_jRbjT5_S1A_jjP12ihipStream_tbEUljE_EEESV_SW_SX_S14_S18_S1A_T6_T7_T9_mT8_S1C_bDpT10_ENKUlT_T0_E_clISt17integral_constantIbLb0EES1O_IbLb1EEEEDaS1K_S1L_EUlS1K_E_NS1_11comp_targetILNS1_3genE2ELNS1_11target_archE906ELNS1_3gpuE6ELNS1_3repE0EEENS1_30default_config_static_selectorELNS0_4arch9wavefront6targetE0EEEvSY_.private_seg_size, 0
	.set _ZN7rocprim17ROCPRIM_400000_NS6detail17trampoline_kernelINS0_13select_configILj256ELj13ELNS0_17block_load_methodE3ELS4_3ELS4_3ELNS0_20block_scan_algorithmE0ELj4294967295EEENS1_25partition_config_selectorILNS1_17partition_subalgoE3EjNS0_10empty_typeEbEEZZNS1_14partition_implILS8_3ELb0ES6_jNS0_17counting_iteratorIjlEEPS9_SE_NS0_5tupleIJPjSE_EEENSF_IJSE_SE_EEES9_SG_JZNS1_25segmented_radix_sort_implINS0_14default_configELb1EPKaPaPKlPlN2at6native12_GLOBAL__N_18offset_tEEE10hipError_tPvRmT1_PNSt15iterator_traitsISY_E10value_typeET2_T3_PNSZ_IS14_E10value_typeET4_jRbjT5_S1A_jjP12ihipStream_tbEUljE_EEESV_SW_SX_S14_S18_S1A_T6_T7_T9_mT8_S1C_bDpT10_ENKUlT_T0_E_clISt17integral_constantIbLb0EES1O_IbLb1EEEEDaS1K_S1L_EUlS1K_E_NS1_11comp_targetILNS1_3genE2ELNS1_11target_archE906ELNS1_3gpuE6ELNS1_3repE0EEENS1_30default_config_static_selectorELNS0_4arch9wavefront6targetE0EEEvSY_.uses_vcc, 0
	.set _ZN7rocprim17ROCPRIM_400000_NS6detail17trampoline_kernelINS0_13select_configILj256ELj13ELNS0_17block_load_methodE3ELS4_3ELS4_3ELNS0_20block_scan_algorithmE0ELj4294967295EEENS1_25partition_config_selectorILNS1_17partition_subalgoE3EjNS0_10empty_typeEbEEZZNS1_14partition_implILS8_3ELb0ES6_jNS0_17counting_iteratorIjlEEPS9_SE_NS0_5tupleIJPjSE_EEENSF_IJSE_SE_EEES9_SG_JZNS1_25segmented_radix_sort_implINS0_14default_configELb1EPKaPaPKlPlN2at6native12_GLOBAL__N_18offset_tEEE10hipError_tPvRmT1_PNSt15iterator_traitsISY_E10value_typeET2_T3_PNSZ_IS14_E10value_typeET4_jRbjT5_S1A_jjP12ihipStream_tbEUljE_EEESV_SW_SX_S14_S18_S1A_T6_T7_T9_mT8_S1C_bDpT10_ENKUlT_T0_E_clISt17integral_constantIbLb0EES1O_IbLb1EEEEDaS1K_S1L_EUlS1K_E_NS1_11comp_targetILNS1_3genE2ELNS1_11target_archE906ELNS1_3gpuE6ELNS1_3repE0EEENS1_30default_config_static_selectorELNS0_4arch9wavefront6targetE0EEEvSY_.uses_flat_scratch, 0
	.set _ZN7rocprim17ROCPRIM_400000_NS6detail17trampoline_kernelINS0_13select_configILj256ELj13ELNS0_17block_load_methodE3ELS4_3ELS4_3ELNS0_20block_scan_algorithmE0ELj4294967295EEENS1_25partition_config_selectorILNS1_17partition_subalgoE3EjNS0_10empty_typeEbEEZZNS1_14partition_implILS8_3ELb0ES6_jNS0_17counting_iteratorIjlEEPS9_SE_NS0_5tupleIJPjSE_EEENSF_IJSE_SE_EEES9_SG_JZNS1_25segmented_radix_sort_implINS0_14default_configELb1EPKaPaPKlPlN2at6native12_GLOBAL__N_18offset_tEEE10hipError_tPvRmT1_PNSt15iterator_traitsISY_E10value_typeET2_T3_PNSZ_IS14_E10value_typeET4_jRbjT5_S1A_jjP12ihipStream_tbEUljE_EEESV_SW_SX_S14_S18_S1A_T6_T7_T9_mT8_S1C_bDpT10_ENKUlT_T0_E_clISt17integral_constantIbLb0EES1O_IbLb1EEEEDaS1K_S1L_EUlS1K_E_NS1_11comp_targetILNS1_3genE2ELNS1_11target_archE906ELNS1_3gpuE6ELNS1_3repE0EEENS1_30default_config_static_selectorELNS0_4arch9wavefront6targetE0EEEvSY_.has_dyn_sized_stack, 0
	.set _ZN7rocprim17ROCPRIM_400000_NS6detail17trampoline_kernelINS0_13select_configILj256ELj13ELNS0_17block_load_methodE3ELS4_3ELS4_3ELNS0_20block_scan_algorithmE0ELj4294967295EEENS1_25partition_config_selectorILNS1_17partition_subalgoE3EjNS0_10empty_typeEbEEZZNS1_14partition_implILS8_3ELb0ES6_jNS0_17counting_iteratorIjlEEPS9_SE_NS0_5tupleIJPjSE_EEENSF_IJSE_SE_EEES9_SG_JZNS1_25segmented_radix_sort_implINS0_14default_configELb1EPKaPaPKlPlN2at6native12_GLOBAL__N_18offset_tEEE10hipError_tPvRmT1_PNSt15iterator_traitsISY_E10value_typeET2_T3_PNSZ_IS14_E10value_typeET4_jRbjT5_S1A_jjP12ihipStream_tbEUljE_EEESV_SW_SX_S14_S18_S1A_T6_T7_T9_mT8_S1C_bDpT10_ENKUlT_T0_E_clISt17integral_constantIbLb0EES1O_IbLb1EEEEDaS1K_S1L_EUlS1K_E_NS1_11comp_targetILNS1_3genE2ELNS1_11target_archE906ELNS1_3gpuE6ELNS1_3repE0EEENS1_30default_config_static_selectorELNS0_4arch9wavefront6targetE0EEEvSY_.has_recursion, 0
	.set _ZN7rocprim17ROCPRIM_400000_NS6detail17trampoline_kernelINS0_13select_configILj256ELj13ELNS0_17block_load_methodE3ELS4_3ELS4_3ELNS0_20block_scan_algorithmE0ELj4294967295EEENS1_25partition_config_selectorILNS1_17partition_subalgoE3EjNS0_10empty_typeEbEEZZNS1_14partition_implILS8_3ELb0ES6_jNS0_17counting_iteratorIjlEEPS9_SE_NS0_5tupleIJPjSE_EEENSF_IJSE_SE_EEES9_SG_JZNS1_25segmented_radix_sort_implINS0_14default_configELb1EPKaPaPKlPlN2at6native12_GLOBAL__N_18offset_tEEE10hipError_tPvRmT1_PNSt15iterator_traitsISY_E10value_typeET2_T3_PNSZ_IS14_E10value_typeET4_jRbjT5_S1A_jjP12ihipStream_tbEUljE_EEESV_SW_SX_S14_S18_S1A_T6_T7_T9_mT8_S1C_bDpT10_ENKUlT_T0_E_clISt17integral_constantIbLb0EES1O_IbLb1EEEEDaS1K_S1L_EUlS1K_E_NS1_11comp_targetILNS1_3genE2ELNS1_11target_archE906ELNS1_3gpuE6ELNS1_3repE0EEENS1_30default_config_static_selectorELNS0_4arch9wavefront6targetE0EEEvSY_.has_indirect_call, 0
	.section	.AMDGPU.csdata,"",@progbits
; Kernel info:
; codeLenInByte = 0
; TotalNumSgprs: 0
; NumVgprs: 0
; ScratchSize: 0
; MemoryBound: 0
; FloatMode: 240
; IeeeMode: 1
; LDSByteSize: 0 bytes/workgroup (compile time only)
; SGPRBlocks: 0
; VGPRBlocks: 0
; NumSGPRsForWavesPerEU: 1
; NumVGPRsForWavesPerEU: 1
; Occupancy: 16
; WaveLimiterHint : 0
; COMPUTE_PGM_RSRC2:SCRATCH_EN: 0
; COMPUTE_PGM_RSRC2:USER_SGPR: 2
; COMPUTE_PGM_RSRC2:TRAP_HANDLER: 0
; COMPUTE_PGM_RSRC2:TGID_X_EN: 1
; COMPUTE_PGM_RSRC2:TGID_Y_EN: 0
; COMPUTE_PGM_RSRC2:TGID_Z_EN: 0
; COMPUTE_PGM_RSRC2:TIDIG_COMP_CNT: 0
	.section	.text._ZN7rocprim17ROCPRIM_400000_NS6detail17trampoline_kernelINS0_13select_configILj256ELj13ELNS0_17block_load_methodE3ELS4_3ELS4_3ELNS0_20block_scan_algorithmE0ELj4294967295EEENS1_25partition_config_selectorILNS1_17partition_subalgoE3EjNS0_10empty_typeEbEEZZNS1_14partition_implILS8_3ELb0ES6_jNS0_17counting_iteratorIjlEEPS9_SE_NS0_5tupleIJPjSE_EEENSF_IJSE_SE_EEES9_SG_JZNS1_25segmented_radix_sort_implINS0_14default_configELb1EPKaPaPKlPlN2at6native12_GLOBAL__N_18offset_tEEE10hipError_tPvRmT1_PNSt15iterator_traitsISY_E10value_typeET2_T3_PNSZ_IS14_E10value_typeET4_jRbjT5_S1A_jjP12ihipStream_tbEUljE_EEESV_SW_SX_S14_S18_S1A_T6_T7_T9_mT8_S1C_bDpT10_ENKUlT_T0_E_clISt17integral_constantIbLb0EES1O_IbLb1EEEEDaS1K_S1L_EUlS1K_E_NS1_11comp_targetILNS1_3genE10ELNS1_11target_archE1200ELNS1_3gpuE4ELNS1_3repE0EEENS1_30default_config_static_selectorELNS0_4arch9wavefront6targetE0EEEvSY_,"axG",@progbits,_ZN7rocprim17ROCPRIM_400000_NS6detail17trampoline_kernelINS0_13select_configILj256ELj13ELNS0_17block_load_methodE3ELS4_3ELS4_3ELNS0_20block_scan_algorithmE0ELj4294967295EEENS1_25partition_config_selectorILNS1_17partition_subalgoE3EjNS0_10empty_typeEbEEZZNS1_14partition_implILS8_3ELb0ES6_jNS0_17counting_iteratorIjlEEPS9_SE_NS0_5tupleIJPjSE_EEENSF_IJSE_SE_EEES9_SG_JZNS1_25segmented_radix_sort_implINS0_14default_configELb1EPKaPaPKlPlN2at6native12_GLOBAL__N_18offset_tEEE10hipError_tPvRmT1_PNSt15iterator_traitsISY_E10value_typeET2_T3_PNSZ_IS14_E10value_typeET4_jRbjT5_S1A_jjP12ihipStream_tbEUljE_EEESV_SW_SX_S14_S18_S1A_T6_T7_T9_mT8_S1C_bDpT10_ENKUlT_T0_E_clISt17integral_constantIbLb0EES1O_IbLb1EEEEDaS1K_S1L_EUlS1K_E_NS1_11comp_targetILNS1_3genE10ELNS1_11target_archE1200ELNS1_3gpuE4ELNS1_3repE0EEENS1_30default_config_static_selectorELNS0_4arch9wavefront6targetE0EEEvSY_,comdat
	.globl	_ZN7rocprim17ROCPRIM_400000_NS6detail17trampoline_kernelINS0_13select_configILj256ELj13ELNS0_17block_load_methodE3ELS4_3ELS4_3ELNS0_20block_scan_algorithmE0ELj4294967295EEENS1_25partition_config_selectorILNS1_17partition_subalgoE3EjNS0_10empty_typeEbEEZZNS1_14partition_implILS8_3ELb0ES6_jNS0_17counting_iteratorIjlEEPS9_SE_NS0_5tupleIJPjSE_EEENSF_IJSE_SE_EEES9_SG_JZNS1_25segmented_radix_sort_implINS0_14default_configELb1EPKaPaPKlPlN2at6native12_GLOBAL__N_18offset_tEEE10hipError_tPvRmT1_PNSt15iterator_traitsISY_E10value_typeET2_T3_PNSZ_IS14_E10value_typeET4_jRbjT5_S1A_jjP12ihipStream_tbEUljE_EEESV_SW_SX_S14_S18_S1A_T6_T7_T9_mT8_S1C_bDpT10_ENKUlT_T0_E_clISt17integral_constantIbLb0EES1O_IbLb1EEEEDaS1K_S1L_EUlS1K_E_NS1_11comp_targetILNS1_3genE10ELNS1_11target_archE1200ELNS1_3gpuE4ELNS1_3repE0EEENS1_30default_config_static_selectorELNS0_4arch9wavefront6targetE0EEEvSY_ ; -- Begin function _ZN7rocprim17ROCPRIM_400000_NS6detail17trampoline_kernelINS0_13select_configILj256ELj13ELNS0_17block_load_methodE3ELS4_3ELS4_3ELNS0_20block_scan_algorithmE0ELj4294967295EEENS1_25partition_config_selectorILNS1_17partition_subalgoE3EjNS0_10empty_typeEbEEZZNS1_14partition_implILS8_3ELb0ES6_jNS0_17counting_iteratorIjlEEPS9_SE_NS0_5tupleIJPjSE_EEENSF_IJSE_SE_EEES9_SG_JZNS1_25segmented_radix_sort_implINS0_14default_configELb1EPKaPaPKlPlN2at6native12_GLOBAL__N_18offset_tEEE10hipError_tPvRmT1_PNSt15iterator_traitsISY_E10value_typeET2_T3_PNSZ_IS14_E10value_typeET4_jRbjT5_S1A_jjP12ihipStream_tbEUljE_EEESV_SW_SX_S14_S18_S1A_T6_T7_T9_mT8_S1C_bDpT10_ENKUlT_T0_E_clISt17integral_constantIbLb0EES1O_IbLb1EEEEDaS1K_S1L_EUlS1K_E_NS1_11comp_targetILNS1_3genE10ELNS1_11target_archE1200ELNS1_3gpuE4ELNS1_3repE0EEENS1_30default_config_static_selectorELNS0_4arch9wavefront6targetE0EEEvSY_
	.p2align	8
	.type	_ZN7rocprim17ROCPRIM_400000_NS6detail17trampoline_kernelINS0_13select_configILj256ELj13ELNS0_17block_load_methodE3ELS4_3ELS4_3ELNS0_20block_scan_algorithmE0ELj4294967295EEENS1_25partition_config_selectorILNS1_17partition_subalgoE3EjNS0_10empty_typeEbEEZZNS1_14partition_implILS8_3ELb0ES6_jNS0_17counting_iteratorIjlEEPS9_SE_NS0_5tupleIJPjSE_EEENSF_IJSE_SE_EEES9_SG_JZNS1_25segmented_radix_sort_implINS0_14default_configELb1EPKaPaPKlPlN2at6native12_GLOBAL__N_18offset_tEEE10hipError_tPvRmT1_PNSt15iterator_traitsISY_E10value_typeET2_T3_PNSZ_IS14_E10value_typeET4_jRbjT5_S1A_jjP12ihipStream_tbEUljE_EEESV_SW_SX_S14_S18_S1A_T6_T7_T9_mT8_S1C_bDpT10_ENKUlT_T0_E_clISt17integral_constantIbLb0EES1O_IbLb1EEEEDaS1K_S1L_EUlS1K_E_NS1_11comp_targetILNS1_3genE10ELNS1_11target_archE1200ELNS1_3gpuE4ELNS1_3repE0EEENS1_30default_config_static_selectorELNS0_4arch9wavefront6targetE0EEEvSY_,@function
_ZN7rocprim17ROCPRIM_400000_NS6detail17trampoline_kernelINS0_13select_configILj256ELj13ELNS0_17block_load_methodE3ELS4_3ELS4_3ELNS0_20block_scan_algorithmE0ELj4294967295EEENS1_25partition_config_selectorILNS1_17partition_subalgoE3EjNS0_10empty_typeEbEEZZNS1_14partition_implILS8_3ELb0ES6_jNS0_17counting_iteratorIjlEEPS9_SE_NS0_5tupleIJPjSE_EEENSF_IJSE_SE_EEES9_SG_JZNS1_25segmented_radix_sort_implINS0_14default_configELb1EPKaPaPKlPlN2at6native12_GLOBAL__N_18offset_tEEE10hipError_tPvRmT1_PNSt15iterator_traitsISY_E10value_typeET2_T3_PNSZ_IS14_E10value_typeET4_jRbjT5_S1A_jjP12ihipStream_tbEUljE_EEESV_SW_SX_S14_S18_S1A_T6_T7_T9_mT8_S1C_bDpT10_ENKUlT_T0_E_clISt17integral_constantIbLb0EES1O_IbLb1EEEEDaS1K_S1L_EUlS1K_E_NS1_11comp_targetILNS1_3genE10ELNS1_11target_archE1200ELNS1_3gpuE4ELNS1_3repE0EEENS1_30default_config_static_selectorELNS0_4arch9wavefront6targetE0EEEvSY_: ; @_ZN7rocprim17ROCPRIM_400000_NS6detail17trampoline_kernelINS0_13select_configILj256ELj13ELNS0_17block_load_methodE3ELS4_3ELS4_3ELNS0_20block_scan_algorithmE0ELj4294967295EEENS1_25partition_config_selectorILNS1_17partition_subalgoE3EjNS0_10empty_typeEbEEZZNS1_14partition_implILS8_3ELb0ES6_jNS0_17counting_iteratorIjlEEPS9_SE_NS0_5tupleIJPjSE_EEENSF_IJSE_SE_EEES9_SG_JZNS1_25segmented_radix_sort_implINS0_14default_configELb1EPKaPaPKlPlN2at6native12_GLOBAL__N_18offset_tEEE10hipError_tPvRmT1_PNSt15iterator_traitsISY_E10value_typeET2_T3_PNSZ_IS14_E10value_typeET4_jRbjT5_S1A_jjP12ihipStream_tbEUljE_EEESV_SW_SX_S14_S18_S1A_T6_T7_T9_mT8_S1C_bDpT10_ENKUlT_T0_E_clISt17integral_constantIbLb0EES1O_IbLb1EEEEDaS1K_S1L_EUlS1K_E_NS1_11comp_targetILNS1_3genE10ELNS1_11target_archE1200ELNS1_3gpuE4ELNS1_3repE0EEENS1_30default_config_static_selectorELNS0_4arch9wavefront6targetE0EEEvSY_
; %bb.0:
	s_clause 0x6
	s_load_b64 s[16:17], s[0:1], 0x10
	s_load_b64 s[10:11], s[0:1], 0x28
	;; [unrolled: 1-line block ×3, first 2 shown]
	s_load_b128 s[12:15], s[0:1], 0x48
	s_load_b32 s3, s[0:1], 0x90
	s_load_b64 s[20:21], s[0:1], 0x68
	s_load_b128 s[4:7], s[0:1], 0x80
	v_cmp_eq_u32_e64 s2, 0, v0
	s_and_saveexec_b32 s8, s2
	s_cbranch_execz .LBB287_4
; %bb.1:
	s_mov_b32 s22, exec_lo
	s_mov_b32 s9, exec_lo
	v_mbcnt_lo_u32_b32 v1, s22, 0
                                        ; implicit-def: $vgpr2
	s_delay_alu instid0(VALU_DEP_1)
	v_cmpx_eq_u32_e32 0, v1
	s_cbranch_execz .LBB287_3
; %bb.2:
	s_load_b64 s[24:25], s[0:1], 0x78
	s_bcnt1_i32_b32 s22, s22
	s_wait_alu 0xfffe
	v_dual_mov_b32 v2, 0 :: v_dual_mov_b32 v3, s22
	s_wait_kmcnt 0x0
	global_atomic_add_u32 v2, v2, v3, s[24:25] th:TH_ATOMIC_RETURN scope:SCOPE_DEV
.LBB287_3:
	s_or_b32 exec_lo, exec_lo, s9
	s_wait_loadcnt 0x0
	v_readfirstlane_b32 s9, v2
	s_delay_alu instid0(VALU_DEP_1)
	v_dual_mov_b32 v2, 0 :: v_dual_add_nc_u32 v1, s9, v1
	ds_store_b32 v2, v1
.LBB287_4:
	s_or_b32 exec_lo, exec_lo, s8
	v_mov_b32_e32 v1, 0
	s_clause 0x1
	s_load_b32 s8, s[0:1], 0x8
	s_load_b32 s0, s[0:1], 0x70
	s_wait_dscnt 0x0
	s_barrier_signal -1
	s_barrier_wait -1
	global_inv scope:SCOPE_SE
	ds_load_b32 v2, v1
	s_wait_loadcnt_dscnt 0x0
	s_barrier_signal -1
	s_barrier_wait -1
	global_inv scope:SCOPE_SE
	s_wait_kmcnt 0x0
	global_load_b64 v[17:18], v1, s[14:15]
	s_mov_b32 s1, 0
	v_lshlrev_b32_e32 v45, 2, v0
	s_mov_b32 s23, -1
	s_add_co_i32 s8, s8, s16
	s_add_co_i32 s9, s0, -1
	s_mulk_i32 s0, 0xd00
	s_delay_alu instid0(SALU_CYCLE_1)
	s_add_co_i32 s14, s0, s16
	s_add_nc_u64 s[0:1], s[16:17], s[0:1]
	v_readfirstlane_b32 s15, v2
	v_cmp_gt_u64_e64 s0, s[18:19], s[0:1]
	s_sub_co_i32 s22, s18, s14
	s_wait_alu 0xfffe
	v_cmp_ne_u32_e32 vcc_lo, s9, v2
	s_addk_co_i32 s22, 0xd00
	s_cmp_eq_u32 s15, s9
	s_mul_i32 s14, s15, 0xd00
	s_cselect_b32 s9, -1, 0
	s_or_b32 s1, s0, vcc_lo
	s_wait_alu 0xfffe
	s_and_b32 vcc_lo, exec_lo, s1
	s_cbranch_vccz .LBB287_6
; %bb.5:
	v_add3_u32 v1, s14, s8, v0
	s_mov_b32 s23, 0
	s_delay_alu instid0(VALU_DEP_1)
	v_add_nc_u32_e32 v2, 0x100, v1
	v_add_nc_u32_e32 v3, 0x200, v1
	;; [unrolled: 1-line block ×12, first 2 shown]
	ds_store_2addr_stride64_b32 v45, v1, v2 offset1:4
	ds_store_2addr_stride64_b32 v45, v3, v4 offset0:8 offset1:12
	ds_store_2addr_stride64_b32 v45, v5, v6 offset0:16 offset1:20
	;; [unrolled: 1-line block ×5, first 2 shown]
	ds_store_b32 v45, v13 offset:12288
	s_wait_loadcnt_dscnt 0x0
	s_barrier_signal -1
	s_barrier_wait -1
.LBB287_6:
	v_cmp_gt_u32_e64 s0, s22, v0
	v_or_b32_e32 v44, 0x100, v0
	v_or_b32_e32 v43, 0x200, v0
	v_or_b32_e32 v42, 0x300, v0
	v_or_b32_e32 v41, 0x400, v0
	v_or_b32_e32 v40, 0x500, v0
	v_or_b32_e32 v39, 0x600, v0
	v_or_b32_e32 v38, 0x700, v0
	v_or_b32_e32 v37, 0x800, v0
	v_or_b32_e32 v36, 0x900, v0
	v_or_b32_e32 v35, 0xa00, v0
	v_or_b32_e32 v34, 0xb00, v0
	v_or_b32_e32 v33, 0xc00, v0
	s_wait_alu 0xfffe
	s_and_not1_b32 vcc_lo, exec_lo, s23
	s_cbranch_vccnz .LBB287_8
; %bb.7:
	s_add_co_i32 s8, s14, s8
	v_cmp_gt_u32_e32 vcc_lo, s22, v44
	s_wait_alu 0xfffe
	v_add_nc_u32_e32 v13, s8, v33
	v_add_nc_u32_e32 v12, s8, v34
	;; [unrolled: 1-line block ×12, first 2 shown]
	s_delay_alu instid0(VALU_DEP_1) | instskip(SKIP_1) | instid1(VALU_DEP_2)
	v_dual_cndmask_b32 v2, 0, v2 :: v_dual_add_nc_u32 v1, s8, v0
	v_cmp_gt_u32_e32 vcc_lo, s22, v43
	v_cndmask_b32_e64 v1, 0, v1, s0
	s_wait_alu 0xfffd
	v_cndmask_b32_e32 v3, 0, v3, vcc_lo
	v_cmp_gt_u32_e32 vcc_lo, s22, v42
	s_wait_alu 0xfffd
	v_cndmask_b32_e32 v4, 0, v4, vcc_lo
	v_cmp_gt_u32_e32 vcc_lo, s22, v41
	;; [unrolled: 3-line block ×10, first 2 shown]
	s_wait_alu 0xfffd
	v_cndmask_b32_e32 v13, 0, v13, vcc_lo
	ds_store_2addr_stride64_b32 v45, v1, v2 offset1:4
	ds_store_2addr_stride64_b32 v45, v3, v4 offset0:8 offset1:12
	ds_store_2addr_stride64_b32 v45, v5, v6 offset0:16 offset1:20
	;; [unrolled: 1-line block ×5, first 2 shown]
	ds_store_b32 v45, v13 offset:12288
	s_wait_loadcnt_dscnt 0x0
	s_barrier_signal -1
	s_barrier_wait -1
.LBB287_8:
	v_mul_u32_u24_e32 v48, 13, v0
	s_wait_loadcnt 0x0
	global_inv scope:SCOPE_SE
	v_cndmask_b32_e64 v46, 0, 1, s1
	s_and_not1_b32 vcc_lo, exec_lo, s1
	v_lshlrev_b32_e32 v1, 2, v48
	ds_load_2addr_b32 v[29:30], v1 offset0:2 offset1:3
	ds_load_2addr_b32 v[25:26], v1 offset0:6 offset1:7
	;; [unrolled: 1-line block ×3, first 2 shown]
	ds_load_2addr_b32 v[31:32], v1 offset1:1
	ds_load_2addr_b32 v[21:22], v1 offset0:10 offset1:11
	ds_load_b32 v47, v1 offset:48
	ds_load_2addr_b32 v[23:24], v1 offset0:8 offset1:9
	s_wait_loadcnt_dscnt 0x0
	s_barrier_signal -1
	s_barrier_wait -1
	global_inv scope:SCOPE_SE
	s_wait_alu 0xfffe
	s_cbranch_vccnz .LBB287_10
; %bb.9:
	v_add_nc_u32_e32 v1, s5, v30
	v_add_nc_u32_e32 v2, s7, v30
	;; [unrolled: 1-line block ×5, first 2 shown]
	v_mul_lo_u32 v1, v1, s4
	v_mul_lo_u32 v2, v2, s6
	v_add_nc_u32_e32 v8, s7, v29
	v_add_nc_u32_e32 v3, s5, v32
	;; [unrolled: 1-line block ×3, first 2 shown]
	v_mul_lo_u32 v5, v5, s4
	v_mul_lo_u32 v4, v4, s4
	v_add_nc_u32_e32 v9, s5, v27
	v_mul_lo_u32 v3, v3, s4
	v_sub_nc_u32_e32 v1, v1, v2
	v_mul_lo_u32 v2, v7, s6
	v_mul_lo_u32 v7, v8, s6
	;; [unrolled: 1-line block ×3, first 2 shown]
	v_add_nc_u32_e32 v8, s5, v28
	v_add_nc_u32_e32 v10, s7, v27
	v_mul_lo_u32 v9, v9, s4
	v_cmp_lt_u32_e32 vcc_lo, s3, v1
	v_add_nc_u32_e32 v14, s7, v22
	v_sub_nc_u32_e32 v2, v4, v2
	v_sub_nc_u32_e32 v4, v5, v7
	v_add_nc_u32_e32 v5, s7, v28
	v_sub_nc_u32_e32 v3, v3, v6
	v_add_nc_u32_e32 v6, s5, v26
	v_add_nc_u32_e32 v7, s7, v26
	v_mul_lo_u32 v8, v8, s4
	v_mul_lo_u32 v5, v5, s6
	;; [unrolled: 1-line block ×5, first 2 shown]
	s_wait_alu 0xfffd
	v_cndmask_b32_e64 v1, 0, 1, vcc_lo
	v_cmp_lt_u32_e32 vcc_lo, s3, v3
	v_mul_lo_u32 v14, v14, s6
	v_add_nc_u32_e32 v15, s7, v24
	v_sub_nc_u32_e32 v5, v8, v5
	v_add_nc_u32_e32 v8, s7, v25
	s_wait_alu 0xfffd
	v_cndmask_b32_e64 v3, 0, 1, vcc_lo
	v_sub_nc_u32_e32 v6, v6, v7
	v_mul_lo_u32 v15, v15, s6
	v_cmp_lt_u32_e32 vcc_lo, s3, v5
	v_mul_lo_u32 v7, v8, s6
	v_sub_nc_u32_e32 v8, v9, v10
	v_add_nc_u32_e32 v9, s5, v22
	v_add_nc_u32_e32 v10, s5, v24
	s_wait_alu 0xfffd
	v_cndmask_b32_e64 v5, 0, 1, vcc_lo
	v_cmp_lt_u32_e32 vcc_lo, s3, v6
	v_add_nc_u32_e32 v11, s5, v25
	v_mul_lo_u32 v9, v9, s4
	v_mul_lo_u32 v10, v10, s4
	v_add_nc_u32_e32 v12, s5, v23
	s_wait_alu 0xfffd
	v_cndmask_b32_e64 v6, 0, 1, vcc_lo
	v_mul_lo_u32 v11, v11, s4
	v_add_nc_u32_e32 v16, s7, v23
	v_lshlrev_b16 v3, 8, v3
	v_add_nc_u32_e32 v13, s5, v21
	v_sub_nc_u32_e32 v9, v9, v14
	v_sub_nc_u32_e32 v10, v10, v15
	v_add_nc_u32_e32 v19, s7, v21
	v_mul_lo_u32 v12, v12, s4
	v_mul_lo_u32 v16, v16, s6
	v_cmp_lt_u32_e32 vcc_lo, s3, v9
	v_sub_nc_u32_e32 v7, v11, v7
	v_lshrrev_b32_e32 v3, 8, v3
	v_mul_lo_u32 v11, v13, s4
	v_mul_lo_u32 v13, v19, s6
	s_wait_alu 0xfffd
	v_cndmask_b32_e64 v9, 0, 1, vcc_lo
	v_cmp_lt_u32_e32 vcc_lo, s3, v2
	v_sub_nc_u32_e32 v12, v12, v16
	v_lshlrev_b16 v3, 8, v3
	v_lshlrev_b16 v1, 8, v1
	;; [unrolled: 1-line block ×3, first 2 shown]
	s_wait_alu 0xfffd
	v_cndmask_b32_e64 v2, 0, 1, vcc_lo
	v_cmp_lt_u32_e32 vcc_lo, s3, v10
	v_sub_nc_u32_e32 v11, v11, v13
	v_add_nc_u32_e32 v14, s5, v47
	v_add_nc_u32_e32 v15, s7, v47
	v_or_b32_e32 v2, v2, v3
	s_wait_alu 0xfffd
	v_cndmask_b32_e64 v10, 0, 1, vcc_lo
	v_cmp_lt_u32_e32 vcc_lo, s3, v4
	v_lshlrev_b16 v3, 8, v9
	v_lshrrev_b32_e32 v5, 8, v5
	v_lshrrev_b32_e32 v1, 8, v1
	v_lshlrev_b16 v9, 8, v10
	s_wait_alu 0xfffd
	v_cndmask_b32_e64 v4, 0, 1, vcc_lo
	v_cmp_lt_u32_e32 vcc_lo, s3, v8
	v_lshrrev_b32_e32 v3, 8, v3
	v_mul_lo_u32 v14, v14, s4
	v_lshrrev_b32_e32 v9, 8, v9
	v_mul_lo_u32 v15, v15, s6
	s_wait_alu 0xfffd
	v_cndmask_b32_e64 v8, 0, 1, vcc_lo
	v_cmp_lt_u32_e32 vcc_lo, s3, v7
	v_lshlrev_b16 v6, 8, v6
	v_lshlrev_b16 v1, 8, v1
	;; [unrolled: 1-line block ×4, first 2 shown]
	s_wait_alu 0xfffd
	v_cndmask_b32_e64 v7, 0, 1, vcc_lo
	v_cmp_lt_u32_e32 vcc_lo, s3, v12
	v_lshlrev_b16 v3, 8, v3
	v_sub_nc_u32_e32 v10, v14, v15
	v_or_b32_e32 v1, v4, v1
	v_or_b32_e32 v4, v8, v5
	s_wait_alu 0xfffd
	v_cndmask_b32_e64 v12, 0, 1, vcc_lo
	v_cmp_lt_u32_e32 vcc_lo, s3, v11
	v_or_b32_e32 v5, v7, v6
	v_and_b32_e32 v2, 0xffff, v2
	v_lshlrev_b32_e32 v1, 16, v1
	v_or_b32_e32 v6, v12, v9
	s_wait_alu 0xfffd
	v_cndmask_b32_e64 v11, 0, 1, vcc_lo
	v_and_b32_e32 v4, 0xffff, v4
	v_lshlrev_b32_e32 v5, 16, v5
	v_cmp_lt_u32_e32 vcc_lo, s3, v10
	v_and_b32_e32 v6, 0xffff, v6
	v_or_b32_e32 v3, v11, v3
	v_or_b32_e32 v54, v2, v1
	;; [unrolled: 1-line block ×3, first 2 shown]
	s_wait_alu 0xfffd
	v_cndmask_b32_e64 v49, 0, 1, vcc_lo
	v_lshlrev_b32_e32 v3, 16, v3
	s_delay_alu instid0(VALU_DEP_1)
	v_or_b32_e32 v50, v6, v3
	s_cbranch_execz .LBB287_11
	s_branch .LBB287_38
.LBB287_10:
                                        ; implicit-def: $vgpr49
                                        ; implicit-def: $vgpr50
                                        ; implicit-def: $vgpr52
                                        ; implicit-def: $vgpr54
.LBB287_11:
	v_dual_mov_b32 v2, 0 :: v_dual_mov_b32 v1, 0
	s_mov_b32 s0, exec_lo
	v_cmpx_gt_u32_e64 s22, v48
	s_cbranch_execz .LBB287_13
; %bb.12:
	v_add_nc_u32_e32 v1, s5, v31
	v_add_nc_u32_e32 v3, s7, v31
	s_delay_alu instid0(VALU_DEP_2) | instskip(NEXT) | instid1(VALU_DEP_2)
	v_mul_lo_u32 v1, v1, s4
	v_mul_lo_u32 v3, v3, s6
	s_delay_alu instid0(VALU_DEP_1) | instskip(NEXT) | instid1(VALU_DEP_1)
	v_sub_nc_u32_e32 v1, v1, v3
	v_cmp_lt_u32_e32 vcc_lo, s3, v1
	s_wait_alu 0xfffd
	v_cndmask_b32_e64 v1, 0, 1, vcc_lo
.LBB287_13:
	s_wait_alu 0xfffe
	s_or_b32 exec_lo, exec_lo, s0
	v_add_nc_u32_e32 v3, 1, v48
	s_mov_b32 s0, exec_lo
	s_delay_alu instid0(VALU_DEP_1)
	v_cmpx_gt_u32_e64 s22, v3
	s_cbranch_execz .LBB287_15
; %bb.14:
	v_add_nc_u32_e32 v2, s5, v32
	v_add_nc_u32_e32 v3, s7, v32
	s_delay_alu instid0(VALU_DEP_2) | instskip(NEXT) | instid1(VALU_DEP_2)
	v_mul_lo_u32 v2, v2, s4
	v_mul_lo_u32 v3, v3, s6
	s_delay_alu instid0(VALU_DEP_1) | instskip(NEXT) | instid1(VALU_DEP_1)
	v_sub_nc_u32_e32 v2, v2, v3
	v_cmp_lt_u32_e32 vcc_lo, s3, v2
	s_wait_alu 0xfffd
	v_cndmask_b32_e64 v2, 0, 1, vcc_lo
.LBB287_15:
	s_wait_alu 0xfffe
	s_or_b32 exec_lo, exec_lo, s0
	v_dual_mov_b32 v4, 0 :: v_dual_add_nc_u32 v3, 2, v48
	s_delay_alu instid0(VALU_DEP_1)
	v_cmp_gt_u32_e32 vcc_lo, s22, v3
	v_mov_b32_e32 v3, 0
	s_and_saveexec_b32 s0, vcc_lo
	s_cbranch_execz .LBB287_17
; %bb.16:
	v_add_nc_u32_e32 v3, s5, v29
	v_add_nc_u32_e32 v5, s7, v29
	s_delay_alu instid0(VALU_DEP_2) | instskip(NEXT) | instid1(VALU_DEP_2)
	v_mul_lo_u32 v3, v3, s4
	v_mul_lo_u32 v5, v5, s6
	s_delay_alu instid0(VALU_DEP_1) | instskip(NEXT) | instid1(VALU_DEP_1)
	v_sub_nc_u32_e32 v3, v3, v5
	v_cmp_lt_u32_e32 vcc_lo, s3, v3
	s_wait_alu 0xfffd
	v_cndmask_b32_e64 v3, 0, 1, vcc_lo
.LBB287_17:
	s_wait_alu 0xfffe
	s_or_b32 exec_lo, exec_lo, s0
	v_add_nc_u32_e32 v5, 3, v48
	s_mov_b32 s0, exec_lo
	s_delay_alu instid0(VALU_DEP_1)
	v_cmpx_gt_u32_e64 s22, v5
	s_cbranch_execz .LBB287_19
; %bb.18:
	v_add_nc_u32_e32 v4, s5, v30
	v_add_nc_u32_e32 v5, s7, v30
	s_delay_alu instid0(VALU_DEP_2) | instskip(NEXT) | instid1(VALU_DEP_2)
	v_mul_lo_u32 v4, v4, s4
	v_mul_lo_u32 v5, v5, s6
	s_delay_alu instid0(VALU_DEP_1) | instskip(NEXT) | instid1(VALU_DEP_1)
	v_sub_nc_u32_e32 v4, v4, v5
	v_cmp_lt_u32_e32 vcc_lo, s3, v4
	s_wait_alu 0xfffd
	v_cndmask_b32_e64 v4, 0, 1, vcc_lo
.LBB287_19:
	s_wait_alu 0xfffe
	s_or_b32 exec_lo, exec_lo, s0
	v_dual_mov_b32 v6, 0 :: v_dual_add_nc_u32 v5, 4, v48
	s_delay_alu instid0(VALU_DEP_1)
	v_cmp_gt_u32_e32 vcc_lo, s22, v5
	v_mov_b32_e32 v5, 0
	s_and_saveexec_b32 s0, vcc_lo
	;; [unrolled: 39-line block ×5, first 2 shown]
	s_cbranch_execz .LBB287_33
; %bb.32:
	v_add_nc_u32_e32 v11, s5, v21
	v_add_nc_u32_e32 v13, s7, v21
	s_delay_alu instid0(VALU_DEP_2) | instskip(NEXT) | instid1(VALU_DEP_2)
	v_mul_lo_u32 v11, v11, s4
	v_mul_lo_u32 v13, v13, s6
	s_delay_alu instid0(VALU_DEP_1) | instskip(NEXT) | instid1(VALU_DEP_1)
	v_sub_nc_u32_e32 v11, v11, v13
	v_cmp_lt_u32_e32 vcc_lo, s3, v11
	s_wait_alu 0xfffd
	v_cndmask_b32_e64 v11, 0, 1, vcc_lo
.LBB287_33:
	s_wait_alu 0xfffe
	s_or_b32 exec_lo, exec_lo, s0
	v_add_nc_u32_e32 v13, 11, v48
	s_mov_b32 s0, exec_lo
	s_delay_alu instid0(VALU_DEP_1)
	v_cmpx_gt_u32_e64 s22, v13
	s_cbranch_execz .LBB287_35
; %bb.34:
	v_add_nc_u32_e32 v12, s5, v22
	v_add_nc_u32_e32 v13, s7, v22
	s_delay_alu instid0(VALU_DEP_2) | instskip(NEXT) | instid1(VALU_DEP_2)
	v_mul_lo_u32 v12, v12, s4
	v_mul_lo_u32 v13, v13, s6
	s_delay_alu instid0(VALU_DEP_1) | instskip(NEXT) | instid1(VALU_DEP_1)
	v_sub_nc_u32_e32 v12, v12, v13
	v_cmp_lt_u32_e32 vcc_lo, s3, v12
	s_wait_alu 0xfffd
	v_cndmask_b32_e64 v12, 0, 1, vcc_lo
.LBB287_35:
	s_wait_alu 0xfffe
	s_or_b32 exec_lo, exec_lo, s0
	v_add_nc_u32_e32 v13, 12, v48
	v_mov_b32_e32 v49, 0
	s_mov_b32 s0, exec_lo
	s_delay_alu instid0(VALU_DEP_2)
	v_cmpx_gt_u32_e64 s22, v13
	s_cbranch_execz .LBB287_37
; %bb.36:
	v_add_nc_u32_e32 v13, s5, v47
	v_add_nc_u32_e32 v14, s7, v47
	s_delay_alu instid0(VALU_DEP_2) | instskip(NEXT) | instid1(VALU_DEP_2)
	v_mul_lo_u32 v13, v13, s4
	v_mul_lo_u32 v14, v14, s6
	s_delay_alu instid0(VALU_DEP_1) | instskip(NEXT) | instid1(VALU_DEP_1)
	v_sub_nc_u32_e32 v13, v13, v14
	v_cmp_lt_u32_e32 vcc_lo, s3, v13
	s_wait_alu 0xfffd
	v_cndmask_b32_e64 v49, 0, 1, vcc_lo
.LBB287_37:
	s_wait_alu 0xfffe
	s_or_b32 exec_lo, exec_lo, s0
	v_lshlrev_b16 v2, 8, v2
	v_lshlrev_b16 v4, 8, v4
	;; [unrolled: 1-line block ×5, first 2 shown]
	v_or_b32_e32 v1, v1, v2
	v_lshlrev_b16 v2, 8, v12
	v_or_b32_e32 v3, v3, v4
	v_or_b32_e32 v4, v5, v6
	;; [unrolled: 1-line block ×5, first 2 shown]
	v_and_b32_e32 v1, 0xffff, v1
	v_lshlrev_b32_e32 v3, 16, v3
	v_and_b32_e32 v4, 0xffff, v4
	v_lshlrev_b32_e32 v5, 16, v5
	;; [unrolled: 2-line block ×3, first 2 shown]
	v_or_b32_e32 v54, v1, v3
	s_delay_alu instid0(VALU_DEP_4) | instskip(NEXT) | instid1(VALU_DEP_3)
	v_or_b32_e32 v52, v4, v5
	v_or_b32_e32 v50, v6, v2
.LBB287_38:
	s_delay_alu instid0(VALU_DEP_3)
	v_and_b32_e32 v56, 0xff, v54
	v_bfe_u32 v57, v54, 8, 8
	v_bfe_u32 v58, v54, 16, 8
	v_lshrrev_b32_e32 v55, 24, v54
	v_and_b32_e32 v59, 0xff, v52
	v_bfe_u32 v60, v52, 8, 8
	v_bfe_u32 v61, v52, 16, 8
	v_add3_u32 v1, v57, v56, v58
	v_lshrrev_b32_e32 v53, 24, v52
	v_and_b32_e32 v62, 0xff, v50
	v_bfe_u32 v63, v50, 8, 8
	v_mbcnt_lo_u32_b32 v65, -1, 0
	v_add3_u32 v1, v1, v55, v59
	v_bfe_u32 v64, v50, 16, 8
	v_lshrrev_b32_e32 v51, 24, v50
	v_and_b32_e32 v2, 0xff, v49
	v_and_b32_e32 v3, 15, v65
	v_add3_u32 v1, v1, v60, v61
	v_or_b32_e32 v4, 31, v0
	v_and_b32_e32 v5, 16, v65
	v_lshrrev_b32_e32 v66, 5, v0
	v_cmp_eq_u32_e64 s6, 0, v3
	v_add3_u32 v1, v1, v53, v62
	v_cmp_lt_u32_e64 s5, 1, v3
	v_cmp_lt_u32_e64 s4, 3, v3
	;; [unrolled: 1-line block ×3, first 2 shown]
	v_cmp_eq_u32_e64 s1, 0, v5
	v_add3_u32 v1, v1, v63, v64
	v_cmp_eq_u32_e64 s0, v0, v4
	s_cmp_lg_u32 s15, 0
	s_mov_b32 s7, -1
	v_add3_u32 v67, v1, v51, v2
	s_cbranch_scc0 .LBB287_59
; %bb.39:
	s_delay_alu instid0(VALU_DEP_1) | instskip(NEXT) | instid1(VALU_DEP_1)
	v_mov_b32_dpp v1, v67 row_shr:1 row_mask:0xf bank_mask:0xf
	v_cndmask_b32_e64 v1, v1, 0, s6
	s_delay_alu instid0(VALU_DEP_1) | instskip(NEXT) | instid1(VALU_DEP_1)
	v_add_nc_u32_e32 v1, v1, v67
	v_mov_b32_dpp v2, v1 row_shr:2 row_mask:0xf bank_mask:0xf
	s_delay_alu instid0(VALU_DEP_1) | instskip(NEXT) | instid1(VALU_DEP_1)
	v_cndmask_b32_e64 v2, 0, v2, s5
	v_add_nc_u32_e32 v1, v1, v2
	s_delay_alu instid0(VALU_DEP_1) | instskip(NEXT) | instid1(VALU_DEP_1)
	v_mov_b32_dpp v2, v1 row_shr:4 row_mask:0xf bank_mask:0xf
	v_cndmask_b32_e64 v2, 0, v2, s4
	s_delay_alu instid0(VALU_DEP_1) | instskip(NEXT) | instid1(VALU_DEP_1)
	v_add_nc_u32_e32 v1, v1, v2
	v_mov_b32_dpp v2, v1 row_shr:8 row_mask:0xf bank_mask:0xf
	s_delay_alu instid0(VALU_DEP_1) | instskip(NEXT) | instid1(VALU_DEP_1)
	v_cndmask_b32_e64 v2, 0, v2, s3
	v_add_nc_u32_e32 v1, v1, v2
	ds_swizzle_b32 v2, v1 offset:swizzle(BROADCAST,32,15)
	s_wait_dscnt 0x0
	v_cndmask_b32_e64 v2, v2, 0, s1
	s_delay_alu instid0(VALU_DEP_1)
	v_add_nc_u32_e32 v1, v1, v2
	s_and_saveexec_b32 s7, s0
; %bb.40:
	v_lshlrev_b32_e32 v2, 2, v66
	ds_store_b32 v2, v1
; %bb.41:
	s_wait_alu 0xfffe
	s_or_b32 exec_lo, exec_lo, s7
	s_delay_alu instid0(SALU_CYCLE_1)
	s_mov_b32 s7, exec_lo
	s_wait_loadcnt_dscnt 0x0
	s_barrier_signal -1
	s_barrier_wait -1
	global_inv scope:SCOPE_SE
	v_cmpx_gt_u32_e32 8, v0
	s_cbranch_execz .LBB287_43
; %bb.42:
	ds_load_b32 v2, v45
	s_wait_dscnt 0x0
	v_mov_b32_dpp v4, v2 row_shr:1 row_mask:0xf bank_mask:0xf
	v_and_b32_e32 v3, 7, v65
	s_delay_alu instid0(VALU_DEP_1) | instskip(SKIP_1) | instid1(VALU_DEP_3)
	v_cmp_ne_u32_e32 vcc_lo, 0, v3
	s_wait_alu 0xfffd
	v_cndmask_b32_e32 v4, 0, v4, vcc_lo
	v_cmp_lt_u32_e32 vcc_lo, 1, v3
	s_delay_alu instid0(VALU_DEP_2) | instskip(NEXT) | instid1(VALU_DEP_1)
	v_add_nc_u32_e32 v2, v4, v2
	v_mov_b32_dpp v4, v2 row_shr:2 row_mask:0xf bank_mask:0xf
	s_wait_alu 0xfffd
	s_delay_alu instid0(VALU_DEP_1) | instskip(SKIP_1) | instid1(VALU_DEP_2)
	v_cndmask_b32_e32 v4, 0, v4, vcc_lo
	v_cmp_lt_u32_e32 vcc_lo, 3, v3
	v_add_nc_u32_e32 v2, v2, v4
	s_delay_alu instid0(VALU_DEP_1) | instskip(SKIP_1) | instid1(VALU_DEP_1)
	v_mov_b32_dpp v4, v2 row_shr:4 row_mask:0xf bank_mask:0xf
	s_wait_alu 0xfffd
	v_cndmask_b32_e32 v3, 0, v4, vcc_lo
	s_delay_alu instid0(VALU_DEP_1)
	v_add_nc_u32_e32 v2, v2, v3
	ds_store_b32 v45, v2
.LBB287_43:
	s_wait_alu 0xfffe
	s_or_b32 exec_lo, exec_lo, s7
	s_delay_alu instid0(SALU_CYCLE_1)
	s_mov_b32 s8, exec_lo
	v_cmp_gt_u32_e32 vcc_lo, 32, v0
	s_wait_loadcnt_dscnt 0x0
	s_barrier_signal -1
	s_barrier_wait -1
	global_inv scope:SCOPE_SE
                                        ; implicit-def: $vgpr9
	v_cmpx_lt_u32_e32 31, v0
	s_cbranch_execz .LBB287_45
; %bb.44:
	v_lshl_add_u32 v2, v66, 2, -4
	ds_load_b32 v9, v2
	s_wait_dscnt 0x0
	v_add_nc_u32_e32 v1, v9, v1
.LBB287_45:
	s_wait_alu 0xfffe
	s_or_b32 exec_lo, exec_lo, s8
	v_sub_co_u32 v2, s7, v65, 1
	s_delay_alu instid0(VALU_DEP_1) | instskip(SKIP_1) | instid1(VALU_DEP_1)
	v_cmp_gt_i32_e64 s8, 0, v2
	s_wait_alu 0xf1ff
	v_cndmask_b32_e64 v2, v2, v65, s8
	s_delay_alu instid0(VALU_DEP_1)
	v_lshlrev_b32_e32 v2, 2, v2
	ds_bpermute_b32 v10, v2, v1
	s_and_saveexec_b32 s8, vcc_lo
	s_cbranch_execz .LBB287_64
; %bb.46:
	v_mov_b32_e32 v5, 0
	ds_load_b32 v1, v5 offset:28
	s_and_saveexec_b32 s23, s7
	s_cbranch_execz .LBB287_48
; %bb.47:
	s_add_co_i32 s24, s15, 32
	s_mov_b32 s25, 0
	v_mov_b32_e32 v2, 1
	s_lshl_b64 s[24:25], s[24:25], 3
	s_delay_alu instid0(SALU_CYCLE_1)
	s_add_nc_u64 s[24:25], s[20:21], s[24:25]
	s_wait_dscnt 0x0
	global_store_b64 v5, v[1:2], s[24:25] scope:SCOPE_DEV
.LBB287_48:
	s_wait_alu 0xfffe
	s_or_b32 exec_lo, exec_lo, s23
	v_xad_u32 v3, v65, -1, s15
	s_mov_b32 s24, 0
	s_mov_b32 s23, exec_lo
	s_delay_alu instid0(VALU_DEP_1) | instskip(NEXT) | instid1(VALU_DEP_1)
	v_add_nc_u32_e32 v4, 32, v3
	v_lshlrev_b64_e32 v[4:5], 3, v[4:5]
	s_delay_alu instid0(VALU_DEP_1) | instskip(SKIP_1) | instid1(VALU_DEP_2)
	v_add_co_u32 v7, vcc_lo, s20, v4
	s_wait_alu 0xfffd
	v_add_co_ci_u32_e64 v8, null, s21, v5, vcc_lo
	global_load_b64 v[5:6], v[7:8], off scope:SCOPE_DEV
	s_wait_loadcnt 0x0
	v_and_b32_e32 v2, 0xff, v6
	s_delay_alu instid0(VALU_DEP_1)
	v_cmpx_eq_u16_e32 0, v2
	s_cbranch_execz .LBB287_51
.LBB287_49:                             ; =>This Inner Loop Header: Depth=1
	global_load_b64 v[5:6], v[7:8], off scope:SCOPE_DEV
	s_wait_loadcnt 0x0
	v_and_b32_e32 v2, 0xff, v6
	s_delay_alu instid0(VALU_DEP_1) | instskip(SKIP_1) | instid1(SALU_CYCLE_1)
	v_cmp_ne_u16_e32 vcc_lo, 0, v2
	s_or_b32 s24, vcc_lo, s24
	s_and_not1_b32 exec_lo, exec_lo, s24
	s_cbranch_execnz .LBB287_49
; %bb.50:
	s_or_b32 exec_lo, exec_lo, s24
.LBB287_51:
	s_wait_alu 0xfffe
	s_or_b32 exec_lo, exec_lo, s23
	v_cmp_ne_u32_e32 vcc_lo, 31, v65
	v_lshlrev_b32_e64 v12, v65, -1
	v_add_nc_u32_e32 v14, 2, v65
	v_add_nc_u32_e32 v16, 4, v65
	;; [unrolled: 1-line block ×3, first 2 shown]
	s_wait_alu 0xfffd
	v_add_co_ci_u32_e64 v2, null, 0, v65, vcc_lo
	v_lshl_or_b32 v68, v65, 2, 64
	v_add_nc_u32_e32 v69, 16, v65
	s_delay_alu instid0(VALU_DEP_3)
	v_lshlrev_b32_e32 v11, 2, v2
	v_and_b32_e32 v2, 0xff, v6
	ds_bpermute_b32 v4, v11, v5
	v_cmp_eq_u16_e32 vcc_lo, 2, v2
	s_wait_alu 0xfffd
	v_and_or_b32 v2, vcc_lo, v12, 0x80000000
	v_cmp_gt_u32_e32 vcc_lo, 30, v65
	s_delay_alu instid0(VALU_DEP_2) | instskip(SKIP_2) | instid1(VALU_DEP_2)
	v_ctz_i32_b32_e32 v2, v2
	s_wait_alu 0xfffd
	v_cndmask_b32_e64 v7, 0, 2, vcc_lo
	v_cmp_lt_u32_e32 vcc_lo, v65, v2
	s_delay_alu instid0(VALU_DEP_2) | instskip(SKIP_4) | instid1(VALU_DEP_2)
	v_add_lshl_u32 v13, v7, v65, 2
	s_wait_dscnt 0x0
	s_wait_alu 0xfffd
	v_cndmask_b32_e32 v4, 0, v4, vcc_lo
	v_cmp_gt_u32_e32 vcc_lo, 28, v65
	v_add_nc_u32_e32 v4, v4, v5
	s_wait_alu 0xfffd
	v_cndmask_b32_e64 v7, 0, 4, vcc_lo
	v_cmp_le_u32_e32 vcc_lo, v14, v2
	ds_bpermute_b32 v5, v13, v4
	v_add_lshl_u32 v15, v7, v65, 2
	s_wait_dscnt 0x0
	s_wait_alu 0xfffd
	v_cndmask_b32_e32 v5, 0, v5, vcc_lo
	v_cmp_gt_u32_e32 vcc_lo, 24, v65
	s_delay_alu instid0(VALU_DEP_2)
	v_add_nc_u32_e32 v4, v4, v5
	s_wait_alu 0xfffd
	v_cndmask_b32_e64 v7, 0, 8, vcc_lo
	v_cmp_le_u32_e32 vcc_lo, v16, v2
	ds_bpermute_b32 v5, v15, v4
	v_add_lshl_u32 v19, v7, v65, 2
	s_wait_dscnt 0x0
	s_wait_alu 0xfffd
	v_cndmask_b32_e32 v5, 0, v5, vcc_lo
	v_cmp_le_u32_e32 vcc_lo, v20, v2
	s_delay_alu instid0(VALU_DEP_2)
	v_add_nc_u32_e32 v4, v4, v5
	ds_bpermute_b32 v5, v19, v4
	s_wait_dscnt 0x0
	s_wait_alu 0xfffd
	v_cndmask_b32_e32 v5, 0, v5, vcc_lo
	v_cmp_le_u32_e32 vcc_lo, v69, v2
	s_delay_alu instid0(VALU_DEP_2) | instskip(SKIP_4) | instid1(VALU_DEP_1)
	v_add_nc_u32_e32 v4, v4, v5
	ds_bpermute_b32 v5, v68, v4
	s_wait_dscnt 0x0
	s_wait_alu 0xfffd
	v_cndmask_b32_e32 v2, 0, v5, vcc_lo
	v_dual_mov_b32 v4, 0 :: v_dual_add_nc_u32 v5, v4, v2
	s_branch .LBB287_55
.LBB287_52:                             ;   in Loop: Header=BB287_55 Depth=1
	s_or_b32 exec_lo, exec_lo, s24
.LBB287_53:                             ;   in Loop: Header=BB287_55 Depth=1
	s_wait_alu 0xfffe
	s_or_b32 exec_lo, exec_lo, s23
	ds_bpermute_b32 v8, v11, v5
	v_and_b32_e32 v7, 0xff, v6
	v_subrev_nc_u32_e32 v3, 32, v3
	s_mov_b32 s23, 0
	s_delay_alu instid0(VALU_DEP_2) | instskip(SKIP_2) | instid1(VALU_DEP_1)
	v_cmp_eq_u16_e32 vcc_lo, 2, v7
	s_wait_alu 0xfffd
	v_and_or_b32 v7, vcc_lo, v12, 0x80000000
	v_ctz_i32_b32_e32 v7, v7
	s_delay_alu instid0(VALU_DEP_1) | instskip(SKIP_4) | instid1(VALU_DEP_2)
	v_cmp_lt_u32_e32 vcc_lo, v65, v7
	s_wait_dscnt 0x0
	s_wait_alu 0xfffd
	v_cndmask_b32_e32 v8, 0, v8, vcc_lo
	v_cmp_le_u32_e32 vcc_lo, v14, v7
	v_add_nc_u32_e32 v5, v8, v5
	ds_bpermute_b32 v8, v13, v5
	s_wait_dscnt 0x0
	s_wait_alu 0xfffd
	v_cndmask_b32_e32 v8, 0, v8, vcc_lo
	v_cmp_le_u32_e32 vcc_lo, v16, v7
	s_delay_alu instid0(VALU_DEP_2)
	v_add_nc_u32_e32 v5, v5, v8
	ds_bpermute_b32 v8, v15, v5
	s_wait_dscnt 0x0
	s_wait_alu 0xfffd
	v_cndmask_b32_e32 v8, 0, v8, vcc_lo
	v_cmp_le_u32_e32 vcc_lo, v20, v7
	s_delay_alu instid0(VALU_DEP_2)
	v_add_nc_u32_e32 v5, v5, v8
	ds_bpermute_b32 v8, v19, v5
	s_wait_dscnt 0x0
	s_wait_alu 0xfffd
	v_cndmask_b32_e32 v8, 0, v8, vcc_lo
	v_cmp_le_u32_e32 vcc_lo, v69, v7
	s_delay_alu instid0(VALU_DEP_2) | instskip(SKIP_4) | instid1(VALU_DEP_1)
	v_add_nc_u32_e32 v5, v5, v8
	ds_bpermute_b32 v8, v68, v5
	s_wait_dscnt 0x0
	s_wait_alu 0xfffd
	v_cndmask_b32_e32 v7, 0, v8, vcc_lo
	v_add3_u32 v5, v7, v2, v5
.LBB287_54:                             ;   in Loop: Header=BB287_55 Depth=1
	s_wait_alu 0xfffe
	s_and_b32 vcc_lo, exec_lo, s23
	s_wait_alu 0xfffe
	s_cbranch_vccnz .LBB287_60
.LBB287_55:                             ; =>This Loop Header: Depth=1
                                        ;     Child Loop BB287_58 Depth 2
	v_and_b32_e32 v2, 0xff, v6
	s_mov_b32 s23, -1
                                        ; implicit-def: $vgpr6
	s_delay_alu instid0(VALU_DEP_1)
	v_cmp_ne_u16_e32 vcc_lo, 2, v2
	v_mov_b32_e32 v2, v5
                                        ; implicit-def: $vgpr5
	s_cmp_lg_u32 vcc_lo, exec_lo
	s_cbranch_scc1 .LBB287_54
; %bb.56:                               ;   in Loop: Header=BB287_55 Depth=1
	v_lshlrev_b64_e32 v[5:6], 3, v[3:4]
	s_mov_b32 s23, exec_lo
	s_delay_alu instid0(VALU_DEP_1) | instskip(SKIP_1) | instid1(VALU_DEP_2)
	v_add_co_u32 v7, vcc_lo, s20, v5
	s_wait_alu 0xfffd
	v_add_co_ci_u32_e64 v8, null, s21, v6, vcc_lo
	global_load_b64 v[5:6], v[7:8], off scope:SCOPE_DEV
	s_wait_loadcnt 0x0
	v_and_b32_e32 v70, 0xff, v6
	s_delay_alu instid0(VALU_DEP_1)
	v_cmpx_eq_u16_e32 0, v70
	s_cbranch_execz .LBB287_53
; %bb.57:                               ;   in Loop: Header=BB287_55 Depth=1
	s_mov_b32 s24, 0
.LBB287_58:                             ;   Parent Loop BB287_55 Depth=1
                                        ; =>  This Inner Loop Header: Depth=2
	global_load_b64 v[5:6], v[7:8], off scope:SCOPE_DEV
	s_wait_loadcnt 0x0
	v_and_b32_e32 v70, 0xff, v6
	s_delay_alu instid0(VALU_DEP_1) | instskip(SKIP_1) | instid1(SALU_CYCLE_1)
	v_cmp_ne_u16_e32 vcc_lo, 0, v70
	s_or_b32 s24, vcc_lo, s24
	s_and_not1_b32 exec_lo, exec_lo, s24
	s_cbranch_execnz .LBB287_58
	s_branch .LBB287_52
.LBB287_59:
                                        ; implicit-def: $vgpr20
                                        ; implicit-def: $vgpr1_vgpr2_vgpr3_vgpr4_vgpr5_vgpr6_vgpr7_vgpr8_vgpr9_vgpr10_vgpr11_vgpr12_vgpr13_vgpr14_vgpr15_vgpr16
	s_wait_alu 0xfffe
	s_and_b32 vcc_lo, exec_lo, s7
	s_wait_alu 0xfffe
	s_cbranch_vccnz .LBB287_65
	s_branch .LBB287_74
.LBB287_60:
	s_and_saveexec_b32 s23, s7
	s_cbranch_execz .LBB287_62
; %bb.61:
	s_add_co_i32 s24, s15, 32
	s_mov_b32 s25, 0
	v_dual_mov_b32 v4, 2 :: v_dual_add_nc_u32 v3, v2, v1
	v_mov_b32_e32 v5, 0
	s_lshl_b64 s[24:25], s[24:25], 3
	s_delay_alu instid0(SALU_CYCLE_1)
	s_add_nc_u64 s[24:25], s[20:21], s[24:25]
	global_store_b64 v5, v[3:4], s[24:25] scope:SCOPE_DEV
	ds_store_b64 v5, v[1:2] offset:13312
.LBB287_62:
	s_wait_alu 0xfffe
	s_or_b32 exec_lo, exec_lo, s23
	s_delay_alu instid0(SALU_CYCLE_1)
	s_and_b32 exec_lo, exec_lo, s2
; %bb.63:
	v_mov_b32_e32 v1, 0
	ds_store_b32 v1, v2 offset:28
.LBB287_64:
	s_wait_alu 0xfffe
	s_or_b32 exec_lo, exec_lo, s8
	v_mov_b32_e32 v11, 0
	s_wait_storecnt 0x0
	s_wait_loadcnt_dscnt 0x0
	s_barrier_signal -1
	s_barrier_wait -1
	global_inv scope:SCOPE_SE
	ds_load_b32 v1, v11 offset:28
	v_cndmask_b32_e64 v2, v10, v9, s7
	s_wait_loadcnt_dscnt 0x0
	s_barrier_signal -1
	s_barrier_wait -1
	global_inv scope:SCOPE_SE
	v_cndmask_b32_e64 v2, v2, 0, s2
	s_delay_alu instid0(VALU_DEP_1) | instskip(NEXT) | instid1(VALU_DEP_1)
	v_add_nc_u32_e32 v1, v1, v2
	v_add_nc_u32_e32 v2, v1, v56
	ds_load_b64 v[19:20], v11 offset:13312
	v_add_nc_u32_e32 v3, v2, v57
	s_delay_alu instid0(VALU_DEP_1) | instskip(NEXT) | instid1(VALU_DEP_1)
	v_add_nc_u32_e32 v4, v3, v58
	v_add_nc_u32_e32 v5, v4, v55
	s_delay_alu instid0(VALU_DEP_1) | instskip(NEXT) | instid1(VALU_DEP_1)
	v_add_nc_u32_e32 v6, v5, v59
	;; [unrolled: 3-line block ×5, first 2 shown]
	v_add_nc_u32_e32 v13, v12, v51
	s_branch .LBB287_74
.LBB287_65:
	v_mov_b32_dpp v1, v67 row_shr:1 row_mask:0xf bank_mask:0xf
	s_delay_alu instid0(VALU_DEP_1) | instskip(NEXT) | instid1(VALU_DEP_1)
	v_cndmask_b32_e64 v1, v1, 0, s6
	v_add_nc_u32_e32 v1, v1, v67
	s_delay_alu instid0(VALU_DEP_1) | instskip(NEXT) | instid1(VALU_DEP_1)
	v_mov_b32_dpp v2, v1 row_shr:2 row_mask:0xf bank_mask:0xf
	v_cndmask_b32_e64 v2, 0, v2, s5
	s_delay_alu instid0(VALU_DEP_1) | instskip(NEXT) | instid1(VALU_DEP_1)
	v_add_nc_u32_e32 v1, v1, v2
	v_mov_b32_dpp v2, v1 row_shr:4 row_mask:0xf bank_mask:0xf
	s_delay_alu instid0(VALU_DEP_1) | instskip(NEXT) | instid1(VALU_DEP_1)
	v_cndmask_b32_e64 v2, 0, v2, s4
	v_add_nc_u32_e32 v1, v1, v2
	s_delay_alu instid0(VALU_DEP_1) | instskip(NEXT) | instid1(VALU_DEP_1)
	v_mov_b32_dpp v2, v1 row_shr:8 row_mask:0xf bank_mask:0xf
	v_cndmask_b32_e64 v2, 0, v2, s3
	s_delay_alu instid0(VALU_DEP_1) | instskip(SKIP_3) | instid1(VALU_DEP_1)
	v_add_nc_u32_e32 v1, v1, v2
	ds_swizzle_b32 v2, v1 offset:swizzle(BROADCAST,32,15)
	s_wait_dscnt 0x0
	v_cndmask_b32_e64 v2, v2, 0, s1
	v_add_nc_u32_e32 v1, v1, v2
	s_and_saveexec_b32 s1, s0
; %bb.66:
	v_lshlrev_b32_e32 v2, 2, v66
	ds_store_b32 v2, v1
; %bb.67:
	s_wait_alu 0xfffe
	s_or_b32 exec_lo, exec_lo, s1
	s_delay_alu instid0(SALU_CYCLE_1)
	s_mov_b32 s0, exec_lo
	s_wait_loadcnt_dscnt 0x0
	s_barrier_signal -1
	s_barrier_wait -1
	global_inv scope:SCOPE_SE
	v_cmpx_gt_u32_e32 8, v0
	s_cbranch_execz .LBB287_69
; %bb.68:
	ds_load_b32 v2, v45
	s_wait_dscnt 0x0
	v_mov_b32_dpp v4, v2 row_shr:1 row_mask:0xf bank_mask:0xf
	v_and_b32_e32 v3, 7, v65
	s_delay_alu instid0(VALU_DEP_1) | instskip(SKIP_1) | instid1(VALU_DEP_3)
	v_cmp_ne_u32_e32 vcc_lo, 0, v3
	s_wait_alu 0xfffd
	v_cndmask_b32_e32 v4, 0, v4, vcc_lo
	v_cmp_lt_u32_e32 vcc_lo, 1, v3
	s_delay_alu instid0(VALU_DEP_2) | instskip(NEXT) | instid1(VALU_DEP_1)
	v_add_nc_u32_e32 v2, v4, v2
	v_mov_b32_dpp v4, v2 row_shr:2 row_mask:0xf bank_mask:0xf
	s_wait_alu 0xfffd
	s_delay_alu instid0(VALU_DEP_1) | instskip(SKIP_1) | instid1(VALU_DEP_2)
	v_cndmask_b32_e32 v4, 0, v4, vcc_lo
	v_cmp_lt_u32_e32 vcc_lo, 3, v3
	v_add_nc_u32_e32 v2, v2, v4
	s_delay_alu instid0(VALU_DEP_1) | instskip(SKIP_1) | instid1(VALU_DEP_1)
	v_mov_b32_dpp v4, v2 row_shr:4 row_mask:0xf bank_mask:0xf
	s_wait_alu 0xfffd
	v_cndmask_b32_e32 v3, 0, v4, vcc_lo
	s_delay_alu instid0(VALU_DEP_1)
	v_add_nc_u32_e32 v2, v2, v3
	ds_store_b32 v45, v2
.LBB287_69:
	s_wait_alu 0xfffe
	s_or_b32 exec_lo, exec_lo, s0
	v_dual_mov_b32 v3, 0 :: v_dual_mov_b32 v2, 0
	s_mov_b32 s0, exec_lo
	s_wait_loadcnt_dscnt 0x0
	s_barrier_signal -1
	s_barrier_wait -1
	global_inv scope:SCOPE_SE
	v_cmpx_lt_u32_e32 31, v0
; %bb.70:
	v_lshl_add_u32 v2, v66, 2, -4
	ds_load_b32 v2, v2
; %bb.71:
	s_wait_alu 0xfffe
	s_or_b32 exec_lo, exec_lo, s0
	v_sub_co_u32 v4, vcc_lo, v65, 1
	s_wait_dscnt 0x0
	v_add_nc_u32_e32 v1, v2, v1
	ds_load_b32 v19, v3 offset:28
	v_cmp_gt_i32_e64 s0, 0, v4
	s_wait_alu 0xf1ff
	s_delay_alu instid0(VALU_DEP_1) | instskip(NEXT) | instid1(VALU_DEP_1)
	v_cndmask_b32_e64 v4, v4, v65, s0
	v_lshlrev_b32_e32 v4, 2, v4
	ds_bpermute_b32 v1, v4, v1
	s_and_saveexec_b32 s0, s2
	s_cbranch_execz .LBB287_73
; %bb.72:
	v_dual_mov_b32 v3, 0 :: v_dual_mov_b32 v20, 2
	s_wait_dscnt 0x1
	global_store_b64 v3, v[19:20], s[20:21] offset:256 scope:SCOPE_DEV
.LBB287_73:
	s_wait_alu 0xfffe
	s_or_b32 exec_lo, exec_lo, s0
	s_wait_dscnt 0x0
	s_wait_alu 0xfffd
	v_cndmask_b32_e32 v1, v1, v2, vcc_lo
	s_wait_loadcnt 0x0
	s_wait_storecnt 0x0
	s_barrier_signal -1
	s_barrier_wait -1
	global_inv scope:SCOPE_SE
	v_cndmask_b32_e64 v1, v1, 0, s2
	v_mov_b32_e32 v20, 0
	s_delay_alu instid0(VALU_DEP_2) | instskip(NEXT) | instid1(VALU_DEP_1)
	v_add_nc_u32_e32 v2, v1, v56
	v_add_nc_u32_e32 v3, v2, v57
	s_delay_alu instid0(VALU_DEP_1) | instskip(NEXT) | instid1(VALU_DEP_1)
	v_add_nc_u32_e32 v4, v3, v58
	v_add_nc_u32_e32 v5, v4, v55
	s_delay_alu instid0(VALU_DEP_1) | instskip(NEXT) | instid1(VALU_DEP_1)
	;; [unrolled: 3-line block ×5, first 2 shown]
	v_add_nc_u32_e32 v12, v11, v64
	v_add_nc_u32_e32 v13, v12, v51
.LBB287_74:
	s_wait_dscnt 0x0
	v_sub_nc_u32_e32 v1, v1, v20
	v_sub_nc_u32_e32 v2, v2, v20
	v_add_nc_u32_e32 v48, v19, v48
	v_lshrrev_b32_e32 v58, 8, v54
	v_lshrrev_b32_e32 v57, 16, v54
	v_sub_nc_u32_e32 v4, v4, v20
	v_sub_nc_u32_e32 v3, v3, v20
	;; [unrolled: 1-line block ×3, first 2 shown]
	v_and_b32_e32 v54, 1, v54
	v_and_b32_e32 v58, 1, v58
	v_and_b32_e32 v55, 1, v55
	v_lshrrev_b32_e32 v56, 8, v52
	v_lshrrev_b32_e32 v16, 16, v52
	v_cmp_eq_u32_e32 vcc_lo, 1, v54
	v_and_b32_e32 v54, 1, v57
	v_sub_nc_u32_e32 v57, v48, v2
	v_lshrrev_b32_e32 v15, 8, v50
	v_lshrrev_b32_e32 v14, 16, v50
	s_wait_alu 0xfffd
	v_cndmask_b32_e32 v1, v59, v1, vcc_lo
	v_cmp_eq_u32_e32 vcc_lo, 1, v58
	v_add_nc_u32_e32 v57, 1, v57
	s_delay_alu instid0(VALU_DEP_3)
	v_lshlrev_b32_e32 v1, 2, v1
	ds_store_b32 v1, v31
	s_wait_alu 0xfffd
	v_cndmask_b32_e32 v1, v57, v2, vcc_lo
	v_sub_nc_u32_e32 v59, v48, v3
	v_sub_nc_u32_e32 v60, v48, v4
	v_cmp_eq_u32_e32 vcc_lo, 1, v54
	s_delay_alu instid0(VALU_DEP_4) | instskip(NEXT) | instid1(VALU_DEP_4)
	v_lshlrev_b32_e32 v1, 2, v1
	v_add_nc_u32_e32 v59, 2, v59
	s_delay_alu instid0(VALU_DEP_4)
	v_add_nc_u32_e32 v60, 3, v60
	ds_store_b32 v1, v32
	s_wait_alu 0xfffd
	v_cndmask_b32_e32 v2, v59, v3, vcc_lo
	v_cmp_eq_u32_e32 vcc_lo, 1, v55
	s_wait_alu 0xfffd
	s_delay_alu instid0(VALU_DEP_2) | instskip(SKIP_2) | instid1(VALU_DEP_3)
	v_dual_cndmask_b32 v3, v60, v4 :: v_dual_lshlrev_b32 v2, 2, v2
	v_sub_nc_u32_e32 v4, v5, v20
	v_sub_nc_u32_e32 v5, v6, v20
	v_lshlrev_b32_e32 v3, 2, v3
	s_delay_alu instid0(VALU_DEP_3) | instskip(NEXT) | instid1(VALU_DEP_3)
	v_sub_nc_u32_e32 v1, v48, v4
	v_sub_nc_u32_e32 v6, v48, v5
	ds_store_b32 v2, v29
	ds_store_b32 v3, v30
	v_and_b32_e32 v2, 1, v52
	v_add_nc_u32_e32 v1, 4, v1
	v_add_nc_u32_e32 v3, 5, v6
	v_sub_nc_u32_e32 v6, v7, v20
	v_and_b32_e32 v7, 1, v56
	v_cmp_eq_u32_e32 vcc_lo, 1, v2
	v_sub_nc_u32_e32 v2, v8, v20
	s_wait_alu 0xfffd
	v_dual_cndmask_b32 v1, v1, v4 :: v_dual_and_b32 v8, 1, v53
	v_sub_nc_u32_e32 v4, v48, v6
	v_cmp_eq_u32_e32 vcc_lo, 1, v7
	v_and_b32_e32 v7, 1, v16
	s_delay_alu instid0(VALU_DEP_4)
	v_lshlrev_b32_e32 v1, 2, v1
	s_wait_alu 0xfffd
	v_dual_cndmask_b32 v3, v3, v5 :: v_dual_add_nc_u32 v4, 6, v4
	v_sub_nc_u32_e32 v5, v48, v2
	v_cmp_eq_u32_e32 vcc_lo, 1, v7
	v_sub_nc_u32_e32 v7, v13, v20
	s_delay_alu instid0(VALU_DEP_4)
	v_lshlrev_b32_e32 v3, 2, v3
	s_wait_alu 0xfffd
	v_dual_cndmask_b32 v4, v4, v6 :: v_dual_add_nc_u32 v5, 7, v5
	v_cmp_eq_u32_e32 vcc_lo, 1, v8
	v_sub_nc_u32_e32 v6, v9, v20
	ds_store_b32 v1, v27
	ds_store_b32 v3, v28
	s_wait_alu 0xfffd
	v_dual_cndmask_b32 v2, v5, v2 :: v_dual_lshlrev_b32 v3, 2, v4
	v_sub_nc_u32_e32 v1, v48, v6
	v_and_b32_e32 v5, 1, v50
	v_sub_nc_u32_e32 v4, v10, v20
	v_and_b32_e32 v10, 1, v51
	v_lshlrev_b32_e32 v2, 2, v2
	v_add_nc_u32_e32 v1, 8, v1
	ds_store_b32 v3, v25
	ds_store_b32 v2, v26
	v_cmp_eq_u32_e32 vcc_lo, 1, v5
	v_sub_nc_u32_e32 v3, v11, v20
	v_sub_nc_u32_e32 v2, v48, v4
	;; [unrolled: 1-line block ×3, first 2 shown]
	v_and_b32_e32 v11, 1, v49
	s_wait_alu 0xfffd
	v_dual_cndmask_b32 v1, v1, v6 :: v_dual_and_b32 v6, 1, v15
	v_sub_nc_u32_e32 v8, v48, v3
	v_add_nc_u32_e32 v2, 9, v2
	v_sub_nc_u32_e32 v9, v48, v5
	s_delay_alu instid0(VALU_DEP_4)
	v_lshlrev_b32_e32 v1, 2, v1
	v_cmp_eq_u32_e32 vcc_lo, 1, v6
	v_add_nc_u32_e32 v6, 10, v8
	v_and_b32_e32 v8, 1, v14
	v_add_nc_u32_e32 v9, 11, v9
	v_add_co_u32 v15, s0, v17, v20
	s_wait_alu 0xfffd
	v_cndmask_b32_e32 v2, v2, v4, vcc_lo
	v_cmp_eq_u32_e32 vcc_lo, 1, v8
	v_sub_nc_u32_e32 v4, v48, v7
	s_wait_alu 0xf1ff
	v_add_co_ci_u32_e64 v16, null, 0, v18, s0
	s_wait_alu 0xfffd
	v_dual_cndmask_b32 v3, v6, v3 :: v_dual_lshlrev_b32 v2, 2, v2
	v_cmp_eq_u32_e32 vcc_lo, 1, v10
	v_add_nc_u32_e32 v4, 12, v4
	s_delay_alu instid0(VALU_DEP_3) | instskip(SKIP_4) | instid1(VALU_DEP_2)
	v_lshlrev_b32_e32 v3, 2, v3
	s_wait_alu 0xfffd
	v_cndmask_b32_e32 v5, v9, v5, vcc_lo
	v_cmp_eq_u32_e32 vcc_lo, 1, v11
	s_wait_alu 0xfffd
	v_dual_cndmask_b32 v4, v4, v7 :: v_dual_lshlrev_b32 v5, 2, v5
	v_cmp_ne_u32_e32 vcc_lo, 1, v46
	s_delay_alu instid0(VALU_DEP_2)
	v_lshlrev_b32_e32 v4, 2, v4
	ds_store_b32 v1, v23
	ds_store_b32 v2, v24
	;; [unrolled: 1-line block ×5, first 2 shown]
	s_wait_loadcnt_dscnt 0x0
	s_barrier_signal -1
	s_barrier_wait -1
	global_inv scope:SCOPE_SE
	ds_load_2addr_stride64_b32 v[11:12], v45 offset1:4
	ds_load_2addr_stride64_b32 v[9:10], v45 offset0:8 offset1:12
	ds_load_2addr_stride64_b32 v[7:8], v45 offset0:16 offset1:20
	;; [unrolled: 1-line block ×5, first 2 shown]
	ds_load_b32 v21, v45 offset:12288
	s_cbranch_vccnz .LBB287_131
; %bb.75:
	s_mov_b32 s15, 0
	v_sub_co_u32 v13, vcc_lo, v15, s16
	s_wait_alu 0xfffe
	s_sub_nc_u64 s[0:1], s[18:19], s[14:15]
	s_wait_alu 0xfffd
	v_subrev_co_ci_u32_e64 v14, null, s17, v16, vcc_lo
	s_wait_alu 0xfffe
	v_add_co_u32 v17, s0, s0, v19
	s_wait_alu 0xf1ff
	v_add_co_ci_u32_e64 v18, null, s1, 0, s0
	s_mov_b32 s0, exec_lo
	v_add_co_u32 v17, vcc_lo, v17, v13
	s_wait_alu 0xfffd
	v_add_co_ci_u32_e64 v18, null, v18, v14, vcc_lo
                                        ; implicit-def: $vgpr13_vgpr14
	v_cmpx_ge_u32_e64 v0, v19
	s_wait_alu 0xfffe
	s_xor_b32 s0, exec_lo, s0
; %bb.76:
	v_not_b32_e32 v13, v0
	s_delay_alu instid0(VALU_DEP_1) | instskip(SKIP_2) | instid1(VALU_DEP_2)
	v_ashrrev_i32_e32 v14, 31, v13
	v_add_co_u32 v13, vcc_lo, v17, v13
	s_wait_alu 0xfffd
	v_add_co_ci_u32_e64 v14, null, v18, v14, vcc_lo
; %bb.77:
	s_wait_alu 0xfffe
	s_and_not1_saveexec_b32 s0, s0
; %bb.78:
	v_add_co_u32 v13, vcc_lo, v15, v0
	s_wait_alu 0xfffd
	v_add_co_ci_u32_e64 v14, null, 0, v16, vcc_lo
; %bb.79:
	s_wait_alu 0xfffe
	s_or_b32 exec_lo, exec_lo, s0
	s_delay_alu instid0(VALU_DEP_1) | instskip(SKIP_1) | instid1(VALU_DEP_1)
	v_lshlrev_b64_e32 v[13:14], 2, v[13:14]
	s_mov_b32 s0, exec_lo
	v_add_co_u32 v13, vcc_lo, s10, v13
	s_wait_alu 0xfffd
	s_delay_alu instid0(VALU_DEP_2)
	v_add_co_ci_u32_e64 v14, null, s11, v14, vcc_lo
	s_wait_dscnt 0x6
	global_store_b32 v[13:14], v11, off
                                        ; implicit-def: $vgpr13_vgpr14
	v_cmpx_ge_u32_e64 v44, v19
	s_wait_alu 0xfffe
	s_xor_b32 s0, exec_lo, s0
; %bb.80:
	v_xor_b32_e32 v13, 0xfffffeff, v0
	s_delay_alu instid0(VALU_DEP_1) | instskip(SKIP_2) | instid1(VALU_DEP_2)
	v_ashrrev_i32_e32 v14, 31, v13
	v_add_co_u32 v13, vcc_lo, v17, v13
	s_wait_alu 0xfffd
	v_add_co_ci_u32_e64 v14, null, v18, v14, vcc_lo
; %bb.81:
	s_wait_alu 0xfffe
	s_and_not1_saveexec_b32 s0, s0
; %bb.82:
	v_add_co_u32 v13, vcc_lo, v15, v44
	s_wait_alu 0xfffd
	v_add_co_ci_u32_e64 v14, null, 0, v16, vcc_lo
; %bb.83:
	s_wait_alu 0xfffe
	s_or_b32 exec_lo, exec_lo, s0
	s_delay_alu instid0(VALU_DEP_1) | instskip(SKIP_1) | instid1(VALU_DEP_1)
	v_lshlrev_b64_e32 v[13:14], 2, v[13:14]
	s_mov_b32 s0, exec_lo
	v_add_co_u32 v13, vcc_lo, s10, v13
	s_wait_alu 0xfffd
	s_delay_alu instid0(VALU_DEP_2)
	v_add_co_ci_u32_e64 v14, null, s11, v14, vcc_lo
	global_store_b32 v[13:14], v12, off
                                        ; implicit-def: $vgpr13_vgpr14
	v_cmpx_ge_u32_e64 v43, v19
	s_wait_alu 0xfffe
	s_xor_b32 s0, exec_lo, s0
; %bb.84:
	v_xor_b32_e32 v13, 0xfffffdff, v0
	s_delay_alu instid0(VALU_DEP_1) | instskip(SKIP_2) | instid1(VALU_DEP_2)
	v_ashrrev_i32_e32 v14, 31, v13
	v_add_co_u32 v13, vcc_lo, v17, v13
	s_wait_alu 0xfffd
	v_add_co_ci_u32_e64 v14, null, v18, v14, vcc_lo
; %bb.85:
	s_wait_alu 0xfffe
	s_and_not1_saveexec_b32 s0, s0
; %bb.86:
	v_add_co_u32 v13, vcc_lo, v15, v43
	s_wait_alu 0xfffd
	v_add_co_ci_u32_e64 v14, null, 0, v16, vcc_lo
; %bb.87:
	s_wait_alu 0xfffe
	s_or_b32 exec_lo, exec_lo, s0
	s_delay_alu instid0(VALU_DEP_1) | instskip(SKIP_1) | instid1(VALU_DEP_1)
	v_lshlrev_b64_e32 v[13:14], 2, v[13:14]
	s_mov_b32 s0, exec_lo
	v_add_co_u32 v13, vcc_lo, s10, v13
	s_wait_alu 0xfffd
	s_delay_alu instid0(VALU_DEP_2)
	v_add_co_ci_u32_e64 v14, null, s11, v14, vcc_lo
	s_wait_dscnt 0x5
	global_store_b32 v[13:14], v9, off
                                        ; implicit-def: $vgpr13_vgpr14
	v_cmpx_ge_u32_e64 v42, v19
	s_wait_alu 0xfffe
	s_xor_b32 s0, exec_lo, s0
; %bb.88:
	v_xor_b32_e32 v13, 0xfffffcff, v0
	s_delay_alu instid0(VALU_DEP_1) | instskip(SKIP_2) | instid1(VALU_DEP_2)
	v_ashrrev_i32_e32 v14, 31, v13
	v_add_co_u32 v13, vcc_lo, v17, v13
	s_wait_alu 0xfffd
	v_add_co_ci_u32_e64 v14, null, v18, v14, vcc_lo
; %bb.89:
	s_wait_alu 0xfffe
	s_and_not1_saveexec_b32 s0, s0
; %bb.90:
	v_add_co_u32 v13, vcc_lo, v15, v42
	s_wait_alu 0xfffd
	v_add_co_ci_u32_e64 v14, null, 0, v16, vcc_lo
; %bb.91:
	s_wait_alu 0xfffe
	s_or_b32 exec_lo, exec_lo, s0
	s_delay_alu instid0(VALU_DEP_1) | instskip(SKIP_1) | instid1(VALU_DEP_1)
	v_lshlrev_b64_e32 v[13:14], 2, v[13:14]
	s_mov_b32 s0, exec_lo
	v_add_co_u32 v13, vcc_lo, s10, v13
	s_wait_alu 0xfffd
	s_delay_alu instid0(VALU_DEP_2)
	v_add_co_ci_u32_e64 v14, null, s11, v14, vcc_lo
	global_store_b32 v[13:14], v10, off
                                        ; implicit-def: $vgpr13_vgpr14
	v_cmpx_ge_u32_e64 v41, v19
	s_wait_alu 0xfffe
	s_xor_b32 s0, exec_lo, s0
; %bb.92:
	v_xor_b32_e32 v13, 0xfffffbff, v0
	s_delay_alu instid0(VALU_DEP_1) | instskip(SKIP_2) | instid1(VALU_DEP_2)
	v_ashrrev_i32_e32 v14, 31, v13
	v_add_co_u32 v13, vcc_lo, v17, v13
	s_wait_alu 0xfffd
	v_add_co_ci_u32_e64 v14, null, v18, v14, vcc_lo
; %bb.93:
	s_wait_alu 0xfffe
	s_and_not1_saveexec_b32 s0, s0
; %bb.94:
	v_add_co_u32 v13, vcc_lo, v15, v41
	s_wait_alu 0xfffd
	v_add_co_ci_u32_e64 v14, null, 0, v16, vcc_lo
; %bb.95:
	s_wait_alu 0xfffe
	s_or_b32 exec_lo, exec_lo, s0
	s_delay_alu instid0(VALU_DEP_1) | instskip(SKIP_1) | instid1(VALU_DEP_1)
	v_lshlrev_b64_e32 v[13:14], 2, v[13:14]
	s_mov_b32 s0, exec_lo
	v_add_co_u32 v13, vcc_lo, s10, v13
	s_wait_alu 0xfffd
	s_delay_alu instid0(VALU_DEP_2)
	v_add_co_ci_u32_e64 v14, null, s11, v14, vcc_lo
	s_wait_dscnt 0x4
	global_store_b32 v[13:14], v7, off
                                        ; implicit-def: $vgpr13_vgpr14
	v_cmpx_ge_u32_e64 v40, v19
	s_wait_alu 0xfffe
	s_xor_b32 s0, exec_lo, s0
; %bb.96:
	v_xor_b32_e32 v13, 0xfffffaff, v0
	s_delay_alu instid0(VALU_DEP_1) | instskip(SKIP_2) | instid1(VALU_DEP_2)
	v_ashrrev_i32_e32 v14, 31, v13
	v_add_co_u32 v13, vcc_lo, v17, v13
	s_wait_alu 0xfffd
	v_add_co_ci_u32_e64 v14, null, v18, v14, vcc_lo
; %bb.97:
	s_wait_alu 0xfffe
	s_and_not1_saveexec_b32 s0, s0
; %bb.98:
	v_add_co_u32 v13, vcc_lo, v15, v40
	s_wait_alu 0xfffd
	v_add_co_ci_u32_e64 v14, null, 0, v16, vcc_lo
; %bb.99:
	s_wait_alu 0xfffe
	s_or_b32 exec_lo, exec_lo, s0
	s_delay_alu instid0(VALU_DEP_1) | instskip(SKIP_1) | instid1(VALU_DEP_1)
	v_lshlrev_b64_e32 v[13:14], 2, v[13:14]
	s_mov_b32 s0, exec_lo
	v_add_co_u32 v13, vcc_lo, s10, v13
	s_wait_alu 0xfffd
	s_delay_alu instid0(VALU_DEP_2)
	v_add_co_ci_u32_e64 v14, null, s11, v14, vcc_lo
	global_store_b32 v[13:14], v8, off
                                        ; implicit-def: $vgpr13_vgpr14
	v_cmpx_ge_u32_e64 v39, v19
	s_wait_alu 0xfffe
	s_xor_b32 s0, exec_lo, s0
; %bb.100:
	v_xor_b32_e32 v13, 0xfffff9ff, v0
	s_delay_alu instid0(VALU_DEP_1) | instskip(SKIP_2) | instid1(VALU_DEP_2)
	v_ashrrev_i32_e32 v14, 31, v13
	v_add_co_u32 v13, vcc_lo, v17, v13
	s_wait_alu 0xfffd
	v_add_co_ci_u32_e64 v14, null, v18, v14, vcc_lo
; %bb.101:
	s_wait_alu 0xfffe
	s_and_not1_saveexec_b32 s0, s0
; %bb.102:
	v_add_co_u32 v13, vcc_lo, v15, v39
	s_wait_alu 0xfffd
	v_add_co_ci_u32_e64 v14, null, 0, v16, vcc_lo
; %bb.103:
	s_wait_alu 0xfffe
	s_or_b32 exec_lo, exec_lo, s0
	s_delay_alu instid0(VALU_DEP_1) | instskip(SKIP_1) | instid1(VALU_DEP_1)
	v_lshlrev_b64_e32 v[13:14], 2, v[13:14]
	s_mov_b32 s0, exec_lo
	v_add_co_u32 v13, vcc_lo, s10, v13
	s_wait_alu 0xfffd
	s_delay_alu instid0(VALU_DEP_2)
	v_add_co_ci_u32_e64 v14, null, s11, v14, vcc_lo
	s_wait_dscnt 0x3
	global_store_b32 v[13:14], v5, off
                                        ; implicit-def: $vgpr13_vgpr14
	v_cmpx_ge_u32_e64 v38, v19
	s_wait_alu 0xfffe
	s_xor_b32 s0, exec_lo, s0
; %bb.104:
	v_xor_b32_e32 v13, 0xfffff8ff, v0
	s_delay_alu instid0(VALU_DEP_1) | instskip(SKIP_2) | instid1(VALU_DEP_2)
	v_ashrrev_i32_e32 v14, 31, v13
	v_add_co_u32 v13, vcc_lo, v17, v13
	s_wait_alu 0xfffd
	v_add_co_ci_u32_e64 v14, null, v18, v14, vcc_lo
; %bb.105:
	s_wait_alu 0xfffe
	s_and_not1_saveexec_b32 s0, s0
; %bb.106:
	v_add_co_u32 v13, vcc_lo, v15, v38
	s_wait_alu 0xfffd
	v_add_co_ci_u32_e64 v14, null, 0, v16, vcc_lo
; %bb.107:
	s_wait_alu 0xfffe
	s_or_b32 exec_lo, exec_lo, s0
	s_delay_alu instid0(VALU_DEP_1) | instskip(SKIP_1) | instid1(VALU_DEP_1)
	v_lshlrev_b64_e32 v[13:14], 2, v[13:14]
	s_mov_b32 s0, exec_lo
	v_add_co_u32 v13, vcc_lo, s10, v13
	s_wait_alu 0xfffd
	s_delay_alu instid0(VALU_DEP_2)
	v_add_co_ci_u32_e64 v14, null, s11, v14, vcc_lo
	global_store_b32 v[13:14], v6, off
                                        ; implicit-def: $vgpr13_vgpr14
	v_cmpx_ge_u32_e64 v37, v19
	s_wait_alu 0xfffe
	s_xor_b32 s0, exec_lo, s0
; %bb.108:
	v_xor_b32_e32 v13, 0xfffff7ff, v0
	s_delay_alu instid0(VALU_DEP_1) | instskip(SKIP_2) | instid1(VALU_DEP_2)
	v_ashrrev_i32_e32 v14, 31, v13
	v_add_co_u32 v13, vcc_lo, v17, v13
	s_wait_alu 0xfffd
	v_add_co_ci_u32_e64 v14, null, v18, v14, vcc_lo
; %bb.109:
	s_wait_alu 0xfffe
	s_and_not1_saveexec_b32 s0, s0
; %bb.110:
	v_add_co_u32 v13, vcc_lo, v15, v37
	s_wait_alu 0xfffd
	v_add_co_ci_u32_e64 v14, null, 0, v16, vcc_lo
; %bb.111:
	s_wait_alu 0xfffe
	s_or_b32 exec_lo, exec_lo, s0
	s_delay_alu instid0(VALU_DEP_1) | instskip(SKIP_1) | instid1(VALU_DEP_1)
	v_lshlrev_b64_e32 v[13:14], 2, v[13:14]
	s_mov_b32 s0, exec_lo
	v_add_co_u32 v13, vcc_lo, s10, v13
	s_wait_alu 0xfffd
	s_delay_alu instid0(VALU_DEP_2)
	v_add_co_ci_u32_e64 v14, null, s11, v14, vcc_lo
	s_wait_dscnt 0x2
	global_store_b32 v[13:14], v3, off
                                        ; implicit-def: $vgpr13_vgpr14
	v_cmpx_ge_u32_e64 v36, v19
	s_wait_alu 0xfffe
	s_xor_b32 s0, exec_lo, s0
; %bb.112:
	v_xor_b32_e32 v13, 0xfffff6ff, v0
	s_delay_alu instid0(VALU_DEP_1) | instskip(SKIP_2) | instid1(VALU_DEP_2)
	v_ashrrev_i32_e32 v14, 31, v13
	v_add_co_u32 v13, vcc_lo, v17, v13
	s_wait_alu 0xfffd
	v_add_co_ci_u32_e64 v14, null, v18, v14, vcc_lo
; %bb.113:
	s_wait_alu 0xfffe
	s_and_not1_saveexec_b32 s0, s0
; %bb.114:
	v_add_co_u32 v13, vcc_lo, v15, v36
	s_wait_alu 0xfffd
	v_add_co_ci_u32_e64 v14, null, 0, v16, vcc_lo
; %bb.115:
	s_wait_alu 0xfffe
	s_or_b32 exec_lo, exec_lo, s0
	s_delay_alu instid0(VALU_DEP_1) | instskip(SKIP_1) | instid1(VALU_DEP_1)
	v_lshlrev_b64_e32 v[13:14], 2, v[13:14]
	s_mov_b32 s0, exec_lo
	v_add_co_u32 v13, vcc_lo, s10, v13
	s_wait_alu 0xfffd
	s_delay_alu instid0(VALU_DEP_2)
	v_add_co_ci_u32_e64 v14, null, s11, v14, vcc_lo
	global_store_b32 v[13:14], v4, off
                                        ; implicit-def: $vgpr13_vgpr14
	v_cmpx_ge_u32_e64 v35, v19
	s_wait_alu 0xfffe
	s_xor_b32 s0, exec_lo, s0
; %bb.116:
	v_xor_b32_e32 v13, 0xfffff5ff, v0
	s_delay_alu instid0(VALU_DEP_1) | instskip(SKIP_2) | instid1(VALU_DEP_2)
	v_ashrrev_i32_e32 v14, 31, v13
	v_add_co_u32 v13, vcc_lo, v17, v13
	s_wait_alu 0xfffd
	v_add_co_ci_u32_e64 v14, null, v18, v14, vcc_lo
; %bb.117:
	s_wait_alu 0xfffe
	s_and_not1_saveexec_b32 s0, s0
; %bb.118:
	v_add_co_u32 v13, vcc_lo, v15, v35
	s_wait_alu 0xfffd
	v_add_co_ci_u32_e64 v14, null, 0, v16, vcc_lo
; %bb.119:
	s_wait_alu 0xfffe
	s_or_b32 exec_lo, exec_lo, s0
	s_delay_alu instid0(VALU_DEP_1) | instskip(SKIP_1) | instid1(VALU_DEP_1)
	v_lshlrev_b64_e32 v[13:14], 2, v[13:14]
	s_mov_b32 s0, exec_lo
	v_add_co_u32 v13, vcc_lo, s10, v13
	s_wait_alu 0xfffd
	s_delay_alu instid0(VALU_DEP_2)
	v_add_co_ci_u32_e64 v14, null, s11, v14, vcc_lo
	s_wait_dscnt 0x1
	global_store_b32 v[13:14], v1, off
                                        ; implicit-def: $vgpr13_vgpr14
	v_cmpx_ge_u32_e64 v34, v19
	s_wait_alu 0xfffe
	s_xor_b32 s0, exec_lo, s0
; %bb.120:
	v_xor_b32_e32 v13, 0xfffff4ff, v0
	s_delay_alu instid0(VALU_DEP_1) | instskip(SKIP_2) | instid1(VALU_DEP_2)
	v_ashrrev_i32_e32 v14, 31, v13
	v_add_co_u32 v13, vcc_lo, v17, v13
	s_wait_alu 0xfffd
	v_add_co_ci_u32_e64 v14, null, v18, v14, vcc_lo
; %bb.121:
	s_wait_alu 0xfffe
	s_and_not1_saveexec_b32 s0, s0
; %bb.122:
	v_add_co_u32 v13, vcc_lo, v15, v34
	s_wait_alu 0xfffd
	v_add_co_ci_u32_e64 v14, null, 0, v16, vcc_lo
; %bb.123:
	s_wait_alu 0xfffe
	s_or_b32 exec_lo, exec_lo, s0
	s_delay_alu instid0(VALU_DEP_1) | instskip(SKIP_1) | instid1(VALU_DEP_1)
	v_lshlrev_b64_e32 v[13:14], 2, v[13:14]
	s_mov_b32 s0, exec_lo
	v_add_co_u32 v13, vcc_lo, s10, v13
	s_wait_alu 0xfffd
	s_delay_alu instid0(VALU_DEP_2)
	v_add_co_ci_u32_e64 v14, null, s11, v14, vcc_lo
	global_store_b32 v[13:14], v2, off
                                        ; implicit-def: $vgpr13_vgpr14
	v_cmpx_ge_u32_e64 v33, v19
	s_wait_alu 0xfffe
	s_xor_b32 s0, exec_lo, s0
; %bb.124:
	v_xor_b32_e32 v13, 0xfffff3ff, v0
	s_delay_alu instid0(VALU_DEP_1) | instskip(SKIP_2) | instid1(VALU_DEP_2)
	v_ashrrev_i32_e32 v14, 31, v13
	v_add_co_u32 v13, vcc_lo, v17, v13
	s_wait_alu 0xfffd
	v_add_co_ci_u32_e64 v14, null, v18, v14, vcc_lo
; %bb.125:
	s_wait_alu 0xfffe
	s_and_not1_saveexec_b32 s0, s0
; %bb.126:
	v_add_co_u32 v13, vcc_lo, v15, v33
	s_wait_alu 0xfffd
	v_add_co_ci_u32_e64 v14, null, 0, v16, vcc_lo
; %bb.127:
	s_wait_alu 0xfffe
	s_or_b32 exec_lo, exec_lo, s0
	s_mov_b32 s0, -1
.LBB287_128:
	s_wait_alu 0xfffe
	s_and_saveexec_b32 s1, s0
	s_cbranch_execz .LBB287_211
.LBB287_129:
	s_wait_dscnt 0x1
	v_lshlrev_b64_e32 v[0:1], 2, v[13:14]
	s_delay_alu instid0(VALU_DEP_1) | instskip(SKIP_1) | instid1(VALU_DEP_2)
	v_add_co_u32 v0, vcc_lo, s10, v0
	s_wait_alu 0xfffd
	v_add_co_ci_u32_e64 v1, null, s11, v1, vcc_lo
	s_wait_dscnt 0x0
	global_store_b32 v[0:1], v21, off
	s_wait_alu 0xfffe
	s_or_b32 exec_lo, exec_lo, s1
	s_and_b32 s0, s2, s9
	s_wait_alu 0xfffe
	s_and_saveexec_b32 s1, s0
	s_cbranch_execnz .LBB287_212
.LBB287_130:
	s_endpgm
.LBB287_131:
	s_mov_b32 s0, 0
                                        ; implicit-def: $vgpr13_vgpr14
	s_cbranch_execz .LBB287_128
; %bb.132:
	s_mov_b32 s15, 0
	s_wait_alu 0xfffe
	s_add_nc_u64 s[4:5], s[16:17], s[14:15]
	s_wait_alu 0xfffe
	s_sub_nc_u64 s[4:5], s[18:19], s[4:5]
	s_wait_alu 0xfffe
	v_add_co_u32 v13, s1, s4, v19
	s_wait_alu 0xf1ff
	v_add_co_ci_u32_e64 v14, null, s5, 0, s1
	s_mov_b32 s1, exec_lo
	v_add_co_u32 v17, vcc_lo, v13, v15
	s_wait_alu 0xfffd
	v_add_co_ci_u32_e64 v18, null, v14, v16, vcc_lo
	v_cmpx_gt_u32_e64 s22, v0
	s_cbranch_execz .LBB287_168
; %bb.133:
	s_mov_b32 s3, exec_lo
                                        ; implicit-def: $vgpr13_vgpr14
	v_cmpx_ge_u32_e64 v0, v19
	s_wait_alu 0xfffe
	s_xor_b32 s3, exec_lo, s3
; %bb.134:
	v_not_b32_e32 v13, v0
	s_delay_alu instid0(VALU_DEP_1) | instskip(SKIP_2) | instid1(VALU_DEP_2)
	v_ashrrev_i32_e32 v14, 31, v13
	v_add_co_u32 v13, vcc_lo, v17, v13
	s_wait_alu 0xfffd
	v_add_co_ci_u32_e64 v14, null, v18, v14, vcc_lo
; %bb.135:
	s_wait_alu 0xfffe
	s_and_not1_saveexec_b32 s3, s3
; %bb.136:
	v_add_co_u32 v13, vcc_lo, v15, v0
	s_wait_alu 0xfffd
	v_add_co_ci_u32_e64 v14, null, 0, v16, vcc_lo
; %bb.137:
	s_wait_alu 0xfffe
	s_or_b32 exec_lo, exec_lo, s3
	s_delay_alu instid0(VALU_DEP_1) | instskip(NEXT) | instid1(VALU_DEP_1)
	v_lshlrev_b64_e32 v[13:14], 2, v[13:14]
	v_add_co_u32 v13, vcc_lo, s10, v13
	s_wait_alu 0xfffd
	s_delay_alu instid0(VALU_DEP_2) | instskip(SKIP_3) | instid1(SALU_CYCLE_1)
	v_add_co_ci_u32_e64 v14, null, s11, v14, vcc_lo
	s_wait_dscnt 0x6
	global_store_b32 v[13:14], v11, off
	s_or_b32 exec_lo, exec_lo, s1
	s_mov_b32 s1, exec_lo
	v_cmpx_gt_u32_e64 s22, v44
	s_cbranch_execnz .LBB287_169
.LBB287_138:
	s_wait_alu 0xfffe
	s_or_b32 exec_lo, exec_lo, s1
	s_delay_alu instid0(SALU_CYCLE_1)
	s_mov_b32 s1, exec_lo
	v_cmpx_gt_u32_e64 s22, v43
	s_cbranch_execz .LBB287_174
.LBB287_139:
	s_mov_b32 s3, exec_lo
                                        ; implicit-def: $vgpr11_vgpr12
	v_cmpx_ge_u32_e64 v43, v19
	s_wait_alu 0xfffe
	s_xor_b32 s3, exec_lo, s3
	s_cbranch_execz .LBB287_141
; %bb.140:
	s_wait_dscnt 0x6
	v_xor_b32_e32 v11, 0xfffffdff, v0
                                        ; implicit-def: $vgpr43
	s_delay_alu instid0(VALU_DEP_1) | instskip(SKIP_2) | instid1(VALU_DEP_2)
	v_ashrrev_i32_e32 v12, 31, v11
	v_add_co_u32 v11, vcc_lo, v17, v11
	s_wait_alu 0xfffd
	v_add_co_ci_u32_e64 v12, null, v18, v12, vcc_lo
.LBB287_141:
	s_wait_alu 0xfffe
	s_and_not1_saveexec_b32 s3, s3
	s_cbranch_execz .LBB287_143
; %bb.142:
	s_wait_dscnt 0x6
	v_add_co_u32 v11, vcc_lo, v15, v43
	s_wait_alu 0xfffd
	v_add_co_ci_u32_e64 v12, null, 0, v16, vcc_lo
.LBB287_143:
	s_wait_alu 0xfffe
	s_or_b32 exec_lo, exec_lo, s3
	s_wait_dscnt 0x6
	s_delay_alu instid0(VALU_DEP_1) | instskip(NEXT) | instid1(VALU_DEP_1)
	v_lshlrev_b64_e32 v[11:12], 2, v[11:12]
	v_add_co_u32 v11, vcc_lo, s10, v11
	s_wait_alu 0xfffd
	s_delay_alu instid0(VALU_DEP_2) | instskip(SKIP_3) | instid1(SALU_CYCLE_1)
	v_add_co_ci_u32_e64 v12, null, s11, v12, vcc_lo
	s_wait_dscnt 0x5
	global_store_b32 v[11:12], v9, off
	s_or_b32 exec_lo, exec_lo, s1
	s_mov_b32 s1, exec_lo
	v_cmpx_gt_u32_e64 s22, v42
	s_cbranch_execnz .LBB287_175
.LBB287_144:
	s_wait_alu 0xfffe
	s_or_b32 exec_lo, exec_lo, s1
	s_delay_alu instid0(SALU_CYCLE_1)
	s_mov_b32 s1, exec_lo
	v_cmpx_gt_u32_e64 s22, v41
	s_cbranch_execz .LBB287_180
.LBB287_145:
	s_mov_b32 s3, exec_lo
                                        ; implicit-def: $vgpr9_vgpr10
	v_cmpx_ge_u32_e64 v41, v19
	s_wait_alu 0xfffe
	s_xor_b32 s3, exec_lo, s3
	s_cbranch_execz .LBB287_147
; %bb.146:
	s_wait_dscnt 0x5
	v_xor_b32_e32 v9, 0xfffffbff, v0
                                        ; implicit-def: $vgpr41
	s_delay_alu instid0(VALU_DEP_1) | instskip(SKIP_2) | instid1(VALU_DEP_2)
	v_ashrrev_i32_e32 v10, 31, v9
	v_add_co_u32 v9, vcc_lo, v17, v9
	s_wait_alu 0xfffd
	v_add_co_ci_u32_e64 v10, null, v18, v10, vcc_lo
.LBB287_147:
	s_wait_alu 0xfffe
	s_and_not1_saveexec_b32 s3, s3
	s_cbranch_execz .LBB287_149
; %bb.148:
	s_wait_dscnt 0x5
	v_add_co_u32 v9, vcc_lo, v15, v41
	s_wait_alu 0xfffd
	v_add_co_ci_u32_e64 v10, null, 0, v16, vcc_lo
.LBB287_149:
	s_wait_alu 0xfffe
	s_or_b32 exec_lo, exec_lo, s3
	s_wait_dscnt 0x5
	s_delay_alu instid0(VALU_DEP_1) | instskip(NEXT) | instid1(VALU_DEP_1)
	v_lshlrev_b64_e32 v[9:10], 2, v[9:10]
	v_add_co_u32 v9, vcc_lo, s10, v9
	s_wait_alu 0xfffd
	s_delay_alu instid0(VALU_DEP_2) | instskip(SKIP_3) | instid1(SALU_CYCLE_1)
	v_add_co_ci_u32_e64 v10, null, s11, v10, vcc_lo
	s_wait_dscnt 0x4
	global_store_b32 v[9:10], v7, off
	s_or_b32 exec_lo, exec_lo, s1
	s_mov_b32 s1, exec_lo
	v_cmpx_gt_u32_e64 s22, v40
	s_cbranch_execnz .LBB287_181
.LBB287_150:
	s_wait_alu 0xfffe
	s_or_b32 exec_lo, exec_lo, s1
	s_delay_alu instid0(SALU_CYCLE_1)
	s_mov_b32 s1, exec_lo
	v_cmpx_gt_u32_e64 s22, v39
	s_cbranch_execz .LBB287_186
.LBB287_151:
	s_mov_b32 s3, exec_lo
                                        ; implicit-def: $vgpr7_vgpr8
	v_cmpx_ge_u32_e64 v39, v19
	s_wait_alu 0xfffe
	s_xor_b32 s3, exec_lo, s3
	s_cbranch_execz .LBB287_153
; %bb.152:
	s_wait_dscnt 0x4
	v_xor_b32_e32 v7, 0xfffff9ff, v0
                                        ; implicit-def: $vgpr39
	s_delay_alu instid0(VALU_DEP_1) | instskip(SKIP_2) | instid1(VALU_DEP_2)
	v_ashrrev_i32_e32 v8, 31, v7
	v_add_co_u32 v7, vcc_lo, v17, v7
	s_wait_alu 0xfffd
	v_add_co_ci_u32_e64 v8, null, v18, v8, vcc_lo
.LBB287_153:
	s_wait_alu 0xfffe
	s_and_not1_saveexec_b32 s3, s3
	s_cbranch_execz .LBB287_155
; %bb.154:
	s_wait_dscnt 0x4
	v_add_co_u32 v7, vcc_lo, v15, v39
	s_wait_alu 0xfffd
	v_add_co_ci_u32_e64 v8, null, 0, v16, vcc_lo
.LBB287_155:
	s_wait_alu 0xfffe
	s_or_b32 exec_lo, exec_lo, s3
	s_wait_dscnt 0x4
	s_delay_alu instid0(VALU_DEP_1) | instskip(NEXT) | instid1(VALU_DEP_1)
	v_lshlrev_b64_e32 v[7:8], 2, v[7:8]
	v_add_co_u32 v7, vcc_lo, s10, v7
	s_wait_alu 0xfffd
	s_delay_alu instid0(VALU_DEP_2) | instskip(SKIP_3) | instid1(SALU_CYCLE_1)
	v_add_co_ci_u32_e64 v8, null, s11, v8, vcc_lo
	s_wait_dscnt 0x3
	global_store_b32 v[7:8], v5, off
	s_or_b32 exec_lo, exec_lo, s1
	s_mov_b32 s1, exec_lo
	v_cmpx_gt_u32_e64 s22, v38
	s_cbranch_execnz .LBB287_187
.LBB287_156:
	s_wait_alu 0xfffe
	s_or_b32 exec_lo, exec_lo, s1
	s_delay_alu instid0(SALU_CYCLE_1)
	s_mov_b32 s1, exec_lo
	v_cmpx_gt_u32_e64 s22, v37
	s_cbranch_execz .LBB287_192
.LBB287_157:
	s_mov_b32 s3, exec_lo
                                        ; implicit-def: $vgpr5_vgpr6
	v_cmpx_ge_u32_e64 v37, v19
	s_wait_alu 0xfffe
	s_xor_b32 s3, exec_lo, s3
	s_cbranch_execz .LBB287_159
; %bb.158:
	s_wait_dscnt 0x3
	v_xor_b32_e32 v5, 0xfffff7ff, v0
                                        ; implicit-def: $vgpr37
	s_delay_alu instid0(VALU_DEP_1) | instskip(SKIP_2) | instid1(VALU_DEP_2)
	v_ashrrev_i32_e32 v6, 31, v5
	v_add_co_u32 v5, vcc_lo, v17, v5
	s_wait_alu 0xfffd
	v_add_co_ci_u32_e64 v6, null, v18, v6, vcc_lo
.LBB287_159:
	s_wait_alu 0xfffe
	s_and_not1_saveexec_b32 s3, s3
	s_cbranch_execz .LBB287_161
; %bb.160:
	s_wait_dscnt 0x3
	v_add_co_u32 v5, vcc_lo, v15, v37
	s_wait_alu 0xfffd
	v_add_co_ci_u32_e64 v6, null, 0, v16, vcc_lo
.LBB287_161:
	s_wait_alu 0xfffe
	s_or_b32 exec_lo, exec_lo, s3
	s_wait_dscnt 0x3
	s_delay_alu instid0(VALU_DEP_1) | instskip(NEXT) | instid1(VALU_DEP_1)
	v_lshlrev_b64_e32 v[5:6], 2, v[5:6]
	v_add_co_u32 v5, vcc_lo, s10, v5
	s_wait_alu 0xfffd
	s_delay_alu instid0(VALU_DEP_2) | instskip(SKIP_3) | instid1(SALU_CYCLE_1)
	v_add_co_ci_u32_e64 v6, null, s11, v6, vcc_lo
	s_wait_dscnt 0x2
	global_store_b32 v[5:6], v3, off
	s_or_b32 exec_lo, exec_lo, s1
	s_mov_b32 s1, exec_lo
	v_cmpx_gt_u32_e64 s22, v36
	s_cbranch_execnz .LBB287_193
.LBB287_162:
	s_wait_alu 0xfffe
	s_or_b32 exec_lo, exec_lo, s1
	s_delay_alu instid0(SALU_CYCLE_1)
	s_mov_b32 s1, exec_lo
	v_cmpx_gt_u32_e64 s22, v35
	s_cbranch_execz .LBB287_198
.LBB287_163:
	s_mov_b32 s3, exec_lo
                                        ; implicit-def: $vgpr3_vgpr4
	v_cmpx_ge_u32_e64 v35, v19
	s_wait_alu 0xfffe
	s_xor_b32 s3, exec_lo, s3
	s_cbranch_execz .LBB287_165
; %bb.164:
	s_wait_dscnt 0x2
	v_xor_b32_e32 v3, 0xfffff5ff, v0
                                        ; implicit-def: $vgpr35
	s_delay_alu instid0(VALU_DEP_1) | instskip(SKIP_2) | instid1(VALU_DEP_2)
	v_ashrrev_i32_e32 v4, 31, v3
	v_add_co_u32 v3, vcc_lo, v17, v3
	s_wait_alu 0xfffd
	v_add_co_ci_u32_e64 v4, null, v18, v4, vcc_lo
.LBB287_165:
	s_wait_alu 0xfffe
	s_and_not1_saveexec_b32 s3, s3
	s_cbranch_execz .LBB287_167
; %bb.166:
	s_wait_dscnt 0x2
	v_add_co_u32 v3, vcc_lo, v15, v35
	s_wait_alu 0xfffd
	v_add_co_ci_u32_e64 v4, null, 0, v16, vcc_lo
.LBB287_167:
	s_wait_alu 0xfffe
	s_or_b32 exec_lo, exec_lo, s3
	s_wait_dscnt 0x2
	s_delay_alu instid0(VALU_DEP_1) | instskip(NEXT) | instid1(VALU_DEP_1)
	v_lshlrev_b64_e32 v[3:4], 2, v[3:4]
	v_add_co_u32 v3, vcc_lo, s10, v3
	s_wait_alu 0xfffd
	s_delay_alu instid0(VALU_DEP_2) | instskip(SKIP_3) | instid1(SALU_CYCLE_1)
	v_add_co_ci_u32_e64 v4, null, s11, v4, vcc_lo
	s_wait_dscnt 0x1
	global_store_b32 v[3:4], v1, off
	s_or_b32 exec_lo, exec_lo, s1
	s_mov_b32 s1, exec_lo
	v_cmpx_gt_u32_e64 s22, v34
	s_cbranch_execz .LBB287_204
	s_branch .LBB287_199
.LBB287_168:
	s_wait_alu 0xfffe
	s_or_b32 exec_lo, exec_lo, s1
	s_delay_alu instid0(SALU_CYCLE_1)
	s_mov_b32 s1, exec_lo
	v_cmpx_gt_u32_e64 s22, v44
	s_cbranch_execz .LBB287_138
.LBB287_169:
	s_mov_b32 s3, exec_lo
                                        ; implicit-def: $vgpr13_vgpr14
	v_cmpx_ge_u32_e64 v44, v19
	s_wait_alu 0xfffe
	s_xor_b32 s3, exec_lo, s3
	s_cbranch_execz .LBB287_171
; %bb.170:
	s_wait_dscnt 0x6
	v_xor_b32_e32 v11, 0xfffffeff, v0
                                        ; implicit-def: $vgpr44
	s_delay_alu instid0(VALU_DEP_1) | instskip(SKIP_2) | instid1(VALU_DEP_2)
	v_ashrrev_i32_e32 v14, 31, v11
	v_add_co_u32 v13, vcc_lo, v17, v11
	s_wait_alu 0xfffd
	v_add_co_ci_u32_e64 v14, null, v18, v14, vcc_lo
.LBB287_171:
	s_wait_alu 0xfffe
	s_and_not1_saveexec_b32 s3, s3
; %bb.172:
	v_add_co_u32 v13, vcc_lo, v15, v44
	s_wait_alu 0xfffd
	v_add_co_ci_u32_e64 v14, null, 0, v16, vcc_lo
; %bb.173:
	s_wait_alu 0xfffe
	s_or_b32 exec_lo, exec_lo, s3
	s_delay_alu instid0(VALU_DEP_1) | instskip(NEXT) | instid1(VALU_DEP_1)
	v_lshlrev_b64_e32 v[13:14], 2, v[13:14]
	v_add_co_u32 v13, vcc_lo, s10, v13
	s_wait_alu 0xfffd
	s_delay_alu instid0(VALU_DEP_2) | instskip(SKIP_3) | instid1(SALU_CYCLE_1)
	v_add_co_ci_u32_e64 v14, null, s11, v14, vcc_lo
	s_wait_dscnt 0x6
	global_store_b32 v[13:14], v12, off
	s_or_b32 exec_lo, exec_lo, s1
	s_mov_b32 s1, exec_lo
	v_cmpx_gt_u32_e64 s22, v43
	s_cbranch_execnz .LBB287_139
.LBB287_174:
	s_wait_alu 0xfffe
	s_or_b32 exec_lo, exec_lo, s1
	s_delay_alu instid0(SALU_CYCLE_1)
	s_mov_b32 s1, exec_lo
	v_cmpx_gt_u32_e64 s22, v42
	s_cbranch_execz .LBB287_144
.LBB287_175:
	s_mov_b32 s3, exec_lo
                                        ; implicit-def: $vgpr11_vgpr12
	v_cmpx_ge_u32_e64 v42, v19
	s_wait_alu 0xfffe
	s_xor_b32 s3, exec_lo, s3
	s_cbranch_execz .LBB287_177
; %bb.176:
	s_wait_dscnt 0x5
	v_xor_b32_e32 v9, 0xfffffcff, v0
                                        ; implicit-def: $vgpr42
	s_delay_alu instid0(VALU_DEP_1) | instskip(SKIP_2) | instid1(VALU_DEP_2)
	v_ashrrev_i32_e32 v12, 31, v9
	v_add_co_u32 v11, vcc_lo, v17, v9
	s_wait_alu 0xfffd
	v_add_co_ci_u32_e64 v12, null, v18, v12, vcc_lo
.LBB287_177:
	s_wait_alu 0xfffe
	s_and_not1_saveexec_b32 s3, s3
	s_cbranch_execz .LBB287_179
; %bb.178:
	s_wait_dscnt 0x6
	v_add_co_u32 v11, vcc_lo, v15, v42
	s_wait_alu 0xfffd
	v_add_co_ci_u32_e64 v12, null, 0, v16, vcc_lo
.LBB287_179:
	s_wait_alu 0xfffe
	s_or_b32 exec_lo, exec_lo, s3
	s_wait_dscnt 0x6
	s_delay_alu instid0(VALU_DEP_1) | instskip(NEXT) | instid1(VALU_DEP_1)
	v_lshlrev_b64_e32 v[11:12], 2, v[11:12]
	v_add_co_u32 v11, vcc_lo, s10, v11
	s_wait_alu 0xfffd
	s_delay_alu instid0(VALU_DEP_2) | instskip(SKIP_3) | instid1(SALU_CYCLE_1)
	v_add_co_ci_u32_e64 v12, null, s11, v12, vcc_lo
	s_wait_dscnt 0x5
	global_store_b32 v[11:12], v10, off
	s_or_b32 exec_lo, exec_lo, s1
	s_mov_b32 s1, exec_lo
	v_cmpx_gt_u32_e64 s22, v41
	s_cbranch_execnz .LBB287_145
.LBB287_180:
	s_wait_alu 0xfffe
	s_or_b32 exec_lo, exec_lo, s1
	s_delay_alu instid0(SALU_CYCLE_1)
	s_mov_b32 s1, exec_lo
	v_cmpx_gt_u32_e64 s22, v40
	s_cbranch_execz .LBB287_150
.LBB287_181:
	s_mov_b32 s3, exec_lo
                                        ; implicit-def: $vgpr9_vgpr10
	v_cmpx_ge_u32_e64 v40, v19
	s_wait_alu 0xfffe
	s_xor_b32 s3, exec_lo, s3
	s_cbranch_execz .LBB287_183
; %bb.182:
	s_wait_dscnt 0x4
	v_xor_b32_e32 v7, 0xfffffaff, v0
                                        ; implicit-def: $vgpr40
	s_delay_alu instid0(VALU_DEP_1) | instskip(SKIP_2) | instid1(VALU_DEP_2)
	v_ashrrev_i32_e32 v10, 31, v7
	v_add_co_u32 v9, vcc_lo, v17, v7
	s_wait_alu 0xfffd
	v_add_co_ci_u32_e64 v10, null, v18, v10, vcc_lo
.LBB287_183:
	s_wait_alu 0xfffe
	s_and_not1_saveexec_b32 s3, s3
	s_cbranch_execz .LBB287_185
; %bb.184:
	s_wait_dscnt 0x5
	v_add_co_u32 v9, vcc_lo, v15, v40
	s_wait_alu 0xfffd
	v_add_co_ci_u32_e64 v10, null, 0, v16, vcc_lo
.LBB287_185:
	s_wait_alu 0xfffe
	s_or_b32 exec_lo, exec_lo, s3
	s_wait_dscnt 0x5
	s_delay_alu instid0(VALU_DEP_1) | instskip(NEXT) | instid1(VALU_DEP_1)
	v_lshlrev_b64_e32 v[9:10], 2, v[9:10]
	v_add_co_u32 v9, vcc_lo, s10, v9
	s_wait_alu 0xfffd
	s_delay_alu instid0(VALU_DEP_2) | instskip(SKIP_3) | instid1(SALU_CYCLE_1)
	v_add_co_ci_u32_e64 v10, null, s11, v10, vcc_lo
	s_wait_dscnt 0x4
	global_store_b32 v[9:10], v8, off
	s_or_b32 exec_lo, exec_lo, s1
	s_mov_b32 s1, exec_lo
	v_cmpx_gt_u32_e64 s22, v39
	s_cbranch_execnz .LBB287_151
.LBB287_186:
	s_wait_alu 0xfffe
	s_or_b32 exec_lo, exec_lo, s1
	s_delay_alu instid0(SALU_CYCLE_1)
	s_mov_b32 s1, exec_lo
	v_cmpx_gt_u32_e64 s22, v38
	s_cbranch_execz .LBB287_156
.LBB287_187:
	s_mov_b32 s3, exec_lo
                                        ; implicit-def: $vgpr7_vgpr8
	v_cmpx_ge_u32_e64 v38, v19
	s_wait_alu 0xfffe
	s_xor_b32 s3, exec_lo, s3
	s_cbranch_execz .LBB287_189
; %bb.188:
	s_wait_dscnt 0x3
	v_xor_b32_e32 v5, 0xfffff8ff, v0
                                        ; implicit-def: $vgpr38
	s_delay_alu instid0(VALU_DEP_1) | instskip(SKIP_2) | instid1(VALU_DEP_2)
	v_ashrrev_i32_e32 v8, 31, v5
	v_add_co_u32 v7, vcc_lo, v17, v5
	s_wait_alu 0xfffd
	v_add_co_ci_u32_e64 v8, null, v18, v8, vcc_lo
.LBB287_189:
	s_wait_alu 0xfffe
	s_and_not1_saveexec_b32 s3, s3
	s_cbranch_execz .LBB287_191
; %bb.190:
	s_wait_dscnt 0x4
	v_add_co_u32 v7, vcc_lo, v15, v38
	s_wait_alu 0xfffd
	v_add_co_ci_u32_e64 v8, null, 0, v16, vcc_lo
.LBB287_191:
	s_wait_alu 0xfffe
	s_or_b32 exec_lo, exec_lo, s3
	s_wait_dscnt 0x4
	s_delay_alu instid0(VALU_DEP_1) | instskip(NEXT) | instid1(VALU_DEP_1)
	v_lshlrev_b64_e32 v[7:8], 2, v[7:8]
	v_add_co_u32 v7, vcc_lo, s10, v7
	s_wait_alu 0xfffd
	s_delay_alu instid0(VALU_DEP_2) | instskip(SKIP_3) | instid1(SALU_CYCLE_1)
	v_add_co_ci_u32_e64 v8, null, s11, v8, vcc_lo
	s_wait_dscnt 0x3
	global_store_b32 v[7:8], v6, off
	s_or_b32 exec_lo, exec_lo, s1
	s_mov_b32 s1, exec_lo
	v_cmpx_gt_u32_e64 s22, v37
	s_cbranch_execnz .LBB287_157
.LBB287_192:
	s_wait_alu 0xfffe
	s_or_b32 exec_lo, exec_lo, s1
	s_delay_alu instid0(SALU_CYCLE_1)
	s_mov_b32 s1, exec_lo
	v_cmpx_gt_u32_e64 s22, v36
	s_cbranch_execz .LBB287_162
.LBB287_193:
	s_mov_b32 s3, exec_lo
                                        ; implicit-def: $vgpr5_vgpr6
	v_cmpx_ge_u32_e64 v36, v19
	s_wait_alu 0xfffe
	s_xor_b32 s3, exec_lo, s3
	s_cbranch_execz .LBB287_195
; %bb.194:
	s_wait_dscnt 0x2
	v_xor_b32_e32 v3, 0xfffff6ff, v0
                                        ; implicit-def: $vgpr36
	s_delay_alu instid0(VALU_DEP_1) | instskip(SKIP_2) | instid1(VALU_DEP_2)
	v_ashrrev_i32_e32 v6, 31, v3
	v_add_co_u32 v5, vcc_lo, v17, v3
	s_wait_alu 0xfffd
	v_add_co_ci_u32_e64 v6, null, v18, v6, vcc_lo
.LBB287_195:
	s_wait_alu 0xfffe
	s_and_not1_saveexec_b32 s3, s3
	s_cbranch_execz .LBB287_197
; %bb.196:
	s_wait_dscnt 0x3
	v_add_co_u32 v5, vcc_lo, v15, v36
	s_wait_alu 0xfffd
	v_add_co_ci_u32_e64 v6, null, 0, v16, vcc_lo
.LBB287_197:
	s_wait_alu 0xfffe
	s_or_b32 exec_lo, exec_lo, s3
	s_wait_dscnt 0x3
	s_delay_alu instid0(VALU_DEP_1) | instskip(NEXT) | instid1(VALU_DEP_1)
	v_lshlrev_b64_e32 v[5:6], 2, v[5:6]
	v_add_co_u32 v5, vcc_lo, s10, v5
	s_wait_alu 0xfffd
	s_delay_alu instid0(VALU_DEP_2) | instskip(SKIP_3) | instid1(SALU_CYCLE_1)
	v_add_co_ci_u32_e64 v6, null, s11, v6, vcc_lo
	s_wait_dscnt 0x2
	global_store_b32 v[5:6], v4, off
	s_or_b32 exec_lo, exec_lo, s1
	s_mov_b32 s1, exec_lo
	v_cmpx_gt_u32_e64 s22, v35
	s_cbranch_execnz .LBB287_163
.LBB287_198:
	s_wait_alu 0xfffe
	s_or_b32 exec_lo, exec_lo, s1
	s_delay_alu instid0(SALU_CYCLE_1)
	s_mov_b32 s1, exec_lo
	v_cmpx_gt_u32_e64 s22, v34
	s_cbranch_execz .LBB287_204
.LBB287_199:
	s_mov_b32 s3, exec_lo
                                        ; implicit-def: $vgpr3_vgpr4
	v_cmpx_ge_u32_e64 v34, v19
	s_wait_alu 0xfffe
	s_xor_b32 s3, exec_lo, s3
	s_cbranch_execz .LBB287_201
; %bb.200:
	s_wait_dscnt 0x1
	v_xor_b32_e32 v1, 0xfffff4ff, v0
                                        ; implicit-def: $vgpr34
	s_delay_alu instid0(VALU_DEP_1) | instskip(SKIP_2) | instid1(VALU_DEP_2)
	v_ashrrev_i32_e32 v4, 31, v1
	v_add_co_u32 v3, vcc_lo, v17, v1
	s_wait_alu 0xfffd
	v_add_co_ci_u32_e64 v4, null, v18, v4, vcc_lo
.LBB287_201:
	s_wait_alu 0xfffe
	s_and_not1_saveexec_b32 s3, s3
	s_cbranch_execz .LBB287_203
; %bb.202:
	s_wait_dscnt 0x2
	v_add_co_u32 v3, vcc_lo, v15, v34
	s_wait_alu 0xfffd
	v_add_co_ci_u32_e64 v4, null, 0, v16, vcc_lo
.LBB287_203:
	s_wait_alu 0xfffe
	s_or_b32 exec_lo, exec_lo, s3
	s_wait_dscnt 0x2
	s_delay_alu instid0(VALU_DEP_1) | instskip(NEXT) | instid1(VALU_DEP_1)
	v_lshlrev_b64_e32 v[3:4], 2, v[3:4]
	v_add_co_u32 v3, vcc_lo, s10, v3
	s_wait_alu 0xfffd
	s_delay_alu instid0(VALU_DEP_2)
	v_add_co_ci_u32_e64 v4, null, s11, v4, vcc_lo
	s_wait_dscnt 0x1
	global_store_b32 v[3:4], v2, off
.LBB287_204:
	s_wait_alu 0xfffe
	s_or_b32 exec_lo, exec_lo, s1
	s_delay_alu instid0(SALU_CYCLE_1)
	s_mov_b32 s1, exec_lo
                                        ; implicit-def: $vgpr13_vgpr14
	v_cmpx_gt_u32_e64 s22, v33
	s_cbranch_execz .LBB287_210
; %bb.205:
	s_mov_b32 s3, exec_lo
                                        ; implicit-def: $vgpr13_vgpr14
	v_cmpx_ge_u32_e64 v33, v19
	s_wait_alu 0xfffe
	s_xor_b32 s3, exec_lo, s3
	s_cbranch_execz .LBB287_207
; %bb.206:
	v_xor_b32_e32 v0, 0xfffff3ff, v0
                                        ; implicit-def: $vgpr33
	s_wait_dscnt 0x1
	s_delay_alu instid0(VALU_DEP_1) | instskip(SKIP_2) | instid1(VALU_DEP_2)
	v_ashrrev_i32_e32 v1, 31, v0
	v_add_co_u32 v13, vcc_lo, v17, v0
	s_wait_alu 0xfffd
	v_add_co_ci_u32_e64 v14, null, v18, v1, vcc_lo
.LBB287_207:
	s_wait_alu 0xfffe
	s_and_not1_saveexec_b32 s3, s3
; %bb.208:
	v_add_co_u32 v13, vcc_lo, v15, v33
	s_wait_alu 0xfffd
	v_add_co_ci_u32_e64 v14, null, 0, v16, vcc_lo
; %bb.209:
	s_wait_alu 0xfffe
	s_or_b32 exec_lo, exec_lo, s3
	s_delay_alu instid0(SALU_CYCLE_1)
	s_or_b32 s0, s0, exec_lo
.LBB287_210:
	s_wait_alu 0xfffe
	s_or_b32 exec_lo, exec_lo, s1
	s_and_saveexec_b32 s1, s0
	s_cbranch_execnz .LBB287_129
.LBB287_211:
	s_wait_alu 0xfffe
	s_or_b32 exec_lo, exec_lo, s1
	s_and_b32 s0, s2, s9
	s_wait_alu 0xfffe
	s_and_saveexec_b32 s1, s0
	s_cbranch_execz .LBB287_130
.LBB287_212:
	v_add_co_u32 v0, vcc_lo, v15, v19
	s_wait_dscnt 0x1
	v_mov_b32_e32 v2, 0
	s_wait_alu 0xfffd
	v_add_co_ci_u32_e64 v1, null, 0, v16, vcc_lo
	global_store_b64 v2, v[0:1], s[12:13]
	s_endpgm
	.section	.rodata,"a",@progbits
	.p2align	6, 0x0
	.amdhsa_kernel _ZN7rocprim17ROCPRIM_400000_NS6detail17trampoline_kernelINS0_13select_configILj256ELj13ELNS0_17block_load_methodE3ELS4_3ELS4_3ELNS0_20block_scan_algorithmE0ELj4294967295EEENS1_25partition_config_selectorILNS1_17partition_subalgoE3EjNS0_10empty_typeEbEEZZNS1_14partition_implILS8_3ELb0ES6_jNS0_17counting_iteratorIjlEEPS9_SE_NS0_5tupleIJPjSE_EEENSF_IJSE_SE_EEES9_SG_JZNS1_25segmented_radix_sort_implINS0_14default_configELb1EPKaPaPKlPlN2at6native12_GLOBAL__N_18offset_tEEE10hipError_tPvRmT1_PNSt15iterator_traitsISY_E10value_typeET2_T3_PNSZ_IS14_E10value_typeET4_jRbjT5_S1A_jjP12ihipStream_tbEUljE_EEESV_SW_SX_S14_S18_S1A_T6_T7_T9_mT8_S1C_bDpT10_ENKUlT_T0_E_clISt17integral_constantIbLb0EES1O_IbLb1EEEEDaS1K_S1L_EUlS1K_E_NS1_11comp_targetILNS1_3genE10ELNS1_11target_archE1200ELNS1_3gpuE4ELNS1_3repE0EEENS1_30default_config_static_selectorELNS0_4arch9wavefront6targetE0EEEvSY_
		.amdhsa_group_segment_fixed_size 13320
		.amdhsa_private_segment_fixed_size 0
		.amdhsa_kernarg_size 152
		.amdhsa_user_sgpr_count 2
		.amdhsa_user_sgpr_dispatch_ptr 0
		.amdhsa_user_sgpr_queue_ptr 0
		.amdhsa_user_sgpr_kernarg_segment_ptr 1
		.amdhsa_user_sgpr_dispatch_id 0
		.amdhsa_user_sgpr_private_segment_size 0
		.amdhsa_wavefront_size32 1
		.amdhsa_uses_dynamic_stack 0
		.amdhsa_enable_private_segment 0
		.amdhsa_system_sgpr_workgroup_id_x 1
		.amdhsa_system_sgpr_workgroup_id_y 0
		.amdhsa_system_sgpr_workgroup_id_z 0
		.amdhsa_system_sgpr_workgroup_info 0
		.amdhsa_system_vgpr_workitem_id 0
		.amdhsa_next_free_vgpr 71
		.amdhsa_next_free_sgpr 26
		.amdhsa_reserve_vcc 1
		.amdhsa_float_round_mode_32 0
		.amdhsa_float_round_mode_16_64 0
		.amdhsa_float_denorm_mode_32 3
		.amdhsa_float_denorm_mode_16_64 3
		.amdhsa_fp16_overflow 0
		.amdhsa_workgroup_processor_mode 1
		.amdhsa_memory_ordered 1
		.amdhsa_forward_progress 1
		.amdhsa_inst_pref_size 86
		.amdhsa_round_robin_scheduling 0
		.amdhsa_exception_fp_ieee_invalid_op 0
		.amdhsa_exception_fp_denorm_src 0
		.amdhsa_exception_fp_ieee_div_zero 0
		.amdhsa_exception_fp_ieee_overflow 0
		.amdhsa_exception_fp_ieee_underflow 0
		.amdhsa_exception_fp_ieee_inexact 0
		.amdhsa_exception_int_div_zero 0
	.end_amdhsa_kernel
	.section	.text._ZN7rocprim17ROCPRIM_400000_NS6detail17trampoline_kernelINS0_13select_configILj256ELj13ELNS0_17block_load_methodE3ELS4_3ELS4_3ELNS0_20block_scan_algorithmE0ELj4294967295EEENS1_25partition_config_selectorILNS1_17partition_subalgoE3EjNS0_10empty_typeEbEEZZNS1_14partition_implILS8_3ELb0ES6_jNS0_17counting_iteratorIjlEEPS9_SE_NS0_5tupleIJPjSE_EEENSF_IJSE_SE_EEES9_SG_JZNS1_25segmented_radix_sort_implINS0_14default_configELb1EPKaPaPKlPlN2at6native12_GLOBAL__N_18offset_tEEE10hipError_tPvRmT1_PNSt15iterator_traitsISY_E10value_typeET2_T3_PNSZ_IS14_E10value_typeET4_jRbjT5_S1A_jjP12ihipStream_tbEUljE_EEESV_SW_SX_S14_S18_S1A_T6_T7_T9_mT8_S1C_bDpT10_ENKUlT_T0_E_clISt17integral_constantIbLb0EES1O_IbLb1EEEEDaS1K_S1L_EUlS1K_E_NS1_11comp_targetILNS1_3genE10ELNS1_11target_archE1200ELNS1_3gpuE4ELNS1_3repE0EEENS1_30default_config_static_selectorELNS0_4arch9wavefront6targetE0EEEvSY_,"axG",@progbits,_ZN7rocprim17ROCPRIM_400000_NS6detail17trampoline_kernelINS0_13select_configILj256ELj13ELNS0_17block_load_methodE3ELS4_3ELS4_3ELNS0_20block_scan_algorithmE0ELj4294967295EEENS1_25partition_config_selectorILNS1_17partition_subalgoE3EjNS0_10empty_typeEbEEZZNS1_14partition_implILS8_3ELb0ES6_jNS0_17counting_iteratorIjlEEPS9_SE_NS0_5tupleIJPjSE_EEENSF_IJSE_SE_EEES9_SG_JZNS1_25segmented_radix_sort_implINS0_14default_configELb1EPKaPaPKlPlN2at6native12_GLOBAL__N_18offset_tEEE10hipError_tPvRmT1_PNSt15iterator_traitsISY_E10value_typeET2_T3_PNSZ_IS14_E10value_typeET4_jRbjT5_S1A_jjP12ihipStream_tbEUljE_EEESV_SW_SX_S14_S18_S1A_T6_T7_T9_mT8_S1C_bDpT10_ENKUlT_T0_E_clISt17integral_constantIbLb0EES1O_IbLb1EEEEDaS1K_S1L_EUlS1K_E_NS1_11comp_targetILNS1_3genE10ELNS1_11target_archE1200ELNS1_3gpuE4ELNS1_3repE0EEENS1_30default_config_static_selectorELNS0_4arch9wavefront6targetE0EEEvSY_,comdat
.Lfunc_end287:
	.size	_ZN7rocprim17ROCPRIM_400000_NS6detail17trampoline_kernelINS0_13select_configILj256ELj13ELNS0_17block_load_methodE3ELS4_3ELS4_3ELNS0_20block_scan_algorithmE0ELj4294967295EEENS1_25partition_config_selectorILNS1_17partition_subalgoE3EjNS0_10empty_typeEbEEZZNS1_14partition_implILS8_3ELb0ES6_jNS0_17counting_iteratorIjlEEPS9_SE_NS0_5tupleIJPjSE_EEENSF_IJSE_SE_EEES9_SG_JZNS1_25segmented_radix_sort_implINS0_14default_configELb1EPKaPaPKlPlN2at6native12_GLOBAL__N_18offset_tEEE10hipError_tPvRmT1_PNSt15iterator_traitsISY_E10value_typeET2_T3_PNSZ_IS14_E10value_typeET4_jRbjT5_S1A_jjP12ihipStream_tbEUljE_EEESV_SW_SX_S14_S18_S1A_T6_T7_T9_mT8_S1C_bDpT10_ENKUlT_T0_E_clISt17integral_constantIbLb0EES1O_IbLb1EEEEDaS1K_S1L_EUlS1K_E_NS1_11comp_targetILNS1_3genE10ELNS1_11target_archE1200ELNS1_3gpuE4ELNS1_3repE0EEENS1_30default_config_static_selectorELNS0_4arch9wavefront6targetE0EEEvSY_, .Lfunc_end287-_ZN7rocprim17ROCPRIM_400000_NS6detail17trampoline_kernelINS0_13select_configILj256ELj13ELNS0_17block_load_methodE3ELS4_3ELS4_3ELNS0_20block_scan_algorithmE0ELj4294967295EEENS1_25partition_config_selectorILNS1_17partition_subalgoE3EjNS0_10empty_typeEbEEZZNS1_14partition_implILS8_3ELb0ES6_jNS0_17counting_iteratorIjlEEPS9_SE_NS0_5tupleIJPjSE_EEENSF_IJSE_SE_EEES9_SG_JZNS1_25segmented_radix_sort_implINS0_14default_configELb1EPKaPaPKlPlN2at6native12_GLOBAL__N_18offset_tEEE10hipError_tPvRmT1_PNSt15iterator_traitsISY_E10value_typeET2_T3_PNSZ_IS14_E10value_typeET4_jRbjT5_S1A_jjP12ihipStream_tbEUljE_EEESV_SW_SX_S14_S18_S1A_T6_T7_T9_mT8_S1C_bDpT10_ENKUlT_T0_E_clISt17integral_constantIbLb0EES1O_IbLb1EEEEDaS1K_S1L_EUlS1K_E_NS1_11comp_targetILNS1_3genE10ELNS1_11target_archE1200ELNS1_3gpuE4ELNS1_3repE0EEENS1_30default_config_static_selectorELNS0_4arch9wavefront6targetE0EEEvSY_
                                        ; -- End function
	.set _ZN7rocprim17ROCPRIM_400000_NS6detail17trampoline_kernelINS0_13select_configILj256ELj13ELNS0_17block_load_methodE3ELS4_3ELS4_3ELNS0_20block_scan_algorithmE0ELj4294967295EEENS1_25partition_config_selectorILNS1_17partition_subalgoE3EjNS0_10empty_typeEbEEZZNS1_14partition_implILS8_3ELb0ES6_jNS0_17counting_iteratorIjlEEPS9_SE_NS0_5tupleIJPjSE_EEENSF_IJSE_SE_EEES9_SG_JZNS1_25segmented_radix_sort_implINS0_14default_configELb1EPKaPaPKlPlN2at6native12_GLOBAL__N_18offset_tEEE10hipError_tPvRmT1_PNSt15iterator_traitsISY_E10value_typeET2_T3_PNSZ_IS14_E10value_typeET4_jRbjT5_S1A_jjP12ihipStream_tbEUljE_EEESV_SW_SX_S14_S18_S1A_T6_T7_T9_mT8_S1C_bDpT10_ENKUlT_T0_E_clISt17integral_constantIbLb0EES1O_IbLb1EEEEDaS1K_S1L_EUlS1K_E_NS1_11comp_targetILNS1_3genE10ELNS1_11target_archE1200ELNS1_3gpuE4ELNS1_3repE0EEENS1_30default_config_static_selectorELNS0_4arch9wavefront6targetE0EEEvSY_.num_vgpr, 71
	.set _ZN7rocprim17ROCPRIM_400000_NS6detail17trampoline_kernelINS0_13select_configILj256ELj13ELNS0_17block_load_methodE3ELS4_3ELS4_3ELNS0_20block_scan_algorithmE0ELj4294967295EEENS1_25partition_config_selectorILNS1_17partition_subalgoE3EjNS0_10empty_typeEbEEZZNS1_14partition_implILS8_3ELb0ES6_jNS0_17counting_iteratorIjlEEPS9_SE_NS0_5tupleIJPjSE_EEENSF_IJSE_SE_EEES9_SG_JZNS1_25segmented_radix_sort_implINS0_14default_configELb1EPKaPaPKlPlN2at6native12_GLOBAL__N_18offset_tEEE10hipError_tPvRmT1_PNSt15iterator_traitsISY_E10value_typeET2_T3_PNSZ_IS14_E10value_typeET4_jRbjT5_S1A_jjP12ihipStream_tbEUljE_EEESV_SW_SX_S14_S18_S1A_T6_T7_T9_mT8_S1C_bDpT10_ENKUlT_T0_E_clISt17integral_constantIbLb0EES1O_IbLb1EEEEDaS1K_S1L_EUlS1K_E_NS1_11comp_targetILNS1_3genE10ELNS1_11target_archE1200ELNS1_3gpuE4ELNS1_3repE0EEENS1_30default_config_static_selectorELNS0_4arch9wavefront6targetE0EEEvSY_.num_agpr, 0
	.set _ZN7rocprim17ROCPRIM_400000_NS6detail17trampoline_kernelINS0_13select_configILj256ELj13ELNS0_17block_load_methodE3ELS4_3ELS4_3ELNS0_20block_scan_algorithmE0ELj4294967295EEENS1_25partition_config_selectorILNS1_17partition_subalgoE3EjNS0_10empty_typeEbEEZZNS1_14partition_implILS8_3ELb0ES6_jNS0_17counting_iteratorIjlEEPS9_SE_NS0_5tupleIJPjSE_EEENSF_IJSE_SE_EEES9_SG_JZNS1_25segmented_radix_sort_implINS0_14default_configELb1EPKaPaPKlPlN2at6native12_GLOBAL__N_18offset_tEEE10hipError_tPvRmT1_PNSt15iterator_traitsISY_E10value_typeET2_T3_PNSZ_IS14_E10value_typeET4_jRbjT5_S1A_jjP12ihipStream_tbEUljE_EEESV_SW_SX_S14_S18_S1A_T6_T7_T9_mT8_S1C_bDpT10_ENKUlT_T0_E_clISt17integral_constantIbLb0EES1O_IbLb1EEEEDaS1K_S1L_EUlS1K_E_NS1_11comp_targetILNS1_3genE10ELNS1_11target_archE1200ELNS1_3gpuE4ELNS1_3repE0EEENS1_30default_config_static_selectorELNS0_4arch9wavefront6targetE0EEEvSY_.numbered_sgpr, 26
	.set _ZN7rocprim17ROCPRIM_400000_NS6detail17trampoline_kernelINS0_13select_configILj256ELj13ELNS0_17block_load_methodE3ELS4_3ELS4_3ELNS0_20block_scan_algorithmE0ELj4294967295EEENS1_25partition_config_selectorILNS1_17partition_subalgoE3EjNS0_10empty_typeEbEEZZNS1_14partition_implILS8_3ELb0ES6_jNS0_17counting_iteratorIjlEEPS9_SE_NS0_5tupleIJPjSE_EEENSF_IJSE_SE_EEES9_SG_JZNS1_25segmented_radix_sort_implINS0_14default_configELb1EPKaPaPKlPlN2at6native12_GLOBAL__N_18offset_tEEE10hipError_tPvRmT1_PNSt15iterator_traitsISY_E10value_typeET2_T3_PNSZ_IS14_E10value_typeET4_jRbjT5_S1A_jjP12ihipStream_tbEUljE_EEESV_SW_SX_S14_S18_S1A_T6_T7_T9_mT8_S1C_bDpT10_ENKUlT_T0_E_clISt17integral_constantIbLb0EES1O_IbLb1EEEEDaS1K_S1L_EUlS1K_E_NS1_11comp_targetILNS1_3genE10ELNS1_11target_archE1200ELNS1_3gpuE4ELNS1_3repE0EEENS1_30default_config_static_selectorELNS0_4arch9wavefront6targetE0EEEvSY_.num_named_barrier, 0
	.set _ZN7rocprim17ROCPRIM_400000_NS6detail17trampoline_kernelINS0_13select_configILj256ELj13ELNS0_17block_load_methodE3ELS4_3ELS4_3ELNS0_20block_scan_algorithmE0ELj4294967295EEENS1_25partition_config_selectorILNS1_17partition_subalgoE3EjNS0_10empty_typeEbEEZZNS1_14partition_implILS8_3ELb0ES6_jNS0_17counting_iteratorIjlEEPS9_SE_NS0_5tupleIJPjSE_EEENSF_IJSE_SE_EEES9_SG_JZNS1_25segmented_radix_sort_implINS0_14default_configELb1EPKaPaPKlPlN2at6native12_GLOBAL__N_18offset_tEEE10hipError_tPvRmT1_PNSt15iterator_traitsISY_E10value_typeET2_T3_PNSZ_IS14_E10value_typeET4_jRbjT5_S1A_jjP12ihipStream_tbEUljE_EEESV_SW_SX_S14_S18_S1A_T6_T7_T9_mT8_S1C_bDpT10_ENKUlT_T0_E_clISt17integral_constantIbLb0EES1O_IbLb1EEEEDaS1K_S1L_EUlS1K_E_NS1_11comp_targetILNS1_3genE10ELNS1_11target_archE1200ELNS1_3gpuE4ELNS1_3repE0EEENS1_30default_config_static_selectorELNS0_4arch9wavefront6targetE0EEEvSY_.private_seg_size, 0
	.set _ZN7rocprim17ROCPRIM_400000_NS6detail17trampoline_kernelINS0_13select_configILj256ELj13ELNS0_17block_load_methodE3ELS4_3ELS4_3ELNS0_20block_scan_algorithmE0ELj4294967295EEENS1_25partition_config_selectorILNS1_17partition_subalgoE3EjNS0_10empty_typeEbEEZZNS1_14partition_implILS8_3ELb0ES6_jNS0_17counting_iteratorIjlEEPS9_SE_NS0_5tupleIJPjSE_EEENSF_IJSE_SE_EEES9_SG_JZNS1_25segmented_radix_sort_implINS0_14default_configELb1EPKaPaPKlPlN2at6native12_GLOBAL__N_18offset_tEEE10hipError_tPvRmT1_PNSt15iterator_traitsISY_E10value_typeET2_T3_PNSZ_IS14_E10value_typeET4_jRbjT5_S1A_jjP12ihipStream_tbEUljE_EEESV_SW_SX_S14_S18_S1A_T6_T7_T9_mT8_S1C_bDpT10_ENKUlT_T0_E_clISt17integral_constantIbLb0EES1O_IbLb1EEEEDaS1K_S1L_EUlS1K_E_NS1_11comp_targetILNS1_3genE10ELNS1_11target_archE1200ELNS1_3gpuE4ELNS1_3repE0EEENS1_30default_config_static_selectorELNS0_4arch9wavefront6targetE0EEEvSY_.uses_vcc, 1
	.set _ZN7rocprim17ROCPRIM_400000_NS6detail17trampoline_kernelINS0_13select_configILj256ELj13ELNS0_17block_load_methodE3ELS4_3ELS4_3ELNS0_20block_scan_algorithmE0ELj4294967295EEENS1_25partition_config_selectorILNS1_17partition_subalgoE3EjNS0_10empty_typeEbEEZZNS1_14partition_implILS8_3ELb0ES6_jNS0_17counting_iteratorIjlEEPS9_SE_NS0_5tupleIJPjSE_EEENSF_IJSE_SE_EEES9_SG_JZNS1_25segmented_radix_sort_implINS0_14default_configELb1EPKaPaPKlPlN2at6native12_GLOBAL__N_18offset_tEEE10hipError_tPvRmT1_PNSt15iterator_traitsISY_E10value_typeET2_T3_PNSZ_IS14_E10value_typeET4_jRbjT5_S1A_jjP12ihipStream_tbEUljE_EEESV_SW_SX_S14_S18_S1A_T6_T7_T9_mT8_S1C_bDpT10_ENKUlT_T0_E_clISt17integral_constantIbLb0EES1O_IbLb1EEEEDaS1K_S1L_EUlS1K_E_NS1_11comp_targetILNS1_3genE10ELNS1_11target_archE1200ELNS1_3gpuE4ELNS1_3repE0EEENS1_30default_config_static_selectorELNS0_4arch9wavefront6targetE0EEEvSY_.uses_flat_scratch, 0
	.set _ZN7rocprim17ROCPRIM_400000_NS6detail17trampoline_kernelINS0_13select_configILj256ELj13ELNS0_17block_load_methodE3ELS4_3ELS4_3ELNS0_20block_scan_algorithmE0ELj4294967295EEENS1_25partition_config_selectorILNS1_17partition_subalgoE3EjNS0_10empty_typeEbEEZZNS1_14partition_implILS8_3ELb0ES6_jNS0_17counting_iteratorIjlEEPS9_SE_NS0_5tupleIJPjSE_EEENSF_IJSE_SE_EEES9_SG_JZNS1_25segmented_radix_sort_implINS0_14default_configELb1EPKaPaPKlPlN2at6native12_GLOBAL__N_18offset_tEEE10hipError_tPvRmT1_PNSt15iterator_traitsISY_E10value_typeET2_T3_PNSZ_IS14_E10value_typeET4_jRbjT5_S1A_jjP12ihipStream_tbEUljE_EEESV_SW_SX_S14_S18_S1A_T6_T7_T9_mT8_S1C_bDpT10_ENKUlT_T0_E_clISt17integral_constantIbLb0EES1O_IbLb1EEEEDaS1K_S1L_EUlS1K_E_NS1_11comp_targetILNS1_3genE10ELNS1_11target_archE1200ELNS1_3gpuE4ELNS1_3repE0EEENS1_30default_config_static_selectorELNS0_4arch9wavefront6targetE0EEEvSY_.has_dyn_sized_stack, 0
	.set _ZN7rocprim17ROCPRIM_400000_NS6detail17trampoline_kernelINS0_13select_configILj256ELj13ELNS0_17block_load_methodE3ELS4_3ELS4_3ELNS0_20block_scan_algorithmE0ELj4294967295EEENS1_25partition_config_selectorILNS1_17partition_subalgoE3EjNS0_10empty_typeEbEEZZNS1_14partition_implILS8_3ELb0ES6_jNS0_17counting_iteratorIjlEEPS9_SE_NS0_5tupleIJPjSE_EEENSF_IJSE_SE_EEES9_SG_JZNS1_25segmented_radix_sort_implINS0_14default_configELb1EPKaPaPKlPlN2at6native12_GLOBAL__N_18offset_tEEE10hipError_tPvRmT1_PNSt15iterator_traitsISY_E10value_typeET2_T3_PNSZ_IS14_E10value_typeET4_jRbjT5_S1A_jjP12ihipStream_tbEUljE_EEESV_SW_SX_S14_S18_S1A_T6_T7_T9_mT8_S1C_bDpT10_ENKUlT_T0_E_clISt17integral_constantIbLb0EES1O_IbLb1EEEEDaS1K_S1L_EUlS1K_E_NS1_11comp_targetILNS1_3genE10ELNS1_11target_archE1200ELNS1_3gpuE4ELNS1_3repE0EEENS1_30default_config_static_selectorELNS0_4arch9wavefront6targetE0EEEvSY_.has_recursion, 0
	.set _ZN7rocprim17ROCPRIM_400000_NS6detail17trampoline_kernelINS0_13select_configILj256ELj13ELNS0_17block_load_methodE3ELS4_3ELS4_3ELNS0_20block_scan_algorithmE0ELj4294967295EEENS1_25partition_config_selectorILNS1_17partition_subalgoE3EjNS0_10empty_typeEbEEZZNS1_14partition_implILS8_3ELb0ES6_jNS0_17counting_iteratorIjlEEPS9_SE_NS0_5tupleIJPjSE_EEENSF_IJSE_SE_EEES9_SG_JZNS1_25segmented_radix_sort_implINS0_14default_configELb1EPKaPaPKlPlN2at6native12_GLOBAL__N_18offset_tEEE10hipError_tPvRmT1_PNSt15iterator_traitsISY_E10value_typeET2_T3_PNSZ_IS14_E10value_typeET4_jRbjT5_S1A_jjP12ihipStream_tbEUljE_EEESV_SW_SX_S14_S18_S1A_T6_T7_T9_mT8_S1C_bDpT10_ENKUlT_T0_E_clISt17integral_constantIbLb0EES1O_IbLb1EEEEDaS1K_S1L_EUlS1K_E_NS1_11comp_targetILNS1_3genE10ELNS1_11target_archE1200ELNS1_3gpuE4ELNS1_3repE0EEENS1_30default_config_static_selectorELNS0_4arch9wavefront6targetE0EEEvSY_.has_indirect_call, 0
	.section	.AMDGPU.csdata,"",@progbits
; Kernel info:
; codeLenInByte = 10900
; TotalNumSgprs: 28
; NumVgprs: 71
; ScratchSize: 0
; MemoryBound: 0
; FloatMode: 240
; IeeeMode: 1
; LDSByteSize: 13320 bytes/workgroup (compile time only)
; SGPRBlocks: 0
; VGPRBlocks: 8
; NumSGPRsForWavesPerEU: 28
; NumVGPRsForWavesPerEU: 71
; Occupancy: 16
; WaveLimiterHint : 0
; COMPUTE_PGM_RSRC2:SCRATCH_EN: 0
; COMPUTE_PGM_RSRC2:USER_SGPR: 2
; COMPUTE_PGM_RSRC2:TRAP_HANDLER: 0
; COMPUTE_PGM_RSRC2:TGID_X_EN: 1
; COMPUTE_PGM_RSRC2:TGID_Y_EN: 0
; COMPUTE_PGM_RSRC2:TGID_Z_EN: 0
; COMPUTE_PGM_RSRC2:TIDIG_COMP_CNT: 0
	.section	.text._ZN7rocprim17ROCPRIM_400000_NS6detail17trampoline_kernelINS0_13select_configILj256ELj13ELNS0_17block_load_methodE3ELS4_3ELS4_3ELNS0_20block_scan_algorithmE0ELj4294967295EEENS1_25partition_config_selectorILNS1_17partition_subalgoE3EjNS0_10empty_typeEbEEZZNS1_14partition_implILS8_3ELb0ES6_jNS0_17counting_iteratorIjlEEPS9_SE_NS0_5tupleIJPjSE_EEENSF_IJSE_SE_EEES9_SG_JZNS1_25segmented_radix_sort_implINS0_14default_configELb1EPKaPaPKlPlN2at6native12_GLOBAL__N_18offset_tEEE10hipError_tPvRmT1_PNSt15iterator_traitsISY_E10value_typeET2_T3_PNSZ_IS14_E10value_typeET4_jRbjT5_S1A_jjP12ihipStream_tbEUljE_EEESV_SW_SX_S14_S18_S1A_T6_T7_T9_mT8_S1C_bDpT10_ENKUlT_T0_E_clISt17integral_constantIbLb0EES1O_IbLb1EEEEDaS1K_S1L_EUlS1K_E_NS1_11comp_targetILNS1_3genE9ELNS1_11target_archE1100ELNS1_3gpuE3ELNS1_3repE0EEENS1_30default_config_static_selectorELNS0_4arch9wavefront6targetE0EEEvSY_,"axG",@progbits,_ZN7rocprim17ROCPRIM_400000_NS6detail17trampoline_kernelINS0_13select_configILj256ELj13ELNS0_17block_load_methodE3ELS4_3ELS4_3ELNS0_20block_scan_algorithmE0ELj4294967295EEENS1_25partition_config_selectorILNS1_17partition_subalgoE3EjNS0_10empty_typeEbEEZZNS1_14partition_implILS8_3ELb0ES6_jNS0_17counting_iteratorIjlEEPS9_SE_NS0_5tupleIJPjSE_EEENSF_IJSE_SE_EEES9_SG_JZNS1_25segmented_radix_sort_implINS0_14default_configELb1EPKaPaPKlPlN2at6native12_GLOBAL__N_18offset_tEEE10hipError_tPvRmT1_PNSt15iterator_traitsISY_E10value_typeET2_T3_PNSZ_IS14_E10value_typeET4_jRbjT5_S1A_jjP12ihipStream_tbEUljE_EEESV_SW_SX_S14_S18_S1A_T6_T7_T9_mT8_S1C_bDpT10_ENKUlT_T0_E_clISt17integral_constantIbLb0EES1O_IbLb1EEEEDaS1K_S1L_EUlS1K_E_NS1_11comp_targetILNS1_3genE9ELNS1_11target_archE1100ELNS1_3gpuE3ELNS1_3repE0EEENS1_30default_config_static_selectorELNS0_4arch9wavefront6targetE0EEEvSY_,comdat
	.globl	_ZN7rocprim17ROCPRIM_400000_NS6detail17trampoline_kernelINS0_13select_configILj256ELj13ELNS0_17block_load_methodE3ELS4_3ELS4_3ELNS0_20block_scan_algorithmE0ELj4294967295EEENS1_25partition_config_selectorILNS1_17partition_subalgoE3EjNS0_10empty_typeEbEEZZNS1_14partition_implILS8_3ELb0ES6_jNS0_17counting_iteratorIjlEEPS9_SE_NS0_5tupleIJPjSE_EEENSF_IJSE_SE_EEES9_SG_JZNS1_25segmented_radix_sort_implINS0_14default_configELb1EPKaPaPKlPlN2at6native12_GLOBAL__N_18offset_tEEE10hipError_tPvRmT1_PNSt15iterator_traitsISY_E10value_typeET2_T3_PNSZ_IS14_E10value_typeET4_jRbjT5_S1A_jjP12ihipStream_tbEUljE_EEESV_SW_SX_S14_S18_S1A_T6_T7_T9_mT8_S1C_bDpT10_ENKUlT_T0_E_clISt17integral_constantIbLb0EES1O_IbLb1EEEEDaS1K_S1L_EUlS1K_E_NS1_11comp_targetILNS1_3genE9ELNS1_11target_archE1100ELNS1_3gpuE3ELNS1_3repE0EEENS1_30default_config_static_selectorELNS0_4arch9wavefront6targetE0EEEvSY_ ; -- Begin function _ZN7rocprim17ROCPRIM_400000_NS6detail17trampoline_kernelINS0_13select_configILj256ELj13ELNS0_17block_load_methodE3ELS4_3ELS4_3ELNS0_20block_scan_algorithmE0ELj4294967295EEENS1_25partition_config_selectorILNS1_17partition_subalgoE3EjNS0_10empty_typeEbEEZZNS1_14partition_implILS8_3ELb0ES6_jNS0_17counting_iteratorIjlEEPS9_SE_NS0_5tupleIJPjSE_EEENSF_IJSE_SE_EEES9_SG_JZNS1_25segmented_radix_sort_implINS0_14default_configELb1EPKaPaPKlPlN2at6native12_GLOBAL__N_18offset_tEEE10hipError_tPvRmT1_PNSt15iterator_traitsISY_E10value_typeET2_T3_PNSZ_IS14_E10value_typeET4_jRbjT5_S1A_jjP12ihipStream_tbEUljE_EEESV_SW_SX_S14_S18_S1A_T6_T7_T9_mT8_S1C_bDpT10_ENKUlT_T0_E_clISt17integral_constantIbLb0EES1O_IbLb1EEEEDaS1K_S1L_EUlS1K_E_NS1_11comp_targetILNS1_3genE9ELNS1_11target_archE1100ELNS1_3gpuE3ELNS1_3repE0EEENS1_30default_config_static_selectorELNS0_4arch9wavefront6targetE0EEEvSY_
	.p2align	8
	.type	_ZN7rocprim17ROCPRIM_400000_NS6detail17trampoline_kernelINS0_13select_configILj256ELj13ELNS0_17block_load_methodE3ELS4_3ELS4_3ELNS0_20block_scan_algorithmE0ELj4294967295EEENS1_25partition_config_selectorILNS1_17partition_subalgoE3EjNS0_10empty_typeEbEEZZNS1_14partition_implILS8_3ELb0ES6_jNS0_17counting_iteratorIjlEEPS9_SE_NS0_5tupleIJPjSE_EEENSF_IJSE_SE_EEES9_SG_JZNS1_25segmented_radix_sort_implINS0_14default_configELb1EPKaPaPKlPlN2at6native12_GLOBAL__N_18offset_tEEE10hipError_tPvRmT1_PNSt15iterator_traitsISY_E10value_typeET2_T3_PNSZ_IS14_E10value_typeET4_jRbjT5_S1A_jjP12ihipStream_tbEUljE_EEESV_SW_SX_S14_S18_S1A_T6_T7_T9_mT8_S1C_bDpT10_ENKUlT_T0_E_clISt17integral_constantIbLb0EES1O_IbLb1EEEEDaS1K_S1L_EUlS1K_E_NS1_11comp_targetILNS1_3genE9ELNS1_11target_archE1100ELNS1_3gpuE3ELNS1_3repE0EEENS1_30default_config_static_selectorELNS0_4arch9wavefront6targetE0EEEvSY_,@function
_ZN7rocprim17ROCPRIM_400000_NS6detail17trampoline_kernelINS0_13select_configILj256ELj13ELNS0_17block_load_methodE3ELS4_3ELS4_3ELNS0_20block_scan_algorithmE0ELj4294967295EEENS1_25partition_config_selectorILNS1_17partition_subalgoE3EjNS0_10empty_typeEbEEZZNS1_14partition_implILS8_3ELb0ES6_jNS0_17counting_iteratorIjlEEPS9_SE_NS0_5tupleIJPjSE_EEENSF_IJSE_SE_EEES9_SG_JZNS1_25segmented_radix_sort_implINS0_14default_configELb1EPKaPaPKlPlN2at6native12_GLOBAL__N_18offset_tEEE10hipError_tPvRmT1_PNSt15iterator_traitsISY_E10value_typeET2_T3_PNSZ_IS14_E10value_typeET4_jRbjT5_S1A_jjP12ihipStream_tbEUljE_EEESV_SW_SX_S14_S18_S1A_T6_T7_T9_mT8_S1C_bDpT10_ENKUlT_T0_E_clISt17integral_constantIbLb0EES1O_IbLb1EEEEDaS1K_S1L_EUlS1K_E_NS1_11comp_targetILNS1_3genE9ELNS1_11target_archE1100ELNS1_3gpuE3ELNS1_3repE0EEENS1_30default_config_static_selectorELNS0_4arch9wavefront6targetE0EEEvSY_: ; @_ZN7rocprim17ROCPRIM_400000_NS6detail17trampoline_kernelINS0_13select_configILj256ELj13ELNS0_17block_load_methodE3ELS4_3ELS4_3ELNS0_20block_scan_algorithmE0ELj4294967295EEENS1_25partition_config_selectorILNS1_17partition_subalgoE3EjNS0_10empty_typeEbEEZZNS1_14partition_implILS8_3ELb0ES6_jNS0_17counting_iteratorIjlEEPS9_SE_NS0_5tupleIJPjSE_EEENSF_IJSE_SE_EEES9_SG_JZNS1_25segmented_radix_sort_implINS0_14default_configELb1EPKaPaPKlPlN2at6native12_GLOBAL__N_18offset_tEEE10hipError_tPvRmT1_PNSt15iterator_traitsISY_E10value_typeET2_T3_PNSZ_IS14_E10value_typeET4_jRbjT5_S1A_jjP12ihipStream_tbEUljE_EEESV_SW_SX_S14_S18_S1A_T6_T7_T9_mT8_S1C_bDpT10_ENKUlT_T0_E_clISt17integral_constantIbLb0EES1O_IbLb1EEEEDaS1K_S1L_EUlS1K_E_NS1_11comp_targetILNS1_3genE9ELNS1_11target_archE1100ELNS1_3gpuE3ELNS1_3repE0EEENS1_30default_config_static_selectorELNS0_4arch9wavefront6targetE0EEEvSY_
; %bb.0:
	.section	.rodata,"a",@progbits
	.p2align	6, 0x0
	.amdhsa_kernel _ZN7rocprim17ROCPRIM_400000_NS6detail17trampoline_kernelINS0_13select_configILj256ELj13ELNS0_17block_load_methodE3ELS4_3ELS4_3ELNS0_20block_scan_algorithmE0ELj4294967295EEENS1_25partition_config_selectorILNS1_17partition_subalgoE3EjNS0_10empty_typeEbEEZZNS1_14partition_implILS8_3ELb0ES6_jNS0_17counting_iteratorIjlEEPS9_SE_NS0_5tupleIJPjSE_EEENSF_IJSE_SE_EEES9_SG_JZNS1_25segmented_radix_sort_implINS0_14default_configELb1EPKaPaPKlPlN2at6native12_GLOBAL__N_18offset_tEEE10hipError_tPvRmT1_PNSt15iterator_traitsISY_E10value_typeET2_T3_PNSZ_IS14_E10value_typeET4_jRbjT5_S1A_jjP12ihipStream_tbEUljE_EEESV_SW_SX_S14_S18_S1A_T6_T7_T9_mT8_S1C_bDpT10_ENKUlT_T0_E_clISt17integral_constantIbLb0EES1O_IbLb1EEEEDaS1K_S1L_EUlS1K_E_NS1_11comp_targetILNS1_3genE9ELNS1_11target_archE1100ELNS1_3gpuE3ELNS1_3repE0EEENS1_30default_config_static_selectorELNS0_4arch9wavefront6targetE0EEEvSY_
		.amdhsa_group_segment_fixed_size 0
		.amdhsa_private_segment_fixed_size 0
		.amdhsa_kernarg_size 152
		.amdhsa_user_sgpr_count 2
		.amdhsa_user_sgpr_dispatch_ptr 0
		.amdhsa_user_sgpr_queue_ptr 0
		.amdhsa_user_sgpr_kernarg_segment_ptr 1
		.amdhsa_user_sgpr_dispatch_id 0
		.amdhsa_user_sgpr_private_segment_size 0
		.amdhsa_wavefront_size32 1
		.amdhsa_uses_dynamic_stack 0
		.amdhsa_enable_private_segment 0
		.amdhsa_system_sgpr_workgroup_id_x 1
		.amdhsa_system_sgpr_workgroup_id_y 0
		.amdhsa_system_sgpr_workgroup_id_z 0
		.amdhsa_system_sgpr_workgroup_info 0
		.amdhsa_system_vgpr_workitem_id 0
		.amdhsa_next_free_vgpr 1
		.amdhsa_next_free_sgpr 1
		.amdhsa_reserve_vcc 0
		.amdhsa_float_round_mode_32 0
		.amdhsa_float_round_mode_16_64 0
		.amdhsa_float_denorm_mode_32 3
		.amdhsa_float_denorm_mode_16_64 3
		.amdhsa_fp16_overflow 0
		.amdhsa_workgroup_processor_mode 1
		.amdhsa_memory_ordered 1
		.amdhsa_forward_progress 1
		.amdhsa_inst_pref_size 0
		.amdhsa_round_robin_scheduling 0
		.amdhsa_exception_fp_ieee_invalid_op 0
		.amdhsa_exception_fp_denorm_src 0
		.amdhsa_exception_fp_ieee_div_zero 0
		.amdhsa_exception_fp_ieee_overflow 0
		.amdhsa_exception_fp_ieee_underflow 0
		.amdhsa_exception_fp_ieee_inexact 0
		.amdhsa_exception_int_div_zero 0
	.end_amdhsa_kernel
	.section	.text._ZN7rocprim17ROCPRIM_400000_NS6detail17trampoline_kernelINS0_13select_configILj256ELj13ELNS0_17block_load_methodE3ELS4_3ELS4_3ELNS0_20block_scan_algorithmE0ELj4294967295EEENS1_25partition_config_selectorILNS1_17partition_subalgoE3EjNS0_10empty_typeEbEEZZNS1_14partition_implILS8_3ELb0ES6_jNS0_17counting_iteratorIjlEEPS9_SE_NS0_5tupleIJPjSE_EEENSF_IJSE_SE_EEES9_SG_JZNS1_25segmented_radix_sort_implINS0_14default_configELb1EPKaPaPKlPlN2at6native12_GLOBAL__N_18offset_tEEE10hipError_tPvRmT1_PNSt15iterator_traitsISY_E10value_typeET2_T3_PNSZ_IS14_E10value_typeET4_jRbjT5_S1A_jjP12ihipStream_tbEUljE_EEESV_SW_SX_S14_S18_S1A_T6_T7_T9_mT8_S1C_bDpT10_ENKUlT_T0_E_clISt17integral_constantIbLb0EES1O_IbLb1EEEEDaS1K_S1L_EUlS1K_E_NS1_11comp_targetILNS1_3genE9ELNS1_11target_archE1100ELNS1_3gpuE3ELNS1_3repE0EEENS1_30default_config_static_selectorELNS0_4arch9wavefront6targetE0EEEvSY_,"axG",@progbits,_ZN7rocprim17ROCPRIM_400000_NS6detail17trampoline_kernelINS0_13select_configILj256ELj13ELNS0_17block_load_methodE3ELS4_3ELS4_3ELNS0_20block_scan_algorithmE0ELj4294967295EEENS1_25partition_config_selectorILNS1_17partition_subalgoE3EjNS0_10empty_typeEbEEZZNS1_14partition_implILS8_3ELb0ES6_jNS0_17counting_iteratorIjlEEPS9_SE_NS0_5tupleIJPjSE_EEENSF_IJSE_SE_EEES9_SG_JZNS1_25segmented_radix_sort_implINS0_14default_configELb1EPKaPaPKlPlN2at6native12_GLOBAL__N_18offset_tEEE10hipError_tPvRmT1_PNSt15iterator_traitsISY_E10value_typeET2_T3_PNSZ_IS14_E10value_typeET4_jRbjT5_S1A_jjP12ihipStream_tbEUljE_EEESV_SW_SX_S14_S18_S1A_T6_T7_T9_mT8_S1C_bDpT10_ENKUlT_T0_E_clISt17integral_constantIbLb0EES1O_IbLb1EEEEDaS1K_S1L_EUlS1K_E_NS1_11comp_targetILNS1_3genE9ELNS1_11target_archE1100ELNS1_3gpuE3ELNS1_3repE0EEENS1_30default_config_static_selectorELNS0_4arch9wavefront6targetE0EEEvSY_,comdat
.Lfunc_end288:
	.size	_ZN7rocprim17ROCPRIM_400000_NS6detail17trampoline_kernelINS0_13select_configILj256ELj13ELNS0_17block_load_methodE3ELS4_3ELS4_3ELNS0_20block_scan_algorithmE0ELj4294967295EEENS1_25partition_config_selectorILNS1_17partition_subalgoE3EjNS0_10empty_typeEbEEZZNS1_14partition_implILS8_3ELb0ES6_jNS0_17counting_iteratorIjlEEPS9_SE_NS0_5tupleIJPjSE_EEENSF_IJSE_SE_EEES9_SG_JZNS1_25segmented_radix_sort_implINS0_14default_configELb1EPKaPaPKlPlN2at6native12_GLOBAL__N_18offset_tEEE10hipError_tPvRmT1_PNSt15iterator_traitsISY_E10value_typeET2_T3_PNSZ_IS14_E10value_typeET4_jRbjT5_S1A_jjP12ihipStream_tbEUljE_EEESV_SW_SX_S14_S18_S1A_T6_T7_T9_mT8_S1C_bDpT10_ENKUlT_T0_E_clISt17integral_constantIbLb0EES1O_IbLb1EEEEDaS1K_S1L_EUlS1K_E_NS1_11comp_targetILNS1_3genE9ELNS1_11target_archE1100ELNS1_3gpuE3ELNS1_3repE0EEENS1_30default_config_static_selectorELNS0_4arch9wavefront6targetE0EEEvSY_, .Lfunc_end288-_ZN7rocprim17ROCPRIM_400000_NS6detail17trampoline_kernelINS0_13select_configILj256ELj13ELNS0_17block_load_methodE3ELS4_3ELS4_3ELNS0_20block_scan_algorithmE0ELj4294967295EEENS1_25partition_config_selectorILNS1_17partition_subalgoE3EjNS0_10empty_typeEbEEZZNS1_14partition_implILS8_3ELb0ES6_jNS0_17counting_iteratorIjlEEPS9_SE_NS0_5tupleIJPjSE_EEENSF_IJSE_SE_EEES9_SG_JZNS1_25segmented_radix_sort_implINS0_14default_configELb1EPKaPaPKlPlN2at6native12_GLOBAL__N_18offset_tEEE10hipError_tPvRmT1_PNSt15iterator_traitsISY_E10value_typeET2_T3_PNSZ_IS14_E10value_typeET4_jRbjT5_S1A_jjP12ihipStream_tbEUljE_EEESV_SW_SX_S14_S18_S1A_T6_T7_T9_mT8_S1C_bDpT10_ENKUlT_T0_E_clISt17integral_constantIbLb0EES1O_IbLb1EEEEDaS1K_S1L_EUlS1K_E_NS1_11comp_targetILNS1_3genE9ELNS1_11target_archE1100ELNS1_3gpuE3ELNS1_3repE0EEENS1_30default_config_static_selectorELNS0_4arch9wavefront6targetE0EEEvSY_
                                        ; -- End function
	.set _ZN7rocprim17ROCPRIM_400000_NS6detail17trampoline_kernelINS0_13select_configILj256ELj13ELNS0_17block_load_methodE3ELS4_3ELS4_3ELNS0_20block_scan_algorithmE0ELj4294967295EEENS1_25partition_config_selectorILNS1_17partition_subalgoE3EjNS0_10empty_typeEbEEZZNS1_14partition_implILS8_3ELb0ES6_jNS0_17counting_iteratorIjlEEPS9_SE_NS0_5tupleIJPjSE_EEENSF_IJSE_SE_EEES9_SG_JZNS1_25segmented_radix_sort_implINS0_14default_configELb1EPKaPaPKlPlN2at6native12_GLOBAL__N_18offset_tEEE10hipError_tPvRmT1_PNSt15iterator_traitsISY_E10value_typeET2_T3_PNSZ_IS14_E10value_typeET4_jRbjT5_S1A_jjP12ihipStream_tbEUljE_EEESV_SW_SX_S14_S18_S1A_T6_T7_T9_mT8_S1C_bDpT10_ENKUlT_T0_E_clISt17integral_constantIbLb0EES1O_IbLb1EEEEDaS1K_S1L_EUlS1K_E_NS1_11comp_targetILNS1_3genE9ELNS1_11target_archE1100ELNS1_3gpuE3ELNS1_3repE0EEENS1_30default_config_static_selectorELNS0_4arch9wavefront6targetE0EEEvSY_.num_vgpr, 0
	.set _ZN7rocprim17ROCPRIM_400000_NS6detail17trampoline_kernelINS0_13select_configILj256ELj13ELNS0_17block_load_methodE3ELS4_3ELS4_3ELNS0_20block_scan_algorithmE0ELj4294967295EEENS1_25partition_config_selectorILNS1_17partition_subalgoE3EjNS0_10empty_typeEbEEZZNS1_14partition_implILS8_3ELb0ES6_jNS0_17counting_iteratorIjlEEPS9_SE_NS0_5tupleIJPjSE_EEENSF_IJSE_SE_EEES9_SG_JZNS1_25segmented_radix_sort_implINS0_14default_configELb1EPKaPaPKlPlN2at6native12_GLOBAL__N_18offset_tEEE10hipError_tPvRmT1_PNSt15iterator_traitsISY_E10value_typeET2_T3_PNSZ_IS14_E10value_typeET4_jRbjT5_S1A_jjP12ihipStream_tbEUljE_EEESV_SW_SX_S14_S18_S1A_T6_T7_T9_mT8_S1C_bDpT10_ENKUlT_T0_E_clISt17integral_constantIbLb0EES1O_IbLb1EEEEDaS1K_S1L_EUlS1K_E_NS1_11comp_targetILNS1_3genE9ELNS1_11target_archE1100ELNS1_3gpuE3ELNS1_3repE0EEENS1_30default_config_static_selectorELNS0_4arch9wavefront6targetE0EEEvSY_.num_agpr, 0
	.set _ZN7rocprim17ROCPRIM_400000_NS6detail17trampoline_kernelINS0_13select_configILj256ELj13ELNS0_17block_load_methodE3ELS4_3ELS4_3ELNS0_20block_scan_algorithmE0ELj4294967295EEENS1_25partition_config_selectorILNS1_17partition_subalgoE3EjNS0_10empty_typeEbEEZZNS1_14partition_implILS8_3ELb0ES6_jNS0_17counting_iteratorIjlEEPS9_SE_NS0_5tupleIJPjSE_EEENSF_IJSE_SE_EEES9_SG_JZNS1_25segmented_radix_sort_implINS0_14default_configELb1EPKaPaPKlPlN2at6native12_GLOBAL__N_18offset_tEEE10hipError_tPvRmT1_PNSt15iterator_traitsISY_E10value_typeET2_T3_PNSZ_IS14_E10value_typeET4_jRbjT5_S1A_jjP12ihipStream_tbEUljE_EEESV_SW_SX_S14_S18_S1A_T6_T7_T9_mT8_S1C_bDpT10_ENKUlT_T0_E_clISt17integral_constantIbLb0EES1O_IbLb1EEEEDaS1K_S1L_EUlS1K_E_NS1_11comp_targetILNS1_3genE9ELNS1_11target_archE1100ELNS1_3gpuE3ELNS1_3repE0EEENS1_30default_config_static_selectorELNS0_4arch9wavefront6targetE0EEEvSY_.numbered_sgpr, 0
	.set _ZN7rocprim17ROCPRIM_400000_NS6detail17trampoline_kernelINS0_13select_configILj256ELj13ELNS0_17block_load_methodE3ELS4_3ELS4_3ELNS0_20block_scan_algorithmE0ELj4294967295EEENS1_25partition_config_selectorILNS1_17partition_subalgoE3EjNS0_10empty_typeEbEEZZNS1_14partition_implILS8_3ELb0ES6_jNS0_17counting_iteratorIjlEEPS9_SE_NS0_5tupleIJPjSE_EEENSF_IJSE_SE_EEES9_SG_JZNS1_25segmented_radix_sort_implINS0_14default_configELb1EPKaPaPKlPlN2at6native12_GLOBAL__N_18offset_tEEE10hipError_tPvRmT1_PNSt15iterator_traitsISY_E10value_typeET2_T3_PNSZ_IS14_E10value_typeET4_jRbjT5_S1A_jjP12ihipStream_tbEUljE_EEESV_SW_SX_S14_S18_S1A_T6_T7_T9_mT8_S1C_bDpT10_ENKUlT_T0_E_clISt17integral_constantIbLb0EES1O_IbLb1EEEEDaS1K_S1L_EUlS1K_E_NS1_11comp_targetILNS1_3genE9ELNS1_11target_archE1100ELNS1_3gpuE3ELNS1_3repE0EEENS1_30default_config_static_selectorELNS0_4arch9wavefront6targetE0EEEvSY_.num_named_barrier, 0
	.set _ZN7rocprim17ROCPRIM_400000_NS6detail17trampoline_kernelINS0_13select_configILj256ELj13ELNS0_17block_load_methodE3ELS4_3ELS4_3ELNS0_20block_scan_algorithmE0ELj4294967295EEENS1_25partition_config_selectorILNS1_17partition_subalgoE3EjNS0_10empty_typeEbEEZZNS1_14partition_implILS8_3ELb0ES6_jNS0_17counting_iteratorIjlEEPS9_SE_NS0_5tupleIJPjSE_EEENSF_IJSE_SE_EEES9_SG_JZNS1_25segmented_radix_sort_implINS0_14default_configELb1EPKaPaPKlPlN2at6native12_GLOBAL__N_18offset_tEEE10hipError_tPvRmT1_PNSt15iterator_traitsISY_E10value_typeET2_T3_PNSZ_IS14_E10value_typeET4_jRbjT5_S1A_jjP12ihipStream_tbEUljE_EEESV_SW_SX_S14_S18_S1A_T6_T7_T9_mT8_S1C_bDpT10_ENKUlT_T0_E_clISt17integral_constantIbLb0EES1O_IbLb1EEEEDaS1K_S1L_EUlS1K_E_NS1_11comp_targetILNS1_3genE9ELNS1_11target_archE1100ELNS1_3gpuE3ELNS1_3repE0EEENS1_30default_config_static_selectorELNS0_4arch9wavefront6targetE0EEEvSY_.private_seg_size, 0
	.set _ZN7rocprim17ROCPRIM_400000_NS6detail17trampoline_kernelINS0_13select_configILj256ELj13ELNS0_17block_load_methodE3ELS4_3ELS4_3ELNS0_20block_scan_algorithmE0ELj4294967295EEENS1_25partition_config_selectorILNS1_17partition_subalgoE3EjNS0_10empty_typeEbEEZZNS1_14partition_implILS8_3ELb0ES6_jNS0_17counting_iteratorIjlEEPS9_SE_NS0_5tupleIJPjSE_EEENSF_IJSE_SE_EEES9_SG_JZNS1_25segmented_radix_sort_implINS0_14default_configELb1EPKaPaPKlPlN2at6native12_GLOBAL__N_18offset_tEEE10hipError_tPvRmT1_PNSt15iterator_traitsISY_E10value_typeET2_T3_PNSZ_IS14_E10value_typeET4_jRbjT5_S1A_jjP12ihipStream_tbEUljE_EEESV_SW_SX_S14_S18_S1A_T6_T7_T9_mT8_S1C_bDpT10_ENKUlT_T0_E_clISt17integral_constantIbLb0EES1O_IbLb1EEEEDaS1K_S1L_EUlS1K_E_NS1_11comp_targetILNS1_3genE9ELNS1_11target_archE1100ELNS1_3gpuE3ELNS1_3repE0EEENS1_30default_config_static_selectorELNS0_4arch9wavefront6targetE0EEEvSY_.uses_vcc, 0
	.set _ZN7rocprim17ROCPRIM_400000_NS6detail17trampoline_kernelINS0_13select_configILj256ELj13ELNS0_17block_load_methodE3ELS4_3ELS4_3ELNS0_20block_scan_algorithmE0ELj4294967295EEENS1_25partition_config_selectorILNS1_17partition_subalgoE3EjNS0_10empty_typeEbEEZZNS1_14partition_implILS8_3ELb0ES6_jNS0_17counting_iteratorIjlEEPS9_SE_NS0_5tupleIJPjSE_EEENSF_IJSE_SE_EEES9_SG_JZNS1_25segmented_radix_sort_implINS0_14default_configELb1EPKaPaPKlPlN2at6native12_GLOBAL__N_18offset_tEEE10hipError_tPvRmT1_PNSt15iterator_traitsISY_E10value_typeET2_T3_PNSZ_IS14_E10value_typeET4_jRbjT5_S1A_jjP12ihipStream_tbEUljE_EEESV_SW_SX_S14_S18_S1A_T6_T7_T9_mT8_S1C_bDpT10_ENKUlT_T0_E_clISt17integral_constantIbLb0EES1O_IbLb1EEEEDaS1K_S1L_EUlS1K_E_NS1_11comp_targetILNS1_3genE9ELNS1_11target_archE1100ELNS1_3gpuE3ELNS1_3repE0EEENS1_30default_config_static_selectorELNS0_4arch9wavefront6targetE0EEEvSY_.uses_flat_scratch, 0
	.set _ZN7rocprim17ROCPRIM_400000_NS6detail17trampoline_kernelINS0_13select_configILj256ELj13ELNS0_17block_load_methodE3ELS4_3ELS4_3ELNS0_20block_scan_algorithmE0ELj4294967295EEENS1_25partition_config_selectorILNS1_17partition_subalgoE3EjNS0_10empty_typeEbEEZZNS1_14partition_implILS8_3ELb0ES6_jNS0_17counting_iteratorIjlEEPS9_SE_NS0_5tupleIJPjSE_EEENSF_IJSE_SE_EEES9_SG_JZNS1_25segmented_radix_sort_implINS0_14default_configELb1EPKaPaPKlPlN2at6native12_GLOBAL__N_18offset_tEEE10hipError_tPvRmT1_PNSt15iterator_traitsISY_E10value_typeET2_T3_PNSZ_IS14_E10value_typeET4_jRbjT5_S1A_jjP12ihipStream_tbEUljE_EEESV_SW_SX_S14_S18_S1A_T6_T7_T9_mT8_S1C_bDpT10_ENKUlT_T0_E_clISt17integral_constantIbLb0EES1O_IbLb1EEEEDaS1K_S1L_EUlS1K_E_NS1_11comp_targetILNS1_3genE9ELNS1_11target_archE1100ELNS1_3gpuE3ELNS1_3repE0EEENS1_30default_config_static_selectorELNS0_4arch9wavefront6targetE0EEEvSY_.has_dyn_sized_stack, 0
	.set _ZN7rocprim17ROCPRIM_400000_NS6detail17trampoline_kernelINS0_13select_configILj256ELj13ELNS0_17block_load_methodE3ELS4_3ELS4_3ELNS0_20block_scan_algorithmE0ELj4294967295EEENS1_25partition_config_selectorILNS1_17partition_subalgoE3EjNS0_10empty_typeEbEEZZNS1_14partition_implILS8_3ELb0ES6_jNS0_17counting_iteratorIjlEEPS9_SE_NS0_5tupleIJPjSE_EEENSF_IJSE_SE_EEES9_SG_JZNS1_25segmented_radix_sort_implINS0_14default_configELb1EPKaPaPKlPlN2at6native12_GLOBAL__N_18offset_tEEE10hipError_tPvRmT1_PNSt15iterator_traitsISY_E10value_typeET2_T3_PNSZ_IS14_E10value_typeET4_jRbjT5_S1A_jjP12ihipStream_tbEUljE_EEESV_SW_SX_S14_S18_S1A_T6_T7_T9_mT8_S1C_bDpT10_ENKUlT_T0_E_clISt17integral_constantIbLb0EES1O_IbLb1EEEEDaS1K_S1L_EUlS1K_E_NS1_11comp_targetILNS1_3genE9ELNS1_11target_archE1100ELNS1_3gpuE3ELNS1_3repE0EEENS1_30default_config_static_selectorELNS0_4arch9wavefront6targetE0EEEvSY_.has_recursion, 0
	.set _ZN7rocprim17ROCPRIM_400000_NS6detail17trampoline_kernelINS0_13select_configILj256ELj13ELNS0_17block_load_methodE3ELS4_3ELS4_3ELNS0_20block_scan_algorithmE0ELj4294967295EEENS1_25partition_config_selectorILNS1_17partition_subalgoE3EjNS0_10empty_typeEbEEZZNS1_14partition_implILS8_3ELb0ES6_jNS0_17counting_iteratorIjlEEPS9_SE_NS0_5tupleIJPjSE_EEENSF_IJSE_SE_EEES9_SG_JZNS1_25segmented_radix_sort_implINS0_14default_configELb1EPKaPaPKlPlN2at6native12_GLOBAL__N_18offset_tEEE10hipError_tPvRmT1_PNSt15iterator_traitsISY_E10value_typeET2_T3_PNSZ_IS14_E10value_typeET4_jRbjT5_S1A_jjP12ihipStream_tbEUljE_EEESV_SW_SX_S14_S18_S1A_T6_T7_T9_mT8_S1C_bDpT10_ENKUlT_T0_E_clISt17integral_constantIbLb0EES1O_IbLb1EEEEDaS1K_S1L_EUlS1K_E_NS1_11comp_targetILNS1_3genE9ELNS1_11target_archE1100ELNS1_3gpuE3ELNS1_3repE0EEENS1_30default_config_static_selectorELNS0_4arch9wavefront6targetE0EEEvSY_.has_indirect_call, 0
	.section	.AMDGPU.csdata,"",@progbits
; Kernel info:
; codeLenInByte = 0
; TotalNumSgprs: 0
; NumVgprs: 0
; ScratchSize: 0
; MemoryBound: 0
; FloatMode: 240
; IeeeMode: 1
; LDSByteSize: 0 bytes/workgroup (compile time only)
; SGPRBlocks: 0
; VGPRBlocks: 0
; NumSGPRsForWavesPerEU: 1
; NumVGPRsForWavesPerEU: 1
; Occupancy: 16
; WaveLimiterHint : 0
; COMPUTE_PGM_RSRC2:SCRATCH_EN: 0
; COMPUTE_PGM_RSRC2:USER_SGPR: 2
; COMPUTE_PGM_RSRC2:TRAP_HANDLER: 0
; COMPUTE_PGM_RSRC2:TGID_X_EN: 1
; COMPUTE_PGM_RSRC2:TGID_Y_EN: 0
; COMPUTE_PGM_RSRC2:TGID_Z_EN: 0
; COMPUTE_PGM_RSRC2:TIDIG_COMP_CNT: 0
	.section	.text._ZN7rocprim17ROCPRIM_400000_NS6detail17trampoline_kernelINS0_13select_configILj256ELj13ELNS0_17block_load_methodE3ELS4_3ELS4_3ELNS0_20block_scan_algorithmE0ELj4294967295EEENS1_25partition_config_selectorILNS1_17partition_subalgoE3EjNS0_10empty_typeEbEEZZNS1_14partition_implILS8_3ELb0ES6_jNS0_17counting_iteratorIjlEEPS9_SE_NS0_5tupleIJPjSE_EEENSF_IJSE_SE_EEES9_SG_JZNS1_25segmented_radix_sort_implINS0_14default_configELb1EPKaPaPKlPlN2at6native12_GLOBAL__N_18offset_tEEE10hipError_tPvRmT1_PNSt15iterator_traitsISY_E10value_typeET2_T3_PNSZ_IS14_E10value_typeET4_jRbjT5_S1A_jjP12ihipStream_tbEUljE_EEESV_SW_SX_S14_S18_S1A_T6_T7_T9_mT8_S1C_bDpT10_ENKUlT_T0_E_clISt17integral_constantIbLb0EES1O_IbLb1EEEEDaS1K_S1L_EUlS1K_E_NS1_11comp_targetILNS1_3genE8ELNS1_11target_archE1030ELNS1_3gpuE2ELNS1_3repE0EEENS1_30default_config_static_selectorELNS0_4arch9wavefront6targetE0EEEvSY_,"axG",@progbits,_ZN7rocprim17ROCPRIM_400000_NS6detail17trampoline_kernelINS0_13select_configILj256ELj13ELNS0_17block_load_methodE3ELS4_3ELS4_3ELNS0_20block_scan_algorithmE0ELj4294967295EEENS1_25partition_config_selectorILNS1_17partition_subalgoE3EjNS0_10empty_typeEbEEZZNS1_14partition_implILS8_3ELb0ES6_jNS0_17counting_iteratorIjlEEPS9_SE_NS0_5tupleIJPjSE_EEENSF_IJSE_SE_EEES9_SG_JZNS1_25segmented_radix_sort_implINS0_14default_configELb1EPKaPaPKlPlN2at6native12_GLOBAL__N_18offset_tEEE10hipError_tPvRmT1_PNSt15iterator_traitsISY_E10value_typeET2_T3_PNSZ_IS14_E10value_typeET4_jRbjT5_S1A_jjP12ihipStream_tbEUljE_EEESV_SW_SX_S14_S18_S1A_T6_T7_T9_mT8_S1C_bDpT10_ENKUlT_T0_E_clISt17integral_constantIbLb0EES1O_IbLb1EEEEDaS1K_S1L_EUlS1K_E_NS1_11comp_targetILNS1_3genE8ELNS1_11target_archE1030ELNS1_3gpuE2ELNS1_3repE0EEENS1_30default_config_static_selectorELNS0_4arch9wavefront6targetE0EEEvSY_,comdat
	.globl	_ZN7rocprim17ROCPRIM_400000_NS6detail17trampoline_kernelINS0_13select_configILj256ELj13ELNS0_17block_load_methodE3ELS4_3ELS4_3ELNS0_20block_scan_algorithmE0ELj4294967295EEENS1_25partition_config_selectorILNS1_17partition_subalgoE3EjNS0_10empty_typeEbEEZZNS1_14partition_implILS8_3ELb0ES6_jNS0_17counting_iteratorIjlEEPS9_SE_NS0_5tupleIJPjSE_EEENSF_IJSE_SE_EEES9_SG_JZNS1_25segmented_radix_sort_implINS0_14default_configELb1EPKaPaPKlPlN2at6native12_GLOBAL__N_18offset_tEEE10hipError_tPvRmT1_PNSt15iterator_traitsISY_E10value_typeET2_T3_PNSZ_IS14_E10value_typeET4_jRbjT5_S1A_jjP12ihipStream_tbEUljE_EEESV_SW_SX_S14_S18_S1A_T6_T7_T9_mT8_S1C_bDpT10_ENKUlT_T0_E_clISt17integral_constantIbLb0EES1O_IbLb1EEEEDaS1K_S1L_EUlS1K_E_NS1_11comp_targetILNS1_3genE8ELNS1_11target_archE1030ELNS1_3gpuE2ELNS1_3repE0EEENS1_30default_config_static_selectorELNS0_4arch9wavefront6targetE0EEEvSY_ ; -- Begin function _ZN7rocprim17ROCPRIM_400000_NS6detail17trampoline_kernelINS0_13select_configILj256ELj13ELNS0_17block_load_methodE3ELS4_3ELS4_3ELNS0_20block_scan_algorithmE0ELj4294967295EEENS1_25partition_config_selectorILNS1_17partition_subalgoE3EjNS0_10empty_typeEbEEZZNS1_14partition_implILS8_3ELb0ES6_jNS0_17counting_iteratorIjlEEPS9_SE_NS0_5tupleIJPjSE_EEENSF_IJSE_SE_EEES9_SG_JZNS1_25segmented_radix_sort_implINS0_14default_configELb1EPKaPaPKlPlN2at6native12_GLOBAL__N_18offset_tEEE10hipError_tPvRmT1_PNSt15iterator_traitsISY_E10value_typeET2_T3_PNSZ_IS14_E10value_typeET4_jRbjT5_S1A_jjP12ihipStream_tbEUljE_EEESV_SW_SX_S14_S18_S1A_T6_T7_T9_mT8_S1C_bDpT10_ENKUlT_T0_E_clISt17integral_constantIbLb0EES1O_IbLb1EEEEDaS1K_S1L_EUlS1K_E_NS1_11comp_targetILNS1_3genE8ELNS1_11target_archE1030ELNS1_3gpuE2ELNS1_3repE0EEENS1_30default_config_static_selectorELNS0_4arch9wavefront6targetE0EEEvSY_
	.p2align	8
	.type	_ZN7rocprim17ROCPRIM_400000_NS6detail17trampoline_kernelINS0_13select_configILj256ELj13ELNS0_17block_load_methodE3ELS4_3ELS4_3ELNS0_20block_scan_algorithmE0ELj4294967295EEENS1_25partition_config_selectorILNS1_17partition_subalgoE3EjNS0_10empty_typeEbEEZZNS1_14partition_implILS8_3ELb0ES6_jNS0_17counting_iteratorIjlEEPS9_SE_NS0_5tupleIJPjSE_EEENSF_IJSE_SE_EEES9_SG_JZNS1_25segmented_radix_sort_implINS0_14default_configELb1EPKaPaPKlPlN2at6native12_GLOBAL__N_18offset_tEEE10hipError_tPvRmT1_PNSt15iterator_traitsISY_E10value_typeET2_T3_PNSZ_IS14_E10value_typeET4_jRbjT5_S1A_jjP12ihipStream_tbEUljE_EEESV_SW_SX_S14_S18_S1A_T6_T7_T9_mT8_S1C_bDpT10_ENKUlT_T0_E_clISt17integral_constantIbLb0EES1O_IbLb1EEEEDaS1K_S1L_EUlS1K_E_NS1_11comp_targetILNS1_3genE8ELNS1_11target_archE1030ELNS1_3gpuE2ELNS1_3repE0EEENS1_30default_config_static_selectorELNS0_4arch9wavefront6targetE0EEEvSY_,@function
_ZN7rocprim17ROCPRIM_400000_NS6detail17trampoline_kernelINS0_13select_configILj256ELj13ELNS0_17block_load_methodE3ELS4_3ELS4_3ELNS0_20block_scan_algorithmE0ELj4294967295EEENS1_25partition_config_selectorILNS1_17partition_subalgoE3EjNS0_10empty_typeEbEEZZNS1_14partition_implILS8_3ELb0ES6_jNS0_17counting_iteratorIjlEEPS9_SE_NS0_5tupleIJPjSE_EEENSF_IJSE_SE_EEES9_SG_JZNS1_25segmented_radix_sort_implINS0_14default_configELb1EPKaPaPKlPlN2at6native12_GLOBAL__N_18offset_tEEE10hipError_tPvRmT1_PNSt15iterator_traitsISY_E10value_typeET2_T3_PNSZ_IS14_E10value_typeET4_jRbjT5_S1A_jjP12ihipStream_tbEUljE_EEESV_SW_SX_S14_S18_S1A_T6_T7_T9_mT8_S1C_bDpT10_ENKUlT_T0_E_clISt17integral_constantIbLb0EES1O_IbLb1EEEEDaS1K_S1L_EUlS1K_E_NS1_11comp_targetILNS1_3genE8ELNS1_11target_archE1030ELNS1_3gpuE2ELNS1_3repE0EEENS1_30default_config_static_selectorELNS0_4arch9wavefront6targetE0EEEvSY_: ; @_ZN7rocprim17ROCPRIM_400000_NS6detail17trampoline_kernelINS0_13select_configILj256ELj13ELNS0_17block_load_methodE3ELS4_3ELS4_3ELNS0_20block_scan_algorithmE0ELj4294967295EEENS1_25partition_config_selectorILNS1_17partition_subalgoE3EjNS0_10empty_typeEbEEZZNS1_14partition_implILS8_3ELb0ES6_jNS0_17counting_iteratorIjlEEPS9_SE_NS0_5tupleIJPjSE_EEENSF_IJSE_SE_EEES9_SG_JZNS1_25segmented_radix_sort_implINS0_14default_configELb1EPKaPaPKlPlN2at6native12_GLOBAL__N_18offset_tEEE10hipError_tPvRmT1_PNSt15iterator_traitsISY_E10value_typeET2_T3_PNSZ_IS14_E10value_typeET4_jRbjT5_S1A_jjP12ihipStream_tbEUljE_EEESV_SW_SX_S14_S18_S1A_T6_T7_T9_mT8_S1C_bDpT10_ENKUlT_T0_E_clISt17integral_constantIbLb0EES1O_IbLb1EEEEDaS1K_S1L_EUlS1K_E_NS1_11comp_targetILNS1_3genE8ELNS1_11target_archE1030ELNS1_3gpuE2ELNS1_3repE0EEENS1_30default_config_static_selectorELNS0_4arch9wavefront6targetE0EEEvSY_
; %bb.0:
	.section	.rodata,"a",@progbits
	.p2align	6, 0x0
	.amdhsa_kernel _ZN7rocprim17ROCPRIM_400000_NS6detail17trampoline_kernelINS0_13select_configILj256ELj13ELNS0_17block_load_methodE3ELS4_3ELS4_3ELNS0_20block_scan_algorithmE0ELj4294967295EEENS1_25partition_config_selectorILNS1_17partition_subalgoE3EjNS0_10empty_typeEbEEZZNS1_14partition_implILS8_3ELb0ES6_jNS0_17counting_iteratorIjlEEPS9_SE_NS0_5tupleIJPjSE_EEENSF_IJSE_SE_EEES9_SG_JZNS1_25segmented_radix_sort_implINS0_14default_configELb1EPKaPaPKlPlN2at6native12_GLOBAL__N_18offset_tEEE10hipError_tPvRmT1_PNSt15iterator_traitsISY_E10value_typeET2_T3_PNSZ_IS14_E10value_typeET4_jRbjT5_S1A_jjP12ihipStream_tbEUljE_EEESV_SW_SX_S14_S18_S1A_T6_T7_T9_mT8_S1C_bDpT10_ENKUlT_T0_E_clISt17integral_constantIbLb0EES1O_IbLb1EEEEDaS1K_S1L_EUlS1K_E_NS1_11comp_targetILNS1_3genE8ELNS1_11target_archE1030ELNS1_3gpuE2ELNS1_3repE0EEENS1_30default_config_static_selectorELNS0_4arch9wavefront6targetE0EEEvSY_
		.amdhsa_group_segment_fixed_size 0
		.amdhsa_private_segment_fixed_size 0
		.amdhsa_kernarg_size 152
		.amdhsa_user_sgpr_count 2
		.amdhsa_user_sgpr_dispatch_ptr 0
		.amdhsa_user_sgpr_queue_ptr 0
		.amdhsa_user_sgpr_kernarg_segment_ptr 1
		.amdhsa_user_sgpr_dispatch_id 0
		.amdhsa_user_sgpr_private_segment_size 0
		.amdhsa_wavefront_size32 1
		.amdhsa_uses_dynamic_stack 0
		.amdhsa_enable_private_segment 0
		.amdhsa_system_sgpr_workgroup_id_x 1
		.amdhsa_system_sgpr_workgroup_id_y 0
		.amdhsa_system_sgpr_workgroup_id_z 0
		.amdhsa_system_sgpr_workgroup_info 0
		.amdhsa_system_vgpr_workitem_id 0
		.amdhsa_next_free_vgpr 1
		.amdhsa_next_free_sgpr 1
		.amdhsa_reserve_vcc 0
		.amdhsa_float_round_mode_32 0
		.amdhsa_float_round_mode_16_64 0
		.amdhsa_float_denorm_mode_32 3
		.amdhsa_float_denorm_mode_16_64 3
		.amdhsa_fp16_overflow 0
		.amdhsa_workgroup_processor_mode 1
		.amdhsa_memory_ordered 1
		.amdhsa_forward_progress 1
		.amdhsa_inst_pref_size 0
		.amdhsa_round_robin_scheduling 0
		.amdhsa_exception_fp_ieee_invalid_op 0
		.amdhsa_exception_fp_denorm_src 0
		.amdhsa_exception_fp_ieee_div_zero 0
		.amdhsa_exception_fp_ieee_overflow 0
		.amdhsa_exception_fp_ieee_underflow 0
		.amdhsa_exception_fp_ieee_inexact 0
		.amdhsa_exception_int_div_zero 0
	.end_amdhsa_kernel
	.section	.text._ZN7rocprim17ROCPRIM_400000_NS6detail17trampoline_kernelINS0_13select_configILj256ELj13ELNS0_17block_load_methodE3ELS4_3ELS4_3ELNS0_20block_scan_algorithmE0ELj4294967295EEENS1_25partition_config_selectorILNS1_17partition_subalgoE3EjNS0_10empty_typeEbEEZZNS1_14partition_implILS8_3ELb0ES6_jNS0_17counting_iteratorIjlEEPS9_SE_NS0_5tupleIJPjSE_EEENSF_IJSE_SE_EEES9_SG_JZNS1_25segmented_radix_sort_implINS0_14default_configELb1EPKaPaPKlPlN2at6native12_GLOBAL__N_18offset_tEEE10hipError_tPvRmT1_PNSt15iterator_traitsISY_E10value_typeET2_T3_PNSZ_IS14_E10value_typeET4_jRbjT5_S1A_jjP12ihipStream_tbEUljE_EEESV_SW_SX_S14_S18_S1A_T6_T7_T9_mT8_S1C_bDpT10_ENKUlT_T0_E_clISt17integral_constantIbLb0EES1O_IbLb1EEEEDaS1K_S1L_EUlS1K_E_NS1_11comp_targetILNS1_3genE8ELNS1_11target_archE1030ELNS1_3gpuE2ELNS1_3repE0EEENS1_30default_config_static_selectorELNS0_4arch9wavefront6targetE0EEEvSY_,"axG",@progbits,_ZN7rocprim17ROCPRIM_400000_NS6detail17trampoline_kernelINS0_13select_configILj256ELj13ELNS0_17block_load_methodE3ELS4_3ELS4_3ELNS0_20block_scan_algorithmE0ELj4294967295EEENS1_25partition_config_selectorILNS1_17partition_subalgoE3EjNS0_10empty_typeEbEEZZNS1_14partition_implILS8_3ELb0ES6_jNS0_17counting_iteratorIjlEEPS9_SE_NS0_5tupleIJPjSE_EEENSF_IJSE_SE_EEES9_SG_JZNS1_25segmented_radix_sort_implINS0_14default_configELb1EPKaPaPKlPlN2at6native12_GLOBAL__N_18offset_tEEE10hipError_tPvRmT1_PNSt15iterator_traitsISY_E10value_typeET2_T3_PNSZ_IS14_E10value_typeET4_jRbjT5_S1A_jjP12ihipStream_tbEUljE_EEESV_SW_SX_S14_S18_S1A_T6_T7_T9_mT8_S1C_bDpT10_ENKUlT_T0_E_clISt17integral_constantIbLb0EES1O_IbLb1EEEEDaS1K_S1L_EUlS1K_E_NS1_11comp_targetILNS1_3genE8ELNS1_11target_archE1030ELNS1_3gpuE2ELNS1_3repE0EEENS1_30default_config_static_selectorELNS0_4arch9wavefront6targetE0EEEvSY_,comdat
.Lfunc_end289:
	.size	_ZN7rocprim17ROCPRIM_400000_NS6detail17trampoline_kernelINS0_13select_configILj256ELj13ELNS0_17block_load_methodE3ELS4_3ELS4_3ELNS0_20block_scan_algorithmE0ELj4294967295EEENS1_25partition_config_selectorILNS1_17partition_subalgoE3EjNS0_10empty_typeEbEEZZNS1_14partition_implILS8_3ELb0ES6_jNS0_17counting_iteratorIjlEEPS9_SE_NS0_5tupleIJPjSE_EEENSF_IJSE_SE_EEES9_SG_JZNS1_25segmented_radix_sort_implINS0_14default_configELb1EPKaPaPKlPlN2at6native12_GLOBAL__N_18offset_tEEE10hipError_tPvRmT1_PNSt15iterator_traitsISY_E10value_typeET2_T3_PNSZ_IS14_E10value_typeET4_jRbjT5_S1A_jjP12ihipStream_tbEUljE_EEESV_SW_SX_S14_S18_S1A_T6_T7_T9_mT8_S1C_bDpT10_ENKUlT_T0_E_clISt17integral_constantIbLb0EES1O_IbLb1EEEEDaS1K_S1L_EUlS1K_E_NS1_11comp_targetILNS1_3genE8ELNS1_11target_archE1030ELNS1_3gpuE2ELNS1_3repE0EEENS1_30default_config_static_selectorELNS0_4arch9wavefront6targetE0EEEvSY_, .Lfunc_end289-_ZN7rocprim17ROCPRIM_400000_NS6detail17trampoline_kernelINS0_13select_configILj256ELj13ELNS0_17block_load_methodE3ELS4_3ELS4_3ELNS0_20block_scan_algorithmE0ELj4294967295EEENS1_25partition_config_selectorILNS1_17partition_subalgoE3EjNS0_10empty_typeEbEEZZNS1_14partition_implILS8_3ELb0ES6_jNS0_17counting_iteratorIjlEEPS9_SE_NS0_5tupleIJPjSE_EEENSF_IJSE_SE_EEES9_SG_JZNS1_25segmented_radix_sort_implINS0_14default_configELb1EPKaPaPKlPlN2at6native12_GLOBAL__N_18offset_tEEE10hipError_tPvRmT1_PNSt15iterator_traitsISY_E10value_typeET2_T3_PNSZ_IS14_E10value_typeET4_jRbjT5_S1A_jjP12ihipStream_tbEUljE_EEESV_SW_SX_S14_S18_S1A_T6_T7_T9_mT8_S1C_bDpT10_ENKUlT_T0_E_clISt17integral_constantIbLb0EES1O_IbLb1EEEEDaS1K_S1L_EUlS1K_E_NS1_11comp_targetILNS1_3genE8ELNS1_11target_archE1030ELNS1_3gpuE2ELNS1_3repE0EEENS1_30default_config_static_selectorELNS0_4arch9wavefront6targetE0EEEvSY_
                                        ; -- End function
	.set _ZN7rocprim17ROCPRIM_400000_NS6detail17trampoline_kernelINS0_13select_configILj256ELj13ELNS0_17block_load_methodE3ELS4_3ELS4_3ELNS0_20block_scan_algorithmE0ELj4294967295EEENS1_25partition_config_selectorILNS1_17partition_subalgoE3EjNS0_10empty_typeEbEEZZNS1_14partition_implILS8_3ELb0ES6_jNS0_17counting_iteratorIjlEEPS9_SE_NS0_5tupleIJPjSE_EEENSF_IJSE_SE_EEES9_SG_JZNS1_25segmented_radix_sort_implINS0_14default_configELb1EPKaPaPKlPlN2at6native12_GLOBAL__N_18offset_tEEE10hipError_tPvRmT1_PNSt15iterator_traitsISY_E10value_typeET2_T3_PNSZ_IS14_E10value_typeET4_jRbjT5_S1A_jjP12ihipStream_tbEUljE_EEESV_SW_SX_S14_S18_S1A_T6_T7_T9_mT8_S1C_bDpT10_ENKUlT_T0_E_clISt17integral_constantIbLb0EES1O_IbLb1EEEEDaS1K_S1L_EUlS1K_E_NS1_11comp_targetILNS1_3genE8ELNS1_11target_archE1030ELNS1_3gpuE2ELNS1_3repE0EEENS1_30default_config_static_selectorELNS0_4arch9wavefront6targetE0EEEvSY_.num_vgpr, 0
	.set _ZN7rocprim17ROCPRIM_400000_NS6detail17trampoline_kernelINS0_13select_configILj256ELj13ELNS0_17block_load_methodE3ELS4_3ELS4_3ELNS0_20block_scan_algorithmE0ELj4294967295EEENS1_25partition_config_selectorILNS1_17partition_subalgoE3EjNS0_10empty_typeEbEEZZNS1_14partition_implILS8_3ELb0ES6_jNS0_17counting_iteratorIjlEEPS9_SE_NS0_5tupleIJPjSE_EEENSF_IJSE_SE_EEES9_SG_JZNS1_25segmented_radix_sort_implINS0_14default_configELb1EPKaPaPKlPlN2at6native12_GLOBAL__N_18offset_tEEE10hipError_tPvRmT1_PNSt15iterator_traitsISY_E10value_typeET2_T3_PNSZ_IS14_E10value_typeET4_jRbjT5_S1A_jjP12ihipStream_tbEUljE_EEESV_SW_SX_S14_S18_S1A_T6_T7_T9_mT8_S1C_bDpT10_ENKUlT_T0_E_clISt17integral_constantIbLb0EES1O_IbLb1EEEEDaS1K_S1L_EUlS1K_E_NS1_11comp_targetILNS1_3genE8ELNS1_11target_archE1030ELNS1_3gpuE2ELNS1_3repE0EEENS1_30default_config_static_selectorELNS0_4arch9wavefront6targetE0EEEvSY_.num_agpr, 0
	.set _ZN7rocprim17ROCPRIM_400000_NS6detail17trampoline_kernelINS0_13select_configILj256ELj13ELNS0_17block_load_methodE3ELS4_3ELS4_3ELNS0_20block_scan_algorithmE0ELj4294967295EEENS1_25partition_config_selectorILNS1_17partition_subalgoE3EjNS0_10empty_typeEbEEZZNS1_14partition_implILS8_3ELb0ES6_jNS0_17counting_iteratorIjlEEPS9_SE_NS0_5tupleIJPjSE_EEENSF_IJSE_SE_EEES9_SG_JZNS1_25segmented_radix_sort_implINS0_14default_configELb1EPKaPaPKlPlN2at6native12_GLOBAL__N_18offset_tEEE10hipError_tPvRmT1_PNSt15iterator_traitsISY_E10value_typeET2_T3_PNSZ_IS14_E10value_typeET4_jRbjT5_S1A_jjP12ihipStream_tbEUljE_EEESV_SW_SX_S14_S18_S1A_T6_T7_T9_mT8_S1C_bDpT10_ENKUlT_T0_E_clISt17integral_constantIbLb0EES1O_IbLb1EEEEDaS1K_S1L_EUlS1K_E_NS1_11comp_targetILNS1_3genE8ELNS1_11target_archE1030ELNS1_3gpuE2ELNS1_3repE0EEENS1_30default_config_static_selectorELNS0_4arch9wavefront6targetE0EEEvSY_.numbered_sgpr, 0
	.set _ZN7rocprim17ROCPRIM_400000_NS6detail17trampoline_kernelINS0_13select_configILj256ELj13ELNS0_17block_load_methodE3ELS4_3ELS4_3ELNS0_20block_scan_algorithmE0ELj4294967295EEENS1_25partition_config_selectorILNS1_17partition_subalgoE3EjNS0_10empty_typeEbEEZZNS1_14partition_implILS8_3ELb0ES6_jNS0_17counting_iteratorIjlEEPS9_SE_NS0_5tupleIJPjSE_EEENSF_IJSE_SE_EEES9_SG_JZNS1_25segmented_radix_sort_implINS0_14default_configELb1EPKaPaPKlPlN2at6native12_GLOBAL__N_18offset_tEEE10hipError_tPvRmT1_PNSt15iterator_traitsISY_E10value_typeET2_T3_PNSZ_IS14_E10value_typeET4_jRbjT5_S1A_jjP12ihipStream_tbEUljE_EEESV_SW_SX_S14_S18_S1A_T6_T7_T9_mT8_S1C_bDpT10_ENKUlT_T0_E_clISt17integral_constantIbLb0EES1O_IbLb1EEEEDaS1K_S1L_EUlS1K_E_NS1_11comp_targetILNS1_3genE8ELNS1_11target_archE1030ELNS1_3gpuE2ELNS1_3repE0EEENS1_30default_config_static_selectorELNS0_4arch9wavefront6targetE0EEEvSY_.num_named_barrier, 0
	.set _ZN7rocprim17ROCPRIM_400000_NS6detail17trampoline_kernelINS0_13select_configILj256ELj13ELNS0_17block_load_methodE3ELS4_3ELS4_3ELNS0_20block_scan_algorithmE0ELj4294967295EEENS1_25partition_config_selectorILNS1_17partition_subalgoE3EjNS0_10empty_typeEbEEZZNS1_14partition_implILS8_3ELb0ES6_jNS0_17counting_iteratorIjlEEPS9_SE_NS0_5tupleIJPjSE_EEENSF_IJSE_SE_EEES9_SG_JZNS1_25segmented_radix_sort_implINS0_14default_configELb1EPKaPaPKlPlN2at6native12_GLOBAL__N_18offset_tEEE10hipError_tPvRmT1_PNSt15iterator_traitsISY_E10value_typeET2_T3_PNSZ_IS14_E10value_typeET4_jRbjT5_S1A_jjP12ihipStream_tbEUljE_EEESV_SW_SX_S14_S18_S1A_T6_T7_T9_mT8_S1C_bDpT10_ENKUlT_T0_E_clISt17integral_constantIbLb0EES1O_IbLb1EEEEDaS1K_S1L_EUlS1K_E_NS1_11comp_targetILNS1_3genE8ELNS1_11target_archE1030ELNS1_3gpuE2ELNS1_3repE0EEENS1_30default_config_static_selectorELNS0_4arch9wavefront6targetE0EEEvSY_.private_seg_size, 0
	.set _ZN7rocprim17ROCPRIM_400000_NS6detail17trampoline_kernelINS0_13select_configILj256ELj13ELNS0_17block_load_methodE3ELS4_3ELS4_3ELNS0_20block_scan_algorithmE0ELj4294967295EEENS1_25partition_config_selectorILNS1_17partition_subalgoE3EjNS0_10empty_typeEbEEZZNS1_14partition_implILS8_3ELb0ES6_jNS0_17counting_iteratorIjlEEPS9_SE_NS0_5tupleIJPjSE_EEENSF_IJSE_SE_EEES9_SG_JZNS1_25segmented_radix_sort_implINS0_14default_configELb1EPKaPaPKlPlN2at6native12_GLOBAL__N_18offset_tEEE10hipError_tPvRmT1_PNSt15iterator_traitsISY_E10value_typeET2_T3_PNSZ_IS14_E10value_typeET4_jRbjT5_S1A_jjP12ihipStream_tbEUljE_EEESV_SW_SX_S14_S18_S1A_T6_T7_T9_mT8_S1C_bDpT10_ENKUlT_T0_E_clISt17integral_constantIbLb0EES1O_IbLb1EEEEDaS1K_S1L_EUlS1K_E_NS1_11comp_targetILNS1_3genE8ELNS1_11target_archE1030ELNS1_3gpuE2ELNS1_3repE0EEENS1_30default_config_static_selectorELNS0_4arch9wavefront6targetE0EEEvSY_.uses_vcc, 0
	.set _ZN7rocprim17ROCPRIM_400000_NS6detail17trampoline_kernelINS0_13select_configILj256ELj13ELNS0_17block_load_methodE3ELS4_3ELS4_3ELNS0_20block_scan_algorithmE0ELj4294967295EEENS1_25partition_config_selectorILNS1_17partition_subalgoE3EjNS0_10empty_typeEbEEZZNS1_14partition_implILS8_3ELb0ES6_jNS0_17counting_iteratorIjlEEPS9_SE_NS0_5tupleIJPjSE_EEENSF_IJSE_SE_EEES9_SG_JZNS1_25segmented_radix_sort_implINS0_14default_configELb1EPKaPaPKlPlN2at6native12_GLOBAL__N_18offset_tEEE10hipError_tPvRmT1_PNSt15iterator_traitsISY_E10value_typeET2_T3_PNSZ_IS14_E10value_typeET4_jRbjT5_S1A_jjP12ihipStream_tbEUljE_EEESV_SW_SX_S14_S18_S1A_T6_T7_T9_mT8_S1C_bDpT10_ENKUlT_T0_E_clISt17integral_constantIbLb0EES1O_IbLb1EEEEDaS1K_S1L_EUlS1K_E_NS1_11comp_targetILNS1_3genE8ELNS1_11target_archE1030ELNS1_3gpuE2ELNS1_3repE0EEENS1_30default_config_static_selectorELNS0_4arch9wavefront6targetE0EEEvSY_.uses_flat_scratch, 0
	.set _ZN7rocprim17ROCPRIM_400000_NS6detail17trampoline_kernelINS0_13select_configILj256ELj13ELNS0_17block_load_methodE3ELS4_3ELS4_3ELNS0_20block_scan_algorithmE0ELj4294967295EEENS1_25partition_config_selectorILNS1_17partition_subalgoE3EjNS0_10empty_typeEbEEZZNS1_14partition_implILS8_3ELb0ES6_jNS0_17counting_iteratorIjlEEPS9_SE_NS0_5tupleIJPjSE_EEENSF_IJSE_SE_EEES9_SG_JZNS1_25segmented_radix_sort_implINS0_14default_configELb1EPKaPaPKlPlN2at6native12_GLOBAL__N_18offset_tEEE10hipError_tPvRmT1_PNSt15iterator_traitsISY_E10value_typeET2_T3_PNSZ_IS14_E10value_typeET4_jRbjT5_S1A_jjP12ihipStream_tbEUljE_EEESV_SW_SX_S14_S18_S1A_T6_T7_T9_mT8_S1C_bDpT10_ENKUlT_T0_E_clISt17integral_constantIbLb0EES1O_IbLb1EEEEDaS1K_S1L_EUlS1K_E_NS1_11comp_targetILNS1_3genE8ELNS1_11target_archE1030ELNS1_3gpuE2ELNS1_3repE0EEENS1_30default_config_static_selectorELNS0_4arch9wavefront6targetE0EEEvSY_.has_dyn_sized_stack, 0
	.set _ZN7rocprim17ROCPRIM_400000_NS6detail17trampoline_kernelINS0_13select_configILj256ELj13ELNS0_17block_load_methodE3ELS4_3ELS4_3ELNS0_20block_scan_algorithmE0ELj4294967295EEENS1_25partition_config_selectorILNS1_17partition_subalgoE3EjNS0_10empty_typeEbEEZZNS1_14partition_implILS8_3ELb0ES6_jNS0_17counting_iteratorIjlEEPS9_SE_NS0_5tupleIJPjSE_EEENSF_IJSE_SE_EEES9_SG_JZNS1_25segmented_radix_sort_implINS0_14default_configELb1EPKaPaPKlPlN2at6native12_GLOBAL__N_18offset_tEEE10hipError_tPvRmT1_PNSt15iterator_traitsISY_E10value_typeET2_T3_PNSZ_IS14_E10value_typeET4_jRbjT5_S1A_jjP12ihipStream_tbEUljE_EEESV_SW_SX_S14_S18_S1A_T6_T7_T9_mT8_S1C_bDpT10_ENKUlT_T0_E_clISt17integral_constantIbLb0EES1O_IbLb1EEEEDaS1K_S1L_EUlS1K_E_NS1_11comp_targetILNS1_3genE8ELNS1_11target_archE1030ELNS1_3gpuE2ELNS1_3repE0EEENS1_30default_config_static_selectorELNS0_4arch9wavefront6targetE0EEEvSY_.has_recursion, 0
	.set _ZN7rocprim17ROCPRIM_400000_NS6detail17trampoline_kernelINS0_13select_configILj256ELj13ELNS0_17block_load_methodE3ELS4_3ELS4_3ELNS0_20block_scan_algorithmE0ELj4294967295EEENS1_25partition_config_selectorILNS1_17partition_subalgoE3EjNS0_10empty_typeEbEEZZNS1_14partition_implILS8_3ELb0ES6_jNS0_17counting_iteratorIjlEEPS9_SE_NS0_5tupleIJPjSE_EEENSF_IJSE_SE_EEES9_SG_JZNS1_25segmented_radix_sort_implINS0_14default_configELb1EPKaPaPKlPlN2at6native12_GLOBAL__N_18offset_tEEE10hipError_tPvRmT1_PNSt15iterator_traitsISY_E10value_typeET2_T3_PNSZ_IS14_E10value_typeET4_jRbjT5_S1A_jjP12ihipStream_tbEUljE_EEESV_SW_SX_S14_S18_S1A_T6_T7_T9_mT8_S1C_bDpT10_ENKUlT_T0_E_clISt17integral_constantIbLb0EES1O_IbLb1EEEEDaS1K_S1L_EUlS1K_E_NS1_11comp_targetILNS1_3genE8ELNS1_11target_archE1030ELNS1_3gpuE2ELNS1_3repE0EEENS1_30default_config_static_selectorELNS0_4arch9wavefront6targetE0EEEvSY_.has_indirect_call, 0
	.section	.AMDGPU.csdata,"",@progbits
; Kernel info:
; codeLenInByte = 0
; TotalNumSgprs: 0
; NumVgprs: 0
; ScratchSize: 0
; MemoryBound: 0
; FloatMode: 240
; IeeeMode: 1
; LDSByteSize: 0 bytes/workgroup (compile time only)
; SGPRBlocks: 0
; VGPRBlocks: 0
; NumSGPRsForWavesPerEU: 1
; NumVGPRsForWavesPerEU: 1
; Occupancy: 16
; WaveLimiterHint : 0
; COMPUTE_PGM_RSRC2:SCRATCH_EN: 0
; COMPUTE_PGM_RSRC2:USER_SGPR: 2
; COMPUTE_PGM_RSRC2:TRAP_HANDLER: 0
; COMPUTE_PGM_RSRC2:TGID_X_EN: 1
; COMPUTE_PGM_RSRC2:TGID_Y_EN: 0
; COMPUTE_PGM_RSRC2:TGID_Z_EN: 0
; COMPUTE_PGM_RSRC2:TIDIG_COMP_CNT: 0
	.section	.text._ZN7rocprim17ROCPRIM_400000_NS6detail17trampoline_kernelINS0_14default_configENS1_36segmented_radix_sort_config_selectorIalEEZNS1_25segmented_radix_sort_implIS3_Lb1EPKaPaPKlPlN2at6native12_GLOBAL__N_18offset_tEEE10hipError_tPvRmT1_PNSt15iterator_traitsISK_E10value_typeET2_T3_PNSL_ISQ_E10value_typeET4_jRbjT5_SW_jjP12ihipStream_tbEUlT_E_NS1_11comp_targetILNS1_3genE0ELNS1_11target_archE4294967295ELNS1_3gpuE0ELNS1_3repE0EEENS1_30default_config_static_selectorELNS0_4arch9wavefront6targetE0EEEvSK_,"axG",@progbits,_ZN7rocprim17ROCPRIM_400000_NS6detail17trampoline_kernelINS0_14default_configENS1_36segmented_radix_sort_config_selectorIalEEZNS1_25segmented_radix_sort_implIS3_Lb1EPKaPaPKlPlN2at6native12_GLOBAL__N_18offset_tEEE10hipError_tPvRmT1_PNSt15iterator_traitsISK_E10value_typeET2_T3_PNSL_ISQ_E10value_typeET4_jRbjT5_SW_jjP12ihipStream_tbEUlT_E_NS1_11comp_targetILNS1_3genE0ELNS1_11target_archE4294967295ELNS1_3gpuE0ELNS1_3repE0EEENS1_30default_config_static_selectorELNS0_4arch9wavefront6targetE0EEEvSK_,comdat
	.globl	_ZN7rocprim17ROCPRIM_400000_NS6detail17trampoline_kernelINS0_14default_configENS1_36segmented_radix_sort_config_selectorIalEEZNS1_25segmented_radix_sort_implIS3_Lb1EPKaPaPKlPlN2at6native12_GLOBAL__N_18offset_tEEE10hipError_tPvRmT1_PNSt15iterator_traitsISK_E10value_typeET2_T3_PNSL_ISQ_E10value_typeET4_jRbjT5_SW_jjP12ihipStream_tbEUlT_E_NS1_11comp_targetILNS1_3genE0ELNS1_11target_archE4294967295ELNS1_3gpuE0ELNS1_3repE0EEENS1_30default_config_static_selectorELNS0_4arch9wavefront6targetE0EEEvSK_ ; -- Begin function _ZN7rocprim17ROCPRIM_400000_NS6detail17trampoline_kernelINS0_14default_configENS1_36segmented_radix_sort_config_selectorIalEEZNS1_25segmented_radix_sort_implIS3_Lb1EPKaPaPKlPlN2at6native12_GLOBAL__N_18offset_tEEE10hipError_tPvRmT1_PNSt15iterator_traitsISK_E10value_typeET2_T3_PNSL_ISQ_E10value_typeET4_jRbjT5_SW_jjP12ihipStream_tbEUlT_E_NS1_11comp_targetILNS1_3genE0ELNS1_11target_archE4294967295ELNS1_3gpuE0ELNS1_3repE0EEENS1_30default_config_static_selectorELNS0_4arch9wavefront6targetE0EEEvSK_
	.p2align	8
	.type	_ZN7rocprim17ROCPRIM_400000_NS6detail17trampoline_kernelINS0_14default_configENS1_36segmented_radix_sort_config_selectorIalEEZNS1_25segmented_radix_sort_implIS3_Lb1EPKaPaPKlPlN2at6native12_GLOBAL__N_18offset_tEEE10hipError_tPvRmT1_PNSt15iterator_traitsISK_E10value_typeET2_T3_PNSL_ISQ_E10value_typeET4_jRbjT5_SW_jjP12ihipStream_tbEUlT_E_NS1_11comp_targetILNS1_3genE0ELNS1_11target_archE4294967295ELNS1_3gpuE0ELNS1_3repE0EEENS1_30default_config_static_selectorELNS0_4arch9wavefront6targetE0EEEvSK_,@function
_ZN7rocprim17ROCPRIM_400000_NS6detail17trampoline_kernelINS0_14default_configENS1_36segmented_radix_sort_config_selectorIalEEZNS1_25segmented_radix_sort_implIS3_Lb1EPKaPaPKlPlN2at6native12_GLOBAL__N_18offset_tEEE10hipError_tPvRmT1_PNSt15iterator_traitsISK_E10value_typeET2_T3_PNSL_ISQ_E10value_typeET4_jRbjT5_SW_jjP12ihipStream_tbEUlT_E_NS1_11comp_targetILNS1_3genE0ELNS1_11target_archE4294967295ELNS1_3gpuE0ELNS1_3repE0EEENS1_30default_config_static_selectorELNS0_4arch9wavefront6targetE0EEEvSK_: ; @_ZN7rocprim17ROCPRIM_400000_NS6detail17trampoline_kernelINS0_14default_configENS1_36segmented_radix_sort_config_selectorIalEEZNS1_25segmented_radix_sort_implIS3_Lb1EPKaPaPKlPlN2at6native12_GLOBAL__N_18offset_tEEE10hipError_tPvRmT1_PNSt15iterator_traitsISK_E10value_typeET2_T3_PNSL_ISQ_E10value_typeET4_jRbjT5_SW_jjP12ihipStream_tbEUlT_E_NS1_11comp_targetILNS1_3genE0ELNS1_11target_archE4294967295ELNS1_3gpuE0ELNS1_3repE0EEENS1_30default_config_static_selectorELNS0_4arch9wavefront6targetE0EEEvSK_
; %bb.0:
	.section	.rodata,"a",@progbits
	.p2align	6, 0x0
	.amdhsa_kernel _ZN7rocprim17ROCPRIM_400000_NS6detail17trampoline_kernelINS0_14default_configENS1_36segmented_radix_sort_config_selectorIalEEZNS1_25segmented_radix_sort_implIS3_Lb1EPKaPaPKlPlN2at6native12_GLOBAL__N_18offset_tEEE10hipError_tPvRmT1_PNSt15iterator_traitsISK_E10value_typeET2_T3_PNSL_ISQ_E10value_typeET4_jRbjT5_SW_jjP12ihipStream_tbEUlT_E_NS1_11comp_targetILNS1_3genE0ELNS1_11target_archE4294967295ELNS1_3gpuE0ELNS1_3repE0EEENS1_30default_config_static_selectorELNS0_4arch9wavefront6targetE0EEEvSK_
		.amdhsa_group_segment_fixed_size 0
		.amdhsa_private_segment_fixed_size 0
		.amdhsa_kernarg_size 96
		.amdhsa_user_sgpr_count 2
		.amdhsa_user_sgpr_dispatch_ptr 0
		.amdhsa_user_sgpr_queue_ptr 0
		.amdhsa_user_sgpr_kernarg_segment_ptr 1
		.amdhsa_user_sgpr_dispatch_id 0
		.amdhsa_user_sgpr_private_segment_size 0
		.amdhsa_wavefront_size32 1
		.amdhsa_uses_dynamic_stack 0
		.amdhsa_enable_private_segment 0
		.amdhsa_system_sgpr_workgroup_id_x 1
		.amdhsa_system_sgpr_workgroup_id_y 0
		.amdhsa_system_sgpr_workgroup_id_z 0
		.amdhsa_system_sgpr_workgroup_info 0
		.amdhsa_system_vgpr_workitem_id 0
		.amdhsa_next_free_vgpr 1
		.amdhsa_next_free_sgpr 1
		.amdhsa_reserve_vcc 0
		.amdhsa_float_round_mode_32 0
		.amdhsa_float_round_mode_16_64 0
		.amdhsa_float_denorm_mode_32 3
		.amdhsa_float_denorm_mode_16_64 3
		.amdhsa_fp16_overflow 0
		.amdhsa_workgroup_processor_mode 1
		.amdhsa_memory_ordered 1
		.amdhsa_forward_progress 1
		.amdhsa_inst_pref_size 0
		.amdhsa_round_robin_scheduling 0
		.amdhsa_exception_fp_ieee_invalid_op 0
		.amdhsa_exception_fp_denorm_src 0
		.amdhsa_exception_fp_ieee_div_zero 0
		.amdhsa_exception_fp_ieee_overflow 0
		.amdhsa_exception_fp_ieee_underflow 0
		.amdhsa_exception_fp_ieee_inexact 0
		.amdhsa_exception_int_div_zero 0
	.end_amdhsa_kernel
	.section	.text._ZN7rocprim17ROCPRIM_400000_NS6detail17trampoline_kernelINS0_14default_configENS1_36segmented_radix_sort_config_selectorIalEEZNS1_25segmented_radix_sort_implIS3_Lb1EPKaPaPKlPlN2at6native12_GLOBAL__N_18offset_tEEE10hipError_tPvRmT1_PNSt15iterator_traitsISK_E10value_typeET2_T3_PNSL_ISQ_E10value_typeET4_jRbjT5_SW_jjP12ihipStream_tbEUlT_E_NS1_11comp_targetILNS1_3genE0ELNS1_11target_archE4294967295ELNS1_3gpuE0ELNS1_3repE0EEENS1_30default_config_static_selectorELNS0_4arch9wavefront6targetE0EEEvSK_,"axG",@progbits,_ZN7rocprim17ROCPRIM_400000_NS6detail17trampoline_kernelINS0_14default_configENS1_36segmented_radix_sort_config_selectorIalEEZNS1_25segmented_radix_sort_implIS3_Lb1EPKaPaPKlPlN2at6native12_GLOBAL__N_18offset_tEEE10hipError_tPvRmT1_PNSt15iterator_traitsISK_E10value_typeET2_T3_PNSL_ISQ_E10value_typeET4_jRbjT5_SW_jjP12ihipStream_tbEUlT_E_NS1_11comp_targetILNS1_3genE0ELNS1_11target_archE4294967295ELNS1_3gpuE0ELNS1_3repE0EEENS1_30default_config_static_selectorELNS0_4arch9wavefront6targetE0EEEvSK_,comdat
.Lfunc_end290:
	.size	_ZN7rocprim17ROCPRIM_400000_NS6detail17trampoline_kernelINS0_14default_configENS1_36segmented_radix_sort_config_selectorIalEEZNS1_25segmented_radix_sort_implIS3_Lb1EPKaPaPKlPlN2at6native12_GLOBAL__N_18offset_tEEE10hipError_tPvRmT1_PNSt15iterator_traitsISK_E10value_typeET2_T3_PNSL_ISQ_E10value_typeET4_jRbjT5_SW_jjP12ihipStream_tbEUlT_E_NS1_11comp_targetILNS1_3genE0ELNS1_11target_archE4294967295ELNS1_3gpuE0ELNS1_3repE0EEENS1_30default_config_static_selectorELNS0_4arch9wavefront6targetE0EEEvSK_, .Lfunc_end290-_ZN7rocprim17ROCPRIM_400000_NS6detail17trampoline_kernelINS0_14default_configENS1_36segmented_radix_sort_config_selectorIalEEZNS1_25segmented_radix_sort_implIS3_Lb1EPKaPaPKlPlN2at6native12_GLOBAL__N_18offset_tEEE10hipError_tPvRmT1_PNSt15iterator_traitsISK_E10value_typeET2_T3_PNSL_ISQ_E10value_typeET4_jRbjT5_SW_jjP12ihipStream_tbEUlT_E_NS1_11comp_targetILNS1_3genE0ELNS1_11target_archE4294967295ELNS1_3gpuE0ELNS1_3repE0EEENS1_30default_config_static_selectorELNS0_4arch9wavefront6targetE0EEEvSK_
                                        ; -- End function
	.set _ZN7rocprim17ROCPRIM_400000_NS6detail17trampoline_kernelINS0_14default_configENS1_36segmented_radix_sort_config_selectorIalEEZNS1_25segmented_radix_sort_implIS3_Lb1EPKaPaPKlPlN2at6native12_GLOBAL__N_18offset_tEEE10hipError_tPvRmT1_PNSt15iterator_traitsISK_E10value_typeET2_T3_PNSL_ISQ_E10value_typeET4_jRbjT5_SW_jjP12ihipStream_tbEUlT_E_NS1_11comp_targetILNS1_3genE0ELNS1_11target_archE4294967295ELNS1_3gpuE0ELNS1_3repE0EEENS1_30default_config_static_selectorELNS0_4arch9wavefront6targetE0EEEvSK_.num_vgpr, 0
	.set _ZN7rocprim17ROCPRIM_400000_NS6detail17trampoline_kernelINS0_14default_configENS1_36segmented_radix_sort_config_selectorIalEEZNS1_25segmented_radix_sort_implIS3_Lb1EPKaPaPKlPlN2at6native12_GLOBAL__N_18offset_tEEE10hipError_tPvRmT1_PNSt15iterator_traitsISK_E10value_typeET2_T3_PNSL_ISQ_E10value_typeET4_jRbjT5_SW_jjP12ihipStream_tbEUlT_E_NS1_11comp_targetILNS1_3genE0ELNS1_11target_archE4294967295ELNS1_3gpuE0ELNS1_3repE0EEENS1_30default_config_static_selectorELNS0_4arch9wavefront6targetE0EEEvSK_.num_agpr, 0
	.set _ZN7rocprim17ROCPRIM_400000_NS6detail17trampoline_kernelINS0_14default_configENS1_36segmented_radix_sort_config_selectorIalEEZNS1_25segmented_radix_sort_implIS3_Lb1EPKaPaPKlPlN2at6native12_GLOBAL__N_18offset_tEEE10hipError_tPvRmT1_PNSt15iterator_traitsISK_E10value_typeET2_T3_PNSL_ISQ_E10value_typeET4_jRbjT5_SW_jjP12ihipStream_tbEUlT_E_NS1_11comp_targetILNS1_3genE0ELNS1_11target_archE4294967295ELNS1_3gpuE0ELNS1_3repE0EEENS1_30default_config_static_selectorELNS0_4arch9wavefront6targetE0EEEvSK_.numbered_sgpr, 0
	.set _ZN7rocprim17ROCPRIM_400000_NS6detail17trampoline_kernelINS0_14default_configENS1_36segmented_radix_sort_config_selectorIalEEZNS1_25segmented_radix_sort_implIS3_Lb1EPKaPaPKlPlN2at6native12_GLOBAL__N_18offset_tEEE10hipError_tPvRmT1_PNSt15iterator_traitsISK_E10value_typeET2_T3_PNSL_ISQ_E10value_typeET4_jRbjT5_SW_jjP12ihipStream_tbEUlT_E_NS1_11comp_targetILNS1_3genE0ELNS1_11target_archE4294967295ELNS1_3gpuE0ELNS1_3repE0EEENS1_30default_config_static_selectorELNS0_4arch9wavefront6targetE0EEEvSK_.num_named_barrier, 0
	.set _ZN7rocprim17ROCPRIM_400000_NS6detail17trampoline_kernelINS0_14default_configENS1_36segmented_radix_sort_config_selectorIalEEZNS1_25segmented_radix_sort_implIS3_Lb1EPKaPaPKlPlN2at6native12_GLOBAL__N_18offset_tEEE10hipError_tPvRmT1_PNSt15iterator_traitsISK_E10value_typeET2_T3_PNSL_ISQ_E10value_typeET4_jRbjT5_SW_jjP12ihipStream_tbEUlT_E_NS1_11comp_targetILNS1_3genE0ELNS1_11target_archE4294967295ELNS1_3gpuE0ELNS1_3repE0EEENS1_30default_config_static_selectorELNS0_4arch9wavefront6targetE0EEEvSK_.private_seg_size, 0
	.set _ZN7rocprim17ROCPRIM_400000_NS6detail17trampoline_kernelINS0_14default_configENS1_36segmented_radix_sort_config_selectorIalEEZNS1_25segmented_radix_sort_implIS3_Lb1EPKaPaPKlPlN2at6native12_GLOBAL__N_18offset_tEEE10hipError_tPvRmT1_PNSt15iterator_traitsISK_E10value_typeET2_T3_PNSL_ISQ_E10value_typeET4_jRbjT5_SW_jjP12ihipStream_tbEUlT_E_NS1_11comp_targetILNS1_3genE0ELNS1_11target_archE4294967295ELNS1_3gpuE0ELNS1_3repE0EEENS1_30default_config_static_selectorELNS0_4arch9wavefront6targetE0EEEvSK_.uses_vcc, 0
	.set _ZN7rocprim17ROCPRIM_400000_NS6detail17trampoline_kernelINS0_14default_configENS1_36segmented_radix_sort_config_selectorIalEEZNS1_25segmented_radix_sort_implIS3_Lb1EPKaPaPKlPlN2at6native12_GLOBAL__N_18offset_tEEE10hipError_tPvRmT1_PNSt15iterator_traitsISK_E10value_typeET2_T3_PNSL_ISQ_E10value_typeET4_jRbjT5_SW_jjP12ihipStream_tbEUlT_E_NS1_11comp_targetILNS1_3genE0ELNS1_11target_archE4294967295ELNS1_3gpuE0ELNS1_3repE0EEENS1_30default_config_static_selectorELNS0_4arch9wavefront6targetE0EEEvSK_.uses_flat_scratch, 0
	.set _ZN7rocprim17ROCPRIM_400000_NS6detail17trampoline_kernelINS0_14default_configENS1_36segmented_radix_sort_config_selectorIalEEZNS1_25segmented_radix_sort_implIS3_Lb1EPKaPaPKlPlN2at6native12_GLOBAL__N_18offset_tEEE10hipError_tPvRmT1_PNSt15iterator_traitsISK_E10value_typeET2_T3_PNSL_ISQ_E10value_typeET4_jRbjT5_SW_jjP12ihipStream_tbEUlT_E_NS1_11comp_targetILNS1_3genE0ELNS1_11target_archE4294967295ELNS1_3gpuE0ELNS1_3repE0EEENS1_30default_config_static_selectorELNS0_4arch9wavefront6targetE0EEEvSK_.has_dyn_sized_stack, 0
	.set _ZN7rocprim17ROCPRIM_400000_NS6detail17trampoline_kernelINS0_14default_configENS1_36segmented_radix_sort_config_selectorIalEEZNS1_25segmented_radix_sort_implIS3_Lb1EPKaPaPKlPlN2at6native12_GLOBAL__N_18offset_tEEE10hipError_tPvRmT1_PNSt15iterator_traitsISK_E10value_typeET2_T3_PNSL_ISQ_E10value_typeET4_jRbjT5_SW_jjP12ihipStream_tbEUlT_E_NS1_11comp_targetILNS1_3genE0ELNS1_11target_archE4294967295ELNS1_3gpuE0ELNS1_3repE0EEENS1_30default_config_static_selectorELNS0_4arch9wavefront6targetE0EEEvSK_.has_recursion, 0
	.set _ZN7rocprim17ROCPRIM_400000_NS6detail17trampoline_kernelINS0_14default_configENS1_36segmented_radix_sort_config_selectorIalEEZNS1_25segmented_radix_sort_implIS3_Lb1EPKaPaPKlPlN2at6native12_GLOBAL__N_18offset_tEEE10hipError_tPvRmT1_PNSt15iterator_traitsISK_E10value_typeET2_T3_PNSL_ISQ_E10value_typeET4_jRbjT5_SW_jjP12ihipStream_tbEUlT_E_NS1_11comp_targetILNS1_3genE0ELNS1_11target_archE4294967295ELNS1_3gpuE0ELNS1_3repE0EEENS1_30default_config_static_selectorELNS0_4arch9wavefront6targetE0EEEvSK_.has_indirect_call, 0
	.section	.AMDGPU.csdata,"",@progbits
; Kernel info:
; codeLenInByte = 0
; TotalNumSgprs: 0
; NumVgprs: 0
; ScratchSize: 0
; MemoryBound: 0
; FloatMode: 240
; IeeeMode: 1
; LDSByteSize: 0 bytes/workgroup (compile time only)
; SGPRBlocks: 0
; VGPRBlocks: 0
; NumSGPRsForWavesPerEU: 1
; NumVGPRsForWavesPerEU: 1
; Occupancy: 16
; WaveLimiterHint : 0
; COMPUTE_PGM_RSRC2:SCRATCH_EN: 0
; COMPUTE_PGM_RSRC2:USER_SGPR: 2
; COMPUTE_PGM_RSRC2:TRAP_HANDLER: 0
; COMPUTE_PGM_RSRC2:TGID_X_EN: 1
; COMPUTE_PGM_RSRC2:TGID_Y_EN: 0
; COMPUTE_PGM_RSRC2:TGID_Z_EN: 0
; COMPUTE_PGM_RSRC2:TIDIG_COMP_CNT: 0
	.section	.text._ZN7rocprim17ROCPRIM_400000_NS6detail17trampoline_kernelINS0_14default_configENS1_36segmented_radix_sort_config_selectorIalEEZNS1_25segmented_radix_sort_implIS3_Lb1EPKaPaPKlPlN2at6native12_GLOBAL__N_18offset_tEEE10hipError_tPvRmT1_PNSt15iterator_traitsISK_E10value_typeET2_T3_PNSL_ISQ_E10value_typeET4_jRbjT5_SW_jjP12ihipStream_tbEUlT_E_NS1_11comp_targetILNS1_3genE5ELNS1_11target_archE942ELNS1_3gpuE9ELNS1_3repE0EEENS1_30default_config_static_selectorELNS0_4arch9wavefront6targetE0EEEvSK_,"axG",@progbits,_ZN7rocprim17ROCPRIM_400000_NS6detail17trampoline_kernelINS0_14default_configENS1_36segmented_radix_sort_config_selectorIalEEZNS1_25segmented_radix_sort_implIS3_Lb1EPKaPaPKlPlN2at6native12_GLOBAL__N_18offset_tEEE10hipError_tPvRmT1_PNSt15iterator_traitsISK_E10value_typeET2_T3_PNSL_ISQ_E10value_typeET4_jRbjT5_SW_jjP12ihipStream_tbEUlT_E_NS1_11comp_targetILNS1_3genE5ELNS1_11target_archE942ELNS1_3gpuE9ELNS1_3repE0EEENS1_30default_config_static_selectorELNS0_4arch9wavefront6targetE0EEEvSK_,comdat
	.globl	_ZN7rocprim17ROCPRIM_400000_NS6detail17trampoline_kernelINS0_14default_configENS1_36segmented_radix_sort_config_selectorIalEEZNS1_25segmented_radix_sort_implIS3_Lb1EPKaPaPKlPlN2at6native12_GLOBAL__N_18offset_tEEE10hipError_tPvRmT1_PNSt15iterator_traitsISK_E10value_typeET2_T3_PNSL_ISQ_E10value_typeET4_jRbjT5_SW_jjP12ihipStream_tbEUlT_E_NS1_11comp_targetILNS1_3genE5ELNS1_11target_archE942ELNS1_3gpuE9ELNS1_3repE0EEENS1_30default_config_static_selectorELNS0_4arch9wavefront6targetE0EEEvSK_ ; -- Begin function _ZN7rocprim17ROCPRIM_400000_NS6detail17trampoline_kernelINS0_14default_configENS1_36segmented_radix_sort_config_selectorIalEEZNS1_25segmented_radix_sort_implIS3_Lb1EPKaPaPKlPlN2at6native12_GLOBAL__N_18offset_tEEE10hipError_tPvRmT1_PNSt15iterator_traitsISK_E10value_typeET2_T3_PNSL_ISQ_E10value_typeET4_jRbjT5_SW_jjP12ihipStream_tbEUlT_E_NS1_11comp_targetILNS1_3genE5ELNS1_11target_archE942ELNS1_3gpuE9ELNS1_3repE0EEENS1_30default_config_static_selectorELNS0_4arch9wavefront6targetE0EEEvSK_
	.p2align	8
	.type	_ZN7rocprim17ROCPRIM_400000_NS6detail17trampoline_kernelINS0_14default_configENS1_36segmented_radix_sort_config_selectorIalEEZNS1_25segmented_radix_sort_implIS3_Lb1EPKaPaPKlPlN2at6native12_GLOBAL__N_18offset_tEEE10hipError_tPvRmT1_PNSt15iterator_traitsISK_E10value_typeET2_T3_PNSL_ISQ_E10value_typeET4_jRbjT5_SW_jjP12ihipStream_tbEUlT_E_NS1_11comp_targetILNS1_3genE5ELNS1_11target_archE942ELNS1_3gpuE9ELNS1_3repE0EEENS1_30default_config_static_selectorELNS0_4arch9wavefront6targetE0EEEvSK_,@function
_ZN7rocprim17ROCPRIM_400000_NS6detail17trampoline_kernelINS0_14default_configENS1_36segmented_radix_sort_config_selectorIalEEZNS1_25segmented_radix_sort_implIS3_Lb1EPKaPaPKlPlN2at6native12_GLOBAL__N_18offset_tEEE10hipError_tPvRmT1_PNSt15iterator_traitsISK_E10value_typeET2_T3_PNSL_ISQ_E10value_typeET4_jRbjT5_SW_jjP12ihipStream_tbEUlT_E_NS1_11comp_targetILNS1_3genE5ELNS1_11target_archE942ELNS1_3gpuE9ELNS1_3repE0EEENS1_30default_config_static_selectorELNS0_4arch9wavefront6targetE0EEEvSK_: ; @_ZN7rocprim17ROCPRIM_400000_NS6detail17trampoline_kernelINS0_14default_configENS1_36segmented_radix_sort_config_selectorIalEEZNS1_25segmented_radix_sort_implIS3_Lb1EPKaPaPKlPlN2at6native12_GLOBAL__N_18offset_tEEE10hipError_tPvRmT1_PNSt15iterator_traitsISK_E10value_typeET2_T3_PNSL_ISQ_E10value_typeET4_jRbjT5_SW_jjP12ihipStream_tbEUlT_E_NS1_11comp_targetILNS1_3genE5ELNS1_11target_archE942ELNS1_3gpuE9ELNS1_3repE0EEENS1_30default_config_static_selectorELNS0_4arch9wavefront6targetE0EEEvSK_
; %bb.0:
	.section	.rodata,"a",@progbits
	.p2align	6, 0x0
	.amdhsa_kernel _ZN7rocprim17ROCPRIM_400000_NS6detail17trampoline_kernelINS0_14default_configENS1_36segmented_radix_sort_config_selectorIalEEZNS1_25segmented_radix_sort_implIS3_Lb1EPKaPaPKlPlN2at6native12_GLOBAL__N_18offset_tEEE10hipError_tPvRmT1_PNSt15iterator_traitsISK_E10value_typeET2_T3_PNSL_ISQ_E10value_typeET4_jRbjT5_SW_jjP12ihipStream_tbEUlT_E_NS1_11comp_targetILNS1_3genE5ELNS1_11target_archE942ELNS1_3gpuE9ELNS1_3repE0EEENS1_30default_config_static_selectorELNS0_4arch9wavefront6targetE0EEEvSK_
		.amdhsa_group_segment_fixed_size 0
		.amdhsa_private_segment_fixed_size 0
		.amdhsa_kernarg_size 96
		.amdhsa_user_sgpr_count 2
		.amdhsa_user_sgpr_dispatch_ptr 0
		.amdhsa_user_sgpr_queue_ptr 0
		.amdhsa_user_sgpr_kernarg_segment_ptr 1
		.amdhsa_user_sgpr_dispatch_id 0
		.amdhsa_user_sgpr_private_segment_size 0
		.amdhsa_wavefront_size32 1
		.amdhsa_uses_dynamic_stack 0
		.amdhsa_enable_private_segment 0
		.amdhsa_system_sgpr_workgroup_id_x 1
		.amdhsa_system_sgpr_workgroup_id_y 0
		.amdhsa_system_sgpr_workgroup_id_z 0
		.amdhsa_system_sgpr_workgroup_info 0
		.amdhsa_system_vgpr_workitem_id 0
		.amdhsa_next_free_vgpr 1
		.amdhsa_next_free_sgpr 1
		.amdhsa_reserve_vcc 0
		.amdhsa_float_round_mode_32 0
		.amdhsa_float_round_mode_16_64 0
		.amdhsa_float_denorm_mode_32 3
		.amdhsa_float_denorm_mode_16_64 3
		.amdhsa_fp16_overflow 0
		.amdhsa_workgroup_processor_mode 1
		.amdhsa_memory_ordered 1
		.amdhsa_forward_progress 1
		.amdhsa_inst_pref_size 0
		.amdhsa_round_robin_scheduling 0
		.amdhsa_exception_fp_ieee_invalid_op 0
		.amdhsa_exception_fp_denorm_src 0
		.amdhsa_exception_fp_ieee_div_zero 0
		.amdhsa_exception_fp_ieee_overflow 0
		.amdhsa_exception_fp_ieee_underflow 0
		.amdhsa_exception_fp_ieee_inexact 0
		.amdhsa_exception_int_div_zero 0
	.end_amdhsa_kernel
	.section	.text._ZN7rocprim17ROCPRIM_400000_NS6detail17trampoline_kernelINS0_14default_configENS1_36segmented_radix_sort_config_selectorIalEEZNS1_25segmented_radix_sort_implIS3_Lb1EPKaPaPKlPlN2at6native12_GLOBAL__N_18offset_tEEE10hipError_tPvRmT1_PNSt15iterator_traitsISK_E10value_typeET2_T3_PNSL_ISQ_E10value_typeET4_jRbjT5_SW_jjP12ihipStream_tbEUlT_E_NS1_11comp_targetILNS1_3genE5ELNS1_11target_archE942ELNS1_3gpuE9ELNS1_3repE0EEENS1_30default_config_static_selectorELNS0_4arch9wavefront6targetE0EEEvSK_,"axG",@progbits,_ZN7rocprim17ROCPRIM_400000_NS6detail17trampoline_kernelINS0_14default_configENS1_36segmented_radix_sort_config_selectorIalEEZNS1_25segmented_radix_sort_implIS3_Lb1EPKaPaPKlPlN2at6native12_GLOBAL__N_18offset_tEEE10hipError_tPvRmT1_PNSt15iterator_traitsISK_E10value_typeET2_T3_PNSL_ISQ_E10value_typeET4_jRbjT5_SW_jjP12ihipStream_tbEUlT_E_NS1_11comp_targetILNS1_3genE5ELNS1_11target_archE942ELNS1_3gpuE9ELNS1_3repE0EEENS1_30default_config_static_selectorELNS0_4arch9wavefront6targetE0EEEvSK_,comdat
.Lfunc_end291:
	.size	_ZN7rocprim17ROCPRIM_400000_NS6detail17trampoline_kernelINS0_14default_configENS1_36segmented_radix_sort_config_selectorIalEEZNS1_25segmented_radix_sort_implIS3_Lb1EPKaPaPKlPlN2at6native12_GLOBAL__N_18offset_tEEE10hipError_tPvRmT1_PNSt15iterator_traitsISK_E10value_typeET2_T3_PNSL_ISQ_E10value_typeET4_jRbjT5_SW_jjP12ihipStream_tbEUlT_E_NS1_11comp_targetILNS1_3genE5ELNS1_11target_archE942ELNS1_3gpuE9ELNS1_3repE0EEENS1_30default_config_static_selectorELNS0_4arch9wavefront6targetE0EEEvSK_, .Lfunc_end291-_ZN7rocprim17ROCPRIM_400000_NS6detail17trampoline_kernelINS0_14default_configENS1_36segmented_radix_sort_config_selectorIalEEZNS1_25segmented_radix_sort_implIS3_Lb1EPKaPaPKlPlN2at6native12_GLOBAL__N_18offset_tEEE10hipError_tPvRmT1_PNSt15iterator_traitsISK_E10value_typeET2_T3_PNSL_ISQ_E10value_typeET4_jRbjT5_SW_jjP12ihipStream_tbEUlT_E_NS1_11comp_targetILNS1_3genE5ELNS1_11target_archE942ELNS1_3gpuE9ELNS1_3repE0EEENS1_30default_config_static_selectorELNS0_4arch9wavefront6targetE0EEEvSK_
                                        ; -- End function
	.set _ZN7rocprim17ROCPRIM_400000_NS6detail17trampoline_kernelINS0_14default_configENS1_36segmented_radix_sort_config_selectorIalEEZNS1_25segmented_radix_sort_implIS3_Lb1EPKaPaPKlPlN2at6native12_GLOBAL__N_18offset_tEEE10hipError_tPvRmT1_PNSt15iterator_traitsISK_E10value_typeET2_T3_PNSL_ISQ_E10value_typeET4_jRbjT5_SW_jjP12ihipStream_tbEUlT_E_NS1_11comp_targetILNS1_3genE5ELNS1_11target_archE942ELNS1_3gpuE9ELNS1_3repE0EEENS1_30default_config_static_selectorELNS0_4arch9wavefront6targetE0EEEvSK_.num_vgpr, 0
	.set _ZN7rocprim17ROCPRIM_400000_NS6detail17trampoline_kernelINS0_14default_configENS1_36segmented_radix_sort_config_selectorIalEEZNS1_25segmented_radix_sort_implIS3_Lb1EPKaPaPKlPlN2at6native12_GLOBAL__N_18offset_tEEE10hipError_tPvRmT1_PNSt15iterator_traitsISK_E10value_typeET2_T3_PNSL_ISQ_E10value_typeET4_jRbjT5_SW_jjP12ihipStream_tbEUlT_E_NS1_11comp_targetILNS1_3genE5ELNS1_11target_archE942ELNS1_3gpuE9ELNS1_3repE0EEENS1_30default_config_static_selectorELNS0_4arch9wavefront6targetE0EEEvSK_.num_agpr, 0
	.set _ZN7rocprim17ROCPRIM_400000_NS6detail17trampoline_kernelINS0_14default_configENS1_36segmented_radix_sort_config_selectorIalEEZNS1_25segmented_radix_sort_implIS3_Lb1EPKaPaPKlPlN2at6native12_GLOBAL__N_18offset_tEEE10hipError_tPvRmT1_PNSt15iterator_traitsISK_E10value_typeET2_T3_PNSL_ISQ_E10value_typeET4_jRbjT5_SW_jjP12ihipStream_tbEUlT_E_NS1_11comp_targetILNS1_3genE5ELNS1_11target_archE942ELNS1_3gpuE9ELNS1_3repE0EEENS1_30default_config_static_selectorELNS0_4arch9wavefront6targetE0EEEvSK_.numbered_sgpr, 0
	.set _ZN7rocprim17ROCPRIM_400000_NS6detail17trampoline_kernelINS0_14default_configENS1_36segmented_radix_sort_config_selectorIalEEZNS1_25segmented_radix_sort_implIS3_Lb1EPKaPaPKlPlN2at6native12_GLOBAL__N_18offset_tEEE10hipError_tPvRmT1_PNSt15iterator_traitsISK_E10value_typeET2_T3_PNSL_ISQ_E10value_typeET4_jRbjT5_SW_jjP12ihipStream_tbEUlT_E_NS1_11comp_targetILNS1_3genE5ELNS1_11target_archE942ELNS1_3gpuE9ELNS1_3repE0EEENS1_30default_config_static_selectorELNS0_4arch9wavefront6targetE0EEEvSK_.num_named_barrier, 0
	.set _ZN7rocprim17ROCPRIM_400000_NS6detail17trampoline_kernelINS0_14default_configENS1_36segmented_radix_sort_config_selectorIalEEZNS1_25segmented_radix_sort_implIS3_Lb1EPKaPaPKlPlN2at6native12_GLOBAL__N_18offset_tEEE10hipError_tPvRmT1_PNSt15iterator_traitsISK_E10value_typeET2_T3_PNSL_ISQ_E10value_typeET4_jRbjT5_SW_jjP12ihipStream_tbEUlT_E_NS1_11comp_targetILNS1_3genE5ELNS1_11target_archE942ELNS1_3gpuE9ELNS1_3repE0EEENS1_30default_config_static_selectorELNS0_4arch9wavefront6targetE0EEEvSK_.private_seg_size, 0
	.set _ZN7rocprim17ROCPRIM_400000_NS6detail17trampoline_kernelINS0_14default_configENS1_36segmented_radix_sort_config_selectorIalEEZNS1_25segmented_radix_sort_implIS3_Lb1EPKaPaPKlPlN2at6native12_GLOBAL__N_18offset_tEEE10hipError_tPvRmT1_PNSt15iterator_traitsISK_E10value_typeET2_T3_PNSL_ISQ_E10value_typeET4_jRbjT5_SW_jjP12ihipStream_tbEUlT_E_NS1_11comp_targetILNS1_3genE5ELNS1_11target_archE942ELNS1_3gpuE9ELNS1_3repE0EEENS1_30default_config_static_selectorELNS0_4arch9wavefront6targetE0EEEvSK_.uses_vcc, 0
	.set _ZN7rocprim17ROCPRIM_400000_NS6detail17trampoline_kernelINS0_14default_configENS1_36segmented_radix_sort_config_selectorIalEEZNS1_25segmented_radix_sort_implIS3_Lb1EPKaPaPKlPlN2at6native12_GLOBAL__N_18offset_tEEE10hipError_tPvRmT1_PNSt15iterator_traitsISK_E10value_typeET2_T3_PNSL_ISQ_E10value_typeET4_jRbjT5_SW_jjP12ihipStream_tbEUlT_E_NS1_11comp_targetILNS1_3genE5ELNS1_11target_archE942ELNS1_3gpuE9ELNS1_3repE0EEENS1_30default_config_static_selectorELNS0_4arch9wavefront6targetE0EEEvSK_.uses_flat_scratch, 0
	.set _ZN7rocprim17ROCPRIM_400000_NS6detail17trampoline_kernelINS0_14default_configENS1_36segmented_radix_sort_config_selectorIalEEZNS1_25segmented_radix_sort_implIS3_Lb1EPKaPaPKlPlN2at6native12_GLOBAL__N_18offset_tEEE10hipError_tPvRmT1_PNSt15iterator_traitsISK_E10value_typeET2_T3_PNSL_ISQ_E10value_typeET4_jRbjT5_SW_jjP12ihipStream_tbEUlT_E_NS1_11comp_targetILNS1_3genE5ELNS1_11target_archE942ELNS1_3gpuE9ELNS1_3repE0EEENS1_30default_config_static_selectorELNS0_4arch9wavefront6targetE0EEEvSK_.has_dyn_sized_stack, 0
	.set _ZN7rocprim17ROCPRIM_400000_NS6detail17trampoline_kernelINS0_14default_configENS1_36segmented_radix_sort_config_selectorIalEEZNS1_25segmented_radix_sort_implIS3_Lb1EPKaPaPKlPlN2at6native12_GLOBAL__N_18offset_tEEE10hipError_tPvRmT1_PNSt15iterator_traitsISK_E10value_typeET2_T3_PNSL_ISQ_E10value_typeET4_jRbjT5_SW_jjP12ihipStream_tbEUlT_E_NS1_11comp_targetILNS1_3genE5ELNS1_11target_archE942ELNS1_3gpuE9ELNS1_3repE0EEENS1_30default_config_static_selectorELNS0_4arch9wavefront6targetE0EEEvSK_.has_recursion, 0
	.set _ZN7rocprim17ROCPRIM_400000_NS6detail17trampoline_kernelINS0_14default_configENS1_36segmented_radix_sort_config_selectorIalEEZNS1_25segmented_radix_sort_implIS3_Lb1EPKaPaPKlPlN2at6native12_GLOBAL__N_18offset_tEEE10hipError_tPvRmT1_PNSt15iterator_traitsISK_E10value_typeET2_T3_PNSL_ISQ_E10value_typeET4_jRbjT5_SW_jjP12ihipStream_tbEUlT_E_NS1_11comp_targetILNS1_3genE5ELNS1_11target_archE942ELNS1_3gpuE9ELNS1_3repE0EEENS1_30default_config_static_selectorELNS0_4arch9wavefront6targetE0EEEvSK_.has_indirect_call, 0
	.section	.AMDGPU.csdata,"",@progbits
; Kernel info:
; codeLenInByte = 0
; TotalNumSgprs: 0
; NumVgprs: 0
; ScratchSize: 0
; MemoryBound: 0
; FloatMode: 240
; IeeeMode: 1
; LDSByteSize: 0 bytes/workgroup (compile time only)
; SGPRBlocks: 0
; VGPRBlocks: 0
; NumSGPRsForWavesPerEU: 1
; NumVGPRsForWavesPerEU: 1
; Occupancy: 16
; WaveLimiterHint : 0
; COMPUTE_PGM_RSRC2:SCRATCH_EN: 0
; COMPUTE_PGM_RSRC2:USER_SGPR: 2
; COMPUTE_PGM_RSRC2:TRAP_HANDLER: 0
; COMPUTE_PGM_RSRC2:TGID_X_EN: 1
; COMPUTE_PGM_RSRC2:TGID_Y_EN: 0
; COMPUTE_PGM_RSRC2:TGID_Z_EN: 0
; COMPUTE_PGM_RSRC2:TIDIG_COMP_CNT: 0
	.section	.text._ZN7rocprim17ROCPRIM_400000_NS6detail17trampoline_kernelINS0_14default_configENS1_36segmented_radix_sort_config_selectorIalEEZNS1_25segmented_radix_sort_implIS3_Lb1EPKaPaPKlPlN2at6native12_GLOBAL__N_18offset_tEEE10hipError_tPvRmT1_PNSt15iterator_traitsISK_E10value_typeET2_T3_PNSL_ISQ_E10value_typeET4_jRbjT5_SW_jjP12ihipStream_tbEUlT_E_NS1_11comp_targetILNS1_3genE4ELNS1_11target_archE910ELNS1_3gpuE8ELNS1_3repE0EEENS1_30default_config_static_selectorELNS0_4arch9wavefront6targetE0EEEvSK_,"axG",@progbits,_ZN7rocprim17ROCPRIM_400000_NS6detail17trampoline_kernelINS0_14default_configENS1_36segmented_radix_sort_config_selectorIalEEZNS1_25segmented_radix_sort_implIS3_Lb1EPKaPaPKlPlN2at6native12_GLOBAL__N_18offset_tEEE10hipError_tPvRmT1_PNSt15iterator_traitsISK_E10value_typeET2_T3_PNSL_ISQ_E10value_typeET4_jRbjT5_SW_jjP12ihipStream_tbEUlT_E_NS1_11comp_targetILNS1_3genE4ELNS1_11target_archE910ELNS1_3gpuE8ELNS1_3repE0EEENS1_30default_config_static_selectorELNS0_4arch9wavefront6targetE0EEEvSK_,comdat
	.globl	_ZN7rocprim17ROCPRIM_400000_NS6detail17trampoline_kernelINS0_14default_configENS1_36segmented_radix_sort_config_selectorIalEEZNS1_25segmented_radix_sort_implIS3_Lb1EPKaPaPKlPlN2at6native12_GLOBAL__N_18offset_tEEE10hipError_tPvRmT1_PNSt15iterator_traitsISK_E10value_typeET2_T3_PNSL_ISQ_E10value_typeET4_jRbjT5_SW_jjP12ihipStream_tbEUlT_E_NS1_11comp_targetILNS1_3genE4ELNS1_11target_archE910ELNS1_3gpuE8ELNS1_3repE0EEENS1_30default_config_static_selectorELNS0_4arch9wavefront6targetE0EEEvSK_ ; -- Begin function _ZN7rocprim17ROCPRIM_400000_NS6detail17trampoline_kernelINS0_14default_configENS1_36segmented_radix_sort_config_selectorIalEEZNS1_25segmented_radix_sort_implIS3_Lb1EPKaPaPKlPlN2at6native12_GLOBAL__N_18offset_tEEE10hipError_tPvRmT1_PNSt15iterator_traitsISK_E10value_typeET2_T3_PNSL_ISQ_E10value_typeET4_jRbjT5_SW_jjP12ihipStream_tbEUlT_E_NS1_11comp_targetILNS1_3genE4ELNS1_11target_archE910ELNS1_3gpuE8ELNS1_3repE0EEENS1_30default_config_static_selectorELNS0_4arch9wavefront6targetE0EEEvSK_
	.p2align	8
	.type	_ZN7rocprim17ROCPRIM_400000_NS6detail17trampoline_kernelINS0_14default_configENS1_36segmented_radix_sort_config_selectorIalEEZNS1_25segmented_radix_sort_implIS3_Lb1EPKaPaPKlPlN2at6native12_GLOBAL__N_18offset_tEEE10hipError_tPvRmT1_PNSt15iterator_traitsISK_E10value_typeET2_T3_PNSL_ISQ_E10value_typeET4_jRbjT5_SW_jjP12ihipStream_tbEUlT_E_NS1_11comp_targetILNS1_3genE4ELNS1_11target_archE910ELNS1_3gpuE8ELNS1_3repE0EEENS1_30default_config_static_selectorELNS0_4arch9wavefront6targetE0EEEvSK_,@function
_ZN7rocprim17ROCPRIM_400000_NS6detail17trampoline_kernelINS0_14default_configENS1_36segmented_radix_sort_config_selectorIalEEZNS1_25segmented_radix_sort_implIS3_Lb1EPKaPaPKlPlN2at6native12_GLOBAL__N_18offset_tEEE10hipError_tPvRmT1_PNSt15iterator_traitsISK_E10value_typeET2_T3_PNSL_ISQ_E10value_typeET4_jRbjT5_SW_jjP12ihipStream_tbEUlT_E_NS1_11comp_targetILNS1_3genE4ELNS1_11target_archE910ELNS1_3gpuE8ELNS1_3repE0EEENS1_30default_config_static_selectorELNS0_4arch9wavefront6targetE0EEEvSK_: ; @_ZN7rocprim17ROCPRIM_400000_NS6detail17trampoline_kernelINS0_14default_configENS1_36segmented_radix_sort_config_selectorIalEEZNS1_25segmented_radix_sort_implIS3_Lb1EPKaPaPKlPlN2at6native12_GLOBAL__N_18offset_tEEE10hipError_tPvRmT1_PNSt15iterator_traitsISK_E10value_typeET2_T3_PNSL_ISQ_E10value_typeET4_jRbjT5_SW_jjP12ihipStream_tbEUlT_E_NS1_11comp_targetILNS1_3genE4ELNS1_11target_archE910ELNS1_3gpuE8ELNS1_3repE0EEENS1_30default_config_static_selectorELNS0_4arch9wavefront6targetE0EEEvSK_
; %bb.0:
	.section	.rodata,"a",@progbits
	.p2align	6, 0x0
	.amdhsa_kernel _ZN7rocprim17ROCPRIM_400000_NS6detail17trampoline_kernelINS0_14default_configENS1_36segmented_radix_sort_config_selectorIalEEZNS1_25segmented_radix_sort_implIS3_Lb1EPKaPaPKlPlN2at6native12_GLOBAL__N_18offset_tEEE10hipError_tPvRmT1_PNSt15iterator_traitsISK_E10value_typeET2_T3_PNSL_ISQ_E10value_typeET4_jRbjT5_SW_jjP12ihipStream_tbEUlT_E_NS1_11comp_targetILNS1_3genE4ELNS1_11target_archE910ELNS1_3gpuE8ELNS1_3repE0EEENS1_30default_config_static_selectorELNS0_4arch9wavefront6targetE0EEEvSK_
		.amdhsa_group_segment_fixed_size 0
		.amdhsa_private_segment_fixed_size 0
		.amdhsa_kernarg_size 96
		.amdhsa_user_sgpr_count 2
		.amdhsa_user_sgpr_dispatch_ptr 0
		.amdhsa_user_sgpr_queue_ptr 0
		.amdhsa_user_sgpr_kernarg_segment_ptr 1
		.amdhsa_user_sgpr_dispatch_id 0
		.amdhsa_user_sgpr_private_segment_size 0
		.amdhsa_wavefront_size32 1
		.amdhsa_uses_dynamic_stack 0
		.amdhsa_enable_private_segment 0
		.amdhsa_system_sgpr_workgroup_id_x 1
		.amdhsa_system_sgpr_workgroup_id_y 0
		.amdhsa_system_sgpr_workgroup_id_z 0
		.amdhsa_system_sgpr_workgroup_info 0
		.amdhsa_system_vgpr_workitem_id 0
		.amdhsa_next_free_vgpr 1
		.amdhsa_next_free_sgpr 1
		.amdhsa_reserve_vcc 0
		.amdhsa_float_round_mode_32 0
		.amdhsa_float_round_mode_16_64 0
		.amdhsa_float_denorm_mode_32 3
		.amdhsa_float_denorm_mode_16_64 3
		.amdhsa_fp16_overflow 0
		.amdhsa_workgroup_processor_mode 1
		.amdhsa_memory_ordered 1
		.amdhsa_forward_progress 1
		.amdhsa_inst_pref_size 0
		.amdhsa_round_robin_scheduling 0
		.amdhsa_exception_fp_ieee_invalid_op 0
		.amdhsa_exception_fp_denorm_src 0
		.amdhsa_exception_fp_ieee_div_zero 0
		.amdhsa_exception_fp_ieee_overflow 0
		.amdhsa_exception_fp_ieee_underflow 0
		.amdhsa_exception_fp_ieee_inexact 0
		.amdhsa_exception_int_div_zero 0
	.end_amdhsa_kernel
	.section	.text._ZN7rocprim17ROCPRIM_400000_NS6detail17trampoline_kernelINS0_14default_configENS1_36segmented_radix_sort_config_selectorIalEEZNS1_25segmented_radix_sort_implIS3_Lb1EPKaPaPKlPlN2at6native12_GLOBAL__N_18offset_tEEE10hipError_tPvRmT1_PNSt15iterator_traitsISK_E10value_typeET2_T3_PNSL_ISQ_E10value_typeET4_jRbjT5_SW_jjP12ihipStream_tbEUlT_E_NS1_11comp_targetILNS1_3genE4ELNS1_11target_archE910ELNS1_3gpuE8ELNS1_3repE0EEENS1_30default_config_static_selectorELNS0_4arch9wavefront6targetE0EEEvSK_,"axG",@progbits,_ZN7rocprim17ROCPRIM_400000_NS6detail17trampoline_kernelINS0_14default_configENS1_36segmented_radix_sort_config_selectorIalEEZNS1_25segmented_radix_sort_implIS3_Lb1EPKaPaPKlPlN2at6native12_GLOBAL__N_18offset_tEEE10hipError_tPvRmT1_PNSt15iterator_traitsISK_E10value_typeET2_T3_PNSL_ISQ_E10value_typeET4_jRbjT5_SW_jjP12ihipStream_tbEUlT_E_NS1_11comp_targetILNS1_3genE4ELNS1_11target_archE910ELNS1_3gpuE8ELNS1_3repE0EEENS1_30default_config_static_selectorELNS0_4arch9wavefront6targetE0EEEvSK_,comdat
.Lfunc_end292:
	.size	_ZN7rocprim17ROCPRIM_400000_NS6detail17trampoline_kernelINS0_14default_configENS1_36segmented_radix_sort_config_selectorIalEEZNS1_25segmented_radix_sort_implIS3_Lb1EPKaPaPKlPlN2at6native12_GLOBAL__N_18offset_tEEE10hipError_tPvRmT1_PNSt15iterator_traitsISK_E10value_typeET2_T3_PNSL_ISQ_E10value_typeET4_jRbjT5_SW_jjP12ihipStream_tbEUlT_E_NS1_11comp_targetILNS1_3genE4ELNS1_11target_archE910ELNS1_3gpuE8ELNS1_3repE0EEENS1_30default_config_static_selectorELNS0_4arch9wavefront6targetE0EEEvSK_, .Lfunc_end292-_ZN7rocprim17ROCPRIM_400000_NS6detail17trampoline_kernelINS0_14default_configENS1_36segmented_radix_sort_config_selectorIalEEZNS1_25segmented_radix_sort_implIS3_Lb1EPKaPaPKlPlN2at6native12_GLOBAL__N_18offset_tEEE10hipError_tPvRmT1_PNSt15iterator_traitsISK_E10value_typeET2_T3_PNSL_ISQ_E10value_typeET4_jRbjT5_SW_jjP12ihipStream_tbEUlT_E_NS1_11comp_targetILNS1_3genE4ELNS1_11target_archE910ELNS1_3gpuE8ELNS1_3repE0EEENS1_30default_config_static_selectorELNS0_4arch9wavefront6targetE0EEEvSK_
                                        ; -- End function
	.set _ZN7rocprim17ROCPRIM_400000_NS6detail17trampoline_kernelINS0_14default_configENS1_36segmented_radix_sort_config_selectorIalEEZNS1_25segmented_radix_sort_implIS3_Lb1EPKaPaPKlPlN2at6native12_GLOBAL__N_18offset_tEEE10hipError_tPvRmT1_PNSt15iterator_traitsISK_E10value_typeET2_T3_PNSL_ISQ_E10value_typeET4_jRbjT5_SW_jjP12ihipStream_tbEUlT_E_NS1_11comp_targetILNS1_3genE4ELNS1_11target_archE910ELNS1_3gpuE8ELNS1_3repE0EEENS1_30default_config_static_selectorELNS0_4arch9wavefront6targetE0EEEvSK_.num_vgpr, 0
	.set _ZN7rocprim17ROCPRIM_400000_NS6detail17trampoline_kernelINS0_14default_configENS1_36segmented_radix_sort_config_selectorIalEEZNS1_25segmented_radix_sort_implIS3_Lb1EPKaPaPKlPlN2at6native12_GLOBAL__N_18offset_tEEE10hipError_tPvRmT1_PNSt15iterator_traitsISK_E10value_typeET2_T3_PNSL_ISQ_E10value_typeET4_jRbjT5_SW_jjP12ihipStream_tbEUlT_E_NS1_11comp_targetILNS1_3genE4ELNS1_11target_archE910ELNS1_3gpuE8ELNS1_3repE0EEENS1_30default_config_static_selectorELNS0_4arch9wavefront6targetE0EEEvSK_.num_agpr, 0
	.set _ZN7rocprim17ROCPRIM_400000_NS6detail17trampoline_kernelINS0_14default_configENS1_36segmented_radix_sort_config_selectorIalEEZNS1_25segmented_radix_sort_implIS3_Lb1EPKaPaPKlPlN2at6native12_GLOBAL__N_18offset_tEEE10hipError_tPvRmT1_PNSt15iterator_traitsISK_E10value_typeET2_T3_PNSL_ISQ_E10value_typeET4_jRbjT5_SW_jjP12ihipStream_tbEUlT_E_NS1_11comp_targetILNS1_3genE4ELNS1_11target_archE910ELNS1_3gpuE8ELNS1_3repE0EEENS1_30default_config_static_selectorELNS0_4arch9wavefront6targetE0EEEvSK_.numbered_sgpr, 0
	.set _ZN7rocprim17ROCPRIM_400000_NS6detail17trampoline_kernelINS0_14default_configENS1_36segmented_radix_sort_config_selectorIalEEZNS1_25segmented_radix_sort_implIS3_Lb1EPKaPaPKlPlN2at6native12_GLOBAL__N_18offset_tEEE10hipError_tPvRmT1_PNSt15iterator_traitsISK_E10value_typeET2_T3_PNSL_ISQ_E10value_typeET4_jRbjT5_SW_jjP12ihipStream_tbEUlT_E_NS1_11comp_targetILNS1_3genE4ELNS1_11target_archE910ELNS1_3gpuE8ELNS1_3repE0EEENS1_30default_config_static_selectorELNS0_4arch9wavefront6targetE0EEEvSK_.num_named_barrier, 0
	.set _ZN7rocprim17ROCPRIM_400000_NS6detail17trampoline_kernelINS0_14default_configENS1_36segmented_radix_sort_config_selectorIalEEZNS1_25segmented_radix_sort_implIS3_Lb1EPKaPaPKlPlN2at6native12_GLOBAL__N_18offset_tEEE10hipError_tPvRmT1_PNSt15iterator_traitsISK_E10value_typeET2_T3_PNSL_ISQ_E10value_typeET4_jRbjT5_SW_jjP12ihipStream_tbEUlT_E_NS1_11comp_targetILNS1_3genE4ELNS1_11target_archE910ELNS1_3gpuE8ELNS1_3repE0EEENS1_30default_config_static_selectorELNS0_4arch9wavefront6targetE0EEEvSK_.private_seg_size, 0
	.set _ZN7rocprim17ROCPRIM_400000_NS6detail17trampoline_kernelINS0_14default_configENS1_36segmented_radix_sort_config_selectorIalEEZNS1_25segmented_radix_sort_implIS3_Lb1EPKaPaPKlPlN2at6native12_GLOBAL__N_18offset_tEEE10hipError_tPvRmT1_PNSt15iterator_traitsISK_E10value_typeET2_T3_PNSL_ISQ_E10value_typeET4_jRbjT5_SW_jjP12ihipStream_tbEUlT_E_NS1_11comp_targetILNS1_3genE4ELNS1_11target_archE910ELNS1_3gpuE8ELNS1_3repE0EEENS1_30default_config_static_selectorELNS0_4arch9wavefront6targetE0EEEvSK_.uses_vcc, 0
	.set _ZN7rocprim17ROCPRIM_400000_NS6detail17trampoline_kernelINS0_14default_configENS1_36segmented_radix_sort_config_selectorIalEEZNS1_25segmented_radix_sort_implIS3_Lb1EPKaPaPKlPlN2at6native12_GLOBAL__N_18offset_tEEE10hipError_tPvRmT1_PNSt15iterator_traitsISK_E10value_typeET2_T3_PNSL_ISQ_E10value_typeET4_jRbjT5_SW_jjP12ihipStream_tbEUlT_E_NS1_11comp_targetILNS1_3genE4ELNS1_11target_archE910ELNS1_3gpuE8ELNS1_3repE0EEENS1_30default_config_static_selectorELNS0_4arch9wavefront6targetE0EEEvSK_.uses_flat_scratch, 0
	.set _ZN7rocprim17ROCPRIM_400000_NS6detail17trampoline_kernelINS0_14default_configENS1_36segmented_radix_sort_config_selectorIalEEZNS1_25segmented_radix_sort_implIS3_Lb1EPKaPaPKlPlN2at6native12_GLOBAL__N_18offset_tEEE10hipError_tPvRmT1_PNSt15iterator_traitsISK_E10value_typeET2_T3_PNSL_ISQ_E10value_typeET4_jRbjT5_SW_jjP12ihipStream_tbEUlT_E_NS1_11comp_targetILNS1_3genE4ELNS1_11target_archE910ELNS1_3gpuE8ELNS1_3repE0EEENS1_30default_config_static_selectorELNS0_4arch9wavefront6targetE0EEEvSK_.has_dyn_sized_stack, 0
	.set _ZN7rocprim17ROCPRIM_400000_NS6detail17trampoline_kernelINS0_14default_configENS1_36segmented_radix_sort_config_selectorIalEEZNS1_25segmented_radix_sort_implIS3_Lb1EPKaPaPKlPlN2at6native12_GLOBAL__N_18offset_tEEE10hipError_tPvRmT1_PNSt15iterator_traitsISK_E10value_typeET2_T3_PNSL_ISQ_E10value_typeET4_jRbjT5_SW_jjP12ihipStream_tbEUlT_E_NS1_11comp_targetILNS1_3genE4ELNS1_11target_archE910ELNS1_3gpuE8ELNS1_3repE0EEENS1_30default_config_static_selectorELNS0_4arch9wavefront6targetE0EEEvSK_.has_recursion, 0
	.set _ZN7rocprim17ROCPRIM_400000_NS6detail17trampoline_kernelINS0_14default_configENS1_36segmented_radix_sort_config_selectorIalEEZNS1_25segmented_radix_sort_implIS3_Lb1EPKaPaPKlPlN2at6native12_GLOBAL__N_18offset_tEEE10hipError_tPvRmT1_PNSt15iterator_traitsISK_E10value_typeET2_T3_PNSL_ISQ_E10value_typeET4_jRbjT5_SW_jjP12ihipStream_tbEUlT_E_NS1_11comp_targetILNS1_3genE4ELNS1_11target_archE910ELNS1_3gpuE8ELNS1_3repE0EEENS1_30default_config_static_selectorELNS0_4arch9wavefront6targetE0EEEvSK_.has_indirect_call, 0
	.section	.AMDGPU.csdata,"",@progbits
; Kernel info:
; codeLenInByte = 0
; TotalNumSgprs: 0
; NumVgprs: 0
; ScratchSize: 0
; MemoryBound: 0
; FloatMode: 240
; IeeeMode: 1
; LDSByteSize: 0 bytes/workgroup (compile time only)
; SGPRBlocks: 0
; VGPRBlocks: 0
; NumSGPRsForWavesPerEU: 1
; NumVGPRsForWavesPerEU: 1
; Occupancy: 16
; WaveLimiterHint : 0
; COMPUTE_PGM_RSRC2:SCRATCH_EN: 0
; COMPUTE_PGM_RSRC2:USER_SGPR: 2
; COMPUTE_PGM_RSRC2:TRAP_HANDLER: 0
; COMPUTE_PGM_RSRC2:TGID_X_EN: 1
; COMPUTE_PGM_RSRC2:TGID_Y_EN: 0
; COMPUTE_PGM_RSRC2:TGID_Z_EN: 0
; COMPUTE_PGM_RSRC2:TIDIG_COMP_CNT: 0
	.section	.text._ZN7rocprim17ROCPRIM_400000_NS6detail17trampoline_kernelINS0_14default_configENS1_36segmented_radix_sort_config_selectorIalEEZNS1_25segmented_radix_sort_implIS3_Lb1EPKaPaPKlPlN2at6native12_GLOBAL__N_18offset_tEEE10hipError_tPvRmT1_PNSt15iterator_traitsISK_E10value_typeET2_T3_PNSL_ISQ_E10value_typeET4_jRbjT5_SW_jjP12ihipStream_tbEUlT_E_NS1_11comp_targetILNS1_3genE3ELNS1_11target_archE908ELNS1_3gpuE7ELNS1_3repE0EEENS1_30default_config_static_selectorELNS0_4arch9wavefront6targetE0EEEvSK_,"axG",@progbits,_ZN7rocprim17ROCPRIM_400000_NS6detail17trampoline_kernelINS0_14default_configENS1_36segmented_radix_sort_config_selectorIalEEZNS1_25segmented_radix_sort_implIS3_Lb1EPKaPaPKlPlN2at6native12_GLOBAL__N_18offset_tEEE10hipError_tPvRmT1_PNSt15iterator_traitsISK_E10value_typeET2_T3_PNSL_ISQ_E10value_typeET4_jRbjT5_SW_jjP12ihipStream_tbEUlT_E_NS1_11comp_targetILNS1_3genE3ELNS1_11target_archE908ELNS1_3gpuE7ELNS1_3repE0EEENS1_30default_config_static_selectorELNS0_4arch9wavefront6targetE0EEEvSK_,comdat
	.globl	_ZN7rocprim17ROCPRIM_400000_NS6detail17trampoline_kernelINS0_14default_configENS1_36segmented_radix_sort_config_selectorIalEEZNS1_25segmented_radix_sort_implIS3_Lb1EPKaPaPKlPlN2at6native12_GLOBAL__N_18offset_tEEE10hipError_tPvRmT1_PNSt15iterator_traitsISK_E10value_typeET2_T3_PNSL_ISQ_E10value_typeET4_jRbjT5_SW_jjP12ihipStream_tbEUlT_E_NS1_11comp_targetILNS1_3genE3ELNS1_11target_archE908ELNS1_3gpuE7ELNS1_3repE0EEENS1_30default_config_static_selectorELNS0_4arch9wavefront6targetE0EEEvSK_ ; -- Begin function _ZN7rocprim17ROCPRIM_400000_NS6detail17trampoline_kernelINS0_14default_configENS1_36segmented_radix_sort_config_selectorIalEEZNS1_25segmented_radix_sort_implIS3_Lb1EPKaPaPKlPlN2at6native12_GLOBAL__N_18offset_tEEE10hipError_tPvRmT1_PNSt15iterator_traitsISK_E10value_typeET2_T3_PNSL_ISQ_E10value_typeET4_jRbjT5_SW_jjP12ihipStream_tbEUlT_E_NS1_11comp_targetILNS1_3genE3ELNS1_11target_archE908ELNS1_3gpuE7ELNS1_3repE0EEENS1_30default_config_static_selectorELNS0_4arch9wavefront6targetE0EEEvSK_
	.p2align	8
	.type	_ZN7rocprim17ROCPRIM_400000_NS6detail17trampoline_kernelINS0_14default_configENS1_36segmented_radix_sort_config_selectorIalEEZNS1_25segmented_radix_sort_implIS3_Lb1EPKaPaPKlPlN2at6native12_GLOBAL__N_18offset_tEEE10hipError_tPvRmT1_PNSt15iterator_traitsISK_E10value_typeET2_T3_PNSL_ISQ_E10value_typeET4_jRbjT5_SW_jjP12ihipStream_tbEUlT_E_NS1_11comp_targetILNS1_3genE3ELNS1_11target_archE908ELNS1_3gpuE7ELNS1_3repE0EEENS1_30default_config_static_selectorELNS0_4arch9wavefront6targetE0EEEvSK_,@function
_ZN7rocprim17ROCPRIM_400000_NS6detail17trampoline_kernelINS0_14default_configENS1_36segmented_radix_sort_config_selectorIalEEZNS1_25segmented_radix_sort_implIS3_Lb1EPKaPaPKlPlN2at6native12_GLOBAL__N_18offset_tEEE10hipError_tPvRmT1_PNSt15iterator_traitsISK_E10value_typeET2_T3_PNSL_ISQ_E10value_typeET4_jRbjT5_SW_jjP12ihipStream_tbEUlT_E_NS1_11comp_targetILNS1_3genE3ELNS1_11target_archE908ELNS1_3gpuE7ELNS1_3repE0EEENS1_30default_config_static_selectorELNS0_4arch9wavefront6targetE0EEEvSK_: ; @_ZN7rocprim17ROCPRIM_400000_NS6detail17trampoline_kernelINS0_14default_configENS1_36segmented_radix_sort_config_selectorIalEEZNS1_25segmented_radix_sort_implIS3_Lb1EPKaPaPKlPlN2at6native12_GLOBAL__N_18offset_tEEE10hipError_tPvRmT1_PNSt15iterator_traitsISK_E10value_typeET2_T3_PNSL_ISQ_E10value_typeET4_jRbjT5_SW_jjP12ihipStream_tbEUlT_E_NS1_11comp_targetILNS1_3genE3ELNS1_11target_archE908ELNS1_3gpuE7ELNS1_3repE0EEENS1_30default_config_static_selectorELNS0_4arch9wavefront6targetE0EEEvSK_
; %bb.0:
	.section	.rodata,"a",@progbits
	.p2align	6, 0x0
	.amdhsa_kernel _ZN7rocprim17ROCPRIM_400000_NS6detail17trampoline_kernelINS0_14default_configENS1_36segmented_radix_sort_config_selectorIalEEZNS1_25segmented_radix_sort_implIS3_Lb1EPKaPaPKlPlN2at6native12_GLOBAL__N_18offset_tEEE10hipError_tPvRmT1_PNSt15iterator_traitsISK_E10value_typeET2_T3_PNSL_ISQ_E10value_typeET4_jRbjT5_SW_jjP12ihipStream_tbEUlT_E_NS1_11comp_targetILNS1_3genE3ELNS1_11target_archE908ELNS1_3gpuE7ELNS1_3repE0EEENS1_30default_config_static_selectorELNS0_4arch9wavefront6targetE0EEEvSK_
		.amdhsa_group_segment_fixed_size 0
		.amdhsa_private_segment_fixed_size 0
		.amdhsa_kernarg_size 96
		.amdhsa_user_sgpr_count 2
		.amdhsa_user_sgpr_dispatch_ptr 0
		.amdhsa_user_sgpr_queue_ptr 0
		.amdhsa_user_sgpr_kernarg_segment_ptr 1
		.amdhsa_user_sgpr_dispatch_id 0
		.amdhsa_user_sgpr_private_segment_size 0
		.amdhsa_wavefront_size32 1
		.amdhsa_uses_dynamic_stack 0
		.amdhsa_enable_private_segment 0
		.amdhsa_system_sgpr_workgroup_id_x 1
		.amdhsa_system_sgpr_workgroup_id_y 0
		.amdhsa_system_sgpr_workgroup_id_z 0
		.amdhsa_system_sgpr_workgroup_info 0
		.amdhsa_system_vgpr_workitem_id 0
		.amdhsa_next_free_vgpr 1
		.amdhsa_next_free_sgpr 1
		.amdhsa_reserve_vcc 0
		.amdhsa_float_round_mode_32 0
		.amdhsa_float_round_mode_16_64 0
		.amdhsa_float_denorm_mode_32 3
		.amdhsa_float_denorm_mode_16_64 3
		.amdhsa_fp16_overflow 0
		.amdhsa_workgroup_processor_mode 1
		.amdhsa_memory_ordered 1
		.amdhsa_forward_progress 1
		.amdhsa_inst_pref_size 0
		.amdhsa_round_robin_scheduling 0
		.amdhsa_exception_fp_ieee_invalid_op 0
		.amdhsa_exception_fp_denorm_src 0
		.amdhsa_exception_fp_ieee_div_zero 0
		.amdhsa_exception_fp_ieee_overflow 0
		.amdhsa_exception_fp_ieee_underflow 0
		.amdhsa_exception_fp_ieee_inexact 0
		.amdhsa_exception_int_div_zero 0
	.end_amdhsa_kernel
	.section	.text._ZN7rocprim17ROCPRIM_400000_NS6detail17trampoline_kernelINS0_14default_configENS1_36segmented_radix_sort_config_selectorIalEEZNS1_25segmented_radix_sort_implIS3_Lb1EPKaPaPKlPlN2at6native12_GLOBAL__N_18offset_tEEE10hipError_tPvRmT1_PNSt15iterator_traitsISK_E10value_typeET2_T3_PNSL_ISQ_E10value_typeET4_jRbjT5_SW_jjP12ihipStream_tbEUlT_E_NS1_11comp_targetILNS1_3genE3ELNS1_11target_archE908ELNS1_3gpuE7ELNS1_3repE0EEENS1_30default_config_static_selectorELNS0_4arch9wavefront6targetE0EEEvSK_,"axG",@progbits,_ZN7rocprim17ROCPRIM_400000_NS6detail17trampoline_kernelINS0_14default_configENS1_36segmented_radix_sort_config_selectorIalEEZNS1_25segmented_radix_sort_implIS3_Lb1EPKaPaPKlPlN2at6native12_GLOBAL__N_18offset_tEEE10hipError_tPvRmT1_PNSt15iterator_traitsISK_E10value_typeET2_T3_PNSL_ISQ_E10value_typeET4_jRbjT5_SW_jjP12ihipStream_tbEUlT_E_NS1_11comp_targetILNS1_3genE3ELNS1_11target_archE908ELNS1_3gpuE7ELNS1_3repE0EEENS1_30default_config_static_selectorELNS0_4arch9wavefront6targetE0EEEvSK_,comdat
.Lfunc_end293:
	.size	_ZN7rocprim17ROCPRIM_400000_NS6detail17trampoline_kernelINS0_14default_configENS1_36segmented_radix_sort_config_selectorIalEEZNS1_25segmented_radix_sort_implIS3_Lb1EPKaPaPKlPlN2at6native12_GLOBAL__N_18offset_tEEE10hipError_tPvRmT1_PNSt15iterator_traitsISK_E10value_typeET2_T3_PNSL_ISQ_E10value_typeET4_jRbjT5_SW_jjP12ihipStream_tbEUlT_E_NS1_11comp_targetILNS1_3genE3ELNS1_11target_archE908ELNS1_3gpuE7ELNS1_3repE0EEENS1_30default_config_static_selectorELNS0_4arch9wavefront6targetE0EEEvSK_, .Lfunc_end293-_ZN7rocprim17ROCPRIM_400000_NS6detail17trampoline_kernelINS0_14default_configENS1_36segmented_radix_sort_config_selectorIalEEZNS1_25segmented_radix_sort_implIS3_Lb1EPKaPaPKlPlN2at6native12_GLOBAL__N_18offset_tEEE10hipError_tPvRmT1_PNSt15iterator_traitsISK_E10value_typeET2_T3_PNSL_ISQ_E10value_typeET4_jRbjT5_SW_jjP12ihipStream_tbEUlT_E_NS1_11comp_targetILNS1_3genE3ELNS1_11target_archE908ELNS1_3gpuE7ELNS1_3repE0EEENS1_30default_config_static_selectorELNS0_4arch9wavefront6targetE0EEEvSK_
                                        ; -- End function
	.set _ZN7rocprim17ROCPRIM_400000_NS6detail17trampoline_kernelINS0_14default_configENS1_36segmented_radix_sort_config_selectorIalEEZNS1_25segmented_radix_sort_implIS3_Lb1EPKaPaPKlPlN2at6native12_GLOBAL__N_18offset_tEEE10hipError_tPvRmT1_PNSt15iterator_traitsISK_E10value_typeET2_T3_PNSL_ISQ_E10value_typeET4_jRbjT5_SW_jjP12ihipStream_tbEUlT_E_NS1_11comp_targetILNS1_3genE3ELNS1_11target_archE908ELNS1_3gpuE7ELNS1_3repE0EEENS1_30default_config_static_selectorELNS0_4arch9wavefront6targetE0EEEvSK_.num_vgpr, 0
	.set _ZN7rocprim17ROCPRIM_400000_NS6detail17trampoline_kernelINS0_14default_configENS1_36segmented_radix_sort_config_selectorIalEEZNS1_25segmented_radix_sort_implIS3_Lb1EPKaPaPKlPlN2at6native12_GLOBAL__N_18offset_tEEE10hipError_tPvRmT1_PNSt15iterator_traitsISK_E10value_typeET2_T3_PNSL_ISQ_E10value_typeET4_jRbjT5_SW_jjP12ihipStream_tbEUlT_E_NS1_11comp_targetILNS1_3genE3ELNS1_11target_archE908ELNS1_3gpuE7ELNS1_3repE0EEENS1_30default_config_static_selectorELNS0_4arch9wavefront6targetE0EEEvSK_.num_agpr, 0
	.set _ZN7rocprim17ROCPRIM_400000_NS6detail17trampoline_kernelINS0_14default_configENS1_36segmented_radix_sort_config_selectorIalEEZNS1_25segmented_radix_sort_implIS3_Lb1EPKaPaPKlPlN2at6native12_GLOBAL__N_18offset_tEEE10hipError_tPvRmT1_PNSt15iterator_traitsISK_E10value_typeET2_T3_PNSL_ISQ_E10value_typeET4_jRbjT5_SW_jjP12ihipStream_tbEUlT_E_NS1_11comp_targetILNS1_3genE3ELNS1_11target_archE908ELNS1_3gpuE7ELNS1_3repE0EEENS1_30default_config_static_selectorELNS0_4arch9wavefront6targetE0EEEvSK_.numbered_sgpr, 0
	.set _ZN7rocprim17ROCPRIM_400000_NS6detail17trampoline_kernelINS0_14default_configENS1_36segmented_radix_sort_config_selectorIalEEZNS1_25segmented_radix_sort_implIS3_Lb1EPKaPaPKlPlN2at6native12_GLOBAL__N_18offset_tEEE10hipError_tPvRmT1_PNSt15iterator_traitsISK_E10value_typeET2_T3_PNSL_ISQ_E10value_typeET4_jRbjT5_SW_jjP12ihipStream_tbEUlT_E_NS1_11comp_targetILNS1_3genE3ELNS1_11target_archE908ELNS1_3gpuE7ELNS1_3repE0EEENS1_30default_config_static_selectorELNS0_4arch9wavefront6targetE0EEEvSK_.num_named_barrier, 0
	.set _ZN7rocprim17ROCPRIM_400000_NS6detail17trampoline_kernelINS0_14default_configENS1_36segmented_radix_sort_config_selectorIalEEZNS1_25segmented_radix_sort_implIS3_Lb1EPKaPaPKlPlN2at6native12_GLOBAL__N_18offset_tEEE10hipError_tPvRmT1_PNSt15iterator_traitsISK_E10value_typeET2_T3_PNSL_ISQ_E10value_typeET4_jRbjT5_SW_jjP12ihipStream_tbEUlT_E_NS1_11comp_targetILNS1_3genE3ELNS1_11target_archE908ELNS1_3gpuE7ELNS1_3repE0EEENS1_30default_config_static_selectorELNS0_4arch9wavefront6targetE0EEEvSK_.private_seg_size, 0
	.set _ZN7rocprim17ROCPRIM_400000_NS6detail17trampoline_kernelINS0_14default_configENS1_36segmented_radix_sort_config_selectorIalEEZNS1_25segmented_radix_sort_implIS3_Lb1EPKaPaPKlPlN2at6native12_GLOBAL__N_18offset_tEEE10hipError_tPvRmT1_PNSt15iterator_traitsISK_E10value_typeET2_T3_PNSL_ISQ_E10value_typeET4_jRbjT5_SW_jjP12ihipStream_tbEUlT_E_NS1_11comp_targetILNS1_3genE3ELNS1_11target_archE908ELNS1_3gpuE7ELNS1_3repE0EEENS1_30default_config_static_selectorELNS0_4arch9wavefront6targetE0EEEvSK_.uses_vcc, 0
	.set _ZN7rocprim17ROCPRIM_400000_NS6detail17trampoline_kernelINS0_14default_configENS1_36segmented_radix_sort_config_selectorIalEEZNS1_25segmented_radix_sort_implIS3_Lb1EPKaPaPKlPlN2at6native12_GLOBAL__N_18offset_tEEE10hipError_tPvRmT1_PNSt15iterator_traitsISK_E10value_typeET2_T3_PNSL_ISQ_E10value_typeET4_jRbjT5_SW_jjP12ihipStream_tbEUlT_E_NS1_11comp_targetILNS1_3genE3ELNS1_11target_archE908ELNS1_3gpuE7ELNS1_3repE0EEENS1_30default_config_static_selectorELNS0_4arch9wavefront6targetE0EEEvSK_.uses_flat_scratch, 0
	.set _ZN7rocprim17ROCPRIM_400000_NS6detail17trampoline_kernelINS0_14default_configENS1_36segmented_radix_sort_config_selectorIalEEZNS1_25segmented_radix_sort_implIS3_Lb1EPKaPaPKlPlN2at6native12_GLOBAL__N_18offset_tEEE10hipError_tPvRmT1_PNSt15iterator_traitsISK_E10value_typeET2_T3_PNSL_ISQ_E10value_typeET4_jRbjT5_SW_jjP12ihipStream_tbEUlT_E_NS1_11comp_targetILNS1_3genE3ELNS1_11target_archE908ELNS1_3gpuE7ELNS1_3repE0EEENS1_30default_config_static_selectorELNS0_4arch9wavefront6targetE0EEEvSK_.has_dyn_sized_stack, 0
	.set _ZN7rocprim17ROCPRIM_400000_NS6detail17trampoline_kernelINS0_14default_configENS1_36segmented_radix_sort_config_selectorIalEEZNS1_25segmented_radix_sort_implIS3_Lb1EPKaPaPKlPlN2at6native12_GLOBAL__N_18offset_tEEE10hipError_tPvRmT1_PNSt15iterator_traitsISK_E10value_typeET2_T3_PNSL_ISQ_E10value_typeET4_jRbjT5_SW_jjP12ihipStream_tbEUlT_E_NS1_11comp_targetILNS1_3genE3ELNS1_11target_archE908ELNS1_3gpuE7ELNS1_3repE0EEENS1_30default_config_static_selectorELNS0_4arch9wavefront6targetE0EEEvSK_.has_recursion, 0
	.set _ZN7rocprim17ROCPRIM_400000_NS6detail17trampoline_kernelINS0_14default_configENS1_36segmented_radix_sort_config_selectorIalEEZNS1_25segmented_radix_sort_implIS3_Lb1EPKaPaPKlPlN2at6native12_GLOBAL__N_18offset_tEEE10hipError_tPvRmT1_PNSt15iterator_traitsISK_E10value_typeET2_T3_PNSL_ISQ_E10value_typeET4_jRbjT5_SW_jjP12ihipStream_tbEUlT_E_NS1_11comp_targetILNS1_3genE3ELNS1_11target_archE908ELNS1_3gpuE7ELNS1_3repE0EEENS1_30default_config_static_selectorELNS0_4arch9wavefront6targetE0EEEvSK_.has_indirect_call, 0
	.section	.AMDGPU.csdata,"",@progbits
; Kernel info:
; codeLenInByte = 0
; TotalNumSgprs: 0
; NumVgprs: 0
; ScratchSize: 0
; MemoryBound: 0
; FloatMode: 240
; IeeeMode: 1
; LDSByteSize: 0 bytes/workgroup (compile time only)
; SGPRBlocks: 0
; VGPRBlocks: 0
; NumSGPRsForWavesPerEU: 1
; NumVGPRsForWavesPerEU: 1
; Occupancy: 16
; WaveLimiterHint : 0
; COMPUTE_PGM_RSRC2:SCRATCH_EN: 0
; COMPUTE_PGM_RSRC2:USER_SGPR: 2
; COMPUTE_PGM_RSRC2:TRAP_HANDLER: 0
; COMPUTE_PGM_RSRC2:TGID_X_EN: 1
; COMPUTE_PGM_RSRC2:TGID_Y_EN: 0
; COMPUTE_PGM_RSRC2:TGID_Z_EN: 0
; COMPUTE_PGM_RSRC2:TIDIG_COMP_CNT: 0
	.section	.text._ZN7rocprim17ROCPRIM_400000_NS6detail17trampoline_kernelINS0_14default_configENS1_36segmented_radix_sort_config_selectorIalEEZNS1_25segmented_radix_sort_implIS3_Lb1EPKaPaPKlPlN2at6native12_GLOBAL__N_18offset_tEEE10hipError_tPvRmT1_PNSt15iterator_traitsISK_E10value_typeET2_T3_PNSL_ISQ_E10value_typeET4_jRbjT5_SW_jjP12ihipStream_tbEUlT_E_NS1_11comp_targetILNS1_3genE2ELNS1_11target_archE906ELNS1_3gpuE6ELNS1_3repE0EEENS1_30default_config_static_selectorELNS0_4arch9wavefront6targetE0EEEvSK_,"axG",@progbits,_ZN7rocprim17ROCPRIM_400000_NS6detail17trampoline_kernelINS0_14default_configENS1_36segmented_radix_sort_config_selectorIalEEZNS1_25segmented_radix_sort_implIS3_Lb1EPKaPaPKlPlN2at6native12_GLOBAL__N_18offset_tEEE10hipError_tPvRmT1_PNSt15iterator_traitsISK_E10value_typeET2_T3_PNSL_ISQ_E10value_typeET4_jRbjT5_SW_jjP12ihipStream_tbEUlT_E_NS1_11comp_targetILNS1_3genE2ELNS1_11target_archE906ELNS1_3gpuE6ELNS1_3repE0EEENS1_30default_config_static_selectorELNS0_4arch9wavefront6targetE0EEEvSK_,comdat
	.globl	_ZN7rocprim17ROCPRIM_400000_NS6detail17trampoline_kernelINS0_14default_configENS1_36segmented_radix_sort_config_selectorIalEEZNS1_25segmented_radix_sort_implIS3_Lb1EPKaPaPKlPlN2at6native12_GLOBAL__N_18offset_tEEE10hipError_tPvRmT1_PNSt15iterator_traitsISK_E10value_typeET2_T3_PNSL_ISQ_E10value_typeET4_jRbjT5_SW_jjP12ihipStream_tbEUlT_E_NS1_11comp_targetILNS1_3genE2ELNS1_11target_archE906ELNS1_3gpuE6ELNS1_3repE0EEENS1_30default_config_static_selectorELNS0_4arch9wavefront6targetE0EEEvSK_ ; -- Begin function _ZN7rocprim17ROCPRIM_400000_NS6detail17trampoline_kernelINS0_14default_configENS1_36segmented_radix_sort_config_selectorIalEEZNS1_25segmented_radix_sort_implIS3_Lb1EPKaPaPKlPlN2at6native12_GLOBAL__N_18offset_tEEE10hipError_tPvRmT1_PNSt15iterator_traitsISK_E10value_typeET2_T3_PNSL_ISQ_E10value_typeET4_jRbjT5_SW_jjP12ihipStream_tbEUlT_E_NS1_11comp_targetILNS1_3genE2ELNS1_11target_archE906ELNS1_3gpuE6ELNS1_3repE0EEENS1_30default_config_static_selectorELNS0_4arch9wavefront6targetE0EEEvSK_
	.p2align	8
	.type	_ZN7rocprim17ROCPRIM_400000_NS6detail17trampoline_kernelINS0_14default_configENS1_36segmented_radix_sort_config_selectorIalEEZNS1_25segmented_radix_sort_implIS3_Lb1EPKaPaPKlPlN2at6native12_GLOBAL__N_18offset_tEEE10hipError_tPvRmT1_PNSt15iterator_traitsISK_E10value_typeET2_T3_PNSL_ISQ_E10value_typeET4_jRbjT5_SW_jjP12ihipStream_tbEUlT_E_NS1_11comp_targetILNS1_3genE2ELNS1_11target_archE906ELNS1_3gpuE6ELNS1_3repE0EEENS1_30default_config_static_selectorELNS0_4arch9wavefront6targetE0EEEvSK_,@function
_ZN7rocprim17ROCPRIM_400000_NS6detail17trampoline_kernelINS0_14default_configENS1_36segmented_radix_sort_config_selectorIalEEZNS1_25segmented_radix_sort_implIS3_Lb1EPKaPaPKlPlN2at6native12_GLOBAL__N_18offset_tEEE10hipError_tPvRmT1_PNSt15iterator_traitsISK_E10value_typeET2_T3_PNSL_ISQ_E10value_typeET4_jRbjT5_SW_jjP12ihipStream_tbEUlT_E_NS1_11comp_targetILNS1_3genE2ELNS1_11target_archE906ELNS1_3gpuE6ELNS1_3repE0EEENS1_30default_config_static_selectorELNS0_4arch9wavefront6targetE0EEEvSK_: ; @_ZN7rocprim17ROCPRIM_400000_NS6detail17trampoline_kernelINS0_14default_configENS1_36segmented_radix_sort_config_selectorIalEEZNS1_25segmented_radix_sort_implIS3_Lb1EPKaPaPKlPlN2at6native12_GLOBAL__N_18offset_tEEE10hipError_tPvRmT1_PNSt15iterator_traitsISK_E10value_typeET2_T3_PNSL_ISQ_E10value_typeET4_jRbjT5_SW_jjP12ihipStream_tbEUlT_E_NS1_11comp_targetILNS1_3genE2ELNS1_11target_archE906ELNS1_3gpuE6ELNS1_3repE0EEENS1_30default_config_static_selectorELNS0_4arch9wavefront6targetE0EEEvSK_
; %bb.0:
	.section	.rodata,"a",@progbits
	.p2align	6, 0x0
	.amdhsa_kernel _ZN7rocprim17ROCPRIM_400000_NS6detail17trampoline_kernelINS0_14default_configENS1_36segmented_radix_sort_config_selectorIalEEZNS1_25segmented_radix_sort_implIS3_Lb1EPKaPaPKlPlN2at6native12_GLOBAL__N_18offset_tEEE10hipError_tPvRmT1_PNSt15iterator_traitsISK_E10value_typeET2_T3_PNSL_ISQ_E10value_typeET4_jRbjT5_SW_jjP12ihipStream_tbEUlT_E_NS1_11comp_targetILNS1_3genE2ELNS1_11target_archE906ELNS1_3gpuE6ELNS1_3repE0EEENS1_30default_config_static_selectorELNS0_4arch9wavefront6targetE0EEEvSK_
		.amdhsa_group_segment_fixed_size 0
		.amdhsa_private_segment_fixed_size 0
		.amdhsa_kernarg_size 96
		.amdhsa_user_sgpr_count 2
		.amdhsa_user_sgpr_dispatch_ptr 0
		.amdhsa_user_sgpr_queue_ptr 0
		.amdhsa_user_sgpr_kernarg_segment_ptr 1
		.amdhsa_user_sgpr_dispatch_id 0
		.amdhsa_user_sgpr_private_segment_size 0
		.amdhsa_wavefront_size32 1
		.amdhsa_uses_dynamic_stack 0
		.amdhsa_enable_private_segment 0
		.amdhsa_system_sgpr_workgroup_id_x 1
		.amdhsa_system_sgpr_workgroup_id_y 0
		.amdhsa_system_sgpr_workgroup_id_z 0
		.amdhsa_system_sgpr_workgroup_info 0
		.amdhsa_system_vgpr_workitem_id 0
		.amdhsa_next_free_vgpr 1
		.amdhsa_next_free_sgpr 1
		.amdhsa_reserve_vcc 0
		.amdhsa_float_round_mode_32 0
		.amdhsa_float_round_mode_16_64 0
		.amdhsa_float_denorm_mode_32 3
		.amdhsa_float_denorm_mode_16_64 3
		.amdhsa_fp16_overflow 0
		.amdhsa_workgroup_processor_mode 1
		.amdhsa_memory_ordered 1
		.amdhsa_forward_progress 1
		.amdhsa_inst_pref_size 0
		.amdhsa_round_robin_scheduling 0
		.amdhsa_exception_fp_ieee_invalid_op 0
		.amdhsa_exception_fp_denorm_src 0
		.amdhsa_exception_fp_ieee_div_zero 0
		.amdhsa_exception_fp_ieee_overflow 0
		.amdhsa_exception_fp_ieee_underflow 0
		.amdhsa_exception_fp_ieee_inexact 0
		.amdhsa_exception_int_div_zero 0
	.end_amdhsa_kernel
	.section	.text._ZN7rocprim17ROCPRIM_400000_NS6detail17trampoline_kernelINS0_14default_configENS1_36segmented_radix_sort_config_selectorIalEEZNS1_25segmented_radix_sort_implIS3_Lb1EPKaPaPKlPlN2at6native12_GLOBAL__N_18offset_tEEE10hipError_tPvRmT1_PNSt15iterator_traitsISK_E10value_typeET2_T3_PNSL_ISQ_E10value_typeET4_jRbjT5_SW_jjP12ihipStream_tbEUlT_E_NS1_11comp_targetILNS1_3genE2ELNS1_11target_archE906ELNS1_3gpuE6ELNS1_3repE0EEENS1_30default_config_static_selectorELNS0_4arch9wavefront6targetE0EEEvSK_,"axG",@progbits,_ZN7rocprim17ROCPRIM_400000_NS6detail17trampoline_kernelINS0_14default_configENS1_36segmented_radix_sort_config_selectorIalEEZNS1_25segmented_radix_sort_implIS3_Lb1EPKaPaPKlPlN2at6native12_GLOBAL__N_18offset_tEEE10hipError_tPvRmT1_PNSt15iterator_traitsISK_E10value_typeET2_T3_PNSL_ISQ_E10value_typeET4_jRbjT5_SW_jjP12ihipStream_tbEUlT_E_NS1_11comp_targetILNS1_3genE2ELNS1_11target_archE906ELNS1_3gpuE6ELNS1_3repE0EEENS1_30default_config_static_selectorELNS0_4arch9wavefront6targetE0EEEvSK_,comdat
.Lfunc_end294:
	.size	_ZN7rocprim17ROCPRIM_400000_NS6detail17trampoline_kernelINS0_14default_configENS1_36segmented_radix_sort_config_selectorIalEEZNS1_25segmented_radix_sort_implIS3_Lb1EPKaPaPKlPlN2at6native12_GLOBAL__N_18offset_tEEE10hipError_tPvRmT1_PNSt15iterator_traitsISK_E10value_typeET2_T3_PNSL_ISQ_E10value_typeET4_jRbjT5_SW_jjP12ihipStream_tbEUlT_E_NS1_11comp_targetILNS1_3genE2ELNS1_11target_archE906ELNS1_3gpuE6ELNS1_3repE0EEENS1_30default_config_static_selectorELNS0_4arch9wavefront6targetE0EEEvSK_, .Lfunc_end294-_ZN7rocprim17ROCPRIM_400000_NS6detail17trampoline_kernelINS0_14default_configENS1_36segmented_radix_sort_config_selectorIalEEZNS1_25segmented_radix_sort_implIS3_Lb1EPKaPaPKlPlN2at6native12_GLOBAL__N_18offset_tEEE10hipError_tPvRmT1_PNSt15iterator_traitsISK_E10value_typeET2_T3_PNSL_ISQ_E10value_typeET4_jRbjT5_SW_jjP12ihipStream_tbEUlT_E_NS1_11comp_targetILNS1_3genE2ELNS1_11target_archE906ELNS1_3gpuE6ELNS1_3repE0EEENS1_30default_config_static_selectorELNS0_4arch9wavefront6targetE0EEEvSK_
                                        ; -- End function
	.set _ZN7rocprim17ROCPRIM_400000_NS6detail17trampoline_kernelINS0_14default_configENS1_36segmented_radix_sort_config_selectorIalEEZNS1_25segmented_radix_sort_implIS3_Lb1EPKaPaPKlPlN2at6native12_GLOBAL__N_18offset_tEEE10hipError_tPvRmT1_PNSt15iterator_traitsISK_E10value_typeET2_T3_PNSL_ISQ_E10value_typeET4_jRbjT5_SW_jjP12ihipStream_tbEUlT_E_NS1_11comp_targetILNS1_3genE2ELNS1_11target_archE906ELNS1_3gpuE6ELNS1_3repE0EEENS1_30default_config_static_selectorELNS0_4arch9wavefront6targetE0EEEvSK_.num_vgpr, 0
	.set _ZN7rocprim17ROCPRIM_400000_NS6detail17trampoline_kernelINS0_14default_configENS1_36segmented_radix_sort_config_selectorIalEEZNS1_25segmented_radix_sort_implIS3_Lb1EPKaPaPKlPlN2at6native12_GLOBAL__N_18offset_tEEE10hipError_tPvRmT1_PNSt15iterator_traitsISK_E10value_typeET2_T3_PNSL_ISQ_E10value_typeET4_jRbjT5_SW_jjP12ihipStream_tbEUlT_E_NS1_11comp_targetILNS1_3genE2ELNS1_11target_archE906ELNS1_3gpuE6ELNS1_3repE0EEENS1_30default_config_static_selectorELNS0_4arch9wavefront6targetE0EEEvSK_.num_agpr, 0
	.set _ZN7rocprim17ROCPRIM_400000_NS6detail17trampoline_kernelINS0_14default_configENS1_36segmented_radix_sort_config_selectorIalEEZNS1_25segmented_radix_sort_implIS3_Lb1EPKaPaPKlPlN2at6native12_GLOBAL__N_18offset_tEEE10hipError_tPvRmT1_PNSt15iterator_traitsISK_E10value_typeET2_T3_PNSL_ISQ_E10value_typeET4_jRbjT5_SW_jjP12ihipStream_tbEUlT_E_NS1_11comp_targetILNS1_3genE2ELNS1_11target_archE906ELNS1_3gpuE6ELNS1_3repE0EEENS1_30default_config_static_selectorELNS0_4arch9wavefront6targetE0EEEvSK_.numbered_sgpr, 0
	.set _ZN7rocprim17ROCPRIM_400000_NS6detail17trampoline_kernelINS0_14default_configENS1_36segmented_radix_sort_config_selectorIalEEZNS1_25segmented_radix_sort_implIS3_Lb1EPKaPaPKlPlN2at6native12_GLOBAL__N_18offset_tEEE10hipError_tPvRmT1_PNSt15iterator_traitsISK_E10value_typeET2_T3_PNSL_ISQ_E10value_typeET4_jRbjT5_SW_jjP12ihipStream_tbEUlT_E_NS1_11comp_targetILNS1_3genE2ELNS1_11target_archE906ELNS1_3gpuE6ELNS1_3repE0EEENS1_30default_config_static_selectorELNS0_4arch9wavefront6targetE0EEEvSK_.num_named_barrier, 0
	.set _ZN7rocprim17ROCPRIM_400000_NS6detail17trampoline_kernelINS0_14default_configENS1_36segmented_radix_sort_config_selectorIalEEZNS1_25segmented_radix_sort_implIS3_Lb1EPKaPaPKlPlN2at6native12_GLOBAL__N_18offset_tEEE10hipError_tPvRmT1_PNSt15iterator_traitsISK_E10value_typeET2_T3_PNSL_ISQ_E10value_typeET4_jRbjT5_SW_jjP12ihipStream_tbEUlT_E_NS1_11comp_targetILNS1_3genE2ELNS1_11target_archE906ELNS1_3gpuE6ELNS1_3repE0EEENS1_30default_config_static_selectorELNS0_4arch9wavefront6targetE0EEEvSK_.private_seg_size, 0
	.set _ZN7rocprim17ROCPRIM_400000_NS6detail17trampoline_kernelINS0_14default_configENS1_36segmented_radix_sort_config_selectorIalEEZNS1_25segmented_radix_sort_implIS3_Lb1EPKaPaPKlPlN2at6native12_GLOBAL__N_18offset_tEEE10hipError_tPvRmT1_PNSt15iterator_traitsISK_E10value_typeET2_T3_PNSL_ISQ_E10value_typeET4_jRbjT5_SW_jjP12ihipStream_tbEUlT_E_NS1_11comp_targetILNS1_3genE2ELNS1_11target_archE906ELNS1_3gpuE6ELNS1_3repE0EEENS1_30default_config_static_selectorELNS0_4arch9wavefront6targetE0EEEvSK_.uses_vcc, 0
	.set _ZN7rocprim17ROCPRIM_400000_NS6detail17trampoline_kernelINS0_14default_configENS1_36segmented_radix_sort_config_selectorIalEEZNS1_25segmented_radix_sort_implIS3_Lb1EPKaPaPKlPlN2at6native12_GLOBAL__N_18offset_tEEE10hipError_tPvRmT1_PNSt15iterator_traitsISK_E10value_typeET2_T3_PNSL_ISQ_E10value_typeET4_jRbjT5_SW_jjP12ihipStream_tbEUlT_E_NS1_11comp_targetILNS1_3genE2ELNS1_11target_archE906ELNS1_3gpuE6ELNS1_3repE0EEENS1_30default_config_static_selectorELNS0_4arch9wavefront6targetE0EEEvSK_.uses_flat_scratch, 0
	.set _ZN7rocprim17ROCPRIM_400000_NS6detail17trampoline_kernelINS0_14default_configENS1_36segmented_radix_sort_config_selectorIalEEZNS1_25segmented_radix_sort_implIS3_Lb1EPKaPaPKlPlN2at6native12_GLOBAL__N_18offset_tEEE10hipError_tPvRmT1_PNSt15iterator_traitsISK_E10value_typeET2_T3_PNSL_ISQ_E10value_typeET4_jRbjT5_SW_jjP12ihipStream_tbEUlT_E_NS1_11comp_targetILNS1_3genE2ELNS1_11target_archE906ELNS1_3gpuE6ELNS1_3repE0EEENS1_30default_config_static_selectorELNS0_4arch9wavefront6targetE0EEEvSK_.has_dyn_sized_stack, 0
	.set _ZN7rocprim17ROCPRIM_400000_NS6detail17trampoline_kernelINS0_14default_configENS1_36segmented_radix_sort_config_selectorIalEEZNS1_25segmented_radix_sort_implIS3_Lb1EPKaPaPKlPlN2at6native12_GLOBAL__N_18offset_tEEE10hipError_tPvRmT1_PNSt15iterator_traitsISK_E10value_typeET2_T3_PNSL_ISQ_E10value_typeET4_jRbjT5_SW_jjP12ihipStream_tbEUlT_E_NS1_11comp_targetILNS1_3genE2ELNS1_11target_archE906ELNS1_3gpuE6ELNS1_3repE0EEENS1_30default_config_static_selectorELNS0_4arch9wavefront6targetE0EEEvSK_.has_recursion, 0
	.set _ZN7rocprim17ROCPRIM_400000_NS6detail17trampoline_kernelINS0_14default_configENS1_36segmented_radix_sort_config_selectorIalEEZNS1_25segmented_radix_sort_implIS3_Lb1EPKaPaPKlPlN2at6native12_GLOBAL__N_18offset_tEEE10hipError_tPvRmT1_PNSt15iterator_traitsISK_E10value_typeET2_T3_PNSL_ISQ_E10value_typeET4_jRbjT5_SW_jjP12ihipStream_tbEUlT_E_NS1_11comp_targetILNS1_3genE2ELNS1_11target_archE906ELNS1_3gpuE6ELNS1_3repE0EEENS1_30default_config_static_selectorELNS0_4arch9wavefront6targetE0EEEvSK_.has_indirect_call, 0
	.section	.AMDGPU.csdata,"",@progbits
; Kernel info:
; codeLenInByte = 0
; TotalNumSgprs: 0
; NumVgprs: 0
; ScratchSize: 0
; MemoryBound: 0
; FloatMode: 240
; IeeeMode: 1
; LDSByteSize: 0 bytes/workgroup (compile time only)
; SGPRBlocks: 0
; VGPRBlocks: 0
; NumSGPRsForWavesPerEU: 1
; NumVGPRsForWavesPerEU: 1
; Occupancy: 16
; WaveLimiterHint : 0
; COMPUTE_PGM_RSRC2:SCRATCH_EN: 0
; COMPUTE_PGM_RSRC2:USER_SGPR: 2
; COMPUTE_PGM_RSRC2:TRAP_HANDLER: 0
; COMPUTE_PGM_RSRC2:TGID_X_EN: 1
; COMPUTE_PGM_RSRC2:TGID_Y_EN: 0
; COMPUTE_PGM_RSRC2:TGID_Z_EN: 0
; COMPUTE_PGM_RSRC2:TIDIG_COMP_CNT: 0
	.text
	.p2align	2                               ; -- Begin function _ZN7rocprim17ROCPRIM_400000_NS6detail40segmented_radix_sort_single_block_helperIalLj256ELj8ELb1EE4sortIPKaPaPKlPlEEbT_T0_T1_T2_jjjjRNS3_12storage_typeE
	.type	_ZN7rocprim17ROCPRIM_400000_NS6detail40segmented_radix_sort_single_block_helperIalLj256ELj8ELb1EE4sortIPKaPaPKlPlEEbT_T0_T1_T2_jjjjRNS3_12storage_typeE,@function
_ZN7rocprim17ROCPRIM_400000_NS6detail40segmented_radix_sort_single_block_helperIalLj256ELj8ELb1EE4sortIPKaPaPKlPlEEbT_T0_T1_T2_jjjjRNS3_12storage_typeE: ; @_ZN7rocprim17ROCPRIM_400000_NS6detail40segmented_radix_sort_single_block_helperIalLj256ELj8ELb1EE4sortIPKaPaPKlPlEEbT_T0_T1_T2_jjjjRNS3_12storage_typeE
; %bb.0:
	s_wait_loadcnt_dscnt 0x0
	s_wait_expcnt 0x0
	s_wait_samplecnt 0x0
	s_wait_bvhcnt 0x0
	s_wait_kmcnt 0x0
	v_sub_nc_u32_e32 v98, v9, v8
	s_mov_b32 s16, exec_lo
	s_delay_alu instid0(VALU_DEP_1)
	v_cmpx_gt_u32_e32 0x801, v98
	s_cbranch_execz .LBB295_199
; %bb.1:
	v_bfe_u32 v9, v31, 10, 10
	v_bfe_u32 v15, v31, 20, 10
	v_and_b32_e32 v14, 0x3ff, v31
	v_mbcnt_lo_u32_b32 v30, -1, 0
	s_mov_b32 s0, exec_lo
	v_cmpx_lt_u32_e32 0x400, v98
	s_wait_alu 0xfffe
	s_xor_b32 s17, exec_lo, s0
	s_cbranch_execz .LBB295_79
; %bb.2:
	s_load_b64 s[0:1], s[8:9], 0x0
	s_and_b32 s2, ttmp7, 0xffff
	s_mov_b32 s3, 0
	v_add_co_u32 v0, vcc_lo, v0, v8
	s_wait_alu 0xfffd
	v_add_co_ci_u32_e64 v1, null, 0, v1, vcc_lo
	v_dual_mov_b32 v21, 0x80 :: v_dual_mov_b32 v20, 0x80
	s_delay_alu instid0(VALU_DEP_3) | instskip(SKIP_1) | instid1(VALU_DEP_3)
	v_add_co_u32 v0, vcc_lo, v0, v30
	s_wait_alu 0xfffd
	v_add_co_ci_u32_e64 v1, null, 0, v1, vcc_lo
	v_dual_mov_b32 v17, 0x80 :: v_dual_mov_b32 v22, 0x80
	v_dual_mov_b32 v23, 0x80 :: v_dual_mov_b32 v18, 0x80
	v_mov_b32_e32 v24, 0x80
	s_wait_kmcnt 0x0
	s_wait_alu 0xfffe
	s_cmp_lt_u32 s2, s1
	s_cselect_b32 s2, 14, 20
	s_cmp_lt_u32 ttmp9, s0
	s_wait_alu 0xfffe
	s_add_nc_u64 s[4:5], s[8:9], s[2:3]
	s_cselect_b32 s2, 12, 18
	s_load_u16 s4, s[4:5], 0x0
	s_add_nc_u64 s[0:1], s[8:9], s[2:3]
	s_load_u16 s0, s[0:1], 0x0
	s_wait_kmcnt 0x0
	v_mad_u32_u24 v15, v15, s4, v9
	v_mov_b32_e32 v9, 0
	v_mov_b32_e32 v19, 0x80
	s_delay_alu instid0(VALU_DEP_3) | instskip(NEXT) | instid1(VALU_DEP_1)
	v_mad_co_u64_u32 v[25:26], null, v15, s0, v[14:15]
	v_dual_mov_b32 v16, v9 :: v_dual_lshlrev_b32 v15, 3, v25
	s_delay_alu instid0(VALU_DEP_1) | instskip(NEXT) | instid1(VALU_DEP_1)
	v_and_b32_e32 v15, 0xffffff00, v15
	v_or_b32_e32 v26, v15, v30
	v_add_co_u32 v0, vcc_lo, v0, v15
	s_wait_alu 0xfffd
	v_add_co_ci_u32_e64 v1, null, 0, v1, vcc_lo
	s_delay_alu instid0(VALU_DEP_3)
	v_cmp_lt_u32_e32 vcc_lo, v26, v98
	s_and_saveexec_b32 s0, vcc_lo
	s_cbranch_execz .LBB295_4
; %bb.3:
	flat_load_u8 v17, v[0:1]
	v_dual_mov_b32 v21, 0x80 :: v_dual_mov_b32 v18, 0x80
	v_dual_mov_b32 v19, 0x80 :: v_dual_mov_b32 v20, 0x80
	;; [unrolled: 1-line block ×3, first 2 shown]
	v_mov_b32_e32 v24, 0x80
.LBB295_4:
	s_wait_alu 0xfffe
	s_or_b32 exec_lo, exec_lo, s0
	v_or_b32_e32 v27, 32, v26
	s_delay_alu instid0(VALU_DEP_1)
	v_cmp_lt_u32_e64 s0, v27, v98
	s_and_saveexec_b32 s1, s0
	s_cbranch_execz .LBB295_6
; %bb.5:
	flat_load_u8 v19, v[0:1] offset:32
.LBB295_6:
	s_wait_alu 0xfffe
	s_or_b32 exec_lo, exec_lo, s1
	v_or_b32_e32 v27, 64, v26
	s_delay_alu instid0(VALU_DEP_1)
	v_cmp_lt_u32_e64 s1, v27, v98
	s_and_saveexec_b32 s2, s1
	s_cbranch_execz .LBB295_8
; %bb.7:
	flat_load_u8 v18, v[0:1] offset:64
.LBB295_8:
	;; [unrolled: 10-line block ×7, first 2 shown]
	s_wait_alu 0xfffe
	s_or_b32 exec_lo, exec_lo, s7
	v_lshlrev_b64_e32 v[0:1], 3, v[8:9]
	v_lshlrev_b32_e32 v9, 3, v30
                                        ; implicit-def: $vgpr32_vgpr33
	s_delay_alu instid0(VALU_DEP_2) | instskip(SKIP_1) | instid1(VALU_DEP_3)
	v_add_co_u32 v26, s7, v4, v0
	s_wait_alu 0xf1ff
	v_add_co_ci_u32_e64 v27, null, v5, v1, s7
	v_lshlrev_b64_e32 v[4:5], 3, v[15:16]
	s_delay_alu instid0(VALU_DEP_3) | instskip(SKIP_1) | instid1(VALU_DEP_3)
	v_add_co_u32 v9, s7, v26, v9
	s_wait_alu 0xf1ff
	v_add_co_ci_u32_e64 v15, null, 0, v27, s7
	s_delay_alu instid0(VALU_DEP_2) | instskip(SKIP_1) | instid1(VALU_DEP_2)
	v_add_co_u32 v4, s7, v9, v4
	s_wait_alu 0xf1ff
	v_add_co_ci_u32_e64 v5, null, v15, v5, s7
	s_and_saveexec_b32 s7, vcc_lo
	s_cbranch_execnz .LBB295_112
; %bb.19:
	s_wait_alu 0xfffe
	s_or_b32 exec_lo, exec_lo, s7
                                        ; implicit-def: $vgpr36_vgpr37
	s_and_saveexec_b32 s7, s0
	s_cbranch_execnz .LBB295_113
.LBB295_20:
	s_wait_alu 0xfffe
	s_or_b32 exec_lo, exec_lo, s7
                                        ; implicit-def: $vgpr38_vgpr39
	s_and_saveexec_b32 s0, s1
	s_cbranch_execnz .LBB295_114
.LBB295_21:
	s_wait_alu 0xfffe
	s_or_b32 exec_lo, exec_lo, s0
                                        ; implicit-def: $vgpr48_vgpr49
	s_and_saveexec_b32 s0, s2
	s_cbranch_execnz .LBB295_115
.LBB295_22:
	s_wait_alu 0xfffe
	s_or_b32 exec_lo, exec_lo, s0
                                        ; implicit-def: $vgpr50_vgpr51
	s_and_saveexec_b32 s0, s3
	s_cbranch_execnz .LBB295_116
.LBB295_23:
	s_wait_alu 0xfffe
	s_or_b32 exec_lo, exec_lo, s0
                                        ; implicit-def: $vgpr52_vgpr53
	s_and_saveexec_b32 s0, s4
	s_cbranch_execnz .LBB295_117
.LBB295_24:
	s_wait_alu 0xfffe
	s_or_b32 exec_lo, exec_lo, s0
                                        ; implicit-def: $vgpr54_vgpr55
	s_and_saveexec_b32 s0, s5
	s_cbranch_execnz .LBB295_118
.LBB295_25:
	s_wait_alu 0xfffe
	s_or_b32 exec_lo, exec_lo, s0
                                        ; implicit-def: $vgpr34_vgpr35
	s_and_saveexec_b32 s0, s6
	s_cbranch_execz .LBB295_27
.LBB295_26:
	flat_load_b64 v[34:35], v[4:5] offset:1792
.LBB295_27:
	s_wait_alu 0xfffe
	s_or_b32 exec_lo, exec_lo, s0
	s_wait_loadcnt_dscnt 0x0
	v_xor_b32_e32 v4, 0x7f, v21
	v_xor_b32_e32 v9, 0x7f, v19
	v_lshl_add_u32 v21, v14, 5, v12
	v_xor_b32_e32 v5, 0x7f, v23
	v_xor_b32_e32 v19, 0x7f, v20
	v_lshlrev_b16 v4, 8, v4
	v_lshlrev_b16 v20, 8, v9
	v_add_nc_u32_e32 v9, 32, v21
	v_add_nc_u32_e32 v99, 36, v21
	;; [unrolled: 1-line block ×8, first 2 shown]
	v_and_b32_e32 v21, 0x3e0, v14
	v_lshlrev_b16 v5, 8, v5
	v_and_b32_e32 v23, 15, v30
	v_sub_co_u32 v26, s2, v30, 1
	s_delay_alu instid0(VALU_DEP_4)
	v_min_u32_e32 v21, 0xe0, v21
	s_getpc_b64 s[0:1]
	s_wait_alu 0xfffe
	s_sext_i32_i16 s1, s1
	s_add_co_u32 s0, s0, _ZN7rocprim17ROCPRIM_400000_NS16block_radix_sortIaLj256ELj8ElLj1ELj1ELj8ELNS0_26block_radix_rank_algorithmE2ELNS0_18block_padding_hintE2ELNS0_4arch9wavefront6targetE0EE19radix_bits_per_passE@rel32@lo+12
	s_wait_alu 0xfffe
	s_add_co_ci_u32 s1, s1, _ZN7rocprim17ROCPRIM_400000_NS16block_radix_sortIaLj256ELj8ElLj1ELj1ELj8ELNS0_26block_radix_rank_algorithmE2ELNS0_18block_padding_hintE2ELNS0_4arch9wavefront6targetE0EE19radix_bits_per_passE@rel32@hi+24
	v_xor_b32_e32 v15, 0x7f, v24
	v_xor_b32_e32 v16, 0x7f, v22
	v_lshrrev_b32_e32 v4, 8, v4
	v_lshrrev_b32_e32 v5, 8, v5
	v_xor_b32_e32 v17, 0x7f, v17
	s_load_b32 s18, s[0:1], 0x0
	v_dual_mov_b32 v117, 0 :: v_dual_lshlrev_b32 v22, 3, v14
	v_cmp_eq_u32_e32 vcc_lo, 0, v23
	v_cmp_lt_u32_e64 s0, 1, v23
	v_cmp_lt_u32_e64 s1, 3, v23
	v_and_b32_e32 v24, 16, v30
	v_cmp_lt_u32_e64 s3, 7, v23
	v_or_b32_e32 v21, 31, v21
	v_lshrrev_b32_e32 v23, 3, v14
	v_cmp_gt_i32_e64 s5, 0, v26
	v_lshrrev_b32_e32 v20, 8, v20
	v_cmp_eq_u32_e64 s4, 0, v24
	v_and_or_b32 v22, 0x1f00, v22, v30
	v_and_b32_e32 v17, 0xff, v17
	s_wait_alu 0xf1ff
	v_cndmask_b32_e64 v24, v26, v30, s5
	v_cmp_eq_u32_e64 s5, v14, v21
	v_and_b32_e32 v21, 0x7c, v23
	v_lshlrev_b16 v20, 8, v20
	v_and_b32_e32 v16, 0xff, v16
	v_lshlrev_b16 v5, 8, v5
	;; [unrolled: 2-line block ×3, first 2 shown]
	v_lshlrev_b16 v19, 8, v19
	v_xor_b32_e32 v18, 0x7f, v18
	v_add_nc_u32_e32 v116, v12, v21
	v_add_nc_u32_e32 v119, v12, v22
	v_mul_u32_u24_e32 v21, 7, v22
	v_or_b32_e32 v17, v17, v20
	v_or_b32_e32 v5, v16, v5
	;; [unrolled: 1-line block ×3, first 2 shown]
	v_and_b32_e32 v23, 7, v30
	v_add_nc_u32_e32 v133, v119, v21
	v_perm_b32 v15, v18, v19, 0xc0c0104
	v_and_b32_e32 v16, 0xffff, v17
	v_and_b32_e32 v5, 0xffff, v5
	v_lshlrev_b32_e32 v4, 16, v4
	v_lshrrev_b32_e32 v114, 5, v25
	v_cmp_gt_u32_e64 s6, 8, v14
	v_cmp_lt_u32_e64 s7, 31, v14
	v_lshlrev_b32_e32 v115, 2, v24
	v_cmp_eq_u32_e64 s10, 0, v14
	v_lshl_add_u32 v118, v14, 2, v12
	v_cmp_eq_u32_e64 s11, 0, v23
	v_cmp_lt_u32_e64 s12, 1, v23
	v_cmp_lt_u32_e64 s13, 3, v23
	v_add_nc_u32_e32 v128, -4, v116
	v_add_nc_u32_e32 v129, 32, v119
	v_add_nc_u32_e32 v130, 64, v119
	;; [unrolled: 1-line block ×14, first 2 shown]
	v_lshl_or_b32 v19, v15, 16, v16
	v_or_b32_e32 v97, v5, v4
	v_sub_nc_u32_e32 v160, v11, v10
	s_mov_b32 s19, 0
	s_wait_storecnt 0x0
	s_barrier_signal -1
	s_barrier_wait -1
	global_inv scope:SCOPE_SE
	s_branch .LBB295_29
.LBB295_28:                             ;   in Loop: Header=BB295_29 Depth=1
	s_wait_alu 0xfffe
	s_or_b32 exec_lo, exec_lo, s15
	s_delay_alu instid0(SALU_CYCLE_1)
	s_and_b32 s14, exec_lo, s20
	s_wait_alu 0xfffe
	s_or_b32 s19, s14, s19
	s_wait_alu 0xfffe
	s_and_not1_b32 exec_lo, exec_lo, s19
	s_cbranch_execz .LBB295_53
.LBB295_29:                             ; =>This Inner Loop Header: Depth=1
	s_wait_kmcnt 0x0
	v_min_u32_e32 v4, s18, v160
	v_dual_mov_b32 v28, v32 :: v_dual_and_b32 v5, 0xff, v19
	v_mov_b32_e32 v23, v36
	v_dual_mov_b32 v29, v33 :: v_dual_mov_b32 v24, v37
	s_delay_alu instid0(VALU_DEP_4) | instskip(NEXT) | instid1(VALU_DEP_4)
	v_lshlrev_b32_e64 v4, v4, -1
	v_lshrrev_b32_e32 v5, v10, v5
	v_dual_mov_b32 v26, v48 :: v_dual_mov_b32 v27, v49
	v_dual_mov_b32 v17, v50 :: v_dual_mov_b32 v18, v51
	s_delay_alu instid0(VALU_DEP_4) | instskip(SKIP_2) | instid1(VALU_DEP_3)
	v_not_b32_e32 v64, v4
	v_dual_mov_b32 v21, v38 :: v_dual_mov_b32 v22, v39
	v_dual_mov_b32 v15, v52 :: v_dual_mov_b32 v16, v53
	v_and_b32_e32 v20, v5, v64
	v_dual_mov_b32 v4, v54 :: v_dual_mov_b32 v5, v55
	ds_store_b32 v9, v117
	ds_store_b32 v99, v117
	;; [unrolled: 1-line block ×5, first 2 shown]
	v_and_b32_e32 v30, 1, v20
	v_lshlrev_b32_e32 v31, 30, v20
	v_lshlrev_b32_e32 v32, 29, v20
	;; [unrolled: 1-line block ×4, first 2 shown]
	v_add_co_u32 v30, s14, v30, -1
	s_wait_alu 0xf1ff
	v_cndmask_b32_e64 v36, 0, 1, s14
	v_not_b32_e32 v48, v31
	v_cmp_gt_i32_e64 s15, 0, v31
	v_not_b32_e32 v31, v32
	v_lshlrev_b32_e32 v38, 26, v20
	v_cmp_ne_u32_e64 s14, 0, v36
	v_ashrrev_i32_e32 v48, 31, v48
	v_lshlrev_b32_e32 v39, 25, v20
	v_ashrrev_i32_e32 v31, 31, v31
	v_lshlrev_b32_e32 v36, 24, v20
	s_wait_alu 0xf1ff
	v_xor_b32_e32 v30, s14, v30
	v_cmp_gt_i32_e64 s14, 0, v32
	v_not_b32_e32 v32, v33
	v_xor_b32_e32 v48, s15, v48
	v_cmp_gt_i32_e64 s15, 0, v33
	v_and_b32_e32 v30, exec_lo, v30
	v_not_b32_e32 v33, v37
	v_ashrrev_i32_e32 v32, 31, v32
	s_wait_alu 0xf1ff
	v_xor_b32_e32 v31, s14, v31
	v_cmp_gt_i32_e64 s14, 0, v37
	v_and_b32_e32 v30, v30, v48
	v_not_b32_e32 v37, v38
	v_ashrrev_i32_e32 v33, 31, v33
	v_xor_b32_e32 v32, s15, v32
	v_cmp_gt_i32_e64 s15, 0, v38
	v_and_b32_e32 v30, v30, v31
	v_not_b32_e32 v31, v39
	v_ashrrev_i32_e32 v37, 31, v37
	s_wait_alu 0xf1ff
	v_xor_b32_e32 v33, s14, v33
	v_cmp_gt_i32_e64 s14, 0, v39
	v_and_b32_e32 v30, v30, v32
	v_not_b32_e32 v32, v36
	v_ashrrev_i32_e32 v38, 31, v31
	v_xor_b32_e32 v37, s15, v37
	v_cmp_gt_i32_e64 s15, 0, v36
	v_and_b32_e32 v33, v30, v33
	v_dual_mov_b32 v30, v34 :: v_dual_mov_b32 v31, v35
	v_ashrrev_i32_e32 v32, 31, v32
	s_wait_alu 0xf1ff
	v_xor_b32_e32 v34, s14, v38
	v_and_b32_e32 v33, v33, v37
	ds_store_b32 v103, v117
	ds_store_b32 v112, v117
	;; [unrolled: 1-line block ×3, first 2 shown]
	v_xor_b32_e32 v32, s15, v32
	s_wait_loadcnt_dscnt 0x0
	v_and_b32_e32 v33, v33, v34
	v_lshlrev_b32_e32 v34, 3, v20
	s_barrier_signal -1
	s_barrier_wait -1
	global_inv scope:SCOPE_SE
	v_and_b32_e32 v20, v33, v32
	v_add_lshl_u32 v33, v34, v114, 2
	; wave barrier
	s_delay_alu instid0(VALU_DEP_2) | instskip(NEXT) | instid1(VALU_DEP_2)
	v_mbcnt_lo_u32_b32 v32, v20, 0
	v_add_co_u32 v33, null, v12, v33
	v_cmp_ne_u32_e64 s15, 0, v20
	s_delay_alu instid0(VALU_DEP_3) | instskip(NEXT) | instid1(VALU_DEP_3)
	v_cmp_eq_u32_e64 s14, 0, v32
	v_add_co_u32 v33, null, v33, 32
	s_and_b32 s15, s15, s14
	s_wait_alu 0xfffe
	s_and_saveexec_b32 s14, s15
; %bb.30:                               ;   in Loop: Header=BB295_29 Depth=1
	v_bcnt_u32_b32 v20, v20, 0
	ds_store_b32 v33, v20
; %bb.31:                               ;   in Loop: Header=BB295_29 Depth=1
	s_wait_alu 0xfffe
	s_or_b32 exec_lo, exec_lo, s14
	v_bfe_u32 v20, v19, 8, 8
	; wave barrier
	s_delay_alu instid0(VALU_DEP_1) | instskip(NEXT) | instid1(VALU_DEP_1)
	v_lshrrev_b32_e32 v20, v10, v20
	v_and_b32_e32 v20, v20, v64
	s_delay_alu instid0(VALU_DEP_1)
	v_and_b32_e32 v34, 1, v20
	v_lshlrev_b32_e32 v35, 30, v20
	v_lshlrev_b32_e32 v36, 29, v20
	v_lshlrev_b32_e32 v37, 28, v20
	v_lshlrev_b32_e32 v39, 27, v20
	v_add_co_u32 v34, s14, v34, -1
	s_wait_alu 0xf1ff
	v_cndmask_b32_e64 v38, 0, 1, s14
	v_not_b32_e32 v50, v35
	v_cmp_gt_i32_e64 s15, 0, v35
	v_not_b32_e32 v35, v36
	v_lshlrev_b32_e32 v48, 26, v20
	v_cmp_ne_u32_e64 s14, 0, v38
	v_ashrrev_i32_e32 v50, 31, v50
	v_lshlrev_b32_e32 v49, 25, v20
	v_ashrrev_i32_e32 v35, 31, v35
	v_lshlrev_b32_e32 v38, 24, v20
	s_wait_alu 0xf1ff
	v_xor_b32_e32 v34, s14, v34
	v_cmp_gt_i32_e64 s14, 0, v36
	v_not_b32_e32 v36, v37
	v_xor_b32_e32 v50, s15, v50
	v_cmp_gt_i32_e64 s15, 0, v37
	v_and_b32_e32 v34, exec_lo, v34
	v_not_b32_e32 v37, v39
	v_ashrrev_i32_e32 v36, 31, v36
	s_wait_alu 0xf1ff
	v_xor_b32_e32 v35, s14, v35
	v_cmp_gt_i32_e64 s14, 0, v39
	v_and_b32_e32 v34, v34, v50
	v_not_b32_e32 v39, v48
	v_ashrrev_i32_e32 v37, 31, v37
	v_xor_b32_e32 v36, s15, v36
	v_cmp_gt_i32_e64 s15, 0, v48
	v_and_b32_e32 v34, v34, v35
	v_not_b32_e32 v35, v49
	v_ashrrev_i32_e32 v39, 31, v39
	s_wait_alu 0xf1ff
	v_xor_b32_e32 v37, s14, v37
	v_cmp_gt_i32_e64 s14, 0, v49
	v_and_b32_e32 v34, v34, v36
	v_not_b32_e32 v36, v38
	v_ashrrev_i32_e32 v35, 31, v35
	v_xor_b32_e32 v39, s15, v39
	v_lshl_add_u32 v20, v20, 3, v114
	v_and_b32_e32 v34, v34, v37
	v_cmp_gt_i32_e64 s15, 0, v38
	v_ashrrev_i32_e32 v36, 31, v36
	s_wait_alu 0xf1ff
	v_xor_b32_e32 v35, s14, v35
	v_lshl_add_u32 v38, v20, 2, v12
	v_and_b32_e32 v34, v34, v39
	v_xor_b32_e32 v20, s15, v36
	s_delay_alu instid0(VALU_DEP_3) | instskip(NEXT) | instid1(VALU_DEP_3)
	v_add_nc_u32_e32 v36, 32, v38
	v_and_b32_e32 v35, v34, v35
	ds_load_b32 v34, v38 offset:32
	; wave barrier
	v_dual_mov_b32 v20, v97 :: v_dual_and_b32 v37, v35, v20
	s_delay_alu instid0(VALU_DEP_1) | instskip(SKIP_1) | instid1(VALU_DEP_2)
	v_mbcnt_lo_u32_b32 v35, v37, 0
	v_cmp_ne_u32_e64 s15, 0, v37
	v_cmp_eq_u32_e64 s14, 0, v35
	s_and_b32 s15, s15, s14
	s_wait_alu 0xfffe
	s_and_saveexec_b32 s14, s15
	s_cbranch_execz .LBB295_33
; %bb.32:                               ;   in Loop: Header=BB295_29 Depth=1
	s_wait_dscnt 0x0
	v_bcnt_u32_b32 v37, v37, v34
	ds_store_b32 v36, v37
.LBB295_33:                             ;   in Loop: Header=BB295_29 Depth=1
	s_wait_alu 0xfffe
	s_or_b32 exec_lo, exec_lo, s14
	v_bfe_u32 v37, v19, 16, 8
	; wave barrier
	s_delay_alu instid0(VALU_DEP_1) | instskip(NEXT) | instid1(VALU_DEP_1)
	v_lshrrev_b32_e32 v37, v10, v37
	v_and_b32_e32 v37, v37, v64
	s_delay_alu instid0(VALU_DEP_1)
	v_and_b32_e32 v38, 1, v37
	v_lshlrev_b32_e32 v39, 30, v37
	v_lshlrev_b32_e32 v48, 29, v37
	;; [unrolled: 1-line block ×4, first 2 shown]
	v_add_co_u32 v38, s14, v38, -1
	s_wait_alu 0xf1ff
	v_cndmask_b32_e64 v50, 0, 1, s14
	v_not_b32_e32 v54, v39
	v_cmp_gt_i32_e64 s15, 0, v39
	v_not_b32_e32 v39, v48
	v_lshlrev_b32_e32 v52, 26, v37
	v_cmp_ne_u32_e64 s14, 0, v50
	v_ashrrev_i32_e32 v54, 31, v54
	v_lshlrev_b32_e32 v53, 25, v37
	v_ashrrev_i32_e32 v39, 31, v39
	v_lshlrev_b32_e32 v50, 24, v37
	s_wait_alu 0xf1ff
	v_xor_b32_e32 v38, s14, v38
	v_cmp_gt_i32_e64 s14, 0, v48
	v_not_b32_e32 v48, v49
	v_xor_b32_e32 v54, s15, v54
	v_cmp_gt_i32_e64 s15, 0, v49
	v_and_b32_e32 v38, exec_lo, v38
	v_not_b32_e32 v49, v51
	v_ashrrev_i32_e32 v48, 31, v48
	s_wait_alu 0xf1ff
	v_xor_b32_e32 v39, s14, v39
	v_cmp_gt_i32_e64 s14, 0, v51
	v_and_b32_e32 v38, v38, v54
	v_not_b32_e32 v51, v52
	v_ashrrev_i32_e32 v49, 31, v49
	v_xor_b32_e32 v48, s15, v48
	v_cmp_gt_i32_e64 s15, 0, v52
	v_and_b32_e32 v38, v38, v39
	v_not_b32_e32 v39, v53
	v_ashrrev_i32_e32 v51, 31, v51
	s_wait_alu 0xf1ff
	v_xor_b32_e32 v49, s14, v49
	v_cmp_gt_i32_e64 s14, 0, v53
	v_and_b32_e32 v38, v38, v48
	v_not_b32_e32 v48, v50
	v_ashrrev_i32_e32 v39, 31, v39
	v_xor_b32_e32 v51, s15, v51
	v_lshl_add_u32 v37, v37, 3, v114
	v_and_b32_e32 v38, v38, v49
	v_cmp_gt_i32_e64 s15, 0, v50
	v_ashrrev_i32_e32 v48, 31, v48
	s_wait_alu 0xf1ff
	v_xor_b32_e32 v39, s14, v39
	v_lshl_add_u32 v49, v37, 2, v12
	v_and_b32_e32 v38, v38, v51
	v_xor_b32_e32 v48, s15, v48
	ds_load_b32 v37, v49 offset:32
	v_and_b32_e32 v38, v38, v39
	v_add_nc_u32_e32 v39, 32, v49
	; wave barrier
	s_delay_alu instid0(VALU_DEP_2) | instskip(NEXT) | instid1(VALU_DEP_1)
	v_and_b32_e32 v48, v38, v48
	v_mbcnt_lo_u32_b32 v38, v48, 0
	v_cmp_ne_u32_e64 s15, 0, v48
	s_delay_alu instid0(VALU_DEP_2)
	v_cmp_eq_u32_e64 s14, 0, v38
	s_and_b32 s15, s15, s14
	s_wait_alu 0xfffe
	s_and_saveexec_b32 s14, s15
	s_cbranch_execz .LBB295_35
; %bb.34:                               ;   in Loop: Header=BB295_29 Depth=1
	s_wait_dscnt 0x0
	v_bcnt_u32_b32 v48, v48, v37
	ds_store_b32 v39, v48
.LBB295_35:                             ;   in Loop: Header=BB295_29 Depth=1
	s_wait_alu 0xfffe
	s_or_b32 exec_lo, exec_lo, s14
	v_alignbit_b32 v48, v20, v19, 24
	; wave barrier
	s_delay_alu instid0(VALU_DEP_1) | instskip(NEXT) | instid1(VALU_DEP_1)
	v_and_b32_e32 v48, 0xff, v48
	v_lshrrev_b32_e32 v48, v10, v48
	s_delay_alu instid0(VALU_DEP_1) | instskip(NEXT) | instid1(VALU_DEP_1)
	v_and_b32_e32 v48, v48, v64
	v_and_b32_e32 v49, 1, v48
	v_lshlrev_b32_e32 v50, 30, v48
	v_lshlrev_b32_e32 v51, 29, v48
	;; [unrolled: 1-line block ×4, first 2 shown]
	v_add_co_u32 v49, s14, v49, -1
	s_wait_alu 0xf1ff
	v_cndmask_b32_e64 v53, 0, 1, s14
	v_not_b32_e32 v66, v50
	v_cmp_gt_i32_e64 s15, 0, v50
	v_not_b32_e32 v50, v51
	v_lshlrev_b32_e32 v55, 26, v48
	v_cmp_ne_u32_e64 s14, 0, v53
	v_ashrrev_i32_e32 v66, 31, v66
	v_lshlrev_b32_e32 v65, 25, v48
	v_ashrrev_i32_e32 v50, 31, v50
	v_lshlrev_b32_e32 v53, 24, v48
	s_wait_alu 0xf1ff
	v_xor_b32_e32 v49, s14, v49
	v_cmp_gt_i32_e64 s14, 0, v51
	v_not_b32_e32 v51, v52
	v_xor_b32_e32 v66, s15, v66
	v_cmp_gt_i32_e64 s15, 0, v52
	v_and_b32_e32 v49, exec_lo, v49
	v_not_b32_e32 v52, v54
	v_ashrrev_i32_e32 v51, 31, v51
	s_wait_alu 0xf1ff
	v_xor_b32_e32 v50, s14, v50
	v_cmp_gt_i32_e64 s14, 0, v54
	v_and_b32_e32 v49, v49, v66
	v_not_b32_e32 v54, v55
	v_ashrrev_i32_e32 v52, 31, v52
	v_xor_b32_e32 v51, s15, v51
	v_cmp_gt_i32_e64 s15, 0, v55
	v_and_b32_e32 v49, v49, v50
	v_not_b32_e32 v50, v65
	v_ashrrev_i32_e32 v54, 31, v54
	s_wait_alu 0xf1ff
	v_xor_b32_e32 v52, s14, v52
	v_cmp_gt_i32_e64 s14, 0, v65
	v_and_b32_e32 v49, v49, v51
	v_not_b32_e32 v51, v53
	v_ashrrev_i32_e32 v50, 31, v50
	v_xor_b32_e32 v54, s15, v54
	v_lshl_add_u32 v48, v48, 3, v114
	v_and_b32_e32 v49, v49, v52
	v_cmp_gt_i32_e64 s15, 0, v53
	v_ashrrev_i32_e32 v51, 31, v51
	s_wait_alu 0xf1ff
	v_xor_b32_e32 v50, s14, v50
	v_lshl_add_u32 v52, v48, 2, v12
	v_and_b32_e32 v49, v49, v54
	v_xor_b32_e32 v51, s15, v51
	ds_load_b32 v48, v52 offset:32
	v_and_b32_e32 v49, v49, v50
	v_add_nc_u32_e32 v50, 32, v52
	; wave barrier
	s_delay_alu instid0(VALU_DEP_2) | instskip(NEXT) | instid1(VALU_DEP_1)
	v_and_b32_e32 v51, v49, v51
	v_mbcnt_lo_u32_b32 v49, v51, 0
	v_cmp_ne_u32_e64 s15, 0, v51
	s_delay_alu instid0(VALU_DEP_2)
	v_cmp_eq_u32_e64 s14, 0, v49
	s_and_b32 s15, s15, s14
	s_wait_alu 0xfffe
	s_and_saveexec_b32 s14, s15
	s_cbranch_execz .LBB295_37
; %bb.36:                               ;   in Loop: Header=BB295_29 Depth=1
	s_wait_dscnt 0x0
	v_bcnt_u32_b32 v51, v51, v48
	ds_store_b32 v50, v51
.LBB295_37:                             ;   in Loop: Header=BB295_29 Depth=1
	s_wait_alu 0xfffe
	s_or_b32 exec_lo, exec_lo, s14
	v_and_b32_e32 v51, 0xff, v20
	; wave barrier
	s_delay_alu instid0(VALU_DEP_1) | instskip(NEXT) | instid1(VALU_DEP_1)
	v_lshrrev_b32_e32 v51, v10, v51
	v_and_b32_e32 v51, v51, v64
	s_delay_alu instid0(VALU_DEP_1)
	v_and_b32_e32 v52, 1, v51
	v_lshlrev_b32_e32 v53, 30, v51
	v_lshlrev_b32_e32 v54, 29, v51
	;; [unrolled: 1-line block ×4, first 2 shown]
	v_add_co_u32 v52, s14, v52, -1
	s_wait_alu 0xf1ff
	v_cndmask_b32_e64 v65, 0, 1, s14
	v_not_b32_e32 v69, v53
	v_cmp_gt_i32_e64 s15, 0, v53
	v_not_b32_e32 v53, v54
	v_lshlrev_b32_e32 v67, 26, v51
	v_cmp_ne_u32_e64 s14, 0, v65
	v_ashrrev_i32_e32 v69, 31, v69
	v_lshlrev_b32_e32 v68, 25, v51
	v_ashrrev_i32_e32 v53, 31, v53
	v_lshlrev_b32_e32 v65, 24, v51
	s_wait_alu 0xf1ff
	v_xor_b32_e32 v52, s14, v52
	v_cmp_gt_i32_e64 s14, 0, v54
	v_not_b32_e32 v54, v55
	v_xor_b32_e32 v69, s15, v69
	v_cmp_gt_i32_e64 s15, 0, v55
	v_and_b32_e32 v52, exec_lo, v52
	v_not_b32_e32 v55, v66
	v_ashrrev_i32_e32 v54, 31, v54
	s_wait_alu 0xf1ff
	v_xor_b32_e32 v53, s14, v53
	v_cmp_gt_i32_e64 s14, 0, v66
	v_and_b32_e32 v52, v52, v69
	v_not_b32_e32 v66, v67
	v_ashrrev_i32_e32 v55, 31, v55
	v_xor_b32_e32 v54, s15, v54
	v_cmp_gt_i32_e64 s15, 0, v67
	v_and_b32_e32 v52, v52, v53
	v_not_b32_e32 v53, v68
	v_ashrrev_i32_e32 v66, 31, v66
	s_wait_alu 0xf1ff
	v_xor_b32_e32 v55, s14, v55
	v_cmp_gt_i32_e64 s14, 0, v68
	v_and_b32_e32 v52, v52, v54
	v_not_b32_e32 v54, v65
	v_ashrrev_i32_e32 v53, 31, v53
	v_xor_b32_e32 v66, s15, v66
	v_lshl_add_u32 v51, v51, 3, v114
	v_and_b32_e32 v52, v52, v55
	v_cmp_gt_i32_e64 s15, 0, v65
	v_ashrrev_i32_e32 v54, 31, v54
	s_wait_alu 0xf1ff
	v_xor_b32_e32 v53, s14, v53
	v_lshl_add_u32 v55, v51, 2, v12
	v_and_b32_e32 v52, v52, v66
	v_xor_b32_e32 v54, s15, v54
	ds_load_b32 v51, v55 offset:32
	v_and_b32_e32 v52, v52, v53
	v_add_nc_u32_e32 v53, 32, v55
	; wave barrier
	s_delay_alu instid0(VALU_DEP_2) | instskip(NEXT) | instid1(VALU_DEP_1)
	v_and_b32_e32 v54, v52, v54
	v_mbcnt_lo_u32_b32 v52, v54, 0
	v_cmp_ne_u32_e64 s15, 0, v54
	s_delay_alu instid0(VALU_DEP_2)
	v_cmp_eq_u32_e64 s14, 0, v52
	s_and_b32 s15, s15, s14
	s_wait_alu 0xfffe
	s_and_saveexec_b32 s14, s15
	s_cbranch_execz .LBB295_39
; %bb.38:                               ;   in Loop: Header=BB295_29 Depth=1
	s_wait_dscnt 0x0
	v_bcnt_u32_b32 v54, v54, v51
	ds_store_b32 v53, v54
.LBB295_39:                             ;   in Loop: Header=BB295_29 Depth=1
	s_wait_alu 0xfffe
	s_or_b32 exec_lo, exec_lo, s14
	v_bfe_u32 v54, v20, 8, 8
	; wave barrier
	s_delay_alu instid0(VALU_DEP_1) | instskip(NEXT) | instid1(VALU_DEP_1)
	v_lshrrev_b32_e32 v54, v10, v54
	v_and_b32_e32 v54, v54, v64
	s_delay_alu instid0(VALU_DEP_1)
	v_and_b32_e32 v55, 1, v54
	v_lshlrev_b32_e32 v65, 30, v54
	v_lshlrev_b32_e32 v66, 29, v54
	;; [unrolled: 1-line block ×4, first 2 shown]
	v_add_co_u32 v55, s14, v55, -1
	s_wait_alu 0xf1ff
	v_cndmask_b32_e64 v68, 0, 1, s14
	v_not_b32_e32 v80, v65
	v_cmp_gt_i32_e64 s15, 0, v65
	v_not_b32_e32 v65, v66
	v_lshlrev_b32_e32 v70, 26, v54
	v_cmp_ne_u32_e64 s14, 0, v68
	v_ashrrev_i32_e32 v80, 31, v80
	v_lshlrev_b32_e32 v71, 25, v54
	v_ashrrev_i32_e32 v65, 31, v65
	v_lshlrev_b32_e32 v68, 24, v54
	s_wait_alu 0xf1ff
	v_xor_b32_e32 v55, s14, v55
	v_cmp_gt_i32_e64 s14, 0, v66
	v_not_b32_e32 v66, v67
	v_xor_b32_e32 v80, s15, v80
	v_cmp_gt_i32_e64 s15, 0, v67
	v_and_b32_e32 v55, exec_lo, v55
	v_not_b32_e32 v67, v69
	v_ashrrev_i32_e32 v66, 31, v66
	s_wait_alu 0xf1ff
	v_xor_b32_e32 v65, s14, v65
	v_cmp_gt_i32_e64 s14, 0, v69
	v_and_b32_e32 v55, v55, v80
	v_not_b32_e32 v69, v70
	v_ashrrev_i32_e32 v67, 31, v67
	v_xor_b32_e32 v66, s15, v66
	v_cmp_gt_i32_e64 s15, 0, v70
	v_and_b32_e32 v55, v55, v65
	v_not_b32_e32 v65, v71
	v_ashrrev_i32_e32 v69, 31, v69
	s_wait_alu 0xf1ff
	v_xor_b32_e32 v67, s14, v67
	v_cmp_gt_i32_e64 s14, 0, v71
	v_and_b32_e32 v55, v55, v66
	v_not_b32_e32 v66, v68
	v_ashrrev_i32_e32 v65, 31, v65
	v_xor_b32_e32 v69, s15, v69
	v_lshl_add_u32 v54, v54, 3, v114
	v_and_b32_e32 v55, v55, v67
	v_cmp_gt_i32_e64 s15, 0, v68
	v_ashrrev_i32_e32 v66, 31, v66
	s_wait_alu 0xf1ff
	v_xor_b32_e32 v65, s14, v65
	v_lshl_add_u32 v67, v54, 2, v12
	v_and_b32_e32 v55, v55, v69
	v_xor_b32_e32 v66, s15, v66
	ds_load_b32 v54, v67 offset:32
	v_and_b32_e32 v55, v55, v65
	v_add_nc_u32_e32 v65, 32, v67
	; wave barrier
	s_delay_alu instid0(VALU_DEP_2) | instskip(NEXT) | instid1(VALU_DEP_1)
	v_and_b32_e32 v66, v55, v66
	v_mbcnt_lo_u32_b32 v55, v66, 0
	v_cmp_ne_u32_e64 s15, 0, v66
	s_delay_alu instid0(VALU_DEP_2)
	v_cmp_eq_u32_e64 s14, 0, v55
	s_and_b32 s15, s15, s14
	s_wait_alu 0xfffe
	s_and_saveexec_b32 s14, s15
	s_cbranch_execz .LBB295_41
; %bb.40:                               ;   in Loop: Header=BB295_29 Depth=1
	s_wait_dscnt 0x0
	v_bcnt_u32_b32 v66, v66, v54
	ds_store_b32 v65, v66
.LBB295_41:                             ;   in Loop: Header=BB295_29 Depth=1
	s_wait_alu 0xfffe
	s_or_b32 exec_lo, exec_lo, s14
	v_bfe_u32 v66, v20, 16, 8
	; wave barrier
	s_delay_alu instid0(VALU_DEP_1) | instskip(NEXT) | instid1(VALU_DEP_1)
	v_lshrrev_b32_e32 v66, v10, v66
	v_and_b32_e32 v66, v66, v64
	s_delay_alu instid0(VALU_DEP_1)
	v_and_b32_e32 v67, 1, v66
	v_lshlrev_b32_e32 v68, 30, v66
	v_lshlrev_b32_e32 v69, 29, v66
	;; [unrolled: 1-line block ×4, first 2 shown]
	v_add_co_u32 v67, s14, v67, -1
	s_wait_alu 0xf1ff
	v_cndmask_b32_e64 v71, 0, 1, s14
	v_not_b32_e32 v83, v68
	v_cmp_gt_i32_e64 s15, 0, v68
	v_not_b32_e32 v68, v69
	v_lshlrev_b32_e32 v81, 26, v66
	v_cmp_ne_u32_e64 s14, 0, v71
	v_ashrrev_i32_e32 v83, 31, v83
	v_lshlrev_b32_e32 v82, 25, v66
	v_ashrrev_i32_e32 v68, 31, v68
	v_lshlrev_b32_e32 v71, 24, v66
	s_wait_alu 0xf1ff
	v_xor_b32_e32 v67, s14, v67
	v_cmp_gt_i32_e64 s14, 0, v69
	v_not_b32_e32 v69, v70
	v_xor_b32_e32 v83, s15, v83
	v_cmp_gt_i32_e64 s15, 0, v70
	v_and_b32_e32 v67, exec_lo, v67
	v_not_b32_e32 v70, v80
	v_ashrrev_i32_e32 v69, 31, v69
	s_wait_alu 0xf1ff
	v_xor_b32_e32 v68, s14, v68
	v_cmp_gt_i32_e64 s14, 0, v80
	v_and_b32_e32 v67, v67, v83
	v_not_b32_e32 v80, v81
	v_ashrrev_i32_e32 v70, 31, v70
	v_xor_b32_e32 v69, s15, v69
	v_cmp_gt_i32_e64 s15, 0, v81
	v_and_b32_e32 v67, v67, v68
	v_not_b32_e32 v68, v82
	v_ashrrev_i32_e32 v80, 31, v80
	s_wait_alu 0xf1ff
	v_xor_b32_e32 v70, s14, v70
	v_cmp_gt_i32_e64 s14, 0, v82
	v_and_b32_e32 v67, v67, v69
	v_not_b32_e32 v69, v71
	v_ashrrev_i32_e32 v68, 31, v68
	v_xor_b32_e32 v80, s15, v80
	v_lshl_add_u32 v66, v66, 3, v114
	v_and_b32_e32 v67, v67, v70
	v_cmp_gt_i32_e64 s15, 0, v71
	v_ashrrev_i32_e32 v69, 31, v69
	s_wait_alu 0xf1ff
	v_xor_b32_e32 v68, s14, v68
	v_lshl_add_u32 v70, v66, 2, v12
	v_and_b32_e32 v67, v67, v80
	v_xor_b32_e32 v69, s15, v69
	ds_load_b32 v66, v70 offset:32
	v_and_b32_e32 v67, v67, v68
	v_add_nc_u32_e32 v68, 32, v70
	; wave barrier
	s_delay_alu instid0(VALU_DEP_2) | instskip(NEXT) | instid1(VALU_DEP_1)
	v_and_b32_e32 v69, v67, v69
	v_mbcnt_lo_u32_b32 v67, v69, 0
	v_cmp_ne_u32_e64 s15, 0, v69
	s_delay_alu instid0(VALU_DEP_2)
	v_cmp_eq_u32_e64 s14, 0, v67
	s_and_b32 s15, s15, s14
	s_wait_alu 0xfffe
	s_and_saveexec_b32 s14, s15
	s_cbranch_execz .LBB295_43
; %bb.42:                               ;   in Loop: Header=BB295_29 Depth=1
	s_wait_dscnt 0x0
	v_bcnt_u32_b32 v69, v69, v66
	ds_store_b32 v68, v69
.LBB295_43:                             ;   in Loop: Header=BB295_29 Depth=1
	s_wait_alu 0xfffe
	s_or_b32 exec_lo, exec_lo, s14
	v_lshrrev_b32_e32 v161, 24, v20
	; wave barrier
	s_delay_alu instid0(VALU_DEP_1) | instskip(NEXT) | instid1(VALU_DEP_1)
	v_lshrrev_b32_e32 v69, v10, v161
	v_and_b32_e32 v64, v69, v64
	s_delay_alu instid0(VALU_DEP_1)
	v_and_b32_e32 v69, 1, v64
	v_lshlrev_b32_e32 v70, 30, v64
	v_lshlrev_b32_e32 v71, 29, v64
	;; [unrolled: 1-line block ×4, first 2 shown]
	v_add_co_u32 v69, s14, v69, -1
	s_wait_alu 0xf1ff
	v_cndmask_b32_e64 v81, 0, 1, s14
	v_not_b32_e32 v85, v70
	v_cmp_gt_i32_e64 s15, 0, v70
	v_not_b32_e32 v70, v71
	v_lshlrev_b32_e32 v83, 26, v64
	v_cmp_ne_u32_e64 s14, 0, v81
	v_ashrrev_i32_e32 v85, 31, v85
	v_lshlrev_b32_e32 v84, 25, v64
	v_ashrrev_i32_e32 v70, 31, v70
	v_lshlrev_b32_e32 v81, 24, v64
	s_wait_alu 0xf1ff
	v_xor_b32_e32 v69, s14, v69
	v_cmp_gt_i32_e64 s14, 0, v71
	v_not_b32_e32 v71, v80
	v_xor_b32_e32 v85, s15, v85
	v_cmp_gt_i32_e64 s15, 0, v80
	v_and_b32_e32 v69, exec_lo, v69
	v_not_b32_e32 v80, v82
	v_ashrrev_i32_e32 v71, 31, v71
	s_wait_alu 0xf1ff
	v_xor_b32_e32 v70, s14, v70
	v_cmp_gt_i32_e64 s14, 0, v82
	v_and_b32_e32 v69, v69, v85
	v_not_b32_e32 v82, v83
	v_ashrrev_i32_e32 v80, 31, v80
	v_xor_b32_e32 v71, s15, v71
	v_cmp_gt_i32_e64 s15, 0, v83
	v_and_b32_e32 v69, v69, v70
	v_not_b32_e32 v70, v84
	v_ashrrev_i32_e32 v82, 31, v82
	s_wait_alu 0xf1ff
	v_xor_b32_e32 v80, s14, v80
	v_cmp_gt_i32_e64 s14, 0, v84
	v_and_b32_e32 v69, v69, v71
	v_not_b32_e32 v71, v81
	v_ashrrev_i32_e32 v70, 31, v70
	v_xor_b32_e32 v82, s15, v82
	v_lshl_add_u32 v64, v64, 3, v114
	v_and_b32_e32 v69, v69, v80
	v_cmp_gt_i32_e64 s15, 0, v81
	v_ashrrev_i32_e32 v71, 31, v71
	s_wait_alu 0xf1ff
	v_xor_b32_e32 v70, s14, v70
	v_lshl_add_u32 v80, v64, 2, v12
	v_and_b32_e32 v69, v69, v82
	v_xor_b32_e32 v71, s15, v71
	ds_load_b32 v64, v80 offset:32
	v_and_b32_e32 v69, v69, v70
	v_add_nc_u32_e32 v70, 32, v80
	; wave barrier
	s_delay_alu instid0(VALU_DEP_2) | instskip(NEXT) | instid1(VALU_DEP_1)
	v_and_b32_e32 v71, v69, v71
	v_mbcnt_lo_u32_b32 v69, v71, 0
	v_cmp_ne_u32_e64 s15, 0, v71
	s_delay_alu instid0(VALU_DEP_2)
	v_cmp_eq_u32_e64 s14, 0, v69
	s_and_b32 s15, s15, s14
	s_wait_alu 0xfffe
	s_and_saveexec_b32 s14, s15
	s_cbranch_execz .LBB295_45
; %bb.44:                               ;   in Loop: Header=BB295_29 Depth=1
	s_wait_dscnt 0x0
	v_bcnt_u32_b32 v71, v71, v64
	ds_store_b32 v70, v71
.LBB295_45:                             ;   in Loop: Header=BB295_29 Depth=1
	s_wait_alu 0xfffe
	s_or_b32 exec_lo, exec_lo, s14
	; wave barrier
	s_wait_loadcnt_dscnt 0x0
	s_barrier_signal -1
	s_barrier_wait -1
	global_inv scope:SCOPE_SE
	ds_load_b32 v80, v9
	ds_load_b32 v81, v99
	;; [unrolled: 1-line block ×8, first 2 shown]
	s_wait_dscnt 0x6
	v_add_nc_u32_e32 v87, v81, v80
	s_wait_dscnt 0x4
	s_delay_alu instid0(VALU_DEP_1) | instskip(SKIP_1) | instid1(VALU_DEP_1)
	v_add3_u32 v87, v87, v82, v83
	s_wait_dscnt 0x2
	v_add3_u32 v87, v87, v84, v85
	s_wait_dscnt 0x0
	s_delay_alu instid0(VALU_DEP_1) | instskip(NEXT) | instid1(VALU_DEP_1)
	v_add3_u32 v86, v87, v71, v86
	v_mov_b32_dpp v87, v86 row_shr:1 row_mask:0xf bank_mask:0xf
	s_wait_alu 0xfffd
	s_delay_alu instid0(VALU_DEP_1) | instskip(NEXT) | instid1(VALU_DEP_1)
	v_cndmask_b32_e64 v87, v87, 0, vcc_lo
	v_add_nc_u32_e32 v86, v87, v86
	s_delay_alu instid0(VALU_DEP_1) | instskip(NEXT) | instid1(VALU_DEP_1)
	v_mov_b32_dpp v87, v86 row_shr:2 row_mask:0xf bank_mask:0xf
	v_cndmask_b32_e64 v87, 0, v87, s0
	s_delay_alu instid0(VALU_DEP_1) | instskip(NEXT) | instid1(VALU_DEP_1)
	v_add_nc_u32_e32 v86, v86, v87
	v_mov_b32_dpp v87, v86 row_shr:4 row_mask:0xf bank_mask:0xf
	s_delay_alu instid0(VALU_DEP_1) | instskip(NEXT) | instid1(VALU_DEP_1)
	v_cndmask_b32_e64 v87, 0, v87, s1
	v_add_nc_u32_e32 v86, v86, v87
	s_delay_alu instid0(VALU_DEP_1) | instskip(NEXT) | instid1(VALU_DEP_1)
	v_mov_b32_dpp v87, v86 row_shr:8 row_mask:0xf bank_mask:0xf
	v_cndmask_b32_e64 v87, 0, v87, s3
	s_delay_alu instid0(VALU_DEP_1) | instskip(SKIP_3) | instid1(VALU_DEP_1)
	v_add_nc_u32_e32 v86, v86, v87
	ds_swizzle_b32 v87, v86 offset:swizzle(BROADCAST,32,15)
	s_wait_dscnt 0x0
	v_cndmask_b32_e64 v87, v87, 0, s4
	v_add_nc_u32_e32 v86, v86, v87
	s_and_saveexec_b32 s14, s5
; %bb.46:                               ;   in Loop: Header=BB295_29 Depth=1
	ds_store_b32 v116, v86
; %bb.47:                               ;   in Loop: Header=BB295_29 Depth=1
	s_wait_alu 0xfffe
	s_or_b32 exec_lo, exec_lo, s14
	s_wait_loadcnt_dscnt 0x0
	s_barrier_signal -1
	s_barrier_wait -1
	global_inv scope:SCOPE_SE
	s_and_saveexec_b32 s14, s6
	s_cbranch_execz .LBB295_49
; %bb.48:                               ;   in Loop: Header=BB295_29 Depth=1
	ds_load_b32 v87, v118
	s_wait_dscnt 0x0
	v_mov_b32_dpp v96, v87 row_shr:1 row_mask:0xf bank_mask:0xf
	s_delay_alu instid0(VALU_DEP_1) | instskip(NEXT) | instid1(VALU_DEP_1)
	v_cndmask_b32_e64 v96, v96, 0, s11
	v_add_nc_u32_e32 v87, v96, v87
	s_delay_alu instid0(VALU_DEP_1) | instskip(NEXT) | instid1(VALU_DEP_1)
	v_mov_b32_dpp v96, v87 row_shr:2 row_mask:0xf bank_mask:0xf
	v_cndmask_b32_e64 v96, 0, v96, s12
	s_delay_alu instid0(VALU_DEP_1) | instskip(NEXT) | instid1(VALU_DEP_1)
	v_add_nc_u32_e32 v87, v87, v96
	v_mov_b32_dpp v96, v87 row_shr:4 row_mask:0xf bank_mask:0xf
	s_delay_alu instid0(VALU_DEP_1) | instskip(NEXT) | instid1(VALU_DEP_1)
	v_cndmask_b32_e64 v96, 0, v96, s13
	v_add_nc_u32_e32 v87, v87, v96
	ds_store_b32 v118, v87
.LBB295_49:                             ;   in Loop: Header=BB295_29 Depth=1
	s_wait_alu 0xfffe
	s_or_b32 exec_lo, exec_lo, s14
	v_mov_b32_e32 v87, 0
	s_wait_loadcnt_dscnt 0x0
	s_barrier_signal -1
	s_barrier_wait -1
	global_inv scope:SCOPE_SE
	s_and_saveexec_b32 s14, s7
; %bb.50:                               ;   in Loop: Header=BB295_29 Depth=1
	ds_load_b32 v87, v128
; %bb.51:                               ;   in Loop: Header=BB295_29 Depth=1
	s_wait_alu 0xfffe
	s_or_b32 exec_lo, exec_lo, s14
	s_wait_dscnt 0x0
	v_add_nc_u32_e32 v86, v87, v86
	v_add_nc_u32_e32 v10, 8, v10
	v_lshrrev_b64 v[96:97], 24, v[19:20]
	v_lshrrev_b32_e32 v179, 8, v19
	v_lshrrev_b32_e32 v182, 16, v19
	ds_bpermute_b32 v86, v115, v86
	v_lshrrev_b32_e32 v180, 8, v20
	v_lshrrev_b32_e32 v181, 16, v20
	v_cmp_lt_u32_e64 s14, v10, v11
	s_mov_b32 s20, -1
                                        ; implicit-def: $vgpr97
	v_mov_b32_e32 v178, v19
	s_wait_dscnt 0x0
	v_cndmask_b32_e64 v86, v86, v87, s2
	s_delay_alu instid0(VALU_DEP_1) | instskip(NEXT) | instid1(VALU_DEP_1)
	v_cndmask_b32_e64 v86, v86, 0, s10
	v_add_nc_u32_e32 v80, v86, v80
	s_delay_alu instid0(VALU_DEP_1) | instskip(SKIP_4) | instid1(VALU_DEP_1)
	v_add_nc_u32_e32 v81, v80, v81
	ds_store_b32 v9, v86
	ds_store_b32 v99, v80
	;; [unrolled: 1-line block ×3, first 2 shown]
	v_add_nc_u32_e32 v82, v81, v82
	v_add_nc_u32_e32 v83, v82, v83
	s_delay_alu instid0(VALU_DEP_1) | instskip(NEXT) | instid1(VALU_DEP_1)
	v_add_nc_u32_e32 v84, v83, v84
	v_add_nc_u32_e32 v85, v84, v85
	s_delay_alu instid0(VALU_DEP_1)
	v_add_nc_u32_e32 v71, v85, v71
	ds_store_b32 v101, v82
	ds_store_b32 v102, v83
	;; [unrolled: 1-line block ×5, first 2 shown]
	s_wait_loadcnt_dscnt 0x0
	s_barrier_signal -1
	s_barrier_wait -1
	global_inv scope:SCOPE_SE
	ds_load_b32 v33, v33
	ds_load_b32 v36, v36
	;; [unrolled: 1-line block ×8, first 2 shown]
	s_wait_loadcnt_dscnt 0x0
	v_add_nc_u32_e32 v177, v33, v32
	v_add3_u32 v176, v35, v34, v36
	v_add3_u32 v167, v38, v37, v39
	;; [unrolled: 1-line block ×7, first 2 shown]
	v_add_co_u32 v70, s15, v12, v177
	s_wait_alu 0xf1ff
	v_add_co_ci_u32_e64 v71, null, 0, v13, s15
	v_add_co_u32 v64, s15, v12, v176
	s_wait_alu 0xf1ff
	v_add_co_ci_u32_e64 v65, null, 0, v13, s15
	;; [unrolled: 3-line block ×8, first 2 shown]
                                        ; implicit-def: $vgpr32_vgpr33
                                        ; implicit-def: $vgpr36_vgpr37
                                        ; implicit-def: $vgpr38_vgpr39
                                        ; implicit-def: $vgpr48_vgpr49
                                        ; implicit-def: $vgpr50_vgpr51
                                        ; implicit-def: $vgpr52_vgpr53
                                        ; implicit-def: $vgpr54_vgpr55
                                        ; implicit-def: $vgpr34_vgpr35
	s_and_saveexec_b32 s15, s14
	s_cbranch_execz .LBB295_28
; %bb.52:                               ;   in Loop: Header=BB295_29 Depth=1
	v_mad_co_u64_u32 v[32:33], null, v177, 7, v[70:71]
	v_mad_co_u64_u32 v[33:34], null, v176, 7, v[64:65]
	;; [unrolled: 1-line block ×4, first 2 shown]
	s_barrier_signal -1
	s_barrier_wait -1
	global_inv scope:SCOPE_SE
	ds_store_b8 v70, v19
	ds_store_b8 v64, v179
	;; [unrolled: 1-line block ×8, first 2 shown]
	s_wait_loadcnt_dscnt 0x0
	s_barrier_signal -1
	s_barrier_wait -1
	global_inv scope:SCOPE_SE
	ds_load_u8 v19, v131
	ds_load_u8 v97, v130
	;; [unrolled: 1-line block ×8, first 2 shown]
	v_mad_co_u64_u32 v[36:37], null, v165, 7, v[80:81]
	v_mad_co_u64_u32 v[37:38], null, v164, 7, v[82:83]
	;; [unrolled: 1-line block ×4, first 2 shown]
	s_wait_loadcnt_dscnt 0x0
	s_barrier_signal -1
	s_barrier_wait -1
	global_inv scope:SCOPE_SE
	ds_store_b64 v32, v[28:29]
	ds_store_b64 v33, v[23:24]
	;; [unrolled: 1-line block ×8, first 2 shown]
	s_wait_loadcnt_dscnt 0x0
	s_barrier_signal -1
	s_barrier_wait -1
	global_inv scope:SCOPE_SE
	ds_load_b64 v[32:33], v133
	ds_load_b64 v[36:37], v145
	;; [unrolled: 1-line block ×8, first 2 shown]
	v_perm_b32 v183, v192, v183, 0xc0c0004
	v_perm_b32 v19, v97, v19, 0xc0c0004
	;; [unrolled: 1-line block ×4, first 2 shown]
	v_add_nc_u32_e32 v160, -8, v160
	s_xor_b32 s20, exec_lo, -1
	v_lshl_or_b32 v19, v19, 16, v183
	s_wait_loadcnt_dscnt 0x0
	v_lshl_or_b32 v97, v192, 16, v97
	s_barrier_signal -1
	s_barrier_wait -1
	global_inv scope:SCOPE_SE
	s_branch .LBB295_28
.LBB295_53:
	s_or_b32 exec_lo, exec_lo, s19
	v_mad_co_u64_u32 v[9:10], null, v177, 7, v[70:71]
	v_add_nc_u32_e32 v50, v12, v14
	s_barrier_signal -1
	s_barrier_wait -1
	s_wait_loadcnt 0x0
	global_inv scope:SCOPE_SE
	ds_store_b8 v70, v178
	ds_store_b8 v64, v179
	ds_store_b8 v66, v182
	ds_store_b8 v68, v96
	ds_store_b8 v80, v20
	ds_store_b8 v82, v180
	ds_store_b8 v84, v181
	ds_store_b8 v86, v161
	s_wait_loadcnt_dscnt 0x0
	s_barrier_signal -1
	s_barrier_wait -1
	global_inv scope:SCOPE_SE
	ds_load_u8 v39, v50
	ds_load_u8 v38, v50 offset:256
	ds_load_u8 v37, v50 offset:512
	;; [unrolled: 1-line block ×7, first 2 shown]
	s_wait_loadcnt_dscnt 0x0
	s_barrier_signal -1
	s_barrier_wait -1
	global_inv scope:SCOPE_SE
	ds_store_b64 v9, v[28:29]
	v_mad_co_u64_u32 v[9:10], null, v176, 7, v[64:65]
	v_mad_co_u64_u32 v[10:11], null, v167, 7, v[66:67]
	;; [unrolled: 1-line block ×7, first 2 shown]
	ds_store_b64 v9, v[23:24]
	ds_store_b64 v10, v[21:22]
	;; [unrolled: 1-line block ×3, first 2 shown]
	v_mul_u32_u24_e32 v9, 7, v14
	ds_store_b64 v12, v[17:18]
	ds_store_b64 v19, v[15:16]
	;; [unrolled: 1-line block ×4, first 2 shown]
	s_wait_loadcnt_dscnt 0x0
	s_barrier_signal -1
	v_add_nc_u32_e32 v4, v50, v9
	s_barrier_wait -1
	global_inv scope:SCOPE_SE
	ds_load_2addr_stride64_b64 v[21:24], v4 offset1:4
	ds_load_2addr_stride64_b64 v[17:20], v4 offset0:8 offset1:12
	ds_load_2addr_stride64_b64 v[13:16], v4 offset0:16 offset1:20
	;; [unrolled: 1-line block ×3, first 2 shown]
	v_add_co_u32 v2, vcc_lo, v2, v8
	s_wait_alu 0xfffd
	v_add_co_ci_u32_e64 v3, null, 0, v3, vcc_lo
	v_mov_b32_e32 v26, 0
	s_delay_alu instid0(VALU_DEP_3) | instskip(SKIP_1) | instid1(VALU_DEP_3)
	v_add_co_u32 v2, vcc_lo, v2, v25
	s_wait_alu 0xfffd
	v_add_co_ci_u32_e64 v3, null, 0, v3, vcc_lo
	v_cmp_lt_u32_e32 vcc_lo, v25, v98
	s_wait_loadcnt_dscnt 0x0
	s_barrier_signal -1
	s_barrier_wait -1
	global_inv scope:SCOPE_SE
	s_and_saveexec_b32 s0, vcc_lo
	s_cbranch_execz .LBB295_55
; %bb.54:
	v_xor_b32_e32 v4, 0x7f, v39
	flat_store_b8 v[2:3], v4
.LBB295_55:
	s_wait_alu 0xfffe
	s_or_b32 exec_lo, exec_lo, s0
	v_add_nc_u32_e32 v4, 0x100, v25
	s_delay_alu instid0(VALU_DEP_1)
	v_cmp_lt_u32_e64 s0, v4, v98
	s_and_saveexec_b32 s1, s0
	s_cbranch_execz .LBB295_57
; %bb.56:
	v_xor_b32_e32 v4, 0x7f, v38
	flat_store_b8 v[2:3], v4 offset:256
.LBB295_57:
	s_wait_alu 0xfffe
	s_or_b32 exec_lo, exec_lo, s1
	v_add_nc_u32_e32 v4, 0x200, v25
	s_delay_alu instid0(VALU_DEP_1)
	v_cmp_lt_u32_e64 s1, v4, v98
	s_and_saveexec_b32 s2, s1
	s_cbranch_execz .LBB295_59
; %bb.58:
	v_xor_b32_e32 v4, 0x7f, v37
	flat_store_b8 v[2:3], v4 offset:512
.LBB295_59:
	;; [unrolled: 11-line block ×7, first 2 shown]
	s_wait_alu 0xfffe
	s_or_b32 exec_lo, exec_lo, s7
	v_lshlrev_b64_e32 v[2:3], 3, v[25:26]
	v_add_co_u32 v0, s7, v6, v0
	s_wait_alu 0xf1ff
	v_add_co_ci_u32_e64 v1, null, v7, v1, s7
	s_delay_alu instid0(VALU_DEP_2) | instskip(SKIP_1) | instid1(VALU_DEP_2)
	v_add_co_u32 v0, s7, v0, v2
	s_wait_alu 0xf1ff
	v_add_co_ci_u32_e64 v1, null, v1, v3, s7
	s_and_saveexec_b32 s7, vcc_lo
	s_cbranch_execnz .LBB295_119
; %bb.70:
	s_wait_alu 0xfffe
	s_or_b32 exec_lo, exec_lo, s7
	s_and_saveexec_b32 s7, s0
	s_cbranch_execnz .LBB295_120
.LBB295_71:
	s_wait_alu 0xfffe
	s_or_b32 exec_lo, exec_lo, s7
	s_and_saveexec_b32 s0, s1
	s_cbranch_execnz .LBB295_121
.LBB295_72:
	s_wait_alu 0xfffe
	s_or_b32 exec_lo, exec_lo, s0
	s_and_saveexec_b32 s0, s2
	s_cbranch_execnz .LBB295_122
.LBB295_73:
	s_wait_alu 0xfffe
	s_or_b32 exec_lo, exec_lo, s0
	s_and_saveexec_b32 s0, s3
	s_cbranch_execnz .LBB295_123
.LBB295_74:
	s_wait_alu 0xfffe
	s_or_b32 exec_lo, exec_lo, s0
	s_and_saveexec_b32 s0, s4
	s_cbranch_execnz .LBB295_124
.LBB295_75:
	s_wait_alu 0xfffe
	s_or_b32 exec_lo, exec_lo, s0
	s_and_saveexec_b32 s0, s5
	s_cbranch_execnz .LBB295_125
.LBB295_76:
	s_wait_alu 0xfffe
	s_or_b32 exec_lo, exec_lo, s0
	s_and_saveexec_b32 s0, s6
	s_cbranch_execz .LBB295_78
.LBB295_77:
	flat_store_b64 v[0:1], v[11:12] offset:14336
.LBB295_78:
	s_wait_alu 0xfffe
	s_or_b32 exec_lo, exec_lo, s0
                                        ; implicit-def: $vgpr98
                                        ; implicit-def: $vgpr0
                                        ; implicit-def: $vgpr1
                                        ; implicit-def: $vgpr2
                                        ; implicit-def: $vgpr3
                                        ; implicit-def: $vgpr4
                                        ; implicit-def: $vgpr5
                                        ; implicit-def: $vgpr6
                                        ; implicit-def: $vgpr7
                                        ; implicit-def: $vgpr8
                                        ; implicit-def: $vgpr10
                                        ; implicit-def: $vgpr11
                                        ; implicit-def: $vgpr12
                                        ; implicit-def: $vgpr13
                                        ; implicit-def: $vgpr9
                                        ; implicit-def: $vgpr15
                                        ; implicit-def: $vgpr14
                                        ; implicit-def: $vgpr30
.LBB295_79:
	s_wait_alu 0xfffe
	s_and_not1_saveexec_b32 s0, s17
	s_cbranch_execz .LBB295_199
; %bb.80:
	s_mov_b32 s0, exec_lo
	v_cmpx_lt_u32_e32 0x200, v98
	s_wait_alu 0xfffe
	s_xor_b32 s17, exec_lo, s0
	s_cbranch_execz .LBB295_140
; %bb.81:
	s_load_b64 s[0:1], s[8:9], 0x0
	s_and_b32 s2, ttmp7, 0xffff
	s_mov_b32 s3, 0
	v_add_co_u32 v0, vcc_lo, v0, v8
	s_wait_alu 0xfffd
	v_add_co_ci_u32_e64 v1, null, 0, v1, vcc_lo
	v_mov_b32_e32 v21, 0x80
	s_delay_alu instid0(VALU_DEP_3) | instskip(SKIP_1) | instid1(VALU_DEP_3)
	v_add_co_u32 v0, vcc_lo, v0, v30
	s_wait_alu 0xfffd
	v_add_co_ci_u32_e64 v1, null, 0, v1, vcc_lo
	v_mov_b32_e32 v20, 0x80
	s_wait_kmcnt 0x0
	s_wait_alu 0xfffe
	s_cmp_lt_u32 s2, s1
	s_cselect_b32 s2, 14, 20
	s_cmp_lt_u32 ttmp9, s0
	s_wait_alu 0xfffe
	s_add_nc_u64 s[4:5], s[8:9], s[2:3]
	s_cselect_b32 s2, 12, 18
	s_load_u16 s4, s[4:5], 0x0
	s_add_nc_u64 s[0:1], s[8:9], s[2:3]
	s_load_u16 s0, s[0:1], 0x0
	s_wait_kmcnt 0x0
	v_mad_u32_u24 v9, v15, s4, v9
	s_delay_alu instid0(VALU_DEP_1) | instskip(SKIP_1) | instid1(VALU_DEP_1)
	v_mad_co_u64_u32 v[17:18], null, v9, s0, v[14:15]
	v_dual_mov_b32 v9, 0 :: v_dual_mov_b32 v18, 0x80
	v_dual_mov_b32 v19, 0x80 :: v_dual_mov_b32 v16, v9
	s_delay_alu instid0(VALU_DEP_3) | instskip(NEXT) | instid1(VALU_DEP_1)
	v_lshlrev_b32_e32 v15, 2, v17
	v_and_b32_e32 v15, 0xffffff80, v15
	s_delay_alu instid0(VALU_DEP_1) | instskip(SKIP_3) | instid1(VALU_DEP_3)
	v_or_b32_e32 v22, v15, v30
	v_add_co_u32 v0, vcc_lo, v0, v15
	s_wait_alu 0xfffd
	v_add_co_ci_u32_e64 v1, null, 0, v1, vcc_lo
	v_cmp_lt_u32_e32 vcc_lo, v22, v98
	s_and_saveexec_b32 s0, vcc_lo
	s_cbranch_execz .LBB295_83
; %bb.82:
	flat_load_u8 v19, v[0:1]
	v_dual_mov_b32 v18, 0x80 :: v_dual_mov_b32 v21, 0x80
	v_mov_b32_e32 v20, 0x80
.LBB295_83:
	s_wait_alu 0xfffe
	s_or_b32 exec_lo, exec_lo, s0
	v_or_b32_e32 v23, 32, v22
	s_delay_alu instid0(VALU_DEP_1)
	v_cmp_lt_u32_e64 s0, v23, v98
	s_and_saveexec_b32 s1, s0
	s_cbranch_execz .LBB295_85
; %bb.84:
	flat_load_u8 v20, v[0:1] offset:32
.LBB295_85:
	s_wait_alu 0xfffe
	s_or_b32 exec_lo, exec_lo, s1
	v_or_b32_e32 v23, 64, v22
	s_delay_alu instid0(VALU_DEP_1)
	v_cmp_lt_u32_e64 s1, v23, v98
	s_and_saveexec_b32 s2, s1
	s_cbranch_execz .LBB295_87
; %bb.86:
	flat_load_u8 v21, v[0:1] offset:64
.LBB295_87:
	;; [unrolled: 10-line block ×3, first 2 shown]
	s_wait_alu 0xfffe
	s_or_b32 exec_lo, exec_lo, s3
	v_lshlrev_b64_e32 v[0:1], 3, v[8:9]
	v_lshlrev_b32_e32 v9, 3, v30
                                        ; implicit-def: $vgpr24_vgpr25
	s_delay_alu instid0(VALU_DEP_2) | instskip(SKIP_1) | instid1(VALU_DEP_3)
	v_add_co_u32 v22, s3, v4, v0
	s_wait_alu 0xf1ff
	v_add_co_ci_u32_e64 v23, null, v5, v1, s3
	v_lshlrev_b64_e32 v[4:5], 3, v[15:16]
	s_delay_alu instid0(VALU_DEP_3) | instskip(SKIP_1) | instid1(VALU_DEP_3)
	v_add_co_u32 v9, s3, v22, v9
	s_wait_alu 0xf1ff
	v_add_co_ci_u32_e64 v15, null, 0, v23, s3
	s_delay_alu instid0(VALU_DEP_2) | instskip(SKIP_1) | instid1(VALU_DEP_2)
	v_add_co_u32 v4, s3, v9, v4
	s_wait_alu 0xf1ff
	v_add_co_ci_u32_e64 v5, null, v15, v5, s3
	s_and_saveexec_b32 s3, vcc_lo
	s_cbranch_execnz .LBB295_164
; %bb.90:
	s_wait_alu 0xfffe
	s_or_b32 exec_lo, exec_lo, s3
                                        ; implicit-def: $vgpr26_vgpr27
	s_and_saveexec_b32 s3, s0
	s_cbranch_execnz .LBB295_165
.LBB295_91:
	s_wait_alu 0xfffe
	s_or_b32 exec_lo, exec_lo, s3
                                        ; implicit-def: $vgpr28_vgpr29
	s_and_saveexec_b32 s0, s1
	s_cbranch_execnz .LBB295_166
.LBB295_92:
	s_wait_alu 0xfffe
	s_or_b32 exec_lo, exec_lo, s0
                                        ; implicit-def: $vgpr22_vgpr23
	s_and_saveexec_b32 s0, s2
	s_cbranch_execz .LBB295_94
.LBB295_93:
	flat_load_b64 v[22:23], v[4:5] offset:768
.LBB295_94:
	s_wait_alu 0xfffe
	s_or_b32 exec_lo, exec_lo, s0
	s_wait_loadcnt_dscnt 0x0
	v_xor_b32_e32 v4, 0x7f, v19
	v_xor_b32_e32 v5, 0x7f, v20
	;; [unrolled: 1-line block ×4, first 2 shown]
	v_sub_co_u32 v16, s2, v30, 1
	v_dual_mov_b32 v67, 0 :: v_dual_and_b32 v4, 0xff, v4
	v_lshlrev_b16 v5, 8, v5
	v_and_b32_e32 v9, 0xff, v9
	v_lshlrev_b16 v15, 8, v15
	v_cmp_gt_i32_e64 s6, 0, v16
	s_getpc_b64 s[0:1]
	s_wait_alu 0xfffe
	s_sext_i32_i16 s1, s1
	s_add_co_u32 s0, s0, _ZN7rocprim17ROCPRIM_400000_NS16block_radix_sortIaLj256ELj4ElLj1ELj1ELj8ELNS0_26block_radix_rank_algorithmE2ELNS0_18block_padding_hintE2ELNS0_4arch9wavefront6targetE0EE19radix_bits_per_passE@rel32@lo+12
	s_wait_alu 0xfffe
	s_add_co_ci_u32 s1, s1, _ZN7rocprim17ROCPRIM_400000_NS16block_radix_sortIaLj256ELj4ElLj1ELj1ELj8ELNS0_26block_radix_rank_algorithmE2ELNS0_18block_padding_hintE2ELNS0_4arch9wavefront6targetE0EE19radix_bits_per_passE@rel32@hi+24
	v_or_b32_e32 v4, v4, v5
	s_load_b32 s18, s[0:1], 0x0
	v_or_b32_e32 v5, v9, v15
	v_lshl_add_u32 v15, v14, 5, v12
	v_lshrrev_b32_e32 v55, 5, v17
	v_and_b32_e32 v4, 0xffff, v4
	v_cmp_lt_u32_e64 s7, 31, v14
	v_lshlrev_b32_e32 v5, 16, v5
	v_add_nc_u32_e32 v9, 32, v15
	v_add_nc_u32_e32 v48, 36, v15
	;; [unrolled: 1-line block ×4, first 2 shown]
	v_or_b32_e32 v64, v4, v5
	v_and_b32_e32 v4, 0x3e0, v14
	v_add_nc_u32_e32 v51, 48, v15
	v_add_nc_u32_e32 v52, 52, v15
	v_and_b32_e32 v5, 15, v30
	v_add_nc_u32_e32 v53, 56, v15
	v_add_nc_u32_e32 v54, 60, v15
	v_min_u32_e32 v4, 0xe0, v4
	v_and_b32_e32 v15, 16, v30
	v_cmp_eq_u32_e32 vcc_lo, 0, v5
	v_cmp_lt_u32_e64 s0, 1, v5
	v_cmp_lt_u32_e64 s1, 3, v5
	v_or_b32_e32 v4, 31, v4
	v_cmp_lt_u32_e64 s3, 7, v5
	v_cmp_eq_u32_e64 s4, 0, v15
	v_cndmask_b32_e64 v5, v16, v30, s6
	v_lshlrev_b32_e32 v15, 2, v14
	v_cmp_eq_u32_e64 s5, v14, v4
	v_lshrrev_b32_e32 v4, 3, v14
	v_cmp_gt_u32_e64 s6, 8, v14
	v_lshlrev_b32_e32 v65, 2, v5
	v_and_or_b32 v5, 0xf80, v15, v30
	v_cmp_eq_u32_e64 s10, 0, v14
	v_and_b32_e32 v4, 0x7c, v4
	v_add_nc_u32_e32 v69, v12, v15
	v_sub_nc_u32_e32 v86, v11, v10
	v_add_nc_u32_e32 v68, v12, v5
	v_mul_u32_u24_e32 v5, 7, v5
	v_add_nc_u32_e32 v66, v12, v4
	v_and_b32_e32 v4, 7, v30
	s_mov_b32 s19, 0
	v_add_nc_u32_e32 v80, 32, v68
	v_add_nc_u32_e32 v70, v68, v5
	v_add_nc_u32_e32 v71, -4, v66
	v_cmp_eq_u32_e64 s11, 0, v4
	v_cmp_lt_u32_e64 s12, 1, v4
	v_cmp_lt_u32_e64 s13, 3, v4
	v_add_nc_u32_e32 v81, 64, v68
	v_add_nc_u32_e32 v82, 0x60, v68
	;; [unrolled: 1-line block ×5, first 2 shown]
	s_wait_storecnt 0x0
	s_barrier_signal -1
	s_barrier_wait -1
	global_inv scope:SCOPE_SE
	s_branch .LBB295_96
.LBB295_95:                             ;   in Loop: Header=BB295_96 Depth=1
	s_wait_alu 0xfffe
	s_or_b32 exec_lo, exec_lo, s15
	s_delay_alu instid0(SALU_CYCLE_1)
	s_and_b32 s14, exec_lo, s20
	s_wait_alu 0xfffe
	s_or_b32 s19, s14, s19
	s_wait_alu 0xfffe
	s_and_not1_b32 exec_lo, exec_lo, s19
	s_cbranch_execz .LBB295_126
.LBB295_96:                             ; =>This Inner Loop Header: Depth=1
	s_wait_kmcnt 0x0
	v_min_u32_e32 v4, s18, v86
	v_dual_mov_b32 v18, v24 :: v_dual_and_b32 v5, 0xff, v64
	v_mov_b32_e32 v19, v25
	ds_store_b32 v9, v67
	ds_store_b32 v48, v67
	;; [unrolled: 1-line block ×3, first 2 shown]
	v_lshlrev_b32_e64 v4, v4, -1
	v_lshrrev_b32_e32 v5, v10, v5
	ds_store_b32 v50, v67
	ds_store_b32 v51, v67
	;; [unrolled: 1-line block ×5, first 2 shown]
	v_not_b32_e32 v30, v4
	s_wait_loadcnt_dscnt 0x0
	s_barrier_signal -1
	s_barrier_wait -1
	global_inv scope:SCOPE_SE
	v_and_b32_e32 v31, v5, v30
	v_dual_mov_b32 v15, v26 :: v_dual_mov_b32 v16, v27
	v_dual_mov_b32 v4, v28 :: v_dual_mov_b32 v5, v29
	s_delay_alu instid0(VALU_DEP_3)
	v_lshlrev_b32_e32 v24, 29, v31
	v_and_b32_e32 v20, 1, v31
	v_lshlrev_b32_e32 v21, 30, v31
	v_lshlrev_b32_e32 v25, 28, v31
	;; [unrolled: 1-line block ×4, first 2 shown]
	v_add_co_u32 v20, s14, v20, -1
	s_wait_alu 0xf1ff
	v_cndmask_b32_e64 v26, 0, 1, s14
	v_not_b32_e32 v32, v21
	v_cmp_gt_i32_e64 s15, 0, v21
	v_not_b32_e32 v21, v24
	v_lshlrev_b32_e32 v29, 25, v31
	v_cmp_ne_u32_e64 s14, 0, v26
	v_ashrrev_i32_e32 v32, 31, v32
	v_lshlrev_b32_e32 v26, 24, v31
	v_ashrrev_i32_e32 v21, 31, v21
	s_wait_alu 0xf1ff
	v_xor_b32_e32 v20, s14, v20
	v_cmp_gt_i32_e64 s14, 0, v24
	v_not_b32_e32 v24, v25
	v_xor_b32_e32 v32, s15, v32
	v_cmp_gt_i32_e64 s15, 0, v25
	v_and_b32_e32 v20, exec_lo, v20
	v_not_b32_e32 v25, v27
	v_ashrrev_i32_e32 v24, 31, v24
	s_wait_alu 0xf1ff
	v_xor_b32_e32 v21, s14, v21
	v_cmp_gt_i32_e64 s14, 0, v27
	v_and_b32_e32 v20, v20, v32
	v_not_b32_e32 v27, v28
	v_ashrrev_i32_e32 v25, 31, v25
	v_xor_b32_e32 v24, s15, v24
	v_cmp_gt_i32_e64 s15, 0, v28
	v_and_b32_e32 v20, v20, v21
	v_not_b32_e32 v21, v29
	v_ashrrev_i32_e32 v27, 31, v27
	s_wait_alu 0xf1ff
	v_xor_b32_e32 v25, s14, v25
	v_cmp_gt_i32_e64 s14, 0, v29
	v_and_b32_e32 v20, v20, v24
	v_not_b32_e32 v24, v26
	v_ashrrev_i32_e32 v28, 31, v21
	v_xor_b32_e32 v27, s15, v27
	v_cmp_gt_i32_e64 s15, 0, v26
	v_dual_mov_b32 v20, v22 :: v_dual_and_b32 v25, v20, v25
	v_mov_b32_e32 v21, v23
	v_ashrrev_i32_e32 v22, 31, v24
	s_wait_alu 0xf1ff
	v_xor_b32_e32 v23, s14, v28
	v_and_b32_e32 v24, v25, v27
	v_lshlrev_b32_e32 v25, 3, v31
	; wave barrier
	v_xor_b32_e32 v22, s15, v22
	s_delay_alu instid0(VALU_DEP_3) | instskip(NEXT) | instid1(VALU_DEP_1)
	v_and_b32_e32 v23, v24, v23
	v_and_b32_e32 v24, v23, v22
	s_delay_alu instid0(VALU_DEP_4) | instskip(NEXT) | instid1(VALU_DEP_2)
	v_add_lshl_u32 v23, v25, v55, 2
	v_mbcnt_lo_u32_b32 v22, v24, 0
	s_delay_alu instid0(VALU_DEP_2) | instskip(SKIP_1) | instid1(VALU_DEP_3)
	v_add_co_u32 v23, null, v12, v23
	v_cmp_ne_u32_e64 s15, 0, v24
	v_cmp_eq_u32_e64 s14, 0, v22
	s_delay_alu instid0(VALU_DEP_3)
	v_add_co_u32 v23, null, v23, 32
	s_and_b32 s15, s15, s14
	s_wait_alu 0xfffe
	s_and_saveexec_b32 s14, s15
; %bb.97:                               ;   in Loop: Header=BB295_96 Depth=1
	v_bcnt_u32_b32 v24, v24, 0
	ds_store_b32 v23, v24
; %bb.98:                               ;   in Loop: Header=BB295_96 Depth=1
	s_wait_alu 0xfffe
	s_or_b32 exec_lo, exec_lo, s14
	v_bfe_u32 v24, v64, 8, 8
	; wave barrier
	s_delay_alu instid0(VALU_DEP_1) | instskip(NEXT) | instid1(VALU_DEP_1)
	v_lshrrev_b32_e32 v24, v10, v24
	v_and_b32_e32 v24, v24, v30
	s_delay_alu instid0(VALU_DEP_1)
	v_and_b32_e32 v25, 1, v24
	v_lshlrev_b32_e32 v26, 30, v24
	v_lshlrev_b32_e32 v27, 29, v24
	;; [unrolled: 1-line block ×4, first 2 shown]
	v_add_co_u32 v25, s14, v25, -1
	s_wait_alu 0xf1ff
	v_cndmask_b32_e64 v29, 0, 1, s14
	v_not_b32_e32 v34, v26
	v_cmp_gt_i32_e64 s15, 0, v26
	v_not_b32_e32 v26, v27
	v_lshlrev_b32_e32 v32, 26, v24
	v_cmp_ne_u32_e64 s14, 0, v29
	v_ashrrev_i32_e32 v34, 31, v34
	v_lshlrev_b32_e32 v33, 25, v24
	v_ashrrev_i32_e32 v26, 31, v26
	v_lshlrev_b32_e32 v29, 24, v24
	s_wait_alu 0xf1ff
	v_xor_b32_e32 v25, s14, v25
	v_cmp_gt_i32_e64 s14, 0, v27
	v_not_b32_e32 v27, v28
	v_xor_b32_e32 v34, s15, v34
	v_cmp_gt_i32_e64 s15, 0, v28
	v_and_b32_e32 v25, exec_lo, v25
	v_not_b32_e32 v28, v31
	v_ashrrev_i32_e32 v27, 31, v27
	s_wait_alu 0xf1ff
	v_xor_b32_e32 v26, s14, v26
	v_cmp_gt_i32_e64 s14, 0, v31
	v_and_b32_e32 v25, v25, v34
	v_not_b32_e32 v31, v32
	v_ashrrev_i32_e32 v28, 31, v28
	v_xor_b32_e32 v27, s15, v27
	v_cmp_gt_i32_e64 s15, 0, v32
	v_and_b32_e32 v25, v25, v26
	v_not_b32_e32 v26, v33
	v_ashrrev_i32_e32 v31, 31, v31
	s_wait_alu 0xf1ff
	v_xor_b32_e32 v28, s14, v28
	v_cmp_gt_i32_e64 s14, 0, v33
	v_and_b32_e32 v25, v25, v27
	v_not_b32_e32 v27, v29
	v_ashrrev_i32_e32 v26, 31, v26
	v_xor_b32_e32 v31, s15, v31
	v_lshl_add_u32 v24, v24, 3, v55
	v_and_b32_e32 v25, v25, v28
	v_cmp_gt_i32_e64 s15, 0, v29
	v_ashrrev_i32_e32 v27, 31, v27
	s_wait_alu 0xf1ff
	v_xor_b32_e32 v26, s14, v26
	v_lshl_add_u32 v28, v24, 2, v12
	v_and_b32_e32 v25, v25, v31
	v_xor_b32_e32 v27, s15, v27
	ds_load_b32 v24, v28 offset:32
	v_and_b32_e32 v25, v25, v26
	v_add_nc_u32_e32 v26, 32, v28
	; wave barrier
	s_delay_alu instid0(VALU_DEP_2) | instskip(NEXT) | instid1(VALU_DEP_1)
	v_and_b32_e32 v27, v25, v27
	v_mbcnt_lo_u32_b32 v25, v27, 0
	v_cmp_ne_u32_e64 s15, 0, v27
	s_delay_alu instid0(VALU_DEP_2)
	v_cmp_eq_u32_e64 s14, 0, v25
	s_and_b32 s15, s15, s14
	s_wait_alu 0xfffe
	s_and_saveexec_b32 s14, s15
	s_cbranch_execz .LBB295_100
; %bb.99:                               ;   in Loop: Header=BB295_96 Depth=1
	s_wait_dscnt 0x0
	v_bcnt_u32_b32 v27, v27, v24
	ds_store_b32 v26, v27
.LBB295_100:                            ;   in Loop: Header=BB295_96 Depth=1
	s_wait_alu 0xfffe
	s_or_b32 exec_lo, exec_lo, s14
	v_bfe_u32 v27, v64, 16, 8
	; wave barrier
	s_delay_alu instid0(VALU_DEP_1) | instskip(NEXT) | instid1(VALU_DEP_1)
	v_lshrrev_b32_e32 v27, v10, v27
	v_and_b32_e32 v27, v27, v30
	s_delay_alu instid0(VALU_DEP_1)
	v_and_b32_e32 v28, 1, v27
	v_lshlrev_b32_e32 v29, 30, v27
	v_lshlrev_b32_e32 v31, 29, v27
	;; [unrolled: 1-line block ×4, first 2 shown]
	v_add_co_u32 v28, s14, v28, -1
	s_wait_alu 0xf1ff
	v_cndmask_b32_e64 v33, 0, 1, s14
	v_not_b32_e32 v37, v29
	v_cmp_gt_i32_e64 s15, 0, v29
	v_not_b32_e32 v29, v31
	v_lshlrev_b32_e32 v35, 26, v27
	v_cmp_ne_u32_e64 s14, 0, v33
	v_ashrrev_i32_e32 v37, 31, v37
	v_lshlrev_b32_e32 v36, 25, v27
	v_ashrrev_i32_e32 v29, 31, v29
	v_lshlrev_b32_e32 v33, 24, v27
	s_wait_alu 0xf1ff
	v_xor_b32_e32 v28, s14, v28
	v_cmp_gt_i32_e64 s14, 0, v31
	v_not_b32_e32 v31, v32
	v_xor_b32_e32 v37, s15, v37
	v_cmp_gt_i32_e64 s15, 0, v32
	v_and_b32_e32 v28, exec_lo, v28
	v_not_b32_e32 v32, v34
	v_ashrrev_i32_e32 v31, 31, v31
	s_wait_alu 0xf1ff
	v_xor_b32_e32 v29, s14, v29
	v_cmp_gt_i32_e64 s14, 0, v34
	v_and_b32_e32 v28, v28, v37
	v_not_b32_e32 v34, v35
	v_ashrrev_i32_e32 v32, 31, v32
	v_xor_b32_e32 v31, s15, v31
	v_cmp_gt_i32_e64 s15, 0, v35
	v_and_b32_e32 v28, v28, v29
	v_not_b32_e32 v29, v36
	v_ashrrev_i32_e32 v34, 31, v34
	s_wait_alu 0xf1ff
	v_xor_b32_e32 v32, s14, v32
	v_cmp_gt_i32_e64 s14, 0, v36
	v_and_b32_e32 v28, v28, v31
	v_not_b32_e32 v31, v33
	v_ashrrev_i32_e32 v29, 31, v29
	v_xor_b32_e32 v34, s15, v34
	v_lshl_add_u32 v27, v27, 3, v55
	v_and_b32_e32 v28, v28, v32
	v_cmp_gt_i32_e64 s15, 0, v33
	v_ashrrev_i32_e32 v31, 31, v31
	s_wait_alu 0xf1ff
	v_xor_b32_e32 v29, s14, v29
	v_lshl_add_u32 v32, v27, 2, v12
	v_and_b32_e32 v28, v28, v34
	v_xor_b32_e32 v31, s15, v31
	ds_load_b32 v27, v32 offset:32
	v_and_b32_e32 v28, v28, v29
	v_add_nc_u32_e32 v29, 32, v32
	; wave barrier
	s_delay_alu instid0(VALU_DEP_2) | instskip(NEXT) | instid1(VALU_DEP_1)
	v_and_b32_e32 v31, v28, v31
	v_mbcnt_lo_u32_b32 v28, v31, 0
	v_cmp_ne_u32_e64 s15, 0, v31
	s_delay_alu instid0(VALU_DEP_2)
	v_cmp_eq_u32_e64 s14, 0, v28
	s_and_b32 s15, s15, s14
	s_wait_alu 0xfffe
	s_and_saveexec_b32 s14, s15
	s_cbranch_execz .LBB295_102
; %bb.101:                              ;   in Loop: Header=BB295_96 Depth=1
	s_wait_dscnt 0x0
	v_bcnt_u32_b32 v31, v31, v27
	ds_store_b32 v29, v31
.LBB295_102:                            ;   in Loop: Header=BB295_96 Depth=1
	s_wait_alu 0xfffe
	s_or_b32 exec_lo, exec_lo, s14
	v_lshrrev_b32_e32 v87, 24, v64
	; wave barrier
	s_delay_alu instid0(VALU_DEP_1) | instskip(NEXT) | instid1(VALU_DEP_1)
	v_lshrrev_b32_e32 v31, v10, v87
	v_and_b32_e32 v30, v31, v30
	s_delay_alu instid0(VALU_DEP_1)
	v_and_b32_e32 v31, 1, v30
	v_lshlrev_b32_e32 v32, 30, v30
	v_lshlrev_b32_e32 v33, 29, v30
	;; [unrolled: 1-line block ×4, first 2 shown]
	v_add_co_u32 v31, s14, v31, -1
	s_wait_alu 0xf1ff
	v_cndmask_b32_e64 v35, 0, 1, s14
	v_not_b32_e32 v39, v32
	v_cmp_gt_i32_e64 s15, 0, v32
	v_not_b32_e32 v32, v33
	v_lshlrev_b32_e32 v37, 26, v30
	v_cmp_ne_u32_e64 s14, 0, v35
	v_ashrrev_i32_e32 v39, 31, v39
	v_lshlrev_b32_e32 v38, 25, v30
	v_ashrrev_i32_e32 v32, 31, v32
	v_lshlrev_b32_e32 v35, 24, v30
	s_wait_alu 0xf1ff
	v_xor_b32_e32 v31, s14, v31
	v_cmp_gt_i32_e64 s14, 0, v33
	v_not_b32_e32 v33, v34
	v_xor_b32_e32 v39, s15, v39
	v_cmp_gt_i32_e64 s15, 0, v34
	v_and_b32_e32 v31, exec_lo, v31
	v_not_b32_e32 v34, v36
	v_ashrrev_i32_e32 v33, 31, v33
	s_wait_alu 0xf1ff
	v_xor_b32_e32 v32, s14, v32
	v_cmp_gt_i32_e64 s14, 0, v36
	v_and_b32_e32 v31, v31, v39
	v_not_b32_e32 v36, v37
	v_ashrrev_i32_e32 v34, 31, v34
	v_xor_b32_e32 v33, s15, v33
	v_cmp_gt_i32_e64 s15, 0, v37
	v_and_b32_e32 v31, v31, v32
	v_not_b32_e32 v32, v38
	v_ashrrev_i32_e32 v36, 31, v36
	s_wait_alu 0xf1ff
	v_xor_b32_e32 v34, s14, v34
	v_cmp_gt_i32_e64 s14, 0, v38
	v_and_b32_e32 v31, v31, v33
	v_not_b32_e32 v33, v35
	v_ashrrev_i32_e32 v32, 31, v32
	v_xor_b32_e32 v36, s15, v36
	v_lshl_add_u32 v30, v30, 3, v55
	v_and_b32_e32 v31, v31, v34
	v_cmp_gt_i32_e64 s15, 0, v35
	v_ashrrev_i32_e32 v33, 31, v33
	s_wait_alu 0xf1ff
	v_xor_b32_e32 v32, s14, v32
	v_lshl_add_u32 v34, v30, 2, v12
	v_and_b32_e32 v31, v31, v36
	v_xor_b32_e32 v33, s15, v33
	ds_load_b32 v30, v34 offset:32
	v_and_b32_e32 v31, v31, v32
	v_add_nc_u32_e32 v32, 32, v34
	; wave barrier
	s_delay_alu instid0(VALU_DEP_2) | instskip(NEXT) | instid1(VALU_DEP_1)
	v_and_b32_e32 v33, v31, v33
	v_mbcnt_lo_u32_b32 v31, v33, 0
	v_cmp_ne_u32_e64 s15, 0, v33
	s_delay_alu instid0(VALU_DEP_2)
	v_cmp_eq_u32_e64 s14, 0, v31
	s_and_b32 s15, s15, s14
	s_wait_alu 0xfffe
	s_and_saveexec_b32 s14, s15
	s_cbranch_execz .LBB295_104
; %bb.103:                              ;   in Loop: Header=BB295_96 Depth=1
	s_wait_dscnt 0x0
	v_bcnt_u32_b32 v33, v33, v30
	ds_store_b32 v32, v33
.LBB295_104:                            ;   in Loop: Header=BB295_96 Depth=1
	s_wait_alu 0xfffe
	s_or_b32 exec_lo, exec_lo, s14
	; wave barrier
	s_wait_loadcnt_dscnt 0x0
	s_barrier_signal -1
	s_barrier_wait -1
	global_inv scope:SCOPE_SE
	ds_load_b32 v34, v9
	ds_load_b32 v35, v48
	;; [unrolled: 1-line block ×8, first 2 shown]
	s_wait_dscnt 0x6
	v_add_nc_u32_e32 v97, v35, v34
	s_wait_dscnt 0x4
	s_delay_alu instid0(VALU_DEP_1) | instskip(SKIP_1) | instid1(VALU_DEP_1)
	v_add3_u32 v97, v97, v36, v37
	s_wait_dscnt 0x2
	v_add3_u32 v97, v97, v38, v39
	s_wait_dscnt 0x0
	s_delay_alu instid0(VALU_DEP_1) | instskip(NEXT) | instid1(VALU_DEP_1)
	v_add3_u32 v96, v97, v33, v96
	v_mov_b32_dpp v97, v96 row_shr:1 row_mask:0xf bank_mask:0xf
	s_wait_alu 0xfffd
	s_delay_alu instid0(VALU_DEP_1) | instskip(NEXT) | instid1(VALU_DEP_1)
	v_cndmask_b32_e64 v97, v97, 0, vcc_lo
	v_add_nc_u32_e32 v96, v97, v96
	s_delay_alu instid0(VALU_DEP_1) | instskip(NEXT) | instid1(VALU_DEP_1)
	v_mov_b32_dpp v97, v96 row_shr:2 row_mask:0xf bank_mask:0xf
	v_cndmask_b32_e64 v97, 0, v97, s0
	s_delay_alu instid0(VALU_DEP_1) | instskip(NEXT) | instid1(VALU_DEP_1)
	v_add_nc_u32_e32 v96, v96, v97
	v_mov_b32_dpp v97, v96 row_shr:4 row_mask:0xf bank_mask:0xf
	s_delay_alu instid0(VALU_DEP_1) | instskip(NEXT) | instid1(VALU_DEP_1)
	v_cndmask_b32_e64 v97, 0, v97, s1
	v_add_nc_u32_e32 v96, v96, v97
	s_delay_alu instid0(VALU_DEP_1) | instskip(NEXT) | instid1(VALU_DEP_1)
	v_mov_b32_dpp v97, v96 row_shr:8 row_mask:0xf bank_mask:0xf
	v_cndmask_b32_e64 v97, 0, v97, s3
	s_delay_alu instid0(VALU_DEP_1) | instskip(SKIP_3) | instid1(VALU_DEP_1)
	v_add_nc_u32_e32 v96, v96, v97
	ds_swizzle_b32 v97, v96 offset:swizzle(BROADCAST,32,15)
	s_wait_dscnt 0x0
	v_cndmask_b32_e64 v97, v97, 0, s4
	v_add_nc_u32_e32 v96, v96, v97
	s_and_saveexec_b32 s14, s5
; %bb.105:                              ;   in Loop: Header=BB295_96 Depth=1
	ds_store_b32 v66, v96
; %bb.106:                              ;   in Loop: Header=BB295_96 Depth=1
	s_wait_alu 0xfffe
	s_or_b32 exec_lo, exec_lo, s14
	s_wait_loadcnt_dscnt 0x0
	s_barrier_signal -1
	s_barrier_wait -1
	global_inv scope:SCOPE_SE
	s_and_saveexec_b32 s14, s6
	s_cbranch_execz .LBB295_108
; %bb.107:                              ;   in Loop: Header=BB295_96 Depth=1
	ds_load_b32 v97, v69
	s_wait_dscnt 0x0
	v_mov_b32_dpp v99, v97 row_shr:1 row_mask:0xf bank_mask:0xf
	s_delay_alu instid0(VALU_DEP_1) | instskip(NEXT) | instid1(VALU_DEP_1)
	v_cndmask_b32_e64 v99, v99, 0, s11
	v_add_nc_u32_e32 v97, v99, v97
	s_delay_alu instid0(VALU_DEP_1) | instskip(NEXT) | instid1(VALU_DEP_1)
	v_mov_b32_dpp v99, v97 row_shr:2 row_mask:0xf bank_mask:0xf
	v_cndmask_b32_e64 v99, 0, v99, s12
	s_delay_alu instid0(VALU_DEP_1) | instskip(NEXT) | instid1(VALU_DEP_1)
	v_add_nc_u32_e32 v97, v97, v99
	v_mov_b32_dpp v99, v97 row_shr:4 row_mask:0xf bank_mask:0xf
	s_delay_alu instid0(VALU_DEP_1) | instskip(NEXT) | instid1(VALU_DEP_1)
	v_cndmask_b32_e64 v99, 0, v99, s13
	v_add_nc_u32_e32 v97, v97, v99
	ds_store_b32 v69, v97
.LBB295_108:                            ;   in Loop: Header=BB295_96 Depth=1
	s_wait_alu 0xfffe
	s_or_b32 exec_lo, exec_lo, s14
	v_mov_b32_e32 v97, 0
	s_wait_loadcnt_dscnt 0x0
	s_barrier_signal -1
	s_barrier_wait -1
	global_inv scope:SCOPE_SE
	s_and_saveexec_b32 s14, s7
; %bb.109:                              ;   in Loop: Header=BB295_96 Depth=1
	ds_load_b32 v97, v71
; %bb.110:                              ;   in Loop: Header=BB295_96 Depth=1
	s_wait_alu 0xfffe
	s_or_b32 exec_lo, exec_lo, s14
	s_wait_dscnt 0x0
	v_add_nc_u32_e32 v96, v97, v96
	v_add_nc_u32_e32 v10, 8, v10
	v_lshrrev_b32_e32 v101, 8, v64
	v_lshrrev_b32_e32 v102, 16, v64
	s_mov_b32 s20, -1
	ds_bpermute_b32 v96, v65, v96
	v_mov_b32_e32 v100, v64
	s_wait_dscnt 0x0
	v_cndmask_b32_e64 v96, v96, v97, s2
	s_delay_alu instid0(VALU_DEP_1) | instskip(NEXT) | instid1(VALU_DEP_1)
	v_cndmask_b32_e64 v96, v96, 0, s10
	v_add_nc_u32_e32 v34, v96, v34
	s_delay_alu instid0(VALU_DEP_1) | instskip(SKIP_4) | instid1(VALU_DEP_1)
	v_add_nc_u32_e32 v35, v34, v35
	ds_store_b32 v9, v96
	ds_store_b32 v48, v34
	;; [unrolled: 1-line block ×3, first 2 shown]
	v_add_nc_u32_e32 v36, v35, v36
	v_add_nc_u32_e32 v37, v36, v37
	s_delay_alu instid0(VALU_DEP_1) | instskip(NEXT) | instid1(VALU_DEP_1)
	v_add_nc_u32_e32 v38, v37, v38
	v_add_nc_u32_e32 v39, v38, v39
	s_delay_alu instid0(VALU_DEP_1)
	v_add_nc_u32_e32 v33, v39, v33
	ds_store_b32 v50, v36
	ds_store_b32 v51, v37
	;; [unrolled: 1-line block ×5, first 2 shown]
	s_wait_loadcnt_dscnt 0x0
	s_barrier_signal -1
	s_barrier_wait -1
	global_inv scope:SCOPE_SE
	ds_load_b32 v23, v23
	ds_load_b32 v26, v26
	ds_load_b32 v29, v29
	ds_load_b32 v32, v32
	s_wait_loadcnt_dscnt 0x0
	v_add_nc_u32_e32 v22, v23, v22
	v_add3_u32 v99, v25, v24, v26
	v_add3_u32 v97, v28, v27, v29
	;; [unrolled: 1-line block ×3, first 2 shown]
                                        ; implicit-def: $vgpr24_vgpr25
                                        ; implicit-def: $vgpr26_vgpr27
                                        ; implicit-def: $vgpr28_vgpr29
	s_delay_alu instid0(VALU_DEP_4)
	v_add_co_u32 v38, s15, v12, v22
	s_wait_alu 0xf1ff
	v_add_co_ci_u32_e64 v39, null, 0, v13, s15
	v_add_co_u32 v30, s15, v12, v99
	s_wait_alu 0xf1ff
	v_add_co_ci_u32_e64 v31, null, 0, v13, s15
	v_add_co_u32 v34, s15, v12, v97
	v_mad_co_u64_u32 v[32:33], null, v22, 7, v[38:39]
	s_wait_alu 0xf1ff
	v_add_co_ci_u32_e64 v35, null, 0, v13, s15
	v_add_co_u32 v36, s15, v12, v96
	s_wait_alu 0xf1ff
	v_add_co_ci_u32_e64 v37, null, 0, v13, s15
	s_mov_b32 s15, exec_lo
                                        ; implicit-def: $vgpr22_vgpr23
	v_cmpx_lt_u32_e64 v10, v11
	s_cbranch_execz .LBB295_95
; %bb.111:                              ;   in Loop: Header=BB295_96 Depth=1
	s_barrier_signal -1
	s_barrier_wait -1
	global_inv scope:SCOPE_SE
	ds_store_b8 v38, v64
	ds_store_b8 v30, v101
	;; [unrolled: 1-line block ×4, first 2 shown]
	s_wait_loadcnt_dscnt 0x0
	s_barrier_signal -1
	s_barrier_wait -1
	global_inv scope:SCOPE_SE
	ds_load_u8 v33, v80
	ds_load_u8 v39, v68
	;; [unrolled: 1-line block ×4, first 2 shown]
	v_mad_co_u64_u32 v[22:23], null, v99, 7, v[30:31]
	v_mad_co_u64_u32 v[23:24], null, v97, 7, v[34:35]
	;; [unrolled: 1-line block ×3, first 2 shown]
	s_wait_loadcnt_dscnt 0x0
	s_barrier_signal -1
	s_barrier_wait -1
	global_inv scope:SCOPE_SE
	ds_store_b64 v32, v[18:19]
	ds_store_b64 v22, v[15:16]
	;; [unrolled: 1-line block ×4, first 2 shown]
	s_wait_loadcnt_dscnt 0x0
	s_barrier_signal -1
	s_barrier_wait -1
	global_inv scope:SCOPE_SE
	ds_load_b64 v[24:25], v70
	ds_load_b64 v[26:27], v83
	;; [unrolled: 1-line block ×4, first 2 shown]
	v_add_nc_u32_e32 v86, -8, v86
	v_perm_b32 v33, v39, v33, 0xc0c0004
	s_xor_b32 s20, exec_lo, -1
	v_perm_b32 v39, v103, v64, 0xc0c0004
	s_wait_loadcnt_dscnt 0x0
	s_barrier_signal -1
	s_barrier_wait -1
	global_inv scope:SCOPE_SE
	v_lshl_or_b32 v64, v39, 16, v33
	s_branch .LBB295_95
.LBB295_112:
	flat_load_b64 v[32:33], v[4:5]
	s_wait_alu 0xfffe
	s_or_b32 exec_lo, exec_lo, s7
                                        ; implicit-def: $vgpr36_vgpr37
	s_and_saveexec_b32 s7, s0
	s_cbranch_execz .LBB295_20
.LBB295_113:
	flat_load_b64 v[36:37], v[4:5] offset:256
	s_wait_alu 0xfffe
	s_or_b32 exec_lo, exec_lo, s7
                                        ; implicit-def: $vgpr38_vgpr39
	s_and_saveexec_b32 s0, s1
	s_cbranch_execz .LBB295_21
.LBB295_114:
	flat_load_b64 v[38:39], v[4:5] offset:512
	s_wait_alu 0xfffe
	s_or_b32 exec_lo, exec_lo, s0
                                        ; implicit-def: $vgpr48_vgpr49
	s_and_saveexec_b32 s0, s2
	s_cbranch_execz .LBB295_22
.LBB295_115:
	flat_load_b64 v[48:49], v[4:5] offset:768
	s_wait_alu 0xfffe
	s_or_b32 exec_lo, exec_lo, s0
                                        ; implicit-def: $vgpr50_vgpr51
	s_and_saveexec_b32 s0, s3
	s_cbranch_execz .LBB295_23
.LBB295_116:
	flat_load_b64 v[50:51], v[4:5] offset:1024
	s_wait_alu 0xfffe
	s_or_b32 exec_lo, exec_lo, s0
                                        ; implicit-def: $vgpr52_vgpr53
	s_and_saveexec_b32 s0, s4
	s_cbranch_execz .LBB295_24
.LBB295_117:
	flat_load_b64 v[52:53], v[4:5] offset:1280
	s_wait_alu 0xfffe
	s_or_b32 exec_lo, exec_lo, s0
                                        ; implicit-def: $vgpr54_vgpr55
	s_and_saveexec_b32 s0, s5
	s_cbranch_execz .LBB295_25
.LBB295_118:
	flat_load_b64 v[54:55], v[4:5] offset:1536
	s_wait_alu 0xfffe
	s_or_b32 exec_lo, exec_lo, s0
                                        ; implicit-def: $vgpr34_vgpr35
	s_and_saveexec_b32 s0, s6
	s_cbranch_execnz .LBB295_26
	s_branch .LBB295_27
.LBB295_119:
	flat_store_b64 v[0:1], v[21:22]
	s_wait_alu 0xfffe
	s_or_b32 exec_lo, exec_lo, s7
	s_and_saveexec_b32 s7, s0
	s_cbranch_execz .LBB295_71
.LBB295_120:
	flat_store_b64 v[0:1], v[23:24] offset:2048
	s_wait_alu 0xfffe
	s_or_b32 exec_lo, exec_lo, s7
	s_and_saveexec_b32 s0, s1
	s_cbranch_execz .LBB295_72
.LBB295_121:
	flat_store_b64 v[0:1], v[17:18] offset:4096
	s_wait_alu 0xfffe
	s_or_b32 exec_lo, exec_lo, s0
	s_and_saveexec_b32 s0, s2
	s_cbranch_execz .LBB295_73
.LBB295_122:
	flat_store_b64 v[0:1], v[19:20] offset:6144
	s_wait_alu 0xfffe
	s_or_b32 exec_lo, exec_lo, s0
	s_and_saveexec_b32 s0, s3
	s_cbranch_execz .LBB295_74
.LBB295_123:
	flat_store_b64 v[0:1], v[13:14] offset:8192
	s_wait_alu 0xfffe
	s_or_b32 exec_lo, exec_lo, s0
	s_and_saveexec_b32 s0, s4
	s_cbranch_execz .LBB295_75
.LBB295_124:
	flat_store_b64 v[0:1], v[15:16] offset:10240
	s_wait_alu 0xfffe
	s_or_b32 exec_lo, exec_lo, s0
	s_and_saveexec_b32 s0, s5
	s_cbranch_execz .LBB295_76
.LBB295_125:
	flat_store_b64 v[0:1], v[9:10] offset:12288
	s_wait_alu 0xfffe
	s_or_b32 exec_lo, exec_lo, s0
	s_and_saveexec_b32 s0, s6
	s_cbranch_execnz .LBB295_77
	s_branch .LBB295_78
.LBB295_126:
	s_or_b32 exec_lo, exec_lo, s19
	v_mad_co_u64_u32 v[9:10], null, v99, 7, v[30:31]
	v_mad_co_u64_u32 v[10:11], null, v97, 7, v[34:35]
	v_add_nc_u32_e32 v13, v12, v14
	v_mad_co_u64_u32 v[11:12], null, v96, 7, v[36:37]
	v_mul_u32_u24_e32 v12, 7, v14
	s_barrier_signal -1
	s_barrier_wait -1
	s_wait_loadcnt 0x0
	global_inv scope:SCOPE_SE
	ds_store_b8 v38, v100
	ds_store_b8 v30, v101
	;; [unrolled: 1-line block ×4, first 2 shown]
	s_wait_loadcnt_dscnt 0x0
	s_barrier_signal -1
	s_barrier_wait -1
	global_inv scope:SCOPE_SE
	ds_load_u8 v25, v13
	ds_load_u8 v24, v13 offset:256
	ds_load_u8 v23, v13 offset:512
	;; [unrolled: 1-line block ×3, first 2 shown]
	s_wait_loadcnt_dscnt 0x0
	s_barrier_signal -1
	s_barrier_wait -1
	global_inv scope:SCOPE_SE
	ds_store_b64 v32, v[18:19]
	ds_store_b64 v9, v[15:16]
	;; [unrolled: 1-line block ×4, first 2 shown]
	v_mov_b32_e32 v18, 0
	v_add_nc_u32_e32 v4, v13, v12
	s_wait_loadcnt_dscnt 0x0
	s_barrier_signal -1
	s_barrier_wait -1
	global_inv scope:SCOPE_SE
	ds_load_2addr_stride64_b64 v[13:16], v4 offset1:4
	ds_load_2addr_stride64_b64 v[9:12], v4 offset0:8 offset1:12
	v_add_co_u32 v2, vcc_lo, v2, v8
	s_wait_alu 0xfffd
	v_add_co_ci_u32_e64 v3, null, 0, v3, vcc_lo
	s_wait_loadcnt_dscnt 0x0
	s_delay_alu instid0(VALU_DEP_2) | instskip(SKIP_1) | instid1(VALU_DEP_2)
	v_add_co_u32 v2, vcc_lo, v2, v17
	s_wait_alu 0xfffd
	v_add_co_ci_u32_e64 v3, null, 0, v3, vcc_lo
	v_cmp_lt_u32_e32 vcc_lo, v17, v98
	s_barrier_signal -1
	s_barrier_wait -1
	global_inv scope:SCOPE_SE
	s_and_saveexec_b32 s0, vcc_lo
	s_cbranch_execz .LBB295_128
; %bb.127:
	v_xor_b32_e32 v4, 0x7f, v25
	flat_store_b8 v[2:3], v4
.LBB295_128:
	s_wait_alu 0xfffe
	s_or_b32 exec_lo, exec_lo, s0
	v_add_nc_u32_e32 v4, 0x100, v17
	s_delay_alu instid0(VALU_DEP_1)
	v_cmp_lt_u32_e64 s0, v4, v98
	s_and_saveexec_b32 s1, s0
	s_cbranch_execz .LBB295_130
; %bb.129:
	v_xor_b32_e32 v4, 0x7f, v24
	flat_store_b8 v[2:3], v4 offset:256
.LBB295_130:
	s_wait_alu 0xfffe
	s_or_b32 exec_lo, exec_lo, s1
	v_add_nc_u32_e32 v4, 0x200, v17
	s_delay_alu instid0(VALU_DEP_1)
	v_cmp_lt_u32_e64 s1, v4, v98
	s_and_saveexec_b32 s2, s1
	s_cbranch_execz .LBB295_132
; %bb.131:
	v_xor_b32_e32 v4, 0x7f, v23
	flat_store_b8 v[2:3], v4 offset:512
.LBB295_132:
	;; [unrolled: 11-line block ×3, first 2 shown]
	s_wait_alu 0xfffe
	s_or_b32 exec_lo, exec_lo, s3
	v_lshlrev_b64_e32 v[2:3], 3, v[17:18]
	v_add_co_u32 v0, s3, v6, v0
	s_wait_alu 0xf1ff
	v_add_co_ci_u32_e64 v1, null, v7, v1, s3
	s_delay_alu instid0(VALU_DEP_2) | instskip(SKIP_1) | instid1(VALU_DEP_2)
	v_add_co_u32 v0, s3, v0, v2
	s_wait_alu 0xf1ff
	v_add_co_ci_u32_e64 v1, null, v1, v3, s3
	s_and_saveexec_b32 s3, vcc_lo
	s_cbranch_execnz .LBB295_167
; %bb.135:
	s_wait_alu 0xfffe
	s_or_b32 exec_lo, exec_lo, s3
	s_and_saveexec_b32 s3, s0
	s_cbranch_execnz .LBB295_168
.LBB295_136:
	s_wait_alu 0xfffe
	s_or_b32 exec_lo, exec_lo, s3
	s_and_saveexec_b32 s0, s1
	s_cbranch_execnz .LBB295_169
.LBB295_137:
	s_wait_alu 0xfffe
	s_or_b32 exec_lo, exec_lo, s0
	s_and_saveexec_b32 s0, s2
	s_cbranch_execz .LBB295_139
.LBB295_138:
	flat_store_b64 v[0:1], v[11:12] offset:6144
.LBB295_139:
	s_wait_alu 0xfffe
	s_or_b32 exec_lo, exec_lo, s0
                                        ; implicit-def: $vgpr98
                                        ; implicit-def: $vgpr0
                                        ; implicit-def: $vgpr1
                                        ; implicit-def: $vgpr2
                                        ; implicit-def: $vgpr3
                                        ; implicit-def: $vgpr4
                                        ; implicit-def: $vgpr5
                                        ; implicit-def: $vgpr6
                                        ; implicit-def: $vgpr7
                                        ; implicit-def: $vgpr8
                                        ; implicit-def: $vgpr10
                                        ; implicit-def: $vgpr11
                                        ; implicit-def: $vgpr12
                                        ; implicit-def: $vgpr13
                                        ; implicit-def: $vgpr9
                                        ; implicit-def: $vgpr15
                                        ; implicit-def: $vgpr14
                                        ; implicit-def: $vgpr30
.LBB295_140:
	s_wait_alu 0xfffe
	s_and_not1_saveexec_b32 s0, s17
	s_cbranch_execz .LBB295_199
; %bb.141:
	s_load_b64 s[0:1], s[8:9], 0x0
	s_and_b32 s2, ttmp7, 0xffff
	s_mov_b32 s3, 0
	s_wait_kmcnt 0x0
	s_wait_alu 0xfffe
	s_cmp_lt_u32 s2, s1
	s_cselect_b32 s2, 14, 20
	s_cmp_lt_u32 ttmp9, s0
	s_wait_alu 0xfffe
	s_add_nc_u64 s[4:5], s[8:9], s[2:3]
	s_cselect_b32 s2, 12, 18
	s_load_u16 s4, s[4:5], 0x0
	s_add_nc_u64 s[0:1], s[8:9], s[2:3]
	s_load_u16 s0, s[0:1], 0x0
	s_wait_kmcnt 0x0
	v_mad_u32_u24 v9, v15, s4, v9
	s_delay_alu instid0(VALU_DEP_1)
	v_mad_co_u64_u32 v[15:16], null, v9, s0, v[14:15]
	v_mov_b32_e32 v9, 0
	s_mov_b32 s0, exec_lo
	v_cmpx_lt_u32_e32 0x100, v98
	s_wait_alu 0xfffe
	s_xor_b32 s14, exec_lo, s0
	s_cbranch_execz .LBB295_179
; %bb.142:
	s_delay_alu instid0(VALU_DEP_3) | instskip(SKIP_3) | instid1(VALU_DEP_3)
	v_dual_mov_b32 v17, v9 :: v_dual_lshlrev_b32 v16, 1, v15
	v_add_co_u32 v0, vcc_lo, v0, v8
	s_wait_alu 0xfffd
	v_add_co_ci_u32_e64 v1, null, 0, v1, vcc_lo
	v_and_b32_e32 v16, 0xffffffc0, v16
	s_delay_alu instid0(VALU_DEP_3) | instskip(SKIP_1) | instid1(VALU_DEP_3)
	v_add_co_u32 v0, vcc_lo, v0, v30
	s_wait_alu 0xfffd
	v_add_co_ci_u32_e64 v1, null, 0, v1, vcc_lo
	s_delay_alu instid0(VALU_DEP_3) | instskip(NEXT) | instid1(VALU_DEP_3)
	v_or_b32_e32 v18, v30, v16
	v_add_co_u32 v0, vcc_lo, v0, v16
	s_wait_alu 0xfffd
	s_delay_alu instid0(VALU_DEP_3) | instskip(NEXT) | instid1(VALU_DEP_3)
	v_add_co_ci_u32_e64 v1, null, 0, v1, vcc_lo
	v_cmp_lt_u32_e32 vcc_lo, v18, v98
	v_dual_mov_b32 v22, 0x80 :: v_dual_mov_b32 v23, 0x80
	s_and_saveexec_b32 s0, vcc_lo
	s_cbranch_execz .LBB295_144
; %bb.143:
	flat_load_u8 v23, v[0:1]
.LBB295_144:
	s_wait_alu 0xfffe
	s_or_b32 exec_lo, exec_lo, s0
	v_or_b32_e32 v18, 32, v18
	s_delay_alu instid0(VALU_DEP_1)
	v_cmp_lt_u32_e64 s0, v18, v98
	s_and_saveexec_b32 s1, s0
	s_cbranch_execz .LBB295_146
; %bb.145:
	flat_load_u8 v22, v[0:1] offset:32
.LBB295_146:
	s_wait_alu 0xfffe
	s_or_b32 exec_lo, exec_lo, s1
	v_lshlrev_b64_e32 v[0:1], 3, v[8:9]
	v_dual_mov_b32 v20, 0 :: v_dual_lshlrev_b32 v9, 3, v30
	v_lshlrev_b64_e32 v[16:17], 3, v[16:17]
	v_dual_mov_b32 v21, 0 :: v_dual_mov_b32 v18, 0
	s_delay_alu instid0(VALU_DEP_4) | instskip(SKIP_3) | instid1(VALU_DEP_3)
	v_add_co_u32 v4, s1, v4, v0
	s_wait_alu 0xf1ff
	v_add_co_ci_u32_e64 v5, null, v5, v1, s1
	v_mov_b32_e32 v19, 0
	v_add_co_u32 v4, s1, v4, v9
	s_wait_alu 0xf1ff
	s_delay_alu instid0(VALU_DEP_3) | instskip(NEXT) | instid1(VALU_DEP_2)
	v_add_co_ci_u32_e64 v5, null, 0, v5, s1
	v_add_co_u32 v4, s1, v4, v16
	s_wait_alu 0xf1ff
	s_delay_alu instid0(VALU_DEP_2)
	v_add_co_ci_u32_e64 v5, null, v5, v17, s1
	s_and_saveexec_b32 s1, vcc_lo
	s_cbranch_execz .LBB295_148
; %bb.147:
	flat_load_b64 v[18:19], v[4:5]
.LBB295_148:
	s_wait_alu 0xfffe
	s_or_b32 exec_lo, exec_lo, s1
	s_and_saveexec_b32 s1, s0
	s_cbranch_execz .LBB295_150
; %bb.149:
	flat_load_b64 v[20:21], v[4:5] offset:256
.LBB295_150:
	s_wait_alu 0xfffe
	s_or_b32 exec_lo, exec_lo, s1
	s_wait_loadcnt_dscnt 0x0
	v_xor_b32_e32 v4, 0x7f, v23
	v_xor_b32_e32 v5, 0x7f, v22
	v_lshl_add_u32 v16, v14, 5, v12
	v_sub_co_u32 v17, s2, v30, 1
	s_delay_alu instid0(VALU_DEP_4) | instskip(NEXT) | instid1(VALU_DEP_4)
	v_dual_mov_b32 v49, 0 :: v_dual_and_b32 v4, 0xff, v4
	v_lshlrev_b16 v5, 8, v5
	s_delay_alu instid0(VALU_DEP_4)
	v_add_nc_u32_e32 v9, 32, v16
	v_add_nc_u32_e32 v29, 36, v16
	;; [unrolled: 1-line block ×4, first 2 shown]
	v_or_b32_e32 v4, v4, v5
	v_add_nc_u32_e32 v33, 48, v16
	v_add_nc_u32_e32 v34, 52, v16
	v_and_b32_e32 v5, 15, v30
	v_add_nc_u32_e32 v35, 56, v16
	v_and_b32_e32 v38, 0xffff, v4
	v_and_b32_e32 v4, 0x3e0, v14
	v_add_nc_u32_e32 v36, 60, v16
	v_and_b32_e32 v16, 16, v30
	v_cmp_gt_i32_e64 s6, 0, v17
	s_getpc_b64 s[0:1]
	s_wait_alu 0xfffe
	s_sext_i32_i16 s1, s1
	s_add_co_u32 s0, s0, _ZN7rocprim17ROCPRIM_400000_NS16block_radix_sortIaLj256ELj2ElLj1ELj1ELj8ELNS0_26block_radix_rank_algorithmE2ELNS0_18block_padding_hintE2ELNS0_4arch9wavefront6targetE0EE19radix_bits_per_passE@rel32@lo+12
	s_wait_alu 0xfffe
	s_add_co_ci_u32 s1, s1, _ZN7rocprim17ROCPRIM_400000_NS16block_radix_sortIaLj256ELj2ElLj1ELj1ELj8ELNS0_26block_radix_rank_algorithmE2ELNS0_18block_padding_hintE2ELNS0_4arch9wavefront6targetE0EE19radix_bits_per_passE@rel32@hi+24
	v_min_u32_e32 v4, 0xe0, v4
	s_load_b32 s15, s[0:1], 0x0
	v_cmp_eq_u32_e32 vcc_lo, 0, v5
	v_cmp_lt_u32_e64 s0, 1, v5
	v_cmp_lt_u32_e64 s1, 3, v5
	v_or_b32_e32 v4, 31, v4
	v_cmp_lt_u32_e64 s3, 7, v5
	v_cmp_eq_u32_e64 s4, 0, v16
	v_cndmask_b32_e64 v5, v17, v30, s6
	v_lshrrev_b32_e32 v16, 3, v14
	v_cmp_eq_u32_e64 s5, v14, v4
	v_lshlrev_b32_e32 v4, 1, v14
	v_lshrrev_b32_e32 v37, 5, v15
	v_lshlrev_b32_e32 v39, 2, v5
	v_and_b32_e32 v5, 0x7c, v16
	v_and_b32_e32 v16, 7, v30
	v_and_or_b32 v4, 0x7c0, v4, v30
	v_cmp_gt_u32_e64 s6, 8, v14
	v_cmp_lt_u32_e64 s7, 31, v14
	v_add_nc_u32_e32 v48, v12, v5
	v_cmp_eq_u32_e64 s8, 0, v14
	v_add_nc_u32_e32 v30, v12, v4
	v_mul_u32_u24_e32 v4, 7, v4
	v_lshl_add_u32 v50, v14, 2, v12
	v_cmp_eq_u32_e64 s9, 0, v16
	v_cmp_lt_u32_e64 s10, 1, v16
	v_cmp_lt_u32_e64 s11, 3, v16
	v_add_nc_u32_e32 v51, v30, v4
	v_add_nc_u32_e32 v52, -4, v48
	v_add_nc_u32_e32 v53, 32, v30
	v_sub_nc_u32_e32 v55, v11, v10
	s_mov_b32 s17, 0
	v_add_nc_u32_e32 v54, 0x100, v51
	s_wait_storecnt 0x0
	s_barrier_signal -1
	s_barrier_wait -1
	global_inv scope:SCOPE_SE
	s_branch .LBB295_152
.LBB295_151:                            ;   in Loop: Header=BB295_152 Depth=1
	s_wait_alu 0xfffe
	s_or_b32 exec_lo, exec_lo, s13
	s_delay_alu instid0(SALU_CYCLE_1)
	s_and_b32 s12, exec_lo, s18
	s_wait_alu 0xfffe
	s_or_b32 s17, s12, s17
	s_wait_alu 0xfffe
	s_and_not1_b32 exec_lo, exec_lo, s17
	s_cbranch_execz .LBB295_170
.LBB295_152:                            ; =>This Inner Loop Header: Depth=1
	s_wait_kmcnt 0x0
	v_min_u32_e32 v4, s15, v55
	v_and_b32_e32 v5, 0xff, v38
	ds_store_b32 v9, v49
	ds_store_b32 v29, v49
	;; [unrolled: 1-line block ×6, first 2 shown]
	v_lshlrev_b32_e64 v4, v4, -1
	v_lshrrev_b32_e32 v5, v10, v5
	ds_store_b32 v35, v49
	ds_store_b32 v36, v49
	s_wait_loadcnt_dscnt 0x0
	s_barrier_signal -1
	v_not_b32_e32 v22, v4
	s_barrier_wait -1
	global_inv scope:SCOPE_SE
	; wave barrier
	v_dual_mov_b32 v4, v20 :: v_dual_and_b32 v23, v5, v22
	s_delay_alu instid0(VALU_DEP_1)
	v_dual_mov_b32 v5, v21 :: v_dual_and_b32 v16, 1, v23
	v_lshlrev_b32_e32 v17, 30, v23
	v_lshlrev_b32_e32 v20, 29, v23
	;; [unrolled: 1-line block ×4, first 2 shown]
	v_add_co_u32 v16, s12, v16, -1
	s_wait_alu 0xf1ff
	v_cndmask_b32_e64 v24, 0, 1, s12
	v_not_b32_e32 v28, v17
	v_cmp_gt_i32_e64 s13, 0, v17
	v_not_b32_e32 v17, v20
	v_lshlrev_b32_e32 v26, 26, v23
	v_cmp_ne_u32_e64 s12, 0, v24
	v_ashrrev_i32_e32 v28, 31, v28
	v_lshlrev_b32_e32 v27, 25, v23
	v_ashrrev_i32_e32 v17, 31, v17
	v_lshlrev_b32_e32 v24, 24, v23
	s_wait_alu 0xf1ff
	v_xor_b32_e32 v16, s12, v16
	v_cmp_gt_i32_e64 s12, 0, v20
	v_not_b32_e32 v20, v21
	v_xor_b32_e32 v28, s13, v28
	v_cmp_gt_i32_e64 s13, 0, v21
	v_and_b32_e32 v16, exec_lo, v16
	v_not_b32_e32 v21, v25
	v_ashrrev_i32_e32 v20, 31, v20
	s_wait_alu 0xf1ff
	v_xor_b32_e32 v17, s12, v17
	v_cmp_gt_i32_e64 s12, 0, v25
	v_and_b32_e32 v16, v16, v28
	v_not_b32_e32 v25, v26
	v_ashrrev_i32_e32 v21, 31, v21
	v_xor_b32_e32 v20, s13, v20
	v_cmp_gt_i32_e64 s13, 0, v26
	v_and_b32_e32 v16, v16, v17
	v_not_b32_e32 v17, v27
	v_ashrrev_i32_e32 v25, 31, v25
	s_wait_alu 0xf1ff
	v_xor_b32_e32 v21, s12, v21
	v_cmp_gt_i32_e64 s12, 0, v27
	v_and_b32_e32 v16, v16, v20
	v_not_b32_e32 v20, v24
	v_ashrrev_i32_e32 v26, 31, v17
	v_xor_b32_e32 v25, s13, v25
	v_cmp_gt_i32_e64 s13, 0, v24
	v_dual_mov_b32 v16, v18 :: v_dual_and_b32 v21, v16, v21
	v_mov_b32_e32 v17, v19
	v_ashrrev_i32_e32 v18, 31, v20
	s_wait_alu 0xf1ff
	v_xor_b32_e32 v19, s12, v26
	v_and_b32_e32 v20, v21, v25
	v_lshlrev_b32_e32 v21, 3, v23
	v_xor_b32_e32 v18, s13, v18
	s_delay_alu instid0(VALU_DEP_3) | instskip(NEXT) | instid1(VALU_DEP_1)
	v_and_b32_e32 v19, v20, v19
	v_and_b32_e32 v20, v19, v18
	s_delay_alu instid0(VALU_DEP_4) | instskip(NEXT) | instid1(VALU_DEP_2)
	v_add_lshl_u32 v19, v21, v37, 2
	v_mbcnt_lo_u32_b32 v18, v20, 0
	s_delay_alu instid0(VALU_DEP_2) | instskip(SKIP_1) | instid1(VALU_DEP_3)
	v_add_co_u32 v19, null, v12, v19
	v_cmp_ne_u32_e64 s13, 0, v20
	v_cmp_eq_u32_e64 s12, 0, v18
	s_delay_alu instid0(VALU_DEP_3)
	v_add_co_u32 v19, null, v19, 32
	s_and_b32 s13, s13, s12
	s_wait_alu 0xfffe
	s_and_saveexec_b32 s12, s13
; %bb.153:                              ;   in Loop: Header=BB295_152 Depth=1
	v_bcnt_u32_b32 v20, v20, 0
	ds_store_b32 v19, v20
; %bb.154:                              ;   in Loop: Header=BB295_152 Depth=1
	s_wait_alu 0xfffe
	s_or_b32 exec_lo, exec_lo, s12
	v_lshrrev_b16 v64, 8, v38
	; wave barrier
	s_delay_alu instid0(VALU_DEP_1) | instskip(NEXT) | instid1(VALU_DEP_1)
	v_and_b32_e32 v20, 0xffff, v64
	v_lshrrev_b32_e32 v20, v10, v20
	s_delay_alu instid0(VALU_DEP_1) | instskip(NEXT) | instid1(VALU_DEP_1)
	v_and_b32_e32 v20, v20, v22
	v_and_b32_e32 v21, 1, v20
	v_lshlrev_b32_e32 v22, 30, v20
	v_lshlrev_b32_e32 v23, 29, v20
	;; [unrolled: 1-line block ×4, first 2 shown]
	v_add_co_u32 v21, s12, v21, -1
	s_wait_alu 0xf1ff
	v_cndmask_b32_e64 v25, 0, 1, s12
	v_not_b32_e32 v65, v22
	v_cmp_gt_i32_e64 s13, 0, v22
	v_not_b32_e32 v22, v23
	v_lshlrev_b32_e32 v27, 26, v20
	v_cmp_ne_u32_e64 s12, 0, v25
	v_ashrrev_i32_e32 v65, 31, v65
	v_lshlrev_b32_e32 v28, 25, v20
	v_ashrrev_i32_e32 v22, 31, v22
	v_lshlrev_b32_e32 v25, 24, v20
	s_wait_alu 0xf1ff
	v_xor_b32_e32 v21, s12, v21
	v_cmp_gt_i32_e64 s12, 0, v23
	v_not_b32_e32 v23, v24
	v_xor_b32_e32 v65, s13, v65
	v_cmp_gt_i32_e64 s13, 0, v24
	v_and_b32_e32 v21, exec_lo, v21
	v_not_b32_e32 v24, v26
	v_ashrrev_i32_e32 v23, 31, v23
	s_wait_alu 0xf1ff
	v_xor_b32_e32 v22, s12, v22
	v_cmp_gt_i32_e64 s12, 0, v26
	v_and_b32_e32 v21, v21, v65
	v_not_b32_e32 v26, v27
	v_ashrrev_i32_e32 v24, 31, v24
	v_xor_b32_e32 v23, s13, v23
	v_cmp_gt_i32_e64 s13, 0, v27
	v_and_b32_e32 v21, v21, v22
	v_not_b32_e32 v22, v28
	v_ashrrev_i32_e32 v26, 31, v26
	s_wait_alu 0xf1ff
	v_xor_b32_e32 v24, s12, v24
	v_cmp_gt_i32_e64 s12, 0, v28
	v_and_b32_e32 v21, v21, v23
	v_not_b32_e32 v23, v25
	v_ashrrev_i32_e32 v22, 31, v22
	v_xor_b32_e32 v26, s13, v26
	v_lshl_add_u32 v20, v20, 3, v37
	v_and_b32_e32 v21, v21, v24
	v_cmp_gt_i32_e64 s13, 0, v25
	v_ashrrev_i32_e32 v23, 31, v23
	s_wait_alu 0xf1ff
	v_xor_b32_e32 v22, s12, v22
	v_lshl_add_u32 v24, v20, 2, v12
	v_and_b32_e32 v21, v21, v26
	v_xor_b32_e32 v23, s13, v23
	ds_load_b32 v20, v24 offset:32
	v_and_b32_e32 v21, v21, v22
	v_add_nc_u32_e32 v22, 32, v24
	; wave barrier
	s_delay_alu instid0(VALU_DEP_2) | instskip(NEXT) | instid1(VALU_DEP_1)
	v_and_b32_e32 v23, v21, v23
	v_mbcnt_lo_u32_b32 v21, v23, 0
	v_cmp_ne_u32_e64 s13, 0, v23
	s_delay_alu instid0(VALU_DEP_2)
	v_cmp_eq_u32_e64 s12, 0, v21
	s_and_b32 s13, s13, s12
	s_wait_alu 0xfffe
	s_and_saveexec_b32 s12, s13
	s_cbranch_execz .LBB295_156
; %bb.155:                              ;   in Loop: Header=BB295_152 Depth=1
	s_wait_dscnt 0x0
	v_bcnt_u32_b32 v23, v23, v20
	ds_store_b32 v22, v23
.LBB295_156:                            ;   in Loop: Header=BB295_152 Depth=1
	s_wait_alu 0xfffe
	s_or_b32 exec_lo, exec_lo, s12
	; wave barrier
	s_wait_loadcnt_dscnt 0x0
	s_barrier_signal -1
	s_barrier_wait -1
	global_inv scope:SCOPE_SE
	ds_load_b32 v24, v9
	ds_load_b32 v25, v29
	;; [unrolled: 1-line block ×8, first 2 shown]
	s_wait_dscnt 0x6
	v_add_nc_u32_e32 v67, v25, v24
	s_wait_dscnt 0x4
	s_delay_alu instid0(VALU_DEP_1) | instskip(SKIP_1) | instid1(VALU_DEP_1)
	v_add3_u32 v67, v67, v26, v27
	s_wait_dscnt 0x2
	v_add3_u32 v67, v67, v28, v65
	s_wait_dscnt 0x0
	s_delay_alu instid0(VALU_DEP_1) | instskip(NEXT) | instid1(VALU_DEP_1)
	v_add3_u32 v66, v67, v23, v66
	v_mov_b32_dpp v67, v66 row_shr:1 row_mask:0xf bank_mask:0xf
	s_wait_alu 0xfffd
	s_delay_alu instid0(VALU_DEP_1) | instskip(NEXT) | instid1(VALU_DEP_1)
	v_cndmask_b32_e64 v67, v67, 0, vcc_lo
	v_add_nc_u32_e32 v66, v67, v66
	s_delay_alu instid0(VALU_DEP_1) | instskip(NEXT) | instid1(VALU_DEP_1)
	v_mov_b32_dpp v67, v66 row_shr:2 row_mask:0xf bank_mask:0xf
	v_cndmask_b32_e64 v67, 0, v67, s0
	s_delay_alu instid0(VALU_DEP_1) | instskip(NEXT) | instid1(VALU_DEP_1)
	v_add_nc_u32_e32 v66, v66, v67
	v_mov_b32_dpp v67, v66 row_shr:4 row_mask:0xf bank_mask:0xf
	s_delay_alu instid0(VALU_DEP_1) | instskip(NEXT) | instid1(VALU_DEP_1)
	v_cndmask_b32_e64 v67, 0, v67, s1
	v_add_nc_u32_e32 v66, v66, v67
	s_delay_alu instid0(VALU_DEP_1) | instskip(NEXT) | instid1(VALU_DEP_1)
	v_mov_b32_dpp v67, v66 row_shr:8 row_mask:0xf bank_mask:0xf
	v_cndmask_b32_e64 v67, 0, v67, s3
	s_delay_alu instid0(VALU_DEP_1) | instskip(SKIP_3) | instid1(VALU_DEP_1)
	v_add_nc_u32_e32 v66, v66, v67
	ds_swizzle_b32 v67, v66 offset:swizzle(BROADCAST,32,15)
	s_wait_dscnt 0x0
	v_cndmask_b32_e64 v67, v67, 0, s4
	v_add_nc_u32_e32 v66, v66, v67
	s_and_saveexec_b32 s12, s5
; %bb.157:                              ;   in Loop: Header=BB295_152 Depth=1
	ds_store_b32 v48, v66
; %bb.158:                              ;   in Loop: Header=BB295_152 Depth=1
	s_wait_alu 0xfffe
	s_or_b32 exec_lo, exec_lo, s12
	s_wait_loadcnt_dscnt 0x0
	s_barrier_signal -1
	s_barrier_wait -1
	global_inv scope:SCOPE_SE
	s_and_saveexec_b32 s12, s6
	s_cbranch_execz .LBB295_160
; %bb.159:                              ;   in Loop: Header=BB295_152 Depth=1
	ds_load_b32 v67, v50
	s_wait_dscnt 0x0
	v_mov_b32_dpp v68, v67 row_shr:1 row_mask:0xf bank_mask:0xf
	s_delay_alu instid0(VALU_DEP_1) | instskip(NEXT) | instid1(VALU_DEP_1)
	v_cndmask_b32_e64 v68, v68, 0, s9
	v_add_nc_u32_e32 v67, v68, v67
	s_delay_alu instid0(VALU_DEP_1) | instskip(NEXT) | instid1(VALU_DEP_1)
	v_mov_b32_dpp v68, v67 row_shr:2 row_mask:0xf bank_mask:0xf
	v_cndmask_b32_e64 v68, 0, v68, s10
	s_delay_alu instid0(VALU_DEP_1) | instskip(NEXT) | instid1(VALU_DEP_1)
	v_add_nc_u32_e32 v67, v67, v68
	v_mov_b32_dpp v68, v67 row_shr:4 row_mask:0xf bank_mask:0xf
	s_delay_alu instid0(VALU_DEP_1) | instskip(NEXT) | instid1(VALU_DEP_1)
	v_cndmask_b32_e64 v68, 0, v68, s11
	v_add_nc_u32_e32 v67, v67, v68
	ds_store_b32 v50, v67
.LBB295_160:                            ;   in Loop: Header=BB295_152 Depth=1
	s_wait_alu 0xfffe
	s_or_b32 exec_lo, exec_lo, s12
	v_mov_b32_e32 v67, 0
	s_wait_loadcnt_dscnt 0x0
	s_barrier_signal -1
	s_barrier_wait -1
	global_inv scope:SCOPE_SE
	s_and_saveexec_b32 s12, s7
; %bb.161:                              ;   in Loop: Header=BB295_152 Depth=1
	ds_load_b32 v67, v52
; %bb.162:                              ;   in Loop: Header=BB295_152 Depth=1
	s_wait_alu 0xfffe
	s_or_b32 exec_lo, exec_lo, s12
	s_wait_dscnt 0x0
	v_add_nc_u32_e32 v66, v67, v66
	v_add_nc_u32_e32 v10, 8, v10
	s_mov_b32 s18, -1
	s_mov_b32 s13, exec_lo
	ds_bpermute_b32 v66, v39, v66
	s_wait_dscnt 0x0
	v_cndmask_b32_e64 v66, v66, v67, s2
	s_delay_alu instid0(VALU_DEP_1) | instskip(NEXT) | instid1(VALU_DEP_1)
	v_cndmask_b32_e64 v66, v66, 0, s8
	v_add_nc_u32_e32 v24, v66, v24
	s_delay_alu instid0(VALU_DEP_1) | instskip(SKIP_4) | instid1(VALU_DEP_1)
	v_add_nc_u32_e32 v25, v24, v25
	ds_store_b32 v9, v66
	ds_store_b32 v29, v24
	;; [unrolled: 1-line block ×3, first 2 shown]
	v_add_nc_u32_e32 v26, v25, v26
	v_add_nc_u32_e32 v27, v26, v27
	s_delay_alu instid0(VALU_DEP_1) | instskip(NEXT) | instid1(VALU_DEP_1)
	v_add_nc_u32_e32 v28, v27, v28
	v_add_nc_u32_e32 v65, v28, v65
	s_delay_alu instid0(VALU_DEP_1)
	v_add_nc_u32_e32 v23, v65, v23
	ds_store_b32 v32, v26
	ds_store_b32 v33, v27
	;; [unrolled: 1-line block ×5, first 2 shown]
	s_wait_loadcnt_dscnt 0x0
	s_barrier_signal -1
	s_barrier_wait -1
	global_inv scope:SCOPE_SE
	ds_load_b32 v19, v19
	ds_load_b32 v22, v22
	s_wait_loadcnt_dscnt 0x0
	v_add_nc_u32_e32 v18, v19, v18
	v_add3_u32 v19, v21, v20, v22
                                        ; implicit-def: $vgpr20_vgpr21
	s_delay_alu instid0(VALU_DEP_2) | instskip(SKIP_2) | instid1(VALU_DEP_3)
	v_add_co_u32 v25, s12, v12, v18
	s_wait_alu 0xf1ff
	v_add_co_ci_u32_e64 v26, null, 0, v13, s12
	v_add_co_u32 v27, s12, v12, v19
	s_wait_alu 0xf1ff
	v_add_co_ci_u32_e64 v28, null, 0, v13, s12
	s_delay_alu instid0(VALU_DEP_3) | instskip(NEXT) | instid1(VALU_DEP_2)
	v_mad_co_u64_u32 v[22:23], null, v18, 7, v[25:26]
	v_mad_co_u64_u32 v[23:24], null, v19, 7, v[27:28]
	v_mov_b32_e32 v24, v38
                                        ; implicit-def: $vgpr18_vgpr19
	v_cmpx_lt_u32_e64 v10, v11
	s_cbranch_execz .LBB295_151
; %bb.163:                              ;   in Loop: Header=BB295_152 Depth=1
	s_barrier_signal -1
	s_barrier_wait -1
	global_inv scope:SCOPE_SE
	ds_store_b8 v25, v38
	ds_store_b8 v27, v64
	s_wait_loadcnt_dscnt 0x0
	s_barrier_signal -1
	s_barrier_wait -1
	global_inv scope:SCOPE_SE
	ds_load_u8 v26, v53
	ds_load_u8 v28, v30
	s_wait_loadcnt_dscnt 0x0
	s_barrier_signal -1
	s_barrier_wait -1
	global_inv scope:SCOPE_SE
	ds_store_b64 v22, v[16:17]
	ds_store_b64 v23, v[4:5]
	s_wait_loadcnt_dscnt 0x0
	s_barrier_signal -1
	s_barrier_wait -1
	global_inv scope:SCOPE_SE
	ds_load_b64 v[18:19], v51
	ds_load_b64 v[20:21], v54
	v_add_nc_u32_e32 v55, -8, v55
	s_xor_b32 s18, exec_lo, -1
	s_wait_loadcnt_dscnt 0x0
	s_barrier_signal -1
	s_barrier_wait -1
	global_inv scope:SCOPE_SE
	v_perm_b32 v38, v28, v26, 0xc0c0004
	s_branch .LBB295_151
.LBB295_164:
	flat_load_b64 v[24:25], v[4:5]
	s_wait_alu 0xfffe
	s_or_b32 exec_lo, exec_lo, s3
                                        ; implicit-def: $vgpr26_vgpr27
	s_and_saveexec_b32 s3, s0
	s_cbranch_execz .LBB295_91
.LBB295_165:
	flat_load_b64 v[26:27], v[4:5] offset:256
	s_wait_alu 0xfffe
	s_or_b32 exec_lo, exec_lo, s3
                                        ; implicit-def: $vgpr28_vgpr29
	s_and_saveexec_b32 s0, s1
	s_cbranch_execz .LBB295_92
.LBB295_166:
	flat_load_b64 v[28:29], v[4:5] offset:512
	s_wait_alu 0xfffe
	s_or_b32 exec_lo, exec_lo, s0
                                        ; implicit-def: $vgpr22_vgpr23
	s_and_saveexec_b32 s0, s2
	s_cbranch_execnz .LBB295_93
	s_branch .LBB295_94
.LBB295_167:
	flat_store_b64 v[0:1], v[13:14]
	s_wait_alu 0xfffe
	s_or_b32 exec_lo, exec_lo, s3
	s_and_saveexec_b32 s3, s0
	s_cbranch_execz .LBB295_136
.LBB295_168:
	flat_store_b64 v[0:1], v[15:16] offset:2048
	s_wait_alu 0xfffe
	s_or_b32 exec_lo, exec_lo, s3
	s_and_saveexec_b32 s0, s1
	s_cbranch_execz .LBB295_137
.LBB295_169:
	flat_store_b64 v[0:1], v[9:10] offset:4096
	s_wait_alu 0xfffe
	s_or_b32 exec_lo, exec_lo, s0
	s_and_saveexec_b32 s0, s2
	s_cbranch_execnz .LBB295_138
	s_branch .LBB295_139
.LBB295_170:
	s_or_b32 exec_lo, exec_lo, s17
	v_add_nc_u32_e32 v9, v12, v14
	v_mul_u32_u24_e32 v10, 7, v14
	s_barrier_signal -1
	s_barrier_wait -1
	s_wait_loadcnt 0x0
	global_inv scope:SCOPE_SE
	ds_store_b8 v25, v24
	ds_store_b8 v27, v64
	s_wait_loadcnt_dscnt 0x0
	s_barrier_signal -1
	s_barrier_wait -1
	global_inv scope:SCOPE_SE
	ds_load_u8 v18, v9
	ds_load_u8 v13, v9 offset:256
	s_wait_loadcnt_dscnt 0x0
	s_barrier_signal -1
	s_barrier_wait -1
	global_inv scope:SCOPE_SE
	ds_store_b64 v22, v[16:17]
	ds_store_b64 v23, v[4:5]
	v_mov_b32_e32 v16, 0
	v_add_nc_u32_e32 v4, v9, v10
	s_wait_loadcnt_dscnt 0x0
	s_barrier_signal -1
	s_barrier_wait -1
	global_inv scope:SCOPE_SE
	ds_load_2addr_stride64_b64 v[9:12], v4 offset1:4
	v_add_co_u32 v2, vcc_lo, v2, v8
	s_wait_alu 0xfffd
	v_add_co_ci_u32_e64 v3, null, 0, v3, vcc_lo
	s_wait_loadcnt_dscnt 0x0
	s_delay_alu instid0(VALU_DEP_2) | instskip(SKIP_1) | instid1(VALU_DEP_2)
	v_add_co_u32 v2, vcc_lo, v2, v15
	s_wait_alu 0xfffd
	v_add_co_ci_u32_e64 v3, null, 0, v3, vcc_lo
	v_cmp_lt_u32_e32 vcc_lo, v15, v98
	s_barrier_signal -1
	s_barrier_wait -1
	global_inv scope:SCOPE_SE
	s_and_saveexec_b32 s0, vcc_lo
	s_cbranch_execz .LBB295_172
; %bb.171:
	v_xor_b32_e32 v4, 0x7f, v18
	flat_store_b8 v[2:3], v4
.LBB295_172:
	s_wait_alu 0xfffe
	s_or_b32 exec_lo, exec_lo, s0
	v_add_nc_u32_e32 v4, 0x100, v15
	s_delay_alu instid0(VALU_DEP_1)
	v_cmp_lt_u32_e64 s0, v4, v98
	s_and_saveexec_b32 s1, s0
	s_cbranch_execz .LBB295_174
; %bb.173:
	v_xor_b32_e32 v4, 0x7f, v13
	flat_store_b8 v[2:3], v4 offset:256
.LBB295_174:
	s_wait_alu 0xfffe
	s_or_b32 exec_lo, exec_lo, s1
	v_lshlrev_b64_e32 v[2:3], 3, v[15:16]
	v_add_co_u32 v0, s1, v6, v0
	s_wait_alu 0xf1ff
	v_add_co_ci_u32_e64 v1, null, v7, v1, s1
	s_delay_alu instid0(VALU_DEP_2) | instskip(SKIP_1) | instid1(VALU_DEP_2)
	v_add_co_u32 v0, s1, v0, v2
	s_wait_alu 0xf1ff
	v_add_co_ci_u32_e64 v1, null, v1, v3, s1
	s_and_saveexec_b32 s1, vcc_lo
	s_cbranch_execz .LBB295_176
; %bb.175:
	flat_store_b64 v[0:1], v[9:10]
.LBB295_176:
	s_wait_alu 0xfffe
	s_or_b32 exec_lo, exec_lo, s1
	s_and_saveexec_b32 s1, s0
	s_cbranch_execz .LBB295_178
; %bb.177:
	flat_store_b64 v[0:1], v[11:12] offset:2048
.LBB295_178:
	s_wait_alu 0xfffe
	s_or_b32 exec_lo, exec_lo, s1
                                        ; implicit-def: $vgpr15_vgpr16
                                        ; implicit-def: $vgpr8_vgpr9
                                        ; implicit-def: $vgpr98
                                        ; implicit-def: $vgpr0
                                        ; implicit-def: $vgpr1
                                        ; implicit-def: $vgpr2
                                        ; implicit-def: $vgpr3
                                        ; implicit-def: $vgpr4
                                        ; implicit-def: $vgpr5
                                        ; implicit-def: $vgpr6
                                        ; implicit-def: $vgpr7
                                        ; implicit-def: $vgpr10
                                        ; implicit-def: $vgpr11
                                        ; implicit-def: $vgpr12
                                        ; implicit-def: $vgpr13
                                        ; implicit-def: $vgpr14
                                        ; implicit-def: $vgpr30
.LBB295_179:
	s_wait_alu 0xfffe
	s_and_not1_saveexec_b32 s0, s14
	s_cbranch_execz .LBB295_199
; %bb.180:
	v_and_b32_e32 v18, 0xffffffe0, v15
	v_mov_b32_e32 v37, 0xff
	s_delay_alu instid0(VALU_DEP_2) | instskip(NEXT) | instid1(VALU_DEP_1)
	v_or_b32_e32 v16, v30, v18
	v_cmp_lt_u32_e32 vcc_lo, v16, v98
	s_and_saveexec_b32 s1, vcc_lo
	s_cbranch_execz .LBB295_182
; %bb.181:
	v_add_co_u32 v0, s0, v0, v8
	s_wait_alu 0xf1fe
	v_add_co_ci_u32_e64 v1, null, 0, v1, s0
	s_delay_alu instid0(VALU_DEP_2) | instskip(SKIP_1) | instid1(VALU_DEP_2)
	v_add_co_u32 v0, s0, v0, v30
	s_wait_alu 0xf1ff
	v_add_co_ci_u32_e64 v1, null, 0, v1, s0
	s_delay_alu instid0(VALU_DEP_2) | instskip(SKIP_1) | instid1(VALU_DEP_2)
	v_add_co_u32 v0, s0, v0, v18
	s_wait_alu 0xf1ff
	v_add_co_ci_u32_e64 v1, null, 0, v1, s0
	flat_load_u8 v0, v[0:1]
	s_wait_loadcnt_dscnt 0x0
	v_xor_b32_e32 v37, 0x7f, v0
.LBB295_182:
	s_wait_alu 0xfffe
	s_or_b32 exec_lo, exec_lo, s1
	v_lshlrev_b64_e32 v[0:1], 3, v[8:9]
                                        ; implicit-def: $vgpr16_vgpr17
	s_and_saveexec_b32 s0, vcc_lo
	s_cbranch_execz .LBB295_184
; %bb.183:
	v_mov_b32_e32 v19, 0
	v_lshlrev_b32_e32 v9, 3, v30
	s_delay_alu instid0(VALU_DEP_3) | instskip(SKIP_3) | instid1(VALU_DEP_3)
	v_add_co_u32 v16, vcc_lo, v4, v0
	s_wait_alu 0xfffd
	v_add_co_ci_u32_e64 v17, null, v5, v1, vcc_lo
	v_lshlrev_b64_e32 v[4:5], 3, v[18:19]
	v_add_co_u32 v9, vcc_lo, v16, v9
	s_wait_alu 0xfffd
	s_delay_alu instid0(VALU_DEP_3) | instskip(NEXT) | instid1(VALU_DEP_2)
	v_add_co_ci_u32_e64 v16, null, 0, v17, vcc_lo
	v_add_co_u32 v4, vcc_lo, v9, v4
	s_wait_alu 0xfffd
	s_delay_alu instid0(VALU_DEP_2)
	v_add_co_ci_u32_e64 v5, null, v16, v5, vcc_lo
	flat_load_b64 v[16:17], v[4:5]
.LBB295_184:
	s_wait_alu 0xfffe
	s_or_b32 exec_lo, exec_lo, s0
	v_lshl_add_u32 v4, v14, 5, v12
	v_and_b32_e32 v5, 15, v30
	v_sub_co_u32 v28, s2, v30, 1
	s_getpc_b64 s[0:1]
	s_wait_alu 0xfffe
	s_sext_i32_i16 s1, s1
	s_add_co_u32 s0, s0, _ZN7rocprim17ROCPRIM_400000_NS16block_radix_sortIaLj256ELj1ElLj1ELj1ELj8ELNS0_26block_radix_rank_algorithmE2ELNS0_18block_padding_hintE2ELNS0_4arch9wavefront6targetE0EE19radix_bits_per_passE@rel32@lo+12
	s_wait_alu 0xfffe
	s_add_co_ci_u32 s1, s1, _ZN7rocprim17ROCPRIM_400000_NS16block_radix_sortIaLj256ELj1ElLj1ELj1ELj8ELNS0_26block_radix_rank_algorithmE2ELNS0_18block_padding_hintE2ELNS0_4arch9wavefront6targetE0EE19radix_bits_per_passE@rel32@hi+24
	v_add_nc_u32_e32 v9, 32, v4
	v_add_nc_u32_e32 v20, 36, v4
	;; [unrolled: 1-line block ×8, first 2 shown]
	v_and_b32_e32 v4, 0x3e0, v14
	s_load_b32 s14, s[0:1], 0x0
	v_cmp_eq_u32_e32 vcc_lo, 0, v5
	v_cmp_lt_u32_e64 s0, 1, v5
	v_cmp_lt_u32_e64 s1, 3, v5
	v_min_u32_e32 v18, 0xe0, v4
	v_and_b32_e32 v19, 16, v30
	v_cmp_lt_u32_e64 s3, 7, v5
	v_cmp_gt_i32_e64 s5, 0, v28
	v_or_b32_e32 v4, v30, v4
	v_or_b32_e32 v5, 31, v18
	v_lshrrev_b32_e32 v18, 3, v14
	v_cmp_eq_u32_e64 s4, 0, v19
	s_wait_alu 0xf1ff
	v_cndmask_b32_e64 v19, v28, v30, s5
	v_add_nc_u32_e32 v32, v12, v4
	v_cmp_eq_u32_e64 s5, v14, v5
	v_and_b32_e32 v5, 0x7c, v18
	v_mul_u32_u24_e32 v4, 7, v4
	v_lshrrev_b32_e32 v27, 5, v15
	v_cmp_gt_u32_e64 s6, 8, v14
	v_cmp_lt_u32_e64 s7, 31, v14
	v_add_nc_u32_e32 v29, v12, v5
	v_and_b32_e32 v5, 7, v30
	v_lshlrev_b32_e32 v28, 2, v19
	v_cmp_eq_u32_e64 s8, 0, v14
	v_mov_b32_e32 v30, 0
	v_lshl_add_u32 v31, v14, 2, v12
	v_cmp_eq_u32_e64 s9, 0, v5
	v_cmp_lt_u32_e64 s10, 1, v5
	v_cmp_lt_u32_e64 s11, 3, v5
	v_add_nc_u32_e32 v33, -4, v29
	v_add_nc_u32_e32 v34, v32, v4
	v_sub_nc_u32_e32 v35, v11, v10
	s_mov_b32 s15, 0
	s_wait_storecnt 0x0
	s_wait_loadcnt_dscnt 0x0
	s_barrier_signal -1
	s_barrier_wait -1
	global_inv scope:SCOPE_SE
	s_branch .LBB295_186
.LBB295_185:                            ;   in Loop: Header=BB295_186 Depth=1
	s_wait_alu 0xfffe
	s_or_b32 exec_lo, exec_lo, s13
	s_delay_alu instid0(SALU_CYCLE_1)
	s_and_b32 s12, exec_lo, s17
	s_wait_alu 0xfffe
	s_or_b32 s15, s12, s15
	s_wait_alu 0xfffe
	s_and_not1_b32 exec_lo, exec_lo, s15
	s_cbranch_execz .LBB295_196
.LBB295_186:                            ; =>This Inner Loop Header: Depth=1
	v_mov_b32_e32 v36, v37
	s_wait_kmcnt 0x0
	v_min_u32_e32 v5, s14, v35
	ds_store_b32 v9, v30
	ds_store_b32 v20, v30
	;; [unrolled: 1-line block ×6, first 2 shown]
	v_and_b32_e32 v4, 0xff, v36
	ds_store_b32 v25, v30
	ds_store_b32 v26, v30
	s_wait_loadcnt_dscnt 0x0
	s_barrier_signal -1
	s_barrier_wait -1
	v_lshrrev_b32_e32 v4, v10, v4
	global_inv scope:SCOPE_SE
	; wave barrier
	v_bfe_u32 v18, v4, 0, v5
	s_delay_alu instid0(VALU_DEP_1)
	v_and_b32_e32 v4, 1, v18
	v_lshlrev_b32_e32 v5, 30, v18
	v_lshlrev_b32_e32 v19, 29, v18
	;; [unrolled: 1-line block ×4, first 2 shown]
	v_add_co_u32 v4, s12, v4, -1
	s_wait_alu 0xf1ff
	v_cndmask_b32_e64 v38, 0, 1, s12
	v_not_b32_e32 v50, v5
	v_cmp_gt_i32_e64 s13, 0, v5
	v_not_b32_e32 v5, v19
	v_lshlrev_b32_e32 v48, 26, v18
	v_cmp_ne_u32_e64 s12, 0, v38
	v_ashrrev_i32_e32 v50, 31, v50
	v_lshlrev_b32_e32 v49, 25, v18
	v_ashrrev_i32_e32 v5, 31, v5
	v_lshlrev_b32_e32 v38, 24, v18
	s_wait_alu 0xf1ff
	v_xor_b32_e32 v4, s12, v4
	v_cmp_gt_i32_e64 s12, 0, v19
	v_not_b32_e32 v19, v37
	v_xor_b32_e32 v50, s13, v50
	v_cmp_gt_i32_e64 s13, 0, v37
	v_and_b32_e32 v4, exec_lo, v4
	v_not_b32_e32 v37, v39
	v_ashrrev_i32_e32 v19, 31, v19
	s_wait_alu 0xf1ff
	v_xor_b32_e32 v5, s12, v5
	v_cmp_gt_i32_e64 s12, 0, v39
	v_and_b32_e32 v4, v4, v50
	v_not_b32_e32 v39, v48
	v_ashrrev_i32_e32 v37, 31, v37
	v_xor_b32_e32 v19, s13, v19
	v_cmp_gt_i32_e64 s13, 0, v48
	v_and_b32_e32 v4, v4, v5
	v_not_b32_e32 v5, v49
	v_ashrrev_i32_e32 v39, 31, v39
	s_wait_alu 0xf1ff
	v_xor_b32_e32 v37, s12, v37
	v_cmp_gt_i32_e64 s12, 0, v49
	v_and_b32_e32 v4, v4, v19
	v_not_b32_e32 v19, v38
	v_ashrrev_i32_e32 v48, 31, v5
	v_xor_b32_e32 v39, s13, v39
	v_cmp_gt_i32_e64 s13, 0, v38
	v_and_b32_e32 v37, v4, v37
	v_dual_mov_b32 v4, v16 :: v_dual_mov_b32 v5, v17
	v_ashrrev_i32_e32 v16, 31, v19
	s_wait_alu 0xf1ff
	v_xor_b32_e32 v17, s12, v48
	v_and_b32_e32 v19, v37, v39
	s_delay_alu instid0(VALU_DEP_3) | instskip(NEXT) | instid1(VALU_DEP_2)
	v_xor_b32_e32 v16, s13, v16
	v_and_b32_e32 v17, v19, v17
	v_lshlrev_b32_e32 v19, 3, v18
	s_delay_alu instid0(VALU_DEP_2) | instskip(NEXT) | instid1(VALU_DEP_2)
	v_and_b32_e32 v18, v17, v16
	v_add_lshl_u32 v17, v19, v27, 2
	s_delay_alu instid0(VALU_DEP_2) | instskip(NEXT) | instid1(VALU_DEP_2)
	v_mbcnt_lo_u32_b32 v16, v18, 0
	v_add_co_u32 v17, null, v12, v17
	v_cmp_ne_u32_e64 s13, 0, v18
	s_delay_alu instid0(VALU_DEP_3) | instskip(NEXT) | instid1(VALU_DEP_3)
	v_cmp_eq_u32_e64 s12, 0, v16
	v_add_co_u32 v17, null, v17, 32
	s_and_b32 s13, s13, s12
	s_wait_alu 0xfffe
	s_and_saveexec_b32 s12, s13
; %bb.187:                              ;   in Loop: Header=BB295_186 Depth=1
	v_bcnt_u32_b32 v18, v18, 0
	ds_store_b32 v17, v18
; %bb.188:                              ;   in Loop: Header=BB295_186 Depth=1
	s_wait_alu 0xfffe
	s_or_b32 exec_lo, exec_lo, s12
	; wave barrier
	s_wait_loadcnt_dscnt 0x0
	s_barrier_signal -1
	s_barrier_wait -1
	global_inv scope:SCOPE_SE
	ds_load_b32 v19, v9
	ds_load_b32 v37, v20
	;; [unrolled: 1-line block ×8, first 2 shown]
	s_wait_dscnt 0x6
	v_add_nc_u32_e32 v51, v37, v19
	s_wait_dscnt 0x4
	s_delay_alu instid0(VALU_DEP_1) | instskip(SKIP_1) | instid1(VALU_DEP_1)
	v_add3_u32 v51, v51, v38, v39
	s_wait_dscnt 0x2
	v_add3_u32 v51, v51, v48, v49
	s_wait_dscnt 0x0
	s_delay_alu instid0(VALU_DEP_1) | instskip(NEXT) | instid1(VALU_DEP_1)
	v_add3_u32 v50, v51, v18, v50
	v_mov_b32_dpp v51, v50 row_shr:1 row_mask:0xf bank_mask:0xf
	s_wait_alu 0xfffd
	s_delay_alu instid0(VALU_DEP_1) | instskip(NEXT) | instid1(VALU_DEP_1)
	v_cndmask_b32_e64 v51, v51, 0, vcc_lo
	v_add_nc_u32_e32 v50, v51, v50
	s_delay_alu instid0(VALU_DEP_1) | instskip(NEXT) | instid1(VALU_DEP_1)
	v_mov_b32_dpp v51, v50 row_shr:2 row_mask:0xf bank_mask:0xf
	v_cndmask_b32_e64 v51, 0, v51, s0
	s_delay_alu instid0(VALU_DEP_1) | instskip(NEXT) | instid1(VALU_DEP_1)
	v_add_nc_u32_e32 v50, v50, v51
	v_mov_b32_dpp v51, v50 row_shr:4 row_mask:0xf bank_mask:0xf
	s_delay_alu instid0(VALU_DEP_1) | instskip(NEXT) | instid1(VALU_DEP_1)
	v_cndmask_b32_e64 v51, 0, v51, s1
	v_add_nc_u32_e32 v50, v50, v51
	s_delay_alu instid0(VALU_DEP_1) | instskip(NEXT) | instid1(VALU_DEP_1)
	v_mov_b32_dpp v51, v50 row_shr:8 row_mask:0xf bank_mask:0xf
	v_cndmask_b32_e64 v51, 0, v51, s3
	s_delay_alu instid0(VALU_DEP_1) | instskip(SKIP_3) | instid1(VALU_DEP_1)
	v_add_nc_u32_e32 v50, v50, v51
	ds_swizzle_b32 v51, v50 offset:swizzle(BROADCAST,32,15)
	s_wait_dscnt 0x0
	v_cndmask_b32_e64 v51, v51, 0, s4
	v_add_nc_u32_e32 v50, v50, v51
	s_and_saveexec_b32 s12, s5
; %bb.189:                              ;   in Loop: Header=BB295_186 Depth=1
	ds_store_b32 v29, v50
; %bb.190:                              ;   in Loop: Header=BB295_186 Depth=1
	s_wait_alu 0xfffe
	s_or_b32 exec_lo, exec_lo, s12
	s_wait_loadcnt_dscnt 0x0
	s_barrier_signal -1
	s_barrier_wait -1
	global_inv scope:SCOPE_SE
	s_and_saveexec_b32 s12, s6
	s_cbranch_execz .LBB295_192
; %bb.191:                              ;   in Loop: Header=BB295_186 Depth=1
	ds_load_b32 v51, v31
	s_wait_dscnt 0x0
	v_mov_b32_dpp v52, v51 row_shr:1 row_mask:0xf bank_mask:0xf
	s_delay_alu instid0(VALU_DEP_1) | instskip(NEXT) | instid1(VALU_DEP_1)
	v_cndmask_b32_e64 v52, v52, 0, s9
	v_add_nc_u32_e32 v51, v52, v51
	s_delay_alu instid0(VALU_DEP_1) | instskip(NEXT) | instid1(VALU_DEP_1)
	v_mov_b32_dpp v52, v51 row_shr:2 row_mask:0xf bank_mask:0xf
	v_cndmask_b32_e64 v52, 0, v52, s10
	s_delay_alu instid0(VALU_DEP_1) | instskip(NEXT) | instid1(VALU_DEP_1)
	v_add_nc_u32_e32 v51, v51, v52
	v_mov_b32_dpp v52, v51 row_shr:4 row_mask:0xf bank_mask:0xf
	s_delay_alu instid0(VALU_DEP_1) | instskip(NEXT) | instid1(VALU_DEP_1)
	v_cndmask_b32_e64 v52, 0, v52, s11
	v_add_nc_u32_e32 v51, v51, v52
	ds_store_b32 v31, v51
.LBB295_192:                            ;   in Loop: Header=BB295_186 Depth=1
	s_wait_alu 0xfffe
	s_or_b32 exec_lo, exec_lo, s12
	v_mov_b32_e32 v51, 0
	s_wait_loadcnt_dscnt 0x0
	s_barrier_signal -1
	s_barrier_wait -1
	global_inv scope:SCOPE_SE
	s_and_saveexec_b32 s12, s7
; %bb.193:                              ;   in Loop: Header=BB295_186 Depth=1
	ds_load_b32 v51, v33
; %bb.194:                              ;   in Loop: Header=BB295_186 Depth=1
	s_wait_alu 0xfffe
	s_or_b32 exec_lo, exec_lo, s12
	s_wait_dscnt 0x0
	v_add_nc_u32_e32 v50, v51, v50
	v_add_nc_u32_e32 v10, 8, v10
	s_mov_b32 s17, -1
	ds_bpermute_b32 v50, v28, v50
	s_wait_dscnt 0x0
	v_cndmask_b32_e64 v50, v50, v51, s2
	s_delay_alu instid0(VALU_DEP_1) | instskip(NEXT) | instid1(VALU_DEP_1)
	v_cndmask_b32_e64 v50, v50, 0, s8
	v_add_nc_u32_e32 v19, v50, v19
	s_delay_alu instid0(VALU_DEP_1) | instskip(SKIP_4) | instid1(VALU_DEP_1)
	v_add_nc_u32_e32 v37, v19, v37
	ds_store_b32 v9, v50
	ds_store_b32 v20, v19
	;; [unrolled: 1-line block ×3, first 2 shown]
	v_add_nc_u32_e32 v38, v37, v38
                                        ; implicit-def: $vgpr37
	v_add_nc_u32_e32 v39, v38, v39
	s_delay_alu instid0(VALU_DEP_1) | instskip(NEXT) | instid1(VALU_DEP_1)
	v_add_nc_u32_e32 v48, v39, v48
	v_add_nc_u32_e32 v49, v48, v49
	s_delay_alu instid0(VALU_DEP_1)
	v_add_nc_u32_e32 v18, v49, v18
	ds_store_b32 v22, v38
	ds_store_b32 v23, v39
	;; [unrolled: 1-line block ×5, first 2 shown]
	s_wait_loadcnt_dscnt 0x0
	s_barrier_signal -1
	s_barrier_wait -1
	global_inv scope:SCOPE_SE
	ds_load_b32 v17, v17
	s_wait_loadcnt_dscnt 0x0
	v_add_nc_u32_e32 v38, v17, v16
                                        ; implicit-def: $vgpr16_vgpr17
	s_delay_alu instid0(VALU_DEP_1)
	v_add_co_u32 v18, s13, v12, v38
	s_wait_alu 0xf1ff
	v_add_co_ci_u32_e64 v19, null, 0, v13, s13
	s_mov_b32 s13, exec_lo
	v_cmpx_lt_u32_e64 v10, v11
	s_cbranch_execz .LBB295_185
; %bb.195:                              ;   in Loop: Header=BB295_186 Depth=1
	v_mad_co_u64_u32 v[16:17], null, v38, 7, v[18:19]
	s_barrier_signal -1
	s_barrier_wait -1
	global_inv scope:SCOPE_SE
	ds_store_b8 v18, v36
	s_wait_loadcnt_dscnt 0x0
	s_barrier_signal -1
	s_barrier_wait -1
	global_inv scope:SCOPE_SE
	ds_load_u8 v37, v32
	s_wait_loadcnt_dscnt 0x0
	s_barrier_signal -1
	s_barrier_wait -1
	global_inv scope:SCOPE_SE
	ds_store_b64 v16, v[4:5]
	s_wait_loadcnt_dscnt 0x0
	s_barrier_signal -1
	s_barrier_wait -1
	global_inv scope:SCOPE_SE
	ds_load_b64 v[16:17], v34
	v_add_nc_u32_e32 v35, -8, v35
	s_xor_b32 s17, exec_lo, -1
	s_wait_loadcnt_dscnt 0x0
	s_barrier_signal -1
	s_barrier_wait -1
	global_inv scope:SCOPE_SE
	s_branch .LBB295_185
.LBB295_196:
	s_or_b32 exec_lo, exec_lo, s15
	v_mad_co_u64_u32 v[10:11], null, v38, 7, v[18:19]
	v_add_nc_u32_e32 v12, v12, v14
	v_mul_u32_u24_e32 v11, 7, v14
	s_barrier_signal -1
	s_barrier_wait -1
	s_wait_loadcnt 0x0
	global_inv scope:SCOPE_SE
	ds_store_b8 v18, v36
	s_wait_loadcnt_dscnt 0x0
	s_barrier_signal -1
	s_barrier_wait -1
	global_inv scope:SCOPE_SE
	ds_load_u8 v9, v12
	s_wait_loadcnt_dscnt 0x0
	s_barrier_signal -1
	s_barrier_wait -1
	global_inv scope:SCOPE_SE
	ds_store_b64 v10, v[4:5]
	v_add_nc_u32_e32 v4, v12, v11
	s_wait_loadcnt_dscnt 0x0
	s_barrier_signal -1
	s_barrier_wait -1
	global_inv scope:SCOPE_SE
	ds_load_b64 v[4:5], v4
	s_mov_b32 s0, exec_lo
	s_wait_loadcnt_dscnt 0x0
	s_barrier_signal -1
	s_barrier_wait -1
	global_inv scope:SCOPE_SE
	v_cmpx_lt_u32_e64 v15, v98
	s_cbranch_execz .LBB295_198
; %bb.197:
	v_mov_b32_e32 v16, 0
	v_add_co_u32 v6, vcc_lo, v6, v0
	s_wait_alu 0xfffd
	v_add_co_ci_u32_e64 v7, null, v7, v1, vcc_lo
	v_add_co_u32 v2, vcc_lo, v2, v8
	v_lshlrev_b64_e32 v[0:1], 3, v[15:16]
	s_wait_alu 0xfffd
	v_add_co_ci_u32_e64 v3, null, 0, v3, vcc_lo
	s_delay_alu instid0(VALU_DEP_3) | instskip(SKIP_2) | instid1(VALU_DEP_3)
	v_add_co_u32 v2, vcc_lo, v2, v15
	v_xor_b32_e32 v8, 0x7f, v9
	s_wait_alu 0xfffd
	v_add_co_ci_u32_e64 v3, null, 0, v3, vcc_lo
	v_add_co_u32 v0, vcc_lo, v6, v0
	s_wait_alu 0xfffd
	v_add_co_ci_u32_e64 v1, null, v7, v1, vcc_lo
	flat_store_b8 v[2:3], v8
	flat_store_b64 v[0:1], v[4:5]
.LBB295_198:
	s_wait_alu 0xfffe
	s_or_b32 exec_lo, exec_lo, s0
.LBB295_199:
	s_wait_alu 0xfffe
	s_or_b32 exec_lo, exec_lo, s16
	s_wait_loadcnt_dscnt 0x0
	s_setpc_b64 s[30:31]
.Lfunc_end295:
	.size	_ZN7rocprim17ROCPRIM_400000_NS6detail40segmented_radix_sort_single_block_helperIalLj256ELj8ELb1EE4sortIPKaPaPKlPlEEbT_T0_T1_T2_jjjjRNS3_12storage_typeE, .Lfunc_end295-_ZN7rocprim17ROCPRIM_400000_NS6detail40segmented_radix_sort_single_block_helperIalLj256ELj8ELb1EE4sortIPKaPaPKlPlEEbT_T0_T1_T2_jjjjRNS3_12storage_typeE
                                        ; -- End function
	.set .L_ZN7rocprim17ROCPRIM_400000_NS6detail40segmented_radix_sort_single_block_helperIalLj256ELj8ELb1EE4sortIPKaPaPKlPlEEbT_T0_T1_T2_jjjjRNS3_12storage_typeE.num_vgpr, 197
	.set .L_ZN7rocprim17ROCPRIM_400000_NS6detail40segmented_radix_sort_single_block_helperIalLj256ELj8ELb1EE4sortIPKaPaPKlPlEEbT_T0_T1_T2_jjjjRNS3_12storage_typeE.num_agpr, 0
	.set .L_ZN7rocprim17ROCPRIM_400000_NS6detail40segmented_radix_sort_single_block_helperIalLj256ELj8ELb1EE4sortIPKaPaPKlPlEEbT_T0_T1_T2_jjjjRNS3_12storage_typeE.numbered_sgpr, 32
	.set .L_ZN7rocprim17ROCPRIM_400000_NS6detail40segmented_radix_sort_single_block_helperIalLj256ELj8ELb1EE4sortIPKaPaPKlPlEEbT_T0_T1_T2_jjjjRNS3_12storage_typeE.num_named_barrier, 0
	.set .L_ZN7rocprim17ROCPRIM_400000_NS6detail40segmented_radix_sort_single_block_helperIalLj256ELj8ELb1EE4sortIPKaPaPKlPlEEbT_T0_T1_T2_jjjjRNS3_12storage_typeE.private_seg_size, 0
	.set .L_ZN7rocprim17ROCPRIM_400000_NS6detail40segmented_radix_sort_single_block_helperIalLj256ELj8ELb1EE4sortIPKaPaPKlPlEEbT_T0_T1_T2_jjjjRNS3_12storage_typeE.uses_vcc, 1
	.set .L_ZN7rocprim17ROCPRIM_400000_NS6detail40segmented_radix_sort_single_block_helperIalLj256ELj8ELb1EE4sortIPKaPaPKlPlEEbT_T0_T1_T2_jjjjRNS3_12storage_typeE.uses_flat_scratch, 0
	.set .L_ZN7rocprim17ROCPRIM_400000_NS6detail40segmented_radix_sort_single_block_helperIalLj256ELj8ELb1EE4sortIPKaPaPKlPlEEbT_T0_T1_T2_jjjjRNS3_12storage_typeE.has_dyn_sized_stack, 0
	.set .L_ZN7rocprim17ROCPRIM_400000_NS6detail40segmented_radix_sort_single_block_helperIalLj256ELj8ELb1EE4sortIPKaPaPKlPlEEbT_T0_T1_T2_jjjjRNS3_12storage_typeE.has_recursion, 0
	.set .L_ZN7rocprim17ROCPRIM_400000_NS6detail40segmented_radix_sort_single_block_helperIalLj256ELj8ELb1EE4sortIPKaPaPKlPlEEbT_T0_T1_T2_jjjjRNS3_12storage_typeE.has_indirect_call, 0
	.section	.AMDGPU.csdata,"",@progbits
; Function info:
; codeLenInByte = 18144
; TotalNumSgprs: 34
; NumVgprs: 197
; ScratchSize: 0
; MemoryBound: 1
	.section	.text._ZN7rocprim17ROCPRIM_400000_NS6detail17trampoline_kernelINS0_14default_configENS1_36segmented_radix_sort_config_selectorIalEEZNS1_25segmented_radix_sort_implIS3_Lb1EPKaPaPKlPlN2at6native12_GLOBAL__N_18offset_tEEE10hipError_tPvRmT1_PNSt15iterator_traitsISK_E10value_typeET2_T3_PNSL_ISQ_E10value_typeET4_jRbjT5_SW_jjP12ihipStream_tbEUlT_E_NS1_11comp_targetILNS1_3genE10ELNS1_11target_archE1201ELNS1_3gpuE5ELNS1_3repE0EEENS1_30default_config_static_selectorELNS0_4arch9wavefront6targetE0EEEvSK_,"axG",@progbits,_ZN7rocprim17ROCPRIM_400000_NS6detail17trampoline_kernelINS0_14default_configENS1_36segmented_radix_sort_config_selectorIalEEZNS1_25segmented_radix_sort_implIS3_Lb1EPKaPaPKlPlN2at6native12_GLOBAL__N_18offset_tEEE10hipError_tPvRmT1_PNSt15iterator_traitsISK_E10value_typeET2_T3_PNSL_ISQ_E10value_typeET4_jRbjT5_SW_jjP12ihipStream_tbEUlT_E_NS1_11comp_targetILNS1_3genE10ELNS1_11target_archE1201ELNS1_3gpuE5ELNS1_3repE0EEENS1_30default_config_static_selectorELNS0_4arch9wavefront6targetE0EEEvSK_,comdat
	.globl	_ZN7rocprim17ROCPRIM_400000_NS6detail17trampoline_kernelINS0_14default_configENS1_36segmented_radix_sort_config_selectorIalEEZNS1_25segmented_radix_sort_implIS3_Lb1EPKaPaPKlPlN2at6native12_GLOBAL__N_18offset_tEEE10hipError_tPvRmT1_PNSt15iterator_traitsISK_E10value_typeET2_T3_PNSL_ISQ_E10value_typeET4_jRbjT5_SW_jjP12ihipStream_tbEUlT_E_NS1_11comp_targetILNS1_3genE10ELNS1_11target_archE1201ELNS1_3gpuE5ELNS1_3repE0EEENS1_30default_config_static_selectorELNS0_4arch9wavefront6targetE0EEEvSK_ ; -- Begin function _ZN7rocprim17ROCPRIM_400000_NS6detail17trampoline_kernelINS0_14default_configENS1_36segmented_radix_sort_config_selectorIalEEZNS1_25segmented_radix_sort_implIS3_Lb1EPKaPaPKlPlN2at6native12_GLOBAL__N_18offset_tEEE10hipError_tPvRmT1_PNSt15iterator_traitsISK_E10value_typeET2_T3_PNSL_ISQ_E10value_typeET4_jRbjT5_SW_jjP12ihipStream_tbEUlT_E_NS1_11comp_targetILNS1_3genE10ELNS1_11target_archE1201ELNS1_3gpuE5ELNS1_3repE0EEENS1_30default_config_static_selectorELNS0_4arch9wavefront6targetE0EEEvSK_
	.p2align	8
	.type	_ZN7rocprim17ROCPRIM_400000_NS6detail17trampoline_kernelINS0_14default_configENS1_36segmented_radix_sort_config_selectorIalEEZNS1_25segmented_radix_sort_implIS3_Lb1EPKaPaPKlPlN2at6native12_GLOBAL__N_18offset_tEEE10hipError_tPvRmT1_PNSt15iterator_traitsISK_E10value_typeET2_T3_PNSL_ISQ_E10value_typeET4_jRbjT5_SW_jjP12ihipStream_tbEUlT_E_NS1_11comp_targetILNS1_3genE10ELNS1_11target_archE1201ELNS1_3gpuE5ELNS1_3repE0EEENS1_30default_config_static_selectorELNS0_4arch9wavefront6targetE0EEEvSK_,@function
_ZN7rocprim17ROCPRIM_400000_NS6detail17trampoline_kernelINS0_14default_configENS1_36segmented_radix_sort_config_selectorIalEEZNS1_25segmented_radix_sort_implIS3_Lb1EPKaPaPKlPlN2at6native12_GLOBAL__N_18offset_tEEE10hipError_tPvRmT1_PNSt15iterator_traitsISK_E10value_typeET2_T3_PNSL_ISQ_E10value_typeET4_jRbjT5_SW_jjP12ihipStream_tbEUlT_E_NS1_11comp_targetILNS1_3genE10ELNS1_11target_archE1201ELNS1_3gpuE5ELNS1_3repE0EEENS1_30default_config_static_selectorELNS0_4arch9wavefront6targetE0EEEvSK_: ; @_ZN7rocprim17ROCPRIM_400000_NS6detail17trampoline_kernelINS0_14default_configENS1_36segmented_radix_sort_config_selectorIalEEZNS1_25segmented_radix_sort_implIS3_Lb1EPKaPaPKlPlN2at6native12_GLOBAL__N_18offset_tEEE10hipError_tPvRmT1_PNSt15iterator_traitsISK_E10value_typeET2_T3_PNSL_ISQ_E10value_typeET4_jRbjT5_SW_jjP12ihipStream_tbEUlT_E_NS1_11comp_targetILNS1_3genE10ELNS1_11target_archE1201ELNS1_3gpuE5ELNS1_3repE0EEENS1_30default_config_static_selectorELNS0_4arch9wavefront6targetE0EEEvSK_
; %bb.0:
	s_clause 0x1
	s_load_b64 s[8:9], s[0:1], 0x38
	s_load_b128 s[4:7], s[0:1], 0x40
	s_mov_b32 s2, ttmp9
	s_mov_b32 s3, 0
	s_mov_b32 s32, 0
	s_lshl_b64 s[2:3], s[2:3], 2
	s_wait_kmcnt 0x0
	s_add_nc_u64 s[2:3], s[8:9], s[2:3]
	s_load_b32 s2, s[2:3], 0x0
	s_wait_kmcnt 0x0
	s_add_co_i32 s33, s2, s5
	s_add_co_i32 s34, s2, s7
	s_mul_i32 s33, s33, s4
	s_mul_i32 s34, s34, s6
	s_delay_alu instid0(SALU_CYCLE_1)
	s_cmp_le_u32 s34, s33
	s_cbranch_scc1 .LBB296_670
; %bb.1:
	s_clause 0x3
	s_load_b32 s2, s[0:1], 0x30
	s_load_b128 s[24:27], s[0:1], 0x20
	s_load_b96 s[44:46], s[0:1], 0x50
	s_load_b256 s[36:43], s[0:1], 0x0
	s_wait_kmcnt 0x0
	s_bitcmp1_b32 s2, 0
	s_mov_b32 s2, -1
	s_cselect_b32 s35, -1, 0
	s_sub_co_i32 s47, s34, s33
	s_delay_alu instid0(SALU_CYCLE_1)
	s_cmp_lt_u32 s47, 0x801
	s_cbranch_scc0 .LBB296_7
; %bb.2:
	v_cndmask_b32_e64 v1, 0, 1, s35
	s_and_b32 s2, s44, 1
	s_delay_alu instid0(VALU_DEP_1) | instid1(SALU_CYCLE_1)
	v_cmp_ne_u32_e32 vcc_lo, s2, v1
	s_mov_b32 s2, -1
	s_cbranch_vccnz .LBB296_4
; %bb.3:
	s_mov_b64 s[2:3], src_shared_base
	v_dual_mov_b32 v31, v0 :: v_dual_mov_b32 v40, v0
	v_dual_mov_b32 v0, s36 :: v_dual_mov_b32 v1, s37
	;; [unrolled: 1-line block ×7, first 2 shown]
	s_wait_alu 0xfffe
	v_dual_mov_b32 v12, 0 :: v_dual_mov_b32 v13, s3
	s_add_nc_u64 s[8:9], s[0:1], 0x60
	s_getpc_b64 s[4:5]
	s_sext_i32_i16 s5, s5
	s_add_co_u32 s4, s4, _ZN7rocprim17ROCPRIM_400000_NS6detail40segmented_radix_sort_single_block_helperIalLj256ELj8ELb1EE4sortIPKaPaPKlPlEEbT_T0_T1_T2_jjjjRNS3_12storage_typeE@rel32@lo+8
	s_add_co_ci_u32 s5, s5, _ZN7rocprim17ROCPRIM_400000_NS6detail40segmented_radix_sort_single_block_helperIalLj256ELj8ELb1EE4sortIPKaPaPKlPlEEbT_T0_T1_T2_jjjjRNS3_12storage_typeE@rel32@hi+16
	s_mov_b64 s[22:23], s[0:1]
	s_swappc_b64 s[30:31], s[4:5]
	v_mov_b32_e32 v0, v40
	s_mov_b64 s[0:1], s[22:23]
	s_mov_b32 s2, 0
.LBB296_4:
	s_wait_alu 0xfffe
	s_and_not1_b32 vcc_lo, exec_lo, s2
	s_wait_alu 0xfffe
	s_cbranch_vccnz .LBB296_6
; %bb.5:
	s_mov_b64 s[2:3], src_shared_base
	v_dual_mov_b32 v31, v0 :: v_dual_mov_b32 v40, v0
	v_dual_mov_b32 v0, s36 :: v_dual_mov_b32 v1, s37
	;; [unrolled: 1-line block ×7, first 2 shown]
	s_wait_alu 0xfffe
	v_dual_mov_b32 v12, 0 :: v_dual_mov_b32 v13, s3
	s_add_nc_u64 s[8:9], s[0:1], 0x60
	s_getpc_b64 s[4:5]
	s_wait_alu 0xfffe
	s_sext_i32_i16 s5, s5
	s_add_co_u32 s4, s4, _ZN7rocprim17ROCPRIM_400000_NS6detail40segmented_radix_sort_single_block_helperIalLj256ELj8ELb1EE4sortIPKaPaPKlPlEEbT_T0_T1_T2_jjjjRNS3_12storage_typeE@rel32@lo+12
	s_wait_alu 0xfffe
	s_add_co_ci_u32 s5, s5, _ZN7rocprim17ROCPRIM_400000_NS6detail40segmented_radix_sort_single_block_helperIalLj256ELj8ELb1EE4sortIPKaPaPKlPlEEbT_T0_T1_T2_jjjjRNS3_12storage_typeE@rel32@hi+24
	s_mov_b64 s[22:23], s[0:1]
	s_wait_alu 0xfffe
	s_swappc_b64 s[30:31], s[4:5]
	v_mov_b32_e32 v0, v40
	s_mov_b64 s[0:1], s[22:23]
.LBB296_6:
	s_mov_b32 s2, 0
.LBB296_7:
	s_wait_alu 0xfffe
	s_and_not1_b32 vcc_lo, exec_lo, s2
	s_wait_alu 0xfffe
	s_cbranch_vccnz .LBB296_670
; %bb.8:
	s_cmp_ge_u32 s45, s46
	s_cbranch_scc1 .LBB296_670
; %bb.9:
	v_and_b32_e32 v1, 0x3ff, v0
	v_dual_mov_b32 v61, 1 :: v_dual_and_b32 v2, 3, v0
	v_lshrrev_b32_e32 v4, 3, v0
	v_mbcnt_lo_u32_b32 v58, -1, 0
	s_delay_alu instid0(VALU_DEP_4) | instskip(NEXT) | instid1(VALU_DEP_4)
	v_or_b32_e32 v5, 31, v1
	v_lshlrev_b32_e32 v39, 2, v2
	v_lshlrev_b32_e32 v2, 3, v1
	v_and_b32_e32 v38, 28, v4
	v_lshlrev_b32_e32 v4, 5, v1
	v_cmp_eq_u32_e64 s3, v1, v5
	v_dual_mov_b32 v3, 0 :: v_dual_lshlrev_b32 v28, 2, v1
	v_and_b32_e32 v2, 0x700, v2
	s_delay_alu instid0(VALU_DEP_4) | instskip(SKIP_2) | instid1(VALU_DEP_4)
	v_sub_nc_u32_e32 v46, 0, v4
	v_lshlrev_b32_e32 v66, 3, v58
	v_add_co_u32 v32, s2, s40, v1
	v_lshlrev_b32_e32 v5, 3, v2
	v_mad_u32_u24 v40, v1, 12, v28
	v_or_b32_e32 v68, v58, v2
	v_or_b32_e32 v29, 0x100, v1
	;; [unrolled: 1-line block ×3, first 2 shown]
	v_add_co_u32 v4, s8, s26, v5
	s_wait_alu 0xf1ff
	v_add_co_ci_u32_e64 v6, null, s27, 0, s8
	v_add_co_u32 v7, s8, s40, v2
	s_wait_alu 0xf1ff
	v_add_co_ci_u32_e64 v8, null, s41, 0, s8
	;; [unrolled: 3-line block ×6, first 2 shown]
	v_add_co_u32 v56, s8, s42, v5
	v_add_co_u32 v69, vcc_lo, v4, v66
	s_wait_alu 0xf1ff
	v_add_co_ci_u32_e64 v57, null, s43, 0, s8
	v_add_co_u32 v59, s8, s36, v2
	s_wait_alu 0xfffd
	v_add_co_ci_u32_e64 v70, null, 0, v6, vcc_lo
	v_add_co_u32 v78, vcc_lo, v7, v58
	v_or_b32_e32 v31, 0x300, v1
	v_add_co_ci_u32_e64 v33, null, s41, 0, s2
	v_or_b32_e32 v34, 0x400, v1
	v_or_b32_e32 v35, 0x500, v1
	;; [unrolled: 1-line block ×4, first 2 shown]
	v_cmp_gt_u32_e64 s2, 0x100, v1
	v_or_b32_e32 v41, 0x4400, v38
	v_cmp_gt_u32_e64 s4, 8, v1
	v_add_nc_u32_e32 v42, 0x4400, v28
	v_cmp_lt_u32_e64 s5, 31, v1
	v_add_nc_u32_e32 v43, 0x43fc, v38
	v_bfe_u32 v44, v0, 20, 10
	v_bfe_u32 v0, v0, 10, 10
	v_mad_u32_u24 v45, v1, 20, v40
	v_cmp_eq_u32_e64 s6, 0, v1
	v_cmp_ne_u32_e64 s7, 0xff, v1
	v_mul_u32_u24_e32 v47, 7, v1
	s_wait_alu 0xf1ff
	v_add_co_ci_u32_e64 v60, null, s37, 0, s8
	v_and_b32_e32 v62, 15, v58
	v_bfe_i32 v63, v58, 4, 1
	v_and_b32_e32 v64, 16, v58
	v_and_b32_e32 v65, 7, v58
	v_sub_co_u32 v67, s8, v58, 1
	v_or_b32_e32 v71, 32, v68
	v_or_b32_e32 v72, 64, v68
	;; [unrolled: 1-line block ×7, first 2 shown]
	s_wait_alu 0xfffd
	v_add_co_ci_u32_e64 v79, null, 0, v8, vcc_lo
	s_add_nc_u64 s[28:29], s[0:1], 0x60
	s_mov_b32 s23, 0
	s_mov_b32 s30, s45
	s_branch .LBB296_12
.LBB296_10:                             ;   in Loop: Header=BB296_12 Depth=1
	s_wait_loadcnt_dscnt 0x0
	s_barrier_signal -1
	s_barrier_wait -1
.LBB296_11:                             ;   in Loop: Header=BB296_12 Depth=1
	s_add_co_i32 s30, s30, 8
	global_inv scope:SCOPE_SE
	s_wait_alu 0xfffe
	s_cmp_ge_u32 s30, s46
	s_cbranch_scc1 .LBB296_670
.LBB296_12:                             ; =>This Loop Header: Depth=1
                                        ;     Child Loop BB296_16 Depth 2
                                        ;     Child Loop BB296_64 Depth 2
	;; [unrolled: 1-line block ×8, first 2 shown]
	s_wait_alu 0xfffe
	s_sub_co_i32 s0, s46, s30
	s_xor_b32 s35, s35, -1
	s_wait_alu 0xfffe
	s_min_u32 s0, s0, 8
	ds_store_2addr_stride64_b32 v28, v3, v3 offset1:4
	s_wait_alu 0xfffe
	s_lshl_b32 s0, -1, s0
	ds_store_2addr_stride64_b32 v28, v3, v3 offset0:8 offset1:12
	s_wait_alu 0xfffe
	s_not_b32 s31, s0
	s_cmp_lg_u32 s30, s45
	s_mov_b32 s0, -1
	s_wait_storecnt_dscnt 0x0
	s_cbranch_scc0 .LBB296_342
; %bb.13:                               ;   in Loop: Header=BB296_12 Depth=1
	s_and_b32 vcc_lo, exec_lo, s35
	s_wait_alu 0xfffe
	s_cbranch_vccz .LBB296_177
; %bb.14:                               ;   in Loop: Header=BB296_12 Depth=1
	v_dual_mov_b32 v7, 0 :: v_dual_mov_b32 v10, 0
	v_dual_mov_b32 v9, 0 :: v_dual_mov_b32 v8, 0
	;; [unrolled: 1-line block ×3, first 2 shown]
	v_mov_b32_e32 v4, 0
	v_mov_b32_e32 v2, 0
	s_mov_b32 s9, s47
	s_mov_b32 s22, s33
	s_barrier_signal -1
	s_barrier_wait -1
	global_inv scope:SCOPE_SE
	s_branch .LBB296_16
.LBB296_15:                             ;   in Loop: Header=BB296_16 Depth=2
	s_wait_alu 0xfffe
	s_or_b32 exec_lo, exec_lo, s0
	s_addk_co_i32 s9, 0xf800
	s_cmp_ge_u32 s10, s34
	s_mov_b32 s22, s10
	s_cbranch_scc1 .LBB296_52
.LBB296_16:                             ;   Parent Loop BB296_12 Depth=1
                                        ; =>  This Inner Loop Header: Depth=2
	s_wait_alu 0xfffe
	s_add_co_i32 s10, s22, 0x800
	s_mov_b32 s0, -1
	s_wait_alu 0xfffe
	s_cmp_gt_u32 s10, s34
                                        ; implicit-def: $vgpr11
                                        ; implicit-def: $vgpr12
                                        ; implicit-def: $vgpr13
                                        ; implicit-def: $vgpr14
                                        ; implicit-def: $vgpr15
                                        ; implicit-def: $vgpr16
                                        ; implicit-def: $vgpr17
                                        ; implicit-def: $vgpr18
	s_cbranch_scc1 .LBB296_18
; %bb.17:                               ;   in Loop: Header=BB296_16 Depth=2
	v_add_co_u32 v19, vcc_lo, v32, s22
	s_wait_alu 0xfffd
	v_add_co_ci_u32_e64 v20, null, 0, v33, vcc_lo
	s_mov_b32 s0, 0
	s_clause 0x7
	global_load_u8 v18, v[19:20], off offset:1792
	global_load_u8 v17, v[19:20], off offset:1536
	;; [unrolled: 1-line block ×7, first 2 shown]
	global_load_u8 v11, v[19:20], off
.LBB296_18:                             ;   in Loop: Header=BB296_16 Depth=2
	s_wait_alu 0xfffe
	s_and_not1_b32 vcc_lo, exec_lo, s0
	s_movk_i32 s0, 0x800
	s_wait_alu 0xfffe
	s_cbranch_vccnz .LBB296_29
; %bb.19:                               ;   in Loop: Header=BB296_16 Depth=2
	s_add_nc_u64 s[0:1], s[40:41], s[22:23]
	s_mov_b32 s11, exec_lo
	v_cmpx_gt_u32_e64 s9, v1
	s_cbranch_execnz .LBB296_45
; %bb.20:                               ;   in Loop: Header=BB296_16 Depth=2
	s_wait_alu 0xfffe
	s_or_b32 exec_lo, exec_lo, s11
	s_delay_alu instid0(SALU_CYCLE_1)
	s_mov_b32 s11, exec_lo
	v_cmpx_gt_u32_e64 s9, v29
	s_cbranch_execnz .LBB296_46
.LBB296_21:                             ;   in Loop: Header=BB296_16 Depth=2
	s_wait_alu 0xfffe
	s_or_b32 exec_lo, exec_lo, s11
	s_delay_alu instid0(SALU_CYCLE_1)
	s_mov_b32 s11, exec_lo
	v_cmpx_gt_u32_e64 s9, v30
	s_cbranch_execnz .LBB296_47
.LBB296_22:                             ;   in Loop: Header=BB296_16 Depth=2
	s_wait_alu 0xfffe
	s_or_b32 exec_lo, exec_lo, s11
	s_delay_alu instid0(SALU_CYCLE_1)
	s_mov_b32 s11, exec_lo
	v_cmpx_gt_u32_e64 s9, v31
	s_cbranch_execnz .LBB296_48
.LBB296_23:                             ;   in Loop: Header=BB296_16 Depth=2
	s_wait_alu 0xfffe
	s_or_b32 exec_lo, exec_lo, s11
	s_delay_alu instid0(SALU_CYCLE_1)
	s_mov_b32 s11, exec_lo
	v_cmpx_gt_u32_e64 s9, v34
	s_cbranch_execnz .LBB296_49
.LBB296_24:                             ;   in Loop: Header=BB296_16 Depth=2
	s_wait_alu 0xfffe
	s_or_b32 exec_lo, exec_lo, s11
	s_delay_alu instid0(SALU_CYCLE_1)
	s_mov_b32 s11, exec_lo
	v_cmpx_gt_u32_e64 s9, v35
	s_cbranch_execnz .LBB296_50
.LBB296_25:                             ;   in Loop: Header=BB296_16 Depth=2
	s_wait_alu 0xfffe
	s_or_b32 exec_lo, exec_lo, s11
	s_delay_alu instid0(SALU_CYCLE_1)
	s_mov_b32 s11, exec_lo
	v_cmpx_gt_u32_e64 s9, v36
	s_cbranch_execnz .LBB296_51
.LBB296_26:                             ;   in Loop: Header=BB296_16 Depth=2
	s_wait_alu 0xfffe
	s_or_b32 exec_lo, exec_lo, s11
	s_delay_alu instid0(SALU_CYCLE_1)
	s_mov_b32 s11, exec_lo
	v_cmpx_gt_u32_e64 s9, v37
	s_cbranch_execz .LBB296_28
.LBB296_27:                             ;   in Loop: Header=BB296_16 Depth=2
	s_wait_loadcnt 0x0
	v_add_co_u32 v11, s0, s0, v1
	s_wait_alu 0xf1ff
	v_add_co_ci_u32_e64 v12, null, s1, 0, s0
	global_load_u8 v2, v[11:12], off offset:1792
.LBB296_28:                             ;   in Loop: Header=BB296_16 Depth=2
	s_wait_alu 0xfffe
	s_or_b32 exec_lo, exec_lo, s11
	s_wait_loadcnt 0x0
	v_dual_mov_b32 v11, v7 :: v_dual_mov_b32 v12, v10
	v_dual_mov_b32 v13, v9 :: v_dual_mov_b32 v14, v8
	;; [unrolled: 1-line block ×4, first 2 shown]
	s_mov_b32 s0, s9
.LBB296_29:                             ;   in Loop: Header=BB296_16 Depth=2
	s_wait_loadcnt 0x5
	s_delay_alu instid0(VALU_DEP_1)
	v_dual_mov_b32 v2, v18 :: v_dual_mov_b32 v5, v16
	s_wait_loadcnt 0x2
	v_dual_mov_b32 v4, v17 :: v_dual_mov_b32 v9, v13
	s_wait_loadcnt 0x0
	v_dual_mov_b32 v6, v15 :: v_dual_mov_b32 v7, v11
	v_mov_b32_e32 v8, v14
	v_mov_b32_e32 v10, v12
	s_mov_b32 s1, exec_lo
	s_wait_alu 0xfffe
	v_cmpx_gt_u32_e64 s0, v1
	s_cbranch_execnz .LBB296_37
; %bb.30:                               ;   in Loop: Header=BB296_16 Depth=2
	s_or_b32 exec_lo, exec_lo, s1
	s_delay_alu instid0(SALU_CYCLE_1)
	s_mov_b32 s1, exec_lo
	v_cmpx_gt_u32_e64 s0, v29
	s_cbranch_execnz .LBB296_38
.LBB296_31:                             ;   in Loop: Header=BB296_16 Depth=2
	s_wait_alu 0xfffe
	s_or_b32 exec_lo, exec_lo, s1
	s_delay_alu instid0(SALU_CYCLE_1)
	s_mov_b32 s1, exec_lo
	v_cmpx_gt_u32_e64 s0, v30
	s_cbranch_execnz .LBB296_39
.LBB296_32:                             ;   in Loop: Header=BB296_16 Depth=2
	s_wait_alu 0xfffe
	s_or_b32 exec_lo, exec_lo, s1
	s_delay_alu instid0(SALU_CYCLE_1)
	s_mov_b32 s1, exec_lo
	v_cmpx_gt_u32_e64 s0, v31
	s_cbranch_execnz .LBB296_40
.LBB296_33:                             ;   in Loop: Header=BB296_16 Depth=2
	s_wait_alu 0xfffe
	s_or_b32 exec_lo, exec_lo, s1
	s_delay_alu instid0(SALU_CYCLE_1)
	s_mov_b32 s1, exec_lo
	v_cmpx_gt_u32_e64 s0, v34
	s_cbranch_execnz .LBB296_41
.LBB296_34:                             ;   in Loop: Header=BB296_16 Depth=2
	s_wait_alu 0xfffe
	s_or_b32 exec_lo, exec_lo, s1
	s_delay_alu instid0(SALU_CYCLE_1)
	s_mov_b32 s1, exec_lo
	v_cmpx_gt_u32_e64 s0, v35
	s_cbranch_execnz .LBB296_42
.LBB296_35:                             ;   in Loop: Header=BB296_16 Depth=2
	s_wait_alu 0xfffe
	s_or_b32 exec_lo, exec_lo, s1
	s_delay_alu instid0(SALU_CYCLE_1)
	s_mov_b32 s1, exec_lo
	v_cmpx_gt_u32_e64 s0, v36
	s_cbranch_execnz .LBB296_43
.LBB296_36:                             ;   in Loop: Header=BB296_16 Depth=2
	s_wait_alu 0xfffe
	s_or_b32 exec_lo, exec_lo, s1
	v_cmp_gt_u32_e32 vcc_lo, s0, v37
	s_and_saveexec_b32 s0, vcc_lo
	s_cbranch_execz .LBB296_15
	s_branch .LBB296_44
.LBB296_37:                             ;   in Loop: Header=BB296_16 Depth=2
	v_xor_b32_e32 v11, 0x7f, v7
	s_delay_alu instid0(VALU_DEP_1) | instskip(NEXT) | instid1(VALU_DEP_1)
	v_and_b32_e32 v11, 0xff, v11
	v_lshrrev_b32_e32 v11, s30, v11
	s_delay_alu instid0(VALU_DEP_1) | instskip(NEXT) | instid1(VALU_DEP_1)
	v_and_b32_e32 v11, s31, v11
	v_lshl_or_b32 v11, v11, 4, v39
	ds_add_u32 v11, v61
	s_or_b32 exec_lo, exec_lo, s1
	s_delay_alu instid0(SALU_CYCLE_1)
	s_mov_b32 s1, exec_lo
	v_cmpx_gt_u32_e64 s0, v29
	s_cbranch_execz .LBB296_31
.LBB296_38:                             ;   in Loop: Header=BB296_16 Depth=2
	v_xor_b32_e32 v11, 0x7f, v10
	s_delay_alu instid0(VALU_DEP_1) | instskip(NEXT) | instid1(VALU_DEP_1)
	v_and_b32_e32 v11, 0xff, v11
	v_lshrrev_b32_e32 v11, s30, v11
	s_delay_alu instid0(VALU_DEP_1) | instskip(NEXT) | instid1(VALU_DEP_1)
	v_and_b32_e32 v11, s31, v11
	v_lshl_or_b32 v11, v11, 4, v39
	ds_add_u32 v11, v61
	s_wait_alu 0xfffe
	s_or_b32 exec_lo, exec_lo, s1
	s_delay_alu instid0(SALU_CYCLE_1)
	s_mov_b32 s1, exec_lo
	v_cmpx_gt_u32_e64 s0, v30
	s_cbranch_execz .LBB296_32
.LBB296_39:                             ;   in Loop: Header=BB296_16 Depth=2
	v_xor_b32_e32 v11, 0x7f, v9
	s_delay_alu instid0(VALU_DEP_1) | instskip(NEXT) | instid1(VALU_DEP_1)
	v_and_b32_e32 v11, 0xff, v11
	v_lshrrev_b32_e32 v11, s30, v11
	s_delay_alu instid0(VALU_DEP_1) | instskip(NEXT) | instid1(VALU_DEP_1)
	v_and_b32_e32 v11, s31, v11
	v_lshl_or_b32 v11, v11, 4, v39
	ds_add_u32 v11, v61
	s_wait_alu 0xfffe
	s_or_b32 exec_lo, exec_lo, s1
	s_delay_alu instid0(SALU_CYCLE_1)
	s_mov_b32 s1, exec_lo
	v_cmpx_gt_u32_e64 s0, v31
	s_cbranch_execz .LBB296_33
.LBB296_40:                             ;   in Loop: Header=BB296_16 Depth=2
	v_xor_b32_e32 v11, 0x7f, v8
	s_delay_alu instid0(VALU_DEP_1) | instskip(NEXT) | instid1(VALU_DEP_1)
	v_and_b32_e32 v11, 0xff, v11
	v_lshrrev_b32_e32 v11, s30, v11
	s_delay_alu instid0(VALU_DEP_1) | instskip(NEXT) | instid1(VALU_DEP_1)
	v_and_b32_e32 v11, s31, v11
	v_lshl_or_b32 v11, v11, 4, v39
	ds_add_u32 v11, v61
	s_wait_alu 0xfffe
	s_or_b32 exec_lo, exec_lo, s1
	s_delay_alu instid0(SALU_CYCLE_1)
	s_mov_b32 s1, exec_lo
	v_cmpx_gt_u32_e64 s0, v34
	s_cbranch_execz .LBB296_34
.LBB296_41:                             ;   in Loop: Header=BB296_16 Depth=2
	v_xor_b32_e32 v11, 0x7f, v6
	s_delay_alu instid0(VALU_DEP_1) | instskip(NEXT) | instid1(VALU_DEP_1)
	v_and_b32_e32 v11, 0xff, v11
	v_lshrrev_b32_e32 v11, s30, v11
	s_delay_alu instid0(VALU_DEP_1) | instskip(NEXT) | instid1(VALU_DEP_1)
	v_and_b32_e32 v11, s31, v11
	v_lshl_or_b32 v11, v11, 4, v39
	ds_add_u32 v11, v61
	s_wait_alu 0xfffe
	s_or_b32 exec_lo, exec_lo, s1
	s_delay_alu instid0(SALU_CYCLE_1)
	s_mov_b32 s1, exec_lo
	v_cmpx_gt_u32_e64 s0, v35
	s_cbranch_execz .LBB296_35
.LBB296_42:                             ;   in Loop: Header=BB296_16 Depth=2
	v_xor_b32_e32 v11, 0x7f, v5
	s_delay_alu instid0(VALU_DEP_1) | instskip(NEXT) | instid1(VALU_DEP_1)
	v_and_b32_e32 v11, 0xff, v11
	v_lshrrev_b32_e32 v11, s30, v11
	s_delay_alu instid0(VALU_DEP_1) | instskip(NEXT) | instid1(VALU_DEP_1)
	v_and_b32_e32 v11, s31, v11
	v_lshl_or_b32 v11, v11, 4, v39
	ds_add_u32 v11, v61
	s_wait_alu 0xfffe
	s_or_b32 exec_lo, exec_lo, s1
	s_delay_alu instid0(SALU_CYCLE_1)
	s_mov_b32 s1, exec_lo
	v_cmpx_gt_u32_e64 s0, v36
	s_cbranch_execz .LBB296_36
.LBB296_43:                             ;   in Loop: Header=BB296_16 Depth=2
	v_xor_b32_e32 v11, 0x7f, v4
	s_delay_alu instid0(VALU_DEP_1) | instskip(NEXT) | instid1(VALU_DEP_1)
	v_and_b32_e32 v11, 0xff, v11
	v_lshrrev_b32_e32 v11, s30, v11
	s_delay_alu instid0(VALU_DEP_1) | instskip(NEXT) | instid1(VALU_DEP_1)
	v_and_b32_e32 v11, s31, v11
	v_lshl_or_b32 v11, v11, 4, v39
	ds_add_u32 v11, v61
	s_wait_alu 0xfffe
	s_or_b32 exec_lo, exec_lo, s1
	v_cmp_gt_u32_e32 vcc_lo, s0, v37
	s_and_saveexec_b32 s0, vcc_lo
	s_cbranch_execz .LBB296_15
.LBB296_44:                             ;   in Loop: Header=BB296_16 Depth=2
	v_xor_b32_e32 v11, 0x7f, v2
	s_delay_alu instid0(VALU_DEP_1) | instskip(NEXT) | instid1(VALU_DEP_1)
	v_and_b32_e32 v11, 0xff, v11
	v_lshrrev_b32_e32 v11, s30, v11
	s_delay_alu instid0(VALU_DEP_1) | instskip(NEXT) | instid1(VALU_DEP_1)
	v_and_b32_e32 v11, s31, v11
	v_lshl_or_b32 v11, v11, 4, v39
	ds_add_u32 v11, v61
	s_branch .LBB296_15
.LBB296_45:                             ;   in Loop: Header=BB296_16 Depth=2
	s_wait_loadcnt 0x0
	s_wait_alu 0xfffe
	v_add_co_u32 v11, s12, s0, v1
	s_wait_alu 0xf1ff
	v_add_co_ci_u32_e64 v12, null, s1, 0, s12
	global_load_u8 v7, v[11:12], off
	s_or_b32 exec_lo, exec_lo, s11
	s_delay_alu instid0(SALU_CYCLE_1)
	s_mov_b32 s11, exec_lo
	v_cmpx_gt_u32_e64 s9, v29
	s_cbranch_execz .LBB296_21
.LBB296_46:                             ;   in Loop: Header=BB296_16 Depth=2
	v_add_co_u32 v10, s12, s0, v1
	s_wait_loadcnt 0x0
	s_wait_alu 0xf1ff
	v_add_co_ci_u32_e64 v11, null, s1, 0, s12
	global_load_u8 v10, v[10:11], off offset:256
	s_wait_alu 0xfffe
	s_or_b32 exec_lo, exec_lo, s11
	s_delay_alu instid0(SALU_CYCLE_1)
	s_mov_b32 s11, exec_lo
	v_cmpx_gt_u32_e64 s9, v30
	s_cbranch_execz .LBB296_22
.LBB296_47:                             ;   in Loop: Header=BB296_16 Depth=2
	s_wait_loadcnt 0x0
	v_add_co_u32 v11, s12, s0, v1
	s_wait_alu 0xf1ff
	v_add_co_ci_u32_e64 v12, null, s1, 0, s12
	global_load_u8 v9, v[11:12], off offset:512
	s_wait_alu 0xfffe
	s_or_b32 exec_lo, exec_lo, s11
	s_delay_alu instid0(SALU_CYCLE_1)
	s_mov_b32 s11, exec_lo
	v_cmpx_gt_u32_e64 s9, v31
	s_cbranch_execz .LBB296_23
.LBB296_48:                             ;   in Loop: Header=BB296_16 Depth=2
	s_wait_loadcnt 0x0
	v_add_co_u32 v11, s12, s0, v1
	s_wait_alu 0xf1ff
	v_add_co_ci_u32_e64 v12, null, s1, 0, s12
	global_load_u8 v8, v[11:12], off offset:768
	s_wait_alu 0xfffe
	s_or_b32 exec_lo, exec_lo, s11
	s_delay_alu instid0(SALU_CYCLE_1)
	s_mov_b32 s11, exec_lo
	v_cmpx_gt_u32_e64 s9, v34
	s_cbranch_execz .LBB296_24
.LBB296_49:                             ;   in Loop: Header=BB296_16 Depth=2
	s_wait_loadcnt 0x0
	v_add_co_u32 v11, s12, s0, v1
	s_wait_alu 0xf1ff
	v_add_co_ci_u32_e64 v12, null, s1, 0, s12
	global_load_u8 v6, v[11:12], off offset:1024
	s_wait_alu 0xfffe
	s_or_b32 exec_lo, exec_lo, s11
	s_delay_alu instid0(SALU_CYCLE_1)
	s_mov_b32 s11, exec_lo
	v_cmpx_gt_u32_e64 s9, v35
	s_cbranch_execz .LBB296_25
.LBB296_50:                             ;   in Loop: Header=BB296_16 Depth=2
	s_wait_loadcnt 0x0
	v_add_co_u32 v11, s12, s0, v1
	s_wait_alu 0xf1ff
	v_add_co_ci_u32_e64 v12, null, s1, 0, s12
	global_load_u8 v5, v[11:12], off offset:1280
	s_wait_alu 0xfffe
	s_or_b32 exec_lo, exec_lo, s11
	s_delay_alu instid0(SALU_CYCLE_1)
	s_mov_b32 s11, exec_lo
	v_cmpx_gt_u32_e64 s9, v36
	s_cbranch_execz .LBB296_26
.LBB296_51:                             ;   in Loop: Header=BB296_16 Depth=2
	s_wait_loadcnt 0x0
	v_add_co_u32 v11, s12, s0, v1
	s_wait_alu 0xf1ff
	v_add_co_ci_u32_e64 v12, null, s1, 0, s12
	global_load_u8 v4, v[11:12], off offset:1536
	s_wait_alu 0xfffe
	s_or_b32 exec_lo, exec_lo, s11
	s_delay_alu instid0(SALU_CYCLE_1)
	s_mov_b32 s11, exec_lo
	v_cmpx_gt_u32_e64 s9, v37
	s_cbranch_execnz .LBB296_27
	s_branch .LBB296_28
.LBB296_52:                             ;   in Loop: Header=BB296_12 Depth=1
	v_mov_b32_e32 v2, 0
	s_wait_dscnt 0x0
	s_barrier_signal -1
	s_barrier_wait -1
	global_inv scope:SCOPE_SE
	s_and_saveexec_b32 s0, s2
	s_cbranch_execz .LBB296_54
; %bb.53:                               ;   in Loop: Header=BB296_12 Depth=1
	ds_load_2addr_b64 v[4:7], v40 offset1:1
	s_wait_dscnt 0x0
	v_add_nc_u32_e32 v2, v5, v4
	s_delay_alu instid0(VALU_DEP_1)
	v_add3_u32 v2, v2, v6, v7
.LBB296_54:                             ;   in Loop: Header=BB296_12 Depth=1
	s_wait_alu 0xfffe
	s_or_b32 exec_lo, exec_lo, s0
	s_delay_alu instid0(VALU_DEP_1)
	v_mov_b32_dpp v4, v2 row_shr:1 row_mask:0xf bank_mask:0xf
	v_cmp_eq_u32_e64 s0, 0, v62
	v_cmp_lt_u32_e64 s1, 1, v62
	v_cmp_lt_u32_e64 s9, 3, v62
	;; [unrolled: 1-line block ×3, first 2 shown]
	v_cmp_eq_u32_e64 s11, 0, v64
	s_wait_alu 0xf1ff
	v_cndmask_b32_e64 v4, v4, 0, s0
	s_delay_alu instid0(VALU_DEP_1) | instskip(NEXT) | instid1(VALU_DEP_1)
	v_add_nc_u32_e32 v2, v4, v2
	v_mov_b32_dpp v4, v2 row_shr:2 row_mask:0xf bank_mask:0xf
	s_delay_alu instid0(VALU_DEP_1) | instskip(NEXT) | instid1(VALU_DEP_1)
	v_cndmask_b32_e64 v4, 0, v4, s1
	v_add_nc_u32_e32 v2, v2, v4
	s_delay_alu instid0(VALU_DEP_1) | instskip(NEXT) | instid1(VALU_DEP_1)
	v_mov_b32_dpp v4, v2 row_shr:4 row_mask:0xf bank_mask:0xf
	v_cndmask_b32_e64 v4, 0, v4, s9
	s_delay_alu instid0(VALU_DEP_1) | instskip(NEXT) | instid1(VALU_DEP_1)
	v_add_nc_u32_e32 v2, v2, v4
	v_mov_b32_dpp v4, v2 row_shr:8 row_mask:0xf bank_mask:0xf
	s_delay_alu instid0(VALU_DEP_1) | instskip(NEXT) | instid1(VALU_DEP_1)
	v_cndmask_b32_e64 v4, 0, v4, s10
	v_add_nc_u32_e32 v2, v2, v4
	ds_swizzle_b32 v4, v2 offset:swizzle(BROADCAST,32,15)
	s_wait_dscnt 0x0
	v_and_b32_e32 v4, v63, v4
	s_delay_alu instid0(VALU_DEP_1)
	v_add_nc_u32_e32 v2, v2, v4
	s_and_saveexec_b32 s12, s3
; %bb.55:                               ;   in Loop: Header=BB296_12 Depth=1
	ds_store_b32 v41, v2
; %bb.56:                               ;   in Loop: Header=BB296_12 Depth=1
	s_wait_alu 0xfffe
	s_or_b32 exec_lo, exec_lo, s12
	s_wait_loadcnt_dscnt 0x0
	s_barrier_signal -1
	s_barrier_wait -1
	global_inv scope:SCOPE_SE
	s_and_saveexec_b32 s12, s4
	s_cbranch_execz .LBB296_58
; %bb.57:                               ;   in Loop: Header=BB296_12 Depth=1
	ds_load_b32 v4, v42
	v_cmp_ne_u32_e32 vcc_lo, 0, v65
	s_wait_dscnt 0x0
	v_mov_b32_dpp v5, v4 row_shr:1 row_mask:0xf bank_mask:0xf
	s_wait_alu 0xfffd
	s_delay_alu instid0(VALU_DEP_1) | instskip(SKIP_1) | instid1(VALU_DEP_2)
	v_cndmask_b32_e32 v5, 0, v5, vcc_lo
	v_cmp_lt_u32_e32 vcc_lo, 1, v65
	v_add_nc_u32_e32 v4, v5, v4
	s_delay_alu instid0(VALU_DEP_1) | instskip(SKIP_1) | instid1(VALU_DEP_1)
	v_mov_b32_dpp v5, v4 row_shr:2 row_mask:0xf bank_mask:0xf
	s_wait_alu 0xfffd
	v_cndmask_b32_e32 v5, 0, v5, vcc_lo
	v_cmp_lt_u32_e32 vcc_lo, 3, v65
	s_delay_alu instid0(VALU_DEP_2) | instskip(NEXT) | instid1(VALU_DEP_1)
	v_add_nc_u32_e32 v4, v4, v5
	v_mov_b32_dpp v5, v4 row_shr:4 row_mask:0xf bank_mask:0xf
	s_wait_alu 0xfffd
	s_delay_alu instid0(VALU_DEP_1) | instskip(NEXT) | instid1(VALU_DEP_1)
	v_cndmask_b32_e32 v5, 0, v5, vcc_lo
	v_add_nc_u32_e32 v4, v4, v5
	ds_store_b32 v42, v4
.LBB296_58:                             ;   in Loop: Header=BB296_12 Depth=1
	s_wait_alu 0xfffe
	s_or_b32 exec_lo, exec_lo, s12
	v_mov_b32_e32 v4, 0
	s_wait_loadcnt_dscnt 0x0
	s_barrier_signal -1
	s_barrier_wait -1
	global_inv scope:SCOPE_SE
	s_and_saveexec_b32 s12, s5
; %bb.59:                               ;   in Loop: Header=BB296_12 Depth=1
	ds_load_b32 v4, v43
; %bb.60:                               ;   in Loop: Header=BB296_12 Depth=1
	s_wait_alu 0xfffe
	s_or_b32 exec_lo, exec_lo, s12
	v_cmp_gt_i32_e32 vcc_lo, 0, v67
	s_wait_dscnt 0x0
	v_add_nc_u32_e32 v2, v4, v2
	s_wait_loadcnt 0x0
	s_barrier_signal -1
	s_barrier_wait -1
	s_wait_alu 0xfffd
	v_cndmask_b32_e32 v5, v67, v58, vcc_lo
	global_inv scope:SCOPE_SE
	v_lshlrev_b32_e32 v80, 2, v5
	ds_bpermute_b32 v2, v80, v2
	s_and_saveexec_b32 s12, s2
	s_cbranch_execz .LBB296_62
; %bb.61:                               ;   in Loop: Header=BB296_12 Depth=1
	s_wait_dscnt 0x0
	v_cndmask_b32_e64 v2, v2, v4, s8
	s_delay_alu instid0(VALU_DEP_1)
	v_add_nc_u32_e32 v2, s33, v2
	ds_store_b32 v28, v2
.LBB296_62:                             ;   in Loop: Header=BB296_12 Depth=1
	s_wait_alu 0xfffe
	s_or_b32 exec_lo, exec_lo, s12
	s_clause 0x1
	s_load_b32 s12, s[28:29], 0x4
	s_load_b32 s14, s[28:29], 0xc
	s_mov_b32 s42, s47
                                        ; implicit-def: $vgpr6_vgpr7
                                        ; implicit-def: $vgpr8_vgpr9
                                        ; implicit-def: $vgpr10_vgpr11
                                        ; implicit-def: $vgpr12_vgpr13
                                        ; implicit-def: $vgpr14_vgpr15
                                        ; implicit-def: $vgpr16_vgpr17
                                        ; implicit-def: $vgpr18_vgpr19
                                        ; implicit-def: $vgpr82
                                        ; implicit-def: $vgpr83
                                        ; implicit-def: $vgpr84
                                        ; implicit-def: $vgpr85
                                        ; implicit-def: $vgpr86
                                        ; implicit-def: $vgpr87
                                        ; implicit-def: $vgpr88
                                        ; implicit-def: $vgpr89
	s_wait_kmcnt 0x0
	s_cmp_lt_u32 ttmp7, s12
	s_cselect_b32 s22, 14, 20
	s_wait_alu 0xfffe
	s_add_nc_u64 s[12:13], s[28:29], s[22:23]
	s_mov_b32 s22, s33
	s_load_u16 s12, s[12:13], 0x0
	v_cmp_lt_u32_e64 s13, 1, v65
	s_wait_dscnt 0x0
	s_wait_kmcnt 0x0
	v_mad_u32_u24 v2, v44, s12, v0
	s_and_b32 s12, s14, 0xffff
	v_cmp_lt_u32_e64 s14, 3, v65
	s_wait_alu 0xfffe
	s_delay_alu instid0(VALU_DEP_2) | instskip(SKIP_1) | instid1(VALU_DEP_2)
	v_mad_co_u64_u32 v[4:5], null, v2, s12, v[1:2]
	v_cmp_eq_u32_e64 s12, 0, v65
	v_lshrrev_b32_e32 v2, 3, v4
                                        ; implicit-def: $vgpr4_vgpr5
	s_delay_alu instid0(VALU_DEP_1)
	v_and_b32_e32 v81, 0x1ffffffc, v2
	s_branch .LBB296_64
.LBB296_63:                             ;   in Loop: Header=BB296_64 Depth=2
	s_wait_alu 0xfffe
	s_or_b32 exec_lo, exec_lo, s15
	s_addk_co_i32 s42, 0xf800
	s_cmp_lt_u32 s43, s34
	s_mov_b32 s22, s43
	s_cbranch_scc0 .LBB296_176
.LBB296_64:                             ;   Parent Loop BB296_12 Depth=1
                                        ; =>  This Inner Loop Header: Depth=2
	s_wait_alu 0xfffe
	s_add_co_i32 s43, s22, 0x800
	s_wait_alu 0xfffe
	s_cmp_gt_u32 s43, s34
	s_cbranch_scc1 .LBB296_66
; %bb.65:                               ;   in Loop: Header=BB296_64 Depth=2
	v_add_co_u32 v20, vcc_lo, v78, s22
	s_wait_alu 0xfffd
	v_add_co_ci_u32_e64 v21, null, 0, v79, vcc_lo
	s_mov_b32 s15, -1
	s_clause 0x6
	global_load_u8 v23, v[20:21], off offset:192
	global_load_u8 v24, v[20:21], off offset:160
	;; [unrolled: 1-line block ×6, first 2 shown]
	global_load_u8 v90, v[20:21], off
	s_movk_i32 s16, 0x800
                                        ; implicit-def: $vgpr22
	s_cbranch_execz .LBB296_67
	s_branch .LBB296_76
.LBB296_66:                             ;   in Loop: Header=BB296_64 Depth=2
	s_mov_b32 s15, 0
                                        ; implicit-def: $vgpr90
                                        ; implicit-def: $vgpr92
                                        ; implicit-def: $vgpr27
                                        ; implicit-def: $vgpr26
                                        ; implicit-def: $vgpr25
                                        ; implicit-def: $vgpr24
                                        ; implicit-def: $vgpr23
	s_movk_i32 s16, 0x800
                                        ; implicit-def: $vgpr22
.LBB296_67:                             ;   in Loop: Header=BB296_64 Depth=2
	v_add_co_u32 v20, vcc_lo, v78, s22
	s_wait_alu 0xfffd
	v_add_co_ci_u32_e64 v21, null, 0, v79, vcc_lo
	s_wait_loadcnt 0x2
	v_dual_mov_b32 v22, 0x80 :: v_dual_mov_b32 v27, 0x80
	s_wait_loadcnt 0x0
	v_dual_mov_b32 v90, 0x80 :: v_dual_mov_b32 v25, 0x80
	v_dual_mov_b32 v92, 0x80 :: v_dual_mov_b32 v23, 0x80
	v_mov_b32_e32 v26, 0x80
	v_mov_b32_e32 v24, 0x80
	s_mov_b32 s15, exec_lo
	v_cmpx_gt_u32_e64 s42, v68
	s_cbranch_execnz .LBB296_170
; %bb.68:                               ;   in Loop: Header=BB296_64 Depth=2
	s_wait_alu 0xfffe
	s_or_b32 exec_lo, exec_lo, s15
	s_delay_alu instid0(SALU_CYCLE_1)
	s_mov_b32 s15, exec_lo
	v_cmpx_gt_u32_e64 s42, v71
	s_cbranch_execnz .LBB296_171
.LBB296_69:                             ;   in Loop: Header=BB296_64 Depth=2
	s_wait_alu 0xfffe
	s_or_b32 exec_lo, exec_lo, s15
	s_delay_alu instid0(SALU_CYCLE_1)
	s_mov_b32 s15, exec_lo
	v_cmpx_gt_u32_e64 s42, v72
	s_cbranch_execnz .LBB296_172
.LBB296_70:                             ;   in Loop: Header=BB296_64 Depth=2
	s_wait_alu 0xfffe
	s_or_b32 exec_lo, exec_lo, s15
	s_delay_alu instid0(SALU_CYCLE_1)
	s_mov_b32 s15, exec_lo
	v_cmpx_gt_u32_e64 s42, v73
	s_cbranch_execnz .LBB296_173
.LBB296_71:                             ;   in Loop: Header=BB296_64 Depth=2
	s_wait_alu 0xfffe
	s_or_b32 exec_lo, exec_lo, s15
	s_delay_alu instid0(SALU_CYCLE_1)
	s_mov_b32 s15, exec_lo
	v_cmpx_gt_u32_e64 s42, v74
	s_cbranch_execnz .LBB296_174
.LBB296_72:                             ;   in Loop: Header=BB296_64 Depth=2
	s_wait_alu 0xfffe
	s_or_b32 exec_lo, exec_lo, s15
	s_delay_alu instid0(SALU_CYCLE_1)
	s_mov_b32 s15, exec_lo
	v_cmpx_gt_u32_e64 s42, v75
	s_cbranch_execnz .LBB296_175
.LBB296_73:                             ;   in Loop: Header=BB296_64 Depth=2
	s_wait_alu 0xfffe
	s_or_b32 exec_lo, exec_lo, s15
	s_delay_alu instid0(SALU_CYCLE_1)
	s_mov_b32 s15, exec_lo
	v_cmpx_gt_u32_e64 s42, v76
	s_cbranch_execz .LBB296_75
.LBB296_74:                             ;   in Loop: Header=BB296_64 Depth=2
	global_load_u8 v23, v[20:21], off offset:192
.LBB296_75:                             ;   in Loop: Header=BB296_64 Depth=2
	s_wait_alu 0xfffe
	s_or_b32 exec_lo, exec_lo, s15
	v_cmp_gt_u32_e64 s15, s42, v77
	s_sub_co_i32 s16, s34, s22
.LBB296_76:                             ;   in Loop: Header=BB296_64 Depth=2
	v_mov_b32_e32 v2, s42
	s_wait_alu 0xfffe
	s_and_saveexec_b32 s17, s15
	s_cbranch_execz .LBB296_78
; %bb.77:                               ;   in Loop: Header=BB296_64 Depth=2
	v_add_co_u32 v20, vcc_lo, v78, s22
	s_wait_alu 0xfffd
	v_add_co_ci_u32_e64 v21, null, s23, v79, vcc_lo
	v_mov_b32_e32 v2, s16
	global_load_u8 v22, v[20:21], off offset:224
.LBB296_78:                             ;   in Loop: Header=BB296_64 Depth=2
	s_wait_alu 0xfffe
	s_or_b32 exec_lo, exec_lo, s17
	s_wait_loadcnt 0x0
	v_xor_b32_e32 v90, 0x7f, v90
	s_delay_alu instid0(VALU_DEP_1) | instskip(NEXT) | instid1(VALU_DEP_1)
	v_and_b32_e32 v20, 0xff, v90
	v_lshrrev_b32_e32 v20, s30, v20
	s_delay_alu instid0(VALU_DEP_1) | instskip(NEXT) | instid1(VALU_DEP_1)
	v_and_b32_e32 v21, s31, v20
	v_and_b32_e32 v20, 1, v21
	v_lshlrev_b32_e32 v91, 30, v21
	v_lshlrev_b32_e32 v93, 29, v21
	;; [unrolled: 1-line block ×4, first 2 shown]
	v_add_co_u32 v20, s15, v20, -1
	s_wait_alu 0xf1ff
	v_cndmask_b32_e64 v95, 0, 1, s15
	v_not_b32_e32 v99, v91
	v_cmp_gt_i32_e64 s15, 0, v91
	v_not_b32_e32 v91, v93
	v_lshlrev_b32_e32 v97, 26, v21
	v_cmp_ne_u32_e32 vcc_lo, 0, v95
	v_ashrrev_i32_e32 v99, 31, v99
	v_lshlrev_b32_e32 v98, 25, v21
	v_ashrrev_i32_e32 v91, 31, v91
	v_lshlrev_b32_e32 v95, 24, v21
	s_wait_alu 0xfffd
	v_xor_b32_e32 v20, vcc_lo, v20
	v_cmp_gt_i32_e32 vcc_lo, 0, v93
	v_not_b32_e32 v93, v94
	s_wait_alu 0xf1ff
	v_xor_b32_e32 v99, s15, v99
	v_cmp_gt_i32_e64 s15, 0, v94
	v_and_b32_e32 v20, exec_lo, v20
	v_not_b32_e32 v94, v96
	v_ashrrev_i32_e32 v93, 31, v93
	s_wait_alu 0xfffd
	v_xor_b32_e32 v91, vcc_lo, v91
	v_cmp_gt_i32_e32 vcc_lo, 0, v96
	v_and_b32_e32 v20, v20, v99
	v_not_b32_e32 v96, v97
	v_ashrrev_i32_e32 v94, 31, v94
	s_wait_alu 0xf1ff
	v_xor_b32_e32 v93, s15, v93
	v_cmp_gt_i32_e64 s15, 0, v97
	v_and_b32_e32 v20, v20, v91
	v_not_b32_e32 v91, v98
	v_ashrrev_i32_e32 v96, 31, v96
	s_wait_alu 0xfffd
	v_xor_b32_e32 v94, vcc_lo, v94
	v_cmp_gt_i32_e32 vcc_lo, 0, v98
	v_and_b32_e32 v20, v20, v93
	v_not_b32_e32 v93, v95
	v_ashrrev_i32_e32 v91, 31, v91
	s_wait_alu 0xf1ff
	v_xor_b32_e32 v96, s15, v96
	v_cmp_gt_i32_e64 s15, 0, v95
	v_and_b32_e32 v20, v20, v94
	v_ashrrev_i32_e32 v93, 31, v93
	s_wait_alu 0xfffd
	v_xor_b32_e32 v91, vcc_lo, v91
	v_mul_u32_u24_e32 v21, 36, v21
	v_add_nc_u32_e32 v95, 0x428, v45
	v_and_b32_e32 v20, v20, v96
	s_wait_alu 0xf1ff
	v_xor_b32_e32 v94, s15, v93
	v_add_nc_u32_e32 v93, 0x438, v45
	v_add_nc_u32_e32 v96, 0x430, v45
	;; [unrolled: 1-line block ×3, first 2 shown]
	v_and_b32_e32 v20, v20, v91
	ds_store_2addr_b32 v93, v3, v3 offset1:1
	v_and_b32_e32 v20, v20, v94
	v_add_nc_u32_e32 v94, 0x420, v45
	ds_store_2addr_b32 v94, v3, v3 offset1:1
	ds_store_2addr_b32 v95, v3, v3 offset1:1
	;; [unrolled: 1-line block ×3, first 2 shown]
	ds_store_b32 v45, v3 offset:1088
	v_mbcnt_lo_u32_b32 v91, v20, 0
	v_cmp_ne_u32_e64 s15, 0, v20
	s_wait_dscnt 0x0
	s_barrier_signal -1
	s_barrier_wait -1
	v_cmp_eq_u32_e32 vcc_lo, 0, v91
	global_inv scope:SCOPE_SE
	; wave barrier
	s_and_b32 s16, s15, vcc_lo
	s_wait_alu 0xfffe
	s_and_saveexec_b32 s15, s16
; %bb.79:                               ;   in Loop: Header=BB296_64 Depth=2
	v_bcnt_u32_b32 v20, v20, 0
	ds_store_b32 v97, v20 offset:1056
; %bb.80:                               ;   in Loop: Header=BB296_64 Depth=2
	s_wait_alu 0xfffe
	s_or_b32 exec_lo, exec_lo, s15
	v_xor_b32_e32 v92, 0x7f, v92
	; wave barrier
	s_delay_alu instid0(VALU_DEP_1) | instskip(NEXT) | instid1(VALU_DEP_1)
	v_and_b32_e32 v20, 0xff, v92
	v_lshrrev_b32_e32 v20, s30, v20
	s_delay_alu instid0(VALU_DEP_1) | instskip(NEXT) | instid1(VALU_DEP_1)
	v_and_b32_e32 v21, s31, v20
	v_and_b32_e32 v20, 1, v21
	v_lshlrev_b32_e32 v98, 30, v21
	v_lshlrev_b32_e32 v99, 29, v21
	;; [unrolled: 1-line block ×4, first 2 shown]
	v_add_co_u32 v20, s15, v20, -1
	s_wait_alu 0xf1ff
	v_cndmask_b32_e64 v101, 0, 1, s15
	v_not_b32_e32 v105, v98
	v_cmp_gt_i32_e64 s15, 0, v98
	v_not_b32_e32 v98, v99
	v_lshlrev_b32_e32 v103, 26, v21
	v_cmp_ne_u32_e32 vcc_lo, 0, v101
	v_ashrrev_i32_e32 v105, 31, v105
	v_lshlrev_b32_e32 v104, 25, v21
	v_ashrrev_i32_e32 v98, 31, v98
	v_lshlrev_b32_e32 v101, 24, v21
	s_wait_alu 0xfffd
	v_xor_b32_e32 v20, vcc_lo, v20
	v_cmp_gt_i32_e32 vcc_lo, 0, v99
	v_not_b32_e32 v99, v100
	s_wait_alu 0xf1ff
	v_xor_b32_e32 v105, s15, v105
	v_cmp_gt_i32_e64 s15, 0, v100
	v_and_b32_e32 v20, exec_lo, v20
	v_not_b32_e32 v100, v102
	v_ashrrev_i32_e32 v99, 31, v99
	s_wait_alu 0xfffd
	v_xor_b32_e32 v98, vcc_lo, v98
	v_cmp_gt_i32_e32 vcc_lo, 0, v102
	v_and_b32_e32 v20, v20, v105
	v_not_b32_e32 v102, v103
	v_ashrrev_i32_e32 v100, 31, v100
	s_wait_alu 0xf1ff
	v_xor_b32_e32 v99, s15, v99
	v_cmp_gt_i32_e64 s15, 0, v103
	v_and_b32_e32 v20, v20, v98
	v_not_b32_e32 v98, v104
	v_ashrrev_i32_e32 v102, 31, v102
	s_wait_alu 0xfffd
	v_xor_b32_e32 v100, vcc_lo, v100
	v_cmp_gt_i32_e32 vcc_lo, 0, v104
	v_and_b32_e32 v20, v20, v99
	v_not_b32_e32 v99, v101
	v_ashrrev_i32_e32 v98, 31, v98
	s_wait_alu 0xf1ff
	v_xor_b32_e32 v102, s15, v102
	v_cmp_gt_i32_e64 s15, 0, v101
	v_and_b32_e32 v20, v20, v100
	v_ashrrev_i32_e32 v99, 31, v99
	s_wait_alu 0xfffd
	v_xor_b32_e32 v98, vcc_lo, v98
	v_mad_u32_u24 v100, v21, 36, v81
	v_mul_u32_u24_e32 v21, 36, v21
	v_and_b32_e32 v20, v20, v102
	s_wait_alu 0xf1ff
	v_xor_b32_e32 v99, s15, v99
	s_delay_alu instid0(VALU_DEP_3) | instskip(NEXT) | instid1(VALU_DEP_3)
	v_add_nc_u32_e32 v101, v81, v21
	v_and_b32_e32 v20, v20, v98
	ds_load_b32 v98, v100 offset:1056
	; wave barrier
	v_and_b32_e32 v20, v20, v99
	s_delay_alu instid0(VALU_DEP_1) | instskip(SKIP_1) | instid1(VALU_DEP_2)
	v_mbcnt_lo_u32_b32 v99, v20, 0
	v_cmp_ne_u32_e64 s15, 0, v20
	v_cmp_eq_u32_e32 vcc_lo, 0, v99
	s_and_b32 s16, s15, vcc_lo
	s_wait_alu 0xfffe
	s_and_saveexec_b32 s15, s16
	s_cbranch_execz .LBB296_82
; %bb.81:                               ;   in Loop: Header=BB296_64 Depth=2
	s_wait_dscnt 0x0
	v_bcnt_u32_b32 v20, v20, v98
	ds_store_b32 v101, v20 offset:1056
.LBB296_82:                             ;   in Loop: Header=BB296_64 Depth=2
	s_wait_alu 0xfffe
	s_or_b32 exec_lo, exec_lo, s15
	v_xor_b32_e32 v100, 0x7f, v27
	; wave barrier
	s_delay_alu instid0(VALU_DEP_1) | instskip(NEXT) | instid1(VALU_DEP_1)
	v_and_b32_e32 v20, 0xff, v100
	v_lshrrev_b32_e32 v20, s30, v20
	s_delay_alu instid0(VALU_DEP_1) | instskip(NEXT) | instid1(VALU_DEP_1)
	v_and_b32_e32 v21, s31, v20
	v_and_b32_e32 v20, 1, v21
	v_lshlrev_b32_e32 v27, 30, v21
	v_lshlrev_b32_e32 v102, 29, v21
	;; [unrolled: 1-line block ×4, first 2 shown]
	v_add_co_u32 v20, s15, v20, -1
	s_wait_alu 0xf1ff
	v_cndmask_b32_e64 v104, 0, 1, s15
	v_not_b32_e32 v108, v27
	v_cmp_gt_i32_e64 s15, 0, v27
	v_not_b32_e32 v27, v102
	v_lshlrev_b32_e32 v106, 26, v21
	v_cmp_ne_u32_e32 vcc_lo, 0, v104
	v_ashrrev_i32_e32 v108, 31, v108
	v_lshlrev_b32_e32 v107, 25, v21
	v_ashrrev_i32_e32 v27, 31, v27
	v_lshlrev_b32_e32 v104, 24, v21
	s_wait_alu 0xfffd
	v_xor_b32_e32 v20, vcc_lo, v20
	v_cmp_gt_i32_e32 vcc_lo, 0, v102
	v_not_b32_e32 v102, v103
	s_wait_alu 0xf1ff
	v_xor_b32_e32 v108, s15, v108
	v_cmp_gt_i32_e64 s15, 0, v103
	v_and_b32_e32 v20, exec_lo, v20
	v_not_b32_e32 v103, v105
	v_ashrrev_i32_e32 v102, 31, v102
	s_wait_alu 0xfffd
	v_xor_b32_e32 v27, vcc_lo, v27
	v_cmp_gt_i32_e32 vcc_lo, 0, v105
	v_and_b32_e32 v20, v20, v108
	v_not_b32_e32 v105, v106
	v_ashrrev_i32_e32 v103, 31, v103
	s_wait_alu 0xf1ff
	v_xor_b32_e32 v102, s15, v102
	v_cmp_gt_i32_e64 s15, 0, v106
	v_and_b32_e32 v20, v20, v27
	v_not_b32_e32 v27, v107
	v_ashrrev_i32_e32 v105, 31, v105
	s_wait_alu 0xfffd
	v_xor_b32_e32 v103, vcc_lo, v103
	v_cmp_gt_i32_e32 vcc_lo, 0, v107
	v_and_b32_e32 v20, v20, v102
	v_not_b32_e32 v102, v104
	v_ashrrev_i32_e32 v27, 31, v27
	s_wait_alu 0xf1ff
	v_xor_b32_e32 v105, s15, v105
	v_cmp_gt_i32_e64 s15, 0, v104
	v_and_b32_e32 v20, v20, v103
	v_ashrrev_i32_e32 v102, 31, v102
	s_wait_alu 0xfffd
	v_xor_b32_e32 v27, vcc_lo, v27
	v_mad_u32_u24 v103, v21, 36, v81
	v_mul_u32_u24_e32 v21, 36, v21
	v_and_b32_e32 v20, v20, v105
	s_wait_alu 0xf1ff
	v_xor_b32_e32 v104, s15, v102
	ds_load_b32 v102, v103 offset:1056
	v_add_nc_u32_e32 v105, v81, v21
	v_and_b32_e32 v20, v20, v27
	; wave barrier
	s_delay_alu instid0(VALU_DEP_1) | instskip(NEXT) | instid1(VALU_DEP_1)
	v_and_b32_e32 v20, v20, v104
	v_mbcnt_lo_u32_b32 v103, v20, 0
	v_cmp_ne_u32_e64 s15, 0, v20
	s_delay_alu instid0(VALU_DEP_2)
	v_cmp_eq_u32_e32 vcc_lo, 0, v103
	s_and_b32 s16, s15, vcc_lo
	s_wait_alu 0xfffe
	s_and_saveexec_b32 s15, s16
	s_cbranch_execz .LBB296_84
; %bb.83:                               ;   in Loop: Header=BB296_64 Depth=2
	s_wait_dscnt 0x0
	v_bcnt_u32_b32 v20, v20, v102
	ds_store_b32 v105, v20 offset:1056
.LBB296_84:                             ;   in Loop: Header=BB296_64 Depth=2
	s_wait_alu 0xfffe
	s_or_b32 exec_lo, exec_lo, s15
	v_xor_b32_e32 v104, 0x7f, v26
	; wave barrier
	s_delay_alu instid0(VALU_DEP_1) | instskip(NEXT) | instid1(VALU_DEP_1)
	v_and_b32_e32 v20, 0xff, v104
	v_lshrrev_b32_e32 v20, s30, v20
	s_delay_alu instid0(VALU_DEP_1) | instskip(NEXT) | instid1(VALU_DEP_1)
	v_and_b32_e32 v21, s31, v20
	v_and_b32_e32 v20, 1, v21
	v_lshlrev_b32_e32 v26, 30, v21
	v_lshlrev_b32_e32 v27, 29, v21
	;; [unrolled: 1-line block ×4, first 2 shown]
	v_add_co_u32 v20, s15, v20, -1
	s_wait_alu 0xf1ff
	v_cndmask_b32_e64 v107, 0, 1, s15
	v_not_b32_e32 v111, v26
	v_cmp_gt_i32_e64 s15, 0, v26
	v_not_b32_e32 v26, v27
	v_lshlrev_b32_e32 v109, 26, v21
	v_cmp_ne_u32_e32 vcc_lo, 0, v107
	v_ashrrev_i32_e32 v111, 31, v111
	v_lshlrev_b32_e32 v110, 25, v21
	v_ashrrev_i32_e32 v26, 31, v26
	v_lshlrev_b32_e32 v107, 24, v21
	s_wait_alu 0xfffd
	v_xor_b32_e32 v20, vcc_lo, v20
	v_cmp_gt_i32_e32 vcc_lo, 0, v27
	v_not_b32_e32 v27, v106
	s_wait_alu 0xf1ff
	v_xor_b32_e32 v111, s15, v111
	v_cmp_gt_i32_e64 s15, 0, v106
	v_and_b32_e32 v20, exec_lo, v20
	v_not_b32_e32 v106, v108
	v_ashrrev_i32_e32 v27, 31, v27
	s_wait_alu 0xfffd
	v_xor_b32_e32 v26, vcc_lo, v26
	v_cmp_gt_i32_e32 vcc_lo, 0, v108
	v_and_b32_e32 v20, v20, v111
	v_not_b32_e32 v108, v109
	v_ashrrev_i32_e32 v106, 31, v106
	s_wait_alu 0xf1ff
	v_xor_b32_e32 v27, s15, v27
	v_cmp_gt_i32_e64 s15, 0, v109
	v_and_b32_e32 v20, v20, v26
	v_not_b32_e32 v26, v110
	v_ashrrev_i32_e32 v108, 31, v108
	s_wait_alu 0xfffd
	v_xor_b32_e32 v106, vcc_lo, v106
	v_cmp_gt_i32_e32 vcc_lo, 0, v110
	v_and_b32_e32 v20, v20, v27
	v_not_b32_e32 v27, v107
	v_ashrrev_i32_e32 v26, 31, v26
	s_wait_alu 0xf1ff
	v_xor_b32_e32 v108, s15, v108
	v_cmp_gt_i32_e64 s15, 0, v107
	v_and_b32_e32 v20, v20, v106
	v_ashrrev_i32_e32 v27, 31, v27
	s_wait_alu 0xfffd
	v_xor_b32_e32 v26, vcc_lo, v26
	v_mad_u32_u24 v106, v21, 36, v81
	v_mul_u32_u24_e32 v21, 36, v21
	v_and_b32_e32 v20, v20, v108
	s_wait_alu 0xf1ff
	v_xor_b32_e32 v27, s15, v27
	ds_load_b32 v106, v106 offset:1056
	v_add_nc_u32_e32 v109, v81, v21
	v_and_b32_e32 v20, v20, v26
	; wave barrier
	s_delay_alu instid0(VALU_DEP_1) | instskip(NEXT) | instid1(VALU_DEP_1)
	v_and_b32_e32 v20, v20, v27
	v_mbcnt_lo_u32_b32 v107, v20, 0
	v_cmp_ne_u32_e64 s15, 0, v20
	s_delay_alu instid0(VALU_DEP_2)
	v_cmp_eq_u32_e32 vcc_lo, 0, v107
	s_and_b32 s16, s15, vcc_lo
	s_wait_alu 0xfffe
	s_and_saveexec_b32 s15, s16
	s_cbranch_execz .LBB296_86
; %bb.85:                               ;   in Loop: Header=BB296_64 Depth=2
	s_wait_dscnt 0x0
	v_bcnt_u32_b32 v20, v20, v106
	ds_store_b32 v109, v20 offset:1056
.LBB296_86:                             ;   in Loop: Header=BB296_64 Depth=2
	s_wait_alu 0xfffe
	s_or_b32 exec_lo, exec_lo, s15
	v_xor_b32_e32 v108, 0x7f, v25
	; wave barrier
	s_delay_alu instid0(VALU_DEP_1) | instskip(NEXT) | instid1(VALU_DEP_1)
	v_and_b32_e32 v20, 0xff, v108
	v_lshrrev_b32_e32 v20, s30, v20
	s_delay_alu instid0(VALU_DEP_1) | instskip(NEXT) | instid1(VALU_DEP_1)
	v_and_b32_e32 v21, s31, v20
	v_and_b32_e32 v20, 1, v21
	v_lshlrev_b32_e32 v25, 30, v21
	v_lshlrev_b32_e32 v26, 29, v21
	;; [unrolled: 1-line block ×4, first 2 shown]
	v_add_co_u32 v20, s15, v20, -1
	s_wait_alu 0xf1ff
	v_cndmask_b32_e64 v110, 0, 1, s15
	v_not_b32_e32 v114, v25
	v_cmp_gt_i32_e64 s15, 0, v25
	v_not_b32_e32 v25, v26
	v_lshlrev_b32_e32 v112, 26, v21
	v_cmp_ne_u32_e32 vcc_lo, 0, v110
	v_ashrrev_i32_e32 v114, 31, v114
	v_lshlrev_b32_e32 v113, 25, v21
	v_ashrrev_i32_e32 v25, 31, v25
	v_lshlrev_b32_e32 v110, 24, v21
	s_wait_alu 0xfffd
	v_xor_b32_e32 v20, vcc_lo, v20
	v_cmp_gt_i32_e32 vcc_lo, 0, v26
	v_not_b32_e32 v26, v27
	s_wait_alu 0xf1ff
	v_xor_b32_e32 v114, s15, v114
	v_cmp_gt_i32_e64 s15, 0, v27
	v_and_b32_e32 v20, exec_lo, v20
	v_not_b32_e32 v27, v111
	v_ashrrev_i32_e32 v26, 31, v26
	s_wait_alu 0xfffd
	v_xor_b32_e32 v25, vcc_lo, v25
	v_cmp_gt_i32_e32 vcc_lo, 0, v111
	v_and_b32_e32 v20, v20, v114
	v_not_b32_e32 v111, v112
	v_ashrrev_i32_e32 v27, 31, v27
	s_wait_alu 0xf1ff
	v_xor_b32_e32 v26, s15, v26
	v_cmp_gt_i32_e64 s15, 0, v112
	v_and_b32_e32 v20, v20, v25
	v_not_b32_e32 v25, v113
	v_ashrrev_i32_e32 v111, 31, v111
	s_wait_alu 0xfffd
	v_xor_b32_e32 v27, vcc_lo, v27
	v_cmp_gt_i32_e32 vcc_lo, 0, v113
	v_and_b32_e32 v20, v20, v26
	v_not_b32_e32 v26, v110
	v_ashrrev_i32_e32 v25, 31, v25
	s_wait_alu 0xf1ff
	v_xor_b32_e32 v111, s15, v111
	v_cmp_gt_i32_e64 s15, 0, v110
	v_and_b32_e32 v20, v20, v27
	v_ashrrev_i32_e32 v26, 31, v26
	s_wait_alu 0xfffd
	v_xor_b32_e32 v25, vcc_lo, v25
	v_mad_u32_u24 v27, v21, 36, v81
	v_mul_u32_u24_e32 v21, 36, v21
	v_and_b32_e32 v20, v20, v111
	s_wait_alu 0xf1ff
	v_xor_b32_e32 v26, s15, v26
	ds_load_b32 v110, v27 offset:1056
	v_add_nc_u32_e32 v113, v81, v21
	v_and_b32_e32 v20, v20, v25
	; wave barrier
	s_delay_alu instid0(VALU_DEP_1) | instskip(NEXT) | instid1(VALU_DEP_1)
	v_and_b32_e32 v20, v20, v26
	v_mbcnt_lo_u32_b32 v111, v20, 0
	v_cmp_ne_u32_e64 s15, 0, v20
	s_delay_alu instid0(VALU_DEP_2)
	v_cmp_eq_u32_e32 vcc_lo, 0, v111
	s_and_b32 s16, s15, vcc_lo
	s_wait_alu 0xfffe
	s_and_saveexec_b32 s15, s16
	s_cbranch_execz .LBB296_88
; %bb.87:                               ;   in Loop: Header=BB296_64 Depth=2
	s_wait_dscnt 0x0
	v_bcnt_u32_b32 v20, v20, v110
	ds_store_b32 v113, v20 offset:1056
.LBB296_88:                             ;   in Loop: Header=BB296_64 Depth=2
	s_wait_alu 0xfffe
	s_or_b32 exec_lo, exec_lo, s15
	v_xor_b32_e32 v112, 0x7f, v24
	; wave barrier
	s_delay_alu instid0(VALU_DEP_1) | instskip(NEXT) | instid1(VALU_DEP_1)
	v_and_b32_e32 v20, 0xff, v112
	v_lshrrev_b32_e32 v20, s30, v20
	s_delay_alu instid0(VALU_DEP_1) | instskip(NEXT) | instid1(VALU_DEP_1)
	v_and_b32_e32 v21, s31, v20
	v_and_b32_e32 v20, 1, v21
	v_lshlrev_b32_e32 v24, 30, v21
	v_lshlrev_b32_e32 v25, 29, v21
	;; [unrolled: 1-line block ×4, first 2 shown]
	v_add_co_u32 v20, s15, v20, -1
	s_wait_alu 0xf1ff
	v_cndmask_b32_e64 v27, 0, 1, s15
	v_not_b32_e32 v117, v24
	v_cmp_gt_i32_e64 s15, 0, v24
	v_not_b32_e32 v24, v25
	v_lshlrev_b32_e32 v115, 26, v21
	v_cmp_ne_u32_e32 vcc_lo, 0, v27
	v_ashrrev_i32_e32 v117, 31, v117
	v_lshlrev_b32_e32 v116, 25, v21
	v_ashrrev_i32_e32 v24, 31, v24
	v_lshlrev_b32_e32 v27, 24, v21
	s_wait_alu 0xfffd
	v_xor_b32_e32 v20, vcc_lo, v20
	v_cmp_gt_i32_e32 vcc_lo, 0, v25
	v_not_b32_e32 v25, v26
	s_wait_alu 0xf1ff
	v_xor_b32_e32 v117, s15, v117
	v_cmp_gt_i32_e64 s15, 0, v26
	v_and_b32_e32 v20, exec_lo, v20
	v_not_b32_e32 v26, v114
	v_ashrrev_i32_e32 v25, 31, v25
	s_wait_alu 0xfffd
	v_xor_b32_e32 v24, vcc_lo, v24
	v_cmp_gt_i32_e32 vcc_lo, 0, v114
	v_and_b32_e32 v20, v20, v117
	v_not_b32_e32 v114, v115
	v_ashrrev_i32_e32 v26, 31, v26
	s_wait_alu 0xf1ff
	v_xor_b32_e32 v25, s15, v25
	v_cmp_gt_i32_e64 s15, 0, v115
	v_and_b32_e32 v20, v20, v24
	v_not_b32_e32 v24, v116
	v_ashrrev_i32_e32 v114, 31, v114
	s_wait_alu 0xfffd
	v_xor_b32_e32 v26, vcc_lo, v26
	v_cmp_gt_i32_e32 vcc_lo, 0, v116
	v_and_b32_e32 v20, v20, v25
	v_not_b32_e32 v25, v27
	v_ashrrev_i32_e32 v24, 31, v24
	s_wait_alu 0xf1ff
	v_xor_b32_e32 v114, s15, v114
	v_cmp_gt_i32_e64 s15, 0, v27
	v_and_b32_e32 v20, v20, v26
	v_ashrrev_i32_e32 v25, 31, v25
	s_wait_alu 0xfffd
	v_xor_b32_e32 v24, vcc_lo, v24
	v_mad_u32_u24 v26, v21, 36, v81
	v_mul_u32_u24_e32 v21, 36, v21
	v_and_b32_e32 v20, v20, v114
	s_wait_alu 0xf1ff
	v_xor_b32_e32 v25, s15, v25
	ds_load_b32 v114, v26 offset:1056
	v_add_nc_u32_e32 v117, v81, v21
	v_and_b32_e32 v20, v20, v24
	; wave barrier
	s_delay_alu instid0(VALU_DEP_1) | instskip(NEXT) | instid1(VALU_DEP_1)
	v_and_b32_e32 v20, v20, v25
	v_mbcnt_lo_u32_b32 v115, v20, 0
	v_cmp_ne_u32_e64 s15, 0, v20
	s_delay_alu instid0(VALU_DEP_2)
	v_cmp_eq_u32_e32 vcc_lo, 0, v115
	s_and_b32 s16, s15, vcc_lo
	s_wait_alu 0xfffe
	s_and_saveexec_b32 s15, s16
	s_cbranch_execz .LBB296_90
; %bb.89:                               ;   in Loop: Header=BB296_64 Depth=2
	s_wait_dscnt 0x0
	v_bcnt_u32_b32 v20, v20, v114
	ds_store_b32 v117, v20 offset:1056
.LBB296_90:                             ;   in Loop: Header=BB296_64 Depth=2
	s_wait_alu 0xfffe
	s_or_b32 exec_lo, exec_lo, s15
	v_xor_b32_e32 v116, 0x7f, v23
	; wave barrier
	s_delay_alu instid0(VALU_DEP_1) | instskip(NEXT) | instid1(VALU_DEP_1)
	v_and_b32_e32 v20, 0xff, v116
	v_lshrrev_b32_e32 v20, s30, v20
	s_delay_alu instid0(VALU_DEP_1) | instskip(NEXT) | instid1(VALU_DEP_1)
	v_and_b32_e32 v21, s31, v20
	v_and_b32_e32 v20, 1, v21
	v_lshlrev_b32_e32 v23, 30, v21
	v_lshlrev_b32_e32 v24, 29, v21
	;; [unrolled: 1-line block ×4, first 2 shown]
	v_add_co_u32 v20, s15, v20, -1
	s_wait_alu 0xf1ff
	v_cndmask_b32_e64 v26, 0, 1, s15
	v_not_b32_e32 v120, v23
	v_cmp_gt_i32_e64 s15, 0, v23
	v_not_b32_e32 v23, v24
	v_lshlrev_b32_e32 v118, 26, v21
	v_cmp_ne_u32_e32 vcc_lo, 0, v26
	v_ashrrev_i32_e32 v120, 31, v120
	v_lshlrev_b32_e32 v119, 25, v21
	v_ashrrev_i32_e32 v23, 31, v23
	v_lshlrev_b32_e32 v26, 24, v21
	s_wait_alu 0xfffd
	v_xor_b32_e32 v20, vcc_lo, v20
	v_cmp_gt_i32_e32 vcc_lo, 0, v24
	v_not_b32_e32 v24, v25
	s_wait_alu 0xf1ff
	v_xor_b32_e32 v120, s15, v120
	v_cmp_gt_i32_e64 s15, 0, v25
	v_and_b32_e32 v20, exec_lo, v20
	v_not_b32_e32 v25, v27
	v_ashrrev_i32_e32 v24, 31, v24
	s_wait_alu 0xfffd
	v_xor_b32_e32 v23, vcc_lo, v23
	v_cmp_gt_i32_e32 vcc_lo, 0, v27
	v_and_b32_e32 v20, v20, v120
	v_not_b32_e32 v27, v118
	v_ashrrev_i32_e32 v25, 31, v25
	s_wait_alu 0xf1ff
	v_xor_b32_e32 v24, s15, v24
	v_cmp_gt_i32_e64 s15, 0, v118
	v_and_b32_e32 v20, v20, v23
	v_not_b32_e32 v23, v119
	v_ashrrev_i32_e32 v27, 31, v27
	s_wait_alu 0xfffd
	v_xor_b32_e32 v25, vcc_lo, v25
	v_cmp_gt_i32_e32 vcc_lo, 0, v119
	v_and_b32_e32 v20, v20, v24
	v_not_b32_e32 v24, v26
	v_ashrrev_i32_e32 v23, 31, v23
	s_wait_alu 0xf1ff
	v_xor_b32_e32 v27, s15, v27
	v_cmp_gt_i32_e64 s15, 0, v26
	v_and_b32_e32 v20, v20, v25
	v_ashrrev_i32_e32 v24, 31, v24
	s_wait_alu 0xfffd
	v_xor_b32_e32 v23, vcc_lo, v23
	v_mad_u32_u24 v25, v21, 36, v81
	v_mul_u32_u24_e32 v21, 36, v21
	v_and_b32_e32 v20, v20, v27
	s_wait_alu 0xf1ff
	v_xor_b32_e32 v24, s15, v24
	ds_load_b32 v118, v25 offset:1056
	v_add_nc_u32_e32 v121, v81, v21
	v_and_b32_e32 v20, v20, v23
	; wave barrier
	s_delay_alu instid0(VALU_DEP_1) | instskip(NEXT) | instid1(VALU_DEP_1)
	v_and_b32_e32 v20, v20, v24
	v_mbcnt_lo_u32_b32 v119, v20, 0
	v_cmp_ne_u32_e64 s15, 0, v20
	s_delay_alu instid0(VALU_DEP_2)
	v_cmp_eq_u32_e32 vcc_lo, 0, v119
	s_and_b32 s16, s15, vcc_lo
	s_wait_alu 0xfffe
	s_and_saveexec_b32 s15, s16
	s_cbranch_execz .LBB296_92
; %bb.91:                               ;   in Loop: Header=BB296_64 Depth=2
	s_wait_dscnt 0x0
	v_bcnt_u32_b32 v20, v20, v118
	ds_store_b32 v121, v20 offset:1056
.LBB296_92:                             ;   in Loop: Header=BB296_64 Depth=2
	s_wait_alu 0xfffe
	s_or_b32 exec_lo, exec_lo, s15
	v_xor_b32_e32 v120, 0x7f, v22
	; wave barrier
	s_delay_alu instid0(VALU_DEP_1) | instskip(NEXT) | instid1(VALU_DEP_1)
	v_and_b32_e32 v20, 0xff, v120
	v_lshrrev_b32_e32 v20, s30, v20
	s_delay_alu instid0(VALU_DEP_1) | instskip(NEXT) | instid1(VALU_DEP_1)
	v_and_b32_e32 v21, s31, v20
	v_and_b32_e32 v20, 1, v21
	v_lshlrev_b32_e32 v22, 30, v21
	v_lshlrev_b32_e32 v23, 29, v21
	v_lshlrev_b32_e32 v24, 28, v21
	v_lshlrev_b32_e32 v26, 27, v21
	v_add_co_u32 v20, s15, v20, -1
	s_wait_alu 0xf1ff
	v_cndmask_b32_e64 v25, 0, 1, s15
	v_not_b32_e32 v123, v22
	v_cmp_gt_i32_e64 s15, 0, v22
	v_not_b32_e32 v22, v23
	v_lshlrev_b32_e32 v27, 26, v21
	v_cmp_ne_u32_e32 vcc_lo, 0, v25
	v_ashrrev_i32_e32 v123, 31, v123
	v_lshlrev_b32_e32 v122, 25, v21
	v_ashrrev_i32_e32 v22, 31, v22
	v_lshlrev_b32_e32 v25, 24, v21
	s_wait_alu 0xfffd
	v_xor_b32_e32 v20, vcc_lo, v20
	v_cmp_gt_i32_e32 vcc_lo, 0, v23
	v_not_b32_e32 v23, v24
	s_wait_alu 0xf1ff
	v_xor_b32_e32 v123, s15, v123
	v_cmp_gt_i32_e64 s15, 0, v24
	v_and_b32_e32 v20, exec_lo, v20
	v_not_b32_e32 v24, v26
	v_ashrrev_i32_e32 v23, 31, v23
	s_wait_alu 0xfffd
	v_xor_b32_e32 v22, vcc_lo, v22
	v_cmp_gt_i32_e32 vcc_lo, 0, v26
	v_and_b32_e32 v20, v20, v123
	v_not_b32_e32 v26, v27
	v_ashrrev_i32_e32 v24, 31, v24
	s_wait_alu 0xf1ff
	v_xor_b32_e32 v23, s15, v23
	v_cmp_gt_i32_e64 s15, 0, v27
	v_and_b32_e32 v20, v20, v22
	v_not_b32_e32 v22, v122
	v_ashrrev_i32_e32 v26, 31, v26
	s_wait_alu 0xfffd
	v_xor_b32_e32 v24, vcc_lo, v24
	v_cmp_gt_i32_e32 vcc_lo, 0, v122
	v_and_b32_e32 v20, v20, v23
	v_not_b32_e32 v23, v25
	v_ashrrev_i32_e32 v22, 31, v22
	s_wait_alu 0xf1ff
	v_xor_b32_e32 v26, s15, v26
	v_cmp_gt_i32_e64 s15, 0, v25
	v_and_b32_e32 v20, v20, v24
	v_ashrrev_i32_e32 v23, 31, v23
	s_wait_alu 0xfffd
	v_xor_b32_e32 v22, vcc_lo, v22
	v_mad_u32_u24 v24, v21, 36, v81
	v_mul_u32_u24_e32 v21, 36, v21
	v_and_b32_e32 v20, v20, v26
	s_wait_alu 0xf1ff
	v_xor_b32_e32 v23, s15, v23
	ds_load_b32 v122, v24 offset:1056
	v_add_nc_u32_e32 v124, v81, v21
	v_and_b32_e32 v20, v20, v22
	; wave barrier
	s_delay_alu instid0(VALU_DEP_1) | instskip(NEXT) | instid1(VALU_DEP_1)
	v_and_b32_e32 v20, v20, v23
	v_mbcnt_lo_u32_b32 v123, v20, 0
	v_cmp_ne_u32_e64 s15, 0, v20
	s_delay_alu instid0(VALU_DEP_2)
	v_cmp_eq_u32_e32 vcc_lo, 0, v123
	s_and_b32 s16, s15, vcc_lo
	s_wait_alu 0xfffe
	s_and_saveexec_b32 s15, s16
	s_cbranch_execz .LBB296_94
; %bb.93:                               ;   in Loop: Header=BB296_64 Depth=2
	s_wait_dscnt 0x0
	v_bcnt_u32_b32 v20, v20, v122
	ds_store_b32 v124, v20 offset:1056
.LBB296_94:                             ;   in Loop: Header=BB296_64 Depth=2
	s_wait_alu 0xfffe
	s_or_b32 exec_lo, exec_lo, s15
	; wave barrier
	s_wait_loadcnt_dscnt 0x0
	s_barrier_signal -1
	s_barrier_wait -1
	global_inv scope:SCOPE_SE
	ds_load_2addr_b32 v[26:27], v94 offset1:1
	ds_load_2addr_b32 v[24:25], v95 offset1:1
	ds_load_2addr_b32 v[22:23], v96 offset1:1
	ds_load_2addr_b32 v[20:21], v93 offset1:1
	ds_load_b32 v125, v45 offset:1088
	s_wait_dscnt 0x3
	v_add3_u32 v126, v27, v26, v24
	s_wait_dscnt 0x2
	s_delay_alu instid0(VALU_DEP_1) | instskip(SKIP_1) | instid1(VALU_DEP_1)
	v_add3_u32 v126, v126, v25, v22
	s_wait_dscnt 0x1
	v_add3_u32 v126, v126, v23, v20
	s_wait_dscnt 0x0
	s_delay_alu instid0(VALU_DEP_1) | instskip(NEXT) | instid1(VALU_DEP_1)
	v_add3_u32 v125, v126, v21, v125
	v_mov_b32_dpp v126, v125 row_shr:1 row_mask:0xf bank_mask:0xf
	s_delay_alu instid0(VALU_DEP_1) | instskip(NEXT) | instid1(VALU_DEP_1)
	v_cndmask_b32_e64 v126, v126, 0, s0
	v_add_nc_u32_e32 v125, v126, v125
	s_delay_alu instid0(VALU_DEP_1) | instskip(NEXT) | instid1(VALU_DEP_1)
	v_mov_b32_dpp v126, v125 row_shr:2 row_mask:0xf bank_mask:0xf
	v_cndmask_b32_e64 v126, 0, v126, s1
	s_delay_alu instid0(VALU_DEP_1) | instskip(NEXT) | instid1(VALU_DEP_1)
	v_add_nc_u32_e32 v125, v125, v126
	v_mov_b32_dpp v126, v125 row_shr:4 row_mask:0xf bank_mask:0xf
	s_delay_alu instid0(VALU_DEP_1) | instskip(NEXT) | instid1(VALU_DEP_1)
	v_cndmask_b32_e64 v126, 0, v126, s9
	v_add_nc_u32_e32 v125, v125, v126
	s_delay_alu instid0(VALU_DEP_1) | instskip(NEXT) | instid1(VALU_DEP_1)
	v_mov_b32_dpp v126, v125 row_shr:8 row_mask:0xf bank_mask:0xf
	v_cndmask_b32_e64 v126, 0, v126, s10
	s_delay_alu instid0(VALU_DEP_1) | instskip(SKIP_3) | instid1(VALU_DEP_1)
	v_add_nc_u32_e32 v125, v125, v126
	ds_swizzle_b32 v126, v125 offset:swizzle(BROADCAST,32,15)
	s_wait_dscnt 0x0
	v_cndmask_b32_e64 v126, v126, 0, s11
	v_add_nc_u32_e32 v125, v125, v126
	s_and_saveexec_b32 s15, s3
; %bb.95:                               ;   in Loop: Header=BB296_64 Depth=2
	ds_store_b32 v38, v125 offset:1024
; %bb.96:                               ;   in Loop: Header=BB296_64 Depth=2
	s_wait_alu 0xfffe
	s_or_b32 exec_lo, exec_lo, s15
	s_wait_loadcnt_dscnt 0x0
	s_barrier_signal -1
	s_barrier_wait -1
	global_inv scope:SCOPE_SE
	s_and_saveexec_b32 s15, s4
	s_cbranch_execz .LBB296_98
; %bb.97:                               ;   in Loop: Header=BB296_64 Depth=2
	v_add_nc_u32_e32 v126, v45, v46
	ds_load_b32 v127, v126 offset:1024
	s_wait_dscnt 0x0
	v_mov_b32_dpp v128, v127 row_shr:1 row_mask:0xf bank_mask:0xf
	s_delay_alu instid0(VALU_DEP_1) | instskip(NEXT) | instid1(VALU_DEP_1)
	v_cndmask_b32_e64 v128, v128, 0, s12
	v_add_nc_u32_e32 v127, v128, v127
	s_delay_alu instid0(VALU_DEP_1) | instskip(NEXT) | instid1(VALU_DEP_1)
	v_mov_b32_dpp v128, v127 row_shr:2 row_mask:0xf bank_mask:0xf
	v_cndmask_b32_e64 v128, 0, v128, s13
	s_delay_alu instid0(VALU_DEP_1) | instskip(NEXT) | instid1(VALU_DEP_1)
	v_add_nc_u32_e32 v127, v127, v128
	v_mov_b32_dpp v128, v127 row_shr:4 row_mask:0xf bank_mask:0xf
	s_delay_alu instid0(VALU_DEP_1) | instskip(NEXT) | instid1(VALU_DEP_1)
	v_cndmask_b32_e64 v128, 0, v128, s14
	v_add_nc_u32_e32 v127, v127, v128
	ds_store_b32 v126, v127 offset:1024
.LBB296_98:                             ;   in Loop: Header=BB296_64 Depth=2
	s_wait_alu 0xfffe
	s_or_b32 exec_lo, exec_lo, s15
	v_mov_b32_e32 v126, 0
	s_wait_loadcnt_dscnt 0x0
	s_barrier_signal -1
	s_barrier_wait -1
	global_inv scope:SCOPE_SE
	s_and_saveexec_b32 s15, s5
; %bb.99:                               ;   in Loop: Header=BB296_64 Depth=2
	ds_load_b32 v126, v38 offset:1020
; %bb.100:                              ;   in Loop: Header=BB296_64 Depth=2
	s_wait_alu 0xfffe
	s_or_b32 exec_lo, exec_lo, s15
	s_wait_dscnt 0x0
	v_add_nc_u32_e32 v125, v126, v125
	ds_bpermute_b32 v125, v80, v125
	s_wait_dscnt 0x0
	v_cndmask_b32_e64 v125, v125, v126, s8
	s_delay_alu instid0(VALU_DEP_1) | instskip(NEXT) | instid1(VALU_DEP_1)
	v_cndmask_b32_e64 v125, v125, 0, s6
	v_add_nc_u32_e32 v26, v125, v26
	s_delay_alu instid0(VALU_DEP_1) | instskip(NEXT) | instid1(VALU_DEP_1)
	v_add_nc_u32_e32 v27, v26, v27
	v_add_nc_u32_e32 v24, v27, v24
	s_delay_alu instid0(VALU_DEP_1) | instskip(NEXT) | instid1(VALU_DEP_1)
	v_add_nc_u32_e32 v25, v24, v25
	;; [unrolled: 3-line block ×3, first 2 shown]
	v_add_nc_u32_e32 v20, v23, v20
	s_delay_alu instid0(VALU_DEP_1)
	v_add_nc_u32_e32 v21, v20, v21
	ds_store_2addr_b32 v93, v23, v20 offset1:1
	ds_store_2addr_b32 v94, v125, v26 offset1:1
	;; [unrolled: 1-line block ×4, first 2 shown]
	ds_store_b32 v45, v21 offset:1088
	s_wait_loadcnt_dscnt 0x0
	s_barrier_signal -1
	s_barrier_wait -1
	global_inv scope:SCOPE_SE
	ds_load_b32 v20, v97 offset:1056
	ds_load_b32 v21, v101 offset:1056
	ds_load_b32 v23, v105 offset:1056
	ds_load_b32 v24, v109 offset:1056
	ds_load_b32 v25, v113 offset:1056
	ds_load_b32 v95, v117 offset:1056
	ds_load_b32 v96, v121 offset:1056
	ds_load_b32 v97, v124 offset:1056
	ds_load_b32 v26, v45 offset:1056
	v_mov_b32_e32 v22, 0x800
	s_and_saveexec_b32 s15, s7
; %bb.101:                              ;   in Loop: Header=BB296_64 Depth=2
	ds_load_b32 v22, v45 offset:1092
; %bb.102:                              ;   in Loop: Header=BB296_64 Depth=2
	s_wait_alu 0xfffe
	s_or_b32 exec_lo, exec_lo, s15
	s_wait_loadcnt_dscnt 0x0
	s_barrier_signal -1
	s_barrier_wait -1
	global_inv scope:SCOPE_SE
	s_and_saveexec_b32 s15, s2
	s_cbranch_execz .LBB296_104
; %bb.103:                              ;   in Loop: Header=BB296_64 Depth=2
	ds_load_b32 v27, v28
	s_wait_dscnt 0x0
	v_sub_nc_u32_e32 v26, v27, v26
	ds_store_b32 v28, v26
.LBB296_104:                            ;   in Loop: Header=BB296_64 Depth=2
	s_wait_alu 0xfffe
	s_or_b32 exec_lo, exec_lo, s15
	v_add_nc_u32_e32 v94, v20, v91
	v_add3_u32 v93, v99, v98, v21
	v_add3_u32 v91, v103, v102, v23
	;; [unrolled: 1-line block ×7, first 2 shown]
	v_cmp_lt_u32_e64 s20, v1, v2
	ds_store_b8 v94, v90 offset:1024
	ds_store_b8 v93, v92 offset:1024
	;; [unrolled: 1-line block ×8, first 2 shown]
	s_wait_loadcnt_dscnt 0x0
	s_barrier_signal -1
	s_barrier_wait -1
	global_inv scope:SCOPE_SE
	s_and_saveexec_b32 s15, s20
	s_cbranch_execnz .LBB296_141
; %bb.105:                              ;   in Loop: Header=BB296_64 Depth=2
	s_wait_alu 0xfffe
	s_or_b32 exec_lo, exec_lo, s15
	v_cmp_lt_u32_e64 s21, v29, v2
	s_and_saveexec_b32 s15, s21
	s_cbranch_execnz .LBB296_142
.LBB296_106:                            ;   in Loop: Header=BB296_64 Depth=2
	s_wait_alu 0xfffe
	s_or_b32 exec_lo, exec_lo, s15
	v_cmp_lt_u32_e64 s19, v30, v2
	s_and_saveexec_b32 s15, s19
	s_cbranch_execnz .LBB296_143
.LBB296_107:                            ;   in Loop: Header=BB296_64 Depth=2
	s_wait_alu 0xfffe
	s_or_b32 exec_lo, exec_lo, s15
	v_cmp_lt_u32_e64 s18, v31, v2
	s_and_saveexec_b32 s15, s18
	s_cbranch_execnz .LBB296_144
.LBB296_108:                            ;   in Loop: Header=BB296_64 Depth=2
	s_wait_alu 0xfffe
	s_or_b32 exec_lo, exec_lo, s15
	v_cmp_lt_u32_e64 s17, v34, v2
	s_and_saveexec_b32 s15, s17
	s_cbranch_execnz .LBB296_145
.LBB296_109:                            ;   in Loop: Header=BB296_64 Depth=2
	s_wait_alu 0xfffe
	s_or_b32 exec_lo, exec_lo, s15
	v_cmp_lt_u32_e64 s16, v35, v2
	s_and_saveexec_b32 s15, s16
	s_cbranch_execnz .LBB296_146
.LBB296_110:                            ;   in Loop: Header=BB296_64 Depth=2
	s_wait_alu 0xfffe
	s_or_b32 exec_lo, exec_lo, s15
	v_cmp_lt_u32_e64 s15, v36, v2
	s_and_saveexec_b32 s44, s15
	s_cbranch_execnz .LBB296_147
.LBB296_111:                            ;   in Loop: Header=BB296_64 Depth=2
	s_wait_alu 0xfffe
	s_or_b32 exec_lo, exec_lo, s44
	v_cmp_lt_u32_e32 vcc_lo, v37, v2
	s_and_saveexec_b32 s44, vcc_lo
	s_cbranch_execz .LBB296_113
.LBB296_112:                            ;   in Loop: Header=BB296_64 Depth=2
	ds_load_u8 v20, v1 offset:2816
	s_wait_dscnt 0x0
	v_and_b32_e32 v21, 0xff, v20
	v_xor_b32_e32 v20, 0x7f, v20
	s_delay_alu instid0(VALU_DEP_2) | instskip(NEXT) | instid1(VALU_DEP_1)
	v_lshrrev_b32_e32 v21, s30, v21
	v_and_b32_e32 v21, s31, v21
	s_delay_alu instid0(VALU_DEP_1)
	v_lshlrev_b32_e32 v21, 2, v21
	ds_load_b32 v21, v21
	s_wait_dscnt 0x0
	v_add_nc_u32_e32 v21, v21, v37
	global_store_b8 v21, v20, s[38:39]
.LBB296_113:                            ;   in Loop: Header=BB296_64 Depth=2
	s_wait_alu 0xfffe
	s_or_b32 exec_lo, exec_lo, s44
	s_lshl_b64 s[48:49], s[22:23], 3
	s_wait_alu 0xfffe
	v_add_co_u32 v20, s22, v69, s48
	s_wait_alu 0xf1ff
	v_add_co_ci_u32_e64 v21, null, s49, v70, s22
	v_cmp_lt_u32_e64 s22, v68, v2
	s_and_saveexec_b32 s44, s22
	s_wait_alu 0xfffe
	s_xor_b32 s22, exec_lo, s44
	s_cbranch_execnz .LBB296_148
; %bb.114:                              ;   in Loop: Header=BB296_64 Depth=2
	s_wait_alu 0xfffe
	s_or_b32 exec_lo, exec_lo, s22
	s_delay_alu instid0(SALU_CYCLE_1)
	s_mov_b32 s44, exec_lo
	v_cmpx_lt_u32_e64 v71, v2
	s_cbranch_execnz .LBB296_149
.LBB296_115:                            ;   in Loop: Header=BB296_64 Depth=2
	s_wait_alu 0xfffe
	s_or_b32 exec_lo, exec_lo, s44
	s_delay_alu instid0(SALU_CYCLE_1)
	s_mov_b32 s44, exec_lo
	v_cmpx_lt_u32_e64 v72, v2
	s_cbranch_execnz .LBB296_150
.LBB296_116:                            ;   in Loop: Header=BB296_64 Depth=2
	s_wait_alu 0xfffe
	s_or_b32 exec_lo, exec_lo, s44
	s_delay_alu instid0(SALU_CYCLE_1)
	s_mov_b32 s44, exec_lo
	v_cmpx_lt_u32_e64 v73, v2
	s_cbranch_execnz .LBB296_151
.LBB296_117:                            ;   in Loop: Header=BB296_64 Depth=2
	s_wait_alu 0xfffe
	s_or_b32 exec_lo, exec_lo, s44
	s_delay_alu instid0(SALU_CYCLE_1)
	s_mov_b32 s44, exec_lo
	v_cmpx_lt_u32_e64 v74, v2
	s_cbranch_execnz .LBB296_152
.LBB296_118:                            ;   in Loop: Header=BB296_64 Depth=2
	s_wait_alu 0xfffe
	s_or_b32 exec_lo, exec_lo, s44
	s_delay_alu instid0(SALU_CYCLE_1)
	s_mov_b32 s44, exec_lo
	v_cmpx_lt_u32_e64 v75, v2
	s_cbranch_execnz .LBB296_153
.LBB296_119:                            ;   in Loop: Header=BB296_64 Depth=2
	s_wait_alu 0xfffe
	s_or_b32 exec_lo, exec_lo, s44
	s_delay_alu instid0(SALU_CYCLE_1)
	s_mov_b32 s44, exec_lo
	v_cmpx_lt_u32_e64 v76, v2
	s_cbranch_execnz .LBB296_154
.LBB296_120:                            ;   in Loop: Header=BB296_64 Depth=2
	s_wait_alu 0xfffe
	s_or_b32 exec_lo, exec_lo, s44
	s_delay_alu instid0(SALU_CYCLE_1)
	s_mov_b32 s44, exec_lo
	v_cmpx_lt_u32_e64 v77, v2
	s_cbranch_execnz .LBB296_155
.LBB296_121:                            ;   in Loop: Header=BB296_64 Depth=2
	s_wait_alu 0xfffe
	s_or_b32 exec_lo, exec_lo, s44
	s_and_saveexec_b32 s22, s20
	s_cbranch_execnz .LBB296_156
.LBB296_122:                            ;   in Loop: Header=BB296_64 Depth=2
	s_wait_alu 0xfffe
	s_or_b32 exec_lo, exec_lo, s22
	s_and_saveexec_b32 s22, s21
	s_cbranch_execnz .LBB296_157
.LBB296_123:                            ;   in Loop: Header=BB296_64 Depth=2
	s_wait_alu 0xfffe
	s_or_b32 exec_lo, exec_lo, s22
	s_and_saveexec_b32 s22, s19
	s_cbranch_execnz .LBB296_158
.LBB296_124:                            ;   in Loop: Header=BB296_64 Depth=2
	s_wait_alu 0xfffe
	s_or_b32 exec_lo, exec_lo, s22
	s_and_saveexec_b32 s22, s18
	s_cbranch_execnz .LBB296_159
.LBB296_125:                            ;   in Loop: Header=BB296_64 Depth=2
	s_wait_alu 0xfffe
	s_or_b32 exec_lo, exec_lo, s22
	s_and_saveexec_b32 s22, s17
	s_cbranch_execnz .LBB296_160
.LBB296_126:                            ;   in Loop: Header=BB296_64 Depth=2
	s_wait_alu 0xfffe
	s_or_b32 exec_lo, exec_lo, s22
	s_and_saveexec_b32 s22, s16
	s_cbranch_execnz .LBB296_161
.LBB296_127:                            ;   in Loop: Header=BB296_64 Depth=2
	s_wait_alu 0xfffe
	s_or_b32 exec_lo, exec_lo, s22
	s_and_saveexec_b32 s22, s15
	s_cbranch_execnz .LBB296_162
.LBB296_128:                            ;   in Loop: Header=BB296_64 Depth=2
	s_wait_alu 0xfffe
	s_or_b32 exec_lo, exec_lo, s22
	s_and_saveexec_b32 s22, vcc_lo
	s_cbranch_execz .LBB296_130
.LBB296_129:                            ;   in Loop: Header=BB296_64 Depth=2
	ds_load_u8 v2, v1 offset:2816
	s_wait_dscnt 0x0
	v_lshrrev_b32_e32 v2, s30, v2
	s_delay_alu instid0(VALU_DEP_1)
	v_and_b32_e32 v82, s31, v2
.LBB296_130:                            ;   in Loop: Header=BB296_64 Depth=2
	s_wait_alu 0xfffe
	s_or_b32 exec_lo, exec_lo, s22
	v_lshlrev_b32_e32 v2, 3, v94
	v_lshlrev_b32_e32 v20, 3, v93
	;; [unrolled: 1-line block ×3, first 2 shown]
	s_wait_loadcnt 0x0
	s_wait_storecnt 0x0
	s_barrier_signal -1
	s_barrier_wait -1
	global_inv scope:SCOPE_SE
	ds_store_b64 v2, v[18:19] offset:1024
	ds_store_b64 v20, v[16:17] offset:1024
	;; [unrolled: 1-line block ×3, first 2 shown]
	v_lshlrev_b32_e32 v2, 3, v27
	v_lshlrev_b32_e32 v20, 3, v26
	;; [unrolled: 1-line block ×5, first 2 shown]
	ds_store_b64 v2, v[12:13] offset:1024
	ds_store_b64 v20, v[10:11] offset:1024
	;; [unrolled: 1-line block ×5, first 2 shown]
	s_wait_loadcnt_dscnt 0x0
	s_barrier_signal -1
	s_barrier_wait -1
	global_inv scope:SCOPE_SE
	s_and_saveexec_b32 s22, s20
	s_cbranch_execnz .LBB296_163
; %bb.131:                              ;   in Loop: Header=BB296_64 Depth=2
	s_wait_alu 0xfffe
	s_or_b32 exec_lo, exec_lo, s22
	s_and_saveexec_b32 s22, s21
	s_cbranch_execnz .LBB296_164
.LBB296_132:                            ;   in Loop: Header=BB296_64 Depth=2
	s_wait_alu 0xfffe
	s_or_b32 exec_lo, exec_lo, s22
	s_and_saveexec_b32 s20, s19
	s_cbranch_execnz .LBB296_165
.LBB296_133:                            ;   in Loop: Header=BB296_64 Depth=2
	s_wait_alu 0xfffe
	s_or_b32 exec_lo, exec_lo, s20
	s_and_saveexec_b32 s19, s18
	s_cbranch_execnz .LBB296_166
.LBB296_134:                            ;   in Loop: Header=BB296_64 Depth=2
	s_wait_alu 0xfffe
	s_or_b32 exec_lo, exec_lo, s19
	s_and_saveexec_b32 s18, s17
	s_cbranch_execnz .LBB296_167
.LBB296_135:                            ;   in Loop: Header=BB296_64 Depth=2
	s_wait_alu 0xfffe
	s_or_b32 exec_lo, exec_lo, s18
	s_and_saveexec_b32 s17, s16
	s_cbranch_execnz .LBB296_168
.LBB296_136:                            ;   in Loop: Header=BB296_64 Depth=2
	s_wait_alu 0xfffe
	s_or_b32 exec_lo, exec_lo, s17
	s_and_saveexec_b32 s16, s15
	s_cbranch_execnz .LBB296_169
.LBB296_137:                            ;   in Loop: Header=BB296_64 Depth=2
	s_wait_alu 0xfffe
	s_or_b32 exec_lo, exec_lo, s16
	s_and_saveexec_b32 s15, vcc_lo
	s_cbranch_execz .LBB296_139
.LBB296_138:                            ;   in Loop: Header=BB296_64 Depth=2
	v_lshlrev_b32_e32 v2, 2, v82
	v_add_nc_u32_e32 v20, v1, v47
	ds_load_b32 v2, v2
	ds_load_b64 v[20:21], v20 offset:15360
	s_wait_dscnt 0x1
	v_add_nc_u32_e32 v2, v2, v37
	s_delay_alu instid0(VALU_DEP_1) | instskip(NEXT) | instid1(VALU_DEP_1)
	v_lshlrev_b64_e32 v[23:24], 3, v[2:3]
	v_add_co_u32 v23, vcc_lo, s24, v23
	s_wait_alu 0xfffd
	s_delay_alu instid0(VALU_DEP_2)
	v_add_co_ci_u32_e64 v24, null, s25, v24, vcc_lo
	s_wait_dscnt 0x0
	global_store_b64 v[23:24], v[20:21], off
.LBB296_139:                            ;   in Loop: Header=BB296_64 Depth=2
	s_wait_alu 0xfffe
	s_or_b32 exec_lo, exec_lo, s15
	s_wait_loadcnt 0x0
	s_wait_storecnt 0x0
	s_barrier_signal -1
	s_barrier_wait -1
	global_inv scope:SCOPE_SE
	s_and_saveexec_b32 s15, s2
	s_cbranch_execz .LBB296_63
; %bb.140:                              ;   in Loop: Header=BB296_64 Depth=2
	ds_load_b32 v2, v28
	s_wait_dscnt 0x0
	v_add_nc_u32_e32 v2, v2, v22
	ds_store_b32 v28, v2
	s_branch .LBB296_63
.LBB296_141:                            ;   in Loop: Header=BB296_64 Depth=2
	ds_load_u8 v20, v1 offset:1024
	s_wait_dscnt 0x0
	v_and_b32_e32 v21, 0xff, v20
	v_xor_b32_e32 v20, 0x7f, v20
	s_delay_alu instid0(VALU_DEP_2) | instskip(NEXT) | instid1(VALU_DEP_1)
	v_lshrrev_b32_e32 v21, s30, v21
	v_and_b32_e32 v21, s31, v21
	s_delay_alu instid0(VALU_DEP_1)
	v_lshlrev_b32_e32 v21, 2, v21
	ds_load_b32 v21, v21
	s_wait_dscnt 0x0
	v_add_nc_u32_e32 v21, v21, v1
	global_store_b8 v21, v20, s[38:39]
	s_wait_alu 0xfffe
	s_or_b32 exec_lo, exec_lo, s15
	v_cmp_lt_u32_e64 s21, v29, v2
	s_and_saveexec_b32 s15, s21
	s_cbranch_execz .LBB296_106
.LBB296_142:                            ;   in Loop: Header=BB296_64 Depth=2
	ds_load_u8 v20, v1 offset:1280
	s_wait_dscnt 0x0
	v_and_b32_e32 v21, 0xff, v20
	v_xor_b32_e32 v20, 0x7f, v20
	s_delay_alu instid0(VALU_DEP_2) | instskip(NEXT) | instid1(VALU_DEP_1)
	v_lshrrev_b32_e32 v21, s30, v21
	v_and_b32_e32 v21, s31, v21
	s_delay_alu instid0(VALU_DEP_1)
	v_lshlrev_b32_e32 v21, 2, v21
	ds_load_b32 v21, v21
	s_wait_dscnt 0x0
	v_add_nc_u32_e32 v21, v21, v29
	global_store_b8 v21, v20, s[38:39]
	s_wait_alu 0xfffe
	s_or_b32 exec_lo, exec_lo, s15
	v_cmp_lt_u32_e64 s19, v30, v2
	s_and_saveexec_b32 s15, s19
	s_cbranch_execz .LBB296_107
.LBB296_143:                            ;   in Loop: Header=BB296_64 Depth=2
	ds_load_u8 v20, v1 offset:1536
	s_wait_dscnt 0x0
	v_and_b32_e32 v21, 0xff, v20
	v_xor_b32_e32 v20, 0x7f, v20
	s_delay_alu instid0(VALU_DEP_2) | instskip(NEXT) | instid1(VALU_DEP_1)
	v_lshrrev_b32_e32 v21, s30, v21
	v_and_b32_e32 v21, s31, v21
	s_delay_alu instid0(VALU_DEP_1)
	v_lshlrev_b32_e32 v21, 2, v21
	ds_load_b32 v21, v21
	s_wait_dscnt 0x0
	v_add_nc_u32_e32 v21, v21, v30
	global_store_b8 v21, v20, s[38:39]
	s_wait_alu 0xfffe
	s_or_b32 exec_lo, exec_lo, s15
	v_cmp_lt_u32_e64 s18, v31, v2
	s_and_saveexec_b32 s15, s18
	s_cbranch_execz .LBB296_108
.LBB296_144:                            ;   in Loop: Header=BB296_64 Depth=2
	ds_load_u8 v20, v1 offset:1792
	s_wait_dscnt 0x0
	v_and_b32_e32 v21, 0xff, v20
	v_xor_b32_e32 v20, 0x7f, v20
	s_delay_alu instid0(VALU_DEP_2) | instskip(NEXT) | instid1(VALU_DEP_1)
	v_lshrrev_b32_e32 v21, s30, v21
	v_and_b32_e32 v21, s31, v21
	s_delay_alu instid0(VALU_DEP_1)
	v_lshlrev_b32_e32 v21, 2, v21
	ds_load_b32 v21, v21
	s_wait_dscnt 0x0
	v_add_nc_u32_e32 v21, v21, v31
	global_store_b8 v21, v20, s[38:39]
	s_wait_alu 0xfffe
	s_or_b32 exec_lo, exec_lo, s15
	v_cmp_lt_u32_e64 s17, v34, v2
	s_and_saveexec_b32 s15, s17
	s_cbranch_execz .LBB296_109
.LBB296_145:                            ;   in Loop: Header=BB296_64 Depth=2
	ds_load_u8 v20, v1 offset:2048
	s_wait_dscnt 0x0
	v_and_b32_e32 v21, 0xff, v20
	v_xor_b32_e32 v20, 0x7f, v20
	s_delay_alu instid0(VALU_DEP_2) | instskip(NEXT) | instid1(VALU_DEP_1)
	v_lshrrev_b32_e32 v21, s30, v21
	v_and_b32_e32 v21, s31, v21
	s_delay_alu instid0(VALU_DEP_1)
	v_lshlrev_b32_e32 v21, 2, v21
	ds_load_b32 v21, v21
	s_wait_dscnt 0x0
	v_add_nc_u32_e32 v21, v21, v34
	global_store_b8 v21, v20, s[38:39]
	s_wait_alu 0xfffe
	s_or_b32 exec_lo, exec_lo, s15
	v_cmp_lt_u32_e64 s16, v35, v2
	s_and_saveexec_b32 s15, s16
	s_cbranch_execz .LBB296_110
.LBB296_146:                            ;   in Loop: Header=BB296_64 Depth=2
	ds_load_u8 v20, v1 offset:2304
	s_wait_dscnt 0x0
	v_and_b32_e32 v21, 0xff, v20
	v_xor_b32_e32 v20, 0x7f, v20
	s_delay_alu instid0(VALU_DEP_2) | instskip(NEXT) | instid1(VALU_DEP_1)
	v_lshrrev_b32_e32 v21, s30, v21
	v_and_b32_e32 v21, s31, v21
	s_delay_alu instid0(VALU_DEP_1)
	v_lshlrev_b32_e32 v21, 2, v21
	ds_load_b32 v21, v21
	s_wait_dscnt 0x0
	v_add_nc_u32_e32 v21, v21, v35
	global_store_b8 v21, v20, s[38:39]
	s_wait_alu 0xfffe
	s_or_b32 exec_lo, exec_lo, s15
	v_cmp_lt_u32_e64 s15, v36, v2
	s_and_saveexec_b32 s44, s15
	s_cbranch_execz .LBB296_111
.LBB296_147:                            ;   in Loop: Header=BB296_64 Depth=2
	ds_load_u8 v20, v1 offset:2560
	s_wait_dscnt 0x0
	v_and_b32_e32 v21, 0xff, v20
	v_xor_b32_e32 v20, 0x7f, v20
	s_delay_alu instid0(VALU_DEP_2) | instskip(NEXT) | instid1(VALU_DEP_1)
	v_lshrrev_b32_e32 v21, s30, v21
	v_and_b32_e32 v21, s31, v21
	s_delay_alu instid0(VALU_DEP_1)
	v_lshlrev_b32_e32 v21, 2, v21
	ds_load_b32 v21, v21
	s_wait_dscnt 0x0
	v_add_nc_u32_e32 v21, v21, v36
	global_store_b8 v21, v20, s[38:39]
	s_wait_alu 0xfffe
	s_or_b32 exec_lo, exec_lo, s44
	v_cmp_lt_u32_e32 vcc_lo, v37, v2
	s_and_saveexec_b32 s44, vcc_lo
	s_cbranch_execnz .LBB296_112
	s_branch .LBB296_113
.LBB296_148:                            ;   in Loop: Header=BB296_64 Depth=2
	global_load_b64 v[18:19], v[20:21], off
	s_wait_alu 0xfffe
	s_or_b32 exec_lo, exec_lo, s22
	s_delay_alu instid0(SALU_CYCLE_1)
	s_mov_b32 s44, exec_lo
	v_cmpx_lt_u32_e64 v71, v2
	s_cbranch_execz .LBB296_115
.LBB296_149:                            ;   in Loop: Header=BB296_64 Depth=2
	global_load_b64 v[16:17], v[20:21], off offset:256
	s_wait_alu 0xfffe
	s_or_b32 exec_lo, exec_lo, s44
	s_delay_alu instid0(SALU_CYCLE_1)
	s_mov_b32 s44, exec_lo
	v_cmpx_lt_u32_e64 v72, v2
	s_cbranch_execz .LBB296_116
.LBB296_150:                            ;   in Loop: Header=BB296_64 Depth=2
	global_load_b64 v[14:15], v[20:21], off offset:512
	s_wait_alu 0xfffe
	s_or_b32 exec_lo, exec_lo, s44
	s_delay_alu instid0(SALU_CYCLE_1)
	s_mov_b32 s44, exec_lo
	v_cmpx_lt_u32_e64 v73, v2
	s_cbranch_execz .LBB296_117
.LBB296_151:                            ;   in Loop: Header=BB296_64 Depth=2
	global_load_b64 v[12:13], v[20:21], off offset:768
	s_wait_alu 0xfffe
	s_or_b32 exec_lo, exec_lo, s44
	s_delay_alu instid0(SALU_CYCLE_1)
	s_mov_b32 s44, exec_lo
	v_cmpx_lt_u32_e64 v74, v2
	s_cbranch_execz .LBB296_118
.LBB296_152:                            ;   in Loop: Header=BB296_64 Depth=2
	global_load_b64 v[10:11], v[20:21], off offset:1024
	s_wait_alu 0xfffe
	s_or_b32 exec_lo, exec_lo, s44
	s_delay_alu instid0(SALU_CYCLE_1)
	s_mov_b32 s44, exec_lo
	v_cmpx_lt_u32_e64 v75, v2
	s_cbranch_execz .LBB296_119
.LBB296_153:                            ;   in Loop: Header=BB296_64 Depth=2
	global_load_b64 v[8:9], v[20:21], off offset:1280
	s_wait_alu 0xfffe
	s_or_b32 exec_lo, exec_lo, s44
	s_delay_alu instid0(SALU_CYCLE_1)
	s_mov_b32 s44, exec_lo
	v_cmpx_lt_u32_e64 v76, v2
	s_cbranch_execz .LBB296_120
.LBB296_154:                            ;   in Loop: Header=BB296_64 Depth=2
	global_load_b64 v[6:7], v[20:21], off offset:1536
	s_wait_alu 0xfffe
	s_or_b32 exec_lo, exec_lo, s44
	s_delay_alu instid0(SALU_CYCLE_1)
	s_mov_b32 s44, exec_lo
	v_cmpx_lt_u32_e64 v77, v2
	s_cbranch_execz .LBB296_121
.LBB296_155:                            ;   in Loop: Header=BB296_64 Depth=2
	global_load_b64 v[4:5], v[20:21], off offset:1792
	s_wait_alu 0xfffe
	s_or_b32 exec_lo, exec_lo, s44
	s_and_saveexec_b32 s22, s20
	s_cbranch_execz .LBB296_122
.LBB296_156:                            ;   in Loop: Header=BB296_64 Depth=2
	ds_load_u8 v2, v1 offset:1024
	s_wait_dscnt 0x0
	v_lshrrev_b32_e32 v2, s30, v2
	s_delay_alu instid0(VALU_DEP_1)
	v_and_b32_e32 v89, s31, v2
	s_wait_alu 0xfffe
	s_or_b32 exec_lo, exec_lo, s22
	s_and_saveexec_b32 s22, s21
	s_cbranch_execz .LBB296_123
.LBB296_157:                            ;   in Loop: Header=BB296_64 Depth=2
	ds_load_u8 v2, v1 offset:1280
	s_wait_dscnt 0x0
	v_lshrrev_b32_e32 v2, s30, v2
	s_delay_alu instid0(VALU_DEP_1)
	v_and_b32_e32 v88, s31, v2
	s_wait_alu 0xfffe
	s_or_b32 exec_lo, exec_lo, s22
	s_and_saveexec_b32 s22, s19
	s_cbranch_execz .LBB296_124
.LBB296_158:                            ;   in Loop: Header=BB296_64 Depth=2
	ds_load_u8 v2, v1 offset:1536
	s_wait_dscnt 0x0
	v_lshrrev_b32_e32 v2, s30, v2
	s_delay_alu instid0(VALU_DEP_1)
	v_and_b32_e32 v87, s31, v2
	s_wait_alu 0xfffe
	s_or_b32 exec_lo, exec_lo, s22
	s_and_saveexec_b32 s22, s18
	s_cbranch_execz .LBB296_125
.LBB296_159:                            ;   in Loop: Header=BB296_64 Depth=2
	ds_load_u8 v2, v1 offset:1792
	s_wait_dscnt 0x0
	v_lshrrev_b32_e32 v2, s30, v2
	s_delay_alu instid0(VALU_DEP_1)
	v_and_b32_e32 v86, s31, v2
	s_wait_alu 0xfffe
	s_or_b32 exec_lo, exec_lo, s22
	s_and_saveexec_b32 s22, s17
	s_cbranch_execz .LBB296_126
.LBB296_160:                            ;   in Loop: Header=BB296_64 Depth=2
	ds_load_u8 v2, v1 offset:2048
	s_wait_dscnt 0x0
	v_lshrrev_b32_e32 v2, s30, v2
	s_delay_alu instid0(VALU_DEP_1)
	v_and_b32_e32 v85, s31, v2
	s_wait_alu 0xfffe
	s_or_b32 exec_lo, exec_lo, s22
	s_and_saveexec_b32 s22, s16
	s_cbranch_execz .LBB296_127
.LBB296_161:                            ;   in Loop: Header=BB296_64 Depth=2
	ds_load_u8 v2, v1 offset:2304
	s_wait_dscnt 0x0
	v_lshrrev_b32_e32 v2, s30, v2
	s_delay_alu instid0(VALU_DEP_1)
	v_and_b32_e32 v84, s31, v2
	s_wait_alu 0xfffe
	s_or_b32 exec_lo, exec_lo, s22
	s_and_saveexec_b32 s22, s15
	s_cbranch_execz .LBB296_128
.LBB296_162:                            ;   in Loop: Header=BB296_64 Depth=2
	ds_load_u8 v2, v1 offset:2560
	s_wait_dscnt 0x0
	v_lshrrev_b32_e32 v2, s30, v2
	s_delay_alu instid0(VALU_DEP_1)
	v_and_b32_e32 v83, s31, v2
	s_wait_alu 0xfffe
	s_or_b32 exec_lo, exec_lo, s22
	s_and_saveexec_b32 s22, vcc_lo
	s_cbranch_execnz .LBB296_129
	s_branch .LBB296_130
.LBB296_163:                            ;   in Loop: Header=BB296_64 Depth=2
	v_lshlrev_b32_e32 v2, 2, v89
	v_add_nc_u32_e32 v20, v1, v47
	ds_load_b32 v2, v2
	ds_load_b64 v[20:21], v20 offset:1024
	s_wait_dscnt 0x1
	v_add_nc_u32_e32 v2, v2, v1
	s_delay_alu instid0(VALU_DEP_1) | instskip(NEXT) | instid1(VALU_DEP_1)
	v_lshlrev_b64_e32 v[23:24], 3, v[2:3]
	v_add_co_u32 v23, s20, s24, v23
	s_wait_alu 0xf1ff
	s_delay_alu instid0(VALU_DEP_2)
	v_add_co_ci_u32_e64 v24, null, s25, v24, s20
	s_wait_dscnt 0x0
	global_store_b64 v[23:24], v[20:21], off
	s_wait_alu 0xfffe
	s_or_b32 exec_lo, exec_lo, s22
	s_and_saveexec_b32 s22, s21
	s_cbranch_execz .LBB296_132
.LBB296_164:                            ;   in Loop: Header=BB296_64 Depth=2
	v_lshlrev_b32_e32 v2, 2, v88
	v_add_nc_u32_e32 v20, v1, v47
	ds_load_b32 v2, v2
	ds_load_b64 v[20:21], v20 offset:3072
	s_wait_dscnt 0x1
	v_add_nc_u32_e32 v2, v2, v29
	s_delay_alu instid0(VALU_DEP_1) | instskip(NEXT) | instid1(VALU_DEP_1)
	v_lshlrev_b64_e32 v[23:24], 3, v[2:3]
	v_add_co_u32 v23, s20, s24, v23
	s_wait_alu 0xf1ff
	s_delay_alu instid0(VALU_DEP_2)
	v_add_co_ci_u32_e64 v24, null, s25, v24, s20
	s_wait_dscnt 0x0
	global_store_b64 v[23:24], v[20:21], off
	s_wait_alu 0xfffe
	s_or_b32 exec_lo, exec_lo, s22
	s_and_saveexec_b32 s20, s19
	s_cbranch_execz .LBB296_133
.LBB296_165:                            ;   in Loop: Header=BB296_64 Depth=2
	v_lshlrev_b32_e32 v2, 2, v87
	v_add_nc_u32_e32 v20, v1, v47
	ds_load_b32 v2, v2
	ds_load_b64 v[20:21], v20 offset:5120
	s_wait_dscnt 0x1
	v_add_nc_u32_e32 v2, v2, v30
	s_delay_alu instid0(VALU_DEP_1) | instskip(NEXT) | instid1(VALU_DEP_1)
	v_lshlrev_b64_e32 v[23:24], 3, v[2:3]
	v_add_co_u32 v23, s19, s24, v23
	s_wait_alu 0xf1ff
	s_delay_alu instid0(VALU_DEP_2)
	v_add_co_ci_u32_e64 v24, null, s25, v24, s19
	s_wait_dscnt 0x0
	global_store_b64 v[23:24], v[20:21], off
	s_wait_alu 0xfffe
	s_or_b32 exec_lo, exec_lo, s20
	s_and_saveexec_b32 s19, s18
	s_cbranch_execz .LBB296_134
.LBB296_166:                            ;   in Loop: Header=BB296_64 Depth=2
	v_lshlrev_b32_e32 v2, 2, v86
	v_add_nc_u32_e32 v20, v1, v47
	ds_load_b32 v2, v2
	ds_load_b64 v[20:21], v20 offset:7168
	s_wait_dscnt 0x1
	v_add_nc_u32_e32 v2, v2, v31
	s_delay_alu instid0(VALU_DEP_1) | instskip(NEXT) | instid1(VALU_DEP_1)
	v_lshlrev_b64_e32 v[23:24], 3, v[2:3]
	v_add_co_u32 v23, s18, s24, v23
	s_wait_alu 0xf1ff
	s_delay_alu instid0(VALU_DEP_2)
	v_add_co_ci_u32_e64 v24, null, s25, v24, s18
	s_wait_dscnt 0x0
	global_store_b64 v[23:24], v[20:21], off
	s_wait_alu 0xfffe
	s_or_b32 exec_lo, exec_lo, s19
	s_and_saveexec_b32 s18, s17
	s_cbranch_execz .LBB296_135
.LBB296_167:                            ;   in Loop: Header=BB296_64 Depth=2
	v_lshlrev_b32_e32 v2, 2, v85
	v_add_nc_u32_e32 v20, v1, v47
	ds_load_b32 v2, v2
	ds_load_b64 v[20:21], v20 offset:9216
	s_wait_dscnt 0x1
	v_add_nc_u32_e32 v2, v2, v34
	s_delay_alu instid0(VALU_DEP_1) | instskip(NEXT) | instid1(VALU_DEP_1)
	v_lshlrev_b64_e32 v[23:24], 3, v[2:3]
	v_add_co_u32 v23, s17, s24, v23
	s_wait_alu 0xf1ff
	s_delay_alu instid0(VALU_DEP_2)
	v_add_co_ci_u32_e64 v24, null, s25, v24, s17
	s_wait_dscnt 0x0
	global_store_b64 v[23:24], v[20:21], off
	s_wait_alu 0xfffe
	s_or_b32 exec_lo, exec_lo, s18
	s_and_saveexec_b32 s17, s16
	s_cbranch_execz .LBB296_136
.LBB296_168:                            ;   in Loop: Header=BB296_64 Depth=2
	v_lshlrev_b32_e32 v2, 2, v84
	v_add_nc_u32_e32 v20, v1, v47
	ds_load_b32 v2, v2
	ds_load_b64 v[20:21], v20 offset:11264
	s_wait_dscnt 0x1
	v_add_nc_u32_e32 v2, v2, v35
	s_delay_alu instid0(VALU_DEP_1) | instskip(NEXT) | instid1(VALU_DEP_1)
	v_lshlrev_b64_e32 v[23:24], 3, v[2:3]
	v_add_co_u32 v23, s16, s24, v23
	s_wait_alu 0xf1ff
	s_delay_alu instid0(VALU_DEP_2)
	v_add_co_ci_u32_e64 v24, null, s25, v24, s16
	s_wait_dscnt 0x0
	global_store_b64 v[23:24], v[20:21], off
	s_wait_alu 0xfffe
	s_or_b32 exec_lo, exec_lo, s17
	s_and_saveexec_b32 s16, s15
	s_cbranch_execz .LBB296_137
.LBB296_169:                            ;   in Loop: Header=BB296_64 Depth=2
	v_lshlrev_b32_e32 v2, 2, v83
	v_add_nc_u32_e32 v20, v1, v47
	ds_load_b32 v2, v2
	ds_load_b64 v[20:21], v20 offset:13312
	s_wait_dscnt 0x1
	v_add_nc_u32_e32 v2, v2, v36
	s_delay_alu instid0(VALU_DEP_1) | instskip(NEXT) | instid1(VALU_DEP_1)
	v_lshlrev_b64_e32 v[23:24], 3, v[2:3]
	v_add_co_u32 v23, s15, s24, v23
	s_wait_alu 0xf1ff
	s_delay_alu instid0(VALU_DEP_2)
	v_add_co_ci_u32_e64 v24, null, s25, v24, s15
	s_wait_dscnt 0x0
	global_store_b64 v[23:24], v[20:21], off
	s_wait_alu 0xfffe
	s_or_b32 exec_lo, exec_lo, s16
	s_and_saveexec_b32 s15, vcc_lo
	s_cbranch_execnz .LBB296_138
	s_branch .LBB296_139
.LBB296_170:                            ;   in Loop: Header=BB296_64 Depth=2
	global_load_u8 v90, v[20:21], off
	v_dual_mov_b32 v22, 0x80 :: v_dual_mov_b32 v27, 0x80
	v_dual_mov_b32 v92, 0x80 :: v_dual_mov_b32 v25, 0x80
	;; [unrolled: 1-line block ×3, first 2 shown]
	v_mov_b32_e32 v24, 0x80
	s_wait_alu 0xfffe
	s_or_b32 exec_lo, exec_lo, s15
	s_delay_alu instid0(SALU_CYCLE_1)
	s_mov_b32 s15, exec_lo
	v_cmpx_gt_u32_e64 s42, v71
	s_cbranch_execz .LBB296_69
.LBB296_171:                            ;   in Loop: Header=BB296_64 Depth=2
	global_load_u8 v92, v[20:21], off offset:32
	s_wait_alu 0xfffe
	s_or_b32 exec_lo, exec_lo, s15
	s_delay_alu instid0(SALU_CYCLE_1)
	s_mov_b32 s15, exec_lo
	v_cmpx_gt_u32_e64 s42, v72
	s_cbranch_execz .LBB296_70
.LBB296_172:                            ;   in Loop: Header=BB296_64 Depth=2
	global_load_u8 v27, v[20:21], off offset:64
	s_wait_alu 0xfffe
	s_or_b32 exec_lo, exec_lo, s15
	s_delay_alu instid0(SALU_CYCLE_1)
	s_mov_b32 s15, exec_lo
	v_cmpx_gt_u32_e64 s42, v73
	s_cbranch_execz .LBB296_71
.LBB296_173:                            ;   in Loop: Header=BB296_64 Depth=2
	global_load_u8 v26, v[20:21], off offset:96
	s_wait_alu 0xfffe
	s_or_b32 exec_lo, exec_lo, s15
	s_delay_alu instid0(SALU_CYCLE_1)
	s_mov_b32 s15, exec_lo
	v_cmpx_gt_u32_e64 s42, v74
	s_cbranch_execz .LBB296_72
.LBB296_174:                            ;   in Loop: Header=BB296_64 Depth=2
	global_load_u8 v25, v[20:21], off offset:128
	s_wait_alu 0xfffe
	s_or_b32 exec_lo, exec_lo, s15
	s_delay_alu instid0(SALU_CYCLE_1)
	s_mov_b32 s15, exec_lo
	v_cmpx_gt_u32_e64 s42, v75
	s_cbranch_execz .LBB296_73
.LBB296_175:                            ;   in Loop: Header=BB296_64 Depth=2
	global_load_u8 v24, v[20:21], off offset:160
	s_wait_alu 0xfffe
	s_or_b32 exec_lo, exec_lo, s15
	s_delay_alu instid0(SALU_CYCLE_1)
	s_mov_b32 s15, exec_lo
	v_cmpx_gt_u32_e64 s42, v76
	s_cbranch_execnz .LBB296_74
	s_branch .LBB296_75
.LBB296_176:                            ;   in Loop: Header=BB296_12 Depth=1
	s_wait_loadcnt_dscnt 0x0
	s_barrier_signal -1
	s_mov_b32 s0, 0
	s_barrier_wait -1
.LBB296_177:                            ;   in Loop: Header=BB296_12 Depth=1
	s_wait_alu 0xfffe
	s_and_b32 vcc_lo, exec_lo, s0
	s_wait_alu 0xfffe
	s_cbranch_vccz .LBB296_341
; %bb.178:                              ;   in Loop: Header=BB296_12 Depth=1
	v_dual_mov_b32 v7, 0 :: v_dual_mov_b32 v10, 0
	v_dual_mov_b32 v9, 0 :: v_dual_mov_b32 v8, 0
	;; [unrolled: 1-line block ×3, first 2 shown]
	v_mov_b32_e32 v4, 0
	v_mov_b32_e32 v2, 0
	s_mov_b32 s9, s47
	s_mov_b32 s22, s33
	s_barrier_signal -1
	s_barrier_wait -1
	global_inv scope:SCOPE_SE
	s_branch .LBB296_180
.LBB296_179:                            ;   in Loop: Header=BB296_180 Depth=2
	s_wait_alu 0xfffe
	s_or_b32 exec_lo, exec_lo, s0
	s_addk_co_i32 s9, 0xf800
	s_cmp_ge_u32 s10, s34
	s_mov_b32 s22, s10
	s_cbranch_scc1 .LBB296_216
.LBB296_180:                            ;   Parent Loop BB296_12 Depth=1
                                        ; =>  This Inner Loop Header: Depth=2
	s_wait_alu 0xfffe
	s_add_co_i32 s10, s22, 0x800
	s_mov_b32 s0, -1
	s_wait_alu 0xfffe
	s_cmp_gt_u32 s10, s34
                                        ; implicit-def: $vgpr11
                                        ; implicit-def: $vgpr12
                                        ; implicit-def: $vgpr13
                                        ; implicit-def: $vgpr14
                                        ; implicit-def: $vgpr15
                                        ; implicit-def: $vgpr16
                                        ; implicit-def: $vgpr17
                                        ; implicit-def: $vgpr18
	s_cbranch_scc1 .LBB296_182
; %bb.181:                              ;   in Loop: Header=BB296_180 Depth=2
	v_add_co_u32 v19, vcc_lo, v48, s22
	s_wait_alu 0xfffd
	v_add_co_ci_u32_e64 v20, null, 0, v49, vcc_lo
	s_mov_b32 s0, 0
	s_clause 0x7
	global_load_u8 v18, v[19:20], off offset:1792
	global_load_u8 v17, v[19:20], off offset:1536
	;; [unrolled: 1-line block ×7, first 2 shown]
	global_load_u8 v11, v[19:20], off
.LBB296_182:                            ;   in Loop: Header=BB296_180 Depth=2
	s_wait_alu 0xfffe
	s_and_not1_b32 vcc_lo, exec_lo, s0
	s_movk_i32 s0, 0x800
	s_wait_alu 0xfffe
	s_cbranch_vccnz .LBB296_193
; %bb.183:                              ;   in Loop: Header=BB296_180 Depth=2
	s_add_nc_u64 s[0:1], s[38:39], s[22:23]
	s_mov_b32 s11, exec_lo
	v_cmpx_gt_u32_e64 s9, v1
	s_cbranch_execnz .LBB296_209
; %bb.184:                              ;   in Loop: Header=BB296_180 Depth=2
	s_wait_alu 0xfffe
	s_or_b32 exec_lo, exec_lo, s11
	s_delay_alu instid0(SALU_CYCLE_1)
	s_mov_b32 s11, exec_lo
	v_cmpx_gt_u32_e64 s9, v29
	s_cbranch_execnz .LBB296_210
.LBB296_185:                            ;   in Loop: Header=BB296_180 Depth=2
	s_wait_alu 0xfffe
	s_or_b32 exec_lo, exec_lo, s11
	s_delay_alu instid0(SALU_CYCLE_1)
	s_mov_b32 s11, exec_lo
	v_cmpx_gt_u32_e64 s9, v30
	s_cbranch_execnz .LBB296_211
.LBB296_186:                            ;   in Loop: Header=BB296_180 Depth=2
	s_wait_alu 0xfffe
	s_or_b32 exec_lo, exec_lo, s11
	s_delay_alu instid0(SALU_CYCLE_1)
	s_mov_b32 s11, exec_lo
	v_cmpx_gt_u32_e64 s9, v31
	s_cbranch_execnz .LBB296_212
.LBB296_187:                            ;   in Loop: Header=BB296_180 Depth=2
	s_wait_alu 0xfffe
	s_or_b32 exec_lo, exec_lo, s11
	s_delay_alu instid0(SALU_CYCLE_1)
	s_mov_b32 s11, exec_lo
	v_cmpx_gt_u32_e64 s9, v34
	s_cbranch_execnz .LBB296_213
.LBB296_188:                            ;   in Loop: Header=BB296_180 Depth=2
	s_wait_alu 0xfffe
	s_or_b32 exec_lo, exec_lo, s11
	s_delay_alu instid0(SALU_CYCLE_1)
	s_mov_b32 s11, exec_lo
	v_cmpx_gt_u32_e64 s9, v35
	s_cbranch_execnz .LBB296_214
.LBB296_189:                            ;   in Loop: Header=BB296_180 Depth=2
	s_wait_alu 0xfffe
	s_or_b32 exec_lo, exec_lo, s11
	s_delay_alu instid0(SALU_CYCLE_1)
	s_mov_b32 s11, exec_lo
	v_cmpx_gt_u32_e64 s9, v36
	s_cbranch_execnz .LBB296_215
.LBB296_190:                            ;   in Loop: Header=BB296_180 Depth=2
	s_wait_alu 0xfffe
	s_or_b32 exec_lo, exec_lo, s11
	s_delay_alu instid0(SALU_CYCLE_1)
	s_mov_b32 s11, exec_lo
	v_cmpx_gt_u32_e64 s9, v37
	s_cbranch_execz .LBB296_192
.LBB296_191:                            ;   in Loop: Header=BB296_180 Depth=2
	s_wait_loadcnt 0x0
	v_add_co_u32 v11, s0, s0, v1
	s_wait_alu 0xf1ff
	v_add_co_ci_u32_e64 v12, null, s1, 0, s0
	global_load_u8 v2, v[11:12], off offset:1792
.LBB296_192:                            ;   in Loop: Header=BB296_180 Depth=2
	s_wait_alu 0xfffe
	s_or_b32 exec_lo, exec_lo, s11
	s_wait_loadcnt 0x0
	v_dual_mov_b32 v11, v7 :: v_dual_mov_b32 v12, v10
	v_dual_mov_b32 v13, v9 :: v_dual_mov_b32 v14, v8
	;; [unrolled: 1-line block ×4, first 2 shown]
	s_mov_b32 s0, s9
.LBB296_193:                            ;   in Loop: Header=BB296_180 Depth=2
	s_wait_loadcnt 0x5
	s_delay_alu instid0(VALU_DEP_1)
	v_dual_mov_b32 v2, v18 :: v_dual_mov_b32 v5, v16
	s_wait_loadcnt 0x2
	v_dual_mov_b32 v4, v17 :: v_dual_mov_b32 v9, v13
	s_wait_loadcnt 0x0
	v_dual_mov_b32 v6, v15 :: v_dual_mov_b32 v7, v11
	v_mov_b32_e32 v8, v14
	v_mov_b32_e32 v10, v12
	s_mov_b32 s1, exec_lo
	s_wait_alu 0xfffe
	v_cmpx_gt_u32_e64 s0, v1
	s_cbranch_execnz .LBB296_201
; %bb.194:                              ;   in Loop: Header=BB296_180 Depth=2
	s_or_b32 exec_lo, exec_lo, s1
	s_delay_alu instid0(SALU_CYCLE_1)
	s_mov_b32 s1, exec_lo
	v_cmpx_gt_u32_e64 s0, v29
	s_cbranch_execnz .LBB296_202
.LBB296_195:                            ;   in Loop: Header=BB296_180 Depth=2
	s_wait_alu 0xfffe
	s_or_b32 exec_lo, exec_lo, s1
	s_delay_alu instid0(SALU_CYCLE_1)
	s_mov_b32 s1, exec_lo
	v_cmpx_gt_u32_e64 s0, v30
	s_cbranch_execnz .LBB296_203
.LBB296_196:                            ;   in Loop: Header=BB296_180 Depth=2
	s_wait_alu 0xfffe
	s_or_b32 exec_lo, exec_lo, s1
	s_delay_alu instid0(SALU_CYCLE_1)
	s_mov_b32 s1, exec_lo
	v_cmpx_gt_u32_e64 s0, v31
	s_cbranch_execnz .LBB296_204
.LBB296_197:                            ;   in Loop: Header=BB296_180 Depth=2
	s_wait_alu 0xfffe
	s_or_b32 exec_lo, exec_lo, s1
	s_delay_alu instid0(SALU_CYCLE_1)
	s_mov_b32 s1, exec_lo
	v_cmpx_gt_u32_e64 s0, v34
	s_cbranch_execnz .LBB296_205
.LBB296_198:                            ;   in Loop: Header=BB296_180 Depth=2
	s_wait_alu 0xfffe
	s_or_b32 exec_lo, exec_lo, s1
	s_delay_alu instid0(SALU_CYCLE_1)
	s_mov_b32 s1, exec_lo
	v_cmpx_gt_u32_e64 s0, v35
	s_cbranch_execnz .LBB296_206
.LBB296_199:                            ;   in Loop: Header=BB296_180 Depth=2
	s_wait_alu 0xfffe
	s_or_b32 exec_lo, exec_lo, s1
	s_delay_alu instid0(SALU_CYCLE_1)
	s_mov_b32 s1, exec_lo
	v_cmpx_gt_u32_e64 s0, v36
	s_cbranch_execnz .LBB296_207
.LBB296_200:                            ;   in Loop: Header=BB296_180 Depth=2
	s_wait_alu 0xfffe
	s_or_b32 exec_lo, exec_lo, s1
	v_cmp_gt_u32_e32 vcc_lo, s0, v37
	s_and_saveexec_b32 s0, vcc_lo
	s_cbranch_execz .LBB296_179
	s_branch .LBB296_208
.LBB296_201:                            ;   in Loop: Header=BB296_180 Depth=2
	v_xor_b32_e32 v11, 0x7f, v7
	s_delay_alu instid0(VALU_DEP_1) | instskip(NEXT) | instid1(VALU_DEP_1)
	v_and_b32_e32 v11, 0xff, v11
	v_lshrrev_b32_e32 v11, s30, v11
	s_delay_alu instid0(VALU_DEP_1) | instskip(NEXT) | instid1(VALU_DEP_1)
	v_and_b32_e32 v11, s31, v11
	v_lshl_or_b32 v11, v11, 4, v39
	ds_add_u32 v11, v61
	s_or_b32 exec_lo, exec_lo, s1
	s_delay_alu instid0(SALU_CYCLE_1)
	s_mov_b32 s1, exec_lo
	v_cmpx_gt_u32_e64 s0, v29
	s_cbranch_execz .LBB296_195
.LBB296_202:                            ;   in Loop: Header=BB296_180 Depth=2
	v_xor_b32_e32 v11, 0x7f, v10
	s_delay_alu instid0(VALU_DEP_1) | instskip(NEXT) | instid1(VALU_DEP_1)
	v_and_b32_e32 v11, 0xff, v11
	v_lshrrev_b32_e32 v11, s30, v11
	s_delay_alu instid0(VALU_DEP_1) | instskip(NEXT) | instid1(VALU_DEP_1)
	v_and_b32_e32 v11, s31, v11
	v_lshl_or_b32 v11, v11, 4, v39
	ds_add_u32 v11, v61
	s_wait_alu 0xfffe
	s_or_b32 exec_lo, exec_lo, s1
	s_delay_alu instid0(SALU_CYCLE_1)
	s_mov_b32 s1, exec_lo
	v_cmpx_gt_u32_e64 s0, v30
	s_cbranch_execz .LBB296_196
.LBB296_203:                            ;   in Loop: Header=BB296_180 Depth=2
	v_xor_b32_e32 v11, 0x7f, v9
	s_delay_alu instid0(VALU_DEP_1) | instskip(NEXT) | instid1(VALU_DEP_1)
	v_and_b32_e32 v11, 0xff, v11
	v_lshrrev_b32_e32 v11, s30, v11
	s_delay_alu instid0(VALU_DEP_1) | instskip(NEXT) | instid1(VALU_DEP_1)
	v_and_b32_e32 v11, s31, v11
	v_lshl_or_b32 v11, v11, 4, v39
	ds_add_u32 v11, v61
	s_wait_alu 0xfffe
	s_or_b32 exec_lo, exec_lo, s1
	s_delay_alu instid0(SALU_CYCLE_1)
	s_mov_b32 s1, exec_lo
	v_cmpx_gt_u32_e64 s0, v31
	s_cbranch_execz .LBB296_197
.LBB296_204:                            ;   in Loop: Header=BB296_180 Depth=2
	v_xor_b32_e32 v11, 0x7f, v8
	s_delay_alu instid0(VALU_DEP_1) | instskip(NEXT) | instid1(VALU_DEP_1)
	v_and_b32_e32 v11, 0xff, v11
	v_lshrrev_b32_e32 v11, s30, v11
	s_delay_alu instid0(VALU_DEP_1) | instskip(NEXT) | instid1(VALU_DEP_1)
	v_and_b32_e32 v11, s31, v11
	v_lshl_or_b32 v11, v11, 4, v39
	ds_add_u32 v11, v61
	s_wait_alu 0xfffe
	s_or_b32 exec_lo, exec_lo, s1
	s_delay_alu instid0(SALU_CYCLE_1)
	s_mov_b32 s1, exec_lo
	v_cmpx_gt_u32_e64 s0, v34
	s_cbranch_execz .LBB296_198
.LBB296_205:                            ;   in Loop: Header=BB296_180 Depth=2
	v_xor_b32_e32 v11, 0x7f, v6
	s_delay_alu instid0(VALU_DEP_1) | instskip(NEXT) | instid1(VALU_DEP_1)
	v_and_b32_e32 v11, 0xff, v11
	v_lshrrev_b32_e32 v11, s30, v11
	s_delay_alu instid0(VALU_DEP_1) | instskip(NEXT) | instid1(VALU_DEP_1)
	v_and_b32_e32 v11, s31, v11
	v_lshl_or_b32 v11, v11, 4, v39
	ds_add_u32 v11, v61
	s_wait_alu 0xfffe
	s_or_b32 exec_lo, exec_lo, s1
	s_delay_alu instid0(SALU_CYCLE_1)
	s_mov_b32 s1, exec_lo
	v_cmpx_gt_u32_e64 s0, v35
	s_cbranch_execz .LBB296_199
.LBB296_206:                            ;   in Loop: Header=BB296_180 Depth=2
	v_xor_b32_e32 v11, 0x7f, v5
	s_delay_alu instid0(VALU_DEP_1) | instskip(NEXT) | instid1(VALU_DEP_1)
	v_and_b32_e32 v11, 0xff, v11
	v_lshrrev_b32_e32 v11, s30, v11
	s_delay_alu instid0(VALU_DEP_1) | instskip(NEXT) | instid1(VALU_DEP_1)
	v_and_b32_e32 v11, s31, v11
	v_lshl_or_b32 v11, v11, 4, v39
	ds_add_u32 v11, v61
	s_wait_alu 0xfffe
	s_or_b32 exec_lo, exec_lo, s1
	s_delay_alu instid0(SALU_CYCLE_1)
	s_mov_b32 s1, exec_lo
	v_cmpx_gt_u32_e64 s0, v36
	s_cbranch_execz .LBB296_200
.LBB296_207:                            ;   in Loop: Header=BB296_180 Depth=2
	v_xor_b32_e32 v11, 0x7f, v4
	s_delay_alu instid0(VALU_DEP_1) | instskip(NEXT) | instid1(VALU_DEP_1)
	v_and_b32_e32 v11, 0xff, v11
	v_lshrrev_b32_e32 v11, s30, v11
	s_delay_alu instid0(VALU_DEP_1) | instskip(NEXT) | instid1(VALU_DEP_1)
	v_and_b32_e32 v11, s31, v11
	v_lshl_or_b32 v11, v11, 4, v39
	ds_add_u32 v11, v61
	s_wait_alu 0xfffe
	s_or_b32 exec_lo, exec_lo, s1
	v_cmp_gt_u32_e32 vcc_lo, s0, v37
	s_and_saveexec_b32 s0, vcc_lo
	s_cbranch_execz .LBB296_179
.LBB296_208:                            ;   in Loop: Header=BB296_180 Depth=2
	v_xor_b32_e32 v11, 0x7f, v2
	s_delay_alu instid0(VALU_DEP_1) | instskip(NEXT) | instid1(VALU_DEP_1)
	v_and_b32_e32 v11, 0xff, v11
	v_lshrrev_b32_e32 v11, s30, v11
	s_delay_alu instid0(VALU_DEP_1) | instskip(NEXT) | instid1(VALU_DEP_1)
	v_and_b32_e32 v11, s31, v11
	v_lshl_or_b32 v11, v11, 4, v39
	ds_add_u32 v11, v61
	s_branch .LBB296_179
.LBB296_209:                            ;   in Loop: Header=BB296_180 Depth=2
	s_wait_loadcnt 0x0
	s_wait_alu 0xfffe
	v_add_co_u32 v11, s12, s0, v1
	s_wait_alu 0xf1ff
	v_add_co_ci_u32_e64 v12, null, s1, 0, s12
	global_load_u8 v7, v[11:12], off
	s_or_b32 exec_lo, exec_lo, s11
	s_delay_alu instid0(SALU_CYCLE_1)
	s_mov_b32 s11, exec_lo
	v_cmpx_gt_u32_e64 s9, v29
	s_cbranch_execz .LBB296_185
.LBB296_210:                            ;   in Loop: Header=BB296_180 Depth=2
	v_add_co_u32 v10, s12, s0, v1
	s_wait_loadcnt 0x0
	s_wait_alu 0xf1ff
	v_add_co_ci_u32_e64 v11, null, s1, 0, s12
	global_load_u8 v10, v[10:11], off offset:256
	s_wait_alu 0xfffe
	s_or_b32 exec_lo, exec_lo, s11
	s_delay_alu instid0(SALU_CYCLE_1)
	s_mov_b32 s11, exec_lo
	v_cmpx_gt_u32_e64 s9, v30
	s_cbranch_execz .LBB296_186
.LBB296_211:                            ;   in Loop: Header=BB296_180 Depth=2
	s_wait_loadcnt 0x0
	v_add_co_u32 v11, s12, s0, v1
	s_wait_alu 0xf1ff
	v_add_co_ci_u32_e64 v12, null, s1, 0, s12
	global_load_u8 v9, v[11:12], off offset:512
	s_wait_alu 0xfffe
	s_or_b32 exec_lo, exec_lo, s11
	s_delay_alu instid0(SALU_CYCLE_1)
	s_mov_b32 s11, exec_lo
	v_cmpx_gt_u32_e64 s9, v31
	s_cbranch_execz .LBB296_187
.LBB296_212:                            ;   in Loop: Header=BB296_180 Depth=2
	s_wait_loadcnt 0x0
	v_add_co_u32 v11, s12, s0, v1
	s_wait_alu 0xf1ff
	v_add_co_ci_u32_e64 v12, null, s1, 0, s12
	global_load_u8 v8, v[11:12], off offset:768
	s_wait_alu 0xfffe
	s_or_b32 exec_lo, exec_lo, s11
	s_delay_alu instid0(SALU_CYCLE_1)
	s_mov_b32 s11, exec_lo
	v_cmpx_gt_u32_e64 s9, v34
	s_cbranch_execz .LBB296_188
.LBB296_213:                            ;   in Loop: Header=BB296_180 Depth=2
	s_wait_loadcnt 0x0
	v_add_co_u32 v11, s12, s0, v1
	s_wait_alu 0xf1ff
	v_add_co_ci_u32_e64 v12, null, s1, 0, s12
	global_load_u8 v6, v[11:12], off offset:1024
	s_wait_alu 0xfffe
	s_or_b32 exec_lo, exec_lo, s11
	s_delay_alu instid0(SALU_CYCLE_1)
	s_mov_b32 s11, exec_lo
	v_cmpx_gt_u32_e64 s9, v35
	s_cbranch_execz .LBB296_189
.LBB296_214:                            ;   in Loop: Header=BB296_180 Depth=2
	s_wait_loadcnt 0x0
	v_add_co_u32 v11, s12, s0, v1
	s_wait_alu 0xf1ff
	v_add_co_ci_u32_e64 v12, null, s1, 0, s12
	global_load_u8 v5, v[11:12], off offset:1280
	s_wait_alu 0xfffe
	s_or_b32 exec_lo, exec_lo, s11
	s_delay_alu instid0(SALU_CYCLE_1)
	s_mov_b32 s11, exec_lo
	v_cmpx_gt_u32_e64 s9, v36
	s_cbranch_execz .LBB296_190
.LBB296_215:                            ;   in Loop: Header=BB296_180 Depth=2
	s_wait_loadcnt 0x0
	v_add_co_u32 v11, s12, s0, v1
	s_wait_alu 0xf1ff
	v_add_co_ci_u32_e64 v12, null, s1, 0, s12
	global_load_u8 v4, v[11:12], off offset:1536
	s_wait_alu 0xfffe
	s_or_b32 exec_lo, exec_lo, s11
	s_delay_alu instid0(SALU_CYCLE_1)
	s_mov_b32 s11, exec_lo
	v_cmpx_gt_u32_e64 s9, v37
	s_cbranch_execnz .LBB296_191
	s_branch .LBB296_192
.LBB296_216:                            ;   in Loop: Header=BB296_12 Depth=1
	v_mov_b32_e32 v2, 0
	s_wait_dscnt 0x0
	s_barrier_signal -1
	s_barrier_wait -1
	global_inv scope:SCOPE_SE
	s_and_saveexec_b32 s0, s2
	s_cbranch_execz .LBB296_218
; %bb.217:                              ;   in Loop: Header=BB296_12 Depth=1
	ds_load_2addr_b64 v[4:7], v40 offset1:1
	s_wait_dscnt 0x0
	v_add_nc_u32_e32 v2, v5, v4
	s_delay_alu instid0(VALU_DEP_1)
	v_add3_u32 v2, v2, v6, v7
.LBB296_218:                            ;   in Loop: Header=BB296_12 Depth=1
	s_wait_alu 0xfffe
	s_or_b32 exec_lo, exec_lo, s0
	s_delay_alu instid0(VALU_DEP_1)
	v_mov_b32_dpp v4, v2 row_shr:1 row_mask:0xf bank_mask:0xf
	v_cmp_eq_u32_e64 s0, 0, v62
	v_cmp_lt_u32_e64 s1, 1, v62
	v_cmp_lt_u32_e64 s9, 3, v62
	;; [unrolled: 1-line block ×3, first 2 shown]
	v_cmp_eq_u32_e64 s11, 0, v64
	s_wait_alu 0xf1ff
	v_cndmask_b32_e64 v4, v4, 0, s0
	s_delay_alu instid0(VALU_DEP_1) | instskip(NEXT) | instid1(VALU_DEP_1)
	v_add_nc_u32_e32 v2, v4, v2
	v_mov_b32_dpp v4, v2 row_shr:2 row_mask:0xf bank_mask:0xf
	s_delay_alu instid0(VALU_DEP_1) | instskip(NEXT) | instid1(VALU_DEP_1)
	v_cndmask_b32_e64 v4, 0, v4, s1
	v_add_nc_u32_e32 v2, v2, v4
	s_delay_alu instid0(VALU_DEP_1) | instskip(NEXT) | instid1(VALU_DEP_1)
	v_mov_b32_dpp v4, v2 row_shr:4 row_mask:0xf bank_mask:0xf
	v_cndmask_b32_e64 v4, 0, v4, s9
	s_delay_alu instid0(VALU_DEP_1) | instskip(NEXT) | instid1(VALU_DEP_1)
	v_add_nc_u32_e32 v2, v2, v4
	v_mov_b32_dpp v4, v2 row_shr:8 row_mask:0xf bank_mask:0xf
	s_delay_alu instid0(VALU_DEP_1) | instskip(NEXT) | instid1(VALU_DEP_1)
	v_cndmask_b32_e64 v4, 0, v4, s10
	v_add_nc_u32_e32 v2, v2, v4
	ds_swizzle_b32 v4, v2 offset:swizzle(BROADCAST,32,15)
	s_wait_dscnt 0x0
	v_and_b32_e32 v4, v63, v4
	s_delay_alu instid0(VALU_DEP_1)
	v_add_nc_u32_e32 v2, v2, v4
	s_and_saveexec_b32 s12, s3
; %bb.219:                              ;   in Loop: Header=BB296_12 Depth=1
	ds_store_b32 v41, v2
; %bb.220:                              ;   in Loop: Header=BB296_12 Depth=1
	s_wait_alu 0xfffe
	s_or_b32 exec_lo, exec_lo, s12
	s_wait_loadcnt_dscnt 0x0
	s_barrier_signal -1
	s_barrier_wait -1
	global_inv scope:SCOPE_SE
	s_and_saveexec_b32 s12, s4
	s_cbranch_execz .LBB296_222
; %bb.221:                              ;   in Loop: Header=BB296_12 Depth=1
	ds_load_b32 v4, v42
	v_cmp_ne_u32_e32 vcc_lo, 0, v65
	s_wait_dscnt 0x0
	v_mov_b32_dpp v5, v4 row_shr:1 row_mask:0xf bank_mask:0xf
	s_wait_alu 0xfffd
	s_delay_alu instid0(VALU_DEP_1) | instskip(SKIP_1) | instid1(VALU_DEP_2)
	v_cndmask_b32_e32 v5, 0, v5, vcc_lo
	v_cmp_lt_u32_e32 vcc_lo, 1, v65
	v_add_nc_u32_e32 v4, v5, v4
	s_delay_alu instid0(VALU_DEP_1) | instskip(SKIP_1) | instid1(VALU_DEP_1)
	v_mov_b32_dpp v5, v4 row_shr:2 row_mask:0xf bank_mask:0xf
	s_wait_alu 0xfffd
	v_cndmask_b32_e32 v5, 0, v5, vcc_lo
	v_cmp_lt_u32_e32 vcc_lo, 3, v65
	s_delay_alu instid0(VALU_DEP_2) | instskip(NEXT) | instid1(VALU_DEP_1)
	v_add_nc_u32_e32 v4, v4, v5
	v_mov_b32_dpp v5, v4 row_shr:4 row_mask:0xf bank_mask:0xf
	s_wait_alu 0xfffd
	s_delay_alu instid0(VALU_DEP_1) | instskip(NEXT) | instid1(VALU_DEP_1)
	v_cndmask_b32_e32 v5, 0, v5, vcc_lo
	v_add_nc_u32_e32 v4, v4, v5
	ds_store_b32 v42, v4
.LBB296_222:                            ;   in Loop: Header=BB296_12 Depth=1
	s_wait_alu 0xfffe
	s_or_b32 exec_lo, exec_lo, s12
	v_mov_b32_e32 v4, 0
	s_wait_loadcnt_dscnt 0x0
	s_barrier_signal -1
	s_barrier_wait -1
	global_inv scope:SCOPE_SE
	s_and_saveexec_b32 s12, s5
; %bb.223:                              ;   in Loop: Header=BB296_12 Depth=1
	ds_load_b32 v4, v43
; %bb.224:                              ;   in Loop: Header=BB296_12 Depth=1
	s_wait_alu 0xfffe
	s_or_b32 exec_lo, exec_lo, s12
	v_cmp_gt_i32_e32 vcc_lo, 0, v67
	s_wait_dscnt 0x0
	v_add_nc_u32_e32 v2, v4, v2
	s_wait_loadcnt 0x0
	s_barrier_signal -1
	s_barrier_wait -1
	s_wait_alu 0xfffd
	v_cndmask_b32_e32 v5, v67, v58, vcc_lo
	global_inv scope:SCOPE_SE
	v_lshlrev_b32_e32 v80, 2, v5
	ds_bpermute_b32 v2, v80, v2
	s_and_saveexec_b32 s12, s2
	s_cbranch_execz .LBB296_226
; %bb.225:                              ;   in Loop: Header=BB296_12 Depth=1
	s_wait_dscnt 0x0
	v_cndmask_b32_e64 v2, v2, v4, s8
	s_delay_alu instid0(VALU_DEP_1)
	v_add_nc_u32_e32 v2, s33, v2
	ds_store_b32 v28, v2
.LBB296_226:                            ;   in Loop: Header=BB296_12 Depth=1
	s_wait_alu 0xfffe
	s_or_b32 exec_lo, exec_lo, s12
	s_load_b64 s[12:13], s[28:29], 0x0
	v_add_co_u32 v81, vcc_lo, v50, v66
	s_wait_alu 0xfffd
	v_add_co_ci_u32_e64 v82, null, 0, v51, vcc_lo
	v_add_co_u32 v83, vcc_lo, v52, v58
	s_wait_alu 0xfffd
	v_add_co_ci_u32_e64 v84, null, 0, v53, vcc_lo
	s_mov_b32 s42, s47
                                        ; implicit-def: $vgpr6_vgpr7
                                        ; implicit-def: $vgpr8_vgpr9
                                        ; implicit-def: $vgpr10_vgpr11
                                        ; implicit-def: $vgpr12_vgpr13
                                        ; implicit-def: $vgpr14_vgpr15
                                        ; implicit-def: $vgpr16_vgpr17
                                        ; implicit-def: $vgpr18_vgpr19
                                        ; implicit-def: $vgpr86
                                        ; implicit-def: $vgpr87
                                        ; implicit-def: $vgpr88
                                        ; implicit-def: $vgpr89
                                        ; implicit-def: $vgpr90
                                        ; implicit-def: $vgpr91
                                        ; implicit-def: $vgpr92
                                        ; implicit-def: $vgpr93
	s_wait_kmcnt 0x0
	s_cmp_lt_u32 ttmp7, s13
	s_cselect_b32 s22, 14, 20
	s_cmp_lt_u32 ttmp9, s12
	s_wait_alu 0xfffe
	s_add_nc_u64 s[14:15], s[28:29], s[22:23]
	s_cselect_b32 s22, 12, 18
	s_load_u16 s14, s[14:15], 0x0
	s_add_nc_u64 s[12:13], s[28:29], s[22:23]
	s_mov_b32 s22, s33
	s_load_u16 s12, s[12:13], 0x0
	v_cmp_lt_u32_e64 s13, 1, v65
	s_wait_dscnt 0x0
	s_wait_kmcnt 0x0
	v_mad_u32_u24 v2, v44, s14, v0
	v_cmp_lt_u32_e64 s14, 3, v65
	s_delay_alu instid0(VALU_DEP_2) | instskip(SKIP_1) | instid1(VALU_DEP_2)
	v_mad_co_u64_u32 v[4:5], null, v2, s12, v[1:2]
	v_cmp_eq_u32_e64 s12, 0, v65
	v_lshrrev_b32_e32 v2, 3, v4
                                        ; implicit-def: $vgpr4_vgpr5
	s_delay_alu instid0(VALU_DEP_1)
	v_and_b32_e32 v85, 0x1ffffffc, v2
	s_branch .LBB296_228
.LBB296_227:                            ;   in Loop: Header=BB296_228 Depth=2
	s_wait_alu 0xfffe
	s_or_b32 exec_lo, exec_lo, s15
	s_addk_co_i32 s42, 0xf800
	s_cmp_lt_u32 s43, s34
	s_mov_b32 s22, s43
	s_cbranch_scc0 .LBB296_340
.LBB296_228:                            ;   Parent Loop BB296_12 Depth=1
                                        ; =>  This Inner Loop Header: Depth=2
	s_wait_alu 0xfffe
	s_add_co_i32 s43, s22, 0x800
	s_wait_alu 0xfffe
	s_cmp_gt_u32 s43, s34
	s_cbranch_scc1 .LBB296_230
; %bb.229:                              ;   in Loop: Header=BB296_228 Depth=2
	v_add_co_u32 v20, vcc_lo, v83, s22
	s_wait_alu 0xfffd
	v_add_co_ci_u32_e64 v21, null, 0, v84, vcc_lo
	s_mov_b32 s15, -1
	s_clause 0x6
	global_load_u8 v23, v[20:21], off offset:192
	global_load_u8 v24, v[20:21], off offset:160
	;; [unrolled: 1-line block ×6, first 2 shown]
	global_load_u8 v94, v[20:21], off
	s_movk_i32 s16, 0x800
                                        ; implicit-def: $vgpr22
	s_cbranch_execz .LBB296_231
	s_branch .LBB296_240
.LBB296_230:                            ;   in Loop: Header=BB296_228 Depth=2
	s_mov_b32 s15, 0
                                        ; implicit-def: $vgpr94
                                        ; implicit-def: $vgpr96
                                        ; implicit-def: $vgpr27
                                        ; implicit-def: $vgpr26
                                        ; implicit-def: $vgpr25
                                        ; implicit-def: $vgpr24
                                        ; implicit-def: $vgpr23
	s_movk_i32 s16, 0x800
                                        ; implicit-def: $vgpr22
.LBB296_231:                            ;   in Loop: Header=BB296_228 Depth=2
	v_add_co_u32 v20, vcc_lo, v83, s22
	s_wait_alu 0xfffd
	v_add_co_ci_u32_e64 v21, null, 0, v84, vcc_lo
	s_wait_loadcnt 0x2
	v_dual_mov_b32 v22, 0x80 :: v_dual_mov_b32 v27, 0x80
	s_wait_loadcnt 0x0
	v_dual_mov_b32 v94, 0x80 :: v_dual_mov_b32 v25, 0x80
	v_dual_mov_b32 v96, 0x80 :: v_dual_mov_b32 v23, 0x80
	v_mov_b32_e32 v26, 0x80
	v_mov_b32_e32 v24, 0x80
	s_mov_b32 s15, exec_lo
	v_cmpx_gt_u32_e64 s42, v68
	s_cbranch_execnz .LBB296_334
; %bb.232:                              ;   in Loop: Header=BB296_228 Depth=2
	s_wait_alu 0xfffe
	s_or_b32 exec_lo, exec_lo, s15
	s_delay_alu instid0(SALU_CYCLE_1)
	s_mov_b32 s15, exec_lo
	v_cmpx_gt_u32_e64 s42, v71
	s_cbranch_execnz .LBB296_335
.LBB296_233:                            ;   in Loop: Header=BB296_228 Depth=2
	s_wait_alu 0xfffe
	s_or_b32 exec_lo, exec_lo, s15
	s_delay_alu instid0(SALU_CYCLE_1)
	s_mov_b32 s15, exec_lo
	v_cmpx_gt_u32_e64 s42, v72
	s_cbranch_execnz .LBB296_336
.LBB296_234:                            ;   in Loop: Header=BB296_228 Depth=2
	s_wait_alu 0xfffe
	s_or_b32 exec_lo, exec_lo, s15
	s_delay_alu instid0(SALU_CYCLE_1)
	s_mov_b32 s15, exec_lo
	v_cmpx_gt_u32_e64 s42, v73
	s_cbranch_execnz .LBB296_337
.LBB296_235:                            ;   in Loop: Header=BB296_228 Depth=2
	s_wait_alu 0xfffe
	s_or_b32 exec_lo, exec_lo, s15
	s_delay_alu instid0(SALU_CYCLE_1)
	s_mov_b32 s15, exec_lo
	v_cmpx_gt_u32_e64 s42, v74
	s_cbranch_execnz .LBB296_338
.LBB296_236:                            ;   in Loop: Header=BB296_228 Depth=2
	s_wait_alu 0xfffe
	s_or_b32 exec_lo, exec_lo, s15
	s_delay_alu instid0(SALU_CYCLE_1)
	s_mov_b32 s15, exec_lo
	v_cmpx_gt_u32_e64 s42, v75
	s_cbranch_execnz .LBB296_339
.LBB296_237:                            ;   in Loop: Header=BB296_228 Depth=2
	s_wait_alu 0xfffe
	s_or_b32 exec_lo, exec_lo, s15
	s_delay_alu instid0(SALU_CYCLE_1)
	s_mov_b32 s15, exec_lo
	v_cmpx_gt_u32_e64 s42, v76
	s_cbranch_execz .LBB296_239
.LBB296_238:                            ;   in Loop: Header=BB296_228 Depth=2
	global_load_u8 v23, v[20:21], off offset:192
.LBB296_239:                            ;   in Loop: Header=BB296_228 Depth=2
	s_wait_alu 0xfffe
	s_or_b32 exec_lo, exec_lo, s15
	v_cmp_gt_u32_e64 s15, s42, v77
	s_sub_co_i32 s16, s34, s22
.LBB296_240:                            ;   in Loop: Header=BB296_228 Depth=2
	v_mov_b32_e32 v2, s42
	s_wait_alu 0xfffe
	s_and_saveexec_b32 s17, s15
	s_cbranch_execz .LBB296_242
; %bb.241:                              ;   in Loop: Header=BB296_228 Depth=2
	v_add_co_u32 v20, vcc_lo, v83, s22
	s_wait_alu 0xfffd
	v_add_co_ci_u32_e64 v21, null, s23, v84, vcc_lo
	v_mov_b32_e32 v2, s16
	global_load_u8 v22, v[20:21], off offset:224
.LBB296_242:                            ;   in Loop: Header=BB296_228 Depth=2
	s_wait_alu 0xfffe
	s_or_b32 exec_lo, exec_lo, s17
	s_wait_loadcnt 0x0
	v_xor_b32_e32 v94, 0x7f, v94
	s_delay_alu instid0(VALU_DEP_1) | instskip(NEXT) | instid1(VALU_DEP_1)
	v_and_b32_e32 v20, 0xff, v94
	v_lshrrev_b32_e32 v20, s30, v20
	s_delay_alu instid0(VALU_DEP_1) | instskip(NEXT) | instid1(VALU_DEP_1)
	v_and_b32_e32 v21, s31, v20
	v_and_b32_e32 v20, 1, v21
	v_lshlrev_b32_e32 v95, 30, v21
	v_lshlrev_b32_e32 v97, 29, v21
	;; [unrolled: 1-line block ×4, first 2 shown]
	v_add_co_u32 v20, s15, v20, -1
	s_wait_alu 0xf1ff
	v_cndmask_b32_e64 v99, 0, 1, s15
	v_not_b32_e32 v103, v95
	v_cmp_gt_i32_e64 s15, 0, v95
	v_not_b32_e32 v95, v97
	v_lshlrev_b32_e32 v101, 26, v21
	v_cmp_ne_u32_e32 vcc_lo, 0, v99
	v_ashrrev_i32_e32 v103, 31, v103
	v_lshlrev_b32_e32 v102, 25, v21
	v_ashrrev_i32_e32 v95, 31, v95
	v_lshlrev_b32_e32 v99, 24, v21
	s_wait_alu 0xfffd
	v_xor_b32_e32 v20, vcc_lo, v20
	v_cmp_gt_i32_e32 vcc_lo, 0, v97
	v_not_b32_e32 v97, v98
	s_wait_alu 0xf1ff
	v_xor_b32_e32 v103, s15, v103
	v_cmp_gt_i32_e64 s15, 0, v98
	v_and_b32_e32 v20, exec_lo, v20
	v_not_b32_e32 v98, v100
	v_ashrrev_i32_e32 v97, 31, v97
	s_wait_alu 0xfffd
	v_xor_b32_e32 v95, vcc_lo, v95
	v_cmp_gt_i32_e32 vcc_lo, 0, v100
	v_and_b32_e32 v20, v20, v103
	v_not_b32_e32 v100, v101
	v_ashrrev_i32_e32 v98, 31, v98
	s_wait_alu 0xf1ff
	v_xor_b32_e32 v97, s15, v97
	v_cmp_gt_i32_e64 s15, 0, v101
	v_and_b32_e32 v20, v20, v95
	v_not_b32_e32 v95, v102
	v_ashrrev_i32_e32 v100, 31, v100
	s_wait_alu 0xfffd
	v_xor_b32_e32 v98, vcc_lo, v98
	v_cmp_gt_i32_e32 vcc_lo, 0, v102
	v_and_b32_e32 v20, v20, v97
	v_not_b32_e32 v97, v99
	v_ashrrev_i32_e32 v95, 31, v95
	s_wait_alu 0xf1ff
	v_xor_b32_e32 v100, s15, v100
	v_cmp_gt_i32_e64 s15, 0, v99
	v_and_b32_e32 v20, v20, v98
	v_ashrrev_i32_e32 v97, 31, v97
	s_wait_alu 0xfffd
	v_xor_b32_e32 v95, vcc_lo, v95
	v_mul_u32_u24_e32 v21, 36, v21
	v_add_nc_u32_e32 v99, 0x428, v45
	v_and_b32_e32 v20, v20, v100
	s_wait_alu 0xf1ff
	v_xor_b32_e32 v98, s15, v97
	v_add_nc_u32_e32 v97, 0x438, v45
	v_add_nc_u32_e32 v100, 0x430, v45
	;; [unrolled: 1-line block ×3, first 2 shown]
	v_and_b32_e32 v20, v20, v95
	ds_store_2addr_b32 v97, v3, v3 offset1:1
	v_and_b32_e32 v20, v20, v98
	v_add_nc_u32_e32 v98, 0x420, v45
	ds_store_2addr_b32 v98, v3, v3 offset1:1
	ds_store_2addr_b32 v99, v3, v3 offset1:1
	;; [unrolled: 1-line block ×3, first 2 shown]
	ds_store_b32 v45, v3 offset:1088
	v_mbcnt_lo_u32_b32 v95, v20, 0
	v_cmp_ne_u32_e64 s15, 0, v20
	s_wait_dscnt 0x0
	s_barrier_signal -1
	s_barrier_wait -1
	v_cmp_eq_u32_e32 vcc_lo, 0, v95
	global_inv scope:SCOPE_SE
	; wave barrier
	s_and_b32 s16, s15, vcc_lo
	s_wait_alu 0xfffe
	s_and_saveexec_b32 s15, s16
; %bb.243:                              ;   in Loop: Header=BB296_228 Depth=2
	v_bcnt_u32_b32 v20, v20, 0
	ds_store_b32 v101, v20 offset:1056
; %bb.244:                              ;   in Loop: Header=BB296_228 Depth=2
	s_wait_alu 0xfffe
	s_or_b32 exec_lo, exec_lo, s15
	v_xor_b32_e32 v96, 0x7f, v96
	; wave barrier
	s_delay_alu instid0(VALU_DEP_1) | instskip(NEXT) | instid1(VALU_DEP_1)
	v_and_b32_e32 v20, 0xff, v96
	v_lshrrev_b32_e32 v20, s30, v20
	s_delay_alu instid0(VALU_DEP_1) | instskip(NEXT) | instid1(VALU_DEP_1)
	v_and_b32_e32 v21, s31, v20
	v_and_b32_e32 v20, 1, v21
	v_lshlrev_b32_e32 v102, 30, v21
	v_lshlrev_b32_e32 v103, 29, v21
	;; [unrolled: 1-line block ×4, first 2 shown]
	v_add_co_u32 v20, s15, v20, -1
	s_wait_alu 0xf1ff
	v_cndmask_b32_e64 v105, 0, 1, s15
	v_not_b32_e32 v109, v102
	v_cmp_gt_i32_e64 s15, 0, v102
	v_not_b32_e32 v102, v103
	v_lshlrev_b32_e32 v107, 26, v21
	v_cmp_ne_u32_e32 vcc_lo, 0, v105
	v_ashrrev_i32_e32 v109, 31, v109
	v_lshlrev_b32_e32 v108, 25, v21
	v_ashrrev_i32_e32 v102, 31, v102
	v_lshlrev_b32_e32 v105, 24, v21
	s_wait_alu 0xfffd
	v_xor_b32_e32 v20, vcc_lo, v20
	v_cmp_gt_i32_e32 vcc_lo, 0, v103
	v_not_b32_e32 v103, v104
	s_wait_alu 0xf1ff
	v_xor_b32_e32 v109, s15, v109
	v_cmp_gt_i32_e64 s15, 0, v104
	v_and_b32_e32 v20, exec_lo, v20
	v_not_b32_e32 v104, v106
	v_ashrrev_i32_e32 v103, 31, v103
	s_wait_alu 0xfffd
	v_xor_b32_e32 v102, vcc_lo, v102
	v_cmp_gt_i32_e32 vcc_lo, 0, v106
	v_and_b32_e32 v20, v20, v109
	v_not_b32_e32 v106, v107
	v_ashrrev_i32_e32 v104, 31, v104
	s_wait_alu 0xf1ff
	v_xor_b32_e32 v103, s15, v103
	v_cmp_gt_i32_e64 s15, 0, v107
	v_and_b32_e32 v20, v20, v102
	v_not_b32_e32 v102, v108
	v_ashrrev_i32_e32 v106, 31, v106
	s_wait_alu 0xfffd
	v_xor_b32_e32 v104, vcc_lo, v104
	v_cmp_gt_i32_e32 vcc_lo, 0, v108
	v_and_b32_e32 v20, v20, v103
	v_not_b32_e32 v103, v105
	v_ashrrev_i32_e32 v102, 31, v102
	s_wait_alu 0xf1ff
	v_xor_b32_e32 v106, s15, v106
	v_cmp_gt_i32_e64 s15, 0, v105
	v_and_b32_e32 v20, v20, v104
	v_ashrrev_i32_e32 v103, 31, v103
	s_wait_alu 0xfffd
	v_xor_b32_e32 v102, vcc_lo, v102
	v_mad_u32_u24 v104, v21, 36, v85
	v_mul_u32_u24_e32 v21, 36, v21
	v_and_b32_e32 v20, v20, v106
	s_wait_alu 0xf1ff
	v_xor_b32_e32 v103, s15, v103
	s_delay_alu instid0(VALU_DEP_3) | instskip(NEXT) | instid1(VALU_DEP_3)
	v_add_nc_u32_e32 v105, v85, v21
	v_and_b32_e32 v20, v20, v102
	ds_load_b32 v102, v104 offset:1056
	; wave barrier
	v_and_b32_e32 v20, v20, v103
	s_delay_alu instid0(VALU_DEP_1) | instskip(SKIP_1) | instid1(VALU_DEP_2)
	v_mbcnt_lo_u32_b32 v103, v20, 0
	v_cmp_ne_u32_e64 s15, 0, v20
	v_cmp_eq_u32_e32 vcc_lo, 0, v103
	s_and_b32 s16, s15, vcc_lo
	s_wait_alu 0xfffe
	s_and_saveexec_b32 s15, s16
	s_cbranch_execz .LBB296_246
; %bb.245:                              ;   in Loop: Header=BB296_228 Depth=2
	s_wait_dscnt 0x0
	v_bcnt_u32_b32 v20, v20, v102
	ds_store_b32 v105, v20 offset:1056
.LBB296_246:                            ;   in Loop: Header=BB296_228 Depth=2
	s_wait_alu 0xfffe
	s_or_b32 exec_lo, exec_lo, s15
	v_xor_b32_e32 v104, 0x7f, v27
	; wave barrier
	s_delay_alu instid0(VALU_DEP_1) | instskip(NEXT) | instid1(VALU_DEP_1)
	v_and_b32_e32 v20, 0xff, v104
	v_lshrrev_b32_e32 v20, s30, v20
	s_delay_alu instid0(VALU_DEP_1) | instskip(NEXT) | instid1(VALU_DEP_1)
	v_and_b32_e32 v21, s31, v20
	v_and_b32_e32 v20, 1, v21
	v_lshlrev_b32_e32 v27, 30, v21
	v_lshlrev_b32_e32 v106, 29, v21
	;; [unrolled: 1-line block ×4, first 2 shown]
	v_add_co_u32 v20, s15, v20, -1
	s_wait_alu 0xf1ff
	v_cndmask_b32_e64 v108, 0, 1, s15
	v_not_b32_e32 v112, v27
	v_cmp_gt_i32_e64 s15, 0, v27
	v_not_b32_e32 v27, v106
	v_lshlrev_b32_e32 v110, 26, v21
	v_cmp_ne_u32_e32 vcc_lo, 0, v108
	v_ashrrev_i32_e32 v112, 31, v112
	v_lshlrev_b32_e32 v111, 25, v21
	v_ashrrev_i32_e32 v27, 31, v27
	v_lshlrev_b32_e32 v108, 24, v21
	s_wait_alu 0xfffd
	v_xor_b32_e32 v20, vcc_lo, v20
	v_cmp_gt_i32_e32 vcc_lo, 0, v106
	v_not_b32_e32 v106, v107
	s_wait_alu 0xf1ff
	v_xor_b32_e32 v112, s15, v112
	v_cmp_gt_i32_e64 s15, 0, v107
	v_and_b32_e32 v20, exec_lo, v20
	v_not_b32_e32 v107, v109
	v_ashrrev_i32_e32 v106, 31, v106
	s_wait_alu 0xfffd
	v_xor_b32_e32 v27, vcc_lo, v27
	v_cmp_gt_i32_e32 vcc_lo, 0, v109
	v_and_b32_e32 v20, v20, v112
	v_not_b32_e32 v109, v110
	v_ashrrev_i32_e32 v107, 31, v107
	s_wait_alu 0xf1ff
	v_xor_b32_e32 v106, s15, v106
	v_cmp_gt_i32_e64 s15, 0, v110
	v_and_b32_e32 v20, v20, v27
	v_not_b32_e32 v27, v111
	v_ashrrev_i32_e32 v109, 31, v109
	s_wait_alu 0xfffd
	v_xor_b32_e32 v107, vcc_lo, v107
	v_cmp_gt_i32_e32 vcc_lo, 0, v111
	v_and_b32_e32 v20, v20, v106
	v_not_b32_e32 v106, v108
	v_ashrrev_i32_e32 v27, 31, v27
	s_wait_alu 0xf1ff
	v_xor_b32_e32 v109, s15, v109
	v_cmp_gt_i32_e64 s15, 0, v108
	v_and_b32_e32 v20, v20, v107
	v_ashrrev_i32_e32 v106, 31, v106
	s_wait_alu 0xfffd
	v_xor_b32_e32 v27, vcc_lo, v27
	v_mad_u32_u24 v107, v21, 36, v85
	v_mul_u32_u24_e32 v21, 36, v21
	v_and_b32_e32 v20, v20, v109
	s_wait_alu 0xf1ff
	v_xor_b32_e32 v108, s15, v106
	ds_load_b32 v106, v107 offset:1056
	v_add_nc_u32_e32 v109, v85, v21
	v_and_b32_e32 v20, v20, v27
	; wave barrier
	s_delay_alu instid0(VALU_DEP_1) | instskip(NEXT) | instid1(VALU_DEP_1)
	v_and_b32_e32 v20, v20, v108
	v_mbcnt_lo_u32_b32 v107, v20, 0
	v_cmp_ne_u32_e64 s15, 0, v20
	s_delay_alu instid0(VALU_DEP_2)
	v_cmp_eq_u32_e32 vcc_lo, 0, v107
	s_and_b32 s16, s15, vcc_lo
	s_wait_alu 0xfffe
	s_and_saveexec_b32 s15, s16
	s_cbranch_execz .LBB296_248
; %bb.247:                              ;   in Loop: Header=BB296_228 Depth=2
	s_wait_dscnt 0x0
	v_bcnt_u32_b32 v20, v20, v106
	ds_store_b32 v109, v20 offset:1056
.LBB296_248:                            ;   in Loop: Header=BB296_228 Depth=2
	s_wait_alu 0xfffe
	s_or_b32 exec_lo, exec_lo, s15
	v_xor_b32_e32 v108, 0x7f, v26
	; wave barrier
	s_delay_alu instid0(VALU_DEP_1) | instskip(NEXT) | instid1(VALU_DEP_1)
	v_and_b32_e32 v20, 0xff, v108
	v_lshrrev_b32_e32 v20, s30, v20
	s_delay_alu instid0(VALU_DEP_1) | instskip(NEXT) | instid1(VALU_DEP_1)
	v_and_b32_e32 v21, s31, v20
	v_and_b32_e32 v20, 1, v21
	v_lshlrev_b32_e32 v26, 30, v21
	v_lshlrev_b32_e32 v27, 29, v21
	;; [unrolled: 1-line block ×4, first 2 shown]
	v_add_co_u32 v20, s15, v20, -1
	s_wait_alu 0xf1ff
	v_cndmask_b32_e64 v111, 0, 1, s15
	v_not_b32_e32 v115, v26
	v_cmp_gt_i32_e64 s15, 0, v26
	v_not_b32_e32 v26, v27
	v_lshlrev_b32_e32 v113, 26, v21
	v_cmp_ne_u32_e32 vcc_lo, 0, v111
	v_ashrrev_i32_e32 v115, 31, v115
	v_lshlrev_b32_e32 v114, 25, v21
	v_ashrrev_i32_e32 v26, 31, v26
	v_lshlrev_b32_e32 v111, 24, v21
	s_wait_alu 0xfffd
	v_xor_b32_e32 v20, vcc_lo, v20
	v_cmp_gt_i32_e32 vcc_lo, 0, v27
	v_not_b32_e32 v27, v110
	s_wait_alu 0xf1ff
	v_xor_b32_e32 v115, s15, v115
	v_cmp_gt_i32_e64 s15, 0, v110
	v_and_b32_e32 v20, exec_lo, v20
	v_not_b32_e32 v110, v112
	v_ashrrev_i32_e32 v27, 31, v27
	s_wait_alu 0xfffd
	v_xor_b32_e32 v26, vcc_lo, v26
	v_cmp_gt_i32_e32 vcc_lo, 0, v112
	v_and_b32_e32 v20, v20, v115
	v_not_b32_e32 v112, v113
	v_ashrrev_i32_e32 v110, 31, v110
	s_wait_alu 0xf1ff
	v_xor_b32_e32 v27, s15, v27
	v_cmp_gt_i32_e64 s15, 0, v113
	v_and_b32_e32 v20, v20, v26
	v_not_b32_e32 v26, v114
	v_ashrrev_i32_e32 v112, 31, v112
	s_wait_alu 0xfffd
	v_xor_b32_e32 v110, vcc_lo, v110
	v_cmp_gt_i32_e32 vcc_lo, 0, v114
	v_and_b32_e32 v20, v20, v27
	v_not_b32_e32 v27, v111
	v_ashrrev_i32_e32 v26, 31, v26
	s_wait_alu 0xf1ff
	v_xor_b32_e32 v112, s15, v112
	v_cmp_gt_i32_e64 s15, 0, v111
	v_and_b32_e32 v20, v20, v110
	v_ashrrev_i32_e32 v27, 31, v27
	s_wait_alu 0xfffd
	v_xor_b32_e32 v26, vcc_lo, v26
	v_mad_u32_u24 v110, v21, 36, v85
	v_mul_u32_u24_e32 v21, 36, v21
	v_and_b32_e32 v20, v20, v112
	s_wait_alu 0xf1ff
	v_xor_b32_e32 v27, s15, v27
	ds_load_b32 v110, v110 offset:1056
	v_add_nc_u32_e32 v113, v85, v21
	v_and_b32_e32 v20, v20, v26
	; wave barrier
	s_delay_alu instid0(VALU_DEP_1) | instskip(NEXT) | instid1(VALU_DEP_1)
	v_and_b32_e32 v20, v20, v27
	v_mbcnt_lo_u32_b32 v111, v20, 0
	v_cmp_ne_u32_e64 s15, 0, v20
	s_delay_alu instid0(VALU_DEP_2)
	v_cmp_eq_u32_e32 vcc_lo, 0, v111
	s_and_b32 s16, s15, vcc_lo
	s_wait_alu 0xfffe
	s_and_saveexec_b32 s15, s16
	s_cbranch_execz .LBB296_250
; %bb.249:                              ;   in Loop: Header=BB296_228 Depth=2
	s_wait_dscnt 0x0
	v_bcnt_u32_b32 v20, v20, v110
	ds_store_b32 v113, v20 offset:1056
.LBB296_250:                            ;   in Loop: Header=BB296_228 Depth=2
	s_wait_alu 0xfffe
	s_or_b32 exec_lo, exec_lo, s15
	v_xor_b32_e32 v112, 0x7f, v25
	; wave barrier
	s_delay_alu instid0(VALU_DEP_1) | instskip(NEXT) | instid1(VALU_DEP_1)
	v_and_b32_e32 v20, 0xff, v112
	v_lshrrev_b32_e32 v20, s30, v20
	s_delay_alu instid0(VALU_DEP_1) | instskip(NEXT) | instid1(VALU_DEP_1)
	v_and_b32_e32 v21, s31, v20
	v_and_b32_e32 v20, 1, v21
	v_lshlrev_b32_e32 v25, 30, v21
	v_lshlrev_b32_e32 v26, 29, v21
	;; [unrolled: 1-line block ×4, first 2 shown]
	v_add_co_u32 v20, s15, v20, -1
	s_wait_alu 0xf1ff
	v_cndmask_b32_e64 v114, 0, 1, s15
	v_not_b32_e32 v118, v25
	v_cmp_gt_i32_e64 s15, 0, v25
	v_not_b32_e32 v25, v26
	v_lshlrev_b32_e32 v116, 26, v21
	v_cmp_ne_u32_e32 vcc_lo, 0, v114
	v_ashrrev_i32_e32 v118, 31, v118
	v_lshlrev_b32_e32 v117, 25, v21
	v_ashrrev_i32_e32 v25, 31, v25
	v_lshlrev_b32_e32 v114, 24, v21
	s_wait_alu 0xfffd
	v_xor_b32_e32 v20, vcc_lo, v20
	v_cmp_gt_i32_e32 vcc_lo, 0, v26
	v_not_b32_e32 v26, v27
	s_wait_alu 0xf1ff
	v_xor_b32_e32 v118, s15, v118
	v_cmp_gt_i32_e64 s15, 0, v27
	v_and_b32_e32 v20, exec_lo, v20
	v_not_b32_e32 v27, v115
	v_ashrrev_i32_e32 v26, 31, v26
	s_wait_alu 0xfffd
	v_xor_b32_e32 v25, vcc_lo, v25
	v_cmp_gt_i32_e32 vcc_lo, 0, v115
	v_and_b32_e32 v20, v20, v118
	v_not_b32_e32 v115, v116
	v_ashrrev_i32_e32 v27, 31, v27
	s_wait_alu 0xf1ff
	v_xor_b32_e32 v26, s15, v26
	v_cmp_gt_i32_e64 s15, 0, v116
	v_and_b32_e32 v20, v20, v25
	v_not_b32_e32 v25, v117
	v_ashrrev_i32_e32 v115, 31, v115
	s_wait_alu 0xfffd
	v_xor_b32_e32 v27, vcc_lo, v27
	v_cmp_gt_i32_e32 vcc_lo, 0, v117
	v_and_b32_e32 v20, v20, v26
	v_not_b32_e32 v26, v114
	v_ashrrev_i32_e32 v25, 31, v25
	s_wait_alu 0xf1ff
	v_xor_b32_e32 v115, s15, v115
	v_cmp_gt_i32_e64 s15, 0, v114
	v_and_b32_e32 v20, v20, v27
	v_ashrrev_i32_e32 v26, 31, v26
	s_wait_alu 0xfffd
	v_xor_b32_e32 v25, vcc_lo, v25
	v_mad_u32_u24 v27, v21, 36, v85
	v_mul_u32_u24_e32 v21, 36, v21
	v_and_b32_e32 v20, v20, v115
	s_wait_alu 0xf1ff
	v_xor_b32_e32 v26, s15, v26
	ds_load_b32 v114, v27 offset:1056
	v_add_nc_u32_e32 v117, v85, v21
	v_and_b32_e32 v20, v20, v25
	; wave barrier
	s_delay_alu instid0(VALU_DEP_1) | instskip(NEXT) | instid1(VALU_DEP_1)
	v_and_b32_e32 v20, v20, v26
	v_mbcnt_lo_u32_b32 v115, v20, 0
	v_cmp_ne_u32_e64 s15, 0, v20
	s_delay_alu instid0(VALU_DEP_2)
	v_cmp_eq_u32_e32 vcc_lo, 0, v115
	s_and_b32 s16, s15, vcc_lo
	s_wait_alu 0xfffe
	s_and_saveexec_b32 s15, s16
	s_cbranch_execz .LBB296_252
; %bb.251:                              ;   in Loop: Header=BB296_228 Depth=2
	s_wait_dscnt 0x0
	v_bcnt_u32_b32 v20, v20, v114
	ds_store_b32 v117, v20 offset:1056
.LBB296_252:                            ;   in Loop: Header=BB296_228 Depth=2
	s_wait_alu 0xfffe
	s_or_b32 exec_lo, exec_lo, s15
	v_xor_b32_e32 v116, 0x7f, v24
	; wave barrier
	s_delay_alu instid0(VALU_DEP_1) | instskip(NEXT) | instid1(VALU_DEP_1)
	v_and_b32_e32 v20, 0xff, v116
	v_lshrrev_b32_e32 v20, s30, v20
	s_delay_alu instid0(VALU_DEP_1) | instskip(NEXT) | instid1(VALU_DEP_1)
	v_and_b32_e32 v21, s31, v20
	v_and_b32_e32 v20, 1, v21
	v_lshlrev_b32_e32 v24, 30, v21
	v_lshlrev_b32_e32 v25, 29, v21
	;; [unrolled: 1-line block ×4, first 2 shown]
	v_add_co_u32 v20, s15, v20, -1
	s_wait_alu 0xf1ff
	v_cndmask_b32_e64 v27, 0, 1, s15
	v_not_b32_e32 v121, v24
	v_cmp_gt_i32_e64 s15, 0, v24
	v_not_b32_e32 v24, v25
	v_lshlrev_b32_e32 v119, 26, v21
	v_cmp_ne_u32_e32 vcc_lo, 0, v27
	v_ashrrev_i32_e32 v121, 31, v121
	v_lshlrev_b32_e32 v120, 25, v21
	v_ashrrev_i32_e32 v24, 31, v24
	v_lshlrev_b32_e32 v27, 24, v21
	s_wait_alu 0xfffd
	v_xor_b32_e32 v20, vcc_lo, v20
	v_cmp_gt_i32_e32 vcc_lo, 0, v25
	v_not_b32_e32 v25, v26
	s_wait_alu 0xf1ff
	v_xor_b32_e32 v121, s15, v121
	v_cmp_gt_i32_e64 s15, 0, v26
	v_and_b32_e32 v20, exec_lo, v20
	v_not_b32_e32 v26, v118
	v_ashrrev_i32_e32 v25, 31, v25
	s_wait_alu 0xfffd
	v_xor_b32_e32 v24, vcc_lo, v24
	v_cmp_gt_i32_e32 vcc_lo, 0, v118
	v_and_b32_e32 v20, v20, v121
	v_not_b32_e32 v118, v119
	v_ashrrev_i32_e32 v26, 31, v26
	s_wait_alu 0xf1ff
	v_xor_b32_e32 v25, s15, v25
	v_cmp_gt_i32_e64 s15, 0, v119
	v_and_b32_e32 v20, v20, v24
	v_not_b32_e32 v24, v120
	v_ashrrev_i32_e32 v118, 31, v118
	s_wait_alu 0xfffd
	v_xor_b32_e32 v26, vcc_lo, v26
	v_cmp_gt_i32_e32 vcc_lo, 0, v120
	v_and_b32_e32 v20, v20, v25
	v_not_b32_e32 v25, v27
	v_ashrrev_i32_e32 v24, 31, v24
	s_wait_alu 0xf1ff
	v_xor_b32_e32 v118, s15, v118
	v_cmp_gt_i32_e64 s15, 0, v27
	v_and_b32_e32 v20, v20, v26
	v_ashrrev_i32_e32 v25, 31, v25
	s_wait_alu 0xfffd
	v_xor_b32_e32 v24, vcc_lo, v24
	v_mad_u32_u24 v26, v21, 36, v85
	v_mul_u32_u24_e32 v21, 36, v21
	v_and_b32_e32 v20, v20, v118
	s_wait_alu 0xf1ff
	v_xor_b32_e32 v25, s15, v25
	ds_load_b32 v118, v26 offset:1056
	v_add_nc_u32_e32 v121, v85, v21
	v_and_b32_e32 v20, v20, v24
	; wave barrier
	s_delay_alu instid0(VALU_DEP_1) | instskip(NEXT) | instid1(VALU_DEP_1)
	v_and_b32_e32 v20, v20, v25
	v_mbcnt_lo_u32_b32 v119, v20, 0
	v_cmp_ne_u32_e64 s15, 0, v20
	s_delay_alu instid0(VALU_DEP_2)
	v_cmp_eq_u32_e32 vcc_lo, 0, v119
	s_and_b32 s16, s15, vcc_lo
	s_wait_alu 0xfffe
	s_and_saveexec_b32 s15, s16
	s_cbranch_execz .LBB296_254
; %bb.253:                              ;   in Loop: Header=BB296_228 Depth=2
	s_wait_dscnt 0x0
	v_bcnt_u32_b32 v20, v20, v118
	ds_store_b32 v121, v20 offset:1056
.LBB296_254:                            ;   in Loop: Header=BB296_228 Depth=2
	s_wait_alu 0xfffe
	s_or_b32 exec_lo, exec_lo, s15
	v_xor_b32_e32 v120, 0x7f, v23
	; wave barrier
	s_delay_alu instid0(VALU_DEP_1) | instskip(NEXT) | instid1(VALU_DEP_1)
	v_and_b32_e32 v20, 0xff, v120
	v_lshrrev_b32_e32 v20, s30, v20
	s_delay_alu instid0(VALU_DEP_1) | instskip(NEXT) | instid1(VALU_DEP_1)
	v_and_b32_e32 v21, s31, v20
	v_and_b32_e32 v20, 1, v21
	v_lshlrev_b32_e32 v23, 30, v21
	v_lshlrev_b32_e32 v24, 29, v21
	;; [unrolled: 1-line block ×4, first 2 shown]
	v_add_co_u32 v20, s15, v20, -1
	s_wait_alu 0xf1ff
	v_cndmask_b32_e64 v26, 0, 1, s15
	v_not_b32_e32 v124, v23
	v_cmp_gt_i32_e64 s15, 0, v23
	v_not_b32_e32 v23, v24
	v_lshlrev_b32_e32 v122, 26, v21
	v_cmp_ne_u32_e32 vcc_lo, 0, v26
	v_ashrrev_i32_e32 v124, 31, v124
	v_lshlrev_b32_e32 v123, 25, v21
	v_ashrrev_i32_e32 v23, 31, v23
	v_lshlrev_b32_e32 v26, 24, v21
	s_wait_alu 0xfffd
	v_xor_b32_e32 v20, vcc_lo, v20
	v_cmp_gt_i32_e32 vcc_lo, 0, v24
	v_not_b32_e32 v24, v25
	s_wait_alu 0xf1ff
	v_xor_b32_e32 v124, s15, v124
	v_cmp_gt_i32_e64 s15, 0, v25
	v_and_b32_e32 v20, exec_lo, v20
	v_not_b32_e32 v25, v27
	v_ashrrev_i32_e32 v24, 31, v24
	s_wait_alu 0xfffd
	v_xor_b32_e32 v23, vcc_lo, v23
	v_cmp_gt_i32_e32 vcc_lo, 0, v27
	v_and_b32_e32 v20, v20, v124
	v_not_b32_e32 v27, v122
	v_ashrrev_i32_e32 v25, 31, v25
	s_wait_alu 0xf1ff
	v_xor_b32_e32 v24, s15, v24
	v_cmp_gt_i32_e64 s15, 0, v122
	v_and_b32_e32 v20, v20, v23
	v_not_b32_e32 v23, v123
	v_ashrrev_i32_e32 v27, 31, v27
	s_wait_alu 0xfffd
	v_xor_b32_e32 v25, vcc_lo, v25
	v_cmp_gt_i32_e32 vcc_lo, 0, v123
	v_and_b32_e32 v20, v20, v24
	v_not_b32_e32 v24, v26
	v_ashrrev_i32_e32 v23, 31, v23
	s_wait_alu 0xf1ff
	v_xor_b32_e32 v27, s15, v27
	v_cmp_gt_i32_e64 s15, 0, v26
	v_and_b32_e32 v20, v20, v25
	v_ashrrev_i32_e32 v24, 31, v24
	s_wait_alu 0xfffd
	v_xor_b32_e32 v23, vcc_lo, v23
	v_mad_u32_u24 v25, v21, 36, v85
	v_mul_u32_u24_e32 v21, 36, v21
	v_and_b32_e32 v20, v20, v27
	s_wait_alu 0xf1ff
	v_xor_b32_e32 v24, s15, v24
	ds_load_b32 v122, v25 offset:1056
	v_add_nc_u32_e32 v125, v85, v21
	v_and_b32_e32 v20, v20, v23
	; wave barrier
	s_delay_alu instid0(VALU_DEP_1) | instskip(NEXT) | instid1(VALU_DEP_1)
	v_and_b32_e32 v20, v20, v24
	v_mbcnt_lo_u32_b32 v123, v20, 0
	v_cmp_ne_u32_e64 s15, 0, v20
	s_delay_alu instid0(VALU_DEP_2)
	v_cmp_eq_u32_e32 vcc_lo, 0, v123
	s_and_b32 s16, s15, vcc_lo
	s_wait_alu 0xfffe
	s_and_saveexec_b32 s15, s16
	s_cbranch_execz .LBB296_256
; %bb.255:                              ;   in Loop: Header=BB296_228 Depth=2
	s_wait_dscnt 0x0
	v_bcnt_u32_b32 v20, v20, v122
	ds_store_b32 v125, v20 offset:1056
.LBB296_256:                            ;   in Loop: Header=BB296_228 Depth=2
	s_wait_alu 0xfffe
	s_or_b32 exec_lo, exec_lo, s15
	v_xor_b32_e32 v124, 0x7f, v22
	; wave barrier
	s_delay_alu instid0(VALU_DEP_1) | instskip(NEXT) | instid1(VALU_DEP_1)
	v_and_b32_e32 v20, 0xff, v124
	v_lshrrev_b32_e32 v20, s30, v20
	s_delay_alu instid0(VALU_DEP_1) | instskip(NEXT) | instid1(VALU_DEP_1)
	v_and_b32_e32 v21, s31, v20
	v_and_b32_e32 v20, 1, v21
	v_lshlrev_b32_e32 v22, 30, v21
	v_lshlrev_b32_e32 v23, 29, v21
	;; [unrolled: 1-line block ×4, first 2 shown]
	v_add_co_u32 v20, s15, v20, -1
	s_wait_alu 0xf1ff
	v_cndmask_b32_e64 v25, 0, 1, s15
	v_not_b32_e32 v127, v22
	v_cmp_gt_i32_e64 s15, 0, v22
	v_not_b32_e32 v22, v23
	v_lshlrev_b32_e32 v27, 26, v21
	v_cmp_ne_u32_e32 vcc_lo, 0, v25
	v_ashrrev_i32_e32 v127, 31, v127
	v_lshlrev_b32_e32 v126, 25, v21
	v_ashrrev_i32_e32 v22, 31, v22
	v_lshlrev_b32_e32 v25, 24, v21
	s_wait_alu 0xfffd
	v_xor_b32_e32 v20, vcc_lo, v20
	v_cmp_gt_i32_e32 vcc_lo, 0, v23
	v_not_b32_e32 v23, v24
	s_wait_alu 0xf1ff
	v_xor_b32_e32 v127, s15, v127
	v_cmp_gt_i32_e64 s15, 0, v24
	v_and_b32_e32 v20, exec_lo, v20
	v_not_b32_e32 v24, v26
	v_ashrrev_i32_e32 v23, 31, v23
	s_wait_alu 0xfffd
	v_xor_b32_e32 v22, vcc_lo, v22
	v_cmp_gt_i32_e32 vcc_lo, 0, v26
	v_and_b32_e32 v20, v20, v127
	v_not_b32_e32 v26, v27
	v_ashrrev_i32_e32 v24, 31, v24
	s_wait_alu 0xf1ff
	v_xor_b32_e32 v23, s15, v23
	v_cmp_gt_i32_e64 s15, 0, v27
	v_and_b32_e32 v20, v20, v22
	v_not_b32_e32 v22, v126
	v_ashrrev_i32_e32 v26, 31, v26
	s_wait_alu 0xfffd
	v_xor_b32_e32 v24, vcc_lo, v24
	v_cmp_gt_i32_e32 vcc_lo, 0, v126
	v_and_b32_e32 v20, v20, v23
	v_not_b32_e32 v23, v25
	v_ashrrev_i32_e32 v22, 31, v22
	s_wait_alu 0xf1ff
	v_xor_b32_e32 v26, s15, v26
	v_cmp_gt_i32_e64 s15, 0, v25
	v_and_b32_e32 v20, v20, v24
	v_ashrrev_i32_e32 v23, 31, v23
	s_wait_alu 0xfffd
	v_xor_b32_e32 v22, vcc_lo, v22
	v_mad_u32_u24 v24, v21, 36, v85
	v_mul_u32_u24_e32 v21, 36, v21
	v_and_b32_e32 v20, v20, v26
	s_wait_alu 0xf1ff
	v_xor_b32_e32 v23, s15, v23
	ds_load_b32 v126, v24 offset:1056
	v_add_nc_u32_e32 v128, v85, v21
	v_and_b32_e32 v20, v20, v22
	; wave barrier
	s_delay_alu instid0(VALU_DEP_1) | instskip(NEXT) | instid1(VALU_DEP_1)
	v_and_b32_e32 v20, v20, v23
	v_mbcnt_lo_u32_b32 v127, v20, 0
	v_cmp_ne_u32_e64 s15, 0, v20
	s_delay_alu instid0(VALU_DEP_2)
	v_cmp_eq_u32_e32 vcc_lo, 0, v127
	s_and_b32 s16, s15, vcc_lo
	s_wait_alu 0xfffe
	s_and_saveexec_b32 s15, s16
	s_cbranch_execz .LBB296_258
; %bb.257:                              ;   in Loop: Header=BB296_228 Depth=2
	s_wait_dscnt 0x0
	v_bcnt_u32_b32 v20, v20, v126
	ds_store_b32 v128, v20 offset:1056
.LBB296_258:                            ;   in Loop: Header=BB296_228 Depth=2
	s_wait_alu 0xfffe
	s_or_b32 exec_lo, exec_lo, s15
	; wave barrier
	s_wait_loadcnt_dscnt 0x0
	s_barrier_signal -1
	s_barrier_wait -1
	global_inv scope:SCOPE_SE
	ds_load_2addr_b32 v[26:27], v98 offset1:1
	ds_load_2addr_b32 v[24:25], v99 offset1:1
	;; [unrolled: 1-line block ×4, first 2 shown]
	ds_load_b32 v129, v45 offset:1088
	s_wait_dscnt 0x3
	v_add3_u32 v130, v27, v26, v24
	s_wait_dscnt 0x2
	s_delay_alu instid0(VALU_DEP_1) | instskip(SKIP_1) | instid1(VALU_DEP_1)
	v_add3_u32 v130, v130, v25, v22
	s_wait_dscnt 0x1
	v_add3_u32 v130, v130, v23, v20
	s_wait_dscnt 0x0
	s_delay_alu instid0(VALU_DEP_1) | instskip(NEXT) | instid1(VALU_DEP_1)
	v_add3_u32 v129, v130, v21, v129
	v_mov_b32_dpp v130, v129 row_shr:1 row_mask:0xf bank_mask:0xf
	s_delay_alu instid0(VALU_DEP_1) | instskip(NEXT) | instid1(VALU_DEP_1)
	v_cndmask_b32_e64 v130, v130, 0, s0
	v_add_nc_u32_e32 v129, v130, v129
	s_delay_alu instid0(VALU_DEP_1) | instskip(NEXT) | instid1(VALU_DEP_1)
	v_mov_b32_dpp v130, v129 row_shr:2 row_mask:0xf bank_mask:0xf
	v_cndmask_b32_e64 v130, 0, v130, s1
	s_delay_alu instid0(VALU_DEP_1) | instskip(NEXT) | instid1(VALU_DEP_1)
	v_add_nc_u32_e32 v129, v129, v130
	v_mov_b32_dpp v130, v129 row_shr:4 row_mask:0xf bank_mask:0xf
	s_delay_alu instid0(VALU_DEP_1) | instskip(NEXT) | instid1(VALU_DEP_1)
	v_cndmask_b32_e64 v130, 0, v130, s9
	v_add_nc_u32_e32 v129, v129, v130
	s_delay_alu instid0(VALU_DEP_1) | instskip(NEXT) | instid1(VALU_DEP_1)
	v_mov_b32_dpp v130, v129 row_shr:8 row_mask:0xf bank_mask:0xf
	v_cndmask_b32_e64 v130, 0, v130, s10
	s_delay_alu instid0(VALU_DEP_1) | instskip(SKIP_3) | instid1(VALU_DEP_1)
	v_add_nc_u32_e32 v129, v129, v130
	ds_swizzle_b32 v130, v129 offset:swizzle(BROADCAST,32,15)
	s_wait_dscnt 0x0
	v_cndmask_b32_e64 v130, v130, 0, s11
	v_add_nc_u32_e32 v129, v129, v130
	s_and_saveexec_b32 s15, s3
; %bb.259:                              ;   in Loop: Header=BB296_228 Depth=2
	ds_store_b32 v38, v129 offset:1024
; %bb.260:                              ;   in Loop: Header=BB296_228 Depth=2
	s_wait_alu 0xfffe
	s_or_b32 exec_lo, exec_lo, s15
	s_wait_loadcnt_dscnt 0x0
	s_barrier_signal -1
	s_barrier_wait -1
	global_inv scope:SCOPE_SE
	s_and_saveexec_b32 s15, s4
	s_cbranch_execz .LBB296_262
; %bb.261:                              ;   in Loop: Header=BB296_228 Depth=2
	v_add_nc_u32_e32 v130, v45, v46
	ds_load_b32 v131, v130 offset:1024
	s_wait_dscnt 0x0
	v_mov_b32_dpp v132, v131 row_shr:1 row_mask:0xf bank_mask:0xf
	s_delay_alu instid0(VALU_DEP_1) | instskip(NEXT) | instid1(VALU_DEP_1)
	v_cndmask_b32_e64 v132, v132, 0, s12
	v_add_nc_u32_e32 v131, v132, v131
	s_delay_alu instid0(VALU_DEP_1) | instskip(NEXT) | instid1(VALU_DEP_1)
	v_mov_b32_dpp v132, v131 row_shr:2 row_mask:0xf bank_mask:0xf
	v_cndmask_b32_e64 v132, 0, v132, s13
	s_delay_alu instid0(VALU_DEP_1) | instskip(NEXT) | instid1(VALU_DEP_1)
	v_add_nc_u32_e32 v131, v131, v132
	v_mov_b32_dpp v132, v131 row_shr:4 row_mask:0xf bank_mask:0xf
	s_delay_alu instid0(VALU_DEP_1) | instskip(NEXT) | instid1(VALU_DEP_1)
	v_cndmask_b32_e64 v132, 0, v132, s14
	v_add_nc_u32_e32 v131, v131, v132
	ds_store_b32 v130, v131 offset:1024
.LBB296_262:                            ;   in Loop: Header=BB296_228 Depth=2
	s_wait_alu 0xfffe
	s_or_b32 exec_lo, exec_lo, s15
	v_mov_b32_e32 v130, 0
	s_wait_loadcnt_dscnt 0x0
	s_barrier_signal -1
	s_barrier_wait -1
	global_inv scope:SCOPE_SE
	s_and_saveexec_b32 s15, s5
; %bb.263:                              ;   in Loop: Header=BB296_228 Depth=2
	ds_load_b32 v130, v38 offset:1020
; %bb.264:                              ;   in Loop: Header=BB296_228 Depth=2
	s_wait_alu 0xfffe
	s_or_b32 exec_lo, exec_lo, s15
	s_wait_dscnt 0x0
	v_add_nc_u32_e32 v129, v130, v129
	ds_bpermute_b32 v129, v80, v129
	s_wait_dscnt 0x0
	v_cndmask_b32_e64 v129, v129, v130, s8
	s_delay_alu instid0(VALU_DEP_1) | instskip(NEXT) | instid1(VALU_DEP_1)
	v_cndmask_b32_e64 v129, v129, 0, s6
	v_add_nc_u32_e32 v26, v129, v26
	s_delay_alu instid0(VALU_DEP_1) | instskip(NEXT) | instid1(VALU_DEP_1)
	v_add_nc_u32_e32 v27, v26, v27
	v_add_nc_u32_e32 v24, v27, v24
	s_delay_alu instid0(VALU_DEP_1) | instskip(NEXT) | instid1(VALU_DEP_1)
	v_add_nc_u32_e32 v25, v24, v25
	;; [unrolled: 3-line block ×3, first 2 shown]
	v_add_nc_u32_e32 v20, v23, v20
	s_delay_alu instid0(VALU_DEP_1)
	v_add_nc_u32_e32 v21, v20, v21
	ds_store_2addr_b32 v97, v23, v20 offset1:1
	ds_store_2addr_b32 v98, v129, v26 offset1:1
	;; [unrolled: 1-line block ×4, first 2 shown]
	ds_store_b32 v45, v21 offset:1088
	s_wait_loadcnt_dscnt 0x0
	s_barrier_signal -1
	s_barrier_wait -1
	global_inv scope:SCOPE_SE
	ds_load_b32 v20, v101 offset:1056
	ds_load_b32 v21, v105 offset:1056
	;; [unrolled: 1-line block ×9, first 2 shown]
	v_mov_b32_e32 v22, 0x800
	s_and_saveexec_b32 s15, s7
; %bb.265:                              ;   in Loop: Header=BB296_228 Depth=2
	ds_load_b32 v22, v45 offset:1092
; %bb.266:                              ;   in Loop: Header=BB296_228 Depth=2
	s_wait_alu 0xfffe
	s_or_b32 exec_lo, exec_lo, s15
	s_wait_loadcnt_dscnt 0x0
	s_barrier_signal -1
	s_barrier_wait -1
	global_inv scope:SCOPE_SE
	s_and_saveexec_b32 s15, s2
	s_cbranch_execz .LBB296_268
; %bb.267:                              ;   in Loop: Header=BB296_228 Depth=2
	ds_load_b32 v27, v28
	s_wait_dscnt 0x0
	v_sub_nc_u32_e32 v26, v27, v26
	ds_store_b32 v28, v26
.LBB296_268:                            ;   in Loop: Header=BB296_228 Depth=2
	s_wait_alu 0xfffe
	s_or_b32 exec_lo, exec_lo, s15
	v_add_nc_u32_e32 v98, v20, v95
	v_add3_u32 v97, v103, v102, v21
	v_add3_u32 v95, v107, v106, v23
	v_add3_u32 v27, v111, v110, v24
	v_add3_u32 v26, v115, v114, v25
	v_add3_u32 v25, v119, v118, v99
	v_add3_u32 v24, v123, v122, v100
	v_add3_u32 v23, v127, v126, v101
	v_cmp_lt_u32_e64 s20, v1, v2
	ds_store_b8 v98, v94 offset:1024
	ds_store_b8 v97, v96 offset:1024
	;; [unrolled: 1-line block ×8, first 2 shown]
	s_wait_loadcnt_dscnt 0x0
	s_barrier_signal -1
	s_barrier_wait -1
	global_inv scope:SCOPE_SE
	s_and_saveexec_b32 s15, s20
	s_cbranch_execnz .LBB296_305
; %bb.269:                              ;   in Loop: Header=BB296_228 Depth=2
	s_wait_alu 0xfffe
	s_or_b32 exec_lo, exec_lo, s15
	v_cmp_lt_u32_e64 s21, v29, v2
	s_and_saveexec_b32 s15, s21
	s_cbranch_execnz .LBB296_306
.LBB296_270:                            ;   in Loop: Header=BB296_228 Depth=2
	s_wait_alu 0xfffe
	s_or_b32 exec_lo, exec_lo, s15
	v_cmp_lt_u32_e64 s19, v30, v2
	s_and_saveexec_b32 s15, s19
	s_cbranch_execnz .LBB296_307
.LBB296_271:                            ;   in Loop: Header=BB296_228 Depth=2
	s_wait_alu 0xfffe
	s_or_b32 exec_lo, exec_lo, s15
	v_cmp_lt_u32_e64 s18, v31, v2
	s_and_saveexec_b32 s15, s18
	s_cbranch_execnz .LBB296_308
.LBB296_272:                            ;   in Loop: Header=BB296_228 Depth=2
	s_wait_alu 0xfffe
	s_or_b32 exec_lo, exec_lo, s15
	v_cmp_lt_u32_e64 s17, v34, v2
	s_and_saveexec_b32 s15, s17
	s_cbranch_execnz .LBB296_309
.LBB296_273:                            ;   in Loop: Header=BB296_228 Depth=2
	s_wait_alu 0xfffe
	s_or_b32 exec_lo, exec_lo, s15
	v_cmp_lt_u32_e64 s16, v35, v2
	s_and_saveexec_b32 s15, s16
	s_cbranch_execnz .LBB296_310
.LBB296_274:                            ;   in Loop: Header=BB296_228 Depth=2
	s_wait_alu 0xfffe
	s_or_b32 exec_lo, exec_lo, s15
	v_cmp_lt_u32_e64 s15, v36, v2
	s_and_saveexec_b32 s44, s15
	s_cbranch_execnz .LBB296_311
.LBB296_275:                            ;   in Loop: Header=BB296_228 Depth=2
	s_wait_alu 0xfffe
	s_or_b32 exec_lo, exec_lo, s44
	v_cmp_lt_u32_e32 vcc_lo, v37, v2
	s_and_saveexec_b32 s44, vcc_lo
	s_cbranch_execz .LBB296_277
.LBB296_276:                            ;   in Loop: Header=BB296_228 Depth=2
	ds_load_u8 v20, v1 offset:2816
	s_wait_dscnt 0x0
	v_and_b32_e32 v21, 0xff, v20
	v_xor_b32_e32 v20, 0x7f, v20
	s_delay_alu instid0(VALU_DEP_2) | instskip(NEXT) | instid1(VALU_DEP_1)
	v_lshrrev_b32_e32 v21, s30, v21
	v_and_b32_e32 v21, s31, v21
	s_delay_alu instid0(VALU_DEP_1)
	v_lshlrev_b32_e32 v21, 2, v21
	ds_load_b32 v21, v21
	s_wait_dscnt 0x0
	v_add_nc_u32_e32 v21, v21, v37
	global_store_b8 v21, v20, s[40:41]
.LBB296_277:                            ;   in Loop: Header=BB296_228 Depth=2
	s_wait_alu 0xfffe
	s_or_b32 exec_lo, exec_lo, s44
	s_lshl_b64 s[48:49], s[22:23], 3
	s_wait_alu 0xfffe
	v_add_co_u32 v20, s22, v81, s48
	s_wait_alu 0xf1ff
	v_add_co_ci_u32_e64 v21, null, s49, v82, s22
	v_cmp_lt_u32_e64 s22, v68, v2
	s_and_saveexec_b32 s44, s22
	s_wait_alu 0xfffe
	s_xor_b32 s22, exec_lo, s44
	s_cbranch_execnz .LBB296_312
; %bb.278:                              ;   in Loop: Header=BB296_228 Depth=2
	s_wait_alu 0xfffe
	s_or_b32 exec_lo, exec_lo, s22
	s_delay_alu instid0(SALU_CYCLE_1)
	s_mov_b32 s44, exec_lo
	v_cmpx_lt_u32_e64 v71, v2
	s_cbranch_execnz .LBB296_313
.LBB296_279:                            ;   in Loop: Header=BB296_228 Depth=2
	s_wait_alu 0xfffe
	s_or_b32 exec_lo, exec_lo, s44
	s_delay_alu instid0(SALU_CYCLE_1)
	s_mov_b32 s44, exec_lo
	v_cmpx_lt_u32_e64 v72, v2
	s_cbranch_execnz .LBB296_314
.LBB296_280:                            ;   in Loop: Header=BB296_228 Depth=2
	s_wait_alu 0xfffe
	s_or_b32 exec_lo, exec_lo, s44
	s_delay_alu instid0(SALU_CYCLE_1)
	s_mov_b32 s44, exec_lo
	v_cmpx_lt_u32_e64 v73, v2
	s_cbranch_execnz .LBB296_315
.LBB296_281:                            ;   in Loop: Header=BB296_228 Depth=2
	s_wait_alu 0xfffe
	s_or_b32 exec_lo, exec_lo, s44
	s_delay_alu instid0(SALU_CYCLE_1)
	s_mov_b32 s44, exec_lo
	v_cmpx_lt_u32_e64 v74, v2
	s_cbranch_execnz .LBB296_316
.LBB296_282:                            ;   in Loop: Header=BB296_228 Depth=2
	s_wait_alu 0xfffe
	s_or_b32 exec_lo, exec_lo, s44
	s_delay_alu instid0(SALU_CYCLE_1)
	s_mov_b32 s44, exec_lo
	v_cmpx_lt_u32_e64 v75, v2
	s_cbranch_execnz .LBB296_317
.LBB296_283:                            ;   in Loop: Header=BB296_228 Depth=2
	s_wait_alu 0xfffe
	s_or_b32 exec_lo, exec_lo, s44
	s_delay_alu instid0(SALU_CYCLE_1)
	s_mov_b32 s44, exec_lo
	v_cmpx_lt_u32_e64 v76, v2
	s_cbranch_execnz .LBB296_318
.LBB296_284:                            ;   in Loop: Header=BB296_228 Depth=2
	s_wait_alu 0xfffe
	s_or_b32 exec_lo, exec_lo, s44
	s_delay_alu instid0(SALU_CYCLE_1)
	s_mov_b32 s44, exec_lo
	v_cmpx_lt_u32_e64 v77, v2
	s_cbranch_execnz .LBB296_319
.LBB296_285:                            ;   in Loop: Header=BB296_228 Depth=2
	s_wait_alu 0xfffe
	s_or_b32 exec_lo, exec_lo, s44
	s_and_saveexec_b32 s22, s20
	s_cbranch_execnz .LBB296_320
.LBB296_286:                            ;   in Loop: Header=BB296_228 Depth=2
	s_wait_alu 0xfffe
	s_or_b32 exec_lo, exec_lo, s22
	s_and_saveexec_b32 s22, s21
	s_cbranch_execnz .LBB296_321
.LBB296_287:                            ;   in Loop: Header=BB296_228 Depth=2
	s_wait_alu 0xfffe
	s_or_b32 exec_lo, exec_lo, s22
	s_and_saveexec_b32 s22, s19
	s_cbranch_execnz .LBB296_322
.LBB296_288:                            ;   in Loop: Header=BB296_228 Depth=2
	s_wait_alu 0xfffe
	s_or_b32 exec_lo, exec_lo, s22
	s_and_saveexec_b32 s22, s18
	s_cbranch_execnz .LBB296_323
.LBB296_289:                            ;   in Loop: Header=BB296_228 Depth=2
	s_wait_alu 0xfffe
	s_or_b32 exec_lo, exec_lo, s22
	s_and_saveexec_b32 s22, s17
	s_cbranch_execnz .LBB296_324
.LBB296_290:                            ;   in Loop: Header=BB296_228 Depth=2
	s_wait_alu 0xfffe
	s_or_b32 exec_lo, exec_lo, s22
	s_and_saveexec_b32 s22, s16
	s_cbranch_execnz .LBB296_325
.LBB296_291:                            ;   in Loop: Header=BB296_228 Depth=2
	s_wait_alu 0xfffe
	s_or_b32 exec_lo, exec_lo, s22
	s_and_saveexec_b32 s22, s15
	s_cbranch_execnz .LBB296_326
.LBB296_292:                            ;   in Loop: Header=BB296_228 Depth=2
	s_wait_alu 0xfffe
	s_or_b32 exec_lo, exec_lo, s22
	s_and_saveexec_b32 s22, vcc_lo
	s_cbranch_execz .LBB296_294
.LBB296_293:                            ;   in Loop: Header=BB296_228 Depth=2
	ds_load_u8 v2, v1 offset:2816
	s_wait_dscnt 0x0
	v_lshrrev_b32_e32 v2, s30, v2
	s_delay_alu instid0(VALU_DEP_1)
	v_and_b32_e32 v86, s31, v2
.LBB296_294:                            ;   in Loop: Header=BB296_228 Depth=2
	s_wait_alu 0xfffe
	s_or_b32 exec_lo, exec_lo, s22
	v_lshlrev_b32_e32 v2, 3, v98
	v_lshlrev_b32_e32 v20, 3, v97
	;; [unrolled: 1-line block ×3, first 2 shown]
	s_wait_loadcnt 0x0
	s_wait_storecnt 0x0
	s_barrier_signal -1
	s_barrier_wait -1
	global_inv scope:SCOPE_SE
	ds_store_b64 v2, v[18:19] offset:1024
	ds_store_b64 v20, v[16:17] offset:1024
	;; [unrolled: 1-line block ×3, first 2 shown]
	v_lshlrev_b32_e32 v2, 3, v27
	v_lshlrev_b32_e32 v20, 3, v26
	;; [unrolled: 1-line block ×5, first 2 shown]
	ds_store_b64 v2, v[12:13] offset:1024
	ds_store_b64 v20, v[10:11] offset:1024
	;; [unrolled: 1-line block ×5, first 2 shown]
	s_wait_loadcnt_dscnt 0x0
	s_barrier_signal -1
	s_barrier_wait -1
	global_inv scope:SCOPE_SE
	s_and_saveexec_b32 s22, s20
	s_cbranch_execnz .LBB296_327
; %bb.295:                              ;   in Loop: Header=BB296_228 Depth=2
	s_wait_alu 0xfffe
	s_or_b32 exec_lo, exec_lo, s22
	s_and_saveexec_b32 s22, s21
	s_cbranch_execnz .LBB296_328
.LBB296_296:                            ;   in Loop: Header=BB296_228 Depth=2
	s_wait_alu 0xfffe
	s_or_b32 exec_lo, exec_lo, s22
	s_and_saveexec_b32 s20, s19
	s_cbranch_execnz .LBB296_329
.LBB296_297:                            ;   in Loop: Header=BB296_228 Depth=2
	s_wait_alu 0xfffe
	s_or_b32 exec_lo, exec_lo, s20
	s_and_saveexec_b32 s19, s18
	s_cbranch_execnz .LBB296_330
.LBB296_298:                            ;   in Loop: Header=BB296_228 Depth=2
	s_wait_alu 0xfffe
	s_or_b32 exec_lo, exec_lo, s19
	s_and_saveexec_b32 s18, s17
	s_cbranch_execnz .LBB296_331
.LBB296_299:                            ;   in Loop: Header=BB296_228 Depth=2
	s_wait_alu 0xfffe
	s_or_b32 exec_lo, exec_lo, s18
	s_and_saveexec_b32 s17, s16
	s_cbranch_execnz .LBB296_332
.LBB296_300:                            ;   in Loop: Header=BB296_228 Depth=2
	s_wait_alu 0xfffe
	s_or_b32 exec_lo, exec_lo, s17
	s_and_saveexec_b32 s16, s15
	s_cbranch_execnz .LBB296_333
.LBB296_301:                            ;   in Loop: Header=BB296_228 Depth=2
	s_wait_alu 0xfffe
	s_or_b32 exec_lo, exec_lo, s16
	s_and_saveexec_b32 s15, vcc_lo
	s_cbranch_execz .LBB296_303
.LBB296_302:                            ;   in Loop: Header=BB296_228 Depth=2
	v_lshlrev_b32_e32 v2, 2, v86
	v_add_nc_u32_e32 v20, v1, v47
	ds_load_b32 v2, v2
	ds_load_b64 v[20:21], v20 offset:15360
	s_wait_dscnt 0x1
	v_add_nc_u32_e32 v2, v2, v37
	s_delay_alu instid0(VALU_DEP_1) | instskip(NEXT) | instid1(VALU_DEP_1)
	v_lshlrev_b64_e32 v[23:24], 3, v[2:3]
	v_add_co_u32 v23, vcc_lo, s26, v23
	s_wait_alu 0xfffd
	s_delay_alu instid0(VALU_DEP_2)
	v_add_co_ci_u32_e64 v24, null, s27, v24, vcc_lo
	s_wait_dscnt 0x0
	global_store_b64 v[23:24], v[20:21], off
.LBB296_303:                            ;   in Loop: Header=BB296_228 Depth=2
	s_wait_alu 0xfffe
	s_or_b32 exec_lo, exec_lo, s15
	s_wait_loadcnt 0x0
	s_wait_storecnt 0x0
	s_barrier_signal -1
	s_barrier_wait -1
	global_inv scope:SCOPE_SE
	s_and_saveexec_b32 s15, s2
	s_cbranch_execz .LBB296_227
; %bb.304:                              ;   in Loop: Header=BB296_228 Depth=2
	ds_load_b32 v2, v28
	s_wait_dscnt 0x0
	v_add_nc_u32_e32 v2, v2, v22
	ds_store_b32 v28, v2
	s_branch .LBB296_227
.LBB296_305:                            ;   in Loop: Header=BB296_228 Depth=2
	ds_load_u8 v20, v1 offset:1024
	s_wait_dscnt 0x0
	v_and_b32_e32 v21, 0xff, v20
	v_xor_b32_e32 v20, 0x7f, v20
	s_delay_alu instid0(VALU_DEP_2) | instskip(NEXT) | instid1(VALU_DEP_1)
	v_lshrrev_b32_e32 v21, s30, v21
	v_and_b32_e32 v21, s31, v21
	s_delay_alu instid0(VALU_DEP_1)
	v_lshlrev_b32_e32 v21, 2, v21
	ds_load_b32 v21, v21
	s_wait_dscnt 0x0
	v_add_nc_u32_e32 v21, v21, v1
	global_store_b8 v21, v20, s[40:41]
	s_wait_alu 0xfffe
	s_or_b32 exec_lo, exec_lo, s15
	v_cmp_lt_u32_e64 s21, v29, v2
	s_and_saveexec_b32 s15, s21
	s_cbranch_execz .LBB296_270
.LBB296_306:                            ;   in Loop: Header=BB296_228 Depth=2
	ds_load_u8 v20, v1 offset:1280
	s_wait_dscnt 0x0
	v_and_b32_e32 v21, 0xff, v20
	v_xor_b32_e32 v20, 0x7f, v20
	s_delay_alu instid0(VALU_DEP_2) | instskip(NEXT) | instid1(VALU_DEP_1)
	v_lshrrev_b32_e32 v21, s30, v21
	v_and_b32_e32 v21, s31, v21
	s_delay_alu instid0(VALU_DEP_1)
	v_lshlrev_b32_e32 v21, 2, v21
	ds_load_b32 v21, v21
	s_wait_dscnt 0x0
	v_add_nc_u32_e32 v21, v21, v29
	global_store_b8 v21, v20, s[40:41]
	s_wait_alu 0xfffe
	s_or_b32 exec_lo, exec_lo, s15
	v_cmp_lt_u32_e64 s19, v30, v2
	s_and_saveexec_b32 s15, s19
	s_cbranch_execz .LBB296_271
.LBB296_307:                            ;   in Loop: Header=BB296_228 Depth=2
	ds_load_u8 v20, v1 offset:1536
	s_wait_dscnt 0x0
	v_and_b32_e32 v21, 0xff, v20
	v_xor_b32_e32 v20, 0x7f, v20
	s_delay_alu instid0(VALU_DEP_2) | instskip(NEXT) | instid1(VALU_DEP_1)
	v_lshrrev_b32_e32 v21, s30, v21
	v_and_b32_e32 v21, s31, v21
	s_delay_alu instid0(VALU_DEP_1)
	v_lshlrev_b32_e32 v21, 2, v21
	ds_load_b32 v21, v21
	s_wait_dscnt 0x0
	v_add_nc_u32_e32 v21, v21, v30
	global_store_b8 v21, v20, s[40:41]
	s_wait_alu 0xfffe
	s_or_b32 exec_lo, exec_lo, s15
	v_cmp_lt_u32_e64 s18, v31, v2
	s_and_saveexec_b32 s15, s18
	s_cbranch_execz .LBB296_272
.LBB296_308:                            ;   in Loop: Header=BB296_228 Depth=2
	ds_load_u8 v20, v1 offset:1792
	s_wait_dscnt 0x0
	v_and_b32_e32 v21, 0xff, v20
	v_xor_b32_e32 v20, 0x7f, v20
	s_delay_alu instid0(VALU_DEP_2) | instskip(NEXT) | instid1(VALU_DEP_1)
	v_lshrrev_b32_e32 v21, s30, v21
	v_and_b32_e32 v21, s31, v21
	s_delay_alu instid0(VALU_DEP_1)
	v_lshlrev_b32_e32 v21, 2, v21
	ds_load_b32 v21, v21
	s_wait_dscnt 0x0
	v_add_nc_u32_e32 v21, v21, v31
	global_store_b8 v21, v20, s[40:41]
	s_wait_alu 0xfffe
	s_or_b32 exec_lo, exec_lo, s15
	v_cmp_lt_u32_e64 s17, v34, v2
	s_and_saveexec_b32 s15, s17
	s_cbranch_execz .LBB296_273
.LBB296_309:                            ;   in Loop: Header=BB296_228 Depth=2
	ds_load_u8 v20, v1 offset:2048
	s_wait_dscnt 0x0
	v_and_b32_e32 v21, 0xff, v20
	v_xor_b32_e32 v20, 0x7f, v20
	s_delay_alu instid0(VALU_DEP_2) | instskip(NEXT) | instid1(VALU_DEP_1)
	v_lshrrev_b32_e32 v21, s30, v21
	v_and_b32_e32 v21, s31, v21
	s_delay_alu instid0(VALU_DEP_1)
	v_lshlrev_b32_e32 v21, 2, v21
	ds_load_b32 v21, v21
	s_wait_dscnt 0x0
	v_add_nc_u32_e32 v21, v21, v34
	global_store_b8 v21, v20, s[40:41]
	s_wait_alu 0xfffe
	s_or_b32 exec_lo, exec_lo, s15
	v_cmp_lt_u32_e64 s16, v35, v2
	s_and_saveexec_b32 s15, s16
	s_cbranch_execz .LBB296_274
.LBB296_310:                            ;   in Loop: Header=BB296_228 Depth=2
	ds_load_u8 v20, v1 offset:2304
	s_wait_dscnt 0x0
	v_and_b32_e32 v21, 0xff, v20
	v_xor_b32_e32 v20, 0x7f, v20
	s_delay_alu instid0(VALU_DEP_2) | instskip(NEXT) | instid1(VALU_DEP_1)
	v_lshrrev_b32_e32 v21, s30, v21
	v_and_b32_e32 v21, s31, v21
	s_delay_alu instid0(VALU_DEP_1)
	v_lshlrev_b32_e32 v21, 2, v21
	ds_load_b32 v21, v21
	s_wait_dscnt 0x0
	v_add_nc_u32_e32 v21, v21, v35
	global_store_b8 v21, v20, s[40:41]
	s_wait_alu 0xfffe
	s_or_b32 exec_lo, exec_lo, s15
	v_cmp_lt_u32_e64 s15, v36, v2
	s_and_saveexec_b32 s44, s15
	s_cbranch_execz .LBB296_275
.LBB296_311:                            ;   in Loop: Header=BB296_228 Depth=2
	ds_load_u8 v20, v1 offset:2560
	s_wait_dscnt 0x0
	v_and_b32_e32 v21, 0xff, v20
	v_xor_b32_e32 v20, 0x7f, v20
	s_delay_alu instid0(VALU_DEP_2) | instskip(NEXT) | instid1(VALU_DEP_1)
	v_lshrrev_b32_e32 v21, s30, v21
	v_and_b32_e32 v21, s31, v21
	s_delay_alu instid0(VALU_DEP_1)
	v_lshlrev_b32_e32 v21, 2, v21
	ds_load_b32 v21, v21
	s_wait_dscnt 0x0
	v_add_nc_u32_e32 v21, v21, v36
	global_store_b8 v21, v20, s[40:41]
	s_wait_alu 0xfffe
	s_or_b32 exec_lo, exec_lo, s44
	v_cmp_lt_u32_e32 vcc_lo, v37, v2
	s_and_saveexec_b32 s44, vcc_lo
	s_cbranch_execnz .LBB296_276
	s_branch .LBB296_277
.LBB296_312:                            ;   in Loop: Header=BB296_228 Depth=2
	global_load_b64 v[18:19], v[20:21], off
	s_wait_alu 0xfffe
	s_or_b32 exec_lo, exec_lo, s22
	s_delay_alu instid0(SALU_CYCLE_1)
	s_mov_b32 s44, exec_lo
	v_cmpx_lt_u32_e64 v71, v2
	s_cbranch_execz .LBB296_279
.LBB296_313:                            ;   in Loop: Header=BB296_228 Depth=2
	global_load_b64 v[16:17], v[20:21], off offset:256
	s_wait_alu 0xfffe
	s_or_b32 exec_lo, exec_lo, s44
	s_delay_alu instid0(SALU_CYCLE_1)
	s_mov_b32 s44, exec_lo
	v_cmpx_lt_u32_e64 v72, v2
	s_cbranch_execz .LBB296_280
.LBB296_314:                            ;   in Loop: Header=BB296_228 Depth=2
	global_load_b64 v[14:15], v[20:21], off offset:512
	s_wait_alu 0xfffe
	s_or_b32 exec_lo, exec_lo, s44
	s_delay_alu instid0(SALU_CYCLE_1)
	s_mov_b32 s44, exec_lo
	v_cmpx_lt_u32_e64 v73, v2
	s_cbranch_execz .LBB296_281
.LBB296_315:                            ;   in Loop: Header=BB296_228 Depth=2
	global_load_b64 v[12:13], v[20:21], off offset:768
	s_wait_alu 0xfffe
	s_or_b32 exec_lo, exec_lo, s44
	s_delay_alu instid0(SALU_CYCLE_1)
	s_mov_b32 s44, exec_lo
	v_cmpx_lt_u32_e64 v74, v2
	s_cbranch_execz .LBB296_282
.LBB296_316:                            ;   in Loop: Header=BB296_228 Depth=2
	global_load_b64 v[10:11], v[20:21], off offset:1024
	s_wait_alu 0xfffe
	s_or_b32 exec_lo, exec_lo, s44
	s_delay_alu instid0(SALU_CYCLE_1)
	s_mov_b32 s44, exec_lo
	v_cmpx_lt_u32_e64 v75, v2
	s_cbranch_execz .LBB296_283
.LBB296_317:                            ;   in Loop: Header=BB296_228 Depth=2
	global_load_b64 v[8:9], v[20:21], off offset:1280
	s_wait_alu 0xfffe
	s_or_b32 exec_lo, exec_lo, s44
	s_delay_alu instid0(SALU_CYCLE_1)
	s_mov_b32 s44, exec_lo
	v_cmpx_lt_u32_e64 v76, v2
	s_cbranch_execz .LBB296_284
.LBB296_318:                            ;   in Loop: Header=BB296_228 Depth=2
	global_load_b64 v[6:7], v[20:21], off offset:1536
	s_wait_alu 0xfffe
	s_or_b32 exec_lo, exec_lo, s44
	s_delay_alu instid0(SALU_CYCLE_1)
	s_mov_b32 s44, exec_lo
	v_cmpx_lt_u32_e64 v77, v2
	s_cbranch_execz .LBB296_285
.LBB296_319:                            ;   in Loop: Header=BB296_228 Depth=2
	global_load_b64 v[4:5], v[20:21], off offset:1792
	s_wait_alu 0xfffe
	s_or_b32 exec_lo, exec_lo, s44
	s_and_saveexec_b32 s22, s20
	s_cbranch_execz .LBB296_286
.LBB296_320:                            ;   in Loop: Header=BB296_228 Depth=2
	ds_load_u8 v2, v1 offset:1024
	s_wait_dscnt 0x0
	v_lshrrev_b32_e32 v2, s30, v2
	s_delay_alu instid0(VALU_DEP_1)
	v_and_b32_e32 v93, s31, v2
	s_wait_alu 0xfffe
	s_or_b32 exec_lo, exec_lo, s22
	s_and_saveexec_b32 s22, s21
	s_cbranch_execz .LBB296_287
.LBB296_321:                            ;   in Loop: Header=BB296_228 Depth=2
	ds_load_u8 v2, v1 offset:1280
	s_wait_dscnt 0x0
	v_lshrrev_b32_e32 v2, s30, v2
	s_delay_alu instid0(VALU_DEP_1)
	v_and_b32_e32 v92, s31, v2
	s_wait_alu 0xfffe
	s_or_b32 exec_lo, exec_lo, s22
	s_and_saveexec_b32 s22, s19
	s_cbranch_execz .LBB296_288
.LBB296_322:                            ;   in Loop: Header=BB296_228 Depth=2
	ds_load_u8 v2, v1 offset:1536
	s_wait_dscnt 0x0
	v_lshrrev_b32_e32 v2, s30, v2
	s_delay_alu instid0(VALU_DEP_1)
	v_and_b32_e32 v91, s31, v2
	s_wait_alu 0xfffe
	s_or_b32 exec_lo, exec_lo, s22
	s_and_saveexec_b32 s22, s18
	s_cbranch_execz .LBB296_289
.LBB296_323:                            ;   in Loop: Header=BB296_228 Depth=2
	ds_load_u8 v2, v1 offset:1792
	s_wait_dscnt 0x0
	v_lshrrev_b32_e32 v2, s30, v2
	s_delay_alu instid0(VALU_DEP_1)
	v_and_b32_e32 v90, s31, v2
	s_wait_alu 0xfffe
	s_or_b32 exec_lo, exec_lo, s22
	s_and_saveexec_b32 s22, s17
	s_cbranch_execz .LBB296_290
.LBB296_324:                            ;   in Loop: Header=BB296_228 Depth=2
	ds_load_u8 v2, v1 offset:2048
	s_wait_dscnt 0x0
	v_lshrrev_b32_e32 v2, s30, v2
	s_delay_alu instid0(VALU_DEP_1)
	v_and_b32_e32 v89, s31, v2
	s_wait_alu 0xfffe
	s_or_b32 exec_lo, exec_lo, s22
	s_and_saveexec_b32 s22, s16
	s_cbranch_execz .LBB296_291
.LBB296_325:                            ;   in Loop: Header=BB296_228 Depth=2
	ds_load_u8 v2, v1 offset:2304
	s_wait_dscnt 0x0
	v_lshrrev_b32_e32 v2, s30, v2
	s_delay_alu instid0(VALU_DEP_1)
	v_and_b32_e32 v88, s31, v2
	s_wait_alu 0xfffe
	s_or_b32 exec_lo, exec_lo, s22
	s_and_saveexec_b32 s22, s15
	s_cbranch_execz .LBB296_292
.LBB296_326:                            ;   in Loop: Header=BB296_228 Depth=2
	ds_load_u8 v2, v1 offset:2560
	s_wait_dscnt 0x0
	v_lshrrev_b32_e32 v2, s30, v2
	s_delay_alu instid0(VALU_DEP_1)
	v_and_b32_e32 v87, s31, v2
	s_wait_alu 0xfffe
	s_or_b32 exec_lo, exec_lo, s22
	s_and_saveexec_b32 s22, vcc_lo
	s_cbranch_execnz .LBB296_293
	s_branch .LBB296_294
.LBB296_327:                            ;   in Loop: Header=BB296_228 Depth=2
	v_lshlrev_b32_e32 v2, 2, v93
	v_add_nc_u32_e32 v20, v1, v47
	ds_load_b32 v2, v2
	ds_load_b64 v[20:21], v20 offset:1024
	s_wait_dscnt 0x1
	v_add_nc_u32_e32 v2, v2, v1
	s_delay_alu instid0(VALU_DEP_1) | instskip(NEXT) | instid1(VALU_DEP_1)
	v_lshlrev_b64_e32 v[23:24], 3, v[2:3]
	v_add_co_u32 v23, s20, s26, v23
	s_wait_alu 0xf1ff
	s_delay_alu instid0(VALU_DEP_2)
	v_add_co_ci_u32_e64 v24, null, s27, v24, s20
	s_wait_dscnt 0x0
	global_store_b64 v[23:24], v[20:21], off
	s_wait_alu 0xfffe
	s_or_b32 exec_lo, exec_lo, s22
	s_and_saveexec_b32 s22, s21
	s_cbranch_execz .LBB296_296
.LBB296_328:                            ;   in Loop: Header=BB296_228 Depth=2
	v_lshlrev_b32_e32 v2, 2, v92
	v_add_nc_u32_e32 v20, v1, v47
	ds_load_b32 v2, v2
	ds_load_b64 v[20:21], v20 offset:3072
	s_wait_dscnt 0x1
	v_add_nc_u32_e32 v2, v2, v29
	s_delay_alu instid0(VALU_DEP_1) | instskip(NEXT) | instid1(VALU_DEP_1)
	v_lshlrev_b64_e32 v[23:24], 3, v[2:3]
	v_add_co_u32 v23, s20, s26, v23
	s_wait_alu 0xf1ff
	s_delay_alu instid0(VALU_DEP_2)
	v_add_co_ci_u32_e64 v24, null, s27, v24, s20
	s_wait_dscnt 0x0
	global_store_b64 v[23:24], v[20:21], off
	s_wait_alu 0xfffe
	s_or_b32 exec_lo, exec_lo, s22
	s_and_saveexec_b32 s20, s19
	s_cbranch_execz .LBB296_297
.LBB296_329:                            ;   in Loop: Header=BB296_228 Depth=2
	v_lshlrev_b32_e32 v2, 2, v91
	v_add_nc_u32_e32 v20, v1, v47
	ds_load_b32 v2, v2
	ds_load_b64 v[20:21], v20 offset:5120
	s_wait_dscnt 0x1
	v_add_nc_u32_e32 v2, v2, v30
	s_delay_alu instid0(VALU_DEP_1) | instskip(NEXT) | instid1(VALU_DEP_1)
	v_lshlrev_b64_e32 v[23:24], 3, v[2:3]
	v_add_co_u32 v23, s19, s26, v23
	s_wait_alu 0xf1ff
	s_delay_alu instid0(VALU_DEP_2)
	v_add_co_ci_u32_e64 v24, null, s27, v24, s19
	s_wait_dscnt 0x0
	global_store_b64 v[23:24], v[20:21], off
	s_wait_alu 0xfffe
	s_or_b32 exec_lo, exec_lo, s20
	s_and_saveexec_b32 s19, s18
	s_cbranch_execz .LBB296_298
.LBB296_330:                            ;   in Loop: Header=BB296_228 Depth=2
	v_lshlrev_b32_e32 v2, 2, v90
	v_add_nc_u32_e32 v20, v1, v47
	ds_load_b32 v2, v2
	ds_load_b64 v[20:21], v20 offset:7168
	s_wait_dscnt 0x1
	v_add_nc_u32_e32 v2, v2, v31
	s_delay_alu instid0(VALU_DEP_1) | instskip(NEXT) | instid1(VALU_DEP_1)
	v_lshlrev_b64_e32 v[23:24], 3, v[2:3]
	v_add_co_u32 v23, s18, s26, v23
	s_wait_alu 0xf1ff
	s_delay_alu instid0(VALU_DEP_2)
	v_add_co_ci_u32_e64 v24, null, s27, v24, s18
	s_wait_dscnt 0x0
	global_store_b64 v[23:24], v[20:21], off
	s_wait_alu 0xfffe
	s_or_b32 exec_lo, exec_lo, s19
	s_and_saveexec_b32 s18, s17
	s_cbranch_execz .LBB296_299
.LBB296_331:                            ;   in Loop: Header=BB296_228 Depth=2
	v_lshlrev_b32_e32 v2, 2, v89
	v_add_nc_u32_e32 v20, v1, v47
	ds_load_b32 v2, v2
	ds_load_b64 v[20:21], v20 offset:9216
	s_wait_dscnt 0x1
	v_add_nc_u32_e32 v2, v2, v34
	s_delay_alu instid0(VALU_DEP_1) | instskip(NEXT) | instid1(VALU_DEP_1)
	v_lshlrev_b64_e32 v[23:24], 3, v[2:3]
	v_add_co_u32 v23, s17, s26, v23
	s_wait_alu 0xf1ff
	s_delay_alu instid0(VALU_DEP_2)
	v_add_co_ci_u32_e64 v24, null, s27, v24, s17
	s_wait_dscnt 0x0
	global_store_b64 v[23:24], v[20:21], off
	s_wait_alu 0xfffe
	s_or_b32 exec_lo, exec_lo, s18
	s_and_saveexec_b32 s17, s16
	s_cbranch_execz .LBB296_300
.LBB296_332:                            ;   in Loop: Header=BB296_228 Depth=2
	v_lshlrev_b32_e32 v2, 2, v88
	v_add_nc_u32_e32 v20, v1, v47
	ds_load_b32 v2, v2
	ds_load_b64 v[20:21], v20 offset:11264
	s_wait_dscnt 0x1
	v_add_nc_u32_e32 v2, v2, v35
	s_delay_alu instid0(VALU_DEP_1) | instskip(NEXT) | instid1(VALU_DEP_1)
	v_lshlrev_b64_e32 v[23:24], 3, v[2:3]
	v_add_co_u32 v23, s16, s26, v23
	s_wait_alu 0xf1ff
	s_delay_alu instid0(VALU_DEP_2)
	v_add_co_ci_u32_e64 v24, null, s27, v24, s16
	s_wait_dscnt 0x0
	global_store_b64 v[23:24], v[20:21], off
	s_wait_alu 0xfffe
	s_or_b32 exec_lo, exec_lo, s17
	s_and_saveexec_b32 s16, s15
	s_cbranch_execz .LBB296_301
.LBB296_333:                            ;   in Loop: Header=BB296_228 Depth=2
	v_lshlrev_b32_e32 v2, 2, v87
	v_add_nc_u32_e32 v20, v1, v47
	ds_load_b32 v2, v2
	ds_load_b64 v[20:21], v20 offset:13312
	s_wait_dscnt 0x1
	v_add_nc_u32_e32 v2, v2, v36
	s_delay_alu instid0(VALU_DEP_1) | instskip(NEXT) | instid1(VALU_DEP_1)
	v_lshlrev_b64_e32 v[23:24], 3, v[2:3]
	v_add_co_u32 v23, s15, s26, v23
	s_wait_alu 0xf1ff
	s_delay_alu instid0(VALU_DEP_2)
	v_add_co_ci_u32_e64 v24, null, s27, v24, s15
	s_wait_dscnt 0x0
	global_store_b64 v[23:24], v[20:21], off
	s_wait_alu 0xfffe
	s_or_b32 exec_lo, exec_lo, s16
	s_and_saveexec_b32 s15, vcc_lo
	s_cbranch_execnz .LBB296_302
	s_branch .LBB296_303
.LBB296_334:                            ;   in Loop: Header=BB296_228 Depth=2
	global_load_u8 v94, v[20:21], off
	v_dual_mov_b32 v22, 0x80 :: v_dual_mov_b32 v27, 0x80
	v_dual_mov_b32 v96, 0x80 :: v_dual_mov_b32 v25, 0x80
	;; [unrolled: 1-line block ×3, first 2 shown]
	v_mov_b32_e32 v24, 0x80
	s_wait_alu 0xfffe
	s_or_b32 exec_lo, exec_lo, s15
	s_delay_alu instid0(SALU_CYCLE_1)
	s_mov_b32 s15, exec_lo
	v_cmpx_gt_u32_e64 s42, v71
	s_cbranch_execz .LBB296_233
.LBB296_335:                            ;   in Loop: Header=BB296_228 Depth=2
	global_load_u8 v96, v[20:21], off offset:32
	s_wait_alu 0xfffe
	s_or_b32 exec_lo, exec_lo, s15
	s_delay_alu instid0(SALU_CYCLE_1)
	s_mov_b32 s15, exec_lo
	v_cmpx_gt_u32_e64 s42, v72
	s_cbranch_execz .LBB296_234
.LBB296_336:                            ;   in Loop: Header=BB296_228 Depth=2
	global_load_u8 v27, v[20:21], off offset:64
	s_wait_alu 0xfffe
	s_or_b32 exec_lo, exec_lo, s15
	s_delay_alu instid0(SALU_CYCLE_1)
	s_mov_b32 s15, exec_lo
	v_cmpx_gt_u32_e64 s42, v73
	s_cbranch_execz .LBB296_235
.LBB296_337:                            ;   in Loop: Header=BB296_228 Depth=2
	global_load_u8 v26, v[20:21], off offset:96
	s_wait_alu 0xfffe
	s_or_b32 exec_lo, exec_lo, s15
	s_delay_alu instid0(SALU_CYCLE_1)
	s_mov_b32 s15, exec_lo
	v_cmpx_gt_u32_e64 s42, v74
	s_cbranch_execz .LBB296_236
.LBB296_338:                            ;   in Loop: Header=BB296_228 Depth=2
	global_load_u8 v25, v[20:21], off offset:128
	s_wait_alu 0xfffe
	s_or_b32 exec_lo, exec_lo, s15
	s_delay_alu instid0(SALU_CYCLE_1)
	s_mov_b32 s15, exec_lo
	v_cmpx_gt_u32_e64 s42, v75
	s_cbranch_execz .LBB296_237
.LBB296_339:                            ;   in Loop: Header=BB296_228 Depth=2
	global_load_u8 v24, v[20:21], off offset:160
	s_wait_alu 0xfffe
	s_or_b32 exec_lo, exec_lo, s15
	s_delay_alu instid0(SALU_CYCLE_1)
	s_mov_b32 s15, exec_lo
	v_cmpx_gt_u32_e64 s42, v76
	s_cbranch_execnz .LBB296_238
	s_branch .LBB296_239
.LBB296_340:                            ;   in Loop: Header=BB296_12 Depth=1
	s_wait_loadcnt_dscnt 0x0
	s_barrier_signal -1
	s_barrier_wait -1
.LBB296_341:                            ;   in Loop: Header=BB296_12 Depth=1
	s_mov_b32 s0, 0
.LBB296_342:                            ;   in Loop: Header=BB296_12 Depth=1
	s_wait_alu 0xfffe
	s_and_not1_b32 vcc_lo, exec_lo, s0
	s_wait_alu 0xfffe
	s_cbranch_vccnz .LBB296_11
; %bb.343:                              ;   in Loop: Header=BB296_12 Depth=1
	s_and_b32 vcc_lo, exec_lo, s35
	s_mov_b32 s0, -1
	s_wait_alu 0xfffe
	s_cbranch_vccz .LBB296_507
; %bb.344:                              ;   in Loop: Header=BB296_12 Depth=1
	v_dual_mov_b32 v7, 0 :: v_dual_mov_b32 v10, 0
	v_dual_mov_b32 v9, 0 :: v_dual_mov_b32 v8, 0
	;; [unrolled: 1-line block ×3, first 2 shown]
	v_mov_b32_e32 v4, 0
	v_mov_b32_e32 v2, 0
	s_mov_b32 s9, s47
	s_mov_b32 s22, s33
	s_barrier_signal -1
	s_barrier_wait -1
	global_inv scope:SCOPE_SE
	s_branch .LBB296_346
.LBB296_345:                            ;   in Loop: Header=BB296_346 Depth=2
	s_wait_alu 0xfffe
	s_or_b32 exec_lo, exec_lo, s0
	s_addk_co_i32 s9, 0xf800
	s_cmp_ge_u32 s10, s34
	s_mov_b32 s22, s10
	s_cbranch_scc1 .LBB296_382
.LBB296_346:                            ;   Parent Loop BB296_12 Depth=1
                                        ; =>  This Inner Loop Header: Depth=2
	s_wait_alu 0xfffe
	s_add_co_i32 s10, s22, 0x800
	s_mov_b32 s0, -1
	s_wait_alu 0xfffe
	s_cmp_gt_u32 s10, s34
                                        ; implicit-def: $vgpr11
                                        ; implicit-def: $vgpr12
                                        ; implicit-def: $vgpr13
                                        ; implicit-def: $vgpr14
                                        ; implicit-def: $vgpr15
                                        ; implicit-def: $vgpr16
                                        ; implicit-def: $vgpr17
                                        ; implicit-def: $vgpr18
	s_cbranch_scc1 .LBB296_348
; %bb.347:                              ;   in Loop: Header=BB296_346 Depth=2
	v_add_co_u32 v19, vcc_lo, v54, s22
	s_wait_alu 0xfffd
	v_add_co_ci_u32_e64 v20, null, 0, v55, vcc_lo
	s_mov_b32 s0, 0
	s_clause 0x7
	global_load_u8 v18, v[19:20], off offset:1792
	global_load_u8 v17, v[19:20], off offset:1536
	;; [unrolled: 1-line block ×7, first 2 shown]
	global_load_u8 v11, v[19:20], off
.LBB296_348:                            ;   in Loop: Header=BB296_346 Depth=2
	s_wait_alu 0xfffe
	s_and_not1_b32 vcc_lo, exec_lo, s0
	s_movk_i32 s0, 0x800
	s_wait_alu 0xfffe
	s_cbranch_vccnz .LBB296_359
; %bb.349:                              ;   in Loop: Header=BB296_346 Depth=2
	s_add_nc_u64 s[0:1], s[36:37], s[22:23]
	s_mov_b32 s11, exec_lo
	v_cmpx_gt_u32_e64 s9, v1
	s_cbranch_execnz .LBB296_375
; %bb.350:                              ;   in Loop: Header=BB296_346 Depth=2
	s_wait_alu 0xfffe
	s_or_b32 exec_lo, exec_lo, s11
	s_delay_alu instid0(SALU_CYCLE_1)
	s_mov_b32 s11, exec_lo
	v_cmpx_gt_u32_e64 s9, v29
	s_cbranch_execnz .LBB296_376
.LBB296_351:                            ;   in Loop: Header=BB296_346 Depth=2
	s_wait_alu 0xfffe
	s_or_b32 exec_lo, exec_lo, s11
	s_delay_alu instid0(SALU_CYCLE_1)
	s_mov_b32 s11, exec_lo
	v_cmpx_gt_u32_e64 s9, v30
	s_cbranch_execnz .LBB296_377
.LBB296_352:                            ;   in Loop: Header=BB296_346 Depth=2
	s_wait_alu 0xfffe
	s_or_b32 exec_lo, exec_lo, s11
	s_delay_alu instid0(SALU_CYCLE_1)
	s_mov_b32 s11, exec_lo
	v_cmpx_gt_u32_e64 s9, v31
	s_cbranch_execnz .LBB296_378
.LBB296_353:                            ;   in Loop: Header=BB296_346 Depth=2
	s_wait_alu 0xfffe
	s_or_b32 exec_lo, exec_lo, s11
	s_delay_alu instid0(SALU_CYCLE_1)
	s_mov_b32 s11, exec_lo
	v_cmpx_gt_u32_e64 s9, v34
	s_cbranch_execnz .LBB296_379
.LBB296_354:                            ;   in Loop: Header=BB296_346 Depth=2
	s_wait_alu 0xfffe
	s_or_b32 exec_lo, exec_lo, s11
	s_delay_alu instid0(SALU_CYCLE_1)
	s_mov_b32 s11, exec_lo
	v_cmpx_gt_u32_e64 s9, v35
	s_cbranch_execnz .LBB296_380
.LBB296_355:                            ;   in Loop: Header=BB296_346 Depth=2
	s_wait_alu 0xfffe
	s_or_b32 exec_lo, exec_lo, s11
	s_delay_alu instid0(SALU_CYCLE_1)
	s_mov_b32 s11, exec_lo
	v_cmpx_gt_u32_e64 s9, v36
	s_cbranch_execnz .LBB296_381
.LBB296_356:                            ;   in Loop: Header=BB296_346 Depth=2
	s_wait_alu 0xfffe
	s_or_b32 exec_lo, exec_lo, s11
	s_delay_alu instid0(SALU_CYCLE_1)
	s_mov_b32 s11, exec_lo
	v_cmpx_gt_u32_e64 s9, v37
	s_cbranch_execz .LBB296_358
.LBB296_357:                            ;   in Loop: Header=BB296_346 Depth=2
	s_wait_loadcnt 0x0
	v_add_co_u32 v11, s0, s0, v1
	s_wait_alu 0xf1ff
	v_add_co_ci_u32_e64 v12, null, s1, 0, s0
	global_load_u8 v2, v[11:12], off offset:1792
.LBB296_358:                            ;   in Loop: Header=BB296_346 Depth=2
	s_wait_alu 0xfffe
	s_or_b32 exec_lo, exec_lo, s11
	s_wait_loadcnt 0x0
	v_dual_mov_b32 v11, v7 :: v_dual_mov_b32 v12, v10
	v_dual_mov_b32 v13, v9 :: v_dual_mov_b32 v14, v8
	;; [unrolled: 1-line block ×4, first 2 shown]
	s_mov_b32 s0, s9
.LBB296_359:                            ;   in Loop: Header=BB296_346 Depth=2
	s_wait_loadcnt 0x5
	s_delay_alu instid0(VALU_DEP_1)
	v_dual_mov_b32 v2, v18 :: v_dual_mov_b32 v5, v16
	s_wait_loadcnt 0x2
	v_dual_mov_b32 v4, v17 :: v_dual_mov_b32 v9, v13
	s_wait_loadcnt 0x0
	v_dual_mov_b32 v6, v15 :: v_dual_mov_b32 v7, v11
	v_mov_b32_e32 v8, v14
	v_mov_b32_e32 v10, v12
	s_mov_b32 s1, exec_lo
	s_wait_alu 0xfffe
	v_cmpx_gt_u32_e64 s0, v1
	s_cbranch_execnz .LBB296_367
; %bb.360:                              ;   in Loop: Header=BB296_346 Depth=2
	s_or_b32 exec_lo, exec_lo, s1
	s_delay_alu instid0(SALU_CYCLE_1)
	s_mov_b32 s1, exec_lo
	v_cmpx_gt_u32_e64 s0, v29
	s_cbranch_execnz .LBB296_368
.LBB296_361:                            ;   in Loop: Header=BB296_346 Depth=2
	s_wait_alu 0xfffe
	s_or_b32 exec_lo, exec_lo, s1
	s_delay_alu instid0(SALU_CYCLE_1)
	s_mov_b32 s1, exec_lo
	v_cmpx_gt_u32_e64 s0, v30
	s_cbranch_execnz .LBB296_369
.LBB296_362:                            ;   in Loop: Header=BB296_346 Depth=2
	s_wait_alu 0xfffe
	s_or_b32 exec_lo, exec_lo, s1
	s_delay_alu instid0(SALU_CYCLE_1)
	s_mov_b32 s1, exec_lo
	v_cmpx_gt_u32_e64 s0, v31
	s_cbranch_execnz .LBB296_370
.LBB296_363:                            ;   in Loop: Header=BB296_346 Depth=2
	s_wait_alu 0xfffe
	s_or_b32 exec_lo, exec_lo, s1
	s_delay_alu instid0(SALU_CYCLE_1)
	s_mov_b32 s1, exec_lo
	v_cmpx_gt_u32_e64 s0, v34
	s_cbranch_execnz .LBB296_371
.LBB296_364:                            ;   in Loop: Header=BB296_346 Depth=2
	s_wait_alu 0xfffe
	s_or_b32 exec_lo, exec_lo, s1
	s_delay_alu instid0(SALU_CYCLE_1)
	s_mov_b32 s1, exec_lo
	v_cmpx_gt_u32_e64 s0, v35
	s_cbranch_execnz .LBB296_372
.LBB296_365:                            ;   in Loop: Header=BB296_346 Depth=2
	s_wait_alu 0xfffe
	s_or_b32 exec_lo, exec_lo, s1
	s_delay_alu instid0(SALU_CYCLE_1)
	s_mov_b32 s1, exec_lo
	v_cmpx_gt_u32_e64 s0, v36
	s_cbranch_execnz .LBB296_373
.LBB296_366:                            ;   in Loop: Header=BB296_346 Depth=2
	s_wait_alu 0xfffe
	s_or_b32 exec_lo, exec_lo, s1
	v_cmp_gt_u32_e32 vcc_lo, s0, v37
	s_and_saveexec_b32 s0, vcc_lo
	s_cbranch_execz .LBB296_345
	s_branch .LBB296_374
.LBB296_367:                            ;   in Loop: Header=BB296_346 Depth=2
	v_xor_b32_e32 v11, 0x7f, v7
	s_delay_alu instid0(VALU_DEP_1) | instskip(NEXT) | instid1(VALU_DEP_1)
	v_and_b32_e32 v11, 0xff, v11
	v_lshrrev_b32_e32 v11, s45, v11
	s_delay_alu instid0(VALU_DEP_1) | instskip(NEXT) | instid1(VALU_DEP_1)
	v_and_b32_e32 v11, s31, v11
	v_lshl_or_b32 v11, v11, 4, v39
	ds_add_u32 v11, v61
	s_or_b32 exec_lo, exec_lo, s1
	s_delay_alu instid0(SALU_CYCLE_1)
	s_mov_b32 s1, exec_lo
	v_cmpx_gt_u32_e64 s0, v29
	s_cbranch_execz .LBB296_361
.LBB296_368:                            ;   in Loop: Header=BB296_346 Depth=2
	v_xor_b32_e32 v11, 0x7f, v10
	s_delay_alu instid0(VALU_DEP_1) | instskip(NEXT) | instid1(VALU_DEP_1)
	v_and_b32_e32 v11, 0xff, v11
	v_lshrrev_b32_e32 v11, s45, v11
	s_delay_alu instid0(VALU_DEP_1) | instskip(NEXT) | instid1(VALU_DEP_1)
	v_and_b32_e32 v11, s31, v11
	v_lshl_or_b32 v11, v11, 4, v39
	ds_add_u32 v11, v61
	s_wait_alu 0xfffe
	s_or_b32 exec_lo, exec_lo, s1
	s_delay_alu instid0(SALU_CYCLE_1)
	s_mov_b32 s1, exec_lo
	v_cmpx_gt_u32_e64 s0, v30
	s_cbranch_execz .LBB296_362
.LBB296_369:                            ;   in Loop: Header=BB296_346 Depth=2
	v_xor_b32_e32 v11, 0x7f, v9
	s_delay_alu instid0(VALU_DEP_1) | instskip(NEXT) | instid1(VALU_DEP_1)
	v_and_b32_e32 v11, 0xff, v11
	v_lshrrev_b32_e32 v11, s45, v11
	s_delay_alu instid0(VALU_DEP_1) | instskip(NEXT) | instid1(VALU_DEP_1)
	v_and_b32_e32 v11, s31, v11
	v_lshl_or_b32 v11, v11, 4, v39
	ds_add_u32 v11, v61
	s_wait_alu 0xfffe
	s_or_b32 exec_lo, exec_lo, s1
	s_delay_alu instid0(SALU_CYCLE_1)
	s_mov_b32 s1, exec_lo
	v_cmpx_gt_u32_e64 s0, v31
	s_cbranch_execz .LBB296_363
.LBB296_370:                            ;   in Loop: Header=BB296_346 Depth=2
	v_xor_b32_e32 v11, 0x7f, v8
	s_delay_alu instid0(VALU_DEP_1) | instskip(NEXT) | instid1(VALU_DEP_1)
	v_and_b32_e32 v11, 0xff, v11
	v_lshrrev_b32_e32 v11, s45, v11
	s_delay_alu instid0(VALU_DEP_1) | instskip(NEXT) | instid1(VALU_DEP_1)
	v_and_b32_e32 v11, s31, v11
	v_lshl_or_b32 v11, v11, 4, v39
	ds_add_u32 v11, v61
	s_wait_alu 0xfffe
	s_or_b32 exec_lo, exec_lo, s1
	s_delay_alu instid0(SALU_CYCLE_1)
	s_mov_b32 s1, exec_lo
	v_cmpx_gt_u32_e64 s0, v34
	s_cbranch_execz .LBB296_364
.LBB296_371:                            ;   in Loop: Header=BB296_346 Depth=2
	v_xor_b32_e32 v11, 0x7f, v6
	s_delay_alu instid0(VALU_DEP_1) | instskip(NEXT) | instid1(VALU_DEP_1)
	v_and_b32_e32 v11, 0xff, v11
	v_lshrrev_b32_e32 v11, s45, v11
	s_delay_alu instid0(VALU_DEP_1) | instskip(NEXT) | instid1(VALU_DEP_1)
	v_and_b32_e32 v11, s31, v11
	v_lshl_or_b32 v11, v11, 4, v39
	ds_add_u32 v11, v61
	s_wait_alu 0xfffe
	s_or_b32 exec_lo, exec_lo, s1
	s_delay_alu instid0(SALU_CYCLE_1)
	s_mov_b32 s1, exec_lo
	v_cmpx_gt_u32_e64 s0, v35
	s_cbranch_execz .LBB296_365
.LBB296_372:                            ;   in Loop: Header=BB296_346 Depth=2
	v_xor_b32_e32 v11, 0x7f, v5
	s_delay_alu instid0(VALU_DEP_1) | instskip(NEXT) | instid1(VALU_DEP_1)
	v_and_b32_e32 v11, 0xff, v11
	v_lshrrev_b32_e32 v11, s45, v11
	s_delay_alu instid0(VALU_DEP_1) | instskip(NEXT) | instid1(VALU_DEP_1)
	v_and_b32_e32 v11, s31, v11
	v_lshl_or_b32 v11, v11, 4, v39
	ds_add_u32 v11, v61
	s_wait_alu 0xfffe
	s_or_b32 exec_lo, exec_lo, s1
	s_delay_alu instid0(SALU_CYCLE_1)
	s_mov_b32 s1, exec_lo
	v_cmpx_gt_u32_e64 s0, v36
	s_cbranch_execz .LBB296_366
.LBB296_373:                            ;   in Loop: Header=BB296_346 Depth=2
	v_xor_b32_e32 v11, 0x7f, v4
	s_delay_alu instid0(VALU_DEP_1) | instskip(NEXT) | instid1(VALU_DEP_1)
	v_and_b32_e32 v11, 0xff, v11
	v_lshrrev_b32_e32 v11, s45, v11
	s_delay_alu instid0(VALU_DEP_1) | instskip(NEXT) | instid1(VALU_DEP_1)
	v_and_b32_e32 v11, s31, v11
	v_lshl_or_b32 v11, v11, 4, v39
	ds_add_u32 v11, v61
	s_wait_alu 0xfffe
	s_or_b32 exec_lo, exec_lo, s1
	v_cmp_gt_u32_e32 vcc_lo, s0, v37
	s_and_saveexec_b32 s0, vcc_lo
	s_cbranch_execz .LBB296_345
.LBB296_374:                            ;   in Loop: Header=BB296_346 Depth=2
	v_xor_b32_e32 v11, 0x7f, v2
	s_delay_alu instid0(VALU_DEP_1) | instskip(NEXT) | instid1(VALU_DEP_1)
	v_and_b32_e32 v11, 0xff, v11
	v_lshrrev_b32_e32 v11, s45, v11
	s_delay_alu instid0(VALU_DEP_1) | instskip(NEXT) | instid1(VALU_DEP_1)
	v_and_b32_e32 v11, s31, v11
	v_lshl_or_b32 v11, v11, 4, v39
	ds_add_u32 v11, v61
	s_branch .LBB296_345
.LBB296_375:                            ;   in Loop: Header=BB296_346 Depth=2
	s_wait_loadcnt 0x0
	s_wait_alu 0xfffe
	v_add_co_u32 v11, s12, s0, v1
	s_wait_alu 0xf1ff
	v_add_co_ci_u32_e64 v12, null, s1, 0, s12
	global_load_u8 v7, v[11:12], off
	s_or_b32 exec_lo, exec_lo, s11
	s_delay_alu instid0(SALU_CYCLE_1)
	s_mov_b32 s11, exec_lo
	v_cmpx_gt_u32_e64 s9, v29
	s_cbranch_execz .LBB296_351
.LBB296_376:                            ;   in Loop: Header=BB296_346 Depth=2
	v_add_co_u32 v10, s12, s0, v1
	s_wait_loadcnt 0x0
	s_wait_alu 0xf1ff
	v_add_co_ci_u32_e64 v11, null, s1, 0, s12
	global_load_u8 v10, v[10:11], off offset:256
	s_wait_alu 0xfffe
	s_or_b32 exec_lo, exec_lo, s11
	s_delay_alu instid0(SALU_CYCLE_1)
	s_mov_b32 s11, exec_lo
	v_cmpx_gt_u32_e64 s9, v30
	s_cbranch_execz .LBB296_352
.LBB296_377:                            ;   in Loop: Header=BB296_346 Depth=2
	s_wait_loadcnt 0x0
	v_add_co_u32 v11, s12, s0, v1
	s_wait_alu 0xf1ff
	v_add_co_ci_u32_e64 v12, null, s1, 0, s12
	global_load_u8 v9, v[11:12], off offset:512
	s_wait_alu 0xfffe
	s_or_b32 exec_lo, exec_lo, s11
	s_delay_alu instid0(SALU_CYCLE_1)
	s_mov_b32 s11, exec_lo
	v_cmpx_gt_u32_e64 s9, v31
	s_cbranch_execz .LBB296_353
.LBB296_378:                            ;   in Loop: Header=BB296_346 Depth=2
	s_wait_loadcnt 0x0
	v_add_co_u32 v11, s12, s0, v1
	s_wait_alu 0xf1ff
	v_add_co_ci_u32_e64 v12, null, s1, 0, s12
	global_load_u8 v8, v[11:12], off offset:768
	s_wait_alu 0xfffe
	s_or_b32 exec_lo, exec_lo, s11
	s_delay_alu instid0(SALU_CYCLE_1)
	s_mov_b32 s11, exec_lo
	v_cmpx_gt_u32_e64 s9, v34
	s_cbranch_execz .LBB296_354
.LBB296_379:                            ;   in Loop: Header=BB296_346 Depth=2
	s_wait_loadcnt 0x0
	v_add_co_u32 v11, s12, s0, v1
	s_wait_alu 0xf1ff
	v_add_co_ci_u32_e64 v12, null, s1, 0, s12
	global_load_u8 v6, v[11:12], off offset:1024
	s_wait_alu 0xfffe
	s_or_b32 exec_lo, exec_lo, s11
	s_delay_alu instid0(SALU_CYCLE_1)
	s_mov_b32 s11, exec_lo
	v_cmpx_gt_u32_e64 s9, v35
	s_cbranch_execz .LBB296_355
.LBB296_380:                            ;   in Loop: Header=BB296_346 Depth=2
	s_wait_loadcnt 0x0
	v_add_co_u32 v11, s12, s0, v1
	s_wait_alu 0xf1ff
	v_add_co_ci_u32_e64 v12, null, s1, 0, s12
	global_load_u8 v5, v[11:12], off offset:1280
	s_wait_alu 0xfffe
	s_or_b32 exec_lo, exec_lo, s11
	s_delay_alu instid0(SALU_CYCLE_1)
	s_mov_b32 s11, exec_lo
	v_cmpx_gt_u32_e64 s9, v36
	s_cbranch_execz .LBB296_356
.LBB296_381:                            ;   in Loop: Header=BB296_346 Depth=2
	s_wait_loadcnt 0x0
	v_add_co_u32 v11, s12, s0, v1
	s_wait_alu 0xf1ff
	v_add_co_ci_u32_e64 v12, null, s1, 0, s12
	global_load_u8 v4, v[11:12], off offset:1536
	s_wait_alu 0xfffe
	s_or_b32 exec_lo, exec_lo, s11
	s_delay_alu instid0(SALU_CYCLE_1)
	s_mov_b32 s11, exec_lo
	v_cmpx_gt_u32_e64 s9, v37
	s_cbranch_execnz .LBB296_357
	s_branch .LBB296_358
.LBB296_382:                            ;   in Loop: Header=BB296_12 Depth=1
	v_mov_b32_e32 v2, 0
	s_wait_dscnt 0x0
	s_barrier_signal -1
	s_barrier_wait -1
	global_inv scope:SCOPE_SE
	s_and_saveexec_b32 s0, s2
	s_cbranch_execz .LBB296_384
; %bb.383:                              ;   in Loop: Header=BB296_12 Depth=1
	ds_load_2addr_b64 v[4:7], v40 offset1:1
	s_wait_dscnt 0x0
	v_add_nc_u32_e32 v2, v5, v4
	s_delay_alu instid0(VALU_DEP_1)
	v_add3_u32 v2, v2, v6, v7
.LBB296_384:                            ;   in Loop: Header=BB296_12 Depth=1
	s_wait_alu 0xfffe
	s_or_b32 exec_lo, exec_lo, s0
	s_delay_alu instid0(VALU_DEP_1)
	v_mov_b32_dpp v4, v2 row_shr:1 row_mask:0xf bank_mask:0xf
	v_cmp_eq_u32_e64 s0, 0, v62
	v_cmp_lt_u32_e64 s1, 1, v62
	v_cmp_lt_u32_e64 s9, 3, v62
	;; [unrolled: 1-line block ×3, first 2 shown]
	v_cmp_eq_u32_e64 s11, 0, v64
	s_wait_alu 0xf1ff
	v_cndmask_b32_e64 v4, v4, 0, s0
	s_delay_alu instid0(VALU_DEP_1) | instskip(NEXT) | instid1(VALU_DEP_1)
	v_add_nc_u32_e32 v2, v4, v2
	v_mov_b32_dpp v4, v2 row_shr:2 row_mask:0xf bank_mask:0xf
	s_delay_alu instid0(VALU_DEP_1) | instskip(NEXT) | instid1(VALU_DEP_1)
	v_cndmask_b32_e64 v4, 0, v4, s1
	v_add_nc_u32_e32 v2, v2, v4
	s_delay_alu instid0(VALU_DEP_1) | instskip(NEXT) | instid1(VALU_DEP_1)
	v_mov_b32_dpp v4, v2 row_shr:4 row_mask:0xf bank_mask:0xf
	v_cndmask_b32_e64 v4, 0, v4, s9
	s_delay_alu instid0(VALU_DEP_1) | instskip(NEXT) | instid1(VALU_DEP_1)
	v_add_nc_u32_e32 v2, v2, v4
	v_mov_b32_dpp v4, v2 row_shr:8 row_mask:0xf bank_mask:0xf
	s_delay_alu instid0(VALU_DEP_1) | instskip(NEXT) | instid1(VALU_DEP_1)
	v_cndmask_b32_e64 v4, 0, v4, s10
	v_add_nc_u32_e32 v2, v2, v4
	ds_swizzle_b32 v4, v2 offset:swizzle(BROADCAST,32,15)
	s_wait_dscnt 0x0
	v_and_b32_e32 v4, v63, v4
	s_delay_alu instid0(VALU_DEP_1)
	v_add_nc_u32_e32 v2, v2, v4
	s_and_saveexec_b32 s12, s3
; %bb.385:                              ;   in Loop: Header=BB296_12 Depth=1
	ds_store_b32 v41, v2
; %bb.386:                              ;   in Loop: Header=BB296_12 Depth=1
	s_wait_alu 0xfffe
	s_or_b32 exec_lo, exec_lo, s12
	s_wait_loadcnt_dscnt 0x0
	s_barrier_signal -1
	s_barrier_wait -1
	global_inv scope:SCOPE_SE
	s_and_saveexec_b32 s12, s4
	s_cbranch_execz .LBB296_388
; %bb.387:                              ;   in Loop: Header=BB296_12 Depth=1
	ds_load_b32 v4, v42
	v_cmp_ne_u32_e32 vcc_lo, 0, v65
	s_wait_dscnt 0x0
	v_mov_b32_dpp v5, v4 row_shr:1 row_mask:0xf bank_mask:0xf
	s_wait_alu 0xfffd
	s_delay_alu instid0(VALU_DEP_1) | instskip(SKIP_1) | instid1(VALU_DEP_2)
	v_cndmask_b32_e32 v5, 0, v5, vcc_lo
	v_cmp_lt_u32_e32 vcc_lo, 1, v65
	v_add_nc_u32_e32 v4, v5, v4
	s_delay_alu instid0(VALU_DEP_1) | instskip(SKIP_1) | instid1(VALU_DEP_1)
	v_mov_b32_dpp v5, v4 row_shr:2 row_mask:0xf bank_mask:0xf
	s_wait_alu 0xfffd
	v_cndmask_b32_e32 v5, 0, v5, vcc_lo
	v_cmp_lt_u32_e32 vcc_lo, 3, v65
	s_delay_alu instid0(VALU_DEP_2) | instskip(NEXT) | instid1(VALU_DEP_1)
	v_add_nc_u32_e32 v4, v4, v5
	v_mov_b32_dpp v5, v4 row_shr:4 row_mask:0xf bank_mask:0xf
	s_wait_alu 0xfffd
	s_delay_alu instid0(VALU_DEP_1) | instskip(NEXT) | instid1(VALU_DEP_1)
	v_cndmask_b32_e32 v5, 0, v5, vcc_lo
	v_add_nc_u32_e32 v4, v4, v5
	ds_store_b32 v42, v4
.LBB296_388:                            ;   in Loop: Header=BB296_12 Depth=1
	s_wait_alu 0xfffe
	s_or_b32 exec_lo, exec_lo, s12
	v_mov_b32_e32 v4, 0
	s_wait_loadcnt_dscnt 0x0
	s_barrier_signal -1
	s_barrier_wait -1
	global_inv scope:SCOPE_SE
	s_and_saveexec_b32 s12, s5
; %bb.389:                              ;   in Loop: Header=BB296_12 Depth=1
	ds_load_b32 v4, v43
; %bb.390:                              ;   in Loop: Header=BB296_12 Depth=1
	s_wait_alu 0xfffe
	s_or_b32 exec_lo, exec_lo, s12
	v_cmp_gt_i32_e32 vcc_lo, 0, v67
	s_wait_dscnt 0x0
	v_add_nc_u32_e32 v2, v4, v2
	s_wait_loadcnt 0x0
	s_barrier_signal -1
	s_barrier_wait -1
	s_wait_alu 0xfffd
	v_cndmask_b32_e32 v5, v67, v58, vcc_lo
	global_inv scope:SCOPE_SE
	v_lshlrev_b32_e32 v80, 2, v5
	ds_bpermute_b32 v2, v80, v2
	s_and_saveexec_b32 s12, s2
	s_cbranch_execz .LBB296_392
; %bb.391:                              ;   in Loop: Header=BB296_12 Depth=1
	s_wait_dscnt 0x0
	v_cndmask_b32_e64 v2, v2, v4, s8
	s_delay_alu instid0(VALU_DEP_1)
	v_add_nc_u32_e32 v2, s33, v2
	ds_store_b32 v28, v2
.LBB296_392:                            ;   in Loop: Header=BB296_12 Depth=1
	s_wait_alu 0xfffe
	s_or_b32 exec_lo, exec_lo, s12
	s_load_b64 s[12:13], s[28:29], 0x0
	v_add_co_u32 v81, vcc_lo, v56, v66
	s_wait_alu 0xfffd
	v_add_co_ci_u32_e64 v82, null, 0, v57, vcc_lo
	v_add_co_u32 v83, vcc_lo, v59, v58
	s_wait_alu 0xfffd
	v_add_co_ci_u32_e64 v84, null, 0, v60, vcc_lo
	s_mov_b32 s42, s47
                                        ; implicit-def: $vgpr6_vgpr7
                                        ; implicit-def: $vgpr8_vgpr9
                                        ; implicit-def: $vgpr10_vgpr11
                                        ; implicit-def: $vgpr12_vgpr13
                                        ; implicit-def: $vgpr14_vgpr15
                                        ; implicit-def: $vgpr16_vgpr17
                                        ; implicit-def: $vgpr18_vgpr19
                                        ; implicit-def: $vgpr86
                                        ; implicit-def: $vgpr87
                                        ; implicit-def: $vgpr88
                                        ; implicit-def: $vgpr89
                                        ; implicit-def: $vgpr90
                                        ; implicit-def: $vgpr91
                                        ; implicit-def: $vgpr92
                                        ; implicit-def: $vgpr93
	s_wait_kmcnt 0x0
	s_cmp_lt_u32 ttmp7, s13
	s_cselect_b32 s22, 14, 20
	s_cmp_lt_u32 ttmp9, s12
	s_wait_alu 0xfffe
	s_add_nc_u64 s[14:15], s[28:29], s[22:23]
	s_cselect_b32 s22, 12, 18
	s_load_u16 s14, s[14:15], 0x0
	s_add_nc_u64 s[12:13], s[28:29], s[22:23]
	s_mov_b32 s22, s33
	s_load_u16 s12, s[12:13], 0x0
	v_cmp_lt_u32_e64 s13, 1, v65
	s_wait_dscnt 0x0
	s_wait_kmcnt 0x0
	v_mad_u32_u24 v2, v44, s14, v0
	v_cmp_lt_u32_e64 s14, 3, v65
	s_delay_alu instid0(VALU_DEP_2) | instskip(SKIP_1) | instid1(VALU_DEP_2)
	v_mad_co_u64_u32 v[4:5], null, v2, s12, v[1:2]
	v_cmp_eq_u32_e64 s12, 0, v65
	v_lshrrev_b32_e32 v2, 3, v4
                                        ; implicit-def: $vgpr4_vgpr5
	s_delay_alu instid0(VALU_DEP_1)
	v_and_b32_e32 v85, 0x1ffffffc, v2
	s_branch .LBB296_394
.LBB296_393:                            ;   in Loop: Header=BB296_394 Depth=2
	s_wait_alu 0xfffe
	s_or_b32 exec_lo, exec_lo, s15
	s_addk_co_i32 s42, 0xf800
	s_cmp_lt_u32 s43, s34
	s_mov_b32 s22, s43
	s_cbranch_scc0 .LBB296_506
.LBB296_394:                            ;   Parent Loop BB296_12 Depth=1
                                        ; =>  This Inner Loop Header: Depth=2
	s_wait_alu 0xfffe
	s_add_co_i32 s43, s22, 0x800
	s_wait_alu 0xfffe
	s_cmp_gt_u32 s43, s34
	s_cbranch_scc1 .LBB296_396
; %bb.395:                              ;   in Loop: Header=BB296_394 Depth=2
	v_add_co_u32 v20, vcc_lo, v83, s22
	s_wait_alu 0xfffd
	v_add_co_ci_u32_e64 v21, null, 0, v84, vcc_lo
	s_mov_b32 s15, -1
	s_clause 0x6
	global_load_u8 v23, v[20:21], off offset:192
	global_load_u8 v24, v[20:21], off offset:160
	;; [unrolled: 1-line block ×6, first 2 shown]
	global_load_u8 v94, v[20:21], off
	s_movk_i32 s16, 0x800
                                        ; implicit-def: $vgpr22
	s_cbranch_execz .LBB296_397
	s_branch .LBB296_406
.LBB296_396:                            ;   in Loop: Header=BB296_394 Depth=2
	s_mov_b32 s15, 0
                                        ; implicit-def: $vgpr94
                                        ; implicit-def: $vgpr96
                                        ; implicit-def: $vgpr27
                                        ; implicit-def: $vgpr26
                                        ; implicit-def: $vgpr25
                                        ; implicit-def: $vgpr24
                                        ; implicit-def: $vgpr23
	s_movk_i32 s16, 0x800
                                        ; implicit-def: $vgpr22
.LBB296_397:                            ;   in Loop: Header=BB296_394 Depth=2
	v_add_co_u32 v20, vcc_lo, v83, s22
	s_wait_alu 0xfffd
	v_add_co_ci_u32_e64 v21, null, 0, v84, vcc_lo
	s_wait_loadcnt 0x2
	v_dual_mov_b32 v22, 0x80 :: v_dual_mov_b32 v27, 0x80
	s_wait_loadcnt 0x0
	v_dual_mov_b32 v94, 0x80 :: v_dual_mov_b32 v25, 0x80
	v_dual_mov_b32 v96, 0x80 :: v_dual_mov_b32 v23, 0x80
	v_mov_b32_e32 v26, 0x80
	v_mov_b32_e32 v24, 0x80
	s_mov_b32 s15, exec_lo
	v_cmpx_gt_u32_e64 s42, v68
	s_cbranch_execnz .LBB296_500
; %bb.398:                              ;   in Loop: Header=BB296_394 Depth=2
	s_wait_alu 0xfffe
	s_or_b32 exec_lo, exec_lo, s15
	s_delay_alu instid0(SALU_CYCLE_1)
	s_mov_b32 s15, exec_lo
	v_cmpx_gt_u32_e64 s42, v71
	s_cbranch_execnz .LBB296_501
.LBB296_399:                            ;   in Loop: Header=BB296_394 Depth=2
	s_wait_alu 0xfffe
	s_or_b32 exec_lo, exec_lo, s15
	s_delay_alu instid0(SALU_CYCLE_1)
	s_mov_b32 s15, exec_lo
	v_cmpx_gt_u32_e64 s42, v72
	s_cbranch_execnz .LBB296_502
.LBB296_400:                            ;   in Loop: Header=BB296_394 Depth=2
	s_wait_alu 0xfffe
	s_or_b32 exec_lo, exec_lo, s15
	s_delay_alu instid0(SALU_CYCLE_1)
	s_mov_b32 s15, exec_lo
	v_cmpx_gt_u32_e64 s42, v73
	s_cbranch_execnz .LBB296_503
.LBB296_401:                            ;   in Loop: Header=BB296_394 Depth=2
	s_wait_alu 0xfffe
	s_or_b32 exec_lo, exec_lo, s15
	s_delay_alu instid0(SALU_CYCLE_1)
	s_mov_b32 s15, exec_lo
	v_cmpx_gt_u32_e64 s42, v74
	s_cbranch_execnz .LBB296_504
.LBB296_402:                            ;   in Loop: Header=BB296_394 Depth=2
	s_wait_alu 0xfffe
	s_or_b32 exec_lo, exec_lo, s15
	s_delay_alu instid0(SALU_CYCLE_1)
	s_mov_b32 s15, exec_lo
	v_cmpx_gt_u32_e64 s42, v75
	s_cbranch_execnz .LBB296_505
.LBB296_403:                            ;   in Loop: Header=BB296_394 Depth=2
	s_wait_alu 0xfffe
	s_or_b32 exec_lo, exec_lo, s15
	s_delay_alu instid0(SALU_CYCLE_1)
	s_mov_b32 s15, exec_lo
	v_cmpx_gt_u32_e64 s42, v76
	s_cbranch_execz .LBB296_405
.LBB296_404:                            ;   in Loop: Header=BB296_394 Depth=2
	global_load_u8 v23, v[20:21], off offset:192
.LBB296_405:                            ;   in Loop: Header=BB296_394 Depth=2
	s_wait_alu 0xfffe
	s_or_b32 exec_lo, exec_lo, s15
	v_cmp_gt_u32_e64 s15, s42, v77
	s_sub_co_i32 s16, s34, s22
.LBB296_406:                            ;   in Loop: Header=BB296_394 Depth=2
	v_mov_b32_e32 v2, s42
	s_wait_alu 0xfffe
	s_and_saveexec_b32 s17, s15
	s_cbranch_execz .LBB296_408
; %bb.407:                              ;   in Loop: Header=BB296_394 Depth=2
	v_add_co_u32 v20, vcc_lo, v83, s22
	s_wait_alu 0xfffd
	v_add_co_ci_u32_e64 v21, null, s23, v84, vcc_lo
	v_mov_b32_e32 v2, s16
	global_load_u8 v22, v[20:21], off offset:224
.LBB296_408:                            ;   in Loop: Header=BB296_394 Depth=2
	s_wait_alu 0xfffe
	s_or_b32 exec_lo, exec_lo, s17
	s_wait_loadcnt 0x0
	v_xor_b32_e32 v94, 0x7f, v94
	s_delay_alu instid0(VALU_DEP_1) | instskip(NEXT) | instid1(VALU_DEP_1)
	v_and_b32_e32 v20, 0xff, v94
	v_lshrrev_b32_e32 v20, s45, v20
	s_delay_alu instid0(VALU_DEP_1) | instskip(NEXT) | instid1(VALU_DEP_1)
	v_and_b32_e32 v21, s31, v20
	v_and_b32_e32 v20, 1, v21
	v_lshlrev_b32_e32 v95, 30, v21
	v_lshlrev_b32_e32 v97, 29, v21
	;; [unrolled: 1-line block ×4, first 2 shown]
	v_add_co_u32 v20, s15, v20, -1
	s_wait_alu 0xf1ff
	v_cndmask_b32_e64 v99, 0, 1, s15
	v_not_b32_e32 v103, v95
	v_cmp_gt_i32_e64 s15, 0, v95
	v_not_b32_e32 v95, v97
	v_lshlrev_b32_e32 v101, 26, v21
	v_cmp_ne_u32_e32 vcc_lo, 0, v99
	v_ashrrev_i32_e32 v103, 31, v103
	v_lshlrev_b32_e32 v102, 25, v21
	v_ashrrev_i32_e32 v95, 31, v95
	v_lshlrev_b32_e32 v99, 24, v21
	s_wait_alu 0xfffd
	v_xor_b32_e32 v20, vcc_lo, v20
	v_cmp_gt_i32_e32 vcc_lo, 0, v97
	v_not_b32_e32 v97, v98
	s_wait_alu 0xf1ff
	v_xor_b32_e32 v103, s15, v103
	v_cmp_gt_i32_e64 s15, 0, v98
	v_and_b32_e32 v20, exec_lo, v20
	v_not_b32_e32 v98, v100
	v_ashrrev_i32_e32 v97, 31, v97
	s_wait_alu 0xfffd
	v_xor_b32_e32 v95, vcc_lo, v95
	v_cmp_gt_i32_e32 vcc_lo, 0, v100
	v_and_b32_e32 v20, v20, v103
	v_not_b32_e32 v100, v101
	v_ashrrev_i32_e32 v98, 31, v98
	s_wait_alu 0xf1ff
	v_xor_b32_e32 v97, s15, v97
	v_cmp_gt_i32_e64 s15, 0, v101
	v_and_b32_e32 v20, v20, v95
	v_not_b32_e32 v95, v102
	v_ashrrev_i32_e32 v100, 31, v100
	s_wait_alu 0xfffd
	v_xor_b32_e32 v98, vcc_lo, v98
	v_cmp_gt_i32_e32 vcc_lo, 0, v102
	v_and_b32_e32 v20, v20, v97
	v_not_b32_e32 v97, v99
	v_ashrrev_i32_e32 v95, 31, v95
	s_wait_alu 0xf1ff
	v_xor_b32_e32 v100, s15, v100
	v_cmp_gt_i32_e64 s15, 0, v99
	v_and_b32_e32 v20, v20, v98
	v_ashrrev_i32_e32 v97, 31, v97
	s_wait_alu 0xfffd
	v_xor_b32_e32 v95, vcc_lo, v95
	v_mul_u32_u24_e32 v21, 36, v21
	v_add_nc_u32_e32 v99, 0x428, v45
	v_and_b32_e32 v20, v20, v100
	s_wait_alu 0xf1ff
	v_xor_b32_e32 v98, s15, v97
	v_add_nc_u32_e32 v97, 0x438, v45
	v_add_nc_u32_e32 v100, 0x430, v45
	v_add_nc_u32_e32 v101, v85, v21
	v_and_b32_e32 v20, v20, v95
	ds_store_2addr_b32 v97, v3, v3 offset1:1
	v_and_b32_e32 v20, v20, v98
	v_add_nc_u32_e32 v98, 0x420, v45
	ds_store_2addr_b32 v98, v3, v3 offset1:1
	ds_store_2addr_b32 v99, v3, v3 offset1:1
	;; [unrolled: 1-line block ×3, first 2 shown]
	ds_store_b32 v45, v3 offset:1088
	v_mbcnt_lo_u32_b32 v95, v20, 0
	v_cmp_ne_u32_e64 s15, 0, v20
	s_wait_dscnt 0x0
	s_barrier_signal -1
	s_barrier_wait -1
	v_cmp_eq_u32_e32 vcc_lo, 0, v95
	global_inv scope:SCOPE_SE
	; wave barrier
	s_and_b32 s16, s15, vcc_lo
	s_wait_alu 0xfffe
	s_and_saveexec_b32 s15, s16
; %bb.409:                              ;   in Loop: Header=BB296_394 Depth=2
	v_bcnt_u32_b32 v20, v20, 0
	ds_store_b32 v101, v20 offset:1056
; %bb.410:                              ;   in Loop: Header=BB296_394 Depth=2
	s_wait_alu 0xfffe
	s_or_b32 exec_lo, exec_lo, s15
	v_xor_b32_e32 v96, 0x7f, v96
	; wave barrier
	s_delay_alu instid0(VALU_DEP_1) | instskip(NEXT) | instid1(VALU_DEP_1)
	v_and_b32_e32 v20, 0xff, v96
	v_lshrrev_b32_e32 v20, s45, v20
	s_delay_alu instid0(VALU_DEP_1) | instskip(NEXT) | instid1(VALU_DEP_1)
	v_and_b32_e32 v21, s31, v20
	v_and_b32_e32 v20, 1, v21
	v_lshlrev_b32_e32 v102, 30, v21
	v_lshlrev_b32_e32 v103, 29, v21
	;; [unrolled: 1-line block ×4, first 2 shown]
	v_add_co_u32 v20, s15, v20, -1
	s_wait_alu 0xf1ff
	v_cndmask_b32_e64 v105, 0, 1, s15
	v_not_b32_e32 v109, v102
	v_cmp_gt_i32_e64 s15, 0, v102
	v_not_b32_e32 v102, v103
	v_lshlrev_b32_e32 v107, 26, v21
	v_cmp_ne_u32_e32 vcc_lo, 0, v105
	v_ashrrev_i32_e32 v109, 31, v109
	v_lshlrev_b32_e32 v108, 25, v21
	v_ashrrev_i32_e32 v102, 31, v102
	v_lshlrev_b32_e32 v105, 24, v21
	s_wait_alu 0xfffd
	v_xor_b32_e32 v20, vcc_lo, v20
	v_cmp_gt_i32_e32 vcc_lo, 0, v103
	v_not_b32_e32 v103, v104
	s_wait_alu 0xf1ff
	v_xor_b32_e32 v109, s15, v109
	v_cmp_gt_i32_e64 s15, 0, v104
	v_and_b32_e32 v20, exec_lo, v20
	v_not_b32_e32 v104, v106
	v_ashrrev_i32_e32 v103, 31, v103
	s_wait_alu 0xfffd
	v_xor_b32_e32 v102, vcc_lo, v102
	v_cmp_gt_i32_e32 vcc_lo, 0, v106
	v_and_b32_e32 v20, v20, v109
	v_not_b32_e32 v106, v107
	v_ashrrev_i32_e32 v104, 31, v104
	s_wait_alu 0xf1ff
	v_xor_b32_e32 v103, s15, v103
	v_cmp_gt_i32_e64 s15, 0, v107
	v_and_b32_e32 v20, v20, v102
	v_not_b32_e32 v102, v108
	v_ashrrev_i32_e32 v106, 31, v106
	s_wait_alu 0xfffd
	v_xor_b32_e32 v104, vcc_lo, v104
	v_cmp_gt_i32_e32 vcc_lo, 0, v108
	v_and_b32_e32 v20, v20, v103
	v_not_b32_e32 v103, v105
	v_ashrrev_i32_e32 v102, 31, v102
	s_wait_alu 0xf1ff
	v_xor_b32_e32 v106, s15, v106
	v_cmp_gt_i32_e64 s15, 0, v105
	v_and_b32_e32 v20, v20, v104
	v_ashrrev_i32_e32 v103, 31, v103
	s_wait_alu 0xfffd
	v_xor_b32_e32 v102, vcc_lo, v102
	v_mad_u32_u24 v104, v21, 36, v85
	v_mul_u32_u24_e32 v21, 36, v21
	v_and_b32_e32 v20, v20, v106
	s_wait_alu 0xf1ff
	v_xor_b32_e32 v103, s15, v103
	s_delay_alu instid0(VALU_DEP_3) | instskip(NEXT) | instid1(VALU_DEP_3)
	v_add_nc_u32_e32 v105, v85, v21
	v_and_b32_e32 v20, v20, v102
	ds_load_b32 v102, v104 offset:1056
	; wave barrier
	v_and_b32_e32 v20, v20, v103
	s_delay_alu instid0(VALU_DEP_1) | instskip(SKIP_1) | instid1(VALU_DEP_2)
	v_mbcnt_lo_u32_b32 v103, v20, 0
	v_cmp_ne_u32_e64 s15, 0, v20
	v_cmp_eq_u32_e32 vcc_lo, 0, v103
	s_and_b32 s16, s15, vcc_lo
	s_wait_alu 0xfffe
	s_and_saveexec_b32 s15, s16
	s_cbranch_execz .LBB296_412
; %bb.411:                              ;   in Loop: Header=BB296_394 Depth=2
	s_wait_dscnt 0x0
	v_bcnt_u32_b32 v20, v20, v102
	ds_store_b32 v105, v20 offset:1056
.LBB296_412:                            ;   in Loop: Header=BB296_394 Depth=2
	s_wait_alu 0xfffe
	s_or_b32 exec_lo, exec_lo, s15
	v_xor_b32_e32 v104, 0x7f, v27
	; wave barrier
	s_delay_alu instid0(VALU_DEP_1) | instskip(NEXT) | instid1(VALU_DEP_1)
	v_and_b32_e32 v20, 0xff, v104
	v_lshrrev_b32_e32 v20, s45, v20
	s_delay_alu instid0(VALU_DEP_1) | instskip(NEXT) | instid1(VALU_DEP_1)
	v_and_b32_e32 v21, s31, v20
	v_and_b32_e32 v20, 1, v21
	v_lshlrev_b32_e32 v27, 30, v21
	v_lshlrev_b32_e32 v106, 29, v21
	;; [unrolled: 1-line block ×4, first 2 shown]
	v_add_co_u32 v20, s15, v20, -1
	s_wait_alu 0xf1ff
	v_cndmask_b32_e64 v108, 0, 1, s15
	v_not_b32_e32 v112, v27
	v_cmp_gt_i32_e64 s15, 0, v27
	v_not_b32_e32 v27, v106
	v_lshlrev_b32_e32 v110, 26, v21
	v_cmp_ne_u32_e32 vcc_lo, 0, v108
	v_ashrrev_i32_e32 v112, 31, v112
	v_lshlrev_b32_e32 v111, 25, v21
	v_ashrrev_i32_e32 v27, 31, v27
	v_lshlrev_b32_e32 v108, 24, v21
	s_wait_alu 0xfffd
	v_xor_b32_e32 v20, vcc_lo, v20
	v_cmp_gt_i32_e32 vcc_lo, 0, v106
	v_not_b32_e32 v106, v107
	s_wait_alu 0xf1ff
	v_xor_b32_e32 v112, s15, v112
	v_cmp_gt_i32_e64 s15, 0, v107
	v_and_b32_e32 v20, exec_lo, v20
	v_not_b32_e32 v107, v109
	v_ashrrev_i32_e32 v106, 31, v106
	s_wait_alu 0xfffd
	v_xor_b32_e32 v27, vcc_lo, v27
	v_cmp_gt_i32_e32 vcc_lo, 0, v109
	v_and_b32_e32 v20, v20, v112
	v_not_b32_e32 v109, v110
	v_ashrrev_i32_e32 v107, 31, v107
	s_wait_alu 0xf1ff
	v_xor_b32_e32 v106, s15, v106
	v_cmp_gt_i32_e64 s15, 0, v110
	v_and_b32_e32 v20, v20, v27
	v_not_b32_e32 v27, v111
	v_ashrrev_i32_e32 v109, 31, v109
	s_wait_alu 0xfffd
	v_xor_b32_e32 v107, vcc_lo, v107
	v_cmp_gt_i32_e32 vcc_lo, 0, v111
	v_and_b32_e32 v20, v20, v106
	v_not_b32_e32 v106, v108
	v_ashrrev_i32_e32 v27, 31, v27
	s_wait_alu 0xf1ff
	v_xor_b32_e32 v109, s15, v109
	v_cmp_gt_i32_e64 s15, 0, v108
	v_and_b32_e32 v20, v20, v107
	v_ashrrev_i32_e32 v106, 31, v106
	s_wait_alu 0xfffd
	v_xor_b32_e32 v27, vcc_lo, v27
	v_mad_u32_u24 v107, v21, 36, v85
	v_mul_u32_u24_e32 v21, 36, v21
	v_and_b32_e32 v20, v20, v109
	s_wait_alu 0xf1ff
	v_xor_b32_e32 v108, s15, v106
	ds_load_b32 v106, v107 offset:1056
	v_add_nc_u32_e32 v109, v85, v21
	v_and_b32_e32 v20, v20, v27
	; wave barrier
	s_delay_alu instid0(VALU_DEP_1) | instskip(NEXT) | instid1(VALU_DEP_1)
	v_and_b32_e32 v20, v20, v108
	v_mbcnt_lo_u32_b32 v107, v20, 0
	v_cmp_ne_u32_e64 s15, 0, v20
	s_delay_alu instid0(VALU_DEP_2)
	v_cmp_eq_u32_e32 vcc_lo, 0, v107
	s_and_b32 s16, s15, vcc_lo
	s_wait_alu 0xfffe
	s_and_saveexec_b32 s15, s16
	s_cbranch_execz .LBB296_414
; %bb.413:                              ;   in Loop: Header=BB296_394 Depth=2
	s_wait_dscnt 0x0
	v_bcnt_u32_b32 v20, v20, v106
	ds_store_b32 v109, v20 offset:1056
.LBB296_414:                            ;   in Loop: Header=BB296_394 Depth=2
	s_wait_alu 0xfffe
	s_or_b32 exec_lo, exec_lo, s15
	v_xor_b32_e32 v108, 0x7f, v26
	; wave barrier
	s_delay_alu instid0(VALU_DEP_1) | instskip(NEXT) | instid1(VALU_DEP_1)
	v_and_b32_e32 v20, 0xff, v108
	v_lshrrev_b32_e32 v20, s45, v20
	s_delay_alu instid0(VALU_DEP_1) | instskip(NEXT) | instid1(VALU_DEP_1)
	v_and_b32_e32 v21, s31, v20
	v_and_b32_e32 v20, 1, v21
	v_lshlrev_b32_e32 v26, 30, v21
	v_lshlrev_b32_e32 v27, 29, v21
	;; [unrolled: 1-line block ×4, first 2 shown]
	v_add_co_u32 v20, s15, v20, -1
	s_wait_alu 0xf1ff
	v_cndmask_b32_e64 v111, 0, 1, s15
	v_not_b32_e32 v115, v26
	v_cmp_gt_i32_e64 s15, 0, v26
	v_not_b32_e32 v26, v27
	v_lshlrev_b32_e32 v113, 26, v21
	v_cmp_ne_u32_e32 vcc_lo, 0, v111
	v_ashrrev_i32_e32 v115, 31, v115
	v_lshlrev_b32_e32 v114, 25, v21
	v_ashrrev_i32_e32 v26, 31, v26
	v_lshlrev_b32_e32 v111, 24, v21
	s_wait_alu 0xfffd
	v_xor_b32_e32 v20, vcc_lo, v20
	v_cmp_gt_i32_e32 vcc_lo, 0, v27
	v_not_b32_e32 v27, v110
	s_wait_alu 0xf1ff
	v_xor_b32_e32 v115, s15, v115
	v_cmp_gt_i32_e64 s15, 0, v110
	v_and_b32_e32 v20, exec_lo, v20
	v_not_b32_e32 v110, v112
	v_ashrrev_i32_e32 v27, 31, v27
	s_wait_alu 0xfffd
	v_xor_b32_e32 v26, vcc_lo, v26
	v_cmp_gt_i32_e32 vcc_lo, 0, v112
	v_and_b32_e32 v20, v20, v115
	v_not_b32_e32 v112, v113
	v_ashrrev_i32_e32 v110, 31, v110
	s_wait_alu 0xf1ff
	v_xor_b32_e32 v27, s15, v27
	v_cmp_gt_i32_e64 s15, 0, v113
	v_and_b32_e32 v20, v20, v26
	v_not_b32_e32 v26, v114
	v_ashrrev_i32_e32 v112, 31, v112
	s_wait_alu 0xfffd
	v_xor_b32_e32 v110, vcc_lo, v110
	v_cmp_gt_i32_e32 vcc_lo, 0, v114
	v_and_b32_e32 v20, v20, v27
	v_not_b32_e32 v27, v111
	v_ashrrev_i32_e32 v26, 31, v26
	s_wait_alu 0xf1ff
	v_xor_b32_e32 v112, s15, v112
	v_cmp_gt_i32_e64 s15, 0, v111
	v_and_b32_e32 v20, v20, v110
	v_ashrrev_i32_e32 v27, 31, v27
	s_wait_alu 0xfffd
	v_xor_b32_e32 v26, vcc_lo, v26
	v_mad_u32_u24 v110, v21, 36, v85
	v_mul_u32_u24_e32 v21, 36, v21
	v_and_b32_e32 v20, v20, v112
	s_wait_alu 0xf1ff
	v_xor_b32_e32 v27, s15, v27
	ds_load_b32 v110, v110 offset:1056
	v_add_nc_u32_e32 v113, v85, v21
	v_and_b32_e32 v20, v20, v26
	; wave barrier
	s_delay_alu instid0(VALU_DEP_1) | instskip(NEXT) | instid1(VALU_DEP_1)
	v_and_b32_e32 v20, v20, v27
	v_mbcnt_lo_u32_b32 v111, v20, 0
	v_cmp_ne_u32_e64 s15, 0, v20
	s_delay_alu instid0(VALU_DEP_2)
	v_cmp_eq_u32_e32 vcc_lo, 0, v111
	s_and_b32 s16, s15, vcc_lo
	s_wait_alu 0xfffe
	s_and_saveexec_b32 s15, s16
	s_cbranch_execz .LBB296_416
; %bb.415:                              ;   in Loop: Header=BB296_394 Depth=2
	s_wait_dscnt 0x0
	v_bcnt_u32_b32 v20, v20, v110
	ds_store_b32 v113, v20 offset:1056
.LBB296_416:                            ;   in Loop: Header=BB296_394 Depth=2
	s_wait_alu 0xfffe
	s_or_b32 exec_lo, exec_lo, s15
	v_xor_b32_e32 v112, 0x7f, v25
	; wave barrier
	s_delay_alu instid0(VALU_DEP_1) | instskip(NEXT) | instid1(VALU_DEP_1)
	v_and_b32_e32 v20, 0xff, v112
	v_lshrrev_b32_e32 v20, s45, v20
	s_delay_alu instid0(VALU_DEP_1) | instskip(NEXT) | instid1(VALU_DEP_1)
	v_and_b32_e32 v21, s31, v20
	v_and_b32_e32 v20, 1, v21
	v_lshlrev_b32_e32 v25, 30, v21
	v_lshlrev_b32_e32 v26, 29, v21
	;; [unrolled: 1-line block ×4, first 2 shown]
	v_add_co_u32 v20, s15, v20, -1
	s_wait_alu 0xf1ff
	v_cndmask_b32_e64 v114, 0, 1, s15
	v_not_b32_e32 v118, v25
	v_cmp_gt_i32_e64 s15, 0, v25
	v_not_b32_e32 v25, v26
	v_lshlrev_b32_e32 v116, 26, v21
	v_cmp_ne_u32_e32 vcc_lo, 0, v114
	v_ashrrev_i32_e32 v118, 31, v118
	v_lshlrev_b32_e32 v117, 25, v21
	v_ashrrev_i32_e32 v25, 31, v25
	v_lshlrev_b32_e32 v114, 24, v21
	s_wait_alu 0xfffd
	v_xor_b32_e32 v20, vcc_lo, v20
	v_cmp_gt_i32_e32 vcc_lo, 0, v26
	v_not_b32_e32 v26, v27
	s_wait_alu 0xf1ff
	v_xor_b32_e32 v118, s15, v118
	v_cmp_gt_i32_e64 s15, 0, v27
	v_and_b32_e32 v20, exec_lo, v20
	v_not_b32_e32 v27, v115
	v_ashrrev_i32_e32 v26, 31, v26
	s_wait_alu 0xfffd
	v_xor_b32_e32 v25, vcc_lo, v25
	v_cmp_gt_i32_e32 vcc_lo, 0, v115
	v_and_b32_e32 v20, v20, v118
	v_not_b32_e32 v115, v116
	v_ashrrev_i32_e32 v27, 31, v27
	s_wait_alu 0xf1ff
	v_xor_b32_e32 v26, s15, v26
	v_cmp_gt_i32_e64 s15, 0, v116
	v_and_b32_e32 v20, v20, v25
	v_not_b32_e32 v25, v117
	v_ashrrev_i32_e32 v115, 31, v115
	s_wait_alu 0xfffd
	v_xor_b32_e32 v27, vcc_lo, v27
	v_cmp_gt_i32_e32 vcc_lo, 0, v117
	v_and_b32_e32 v20, v20, v26
	v_not_b32_e32 v26, v114
	v_ashrrev_i32_e32 v25, 31, v25
	s_wait_alu 0xf1ff
	v_xor_b32_e32 v115, s15, v115
	v_cmp_gt_i32_e64 s15, 0, v114
	v_and_b32_e32 v20, v20, v27
	v_ashrrev_i32_e32 v26, 31, v26
	s_wait_alu 0xfffd
	v_xor_b32_e32 v25, vcc_lo, v25
	v_mad_u32_u24 v27, v21, 36, v85
	v_mul_u32_u24_e32 v21, 36, v21
	v_and_b32_e32 v20, v20, v115
	s_wait_alu 0xf1ff
	v_xor_b32_e32 v26, s15, v26
	ds_load_b32 v114, v27 offset:1056
	v_add_nc_u32_e32 v117, v85, v21
	v_and_b32_e32 v20, v20, v25
	; wave barrier
	s_delay_alu instid0(VALU_DEP_1) | instskip(NEXT) | instid1(VALU_DEP_1)
	v_and_b32_e32 v20, v20, v26
	v_mbcnt_lo_u32_b32 v115, v20, 0
	v_cmp_ne_u32_e64 s15, 0, v20
	s_delay_alu instid0(VALU_DEP_2)
	v_cmp_eq_u32_e32 vcc_lo, 0, v115
	s_and_b32 s16, s15, vcc_lo
	s_wait_alu 0xfffe
	s_and_saveexec_b32 s15, s16
	s_cbranch_execz .LBB296_418
; %bb.417:                              ;   in Loop: Header=BB296_394 Depth=2
	s_wait_dscnt 0x0
	v_bcnt_u32_b32 v20, v20, v114
	ds_store_b32 v117, v20 offset:1056
.LBB296_418:                            ;   in Loop: Header=BB296_394 Depth=2
	s_wait_alu 0xfffe
	s_or_b32 exec_lo, exec_lo, s15
	v_xor_b32_e32 v116, 0x7f, v24
	; wave barrier
	s_delay_alu instid0(VALU_DEP_1) | instskip(NEXT) | instid1(VALU_DEP_1)
	v_and_b32_e32 v20, 0xff, v116
	v_lshrrev_b32_e32 v20, s45, v20
	s_delay_alu instid0(VALU_DEP_1) | instskip(NEXT) | instid1(VALU_DEP_1)
	v_and_b32_e32 v21, s31, v20
	v_and_b32_e32 v20, 1, v21
	v_lshlrev_b32_e32 v24, 30, v21
	v_lshlrev_b32_e32 v25, 29, v21
	;; [unrolled: 1-line block ×4, first 2 shown]
	v_add_co_u32 v20, s15, v20, -1
	s_wait_alu 0xf1ff
	v_cndmask_b32_e64 v27, 0, 1, s15
	v_not_b32_e32 v121, v24
	v_cmp_gt_i32_e64 s15, 0, v24
	v_not_b32_e32 v24, v25
	v_lshlrev_b32_e32 v119, 26, v21
	v_cmp_ne_u32_e32 vcc_lo, 0, v27
	v_ashrrev_i32_e32 v121, 31, v121
	v_lshlrev_b32_e32 v120, 25, v21
	v_ashrrev_i32_e32 v24, 31, v24
	v_lshlrev_b32_e32 v27, 24, v21
	s_wait_alu 0xfffd
	v_xor_b32_e32 v20, vcc_lo, v20
	v_cmp_gt_i32_e32 vcc_lo, 0, v25
	v_not_b32_e32 v25, v26
	s_wait_alu 0xf1ff
	v_xor_b32_e32 v121, s15, v121
	v_cmp_gt_i32_e64 s15, 0, v26
	v_and_b32_e32 v20, exec_lo, v20
	v_not_b32_e32 v26, v118
	v_ashrrev_i32_e32 v25, 31, v25
	s_wait_alu 0xfffd
	v_xor_b32_e32 v24, vcc_lo, v24
	v_cmp_gt_i32_e32 vcc_lo, 0, v118
	v_and_b32_e32 v20, v20, v121
	v_not_b32_e32 v118, v119
	v_ashrrev_i32_e32 v26, 31, v26
	s_wait_alu 0xf1ff
	v_xor_b32_e32 v25, s15, v25
	v_cmp_gt_i32_e64 s15, 0, v119
	v_and_b32_e32 v20, v20, v24
	v_not_b32_e32 v24, v120
	v_ashrrev_i32_e32 v118, 31, v118
	s_wait_alu 0xfffd
	v_xor_b32_e32 v26, vcc_lo, v26
	v_cmp_gt_i32_e32 vcc_lo, 0, v120
	v_and_b32_e32 v20, v20, v25
	v_not_b32_e32 v25, v27
	v_ashrrev_i32_e32 v24, 31, v24
	s_wait_alu 0xf1ff
	v_xor_b32_e32 v118, s15, v118
	v_cmp_gt_i32_e64 s15, 0, v27
	v_and_b32_e32 v20, v20, v26
	v_ashrrev_i32_e32 v25, 31, v25
	s_wait_alu 0xfffd
	v_xor_b32_e32 v24, vcc_lo, v24
	v_mad_u32_u24 v26, v21, 36, v85
	v_mul_u32_u24_e32 v21, 36, v21
	v_and_b32_e32 v20, v20, v118
	s_wait_alu 0xf1ff
	v_xor_b32_e32 v25, s15, v25
	ds_load_b32 v118, v26 offset:1056
	v_add_nc_u32_e32 v121, v85, v21
	v_and_b32_e32 v20, v20, v24
	; wave barrier
	s_delay_alu instid0(VALU_DEP_1) | instskip(NEXT) | instid1(VALU_DEP_1)
	v_and_b32_e32 v20, v20, v25
	v_mbcnt_lo_u32_b32 v119, v20, 0
	v_cmp_ne_u32_e64 s15, 0, v20
	s_delay_alu instid0(VALU_DEP_2)
	v_cmp_eq_u32_e32 vcc_lo, 0, v119
	s_and_b32 s16, s15, vcc_lo
	s_wait_alu 0xfffe
	s_and_saveexec_b32 s15, s16
	s_cbranch_execz .LBB296_420
; %bb.419:                              ;   in Loop: Header=BB296_394 Depth=2
	s_wait_dscnt 0x0
	v_bcnt_u32_b32 v20, v20, v118
	ds_store_b32 v121, v20 offset:1056
.LBB296_420:                            ;   in Loop: Header=BB296_394 Depth=2
	s_wait_alu 0xfffe
	s_or_b32 exec_lo, exec_lo, s15
	v_xor_b32_e32 v120, 0x7f, v23
	; wave barrier
	s_delay_alu instid0(VALU_DEP_1) | instskip(NEXT) | instid1(VALU_DEP_1)
	v_and_b32_e32 v20, 0xff, v120
	v_lshrrev_b32_e32 v20, s45, v20
	s_delay_alu instid0(VALU_DEP_1) | instskip(NEXT) | instid1(VALU_DEP_1)
	v_and_b32_e32 v21, s31, v20
	v_and_b32_e32 v20, 1, v21
	v_lshlrev_b32_e32 v23, 30, v21
	v_lshlrev_b32_e32 v24, 29, v21
	;; [unrolled: 1-line block ×4, first 2 shown]
	v_add_co_u32 v20, s15, v20, -1
	s_wait_alu 0xf1ff
	v_cndmask_b32_e64 v26, 0, 1, s15
	v_not_b32_e32 v124, v23
	v_cmp_gt_i32_e64 s15, 0, v23
	v_not_b32_e32 v23, v24
	v_lshlrev_b32_e32 v122, 26, v21
	v_cmp_ne_u32_e32 vcc_lo, 0, v26
	v_ashrrev_i32_e32 v124, 31, v124
	v_lshlrev_b32_e32 v123, 25, v21
	v_ashrrev_i32_e32 v23, 31, v23
	v_lshlrev_b32_e32 v26, 24, v21
	s_wait_alu 0xfffd
	v_xor_b32_e32 v20, vcc_lo, v20
	v_cmp_gt_i32_e32 vcc_lo, 0, v24
	v_not_b32_e32 v24, v25
	s_wait_alu 0xf1ff
	v_xor_b32_e32 v124, s15, v124
	v_cmp_gt_i32_e64 s15, 0, v25
	v_and_b32_e32 v20, exec_lo, v20
	v_not_b32_e32 v25, v27
	v_ashrrev_i32_e32 v24, 31, v24
	s_wait_alu 0xfffd
	v_xor_b32_e32 v23, vcc_lo, v23
	v_cmp_gt_i32_e32 vcc_lo, 0, v27
	v_and_b32_e32 v20, v20, v124
	v_not_b32_e32 v27, v122
	v_ashrrev_i32_e32 v25, 31, v25
	s_wait_alu 0xf1ff
	v_xor_b32_e32 v24, s15, v24
	v_cmp_gt_i32_e64 s15, 0, v122
	v_and_b32_e32 v20, v20, v23
	v_not_b32_e32 v23, v123
	v_ashrrev_i32_e32 v27, 31, v27
	s_wait_alu 0xfffd
	v_xor_b32_e32 v25, vcc_lo, v25
	v_cmp_gt_i32_e32 vcc_lo, 0, v123
	v_and_b32_e32 v20, v20, v24
	v_not_b32_e32 v24, v26
	v_ashrrev_i32_e32 v23, 31, v23
	s_wait_alu 0xf1ff
	v_xor_b32_e32 v27, s15, v27
	v_cmp_gt_i32_e64 s15, 0, v26
	v_and_b32_e32 v20, v20, v25
	v_ashrrev_i32_e32 v24, 31, v24
	s_wait_alu 0xfffd
	v_xor_b32_e32 v23, vcc_lo, v23
	v_mad_u32_u24 v25, v21, 36, v85
	v_mul_u32_u24_e32 v21, 36, v21
	v_and_b32_e32 v20, v20, v27
	s_wait_alu 0xf1ff
	v_xor_b32_e32 v24, s15, v24
	ds_load_b32 v122, v25 offset:1056
	v_add_nc_u32_e32 v125, v85, v21
	v_and_b32_e32 v20, v20, v23
	; wave barrier
	s_delay_alu instid0(VALU_DEP_1) | instskip(NEXT) | instid1(VALU_DEP_1)
	v_and_b32_e32 v20, v20, v24
	v_mbcnt_lo_u32_b32 v123, v20, 0
	v_cmp_ne_u32_e64 s15, 0, v20
	s_delay_alu instid0(VALU_DEP_2)
	v_cmp_eq_u32_e32 vcc_lo, 0, v123
	s_and_b32 s16, s15, vcc_lo
	s_wait_alu 0xfffe
	s_and_saveexec_b32 s15, s16
	s_cbranch_execz .LBB296_422
; %bb.421:                              ;   in Loop: Header=BB296_394 Depth=2
	s_wait_dscnt 0x0
	v_bcnt_u32_b32 v20, v20, v122
	ds_store_b32 v125, v20 offset:1056
.LBB296_422:                            ;   in Loop: Header=BB296_394 Depth=2
	s_wait_alu 0xfffe
	s_or_b32 exec_lo, exec_lo, s15
	v_xor_b32_e32 v124, 0x7f, v22
	; wave barrier
	s_delay_alu instid0(VALU_DEP_1) | instskip(NEXT) | instid1(VALU_DEP_1)
	v_and_b32_e32 v20, 0xff, v124
	v_lshrrev_b32_e32 v20, s45, v20
	s_delay_alu instid0(VALU_DEP_1) | instskip(NEXT) | instid1(VALU_DEP_1)
	v_and_b32_e32 v21, s31, v20
	v_and_b32_e32 v20, 1, v21
	v_lshlrev_b32_e32 v22, 30, v21
	v_lshlrev_b32_e32 v23, 29, v21
	;; [unrolled: 1-line block ×4, first 2 shown]
	v_add_co_u32 v20, s15, v20, -1
	s_wait_alu 0xf1ff
	v_cndmask_b32_e64 v25, 0, 1, s15
	v_not_b32_e32 v127, v22
	v_cmp_gt_i32_e64 s15, 0, v22
	v_not_b32_e32 v22, v23
	v_lshlrev_b32_e32 v27, 26, v21
	v_cmp_ne_u32_e32 vcc_lo, 0, v25
	v_ashrrev_i32_e32 v127, 31, v127
	v_lshlrev_b32_e32 v126, 25, v21
	v_ashrrev_i32_e32 v22, 31, v22
	v_lshlrev_b32_e32 v25, 24, v21
	s_wait_alu 0xfffd
	v_xor_b32_e32 v20, vcc_lo, v20
	v_cmp_gt_i32_e32 vcc_lo, 0, v23
	v_not_b32_e32 v23, v24
	s_wait_alu 0xf1ff
	v_xor_b32_e32 v127, s15, v127
	v_cmp_gt_i32_e64 s15, 0, v24
	v_and_b32_e32 v20, exec_lo, v20
	v_not_b32_e32 v24, v26
	v_ashrrev_i32_e32 v23, 31, v23
	s_wait_alu 0xfffd
	v_xor_b32_e32 v22, vcc_lo, v22
	v_cmp_gt_i32_e32 vcc_lo, 0, v26
	v_and_b32_e32 v20, v20, v127
	v_not_b32_e32 v26, v27
	v_ashrrev_i32_e32 v24, 31, v24
	s_wait_alu 0xf1ff
	v_xor_b32_e32 v23, s15, v23
	v_cmp_gt_i32_e64 s15, 0, v27
	v_and_b32_e32 v20, v20, v22
	v_not_b32_e32 v22, v126
	v_ashrrev_i32_e32 v26, 31, v26
	s_wait_alu 0xfffd
	v_xor_b32_e32 v24, vcc_lo, v24
	v_cmp_gt_i32_e32 vcc_lo, 0, v126
	v_and_b32_e32 v20, v20, v23
	v_not_b32_e32 v23, v25
	v_ashrrev_i32_e32 v22, 31, v22
	s_wait_alu 0xf1ff
	v_xor_b32_e32 v26, s15, v26
	v_cmp_gt_i32_e64 s15, 0, v25
	v_and_b32_e32 v20, v20, v24
	v_ashrrev_i32_e32 v23, 31, v23
	s_wait_alu 0xfffd
	v_xor_b32_e32 v22, vcc_lo, v22
	v_mad_u32_u24 v24, v21, 36, v85
	v_mul_u32_u24_e32 v21, 36, v21
	v_and_b32_e32 v20, v20, v26
	s_wait_alu 0xf1ff
	v_xor_b32_e32 v23, s15, v23
	ds_load_b32 v126, v24 offset:1056
	v_add_nc_u32_e32 v128, v85, v21
	v_and_b32_e32 v20, v20, v22
	; wave barrier
	s_delay_alu instid0(VALU_DEP_1) | instskip(NEXT) | instid1(VALU_DEP_1)
	v_and_b32_e32 v20, v20, v23
	v_mbcnt_lo_u32_b32 v127, v20, 0
	v_cmp_ne_u32_e64 s15, 0, v20
	s_delay_alu instid0(VALU_DEP_2)
	v_cmp_eq_u32_e32 vcc_lo, 0, v127
	s_and_b32 s16, s15, vcc_lo
	s_wait_alu 0xfffe
	s_and_saveexec_b32 s15, s16
	s_cbranch_execz .LBB296_424
; %bb.423:                              ;   in Loop: Header=BB296_394 Depth=2
	s_wait_dscnt 0x0
	v_bcnt_u32_b32 v20, v20, v126
	ds_store_b32 v128, v20 offset:1056
.LBB296_424:                            ;   in Loop: Header=BB296_394 Depth=2
	s_wait_alu 0xfffe
	s_or_b32 exec_lo, exec_lo, s15
	; wave barrier
	s_wait_loadcnt_dscnt 0x0
	s_barrier_signal -1
	s_barrier_wait -1
	global_inv scope:SCOPE_SE
	ds_load_2addr_b32 v[26:27], v98 offset1:1
	ds_load_2addr_b32 v[24:25], v99 offset1:1
	;; [unrolled: 1-line block ×4, first 2 shown]
	ds_load_b32 v129, v45 offset:1088
	s_wait_dscnt 0x3
	v_add3_u32 v130, v27, v26, v24
	s_wait_dscnt 0x2
	s_delay_alu instid0(VALU_DEP_1) | instskip(SKIP_1) | instid1(VALU_DEP_1)
	v_add3_u32 v130, v130, v25, v22
	s_wait_dscnt 0x1
	v_add3_u32 v130, v130, v23, v20
	s_wait_dscnt 0x0
	s_delay_alu instid0(VALU_DEP_1) | instskip(NEXT) | instid1(VALU_DEP_1)
	v_add3_u32 v129, v130, v21, v129
	v_mov_b32_dpp v130, v129 row_shr:1 row_mask:0xf bank_mask:0xf
	s_delay_alu instid0(VALU_DEP_1) | instskip(NEXT) | instid1(VALU_DEP_1)
	v_cndmask_b32_e64 v130, v130, 0, s0
	v_add_nc_u32_e32 v129, v130, v129
	s_delay_alu instid0(VALU_DEP_1) | instskip(NEXT) | instid1(VALU_DEP_1)
	v_mov_b32_dpp v130, v129 row_shr:2 row_mask:0xf bank_mask:0xf
	v_cndmask_b32_e64 v130, 0, v130, s1
	s_delay_alu instid0(VALU_DEP_1) | instskip(NEXT) | instid1(VALU_DEP_1)
	v_add_nc_u32_e32 v129, v129, v130
	v_mov_b32_dpp v130, v129 row_shr:4 row_mask:0xf bank_mask:0xf
	s_delay_alu instid0(VALU_DEP_1) | instskip(NEXT) | instid1(VALU_DEP_1)
	v_cndmask_b32_e64 v130, 0, v130, s9
	v_add_nc_u32_e32 v129, v129, v130
	s_delay_alu instid0(VALU_DEP_1) | instskip(NEXT) | instid1(VALU_DEP_1)
	v_mov_b32_dpp v130, v129 row_shr:8 row_mask:0xf bank_mask:0xf
	v_cndmask_b32_e64 v130, 0, v130, s10
	s_delay_alu instid0(VALU_DEP_1) | instskip(SKIP_3) | instid1(VALU_DEP_1)
	v_add_nc_u32_e32 v129, v129, v130
	ds_swizzle_b32 v130, v129 offset:swizzle(BROADCAST,32,15)
	s_wait_dscnt 0x0
	v_cndmask_b32_e64 v130, v130, 0, s11
	v_add_nc_u32_e32 v129, v129, v130
	s_and_saveexec_b32 s15, s3
; %bb.425:                              ;   in Loop: Header=BB296_394 Depth=2
	ds_store_b32 v38, v129 offset:1024
; %bb.426:                              ;   in Loop: Header=BB296_394 Depth=2
	s_wait_alu 0xfffe
	s_or_b32 exec_lo, exec_lo, s15
	s_wait_loadcnt_dscnt 0x0
	s_barrier_signal -1
	s_barrier_wait -1
	global_inv scope:SCOPE_SE
	s_and_saveexec_b32 s15, s4
	s_cbranch_execz .LBB296_428
; %bb.427:                              ;   in Loop: Header=BB296_394 Depth=2
	v_add_nc_u32_e32 v130, v45, v46
	ds_load_b32 v131, v130 offset:1024
	s_wait_dscnt 0x0
	v_mov_b32_dpp v132, v131 row_shr:1 row_mask:0xf bank_mask:0xf
	s_delay_alu instid0(VALU_DEP_1) | instskip(NEXT) | instid1(VALU_DEP_1)
	v_cndmask_b32_e64 v132, v132, 0, s12
	v_add_nc_u32_e32 v131, v132, v131
	s_delay_alu instid0(VALU_DEP_1) | instskip(NEXT) | instid1(VALU_DEP_1)
	v_mov_b32_dpp v132, v131 row_shr:2 row_mask:0xf bank_mask:0xf
	v_cndmask_b32_e64 v132, 0, v132, s13
	s_delay_alu instid0(VALU_DEP_1) | instskip(NEXT) | instid1(VALU_DEP_1)
	v_add_nc_u32_e32 v131, v131, v132
	v_mov_b32_dpp v132, v131 row_shr:4 row_mask:0xf bank_mask:0xf
	s_delay_alu instid0(VALU_DEP_1) | instskip(NEXT) | instid1(VALU_DEP_1)
	v_cndmask_b32_e64 v132, 0, v132, s14
	v_add_nc_u32_e32 v131, v131, v132
	ds_store_b32 v130, v131 offset:1024
.LBB296_428:                            ;   in Loop: Header=BB296_394 Depth=2
	s_wait_alu 0xfffe
	s_or_b32 exec_lo, exec_lo, s15
	v_mov_b32_e32 v130, 0
	s_wait_loadcnt_dscnt 0x0
	s_barrier_signal -1
	s_barrier_wait -1
	global_inv scope:SCOPE_SE
	s_and_saveexec_b32 s15, s5
; %bb.429:                              ;   in Loop: Header=BB296_394 Depth=2
	ds_load_b32 v130, v38 offset:1020
; %bb.430:                              ;   in Loop: Header=BB296_394 Depth=2
	s_wait_alu 0xfffe
	s_or_b32 exec_lo, exec_lo, s15
	s_wait_dscnt 0x0
	v_add_nc_u32_e32 v129, v130, v129
	ds_bpermute_b32 v129, v80, v129
	s_wait_dscnt 0x0
	v_cndmask_b32_e64 v129, v129, v130, s8
	s_delay_alu instid0(VALU_DEP_1) | instskip(NEXT) | instid1(VALU_DEP_1)
	v_cndmask_b32_e64 v129, v129, 0, s6
	v_add_nc_u32_e32 v26, v129, v26
	s_delay_alu instid0(VALU_DEP_1) | instskip(NEXT) | instid1(VALU_DEP_1)
	v_add_nc_u32_e32 v27, v26, v27
	v_add_nc_u32_e32 v24, v27, v24
	s_delay_alu instid0(VALU_DEP_1) | instskip(NEXT) | instid1(VALU_DEP_1)
	v_add_nc_u32_e32 v25, v24, v25
	;; [unrolled: 3-line block ×3, first 2 shown]
	v_add_nc_u32_e32 v20, v23, v20
	s_delay_alu instid0(VALU_DEP_1)
	v_add_nc_u32_e32 v21, v20, v21
	ds_store_2addr_b32 v97, v23, v20 offset1:1
	ds_store_2addr_b32 v98, v129, v26 offset1:1
	;; [unrolled: 1-line block ×4, first 2 shown]
	ds_store_b32 v45, v21 offset:1088
	s_wait_loadcnt_dscnt 0x0
	s_barrier_signal -1
	s_barrier_wait -1
	global_inv scope:SCOPE_SE
	ds_load_b32 v20, v101 offset:1056
	ds_load_b32 v21, v105 offset:1056
	;; [unrolled: 1-line block ×9, first 2 shown]
	v_mov_b32_e32 v22, 0x800
	s_and_saveexec_b32 s15, s7
; %bb.431:                              ;   in Loop: Header=BB296_394 Depth=2
	ds_load_b32 v22, v45 offset:1092
; %bb.432:                              ;   in Loop: Header=BB296_394 Depth=2
	s_wait_alu 0xfffe
	s_or_b32 exec_lo, exec_lo, s15
	s_wait_loadcnt_dscnt 0x0
	s_barrier_signal -1
	s_barrier_wait -1
	global_inv scope:SCOPE_SE
	s_and_saveexec_b32 s15, s2
	s_cbranch_execz .LBB296_434
; %bb.433:                              ;   in Loop: Header=BB296_394 Depth=2
	ds_load_b32 v27, v28
	s_wait_dscnt 0x0
	v_sub_nc_u32_e32 v26, v27, v26
	ds_store_b32 v28, v26
.LBB296_434:                            ;   in Loop: Header=BB296_394 Depth=2
	s_wait_alu 0xfffe
	s_or_b32 exec_lo, exec_lo, s15
	v_add_nc_u32_e32 v98, v20, v95
	v_add3_u32 v97, v103, v102, v21
	v_add3_u32 v95, v107, v106, v23
	;; [unrolled: 1-line block ×7, first 2 shown]
	v_cmp_lt_u32_e64 s20, v1, v2
	ds_store_b8 v98, v94 offset:1024
	ds_store_b8 v97, v96 offset:1024
	;; [unrolled: 1-line block ×8, first 2 shown]
	s_wait_loadcnt_dscnt 0x0
	s_barrier_signal -1
	s_barrier_wait -1
	global_inv scope:SCOPE_SE
	s_and_saveexec_b32 s15, s20
	s_cbranch_execnz .LBB296_471
; %bb.435:                              ;   in Loop: Header=BB296_394 Depth=2
	s_wait_alu 0xfffe
	s_or_b32 exec_lo, exec_lo, s15
	v_cmp_lt_u32_e64 s21, v29, v2
	s_and_saveexec_b32 s15, s21
	s_cbranch_execnz .LBB296_472
.LBB296_436:                            ;   in Loop: Header=BB296_394 Depth=2
	s_wait_alu 0xfffe
	s_or_b32 exec_lo, exec_lo, s15
	v_cmp_lt_u32_e64 s19, v30, v2
	s_and_saveexec_b32 s15, s19
	s_cbranch_execnz .LBB296_473
.LBB296_437:                            ;   in Loop: Header=BB296_394 Depth=2
	s_wait_alu 0xfffe
	s_or_b32 exec_lo, exec_lo, s15
	v_cmp_lt_u32_e64 s18, v31, v2
	s_and_saveexec_b32 s15, s18
	s_cbranch_execnz .LBB296_474
.LBB296_438:                            ;   in Loop: Header=BB296_394 Depth=2
	s_wait_alu 0xfffe
	s_or_b32 exec_lo, exec_lo, s15
	v_cmp_lt_u32_e64 s17, v34, v2
	s_and_saveexec_b32 s15, s17
	s_cbranch_execnz .LBB296_475
.LBB296_439:                            ;   in Loop: Header=BB296_394 Depth=2
	s_wait_alu 0xfffe
	s_or_b32 exec_lo, exec_lo, s15
	v_cmp_lt_u32_e64 s16, v35, v2
	s_and_saveexec_b32 s15, s16
	s_cbranch_execnz .LBB296_476
.LBB296_440:                            ;   in Loop: Header=BB296_394 Depth=2
	s_wait_alu 0xfffe
	s_or_b32 exec_lo, exec_lo, s15
	v_cmp_lt_u32_e64 s15, v36, v2
	s_and_saveexec_b32 s44, s15
	s_cbranch_execnz .LBB296_477
.LBB296_441:                            ;   in Loop: Header=BB296_394 Depth=2
	s_wait_alu 0xfffe
	s_or_b32 exec_lo, exec_lo, s44
	v_cmp_lt_u32_e32 vcc_lo, v37, v2
	s_and_saveexec_b32 s44, vcc_lo
	s_cbranch_execz .LBB296_443
.LBB296_442:                            ;   in Loop: Header=BB296_394 Depth=2
	ds_load_u8 v20, v1 offset:2816
	s_wait_dscnt 0x0
	v_and_b32_e32 v21, 0xff, v20
	v_xor_b32_e32 v20, 0x7f, v20
	s_delay_alu instid0(VALU_DEP_2) | instskip(NEXT) | instid1(VALU_DEP_1)
	v_lshrrev_b32_e32 v21, s45, v21
	v_and_b32_e32 v21, s31, v21
	s_delay_alu instid0(VALU_DEP_1)
	v_lshlrev_b32_e32 v21, 2, v21
	ds_load_b32 v21, v21
	s_wait_dscnt 0x0
	v_add_nc_u32_e32 v21, v21, v37
	global_store_b8 v21, v20, s[38:39]
.LBB296_443:                            ;   in Loop: Header=BB296_394 Depth=2
	s_wait_alu 0xfffe
	s_or_b32 exec_lo, exec_lo, s44
	s_lshl_b64 s[48:49], s[22:23], 3
	s_wait_alu 0xfffe
	v_add_co_u32 v20, s22, v81, s48
	s_wait_alu 0xf1ff
	v_add_co_ci_u32_e64 v21, null, s49, v82, s22
	v_cmp_lt_u32_e64 s22, v68, v2
	s_and_saveexec_b32 s44, s22
	s_wait_alu 0xfffe
	s_xor_b32 s22, exec_lo, s44
	s_cbranch_execnz .LBB296_478
; %bb.444:                              ;   in Loop: Header=BB296_394 Depth=2
	s_wait_alu 0xfffe
	s_or_b32 exec_lo, exec_lo, s22
	s_delay_alu instid0(SALU_CYCLE_1)
	s_mov_b32 s44, exec_lo
	v_cmpx_lt_u32_e64 v71, v2
	s_cbranch_execnz .LBB296_479
.LBB296_445:                            ;   in Loop: Header=BB296_394 Depth=2
	s_wait_alu 0xfffe
	s_or_b32 exec_lo, exec_lo, s44
	s_delay_alu instid0(SALU_CYCLE_1)
	s_mov_b32 s44, exec_lo
	v_cmpx_lt_u32_e64 v72, v2
	s_cbranch_execnz .LBB296_480
.LBB296_446:                            ;   in Loop: Header=BB296_394 Depth=2
	s_wait_alu 0xfffe
	s_or_b32 exec_lo, exec_lo, s44
	s_delay_alu instid0(SALU_CYCLE_1)
	s_mov_b32 s44, exec_lo
	v_cmpx_lt_u32_e64 v73, v2
	s_cbranch_execnz .LBB296_481
.LBB296_447:                            ;   in Loop: Header=BB296_394 Depth=2
	s_wait_alu 0xfffe
	s_or_b32 exec_lo, exec_lo, s44
	s_delay_alu instid0(SALU_CYCLE_1)
	s_mov_b32 s44, exec_lo
	v_cmpx_lt_u32_e64 v74, v2
	s_cbranch_execnz .LBB296_482
.LBB296_448:                            ;   in Loop: Header=BB296_394 Depth=2
	s_wait_alu 0xfffe
	s_or_b32 exec_lo, exec_lo, s44
	s_delay_alu instid0(SALU_CYCLE_1)
	s_mov_b32 s44, exec_lo
	v_cmpx_lt_u32_e64 v75, v2
	s_cbranch_execnz .LBB296_483
.LBB296_449:                            ;   in Loop: Header=BB296_394 Depth=2
	s_wait_alu 0xfffe
	s_or_b32 exec_lo, exec_lo, s44
	s_delay_alu instid0(SALU_CYCLE_1)
	s_mov_b32 s44, exec_lo
	v_cmpx_lt_u32_e64 v76, v2
	s_cbranch_execnz .LBB296_484
.LBB296_450:                            ;   in Loop: Header=BB296_394 Depth=2
	s_wait_alu 0xfffe
	s_or_b32 exec_lo, exec_lo, s44
	s_delay_alu instid0(SALU_CYCLE_1)
	s_mov_b32 s44, exec_lo
	v_cmpx_lt_u32_e64 v77, v2
	s_cbranch_execnz .LBB296_485
.LBB296_451:                            ;   in Loop: Header=BB296_394 Depth=2
	s_wait_alu 0xfffe
	s_or_b32 exec_lo, exec_lo, s44
	s_and_saveexec_b32 s22, s20
	s_cbranch_execnz .LBB296_486
.LBB296_452:                            ;   in Loop: Header=BB296_394 Depth=2
	s_wait_alu 0xfffe
	s_or_b32 exec_lo, exec_lo, s22
	s_and_saveexec_b32 s22, s21
	s_cbranch_execnz .LBB296_487
.LBB296_453:                            ;   in Loop: Header=BB296_394 Depth=2
	s_wait_alu 0xfffe
	s_or_b32 exec_lo, exec_lo, s22
	s_and_saveexec_b32 s22, s19
	s_cbranch_execnz .LBB296_488
.LBB296_454:                            ;   in Loop: Header=BB296_394 Depth=2
	s_wait_alu 0xfffe
	s_or_b32 exec_lo, exec_lo, s22
	s_and_saveexec_b32 s22, s18
	s_cbranch_execnz .LBB296_489
.LBB296_455:                            ;   in Loop: Header=BB296_394 Depth=2
	s_wait_alu 0xfffe
	s_or_b32 exec_lo, exec_lo, s22
	s_and_saveexec_b32 s22, s17
	s_cbranch_execnz .LBB296_490
.LBB296_456:                            ;   in Loop: Header=BB296_394 Depth=2
	s_wait_alu 0xfffe
	s_or_b32 exec_lo, exec_lo, s22
	s_and_saveexec_b32 s22, s16
	s_cbranch_execnz .LBB296_491
.LBB296_457:                            ;   in Loop: Header=BB296_394 Depth=2
	s_wait_alu 0xfffe
	s_or_b32 exec_lo, exec_lo, s22
	s_and_saveexec_b32 s22, s15
	s_cbranch_execnz .LBB296_492
.LBB296_458:                            ;   in Loop: Header=BB296_394 Depth=2
	s_wait_alu 0xfffe
	s_or_b32 exec_lo, exec_lo, s22
	s_and_saveexec_b32 s22, vcc_lo
	s_cbranch_execz .LBB296_460
.LBB296_459:                            ;   in Loop: Header=BB296_394 Depth=2
	ds_load_u8 v2, v1 offset:2816
	s_wait_dscnt 0x0
	v_lshrrev_b32_e32 v2, s45, v2
	s_delay_alu instid0(VALU_DEP_1)
	v_and_b32_e32 v86, s31, v2
.LBB296_460:                            ;   in Loop: Header=BB296_394 Depth=2
	s_wait_alu 0xfffe
	s_or_b32 exec_lo, exec_lo, s22
	v_lshlrev_b32_e32 v2, 3, v98
	v_lshlrev_b32_e32 v20, 3, v97
	;; [unrolled: 1-line block ×3, first 2 shown]
	s_wait_loadcnt 0x0
	s_wait_storecnt 0x0
	s_barrier_signal -1
	s_barrier_wait -1
	global_inv scope:SCOPE_SE
	ds_store_b64 v2, v[18:19] offset:1024
	ds_store_b64 v20, v[16:17] offset:1024
	;; [unrolled: 1-line block ×3, first 2 shown]
	v_lshlrev_b32_e32 v2, 3, v27
	v_lshlrev_b32_e32 v20, 3, v26
	v_lshlrev_b32_e32 v21, 3, v25
	v_lshlrev_b32_e32 v24, 3, v24
	v_lshlrev_b32_e32 v23, 3, v23
	ds_store_b64 v2, v[12:13] offset:1024
	ds_store_b64 v20, v[10:11] offset:1024
	;; [unrolled: 1-line block ×5, first 2 shown]
	s_wait_loadcnt_dscnt 0x0
	s_barrier_signal -1
	s_barrier_wait -1
	global_inv scope:SCOPE_SE
	s_and_saveexec_b32 s22, s20
	s_cbranch_execnz .LBB296_493
; %bb.461:                              ;   in Loop: Header=BB296_394 Depth=2
	s_wait_alu 0xfffe
	s_or_b32 exec_lo, exec_lo, s22
	s_and_saveexec_b32 s22, s21
	s_cbranch_execnz .LBB296_494
.LBB296_462:                            ;   in Loop: Header=BB296_394 Depth=2
	s_wait_alu 0xfffe
	s_or_b32 exec_lo, exec_lo, s22
	s_and_saveexec_b32 s20, s19
	s_cbranch_execnz .LBB296_495
.LBB296_463:                            ;   in Loop: Header=BB296_394 Depth=2
	s_wait_alu 0xfffe
	s_or_b32 exec_lo, exec_lo, s20
	s_and_saveexec_b32 s19, s18
	s_cbranch_execnz .LBB296_496
.LBB296_464:                            ;   in Loop: Header=BB296_394 Depth=2
	s_wait_alu 0xfffe
	s_or_b32 exec_lo, exec_lo, s19
	s_and_saveexec_b32 s18, s17
	s_cbranch_execnz .LBB296_497
.LBB296_465:                            ;   in Loop: Header=BB296_394 Depth=2
	s_wait_alu 0xfffe
	s_or_b32 exec_lo, exec_lo, s18
	s_and_saveexec_b32 s17, s16
	s_cbranch_execnz .LBB296_498
.LBB296_466:                            ;   in Loop: Header=BB296_394 Depth=2
	s_wait_alu 0xfffe
	s_or_b32 exec_lo, exec_lo, s17
	s_and_saveexec_b32 s16, s15
	s_cbranch_execnz .LBB296_499
.LBB296_467:                            ;   in Loop: Header=BB296_394 Depth=2
	s_wait_alu 0xfffe
	s_or_b32 exec_lo, exec_lo, s16
	s_and_saveexec_b32 s15, vcc_lo
	s_cbranch_execz .LBB296_469
.LBB296_468:                            ;   in Loop: Header=BB296_394 Depth=2
	v_lshlrev_b32_e32 v2, 2, v86
	v_add_nc_u32_e32 v20, v1, v47
	ds_load_b32 v2, v2
	ds_load_b64 v[20:21], v20 offset:15360
	s_wait_dscnt 0x1
	v_add_nc_u32_e32 v2, v2, v37
	s_delay_alu instid0(VALU_DEP_1) | instskip(NEXT) | instid1(VALU_DEP_1)
	v_lshlrev_b64_e32 v[23:24], 3, v[2:3]
	v_add_co_u32 v23, vcc_lo, s24, v23
	s_wait_alu 0xfffd
	s_delay_alu instid0(VALU_DEP_2)
	v_add_co_ci_u32_e64 v24, null, s25, v24, vcc_lo
	s_wait_dscnt 0x0
	global_store_b64 v[23:24], v[20:21], off
.LBB296_469:                            ;   in Loop: Header=BB296_394 Depth=2
	s_wait_alu 0xfffe
	s_or_b32 exec_lo, exec_lo, s15
	s_wait_loadcnt 0x0
	s_wait_storecnt 0x0
	s_barrier_signal -1
	s_barrier_wait -1
	global_inv scope:SCOPE_SE
	s_and_saveexec_b32 s15, s2
	s_cbranch_execz .LBB296_393
; %bb.470:                              ;   in Loop: Header=BB296_394 Depth=2
	ds_load_b32 v2, v28
	s_wait_dscnt 0x0
	v_add_nc_u32_e32 v2, v2, v22
	ds_store_b32 v28, v2
	s_branch .LBB296_393
.LBB296_471:                            ;   in Loop: Header=BB296_394 Depth=2
	ds_load_u8 v20, v1 offset:1024
	s_wait_dscnt 0x0
	v_and_b32_e32 v21, 0xff, v20
	v_xor_b32_e32 v20, 0x7f, v20
	s_delay_alu instid0(VALU_DEP_2) | instskip(NEXT) | instid1(VALU_DEP_1)
	v_lshrrev_b32_e32 v21, s45, v21
	v_and_b32_e32 v21, s31, v21
	s_delay_alu instid0(VALU_DEP_1)
	v_lshlrev_b32_e32 v21, 2, v21
	ds_load_b32 v21, v21
	s_wait_dscnt 0x0
	v_add_nc_u32_e32 v21, v21, v1
	global_store_b8 v21, v20, s[38:39]
	s_wait_alu 0xfffe
	s_or_b32 exec_lo, exec_lo, s15
	v_cmp_lt_u32_e64 s21, v29, v2
	s_and_saveexec_b32 s15, s21
	s_cbranch_execz .LBB296_436
.LBB296_472:                            ;   in Loop: Header=BB296_394 Depth=2
	ds_load_u8 v20, v1 offset:1280
	s_wait_dscnt 0x0
	v_and_b32_e32 v21, 0xff, v20
	v_xor_b32_e32 v20, 0x7f, v20
	s_delay_alu instid0(VALU_DEP_2) | instskip(NEXT) | instid1(VALU_DEP_1)
	v_lshrrev_b32_e32 v21, s45, v21
	v_and_b32_e32 v21, s31, v21
	s_delay_alu instid0(VALU_DEP_1)
	v_lshlrev_b32_e32 v21, 2, v21
	ds_load_b32 v21, v21
	s_wait_dscnt 0x0
	v_add_nc_u32_e32 v21, v21, v29
	global_store_b8 v21, v20, s[38:39]
	s_wait_alu 0xfffe
	s_or_b32 exec_lo, exec_lo, s15
	v_cmp_lt_u32_e64 s19, v30, v2
	s_and_saveexec_b32 s15, s19
	s_cbranch_execz .LBB296_437
.LBB296_473:                            ;   in Loop: Header=BB296_394 Depth=2
	ds_load_u8 v20, v1 offset:1536
	s_wait_dscnt 0x0
	v_and_b32_e32 v21, 0xff, v20
	v_xor_b32_e32 v20, 0x7f, v20
	s_delay_alu instid0(VALU_DEP_2) | instskip(NEXT) | instid1(VALU_DEP_1)
	v_lshrrev_b32_e32 v21, s45, v21
	v_and_b32_e32 v21, s31, v21
	s_delay_alu instid0(VALU_DEP_1)
	v_lshlrev_b32_e32 v21, 2, v21
	ds_load_b32 v21, v21
	s_wait_dscnt 0x0
	v_add_nc_u32_e32 v21, v21, v30
	global_store_b8 v21, v20, s[38:39]
	s_wait_alu 0xfffe
	s_or_b32 exec_lo, exec_lo, s15
	v_cmp_lt_u32_e64 s18, v31, v2
	s_and_saveexec_b32 s15, s18
	s_cbranch_execz .LBB296_438
.LBB296_474:                            ;   in Loop: Header=BB296_394 Depth=2
	ds_load_u8 v20, v1 offset:1792
	s_wait_dscnt 0x0
	v_and_b32_e32 v21, 0xff, v20
	v_xor_b32_e32 v20, 0x7f, v20
	s_delay_alu instid0(VALU_DEP_2) | instskip(NEXT) | instid1(VALU_DEP_1)
	v_lshrrev_b32_e32 v21, s45, v21
	v_and_b32_e32 v21, s31, v21
	s_delay_alu instid0(VALU_DEP_1)
	v_lshlrev_b32_e32 v21, 2, v21
	ds_load_b32 v21, v21
	s_wait_dscnt 0x0
	v_add_nc_u32_e32 v21, v21, v31
	global_store_b8 v21, v20, s[38:39]
	s_wait_alu 0xfffe
	s_or_b32 exec_lo, exec_lo, s15
	v_cmp_lt_u32_e64 s17, v34, v2
	s_and_saveexec_b32 s15, s17
	s_cbranch_execz .LBB296_439
.LBB296_475:                            ;   in Loop: Header=BB296_394 Depth=2
	ds_load_u8 v20, v1 offset:2048
	s_wait_dscnt 0x0
	v_and_b32_e32 v21, 0xff, v20
	v_xor_b32_e32 v20, 0x7f, v20
	s_delay_alu instid0(VALU_DEP_2) | instskip(NEXT) | instid1(VALU_DEP_1)
	v_lshrrev_b32_e32 v21, s45, v21
	v_and_b32_e32 v21, s31, v21
	s_delay_alu instid0(VALU_DEP_1)
	v_lshlrev_b32_e32 v21, 2, v21
	ds_load_b32 v21, v21
	s_wait_dscnt 0x0
	v_add_nc_u32_e32 v21, v21, v34
	global_store_b8 v21, v20, s[38:39]
	s_wait_alu 0xfffe
	s_or_b32 exec_lo, exec_lo, s15
	v_cmp_lt_u32_e64 s16, v35, v2
	s_and_saveexec_b32 s15, s16
	s_cbranch_execz .LBB296_440
.LBB296_476:                            ;   in Loop: Header=BB296_394 Depth=2
	ds_load_u8 v20, v1 offset:2304
	s_wait_dscnt 0x0
	v_and_b32_e32 v21, 0xff, v20
	v_xor_b32_e32 v20, 0x7f, v20
	s_delay_alu instid0(VALU_DEP_2) | instskip(NEXT) | instid1(VALU_DEP_1)
	v_lshrrev_b32_e32 v21, s45, v21
	v_and_b32_e32 v21, s31, v21
	s_delay_alu instid0(VALU_DEP_1)
	v_lshlrev_b32_e32 v21, 2, v21
	ds_load_b32 v21, v21
	s_wait_dscnt 0x0
	v_add_nc_u32_e32 v21, v21, v35
	global_store_b8 v21, v20, s[38:39]
	s_wait_alu 0xfffe
	s_or_b32 exec_lo, exec_lo, s15
	v_cmp_lt_u32_e64 s15, v36, v2
	s_and_saveexec_b32 s44, s15
	s_cbranch_execz .LBB296_441
.LBB296_477:                            ;   in Loop: Header=BB296_394 Depth=2
	ds_load_u8 v20, v1 offset:2560
	s_wait_dscnt 0x0
	v_and_b32_e32 v21, 0xff, v20
	v_xor_b32_e32 v20, 0x7f, v20
	s_delay_alu instid0(VALU_DEP_2) | instskip(NEXT) | instid1(VALU_DEP_1)
	v_lshrrev_b32_e32 v21, s45, v21
	v_and_b32_e32 v21, s31, v21
	s_delay_alu instid0(VALU_DEP_1)
	v_lshlrev_b32_e32 v21, 2, v21
	ds_load_b32 v21, v21
	s_wait_dscnt 0x0
	v_add_nc_u32_e32 v21, v21, v36
	global_store_b8 v21, v20, s[38:39]
	s_wait_alu 0xfffe
	s_or_b32 exec_lo, exec_lo, s44
	v_cmp_lt_u32_e32 vcc_lo, v37, v2
	s_and_saveexec_b32 s44, vcc_lo
	s_cbranch_execnz .LBB296_442
	s_branch .LBB296_443
.LBB296_478:                            ;   in Loop: Header=BB296_394 Depth=2
	global_load_b64 v[18:19], v[20:21], off
	s_wait_alu 0xfffe
	s_or_b32 exec_lo, exec_lo, s22
	s_delay_alu instid0(SALU_CYCLE_1)
	s_mov_b32 s44, exec_lo
	v_cmpx_lt_u32_e64 v71, v2
	s_cbranch_execz .LBB296_445
.LBB296_479:                            ;   in Loop: Header=BB296_394 Depth=2
	global_load_b64 v[16:17], v[20:21], off offset:256
	s_wait_alu 0xfffe
	s_or_b32 exec_lo, exec_lo, s44
	s_delay_alu instid0(SALU_CYCLE_1)
	s_mov_b32 s44, exec_lo
	v_cmpx_lt_u32_e64 v72, v2
	s_cbranch_execz .LBB296_446
.LBB296_480:                            ;   in Loop: Header=BB296_394 Depth=2
	global_load_b64 v[14:15], v[20:21], off offset:512
	s_wait_alu 0xfffe
	s_or_b32 exec_lo, exec_lo, s44
	s_delay_alu instid0(SALU_CYCLE_1)
	s_mov_b32 s44, exec_lo
	v_cmpx_lt_u32_e64 v73, v2
	s_cbranch_execz .LBB296_447
.LBB296_481:                            ;   in Loop: Header=BB296_394 Depth=2
	global_load_b64 v[12:13], v[20:21], off offset:768
	s_wait_alu 0xfffe
	s_or_b32 exec_lo, exec_lo, s44
	s_delay_alu instid0(SALU_CYCLE_1)
	s_mov_b32 s44, exec_lo
	v_cmpx_lt_u32_e64 v74, v2
	s_cbranch_execz .LBB296_448
.LBB296_482:                            ;   in Loop: Header=BB296_394 Depth=2
	global_load_b64 v[10:11], v[20:21], off offset:1024
	s_wait_alu 0xfffe
	s_or_b32 exec_lo, exec_lo, s44
	s_delay_alu instid0(SALU_CYCLE_1)
	s_mov_b32 s44, exec_lo
	v_cmpx_lt_u32_e64 v75, v2
	s_cbranch_execz .LBB296_449
.LBB296_483:                            ;   in Loop: Header=BB296_394 Depth=2
	global_load_b64 v[8:9], v[20:21], off offset:1280
	s_wait_alu 0xfffe
	s_or_b32 exec_lo, exec_lo, s44
	s_delay_alu instid0(SALU_CYCLE_1)
	s_mov_b32 s44, exec_lo
	v_cmpx_lt_u32_e64 v76, v2
	s_cbranch_execz .LBB296_450
.LBB296_484:                            ;   in Loop: Header=BB296_394 Depth=2
	global_load_b64 v[6:7], v[20:21], off offset:1536
	s_wait_alu 0xfffe
	s_or_b32 exec_lo, exec_lo, s44
	s_delay_alu instid0(SALU_CYCLE_1)
	s_mov_b32 s44, exec_lo
	v_cmpx_lt_u32_e64 v77, v2
	s_cbranch_execz .LBB296_451
.LBB296_485:                            ;   in Loop: Header=BB296_394 Depth=2
	global_load_b64 v[4:5], v[20:21], off offset:1792
	s_wait_alu 0xfffe
	s_or_b32 exec_lo, exec_lo, s44
	s_and_saveexec_b32 s22, s20
	s_cbranch_execz .LBB296_452
.LBB296_486:                            ;   in Loop: Header=BB296_394 Depth=2
	ds_load_u8 v2, v1 offset:1024
	s_wait_dscnt 0x0
	v_lshrrev_b32_e32 v2, s45, v2
	s_delay_alu instid0(VALU_DEP_1)
	v_and_b32_e32 v93, s31, v2
	s_wait_alu 0xfffe
	s_or_b32 exec_lo, exec_lo, s22
	s_and_saveexec_b32 s22, s21
	s_cbranch_execz .LBB296_453
.LBB296_487:                            ;   in Loop: Header=BB296_394 Depth=2
	ds_load_u8 v2, v1 offset:1280
	s_wait_dscnt 0x0
	v_lshrrev_b32_e32 v2, s45, v2
	s_delay_alu instid0(VALU_DEP_1)
	v_and_b32_e32 v92, s31, v2
	s_wait_alu 0xfffe
	s_or_b32 exec_lo, exec_lo, s22
	s_and_saveexec_b32 s22, s19
	s_cbranch_execz .LBB296_454
.LBB296_488:                            ;   in Loop: Header=BB296_394 Depth=2
	ds_load_u8 v2, v1 offset:1536
	s_wait_dscnt 0x0
	v_lshrrev_b32_e32 v2, s45, v2
	s_delay_alu instid0(VALU_DEP_1)
	v_and_b32_e32 v91, s31, v2
	s_wait_alu 0xfffe
	s_or_b32 exec_lo, exec_lo, s22
	s_and_saveexec_b32 s22, s18
	s_cbranch_execz .LBB296_455
.LBB296_489:                            ;   in Loop: Header=BB296_394 Depth=2
	ds_load_u8 v2, v1 offset:1792
	s_wait_dscnt 0x0
	v_lshrrev_b32_e32 v2, s45, v2
	s_delay_alu instid0(VALU_DEP_1)
	v_and_b32_e32 v90, s31, v2
	s_wait_alu 0xfffe
	s_or_b32 exec_lo, exec_lo, s22
	s_and_saveexec_b32 s22, s17
	s_cbranch_execz .LBB296_456
.LBB296_490:                            ;   in Loop: Header=BB296_394 Depth=2
	ds_load_u8 v2, v1 offset:2048
	s_wait_dscnt 0x0
	v_lshrrev_b32_e32 v2, s45, v2
	s_delay_alu instid0(VALU_DEP_1)
	v_and_b32_e32 v89, s31, v2
	s_wait_alu 0xfffe
	s_or_b32 exec_lo, exec_lo, s22
	s_and_saveexec_b32 s22, s16
	s_cbranch_execz .LBB296_457
.LBB296_491:                            ;   in Loop: Header=BB296_394 Depth=2
	ds_load_u8 v2, v1 offset:2304
	s_wait_dscnt 0x0
	v_lshrrev_b32_e32 v2, s45, v2
	s_delay_alu instid0(VALU_DEP_1)
	v_and_b32_e32 v88, s31, v2
	s_wait_alu 0xfffe
	s_or_b32 exec_lo, exec_lo, s22
	s_and_saveexec_b32 s22, s15
	s_cbranch_execz .LBB296_458
.LBB296_492:                            ;   in Loop: Header=BB296_394 Depth=2
	ds_load_u8 v2, v1 offset:2560
	s_wait_dscnt 0x0
	v_lshrrev_b32_e32 v2, s45, v2
	s_delay_alu instid0(VALU_DEP_1)
	v_and_b32_e32 v87, s31, v2
	s_wait_alu 0xfffe
	s_or_b32 exec_lo, exec_lo, s22
	s_and_saveexec_b32 s22, vcc_lo
	s_cbranch_execnz .LBB296_459
	s_branch .LBB296_460
.LBB296_493:                            ;   in Loop: Header=BB296_394 Depth=2
	v_lshlrev_b32_e32 v2, 2, v93
	v_add_nc_u32_e32 v20, v1, v47
	ds_load_b32 v2, v2
	ds_load_b64 v[20:21], v20 offset:1024
	s_wait_dscnt 0x1
	v_add_nc_u32_e32 v2, v2, v1
	s_delay_alu instid0(VALU_DEP_1) | instskip(NEXT) | instid1(VALU_DEP_1)
	v_lshlrev_b64_e32 v[23:24], 3, v[2:3]
	v_add_co_u32 v23, s20, s24, v23
	s_wait_alu 0xf1ff
	s_delay_alu instid0(VALU_DEP_2)
	v_add_co_ci_u32_e64 v24, null, s25, v24, s20
	s_wait_dscnt 0x0
	global_store_b64 v[23:24], v[20:21], off
	s_wait_alu 0xfffe
	s_or_b32 exec_lo, exec_lo, s22
	s_and_saveexec_b32 s22, s21
	s_cbranch_execz .LBB296_462
.LBB296_494:                            ;   in Loop: Header=BB296_394 Depth=2
	v_lshlrev_b32_e32 v2, 2, v92
	v_add_nc_u32_e32 v20, v1, v47
	ds_load_b32 v2, v2
	ds_load_b64 v[20:21], v20 offset:3072
	s_wait_dscnt 0x1
	v_add_nc_u32_e32 v2, v2, v29
	s_delay_alu instid0(VALU_DEP_1) | instskip(NEXT) | instid1(VALU_DEP_1)
	v_lshlrev_b64_e32 v[23:24], 3, v[2:3]
	v_add_co_u32 v23, s20, s24, v23
	s_wait_alu 0xf1ff
	s_delay_alu instid0(VALU_DEP_2)
	v_add_co_ci_u32_e64 v24, null, s25, v24, s20
	s_wait_dscnt 0x0
	global_store_b64 v[23:24], v[20:21], off
	s_wait_alu 0xfffe
	s_or_b32 exec_lo, exec_lo, s22
	s_and_saveexec_b32 s20, s19
	s_cbranch_execz .LBB296_463
.LBB296_495:                            ;   in Loop: Header=BB296_394 Depth=2
	v_lshlrev_b32_e32 v2, 2, v91
	v_add_nc_u32_e32 v20, v1, v47
	ds_load_b32 v2, v2
	ds_load_b64 v[20:21], v20 offset:5120
	s_wait_dscnt 0x1
	v_add_nc_u32_e32 v2, v2, v30
	s_delay_alu instid0(VALU_DEP_1) | instskip(NEXT) | instid1(VALU_DEP_1)
	v_lshlrev_b64_e32 v[23:24], 3, v[2:3]
	v_add_co_u32 v23, s19, s24, v23
	s_wait_alu 0xf1ff
	s_delay_alu instid0(VALU_DEP_2)
	v_add_co_ci_u32_e64 v24, null, s25, v24, s19
	s_wait_dscnt 0x0
	global_store_b64 v[23:24], v[20:21], off
	s_wait_alu 0xfffe
	s_or_b32 exec_lo, exec_lo, s20
	s_and_saveexec_b32 s19, s18
	s_cbranch_execz .LBB296_464
.LBB296_496:                            ;   in Loop: Header=BB296_394 Depth=2
	v_lshlrev_b32_e32 v2, 2, v90
	v_add_nc_u32_e32 v20, v1, v47
	ds_load_b32 v2, v2
	ds_load_b64 v[20:21], v20 offset:7168
	s_wait_dscnt 0x1
	v_add_nc_u32_e32 v2, v2, v31
	s_delay_alu instid0(VALU_DEP_1) | instskip(NEXT) | instid1(VALU_DEP_1)
	v_lshlrev_b64_e32 v[23:24], 3, v[2:3]
	v_add_co_u32 v23, s18, s24, v23
	s_wait_alu 0xf1ff
	s_delay_alu instid0(VALU_DEP_2)
	v_add_co_ci_u32_e64 v24, null, s25, v24, s18
	s_wait_dscnt 0x0
	global_store_b64 v[23:24], v[20:21], off
	s_wait_alu 0xfffe
	s_or_b32 exec_lo, exec_lo, s19
	s_and_saveexec_b32 s18, s17
	s_cbranch_execz .LBB296_465
.LBB296_497:                            ;   in Loop: Header=BB296_394 Depth=2
	v_lshlrev_b32_e32 v2, 2, v89
	v_add_nc_u32_e32 v20, v1, v47
	ds_load_b32 v2, v2
	ds_load_b64 v[20:21], v20 offset:9216
	s_wait_dscnt 0x1
	v_add_nc_u32_e32 v2, v2, v34
	s_delay_alu instid0(VALU_DEP_1) | instskip(NEXT) | instid1(VALU_DEP_1)
	v_lshlrev_b64_e32 v[23:24], 3, v[2:3]
	v_add_co_u32 v23, s17, s24, v23
	s_wait_alu 0xf1ff
	s_delay_alu instid0(VALU_DEP_2)
	v_add_co_ci_u32_e64 v24, null, s25, v24, s17
	s_wait_dscnt 0x0
	global_store_b64 v[23:24], v[20:21], off
	s_wait_alu 0xfffe
	s_or_b32 exec_lo, exec_lo, s18
	s_and_saveexec_b32 s17, s16
	s_cbranch_execz .LBB296_466
.LBB296_498:                            ;   in Loop: Header=BB296_394 Depth=2
	v_lshlrev_b32_e32 v2, 2, v88
	v_add_nc_u32_e32 v20, v1, v47
	ds_load_b32 v2, v2
	ds_load_b64 v[20:21], v20 offset:11264
	s_wait_dscnt 0x1
	v_add_nc_u32_e32 v2, v2, v35
	s_delay_alu instid0(VALU_DEP_1) | instskip(NEXT) | instid1(VALU_DEP_1)
	v_lshlrev_b64_e32 v[23:24], 3, v[2:3]
	v_add_co_u32 v23, s16, s24, v23
	s_wait_alu 0xf1ff
	s_delay_alu instid0(VALU_DEP_2)
	v_add_co_ci_u32_e64 v24, null, s25, v24, s16
	s_wait_dscnt 0x0
	global_store_b64 v[23:24], v[20:21], off
	s_wait_alu 0xfffe
	s_or_b32 exec_lo, exec_lo, s17
	s_and_saveexec_b32 s16, s15
	s_cbranch_execz .LBB296_467
.LBB296_499:                            ;   in Loop: Header=BB296_394 Depth=2
	v_lshlrev_b32_e32 v2, 2, v87
	v_add_nc_u32_e32 v20, v1, v47
	ds_load_b32 v2, v2
	ds_load_b64 v[20:21], v20 offset:13312
	s_wait_dscnt 0x1
	v_add_nc_u32_e32 v2, v2, v36
	s_delay_alu instid0(VALU_DEP_1) | instskip(NEXT) | instid1(VALU_DEP_1)
	v_lshlrev_b64_e32 v[23:24], 3, v[2:3]
	v_add_co_u32 v23, s15, s24, v23
	s_wait_alu 0xf1ff
	s_delay_alu instid0(VALU_DEP_2)
	v_add_co_ci_u32_e64 v24, null, s25, v24, s15
	s_wait_dscnt 0x0
	global_store_b64 v[23:24], v[20:21], off
	s_wait_alu 0xfffe
	s_or_b32 exec_lo, exec_lo, s16
	s_and_saveexec_b32 s15, vcc_lo
	s_cbranch_execnz .LBB296_468
	s_branch .LBB296_469
.LBB296_500:                            ;   in Loop: Header=BB296_394 Depth=2
	global_load_u8 v94, v[20:21], off
	v_dual_mov_b32 v22, 0x80 :: v_dual_mov_b32 v27, 0x80
	v_dual_mov_b32 v96, 0x80 :: v_dual_mov_b32 v25, 0x80
	;; [unrolled: 1-line block ×3, first 2 shown]
	v_mov_b32_e32 v24, 0x80
	s_wait_alu 0xfffe
	s_or_b32 exec_lo, exec_lo, s15
	s_delay_alu instid0(SALU_CYCLE_1)
	s_mov_b32 s15, exec_lo
	v_cmpx_gt_u32_e64 s42, v71
	s_cbranch_execz .LBB296_399
.LBB296_501:                            ;   in Loop: Header=BB296_394 Depth=2
	global_load_u8 v96, v[20:21], off offset:32
	s_wait_alu 0xfffe
	s_or_b32 exec_lo, exec_lo, s15
	s_delay_alu instid0(SALU_CYCLE_1)
	s_mov_b32 s15, exec_lo
	v_cmpx_gt_u32_e64 s42, v72
	s_cbranch_execz .LBB296_400
.LBB296_502:                            ;   in Loop: Header=BB296_394 Depth=2
	global_load_u8 v27, v[20:21], off offset:64
	s_wait_alu 0xfffe
	s_or_b32 exec_lo, exec_lo, s15
	s_delay_alu instid0(SALU_CYCLE_1)
	s_mov_b32 s15, exec_lo
	v_cmpx_gt_u32_e64 s42, v73
	s_cbranch_execz .LBB296_401
.LBB296_503:                            ;   in Loop: Header=BB296_394 Depth=2
	global_load_u8 v26, v[20:21], off offset:96
	s_wait_alu 0xfffe
	s_or_b32 exec_lo, exec_lo, s15
	s_delay_alu instid0(SALU_CYCLE_1)
	s_mov_b32 s15, exec_lo
	v_cmpx_gt_u32_e64 s42, v74
	s_cbranch_execz .LBB296_402
.LBB296_504:                            ;   in Loop: Header=BB296_394 Depth=2
	global_load_u8 v25, v[20:21], off offset:128
	s_wait_alu 0xfffe
	s_or_b32 exec_lo, exec_lo, s15
	s_delay_alu instid0(SALU_CYCLE_1)
	s_mov_b32 s15, exec_lo
	v_cmpx_gt_u32_e64 s42, v75
	s_cbranch_execz .LBB296_403
.LBB296_505:                            ;   in Loop: Header=BB296_394 Depth=2
	global_load_u8 v24, v[20:21], off offset:160
	s_wait_alu 0xfffe
	s_or_b32 exec_lo, exec_lo, s15
	s_delay_alu instid0(SALU_CYCLE_1)
	s_mov_b32 s15, exec_lo
	v_cmpx_gt_u32_e64 s42, v76
	s_cbranch_execnz .LBB296_404
	s_branch .LBB296_405
.LBB296_506:                            ;   in Loop: Header=BB296_12 Depth=1
	s_wait_loadcnt_dscnt 0x0
	s_barrier_signal -1
	s_mov_b32 s0, 0
	s_barrier_wait -1
.LBB296_507:                            ;   in Loop: Header=BB296_12 Depth=1
	s_wait_alu 0xfffe
	s_and_b32 vcc_lo, exec_lo, s0
	s_wait_alu 0xfffe
	s_cbranch_vccz .LBB296_11
; %bb.508:                              ;   in Loop: Header=BB296_12 Depth=1
	v_dual_mov_b32 v7, 0 :: v_dual_mov_b32 v10, 0
	v_dual_mov_b32 v9, 0 :: v_dual_mov_b32 v8, 0
	;; [unrolled: 1-line block ×3, first 2 shown]
	v_mov_b32_e32 v4, 0
	v_mov_b32_e32 v2, 0
	s_mov_b32 s9, s47
	s_mov_b32 s22, s33
	s_barrier_signal -1
	s_barrier_wait -1
	global_inv scope:SCOPE_SE
	s_branch .LBB296_510
.LBB296_509:                            ;   in Loop: Header=BB296_510 Depth=2
	s_wait_alu 0xfffe
	s_or_b32 exec_lo, exec_lo, s0
	s_addk_co_i32 s9, 0xf800
	s_cmp_ge_u32 s10, s34
	s_mov_b32 s22, s10
	s_cbranch_scc1 .LBB296_546
.LBB296_510:                            ;   Parent Loop BB296_12 Depth=1
                                        ; =>  This Inner Loop Header: Depth=2
	s_wait_alu 0xfffe
	s_add_co_i32 s10, s22, 0x800
	s_mov_b32 s0, -1
	s_wait_alu 0xfffe
	s_cmp_gt_u32 s10, s34
                                        ; implicit-def: $vgpr11
                                        ; implicit-def: $vgpr12
                                        ; implicit-def: $vgpr13
                                        ; implicit-def: $vgpr14
                                        ; implicit-def: $vgpr15
                                        ; implicit-def: $vgpr16
                                        ; implicit-def: $vgpr17
                                        ; implicit-def: $vgpr18
	s_cbranch_scc1 .LBB296_512
; %bb.511:                              ;   in Loop: Header=BB296_510 Depth=2
	v_add_co_u32 v19, vcc_lo, v54, s22
	s_wait_alu 0xfffd
	v_add_co_ci_u32_e64 v20, null, 0, v55, vcc_lo
	s_mov_b32 s0, 0
	s_clause 0x7
	global_load_u8 v18, v[19:20], off offset:1792
	global_load_u8 v17, v[19:20], off offset:1536
	;; [unrolled: 1-line block ×7, first 2 shown]
	global_load_u8 v11, v[19:20], off
.LBB296_512:                            ;   in Loop: Header=BB296_510 Depth=2
	s_wait_alu 0xfffe
	s_and_not1_b32 vcc_lo, exec_lo, s0
	s_movk_i32 s0, 0x800
	s_wait_alu 0xfffe
	s_cbranch_vccnz .LBB296_523
; %bb.513:                              ;   in Loop: Header=BB296_510 Depth=2
	s_add_nc_u64 s[0:1], s[36:37], s[22:23]
	s_mov_b32 s11, exec_lo
	v_cmpx_gt_u32_e64 s9, v1
	s_cbranch_execnz .LBB296_539
; %bb.514:                              ;   in Loop: Header=BB296_510 Depth=2
	s_wait_alu 0xfffe
	s_or_b32 exec_lo, exec_lo, s11
	s_delay_alu instid0(SALU_CYCLE_1)
	s_mov_b32 s11, exec_lo
	v_cmpx_gt_u32_e64 s9, v29
	s_cbranch_execnz .LBB296_540
.LBB296_515:                            ;   in Loop: Header=BB296_510 Depth=2
	s_wait_alu 0xfffe
	s_or_b32 exec_lo, exec_lo, s11
	s_delay_alu instid0(SALU_CYCLE_1)
	s_mov_b32 s11, exec_lo
	v_cmpx_gt_u32_e64 s9, v30
	s_cbranch_execnz .LBB296_541
.LBB296_516:                            ;   in Loop: Header=BB296_510 Depth=2
	s_wait_alu 0xfffe
	s_or_b32 exec_lo, exec_lo, s11
	s_delay_alu instid0(SALU_CYCLE_1)
	s_mov_b32 s11, exec_lo
	v_cmpx_gt_u32_e64 s9, v31
	s_cbranch_execnz .LBB296_542
.LBB296_517:                            ;   in Loop: Header=BB296_510 Depth=2
	s_wait_alu 0xfffe
	s_or_b32 exec_lo, exec_lo, s11
	s_delay_alu instid0(SALU_CYCLE_1)
	s_mov_b32 s11, exec_lo
	v_cmpx_gt_u32_e64 s9, v34
	s_cbranch_execnz .LBB296_543
.LBB296_518:                            ;   in Loop: Header=BB296_510 Depth=2
	s_wait_alu 0xfffe
	s_or_b32 exec_lo, exec_lo, s11
	s_delay_alu instid0(SALU_CYCLE_1)
	s_mov_b32 s11, exec_lo
	v_cmpx_gt_u32_e64 s9, v35
	s_cbranch_execnz .LBB296_544
.LBB296_519:                            ;   in Loop: Header=BB296_510 Depth=2
	s_wait_alu 0xfffe
	s_or_b32 exec_lo, exec_lo, s11
	s_delay_alu instid0(SALU_CYCLE_1)
	s_mov_b32 s11, exec_lo
	v_cmpx_gt_u32_e64 s9, v36
	s_cbranch_execnz .LBB296_545
.LBB296_520:                            ;   in Loop: Header=BB296_510 Depth=2
	s_wait_alu 0xfffe
	s_or_b32 exec_lo, exec_lo, s11
	s_delay_alu instid0(SALU_CYCLE_1)
	s_mov_b32 s11, exec_lo
	v_cmpx_gt_u32_e64 s9, v37
	s_cbranch_execz .LBB296_522
.LBB296_521:                            ;   in Loop: Header=BB296_510 Depth=2
	s_wait_loadcnt 0x0
	v_add_co_u32 v11, s0, s0, v1
	s_wait_alu 0xf1ff
	v_add_co_ci_u32_e64 v12, null, s1, 0, s0
	global_load_u8 v2, v[11:12], off offset:1792
.LBB296_522:                            ;   in Loop: Header=BB296_510 Depth=2
	s_wait_alu 0xfffe
	s_or_b32 exec_lo, exec_lo, s11
	s_wait_loadcnt 0x0
	v_dual_mov_b32 v11, v7 :: v_dual_mov_b32 v12, v10
	v_dual_mov_b32 v13, v9 :: v_dual_mov_b32 v14, v8
	;; [unrolled: 1-line block ×4, first 2 shown]
	s_mov_b32 s0, s9
.LBB296_523:                            ;   in Loop: Header=BB296_510 Depth=2
	s_wait_loadcnt 0x5
	s_delay_alu instid0(VALU_DEP_1)
	v_dual_mov_b32 v2, v18 :: v_dual_mov_b32 v5, v16
	s_wait_loadcnt 0x2
	v_dual_mov_b32 v4, v17 :: v_dual_mov_b32 v9, v13
	s_wait_loadcnt 0x0
	v_dual_mov_b32 v6, v15 :: v_dual_mov_b32 v7, v11
	v_mov_b32_e32 v8, v14
	v_mov_b32_e32 v10, v12
	s_mov_b32 s1, exec_lo
	s_wait_alu 0xfffe
	v_cmpx_gt_u32_e64 s0, v1
	s_cbranch_execnz .LBB296_531
; %bb.524:                              ;   in Loop: Header=BB296_510 Depth=2
	s_or_b32 exec_lo, exec_lo, s1
	s_delay_alu instid0(SALU_CYCLE_1)
	s_mov_b32 s1, exec_lo
	v_cmpx_gt_u32_e64 s0, v29
	s_cbranch_execnz .LBB296_532
.LBB296_525:                            ;   in Loop: Header=BB296_510 Depth=2
	s_wait_alu 0xfffe
	s_or_b32 exec_lo, exec_lo, s1
	s_delay_alu instid0(SALU_CYCLE_1)
	s_mov_b32 s1, exec_lo
	v_cmpx_gt_u32_e64 s0, v30
	s_cbranch_execnz .LBB296_533
.LBB296_526:                            ;   in Loop: Header=BB296_510 Depth=2
	s_wait_alu 0xfffe
	s_or_b32 exec_lo, exec_lo, s1
	s_delay_alu instid0(SALU_CYCLE_1)
	s_mov_b32 s1, exec_lo
	v_cmpx_gt_u32_e64 s0, v31
	s_cbranch_execnz .LBB296_534
.LBB296_527:                            ;   in Loop: Header=BB296_510 Depth=2
	s_wait_alu 0xfffe
	s_or_b32 exec_lo, exec_lo, s1
	s_delay_alu instid0(SALU_CYCLE_1)
	s_mov_b32 s1, exec_lo
	v_cmpx_gt_u32_e64 s0, v34
	s_cbranch_execnz .LBB296_535
.LBB296_528:                            ;   in Loop: Header=BB296_510 Depth=2
	s_wait_alu 0xfffe
	s_or_b32 exec_lo, exec_lo, s1
	s_delay_alu instid0(SALU_CYCLE_1)
	s_mov_b32 s1, exec_lo
	v_cmpx_gt_u32_e64 s0, v35
	s_cbranch_execnz .LBB296_536
.LBB296_529:                            ;   in Loop: Header=BB296_510 Depth=2
	s_wait_alu 0xfffe
	s_or_b32 exec_lo, exec_lo, s1
	s_delay_alu instid0(SALU_CYCLE_1)
	s_mov_b32 s1, exec_lo
	v_cmpx_gt_u32_e64 s0, v36
	s_cbranch_execnz .LBB296_537
.LBB296_530:                            ;   in Loop: Header=BB296_510 Depth=2
	s_wait_alu 0xfffe
	s_or_b32 exec_lo, exec_lo, s1
	v_cmp_gt_u32_e32 vcc_lo, s0, v37
	s_and_saveexec_b32 s0, vcc_lo
	s_cbranch_execz .LBB296_509
	s_branch .LBB296_538
.LBB296_531:                            ;   in Loop: Header=BB296_510 Depth=2
	v_xor_b32_e32 v11, 0x7f, v7
	s_delay_alu instid0(VALU_DEP_1) | instskip(NEXT) | instid1(VALU_DEP_1)
	v_and_b32_e32 v11, 0xff, v11
	v_lshrrev_b32_e32 v11, s45, v11
	s_delay_alu instid0(VALU_DEP_1) | instskip(NEXT) | instid1(VALU_DEP_1)
	v_and_b32_e32 v11, s31, v11
	v_lshl_or_b32 v11, v11, 4, v39
	ds_add_u32 v11, v61
	s_or_b32 exec_lo, exec_lo, s1
	s_delay_alu instid0(SALU_CYCLE_1)
	s_mov_b32 s1, exec_lo
	v_cmpx_gt_u32_e64 s0, v29
	s_cbranch_execz .LBB296_525
.LBB296_532:                            ;   in Loop: Header=BB296_510 Depth=2
	v_xor_b32_e32 v11, 0x7f, v10
	s_delay_alu instid0(VALU_DEP_1) | instskip(NEXT) | instid1(VALU_DEP_1)
	v_and_b32_e32 v11, 0xff, v11
	v_lshrrev_b32_e32 v11, s45, v11
	s_delay_alu instid0(VALU_DEP_1) | instskip(NEXT) | instid1(VALU_DEP_1)
	v_and_b32_e32 v11, s31, v11
	v_lshl_or_b32 v11, v11, 4, v39
	ds_add_u32 v11, v61
	s_wait_alu 0xfffe
	s_or_b32 exec_lo, exec_lo, s1
	s_delay_alu instid0(SALU_CYCLE_1)
	s_mov_b32 s1, exec_lo
	v_cmpx_gt_u32_e64 s0, v30
	s_cbranch_execz .LBB296_526
.LBB296_533:                            ;   in Loop: Header=BB296_510 Depth=2
	v_xor_b32_e32 v11, 0x7f, v9
	s_delay_alu instid0(VALU_DEP_1) | instskip(NEXT) | instid1(VALU_DEP_1)
	v_and_b32_e32 v11, 0xff, v11
	v_lshrrev_b32_e32 v11, s45, v11
	s_delay_alu instid0(VALU_DEP_1) | instskip(NEXT) | instid1(VALU_DEP_1)
	v_and_b32_e32 v11, s31, v11
	v_lshl_or_b32 v11, v11, 4, v39
	ds_add_u32 v11, v61
	s_wait_alu 0xfffe
	s_or_b32 exec_lo, exec_lo, s1
	s_delay_alu instid0(SALU_CYCLE_1)
	s_mov_b32 s1, exec_lo
	v_cmpx_gt_u32_e64 s0, v31
	s_cbranch_execz .LBB296_527
.LBB296_534:                            ;   in Loop: Header=BB296_510 Depth=2
	v_xor_b32_e32 v11, 0x7f, v8
	s_delay_alu instid0(VALU_DEP_1) | instskip(NEXT) | instid1(VALU_DEP_1)
	v_and_b32_e32 v11, 0xff, v11
	v_lshrrev_b32_e32 v11, s45, v11
	s_delay_alu instid0(VALU_DEP_1) | instskip(NEXT) | instid1(VALU_DEP_1)
	v_and_b32_e32 v11, s31, v11
	v_lshl_or_b32 v11, v11, 4, v39
	ds_add_u32 v11, v61
	s_wait_alu 0xfffe
	s_or_b32 exec_lo, exec_lo, s1
	s_delay_alu instid0(SALU_CYCLE_1)
	s_mov_b32 s1, exec_lo
	v_cmpx_gt_u32_e64 s0, v34
	s_cbranch_execz .LBB296_528
.LBB296_535:                            ;   in Loop: Header=BB296_510 Depth=2
	v_xor_b32_e32 v11, 0x7f, v6
	s_delay_alu instid0(VALU_DEP_1) | instskip(NEXT) | instid1(VALU_DEP_1)
	v_and_b32_e32 v11, 0xff, v11
	v_lshrrev_b32_e32 v11, s45, v11
	s_delay_alu instid0(VALU_DEP_1) | instskip(NEXT) | instid1(VALU_DEP_1)
	v_and_b32_e32 v11, s31, v11
	v_lshl_or_b32 v11, v11, 4, v39
	ds_add_u32 v11, v61
	s_wait_alu 0xfffe
	s_or_b32 exec_lo, exec_lo, s1
	s_delay_alu instid0(SALU_CYCLE_1)
	s_mov_b32 s1, exec_lo
	v_cmpx_gt_u32_e64 s0, v35
	s_cbranch_execz .LBB296_529
.LBB296_536:                            ;   in Loop: Header=BB296_510 Depth=2
	v_xor_b32_e32 v11, 0x7f, v5
	s_delay_alu instid0(VALU_DEP_1) | instskip(NEXT) | instid1(VALU_DEP_1)
	v_and_b32_e32 v11, 0xff, v11
	v_lshrrev_b32_e32 v11, s45, v11
	s_delay_alu instid0(VALU_DEP_1) | instskip(NEXT) | instid1(VALU_DEP_1)
	v_and_b32_e32 v11, s31, v11
	v_lshl_or_b32 v11, v11, 4, v39
	ds_add_u32 v11, v61
	s_wait_alu 0xfffe
	s_or_b32 exec_lo, exec_lo, s1
	s_delay_alu instid0(SALU_CYCLE_1)
	s_mov_b32 s1, exec_lo
	v_cmpx_gt_u32_e64 s0, v36
	s_cbranch_execz .LBB296_530
.LBB296_537:                            ;   in Loop: Header=BB296_510 Depth=2
	v_xor_b32_e32 v11, 0x7f, v4
	s_delay_alu instid0(VALU_DEP_1) | instskip(NEXT) | instid1(VALU_DEP_1)
	v_and_b32_e32 v11, 0xff, v11
	v_lshrrev_b32_e32 v11, s45, v11
	s_delay_alu instid0(VALU_DEP_1) | instskip(NEXT) | instid1(VALU_DEP_1)
	v_and_b32_e32 v11, s31, v11
	v_lshl_or_b32 v11, v11, 4, v39
	ds_add_u32 v11, v61
	s_wait_alu 0xfffe
	s_or_b32 exec_lo, exec_lo, s1
	v_cmp_gt_u32_e32 vcc_lo, s0, v37
	s_and_saveexec_b32 s0, vcc_lo
	s_cbranch_execz .LBB296_509
.LBB296_538:                            ;   in Loop: Header=BB296_510 Depth=2
	v_xor_b32_e32 v11, 0x7f, v2
	s_delay_alu instid0(VALU_DEP_1) | instskip(NEXT) | instid1(VALU_DEP_1)
	v_and_b32_e32 v11, 0xff, v11
	v_lshrrev_b32_e32 v11, s45, v11
	s_delay_alu instid0(VALU_DEP_1) | instskip(NEXT) | instid1(VALU_DEP_1)
	v_and_b32_e32 v11, s31, v11
	v_lshl_or_b32 v11, v11, 4, v39
	ds_add_u32 v11, v61
	s_branch .LBB296_509
.LBB296_539:                            ;   in Loop: Header=BB296_510 Depth=2
	s_wait_loadcnt 0x0
	s_wait_alu 0xfffe
	v_add_co_u32 v11, s12, s0, v1
	s_wait_alu 0xf1ff
	v_add_co_ci_u32_e64 v12, null, s1, 0, s12
	global_load_u8 v7, v[11:12], off
	s_or_b32 exec_lo, exec_lo, s11
	s_delay_alu instid0(SALU_CYCLE_1)
	s_mov_b32 s11, exec_lo
	v_cmpx_gt_u32_e64 s9, v29
	s_cbranch_execz .LBB296_515
.LBB296_540:                            ;   in Loop: Header=BB296_510 Depth=2
	v_add_co_u32 v10, s12, s0, v1
	s_wait_loadcnt 0x0
	s_wait_alu 0xf1ff
	v_add_co_ci_u32_e64 v11, null, s1, 0, s12
	global_load_u8 v10, v[10:11], off offset:256
	s_wait_alu 0xfffe
	s_or_b32 exec_lo, exec_lo, s11
	s_delay_alu instid0(SALU_CYCLE_1)
	s_mov_b32 s11, exec_lo
	v_cmpx_gt_u32_e64 s9, v30
	s_cbranch_execz .LBB296_516
.LBB296_541:                            ;   in Loop: Header=BB296_510 Depth=2
	s_wait_loadcnt 0x0
	v_add_co_u32 v11, s12, s0, v1
	s_wait_alu 0xf1ff
	v_add_co_ci_u32_e64 v12, null, s1, 0, s12
	global_load_u8 v9, v[11:12], off offset:512
	s_wait_alu 0xfffe
	s_or_b32 exec_lo, exec_lo, s11
	s_delay_alu instid0(SALU_CYCLE_1)
	s_mov_b32 s11, exec_lo
	v_cmpx_gt_u32_e64 s9, v31
	s_cbranch_execz .LBB296_517
.LBB296_542:                            ;   in Loop: Header=BB296_510 Depth=2
	s_wait_loadcnt 0x0
	v_add_co_u32 v11, s12, s0, v1
	s_wait_alu 0xf1ff
	v_add_co_ci_u32_e64 v12, null, s1, 0, s12
	global_load_u8 v8, v[11:12], off offset:768
	s_wait_alu 0xfffe
	s_or_b32 exec_lo, exec_lo, s11
	s_delay_alu instid0(SALU_CYCLE_1)
	s_mov_b32 s11, exec_lo
	v_cmpx_gt_u32_e64 s9, v34
	s_cbranch_execz .LBB296_518
.LBB296_543:                            ;   in Loop: Header=BB296_510 Depth=2
	s_wait_loadcnt 0x0
	v_add_co_u32 v11, s12, s0, v1
	s_wait_alu 0xf1ff
	v_add_co_ci_u32_e64 v12, null, s1, 0, s12
	global_load_u8 v6, v[11:12], off offset:1024
	s_wait_alu 0xfffe
	s_or_b32 exec_lo, exec_lo, s11
	s_delay_alu instid0(SALU_CYCLE_1)
	s_mov_b32 s11, exec_lo
	v_cmpx_gt_u32_e64 s9, v35
	s_cbranch_execz .LBB296_519
.LBB296_544:                            ;   in Loop: Header=BB296_510 Depth=2
	s_wait_loadcnt 0x0
	v_add_co_u32 v11, s12, s0, v1
	s_wait_alu 0xf1ff
	v_add_co_ci_u32_e64 v12, null, s1, 0, s12
	global_load_u8 v5, v[11:12], off offset:1280
	s_wait_alu 0xfffe
	s_or_b32 exec_lo, exec_lo, s11
	s_delay_alu instid0(SALU_CYCLE_1)
	s_mov_b32 s11, exec_lo
	v_cmpx_gt_u32_e64 s9, v36
	s_cbranch_execz .LBB296_520
.LBB296_545:                            ;   in Loop: Header=BB296_510 Depth=2
	s_wait_loadcnt 0x0
	v_add_co_u32 v11, s12, s0, v1
	s_wait_alu 0xf1ff
	v_add_co_ci_u32_e64 v12, null, s1, 0, s12
	global_load_u8 v4, v[11:12], off offset:1536
	s_wait_alu 0xfffe
	s_or_b32 exec_lo, exec_lo, s11
	s_delay_alu instid0(SALU_CYCLE_1)
	s_mov_b32 s11, exec_lo
	v_cmpx_gt_u32_e64 s9, v37
	s_cbranch_execnz .LBB296_521
	s_branch .LBB296_522
.LBB296_546:                            ;   in Loop: Header=BB296_12 Depth=1
	v_mov_b32_e32 v2, 0
	s_wait_dscnt 0x0
	s_barrier_signal -1
	s_barrier_wait -1
	global_inv scope:SCOPE_SE
	s_and_saveexec_b32 s0, s2
	s_cbranch_execz .LBB296_548
; %bb.547:                              ;   in Loop: Header=BB296_12 Depth=1
	ds_load_2addr_b64 v[4:7], v40 offset1:1
	s_wait_dscnt 0x0
	v_add_nc_u32_e32 v2, v5, v4
	s_delay_alu instid0(VALU_DEP_1)
	v_add3_u32 v2, v2, v6, v7
.LBB296_548:                            ;   in Loop: Header=BB296_12 Depth=1
	s_wait_alu 0xfffe
	s_or_b32 exec_lo, exec_lo, s0
	s_delay_alu instid0(VALU_DEP_1)
	v_mov_b32_dpp v4, v2 row_shr:1 row_mask:0xf bank_mask:0xf
	v_cmp_eq_u32_e64 s0, 0, v62
	v_cmp_lt_u32_e64 s1, 1, v62
	v_cmp_lt_u32_e64 s9, 3, v62
	;; [unrolled: 1-line block ×3, first 2 shown]
	v_cmp_eq_u32_e64 s11, 0, v64
	s_wait_alu 0xf1ff
	v_cndmask_b32_e64 v4, v4, 0, s0
	s_delay_alu instid0(VALU_DEP_1) | instskip(NEXT) | instid1(VALU_DEP_1)
	v_add_nc_u32_e32 v2, v4, v2
	v_mov_b32_dpp v4, v2 row_shr:2 row_mask:0xf bank_mask:0xf
	s_delay_alu instid0(VALU_DEP_1) | instskip(NEXT) | instid1(VALU_DEP_1)
	v_cndmask_b32_e64 v4, 0, v4, s1
	v_add_nc_u32_e32 v2, v2, v4
	s_delay_alu instid0(VALU_DEP_1) | instskip(NEXT) | instid1(VALU_DEP_1)
	v_mov_b32_dpp v4, v2 row_shr:4 row_mask:0xf bank_mask:0xf
	v_cndmask_b32_e64 v4, 0, v4, s9
	s_delay_alu instid0(VALU_DEP_1) | instskip(NEXT) | instid1(VALU_DEP_1)
	v_add_nc_u32_e32 v2, v2, v4
	v_mov_b32_dpp v4, v2 row_shr:8 row_mask:0xf bank_mask:0xf
	s_delay_alu instid0(VALU_DEP_1) | instskip(NEXT) | instid1(VALU_DEP_1)
	v_cndmask_b32_e64 v4, 0, v4, s10
	v_add_nc_u32_e32 v2, v2, v4
	ds_swizzle_b32 v4, v2 offset:swizzle(BROADCAST,32,15)
	s_wait_dscnt 0x0
	v_and_b32_e32 v4, v63, v4
	s_delay_alu instid0(VALU_DEP_1)
	v_add_nc_u32_e32 v2, v2, v4
	s_and_saveexec_b32 s12, s3
; %bb.549:                              ;   in Loop: Header=BB296_12 Depth=1
	ds_store_b32 v41, v2
; %bb.550:                              ;   in Loop: Header=BB296_12 Depth=1
	s_wait_alu 0xfffe
	s_or_b32 exec_lo, exec_lo, s12
	s_wait_loadcnt_dscnt 0x0
	s_barrier_signal -1
	s_barrier_wait -1
	global_inv scope:SCOPE_SE
	s_and_saveexec_b32 s12, s4
	s_cbranch_execz .LBB296_552
; %bb.551:                              ;   in Loop: Header=BB296_12 Depth=1
	ds_load_b32 v4, v42
	v_cmp_ne_u32_e32 vcc_lo, 0, v65
	s_wait_dscnt 0x0
	v_mov_b32_dpp v5, v4 row_shr:1 row_mask:0xf bank_mask:0xf
	s_wait_alu 0xfffd
	s_delay_alu instid0(VALU_DEP_1) | instskip(SKIP_1) | instid1(VALU_DEP_2)
	v_cndmask_b32_e32 v5, 0, v5, vcc_lo
	v_cmp_lt_u32_e32 vcc_lo, 1, v65
	v_add_nc_u32_e32 v4, v5, v4
	s_delay_alu instid0(VALU_DEP_1) | instskip(SKIP_1) | instid1(VALU_DEP_1)
	v_mov_b32_dpp v5, v4 row_shr:2 row_mask:0xf bank_mask:0xf
	s_wait_alu 0xfffd
	v_cndmask_b32_e32 v5, 0, v5, vcc_lo
	v_cmp_lt_u32_e32 vcc_lo, 3, v65
	s_delay_alu instid0(VALU_DEP_2) | instskip(NEXT) | instid1(VALU_DEP_1)
	v_add_nc_u32_e32 v4, v4, v5
	v_mov_b32_dpp v5, v4 row_shr:4 row_mask:0xf bank_mask:0xf
	s_wait_alu 0xfffd
	s_delay_alu instid0(VALU_DEP_1) | instskip(NEXT) | instid1(VALU_DEP_1)
	v_cndmask_b32_e32 v5, 0, v5, vcc_lo
	v_add_nc_u32_e32 v4, v4, v5
	ds_store_b32 v42, v4
.LBB296_552:                            ;   in Loop: Header=BB296_12 Depth=1
	s_wait_alu 0xfffe
	s_or_b32 exec_lo, exec_lo, s12
	v_mov_b32_e32 v4, 0
	s_wait_loadcnt_dscnt 0x0
	s_barrier_signal -1
	s_barrier_wait -1
	global_inv scope:SCOPE_SE
	s_and_saveexec_b32 s12, s5
; %bb.553:                              ;   in Loop: Header=BB296_12 Depth=1
	ds_load_b32 v4, v43
; %bb.554:                              ;   in Loop: Header=BB296_12 Depth=1
	s_wait_alu 0xfffe
	s_or_b32 exec_lo, exec_lo, s12
	v_cmp_gt_i32_e32 vcc_lo, 0, v67
	s_wait_dscnt 0x0
	v_add_nc_u32_e32 v2, v4, v2
	s_wait_loadcnt 0x0
	s_barrier_signal -1
	s_barrier_wait -1
	s_wait_alu 0xfffd
	v_cndmask_b32_e32 v5, v67, v58, vcc_lo
	global_inv scope:SCOPE_SE
	v_lshlrev_b32_e32 v80, 2, v5
	ds_bpermute_b32 v2, v80, v2
	s_and_saveexec_b32 s12, s2
	s_cbranch_execz .LBB296_556
; %bb.555:                              ;   in Loop: Header=BB296_12 Depth=1
	s_wait_dscnt 0x0
	v_cndmask_b32_e64 v2, v2, v4, s8
	s_delay_alu instid0(VALU_DEP_1)
	v_add_nc_u32_e32 v2, s33, v2
	ds_store_b32 v28, v2
.LBB296_556:                            ;   in Loop: Header=BB296_12 Depth=1
	s_wait_alu 0xfffe
	s_or_b32 exec_lo, exec_lo, s12
	s_load_b64 s[12:13], s[28:29], 0x0
	v_add_co_u32 v81, vcc_lo, v56, v66
	s_wait_alu 0xfffd
	v_add_co_ci_u32_e64 v82, null, 0, v57, vcc_lo
	v_add_co_u32 v83, vcc_lo, v59, v58
	s_wait_alu 0xfffd
	v_add_co_ci_u32_e64 v84, null, 0, v60, vcc_lo
	s_mov_b32 s42, s47
                                        ; implicit-def: $vgpr6_vgpr7
                                        ; implicit-def: $vgpr8_vgpr9
                                        ; implicit-def: $vgpr10_vgpr11
                                        ; implicit-def: $vgpr12_vgpr13
                                        ; implicit-def: $vgpr14_vgpr15
                                        ; implicit-def: $vgpr16_vgpr17
                                        ; implicit-def: $vgpr18_vgpr19
                                        ; implicit-def: $vgpr86
                                        ; implicit-def: $vgpr87
                                        ; implicit-def: $vgpr88
                                        ; implicit-def: $vgpr89
                                        ; implicit-def: $vgpr90
                                        ; implicit-def: $vgpr91
                                        ; implicit-def: $vgpr92
                                        ; implicit-def: $vgpr93
	s_wait_kmcnt 0x0
	s_cmp_lt_u32 ttmp7, s13
	s_cselect_b32 s22, 14, 20
	s_cmp_lt_u32 ttmp9, s12
	s_wait_alu 0xfffe
	s_add_nc_u64 s[14:15], s[28:29], s[22:23]
	s_cselect_b32 s22, 12, 18
	s_load_u16 s14, s[14:15], 0x0
	s_add_nc_u64 s[12:13], s[28:29], s[22:23]
	s_mov_b32 s22, s33
	s_load_u16 s12, s[12:13], 0x0
	v_cmp_lt_u32_e64 s13, 1, v65
	s_wait_dscnt 0x0
	s_wait_kmcnt 0x0
	v_mad_u32_u24 v2, v44, s14, v0
	v_cmp_lt_u32_e64 s14, 3, v65
	s_delay_alu instid0(VALU_DEP_2) | instskip(SKIP_1) | instid1(VALU_DEP_2)
	v_mad_co_u64_u32 v[4:5], null, v2, s12, v[1:2]
	v_cmp_eq_u32_e64 s12, 0, v65
	v_lshrrev_b32_e32 v2, 3, v4
                                        ; implicit-def: $vgpr4_vgpr5
	s_delay_alu instid0(VALU_DEP_1)
	v_and_b32_e32 v85, 0x1ffffffc, v2
	s_branch .LBB296_558
.LBB296_557:                            ;   in Loop: Header=BB296_558 Depth=2
	s_wait_alu 0xfffe
	s_or_b32 exec_lo, exec_lo, s15
	s_addk_co_i32 s42, 0xf800
	s_cmp_lt_u32 s43, s34
	s_mov_b32 s22, s43
	s_cbranch_scc0 .LBB296_10
.LBB296_558:                            ;   Parent Loop BB296_12 Depth=1
                                        ; =>  This Inner Loop Header: Depth=2
	s_wait_alu 0xfffe
	s_add_co_i32 s43, s22, 0x800
	s_wait_alu 0xfffe
	s_cmp_gt_u32 s43, s34
	s_cbranch_scc1 .LBB296_560
; %bb.559:                              ;   in Loop: Header=BB296_558 Depth=2
	v_add_co_u32 v20, vcc_lo, v83, s22
	s_wait_alu 0xfffd
	v_add_co_ci_u32_e64 v21, null, 0, v84, vcc_lo
	s_mov_b32 s15, -1
	s_clause 0x6
	global_load_u8 v23, v[20:21], off offset:192
	global_load_u8 v24, v[20:21], off offset:160
	;; [unrolled: 1-line block ×6, first 2 shown]
	global_load_u8 v94, v[20:21], off
	s_movk_i32 s16, 0x800
                                        ; implicit-def: $vgpr22
	s_cbranch_execz .LBB296_561
	s_branch .LBB296_570
.LBB296_560:                            ;   in Loop: Header=BB296_558 Depth=2
	s_mov_b32 s15, 0
                                        ; implicit-def: $vgpr94
                                        ; implicit-def: $vgpr96
                                        ; implicit-def: $vgpr27
                                        ; implicit-def: $vgpr26
                                        ; implicit-def: $vgpr25
                                        ; implicit-def: $vgpr24
                                        ; implicit-def: $vgpr23
	s_movk_i32 s16, 0x800
                                        ; implicit-def: $vgpr22
.LBB296_561:                            ;   in Loop: Header=BB296_558 Depth=2
	v_add_co_u32 v20, vcc_lo, v83, s22
	s_wait_alu 0xfffd
	v_add_co_ci_u32_e64 v21, null, 0, v84, vcc_lo
	s_wait_loadcnt 0x2
	v_dual_mov_b32 v22, 0x80 :: v_dual_mov_b32 v27, 0x80
	s_wait_loadcnt 0x0
	v_dual_mov_b32 v94, 0x80 :: v_dual_mov_b32 v25, 0x80
	v_dual_mov_b32 v96, 0x80 :: v_dual_mov_b32 v23, 0x80
	v_mov_b32_e32 v26, 0x80
	v_mov_b32_e32 v24, 0x80
	s_mov_b32 s15, exec_lo
	v_cmpx_gt_u32_e64 s42, v68
	s_cbranch_execnz .LBB296_664
; %bb.562:                              ;   in Loop: Header=BB296_558 Depth=2
	s_wait_alu 0xfffe
	s_or_b32 exec_lo, exec_lo, s15
	s_delay_alu instid0(SALU_CYCLE_1)
	s_mov_b32 s15, exec_lo
	v_cmpx_gt_u32_e64 s42, v71
	s_cbranch_execnz .LBB296_665
.LBB296_563:                            ;   in Loop: Header=BB296_558 Depth=2
	s_wait_alu 0xfffe
	s_or_b32 exec_lo, exec_lo, s15
	s_delay_alu instid0(SALU_CYCLE_1)
	s_mov_b32 s15, exec_lo
	v_cmpx_gt_u32_e64 s42, v72
	s_cbranch_execnz .LBB296_666
.LBB296_564:                            ;   in Loop: Header=BB296_558 Depth=2
	s_wait_alu 0xfffe
	s_or_b32 exec_lo, exec_lo, s15
	s_delay_alu instid0(SALU_CYCLE_1)
	s_mov_b32 s15, exec_lo
	v_cmpx_gt_u32_e64 s42, v73
	s_cbranch_execnz .LBB296_667
.LBB296_565:                            ;   in Loop: Header=BB296_558 Depth=2
	s_wait_alu 0xfffe
	s_or_b32 exec_lo, exec_lo, s15
	s_delay_alu instid0(SALU_CYCLE_1)
	s_mov_b32 s15, exec_lo
	v_cmpx_gt_u32_e64 s42, v74
	s_cbranch_execnz .LBB296_668
.LBB296_566:                            ;   in Loop: Header=BB296_558 Depth=2
	s_wait_alu 0xfffe
	s_or_b32 exec_lo, exec_lo, s15
	s_delay_alu instid0(SALU_CYCLE_1)
	s_mov_b32 s15, exec_lo
	v_cmpx_gt_u32_e64 s42, v75
	s_cbranch_execnz .LBB296_669
.LBB296_567:                            ;   in Loop: Header=BB296_558 Depth=2
	s_wait_alu 0xfffe
	s_or_b32 exec_lo, exec_lo, s15
	s_delay_alu instid0(SALU_CYCLE_1)
	s_mov_b32 s15, exec_lo
	v_cmpx_gt_u32_e64 s42, v76
	s_cbranch_execz .LBB296_569
.LBB296_568:                            ;   in Loop: Header=BB296_558 Depth=2
	global_load_u8 v23, v[20:21], off offset:192
.LBB296_569:                            ;   in Loop: Header=BB296_558 Depth=2
	s_wait_alu 0xfffe
	s_or_b32 exec_lo, exec_lo, s15
	v_cmp_gt_u32_e64 s15, s42, v77
	s_sub_co_i32 s16, s34, s22
.LBB296_570:                            ;   in Loop: Header=BB296_558 Depth=2
	v_mov_b32_e32 v2, s42
	s_wait_alu 0xfffe
	s_and_saveexec_b32 s17, s15
	s_cbranch_execz .LBB296_572
; %bb.571:                              ;   in Loop: Header=BB296_558 Depth=2
	v_add_co_u32 v20, vcc_lo, v83, s22
	s_wait_alu 0xfffd
	v_add_co_ci_u32_e64 v21, null, s23, v84, vcc_lo
	v_mov_b32_e32 v2, s16
	global_load_u8 v22, v[20:21], off offset:224
.LBB296_572:                            ;   in Loop: Header=BB296_558 Depth=2
	s_wait_alu 0xfffe
	s_or_b32 exec_lo, exec_lo, s17
	s_wait_loadcnt 0x0
	v_xor_b32_e32 v94, 0x7f, v94
	s_delay_alu instid0(VALU_DEP_1) | instskip(NEXT) | instid1(VALU_DEP_1)
	v_and_b32_e32 v20, 0xff, v94
	v_lshrrev_b32_e32 v20, s45, v20
	s_delay_alu instid0(VALU_DEP_1) | instskip(NEXT) | instid1(VALU_DEP_1)
	v_and_b32_e32 v21, s31, v20
	v_and_b32_e32 v20, 1, v21
	v_lshlrev_b32_e32 v95, 30, v21
	v_lshlrev_b32_e32 v97, 29, v21
	;; [unrolled: 1-line block ×4, first 2 shown]
	v_add_co_u32 v20, s15, v20, -1
	s_wait_alu 0xf1ff
	v_cndmask_b32_e64 v99, 0, 1, s15
	v_not_b32_e32 v103, v95
	v_cmp_gt_i32_e64 s15, 0, v95
	v_not_b32_e32 v95, v97
	v_lshlrev_b32_e32 v101, 26, v21
	v_cmp_ne_u32_e32 vcc_lo, 0, v99
	v_ashrrev_i32_e32 v103, 31, v103
	v_lshlrev_b32_e32 v102, 25, v21
	v_ashrrev_i32_e32 v95, 31, v95
	v_lshlrev_b32_e32 v99, 24, v21
	s_wait_alu 0xfffd
	v_xor_b32_e32 v20, vcc_lo, v20
	v_cmp_gt_i32_e32 vcc_lo, 0, v97
	v_not_b32_e32 v97, v98
	s_wait_alu 0xf1ff
	v_xor_b32_e32 v103, s15, v103
	v_cmp_gt_i32_e64 s15, 0, v98
	v_and_b32_e32 v20, exec_lo, v20
	v_not_b32_e32 v98, v100
	v_ashrrev_i32_e32 v97, 31, v97
	s_wait_alu 0xfffd
	v_xor_b32_e32 v95, vcc_lo, v95
	v_cmp_gt_i32_e32 vcc_lo, 0, v100
	v_and_b32_e32 v20, v20, v103
	v_not_b32_e32 v100, v101
	v_ashrrev_i32_e32 v98, 31, v98
	s_wait_alu 0xf1ff
	v_xor_b32_e32 v97, s15, v97
	v_cmp_gt_i32_e64 s15, 0, v101
	v_and_b32_e32 v20, v20, v95
	v_not_b32_e32 v95, v102
	v_ashrrev_i32_e32 v100, 31, v100
	s_wait_alu 0xfffd
	v_xor_b32_e32 v98, vcc_lo, v98
	v_cmp_gt_i32_e32 vcc_lo, 0, v102
	v_and_b32_e32 v20, v20, v97
	v_not_b32_e32 v97, v99
	v_ashrrev_i32_e32 v95, 31, v95
	s_wait_alu 0xf1ff
	v_xor_b32_e32 v100, s15, v100
	v_cmp_gt_i32_e64 s15, 0, v99
	v_and_b32_e32 v20, v20, v98
	v_ashrrev_i32_e32 v97, 31, v97
	s_wait_alu 0xfffd
	v_xor_b32_e32 v95, vcc_lo, v95
	v_mul_u32_u24_e32 v21, 36, v21
	v_add_nc_u32_e32 v99, 0x428, v45
	v_and_b32_e32 v20, v20, v100
	s_wait_alu 0xf1ff
	v_xor_b32_e32 v98, s15, v97
	v_add_nc_u32_e32 v97, 0x438, v45
	v_add_nc_u32_e32 v100, 0x430, v45
	;; [unrolled: 1-line block ×3, first 2 shown]
	v_and_b32_e32 v20, v20, v95
	ds_store_2addr_b32 v97, v3, v3 offset1:1
	v_and_b32_e32 v20, v20, v98
	v_add_nc_u32_e32 v98, 0x420, v45
	ds_store_2addr_b32 v98, v3, v3 offset1:1
	ds_store_2addr_b32 v99, v3, v3 offset1:1
	;; [unrolled: 1-line block ×3, first 2 shown]
	ds_store_b32 v45, v3 offset:1088
	v_mbcnt_lo_u32_b32 v95, v20, 0
	v_cmp_ne_u32_e64 s15, 0, v20
	s_wait_dscnt 0x0
	s_barrier_signal -1
	s_barrier_wait -1
	v_cmp_eq_u32_e32 vcc_lo, 0, v95
	global_inv scope:SCOPE_SE
	; wave barrier
	s_and_b32 s16, s15, vcc_lo
	s_wait_alu 0xfffe
	s_and_saveexec_b32 s15, s16
; %bb.573:                              ;   in Loop: Header=BB296_558 Depth=2
	v_bcnt_u32_b32 v20, v20, 0
	ds_store_b32 v101, v20 offset:1056
; %bb.574:                              ;   in Loop: Header=BB296_558 Depth=2
	s_wait_alu 0xfffe
	s_or_b32 exec_lo, exec_lo, s15
	v_xor_b32_e32 v96, 0x7f, v96
	; wave barrier
	s_delay_alu instid0(VALU_DEP_1) | instskip(NEXT) | instid1(VALU_DEP_1)
	v_and_b32_e32 v20, 0xff, v96
	v_lshrrev_b32_e32 v20, s45, v20
	s_delay_alu instid0(VALU_DEP_1) | instskip(NEXT) | instid1(VALU_DEP_1)
	v_and_b32_e32 v21, s31, v20
	v_and_b32_e32 v20, 1, v21
	v_lshlrev_b32_e32 v102, 30, v21
	v_lshlrev_b32_e32 v103, 29, v21
	;; [unrolled: 1-line block ×4, first 2 shown]
	v_add_co_u32 v20, s15, v20, -1
	s_wait_alu 0xf1ff
	v_cndmask_b32_e64 v105, 0, 1, s15
	v_not_b32_e32 v109, v102
	v_cmp_gt_i32_e64 s15, 0, v102
	v_not_b32_e32 v102, v103
	v_lshlrev_b32_e32 v107, 26, v21
	v_cmp_ne_u32_e32 vcc_lo, 0, v105
	v_ashrrev_i32_e32 v109, 31, v109
	v_lshlrev_b32_e32 v108, 25, v21
	v_ashrrev_i32_e32 v102, 31, v102
	v_lshlrev_b32_e32 v105, 24, v21
	s_wait_alu 0xfffd
	v_xor_b32_e32 v20, vcc_lo, v20
	v_cmp_gt_i32_e32 vcc_lo, 0, v103
	v_not_b32_e32 v103, v104
	s_wait_alu 0xf1ff
	v_xor_b32_e32 v109, s15, v109
	v_cmp_gt_i32_e64 s15, 0, v104
	v_and_b32_e32 v20, exec_lo, v20
	v_not_b32_e32 v104, v106
	v_ashrrev_i32_e32 v103, 31, v103
	s_wait_alu 0xfffd
	v_xor_b32_e32 v102, vcc_lo, v102
	v_cmp_gt_i32_e32 vcc_lo, 0, v106
	v_and_b32_e32 v20, v20, v109
	v_not_b32_e32 v106, v107
	v_ashrrev_i32_e32 v104, 31, v104
	s_wait_alu 0xf1ff
	v_xor_b32_e32 v103, s15, v103
	v_cmp_gt_i32_e64 s15, 0, v107
	v_and_b32_e32 v20, v20, v102
	v_not_b32_e32 v102, v108
	v_ashrrev_i32_e32 v106, 31, v106
	s_wait_alu 0xfffd
	v_xor_b32_e32 v104, vcc_lo, v104
	v_cmp_gt_i32_e32 vcc_lo, 0, v108
	v_and_b32_e32 v20, v20, v103
	v_not_b32_e32 v103, v105
	v_ashrrev_i32_e32 v102, 31, v102
	s_wait_alu 0xf1ff
	v_xor_b32_e32 v106, s15, v106
	v_cmp_gt_i32_e64 s15, 0, v105
	v_and_b32_e32 v20, v20, v104
	v_ashrrev_i32_e32 v103, 31, v103
	s_wait_alu 0xfffd
	v_xor_b32_e32 v102, vcc_lo, v102
	v_mad_u32_u24 v104, v21, 36, v85
	v_mul_u32_u24_e32 v21, 36, v21
	v_and_b32_e32 v20, v20, v106
	s_wait_alu 0xf1ff
	v_xor_b32_e32 v103, s15, v103
	s_delay_alu instid0(VALU_DEP_3) | instskip(NEXT) | instid1(VALU_DEP_3)
	v_add_nc_u32_e32 v105, v85, v21
	v_and_b32_e32 v20, v20, v102
	ds_load_b32 v102, v104 offset:1056
	; wave barrier
	v_and_b32_e32 v20, v20, v103
	s_delay_alu instid0(VALU_DEP_1) | instskip(SKIP_1) | instid1(VALU_DEP_2)
	v_mbcnt_lo_u32_b32 v103, v20, 0
	v_cmp_ne_u32_e64 s15, 0, v20
	v_cmp_eq_u32_e32 vcc_lo, 0, v103
	s_and_b32 s16, s15, vcc_lo
	s_wait_alu 0xfffe
	s_and_saveexec_b32 s15, s16
	s_cbranch_execz .LBB296_576
; %bb.575:                              ;   in Loop: Header=BB296_558 Depth=2
	s_wait_dscnt 0x0
	v_bcnt_u32_b32 v20, v20, v102
	ds_store_b32 v105, v20 offset:1056
.LBB296_576:                            ;   in Loop: Header=BB296_558 Depth=2
	s_wait_alu 0xfffe
	s_or_b32 exec_lo, exec_lo, s15
	v_xor_b32_e32 v104, 0x7f, v27
	; wave barrier
	s_delay_alu instid0(VALU_DEP_1) | instskip(NEXT) | instid1(VALU_DEP_1)
	v_and_b32_e32 v20, 0xff, v104
	v_lshrrev_b32_e32 v20, s45, v20
	s_delay_alu instid0(VALU_DEP_1) | instskip(NEXT) | instid1(VALU_DEP_1)
	v_and_b32_e32 v21, s31, v20
	v_and_b32_e32 v20, 1, v21
	v_lshlrev_b32_e32 v27, 30, v21
	v_lshlrev_b32_e32 v106, 29, v21
	;; [unrolled: 1-line block ×4, first 2 shown]
	v_add_co_u32 v20, s15, v20, -1
	s_wait_alu 0xf1ff
	v_cndmask_b32_e64 v108, 0, 1, s15
	v_not_b32_e32 v112, v27
	v_cmp_gt_i32_e64 s15, 0, v27
	v_not_b32_e32 v27, v106
	v_lshlrev_b32_e32 v110, 26, v21
	v_cmp_ne_u32_e32 vcc_lo, 0, v108
	v_ashrrev_i32_e32 v112, 31, v112
	v_lshlrev_b32_e32 v111, 25, v21
	v_ashrrev_i32_e32 v27, 31, v27
	v_lshlrev_b32_e32 v108, 24, v21
	s_wait_alu 0xfffd
	v_xor_b32_e32 v20, vcc_lo, v20
	v_cmp_gt_i32_e32 vcc_lo, 0, v106
	v_not_b32_e32 v106, v107
	s_wait_alu 0xf1ff
	v_xor_b32_e32 v112, s15, v112
	v_cmp_gt_i32_e64 s15, 0, v107
	v_and_b32_e32 v20, exec_lo, v20
	v_not_b32_e32 v107, v109
	v_ashrrev_i32_e32 v106, 31, v106
	s_wait_alu 0xfffd
	v_xor_b32_e32 v27, vcc_lo, v27
	v_cmp_gt_i32_e32 vcc_lo, 0, v109
	v_and_b32_e32 v20, v20, v112
	v_not_b32_e32 v109, v110
	v_ashrrev_i32_e32 v107, 31, v107
	s_wait_alu 0xf1ff
	v_xor_b32_e32 v106, s15, v106
	v_cmp_gt_i32_e64 s15, 0, v110
	v_and_b32_e32 v20, v20, v27
	v_not_b32_e32 v27, v111
	v_ashrrev_i32_e32 v109, 31, v109
	s_wait_alu 0xfffd
	v_xor_b32_e32 v107, vcc_lo, v107
	v_cmp_gt_i32_e32 vcc_lo, 0, v111
	v_and_b32_e32 v20, v20, v106
	v_not_b32_e32 v106, v108
	v_ashrrev_i32_e32 v27, 31, v27
	s_wait_alu 0xf1ff
	v_xor_b32_e32 v109, s15, v109
	v_cmp_gt_i32_e64 s15, 0, v108
	v_and_b32_e32 v20, v20, v107
	v_ashrrev_i32_e32 v106, 31, v106
	s_wait_alu 0xfffd
	v_xor_b32_e32 v27, vcc_lo, v27
	v_mad_u32_u24 v107, v21, 36, v85
	v_mul_u32_u24_e32 v21, 36, v21
	v_and_b32_e32 v20, v20, v109
	s_wait_alu 0xf1ff
	v_xor_b32_e32 v108, s15, v106
	ds_load_b32 v106, v107 offset:1056
	v_add_nc_u32_e32 v109, v85, v21
	v_and_b32_e32 v20, v20, v27
	; wave barrier
	s_delay_alu instid0(VALU_DEP_1) | instskip(NEXT) | instid1(VALU_DEP_1)
	v_and_b32_e32 v20, v20, v108
	v_mbcnt_lo_u32_b32 v107, v20, 0
	v_cmp_ne_u32_e64 s15, 0, v20
	s_delay_alu instid0(VALU_DEP_2)
	v_cmp_eq_u32_e32 vcc_lo, 0, v107
	s_and_b32 s16, s15, vcc_lo
	s_wait_alu 0xfffe
	s_and_saveexec_b32 s15, s16
	s_cbranch_execz .LBB296_578
; %bb.577:                              ;   in Loop: Header=BB296_558 Depth=2
	s_wait_dscnt 0x0
	v_bcnt_u32_b32 v20, v20, v106
	ds_store_b32 v109, v20 offset:1056
.LBB296_578:                            ;   in Loop: Header=BB296_558 Depth=2
	s_wait_alu 0xfffe
	s_or_b32 exec_lo, exec_lo, s15
	v_xor_b32_e32 v108, 0x7f, v26
	; wave barrier
	s_delay_alu instid0(VALU_DEP_1) | instskip(NEXT) | instid1(VALU_DEP_1)
	v_and_b32_e32 v20, 0xff, v108
	v_lshrrev_b32_e32 v20, s45, v20
	s_delay_alu instid0(VALU_DEP_1) | instskip(NEXT) | instid1(VALU_DEP_1)
	v_and_b32_e32 v21, s31, v20
	v_and_b32_e32 v20, 1, v21
	v_lshlrev_b32_e32 v26, 30, v21
	v_lshlrev_b32_e32 v27, 29, v21
	;; [unrolled: 1-line block ×4, first 2 shown]
	v_add_co_u32 v20, s15, v20, -1
	s_wait_alu 0xf1ff
	v_cndmask_b32_e64 v111, 0, 1, s15
	v_not_b32_e32 v115, v26
	v_cmp_gt_i32_e64 s15, 0, v26
	v_not_b32_e32 v26, v27
	v_lshlrev_b32_e32 v113, 26, v21
	v_cmp_ne_u32_e32 vcc_lo, 0, v111
	v_ashrrev_i32_e32 v115, 31, v115
	v_lshlrev_b32_e32 v114, 25, v21
	v_ashrrev_i32_e32 v26, 31, v26
	v_lshlrev_b32_e32 v111, 24, v21
	s_wait_alu 0xfffd
	v_xor_b32_e32 v20, vcc_lo, v20
	v_cmp_gt_i32_e32 vcc_lo, 0, v27
	v_not_b32_e32 v27, v110
	s_wait_alu 0xf1ff
	v_xor_b32_e32 v115, s15, v115
	v_cmp_gt_i32_e64 s15, 0, v110
	v_and_b32_e32 v20, exec_lo, v20
	v_not_b32_e32 v110, v112
	v_ashrrev_i32_e32 v27, 31, v27
	s_wait_alu 0xfffd
	v_xor_b32_e32 v26, vcc_lo, v26
	v_cmp_gt_i32_e32 vcc_lo, 0, v112
	v_and_b32_e32 v20, v20, v115
	v_not_b32_e32 v112, v113
	v_ashrrev_i32_e32 v110, 31, v110
	s_wait_alu 0xf1ff
	v_xor_b32_e32 v27, s15, v27
	v_cmp_gt_i32_e64 s15, 0, v113
	v_and_b32_e32 v20, v20, v26
	v_not_b32_e32 v26, v114
	v_ashrrev_i32_e32 v112, 31, v112
	s_wait_alu 0xfffd
	v_xor_b32_e32 v110, vcc_lo, v110
	v_cmp_gt_i32_e32 vcc_lo, 0, v114
	v_and_b32_e32 v20, v20, v27
	v_not_b32_e32 v27, v111
	v_ashrrev_i32_e32 v26, 31, v26
	s_wait_alu 0xf1ff
	v_xor_b32_e32 v112, s15, v112
	v_cmp_gt_i32_e64 s15, 0, v111
	v_and_b32_e32 v20, v20, v110
	v_ashrrev_i32_e32 v27, 31, v27
	s_wait_alu 0xfffd
	v_xor_b32_e32 v26, vcc_lo, v26
	v_mad_u32_u24 v110, v21, 36, v85
	v_mul_u32_u24_e32 v21, 36, v21
	v_and_b32_e32 v20, v20, v112
	s_wait_alu 0xf1ff
	v_xor_b32_e32 v27, s15, v27
	ds_load_b32 v110, v110 offset:1056
	v_add_nc_u32_e32 v113, v85, v21
	v_and_b32_e32 v20, v20, v26
	; wave barrier
	s_delay_alu instid0(VALU_DEP_1) | instskip(NEXT) | instid1(VALU_DEP_1)
	v_and_b32_e32 v20, v20, v27
	v_mbcnt_lo_u32_b32 v111, v20, 0
	v_cmp_ne_u32_e64 s15, 0, v20
	s_delay_alu instid0(VALU_DEP_2)
	v_cmp_eq_u32_e32 vcc_lo, 0, v111
	s_and_b32 s16, s15, vcc_lo
	s_wait_alu 0xfffe
	s_and_saveexec_b32 s15, s16
	s_cbranch_execz .LBB296_580
; %bb.579:                              ;   in Loop: Header=BB296_558 Depth=2
	s_wait_dscnt 0x0
	v_bcnt_u32_b32 v20, v20, v110
	ds_store_b32 v113, v20 offset:1056
.LBB296_580:                            ;   in Loop: Header=BB296_558 Depth=2
	s_wait_alu 0xfffe
	s_or_b32 exec_lo, exec_lo, s15
	v_xor_b32_e32 v112, 0x7f, v25
	; wave barrier
	s_delay_alu instid0(VALU_DEP_1) | instskip(NEXT) | instid1(VALU_DEP_1)
	v_and_b32_e32 v20, 0xff, v112
	v_lshrrev_b32_e32 v20, s45, v20
	s_delay_alu instid0(VALU_DEP_1) | instskip(NEXT) | instid1(VALU_DEP_1)
	v_and_b32_e32 v21, s31, v20
	v_and_b32_e32 v20, 1, v21
	v_lshlrev_b32_e32 v25, 30, v21
	v_lshlrev_b32_e32 v26, 29, v21
	;; [unrolled: 1-line block ×4, first 2 shown]
	v_add_co_u32 v20, s15, v20, -1
	s_wait_alu 0xf1ff
	v_cndmask_b32_e64 v114, 0, 1, s15
	v_not_b32_e32 v118, v25
	v_cmp_gt_i32_e64 s15, 0, v25
	v_not_b32_e32 v25, v26
	v_lshlrev_b32_e32 v116, 26, v21
	v_cmp_ne_u32_e32 vcc_lo, 0, v114
	v_ashrrev_i32_e32 v118, 31, v118
	v_lshlrev_b32_e32 v117, 25, v21
	v_ashrrev_i32_e32 v25, 31, v25
	v_lshlrev_b32_e32 v114, 24, v21
	s_wait_alu 0xfffd
	v_xor_b32_e32 v20, vcc_lo, v20
	v_cmp_gt_i32_e32 vcc_lo, 0, v26
	v_not_b32_e32 v26, v27
	s_wait_alu 0xf1ff
	v_xor_b32_e32 v118, s15, v118
	v_cmp_gt_i32_e64 s15, 0, v27
	v_and_b32_e32 v20, exec_lo, v20
	v_not_b32_e32 v27, v115
	v_ashrrev_i32_e32 v26, 31, v26
	s_wait_alu 0xfffd
	v_xor_b32_e32 v25, vcc_lo, v25
	v_cmp_gt_i32_e32 vcc_lo, 0, v115
	v_and_b32_e32 v20, v20, v118
	v_not_b32_e32 v115, v116
	v_ashrrev_i32_e32 v27, 31, v27
	s_wait_alu 0xf1ff
	v_xor_b32_e32 v26, s15, v26
	v_cmp_gt_i32_e64 s15, 0, v116
	v_and_b32_e32 v20, v20, v25
	v_not_b32_e32 v25, v117
	v_ashrrev_i32_e32 v115, 31, v115
	s_wait_alu 0xfffd
	v_xor_b32_e32 v27, vcc_lo, v27
	v_cmp_gt_i32_e32 vcc_lo, 0, v117
	v_and_b32_e32 v20, v20, v26
	v_not_b32_e32 v26, v114
	v_ashrrev_i32_e32 v25, 31, v25
	s_wait_alu 0xf1ff
	v_xor_b32_e32 v115, s15, v115
	v_cmp_gt_i32_e64 s15, 0, v114
	v_and_b32_e32 v20, v20, v27
	v_ashrrev_i32_e32 v26, 31, v26
	s_wait_alu 0xfffd
	v_xor_b32_e32 v25, vcc_lo, v25
	v_mad_u32_u24 v27, v21, 36, v85
	v_mul_u32_u24_e32 v21, 36, v21
	v_and_b32_e32 v20, v20, v115
	s_wait_alu 0xf1ff
	v_xor_b32_e32 v26, s15, v26
	ds_load_b32 v114, v27 offset:1056
	v_add_nc_u32_e32 v117, v85, v21
	v_and_b32_e32 v20, v20, v25
	; wave barrier
	s_delay_alu instid0(VALU_DEP_1) | instskip(NEXT) | instid1(VALU_DEP_1)
	v_and_b32_e32 v20, v20, v26
	v_mbcnt_lo_u32_b32 v115, v20, 0
	v_cmp_ne_u32_e64 s15, 0, v20
	s_delay_alu instid0(VALU_DEP_2)
	v_cmp_eq_u32_e32 vcc_lo, 0, v115
	s_and_b32 s16, s15, vcc_lo
	s_wait_alu 0xfffe
	s_and_saveexec_b32 s15, s16
	s_cbranch_execz .LBB296_582
; %bb.581:                              ;   in Loop: Header=BB296_558 Depth=2
	s_wait_dscnt 0x0
	v_bcnt_u32_b32 v20, v20, v114
	ds_store_b32 v117, v20 offset:1056
.LBB296_582:                            ;   in Loop: Header=BB296_558 Depth=2
	s_wait_alu 0xfffe
	s_or_b32 exec_lo, exec_lo, s15
	v_xor_b32_e32 v116, 0x7f, v24
	; wave barrier
	s_delay_alu instid0(VALU_DEP_1) | instskip(NEXT) | instid1(VALU_DEP_1)
	v_and_b32_e32 v20, 0xff, v116
	v_lshrrev_b32_e32 v20, s45, v20
	s_delay_alu instid0(VALU_DEP_1) | instskip(NEXT) | instid1(VALU_DEP_1)
	v_and_b32_e32 v21, s31, v20
	v_and_b32_e32 v20, 1, v21
	v_lshlrev_b32_e32 v24, 30, v21
	v_lshlrev_b32_e32 v25, 29, v21
	v_lshlrev_b32_e32 v26, 28, v21
	v_lshlrev_b32_e32 v118, 27, v21
	v_add_co_u32 v20, s15, v20, -1
	s_wait_alu 0xf1ff
	v_cndmask_b32_e64 v27, 0, 1, s15
	v_not_b32_e32 v121, v24
	v_cmp_gt_i32_e64 s15, 0, v24
	v_not_b32_e32 v24, v25
	v_lshlrev_b32_e32 v119, 26, v21
	v_cmp_ne_u32_e32 vcc_lo, 0, v27
	v_ashrrev_i32_e32 v121, 31, v121
	v_lshlrev_b32_e32 v120, 25, v21
	v_ashrrev_i32_e32 v24, 31, v24
	v_lshlrev_b32_e32 v27, 24, v21
	s_wait_alu 0xfffd
	v_xor_b32_e32 v20, vcc_lo, v20
	v_cmp_gt_i32_e32 vcc_lo, 0, v25
	v_not_b32_e32 v25, v26
	s_wait_alu 0xf1ff
	v_xor_b32_e32 v121, s15, v121
	v_cmp_gt_i32_e64 s15, 0, v26
	v_and_b32_e32 v20, exec_lo, v20
	v_not_b32_e32 v26, v118
	v_ashrrev_i32_e32 v25, 31, v25
	s_wait_alu 0xfffd
	v_xor_b32_e32 v24, vcc_lo, v24
	v_cmp_gt_i32_e32 vcc_lo, 0, v118
	v_and_b32_e32 v20, v20, v121
	v_not_b32_e32 v118, v119
	v_ashrrev_i32_e32 v26, 31, v26
	s_wait_alu 0xf1ff
	v_xor_b32_e32 v25, s15, v25
	v_cmp_gt_i32_e64 s15, 0, v119
	v_and_b32_e32 v20, v20, v24
	v_not_b32_e32 v24, v120
	v_ashrrev_i32_e32 v118, 31, v118
	s_wait_alu 0xfffd
	v_xor_b32_e32 v26, vcc_lo, v26
	v_cmp_gt_i32_e32 vcc_lo, 0, v120
	v_and_b32_e32 v20, v20, v25
	v_not_b32_e32 v25, v27
	v_ashrrev_i32_e32 v24, 31, v24
	s_wait_alu 0xf1ff
	v_xor_b32_e32 v118, s15, v118
	v_cmp_gt_i32_e64 s15, 0, v27
	v_and_b32_e32 v20, v20, v26
	v_ashrrev_i32_e32 v25, 31, v25
	s_wait_alu 0xfffd
	v_xor_b32_e32 v24, vcc_lo, v24
	v_mad_u32_u24 v26, v21, 36, v85
	v_mul_u32_u24_e32 v21, 36, v21
	v_and_b32_e32 v20, v20, v118
	s_wait_alu 0xf1ff
	v_xor_b32_e32 v25, s15, v25
	ds_load_b32 v118, v26 offset:1056
	v_add_nc_u32_e32 v121, v85, v21
	v_and_b32_e32 v20, v20, v24
	; wave barrier
	s_delay_alu instid0(VALU_DEP_1) | instskip(NEXT) | instid1(VALU_DEP_1)
	v_and_b32_e32 v20, v20, v25
	v_mbcnt_lo_u32_b32 v119, v20, 0
	v_cmp_ne_u32_e64 s15, 0, v20
	s_delay_alu instid0(VALU_DEP_2)
	v_cmp_eq_u32_e32 vcc_lo, 0, v119
	s_and_b32 s16, s15, vcc_lo
	s_wait_alu 0xfffe
	s_and_saveexec_b32 s15, s16
	s_cbranch_execz .LBB296_584
; %bb.583:                              ;   in Loop: Header=BB296_558 Depth=2
	s_wait_dscnt 0x0
	v_bcnt_u32_b32 v20, v20, v118
	ds_store_b32 v121, v20 offset:1056
.LBB296_584:                            ;   in Loop: Header=BB296_558 Depth=2
	s_wait_alu 0xfffe
	s_or_b32 exec_lo, exec_lo, s15
	v_xor_b32_e32 v120, 0x7f, v23
	; wave barrier
	s_delay_alu instid0(VALU_DEP_1) | instskip(NEXT) | instid1(VALU_DEP_1)
	v_and_b32_e32 v20, 0xff, v120
	v_lshrrev_b32_e32 v20, s45, v20
	s_delay_alu instid0(VALU_DEP_1) | instskip(NEXT) | instid1(VALU_DEP_1)
	v_and_b32_e32 v21, s31, v20
	v_and_b32_e32 v20, 1, v21
	v_lshlrev_b32_e32 v23, 30, v21
	v_lshlrev_b32_e32 v24, 29, v21
	;; [unrolled: 1-line block ×4, first 2 shown]
	v_add_co_u32 v20, s15, v20, -1
	s_wait_alu 0xf1ff
	v_cndmask_b32_e64 v26, 0, 1, s15
	v_not_b32_e32 v124, v23
	v_cmp_gt_i32_e64 s15, 0, v23
	v_not_b32_e32 v23, v24
	v_lshlrev_b32_e32 v122, 26, v21
	v_cmp_ne_u32_e32 vcc_lo, 0, v26
	v_ashrrev_i32_e32 v124, 31, v124
	v_lshlrev_b32_e32 v123, 25, v21
	v_ashrrev_i32_e32 v23, 31, v23
	v_lshlrev_b32_e32 v26, 24, v21
	s_wait_alu 0xfffd
	v_xor_b32_e32 v20, vcc_lo, v20
	v_cmp_gt_i32_e32 vcc_lo, 0, v24
	v_not_b32_e32 v24, v25
	s_wait_alu 0xf1ff
	v_xor_b32_e32 v124, s15, v124
	v_cmp_gt_i32_e64 s15, 0, v25
	v_and_b32_e32 v20, exec_lo, v20
	v_not_b32_e32 v25, v27
	v_ashrrev_i32_e32 v24, 31, v24
	s_wait_alu 0xfffd
	v_xor_b32_e32 v23, vcc_lo, v23
	v_cmp_gt_i32_e32 vcc_lo, 0, v27
	v_and_b32_e32 v20, v20, v124
	v_not_b32_e32 v27, v122
	v_ashrrev_i32_e32 v25, 31, v25
	s_wait_alu 0xf1ff
	v_xor_b32_e32 v24, s15, v24
	v_cmp_gt_i32_e64 s15, 0, v122
	v_and_b32_e32 v20, v20, v23
	v_not_b32_e32 v23, v123
	v_ashrrev_i32_e32 v27, 31, v27
	s_wait_alu 0xfffd
	v_xor_b32_e32 v25, vcc_lo, v25
	v_cmp_gt_i32_e32 vcc_lo, 0, v123
	v_and_b32_e32 v20, v20, v24
	v_not_b32_e32 v24, v26
	v_ashrrev_i32_e32 v23, 31, v23
	s_wait_alu 0xf1ff
	v_xor_b32_e32 v27, s15, v27
	v_cmp_gt_i32_e64 s15, 0, v26
	v_and_b32_e32 v20, v20, v25
	v_ashrrev_i32_e32 v24, 31, v24
	s_wait_alu 0xfffd
	v_xor_b32_e32 v23, vcc_lo, v23
	v_mad_u32_u24 v25, v21, 36, v85
	v_mul_u32_u24_e32 v21, 36, v21
	v_and_b32_e32 v20, v20, v27
	s_wait_alu 0xf1ff
	v_xor_b32_e32 v24, s15, v24
	ds_load_b32 v122, v25 offset:1056
	v_add_nc_u32_e32 v125, v85, v21
	v_and_b32_e32 v20, v20, v23
	; wave barrier
	s_delay_alu instid0(VALU_DEP_1) | instskip(NEXT) | instid1(VALU_DEP_1)
	v_and_b32_e32 v20, v20, v24
	v_mbcnt_lo_u32_b32 v123, v20, 0
	v_cmp_ne_u32_e64 s15, 0, v20
	s_delay_alu instid0(VALU_DEP_2)
	v_cmp_eq_u32_e32 vcc_lo, 0, v123
	s_and_b32 s16, s15, vcc_lo
	s_wait_alu 0xfffe
	s_and_saveexec_b32 s15, s16
	s_cbranch_execz .LBB296_586
; %bb.585:                              ;   in Loop: Header=BB296_558 Depth=2
	s_wait_dscnt 0x0
	v_bcnt_u32_b32 v20, v20, v122
	ds_store_b32 v125, v20 offset:1056
.LBB296_586:                            ;   in Loop: Header=BB296_558 Depth=2
	s_wait_alu 0xfffe
	s_or_b32 exec_lo, exec_lo, s15
	v_xor_b32_e32 v124, 0x7f, v22
	; wave barrier
	s_delay_alu instid0(VALU_DEP_1) | instskip(NEXT) | instid1(VALU_DEP_1)
	v_and_b32_e32 v20, 0xff, v124
	v_lshrrev_b32_e32 v20, s45, v20
	s_delay_alu instid0(VALU_DEP_1) | instskip(NEXT) | instid1(VALU_DEP_1)
	v_and_b32_e32 v21, s31, v20
	v_and_b32_e32 v20, 1, v21
	v_lshlrev_b32_e32 v22, 30, v21
	v_lshlrev_b32_e32 v23, 29, v21
	;; [unrolled: 1-line block ×4, first 2 shown]
	v_add_co_u32 v20, s15, v20, -1
	s_wait_alu 0xf1ff
	v_cndmask_b32_e64 v25, 0, 1, s15
	v_not_b32_e32 v127, v22
	v_cmp_gt_i32_e64 s15, 0, v22
	v_not_b32_e32 v22, v23
	v_lshlrev_b32_e32 v27, 26, v21
	v_cmp_ne_u32_e32 vcc_lo, 0, v25
	v_ashrrev_i32_e32 v127, 31, v127
	v_lshlrev_b32_e32 v126, 25, v21
	v_ashrrev_i32_e32 v22, 31, v22
	v_lshlrev_b32_e32 v25, 24, v21
	s_wait_alu 0xfffd
	v_xor_b32_e32 v20, vcc_lo, v20
	v_cmp_gt_i32_e32 vcc_lo, 0, v23
	v_not_b32_e32 v23, v24
	s_wait_alu 0xf1ff
	v_xor_b32_e32 v127, s15, v127
	v_cmp_gt_i32_e64 s15, 0, v24
	v_and_b32_e32 v20, exec_lo, v20
	v_not_b32_e32 v24, v26
	v_ashrrev_i32_e32 v23, 31, v23
	s_wait_alu 0xfffd
	v_xor_b32_e32 v22, vcc_lo, v22
	v_cmp_gt_i32_e32 vcc_lo, 0, v26
	v_and_b32_e32 v20, v20, v127
	v_not_b32_e32 v26, v27
	v_ashrrev_i32_e32 v24, 31, v24
	s_wait_alu 0xf1ff
	v_xor_b32_e32 v23, s15, v23
	v_cmp_gt_i32_e64 s15, 0, v27
	v_and_b32_e32 v20, v20, v22
	v_not_b32_e32 v22, v126
	v_ashrrev_i32_e32 v26, 31, v26
	s_wait_alu 0xfffd
	v_xor_b32_e32 v24, vcc_lo, v24
	v_cmp_gt_i32_e32 vcc_lo, 0, v126
	v_and_b32_e32 v20, v20, v23
	v_not_b32_e32 v23, v25
	v_ashrrev_i32_e32 v22, 31, v22
	s_wait_alu 0xf1ff
	v_xor_b32_e32 v26, s15, v26
	v_cmp_gt_i32_e64 s15, 0, v25
	v_and_b32_e32 v20, v20, v24
	v_ashrrev_i32_e32 v23, 31, v23
	s_wait_alu 0xfffd
	v_xor_b32_e32 v22, vcc_lo, v22
	v_mad_u32_u24 v24, v21, 36, v85
	v_mul_u32_u24_e32 v21, 36, v21
	v_and_b32_e32 v20, v20, v26
	s_wait_alu 0xf1ff
	v_xor_b32_e32 v23, s15, v23
	ds_load_b32 v126, v24 offset:1056
	v_add_nc_u32_e32 v128, v85, v21
	v_and_b32_e32 v20, v20, v22
	; wave barrier
	s_delay_alu instid0(VALU_DEP_1) | instskip(NEXT) | instid1(VALU_DEP_1)
	v_and_b32_e32 v20, v20, v23
	v_mbcnt_lo_u32_b32 v127, v20, 0
	v_cmp_ne_u32_e64 s15, 0, v20
	s_delay_alu instid0(VALU_DEP_2)
	v_cmp_eq_u32_e32 vcc_lo, 0, v127
	s_and_b32 s16, s15, vcc_lo
	s_wait_alu 0xfffe
	s_and_saveexec_b32 s15, s16
	s_cbranch_execz .LBB296_588
; %bb.587:                              ;   in Loop: Header=BB296_558 Depth=2
	s_wait_dscnt 0x0
	v_bcnt_u32_b32 v20, v20, v126
	ds_store_b32 v128, v20 offset:1056
.LBB296_588:                            ;   in Loop: Header=BB296_558 Depth=2
	s_wait_alu 0xfffe
	s_or_b32 exec_lo, exec_lo, s15
	; wave barrier
	s_wait_loadcnt_dscnt 0x0
	s_barrier_signal -1
	s_barrier_wait -1
	global_inv scope:SCOPE_SE
	ds_load_2addr_b32 v[26:27], v98 offset1:1
	ds_load_2addr_b32 v[24:25], v99 offset1:1
	;; [unrolled: 1-line block ×4, first 2 shown]
	ds_load_b32 v129, v45 offset:1088
	s_wait_dscnt 0x3
	v_add3_u32 v130, v27, v26, v24
	s_wait_dscnt 0x2
	s_delay_alu instid0(VALU_DEP_1) | instskip(SKIP_1) | instid1(VALU_DEP_1)
	v_add3_u32 v130, v130, v25, v22
	s_wait_dscnt 0x1
	v_add3_u32 v130, v130, v23, v20
	s_wait_dscnt 0x0
	s_delay_alu instid0(VALU_DEP_1) | instskip(NEXT) | instid1(VALU_DEP_1)
	v_add3_u32 v129, v130, v21, v129
	v_mov_b32_dpp v130, v129 row_shr:1 row_mask:0xf bank_mask:0xf
	s_delay_alu instid0(VALU_DEP_1) | instskip(NEXT) | instid1(VALU_DEP_1)
	v_cndmask_b32_e64 v130, v130, 0, s0
	v_add_nc_u32_e32 v129, v130, v129
	s_delay_alu instid0(VALU_DEP_1) | instskip(NEXT) | instid1(VALU_DEP_1)
	v_mov_b32_dpp v130, v129 row_shr:2 row_mask:0xf bank_mask:0xf
	v_cndmask_b32_e64 v130, 0, v130, s1
	s_delay_alu instid0(VALU_DEP_1) | instskip(NEXT) | instid1(VALU_DEP_1)
	v_add_nc_u32_e32 v129, v129, v130
	v_mov_b32_dpp v130, v129 row_shr:4 row_mask:0xf bank_mask:0xf
	s_delay_alu instid0(VALU_DEP_1) | instskip(NEXT) | instid1(VALU_DEP_1)
	v_cndmask_b32_e64 v130, 0, v130, s9
	v_add_nc_u32_e32 v129, v129, v130
	s_delay_alu instid0(VALU_DEP_1) | instskip(NEXT) | instid1(VALU_DEP_1)
	v_mov_b32_dpp v130, v129 row_shr:8 row_mask:0xf bank_mask:0xf
	v_cndmask_b32_e64 v130, 0, v130, s10
	s_delay_alu instid0(VALU_DEP_1) | instskip(SKIP_3) | instid1(VALU_DEP_1)
	v_add_nc_u32_e32 v129, v129, v130
	ds_swizzle_b32 v130, v129 offset:swizzle(BROADCAST,32,15)
	s_wait_dscnt 0x0
	v_cndmask_b32_e64 v130, v130, 0, s11
	v_add_nc_u32_e32 v129, v129, v130
	s_and_saveexec_b32 s15, s3
; %bb.589:                              ;   in Loop: Header=BB296_558 Depth=2
	ds_store_b32 v38, v129 offset:1024
; %bb.590:                              ;   in Loop: Header=BB296_558 Depth=2
	s_wait_alu 0xfffe
	s_or_b32 exec_lo, exec_lo, s15
	s_wait_loadcnt_dscnt 0x0
	s_barrier_signal -1
	s_barrier_wait -1
	global_inv scope:SCOPE_SE
	s_and_saveexec_b32 s15, s4
	s_cbranch_execz .LBB296_592
; %bb.591:                              ;   in Loop: Header=BB296_558 Depth=2
	v_add_nc_u32_e32 v130, v45, v46
	ds_load_b32 v131, v130 offset:1024
	s_wait_dscnt 0x0
	v_mov_b32_dpp v132, v131 row_shr:1 row_mask:0xf bank_mask:0xf
	s_delay_alu instid0(VALU_DEP_1) | instskip(NEXT) | instid1(VALU_DEP_1)
	v_cndmask_b32_e64 v132, v132, 0, s12
	v_add_nc_u32_e32 v131, v132, v131
	s_delay_alu instid0(VALU_DEP_1) | instskip(NEXT) | instid1(VALU_DEP_1)
	v_mov_b32_dpp v132, v131 row_shr:2 row_mask:0xf bank_mask:0xf
	v_cndmask_b32_e64 v132, 0, v132, s13
	s_delay_alu instid0(VALU_DEP_1) | instskip(NEXT) | instid1(VALU_DEP_1)
	v_add_nc_u32_e32 v131, v131, v132
	v_mov_b32_dpp v132, v131 row_shr:4 row_mask:0xf bank_mask:0xf
	s_delay_alu instid0(VALU_DEP_1) | instskip(NEXT) | instid1(VALU_DEP_1)
	v_cndmask_b32_e64 v132, 0, v132, s14
	v_add_nc_u32_e32 v131, v131, v132
	ds_store_b32 v130, v131 offset:1024
.LBB296_592:                            ;   in Loop: Header=BB296_558 Depth=2
	s_wait_alu 0xfffe
	s_or_b32 exec_lo, exec_lo, s15
	v_mov_b32_e32 v130, 0
	s_wait_loadcnt_dscnt 0x0
	s_barrier_signal -1
	s_barrier_wait -1
	global_inv scope:SCOPE_SE
	s_and_saveexec_b32 s15, s5
; %bb.593:                              ;   in Loop: Header=BB296_558 Depth=2
	ds_load_b32 v130, v38 offset:1020
; %bb.594:                              ;   in Loop: Header=BB296_558 Depth=2
	s_wait_alu 0xfffe
	s_or_b32 exec_lo, exec_lo, s15
	s_wait_dscnt 0x0
	v_add_nc_u32_e32 v129, v130, v129
	ds_bpermute_b32 v129, v80, v129
	s_wait_dscnt 0x0
	v_cndmask_b32_e64 v129, v129, v130, s8
	s_delay_alu instid0(VALU_DEP_1) | instskip(NEXT) | instid1(VALU_DEP_1)
	v_cndmask_b32_e64 v129, v129, 0, s6
	v_add_nc_u32_e32 v26, v129, v26
	s_delay_alu instid0(VALU_DEP_1) | instskip(NEXT) | instid1(VALU_DEP_1)
	v_add_nc_u32_e32 v27, v26, v27
	v_add_nc_u32_e32 v24, v27, v24
	s_delay_alu instid0(VALU_DEP_1) | instskip(NEXT) | instid1(VALU_DEP_1)
	v_add_nc_u32_e32 v25, v24, v25
	;; [unrolled: 3-line block ×3, first 2 shown]
	v_add_nc_u32_e32 v20, v23, v20
	s_delay_alu instid0(VALU_DEP_1)
	v_add_nc_u32_e32 v21, v20, v21
	ds_store_2addr_b32 v97, v23, v20 offset1:1
	ds_store_2addr_b32 v98, v129, v26 offset1:1
	;; [unrolled: 1-line block ×4, first 2 shown]
	ds_store_b32 v45, v21 offset:1088
	s_wait_loadcnt_dscnt 0x0
	s_barrier_signal -1
	s_barrier_wait -1
	global_inv scope:SCOPE_SE
	ds_load_b32 v20, v101 offset:1056
	ds_load_b32 v21, v105 offset:1056
	;; [unrolled: 1-line block ×9, first 2 shown]
	v_mov_b32_e32 v22, 0x800
	s_and_saveexec_b32 s15, s7
; %bb.595:                              ;   in Loop: Header=BB296_558 Depth=2
	ds_load_b32 v22, v45 offset:1092
; %bb.596:                              ;   in Loop: Header=BB296_558 Depth=2
	s_wait_alu 0xfffe
	s_or_b32 exec_lo, exec_lo, s15
	s_wait_loadcnt_dscnt 0x0
	s_barrier_signal -1
	s_barrier_wait -1
	global_inv scope:SCOPE_SE
	s_and_saveexec_b32 s15, s2
	s_cbranch_execz .LBB296_598
; %bb.597:                              ;   in Loop: Header=BB296_558 Depth=2
	ds_load_b32 v27, v28
	s_wait_dscnt 0x0
	v_sub_nc_u32_e32 v26, v27, v26
	ds_store_b32 v28, v26
.LBB296_598:                            ;   in Loop: Header=BB296_558 Depth=2
	s_wait_alu 0xfffe
	s_or_b32 exec_lo, exec_lo, s15
	v_add_nc_u32_e32 v98, v20, v95
	v_add3_u32 v97, v103, v102, v21
	v_add3_u32 v95, v107, v106, v23
	v_add3_u32 v27, v111, v110, v24
	v_add3_u32 v26, v115, v114, v25
	v_add3_u32 v25, v119, v118, v99
	v_add3_u32 v24, v123, v122, v100
	v_add3_u32 v23, v127, v126, v101
	v_cmp_lt_u32_e64 s19, v1, v2
	ds_store_b8 v98, v94 offset:1024
	ds_store_b8 v97, v96 offset:1024
	;; [unrolled: 1-line block ×8, first 2 shown]
	s_wait_loadcnt_dscnt 0x0
	s_barrier_signal -1
	s_barrier_wait -1
	global_inv scope:SCOPE_SE
	s_and_saveexec_b32 s15, s19
	s_cbranch_execnz .LBB296_635
; %bb.599:                              ;   in Loop: Header=BB296_558 Depth=2
	s_wait_alu 0xfffe
	s_or_b32 exec_lo, exec_lo, s15
	v_cmp_lt_u32_e64 s21, v29, v2
	s_and_saveexec_b32 s15, s21
	s_cbranch_execnz .LBB296_636
.LBB296_600:                            ;   in Loop: Header=BB296_558 Depth=2
	s_wait_alu 0xfffe
	s_or_b32 exec_lo, exec_lo, s15
	v_cmp_lt_u32_e64 s20, v30, v2
	s_and_saveexec_b32 s15, s20
	s_cbranch_execnz .LBB296_637
.LBB296_601:                            ;   in Loop: Header=BB296_558 Depth=2
	s_wait_alu 0xfffe
	s_or_b32 exec_lo, exec_lo, s15
	v_cmp_lt_u32_e64 s18, v31, v2
	s_and_saveexec_b32 s15, s18
	s_cbranch_execnz .LBB296_638
.LBB296_602:                            ;   in Loop: Header=BB296_558 Depth=2
	s_wait_alu 0xfffe
	s_or_b32 exec_lo, exec_lo, s15
	v_cmp_lt_u32_e64 s17, v34, v2
	s_and_saveexec_b32 s15, s17
	s_cbranch_execnz .LBB296_639
.LBB296_603:                            ;   in Loop: Header=BB296_558 Depth=2
	s_wait_alu 0xfffe
	s_or_b32 exec_lo, exec_lo, s15
	v_cmp_lt_u32_e64 s16, v35, v2
	s_and_saveexec_b32 s15, s16
	s_cbranch_execnz .LBB296_640
.LBB296_604:                            ;   in Loop: Header=BB296_558 Depth=2
	s_wait_alu 0xfffe
	s_or_b32 exec_lo, exec_lo, s15
	v_cmp_lt_u32_e64 s15, v36, v2
	s_and_saveexec_b32 s44, s15
	s_cbranch_execnz .LBB296_641
.LBB296_605:                            ;   in Loop: Header=BB296_558 Depth=2
	s_wait_alu 0xfffe
	s_or_b32 exec_lo, exec_lo, s44
	v_cmp_lt_u32_e32 vcc_lo, v37, v2
	s_and_saveexec_b32 s44, vcc_lo
	s_cbranch_execz .LBB296_607
.LBB296_606:                            ;   in Loop: Header=BB296_558 Depth=2
	ds_load_u8 v20, v1 offset:2816
	s_wait_dscnt 0x0
	v_and_b32_e32 v21, 0xff, v20
	v_xor_b32_e32 v20, 0x7f, v20
	s_delay_alu instid0(VALU_DEP_2) | instskip(NEXT) | instid1(VALU_DEP_1)
	v_lshrrev_b32_e32 v21, s45, v21
	v_and_b32_e32 v21, s31, v21
	s_delay_alu instid0(VALU_DEP_1)
	v_lshlrev_b32_e32 v21, 2, v21
	ds_load_b32 v21, v21
	s_wait_dscnt 0x0
	v_add_nc_u32_e32 v21, v21, v37
	global_store_b8 v21, v20, s[40:41]
.LBB296_607:                            ;   in Loop: Header=BB296_558 Depth=2
	s_wait_alu 0xfffe
	s_or_b32 exec_lo, exec_lo, s44
	s_lshl_b64 s[48:49], s[22:23], 3
	s_wait_alu 0xfffe
	v_add_co_u32 v20, s22, v81, s48
	s_wait_alu 0xf1ff
	v_add_co_ci_u32_e64 v21, null, s49, v82, s22
	v_cmp_lt_u32_e64 s22, v68, v2
	s_and_saveexec_b32 s44, s22
	s_wait_alu 0xfffe
	s_xor_b32 s22, exec_lo, s44
	s_cbranch_execnz .LBB296_642
; %bb.608:                              ;   in Loop: Header=BB296_558 Depth=2
	s_wait_alu 0xfffe
	s_or_b32 exec_lo, exec_lo, s22
	s_delay_alu instid0(SALU_CYCLE_1)
	s_mov_b32 s44, exec_lo
	v_cmpx_lt_u32_e64 v71, v2
	s_cbranch_execnz .LBB296_643
.LBB296_609:                            ;   in Loop: Header=BB296_558 Depth=2
	s_wait_alu 0xfffe
	s_or_b32 exec_lo, exec_lo, s44
	s_delay_alu instid0(SALU_CYCLE_1)
	s_mov_b32 s44, exec_lo
	v_cmpx_lt_u32_e64 v72, v2
	s_cbranch_execnz .LBB296_644
.LBB296_610:                            ;   in Loop: Header=BB296_558 Depth=2
	s_wait_alu 0xfffe
	s_or_b32 exec_lo, exec_lo, s44
	s_delay_alu instid0(SALU_CYCLE_1)
	s_mov_b32 s44, exec_lo
	v_cmpx_lt_u32_e64 v73, v2
	s_cbranch_execnz .LBB296_645
.LBB296_611:                            ;   in Loop: Header=BB296_558 Depth=2
	s_wait_alu 0xfffe
	s_or_b32 exec_lo, exec_lo, s44
	s_delay_alu instid0(SALU_CYCLE_1)
	s_mov_b32 s44, exec_lo
	v_cmpx_lt_u32_e64 v74, v2
	s_cbranch_execnz .LBB296_646
.LBB296_612:                            ;   in Loop: Header=BB296_558 Depth=2
	s_wait_alu 0xfffe
	s_or_b32 exec_lo, exec_lo, s44
	s_delay_alu instid0(SALU_CYCLE_1)
	s_mov_b32 s44, exec_lo
	v_cmpx_lt_u32_e64 v75, v2
	s_cbranch_execnz .LBB296_647
.LBB296_613:                            ;   in Loop: Header=BB296_558 Depth=2
	s_wait_alu 0xfffe
	s_or_b32 exec_lo, exec_lo, s44
	s_delay_alu instid0(SALU_CYCLE_1)
	s_mov_b32 s44, exec_lo
	v_cmpx_lt_u32_e64 v76, v2
	s_cbranch_execnz .LBB296_648
.LBB296_614:                            ;   in Loop: Header=BB296_558 Depth=2
	s_wait_alu 0xfffe
	s_or_b32 exec_lo, exec_lo, s44
	s_delay_alu instid0(SALU_CYCLE_1)
	s_mov_b32 s44, exec_lo
	v_cmpx_lt_u32_e64 v77, v2
	s_cbranch_execnz .LBB296_649
.LBB296_615:                            ;   in Loop: Header=BB296_558 Depth=2
	s_wait_alu 0xfffe
	s_or_b32 exec_lo, exec_lo, s44
	s_and_saveexec_b32 s22, s19
	s_cbranch_execnz .LBB296_650
.LBB296_616:                            ;   in Loop: Header=BB296_558 Depth=2
	s_wait_alu 0xfffe
	s_or_b32 exec_lo, exec_lo, s22
	s_and_saveexec_b32 s22, s21
	s_cbranch_execnz .LBB296_651
.LBB296_617:                            ;   in Loop: Header=BB296_558 Depth=2
	s_wait_alu 0xfffe
	s_or_b32 exec_lo, exec_lo, s22
	s_and_saveexec_b32 s22, s20
	s_cbranch_execnz .LBB296_652
.LBB296_618:                            ;   in Loop: Header=BB296_558 Depth=2
	s_wait_alu 0xfffe
	s_or_b32 exec_lo, exec_lo, s22
	s_and_saveexec_b32 s22, s18
	s_cbranch_execnz .LBB296_653
.LBB296_619:                            ;   in Loop: Header=BB296_558 Depth=2
	s_wait_alu 0xfffe
	s_or_b32 exec_lo, exec_lo, s22
	s_and_saveexec_b32 s22, s17
	s_cbranch_execnz .LBB296_654
.LBB296_620:                            ;   in Loop: Header=BB296_558 Depth=2
	s_wait_alu 0xfffe
	s_or_b32 exec_lo, exec_lo, s22
	s_and_saveexec_b32 s22, s16
	s_cbranch_execnz .LBB296_655
.LBB296_621:                            ;   in Loop: Header=BB296_558 Depth=2
	s_wait_alu 0xfffe
	s_or_b32 exec_lo, exec_lo, s22
	s_and_saveexec_b32 s22, s15
	s_cbranch_execnz .LBB296_656
.LBB296_622:                            ;   in Loop: Header=BB296_558 Depth=2
	s_wait_alu 0xfffe
	s_or_b32 exec_lo, exec_lo, s22
	s_and_saveexec_b32 s22, vcc_lo
	s_cbranch_execz .LBB296_624
.LBB296_623:                            ;   in Loop: Header=BB296_558 Depth=2
	ds_load_u8 v2, v1 offset:2816
	s_wait_dscnt 0x0
	v_lshrrev_b32_e32 v2, s45, v2
	s_delay_alu instid0(VALU_DEP_1)
	v_and_b32_e32 v86, s31, v2
.LBB296_624:                            ;   in Loop: Header=BB296_558 Depth=2
	s_wait_alu 0xfffe
	s_or_b32 exec_lo, exec_lo, s22
	v_lshlrev_b32_e32 v2, 3, v98
	v_lshlrev_b32_e32 v20, 3, v97
	;; [unrolled: 1-line block ×3, first 2 shown]
	s_wait_loadcnt 0x0
	s_wait_storecnt 0x0
	s_barrier_signal -1
	s_barrier_wait -1
	global_inv scope:SCOPE_SE
	ds_store_b64 v2, v[18:19] offset:1024
	ds_store_b64 v20, v[16:17] offset:1024
	;; [unrolled: 1-line block ×3, first 2 shown]
	v_lshlrev_b32_e32 v2, 3, v27
	v_lshlrev_b32_e32 v20, 3, v26
	;; [unrolled: 1-line block ×5, first 2 shown]
	ds_store_b64 v2, v[12:13] offset:1024
	ds_store_b64 v20, v[10:11] offset:1024
	;; [unrolled: 1-line block ×5, first 2 shown]
	v_add_nc_u32_e32 v20, v1, v47
	s_wait_loadcnt_dscnt 0x0
	s_barrier_signal -1
	s_barrier_wait -1
	global_inv scope:SCOPE_SE
	s_and_saveexec_b32 s22, s19
	s_cbranch_execnz .LBB296_657
; %bb.625:                              ;   in Loop: Header=BB296_558 Depth=2
	s_wait_alu 0xfffe
	s_or_b32 exec_lo, exec_lo, s22
	s_and_saveexec_b32 s22, s21
	s_cbranch_execnz .LBB296_658
.LBB296_626:                            ;   in Loop: Header=BB296_558 Depth=2
	s_wait_alu 0xfffe
	s_or_b32 exec_lo, exec_lo, s22
	s_and_saveexec_b32 s21, s20
	s_cbranch_execnz .LBB296_659
.LBB296_627:                            ;   in Loop: Header=BB296_558 Depth=2
	s_wait_alu 0xfffe
	s_or_b32 exec_lo, exec_lo, s21
	s_and_saveexec_b32 s19, s18
	s_cbranch_execnz .LBB296_660
.LBB296_628:                            ;   in Loop: Header=BB296_558 Depth=2
	s_wait_alu 0xfffe
	s_or_b32 exec_lo, exec_lo, s19
	s_and_saveexec_b32 s18, s17
	s_cbranch_execnz .LBB296_661
.LBB296_629:                            ;   in Loop: Header=BB296_558 Depth=2
	s_wait_alu 0xfffe
	s_or_b32 exec_lo, exec_lo, s18
	s_and_saveexec_b32 s17, s16
	s_cbranch_execnz .LBB296_662
.LBB296_630:                            ;   in Loop: Header=BB296_558 Depth=2
	s_wait_alu 0xfffe
	s_or_b32 exec_lo, exec_lo, s17
	s_and_saveexec_b32 s16, s15
	s_cbranch_execnz .LBB296_663
.LBB296_631:                            ;   in Loop: Header=BB296_558 Depth=2
	s_wait_alu 0xfffe
	s_or_b32 exec_lo, exec_lo, s16
	s_and_saveexec_b32 s15, vcc_lo
	s_cbranch_execz .LBB296_633
.LBB296_632:                            ;   in Loop: Header=BB296_558 Depth=2
	v_lshlrev_b32_e32 v2, 2, v86
	ds_load_b32 v2, v2
	ds_load_b64 v[20:21], v20 offset:15360
	s_wait_dscnt 0x1
	v_add_nc_u32_e32 v2, v2, v37
	s_delay_alu instid0(VALU_DEP_1) | instskip(NEXT) | instid1(VALU_DEP_1)
	v_lshlrev_b64_e32 v[23:24], 3, v[2:3]
	v_add_co_u32 v23, vcc_lo, s26, v23
	s_wait_alu 0xfffd
	s_delay_alu instid0(VALU_DEP_2)
	v_add_co_ci_u32_e64 v24, null, s27, v24, vcc_lo
	s_wait_dscnt 0x0
	global_store_b64 v[23:24], v[20:21], off
.LBB296_633:                            ;   in Loop: Header=BB296_558 Depth=2
	s_wait_alu 0xfffe
	s_or_b32 exec_lo, exec_lo, s15
	s_wait_loadcnt 0x0
	s_wait_storecnt 0x0
	s_barrier_signal -1
	s_barrier_wait -1
	global_inv scope:SCOPE_SE
	s_and_saveexec_b32 s15, s2
	s_cbranch_execz .LBB296_557
; %bb.634:                              ;   in Loop: Header=BB296_558 Depth=2
	ds_load_b32 v2, v28
	s_wait_dscnt 0x0
	v_add_nc_u32_e32 v2, v2, v22
	ds_store_b32 v28, v2
	s_branch .LBB296_557
.LBB296_635:                            ;   in Loop: Header=BB296_558 Depth=2
	ds_load_u8 v20, v1 offset:1024
	s_wait_dscnt 0x0
	v_and_b32_e32 v21, 0xff, v20
	v_xor_b32_e32 v20, 0x7f, v20
	s_delay_alu instid0(VALU_DEP_2) | instskip(NEXT) | instid1(VALU_DEP_1)
	v_lshrrev_b32_e32 v21, s45, v21
	v_and_b32_e32 v21, s31, v21
	s_delay_alu instid0(VALU_DEP_1)
	v_lshlrev_b32_e32 v21, 2, v21
	ds_load_b32 v21, v21
	s_wait_dscnt 0x0
	v_add_nc_u32_e32 v21, v21, v1
	global_store_b8 v21, v20, s[40:41]
	s_wait_alu 0xfffe
	s_or_b32 exec_lo, exec_lo, s15
	v_cmp_lt_u32_e64 s21, v29, v2
	s_and_saveexec_b32 s15, s21
	s_cbranch_execz .LBB296_600
.LBB296_636:                            ;   in Loop: Header=BB296_558 Depth=2
	ds_load_u8 v20, v1 offset:1280
	s_wait_dscnt 0x0
	v_and_b32_e32 v21, 0xff, v20
	v_xor_b32_e32 v20, 0x7f, v20
	s_delay_alu instid0(VALU_DEP_2) | instskip(NEXT) | instid1(VALU_DEP_1)
	v_lshrrev_b32_e32 v21, s45, v21
	v_and_b32_e32 v21, s31, v21
	s_delay_alu instid0(VALU_DEP_1)
	v_lshlrev_b32_e32 v21, 2, v21
	ds_load_b32 v21, v21
	s_wait_dscnt 0x0
	v_add_nc_u32_e32 v21, v21, v29
	global_store_b8 v21, v20, s[40:41]
	s_wait_alu 0xfffe
	s_or_b32 exec_lo, exec_lo, s15
	v_cmp_lt_u32_e64 s20, v30, v2
	s_and_saveexec_b32 s15, s20
	s_cbranch_execz .LBB296_601
.LBB296_637:                            ;   in Loop: Header=BB296_558 Depth=2
	ds_load_u8 v20, v1 offset:1536
	s_wait_dscnt 0x0
	v_and_b32_e32 v21, 0xff, v20
	v_xor_b32_e32 v20, 0x7f, v20
	s_delay_alu instid0(VALU_DEP_2) | instskip(NEXT) | instid1(VALU_DEP_1)
	v_lshrrev_b32_e32 v21, s45, v21
	v_and_b32_e32 v21, s31, v21
	s_delay_alu instid0(VALU_DEP_1)
	v_lshlrev_b32_e32 v21, 2, v21
	ds_load_b32 v21, v21
	s_wait_dscnt 0x0
	v_add_nc_u32_e32 v21, v21, v30
	global_store_b8 v21, v20, s[40:41]
	s_wait_alu 0xfffe
	s_or_b32 exec_lo, exec_lo, s15
	v_cmp_lt_u32_e64 s18, v31, v2
	s_and_saveexec_b32 s15, s18
	s_cbranch_execz .LBB296_602
.LBB296_638:                            ;   in Loop: Header=BB296_558 Depth=2
	ds_load_u8 v20, v1 offset:1792
	s_wait_dscnt 0x0
	v_and_b32_e32 v21, 0xff, v20
	v_xor_b32_e32 v20, 0x7f, v20
	s_delay_alu instid0(VALU_DEP_2) | instskip(NEXT) | instid1(VALU_DEP_1)
	v_lshrrev_b32_e32 v21, s45, v21
	v_and_b32_e32 v21, s31, v21
	s_delay_alu instid0(VALU_DEP_1)
	v_lshlrev_b32_e32 v21, 2, v21
	ds_load_b32 v21, v21
	s_wait_dscnt 0x0
	v_add_nc_u32_e32 v21, v21, v31
	global_store_b8 v21, v20, s[40:41]
	s_wait_alu 0xfffe
	s_or_b32 exec_lo, exec_lo, s15
	v_cmp_lt_u32_e64 s17, v34, v2
	s_and_saveexec_b32 s15, s17
	s_cbranch_execz .LBB296_603
.LBB296_639:                            ;   in Loop: Header=BB296_558 Depth=2
	ds_load_u8 v20, v1 offset:2048
	s_wait_dscnt 0x0
	v_and_b32_e32 v21, 0xff, v20
	v_xor_b32_e32 v20, 0x7f, v20
	s_delay_alu instid0(VALU_DEP_2) | instskip(NEXT) | instid1(VALU_DEP_1)
	v_lshrrev_b32_e32 v21, s45, v21
	v_and_b32_e32 v21, s31, v21
	s_delay_alu instid0(VALU_DEP_1)
	v_lshlrev_b32_e32 v21, 2, v21
	ds_load_b32 v21, v21
	s_wait_dscnt 0x0
	v_add_nc_u32_e32 v21, v21, v34
	global_store_b8 v21, v20, s[40:41]
	s_wait_alu 0xfffe
	s_or_b32 exec_lo, exec_lo, s15
	v_cmp_lt_u32_e64 s16, v35, v2
	s_and_saveexec_b32 s15, s16
	s_cbranch_execz .LBB296_604
.LBB296_640:                            ;   in Loop: Header=BB296_558 Depth=2
	ds_load_u8 v20, v1 offset:2304
	s_wait_dscnt 0x0
	v_and_b32_e32 v21, 0xff, v20
	v_xor_b32_e32 v20, 0x7f, v20
	s_delay_alu instid0(VALU_DEP_2) | instskip(NEXT) | instid1(VALU_DEP_1)
	v_lshrrev_b32_e32 v21, s45, v21
	v_and_b32_e32 v21, s31, v21
	s_delay_alu instid0(VALU_DEP_1)
	v_lshlrev_b32_e32 v21, 2, v21
	ds_load_b32 v21, v21
	s_wait_dscnt 0x0
	v_add_nc_u32_e32 v21, v21, v35
	global_store_b8 v21, v20, s[40:41]
	s_wait_alu 0xfffe
	s_or_b32 exec_lo, exec_lo, s15
	v_cmp_lt_u32_e64 s15, v36, v2
	s_and_saveexec_b32 s44, s15
	s_cbranch_execz .LBB296_605
.LBB296_641:                            ;   in Loop: Header=BB296_558 Depth=2
	ds_load_u8 v20, v1 offset:2560
	s_wait_dscnt 0x0
	v_and_b32_e32 v21, 0xff, v20
	v_xor_b32_e32 v20, 0x7f, v20
	s_delay_alu instid0(VALU_DEP_2) | instskip(NEXT) | instid1(VALU_DEP_1)
	v_lshrrev_b32_e32 v21, s45, v21
	v_and_b32_e32 v21, s31, v21
	s_delay_alu instid0(VALU_DEP_1)
	v_lshlrev_b32_e32 v21, 2, v21
	ds_load_b32 v21, v21
	s_wait_dscnt 0x0
	v_add_nc_u32_e32 v21, v21, v36
	global_store_b8 v21, v20, s[40:41]
	s_wait_alu 0xfffe
	s_or_b32 exec_lo, exec_lo, s44
	v_cmp_lt_u32_e32 vcc_lo, v37, v2
	s_and_saveexec_b32 s44, vcc_lo
	s_cbranch_execnz .LBB296_606
	s_branch .LBB296_607
.LBB296_642:                            ;   in Loop: Header=BB296_558 Depth=2
	global_load_b64 v[18:19], v[20:21], off
	s_wait_alu 0xfffe
	s_or_b32 exec_lo, exec_lo, s22
	s_delay_alu instid0(SALU_CYCLE_1)
	s_mov_b32 s44, exec_lo
	v_cmpx_lt_u32_e64 v71, v2
	s_cbranch_execz .LBB296_609
.LBB296_643:                            ;   in Loop: Header=BB296_558 Depth=2
	global_load_b64 v[16:17], v[20:21], off offset:256
	s_wait_alu 0xfffe
	s_or_b32 exec_lo, exec_lo, s44
	s_delay_alu instid0(SALU_CYCLE_1)
	s_mov_b32 s44, exec_lo
	v_cmpx_lt_u32_e64 v72, v2
	s_cbranch_execz .LBB296_610
.LBB296_644:                            ;   in Loop: Header=BB296_558 Depth=2
	global_load_b64 v[14:15], v[20:21], off offset:512
	s_wait_alu 0xfffe
	s_or_b32 exec_lo, exec_lo, s44
	s_delay_alu instid0(SALU_CYCLE_1)
	s_mov_b32 s44, exec_lo
	v_cmpx_lt_u32_e64 v73, v2
	s_cbranch_execz .LBB296_611
.LBB296_645:                            ;   in Loop: Header=BB296_558 Depth=2
	global_load_b64 v[12:13], v[20:21], off offset:768
	s_wait_alu 0xfffe
	s_or_b32 exec_lo, exec_lo, s44
	s_delay_alu instid0(SALU_CYCLE_1)
	s_mov_b32 s44, exec_lo
	v_cmpx_lt_u32_e64 v74, v2
	s_cbranch_execz .LBB296_612
.LBB296_646:                            ;   in Loop: Header=BB296_558 Depth=2
	global_load_b64 v[10:11], v[20:21], off offset:1024
	s_wait_alu 0xfffe
	s_or_b32 exec_lo, exec_lo, s44
	s_delay_alu instid0(SALU_CYCLE_1)
	s_mov_b32 s44, exec_lo
	v_cmpx_lt_u32_e64 v75, v2
	s_cbranch_execz .LBB296_613
.LBB296_647:                            ;   in Loop: Header=BB296_558 Depth=2
	global_load_b64 v[8:9], v[20:21], off offset:1280
	s_wait_alu 0xfffe
	s_or_b32 exec_lo, exec_lo, s44
	s_delay_alu instid0(SALU_CYCLE_1)
	s_mov_b32 s44, exec_lo
	v_cmpx_lt_u32_e64 v76, v2
	s_cbranch_execz .LBB296_614
.LBB296_648:                            ;   in Loop: Header=BB296_558 Depth=2
	global_load_b64 v[6:7], v[20:21], off offset:1536
	s_wait_alu 0xfffe
	s_or_b32 exec_lo, exec_lo, s44
	s_delay_alu instid0(SALU_CYCLE_1)
	s_mov_b32 s44, exec_lo
	v_cmpx_lt_u32_e64 v77, v2
	s_cbranch_execz .LBB296_615
.LBB296_649:                            ;   in Loop: Header=BB296_558 Depth=2
	global_load_b64 v[4:5], v[20:21], off offset:1792
	s_wait_alu 0xfffe
	s_or_b32 exec_lo, exec_lo, s44
	s_and_saveexec_b32 s22, s19
	s_cbranch_execz .LBB296_616
.LBB296_650:                            ;   in Loop: Header=BB296_558 Depth=2
	ds_load_u8 v2, v1 offset:1024
	s_wait_dscnt 0x0
	v_lshrrev_b32_e32 v2, s45, v2
	s_delay_alu instid0(VALU_DEP_1)
	v_and_b32_e32 v93, s31, v2
	s_wait_alu 0xfffe
	s_or_b32 exec_lo, exec_lo, s22
	s_and_saveexec_b32 s22, s21
	s_cbranch_execz .LBB296_617
.LBB296_651:                            ;   in Loop: Header=BB296_558 Depth=2
	ds_load_u8 v2, v1 offset:1280
	s_wait_dscnt 0x0
	v_lshrrev_b32_e32 v2, s45, v2
	s_delay_alu instid0(VALU_DEP_1)
	v_and_b32_e32 v92, s31, v2
	s_wait_alu 0xfffe
	s_or_b32 exec_lo, exec_lo, s22
	s_and_saveexec_b32 s22, s20
	s_cbranch_execz .LBB296_618
.LBB296_652:                            ;   in Loop: Header=BB296_558 Depth=2
	ds_load_u8 v2, v1 offset:1536
	s_wait_dscnt 0x0
	v_lshrrev_b32_e32 v2, s45, v2
	s_delay_alu instid0(VALU_DEP_1)
	v_and_b32_e32 v91, s31, v2
	s_wait_alu 0xfffe
	s_or_b32 exec_lo, exec_lo, s22
	s_and_saveexec_b32 s22, s18
	s_cbranch_execz .LBB296_619
.LBB296_653:                            ;   in Loop: Header=BB296_558 Depth=2
	ds_load_u8 v2, v1 offset:1792
	s_wait_dscnt 0x0
	v_lshrrev_b32_e32 v2, s45, v2
	s_delay_alu instid0(VALU_DEP_1)
	v_and_b32_e32 v90, s31, v2
	s_wait_alu 0xfffe
	s_or_b32 exec_lo, exec_lo, s22
	s_and_saveexec_b32 s22, s17
	s_cbranch_execz .LBB296_620
.LBB296_654:                            ;   in Loop: Header=BB296_558 Depth=2
	ds_load_u8 v2, v1 offset:2048
	s_wait_dscnt 0x0
	v_lshrrev_b32_e32 v2, s45, v2
	s_delay_alu instid0(VALU_DEP_1)
	v_and_b32_e32 v89, s31, v2
	s_wait_alu 0xfffe
	s_or_b32 exec_lo, exec_lo, s22
	s_and_saveexec_b32 s22, s16
	s_cbranch_execz .LBB296_621
.LBB296_655:                            ;   in Loop: Header=BB296_558 Depth=2
	ds_load_u8 v2, v1 offset:2304
	s_wait_dscnt 0x0
	v_lshrrev_b32_e32 v2, s45, v2
	s_delay_alu instid0(VALU_DEP_1)
	v_and_b32_e32 v88, s31, v2
	s_wait_alu 0xfffe
	s_or_b32 exec_lo, exec_lo, s22
	s_and_saveexec_b32 s22, s15
	s_cbranch_execz .LBB296_622
.LBB296_656:                            ;   in Loop: Header=BB296_558 Depth=2
	ds_load_u8 v2, v1 offset:2560
	s_wait_dscnt 0x0
	v_lshrrev_b32_e32 v2, s45, v2
	s_delay_alu instid0(VALU_DEP_1)
	v_and_b32_e32 v87, s31, v2
	s_wait_alu 0xfffe
	s_or_b32 exec_lo, exec_lo, s22
	s_and_saveexec_b32 s22, vcc_lo
	s_cbranch_execnz .LBB296_623
	s_branch .LBB296_624
.LBB296_657:                            ;   in Loop: Header=BB296_558 Depth=2
	v_lshlrev_b32_e32 v2, 2, v93
	ds_load_b32 v2, v2
	ds_load_b64 v[23:24], v20 offset:1024
	s_wait_dscnt 0x1
	v_add_nc_u32_e32 v2, v2, v1
	s_delay_alu instid0(VALU_DEP_1) | instskip(NEXT) | instid1(VALU_DEP_1)
	v_lshlrev_b64_e32 v[25:26], 3, v[2:3]
	v_add_co_u32 v25, s19, s26, v25
	s_wait_alu 0xf1ff
	s_delay_alu instid0(VALU_DEP_2)
	v_add_co_ci_u32_e64 v26, null, s27, v26, s19
	s_wait_dscnt 0x0
	global_store_b64 v[25:26], v[23:24], off
	s_wait_alu 0xfffe
	s_or_b32 exec_lo, exec_lo, s22
	s_and_saveexec_b32 s22, s21
	s_cbranch_execz .LBB296_626
.LBB296_658:                            ;   in Loop: Header=BB296_558 Depth=2
	v_lshlrev_b32_e32 v2, 2, v92
	ds_load_b32 v2, v2
	ds_load_b64 v[23:24], v20 offset:3072
	s_wait_dscnt 0x1
	v_add_nc_u32_e32 v2, v2, v29
	s_delay_alu instid0(VALU_DEP_1) | instskip(NEXT) | instid1(VALU_DEP_1)
	v_lshlrev_b64_e32 v[25:26], 3, v[2:3]
	v_add_co_u32 v25, s19, s26, v25
	s_wait_alu 0xf1ff
	s_delay_alu instid0(VALU_DEP_2)
	v_add_co_ci_u32_e64 v26, null, s27, v26, s19
	s_wait_dscnt 0x0
	global_store_b64 v[25:26], v[23:24], off
	s_wait_alu 0xfffe
	s_or_b32 exec_lo, exec_lo, s22
	s_and_saveexec_b32 s21, s20
	s_cbranch_execz .LBB296_627
.LBB296_659:                            ;   in Loop: Header=BB296_558 Depth=2
	v_lshlrev_b32_e32 v2, 2, v91
	ds_load_b32 v2, v2
	ds_load_b64 v[23:24], v20 offset:5120
	s_wait_dscnt 0x1
	v_add_nc_u32_e32 v2, v2, v30
	s_delay_alu instid0(VALU_DEP_1) | instskip(NEXT) | instid1(VALU_DEP_1)
	v_lshlrev_b64_e32 v[25:26], 3, v[2:3]
	v_add_co_u32 v25, s19, s26, v25
	s_wait_alu 0xf1ff
	s_delay_alu instid0(VALU_DEP_2)
	v_add_co_ci_u32_e64 v26, null, s27, v26, s19
	s_wait_dscnt 0x0
	global_store_b64 v[25:26], v[23:24], off
	s_wait_alu 0xfffe
	s_or_b32 exec_lo, exec_lo, s21
	s_and_saveexec_b32 s19, s18
	s_cbranch_execz .LBB296_628
.LBB296_660:                            ;   in Loop: Header=BB296_558 Depth=2
	v_lshlrev_b32_e32 v2, 2, v90
	ds_load_b32 v2, v2
	ds_load_b64 v[23:24], v20 offset:7168
	s_wait_dscnt 0x1
	v_add_nc_u32_e32 v2, v2, v31
	s_delay_alu instid0(VALU_DEP_1) | instskip(NEXT) | instid1(VALU_DEP_1)
	v_lshlrev_b64_e32 v[25:26], 3, v[2:3]
	v_add_co_u32 v25, s18, s26, v25
	s_wait_alu 0xf1ff
	s_delay_alu instid0(VALU_DEP_2)
	v_add_co_ci_u32_e64 v26, null, s27, v26, s18
	s_wait_dscnt 0x0
	global_store_b64 v[25:26], v[23:24], off
	s_wait_alu 0xfffe
	s_or_b32 exec_lo, exec_lo, s19
	s_and_saveexec_b32 s18, s17
	s_cbranch_execz .LBB296_629
.LBB296_661:                            ;   in Loop: Header=BB296_558 Depth=2
	v_lshlrev_b32_e32 v2, 2, v89
	ds_load_b32 v2, v2
	ds_load_b64 v[23:24], v20 offset:9216
	s_wait_dscnt 0x1
	v_add_nc_u32_e32 v2, v2, v34
	s_delay_alu instid0(VALU_DEP_1) | instskip(NEXT) | instid1(VALU_DEP_1)
	v_lshlrev_b64_e32 v[25:26], 3, v[2:3]
	v_add_co_u32 v25, s17, s26, v25
	s_wait_alu 0xf1ff
	s_delay_alu instid0(VALU_DEP_2)
	v_add_co_ci_u32_e64 v26, null, s27, v26, s17
	s_wait_dscnt 0x0
	global_store_b64 v[25:26], v[23:24], off
	s_wait_alu 0xfffe
	s_or_b32 exec_lo, exec_lo, s18
	s_and_saveexec_b32 s17, s16
	s_cbranch_execz .LBB296_630
.LBB296_662:                            ;   in Loop: Header=BB296_558 Depth=2
	v_lshlrev_b32_e32 v2, 2, v88
	ds_load_b32 v2, v2
	ds_load_b64 v[23:24], v20 offset:11264
	s_wait_dscnt 0x1
	v_add_nc_u32_e32 v2, v2, v35
	s_delay_alu instid0(VALU_DEP_1) | instskip(NEXT) | instid1(VALU_DEP_1)
	v_lshlrev_b64_e32 v[25:26], 3, v[2:3]
	v_add_co_u32 v25, s16, s26, v25
	s_wait_alu 0xf1ff
	s_delay_alu instid0(VALU_DEP_2)
	v_add_co_ci_u32_e64 v26, null, s27, v26, s16
	s_wait_dscnt 0x0
	global_store_b64 v[25:26], v[23:24], off
	s_wait_alu 0xfffe
	s_or_b32 exec_lo, exec_lo, s17
	s_and_saveexec_b32 s16, s15
	s_cbranch_execz .LBB296_631
.LBB296_663:                            ;   in Loop: Header=BB296_558 Depth=2
	v_lshlrev_b32_e32 v2, 2, v87
	ds_load_b32 v2, v2
	ds_load_b64 v[23:24], v20 offset:13312
	s_wait_dscnt 0x1
	v_add_nc_u32_e32 v2, v2, v36
	s_delay_alu instid0(VALU_DEP_1) | instskip(NEXT) | instid1(VALU_DEP_1)
	v_lshlrev_b64_e32 v[25:26], 3, v[2:3]
	v_add_co_u32 v25, s15, s26, v25
	s_wait_alu 0xf1ff
	s_delay_alu instid0(VALU_DEP_2)
	v_add_co_ci_u32_e64 v26, null, s27, v26, s15
	s_wait_dscnt 0x0
	global_store_b64 v[25:26], v[23:24], off
	s_wait_alu 0xfffe
	s_or_b32 exec_lo, exec_lo, s16
	s_and_saveexec_b32 s15, vcc_lo
	s_cbranch_execnz .LBB296_632
	s_branch .LBB296_633
.LBB296_664:                            ;   in Loop: Header=BB296_558 Depth=2
	global_load_u8 v94, v[20:21], off
	v_dual_mov_b32 v22, 0x80 :: v_dual_mov_b32 v27, 0x80
	v_dual_mov_b32 v96, 0x80 :: v_dual_mov_b32 v25, 0x80
	;; [unrolled: 1-line block ×3, first 2 shown]
	v_mov_b32_e32 v24, 0x80
	s_wait_alu 0xfffe
	s_or_b32 exec_lo, exec_lo, s15
	s_delay_alu instid0(SALU_CYCLE_1)
	s_mov_b32 s15, exec_lo
	v_cmpx_gt_u32_e64 s42, v71
	s_cbranch_execz .LBB296_563
.LBB296_665:                            ;   in Loop: Header=BB296_558 Depth=2
	global_load_u8 v96, v[20:21], off offset:32
	s_wait_alu 0xfffe
	s_or_b32 exec_lo, exec_lo, s15
	s_delay_alu instid0(SALU_CYCLE_1)
	s_mov_b32 s15, exec_lo
	v_cmpx_gt_u32_e64 s42, v72
	s_cbranch_execz .LBB296_564
.LBB296_666:                            ;   in Loop: Header=BB296_558 Depth=2
	global_load_u8 v27, v[20:21], off offset:64
	s_wait_alu 0xfffe
	s_or_b32 exec_lo, exec_lo, s15
	s_delay_alu instid0(SALU_CYCLE_1)
	s_mov_b32 s15, exec_lo
	v_cmpx_gt_u32_e64 s42, v73
	s_cbranch_execz .LBB296_565
.LBB296_667:                            ;   in Loop: Header=BB296_558 Depth=2
	global_load_u8 v26, v[20:21], off offset:96
	s_wait_alu 0xfffe
	s_or_b32 exec_lo, exec_lo, s15
	s_delay_alu instid0(SALU_CYCLE_1)
	s_mov_b32 s15, exec_lo
	v_cmpx_gt_u32_e64 s42, v74
	s_cbranch_execz .LBB296_566
.LBB296_668:                            ;   in Loop: Header=BB296_558 Depth=2
	global_load_u8 v25, v[20:21], off offset:128
	s_wait_alu 0xfffe
	s_or_b32 exec_lo, exec_lo, s15
	s_delay_alu instid0(SALU_CYCLE_1)
	s_mov_b32 s15, exec_lo
	v_cmpx_gt_u32_e64 s42, v75
	s_cbranch_execz .LBB296_567
.LBB296_669:                            ;   in Loop: Header=BB296_558 Depth=2
	global_load_u8 v24, v[20:21], off offset:160
	s_wait_alu 0xfffe
	s_or_b32 exec_lo, exec_lo, s15
	s_delay_alu instid0(SALU_CYCLE_1)
	s_mov_b32 s15, exec_lo
	v_cmpx_gt_u32_e64 s42, v76
	s_cbranch_execnz .LBB296_568
	s_branch .LBB296_569
.LBB296_670:
	s_endpgm
	.section	.rodata,"a",@progbits
	.p2align	6, 0x0
	.amdhsa_kernel _ZN7rocprim17ROCPRIM_400000_NS6detail17trampoline_kernelINS0_14default_configENS1_36segmented_radix_sort_config_selectorIalEEZNS1_25segmented_radix_sort_implIS3_Lb1EPKaPaPKlPlN2at6native12_GLOBAL__N_18offset_tEEE10hipError_tPvRmT1_PNSt15iterator_traitsISK_E10value_typeET2_T3_PNSL_ISQ_E10value_typeET4_jRbjT5_SW_jjP12ihipStream_tbEUlT_E_NS1_11comp_targetILNS1_3genE10ELNS1_11target_archE1201ELNS1_3gpuE5ELNS1_3repE0EEENS1_30default_config_static_selectorELNS0_4arch9wavefront6targetE0EEEvSK_
		.amdhsa_group_segment_fixed_size 17440
		.amdhsa_private_segment_fixed_size 0
		.amdhsa_kernarg_size 352
		.amdhsa_user_sgpr_count 2
		.amdhsa_user_sgpr_dispatch_ptr 0
		.amdhsa_user_sgpr_queue_ptr 0
		.amdhsa_user_sgpr_kernarg_segment_ptr 1
		.amdhsa_user_sgpr_dispatch_id 0
		.amdhsa_user_sgpr_private_segment_size 0
		.amdhsa_wavefront_size32 1
		.amdhsa_uses_dynamic_stack 0
		.amdhsa_enable_private_segment 0
		.amdhsa_system_sgpr_workgroup_id_x 1
		.amdhsa_system_sgpr_workgroup_id_y 1
		.amdhsa_system_sgpr_workgroup_id_z 0
		.amdhsa_system_sgpr_workgroup_info 0
		.amdhsa_system_vgpr_workitem_id 2
		.amdhsa_next_free_vgpr 197
		.amdhsa_next_free_sgpr 50
		.amdhsa_reserve_vcc 1
		.amdhsa_float_round_mode_32 0
		.amdhsa_float_round_mode_16_64 0
		.amdhsa_float_denorm_mode_32 3
		.amdhsa_float_denorm_mode_16_64 3
		.amdhsa_fp16_overflow 0
		.amdhsa_workgroup_processor_mode 1
		.amdhsa_memory_ordered 1
		.amdhsa_forward_progress 1
		.amdhsa_inst_pref_size 255
		.amdhsa_round_robin_scheduling 0
		.amdhsa_exception_fp_ieee_invalid_op 0
		.amdhsa_exception_fp_denorm_src 0
		.amdhsa_exception_fp_ieee_div_zero 0
		.amdhsa_exception_fp_ieee_overflow 0
		.amdhsa_exception_fp_ieee_underflow 0
		.amdhsa_exception_fp_ieee_inexact 0
		.amdhsa_exception_int_div_zero 0
	.end_amdhsa_kernel
	.section	.text._ZN7rocprim17ROCPRIM_400000_NS6detail17trampoline_kernelINS0_14default_configENS1_36segmented_radix_sort_config_selectorIalEEZNS1_25segmented_radix_sort_implIS3_Lb1EPKaPaPKlPlN2at6native12_GLOBAL__N_18offset_tEEE10hipError_tPvRmT1_PNSt15iterator_traitsISK_E10value_typeET2_T3_PNSL_ISQ_E10value_typeET4_jRbjT5_SW_jjP12ihipStream_tbEUlT_E_NS1_11comp_targetILNS1_3genE10ELNS1_11target_archE1201ELNS1_3gpuE5ELNS1_3repE0EEENS1_30default_config_static_selectorELNS0_4arch9wavefront6targetE0EEEvSK_,"axG",@progbits,_ZN7rocprim17ROCPRIM_400000_NS6detail17trampoline_kernelINS0_14default_configENS1_36segmented_radix_sort_config_selectorIalEEZNS1_25segmented_radix_sort_implIS3_Lb1EPKaPaPKlPlN2at6native12_GLOBAL__N_18offset_tEEE10hipError_tPvRmT1_PNSt15iterator_traitsISK_E10value_typeET2_T3_PNSL_ISQ_E10value_typeET4_jRbjT5_SW_jjP12ihipStream_tbEUlT_E_NS1_11comp_targetILNS1_3genE10ELNS1_11target_archE1201ELNS1_3gpuE5ELNS1_3repE0EEENS1_30default_config_static_selectorELNS0_4arch9wavefront6targetE0EEEvSK_,comdat
.Lfunc_end296:
	.size	_ZN7rocprim17ROCPRIM_400000_NS6detail17trampoline_kernelINS0_14default_configENS1_36segmented_radix_sort_config_selectorIalEEZNS1_25segmented_radix_sort_implIS3_Lb1EPKaPaPKlPlN2at6native12_GLOBAL__N_18offset_tEEE10hipError_tPvRmT1_PNSt15iterator_traitsISK_E10value_typeET2_T3_PNSL_ISQ_E10value_typeET4_jRbjT5_SW_jjP12ihipStream_tbEUlT_E_NS1_11comp_targetILNS1_3genE10ELNS1_11target_archE1201ELNS1_3gpuE5ELNS1_3repE0EEENS1_30default_config_static_selectorELNS0_4arch9wavefront6targetE0EEEvSK_, .Lfunc_end296-_ZN7rocprim17ROCPRIM_400000_NS6detail17trampoline_kernelINS0_14default_configENS1_36segmented_radix_sort_config_selectorIalEEZNS1_25segmented_radix_sort_implIS3_Lb1EPKaPaPKlPlN2at6native12_GLOBAL__N_18offset_tEEE10hipError_tPvRmT1_PNSt15iterator_traitsISK_E10value_typeET2_T3_PNSL_ISQ_E10value_typeET4_jRbjT5_SW_jjP12ihipStream_tbEUlT_E_NS1_11comp_targetILNS1_3genE10ELNS1_11target_archE1201ELNS1_3gpuE5ELNS1_3repE0EEENS1_30default_config_static_selectorELNS0_4arch9wavefront6targetE0EEEvSK_
                                        ; -- End function
	.set _ZN7rocprim17ROCPRIM_400000_NS6detail17trampoline_kernelINS0_14default_configENS1_36segmented_radix_sort_config_selectorIalEEZNS1_25segmented_radix_sort_implIS3_Lb1EPKaPaPKlPlN2at6native12_GLOBAL__N_18offset_tEEE10hipError_tPvRmT1_PNSt15iterator_traitsISK_E10value_typeET2_T3_PNSL_ISQ_E10value_typeET4_jRbjT5_SW_jjP12ihipStream_tbEUlT_E_NS1_11comp_targetILNS1_3genE10ELNS1_11target_archE1201ELNS1_3gpuE5ELNS1_3repE0EEENS1_30default_config_static_selectorELNS0_4arch9wavefront6targetE0EEEvSK_.num_vgpr, max(133, .L_ZN7rocprim17ROCPRIM_400000_NS6detail40segmented_radix_sort_single_block_helperIalLj256ELj8ELb1EE4sortIPKaPaPKlPlEEbT_T0_T1_T2_jjjjRNS3_12storage_typeE.num_vgpr)
	.set _ZN7rocprim17ROCPRIM_400000_NS6detail17trampoline_kernelINS0_14default_configENS1_36segmented_radix_sort_config_selectorIalEEZNS1_25segmented_radix_sort_implIS3_Lb1EPKaPaPKlPlN2at6native12_GLOBAL__N_18offset_tEEE10hipError_tPvRmT1_PNSt15iterator_traitsISK_E10value_typeET2_T3_PNSL_ISQ_E10value_typeET4_jRbjT5_SW_jjP12ihipStream_tbEUlT_E_NS1_11comp_targetILNS1_3genE10ELNS1_11target_archE1201ELNS1_3gpuE5ELNS1_3repE0EEENS1_30default_config_static_selectorELNS0_4arch9wavefront6targetE0EEEvSK_.num_agpr, max(0, .L_ZN7rocprim17ROCPRIM_400000_NS6detail40segmented_radix_sort_single_block_helperIalLj256ELj8ELb1EE4sortIPKaPaPKlPlEEbT_T0_T1_T2_jjjjRNS3_12storage_typeE.num_agpr)
	.set _ZN7rocprim17ROCPRIM_400000_NS6detail17trampoline_kernelINS0_14default_configENS1_36segmented_radix_sort_config_selectorIalEEZNS1_25segmented_radix_sort_implIS3_Lb1EPKaPaPKlPlN2at6native12_GLOBAL__N_18offset_tEEE10hipError_tPvRmT1_PNSt15iterator_traitsISK_E10value_typeET2_T3_PNSL_ISQ_E10value_typeET4_jRbjT5_SW_jjP12ihipStream_tbEUlT_E_NS1_11comp_targetILNS1_3genE10ELNS1_11target_archE1201ELNS1_3gpuE5ELNS1_3repE0EEENS1_30default_config_static_selectorELNS0_4arch9wavefront6targetE0EEEvSK_.numbered_sgpr, max(50, .L_ZN7rocprim17ROCPRIM_400000_NS6detail40segmented_radix_sort_single_block_helperIalLj256ELj8ELb1EE4sortIPKaPaPKlPlEEbT_T0_T1_T2_jjjjRNS3_12storage_typeE.numbered_sgpr)
	.set _ZN7rocprim17ROCPRIM_400000_NS6detail17trampoline_kernelINS0_14default_configENS1_36segmented_radix_sort_config_selectorIalEEZNS1_25segmented_radix_sort_implIS3_Lb1EPKaPaPKlPlN2at6native12_GLOBAL__N_18offset_tEEE10hipError_tPvRmT1_PNSt15iterator_traitsISK_E10value_typeET2_T3_PNSL_ISQ_E10value_typeET4_jRbjT5_SW_jjP12ihipStream_tbEUlT_E_NS1_11comp_targetILNS1_3genE10ELNS1_11target_archE1201ELNS1_3gpuE5ELNS1_3repE0EEENS1_30default_config_static_selectorELNS0_4arch9wavefront6targetE0EEEvSK_.num_named_barrier, max(0, .L_ZN7rocprim17ROCPRIM_400000_NS6detail40segmented_radix_sort_single_block_helperIalLj256ELj8ELb1EE4sortIPKaPaPKlPlEEbT_T0_T1_T2_jjjjRNS3_12storage_typeE.num_named_barrier)
	.set _ZN7rocprim17ROCPRIM_400000_NS6detail17trampoline_kernelINS0_14default_configENS1_36segmented_radix_sort_config_selectorIalEEZNS1_25segmented_radix_sort_implIS3_Lb1EPKaPaPKlPlN2at6native12_GLOBAL__N_18offset_tEEE10hipError_tPvRmT1_PNSt15iterator_traitsISK_E10value_typeET2_T3_PNSL_ISQ_E10value_typeET4_jRbjT5_SW_jjP12ihipStream_tbEUlT_E_NS1_11comp_targetILNS1_3genE10ELNS1_11target_archE1201ELNS1_3gpuE5ELNS1_3repE0EEENS1_30default_config_static_selectorELNS0_4arch9wavefront6targetE0EEEvSK_.private_seg_size, 0+max(.L_ZN7rocprim17ROCPRIM_400000_NS6detail40segmented_radix_sort_single_block_helperIalLj256ELj8ELb1EE4sortIPKaPaPKlPlEEbT_T0_T1_T2_jjjjRNS3_12storage_typeE.private_seg_size)
	.set _ZN7rocprim17ROCPRIM_400000_NS6detail17trampoline_kernelINS0_14default_configENS1_36segmented_radix_sort_config_selectorIalEEZNS1_25segmented_radix_sort_implIS3_Lb1EPKaPaPKlPlN2at6native12_GLOBAL__N_18offset_tEEE10hipError_tPvRmT1_PNSt15iterator_traitsISK_E10value_typeET2_T3_PNSL_ISQ_E10value_typeET4_jRbjT5_SW_jjP12ihipStream_tbEUlT_E_NS1_11comp_targetILNS1_3genE10ELNS1_11target_archE1201ELNS1_3gpuE5ELNS1_3repE0EEENS1_30default_config_static_selectorELNS0_4arch9wavefront6targetE0EEEvSK_.uses_vcc, or(1, .L_ZN7rocprim17ROCPRIM_400000_NS6detail40segmented_radix_sort_single_block_helperIalLj256ELj8ELb1EE4sortIPKaPaPKlPlEEbT_T0_T1_T2_jjjjRNS3_12storage_typeE.uses_vcc)
	.set _ZN7rocprim17ROCPRIM_400000_NS6detail17trampoline_kernelINS0_14default_configENS1_36segmented_radix_sort_config_selectorIalEEZNS1_25segmented_radix_sort_implIS3_Lb1EPKaPaPKlPlN2at6native12_GLOBAL__N_18offset_tEEE10hipError_tPvRmT1_PNSt15iterator_traitsISK_E10value_typeET2_T3_PNSL_ISQ_E10value_typeET4_jRbjT5_SW_jjP12ihipStream_tbEUlT_E_NS1_11comp_targetILNS1_3genE10ELNS1_11target_archE1201ELNS1_3gpuE5ELNS1_3repE0EEENS1_30default_config_static_selectorELNS0_4arch9wavefront6targetE0EEEvSK_.uses_flat_scratch, or(0, .L_ZN7rocprim17ROCPRIM_400000_NS6detail40segmented_radix_sort_single_block_helperIalLj256ELj8ELb1EE4sortIPKaPaPKlPlEEbT_T0_T1_T2_jjjjRNS3_12storage_typeE.uses_flat_scratch)
	.set _ZN7rocprim17ROCPRIM_400000_NS6detail17trampoline_kernelINS0_14default_configENS1_36segmented_radix_sort_config_selectorIalEEZNS1_25segmented_radix_sort_implIS3_Lb1EPKaPaPKlPlN2at6native12_GLOBAL__N_18offset_tEEE10hipError_tPvRmT1_PNSt15iterator_traitsISK_E10value_typeET2_T3_PNSL_ISQ_E10value_typeET4_jRbjT5_SW_jjP12ihipStream_tbEUlT_E_NS1_11comp_targetILNS1_3genE10ELNS1_11target_archE1201ELNS1_3gpuE5ELNS1_3repE0EEENS1_30default_config_static_selectorELNS0_4arch9wavefront6targetE0EEEvSK_.has_dyn_sized_stack, or(0, .L_ZN7rocprim17ROCPRIM_400000_NS6detail40segmented_radix_sort_single_block_helperIalLj256ELj8ELb1EE4sortIPKaPaPKlPlEEbT_T0_T1_T2_jjjjRNS3_12storage_typeE.has_dyn_sized_stack)
	.set _ZN7rocprim17ROCPRIM_400000_NS6detail17trampoline_kernelINS0_14default_configENS1_36segmented_radix_sort_config_selectorIalEEZNS1_25segmented_radix_sort_implIS3_Lb1EPKaPaPKlPlN2at6native12_GLOBAL__N_18offset_tEEE10hipError_tPvRmT1_PNSt15iterator_traitsISK_E10value_typeET2_T3_PNSL_ISQ_E10value_typeET4_jRbjT5_SW_jjP12ihipStream_tbEUlT_E_NS1_11comp_targetILNS1_3genE10ELNS1_11target_archE1201ELNS1_3gpuE5ELNS1_3repE0EEENS1_30default_config_static_selectorELNS0_4arch9wavefront6targetE0EEEvSK_.has_recursion, or(0, .L_ZN7rocprim17ROCPRIM_400000_NS6detail40segmented_radix_sort_single_block_helperIalLj256ELj8ELb1EE4sortIPKaPaPKlPlEEbT_T0_T1_T2_jjjjRNS3_12storage_typeE.has_recursion)
	.set _ZN7rocprim17ROCPRIM_400000_NS6detail17trampoline_kernelINS0_14default_configENS1_36segmented_radix_sort_config_selectorIalEEZNS1_25segmented_radix_sort_implIS3_Lb1EPKaPaPKlPlN2at6native12_GLOBAL__N_18offset_tEEE10hipError_tPvRmT1_PNSt15iterator_traitsISK_E10value_typeET2_T3_PNSL_ISQ_E10value_typeET4_jRbjT5_SW_jjP12ihipStream_tbEUlT_E_NS1_11comp_targetILNS1_3genE10ELNS1_11target_archE1201ELNS1_3gpuE5ELNS1_3repE0EEENS1_30default_config_static_selectorELNS0_4arch9wavefront6targetE0EEEvSK_.has_indirect_call, or(0, .L_ZN7rocprim17ROCPRIM_400000_NS6detail40segmented_radix_sort_single_block_helperIalLj256ELj8ELb1EE4sortIPKaPaPKlPlEEbT_T0_T1_T2_jjjjRNS3_12storage_typeE.has_indirect_call)
	.section	.AMDGPU.csdata,"",@progbits
; Kernel info:
; codeLenInByte = 43180
; TotalNumSgprs: 52
; NumVgprs: 197
; ScratchSize: 0
; MemoryBound: 0
; FloatMode: 240
; IeeeMode: 1
; LDSByteSize: 17440 bytes/workgroup (compile time only)
; SGPRBlocks: 0
; VGPRBlocks: 24
; NumSGPRsForWavesPerEU: 52
; NumVGPRsForWavesPerEU: 197
; Occupancy: 7
; WaveLimiterHint : 1
; COMPUTE_PGM_RSRC2:SCRATCH_EN: 0
; COMPUTE_PGM_RSRC2:USER_SGPR: 2
; COMPUTE_PGM_RSRC2:TRAP_HANDLER: 0
; COMPUTE_PGM_RSRC2:TGID_X_EN: 1
; COMPUTE_PGM_RSRC2:TGID_Y_EN: 1
; COMPUTE_PGM_RSRC2:TGID_Z_EN: 0
; COMPUTE_PGM_RSRC2:TIDIG_COMP_CNT: 2
	.section	.text._ZN7rocprim17ROCPRIM_400000_NS6detail17trampoline_kernelINS0_14default_configENS1_36segmented_radix_sort_config_selectorIalEEZNS1_25segmented_radix_sort_implIS3_Lb1EPKaPaPKlPlN2at6native12_GLOBAL__N_18offset_tEEE10hipError_tPvRmT1_PNSt15iterator_traitsISK_E10value_typeET2_T3_PNSL_ISQ_E10value_typeET4_jRbjT5_SW_jjP12ihipStream_tbEUlT_E_NS1_11comp_targetILNS1_3genE10ELNS1_11target_archE1200ELNS1_3gpuE4ELNS1_3repE0EEENS1_30default_config_static_selectorELNS0_4arch9wavefront6targetE0EEEvSK_,"axG",@progbits,_ZN7rocprim17ROCPRIM_400000_NS6detail17trampoline_kernelINS0_14default_configENS1_36segmented_radix_sort_config_selectorIalEEZNS1_25segmented_radix_sort_implIS3_Lb1EPKaPaPKlPlN2at6native12_GLOBAL__N_18offset_tEEE10hipError_tPvRmT1_PNSt15iterator_traitsISK_E10value_typeET2_T3_PNSL_ISQ_E10value_typeET4_jRbjT5_SW_jjP12ihipStream_tbEUlT_E_NS1_11comp_targetILNS1_3genE10ELNS1_11target_archE1200ELNS1_3gpuE4ELNS1_3repE0EEENS1_30default_config_static_selectorELNS0_4arch9wavefront6targetE0EEEvSK_,comdat
	.globl	_ZN7rocprim17ROCPRIM_400000_NS6detail17trampoline_kernelINS0_14default_configENS1_36segmented_radix_sort_config_selectorIalEEZNS1_25segmented_radix_sort_implIS3_Lb1EPKaPaPKlPlN2at6native12_GLOBAL__N_18offset_tEEE10hipError_tPvRmT1_PNSt15iterator_traitsISK_E10value_typeET2_T3_PNSL_ISQ_E10value_typeET4_jRbjT5_SW_jjP12ihipStream_tbEUlT_E_NS1_11comp_targetILNS1_3genE10ELNS1_11target_archE1200ELNS1_3gpuE4ELNS1_3repE0EEENS1_30default_config_static_selectorELNS0_4arch9wavefront6targetE0EEEvSK_ ; -- Begin function _ZN7rocprim17ROCPRIM_400000_NS6detail17trampoline_kernelINS0_14default_configENS1_36segmented_radix_sort_config_selectorIalEEZNS1_25segmented_radix_sort_implIS3_Lb1EPKaPaPKlPlN2at6native12_GLOBAL__N_18offset_tEEE10hipError_tPvRmT1_PNSt15iterator_traitsISK_E10value_typeET2_T3_PNSL_ISQ_E10value_typeET4_jRbjT5_SW_jjP12ihipStream_tbEUlT_E_NS1_11comp_targetILNS1_3genE10ELNS1_11target_archE1200ELNS1_3gpuE4ELNS1_3repE0EEENS1_30default_config_static_selectorELNS0_4arch9wavefront6targetE0EEEvSK_
	.p2align	8
	.type	_ZN7rocprim17ROCPRIM_400000_NS6detail17trampoline_kernelINS0_14default_configENS1_36segmented_radix_sort_config_selectorIalEEZNS1_25segmented_radix_sort_implIS3_Lb1EPKaPaPKlPlN2at6native12_GLOBAL__N_18offset_tEEE10hipError_tPvRmT1_PNSt15iterator_traitsISK_E10value_typeET2_T3_PNSL_ISQ_E10value_typeET4_jRbjT5_SW_jjP12ihipStream_tbEUlT_E_NS1_11comp_targetILNS1_3genE10ELNS1_11target_archE1200ELNS1_3gpuE4ELNS1_3repE0EEENS1_30default_config_static_selectorELNS0_4arch9wavefront6targetE0EEEvSK_,@function
_ZN7rocprim17ROCPRIM_400000_NS6detail17trampoline_kernelINS0_14default_configENS1_36segmented_radix_sort_config_selectorIalEEZNS1_25segmented_radix_sort_implIS3_Lb1EPKaPaPKlPlN2at6native12_GLOBAL__N_18offset_tEEE10hipError_tPvRmT1_PNSt15iterator_traitsISK_E10value_typeET2_T3_PNSL_ISQ_E10value_typeET4_jRbjT5_SW_jjP12ihipStream_tbEUlT_E_NS1_11comp_targetILNS1_3genE10ELNS1_11target_archE1200ELNS1_3gpuE4ELNS1_3repE0EEENS1_30default_config_static_selectorELNS0_4arch9wavefront6targetE0EEEvSK_: ; @_ZN7rocprim17ROCPRIM_400000_NS6detail17trampoline_kernelINS0_14default_configENS1_36segmented_radix_sort_config_selectorIalEEZNS1_25segmented_radix_sort_implIS3_Lb1EPKaPaPKlPlN2at6native12_GLOBAL__N_18offset_tEEE10hipError_tPvRmT1_PNSt15iterator_traitsISK_E10value_typeET2_T3_PNSL_ISQ_E10value_typeET4_jRbjT5_SW_jjP12ihipStream_tbEUlT_E_NS1_11comp_targetILNS1_3genE10ELNS1_11target_archE1200ELNS1_3gpuE4ELNS1_3repE0EEENS1_30default_config_static_selectorELNS0_4arch9wavefront6targetE0EEEvSK_
; %bb.0:
	.section	.rodata,"a",@progbits
	.p2align	6, 0x0
	.amdhsa_kernel _ZN7rocprim17ROCPRIM_400000_NS6detail17trampoline_kernelINS0_14default_configENS1_36segmented_radix_sort_config_selectorIalEEZNS1_25segmented_radix_sort_implIS3_Lb1EPKaPaPKlPlN2at6native12_GLOBAL__N_18offset_tEEE10hipError_tPvRmT1_PNSt15iterator_traitsISK_E10value_typeET2_T3_PNSL_ISQ_E10value_typeET4_jRbjT5_SW_jjP12ihipStream_tbEUlT_E_NS1_11comp_targetILNS1_3genE10ELNS1_11target_archE1200ELNS1_3gpuE4ELNS1_3repE0EEENS1_30default_config_static_selectorELNS0_4arch9wavefront6targetE0EEEvSK_
		.amdhsa_group_segment_fixed_size 0
		.amdhsa_private_segment_fixed_size 0
		.amdhsa_kernarg_size 96
		.amdhsa_user_sgpr_count 2
		.amdhsa_user_sgpr_dispatch_ptr 0
		.amdhsa_user_sgpr_queue_ptr 0
		.amdhsa_user_sgpr_kernarg_segment_ptr 1
		.amdhsa_user_sgpr_dispatch_id 0
		.amdhsa_user_sgpr_private_segment_size 0
		.amdhsa_wavefront_size32 1
		.amdhsa_uses_dynamic_stack 0
		.amdhsa_enable_private_segment 0
		.amdhsa_system_sgpr_workgroup_id_x 1
		.amdhsa_system_sgpr_workgroup_id_y 0
		.amdhsa_system_sgpr_workgroup_id_z 0
		.amdhsa_system_sgpr_workgroup_info 0
		.amdhsa_system_vgpr_workitem_id 0
		.amdhsa_next_free_vgpr 1
		.amdhsa_next_free_sgpr 1
		.amdhsa_reserve_vcc 0
		.amdhsa_float_round_mode_32 0
		.amdhsa_float_round_mode_16_64 0
		.amdhsa_float_denorm_mode_32 3
		.amdhsa_float_denorm_mode_16_64 3
		.amdhsa_fp16_overflow 0
		.amdhsa_workgroup_processor_mode 1
		.amdhsa_memory_ordered 1
		.amdhsa_forward_progress 1
		.amdhsa_inst_pref_size 0
		.amdhsa_round_robin_scheduling 0
		.amdhsa_exception_fp_ieee_invalid_op 0
		.amdhsa_exception_fp_denorm_src 0
		.amdhsa_exception_fp_ieee_div_zero 0
		.amdhsa_exception_fp_ieee_overflow 0
		.amdhsa_exception_fp_ieee_underflow 0
		.amdhsa_exception_fp_ieee_inexact 0
		.amdhsa_exception_int_div_zero 0
	.end_amdhsa_kernel
	.section	.text._ZN7rocprim17ROCPRIM_400000_NS6detail17trampoline_kernelINS0_14default_configENS1_36segmented_radix_sort_config_selectorIalEEZNS1_25segmented_radix_sort_implIS3_Lb1EPKaPaPKlPlN2at6native12_GLOBAL__N_18offset_tEEE10hipError_tPvRmT1_PNSt15iterator_traitsISK_E10value_typeET2_T3_PNSL_ISQ_E10value_typeET4_jRbjT5_SW_jjP12ihipStream_tbEUlT_E_NS1_11comp_targetILNS1_3genE10ELNS1_11target_archE1200ELNS1_3gpuE4ELNS1_3repE0EEENS1_30default_config_static_selectorELNS0_4arch9wavefront6targetE0EEEvSK_,"axG",@progbits,_ZN7rocprim17ROCPRIM_400000_NS6detail17trampoline_kernelINS0_14default_configENS1_36segmented_radix_sort_config_selectorIalEEZNS1_25segmented_radix_sort_implIS3_Lb1EPKaPaPKlPlN2at6native12_GLOBAL__N_18offset_tEEE10hipError_tPvRmT1_PNSt15iterator_traitsISK_E10value_typeET2_T3_PNSL_ISQ_E10value_typeET4_jRbjT5_SW_jjP12ihipStream_tbEUlT_E_NS1_11comp_targetILNS1_3genE10ELNS1_11target_archE1200ELNS1_3gpuE4ELNS1_3repE0EEENS1_30default_config_static_selectorELNS0_4arch9wavefront6targetE0EEEvSK_,comdat
.Lfunc_end297:
	.size	_ZN7rocprim17ROCPRIM_400000_NS6detail17trampoline_kernelINS0_14default_configENS1_36segmented_radix_sort_config_selectorIalEEZNS1_25segmented_radix_sort_implIS3_Lb1EPKaPaPKlPlN2at6native12_GLOBAL__N_18offset_tEEE10hipError_tPvRmT1_PNSt15iterator_traitsISK_E10value_typeET2_T3_PNSL_ISQ_E10value_typeET4_jRbjT5_SW_jjP12ihipStream_tbEUlT_E_NS1_11comp_targetILNS1_3genE10ELNS1_11target_archE1200ELNS1_3gpuE4ELNS1_3repE0EEENS1_30default_config_static_selectorELNS0_4arch9wavefront6targetE0EEEvSK_, .Lfunc_end297-_ZN7rocprim17ROCPRIM_400000_NS6detail17trampoline_kernelINS0_14default_configENS1_36segmented_radix_sort_config_selectorIalEEZNS1_25segmented_radix_sort_implIS3_Lb1EPKaPaPKlPlN2at6native12_GLOBAL__N_18offset_tEEE10hipError_tPvRmT1_PNSt15iterator_traitsISK_E10value_typeET2_T3_PNSL_ISQ_E10value_typeET4_jRbjT5_SW_jjP12ihipStream_tbEUlT_E_NS1_11comp_targetILNS1_3genE10ELNS1_11target_archE1200ELNS1_3gpuE4ELNS1_3repE0EEENS1_30default_config_static_selectorELNS0_4arch9wavefront6targetE0EEEvSK_
                                        ; -- End function
	.set _ZN7rocprim17ROCPRIM_400000_NS6detail17trampoline_kernelINS0_14default_configENS1_36segmented_radix_sort_config_selectorIalEEZNS1_25segmented_radix_sort_implIS3_Lb1EPKaPaPKlPlN2at6native12_GLOBAL__N_18offset_tEEE10hipError_tPvRmT1_PNSt15iterator_traitsISK_E10value_typeET2_T3_PNSL_ISQ_E10value_typeET4_jRbjT5_SW_jjP12ihipStream_tbEUlT_E_NS1_11comp_targetILNS1_3genE10ELNS1_11target_archE1200ELNS1_3gpuE4ELNS1_3repE0EEENS1_30default_config_static_selectorELNS0_4arch9wavefront6targetE0EEEvSK_.num_vgpr, 0
	.set _ZN7rocprim17ROCPRIM_400000_NS6detail17trampoline_kernelINS0_14default_configENS1_36segmented_radix_sort_config_selectorIalEEZNS1_25segmented_radix_sort_implIS3_Lb1EPKaPaPKlPlN2at6native12_GLOBAL__N_18offset_tEEE10hipError_tPvRmT1_PNSt15iterator_traitsISK_E10value_typeET2_T3_PNSL_ISQ_E10value_typeET4_jRbjT5_SW_jjP12ihipStream_tbEUlT_E_NS1_11comp_targetILNS1_3genE10ELNS1_11target_archE1200ELNS1_3gpuE4ELNS1_3repE0EEENS1_30default_config_static_selectorELNS0_4arch9wavefront6targetE0EEEvSK_.num_agpr, 0
	.set _ZN7rocprim17ROCPRIM_400000_NS6detail17trampoline_kernelINS0_14default_configENS1_36segmented_radix_sort_config_selectorIalEEZNS1_25segmented_radix_sort_implIS3_Lb1EPKaPaPKlPlN2at6native12_GLOBAL__N_18offset_tEEE10hipError_tPvRmT1_PNSt15iterator_traitsISK_E10value_typeET2_T3_PNSL_ISQ_E10value_typeET4_jRbjT5_SW_jjP12ihipStream_tbEUlT_E_NS1_11comp_targetILNS1_3genE10ELNS1_11target_archE1200ELNS1_3gpuE4ELNS1_3repE0EEENS1_30default_config_static_selectorELNS0_4arch9wavefront6targetE0EEEvSK_.numbered_sgpr, 0
	.set _ZN7rocprim17ROCPRIM_400000_NS6detail17trampoline_kernelINS0_14default_configENS1_36segmented_radix_sort_config_selectorIalEEZNS1_25segmented_radix_sort_implIS3_Lb1EPKaPaPKlPlN2at6native12_GLOBAL__N_18offset_tEEE10hipError_tPvRmT1_PNSt15iterator_traitsISK_E10value_typeET2_T3_PNSL_ISQ_E10value_typeET4_jRbjT5_SW_jjP12ihipStream_tbEUlT_E_NS1_11comp_targetILNS1_3genE10ELNS1_11target_archE1200ELNS1_3gpuE4ELNS1_3repE0EEENS1_30default_config_static_selectorELNS0_4arch9wavefront6targetE0EEEvSK_.num_named_barrier, 0
	.set _ZN7rocprim17ROCPRIM_400000_NS6detail17trampoline_kernelINS0_14default_configENS1_36segmented_radix_sort_config_selectorIalEEZNS1_25segmented_radix_sort_implIS3_Lb1EPKaPaPKlPlN2at6native12_GLOBAL__N_18offset_tEEE10hipError_tPvRmT1_PNSt15iterator_traitsISK_E10value_typeET2_T3_PNSL_ISQ_E10value_typeET4_jRbjT5_SW_jjP12ihipStream_tbEUlT_E_NS1_11comp_targetILNS1_3genE10ELNS1_11target_archE1200ELNS1_3gpuE4ELNS1_3repE0EEENS1_30default_config_static_selectorELNS0_4arch9wavefront6targetE0EEEvSK_.private_seg_size, 0
	.set _ZN7rocprim17ROCPRIM_400000_NS6detail17trampoline_kernelINS0_14default_configENS1_36segmented_radix_sort_config_selectorIalEEZNS1_25segmented_radix_sort_implIS3_Lb1EPKaPaPKlPlN2at6native12_GLOBAL__N_18offset_tEEE10hipError_tPvRmT1_PNSt15iterator_traitsISK_E10value_typeET2_T3_PNSL_ISQ_E10value_typeET4_jRbjT5_SW_jjP12ihipStream_tbEUlT_E_NS1_11comp_targetILNS1_3genE10ELNS1_11target_archE1200ELNS1_3gpuE4ELNS1_3repE0EEENS1_30default_config_static_selectorELNS0_4arch9wavefront6targetE0EEEvSK_.uses_vcc, 0
	.set _ZN7rocprim17ROCPRIM_400000_NS6detail17trampoline_kernelINS0_14default_configENS1_36segmented_radix_sort_config_selectorIalEEZNS1_25segmented_radix_sort_implIS3_Lb1EPKaPaPKlPlN2at6native12_GLOBAL__N_18offset_tEEE10hipError_tPvRmT1_PNSt15iterator_traitsISK_E10value_typeET2_T3_PNSL_ISQ_E10value_typeET4_jRbjT5_SW_jjP12ihipStream_tbEUlT_E_NS1_11comp_targetILNS1_3genE10ELNS1_11target_archE1200ELNS1_3gpuE4ELNS1_3repE0EEENS1_30default_config_static_selectorELNS0_4arch9wavefront6targetE0EEEvSK_.uses_flat_scratch, 0
	.set _ZN7rocprim17ROCPRIM_400000_NS6detail17trampoline_kernelINS0_14default_configENS1_36segmented_radix_sort_config_selectorIalEEZNS1_25segmented_radix_sort_implIS3_Lb1EPKaPaPKlPlN2at6native12_GLOBAL__N_18offset_tEEE10hipError_tPvRmT1_PNSt15iterator_traitsISK_E10value_typeET2_T3_PNSL_ISQ_E10value_typeET4_jRbjT5_SW_jjP12ihipStream_tbEUlT_E_NS1_11comp_targetILNS1_3genE10ELNS1_11target_archE1200ELNS1_3gpuE4ELNS1_3repE0EEENS1_30default_config_static_selectorELNS0_4arch9wavefront6targetE0EEEvSK_.has_dyn_sized_stack, 0
	.set _ZN7rocprim17ROCPRIM_400000_NS6detail17trampoline_kernelINS0_14default_configENS1_36segmented_radix_sort_config_selectorIalEEZNS1_25segmented_radix_sort_implIS3_Lb1EPKaPaPKlPlN2at6native12_GLOBAL__N_18offset_tEEE10hipError_tPvRmT1_PNSt15iterator_traitsISK_E10value_typeET2_T3_PNSL_ISQ_E10value_typeET4_jRbjT5_SW_jjP12ihipStream_tbEUlT_E_NS1_11comp_targetILNS1_3genE10ELNS1_11target_archE1200ELNS1_3gpuE4ELNS1_3repE0EEENS1_30default_config_static_selectorELNS0_4arch9wavefront6targetE0EEEvSK_.has_recursion, 0
	.set _ZN7rocprim17ROCPRIM_400000_NS6detail17trampoline_kernelINS0_14default_configENS1_36segmented_radix_sort_config_selectorIalEEZNS1_25segmented_radix_sort_implIS3_Lb1EPKaPaPKlPlN2at6native12_GLOBAL__N_18offset_tEEE10hipError_tPvRmT1_PNSt15iterator_traitsISK_E10value_typeET2_T3_PNSL_ISQ_E10value_typeET4_jRbjT5_SW_jjP12ihipStream_tbEUlT_E_NS1_11comp_targetILNS1_3genE10ELNS1_11target_archE1200ELNS1_3gpuE4ELNS1_3repE0EEENS1_30default_config_static_selectorELNS0_4arch9wavefront6targetE0EEEvSK_.has_indirect_call, 0
	.section	.AMDGPU.csdata,"",@progbits
; Kernel info:
; codeLenInByte = 0
; TotalNumSgprs: 0
; NumVgprs: 0
; ScratchSize: 0
; MemoryBound: 0
; FloatMode: 240
; IeeeMode: 1
; LDSByteSize: 0 bytes/workgroup (compile time only)
; SGPRBlocks: 0
; VGPRBlocks: 0
; NumSGPRsForWavesPerEU: 1
; NumVGPRsForWavesPerEU: 1
; Occupancy: 16
; WaveLimiterHint : 0
; COMPUTE_PGM_RSRC2:SCRATCH_EN: 0
; COMPUTE_PGM_RSRC2:USER_SGPR: 2
; COMPUTE_PGM_RSRC2:TRAP_HANDLER: 0
; COMPUTE_PGM_RSRC2:TGID_X_EN: 1
; COMPUTE_PGM_RSRC2:TGID_Y_EN: 0
; COMPUTE_PGM_RSRC2:TGID_Z_EN: 0
; COMPUTE_PGM_RSRC2:TIDIG_COMP_CNT: 0
	.section	.text._ZN7rocprim17ROCPRIM_400000_NS6detail17trampoline_kernelINS0_14default_configENS1_36segmented_radix_sort_config_selectorIalEEZNS1_25segmented_radix_sort_implIS3_Lb1EPKaPaPKlPlN2at6native12_GLOBAL__N_18offset_tEEE10hipError_tPvRmT1_PNSt15iterator_traitsISK_E10value_typeET2_T3_PNSL_ISQ_E10value_typeET4_jRbjT5_SW_jjP12ihipStream_tbEUlT_E_NS1_11comp_targetILNS1_3genE9ELNS1_11target_archE1100ELNS1_3gpuE3ELNS1_3repE0EEENS1_30default_config_static_selectorELNS0_4arch9wavefront6targetE0EEEvSK_,"axG",@progbits,_ZN7rocprim17ROCPRIM_400000_NS6detail17trampoline_kernelINS0_14default_configENS1_36segmented_radix_sort_config_selectorIalEEZNS1_25segmented_radix_sort_implIS3_Lb1EPKaPaPKlPlN2at6native12_GLOBAL__N_18offset_tEEE10hipError_tPvRmT1_PNSt15iterator_traitsISK_E10value_typeET2_T3_PNSL_ISQ_E10value_typeET4_jRbjT5_SW_jjP12ihipStream_tbEUlT_E_NS1_11comp_targetILNS1_3genE9ELNS1_11target_archE1100ELNS1_3gpuE3ELNS1_3repE0EEENS1_30default_config_static_selectorELNS0_4arch9wavefront6targetE0EEEvSK_,comdat
	.globl	_ZN7rocprim17ROCPRIM_400000_NS6detail17trampoline_kernelINS0_14default_configENS1_36segmented_radix_sort_config_selectorIalEEZNS1_25segmented_radix_sort_implIS3_Lb1EPKaPaPKlPlN2at6native12_GLOBAL__N_18offset_tEEE10hipError_tPvRmT1_PNSt15iterator_traitsISK_E10value_typeET2_T3_PNSL_ISQ_E10value_typeET4_jRbjT5_SW_jjP12ihipStream_tbEUlT_E_NS1_11comp_targetILNS1_3genE9ELNS1_11target_archE1100ELNS1_3gpuE3ELNS1_3repE0EEENS1_30default_config_static_selectorELNS0_4arch9wavefront6targetE0EEEvSK_ ; -- Begin function _ZN7rocprim17ROCPRIM_400000_NS6detail17trampoline_kernelINS0_14default_configENS1_36segmented_radix_sort_config_selectorIalEEZNS1_25segmented_radix_sort_implIS3_Lb1EPKaPaPKlPlN2at6native12_GLOBAL__N_18offset_tEEE10hipError_tPvRmT1_PNSt15iterator_traitsISK_E10value_typeET2_T3_PNSL_ISQ_E10value_typeET4_jRbjT5_SW_jjP12ihipStream_tbEUlT_E_NS1_11comp_targetILNS1_3genE9ELNS1_11target_archE1100ELNS1_3gpuE3ELNS1_3repE0EEENS1_30default_config_static_selectorELNS0_4arch9wavefront6targetE0EEEvSK_
	.p2align	8
	.type	_ZN7rocprim17ROCPRIM_400000_NS6detail17trampoline_kernelINS0_14default_configENS1_36segmented_radix_sort_config_selectorIalEEZNS1_25segmented_radix_sort_implIS3_Lb1EPKaPaPKlPlN2at6native12_GLOBAL__N_18offset_tEEE10hipError_tPvRmT1_PNSt15iterator_traitsISK_E10value_typeET2_T3_PNSL_ISQ_E10value_typeET4_jRbjT5_SW_jjP12ihipStream_tbEUlT_E_NS1_11comp_targetILNS1_3genE9ELNS1_11target_archE1100ELNS1_3gpuE3ELNS1_3repE0EEENS1_30default_config_static_selectorELNS0_4arch9wavefront6targetE0EEEvSK_,@function
_ZN7rocprim17ROCPRIM_400000_NS6detail17trampoline_kernelINS0_14default_configENS1_36segmented_radix_sort_config_selectorIalEEZNS1_25segmented_radix_sort_implIS3_Lb1EPKaPaPKlPlN2at6native12_GLOBAL__N_18offset_tEEE10hipError_tPvRmT1_PNSt15iterator_traitsISK_E10value_typeET2_T3_PNSL_ISQ_E10value_typeET4_jRbjT5_SW_jjP12ihipStream_tbEUlT_E_NS1_11comp_targetILNS1_3genE9ELNS1_11target_archE1100ELNS1_3gpuE3ELNS1_3repE0EEENS1_30default_config_static_selectorELNS0_4arch9wavefront6targetE0EEEvSK_: ; @_ZN7rocprim17ROCPRIM_400000_NS6detail17trampoline_kernelINS0_14default_configENS1_36segmented_radix_sort_config_selectorIalEEZNS1_25segmented_radix_sort_implIS3_Lb1EPKaPaPKlPlN2at6native12_GLOBAL__N_18offset_tEEE10hipError_tPvRmT1_PNSt15iterator_traitsISK_E10value_typeET2_T3_PNSL_ISQ_E10value_typeET4_jRbjT5_SW_jjP12ihipStream_tbEUlT_E_NS1_11comp_targetILNS1_3genE9ELNS1_11target_archE1100ELNS1_3gpuE3ELNS1_3repE0EEENS1_30default_config_static_selectorELNS0_4arch9wavefront6targetE0EEEvSK_
; %bb.0:
	.section	.rodata,"a",@progbits
	.p2align	6, 0x0
	.amdhsa_kernel _ZN7rocprim17ROCPRIM_400000_NS6detail17trampoline_kernelINS0_14default_configENS1_36segmented_radix_sort_config_selectorIalEEZNS1_25segmented_radix_sort_implIS3_Lb1EPKaPaPKlPlN2at6native12_GLOBAL__N_18offset_tEEE10hipError_tPvRmT1_PNSt15iterator_traitsISK_E10value_typeET2_T3_PNSL_ISQ_E10value_typeET4_jRbjT5_SW_jjP12ihipStream_tbEUlT_E_NS1_11comp_targetILNS1_3genE9ELNS1_11target_archE1100ELNS1_3gpuE3ELNS1_3repE0EEENS1_30default_config_static_selectorELNS0_4arch9wavefront6targetE0EEEvSK_
		.amdhsa_group_segment_fixed_size 0
		.amdhsa_private_segment_fixed_size 0
		.amdhsa_kernarg_size 96
		.amdhsa_user_sgpr_count 2
		.amdhsa_user_sgpr_dispatch_ptr 0
		.amdhsa_user_sgpr_queue_ptr 0
		.amdhsa_user_sgpr_kernarg_segment_ptr 1
		.amdhsa_user_sgpr_dispatch_id 0
		.amdhsa_user_sgpr_private_segment_size 0
		.amdhsa_wavefront_size32 1
		.amdhsa_uses_dynamic_stack 0
		.amdhsa_enable_private_segment 0
		.amdhsa_system_sgpr_workgroup_id_x 1
		.amdhsa_system_sgpr_workgroup_id_y 0
		.amdhsa_system_sgpr_workgroup_id_z 0
		.amdhsa_system_sgpr_workgroup_info 0
		.amdhsa_system_vgpr_workitem_id 0
		.amdhsa_next_free_vgpr 1
		.amdhsa_next_free_sgpr 1
		.amdhsa_reserve_vcc 0
		.amdhsa_float_round_mode_32 0
		.amdhsa_float_round_mode_16_64 0
		.amdhsa_float_denorm_mode_32 3
		.amdhsa_float_denorm_mode_16_64 3
		.amdhsa_fp16_overflow 0
		.amdhsa_workgroup_processor_mode 1
		.amdhsa_memory_ordered 1
		.amdhsa_forward_progress 1
		.amdhsa_inst_pref_size 0
		.amdhsa_round_robin_scheduling 0
		.amdhsa_exception_fp_ieee_invalid_op 0
		.amdhsa_exception_fp_denorm_src 0
		.amdhsa_exception_fp_ieee_div_zero 0
		.amdhsa_exception_fp_ieee_overflow 0
		.amdhsa_exception_fp_ieee_underflow 0
		.amdhsa_exception_fp_ieee_inexact 0
		.amdhsa_exception_int_div_zero 0
	.end_amdhsa_kernel
	.section	.text._ZN7rocprim17ROCPRIM_400000_NS6detail17trampoline_kernelINS0_14default_configENS1_36segmented_radix_sort_config_selectorIalEEZNS1_25segmented_radix_sort_implIS3_Lb1EPKaPaPKlPlN2at6native12_GLOBAL__N_18offset_tEEE10hipError_tPvRmT1_PNSt15iterator_traitsISK_E10value_typeET2_T3_PNSL_ISQ_E10value_typeET4_jRbjT5_SW_jjP12ihipStream_tbEUlT_E_NS1_11comp_targetILNS1_3genE9ELNS1_11target_archE1100ELNS1_3gpuE3ELNS1_3repE0EEENS1_30default_config_static_selectorELNS0_4arch9wavefront6targetE0EEEvSK_,"axG",@progbits,_ZN7rocprim17ROCPRIM_400000_NS6detail17trampoline_kernelINS0_14default_configENS1_36segmented_radix_sort_config_selectorIalEEZNS1_25segmented_radix_sort_implIS3_Lb1EPKaPaPKlPlN2at6native12_GLOBAL__N_18offset_tEEE10hipError_tPvRmT1_PNSt15iterator_traitsISK_E10value_typeET2_T3_PNSL_ISQ_E10value_typeET4_jRbjT5_SW_jjP12ihipStream_tbEUlT_E_NS1_11comp_targetILNS1_3genE9ELNS1_11target_archE1100ELNS1_3gpuE3ELNS1_3repE0EEENS1_30default_config_static_selectorELNS0_4arch9wavefront6targetE0EEEvSK_,comdat
.Lfunc_end298:
	.size	_ZN7rocprim17ROCPRIM_400000_NS6detail17trampoline_kernelINS0_14default_configENS1_36segmented_radix_sort_config_selectorIalEEZNS1_25segmented_radix_sort_implIS3_Lb1EPKaPaPKlPlN2at6native12_GLOBAL__N_18offset_tEEE10hipError_tPvRmT1_PNSt15iterator_traitsISK_E10value_typeET2_T3_PNSL_ISQ_E10value_typeET4_jRbjT5_SW_jjP12ihipStream_tbEUlT_E_NS1_11comp_targetILNS1_3genE9ELNS1_11target_archE1100ELNS1_3gpuE3ELNS1_3repE0EEENS1_30default_config_static_selectorELNS0_4arch9wavefront6targetE0EEEvSK_, .Lfunc_end298-_ZN7rocprim17ROCPRIM_400000_NS6detail17trampoline_kernelINS0_14default_configENS1_36segmented_radix_sort_config_selectorIalEEZNS1_25segmented_radix_sort_implIS3_Lb1EPKaPaPKlPlN2at6native12_GLOBAL__N_18offset_tEEE10hipError_tPvRmT1_PNSt15iterator_traitsISK_E10value_typeET2_T3_PNSL_ISQ_E10value_typeET4_jRbjT5_SW_jjP12ihipStream_tbEUlT_E_NS1_11comp_targetILNS1_3genE9ELNS1_11target_archE1100ELNS1_3gpuE3ELNS1_3repE0EEENS1_30default_config_static_selectorELNS0_4arch9wavefront6targetE0EEEvSK_
                                        ; -- End function
	.set _ZN7rocprim17ROCPRIM_400000_NS6detail17trampoline_kernelINS0_14default_configENS1_36segmented_radix_sort_config_selectorIalEEZNS1_25segmented_radix_sort_implIS3_Lb1EPKaPaPKlPlN2at6native12_GLOBAL__N_18offset_tEEE10hipError_tPvRmT1_PNSt15iterator_traitsISK_E10value_typeET2_T3_PNSL_ISQ_E10value_typeET4_jRbjT5_SW_jjP12ihipStream_tbEUlT_E_NS1_11comp_targetILNS1_3genE9ELNS1_11target_archE1100ELNS1_3gpuE3ELNS1_3repE0EEENS1_30default_config_static_selectorELNS0_4arch9wavefront6targetE0EEEvSK_.num_vgpr, 0
	.set _ZN7rocprim17ROCPRIM_400000_NS6detail17trampoline_kernelINS0_14default_configENS1_36segmented_radix_sort_config_selectorIalEEZNS1_25segmented_radix_sort_implIS3_Lb1EPKaPaPKlPlN2at6native12_GLOBAL__N_18offset_tEEE10hipError_tPvRmT1_PNSt15iterator_traitsISK_E10value_typeET2_T3_PNSL_ISQ_E10value_typeET4_jRbjT5_SW_jjP12ihipStream_tbEUlT_E_NS1_11comp_targetILNS1_3genE9ELNS1_11target_archE1100ELNS1_3gpuE3ELNS1_3repE0EEENS1_30default_config_static_selectorELNS0_4arch9wavefront6targetE0EEEvSK_.num_agpr, 0
	.set _ZN7rocprim17ROCPRIM_400000_NS6detail17trampoline_kernelINS0_14default_configENS1_36segmented_radix_sort_config_selectorIalEEZNS1_25segmented_radix_sort_implIS3_Lb1EPKaPaPKlPlN2at6native12_GLOBAL__N_18offset_tEEE10hipError_tPvRmT1_PNSt15iterator_traitsISK_E10value_typeET2_T3_PNSL_ISQ_E10value_typeET4_jRbjT5_SW_jjP12ihipStream_tbEUlT_E_NS1_11comp_targetILNS1_3genE9ELNS1_11target_archE1100ELNS1_3gpuE3ELNS1_3repE0EEENS1_30default_config_static_selectorELNS0_4arch9wavefront6targetE0EEEvSK_.numbered_sgpr, 0
	.set _ZN7rocprim17ROCPRIM_400000_NS6detail17trampoline_kernelINS0_14default_configENS1_36segmented_radix_sort_config_selectorIalEEZNS1_25segmented_radix_sort_implIS3_Lb1EPKaPaPKlPlN2at6native12_GLOBAL__N_18offset_tEEE10hipError_tPvRmT1_PNSt15iterator_traitsISK_E10value_typeET2_T3_PNSL_ISQ_E10value_typeET4_jRbjT5_SW_jjP12ihipStream_tbEUlT_E_NS1_11comp_targetILNS1_3genE9ELNS1_11target_archE1100ELNS1_3gpuE3ELNS1_3repE0EEENS1_30default_config_static_selectorELNS0_4arch9wavefront6targetE0EEEvSK_.num_named_barrier, 0
	.set _ZN7rocprim17ROCPRIM_400000_NS6detail17trampoline_kernelINS0_14default_configENS1_36segmented_radix_sort_config_selectorIalEEZNS1_25segmented_radix_sort_implIS3_Lb1EPKaPaPKlPlN2at6native12_GLOBAL__N_18offset_tEEE10hipError_tPvRmT1_PNSt15iterator_traitsISK_E10value_typeET2_T3_PNSL_ISQ_E10value_typeET4_jRbjT5_SW_jjP12ihipStream_tbEUlT_E_NS1_11comp_targetILNS1_3genE9ELNS1_11target_archE1100ELNS1_3gpuE3ELNS1_3repE0EEENS1_30default_config_static_selectorELNS0_4arch9wavefront6targetE0EEEvSK_.private_seg_size, 0
	.set _ZN7rocprim17ROCPRIM_400000_NS6detail17trampoline_kernelINS0_14default_configENS1_36segmented_radix_sort_config_selectorIalEEZNS1_25segmented_radix_sort_implIS3_Lb1EPKaPaPKlPlN2at6native12_GLOBAL__N_18offset_tEEE10hipError_tPvRmT1_PNSt15iterator_traitsISK_E10value_typeET2_T3_PNSL_ISQ_E10value_typeET4_jRbjT5_SW_jjP12ihipStream_tbEUlT_E_NS1_11comp_targetILNS1_3genE9ELNS1_11target_archE1100ELNS1_3gpuE3ELNS1_3repE0EEENS1_30default_config_static_selectorELNS0_4arch9wavefront6targetE0EEEvSK_.uses_vcc, 0
	.set _ZN7rocprim17ROCPRIM_400000_NS6detail17trampoline_kernelINS0_14default_configENS1_36segmented_radix_sort_config_selectorIalEEZNS1_25segmented_radix_sort_implIS3_Lb1EPKaPaPKlPlN2at6native12_GLOBAL__N_18offset_tEEE10hipError_tPvRmT1_PNSt15iterator_traitsISK_E10value_typeET2_T3_PNSL_ISQ_E10value_typeET4_jRbjT5_SW_jjP12ihipStream_tbEUlT_E_NS1_11comp_targetILNS1_3genE9ELNS1_11target_archE1100ELNS1_3gpuE3ELNS1_3repE0EEENS1_30default_config_static_selectorELNS0_4arch9wavefront6targetE0EEEvSK_.uses_flat_scratch, 0
	.set _ZN7rocprim17ROCPRIM_400000_NS6detail17trampoline_kernelINS0_14default_configENS1_36segmented_radix_sort_config_selectorIalEEZNS1_25segmented_radix_sort_implIS3_Lb1EPKaPaPKlPlN2at6native12_GLOBAL__N_18offset_tEEE10hipError_tPvRmT1_PNSt15iterator_traitsISK_E10value_typeET2_T3_PNSL_ISQ_E10value_typeET4_jRbjT5_SW_jjP12ihipStream_tbEUlT_E_NS1_11comp_targetILNS1_3genE9ELNS1_11target_archE1100ELNS1_3gpuE3ELNS1_3repE0EEENS1_30default_config_static_selectorELNS0_4arch9wavefront6targetE0EEEvSK_.has_dyn_sized_stack, 0
	.set _ZN7rocprim17ROCPRIM_400000_NS6detail17trampoline_kernelINS0_14default_configENS1_36segmented_radix_sort_config_selectorIalEEZNS1_25segmented_radix_sort_implIS3_Lb1EPKaPaPKlPlN2at6native12_GLOBAL__N_18offset_tEEE10hipError_tPvRmT1_PNSt15iterator_traitsISK_E10value_typeET2_T3_PNSL_ISQ_E10value_typeET4_jRbjT5_SW_jjP12ihipStream_tbEUlT_E_NS1_11comp_targetILNS1_3genE9ELNS1_11target_archE1100ELNS1_3gpuE3ELNS1_3repE0EEENS1_30default_config_static_selectorELNS0_4arch9wavefront6targetE0EEEvSK_.has_recursion, 0
	.set _ZN7rocprim17ROCPRIM_400000_NS6detail17trampoline_kernelINS0_14default_configENS1_36segmented_radix_sort_config_selectorIalEEZNS1_25segmented_radix_sort_implIS3_Lb1EPKaPaPKlPlN2at6native12_GLOBAL__N_18offset_tEEE10hipError_tPvRmT1_PNSt15iterator_traitsISK_E10value_typeET2_T3_PNSL_ISQ_E10value_typeET4_jRbjT5_SW_jjP12ihipStream_tbEUlT_E_NS1_11comp_targetILNS1_3genE9ELNS1_11target_archE1100ELNS1_3gpuE3ELNS1_3repE0EEENS1_30default_config_static_selectorELNS0_4arch9wavefront6targetE0EEEvSK_.has_indirect_call, 0
	.section	.AMDGPU.csdata,"",@progbits
; Kernel info:
; codeLenInByte = 0
; TotalNumSgprs: 0
; NumVgprs: 0
; ScratchSize: 0
; MemoryBound: 0
; FloatMode: 240
; IeeeMode: 1
; LDSByteSize: 0 bytes/workgroup (compile time only)
; SGPRBlocks: 0
; VGPRBlocks: 0
; NumSGPRsForWavesPerEU: 1
; NumVGPRsForWavesPerEU: 1
; Occupancy: 16
; WaveLimiterHint : 0
; COMPUTE_PGM_RSRC2:SCRATCH_EN: 0
; COMPUTE_PGM_RSRC2:USER_SGPR: 2
; COMPUTE_PGM_RSRC2:TRAP_HANDLER: 0
; COMPUTE_PGM_RSRC2:TGID_X_EN: 1
; COMPUTE_PGM_RSRC2:TGID_Y_EN: 0
; COMPUTE_PGM_RSRC2:TGID_Z_EN: 0
; COMPUTE_PGM_RSRC2:TIDIG_COMP_CNT: 0
	.section	.text._ZN7rocprim17ROCPRIM_400000_NS6detail17trampoline_kernelINS0_14default_configENS1_36segmented_radix_sort_config_selectorIalEEZNS1_25segmented_radix_sort_implIS3_Lb1EPKaPaPKlPlN2at6native12_GLOBAL__N_18offset_tEEE10hipError_tPvRmT1_PNSt15iterator_traitsISK_E10value_typeET2_T3_PNSL_ISQ_E10value_typeET4_jRbjT5_SW_jjP12ihipStream_tbEUlT_E_NS1_11comp_targetILNS1_3genE8ELNS1_11target_archE1030ELNS1_3gpuE2ELNS1_3repE0EEENS1_30default_config_static_selectorELNS0_4arch9wavefront6targetE0EEEvSK_,"axG",@progbits,_ZN7rocprim17ROCPRIM_400000_NS6detail17trampoline_kernelINS0_14default_configENS1_36segmented_radix_sort_config_selectorIalEEZNS1_25segmented_radix_sort_implIS3_Lb1EPKaPaPKlPlN2at6native12_GLOBAL__N_18offset_tEEE10hipError_tPvRmT1_PNSt15iterator_traitsISK_E10value_typeET2_T3_PNSL_ISQ_E10value_typeET4_jRbjT5_SW_jjP12ihipStream_tbEUlT_E_NS1_11comp_targetILNS1_3genE8ELNS1_11target_archE1030ELNS1_3gpuE2ELNS1_3repE0EEENS1_30default_config_static_selectorELNS0_4arch9wavefront6targetE0EEEvSK_,comdat
	.globl	_ZN7rocprim17ROCPRIM_400000_NS6detail17trampoline_kernelINS0_14default_configENS1_36segmented_radix_sort_config_selectorIalEEZNS1_25segmented_radix_sort_implIS3_Lb1EPKaPaPKlPlN2at6native12_GLOBAL__N_18offset_tEEE10hipError_tPvRmT1_PNSt15iterator_traitsISK_E10value_typeET2_T3_PNSL_ISQ_E10value_typeET4_jRbjT5_SW_jjP12ihipStream_tbEUlT_E_NS1_11comp_targetILNS1_3genE8ELNS1_11target_archE1030ELNS1_3gpuE2ELNS1_3repE0EEENS1_30default_config_static_selectorELNS0_4arch9wavefront6targetE0EEEvSK_ ; -- Begin function _ZN7rocprim17ROCPRIM_400000_NS6detail17trampoline_kernelINS0_14default_configENS1_36segmented_radix_sort_config_selectorIalEEZNS1_25segmented_radix_sort_implIS3_Lb1EPKaPaPKlPlN2at6native12_GLOBAL__N_18offset_tEEE10hipError_tPvRmT1_PNSt15iterator_traitsISK_E10value_typeET2_T3_PNSL_ISQ_E10value_typeET4_jRbjT5_SW_jjP12ihipStream_tbEUlT_E_NS1_11comp_targetILNS1_3genE8ELNS1_11target_archE1030ELNS1_3gpuE2ELNS1_3repE0EEENS1_30default_config_static_selectorELNS0_4arch9wavefront6targetE0EEEvSK_
	.p2align	8
	.type	_ZN7rocprim17ROCPRIM_400000_NS6detail17trampoline_kernelINS0_14default_configENS1_36segmented_radix_sort_config_selectorIalEEZNS1_25segmented_radix_sort_implIS3_Lb1EPKaPaPKlPlN2at6native12_GLOBAL__N_18offset_tEEE10hipError_tPvRmT1_PNSt15iterator_traitsISK_E10value_typeET2_T3_PNSL_ISQ_E10value_typeET4_jRbjT5_SW_jjP12ihipStream_tbEUlT_E_NS1_11comp_targetILNS1_3genE8ELNS1_11target_archE1030ELNS1_3gpuE2ELNS1_3repE0EEENS1_30default_config_static_selectorELNS0_4arch9wavefront6targetE0EEEvSK_,@function
_ZN7rocprim17ROCPRIM_400000_NS6detail17trampoline_kernelINS0_14default_configENS1_36segmented_radix_sort_config_selectorIalEEZNS1_25segmented_radix_sort_implIS3_Lb1EPKaPaPKlPlN2at6native12_GLOBAL__N_18offset_tEEE10hipError_tPvRmT1_PNSt15iterator_traitsISK_E10value_typeET2_T3_PNSL_ISQ_E10value_typeET4_jRbjT5_SW_jjP12ihipStream_tbEUlT_E_NS1_11comp_targetILNS1_3genE8ELNS1_11target_archE1030ELNS1_3gpuE2ELNS1_3repE0EEENS1_30default_config_static_selectorELNS0_4arch9wavefront6targetE0EEEvSK_: ; @_ZN7rocprim17ROCPRIM_400000_NS6detail17trampoline_kernelINS0_14default_configENS1_36segmented_radix_sort_config_selectorIalEEZNS1_25segmented_radix_sort_implIS3_Lb1EPKaPaPKlPlN2at6native12_GLOBAL__N_18offset_tEEE10hipError_tPvRmT1_PNSt15iterator_traitsISK_E10value_typeET2_T3_PNSL_ISQ_E10value_typeET4_jRbjT5_SW_jjP12ihipStream_tbEUlT_E_NS1_11comp_targetILNS1_3genE8ELNS1_11target_archE1030ELNS1_3gpuE2ELNS1_3repE0EEENS1_30default_config_static_selectorELNS0_4arch9wavefront6targetE0EEEvSK_
; %bb.0:
	.section	.rodata,"a",@progbits
	.p2align	6, 0x0
	.amdhsa_kernel _ZN7rocprim17ROCPRIM_400000_NS6detail17trampoline_kernelINS0_14default_configENS1_36segmented_radix_sort_config_selectorIalEEZNS1_25segmented_radix_sort_implIS3_Lb1EPKaPaPKlPlN2at6native12_GLOBAL__N_18offset_tEEE10hipError_tPvRmT1_PNSt15iterator_traitsISK_E10value_typeET2_T3_PNSL_ISQ_E10value_typeET4_jRbjT5_SW_jjP12ihipStream_tbEUlT_E_NS1_11comp_targetILNS1_3genE8ELNS1_11target_archE1030ELNS1_3gpuE2ELNS1_3repE0EEENS1_30default_config_static_selectorELNS0_4arch9wavefront6targetE0EEEvSK_
		.amdhsa_group_segment_fixed_size 0
		.amdhsa_private_segment_fixed_size 0
		.amdhsa_kernarg_size 96
		.amdhsa_user_sgpr_count 2
		.amdhsa_user_sgpr_dispatch_ptr 0
		.amdhsa_user_sgpr_queue_ptr 0
		.amdhsa_user_sgpr_kernarg_segment_ptr 1
		.amdhsa_user_sgpr_dispatch_id 0
		.amdhsa_user_sgpr_private_segment_size 0
		.amdhsa_wavefront_size32 1
		.amdhsa_uses_dynamic_stack 0
		.amdhsa_enable_private_segment 0
		.amdhsa_system_sgpr_workgroup_id_x 1
		.amdhsa_system_sgpr_workgroup_id_y 0
		.amdhsa_system_sgpr_workgroup_id_z 0
		.amdhsa_system_sgpr_workgroup_info 0
		.amdhsa_system_vgpr_workitem_id 0
		.amdhsa_next_free_vgpr 1
		.amdhsa_next_free_sgpr 1
		.amdhsa_reserve_vcc 0
		.amdhsa_float_round_mode_32 0
		.amdhsa_float_round_mode_16_64 0
		.amdhsa_float_denorm_mode_32 3
		.amdhsa_float_denorm_mode_16_64 3
		.amdhsa_fp16_overflow 0
		.amdhsa_workgroup_processor_mode 1
		.amdhsa_memory_ordered 1
		.amdhsa_forward_progress 1
		.amdhsa_inst_pref_size 0
		.amdhsa_round_robin_scheduling 0
		.amdhsa_exception_fp_ieee_invalid_op 0
		.amdhsa_exception_fp_denorm_src 0
		.amdhsa_exception_fp_ieee_div_zero 0
		.amdhsa_exception_fp_ieee_overflow 0
		.amdhsa_exception_fp_ieee_underflow 0
		.amdhsa_exception_fp_ieee_inexact 0
		.amdhsa_exception_int_div_zero 0
	.end_amdhsa_kernel
	.section	.text._ZN7rocprim17ROCPRIM_400000_NS6detail17trampoline_kernelINS0_14default_configENS1_36segmented_radix_sort_config_selectorIalEEZNS1_25segmented_radix_sort_implIS3_Lb1EPKaPaPKlPlN2at6native12_GLOBAL__N_18offset_tEEE10hipError_tPvRmT1_PNSt15iterator_traitsISK_E10value_typeET2_T3_PNSL_ISQ_E10value_typeET4_jRbjT5_SW_jjP12ihipStream_tbEUlT_E_NS1_11comp_targetILNS1_3genE8ELNS1_11target_archE1030ELNS1_3gpuE2ELNS1_3repE0EEENS1_30default_config_static_selectorELNS0_4arch9wavefront6targetE0EEEvSK_,"axG",@progbits,_ZN7rocprim17ROCPRIM_400000_NS6detail17trampoline_kernelINS0_14default_configENS1_36segmented_radix_sort_config_selectorIalEEZNS1_25segmented_radix_sort_implIS3_Lb1EPKaPaPKlPlN2at6native12_GLOBAL__N_18offset_tEEE10hipError_tPvRmT1_PNSt15iterator_traitsISK_E10value_typeET2_T3_PNSL_ISQ_E10value_typeET4_jRbjT5_SW_jjP12ihipStream_tbEUlT_E_NS1_11comp_targetILNS1_3genE8ELNS1_11target_archE1030ELNS1_3gpuE2ELNS1_3repE0EEENS1_30default_config_static_selectorELNS0_4arch9wavefront6targetE0EEEvSK_,comdat
.Lfunc_end299:
	.size	_ZN7rocprim17ROCPRIM_400000_NS6detail17trampoline_kernelINS0_14default_configENS1_36segmented_radix_sort_config_selectorIalEEZNS1_25segmented_radix_sort_implIS3_Lb1EPKaPaPKlPlN2at6native12_GLOBAL__N_18offset_tEEE10hipError_tPvRmT1_PNSt15iterator_traitsISK_E10value_typeET2_T3_PNSL_ISQ_E10value_typeET4_jRbjT5_SW_jjP12ihipStream_tbEUlT_E_NS1_11comp_targetILNS1_3genE8ELNS1_11target_archE1030ELNS1_3gpuE2ELNS1_3repE0EEENS1_30default_config_static_selectorELNS0_4arch9wavefront6targetE0EEEvSK_, .Lfunc_end299-_ZN7rocprim17ROCPRIM_400000_NS6detail17trampoline_kernelINS0_14default_configENS1_36segmented_radix_sort_config_selectorIalEEZNS1_25segmented_radix_sort_implIS3_Lb1EPKaPaPKlPlN2at6native12_GLOBAL__N_18offset_tEEE10hipError_tPvRmT1_PNSt15iterator_traitsISK_E10value_typeET2_T3_PNSL_ISQ_E10value_typeET4_jRbjT5_SW_jjP12ihipStream_tbEUlT_E_NS1_11comp_targetILNS1_3genE8ELNS1_11target_archE1030ELNS1_3gpuE2ELNS1_3repE0EEENS1_30default_config_static_selectorELNS0_4arch9wavefront6targetE0EEEvSK_
                                        ; -- End function
	.set _ZN7rocprim17ROCPRIM_400000_NS6detail17trampoline_kernelINS0_14default_configENS1_36segmented_radix_sort_config_selectorIalEEZNS1_25segmented_radix_sort_implIS3_Lb1EPKaPaPKlPlN2at6native12_GLOBAL__N_18offset_tEEE10hipError_tPvRmT1_PNSt15iterator_traitsISK_E10value_typeET2_T3_PNSL_ISQ_E10value_typeET4_jRbjT5_SW_jjP12ihipStream_tbEUlT_E_NS1_11comp_targetILNS1_3genE8ELNS1_11target_archE1030ELNS1_3gpuE2ELNS1_3repE0EEENS1_30default_config_static_selectorELNS0_4arch9wavefront6targetE0EEEvSK_.num_vgpr, 0
	.set _ZN7rocprim17ROCPRIM_400000_NS6detail17trampoline_kernelINS0_14default_configENS1_36segmented_radix_sort_config_selectorIalEEZNS1_25segmented_radix_sort_implIS3_Lb1EPKaPaPKlPlN2at6native12_GLOBAL__N_18offset_tEEE10hipError_tPvRmT1_PNSt15iterator_traitsISK_E10value_typeET2_T3_PNSL_ISQ_E10value_typeET4_jRbjT5_SW_jjP12ihipStream_tbEUlT_E_NS1_11comp_targetILNS1_3genE8ELNS1_11target_archE1030ELNS1_3gpuE2ELNS1_3repE0EEENS1_30default_config_static_selectorELNS0_4arch9wavefront6targetE0EEEvSK_.num_agpr, 0
	.set _ZN7rocprim17ROCPRIM_400000_NS6detail17trampoline_kernelINS0_14default_configENS1_36segmented_radix_sort_config_selectorIalEEZNS1_25segmented_radix_sort_implIS3_Lb1EPKaPaPKlPlN2at6native12_GLOBAL__N_18offset_tEEE10hipError_tPvRmT1_PNSt15iterator_traitsISK_E10value_typeET2_T3_PNSL_ISQ_E10value_typeET4_jRbjT5_SW_jjP12ihipStream_tbEUlT_E_NS1_11comp_targetILNS1_3genE8ELNS1_11target_archE1030ELNS1_3gpuE2ELNS1_3repE0EEENS1_30default_config_static_selectorELNS0_4arch9wavefront6targetE0EEEvSK_.numbered_sgpr, 0
	.set _ZN7rocprim17ROCPRIM_400000_NS6detail17trampoline_kernelINS0_14default_configENS1_36segmented_radix_sort_config_selectorIalEEZNS1_25segmented_radix_sort_implIS3_Lb1EPKaPaPKlPlN2at6native12_GLOBAL__N_18offset_tEEE10hipError_tPvRmT1_PNSt15iterator_traitsISK_E10value_typeET2_T3_PNSL_ISQ_E10value_typeET4_jRbjT5_SW_jjP12ihipStream_tbEUlT_E_NS1_11comp_targetILNS1_3genE8ELNS1_11target_archE1030ELNS1_3gpuE2ELNS1_3repE0EEENS1_30default_config_static_selectorELNS0_4arch9wavefront6targetE0EEEvSK_.num_named_barrier, 0
	.set _ZN7rocprim17ROCPRIM_400000_NS6detail17trampoline_kernelINS0_14default_configENS1_36segmented_radix_sort_config_selectorIalEEZNS1_25segmented_radix_sort_implIS3_Lb1EPKaPaPKlPlN2at6native12_GLOBAL__N_18offset_tEEE10hipError_tPvRmT1_PNSt15iterator_traitsISK_E10value_typeET2_T3_PNSL_ISQ_E10value_typeET4_jRbjT5_SW_jjP12ihipStream_tbEUlT_E_NS1_11comp_targetILNS1_3genE8ELNS1_11target_archE1030ELNS1_3gpuE2ELNS1_3repE0EEENS1_30default_config_static_selectorELNS0_4arch9wavefront6targetE0EEEvSK_.private_seg_size, 0
	.set _ZN7rocprim17ROCPRIM_400000_NS6detail17trampoline_kernelINS0_14default_configENS1_36segmented_radix_sort_config_selectorIalEEZNS1_25segmented_radix_sort_implIS3_Lb1EPKaPaPKlPlN2at6native12_GLOBAL__N_18offset_tEEE10hipError_tPvRmT1_PNSt15iterator_traitsISK_E10value_typeET2_T3_PNSL_ISQ_E10value_typeET4_jRbjT5_SW_jjP12ihipStream_tbEUlT_E_NS1_11comp_targetILNS1_3genE8ELNS1_11target_archE1030ELNS1_3gpuE2ELNS1_3repE0EEENS1_30default_config_static_selectorELNS0_4arch9wavefront6targetE0EEEvSK_.uses_vcc, 0
	.set _ZN7rocprim17ROCPRIM_400000_NS6detail17trampoline_kernelINS0_14default_configENS1_36segmented_radix_sort_config_selectorIalEEZNS1_25segmented_radix_sort_implIS3_Lb1EPKaPaPKlPlN2at6native12_GLOBAL__N_18offset_tEEE10hipError_tPvRmT1_PNSt15iterator_traitsISK_E10value_typeET2_T3_PNSL_ISQ_E10value_typeET4_jRbjT5_SW_jjP12ihipStream_tbEUlT_E_NS1_11comp_targetILNS1_3genE8ELNS1_11target_archE1030ELNS1_3gpuE2ELNS1_3repE0EEENS1_30default_config_static_selectorELNS0_4arch9wavefront6targetE0EEEvSK_.uses_flat_scratch, 0
	.set _ZN7rocprim17ROCPRIM_400000_NS6detail17trampoline_kernelINS0_14default_configENS1_36segmented_radix_sort_config_selectorIalEEZNS1_25segmented_radix_sort_implIS3_Lb1EPKaPaPKlPlN2at6native12_GLOBAL__N_18offset_tEEE10hipError_tPvRmT1_PNSt15iterator_traitsISK_E10value_typeET2_T3_PNSL_ISQ_E10value_typeET4_jRbjT5_SW_jjP12ihipStream_tbEUlT_E_NS1_11comp_targetILNS1_3genE8ELNS1_11target_archE1030ELNS1_3gpuE2ELNS1_3repE0EEENS1_30default_config_static_selectorELNS0_4arch9wavefront6targetE0EEEvSK_.has_dyn_sized_stack, 0
	.set _ZN7rocprim17ROCPRIM_400000_NS6detail17trampoline_kernelINS0_14default_configENS1_36segmented_radix_sort_config_selectorIalEEZNS1_25segmented_radix_sort_implIS3_Lb1EPKaPaPKlPlN2at6native12_GLOBAL__N_18offset_tEEE10hipError_tPvRmT1_PNSt15iterator_traitsISK_E10value_typeET2_T3_PNSL_ISQ_E10value_typeET4_jRbjT5_SW_jjP12ihipStream_tbEUlT_E_NS1_11comp_targetILNS1_3genE8ELNS1_11target_archE1030ELNS1_3gpuE2ELNS1_3repE0EEENS1_30default_config_static_selectorELNS0_4arch9wavefront6targetE0EEEvSK_.has_recursion, 0
	.set _ZN7rocprim17ROCPRIM_400000_NS6detail17trampoline_kernelINS0_14default_configENS1_36segmented_radix_sort_config_selectorIalEEZNS1_25segmented_radix_sort_implIS3_Lb1EPKaPaPKlPlN2at6native12_GLOBAL__N_18offset_tEEE10hipError_tPvRmT1_PNSt15iterator_traitsISK_E10value_typeET2_T3_PNSL_ISQ_E10value_typeET4_jRbjT5_SW_jjP12ihipStream_tbEUlT_E_NS1_11comp_targetILNS1_3genE8ELNS1_11target_archE1030ELNS1_3gpuE2ELNS1_3repE0EEENS1_30default_config_static_selectorELNS0_4arch9wavefront6targetE0EEEvSK_.has_indirect_call, 0
	.section	.AMDGPU.csdata,"",@progbits
; Kernel info:
; codeLenInByte = 0
; TotalNumSgprs: 0
; NumVgprs: 0
; ScratchSize: 0
; MemoryBound: 0
; FloatMode: 240
; IeeeMode: 1
; LDSByteSize: 0 bytes/workgroup (compile time only)
; SGPRBlocks: 0
; VGPRBlocks: 0
; NumSGPRsForWavesPerEU: 1
; NumVGPRsForWavesPerEU: 1
; Occupancy: 16
; WaveLimiterHint : 0
; COMPUTE_PGM_RSRC2:SCRATCH_EN: 0
; COMPUTE_PGM_RSRC2:USER_SGPR: 2
; COMPUTE_PGM_RSRC2:TRAP_HANDLER: 0
; COMPUTE_PGM_RSRC2:TGID_X_EN: 1
; COMPUTE_PGM_RSRC2:TGID_Y_EN: 0
; COMPUTE_PGM_RSRC2:TGID_Z_EN: 0
; COMPUTE_PGM_RSRC2:TIDIG_COMP_CNT: 0
	.section	.text._ZN7rocprim17ROCPRIM_400000_NS6detail17trampoline_kernelINS0_14default_configENS1_36segmented_radix_sort_config_selectorIalEEZNS1_25segmented_radix_sort_implIS3_Lb1EPKaPaPKlPlN2at6native12_GLOBAL__N_18offset_tEEE10hipError_tPvRmT1_PNSt15iterator_traitsISK_E10value_typeET2_T3_PNSL_ISQ_E10value_typeET4_jRbjT5_SW_jjP12ihipStream_tbEUlT_E0_NS1_11comp_targetILNS1_3genE0ELNS1_11target_archE4294967295ELNS1_3gpuE0ELNS1_3repE0EEENS1_60segmented_radix_sort_warp_sort_medium_config_static_selectorELNS0_4arch9wavefront6targetE0EEEvSK_,"axG",@progbits,_ZN7rocprim17ROCPRIM_400000_NS6detail17trampoline_kernelINS0_14default_configENS1_36segmented_radix_sort_config_selectorIalEEZNS1_25segmented_radix_sort_implIS3_Lb1EPKaPaPKlPlN2at6native12_GLOBAL__N_18offset_tEEE10hipError_tPvRmT1_PNSt15iterator_traitsISK_E10value_typeET2_T3_PNSL_ISQ_E10value_typeET4_jRbjT5_SW_jjP12ihipStream_tbEUlT_E0_NS1_11comp_targetILNS1_3genE0ELNS1_11target_archE4294967295ELNS1_3gpuE0ELNS1_3repE0EEENS1_60segmented_radix_sort_warp_sort_medium_config_static_selectorELNS0_4arch9wavefront6targetE0EEEvSK_,comdat
	.globl	_ZN7rocprim17ROCPRIM_400000_NS6detail17trampoline_kernelINS0_14default_configENS1_36segmented_radix_sort_config_selectorIalEEZNS1_25segmented_radix_sort_implIS3_Lb1EPKaPaPKlPlN2at6native12_GLOBAL__N_18offset_tEEE10hipError_tPvRmT1_PNSt15iterator_traitsISK_E10value_typeET2_T3_PNSL_ISQ_E10value_typeET4_jRbjT5_SW_jjP12ihipStream_tbEUlT_E0_NS1_11comp_targetILNS1_3genE0ELNS1_11target_archE4294967295ELNS1_3gpuE0ELNS1_3repE0EEENS1_60segmented_radix_sort_warp_sort_medium_config_static_selectorELNS0_4arch9wavefront6targetE0EEEvSK_ ; -- Begin function _ZN7rocprim17ROCPRIM_400000_NS6detail17trampoline_kernelINS0_14default_configENS1_36segmented_radix_sort_config_selectorIalEEZNS1_25segmented_radix_sort_implIS3_Lb1EPKaPaPKlPlN2at6native12_GLOBAL__N_18offset_tEEE10hipError_tPvRmT1_PNSt15iterator_traitsISK_E10value_typeET2_T3_PNSL_ISQ_E10value_typeET4_jRbjT5_SW_jjP12ihipStream_tbEUlT_E0_NS1_11comp_targetILNS1_3genE0ELNS1_11target_archE4294967295ELNS1_3gpuE0ELNS1_3repE0EEENS1_60segmented_radix_sort_warp_sort_medium_config_static_selectorELNS0_4arch9wavefront6targetE0EEEvSK_
	.p2align	8
	.type	_ZN7rocprim17ROCPRIM_400000_NS6detail17trampoline_kernelINS0_14default_configENS1_36segmented_radix_sort_config_selectorIalEEZNS1_25segmented_radix_sort_implIS3_Lb1EPKaPaPKlPlN2at6native12_GLOBAL__N_18offset_tEEE10hipError_tPvRmT1_PNSt15iterator_traitsISK_E10value_typeET2_T3_PNSL_ISQ_E10value_typeET4_jRbjT5_SW_jjP12ihipStream_tbEUlT_E0_NS1_11comp_targetILNS1_3genE0ELNS1_11target_archE4294967295ELNS1_3gpuE0ELNS1_3repE0EEENS1_60segmented_radix_sort_warp_sort_medium_config_static_selectorELNS0_4arch9wavefront6targetE0EEEvSK_,@function
_ZN7rocprim17ROCPRIM_400000_NS6detail17trampoline_kernelINS0_14default_configENS1_36segmented_radix_sort_config_selectorIalEEZNS1_25segmented_radix_sort_implIS3_Lb1EPKaPaPKlPlN2at6native12_GLOBAL__N_18offset_tEEE10hipError_tPvRmT1_PNSt15iterator_traitsISK_E10value_typeET2_T3_PNSL_ISQ_E10value_typeET4_jRbjT5_SW_jjP12ihipStream_tbEUlT_E0_NS1_11comp_targetILNS1_3genE0ELNS1_11target_archE4294967295ELNS1_3gpuE0ELNS1_3repE0EEENS1_60segmented_radix_sort_warp_sort_medium_config_static_selectorELNS0_4arch9wavefront6targetE0EEEvSK_: ; @_ZN7rocprim17ROCPRIM_400000_NS6detail17trampoline_kernelINS0_14default_configENS1_36segmented_radix_sort_config_selectorIalEEZNS1_25segmented_radix_sort_implIS3_Lb1EPKaPaPKlPlN2at6native12_GLOBAL__N_18offset_tEEE10hipError_tPvRmT1_PNSt15iterator_traitsISK_E10value_typeET2_T3_PNSL_ISQ_E10value_typeET4_jRbjT5_SW_jjP12ihipStream_tbEUlT_E0_NS1_11comp_targetILNS1_3genE0ELNS1_11target_archE4294967295ELNS1_3gpuE0ELNS1_3repE0EEENS1_60segmented_radix_sort_warp_sort_medium_config_static_selectorELNS0_4arch9wavefront6targetE0EEEvSK_
; %bb.0:
	.section	.rodata,"a",@progbits
	.p2align	6, 0x0
	.amdhsa_kernel _ZN7rocprim17ROCPRIM_400000_NS6detail17trampoline_kernelINS0_14default_configENS1_36segmented_radix_sort_config_selectorIalEEZNS1_25segmented_radix_sort_implIS3_Lb1EPKaPaPKlPlN2at6native12_GLOBAL__N_18offset_tEEE10hipError_tPvRmT1_PNSt15iterator_traitsISK_E10value_typeET2_T3_PNSL_ISQ_E10value_typeET4_jRbjT5_SW_jjP12ihipStream_tbEUlT_E0_NS1_11comp_targetILNS1_3genE0ELNS1_11target_archE4294967295ELNS1_3gpuE0ELNS1_3repE0EEENS1_60segmented_radix_sort_warp_sort_medium_config_static_selectorELNS0_4arch9wavefront6targetE0EEEvSK_
		.amdhsa_group_segment_fixed_size 0
		.amdhsa_private_segment_fixed_size 0
		.amdhsa_kernarg_size 88
		.amdhsa_user_sgpr_count 2
		.amdhsa_user_sgpr_dispatch_ptr 0
		.amdhsa_user_sgpr_queue_ptr 0
		.amdhsa_user_sgpr_kernarg_segment_ptr 1
		.amdhsa_user_sgpr_dispatch_id 0
		.amdhsa_user_sgpr_private_segment_size 0
		.amdhsa_wavefront_size32 1
		.amdhsa_uses_dynamic_stack 0
		.amdhsa_enable_private_segment 0
		.amdhsa_system_sgpr_workgroup_id_x 1
		.amdhsa_system_sgpr_workgroup_id_y 0
		.amdhsa_system_sgpr_workgroup_id_z 0
		.amdhsa_system_sgpr_workgroup_info 0
		.amdhsa_system_vgpr_workitem_id 0
		.amdhsa_next_free_vgpr 1
		.amdhsa_next_free_sgpr 1
		.amdhsa_reserve_vcc 0
		.amdhsa_float_round_mode_32 0
		.amdhsa_float_round_mode_16_64 0
		.amdhsa_float_denorm_mode_32 3
		.amdhsa_float_denorm_mode_16_64 3
		.amdhsa_fp16_overflow 0
		.amdhsa_workgroup_processor_mode 1
		.amdhsa_memory_ordered 1
		.amdhsa_forward_progress 1
		.amdhsa_inst_pref_size 0
		.amdhsa_round_robin_scheduling 0
		.amdhsa_exception_fp_ieee_invalid_op 0
		.amdhsa_exception_fp_denorm_src 0
		.amdhsa_exception_fp_ieee_div_zero 0
		.amdhsa_exception_fp_ieee_overflow 0
		.amdhsa_exception_fp_ieee_underflow 0
		.amdhsa_exception_fp_ieee_inexact 0
		.amdhsa_exception_int_div_zero 0
	.end_amdhsa_kernel
	.section	.text._ZN7rocprim17ROCPRIM_400000_NS6detail17trampoline_kernelINS0_14default_configENS1_36segmented_radix_sort_config_selectorIalEEZNS1_25segmented_radix_sort_implIS3_Lb1EPKaPaPKlPlN2at6native12_GLOBAL__N_18offset_tEEE10hipError_tPvRmT1_PNSt15iterator_traitsISK_E10value_typeET2_T3_PNSL_ISQ_E10value_typeET4_jRbjT5_SW_jjP12ihipStream_tbEUlT_E0_NS1_11comp_targetILNS1_3genE0ELNS1_11target_archE4294967295ELNS1_3gpuE0ELNS1_3repE0EEENS1_60segmented_radix_sort_warp_sort_medium_config_static_selectorELNS0_4arch9wavefront6targetE0EEEvSK_,"axG",@progbits,_ZN7rocprim17ROCPRIM_400000_NS6detail17trampoline_kernelINS0_14default_configENS1_36segmented_radix_sort_config_selectorIalEEZNS1_25segmented_radix_sort_implIS3_Lb1EPKaPaPKlPlN2at6native12_GLOBAL__N_18offset_tEEE10hipError_tPvRmT1_PNSt15iterator_traitsISK_E10value_typeET2_T3_PNSL_ISQ_E10value_typeET4_jRbjT5_SW_jjP12ihipStream_tbEUlT_E0_NS1_11comp_targetILNS1_3genE0ELNS1_11target_archE4294967295ELNS1_3gpuE0ELNS1_3repE0EEENS1_60segmented_radix_sort_warp_sort_medium_config_static_selectorELNS0_4arch9wavefront6targetE0EEEvSK_,comdat
.Lfunc_end300:
	.size	_ZN7rocprim17ROCPRIM_400000_NS6detail17trampoline_kernelINS0_14default_configENS1_36segmented_radix_sort_config_selectorIalEEZNS1_25segmented_radix_sort_implIS3_Lb1EPKaPaPKlPlN2at6native12_GLOBAL__N_18offset_tEEE10hipError_tPvRmT1_PNSt15iterator_traitsISK_E10value_typeET2_T3_PNSL_ISQ_E10value_typeET4_jRbjT5_SW_jjP12ihipStream_tbEUlT_E0_NS1_11comp_targetILNS1_3genE0ELNS1_11target_archE4294967295ELNS1_3gpuE0ELNS1_3repE0EEENS1_60segmented_radix_sort_warp_sort_medium_config_static_selectorELNS0_4arch9wavefront6targetE0EEEvSK_, .Lfunc_end300-_ZN7rocprim17ROCPRIM_400000_NS6detail17trampoline_kernelINS0_14default_configENS1_36segmented_radix_sort_config_selectorIalEEZNS1_25segmented_radix_sort_implIS3_Lb1EPKaPaPKlPlN2at6native12_GLOBAL__N_18offset_tEEE10hipError_tPvRmT1_PNSt15iterator_traitsISK_E10value_typeET2_T3_PNSL_ISQ_E10value_typeET4_jRbjT5_SW_jjP12ihipStream_tbEUlT_E0_NS1_11comp_targetILNS1_3genE0ELNS1_11target_archE4294967295ELNS1_3gpuE0ELNS1_3repE0EEENS1_60segmented_radix_sort_warp_sort_medium_config_static_selectorELNS0_4arch9wavefront6targetE0EEEvSK_
                                        ; -- End function
	.set _ZN7rocprim17ROCPRIM_400000_NS6detail17trampoline_kernelINS0_14default_configENS1_36segmented_radix_sort_config_selectorIalEEZNS1_25segmented_radix_sort_implIS3_Lb1EPKaPaPKlPlN2at6native12_GLOBAL__N_18offset_tEEE10hipError_tPvRmT1_PNSt15iterator_traitsISK_E10value_typeET2_T3_PNSL_ISQ_E10value_typeET4_jRbjT5_SW_jjP12ihipStream_tbEUlT_E0_NS1_11comp_targetILNS1_3genE0ELNS1_11target_archE4294967295ELNS1_3gpuE0ELNS1_3repE0EEENS1_60segmented_radix_sort_warp_sort_medium_config_static_selectorELNS0_4arch9wavefront6targetE0EEEvSK_.num_vgpr, 0
	.set _ZN7rocprim17ROCPRIM_400000_NS6detail17trampoline_kernelINS0_14default_configENS1_36segmented_radix_sort_config_selectorIalEEZNS1_25segmented_radix_sort_implIS3_Lb1EPKaPaPKlPlN2at6native12_GLOBAL__N_18offset_tEEE10hipError_tPvRmT1_PNSt15iterator_traitsISK_E10value_typeET2_T3_PNSL_ISQ_E10value_typeET4_jRbjT5_SW_jjP12ihipStream_tbEUlT_E0_NS1_11comp_targetILNS1_3genE0ELNS1_11target_archE4294967295ELNS1_3gpuE0ELNS1_3repE0EEENS1_60segmented_radix_sort_warp_sort_medium_config_static_selectorELNS0_4arch9wavefront6targetE0EEEvSK_.num_agpr, 0
	.set _ZN7rocprim17ROCPRIM_400000_NS6detail17trampoline_kernelINS0_14default_configENS1_36segmented_radix_sort_config_selectorIalEEZNS1_25segmented_radix_sort_implIS3_Lb1EPKaPaPKlPlN2at6native12_GLOBAL__N_18offset_tEEE10hipError_tPvRmT1_PNSt15iterator_traitsISK_E10value_typeET2_T3_PNSL_ISQ_E10value_typeET4_jRbjT5_SW_jjP12ihipStream_tbEUlT_E0_NS1_11comp_targetILNS1_3genE0ELNS1_11target_archE4294967295ELNS1_3gpuE0ELNS1_3repE0EEENS1_60segmented_radix_sort_warp_sort_medium_config_static_selectorELNS0_4arch9wavefront6targetE0EEEvSK_.numbered_sgpr, 0
	.set _ZN7rocprim17ROCPRIM_400000_NS6detail17trampoline_kernelINS0_14default_configENS1_36segmented_radix_sort_config_selectorIalEEZNS1_25segmented_radix_sort_implIS3_Lb1EPKaPaPKlPlN2at6native12_GLOBAL__N_18offset_tEEE10hipError_tPvRmT1_PNSt15iterator_traitsISK_E10value_typeET2_T3_PNSL_ISQ_E10value_typeET4_jRbjT5_SW_jjP12ihipStream_tbEUlT_E0_NS1_11comp_targetILNS1_3genE0ELNS1_11target_archE4294967295ELNS1_3gpuE0ELNS1_3repE0EEENS1_60segmented_radix_sort_warp_sort_medium_config_static_selectorELNS0_4arch9wavefront6targetE0EEEvSK_.num_named_barrier, 0
	.set _ZN7rocprim17ROCPRIM_400000_NS6detail17trampoline_kernelINS0_14default_configENS1_36segmented_radix_sort_config_selectorIalEEZNS1_25segmented_radix_sort_implIS3_Lb1EPKaPaPKlPlN2at6native12_GLOBAL__N_18offset_tEEE10hipError_tPvRmT1_PNSt15iterator_traitsISK_E10value_typeET2_T3_PNSL_ISQ_E10value_typeET4_jRbjT5_SW_jjP12ihipStream_tbEUlT_E0_NS1_11comp_targetILNS1_3genE0ELNS1_11target_archE4294967295ELNS1_3gpuE0ELNS1_3repE0EEENS1_60segmented_radix_sort_warp_sort_medium_config_static_selectorELNS0_4arch9wavefront6targetE0EEEvSK_.private_seg_size, 0
	.set _ZN7rocprim17ROCPRIM_400000_NS6detail17trampoline_kernelINS0_14default_configENS1_36segmented_radix_sort_config_selectorIalEEZNS1_25segmented_radix_sort_implIS3_Lb1EPKaPaPKlPlN2at6native12_GLOBAL__N_18offset_tEEE10hipError_tPvRmT1_PNSt15iterator_traitsISK_E10value_typeET2_T3_PNSL_ISQ_E10value_typeET4_jRbjT5_SW_jjP12ihipStream_tbEUlT_E0_NS1_11comp_targetILNS1_3genE0ELNS1_11target_archE4294967295ELNS1_3gpuE0ELNS1_3repE0EEENS1_60segmented_radix_sort_warp_sort_medium_config_static_selectorELNS0_4arch9wavefront6targetE0EEEvSK_.uses_vcc, 0
	.set _ZN7rocprim17ROCPRIM_400000_NS6detail17trampoline_kernelINS0_14default_configENS1_36segmented_radix_sort_config_selectorIalEEZNS1_25segmented_radix_sort_implIS3_Lb1EPKaPaPKlPlN2at6native12_GLOBAL__N_18offset_tEEE10hipError_tPvRmT1_PNSt15iterator_traitsISK_E10value_typeET2_T3_PNSL_ISQ_E10value_typeET4_jRbjT5_SW_jjP12ihipStream_tbEUlT_E0_NS1_11comp_targetILNS1_3genE0ELNS1_11target_archE4294967295ELNS1_3gpuE0ELNS1_3repE0EEENS1_60segmented_radix_sort_warp_sort_medium_config_static_selectorELNS0_4arch9wavefront6targetE0EEEvSK_.uses_flat_scratch, 0
	.set _ZN7rocprim17ROCPRIM_400000_NS6detail17trampoline_kernelINS0_14default_configENS1_36segmented_radix_sort_config_selectorIalEEZNS1_25segmented_radix_sort_implIS3_Lb1EPKaPaPKlPlN2at6native12_GLOBAL__N_18offset_tEEE10hipError_tPvRmT1_PNSt15iterator_traitsISK_E10value_typeET2_T3_PNSL_ISQ_E10value_typeET4_jRbjT5_SW_jjP12ihipStream_tbEUlT_E0_NS1_11comp_targetILNS1_3genE0ELNS1_11target_archE4294967295ELNS1_3gpuE0ELNS1_3repE0EEENS1_60segmented_radix_sort_warp_sort_medium_config_static_selectorELNS0_4arch9wavefront6targetE0EEEvSK_.has_dyn_sized_stack, 0
	.set _ZN7rocprim17ROCPRIM_400000_NS6detail17trampoline_kernelINS0_14default_configENS1_36segmented_radix_sort_config_selectorIalEEZNS1_25segmented_radix_sort_implIS3_Lb1EPKaPaPKlPlN2at6native12_GLOBAL__N_18offset_tEEE10hipError_tPvRmT1_PNSt15iterator_traitsISK_E10value_typeET2_T3_PNSL_ISQ_E10value_typeET4_jRbjT5_SW_jjP12ihipStream_tbEUlT_E0_NS1_11comp_targetILNS1_3genE0ELNS1_11target_archE4294967295ELNS1_3gpuE0ELNS1_3repE0EEENS1_60segmented_radix_sort_warp_sort_medium_config_static_selectorELNS0_4arch9wavefront6targetE0EEEvSK_.has_recursion, 0
	.set _ZN7rocprim17ROCPRIM_400000_NS6detail17trampoline_kernelINS0_14default_configENS1_36segmented_radix_sort_config_selectorIalEEZNS1_25segmented_radix_sort_implIS3_Lb1EPKaPaPKlPlN2at6native12_GLOBAL__N_18offset_tEEE10hipError_tPvRmT1_PNSt15iterator_traitsISK_E10value_typeET2_T3_PNSL_ISQ_E10value_typeET4_jRbjT5_SW_jjP12ihipStream_tbEUlT_E0_NS1_11comp_targetILNS1_3genE0ELNS1_11target_archE4294967295ELNS1_3gpuE0ELNS1_3repE0EEENS1_60segmented_radix_sort_warp_sort_medium_config_static_selectorELNS0_4arch9wavefront6targetE0EEEvSK_.has_indirect_call, 0
	.section	.AMDGPU.csdata,"",@progbits
; Kernel info:
; codeLenInByte = 0
; TotalNumSgprs: 0
; NumVgprs: 0
; ScratchSize: 0
; MemoryBound: 0
; FloatMode: 240
; IeeeMode: 1
; LDSByteSize: 0 bytes/workgroup (compile time only)
; SGPRBlocks: 0
; VGPRBlocks: 0
; NumSGPRsForWavesPerEU: 1
; NumVGPRsForWavesPerEU: 1
; Occupancy: 16
; WaveLimiterHint : 0
; COMPUTE_PGM_RSRC2:SCRATCH_EN: 0
; COMPUTE_PGM_RSRC2:USER_SGPR: 2
; COMPUTE_PGM_RSRC2:TRAP_HANDLER: 0
; COMPUTE_PGM_RSRC2:TGID_X_EN: 1
; COMPUTE_PGM_RSRC2:TGID_Y_EN: 0
; COMPUTE_PGM_RSRC2:TGID_Z_EN: 0
; COMPUTE_PGM_RSRC2:TIDIG_COMP_CNT: 0
	.section	.text._ZN7rocprim17ROCPRIM_400000_NS6detail17trampoline_kernelINS0_14default_configENS1_36segmented_radix_sort_config_selectorIalEEZNS1_25segmented_radix_sort_implIS3_Lb1EPKaPaPKlPlN2at6native12_GLOBAL__N_18offset_tEEE10hipError_tPvRmT1_PNSt15iterator_traitsISK_E10value_typeET2_T3_PNSL_ISQ_E10value_typeET4_jRbjT5_SW_jjP12ihipStream_tbEUlT_E0_NS1_11comp_targetILNS1_3genE5ELNS1_11target_archE942ELNS1_3gpuE9ELNS1_3repE0EEENS1_60segmented_radix_sort_warp_sort_medium_config_static_selectorELNS0_4arch9wavefront6targetE0EEEvSK_,"axG",@progbits,_ZN7rocprim17ROCPRIM_400000_NS6detail17trampoline_kernelINS0_14default_configENS1_36segmented_radix_sort_config_selectorIalEEZNS1_25segmented_radix_sort_implIS3_Lb1EPKaPaPKlPlN2at6native12_GLOBAL__N_18offset_tEEE10hipError_tPvRmT1_PNSt15iterator_traitsISK_E10value_typeET2_T3_PNSL_ISQ_E10value_typeET4_jRbjT5_SW_jjP12ihipStream_tbEUlT_E0_NS1_11comp_targetILNS1_3genE5ELNS1_11target_archE942ELNS1_3gpuE9ELNS1_3repE0EEENS1_60segmented_radix_sort_warp_sort_medium_config_static_selectorELNS0_4arch9wavefront6targetE0EEEvSK_,comdat
	.globl	_ZN7rocprim17ROCPRIM_400000_NS6detail17trampoline_kernelINS0_14default_configENS1_36segmented_radix_sort_config_selectorIalEEZNS1_25segmented_radix_sort_implIS3_Lb1EPKaPaPKlPlN2at6native12_GLOBAL__N_18offset_tEEE10hipError_tPvRmT1_PNSt15iterator_traitsISK_E10value_typeET2_T3_PNSL_ISQ_E10value_typeET4_jRbjT5_SW_jjP12ihipStream_tbEUlT_E0_NS1_11comp_targetILNS1_3genE5ELNS1_11target_archE942ELNS1_3gpuE9ELNS1_3repE0EEENS1_60segmented_radix_sort_warp_sort_medium_config_static_selectorELNS0_4arch9wavefront6targetE0EEEvSK_ ; -- Begin function _ZN7rocprim17ROCPRIM_400000_NS6detail17trampoline_kernelINS0_14default_configENS1_36segmented_radix_sort_config_selectorIalEEZNS1_25segmented_radix_sort_implIS3_Lb1EPKaPaPKlPlN2at6native12_GLOBAL__N_18offset_tEEE10hipError_tPvRmT1_PNSt15iterator_traitsISK_E10value_typeET2_T3_PNSL_ISQ_E10value_typeET4_jRbjT5_SW_jjP12ihipStream_tbEUlT_E0_NS1_11comp_targetILNS1_3genE5ELNS1_11target_archE942ELNS1_3gpuE9ELNS1_3repE0EEENS1_60segmented_radix_sort_warp_sort_medium_config_static_selectorELNS0_4arch9wavefront6targetE0EEEvSK_
	.p2align	8
	.type	_ZN7rocprim17ROCPRIM_400000_NS6detail17trampoline_kernelINS0_14default_configENS1_36segmented_radix_sort_config_selectorIalEEZNS1_25segmented_radix_sort_implIS3_Lb1EPKaPaPKlPlN2at6native12_GLOBAL__N_18offset_tEEE10hipError_tPvRmT1_PNSt15iterator_traitsISK_E10value_typeET2_T3_PNSL_ISQ_E10value_typeET4_jRbjT5_SW_jjP12ihipStream_tbEUlT_E0_NS1_11comp_targetILNS1_3genE5ELNS1_11target_archE942ELNS1_3gpuE9ELNS1_3repE0EEENS1_60segmented_radix_sort_warp_sort_medium_config_static_selectorELNS0_4arch9wavefront6targetE0EEEvSK_,@function
_ZN7rocprim17ROCPRIM_400000_NS6detail17trampoline_kernelINS0_14default_configENS1_36segmented_radix_sort_config_selectorIalEEZNS1_25segmented_radix_sort_implIS3_Lb1EPKaPaPKlPlN2at6native12_GLOBAL__N_18offset_tEEE10hipError_tPvRmT1_PNSt15iterator_traitsISK_E10value_typeET2_T3_PNSL_ISQ_E10value_typeET4_jRbjT5_SW_jjP12ihipStream_tbEUlT_E0_NS1_11comp_targetILNS1_3genE5ELNS1_11target_archE942ELNS1_3gpuE9ELNS1_3repE0EEENS1_60segmented_radix_sort_warp_sort_medium_config_static_selectorELNS0_4arch9wavefront6targetE0EEEvSK_: ; @_ZN7rocprim17ROCPRIM_400000_NS6detail17trampoline_kernelINS0_14default_configENS1_36segmented_radix_sort_config_selectorIalEEZNS1_25segmented_radix_sort_implIS3_Lb1EPKaPaPKlPlN2at6native12_GLOBAL__N_18offset_tEEE10hipError_tPvRmT1_PNSt15iterator_traitsISK_E10value_typeET2_T3_PNSL_ISQ_E10value_typeET4_jRbjT5_SW_jjP12ihipStream_tbEUlT_E0_NS1_11comp_targetILNS1_3genE5ELNS1_11target_archE942ELNS1_3gpuE9ELNS1_3repE0EEENS1_60segmented_radix_sort_warp_sort_medium_config_static_selectorELNS0_4arch9wavefront6targetE0EEEvSK_
; %bb.0:
	.section	.rodata,"a",@progbits
	.p2align	6, 0x0
	.amdhsa_kernel _ZN7rocprim17ROCPRIM_400000_NS6detail17trampoline_kernelINS0_14default_configENS1_36segmented_radix_sort_config_selectorIalEEZNS1_25segmented_radix_sort_implIS3_Lb1EPKaPaPKlPlN2at6native12_GLOBAL__N_18offset_tEEE10hipError_tPvRmT1_PNSt15iterator_traitsISK_E10value_typeET2_T3_PNSL_ISQ_E10value_typeET4_jRbjT5_SW_jjP12ihipStream_tbEUlT_E0_NS1_11comp_targetILNS1_3genE5ELNS1_11target_archE942ELNS1_3gpuE9ELNS1_3repE0EEENS1_60segmented_radix_sort_warp_sort_medium_config_static_selectorELNS0_4arch9wavefront6targetE0EEEvSK_
		.amdhsa_group_segment_fixed_size 0
		.amdhsa_private_segment_fixed_size 0
		.amdhsa_kernarg_size 88
		.amdhsa_user_sgpr_count 2
		.amdhsa_user_sgpr_dispatch_ptr 0
		.amdhsa_user_sgpr_queue_ptr 0
		.amdhsa_user_sgpr_kernarg_segment_ptr 1
		.amdhsa_user_sgpr_dispatch_id 0
		.amdhsa_user_sgpr_private_segment_size 0
		.amdhsa_wavefront_size32 1
		.amdhsa_uses_dynamic_stack 0
		.amdhsa_enable_private_segment 0
		.amdhsa_system_sgpr_workgroup_id_x 1
		.amdhsa_system_sgpr_workgroup_id_y 0
		.amdhsa_system_sgpr_workgroup_id_z 0
		.amdhsa_system_sgpr_workgroup_info 0
		.amdhsa_system_vgpr_workitem_id 0
		.amdhsa_next_free_vgpr 1
		.amdhsa_next_free_sgpr 1
		.amdhsa_reserve_vcc 0
		.amdhsa_float_round_mode_32 0
		.amdhsa_float_round_mode_16_64 0
		.amdhsa_float_denorm_mode_32 3
		.amdhsa_float_denorm_mode_16_64 3
		.amdhsa_fp16_overflow 0
		.amdhsa_workgroup_processor_mode 1
		.amdhsa_memory_ordered 1
		.amdhsa_forward_progress 1
		.amdhsa_inst_pref_size 0
		.amdhsa_round_robin_scheduling 0
		.amdhsa_exception_fp_ieee_invalid_op 0
		.amdhsa_exception_fp_denorm_src 0
		.amdhsa_exception_fp_ieee_div_zero 0
		.amdhsa_exception_fp_ieee_overflow 0
		.amdhsa_exception_fp_ieee_underflow 0
		.amdhsa_exception_fp_ieee_inexact 0
		.amdhsa_exception_int_div_zero 0
	.end_amdhsa_kernel
	.section	.text._ZN7rocprim17ROCPRIM_400000_NS6detail17trampoline_kernelINS0_14default_configENS1_36segmented_radix_sort_config_selectorIalEEZNS1_25segmented_radix_sort_implIS3_Lb1EPKaPaPKlPlN2at6native12_GLOBAL__N_18offset_tEEE10hipError_tPvRmT1_PNSt15iterator_traitsISK_E10value_typeET2_T3_PNSL_ISQ_E10value_typeET4_jRbjT5_SW_jjP12ihipStream_tbEUlT_E0_NS1_11comp_targetILNS1_3genE5ELNS1_11target_archE942ELNS1_3gpuE9ELNS1_3repE0EEENS1_60segmented_radix_sort_warp_sort_medium_config_static_selectorELNS0_4arch9wavefront6targetE0EEEvSK_,"axG",@progbits,_ZN7rocprim17ROCPRIM_400000_NS6detail17trampoline_kernelINS0_14default_configENS1_36segmented_radix_sort_config_selectorIalEEZNS1_25segmented_radix_sort_implIS3_Lb1EPKaPaPKlPlN2at6native12_GLOBAL__N_18offset_tEEE10hipError_tPvRmT1_PNSt15iterator_traitsISK_E10value_typeET2_T3_PNSL_ISQ_E10value_typeET4_jRbjT5_SW_jjP12ihipStream_tbEUlT_E0_NS1_11comp_targetILNS1_3genE5ELNS1_11target_archE942ELNS1_3gpuE9ELNS1_3repE0EEENS1_60segmented_radix_sort_warp_sort_medium_config_static_selectorELNS0_4arch9wavefront6targetE0EEEvSK_,comdat
.Lfunc_end301:
	.size	_ZN7rocprim17ROCPRIM_400000_NS6detail17trampoline_kernelINS0_14default_configENS1_36segmented_radix_sort_config_selectorIalEEZNS1_25segmented_radix_sort_implIS3_Lb1EPKaPaPKlPlN2at6native12_GLOBAL__N_18offset_tEEE10hipError_tPvRmT1_PNSt15iterator_traitsISK_E10value_typeET2_T3_PNSL_ISQ_E10value_typeET4_jRbjT5_SW_jjP12ihipStream_tbEUlT_E0_NS1_11comp_targetILNS1_3genE5ELNS1_11target_archE942ELNS1_3gpuE9ELNS1_3repE0EEENS1_60segmented_radix_sort_warp_sort_medium_config_static_selectorELNS0_4arch9wavefront6targetE0EEEvSK_, .Lfunc_end301-_ZN7rocprim17ROCPRIM_400000_NS6detail17trampoline_kernelINS0_14default_configENS1_36segmented_radix_sort_config_selectorIalEEZNS1_25segmented_radix_sort_implIS3_Lb1EPKaPaPKlPlN2at6native12_GLOBAL__N_18offset_tEEE10hipError_tPvRmT1_PNSt15iterator_traitsISK_E10value_typeET2_T3_PNSL_ISQ_E10value_typeET4_jRbjT5_SW_jjP12ihipStream_tbEUlT_E0_NS1_11comp_targetILNS1_3genE5ELNS1_11target_archE942ELNS1_3gpuE9ELNS1_3repE0EEENS1_60segmented_radix_sort_warp_sort_medium_config_static_selectorELNS0_4arch9wavefront6targetE0EEEvSK_
                                        ; -- End function
	.set _ZN7rocprim17ROCPRIM_400000_NS6detail17trampoline_kernelINS0_14default_configENS1_36segmented_radix_sort_config_selectorIalEEZNS1_25segmented_radix_sort_implIS3_Lb1EPKaPaPKlPlN2at6native12_GLOBAL__N_18offset_tEEE10hipError_tPvRmT1_PNSt15iterator_traitsISK_E10value_typeET2_T3_PNSL_ISQ_E10value_typeET4_jRbjT5_SW_jjP12ihipStream_tbEUlT_E0_NS1_11comp_targetILNS1_3genE5ELNS1_11target_archE942ELNS1_3gpuE9ELNS1_3repE0EEENS1_60segmented_radix_sort_warp_sort_medium_config_static_selectorELNS0_4arch9wavefront6targetE0EEEvSK_.num_vgpr, 0
	.set _ZN7rocprim17ROCPRIM_400000_NS6detail17trampoline_kernelINS0_14default_configENS1_36segmented_radix_sort_config_selectorIalEEZNS1_25segmented_radix_sort_implIS3_Lb1EPKaPaPKlPlN2at6native12_GLOBAL__N_18offset_tEEE10hipError_tPvRmT1_PNSt15iterator_traitsISK_E10value_typeET2_T3_PNSL_ISQ_E10value_typeET4_jRbjT5_SW_jjP12ihipStream_tbEUlT_E0_NS1_11comp_targetILNS1_3genE5ELNS1_11target_archE942ELNS1_3gpuE9ELNS1_3repE0EEENS1_60segmented_radix_sort_warp_sort_medium_config_static_selectorELNS0_4arch9wavefront6targetE0EEEvSK_.num_agpr, 0
	.set _ZN7rocprim17ROCPRIM_400000_NS6detail17trampoline_kernelINS0_14default_configENS1_36segmented_radix_sort_config_selectorIalEEZNS1_25segmented_radix_sort_implIS3_Lb1EPKaPaPKlPlN2at6native12_GLOBAL__N_18offset_tEEE10hipError_tPvRmT1_PNSt15iterator_traitsISK_E10value_typeET2_T3_PNSL_ISQ_E10value_typeET4_jRbjT5_SW_jjP12ihipStream_tbEUlT_E0_NS1_11comp_targetILNS1_3genE5ELNS1_11target_archE942ELNS1_3gpuE9ELNS1_3repE0EEENS1_60segmented_radix_sort_warp_sort_medium_config_static_selectorELNS0_4arch9wavefront6targetE0EEEvSK_.numbered_sgpr, 0
	.set _ZN7rocprim17ROCPRIM_400000_NS6detail17trampoline_kernelINS0_14default_configENS1_36segmented_radix_sort_config_selectorIalEEZNS1_25segmented_radix_sort_implIS3_Lb1EPKaPaPKlPlN2at6native12_GLOBAL__N_18offset_tEEE10hipError_tPvRmT1_PNSt15iterator_traitsISK_E10value_typeET2_T3_PNSL_ISQ_E10value_typeET4_jRbjT5_SW_jjP12ihipStream_tbEUlT_E0_NS1_11comp_targetILNS1_3genE5ELNS1_11target_archE942ELNS1_3gpuE9ELNS1_3repE0EEENS1_60segmented_radix_sort_warp_sort_medium_config_static_selectorELNS0_4arch9wavefront6targetE0EEEvSK_.num_named_barrier, 0
	.set _ZN7rocprim17ROCPRIM_400000_NS6detail17trampoline_kernelINS0_14default_configENS1_36segmented_radix_sort_config_selectorIalEEZNS1_25segmented_radix_sort_implIS3_Lb1EPKaPaPKlPlN2at6native12_GLOBAL__N_18offset_tEEE10hipError_tPvRmT1_PNSt15iterator_traitsISK_E10value_typeET2_T3_PNSL_ISQ_E10value_typeET4_jRbjT5_SW_jjP12ihipStream_tbEUlT_E0_NS1_11comp_targetILNS1_3genE5ELNS1_11target_archE942ELNS1_3gpuE9ELNS1_3repE0EEENS1_60segmented_radix_sort_warp_sort_medium_config_static_selectorELNS0_4arch9wavefront6targetE0EEEvSK_.private_seg_size, 0
	.set _ZN7rocprim17ROCPRIM_400000_NS6detail17trampoline_kernelINS0_14default_configENS1_36segmented_radix_sort_config_selectorIalEEZNS1_25segmented_radix_sort_implIS3_Lb1EPKaPaPKlPlN2at6native12_GLOBAL__N_18offset_tEEE10hipError_tPvRmT1_PNSt15iterator_traitsISK_E10value_typeET2_T3_PNSL_ISQ_E10value_typeET4_jRbjT5_SW_jjP12ihipStream_tbEUlT_E0_NS1_11comp_targetILNS1_3genE5ELNS1_11target_archE942ELNS1_3gpuE9ELNS1_3repE0EEENS1_60segmented_radix_sort_warp_sort_medium_config_static_selectorELNS0_4arch9wavefront6targetE0EEEvSK_.uses_vcc, 0
	.set _ZN7rocprim17ROCPRIM_400000_NS6detail17trampoline_kernelINS0_14default_configENS1_36segmented_radix_sort_config_selectorIalEEZNS1_25segmented_radix_sort_implIS3_Lb1EPKaPaPKlPlN2at6native12_GLOBAL__N_18offset_tEEE10hipError_tPvRmT1_PNSt15iterator_traitsISK_E10value_typeET2_T3_PNSL_ISQ_E10value_typeET4_jRbjT5_SW_jjP12ihipStream_tbEUlT_E0_NS1_11comp_targetILNS1_3genE5ELNS1_11target_archE942ELNS1_3gpuE9ELNS1_3repE0EEENS1_60segmented_radix_sort_warp_sort_medium_config_static_selectorELNS0_4arch9wavefront6targetE0EEEvSK_.uses_flat_scratch, 0
	.set _ZN7rocprim17ROCPRIM_400000_NS6detail17trampoline_kernelINS0_14default_configENS1_36segmented_radix_sort_config_selectorIalEEZNS1_25segmented_radix_sort_implIS3_Lb1EPKaPaPKlPlN2at6native12_GLOBAL__N_18offset_tEEE10hipError_tPvRmT1_PNSt15iterator_traitsISK_E10value_typeET2_T3_PNSL_ISQ_E10value_typeET4_jRbjT5_SW_jjP12ihipStream_tbEUlT_E0_NS1_11comp_targetILNS1_3genE5ELNS1_11target_archE942ELNS1_3gpuE9ELNS1_3repE0EEENS1_60segmented_radix_sort_warp_sort_medium_config_static_selectorELNS0_4arch9wavefront6targetE0EEEvSK_.has_dyn_sized_stack, 0
	.set _ZN7rocprim17ROCPRIM_400000_NS6detail17trampoline_kernelINS0_14default_configENS1_36segmented_radix_sort_config_selectorIalEEZNS1_25segmented_radix_sort_implIS3_Lb1EPKaPaPKlPlN2at6native12_GLOBAL__N_18offset_tEEE10hipError_tPvRmT1_PNSt15iterator_traitsISK_E10value_typeET2_T3_PNSL_ISQ_E10value_typeET4_jRbjT5_SW_jjP12ihipStream_tbEUlT_E0_NS1_11comp_targetILNS1_3genE5ELNS1_11target_archE942ELNS1_3gpuE9ELNS1_3repE0EEENS1_60segmented_radix_sort_warp_sort_medium_config_static_selectorELNS0_4arch9wavefront6targetE0EEEvSK_.has_recursion, 0
	.set _ZN7rocprim17ROCPRIM_400000_NS6detail17trampoline_kernelINS0_14default_configENS1_36segmented_radix_sort_config_selectorIalEEZNS1_25segmented_radix_sort_implIS3_Lb1EPKaPaPKlPlN2at6native12_GLOBAL__N_18offset_tEEE10hipError_tPvRmT1_PNSt15iterator_traitsISK_E10value_typeET2_T3_PNSL_ISQ_E10value_typeET4_jRbjT5_SW_jjP12ihipStream_tbEUlT_E0_NS1_11comp_targetILNS1_3genE5ELNS1_11target_archE942ELNS1_3gpuE9ELNS1_3repE0EEENS1_60segmented_radix_sort_warp_sort_medium_config_static_selectorELNS0_4arch9wavefront6targetE0EEEvSK_.has_indirect_call, 0
	.section	.AMDGPU.csdata,"",@progbits
; Kernel info:
; codeLenInByte = 0
; TotalNumSgprs: 0
; NumVgprs: 0
; ScratchSize: 0
; MemoryBound: 0
; FloatMode: 240
; IeeeMode: 1
; LDSByteSize: 0 bytes/workgroup (compile time only)
; SGPRBlocks: 0
; VGPRBlocks: 0
; NumSGPRsForWavesPerEU: 1
; NumVGPRsForWavesPerEU: 1
; Occupancy: 16
; WaveLimiterHint : 0
; COMPUTE_PGM_RSRC2:SCRATCH_EN: 0
; COMPUTE_PGM_RSRC2:USER_SGPR: 2
; COMPUTE_PGM_RSRC2:TRAP_HANDLER: 0
; COMPUTE_PGM_RSRC2:TGID_X_EN: 1
; COMPUTE_PGM_RSRC2:TGID_Y_EN: 0
; COMPUTE_PGM_RSRC2:TGID_Z_EN: 0
; COMPUTE_PGM_RSRC2:TIDIG_COMP_CNT: 0
	.section	.text._ZN7rocprim17ROCPRIM_400000_NS6detail17trampoline_kernelINS0_14default_configENS1_36segmented_radix_sort_config_selectorIalEEZNS1_25segmented_radix_sort_implIS3_Lb1EPKaPaPKlPlN2at6native12_GLOBAL__N_18offset_tEEE10hipError_tPvRmT1_PNSt15iterator_traitsISK_E10value_typeET2_T3_PNSL_ISQ_E10value_typeET4_jRbjT5_SW_jjP12ihipStream_tbEUlT_E0_NS1_11comp_targetILNS1_3genE4ELNS1_11target_archE910ELNS1_3gpuE8ELNS1_3repE0EEENS1_60segmented_radix_sort_warp_sort_medium_config_static_selectorELNS0_4arch9wavefront6targetE0EEEvSK_,"axG",@progbits,_ZN7rocprim17ROCPRIM_400000_NS6detail17trampoline_kernelINS0_14default_configENS1_36segmented_radix_sort_config_selectorIalEEZNS1_25segmented_radix_sort_implIS3_Lb1EPKaPaPKlPlN2at6native12_GLOBAL__N_18offset_tEEE10hipError_tPvRmT1_PNSt15iterator_traitsISK_E10value_typeET2_T3_PNSL_ISQ_E10value_typeET4_jRbjT5_SW_jjP12ihipStream_tbEUlT_E0_NS1_11comp_targetILNS1_3genE4ELNS1_11target_archE910ELNS1_3gpuE8ELNS1_3repE0EEENS1_60segmented_radix_sort_warp_sort_medium_config_static_selectorELNS0_4arch9wavefront6targetE0EEEvSK_,comdat
	.globl	_ZN7rocprim17ROCPRIM_400000_NS6detail17trampoline_kernelINS0_14default_configENS1_36segmented_radix_sort_config_selectorIalEEZNS1_25segmented_radix_sort_implIS3_Lb1EPKaPaPKlPlN2at6native12_GLOBAL__N_18offset_tEEE10hipError_tPvRmT1_PNSt15iterator_traitsISK_E10value_typeET2_T3_PNSL_ISQ_E10value_typeET4_jRbjT5_SW_jjP12ihipStream_tbEUlT_E0_NS1_11comp_targetILNS1_3genE4ELNS1_11target_archE910ELNS1_3gpuE8ELNS1_3repE0EEENS1_60segmented_radix_sort_warp_sort_medium_config_static_selectorELNS0_4arch9wavefront6targetE0EEEvSK_ ; -- Begin function _ZN7rocprim17ROCPRIM_400000_NS6detail17trampoline_kernelINS0_14default_configENS1_36segmented_radix_sort_config_selectorIalEEZNS1_25segmented_radix_sort_implIS3_Lb1EPKaPaPKlPlN2at6native12_GLOBAL__N_18offset_tEEE10hipError_tPvRmT1_PNSt15iterator_traitsISK_E10value_typeET2_T3_PNSL_ISQ_E10value_typeET4_jRbjT5_SW_jjP12ihipStream_tbEUlT_E0_NS1_11comp_targetILNS1_3genE4ELNS1_11target_archE910ELNS1_3gpuE8ELNS1_3repE0EEENS1_60segmented_radix_sort_warp_sort_medium_config_static_selectorELNS0_4arch9wavefront6targetE0EEEvSK_
	.p2align	8
	.type	_ZN7rocprim17ROCPRIM_400000_NS6detail17trampoline_kernelINS0_14default_configENS1_36segmented_radix_sort_config_selectorIalEEZNS1_25segmented_radix_sort_implIS3_Lb1EPKaPaPKlPlN2at6native12_GLOBAL__N_18offset_tEEE10hipError_tPvRmT1_PNSt15iterator_traitsISK_E10value_typeET2_T3_PNSL_ISQ_E10value_typeET4_jRbjT5_SW_jjP12ihipStream_tbEUlT_E0_NS1_11comp_targetILNS1_3genE4ELNS1_11target_archE910ELNS1_3gpuE8ELNS1_3repE0EEENS1_60segmented_radix_sort_warp_sort_medium_config_static_selectorELNS0_4arch9wavefront6targetE0EEEvSK_,@function
_ZN7rocprim17ROCPRIM_400000_NS6detail17trampoline_kernelINS0_14default_configENS1_36segmented_radix_sort_config_selectorIalEEZNS1_25segmented_radix_sort_implIS3_Lb1EPKaPaPKlPlN2at6native12_GLOBAL__N_18offset_tEEE10hipError_tPvRmT1_PNSt15iterator_traitsISK_E10value_typeET2_T3_PNSL_ISQ_E10value_typeET4_jRbjT5_SW_jjP12ihipStream_tbEUlT_E0_NS1_11comp_targetILNS1_3genE4ELNS1_11target_archE910ELNS1_3gpuE8ELNS1_3repE0EEENS1_60segmented_radix_sort_warp_sort_medium_config_static_selectorELNS0_4arch9wavefront6targetE0EEEvSK_: ; @_ZN7rocprim17ROCPRIM_400000_NS6detail17trampoline_kernelINS0_14default_configENS1_36segmented_radix_sort_config_selectorIalEEZNS1_25segmented_radix_sort_implIS3_Lb1EPKaPaPKlPlN2at6native12_GLOBAL__N_18offset_tEEE10hipError_tPvRmT1_PNSt15iterator_traitsISK_E10value_typeET2_T3_PNSL_ISQ_E10value_typeET4_jRbjT5_SW_jjP12ihipStream_tbEUlT_E0_NS1_11comp_targetILNS1_3genE4ELNS1_11target_archE910ELNS1_3gpuE8ELNS1_3repE0EEENS1_60segmented_radix_sort_warp_sort_medium_config_static_selectorELNS0_4arch9wavefront6targetE0EEEvSK_
; %bb.0:
	.section	.rodata,"a",@progbits
	.p2align	6, 0x0
	.amdhsa_kernel _ZN7rocprim17ROCPRIM_400000_NS6detail17trampoline_kernelINS0_14default_configENS1_36segmented_radix_sort_config_selectorIalEEZNS1_25segmented_radix_sort_implIS3_Lb1EPKaPaPKlPlN2at6native12_GLOBAL__N_18offset_tEEE10hipError_tPvRmT1_PNSt15iterator_traitsISK_E10value_typeET2_T3_PNSL_ISQ_E10value_typeET4_jRbjT5_SW_jjP12ihipStream_tbEUlT_E0_NS1_11comp_targetILNS1_3genE4ELNS1_11target_archE910ELNS1_3gpuE8ELNS1_3repE0EEENS1_60segmented_radix_sort_warp_sort_medium_config_static_selectorELNS0_4arch9wavefront6targetE0EEEvSK_
		.amdhsa_group_segment_fixed_size 0
		.amdhsa_private_segment_fixed_size 0
		.amdhsa_kernarg_size 88
		.amdhsa_user_sgpr_count 2
		.amdhsa_user_sgpr_dispatch_ptr 0
		.amdhsa_user_sgpr_queue_ptr 0
		.amdhsa_user_sgpr_kernarg_segment_ptr 1
		.amdhsa_user_sgpr_dispatch_id 0
		.amdhsa_user_sgpr_private_segment_size 0
		.amdhsa_wavefront_size32 1
		.amdhsa_uses_dynamic_stack 0
		.amdhsa_enable_private_segment 0
		.amdhsa_system_sgpr_workgroup_id_x 1
		.amdhsa_system_sgpr_workgroup_id_y 0
		.amdhsa_system_sgpr_workgroup_id_z 0
		.amdhsa_system_sgpr_workgroup_info 0
		.amdhsa_system_vgpr_workitem_id 0
		.amdhsa_next_free_vgpr 1
		.amdhsa_next_free_sgpr 1
		.amdhsa_reserve_vcc 0
		.amdhsa_float_round_mode_32 0
		.amdhsa_float_round_mode_16_64 0
		.amdhsa_float_denorm_mode_32 3
		.amdhsa_float_denorm_mode_16_64 3
		.amdhsa_fp16_overflow 0
		.amdhsa_workgroup_processor_mode 1
		.amdhsa_memory_ordered 1
		.amdhsa_forward_progress 1
		.amdhsa_inst_pref_size 0
		.amdhsa_round_robin_scheduling 0
		.amdhsa_exception_fp_ieee_invalid_op 0
		.amdhsa_exception_fp_denorm_src 0
		.amdhsa_exception_fp_ieee_div_zero 0
		.amdhsa_exception_fp_ieee_overflow 0
		.amdhsa_exception_fp_ieee_underflow 0
		.amdhsa_exception_fp_ieee_inexact 0
		.amdhsa_exception_int_div_zero 0
	.end_amdhsa_kernel
	.section	.text._ZN7rocprim17ROCPRIM_400000_NS6detail17trampoline_kernelINS0_14default_configENS1_36segmented_radix_sort_config_selectorIalEEZNS1_25segmented_radix_sort_implIS3_Lb1EPKaPaPKlPlN2at6native12_GLOBAL__N_18offset_tEEE10hipError_tPvRmT1_PNSt15iterator_traitsISK_E10value_typeET2_T3_PNSL_ISQ_E10value_typeET4_jRbjT5_SW_jjP12ihipStream_tbEUlT_E0_NS1_11comp_targetILNS1_3genE4ELNS1_11target_archE910ELNS1_3gpuE8ELNS1_3repE0EEENS1_60segmented_radix_sort_warp_sort_medium_config_static_selectorELNS0_4arch9wavefront6targetE0EEEvSK_,"axG",@progbits,_ZN7rocprim17ROCPRIM_400000_NS6detail17trampoline_kernelINS0_14default_configENS1_36segmented_radix_sort_config_selectorIalEEZNS1_25segmented_radix_sort_implIS3_Lb1EPKaPaPKlPlN2at6native12_GLOBAL__N_18offset_tEEE10hipError_tPvRmT1_PNSt15iterator_traitsISK_E10value_typeET2_T3_PNSL_ISQ_E10value_typeET4_jRbjT5_SW_jjP12ihipStream_tbEUlT_E0_NS1_11comp_targetILNS1_3genE4ELNS1_11target_archE910ELNS1_3gpuE8ELNS1_3repE0EEENS1_60segmented_radix_sort_warp_sort_medium_config_static_selectorELNS0_4arch9wavefront6targetE0EEEvSK_,comdat
.Lfunc_end302:
	.size	_ZN7rocprim17ROCPRIM_400000_NS6detail17trampoline_kernelINS0_14default_configENS1_36segmented_radix_sort_config_selectorIalEEZNS1_25segmented_radix_sort_implIS3_Lb1EPKaPaPKlPlN2at6native12_GLOBAL__N_18offset_tEEE10hipError_tPvRmT1_PNSt15iterator_traitsISK_E10value_typeET2_T3_PNSL_ISQ_E10value_typeET4_jRbjT5_SW_jjP12ihipStream_tbEUlT_E0_NS1_11comp_targetILNS1_3genE4ELNS1_11target_archE910ELNS1_3gpuE8ELNS1_3repE0EEENS1_60segmented_radix_sort_warp_sort_medium_config_static_selectorELNS0_4arch9wavefront6targetE0EEEvSK_, .Lfunc_end302-_ZN7rocprim17ROCPRIM_400000_NS6detail17trampoline_kernelINS0_14default_configENS1_36segmented_radix_sort_config_selectorIalEEZNS1_25segmented_radix_sort_implIS3_Lb1EPKaPaPKlPlN2at6native12_GLOBAL__N_18offset_tEEE10hipError_tPvRmT1_PNSt15iterator_traitsISK_E10value_typeET2_T3_PNSL_ISQ_E10value_typeET4_jRbjT5_SW_jjP12ihipStream_tbEUlT_E0_NS1_11comp_targetILNS1_3genE4ELNS1_11target_archE910ELNS1_3gpuE8ELNS1_3repE0EEENS1_60segmented_radix_sort_warp_sort_medium_config_static_selectorELNS0_4arch9wavefront6targetE0EEEvSK_
                                        ; -- End function
	.set _ZN7rocprim17ROCPRIM_400000_NS6detail17trampoline_kernelINS0_14default_configENS1_36segmented_radix_sort_config_selectorIalEEZNS1_25segmented_radix_sort_implIS3_Lb1EPKaPaPKlPlN2at6native12_GLOBAL__N_18offset_tEEE10hipError_tPvRmT1_PNSt15iterator_traitsISK_E10value_typeET2_T3_PNSL_ISQ_E10value_typeET4_jRbjT5_SW_jjP12ihipStream_tbEUlT_E0_NS1_11comp_targetILNS1_3genE4ELNS1_11target_archE910ELNS1_3gpuE8ELNS1_3repE0EEENS1_60segmented_radix_sort_warp_sort_medium_config_static_selectorELNS0_4arch9wavefront6targetE0EEEvSK_.num_vgpr, 0
	.set _ZN7rocprim17ROCPRIM_400000_NS6detail17trampoline_kernelINS0_14default_configENS1_36segmented_radix_sort_config_selectorIalEEZNS1_25segmented_radix_sort_implIS3_Lb1EPKaPaPKlPlN2at6native12_GLOBAL__N_18offset_tEEE10hipError_tPvRmT1_PNSt15iterator_traitsISK_E10value_typeET2_T3_PNSL_ISQ_E10value_typeET4_jRbjT5_SW_jjP12ihipStream_tbEUlT_E0_NS1_11comp_targetILNS1_3genE4ELNS1_11target_archE910ELNS1_3gpuE8ELNS1_3repE0EEENS1_60segmented_radix_sort_warp_sort_medium_config_static_selectorELNS0_4arch9wavefront6targetE0EEEvSK_.num_agpr, 0
	.set _ZN7rocprim17ROCPRIM_400000_NS6detail17trampoline_kernelINS0_14default_configENS1_36segmented_radix_sort_config_selectorIalEEZNS1_25segmented_radix_sort_implIS3_Lb1EPKaPaPKlPlN2at6native12_GLOBAL__N_18offset_tEEE10hipError_tPvRmT1_PNSt15iterator_traitsISK_E10value_typeET2_T3_PNSL_ISQ_E10value_typeET4_jRbjT5_SW_jjP12ihipStream_tbEUlT_E0_NS1_11comp_targetILNS1_3genE4ELNS1_11target_archE910ELNS1_3gpuE8ELNS1_3repE0EEENS1_60segmented_radix_sort_warp_sort_medium_config_static_selectorELNS0_4arch9wavefront6targetE0EEEvSK_.numbered_sgpr, 0
	.set _ZN7rocprim17ROCPRIM_400000_NS6detail17trampoline_kernelINS0_14default_configENS1_36segmented_radix_sort_config_selectorIalEEZNS1_25segmented_radix_sort_implIS3_Lb1EPKaPaPKlPlN2at6native12_GLOBAL__N_18offset_tEEE10hipError_tPvRmT1_PNSt15iterator_traitsISK_E10value_typeET2_T3_PNSL_ISQ_E10value_typeET4_jRbjT5_SW_jjP12ihipStream_tbEUlT_E0_NS1_11comp_targetILNS1_3genE4ELNS1_11target_archE910ELNS1_3gpuE8ELNS1_3repE0EEENS1_60segmented_radix_sort_warp_sort_medium_config_static_selectorELNS0_4arch9wavefront6targetE0EEEvSK_.num_named_barrier, 0
	.set _ZN7rocprim17ROCPRIM_400000_NS6detail17trampoline_kernelINS0_14default_configENS1_36segmented_radix_sort_config_selectorIalEEZNS1_25segmented_radix_sort_implIS3_Lb1EPKaPaPKlPlN2at6native12_GLOBAL__N_18offset_tEEE10hipError_tPvRmT1_PNSt15iterator_traitsISK_E10value_typeET2_T3_PNSL_ISQ_E10value_typeET4_jRbjT5_SW_jjP12ihipStream_tbEUlT_E0_NS1_11comp_targetILNS1_3genE4ELNS1_11target_archE910ELNS1_3gpuE8ELNS1_3repE0EEENS1_60segmented_radix_sort_warp_sort_medium_config_static_selectorELNS0_4arch9wavefront6targetE0EEEvSK_.private_seg_size, 0
	.set _ZN7rocprim17ROCPRIM_400000_NS6detail17trampoline_kernelINS0_14default_configENS1_36segmented_radix_sort_config_selectorIalEEZNS1_25segmented_radix_sort_implIS3_Lb1EPKaPaPKlPlN2at6native12_GLOBAL__N_18offset_tEEE10hipError_tPvRmT1_PNSt15iterator_traitsISK_E10value_typeET2_T3_PNSL_ISQ_E10value_typeET4_jRbjT5_SW_jjP12ihipStream_tbEUlT_E0_NS1_11comp_targetILNS1_3genE4ELNS1_11target_archE910ELNS1_3gpuE8ELNS1_3repE0EEENS1_60segmented_radix_sort_warp_sort_medium_config_static_selectorELNS0_4arch9wavefront6targetE0EEEvSK_.uses_vcc, 0
	.set _ZN7rocprim17ROCPRIM_400000_NS6detail17trampoline_kernelINS0_14default_configENS1_36segmented_radix_sort_config_selectorIalEEZNS1_25segmented_radix_sort_implIS3_Lb1EPKaPaPKlPlN2at6native12_GLOBAL__N_18offset_tEEE10hipError_tPvRmT1_PNSt15iterator_traitsISK_E10value_typeET2_T3_PNSL_ISQ_E10value_typeET4_jRbjT5_SW_jjP12ihipStream_tbEUlT_E0_NS1_11comp_targetILNS1_3genE4ELNS1_11target_archE910ELNS1_3gpuE8ELNS1_3repE0EEENS1_60segmented_radix_sort_warp_sort_medium_config_static_selectorELNS0_4arch9wavefront6targetE0EEEvSK_.uses_flat_scratch, 0
	.set _ZN7rocprim17ROCPRIM_400000_NS6detail17trampoline_kernelINS0_14default_configENS1_36segmented_radix_sort_config_selectorIalEEZNS1_25segmented_radix_sort_implIS3_Lb1EPKaPaPKlPlN2at6native12_GLOBAL__N_18offset_tEEE10hipError_tPvRmT1_PNSt15iterator_traitsISK_E10value_typeET2_T3_PNSL_ISQ_E10value_typeET4_jRbjT5_SW_jjP12ihipStream_tbEUlT_E0_NS1_11comp_targetILNS1_3genE4ELNS1_11target_archE910ELNS1_3gpuE8ELNS1_3repE0EEENS1_60segmented_radix_sort_warp_sort_medium_config_static_selectorELNS0_4arch9wavefront6targetE0EEEvSK_.has_dyn_sized_stack, 0
	.set _ZN7rocprim17ROCPRIM_400000_NS6detail17trampoline_kernelINS0_14default_configENS1_36segmented_radix_sort_config_selectorIalEEZNS1_25segmented_radix_sort_implIS3_Lb1EPKaPaPKlPlN2at6native12_GLOBAL__N_18offset_tEEE10hipError_tPvRmT1_PNSt15iterator_traitsISK_E10value_typeET2_T3_PNSL_ISQ_E10value_typeET4_jRbjT5_SW_jjP12ihipStream_tbEUlT_E0_NS1_11comp_targetILNS1_3genE4ELNS1_11target_archE910ELNS1_3gpuE8ELNS1_3repE0EEENS1_60segmented_radix_sort_warp_sort_medium_config_static_selectorELNS0_4arch9wavefront6targetE0EEEvSK_.has_recursion, 0
	.set _ZN7rocprim17ROCPRIM_400000_NS6detail17trampoline_kernelINS0_14default_configENS1_36segmented_radix_sort_config_selectorIalEEZNS1_25segmented_radix_sort_implIS3_Lb1EPKaPaPKlPlN2at6native12_GLOBAL__N_18offset_tEEE10hipError_tPvRmT1_PNSt15iterator_traitsISK_E10value_typeET2_T3_PNSL_ISQ_E10value_typeET4_jRbjT5_SW_jjP12ihipStream_tbEUlT_E0_NS1_11comp_targetILNS1_3genE4ELNS1_11target_archE910ELNS1_3gpuE8ELNS1_3repE0EEENS1_60segmented_radix_sort_warp_sort_medium_config_static_selectorELNS0_4arch9wavefront6targetE0EEEvSK_.has_indirect_call, 0
	.section	.AMDGPU.csdata,"",@progbits
; Kernel info:
; codeLenInByte = 0
; TotalNumSgprs: 0
; NumVgprs: 0
; ScratchSize: 0
; MemoryBound: 0
; FloatMode: 240
; IeeeMode: 1
; LDSByteSize: 0 bytes/workgroup (compile time only)
; SGPRBlocks: 0
; VGPRBlocks: 0
; NumSGPRsForWavesPerEU: 1
; NumVGPRsForWavesPerEU: 1
; Occupancy: 16
; WaveLimiterHint : 0
; COMPUTE_PGM_RSRC2:SCRATCH_EN: 0
; COMPUTE_PGM_RSRC2:USER_SGPR: 2
; COMPUTE_PGM_RSRC2:TRAP_HANDLER: 0
; COMPUTE_PGM_RSRC2:TGID_X_EN: 1
; COMPUTE_PGM_RSRC2:TGID_Y_EN: 0
; COMPUTE_PGM_RSRC2:TGID_Z_EN: 0
; COMPUTE_PGM_RSRC2:TIDIG_COMP_CNT: 0
	.section	.text._ZN7rocprim17ROCPRIM_400000_NS6detail17trampoline_kernelINS0_14default_configENS1_36segmented_radix_sort_config_selectorIalEEZNS1_25segmented_radix_sort_implIS3_Lb1EPKaPaPKlPlN2at6native12_GLOBAL__N_18offset_tEEE10hipError_tPvRmT1_PNSt15iterator_traitsISK_E10value_typeET2_T3_PNSL_ISQ_E10value_typeET4_jRbjT5_SW_jjP12ihipStream_tbEUlT_E0_NS1_11comp_targetILNS1_3genE3ELNS1_11target_archE908ELNS1_3gpuE7ELNS1_3repE0EEENS1_60segmented_radix_sort_warp_sort_medium_config_static_selectorELNS0_4arch9wavefront6targetE0EEEvSK_,"axG",@progbits,_ZN7rocprim17ROCPRIM_400000_NS6detail17trampoline_kernelINS0_14default_configENS1_36segmented_radix_sort_config_selectorIalEEZNS1_25segmented_radix_sort_implIS3_Lb1EPKaPaPKlPlN2at6native12_GLOBAL__N_18offset_tEEE10hipError_tPvRmT1_PNSt15iterator_traitsISK_E10value_typeET2_T3_PNSL_ISQ_E10value_typeET4_jRbjT5_SW_jjP12ihipStream_tbEUlT_E0_NS1_11comp_targetILNS1_3genE3ELNS1_11target_archE908ELNS1_3gpuE7ELNS1_3repE0EEENS1_60segmented_radix_sort_warp_sort_medium_config_static_selectorELNS0_4arch9wavefront6targetE0EEEvSK_,comdat
	.globl	_ZN7rocprim17ROCPRIM_400000_NS6detail17trampoline_kernelINS0_14default_configENS1_36segmented_radix_sort_config_selectorIalEEZNS1_25segmented_radix_sort_implIS3_Lb1EPKaPaPKlPlN2at6native12_GLOBAL__N_18offset_tEEE10hipError_tPvRmT1_PNSt15iterator_traitsISK_E10value_typeET2_T3_PNSL_ISQ_E10value_typeET4_jRbjT5_SW_jjP12ihipStream_tbEUlT_E0_NS1_11comp_targetILNS1_3genE3ELNS1_11target_archE908ELNS1_3gpuE7ELNS1_3repE0EEENS1_60segmented_radix_sort_warp_sort_medium_config_static_selectorELNS0_4arch9wavefront6targetE0EEEvSK_ ; -- Begin function _ZN7rocprim17ROCPRIM_400000_NS6detail17trampoline_kernelINS0_14default_configENS1_36segmented_radix_sort_config_selectorIalEEZNS1_25segmented_radix_sort_implIS3_Lb1EPKaPaPKlPlN2at6native12_GLOBAL__N_18offset_tEEE10hipError_tPvRmT1_PNSt15iterator_traitsISK_E10value_typeET2_T3_PNSL_ISQ_E10value_typeET4_jRbjT5_SW_jjP12ihipStream_tbEUlT_E0_NS1_11comp_targetILNS1_3genE3ELNS1_11target_archE908ELNS1_3gpuE7ELNS1_3repE0EEENS1_60segmented_radix_sort_warp_sort_medium_config_static_selectorELNS0_4arch9wavefront6targetE0EEEvSK_
	.p2align	8
	.type	_ZN7rocprim17ROCPRIM_400000_NS6detail17trampoline_kernelINS0_14default_configENS1_36segmented_radix_sort_config_selectorIalEEZNS1_25segmented_radix_sort_implIS3_Lb1EPKaPaPKlPlN2at6native12_GLOBAL__N_18offset_tEEE10hipError_tPvRmT1_PNSt15iterator_traitsISK_E10value_typeET2_T3_PNSL_ISQ_E10value_typeET4_jRbjT5_SW_jjP12ihipStream_tbEUlT_E0_NS1_11comp_targetILNS1_3genE3ELNS1_11target_archE908ELNS1_3gpuE7ELNS1_3repE0EEENS1_60segmented_radix_sort_warp_sort_medium_config_static_selectorELNS0_4arch9wavefront6targetE0EEEvSK_,@function
_ZN7rocprim17ROCPRIM_400000_NS6detail17trampoline_kernelINS0_14default_configENS1_36segmented_radix_sort_config_selectorIalEEZNS1_25segmented_radix_sort_implIS3_Lb1EPKaPaPKlPlN2at6native12_GLOBAL__N_18offset_tEEE10hipError_tPvRmT1_PNSt15iterator_traitsISK_E10value_typeET2_T3_PNSL_ISQ_E10value_typeET4_jRbjT5_SW_jjP12ihipStream_tbEUlT_E0_NS1_11comp_targetILNS1_3genE3ELNS1_11target_archE908ELNS1_3gpuE7ELNS1_3repE0EEENS1_60segmented_radix_sort_warp_sort_medium_config_static_selectorELNS0_4arch9wavefront6targetE0EEEvSK_: ; @_ZN7rocprim17ROCPRIM_400000_NS6detail17trampoline_kernelINS0_14default_configENS1_36segmented_radix_sort_config_selectorIalEEZNS1_25segmented_radix_sort_implIS3_Lb1EPKaPaPKlPlN2at6native12_GLOBAL__N_18offset_tEEE10hipError_tPvRmT1_PNSt15iterator_traitsISK_E10value_typeET2_T3_PNSL_ISQ_E10value_typeET4_jRbjT5_SW_jjP12ihipStream_tbEUlT_E0_NS1_11comp_targetILNS1_3genE3ELNS1_11target_archE908ELNS1_3gpuE7ELNS1_3repE0EEENS1_60segmented_radix_sort_warp_sort_medium_config_static_selectorELNS0_4arch9wavefront6targetE0EEEvSK_
; %bb.0:
	.section	.rodata,"a",@progbits
	.p2align	6, 0x0
	.amdhsa_kernel _ZN7rocprim17ROCPRIM_400000_NS6detail17trampoline_kernelINS0_14default_configENS1_36segmented_radix_sort_config_selectorIalEEZNS1_25segmented_radix_sort_implIS3_Lb1EPKaPaPKlPlN2at6native12_GLOBAL__N_18offset_tEEE10hipError_tPvRmT1_PNSt15iterator_traitsISK_E10value_typeET2_T3_PNSL_ISQ_E10value_typeET4_jRbjT5_SW_jjP12ihipStream_tbEUlT_E0_NS1_11comp_targetILNS1_3genE3ELNS1_11target_archE908ELNS1_3gpuE7ELNS1_3repE0EEENS1_60segmented_radix_sort_warp_sort_medium_config_static_selectorELNS0_4arch9wavefront6targetE0EEEvSK_
		.amdhsa_group_segment_fixed_size 0
		.amdhsa_private_segment_fixed_size 0
		.amdhsa_kernarg_size 88
		.amdhsa_user_sgpr_count 2
		.amdhsa_user_sgpr_dispatch_ptr 0
		.amdhsa_user_sgpr_queue_ptr 0
		.amdhsa_user_sgpr_kernarg_segment_ptr 1
		.amdhsa_user_sgpr_dispatch_id 0
		.amdhsa_user_sgpr_private_segment_size 0
		.amdhsa_wavefront_size32 1
		.amdhsa_uses_dynamic_stack 0
		.amdhsa_enable_private_segment 0
		.amdhsa_system_sgpr_workgroup_id_x 1
		.amdhsa_system_sgpr_workgroup_id_y 0
		.amdhsa_system_sgpr_workgroup_id_z 0
		.amdhsa_system_sgpr_workgroup_info 0
		.amdhsa_system_vgpr_workitem_id 0
		.amdhsa_next_free_vgpr 1
		.amdhsa_next_free_sgpr 1
		.amdhsa_reserve_vcc 0
		.amdhsa_float_round_mode_32 0
		.amdhsa_float_round_mode_16_64 0
		.amdhsa_float_denorm_mode_32 3
		.amdhsa_float_denorm_mode_16_64 3
		.amdhsa_fp16_overflow 0
		.amdhsa_workgroup_processor_mode 1
		.amdhsa_memory_ordered 1
		.amdhsa_forward_progress 1
		.amdhsa_inst_pref_size 0
		.amdhsa_round_robin_scheduling 0
		.amdhsa_exception_fp_ieee_invalid_op 0
		.amdhsa_exception_fp_denorm_src 0
		.amdhsa_exception_fp_ieee_div_zero 0
		.amdhsa_exception_fp_ieee_overflow 0
		.amdhsa_exception_fp_ieee_underflow 0
		.amdhsa_exception_fp_ieee_inexact 0
		.amdhsa_exception_int_div_zero 0
	.end_amdhsa_kernel
	.section	.text._ZN7rocprim17ROCPRIM_400000_NS6detail17trampoline_kernelINS0_14default_configENS1_36segmented_radix_sort_config_selectorIalEEZNS1_25segmented_radix_sort_implIS3_Lb1EPKaPaPKlPlN2at6native12_GLOBAL__N_18offset_tEEE10hipError_tPvRmT1_PNSt15iterator_traitsISK_E10value_typeET2_T3_PNSL_ISQ_E10value_typeET4_jRbjT5_SW_jjP12ihipStream_tbEUlT_E0_NS1_11comp_targetILNS1_3genE3ELNS1_11target_archE908ELNS1_3gpuE7ELNS1_3repE0EEENS1_60segmented_radix_sort_warp_sort_medium_config_static_selectorELNS0_4arch9wavefront6targetE0EEEvSK_,"axG",@progbits,_ZN7rocprim17ROCPRIM_400000_NS6detail17trampoline_kernelINS0_14default_configENS1_36segmented_radix_sort_config_selectorIalEEZNS1_25segmented_radix_sort_implIS3_Lb1EPKaPaPKlPlN2at6native12_GLOBAL__N_18offset_tEEE10hipError_tPvRmT1_PNSt15iterator_traitsISK_E10value_typeET2_T3_PNSL_ISQ_E10value_typeET4_jRbjT5_SW_jjP12ihipStream_tbEUlT_E0_NS1_11comp_targetILNS1_3genE3ELNS1_11target_archE908ELNS1_3gpuE7ELNS1_3repE0EEENS1_60segmented_radix_sort_warp_sort_medium_config_static_selectorELNS0_4arch9wavefront6targetE0EEEvSK_,comdat
.Lfunc_end303:
	.size	_ZN7rocprim17ROCPRIM_400000_NS6detail17trampoline_kernelINS0_14default_configENS1_36segmented_radix_sort_config_selectorIalEEZNS1_25segmented_radix_sort_implIS3_Lb1EPKaPaPKlPlN2at6native12_GLOBAL__N_18offset_tEEE10hipError_tPvRmT1_PNSt15iterator_traitsISK_E10value_typeET2_T3_PNSL_ISQ_E10value_typeET4_jRbjT5_SW_jjP12ihipStream_tbEUlT_E0_NS1_11comp_targetILNS1_3genE3ELNS1_11target_archE908ELNS1_3gpuE7ELNS1_3repE0EEENS1_60segmented_radix_sort_warp_sort_medium_config_static_selectorELNS0_4arch9wavefront6targetE0EEEvSK_, .Lfunc_end303-_ZN7rocprim17ROCPRIM_400000_NS6detail17trampoline_kernelINS0_14default_configENS1_36segmented_radix_sort_config_selectorIalEEZNS1_25segmented_radix_sort_implIS3_Lb1EPKaPaPKlPlN2at6native12_GLOBAL__N_18offset_tEEE10hipError_tPvRmT1_PNSt15iterator_traitsISK_E10value_typeET2_T3_PNSL_ISQ_E10value_typeET4_jRbjT5_SW_jjP12ihipStream_tbEUlT_E0_NS1_11comp_targetILNS1_3genE3ELNS1_11target_archE908ELNS1_3gpuE7ELNS1_3repE0EEENS1_60segmented_radix_sort_warp_sort_medium_config_static_selectorELNS0_4arch9wavefront6targetE0EEEvSK_
                                        ; -- End function
	.set _ZN7rocprim17ROCPRIM_400000_NS6detail17trampoline_kernelINS0_14default_configENS1_36segmented_radix_sort_config_selectorIalEEZNS1_25segmented_radix_sort_implIS3_Lb1EPKaPaPKlPlN2at6native12_GLOBAL__N_18offset_tEEE10hipError_tPvRmT1_PNSt15iterator_traitsISK_E10value_typeET2_T3_PNSL_ISQ_E10value_typeET4_jRbjT5_SW_jjP12ihipStream_tbEUlT_E0_NS1_11comp_targetILNS1_3genE3ELNS1_11target_archE908ELNS1_3gpuE7ELNS1_3repE0EEENS1_60segmented_radix_sort_warp_sort_medium_config_static_selectorELNS0_4arch9wavefront6targetE0EEEvSK_.num_vgpr, 0
	.set _ZN7rocprim17ROCPRIM_400000_NS6detail17trampoline_kernelINS0_14default_configENS1_36segmented_radix_sort_config_selectorIalEEZNS1_25segmented_radix_sort_implIS3_Lb1EPKaPaPKlPlN2at6native12_GLOBAL__N_18offset_tEEE10hipError_tPvRmT1_PNSt15iterator_traitsISK_E10value_typeET2_T3_PNSL_ISQ_E10value_typeET4_jRbjT5_SW_jjP12ihipStream_tbEUlT_E0_NS1_11comp_targetILNS1_3genE3ELNS1_11target_archE908ELNS1_3gpuE7ELNS1_3repE0EEENS1_60segmented_radix_sort_warp_sort_medium_config_static_selectorELNS0_4arch9wavefront6targetE0EEEvSK_.num_agpr, 0
	.set _ZN7rocprim17ROCPRIM_400000_NS6detail17trampoline_kernelINS0_14default_configENS1_36segmented_radix_sort_config_selectorIalEEZNS1_25segmented_radix_sort_implIS3_Lb1EPKaPaPKlPlN2at6native12_GLOBAL__N_18offset_tEEE10hipError_tPvRmT1_PNSt15iterator_traitsISK_E10value_typeET2_T3_PNSL_ISQ_E10value_typeET4_jRbjT5_SW_jjP12ihipStream_tbEUlT_E0_NS1_11comp_targetILNS1_3genE3ELNS1_11target_archE908ELNS1_3gpuE7ELNS1_3repE0EEENS1_60segmented_radix_sort_warp_sort_medium_config_static_selectorELNS0_4arch9wavefront6targetE0EEEvSK_.numbered_sgpr, 0
	.set _ZN7rocprim17ROCPRIM_400000_NS6detail17trampoline_kernelINS0_14default_configENS1_36segmented_radix_sort_config_selectorIalEEZNS1_25segmented_radix_sort_implIS3_Lb1EPKaPaPKlPlN2at6native12_GLOBAL__N_18offset_tEEE10hipError_tPvRmT1_PNSt15iterator_traitsISK_E10value_typeET2_T3_PNSL_ISQ_E10value_typeET4_jRbjT5_SW_jjP12ihipStream_tbEUlT_E0_NS1_11comp_targetILNS1_3genE3ELNS1_11target_archE908ELNS1_3gpuE7ELNS1_3repE0EEENS1_60segmented_radix_sort_warp_sort_medium_config_static_selectorELNS0_4arch9wavefront6targetE0EEEvSK_.num_named_barrier, 0
	.set _ZN7rocprim17ROCPRIM_400000_NS6detail17trampoline_kernelINS0_14default_configENS1_36segmented_radix_sort_config_selectorIalEEZNS1_25segmented_radix_sort_implIS3_Lb1EPKaPaPKlPlN2at6native12_GLOBAL__N_18offset_tEEE10hipError_tPvRmT1_PNSt15iterator_traitsISK_E10value_typeET2_T3_PNSL_ISQ_E10value_typeET4_jRbjT5_SW_jjP12ihipStream_tbEUlT_E0_NS1_11comp_targetILNS1_3genE3ELNS1_11target_archE908ELNS1_3gpuE7ELNS1_3repE0EEENS1_60segmented_radix_sort_warp_sort_medium_config_static_selectorELNS0_4arch9wavefront6targetE0EEEvSK_.private_seg_size, 0
	.set _ZN7rocprim17ROCPRIM_400000_NS6detail17trampoline_kernelINS0_14default_configENS1_36segmented_radix_sort_config_selectorIalEEZNS1_25segmented_radix_sort_implIS3_Lb1EPKaPaPKlPlN2at6native12_GLOBAL__N_18offset_tEEE10hipError_tPvRmT1_PNSt15iterator_traitsISK_E10value_typeET2_T3_PNSL_ISQ_E10value_typeET4_jRbjT5_SW_jjP12ihipStream_tbEUlT_E0_NS1_11comp_targetILNS1_3genE3ELNS1_11target_archE908ELNS1_3gpuE7ELNS1_3repE0EEENS1_60segmented_radix_sort_warp_sort_medium_config_static_selectorELNS0_4arch9wavefront6targetE0EEEvSK_.uses_vcc, 0
	.set _ZN7rocprim17ROCPRIM_400000_NS6detail17trampoline_kernelINS0_14default_configENS1_36segmented_radix_sort_config_selectorIalEEZNS1_25segmented_radix_sort_implIS3_Lb1EPKaPaPKlPlN2at6native12_GLOBAL__N_18offset_tEEE10hipError_tPvRmT1_PNSt15iterator_traitsISK_E10value_typeET2_T3_PNSL_ISQ_E10value_typeET4_jRbjT5_SW_jjP12ihipStream_tbEUlT_E0_NS1_11comp_targetILNS1_3genE3ELNS1_11target_archE908ELNS1_3gpuE7ELNS1_3repE0EEENS1_60segmented_radix_sort_warp_sort_medium_config_static_selectorELNS0_4arch9wavefront6targetE0EEEvSK_.uses_flat_scratch, 0
	.set _ZN7rocprim17ROCPRIM_400000_NS6detail17trampoline_kernelINS0_14default_configENS1_36segmented_radix_sort_config_selectorIalEEZNS1_25segmented_radix_sort_implIS3_Lb1EPKaPaPKlPlN2at6native12_GLOBAL__N_18offset_tEEE10hipError_tPvRmT1_PNSt15iterator_traitsISK_E10value_typeET2_T3_PNSL_ISQ_E10value_typeET4_jRbjT5_SW_jjP12ihipStream_tbEUlT_E0_NS1_11comp_targetILNS1_3genE3ELNS1_11target_archE908ELNS1_3gpuE7ELNS1_3repE0EEENS1_60segmented_radix_sort_warp_sort_medium_config_static_selectorELNS0_4arch9wavefront6targetE0EEEvSK_.has_dyn_sized_stack, 0
	.set _ZN7rocprim17ROCPRIM_400000_NS6detail17trampoline_kernelINS0_14default_configENS1_36segmented_radix_sort_config_selectorIalEEZNS1_25segmented_radix_sort_implIS3_Lb1EPKaPaPKlPlN2at6native12_GLOBAL__N_18offset_tEEE10hipError_tPvRmT1_PNSt15iterator_traitsISK_E10value_typeET2_T3_PNSL_ISQ_E10value_typeET4_jRbjT5_SW_jjP12ihipStream_tbEUlT_E0_NS1_11comp_targetILNS1_3genE3ELNS1_11target_archE908ELNS1_3gpuE7ELNS1_3repE0EEENS1_60segmented_radix_sort_warp_sort_medium_config_static_selectorELNS0_4arch9wavefront6targetE0EEEvSK_.has_recursion, 0
	.set _ZN7rocprim17ROCPRIM_400000_NS6detail17trampoline_kernelINS0_14default_configENS1_36segmented_radix_sort_config_selectorIalEEZNS1_25segmented_radix_sort_implIS3_Lb1EPKaPaPKlPlN2at6native12_GLOBAL__N_18offset_tEEE10hipError_tPvRmT1_PNSt15iterator_traitsISK_E10value_typeET2_T3_PNSL_ISQ_E10value_typeET4_jRbjT5_SW_jjP12ihipStream_tbEUlT_E0_NS1_11comp_targetILNS1_3genE3ELNS1_11target_archE908ELNS1_3gpuE7ELNS1_3repE0EEENS1_60segmented_radix_sort_warp_sort_medium_config_static_selectorELNS0_4arch9wavefront6targetE0EEEvSK_.has_indirect_call, 0
	.section	.AMDGPU.csdata,"",@progbits
; Kernel info:
; codeLenInByte = 0
; TotalNumSgprs: 0
; NumVgprs: 0
; ScratchSize: 0
; MemoryBound: 0
; FloatMode: 240
; IeeeMode: 1
; LDSByteSize: 0 bytes/workgroup (compile time only)
; SGPRBlocks: 0
; VGPRBlocks: 0
; NumSGPRsForWavesPerEU: 1
; NumVGPRsForWavesPerEU: 1
; Occupancy: 16
; WaveLimiterHint : 0
; COMPUTE_PGM_RSRC2:SCRATCH_EN: 0
; COMPUTE_PGM_RSRC2:USER_SGPR: 2
; COMPUTE_PGM_RSRC2:TRAP_HANDLER: 0
; COMPUTE_PGM_RSRC2:TGID_X_EN: 1
; COMPUTE_PGM_RSRC2:TGID_Y_EN: 0
; COMPUTE_PGM_RSRC2:TGID_Z_EN: 0
; COMPUTE_PGM_RSRC2:TIDIG_COMP_CNT: 0
	.section	.text._ZN7rocprim17ROCPRIM_400000_NS6detail17trampoline_kernelINS0_14default_configENS1_36segmented_radix_sort_config_selectorIalEEZNS1_25segmented_radix_sort_implIS3_Lb1EPKaPaPKlPlN2at6native12_GLOBAL__N_18offset_tEEE10hipError_tPvRmT1_PNSt15iterator_traitsISK_E10value_typeET2_T3_PNSL_ISQ_E10value_typeET4_jRbjT5_SW_jjP12ihipStream_tbEUlT_E0_NS1_11comp_targetILNS1_3genE2ELNS1_11target_archE906ELNS1_3gpuE6ELNS1_3repE0EEENS1_60segmented_radix_sort_warp_sort_medium_config_static_selectorELNS0_4arch9wavefront6targetE0EEEvSK_,"axG",@progbits,_ZN7rocprim17ROCPRIM_400000_NS6detail17trampoline_kernelINS0_14default_configENS1_36segmented_radix_sort_config_selectorIalEEZNS1_25segmented_radix_sort_implIS3_Lb1EPKaPaPKlPlN2at6native12_GLOBAL__N_18offset_tEEE10hipError_tPvRmT1_PNSt15iterator_traitsISK_E10value_typeET2_T3_PNSL_ISQ_E10value_typeET4_jRbjT5_SW_jjP12ihipStream_tbEUlT_E0_NS1_11comp_targetILNS1_3genE2ELNS1_11target_archE906ELNS1_3gpuE6ELNS1_3repE0EEENS1_60segmented_radix_sort_warp_sort_medium_config_static_selectorELNS0_4arch9wavefront6targetE0EEEvSK_,comdat
	.globl	_ZN7rocprim17ROCPRIM_400000_NS6detail17trampoline_kernelINS0_14default_configENS1_36segmented_radix_sort_config_selectorIalEEZNS1_25segmented_radix_sort_implIS3_Lb1EPKaPaPKlPlN2at6native12_GLOBAL__N_18offset_tEEE10hipError_tPvRmT1_PNSt15iterator_traitsISK_E10value_typeET2_T3_PNSL_ISQ_E10value_typeET4_jRbjT5_SW_jjP12ihipStream_tbEUlT_E0_NS1_11comp_targetILNS1_3genE2ELNS1_11target_archE906ELNS1_3gpuE6ELNS1_3repE0EEENS1_60segmented_radix_sort_warp_sort_medium_config_static_selectorELNS0_4arch9wavefront6targetE0EEEvSK_ ; -- Begin function _ZN7rocprim17ROCPRIM_400000_NS6detail17trampoline_kernelINS0_14default_configENS1_36segmented_radix_sort_config_selectorIalEEZNS1_25segmented_radix_sort_implIS3_Lb1EPKaPaPKlPlN2at6native12_GLOBAL__N_18offset_tEEE10hipError_tPvRmT1_PNSt15iterator_traitsISK_E10value_typeET2_T3_PNSL_ISQ_E10value_typeET4_jRbjT5_SW_jjP12ihipStream_tbEUlT_E0_NS1_11comp_targetILNS1_3genE2ELNS1_11target_archE906ELNS1_3gpuE6ELNS1_3repE0EEENS1_60segmented_radix_sort_warp_sort_medium_config_static_selectorELNS0_4arch9wavefront6targetE0EEEvSK_
	.p2align	8
	.type	_ZN7rocprim17ROCPRIM_400000_NS6detail17trampoline_kernelINS0_14default_configENS1_36segmented_radix_sort_config_selectorIalEEZNS1_25segmented_radix_sort_implIS3_Lb1EPKaPaPKlPlN2at6native12_GLOBAL__N_18offset_tEEE10hipError_tPvRmT1_PNSt15iterator_traitsISK_E10value_typeET2_T3_PNSL_ISQ_E10value_typeET4_jRbjT5_SW_jjP12ihipStream_tbEUlT_E0_NS1_11comp_targetILNS1_3genE2ELNS1_11target_archE906ELNS1_3gpuE6ELNS1_3repE0EEENS1_60segmented_radix_sort_warp_sort_medium_config_static_selectorELNS0_4arch9wavefront6targetE0EEEvSK_,@function
_ZN7rocprim17ROCPRIM_400000_NS6detail17trampoline_kernelINS0_14default_configENS1_36segmented_radix_sort_config_selectorIalEEZNS1_25segmented_radix_sort_implIS3_Lb1EPKaPaPKlPlN2at6native12_GLOBAL__N_18offset_tEEE10hipError_tPvRmT1_PNSt15iterator_traitsISK_E10value_typeET2_T3_PNSL_ISQ_E10value_typeET4_jRbjT5_SW_jjP12ihipStream_tbEUlT_E0_NS1_11comp_targetILNS1_3genE2ELNS1_11target_archE906ELNS1_3gpuE6ELNS1_3repE0EEENS1_60segmented_radix_sort_warp_sort_medium_config_static_selectorELNS0_4arch9wavefront6targetE0EEEvSK_: ; @_ZN7rocprim17ROCPRIM_400000_NS6detail17trampoline_kernelINS0_14default_configENS1_36segmented_radix_sort_config_selectorIalEEZNS1_25segmented_radix_sort_implIS3_Lb1EPKaPaPKlPlN2at6native12_GLOBAL__N_18offset_tEEE10hipError_tPvRmT1_PNSt15iterator_traitsISK_E10value_typeET2_T3_PNSL_ISQ_E10value_typeET4_jRbjT5_SW_jjP12ihipStream_tbEUlT_E0_NS1_11comp_targetILNS1_3genE2ELNS1_11target_archE906ELNS1_3gpuE6ELNS1_3repE0EEENS1_60segmented_radix_sort_warp_sort_medium_config_static_selectorELNS0_4arch9wavefront6targetE0EEEvSK_
; %bb.0:
	.section	.rodata,"a",@progbits
	.p2align	6, 0x0
	.amdhsa_kernel _ZN7rocprim17ROCPRIM_400000_NS6detail17trampoline_kernelINS0_14default_configENS1_36segmented_radix_sort_config_selectorIalEEZNS1_25segmented_radix_sort_implIS3_Lb1EPKaPaPKlPlN2at6native12_GLOBAL__N_18offset_tEEE10hipError_tPvRmT1_PNSt15iterator_traitsISK_E10value_typeET2_T3_PNSL_ISQ_E10value_typeET4_jRbjT5_SW_jjP12ihipStream_tbEUlT_E0_NS1_11comp_targetILNS1_3genE2ELNS1_11target_archE906ELNS1_3gpuE6ELNS1_3repE0EEENS1_60segmented_radix_sort_warp_sort_medium_config_static_selectorELNS0_4arch9wavefront6targetE0EEEvSK_
		.amdhsa_group_segment_fixed_size 0
		.amdhsa_private_segment_fixed_size 0
		.amdhsa_kernarg_size 88
		.amdhsa_user_sgpr_count 2
		.amdhsa_user_sgpr_dispatch_ptr 0
		.amdhsa_user_sgpr_queue_ptr 0
		.amdhsa_user_sgpr_kernarg_segment_ptr 1
		.amdhsa_user_sgpr_dispatch_id 0
		.amdhsa_user_sgpr_private_segment_size 0
		.amdhsa_wavefront_size32 1
		.amdhsa_uses_dynamic_stack 0
		.amdhsa_enable_private_segment 0
		.amdhsa_system_sgpr_workgroup_id_x 1
		.amdhsa_system_sgpr_workgroup_id_y 0
		.amdhsa_system_sgpr_workgroup_id_z 0
		.amdhsa_system_sgpr_workgroup_info 0
		.amdhsa_system_vgpr_workitem_id 0
		.amdhsa_next_free_vgpr 1
		.amdhsa_next_free_sgpr 1
		.amdhsa_reserve_vcc 0
		.amdhsa_float_round_mode_32 0
		.amdhsa_float_round_mode_16_64 0
		.amdhsa_float_denorm_mode_32 3
		.amdhsa_float_denorm_mode_16_64 3
		.amdhsa_fp16_overflow 0
		.amdhsa_workgroup_processor_mode 1
		.amdhsa_memory_ordered 1
		.amdhsa_forward_progress 1
		.amdhsa_inst_pref_size 0
		.amdhsa_round_robin_scheduling 0
		.amdhsa_exception_fp_ieee_invalid_op 0
		.amdhsa_exception_fp_denorm_src 0
		.amdhsa_exception_fp_ieee_div_zero 0
		.amdhsa_exception_fp_ieee_overflow 0
		.amdhsa_exception_fp_ieee_underflow 0
		.amdhsa_exception_fp_ieee_inexact 0
		.amdhsa_exception_int_div_zero 0
	.end_amdhsa_kernel
	.section	.text._ZN7rocprim17ROCPRIM_400000_NS6detail17trampoline_kernelINS0_14default_configENS1_36segmented_radix_sort_config_selectorIalEEZNS1_25segmented_radix_sort_implIS3_Lb1EPKaPaPKlPlN2at6native12_GLOBAL__N_18offset_tEEE10hipError_tPvRmT1_PNSt15iterator_traitsISK_E10value_typeET2_T3_PNSL_ISQ_E10value_typeET4_jRbjT5_SW_jjP12ihipStream_tbEUlT_E0_NS1_11comp_targetILNS1_3genE2ELNS1_11target_archE906ELNS1_3gpuE6ELNS1_3repE0EEENS1_60segmented_radix_sort_warp_sort_medium_config_static_selectorELNS0_4arch9wavefront6targetE0EEEvSK_,"axG",@progbits,_ZN7rocprim17ROCPRIM_400000_NS6detail17trampoline_kernelINS0_14default_configENS1_36segmented_radix_sort_config_selectorIalEEZNS1_25segmented_radix_sort_implIS3_Lb1EPKaPaPKlPlN2at6native12_GLOBAL__N_18offset_tEEE10hipError_tPvRmT1_PNSt15iterator_traitsISK_E10value_typeET2_T3_PNSL_ISQ_E10value_typeET4_jRbjT5_SW_jjP12ihipStream_tbEUlT_E0_NS1_11comp_targetILNS1_3genE2ELNS1_11target_archE906ELNS1_3gpuE6ELNS1_3repE0EEENS1_60segmented_radix_sort_warp_sort_medium_config_static_selectorELNS0_4arch9wavefront6targetE0EEEvSK_,comdat
.Lfunc_end304:
	.size	_ZN7rocprim17ROCPRIM_400000_NS6detail17trampoline_kernelINS0_14default_configENS1_36segmented_radix_sort_config_selectorIalEEZNS1_25segmented_radix_sort_implIS3_Lb1EPKaPaPKlPlN2at6native12_GLOBAL__N_18offset_tEEE10hipError_tPvRmT1_PNSt15iterator_traitsISK_E10value_typeET2_T3_PNSL_ISQ_E10value_typeET4_jRbjT5_SW_jjP12ihipStream_tbEUlT_E0_NS1_11comp_targetILNS1_3genE2ELNS1_11target_archE906ELNS1_3gpuE6ELNS1_3repE0EEENS1_60segmented_radix_sort_warp_sort_medium_config_static_selectorELNS0_4arch9wavefront6targetE0EEEvSK_, .Lfunc_end304-_ZN7rocprim17ROCPRIM_400000_NS6detail17trampoline_kernelINS0_14default_configENS1_36segmented_radix_sort_config_selectorIalEEZNS1_25segmented_radix_sort_implIS3_Lb1EPKaPaPKlPlN2at6native12_GLOBAL__N_18offset_tEEE10hipError_tPvRmT1_PNSt15iterator_traitsISK_E10value_typeET2_T3_PNSL_ISQ_E10value_typeET4_jRbjT5_SW_jjP12ihipStream_tbEUlT_E0_NS1_11comp_targetILNS1_3genE2ELNS1_11target_archE906ELNS1_3gpuE6ELNS1_3repE0EEENS1_60segmented_radix_sort_warp_sort_medium_config_static_selectorELNS0_4arch9wavefront6targetE0EEEvSK_
                                        ; -- End function
	.set _ZN7rocprim17ROCPRIM_400000_NS6detail17trampoline_kernelINS0_14default_configENS1_36segmented_radix_sort_config_selectorIalEEZNS1_25segmented_radix_sort_implIS3_Lb1EPKaPaPKlPlN2at6native12_GLOBAL__N_18offset_tEEE10hipError_tPvRmT1_PNSt15iterator_traitsISK_E10value_typeET2_T3_PNSL_ISQ_E10value_typeET4_jRbjT5_SW_jjP12ihipStream_tbEUlT_E0_NS1_11comp_targetILNS1_3genE2ELNS1_11target_archE906ELNS1_3gpuE6ELNS1_3repE0EEENS1_60segmented_radix_sort_warp_sort_medium_config_static_selectorELNS0_4arch9wavefront6targetE0EEEvSK_.num_vgpr, 0
	.set _ZN7rocprim17ROCPRIM_400000_NS6detail17trampoline_kernelINS0_14default_configENS1_36segmented_radix_sort_config_selectorIalEEZNS1_25segmented_radix_sort_implIS3_Lb1EPKaPaPKlPlN2at6native12_GLOBAL__N_18offset_tEEE10hipError_tPvRmT1_PNSt15iterator_traitsISK_E10value_typeET2_T3_PNSL_ISQ_E10value_typeET4_jRbjT5_SW_jjP12ihipStream_tbEUlT_E0_NS1_11comp_targetILNS1_3genE2ELNS1_11target_archE906ELNS1_3gpuE6ELNS1_3repE0EEENS1_60segmented_radix_sort_warp_sort_medium_config_static_selectorELNS0_4arch9wavefront6targetE0EEEvSK_.num_agpr, 0
	.set _ZN7rocprim17ROCPRIM_400000_NS6detail17trampoline_kernelINS0_14default_configENS1_36segmented_radix_sort_config_selectorIalEEZNS1_25segmented_radix_sort_implIS3_Lb1EPKaPaPKlPlN2at6native12_GLOBAL__N_18offset_tEEE10hipError_tPvRmT1_PNSt15iterator_traitsISK_E10value_typeET2_T3_PNSL_ISQ_E10value_typeET4_jRbjT5_SW_jjP12ihipStream_tbEUlT_E0_NS1_11comp_targetILNS1_3genE2ELNS1_11target_archE906ELNS1_3gpuE6ELNS1_3repE0EEENS1_60segmented_radix_sort_warp_sort_medium_config_static_selectorELNS0_4arch9wavefront6targetE0EEEvSK_.numbered_sgpr, 0
	.set _ZN7rocprim17ROCPRIM_400000_NS6detail17trampoline_kernelINS0_14default_configENS1_36segmented_radix_sort_config_selectorIalEEZNS1_25segmented_radix_sort_implIS3_Lb1EPKaPaPKlPlN2at6native12_GLOBAL__N_18offset_tEEE10hipError_tPvRmT1_PNSt15iterator_traitsISK_E10value_typeET2_T3_PNSL_ISQ_E10value_typeET4_jRbjT5_SW_jjP12ihipStream_tbEUlT_E0_NS1_11comp_targetILNS1_3genE2ELNS1_11target_archE906ELNS1_3gpuE6ELNS1_3repE0EEENS1_60segmented_radix_sort_warp_sort_medium_config_static_selectorELNS0_4arch9wavefront6targetE0EEEvSK_.num_named_barrier, 0
	.set _ZN7rocprim17ROCPRIM_400000_NS6detail17trampoline_kernelINS0_14default_configENS1_36segmented_radix_sort_config_selectorIalEEZNS1_25segmented_radix_sort_implIS3_Lb1EPKaPaPKlPlN2at6native12_GLOBAL__N_18offset_tEEE10hipError_tPvRmT1_PNSt15iterator_traitsISK_E10value_typeET2_T3_PNSL_ISQ_E10value_typeET4_jRbjT5_SW_jjP12ihipStream_tbEUlT_E0_NS1_11comp_targetILNS1_3genE2ELNS1_11target_archE906ELNS1_3gpuE6ELNS1_3repE0EEENS1_60segmented_radix_sort_warp_sort_medium_config_static_selectorELNS0_4arch9wavefront6targetE0EEEvSK_.private_seg_size, 0
	.set _ZN7rocprim17ROCPRIM_400000_NS6detail17trampoline_kernelINS0_14default_configENS1_36segmented_radix_sort_config_selectorIalEEZNS1_25segmented_radix_sort_implIS3_Lb1EPKaPaPKlPlN2at6native12_GLOBAL__N_18offset_tEEE10hipError_tPvRmT1_PNSt15iterator_traitsISK_E10value_typeET2_T3_PNSL_ISQ_E10value_typeET4_jRbjT5_SW_jjP12ihipStream_tbEUlT_E0_NS1_11comp_targetILNS1_3genE2ELNS1_11target_archE906ELNS1_3gpuE6ELNS1_3repE0EEENS1_60segmented_radix_sort_warp_sort_medium_config_static_selectorELNS0_4arch9wavefront6targetE0EEEvSK_.uses_vcc, 0
	.set _ZN7rocprim17ROCPRIM_400000_NS6detail17trampoline_kernelINS0_14default_configENS1_36segmented_radix_sort_config_selectorIalEEZNS1_25segmented_radix_sort_implIS3_Lb1EPKaPaPKlPlN2at6native12_GLOBAL__N_18offset_tEEE10hipError_tPvRmT1_PNSt15iterator_traitsISK_E10value_typeET2_T3_PNSL_ISQ_E10value_typeET4_jRbjT5_SW_jjP12ihipStream_tbEUlT_E0_NS1_11comp_targetILNS1_3genE2ELNS1_11target_archE906ELNS1_3gpuE6ELNS1_3repE0EEENS1_60segmented_radix_sort_warp_sort_medium_config_static_selectorELNS0_4arch9wavefront6targetE0EEEvSK_.uses_flat_scratch, 0
	.set _ZN7rocprim17ROCPRIM_400000_NS6detail17trampoline_kernelINS0_14default_configENS1_36segmented_radix_sort_config_selectorIalEEZNS1_25segmented_radix_sort_implIS3_Lb1EPKaPaPKlPlN2at6native12_GLOBAL__N_18offset_tEEE10hipError_tPvRmT1_PNSt15iterator_traitsISK_E10value_typeET2_T3_PNSL_ISQ_E10value_typeET4_jRbjT5_SW_jjP12ihipStream_tbEUlT_E0_NS1_11comp_targetILNS1_3genE2ELNS1_11target_archE906ELNS1_3gpuE6ELNS1_3repE0EEENS1_60segmented_radix_sort_warp_sort_medium_config_static_selectorELNS0_4arch9wavefront6targetE0EEEvSK_.has_dyn_sized_stack, 0
	.set _ZN7rocprim17ROCPRIM_400000_NS6detail17trampoline_kernelINS0_14default_configENS1_36segmented_radix_sort_config_selectorIalEEZNS1_25segmented_radix_sort_implIS3_Lb1EPKaPaPKlPlN2at6native12_GLOBAL__N_18offset_tEEE10hipError_tPvRmT1_PNSt15iterator_traitsISK_E10value_typeET2_T3_PNSL_ISQ_E10value_typeET4_jRbjT5_SW_jjP12ihipStream_tbEUlT_E0_NS1_11comp_targetILNS1_3genE2ELNS1_11target_archE906ELNS1_3gpuE6ELNS1_3repE0EEENS1_60segmented_radix_sort_warp_sort_medium_config_static_selectorELNS0_4arch9wavefront6targetE0EEEvSK_.has_recursion, 0
	.set _ZN7rocprim17ROCPRIM_400000_NS6detail17trampoline_kernelINS0_14default_configENS1_36segmented_radix_sort_config_selectorIalEEZNS1_25segmented_radix_sort_implIS3_Lb1EPKaPaPKlPlN2at6native12_GLOBAL__N_18offset_tEEE10hipError_tPvRmT1_PNSt15iterator_traitsISK_E10value_typeET2_T3_PNSL_ISQ_E10value_typeET4_jRbjT5_SW_jjP12ihipStream_tbEUlT_E0_NS1_11comp_targetILNS1_3genE2ELNS1_11target_archE906ELNS1_3gpuE6ELNS1_3repE0EEENS1_60segmented_radix_sort_warp_sort_medium_config_static_selectorELNS0_4arch9wavefront6targetE0EEEvSK_.has_indirect_call, 0
	.section	.AMDGPU.csdata,"",@progbits
; Kernel info:
; codeLenInByte = 0
; TotalNumSgprs: 0
; NumVgprs: 0
; ScratchSize: 0
; MemoryBound: 0
; FloatMode: 240
; IeeeMode: 1
; LDSByteSize: 0 bytes/workgroup (compile time only)
; SGPRBlocks: 0
; VGPRBlocks: 0
; NumSGPRsForWavesPerEU: 1
; NumVGPRsForWavesPerEU: 1
; Occupancy: 16
; WaveLimiterHint : 0
; COMPUTE_PGM_RSRC2:SCRATCH_EN: 0
; COMPUTE_PGM_RSRC2:USER_SGPR: 2
; COMPUTE_PGM_RSRC2:TRAP_HANDLER: 0
; COMPUTE_PGM_RSRC2:TGID_X_EN: 1
; COMPUTE_PGM_RSRC2:TGID_Y_EN: 0
; COMPUTE_PGM_RSRC2:TGID_Z_EN: 0
; COMPUTE_PGM_RSRC2:TIDIG_COMP_CNT: 0
	.text
	.p2align	2                               ; -- Begin function _ZN7rocprim17ROCPRIM_400000_NS6detail26segmented_warp_sort_helperINS1_20WarpSortHelperConfigILj16ELj8ELj256EEEalLi256ELb1EvE4sortIPKaPaPKlPlEEvT_T0_T1_T2_jjjjRNS5_12storage_typeE
	.type	_ZN7rocprim17ROCPRIM_400000_NS6detail26segmented_warp_sort_helperINS1_20WarpSortHelperConfigILj16ELj8ELj256EEEalLi256ELb1EvE4sortIPKaPaPKlPlEEvT_T0_T1_T2_jjjjRNS5_12storage_typeE,@function
_ZN7rocprim17ROCPRIM_400000_NS6detail26segmented_warp_sort_helperINS1_20WarpSortHelperConfigILj16ELj8ELj256EEEalLi256ELb1EvE4sortIPKaPaPKlPlEEvT_T0_T1_T2_jjjjRNS5_12storage_typeE: ; @_ZN7rocprim17ROCPRIM_400000_NS6detail26segmented_warp_sort_helperINS1_20WarpSortHelperConfigILj16ELj8ELj256EEEalLi256ELb1EvE4sortIPKaPaPKlPlEEvT_T0_T1_T2_jjjjRNS5_12storage_typeE
; %bb.0:
	s_wait_loadcnt_dscnt 0x0
	s_wait_expcnt 0x0
	s_wait_samplecnt 0x0
	s_wait_bvhcnt 0x0
	s_wait_kmcnt 0x0
	v_mbcnt_lo_u32_b32 v12, -1, 0
	v_add_co_u32 v0, vcc_lo, v0, v8
	v_dual_mov_b32 v22, 0x80 :: v_dual_mov_b32 v35, 0x80
	s_delay_alu instid0(VALU_DEP_3)
	v_lshlrev_b32_e32 v34, 3, v12
	v_sub_nc_u32_e32 v12, v9, v8
	v_mov_b32_e32 v9, 0
	s_wait_alu 0xfffd
	v_add_co_ci_u32_e64 v1, null, 0, v1, vcc_lo
	v_dual_mov_b32 v23, v22 :: v_dual_and_b32 v32, 0x78, v34
	v_dual_mov_b32 v38, 0x80 :: v_dual_mov_b32 v39, 0x80
	v_dual_mov_b32 v28, 0x80 :: v_dual_mov_b32 v37, v22
	s_delay_alu instid0(VALU_DEP_3)
	v_add_co_u32 v0, vcc_lo, v0, v32
	s_wait_alu 0xfffd
	v_add_co_ci_u32_e64 v1, null, 0, v1, vcc_lo
	v_cmp_lt_u32_e32 vcc_lo, v32, v12
	v_mov_b32_e32 v36, v22
	s_and_saveexec_b32 s0, vcc_lo
	s_cbranch_execz .LBB305_2
; %bb.1:
	flat_load_u8 v22, v[0:1]
	v_dual_mov_b32 v38, 0x80 :: v_dual_mov_b32 v35, 0x80
	v_dual_mov_b32 v39, 0x80 :: v_dual_mov_b32 v28, 0x80
	v_mov_b32_e32 v37, 0x80
	s_delay_alu instid0(VALU_DEP_3)
	v_dual_mov_b32 v23, v38 :: v_dual_mov_b32 v36, 0x80
.LBB305_2:
	s_wait_alu 0xfffe
	s_or_b32 exec_lo, exec_lo, s0
	v_or_b32_e32 v13, 1, v32
	s_delay_alu instid0(VALU_DEP_1)
	v_cmp_lt_u32_e64 s0, v13, v12
	s_and_saveexec_b32 s1, s0
	s_cbranch_execz .LBB305_4
; %bb.3:
	flat_load_u8 v38, v[0:1] offset:1
.LBB305_4:
	s_wait_alu 0xfffe
	s_or_b32 exec_lo, exec_lo, s1
	v_or_b32_e32 v13, 2, v32
	s_delay_alu instid0(VALU_DEP_1)
	v_cmp_lt_u32_e64 s1, v13, v12
	s_and_saveexec_b32 s2, s1
	s_cbranch_execz .LBB305_6
; %bb.5:
	flat_load_u8 v39, v[0:1] offset:2
.LBB305_6:
	;; [unrolled: 10-line block ×7, first 2 shown]
	s_wait_alu 0xfffe
	s_or_b32 exec_lo, exec_lo, s7
	v_lshlrev_b64_e32 v[0:1], 3, v[8:9]
	v_lshlrev_b32_e32 v33, 3, v32
	; wave barrier
	s_delay_alu instid0(VALU_DEP_2) | instskip(SKIP_1) | instid1(VALU_DEP_3)
	v_add_co_u32 v4, s7, v4, v0
	s_wait_alu 0xf1ff
	v_add_co_ci_u32_e64 v5, null, v5, v1, s7
	s_delay_alu instid0(VALU_DEP_2) | instskip(SKIP_1) | instid1(VALU_DEP_2)
	v_add_co_u32 v29, s7, v4, v33
	s_wait_alu 0xf1ff
	v_add_co_ci_u32_e64 v30, null, 0, v5, s7
                                        ; implicit-def: $vgpr4_vgpr5
	s_and_saveexec_b32 s7, vcc_lo
	s_cbranch_execnz .LBB305_135
; %bb.17:
	s_wait_alu 0xfffe
	s_or_b32 exec_lo, exec_lo, s7
                                        ; implicit-def: $vgpr14_vgpr15
	s_and_saveexec_b32 s7, s0
	s_cbranch_execnz .LBB305_136
.LBB305_18:
	s_wait_alu 0xfffe
	s_or_b32 exec_lo, exec_lo, s7
                                        ; implicit-def: $vgpr16_vgpr17
	s_and_saveexec_b32 s7, s1
	s_cbranch_execnz .LBB305_137
.LBB305_19:
	s_wait_alu 0xfffe
	s_or_b32 exec_lo, exec_lo, s7
                                        ; implicit-def: $vgpr24_vgpr25
	s_and_saveexec_b32 s7, s2
	s_cbranch_execnz .LBB305_138
.LBB305_20:
	s_wait_alu 0xfffe
	s_or_b32 exec_lo, exec_lo, s7
                                        ; implicit-def: $vgpr26_vgpr27
	s_and_saveexec_b32 s7, s3
	s_cbranch_execnz .LBB305_139
.LBB305_21:
	s_wait_alu 0xfffe
	s_or_b32 exec_lo, exec_lo, s7
                                        ; implicit-def: $vgpr20_vgpr21
	s_and_saveexec_b32 s7, s4
	s_cbranch_execnz .LBB305_140
.LBB305_22:
	s_wait_alu 0xfffe
	s_or_b32 exec_lo, exec_lo, s7
                                        ; implicit-def: $vgpr18_vgpr19
	s_and_saveexec_b32 s7, s5
	s_cbranch_execnz .LBB305_141
.LBB305_23:
	s_wait_alu 0xfffe
	s_or_b32 exec_lo, exec_lo, s7
                                        ; implicit-def: $vgpr12_vgpr13
	s_and_saveexec_b32 s7, s6
	s_cbranch_execz .LBB305_25
.LBB305_24:
	flat_load_b64 v[12:13], v[29:30] offset:56
.LBB305_25:
	s_wait_alu 0xfffe
	s_or_b32 exec_lo, exec_lo, s7
	v_cmp_ne_u32_e64 s7, 0, v10
	v_cmp_ne_u32_e64 s10, 8, v11
	v_bfe_u32 v29, v31, 10, 10
	v_bfe_u32 v30, v31, 20, 10
	v_and_b32_e32 v9, 0x3ff, v31
	s_mov_b32 s11, 0
	s_or_b32 s7, s7, s10
	; wave barrier
	s_wait_alu 0xfffe
	s_and_saveexec_b32 s10, s7
	s_wait_alu 0xfffe
	s_xor_b32 s19, exec_lo, s10
	s_cbranch_execz .LBB305_71
; %bb.26:
	s_load_b64 s[12:13], s[8:9], 0x0
	s_and_b32 s7, ttmp7, 0xffff
	v_lshlrev_b32_e64 v11, v11, -1
	v_lshlrev_b32_e64 v10, v10, -1
	s_mov_b32 s17, exec_lo
	s_delay_alu instid0(VALU_DEP_1)
	v_xor_b32_e32 v11, v11, v10
	s_wait_kmcnt 0x0
	s_wait_alu 0xfffe
	s_cmp_lt_u32 s7, s13
	s_cselect_b32 s10, 14, 20
	s_cmp_lt_u32 ttmp9, s12
	s_wait_alu 0xfffe
	s_add_nc_u64 s[14:15], s[8:9], s[10:11]
	s_cselect_b32 s10, 12, 18
	s_load_u16 s7, s[14:15], 0x0
	s_add_nc_u64 s[10:11], s[8:9], s[10:11]
	s_load_u16 s10, s[10:11], 0x0
	s_wait_kmcnt 0x0
	v_mad_u32_u24 v29, v30, s7, v29
	s_delay_alu instid0(VALU_DEP_1) | instskip(NEXT) | instid1(VALU_DEP_1)
	v_mul_lo_u32 v29, v29, s10
	v_add_lshl_u32 v30, v29, v9, 3
	s_delay_alu instid0(VALU_DEP_1)
	v_cmpx_gt_u32_e32 0x800, v30
	s_cbranch_execz .LBB305_30
; %bb.27:
	s_wait_loadcnt_dscnt 0x0
	v_and_b32_e32 v9, v38, v11
	v_and_b32_e32 v10, v22, v11
	v_perm_b32 v28, v39, v28, 0xc0c0004
	v_perm_b32 v29, v38, v22, 0xc0c0004
	;; [unrolled: 1-line block ×3, first 2 shown]
	v_bfe_i32 v9, v9, 0, 8
	v_bfe_i32 v10, v10, 0, 8
	v_lshlrev_b32_e32 v28, 16, v28
	s_delay_alu instid0(VALU_DEP_2) | instskip(NEXT) | instid1(VALU_DEP_2)
	v_cmp_gt_i16_e64 s10, v9, v10
	v_or_b32_e32 v9, v29, v28
	v_or_b32_e32 v10, v22, v28
	v_perm_b32 v22, v23, v37, 0xc0c0004
	v_perm_b32 v23, v36, v35, 0xc0c0004
	s_wait_alu 0xf1ff
	v_cndmask_b32_e64 v28, v14, v4, s10
	v_cndmask_b32_e64 v4, v4, v14, s10
	;; [unrolled: 1-line block ×4, first 2 shown]
	v_lshl_or_b32 v10, v23, 16, v22
	v_cndmask_b32_e64 v5, v5, v15, s10
	s_delay_alu instid0(VALU_DEP_4) | instskip(SKIP_1) | instid1(VALU_DEP_4)
	v_lshrrev_b32_e32 v22, 24, v9
	v_lshrrev_b32_e32 v23, 16, v9
	;; [unrolled: 1-line block ×3, first 2 shown]
	v_and_b32_e32 v35, v10, v11
	s_delay_alu instid0(VALU_DEP_4) | instskip(NEXT) | instid1(VALU_DEP_4)
	v_and_b32_e32 v22, v22, v11
	v_and_b32_e32 v31, v23, v11
	v_perm_b32 v23, 0, v23, 0xc0c0001
	v_and_b32_e32 v29, v29, v11
	v_bfe_i32 v35, v35, 0, 8
	v_bfe_i32 v22, v22, 0, 8
	;; [unrolled: 1-line block ×3, first 2 shown]
	v_lshlrev_b32_e32 v23, 16, v23
	v_bfe_i32 v29, v29, 0, 8
	s_delay_alu instid0(VALU_DEP_3) | instskip(NEXT) | instid1(VALU_DEP_3)
	v_cmp_gt_i16_e64 s7, v22, v31
	v_and_or_b32 v22, 0xffff, v9, v23
	v_perm_b32 v23, v10, v10, 0x7060405
	s_delay_alu instid0(VALU_DEP_4)
	v_cmp_gt_i16_e64 s11, v29, v35
	s_wait_alu 0xf1ff
	v_cndmask_b32_e64 v38, v17, v25, s7
	v_cndmask_b32_e64 v9, v9, v22, s7
	v_cndmask_b32_e64 v17, v25, v17, s7
	v_cndmask_b32_e64 v10, v10, v23, s11
	v_cndmask_b32_e64 v14, v21, v27, s11
	v_cndmask_b32_e64 v29, v24, v16, s7
	v_lshrrev_b32_e32 v23, 16, v9
	v_lshrrev_b32_e32 v31, 8, v9
	;; [unrolled: 1-line block ×4, first 2 shown]
	v_perm_b32 v39, v9, v9, 0x7050604
	v_and_b32_e32 v23, v23, v11
	v_and_b32_e32 v31, v31, v11
	;; [unrolled: 1-line block ×4, first 2 shown]
	v_cndmask_b32_e64 v16, v16, v24, s7
	v_bfe_i32 v23, v23, 0, 8
	v_bfe_i32 v31, v31, 0, 8
	v_bfe_i32 v35, v35, 0, 8
	v_bfe_i32 v36, v36, 0, 8
	v_cndmask_b32_e64 v22, v26, v20, s11
	v_cndmask_b32_e64 v20, v20, v26, s11
	v_cmp_gt_i16_e64 s12, v23, v31
	v_perm_b32 v23, v10, v10, 0x6070504
	v_cmp_gt_i16_e64 s13, v35, v36
	s_wait_alu 0xf1ff
	s_delay_alu instid0(VALU_DEP_3) | instskip(SKIP_1) | instid1(VALU_DEP_3)
	v_cndmask_b32_e64 v9, v9, v39, s12
	v_cndmask_b32_e64 v31, v38, v37, s12
	;; [unrolled: 1-line block ×5, first 2 shown]
	v_lshrrev_b32_e32 v23, 16, v9
	v_lshrrev_b32_e32 v39, 24, v9
	v_lshlrev_b16 v36, 8, v10
	v_and_b32_e32 v48, v10, v11
	v_perm_b32 v25, v9, v10, 0x3020107
	v_and_b32_e32 v23, 0xff, v23
	v_and_b32_e32 v39, v39, v11
	s_delay_alu instid0(VALU_DEP_2) | instskip(SKIP_1) | instid1(VALU_DEP_3)
	v_or_b32_e32 v23, v23, v36
	v_bfe_i32 v36, v48, 0, 8
	v_bfe_i32 v39, v39, 0, 8
	v_cndmask_b32_e64 v48, v27, v21, s11
	s_delay_alu instid0(VALU_DEP_4) | instskip(NEXT) | instid1(VALU_DEP_3)
	v_lshlrev_b32_e32 v23, 16, v23
	v_cmp_gt_i16_e64 s14, v36, v39
	v_cndmask_b32_e64 v39, v28, v16, s12
	v_cndmask_b32_e64 v16, v16, v28, s12
	s_delay_alu instid0(VALU_DEP_4)
	v_and_or_b32 v23, 0xffff, v9, v23
	s_wait_alu 0xf1ff
	v_cndmask_b32_e64 v10, v10, v25, s14
	v_cndmask_b32_e64 v36, v17, v48, s14
	;; [unrolled: 1-line block ×4, first 2 shown]
	s_delay_alu instid0(VALU_DEP_4) | instskip(SKIP_1) | instid1(VALU_DEP_3)
	v_lshrrev_b32_e32 v23, 16, v10
	v_lshrrev_b32_e32 v25, 8, v10
	v_lshrrev_b32_e32 v21, 8, v9
	v_and_b32_e32 v24, v9, v11
	s_delay_alu instid0(VALU_DEP_4) | instskip(NEXT) | instid1(VALU_DEP_4)
	v_and_b32_e32 v23, v23, v11
	v_and_b32_e32 v25, v25, v11
	v_perm_b32 v27, 0, v9, 0xc0c0001
	v_and_b32_e32 v21, v21, v11
	v_bfe_i32 v24, v24, 0, 8
	v_bfe_i32 v23, v23, 0, 8
	;; [unrolled: 1-line block ×3, first 2 shown]
	v_and_or_b32 v27, 0xffff0000, v9, v27
	v_bfe_i32 v21, v21, 0, 8
	s_delay_alu instid0(VALU_DEP_3) | instskip(NEXT) | instid1(VALU_DEP_2)
	v_cmp_gt_i16_e64 s15, v23, v25
	v_cmp_gt_i16_e64 s7, v21, v24
	v_perm_b32 v24, v10, v10, 0x7050604
	v_cndmask_b32_e64 v21, v19, v13, s13
	v_cndmask_b32_e64 v13, v13, v19, s13
	s_wait_alu 0xf1ff
	v_cndmask_b32_e64 v9, v9, v27, s7
	v_cndmask_b32_e64 v10, v10, v24, s15
	v_cndmask_b32_e64 v27, v29, v22, s14
	v_cndmask_b32_e64 v22, v22, v29, s14
	v_cndmask_b32_e64 v25, v14, v21, s15
	v_lshrrev_b32_e32 v24, 24, v9
	v_lshrrev_b32_e32 v26, 16, v9
	;; [unrolled: 1-line block ×3, first 2 shown]
	v_and_b32_e32 v50, v10, v11
	v_cndmask_b32_e64 v14, v21, v14, s15
	v_and_b32_e32 v24, v24, v11
	v_and_b32_e32 v49, v26, v11
	v_perm_b32 v26, 0, v26, 0xc0c0001
	v_and_b32_e32 v28, v28, v11
	v_bfe_i32 v29, v50, 0, 8
	v_bfe_i32 v24, v24, 0, 8
	;; [unrolled: 1-line block ×3, first 2 shown]
	v_lshlrev_b32_e32 v26, 16, v26
	v_bfe_i32 v28, v28, 0, 8
	v_cndmask_b32_e64 v23, v39, v4, s7
	v_cndmask_b32_e64 v4, v4, v39, s7
	v_cmp_gt_i16_e64 s11, v24, v49
	v_and_or_b32 v24, 0xffff, v9, v26
	v_perm_b32 v49, v10, v10, 0x7060405
	v_cmp_gt_i16_e64 s16, v28, v29
	v_cndmask_b32_e64 v29, v37, v38, s12
	v_cndmask_b32_e64 v26, v20, v35, s15
	s_wait_alu 0xf1ff
	v_cndmask_b32_e64 v9, v9, v24, s11
	v_cndmask_b32_e64 v50, v31, v36, s11
	;; [unrolled: 1-line block ×5, first 2 shown]
	v_lshrrev_b32_e32 v18, 16, v9
	v_lshrrev_b32_e32 v24, 8, v9
	;; [unrolled: 1-line block ×4, first 2 shown]
	v_perm_b32 v51, v9, v9, 0x7050604
	v_and_b32_e32 v18, v18, v11
	v_and_b32_e32 v24, v24, v11
	;; [unrolled: 1-line block ×4, first 2 shown]
	v_cndmask_b32_e64 v48, v17, v25, s16
	v_bfe_i32 v18, v18, 0, 8
	v_bfe_i32 v24, v24, 0, 8
	;; [unrolled: 1-line block ×4, first 2 shown]
	v_cndmask_b32_e64 v17, v25, v17, s16
	v_cndmask_b32_e64 v16, v16, v27, s11
	v_cmp_gt_i16_e64 s10, v18, v24
	v_cndmask_b32_e64 v18, v35, v20, s15
	v_perm_b32 v20, v10, v10, 0x6070504
	v_cmp_gt_i16_e64 s12, v37, v38
	v_cndmask_b32_e64 v15, v22, v26, s16
	s_wait_alu 0xf1ff
	v_cndmask_b32_e64 v9, v9, v51, s10
	v_cndmask_b32_e64 v22, v26, v22, s16
	;; [unrolled: 1-line block ×5, first 2 shown]
	v_lshrrev_b32_e32 v20, 16, v9
	v_lshrrev_b32_e32 v38, 24, v9
	v_cndmask_b32_e64 v5, v5, v29, s7
	v_lshlrev_b16 v37, 8, v10
	v_and_b32_e32 v51, v10, v11
	v_and_b32_e32 v20, 0xff, v20
	;; [unrolled: 1-line block ×3, first 2 shown]
	v_perm_b32 v36, v9, v10, 0x3020107
	v_cndmask_b32_e64 v12, v12, v18, s12
	v_cndmask_b32_e64 v24, v50, v49, s10
	v_or_b32_e32 v20, v20, v37
	v_bfe_i32 v37, v51, 0, 8
	v_bfe_i32 v38, v38, 0, 8
	s_delay_alu instid0(VALU_DEP_3) | instskip(NEXT) | instid1(VALU_DEP_2)
	v_lshlrev_b32_e32 v20, 16, v20
	v_cmp_gt_i16_e64 s14, v37, v38
	v_cndmask_b32_e64 v37, v23, v16, s10
	v_cndmask_b32_e64 v16, v16, v23, s10
	s_delay_alu instid0(VALU_DEP_4)
	v_and_or_b32 v20, 0xffff, v9, v20
	s_wait_alu 0xf1ff
	v_cndmask_b32_e64 v10, v10, v36, s14
	v_cndmask_b32_e64 v23, v28, v15, s14
	;; [unrolled: 1-line block ×5, first 2 shown]
	v_lshrrev_b32_e32 v21, 16, v10
	v_lshrrev_b32_e32 v25, 8, v10
	v_cndmask_b32_e64 v31, v48, v31, s14
	v_lshrrev_b32_e32 v20, 8, v9
	v_and_b32_e32 v27, v9, v11
	v_and_b32_e32 v21, v21, v11
	;; [unrolled: 1-line block ×3, first 2 shown]
	v_perm_b32 v36, 0, v9, 0xc0c0001
	v_and_b32_e32 v20, v20, v11
	v_bfe_i32 v27, v27, 0, 8
	v_bfe_i32 v21, v21, 0, 8
	;; [unrolled: 1-line block ×3, first 2 shown]
	v_and_or_b32 v36, 0xffff0000, v9, v36
	v_bfe_i32 v20, v20, 0, 8
	s_delay_alu instid0(VALU_DEP_3) | instskip(NEXT) | instid1(VALU_DEP_2)
	v_cmp_gt_i16_e64 s13, v21, v25
	v_cmp_gt_i16_e64 s11, v20, v27
	v_perm_b32 v27, v10, v10, 0x7050604
	v_cndmask_b32_e64 v20, v14, v13, s12
	v_cndmask_b32_e64 v13, v13, v14, s12
	s_wait_alu 0xf1ff
	v_cndmask_b32_e64 v9, v9, v36, s11
	v_cndmask_b32_e64 v10, v10, v27, s13
	;; [unrolled: 1-line block ×5, first 2 shown]
	v_lshrrev_b32_e32 v26, 24, v9
	v_lshrrev_b32_e32 v27, 16, v9
	;; [unrolled: 1-line block ×3, first 2 shown]
	v_and_b32_e32 v39, v10, v11
	v_cndmask_b32_e64 v4, v4, v37, s11
	v_and_b32_e32 v26, v26, v11
	v_and_b32_e32 v38, v27, v11
	v_perm_b32 v27, 0, v27, 0xc0c0001
	v_and_b32_e32 v36, v36, v11
	v_bfe_i32 v28, v39, 0, 8
	v_bfe_i32 v26, v26, 0, 8
	;; [unrolled: 1-line block ×3, first 2 shown]
	v_lshlrev_b32_e32 v27, 16, v27
	v_bfe_i32 v36, v36, 0, 8
	s_delay_alu instid0(VALU_DEP_3) | instskip(NEXT) | instid1(VALU_DEP_3)
	v_cmp_gt_i16_e64 s15, v26, v38
	v_and_or_b32 v26, 0xffff, v9, v27
	v_perm_b32 v38, v10, v10, 0x7060405
	s_delay_alu instid0(VALU_DEP_4)
	v_cmp_gt_i16_e64 s16, v36, v28
	v_cndmask_b32_e64 v27, v22, v35, s13
	v_cndmask_b32_e64 v36, v49, v50, s10
	s_wait_alu 0xf1ff
	v_cndmask_b32_e64 v9, v9, v26, s15
	v_cndmask_b32_e64 v50, v24, v19, s15
	;; [unrolled: 1-line block ×5, first 2 shown]
	v_lshrrev_b32_e32 v18, 16, v9
	v_lshrrev_b32_e32 v29, 8, v9
	;; [unrolled: 1-line block ×4, first 2 shown]
	v_perm_b32 v51, v9, v9, 0x7050604
	v_and_b32_e32 v18, v18, v11
	v_and_b32_e32 v29, v29, v11
	;; [unrolled: 1-line block ×4, first 2 shown]
	v_cndmask_b32_e64 v16, v16, v23, s15
	v_bfe_i32 v18, v18, 0, 8
	v_bfe_i32 v29, v29, 0, 8
	;; [unrolled: 1-line block ×4, first 2 shown]
	v_cndmask_b32_e64 v48, v31, v25, s16
	v_cndmask_b32_e64 v17, v25, v31, s16
	v_cmp_gt_i16_e64 s7, v18, v29
	v_cndmask_b32_e64 v18, v35, v22, s13
	v_perm_b32 v22, v10, v10, 0x6070504
	v_cmp_gt_i16_e64 s10, v38, v39
	v_cndmask_b32_e64 v49, v36, v5, s11
	s_wait_alu 0xf1ff
	v_cndmask_b32_e64 v9, v9, v51, s7
	v_cndmask_b32_e64 v5, v5, v36, s11
	;; [unrolled: 1-line block ×5, first 2 shown]
	v_lshrrev_b32_e32 v22, 16, v9
	v_lshrrev_b32_e32 v39, 24, v9
	v_cndmask_b32_e64 v15, v27, v15, s16
	v_lshlrev_b16 v38, 8, v10
	v_and_b32_e32 v51, v10, v11
	v_and_b32_e32 v22, 0xff, v22
	;; [unrolled: 1-line block ×3, first 2 shown]
	v_perm_b32 v24, v9, v10, 0x3020107
	v_cndmask_b32_e64 v16, v16, v21, s7
	v_cndmask_b32_e64 v29, v50, v49, s7
	v_or_b32_e32 v22, v22, v38
	v_bfe_i32 v38, v51, 0, 8
	v_bfe_i32 v39, v39, 0, 8
	v_cndmask_b32_e64 v35, v18, v12, s10
	v_cndmask_b32_e64 v12, v12, v18, s10
	v_lshlrev_b32_e32 v22, 16, v22
	s_delay_alu instid0(VALU_DEP_4) | instskip(NEXT) | instid1(VALU_DEP_2)
	v_cmp_gt_i16_e64 s14, v38, v39
	v_and_or_b32 v22, 0xffff, v9, v22
	s_wait_alu 0xf1ff
	s_delay_alu instid0(VALU_DEP_2) | instskip(SKIP_3) | instid1(VALU_DEP_4)
	v_cndmask_b32_e64 v10, v10, v24, s14
	v_cndmask_b32_e64 v38, v19, v48, s14
	;; [unrolled: 1-line block ×4, first 2 shown]
	v_lshrrev_b32_e32 v22, 16, v10
	v_lshrrev_b32_e32 v24, 8, v10
	s_delay_alu instid0(VALU_DEP_3) | instskip(SKIP_1) | instid1(VALU_DEP_4)
	v_lshrrev_b32_e32 v20, 8, v9
	v_and_b32_e32 v23, v9, v11
	v_and_b32_e32 v22, v22, v11
	s_delay_alu instid0(VALU_DEP_4)
	v_and_b32_e32 v24, v24, v11
	v_perm_b32 v25, 0, v9, 0xc0c0001
	v_and_b32_e32 v20, v20, v11
	v_bfe_i32 v23, v23, 0, 8
	v_bfe_i32 v22, v22, 0, 8
	;; [unrolled: 1-line block ×3, first 2 shown]
	v_and_or_b32 v25, 0xffff0000, v9, v25
	v_bfe_i32 v20, v20, 0, 8
	s_delay_alu instid0(VALU_DEP_3) | instskip(NEXT) | instid1(VALU_DEP_2)
	v_cmp_gt_i16_e64 s12, v22, v24
	v_cmp_gt_i16_e64 s11, v20, v23
	v_perm_b32 v23, v10, v10, 0x7050604
	v_cndmask_b32_e64 v20, v14, v13, s10
	v_cndmask_b32_e64 v13, v13, v14, s10
	s_wait_alu 0xf1ff
	v_cndmask_b32_e64 v9, v9, v25, s11
	v_cndmask_b32_e64 v10, v10, v23, s12
	;; [unrolled: 1-line block ×5, first 2 shown]
	v_lshrrev_b32_e32 v23, 24, v9
	v_lshrrev_b32_e32 v24, 16, v9
	v_lshrrev_b32_e32 v21, 8, v10
	v_and_b32_e32 v36, v10, v11
	v_cndmask_b32_e64 v22, v31, v4, s11
	v_and_b32_e32 v23, v23, v11
	v_and_b32_e32 v27, v24, v11
	v_perm_b32 v24, 0, v24, 0xc0c0001
	v_and_b32_e32 v21, v21, v11
	v_bfe_i32 v28, v36, 0, 8
	v_bfe_i32 v23, v23, 0, 8
	;; [unrolled: 1-line block ×3, first 2 shown]
	v_lshlrev_b32_e32 v24, 16, v24
	v_bfe_i32 v21, v21, 0, 8
	v_cndmask_b32_e64 v4, v4, v31, s11
	s_delay_alu instid0(VALU_DEP_4) | instskip(NEXT) | instid1(VALU_DEP_4)
	v_cmp_gt_i16_e64 s13, v23, v27
	v_and_or_b32 v23, 0xffff, v9, v24
	v_perm_b32 v27, v10, v10, 0x7060405
	v_cmp_gt_i16_e64 s15, v21, v28
	v_cndmask_b32_e64 v24, v15, v35, s12
	s_wait_alu 0xf1ff
	v_cndmask_b32_e64 v28, v25, v16, s13
	v_cndmask_b32_e64 v9, v9, v23, s13
	;; [unrolled: 1-line block ×6, first 2 shown]
	v_lshrrev_b32_e32 v21, 16, v9
	v_lshrrev_b32_e32 v23, 8, v9
	;; [unrolled: 1-line block ×4, first 2 shown]
	v_perm_b32 v49, v9, v9, 0x7050604
	v_and_b32_e32 v21, v21, v11
	v_and_b32_e32 v23, v23, v11
	;; [unrolled: 1-line block ×4, first 2 shown]
	v_cndmask_b32_e64 v37, v10, v5, s11
	v_bfe_i32 v21, v21, 0, 8
	v_bfe_i32 v23, v23, 0, 8
	;; [unrolled: 1-line block ×4, first 2 shown]
	v_cndmask_b32_e64 v5, v5, v10, s11
	v_cndmask_b32_e64 v15, v35, v15, s12
	v_cmp_gt_i16_e64 s7, v21, v23
	v_cndmask_b32_e64 v23, v20, v17, s12
	v_perm_b32 v20, v14, v14, 0x6070504
	v_cmp_gt_i16_e64 s10, v27, v36
	v_cndmask_b32_e64 v27, v19, v18, s15
	s_wait_alu 0xf1ff
	v_cndmask_b32_e64 v49, v9, v49, s7
	v_cndmask_b32_e64 v21, v18, v19, s15
	;; [unrolled: 1-line block ×5, first 2 shown]
	v_lshrrev_b32_e32 v9, 24, v49
	v_lshrrev_b32_e32 v24, 16, v49
	v_cndmask_b32_e64 v26, v16, v25, s13
	v_and_b32_e32 v18, v14, v11
	v_lshlrev_b16 v16, 8, v14
	v_and_b32_e32 v9, v9, v11
	v_and_b32_e32 v24, 0xff, v24
	v_perm_b32 v29, v49, v14, 0x3020107
	v_bfe_i32 v18, v18, 0, 8
	v_cndmask_b32_e64 v10, v23, v13, s10
	v_bfe_i32 v9, v9, 0, 8
	v_cndmask_b32_e64 v13, v13, v23, s10
	v_cndmask_b32_e64 v17, v48, v37, s7
	s_delay_alu instid0(VALU_DEP_3)
	v_cmp_gt_i16_e64 s11, v18, v9
	v_or_b32_e32 v18, v24, v16
	v_cndmask_b32_e64 v9, v15, v12, s10
	v_cndmask_b32_e64 v12, v12, v15, s10
	;; [unrolled: 1-line block ×3, first 2 shown]
	s_wait_alu 0xf1ff
	v_cndmask_b32_e64 v23, v14, v29, s11
	v_lshlrev_b32_e32 v18, 16, v18
	v_cndmask_b32_e64 v25, v19, v27, s11
	v_cndmask_b32_e64 v16, v26, v22, s7
	;; [unrolled: 1-line block ×3, first 2 shown]
	v_lshrrev_b32_e32 v36, 16, v23
	v_lshrrev_b32_e32 v37, 8, v23
	v_and_or_b32 v18, 0xffff, v49, v18
	v_cndmask_b32_e64 v27, v27, v19, s11
	v_cndmask_b32_e64 v24, v28, v39, s11
	v_and_b32_e32 v29, v36, v11
	v_and_b32_e32 v31, v37, v11
	v_cndmask_b32_e64 v22, v49, v18, s11
	v_cndmask_b32_e64 v26, v39, v28, s11
	v_lshrrev_b32_e32 v35, 24, v23
	v_bfe_i32 v18, v29, 0, 8
	v_bfe_i32 v19, v31, 0, 8
	v_lshrrev_b64 v[28:29], 24, v[22:23]
	v_lshrrev_b32_e32 v39, 16, v22
	v_lshrrev_b32_e32 v38, 8, v22
	s_delay_alu instid0(VALU_DEP_4)
	v_cmp_gt_i16_e64 s7, v18, v19
	v_dual_mov_b32 v19, v10 :: v_dual_mov_b32 v18, v9
	s_and_saveexec_b32 s10, s7
; %bb.28:
	v_dual_mov_b32 v29, v37 :: v_dual_mov_b32 v18, v20
	v_swap_b32 v37, v36
	v_mov_b32_e32 v19, v21
	v_dual_mov_b32 v21, v10 :: v_dual_mov_b32 v20, v9
; %bb.29:
	s_wait_alu 0xfffe
	s_or_b32 exec_lo, exec_lo, s10
.LBB305_30:
	s_delay_alu instid0(SALU_CYCLE_1)
	s_or_b32 exec_lo, exec_lo, s17
	v_and_b32_e32 v10, 0xffffff00, v30
	v_or_b32_e32 v29, 8, v34
	v_and_b32_e32 v48, 8, v34
	v_and_b32_e32 v49, 0xf0, v34
	s_mov_b32 s10, exec_lo
	v_sub_nc_u32_e64 v30, 0x800, v10 clamp
	v_lshlrev_b32_e32 v9, 3, v10
	v_or_b32_e32 v53, v10, v34
	s_delay_alu instid0(VALU_DEP_3) | instskip(SKIP_1) | instid1(VALU_DEP_4)
	v_min_u32_e32 v31, v30, v29
	v_min_u32_e32 v50, v30, v48
	v_lshl_or_b32 v29, v34, 3, v9
	s_wait_loadcnt_dscnt 0x0
	ds_store_b8 v53, v22
	ds_store_b64 v29, v[4:5] offset:2048
	ds_store_b8 v53, v38 offset:1
	v_add_nc_u32_e32 v51, 8, v31
	v_sub_nc_u32_e32 v52, v31, v49
	ds_store_b64 v29, v[14:15] offset:2056
	ds_store_b8 v53, v39 offset:2
	ds_store_b64 v29, v[16:17] offset:2064
	ds_store_b8 v53, v28 offset:3
	;; [unrolled: 2-line block ×6, first 2 shown]
	ds_store_b64 v29, v[12:13] offset:2104
	v_min_u32_e32 v48, v30, v51
	v_min_u32_e32 v52, v50, v52
	; wave barrier
	s_delay_alu instid0(VALU_DEP_2) | instskip(NEXT) | instid1(VALU_DEP_1)
	v_sub_nc_u32_e32 v51, v48, v31
	v_sub_nc_u32_e64 v51, v50, v51 clamp
	s_delay_alu instid0(VALU_DEP_1)
	v_cmpx_lt_u32_e64 v51, v52
	s_cbranch_execz .LBB305_34
; %bb.31:
	v_add_nc_u32_e32 v53, v10, v49
	v_add3_u32 v54, v10, v31, v50
	s_mov_b32 s11, 0
.LBB305_32:                             ; =>This Inner Loop Header: Depth=1
	v_add_nc_u32_e32 v55, v52, v51
	s_delay_alu instid0(VALU_DEP_1) | instskip(NEXT) | instid1(VALU_DEP_1)
	v_lshrrev_b32_e32 v55, 1, v55
	v_xad_u32 v64, v55, -1, v54
	v_add_nc_u32_e32 v65, v53, v55
	v_add_nc_u32_e32 v66, 1, v55
	ds_load_u8 v64, v64
	ds_load_u8 v65, v65
	s_wait_dscnt 0x1
	v_and_b32_e32 v64, v64, v11
	s_wait_dscnt 0x0
	v_and_b32_e32 v65, v65, v11
	s_delay_alu instid0(VALU_DEP_2) | instskip(NEXT) | instid1(VALU_DEP_2)
	v_bfe_i32 v64, v64, 0, 8
	v_bfe_i32 v65, v65, 0, 8
	s_delay_alu instid0(VALU_DEP_1) | instskip(SKIP_1) | instid1(VALU_DEP_1)
	v_cmp_gt_i16_e64 s7, v64, v65
	s_wait_alu 0xf1ff
	v_cndmask_b32_e64 v52, v52, v55, s7
	v_cndmask_b32_e64 v51, v66, v51, s7
	s_delay_alu instid0(VALU_DEP_1)
	v_cmp_ge_u32_e64 s7, v51, v52
	s_wait_alu 0xfffe
	s_or_b32 s11, s7, s11
	s_wait_alu 0xfffe
	s_and_not1_b32 exec_lo, exec_lo, s11
	s_cbranch_execnz .LBB305_32
; %bb.33:
	s_or_b32 exec_lo, exec_lo, s11
.LBB305_34:
	s_wait_alu 0xfffe
	s_or_b32 exec_lo, exec_lo, s10
	v_add_nc_u32_e32 v52, v31, v50
	v_add_nc_u32_e32 v50, v51, v49
	s_delay_alu instid0(VALU_DEP_2) | instskip(NEXT) | instid1(VALU_DEP_2)
	v_sub_nc_u32_e32 v49, v52, v51
	v_cmp_le_u32_e64 s7, v50, v31
	s_delay_alu instid0(VALU_DEP_2)
	v_cmp_le_u32_e64 s10, v49, v48
	s_or_b32 s7, s7, s10
	s_wait_alu 0xfffe
	s_and_saveexec_b32 s20, s7
	s_cbranch_execz .LBB305_40
; %bb.35:
	v_cmp_lt_u32_e64 s7, v50, v31
                                        ; implicit-def: $vgpr22
	s_and_saveexec_b32 s10, s7
; %bb.36:
	v_add_nc_u32_e32 v4, v10, v50
	ds_load_u8 v22, v4
; %bb.37:
	s_wait_alu 0xfffe
	s_or_b32 exec_lo, exec_lo, s10
	v_cmp_ge_u32_e64 s10, v49, v48
	s_mov_b32 s12, exec_lo
                                        ; implicit-def: $vgpr23
	v_cmpx_lt_u32_e64 v49, v48
; %bb.38:
	v_add_nc_u32_e32 v4, v10, v49
	ds_load_u8 v23, v4
; %bb.39:
	s_wait_alu 0xfffe
	s_or_b32 exec_lo, exec_lo, s12
	s_wait_dscnt 0x0
	v_and_b32_e32 v4, v23, v11
	v_and_b32_e32 v5, v22, v11
	s_delay_alu instid0(VALU_DEP_2) | instskip(NEXT) | instid1(VALU_DEP_2)
	v_bfe_i32 v4, v4, 0, 8
	v_bfe_i32 v5, v5, 0, 8
	s_delay_alu instid0(VALU_DEP_1)
	v_cmp_le_i16_e64 s11, v4, v5
	s_and_b32 s7, s7, s11
	s_wait_alu 0xfffe
	s_or_b32 s7, s10, s7
	s_wait_alu 0xfffe
	v_cndmask_b32_e64 v4, v49, v50, s7
	v_cndmask_b32_e64 v5, v48, v31, s7
	s_delay_alu instid0(VALU_DEP_2) | instskip(NEXT) | instid1(VALU_DEP_2)
	v_add_nc_u32_e32 v12, 1, v4
	v_add_nc_u32_e32 v5, -1, v5
	v_lshl_add_u32 v4, v4, 3, v9
	s_delay_alu instid0(VALU_DEP_3) | instskip(NEXT) | instid1(VALU_DEP_3)
	v_cndmask_b32_e64 v14, v50, v12, s7
	v_min_u32_e32 v5, v12, v5
	v_cndmask_b32_e64 v12, v12, v49, s7
	s_delay_alu instid0(VALU_DEP_3) | instskip(NEXT) | instid1(VALU_DEP_3)
	v_cmp_lt_u32_e64 s10, v14, v31
	v_add_nc_u32_e32 v5, v10, v5
	s_delay_alu instid0(VALU_DEP_3)
	v_cmp_ge_u32_e64 s12, v12, v48
	ds_load_u8 v5, v5
	s_wait_dscnt 0x0
	v_cndmask_b32_e64 v28, v5, v23, s7
	v_cndmask_b32_e64 v35, v22, v5, s7
	;; [unrolled: 1-line block ×3, first 2 shown]
	s_delay_alu instid0(VALU_DEP_3) | instskip(NEXT) | instid1(VALU_DEP_3)
	v_and_b32_e32 v5, v28, v11
	v_and_b32_e32 v13, v35, v11
	s_delay_alu instid0(VALU_DEP_2) | instskip(NEXT) | instid1(VALU_DEP_2)
	v_bfe_i32 v5, v5, 0, 8
	v_bfe_i32 v13, v13, 0, 8
	s_delay_alu instid0(VALU_DEP_1)
	v_cmp_le_i16_e64 s11, v5, v13
	s_and_b32 s10, s10, s11
	s_wait_alu 0xfffe
	s_or_b32 s10, s12, s10
	s_wait_alu 0xfffe
	v_cndmask_b32_e64 v5, v12, v14, s10
	v_cndmask_b32_e64 v13, v48, v31, s10
	;; [unrolled: 1-line block ×3, first 2 shown]
	s_delay_alu instid0(VALU_DEP_3) | instskip(NEXT) | instid1(VALU_DEP_3)
	v_add_nc_u32_e32 v15, 1, v5
	v_add_nc_u32_e32 v13, -1, v13
	s_delay_alu instid0(VALU_DEP_2) | instskip(NEXT) | instid1(VALU_DEP_2)
	v_cndmask_b32_e64 v14, v14, v15, s10
	v_min_u32_e32 v13, v15, v13
	v_cndmask_b32_e64 v12, v15, v12, s10
	s_delay_alu instid0(VALU_DEP_3) | instskip(NEXT) | instid1(VALU_DEP_3)
	v_cmp_lt_u32_e64 s11, v14, v31
	v_add_nc_u32_e32 v13, v10, v13
	s_delay_alu instid0(VALU_DEP_3) | instskip(SKIP_4) | instid1(VALU_DEP_2)
	v_cmp_ge_u32_e64 s13, v12, v48
	ds_load_u8 v13, v13
	s_wait_dscnt 0x0
	v_cndmask_b32_e64 v36, v13, v28, s10
	v_cndmask_b32_e64 v37, v35, v13, s10
	v_and_b32_e32 v13, v36, v11
	s_delay_alu instid0(VALU_DEP_2) | instskip(NEXT) | instid1(VALU_DEP_2)
	v_and_b32_e32 v16, v37, v11
	v_bfe_i32 v13, v13, 0, 8
	s_delay_alu instid0(VALU_DEP_2) | instskip(NEXT) | instid1(VALU_DEP_1)
	v_bfe_i32 v16, v16, 0, 8
	v_cmp_le_i16_e64 s12, v13, v16
	s_and_b32 s11, s11, s12
	s_wait_alu 0xfffe
	s_or_b32 s11, s13, s11
	s_wait_alu 0xfffe
	v_cndmask_b32_e64 v13, v12, v14, s11
	v_cndmask_b32_e64 v15, v48, v31, s11
	;; [unrolled: 1-line block ×3, first 2 shown]
	s_delay_alu instid0(VALU_DEP_3) | instskip(NEXT) | instid1(VALU_DEP_3)
	v_add_nc_u32_e32 v16, 1, v13
	v_add_nc_u32_e32 v15, -1, v15
	v_lshl_add_u32 v13, v13, 3, v9
	s_delay_alu instid0(VALU_DEP_3) | instskip(NEXT) | instid1(VALU_DEP_3)
	v_cndmask_b32_e64 v14, v14, v16, s11
	v_min_u32_e32 v15, v16, v15
	v_cndmask_b32_e64 v12, v16, v12, s11
	s_delay_alu instid0(VALU_DEP_3) | instskip(NEXT) | instid1(VALU_DEP_3)
	v_cmp_lt_u32_e64 s12, v14, v31
	v_add_nc_u32_e32 v15, v10, v15
	s_delay_alu instid0(VALU_DEP_3) | instskip(SKIP_4) | instid1(VALU_DEP_2)
	v_cmp_ge_u32_e64 s14, v12, v48
	ds_load_u8 v15, v15
	s_wait_dscnt 0x0
	v_cndmask_b32_e64 v49, v15, v36, s11
	v_cndmask_b32_e64 v50, v37, v15, s11
	v_and_b32_e32 v15, v49, v11
	s_delay_alu instid0(VALU_DEP_2) | instskip(NEXT) | instid1(VALU_DEP_2)
	v_and_b32_e32 v17, v50, v11
	v_bfe_i32 v15, v15, 0, 8
	s_delay_alu instid0(VALU_DEP_2) | instskip(NEXT) | instid1(VALU_DEP_1)
	v_bfe_i32 v17, v17, 0, 8
	v_cmp_le_i16_e64 s13, v15, v17
	s_and_b32 s12, s12, s13
	s_wait_alu 0xfffe
	s_or_b32 s12, s14, s12
	s_wait_alu 0xfffe
	v_cndmask_b32_e64 v18, v12, v14, s12
	v_cndmask_b32_e64 v15, v48, v31, s12
	v_cndmask_b32_e64 v28, v49, v50, s12
	s_delay_alu instid0(VALU_DEP_3) | instskip(NEXT) | instid1(VALU_DEP_3)
	v_add_nc_u32_e32 v16, 1, v18
	v_add_nc_u32_e32 v15, -1, v15
	s_delay_alu instid0(VALU_DEP_2) | instskip(NEXT) | instid1(VALU_DEP_2)
	v_cndmask_b32_e64 v14, v14, v16, s12
	v_min_u32_e32 v15, v16, v15
	v_cndmask_b32_e64 v12, v16, v12, s12
	s_delay_alu instid0(VALU_DEP_3) | instskip(NEXT) | instid1(VALU_DEP_3)
	v_cmp_lt_u32_e64 s13, v14, v31
	v_add_nc_u32_e32 v15, v10, v15
	s_delay_alu instid0(VALU_DEP_3) | instskip(SKIP_4) | instid1(VALU_DEP_2)
	v_cmp_ge_u32_e64 s15, v12, v48
	ds_load_u8 v15, v15
	s_wait_dscnt 0x0
	v_cndmask_b32_e64 v51, v15, v49, s12
	v_cndmask_b32_e64 v52, v50, v15, s12
	v_and_b32_e32 v15, v51, v11
	s_delay_alu instid0(VALU_DEP_2) | instskip(NEXT) | instid1(VALU_DEP_2)
	v_and_b32_e32 v17, v52, v11
	v_bfe_i32 v15, v15, 0, 8
	s_delay_alu instid0(VALU_DEP_2) | instskip(NEXT) | instid1(VALU_DEP_1)
	v_bfe_i32 v17, v17, 0, 8
	v_cmp_le_i16_e64 s14, v15, v17
	s_and_b32 s13, s13, s14
	s_wait_alu 0xfffe
	s_or_b32 s13, s15, s13
	s_wait_alu 0xfffe
	v_cndmask_b32_e64 v19, v12, v14, s13
	v_cndmask_b32_e64 v15, v48, v31, s13
	v_cndmask_b32_e64 v23, v51, v52, s13
	s_delay_alu instid0(VALU_DEP_3) | instskip(NEXT) | instid1(VALU_DEP_3)
	v_add_nc_u32_e32 v16, 1, v19
	v_add_nc_u32_e32 v15, -1, v15
	s_delay_alu instid0(VALU_DEP_2) | instskip(NEXT) | instid1(VALU_DEP_2)
	;; [unrolled: 30-line block ×4, first 2 shown]
	v_cndmask_b32_e64 v24, v14, v16, s15
	v_min_u32_e32 v15, v16, v15
	v_cndmask_b32_e64 v12, v16, v12, s15
	v_lshl_add_u32 v16, v5, 3, v9
	s_delay_alu instid0(VALU_DEP_4) | instskip(NEXT) | instid1(VALU_DEP_4)
	v_cmp_lt_u32_e64 s16, v24, v31
	v_add_nc_u32_e32 v15, v10, v15
	s_delay_alu instid0(VALU_DEP_4)
	v_cmp_ge_u32_e64 s18, v12, v48
	v_lshl_add_u32 v31, v21, 3, v9
	ds_load_u8 v15, v15
	s_wait_dscnt 0x0
	v_cndmask_b32_e64 v65, v15, v55, s15
	v_cndmask_b32_e64 v66, v64, v15, s15
	s_delay_alu instid0(VALU_DEP_2) | instskip(NEXT) | instid1(VALU_DEP_2)
	v_and_b32_e32 v15, v65, v11
	v_and_b32_e32 v17, v66, v11
	s_delay_alu instid0(VALU_DEP_2) | instskip(NEXT) | instid1(VALU_DEP_2)
	v_bfe_i32 v14, v15, 0, 8
	v_bfe_i32 v15, v17, 0, 8
	s_delay_alu instid0(VALU_DEP_1)
	v_cmp_le_i16_e64 s17, v14, v15
	ds_load_b64 v[4:5], v4 offset:2048
	ds_load_b64 v[14:15], v16 offset:2048
	;; [unrolled: 1-line block ×3, first 2 shown]
	v_lshl_add_u32 v13, v18, 3, v9
	v_lshl_add_u32 v18, v19, 3, v9
	s_and_b32 s16, s16, s17
	v_lshl_add_u32 v19, v20, 3, v9
	s_wait_alu 0xfffe
	s_or_b32 s16, s18, s16
	s_wait_alu 0xfffe
	v_cndmask_b32_e64 v12, v12, v24, s16
	v_cndmask_b32_e64 v35, v65, v66, s16
	s_delay_alu instid0(VALU_DEP_2)
	v_lshl_add_u32 v12, v12, 3, v9
	ds_load_b64 v[24:25], v13 offset:2048
	ds_load_b64 v[26:27], v18 offset:2048
	ds_load_b64 v[20:21], v19 offset:2048
	ds_load_b64 v[18:19], v31 offset:2048
	ds_load_b64 v[12:13], v12 offset:2048
.LBB305_40:
	s_wait_alu 0xfffe
	s_or_b32 exec_lo, exec_lo, s20
	v_and_b32_e32 v50, 0xe0, v34
	v_and_b32_e32 v51, 24, v34
	s_mov_b32 s10, exec_lo
	; wave barrier
	s_delay_alu instid0(VALU_DEP_2) | instskip(NEXT) | instid1(VALU_DEP_2)
	v_or_b32_e32 v31, 16, v50
	v_min_u32_e32 v51, v30, v51
	s_delay_alu instid0(VALU_DEP_2)
	v_min_u32_e32 v48, v30, v31
	v_add_nc_u32_e32 v31, v10, v34
	ds_store_b8 v31, v22
	s_wait_dscnt 0x8
	ds_store_b64 v29, v[4:5] offset:2048
	ds_store_b8 v31, v38 offset:1
	s_wait_dscnt 0x9
	ds_store_b64 v29, v[14:15] offset:2056
	v_add_nc_u32_e32 v49, 16, v48
	v_sub_nc_u32_e32 v53, v48, v50
	ds_store_b8 v31, v39 offset:2
	s_wait_dscnt 0xa
	ds_store_b64 v29, v[16:17] offset:2064
	ds_store_b8 v31, v28 offset:3
	s_wait_dscnt 0xb
	ds_store_b64 v29, v[24:25] offset:2072
	;; [unrolled: 3-line block ×6, first 2 shown]
	v_min_u32_e32 v49, v30, v49
	v_min_u32_e32 v53, v51, v53
	; wave barrier
	s_delay_alu instid0(VALU_DEP_2) | instskip(NEXT) | instid1(VALU_DEP_1)
	v_sub_nc_u32_e32 v52, v49, v48
	v_sub_nc_u32_e64 v52, v51, v52 clamp
	s_delay_alu instid0(VALU_DEP_1)
	v_cmpx_lt_u32_e64 v52, v53
	s_cbranch_execz .LBB305_44
; %bb.41:
	v_add_nc_u32_e32 v54, v10, v50
	v_add3_u32 v55, v10, v48, v51
	s_mov_b32 s11, 0
.LBB305_42:                             ; =>This Inner Loop Header: Depth=1
	v_add_nc_u32_e32 v64, v53, v52
	s_delay_alu instid0(VALU_DEP_1) | instskip(NEXT) | instid1(VALU_DEP_1)
	v_lshrrev_b32_e32 v64, 1, v64
	v_xad_u32 v65, v64, -1, v55
	v_add_nc_u32_e32 v66, v54, v64
	v_add_nc_u32_e32 v67, 1, v64
	ds_load_u8 v65, v65
	ds_load_u8 v66, v66
	s_wait_dscnt 0x1
	v_and_b32_e32 v65, v65, v11
	s_wait_dscnt 0x0
	v_and_b32_e32 v66, v66, v11
	s_delay_alu instid0(VALU_DEP_2) | instskip(NEXT) | instid1(VALU_DEP_2)
	v_bfe_i32 v65, v65, 0, 8
	v_bfe_i32 v66, v66, 0, 8
	s_delay_alu instid0(VALU_DEP_1) | instskip(SKIP_1) | instid1(VALU_DEP_1)
	v_cmp_gt_i16_e64 s7, v65, v66
	s_wait_alu 0xf1ff
	v_cndmask_b32_e64 v53, v53, v64, s7
	v_cndmask_b32_e64 v52, v67, v52, s7
	s_delay_alu instid0(VALU_DEP_1)
	v_cmp_ge_u32_e64 s7, v52, v53
	s_wait_alu 0xfffe
	s_or_b32 s11, s7, s11
	s_wait_alu 0xfffe
	s_and_not1_b32 exec_lo, exec_lo, s11
	s_cbranch_execnz .LBB305_42
; %bb.43:
	s_or_b32 exec_lo, exec_lo, s11
.LBB305_44:
	s_wait_alu 0xfffe
	s_or_b32 exec_lo, exec_lo, s10
	v_add_nc_u32_e32 v53, v48, v51
	v_add_nc_u32_e32 v51, v52, v50
	s_delay_alu instid0(VALU_DEP_2) | instskip(NEXT) | instid1(VALU_DEP_2)
	v_sub_nc_u32_e32 v50, v53, v52
	v_cmp_le_u32_e64 s7, v51, v48
	s_delay_alu instid0(VALU_DEP_2)
	v_cmp_le_u32_e64 s10, v50, v49
	s_or_b32 s7, s7, s10
	s_wait_alu 0xfffe
	s_and_saveexec_b32 s20, s7
	s_cbranch_execz .LBB305_50
; %bb.45:
	v_cmp_lt_u32_e64 s7, v51, v48
                                        ; implicit-def: $vgpr22
	s_and_saveexec_b32 s10, s7
; %bb.46:
	v_add_nc_u32_e32 v4, v10, v51
	ds_load_u8 v22, v4
; %bb.47:
	s_wait_alu 0xfffe
	s_or_b32 exec_lo, exec_lo, s10
	v_cmp_ge_u32_e64 s10, v50, v49
	s_mov_b32 s12, exec_lo
                                        ; implicit-def: $vgpr23
	v_cmpx_lt_u32_e64 v50, v49
; %bb.48:
	v_add_nc_u32_e32 v4, v10, v50
	ds_load_u8 v23, v4
; %bb.49:
	s_wait_alu 0xfffe
	s_or_b32 exec_lo, exec_lo, s12
	s_wait_dscnt 0x0
	v_and_b32_e32 v4, v23, v11
	v_and_b32_e32 v5, v22, v11
	s_delay_alu instid0(VALU_DEP_2) | instskip(NEXT) | instid1(VALU_DEP_2)
	v_bfe_i32 v4, v4, 0, 8
	v_bfe_i32 v5, v5, 0, 8
	s_delay_alu instid0(VALU_DEP_1)
	v_cmp_le_i16_e64 s11, v4, v5
	s_and_b32 s7, s7, s11
	s_wait_alu 0xfffe
	s_or_b32 s7, s10, s7
	s_wait_alu 0xfffe
	v_cndmask_b32_e64 v4, v50, v51, s7
	v_cndmask_b32_e64 v5, v49, v48, s7
	s_delay_alu instid0(VALU_DEP_2) | instskip(NEXT) | instid1(VALU_DEP_2)
	v_add_nc_u32_e32 v12, 1, v4
	v_add_nc_u32_e32 v5, -1, v5
	v_lshl_add_u32 v4, v4, 3, v9
	s_delay_alu instid0(VALU_DEP_3) | instskip(NEXT) | instid1(VALU_DEP_3)
	v_cndmask_b32_e64 v14, v51, v12, s7
	v_min_u32_e32 v5, v12, v5
	v_cndmask_b32_e64 v12, v12, v50, s7
	s_delay_alu instid0(VALU_DEP_3) | instskip(NEXT) | instid1(VALU_DEP_3)
	v_cmp_lt_u32_e64 s10, v14, v48
	v_add_nc_u32_e32 v5, v10, v5
	s_delay_alu instid0(VALU_DEP_3)
	v_cmp_ge_u32_e64 s12, v12, v49
	ds_load_u8 v5, v5
	s_wait_dscnt 0x0
	v_cndmask_b32_e64 v28, v5, v23, s7
	v_cndmask_b32_e64 v35, v22, v5, s7
	;; [unrolled: 1-line block ×3, first 2 shown]
	s_delay_alu instid0(VALU_DEP_3) | instskip(NEXT) | instid1(VALU_DEP_3)
	v_and_b32_e32 v5, v28, v11
	v_and_b32_e32 v13, v35, v11
	s_delay_alu instid0(VALU_DEP_2) | instskip(NEXT) | instid1(VALU_DEP_2)
	v_bfe_i32 v5, v5, 0, 8
	v_bfe_i32 v13, v13, 0, 8
	s_delay_alu instid0(VALU_DEP_1)
	v_cmp_le_i16_e64 s11, v5, v13
	s_and_b32 s10, s10, s11
	s_wait_alu 0xfffe
	s_or_b32 s10, s12, s10
	s_wait_alu 0xfffe
	v_cndmask_b32_e64 v5, v12, v14, s10
	v_cndmask_b32_e64 v13, v49, v48, s10
	s_delay_alu instid0(VALU_DEP_2) | instskip(NEXT) | instid1(VALU_DEP_2)
	v_add_nc_u32_e32 v15, 1, v5
	v_add_nc_u32_e32 v13, -1, v13
	s_delay_alu instid0(VALU_DEP_2) | instskip(NEXT) | instid1(VALU_DEP_2)
	v_cndmask_b32_e64 v14, v14, v15, s10
	v_min_u32_e32 v13, v15, v13
	v_cndmask_b32_e64 v12, v15, v12, s10
	s_delay_alu instid0(VALU_DEP_3) | instskip(NEXT) | instid1(VALU_DEP_3)
	v_cmp_lt_u32_e64 s11, v14, v48
	v_add_nc_u32_e32 v13, v10, v13
	s_delay_alu instid0(VALU_DEP_3) | instskip(SKIP_4) | instid1(VALU_DEP_2)
	v_cmp_ge_u32_e64 s13, v12, v49
	ds_load_u8 v13, v13
	s_wait_dscnt 0x0
	v_cndmask_b32_e64 v36, v13, v28, s10
	v_cndmask_b32_e64 v37, v35, v13, s10
	v_and_b32_e32 v13, v36, v11
	s_delay_alu instid0(VALU_DEP_2) | instskip(NEXT) | instid1(VALU_DEP_2)
	v_and_b32_e32 v16, v37, v11
	v_bfe_i32 v13, v13, 0, 8
	s_delay_alu instid0(VALU_DEP_2) | instskip(NEXT) | instid1(VALU_DEP_1)
	v_bfe_i32 v16, v16, 0, 8
	v_cmp_le_i16_e64 s12, v13, v16
	s_and_b32 s11, s11, s12
	s_wait_alu 0xfffe
	s_or_b32 s11, s13, s11
	s_wait_alu 0xfffe
	v_cndmask_b32_e64 v13, v12, v14, s11
	v_cndmask_b32_e64 v15, v49, v48, s11
	;; [unrolled: 1-line block ×3, first 2 shown]
	s_delay_alu instid0(VALU_DEP_3) | instskip(NEXT) | instid1(VALU_DEP_3)
	v_add_nc_u32_e32 v16, 1, v13
	v_add_nc_u32_e32 v15, -1, v15
	v_lshl_add_u32 v13, v13, 3, v9
	s_delay_alu instid0(VALU_DEP_3) | instskip(NEXT) | instid1(VALU_DEP_3)
	v_cndmask_b32_e64 v14, v14, v16, s11
	v_min_u32_e32 v15, v16, v15
	v_cndmask_b32_e64 v12, v16, v12, s11
	s_delay_alu instid0(VALU_DEP_3) | instskip(NEXT) | instid1(VALU_DEP_3)
	v_cmp_lt_u32_e64 s12, v14, v48
	v_add_nc_u32_e32 v15, v10, v15
	s_delay_alu instid0(VALU_DEP_3) | instskip(SKIP_4) | instid1(VALU_DEP_2)
	v_cmp_ge_u32_e64 s14, v12, v49
	ds_load_u8 v15, v15
	s_wait_dscnt 0x0
	v_cndmask_b32_e64 v50, v15, v36, s11
	v_cndmask_b32_e64 v51, v37, v15, s11
	v_and_b32_e32 v15, v50, v11
	s_delay_alu instid0(VALU_DEP_2) | instskip(NEXT) | instid1(VALU_DEP_2)
	v_and_b32_e32 v17, v51, v11
	v_bfe_i32 v15, v15, 0, 8
	s_delay_alu instid0(VALU_DEP_2) | instskip(NEXT) | instid1(VALU_DEP_1)
	v_bfe_i32 v17, v17, 0, 8
	v_cmp_le_i16_e64 s13, v15, v17
	s_and_b32 s12, s12, s13
	s_wait_alu 0xfffe
	s_or_b32 s12, s14, s12
	s_wait_alu 0xfffe
	v_cndmask_b32_e64 v18, v12, v14, s12
	v_cndmask_b32_e64 v15, v49, v48, s12
	s_delay_alu instid0(VALU_DEP_2) | instskip(NEXT) | instid1(VALU_DEP_2)
	v_add_nc_u32_e32 v16, 1, v18
	v_add_nc_u32_e32 v15, -1, v15
	s_delay_alu instid0(VALU_DEP_2) | instskip(NEXT) | instid1(VALU_DEP_2)
	v_cndmask_b32_e64 v14, v14, v16, s12
	v_min_u32_e32 v15, v16, v15
	v_cndmask_b32_e64 v12, v16, v12, s12
	s_delay_alu instid0(VALU_DEP_3) | instskip(NEXT) | instid1(VALU_DEP_3)
	v_cmp_lt_u32_e64 s13, v14, v48
	v_add_nc_u32_e32 v15, v10, v15
	s_delay_alu instid0(VALU_DEP_3) | instskip(SKIP_4) | instid1(VALU_DEP_2)
	v_cmp_ge_u32_e64 s15, v12, v49
	ds_load_u8 v15, v15
	s_wait_dscnt 0x0
	v_cndmask_b32_e64 v52, v15, v50, s12
	v_cndmask_b32_e64 v53, v51, v15, s12
	v_and_b32_e32 v15, v52, v11
	s_delay_alu instid0(VALU_DEP_2) | instskip(NEXT) | instid1(VALU_DEP_2)
	v_and_b32_e32 v17, v53, v11
	v_bfe_i32 v15, v15, 0, 8
	s_delay_alu instid0(VALU_DEP_2) | instskip(NEXT) | instid1(VALU_DEP_1)
	v_bfe_i32 v17, v17, 0, 8
	v_cmp_le_i16_e64 s14, v15, v17
	s_and_b32 s13, s13, s14
	s_wait_alu 0xfffe
	s_or_b32 s13, s15, s13
	s_wait_alu 0xfffe
	v_cndmask_b32_e64 v19, v12, v14, s13
	v_cndmask_b32_e64 v15, v49, v48, s13
	v_cndmask_b32_e64 v23, v52, v53, s13
	s_delay_alu instid0(VALU_DEP_3) | instskip(NEXT) | instid1(VALU_DEP_3)
	v_add_nc_u32_e32 v16, 1, v19
	v_add_nc_u32_e32 v15, -1, v15
	s_delay_alu instid0(VALU_DEP_2) | instskip(NEXT) | instid1(VALU_DEP_2)
	v_cndmask_b32_e64 v14, v14, v16, s13
	v_min_u32_e32 v15, v16, v15
	v_cndmask_b32_e64 v12, v16, v12, s13
	s_delay_alu instid0(VALU_DEP_3) | instskip(NEXT) | instid1(VALU_DEP_3)
	v_cmp_lt_u32_e64 s14, v14, v48
	v_add_nc_u32_e32 v15, v10, v15
	s_delay_alu instid0(VALU_DEP_3) | instskip(SKIP_4) | instid1(VALU_DEP_2)
	v_cmp_ge_u32_e64 s16, v12, v49
	ds_load_u8 v15, v15
	s_wait_dscnt 0x0
	v_cndmask_b32_e64 v54, v15, v52, s13
	v_cndmask_b32_e64 v55, v53, v15, s13
	v_and_b32_e32 v15, v54, v11
	s_delay_alu instid0(VALU_DEP_2) | instskip(NEXT) | instid1(VALU_DEP_2)
	v_and_b32_e32 v17, v55, v11
	v_bfe_i32 v15, v15, 0, 8
	s_delay_alu instid0(VALU_DEP_2) | instskip(NEXT) | instid1(VALU_DEP_1)
	v_bfe_i32 v17, v17, 0, 8
	v_cmp_le_i16_e64 s15, v15, v17
	s_and_b32 s14, s14, s15
	s_wait_alu 0xfffe
	s_or_b32 s14, s16, s14
	s_wait_alu 0xfffe
	v_cndmask_b32_e64 v20, v12, v14, s14
	v_cndmask_b32_e64 v15, v49, v48, s14
	v_cndmask_b32_e64 v37, v54, v55, s14
	s_delay_alu instid0(VALU_DEP_3) | instskip(NEXT) | instid1(VALU_DEP_3)
	;; [unrolled: 30-line block ×3, first 2 shown]
	v_add_nc_u32_e32 v16, 1, v21
	v_add_nc_u32_e32 v15, -1, v15
	v_lshl_add_u32 v38, v21, 3, v9
	s_delay_alu instid0(VALU_DEP_3) | instskip(NEXT) | instid1(VALU_DEP_3)
	v_cndmask_b32_e64 v24, v14, v16, s15
	v_min_u32_e32 v15, v16, v15
	v_cndmask_b32_e64 v12, v16, v12, s15
	v_lshl_add_u32 v16, v5, 3, v9
	s_delay_alu instid0(VALU_DEP_4) | instskip(NEXT) | instid1(VALU_DEP_4)
	v_cmp_lt_u32_e64 s16, v24, v48
	v_add_nc_u32_e32 v15, v10, v15
	s_delay_alu instid0(VALU_DEP_4) | instskip(SKIP_4) | instid1(VALU_DEP_2)
	v_cmp_ge_u32_e64 s18, v12, v49
	ds_load_u8 v15, v15
	s_wait_dscnt 0x0
	v_cndmask_b32_e64 v66, v15, v64, s15
	v_cndmask_b32_e64 v67, v65, v15, s15
	v_and_b32_e32 v15, v66, v11
	s_delay_alu instid0(VALU_DEP_2) | instskip(NEXT) | instid1(VALU_DEP_2)
	v_and_b32_e32 v17, v67, v11
	v_bfe_i32 v14, v15, 0, 8
	s_delay_alu instid0(VALU_DEP_2) | instskip(NEXT) | instid1(VALU_DEP_1)
	v_bfe_i32 v15, v17, 0, 8
	v_cmp_le_i16_e64 s17, v14, v15
	ds_load_b64 v[4:5], v4 offset:2048
	ds_load_b64 v[14:15], v16 offset:2048
	;; [unrolled: 1-line block ×3, first 2 shown]
	v_lshl_add_u32 v13, v18, 3, v9
	v_lshl_add_u32 v18, v19, 3, v9
	s_and_b32 s16, s16, s17
	v_lshl_add_u32 v19, v20, 3, v9
	s_wait_alu 0xfffe
	s_or_b32 s16, s18, s16
	s_wait_alu 0xfffe
	v_cndmask_b32_e64 v12, v12, v24, s16
	s_delay_alu instid0(VALU_DEP_1)
	v_lshl_add_u32 v12, v12, 3, v9
	ds_load_b64 v[24:25], v13 offset:2048
	ds_load_b64 v[26:27], v18 offset:2048
	;; [unrolled: 1-line block ×5, first 2 shown]
	v_cndmask_b32_e64 v38, v28, v35, s10
	v_cndmask_b32_e64 v28, v50, v51, s12
	v_cndmask_b32_e64 v35, v66, v67, s16
.LBB305_50:
	s_wait_alu 0xfffe
	s_or_b32 exec_lo, exec_lo, s20
	v_and_b32_e32 v50, 0xc0, v34
	v_and_b32_e32 v51, 56, v34
	s_mov_b32 s10, exec_lo
	; wave barrier
	s_delay_alu instid0(VALU_DEP_2) | instskip(NEXT) | instid1(VALU_DEP_2)
	v_or_b32_e32 v48, 32, v50
	v_min_u32_e32 v51, v30, v51
	ds_store_b8 v31, v22
	s_wait_dscnt 0x8
	ds_store_b64 v29, v[4:5] offset:2048
	ds_store_b8 v31, v38 offset:1
	s_wait_dscnt 0x9
	ds_store_b64 v29, v[14:15] offset:2056
	ds_store_b8 v31, v39 offset:2
	;; [unrolled: 3-line block ×3, first 2 shown]
	v_min_u32_e32 v48, v30, v48
	s_wait_dscnt 0xb
	ds_store_b64 v29, v[24:25] offset:2072
	ds_store_b8 v31, v23 offset:4
	s_wait_dscnt 0xc
	ds_store_b64 v29, v[26:27] offset:2080
	ds_store_b8 v31, v37 offset:5
	;; [unrolled: 3-line block ×4, first 2 shown]
	s_wait_dscnt 0xf
	ds_store_b64 v29, v[12:13] offset:2104
	; wave barrier
	v_add_nc_u32_e32 v49, 32, v48
	v_sub_nc_u32_e32 v53, v48, v50
	s_delay_alu instid0(VALU_DEP_2) | instskip(NEXT) | instid1(VALU_DEP_2)
	v_min_u32_e32 v49, v30, v49
	v_min_u32_e32 v53, v51, v53
	s_delay_alu instid0(VALU_DEP_2) | instskip(NEXT) | instid1(VALU_DEP_1)
	v_sub_nc_u32_e32 v52, v49, v48
	v_sub_nc_u32_e64 v52, v51, v52 clamp
	s_delay_alu instid0(VALU_DEP_1)
	v_cmpx_lt_u32_e64 v52, v53
	s_cbranch_execz .LBB305_54
; %bb.51:
	v_add_nc_u32_e32 v54, v10, v50
	v_add3_u32 v55, v10, v48, v51
	s_mov_b32 s11, 0
.LBB305_52:                             ; =>This Inner Loop Header: Depth=1
	v_add_nc_u32_e32 v64, v53, v52
	s_delay_alu instid0(VALU_DEP_1) | instskip(NEXT) | instid1(VALU_DEP_1)
	v_lshrrev_b32_e32 v64, 1, v64
	v_xad_u32 v65, v64, -1, v55
	v_add_nc_u32_e32 v66, v54, v64
	v_add_nc_u32_e32 v67, 1, v64
	ds_load_u8 v65, v65
	ds_load_u8 v66, v66
	s_wait_dscnt 0x1
	v_and_b32_e32 v65, v65, v11
	s_wait_dscnt 0x0
	v_and_b32_e32 v66, v66, v11
	s_delay_alu instid0(VALU_DEP_2) | instskip(NEXT) | instid1(VALU_DEP_2)
	v_bfe_i32 v65, v65, 0, 8
	v_bfe_i32 v66, v66, 0, 8
	s_delay_alu instid0(VALU_DEP_1) | instskip(SKIP_1) | instid1(VALU_DEP_1)
	v_cmp_gt_i16_e64 s7, v65, v66
	s_wait_alu 0xf1ff
	v_cndmask_b32_e64 v53, v53, v64, s7
	v_cndmask_b32_e64 v52, v67, v52, s7
	s_delay_alu instid0(VALU_DEP_1)
	v_cmp_ge_u32_e64 s7, v52, v53
	s_wait_alu 0xfffe
	s_or_b32 s11, s7, s11
	s_wait_alu 0xfffe
	s_and_not1_b32 exec_lo, exec_lo, s11
	s_cbranch_execnz .LBB305_52
; %bb.53:
	s_or_b32 exec_lo, exec_lo, s11
.LBB305_54:
	s_wait_alu 0xfffe
	s_or_b32 exec_lo, exec_lo, s10
	v_add_nc_u32_e32 v53, v48, v51
	v_add_nc_u32_e32 v51, v52, v50
	s_delay_alu instid0(VALU_DEP_2) | instskip(NEXT) | instid1(VALU_DEP_2)
	v_sub_nc_u32_e32 v50, v53, v52
	v_cmp_le_u32_e64 s7, v51, v48
	s_delay_alu instid0(VALU_DEP_2)
	v_cmp_le_u32_e64 s10, v50, v49
	s_or_b32 s7, s7, s10
	s_wait_alu 0xfffe
	s_and_saveexec_b32 s20, s7
	s_cbranch_execz .LBB305_60
; %bb.55:
	v_cmp_lt_u32_e64 s7, v51, v48
                                        ; implicit-def: $vgpr22
	s_and_saveexec_b32 s10, s7
; %bb.56:
	v_add_nc_u32_e32 v4, v10, v51
	ds_load_u8 v22, v4
; %bb.57:
	s_wait_alu 0xfffe
	s_or_b32 exec_lo, exec_lo, s10
	v_cmp_ge_u32_e64 s10, v50, v49
	s_mov_b32 s12, exec_lo
                                        ; implicit-def: $vgpr23
	v_cmpx_lt_u32_e64 v50, v49
; %bb.58:
	v_add_nc_u32_e32 v4, v10, v50
	ds_load_u8 v23, v4
; %bb.59:
	s_wait_alu 0xfffe
	s_or_b32 exec_lo, exec_lo, s12
	s_wait_dscnt 0x0
	v_and_b32_e32 v4, v23, v11
	v_and_b32_e32 v5, v22, v11
	s_delay_alu instid0(VALU_DEP_2) | instskip(NEXT) | instid1(VALU_DEP_2)
	v_bfe_i32 v4, v4, 0, 8
	v_bfe_i32 v5, v5, 0, 8
	s_delay_alu instid0(VALU_DEP_1)
	v_cmp_le_i16_e64 s11, v4, v5
	s_and_b32 s7, s7, s11
	s_wait_alu 0xfffe
	s_or_b32 s7, s10, s7
	s_wait_alu 0xfffe
	v_cndmask_b32_e64 v4, v50, v51, s7
	v_cndmask_b32_e64 v5, v49, v48, s7
	s_delay_alu instid0(VALU_DEP_2) | instskip(NEXT) | instid1(VALU_DEP_2)
	v_add_nc_u32_e32 v12, 1, v4
	v_add_nc_u32_e32 v5, -1, v5
	v_lshl_add_u32 v4, v4, 3, v9
	s_delay_alu instid0(VALU_DEP_3) | instskip(NEXT) | instid1(VALU_DEP_3)
	v_cndmask_b32_e64 v14, v51, v12, s7
	v_min_u32_e32 v5, v12, v5
	v_cndmask_b32_e64 v12, v12, v50, s7
	s_delay_alu instid0(VALU_DEP_3) | instskip(NEXT) | instid1(VALU_DEP_3)
	v_cmp_lt_u32_e64 s10, v14, v48
	v_add_nc_u32_e32 v5, v10, v5
	s_delay_alu instid0(VALU_DEP_3)
	v_cmp_ge_u32_e64 s12, v12, v49
	ds_load_u8 v5, v5
	s_wait_dscnt 0x0
	v_cndmask_b32_e64 v28, v5, v23, s7
	v_cndmask_b32_e64 v35, v22, v5, s7
	;; [unrolled: 1-line block ×3, first 2 shown]
	s_delay_alu instid0(VALU_DEP_3) | instskip(NEXT) | instid1(VALU_DEP_3)
	v_and_b32_e32 v5, v28, v11
	v_and_b32_e32 v13, v35, v11
	s_delay_alu instid0(VALU_DEP_2) | instskip(NEXT) | instid1(VALU_DEP_2)
	v_bfe_i32 v5, v5, 0, 8
	v_bfe_i32 v13, v13, 0, 8
	s_delay_alu instid0(VALU_DEP_1)
	v_cmp_le_i16_e64 s11, v5, v13
	s_and_b32 s10, s10, s11
	s_wait_alu 0xfffe
	s_or_b32 s10, s12, s10
	s_wait_alu 0xfffe
	v_cndmask_b32_e64 v5, v12, v14, s10
	v_cndmask_b32_e64 v13, v49, v48, s10
	s_delay_alu instid0(VALU_DEP_2) | instskip(NEXT) | instid1(VALU_DEP_2)
	v_add_nc_u32_e32 v15, 1, v5
	v_add_nc_u32_e32 v13, -1, v13
	s_delay_alu instid0(VALU_DEP_2) | instskip(NEXT) | instid1(VALU_DEP_2)
	v_cndmask_b32_e64 v14, v14, v15, s10
	v_min_u32_e32 v13, v15, v13
	v_cndmask_b32_e64 v12, v15, v12, s10
	s_delay_alu instid0(VALU_DEP_3) | instskip(NEXT) | instid1(VALU_DEP_3)
	v_cmp_lt_u32_e64 s11, v14, v48
	v_add_nc_u32_e32 v13, v10, v13
	s_delay_alu instid0(VALU_DEP_3) | instskip(SKIP_4) | instid1(VALU_DEP_2)
	v_cmp_ge_u32_e64 s13, v12, v49
	ds_load_u8 v13, v13
	s_wait_dscnt 0x0
	v_cndmask_b32_e64 v36, v13, v28, s10
	v_cndmask_b32_e64 v37, v35, v13, s10
	v_and_b32_e32 v13, v36, v11
	s_delay_alu instid0(VALU_DEP_2) | instskip(NEXT) | instid1(VALU_DEP_2)
	v_and_b32_e32 v16, v37, v11
	v_bfe_i32 v13, v13, 0, 8
	s_delay_alu instid0(VALU_DEP_2) | instskip(NEXT) | instid1(VALU_DEP_1)
	v_bfe_i32 v16, v16, 0, 8
	v_cmp_le_i16_e64 s12, v13, v16
	s_and_b32 s11, s11, s12
	s_wait_alu 0xfffe
	s_or_b32 s11, s13, s11
	s_wait_alu 0xfffe
	v_cndmask_b32_e64 v13, v12, v14, s11
	v_cndmask_b32_e64 v15, v49, v48, s11
	;; [unrolled: 1-line block ×3, first 2 shown]
	s_delay_alu instid0(VALU_DEP_3) | instskip(NEXT) | instid1(VALU_DEP_3)
	v_add_nc_u32_e32 v16, 1, v13
	v_add_nc_u32_e32 v15, -1, v15
	v_lshl_add_u32 v13, v13, 3, v9
	s_delay_alu instid0(VALU_DEP_3) | instskip(NEXT) | instid1(VALU_DEP_3)
	v_cndmask_b32_e64 v14, v14, v16, s11
	v_min_u32_e32 v15, v16, v15
	v_cndmask_b32_e64 v12, v16, v12, s11
	s_delay_alu instid0(VALU_DEP_3) | instskip(NEXT) | instid1(VALU_DEP_3)
	v_cmp_lt_u32_e64 s12, v14, v48
	v_add_nc_u32_e32 v15, v10, v15
	s_delay_alu instid0(VALU_DEP_3) | instskip(SKIP_4) | instid1(VALU_DEP_2)
	v_cmp_ge_u32_e64 s14, v12, v49
	ds_load_u8 v15, v15
	s_wait_dscnt 0x0
	v_cndmask_b32_e64 v50, v15, v36, s11
	v_cndmask_b32_e64 v51, v37, v15, s11
	v_and_b32_e32 v15, v50, v11
	s_delay_alu instid0(VALU_DEP_2) | instskip(NEXT) | instid1(VALU_DEP_2)
	v_and_b32_e32 v17, v51, v11
	v_bfe_i32 v15, v15, 0, 8
	s_delay_alu instid0(VALU_DEP_2) | instskip(NEXT) | instid1(VALU_DEP_1)
	v_bfe_i32 v17, v17, 0, 8
	v_cmp_le_i16_e64 s13, v15, v17
	s_and_b32 s12, s12, s13
	s_wait_alu 0xfffe
	s_or_b32 s12, s14, s12
	s_wait_alu 0xfffe
	v_cndmask_b32_e64 v18, v12, v14, s12
	v_cndmask_b32_e64 v15, v49, v48, s12
	s_delay_alu instid0(VALU_DEP_2) | instskip(NEXT) | instid1(VALU_DEP_2)
	v_add_nc_u32_e32 v16, 1, v18
	v_add_nc_u32_e32 v15, -1, v15
	s_delay_alu instid0(VALU_DEP_2) | instskip(NEXT) | instid1(VALU_DEP_2)
	v_cndmask_b32_e64 v14, v14, v16, s12
	v_min_u32_e32 v15, v16, v15
	v_cndmask_b32_e64 v12, v16, v12, s12
	s_delay_alu instid0(VALU_DEP_3) | instskip(NEXT) | instid1(VALU_DEP_3)
	v_cmp_lt_u32_e64 s13, v14, v48
	v_add_nc_u32_e32 v15, v10, v15
	s_delay_alu instid0(VALU_DEP_3) | instskip(SKIP_4) | instid1(VALU_DEP_2)
	v_cmp_ge_u32_e64 s15, v12, v49
	ds_load_u8 v15, v15
	s_wait_dscnt 0x0
	v_cndmask_b32_e64 v52, v15, v50, s12
	v_cndmask_b32_e64 v53, v51, v15, s12
	v_and_b32_e32 v15, v52, v11
	s_delay_alu instid0(VALU_DEP_2) | instskip(NEXT) | instid1(VALU_DEP_2)
	v_and_b32_e32 v17, v53, v11
	v_bfe_i32 v15, v15, 0, 8
	s_delay_alu instid0(VALU_DEP_2) | instskip(NEXT) | instid1(VALU_DEP_1)
	v_bfe_i32 v17, v17, 0, 8
	v_cmp_le_i16_e64 s14, v15, v17
	s_and_b32 s13, s13, s14
	s_wait_alu 0xfffe
	s_or_b32 s13, s15, s13
	s_wait_alu 0xfffe
	v_cndmask_b32_e64 v19, v12, v14, s13
	v_cndmask_b32_e64 v15, v49, v48, s13
	v_cndmask_b32_e64 v23, v52, v53, s13
	s_delay_alu instid0(VALU_DEP_3) | instskip(NEXT) | instid1(VALU_DEP_3)
	v_add_nc_u32_e32 v16, 1, v19
	v_add_nc_u32_e32 v15, -1, v15
	s_delay_alu instid0(VALU_DEP_2) | instskip(NEXT) | instid1(VALU_DEP_2)
	v_cndmask_b32_e64 v14, v14, v16, s13
	v_min_u32_e32 v15, v16, v15
	v_cndmask_b32_e64 v12, v16, v12, s13
	s_delay_alu instid0(VALU_DEP_3) | instskip(NEXT) | instid1(VALU_DEP_3)
	v_cmp_lt_u32_e64 s14, v14, v48
	v_add_nc_u32_e32 v15, v10, v15
	s_delay_alu instid0(VALU_DEP_3) | instskip(SKIP_4) | instid1(VALU_DEP_2)
	v_cmp_ge_u32_e64 s16, v12, v49
	ds_load_u8 v15, v15
	s_wait_dscnt 0x0
	v_cndmask_b32_e64 v54, v15, v52, s13
	v_cndmask_b32_e64 v55, v53, v15, s13
	v_and_b32_e32 v15, v54, v11
	s_delay_alu instid0(VALU_DEP_2) | instskip(NEXT) | instid1(VALU_DEP_2)
	v_and_b32_e32 v17, v55, v11
	v_bfe_i32 v15, v15, 0, 8
	s_delay_alu instid0(VALU_DEP_2) | instskip(NEXT) | instid1(VALU_DEP_1)
	v_bfe_i32 v17, v17, 0, 8
	v_cmp_le_i16_e64 s15, v15, v17
	s_and_b32 s14, s14, s15
	s_wait_alu 0xfffe
	s_or_b32 s14, s16, s14
	s_wait_alu 0xfffe
	v_cndmask_b32_e64 v20, v12, v14, s14
	v_cndmask_b32_e64 v15, v49, v48, s14
	v_cndmask_b32_e64 v37, v54, v55, s14
	s_delay_alu instid0(VALU_DEP_3) | instskip(NEXT) | instid1(VALU_DEP_3)
	;; [unrolled: 30-line block ×3, first 2 shown]
	v_add_nc_u32_e32 v16, 1, v21
	v_add_nc_u32_e32 v15, -1, v15
	v_lshl_add_u32 v38, v21, 3, v9
	s_delay_alu instid0(VALU_DEP_3) | instskip(NEXT) | instid1(VALU_DEP_3)
	v_cndmask_b32_e64 v24, v14, v16, s15
	v_min_u32_e32 v15, v16, v15
	v_cndmask_b32_e64 v12, v16, v12, s15
	v_lshl_add_u32 v16, v5, 3, v9
	s_delay_alu instid0(VALU_DEP_4) | instskip(NEXT) | instid1(VALU_DEP_4)
	v_cmp_lt_u32_e64 s16, v24, v48
	v_add_nc_u32_e32 v15, v10, v15
	s_delay_alu instid0(VALU_DEP_4) | instskip(SKIP_4) | instid1(VALU_DEP_2)
	v_cmp_ge_u32_e64 s18, v12, v49
	ds_load_u8 v15, v15
	s_wait_dscnt 0x0
	v_cndmask_b32_e64 v66, v15, v64, s15
	v_cndmask_b32_e64 v67, v65, v15, s15
	v_and_b32_e32 v15, v66, v11
	s_delay_alu instid0(VALU_DEP_2) | instskip(NEXT) | instid1(VALU_DEP_2)
	v_and_b32_e32 v17, v67, v11
	v_bfe_i32 v14, v15, 0, 8
	s_delay_alu instid0(VALU_DEP_2) | instskip(NEXT) | instid1(VALU_DEP_1)
	v_bfe_i32 v15, v17, 0, 8
	v_cmp_le_i16_e64 s17, v14, v15
	ds_load_b64 v[4:5], v4 offset:2048
	ds_load_b64 v[14:15], v16 offset:2048
	;; [unrolled: 1-line block ×3, first 2 shown]
	v_lshl_add_u32 v13, v18, 3, v9
	v_lshl_add_u32 v18, v19, 3, v9
	s_and_b32 s16, s16, s17
	v_lshl_add_u32 v19, v20, 3, v9
	s_wait_alu 0xfffe
	s_or_b32 s16, s18, s16
	s_wait_alu 0xfffe
	v_cndmask_b32_e64 v12, v12, v24, s16
	s_delay_alu instid0(VALU_DEP_1)
	v_lshl_add_u32 v12, v12, 3, v9
	ds_load_b64 v[24:25], v13 offset:2048
	ds_load_b64 v[26:27], v18 offset:2048
	;; [unrolled: 1-line block ×5, first 2 shown]
	v_cndmask_b32_e64 v38, v28, v35, s10
	v_cndmask_b32_e64 v28, v50, v51, s12
	;; [unrolled: 1-line block ×3, first 2 shown]
.LBB305_60:
	s_wait_alu 0xfffe
	s_or_b32 exec_lo, exec_lo, s20
	v_and_b32_e32 v49, 0x80, v34
	s_mov_b32 s10, exec_lo
	; wave barrier
	ds_store_b8 v31, v22
	s_wait_dscnt 0x8
	ds_store_b64 v29, v[4:5] offset:2048
	ds_store_b8 v31, v38 offset:1
	s_wait_dscnt 0x9
	ds_store_b64 v29, v[14:15] offset:2056
	v_or_b32_e32 v34, 64, v49
	ds_store_b8 v31, v39 offset:2
	s_wait_dscnt 0xa
	ds_store_b64 v29, v[16:17] offset:2064
	ds_store_b8 v31, v28 offset:3
	s_wait_dscnt 0xb
	ds_store_b64 v29, v[24:25] offset:2072
	ds_store_b8 v31, v23 offset:4
	s_wait_dscnt 0xc
	ds_store_b64 v29, v[26:27] offset:2080
	ds_store_b8 v31, v37 offset:5
	s_wait_dscnt 0xd
	ds_store_b64 v29, v[20:21] offset:2088
	ds_store_b8 v31, v36 offset:6
	s_wait_dscnt 0xe
	ds_store_b64 v29, v[18:19] offset:2096
	ds_store_b8 v31, v35 offset:7
	s_wait_dscnt 0xf
	ds_store_b64 v29, v[12:13] offset:2104
	v_min_u32_e32 v34, v30, v34
	; wave barrier
	s_delay_alu instid0(VALU_DEP_1) | instskip(SKIP_1) | instid1(VALU_DEP_2)
	v_add_nc_u32_e32 v48, 64, v34
	v_sub_nc_u32_e32 v51, v34, v49
	v_min_u32_e32 v48, v30, v48
	v_min_u32_e32 v30, v30, v32
	s_delay_alu instid0(VALU_DEP_2) | instskip(NEXT) | instid1(VALU_DEP_2)
	v_sub_nc_u32_e32 v50, v48, v34
	v_min_u32_e32 v51, v30, v51
	s_delay_alu instid0(VALU_DEP_2) | instskip(NEXT) | instid1(VALU_DEP_1)
	v_sub_nc_u32_e64 v50, v30, v50 clamp
	v_cmpx_lt_u32_e64 v50, v51
	s_cbranch_execz .LBB305_64
; %bb.61:
	v_add_nc_u32_e32 v29, v10, v49
	v_add3_u32 v31, v10, v34, v30
	s_mov_b32 s11, 0
.LBB305_62:                             ; =>This Inner Loop Header: Depth=1
	v_add_nc_u32_e32 v52, v51, v50
	s_delay_alu instid0(VALU_DEP_1) | instskip(NEXT) | instid1(VALU_DEP_1)
	v_lshrrev_b32_e32 v52, 1, v52
	v_xad_u32 v53, v52, -1, v31
	v_add_nc_u32_e32 v54, v29, v52
	v_add_nc_u32_e32 v55, 1, v52
	ds_load_u8 v53, v53
	ds_load_u8 v54, v54
	s_wait_dscnt 0x1
	v_and_b32_e32 v53, v53, v11
	s_wait_dscnt 0x0
	v_and_b32_e32 v54, v54, v11
	s_delay_alu instid0(VALU_DEP_2) | instskip(NEXT) | instid1(VALU_DEP_2)
	v_bfe_i32 v53, v53, 0, 8
	v_bfe_i32 v54, v54, 0, 8
	s_delay_alu instid0(VALU_DEP_1) | instskip(SKIP_1) | instid1(VALU_DEP_1)
	v_cmp_gt_i16_e64 s7, v53, v54
	s_wait_alu 0xf1ff
	v_cndmask_b32_e64 v51, v51, v52, s7
	v_cndmask_b32_e64 v50, v55, v50, s7
	s_delay_alu instid0(VALU_DEP_1)
	v_cmp_ge_u32_e64 s7, v50, v51
	s_wait_alu 0xfffe
	s_or_b32 s11, s7, s11
	s_wait_alu 0xfffe
	s_and_not1_b32 exec_lo, exec_lo, s11
	s_cbranch_execnz .LBB305_62
; %bb.63:
	s_or_b32 exec_lo, exec_lo, s11
.LBB305_64:
	s_wait_alu 0xfffe
	s_or_b32 exec_lo, exec_lo, s10
	v_add_nc_u32_e32 v29, v34, v30
	v_add_nc_u32_e32 v30, v50, v49
	s_delay_alu instid0(VALU_DEP_2) | instskip(NEXT) | instid1(VALU_DEP_2)
	v_sub_nc_u32_e32 v29, v29, v50
	v_cmp_le_u32_e64 s7, v30, v34
	s_delay_alu instid0(VALU_DEP_2)
	v_cmp_le_u32_e64 s10, v29, v48
	s_or_b32 s7, s7, s10
	s_wait_alu 0xfffe
	s_and_saveexec_b32 s20, s7
	s_cbranch_execz .LBB305_70
; %bb.65:
	v_cmp_lt_u32_e64 s7, v30, v34
                                        ; implicit-def: $vgpr22
	s_and_saveexec_b32 s10, s7
; %bb.66:
	v_add_nc_u32_e32 v4, v10, v30
	ds_load_u8 v22, v4
; %bb.67:
	s_wait_alu 0xfffe
	s_or_b32 exec_lo, exec_lo, s10
	v_cmp_ge_u32_e64 s10, v29, v48
	s_mov_b32 s12, exec_lo
                                        ; implicit-def: $vgpr23
	v_cmpx_lt_u32_e64 v29, v48
; %bb.68:
	v_add_nc_u32_e32 v4, v10, v29
	ds_load_u8 v23, v4
; %bb.69:
	s_wait_alu 0xfffe
	s_or_b32 exec_lo, exec_lo, s12
	s_wait_dscnt 0x0
	v_and_b32_e32 v4, v23, v11
	v_and_b32_e32 v5, v22, v11
	s_delay_alu instid0(VALU_DEP_2) | instskip(NEXT) | instid1(VALU_DEP_2)
	v_bfe_i32 v4, v4, 0, 8
	v_bfe_i32 v5, v5, 0, 8
	s_delay_alu instid0(VALU_DEP_1)
	v_cmp_le_i16_e64 s11, v4, v5
	s_and_b32 s7, s7, s11
	s_wait_alu 0xfffe
	s_or_b32 s7, s10, s7
	s_wait_alu 0xfffe
	v_cndmask_b32_e64 v4, v29, v30, s7
	v_cndmask_b32_e64 v5, v48, v34, s7
	s_delay_alu instid0(VALU_DEP_2) | instskip(NEXT) | instid1(VALU_DEP_2)
	v_add_nc_u32_e32 v12, 1, v4
	v_add_nc_u32_e32 v5, -1, v5
	v_lshl_add_u32 v4, v4, 3, v9
	s_delay_alu instid0(VALU_DEP_3) | instskip(NEXT) | instid1(VALU_DEP_3)
	v_cndmask_b32_e64 v14, v30, v12, s7
	v_min_u32_e32 v5, v12, v5
	v_cndmask_b32_e64 v12, v12, v29, s7
	s_delay_alu instid0(VALU_DEP_3) | instskip(NEXT) | instid1(VALU_DEP_3)
	v_cmp_lt_u32_e64 s10, v14, v34
	v_add_nc_u32_e32 v5, v10, v5
	s_delay_alu instid0(VALU_DEP_3)
	v_cmp_ge_u32_e64 s12, v12, v48
	ds_load_u8 v5, v5
	s_wait_dscnt 0x0
	v_cndmask_b32_e64 v28, v5, v23, s7
	v_cndmask_b32_e64 v31, v22, v5, s7
	;; [unrolled: 1-line block ×3, first 2 shown]
	s_delay_alu instid0(VALU_DEP_3) | instskip(NEXT) | instid1(VALU_DEP_3)
	v_and_b32_e32 v5, v28, v11
	v_and_b32_e32 v13, v31, v11
	s_delay_alu instid0(VALU_DEP_2) | instskip(NEXT) | instid1(VALU_DEP_2)
	v_bfe_i32 v5, v5, 0, 8
	v_bfe_i32 v13, v13, 0, 8
	s_delay_alu instid0(VALU_DEP_1)
	v_cmp_le_i16_e64 s11, v5, v13
	s_and_b32 s10, s10, s11
	s_wait_alu 0xfffe
	s_or_b32 s10, s12, s10
	s_wait_alu 0xfffe
	v_cndmask_b32_e64 v5, v12, v14, s10
	v_cndmask_b32_e64 v13, v48, v34, s10
	v_cndmask_b32_e64 v38, v28, v31, s10
	s_delay_alu instid0(VALU_DEP_3) | instskip(NEXT) | instid1(VALU_DEP_3)
	v_add_nc_u32_e32 v15, 1, v5
	v_add_nc_u32_e32 v13, -1, v13
	s_delay_alu instid0(VALU_DEP_2) | instskip(NEXT) | instid1(VALU_DEP_2)
	v_cndmask_b32_e64 v14, v14, v15, s10
	v_min_u32_e32 v13, v15, v13
	v_cndmask_b32_e64 v12, v15, v12, s10
	s_delay_alu instid0(VALU_DEP_3) | instskip(NEXT) | instid1(VALU_DEP_3)
	v_cmp_lt_u32_e64 s11, v14, v34
	v_add_nc_u32_e32 v13, v10, v13
	s_delay_alu instid0(VALU_DEP_3) | instskip(SKIP_4) | instid1(VALU_DEP_2)
	v_cmp_ge_u32_e64 s13, v12, v48
	ds_load_u8 v13, v13
	s_wait_dscnt 0x0
	v_cndmask_b32_e64 v29, v13, v28, s10
	v_cndmask_b32_e64 v30, v31, v13, s10
	v_and_b32_e32 v13, v29, v11
	s_delay_alu instid0(VALU_DEP_2) | instskip(NEXT) | instid1(VALU_DEP_2)
	v_and_b32_e32 v16, v30, v11
	v_bfe_i32 v13, v13, 0, 8
	s_delay_alu instid0(VALU_DEP_2) | instskip(NEXT) | instid1(VALU_DEP_1)
	v_bfe_i32 v16, v16, 0, 8
	v_cmp_le_i16_e64 s12, v13, v16
	s_and_b32 s11, s11, s12
	s_wait_alu 0xfffe
	s_or_b32 s11, s13, s11
	s_wait_alu 0xfffe
	v_cndmask_b32_e64 v13, v12, v14, s11
	v_cndmask_b32_e64 v15, v48, v34, s11
	v_cndmask_b32_e64 v39, v29, v30, s11
	s_delay_alu instid0(VALU_DEP_3) | instskip(NEXT) | instid1(VALU_DEP_3)
	v_add_nc_u32_e32 v16, 1, v13
	v_add_nc_u32_e32 v15, -1, v15
	s_delay_alu instid0(VALU_DEP_2) | instskip(NEXT) | instid1(VALU_DEP_2)
	v_cndmask_b32_e64 v14, v14, v16, s11
	v_min_u32_e32 v15, v16, v15
	v_cndmask_b32_e64 v12, v16, v12, s11
	s_delay_alu instid0(VALU_DEP_3) | instskip(NEXT) | instid1(VALU_DEP_3)
	v_cmp_lt_u32_e64 s12, v14, v34
	v_add_nc_u32_e32 v15, v10, v15
	s_delay_alu instid0(VALU_DEP_3) | instskip(SKIP_4) | instid1(VALU_DEP_2)
	v_cmp_ge_u32_e64 s14, v12, v48
	ds_load_u8 v15, v15
	s_wait_dscnt 0x0
	v_cndmask_b32_e64 v35, v15, v29, s11
	v_cndmask_b32_e64 v36, v30, v15, s11
	v_and_b32_e32 v15, v35, v11
	s_delay_alu instid0(VALU_DEP_2) | instskip(NEXT) | instid1(VALU_DEP_2)
	v_and_b32_e32 v17, v36, v11
	v_bfe_i32 v15, v15, 0, 8
	s_delay_alu instid0(VALU_DEP_2) | instskip(NEXT) | instid1(VALU_DEP_1)
	v_bfe_i32 v17, v17, 0, 8
	v_cmp_le_i16_e64 s13, v15, v17
	s_and_b32 s12, s12, s13
	s_wait_alu 0xfffe
	s_or_b32 s12, s14, s12
	s_wait_alu 0xfffe
	v_cndmask_b32_e64 v18, v12, v14, s12
	v_cndmask_b32_e64 v15, v48, v34, s12
	v_cndmask_b32_e64 v28, v35, v36, s12
	s_delay_alu instid0(VALU_DEP_3) | instskip(NEXT) | instid1(VALU_DEP_3)
	v_add_nc_u32_e32 v16, 1, v18
	v_add_nc_u32_e32 v15, -1, v15
	s_delay_alu instid0(VALU_DEP_2) | instskip(NEXT) | instid1(VALU_DEP_2)
	v_cndmask_b32_e64 v14, v14, v16, s12
	v_min_u32_e32 v15, v16, v15
	v_cndmask_b32_e64 v12, v16, v12, s12
	s_delay_alu instid0(VALU_DEP_3) | instskip(NEXT) | instid1(VALU_DEP_3)
	v_cmp_lt_u32_e64 s13, v14, v34
	v_add_nc_u32_e32 v15, v10, v15
	s_delay_alu instid0(VALU_DEP_3) | instskip(SKIP_4) | instid1(VALU_DEP_2)
	v_cmp_ge_u32_e64 s15, v12, v48
	ds_load_u8 v15, v15
	s_wait_dscnt 0x0
	v_cndmask_b32_e64 v37, v15, v35, s12
	v_cndmask_b32_e64 v49, v36, v15, s12
	v_and_b32_e32 v15, v37, v11
	s_delay_alu instid0(VALU_DEP_2) | instskip(NEXT) | instid1(VALU_DEP_2)
	v_and_b32_e32 v17, v49, v11
	v_bfe_i32 v15, v15, 0, 8
	s_delay_alu instid0(VALU_DEP_2) | instskip(NEXT) | instid1(VALU_DEP_1)
	v_bfe_i32 v17, v17, 0, 8
	v_cmp_le_i16_e64 s14, v15, v17
	s_and_b32 s13, s13, s14
	s_wait_alu 0xfffe
	s_or_b32 s13, s15, s13
	s_wait_alu 0xfffe
	v_cndmask_b32_e64 v19, v12, v14, s13
	v_cndmask_b32_e64 v15, v48, v34, s13
	v_cndmask_b32_e64 v23, v37, v49, s13
	s_delay_alu instid0(VALU_DEP_3) | instskip(NEXT) | instid1(VALU_DEP_3)
	v_add_nc_u32_e32 v16, 1, v19
	v_add_nc_u32_e32 v15, -1, v15
	s_delay_alu instid0(VALU_DEP_2) | instskip(NEXT) | instid1(VALU_DEP_2)
	v_cndmask_b32_e64 v14, v14, v16, s13
	v_min_u32_e32 v15, v16, v15
	v_cndmask_b32_e64 v12, v16, v12, s13
	s_delay_alu instid0(VALU_DEP_3) | instskip(NEXT) | instid1(VALU_DEP_3)
	v_cmp_lt_u32_e64 s14, v14, v34
	v_add_nc_u32_e32 v15, v10, v15
	s_delay_alu instid0(VALU_DEP_3) | instskip(SKIP_4) | instid1(VALU_DEP_2)
	v_cmp_ge_u32_e64 s16, v12, v48
	ds_load_u8 v15, v15
	s_wait_dscnt 0x0
	v_cndmask_b32_e64 v50, v15, v37, s13
	v_cndmask_b32_e64 v51, v49, v15, s13
	v_and_b32_e32 v15, v50, v11
	s_delay_alu instid0(VALU_DEP_2) | instskip(NEXT) | instid1(VALU_DEP_2)
	v_and_b32_e32 v17, v51, v11
	v_bfe_i32 v15, v15, 0, 8
	s_delay_alu instid0(VALU_DEP_2) | instskip(NEXT) | instid1(VALU_DEP_1)
	v_bfe_i32 v17, v17, 0, 8
	v_cmp_le_i16_e64 s15, v15, v17
	s_and_b32 s14, s14, s15
	s_wait_alu 0xfffe
	s_or_b32 s14, s16, s14
	s_wait_alu 0xfffe
	v_cndmask_b32_e64 v20, v12, v14, s14
	v_cndmask_b32_e64 v15, v48, v34, s14
	v_cndmask_b32_e64 v37, v50, v51, s14
	s_delay_alu instid0(VALU_DEP_3) | instskip(NEXT) | instid1(VALU_DEP_3)
	v_add_nc_u32_e32 v16, 1, v20
	v_add_nc_u32_e32 v15, -1, v15
	s_delay_alu instid0(VALU_DEP_2) | instskip(NEXT) | instid1(VALU_DEP_2)
	v_cndmask_b32_e64 v14, v14, v16, s14
	v_min_u32_e32 v15, v16, v15
	v_cndmask_b32_e64 v12, v16, v12, s14
	s_delay_alu instid0(VALU_DEP_3) | instskip(NEXT) | instid1(VALU_DEP_3)
	v_cmp_lt_u32_e64 s15, v14, v34
	v_add_nc_u32_e32 v15, v10, v15
	s_delay_alu instid0(VALU_DEP_3) | instskip(SKIP_4) | instid1(VALU_DEP_2)
	v_cmp_ge_u32_e64 s17, v12, v48
	ds_load_u8 v15, v15
	s_wait_dscnt 0x0
	v_cndmask_b32_e64 v52, v15, v50, s14
	v_cndmask_b32_e64 v53, v51, v15, s14
	v_and_b32_e32 v15, v52, v11
	s_delay_alu instid0(VALU_DEP_2) | instskip(NEXT) | instid1(VALU_DEP_2)
	v_and_b32_e32 v17, v53, v11
	v_bfe_i32 v15, v15, 0, 8
	s_delay_alu instid0(VALU_DEP_2) | instskip(NEXT) | instid1(VALU_DEP_1)
	v_bfe_i32 v17, v17, 0, 8
	v_cmp_le_i16_e64 s16, v15, v17
	s_and_b32 s15, s15, s16
	s_wait_alu 0xfffe
	s_or_b32 s15, s17, s15
	s_wait_alu 0xfffe
	v_cndmask_b32_e64 v21, v12, v14, s15
	v_cndmask_b32_e64 v15, v48, v34, s15
	;; [unrolled: 1-line block ×3, first 2 shown]
	s_delay_alu instid0(VALU_DEP_3) | instskip(NEXT) | instid1(VALU_DEP_3)
	v_add_nc_u32_e32 v16, 1, v21
	v_add_nc_u32_e32 v15, -1, v15
	s_delay_alu instid0(VALU_DEP_2) | instskip(NEXT) | instid1(VALU_DEP_2)
	v_cndmask_b32_e64 v24, v14, v16, s15
	v_min_u32_e32 v15, v16, v15
	v_cndmask_b32_e64 v12, v16, v12, s15
	s_delay_alu instid0(VALU_DEP_3) | instskip(NEXT) | instid1(VALU_DEP_3)
	v_cmp_lt_u32_e64 s16, v24, v34
	v_add_nc_u32_e32 v10, v10, v15
	s_delay_alu instid0(VALU_DEP_3) | instskip(SKIP_4) | instid1(VALU_DEP_2)
	v_cmp_ge_u32_e64 s18, v12, v48
	ds_load_u8 v10, v10
	s_wait_dscnt 0x0
	v_cndmask_b32_e64 v54, v10, v52, s15
	v_cndmask_b32_e64 v10, v53, v10, s15
	v_and_b32_e32 v15, v54, v11
	s_delay_alu instid0(VALU_DEP_2) | instskip(NEXT) | instid1(VALU_DEP_2)
	v_and_b32_e32 v11, v10, v11
	v_bfe_i32 v14, v15, 0, 8
	s_delay_alu instid0(VALU_DEP_2) | instskip(SKIP_1) | instid1(VALU_DEP_2)
	v_bfe_i32 v11, v11, 0, 8
	v_lshl_add_u32 v15, v5, 3, v9
	v_cmp_le_i16_e64 s17, v14, v11
	v_lshl_add_u32 v11, v13, 3, v9
	ds_load_b64 v[4:5], v4 offset:2048
	ds_load_b64 v[14:15], v15 offset:2048
	v_lshl_add_u32 v13, v19, 3, v9
	v_lshl_add_u32 v19, v21, 3, v9
	s_and_b32 s16, s16, s17
	ds_load_b64 v[16:17], v11 offset:2048
	s_wait_alu 0xfffe
	s_or_b32 s16, s18, s16
	s_wait_alu 0xfffe
	v_cndmask_b32_e64 v11, v12, v24, s16
	v_lshl_add_u32 v12, v18, 3, v9
	v_lshl_add_u32 v18, v20, 3, v9
	v_cndmask_b32_e64 v35, v54, v10, s16
	s_delay_alu instid0(VALU_DEP_4)
	v_lshl_add_u32 v9, v11, 3, v9
	ds_load_b64 v[24:25], v12 offset:2048
	ds_load_b64 v[26:27], v13 offset:2048
	;; [unrolled: 1-line block ×5, first 2 shown]
.LBB305_70:
	s_wait_alu 0xfffe
	s_or_b32 exec_lo, exec_lo, s20
	; wave barrier
	s_wait_storecnt_dscnt 0x0
	s_barrier_signal -1
	s_barrier_wait -1
                                        ; implicit-def: $vgpr34
                                        ; implicit-def: $vgpr29
                                        ; implicit-def: $vgpr30
                                        ; implicit-def: $vgpr9
.LBB305_71:
	s_wait_alu 0xfffe
	s_and_not1_saveexec_b32 s17, s19
	s_cbranch_execz .LBB305_117
; %bb.72:
	s_load_b64 s[10:11], s[8:9], 0x0
	s_and_b32 s7, ttmp7, 0xffff
	s_mov_b32 s13, 0
	s_wait_kmcnt 0x0
	s_wait_alu 0xfffe
	s_cmp_lt_u32 s7, s11
	s_cselect_b32 s12, 14, 20
	s_cmp_lt_u32 ttmp9, s10
	s_wait_alu 0xfffe
	s_add_nc_u64 s[14:15], s[8:9], s[12:13]
	s_cselect_b32 s12, 12, 18
	s_load_u16 s7, s[14:15], 0x0
	s_add_nc_u64 s[8:9], s[8:9], s[12:13]
	s_load_u16 s8, s[8:9], 0x0
	s_mov_b32 s15, exec_lo
	s_wait_kmcnt 0x0
	v_mad_u32_u24 v10, v30, s7, v29
	s_delay_alu instid0(VALU_DEP_1) | instskip(NEXT) | instid1(VALU_DEP_1)
	v_mul_lo_u32 v10, v10, s8
	v_add_lshl_u32 v11, v10, v9, 3
	s_delay_alu instid0(VALU_DEP_1)
	v_cmpx_gt_u32_e32 0x800, v11
	s_cbranch_execz .LBB305_76
; %bb.73:
	s_wait_loadcnt_dscnt 0x0
	v_perm_b32 v9, v39, v28, 0xc0c0004
	v_perm_b32 v10, v22, v38, 0xc0c0004
	;; [unrolled: 1-line block ×3, first 2 shown]
	v_bfe_i32 v22, v22, 0, 8
	v_bfe_i32 v29, v38, 0, 8
	v_lshlrev_b32_e32 v9, 16, v9
	s_delay_alu instid0(VALU_DEP_2) | instskip(NEXT) | instid1(VALU_DEP_2)
	v_cmp_gt_i16_e64 s7, v29, v22
	v_or_b32_e32 v28, v28, v9
	v_or_b32_e32 v9, v10, v9
	v_perm_b32 v22, v23, v37, 0xc0c0004
	v_perm_b32 v23, v36, v35, 0xc0c0004
	s_wait_alu 0xf1ff
	v_cndmask_b32_e64 v10, v14, v4, s7
	v_cndmask_b32_e64 v4, v4, v14, s7
	;; [unrolled: 1-line block ×3, first 2 shown]
	v_lshl_or_b32 v22, v23, 16, v22
	s_delay_alu instid0(VALU_DEP_2) | instskip(SKIP_1) | instid1(VALU_DEP_3)
	v_lshrrev_b32_e32 v28, 16, v9
	v_lshrrev_b32_e32 v23, 24, v9
	;; [unrolled: 1-line block ×3, first 2 shown]
	v_bfe_i32 v31, v22, 0, 8
	s_delay_alu instid0(VALU_DEP_4) | instskip(NEXT) | instid1(VALU_DEP_4)
	v_perm_b32 v29, 0, v28, 0xc0c0001
	v_bfe_i32 v23, v23, 0, 8
	v_bfe_i32 v28, v28, 0, 8
	;; [unrolled: 1-line block ×3, first 2 shown]
	s_delay_alu instid0(VALU_DEP_4) | instskip(NEXT) | instid1(VALU_DEP_3)
	v_lshlrev_b32_e32 v29, 16, v29
	v_cmp_gt_i16_e64 s8, v23, v28
	v_perm_b32 v28, v22, v22, 0x7060405
	s_delay_alu instid0(VALU_DEP_4) | instskip(NEXT) | instid1(VALU_DEP_4)
	v_cmp_gt_i16_e64 s9, v30, v31
	v_and_or_b32 v23, 0xffff, v9, v29
	v_cndmask_b32_e64 v31, v15, v5, s7
	s_wait_alu 0xf1ff
	v_cndmask_b32_e64 v37, v17, v25, s8
	v_cndmask_b32_e64 v17, v25, v17, s8
	;; [unrolled: 1-line block ×7, first 2 shown]
	v_lshrrev_b32_e32 v35, 24, v22
	v_lshrrev_b32_e32 v28, 16, v9
	;; [unrolled: 1-line block ×4, first 2 shown]
	v_perm_b32 v38, v9, v9, 0x7050604
	v_bfe_i32 v35, v35, 0, 8
	v_bfe_i32 v28, v28, 0, 8
	;; [unrolled: 1-line block ×4, first 2 shown]
	v_cndmask_b32_e64 v16, v16, v24, s8
	v_cndmask_b32_e64 v23, v26, v20, s9
	;; [unrolled: 1-line block ×3, first 2 shown]
	v_cmp_gt_i16_e64 s10, v28, v30
	v_perm_b32 v28, v22, v22, 0x6070504
	v_cmp_gt_i16_e64 s11, v35, v36
	v_cndmask_b32_e64 v15, v20, v26, s9
	s_wait_alu 0xf1ff
	v_cndmask_b32_e64 v9, v9, v38, s10
	v_cndmask_b32_e64 v30, v37, v31, s10
	;; [unrolled: 1-line block ×5, first 2 shown]
	v_lshrrev_b32_e32 v28, 16, v9
	s_delay_alu instid0(VALU_DEP_4) | instskip(SKIP_1) | instid1(VALU_DEP_3)
	v_lshlrev_b16 v36, 8, v22
	v_bfe_i32 v38, v22, 0, 8
	v_and_b32_e32 v28, 0xff, v28
	s_delay_alu instid0(VALU_DEP_1) | instskip(SKIP_1) | instid1(VALU_DEP_2)
	v_or_b32_e32 v28, v28, v36
	v_lshrrev_b32_e32 v36, 24, v9
	v_lshlrev_b32_e32 v28, 16, v28
	s_delay_alu instid0(VALU_DEP_2) | instskip(NEXT) | instid1(VALU_DEP_2)
	v_bfe_i32 v36, v36, 0, 8
	v_and_or_b32 v25, 0xffff, v9, v28
	s_delay_alu instid0(VALU_DEP_2) | instskip(SKIP_3) | instid1(VALU_DEP_3)
	v_cmp_gt_i16_e64 s12, v38, v36
	v_cndmask_b32_e64 v38, v10, v16, s10
	v_cndmask_b32_e64 v10, v16, v10, s10
	s_wait_alu 0xf1ff
	v_cndmask_b32_e64 v25, v9, v25, s12
	v_perm_b32 v9, v9, v22, 0x3020107
	v_cndmask_b32_e64 v28, v17, v39, s12
	v_cndmask_b32_e64 v17, v39, v17, s12
	s_delay_alu instid0(VALU_DEP_4) | instskip(NEXT) | instid1(VALU_DEP_4)
	v_lshrrev_b32_e32 v21, 8, v25
	v_cndmask_b32_e64 v9, v22, v9, s12
	v_perm_b32 v22, 0, v25, 0xc0c0001
	v_bfe_i32 v24, v25, 0, 8
	s_delay_alu instid0(VALU_DEP_4) | instskip(NEXT) | instid1(VALU_DEP_4)
	v_bfe_i32 v21, v21, 0, 8
	v_lshrrev_b32_e32 v27, 16, v9
	v_lshrrev_b32_e32 v36, 8, v9
	v_and_or_b32 v22, 0xffff0000, v25, v22
	s_delay_alu instid0(VALU_DEP_4) | instskip(NEXT) | instid1(VALU_DEP_4)
	v_cmp_gt_i16_e64 s8, v21, v24
	v_bfe_i32 v21, v27, 0, 8
	s_delay_alu instid0(VALU_DEP_4)
	v_bfe_i32 v24, v36, 0, 8
	v_cndmask_b32_e64 v27, v19, v13, s11
	v_cndmask_b32_e64 v13, v13, v19, s11
	s_wait_alu 0xf1ff
	v_cndmask_b32_e64 v22, v25, v22, s8
	v_perm_b32 v25, v9, v9, 0x7050604
	v_cmp_gt_i16_e64 s13, v21, v24
	v_cndmask_b32_e64 v36, v38, v4, s8
	v_cndmask_b32_e64 v4, v4, v38, s8
	v_lshrrev_b32_e32 v20, 16, v22
	v_lshrrev_b32_e32 v24, 24, v22
	s_wait_alu 0xf1ff
	v_cndmask_b32_e64 v9, v9, v25, s13
	v_cndmask_b32_e64 v25, v29, v23, s12
	;; [unrolled: 1-line block ×3, first 2 shown]
	v_perm_b32 v16, 0, v20, 0xc0c0001
	v_bfe_i32 v24, v24, 0, 8
	v_lshrrev_b32_e32 v26, 8, v9
	v_bfe_i32 v20, v20, 0, 8
	v_bfe_i32 v29, v9, 0, 8
	v_lshlrev_b32_e32 v16, 16, v16
	v_cndmask_b32_e64 v21, v14, v27, s13
	v_bfe_i32 v26, v26, 0, 8
	v_cmp_gt_i16_e64 s7, v24, v20
	v_perm_b32 v24, v9, v9, 0x7060405
	v_and_or_b32 v16, 0xffff, v22, v16
	v_cndmask_b32_e64 v14, v27, v14, s13
	v_cmp_gt_i16_e64 s9, v26, v29
	s_wait_alu 0xf1ff
	v_cndmask_b32_e64 v26, v25, v10, s7
	v_cndmask_b32_e64 v10, v10, v25, s7
	;; [unrolled: 1-line block ×7, first 2 shown]
	v_lshrrev_b32_e32 v18, 16, v16
	v_lshrrev_b32_e32 v24, 8, v16
	;; [unrolled: 1-line block ×4, first 2 shown]
	v_perm_b32 v50, v16, v16, 0x7050604
	v_bfe_i32 v18, v18, 0, 8
	v_bfe_i32 v24, v24, 0, 8
	;; [unrolled: 1-line block ×4, first 2 shown]
	v_cndmask_b32_e64 v20, v15, v35, s13
	v_cndmask_b32_e64 v31, v22, v5, s8
	v_cmp_gt_i16_e64 s10, v18, v24
	v_perm_b32 v18, v9, v9, 0x6070504
	v_cmp_gt_i16_e64 s14, v37, v48
	v_cndmask_b32_e64 v29, v23, v20, s9
	v_cndmask_b32_e64 v20, v20, v23, s9
	s_wait_alu 0xf1ff
	v_cndmask_b32_e64 v16, v16, v50, s10
	v_cndmask_b32_e64 v5, v5, v22, s8
	;; [unrolled: 1-line block ×5, first 2 shown]
	v_lshrrev_b32_e32 v18, 16, v16
	v_lshrrev_b32_e32 v48, 24, v16
	v_lshlrev_b16 v37, 8, v9
	v_cndmask_b32_e64 v35, v15, v12, s14
	v_cndmask_b32_e64 v12, v12, v15, s14
	v_and_b32_e32 v18, 0xff, v18
	v_bfe_i32 v39, v48, 0, 8
	v_cndmask_b32_e64 v48, v17, v21, s9
	v_cndmask_b32_e64 v17, v21, v17, s9
	s_delay_alu instid0(VALU_DEP_4) | instskip(SKIP_1) | instid1(VALU_DEP_2)
	v_or_b32_e32 v18, v18, v37
	v_bfe_i32 v37, v9, 0, 8
	v_lshlrev_b32_e32 v18, 16, v18
	s_delay_alu instid0(VALU_DEP_2) | instskip(SKIP_2) | instid1(VALU_DEP_4)
	v_cmp_gt_i16_e64 s12, v37, v39
	v_cndmask_b32_e64 v37, v36, v10, s10
	v_cndmask_b32_e64 v10, v10, v36, s10
	v_and_or_b32 v18, 0xffff, v16, v18
	s_wait_alu 0xf1ff
	v_cndmask_b32_e64 v19, v28, v48, s12
	s_delay_alu instid0(VALU_DEP_2) | instskip(SKIP_1) | instid1(VALU_DEP_2)
	v_cndmask_b32_e64 v18, v16, v18, s12
	v_perm_b32 v16, v16, v9, 0x3020107
	v_lshrrev_b32_e32 v21, 8, v18
	s_delay_alu instid0(VALU_DEP_2) | instskip(SKIP_2) | instid1(VALU_DEP_4)
	v_cndmask_b32_e64 v9, v9, v16, s12
	v_perm_b32 v16, 0, v18, 0xc0c0001
	v_bfe_i32 v25, v18, 0, 8
	v_bfe_i32 v21, v21, 0, 8
	s_delay_alu instid0(VALU_DEP_4) | instskip(SKIP_2) | instid1(VALU_DEP_4)
	v_lshrrev_b32_e32 v27, 16, v9
	v_lshrrev_b32_e32 v30, 8, v9
	v_and_or_b32 v16, 0xffff0000, v18, v16
	v_cmp_gt_i16_e64 s7, v21, v25
	s_delay_alu instid0(VALU_DEP_4) | instskip(NEXT) | instid1(VALU_DEP_4)
	v_bfe_i32 v21, v27, 0, 8
	v_bfe_i32 v25, v30, 0, 8
	v_cndmask_b32_e64 v27, v14, v13, s14
	v_cndmask_b32_e64 v13, v13, v14, s14
	s_wait_alu 0xf1ff
	v_cndmask_b32_e64 v16, v18, v16, s7
	v_perm_b32 v18, v9, v9, 0x7050604
	v_cmp_gt_i16_e64 s11, v21, v25
	v_cndmask_b32_e64 v25, v26, v29, s12
	v_cndmask_b32_e64 v26, v29, v26, s12
	v_lshrrev_b32_e32 v21, 16, v16
	v_cndmask_b32_e64 v14, v48, v28, s12
	s_wait_alu 0xf1ff
	v_cndmask_b32_e64 v9, v9, v18, s11
	v_lshrrev_b32_e32 v18, 24, v16
	v_cndmask_b32_e64 v22, v17, v27, s11
	v_perm_b32 v23, 0, v21, 0xc0c0001
	v_bfe_i32 v21, v21, 0, 8
	v_lshrrev_b32_e32 v36, 8, v9
	v_bfe_i32 v18, v18, 0, 8
	v_bfe_i32 v29, v9, 0, 8
	v_lshlrev_b32_e32 v23, 16, v23
	v_cndmask_b32_e64 v17, v27, v17, s11
	v_bfe_i32 v36, v36, 0, 8
	v_cmp_gt_i16_e64 s8, v18, v21
	v_cndmask_b32_e64 v21, v20, v35, s11
	v_and_or_b32 v18, 0xffff, v16, v23
	v_perm_b32 v23, v9, v9, 0x7060405
	v_cmp_gt_i16_e64 s9, v36, v29
	v_cndmask_b32_e64 v30, v37, v4, s7
	v_cndmask_b32_e64 v4, v4, v37, s7
	s_wait_alu 0xf1ff
	v_cndmask_b32_e64 v16, v16, v18, s8
	v_cndmask_b32_e64 v18, v31, v49, s10
	;; [unrolled: 1-line block ×5, first 2 shown]
	v_lshrrev_b32_e32 v15, 16, v16
	v_lshrrev_b32_e32 v23, 8, v16
	v_lshrrev_b32_e32 v38, 24, v9
	v_lshrrev_b32_e32 v39, 16, v9
	v_perm_b32 v50, v16, v16, 0x7050604
	v_bfe_i32 v15, v15, 0, 8
	v_bfe_i32 v23, v23, 0, 8
	;; [unrolled: 1-line block ×4, first 2 shown]
	v_cndmask_b32_e64 v36, v18, v5, s7
	v_cndmask_b32_e64 v5, v5, v18, s7
	v_cmp_gt_i16_e64 s10, v15, v23
	v_cndmask_b32_e64 v15, v35, v20, s11
	v_perm_b32 v20, v9, v9, 0x6070504
	v_cmp_gt_i16_e64 s13, v38, v39
	v_cndmask_b32_e64 v19, v19, v24, s8
	s_wait_alu 0xf1ff
	v_cndmask_b32_e64 v16, v16, v50, s10
	v_cndmask_b32_e64 v29, v25, v10, s8
	;; [unrolled: 1-line block ×5, first 2 shown]
	v_lshrrev_b32_e32 v20, 16, v16
	v_lshrrev_b32_e32 v28, 24, v16
	v_cndmask_b32_e64 v12, v12, v15, s13
	v_lshlrev_b16 v38, 8, v9
	v_bfe_i32 v18, v9, 0, 8
	v_and_b32_e32 v20, 0xff, v20
	v_bfe_i32 v27, v28, 0, 8
	v_cndmask_b32_e64 v28, v14, v22, s9
	v_cndmask_b32_e64 v14, v22, v14, s9
	;; [unrolled: 1-line block ×3, first 2 shown]
	v_or_b32_e32 v20, v20, v38
	v_cmp_gt_i16_e64 s7, v18, v27
	s_delay_alu instid0(VALU_DEP_2) | instskip(SKIP_1) | instid1(VALU_DEP_2)
	v_lshlrev_b32_e32 v20, 16, v20
	s_wait_alu 0xf1ff
	v_cndmask_b32_e64 v22, v19, v28, s7
	v_cndmask_b32_e64 v19, v28, v19, s7
	;; [unrolled: 1-line block ×3, first 2 shown]
	v_and_or_b32 v18, 0xffff, v16, v20
	v_cndmask_b32_e64 v20, v21, v26, s9
	v_cndmask_b32_e64 v21, v17, v13, s13
	;; [unrolled: 1-line block ×3, first 2 shown]
	s_delay_alu instid0(VALU_DEP_4) | instskip(SKIP_1) | instid1(VALU_DEP_2)
	v_cndmask_b32_e64 v18, v16, v18, s7
	v_perm_b32 v16, v16, v9, 0x3020107
	v_lshrrev_b32_e32 v15, 8, v18
	s_delay_alu instid0(VALU_DEP_2)
	v_cndmask_b32_e64 v9, v9, v16, s7
	v_perm_b32 v17, 0, v18, 0xc0c0001
	v_bfe_i32 v24, v18, 0, 8
	v_cndmask_b32_e64 v16, v10, v30, s10
	v_bfe_i32 v15, v15, 0, 8
	v_lshrrev_b32_e32 v25, 16, v9
	v_lshrrev_b32_e32 v26, 8, v9
	v_and_or_b32 v17, 0xffff0000, v18, v17
	v_cndmask_b32_e64 v10, v30, v10, s10
	v_cmp_gt_i16_e64 s8, v15, v24
	v_bfe_i32 v15, v25, 0, 8
	v_bfe_i32 v24, v26, 0, 8
	v_cndmask_b32_e64 v25, v36, v49, s10
	s_wait_alu 0xf1ff
	v_cndmask_b32_e64 v17, v18, v17, s8
	v_perm_b32 v18, v9, v9, 0x7050604
	v_cmp_gt_i16_e64 s9, v15, v24
	v_cndmask_b32_e64 v15, v29, v31, s7
	v_cndmask_b32_e64 v26, v10, v4, s8
	v_lshrrev_b32_e32 v24, 16, v17
	v_cndmask_b32_e64 v4, v4, v10, s8
	s_wait_alu 0xf1ff
	v_cndmask_b32_e64 v9, v9, v18, s9
	v_lshrrev_b32_e32 v18, 24, v17
	v_cndmask_b32_e64 v30, v20, v35, s9
	v_perm_b32 v29, 0, v24, 0xc0c0001
	v_bfe_i32 v24, v24, 0, 8
	v_lshrrev_b32_e32 v31, 8, v9
	v_bfe_i32 v18, v18, 0, 8
	v_cndmask_b32_e64 v35, v35, v20, s9
	v_lshlrev_b32_e32 v29, 16, v29
	v_bfe_i32 v20, v9, 0, 8
	v_bfe_i32 v31, v31, 0, 8
	v_cmp_gt_i16_e64 s7, v18, v24
	v_cndmask_b32_e64 v27, v14, v21, s9
	v_and_or_b32 v18, 0xffff, v17, v29
	v_cndmask_b32_e64 v14, v21, v14, s9
	v_perm_b32 v21, v9, v9, 0x7060405
	v_cmp_gt_i16_e64 s9, v31, v20
	v_cndmask_b32_e64 v24, v25, v5, s8
	s_wait_alu 0xf1ff
	v_cndmask_b32_e64 v18, v17, v18, s7
	v_cndmask_b32_e64 v5, v5, v25, s8
	;; [unrolled: 1-line block ×5, first 2 shown]
	v_lshrrev_b32_e32 v17, 16, v18
	v_lshrrev_b32_e32 v20, 8, v18
	v_perm_b32 v25, v18, v18, 0x7050604
	v_lshrrev_b32_e32 v10, 24, v9
	v_lshrrev_b32_e32 v21, 16, v9
	v_bfe_i32 v17, v17, 0, 8
	v_bfe_i32 v20, v20, 0, 8
	v_perm_b32 v37, v9, v9, 0x6070504
	v_bfe_i32 v10, v10, 0, 8
	v_bfe_i32 v21, v21, 0, 8
	v_cndmask_b32_e64 v22, v22, v23, s7
	v_cmp_gt_i16_e64 s8, v17, v20
	v_cndmask_b32_e64 v29, v15, v16, s7
	v_cndmask_b32_e64 v31, v28, v30, s9
	v_cmp_gt_i16_e64 s10, v10, v21
	v_cndmask_b32_e64 v21, v27, v19, s9
	s_wait_alu 0xf1ff
	v_cndmask_b32_e64 v18, v18, v25, s8
	v_cndmask_b32_e64 v27, v16, v15, s7
	;; [unrolled: 1-line block ×5, first 2 shown]
	v_lshrrev_b32_e32 v9, 16, v18
	v_lshrrev_b32_e32 v23, 24, v18
	v_cndmask_b32_e64 v13, v13, v14, s10
	v_lshlrev_b16 v15, 8, v19
	v_bfe_i32 v25, v19, 0, 8
	v_and_b32_e32 v16, 0xff, v9
	v_bfe_i32 v23, v23, 0, 8
	v_cndmask_b32_e64 v17, v36, v24, s8
	v_cndmask_b32_e64 v9, v35, v12, s10
	;; [unrolled: 1-line block ×3, first 2 shown]
	v_or_b32_e32 v14, v16, v15
	v_perm_b32 v15, v18, v19, 0x3020107
	v_cmp_gt_i16_e64 s7, v25, v23
	v_cndmask_b32_e64 v16, v27, v26, s8
	s_delay_alu instid0(VALU_DEP_4)
	v_lshlrev_b32_e32 v28, 16, v14
	v_cndmask_b32_e64 v14, v26, v27, s8
	s_wait_alu 0xf1ff
	v_cndmask_b32_e64 v23, v19, v15, s7
	v_cndmask_b32_e64 v15, v24, v36, s8
	;; [unrolled: 1-line block ×3, first 2 shown]
	v_and_or_b32 v19, 0xffff, v18, v28
	v_cndmask_b32_e64 v27, v38, v22, s7
	v_lshrrev_b32_e32 v37, 8, v23
	v_lshrrev_b32_e32 v36, 16, v23
	v_cndmask_b32_e64 v24, v29, v31, s7
	v_cndmask_b32_e64 v22, v18, v19, s7
	;; [unrolled: 1-line block ×3, first 2 shown]
	v_bfe_i32 v18, v37, 0, 8
	v_bfe_i32 v19, v36, 0, 8
	v_lshrrev_b32_e32 v35, 24, v23
	v_lshrrev_b64 v[28:29], 24, v[22:23]
	v_lshrrev_b32_e32 v39, 16, v22
	v_lshrrev_b32_e32 v38, 8, v22
	v_cmp_gt_i16_e64 s7, v19, v18
	v_dual_mov_b32 v19, v10 :: v_dual_mov_b32 v18, v9
	s_and_saveexec_b32 s8, s7
; %bb.74:
	v_dual_mov_b32 v29, v37 :: v_dual_mov_b32 v18, v20
	v_swap_b32 v37, v36
	v_mov_b32_e32 v19, v21
	v_dual_mov_b32 v21, v10 :: v_dual_mov_b32 v20, v9
; %bb.75:
	s_wait_alu 0xfffe
	s_or_b32 exec_lo, exec_lo, s8
.LBB305_76:
	s_wait_alu 0xfffe
	s_or_b32 exec_lo, exec_lo, s15
	v_and_b32_e32 v10, 0xffffff00, v11
	v_or_b32_e32 v11, 8, v34
	v_and_b32_e32 v31, 8, v34
	v_and_b32_e32 v48, 0xf0, v34
	s_mov_b32 s8, exec_lo
	v_sub_nc_u32_e64 v29, 0x800, v10 clamp
	v_lshlrev_b32_e32 v9, 3, v10
	v_or_b32_e32 v52, v10, v34
	s_delay_alu instid0(VALU_DEP_3) | instskip(SKIP_1) | instid1(VALU_DEP_4)
	v_min_u32_e32 v30, v29, v11
	v_min_u32_e32 v49, v29, v31
	v_lshl_or_b32 v11, v34, 3, v9
	s_wait_loadcnt_dscnt 0x0
	ds_store_b8 v52, v22
	ds_store_b64 v11, v[4:5] offset:2048
	ds_store_b8 v52, v38 offset:1
	v_add_nc_u32_e32 v50, 8, v30
	v_sub_nc_u32_e32 v51, v30, v48
	ds_store_b64 v11, v[14:15] offset:2056
	ds_store_b8 v52, v39 offset:2
	ds_store_b64 v11, v[16:17] offset:2064
	ds_store_b8 v52, v28 offset:3
	;; [unrolled: 2-line block ×6, first 2 shown]
	ds_store_b64 v11, v[12:13] offset:2104
	v_min_u32_e32 v31, v29, v50
	v_min_u32_e32 v51, v49, v51
	; wave barrier
	s_delay_alu instid0(VALU_DEP_2) | instskip(NEXT) | instid1(VALU_DEP_1)
	v_sub_nc_u32_e32 v50, v31, v30
	v_sub_nc_u32_e64 v50, v49, v50 clamp
	s_delay_alu instid0(VALU_DEP_1)
	v_cmpx_lt_u32_e64 v50, v51
	s_cbranch_execz .LBB305_80
; %bb.77:
	v_add_nc_u32_e32 v52, v10, v48
	v_add3_u32 v53, v10, v30, v49
	s_mov_b32 s9, 0
.LBB305_78:                             ; =>This Inner Loop Header: Depth=1
	v_add_nc_u32_e32 v54, v51, v50
	s_delay_alu instid0(VALU_DEP_1) | instskip(NEXT) | instid1(VALU_DEP_1)
	v_lshrrev_b32_e32 v54, 1, v54
	v_add_nc_u32_e32 v55, v52, v54
	v_xad_u32 v64, v54, -1, v53
	v_add_nc_u32_e32 v65, 1, v54
	ds_load_i8 v55, v55
	ds_load_i8 v64, v64
	s_wait_dscnt 0x0
	v_cmp_gt_i16_e64 s7, v64, v55
	s_wait_alu 0xf1ff
	s_delay_alu instid0(VALU_DEP_1) | instskip(SKIP_1) | instid1(VALU_DEP_1)
	v_cndmask_b32_e64 v51, v51, v54, s7
	v_cndmask_b32_e64 v50, v65, v50, s7
	v_cmp_ge_u32_e64 s7, v50, v51
	s_wait_alu 0xfffe
	s_or_b32 s9, s7, s9
	s_wait_alu 0xfffe
	s_and_not1_b32 exec_lo, exec_lo, s9
	s_cbranch_execnz .LBB305_78
; %bb.79:
	s_or_b32 exec_lo, exec_lo, s9
.LBB305_80:
	s_wait_alu 0xfffe
	s_or_b32 exec_lo, exec_lo, s8
	v_add_nc_u32_e32 v51, v30, v49
	v_add_nc_u32_e32 v49, v50, v48
	s_delay_alu instid0(VALU_DEP_2) | instskip(NEXT) | instid1(VALU_DEP_2)
	v_sub_nc_u32_e32 v48, v51, v50
	v_cmp_le_u32_e64 s7, v49, v30
	s_delay_alu instid0(VALU_DEP_2)
	v_cmp_le_u32_e64 s8, v48, v31
	s_or_b32 s7, s7, s8
	s_wait_alu 0xfffe
	s_and_saveexec_b32 s18, s7
	s_cbranch_execz .LBB305_86
; %bb.81:
	v_cmp_lt_u32_e64 s7, v49, v30
                                        ; implicit-def: $vgpr22
	s_and_saveexec_b32 s8, s7
; %bb.82:
	v_add_nc_u32_e32 v4, v10, v49
	ds_load_u8 v22, v4
; %bb.83:
	s_wait_alu 0xfffe
	s_or_b32 exec_lo, exec_lo, s8
	v_cmp_ge_u32_e64 s8, v48, v31
	s_mov_b32 s10, exec_lo
                                        ; implicit-def: $vgpr23
	v_cmpx_lt_u32_e64 v48, v31
; %bb.84:
	v_add_nc_u32_e32 v4, v10, v48
	ds_load_u8 v23, v4
; %bb.85:
	s_wait_alu 0xfffe
	s_or_b32 exec_lo, exec_lo, s10
	s_wait_dscnt 0x0
	v_bfe_i32 v4, v22, 0, 8
	v_bfe_i32 v5, v23, 0, 8
	s_delay_alu instid0(VALU_DEP_1)
	v_cmp_le_i16_e64 s9, v5, v4
	s_and_b32 s7, s7, s9
	s_wait_alu 0xfffe
	s_or_b32 s7, s8, s7
	s_wait_alu 0xfffe
	v_cndmask_b32_e64 v4, v48, v49, s7
	v_cndmask_b32_e64 v5, v31, v30, s7
	s_delay_alu instid0(VALU_DEP_2) | instskip(NEXT) | instid1(VALU_DEP_2)
	v_add_nc_u32_e32 v12, 1, v4
	v_add_nc_u32_e32 v5, -1, v5
	v_lshl_add_u32 v4, v4, 3, v9
	s_delay_alu instid0(VALU_DEP_2) | instskip(NEXT) | instid1(VALU_DEP_1)
	v_min_u32_e32 v5, v12, v5
	v_add_nc_u32_e32 v5, v10, v5
	ds_load_u8 v5, v5
	s_wait_dscnt 0x0
	v_cndmask_b32_e64 v28, v5, v23, s7
	v_cndmask_b32_e64 v35, v22, v5, s7
	;; [unrolled: 1-line block ×5, first 2 shown]
	v_bfe_i32 v13, v28, 0, 8
	v_bfe_i32 v14, v35, 0, 8
	v_cmp_lt_u32_e64 s8, v5, v30
	v_cmp_ge_u32_e64 s10, v12, v31
	s_delay_alu instid0(VALU_DEP_3)
	v_cmp_le_i16_e64 s9, v13, v14
	s_and_b32 s8, s8, s9
	s_wait_alu 0xfffe
	s_or_b32 s8, s10, s8
	s_wait_alu 0xfffe
	v_cndmask_b32_e64 v13, v12, v5, s8
	v_cndmask_b32_e64 v14, v31, v30, s8
	;; [unrolled: 1-line block ×3, first 2 shown]
	s_delay_alu instid0(VALU_DEP_3) | instskip(NEXT) | instid1(VALU_DEP_3)
	v_add_nc_u32_e32 v15, 1, v13
	v_add_nc_u32_e32 v14, -1, v14
	v_lshl_add_u32 v13, v13, 3, v9
	s_delay_alu instid0(VALU_DEP_3) | instskip(NEXT) | instid1(VALU_DEP_3)
	v_cndmask_b32_e64 v5, v5, v15, s8
	v_min_u32_e32 v14, v15, v14
	v_cndmask_b32_e64 v12, v15, v12, s8
	s_delay_alu instid0(VALU_DEP_3) | instskip(NEXT) | instid1(VALU_DEP_3)
	v_cmp_lt_u32_e64 s9, v5, v30
	v_add_nc_u32_e32 v14, v10, v14
	s_delay_alu instid0(VALU_DEP_3) | instskip(SKIP_4) | instid1(VALU_DEP_2)
	v_cmp_ge_u32_e64 s11, v12, v31
	ds_load_u8 v14, v14
	s_wait_dscnt 0x0
	v_cndmask_b32_e64 v36, v14, v28, s8
	v_cndmask_b32_e64 v37, v35, v14, s8
	v_bfe_i32 v14, v36, 0, 8
	s_delay_alu instid0(VALU_DEP_2) | instskip(NEXT) | instid1(VALU_DEP_1)
	v_bfe_i32 v16, v37, 0, 8
	v_cmp_le_i16_e64 s10, v14, v16
	s_and_b32 s9, s9, s10
	s_wait_alu 0xfffe
	s_or_b32 s9, s11, s9
	s_wait_alu 0xfffe
	v_cndmask_b32_e64 v14, v12, v5, s9
	v_cndmask_b32_e64 v15, v31, v30, s9
	v_cndmask_b32_e64 v39, v36, v37, s9
	s_delay_alu instid0(VALU_DEP_3) | instskip(NEXT) | instid1(VALU_DEP_3)
	v_add_nc_u32_e32 v16, 1, v14
	v_add_nc_u32_e32 v15, -1, v15
	s_delay_alu instid0(VALU_DEP_2) | instskip(NEXT) | instid1(VALU_DEP_2)
	v_cndmask_b32_e64 v5, v5, v16, s9
	v_min_u32_e32 v15, v16, v15
	v_cndmask_b32_e64 v12, v16, v12, s9
	s_delay_alu instid0(VALU_DEP_3) | instskip(NEXT) | instid1(VALU_DEP_3)
	v_cmp_lt_u32_e64 s10, v5, v30
	v_add_nc_u32_e32 v15, v10, v15
	s_delay_alu instid0(VALU_DEP_3) | instskip(SKIP_4) | instid1(VALU_DEP_2)
	v_cmp_ge_u32_e64 s12, v12, v31
	ds_load_u8 v15, v15
	s_wait_dscnt 0x0
	v_cndmask_b32_e64 v48, v15, v36, s9
	v_cndmask_b32_e64 v49, v37, v15, s9
	v_bfe_i32 v15, v48, 0, 8
	s_delay_alu instid0(VALU_DEP_2) | instskip(NEXT) | instid1(VALU_DEP_1)
	v_bfe_i32 v17, v49, 0, 8
	v_cmp_le_i16_e64 s11, v15, v17
	s_and_b32 s10, s10, s11
	s_wait_alu 0xfffe
	s_or_b32 s10, s12, s10
	s_wait_alu 0xfffe
	v_cndmask_b32_e64 v18, v12, v5, s10
	v_cndmask_b32_e64 v15, v31, v30, s10
	v_cndmask_b32_e64 v28, v48, v49, s10
	s_delay_alu instid0(VALU_DEP_3) | instskip(NEXT) | instid1(VALU_DEP_3)
	v_add_nc_u32_e32 v16, 1, v18
	v_add_nc_u32_e32 v15, -1, v15
	s_delay_alu instid0(VALU_DEP_2) | instskip(NEXT) | instid1(VALU_DEP_2)
	;; [unrolled: 27-line block ×5, first 2 shown]
	v_cndmask_b32_e64 v24, v5, v16, s13
	v_min_u32_e32 v15, v16, v15
	v_cndmask_b32_e64 v12, v16, v12, s13
	v_lshl_add_u32 v16, v14, 3, v9
	s_delay_alu instid0(VALU_DEP_4) | instskip(NEXT) | instid1(VALU_DEP_4)
	v_cmp_lt_u32_e64 s14, v24, v30
	v_add_nc_u32_e32 v15, v10, v15
	s_delay_alu instid0(VALU_DEP_4)
	v_cmp_ge_u32_e64 s16, v12, v31
	v_lshl_add_u32 v30, v21, 3, v9
	ds_load_u8 v15, v15
	s_wait_dscnt 0x0
	v_cndmask_b32_e64 v64, v15, v54, s13
	v_cndmask_b32_e64 v65, v55, v15, s13
	s_delay_alu instid0(VALU_DEP_2) | instskip(NEXT) | instid1(VALU_DEP_2)
	v_bfe_i32 v5, v64, 0, 8
	v_bfe_i32 v15, v65, 0, 8
	s_delay_alu instid0(VALU_DEP_1)
	v_cmp_le_i16_e64 s15, v5, v15
	ds_load_b64 v[4:5], v4 offset:2048
	ds_load_b64 v[14:15], v13 offset:2048
	v_lshl_add_u32 v13, v18, 3, v9
	v_lshl_add_u32 v18, v19, 3, v9
	;; [unrolled: 1-line block ×3, first 2 shown]
	s_and_b32 s14, s14, s15
	ds_load_b64 v[16:17], v16 offset:2048
	s_wait_alu 0xfffe
	s_or_b32 s14, s16, s14
	s_wait_alu 0xfffe
	v_cndmask_b32_e64 v12, v12, v24, s14
	v_cndmask_b32_e64 v35, v64, v65, s14
	s_delay_alu instid0(VALU_DEP_2)
	v_lshl_add_u32 v12, v12, 3, v9
	ds_load_b64 v[24:25], v13 offset:2048
	ds_load_b64 v[26:27], v18 offset:2048
	;; [unrolled: 1-line block ×5, first 2 shown]
.LBB305_86:
	s_wait_alu 0xfffe
	s_or_b32 exec_lo, exec_lo, s18
	v_and_b32_e32 v49, 0xe0, v34
	v_and_b32_e32 v50, 24, v34
	s_mov_b32 s8, exec_lo
	; wave barrier
	s_delay_alu instid0(VALU_DEP_2) | instskip(NEXT) | instid1(VALU_DEP_2)
	v_or_b32_e32 v30, 16, v49
	v_min_u32_e32 v50, v29, v50
	s_delay_alu instid0(VALU_DEP_2)
	v_min_u32_e32 v31, v29, v30
	v_add_nc_u32_e32 v30, v10, v34
	ds_store_b8 v30, v22
	s_wait_dscnt 0x8
	ds_store_b64 v11, v[4:5] offset:2048
	ds_store_b8 v30, v38 offset:1
	s_wait_dscnt 0x9
	ds_store_b64 v11, v[14:15] offset:2056
	v_add_nc_u32_e32 v48, 16, v31
	v_sub_nc_u32_e32 v52, v31, v49
	ds_store_b8 v30, v39 offset:2
	s_wait_dscnt 0xa
	ds_store_b64 v11, v[16:17] offset:2064
	ds_store_b8 v30, v28 offset:3
	s_wait_dscnt 0xb
	ds_store_b64 v11, v[24:25] offset:2072
	;; [unrolled: 3-line block ×6, first 2 shown]
	v_min_u32_e32 v48, v29, v48
	v_min_u32_e32 v52, v50, v52
	; wave barrier
	s_delay_alu instid0(VALU_DEP_2) | instskip(NEXT) | instid1(VALU_DEP_1)
	v_sub_nc_u32_e32 v51, v48, v31
	v_sub_nc_u32_e64 v51, v50, v51 clamp
	s_delay_alu instid0(VALU_DEP_1)
	v_cmpx_lt_u32_e64 v51, v52
	s_cbranch_execz .LBB305_90
; %bb.87:
	v_add_nc_u32_e32 v53, v10, v49
	v_add3_u32 v54, v10, v31, v50
	s_mov_b32 s9, 0
.LBB305_88:                             ; =>This Inner Loop Header: Depth=1
	v_add_nc_u32_e32 v55, v52, v51
	s_delay_alu instid0(VALU_DEP_1) | instskip(NEXT) | instid1(VALU_DEP_1)
	v_lshrrev_b32_e32 v55, 1, v55
	v_add_nc_u32_e32 v64, v53, v55
	v_xad_u32 v65, v55, -1, v54
	v_add_nc_u32_e32 v66, 1, v55
	ds_load_i8 v64, v64
	ds_load_i8 v65, v65
	s_wait_dscnt 0x0
	v_cmp_gt_i16_e64 s7, v65, v64
	s_wait_alu 0xf1ff
	s_delay_alu instid0(VALU_DEP_1) | instskip(SKIP_1) | instid1(VALU_DEP_1)
	v_cndmask_b32_e64 v52, v52, v55, s7
	v_cndmask_b32_e64 v51, v66, v51, s7
	v_cmp_ge_u32_e64 s7, v51, v52
	s_wait_alu 0xfffe
	s_or_b32 s9, s7, s9
	s_wait_alu 0xfffe
	s_and_not1_b32 exec_lo, exec_lo, s9
	s_cbranch_execnz .LBB305_88
; %bb.89:
	s_or_b32 exec_lo, exec_lo, s9
.LBB305_90:
	s_wait_alu 0xfffe
	s_or_b32 exec_lo, exec_lo, s8
	v_add_nc_u32_e32 v52, v31, v50
	v_add_nc_u32_e32 v50, v51, v49
	s_delay_alu instid0(VALU_DEP_2) | instskip(NEXT) | instid1(VALU_DEP_2)
	v_sub_nc_u32_e32 v49, v52, v51
	v_cmp_le_u32_e64 s7, v50, v31
	s_delay_alu instid0(VALU_DEP_2)
	v_cmp_le_u32_e64 s8, v49, v48
	s_or_b32 s7, s7, s8
	s_wait_alu 0xfffe
	s_and_saveexec_b32 s18, s7
	s_cbranch_execz .LBB305_96
; %bb.91:
	v_cmp_lt_u32_e64 s7, v50, v31
                                        ; implicit-def: $vgpr22
	s_and_saveexec_b32 s8, s7
; %bb.92:
	v_add_nc_u32_e32 v4, v10, v50
	ds_load_u8 v22, v4
; %bb.93:
	s_wait_alu 0xfffe
	s_or_b32 exec_lo, exec_lo, s8
	v_cmp_ge_u32_e64 s8, v49, v48
	s_mov_b32 s10, exec_lo
                                        ; implicit-def: $vgpr23
	v_cmpx_lt_u32_e64 v49, v48
; %bb.94:
	v_add_nc_u32_e32 v4, v10, v49
	ds_load_u8 v23, v4
; %bb.95:
	s_wait_alu 0xfffe
	s_or_b32 exec_lo, exec_lo, s10
	s_wait_dscnt 0x0
	v_bfe_i32 v4, v22, 0, 8
	v_bfe_i32 v5, v23, 0, 8
	s_delay_alu instid0(VALU_DEP_1)
	v_cmp_le_i16_e64 s9, v5, v4
	s_and_b32 s7, s7, s9
	s_wait_alu 0xfffe
	s_or_b32 s7, s8, s7
	s_wait_alu 0xfffe
	v_cndmask_b32_e64 v4, v49, v50, s7
	v_cndmask_b32_e64 v5, v48, v31, s7
	s_delay_alu instid0(VALU_DEP_2) | instskip(NEXT) | instid1(VALU_DEP_2)
	v_add_nc_u32_e32 v12, 1, v4
	v_add_nc_u32_e32 v5, -1, v5
	v_lshl_add_u32 v4, v4, 3, v9
	s_delay_alu instid0(VALU_DEP_2) | instskip(NEXT) | instid1(VALU_DEP_1)
	v_min_u32_e32 v5, v12, v5
	v_add_nc_u32_e32 v5, v10, v5
	ds_load_u8 v5, v5
	s_wait_dscnt 0x0
	v_cndmask_b32_e64 v28, v5, v23, s7
	v_cndmask_b32_e64 v35, v22, v5, s7
	v_cndmask_b32_e64 v5, v50, v12, s7
	v_cndmask_b32_e64 v12, v12, v49, s7
	v_cndmask_b32_e64 v22, v23, v22, s7
	v_bfe_i32 v13, v28, 0, 8
	v_bfe_i32 v14, v35, 0, 8
	v_cmp_lt_u32_e64 s8, v5, v31
	v_cmp_ge_u32_e64 s10, v12, v48
	s_delay_alu instid0(VALU_DEP_3)
	v_cmp_le_i16_e64 s9, v13, v14
	s_and_b32 s8, s8, s9
	s_wait_alu 0xfffe
	s_or_b32 s8, s10, s8
	s_wait_alu 0xfffe
	v_cndmask_b32_e64 v13, v12, v5, s8
	v_cndmask_b32_e64 v14, v48, v31, s8
	;; [unrolled: 1-line block ×3, first 2 shown]
	s_delay_alu instid0(VALU_DEP_3) | instskip(NEXT) | instid1(VALU_DEP_3)
	v_add_nc_u32_e32 v15, 1, v13
	v_add_nc_u32_e32 v14, -1, v14
	v_lshl_add_u32 v13, v13, 3, v9
	s_delay_alu instid0(VALU_DEP_3) | instskip(NEXT) | instid1(VALU_DEP_3)
	v_cndmask_b32_e64 v5, v5, v15, s8
	v_min_u32_e32 v14, v15, v14
	v_cndmask_b32_e64 v12, v15, v12, s8
	s_delay_alu instid0(VALU_DEP_3) | instskip(NEXT) | instid1(VALU_DEP_3)
	v_cmp_lt_u32_e64 s9, v5, v31
	v_add_nc_u32_e32 v14, v10, v14
	s_delay_alu instid0(VALU_DEP_3) | instskip(SKIP_4) | instid1(VALU_DEP_2)
	v_cmp_ge_u32_e64 s11, v12, v48
	ds_load_u8 v14, v14
	s_wait_dscnt 0x0
	v_cndmask_b32_e64 v36, v14, v28, s8
	v_cndmask_b32_e64 v37, v35, v14, s8
	v_bfe_i32 v14, v36, 0, 8
	s_delay_alu instid0(VALU_DEP_2) | instskip(NEXT) | instid1(VALU_DEP_1)
	v_bfe_i32 v16, v37, 0, 8
	v_cmp_le_i16_e64 s10, v14, v16
	s_and_b32 s9, s9, s10
	s_wait_alu 0xfffe
	s_or_b32 s9, s11, s9
	s_wait_alu 0xfffe
	v_cndmask_b32_e64 v14, v12, v5, s9
	v_cndmask_b32_e64 v15, v48, v31, s9
	v_cndmask_b32_e64 v39, v36, v37, s9
	s_delay_alu instid0(VALU_DEP_3) | instskip(NEXT) | instid1(VALU_DEP_3)
	v_add_nc_u32_e32 v16, 1, v14
	v_add_nc_u32_e32 v15, -1, v15
	s_delay_alu instid0(VALU_DEP_2) | instskip(NEXT) | instid1(VALU_DEP_2)
	v_cndmask_b32_e64 v5, v5, v16, s9
	v_min_u32_e32 v15, v16, v15
	v_cndmask_b32_e64 v12, v16, v12, s9
	s_delay_alu instid0(VALU_DEP_3) | instskip(NEXT) | instid1(VALU_DEP_3)
	v_cmp_lt_u32_e64 s10, v5, v31
	v_add_nc_u32_e32 v15, v10, v15
	s_delay_alu instid0(VALU_DEP_3) | instskip(SKIP_4) | instid1(VALU_DEP_2)
	v_cmp_ge_u32_e64 s12, v12, v48
	ds_load_u8 v15, v15
	s_wait_dscnt 0x0
	v_cndmask_b32_e64 v49, v15, v36, s9
	v_cndmask_b32_e64 v50, v37, v15, s9
	v_bfe_i32 v15, v49, 0, 8
	s_delay_alu instid0(VALU_DEP_2) | instskip(NEXT) | instid1(VALU_DEP_1)
	v_bfe_i32 v17, v50, 0, 8
	v_cmp_le_i16_e64 s11, v15, v17
	s_and_b32 s10, s10, s11
	s_wait_alu 0xfffe
	s_or_b32 s10, s12, s10
	s_wait_alu 0xfffe
	v_cndmask_b32_e64 v18, v12, v5, s10
	v_cndmask_b32_e64 v15, v48, v31, s10
	v_cndmask_b32_e64 v28, v49, v50, s10
	s_delay_alu instid0(VALU_DEP_3) | instskip(NEXT) | instid1(VALU_DEP_3)
	v_add_nc_u32_e32 v16, 1, v18
	v_add_nc_u32_e32 v15, -1, v15
	s_delay_alu instid0(VALU_DEP_2) | instskip(NEXT) | instid1(VALU_DEP_2)
	;; [unrolled: 27-line block ×5, first 2 shown]
	v_cndmask_b32_e64 v24, v5, v16, s13
	v_min_u32_e32 v15, v16, v15
	v_cndmask_b32_e64 v12, v16, v12, s13
	v_lshl_add_u32 v16, v14, 3, v9
	s_delay_alu instid0(VALU_DEP_4) | instskip(NEXT) | instid1(VALU_DEP_4)
	v_cmp_lt_u32_e64 s14, v24, v31
	v_add_nc_u32_e32 v15, v10, v15
	s_delay_alu instid0(VALU_DEP_4)
	v_cmp_ge_u32_e64 s16, v12, v48
	v_lshl_add_u32 v31, v21, 3, v9
	ds_load_u8 v15, v15
	s_wait_dscnt 0x0
	v_cndmask_b32_e64 v65, v15, v55, s13
	v_cndmask_b32_e64 v66, v64, v15, s13
	s_delay_alu instid0(VALU_DEP_2) | instskip(NEXT) | instid1(VALU_DEP_2)
	v_bfe_i32 v5, v65, 0, 8
	v_bfe_i32 v15, v66, 0, 8
	s_delay_alu instid0(VALU_DEP_1)
	v_cmp_le_i16_e64 s15, v5, v15
	ds_load_b64 v[4:5], v4 offset:2048
	ds_load_b64 v[14:15], v13 offset:2048
	v_lshl_add_u32 v13, v18, 3, v9
	v_lshl_add_u32 v18, v19, 3, v9
	;; [unrolled: 1-line block ×3, first 2 shown]
	s_and_b32 s14, s14, s15
	ds_load_b64 v[16:17], v16 offset:2048
	s_wait_alu 0xfffe
	s_or_b32 s14, s16, s14
	s_wait_alu 0xfffe
	v_cndmask_b32_e64 v12, v12, v24, s14
	v_cndmask_b32_e64 v35, v65, v66, s14
	s_delay_alu instid0(VALU_DEP_2)
	v_lshl_add_u32 v12, v12, 3, v9
	ds_load_b64 v[24:25], v13 offset:2048
	ds_load_b64 v[26:27], v18 offset:2048
	;; [unrolled: 1-line block ×5, first 2 shown]
.LBB305_96:
	s_wait_alu 0xfffe
	s_or_b32 exec_lo, exec_lo, s18
	v_and_b32_e32 v49, 0xc0, v34
	v_and_b32_e32 v50, 56, v34
	s_mov_b32 s8, exec_lo
	; wave barrier
	s_delay_alu instid0(VALU_DEP_2) | instskip(NEXT) | instid1(VALU_DEP_2)
	v_or_b32_e32 v31, 32, v49
	v_min_u32_e32 v50, v29, v50
	ds_store_b8 v30, v22
	s_wait_dscnt 0x8
	ds_store_b64 v11, v[4:5] offset:2048
	ds_store_b8 v30, v38 offset:1
	s_wait_dscnt 0x9
	ds_store_b64 v11, v[14:15] offset:2056
	ds_store_b8 v30, v39 offset:2
	;; [unrolled: 3-line block ×3, first 2 shown]
	v_min_u32_e32 v31, v29, v31
	s_wait_dscnt 0xb
	ds_store_b64 v11, v[24:25] offset:2072
	ds_store_b8 v30, v23 offset:4
	s_wait_dscnt 0xc
	ds_store_b64 v11, v[26:27] offset:2080
	ds_store_b8 v30, v37 offset:5
	;; [unrolled: 3-line block ×4, first 2 shown]
	s_wait_dscnt 0xf
	ds_store_b64 v11, v[12:13] offset:2104
	; wave barrier
	v_add_nc_u32_e32 v48, 32, v31
	v_sub_nc_u32_e32 v52, v31, v49
	s_delay_alu instid0(VALU_DEP_2) | instskip(NEXT) | instid1(VALU_DEP_2)
	v_min_u32_e32 v48, v29, v48
	v_min_u32_e32 v52, v50, v52
	s_delay_alu instid0(VALU_DEP_2) | instskip(NEXT) | instid1(VALU_DEP_1)
	v_sub_nc_u32_e32 v51, v48, v31
	v_sub_nc_u32_e64 v51, v50, v51 clamp
	s_delay_alu instid0(VALU_DEP_1)
	v_cmpx_lt_u32_e64 v51, v52
	s_cbranch_execz .LBB305_100
; %bb.97:
	v_add_nc_u32_e32 v53, v10, v49
	v_add3_u32 v54, v10, v31, v50
	s_mov_b32 s9, 0
.LBB305_98:                             ; =>This Inner Loop Header: Depth=1
	v_add_nc_u32_e32 v55, v52, v51
	s_delay_alu instid0(VALU_DEP_1) | instskip(NEXT) | instid1(VALU_DEP_1)
	v_lshrrev_b32_e32 v55, 1, v55
	v_add_nc_u32_e32 v64, v53, v55
	v_xad_u32 v65, v55, -1, v54
	v_add_nc_u32_e32 v66, 1, v55
	ds_load_i8 v64, v64
	ds_load_i8 v65, v65
	s_wait_dscnt 0x0
	v_cmp_gt_i16_e64 s7, v65, v64
	s_wait_alu 0xf1ff
	s_delay_alu instid0(VALU_DEP_1) | instskip(SKIP_1) | instid1(VALU_DEP_1)
	v_cndmask_b32_e64 v52, v52, v55, s7
	v_cndmask_b32_e64 v51, v66, v51, s7
	v_cmp_ge_u32_e64 s7, v51, v52
	s_wait_alu 0xfffe
	s_or_b32 s9, s7, s9
	s_wait_alu 0xfffe
	s_and_not1_b32 exec_lo, exec_lo, s9
	s_cbranch_execnz .LBB305_98
; %bb.99:
	s_or_b32 exec_lo, exec_lo, s9
.LBB305_100:
	s_wait_alu 0xfffe
	s_or_b32 exec_lo, exec_lo, s8
	v_add_nc_u32_e32 v52, v31, v50
	v_add_nc_u32_e32 v50, v51, v49
	s_delay_alu instid0(VALU_DEP_2) | instskip(NEXT) | instid1(VALU_DEP_2)
	v_sub_nc_u32_e32 v49, v52, v51
	v_cmp_le_u32_e64 s7, v50, v31
	s_delay_alu instid0(VALU_DEP_2)
	v_cmp_le_u32_e64 s8, v49, v48
	s_or_b32 s7, s7, s8
	s_wait_alu 0xfffe
	s_and_saveexec_b32 s18, s7
	s_cbranch_execz .LBB305_106
; %bb.101:
	v_cmp_lt_u32_e64 s7, v50, v31
                                        ; implicit-def: $vgpr22
	s_and_saveexec_b32 s8, s7
; %bb.102:
	v_add_nc_u32_e32 v4, v10, v50
	ds_load_u8 v22, v4
; %bb.103:
	s_wait_alu 0xfffe
	s_or_b32 exec_lo, exec_lo, s8
	v_cmp_ge_u32_e64 s8, v49, v48
	s_mov_b32 s10, exec_lo
                                        ; implicit-def: $vgpr23
	v_cmpx_lt_u32_e64 v49, v48
; %bb.104:
	v_add_nc_u32_e32 v4, v10, v49
	ds_load_u8 v23, v4
; %bb.105:
	s_wait_alu 0xfffe
	s_or_b32 exec_lo, exec_lo, s10
	s_wait_dscnt 0x0
	v_bfe_i32 v4, v22, 0, 8
	v_bfe_i32 v5, v23, 0, 8
	s_delay_alu instid0(VALU_DEP_1)
	v_cmp_le_i16_e64 s9, v5, v4
	s_and_b32 s7, s7, s9
	s_wait_alu 0xfffe
	s_or_b32 s7, s8, s7
	s_wait_alu 0xfffe
	v_cndmask_b32_e64 v4, v49, v50, s7
	v_cndmask_b32_e64 v5, v48, v31, s7
	s_delay_alu instid0(VALU_DEP_2) | instskip(NEXT) | instid1(VALU_DEP_2)
	v_add_nc_u32_e32 v12, 1, v4
	v_add_nc_u32_e32 v5, -1, v5
	v_lshl_add_u32 v4, v4, 3, v9
	s_delay_alu instid0(VALU_DEP_2) | instskip(NEXT) | instid1(VALU_DEP_1)
	v_min_u32_e32 v5, v12, v5
	v_add_nc_u32_e32 v5, v10, v5
	ds_load_u8 v5, v5
	s_wait_dscnt 0x0
	v_cndmask_b32_e64 v28, v5, v23, s7
	v_cndmask_b32_e64 v35, v22, v5, s7
	;; [unrolled: 1-line block ×5, first 2 shown]
	v_bfe_i32 v13, v28, 0, 8
	v_bfe_i32 v14, v35, 0, 8
	v_cmp_lt_u32_e64 s8, v5, v31
	v_cmp_ge_u32_e64 s10, v12, v48
	s_delay_alu instid0(VALU_DEP_3)
	v_cmp_le_i16_e64 s9, v13, v14
	s_and_b32 s8, s8, s9
	s_wait_alu 0xfffe
	s_or_b32 s8, s10, s8
	s_wait_alu 0xfffe
	v_cndmask_b32_e64 v13, v12, v5, s8
	v_cndmask_b32_e64 v14, v48, v31, s8
	;; [unrolled: 1-line block ×3, first 2 shown]
	s_delay_alu instid0(VALU_DEP_3) | instskip(NEXT) | instid1(VALU_DEP_3)
	v_add_nc_u32_e32 v15, 1, v13
	v_add_nc_u32_e32 v14, -1, v14
	v_lshl_add_u32 v13, v13, 3, v9
	s_delay_alu instid0(VALU_DEP_3) | instskip(NEXT) | instid1(VALU_DEP_3)
	v_cndmask_b32_e64 v5, v5, v15, s8
	v_min_u32_e32 v14, v15, v14
	v_cndmask_b32_e64 v12, v15, v12, s8
	s_delay_alu instid0(VALU_DEP_3) | instskip(NEXT) | instid1(VALU_DEP_3)
	v_cmp_lt_u32_e64 s9, v5, v31
	v_add_nc_u32_e32 v14, v10, v14
	s_delay_alu instid0(VALU_DEP_3) | instskip(SKIP_4) | instid1(VALU_DEP_2)
	v_cmp_ge_u32_e64 s11, v12, v48
	ds_load_u8 v14, v14
	s_wait_dscnt 0x0
	v_cndmask_b32_e64 v36, v14, v28, s8
	v_cndmask_b32_e64 v37, v35, v14, s8
	v_bfe_i32 v14, v36, 0, 8
	s_delay_alu instid0(VALU_DEP_2) | instskip(NEXT) | instid1(VALU_DEP_1)
	v_bfe_i32 v16, v37, 0, 8
	v_cmp_le_i16_e64 s10, v14, v16
	s_and_b32 s9, s9, s10
	s_wait_alu 0xfffe
	s_or_b32 s9, s11, s9
	s_wait_alu 0xfffe
	v_cndmask_b32_e64 v14, v12, v5, s9
	v_cndmask_b32_e64 v15, v48, v31, s9
	v_cndmask_b32_e64 v39, v36, v37, s9
	s_delay_alu instid0(VALU_DEP_3) | instskip(NEXT) | instid1(VALU_DEP_3)
	v_add_nc_u32_e32 v16, 1, v14
	v_add_nc_u32_e32 v15, -1, v15
	s_delay_alu instid0(VALU_DEP_2) | instskip(NEXT) | instid1(VALU_DEP_2)
	v_cndmask_b32_e64 v5, v5, v16, s9
	v_min_u32_e32 v15, v16, v15
	v_cndmask_b32_e64 v12, v16, v12, s9
	s_delay_alu instid0(VALU_DEP_3) | instskip(NEXT) | instid1(VALU_DEP_3)
	v_cmp_lt_u32_e64 s10, v5, v31
	v_add_nc_u32_e32 v15, v10, v15
	s_delay_alu instid0(VALU_DEP_3) | instskip(SKIP_4) | instid1(VALU_DEP_2)
	v_cmp_ge_u32_e64 s12, v12, v48
	ds_load_u8 v15, v15
	s_wait_dscnt 0x0
	v_cndmask_b32_e64 v49, v15, v36, s9
	v_cndmask_b32_e64 v50, v37, v15, s9
	v_bfe_i32 v15, v49, 0, 8
	s_delay_alu instid0(VALU_DEP_2) | instskip(NEXT) | instid1(VALU_DEP_1)
	v_bfe_i32 v17, v50, 0, 8
	v_cmp_le_i16_e64 s11, v15, v17
	s_and_b32 s10, s10, s11
	s_wait_alu 0xfffe
	s_or_b32 s10, s12, s10
	s_wait_alu 0xfffe
	v_cndmask_b32_e64 v18, v12, v5, s10
	v_cndmask_b32_e64 v15, v48, v31, s10
	v_cndmask_b32_e64 v28, v49, v50, s10
	s_delay_alu instid0(VALU_DEP_3) | instskip(NEXT) | instid1(VALU_DEP_3)
	v_add_nc_u32_e32 v16, 1, v18
	v_add_nc_u32_e32 v15, -1, v15
	s_delay_alu instid0(VALU_DEP_2) | instskip(NEXT) | instid1(VALU_DEP_2)
	;; [unrolled: 27-line block ×5, first 2 shown]
	v_cndmask_b32_e64 v24, v5, v16, s13
	v_min_u32_e32 v15, v16, v15
	v_cndmask_b32_e64 v12, v16, v12, s13
	v_lshl_add_u32 v16, v14, 3, v9
	s_delay_alu instid0(VALU_DEP_4) | instskip(NEXT) | instid1(VALU_DEP_4)
	v_cmp_lt_u32_e64 s14, v24, v31
	v_add_nc_u32_e32 v15, v10, v15
	s_delay_alu instid0(VALU_DEP_4)
	v_cmp_ge_u32_e64 s16, v12, v48
	v_lshl_add_u32 v31, v21, 3, v9
	ds_load_u8 v15, v15
	s_wait_dscnt 0x0
	v_cndmask_b32_e64 v65, v15, v55, s13
	v_cndmask_b32_e64 v66, v64, v15, s13
	s_delay_alu instid0(VALU_DEP_2) | instskip(NEXT) | instid1(VALU_DEP_2)
	v_bfe_i32 v5, v65, 0, 8
	v_bfe_i32 v15, v66, 0, 8
	s_delay_alu instid0(VALU_DEP_1)
	v_cmp_le_i16_e64 s15, v5, v15
	ds_load_b64 v[4:5], v4 offset:2048
	ds_load_b64 v[14:15], v13 offset:2048
	v_lshl_add_u32 v13, v18, 3, v9
	v_lshl_add_u32 v18, v19, 3, v9
	;; [unrolled: 1-line block ×3, first 2 shown]
	s_and_b32 s14, s14, s15
	ds_load_b64 v[16:17], v16 offset:2048
	s_wait_alu 0xfffe
	s_or_b32 s14, s16, s14
	s_wait_alu 0xfffe
	v_cndmask_b32_e64 v12, v12, v24, s14
	v_cndmask_b32_e64 v35, v65, v66, s14
	s_delay_alu instid0(VALU_DEP_2)
	v_lshl_add_u32 v12, v12, 3, v9
	ds_load_b64 v[24:25], v13 offset:2048
	ds_load_b64 v[26:27], v18 offset:2048
	;; [unrolled: 1-line block ×5, first 2 shown]
.LBB305_106:
	s_wait_alu 0xfffe
	s_or_b32 exec_lo, exec_lo, s18
	v_and_b32_e32 v48, 0x80, v34
	s_mov_b32 s8, exec_lo
	; wave barrier
	ds_store_b8 v30, v22
	s_wait_dscnt 0x8
	ds_store_b64 v11, v[4:5] offset:2048
	ds_store_b8 v30, v38 offset:1
	s_wait_dscnt 0x9
	ds_store_b64 v11, v[14:15] offset:2056
	v_or_b32_e32 v31, 64, v48
	ds_store_b8 v30, v39 offset:2
	s_wait_dscnt 0xa
	ds_store_b64 v11, v[16:17] offset:2064
	ds_store_b8 v30, v28 offset:3
	s_wait_dscnt 0xb
	ds_store_b64 v11, v[24:25] offset:2072
	ds_store_b8 v30, v23 offset:4
	s_wait_dscnt 0xc
	ds_store_b64 v11, v[26:27] offset:2080
	ds_store_b8 v30, v37 offset:5
	s_wait_dscnt 0xd
	ds_store_b64 v11, v[20:21] offset:2088
	ds_store_b8 v30, v36 offset:6
	s_wait_dscnt 0xe
	ds_store_b64 v11, v[18:19] offset:2096
	ds_store_b8 v30, v35 offset:7
	s_wait_dscnt 0xf
	ds_store_b64 v11, v[12:13] offset:2104
	v_min_u32_e32 v31, v29, v31
	; wave barrier
	s_delay_alu instid0(VALU_DEP_1) | instskip(SKIP_1) | instid1(VALU_DEP_2)
	v_add_nc_u32_e32 v34, 64, v31
	v_sub_nc_u32_e32 v50, v31, v48
	v_min_u32_e32 v34, v29, v34
	v_min_u32_e32 v29, v29, v32
	s_delay_alu instid0(VALU_DEP_2) | instskip(NEXT) | instid1(VALU_DEP_2)
	v_sub_nc_u32_e32 v49, v34, v31
	v_min_u32_e32 v50, v29, v50
	s_delay_alu instid0(VALU_DEP_2) | instskip(NEXT) | instid1(VALU_DEP_1)
	v_sub_nc_u32_e64 v49, v29, v49 clamp
	v_cmpx_lt_u32_e64 v49, v50
	s_cbranch_execz .LBB305_110
; %bb.107:
	v_add_nc_u32_e32 v11, v10, v48
	v_add3_u32 v30, v10, v31, v29
	s_mov_b32 s9, 0
.LBB305_108:                            ; =>This Inner Loop Header: Depth=1
	v_add_nc_u32_e32 v51, v50, v49
	s_delay_alu instid0(VALU_DEP_1) | instskip(NEXT) | instid1(VALU_DEP_1)
	v_lshrrev_b32_e32 v51, 1, v51
	v_add_nc_u32_e32 v52, v11, v51
	v_xad_u32 v53, v51, -1, v30
	v_add_nc_u32_e32 v54, 1, v51
	ds_load_i8 v52, v52
	ds_load_i8 v53, v53
	s_wait_dscnt 0x0
	v_cmp_gt_i16_e64 s7, v53, v52
	s_wait_alu 0xf1ff
	s_delay_alu instid0(VALU_DEP_1) | instskip(SKIP_1) | instid1(VALU_DEP_1)
	v_cndmask_b32_e64 v50, v50, v51, s7
	v_cndmask_b32_e64 v49, v54, v49, s7
	v_cmp_ge_u32_e64 s7, v49, v50
	s_wait_alu 0xfffe
	s_or_b32 s9, s7, s9
	s_wait_alu 0xfffe
	s_and_not1_b32 exec_lo, exec_lo, s9
	s_cbranch_execnz .LBB305_108
; %bb.109:
	s_or_b32 exec_lo, exec_lo, s9
.LBB305_110:
	s_wait_alu 0xfffe
	s_or_b32 exec_lo, exec_lo, s8
	v_add_nc_u32_e32 v11, v31, v29
	v_add_nc_u32_e32 v30, v49, v48
	s_delay_alu instid0(VALU_DEP_2) | instskip(NEXT) | instid1(VALU_DEP_2)
	v_sub_nc_u32_e32 v29, v11, v49
	v_cmp_le_u32_e64 s7, v30, v31
	s_delay_alu instid0(VALU_DEP_2)
	v_cmp_le_u32_e64 s8, v29, v34
	s_or_b32 s7, s7, s8
	s_wait_alu 0xfffe
	s_and_saveexec_b32 s18, s7
	s_cbranch_execz .LBB305_116
; %bb.111:
	v_cmp_lt_u32_e64 s7, v30, v31
                                        ; implicit-def: $vgpr11
	s_and_saveexec_b32 s8, s7
; %bb.112:
	v_add_nc_u32_e32 v4, v10, v30
	ds_load_u8 v11, v4
; %bb.113:
	s_wait_alu 0xfffe
	s_or_b32 exec_lo, exec_lo, s8
	v_cmp_ge_u32_e64 s8, v29, v34
	s_mov_b32 s10, exec_lo
                                        ; implicit-def: $vgpr22
	v_cmpx_lt_u32_e64 v29, v34
; %bb.114:
	v_add_nc_u32_e32 v4, v10, v29
	ds_load_u8 v22, v4
; %bb.115:
	s_wait_alu 0xfffe
	s_or_b32 exec_lo, exec_lo, s10
	s_wait_dscnt 0x0
	v_bfe_i32 v4, v11, 0, 8
	v_bfe_i32 v5, v22, 0, 8
	s_delay_alu instid0(VALU_DEP_1)
	v_cmp_le_i16_e64 s9, v5, v4
	s_and_b32 s7, s7, s9
	s_wait_alu 0xfffe
	s_or_b32 s7, s8, s7
	s_wait_alu 0xfffe
	v_cndmask_b32_e64 v4, v29, v30, s7
	v_cndmask_b32_e64 v5, v34, v31, s7
	s_delay_alu instid0(VALU_DEP_2) | instskip(NEXT) | instid1(VALU_DEP_2)
	v_add_nc_u32_e32 v12, 1, v4
	v_add_nc_u32_e32 v5, -1, v5
	v_lshl_add_u32 v4, v4, 3, v9
	s_delay_alu instid0(VALU_DEP_2) | instskip(NEXT) | instid1(VALU_DEP_1)
	v_min_u32_e32 v5, v12, v5
	v_add_nc_u32_e32 v5, v10, v5
	ds_load_u8 v5, v5
	s_wait_dscnt 0x0
	v_cndmask_b32_e64 v23, v5, v22, s7
	v_cndmask_b32_e64 v28, v11, v5, s7
	;; [unrolled: 1-line block ×5, first 2 shown]
	v_bfe_i32 v13, v23, 0, 8
	v_bfe_i32 v14, v28, 0, 8
	v_cmp_lt_u32_e64 s8, v5, v31
	v_cmp_ge_u32_e64 s10, v12, v34
	s_delay_alu instid0(VALU_DEP_3)
	v_cmp_le_i16_e64 s9, v13, v14
	s_and_b32 s8, s8, s9
	s_wait_alu 0xfffe
	s_or_b32 s8, s10, s8
	s_wait_alu 0xfffe
	v_cndmask_b32_e64 v13, v12, v5, s8
	v_cndmask_b32_e64 v14, v34, v31, s8
	;; [unrolled: 1-line block ×3, first 2 shown]
	s_delay_alu instid0(VALU_DEP_3) | instskip(NEXT) | instid1(VALU_DEP_3)
	v_add_nc_u32_e32 v15, 1, v13
	v_add_nc_u32_e32 v14, -1, v14
	v_lshl_add_u32 v13, v13, 3, v9
	s_delay_alu instid0(VALU_DEP_3) | instskip(NEXT) | instid1(VALU_DEP_3)
	v_cndmask_b32_e64 v5, v5, v15, s8
	v_min_u32_e32 v14, v15, v14
	v_cndmask_b32_e64 v12, v15, v12, s8
	s_delay_alu instid0(VALU_DEP_3) | instskip(NEXT) | instid1(VALU_DEP_3)
	v_cmp_lt_u32_e64 s9, v5, v31
	v_add_nc_u32_e32 v14, v10, v14
	s_delay_alu instid0(VALU_DEP_3) | instskip(SKIP_4) | instid1(VALU_DEP_2)
	v_cmp_ge_u32_e64 s11, v12, v34
	ds_load_u8 v14, v14
	s_wait_dscnt 0x0
	v_cndmask_b32_e64 v29, v14, v23, s8
	v_cndmask_b32_e64 v30, v28, v14, s8
	v_bfe_i32 v14, v29, 0, 8
	s_delay_alu instid0(VALU_DEP_2) | instskip(NEXT) | instid1(VALU_DEP_1)
	v_bfe_i32 v16, v30, 0, 8
	v_cmp_le_i16_e64 s10, v14, v16
	s_and_b32 s9, s9, s10
	s_wait_alu 0xfffe
	s_or_b32 s9, s11, s9
	s_wait_alu 0xfffe
	v_cndmask_b32_e64 v14, v12, v5, s9
	v_cndmask_b32_e64 v15, v34, v31, s9
	v_cndmask_b32_e64 v39, v29, v30, s9
	s_delay_alu instid0(VALU_DEP_3) | instskip(NEXT) | instid1(VALU_DEP_3)
	v_add_nc_u32_e32 v16, 1, v14
	v_add_nc_u32_e32 v15, -1, v15
	s_delay_alu instid0(VALU_DEP_2) | instskip(NEXT) | instid1(VALU_DEP_2)
	v_cndmask_b32_e64 v5, v5, v16, s9
	v_min_u32_e32 v15, v16, v15
	v_cndmask_b32_e64 v12, v16, v12, s9
	s_delay_alu instid0(VALU_DEP_3) | instskip(NEXT) | instid1(VALU_DEP_3)
	v_cmp_lt_u32_e64 s10, v5, v31
	v_add_nc_u32_e32 v15, v10, v15
	s_delay_alu instid0(VALU_DEP_3) | instskip(SKIP_4) | instid1(VALU_DEP_2)
	v_cmp_ge_u32_e64 s12, v12, v34
	ds_load_u8 v15, v15
	s_wait_dscnt 0x0
	v_cndmask_b32_e64 v35, v15, v29, s9
	v_cndmask_b32_e64 v36, v30, v15, s9
	v_bfe_i32 v15, v35, 0, 8
	s_delay_alu instid0(VALU_DEP_2) | instskip(NEXT) | instid1(VALU_DEP_1)
	v_bfe_i32 v17, v36, 0, 8
	v_cmp_le_i16_e64 s11, v15, v17
	s_and_b32 s10, s10, s11
	s_wait_alu 0xfffe
	s_or_b32 s10, s12, s10
	s_wait_alu 0xfffe
	v_cndmask_b32_e64 v18, v12, v5, s10
	v_cndmask_b32_e64 v15, v34, v31, s10
	v_cndmask_b32_e64 v28, v35, v36, s10
	s_delay_alu instid0(VALU_DEP_3) | instskip(NEXT) | instid1(VALU_DEP_3)
	v_add_nc_u32_e32 v16, 1, v18
	v_add_nc_u32_e32 v15, -1, v15
	s_delay_alu instid0(VALU_DEP_2) | instskip(NEXT) | instid1(VALU_DEP_2)
	;; [unrolled: 27-line block ×5, first 2 shown]
	v_cndmask_b32_e64 v24, v5, v16, s13
	v_min_u32_e32 v15, v16, v15
	v_cndmask_b32_e64 v12, v16, v12, s13
	v_lshl_add_u32 v16, v14, 3, v9
	s_delay_alu instid0(VALU_DEP_4) | instskip(NEXT) | instid1(VALU_DEP_4)
	v_cmp_lt_u32_e64 s14, v24, v31
	v_add_nc_u32_e32 v10, v10, v15
	s_delay_alu instid0(VALU_DEP_4)
	v_cmp_ge_u32_e64 s16, v12, v34
	v_lshl_add_u32 v31, v21, 3, v9
	ds_load_u8 v10, v10
	s_wait_dscnt 0x0
	v_cndmask_b32_e64 v53, v10, v51, s13
	v_cndmask_b32_e64 v10, v52, v10, s13
	s_delay_alu instid0(VALU_DEP_2) | instskip(NEXT) | instid1(VALU_DEP_2)
	v_bfe_i32 v5, v53, 0, 8
	v_bfe_i32 v15, v10, 0, 8
	s_delay_alu instid0(VALU_DEP_1)
	v_cmp_le_i16_e64 s15, v5, v15
	ds_load_b64 v[4:5], v4 offset:2048
	ds_load_b64 v[14:15], v13 offset:2048
	v_lshl_add_u32 v13, v18, 3, v9
	v_lshl_add_u32 v18, v19, 3, v9
	;; [unrolled: 1-line block ×3, first 2 shown]
	s_and_b32 s14, s14, s15
	ds_load_b64 v[16:17], v16 offset:2048
	s_wait_alu 0xfffe
	s_or_b32 s14, s16, s14
	s_wait_alu 0xfffe
	v_cndmask_b32_e64 v12, v12, v24, s14
	v_cndmask_b32_e64 v35, v53, v10, s14
	s_delay_alu instid0(VALU_DEP_2)
	v_lshl_add_u32 v9, v12, 3, v9
	ds_load_b64 v[24:25], v13 offset:2048
	ds_load_b64 v[26:27], v18 offset:2048
	;; [unrolled: 1-line block ×5, first 2 shown]
.LBB305_116:
	s_wait_alu 0xfffe
	s_or_b32 exec_lo, exec_lo, s18
	; wave barrier
	s_wait_storecnt_dscnt 0x0
	s_barrier_signal -1
	s_barrier_wait -1
.LBB305_117:
	s_wait_alu 0xfffe
	s_or_b32 exec_lo, exec_lo, s17
	v_add_co_u32 v2, s7, v2, v8
	s_wait_alu 0xf1ff
	v_add_co_ci_u32_e64 v3, null, 0, v3, s7
	s_wait_storecnt 0x0
	s_wait_loadcnt_dscnt 0x0
	global_inv scope:SCOPE_SE
	v_add_co_u32 v2, s7, v2, v32
	s_wait_alu 0xf1ff
	v_add_co_ci_u32_e64 v3, null, 0, v3, s7
	; wave barrier
	s_and_saveexec_b32 s7, vcc_lo
	s_cbranch_execnz .LBB305_142
; %bb.118:
	s_wait_alu 0xfffe
	s_or_b32 exec_lo, exec_lo, s7
	s_and_saveexec_b32 s7, s0
	s_cbranch_execnz .LBB305_143
.LBB305_119:
	s_wait_alu 0xfffe
	s_or_b32 exec_lo, exec_lo, s7
	s_and_saveexec_b32 s7, s1
	s_cbranch_execnz .LBB305_144
.LBB305_120:
	s_wait_alu 0xfffe
	s_or_b32 exec_lo, exec_lo, s7
	s_and_saveexec_b32 s7, s2
	s_cbranch_execnz .LBB305_145
.LBB305_121:
	s_wait_alu 0xfffe
	s_or_b32 exec_lo, exec_lo, s7
	s_and_saveexec_b32 s7, s3
	s_cbranch_execnz .LBB305_146
.LBB305_122:
	s_wait_alu 0xfffe
	s_or_b32 exec_lo, exec_lo, s7
	s_and_saveexec_b32 s7, s4
	s_cbranch_execnz .LBB305_147
.LBB305_123:
	s_wait_alu 0xfffe
	s_or_b32 exec_lo, exec_lo, s7
	s_and_saveexec_b32 s7, s5
	s_cbranch_execnz .LBB305_148
.LBB305_124:
	s_wait_alu 0xfffe
	s_or_b32 exec_lo, exec_lo, s7
	s_and_saveexec_b32 s7, s6
	s_cbranch_execz .LBB305_126
.LBB305_125:
	flat_store_b8 v[2:3], v35 offset:7
.LBB305_126:
	s_wait_alu 0xfffe
	s_or_b32 exec_lo, exec_lo, s7
	v_add_co_u32 v0, s7, v6, v0
	s_wait_alu 0xf1ff
	v_add_co_ci_u32_e64 v1, null, v7, v1, s7
	s_delay_alu instid0(VALU_DEP_2) | instskip(SKIP_1) | instid1(VALU_DEP_2)
	v_add_co_u32 v0, s7, v0, v33
	s_wait_alu 0xf1ff
	v_add_co_ci_u32_e64 v1, null, 0, v1, s7
	; wave barrier
	s_and_saveexec_b32 s7, vcc_lo
	s_cbranch_execnz .LBB305_149
; %bb.127:
	s_wait_alu 0xfffe
	s_or_b32 exec_lo, exec_lo, s7
	s_and_saveexec_b32 s7, s0
	s_cbranch_execnz .LBB305_150
.LBB305_128:
	s_wait_alu 0xfffe
	s_or_b32 exec_lo, exec_lo, s7
	s_and_saveexec_b32 s0, s1
	s_cbranch_execnz .LBB305_151
.LBB305_129:
	s_wait_alu 0xfffe
	s_or_b32 exec_lo, exec_lo, s0
	s_and_saveexec_b32 s0, s2
	s_cbranch_execnz .LBB305_152
.LBB305_130:
	s_wait_alu 0xfffe
	s_or_b32 exec_lo, exec_lo, s0
	s_and_saveexec_b32 s0, s3
	s_cbranch_execnz .LBB305_153
.LBB305_131:
	s_wait_alu 0xfffe
	s_or_b32 exec_lo, exec_lo, s0
	s_and_saveexec_b32 s0, s4
	s_cbranch_execnz .LBB305_154
.LBB305_132:
	s_wait_alu 0xfffe
	s_or_b32 exec_lo, exec_lo, s0
	s_and_saveexec_b32 s0, s5
	s_cbranch_execnz .LBB305_155
.LBB305_133:
	s_wait_alu 0xfffe
	s_or_b32 exec_lo, exec_lo, s0
	s_and_saveexec_b32 s0, s6
	s_cbranch_execnz .LBB305_156
.LBB305_134:
	s_wait_alu 0xfffe
	s_or_b32 exec_lo, exec_lo, s0
	s_wait_loadcnt_dscnt 0x0
	s_setpc_b64 s[30:31]
.LBB305_135:
	flat_load_b64 v[4:5], v[29:30]
	s_wait_alu 0xfffe
	s_or_b32 exec_lo, exec_lo, s7
                                        ; implicit-def: $vgpr14_vgpr15
	s_and_saveexec_b32 s7, s0
	s_cbranch_execz .LBB305_18
.LBB305_136:
	flat_load_b64 v[14:15], v[29:30] offset:8
	s_wait_alu 0xfffe
	s_or_b32 exec_lo, exec_lo, s7
                                        ; implicit-def: $vgpr16_vgpr17
	s_and_saveexec_b32 s7, s1
	s_cbranch_execz .LBB305_19
.LBB305_137:
	flat_load_b64 v[16:17], v[29:30] offset:16
	s_wait_alu 0xfffe
	s_or_b32 exec_lo, exec_lo, s7
                                        ; implicit-def: $vgpr24_vgpr25
	s_and_saveexec_b32 s7, s2
	s_cbranch_execz .LBB305_20
.LBB305_138:
	flat_load_b64 v[24:25], v[29:30] offset:24
	s_wait_alu 0xfffe
	s_or_b32 exec_lo, exec_lo, s7
                                        ; implicit-def: $vgpr26_vgpr27
	s_and_saveexec_b32 s7, s3
	s_cbranch_execz .LBB305_21
.LBB305_139:
	flat_load_b64 v[26:27], v[29:30] offset:32
	s_wait_alu 0xfffe
	s_or_b32 exec_lo, exec_lo, s7
                                        ; implicit-def: $vgpr20_vgpr21
	s_and_saveexec_b32 s7, s4
	s_cbranch_execz .LBB305_22
.LBB305_140:
	flat_load_b64 v[20:21], v[29:30] offset:40
	s_wait_alu 0xfffe
	s_or_b32 exec_lo, exec_lo, s7
                                        ; implicit-def: $vgpr18_vgpr19
	s_and_saveexec_b32 s7, s5
	s_cbranch_execz .LBB305_23
.LBB305_141:
	flat_load_b64 v[18:19], v[29:30] offset:48
	s_wait_alu 0xfffe
	s_or_b32 exec_lo, exec_lo, s7
                                        ; implicit-def: $vgpr12_vgpr13
	s_and_saveexec_b32 s7, s6
	s_cbranch_execnz .LBB305_24
	s_branch .LBB305_25
.LBB305_142:
	flat_store_b8 v[2:3], v22
	s_wait_alu 0xfffe
	s_or_b32 exec_lo, exec_lo, s7
	s_and_saveexec_b32 s7, s0
	s_cbranch_execz .LBB305_119
.LBB305_143:
	flat_store_b8 v[2:3], v38 offset:1
	s_wait_alu 0xfffe
	s_or_b32 exec_lo, exec_lo, s7
	s_and_saveexec_b32 s7, s1
	s_cbranch_execz .LBB305_120
.LBB305_144:
	flat_store_b8 v[2:3], v39 offset:2
	s_wait_alu 0xfffe
	s_or_b32 exec_lo, exec_lo, s7
	s_and_saveexec_b32 s7, s2
	s_cbranch_execz .LBB305_121
.LBB305_145:
	flat_store_b8 v[2:3], v28 offset:3
	s_wait_alu 0xfffe
	s_or_b32 exec_lo, exec_lo, s7
	s_and_saveexec_b32 s7, s3
	s_cbranch_execz .LBB305_122
.LBB305_146:
	flat_store_b8 v[2:3], v23 offset:4
	s_wait_alu 0xfffe
	s_or_b32 exec_lo, exec_lo, s7
	s_and_saveexec_b32 s7, s4
	s_cbranch_execz .LBB305_123
.LBB305_147:
	flat_store_b8 v[2:3], v37 offset:5
	s_wait_alu 0xfffe
	s_or_b32 exec_lo, exec_lo, s7
	s_and_saveexec_b32 s7, s5
	s_cbranch_execz .LBB305_124
.LBB305_148:
	flat_store_b8 v[2:3], v36 offset:6
	s_wait_alu 0xfffe
	s_or_b32 exec_lo, exec_lo, s7
	s_and_saveexec_b32 s7, s6
	s_cbranch_execnz .LBB305_125
	s_branch .LBB305_126
.LBB305_149:
	flat_store_b64 v[0:1], v[4:5]
	s_wait_alu 0xfffe
	s_or_b32 exec_lo, exec_lo, s7
	s_and_saveexec_b32 s7, s0
	s_cbranch_execz .LBB305_128
.LBB305_150:
	flat_store_b64 v[0:1], v[14:15] offset:8
	s_wait_alu 0xfffe
	s_or_b32 exec_lo, exec_lo, s7
	s_and_saveexec_b32 s0, s1
	s_cbranch_execz .LBB305_129
.LBB305_151:
	flat_store_b64 v[0:1], v[16:17] offset:16
	s_wait_alu 0xfffe
	s_or_b32 exec_lo, exec_lo, s0
	s_and_saveexec_b32 s0, s2
	s_cbranch_execz .LBB305_130
.LBB305_152:
	flat_store_b64 v[0:1], v[24:25] offset:24
	s_wait_alu 0xfffe
	s_or_b32 exec_lo, exec_lo, s0
	s_and_saveexec_b32 s0, s3
	s_cbranch_execz .LBB305_131
.LBB305_153:
	flat_store_b64 v[0:1], v[26:27] offset:32
	s_wait_alu 0xfffe
	s_or_b32 exec_lo, exec_lo, s0
	s_and_saveexec_b32 s0, s4
	s_cbranch_execz .LBB305_132
.LBB305_154:
	flat_store_b64 v[0:1], v[20:21] offset:40
	s_wait_alu 0xfffe
	s_or_b32 exec_lo, exec_lo, s0
	s_and_saveexec_b32 s0, s5
	s_cbranch_execz .LBB305_133
.LBB305_155:
	flat_store_b64 v[0:1], v[18:19] offset:48
	s_wait_alu 0xfffe
	s_or_b32 exec_lo, exec_lo, s0
	s_and_saveexec_b32 s0, s6
	s_cbranch_execz .LBB305_134
.LBB305_156:
	flat_store_b64 v[0:1], v[12:13] offset:56
	s_wait_alu 0xfffe
	s_or_b32 exec_lo, exec_lo, s0
	s_wait_loadcnt_dscnt 0x0
	s_setpc_b64 s[30:31]
.Lfunc_end305:
	.size	_ZN7rocprim17ROCPRIM_400000_NS6detail26segmented_warp_sort_helperINS1_20WarpSortHelperConfigILj16ELj8ELj256EEEalLi256ELb1EvE4sortIPKaPaPKlPlEEvT_T0_T1_T2_jjjjRNS5_12storage_typeE, .Lfunc_end305-_ZN7rocprim17ROCPRIM_400000_NS6detail26segmented_warp_sort_helperINS1_20WarpSortHelperConfigILj16ELj8ELj256EEEalLi256ELb1EvE4sortIPKaPaPKlPlEEvT_T0_T1_T2_jjjjRNS5_12storage_typeE
                                        ; -- End function
	.set .L_ZN7rocprim17ROCPRIM_400000_NS6detail26segmented_warp_sort_helperINS1_20WarpSortHelperConfigILj16ELj8ELj256EEEalLi256ELb1EvE4sortIPKaPaPKlPlEEvT_T0_T1_T2_jjjjRNS5_12storage_typeE.num_vgpr, 68
	.set .L_ZN7rocprim17ROCPRIM_400000_NS6detail26segmented_warp_sort_helperINS1_20WarpSortHelperConfigILj16ELj8ELj256EEEalLi256ELb1EvE4sortIPKaPaPKlPlEEvT_T0_T1_T2_jjjjRNS5_12storage_typeE.num_agpr, 0
	.set .L_ZN7rocprim17ROCPRIM_400000_NS6detail26segmented_warp_sort_helperINS1_20WarpSortHelperConfigILj16ELj8ELj256EEEalLi256ELb1EvE4sortIPKaPaPKlPlEEvT_T0_T1_T2_jjjjRNS5_12storage_typeE.numbered_sgpr, 32
	.set .L_ZN7rocprim17ROCPRIM_400000_NS6detail26segmented_warp_sort_helperINS1_20WarpSortHelperConfigILj16ELj8ELj256EEEalLi256ELb1EvE4sortIPKaPaPKlPlEEvT_T0_T1_T2_jjjjRNS5_12storage_typeE.num_named_barrier, 0
	.set .L_ZN7rocprim17ROCPRIM_400000_NS6detail26segmented_warp_sort_helperINS1_20WarpSortHelperConfigILj16ELj8ELj256EEEalLi256ELb1EvE4sortIPKaPaPKlPlEEvT_T0_T1_T2_jjjjRNS5_12storage_typeE.private_seg_size, 0
	.set .L_ZN7rocprim17ROCPRIM_400000_NS6detail26segmented_warp_sort_helperINS1_20WarpSortHelperConfigILj16ELj8ELj256EEEalLi256ELb1EvE4sortIPKaPaPKlPlEEvT_T0_T1_T2_jjjjRNS5_12storage_typeE.uses_vcc, 1
	.set .L_ZN7rocprim17ROCPRIM_400000_NS6detail26segmented_warp_sort_helperINS1_20WarpSortHelperConfigILj16ELj8ELj256EEEalLi256ELb1EvE4sortIPKaPaPKlPlEEvT_T0_T1_T2_jjjjRNS5_12storage_typeE.uses_flat_scratch, 0
	.set .L_ZN7rocprim17ROCPRIM_400000_NS6detail26segmented_warp_sort_helperINS1_20WarpSortHelperConfigILj16ELj8ELj256EEEalLi256ELb1EvE4sortIPKaPaPKlPlEEvT_T0_T1_T2_jjjjRNS5_12storage_typeE.has_dyn_sized_stack, 0
	.set .L_ZN7rocprim17ROCPRIM_400000_NS6detail26segmented_warp_sort_helperINS1_20WarpSortHelperConfigILj16ELj8ELj256EEEalLi256ELb1EvE4sortIPKaPaPKlPlEEvT_T0_T1_T2_jjjjRNS5_12storage_typeE.has_recursion, 0
	.set .L_ZN7rocprim17ROCPRIM_400000_NS6detail26segmented_warp_sort_helperINS1_20WarpSortHelperConfigILj16ELj8ELj256EEEalLi256ELb1EvE4sortIPKaPaPKlPlEEvT_T0_T1_T2_jjjjRNS5_12storage_typeE.has_indirect_call, 0
	.section	.AMDGPU.csdata,"",@progbits
; Function info:
; codeLenInByte = 23188
; TotalNumSgprs: 34
; NumVgprs: 68
; ScratchSize: 0
; MemoryBound: 0
	.section	.text._ZN7rocprim17ROCPRIM_400000_NS6detail17trampoline_kernelINS0_14default_configENS1_36segmented_radix_sort_config_selectorIalEEZNS1_25segmented_radix_sort_implIS3_Lb1EPKaPaPKlPlN2at6native12_GLOBAL__N_18offset_tEEE10hipError_tPvRmT1_PNSt15iterator_traitsISK_E10value_typeET2_T3_PNSL_ISQ_E10value_typeET4_jRbjT5_SW_jjP12ihipStream_tbEUlT_E0_NS1_11comp_targetILNS1_3genE10ELNS1_11target_archE1201ELNS1_3gpuE5ELNS1_3repE0EEENS1_60segmented_radix_sort_warp_sort_medium_config_static_selectorELNS0_4arch9wavefront6targetE0EEEvSK_,"axG",@progbits,_ZN7rocprim17ROCPRIM_400000_NS6detail17trampoline_kernelINS0_14default_configENS1_36segmented_radix_sort_config_selectorIalEEZNS1_25segmented_radix_sort_implIS3_Lb1EPKaPaPKlPlN2at6native12_GLOBAL__N_18offset_tEEE10hipError_tPvRmT1_PNSt15iterator_traitsISK_E10value_typeET2_T3_PNSL_ISQ_E10value_typeET4_jRbjT5_SW_jjP12ihipStream_tbEUlT_E0_NS1_11comp_targetILNS1_3genE10ELNS1_11target_archE1201ELNS1_3gpuE5ELNS1_3repE0EEENS1_60segmented_radix_sort_warp_sort_medium_config_static_selectorELNS0_4arch9wavefront6targetE0EEEvSK_,comdat
	.globl	_ZN7rocprim17ROCPRIM_400000_NS6detail17trampoline_kernelINS0_14default_configENS1_36segmented_radix_sort_config_selectorIalEEZNS1_25segmented_radix_sort_implIS3_Lb1EPKaPaPKlPlN2at6native12_GLOBAL__N_18offset_tEEE10hipError_tPvRmT1_PNSt15iterator_traitsISK_E10value_typeET2_T3_PNSL_ISQ_E10value_typeET4_jRbjT5_SW_jjP12ihipStream_tbEUlT_E0_NS1_11comp_targetILNS1_3genE10ELNS1_11target_archE1201ELNS1_3gpuE5ELNS1_3repE0EEENS1_60segmented_radix_sort_warp_sort_medium_config_static_selectorELNS0_4arch9wavefront6targetE0EEEvSK_ ; -- Begin function _ZN7rocprim17ROCPRIM_400000_NS6detail17trampoline_kernelINS0_14default_configENS1_36segmented_radix_sort_config_selectorIalEEZNS1_25segmented_radix_sort_implIS3_Lb1EPKaPaPKlPlN2at6native12_GLOBAL__N_18offset_tEEE10hipError_tPvRmT1_PNSt15iterator_traitsISK_E10value_typeET2_T3_PNSL_ISQ_E10value_typeET4_jRbjT5_SW_jjP12ihipStream_tbEUlT_E0_NS1_11comp_targetILNS1_3genE10ELNS1_11target_archE1201ELNS1_3gpuE5ELNS1_3repE0EEENS1_60segmented_radix_sort_warp_sort_medium_config_static_selectorELNS0_4arch9wavefront6targetE0EEEvSK_
	.p2align	8
	.type	_ZN7rocprim17ROCPRIM_400000_NS6detail17trampoline_kernelINS0_14default_configENS1_36segmented_radix_sort_config_selectorIalEEZNS1_25segmented_radix_sort_implIS3_Lb1EPKaPaPKlPlN2at6native12_GLOBAL__N_18offset_tEEE10hipError_tPvRmT1_PNSt15iterator_traitsISK_E10value_typeET2_T3_PNSL_ISQ_E10value_typeET4_jRbjT5_SW_jjP12ihipStream_tbEUlT_E0_NS1_11comp_targetILNS1_3genE10ELNS1_11target_archE1201ELNS1_3gpuE5ELNS1_3repE0EEENS1_60segmented_radix_sort_warp_sort_medium_config_static_selectorELNS0_4arch9wavefront6targetE0EEEvSK_,@function
_ZN7rocprim17ROCPRIM_400000_NS6detail17trampoline_kernelINS0_14default_configENS1_36segmented_radix_sort_config_selectorIalEEZNS1_25segmented_radix_sort_implIS3_Lb1EPKaPaPKlPlN2at6native12_GLOBAL__N_18offset_tEEE10hipError_tPvRmT1_PNSt15iterator_traitsISK_E10value_typeET2_T3_PNSL_ISQ_E10value_typeET4_jRbjT5_SW_jjP12ihipStream_tbEUlT_E0_NS1_11comp_targetILNS1_3genE10ELNS1_11target_archE1201ELNS1_3gpuE5ELNS1_3repE0EEENS1_60segmented_radix_sort_warp_sort_medium_config_static_selectorELNS0_4arch9wavefront6targetE0EEEvSK_: ; @_ZN7rocprim17ROCPRIM_400000_NS6detail17trampoline_kernelINS0_14default_configENS1_36segmented_radix_sort_config_selectorIalEEZNS1_25segmented_radix_sort_implIS3_Lb1EPKaPaPKlPlN2at6native12_GLOBAL__N_18offset_tEEE10hipError_tPvRmT1_PNSt15iterator_traitsISK_E10value_typeET2_T3_PNSL_ISQ_E10value_typeET4_jRbjT5_SW_jjP12ihipStream_tbEUlT_E0_NS1_11comp_targetILNS1_3genE10ELNS1_11target_archE1201ELNS1_3gpuE5ELNS1_3repE0EEENS1_60segmented_radix_sort_warp_sort_medium_config_static_selectorELNS0_4arch9wavefront6targetE0EEEvSK_
; %bb.0:
	s_load_b32 s2, s[0:1], 0x64
	v_bfe_u32 v1, v0, 10, 10
	v_bfe_u32 v2, v0, 20, 10
	s_mov_b32 s32, 0
	s_wait_kmcnt 0x0
	s_lshr_b32 s3, s2, 16
	s_and_b32 s2, s2, 0xffff
	v_mad_u32_u24 v2, v2, s3, v1
	v_and_b32_e32 v1, 0x3ff, v0
	s_load_b32 s3, s[0:1], 0x34
	s_delay_alu instid0(VALU_DEP_1) | instskip(SKIP_2) | instid1(VALU_DEP_1)
	v_mad_co_u64_u32 v[1:2], null, v2, s2, v[1:2]
	s_mov_b32 s2, exec_lo
	v_lshrrev_b32_e32 v1, 4, v1
	v_lshl_add_u32 v1, ttmp9, 4, v1
	s_wait_kmcnt 0x0
	s_delay_alu instid0(VALU_DEP_1)
	v_cmpx_gt_u32_e64 s3, v1
	s_cbranch_execz .LBB306_6
; %bb.1:
	s_clause 0x1
	s_load_b64 s[2:3], s[0:1], 0x38
	s_load_b128 s[4:7], s[0:1], 0x40
	v_mov_b32_e32 v2, 0
	s_delay_alu instid0(VALU_DEP_1) | instskip(SKIP_1) | instid1(VALU_DEP_1)
	v_lshlrev_b64_e32 v[1:2], 2, v[1:2]
	s_wait_kmcnt 0x0
	v_add_co_u32 v1, vcc_lo, s2, v1
	s_delay_alu instid0(VALU_DEP_1) | instskip(SKIP_4) | instid1(VALU_DEP_2)
	v_add_co_ci_u32_e64 v2, null, s3, v2, vcc_lo
	global_load_b32 v1, v[1:2], off
	s_wait_loadcnt 0x0
	v_add_nc_u32_e32 v2, s5, v1
	v_add_nc_u32_e32 v1, s7, v1
	v_mul_lo_u32 v8, v2, s4
	s_delay_alu instid0(VALU_DEP_2) | instskip(NEXT) | instid1(VALU_DEP_1)
	v_mul_lo_u32 v40, v1, s6
	v_cmp_gt_u32_e32 vcc_lo, v40, v8
	s_and_b32 exec_lo, exec_lo, vcc_lo
	s_cbranch_execz .LBB306_6
; %bb.2:
	s_clause 0x3
	s_load_b32 s2, s[0:1], 0x30
	s_load_b128 s[24:27], s[0:1], 0x20
	s_load_b256 s[36:43], s[0:1], 0x0
	s_load_b64 s[28:29], s[0:1], 0x50
	s_add_nc_u64 s[22:23], s[0:1], 0x58
	s_wait_kmcnt 0x0
	s_bitcmp0_b32 s2, 0
	s_mov_b32 s2, -1
	s_cbranch_scc0 .LBB306_4
; %bb.3:
	v_mov_b32_e32 v31, v0
	v_dual_mov_b32 v41, v0 :: v_dual_mov_b32 v2, s38
	v_dual_mov_b32 v0, s36 :: v_dual_mov_b32 v1, s37
	;; [unrolled: 1-line block ×5, first 2 shown]
	v_mov_b32_e32 v9, v40
	v_mov_b32_e32 v11, s29
	s_getpc_b64 s[0:1]
	s_wait_alu 0xfffe
	s_sext_i32_i16 s1, s1
	s_add_co_u32 s0, s0, _ZN7rocprim17ROCPRIM_400000_NS6detail26segmented_warp_sort_helperINS1_20WarpSortHelperConfigILj16ELj8ELj256EEEalLi256ELb1EvE4sortIPKaPaPKlPlEEvT_T0_T1_T2_jjjjRNS5_12storage_typeE@rel32@lo+12
	s_wait_alu 0xfffe
	s_add_co_ci_u32 s1, s1, _ZN7rocprim17ROCPRIM_400000_NS6detail26segmented_warp_sort_helperINS1_20WarpSortHelperConfigILj16ELj8ELj256EEEalLi256ELb1EvE4sortIPKaPaPKlPlEEvT_T0_T1_T2_jjjjRNS5_12storage_typeE@rel32@hi+24
	s_mov_b64 s[8:9], s[22:23]
	s_wait_alu 0xfffe
	s_swappc_b64 s[30:31], s[0:1]
	v_mov_b32_e32 v0, v41
	s_mov_b32 s2, 0
.LBB306_4:
	s_wait_alu 0xfffe
	s_and_not1_b32 vcc_lo, exec_lo, s2
	s_wait_alu 0xfffe
	s_cbranch_vccnz .LBB306_6
; %bb.5:
	v_dual_mov_b32 v31, v0 :: v_dual_mov_b32 v0, s36
	v_dual_mov_b32 v1, s37 :: v_dual_mov_b32 v2, s40
	;; [unrolled: 1-line block ×5, first 2 shown]
	v_mov_b32_e32 v9, v40
	v_mov_b32_e32 v11, s29
	s_getpc_b64 s[0:1]
	s_wait_alu 0xfffe
	s_sext_i32_i16 s1, s1
	s_add_co_u32 s0, s0, _ZN7rocprim17ROCPRIM_400000_NS6detail26segmented_warp_sort_helperINS1_20WarpSortHelperConfigILj16ELj8ELj256EEEalLi256ELb1EvE4sortIPKaPaPKlPlEEvT_T0_T1_T2_jjjjRNS5_12storage_typeE@rel32@lo+12
	s_wait_alu 0xfffe
	s_add_co_ci_u32 s1, s1, _ZN7rocprim17ROCPRIM_400000_NS6detail26segmented_warp_sort_helperINS1_20WarpSortHelperConfigILj16ELj8ELj256EEEalLi256ELb1EvE4sortIPKaPaPKlPlEEvT_T0_T1_T2_jjjjRNS5_12storage_typeE@rel32@hi+24
	s_mov_b64 s[8:9], s[22:23]
	s_wait_alu 0xfffe
	s_swappc_b64 s[30:31], s[0:1]
.LBB306_6:
	s_endpgm
	.section	.rodata,"a",@progbits
	.p2align	6, 0x0
	.amdhsa_kernel _ZN7rocprim17ROCPRIM_400000_NS6detail17trampoline_kernelINS0_14default_configENS1_36segmented_radix_sort_config_selectorIalEEZNS1_25segmented_radix_sort_implIS3_Lb1EPKaPaPKlPlN2at6native12_GLOBAL__N_18offset_tEEE10hipError_tPvRmT1_PNSt15iterator_traitsISK_E10value_typeET2_T3_PNSL_ISQ_E10value_typeET4_jRbjT5_SW_jjP12ihipStream_tbEUlT_E0_NS1_11comp_targetILNS1_3genE10ELNS1_11target_archE1201ELNS1_3gpuE5ELNS1_3repE0EEENS1_60segmented_radix_sort_warp_sort_medium_config_static_selectorELNS0_4arch9wavefront6targetE0EEEvSK_
		.amdhsa_group_segment_fixed_size 18432
		.amdhsa_private_segment_fixed_size 0
		.amdhsa_kernarg_size 344
		.amdhsa_user_sgpr_count 2
		.amdhsa_user_sgpr_dispatch_ptr 0
		.amdhsa_user_sgpr_queue_ptr 0
		.amdhsa_user_sgpr_kernarg_segment_ptr 1
		.amdhsa_user_sgpr_dispatch_id 0
		.amdhsa_user_sgpr_private_segment_size 0
		.amdhsa_wavefront_size32 1
		.amdhsa_uses_dynamic_stack 0
		.amdhsa_enable_private_segment 0
		.amdhsa_system_sgpr_workgroup_id_x 1
		.amdhsa_system_sgpr_workgroup_id_y 1
		.amdhsa_system_sgpr_workgroup_id_z 0
		.amdhsa_system_sgpr_workgroup_info 0
		.amdhsa_system_vgpr_workitem_id 2
		.amdhsa_next_free_vgpr 68
		.amdhsa_next_free_sgpr 44
		.amdhsa_reserve_vcc 1
		.amdhsa_float_round_mode_32 0
		.amdhsa_float_round_mode_16_64 0
		.amdhsa_float_denorm_mode_32 3
		.amdhsa_float_denorm_mode_16_64 3
		.amdhsa_fp16_overflow 0
		.amdhsa_workgroup_processor_mode 1
		.amdhsa_memory_ordered 1
		.amdhsa_forward_progress 1
		.amdhsa_inst_pref_size 4
		.amdhsa_round_robin_scheduling 0
		.amdhsa_exception_fp_ieee_invalid_op 0
		.amdhsa_exception_fp_denorm_src 0
		.amdhsa_exception_fp_ieee_div_zero 0
		.amdhsa_exception_fp_ieee_overflow 0
		.amdhsa_exception_fp_ieee_underflow 0
		.amdhsa_exception_fp_ieee_inexact 0
		.amdhsa_exception_int_div_zero 0
	.end_amdhsa_kernel
	.section	.text._ZN7rocprim17ROCPRIM_400000_NS6detail17trampoline_kernelINS0_14default_configENS1_36segmented_radix_sort_config_selectorIalEEZNS1_25segmented_radix_sort_implIS3_Lb1EPKaPaPKlPlN2at6native12_GLOBAL__N_18offset_tEEE10hipError_tPvRmT1_PNSt15iterator_traitsISK_E10value_typeET2_T3_PNSL_ISQ_E10value_typeET4_jRbjT5_SW_jjP12ihipStream_tbEUlT_E0_NS1_11comp_targetILNS1_3genE10ELNS1_11target_archE1201ELNS1_3gpuE5ELNS1_3repE0EEENS1_60segmented_radix_sort_warp_sort_medium_config_static_selectorELNS0_4arch9wavefront6targetE0EEEvSK_,"axG",@progbits,_ZN7rocprim17ROCPRIM_400000_NS6detail17trampoline_kernelINS0_14default_configENS1_36segmented_radix_sort_config_selectorIalEEZNS1_25segmented_radix_sort_implIS3_Lb1EPKaPaPKlPlN2at6native12_GLOBAL__N_18offset_tEEE10hipError_tPvRmT1_PNSt15iterator_traitsISK_E10value_typeET2_T3_PNSL_ISQ_E10value_typeET4_jRbjT5_SW_jjP12ihipStream_tbEUlT_E0_NS1_11comp_targetILNS1_3genE10ELNS1_11target_archE1201ELNS1_3gpuE5ELNS1_3repE0EEENS1_60segmented_radix_sort_warp_sort_medium_config_static_selectorELNS0_4arch9wavefront6targetE0EEEvSK_,comdat
.Lfunc_end306:
	.size	_ZN7rocprim17ROCPRIM_400000_NS6detail17trampoline_kernelINS0_14default_configENS1_36segmented_radix_sort_config_selectorIalEEZNS1_25segmented_radix_sort_implIS3_Lb1EPKaPaPKlPlN2at6native12_GLOBAL__N_18offset_tEEE10hipError_tPvRmT1_PNSt15iterator_traitsISK_E10value_typeET2_T3_PNSL_ISQ_E10value_typeET4_jRbjT5_SW_jjP12ihipStream_tbEUlT_E0_NS1_11comp_targetILNS1_3genE10ELNS1_11target_archE1201ELNS1_3gpuE5ELNS1_3repE0EEENS1_60segmented_radix_sort_warp_sort_medium_config_static_selectorELNS0_4arch9wavefront6targetE0EEEvSK_, .Lfunc_end306-_ZN7rocprim17ROCPRIM_400000_NS6detail17trampoline_kernelINS0_14default_configENS1_36segmented_radix_sort_config_selectorIalEEZNS1_25segmented_radix_sort_implIS3_Lb1EPKaPaPKlPlN2at6native12_GLOBAL__N_18offset_tEEE10hipError_tPvRmT1_PNSt15iterator_traitsISK_E10value_typeET2_T3_PNSL_ISQ_E10value_typeET4_jRbjT5_SW_jjP12ihipStream_tbEUlT_E0_NS1_11comp_targetILNS1_3genE10ELNS1_11target_archE1201ELNS1_3gpuE5ELNS1_3repE0EEENS1_60segmented_radix_sort_warp_sort_medium_config_static_selectorELNS0_4arch9wavefront6targetE0EEEvSK_
                                        ; -- End function
	.set _ZN7rocprim17ROCPRIM_400000_NS6detail17trampoline_kernelINS0_14default_configENS1_36segmented_radix_sort_config_selectorIalEEZNS1_25segmented_radix_sort_implIS3_Lb1EPKaPaPKlPlN2at6native12_GLOBAL__N_18offset_tEEE10hipError_tPvRmT1_PNSt15iterator_traitsISK_E10value_typeET2_T3_PNSL_ISQ_E10value_typeET4_jRbjT5_SW_jjP12ihipStream_tbEUlT_E0_NS1_11comp_targetILNS1_3genE10ELNS1_11target_archE1201ELNS1_3gpuE5ELNS1_3repE0EEENS1_60segmented_radix_sort_warp_sort_medium_config_static_selectorELNS0_4arch9wavefront6targetE0EEEvSK_.num_vgpr, max(42, .L_ZN7rocprim17ROCPRIM_400000_NS6detail26segmented_warp_sort_helperINS1_20WarpSortHelperConfigILj16ELj8ELj256EEEalLi256ELb1EvE4sortIPKaPaPKlPlEEvT_T0_T1_T2_jjjjRNS5_12storage_typeE.num_vgpr)
	.set _ZN7rocprim17ROCPRIM_400000_NS6detail17trampoline_kernelINS0_14default_configENS1_36segmented_radix_sort_config_selectorIalEEZNS1_25segmented_radix_sort_implIS3_Lb1EPKaPaPKlPlN2at6native12_GLOBAL__N_18offset_tEEE10hipError_tPvRmT1_PNSt15iterator_traitsISK_E10value_typeET2_T3_PNSL_ISQ_E10value_typeET4_jRbjT5_SW_jjP12ihipStream_tbEUlT_E0_NS1_11comp_targetILNS1_3genE10ELNS1_11target_archE1201ELNS1_3gpuE5ELNS1_3repE0EEENS1_60segmented_radix_sort_warp_sort_medium_config_static_selectorELNS0_4arch9wavefront6targetE0EEEvSK_.num_agpr, max(0, .L_ZN7rocprim17ROCPRIM_400000_NS6detail26segmented_warp_sort_helperINS1_20WarpSortHelperConfigILj16ELj8ELj256EEEalLi256ELb1EvE4sortIPKaPaPKlPlEEvT_T0_T1_T2_jjjjRNS5_12storage_typeE.num_agpr)
	.set _ZN7rocprim17ROCPRIM_400000_NS6detail17trampoline_kernelINS0_14default_configENS1_36segmented_radix_sort_config_selectorIalEEZNS1_25segmented_radix_sort_implIS3_Lb1EPKaPaPKlPlN2at6native12_GLOBAL__N_18offset_tEEE10hipError_tPvRmT1_PNSt15iterator_traitsISK_E10value_typeET2_T3_PNSL_ISQ_E10value_typeET4_jRbjT5_SW_jjP12ihipStream_tbEUlT_E0_NS1_11comp_targetILNS1_3genE10ELNS1_11target_archE1201ELNS1_3gpuE5ELNS1_3repE0EEENS1_60segmented_radix_sort_warp_sort_medium_config_static_selectorELNS0_4arch9wavefront6targetE0EEEvSK_.numbered_sgpr, max(44, .L_ZN7rocprim17ROCPRIM_400000_NS6detail26segmented_warp_sort_helperINS1_20WarpSortHelperConfigILj16ELj8ELj256EEEalLi256ELb1EvE4sortIPKaPaPKlPlEEvT_T0_T1_T2_jjjjRNS5_12storage_typeE.numbered_sgpr)
	.set _ZN7rocprim17ROCPRIM_400000_NS6detail17trampoline_kernelINS0_14default_configENS1_36segmented_radix_sort_config_selectorIalEEZNS1_25segmented_radix_sort_implIS3_Lb1EPKaPaPKlPlN2at6native12_GLOBAL__N_18offset_tEEE10hipError_tPvRmT1_PNSt15iterator_traitsISK_E10value_typeET2_T3_PNSL_ISQ_E10value_typeET4_jRbjT5_SW_jjP12ihipStream_tbEUlT_E0_NS1_11comp_targetILNS1_3genE10ELNS1_11target_archE1201ELNS1_3gpuE5ELNS1_3repE0EEENS1_60segmented_radix_sort_warp_sort_medium_config_static_selectorELNS0_4arch9wavefront6targetE0EEEvSK_.num_named_barrier, max(0, .L_ZN7rocprim17ROCPRIM_400000_NS6detail26segmented_warp_sort_helperINS1_20WarpSortHelperConfigILj16ELj8ELj256EEEalLi256ELb1EvE4sortIPKaPaPKlPlEEvT_T0_T1_T2_jjjjRNS5_12storage_typeE.num_named_barrier)
	.set _ZN7rocprim17ROCPRIM_400000_NS6detail17trampoline_kernelINS0_14default_configENS1_36segmented_radix_sort_config_selectorIalEEZNS1_25segmented_radix_sort_implIS3_Lb1EPKaPaPKlPlN2at6native12_GLOBAL__N_18offset_tEEE10hipError_tPvRmT1_PNSt15iterator_traitsISK_E10value_typeET2_T3_PNSL_ISQ_E10value_typeET4_jRbjT5_SW_jjP12ihipStream_tbEUlT_E0_NS1_11comp_targetILNS1_3genE10ELNS1_11target_archE1201ELNS1_3gpuE5ELNS1_3repE0EEENS1_60segmented_radix_sort_warp_sort_medium_config_static_selectorELNS0_4arch9wavefront6targetE0EEEvSK_.private_seg_size, 0+max(.L_ZN7rocprim17ROCPRIM_400000_NS6detail26segmented_warp_sort_helperINS1_20WarpSortHelperConfigILj16ELj8ELj256EEEalLi256ELb1EvE4sortIPKaPaPKlPlEEvT_T0_T1_T2_jjjjRNS5_12storage_typeE.private_seg_size)
	.set _ZN7rocprim17ROCPRIM_400000_NS6detail17trampoline_kernelINS0_14default_configENS1_36segmented_radix_sort_config_selectorIalEEZNS1_25segmented_radix_sort_implIS3_Lb1EPKaPaPKlPlN2at6native12_GLOBAL__N_18offset_tEEE10hipError_tPvRmT1_PNSt15iterator_traitsISK_E10value_typeET2_T3_PNSL_ISQ_E10value_typeET4_jRbjT5_SW_jjP12ihipStream_tbEUlT_E0_NS1_11comp_targetILNS1_3genE10ELNS1_11target_archE1201ELNS1_3gpuE5ELNS1_3repE0EEENS1_60segmented_radix_sort_warp_sort_medium_config_static_selectorELNS0_4arch9wavefront6targetE0EEEvSK_.uses_vcc, or(1, .L_ZN7rocprim17ROCPRIM_400000_NS6detail26segmented_warp_sort_helperINS1_20WarpSortHelperConfigILj16ELj8ELj256EEEalLi256ELb1EvE4sortIPKaPaPKlPlEEvT_T0_T1_T2_jjjjRNS5_12storage_typeE.uses_vcc)
	.set _ZN7rocprim17ROCPRIM_400000_NS6detail17trampoline_kernelINS0_14default_configENS1_36segmented_radix_sort_config_selectorIalEEZNS1_25segmented_radix_sort_implIS3_Lb1EPKaPaPKlPlN2at6native12_GLOBAL__N_18offset_tEEE10hipError_tPvRmT1_PNSt15iterator_traitsISK_E10value_typeET2_T3_PNSL_ISQ_E10value_typeET4_jRbjT5_SW_jjP12ihipStream_tbEUlT_E0_NS1_11comp_targetILNS1_3genE10ELNS1_11target_archE1201ELNS1_3gpuE5ELNS1_3repE0EEENS1_60segmented_radix_sort_warp_sort_medium_config_static_selectorELNS0_4arch9wavefront6targetE0EEEvSK_.uses_flat_scratch, or(0, .L_ZN7rocprim17ROCPRIM_400000_NS6detail26segmented_warp_sort_helperINS1_20WarpSortHelperConfigILj16ELj8ELj256EEEalLi256ELb1EvE4sortIPKaPaPKlPlEEvT_T0_T1_T2_jjjjRNS5_12storage_typeE.uses_flat_scratch)
	.set _ZN7rocprim17ROCPRIM_400000_NS6detail17trampoline_kernelINS0_14default_configENS1_36segmented_radix_sort_config_selectorIalEEZNS1_25segmented_radix_sort_implIS3_Lb1EPKaPaPKlPlN2at6native12_GLOBAL__N_18offset_tEEE10hipError_tPvRmT1_PNSt15iterator_traitsISK_E10value_typeET2_T3_PNSL_ISQ_E10value_typeET4_jRbjT5_SW_jjP12ihipStream_tbEUlT_E0_NS1_11comp_targetILNS1_3genE10ELNS1_11target_archE1201ELNS1_3gpuE5ELNS1_3repE0EEENS1_60segmented_radix_sort_warp_sort_medium_config_static_selectorELNS0_4arch9wavefront6targetE0EEEvSK_.has_dyn_sized_stack, or(0, .L_ZN7rocprim17ROCPRIM_400000_NS6detail26segmented_warp_sort_helperINS1_20WarpSortHelperConfigILj16ELj8ELj256EEEalLi256ELb1EvE4sortIPKaPaPKlPlEEvT_T0_T1_T2_jjjjRNS5_12storage_typeE.has_dyn_sized_stack)
	.set _ZN7rocprim17ROCPRIM_400000_NS6detail17trampoline_kernelINS0_14default_configENS1_36segmented_radix_sort_config_selectorIalEEZNS1_25segmented_radix_sort_implIS3_Lb1EPKaPaPKlPlN2at6native12_GLOBAL__N_18offset_tEEE10hipError_tPvRmT1_PNSt15iterator_traitsISK_E10value_typeET2_T3_PNSL_ISQ_E10value_typeET4_jRbjT5_SW_jjP12ihipStream_tbEUlT_E0_NS1_11comp_targetILNS1_3genE10ELNS1_11target_archE1201ELNS1_3gpuE5ELNS1_3repE0EEENS1_60segmented_radix_sort_warp_sort_medium_config_static_selectorELNS0_4arch9wavefront6targetE0EEEvSK_.has_recursion, or(0, .L_ZN7rocprim17ROCPRIM_400000_NS6detail26segmented_warp_sort_helperINS1_20WarpSortHelperConfigILj16ELj8ELj256EEEalLi256ELb1EvE4sortIPKaPaPKlPlEEvT_T0_T1_T2_jjjjRNS5_12storage_typeE.has_recursion)
	.set _ZN7rocprim17ROCPRIM_400000_NS6detail17trampoline_kernelINS0_14default_configENS1_36segmented_radix_sort_config_selectorIalEEZNS1_25segmented_radix_sort_implIS3_Lb1EPKaPaPKlPlN2at6native12_GLOBAL__N_18offset_tEEE10hipError_tPvRmT1_PNSt15iterator_traitsISK_E10value_typeET2_T3_PNSL_ISQ_E10value_typeET4_jRbjT5_SW_jjP12ihipStream_tbEUlT_E0_NS1_11comp_targetILNS1_3genE10ELNS1_11target_archE1201ELNS1_3gpuE5ELNS1_3repE0EEENS1_60segmented_radix_sort_warp_sort_medium_config_static_selectorELNS0_4arch9wavefront6targetE0EEEvSK_.has_indirect_call, or(0, .L_ZN7rocprim17ROCPRIM_400000_NS6detail26segmented_warp_sort_helperINS1_20WarpSortHelperConfigILj16ELj8ELj256EEEalLi256ELb1EvE4sortIPKaPaPKlPlEEvT_T0_T1_T2_jjjjRNS5_12storage_typeE.has_indirect_call)
	.section	.AMDGPU.csdata,"",@progbits
; Kernel info:
; codeLenInByte = 504
; TotalNumSgprs: 46
; NumVgprs: 68
; ScratchSize: 0
; MemoryBound: 0
; FloatMode: 240
; IeeeMode: 1
; LDSByteSize: 18432 bytes/workgroup (compile time only)
; SGPRBlocks: 0
; VGPRBlocks: 8
; NumSGPRsForWavesPerEU: 46
; NumVGPRsForWavesPerEU: 68
; Occupancy: 14
; WaveLimiterHint : 0
; COMPUTE_PGM_RSRC2:SCRATCH_EN: 0
; COMPUTE_PGM_RSRC2:USER_SGPR: 2
; COMPUTE_PGM_RSRC2:TRAP_HANDLER: 0
; COMPUTE_PGM_RSRC2:TGID_X_EN: 1
; COMPUTE_PGM_RSRC2:TGID_Y_EN: 1
; COMPUTE_PGM_RSRC2:TGID_Z_EN: 0
; COMPUTE_PGM_RSRC2:TIDIG_COMP_CNT: 2
	.section	.text._ZN7rocprim17ROCPRIM_400000_NS6detail17trampoline_kernelINS0_14default_configENS1_36segmented_radix_sort_config_selectorIalEEZNS1_25segmented_radix_sort_implIS3_Lb1EPKaPaPKlPlN2at6native12_GLOBAL__N_18offset_tEEE10hipError_tPvRmT1_PNSt15iterator_traitsISK_E10value_typeET2_T3_PNSL_ISQ_E10value_typeET4_jRbjT5_SW_jjP12ihipStream_tbEUlT_E0_NS1_11comp_targetILNS1_3genE10ELNS1_11target_archE1200ELNS1_3gpuE4ELNS1_3repE0EEENS1_60segmented_radix_sort_warp_sort_medium_config_static_selectorELNS0_4arch9wavefront6targetE0EEEvSK_,"axG",@progbits,_ZN7rocprim17ROCPRIM_400000_NS6detail17trampoline_kernelINS0_14default_configENS1_36segmented_radix_sort_config_selectorIalEEZNS1_25segmented_radix_sort_implIS3_Lb1EPKaPaPKlPlN2at6native12_GLOBAL__N_18offset_tEEE10hipError_tPvRmT1_PNSt15iterator_traitsISK_E10value_typeET2_T3_PNSL_ISQ_E10value_typeET4_jRbjT5_SW_jjP12ihipStream_tbEUlT_E0_NS1_11comp_targetILNS1_3genE10ELNS1_11target_archE1200ELNS1_3gpuE4ELNS1_3repE0EEENS1_60segmented_radix_sort_warp_sort_medium_config_static_selectorELNS0_4arch9wavefront6targetE0EEEvSK_,comdat
	.globl	_ZN7rocprim17ROCPRIM_400000_NS6detail17trampoline_kernelINS0_14default_configENS1_36segmented_radix_sort_config_selectorIalEEZNS1_25segmented_radix_sort_implIS3_Lb1EPKaPaPKlPlN2at6native12_GLOBAL__N_18offset_tEEE10hipError_tPvRmT1_PNSt15iterator_traitsISK_E10value_typeET2_T3_PNSL_ISQ_E10value_typeET4_jRbjT5_SW_jjP12ihipStream_tbEUlT_E0_NS1_11comp_targetILNS1_3genE10ELNS1_11target_archE1200ELNS1_3gpuE4ELNS1_3repE0EEENS1_60segmented_radix_sort_warp_sort_medium_config_static_selectorELNS0_4arch9wavefront6targetE0EEEvSK_ ; -- Begin function _ZN7rocprim17ROCPRIM_400000_NS6detail17trampoline_kernelINS0_14default_configENS1_36segmented_radix_sort_config_selectorIalEEZNS1_25segmented_radix_sort_implIS3_Lb1EPKaPaPKlPlN2at6native12_GLOBAL__N_18offset_tEEE10hipError_tPvRmT1_PNSt15iterator_traitsISK_E10value_typeET2_T3_PNSL_ISQ_E10value_typeET4_jRbjT5_SW_jjP12ihipStream_tbEUlT_E0_NS1_11comp_targetILNS1_3genE10ELNS1_11target_archE1200ELNS1_3gpuE4ELNS1_3repE0EEENS1_60segmented_radix_sort_warp_sort_medium_config_static_selectorELNS0_4arch9wavefront6targetE0EEEvSK_
	.p2align	8
	.type	_ZN7rocprim17ROCPRIM_400000_NS6detail17trampoline_kernelINS0_14default_configENS1_36segmented_radix_sort_config_selectorIalEEZNS1_25segmented_radix_sort_implIS3_Lb1EPKaPaPKlPlN2at6native12_GLOBAL__N_18offset_tEEE10hipError_tPvRmT1_PNSt15iterator_traitsISK_E10value_typeET2_T3_PNSL_ISQ_E10value_typeET4_jRbjT5_SW_jjP12ihipStream_tbEUlT_E0_NS1_11comp_targetILNS1_3genE10ELNS1_11target_archE1200ELNS1_3gpuE4ELNS1_3repE0EEENS1_60segmented_radix_sort_warp_sort_medium_config_static_selectorELNS0_4arch9wavefront6targetE0EEEvSK_,@function
_ZN7rocprim17ROCPRIM_400000_NS6detail17trampoline_kernelINS0_14default_configENS1_36segmented_radix_sort_config_selectorIalEEZNS1_25segmented_radix_sort_implIS3_Lb1EPKaPaPKlPlN2at6native12_GLOBAL__N_18offset_tEEE10hipError_tPvRmT1_PNSt15iterator_traitsISK_E10value_typeET2_T3_PNSL_ISQ_E10value_typeET4_jRbjT5_SW_jjP12ihipStream_tbEUlT_E0_NS1_11comp_targetILNS1_3genE10ELNS1_11target_archE1200ELNS1_3gpuE4ELNS1_3repE0EEENS1_60segmented_radix_sort_warp_sort_medium_config_static_selectorELNS0_4arch9wavefront6targetE0EEEvSK_: ; @_ZN7rocprim17ROCPRIM_400000_NS6detail17trampoline_kernelINS0_14default_configENS1_36segmented_radix_sort_config_selectorIalEEZNS1_25segmented_radix_sort_implIS3_Lb1EPKaPaPKlPlN2at6native12_GLOBAL__N_18offset_tEEE10hipError_tPvRmT1_PNSt15iterator_traitsISK_E10value_typeET2_T3_PNSL_ISQ_E10value_typeET4_jRbjT5_SW_jjP12ihipStream_tbEUlT_E0_NS1_11comp_targetILNS1_3genE10ELNS1_11target_archE1200ELNS1_3gpuE4ELNS1_3repE0EEENS1_60segmented_radix_sort_warp_sort_medium_config_static_selectorELNS0_4arch9wavefront6targetE0EEEvSK_
; %bb.0:
	.section	.rodata,"a",@progbits
	.p2align	6, 0x0
	.amdhsa_kernel _ZN7rocprim17ROCPRIM_400000_NS6detail17trampoline_kernelINS0_14default_configENS1_36segmented_radix_sort_config_selectorIalEEZNS1_25segmented_radix_sort_implIS3_Lb1EPKaPaPKlPlN2at6native12_GLOBAL__N_18offset_tEEE10hipError_tPvRmT1_PNSt15iterator_traitsISK_E10value_typeET2_T3_PNSL_ISQ_E10value_typeET4_jRbjT5_SW_jjP12ihipStream_tbEUlT_E0_NS1_11comp_targetILNS1_3genE10ELNS1_11target_archE1200ELNS1_3gpuE4ELNS1_3repE0EEENS1_60segmented_radix_sort_warp_sort_medium_config_static_selectorELNS0_4arch9wavefront6targetE0EEEvSK_
		.amdhsa_group_segment_fixed_size 0
		.amdhsa_private_segment_fixed_size 0
		.amdhsa_kernarg_size 88
		.amdhsa_user_sgpr_count 2
		.amdhsa_user_sgpr_dispatch_ptr 0
		.amdhsa_user_sgpr_queue_ptr 0
		.amdhsa_user_sgpr_kernarg_segment_ptr 1
		.amdhsa_user_sgpr_dispatch_id 0
		.amdhsa_user_sgpr_private_segment_size 0
		.amdhsa_wavefront_size32 1
		.amdhsa_uses_dynamic_stack 0
		.amdhsa_enable_private_segment 0
		.amdhsa_system_sgpr_workgroup_id_x 1
		.amdhsa_system_sgpr_workgroup_id_y 0
		.amdhsa_system_sgpr_workgroup_id_z 0
		.amdhsa_system_sgpr_workgroup_info 0
		.amdhsa_system_vgpr_workitem_id 0
		.amdhsa_next_free_vgpr 1
		.amdhsa_next_free_sgpr 1
		.amdhsa_reserve_vcc 0
		.amdhsa_float_round_mode_32 0
		.amdhsa_float_round_mode_16_64 0
		.amdhsa_float_denorm_mode_32 3
		.amdhsa_float_denorm_mode_16_64 3
		.amdhsa_fp16_overflow 0
		.amdhsa_workgroup_processor_mode 1
		.amdhsa_memory_ordered 1
		.amdhsa_forward_progress 1
		.amdhsa_inst_pref_size 0
		.amdhsa_round_robin_scheduling 0
		.amdhsa_exception_fp_ieee_invalid_op 0
		.amdhsa_exception_fp_denorm_src 0
		.amdhsa_exception_fp_ieee_div_zero 0
		.amdhsa_exception_fp_ieee_overflow 0
		.amdhsa_exception_fp_ieee_underflow 0
		.amdhsa_exception_fp_ieee_inexact 0
		.amdhsa_exception_int_div_zero 0
	.end_amdhsa_kernel
	.section	.text._ZN7rocprim17ROCPRIM_400000_NS6detail17trampoline_kernelINS0_14default_configENS1_36segmented_radix_sort_config_selectorIalEEZNS1_25segmented_radix_sort_implIS3_Lb1EPKaPaPKlPlN2at6native12_GLOBAL__N_18offset_tEEE10hipError_tPvRmT1_PNSt15iterator_traitsISK_E10value_typeET2_T3_PNSL_ISQ_E10value_typeET4_jRbjT5_SW_jjP12ihipStream_tbEUlT_E0_NS1_11comp_targetILNS1_3genE10ELNS1_11target_archE1200ELNS1_3gpuE4ELNS1_3repE0EEENS1_60segmented_radix_sort_warp_sort_medium_config_static_selectorELNS0_4arch9wavefront6targetE0EEEvSK_,"axG",@progbits,_ZN7rocprim17ROCPRIM_400000_NS6detail17trampoline_kernelINS0_14default_configENS1_36segmented_radix_sort_config_selectorIalEEZNS1_25segmented_radix_sort_implIS3_Lb1EPKaPaPKlPlN2at6native12_GLOBAL__N_18offset_tEEE10hipError_tPvRmT1_PNSt15iterator_traitsISK_E10value_typeET2_T3_PNSL_ISQ_E10value_typeET4_jRbjT5_SW_jjP12ihipStream_tbEUlT_E0_NS1_11comp_targetILNS1_3genE10ELNS1_11target_archE1200ELNS1_3gpuE4ELNS1_3repE0EEENS1_60segmented_radix_sort_warp_sort_medium_config_static_selectorELNS0_4arch9wavefront6targetE0EEEvSK_,comdat
.Lfunc_end307:
	.size	_ZN7rocprim17ROCPRIM_400000_NS6detail17trampoline_kernelINS0_14default_configENS1_36segmented_radix_sort_config_selectorIalEEZNS1_25segmented_radix_sort_implIS3_Lb1EPKaPaPKlPlN2at6native12_GLOBAL__N_18offset_tEEE10hipError_tPvRmT1_PNSt15iterator_traitsISK_E10value_typeET2_T3_PNSL_ISQ_E10value_typeET4_jRbjT5_SW_jjP12ihipStream_tbEUlT_E0_NS1_11comp_targetILNS1_3genE10ELNS1_11target_archE1200ELNS1_3gpuE4ELNS1_3repE0EEENS1_60segmented_radix_sort_warp_sort_medium_config_static_selectorELNS0_4arch9wavefront6targetE0EEEvSK_, .Lfunc_end307-_ZN7rocprim17ROCPRIM_400000_NS6detail17trampoline_kernelINS0_14default_configENS1_36segmented_radix_sort_config_selectorIalEEZNS1_25segmented_radix_sort_implIS3_Lb1EPKaPaPKlPlN2at6native12_GLOBAL__N_18offset_tEEE10hipError_tPvRmT1_PNSt15iterator_traitsISK_E10value_typeET2_T3_PNSL_ISQ_E10value_typeET4_jRbjT5_SW_jjP12ihipStream_tbEUlT_E0_NS1_11comp_targetILNS1_3genE10ELNS1_11target_archE1200ELNS1_3gpuE4ELNS1_3repE0EEENS1_60segmented_radix_sort_warp_sort_medium_config_static_selectorELNS0_4arch9wavefront6targetE0EEEvSK_
                                        ; -- End function
	.set _ZN7rocprim17ROCPRIM_400000_NS6detail17trampoline_kernelINS0_14default_configENS1_36segmented_radix_sort_config_selectorIalEEZNS1_25segmented_radix_sort_implIS3_Lb1EPKaPaPKlPlN2at6native12_GLOBAL__N_18offset_tEEE10hipError_tPvRmT1_PNSt15iterator_traitsISK_E10value_typeET2_T3_PNSL_ISQ_E10value_typeET4_jRbjT5_SW_jjP12ihipStream_tbEUlT_E0_NS1_11comp_targetILNS1_3genE10ELNS1_11target_archE1200ELNS1_3gpuE4ELNS1_3repE0EEENS1_60segmented_radix_sort_warp_sort_medium_config_static_selectorELNS0_4arch9wavefront6targetE0EEEvSK_.num_vgpr, 0
	.set _ZN7rocprim17ROCPRIM_400000_NS6detail17trampoline_kernelINS0_14default_configENS1_36segmented_radix_sort_config_selectorIalEEZNS1_25segmented_radix_sort_implIS3_Lb1EPKaPaPKlPlN2at6native12_GLOBAL__N_18offset_tEEE10hipError_tPvRmT1_PNSt15iterator_traitsISK_E10value_typeET2_T3_PNSL_ISQ_E10value_typeET4_jRbjT5_SW_jjP12ihipStream_tbEUlT_E0_NS1_11comp_targetILNS1_3genE10ELNS1_11target_archE1200ELNS1_3gpuE4ELNS1_3repE0EEENS1_60segmented_radix_sort_warp_sort_medium_config_static_selectorELNS0_4arch9wavefront6targetE0EEEvSK_.num_agpr, 0
	.set _ZN7rocprim17ROCPRIM_400000_NS6detail17trampoline_kernelINS0_14default_configENS1_36segmented_radix_sort_config_selectorIalEEZNS1_25segmented_radix_sort_implIS3_Lb1EPKaPaPKlPlN2at6native12_GLOBAL__N_18offset_tEEE10hipError_tPvRmT1_PNSt15iterator_traitsISK_E10value_typeET2_T3_PNSL_ISQ_E10value_typeET4_jRbjT5_SW_jjP12ihipStream_tbEUlT_E0_NS1_11comp_targetILNS1_3genE10ELNS1_11target_archE1200ELNS1_3gpuE4ELNS1_3repE0EEENS1_60segmented_radix_sort_warp_sort_medium_config_static_selectorELNS0_4arch9wavefront6targetE0EEEvSK_.numbered_sgpr, 0
	.set _ZN7rocprim17ROCPRIM_400000_NS6detail17trampoline_kernelINS0_14default_configENS1_36segmented_radix_sort_config_selectorIalEEZNS1_25segmented_radix_sort_implIS3_Lb1EPKaPaPKlPlN2at6native12_GLOBAL__N_18offset_tEEE10hipError_tPvRmT1_PNSt15iterator_traitsISK_E10value_typeET2_T3_PNSL_ISQ_E10value_typeET4_jRbjT5_SW_jjP12ihipStream_tbEUlT_E0_NS1_11comp_targetILNS1_3genE10ELNS1_11target_archE1200ELNS1_3gpuE4ELNS1_3repE0EEENS1_60segmented_radix_sort_warp_sort_medium_config_static_selectorELNS0_4arch9wavefront6targetE0EEEvSK_.num_named_barrier, 0
	.set _ZN7rocprim17ROCPRIM_400000_NS6detail17trampoline_kernelINS0_14default_configENS1_36segmented_radix_sort_config_selectorIalEEZNS1_25segmented_radix_sort_implIS3_Lb1EPKaPaPKlPlN2at6native12_GLOBAL__N_18offset_tEEE10hipError_tPvRmT1_PNSt15iterator_traitsISK_E10value_typeET2_T3_PNSL_ISQ_E10value_typeET4_jRbjT5_SW_jjP12ihipStream_tbEUlT_E0_NS1_11comp_targetILNS1_3genE10ELNS1_11target_archE1200ELNS1_3gpuE4ELNS1_3repE0EEENS1_60segmented_radix_sort_warp_sort_medium_config_static_selectorELNS0_4arch9wavefront6targetE0EEEvSK_.private_seg_size, 0
	.set _ZN7rocprim17ROCPRIM_400000_NS6detail17trampoline_kernelINS0_14default_configENS1_36segmented_radix_sort_config_selectorIalEEZNS1_25segmented_radix_sort_implIS3_Lb1EPKaPaPKlPlN2at6native12_GLOBAL__N_18offset_tEEE10hipError_tPvRmT1_PNSt15iterator_traitsISK_E10value_typeET2_T3_PNSL_ISQ_E10value_typeET4_jRbjT5_SW_jjP12ihipStream_tbEUlT_E0_NS1_11comp_targetILNS1_3genE10ELNS1_11target_archE1200ELNS1_3gpuE4ELNS1_3repE0EEENS1_60segmented_radix_sort_warp_sort_medium_config_static_selectorELNS0_4arch9wavefront6targetE0EEEvSK_.uses_vcc, 0
	.set _ZN7rocprim17ROCPRIM_400000_NS6detail17trampoline_kernelINS0_14default_configENS1_36segmented_radix_sort_config_selectorIalEEZNS1_25segmented_radix_sort_implIS3_Lb1EPKaPaPKlPlN2at6native12_GLOBAL__N_18offset_tEEE10hipError_tPvRmT1_PNSt15iterator_traitsISK_E10value_typeET2_T3_PNSL_ISQ_E10value_typeET4_jRbjT5_SW_jjP12ihipStream_tbEUlT_E0_NS1_11comp_targetILNS1_3genE10ELNS1_11target_archE1200ELNS1_3gpuE4ELNS1_3repE0EEENS1_60segmented_radix_sort_warp_sort_medium_config_static_selectorELNS0_4arch9wavefront6targetE0EEEvSK_.uses_flat_scratch, 0
	.set _ZN7rocprim17ROCPRIM_400000_NS6detail17trampoline_kernelINS0_14default_configENS1_36segmented_radix_sort_config_selectorIalEEZNS1_25segmented_radix_sort_implIS3_Lb1EPKaPaPKlPlN2at6native12_GLOBAL__N_18offset_tEEE10hipError_tPvRmT1_PNSt15iterator_traitsISK_E10value_typeET2_T3_PNSL_ISQ_E10value_typeET4_jRbjT5_SW_jjP12ihipStream_tbEUlT_E0_NS1_11comp_targetILNS1_3genE10ELNS1_11target_archE1200ELNS1_3gpuE4ELNS1_3repE0EEENS1_60segmented_radix_sort_warp_sort_medium_config_static_selectorELNS0_4arch9wavefront6targetE0EEEvSK_.has_dyn_sized_stack, 0
	.set _ZN7rocprim17ROCPRIM_400000_NS6detail17trampoline_kernelINS0_14default_configENS1_36segmented_radix_sort_config_selectorIalEEZNS1_25segmented_radix_sort_implIS3_Lb1EPKaPaPKlPlN2at6native12_GLOBAL__N_18offset_tEEE10hipError_tPvRmT1_PNSt15iterator_traitsISK_E10value_typeET2_T3_PNSL_ISQ_E10value_typeET4_jRbjT5_SW_jjP12ihipStream_tbEUlT_E0_NS1_11comp_targetILNS1_3genE10ELNS1_11target_archE1200ELNS1_3gpuE4ELNS1_3repE0EEENS1_60segmented_radix_sort_warp_sort_medium_config_static_selectorELNS0_4arch9wavefront6targetE0EEEvSK_.has_recursion, 0
	.set _ZN7rocprim17ROCPRIM_400000_NS6detail17trampoline_kernelINS0_14default_configENS1_36segmented_radix_sort_config_selectorIalEEZNS1_25segmented_radix_sort_implIS3_Lb1EPKaPaPKlPlN2at6native12_GLOBAL__N_18offset_tEEE10hipError_tPvRmT1_PNSt15iterator_traitsISK_E10value_typeET2_T3_PNSL_ISQ_E10value_typeET4_jRbjT5_SW_jjP12ihipStream_tbEUlT_E0_NS1_11comp_targetILNS1_3genE10ELNS1_11target_archE1200ELNS1_3gpuE4ELNS1_3repE0EEENS1_60segmented_radix_sort_warp_sort_medium_config_static_selectorELNS0_4arch9wavefront6targetE0EEEvSK_.has_indirect_call, 0
	.section	.AMDGPU.csdata,"",@progbits
; Kernel info:
; codeLenInByte = 0
; TotalNumSgprs: 0
; NumVgprs: 0
; ScratchSize: 0
; MemoryBound: 0
; FloatMode: 240
; IeeeMode: 1
; LDSByteSize: 0 bytes/workgroup (compile time only)
; SGPRBlocks: 0
; VGPRBlocks: 0
; NumSGPRsForWavesPerEU: 1
; NumVGPRsForWavesPerEU: 1
; Occupancy: 16
; WaveLimiterHint : 0
; COMPUTE_PGM_RSRC2:SCRATCH_EN: 0
; COMPUTE_PGM_RSRC2:USER_SGPR: 2
; COMPUTE_PGM_RSRC2:TRAP_HANDLER: 0
; COMPUTE_PGM_RSRC2:TGID_X_EN: 1
; COMPUTE_PGM_RSRC2:TGID_Y_EN: 0
; COMPUTE_PGM_RSRC2:TGID_Z_EN: 0
; COMPUTE_PGM_RSRC2:TIDIG_COMP_CNT: 0
	.section	.text._ZN7rocprim17ROCPRIM_400000_NS6detail17trampoline_kernelINS0_14default_configENS1_36segmented_radix_sort_config_selectorIalEEZNS1_25segmented_radix_sort_implIS3_Lb1EPKaPaPKlPlN2at6native12_GLOBAL__N_18offset_tEEE10hipError_tPvRmT1_PNSt15iterator_traitsISK_E10value_typeET2_T3_PNSL_ISQ_E10value_typeET4_jRbjT5_SW_jjP12ihipStream_tbEUlT_E0_NS1_11comp_targetILNS1_3genE9ELNS1_11target_archE1100ELNS1_3gpuE3ELNS1_3repE0EEENS1_60segmented_radix_sort_warp_sort_medium_config_static_selectorELNS0_4arch9wavefront6targetE0EEEvSK_,"axG",@progbits,_ZN7rocprim17ROCPRIM_400000_NS6detail17trampoline_kernelINS0_14default_configENS1_36segmented_radix_sort_config_selectorIalEEZNS1_25segmented_radix_sort_implIS3_Lb1EPKaPaPKlPlN2at6native12_GLOBAL__N_18offset_tEEE10hipError_tPvRmT1_PNSt15iterator_traitsISK_E10value_typeET2_T3_PNSL_ISQ_E10value_typeET4_jRbjT5_SW_jjP12ihipStream_tbEUlT_E0_NS1_11comp_targetILNS1_3genE9ELNS1_11target_archE1100ELNS1_3gpuE3ELNS1_3repE0EEENS1_60segmented_radix_sort_warp_sort_medium_config_static_selectorELNS0_4arch9wavefront6targetE0EEEvSK_,comdat
	.globl	_ZN7rocprim17ROCPRIM_400000_NS6detail17trampoline_kernelINS0_14default_configENS1_36segmented_radix_sort_config_selectorIalEEZNS1_25segmented_radix_sort_implIS3_Lb1EPKaPaPKlPlN2at6native12_GLOBAL__N_18offset_tEEE10hipError_tPvRmT1_PNSt15iterator_traitsISK_E10value_typeET2_T3_PNSL_ISQ_E10value_typeET4_jRbjT5_SW_jjP12ihipStream_tbEUlT_E0_NS1_11comp_targetILNS1_3genE9ELNS1_11target_archE1100ELNS1_3gpuE3ELNS1_3repE0EEENS1_60segmented_radix_sort_warp_sort_medium_config_static_selectorELNS0_4arch9wavefront6targetE0EEEvSK_ ; -- Begin function _ZN7rocprim17ROCPRIM_400000_NS6detail17trampoline_kernelINS0_14default_configENS1_36segmented_radix_sort_config_selectorIalEEZNS1_25segmented_radix_sort_implIS3_Lb1EPKaPaPKlPlN2at6native12_GLOBAL__N_18offset_tEEE10hipError_tPvRmT1_PNSt15iterator_traitsISK_E10value_typeET2_T3_PNSL_ISQ_E10value_typeET4_jRbjT5_SW_jjP12ihipStream_tbEUlT_E0_NS1_11comp_targetILNS1_3genE9ELNS1_11target_archE1100ELNS1_3gpuE3ELNS1_3repE0EEENS1_60segmented_radix_sort_warp_sort_medium_config_static_selectorELNS0_4arch9wavefront6targetE0EEEvSK_
	.p2align	8
	.type	_ZN7rocprim17ROCPRIM_400000_NS6detail17trampoline_kernelINS0_14default_configENS1_36segmented_radix_sort_config_selectorIalEEZNS1_25segmented_radix_sort_implIS3_Lb1EPKaPaPKlPlN2at6native12_GLOBAL__N_18offset_tEEE10hipError_tPvRmT1_PNSt15iterator_traitsISK_E10value_typeET2_T3_PNSL_ISQ_E10value_typeET4_jRbjT5_SW_jjP12ihipStream_tbEUlT_E0_NS1_11comp_targetILNS1_3genE9ELNS1_11target_archE1100ELNS1_3gpuE3ELNS1_3repE0EEENS1_60segmented_radix_sort_warp_sort_medium_config_static_selectorELNS0_4arch9wavefront6targetE0EEEvSK_,@function
_ZN7rocprim17ROCPRIM_400000_NS6detail17trampoline_kernelINS0_14default_configENS1_36segmented_radix_sort_config_selectorIalEEZNS1_25segmented_radix_sort_implIS3_Lb1EPKaPaPKlPlN2at6native12_GLOBAL__N_18offset_tEEE10hipError_tPvRmT1_PNSt15iterator_traitsISK_E10value_typeET2_T3_PNSL_ISQ_E10value_typeET4_jRbjT5_SW_jjP12ihipStream_tbEUlT_E0_NS1_11comp_targetILNS1_3genE9ELNS1_11target_archE1100ELNS1_3gpuE3ELNS1_3repE0EEENS1_60segmented_radix_sort_warp_sort_medium_config_static_selectorELNS0_4arch9wavefront6targetE0EEEvSK_: ; @_ZN7rocprim17ROCPRIM_400000_NS6detail17trampoline_kernelINS0_14default_configENS1_36segmented_radix_sort_config_selectorIalEEZNS1_25segmented_radix_sort_implIS3_Lb1EPKaPaPKlPlN2at6native12_GLOBAL__N_18offset_tEEE10hipError_tPvRmT1_PNSt15iterator_traitsISK_E10value_typeET2_T3_PNSL_ISQ_E10value_typeET4_jRbjT5_SW_jjP12ihipStream_tbEUlT_E0_NS1_11comp_targetILNS1_3genE9ELNS1_11target_archE1100ELNS1_3gpuE3ELNS1_3repE0EEENS1_60segmented_radix_sort_warp_sort_medium_config_static_selectorELNS0_4arch9wavefront6targetE0EEEvSK_
; %bb.0:
	.section	.rodata,"a",@progbits
	.p2align	6, 0x0
	.amdhsa_kernel _ZN7rocprim17ROCPRIM_400000_NS6detail17trampoline_kernelINS0_14default_configENS1_36segmented_radix_sort_config_selectorIalEEZNS1_25segmented_radix_sort_implIS3_Lb1EPKaPaPKlPlN2at6native12_GLOBAL__N_18offset_tEEE10hipError_tPvRmT1_PNSt15iterator_traitsISK_E10value_typeET2_T3_PNSL_ISQ_E10value_typeET4_jRbjT5_SW_jjP12ihipStream_tbEUlT_E0_NS1_11comp_targetILNS1_3genE9ELNS1_11target_archE1100ELNS1_3gpuE3ELNS1_3repE0EEENS1_60segmented_radix_sort_warp_sort_medium_config_static_selectorELNS0_4arch9wavefront6targetE0EEEvSK_
		.amdhsa_group_segment_fixed_size 0
		.amdhsa_private_segment_fixed_size 0
		.amdhsa_kernarg_size 88
		.amdhsa_user_sgpr_count 2
		.amdhsa_user_sgpr_dispatch_ptr 0
		.amdhsa_user_sgpr_queue_ptr 0
		.amdhsa_user_sgpr_kernarg_segment_ptr 1
		.amdhsa_user_sgpr_dispatch_id 0
		.amdhsa_user_sgpr_private_segment_size 0
		.amdhsa_wavefront_size32 1
		.amdhsa_uses_dynamic_stack 0
		.amdhsa_enable_private_segment 0
		.amdhsa_system_sgpr_workgroup_id_x 1
		.amdhsa_system_sgpr_workgroup_id_y 0
		.amdhsa_system_sgpr_workgroup_id_z 0
		.amdhsa_system_sgpr_workgroup_info 0
		.amdhsa_system_vgpr_workitem_id 0
		.amdhsa_next_free_vgpr 1
		.amdhsa_next_free_sgpr 1
		.amdhsa_reserve_vcc 0
		.amdhsa_float_round_mode_32 0
		.amdhsa_float_round_mode_16_64 0
		.amdhsa_float_denorm_mode_32 3
		.amdhsa_float_denorm_mode_16_64 3
		.amdhsa_fp16_overflow 0
		.amdhsa_workgroup_processor_mode 1
		.amdhsa_memory_ordered 1
		.amdhsa_forward_progress 1
		.amdhsa_inst_pref_size 0
		.amdhsa_round_robin_scheduling 0
		.amdhsa_exception_fp_ieee_invalid_op 0
		.amdhsa_exception_fp_denorm_src 0
		.amdhsa_exception_fp_ieee_div_zero 0
		.amdhsa_exception_fp_ieee_overflow 0
		.amdhsa_exception_fp_ieee_underflow 0
		.amdhsa_exception_fp_ieee_inexact 0
		.amdhsa_exception_int_div_zero 0
	.end_amdhsa_kernel
	.section	.text._ZN7rocprim17ROCPRIM_400000_NS6detail17trampoline_kernelINS0_14default_configENS1_36segmented_radix_sort_config_selectorIalEEZNS1_25segmented_radix_sort_implIS3_Lb1EPKaPaPKlPlN2at6native12_GLOBAL__N_18offset_tEEE10hipError_tPvRmT1_PNSt15iterator_traitsISK_E10value_typeET2_T3_PNSL_ISQ_E10value_typeET4_jRbjT5_SW_jjP12ihipStream_tbEUlT_E0_NS1_11comp_targetILNS1_3genE9ELNS1_11target_archE1100ELNS1_3gpuE3ELNS1_3repE0EEENS1_60segmented_radix_sort_warp_sort_medium_config_static_selectorELNS0_4arch9wavefront6targetE0EEEvSK_,"axG",@progbits,_ZN7rocprim17ROCPRIM_400000_NS6detail17trampoline_kernelINS0_14default_configENS1_36segmented_radix_sort_config_selectorIalEEZNS1_25segmented_radix_sort_implIS3_Lb1EPKaPaPKlPlN2at6native12_GLOBAL__N_18offset_tEEE10hipError_tPvRmT1_PNSt15iterator_traitsISK_E10value_typeET2_T3_PNSL_ISQ_E10value_typeET4_jRbjT5_SW_jjP12ihipStream_tbEUlT_E0_NS1_11comp_targetILNS1_3genE9ELNS1_11target_archE1100ELNS1_3gpuE3ELNS1_3repE0EEENS1_60segmented_radix_sort_warp_sort_medium_config_static_selectorELNS0_4arch9wavefront6targetE0EEEvSK_,comdat
.Lfunc_end308:
	.size	_ZN7rocprim17ROCPRIM_400000_NS6detail17trampoline_kernelINS0_14default_configENS1_36segmented_radix_sort_config_selectorIalEEZNS1_25segmented_radix_sort_implIS3_Lb1EPKaPaPKlPlN2at6native12_GLOBAL__N_18offset_tEEE10hipError_tPvRmT1_PNSt15iterator_traitsISK_E10value_typeET2_T3_PNSL_ISQ_E10value_typeET4_jRbjT5_SW_jjP12ihipStream_tbEUlT_E0_NS1_11comp_targetILNS1_3genE9ELNS1_11target_archE1100ELNS1_3gpuE3ELNS1_3repE0EEENS1_60segmented_radix_sort_warp_sort_medium_config_static_selectorELNS0_4arch9wavefront6targetE0EEEvSK_, .Lfunc_end308-_ZN7rocprim17ROCPRIM_400000_NS6detail17trampoline_kernelINS0_14default_configENS1_36segmented_radix_sort_config_selectorIalEEZNS1_25segmented_radix_sort_implIS3_Lb1EPKaPaPKlPlN2at6native12_GLOBAL__N_18offset_tEEE10hipError_tPvRmT1_PNSt15iterator_traitsISK_E10value_typeET2_T3_PNSL_ISQ_E10value_typeET4_jRbjT5_SW_jjP12ihipStream_tbEUlT_E0_NS1_11comp_targetILNS1_3genE9ELNS1_11target_archE1100ELNS1_3gpuE3ELNS1_3repE0EEENS1_60segmented_radix_sort_warp_sort_medium_config_static_selectorELNS0_4arch9wavefront6targetE0EEEvSK_
                                        ; -- End function
	.set _ZN7rocprim17ROCPRIM_400000_NS6detail17trampoline_kernelINS0_14default_configENS1_36segmented_radix_sort_config_selectorIalEEZNS1_25segmented_radix_sort_implIS3_Lb1EPKaPaPKlPlN2at6native12_GLOBAL__N_18offset_tEEE10hipError_tPvRmT1_PNSt15iterator_traitsISK_E10value_typeET2_T3_PNSL_ISQ_E10value_typeET4_jRbjT5_SW_jjP12ihipStream_tbEUlT_E0_NS1_11comp_targetILNS1_3genE9ELNS1_11target_archE1100ELNS1_3gpuE3ELNS1_3repE0EEENS1_60segmented_radix_sort_warp_sort_medium_config_static_selectorELNS0_4arch9wavefront6targetE0EEEvSK_.num_vgpr, 0
	.set _ZN7rocprim17ROCPRIM_400000_NS6detail17trampoline_kernelINS0_14default_configENS1_36segmented_radix_sort_config_selectorIalEEZNS1_25segmented_radix_sort_implIS3_Lb1EPKaPaPKlPlN2at6native12_GLOBAL__N_18offset_tEEE10hipError_tPvRmT1_PNSt15iterator_traitsISK_E10value_typeET2_T3_PNSL_ISQ_E10value_typeET4_jRbjT5_SW_jjP12ihipStream_tbEUlT_E0_NS1_11comp_targetILNS1_3genE9ELNS1_11target_archE1100ELNS1_3gpuE3ELNS1_3repE0EEENS1_60segmented_radix_sort_warp_sort_medium_config_static_selectorELNS0_4arch9wavefront6targetE0EEEvSK_.num_agpr, 0
	.set _ZN7rocprim17ROCPRIM_400000_NS6detail17trampoline_kernelINS0_14default_configENS1_36segmented_radix_sort_config_selectorIalEEZNS1_25segmented_radix_sort_implIS3_Lb1EPKaPaPKlPlN2at6native12_GLOBAL__N_18offset_tEEE10hipError_tPvRmT1_PNSt15iterator_traitsISK_E10value_typeET2_T3_PNSL_ISQ_E10value_typeET4_jRbjT5_SW_jjP12ihipStream_tbEUlT_E0_NS1_11comp_targetILNS1_3genE9ELNS1_11target_archE1100ELNS1_3gpuE3ELNS1_3repE0EEENS1_60segmented_radix_sort_warp_sort_medium_config_static_selectorELNS0_4arch9wavefront6targetE0EEEvSK_.numbered_sgpr, 0
	.set _ZN7rocprim17ROCPRIM_400000_NS6detail17trampoline_kernelINS0_14default_configENS1_36segmented_radix_sort_config_selectorIalEEZNS1_25segmented_radix_sort_implIS3_Lb1EPKaPaPKlPlN2at6native12_GLOBAL__N_18offset_tEEE10hipError_tPvRmT1_PNSt15iterator_traitsISK_E10value_typeET2_T3_PNSL_ISQ_E10value_typeET4_jRbjT5_SW_jjP12ihipStream_tbEUlT_E0_NS1_11comp_targetILNS1_3genE9ELNS1_11target_archE1100ELNS1_3gpuE3ELNS1_3repE0EEENS1_60segmented_radix_sort_warp_sort_medium_config_static_selectorELNS0_4arch9wavefront6targetE0EEEvSK_.num_named_barrier, 0
	.set _ZN7rocprim17ROCPRIM_400000_NS6detail17trampoline_kernelINS0_14default_configENS1_36segmented_radix_sort_config_selectorIalEEZNS1_25segmented_radix_sort_implIS3_Lb1EPKaPaPKlPlN2at6native12_GLOBAL__N_18offset_tEEE10hipError_tPvRmT1_PNSt15iterator_traitsISK_E10value_typeET2_T3_PNSL_ISQ_E10value_typeET4_jRbjT5_SW_jjP12ihipStream_tbEUlT_E0_NS1_11comp_targetILNS1_3genE9ELNS1_11target_archE1100ELNS1_3gpuE3ELNS1_3repE0EEENS1_60segmented_radix_sort_warp_sort_medium_config_static_selectorELNS0_4arch9wavefront6targetE0EEEvSK_.private_seg_size, 0
	.set _ZN7rocprim17ROCPRIM_400000_NS6detail17trampoline_kernelINS0_14default_configENS1_36segmented_radix_sort_config_selectorIalEEZNS1_25segmented_radix_sort_implIS3_Lb1EPKaPaPKlPlN2at6native12_GLOBAL__N_18offset_tEEE10hipError_tPvRmT1_PNSt15iterator_traitsISK_E10value_typeET2_T3_PNSL_ISQ_E10value_typeET4_jRbjT5_SW_jjP12ihipStream_tbEUlT_E0_NS1_11comp_targetILNS1_3genE9ELNS1_11target_archE1100ELNS1_3gpuE3ELNS1_3repE0EEENS1_60segmented_radix_sort_warp_sort_medium_config_static_selectorELNS0_4arch9wavefront6targetE0EEEvSK_.uses_vcc, 0
	.set _ZN7rocprim17ROCPRIM_400000_NS6detail17trampoline_kernelINS0_14default_configENS1_36segmented_radix_sort_config_selectorIalEEZNS1_25segmented_radix_sort_implIS3_Lb1EPKaPaPKlPlN2at6native12_GLOBAL__N_18offset_tEEE10hipError_tPvRmT1_PNSt15iterator_traitsISK_E10value_typeET2_T3_PNSL_ISQ_E10value_typeET4_jRbjT5_SW_jjP12ihipStream_tbEUlT_E0_NS1_11comp_targetILNS1_3genE9ELNS1_11target_archE1100ELNS1_3gpuE3ELNS1_3repE0EEENS1_60segmented_radix_sort_warp_sort_medium_config_static_selectorELNS0_4arch9wavefront6targetE0EEEvSK_.uses_flat_scratch, 0
	.set _ZN7rocprim17ROCPRIM_400000_NS6detail17trampoline_kernelINS0_14default_configENS1_36segmented_radix_sort_config_selectorIalEEZNS1_25segmented_radix_sort_implIS3_Lb1EPKaPaPKlPlN2at6native12_GLOBAL__N_18offset_tEEE10hipError_tPvRmT1_PNSt15iterator_traitsISK_E10value_typeET2_T3_PNSL_ISQ_E10value_typeET4_jRbjT5_SW_jjP12ihipStream_tbEUlT_E0_NS1_11comp_targetILNS1_3genE9ELNS1_11target_archE1100ELNS1_3gpuE3ELNS1_3repE0EEENS1_60segmented_radix_sort_warp_sort_medium_config_static_selectorELNS0_4arch9wavefront6targetE0EEEvSK_.has_dyn_sized_stack, 0
	.set _ZN7rocprim17ROCPRIM_400000_NS6detail17trampoline_kernelINS0_14default_configENS1_36segmented_radix_sort_config_selectorIalEEZNS1_25segmented_radix_sort_implIS3_Lb1EPKaPaPKlPlN2at6native12_GLOBAL__N_18offset_tEEE10hipError_tPvRmT1_PNSt15iterator_traitsISK_E10value_typeET2_T3_PNSL_ISQ_E10value_typeET4_jRbjT5_SW_jjP12ihipStream_tbEUlT_E0_NS1_11comp_targetILNS1_3genE9ELNS1_11target_archE1100ELNS1_3gpuE3ELNS1_3repE0EEENS1_60segmented_radix_sort_warp_sort_medium_config_static_selectorELNS0_4arch9wavefront6targetE0EEEvSK_.has_recursion, 0
	.set _ZN7rocprim17ROCPRIM_400000_NS6detail17trampoline_kernelINS0_14default_configENS1_36segmented_radix_sort_config_selectorIalEEZNS1_25segmented_radix_sort_implIS3_Lb1EPKaPaPKlPlN2at6native12_GLOBAL__N_18offset_tEEE10hipError_tPvRmT1_PNSt15iterator_traitsISK_E10value_typeET2_T3_PNSL_ISQ_E10value_typeET4_jRbjT5_SW_jjP12ihipStream_tbEUlT_E0_NS1_11comp_targetILNS1_3genE9ELNS1_11target_archE1100ELNS1_3gpuE3ELNS1_3repE0EEENS1_60segmented_radix_sort_warp_sort_medium_config_static_selectorELNS0_4arch9wavefront6targetE0EEEvSK_.has_indirect_call, 0
	.section	.AMDGPU.csdata,"",@progbits
; Kernel info:
; codeLenInByte = 0
; TotalNumSgprs: 0
; NumVgprs: 0
; ScratchSize: 0
; MemoryBound: 0
; FloatMode: 240
; IeeeMode: 1
; LDSByteSize: 0 bytes/workgroup (compile time only)
; SGPRBlocks: 0
; VGPRBlocks: 0
; NumSGPRsForWavesPerEU: 1
; NumVGPRsForWavesPerEU: 1
; Occupancy: 16
; WaveLimiterHint : 0
; COMPUTE_PGM_RSRC2:SCRATCH_EN: 0
; COMPUTE_PGM_RSRC2:USER_SGPR: 2
; COMPUTE_PGM_RSRC2:TRAP_HANDLER: 0
; COMPUTE_PGM_RSRC2:TGID_X_EN: 1
; COMPUTE_PGM_RSRC2:TGID_Y_EN: 0
; COMPUTE_PGM_RSRC2:TGID_Z_EN: 0
; COMPUTE_PGM_RSRC2:TIDIG_COMP_CNT: 0
	.section	.text._ZN7rocprim17ROCPRIM_400000_NS6detail17trampoline_kernelINS0_14default_configENS1_36segmented_radix_sort_config_selectorIalEEZNS1_25segmented_radix_sort_implIS3_Lb1EPKaPaPKlPlN2at6native12_GLOBAL__N_18offset_tEEE10hipError_tPvRmT1_PNSt15iterator_traitsISK_E10value_typeET2_T3_PNSL_ISQ_E10value_typeET4_jRbjT5_SW_jjP12ihipStream_tbEUlT_E0_NS1_11comp_targetILNS1_3genE8ELNS1_11target_archE1030ELNS1_3gpuE2ELNS1_3repE0EEENS1_60segmented_radix_sort_warp_sort_medium_config_static_selectorELNS0_4arch9wavefront6targetE0EEEvSK_,"axG",@progbits,_ZN7rocprim17ROCPRIM_400000_NS6detail17trampoline_kernelINS0_14default_configENS1_36segmented_radix_sort_config_selectorIalEEZNS1_25segmented_radix_sort_implIS3_Lb1EPKaPaPKlPlN2at6native12_GLOBAL__N_18offset_tEEE10hipError_tPvRmT1_PNSt15iterator_traitsISK_E10value_typeET2_T3_PNSL_ISQ_E10value_typeET4_jRbjT5_SW_jjP12ihipStream_tbEUlT_E0_NS1_11comp_targetILNS1_3genE8ELNS1_11target_archE1030ELNS1_3gpuE2ELNS1_3repE0EEENS1_60segmented_radix_sort_warp_sort_medium_config_static_selectorELNS0_4arch9wavefront6targetE0EEEvSK_,comdat
	.globl	_ZN7rocprim17ROCPRIM_400000_NS6detail17trampoline_kernelINS0_14default_configENS1_36segmented_radix_sort_config_selectorIalEEZNS1_25segmented_radix_sort_implIS3_Lb1EPKaPaPKlPlN2at6native12_GLOBAL__N_18offset_tEEE10hipError_tPvRmT1_PNSt15iterator_traitsISK_E10value_typeET2_T3_PNSL_ISQ_E10value_typeET4_jRbjT5_SW_jjP12ihipStream_tbEUlT_E0_NS1_11comp_targetILNS1_3genE8ELNS1_11target_archE1030ELNS1_3gpuE2ELNS1_3repE0EEENS1_60segmented_radix_sort_warp_sort_medium_config_static_selectorELNS0_4arch9wavefront6targetE0EEEvSK_ ; -- Begin function _ZN7rocprim17ROCPRIM_400000_NS6detail17trampoline_kernelINS0_14default_configENS1_36segmented_radix_sort_config_selectorIalEEZNS1_25segmented_radix_sort_implIS3_Lb1EPKaPaPKlPlN2at6native12_GLOBAL__N_18offset_tEEE10hipError_tPvRmT1_PNSt15iterator_traitsISK_E10value_typeET2_T3_PNSL_ISQ_E10value_typeET4_jRbjT5_SW_jjP12ihipStream_tbEUlT_E0_NS1_11comp_targetILNS1_3genE8ELNS1_11target_archE1030ELNS1_3gpuE2ELNS1_3repE0EEENS1_60segmented_radix_sort_warp_sort_medium_config_static_selectorELNS0_4arch9wavefront6targetE0EEEvSK_
	.p2align	8
	.type	_ZN7rocprim17ROCPRIM_400000_NS6detail17trampoline_kernelINS0_14default_configENS1_36segmented_radix_sort_config_selectorIalEEZNS1_25segmented_radix_sort_implIS3_Lb1EPKaPaPKlPlN2at6native12_GLOBAL__N_18offset_tEEE10hipError_tPvRmT1_PNSt15iterator_traitsISK_E10value_typeET2_T3_PNSL_ISQ_E10value_typeET4_jRbjT5_SW_jjP12ihipStream_tbEUlT_E0_NS1_11comp_targetILNS1_3genE8ELNS1_11target_archE1030ELNS1_3gpuE2ELNS1_3repE0EEENS1_60segmented_radix_sort_warp_sort_medium_config_static_selectorELNS0_4arch9wavefront6targetE0EEEvSK_,@function
_ZN7rocprim17ROCPRIM_400000_NS6detail17trampoline_kernelINS0_14default_configENS1_36segmented_radix_sort_config_selectorIalEEZNS1_25segmented_radix_sort_implIS3_Lb1EPKaPaPKlPlN2at6native12_GLOBAL__N_18offset_tEEE10hipError_tPvRmT1_PNSt15iterator_traitsISK_E10value_typeET2_T3_PNSL_ISQ_E10value_typeET4_jRbjT5_SW_jjP12ihipStream_tbEUlT_E0_NS1_11comp_targetILNS1_3genE8ELNS1_11target_archE1030ELNS1_3gpuE2ELNS1_3repE0EEENS1_60segmented_radix_sort_warp_sort_medium_config_static_selectorELNS0_4arch9wavefront6targetE0EEEvSK_: ; @_ZN7rocprim17ROCPRIM_400000_NS6detail17trampoline_kernelINS0_14default_configENS1_36segmented_radix_sort_config_selectorIalEEZNS1_25segmented_radix_sort_implIS3_Lb1EPKaPaPKlPlN2at6native12_GLOBAL__N_18offset_tEEE10hipError_tPvRmT1_PNSt15iterator_traitsISK_E10value_typeET2_T3_PNSL_ISQ_E10value_typeET4_jRbjT5_SW_jjP12ihipStream_tbEUlT_E0_NS1_11comp_targetILNS1_3genE8ELNS1_11target_archE1030ELNS1_3gpuE2ELNS1_3repE0EEENS1_60segmented_radix_sort_warp_sort_medium_config_static_selectorELNS0_4arch9wavefront6targetE0EEEvSK_
; %bb.0:
	.section	.rodata,"a",@progbits
	.p2align	6, 0x0
	.amdhsa_kernel _ZN7rocprim17ROCPRIM_400000_NS6detail17trampoline_kernelINS0_14default_configENS1_36segmented_radix_sort_config_selectorIalEEZNS1_25segmented_radix_sort_implIS3_Lb1EPKaPaPKlPlN2at6native12_GLOBAL__N_18offset_tEEE10hipError_tPvRmT1_PNSt15iterator_traitsISK_E10value_typeET2_T3_PNSL_ISQ_E10value_typeET4_jRbjT5_SW_jjP12ihipStream_tbEUlT_E0_NS1_11comp_targetILNS1_3genE8ELNS1_11target_archE1030ELNS1_3gpuE2ELNS1_3repE0EEENS1_60segmented_radix_sort_warp_sort_medium_config_static_selectorELNS0_4arch9wavefront6targetE0EEEvSK_
		.amdhsa_group_segment_fixed_size 0
		.amdhsa_private_segment_fixed_size 0
		.amdhsa_kernarg_size 88
		.amdhsa_user_sgpr_count 2
		.amdhsa_user_sgpr_dispatch_ptr 0
		.amdhsa_user_sgpr_queue_ptr 0
		.amdhsa_user_sgpr_kernarg_segment_ptr 1
		.amdhsa_user_sgpr_dispatch_id 0
		.amdhsa_user_sgpr_private_segment_size 0
		.amdhsa_wavefront_size32 1
		.amdhsa_uses_dynamic_stack 0
		.amdhsa_enable_private_segment 0
		.amdhsa_system_sgpr_workgroup_id_x 1
		.amdhsa_system_sgpr_workgroup_id_y 0
		.amdhsa_system_sgpr_workgroup_id_z 0
		.amdhsa_system_sgpr_workgroup_info 0
		.amdhsa_system_vgpr_workitem_id 0
		.amdhsa_next_free_vgpr 1
		.amdhsa_next_free_sgpr 1
		.amdhsa_reserve_vcc 0
		.amdhsa_float_round_mode_32 0
		.amdhsa_float_round_mode_16_64 0
		.amdhsa_float_denorm_mode_32 3
		.amdhsa_float_denorm_mode_16_64 3
		.amdhsa_fp16_overflow 0
		.amdhsa_workgroup_processor_mode 1
		.amdhsa_memory_ordered 1
		.amdhsa_forward_progress 1
		.amdhsa_inst_pref_size 0
		.amdhsa_round_robin_scheduling 0
		.amdhsa_exception_fp_ieee_invalid_op 0
		.amdhsa_exception_fp_denorm_src 0
		.amdhsa_exception_fp_ieee_div_zero 0
		.amdhsa_exception_fp_ieee_overflow 0
		.amdhsa_exception_fp_ieee_underflow 0
		.amdhsa_exception_fp_ieee_inexact 0
		.amdhsa_exception_int_div_zero 0
	.end_amdhsa_kernel
	.section	.text._ZN7rocprim17ROCPRIM_400000_NS6detail17trampoline_kernelINS0_14default_configENS1_36segmented_radix_sort_config_selectorIalEEZNS1_25segmented_radix_sort_implIS3_Lb1EPKaPaPKlPlN2at6native12_GLOBAL__N_18offset_tEEE10hipError_tPvRmT1_PNSt15iterator_traitsISK_E10value_typeET2_T3_PNSL_ISQ_E10value_typeET4_jRbjT5_SW_jjP12ihipStream_tbEUlT_E0_NS1_11comp_targetILNS1_3genE8ELNS1_11target_archE1030ELNS1_3gpuE2ELNS1_3repE0EEENS1_60segmented_radix_sort_warp_sort_medium_config_static_selectorELNS0_4arch9wavefront6targetE0EEEvSK_,"axG",@progbits,_ZN7rocprim17ROCPRIM_400000_NS6detail17trampoline_kernelINS0_14default_configENS1_36segmented_radix_sort_config_selectorIalEEZNS1_25segmented_radix_sort_implIS3_Lb1EPKaPaPKlPlN2at6native12_GLOBAL__N_18offset_tEEE10hipError_tPvRmT1_PNSt15iterator_traitsISK_E10value_typeET2_T3_PNSL_ISQ_E10value_typeET4_jRbjT5_SW_jjP12ihipStream_tbEUlT_E0_NS1_11comp_targetILNS1_3genE8ELNS1_11target_archE1030ELNS1_3gpuE2ELNS1_3repE0EEENS1_60segmented_radix_sort_warp_sort_medium_config_static_selectorELNS0_4arch9wavefront6targetE0EEEvSK_,comdat
.Lfunc_end309:
	.size	_ZN7rocprim17ROCPRIM_400000_NS6detail17trampoline_kernelINS0_14default_configENS1_36segmented_radix_sort_config_selectorIalEEZNS1_25segmented_radix_sort_implIS3_Lb1EPKaPaPKlPlN2at6native12_GLOBAL__N_18offset_tEEE10hipError_tPvRmT1_PNSt15iterator_traitsISK_E10value_typeET2_T3_PNSL_ISQ_E10value_typeET4_jRbjT5_SW_jjP12ihipStream_tbEUlT_E0_NS1_11comp_targetILNS1_3genE8ELNS1_11target_archE1030ELNS1_3gpuE2ELNS1_3repE0EEENS1_60segmented_radix_sort_warp_sort_medium_config_static_selectorELNS0_4arch9wavefront6targetE0EEEvSK_, .Lfunc_end309-_ZN7rocprim17ROCPRIM_400000_NS6detail17trampoline_kernelINS0_14default_configENS1_36segmented_radix_sort_config_selectorIalEEZNS1_25segmented_radix_sort_implIS3_Lb1EPKaPaPKlPlN2at6native12_GLOBAL__N_18offset_tEEE10hipError_tPvRmT1_PNSt15iterator_traitsISK_E10value_typeET2_T3_PNSL_ISQ_E10value_typeET4_jRbjT5_SW_jjP12ihipStream_tbEUlT_E0_NS1_11comp_targetILNS1_3genE8ELNS1_11target_archE1030ELNS1_3gpuE2ELNS1_3repE0EEENS1_60segmented_radix_sort_warp_sort_medium_config_static_selectorELNS0_4arch9wavefront6targetE0EEEvSK_
                                        ; -- End function
	.set _ZN7rocprim17ROCPRIM_400000_NS6detail17trampoline_kernelINS0_14default_configENS1_36segmented_radix_sort_config_selectorIalEEZNS1_25segmented_radix_sort_implIS3_Lb1EPKaPaPKlPlN2at6native12_GLOBAL__N_18offset_tEEE10hipError_tPvRmT1_PNSt15iterator_traitsISK_E10value_typeET2_T3_PNSL_ISQ_E10value_typeET4_jRbjT5_SW_jjP12ihipStream_tbEUlT_E0_NS1_11comp_targetILNS1_3genE8ELNS1_11target_archE1030ELNS1_3gpuE2ELNS1_3repE0EEENS1_60segmented_radix_sort_warp_sort_medium_config_static_selectorELNS0_4arch9wavefront6targetE0EEEvSK_.num_vgpr, 0
	.set _ZN7rocprim17ROCPRIM_400000_NS6detail17trampoline_kernelINS0_14default_configENS1_36segmented_radix_sort_config_selectorIalEEZNS1_25segmented_radix_sort_implIS3_Lb1EPKaPaPKlPlN2at6native12_GLOBAL__N_18offset_tEEE10hipError_tPvRmT1_PNSt15iterator_traitsISK_E10value_typeET2_T3_PNSL_ISQ_E10value_typeET4_jRbjT5_SW_jjP12ihipStream_tbEUlT_E0_NS1_11comp_targetILNS1_3genE8ELNS1_11target_archE1030ELNS1_3gpuE2ELNS1_3repE0EEENS1_60segmented_radix_sort_warp_sort_medium_config_static_selectorELNS0_4arch9wavefront6targetE0EEEvSK_.num_agpr, 0
	.set _ZN7rocprim17ROCPRIM_400000_NS6detail17trampoline_kernelINS0_14default_configENS1_36segmented_radix_sort_config_selectorIalEEZNS1_25segmented_radix_sort_implIS3_Lb1EPKaPaPKlPlN2at6native12_GLOBAL__N_18offset_tEEE10hipError_tPvRmT1_PNSt15iterator_traitsISK_E10value_typeET2_T3_PNSL_ISQ_E10value_typeET4_jRbjT5_SW_jjP12ihipStream_tbEUlT_E0_NS1_11comp_targetILNS1_3genE8ELNS1_11target_archE1030ELNS1_3gpuE2ELNS1_3repE0EEENS1_60segmented_radix_sort_warp_sort_medium_config_static_selectorELNS0_4arch9wavefront6targetE0EEEvSK_.numbered_sgpr, 0
	.set _ZN7rocprim17ROCPRIM_400000_NS6detail17trampoline_kernelINS0_14default_configENS1_36segmented_radix_sort_config_selectorIalEEZNS1_25segmented_radix_sort_implIS3_Lb1EPKaPaPKlPlN2at6native12_GLOBAL__N_18offset_tEEE10hipError_tPvRmT1_PNSt15iterator_traitsISK_E10value_typeET2_T3_PNSL_ISQ_E10value_typeET4_jRbjT5_SW_jjP12ihipStream_tbEUlT_E0_NS1_11comp_targetILNS1_3genE8ELNS1_11target_archE1030ELNS1_3gpuE2ELNS1_3repE0EEENS1_60segmented_radix_sort_warp_sort_medium_config_static_selectorELNS0_4arch9wavefront6targetE0EEEvSK_.num_named_barrier, 0
	.set _ZN7rocprim17ROCPRIM_400000_NS6detail17trampoline_kernelINS0_14default_configENS1_36segmented_radix_sort_config_selectorIalEEZNS1_25segmented_radix_sort_implIS3_Lb1EPKaPaPKlPlN2at6native12_GLOBAL__N_18offset_tEEE10hipError_tPvRmT1_PNSt15iterator_traitsISK_E10value_typeET2_T3_PNSL_ISQ_E10value_typeET4_jRbjT5_SW_jjP12ihipStream_tbEUlT_E0_NS1_11comp_targetILNS1_3genE8ELNS1_11target_archE1030ELNS1_3gpuE2ELNS1_3repE0EEENS1_60segmented_radix_sort_warp_sort_medium_config_static_selectorELNS0_4arch9wavefront6targetE0EEEvSK_.private_seg_size, 0
	.set _ZN7rocprim17ROCPRIM_400000_NS6detail17trampoline_kernelINS0_14default_configENS1_36segmented_radix_sort_config_selectorIalEEZNS1_25segmented_radix_sort_implIS3_Lb1EPKaPaPKlPlN2at6native12_GLOBAL__N_18offset_tEEE10hipError_tPvRmT1_PNSt15iterator_traitsISK_E10value_typeET2_T3_PNSL_ISQ_E10value_typeET4_jRbjT5_SW_jjP12ihipStream_tbEUlT_E0_NS1_11comp_targetILNS1_3genE8ELNS1_11target_archE1030ELNS1_3gpuE2ELNS1_3repE0EEENS1_60segmented_radix_sort_warp_sort_medium_config_static_selectorELNS0_4arch9wavefront6targetE0EEEvSK_.uses_vcc, 0
	.set _ZN7rocprim17ROCPRIM_400000_NS6detail17trampoline_kernelINS0_14default_configENS1_36segmented_radix_sort_config_selectorIalEEZNS1_25segmented_radix_sort_implIS3_Lb1EPKaPaPKlPlN2at6native12_GLOBAL__N_18offset_tEEE10hipError_tPvRmT1_PNSt15iterator_traitsISK_E10value_typeET2_T3_PNSL_ISQ_E10value_typeET4_jRbjT5_SW_jjP12ihipStream_tbEUlT_E0_NS1_11comp_targetILNS1_3genE8ELNS1_11target_archE1030ELNS1_3gpuE2ELNS1_3repE0EEENS1_60segmented_radix_sort_warp_sort_medium_config_static_selectorELNS0_4arch9wavefront6targetE0EEEvSK_.uses_flat_scratch, 0
	.set _ZN7rocprim17ROCPRIM_400000_NS6detail17trampoline_kernelINS0_14default_configENS1_36segmented_radix_sort_config_selectorIalEEZNS1_25segmented_radix_sort_implIS3_Lb1EPKaPaPKlPlN2at6native12_GLOBAL__N_18offset_tEEE10hipError_tPvRmT1_PNSt15iterator_traitsISK_E10value_typeET2_T3_PNSL_ISQ_E10value_typeET4_jRbjT5_SW_jjP12ihipStream_tbEUlT_E0_NS1_11comp_targetILNS1_3genE8ELNS1_11target_archE1030ELNS1_3gpuE2ELNS1_3repE0EEENS1_60segmented_radix_sort_warp_sort_medium_config_static_selectorELNS0_4arch9wavefront6targetE0EEEvSK_.has_dyn_sized_stack, 0
	.set _ZN7rocprim17ROCPRIM_400000_NS6detail17trampoline_kernelINS0_14default_configENS1_36segmented_radix_sort_config_selectorIalEEZNS1_25segmented_radix_sort_implIS3_Lb1EPKaPaPKlPlN2at6native12_GLOBAL__N_18offset_tEEE10hipError_tPvRmT1_PNSt15iterator_traitsISK_E10value_typeET2_T3_PNSL_ISQ_E10value_typeET4_jRbjT5_SW_jjP12ihipStream_tbEUlT_E0_NS1_11comp_targetILNS1_3genE8ELNS1_11target_archE1030ELNS1_3gpuE2ELNS1_3repE0EEENS1_60segmented_radix_sort_warp_sort_medium_config_static_selectorELNS0_4arch9wavefront6targetE0EEEvSK_.has_recursion, 0
	.set _ZN7rocprim17ROCPRIM_400000_NS6detail17trampoline_kernelINS0_14default_configENS1_36segmented_radix_sort_config_selectorIalEEZNS1_25segmented_radix_sort_implIS3_Lb1EPKaPaPKlPlN2at6native12_GLOBAL__N_18offset_tEEE10hipError_tPvRmT1_PNSt15iterator_traitsISK_E10value_typeET2_T3_PNSL_ISQ_E10value_typeET4_jRbjT5_SW_jjP12ihipStream_tbEUlT_E0_NS1_11comp_targetILNS1_3genE8ELNS1_11target_archE1030ELNS1_3gpuE2ELNS1_3repE0EEENS1_60segmented_radix_sort_warp_sort_medium_config_static_selectorELNS0_4arch9wavefront6targetE0EEEvSK_.has_indirect_call, 0
	.section	.AMDGPU.csdata,"",@progbits
; Kernel info:
; codeLenInByte = 0
; TotalNumSgprs: 0
; NumVgprs: 0
; ScratchSize: 0
; MemoryBound: 0
; FloatMode: 240
; IeeeMode: 1
; LDSByteSize: 0 bytes/workgroup (compile time only)
; SGPRBlocks: 0
; VGPRBlocks: 0
; NumSGPRsForWavesPerEU: 1
; NumVGPRsForWavesPerEU: 1
; Occupancy: 16
; WaveLimiterHint : 0
; COMPUTE_PGM_RSRC2:SCRATCH_EN: 0
; COMPUTE_PGM_RSRC2:USER_SGPR: 2
; COMPUTE_PGM_RSRC2:TRAP_HANDLER: 0
; COMPUTE_PGM_RSRC2:TGID_X_EN: 1
; COMPUTE_PGM_RSRC2:TGID_Y_EN: 0
; COMPUTE_PGM_RSRC2:TGID_Z_EN: 0
; COMPUTE_PGM_RSRC2:TIDIG_COMP_CNT: 0
	.section	.text._ZN7rocprim17ROCPRIM_400000_NS6detail17trampoline_kernelINS0_14default_configENS1_36segmented_radix_sort_config_selectorIalEEZNS1_25segmented_radix_sort_implIS3_Lb1EPKaPaPKlPlN2at6native12_GLOBAL__N_18offset_tEEE10hipError_tPvRmT1_PNSt15iterator_traitsISK_E10value_typeET2_T3_PNSL_ISQ_E10value_typeET4_jRbjT5_SW_jjP12ihipStream_tbEUlT_E1_NS1_11comp_targetILNS1_3genE0ELNS1_11target_archE4294967295ELNS1_3gpuE0ELNS1_3repE0EEENS1_59segmented_radix_sort_warp_sort_small_config_static_selectorELNS0_4arch9wavefront6targetE0EEEvSK_,"axG",@progbits,_ZN7rocprim17ROCPRIM_400000_NS6detail17trampoline_kernelINS0_14default_configENS1_36segmented_radix_sort_config_selectorIalEEZNS1_25segmented_radix_sort_implIS3_Lb1EPKaPaPKlPlN2at6native12_GLOBAL__N_18offset_tEEE10hipError_tPvRmT1_PNSt15iterator_traitsISK_E10value_typeET2_T3_PNSL_ISQ_E10value_typeET4_jRbjT5_SW_jjP12ihipStream_tbEUlT_E1_NS1_11comp_targetILNS1_3genE0ELNS1_11target_archE4294967295ELNS1_3gpuE0ELNS1_3repE0EEENS1_59segmented_radix_sort_warp_sort_small_config_static_selectorELNS0_4arch9wavefront6targetE0EEEvSK_,comdat
	.globl	_ZN7rocprim17ROCPRIM_400000_NS6detail17trampoline_kernelINS0_14default_configENS1_36segmented_radix_sort_config_selectorIalEEZNS1_25segmented_radix_sort_implIS3_Lb1EPKaPaPKlPlN2at6native12_GLOBAL__N_18offset_tEEE10hipError_tPvRmT1_PNSt15iterator_traitsISK_E10value_typeET2_T3_PNSL_ISQ_E10value_typeET4_jRbjT5_SW_jjP12ihipStream_tbEUlT_E1_NS1_11comp_targetILNS1_3genE0ELNS1_11target_archE4294967295ELNS1_3gpuE0ELNS1_3repE0EEENS1_59segmented_radix_sort_warp_sort_small_config_static_selectorELNS0_4arch9wavefront6targetE0EEEvSK_ ; -- Begin function _ZN7rocprim17ROCPRIM_400000_NS6detail17trampoline_kernelINS0_14default_configENS1_36segmented_radix_sort_config_selectorIalEEZNS1_25segmented_radix_sort_implIS3_Lb1EPKaPaPKlPlN2at6native12_GLOBAL__N_18offset_tEEE10hipError_tPvRmT1_PNSt15iterator_traitsISK_E10value_typeET2_T3_PNSL_ISQ_E10value_typeET4_jRbjT5_SW_jjP12ihipStream_tbEUlT_E1_NS1_11comp_targetILNS1_3genE0ELNS1_11target_archE4294967295ELNS1_3gpuE0ELNS1_3repE0EEENS1_59segmented_radix_sort_warp_sort_small_config_static_selectorELNS0_4arch9wavefront6targetE0EEEvSK_
	.p2align	8
	.type	_ZN7rocprim17ROCPRIM_400000_NS6detail17trampoline_kernelINS0_14default_configENS1_36segmented_radix_sort_config_selectorIalEEZNS1_25segmented_radix_sort_implIS3_Lb1EPKaPaPKlPlN2at6native12_GLOBAL__N_18offset_tEEE10hipError_tPvRmT1_PNSt15iterator_traitsISK_E10value_typeET2_T3_PNSL_ISQ_E10value_typeET4_jRbjT5_SW_jjP12ihipStream_tbEUlT_E1_NS1_11comp_targetILNS1_3genE0ELNS1_11target_archE4294967295ELNS1_3gpuE0ELNS1_3repE0EEENS1_59segmented_radix_sort_warp_sort_small_config_static_selectorELNS0_4arch9wavefront6targetE0EEEvSK_,@function
_ZN7rocprim17ROCPRIM_400000_NS6detail17trampoline_kernelINS0_14default_configENS1_36segmented_radix_sort_config_selectorIalEEZNS1_25segmented_radix_sort_implIS3_Lb1EPKaPaPKlPlN2at6native12_GLOBAL__N_18offset_tEEE10hipError_tPvRmT1_PNSt15iterator_traitsISK_E10value_typeET2_T3_PNSL_ISQ_E10value_typeET4_jRbjT5_SW_jjP12ihipStream_tbEUlT_E1_NS1_11comp_targetILNS1_3genE0ELNS1_11target_archE4294967295ELNS1_3gpuE0ELNS1_3repE0EEENS1_59segmented_radix_sort_warp_sort_small_config_static_selectorELNS0_4arch9wavefront6targetE0EEEvSK_: ; @_ZN7rocprim17ROCPRIM_400000_NS6detail17trampoline_kernelINS0_14default_configENS1_36segmented_radix_sort_config_selectorIalEEZNS1_25segmented_radix_sort_implIS3_Lb1EPKaPaPKlPlN2at6native12_GLOBAL__N_18offset_tEEE10hipError_tPvRmT1_PNSt15iterator_traitsISK_E10value_typeET2_T3_PNSL_ISQ_E10value_typeET4_jRbjT5_SW_jjP12ihipStream_tbEUlT_E1_NS1_11comp_targetILNS1_3genE0ELNS1_11target_archE4294967295ELNS1_3gpuE0ELNS1_3repE0EEENS1_59segmented_radix_sort_warp_sort_small_config_static_selectorELNS0_4arch9wavefront6targetE0EEEvSK_
; %bb.0:
	.section	.rodata,"a",@progbits
	.p2align	6, 0x0
	.amdhsa_kernel _ZN7rocprim17ROCPRIM_400000_NS6detail17trampoline_kernelINS0_14default_configENS1_36segmented_radix_sort_config_selectorIalEEZNS1_25segmented_radix_sort_implIS3_Lb1EPKaPaPKlPlN2at6native12_GLOBAL__N_18offset_tEEE10hipError_tPvRmT1_PNSt15iterator_traitsISK_E10value_typeET2_T3_PNSL_ISQ_E10value_typeET4_jRbjT5_SW_jjP12ihipStream_tbEUlT_E1_NS1_11comp_targetILNS1_3genE0ELNS1_11target_archE4294967295ELNS1_3gpuE0ELNS1_3repE0EEENS1_59segmented_radix_sort_warp_sort_small_config_static_selectorELNS0_4arch9wavefront6targetE0EEEvSK_
		.amdhsa_group_segment_fixed_size 0
		.amdhsa_private_segment_fixed_size 0
		.amdhsa_kernarg_size 88
		.amdhsa_user_sgpr_count 2
		.amdhsa_user_sgpr_dispatch_ptr 0
		.amdhsa_user_sgpr_queue_ptr 0
		.amdhsa_user_sgpr_kernarg_segment_ptr 1
		.amdhsa_user_sgpr_dispatch_id 0
		.amdhsa_user_sgpr_private_segment_size 0
		.amdhsa_wavefront_size32 1
		.amdhsa_uses_dynamic_stack 0
		.amdhsa_enable_private_segment 0
		.amdhsa_system_sgpr_workgroup_id_x 1
		.amdhsa_system_sgpr_workgroup_id_y 0
		.amdhsa_system_sgpr_workgroup_id_z 0
		.amdhsa_system_sgpr_workgroup_info 0
		.amdhsa_system_vgpr_workitem_id 0
		.amdhsa_next_free_vgpr 1
		.amdhsa_next_free_sgpr 1
		.amdhsa_reserve_vcc 0
		.amdhsa_float_round_mode_32 0
		.amdhsa_float_round_mode_16_64 0
		.amdhsa_float_denorm_mode_32 3
		.amdhsa_float_denorm_mode_16_64 3
		.amdhsa_fp16_overflow 0
		.amdhsa_workgroup_processor_mode 1
		.amdhsa_memory_ordered 1
		.amdhsa_forward_progress 1
		.amdhsa_inst_pref_size 0
		.amdhsa_round_robin_scheduling 0
		.amdhsa_exception_fp_ieee_invalid_op 0
		.amdhsa_exception_fp_denorm_src 0
		.amdhsa_exception_fp_ieee_div_zero 0
		.amdhsa_exception_fp_ieee_overflow 0
		.amdhsa_exception_fp_ieee_underflow 0
		.amdhsa_exception_fp_ieee_inexact 0
		.amdhsa_exception_int_div_zero 0
	.end_amdhsa_kernel
	.section	.text._ZN7rocprim17ROCPRIM_400000_NS6detail17trampoline_kernelINS0_14default_configENS1_36segmented_radix_sort_config_selectorIalEEZNS1_25segmented_radix_sort_implIS3_Lb1EPKaPaPKlPlN2at6native12_GLOBAL__N_18offset_tEEE10hipError_tPvRmT1_PNSt15iterator_traitsISK_E10value_typeET2_T3_PNSL_ISQ_E10value_typeET4_jRbjT5_SW_jjP12ihipStream_tbEUlT_E1_NS1_11comp_targetILNS1_3genE0ELNS1_11target_archE4294967295ELNS1_3gpuE0ELNS1_3repE0EEENS1_59segmented_radix_sort_warp_sort_small_config_static_selectorELNS0_4arch9wavefront6targetE0EEEvSK_,"axG",@progbits,_ZN7rocprim17ROCPRIM_400000_NS6detail17trampoline_kernelINS0_14default_configENS1_36segmented_radix_sort_config_selectorIalEEZNS1_25segmented_radix_sort_implIS3_Lb1EPKaPaPKlPlN2at6native12_GLOBAL__N_18offset_tEEE10hipError_tPvRmT1_PNSt15iterator_traitsISK_E10value_typeET2_T3_PNSL_ISQ_E10value_typeET4_jRbjT5_SW_jjP12ihipStream_tbEUlT_E1_NS1_11comp_targetILNS1_3genE0ELNS1_11target_archE4294967295ELNS1_3gpuE0ELNS1_3repE0EEENS1_59segmented_radix_sort_warp_sort_small_config_static_selectorELNS0_4arch9wavefront6targetE0EEEvSK_,comdat
.Lfunc_end310:
	.size	_ZN7rocprim17ROCPRIM_400000_NS6detail17trampoline_kernelINS0_14default_configENS1_36segmented_radix_sort_config_selectorIalEEZNS1_25segmented_radix_sort_implIS3_Lb1EPKaPaPKlPlN2at6native12_GLOBAL__N_18offset_tEEE10hipError_tPvRmT1_PNSt15iterator_traitsISK_E10value_typeET2_T3_PNSL_ISQ_E10value_typeET4_jRbjT5_SW_jjP12ihipStream_tbEUlT_E1_NS1_11comp_targetILNS1_3genE0ELNS1_11target_archE4294967295ELNS1_3gpuE0ELNS1_3repE0EEENS1_59segmented_radix_sort_warp_sort_small_config_static_selectorELNS0_4arch9wavefront6targetE0EEEvSK_, .Lfunc_end310-_ZN7rocprim17ROCPRIM_400000_NS6detail17trampoline_kernelINS0_14default_configENS1_36segmented_radix_sort_config_selectorIalEEZNS1_25segmented_radix_sort_implIS3_Lb1EPKaPaPKlPlN2at6native12_GLOBAL__N_18offset_tEEE10hipError_tPvRmT1_PNSt15iterator_traitsISK_E10value_typeET2_T3_PNSL_ISQ_E10value_typeET4_jRbjT5_SW_jjP12ihipStream_tbEUlT_E1_NS1_11comp_targetILNS1_3genE0ELNS1_11target_archE4294967295ELNS1_3gpuE0ELNS1_3repE0EEENS1_59segmented_radix_sort_warp_sort_small_config_static_selectorELNS0_4arch9wavefront6targetE0EEEvSK_
                                        ; -- End function
	.set _ZN7rocprim17ROCPRIM_400000_NS6detail17trampoline_kernelINS0_14default_configENS1_36segmented_radix_sort_config_selectorIalEEZNS1_25segmented_radix_sort_implIS3_Lb1EPKaPaPKlPlN2at6native12_GLOBAL__N_18offset_tEEE10hipError_tPvRmT1_PNSt15iterator_traitsISK_E10value_typeET2_T3_PNSL_ISQ_E10value_typeET4_jRbjT5_SW_jjP12ihipStream_tbEUlT_E1_NS1_11comp_targetILNS1_3genE0ELNS1_11target_archE4294967295ELNS1_3gpuE0ELNS1_3repE0EEENS1_59segmented_radix_sort_warp_sort_small_config_static_selectorELNS0_4arch9wavefront6targetE0EEEvSK_.num_vgpr, 0
	.set _ZN7rocprim17ROCPRIM_400000_NS6detail17trampoline_kernelINS0_14default_configENS1_36segmented_radix_sort_config_selectorIalEEZNS1_25segmented_radix_sort_implIS3_Lb1EPKaPaPKlPlN2at6native12_GLOBAL__N_18offset_tEEE10hipError_tPvRmT1_PNSt15iterator_traitsISK_E10value_typeET2_T3_PNSL_ISQ_E10value_typeET4_jRbjT5_SW_jjP12ihipStream_tbEUlT_E1_NS1_11comp_targetILNS1_3genE0ELNS1_11target_archE4294967295ELNS1_3gpuE0ELNS1_3repE0EEENS1_59segmented_radix_sort_warp_sort_small_config_static_selectorELNS0_4arch9wavefront6targetE0EEEvSK_.num_agpr, 0
	.set _ZN7rocprim17ROCPRIM_400000_NS6detail17trampoline_kernelINS0_14default_configENS1_36segmented_radix_sort_config_selectorIalEEZNS1_25segmented_radix_sort_implIS3_Lb1EPKaPaPKlPlN2at6native12_GLOBAL__N_18offset_tEEE10hipError_tPvRmT1_PNSt15iterator_traitsISK_E10value_typeET2_T3_PNSL_ISQ_E10value_typeET4_jRbjT5_SW_jjP12ihipStream_tbEUlT_E1_NS1_11comp_targetILNS1_3genE0ELNS1_11target_archE4294967295ELNS1_3gpuE0ELNS1_3repE0EEENS1_59segmented_radix_sort_warp_sort_small_config_static_selectorELNS0_4arch9wavefront6targetE0EEEvSK_.numbered_sgpr, 0
	.set _ZN7rocprim17ROCPRIM_400000_NS6detail17trampoline_kernelINS0_14default_configENS1_36segmented_radix_sort_config_selectorIalEEZNS1_25segmented_radix_sort_implIS3_Lb1EPKaPaPKlPlN2at6native12_GLOBAL__N_18offset_tEEE10hipError_tPvRmT1_PNSt15iterator_traitsISK_E10value_typeET2_T3_PNSL_ISQ_E10value_typeET4_jRbjT5_SW_jjP12ihipStream_tbEUlT_E1_NS1_11comp_targetILNS1_3genE0ELNS1_11target_archE4294967295ELNS1_3gpuE0ELNS1_3repE0EEENS1_59segmented_radix_sort_warp_sort_small_config_static_selectorELNS0_4arch9wavefront6targetE0EEEvSK_.num_named_barrier, 0
	.set _ZN7rocprim17ROCPRIM_400000_NS6detail17trampoline_kernelINS0_14default_configENS1_36segmented_radix_sort_config_selectorIalEEZNS1_25segmented_radix_sort_implIS3_Lb1EPKaPaPKlPlN2at6native12_GLOBAL__N_18offset_tEEE10hipError_tPvRmT1_PNSt15iterator_traitsISK_E10value_typeET2_T3_PNSL_ISQ_E10value_typeET4_jRbjT5_SW_jjP12ihipStream_tbEUlT_E1_NS1_11comp_targetILNS1_3genE0ELNS1_11target_archE4294967295ELNS1_3gpuE0ELNS1_3repE0EEENS1_59segmented_radix_sort_warp_sort_small_config_static_selectorELNS0_4arch9wavefront6targetE0EEEvSK_.private_seg_size, 0
	.set _ZN7rocprim17ROCPRIM_400000_NS6detail17trampoline_kernelINS0_14default_configENS1_36segmented_radix_sort_config_selectorIalEEZNS1_25segmented_radix_sort_implIS3_Lb1EPKaPaPKlPlN2at6native12_GLOBAL__N_18offset_tEEE10hipError_tPvRmT1_PNSt15iterator_traitsISK_E10value_typeET2_T3_PNSL_ISQ_E10value_typeET4_jRbjT5_SW_jjP12ihipStream_tbEUlT_E1_NS1_11comp_targetILNS1_3genE0ELNS1_11target_archE4294967295ELNS1_3gpuE0ELNS1_3repE0EEENS1_59segmented_radix_sort_warp_sort_small_config_static_selectorELNS0_4arch9wavefront6targetE0EEEvSK_.uses_vcc, 0
	.set _ZN7rocprim17ROCPRIM_400000_NS6detail17trampoline_kernelINS0_14default_configENS1_36segmented_radix_sort_config_selectorIalEEZNS1_25segmented_radix_sort_implIS3_Lb1EPKaPaPKlPlN2at6native12_GLOBAL__N_18offset_tEEE10hipError_tPvRmT1_PNSt15iterator_traitsISK_E10value_typeET2_T3_PNSL_ISQ_E10value_typeET4_jRbjT5_SW_jjP12ihipStream_tbEUlT_E1_NS1_11comp_targetILNS1_3genE0ELNS1_11target_archE4294967295ELNS1_3gpuE0ELNS1_3repE0EEENS1_59segmented_radix_sort_warp_sort_small_config_static_selectorELNS0_4arch9wavefront6targetE0EEEvSK_.uses_flat_scratch, 0
	.set _ZN7rocprim17ROCPRIM_400000_NS6detail17trampoline_kernelINS0_14default_configENS1_36segmented_radix_sort_config_selectorIalEEZNS1_25segmented_radix_sort_implIS3_Lb1EPKaPaPKlPlN2at6native12_GLOBAL__N_18offset_tEEE10hipError_tPvRmT1_PNSt15iterator_traitsISK_E10value_typeET2_T3_PNSL_ISQ_E10value_typeET4_jRbjT5_SW_jjP12ihipStream_tbEUlT_E1_NS1_11comp_targetILNS1_3genE0ELNS1_11target_archE4294967295ELNS1_3gpuE0ELNS1_3repE0EEENS1_59segmented_radix_sort_warp_sort_small_config_static_selectorELNS0_4arch9wavefront6targetE0EEEvSK_.has_dyn_sized_stack, 0
	.set _ZN7rocprim17ROCPRIM_400000_NS6detail17trampoline_kernelINS0_14default_configENS1_36segmented_radix_sort_config_selectorIalEEZNS1_25segmented_radix_sort_implIS3_Lb1EPKaPaPKlPlN2at6native12_GLOBAL__N_18offset_tEEE10hipError_tPvRmT1_PNSt15iterator_traitsISK_E10value_typeET2_T3_PNSL_ISQ_E10value_typeET4_jRbjT5_SW_jjP12ihipStream_tbEUlT_E1_NS1_11comp_targetILNS1_3genE0ELNS1_11target_archE4294967295ELNS1_3gpuE0ELNS1_3repE0EEENS1_59segmented_radix_sort_warp_sort_small_config_static_selectorELNS0_4arch9wavefront6targetE0EEEvSK_.has_recursion, 0
	.set _ZN7rocprim17ROCPRIM_400000_NS6detail17trampoline_kernelINS0_14default_configENS1_36segmented_radix_sort_config_selectorIalEEZNS1_25segmented_radix_sort_implIS3_Lb1EPKaPaPKlPlN2at6native12_GLOBAL__N_18offset_tEEE10hipError_tPvRmT1_PNSt15iterator_traitsISK_E10value_typeET2_T3_PNSL_ISQ_E10value_typeET4_jRbjT5_SW_jjP12ihipStream_tbEUlT_E1_NS1_11comp_targetILNS1_3genE0ELNS1_11target_archE4294967295ELNS1_3gpuE0ELNS1_3repE0EEENS1_59segmented_radix_sort_warp_sort_small_config_static_selectorELNS0_4arch9wavefront6targetE0EEEvSK_.has_indirect_call, 0
	.section	.AMDGPU.csdata,"",@progbits
; Kernel info:
; codeLenInByte = 0
; TotalNumSgprs: 0
; NumVgprs: 0
; ScratchSize: 0
; MemoryBound: 0
; FloatMode: 240
; IeeeMode: 1
; LDSByteSize: 0 bytes/workgroup (compile time only)
; SGPRBlocks: 0
; VGPRBlocks: 0
; NumSGPRsForWavesPerEU: 1
; NumVGPRsForWavesPerEU: 1
; Occupancy: 16
; WaveLimiterHint : 0
; COMPUTE_PGM_RSRC2:SCRATCH_EN: 0
; COMPUTE_PGM_RSRC2:USER_SGPR: 2
; COMPUTE_PGM_RSRC2:TRAP_HANDLER: 0
; COMPUTE_PGM_RSRC2:TGID_X_EN: 1
; COMPUTE_PGM_RSRC2:TGID_Y_EN: 0
; COMPUTE_PGM_RSRC2:TGID_Z_EN: 0
; COMPUTE_PGM_RSRC2:TIDIG_COMP_CNT: 0
	.section	.text._ZN7rocprim17ROCPRIM_400000_NS6detail17trampoline_kernelINS0_14default_configENS1_36segmented_radix_sort_config_selectorIalEEZNS1_25segmented_radix_sort_implIS3_Lb1EPKaPaPKlPlN2at6native12_GLOBAL__N_18offset_tEEE10hipError_tPvRmT1_PNSt15iterator_traitsISK_E10value_typeET2_T3_PNSL_ISQ_E10value_typeET4_jRbjT5_SW_jjP12ihipStream_tbEUlT_E1_NS1_11comp_targetILNS1_3genE5ELNS1_11target_archE942ELNS1_3gpuE9ELNS1_3repE0EEENS1_59segmented_radix_sort_warp_sort_small_config_static_selectorELNS0_4arch9wavefront6targetE0EEEvSK_,"axG",@progbits,_ZN7rocprim17ROCPRIM_400000_NS6detail17trampoline_kernelINS0_14default_configENS1_36segmented_radix_sort_config_selectorIalEEZNS1_25segmented_radix_sort_implIS3_Lb1EPKaPaPKlPlN2at6native12_GLOBAL__N_18offset_tEEE10hipError_tPvRmT1_PNSt15iterator_traitsISK_E10value_typeET2_T3_PNSL_ISQ_E10value_typeET4_jRbjT5_SW_jjP12ihipStream_tbEUlT_E1_NS1_11comp_targetILNS1_3genE5ELNS1_11target_archE942ELNS1_3gpuE9ELNS1_3repE0EEENS1_59segmented_radix_sort_warp_sort_small_config_static_selectorELNS0_4arch9wavefront6targetE0EEEvSK_,comdat
	.globl	_ZN7rocprim17ROCPRIM_400000_NS6detail17trampoline_kernelINS0_14default_configENS1_36segmented_radix_sort_config_selectorIalEEZNS1_25segmented_radix_sort_implIS3_Lb1EPKaPaPKlPlN2at6native12_GLOBAL__N_18offset_tEEE10hipError_tPvRmT1_PNSt15iterator_traitsISK_E10value_typeET2_T3_PNSL_ISQ_E10value_typeET4_jRbjT5_SW_jjP12ihipStream_tbEUlT_E1_NS1_11comp_targetILNS1_3genE5ELNS1_11target_archE942ELNS1_3gpuE9ELNS1_3repE0EEENS1_59segmented_radix_sort_warp_sort_small_config_static_selectorELNS0_4arch9wavefront6targetE0EEEvSK_ ; -- Begin function _ZN7rocprim17ROCPRIM_400000_NS6detail17trampoline_kernelINS0_14default_configENS1_36segmented_radix_sort_config_selectorIalEEZNS1_25segmented_radix_sort_implIS3_Lb1EPKaPaPKlPlN2at6native12_GLOBAL__N_18offset_tEEE10hipError_tPvRmT1_PNSt15iterator_traitsISK_E10value_typeET2_T3_PNSL_ISQ_E10value_typeET4_jRbjT5_SW_jjP12ihipStream_tbEUlT_E1_NS1_11comp_targetILNS1_3genE5ELNS1_11target_archE942ELNS1_3gpuE9ELNS1_3repE0EEENS1_59segmented_radix_sort_warp_sort_small_config_static_selectorELNS0_4arch9wavefront6targetE0EEEvSK_
	.p2align	8
	.type	_ZN7rocprim17ROCPRIM_400000_NS6detail17trampoline_kernelINS0_14default_configENS1_36segmented_radix_sort_config_selectorIalEEZNS1_25segmented_radix_sort_implIS3_Lb1EPKaPaPKlPlN2at6native12_GLOBAL__N_18offset_tEEE10hipError_tPvRmT1_PNSt15iterator_traitsISK_E10value_typeET2_T3_PNSL_ISQ_E10value_typeET4_jRbjT5_SW_jjP12ihipStream_tbEUlT_E1_NS1_11comp_targetILNS1_3genE5ELNS1_11target_archE942ELNS1_3gpuE9ELNS1_3repE0EEENS1_59segmented_radix_sort_warp_sort_small_config_static_selectorELNS0_4arch9wavefront6targetE0EEEvSK_,@function
_ZN7rocprim17ROCPRIM_400000_NS6detail17trampoline_kernelINS0_14default_configENS1_36segmented_radix_sort_config_selectorIalEEZNS1_25segmented_radix_sort_implIS3_Lb1EPKaPaPKlPlN2at6native12_GLOBAL__N_18offset_tEEE10hipError_tPvRmT1_PNSt15iterator_traitsISK_E10value_typeET2_T3_PNSL_ISQ_E10value_typeET4_jRbjT5_SW_jjP12ihipStream_tbEUlT_E1_NS1_11comp_targetILNS1_3genE5ELNS1_11target_archE942ELNS1_3gpuE9ELNS1_3repE0EEENS1_59segmented_radix_sort_warp_sort_small_config_static_selectorELNS0_4arch9wavefront6targetE0EEEvSK_: ; @_ZN7rocprim17ROCPRIM_400000_NS6detail17trampoline_kernelINS0_14default_configENS1_36segmented_radix_sort_config_selectorIalEEZNS1_25segmented_radix_sort_implIS3_Lb1EPKaPaPKlPlN2at6native12_GLOBAL__N_18offset_tEEE10hipError_tPvRmT1_PNSt15iterator_traitsISK_E10value_typeET2_T3_PNSL_ISQ_E10value_typeET4_jRbjT5_SW_jjP12ihipStream_tbEUlT_E1_NS1_11comp_targetILNS1_3genE5ELNS1_11target_archE942ELNS1_3gpuE9ELNS1_3repE0EEENS1_59segmented_radix_sort_warp_sort_small_config_static_selectorELNS0_4arch9wavefront6targetE0EEEvSK_
; %bb.0:
	.section	.rodata,"a",@progbits
	.p2align	6, 0x0
	.amdhsa_kernel _ZN7rocprim17ROCPRIM_400000_NS6detail17trampoline_kernelINS0_14default_configENS1_36segmented_radix_sort_config_selectorIalEEZNS1_25segmented_radix_sort_implIS3_Lb1EPKaPaPKlPlN2at6native12_GLOBAL__N_18offset_tEEE10hipError_tPvRmT1_PNSt15iterator_traitsISK_E10value_typeET2_T3_PNSL_ISQ_E10value_typeET4_jRbjT5_SW_jjP12ihipStream_tbEUlT_E1_NS1_11comp_targetILNS1_3genE5ELNS1_11target_archE942ELNS1_3gpuE9ELNS1_3repE0EEENS1_59segmented_radix_sort_warp_sort_small_config_static_selectorELNS0_4arch9wavefront6targetE0EEEvSK_
		.amdhsa_group_segment_fixed_size 0
		.amdhsa_private_segment_fixed_size 0
		.amdhsa_kernarg_size 88
		.amdhsa_user_sgpr_count 2
		.amdhsa_user_sgpr_dispatch_ptr 0
		.amdhsa_user_sgpr_queue_ptr 0
		.amdhsa_user_sgpr_kernarg_segment_ptr 1
		.amdhsa_user_sgpr_dispatch_id 0
		.amdhsa_user_sgpr_private_segment_size 0
		.amdhsa_wavefront_size32 1
		.amdhsa_uses_dynamic_stack 0
		.amdhsa_enable_private_segment 0
		.amdhsa_system_sgpr_workgroup_id_x 1
		.amdhsa_system_sgpr_workgroup_id_y 0
		.amdhsa_system_sgpr_workgroup_id_z 0
		.amdhsa_system_sgpr_workgroup_info 0
		.amdhsa_system_vgpr_workitem_id 0
		.amdhsa_next_free_vgpr 1
		.amdhsa_next_free_sgpr 1
		.amdhsa_reserve_vcc 0
		.amdhsa_float_round_mode_32 0
		.amdhsa_float_round_mode_16_64 0
		.amdhsa_float_denorm_mode_32 3
		.amdhsa_float_denorm_mode_16_64 3
		.amdhsa_fp16_overflow 0
		.amdhsa_workgroup_processor_mode 1
		.amdhsa_memory_ordered 1
		.amdhsa_forward_progress 1
		.amdhsa_inst_pref_size 0
		.amdhsa_round_robin_scheduling 0
		.amdhsa_exception_fp_ieee_invalid_op 0
		.amdhsa_exception_fp_denorm_src 0
		.amdhsa_exception_fp_ieee_div_zero 0
		.amdhsa_exception_fp_ieee_overflow 0
		.amdhsa_exception_fp_ieee_underflow 0
		.amdhsa_exception_fp_ieee_inexact 0
		.amdhsa_exception_int_div_zero 0
	.end_amdhsa_kernel
	.section	.text._ZN7rocprim17ROCPRIM_400000_NS6detail17trampoline_kernelINS0_14default_configENS1_36segmented_radix_sort_config_selectorIalEEZNS1_25segmented_radix_sort_implIS3_Lb1EPKaPaPKlPlN2at6native12_GLOBAL__N_18offset_tEEE10hipError_tPvRmT1_PNSt15iterator_traitsISK_E10value_typeET2_T3_PNSL_ISQ_E10value_typeET4_jRbjT5_SW_jjP12ihipStream_tbEUlT_E1_NS1_11comp_targetILNS1_3genE5ELNS1_11target_archE942ELNS1_3gpuE9ELNS1_3repE0EEENS1_59segmented_radix_sort_warp_sort_small_config_static_selectorELNS0_4arch9wavefront6targetE0EEEvSK_,"axG",@progbits,_ZN7rocprim17ROCPRIM_400000_NS6detail17trampoline_kernelINS0_14default_configENS1_36segmented_radix_sort_config_selectorIalEEZNS1_25segmented_radix_sort_implIS3_Lb1EPKaPaPKlPlN2at6native12_GLOBAL__N_18offset_tEEE10hipError_tPvRmT1_PNSt15iterator_traitsISK_E10value_typeET2_T3_PNSL_ISQ_E10value_typeET4_jRbjT5_SW_jjP12ihipStream_tbEUlT_E1_NS1_11comp_targetILNS1_3genE5ELNS1_11target_archE942ELNS1_3gpuE9ELNS1_3repE0EEENS1_59segmented_radix_sort_warp_sort_small_config_static_selectorELNS0_4arch9wavefront6targetE0EEEvSK_,comdat
.Lfunc_end311:
	.size	_ZN7rocprim17ROCPRIM_400000_NS6detail17trampoline_kernelINS0_14default_configENS1_36segmented_radix_sort_config_selectorIalEEZNS1_25segmented_radix_sort_implIS3_Lb1EPKaPaPKlPlN2at6native12_GLOBAL__N_18offset_tEEE10hipError_tPvRmT1_PNSt15iterator_traitsISK_E10value_typeET2_T3_PNSL_ISQ_E10value_typeET4_jRbjT5_SW_jjP12ihipStream_tbEUlT_E1_NS1_11comp_targetILNS1_3genE5ELNS1_11target_archE942ELNS1_3gpuE9ELNS1_3repE0EEENS1_59segmented_radix_sort_warp_sort_small_config_static_selectorELNS0_4arch9wavefront6targetE0EEEvSK_, .Lfunc_end311-_ZN7rocprim17ROCPRIM_400000_NS6detail17trampoline_kernelINS0_14default_configENS1_36segmented_radix_sort_config_selectorIalEEZNS1_25segmented_radix_sort_implIS3_Lb1EPKaPaPKlPlN2at6native12_GLOBAL__N_18offset_tEEE10hipError_tPvRmT1_PNSt15iterator_traitsISK_E10value_typeET2_T3_PNSL_ISQ_E10value_typeET4_jRbjT5_SW_jjP12ihipStream_tbEUlT_E1_NS1_11comp_targetILNS1_3genE5ELNS1_11target_archE942ELNS1_3gpuE9ELNS1_3repE0EEENS1_59segmented_radix_sort_warp_sort_small_config_static_selectorELNS0_4arch9wavefront6targetE0EEEvSK_
                                        ; -- End function
	.set _ZN7rocprim17ROCPRIM_400000_NS6detail17trampoline_kernelINS0_14default_configENS1_36segmented_radix_sort_config_selectorIalEEZNS1_25segmented_radix_sort_implIS3_Lb1EPKaPaPKlPlN2at6native12_GLOBAL__N_18offset_tEEE10hipError_tPvRmT1_PNSt15iterator_traitsISK_E10value_typeET2_T3_PNSL_ISQ_E10value_typeET4_jRbjT5_SW_jjP12ihipStream_tbEUlT_E1_NS1_11comp_targetILNS1_3genE5ELNS1_11target_archE942ELNS1_3gpuE9ELNS1_3repE0EEENS1_59segmented_radix_sort_warp_sort_small_config_static_selectorELNS0_4arch9wavefront6targetE0EEEvSK_.num_vgpr, 0
	.set _ZN7rocprim17ROCPRIM_400000_NS6detail17trampoline_kernelINS0_14default_configENS1_36segmented_radix_sort_config_selectorIalEEZNS1_25segmented_radix_sort_implIS3_Lb1EPKaPaPKlPlN2at6native12_GLOBAL__N_18offset_tEEE10hipError_tPvRmT1_PNSt15iterator_traitsISK_E10value_typeET2_T3_PNSL_ISQ_E10value_typeET4_jRbjT5_SW_jjP12ihipStream_tbEUlT_E1_NS1_11comp_targetILNS1_3genE5ELNS1_11target_archE942ELNS1_3gpuE9ELNS1_3repE0EEENS1_59segmented_radix_sort_warp_sort_small_config_static_selectorELNS0_4arch9wavefront6targetE0EEEvSK_.num_agpr, 0
	.set _ZN7rocprim17ROCPRIM_400000_NS6detail17trampoline_kernelINS0_14default_configENS1_36segmented_radix_sort_config_selectorIalEEZNS1_25segmented_radix_sort_implIS3_Lb1EPKaPaPKlPlN2at6native12_GLOBAL__N_18offset_tEEE10hipError_tPvRmT1_PNSt15iterator_traitsISK_E10value_typeET2_T3_PNSL_ISQ_E10value_typeET4_jRbjT5_SW_jjP12ihipStream_tbEUlT_E1_NS1_11comp_targetILNS1_3genE5ELNS1_11target_archE942ELNS1_3gpuE9ELNS1_3repE0EEENS1_59segmented_radix_sort_warp_sort_small_config_static_selectorELNS0_4arch9wavefront6targetE0EEEvSK_.numbered_sgpr, 0
	.set _ZN7rocprim17ROCPRIM_400000_NS6detail17trampoline_kernelINS0_14default_configENS1_36segmented_radix_sort_config_selectorIalEEZNS1_25segmented_radix_sort_implIS3_Lb1EPKaPaPKlPlN2at6native12_GLOBAL__N_18offset_tEEE10hipError_tPvRmT1_PNSt15iterator_traitsISK_E10value_typeET2_T3_PNSL_ISQ_E10value_typeET4_jRbjT5_SW_jjP12ihipStream_tbEUlT_E1_NS1_11comp_targetILNS1_3genE5ELNS1_11target_archE942ELNS1_3gpuE9ELNS1_3repE0EEENS1_59segmented_radix_sort_warp_sort_small_config_static_selectorELNS0_4arch9wavefront6targetE0EEEvSK_.num_named_barrier, 0
	.set _ZN7rocprim17ROCPRIM_400000_NS6detail17trampoline_kernelINS0_14default_configENS1_36segmented_radix_sort_config_selectorIalEEZNS1_25segmented_radix_sort_implIS3_Lb1EPKaPaPKlPlN2at6native12_GLOBAL__N_18offset_tEEE10hipError_tPvRmT1_PNSt15iterator_traitsISK_E10value_typeET2_T3_PNSL_ISQ_E10value_typeET4_jRbjT5_SW_jjP12ihipStream_tbEUlT_E1_NS1_11comp_targetILNS1_3genE5ELNS1_11target_archE942ELNS1_3gpuE9ELNS1_3repE0EEENS1_59segmented_radix_sort_warp_sort_small_config_static_selectorELNS0_4arch9wavefront6targetE0EEEvSK_.private_seg_size, 0
	.set _ZN7rocprim17ROCPRIM_400000_NS6detail17trampoline_kernelINS0_14default_configENS1_36segmented_radix_sort_config_selectorIalEEZNS1_25segmented_radix_sort_implIS3_Lb1EPKaPaPKlPlN2at6native12_GLOBAL__N_18offset_tEEE10hipError_tPvRmT1_PNSt15iterator_traitsISK_E10value_typeET2_T3_PNSL_ISQ_E10value_typeET4_jRbjT5_SW_jjP12ihipStream_tbEUlT_E1_NS1_11comp_targetILNS1_3genE5ELNS1_11target_archE942ELNS1_3gpuE9ELNS1_3repE0EEENS1_59segmented_radix_sort_warp_sort_small_config_static_selectorELNS0_4arch9wavefront6targetE0EEEvSK_.uses_vcc, 0
	.set _ZN7rocprim17ROCPRIM_400000_NS6detail17trampoline_kernelINS0_14default_configENS1_36segmented_radix_sort_config_selectorIalEEZNS1_25segmented_radix_sort_implIS3_Lb1EPKaPaPKlPlN2at6native12_GLOBAL__N_18offset_tEEE10hipError_tPvRmT1_PNSt15iterator_traitsISK_E10value_typeET2_T3_PNSL_ISQ_E10value_typeET4_jRbjT5_SW_jjP12ihipStream_tbEUlT_E1_NS1_11comp_targetILNS1_3genE5ELNS1_11target_archE942ELNS1_3gpuE9ELNS1_3repE0EEENS1_59segmented_radix_sort_warp_sort_small_config_static_selectorELNS0_4arch9wavefront6targetE0EEEvSK_.uses_flat_scratch, 0
	.set _ZN7rocprim17ROCPRIM_400000_NS6detail17trampoline_kernelINS0_14default_configENS1_36segmented_radix_sort_config_selectorIalEEZNS1_25segmented_radix_sort_implIS3_Lb1EPKaPaPKlPlN2at6native12_GLOBAL__N_18offset_tEEE10hipError_tPvRmT1_PNSt15iterator_traitsISK_E10value_typeET2_T3_PNSL_ISQ_E10value_typeET4_jRbjT5_SW_jjP12ihipStream_tbEUlT_E1_NS1_11comp_targetILNS1_3genE5ELNS1_11target_archE942ELNS1_3gpuE9ELNS1_3repE0EEENS1_59segmented_radix_sort_warp_sort_small_config_static_selectorELNS0_4arch9wavefront6targetE0EEEvSK_.has_dyn_sized_stack, 0
	.set _ZN7rocprim17ROCPRIM_400000_NS6detail17trampoline_kernelINS0_14default_configENS1_36segmented_radix_sort_config_selectorIalEEZNS1_25segmented_radix_sort_implIS3_Lb1EPKaPaPKlPlN2at6native12_GLOBAL__N_18offset_tEEE10hipError_tPvRmT1_PNSt15iterator_traitsISK_E10value_typeET2_T3_PNSL_ISQ_E10value_typeET4_jRbjT5_SW_jjP12ihipStream_tbEUlT_E1_NS1_11comp_targetILNS1_3genE5ELNS1_11target_archE942ELNS1_3gpuE9ELNS1_3repE0EEENS1_59segmented_radix_sort_warp_sort_small_config_static_selectorELNS0_4arch9wavefront6targetE0EEEvSK_.has_recursion, 0
	.set _ZN7rocprim17ROCPRIM_400000_NS6detail17trampoline_kernelINS0_14default_configENS1_36segmented_radix_sort_config_selectorIalEEZNS1_25segmented_radix_sort_implIS3_Lb1EPKaPaPKlPlN2at6native12_GLOBAL__N_18offset_tEEE10hipError_tPvRmT1_PNSt15iterator_traitsISK_E10value_typeET2_T3_PNSL_ISQ_E10value_typeET4_jRbjT5_SW_jjP12ihipStream_tbEUlT_E1_NS1_11comp_targetILNS1_3genE5ELNS1_11target_archE942ELNS1_3gpuE9ELNS1_3repE0EEENS1_59segmented_radix_sort_warp_sort_small_config_static_selectorELNS0_4arch9wavefront6targetE0EEEvSK_.has_indirect_call, 0
	.section	.AMDGPU.csdata,"",@progbits
; Kernel info:
; codeLenInByte = 0
; TotalNumSgprs: 0
; NumVgprs: 0
; ScratchSize: 0
; MemoryBound: 0
; FloatMode: 240
; IeeeMode: 1
; LDSByteSize: 0 bytes/workgroup (compile time only)
; SGPRBlocks: 0
; VGPRBlocks: 0
; NumSGPRsForWavesPerEU: 1
; NumVGPRsForWavesPerEU: 1
; Occupancy: 16
; WaveLimiterHint : 0
; COMPUTE_PGM_RSRC2:SCRATCH_EN: 0
; COMPUTE_PGM_RSRC2:USER_SGPR: 2
; COMPUTE_PGM_RSRC2:TRAP_HANDLER: 0
; COMPUTE_PGM_RSRC2:TGID_X_EN: 1
; COMPUTE_PGM_RSRC2:TGID_Y_EN: 0
; COMPUTE_PGM_RSRC2:TGID_Z_EN: 0
; COMPUTE_PGM_RSRC2:TIDIG_COMP_CNT: 0
	.section	.text._ZN7rocprim17ROCPRIM_400000_NS6detail17trampoline_kernelINS0_14default_configENS1_36segmented_radix_sort_config_selectorIalEEZNS1_25segmented_radix_sort_implIS3_Lb1EPKaPaPKlPlN2at6native12_GLOBAL__N_18offset_tEEE10hipError_tPvRmT1_PNSt15iterator_traitsISK_E10value_typeET2_T3_PNSL_ISQ_E10value_typeET4_jRbjT5_SW_jjP12ihipStream_tbEUlT_E1_NS1_11comp_targetILNS1_3genE4ELNS1_11target_archE910ELNS1_3gpuE8ELNS1_3repE0EEENS1_59segmented_radix_sort_warp_sort_small_config_static_selectorELNS0_4arch9wavefront6targetE0EEEvSK_,"axG",@progbits,_ZN7rocprim17ROCPRIM_400000_NS6detail17trampoline_kernelINS0_14default_configENS1_36segmented_radix_sort_config_selectorIalEEZNS1_25segmented_radix_sort_implIS3_Lb1EPKaPaPKlPlN2at6native12_GLOBAL__N_18offset_tEEE10hipError_tPvRmT1_PNSt15iterator_traitsISK_E10value_typeET2_T3_PNSL_ISQ_E10value_typeET4_jRbjT5_SW_jjP12ihipStream_tbEUlT_E1_NS1_11comp_targetILNS1_3genE4ELNS1_11target_archE910ELNS1_3gpuE8ELNS1_3repE0EEENS1_59segmented_radix_sort_warp_sort_small_config_static_selectorELNS0_4arch9wavefront6targetE0EEEvSK_,comdat
	.globl	_ZN7rocprim17ROCPRIM_400000_NS6detail17trampoline_kernelINS0_14default_configENS1_36segmented_radix_sort_config_selectorIalEEZNS1_25segmented_radix_sort_implIS3_Lb1EPKaPaPKlPlN2at6native12_GLOBAL__N_18offset_tEEE10hipError_tPvRmT1_PNSt15iterator_traitsISK_E10value_typeET2_T3_PNSL_ISQ_E10value_typeET4_jRbjT5_SW_jjP12ihipStream_tbEUlT_E1_NS1_11comp_targetILNS1_3genE4ELNS1_11target_archE910ELNS1_3gpuE8ELNS1_3repE0EEENS1_59segmented_radix_sort_warp_sort_small_config_static_selectorELNS0_4arch9wavefront6targetE0EEEvSK_ ; -- Begin function _ZN7rocprim17ROCPRIM_400000_NS6detail17trampoline_kernelINS0_14default_configENS1_36segmented_radix_sort_config_selectorIalEEZNS1_25segmented_radix_sort_implIS3_Lb1EPKaPaPKlPlN2at6native12_GLOBAL__N_18offset_tEEE10hipError_tPvRmT1_PNSt15iterator_traitsISK_E10value_typeET2_T3_PNSL_ISQ_E10value_typeET4_jRbjT5_SW_jjP12ihipStream_tbEUlT_E1_NS1_11comp_targetILNS1_3genE4ELNS1_11target_archE910ELNS1_3gpuE8ELNS1_3repE0EEENS1_59segmented_radix_sort_warp_sort_small_config_static_selectorELNS0_4arch9wavefront6targetE0EEEvSK_
	.p2align	8
	.type	_ZN7rocprim17ROCPRIM_400000_NS6detail17trampoline_kernelINS0_14default_configENS1_36segmented_radix_sort_config_selectorIalEEZNS1_25segmented_radix_sort_implIS3_Lb1EPKaPaPKlPlN2at6native12_GLOBAL__N_18offset_tEEE10hipError_tPvRmT1_PNSt15iterator_traitsISK_E10value_typeET2_T3_PNSL_ISQ_E10value_typeET4_jRbjT5_SW_jjP12ihipStream_tbEUlT_E1_NS1_11comp_targetILNS1_3genE4ELNS1_11target_archE910ELNS1_3gpuE8ELNS1_3repE0EEENS1_59segmented_radix_sort_warp_sort_small_config_static_selectorELNS0_4arch9wavefront6targetE0EEEvSK_,@function
_ZN7rocprim17ROCPRIM_400000_NS6detail17trampoline_kernelINS0_14default_configENS1_36segmented_radix_sort_config_selectorIalEEZNS1_25segmented_radix_sort_implIS3_Lb1EPKaPaPKlPlN2at6native12_GLOBAL__N_18offset_tEEE10hipError_tPvRmT1_PNSt15iterator_traitsISK_E10value_typeET2_T3_PNSL_ISQ_E10value_typeET4_jRbjT5_SW_jjP12ihipStream_tbEUlT_E1_NS1_11comp_targetILNS1_3genE4ELNS1_11target_archE910ELNS1_3gpuE8ELNS1_3repE0EEENS1_59segmented_radix_sort_warp_sort_small_config_static_selectorELNS0_4arch9wavefront6targetE0EEEvSK_: ; @_ZN7rocprim17ROCPRIM_400000_NS6detail17trampoline_kernelINS0_14default_configENS1_36segmented_radix_sort_config_selectorIalEEZNS1_25segmented_radix_sort_implIS3_Lb1EPKaPaPKlPlN2at6native12_GLOBAL__N_18offset_tEEE10hipError_tPvRmT1_PNSt15iterator_traitsISK_E10value_typeET2_T3_PNSL_ISQ_E10value_typeET4_jRbjT5_SW_jjP12ihipStream_tbEUlT_E1_NS1_11comp_targetILNS1_3genE4ELNS1_11target_archE910ELNS1_3gpuE8ELNS1_3repE0EEENS1_59segmented_radix_sort_warp_sort_small_config_static_selectorELNS0_4arch9wavefront6targetE0EEEvSK_
; %bb.0:
	.section	.rodata,"a",@progbits
	.p2align	6, 0x0
	.amdhsa_kernel _ZN7rocprim17ROCPRIM_400000_NS6detail17trampoline_kernelINS0_14default_configENS1_36segmented_radix_sort_config_selectorIalEEZNS1_25segmented_radix_sort_implIS3_Lb1EPKaPaPKlPlN2at6native12_GLOBAL__N_18offset_tEEE10hipError_tPvRmT1_PNSt15iterator_traitsISK_E10value_typeET2_T3_PNSL_ISQ_E10value_typeET4_jRbjT5_SW_jjP12ihipStream_tbEUlT_E1_NS1_11comp_targetILNS1_3genE4ELNS1_11target_archE910ELNS1_3gpuE8ELNS1_3repE0EEENS1_59segmented_radix_sort_warp_sort_small_config_static_selectorELNS0_4arch9wavefront6targetE0EEEvSK_
		.amdhsa_group_segment_fixed_size 0
		.amdhsa_private_segment_fixed_size 0
		.amdhsa_kernarg_size 88
		.amdhsa_user_sgpr_count 2
		.amdhsa_user_sgpr_dispatch_ptr 0
		.amdhsa_user_sgpr_queue_ptr 0
		.amdhsa_user_sgpr_kernarg_segment_ptr 1
		.amdhsa_user_sgpr_dispatch_id 0
		.amdhsa_user_sgpr_private_segment_size 0
		.amdhsa_wavefront_size32 1
		.amdhsa_uses_dynamic_stack 0
		.amdhsa_enable_private_segment 0
		.amdhsa_system_sgpr_workgroup_id_x 1
		.amdhsa_system_sgpr_workgroup_id_y 0
		.amdhsa_system_sgpr_workgroup_id_z 0
		.amdhsa_system_sgpr_workgroup_info 0
		.amdhsa_system_vgpr_workitem_id 0
		.amdhsa_next_free_vgpr 1
		.amdhsa_next_free_sgpr 1
		.amdhsa_reserve_vcc 0
		.amdhsa_float_round_mode_32 0
		.amdhsa_float_round_mode_16_64 0
		.amdhsa_float_denorm_mode_32 3
		.amdhsa_float_denorm_mode_16_64 3
		.amdhsa_fp16_overflow 0
		.amdhsa_workgroup_processor_mode 1
		.amdhsa_memory_ordered 1
		.amdhsa_forward_progress 1
		.amdhsa_inst_pref_size 0
		.amdhsa_round_robin_scheduling 0
		.amdhsa_exception_fp_ieee_invalid_op 0
		.amdhsa_exception_fp_denorm_src 0
		.amdhsa_exception_fp_ieee_div_zero 0
		.amdhsa_exception_fp_ieee_overflow 0
		.amdhsa_exception_fp_ieee_underflow 0
		.amdhsa_exception_fp_ieee_inexact 0
		.amdhsa_exception_int_div_zero 0
	.end_amdhsa_kernel
	.section	.text._ZN7rocprim17ROCPRIM_400000_NS6detail17trampoline_kernelINS0_14default_configENS1_36segmented_radix_sort_config_selectorIalEEZNS1_25segmented_radix_sort_implIS3_Lb1EPKaPaPKlPlN2at6native12_GLOBAL__N_18offset_tEEE10hipError_tPvRmT1_PNSt15iterator_traitsISK_E10value_typeET2_T3_PNSL_ISQ_E10value_typeET4_jRbjT5_SW_jjP12ihipStream_tbEUlT_E1_NS1_11comp_targetILNS1_3genE4ELNS1_11target_archE910ELNS1_3gpuE8ELNS1_3repE0EEENS1_59segmented_radix_sort_warp_sort_small_config_static_selectorELNS0_4arch9wavefront6targetE0EEEvSK_,"axG",@progbits,_ZN7rocprim17ROCPRIM_400000_NS6detail17trampoline_kernelINS0_14default_configENS1_36segmented_radix_sort_config_selectorIalEEZNS1_25segmented_radix_sort_implIS3_Lb1EPKaPaPKlPlN2at6native12_GLOBAL__N_18offset_tEEE10hipError_tPvRmT1_PNSt15iterator_traitsISK_E10value_typeET2_T3_PNSL_ISQ_E10value_typeET4_jRbjT5_SW_jjP12ihipStream_tbEUlT_E1_NS1_11comp_targetILNS1_3genE4ELNS1_11target_archE910ELNS1_3gpuE8ELNS1_3repE0EEENS1_59segmented_radix_sort_warp_sort_small_config_static_selectorELNS0_4arch9wavefront6targetE0EEEvSK_,comdat
.Lfunc_end312:
	.size	_ZN7rocprim17ROCPRIM_400000_NS6detail17trampoline_kernelINS0_14default_configENS1_36segmented_radix_sort_config_selectorIalEEZNS1_25segmented_radix_sort_implIS3_Lb1EPKaPaPKlPlN2at6native12_GLOBAL__N_18offset_tEEE10hipError_tPvRmT1_PNSt15iterator_traitsISK_E10value_typeET2_T3_PNSL_ISQ_E10value_typeET4_jRbjT5_SW_jjP12ihipStream_tbEUlT_E1_NS1_11comp_targetILNS1_3genE4ELNS1_11target_archE910ELNS1_3gpuE8ELNS1_3repE0EEENS1_59segmented_radix_sort_warp_sort_small_config_static_selectorELNS0_4arch9wavefront6targetE0EEEvSK_, .Lfunc_end312-_ZN7rocprim17ROCPRIM_400000_NS6detail17trampoline_kernelINS0_14default_configENS1_36segmented_radix_sort_config_selectorIalEEZNS1_25segmented_radix_sort_implIS3_Lb1EPKaPaPKlPlN2at6native12_GLOBAL__N_18offset_tEEE10hipError_tPvRmT1_PNSt15iterator_traitsISK_E10value_typeET2_T3_PNSL_ISQ_E10value_typeET4_jRbjT5_SW_jjP12ihipStream_tbEUlT_E1_NS1_11comp_targetILNS1_3genE4ELNS1_11target_archE910ELNS1_3gpuE8ELNS1_3repE0EEENS1_59segmented_radix_sort_warp_sort_small_config_static_selectorELNS0_4arch9wavefront6targetE0EEEvSK_
                                        ; -- End function
	.set _ZN7rocprim17ROCPRIM_400000_NS6detail17trampoline_kernelINS0_14default_configENS1_36segmented_radix_sort_config_selectorIalEEZNS1_25segmented_radix_sort_implIS3_Lb1EPKaPaPKlPlN2at6native12_GLOBAL__N_18offset_tEEE10hipError_tPvRmT1_PNSt15iterator_traitsISK_E10value_typeET2_T3_PNSL_ISQ_E10value_typeET4_jRbjT5_SW_jjP12ihipStream_tbEUlT_E1_NS1_11comp_targetILNS1_3genE4ELNS1_11target_archE910ELNS1_3gpuE8ELNS1_3repE0EEENS1_59segmented_radix_sort_warp_sort_small_config_static_selectorELNS0_4arch9wavefront6targetE0EEEvSK_.num_vgpr, 0
	.set _ZN7rocprim17ROCPRIM_400000_NS6detail17trampoline_kernelINS0_14default_configENS1_36segmented_radix_sort_config_selectorIalEEZNS1_25segmented_radix_sort_implIS3_Lb1EPKaPaPKlPlN2at6native12_GLOBAL__N_18offset_tEEE10hipError_tPvRmT1_PNSt15iterator_traitsISK_E10value_typeET2_T3_PNSL_ISQ_E10value_typeET4_jRbjT5_SW_jjP12ihipStream_tbEUlT_E1_NS1_11comp_targetILNS1_3genE4ELNS1_11target_archE910ELNS1_3gpuE8ELNS1_3repE0EEENS1_59segmented_radix_sort_warp_sort_small_config_static_selectorELNS0_4arch9wavefront6targetE0EEEvSK_.num_agpr, 0
	.set _ZN7rocprim17ROCPRIM_400000_NS6detail17trampoline_kernelINS0_14default_configENS1_36segmented_radix_sort_config_selectorIalEEZNS1_25segmented_radix_sort_implIS3_Lb1EPKaPaPKlPlN2at6native12_GLOBAL__N_18offset_tEEE10hipError_tPvRmT1_PNSt15iterator_traitsISK_E10value_typeET2_T3_PNSL_ISQ_E10value_typeET4_jRbjT5_SW_jjP12ihipStream_tbEUlT_E1_NS1_11comp_targetILNS1_3genE4ELNS1_11target_archE910ELNS1_3gpuE8ELNS1_3repE0EEENS1_59segmented_radix_sort_warp_sort_small_config_static_selectorELNS0_4arch9wavefront6targetE0EEEvSK_.numbered_sgpr, 0
	.set _ZN7rocprim17ROCPRIM_400000_NS6detail17trampoline_kernelINS0_14default_configENS1_36segmented_radix_sort_config_selectorIalEEZNS1_25segmented_radix_sort_implIS3_Lb1EPKaPaPKlPlN2at6native12_GLOBAL__N_18offset_tEEE10hipError_tPvRmT1_PNSt15iterator_traitsISK_E10value_typeET2_T3_PNSL_ISQ_E10value_typeET4_jRbjT5_SW_jjP12ihipStream_tbEUlT_E1_NS1_11comp_targetILNS1_3genE4ELNS1_11target_archE910ELNS1_3gpuE8ELNS1_3repE0EEENS1_59segmented_radix_sort_warp_sort_small_config_static_selectorELNS0_4arch9wavefront6targetE0EEEvSK_.num_named_barrier, 0
	.set _ZN7rocprim17ROCPRIM_400000_NS6detail17trampoline_kernelINS0_14default_configENS1_36segmented_radix_sort_config_selectorIalEEZNS1_25segmented_radix_sort_implIS3_Lb1EPKaPaPKlPlN2at6native12_GLOBAL__N_18offset_tEEE10hipError_tPvRmT1_PNSt15iterator_traitsISK_E10value_typeET2_T3_PNSL_ISQ_E10value_typeET4_jRbjT5_SW_jjP12ihipStream_tbEUlT_E1_NS1_11comp_targetILNS1_3genE4ELNS1_11target_archE910ELNS1_3gpuE8ELNS1_3repE0EEENS1_59segmented_radix_sort_warp_sort_small_config_static_selectorELNS0_4arch9wavefront6targetE0EEEvSK_.private_seg_size, 0
	.set _ZN7rocprim17ROCPRIM_400000_NS6detail17trampoline_kernelINS0_14default_configENS1_36segmented_radix_sort_config_selectorIalEEZNS1_25segmented_radix_sort_implIS3_Lb1EPKaPaPKlPlN2at6native12_GLOBAL__N_18offset_tEEE10hipError_tPvRmT1_PNSt15iterator_traitsISK_E10value_typeET2_T3_PNSL_ISQ_E10value_typeET4_jRbjT5_SW_jjP12ihipStream_tbEUlT_E1_NS1_11comp_targetILNS1_3genE4ELNS1_11target_archE910ELNS1_3gpuE8ELNS1_3repE0EEENS1_59segmented_radix_sort_warp_sort_small_config_static_selectorELNS0_4arch9wavefront6targetE0EEEvSK_.uses_vcc, 0
	.set _ZN7rocprim17ROCPRIM_400000_NS6detail17trampoline_kernelINS0_14default_configENS1_36segmented_radix_sort_config_selectorIalEEZNS1_25segmented_radix_sort_implIS3_Lb1EPKaPaPKlPlN2at6native12_GLOBAL__N_18offset_tEEE10hipError_tPvRmT1_PNSt15iterator_traitsISK_E10value_typeET2_T3_PNSL_ISQ_E10value_typeET4_jRbjT5_SW_jjP12ihipStream_tbEUlT_E1_NS1_11comp_targetILNS1_3genE4ELNS1_11target_archE910ELNS1_3gpuE8ELNS1_3repE0EEENS1_59segmented_radix_sort_warp_sort_small_config_static_selectorELNS0_4arch9wavefront6targetE0EEEvSK_.uses_flat_scratch, 0
	.set _ZN7rocprim17ROCPRIM_400000_NS6detail17trampoline_kernelINS0_14default_configENS1_36segmented_radix_sort_config_selectorIalEEZNS1_25segmented_radix_sort_implIS3_Lb1EPKaPaPKlPlN2at6native12_GLOBAL__N_18offset_tEEE10hipError_tPvRmT1_PNSt15iterator_traitsISK_E10value_typeET2_T3_PNSL_ISQ_E10value_typeET4_jRbjT5_SW_jjP12ihipStream_tbEUlT_E1_NS1_11comp_targetILNS1_3genE4ELNS1_11target_archE910ELNS1_3gpuE8ELNS1_3repE0EEENS1_59segmented_radix_sort_warp_sort_small_config_static_selectorELNS0_4arch9wavefront6targetE0EEEvSK_.has_dyn_sized_stack, 0
	.set _ZN7rocprim17ROCPRIM_400000_NS6detail17trampoline_kernelINS0_14default_configENS1_36segmented_radix_sort_config_selectorIalEEZNS1_25segmented_radix_sort_implIS3_Lb1EPKaPaPKlPlN2at6native12_GLOBAL__N_18offset_tEEE10hipError_tPvRmT1_PNSt15iterator_traitsISK_E10value_typeET2_T3_PNSL_ISQ_E10value_typeET4_jRbjT5_SW_jjP12ihipStream_tbEUlT_E1_NS1_11comp_targetILNS1_3genE4ELNS1_11target_archE910ELNS1_3gpuE8ELNS1_3repE0EEENS1_59segmented_radix_sort_warp_sort_small_config_static_selectorELNS0_4arch9wavefront6targetE0EEEvSK_.has_recursion, 0
	.set _ZN7rocprim17ROCPRIM_400000_NS6detail17trampoline_kernelINS0_14default_configENS1_36segmented_radix_sort_config_selectorIalEEZNS1_25segmented_radix_sort_implIS3_Lb1EPKaPaPKlPlN2at6native12_GLOBAL__N_18offset_tEEE10hipError_tPvRmT1_PNSt15iterator_traitsISK_E10value_typeET2_T3_PNSL_ISQ_E10value_typeET4_jRbjT5_SW_jjP12ihipStream_tbEUlT_E1_NS1_11comp_targetILNS1_3genE4ELNS1_11target_archE910ELNS1_3gpuE8ELNS1_3repE0EEENS1_59segmented_radix_sort_warp_sort_small_config_static_selectorELNS0_4arch9wavefront6targetE0EEEvSK_.has_indirect_call, 0
	.section	.AMDGPU.csdata,"",@progbits
; Kernel info:
; codeLenInByte = 0
; TotalNumSgprs: 0
; NumVgprs: 0
; ScratchSize: 0
; MemoryBound: 0
; FloatMode: 240
; IeeeMode: 1
; LDSByteSize: 0 bytes/workgroup (compile time only)
; SGPRBlocks: 0
; VGPRBlocks: 0
; NumSGPRsForWavesPerEU: 1
; NumVGPRsForWavesPerEU: 1
; Occupancy: 16
; WaveLimiterHint : 0
; COMPUTE_PGM_RSRC2:SCRATCH_EN: 0
; COMPUTE_PGM_RSRC2:USER_SGPR: 2
; COMPUTE_PGM_RSRC2:TRAP_HANDLER: 0
; COMPUTE_PGM_RSRC2:TGID_X_EN: 1
; COMPUTE_PGM_RSRC2:TGID_Y_EN: 0
; COMPUTE_PGM_RSRC2:TGID_Z_EN: 0
; COMPUTE_PGM_RSRC2:TIDIG_COMP_CNT: 0
	.section	.text._ZN7rocprim17ROCPRIM_400000_NS6detail17trampoline_kernelINS0_14default_configENS1_36segmented_radix_sort_config_selectorIalEEZNS1_25segmented_radix_sort_implIS3_Lb1EPKaPaPKlPlN2at6native12_GLOBAL__N_18offset_tEEE10hipError_tPvRmT1_PNSt15iterator_traitsISK_E10value_typeET2_T3_PNSL_ISQ_E10value_typeET4_jRbjT5_SW_jjP12ihipStream_tbEUlT_E1_NS1_11comp_targetILNS1_3genE3ELNS1_11target_archE908ELNS1_3gpuE7ELNS1_3repE0EEENS1_59segmented_radix_sort_warp_sort_small_config_static_selectorELNS0_4arch9wavefront6targetE0EEEvSK_,"axG",@progbits,_ZN7rocprim17ROCPRIM_400000_NS6detail17trampoline_kernelINS0_14default_configENS1_36segmented_radix_sort_config_selectorIalEEZNS1_25segmented_radix_sort_implIS3_Lb1EPKaPaPKlPlN2at6native12_GLOBAL__N_18offset_tEEE10hipError_tPvRmT1_PNSt15iterator_traitsISK_E10value_typeET2_T3_PNSL_ISQ_E10value_typeET4_jRbjT5_SW_jjP12ihipStream_tbEUlT_E1_NS1_11comp_targetILNS1_3genE3ELNS1_11target_archE908ELNS1_3gpuE7ELNS1_3repE0EEENS1_59segmented_radix_sort_warp_sort_small_config_static_selectorELNS0_4arch9wavefront6targetE0EEEvSK_,comdat
	.globl	_ZN7rocprim17ROCPRIM_400000_NS6detail17trampoline_kernelINS0_14default_configENS1_36segmented_radix_sort_config_selectorIalEEZNS1_25segmented_radix_sort_implIS3_Lb1EPKaPaPKlPlN2at6native12_GLOBAL__N_18offset_tEEE10hipError_tPvRmT1_PNSt15iterator_traitsISK_E10value_typeET2_T3_PNSL_ISQ_E10value_typeET4_jRbjT5_SW_jjP12ihipStream_tbEUlT_E1_NS1_11comp_targetILNS1_3genE3ELNS1_11target_archE908ELNS1_3gpuE7ELNS1_3repE0EEENS1_59segmented_radix_sort_warp_sort_small_config_static_selectorELNS0_4arch9wavefront6targetE0EEEvSK_ ; -- Begin function _ZN7rocprim17ROCPRIM_400000_NS6detail17trampoline_kernelINS0_14default_configENS1_36segmented_radix_sort_config_selectorIalEEZNS1_25segmented_radix_sort_implIS3_Lb1EPKaPaPKlPlN2at6native12_GLOBAL__N_18offset_tEEE10hipError_tPvRmT1_PNSt15iterator_traitsISK_E10value_typeET2_T3_PNSL_ISQ_E10value_typeET4_jRbjT5_SW_jjP12ihipStream_tbEUlT_E1_NS1_11comp_targetILNS1_3genE3ELNS1_11target_archE908ELNS1_3gpuE7ELNS1_3repE0EEENS1_59segmented_radix_sort_warp_sort_small_config_static_selectorELNS0_4arch9wavefront6targetE0EEEvSK_
	.p2align	8
	.type	_ZN7rocprim17ROCPRIM_400000_NS6detail17trampoline_kernelINS0_14default_configENS1_36segmented_radix_sort_config_selectorIalEEZNS1_25segmented_radix_sort_implIS3_Lb1EPKaPaPKlPlN2at6native12_GLOBAL__N_18offset_tEEE10hipError_tPvRmT1_PNSt15iterator_traitsISK_E10value_typeET2_T3_PNSL_ISQ_E10value_typeET4_jRbjT5_SW_jjP12ihipStream_tbEUlT_E1_NS1_11comp_targetILNS1_3genE3ELNS1_11target_archE908ELNS1_3gpuE7ELNS1_3repE0EEENS1_59segmented_radix_sort_warp_sort_small_config_static_selectorELNS0_4arch9wavefront6targetE0EEEvSK_,@function
_ZN7rocprim17ROCPRIM_400000_NS6detail17trampoline_kernelINS0_14default_configENS1_36segmented_radix_sort_config_selectorIalEEZNS1_25segmented_radix_sort_implIS3_Lb1EPKaPaPKlPlN2at6native12_GLOBAL__N_18offset_tEEE10hipError_tPvRmT1_PNSt15iterator_traitsISK_E10value_typeET2_T3_PNSL_ISQ_E10value_typeET4_jRbjT5_SW_jjP12ihipStream_tbEUlT_E1_NS1_11comp_targetILNS1_3genE3ELNS1_11target_archE908ELNS1_3gpuE7ELNS1_3repE0EEENS1_59segmented_radix_sort_warp_sort_small_config_static_selectorELNS0_4arch9wavefront6targetE0EEEvSK_: ; @_ZN7rocprim17ROCPRIM_400000_NS6detail17trampoline_kernelINS0_14default_configENS1_36segmented_radix_sort_config_selectorIalEEZNS1_25segmented_radix_sort_implIS3_Lb1EPKaPaPKlPlN2at6native12_GLOBAL__N_18offset_tEEE10hipError_tPvRmT1_PNSt15iterator_traitsISK_E10value_typeET2_T3_PNSL_ISQ_E10value_typeET4_jRbjT5_SW_jjP12ihipStream_tbEUlT_E1_NS1_11comp_targetILNS1_3genE3ELNS1_11target_archE908ELNS1_3gpuE7ELNS1_3repE0EEENS1_59segmented_radix_sort_warp_sort_small_config_static_selectorELNS0_4arch9wavefront6targetE0EEEvSK_
; %bb.0:
	.section	.rodata,"a",@progbits
	.p2align	6, 0x0
	.amdhsa_kernel _ZN7rocprim17ROCPRIM_400000_NS6detail17trampoline_kernelINS0_14default_configENS1_36segmented_radix_sort_config_selectorIalEEZNS1_25segmented_radix_sort_implIS3_Lb1EPKaPaPKlPlN2at6native12_GLOBAL__N_18offset_tEEE10hipError_tPvRmT1_PNSt15iterator_traitsISK_E10value_typeET2_T3_PNSL_ISQ_E10value_typeET4_jRbjT5_SW_jjP12ihipStream_tbEUlT_E1_NS1_11comp_targetILNS1_3genE3ELNS1_11target_archE908ELNS1_3gpuE7ELNS1_3repE0EEENS1_59segmented_radix_sort_warp_sort_small_config_static_selectorELNS0_4arch9wavefront6targetE0EEEvSK_
		.amdhsa_group_segment_fixed_size 0
		.amdhsa_private_segment_fixed_size 0
		.amdhsa_kernarg_size 88
		.amdhsa_user_sgpr_count 2
		.amdhsa_user_sgpr_dispatch_ptr 0
		.amdhsa_user_sgpr_queue_ptr 0
		.amdhsa_user_sgpr_kernarg_segment_ptr 1
		.amdhsa_user_sgpr_dispatch_id 0
		.amdhsa_user_sgpr_private_segment_size 0
		.amdhsa_wavefront_size32 1
		.amdhsa_uses_dynamic_stack 0
		.amdhsa_enable_private_segment 0
		.amdhsa_system_sgpr_workgroup_id_x 1
		.amdhsa_system_sgpr_workgroup_id_y 0
		.amdhsa_system_sgpr_workgroup_id_z 0
		.amdhsa_system_sgpr_workgroup_info 0
		.amdhsa_system_vgpr_workitem_id 0
		.amdhsa_next_free_vgpr 1
		.amdhsa_next_free_sgpr 1
		.amdhsa_reserve_vcc 0
		.amdhsa_float_round_mode_32 0
		.amdhsa_float_round_mode_16_64 0
		.amdhsa_float_denorm_mode_32 3
		.amdhsa_float_denorm_mode_16_64 3
		.amdhsa_fp16_overflow 0
		.amdhsa_workgroup_processor_mode 1
		.amdhsa_memory_ordered 1
		.amdhsa_forward_progress 1
		.amdhsa_inst_pref_size 0
		.amdhsa_round_robin_scheduling 0
		.amdhsa_exception_fp_ieee_invalid_op 0
		.amdhsa_exception_fp_denorm_src 0
		.amdhsa_exception_fp_ieee_div_zero 0
		.amdhsa_exception_fp_ieee_overflow 0
		.amdhsa_exception_fp_ieee_underflow 0
		.amdhsa_exception_fp_ieee_inexact 0
		.amdhsa_exception_int_div_zero 0
	.end_amdhsa_kernel
	.section	.text._ZN7rocprim17ROCPRIM_400000_NS6detail17trampoline_kernelINS0_14default_configENS1_36segmented_radix_sort_config_selectorIalEEZNS1_25segmented_radix_sort_implIS3_Lb1EPKaPaPKlPlN2at6native12_GLOBAL__N_18offset_tEEE10hipError_tPvRmT1_PNSt15iterator_traitsISK_E10value_typeET2_T3_PNSL_ISQ_E10value_typeET4_jRbjT5_SW_jjP12ihipStream_tbEUlT_E1_NS1_11comp_targetILNS1_3genE3ELNS1_11target_archE908ELNS1_3gpuE7ELNS1_3repE0EEENS1_59segmented_radix_sort_warp_sort_small_config_static_selectorELNS0_4arch9wavefront6targetE0EEEvSK_,"axG",@progbits,_ZN7rocprim17ROCPRIM_400000_NS6detail17trampoline_kernelINS0_14default_configENS1_36segmented_radix_sort_config_selectorIalEEZNS1_25segmented_radix_sort_implIS3_Lb1EPKaPaPKlPlN2at6native12_GLOBAL__N_18offset_tEEE10hipError_tPvRmT1_PNSt15iterator_traitsISK_E10value_typeET2_T3_PNSL_ISQ_E10value_typeET4_jRbjT5_SW_jjP12ihipStream_tbEUlT_E1_NS1_11comp_targetILNS1_3genE3ELNS1_11target_archE908ELNS1_3gpuE7ELNS1_3repE0EEENS1_59segmented_radix_sort_warp_sort_small_config_static_selectorELNS0_4arch9wavefront6targetE0EEEvSK_,comdat
.Lfunc_end313:
	.size	_ZN7rocprim17ROCPRIM_400000_NS6detail17trampoline_kernelINS0_14default_configENS1_36segmented_radix_sort_config_selectorIalEEZNS1_25segmented_radix_sort_implIS3_Lb1EPKaPaPKlPlN2at6native12_GLOBAL__N_18offset_tEEE10hipError_tPvRmT1_PNSt15iterator_traitsISK_E10value_typeET2_T3_PNSL_ISQ_E10value_typeET4_jRbjT5_SW_jjP12ihipStream_tbEUlT_E1_NS1_11comp_targetILNS1_3genE3ELNS1_11target_archE908ELNS1_3gpuE7ELNS1_3repE0EEENS1_59segmented_radix_sort_warp_sort_small_config_static_selectorELNS0_4arch9wavefront6targetE0EEEvSK_, .Lfunc_end313-_ZN7rocprim17ROCPRIM_400000_NS6detail17trampoline_kernelINS0_14default_configENS1_36segmented_radix_sort_config_selectorIalEEZNS1_25segmented_radix_sort_implIS3_Lb1EPKaPaPKlPlN2at6native12_GLOBAL__N_18offset_tEEE10hipError_tPvRmT1_PNSt15iterator_traitsISK_E10value_typeET2_T3_PNSL_ISQ_E10value_typeET4_jRbjT5_SW_jjP12ihipStream_tbEUlT_E1_NS1_11comp_targetILNS1_3genE3ELNS1_11target_archE908ELNS1_3gpuE7ELNS1_3repE0EEENS1_59segmented_radix_sort_warp_sort_small_config_static_selectorELNS0_4arch9wavefront6targetE0EEEvSK_
                                        ; -- End function
	.set _ZN7rocprim17ROCPRIM_400000_NS6detail17trampoline_kernelINS0_14default_configENS1_36segmented_radix_sort_config_selectorIalEEZNS1_25segmented_radix_sort_implIS3_Lb1EPKaPaPKlPlN2at6native12_GLOBAL__N_18offset_tEEE10hipError_tPvRmT1_PNSt15iterator_traitsISK_E10value_typeET2_T3_PNSL_ISQ_E10value_typeET4_jRbjT5_SW_jjP12ihipStream_tbEUlT_E1_NS1_11comp_targetILNS1_3genE3ELNS1_11target_archE908ELNS1_3gpuE7ELNS1_3repE0EEENS1_59segmented_radix_sort_warp_sort_small_config_static_selectorELNS0_4arch9wavefront6targetE0EEEvSK_.num_vgpr, 0
	.set _ZN7rocprim17ROCPRIM_400000_NS6detail17trampoline_kernelINS0_14default_configENS1_36segmented_radix_sort_config_selectorIalEEZNS1_25segmented_radix_sort_implIS3_Lb1EPKaPaPKlPlN2at6native12_GLOBAL__N_18offset_tEEE10hipError_tPvRmT1_PNSt15iterator_traitsISK_E10value_typeET2_T3_PNSL_ISQ_E10value_typeET4_jRbjT5_SW_jjP12ihipStream_tbEUlT_E1_NS1_11comp_targetILNS1_3genE3ELNS1_11target_archE908ELNS1_3gpuE7ELNS1_3repE0EEENS1_59segmented_radix_sort_warp_sort_small_config_static_selectorELNS0_4arch9wavefront6targetE0EEEvSK_.num_agpr, 0
	.set _ZN7rocprim17ROCPRIM_400000_NS6detail17trampoline_kernelINS0_14default_configENS1_36segmented_radix_sort_config_selectorIalEEZNS1_25segmented_radix_sort_implIS3_Lb1EPKaPaPKlPlN2at6native12_GLOBAL__N_18offset_tEEE10hipError_tPvRmT1_PNSt15iterator_traitsISK_E10value_typeET2_T3_PNSL_ISQ_E10value_typeET4_jRbjT5_SW_jjP12ihipStream_tbEUlT_E1_NS1_11comp_targetILNS1_3genE3ELNS1_11target_archE908ELNS1_3gpuE7ELNS1_3repE0EEENS1_59segmented_radix_sort_warp_sort_small_config_static_selectorELNS0_4arch9wavefront6targetE0EEEvSK_.numbered_sgpr, 0
	.set _ZN7rocprim17ROCPRIM_400000_NS6detail17trampoline_kernelINS0_14default_configENS1_36segmented_radix_sort_config_selectorIalEEZNS1_25segmented_radix_sort_implIS3_Lb1EPKaPaPKlPlN2at6native12_GLOBAL__N_18offset_tEEE10hipError_tPvRmT1_PNSt15iterator_traitsISK_E10value_typeET2_T3_PNSL_ISQ_E10value_typeET4_jRbjT5_SW_jjP12ihipStream_tbEUlT_E1_NS1_11comp_targetILNS1_3genE3ELNS1_11target_archE908ELNS1_3gpuE7ELNS1_3repE0EEENS1_59segmented_radix_sort_warp_sort_small_config_static_selectorELNS0_4arch9wavefront6targetE0EEEvSK_.num_named_barrier, 0
	.set _ZN7rocprim17ROCPRIM_400000_NS6detail17trampoline_kernelINS0_14default_configENS1_36segmented_radix_sort_config_selectorIalEEZNS1_25segmented_radix_sort_implIS3_Lb1EPKaPaPKlPlN2at6native12_GLOBAL__N_18offset_tEEE10hipError_tPvRmT1_PNSt15iterator_traitsISK_E10value_typeET2_T3_PNSL_ISQ_E10value_typeET4_jRbjT5_SW_jjP12ihipStream_tbEUlT_E1_NS1_11comp_targetILNS1_3genE3ELNS1_11target_archE908ELNS1_3gpuE7ELNS1_3repE0EEENS1_59segmented_radix_sort_warp_sort_small_config_static_selectorELNS0_4arch9wavefront6targetE0EEEvSK_.private_seg_size, 0
	.set _ZN7rocprim17ROCPRIM_400000_NS6detail17trampoline_kernelINS0_14default_configENS1_36segmented_radix_sort_config_selectorIalEEZNS1_25segmented_radix_sort_implIS3_Lb1EPKaPaPKlPlN2at6native12_GLOBAL__N_18offset_tEEE10hipError_tPvRmT1_PNSt15iterator_traitsISK_E10value_typeET2_T3_PNSL_ISQ_E10value_typeET4_jRbjT5_SW_jjP12ihipStream_tbEUlT_E1_NS1_11comp_targetILNS1_3genE3ELNS1_11target_archE908ELNS1_3gpuE7ELNS1_3repE0EEENS1_59segmented_radix_sort_warp_sort_small_config_static_selectorELNS0_4arch9wavefront6targetE0EEEvSK_.uses_vcc, 0
	.set _ZN7rocprim17ROCPRIM_400000_NS6detail17trampoline_kernelINS0_14default_configENS1_36segmented_radix_sort_config_selectorIalEEZNS1_25segmented_radix_sort_implIS3_Lb1EPKaPaPKlPlN2at6native12_GLOBAL__N_18offset_tEEE10hipError_tPvRmT1_PNSt15iterator_traitsISK_E10value_typeET2_T3_PNSL_ISQ_E10value_typeET4_jRbjT5_SW_jjP12ihipStream_tbEUlT_E1_NS1_11comp_targetILNS1_3genE3ELNS1_11target_archE908ELNS1_3gpuE7ELNS1_3repE0EEENS1_59segmented_radix_sort_warp_sort_small_config_static_selectorELNS0_4arch9wavefront6targetE0EEEvSK_.uses_flat_scratch, 0
	.set _ZN7rocprim17ROCPRIM_400000_NS6detail17trampoline_kernelINS0_14default_configENS1_36segmented_radix_sort_config_selectorIalEEZNS1_25segmented_radix_sort_implIS3_Lb1EPKaPaPKlPlN2at6native12_GLOBAL__N_18offset_tEEE10hipError_tPvRmT1_PNSt15iterator_traitsISK_E10value_typeET2_T3_PNSL_ISQ_E10value_typeET4_jRbjT5_SW_jjP12ihipStream_tbEUlT_E1_NS1_11comp_targetILNS1_3genE3ELNS1_11target_archE908ELNS1_3gpuE7ELNS1_3repE0EEENS1_59segmented_radix_sort_warp_sort_small_config_static_selectorELNS0_4arch9wavefront6targetE0EEEvSK_.has_dyn_sized_stack, 0
	.set _ZN7rocprim17ROCPRIM_400000_NS6detail17trampoline_kernelINS0_14default_configENS1_36segmented_radix_sort_config_selectorIalEEZNS1_25segmented_radix_sort_implIS3_Lb1EPKaPaPKlPlN2at6native12_GLOBAL__N_18offset_tEEE10hipError_tPvRmT1_PNSt15iterator_traitsISK_E10value_typeET2_T3_PNSL_ISQ_E10value_typeET4_jRbjT5_SW_jjP12ihipStream_tbEUlT_E1_NS1_11comp_targetILNS1_3genE3ELNS1_11target_archE908ELNS1_3gpuE7ELNS1_3repE0EEENS1_59segmented_radix_sort_warp_sort_small_config_static_selectorELNS0_4arch9wavefront6targetE0EEEvSK_.has_recursion, 0
	.set _ZN7rocprim17ROCPRIM_400000_NS6detail17trampoline_kernelINS0_14default_configENS1_36segmented_radix_sort_config_selectorIalEEZNS1_25segmented_radix_sort_implIS3_Lb1EPKaPaPKlPlN2at6native12_GLOBAL__N_18offset_tEEE10hipError_tPvRmT1_PNSt15iterator_traitsISK_E10value_typeET2_T3_PNSL_ISQ_E10value_typeET4_jRbjT5_SW_jjP12ihipStream_tbEUlT_E1_NS1_11comp_targetILNS1_3genE3ELNS1_11target_archE908ELNS1_3gpuE7ELNS1_3repE0EEENS1_59segmented_radix_sort_warp_sort_small_config_static_selectorELNS0_4arch9wavefront6targetE0EEEvSK_.has_indirect_call, 0
	.section	.AMDGPU.csdata,"",@progbits
; Kernel info:
; codeLenInByte = 0
; TotalNumSgprs: 0
; NumVgprs: 0
; ScratchSize: 0
; MemoryBound: 0
; FloatMode: 240
; IeeeMode: 1
; LDSByteSize: 0 bytes/workgroup (compile time only)
; SGPRBlocks: 0
; VGPRBlocks: 0
; NumSGPRsForWavesPerEU: 1
; NumVGPRsForWavesPerEU: 1
; Occupancy: 16
; WaveLimiterHint : 0
; COMPUTE_PGM_RSRC2:SCRATCH_EN: 0
; COMPUTE_PGM_RSRC2:USER_SGPR: 2
; COMPUTE_PGM_RSRC2:TRAP_HANDLER: 0
; COMPUTE_PGM_RSRC2:TGID_X_EN: 1
; COMPUTE_PGM_RSRC2:TGID_Y_EN: 0
; COMPUTE_PGM_RSRC2:TGID_Z_EN: 0
; COMPUTE_PGM_RSRC2:TIDIG_COMP_CNT: 0
	.section	.text._ZN7rocprim17ROCPRIM_400000_NS6detail17trampoline_kernelINS0_14default_configENS1_36segmented_radix_sort_config_selectorIalEEZNS1_25segmented_radix_sort_implIS3_Lb1EPKaPaPKlPlN2at6native12_GLOBAL__N_18offset_tEEE10hipError_tPvRmT1_PNSt15iterator_traitsISK_E10value_typeET2_T3_PNSL_ISQ_E10value_typeET4_jRbjT5_SW_jjP12ihipStream_tbEUlT_E1_NS1_11comp_targetILNS1_3genE2ELNS1_11target_archE906ELNS1_3gpuE6ELNS1_3repE0EEENS1_59segmented_radix_sort_warp_sort_small_config_static_selectorELNS0_4arch9wavefront6targetE0EEEvSK_,"axG",@progbits,_ZN7rocprim17ROCPRIM_400000_NS6detail17trampoline_kernelINS0_14default_configENS1_36segmented_radix_sort_config_selectorIalEEZNS1_25segmented_radix_sort_implIS3_Lb1EPKaPaPKlPlN2at6native12_GLOBAL__N_18offset_tEEE10hipError_tPvRmT1_PNSt15iterator_traitsISK_E10value_typeET2_T3_PNSL_ISQ_E10value_typeET4_jRbjT5_SW_jjP12ihipStream_tbEUlT_E1_NS1_11comp_targetILNS1_3genE2ELNS1_11target_archE906ELNS1_3gpuE6ELNS1_3repE0EEENS1_59segmented_radix_sort_warp_sort_small_config_static_selectorELNS0_4arch9wavefront6targetE0EEEvSK_,comdat
	.globl	_ZN7rocprim17ROCPRIM_400000_NS6detail17trampoline_kernelINS0_14default_configENS1_36segmented_radix_sort_config_selectorIalEEZNS1_25segmented_radix_sort_implIS3_Lb1EPKaPaPKlPlN2at6native12_GLOBAL__N_18offset_tEEE10hipError_tPvRmT1_PNSt15iterator_traitsISK_E10value_typeET2_T3_PNSL_ISQ_E10value_typeET4_jRbjT5_SW_jjP12ihipStream_tbEUlT_E1_NS1_11comp_targetILNS1_3genE2ELNS1_11target_archE906ELNS1_3gpuE6ELNS1_3repE0EEENS1_59segmented_radix_sort_warp_sort_small_config_static_selectorELNS0_4arch9wavefront6targetE0EEEvSK_ ; -- Begin function _ZN7rocprim17ROCPRIM_400000_NS6detail17trampoline_kernelINS0_14default_configENS1_36segmented_radix_sort_config_selectorIalEEZNS1_25segmented_radix_sort_implIS3_Lb1EPKaPaPKlPlN2at6native12_GLOBAL__N_18offset_tEEE10hipError_tPvRmT1_PNSt15iterator_traitsISK_E10value_typeET2_T3_PNSL_ISQ_E10value_typeET4_jRbjT5_SW_jjP12ihipStream_tbEUlT_E1_NS1_11comp_targetILNS1_3genE2ELNS1_11target_archE906ELNS1_3gpuE6ELNS1_3repE0EEENS1_59segmented_radix_sort_warp_sort_small_config_static_selectorELNS0_4arch9wavefront6targetE0EEEvSK_
	.p2align	8
	.type	_ZN7rocprim17ROCPRIM_400000_NS6detail17trampoline_kernelINS0_14default_configENS1_36segmented_radix_sort_config_selectorIalEEZNS1_25segmented_radix_sort_implIS3_Lb1EPKaPaPKlPlN2at6native12_GLOBAL__N_18offset_tEEE10hipError_tPvRmT1_PNSt15iterator_traitsISK_E10value_typeET2_T3_PNSL_ISQ_E10value_typeET4_jRbjT5_SW_jjP12ihipStream_tbEUlT_E1_NS1_11comp_targetILNS1_3genE2ELNS1_11target_archE906ELNS1_3gpuE6ELNS1_3repE0EEENS1_59segmented_radix_sort_warp_sort_small_config_static_selectorELNS0_4arch9wavefront6targetE0EEEvSK_,@function
_ZN7rocprim17ROCPRIM_400000_NS6detail17trampoline_kernelINS0_14default_configENS1_36segmented_radix_sort_config_selectorIalEEZNS1_25segmented_radix_sort_implIS3_Lb1EPKaPaPKlPlN2at6native12_GLOBAL__N_18offset_tEEE10hipError_tPvRmT1_PNSt15iterator_traitsISK_E10value_typeET2_T3_PNSL_ISQ_E10value_typeET4_jRbjT5_SW_jjP12ihipStream_tbEUlT_E1_NS1_11comp_targetILNS1_3genE2ELNS1_11target_archE906ELNS1_3gpuE6ELNS1_3repE0EEENS1_59segmented_radix_sort_warp_sort_small_config_static_selectorELNS0_4arch9wavefront6targetE0EEEvSK_: ; @_ZN7rocprim17ROCPRIM_400000_NS6detail17trampoline_kernelINS0_14default_configENS1_36segmented_radix_sort_config_selectorIalEEZNS1_25segmented_radix_sort_implIS3_Lb1EPKaPaPKlPlN2at6native12_GLOBAL__N_18offset_tEEE10hipError_tPvRmT1_PNSt15iterator_traitsISK_E10value_typeET2_T3_PNSL_ISQ_E10value_typeET4_jRbjT5_SW_jjP12ihipStream_tbEUlT_E1_NS1_11comp_targetILNS1_3genE2ELNS1_11target_archE906ELNS1_3gpuE6ELNS1_3repE0EEENS1_59segmented_radix_sort_warp_sort_small_config_static_selectorELNS0_4arch9wavefront6targetE0EEEvSK_
; %bb.0:
	.section	.rodata,"a",@progbits
	.p2align	6, 0x0
	.amdhsa_kernel _ZN7rocprim17ROCPRIM_400000_NS6detail17trampoline_kernelINS0_14default_configENS1_36segmented_radix_sort_config_selectorIalEEZNS1_25segmented_radix_sort_implIS3_Lb1EPKaPaPKlPlN2at6native12_GLOBAL__N_18offset_tEEE10hipError_tPvRmT1_PNSt15iterator_traitsISK_E10value_typeET2_T3_PNSL_ISQ_E10value_typeET4_jRbjT5_SW_jjP12ihipStream_tbEUlT_E1_NS1_11comp_targetILNS1_3genE2ELNS1_11target_archE906ELNS1_3gpuE6ELNS1_3repE0EEENS1_59segmented_radix_sort_warp_sort_small_config_static_selectorELNS0_4arch9wavefront6targetE0EEEvSK_
		.amdhsa_group_segment_fixed_size 0
		.amdhsa_private_segment_fixed_size 0
		.amdhsa_kernarg_size 88
		.amdhsa_user_sgpr_count 2
		.amdhsa_user_sgpr_dispatch_ptr 0
		.amdhsa_user_sgpr_queue_ptr 0
		.amdhsa_user_sgpr_kernarg_segment_ptr 1
		.amdhsa_user_sgpr_dispatch_id 0
		.amdhsa_user_sgpr_private_segment_size 0
		.amdhsa_wavefront_size32 1
		.amdhsa_uses_dynamic_stack 0
		.amdhsa_enable_private_segment 0
		.amdhsa_system_sgpr_workgroup_id_x 1
		.amdhsa_system_sgpr_workgroup_id_y 0
		.amdhsa_system_sgpr_workgroup_id_z 0
		.amdhsa_system_sgpr_workgroup_info 0
		.amdhsa_system_vgpr_workitem_id 0
		.amdhsa_next_free_vgpr 1
		.amdhsa_next_free_sgpr 1
		.amdhsa_reserve_vcc 0
		.amdhsa_float_round_mode_32 0
		.amdhsa_float_round_mode_16_64 0
		.amdhsa_float_denorm_mode_32 3
		.amdhsa_float_denorm_mode_16_64 3
		.amdhsa_fp16_overflow 0
		.amdhsa_workgroup_processor_mode 1
		.amdhsa_memory_ordered 1
		.amdhsa_forward_progress 1
		.amdhsa_inst_pref_size 0
		.amdhsa_round_robin_scheduling 0
		.amdhsa_exception_fp_ieee_invalid_op 0
		.amdhsa_exception_fp_denorm_src 0
		.amdhsa_exception_fp_ieee_div_zero 0
		.amdhsa_exception_fp_ieee_overflow 0
		.amdhsa_exception_fp_ieee_underflow 0
		.amdhsa_exception_fp_ieee_inexact 0
		.amdhsa_exception_int_div_zero 0
	.end_amdhsa_kernel
	.section	.text._ZN7rocprim17ROCPRIM_400000_NS6detail17trampoline_kernelINS0_14default_configENS1_36segmented_radix_sort_config_selectorIalEEZNS1_25segmented_radix_sort_implIS3_Lb1EPKaPaPKlPlN2at6native12_GLOBAL__N_18offset_tEEE10hipError_tPvRmT1_PNSt15iterator_traitsISK_E10value_typeET2_T3_PNSL_ISQ_E10value_typeET4_jRbjT5_SW_jjP12ihipStream_tbEUlT_E1_NS1_11comp_targetILNS1_3genE2ELNS1_11target_archE906ELNS1_3gpuE6ELNS1_3repE0EEENS1_59segmented_radix_sort_warp_sort_small_config_static_selectorELNS0_4arch9wavefront6targetE0EEEvSK_,"axG",@progbits,_ZN7rocprim17ROCPRIM_400000_NS6detail17trampoline_kernelINS0_14default_configENS1_36segmented_radix_sort_config_selectorIalEEZNS1_25segmented_radix_sort_implIS3_Lb1EPKaPaPKlPlN2at6native12_GLOBAL__N_18offset_tEEE10hipError_tPvRmT1_PNSt15iterator_traitsISK_E10value_typeET2_T3_PNSL_ISQ_E10value_typeET4_jRbjT5_SW_jjP12ihipStream_tbEUlT_E1_NS1_11comp_targetILNS1_3genE2ELNS1_11target_archE906ELNS1_3gpuE6ELNS1_3repE0EEENS1_59segmented_radix_sort_warp_sort_small_config_static_selectorELNS0_4arch9wavefront6targetE0EEEvSK_,comdat
.Lfunc_end314:
	.size	_ZN7rocprim17ROCPRIM_400000_NS6detail17trampoline_kernelINS0_14default_configENS1_36segmented_radix_sort_config_selectorIalEEZNS1_25segmented_radix_sort_implIS3_Lb1EPKaPaPKlPlN2at6native12_GLOBAL__N_18offset_tEEE10hipError_tPvRmT1_PNSt15iterator_traitsISK_E10value_typeET2_T3_PNSL_ISQ_E10value_typeET4_jRbjT5_SW_jjP12ihipStream_tbEUlT_E1_NS1_11comp_targetILNS1_3genE2ELNS1_11target_archE906ELNS1_3gpuE6ELNS1_3repE0EEENS1_59segmented_radix_sort_warp_sort_small_config_static_selectorELNS0_4arch9wavefront6targetE0EEEvSK_, .Lfunc_end314-_ZN7rocprim17ROCPRIM_400000_NS6detail17trampoline_kernelINS0_14default_configENS1_36segmented_radix_sort_config_selectorIalEEZNS1_25segmented_radix_sort_implIS3_Lb1EPKaPaPKlPlN2at6native12_GLOBAL__N_18offset_tEEE10hipError_tPvRmT1_PNSt15iterator_traitsISK_E10value_typeET2_T3_PNSL_ISQ_E10value_typeET4_jRbjT5_SW_jjP12ihipStream_tbEUlT_E1_NS1_11comp_targetILNS1_3genE2ELNS1_11target_archE906ELNS1_3gpuE6ELNS1_3repE0EEENS1_59segmented_radix_sort_warp_sort_small_config_static_selectorELNS0_4arch9wavefront6targetE0EEEvSK_
                                        ; -- End function
	.set _ZN7rocprim17ROCPRIM_400000_NS6detail17trampoline_kernelINS0_14default_configENS1_36segmented_radix_sort_config_selectorIalEEZNS1_25segmented_radix_sort_implIS3_Lb1EPKaPaPKlPlN2at6native12_GLOBAL__N_18offset_tEEE10hipError_tPvRmT1_PNSt15iterator_traitsISK_E10value_typeET2_T3_PNSL_ISQ_E10value_typeET4_jRbjT5_SW_jjP12ihipStream_tbEUlT_E1_NS1_11comp_targetILNS1_3genE2ELNS1_11target_archE906ELNS1_3gpuE6ELNS1_3repE0EEENS1_59segmented_radix_sort_warp_sort_small_config_static_selectorELNS0_4arch9wavefront6targetE0EEEvSK_.num_vgpr, 0
	.set _ZN7rocprim17ROCPRIM_400000_NS6detail17trampoline_kernelINS0_14default_configENS1_36segmented_radix_sort_config_selectorIalEEZNS1_25segmented_radix_sort_implIS3_Lb1EPKaPaPKlPlN2at6native12_GLOBAL__N_18offset_tEEE10hipError_tPvRmT1_PNSt15iterator_traitsISK_E10value_typeET2_T3_PNSL_ISQ_E10value_typeET4_jRbjT5_SW_jjP12ihipStream_tbEUlT_E1_NS1_11comp_targetILNS1_3genE2ELNS1_11target_archE906ELNS1_3gpuE6ELNS1_3repE0EEENS1_59segmented_radix_sort_warp_sort_small_config_static_selectorELNS0_4arch9wavefront6targetE0EEEvSK_.num_agpr, 0
	.set _ZN7rocprim17ROCPRIM_400000_NS6detail17trampoline_kernelINS0_14default_configENS1_36segmented_radix_sort_config_selectorIalEEZNS1_25segmented_radix_sort_implIS3_Lb1EPKaPaPKlPlN2at6native12_GLOBAL__N_18offset_tEEE10hipError_tPvRmT1_PNSt15iterator_traitsISK_E10value_typeET2_T3_PNSL_ISQ_E10value_typeET4_jRbjT5_SW_jjP12ihipStream_tbEUlT_E1_NS1_11comp_targetILNS1_3genE2ELNS1_11target_archE906ELNS1_3gpuE6ELNS1_3repE0EEENS1_59segmented_radix_sort_warp_sort_small_config_static_selectorELNS0_4arch9wavefront6targetE0EEEvSK_.numbered_sgpr, 0
	.set _ZN7rocprim17ROCPRIM_400000_NS6detail17trampoline_kernelINS0_14default_configENS1_36segmented_radix_sort_config_selectorIalEEZNS1_25segmented_radix_sort_implIS3_Lb1EPKaPaPKlPlN2at6native12_GLOBAL__N_18offset_tEEE10hipError_tPvRmT1_PNSt15iterator_traitsISK_E10value_typeET2_T3_PNSL_ISQ_E10value_typeET4_jRbjT5_SW_jjP12ihipStream_tbEUlT_E1_NS1_11comp_targetILNS1_3genE2ELNS1_11target_archE906ELNS1_3gpuE6ELNS1_3repE0EEENS1_59segmented_radix_sort_warp_sort_small_config_static_selectorELNS0_4arch9wavefront6targetE0EEEvSK_.num_named_barrier, 0
	.set _ZN7rocprim17ROCPRIM_400000_NS6detail17trampoline_kernelINS0_14default_configENS1_36segmented_radix_sort_config_selectorIalEEZNS1_25segmented_radix_sort_implIS3_Lb1EPKaPaPKlPlN2at6native12_GLOBAL__N_18offset_tEEE10hipError_tPvRmT1_PNSt15iterator_traitsISK_E10value_typeET2_T3_PNSL_ISQ_E10value_typeET4_jRbjT5_SW_jjP12ihipStream_tbEUlT_E1_NS1_11comp_targetILNS1_3genE2ELNS1_11target_archE906ELNS1_3gpuE6ELNS1_3repE0EEENS1_59segmented_radix_sort_warp_sort_small_config_static_selectorELNS0_4arch9wavefront6targetE0EEEvSK_.private_seg_size, 0
	.set _ZN7rocprim17ROCPRIM_400000_NS6detail17trampoline_kernelINS0_14default_configENS1_36segmented_radix_sort_config_selectorIalEEZNS1_25segmented_radix_sort_implIS3_Lb1EPKaPaPKlPlN2at6native12_GLOBAL__N_18offset_tEEE10hipError_tPvRmT1_PNSt15iterator_traitsISK_E10value_typeET2_T3_PNSL_ISQ_E10value_typeET4_jRbjT5_SW_jjP12ihipStream_tbEUlT_E1_NS1_11comp_targetILNS1_3genE2ELNS1_11target_archE906ELNS1_3gpuE6ELNS1_3repE0EEENS1_59segmented_radix_sort_warp_sort_small_config_static_selectorELNS0_4arch9wavefront6targetE0EEEvSK_.uses_vcc, 0
	.set _ZN7rocprim17ROCPRIM_400000_NS6detail17trampoline_kernelINS0_14default_configENS1_36segmented_radix_sort_config_selectorIalEEZNS1_25segmented_radix_sort_implIS3_Lb1EPKaPaPKlPlN2at6native12_GLOBAL__N_18offset_tEEE10hipError_tPvRmT1_PNSt15iterator_traitsISK_E10value_typeET2_T3_PNSL_ISQ_E10value_typeET4_jRbjT5_SW_jjP12ihipStream_tbEUlT_E1_NS1_11comp_targetILNS1_3genE2ELNS1_11target_archE906ELNS1_3gpuE6ELNS1_3repE0EEENS1_59segmented_radix_sort_warp_sort_small_config_static_selectorELNS0_4arch9wavefront6targetE0EEEvSK_.uses_flat_scratch, 0
	.set _ZN7rocprim17ROCPRIM_400000_NS6detail17trampoline_kernelINS0_14default_configENS1_36segmented_radix_sort_config_selectorIalEEZNS1_25segmented_radix_sort_implIS3_Lb1EPKaPaPKlPlN2at6native12_GLOBAL__N_18offset_tEEE10hipError_tPvRmT1_PNSt15iterator_traitsISK_E10value_typeET2_T3_PNSL_ISQ_E10value_typeET4_jRbjT5_SW_jjP12ihipStream_tbEUlT_E1_NS1_11comp_targetILNS1_3genE2ELNS1_11target_archE906ELNS1_3gpuE6ELNS1_3repE0EEENS1_59segmented_radix_sort_warp_sort_small_config_static_selectorELNS0_4arch9wavefront6targetE0EEEvSK_.has_dyn_sized_stack, 0
	.set _ZN7rocprim17ROCPRIM_400000_NS6detail17trampoline_kernelINS0_14default_configENS1_36segmented_radix_sort_config_selectorIalEEZNS1_25segmented_radix_sort_implIS3_Lb1EPKaPaPKlPlN2at6native12_GLOBAL__N_18offset_tEEE10hipError_tPvRmT1_PNSt15iterator_traitsISK_E10value_typeET2_T3_PNSL_ISQ_E10value_typeET4_jRbjT5_SW_jjP12ihipStream_tbEUlT_E1_NS1_11comp_targetILNS1_3genE2ELNS1_11target_archE906ELNS1_3gpuE6ELNS1_3repE0EEENS1_59segmented_radix_sort_warp_sort_small_config_static_selectorELNS0_4arch9wavefront6targetE0EEEvSK_.has_recursion, 0
	.set _ZN7rocprim17ROCPRIM_400000_NS6detail17trampoline_kernelINS0_14default_configENS1_36segmented_radix_sort_config_selectorIalEEZNS1_25segmented_radix_sort_implIS3_Lb1EPKaPaPKlPlN2at6native12_GLOBAL__N_18offset_tEEE10hipError_tPvRmT1_PNSt15iterator_traitsISK_E10value_typeET2_T3_PNSL_ISQ_E10value_typeET4_jRbjT5_SW_jjP12ihipStream_tbEUlT_E1_NS1_11comp_targetILNS1_3genE2ELNS1_11target_archE906ELNS1_3gpuE6ELNS1_3repE0EEENS1_59segmented_radix_sort_warp_sort_small_config_static_selectorELNS0_4arch9wavefront6targetE0EEEvSK_.has_indirect_call, 0
	.section	.AMDGPU.csdata,"",@progbits
; Kernel info:
; codeLenInByte = 0
; TotalNumSgprs: 0
; NumVgprs: 0
; ScratchSize: 0
; MemoryBound: 0
; FloatMode: 240
; IeeeMode: 1
; LDSByteSize: 0 bytes/workgroup (compile time only)
; SGPRBlocks: 0
; VGPRBlocks: 0
; NumSGPRsForWavesPerEU: 1
; NumVGPRsForWavesPerEU: 1
; Occupancy: 16
; WaveLimiterHint : 0
; COMPUTE_PGM_RSRC2:SCRATCH_EN: 0
; COMPUTE_PGM_RSRC2:USER_SGPR: 2
; COMPUTE_PGM_RSRC2:TRAP_HANDLER: 0
; COMPUTE_PGM_RSRC2:TGID_X_EN: 1
; COMPUTE_PGM_RSRC2:TGID_Y_EN: 0
; COMPUTE_PGM_RSRC2:TGID_Z_EN: 0
; COMPUTE_PGM_RSRC2:TIDIG_COMP_CNT: 0
	.text
	.p2align	2                               ; -- Begin function _ZN7rocprim17ROCPRIM_400000_NS6detail26segmented_warp_sort_helperINS1_20WarpSortHelperConfigILj8ELj4ELj256EEEalLi256ELb1EvE4sortIPKaPaPKlPlEEvT_T0_T1_T2_jjjjRNS5_12storage_typeE
	.type	_ZN7rocprim17ROCPRIM_400000_NS6detail26segmented_warp_sort_helperINS1_20WarpSortHelperConfigILj8ELj4ELj256EEEalLi256ELb1EvE4sortIPKaPaPKlPlEEvT_T0_T1_T2_jjjjRNS5_12storage_typeE,@function
_ZN7rocprim17ROCPRIM_400000_NS6detail26segmented_warp_sort_helperINS1_20WarpSortHelperConfigILj8ELj4ELj256EEEalLi256ELb1EvE4sortIPKaPaPKlPlEEvT_T0_T1_T2_jjjjRNS5_12storage_typeE: ; @_ZN7rocprim17ROCPRIM_400000_NS6detail26segmented_warp_sort_helperINS1_20WarpSortHelperConfigILj8ELj4ELj256EEEalLi256ELb1EvE4sortIPKaPaPKlPlEEvT_T0_T1_T2_jjjjRNS5_12storage_typeE
; %bb.0:
	s_wait_loadcnt_dscnt 0x0
	s_wait_expcnt 0x0
	s_wait_samplecnt 0x0
	s_wait_bvhcnt 0x0
	s_wait_kmcnt 0x0
	v_mbcnt_lo_u32_b32 v14, -1, 0
	v_add_co_u32 v0, vcc_lo, v0, v8
	s_wait_alu 0xfffd
	v_add_co_ci_u32_e64 v1, null, 0, v1, vcc_lo
	s_delay_alu instid0(VALU_DEP_3) | instskip(SKIP_3) | instid1(VALU_DEP_4)
	v_lshlrev_b32_e32 v24, 2, v14
	v_sub_nc_u32_e32 v14, v9, v8
	v_mov_b32_e32 v9, 0
	v_dual_mov_b32 v25, 0x80 :: v_dual_mov_b32 v26, 0x80
	v_dual_mov_b32 v27, 0x80 :: v_dual_and_b32 v22, 28, v24
	v_mov_b32_e32 v28, 0x80
	s_delay_alu instid0(VALU_DEP_2)
	v_add_co_u32 v0, vcc_lo, v0, v22
	s_wait_alu 0xfffd
	v_add_co_ci_u32_e64 v1, null, 0, v1, vcc_lo
	v_cmp_lt_u32_e32 vcc_lo, v22, v14
	s_and_saveexec_b32 s0, vcc_lo
	s_cbranch_execz .LBB315_2
; %bb.1:
	flat_load_u8 v25, v[0:1]
	v_dual_mov_b32 v27, 0x80 :: v_dual_mov_b32 v26, 0x80
	v_mov_b32_e32 v28, 0x80
.LBB315_2:
	s_wait_alu 0xfffe
	s_or_b32 exec_lo, exec_lo, s0
	v_or_b32_e32 v15, 1, v22
	s_delay_alu instid0(VALU_DEP_1)
	v_cmp_lt_u32_e64 s0, v15, v14
	s_and_saveexec_b32 s1, s0
	s_cbranch_execz .LBB315_4
; %bb.3:
	flat_load_u8 v26, v[0:1] offset:1
.LBB315_4:
	s_wait_alu 0xfffe
	s_or_b32 exec_lo, exec_lo, s1
	v_or_b32_e32 v15, 2, v22
	s_delay_alu instid0(VALU_DEP_1)
	v_cmp_lt_u32_e64 s1, v15, v14
	s_and_saveexec_b32 s2, s1
	s_cbranch_execz .LBB315_6
; %bb.5:
	flat_load_u8 v28, v[0:1] offset:2
.LBB315_6:
	;; [unrolled: 10-line block ×3, first 2 shown]
	s_wait_alu 0xfffe
	s_or_b32 exec_lo, exec_lo, s3
	v_lshlrev_b64_e32 v[0:1], 3, v[8:9]
	v_lshlrev_b32_e32 v23, 3, v22
	; wave barrier
	s_delay_alu instid0(VALU_DEP_2) | instskip(SKIP_1) | instid1(VALU_DEP_3)
	v_add_co_u32 v4, s3, v4, v0
	s_wait_alu 0xf1ff
	v_add_co_ci_u32_e64 v5, null, v5, v1, s3
	s_delay_alu instid0(VALU_DEP_2) | instskip(SKIP_1) | instid1(VALU_DEP_2)
	v_add_co_u32 v20, s3, v4, v23
	s_wait_alu 0xf1ff
	v_add_co_ci_u32_e64 v21, null, 0, v5, s3
                                        ; implicit-def: $vgpr4_vgpr5
	s_and_saveexec_b32 s3, vcc_lo
	s_cbranch_execnz .LBB315_107
; %bb.9:
	s_wait_alu 0xfffe
	s_or_b32 exec_lo, exec_lo, s3
                                        ; implicit-def: $vgpr14_vgpr15
	s_and_saveexec_b32 s3, s0
	s_cbranch_execnz .LBB315_108
.LBB315_10:
	s_wait_alu 0xfffe
	s_or_b32 exec_lo, exec_lo, s3
                                        ; implicit-def: $vgpr18_vgpr19
	s_and_saveexec_b32 s3, s1
	s_cbranch_execnz .LBB315_109
.LBB315_11:
	s_wait_alu 0xfffe
	s_or_b32 exec_lo, exec_lo, s3
                                        ; implicit-def: $vgpr16_vgpr17
	s_and_saveexec_b32 s3, s2
	s_cbranch_execz .LBB315_13
.LBB315_12:
	flat_load_b64 v[16:17], v[20:21] offset:24
.LBB315_13:
	s_wait_alu 0xfffe
	s_or_b32 exec_lo, exec_lo, s3
	v_cmp_ne_u32_e64 s3, 0, v10
	v_cmp_ne_u32_e64 s4, 8, v11
	v_bfe_u32 v20, v31, 10, 10
	v_bfe_u32 v21, v31, 20, 10
	v_and_b32_e32 v9, 0x3ff, v31
	s_mov_b32 s5, 0
	s_or_b32 s3, s3, s4
	; wave barrier
	s_wait_alu 0xfffe
	s_and_saveexec_b32 s4, s3
	s_wait_alu 0xfffe
	s_xor_b32 s11, exec_lo, s4
	s_cbranch_execz .LBB315_55
; %bb.14:
	s_load_b64 s[6:7], s[8:9], 0x0
	s_and_b32 s3, ttmp7, 0xffff
	v_lshlrev_b32_e64 v10, v10, -1
	s_wait_kmcnt 0x0
	s_wait_alu 0xfffe
	s_cmp_lt_u32 s3, s7
	s_cselect_b32 s4, 14, 20
	s_cmp_lt_u32 ttmp9, s6
	s_wait_alu 0xfffe
	s_add_nc_u64 s[12:13], s[8:9], s[4:5]
	s_cselect_b32 s4, 12, 18
	s_load_u16 s3, s[12:13], 0x0
	s_add_nc_u64 s[4:5], s[8:9], s[4:5]
	s_mov_b32 s6, exec_lo
	s_load_u16 s4, s[4:5], 0x0
	s_wait_kmcnt 0x0
	v_mad_u32_u24 v20, v21, s3, v20
	v_lshlrev_b32_e64 v21, v11, -1
	s_delay_alu instid0(VALU_DEP_2) | instskip(NEXT) | instid1(VALU_DEP_2)
	v_mul_lo_u32 v20, v20, s4
	v_xor_b32_e32 v29, v21, v10
	s_delay_alu instid0(VALU_DEP_2) | instskip(NEXT) | instid1(VALU_DEP_1)
	v_add_lshl_u32 v11, v20, v9, 2
	v_cmpx_gt_u32_e32 0x400, v11
	s_cbranch_execz .LBB315_24
; %bb.15:
	s_wait_loadcnt_dscnt 0x0
	v_perm_b32 v9, v28, v27, 0xc0c0004
	v_and_b32_e32 v20, v26, v29
	v_and_b32_e32 v21, v25, v29
	v_perm_b32 v10, v26, v25, 0xc0c0004
	v_perm_b32 v25, v25, v26, 0xc0c0004
	v_lshlrev_b32_e32 v9, 16, v9
	v_bfe_i32 v20, v20, 0, 8
	v_bfe_i32 v21, v21, 0, 8
	s_mov_b32 s5, exec_lo
	s_delay_alu instid0(VALU_DEP_3) | instskip(SKIP_1) | instid1(VALU_DEP_3)
	v_or_b32_e32 v10, v10, v9
	v_or_b32_e32 v9, v25, v9
	v_cmp_gt_i16_e64 s3, v20, v21
	s_wait_alu 0xf1ff
	s_delay_alu instid0(VALU_DEP_1) | instskip(NEXT) | instid1(VALU_DEP_1)
	v_cndmask_b32_e64 v25, v9, v10, s3
	v_lshrrev_b32_e32 v20, 24, v25
	v_lshrrev_b32_e32 v26, 16, v25
	;; [unrolled: 1-line block ×3, first 2 shown]
	s_delay_alu instid0(VALU_DEP_3) | instskip(NEXT) | instid1(VALU_DEP_3)
	v_and_b32_e32 v9, v20, v29
	v_and_b32_e32 v10, v26, v29
	v_mov_b32_e32 v28, v20
	s_delay_alu instid0(VALU_DEP_3) | instskip(NEXT) | instid1(VALU_DEP_3)
	v_bfe_i32 v21, v9, 0, 8
	v_bfe_i32 v31, v10, 0, 8
	v_dual_mov_b32 v9, v18 :: v_dual_mov_b32 v10, v19
	s_delay_alu instid0(VALU_DEP_2)
	v_cmpx_gt_i16_e64 v21, v31
; %bb.16:
	v_dual_mov_b32 v28, v26 :: v_dual_mov_b32 v9, v16
	v_mov_b32_e32 v10, v17
	v_dual_mov_b32 v16, v18 :: v_dual_mov_b32 v31, v21
	v_dual_mov_b32 v17, v19 :: v_dual_mov_b32 v26, v20
; %bb.17:
	s_wait_alu 0xfffe
	s_or_b32 exec_lo, exec_lo, s5
	v_cndmask_b32_e64 v21, v15, v5, s3
	v_cndmask_b32_e64 v20, v14, v4, s3
	v_and_b32_e32 v18, v27, v29
	s_delay_alu instid0(VALU_DEP_1) | instskip(NEXT) | instid1(VALU_DEP_3)
	v_bfe_i32 v30, v18, 0, 8
	v_dual_mov_b32 v18, v20 :: v_dual_mov_b32 v19, v21
	s_delay_alu instid0(VALU_DEP_2)
	v_cmp_gt_i16_e64 s4, v31, v30
	s_and_saveexec_b32 s5, s4
	s_wait_alu 0xfffe
	s_xor_b32 s4, exec_lo, s5
; %bb.18:
	v_dual_mov_b32 v31, v27 :: v_dual_and_b32 v30, v26, v29
	v_dual_mov_b32 v19, v10 :: v_dual_mov_b32 v18, v9
	v_dual_mov_b32 v9, v20 :: v_dual_mov_b32 v10, v21
	s_delay_alu instid0(VALU_DEP_3)
	v_dual_mov_b32 v27, v26 :: v_dual_mov_b32 v26, v31
; %bb.19:
	s_wait_alu 0xfffe
	s_or_b32 exec_lo, exec_lo, s4
	s_delay_alu instid0(VALU_DEP_1)
	v_perm_b32 v20, v26, v28, 0xc0c0004
	v_and_b32_e32 v26, v25, v29
	v_perm_b32 v21, v27, v25, 0xc0c0004
	v_perm_b32 v25, v25, v27, 0xc0c0004
	v_bfe_i32 v27, v30, 0, 8
	v_lshlrev_b32_e32 v20, 16, v20
	v_bfe_i32 v26, v26, 0, 8
	s_mov_b32 s7, exec_lo
	s_delay_alu instid0(VALU_DEP_2) | instskip(SKIP_1) | instid1(VALU_DEP_3)
	v_or_b32_e32 v21, v21, v20
	v_or_b32_e32 v20, v25, v20
	v_cmp_gt_i16_e64 s4, v27, v26
	s_wait_alu 0xf1ff
	s_delay_alu instid0(VALU_DEP_1) | instskip(NEXT) | instid1(VALU_DEP_1)
	v_cndmask_b32_e64 v25, v20, v21, s4
	v_lshrrev_b32_e32 v31, 24, v25
	v_lshrrev_b32_e32 v28, 16, v25
	;; [unrolled: 1-line block ×3, first 2 shown]
	s_delay_alu instid0(VALU_DEP_3) | instskip(NEXT) | instid1(VALU_DEP_3)
	v_and_b32_e32 v20, v31, v29
	v_and_b32_e32 v21, v28, v29
	v_mov_b32_e32 v27, v31
	s_delay_alu instid0(VALU_DEP_3) | instskip(NEXT) | instid1(VALU_DEP_3)
	v_bfe_i32 v32, v20, 0, 8
	v_bfe_i32 v30, v21, 0, 8
	v_dual_mov_b32 v21, v10 :: v_dual_mov_b32 v20, v9
	s_delay_alu instid0(VALU_DEP_2)
	v_cmpx_gt_i16_e64 v32, v30
; %bb.20:
	v_mov_b32_e32 v21, v17
	v_dual_mov_b32 v27, v28 :: v_dual_mov_b32 v20, v16
	v_dual_mov_b32 v17, v10 :: v_dual_mov_b32 v28, v31
	v_mov_b32_e32 v16, v9
	v_mov_b32_e32 v30, v32
; %bb.21:
	s_wait_alu 0xfffe
	s_or_b32 exec_lo, exec_lo, s7
	v_cndmask_b32_e64 v10, v5, v15, s3
	v_cndmask_b32_e64 v14, v4, v14, s3
	v_and_b32_e32 v9, v26, v29
	s_delay_alu instid0(VALU_DEP_3) | instskip(NEXT) | instid1(VALU_DEP_3)
	v_cndmask_b32_e64 v5, v10, v19, s4
	v_cndmask_b32_e64 v4, v14, v18, s4
	;; [unrolled: 1-line block ×4, first 2 shown]
	v_mov_b32_e32 v18, v20
	v_bfe_i32 v9, v9, 0, 8
	v_mov_b32_e32 v19, v21
	s_mov_b32 s4, exec_lo
	s_delay_alu instid0(VALU_DEP_2)
	v_cmpx_gt_i16_e64 v30, v9
; %bb.22:
	v_mov_b32_e32 v19, v15
	v_dual_mov_b32 v9, v26 :: v_dual_mov_b32 v18, v14
	v_swap_b32 v26, v28
	v_dual_mov_b32 v14, v20 :: v_dual_mov_b32 v15, v21
; %bb.23:
	s_wait_alu 0xfffe
	s_or_b32 exec_lo, exec_lo, s4
.LBB315_24:
	s_delay_alu instid0(SALU_CYCLE_1)
	s_or_b32 exec_lo, exec_lo, s6
	v_and_b32_e32 v9, 0xffffff80, v11
	v_or_b32_e32 v10, 4, v24
	v_and_b32_e32 v33, 0x78, v24
	s_wait_loadcnt_dscnt 0x0
	v_perm_b32 v21, v25, v26, 0xc0c0004
	v_perm_b32 v30, v28, v27, 0xc0c0004
	v_sub_nc_u32_e64 v20, 0x400, v9 clamp
	v_add_co_u32 v11, s3, v12, v9
	s_wait_alu 0xf1ff
	v_add_co_ci_u32_e64 v12, null, 0, v13, s3
	s_delay_alu instid0(VALU_DEP_3) | instskip(SKIP_3) | instid1(VALU_DEP_3)
	v_min_u32_e32 v31, v20, v10
	v_and_b32_e32 v13, 4, v24
	v_lshl_or_b32 v21, v30, 16, v21
	s_mov_b32 s4, exec_lo
	v_add_nc_u32_e32 v10, 4, v31
	s_delay_alu instid0(VALU_DEP_3) | instskip(SKIP_1) | instid1(VALU_DEP_3)
	v_min_u32_e32 v34, v20, v13
	v_sub_nc_u32_e32 v36, v31, v33
	v_min_u32_e32 v32, v20, v10
	v_mad_co_u64_u32 v[9:10], null, v9, 7, v[11:12]
	v_add_co_u32 v10, null, v11, v24
	s_delay_alu instid0(VALU_DEP_3) | instskip(NEXT) | instid1(VALU_DEP_3)
	v_sub_nc_u32_e32 v13, v32, v31
	v_lshl_add_u32 v12, v24, 3, v9
	s_delay_alu instid0(VALU_DEP_2)
	v_sub_nc_u32_e64 v35, v34, v13 clamp
	v_min_u32_e32 v13, v34, v36
	ds_store_2addr_b64 v12, v[4:5], v[14:15] offset0:128 offset1:129
	ds_store_b64 v12, v[18:19] offset:1040
	ds_store_b32 v10, v21
	ds_store_b64 v12, v[16:17] offset:1048
	; wave barrier
	v_cmpx_lt_u32_e64 v35, v13
	s_cbranch_execz .LBB315_28
; %bb.25:
	v_add_co_u32 v21, null, v11, v33
	v_add_co_u32 v30, null, v11, v31
	s_mov_b32 s5, 0
.LBB315_26:                             ; =>This Inner Loop Header: Depth=1
	v_add_nc_u32_e32 v36, v13, v35
	s_delay_alu instid0(VALU_DEP_1) | instskip(NEXT) | instid1(VALU_DEP_1)
	v_lshrrev_b32_e32 v36, 1, v36
	v_not_b32_e32 v37, v36
	v_add_nc_u32_e32 v38, v21, v36
	v_add_nc_u32_e32 v39, 1, v36
	s_delay_alu instid0(VALU_DEP_3)
	v_add3_u32 v37, v34, v37, v30
	ds_load_u8 v38, v38
	ds_load_u8 v37, v37
	s_wait_dscnt 0x1
	v_and_b32_e32 v38, v38, v29
	s_wait_dscnt 0x0
	v_and_b32_e32 v37, v37, v29
	s_delay_alu instid0(VALU_DEP_2) | instskip(NEXT) | instid1(VALU_DEP_2)
	v_bfe_i32 v38, v38, 0, 8
	v_bfe_i32 v37, v37, 0, 8
	s_delay_alu instid0(VALU_DEP_1) | instskip(SKIP_1) | instid1(VALU_DEP_1)
	v_cmp_gt_i16_e64 s3, v37, v38
	s_wait_alu 0xf1ff
	v_cndmask_b32_e64 v13, v13, v36, s3
	v_cndmask_b32_e64 v35, v39, v35, s3
	s_delay_alu instid0(VALU_DEP_1)
	v_cmp_ge_u32_e64 s3, v35, v13
	s_wait_alu 0xfffe
	s_or_b32 s5, s3, s5
	s_wait_alu 0xfffe
	s_and_not1_b32 exec_lo, exec_lo, s5
	s_cbranch_execnz .LBB315_26
; %bb.27:
	s_or_b32 exec_lo, exec_lo, s5
.LBB315_28:
	s_wait_alu 0xfffe
	s_or_b32 exec_lo, exec_lo, s4
	v_add_nc_u32_e32 v36, v31, v34
	v_add_nc_u32_e32 v34, v35, v33
	;; [unrolled: 1-line block ×5, first 2 shown]
	v_sub_nc_u32_e32 v33, v36, v35
	v_cmp_le_u32_e64 s3, v34, v31
	v_add_nc_u32_e32 v12, 0x418, v12
	s_delay_alu instid0(VALU_DEP_3)
	v_cmp_le_u32_e64 s4, v33, v32
	s_or_b32 s3, s3, s4
	s_wait_alu 0xfffe
	s_and_saveexec_b32 s12, s3
	s_cbranch_execz .LBB315_34
; %bb.29:
	v_cmp_lt_u32_e64 s3, v34, v31
                                        ; implicit-def: $vgpr25
	s_and_saveexec_b32 s4, s3
; %bb.30:
	v_add_nc_u32_e32 v4, v11, v34
	ds_load_u8 v25, v4
; %bb.31:
	s_wait_alu 0xfffe
	s_or_b32 exec_lo, exec_lo, s4
	v_cmp_ge_u32_e64 s4, v33, v32
	s_mov_b32 s6, exec_lo
                                        ; implicit-def: $vgpr26
	v_cmpx_lt_u32_e64 v33, v32
; %bb.32:
	v_add_nc_u32_e32 v4, v11, v33
	ds_load_u8 v26, v4
; %bb.33:
	s_wait_alu 0xfffe
	s_or_b32 exec_lo, exec_lo, s6
	s_wait_dscnt 0x0
	v_and_b32_e32 v4, v26, v29
	v_and_b32_e32 v5, v25, v29
	s_delay_alu instid0(VALU_DEP_2) | instskip(NEXT) | instid1(VALU_DEP_2)
	v_bfe_i32 v4, v4, 0, 8
	v_bfe_i32 v5, v5, 0, 8
	s_delay_alu instid0(VALU_DEP_1)
	v_cmp_le_i16_e64 s5, v4, v5
	s_and_b32 s3, s3, s5
	s_wait_alu 0xfffe
	s_or_b32 s3, s4, s3
	s_wait_alu 0xfffe
	v_cndmask_b32_e64 v4, v33, v34, s3
	v_cndmask_b32_e64 v5, v32, v31, s3
	s_delay_alu instid0(VALU_DEP_2) | instskip(NEXT) | instid1(VALU_DEP_2)
	v_add_nc_u32_e32 v14, 1, v4
	v_add_nc_u32_e32 v5, -1, v5
	v_lshl_add_u32 v4, v4, 3, v9
	s_delay_alu instid0(VALU_DEP_3) | instskip(NEXT) | instid1(VALU_DEP_3)
	v_cndmask_b32_e64 v16, v34, v14, s3
	v_min_u32_e32 v5, v14, v5
	v_cndmask_b32_e64 v14, v14, v33, s3
	s_delay_alu instid0(VALU_DEP_3) | instskip(NEXT) | instid1(VALU_DEP_3)
	v_cmp_lt_u32_e64 s4, v16, v31
	v_add_nc_u32_e32 v5, v11, v5
	s_delay_alu instid0(VALU_DEP_3)
	v_cmp_ge_u32_e64 s6, v14, v32
	ds_load_u8 v5, v5
	s_wait_dscnt 0x0
	v_cndmask_b32_e64 v27, v5, v26, s3
	v_cndmask_b32_e64 v28, v25, v5, s3
	;; [unrolled: 1-line block ×3, first 2 shown]
	s_delay_alu instid0(VALU_DEP_3) | instskip(NEXT) | instid1(VALU_DEP_3)
	v_and_b32_e32 v5, v27, v29
	v_and_b32_e32 v15, v28, v29
	s_delay_alu instid0(VALU_DEP_2) | instskip(NEXT) | instid1(VALU_DEP_2)
	v_bfe_i32 v5, v5, 0, 8
	v_bfe_i32 v15, v15, 0, 8
	s_delay_alu instid0(VALU_DEP_1)
	v_cmp_le_i16_e64 s5, v5, v15
	s_and_b32 s4, s4, s5
	s_wait_alu 0xfffe
	s_or_b32 s4, s6, s4
	s_wait_alu 0xfffe
	v_cndmask_b32_e64 v5, v14, v16, s4
	v_cndmask_b32_e64 v15, v32, v31, s4
	;; [unrolled: 1-line block ×3, first 2 shown]
	s_delay_alu instid0(VALU_DEP_3) | instskip(NEXT) | instid1(VALU_DEP_3)
	v_add_nc_u32_e32 v17, 1, v5
	v_add_nc_u32_e32 v15, -1, v15
	s_delay_alu instid0(VALU_DEP_2) | instskip(NEXT) | instid1(VALU_DEP_2)
	v_cndmask_b32_e64 v16, v16, v17, s4
	v_min_u32_e32 v15, v17, v15
	v_cndmask_b32_e64 v14, v17, v14, s4
	s_delay_alu instid0(VALU_DEP_3) | instskip(NEXT) | instid1(VALU_DEP_3)
	v_cmp_lt_u32_e64 s5, v16, v31
	v_add_nc_u32_e32 v15, v11, v15
	s_delay_alu instid0(VALU_DEP_3) | instskip(SKIP_4) | instid1(VALU_DEP_2)
	v_cmp_ge_u32_e64 s7, v14, v32
	ds_load_u8 v15, v15
	s_wait_dscnt 0x0
	v_cndmask_b32_e64 v33, v15, v27, s4
	v_cndmask_b32_e64 v34, v28, v15, s4
	v_and_b32_e32 v15, v33, v29
	s_delay_alu instid0(VALU_DEP_2) | instskip(NEXT) | instid1(VALU_DEP_2)
	v_and_b32_e32 v18, v34, v29
	v_bfe_i32 v15, v15, 0, 8
	s_delay_alu instid0(VALU_DEP_2) | instskip(NEXT) | instid1(VALU_DEP_1)
	v_bfe_i32 v18, v18, 0, 8
	v_cmp_le_i16_e64 s6, v15, v18
	s_and_b32 s5, s5, s6
	s_wait_alu 0xfffe
	s_or_b32 s5, s7, s5
	s_wait_alu 0xfffe
	v_cndmask_b32_e64 v15, v14, v16, s5
	v_cndmask_b32_e64 v17, v32, v31, s5
	;; [unrolled: 1-line block ×3, first 2 shown]
	s_delay_alu instid0(VALU_DEP_3) | instskip(NEXT) | instid1(VALU_DEP_3)
	v_add_nc_u32_e32 v18, 1, v15
	v_add_nc_u32_e32 v17, -1, v17
	s_delay_alu instid0(VALU_DEP_2) | instskip(NEXT) | instid1(VALU_DEP_2)
	v_cndmask_b32_e64 v16, v16, v18, s5
	v_min_u32_e32 v17, v18, v17
	v_cndmask_b32_e64 v14, v18, v14, s5
	s_delay_alu instid0(VALU_DEP_3) | instskip(NEXT) | instid1(VALU_DEP_3)
	v_cmp_lt_u32_e64 s6, v16, v31
	v_add_nc_u32_e32 v17, v11, v17
	s_delay_alu instid0(VALU_DEP_3) | instskip(SKIP_4) | instid1(VALU_DEP_2)
	v_cmp_ge_u32_e64 s10, v14, v32
	ds_load_u8 v17, v17
	s_wait_dscnt 0x0
	v_cndmask_b32_e64 v35, v17, v33, s5
	v_cndmask_b32_e64 v36, v34, v17, s5
	v_and_b32_e32 v17, v35, v29
	s_delay_alu instid0(VALU_DEP_2) | instskip(NEXT) | instid1(VALU_DEP_2)
	v_and_b32_e32 v19, v36, v29
	v_bfe_i32 v17, v17, 0, 8
	s_delay_alu instid0(VALU_DEP_2) | instskip(NEXT) | instid1(VALU_DEP_1)
	v_bfe_i32 v19, v19, 0, 8
	v_cmp_le_i16_e64 s7, v17, v19
	v_lshl_add_u32 v17, v15, 3, v9
	s_and_b32 s6, s6, s7
	s_wait_alu 0xfffe
	s_or_b32 s6, s10, s6
	s_wait_alu 0xfffe
	v_cndmask_b32_e64 v14, v14, v16, s6
	v_lshl_add_u32 v16, v5, 3, v9
	v_cndmask_b32_e64 v27, v35, v36, s6
	s_delay_alu instid0(VALU_DEP_3)
	v_lshl_add_u32 v31, v14, 3, v9
	ds_load_b64 v[4:5], v4 offset:1024
	ds_load_b64 v[14:15], v16 offset:1024
	;; [unrolled: 1-line block ×4, first 2 shown]
.LBB315_34:
	s_wait_alu 0xfffe
	s_or_b32 exec_lo, exec_lo, s12
	v_and_b32_e32 v36, 0x70, v24
	v_and_b32_e32 v32, 12, v24
	s_mov_b32 s4, exec_lo
	; wave barrier
	s_delay_alu instid0(VALU_DEP_2) | instskip(NEXT) | instid1(VALU_DEP_2)
	v_or_b32_e32 v31, 8, v36
	v_min_u32_e32 v37, v20, v32
	ds_store_b8 v10, v25
	s_wait_dscnt 0x4
	ds_store_b64 v30, v[4:5]
	ds_store_b8 v10, v26 offset:1
	s_wait_dscnt 0x5
	ds_store_b64 v21, v[14:15]
	ds_store_b8 v10, v28 offset:2
	;; [unrolled: 3-line block ×3, first 2 shown]
	s_wait_dscnt 0x7
	ds_store_b64 v12, v[16:17]
	v_min_u32_e32 v34, v20, v31
	; wave barrier
	s_delay_alu instid0(VALU_DEP_1) | instskip(SKIP_1) | instid1(VALU_DEP_2)
	v_add_nc_u32_e32 v31, 8, v34
	v_sub_nc_u32_e32 v32, v34, v36
	v_min_u32_e32 v35, v20, v31
	s_delay_alu instid0(VALU_DEP_1) | instskip(NEXT) | instid1(VALU_DEP_1)
	v_sub_nc_u32_e32 v31, v35, v34
	v_sub_nc_u32_e64 v38, v37, v31 clamp
	s_delay_alu instid0(VALU_DEP_4) | instskip(NEXT) | instid1(VALU_DEP_1)
	v_min_u32_e32 v31, v37, v32
	v_cmpx_lt_u32_e64 v38, v31
	s_cbranch_execz .LBB315_38
; %bb.35:
	v_add_co_u32 v32, null, v11, v36
	v_add_co_u32 v33, null, v11, v34
	s_mov_b32 s5, 0
.LBB315_36:                             ; =>This Inner Loop Header: Depth=1
	v_add_nc_u32_e32 v39, v31, v38
	s_delay_alu instid0(VALU_DEP_1) | instskip(NEXT) | instid1(VALU_DEP_1)
	v_lshrrev_b32_e32 v39, 1, v39
	v_not_b32_e32 v48, v39
	v_add_nc_u32_e32 v49, v32, v39
	v_add_nc_u32_e32 v50, 1, v39
	s_delay_alu instid0(VALU_DEP_3)
	v_add3_u32 v48, v37, v48, v33
	ds_load_u8 v49, v49
	ds_load_u8 v48, v48
	s_wait_dscnt 0x1
	v_and_b32_e32 v49, v49, v29
	s_wait_dscnt 0x0
	v_and_b32_e32 v48, v48, v29
	s_delay_alu instid0(VALU_DEP_2) | instskip(NEXT) | instid1(VALU_DEP_2)
	v_bfe_i32 v49, v49, 0, 8
	v_bfe_i32 v48, v48, 0, 8
	s_delay_alu instid0(VALU_DEP_1) | instskip(SKIP_1) | instid1(VALU_DEP_1)
	v_cmp_gt_i16_e64 s3, v48, v49
	s_wait_alu 0xf1ff
	v_cndmask_b32_e64 v31, v31, v39, s3
	v_cndmask_b32_e64 v38, v50, v38, s3
	s_delay_alu instid0(VALU_DEP_1)
	v_cmp_ge_u32_e64 s3, v38, v31
	s_wait_alu 0xfffe
	s_or_b32 s5, s3, s5
	s_wait_alu 0xfffe
	s_and_not1_b32 exec_lo, exec_lo, s5
	s_cbranch_execnz .LBB315_36
; %bb.37:
	s_or_b32 exec_lo, exec_lo, s5
.LBB315_38:
	s_wait_alu 0xfffe
	s_or_b32 exec_lo, exec_lo, s4
	v_add_nc_u32_e32 v39, v34, v37
	v_add_nc_u32_e32 v37, v38, v36
	;; [unrolled: 1-line block ×5, first 2 shown]
	v_sub_nc_u32_e32 v36, v39, v38
	v_cmp_le_u32_e64 s3, v37, v34
	s_delay_alu instid0(VALU_DEP_2)
	v_cmp_le_u32_e64 s4, v36, v35
	s_or_b32 s3, s3, s4
	s_wait_alu 0xfffe
	s_and_saveexec_b32 s12, s3
	s_cbranch_execz .LBB315_44
; %bb.39:
	v_cmp_lt_u32_e64 s3, v37, v34
                                        ; implicit-def: $vgpr25
	s_and_saveexec_b32 s4, s3
; %bb.40:
	v_add_nc_u32_e32 v4, v11, v37
	ds_load_u8 v25, v4
; %bb.41:
	s_wait_alu 0xfffe
	s_or_b32 exec_lo, exec_lo, s4
	v_cmp_ge_u32_e64 s4, v36, v35
	s_mov_b32 s6, exec_lo
                                        ; implicit-def: $vgpr26
	v_cmpx_lt_u32_e64 v36, v35
; %bb.42:
	v_add_nc_u32_e32 v4, v11, v36
	ds_load_u8 v26, v4
; %bb.43:
	s_wait_alu 0xfffe
	s_or_b32 exec_lo, exec_lo, s6
	s_wait_dscnt 0x0
	v_and_b32_e32 v4, v26, v29
	v_and_b32_e32 v5, v25, v29
	s_delay_alu instid0(VALU_DEP_2) | instskip(NEXT) | instid1(VALU_DEP_2)
	v_bfe_i32 v4, v4, 0, 8
	v_bfe_i32 v5, v5, 0, 8
	s_delay_alu instid0(VALU_DEP_1)
	v_cmp_le_i16_e64 s5, v4, v5
	s_and_b32 s3, s3, s5
	s_wait_alu 0xfffe
	s_or_b32 s3, s4, s3
	s_wait_alu 0xfffe
	v_cndmask_b32_e64 v4, v36, v37, s3
	v_cndmask_b32_e64 v5, v35, v34, s3
	s_delay_alu instid0(VALU_DEP_2) | instskip(NEXT) | instid1(VALU_DEP_2)
	v_add_nc_u32_e32 v14, 1, v4
	v_add_nc_u32_e32 v5, -1, v5
	v_lshl_add_u32 v4, v4, 3, v9
	s_delay_alu instid0(VALU_DEP_3) | instskip(NEXT) | instid1(VALU_DEP_3)
	v_cndmask_b32_e64 v16, v37, v14, s3
	v_min_u32_e32 v5, v14, v5
	v_cndmask_b32_e64 v14, v14, v36, s3
	s_delay_alu instid0(VALU_DEP_3) | instskip(NEXT) | instid1(VALU_DEP_3)
	v_cmp_lt_u32_e64 s4, v16, v34
	v_add_nc_u32_e32 v5, v11, v5
	s_delay_alu instid0(VALU_DEP_3)
	v_cmp_ge_u32_e64 s6, v14, v35
	ds_load_u8 v5, v5
	s_wait_dscnt 0x0
	v_cndmask_b32_e64 v27, v5, v26, s3
	v_cndmask_b32_e64 v28, v25, v5, s3
	;; [unrolled: 1-line block ×3, first 2 shown]
	s_delay_alu instid0(VALU_DEP_3) | instskip(NEXT) | instid1(VALU_DEP_3)
	v_and_b32_e32 v5, v27, v29
	v_and_b32_e32 v15, v28, v29
	s_delay_alu instid0(VALU_DEP_2) | instskip(NEXT) | instid1(VALU_DEP_2)
	v_bfe_i32 v5, v5, 0, 8
	v_bfe_i32 v15, v15, 0, 8
	s_delay_alu instid0(VALU_DEP_1)
	v_cmp_le_i16_e64 s5, v5, v15
	s_and_b32 s4, s4, s5
	s_wait_alu 0xfffe
	s_or_b32 s4, s6, s4
	s_wait_alu 0xfffe
	v_cndmask_b32_e64 v5, v14, v16, s4
	v_cndmask_b32_e64 v15, v35, v34, s4
	;; [unrolled: 1-line block ×3, first 2 shown]
	s_delay_alu instid0(VALU_DEP_3) | instskip(NEXT) | instid1(VALU_DEP_3)
	v_add_nc_u32_e32 v17, 1, v5
	v_add_nc_u32_e32 v15, -1, v15
	s_delay_alu instid0(VALU_DEP_2) | instskip(NEXT) | instid1(VALU_DEP_2)
	v_cndmask_b32_e64 v16, v16, v17, s4
	v_min_u32_e32 v15, v17, v15
	v_cndmask_b32_e64 v14, v17, v14, s4
	s_delay_alu instid0(VALU_DEP_3) | instskip(NEXT) | instid1(VALU_DEP_3)
	v_cmp_lt_u32_e64 s5, v16, v34
	v_add_nc_u32_e32 v15, v11, v15
	s_delay_alu instid0(VALU_DEP_3) | instskip(SKIP_4) | instid1(VALU_DEP_2)
	v_cmp_ge_u32_e64 s7, v14, v35
	ds_load_u8 v15, v15
	s_wait_dscnt 0x0
	v_cndmask_b32_e64 v36, v15, v27, s4
	v_cndmask_b32_e64 v37, v28, v15, s4
	v_and_b32_e32 v15, v36, v29
	s_delay_alu instid0(VALU_DEP_2) | instskip(NEXT) | instid1(VALU_DEP_2)
	v_and_b32_e32 v18, v37, v29
	v_bfe_i32 v15, v15, 0, 8
	s_delay_alu instid0(VALU_DEP_2) | instskip(NEXT) | instid1(VALU_DEP_1)
	v_bfe_i32 v18, v18, 0, 8
	v_cmp_le_i16_e64 s6, v15, v18
	s_and_b32 s5, s5, s6
	s_wait_alu 0xfffe
	s_or_b32 s5, s7, s5
	s_wait_alu 0xfffe
	v_cndmask_b32_e64 v15, v14, v16, s5
	v_cndmask_b32_e64 v17, v35, v34, s5
	v_cndmask_b32_e64 v28, v36, v37, s5
	s_delay_alu instid0(VALU_DEP_3) | instskip(NEXT) | instid1(VALU_DEP_3)
	v_add_nc_u32_e32 v18, 1, v15
	v_add_nc_u32_e32 v17, -1, v17
	s_delay_alu instid0(VALU_DEP_2) | instskip(NEXT) | instid1(VALU_DEP_2)
	v_cndmask_b32_e64 v16, v16, v18, s5
	v_min_u32_e32 v17, v18, v17
	v_cndmask_b32_e64 v14, v18, v14, s5
	s_delay_alu instid0(VALU_DEP_3) | instskip(NEXT) | instid1(VALU_DEP_3)
	v_cmp_lt_u32_e64 s6, v16, v34
	v_add_nc_u32_e32 v17, v11, v17
	s_delay_alu instid0(VALU_DEP_3) | instskip(SKIP_4) | instid1(VALU_DEP_2)
	v_cmp_ge_u32_e64 s10, v14, v35
	ds_load_u8 v17, v17
	s_wait_dscnt 0x0
	v_cndmask_b32_e64 v38, v17, v36, s5
	v_cndmask_b32_e64 v39, v37, v17, s5
	v_and_b32_e32 v17, v38, v29
	s_delay_alu instid0(VALU_DEP_2) | instskip(NEXT) | instid1(VALU_DEP_2)
	v_and_b32_e32 v19, v39, v29
	v_bfe_i32 v17, v17, 0, 8
	s_delay_alu instid0(VALU_DEP_2) | instskip(NEXT) | instid1(VALU_DEP_1)
	v_bfe_i32 v19, v19, 0, 8
	v_cmp_le_i16_e64 s7, v17, v19
	v_lshl_add_u32 v17, v15, 3, v9
	s_and_b32 s6, s6, s7
	s_wait_alu 0xfffe
	s_or_b32 s6, s10, s6
	s_wait_alu 0xfffe
	v_cndmask_b32_e64 v14, v14, v16, s6
	v_lshl_add_u32 v16, v5, 3, v9
	v_cndmask_b32_e64 v27, v38, v39, s6
	s_delay_alu instid0(VALU_DEP_3)
	v_lshl_add_u32 v34, v14, 3, v9
	ds_load_b64 v[4:5], v4 offset:1024
	ds_load_b64 v[14:15], v16 offset:1024
	;; [unrolled: 1-line block ×4, first 2 shown]
.LBB315_44:
	s_wait_alu 0xfffe
	s_or_b32 exec_lo, exec_lo, s12
	v_and_b32_e32 v35, 0x60, v24
	; wave barrier
	ds_store_b8 v10, v25
	s_wait_dscnt 0x4
	ds_store_b64 v30, v[4:5]
	s_mov_b32 s4, exec_lo
	v_or_b32_e32 v24, 16, v35
	ds_store_b8 v33, v26
	s_wait_dscnt 0x5
	ds_store_b64 v21, v[14:15]
	ds_store_b8 v32, v28
	s_wait_dscnt 0x6
	ds_store_b64 v13, v[18:19]
	ds_store_b8 v31, v27
	s_wait_dscnt 0x7
	ds_store_b64 v12, v[16:17]
	; wave barrier
	v_min_u32_e32 v24, v20, v24
	s_delay_alu instid0(VALU_DEP_1) | instskip(SKIP_1) | instid1(VALU_DEP_2)
	v_add_nc_u32_e32 v34, 16, v24
	v_sub_nc_u32_e32 v37, v24, v35
	v_min_u32_e32 v34, v20, v34
	v_min_u32_e32 v20, v20, v22
	s_delay_alu instid0(VALU_DEP_2) | instskip(NEXT) | instid1(VALU_DEP_2)
	v_sub_nc_u32_e32 v36, v34, v24
	v_min_u32_e32 v30, v20, v37
	s_delay_alu instid0(VALU_DEP_2) | instskip(NEXT) | instid1(VALU_DEP_1)
	v_sub_nc_u32_e64 v10, v20, v36 clamp
	v_cmpx_lt_u32_e64 v10, v30
	s_cbranch_execz .LBB315_48
; %bb.45:
	v_add_co_u32 v12, null, v11, v35
	v_add_co_u32 v13, null, v11, v24
	s_mov_b32 s5, 0
.LBB315_46:                             ; =>This Inner Loop Header: Depth=1
	v_add_nc_u32_e32 v21, v30, v10
	s_delay_alu instid0(VALU_DEP_1) | instskip(NEXT) | instid1(VALU_DEP_1)
	v_lshrrev_b32_e32 v21, 1, v21
	v_not_b32_e32 v31, v21
	v_add_nc_u32_e32 v32, v12, v21
	v_add_nc_u32_e32 v33, 1, v21
	s_delay_alu instid0(VALU_DEP_3)
	v_add3_u32 v31, v20, v31, v13
	ds_load_u8 v32, v32
	ds_load_u8 v31, v31
	s_wait_dscnt 0x1
	v_and_b32_e32 v32, v32, v29
	s_wait_dscnt 0x0
	v_and_b32_e32 v31, v31, v29
	s_delay_alu instid0(VALU_DEP_2) | instskip(NEXT) | instid1(VALU_DEP_2)
	v_bfe_i32 v32, v32, 0, 8
	v_bfe_i32 v31, v31, 0, 8
	s_delay_alu instid0(VALU_DEP_1) | instskip(SKIP_1) | instid1(VALU_DEP_1)
	v_cmp_gt_i16_e64 s3, v31, v32
	s_wait_alu 0xf1ff
	v_cndmask_b32_e64 v30, v30, v21, s3
	v_cndmask_b32_e64 v10, v33, v10, s3
	s_delay_alu instid0(VALU_DEP_1)
	v_cmp_ge_u32_e64 s3, v10, v30
	s_wait_alu 0xfffe
	s_or_b32 s5, s3, s5
	s_wait_alu 0xfffe
	s_and_not1_b32 exec_lo, exec_lo, s5
	s_cbranch_execnz .LBB315_46
; %bb.47:
	s_or_b32 exec_lo, exec_lo, s5
.LBB315_48:
	s_wait_alu 0xfffe
	s_or_b32 exec_lo, exec_lo, s4
	v_add_nc_u32_e32 v12, v24, v20
	v_add_nc_u32_e32 v20, v10, v35
	s_delay_alu instid0(VALU_DEP_2) | instskip(NEXT) | instid1(VALU_DEP_2)
	v_sub_nc_u32_e32 v13, v12, v10
	v_cmp_le_u32_e64 s3, v20, v24
	s_delay_alu instid0(VALU_DEP_2)
	v_cmp_le_u32_e64 s4, v13, v34
	s_or_b32 s3, s3, s4
	s_wait_alu 0xfffe
	s_and_saveexec_b32 s12, s3
	s_cbranch_execz .LBB315_54
; %bb.49:
	v_cmp_lt_u32_e64 s3, v20, v24
                                        ; implicit-def: $vgpr10
	s_and_saveexec_b32 s4, s3
; %bb.50:
	v_add_nc_u32_e32 v4, v11, v20
	ds_load_u8 v10, v4
; %bb.51:
	s_wait_alu 0xfffe
	s_or_b32 exec_lo, exec_lo, s4
	v_cmp_ge_u32_e64 s4, v13, v34
	s_mov_b32 s6, exec_lo
                                        ; implicit-def: $vgpr12
	v_cmpx_lt_u32_e64 v13, v34
; %bb.52:
	v_add_nc_u32_e32 v4, v11, v13
	ds_load_u8 v12, v4
; %bb.53:
	s_wait_alu 0xfffe
	s_or_b32 exec_lo, exec_lo, s6
	s_wait_dscnt 0x0
	v_and_b32_e32 v4, v12, v29
	v_and_b32_e32 v5, v10, v29
	s_delay_alu instid0(VALU_DEP_2) | instskip(NEXT) | instid1(VALU_DEP_2)
	v_bfe_i32 v4, v4, 0, 8
	v_bfe_i32 v5, v5, 0, 8
	s_delay_alu instid0(VALU_DEP_1)
	v_cmp_le_i16_e64 s5, v4, v5
	s_and_b32 s3, s3, s5
	s_wait_alu 0xfffe
	s_or_b32 s3, s4, s3
	s_wait_alu 0xfffe
	v_cndmask_b32_e64 v4, v13, v20, s3
	v_cndmask_b32_e64 v5, v34, v24, s3
	;; [unrolled: 1-line block ×3, first 2 shown]
	s_delay_alu instid0(VALU_DEP_3) | instskip(NEXT) | instid1(VALU_DEP_3)
	v_add_nc_u32_e32 v14, 1, v4
	v_add_nc_u32_e32 v5, -1, v5
	v_lshl_add_u32 v4, v4, 3, v9
	s_delay_alu instid0(VALU_DEP_3) | instskip(NEXT) | instid1(VALU_DEP_3)
	v_cndmask_b32_e64 v16, v20, v14, s3
	v_min_u32_e32 v5, v14, v5
	v_cndmask_b32_e64 v13, v14, v13, s3
	s_delay_alu instid0(VALU_DEP_3) | instskip(NEXT) | instid1(VALU_DEP_3)
	v_cmp_lt_u32_e64 s4, v16, v24
	v_add_nc_u32_e32 v5, v11, v5
	s_delay_alu instid0(VALU_DEP_3) | instskip(SKIP_4) | instid1(VALU_DEP_2)
	v_cmp_ge_u32_e64 s6, v13, v34
	ds_load_u8 v5, v5
	s_wait_dscnt 0x0
	v_cndmask_b32_e64 v21, v5, v12, s3
	v_cndmask_b32_e64 v26, v10, v5, s3
	v_and_b32_e32 v5, v21, v29
	s_delay_alu instid0(VALU_DEP_2) | instskip(NEXT) | instid1(VALU_DEP_2)
	v_and_b32_e32 v15, v26, v29
	v_bfe_i32 v5, v5, 0, 8
	s_delay_alu instid0(VALU_DEP_2) | instskip(NEXT) | instid1(VALU_DEP_1)
	v_bfe_i32 v15, v15, 0, 8
	v_cmp_le_i16_e64 s5, v5, v15
	s_and_b32 s4, s4, s5
	s_wait_alu 0xfffe
	s_or_b32 s4, s6, s4
	s_wait_alu 0xfffe
	v_cndmask_b32_e64 v5, v13, v16, s4
	v_cndmask_b32_e64 v14, v34, v24, s4
	s_delay_alu instid0(VALU_DEP_2) | instskip(NEXT) | instid1(VALU_DEP_2)
	v_add_nc_u32_e32 v15, 1, v5
	v_add_nc_u32_e32 v14, -1, v14
	s_delay_alu instid0(VALU_DEP_2) | instskip(NEXT) | instid1(VALU_DEP_2)
	v_cndmask_b32_e64 v16, v16, v15, s4
	v_min_u32_e32 v14, v15, v14
	v_cndmask_b32_e64 v13, v15, v13, s4
	s_delay_alu instid0(VALU_DEP_3) | instskip(NEXT) | instid1(VALU_DEP_3)
	v_cmp_lt_u32_e64 s5, v16, v24
	v_add_nc_u32_e32 v14, v11, v14
	s_delay_alu instid0(VALU_DEP_3)
	v_cmp_ge_u32_e64 s7, v13, v34
	ds_load_u8 v14, v14
	s_wait_dscnt 0x0
	v_cndmask_b32_e64 v20, v14, v21, s4
	v_cndmask_b32_e64 v27, v26, v14, s4
	;; [unrolled: 1-line block ×3, first 2 shown]
	s_delay_alu instid0(VALU_DEP_3) | instskip(NEXT) | instid1(VALU_DEP_3)
	v_and_b32_e32 v14, v20, v29
	v_and_b32_e32 v17, v27, v29
	s_delay_alu instid0(VALU_DEP_2) | instskip(NEXT) | instid1(VALU_DEP_2)
	v_bfe_i32 v14, v14, 0, 8
	v_bfe_i32 v17, v17, 0, 8
	s_delay_alu instid0(VALU_DEP_1)
	v_cmp_le_i16_e64 s6, v14, v17
	s_and_b32 s5, s5, s6
	s_wait_alu 0xfffe
	s_or_b32 s5, s7, s5
	s_wait_alu 0xfffe
	v_cndmask_b32_e64 v14, v13, v16, s5
	v_cndmask_b32_e64 v15, v34, v24, s5
	;; [unrolled: 1-line block ×3, first 2 shown]
	s_delay_alu instid0(VALU_DEP_3) | instskip(NEXT) | instid1(VALU_DEP_3)
	v_add_nc_u32_e32 v17, 1, v14
	v_add_nc_u32_e32 v15, -1, v15
	s_delay_alu instid0(VALU_DEP_2) | instskip(NEXT) | instid1(VALU_DEP_2)
	v_cndmask_b32_e64 v16, v16, v17, s5
	v_min_u32_e32 v15, v17, v15
	v_cndmask_b32_e64 v13, v17, v13, s5
	s_delay_alu instid0(VALU_DEP_3) | instskip(NEXT) | instid1(VALU_DEP_3)
	v_cmp_lt_u32_e64 s6, v16, v24
	v_add_nc_u32_e32 v11, v11, v15
	s_delay_alu instid0(VALU_DEP_3) | instskip(SKIP_4) | instid1(VALU_DEP_2)
	v_cmp_ge_u32_e64 s10, v13, v34
	ds_load_u8 v11, v11
	s_wait_dscnt 0x0
	v_cndmask_b32_e64 v30, v11, v20, s5
	v_cndmask_b32_e64 v11, v27, v11, s5
	v_and_b32_e32 v15, v30, v29
	s_delay_alu instid0(VALU_DEP_2) | instskip(NEXT) | instid1(VALU_DEP_2)
	v_and_b32_e32 v18, v11, v29
	v_bfe_i32 v15, v15, 0, 8
	s_delay_alu instid0(VALU_DEP_2) | instskip(NEXT) | instid1(VALU_DEP_1)
	v_bfe_i32 v18, v18, 0, 8
	v_cmp_le_i16_e64 s7, v15, v18
	v_lshl_add_u32 v15, v5, 3, v9
	s_and_b32 s6, s6, s7
	s_wait_alu 0xfffe
	s_or_b32 s6, s10, s6
	s_wait_alu 0xfffe
	v_cndmask_b32_e64 v13, v13, v16, s6
	v_lshl_add_u32 v16, v14, 3, v9
	v_cndmask_b32_e64 v27, v30, v11, s6
	s_delay_alu instid0(VALU_DEP_3)
	v_lshl_add_u32 v9, v13, 3, v9
	ds_load_b64 v[4:5], v4 offset:1024
	ds_load_b64 v[14:15], v15 offset:1024
	;; [unrolled: 1-line block ×4, first 2 shown]
.LBB315_54:
	s_wait_alu 0xfffe
	s_or_b32 exec_lo, exec_lo, s12
	; wave barrier
	s_wait_storecnt_dscnt 0x0
	s_barrier_signal -1
	s_barrier_wait -1
                                        ; implicit-def: $vgpr24
                                        ; implicit-def: $vgpr12
                                        ; implicit-def: $vgpr13
                                        ; implicit-def: $vgpr20
                                        ; implicit-def: $vgpr21
                                        ; implicit-def: $vgpr9
.LBB315_55:
	s_wait_alu 0xfffe
	s_and_not1_saveexec_b32 s10, s11
	s_cbranch_execz .LBB315_97
; %bb.56:
	s_load_b64 s[4:5], s[8:9], 0x0
	s_and_b32 s3, ttmp7, 0xffff
	s_mov_b32 s7, 0
	s_wait_kmcnt 0x0
	s_wait_alu 0xfffe
	s_cmp_lt_u32 s3, s5
	s_cselect_b32 s6, 14, 20
	s_cmp_lt_u32 ttmp9, s4
	s_wait_alu 0xfffe
	s_add_nc_u64 s[12:13], s[8:9], s[6:7]
	s_cselect_b32 s6, 12, 18
	s_load_u16 s3, s[12:13], 0x0
	s_add_nc_u64 s[4:5], s[8:9], s[6:7]
	s_mov_b32 s6, exec_lo
	s_load_u16 s4, s[4:5], 0x0
	s_wait_kmcnt 0x0
	v_mad_u32_u24 v10, v21, s3, v20
	s_delay_alu instid0(VALU_DEP_1) | instskip(NEXT) | instid1(VALU_DEP_1)
	v_mul_lo_u32 v10, v10, s4
	v_add_lshl_u32 v11, v10, v9, 2
	s_delay_alu instid0(VALU_DEP_1)
	v_cmpx_gt_u32_e32 0x400, v11
	s_cbranch_execz .LBB315_66
; %bb.57:
	s_wait_loadcnt_dscnt 0x0
	v_perm_b32 v9, v28, v27, 0xc0c0004
	v_perm_b32 v10, v26, v25, 0xc0c0004
	;; [unrolled: 1-line block ×3, first 2 shown]
	v_bfe_i32 v21, v25, 0, 8
	v_bfe_i32 v25, v26, 0, 8
	v_lshlrev_b32_e32 v9, 16, v9
	s_mov_b32 s5, exec_lo
	s_delay_alu instid0(VALU_DEP_2) | instskip(NEXT) | instid1(VALU_DEP_2)
	v_cmp_gt_i16_e64 s3, v25, v21
	v_or_b32_e32 v10, v10, v9
	v_or_b32_e32 v9, v20, v9
	s_wait_alu 0xf1ff
	s_delay_alu instid0(VALU_DEP_1) | instskip(SKIP_1) | instid1(VALU_DEP_2)
	v_cndmask_b32_e64 v25, v9, v10, s3
	v_dual_mov_b32 v9, v18 :: v_dual_mov_b32 v10, v19
	v_lshrrev_b32_e32 v26, 24, v25
	v_lshrrev_b32_e32 v28, 16, v25
	;; [unrolled: 1-line block ×3, first 2 shown]
	s_delay_alu instid0(VALU_DEP_3) | instskip(NEXT) | instid1(VALU_DEP_3)
	v_bfe_i32 v20, v26, 0, 8
	v_bfe_i32 v29, v28, 0, 8
	s_delay_alu instid0(VALU_DEP_1)
	v_cmpx_gt_i16_e64 v20, v29
; %bb.58:
	v_mov_b32_e32 v9, v16
	v_dual_mov_b32 v21, v28 :: v_dual_mov_b32 v10, v17
	v_mov_b32_e32 v16, v18
	v_swap_b32 v28, v26
	v_mov_b32_e32 v17, v19
	v_mov_b32_e32 v29, v20
; %bb.59:
	s_wait_alu 0xfffe
	s_or_b32 exec_lo, exec_lo, s5
	v_cndmask_b32_e64 v21, v15, v5, s3
	v_bfe_i32 v30, v27, 0, 8
	v_cndmask_b32_e64 v20, v14, v4, s3
	s_delay_alu instid0(VALU_DEP_2) | instskip(NEXT) | instid1(VALU_DEP_2)
	v_cmp_gt_i16_e64 s4, v29, v30
	v_dual_mov_b32 v18, v20 :: v_dual_mov_b32 v19, v21
	s_and_saveexec_b32 s5, s4
	s_wait_alu 0xfffe
	s_xor_b32 s4, exec_lo, s5
; %bb.60:
	v_dual_mov_b32 v28, v27 :: v_dual_mov_b32 v19, v10
	v_dual_mov_b32 v18, v9 :: v_dual_mov_b32 v9, v20
	;; [unrolled: 1-line block ×3, first 2 shown]
	v_mov_b32_e32 v30, v29
; %bb.61:
	s_wait_alu 0xfffe
	s_or_b32 exec_lo, exec_lo, s4
	v_perm_b32 v20, v28, v26, 0xc0c0004
	s_delay_alu instid0(VALU_DEP_2) | instskip(SKIP_4) | instid1(VALU_DEP_2)
	v_perm_b32 v21, v30, v25, 0xc0c0004
	v_perm_b32 v26, v25, v27, 0xc0c0004
	v_bfe_i32 v25, v25, 0, 8
	s_mov_b32 s7, exec_lo
	v_lshlrev_b32_e32 v20, 16, v20
	v_cmp_gt_i16_e64 s4, v30, v25
	s_delay_alu instid0(VALU_DEP_2) | instskip(SKIP_2) | instid1(VALU_DEP_1)
	v_or_b32_e32 v21, v21, v20
	v_or_b32_e32 v20, v26, v20
	s_wait_alu 0xf1ff
	v_cndmask_b32_e64 v25, v20, v21, s4
	v_dual_mov_b32 v21, v10 :: v_dual_mov_b32 v20, v9
	s_delay_alu instid0(VALU_DEP_2) | instskip(SKIP_2) | instid1(VALU_DEP_3)
	v_lshrrev_b32_e32 v27, 24, v25
	v_lshrrev_b32_e32 v28, 16, v25
	;; [unrolled: 1-line block ×3, first 2 shown]
	v_bfe_i32 v30, v27, 0, 8
	s_delay_alu instid0(VALU_DEP_3) | instskip(NEXT) | instid1(VALU_DEP_1)
	v_bfe_i32 v29, v28, 0, 8
	v_cmpx_gt_i16_e64 v30, v29
; %bb.62:
	v_mov_b32_e32 v21, v17
	v_dual_mov_b32 v29, v28 :: v_dual_mov_b32 v20, v16
	v_mov_b32_e32 v17, v10
	v_swap_b32 v28, v27
	v_dual_mov_b32 v16, v9 :: v_dual_mov_b32 v29, v30
; %bb.63:
	s_wait_alu 0xfffe
	s_or_b32 exec_lo, exec_lo, s7
	v_cndmask_b32_e64 v9, v5, v15, s3
	v_cndmask_b32_e64 v10, v4, v14, s3
	v_bfe_i32 v30, v26, 0, 8
	s_delay_alu instid0(VALU_DEP_3) | instskip(NEXT) | instid1(VALU_DEP_3)
	v_cndmask_b32_e64 v5, v9, v19, s4
	v_cndmask_b32_e64 v4, v10, v18, s4
	;; [unrolled: 1-line block ×4, first 2 shown]
	v_dual_mov_b32 v18, v20 :: v_dual_mov_b32 v19, v21
	s_mov_b32 s4, exec_lo
	v_cmpx_gt_i16_e64 v29, v30
; %bb.64:
	v_dual_mov_b32 v28, v26 :: v_dual_mov_b32 v19, v15
	v_mov_b32_e32 v18, v14
	v_mov_b32_e32 v14, v20
	v_dual_mov_b32 v26, v29 :: v_dual_mov_b32 v15, v21
; %bb.65:
	s_wait_alu 0xfffe
	s_or_b32 exec_lo, exec_lo, s4
.LBB315_66:
	s_delay_alu instid0(SALU_CYCLE_1)
	s_or_b32 exec_lo, exec_lo, s6
	v_and_b32_e32 v9, 0xffffff80, v11
	v_or_b32_e32 v10, 4, v24
	v_and_b32_e32 v32, 0x78, v24
	s_wait_loadcnt_dscnt 0x0
	v_perm_b32 v21, v25, v26, 0xc0c0004
	v_perm_b32 v29, v28, v27, 0xc0c0004
	v_sub_nc_u32_e64 v20, 0x400, v9 clamp
	v_add_co_u32 v11, s3, v12, v9
	s_wait_alu 0xf1ff
	v_add_co_ci_u32_e64 v12, null, 0, v13, s3
	s_delay_alu instid0(VALU_DEP_3) | instskip(SKIP_3) | instid1(VALU_DEP_3)
	v_min_u32_e32 v30, v20, v10
	v_and_b32_e32 v13, 4, v24
	v_lshl_or_b32 v21, v29, 16, v21
	s_mov_b32 s4, exec_lo
	v_add_nc_u32_e32 v10, 4, v30
	s_delay_alu instid0(VALU_DEP_3) | instskip(SKIP_1) | instid1(VALU_DEP_3)
	v_min_u32_e32 v33, v20, v13
	v_sub_nc_u32_e32 v35, v30, v32
	v_min_u32_e32 v31, v20, v10
	v_mad_co_u64_u32 v[9:10], null, v9, 7, v[11:12]
	v_add_co_u32 v10, null, v11, v24
	s_delay_alu instid0(VALU_DEP_3) | instskip(NEXT) | instid1(VALU_DEP_3)
	v_sub_nc_u32_e32 v13, v31, v30
	v_lshl_add_u32 v12, v24, 3, v9
	s_delay_alu instid0(VALU_DEP_2)
	v_sub_nc_u32_e64 v34, v33, v13 clamp
	v_min_u32_e32 v13, v33, v35
	ds_store_2addr_b64 v12, v[4:5], v[14:15] offset0:128 offset1:129
	ds_store_b64 v12, v[18:19] offset:1040
	ds_store_b32 v10, v21
	ds_store_b64 v12, v[16:17] offset:1048
	; wave barrier
	v_cmpx_lt_u32_e64 v34, v13
	s_cbranch_execz .LBB315_70
; %bb.67:
	v_add_co_u32 v21, null, v11, v32
	v_add_co_u32 v29, null, v11, v30
	s_mov_b32 s5, 0
.LBB315_68:                             ; =>This Inner Loop Header: Depth=1
	v_add_nc_u32_e32 v35, v13, v34
	s_delay_alu instid0(VALU_DEP_1) | instskip(NEXT) | instid1(VALU_DEP_1)
	v_lshrrev_b32_e32 v35, 1, v35
	v_not_b32_e32 v36, v35
	v_add_nc_u32_e32 v37, v21, v35
	v_add_nc_u32_e32 v38, 1, v35
	s_delay_alu instid0(VALU_DEP_3)
	v_add3_u32 v36, v33, v36, v29
	ds_load_i8 v37, v37
	ds_load_i8 v36, v36
	s_wait_dscnt 0x0
	v_cmp_gt_i16_e64 s3, v36, v37
	s_wait_alu 0xf1ff
	s_delay_alu instid0(VALU_DEP_1) | instskip(SKIP_1) | instid1(VALU_DEP_1)
	v_cndmask_b32_e64 v13, v13, v35, s3
	v_cndmask_b32_e64 v34, v38, v34, s3
	v_cmp_ge_u32_e64 s3, v34, v13
	s_wait_alu 0xfffe
	s_or_b32 s5, s3, s5
	s_wait_alu 0xfffe
	s_and_not1_b32 exec_lo, exec_lo, s5
	s_cbranch_execnz .LBB315_68
; %bb.69:
	s_or_b32 exec_lo, exec_lo, s5
.LBB315_70:
	s_wait_alu 0xfffe
	s_or_b32 exec_lo, exec_lo, s4
	v_add_nc_u32_e32 v35, v30, v33
	v_add_nc_u32_e32 v33, v34, v32
	;; [unrolled: 1-line block ×5, first 2 shown]
	v_sub_nc_u32_e32 v32, v35, v34
	v_cmp_le_u32_e64 s3, v33, v30
	v_add_nc_u32_e32 v12, 0x418, v12
	s_delay_alu instid0(VALU_DEP_3)
	v_cmp_le_u32_e64 s4, v32, v31
	s_or_b32 s3, s3, s4
	s_wait_alu 0xfffe
	s_and_saveexec_b32 s9, s3
	s_cbranch_execz .LBB315_76
; %bb.71:
	v_cmp_lt_u32_e64 s3, v33, v30
                                        ; implicit-def: $vgpr25
	s_and_saveexec_b32 s4, s3
; %bb.72:
	v_add_nc_u32_e32 v4, v11, v33
	ds_load_u8 v25, v4
; %bb.73:
	s_wait_alu 0xfffe
	s_or_b32 exec_lo, exec_lo, s4
	v_cmp_ge_u32_e64 s4, v32, v31
	s_mov_b32 s6, exec_lo
                                        ; implicit-def: $vgpr26
	v_cmpx_lt_u32_e64 v32, v31
; %bb.74:
	v_add_nc_u32_e32 v4, v11, v32
	ds_load_u8 v26, v4
; %bb.75:
	s_wait_alu 0xfffe
	s_or_b32 exec_lo, exec_lo, s6
	s_wait_dscnt 0x0
	v_bfe_i32 v4, v25, 0, 8
	v_bfe_i32 v5, v26, 0, 8
	s_delay_alu instid0(VALU_DEP_1)
	v_cmp_le_i16_e64 s5, v5, v4
	s_and_b32 s3, s3, s5
	s_wait_alu 0xfffe
	s_or_b32 s3, s4, s3
	s_wait_alu 0xfffe
	v_cndmask_b32_e64 v4, v32, v33, s3
	v_cndmask_b32_e64 v5, v31, v30, s3
	s_delay_alu instid0(VALU_DEP_2) | instskip(NEXT) | instid1(VALU_DEP_2)
	v_add_nc_u32_e32 v14, 1, v4
	v_add_nc_u32_e32 v5, -1, v5
	v_lshl_add_u32 v4, v4, 3, v9
	s_delay_alu instid0(VALU_DEP_2) | instskip(NEXT) | instid1(VALU_DEP_1)
	v_min_u32_e32 v5, v14, v5
	v_add_nc_u32_e32 v5, v11, v5
	ds_load_u8 v5, v5
	s_wait_dscnt 0x0
	v_cndmask_b32_e64 v27, v5, v26, s3
	v_cndmask_b32_e64 v28, v25, v5, s3
	;; [unrolled: 1-line block ×5, first 2 shown]
	v_bfe_i32 v15, v27, 0, 8
	v_bfe_i32 v16, v28, 0, 8
	v_cmp_lt_u32_e64 s4, v5, v30
	v_cmp_ge_u32_e64 s6, v14, v31
	s_delay_alu instid0(VALU_DEP_3)
	v_cmp_le_i16_e64 s5, v15, v16
	s_and_b32 s4, s4, s5
	s_wait_alu 0xfffe
	s_or_b32 s4, s6, s4
	s_wait_alu 0xfffe
	v_cndmask_b32_e64 v15, v14, v5, s4
	v_cndmask_b32_e64 v16, v31, v30, s4
	;; [unrolled: 1-line block ×3, first 2 shown]
	s_delay_alu instid0(VALU_DEP_3) | instskip(NEXT) | instid1(VALU_DEP_3)
	v_add_nc_u32_e32 v17, 1, v15
	v_add_nc_u32_e32 v16, -1, v16
	s_delay_alu instid0(VALU_DEP_2) | instskip(NEXT) | instid1(VALU_DEP_2)
	v_cndmask_b32_e64 v5, v5, v17, s4
	v_min_u32_e32 v16, v17, v16
	v_cndmask_b32_e64 v14, v17, v14, s4
	s_delay_alu instid0(VALU_DEP_3) | instskip(NEXT) | instid1(VALU_DEP_3)
	v_cmp_lt_u32_e64 s5, v5, v30
	v_add_nc_u32_e32 v16, v11, v16
	s_delay_alu instid0(VALU_DEP_3) | instskip(SKIP_4) | instid1(VALU_DEP_2)
	v_cmp_ge_u32_e64 s7, v14, v31
	ds_load_u8 v16, v16
	s_wait_dscnt 0x0
	v_cndmask_b32_e64 v32, v16, v27, s4
	v_cndmask_b32_e64 v33, v28, v16, s4
	v_bfe_i32 v16, v32, 0, 8
	s_delay_alu instid0(VALU_DEP_2) | instskip(NEXT) | instid1(VALU_DEP_1)
	v_bfe_i32 v18, v33, 0, 8
	v_cmp_le_i16_e64 s6, v16, v18
	s_and_b32 s5, s5, s6
	s_wait_alu 0xfffe
	s_or_b32 s5, s7, s5
	s_wait_alu 0xfffe
	v_cndmask_b32_e64 v16, v14, v5, s5
	v_cndmask_b32_e64 v17, v31, v30, s5
	;; [unrolled: 1-line block ×3, first 2 shown]
	s_delay_alu instid0(VALU_DEP_3) | instskip(NEXT) | instid1(VALU_DEP_3)
	v_add_nc_u32_e32 v18, 1, v16
	v_add_nc_u32_e32 v17, -1, v17
	v_lshl_add_u32 v16, v16, 3, v9
	s_delay_alu instid0(VALU_DEP_3) | instskip(NEXT) | instid1(VALU_DEP_3)
	v_cndmask_b32_e64 v5, v5, v18, s5
	v_min_u32_e32 v17, v18, v17
	v_cndmask_b32_e64 v14, v18, v14, s5
	s_delay_alu instid0(VALU_DEP_3) | instskip(NEXT) | instid1(VALU_DEP_3)
	v_cmp_lt_u32_e64 s6, v5, v30
	v_add_nc_u32_e32 v17, v11, v17
	s_delay_alu instid0(VALU_DEP_3) | instskip(SKIP_4) | instid1(VALU_DEP_2)
	v_cmp_ge_u32_e64 s8, v14, v31
	ds_load_u8 v17, v17
	s_wait_dscnt 0x0
	v_cndmask_b32_e64 v34, v17, v32, s5
	v_cndmask_b32_e64 v35, v33, v17, s5
	v_bfe_i32 v17, v34, 0, 8
	s_delay_alu instid0(VALU_DEP_2) | instskip(NEXT) | instid1(VALU_DEP_1)
	v_bfe_i32 v19, v35, 0, 8
	v_cmp_le_i16_e64 s7, v17, v19
	s_and_b32 s6, s6, s7
	s_wait_alu 0xfffe
	s_or_b32 s6, s8, s6
	s_wait_alu 0xfffe
	v_cndmask_b32_e64 v5, v14, v5, s6
	v_lshl_add_u32 v14, v15, 3, v9
	v_cndmask_b32_e64 v27, v34, v35, s6
	s_delay_alu instid0(VALU_DEP_3)
	v_lshl_add_u32 v17, v5, 3, v9
	ds_load_b64 v[4:5], v4 offset:1024
	ds_load_b64 v[14:15], v14 offset:1024
	;; [unrolled: 1-line block ×4, first 2 shown]
.LBB315_76:
	s_wait_alu 0xfffe
	s_or_b32 exec_lo, exec_lo, s9
	v_and_b32_e32 v35, 0x70, v24
	v_and_b32_e32 v31, 12, v24
	s_mov_b32 s4, exec_lo
	; wave barrier
	s_delay_alu instid0(VALU_DEP_2) | instskip(NEXT) | instid1(VALU_DEP_2)
	v_or_b32_e32 v30, 8, v35
	v_min_u32_e32 v36, v20, v31
	ds_store_b8 v10, v25
	s_wait_dscnt 0x4
	ds_store_b64 v29, v[4:5]
	ds_store_b8 v10, v26 offset:1
	s_wait_dscnt 0x5
	ds_store_b64 v21, v[14:15]
	ds_store_b8 v10, v28 offset:2
	;; [unrolled: 3-line block ×3, first 2 shown]
	s_wait_dscnt 0x7
	ds_store_b64 v12, v[16:17]
	v_min_u32_e32 v33, v20, v30
	; wave barrier
	s_delay_alu instid0(VALU_DEP_1) | instskip(SKIP_1) | instid1(VALU_DEP_2)
	v_add_nc_u32_e32 v30, 8, v33
	v_sub_nc_u32_e32 v31, v33, v35
	v_min_u32_e32 v34, v20, v30
	s_delay_alu instid0(VALU_DEP_1) | instskip(NEXT) | instid1(VALU_DEP_1)
	v_sub_nc_u32_e32 v30, v34, v33
	v_sub_nc_u32_e64 v37, v36, v30 clamp
	s_delay_alu instid0(VALU_DEP_4) | instskip(NEXT) | instid1(VALU_DEP_1)
	v_min_u32_e32 v30, v36, v31
	v_cmpx_lt_u32_e64 v37, v30
	s_cbranch_execz .LBB315_80
; %bb.77:
	v_add_co_u32 v31, null, v11, v35
	v_add_co_u32 v32, null, v11, v33
	s_mov_b32 s5, 0
.LBB315_78:                             ; =>This Inner Loop Header: Depth=1
	v_add_nc_u32_e32 v38, v30, v37
	s_delay_alu instid0(VALU_DEP_1) | instskip(NEXT) | instid1(VALU_DEP_1)
	v_lshrrev_b32_e32 v38, 1, v38
	v_not_b32_e32 v39, v38
	v_add_nc_u32_e32 v48, v31, v38
	v_add_nc_u32_e32 v49, 1, v38
	s_delay_alu instid0(VALU_DEP_3)
	v_add3_u32 v39, v36, v39, v32
	ds_load_i8 v48, v48
	ds_load_i8 v39, v39
	s_wait_dscnt 0x0
	v_cmp_gt_i16_e64 s3, v39, v48
	s_wait_alu 0xf1ff
	s_delay_alu instid0(VALU_DEP_1) | instskip(SKIP_1) | instid1(VALU_DEP_1)
	v_cndmask_b32_e64 v30, v30, v38, s3
	v_cndmask_b32_e64 v37, v49, v37, s3
	v_cmp_ge_u32_e64 s3, v37, v30
	s_wait_alu 0xfffe
	s_or_b32 s5, s3, s5
	s_wait_alu 0xfffe
	s_and_not1_b32 exec_lo, exec_lo, s5
	s_cbranch_execnz .LBB315_78
; %bb.79:
	s_or_b32 exec_lo, exec_lo, s5
.LBB315_80:
	s_wait_alu 0xfffe
	s_or_b32 exec_lo, exec_lo, s4
	v_add_nc_u32_e32 v38, v33, v36
	v_add_nc_u32_e32 v36, v37, v35
	;; [unrolled: 1-line block ×5, first 2 shown]
	v_sub_nc_u32_e32 v35, v38, v37
	v_cmp_le_u32_e64 s3, v36, v33
	s_delay_alu instid0(VALU_DEP_2)
	v_cmp_le_u32_e64 s4, v35, v34
	s_or_b32 s3, s3, s4
	s_wait_alu 0xfffe
	s_and_saveexec_b32 s9, s3
	s_cbranch_execz .LBB315_86
; %bb.81:
	v_cmp_lt_u32_e64 s3, v36, v33
                                        ; implicit-def: $vgpr25
	s_and_saveexec_b32 s4, s3
; %bb.82:
	v_add_nc_u32_e32 v4, v11, v36
	ds_load_u8 v25, v4
; %bb.83:
	s_wait_alu 0xfffe
	s_or_b32 exec_lo, exec_lo, s4
	v_cmp_ge_u32_e64 s4, v35, v34
	s_mov_b32 s6, exec_lo
                                        ; implicit-def: $vgpr26
	v_cmpx_lt_u32_e64 v35, v34
; %bb.84:
	v_add_nc_u32_e32 v4, v11, v35
	ds_load_u8 v26, v4
; %bb.85:
	s_wait_alu 0xfffe
	s_or_b32 exec_lo, exec_lo, s6
	s_wait_dscnt 0x0
	v_bfe_i32 v4, v25, 0, 8
	v_bfe_i32 v5, v26, 0, 8
	s_delay_alu instid0(VALU_DEP_1)
	v_cmp_le_i16_e64 s5, v5, v4
	s_and_b32 s3, s3, s5
	s_wait_alu 0xfffe
	s_or_b32 s3, s4, s3
	s_wait_alu 0xfffe
	v_cndmask_b32_e64 v4, v35, v36, s3
	v_cndmask_b32_e64 v5, v34, v33, s3
	s_delay_alu instid0(VALU_DEP_2) | instskip(NEXT) | instid1(VALU_DEP_2)
	v_add_nc_u32_e32 v14, 1, v4
	v_add_nc_u32_e32 v5, -1, v5
	v_lshl_add_u32 v4, v4, 3, v9
	s_delay_alu instid0(VALU_DEP_2) | instskip(NEXT) | instid1(VALU_DEP_1)
	v_min_u32_e32 v5, v14, v5
	v_add_nc_u32_e32 v5, v11, v5
	ds_load_u8 v5, v5
	s_wait_dscnt 0x0
	v_cndmask_b32_e64 v27, v5, v26, s3
	v_cndmask_b32_e64 v28, v25, v5, s3
	;; [unrolled: 1-line block ×5, first 2 shown]
	v_bfe_i32 v15, v27, 0, 8
	v_bfe_i32 v16, v28, 0, 8
	v_cmp_lt_u32_e64 s4, v5, v33
	v_cmp_ge_u32_e64 s6, v14, v34
	s_delay_alu instid0(VALU_DEP_3)
	v_cmp_le_i16_e64 s5, v15, v16
	s_and_b32 s4, s4, s5
	s_wait_alu 0xfffe
	s_or_b32 s4, s6, s4
	s_wait_alu 0xfffe
	v_cndmask_b32_e64 v15, v14, v5, s4
	v_cndmask_b32_e64 v16, v34, v33, s4
	;; [unrolled: 1-line block ×3, first 2 shown]
	s_delay_alu instid0(VALU_DEP_3) | instskip(NEXT) | instid1(VALU_DEP_3)
	v_add_nc_u32_e32 v17, 1, v15
	v_add_nc_u32_e32 v16, -1, v16
	s_delay_alu instid0(VALU_DEP_2) | instskip(NEXT) | instid1(VALU_DEP_2)
	v_cndmask_b32_e64 v5, v5, v17, s4
	v_min_u32_e32 v16, v17, v16
	v_cndmask_b32_e64 v14, v17, v14, s4
	s_delay_alu instid0(VALU_DEP_3) | instskip(NEXT) | instid1(VALU_DEP_3)
	v_cmp_lt_u32_e64 s5, v5, v33
	v_add_nc_u32_e32 v16, v11, v16
	s_delay_alu instid0(VALU_DEP_3) | instskip(SKIP_4) | instid1(VALU_DEP_2)
	v_cmp_ge_u32_e64 s7, v14, v34
	ds_load_u8 v16, v16
	s_wait_dscnt 0x0
	v_cndmask_b32_e64 v35, v16, v27, s4
	v_cndmask_b32_e64 v36, v28, v16, s4
	v_bfe_i32 v16, v35, 0, 8
	s_delay_alu instid0(VALU_DEP_2) | instskip(NEXT) | instid1(VALU_DEP_1)
	v_bfe_i32 v18, v36, 0, 8
	v_cmp_le_i16_e64 s6, v16, v18
	s_and_b32 s5, s5, s6
	s_wait_alu 0xfffe
	s_or_b32 s5, s7, s5
	s_wait_alu 0xfffe
	v_cndmask_b32_e64 v16, v14, v5, s5
	v_cndmask_b32_e64 v17, v34, v33, s5
	;; [unrolled: 1-line block ×3, first 2 shown]
	s_delay_alu instid0(VALU_DEP_3) | instskip(NEXT) | instid1(VALU_DEP_3)
	v_add_nc_u32_e32 v18, 1, v16
	v_add_nc_u32_e32 v17, -1, v17
	v_lshl_add_u32 v16, v16, 3, v9
	s_delay_alu instid0(VALU_DEP_3) | instskip(NEXT) | instid1(VALU_DEP_3)
	v_cndmask_b32_e64 v5, v5, v18, s5
	v_min_u32_e32 v17, v18, v17
	v_cndmask_b32_e64 v14, v18, v14, s5
	s_delay_alu instid0(VALU_DEP_3) | instskip(NEXT) | instid1(VALU_DEP_3)
	v_cmp_lt_u32_e64 s6, v5, v33
	v_add_nc_u32_e32 v17, v11, v17
	s_delay_alu instid0(VALU_DEP_3) | instskip(SKIP_4) | instid1(VALU_DEP_2)
	v_cmp_ge_u32_e64 s8, v14, v34
	ds_load_u8 v17, v17
	s_wait_dscnt 0x0
	v_cndmask_b32_e64 v37, v17, v35, s5
	v_cndmask_b32_e64 v38, v36, v17, s5
	v_bfe_i32 v17, v37, 0, 8
	s_delay_alu instid0(VALU_DEP_2) | instskip(NEXT) | instid1(VALU_DEP_1)
	v_bfe_i32 v19, v38, 0, 8
	v_cmp_le_i16_e64 s7, v17, v19
	s_and_b32 s6, s6, s7
	s_wait_alu 0xfffe
	s_or_b32 s6, s8, s6
	s_wait_alu 0xfffe
	v_cndmask_b32_e64 v5, v14, v5, s6
	v_lshl_add_u32 v14, v15, 3, v9
	v_cndmask_b32_e64 v27, v37, v38, s6
	s_delay_alu instid0(VALU_DEP_3)
	v_lshl_add_u32 v17, v5, 3, v9
	ds_load_b64 v[4:5], v4 offset:1024
	ds_load_b64 v[14:15], v14 offset:1024
	ds_load_b64 v[18:19], v16 offset:1024
	ds_load_b64 v[16:17], v17 offset:1024
.LBB315_86:
	s_wait_alu 0xfffe
	s_or_b32 exec_lo, exec_lo, s9
	v_and_b32_e32 v34, 0x60, v24
	; wave barrier
	ds_store_b8 v10, v25
	s_wait_dscnt 0x4
	ds_store_b64 v29, v[4:5]
	s_mov_b32 s4, exec_lo
	v_or_b32_e32 v24, 16, v34
	ds_store_b8 v32, v26
	s_wait_dscnt 0x5
	ds_store_b64 v21, v[14:15]
	ds_store_b8 v31, v28
	s_wait_dscnt 0x6
	ds_store_b64 v13, v[18:19]
	;; [unrolled: 3-line block ×3, first 2 shown]
	; wave barrier
	v_min_u32_e32 v24, v20, v24
	s_delay_alu instid0(VALU_DEP_1) | instskip(SKIP_1) | instid1(VALU_DEP_2)
	v_add_nc_u32_e32 v33, 16, v24
	v_sub_nc_u32_e32 v36, v24, v34
	v_min_u32_e32 v33, v20, v33
	v_min_u32_e32 v20, v20, v22
	s_delay_alu instid0(VALU_DEP_2) | instskip(NEXT) | instid1(VALU_DEP_2)
	v_sub_nc_u32_e32 v35, v33, v24
	v_min_u32_e32 v29, v20, v36
	s_delay_alu instid0(VALU_DEP_2) | instskip(NEXT) | instid1(VALU_DEP_1)
	v_sub_nc_u32_e64 v10, v20, v35 clamp
	v_cmpx_lt_u32_e64 v10, v29
	s_cbranch_execz .LBB315_90
; %bb.87:
	v_add_co_u32 v12, null, v11, v34
	v_add_co_u32 v13, null, v11, v24
	s_mov_b32 s5, 0
.LBB315_88:                             ; =>This Inner Loop Header: Depth=1
	v_add_nc_u32_e32 v21, v29, v10
	s_delay_alu instid0(VALU_DEP_1) | instskip(NEXT) | instid1(VALU_DEP_1)
	v_lshrrev_b32_e32 v21, 1, v21
	v_not_b32_e32 v30, v21
	v_add_nc_u32_e32 v31, v12, v21
	v_add_nc_u32_e32 v32, 1, v21
	s_delay_alu instid0(VALU_DEP_3)
	v_add3_u32 v30, v20, v30, v13
	ds_load_i8 v31, v31
	ds_load_i8 v30, v30
	s_wait_dscnt 0x0
	v_cmp_gt_i16_e64 s3, v30, v31
	s_wait_alu 0xf1ff
	s_delay_alu instid0(VALU_DEP_1) | instskip(SKIP_1) | instid1(VALU_DEP_1)
	v_cndmask_b32_e64 v29, v29, v21, s3
	v_cndmask_b32_e64 v10, v32, v10, s3
	v_cmp_ge_u32_e64 s3, v10, v29
	s_wait_alu 0xfffe
	s_or_b32 s5, s3, s5
	s_wait_alu 0xfffe
	s_and_not1_b32 exec_lo, exec_lo, s5
	s_cbranch_execnz .LBB315_88
; %bb.89:
	s_or_b32 exec_lo, exec_lo, s5
.LBB315_90:
	s_wait_alu 0xfffe
	s_or_b32 exec_lo, exec_lo, s4
	v_add_nc_u32_e32 v12, v24, v20
	v_add_nc_u32_e32 v20, v10, v34
	s_delay_alu instid0(VALU_DEP_2) | instskip(NEXT) | instid1(VALU_DEP_2)
	v_sub_nc_u32_e32 v13, v12, v10
	v_cmp_le_u32_e64 s3, v20, v24
	s_delay_alu instid0(VALU_DEP_2)
	v_cmp_le_u32_e64 s4, v13, v33
	s_or_b32 s3, s3, s4
	s_wait_alu 0xfffe
	s_and_saveexec_b32 s9, s3
	s_cbranch_execz .LBB315_96
; %bb.91:
	v_cmp_lt_u32_e64 s3, v20, v24
                                        ; implicit-def: $vgpr10
	s_and_saveexec_b32 s4, s3
; %bb.92:
	v_add_nc_u32_e32 v4, v11, v20
	ds_load_u8 v10, v4
; %bb.93:
	s_wait_alu 0xfffe
	s_or_b32 exec_lo, exec_lo, s4
	v_cmp_ge_u32_e64 s4, v13, v33
	s_mov_b32 s6, exec_lo
                                        ; implicit-def: $vgpr12
	v_cmpx_lt_u32_e64 v13, v33
; %bb.94:
	v_add_nc_u32_e32 v4, v11, v13
	ds_load_u8 v12, v4
; %bb.95:
	s_wait_alu 0xfffe
	s_or_b32 exec_lo, exec_lo, s6
	s_wait_dscnt 0x0
	v_bfe_i32 v4, v10, 0, 8
	v_bfe_i32 v5, v12, 0, 8
	s_delay_alu instid0(VALU_DEP_1)
	v_cmp_le_i16_e64 s5, v5, v4
	s_and_b32 s3, s3, s5
	s_wait_alu 0xfffe
	s_or_b32 s3, s4, s3
	s_wait_alu 0xfffe
	v_cndmask_b32_e64 v4, v13, v20, s3
	v_cndmask_b32_e64 v5, v33, v24, s3
	;; [unrolled: 1-line block ×3, first 2 shown]
	s_delay_alu instid0(VALU_DEP_3) | instskip(NEXT) | instid1(VALU_DEP_3)
	v_add_nc_u32_e32 v14, 1, v4
	v_add_nc_u32_e32 v5, -1, v5
	v_lshl_add_u32 v4, v4, 3, v9
	s_delay_alu instid0(VALU_DEP_3) | instskip(NEXT) | instid1(VALU_DEP_3)
	v_cndmask_b32_e64 v13, v14, v13, s3
	v_min_u32_e32 v5, v14, v5
	s_delay_alu instid0(VALU_DEP_2) | instskip(NEXT) | instid1(VALU_DEP_2)
	v_cmp_ge_u32_e64 s6, v13, v33
	v_add_nc_u32_e32 v5, v11, v5
	ds_load_u8 v5, v5
	s_wait_dscnt 0x0
	v_cndmask_b32_e64 v21, v5, v12, s3
	v_cndmask_b32_e64 v26, v10, v5, s3
	;; [unrolled: 1-line block ×3, first 2 shown]
	s_delay_alu instid0(VALU_DEP_3) | instskip(NEXT) | instid1(VALU_DEP_3)
	v_bfe_i32 v15, v21, 0, 8
	v_bfe_i32 v16, v26, 0, 8
	s_delay_alu instid0(VALU_DEP_3) | instskip(NEXT) | instid1(VALU_DEP_2)
	v_cmp_lt_u32_e64 s4, v5, v24
	v_cmp_le_i16_e64 s5, v15, v16
	s_and_b32 s4, s4, s5
	s_wait_alu 0xfffe
	s_or_b32 s4, s6, s4
	s_wait_alu 0xfffe
	v_cndmask_b32_e64 v14, v13, v5, s4
	v_cndmask_b32_e64 v15, v33, v24, s4
	s_delay_alu instid0(VALU_DEP_2) | instskip(NEXT) | instid1(VALU_DEP_2)
	v_add_nc_u32_e32 v16, 1, v14
	v_add_nc_u32_e32 v15, -1, v15
	s_delay_alu instid0(VALU_DEP_2) | instskip(NEXT) | instid1(VALU_DEP_2)
	v_cndmask_b32_e64 v5, v5, v16, s4
	v_min_u32_e32 v15, v16, v15
	v_cndmask_b32_e64 v13, v16, v13, s4
	s_delay_alu instid0(VALU_DEP_3) | instskip(NEXT) | instid1(VALU_DEP_3)
	v_cmp_lt_u32_e64 s5, v5, v24
	v_add_nc_u32_e32 v15, v11, v15
	s_delay_alu instid0(VALU_DEP_3)
	v_cmp_ge_u32_e64 s7, v13, v33
	ds_load_u8 v15, v15
	s_wait_dscnt 0x0
	v_cndmask_b32_e64 v20, v15, v21, s4
	v_cndmask_b32_e64 v27, v26, v15, s4
	;; [unrolled: 1-line block ×3, first 2 shown]
	s_delay_alu instid0(VALU_DEP_3) | instskip(NEXT) | instid1(VALU_DEP_3)
	v_bfe_i32 v15, v20, 0, 8
	v_bfe_i32 v17, v27, 0, 8
	s_delay_alu instid0(VALU_DEP_1)
	v_cmp_le_i16_e64 s6, v15, v17
	s_and_b32 s5, s5, s6
	s_wait_alu 0xfffe
	s_or_b32 s5, s7, s5
	s_wait_alu 0xfffe
	v_cndmask_b32_e64 v15, v13, v5, s5
	v_cndmask_b32_e64 v16, v33, v24, s5
	;; [unrolled: 1-line block ×3, first 2 shown]
	s_delay_alu instid0(VALU_DEP_3) | instskip(NEXT) | instid1(VALU_DEP_3)
	v_add_nc_u32_e32 v17, 1, v15
	v_add_nc_u32_e32 v16, -1, v16
	s_delay_alu instid0(VALU_DEP_2) | instskip(NEXT) | instid1(VALU_DEP_2)
	v_cndmask_b32_e64 v5, v5, v17, s5
	v_min_u32_e32 v16, v17, v16
	v_cndmask_b32_e64 v13, v17, v13, s5
	s_delay_alu instid0(VALU_DEP_3) | instskip(NEXT) | instid1(VALU_DEP_3)
	v_cmp_lt_u32_e64 s6, v5, v24
	v_add_nc_u32_e32 v11, v11, v16
	s_delay_alu instid0(VALU_DEP_3) | instskip(SKIP_4) | instid1(VALU_DEP_2)
	v_cmp_ge_u32_e64 s8, v13, v33
	ds_load_u8 v11, v11
	s_wait_dscnt 0x0
	v_cndmask_b32_e64 v29, v11, v20, s5
	v_cndmask_b32_e64 v11, v27, v11, s5
	v_bfe_i32 v16, v29, 0, 8
	s_delay_alu instid0(VALU_DEP_2) | instskip(NEXT) | instid1(VALU_DEP_1)
	v_bfe_i32 v18, v11, 0, 8
	v_cmp_le_i16_e64 s7, v16, v18
	v_lshl_add_u32 v16, v15, 3, v9
	s_and_b32 s6, s6, s7
	s_wait_alu 0xfffe
	s_or_b32 s6, s8, s6
	s_wait_alu 0xfffe
	v_cndmask_b32_e64 v5, v13, v5, s6
	v_lshl_add_u32 v13, v14, 3, v9
	v_cndmask_b32_e64 v27, v29, v11, s6
	s_delay_alu instid0(VALU_DEP_3)
	v_lshl_add_u32 v9, v5, 3, v9
	ds_load_b64 v[4:5], v4 offset:1024
	ds_load_b64 v[14:15], v13 offset:1024
	;; [unrolled: 1-line block ×4, first 2 shown]
.LBB315_96:
	s_wait_alu 0xfffe
	s_or_b32 exec_lo, exec_lo, s9
	; wave barrier
	s_wait_storecnt_dscnt 0x0
	s_barrier_signal -1
	s_barrier_wait -1
.LBB315_97:
	s_wait_alu 0xfffe
	s_or_b32 exec_lo, exec_lo, s10
	v_add_co_u32 v2, s3, v2, v8
	s_wait_alu 0xf1ff
	v_add_co_ci_u32_e64 v3, null, 0, v3, s3
	s_wait_storecnt 0x0
	s_wait_loadcnt_dscnt 0x0
	global_inv scope:SCOPE_SE
	v_add_co_u32 v2, s3, v2, v22
	s_wait_alu 0xf1ff
	v_add_co_ci_u32_e64 v3, null, 0, v3, s3
	; wave barrier
	s_and_saveexec_b32 s3, vcc_lo
	s_cbranch_execnz .LBB315_110
; %bb.98:
	s_wait_alu 0xfffe
	s_or_b32 exec_lo, exec_lo, s3
	s_and_saveexec_b32 s3, s0
	s_cbranch_execnz .LBB315_111
.LBB315_99:
	s_wait_alu 0xfffe
	s_or_b32 exec_lo, exec_lo, s3
	s_and_saveexec_b32 s3, s1
	s_cbranch_execnz .LBB315_112
.LBB315_100:
	s_wait_alu 0xfffe
	s_or_b32 exec_lo, exec_lo, s3
	s_and_saveexec_b32 s3, s2
	s_cbranch_execz .LBB315_102
.LBB315_101:
	flat_store_b8 v[2:3], v27 offset:3
.LBB315_102:
	s_wait_alu 0xfffe
	s_or_b32 exec_lo, exec_lo, s3
	v_add_co_u32 v0, s3, v6, v0
	s_wait_alu 0xf1ff
	v_add_co_ci_u32_e64 v1, null, v7, v1, s3
	s_delay_alu instid0(VALU_DEP_2) | instskip(SKIP_1) | instid1(VALU_DEP_2)
	v_add_co_u32 v0, s3, v0, v23
	s_wait_alu 0xf1ff
	v_add_co_ci_u32_e64 v1, null, 0, v1, s3
	; wave barrier
	s_and_saveexec_b32 s3, vcc_lo
	s_cbranch_execnz .LBB315_113
; %bb.103:
	s_wait_alu 0xfffe
	s_or_b32 exec_lo, exec_lo, s3
	s_and_saveexec_b32 s3, s0
	s_cbranch_execnz .LBB315_114
.LBB315_104:
	s_wait_alu 0xfffe
	s_or_b32 exec_lo, exec_lo, s3
	s_and_saveexec_b32 s0, s1
	s_cbranch_execnz .LBB315_115
.LBB315_105:
	s_wait_alu 0xfffe
	s_or_b32 exec_lo, exec_lo, s0
	s_and_saveexec_b32 s0, s2
	s_cbranch_execnz .LBB315_116
.LBB315_106:
	s_wait_alu 0xfffe
	s_or_b32 exec_lo, exec_lo, s0
	s_wait_loadcnt_dscnt 0x0
	s_setpc_b64 s[30:31]
.LBB315_107:
	flat_load_b64 v[4:5], v[20:21]
	s_wait_alu 0xfffe
	s_or_b32 exec_lo, exec_lo, s3
                                        ; implicit-def: $vgpr14_vgpr15
	s_and_saveexec_b32 s3, s0
	s_cbranch_execz .LBB315_10
.LBB315_108:
	flat_load_b64 v[14:15], v[20:21] offset:8
	s_wait_alu 0xfffe
	s_or_b32 exec_lo, exec_lo, s3
                                        ; implicit-def: $vgpr18_vgpr19
	s_and_saveexec_b32 s3, s1
	s_cbranch_execz .LBB315_11
.LBB315_109:
	flat_load_b64 v[18:19], v[20:21] offset:16
	s_wait_alu 0xfffe
	s_or_b32 exec_lo, exec_lo, s3
                                        ; implicit-def: $vgpr16_vgpr17
	s_and_saveexec_b32 s3, s2
	s_cbranch_execnz .LBB315_12
	s_branch .LBB315_13
.LBB315_110:
	flat_store_b8 v[2:3], v25
	s_wait_alu 0xfffe
	s_or_b32 exec_lo, exec_lo, s3
	s_and_saveexec_b32 s3, s0
	s_cbranch_execz .LBB315_99
.LBB315_111:
	flat_store_b8 v[2:3], v26 offset:1
	s_wait_alu 0xfffe
	s_or_b32 exec_lo, exec_lo, s3
	s_and_saveexec_b32 s3, s1
	s_cbranch_execz .LBB315_100
.LBB315_112:
	flat_store_b8 v[2:3], v28 offset:2
	s_wait_alu 0xfffe
	s_or_b32 exec_lo, exec_lo, s3
	s_and_saveexec_b32 s3, s2
	s_cbranch_execnz .LBB315_101
	s_branch .LBB315_102
.LBB315_113:
	flat_store_b64 v[0:1], v[4:5]
	s_wait_alu 0xfffe
	s_or_b32 exec_lo, exec_lo, s3
	s_and_saveexec_b32 s3, s0
	s_cbranch_execz .LBB315_104
.LBB315_114:
	flat_store_b64 v[0:1], v[14:15] offset:8
	s_wait_alu 0xfffe
	s_or_b32 exec_lo, exec_lo, s3
	s_and_saveexec_b32 s0, s1
	s_cbranch_execz .LBB315_105
.LBB315_115:
	flat_store_b64 v[0:1], v[18:19] offset:16
	s_wait_alu 0xfffe
	s_or_b32 exec_lo, exec_lo, s0
	s_and_saveexec_b32 s0, s2
	s_cbranch_execz .LBB315_106
.LBB315_116:
	flat_store_b64 v[0:1], v[16:17] offset:24
	s_wait_alu 0xfffe
	s_or_b32 exec_lo, exec_lo, s0
	s_wait_loadcnt_dscnt 0x0
	s_setpc_b64 s[30:31]
.Lfunc_end315:
	.size	_ZN7rocprim17ROCPRIM_400000_NS6detail26segmented_warp_sort_helperINS1_20WarpSortHelperConfigILj8ELj4ELj256EEEalLi256ELb1EvE4sortIPKaPaPKlPlEEvT_T0_T1_T2_jjjjRNS5_12storage_typeE, .Lfunc_end315-_ZN7rocprim17ROCPRIM_400000_NS6detail26segmented_warp_sort_helperINS1_20WarpSortHelperConfigILj8ELj4ELj256EEEalLi256ELb1EvE4sortIPKaPaPKlPlEEvT_T0_T1_T2_jjjjRNS5_12storage_typeE
                                        ; -- End function
	.set .L_ZN7rocprim17ROCPRIM_400000_NS6detail26segmented_warp_sort_helperINS1_20WarpSortHelperConfigILj8ELj4ELj256EEEalLi256ELb1EvE4sortIPKaPaPKlPlEEvT_T0_T1_T2_jjjjRNS5_12storage_typeE.num_vgpr, 51
	.set .L_ZN7rocprim17ROCPRIM_400000_NS6detail26segmented_warp_sort_helperINS1_20WarpSortHelperConfigILj8ELj4ELj256EEEalLi256ELb1EvE4sortIPKaPaPKlPlEEvT_T0_T1_T2_jjjjRNS5_12storage_typeE.num_agpr, 0
	.set .L_ZN7rocprim17ROCPRIM_400000_NS6detail26segmented_warp_sort_helperINS1_20WarpSortHelperConfigILj8ELj4ELj256EEEalLi256ELb1EvE4sortIPKaPaPKlPlEEvT_T0_T1_T2_jjjjRNS5_12storage_typeE.numbered_sgpr, 32
	.set .L_ZN7rocprim17ROCPRIM_400000_NS6detail26segmented_warp_sort_helperINS1_20WarpSortHelperConfigILj8ELj4ELj256EEEalLi256ELb1EvE4sortIPKaPaPKlPlEEvT_T0_T1_T2_jjjjRNS5_12storage_typeE.num_named_barrier, 0
	.set .L_ZN7rocprim17ROCPRIM_400000_NS6detail26segmented_warp_sort_helperINS1_20WarpSortHelperConfigILj8ELj4ELj256EEEalLi256ELb1EvE4sortIPKaPaPKlPlEEvT_T0_T1_T2_jjjjRNS5_12storage_typeE.private_seg_size, 0
	.set .L_ZN7rocprim17ROCPRIM_400000_NS6detail26segmented_warp_sort_helperINS1_20WarpSortHelperConfigILj8ELj4ELj256EEEalLi256ELb1EvE4sortIPKaPaPKlPlEEvT_T0_T1_T2_jjjjRNS5_12storage_typeE.uses_vcc, 1
	.set .L_ZN7rocprim17ROCPRIM_400000_NS6detail26segmented_warp_sort_helperINS1_20WarpSortHelperConfigILj8ELj4ELj256EEEalLi256ELb1EvE4sortIPKaPaPKlPlEEvT_T0_T1_T2_jjjjRNS5_12storage_typeE.uses_flat_scratch, 0
	.set .L_ZN7rocprim17ROCPRIM_400000_NS6detail26segmented_warp_sort_helperINS1_20WarpSortHelperConfigILj8ELj4ELj256EEEalLi256ELb1EvE4sortIPKaPaPKlPlEEvT_T0_T1_T2_jjjjRNS5_12storage_typeE.has_dyn_sized_stack, 0
	.set .L_ZN7rocprim17ROCPRIM_400000_NS6detail26segmented_warp_sort_helperINS1_20WarpSortHelperConfigILj8ELj4ELj256EEEalLi256ELb1EvE4sortIPKaPaPKlPlEEvT_T0_T1_T2_jjjjRNS5_12storage_typeE.has_recursion, 0
	.set .L_ZN7rocprim17ROCPRIM_400000_NS6detail26segmented_warp_sort_helperINS1_20WarpSortHelperConfigILj8ELj4ELj256EEEalLi256ELb1EvE4sortIPKaPaPKlPlEEvT_T0_T1_T2_jjjjRNS5_12storage_typeE.has_indirect_call, 0
	.section	.AMDGPU.csdata,"",@progbits
; Function info:
; codeLenInByte = 9332
; TotalNumSgprs: 34
; NumVgprs: 51
; ScratchSize: 0
; MemoryBound: 0
	.section	.text._ZN7rocprim17ROCPRIM_400000_NS6detail17trampoline_kernelINS0_14default_configENS1_36segmented_radix_sort_config_selectorIalEEZNS1_25segmented_radix_sort_implIS3_Lb1EPKaPaPKlPlN2at6native12_GLOBAL__N_18offset_tEEE10hipError_tPvRmT1_PNSt15iterator_traitsISK_E10value_typeET2_T3_PNSL_ISQ_E10value_typeET4_jRbjT5_SW_jjP12ihipStream_tbEUlT_E1_NS1_11comp_targetILNS1_3genE10ELNS1_11target_archE1201ELNS1_3gpuE5ELNS1_3repE0EEENS1_59segmented_radix_sort_warp_sort_small_config_static_selectorELNS0_4arch9wavefront6targetE0EEEvSK_,"axG",@progbits,_ZN7rocprim17ROCPRIM_400000_NS6detail17trampoline_kernelINS0_14default_configENS1_36segmented_radix_sort_config_selectorIalEEZNS1_25segmented_radix_sort_implIS3_Lb1EPKaPaPKlPlN2at6native12_GLOBAL__N_18offset_tEEE10hipError_tPvRmT1_PNSt15iterator_traitsISK_E10value_typeET2_T3_PNSL_ISQ_E10value_typeET4_jRbjT5_SW_jjP12ihipStream_tbEUlT_E1_NS1_11comp_targetILNS1_3genE10ELNS1_11target_archE1201ELNS1_3gpuE5ELNS1_3repE0EEENS1_59segmented_radix_sort_warp_sort_small_config_static_selectorELNS0_4arch9wavefront6targetE0EEEvSK_,comdat
	.globl	_ZN7rocprim17ROCPRIM_400000_NS6detail17trampoline_kernelINS0_14default_configENS1_36segmented_radix_sort_config_selectorIalEEZNS1_25segmented_radix_sort_implIS3_Lb1EPKaPaPKlPlN2at6native12_GLOBAL__N_18offset_tEEE10hipError_tPvRmT1_PNSt15iterator_traitsISK_E10value_typeET2_T3_PNSL_ISQ_E10value_typeET4_jRbjT5_SW_jjP12ihipStream_tbEUlT_E1_NS1_11comp_targetILNS1_3genE10ELNS1_11target_archE1201ELNS1_3gpuE5ELNS1_3repE0EEENS1_59segmented_radix_sort_warp_sort_small_config_static_selectorELNS0_4arch9wavefront6targetE0EEEvSK_ ; -- Begin function _ZN7rocprim17ROCPRIM_400000_NS6detail17trampoline_kernelINS0_14default_configENS1_36segmented_radix_sort_config_selectorIalEEZNS1_25segmented_radix_sort_implIS3_Lb1EPKaPaPKlPlN2at6native12_GLOBAL__N_18offset_tEEE10hipError_tPvRmT1_PNSt15iterator_traitsISK_E10value_typeET2_T3_PNSL_ISQ_E10value_typeET4_jRbjT5_SW_jjP12ihipStream_tbEUlT_E1_NS1_11comp_targetILNS1_3genE10ELNS1_11target_archE1201ELNS1_3gpuE5ELNS1_3repE0EEENS1_59segmented_radix_sort_warp_sort_small_config_static_selectorELNS0_4arch9wavefront6targetE0EEEvSK_
	.p2align	8
	.type	_ZN7rocprim17ROCPRIM_400000_NS6detail17trampoline_kernelINS0_14default_configENS1_36segmented_radix_sort_config_selectorIalEEZNS1_25segmented_radix_sort_implIS3_Lb1EPKaPaPKlPlN2at6native12_GLOBAL__N_18offset_tEEE10hipError_tPvRmT1_PNSt15iterator_traitsISK_E10value_typeET2_T3_PNSL_ISQ_E10value_typeET4_jRbjT5_SW_jjP12ihipStream_tbEUlT_E1_NS1_11comp_targetILNS1_3genE10ELNS1_11target_archE1201ELNS1_3gpuE5ELNS1_3repE0EEENS1_59segmented_radix_sort_warp_sort_small_config_static_selectorELNS0_4arch9wavefront6targetE0EEEvSK_,@function
_ZN7rocprim17ROCPRIM_400000_NS6detail17trampoline_kernelINS0_14default_configENS1_36segmented_radix_sort_config_selectorIalEEZNS1_25segmented_radix_sort_implIS3_Lb1EPKaPaPKlPlN2at6native12_GLOBAL__N_18offset_tEEE10hipError_tPvRmT1_PNSt15iterator_traitsISK_E10value_typeET2_T3_PNSL_ISQ_E10value_typeET4_jRbjT5_SW_jjP12ihipStream_tbEUlT_E1_NS1_11comp_targetILNS1_3genE10ELNS1_11target_archE1201ELNS1_3gpuE5ELNS1_3repE0EEENS1_59segmented_radix_sort_warp_sort_small_config_static_selectorELNS0_4arch9wavefront6targetE0EEEvSK_: ; @_ZN7rocprim17ROCPRIM_400000_NS6detail17trampoline_kernelINS0_14default_configENS1_36segmented_radix_sort_config_selectorIalEEZNS1_25segmented_radix_sort_implIS3_Lb1EPKaPaPKlPlN2at6native12_GLOBAL__N_18offset_tEEE10hipError_tPvRmT1_PNSt15iterator_traitsISK_E10value_typeET2_T3_PNSL_ISQ_E10value_typeET4_jRbjT5_SW_jjP12ihipStream_tbEUlT_E1_NS1_11comp_targetILNS1_3genE10ELNS1_11target_archE1201ELNS1_3gpuE5ELNS1_3repE0EEENS1_59segmented_radix_sort_warp_sort_small_config_static_selectorELNS0_4arch9wavefront6targetE0EEEvSK_
; %bb.0:
	s_load_b32 s2, s[0:1], 0x64
	v_bfe_u32 v1, v0, 10, 10
	v_bfe_u32 v2, v0, 20, 10
	s_mov_b32 s32, 0
	s_wait_kmcnt 0x0
	s_lshr_b32 s3, s2, 16
	s_and_b32 s2, s2, 0xffff
	v_mad_u32_u24 v2, v2, s3, v1
	v_and_b32_e32 v1, 0x3ff, v0
	s_load_b32 s3, s[0:1], 0x34
	s_delay_alu instid0(VALU_DEP_1) | instskip(SKIP_2) | instid1(VALU_DEP_1)
	v_mad_co_u64_u32 v[1:2], null, v2, s2, v[1:2]
	s_mov_b32 s2, exec_lo
	v_lshrrev_b32_e32 v1, 3, v1
	v_lshl_add_u32 v1, ttmp9, 5, v1
	s_wait_kmcnt 0x0
	s_delay_alu instid0(VALU_DEP_1)
	v_cmpx_gt_u32_e64 s3, v1
	s_cbranch_execz .LBB316_6
; %bb.1:
	s_clause 0x1
	s_load_b64 s[2:3], s[0:1], 0x38
	s_load_b128 s[4:7], s[0:1], 0x40
	v_mov_b32_e32 v2, 0
	s_delay_alu instid0(VALU_DEP_1) | instskip(SKIP_1) | instid1(VALU_DEP_1)
	v_lshlrev_b64_e32 v[1:2], 2, v[1:2]
	s_wait_kmcnt 0x0
	v_sub_co_u32 v1, vcc_lo, s2, v1
	s_delay_alu instid0(VALU_DEP_1) | instskip(SKIP_4) | instid1(VALU_DEP_2)
	v_sub_co_ci_u32_e64 v2, null, s3, v2, vcc_lo
	global_load_b32 v1, v[1:2], off offset:-4
	s_wait_loadcnt 0x0
	v_add_nc_u32_e32 v2, s5, v1
	v_add_nc_u32_e32 v1, s7, v1
	v_mul_lo_u32 v8, v2, s4
	s_delay_alu instid0(VALU_DEP_2) | instskip(NEXT) | instid1(VALU_DEP_1)
	v_mul_lo_u32 v40, v1, s6
	v_cmp_gt_u32_e32 vcc_lo, v40, v8
	s_and_b32 exec_lo, exec_lo, vcc_lo
	s_cbranch_execz .LBB316_6
; %bb.2:
	s_clause 0x3
	s_load_b32 s2, s[0:1], 0x30
	s_load_b128 s[24:27], s[0:1], 0x20
	s_load_b256 s[16:23], s[0:1], 0x0
	s_load_b64 s[28:29], s[0:1], 0x50
	s_add_nc_u64 s[14:15], s[0:1], 0x58
	s_wait_kmcnt 0x0
	s_bitcmp0_b32 s2, 0
	s_mov_b32 s2, -1
	s_cbranch_scc0 .LBB316_4
; %bb.3:
	s_mov_b64 s[0:1], src_shared_base
	v_mov_b32_e32 v31, v0
	v_dual_mov_b32 v41, v0 :: v_dual_mov_b32 v2, s18
	v_dual_mov_b32 v0, s16 :: v_dual_mov_b32 v1, s17
	;; [unrolled: 1-line block ×6, first 2 shown]
	v_mov_b32_e32 v11, s29
	s_wait_alu 0xfffe
	v_mov_b32_e32 v13, s1
	s_getpc_b64 s[2:3]
	s_wait_alu 0xfffe
	s_sext_i32_i16 s3, s3
	s_add_co_u32 s2, s2, _ZN7rocprim17ROCPRIM_400000_NS6detail26segmented_warp_sort_helperINS1_20WarpSortHelperConfigILj8ELj4ELj256EEEalLi256ELb1EvE4sortIPKaPaPKlPlEEvT_T0_T1_T2_jjjjRNS5_12storage_typeE@rel32@lo+12
	s_wait_alu 0xfffe
	s_add_co_ci_u32 s3, s3, _ZN7rocprim17ROCPRIM_400000_NS6detail26segmented_warp_sort_helperINS1_20WarpSortHelperConfigILj8ELj4ELj256EEEalLi256ELb1EvE4sortIPKaPaPKlPlEEvT_T0_T1_T2_jjjjRNS5_12storage_typeE@rel32@hi+24
	s_mov_b64 s[8:9], s[14:15]
	s_wait_alu 0xfffe
	s_swappc_b64 s[30:31], s[2:3]
	v_mov_b32_e32 v0, v41
	s_mov_b32 s2, 0
.LBB316_4:
	s_wait_alu 0xfffe
	s_and_not1_b32 vcc_lo, exec_lo, s2
	s_wait_alu 0xfffe
	s_cbranch_vccnz .LBB316_6
; %bb.5:
	s_mov_b64 s[0:1], src_shared_base
	v_dual_mov_b32 v31, v0 :: v_dual_mov_b32 v0, s16
	v_dual_mov_b32 v1, s17 :: v_dual_mov_b32 v2, s20
	;; [unrolled: 1-line block ×6, first 2 shown]
	v_mov_b32_e32 v11, s29
	s_wait_alu 0xfffe
	v_mov_b32_e32 v13, s1
	s_getpc_b64 s[2:3]
	s_wait_alu 0xfffe
	s_sext_i32_i16 s3, s3
	s_add_co_u32 s2, s2, _ZN7rocprim17ROCPRIM_400000_NS6detail26segmented_warp_sort_helperINS1_20WarpSortHelperConfigILj8ELj4ELj256EEEalLi256ELb1EvE4sortIPKaPaPKlPlEEvT_T0_T1_T2_jjjjRNS5_12storage_typeE@rel32@lo+12
	s_wait_alu 0xfffe
	s_add_co_ci_u32 s3, s3, _ZN7rocprim17ROCPRIM_400000_NS6detail26segmented_warp_sort_helperINS1_20WarpSortHelperConfigILj8ELj4ELj256EEEalLi256ELb1EvE4sortIPKaPaPKlPlEEvT_T0_T1_T2_jjjjRNS5_12storage_typeE@rel32@hi+24
	s_mov_b64 s[8:9], s[14:15]
	s_wait_alu 0xfffe
	s_swappc_b64 s[30:31], s[2:3]
.LBB316_6:
	s_endpgm
	.section	.rodata,"a",@progbits
	.p2align	6, 0x0
	.amdhsa_kernel _ZN7rocprim17ROCPRIM_400000_NS6detail17trampoline_kernelINS0_14default_configENS1_36segmented_radix_sort_config_selectorIalEEZNS1_25segmented_radix_sort_implIS3_Lb1EPKaPaPKlPlN2at6native12_GLOBAL__N_18offset_tEEE10hipError_tPvRmT1_PNSt15iterator_traitsISK_E10value_typeET2_T3_PNSL_ISQ_E10value_typeET4_jRbjT5_SW_jjP12ihipStream_tbEUlT_E1_NS1_11comp_targetILNS1_3genE10ELNS1_11target_archE1201ELNS1_3gpuE5ELNS1_3repE0EEENS1_59segmented_radix_sort_warp_sort_small_config_static_selectorELNS0_4arch9wavefront6targetE0EEEvSK_
		.amdhsa_group_segment_fixed_size 9216
		.amdhsa_private_segment_fixed_size 0
		.amdhsa_kernarg_size 344
		.amdhsa_user_sgpr_count 2
		.amdhsa_user_sgpr_dispatch_ptr 0
		.amdhsa_user_sgpr_queue_ptr 0
		.amdhsa_user_sgpr_kernarg_segment_ptr 1
		.amdhsa_user_sgpr_dispatch_id 0
		.amdhsa_user_sgpr_private_segment_size 0
		.amdhsa_wavefront_size32 1
		.amdhsa_uses_dynamic_stack 0
		.amdhsa_enable_private_segment 0
		.amdhsa_system_sgpr_workgroup_id_x 1
		.amdhsa_system_sgpr_workgroup_id_y 1
		.amdhsa_system_sgpr_workgroup_id_z 0
		.amdhsa_system_sgpr_workgroup_info 0
		.amdhsa_system_vgpr_workitem_id 2
		.amdhsa_next_free_vgpr 51
		.amdhsa_next_free_sgpr 33
		.amdhsa_reserve_vcc 1
		.amdhsa_float_round_mode_32 0
		.amdhsa_float_round_mode_16_64 0
		.amdhsa_float_denorm_mode_32 3
		.amdhsa_float_denorm_mode_16_64 3
		.amdhsa_fp16_overflow 0
		.amdhsa_workgroup_processor_mode 1
		.amdhsa_memory_ordered 1
		.amdhsa_forward_progress 1
		.amdhsa_inst_pref_size 5
		.amdhsa_round_robin_scheduling 0
		.amdhsa_exception_fp_ieee_invalid_op 0
		.amdhsa_exception_fp_denorm_src 0
		.amdhsa_exception_fp_ieee_div_zero 0
		.amdhsa_exception_fp_ieee_overflow 0
		.amdhsa_exception_fp_ieee_underflow 0
		.amdhsa_exception_fp_ieee_inexact 0
		.amdhsa_exception_int_div_zero 0
	.end_amdhsa_kernel
	.section	.text._ZN7rocprim17ROCPRIM_400000_NS6detail17trampoline_kernelINS0_14default_configENS1_36segmented_radix_sort_config_selectorIalEEZNS1_25segmented_radix_sort_implIS3_Lb1EPKaPaPKlPlN2at6native12_GLOBAL__N_18offset_tEEE10hipError_tPvRmT1_PNSt15iterator_traitsISK_E10value_typeET2_T3_PNSL_ISQ_E10value_typeET4_jRbjT5_SW_jjP12ihipStream_tbEUlT_E1_NS1_11comp_targetILNS1_3genE10ELNS1_11target_archE1201ELNS1_3gpuE5ELNS1_3repE0EEENS1_59segmented_radix_sort_warp_sort_small_config_static_selectorELNS0_4arch9wavefront6targetE0EEEvSK_,"axG",@progbits,_ZN7rocprim17ROCPRIM_400000_NS6detail17trampoline_kernelINS0_14default_configENS1_36segmented_radix_sort_config_selectorIalEEZNS1_25segmented_radix_sort_implIS3_Lb1EPKaPaPKlPlN2at6native12_GLOBAL__N_18offset_tEEE10hipError_tPvRmT1_PNSt15iterator_traitsISK_E10value_typeET2_T3_PNSL_ISQ_E10value_typeET4_jRbjT5_SW_jjP12ihipStream_tbEUlT_E1_NS1_11comp_targetILNS1_3genE10ELNS1_11target_archE1201ELNS1_3gpuE5ELNS1_3repE0EEENS1_59segmented_radix_sort_warp_sort_small_config_static_selectorELNS0_4arch9wavefront6targetE0EEEvSK_,comdat
.Lfunc_end316:
	.size	_ZN7rocprim17ROCPRIM_400000_NS6detail17trampoline_kernelINS0_14default_configENS1_36segmented_radix_sort_config_selectorIalEEZNS1_25segmented_radix_sort_implIS3_Lb1EPKaPaPKlPlN2at6native12_GLOBAL__N_18offset_tEEE10hipError_tPvRmT1_PNSt15iterator_traitsISK_E10value_typeET2_T3_PNSL_ISQ_E10value_typeET4_jRbjT5_SW_jjP12ihipStream_tbEUlT_E1_NS1_11comp_targetILNS1_3genE10ELNS1_11target_archE1201ELNS1_3gpuE5ELNS1_3repE0EEENS1_59segmented_radix_sort_warp_sort_small_config_static_selectorELNS0_4arch9wavefront6targetE0EEEvSK_, .Lfunc_end316-_ZN7rocprim17ROCPRIM_400000_NS6detail17trampoline_kernelINS0_14default_configENS1_36segmented_radix_sort_config_selectorIalEEZNS1_25segmented_radix_sort_implIS3_Lb1EPKaPaPKlPlN2at6native12_GLOBAL__N_18offset_tEEE10hipError_tPvRmT1_PNSt15iterator_traitsISK_E10value_typeET2_T3_PNSL_ISQ_E10value_typeET4_jRbjT5_SW_jjP12ihipStream_tbEUlT_E1_NS1_11comp_targetILNS1_3genE10ELNS1_11target_archE1201ELNS1_3gpuE5ELNS1_3repE0EEENS1_59segmented_radix_sort_warp_sort_small_config_static_selectorELNS0_4arch9wavefront6targetE0EEEvSK_
                                        ; -- End function
	.set _ZN7rocprim17ROCPRIM_400000_NS6detail17trampoline_kernelINS0_14default_configENS1_36segmented_radix_sort_config_selectorIalEEZNS1_25segmented_radix_sort_implIS3_Lb1EPKaPaPKlPlN2at6native12_GLOBAL__N_18offset_tEEE10hipError_tPvRmT1_PNSt15iterator_traitsISK_E10value_typeET2_T3_PNSL_ISQ_E10value_typeET4_jRbjT5_SW_jjP12ihipStream_tbEUlT_E1_NS1_11comp_targetILNS1_3genE10ELNS1_11target_archE1201ELNS1_3gpuE5ELNS1_3repE0EEENS1_59segmented_radix_sort_warp_sort_small_config_static_selectorELNS0_4arch9wavefront6targetE0EEEvSK_.num_vgpr, max(42, .L_ZN7rocprim17ROCPRIM_400000_NS6detail26segmented_warp_sort_helperINS1_20WarpSortHelperConfigILj8ELj4ELj256EEEalLi256ELb1EvE4sortIPKaPaPKlPlEEvT_T0_T1_T2_jjjjRNS5_12storage_typeE.num_vgpr)
	.set _ZN7rocprim17ROCPRIM_400000_NS6detail17trampoline_kernelINS0_14default_configENS1_36segmented_radix_sort_config_selectorIalEEZNS1_25segmented_radix_sort_implIS3_Lb1EPKaPaPKlPlN2at6native12_GLOBAL__N_18offset_tEEE10hipError_tPvRmT1_PNSt15iterator_traitsISK_E10value_typeET2_T3_PNSL_ISQ_E10value_typeET4_jRbjT5_SW_jjP12ihipStream_tbEUlT_E1_NS1_11comp_targetILNS1_3genE10ELNS1_11target_archE1201ELNS1_3gpuE5ELNS1_3repE0EEENS1_59segmented_radix_sort_warp_sort_small_config_static_selectorELNS0_4arch9wavefront6targetE0EEEvSK_.num_agpr, max(0, .L_ZN7rocprim17ROCPRIM_400000_NS6detail26segmented_warp_sort_helperINS1_20WarpSortHelperConfigILj8ELj4ELj256EEEalLi256ELb1EvE4sortIPKaPaPKlPlEEvT_T0_T1_T2_jjjjRNS5_12storage_typeE.num_agpr)
	.set _ZN7rocprim17ROCPRIM_400000_NS6detail17trampoline_kernelINS0_14default_configENS1_36segmented_radix_sort_config_selectorIalEEZNS1_25segmented_radix_sort_implIS3_Lb1EPKaPaPKlPlN2at6native12_GLOBAL__N_18offset_tEEE10hipError_tPvRmT1_PNSt15iterator_traitsISK_E10value_typeET2_T3_PNSL_ISQ_E10value_typeET4_jRbjT5_SW_jjP12ihipStream_tbEUlT_E1_NS1_11comp_targetILNS1_3genE10ELNS1_11target_archE1201ELNS1_3gpuE5ELNS1_3repE0EEENS1_59segmented_radix_sort_warp_sort_small_config_static_selectorELNS0_4arch9wavefront6targetE0EEEvSK_.numbered_sgpr, max(33, .L_ZN7rocprim17ROCPRIM_400000_NS6detail26segmented_warp_sort_helperINS1_20WarpSortHelperConfigILj8ELj4ELj256EEEalLi256ELb1EvE4sortIPKaPaPKlPlEEvT_T0_T1_T2_jjjjRNS5_12storage_typeE.numbered_sgpr)
	.set _ZN7rocprim17ROCPRIM_400000_NS6detail17trampoline_kernelINS0_14default_configENS1_36segmented_radix_sort_config_selectorIalEEZNS1_25segmented_radix_sort_implIS3_Lb1EPKaPaPKlPlN2at6native12_GLOBAL__N_18offset_tEEE10hipError_tPvRmT1_PNSt15iterator_traitsISK_E10value_typeET2_T3_PNSL_ISQ_E10value_typeET4_jRbjT5_SW_jjP12ihipStream_tbEUlT_E1_NS1_11comp_targetILNS1_3genE10ELNS1_11target_archE1201ELNS1_3gpuE5ELNS1_3repE0EEENS1_59segmented_radix_sort_warp_sort_small_config_static_selectorELNS0_4arch9wavefront6targetE0EEEvSK_.num_named_barrier, max(0, .L_ZN7rocprim17ROCPRIM_400000_NS6detail26segmented_warp_sort_helperINS1_20WarpSortHelperConfigILj8ELj4ELj256EEEalLi256ELb1EvE4sortIPKaPaPKlPlEEvT_T0_T1_T2_jjjjRNS5_12storage_typeE.num_named_barrier)
	.set _ZN7rocprim17ROCPRIM_400000_NS6detail17trampoline_kernelINS0_14default_configENS1_36segmented_radix_sort_config_selectorIalEEZNS1_25segmented_radix_sort_implIS3_Lb1EPKaPaPKlPlN2at6native12_GLOBAL__N_18offset_tEEE10hipError_tPvRmT1_PNSt15iterator_traitsISK_E10value_typeET2_T3_PNSL_ISQ_E10value_typeET4_jRbjT5_SW_jjP12ihipStream_tbEUlT_E1_NS1_11comp_targetILNS1_3genE10ELNS1_11target_archE1201ELNS1_3gpuE5ELNS1_3repE0EEENS1_59segmented_radix_sort_warp_sort_small_config_static_selectorELNS0_4arch9wavefront6targetE0EEEvSK_.private_seg_size, 0+max(.L_ZN7rocprim17ROCPRIM_400000_NS6detail26segmented_warp_sort_helperINS1_20WarpSortHelperConfigILj8ELj4ELj256EEEalLi256ELb1EvE4sortIPKaPaPKlPlEEvT_T0_T1_T2_jjjjRNS5_12storage_typeE.private_seg_size)
	.set _ZN7rocprim17ROCPRIM_400000_NS6detail17trampoline_kernelINS0_14default_configENS1_36segmented_radix_sort_config_selectorIalEEZNS1_25segmented_radix_sort_implIS3_Lb1EPKaPaPKlPlN2at6native12_GLOBAL__N_18offset_tEEE10hipError_tPvRmT1_PNSt15iterator_traitsISK_E10value_typeET2_T3_PNSL_ISQ_E10value_typeET4_jRbjT5_SW_jjP12ihipStream_tbEUlT_E1_NS1_11comp_targetILNS1_3genE10ELNS1_11target_archE1201ELNS1_3gpuE5ELNS1_3repE0EEENS1_59segmented_radix_sort_warp_sort_small_config_static_selectorELNS0_4arch9wavefront6targetE0EEEvSK_.uses_vcc, or(1, .L_ZN7rocprim17ROCPRIM_400000_NS6detail26segmented_warp_sort_helperINS1_20WarpSortHelperConfigILj8ELj4ELj256EEEalLi256ELb1EvE4sortIPKaPaPKlPlEEvT_T0_T1_T2_jjjjRNS5_12storage_typeE.uses_vcc)
	.set _ZN7rocprim17ROCPRIM_400000_NS6detail17trampoline_kernelINS0_14default_configENS1_36segmented_radix_sort_config_selectorIalEEZNS1_25segmented_radix_sort_implIS3_Lb1EPKaPaPKlPlN2at6native12_GLOBAL__N_18offset_tEEE10hipError_tPvRmT1_PNSt15iterator_traitsISK_E10value_typeET2_T3_PNSL_ISQ_E10value_typeET4_jRbjT5_SW_jjP12ihipStream_tbEUlT_E1_NS1_11comp_targetILNS1_3genE10ELNS1_11target_archE1201ELNS1_3gpuE5ELNS1_3repE0EEENS1_59segmented_radix_sort_warp_sort_small_config_static_selectorELNS0_4arch9wavefront6targetE0EEEvSK_.uses_flat_scratch, or(0, .L_ZN7rocprim17ROCPRIM_400000_NS6detail26segmented_warp_sort_helperINS1_20WarpSortHelperConfigILj8ELj4ELj256EEEalLi256ELb1EvE4sortIPKaPaPKlPlEEvT_T0_T1_T2_jjjjRNS5_12storage_typeE.uses_flat_scratch)
	.set _ZN7rocprim17ROCPRIM_400000_NS6detail17trampoline_kernelINS0_14default_configENS1_36segmented_radix_sort_config_selectorIalEEZNS1_25segmented_radix_sort_implIS3_Lb1EPKaPaPKlPlN2at6native12_GLOBAL__N_18offset_tEEE10hipError_tPvRmT1_PNSt15iterator_traitsISK_E10value_typeET2_T3_PNSL_ISQ_E10value_typeET4_jRbjT5_SW_jjP12ihipStream_tbEUlT_E1_NS1_11comp_targetILNS1_3genE10ELNS1_11target_archE1201ELNS1_3gpuE5ELNS1_3repE0EEENS1_59segmented_radix_sort_warp_sort_small_config_static_selectorELNS0_4arch9wavefront6targetE0EEEvSK_.has_dyn_sized_stack, or(0, .L_ZN7rocprim17ROCPRIM_400000_NS6detail26segmented_warp_sort_helperINS1_20WarpSortHelperConfigILj8ELj4ELj256EEEalLi256ELb1EvE4sortIPKaPaPKlPlEEvT_T0_T1_T2_jjjjRNS5_12storage_typeE.has_dyn_sized_stack)
	.set _ZN7rocprim17ROCPRIM_400000_NS6detail17trampoline_kernelINS0_14default_configENS1_36segmented_radix_sort_config_selectorIalEEZNS1_25segmented_radix_sort_implIS3_Lb1EPKaPaPKlPlN2at6native12_GLOBAL__N_18offset_tEEE10hipError_tPvRmT1_PNSt15iterator_traitsISK_E10value_typeET2_T3_PNSL_ISQ_E10value_typeET4_jRbjT5_SW_jjP12ihipStream_tbEUlT_E1_NS1_11comp_targetILNS1_3genE10ELNS1_11target_archE1201ELNS1_3gpuE5ELNS1_3repE0EEENS1_59segmented_radix_sort_warp_sort_small_config_static_selectorELNS0_4arch9wavefront6targetE0EEEvSK_.has_recursion, or(0, .L_ZN7rocprim17ROCPRIM_400000_NS6detail26segmented_warp_sort_helperINS1_20WarpSortHelperConfigILj8ELj4ELj256EEEalLi256ELb1EvE4sortIPKaPaPKlPlEEvT_T0_T1_T2_jjjjRNS5_12storage_typeE.has_recursion)
	.set _ZN7rocprim17ROCPRIM_400000_NS6detail17trampoline_kernelINS0_14default_configENS1_36segmented_radix_sort_config_selectorIalEEZNS1_25segmented_radix_sort_implIS3_Lb1EPKaPaPKlPlN2at6native12_GLOBAL__N_18offset_tEEE10hipError_tPvRmT1_PNSt15iterator_traitsISK_E10value_typeET2_T3_PNSL_ISQ_E10value_typeET4_jRbjT5_SW_jjP12ihipStream_tbEUlT_E1_NS1_11comp_targetILNS1_3genE10ELNS1_11target_archE1201ELNS1_3gpuE5ELNS1_3repE0EEENS1_59segmented_radix_sort_warp_sort_small_config_static_selectorELNS0_4arch9wavefront6targetE0EEEvSK_.has_indirect_call, or(0, .L_ZN7rocprim17ROCPRIM_400000_NS6detail26segmented_warp_sort_helperINS1_20WarpSortHelperConfigILj8ELj4ELj256EEEalLi256ELb1EvE4sortIPKaPaPKlPlEEvT_T0_T1_T2_jjjjRNS5_12storage_typeE.has_indirect_call)
	.section	.AMDGPU.csdata,"",@progbits
; Kernel info:
; codeLenInByte = 536
; TotalNumSgprs: 35
; NumVgprs: 51
; ScratchSize: 0
; MemoryBound: 0
; FloatMode: 240
; IeeeMode: 1
; LDSByteSize: 9216 bytes/workgroup (compile time only)
; SGPRBlocks: 0
; VGPRBlocks: 6
; NumSGPRsForWavesPerEU: 35
; NumVGPRsForWavesPerEU: 51
; Occupancy: 16
; WaveLimiterHint : 0
; COMPUTE_PGM_RSRC2:SCRATCH_EN: 0
; COMPUTE_PGM_RSRC2:USER_SGPR: 2
; COMPUTE_PGM_RSRC2:TRAP_HANDLER: 0
; COMPUTE_PGM_RSRC2:TGID_X_EN: 1
; COMPUTE_PGM_RSRC2:TGID_Y_EN: 1
; COMPUTE_PGM_RSRC2:TGID_Z_EN: 0
; COMPUTE_PGM_RSRC2:TIDIG_COMP_CNT: 2
	.section	.text._ZN7rocprim17ROCPRIM_400000_NS6detail17trampoline_kernelINS0_14default_configENS1_36segmented_radix_sort_config_selectorIalEEZNS1_25segmented_radix_sort_implIS3_Lb1EPKaPaPKlPlN2at6native12_GLOBAL__N_18offset_tEEE10hipError_tPvRmT1_PNSt15iterator_traitsISK_E10value_typeET2_T3_PNSL_ISQ_E10value_typeET4_jRbjT5_SW_jjP12ihipStream_tbEUlT_E1_NS1_11comp_targetILNS1_3genE10ELNS1_11target_archE1200ELNS1_3gpuE4ELNS1_3repE0EEENS1_59segmented_radix_sort_warp_sort_small_config_static_selectorELNS0_4arch9wavefront6targetE0EEEvSK_,"axG",@progbits,_ZN7rocprim17ROCPRIM_400000_NS6detail17trampoline_kernelINS0_14default_configENS1_36segmented_radix_sort_config_selectorIalEEZNS1_25segmented_radix_sort_implIS3_Lb1EPKaPaPKlPlN2at6native12_GLOBAL__N_18offset_tEEE10hipError_tPvRmT1_PNSt15iterator_traitsISK_E10value_typeET2_T3_PNSL_ISQ_E10value_typeET4_jRbjT5_SW_jjP12ihipStream_tbEUlT_E1_NS1_11comp_targetILNS1_3genE10ELNS1_11target_archE1200ELNS1_3gpuE4ELNS1_3repE0EEENS1_59segmented_radix_sort_warp_sort_small_config_static_selectorELNS0_4arch9wavefront6targetE0EEEvSK_,comdat
	.globl	_ZN7rocprim17ROCPRIM_400000_NS6detail17trampoline_kernelINS0_14default_configENS1_36segmented_radix_sort_config_selectorIalEEZNS1_25segmented_radix_sort_implIS3_Lb1EPKaPaPKlPlN2at6native12_GLOBAL__N_18offset_tEEE10hipError_tPvRmT1_PNSt15iterator_traitsISK_E10value_typeET2_T3_PNSL_ISQ_E10value_typeET4_jRbjT5_SW_jjP12ihipStream_tbEUlT_E1_NS1_11comp_targetILNS1_3genE10ELNS1_11target_archE1200ELNS1_3gpuE4ELNS1_3repE0EEENS1_59segmented_radix_sort_warp_sort_small_config_static_selectorELNS0_4arch9wavefront6targetE0EEEvSK_ ; -- Begin function _ZN7rocprim17ROCPRIM_400000_NS6detail17trampoline_kernelINS0_14default_configENS1_36segmented_radix_sort_config_selectorIalEEZNS1_25segmented_radix_sort_implIS3_Lb1EPKaPaPKlPlN2at6native12_GLOBAL__N_18offset_tEEE10hipError_tPvRmT1_PNSt15iterator_traitsISK_E10value_typeET2_T3_PNSL_ISQ_E10value_typeET4_jRbjT5_SW_jjP12ihipStream_tbEUlT_E1_NS1_11comp_targetILNS1_3genE10ELNS1_11target_archE1200ELNS1_3gpuE4ELNS1_3repE0EEENS1_59segmented_radix_sort_warp_sort_small_config_static_selectorELNS0_4arch9wavefront6targetE0EEEvSK_
	.p2align	8
	.type	_ZN7rocprim17ROCPRIM_400000_NS6detail17trampoline_kernelINS0_14default_configENS1_36segmented_radix_sort_config_selectorIalEEZNS1_25segmented_radix_sort_implIS3_Lb1EPKaPaPKlPlN2at6native12_GLOBAL__N_18offset_tEEE10hipError_tPvRmT1_PNSt15iterator_traitsISK_E10value_typeET2_T3_PNSL_ISQ_E10value_typeET4_jRbjT5_SW_jjP12ihipStream_tbEUlT_E1_NS1_11comp_targetILNS1_3genE10ELNS1_11target_archE1200ELNS1_3gpuE4ELNS1_3repE0EEENS1_59segmented_radix_sort_warp_sort_small_config_static_selectorELNS0_4arch9wavefront6targetE0EEEvSK_,@function
_ZN7rocprim17ROCPRIM_400000_NS6detail17trampoline_kernelINS0_14default_configENS1_36segmented_radix_sort_config_selectorIalEEZNS1_25segmented_radix_sort_implIS3_Lb1EPKaPaPKlPlN2at6native12_GLOBAL__N_18offset_tEEE10hipError_tPvRmT1_PNSt15iterator_traitsISK_E10value_typeET2_T3_PNSL_ISQ_E10value_typeET4_jRbjT5_SW_jjP12ihipStream_tbEUlT_E1_NS1_11comp_targetILNS1_3genE10ELNS1_11target_archE1200ELNS1_3gpuE4ELNS1_3repE0EEENS1_59segmented_radix_sort_warp_sort_small_config_static_selectorELNS0_4arch9wavefront6targetE0EEEvSK_: ; @_ZN7rocprim17ROCPRIM_400000_NS6detail17trampoline_kernelINS0_14default_configENS1_36segmented_radix_sort_config_selectorIalEEZNS1_25segmented_radix_sort_implIS3_Lb1EPKaPaPKlPlN2at6native12_GLOBAL__N_18offset_tEEE10hipError_tPvRmT1_PNSt15iterator_traitsISK_E10value_typeET2_T3_PNSL_ISQ_E10value_typeET4_jRbjT5_SW_jjP12ihipStream_tbEUlT_E1_NS1_11comp_targetILNS1_3genE10ELNS1_11target_archE1200ELNS1_3gpuE4ELNS1_3repE0EEENS1_59segmented_radix_sort_warp_sort_small_config_static_selectorELNS0_4arch9wavefront6targetE0EEEvSK_
; %bb.0:
	.section	.rodata,"a",@progbits
	.p2align	6, 0x0
	.amdhsa_kernel _ZN7rocprim17ROCPRIM_400000_NS6detail17trampoline_kernelINS0_14default_configENS1_36segmented_radix_sort_config_selectorIalEEZNS1_25segmented_radix_sort_implIS3_Lb1EPKaPaPKlPlN2at6native12_GLOBAL__N_18offset_tEEE10hipError_tPvRmT1_PNSt15iterator_traitsISK_E10value_typeET2_T3_PNSL_ISQ_E10value_typeET4_jRbjT5_SW_jjP12ihipStream_tbEUlT_E1_NS1_11comp_targetILNS1_3genE10ELNS1_11target_archE1200ELNS1_3gpuE4ELNS1_3repE0EEENS1_59segmented_radix_sort_warp_sort_small_config_static_selectorELNS0_4arch9wavefront6targetE0EEEvSK_
		.amdhsa_group_segment_fixed_size 0
		.amdhsa_private_segment_fixed_size 0
		.amdhsa_kernarg_size 88
		.amdhsa_user_sgpr_count 2
		.amdhsa_user_sgpr_dispatch_ptr 0
		.amdhsa_user_sgpr_queue_ptr 0
		.amdhsa_user_sgpr_kernarg_segment_ptr 1
		.amdhsa_user_sgpr_dispatch_id 0
		.amdhsa_user_sgpr_private_segment_size 0
		.amdhsa_wavefront_size32 1
		.amdhsa_uses_dynamic_stack 0
		.amdhsa_enable_private_segment 0
		.amdhsa_system_sgpr_workgroup_id_x 1
		.amdhsa_system_sgpr_workgroup_id_y 0
		.amdhsa_system_sgpr_workgroup_id_z 0
		.amdhsa_system_sgpr_workgroup_info 0
		.amdhsa_system_vgpr_workitem_id 0
		.amdhsa_next_free_vgpr 1
		.amdhsa_next_free_sgpr 1
		.amdhsa_reserve_vcc 0
		.amdhsa_float_round_mode_32 0
		.amdhsa_float_round_mode_16_64 0
		.amdhsa_float_denorm_mode_32 3
		.amdhsa_float_denorm_mode_16_64 3
		.amdhsa_fp16_overflow 0
		.amdhsa_workgroup_processor_mode 1
		.amdhsa_memory_ordered 1
		.amdhsa_forward_progress 1
		.amdhsa_inst_pref_size 0
		.amdhsa_round_robin_scheduling 0
		.amdhsa_exception_fp_ieee_invalid_op 0
		.amdhsa_exception_fp_denorm_src 0
		.amdhsa_exception_fp_ieee_div_zero 0
		.amdhsa_exception_fp_ieee_overflow 0
		.amdhsa_exception_fp_ieee_underflow 0
		.amdhsa_exception_fp_ieee_inexact 0
		.amdhsa_exception_int_div_zero 0
	.end_amdhsa_kernel
	.section	.text._ZN7rocprim17ROCPRIM_400000_NS6detail17trampoline_kernelINS0_14default_configENS1_36segmented_radix_sort_config_selectorIalEEZNS1_25segmented_radix_sort_implIS3_Lb1EPKaPaPKlPlN2at6native12_GLOBAL__N_18offset_tEEE10hipError_tPvRmT1_PNSt15iterator_traitsISK_E10value_typeET2_T3_PNSL_ISQ_E10value_typeET4_jRbjT5_SW_jjP12ihipStream_tbEUlT_E1_NS1_11comp_targetILNS1_3genE10ELNS1_11target_archE1200ELNS1_3gpuE4ELNS1_3repE0EEENS1_59segmented_radix_sort_warp_sort_small_config_static_selectorELNS0_4arch9wavefront6targetE0EEEvSK_,"axG",@progbits,_ZN7rocprim17ROCPRIM_400000_NS6detail17trampoline_kernelINS0_14default_configENS1_36segmented_radix_sort_config_selectorIalEEZNS1_25segmented_radix_sort_implIS3_Lb1EPKaPaPKlPlN2at6native12_GLOBAL__N_18offset_tEEE10hipError_tPvRmT1_PNSt15iterator_traitsISK_E10value_typeET2_T3_PNSL_ISQ_E10value_typeET4_jRbjT5_SW_jjP12ihipStream_tbEUlT_E1_NS1_11comp_targetILNS1_3genE10ELNS1_11target_archE1200ELNS1_3gpuE4ELNS1_3repE0EEENS1_59segmented_radix_sort_warp_sort_small_config_static_selectorELNS0_4arch9wavefront6targetE0EEEvSK_,comdat
.Lfunc_end317:
	.size	_ZN7rocprim17ROCPRIM_400000_NS6detail17trampoline_kernelINS0_14default_configENS1_36segmented_radix_sort_config_selectorIalEEZNS1_25segmented_radix_sort_implIS3_Lb1EPKaPaPKlPlN2at6native12_GLOBAL__N_18offset_tEEE10hipError_tPvRmT1_PNSt15iterator_traitsISK_E10value_typeET2_T3_PNSL_ISQ_E10value_typeET4_jRbjT5_SW_jjP12ihipStream_tbEUlT_E1_NS1_11comp_targetILNS1_3genE10ELNS1_11target_archE1200ELNS1_3gpuE4ELNS1_3repE0EEENS1_59segmented_radix_sort_warp_sort_small_config_static_selectorELNS0_4arch9wavefront6targetE0EEEvSK_, .Lfunc_end317-_ZN7rocprim17ROCPRIM_400000_NS6detail17trampoline_kernelINS0_14default_configENS1_36segmented_radix_sort_config_selectorIalEEZNS1_25segmented_radix_sort_implIS3_Lb1EPKaPaPKlPlN2at6native12_GLOBAL__N_18offset_tEEE10hipError_tPvRmT1_PNSt15iterator_traitsISK_E10value_typeET2_T3_PNSL_ISQ_E10value_typeET4_jRbjT5_SW_jjP12ihipStream_tbEUlT_E1_NS1_11comp_targetILNS1_3genE10ELNS1_11target_archE1200ELNS1_3gpuE4ELNS1_3repE0EEENS1_59segmented_radix_sort_warp_sort_small_config_static_selectorELNS0_4arch9wavefront6targetE0EEEvSK_
                                        ; -- End function
	.set _ZN7rocprim17ROCPRIM_400000_NS6detail17trampoline_kernelINS0_14default_configENS1_36segmented_radix_sort_config_selectorIalEEZNS1_25segmented_radix_sort_implIS3_Lb1EPKaPaPKlPlN2at6native12_GLOBAL__N_18offset_tEEE10hipError_tPvRmT1_PNSt15iterator_traitsISK_E10value_typeET2_T3_PNSL_ISQ_E10value_typeET4_jRbjT5_SW_jjP12ihipStream_tbEUlT_E1_NS1_11comp_targetILNS1_3genE10ELNS1_11target_archE1200ELNS1_3gpuE4ELNS1_3repE0EEENS1_59segmented_radix_sort_warp_sort_small_config_static_selectorELNS0_4arch9wavefront6targetE0EEEvSK_.num_vgpr, 0
	.set _ZN7rocprim17ROCPRIM_400000_NS6detail17trampoline_kernelINS0_14default_configENS1_36segmented_radix_sort_config_selectorIalEEZNS1_25segmented_radix_sort_implIS3_Lb1EPKaPaPKlPlN2at6native12_GLOBAL__N_18offset_tEEE10hipError_tPvRmT1_PNSt15iterator_traitsISK_E10value_typeET2_T3_PNSL_ISQ_E10value_typeET4_jRbjT5_SW_jjP12ihipStream_tbEUlT_E1_NS1_11comp_targetILNS1_3genE10ELNS1_11target_archE1200ELNS1_3gpuE4ELNS1_3repE0EEENS1_59segmented_radix_sort_warp_sort_small_config_static_selectorELNS0_4arch9wavefront6targetE0EEEvSK_.num_agpr, 0
	.set _ZN7rocprim17ROCPRIM_400000_NS6detail17trampoline_kernelINS0_14default_configENS1_36segmented_radix_sort_config_selectorIalEEZNS1_25segmented_radix_sort_implIS3_Lb1EPKaPaPKlPlN2at6native12_GLOBAL__N_18offset_tEEE10hipError_tPvRmT1_PNSt15iterator_traitsISK_E10value_typeET2_T3_PNSL_ISQ_E10value_typeET4_jRbjT5_SW_jjP12ihipStream_tbEUlT_E1_NS1_11comp_targetILNS1_3genE10ELNS1_11target_archE1200ELNS1_3gpuE4ELNS1_3repE0EEENS1_59segmented_radix_sort_warp_sort_small_config_static_selectorELNS0_4arch9wavefront6targetE0EEEvSK_.numbered_sgpr, 0
	.set _ZN7rocprim17ROCPRIM_400000_NS6detail17trampoline_kernelINS0_14default_configENS1_36segmented_radix_sort_config_selectorIalEEZNS1_25segmented_radix_sort_implIS3_Lb1EPKaPaPKlPlN2at6native12_GLOBAL__N_18offset_tEEE10hipError_tPvRmT1_PNSt15iterator_traitsISK_E10value_typeET2_T3_PNSL_ISQ_E10value_typeET4_jRbjT5_SW_jjP12ihipStream_tbEUlT_E1_NS1_11comp_targetILNS1_3genE10ELNS1_11target_archE1200ELNS1_3gpuE4ELNS1_3repE0EEENS1_59segmented_radix_sort_warp_sort_small_config_static_selectorELNS0_4arch9wavefront6targetE0EEEvSK_.num_named_barrier, 0
	.set _ZN7rocprim17ROCPRIM_400000_NS6detail17trampoline_kernelINS0_14default_configENS1_36segmented_radix_sort_config_selectorIalEEZNS1_25segmented_radix_sort_implIS3_Lb1EPKaPaPKlPlN2at6native12_GLOBAL__N_18offset_tEEE10hipError_tPvRmT1_PNSt15iterator_traitsISK_E10value_typeET2_T3_PNSL_ISQ_E10value_typeET4_jRbjT5_SW_jjP12ihipStream_tbEUlT_E1_NS1_11comp_targetILNS1_3genE10ELNS1_11target_archE1200ELNS1_3gpuE4ELNS1_3repE0EEENS1_59segmented_radix_sort_warp_sort_small_config_static_selectorELNS0_4arch9wavefront6targetE0EEEvSK_.private_seg_size, 0
	.set _ZN7rocprim17ROCPRIM_400000_NS6detail17trampoline_kernelINS0_14default_configENS1_36segmented_radix_sort_config_selectorIalEEZNS1_25segmented_radix_sort_implIS3_Lb1EPKaPaPKlPlN2at6native12_GLOBAL__N_18offset_tEEE10hipError_tPvRmT1_PNSt15iterator_traitsISK_E10value_typeET2_T3_PNSL_ISQ_E10value_typeET4_jRbjT5_SW_jjP12ihipStream_tbEUlT_E1_NS1_11comp_targetILNS1_3genE10ELNS1_11target_archE1200ELNS1_3gpuE4ELNS1_3repE0EEENS1_59segmented_radix_sort_warp_sort_small_config_static_selectorELNS0_4arch9wavefront6targetE0EEEvSK_.uses_vcc, 0
	.set _ZN7rocprim17ROCPRIM_400000_NS6detail17trampoline_kernelINS0_14default_configENS1_36segmented_radix_sort_config_selectorIalEEZNS1_25segmented_radix_sort_implIS3_Lb1EPKaPaPKlPlN2at6native12_GLOBAL__N_18offset_tEEE10hipError_tPvRmT1_PNSt15iterator_traitsISK_E10value_typeET2_T3_PNSL_ISQ_E10value_typeET4_jRbjT5_SW_jjP12ihipStream_tbEUlT_E1_NS1_11comp_targetILNS1_3genE10ELNS1_11target_archE1200ELNS1_3gpuE4ELNS1_3repE0EEENS1_59segmented_radix_sort_warp_sort_small_config_static_selectorELNS0_4arch9wavefront6targetE0EEEvSK_.uses_flat_scratch, 0
	.set _ZN7rocprim17ROCPRIM_400000_NS6detail17trampoline_kernelINS0_14default_configENS1_36segmented_radix_sort_config_selectorIalEEZNS1_25segmented_radix_sort_implIS3_Lb1EPKaPaPKlPlN2at6native12_GLOBAL__N_18offset_tEEE10hipError_tPvRmT1_PNSt15iterator_traitsISK_E10value_typeET2_T3_PNSL_ISQ_E10value_typeET4_jRbjT5_SW_jjP12ihipStream_tbEUlT_E1_NS1_11comp_targetILNS1_3genE10ELNS1_11target_archE1200ELNS1_3gpuE4ELNS1_3repE0EEENS1_59segmented_radix_sort_warp_sort_small_config_static_selectorELNS0_4arch9wavefront6targetE0EEEvSK_.has_dyn_sized_stack, 0
	.set _ZN7rocprim17ROCPRIM_400000_NS6detail17trampoline_kernelINS0_14default_configENS1_36segmented_radix_sort_config_selectorIalEEZNS1_25segmented_radix_sort_implIS3_Lb1EPKaPaPKlPlN2at6native12_GLOBAL__N_18offset_tEEE10hipError_tPvRmT1_PNSt15iterator_traitsISK_E10value_typeET2_T3_PNSL_ISQ_E10value_typeET4_jRbjT5_SW_jjP12ihipStream_tbEUlT_E1_NS1_11comp_targetILNS1_3genE10ELNS1_11target_archE1200ELNS1_3gpuE4ELNS1_3repE0EEENS1_59segmented_radix_sort_warp_sort_small_config_static_selectorELNS0_4arch9wavefront6targetE0EEEvSK_.has_recursion, 0
	.set _ZN7rocprim17ROCPRIM_400000_NS6detail17trampoline_kernelINS0_14default_configENS1_36segmented_radix_sort_config_selectorIalEEZNS1_25segmented_radix_sort_implIS3_Lb1EPKaPaPKlPlN2at6native12_GLOBAL__N_18offset_tEEE10hipError_tPvRmT1_PNSt15iterator_traitsISK_E10value_typeET2_T3_PNSL_ISQ_E10value_typeET4_jRbjT5_SW_jjP12ihipStream_tbEUlT_E1_NS1_11comp_targetILNS1_3genE10ELNS1_11target_archE1200ELNS1_3gpuE4ELNS1_3repE0EEENS1_59segmented_radix_sort_warp_sort_small_config_static_selectorELNS0_4arch9wavefront6targetE0EEEvSK_.has_indirect_call, 0
	.section	.AMDGPU.csdata,"",@progbits
; Kernel info:
; codeLenInByte = 0
; TotalNumSgprs: 0
; NumVgprs: 0
; ScratchSize: 0
; MemoryBound: 0
; FloatMode: 240
; IeeeMode: 1
; LDSByteSize: 0 bytes/workgroup (compile time only)
; SGPRBlocks: 0
; VGPRBlocks: 0
; NumSGPRsForWavesPerEU: 1
; NumVGPRsForWavesPerEU: 1
; Occupancy: 16
; WaveLimiterHint : 0
; COMPUTE_PGM_RSRC2:SCRATCH_EN: 0
; COMPUTE_PGM_RSRC2:USER_SGPR: 2
; COMPUTE_PGM_RSRC2:TRAP_HANDLER: 0
; COMPUTE_PGM_RSRC2:TGID_X_EN: 1
; COMPUTE_PGM_RSRC2:TGID_Y_EN: 0
; COMPUTE_PGM_RSRC2:TGID_Z_EN: 0
; COMPUTE_PGM_RSRC2:TIDIG_COMP_CNT: 0
	.section	.text._ZN7rocprim17ROCPRIM_400000_NS6detail17trampoline_kernelINS0_14default_configENS1_36segmented_radix_sort_config_selectorIalEEZNS1_25segmented_radix_sort_implIS3_Lb1EPKaPaPKlPlN2at6native12_GLOBAL__N_18offset_tEEE10hipError_tPvRmT1_PNSt15iterator_traitsISK_E10value_typeET2_T3_PNSL_ISQ_E10value_typeET4_jRbjT5_SW_jjP12ihipStream_tbEUlT_E1_NS1_11comp_targetILNS1_3genE9ELNS1_11target_archE1100ELNS1_3gpuE3ELNS1_3repE0EEENS1_59segmented_radix_sort_warp_sort_small_config_static_selectorELNS0_4arch9wavefront6targetE0EEEvSK_,"axG",@progbits,_ZN7rocprim17ROCPRIM_400000_NS6detail17trampoline_kernelINS0_14default_configENS1_36segmented_radix_sort_config_selectorIalEEZNS1_25segmented_radix_sort_implIS3_Lb1EPKaPaPKlPlN2at6native12_GLOBAL__N_18offset_tEEE10hipError_tPvRmT1_PNSt15iterator_traitsISK_E10value_typeET2_T3_PNSL_ISQ_E10value_typeET4_jRbjT5_SW_jjP12ihipStream_tbEUlT_E1_NS1_11comp_targetILNS1_3genE9ELNS1_11target_archE1100ELNS1_3gpuE3ELNS1_3repE0EEENS1_59segmented_radix_sort_warp_sort_small_config_static_selectorELNS0_4arch9wavefront6targetE0EEEvSK_,comdat
	.globl	_ZN7rocprim17ROCPRIM_400000_NS6detail17trampoline_kernelINS0_14default_configENS1_36segmented_radix_sort_config_selectorIalEEZNS1_25segmented_radix_sort_implIS3_Lb1EPKaPaPKlPlN2at6native12_GLOBAL__N_18offset_tEEE10hipError_tPvRmT1_PNSt15iterator_traitsISK_E10value_typeET2_T3_PNSL_ISQ_E10value_typeET4_jRbjT5_SW_jjP12ihipStream_tbEUlT_E1_NS1_11comp_targetILNS1_3genE9ELNS1_11target_archE1100ELNS1_3gpuE3ELNS1_3repE0EEENS1_59segmented_radix_sort_warp_sort_small_config_static_selectorELNS0_4arch9wavefront6targetE0EEEvSK_ ; -- Begin function _ZN7rocprim17ROCPRIM_400000_NS6detail17trampoline_kernelINS0_14default_configENS1_36segmented_radix_sort_config_selectorIalEEZNS1_25segmented_radix_sort_implIS3_Lb1EPKaPaPKlPlN2at6native12_GLOBAL__N_18offset_tEEE10hipError_tPvRmT1_PNSt15iterator_traitsISK_E10value_typeET2_T3_PNSL_ISQ_E10value_typeET4_jRbjT5_SW_jjP12ihipStream_tbEUlT_E1_NS1_11comp_targetILNS1_3genE9ELNS1_11target_archE1100ELNS1_3gpuE3ELNS1_3repE0EEENS1_59segmented_radix_sort_warp_sort_small_config_static_selectorELNS0_4arch9wavefront6targetE0EEEvSK_
	.p2align	8
	.type	_ZN7rocprim17ROCPRIM_400000_NS6detail17trampoline_kernelINS0_14default_configENS1_36segmented_radix_sort_config_selectorIalEEZNS1_25segmented_radix_sort_implIS3_Lb1EPKaPaPKlPlN2at6native12_GLOBAL__N_18offset_tEEE10hipError_tPvRmT1_PNSt15iterator_traitsISK_E10value_typeET2_T3_PNSL_ISQ_E10value_typeET4_jRbjT5_SW_jjP12ihipStream_tbEUlT_E1_NS1_11comp_targetILNS1_3genE9ELNS1_11target_archE1100ELNS1_3gpuE3ELNS1_3repE0EEENS1_59segmented_radix_sort_warp_sort_small_config_static_selectorELNS0_4arch9wavefront6targetE0EEEvSK_,@function
_ZN7rocprim17ROCPRIM_400000_NS6detail17trampoline_kernelINS0_14default_configENS1_36segmented_radix_sort_config_selectorIalEEZNS1_25segmented_radix_sort_implIS3_Lb1EPKaPaPKlPlN2at6native12_GLOBAL__N_18offset_tEEE10hipError_tPvRmT1_PNSt15iterator_traitsISK_E10value_typeET2_T3_PNSL_ISQ_E10value_typeET4_jRbjT5_SW_jjP12ihipStream_tbEUlT_E1_NS1_11comp_targetILNS1_3genE9ELNS1_11target_archE1100ELNS1_3gpuE3ELNS1_3repE0EEENS1_59segmented_radix_sort_warp_sort_small_config_static_selectorELNS0_4arch9wavefront6targetE0EEEvSK_: ; @_ZN7rocprim17ROCPRIM_400000_NS6detail17trampoline_kernelINS0_14default_configENS1_36segmented_radix_sort_config_selectorIalEEZNS1_25segmented_radix_sort_implIS3_Lb1EPKaPaPKlPlN2at6native12_GLOBAL__N_18offset_tEEE10hipError_tPvRmT1_PNSt15iterator_traitsISK_E10value_typeET2_T3_PNSL_ISQ_E10value_typeET4_jRbjT5_SW_jjP12ihipStream_tbEUlT_E1_NS1_11comp_targetILNS1_3genE9ELNS1_11target_archE1100ELNS1_3gpuE3ELNS1_3repE0EEENS1_59segmented_radix_sort_warp_sort_small_config_static_selectorELNS0_4arch9wavefront6targetE0EEEvSK_
; %bb.0:
	.section	.rodata,"a",@progbits
	.p2align	6, 0x0
	.amdhsa_kernel _ZN7rocprim17ROCPRIM_400000_NS6detail17trampoline_kernelINS0_14default_configENS1_36segmented_radix_sort_config_selectorIalEEZNS1_25segmented_radix_sort_implIS3_Lb1EPKaPaPKlPlN2at6native12_GLOBAL__N_18offset_tEEE10hipError_tPvRmT1_PNSt15iterator_traitsISK_E10value_typeET2_T3_PNSL_ISQ_E10value_typeET4_jRbjT5_SW_jjP12ihipStream_tbEUlT_E1_NS1_11comp_targetILNS1_3genE9ELNS1_11target_archE1100ELNS1_3gpuE3ELNS1_3repE0EEENS1_59segmented_radix_sort_warp_sort_small_config_static_selectorELNS0_4arch9wavefront6targetE0EEEvSK_
		.amdhsa_group_segment_fixed_size 0
		.amdhsa_private_segment_fixed_size 0
		.amdhsa_kernarg_size 88
		.amdhsa_user_sgpr_count 2
		.amdhsa_user_sgpr_dispatch_ptr 0
		.amdhsa_user_sgpr_queue_ptr 0
		.amdhsa_user_sgpr_kernarg_segment_ptr 1
		.amdhsa_user_sgpr_dispatch_id 0
		.amdhsa_user_sgpr_private_segment_size 0
		.amdhsa_wavefront_size32 1
		.amdhsa_uses_dynamic_stack 0
		.amdhsa_enable_private_segment 0
		.amdhsa_system_sgpr_workgroup_id_x 1
		.amdhsa_system_sgpr_workgroup_id_y 0
		.amdhsa_system_sgpr_workgroup_id_z 0
		.amdhsa_system_sgpr_workgroup_info 0
		.amdhsa_system_vgpr_workitem_id 0
		.amdhsa_next_free_vgpr 1
		.amdhsa_next_free_sgpr 1
		.amdhsa_reserve_vcc 0
		.amdhsa_float_round_mode_32 0
		.amdhsa_float_round_mode_16_64 0
		.amdhsa_float_denorm_mode_32 3
		.amdhsa_float_denorm_mode_16_64 3
		.amdhsa_fp16_overflow 0
		.amdhsa_workgroup_processor_mode 1
		.amdhsa_memory_ordered 1
		.amdhsa_forward_progress 1
		.amdhsa_inst_pref_size 0
		.amdhsa_round_robin_scheduling 0
		.amdhsa_exception_fp_ieee_invalid_op 0
		.amdhsa_exception_fp_denorm_src 0
		.amdhsa_exception_fp_ieee_div_zero 0
		.amdhsa_exception_fp_ieee_overflow 0
		.amdhsa_exception_fp_ieee_underflow 0
		.amdhsa_exception_fp_ieee_inexact 0
		.amdhsa_exception_int_div_zero 0
	.end_amdhsa_kernel
	.section	.text._ZN7rocprim17ROCPRIM_400000_NS6detail17trampoline_kernelINS0_14default_configENS1_36segmented_radix_sort_config_selectorIalEEZNS1_25segmented_radix_sort_implIS3_Lb1EPKaPaPKlPlN2at6native12_GLOBAL__N_18offset_tEEE10hipError_tPvRmT1_PNSt15iterator_traitsISK_E10value_typeET2_T3_PNSL_ISQ_E10value_typeET4_jRbjT5_SW_jjP12ihipStream_tbEUlT_E1_NS1_11comp_targetILNS1_3genE9ELNS1_11target_archE1100ELNS1_3gpuE3ELNS1_3repE0EEENS1_59segmented_radix_sort_warp_sort_small_config_static_selectorELNS0_4arch9wavefront6targetE0EEEvSK_,"axG",@progbits,_ZN7rocprim17ROCPRIM_400000_NS6detail17trampoline_kernelINS0_14default_configENS1_36segmented_radix_sort_config_selectorIalEEZNS1_25segmented_radix_sort_implIS3_Lb1EPKaPaPKlPlN2at6native12_GLOBAL__N_18offset_tEEE10hipError_tPvRmT1_PNSt15iterator_traitsISK_E10value_typeET2_T3_PNSL_ISQ_E10value_typeET4_jRbjT5_SW_jjP12ihipStream_tbEUlT_E1_NS1_11comp_targetILNS1_3genE9ELNS1_11target_archE1100ELNS1_3gpuE3ELNS1_3repE0EEENS1_59segmented_radix_sort_warp_sort_small_config_static_selectorELNS0_4arch9wavefront6targetE0EEEvSK_,comdat
.Lfunc_end318:
	.size	_ZN7rocprim17ROCPRIM_400000_NS6detail17trampoline_kernelINS0_14default_configENS1_36segmented_radix_sort_config_selectorIalEEZNS1_25segmented_radix_sort_implIS3_Lb1EPKaPaPKlPlN2at6native12_GLOBAL__N_18offset_tEEE10hipError_tPvRmT1_PNSt15iterator_traitsISK_E10value_typeET2_T3_PNSL_ISQ_E10value_typeET4_jRbjT5_SW_jjP12ihipStream_tbEUlT_E1_NS1_11comp_targetILNS1_3genE9ELNS1_11target_archE1100ELNS1_3gpuE3ELNS1_3repE0EEENS1_59segmented_radix_sort_warp_sort_small_config_static_selectorELNS0_4arch9wavefront6targetE0EEEvSK_, .Lfunc_end318-_ZN7rocprim17ROCPRIM_400000_NS6detail17trampoline_kernelINS0_14default_configENS1_36segmented_radix_sort_config_selectorIalEEZNS1_25segmented_radix_sort_implIS3_Lb1EPKaPaPKlPlN2at6native12_GLOBAL__N_18offset_tEEE10hipError_tPvRmT1_PNSt15iterator_traitsISK_E10value_typeET2_T3_PNSL_ISQ_E10value_typeET4_jRbjT5_SW_jjP12ihipStream_tbEUlT_E1_NS1_11comp_targetILNS1_3genE9ELNS1_11target_archE1100ELNS1_3gpuE3ELNS1_3repE0EEENS1_59segmented_radix_sort_warp_sort_small_config_static_selectorELNS0_4arch9wavefront6targetE0EEEvSK_
                                        ; -- End function
	.set _ZN7rocprim17ROCPRIM_400000_NS6detail17trampoline_kernelINS0_14default_configENS1_36segmented_radix_sort_config_selectorIalEEZNS1_25segmented_radix_sort_implIS3_Lb1EPKaPaPKlPlN2at6native12_GLOBAL__N_18offset_tEEE10hipError_tPvRmT1_PNSt15iterator_traitsISK_E10value_typeET2_T3_PNSL_ISQ_E10value_typeET4_jRbjT5_SW_jjP12ihipStream_tbEUlT_E1_NS1_11comp_targetILNS1_3genE9ELNS1_11target_archE1100ELNS1_3gpuE3ELNS1_3repE0EEENS1_59segmented_radix_sort_warp_sort_small_config_static_selectorELNS0_4arch9wavefront6targetE0EEEvSK_.num_vgpr, 0
	.set _ZN7rocprim17ROCPRIM_400000_NS6detail17trampoline_kernelINS0_14default_configENS1_36segmented_radix_sort_config_selectorIalEEZNS1_25segmented_radix_sort_implIS3_Lb1EPKaPaPKlPlN2at6native12_GLOBAL__N_18offset_tEEE10hipError_tPvRmT1_PNSt15iterator_traitsISK_E10value_typeET2_T3_PNSL_ISQ_E10value_typeET4_jRbjT5_SW_jjP12ihipStream_tbEUlT_E1_NS1_11comp_targetILNS1_3genE9ELNS1_11target_archE1100ELNS1_3gpuE3ELNS1_3repE0EEENS1_59segmented_radix_sort_warp_sort_small_config_static_selectorELNS0_4arch9wavefront6targetE0EEEvSK_.num_agpr, 0
	.set _ZN7rocprim17ROCPRIM_400000_NS6detail17trampoline_kernelINS0_14default_configENS1_36segmented_radix_sort_config_selectorIalEEZNS1_25segmented_radix_sort_implIS3_Lb1EPKaPaPKlPlN2at6native12_GLOBAL__N_18offset_tEEE10hipError_tPvRmT1_PNSt15iterator_traitsISK_E10value_typeET2_T3_PNSL_ISQ_E10value_typeET4_jRbjT5_SW_jjP12ihipStream_tbEUlT_E1_NS1_11comp_targetILNS1_3genE9ELNS1_11target_archE1100ELNS1_3gpuE3ELNS1_3repE0EEENS1_59segmented_radix_sort_warp_sort_small_config_static_selectorELNS0_4arch9wavefront6targetE0EEEvSK_.numbered_sgpr, 0
	.set _ZN7rocprim17ROCPRIM_400000_NS6detail17trampoline_kernelINS0_14default_configENS1_36segmented_radix_sort_config_selectorIalEEZNS1_25segmented_radix_sort_implIS3_Lb1EPKaPaPKlPlN2at6native12_GLOBAL__N_18offset_tEEE10hipError_tPvRmT1_PNSt15iterator_traitsISK_E10value_typeET2_T3_PNSL_ISQ_E10value_typeET4_jRbjT5_SW_jjP12ihipStream_tbEUlT_E1_NS1_11comp_targetILNS1_3genE9ELNS1_11target_archE1100ELNS1_3gpuE3ELNS1_3repE0EEENS1_59segmented_radix_sort_warp_sort_small_config_static_selectorELNS0_4arch9wavefront6targetE0EEEvSK_.num_named_barrier, 0
	.set _ZN7rocprim17ROCPRIM_400000_NS6detail17trampoline_kernelINS0_14default_configENS1_36segmented_radix_sort_config_selectorIalEEZNS1_25segmented_radix_sort_implIS3_Lb1EPKaPaPKlPlN2at6native12_GLOBAL__N_18offset_tEEE10hipError_tPvRmT1_PNSt15iterator_traitsISK_E10value_typeET2_T3_PNSL_ISQ_E10value_typeET4_jRbjT5_SW_jjP12ihipStream_tbEUlT_E1_NS1_11comp_targetILNS1_3genE9ELNS1_11target_archE1100ELNS1_3gpuE3ELNS1_3repE0EEENS1_59segmented_radix_sort_warp_sort_small_config_static_selectorELNS0_4arch9wavefront6targetE0EEEvSK_.private_seg_size, 0
	.set _ZN7rocprim17ROCPRIM_400000_NS6detail17trampoline_kernelINS0_14default_configENS1_36segmented_radix_sort_config_selectorIalEEZNS1_25segmented_radix_sort_implIS3_Lb1EPKaPaPKlPlN2at6native12_GLOBAL__N_18offset_tEEE10hipError_tPvRmT1_PNSt15iterator_traitsISK_E10value_typeET2_T3_PNSL_ISQ_E10value_typeET4_jRbjT5_SW_jjP12ihipStream_tbEUlT_E1_NS1_11comp_targetILNS1_3genE9ELNS1_11target_archE1100ELNS1_3gpuE3ELNS1_3repE0EEENS1_59segmented_radix_sort_warp_sort_small_config_static_selectorELNS0_4arch9wavefront6targetE0EEEvSK_.uses_vcc, 0
	.set _ZN7rocprim17ROCPRIM_400000_NS6detail17trampoline_kernelINS0_14default_configENS1_36segmented_radix_sort_config_selectorIalEEZNS1_25segmented_radix_sort_implIS3_Lb1EPKaPaPKlPlN2at6native12_GLOBAL__N_18offset_tEEE10hipError_tPvRmT1_PNSt15iterator_traitsISK_E10value_typeET2_T3_PNSL_ISQ_E10value_typeET4_jRbjT5_SW_jjP12ihipStream_tbEUlT_E1_NS1_11comp_targetILNS1_3genE9ELNS1_11target_archE1100ELNS1_3gpuE3ELNS1_3repE0EEENS1_59segmented_radix_sort_warp_sort_small_config_static_selectorELNS0_4arch9wavefront6targetE0EEEvSK_.uses_flat_scratch, 0
	.set _ZN7rocprim17ROCPRIM_400000_NS6detail17trampoline_kernelINS0_14default_configENS1_36segmented_radix_sort_config_selectorIalEEZNS1_25segmented_radix_sort_implIS3_Lb1EPKaPaPKlPlN2at6native12_GLOBAL__N_18offset_tEEE10hipError_tPvRmT1_PNSt15iterator_traitsISK_E10value_typeET2_T3_PNSL_ISQ_E10value_typeET4_jRbjT5_SW_jjP12ihipStream_tbEUlT_E1_NS1_11comp_targetILNS1_3genE9ELNS1_11target_archE1100ELNS1_3gpuE3ELNS1_3repE0EEENS1_59segmented_radix_sort_warp_sort_small_config_static_selectorELNS0_4arch9wavefront6targetE0EEEvSK_.has_dyn_sized_stack, 0
	.set _ZN7rocprim17ROCPRIM_400000_NS6detail17trampoline_kernelINS0_14default_configENS1_36segmented_radix_sort_config_selectorIalEEZNS1_25segmented_radix_sort_implIS3_Lb1EPKaPaPKlPlN2at6native12_GLOBAL__N_18offset_tEEE10hipError_tPvRmT1_PNSt15iterator_traitsISK_E10value_typeET2_T3_PNSL_ISQ_E10value_typeET4_jRbjT5_SW_jjP12ihipStream_tbEUlT_E1_NS1_11comp_targetILNS1_3genE9ELNS1_11target_archE1100ELNS1_3gpuE3ELNS1_3repE0EEENS1_59segmented_radix_sort_warp_sort_small_config_static_selectorELNS0_4arch9wavefront6targetE0EEEvSK_.has_recursion, 0
	.set _ZN7rocprim17ROCPRIM_400000_NS6detail17trampoline_kernelINS0_14default_configENS1_36segmented_radix_sort_config_selectorIalEEZNS1_25segmented_radix_sort_implIS3_Lb1EPKaPaPKlPlN2at6native12_GLOBAL__N_18offset_tEEE10hipError_tPvRmT1_PNSt15iterator_traitsISK_E10value_typeET2_T3_PNSL_ISQ_E10value_typeET4_jRbjT5_SW_jjP12ihipStream_tbEUlT_E1_NS1_11comp_targetILNS1_3genE9ELNS1_11target_archE1100ELNS1_3gpuE3ELNS1_3repE0EEENS1_59segmented_radix_sort_warp_sort_small_config_static_selectorELNS0_4arch9wavefront6targetE0EEEvSK_.has_indirect_call, 0
	.section	.AMDGPU.csdata,"",@progbits
; Kernel info:
; codeLenInByte = 0
; TotalNumSgprs: 0
; NumVgprs: 0
; ScratchSize: 0
; MemoryBound: 0
; FloatMode: 240
; IeeeMode: 1
; LDSByteSize: 0 bytes/workgroup (compile time only)
; SGPRBlocks: 0
; VGPRBlocks: 0
; NumSGPRsForWavesPerEU: 1
; NumVGPRsForWavesPerEU: 1
; Occupancy: 16
; WaveLimiterHint : 0
; COMPUTE_PGM_RSRC2:SCRATCH_EN: 0
; COMPUTE_PGM_RSRC2:USER_SGPR: 2
; COMPUTE_PGM_RSRC2:TRAP_HANDLER: 0
; COMPUTE_PGM_RSRC2:TGID_X_EN: 1
; COMPUTE_PGM_RSRC2:TGID_Y_EN: 0
; COMPUTE_PGM_RSRC2:TGID_Z_EN: 0
; COMPUTE_PGM_RSRC2:TIDIG_COMP_CNT: 0
	.section	.text._ZN7rocprim17ROCPRIM_400000_NS6detail17trampoline_kernelINS0_14default_configENS1_36segmented_radix_sort_config_selectorIalEEZNS1_25segmented_radix_sort_implIS3_Lb1EPKaPaPKlPlN2at6native12_GLOBAL__N_18offset_tEEE10hipError_tPvRmT1_PNSt15iterator_traitsISK_E10value_typeET2_T3_PNSL_ISQ_E10value_typeET4_jRbjT5_SW_jjP12ihipStream_tbEUlT_E1_NS1_11comp_targetILNS1_3genE8ELNS1_11target_archE1030ELNS1_3gpuE2ELNS1_3repE0EEENS1_59segmented_radix_sort_warp_sort_small_config_static_selectorELNS0_4arch9wavefront6targetE0EEEvSK_,"axG",@progbits,_ZN7rocprim17ROCPRIM_400000_NS6detail17trampoline_kernelINS0_14default_configENS1_36segmented_radix_sort_config_selectorIalEEZNS1_25segmented_radix_sort_implIS3_Lb1EPKaPaPKlPlN2at6native12_GLOBAL__N_18offset_tEEE10hipError_tPvRmT1_PNSt15iterator_traitsISK_E10value_typeET2_T3_PNSL_ISQ_E10value_typeET4_jRbjT5_SW_jjP12ihipStream_tbEUlT_E1_NS1_11comp_targetILNS1_3genE8ELNS1_11target_archE1030ELNS1_3gpuE2ELNS1_3repE0EEENS1_59segmented_radix_sort_warp_sort_small_config_static_selectorELNS0_4arch9wavefront6targetE0EEEvSK_,comdat
	.globl	_ZN7rocprim17ROCPRIM_400000_NS6detail17trampoline_kernelINS0_14default_configENS1_36segmented_radix_sort_config_selectorIalEEZNS1_25segmented_radix_sort_implIS3_Lb1EPKaPaPKlPlN2at6native12_GLOBAL__N_18offset_tEEE10hipError_tPvRmT1_PNSt15iterator_traitsISK_E10value_typeET2_T3_PNSL_ISQ_E10value_typeET4_jRbjT5_SW_jjP12ihipStream_tbEUlT_E1_NS1_11comp_targetILNS1_3genE8ELNS1_11target_archE1030ELNS1_3gpuE2ELNS1_3repE0EEENS1_59segmented_radix_sort_warp_sort_small_config_static_selectorELNS0_4arch9wavefront6targetE0EEEvSK_ ; -- Begin function _ZN7rocprim17ROCPRIM_400000_NS6detail17trampoline_kernelINS0_14default_configENS1_36segmented_radix_sort_config_selectorIalEEZNS1_25segmented_radix_sort_implIS3_Lb1EPKaPaPKlPlN2at6native12_GLOBAL__N_18offset_tEEE10hipError_tPvRmT1_PNSt15iterator_traitsISK_E10value_typeET2_T3_PNSL_ISQ_E10value_typeET4_jRbjT5_SW_jjP12ihipStream_tbEUlT_E1_NS1_11comp_targetILNS1_3genE8ELNS1_11target_archE1030ELNS1_3gpuE2ELNS1_3repE0EEENS1_59segmented_radix_sort_warp_sort_small_config_static_selectorELNS0_4arch9wavefront6targetE0EEEvSK_
	.p2align	8
	.type	_ZN7rocprim17ROCPRIM_400000_NS6detail17trampoline_kernelINS0_14default_configENS1_36segmented_radix_sort_config_selectorIalEEZNS1_25segmented_radix_sort_implIS3_Lb1EPKaPaPKlPlN2at6native12_GLOBAL__N_18offset_tEEE10hipError_tPvRmT1_PNSt15iterator_traitsISK_E10value_typeET2_T3_PNSL_ISQ_E10value_typeET4_jRbjT5_SW_jjP12ihipStream_tbEUlT_E1_NS1_11comp_targetILNS1_3genE8ELNS1_11target_archE1030ELNS1_3gpuE2ELNS1_3repE0EEENS1_59segmented_radix_sort_warp_sort_small_config_static_selectorELNS0_4arch9wavefront6targetE0EEEvSK_,@function
_ZN7rocprim17ROCPRIM_400000_NS6detail17trampoline_kernelINS0_14default_configENS1_36segmented_radix_sort_config_selectorIalEEZNS1_25segmented_radix_sort_implIS3_Lb1EPKaPaPKlPlN2at6native12_GLOBAL__N_18offset_tEEE10hipError_tPvRmT1_PNSt15iterator_traitsISK_E10value_typeET2_T3_PNSL_ISQ_E10value_typeET4_jRbjT5_SW_jjP12ihipStream_tbEUlT_E1_NS1_11comp_targetILNS1_3genE8ELNS1_11target_archE1030ELNS1_3gpuE2ELNS1_3repE0EEENS1_59segmented_radix_sort_warp_sort_small_config_static_selectorELNS0_4arch9wavefront6targetE0EEEvSK_: ; @_ZN7rocprim17ROCPRIM_400000_NS6detail17trampoline_kernelINS0_14default_configENS1_36segmented_radix_sort_config_selectorIalEEZNS1_25segmented_radix_sort_implIS3_Lb1EPKaPaPKlPlN2at6native12_GLOBAL__N_18offset_tEEE10hipError_tPvRmT1_PNSt15iterator_traitsISK_E10value_typeET2_T3_PNSL_ISQ_E10value_typeET4_jRbjT5_SW_jjP12ihipStream_tbEUlT_E1_NS1_11comp_targetILNS1_3genE8ELNS1_11target_archE1030ELNS1_3gpuE2ELNS1_3repE0EEENS1_59segmented_radix_sort_warp_sort_small_config_static_selectorELNS0_4arch9wavefront6targetE0EEEvSK_
; %bb.0:
	.section	.rodata,"a",@progbits
	.p2align	6, 0x0
	.amdhsa_kernel _ZN7rocprim17ROCPRIM_400000_NS6detail17trampoline_kernelINS0_14default_configENS1_36segmented_radix_sort_config_selectorIalEEZNS1_25segmented_radix_sort_implIS3_Lb1EPKaPaPKlPlN2at6native12_GLOBAL__N_18offset_tEEE10hipError_tPvRmT1_PNSt15iterator_traitsISK_E10value_typeET2_T3_PNSL_ISQ_E10value_typeET4_jRbjT5_SW_jjP12ihipStream_tbEUlT_E1_NS1_11comp_targetILNS1_3genE8ELNS1_11target_archE1030ELNS1_3gpuE2ELNS1_3repE0EEENS1_59segmented_radix_sort_warp_sort_small_config_static_selectorELNS0_4arch9wavefront6targetE0EEEvSK_
		.amdhsa_group_segment_fixed_size 0
		.amdhsa_private_segment_fixed_size 0
		.amdhsa_kernarg_size 88
		.amdhsa_user_sgpr_count 2
		.amdhsa_user_sgpr_dispatch_ptr 0
		.amdhsa_user_sgpr_queue_ptr 0
		.amdhsa_user_sgpr_kernarg_segment_ptr 1
		.amdhsa_user_sgpr_dispatch_id 0
		.amdhsa_user_sgpr_private_segment_size 0
		.amdhsa_wavefront_size32 1
		.amdhsa_uses_dynamic_stack 0
		.amdhsa_enable_private_segment 0
		.amdhsa_system_sgpr_workgroup_id_x 1
		.amdhsa_system_sgpr_workgroup_id_y 0
		.amdhsa_system_sgpr_workgroup_id_z 0
		.amdhsa_system_sgpr_workgroup_info 0
		.amdhsa_system_vgpr_workitem_id 0
		.amdhsa_next_free_vgpr 1
		.amdhsa_next_free_sgpr 1
		.amdhsa_reserve_vcc 0
		.amdhsa_float_round_mode_32 0
		.amdhsa_float_round_mode_16_64 0
		.amdhsa_float_denorm_mode_32 3
		.amdhsa_float_denorm_mode_16_64 3
		.amdhsa_fp16_overflow 0
		.amdhsa_workgroup_processor_mode 1
		.amdhsa_memory_ordered 1
		.amdhsa_forward_progress 1
		.amdhsa_inst_pref_size 0
		.amdhsa_round_robin_scheduling 0
		.amdhsa_exception_fp_ieee_invalid_op 0
		.amdhsa_exception_fp_denorm_src 0
		.amdhsa_exception_fp_ieee_div_zero 0
		.amdhsa_exception_fp_ieee_overflow 0
		.amdhsa_exception_fp_ieee_underflow 0
		.amdhsa_exception_fp_ieee_inexact 0
		.amdhsa_exception_int_div_zero 0
	.end_amdhsa_kernel
	.section	.text._ZN7rocprim17ROCPRIM_400000_NS6detail17trampoline_kernelINS0_14default_configENS1_36segmented_radix_sort_config_selectorIalEEZNS1_25segmented_radix_sort_implIS3_Lb1EPKaPaPKlPlN2at6native12_GLOBAL__N_18offset_tEEE10hipError_tPvRmT1_PNSt15iterator_traitsISK_E10value_typeET2_T3_PNSL_ISQ_E10value_typeET4_jRbjT5_SW_jjP12ihipStream_tbEUlT_E1_NS1_11comp_targetILNS1_3genE8ELNS1_11target_archE1030ELNS1_3gpuE2ELNS1_3repE0EEENS1_59segmented_radix_sort_warp_sort_small_config_static_selectorELNS0_4arch9wavefront6targetE0EEEvSK_,"axG",@progbits,_ZN7rocprim17ROCPRIM_400000_NS6detail17trampoline_kernelINS0_14default_configENS1_36segmented_radix_sort_config_selectorIalEEZNS1_25segmented_radix_sort_implIS3_Lb1EPKaPaPKlPlN2at6native12_GLOBAL__N_18offset_tEEE10hipError_tPvRmT1_PNSt15iterator_traitsISK_E10value_typeET2_T3_PNSL_ISQ_E10value_typeET4_jRbjT5_SW_jjP12ihipStream_tbEUlT_E1_NS1_11comp_targetILNS1_3genE8ELNS1_11target_archE1030ELNS1_3gpuE2ELNS1_3repE0EEENS1_59segmented_radix_sort_warp_sort_small_config_static_selectorELNS0_4arch9wavefront6targetE0EEEvSK_,comdat
.Lfunc_end319:
	.size	_ZN7rocprim17ROCPRIM_400000_NS6detail17trampoline_kernelINS0_14default_configENS1_36segmented_radix_sort_config_selectorIalEEZNS1_25segmented_radix_sort_implIS3_Lb1EPKaPaPKlPlN2at6native12_GLOBAL__N_18offset_tEEE10hipError_tPvRmT1_PNSt15iterator_traitsISK_E10value_typeET2_T3_PNSL_ISQ_E10value_typeET4_jRbjT5_SW_jjP12ihipStream_tbEUlT_E1_NS1_11comp_targetILNS1_3genE8ELNS1_11target_archE1030ELNS1_3gpuE2ELNS1_3repE0EEENS1_59segmented_radix_sort_warp_sort_small_config_static_selectorELNS0_4arch9wavefront6targetE0EEEvSK_, .Lfunc_end319-_ZN7rocprim17ROCPRIM_400000_NS6detail17trampoline_kernelINS0_14default_configENS1_36segmented_radix_sort_config_selectorIalEEZNS1_25segmented_radix_sort_implIS3_Lb1EPKaPaPKlPlN2at6native12_GLOBAL__N_18offset_tEEE10hipError_tPvRmT1_PNSt15iterator_traitsISK_E10value_typeET2_T3_PNSL_ISQ_E10value_typeET4_jRbjT5_SW_jjP12ihipStream_tbEUlT_E1_NS1_11comp_targetILNS1_3genE8ELNS1_11target_archE1030ELNS1_3gpuE2ELNS1_3repE0EEENS1_59segmented_radix_sort_warp_sort_small_config_static_selectorELNS0_4arch9wavefront6targetE0EEEvSK_
                                        ; -- End function
	.set _ZN7rocprim17ROCPRIM_400000_NS6detail17trampoline_kernelINS0_14default_configENS1_36segmented_radix_sort_config_selectorIalEEZNS1_25segmented_radix_sort_implIS3_Lb1EPKaPaPKlPlN2at6native12_GLOBAL__N_18offset_tEEE10hipError_tPvRmT1_PNSt15iterator_traitsISK_E10value_typeET2_T3_PNSL_ISQ_E10value_typeET4_jRbjT5_SW_jjP12ihipStream_tbEUlT_E1_NS1_11comp_targetILNS1_3genE8ELNS1_11target_archE1030ELNS1_3gpuE2ELNS1_3repE0EEENS1_59segmented_radix_sort_warp_sort_small_config_static_selectorELNS0_4arch9wavefront6targetE0EEEvSK_.num_vgpr, 0
	.set _ZN7rocprim17ROCPRIM_400000_NS6detail17trampoline_kernelINS0_14default_configENS1_36segmented_radix_sort_config_selectorIalEEZNS1_25segmented_radix_sort_implIS3_Lb1EPKaPaPKlPlN2at6native12_GLOBAL__N_18offset_tEEE10hipError_tPvRmT1_PNSt15iterator_traitsISK_E10value_typeET2_T3_PNSL_ISQ_E10value_typeET4_jRbjT5_SW_jjP12ihipStream_tbEUlT_E1_NS1_11comp_targetILNS1_3genE8ELNS1_11target_archE1030ELNS1_3gpuE2ELNS1_3repE0EEENS1_59segmented_radix_sort_warp_sort_small_config_static_selectorELNS0_4arch9wavefront6targetE0EEEvSK_.num_agpr, 0
	.set _ZN7rocprim17ROCPRIM_400000_NS6detail17trampoline_kernelINS0_14default_configENS1_36segmented_radix_sort_config_selectorIalEEZNS1_25segmented_radix_sort_implIS3_Lb1EPKaPaPKlPlN2at6native12_GLOBAL__N_18offset_tEEE10hipError_tPvRmT1_PNSt15iterator_traitsISK_E10value_typeET2_T3_PNSL_ISQ_E10value_typeET4_jRbjT5_SW_jjP12ihipStream_tbEUlT_E1_NS1_11comp_targetILNS1_3genE8ELNS1_11target_archE1030ELNS1_3gpuE2ELNS1_3repE0EEENS1_59segmented_radix_sort_warp_sort_small_config_static_selectorELNS0_4arch9wavefront6targetE0EEEvSK_.numbered_sgpr, 0
	.set _ZN7rocprim17ROCPRIM_400000_NS6detail17trampoline_kernelINS0_14default_configENS1_36segmented_radix_sort_config_selectorIalEEZNS1_25segmented_radix_sort_implIS3_Lb1EPKaPaPKlPlN2at6native12_GLOBAL__N_18offset_tEEE10hipError_tPvRmT1_PNSt15iterator_traitsISK_E10value_typeET2_T3_PNSL_ISQ_E10value_typeET4_jRbjT5_SW_jjP12ihipStream_tbEUlT_E1_NS1_11comp_targetILNS1_3genE8ELNS1_11target_archE1030ELNS1_3gpuE2ELNS1_3repE0EEENS1_59segmented_radix_sort_warp_sort_small_config_static_selectorELNS0_4arch9wavefront6targetE0EEEvSK_.num_named_barrier, 0
	.set _ZN7rocprim17ROCPRIM_400000_NS6detail17trampoline_kernelINS0_14default_configENS1_36segmented_radix_sort_config_selectorIalEEZNS1_25segmented_radix_sort_implIS3_Lb1EPKaPaPKlPlN2at6native12_GLOBAL__N_18offset_tEEE10hipError_tPvRmT1_PNSt15iterator_traitsISK_E10value_typeET2_T3_PNSL_ISQ_E10value_typeET4_jRbjT5_SW_jjP12ihipStream_tbEUlT_E1_NS1_11comp_targetILNS1_3genE8ELNS1_11target_archE1030ELNS1_3gpuE2ELNS1_3repE0EEENS1_59segmented_radix_sort_warp_sort_small_config_static_selectorELNS0_4arch9wavefront6targetE0EEEvSK_.private_seg_size, 0
	.set _ZN7rocprim17ROCPRIM_400000_NS6detail17trampoline_kernelINS0_14default_configENS1_36segmented_radix_sort_config_selectorIalEEZNS1_25segmented_radix_sort_implIS3_Lb1EPKaPaPKlPlN2at6native12_GLOBAL__N_18offset_tEEE10hipError_tPvRmT1_PNSt15iterator_traitsISK_E10value_typeET2_T3_PNSL_ISQ_E10value_typeET4_jRbjT5_SW_jjP12ihipStream_tbEUlT_E1_NS1_11comp_targetILNS1_3genE8ELNS1_11target_archE1030ELNS1_3gpuE2ELNS1_3repE0EEENS1_59segmented_radix_sort_warp_sort_small_config_static_selectorELNS0_4arch9wavefront6targetE0EEEvSK_.uses_vcc, 0
	.set _ZN7rocprim17ROCPRIM_400000_NS6detail17trampoline_kernelINS0_14default_configENS1_36segmented_radix_sort_config_selectorIalEEZNS1_25segmented_radix_sort_implIS3_Lb1EPKaPaPKlPlN2at6native12_GLOBAL__N_18offset_tEEE10hipError_tPvRmT1_PNSt15iterator_traitsISK_E10value_typeET2_T3_PNSL_ISQ_E10value_typeET4_jRbjT5_SW_jjP12ihipStream_tbEUlT_E1_NS1_11comp_targetILNS1_3genE8ELNS1_11target_archE1030ELNS1_3gpuE2ELNS1_3repE0EEENS1_59segmented_radix_sort_warp_sort_small_config_static_selectorELNS0_4arch9wavefront6targetE0EEEvSK_.uses_flat_scratch, 0
	.set _ZN7rocprim17ROCPRIM_400000_NS6detail17trampoline_kernelINS0_14default_configENS1_36segmented_radix_sort_config_selectorIalEEZNS1_25segmented_radix_sort_implIS3_Lb1EPKaPaPKlPlN2at6native12_GLOBAL__N_18offset_tEEE10hipError_tPvRmT1_PNSt15iterator_traitsISK_E10value_typeET2_T3_PNSL_ISQ_E10value_typeET4_jRbjT5_SW_jjP12ihipStream_tbEUlT_E1_NS1_11comp_targetILNS1_3genE8ELNS1_11target_archE1030ELNS1_3gpuE2ELNS1_3repE0EEENS1_59segmented_radix_sort_warp_sort_small_config_static_selectorELNS0_4arch9wavefront6targetE0EEEvSK_.has_dyn_sized_stack, 0
	.set _ZN7rocprim17ROCPRIM_400000_NS6detail17trampoline_kernelINS0_14default_configENS1_36segmented_radix_sort_config_selectorIalEEZNS1_25segmented_radix_sort_implIS3_Lb1EPKaPaPKlPlN2at6native12_GLOBAL__N_18offset_tEEE10hipError_tPvRmT1_PNSt15iterator_traitsISK_E10value_typeET2_T3_PNSL_ISQ_E10value_typeET4_jRbjT5_SW_jjP12ihipStream_tbEUlT_E1_NS1_11comp_targetILNS1_3genE8ELNS1_11target_archE1030ELNS1_3gpuE2ELNS1_3repE0EEENS1_59segmented_radix_sort_warp_sort_small_config_static_selectorELNS0_4arch9wavefront6targetE0EEEvSK_.has_recursion, 0
	.set _ZN7rocprim17ROCPRIM_400000_NS6detail17trampoline_kernelINS0_14default_configENS1_36segmented_radix_sort_config_selectorIalEEZNS1_25segmented_radix_sort_implIS3_Lb1EPKaPaPKlPlN2at6native12_GLOBAL__N_18offset_tEEE10hipError_tPvRmT1_PNSt15iterator_traitsISK_E10value_typeET2_T3_PNSL_ISQ_E10value_typeET4_jRbjT5_SW_jjP12ihipStream_tbEUlT_E1_NS1_11comp_targetILNS1_3genE8ELNS1_11target_archE1030ELNS1_3gpuE2ELNS1_3repE0EEENS1_59segmented_radix_sort_warp_sort_small_config_static_selectorELNS0_4arch9wavefront6targetE0EEEvSK_.has_indirect_call, 0
	.section	.AMDGPU.csdata,"",@progbits
; Kernel info:
; codeLenInByte = 0
; TotalNumSgprs: 0
; NumVgprs: 0
; ScratchSize: 0
; MemoryBound: 0
; FloatMode: 240
; IeeeMode: 1
; LDSByteSize: 0 bytes/workgroup (compile time only)
; SGPRBlocks: 0
; VGPRBlocks: 0
; NumSGPRsForWavesPerEU: 1
; NumVGPRsForWavesPerEU: 1
; Occupancy: 16
; WaveLimiterHint : 0
; COMPUTE_PGM_RSRC2:SCRATCH_EN: 0
; COMPUTE_PGM_RSRC2:USER_SGPR: 2
; COMPUTE_PGM_RSRC2:TRAP_HANDLER: 0
; COMPUTE_PGM_RSRC2:TGID_X_EN: 1
; COMPUTE_PGM_RSRC2:TGID_Y_EN: 0
; COMPUTE_PGM_RSRC2:TGID_Z_EN: 0
; COMPUTE_PGM_RSRC2:TIDIG_COMP_CNT: 0
	.section	.text._ZN7rocprim17ROCPRIM_400000_NS6detail17trampoline_kernelINS0_14default_configENS1_36segmented_radix_sort_config_selectorIalEEZNS1_25segmented_radix_sort_implIS3_Lb1EPKaPaPKlPlN2at6native12_GLOBAL__N_18offset_tEEE10hipError_tPvRmT1_PNSt15iterator_traitsISK_E10value_typeET2_T3_PNSL_ISQ_E10value_typeET4_jRbjT5_SW_jjP12ihipStream_tbEUlT_E2_NS1_11comp_targetILNS1_3genE0ELNS1_11target_archE4294967295ELNS1_3gpuE0ELNS1_3repE0EEENS1_30default_config_static_selectorELNS0_4arch9wavefront6targetE0EEEvSK_,"axG",@progbits,_ZN7rocprim17ROCPRIM_400000_NS6detail17trampoline_kernelINS0_14default_configENS1_36segmented_radix_sort_config_selectorIalEEZNS1_25segmented_radix_sort_implIS3_Lb1EPKaPaPKlPlN2at6native12_GLOBAL__N_18offset_tEEE10hipError_tPvRmT1_PNSt15iterator_traitsISK_E10value_typeET2_T3_PNSL_ISQ_E10value_typeET4_jRbjT5_SW_jjP12ihipStream_tbEUlT_E2_NS1_11comp_targetILNS1_3genE0ELNS1_11target_archE4294967295ELNS1_3gpuE0ELNS1_3repE0EEENS1_30default_config_static_selectorELNS0_4arch9wavefront6targetE0EEEvSK_,comdat
	.globl	_ZN7rocprim17ROCPRIM_400000_NS6detail17trampoline_kernelINS0_14default_configENS1_36segmented_radix_sort_config_selectorIalEEZNS1_25segmented_radix_sort_implIS3_Lb1EPKaPaPKlPlN2at6native12_GLOBAL__N_18offset_tEEE10hipError_tPvRmT1_PNSt15iterator_traitsISK_E10value_typeET2_T3_PNSL_ISQ_E10value_typeET4_jRbjT5_SW_jjP12ihipStream_tbEUlT_E2_NS1_11comp_targetILNS1_3genE0ELNS1_11target_archE4294967295ELNS1_3gpuE0ELNS1_3repE0EEENS1_30default_config_static_selectorELNS0_4arch9wavefront6targetE0EEEvSK_ ; -- Begin function _ZN7rocprim17ROCPRIM_400000_NS6detail17trampoline_kernelINS0_14default_configENS1_36segmented_radix_sort_config_selectorIalEEZNS1_25segmented_radix_sort_implIS3_Lb1EPKaPaPKlPlN2at6native12_GLOBAL__N_18offset_tEEE10hipError_tPvRmT1_PNSt15iterator_traitsISK_E10value_typeET2_T3_PNSL_ISQ_E10value_typeET4_jRbjT5_SW_jjP12ihipStream_tbEUlT_E2_NS1_11comp_targetILNS1_3genE0ELNS1_11target_archE4294967295ELNS1_3gpuE0ELNS1_3repE0EEENS1_30default_config_static_selectorELNS0_4arch9wavefront6targetE0EEEvSK_
	.p2align	8
	.type	_ZN7rocprim17ROCPRIM_400000_NS6detail17trampoline_kernelINS0_14default_configENS1_36segmented_radix_sort_config_selectorIalEEZNS1_25segmented_radix_sort_implIS3_Lb1EPKaPaPKlPlN2at6native12_GLOBAL__N_18offset_tEEE10hipError_tPvRmT1_PNSt15iterator_traitsISK_E10value_typeET2_T3_PNSL_ISQ_E10value_typeET4_jRbjT5_SW_jjP12ihipStream_tbEUlT_E2_NS1_11comp_targetILNS1_3genE0ELNS1_11target_archE4294967295ELNS1_3gpuE0ELNS1_3repE0EEENS1_30default_config_static_selectorELNS0_4arch9wavefront6targetE0EEEvSK_,@function
_ZN7rocprim17ROCPRIM_400000_NS6detail17trampoline_kernelINS0_14default_configENS1_36segmented_radix_sort_config_selectorIalEEZNS1_25segmented_radix_sort_implIS3_Lb1EPKaPaPKlPlN2at6native12_GLOBAL__N_18offset_tEEE10hipError_tPvRmT1_PNSt15iterator_traitsISK_E10value_typeET2_T3_PNSL_ISQ_E10value_typeET4_jRbjT5_SW_jjP12ihipStream_tbEUlT_E2_NS1_11comp_targetILNS1_3genE0ELNS1_11target_archE4294967295ELNS1_3gpuE0ELNS1_3repE0EEENS1_30default_config_static_selectorELNS0_4arch9wavefront6targetE0EEEvSK_: ; @_ZN7rocprim17ROCPRIM_400000_NS6detail17trampoline_kernelINS0_14default_configENS1_36segmented_radix_sort_config_selectorIalEEZNS1_25segmented_radix_sort_implIS3_Lb1EPKaPaPKlPlN2at6native12_GLOBAL__N_18offset_tEEE10hipError_tPvRmT1_PNSt15iterator_traitsISK_E10value_typeET2_T3_PNSL_ISQ_E10value_typeET4_jRbjT5_SW_jjP12ihipStream_tbEUlT_E2_NS1_11comp_targetILNS1_3genE0ELNS1_11target_archE4294967295ELNS1_3gpuE0ELNS1_3repE0EEENS1_30default_config_static_selectorELNS0_4arch9wavefront6targetE0EEEvSK_
; %bb.0:
	.section	.rodata,"a",@progbits
	.p2align	6, 0x0
	.amdhsa_kernel _ZN7rocprim17ROCPRIM_400000_NS6detail17trampoline_kernelINS0_14default_configENS1_36segmented_radix_sort_config_selectorIalEEZNS1_25segmented_radix_sort_implIS3_Lb1EPKaPaPKlPlN2at6native12_GLOBAL__N_18offset_tEEE10hipError_tPvRmT1_PNSt15iterator_traitsISK_E10value_typeET2_T3_PNSL_ISQ_E10value_typeET4_jRbjT5_SW_jjP12ihipStream_tbEUlT_E2_NS1_11comp_targetILNS1_3genE0ELNS1_11target_archE4294967295ELNS1_3gpuE0ELNS1_3repE0EEENS1_30default_config_static_selectorELNS0_4arch9wavefront6targetE0EEEvSK_
		.amdhsa_group_segment_fixed_size 0
		.amdhsa_private_segment_fixed_size 0
		.amdhsa_kernarg_size 80
		.amdhsa_user_sgpr_count 2
		.amdhsa_user_sgpr_dispatch_ptr 0
		.amdhsa_user_sgpr_queue_ptr 0
		.amdhsa_user_sgpr_kernarg_segment_ptr 1
		.amdhsa_user_sgpr_dispatch_id 0
		.amdhsa_user_sgpr_private_segment_size 0
		.amdhsa_wavefront_size32 1
		.amdhsa_uses_dynamic_stack 0
		.amdhsa_enable_private_segment 0
		.amdhsa_system_sgpr_workgroup_id_x 1
		.amdhsa_system_sgpr_workgroup_id_y 0
		.amdhsa_system_sgpr_workgroup_id_z 0
		.amdhsa_system_sgpr_workgroup_info 0
		.amdhsa_system_vgpr_workitem_id 0
		.amdhsa_next_free_vgpr 1
		.amdhsa_next_free_sgpr 1
		.amdhsa_reserve_vcc 0
		.amdhsa_float_round_mode_32 0
		.amdhsa_float_round_mode_16_64 0
		.amdhsa_float_denorm_mode_32 3
		.amdhsa_float_denorm_mode_16_64 3
		.amdhsa_fp16_overflow 0
		.amdhsa_workgroup_processor_mode 1
		.amdhsa_memory_ordered 1
		.amdhsa_forward_progress 1
		.amdhsa_inst_pref_size 0
		.amdhsa_round_robin_scheduling 0
		.amdhsa_exception_fp_ieee_invalid_op 0
		.amdhsa_exception_fp_denorm_src 0
		.amdhsa_exception_fp_ieee_div_zero 0
		.amdhsa_exception_fp_ieee_overflow 0
		.amdhsa_exception_fp_ieee_underflow 0
		.amdhsa_exception_fp_ieee_inexact 0
		.amdhsa_exception_int_div_zero 0
	.end_amdhsa_kernel
	.section	.text._ZN7rocprim17ROCPRIM_400000_NS6detail17trampoline_kernelINS0_14default_configENS1_36segmented_radix_sort_config_selectorIalEEZNS1_25segmented_radix_sort_implIS3_Lb1EPKaPaPKlPlN2at6native12_GLOBAL__N_18offset_tEEE10hipError_tPvRmT1_PNSt15iterator_traitsISK_E10value_typeET2_T3_PNSL_ISQ_E10value_typeET4_jRbjT5_SW_jjP12ihipStream_tbEUlT_E2_NS1_11comp_targetILNS1_3genE0ELNS1_11target_archE4294967295ELNS1_3gpuE0ELNS1_3repE0EEENS1_30default_config_static_selectorELNS0_4arch9wavefront6targetE0EEEvSK_,"axG",@progbits,_ZN7rocprim17ROCPRIM_400000_NS6detail17trampoline_kernelINS0_14default_configENS1_36segmented_radix_sort_config_selectorIalEEZNS1_25segmented_radix_sort_implIS3_Lb1EPKaPaPKlPlN2at6native12_GLOBAL__N_18offset_tEEE10hipError_tPvRmT1_PNSt15iterator_traitsISK_E10value_typeET2_T3_PNSL_ISQ_E10value_typeET4_jRbjT5_SW_jjP12ihipStream_tbEUlT_E2_NS1_11comp_targetILNS1_3genE0ELNS1_11target_archE4294967295ELNS1_3gpuE0ELNS1_3repE0EEENS1_30default_config_static_selectorELNS0_4arch9wavefront6targetE0EEEvSK_,comdat
.Lfunc_end320:
	.size	_ZN7rocprim17ROCPRIM_400000_NS6detail17trampoline_kernelINS0_14default_configENS1_36segmented_radix_sort_config_selectorIalEEZNS1_25segmented_radix_sort_implIS3_Lb1EPKaPaPKlPlN2at6native12_GLOBAL__N_18offset_tEEE10hipError_tPvRmT1_PNSt15iterator_traitsISK_E10value_typeET2_T3_PNSL_ISQ_E10value_typeET4_jRbjT5_SW_jjP12ihipStream_tbEUlT_E2_NS1_11comp_targetILNS1_3genE0ELNS1_11target_archE4294967295ELNS1_3gpuE0ELNS1_3repE0EEENS1_30default_config_static_selectorELNS0_4arch9wavefront6targetE0EEEvSK_, .Lfunc_end320-_ZN7rocprim17ROCPRIM_400000_NS6detail17trampoline_kernelINS0_14default_configENS1_36segmented_radix_sort_config_selectorIalEEZNS1_25segmented_radix_sort_implIS3_Lb1EPKaPaPKlPlN2at6native12_GLOBAL__N_18offset_tEEE10hipError_tPvRmT1_PNSt15iterator_traitsISK_E10value_typeET2_T3_PNSL_ISQ_E10value_typeET4_jRbjT5_SW_jjP12ihipStream_tbEUlT_E2_NS1_11comp_targetILNS1_3genE0ELNS1_11target_archE4294967295ELNS1_3gpuE0ELNS1_3repE0EEENS1_30default_config_static_selectorELNS0_4arch9wavefront6targetE0EEEvSK_
                                        ; -- End function
	.set _ZN7rocprim17ROCPRIM_400000_NS6detail17trampoline_kernelINS0_14default_configENS1_36segmented_radix_sort_config_selectorIalEEZNS1_25segmented_radix_sort_implIS3_Lb1EPKaPaPKlPlN2at6native12_GLOBAL__N_18offset_tEEE10hipError_tPvRmT1_PNSt15iterator_traitsISK_E10value_typeET2_T3_PNSL_ISQ_E10value_typeET4_jRbjT5_SW_jjP12ihipStream_tbEUlT_E2_NS1_11comp_targetILNS1_3genE0ELNS1_11target_archE4294967295ELNS1_3gpuE0ELNS1_3repE0EEENS1_30default_config_static_selectorELNS0_4arch9wavefront6targetE0EEEvSK_.num_vgpr, 0
	.set _ZN7rocprim17ROCPRIM_400000_NS6detail17trampoline_kernelINS0_14default_configENS1_36segmented_radix_sort_config_selectorIalEEZNS1_25segmented_radix_sort_implIS3_Lb1EPKaPaPKlPlN2at6native12_GLOBAL__N_18offset_tEEE10hipError_tPvRmT1_PNSt15iterator_traitsISK_E10value_typeET2_T3_PNSL_ISQ_E10value_typeET4_jRbjT5_SW_jjP12ihipStream_tbEUlT_E2_NS1_11comp_targetILNS1_3genE0ELNS1_11target_archE4294967295ELNS1_3gpuE0ELNS1_3repE0EEENS1_30default_config_static_selectorELNS0_4arch9wavefront6targetE0EEEvSK_.num_agpr, 0
	.set _ZN7rocprim17ROCPRIM_400000_NS6detail17trampoline_kernelINS0_14default_configENS1_36segmented_radix_sort_config_selectorIalEEZNS1_25segmented_radix_sort_implIS3_Lb1EPKaPaPKlPlN2at6native12_GLOBAL__N_18offset_tEEE10hipError_tPvRmT1_PNSt15iterator_traitsISK_E10value_typeET2_T3_PNSL_ISQ_E10value_typeET4_jRbjT5_SW_jjP12ihipStream_tbEUlT_E2_NS1_11comp_targetILNS1_3genE0ELNS1_11target_archE4294967295ELNS1_3gpuE0ELNS1_3repE0EEENS1_30default_config_static_selectorELNS0_4arch9wavefront6targetE0EEEvSK_.numbered_sgpr, 0
	.set _ZN7rocprim17ROCPRIM_400000_NS6detail17trampoline_kernelINS0_14default_configENS1_36segmented_radix_sort_config_selectorIalEEZNS1_25segmented_radix_sort_implIS3_Lb1EPKaPaPKlPlN2at6native12_GLOBAL__N_18offset_tEEE10hipError_tPvRmT1_PNSt15iterator_traitsISK_E10value_typeET2_T3_PNSL_ISQ_E10value_typeET4_jRbjT5_SW_jjP12ihipStream_tbEUlT_E2_NS1_11comp_targetILNS1_3genE0ELNS1_11target_archE4294967295ELNS1_3gpuE0ELNS1_3repE0EEENS1_30default_config_static_selectorELNS0_4arch9wavefront6targetE0EEEvSK_.num_named_barrier, 0
	.set _ZN7rocprim17ROCPRIM_400000_NS6detail17trampoline_kernelINS0_14default_configENS1_36segmented_radix_sort_config_selectorIalEEZNS1_25segmented_radix_sort_implIS3_Lb1EPKaPaPKlPlN2at6native12_GLOBAL__N_18offset_tEEE10hipError_tPvRmT1_PNSt15iterator_traitsISK_E10value_typeET2_T3_PNSL_ISQ_E10value_typeET4_jRbjT5_SW_jjP12ihipStream_tbEUlT_E2_NS1_11comp_targetILNS1_3genE0ELNS1_11target_archE4294967295ELNS1_3gpuE0ELNS1_3repE0EEENS1_30default_config_static_selectorELNS0_4arch9wavefront6targetE0EEEvSK_.private_seg_size, 0
	.set _ZN7rocprim17ROCPRIM_400000_NS6detail17trampoline_kernelINS0_14default_configENS1_36segmented_radix_sort_config_selectorIalEEZNS1_25segmented_radix_sort_implIS3_Lb1EPKaPaPKlPlN2at6native12_GLOBAL__N_18offset_tEEE10hipError_tPvRmT1_PNSt15iterator_traitsISK_E10value_typeET2_T3_PNSL_ISQ_E10value_typeET4_jRbjT5_SW_jjP12ihipStream_tbEUlT_E2_NS1_11comp_targetILNS1_3genE0ELNS1_11target_archE4294967295ELNS1_3gpuE0ELNS1_3repE0EEENS1_30default_config_static_selectorELNS0_4arch9wavefront6targetE0EEEvSK_.uses_vcc, 0
	.set _ZN7rocprim17ROCPRIM_400000_NS6detail17trampoline_kernelINS0_14default_configENS1_36segmented_radix_sort_config_selectorIalEEZNS1_25segmented_radix_sort_implIS3_Lb1EPKaPaPKlPlN2at6native12_GLOBAL__N_18offset_tEEE10hipError_tPvRmT1_PNSt15iterator_traitsISK_E10value_typeET2_T3_PNSL_ISQ_E10value_typeET4_jRbjT5_SW_jjP12ihipStream_tbEUlT_E2_NS1_11comp_targetILNS1_3genE0ELNS1_11target_archE4294967295ELNS1_3gpuE0ELNS1_3repE0EEENS1_30default_config_static_selectorELNS0_4arch9wavefront6targetE0EEEvSK_.uses_flat_scratch, 0
	.set _ZN7rocprim17ROCPRIM_400000_NS6detail17trampoline_kernelINS0_14default_configENS1_36segmented_radix_sort_config_selectorIalEEZNS1_25segmented_radix_sort_implIS3_Lb1EPKaPaPKlPlN2at6native12_GLOBAL__N_18offset_tEEE10hipError_tPvRmT1_PNSt15iterator_traitsISK_E10value_typeET2_T3_PNSL_ISQ_E10value_typeET4_jRbjT5_SW_jjP12ihipStream_tbEUlT_E2_NS1_11comp_targetILNS1_3genE0ELNS1_11target_archE4294967295ELNS1_3gpuE0ELNS1_3repE0EEENS1_30default_config_static_selectorELNS0_4arch9wavefront6targetE0EEEvSK_.has_dyn_sized_stack, 0
	.set _ZN7rocprim17ROCPRIM_400000_NS6detail17trampoline_kernelINS0_14default_configENS1_36segmented_radix_sort_config_selectorIalEEZNS1_25segmented_radix_sort_implIS3_Lb1EPKaPaPKlPlN2at6native12_GLOBAL__N_18offset_tEEE10hipError_tPvRmT1_PNSt15iterator_traitsISK_E10value_typeET2_T3_PNSL_ISQ_E10value_typeET4_jRbjT5_SW_jjP12ihipStream_tbEUlT_E2_NS1_11comp_targetILNS1_3genE0ELNS1_11target_archE4294967295ELNS1_3gpuE0ELNS1_3repE0EEENS1_30default_config_static_selectorELNS0_4arch9wavefront6targetE0EEEvSK_.has_recursion, 0
	.set _ZN7rocprim17ROCPRIM_400000_NS6detail17trampoline_kernelINS0_14default_configENS1_36segmented_radix_sort_config_selectorIalEEZNS1_25segmented_radix_sort_implIS3_Lb1EPKaPaPKlPlN2at6native12_GLOBAL__N_18offset_tEEE10hipError_tPvRmT1_PNSt15iterator_traitsISK_E10value_typeET2_T3_PNSL_ISQ_E10value_typeET4_jRbjT5_SW_jjP12ihipStream_tbEUlT_E2_NS1_11comp_targetILNS1_3genE0ELNS1_11target_archE4294967295ELNS1_3gpuE0ELNS1_3repE0EEENS1_30default_config_static_selectorELNS0_4arch9wavefront6targetE0EEEvSK_.has_indirect_call, 0
	.section	.AMDGPU.csdata,"",@progbits
; Kernel info:
; codeLenInByte = 0
; TotalNumSgprs: 0
; NumVgprs: 0
; ScratchSize: 0
; MemoryBound: 0
; FloatMode: 240
; IeeeMode: 1
; LDSByteSize: 0 bytes/workgroup (compile time only)
; SGPRBlocks: 0
; VGPRBlocks: 0
; NumSGPRsForWavesPerEU: 1
; NumVGPRsForWavesPerEU: 1
; Occupancy: 16
; WaveLimiterHint : 0
; COMPUTE_PGM_RSRC2:SCRATCH_EN: 0
; COMPUTE_PGM_RSRC2:USER_SGPR: 2
; COMPUTE_PGM_RSRC2:TRAP_HANDLER: 0
; COMPUTE_PGM_RSRC2:TGID_X_EN: 1
; COMPUTE_PGM_RSRC2:TGID_Y_EN: 0
; COMPUTE_PGM_RSRC2:TGID_Z_EN: 0
; COMPUTE_PGM_RSRC2:TIDIG_COMP_CNT: 0
	.section	.text._ZN7rocprim17ROCPRIM_400000_NS6detail17trampoline_kernelINS0_14default_configENS1_36segmented_radix_sort_config_selectorIalEEZNS1_25segmented_radix_sort_implIS3_Lb1EPKaPaPKlPlN2at6native12_GLOBAL__N_18offset_tEEE10hipError_tPvRmT1_PNSt15iterator_traitsISK_E10value_typeET2_T3_PNSL_ISQ_E10value_typeET4_jRbjT5_SW_jjP12ihipStream_tbEUlT_E2_NS1_11comp_targetILNS1_3genE5ELNS1_11target_archE942ELNS1_3gpuE9ELNS1_3repE0EEENS1_30default_config_static_selectorELNS0_4arch9wavefront6targetE0EEEvSK_,"axG",@progbits,_ZN7rocprim17ROCPRIM_400000_NS6detail17trampoline_kernelINS0_14default_configENS1_36segmented_radix_sort_config_selectorIalEEZNS1_25segmented_radix_sort_implIS3_Lb1EPKaPaPKlPlN2at6native12_GLOBAL__N_18offset_tEEE10hipError_tPvRmT1_PNSt15iterator_traitsISK_E10value_typeET2_T3_PNSL_ISQ_E10value_typeET4_jRbjT5_SW_jjP12ihipStream_tbEUlT_E2_NS1_11comp_targetILNS1_3genE5ELNS1_11target_archE942ELNS1_3gpuE9ELNS1_3repE0EEENS1_30default_config_static_selectorELNS0_4arch9wavefront6targetE0EEEvSK_,comdat
	.globl	_ZN7rocprim17ROCPRIM_400000_NS6detail17trampoline_kernelINS0_14default_configENS1_36segmented_radix_sort_config_selectorIalEEZNS1_25segmented_radix_sort_implIS3_Lb1EPKaPaPKlPlN2at6native12_GLOBAL__N_18offset_tEEE10hipError_tPvRmT1_PNSt15iterator_traitsISK_E10value_typeET2_T3_PNSL_ISQ_E10value_typeET4_jRbjT5_SW_jjP12ihipStream_tbEUlT_E2_NS1_11comp_targetILNS1_3genE5ELNS1_11target_archE942ELNS1_3gpuE9ELNS1_3repE0EEENS1_30default_config_static_selectorELNS0_4arch9wavefront6targetE0EEEvSK_ ; -- Begin function _ZN7rocprim17ROCPRIM_400000_NS6detail17trampoline_kernelINS0_14default_configENS1_36segmented_radix_sort_config_selectorIalEEZNS1_25segmented_radix_sort_implIS3_Lb1EPKaPaPKlPlN2at6native12_GLOBAL__N_18offset_tEEE10hipError_tPvRmT1_PNSt15iterator_traitsISK_E10value_typeET2_T3_PNSL_ISQ_E10value_typeET4_jRbjT5_SW_jjP12ihipStream_tbEUlT_E2_NS1_11comp_targetILNS1_3genE5ELNS1_11target_archE942ELNS1_3gpuE9ELNS1_3repE0EEENS1_30default_config_static_selectorELNS0_4arch9wavefront6targetE0EEEvSK_
	.p2align	8
	.type	_ZN7rocprim17ROCPRIM_400000_NS6detail17trampoline_kernelINS0_14default_configENS1_36segmented_radix_sort_config_selectorIalEEZNS1_25segmented_radix_sort_implIS3_Lb1EPKaPaPKlPlN2at6native12_GLOBAL__N_18offset_tEEE10hipError_tPvRmT1_PNSt15iterator_traitsISK_E10value_typeET2_T3_PNSL_ISQ_E10value_typeET4_jRbjT5_SW_jjP12ihipStream_tbEUlT_E2_NS1_11comp_targetILNS1_3genE5ELNS1_11target_archE942ELNS1_3gpuE9ELNS1_3repE0EEENS1_30default_config_static_selectorELNS0_4arch9wavefront6targetE0EEEvSK_,@function
_ZN7rocprim17ROCPRIM_400000_NS6detail17trampoline_kernelINS0_14default_configENS1_36segmented_radix_sort_config_selectorIalEEZNS1_25segmented_radix_sort_implIS3_Lb1EPKaPaPKlPlN2at6native12_GLOBAL__N_18offset_tEEE10hipError_tPvRmT1_PNSt15iterator_traitsISK_E10value_typeET2_T3_PNSL_ISQ_E10value_typeET4_jRbjT5_SW_jjP12ihipStream_tbEUlT_E2_NS1_11comp_targetILNS1_3genE5ELNS1_11target_archE942ELNS1_3gpuE9ELNS1_3repE0EEENS1_30default_config_static_selectorELNS0_4arch9wavefront6targetE0EEEvSK_: ; @_ZN7rocprim17ROCPRIM_400000_NS6detail17trampoline_kernelINS0_14default_configENS1_36segmented_radix_sort_config_selectorIalEEZNS1_25segmented_radix_sort_implIS3_Lb1EPKaPaPKlPlN2at6native12_GLOBAL__N_18offset_tEEE10hipError_tPvRmT1_PNSt15iterator_traitsISK_E10value_typeET2_T3_PNSL_ISQ_E10value_typeET4_jRbjT5_SW_jjP12ihipStream_tbEUlT_E2_NS1_11comp_targetILNS1_3genE5ELNS1_11target_archE942ELNS1_3gpuE9ELNS1_3repE0EEENS1_30default_config_static_selectorELNS0_4arch9wavefront6targetE0EEEvSK_
; %bb.0:
	.section	.rodata,"a",@progbits
	.p2align	6, 0x0
	.amdhsa_kernel _ZN7rocprim17ROCPRIM_400000_NS6detail17trampoline_kernelINS0_14default_configENS1_36segmented_radix_sort_config_selectorIalEEZNS1_25segmented_radix_sort_implIS3_Lb1EPKaPaPKlPlN2at6native12_GLOBAL__N_18offset_tEEE10hipError_tPvRmT1_PNSt15iterator_traitsISK_E10value_typeET2_T3_PNSL_ISQ_E10value_typeET4_jRbjT5_SW_jjP12ihipStream_tbEUlT_E2_NS1_11comp_targetILNS1_3genE5ELNS1_11target_archE942ELNS1_3gpuE9ELNS1_3repE0EEENS1_30default_config_static_selectorELNS0_4arch9wavefront6targetE0EEEvSK_
		.amdhsa_group_segment_fixed_size 0
		.amdhsa_private_segment_fixed_size 0
		.amdhsa_kernarg_size 80
		.amdhsa_user_sgpr_count 2
		.amdhsa_user_sgpr_dispatch_ptr 0
		.amdhsa_user_sgpr_queue_ptr 0
		.amdhsa_user_sgpr_kernarg_segment_ptr 1
		.amdhsa_user_sgpr_dispatch_id 0
		.amdhsa_user_sgpr_private_segment_size 0
		.amdhsa_wavefront_size32 1
		.amdhsa_uses_dynamic_stack 0
		.amdhsa_enable_private_segment 0
		.amdhsa_system_sgpr_workgroup_id_x 1
		.amdhsa_system_sgpr_workgroup_id_y 0
		.amdhsa_system_sgpr_workgroup_id_z 0
		.amdhsa_system_sgpr_workgroup_info 0
		.amdhsa_system_vgpr_workitem_id 0
		.amdhsa_next_free_vgpr 1
		.amdhsa_next_free_sgpr 1
		.amdhsa_reserve_vcc 0
		.amdhsa_float_round_mode_32 0
		.amdhsa_float_round_mode_16_64 0
		.amdhsa_float_denorm_mode_32 3
		.amdhsa_float_denorm_mode_16_64 3
		.amdhsa_fp16_overflow 0
		.amdhsa_workgroup_processor_mode 1
		.amdhsa_memory_ordered 1
		.amdhsa_forward_progress 1
		.amdhsa_inst_pref_size 0
		.amdhsa_round_robin_scheduling 0
		.amdhsa_exception_fp_ieee_invalid_op 0
		.amdhsa_exception_fp_denorm_src 0
		.amdhsa_exception_fp_ieee_div_zero 0
		.amdhsa_exception_fp_ieee_overflow 0
		.amdhsa_exception_fp_ieee_underflow 0
		.amdhsa_exception_fp_ieee_inexact 0
		.amdhsa_exception_int_div_zero 0
	.end_amdhsa_kernel
	.section	.text._ZN7rocprim17ROCPRIM_400000_NS6detail17trampoline_kernelINS0_14default_configENS1_36segmented_radix_sort_config_selectorIalEEZNS1_25segmented_radix_sort_implIS3_Lb1EPKaPaPKlPlN2at6native12_GLOBAL__N_18offset_tEEE10hipError_tPvRmT1_PNSt15iterator_traitsISK_E10value_typeET2_T3_PNSL_ISQ_E10value_typeET4_jRbjT5_SW_jjP12ihipStream_tbEUlT_E2_NS1_11comp_targetILNS1_3genE5ELNS1_11target_archE942ELNS1_3gpuE9ELNS1_3repE0EEENS1_30default_config_static_selectorELNS0_4arch9wavefront6targetE0EEEvSK_,"axG",@progbits,_ZN7rocprim17ROCPRIM_400000_NS6detail17trampoline_kernelINS0_14default_configENS1_36segmented_radix_sort_config_selectorIalEEZNS1_25segmented_radix_sort_implIS3_Lb1EPKaPaPKlPlN2at6native12_GLOBAL__N_18offset_tEEE10hipError_tPvRmT1_PNSt15iterator_traitsISK_E10value_typeET2_T3_PNSL_ISQ_E10value_typeET4_jRbjT5_SW_jjP12ihipStream_tbEUlT_E2_NS1_11comp_targetILNS1_3genE5ELNS1_11target_archE942ELNS1_3gpuE9ELNS1_3repE0EEENS1_30default_config_static_selectorELNS0_4arch9wavefront6targetE0EEEvSK_,comdat
.Lfunc_end321:
	.size	_ZN7rocprim17ROCPRIM_400000_NS6detail17trampoline_kernelINS0_14default_configENS1_36segmented_radix_sort_config_selectorIalEEZNS1_25segmented_radix_sort_implIS3_Lb1EPKaPaPKlPlN2at6native12_GLOBAL__N_18offset_tEEE10hipError_tPvRmT1_PNSt15iterator_traitsISK_E10value_typeET2_T3_PNSL_ISQ_E10value_typeET4_jRbjT5_SW_jjP12ihipStream_tbEUlT_E2_NS1_11comp_targetILNS1_3genE5ELNS1_11target_archE942ELNS1_3gpuE9ELNS1_3repE0EEENS1_30default_config_static_selectorELNS0_4arch9wavefront6targetE0EEEvSK_, .Lfunc_end321-_ZN7rocprim17ROCPRIM_400000_NS6detail17trampoline_kernelINS0_14default_configENS1_36segmented_radix_sort_config_selectorIalEEZNS1_25segmented_radix_sort_implIS3_Lb1EPKaPaPKlPlN2at6native12_GLOBAL__N_18offset_tEEE10hipError_tPvRmT1_PNSt15iterator_traitsISK_E10value_typeET2_T3_PNSL_ISQ_E10value_typeET4_jRbjT5_SW_jjP12ihipStream_tbEUlT_E2_NS1_11comp_targetILNS1_3genE5ELNS1_11target_archE942ELNS1_3gpuE9ELNS1_3repE0EEENS1_30default_config_static_selectorELNS0_4arch9wavefront6targetE0EEEvSK_
                                        ; -- End function
	.set _ZN7rocprim17ROCPRIM_400000_NS6detail17trampoline_kernelINS0_14default_configENS1_36segmented_radix_sort_config_selectorIalEEZNS1_25segmented_radix_sort_implIS3_Lb1EPKaPaPKlPlN2at6native12_GLOBAL__N_18offset_tEEE10hipError_tPvRmT1_PNSt15iterator_traitsISK_E10value_typeET2_T3_PNSL_ISQ_E10value_typeET4_jRbjT5_SW_jjP12ihipStream_tbEUlT_E2_NS1_11comp_targetILNS1_3genE5ELNS1_11target_archE942ELNS1_3gpuE9ELNS1_3repE0EEENS1_30default_config_static_selectorELNS0_4arch9wavefront6targetE0EEEvSK_.num_vgpr, 0
	.set _ZN7rocprim17ROCPRIM_400000_NS6detail17trampoline_kernelINS0_14default_configENS1_36segmented_radix_sort_config_selectorIalEEZNS1_25segmented_radix_sort_implIS3_Lb1EPKaPaPKlPlN2at6native12_GLOBAL__N_18offset_tEEE10hipError_tPvRmT1_PNSt15iterator_traitsISK_E10value_typeET2_T3_PNSL_ISQ_E10value_typeET4_jRbjT5_SW_jjP12ihipStream_tbEUlT_E2_NS1_11comp_targetILNS1_3genE5ELNS1_11target_archE942ELNS1_3gpuE9ELNS1_3repE0EEENS1_30default_config_static_selectorELNS0_4arch9wavefront6targetE0EEEvSK_.num_agpr, 0
	.set _ZN7rocprim17ROCPRIM_400000_NS6detail17trampoline_kernelINS0_14default_configENS1_36segmented_radix_sort_config_selectorIalEEZNS1_25segmented_radix_sort_implIS3_Lb1EPKaPaPKlPlN2at6native12_GLOBAL__N_18offset_tEEE10hipError_tPvRmT1_PNSt15iterator_traitsISK_E10value_typeET2_T3_PNSL_ISQ_E10value_typeET4_jRbjT5_SW_jjP12ihipStream_tbEUlT_E2_NS1_11comp_targetILNS1_3genE5ELNS1_11target_archE942ELNS1_3gpuE9ELNS1_3repE0EEENS1_30default_config_static_selectorELNS0_4arch9wavefront6targetE0EEEvSK_.numbered_sgpr, 0
	.set _ZN7rocprim17ROCPRIM_400000_NS6detail17trampoline_kernelINS0_14default_configENS1_36segmented_radix_sort_config_selectorIalEEZNS1_25segmented_radix_sort_implIS3_Lb1EPKaPaPKlPlN2at6native12_GLOBAL__N_18offset_tEEE10hipError_tPvRmT1_PNSt15iterator_traitsISK_E10value_typeET2_T3_PNSL_ISQ_E10value_typeET4_jRbjT5_SW_jjP12ihipStream_tbEUlT_E2_NS1_11comp_targetILNS1_3genE5ELNS1_11target_archE942ELNS1_3gpuE9ELNS1_3repE0EEENS1_30default_config_static_selectorELNS0_4arch9wavefront6targetE0EEEvSK_.num_named_barrier, 0
	.set _ZN7rocprim17ROCPRIM_400000_NS6detail17trampoline_kernelINS0_14default_configENS1_36segmented_radix_sort_config_selectorIalEEZNS1_25segmented_radix_sort_implIS3_Lb1EPKaPaPKlPlN2at6native12_GLOBAL__N_18offset_tEEE10hipError_tPvRmT1_PNSt15iterator_traitsISK_E10value_typeET2_T3_PNSL_ISQ_E10value_typeET4_jRbjT5_SW_jjP12ihipStream_tbEUlT_E2_NS1_11comp_targetILNS1_3genE5ELNS1_11target_archE942ELNS1_3gpuE9ELNS1_3repE0EEENS1_30default_config_static_selectorELNS0_4arch9wavefront6targetE0EEEvSK_.private_seg_size, 0
	.set _ZN7rocprim17ROCPRIM_400000_NS6detail17trampoline_kernelINS0_14default_configENS1_36segmented_radix_sort_config_selectorIalEEZNS1_25segmented_radix_sort_implIS3_Lb1EPKaPaPKlPlN2at6native12_GLOBAL__N_18offset_tEEE10hipError_tPvRmT1_PNSt15iterator_traitsISK_E10value_typeET2_T3_PNSL_ISQ_E10value_typeET4_jRbjT5_SW_jjP12ihipStream_tbEUlT_E2_NS1_11comp_targetILNS1_3genE5ELNS1_11target_archE942ELNS1_3gpuE9ELNS1_3repE0EEENS1_30default_config_static_selectorELNS0_4arch9wavefront6targetE0EEEvSK_.uses_vcc, 0
	.set _ZN7rocprim17ROCPRIM_400000_NS6detail17trampoline_kernelINS0_14default_configENS1_36segmented_radix_sort_config_selectorIalEEZNS1_25segmented_radix_sort_implIS3_Lb1EPKaPaPKlPlN2at6native12_GLOBAL__N_18offset_tEEE10hipError_tPvRmT1_PNSt15iterator_traitsISK_E10value_typeET2_T3_PNSL_ISQ_E10value_typeET4_jRbjT5_SW_jjP12ihipStream_tbEUlT_E2_NS1_11comp_targetILNS1_3genE5ELNS1_11target_archE942ELNS1_3gpuE9ELNS1_3repE0EEENS1_30default_config_static_selectorELNS0_4arch9wavefront6targetE0EEEvSK_.uses_flat_scratch, 0
	.set _ZN7rocprim17ROCPRIM_400000_NS6detail17trampoline_kernelINS0_14default_configENS1_36segmented_radix_sort_config_selectorIalEEZNS1_25segmented_radix_sort_implIS3_Lb1EPKaPaPKlPlN2at6native12_GLOBAL__N_18offset_tEEE10hipError_tPvRmT1_PNSt15iterator_traitsISK_E10value_typeET2_T3_PNSL_ISQ_E10value_typeET4_jRbjT5_SW_jjP12ihipStream_tbEUlT_E2_NS1_11comp_targetILNS1_3genE5ELNS1_11target_archE942ELNS1_3gpuE9ELNS1_3repE0EEENS1_30default_config_static_selectorELNS0_4arch9wavefront6targetE0EEEvSK_.has_dyn_sized_stack, 0
	.set _ZN7rocprim17ROCPRIM_400000_NS6detail17trampoline_kernelINS0_14default_configENS1_36segmented_radix_sort_config_selectorIalEEZNS1_25segmented_radix_sort_implIS3_Lb1EPKaPaPKlPlN2at6native12_GLOBAL__N_18offset_tEEE10hipError_tPvRmT1_PNSt15iterator_traitsISK_E10value_typeET2_T3_PNSL_ISQ_E10value_typeET4_jRbjT5_SW_jjP12ihipStream_tbEUlT_E2_NS1_11comp_targetILNS1_3genE5ELNS1_11target_archE942ELNS1_3gpuE9ELNS1_3repE0EEENS1_30default_config_static_selectorELNS0_4arch9wavefront6targetE0EEEvSK_.has_recursion, 0
	.set _ZN7rocprim17ROCPRIM_400000_NS6detail17trampoline_kernelINS0_14default_configENS1_36segmented_radix_sort_config_selectorIalEEZNS1_25segmented_radix_sort_implIS3_Lb1EPKaPaPKlPlN2at6native12_GLOBAL__N_18offset_tEEE10hipError_tPvRmT1_PNSt15iterator_traitsISK_E10value_typeET2_T3_PNSL_ISQ_E10value_typeET4_jRbjT5_SW_jjP12ihipStream_tbEUlT_E2_NS1_11comp_targetILNS1_3genE5ELNS1_11target_archE942ELNS1_3gpuE9ELNS1_3repE0EEENS1_30default_config_static_selectorELNS0_4arch9wavefront6targetE0EEEvSK_.has_indirect_call, 0
	.section	.AMDGPU.csdata,"",@progbits
; Kernel info:
; codeLenInByte = 0
; TotalNumSgprs: 0
; NumVgprs: 0
; ScratchSize: 0
; MemoryBound: 0
; FloatMode: 240
; IeeeMode: 1
; LDSByteSize: 0 bytes/workgroup (compile time only)
; SGPRBlocks: 0
; VGPRBlocks: 0
; NumSGPRsForWavesPerEU: 1
; NumVGPRsForWavesPerEU: 1
; Occupancy: 16
; WaveLimiterHint : 0
; COMPUTE_PGM_RSRC2:SCRATCH_EN: 0
; COMPUTE_PGM_RSRC2:USER_SGPR: 2
; COMPUTE_PGM_RSRC2:TRAP_HANDLER: 0
; COMPUTE_PGM_RSRC2:TGID_X_EN: 1
; COMPUTE_PGM_RSRC2:TGID_Y_EN: 0
; COMPUTE_PGM_RSRC2:TGID_Z_EN: 0
; COMPUTE_PGM_RSRC2:TIDIG_COMP_CNT: 0
	.section	.text._ZN7rocprim17ROCPRIM_400000_NS6detail17trampoline_kernelINS0_14default_configENS1_36segmented_radix_sort_config_selectorIalEEZNS1_25segmented_radix_sort_implIS3_Lb1EPKaPaPKlPlN2at6native12_GLOBAL__N_18offset_tEEE10hipError_tPvRmT1_PNSt15iterator_traitsISK_E10value_typeET2_T3_PNSL_ISQ_E10value_typeET4_jRbjT5_SW_jjP12ihipStream_tbEUlT_E2_NS1_11comp_targetILNS1_3genE4ELNS1_11target_archE910ELNS1_3gpuE8ELNS1_3repE0EEENS1_30default_config_static_selectorELNS0_4arch9wavefront6targetE0EEEvSK_,"axG",@progbits,_ZN7rocprim17ROCPRIM_400000_NS6detail17trampoline_kernelINS0_14default_configENS1_36segmented_radix_sort_config_selectorIalEEZNS1_25segmented_radix_sort_implIS3_Lb1EPKaPaPKlPlN2at6native12_GLOBAL__N_18offset_tEEE10hipError_tPvRmT1_PNSt15iterator_traitsISK_E10value_typeET2_T3_PNSL_ISQ_E10value_typeET4_jRbjT5_SW_jjP12ihipStream_tbEUlT_E2_NS1_11comp_targetILNS1_3genE4ELNS1_11target_archE910ELNS1_3gpuE8ELNS1_3repE0EEENS1_30default_config_static_selectorELNS0_4arch9wavefront6targetE0EEEvSK_,comdat
	.globl	_ZN7rocprim17ROCPRIM_400000_NS6detail17trampoline_kernelINS0_14default_configENS1_36segmented_radix_sort_config_selectorIalEEZNS1_25segmented_radix_sort_implIS3_Lb1EPKaPaPKlPlN2at6native12_GLOBAL__N_18offset_tEEE10hipError_tPvRmT1_PNSt15iterator_traitsISK_E10value_typeET2_T3_PNSL_ISQ_E10value_typeET4_jRbjT5_SW_jjP12ihipStream_tbEUlT_E2_NS1_11comp_targetILNS1_3genE4ELNS1_11target_archE910ELNS1_3gpuE8ELNS1_3repE0EEENS1_30default_config_static_selectorELNS0_4arch9wavefront6targetE0EEEvSK_ ; -- Begin function _ZN7rocprim17ROCPRIM_400000_NS6detail17trampoline_kernelINS0_14default_configENS1_36segmented_radix_sort_config_selectorIalEEZNS1_25segmented_radix_sort_implIS3_Lb1EPKaPaPKlPlN2at6native12_GLOBAL__N_18offset_tEEE10hipError_tPvRmT1_PNSt15iterator_traitsISK_E10value_typeET2_T3_PNSL_ISQ_E10value_typeET4_jRbjT5_SW_jjP12ihipStream_tbEUlT_E2_NS1_11comp_targetILNS1_3genE4ELNS1_11target_archE910ELNS1_3gpuE8ELNS1_3repE0EEENS1_30default_config_static_selectorELNS0_4arch9wavefront6targetE0EEEvSK_
	.p2align	8
	.type	_ZN7rocprim17ROCPRIM_400000_NS6detail17trampoline_kernelINS0_14default_configENS1_36segmented_radix_sort_config_selectorIalEEZNS1_25segmented_radix_sort_implIS3_Lb1EPKaPaPKlPlN2at6native12_GLOBAL__N_18offset_tEEE10hipError_tPvRmT1_PNSt15iterator_traitsISK_E10value_typeET2_T3_PNSL_ISQ_E10value_typeET4_jRbjT5_SW_jjP12ihipStream_tbEUlT_E2_NS1_11comp_targetILNS1_3genE4ELNS1_11target_archE910ELNS1_3gpuE8ELNS1_3repE0EEENS1_30default_config_static_selectorELNS0_4arch9wavefront6targetE0EEEvSK_,@function
_ZN7rocprim17ROCPRIM_400000_NS6detail17trampoline_kernelINS0_14default_configENS1_36segmented_radix_sort_config_selectorIalEEZNS1_25segmented_radix_sort_implIS3_Lb1EPKaPaPKlPlN2at6native12_GLOBAL__N_18offset_tEEE10hipError_tPvRmT1_PNSt15iterator_traitsISK_E10value_typeET2_T3_PNSL_ISQ_E10value_typeET4_jRbjT5_SW_jjP12ihipStream_tbEUlT_E2_NS1_11comp_targetILNS1_3genE4ELNS1_11target_archE910ELNS1_3gpuE8ELNS1_3repE0EEENS1_30default_config_static_selectorELNS0_4arch9wavefront6targetE0EEEvSK_: ; @_ZN7rocprim17ROCPRIM_400000_NS6detail17trampoline_kernelINS0_14default_configENS1_36segmented_radix_sort_config_selectorIalEEZNS1_25segmented_radix_sort_implIS3_Lb1EPKaPaPKlPlN2at6native12_GLOBAL__N_18offset_tEEE10hipError_tPvRmT1_PNSt15iterator_traitsISK_E10value_typeET2_T3_PNSL_ISQ_E10value_typeET4_jRbjT5_SW_jjP12ihipStream_tbEUlT_E2_NS1_11comp_targetILNS1_3genE4ELNS1_11target_archE910ELNS1_3gpuE8ELNS1_3repE0EEENS1_30default_config_static_selectorELNS0_4arch9wavefront6targetE0EEEvSK_
; %bb.0:
	.section	.rodata,"a",@progbits
	.p2align	6, 0x0
	.amdhsa_kernel _ZN7rocprim17ROCPRIM_400000_NS6detail17trampoline_kernelINS0_14default_configENS1_36segmented_radix_sort_config_selectorIalEEZNS1_25segmented_radix_sort_implIS3_Lb1EPKaPaPKlPlN2at6native12_GLOBAL__N_18offset_tEEE10hipError_tPvRmT1_PNSt15iterator_traitsISK_E10value_typeET2_T3_PNSL_ISQ_E10value_typeET4_jRbjT5_SW_jjP12ihipStream_tbEUlT_E2_NS1_11comp_targetILNS1_3genE4ELNS1_11target_archE910ELNS1_3gpuE8ELNS1_3repE0EEENS1_30default_config_static_selectorELNS0_4arch9wavefront6targetE0EEEvSK_
		.amdhsa_group_segment_fixed_size 0
		.amdhsa_private_segment_fixed_size 0
		.amdhsa_kernarg_size 80
		.amdhsa_user_sgpr_count 2
		.amdhsa_user_sgpr_dispatch_ptr 0
		.amdhsa_user_sgpr_queue_ptr 0
		.amdhsa_user_sgpr_kernarg_segment_ptr 1
		.amdhsa_user_sgpr_dispatch_id 0
		.amdhsa_user_sgpr_private_segment_size 0
		.amdhsa_wavefront_size32 1
		.amdhsa_uses_dynamic_stack 0
		.amdhsa_enable_private_segment 0
		.amdhsa_system_sgpr_workgroup_id_x 1
		.amdhsa_system_sgpr_workgroup_id_y 0
		.amdhsa_system_sgpr_workgroup_id_z 0
		.amdhsa_system_sgpr_workgroup_info 0
		.amdhsa_system_vgpr_workitem_id 0
		.amdhsa_next_free_vgpr 1
		.amdhsa_next_free_sgpr 1
		.amdhsa_reserve_vcc 0
		.amdhsa_float_round_mode_32 0
		.amdhsa_float_round_mode_16_64 0
		.amdhsa_float_denorm_mode_32 3
		.amdhsa_float_denorm_mode_16_64 3
		.amdhsa_fp16_overflow 0
		.amdhsa_workgroup_processor_mode 1
		.amdhsa_memory_ordered 1
		.amdhsa_forward_progress 1
		.amdhsa_inst_pref_size 0
		.amdhsa_round_robin_scheduling 0
		.amdhsa_exception_fp_ieee_invalid_op 0
		.amdhsa_exception_fp_denorm_src 0
		.amdhsa_exception_fp_ieee_div_zero 0
		.amdhsa_exception_fp_ieee_overflow 0
		.amdhsa_exception_fp_ieee_underflow 0
		.amdhsa_exception_fp_ieee_inexact 0
		.amdhsa_exception_int_div_zero 0
	.end_amdhsa_kernel
	.section	.text._ZN7rocprim17ROCPRIM_400000_NS6detail17trampoline_kernelINS0_14default_configENS1_36segmented_radix_sort_config_selectorIalEEZNS1_25segmented_radix_sort_implIS3_Lb1EPKaPaPKlPlN2at6native12_GLOBAL__N_18offset_tEEE10hipError_tPvRmT1_PNSt15iterator_traitsISK_E10value_typeET2_T3_PNSL_ISQ_E10value_typeET4_jRbjT5_SW_jjP12ihipStream_tbEUlT_E2_NS1_11comp_targetILNS1_3genE4ELNS1_11target_archE910ELNS1_3gpuE8ELNS1_3repE0EEENS1_30default_config_static_selectorELNS0_4arch9wavefront6targetE0EEEvSK_,"axG",@progbits,_ZN7rocprim17ROCPRIM_400000_NS6detail17trampoline_kernelINS0_14default_configENS1_36segmented_radix_sort_config_selectorIalEEZNS1_25segmented_radix_sort_implIS3_Lb1EPKaPaPKlPlN2at6native12_GLOBAL__N_18offset_tEEE10hipError_tPvRmT1_PNSt15iterator_traitsISK_E10value_typeET2_T3_PNSL_ISQ_E10value_typeET4_jRbjT5_SW_jjP12ihipStream_tbEUlT_E2_NS1_11comp_targetILNS1_3genE4ELNS1_11target_archE910ELNS1_3gpuE8ELNS1_3repE0EEENS1_30default_config_static_selectorELNS0_4arch9wavefront6targetE0EEEvSK_,comdat
.Lfunc_end322:
	.size	_ZN7rocprim17ROCPRIM_400000_NS6detail17trampoline_kernelINS0_14default_configENS1_36segmented_radix_sort_config_selectorIalEEZNS1_25segmented_radix_sort_implIS3_Lb1EPKaPaPKlPlN2at6native12_GLOBAL__N_18offset_tEEE10hipError_tPvRmT1_PNSt15iterator_traitsISK_E10value_typeET2_T3_PNSL_ISQ_E10value_typeET4_jRbjT5_SW_jjP12ihipStream_tbEUlT_E2_NS1_11comp_targetILNS1_3genE4ELNS1_11target_archE910ELNS1_3gpuE8ELNS1_3repE0EEENS1_30default_config_static_selectorELNS0_4arch9wavefront6targetE0EEEvSK_, .Lfunc_end322-_ZN7rocprim17ROCPRIM_400000_NS6detail17trampoline_kernelINS0_14default_configENS1_36segmented_radix_sort_config_selectorIalEEZNS1_25segmented_radix_sort_implIS3_Lb1EPKaPaPKlPlN2at6native12_GLOBAL__N_18offset_tEEE10hipError_tPvRmT1_PNSt15iterator_traitsISK_E10value_typeET2_T3_PNSL_ISQ_E10value_typeET4_jRbjT5_SW_jjP12ihipStream_tbEUlT_E2_NS1_11comp_targetILNS1_3genE4ELNS1_11target_archE910ELNS1_3gpuE8ELNS1_3repE0EEENS1_30default_config_static_selectorELNS0_4arch9wavefront6targetE0EEEvSK_
                                        ; -- End function
	.set _ZN7rocprim17ROCPRIM_400000_NS6detail17trampoline_kernelINS0_14default_configENS1_36segmented_radix_sort_config_selectorIalEEZNS1_25segmented_radix_sort_implIS3_Lb1EPKaPaPKlPlN2at6native12_GLOBAL__N_18offset_tEEE10hipError_tPvRmT1_PNSt15iterator_traitsISK_E10value_typeET2_T3_PNSL_ISQ_E10value_typeET4_jRbjT5_SW_jjP12ihipStream_tbEUlT_E2_NS1_11comp_targetILNS1_3genE4ELNS1_11target_archE910ELNS1_3gpuE8ELNS1_3repE0EEENS1_30default_config_static_selectorELNS0_4arch9wavefront6targetE0EEEvSK_.num_vgpr, 0
	.set _ZN7rocprim17ROCPRIM_400000_NS6detail17trampoline_kernelINS0_14default_configENS1_36segmented_radix_sort_config_selectorIalEEZNS1_25segmented_radix_sort_implIS3_Lb1EPKaPaPKlPlN2at6native12_GLOBAL__N_18offset_tEEE10hipError_tPvRmT1_PNSt15iterator_traitsISK_E10value_typeET2_T3_PNSL_ISQ_E10value_typeET4_jRbjT5_SW_jjP12ihipStream_tbEUlT_E2_NS1_11comp_targetILNS1_3genE4ELNS1_11target_archE910ELNS1_3gpuE8ELNS1_3repE0EEENS1_30default_config_static_selectorELNS0_4arch9wavefront6targetE0EEEvSK_.num_agpr, 0
	.set _ZN7rocprim17ROCPRIM_400000_NS6detail17trampoline_kernelINS0_14default_configENS1_36segmented_radix_sort_config_selectorIalEEZNS1_25segmented_radix_sort_implIS3_Lb1EPKaPaPKlPlN2at6native12_GLOBAL__N_18offset_tEEE10hipError_tPvRmT1_PNSt15iterator_traitsISK_E10value_typeET2_T3_PNSL_ISQ_E10value_typeET4_jRbjT5_SW_jjP12ihipStream_tbEUlT_E2_NS1_11comp_targetILNS1_3genE4ELNS1_11target_archE910ELNS1_3gpuE8ELNS1_3repE0EEENS1_30default_config_static_selectorELNS0_4arch9wavefront6targetE0EEEvSK_.numbered_sgpr, 0
	.set _ZN7rocprim17ROCPRIM_400000_NS6detail17trampoline_kernelINS0_14default_configENS1_36segmented_radix_sort_config_selectorIalEEZNS1_25segmented_radix_sort_implIS3_Lb1EPKaPaPKlPlN2at6native12_GLOBAL__N_18offset_tEEE10hipError_tPvRmT1_PNSt15iterator_traitsISK_E10value_typeET2_T3_PNSL_ISQ_E10value_typeET4_jRbjT5_SW_jjP12ihipStream_tbEUlT_E2_NS1_11comp_targetILNS1_3genE4ELNS1_11target_archE910ELNS1_3gpuE8ELNS1_3repE0EEENS1_30default_config_static_selectorELNS0_4arch9wavefront6targetE0EEEvSK_.num_named_barrier, 0
	.set _ZN7rocprim17ROCPRIM_400000_NS6detail17trampoline_kernelINS0_14default_configENS1_36segmented_radix_sort_config_selectorIalEEZNS1_25segmented_radix_sort_implIS3_Lb1EPKaPaPKlPlN2at6native12_GLOBAL__N_18offset_tEEE10hipError_tPvRmT1_PNSt15iterator_traitsISK_E10value_typeET2_T3_PNSL_ISQ_E10value_typeET4_jRbjT5_SW_jjP12ihipStream_tbEUlT_E2_NS1_11comp_targetILNS1_3genE4ELNS1_11target_archE910ELNS1_3gpuE8ELNS1_3repE0EEENS1_30default_config_static_selectorELNS0_4arch9wavefront6targetE0EEEvSK_.private_seg_size, 0
	.set _ZN7rocprim17ROCPRIM_400000_NS6detail17trampoline_kernelINS0_14default_configENS1_36segmented_radix_sort_config_selectorIalEEZNS1_25segmented_radix_sort_implIS3_Lb1EPKaPaPKlPlN2at6native12_GLOBAL__N_18offset_tEEE10hipError_tPvRmT1_PNSt15iterator_traitsISK_E10value_typeET2_T3_PNSL_ISQ_E10value_typeET4_jRbjT5_SW_jjP12ihipStream_tbEUlT_E2_NS1_11comp_targetILNS1_3genE4ELNS1_11target_archE910ELNS1_3gpuE8ELNS1_3repE0EEENS1_30default_config_static_selectorELNS0_4arch9wavefront6targetE0EEEvSK_.uses_vcc, 0
	.set _ZN7rocprim17ROCPRIM_400000_NS6detail17trampoline_kernelINS0_14default_configENS1_36segmented_radix_sort_config_selectorIalEEZNS1_25segmented_radix_sort_implIS3_Lb1EPKaPaPKlPlN2at6native12_GLOBAL__N_18offset_tEEE10hipError_tPvRmT1_PNSt15iterator_traitsISK_E10value_typeET2_T3_PNSL_ISQ_E10value_typeET4_jRbjT5_SW_jjP12ihipStream_tbEUlT_E2_NS1_11comp_targetILNS1_3genE4ELNS1_11target_archE910ELNS1_3gpuE8ELNS1_3repE0EEENS1_30default_config_static_selectorELNS0_4arch9wavefront6targetE0EEEvSK_.uses_flat_scratch, 0
	.set _ZN7rocprim17ROCPRIM_400000_NS6detail17trampoline_kernelINS0_14default_configENS1_36segmented_radix_sort_config_selectorIalEEZNS1_25segmented_radix_sort_implIS3_Lb1EPKaPaPKlPlN2at6native12_GLOBAL__N_18offset_tEEE10hipError_tPvRmT1_PNSt15iterator_traitsISK_E10value_typeET2_T3_PNSL_ISQ_E10value_typeET4_jRbjT5_SW_jjP12ihipStream_tbEUlT_E2_NS1_11comp_targetILNS1_3genE4ELNS1_11target_archE910ELNS1_3gpuE8ELNS1_3repE0EEENS1_30default_config_static_selectorELNS0_4arch9wavefront6targetE0EEEvSK_.has_dyn_sized_stack, 0
	.set _ZN7rocprim17ROCPRIM_400000_NS6detail17trampoline_kernelINS0_14default_configENS1_36segmented_radix_sort_config_selectorIalEEZNS1_25segmented_radix_sort_implIS3_Lb1EPKaPaPKlPlN2at6native12_GLOBAL__N_18offset_tEEE10hipError_tPvRmT1_PNSt15iterator_traitsISK_E10value_typeET2_T3_PNSL_ISQ_E10value_typeET4_jRbjT5_SW_jjP12ihipStream_tbEUlT_E2_NS1_11comp_targetILNS1_3genE4ELNS1_11target_archE910ELNS1_3gpuE8ELNS1_3repE0EEENS1_30default_config_static_selectorELNS0_4arch9wavefront6targetE0EEEvSK_.has_recursion, 0
	.set _ZN7rocprim17ROCPRIM_400000_NS6detail17trampoline_kernelINS0_14default_configENS1_36segmented_radix_sort_config_selectorIalEEZNS1_25segmented_radix_sort_implIS3_Lb1EPKaPaPKlPlN2at6native12_GLOBAL__N_18offset_tEEE10hipError_tPvRmT1_PNSt15iterator_traitsISK_E10value_typeET2_T3_PNSL_ISQ_E10value_typeET4_jRbjT5_SW_jjP12ihipStream_tbEUlT_E2_NS1_11comp_targetILNS1_3genE4ELNS1_11target_archE910ELNS1_3gpuE8ELNS1_3repE0EEENS1_30default_config_static_selectorELNS0_4arch9wavefront6targetE0EEEvSK_.has_indirect_call, 0
	.section	.AMDGPU.csdata,"",@progbits
; Kernel info:
; codeLenInByte = 0
; TotalNumSgprs: 0
; NumVgprs: 0
; ScratchSize: 0
; MemoryBound: 0
; FloatMode: 240
; IeeeMode: 1
; LDSByteSize: 0 bytes/workgroup (compile time only)
; SGPRBlocks: 0
; VGPRBlocks: 0
; NumSGPRsForWavesPerEU: 1
; NumVGPRsForWavesPerEU: 1
; Occupancy: 16
; WaveLimiterHint : 0
; COMPUTE_PGM_RSRC2:SCRATCH_EN: 0
; COMPUTE_PGM_RSRC2:USER_SGPR: 2
; COMPUTE_PGM_RSRC2:TRAP_HANDLER: 0
; COMPUTE_PGM_RSRC2:TGID_X_EN: 1
; COMPUTE_PGM_RSRC2:TGID_Y_EN: 0
; COMPUTE_PGM_RSRC2:TGID_Z_EN: 0
; COMPUTE_PGM_RSRC2:TIDIG_COMP_CNT: 0
	.section	.text._ZN7rocprim17ROCPRIM_400000_NS6detail17trampoline_kernelINS0_14default_configENS1_36segmented_radix_sort_config_selectorIalEEZNS1_25segmented_radix_sort_implIS3_Lb1EPKaPaPKlPlN2at6native12_GLOBAL__N_18offset_tEEE10hipError_tPvRmT1_PNSt15iterator_traitsISK_E10value_typeET2_T3_PNSL_ISQ_E10value_typeET4_jRbjT5_SW_jjP12ihipStream_tbEUlT_E2_NS1_11comp_targetILNS1_3genE3ELNS1_11target_archE908ELNS1_3gpuE7ELNS1_3repE0EEENS1_30default_config_static_selectorELNS0_4arch9wavefront6targetE0EEEvSK_,"axG",@progbits,_ZN7rocprim17ROCPRIM_400000_NS6detail17trampoline_kernelINS0_14default_configENS1_36segmented_radix_sort_config_selectorIalEEZNS1_25segmented_radix_sort_implIS3_Lb1EPKaPaPKlPlN2at6native12_GLOBAL__N_18offset_tEEE10hipError_tPvRmT1_PNSt15iterator_traitsISK_E10value_typeET2_T3_PNSL_ISQ_E10value_typeET4_jRbjT5_SW_jjP12ihipStream_tbEUlT_E2_NS1_11comp_targetILNS1_3genE3ELNS1_11target_archE908ELNS1_3gpuE7ELNS1_3repE0EEENS1_30default_config_static_selectorELNS0_4arch9wavefront6targetE0EEEvSK_,comdat
	.globl	_ZN7rocprim17ROCPRIM_400000_NS6detail17trampoline_kernelINS0_14default_configENS1_36segmented_radix_sort_config_selectorIalEEZNS1_25segmented_radix_sort_implIS3_Lb1EPKaPaPKlPlN2at6native12_GLOBAL__N_18offset_tEEE10hipError_tPvRmT1_PNSt15iterator_traitsISK_E10value_typeET2_T3_PNSL_ISQ_E10value_typeET4_jRbjT5_SW_jjP12ihipStream_tbEUlT_E2_NS1_11comp_targetILNS1_3genE3ELNS1_11target_archE908ELNS1_3gpuE7ELNS1_3repE0EEENS1_30default_config_static_selectorELNS0_4arch9wavefront6targetE0EEEvSK_ ; -- Begin function _ZN7rocprim17ROCPRIM_400000_NS6detail17trampoline_kernelINS0_14default_configENS1_36segmented_radix_sort_config_selectorIalEEZNS1_25segmented_radix_sort_implIS3_Lb1EPKaPaPKlPlN2at6native12_GLOBAL__N_18offset_tEEE10hipError_tPvRmT1_PNSt15iterator_traitsISK_E10value_typeET2_T3_PNSL_ISQ_E10value_typeET4_jRbjT5_SW_jjP12ihipStream_tbEUlT_E2_NS1_11comp_targetILNS1_3genE3ELNS1_11target_archE908ELNS1_3gpuE7ELNS1_3repE0EEENS1_30default_config_static_selectorELNS0_4arch9wavefront6targetE0EEEvSK_
	.p2align	8
	.type	_ZN7rocprim17ROCPRIM_400000_NS6detail17trampoline_kernelINS0_14default_configENS1_36segmented_radix_sort_config_selectorIalEEZNS1_25segmented_radix_sort_implIS3_Lb1EPKaPaPKlPlN2at6native12_GLOBAL__N_18offset_tEEE10hipError_tPvRmT1_PNSt15iterator_traitsISK_E10value_typeET2_T3_PNSL_ISQ_E10value_typeET4_jRbjT5_SW_jjP12ihipStream_tbEUlT_E2_NS1_11comp_targetILNS1_3genE3ELNS1_11target_archE908ELNS1_3gpuE7ELNS1_3repE0EEENS1_30default_config_static_selectorELNS0_4arch9wavefront6targetE0EEEvSK_,@function
_ZN7rocprim17ROCPRIM_400000_NS6detail17trampoline_kernelINS0_14default_configENS1_36segmented_radix_sort_config_selectorIalEEZNS1_25segmented_radix_sort_implIS3_Lb1EPKaPaPKlPlN2at6native12_GLOBAL__N_18offset_tEEE10hipError_tPvRmT1_PNSt15iterator_traitsISK_E10value_typeET2_T3_PNSL_ISQ_E10value_typeET4_jRbjT5_SW_jjP12ihipStream_tbEUlT_E2_NS1_11comp_targetILNS1_3genE3ELNS1_11target_archE908ELNS1_3gpuE7ELNS1_3repE0EEENS1_30default_config_static_selectorELNS0_4arch9wavefront6targetE0EEEvSK_: ; @_ZN7rocprim17ROCPRIM_400000_NS6detail17trampoline_kernelINS0_14default_configENS1_36segmented_radix_sort_config_selectorIalEEZNS1_25segmented_radix_sort_implIS3_Lb1EPKaPaPKlPlN2at6native12_GLOBAL__N_18offset_tEEE10hipError_tPvRmT1_PNSt15iterator_traitsISK_E10value_typeET2_T3_PNSL_ISQ_E10value_typeET4_jRbjT5_SW_jjP12ihipStream_tbEUlT_E2_NS1_11comp_targetILNS1_3genE3ELNS1_11target_archE908ELNS1_3gpuE7ELNS1_3repE0EEENS1_30default_config_static_selectorELNS0_4arch9wavefront6targetE0EEEvSK_
; %bb.0:
	.section	.rodata,"a",@progbits
	.p2align	6, 0x0
	.amdhsa_kernel _ZN7rocprim17ROCPRIM_400000_NS6detail17trampoline_kernelINS0_14default_configENS1_36segmented_radix_sort_config_selectorIalEEZNS1_25segmented_radix_sort_implIS3_Lb1EPKaPaPKlPlN2at6native12_GLOBAL__N_18offset_tEEE10hipError_tPvRmT1_PNSt15iterator_traitsISK_E10value_typeET2_T3_PNSL_ISQ_E10value_typeET4_jRbjT5_SW_jjP12ihipStream_tbEUlT_E2_NS1_11comp_targetILNS1_3genE3ELNS1_11target_archE908ELNS1_3gpuE7ELNS1_3repE0EEENS1_30default_config_static_selectorELNS0_4arch9wavefront6targetE0EEEvSK_
		.amdhsa_group_segment_fixed_size 0
		.amdhsa_private_segment_fixed_size 0
		.amdhsa_kernarg_size 80
		.amdhsa_user_sgpr_count 2
		.amdhsa_user_sgpr_dispatch_ptr 0
		.amdhsa_user_sgpr_queue_ptr 0
		.amdhsa_user_sgpr_kernarg_segment_ptr 1
		.amdhsa_user_sgpr_dispatch_id 0
		.amdhsa_user_sgpr_private_segment_size 0
		.amdhsa_wavefront_size32 1
		.amdhsa_uses_dynamic_stack 0
		.amdhsa_enable_private_segment 0
		.amdhsa_system_sgpr_workgroup_id_x 1
		.amdhsa_system_sgpr_workgroup_id_y 0
		.amdhsa_system_sgpr_workgroup_id_z 0
		.amdhsa_system_sgpr_workgroup_info 0
		.amdhsa_system_vgpr_workitem_id 0
		.amdhsa_next_free_vgpr 1
		.amdhsa_next_free_sgpr 1
		.amdhsa_reserve_vcc 0
		.amdhsa_float_round_mode_32 0
		.amdhsa_float_round_mode_16_64 0
		.amdhsa_float_denorm_mode_32 3
		.amdhsa_float_denorm_mode_16_64 3
		.amdhsa_fp16_overflow 0
		.amdhsa_workgroup_processor_mode 1
		.amdhsa_memory_ordered 1
		.amdhsa_forward_progress 1
		.amdhsa_inst_pref_size 0
		.amdhsa_round_robin_scheduling 0
		.amdhsa_exception_fp_ieee_invalid_op 0
		.amdhsa_exception_fp_denorm_src 0
		.amdhsa_exception_fp_ieee_div_zero 0
		.amdhsa_exception_fp_ieee_overflow 0
		.amdhsa_exception_fp_ieee_underflow 0
		.amdhsa_exception_fp_ieee_inexact 0
		.amdhsa_exception_int_div_zero 0
	.end_amdhsa_kernel
	.section	.text._ZN7rocprim17ROCPRIM_400000_NS6detail17trampoline_kernelINS0_14default_configENS1_36segmented_radix_sort_config_selectorIalEEZNS1_25segmented_radix_sort_implIS3_Lb1EPKaPaPKlPlN2at6native12_GLOBAL__N_18offset_tEEE10hipError_tPvRmT1_PNSt15iterator_traitsISK_E10value_typeET2_T3_PNSL_ISQ_E10value_typeET4_jRbjT5_SW_jjP12ihipStream_tbEUlT_E2_NS1_11comp_targetILNS1_3genE3ELNS1_11target_archE908ELNS1_3gpuE7ELNS1_3repE0EEENS1_30default_config_static_selectorELNS0_4arch9wavefront6targetE0EEEvSK_,"axG",@progbits,_ZN7rocprim17ROCPRIM_400000_NS6detail17trampoline_kernelINS0_14default_configENS1_36segmented_radix_sort_config_selectorIalEEZNS1_25segmented_radix_sort_implIS3_Lb1EPKaPaPKlPlN2at6native12_GLOBAL__N_18offset_tEEE10hipError_tPvRmT1_PNSt15iterator_traitsISK_E10value_typeET2_T3_PNSL_ISQ_E10value_typeET4_jRbjT5_SW_jjP12ihipStream_tbEUlT_E2_NS1_11comp_targetILNS1_3genE3ELNS1_11target_archE908ELNS1_3gpuE7ELNS1_3repE0EEENS1_30default_config_static_selectorELNS0_4arch9wavefront6targetE0EEEvSK_,comdat
.Lfunc_end323:
	.size	_ZN7rocprim17ROCPRIM_400000_NS6detail17trampoline_kernelINS0_14default_configENS1_36segmented_radix_sort_config_selectorIalEEZNS1_25segmented_radix_sort_implIS3_Lb1EPKaPaPKlPlN2at6native12_GLOBAL__N_18offset_tEEE10hipError_tPvRmT1_PNSt15iterator_traitsISK_E10value_typeET2_T3_PNSL_ISQ_E10value_typeET4_jRbjT5_SW_jjP12ihipStream_tbEUlT_E2_NS1_11comp_targetILNS1_3genE3ELNS1_11target_archE908ELNS1_3gpuE7ELNS1_3repE0EEENS1_30default_config_static_selectorELNS0_4arch9wavefront6targetE0EEEvSK_, .Lfunc_end323-_ZN7rocprim17ROCPRIM_400000_NS6detail17trampoline_kernelINS0_14default_configENS1_36segmented_radix_sort_config_selectorIalEEZNS1_25segmented_radix_sort_implIS3_Lb1EPKaPaPKlPlN2at6native12_GLOBAL__N_18offset_tEEE10hipError_tPvRmT1_PNSt15iterator_traitsISK_E10value_typeET2_T3_PNSL_ISQ_E10value_typeET4_jRbjT5_SW_jjP12ihipStream_tbEUlT_E2_NS1_11comp_targetILNS1_3genE3ELNS1_11target_archE908ELNS1_3gpuE7ELNS1_3repE0EEENS1_30default_config_static_selectorELNS0_4arch9wavefront6targetE0EEEvSK_
                                        ; -- End function
	.set _ZN7rocprim17ROCPRIM_400000_NS6detail17trampoline_kernelINS0_14default_configENS1_36segmented_radix_sort_config_selectorIalEEZNS1_25segmented_radix_sort_implIS3_Lb1EPKaPaPKlPlN2at6native12_GLOBAL__N_18offset_tEEE10hipError_tPvRmT1_PNSt15iterator_traitsISK_E10value_typeET2_T3_PNSL_ISQ_E10value_typeET4_jRbjT5_SW_jjP12ihipStream_tbEUlT_E2_NS1_11comp_targetILNS1_3genE3ELNS1_11target_archE908ELNS1_3gpuE7ELNS1_3repE0EEENS1_30default_config_static_selectorELNS0_4arch9wavefront6targetE0EEEvSK_.num_vgpr, 0
	.set _ZN7rocprim17ROCPRIM_400000_NS6detail17trampoline_kernelINS0_14default_configENS1_36segmented_radix_sort_config_selectorIalEEZNS1_25segmented_radix_sort_implIS3_Lb1EPKaPaPKlPlN2at6native12_GLOBAL__N_18offset_tEEE10hipError_tPvRmT1_PNSt15iterator_traitsISK_E10value_typeET2_T3_PNSL_ISQ_E10value_typeET4_jRbjT5_SW_jjP12ihipStream_tbEUlT_E2_NS1_11comp_targetILNS1_3genE3ELNS1_11target_archE908ELNS1_3gpuE7ELNS1_3repE0EEENS1_30default_config_static_selectorELNS0_4arch9wavefront6targetE0EEEvSK_.num_agpr, 0
	.set _ZN7rocprim17ROCPRIM_400000_NS6detail17trampoline_kernelINS0_14default_configENS1_36segmented_radix_sort_config_selectorIalEEZNS1_25segmented_radix_sort_implIS3_Lb1EPKaPaPKlPlN2at6native12_GLOBAL__N_18offset_tEEE10hipError_tPvRmT1_PNSt15iterator_traitsISK_E10value_typeET2_T3_PNSL_ISQ_E10value_typeET4_jRbjT5_SW_jjP12ihipStream_tbEUlT_E2_NS1_11comp_targetILNS1_3genE3ELNS1_11target_archE908ELNS1_3gpuE7ELNS1_3repE0EEENS1_30default_config_static_selectorELNS0_4arch9wavefront6targetE0EEEvSK_.numbered_sgpr, 0
	.set _ZN7rocprim17ROCPRIM_400000_NS6detail17trampoline_kernelINS0_14default_configENS1_36segmented_radix_sort_config_selectorIalEEZNS1_25segmented_radix_sort_implIS3_Lb1EPKaPaPKlPlN2at6native12_GLOBAL__N_18offset_tEEE10hipError_tPvRmT1_PNSt15iterator_traitsISK_E10value_typeET2_T3_PNSL_ISQ_E10value_typeET4_jRbjT5_SW_jjP12ihipStream_tbEUlT_E2_NS1_11comp_targetILNS1_3genE3ELNS1_11target_archE908ELNS1_3gpuE7ELNS1_3repE0EEENS1_30default_config_static_selectorELNS0_4arch9wavefront6targetE0EEEvSK_.num_named_barrier, 0
	.set _ZN7rocprim17ROCPRIM_400000_NS6detail17trampoline_kernelINS0_14default_configENS1_36segmented_radix_sort_config_selectorIalEEZNS1_25segmented_radix_sort_implIS3_Lb1EPKaPaPKlPlN2at6native12_GLOBAL__N_18offset_tEEE10hipError_tPvRmT1_PNSt15iterator_traitsISK_E10value_typeET2_T3_PNSL_ISQ_E10value_typeET4_jRbjT5_SW_jjP12ihipStream_tbEUlT_E2_NS1_11comp_targetILNS1_3genE3ELNS1_11target_archE908ELNS1_3gpuE7ELNS1_3repE0EEENS1_30default_config_static_selectorELNS0_4arch9wavefront6targetE0EEEvSK_.private_seg_size, 0
	.set _ZN7rocprim17ROCPRIM_400000_NS6detail17trampoline_kernelINS0_14default_configENS1_36segmented_radix_sort_config_selectorIalEEZNS1_25segmented_radix_sort_implIS3_Lb1EPKaPaPKlPlN2at6native12_GLOBAL__N_18offset_tEEE10hipError_tPvRmT1_PNSt15iterator_traitsISK_E10value_typeET2_T3_PNSL_ISQ_E10value_typeET4_jRbjT5_SW_jjP12ihipStream_tbEUlT_E2_NS1_11comp_targetILNS1_3genE3ELNS1_11target_archE908ELNS1_3gpuE7ELNS1_3repE0EEENS1_30default_config_static_selectorELNS0_4arch9wavefront6targetE0EEEvSK_.uses_vcc, 0
	.set _ZN7rocprim17ROCPRIM_400000_NS6detail17trampoline_kernelINS0_14default_configENS1_36segmented_radix_sort_config_selectorIalEEZNS1_25segmented_radix_sort_implIS3_Lb1EPKaPaPKlPlN2at6native12_GLOBAL__N_18offset_tEEE10hipError_tPvRmT1_PNSt15iterator_traitsISK_E10value_typeET2_T3_PNSL_ISQ_E10value_typeET4_jRbjT5_SW_jjP12ihipStream_tbEUlT_E2_NS1_11comp_targetILNS1_3genE3ELNS1_11target_archE908ELNS1_3gpuE7ELNS1_3repE0EEENS1_30default_config_static_selectorELNS0_4arch9wavefront6targetE0EEEvSK_.uses_flat_scratch, 0
	.set _ZN7rocprim17ROCPRIM_400000_NS6detail17trampoline_kernelINS0_14default_configENS1_36segmented_radix_sort_config_selectorIalEEZNS1_25segmented_radix_sort_implIS3_Lb1EPKaPaPKlPlN2at6native12_GLOBAL__N_18offset_tEEE10hipError_tPvRmT1_PNSt15iterator_traitsISK_E10value_typeET2_T3_PNSL_ISQ_E10value_typeET4_jRbjT5_SW_jjP12ihipStream_tbEUlT_E2_NS1_11comp_targetILNS1_3genE3ELNS1_11target_archE908ELNS1_3gpuE7ELNS1_3repE0EEENS1_30default_config_static_selectorELNS0_4arch9wavefront6targetE0EEEvSK_.has_dyn_sized_stack, 0
	.set _ZN7rocprim17ROCPRIM_400000_NS6detail17trampoline_kernelINS0_14default_configENS1_36segmented_radix_sort_config_selectorIalEEZNS1_25segmented_radix_sort_implIS3_Lb1EPKaPaPKlPlN2at6native12_GLOBAL__N_18offset_tEEE10hipError_tPvRmT1_PNSt15iterator_traitsISK_E10value_typeET2_T3_PNSL_ISQ_E10value_typeET4_jRbjT5_SW_jjP12ihipStream_tbEUlT_E2_NS1_11comp_targetILNS1_3genE3ELNS1_11target_archE908ELNS1_3gpuE7ELNS1_3repE0EEENS1_30default_config_static_selectorELNS0_4arch9wavefront6targetE0EEEvSK_.has_recursion, 0
	.set _ZN7rocprim17ROCPRIM_400000_NS6detail17trampoline_kernelINS0_14default_configENS1_36segmented_radix_sort_config_selectorIalEEZNS1_25segmented_radix_sort_implIS3_Lb1EPKaPaPKlPlN2at6native12_GLOBAL__N_18offset_tEEE10hipError_tPvRmT1_PNSt15iterator_traitsISK_E10value_typeET2_T3_PNSL_ISQ_E10value_typeET4_jRbjT5_SW_jjP12ihipStream_tbEUlT_E2_NS1_11comp_targetILNS1_3genE3ELNS1_11target_archE908ELNS1_3gpuE7ELNS1_3repE0EEENS1_30default_config_static_selectorELNS0_4arch9wavefront6targetE0EEEvSK_.has_indirect_call, 0
	.section	.AMDGPU.csdata,"",@progbits
; Kernel info:
; codeLenInByte = 0
; TotalNumSgprs: 0
; NumVgprs: 0
; ScratchSize: 0
; MemoryBound: 0
; FloatMode: 240
; IeeeMode: 1
; LDSByteSize: 0 bytes/workgroup (compile time only)
; SGPRBlocks: 0
; VGPRBlocks: 0
; NumSGPRsForWavesPerEU: 1
; NumVGPRsForWavesPerEU: 1
; Occupancy: 16
; WaveLimiterHint : 0
; COMPUTE_PGM_RSRC2:SCRATCH_EN: 0
; COMPUTE_PGM_RSRC2:USER_SGPR: 2
; COMPUTE_PGM_RSRC2:TRAP_HANDLER: 0
; COMPUTE_PGM_RSRC2:TGID_X_EN: 1
; COMPUTE_PGM_RSRC2:TGID_Y_EN: 0
; COMPUTE_PGM_RSRC2:TGID_Z_EN: 0
; COMPUTE_PGM_RSRC2:TIDIG_COMP_CNT: 0
	.section	.text._ZN7rocprim17ROCPRIM_400000_NS6detail17trampoline_kernelINS0_14default_configENS1_36segmented_radix_sort_config_selectorIalEEZNS1_25segmented_radix_sort_implIS3_Lb1EPKaPaPKlPlN2at6native12_GLOBAL__N_18offset_tEEE10hipError_tPvRmT1_PNSt15iterator_traitsISK_E10value_typeET2_T3_PNSL_ISQ_E10value_typeET4_jRbjT5_SW_jjP12ihipStream_tbEUlT_E2_NS1_11comp_targetILNS1_3genE2ELNS1_11target_archE906ELNS1_3gpuE6ELNS1_3repE0EEENS1_30default_config_static_selectorELNS0_4arch9wavefront6targetE0EEEvSK_,"axG",@progbits,_ZN7rocprim17ROCPRIM_400000_NS6detail17trampoline_kernelINS0_14default_configENS1_36segmented_radix_sort_config_selectorIalEEZNS1_25segmented_radix_sort_implIS3_Lb1EPKaPaPKlPlN2at6native12_GLOBAL__N_18offset_tEEE10hipError_tPvRmT1_PNSt15iterator_traitsISK_E10value_typeET2_T3_PNSL_ISQ_E10value_typeET4_jRbjT5_SW_jjP12ihipStream_tbEUlT_E2_NS1_11comp_targetILNS1_3genE2ELNS1_11target_archE906ELNS1_3gpuE6ELNS1_3repE0EEENS1_30default_config_static_selectorELNS0_4arch9wavefront6targetE0EEEvSK_,comdat
	.globl	_ZN7rocprim17ROCPRIM_400000_NS6detail17trampoline_kernelINS0_14default_configENS1_36segmented_radix_sort_config_selectorIalEEZNS1_25segmented_radix_sort_implIS3_Lb1EPKaPaPKlPlN2at6native12_GLOBAL__N_18offset_tEEE10hipError_tPvRmT1_PNSt15iterator_traitsISK_E10value_typeET2_T3_PNSL_ISQ_E10value_typeET4_jRbjT5_SW_jjP12ihipStream_tbEUlT_E2_NS1_11comp_targetILNS1_3genE2ELNS1_11target_archE906ELNS1_3gpuE6ELNS1_3repE0EEENS1_30default_config_static_selectorELNS0_4arch9wavefront6targetE0EEEvSK_ ; -- Begin function _ZN7rocprim17ROCPRIM_400000_NS6detail17trampoline_kernelINS0_14default_configENS1_36segmented_radix_sort_config_selectorIalEEZNS1_25segmented_radix_sort_implIS3_Lb1EPKaPaPKlPlN2at6native12_GLOBAL__N_18offset_tEEE10hipError_tPvRmT1_PNSt15iterator_traitsISK_E10value_typeET2_T3_PNSL_ISQ_E10value_typeET4_jRbjT5_SW_jjP12ihipStream_tbEUlT_E2_NS1_11comp_targetILNS1_3genE2ELNS1_11target_archE906ELNS1_3gpuE6ELNS1_3repE0EEENS1_30default_config_static_selectorELNS0_4arch9wavefront6targetE0EEEvSK_
	.p2align	8
	.type	_ZN7rocprim17ROCPRIM_400000_NS6detail17trampoline_kernelINS0_14default_configENS1_36segmented_radix_sort_config_selectorIalEEZNS1_25segmented_radix_sort_implIS3_Lb1EPKaPaPKlPlN2at6native12_GLOBAL__N_18offset_tEEE10hipError_tPvRmT1_PNSt15iterator_traitsISK_E10value_typeET2_T3_PNSL_ISQ_E10value_typeET4_jRbjT5_SW_jjP12ihipStream_tbEUlT_E2_NS1_11comp_targetILNS1_3genE2ELNS1_11target_archE906ELNS1_3gpuE6ELNS1_3repE0EEENS1_30default_config_static_selectorELNS0_4arch9wavefront6targetE0EEEvSK_,@function
_ZN7rocprim17ROCPRIM_400000_NS6detail17trampoline_kernelINS0_14default_configENS1_36segmented_radix_sort_config_selectorIalEEZNS1_25segmented_radix_sort_implIS3_Lb1EPKaPaPKlPlN2at6native12_GLOBAL__N_18offset_tEEE10hipError_tPvRmT1_PNSt15iterator_traitsISK_E10value_typeET2_T3_PNSL_ISQ_E10value_typeET4_jRbjT5_SW_jjP12ihipStream_tbEUlT_E2_NS1_11comp_targetILNS1_3genE2ELNS1_11target_archE906ELNS1_3gpuE6ELNS1_3repE0EEENS1_30default_config_static_selectorELNS0_4arch9wavefront6targetE0EEEvSK_: ; @_ZN7rocprim17ROCPRIM_400000_NS6detail17trampoline_kernelINS0_14default_configENS1_36segmented_radix_sort_config_selectorIalEEZNS1_25segmented_radix_sort_implIS3_Lb1EPKaPaPKlPlN2at6native12_GLOBAL__N_18offset_tEEE10hipError_tPvRmT1_PNSt15iterator_traitsISK_E10value_typeET2_T3_PNSL_ISQ_E10value_typeET4_jRbjT5_SW_jjP12ihipStream_tbEUlT_E2_NS1_11comp_targetILNS1_3genE2ELNS1_11target_archE906ELNS1_3gpuE6ELNS1_3repE0EEENS1_30default_config_static_selectorELNS0_4arch9wavefront6targetE0EEEvSK_
; %bb.0:
	.section	.rodata,"a",@progbits
	.p2align	6, 0x0
	.amdhsa_kernel _ZN7rocprim17ROCPRIM_400000_NS6detail17trampoline_kernelINS0_14default_configENS1_36segmented_radix_sort_config_selectorIalEEZNS1_25segmented_radix_sort_implIS3_Lb1EPKaPaPKlPlN2at6native12_GLOBAL__N_18offset_tEEE10hipError_tPvRmT1_PNSt15iterator_traitsISK_E10value_typeET2_T3_PNSL_ISQ_E10value_typeET4_jRbjT5_SW_jjP12ihipStream_tbEUlT_E2_NS1_11comp_targetILNS1_3genE2ELNS1_11target_archE906ELNS1_3gpuE6ELNS1_3repE0EEENS1_30default_config_static_selectorELNS0_4arch9wavefront6targetE0EEEvSK_
		.amdhsa_group_segment_fixed_size 0
		.amdhsa_private_segment_fixed_size 0
		.amdhsa_kernarg_size 80
		.amdhsa_user_sgpr_count 2
		.amdhsa_user_sgpr_dispatch_ptr 0
		.amdhsa_user_sgpr_queue_ptr 0
		.amdhsa_user_sgpr_kernarg_segment_ptr 1
		.amdhsa_user_sgpr_dispatch_id 0
		.amdhsa_user_sgpr_private_segment_size 0
		.amdhsa_wavefront_size32 1
		.amdhsa_uses_dynamic_stack 0
		.amdhsa_enable_private_segment 0
		.amdhsa_system_sgpr_workgroup_id_x 1
		.amdhsa_system_sgpr_workgroup_id_y 0
		.amdhsa_system_sgpr_workgroup_id_z 0
		.amdhsa_system_sgpr_workgroup_info 0
		.amdhsa_system_vgpr_workitem_id 0
		.amdhsa_next_free_vgpr 1
		.amdhsa_next_free_sgpr 1
		.amdhsa_reserve_vcc 0
		.amdhsa_float_round_mode_32 0
		.amdhsa_float_round_mode_16_64 0
		.amdhsa_float_denorm_mode_32 3
		.amdhsa_float_denorm_mode_16_64 3
		.amdhsa_fp16_overflow 0
		.amdhsa_workgroup_processor_mode 1
		.amdhsa_memory_ordered 1
		.amdhsa_forward_progress 1
		.amdhsa_inst_pref_size 0
		.amdhsa_round_robin_scheduling 0
		.amdhsa_exception_fp_ieee_invalid_op 0
		.amdhsa_exception_fp_denorm_src 0
		.amdhsa_exception_fp_ieee_div_zero 0
		.amdhsa_exception_fp_ieee_overflow 0
		.amdhsa_exception_fp_ieee_underflow 0
		.amdhsa_exception_fp_ieee_inexact 0
		.amdhsa_exception_int_div_zero 0
	.end_amdhsa_kernel
	.section	.text._ZN7rocprim17ROCPRIM_400000_NS6detail17trampoline_kernelINS0_14default_configENS1_36segmented_radix_sort_config_selectorIalEEZNS1_25segmented_radix_sort_implIS3_Lb1EPKaPaPKlPlN2at6native12_GLOBAL__N_18offset_tEEE10hipError_tPvRmT1_PNSt15iterator_traitsISK_E10value_typeET2_T3_PNSL_ISQ_E10value_typeET4_jRbjT5_SW_jjP12ihipStream_tbEUlT_E2_NS1_11comp_targetILNS1_3genE2ELNS1_11target_archE906ELNS1_3gpuE6ELNS1_3repE0EEENS1_30default_config_static_selectorELNS0_4arch9wavefront6targetE0EEEvSK_,"axG",@progbits,_ZN7rocprim17ROCPRIM_400000_NS6detail17trampoline_kernelINS0_14default_configENS1_36segmented_radix_sort_config_selectorIalEEZNS1_25segmented_radix_sort_implIS3_Lb1EPKaPaPKlPlN2at6native12_GLOBAL__N_18offset_tEEE10hipError_tPvRmT1_PNSt15iterator_traitsISK_E10value_typeET2_T3_PNSL_ISQ_E10value_typeET4_jRbjT5_SW_jjP12ihipStream_tbEUlT_E2_NS1_11comp_targetILNS1_3genE2ELNS1_11target_archE906ELNS1_3gpuE6ELNS1_3repE0EEENS1_30default_config_static_selectorELNS0_4arch9wavefront6targetE0EEEvSK_,comdat
.Lfunc_end324:
	.size	_ZN7rocprim17ROCPRIM_400000_NS6detail17trampoline_kernelINS0_14default_configENS1_36segmented_radix_sort_config_selectorIalEEZNS1_25segmented_radix_sort_implIS3_Lb1EPKaPaPKlPlN2at6native12_GLOBAL__N_18offset_tEEE10hipError_tPvRmT1_PNSt15iterator_traitsISK_E10value_typeET2_T3_PNSL_ISQ_E10value_typeET4_jRbjT5_SW_jjP12ihipStream_tbEUlT_E2_NS1_11comp_targetILNS1_3genE2ELNS1_11target_archE906ELNS1_3gpuE6ELNS1_3repE0EEENS1_30default_config_static_selectorELNS0_4arch9wavefront6targetE0EEEvSK_, .Lfunc_end324-_ZN7rocprim17ROCPRIM_400000_NS6detail17trampoline_kernelINS0_14default_configENS1_36segmented_radix_sort_config_selectorIalEEZNS1_25segmented_radix_sort_implIS3_Lb1EPKaPaPKlPlN2at6native12_GLOBAL__N_18offset_tEEE10hipError_tPvRmT1_PNSt15iterator_traitsISK_E10value_typeET2_T3_PNSL_ISQ_E10value_typeET4_jRbjT5_SW_jjP12ihipStream_tbEUlT_E2_NS1_11comp_targetILNS1_3genE2ELNS1_11target_archE906ELNS1_3gpuE6ELNS1_3repE0EEENS1_30default_config_static_selectorELNS0_4arch9wavefront6targetE0EEEvSK_
                                        ; -- End function
	.set _ZN7rocprim17ROCPRIM_400000_NS6detail17trampoline_kernelINS0_14default_configENS1_36segmented_radix_sort_config_selectorIalEEZNS1_25segmented_radix_sort_implIS3_Lb1EPKaPaPKlPlN2at6native12_GLOBAL__N_18offset_tEEE10hipError_tPvRmT1_PNSt15iterator_traitsISK_E10value_typeET2_T3_PNSL_ISQ_E10value_typeET4_jRbjT5_SW_jjP12ihipStream_tbEUlT_E2_NS1_11comp_targetILNS1_3genE2ELNS1_11target_archE906ELNS1_3gpuE6ELNS1_3repE0EEENS1_30default_config_static_selectorELNS0_4arch9wavefront6targetE0EEEvSK_.num_vgpr, 0
	.set _ZN7rocprim17ROCPRIM_400000_NS6detail17trampoline_kernelINS0_14default_configENS1_36segmented_radix_sort_config_selectorIalEEZNS1_25segmented_radix_sort_implIS3_Lb1EPKaPaPKlPlN2at6native12_GLOBAL__N_18offset_tEEE10hipError_tPvRmT1_PNSt15iterator_traitsISK_E10value_typeET2_T3_PNSL_ISQ_E10value_typeET4_jRbjT5_SW_jjP12ihipStream_tbEUlT_E2_NS1_11comp_targetILNS1_3genE2ELNS1_11target_archE906ELNS1_3gpuE6ELNS1_3repE0EEENS1_30default_config_static_selectorELNS0_4arch9wavefront6targetE0EEEvSK_.num_agpr, 0
	.set _ZN7rocprim17ROCPRIM_400000_NS6detail17trampoline_kernelINS0_14default_configENS1_36segmented_radix_sort_config_selectorIalEEZNS1_25segmented_radix_sort_implIS3_Lb1EPKaPaPKlPlN2at6native12_GLOBAL__N_18offset_tEEE10hipError_tPvRmT1_PNSt15iterator_traitsISK_E10value_typeET2_T3_PNSL_ISQ_E10value_typeET4_jRbjT5_SW_jjP12ihipStream_tbEUlT_E2_NS1_11comp_targetILNS1_3genE2ELNS1_11target_archE906ELNS1_3gpuE6ELNS1_3repE0EEENS1_30default_config_static_selectorELNS0_4arch9wavefront6targetE0EEEvSK_.numbered_sgpr, 0
	.set _ZN7rocprim17ROCPRIM_400000_NS6detail17trampoline_kernelINS0_14default_configENS1_36segmented_radix_sort_config_selectorIalEEZNS1_25segmented_radix_sort_implIS3_Lb1EPKaPaPKlPlN2at6native12_GLOBAL__N_18offset_tEEE10hipError_tPvRmT1_PNSt15iterator_traitsISK_E10value_typeET2_T3_PNSL_ISQ_E10value_typeET4_jRbjT5_SW_jjP12ihipStream_tbEUlT_E2_NS1_11comp_targetILNS1_3genE2ELNS1_11target_archE906ELNS1_3gpuE6ELNS1_3repE0EEENS1_30default_config_static_selectorELNS0_4arch9wavefront6targetE0EEEvSK_.num_named_barrier, 0
	.set _ZN7rocprim17ROCPRIM_400000_NS6detail17trampoline_kernelINS0_14default_configENS1_36segmented_radix_sort_config_selectorIalEEZNS1_25segmented_radix_sort_implIS3_Lb1EPKaPaPKlPlN2at6native12_GLOBAL__N_18offset_tEEE10hipError_tPvRmT1_PNSt15iterator_traitsISK_E10value_typeET2_T3_PNSL_ISQ_E10value_typeET4_jRbjT5_SW_jjP12ihipStream_tbEUlT_E2_NS1_11comp_targetILNS1_3genE2ELNS1_11target_archE906ELNS1_3gpuE6ELNS1_3repE0EEENS1_30default_config_static_selectorELNS0_4arch9wavefront6targetE0EEEvSK_.private_seg_size, 0
	.set _ZN7rocprim17ROCPRIM_400000_NS6detail17trampoline_kernelINS0_14default_configENS1_36segmented_radix_sort_config_selectorIalEEZNS1_25segmented_radix_sort_implIS3_Lb1EPKaPaPKlPlN2at6native12_GLOBAL__N_18offset_tEEE10hipError_tPvRmT1_PNSt15iterator_traitsISK_E10value_typeET2_T3_PNSL_ISQ_E10value_typeET4_jRbjT5_SW_jjP12ihipStream_tbEUlT_E2_NS1_11comp_targetILNS1_3genE2ELNS1_11target_archE906ELNS1_3gpuE6ELNS1_3repE0EEENS1_30default_config_static_selectorELNS0_4arch9wavefront6targetE0EEEvSK_.uses_vcc, 0
	.set _ZN7rocprim17ROCPRIM_400000_NS6detail17trampoline_kernelINS0_14default_configENS1_36segmented_radix_sort_config_selectorIalEEZNS1_25segmented_radix_sort_implIS3_Lb1EPKaPaPKlPlN2at6native12_GLOBAL__N_18offset_tEEE10hipError_tPvRmT1_PNSt15iterator_traitsISK_E10value_typeET2_T3_PNSL_ISQ_E10value_typeET4_jRbjT5_SW_jjP12ihipStream_tbEUlT_E2_NS1_11comp_targetILNS1_3genE2ELNS1_11target_archE906ELNS1_3gpuE6ELNS1_3repE0EEENS1_30default_config_static_selectorELNS0_4arch9wavefront6targetE0EEEvSK_.uses_flat_scratch, 0
	.set _ZN7rocprim17ROCPRIM_400000_NS6detail17trampoline_kernelINS0_14default_configENS1_36segmented_radix_sort_config_selectorIalEEZNS1_25segmented_radix_sort_implIS3_Lb1EPKaPaPKlPlN2at6native12_GLOBAL__N_18offset_tEEE10hipError_tPvRmT1_PNSt15iterator_traitsISK_E10value_typeET2_T3_PNSL_ISQ_E10value_typeET4_jRbjT5_SW_jjP12ihipStream_tbEUlT_E2_NS1_11comp_targetILNS1_3genE2ELNS1_11target_archE906ELNS1_3gpuE6ELNS1_3repE0EEENS1_30default_config_static_selectorELNS0_4arch9wavefront6targetE0EEEvSK_.has_dyn_sized_stack, 0
	.set _ZN7rocprim17ROCPRIM_400000_NS6detail17trampoline_kernelINS0_14default_configENS1_36segmented_radix_sort_config_selectorIalEEZNS1_25segmented_radix_sort_implIS3_Lb1EPKaPaPKlPlN2at6native12_GLOBAL__N_18offset_tEEE10hipError_tPvRmT1_PNSt15iterator_traitsISK_E10value_typeET2_T3_PNSL_ISQ_E10value_typeET4_jRbjT5_SW_jjP12ihipStream_tbEUlT_E2_NS1_11comp_targetILNS1_3genE2ELNS1_11target_archE906ELNS1_3gpuE6ELNS1_3repE0EEENS1_30default_config_static_selectorELNS0_4arch9wavefront6targetE0EEEvSK_.has_recursion, 0
	.set _ZN7rocprim17ROCPRIM_400000_NS6detail17trampoline_kernelINS0_14default_configENS1_36segmented_radix_sort_config_selectorIalEEZNS1_25segmented_radix_sort_implIS3_Lb1EPKaPaPKlPlN2at6native12_GLOBAL__N_18offset_tEEE10hipError_tPvRmT1_PNSt15iterator_traitsISK_E10value_typeET2_T3_PNSL_ISQ_E10value_typeET4_jRbjT5_SW_jjP12ihipStream_tbEUlT_E2_NS1_11comp_targetILNS1_3genE2ELNS1_11target_archE906ELNS1_3gpuE6ELNS1_3repE0EEENS1_30default_config_static_selectorELNS0_4arch9wavefront6targetE0EEEvSK_.has_indirect_call, 0
	.section	.AMDGPU.csdata,"",@progbits
; Kernel info:
; codeLenInByte = 0
; TotalNumSgprs: 0
; NumVgprs: 0
; ScratchSize: 0
; MemoryBound: 0
; FloatMode: 240
; IeeeMode: 1
; LDSByteSize: 0 bytes/workgroup (compile time only)
; SGPRBlocks: 0
; VGPRBlocks: 0
; NumSGPRsForWavesPerEU: 1
; NumVGPRsForWavesPerEU: 1
; Occupancy: 16
; WaveLimiterHint : 0
; COMPUTE_PGM_RSRC2:SCRATCH_EN: 0
; COMPUTE_PGM_RSRC2:USER_SGPR: 2
; COMPUTE_PGM_RSRC2:TRAP_HANDLER: 0
; COMPUTE_PGM_RSRC2:TGID_X_EN: 1
; COMPUTE_PGM_RSRC2:TGID_Y_EN: 0
; COMPUTE_PGM_RSRC2:TGID_Z_EN: 0
; COMPUTE_PGM_RSRC2:TIDIG_COMP_CNT: 0
	.section	.text._ZN7rocprim17ROCPRIM_400000_NS6detail17trampoline_kernelINS0_14default_configENS1_36segmented_radix_sort_config_selectorIalEEZNS1_25segmented_radix_sort_implIS3_Lb1EPKaPaPKlPlN2at6native12_GLOBAL__N_18offset_tEEE10hipError_tPvRmT1_PNSt15iterator_traitsISK_E10value_typeET2_T3_PNSL_ISQ_E10value_typeET4_jRbjT5_SW_jjP12ihipStream_tbEUlT_E2_NS1_11comp_targetILNS1_3genE10ELNS1_11target_archE1201ELNS1_3gpuE5ELNS1_3repE0EEENS1_30default_config_static_selectorELNS0_4arch9wavefront6targetE0EEEvSK_,"axG",@progbits,_ZN7rocprim17ROCPRIM_400000_NS6detail17trampoline_kernelINS0_14default_configENS1_36segmented_radix_sort_config_selectorIalEEZNS1_25segmented_radix_sort_implIS3_Lb1EPKaPaPKlPlN2at6native12_GLOBAL__N_18offset_tEEE10hipError_tPvRmT1_PNSt15iterator_traitsISK_E10value_typeET2_T3_PNSL_ISQ_E10value_typeET4_jRbjT5_SW_jjP12ihipStream_tbEUlT_E2_NS1_11comp_targetILNS1_3genE10ELNS1_11target_archE1201ELNS1_3gpuE5ELNS1_3repE0EEENS1_30default_config_static_selectorELNS0_4arch9wavefront6targetE0EEEvSK_,comdat
	.globl	_ZN7rocprim17ROCPRIM_400000_NS6detail17trampoline_kernelINS0_14default_configENS1_36segmented_radix_sort_config_selectorIalEEZNS1_25segmented_radix_sort_implIS3_Lb1EPKaPaPKlPlN2at6native12_GLOBAL__N_18offset_tEEE10hipError_tPvRmT1_PNSt15iterator_traitsISK_E10value_typeET2_T3_PNSL_ISQ_E10value_typeET4_jRbjT5_SW_jjP12ihipStream_tbEUlT_E2_NS1_11comp_targetILNS1_3genE10ELNS1_11target_archE1201ELNS1_3gpuE5ELNS1_3repE0EEENS1_30default_config_static_selectorELNS0_4arch9wavefront6targetE0EEEvSK_ ; -- Begin function _ZN7rocprim17ROCPRIM_400000_NS6detail17trampoline_kernelINS0_14default_configENS1_36segmented_radix_sort_config_selectorIalEEZNS1_25segmented_radix_sort_implIS3_Lb1EPKaPaPKlPlN2at6native12_GLOBAL__N_18offset_tEEE10hipError_tPvRmT1_PNSt15iterator_traitsISK_E10value_typeET2_T3_PNSL_ISQ_E10value_typeET4_jRbjT5_SW_jjP12ihipStream_tbEUlT_E2_NS1_11comp_targetILNS1_3genE10ELNS1_11target_archE1201ELNS1_3gpuE5ELNS1_3repE0EEENS1_30default_config_static_selectorELNS0_4arch9wavefront6targetE0EEEvSK_
	.p2align	8
	.type	_ZN7rocprim17ROCPRIM_400000_NS6detail17trampoline_kernelINS0_14default_configENS1_36segmented_radix_sort_config_selectorIalEEZNS1_25segmented_radix_sort_implIS3_Lb1EPKaPaPKlPlN2at6native12_GLOBAL__N_18offset_tEEE10hipError_tPvRmT1_PNSt15iterator_traitsISK_E10value_typeET2_T3_PNSL_ISQ_E10value_typeET4_jRbjT5_SW_jjP12ihipStream_tbEUlT_E2_NS1_11comp_targetILNS1_3genE10ELNS1_11target_archE1201ELNS1_3gpuE5ELNS1_3repE0EEENS1_30default_config_static_selectorELNS0_4arch9wavefront6targetE0EEEvSK_,@function
_ZN7rocprim17ROCPRIM_400000_NS6detail17trampoline_kernelINS0_14default_configENS1_36segmented_radix_sort_config_selectorIalEEZNS1_25segmented_radix_sort_implIS3_Lb1EPKaPaPKlPlN2at6native12_GLOBAL__N_18offset_tEEE10hipError_tPvRmT1_PNSt15iterator_traitsISK_E10value_typeET2_T3_PNSL_ISQ_E10value_typeET4_jRbjT5_SW_jjP12ihipStream_tbEUlT_E2_NS1_11comp_targetILNS1_3genE10ELNS1_11target_archE1201ELNS1_3gpuE5ELNS1_3repE0EEENS1_30default_config_static_selectorELNS0_4arch9wavefront6targetE0EEEvSK_: ; @_ZN7rocprim17ROCPRIM_400000_NS6detail17trampoline_kernelINS0_14default_configENS1_36segmented_radix_sort_config_selectorIalEEZNS1_25segmented_radix_sort_implIS3_Lb1EPKaPaPKlPlN2at6native12_GLOBAL__N_18offset_tEEE10hipError_tPvRmT1_PNSt15iterator_traitsISK_E10value_typeET2_T3_PNSL_ISQ_E10value_typeET4_jRbjT5_SW_jjP12ihipStream_tbEUlT_E2_NS1_11comp_targetILNS1_3genE10ELNS1_11target_archE1201ELNS1_3gpuE5ELNS1_3repE0EEENS1_30default_config_static_selectorELNS0_4arch9wavefront6targetE0EEEvSK_
; %bb.0:
	s_load_b128 s[4:7], s[0:1], 0x34
	s_mov_b32 s32, 0
	s_wait_kmcnt 0x0
	s_add_co_i32 s33, s5, ttmp9
	s_add_co_i32 s34, s7, ttmp9
	s_mul_i32 s33, s33, s4
	s_mul_i32 s34, s34, s6
	s_delay_alu instid0(SALU_CYCLE_1)
	s_cmp_le_u32 s34, s33
	s_cbranch_scc1 .LBB325_678
; %bb.1:
	s_clause 0x3
	s_load_b32 s2, s[0:1], 0x30
	s_load_b128 s[24:27], s[0:1], 0x20
	s_load_b96 s[44:46], s[0:1], 0x44
	s_load_b256 s[36:43], s[0:1], 0x0
	s_wait_kmcnt 0x0
	s_bitcmp1_b32 s2, 0
	s_mov_b32 s2, -1
	s_cselect_b32 s35, -1, 0
	s_sub_co_i32 s47, s34, s33
	s_delay_alu instid0(SALU_CYCLE_1)
	s_cmp_lt_u32 s47, 0x801
	s_cbranch_scc0 .LBB325_15
; %bb.2:
	s_cmp_lt_u32 s47, 33
	s_cbranch_scc0 .LBB325_9
; %bb.3:
	s_load_b32 s2, s[0:1], 0x5c
	v_bfe_u32 v1, v0, 10, 10
	v_bfe_u32 v2, v0, 20, 10
	s_mov_b32 s16, exec_lo
	s_wait_kmcnt 0x0
	s_lshr_b32 s3, s2, 16
	s_and_b32 s2, s2, 0xffff
	v_mad_u32_u24 v2, v2, s3, v1
	v_and_b32_e32 v1, 0x3ff, v0
	s_delay_alu instid0(VALU_DEP_1) | instskip(NEXT) | instid1(VALU_DEP_1)
	v_mad_co_u64_u32 v[1:2], null, v2, s2, v[1:2]
	v_cmpx_gt_u32_e32 8, v1
	s_cbranch_execz .LBB325_8
; %bb.4:
	v_cndmask_b32_e64 v1, 0, 1, s35
	s_and_b32 s2, s44, 1
	s_wait_alu 0xfffe
	s_delay_alu instid0(VALU_DEP_1)
	v_cmp_ne_u32_e32 vcc_lo, s2, v1
	s_mov_b32 s2, -1
	s_cbranch_vccnz .LBB325_6
; %bb.5:
	s_mov_b64 s[2:3], src_shared_base
	v_dual_mov_b32 v31, v0 :: v_dual_mov_b32 v40, v0
	v_dual_mov_b32 v0, s36 :: v_dual_mov_b32 v1, s37
	;; [unrolled: 1-line block ×7, first 2 shown]
	s_wait_alu 0xfffe
	v_dual_mov_b32 v12, 0 :: v_dual_mov_b32 v13, s3
	s_add_nc_u64 s[8:9], s[0:1], 0x50
	s_getpc_b64 s[4:5]
	s_sext_i32_i16 s5, s5
	s_add_co_u32 s4, s4, _ZN7rocprim17ROCPRIM_400000_NS6detail26segmented_warp_sort_helperINS1_20WarpSortHelperConfigILj8ELj4ELj256EEEalLi256ELb1EvE4sortIPKaPaPKlPlEEvT_T0_T1_T2_jjjjRNS5_12storage_typeE@rel32@lo+8
	s_add_co_ci_u32 s5, s5, _ZN7rocprim17ROCPRIM_400000_NS6detail26segmented_warp_sort_helperINS1_20WarpSortHelperConfigILj8ELj4ELj256EEEalLi256ELb1EvE4sortIPKaPaPKlPlEEvT_T0_T1_T2_jjjjRNS5_12storage_typeE@rel32@hi+16
	s_mov_b64 s[14:15], s[0:1]
	s_swappc_b64 s[30:31], s[4:5]
	v_mov_b32_e32 v0, v40
	s_mov_b64 s[0:1], s[14:15]
	s_mov_b32 s2, 0
.LBB325_6:
	s_wait_alu 0xfffe
	s_and_not1_b32 vcc_lo, exec_lo, s2
	s_wait_alu 0xfffe
	s_cbranch_vccnz .LBB325_8
; %bb.7:
	s_mov_b64 s[2:3], src_shared_base
	v_dual_mov_b32 v31, v0 :: v_dual_mov_b32 v40, v0
	v_dual_mov_b32 v0, s36 :: v_dual_mov_b32 v1, s37
	;; [unrolled: 1-line block ×7, first 2 shown]
	s_wait_alu 0xfffe
	v_dual_mov_b32 v12, 0 :: v_dual_mov_b32 v13, s3
	s_add_nc_u64 s[8:9], s[0:1], 0x50
	s_getpc_b64 s[4:5]
	s_wait_alu 0xfffe
	s_sext_i32_i16 s5, s5
	s_add_co_u32 s4, s4, _ZN7rocprim17ROCPRIM_400000_NS6detail26segmented_warp_sort_helperINS1_20WarpSortHelperConfigILj8ELj4ELj256EEEalLi256ELb1EvE4sortIPKaPaPKlPlEEvT_T0_T1_T2_jjjjRNS5_12storage_typeE@rel32@lo+12
	s_wait_alu 0xfffe
	s_add_co_ci_u32 s5, s5, _ZN7rocprim17ROCPRIM_400000_NS6detail26segmented_warp_sort_helperINS1_20WarpSortHelperConfigILj8ELj4ELj256EEEalLi256ELb1EvE4sortIPKaPaPKlPlEEvT_T0_T1_T2_jjjjRNS5_12storage_typeE@rel32@hi+24
	s_mov_b64 s[14:15], s[0:1]
	s_wait_alu 0xfffe
	s_swappc_b64 s[30:31], s[4:5]
	v_mov_b32_e32 v0, v40
	s_mov_b64 s[0:1], s[14:15]
.LBB325_8:
	s_or_b32 exec_lo, exec_lo, s16
	s_mov_b32 s2, 0
.LBB325_9:
	s_wait_alu 0xfffe
	s_and_not1_b32 vcc_lo, exec_lo, s2
	s_wait_alu 0xfffe
	s_cbranch_vccnz .LBB325_14
; %bb.10:
	v_cndmask_b32_e64 v1, 0, 1, s35
	s_and_b32 s2, s44, 1
	s_wait_alu 0xfffe
	s_delay_alu instid0(VALU_DEP_1)
	v_cmp_ne_u32_e32 vcc_lo, s2, v1
	s_mov_b32 s2, -1
	s_cbranch_vccnz .LBB325_12
; %bb.11:
	s_mov_b64 s[2:3], src_shared_base
	v_dual_mov_b32 v31, v0 :: v_dual_mov_b32 v40, v0
	v_dual_mov_b32 v0, s36 :: v_dual_mov_b32 v1, s37
	;; [unrolled: 1-line block ×7, first 2 shown]
	s_wait_alu 0xfffe
	v_dual_mov_b32 v12, 0 :: v_dual_mov_b32 v13, s3
	s_add_nc_u64 s[8:9], s[0:1], 0x50
	s_getpc_b64 s[4:5]
	s_wait_alu 0xfffe
	s_sext_i32_i16 s5, s5
	s_add_co_u32 s4, s4, _ZN7rocprim17ROCPRIM_400000_NS6detail40segmented_radix_sort_single_block_helperIalLj256ELj8ELb1EE4sortIPKaPaPKlPlEEbT_T0_T1_T2_jjjjRNS3_12storage_typeE@rel32@lo+12
	s_wait_alu 0xfffe
	s_add_co_ci_u32 s5, s5, _ZN7rocprim17ROCPRIM_400000_NS6detail40segmented_radix_sort_single_block_helperIalLj256ELj8ELb1EE4sortIPKaPaPKlPlEEbT_T0_T1_T2_jjjjRNS3_12storage_typeE@rel32@hi+24
	s_mov_b64 s[22:23], s[0:1]
	s_wait_alu 0xfffe
	s_swappc_b64 s[30:31], s[4:5]
	v_mov_b32_e32 v0, v40
	s_mov_b64 s[0:1], s[22:23]
	s_mov_b32 s2, 0
.LBB325_12:
	s_wait_alu 0xfffe
	s_and_not1_b32 vcc_lo, exec_lo, s2
	s_wait_alu 0xfffe
	s_cbranch_vccnz .LBB325_14
; %bb.13:
	s_mov_b64 s[2:3], src_shared_base
	v_dual_mov_b32 v31, v0 :: v_dual_mov_b32 v40, v0
	v_dual_mov_b32 v0, s36 :: v_dual_mov_b32 v1, s37
	;; [unrolled: 1-line block ×7, first 2 shown]
	s_wait_alu 0xfffe
	v_dual_mov_b32 v12, 0 :: v_dual_mov_b32 v13, s3
	s_add_nc_u64 s[8:9], s[0:1], 0x50
	s_getpc_b64 s[4:5]
	s_wait_alu 0xfffe
	s_sext_i32_i16 s5, s5
	s_add_co_u32 s4, s4, _ZN7rocprim17ROCPRIM_400000_NS6detail40segmented_radix_sort_single_block_helperIalLj256ELj8ELb1EE4sortIPKaPaPKlPlEEbT_T0_T1_T2_jjjjRNS3_12storage_typeE@rel32@lo+12
	s_wait_alu 0xfffe
	s_add_co_ci_u32 s5, s5, _ZN7rocprim17ROCPRIM_400000_NS6detail40segmented_radix_sort_single_block_helperIalLj256ELj8ELb1EE4sortIPKaPaPKlPlEEbT_T0_T1_T2_jjjjRNS3_12storage_typeE@rel32@hi+24
	s_mov_b64 s[22:23], s[0:1]
	s_wait_alu 0xfffe
	s_swappc_b64 s[30:31], s[4:5]
	v_mov_b32_e32 v0, v40
	s_mov_b64 s[0:1], s[22:23]
.LBB325_14:
	s_mov_b32 s2, 0
.LBB325_15:
	s_wait_alu 0xfffe
	s_and_not1_b32 vcc_lo, exec_lo, s2
	s_wait_alu 0xfffe
	s_cbranch_vccnz .LBB325_678
; %bb.16:
	s_cmp_ge_u32 s45, s46
	s_cbranch_scc1 .LBB325_678
; %bb.17:
	v_and_b32_e32 v1, 0x3ff, v0
	v_dual_mov_b32 v61, 1 :: v_dual_and_b32 v2, 3, v0
	v_lshrrev_b32_e32 v4, 3, v0
	v_mbcnt_lo_u32_b32 v58, -1, 0
	s_delay_alu instid0(VALU_DEP_4) | instskip(NEXT) | instid1(VALU_DEP_4)
	v_or_b32_e32 v5, 31, v1
	v_lshlrev_b32_e32 v39, 2, v2
	v_lshlrev_b32_e32 v2, 3, v1
	v_and_b32_e32 v38, 28, v4
	v_lshlrev_b32_e32 v4, 5, v1
	v_cmp_eq_u32_e64 s3, v1, v5
	v_dual_mov_b32 v3, 0 :: v_dual_lshlrev_b32 v28, 2, v1
	v_and_b32_e32 v2, 0x700, v2
	s_delay_alu instid0(VALU_DEP_4) | instskip(SKIP_2) | instid1(VALU_DEP_4)
	v_sub_nc_u32_e32 v46, 0, v4
	v_lshlrev_b32_e32 v66, 3, v58
	v_add_co_u32 v32, s2, s40, v1
	v_lshlrev_b32_e32 v5, 3, v2
	v_mad_u32_u24 v40, v1, 12, v28
	v_or_b32_e32 v68, v58, v2
	v_or_b32_e32 v29, 0x100, v1
	;; [unrolled: 1-line block ×3, first 2 shown]
	v_add_co_u32 v4, s8, s26, v5
	s_wait_alu 0xf1ff
	v_add_co_ci_u32_e64 v6, null, s27, 0, s8
	v_add_co_u32 v7, s8, s40, v2
	s_wait_alu 0xf1ff
	v_add_co_ci_u32_e64 v8, null, s41, 0, s8
	;; [unrolled: 3-line block ×6, first 2 shown]
	v_add_co_u32 v56, s8, s42, v5
	v_add_co_u32 v69, vcc_lo, v4, v66
	s_wait_alu 0xf1ff
	v_add_co_ci_u32_e64 v57, null, s43, 0, s8
	v_add_co_u32 v59, s8, s36, v2
	s_wait_alu 0xfffd
	v_add_co_ci_u32_e64 v70, null, 0, v6, vcc_lo
	v_add_co_u32 v78, vcc_lo, v7, v58
	v_or_b32_e32 v31, 0x300, v1
	v_add_co_ci_u32_e64 v33, null, s41, 0, s2
	v_or_b32_e32 v34, 0x400, v1
	v_or_b32_e32 v35, 0x500, v1
	;; [unrolled: 1-line block ×4, first 2 shown]
	v_cmp_gt_u32_e64 s2, 0x100, v1
	v_or_b32_e32 v41, 0x4400, v38
	v_cmp_gt_u32_e64 s4, 8, v1
	v_add_nc_u32_e32 v42, 0x4400, v28
	v_cmp_lt_u32_e64 s5, 31, v1
	v_add_nc_u32_e32 v43, 0x43fc, v38
	v_bfe_u32 v44, v0, 20, 10
	v_bfe_u32 v0, v0, 10, 10
	v_mad_u32_u24 v45, v1, 20, v40
	v_cmp_eq_u32_e64 s6, 0, v1
	v_cmp_ne_u32_e64 s7, 0xff, v1
	v_mul_u32_u24_e32 v47, 7, v1
	s_wait_alu 0xf1ff
	v_add_co_ci_u32_e64 v60, null, s37, 0, s8
	v_and_b32_e32 v62, 15, v58
	v_bfe_i32 v63, v58, 4, 1
	v_and_b32_e32 v64, 16, v58
	v_and_b32_e32 v65, 7, v58
	v_sub_co_u32 v67, s8, v58, 1
	v_or_b32_e32 v71, 32, v68
	v_or_b32_e32 v72, 64, v68
	;; [unrolled: 1-line block ×7, first 2 shown]
	s_wait_alu 0xfffd
	v_add_co_ci_u32_e64 v79, null, 0, v8, vcc_lo
	s_add_nc_u64 s[28:29], s[0:1], 0x50
	s_mov_b32 s23, 0
	s_mov_b32 s30, s45
	s_branch .LBB325_20
.LBB325_18:                             ;   in Loop: Header=BB325_20 Depth=1
	s_wait_loadcnt_dscnt 0x0
	s_barrier_signal -1
	s_barrier_wait -1
.LBB325_19:                             ;   in Loop: Header=BB325_20 Depth=1
	s_add_co_i32 s30, s30, 8
	global_inv scope:SCOPE_SE
	s_wait_alu 0xfffe
	s_cmp_ge_u32 s30, s46
	s_cbranch_scc1 .LBB325_678
.LBB325_20:                             ; =>This Loop Header: Depth=1
                                        ;     Child Loop BB325_24 Depth 2
                                        ;     Child Loop BB325_72 Depth 2
	;; [unrolled: 1-line block ×8, first 2 shown]
	s_wait_alu 0xfffe
	s_sub_co_i32 s0, s46, s30
	s_xor_b32 s35, s35, -1
	s_wait_alu 0xfffe
	s_min_u32 s0, s0, 8
	ds_store_2addr_stride64_b32 v28, v3, v3 offset1:4
	s_wait_alu 0xfffe
	s_lshl_b32 s0, -1, s0
	ds_store_2addr_stride64_b32 v28, v3, v3 offset0:8 offset1:12
	s_wait_alu 0xfffe
	s_not_b32 s31, s0
	s_cmp_lg_u32 s30, s45
	s_mov_b32 s0, -1
	s_wait_storecnt_dscnt 0x0
	s_cbranch_scc0 .LBB325_350
; %bb.21:                               ;   in Loop: Header=BB325_20 Depth=1
	s_and_b32 vcc_lo, exec_lo, s35
	s_wait_alu 0xfffe
	s_cbranch_vccz .LBB325_185
; %bb.22:                               ;   in Loop: Header=BB325_20 Depth=1
	v_dual_mov_b32 v7, 0 :: v_dual_mov_b32 v10, 0
	v_dual_mov_b32 v9, 0 :: v_dual_mov_b32 v8, 0
	;; [unrolled: 1-line block ×3, first 2 shown]
	v_mov_b32_e32 v4, 0
	v_mov_b32_e32 v2, 0
	s_mov_b32 s9, s47
	s_mov_b32 s22, s33
	s_barrier_signal -1
	s_barrier_wait -1
	global_inv scope:SCOPE_SE
	s_branch .LBB325_24
.LBB325_23:                             ;   in Loop: Header=BB325_24 Depth=2
	s_wait_alu 0xfffe
	s_or_b32 exec_lo, exec_lo, s0
	s_addk_co_i32 s9, 0xf800
	s_cmp_ge_u32 s10, s34
	s_mov_b32 s22, s10
	s_cbranch_scc1 .LBB325_60
.LBB325_24:                             ;   Parent Loop BB325_20 Depth=1
                                        ; =>  This Inner Loop Header: Depth=2
	s_wait_alu 0xfffe
	s_add_co_i32 s10, s22, 0x800
	s_mov_b32 s0, -1
	s_wait_alu 0xfffe
	s_cmp_gt_u32 s10, s34
                                        ; implicit-def: $vgpr11
                                        ; implicit-def: $vgpr12
                                        ; implicit-def: $vgpr13
                                        ; implicit-def: $vgpr14
                                        ; implicit-def: $vgpr15
                                        ; implicit-def: $vgpr16
                                        ; implicit-def: $vgpr17
                                        ; implicit-def: $vgpr18
	s_cbranch_scc1 .LBB325_26
; %bb.25:                               ;   in Loop: Header=BB325_24 Depth=2
	v_add_co_u32 v19, vcc_lo, v32, s22
	s_wait_alu 0xfffd
	v_add_co_ci_u32_e64 v20, null, 0, v33, vcc_lo
	s_mov_b32 s0, 0
	s_clause 0x7
	global_load_u8 v18, v[19:20], off offset:1792
	global_load_u8 v17, v[19:20], off offset:1536
	;; [unrolled: 1-line block ×7, first 2 shown]
	global_load_u8 v11, v[19:20], off
.LBB325_26:                             ;   in Loop: Header=BB325_24 Depth=2
	s_wait_alu 0xfffe
	s_and_not1_b32 vcc_lo, exec_lo, s0
	s_movk_i32 s0, 0x800
	s_wait_alu 0xfffe
	s_cbranch_vccnz .LBB325_37
; %bb.27:                               ;   in Loop: Header=BB325_24 Depth=2
	s_add_nc_u64 s[0:1], s[40:41], s[22:23]
	s_mov_b32 s11, exec_lo
	v_cmpx_gt_u32_e64 s9, v1
	s_cbranch_execnz .LBB325_53
; %bb.28:                               ;   in Loop: Header=BB325_24 Depth=2
	s_wait_alu 0xfffe
	s_or_b32 exec_lo, exec_lo, s11
	s_delay_alu instid0(SALU_CYCLE_1)
	s_mov_b32 s11, exec_lo
	v_cmpx_gt_u32_e64 s9, v29
	s_cbranch_execnz .LBB325_54
.LBB325_29:                             ;   in Loop: Header=BB325_24 Depth=2
	s_wait_alu 0xfffe
	s_or_b32 exec_lo, exec_lo, s11
	s_delay_alu instid0(SALU_CYCLE_1)
	s_mov_b32 s11, exec_lo
	v_cmpx_gt_u32_e64 s9, v30
	s_cbranch_execnz .LBB325_55
.LBB325_30:                             ;   in Loop: Header=BB325_24 Depth=2
	s_wait_alu 0xfffe
	s_or_b32 exec_lo, exec_lo, s11
	s_delay_alu instid0(SALU_CYCLE_1)
	s_mov_b32 s11, exec_lo
	v_cmpx_gt_u32_e64 s9, v31
	s_cbranch_execnz .LBB325_56
.LBB325_31:                             ;   in Loop: Header=BB325_24 Depth=2
	s_wait_alu 0xfffe
	s_or_b32 exec_lo, exec_lo, s11
	s_delay_alu instid0(SALU_CYCLE_1)
	s_mov_b32 s11, exec_lo
	v_cmpx_gt_u32_e64 s9, v34
	s_cbranch_execnz .LBB325_57
.LBB325_32:                             ;   in Loop: Header=BB325_24 Depth=2
	s_wait_alu 0xfffe
	s_or_b32 exec_lo, exec_lo, s11
	s_delay_alu instid0(SALU_CYCLE_1)
	s_mov_b32 s11, exec_lo
	v_cmpx_gt_u32_e64 s9, v35
	s_cbranch_execnz .LBB325_58
.LBB325_33:                             ;   in Loop: Header=BB325_24 Depth=2
	s_wait_alu 0xfffe
	s_or_b32 exec_lo, exec_lo, s11
	s_delay_alu instid0(SALU_CYCLE_1)
	s_mov_b32 s11, exec_lo
	v_cmpx_gt_u32_e64 s9, v36
	s_cbranch_execnz .LBB325_59
.LBB325_34:                             ;   in Loop: Header=BB325_24 Depth=2
	s_wait_alu 0xfffe
	s_or_b32 exec_lo, exec_lo, s11
	s_delay_alu instid0(SALU_CYCLE_1)
	s_mov_b32 s11, exec_lo
	v_cmpx_gt_u32_e64 s9, v37
	s_cbranch_execz .LBB325_36
.LBB325_35:                             ;   in Loop: Header=BB325_24 Depth=2
	s_wait_loadcnt 0x0
	v_add_co_u32 v11, s0, s0, v1
	s_wait_alu 0xf1ff
	v_add_co_ci_u32_e64 v12, null, s1, 0, s0
	global_load_u8 v2, v[11:12], off offset:1792
.LBB325_36:                             ;   in Loop: Header=BB325_24 Depth=2
	s_wait_alu 0xfffe
	s_or_b32 exec_lo, exec_lo, s11
	s_wait_loadcnt 0x0
	v_dual_mov_b32 v11, v7 :: v_dual_mov_b32 v12, v10
	v_dual_mov_b32 v13, v9 :: v_dual_mov_b32 v14, v8
	;; [unrolled: 1-line block ×4, first 2 shown]
	s_mov_b32 s0, s9
.LBB325_37:                             ;   in Loop: Header=BB325_24 Depth=2
	s_wait_loadcnt 0x5
	s_delay_alu instid0(VALU_DEP_1)
	v_dual_mov_b32 v2, v18 :: v_dual_mov_b32 v5, v16
	s_wait_loadcnt 0x2
	v_dual_mov_b32 v4, v17 :: v_dual_mov_b32 v9, v13
	s_wait_loadcnt 0x0
	v_dual_mov_b32 v6, v15 :: v_dual_mov_b32 v7, v11
	v_mov_b32_e32 v8, v14
	v_mov_b32_e32 v10, v12
	s_mov_b32 s1, exec_lo
	s_wait_alu 0xfffe
	v_cmpx_gt_u32_e64 s0, v1
	s_cbranch_execnz .LBB325_45
; %bb.38:                               ;   in Loop: Header=BB325_24 Depth=2
	s_or_b32 exec_lo, exec_lo, s1
	s_delay_alu instid0(SALU_CYCLE_1)
	s_mov_b32 s1, exec_lo
	v_cmpx_gt_u32_e64 s0, v29
	s_cbranch_execnz .LBB325_46
.LBB325_39:                             ;   in Loop: Header=BB325_24 Depth=2
	s_wait_alu 0xfffe
	s_or_b32 exec_lo, exec_lo, s1
	s_delay_alu instid0(SALU_CYCLE_1)
	s_mov_b32 s1, exec_lo
	v_cmpx_gt_u32_e64 s0, v30
	s_cbranch_execnz .LBB325_47
.LBB325_40:                             ;   in Loop: Header=BB325_24 Depth=2
	s_wait_alu 0xfffe
	s_or_b32 exec_lo, exec_lo, s1
	s_delay_alu instid0(SALU_CYCLE_1)
	s_mov_b32 s1, exec_lo
	v_cmpx_gt_u32_e64 s0, v31
	s_cbranch_execnz .LBB325_48
.LBB325_41:                             ;   in Loop: Header=BB325_24 Depth=2
	s_wait_alu 0xfffe
	s_or_b32 exec_lo, exec_lo, s1
	s_delay_alu instid0(SALU_CYCLE_1)
	s_mov_b32 s1, exec_lo
	v_cmpx_gt_u32_e64 s0, v34
	s_cbranch_execnz .LBB325_49
.LBB325_42:                             ;   in Loop: Header=BB325_24 Depth=2
	s_wait_alu 0xfffe
	s_or_b32 exec_lo, exec_lo, s1
	s_delay_alu instid0(SALU_CYCLE_1)
	s_mov_b32 s1, exec_lo
	v_cmpx_gt_u32_e64 s0, v35
	s_cbranch_execnz .LBB325_50
.LBB325_43:                             ;   in Loop: Header=BB325_24 Depth=2
	s_wait_alu 0xfffe
	s_or_b32 exec_lo, exec_lo, s1
	s_delay_alu instid0(SALU_CYCLE_1)
	s_mov_b32 s1, exec_lo
	v_cmpx_gt_u32_e64 s0, v36
	s_cbranch_execnz .LBB325_51
.LBB325_44:                             ;   in Loop: Header=BB325_24 Depth=2
	s_wait_alu 0xfffe
	s_or_b32 exec_lo, exec_lo, s1
	v_cmp_gt_u32_e32 vcc_lo, s0, v37
	s_and_saveexec_b32 s0, vcc_lo
	s_cbranch_execz .LBB325_23
	s_branch .LBB325_52
.LBB325_45:                             ;   in Loop: Header=BB325_24 Depth=2
	v_xor_b32_e32 v11, 0x7f, v7
	s_delay_alu instid0(VALU_DEP_1) | instskip(NEXT) | instid1(VALU_DEP_1)
	v_and_b32_e32 v11, 0xff, v11
	v_lshrrev_b32_e32 v11, s30, v11
	s_delay_alu instid0(VALU_DEP_1) | instskip(NEXT) | instid1(VALU_DEP_1)
	v_and_b32_e32 v11, s31, v11
	v_lshl_or_b32 v11, v11, 4, v39
	ds_add_u32 v11, v61
	s_or_b32 exec_lo, exec_lo, s1
	s_delay_alu instid0(SALU_CYCLE_1)
	s_mov_b32 s1, exec_lo
	v_cmpx_gt_u32_e64 s0, v29
	s_cbranch_execz .LBB325_39
.LBB325_46:                             ;   in Loop: Header=BB325_24 Depth=2
	v_xor_b32_e32 v11, 0x7f, v10
	s_delay_alu instid0(VALU_DEP_1) | instskip(NEXT) | instid1(VALU_DEP_1)
	v_and_b32_e32 v11, 0xff, v11
	v_lshrrev_b32_e32 v11, s30, v11
	s_delay_alu instid0(VALU_DEP_1) | instskip(NEXT) | instid1(VALU_DEP_1)
	v_and_b32_e32 v11, s31, v11
	v_lshl_or_b32 v11, v11, 4, v39
	ds_add_u32 v11, v61
	s_wait_alu 0xfffe
	s_or_b32 exec_lo, exec_lo, s1
	s_delay_alu instid0(SALU_CYCLE_1)
	s_mov_b32 s1, exec_lo
	v_cmpx_gt_u32_e64 s0, v30
	s_cbranch_execz .LBB325_40
.LBB325_47:                             ;   in Loop: Header=BB325_24 Depth=2
	v_xor_b32_e32 v11, 0x7f, v9
	s_delay_alu instid0(VALU_DEP_1) | instskip(NEXT) | instid1(VALU_DEP_1)
	v_and_b32_e32 v11, 0xff, v11
	v_lshrrev_b32_e32 v11, s30, v11
	s_delay_alu instid0(VALU_DEP_1) | instskip(NEXT) | instid1(VALU_DEP_1)
	v_and_b32_e32 v11, s31, v11
	v_lshl_or_b32 v11, v11, 4, v39
	ds_add_u32 v11, v61
	s_wait_alu 0xfffe
	s_or_b32 exec_lo, exec_lo, s1
	s_delay_alu instid0(SALU_CYCLE_1)
	s_mov_b32 s1, exec_lo
	v_cmpx_gt_u32_e64 s0, v31
	s_cbranch_execz .LBB325_41
.LBB325_48:                             ;   in Loop: Header=BB325_24 Depth=2
	v_xor_b32_e32 v11, 0x7f, v8
	s_delay_alu instid0(VALU_DEP_1) | instskip(NEXT) | instid1(VALU_DEP_1)
	v_and_b32_e32 v11, 0xff, v11
	v_lshrrev_b32_e32 v11, s30, v11
	s_delay_alu instid0(VALU_DEP_1) | instskip(NEXT) | instid1(VALU_DEP_1)
	v_and_b32_e32 v11, s31, v11
	v_lshl_or_b32 v11, v11, 4, v39
	ds_add_u32 v11, v61
	s_wait_alu 0xfffe
	s_or_b32 exec_lo, exec_lo, s1
	s_delay_alu instid0(SALU_CYCLE_1)
	s_mov_b32 s1, exec_lo
	v_cmpx_gt_u32_e64 s0, v34
	s_cbranch_execz .LBB325_42
.LBB325_49:                             ;   in Loop: Header=BB325_24 Depth=2
	v_xor_b32_e32 v11, 0x7f, v6
	s_delay_alu instid0(VALU_DEP_1) | instskip(NEXT) | instid1(VALU_DEP_1)
	v_and_b32_e32 v11, 0xff, v11
	v_lshrrev_b32_e32 v11, s30, v11
	s_delay_alu instid0(VALU_DEP_1) | instskip(NEXT) | instid1(VALU_DEP_1)
	v_and_b32_e32 v11, s31, v11
	v_lshl_or_b32 v11, v11, 4, v39
	ds_add_u32 v11, v61
	s_wait_alu 0xfffe
	s_or_b32 exec_lo, exec_lo, s1
	s_delay_alu instid0(SALU_CYCLE_1)
	s_mov_b32 s1, exec_lo
	v_cmpx_gt_u32_e64 s0, v35
	s_cbranch_execz .LBB325_43
.LBB325_50:                             ;   in Loop: Header=BB325_24 Depth=2
	v_xor_b32_e32 v11, 0x7f, v5
	s_delay_alu instid0(VALU_DEP_1) | instskip(NEXT) | instid1(VALU_DEP_1)
	v_and_b32_e32 v11, 0xff, v11
	v_lshrrev_b32_e32 v11, s30, v11
	s_delay_alu instid0(VALU_DEP_1) | instskip(NEXT) | instid1(VALU_DEP_1)
	v_and_b32_e32 v11, s31, v11
	v_lshl_or_b32 v11, v11, 4, v39
	ds_add_u32 v11, v61
	s_wait_alu 0xfffe
	s_or_b32 exec_lo, exec_lo, s1
	s_delay_alu instid0(SALU_CYCLE_1)
	s_mov_b32 s1, exec_lo
	v_cmpx_gt_u32_e64 s0, v36
	s_cbranch_execz .LBB325_44
.LBB325_51:                             ;   in Loop: Header=BB325_24 Depth=2
	v_xor_b32_e32 v11, 0x7f, v4
	s_delay_alu instid0(VALU_DEP_1) | instskip(NEXT) | instid1(VALU_DEP_1)
	v_and_b32_e32 v11, 0xff, v11
	v_lshrrev_b32_e32 v11, s30, v11
	s_delay_alu instid0(VALU_DEP_1) | instskip(NEXT) | instid1(VALU_DEP_1)
	v_and_b32_e32 v11, s31, v11
	v_lshl_or_b32 v11, v11, 4, v39
	ds_add_u32 v11, v61
	s_wait_alu 0xfffe
	s_or_b32 exec_lo, exec_lo, s1
	v_cmp_gt_u32_e32 vcc_lo, s0, v37
	s_and_saveexec_b32 s0, vcc_lo
	s_cbranch_execz .LBB325_23
.LBB325_52:                             ;   in Loop: Header=BB325_24 Depth=2
	v_xor_b32_e32 v11, 0x7f, v2
	s_delay_alu instid0(VALU_DEP_1) | instskip(NEXT) | instid1(VALU_DEP_1)
	v_and_b32_e32 v11, 0xff, v11
	v_lshrrev_b32_e32 v11, s30, v11
	s_delay_alu instid0(VALU_DEP_1) | instskip(NEXT) | instid1(VALU_DEP_1)
	v_and_b32_e32 v11, s31, v11
	v_lshl_or_b32 v11, v11, 4, v39
	ds_add_u32 v11, v61
	s_branch .LBB325_23
.LBB325_53:                             ;   in Loop: Header=BB325_24 Depth=2
	s_wait_loadcnt 0x0
	s_wait_alu 0xfffe
	v_add_co_u32 v11, s12, s0, v1
	s_wait_alu 0xf1ff
	v_add_co_ci_u32_e64 v12, null, s1, 0, s12
	global_load_u8 v7, v[11:12], off
	s_or_b32 exec_lo, exec_lo, s11
	s_delay_alu instid0(SALU_CYCLE_1)
	s_mov_b32 s11, exec_lo
	v_cmpx_gt_u32_e64 s9, v29
	s_cbranch_execz .LBB325_29
.LBB325_54:                             ;   in Loop: Header=BB325_24 Depth=2
	v_add_co_u32 v10, s12, s0, v1
	s_wait_loadcnt 0x0
	s_wait_alu 0xf1ff
	v_add_co_ci_u32_e64 v11, null, s1, 0, s12
	global_load_u8 v10, v[10:11], off offset:256
	s_wait_alu 0xfffe
	s_or_b32 exec_lo, exec_lo, s11
	s_delay_alu instid0(SALU_CYCLE_1)
	s_mov_b32 s11, exec_lo
	v_cmpx_gt_u32_e64 s9, v30
	s_cbranch_execz .LBB325_30
.LBB325_55:                             ;   in Loop: Header=BB325_24 Depth=2
	s_wait_loadcnt 0x0
	v_add_co_u32 v11, s12, s0, v1
	s_wait_alu 0xf1ff
	v_add_co_ci_u32_e64 v12, null, s1, 0, s12
	global_load_u8 v9, v[11:12], off offset:512
	s_wait_alu 0xfffe
	s_or_b32 exec_lo, exec_lo, s11
	s_delay_alu instid0(SALU_CYCLE_1)
	s_mov_b32 s11, exec_lo
	v_cmpx_gt_u32_e64 s9, v31
	s_cbranch_execz .LBB325_31
.LBB325_56:                             ;   in Loop: Header=BB325_24 Depth=2
	s_wait_loadcnt 0x0
	v_add_co_u32 v11, s12, s0, v1
	s_wait_alu 0xf1ff
	v_add_co_ci_u32_e64 v12, null, s1, 0, s12
	global_load_u8 v8, v[11:12], off offset:768
	s_wait_alu 0xfffe
	s_or_b32 exec_lo, exec_lo, s11
	s_delay_alu instid0(SALU_CYCLE_1)
	s_mov_b32 s11, exec_lo
	v_cmpx_gt_u32_e64 s9, v34
	s_cbranch_execz .LBB325_32
.LBB325_57:                             ;   in Loop: Header=BB325_24 Depth=2
	s_wait_loadcnt 0x0
	v_add_co_u32 v11, s12, s0, v1
	s_wait_alu 0xf1ff
	v_add_co_ci_u32_e64 v12, null, s1, 0, s12
	global_load_u8 v6, v[11:12], off offset:1024
	s_wait_alu 0xfffe
	s_or_b32 exec_lo, exec_lo, s11
	s_delay_alu instid0(SALU_CYCLE_1)
	s_mov_b32 s11, exec_lo
	v_cmpx_gt_u32_e64 s9, v35
	s_cbranch_execz .LBB325_33
.LBB325_58:                             ;   in Loop: Header=BB325_24 Depth=2
	s_wait_loadcnt 0x0
	v_add_co_u32 v11, s12, s0, v1
	s_wait_alu 0xf1ff
	v_add_co_ci_u32_e64 v12, null, s1, 0, s12
	global_load_u8 v5, v[11:12], off offset:1280
	s_wait_alu 0xfffe
	s_or_b32 exec_lo, exec_lo, s11
	s_delay_alu instid0(SALU_CYCLE_1)
	s_mov_b32 s11, exec_lo
	v_cmpx_gt_u32_e64 s9, v36
	s_cbranch_execz .LBB325_34
.LBB325_59:                             ;   in Loop: Header=BB325_24 Depth=2
	s_wait_loadcnt 0x0
	v_add_co_u32 v11, s12, s0, v1
	s_wait_alu 0xf1ff
	v_add_co_ci_u32_e64 v12, null, s1, 0, s12
	global_load_u8 v4, v[11:12], off offset:1536
	s_wait_alu 0xfffe
	s_or_b32 exec_lo, exec_lo, s11
	s_delay_alu instid0(SALU_CYCLE_1)
	s_mov_b32 s11, exec_lo
	v_cmpx_gt_u32_e64 s9, v37
	s_cbranch_execnz .LBB325_35
	s_branch .LBB325_36
.LBB325_60:                             ;   in Loop: Header=BB325_20 Depth=1
	v_mov_b32_e32 v2, 0
	s_wait_dscnt 0x0
	s_barrier_signal -1
	s_barrier_wait -1
	global_inv scope:SCOPE_SE
	s_and_saveexec_b32 s0, s2
	s_cbranch_execz .LBB325_62
; %bb.61:                               ;   in Loop: Header=BB325_20 Depth=1
	ds_load_2addr_b64 v[4:7], v40 offset1:1
	s_wait_dscnt 0x0
	v_add_nc_u32_e32 v2, v5, v4
	s_delay_alu instid0(VALU_DEP_1)
	v_add3_u32 v2, v2, v6, v7
.LBB325_62:                             ;   in Loop: Header=BB325_20 Depth=1
	s_wait_alu 0xfffe
	s_or_b32 exec_lo, exec_lo, s0
	s_delay_alu instid0(VALU_DEP_1)
	v_mov_b32_dpp v4, v2 row_shr:1 row_mask:0xf bank_mask:0xf
	v_cmp_eq_u32_e64 s0, 0, v62
	v_cmp_lt_u32_e64 s1, 1, v62
	v_cmp_lt_u32_e64 s9, 3, v62
	;; [unrolled: 1-line block ×3, first 2 shown]
	v_cmp_eq_u32_e64 s11, 0, v64
	s_wait_alu 0xf1ff
	v_cndmask_b32_e64 v4, v4, 0, s0
	s_delay_alu instid0(VALU_DEP_1) | instskip(NEXT) | instid1(VALU_DEP_1)
	v_add_nc_u32_e32 v2, v4, v2
	v_mov_b32_dpp v4, v2 row_shr:2 row_mask:0xf bank_mask:0xf
	s_delay_alu instid0(VALU_DEP_1) | instskip(NEXT) | instid1(VALU_DEP_1)
	v_cndmask_b32_e64 v4, 0, v4, s1
	v_add_nc_u32_e32 v2, v2, v4
	s_delay_alu instid0(VALU_DEP_1) | instskip(NEXT) | instid1(VALU_DEP_1)
	v_mov_b32_dpp v4, v2 row_shr:4 row_mask:0xf bank_mask:0xf
	v_cndmask_b32_e64 v4, 0, v4, s9
	s_delay_alu instid0(VALU_DEP_1) | instskip(NEXT) | instid1(VALU_DEP_1)
	v_add_nc_u32_e32 v2, v2, v4
	v_mov_b32_dpp v4, v2 row_shr:8 row_mask:0xf bank_mask:0xf
	s_delay_alu instid0(VALU_DEP_1) | instskip(NEXT) | instid1(VALU_DEP_1)
	v_cndmask_b32_e64 v4, 0, v4, s10
	v_add_nc_u32_e32 v2, v2, v4
	ds_swizzle_b32 v4, v2 offset:swizzle(BROADCAST,32,15)
	s_wait_dscnt 0x0
	v_and_b32_e32 v4, v63, v4
	s_delay_alu instid0(VALU_DEP_1)
	v_add_nc_u32_e32 v2, v2, v4
	s_and_saveexec_b32 s12, s3
; %bb.63:                               ;   in Loop: Header=BB325_20 Depth=1
	ds_store_b32 v41, v2
; %bb.64:                               ;   in Loop: Header=BB325_20 Depth=1
	s_wait_alu 0xfffe
	s_or_b32 exec_lo, exec_lo, s12
	s_wait_loadcnt_dscnt 0x0
	s_barrier_signal -1
	s_barrier_wait -1
	global_inv scope:SCOPE_SE
	s_and_saveexec_b32 s12, s4
	s_cbranch_execz .LBB325_66
; %bb.65:                               ;   in Loop: Header=BB325_20 Depth=1
	ds_load_b32 v4, v42
	v_cmp_ne_u32_e32 vcc_lo, 0, v65
	s_wait_dscnt 0x0
	v_mov_b32_dpp v5, v4 row_shr:1 row_mask:0xf bank_mask:0xf
	s_wait_alu 0xfffd
	s_delay_alu instid0(VALU_DEP_1) | instskip(SKIP_1) | instid1(VALU_DEP_2)
	v_cndmask_b32_e32 v5, 0, v5, vcc_lo
	v_cmp_lt_u32_e32 vcc_lo, 1, v65
	v_add_nc_u32_e32 v4, v5, v4
	s_delay_alu instid0(VALU_DEP_1) | instskip(SKIP_1) | instid1(VALU_DEP_1)
	v_mov_b32_dpp v5, v4 row_shr:2 row_mask:0xf bank_mask:0xf
	s_wait_alu 0xfffd
	v_cndmask_b32_e32 v5, 0, v5, vcc_lo
	v_cmp_lt_u32_e32 vcc_lo, 3, v65
	s_delay_alu instid0(VALU_DEP_2) | instskip(NEXT) | instid1(VALU_DEP_1)
	v_add_nc_u32_e32 v4, v4, v5
	v_mov_b32_dpp v5, v4 row_shr:4 row_mask:0xf bank_mask:0xf
	s_wait_alu 0xfffd
	s_delay_alu instid0(VALU_DEP_1) | instskip(NEXT) | instid1(VALU_DEP_1)
	v_cndmask_b32_e32 v5, 0, v5, vcc_lo
	v_add_nc_u32_e32 v4, v4, v5
	ds_store_b32 v42, v4
.LBB325_66:                             ;   in Loop: Header=BB325_20 Depth=1
	s_wait_alu 0xfffe
	s_or_b32 exec_lo, exec_lo, s12
	v_mov_b32_e32 v4, 0
	s_wait_loadcnt_dscnt 0x0
	s_barrier_signal -1
	s_barrier_wait -1
	global_inv scope:SCOPE_SE
	s_and_saveexec_b32 s12, s5
; %bb.67:                               ;   in Loop: Header=BB325_20 Depth=1
	ds_load_b32 v4, v43
; %bb.68:                               ;   in Loop: Header=BB325_20 Depth=1
	s_wait_alu 0xfffe
	s_or_b32 exec_lo, exec_lo, s12
	v_cmp_gt_i32_e32 vcc_lo, 0, v67
	s_wait_dscnt 0x0
	v_add_nc_u32_e32 v2, v4, v2
	s_wait_loadcnt 0x0
	s_barrier_signal -1
	s_barrier_wait -1
	s_wait_alu 0xfffd
	v_cndmask_b32_e32 v5, v67, v58, vcc_lo
	global_inv scope:SCOPE_SE
	v_lshlrev_b32_e32 v80, 2, v5
	ds_bpermute_b32 v2, v80, v2
	s_and_saveexec_b32 s12, s2
	s_cbranch_execz .LBB325_70
; %bb.69:                               ;   in Loop: Header=BB325_20 Depth=1
	s_wait_dscnt 0x0
	v_cndmask_b32_e64 v2, v2, v4, s8
	s_delay_alu instid0(VALU_DEP_1)
	v_add_nc_u32_e32 v2, s33, v2
	ds_store_b32 v28, v2
.LBB325_70:                             ;   in Loop: Header=BB325_20 Depth=1
	s_wait_alu 0xfffe
	s_or_b32 exec_lo, exec_lo, s12
	s_clause 0x1
	s_load_b32 s12, s[28:29], 0x4
	s_load_b32 s14, s[28:29], 0xc
	s_mov_b32 s42, s47
                                        ; implicit-def: $vgpr6_vgpr7
                                        ; implicit-def: $vgpr8_vgpr9
                                        ; implicit-def: $vgpr10_vgpr11
                                        ; implicit-def: $vgpr12_vgpr13
                                        ; implicit-def: $vgpr14_vgpr15
                                        ; implicit-def: $vgpr16_vgpr17
                                        ; implicit-def: $vgpr18_vgpr19
                                        ; implicit-def: $vgpr82
                                        ; implicit-def: $vgpr83
                                        ; implicit-def: $vgpr84
                                        ; implicit-def: $vgpr85
                                        ; implicit-def: $vgpr86
                                        ; implicit-def: $vgpr87
                                        ; implicit-def: $vgpr88
                                        ; implicit-def: $vgpr89
	s_wait_kmcnt 0x0
	s_cmp_lt_u32 ttmp7, s12
	s_cselect_b32 s22, 14, 20
	s_wait_alu 0xfffe
	s_add_nc_u64 s[12:13], s[28:29], s[22:23]
	s_mov_b32 s22, s33
	s_load_u16 s12, s[12:13], 0x0
	v_cmp_lt_u32_e64 s13, 1, v65
	s_wait_dscnt 0x0
	s_wait_kmcnt 0x0
	v_mad_u32_u24 v2, v44, s12, v0
	s_and_b32 s12, s14, 0xffff
	v_cmp_lt_u32_e64 s14, 3, v65
	s_wait_alu 0xfffe
	s_delay_alu instid0(VALU_DEP_2) | instskip(SKIP_1) | instid1(VALU_DEP_2)
	v_mad_co_u64_u32 v[4:5], null, v2, s12, v[1:2]
	v_cmp_eq_u32_e64 s12, 0, v65
	v_lshrrev_b32_e32 v2, 3, v4
                                        ; implicit-def: $vgpr4_vgpr5
	s_delay_alu instid0(VALU_DEP_1)
	v_and_b32_e32 v81, 0x1ffffffc, v2
	s_branch .LBB325_72
.LBB325_71:                             ;   in Loop: Header=BB325_72 Depth=2
	s_wait_alu 0xfffe
	s_or_b32 exec_lo, exec_lo, s15
	s_addk_co_i32 s42, 0xf800
	s_cmp_lt_u32 s43, s34
	s_mov_b32 s22, s43
	s_cbranch_scc0 .LBB325_184
.LBB325_72:                             ;   Parent Loop BB325_20 Depth=1
                                        ; =>  This Inner Loop Header: Depth=2
	s_wait_alu 0xfffe
	s_add_co_i32 s43, s22, 0x800
	s_wait_alu 0xfffe
	s_cmp_gt_u32 s43, s34
	s_cbranch_scc1 .LBB325_74
; %bb.73:                               ;   in Loop: Header=BB325_72 Depth=2
	v_add_co_u32 v20, vcc_lo, v78, s22
	s_wait_alu 0xfffd
	v_add_co_ci_u32_e64 v21, null, 0, v79, vcc_lo
	s_mov_b32 s15, -1
	s_clause 0x6
	global_load_u8 v23, v[20:21], off offset:192
	global_load_u8 v24, v[20:21], off offset:160
	;; [unrolled: 1-line block ×6, first 2 shown]
	global_load_u8 v90, v[20:21], off
	s_movk_i32 s16, 0x800
                                        ; implicit-def: $vgpr22
	s_cbranch_execz .LBB325_75
	s_branch .LBB325_84
.LBB325_74:                             ;   in Loop: Header=BB325_72 Depth=2
	s_mov_b32 s15, 0
                                        ; implicit-def: $vgpr90
                                        ; implicit-def: $vgpr92
                                        ; implicit-def: $vgpr27
                                        ; implicit-def: $vgpr26
                                        ; implicit-def: $vgpr25
                                        ; implicit-def: $vgpr24
                                        ; implicit-def: $vgpr23
	s_movk_i32 s16, 0x800
                                        ; implicit-def: $vgpr22
.LBB325_75:                             ;   in Loop: Header=BB325_72 Depth=2
	v_add_co_u32 v20, vcc_lo, v78, s22
	s_wait_alu 0xfffd
	v_add_co_ci_u32_e64 v21, null, 0, v79, vcc_lo
	s_wait_loadcnt 0x2
	v_dual_mov_b32 v22, 0x80 :: v_dual_mov_b32 v27, 0x80
	s_wait_loadcnt 0x0
	v_dual_mov_b32 v90, 0x80 :: v_dual_mov_b32 v25, 0x80
	v_dual_mov_b32 v92, 0x80 :: v_dual_mov_b32 v23, 0x80
	v_mov_b32_e32 v26, 0x80
	v_mov_b32_e32 v24, 0x80
	s_mov_b32 s15, exec_lo
	v_cmpx_gt_u32_e64 s42, v68
	s_cbranch_execnz .LBB325_178
; %bb.76:                               ;   in Loop: Header=BB325_72 Depth=2
	s_wait_alu 0xfffe
	s_or_b32 exec_lo, exec_lo, s15
	s_delay_alu instid0(SALU_CYCLE_1)
	s_mov_b32 s15, exec_lo
	v_cmpx_gt_u32_e64 s42, v71
	s_cbranch_execnz .LBB325_179
.LBB325_77:                             ;   in Loop: Header=BB325_72 Depth=2
	s_wait_alu 0xfffe
	s_or_b32 exec_lo, exec_lo, s15
	s_delay_alu instid0(SALU_CYCLE_1)
	s_mov_b32 s15, exec_lo
	v_cmpx_gt_u32_e64 s42, v72
	s_cbranch_execnz .LBB325_180
.LBB325_78:                             ;   in Loop: Header=BB325_72 Depth=2
	s_wait_alu 0xfffe
	s_or_b32 exec_lo, exec_lo, s15
	s_delay_alu instid0(SALU_CYCLE_1)
	s_mov_b32 s15, exec_lo
	v_cmpx_gt_u32_e64 s42, v73
	s_cbranch_execnz .LBB325_181
.LBB325_79:                             ;   in Loop: Header=BB325_72 Depth=2
	s_wait_alu 0xfffe
	s_or_b32 exec_lo, exec_lo, s15
	s_delay_alu instid0(SALU_CYCLE_1)
	s_mov_b32 s15, exec_lo
	v_cmpx_gt_u32_e64 s42, v74
	s_cbranch_execnz .LBB325_182
.LBB325_80:                             ;   in Loop: Header=BB325_72 Depth=2
	s_wait_alu 0xfffe
	s_or_b32 exec_lo, exec_lo, s15
	s_delay_alu instid0(SALU_CYCLE_1)
	s_mov_b32 s15, exec_lo
	v_cmpx_gt_u32_e64 s42, v75
	s_cbranch_execnz .LBB325_183
.LBB325_81:                             ;   in Loop: Header=BB325_72 Depth=2
	s_wait_alu 0xfffe
	s_or_b32 exec_lo, exec_lo, s15
	s_delay_alu instid0(SALU_CYCLE_1)
	s_mov_b32 s15, exec_lo
	v_cmpx_gt_u32_e64 s42, v76
	s_cbranch_execz .LBB325_83
.LBB325_82:                             ;   in Loop: Header=BB325_72 Depth=2
	global_load_u8 v23, v[20:21], off offset:192
.LBB325_83:                             ;   in Loop: Header=BB325_72 Depth=2
	s_wait_alu 0xfffe
	s_or_b32 exec_lo, exec_lo, s15
	v_cmp_gt_u32_e64 s15, s42, v77
	s_sub_co_i32 s16, s34, s22
.LBB325_84:                             ;   in Loop: Header=BB325_72 Depth=2
	v_mov_b32_e32 v2, s42
	s_wait_alu 0xfffe
	s_and_saveexec_b32 s17, s15
	s_cbranch_execz .LBB325_86
; %bb.85:                               ;   in Loop: Header=BB325_72 Depth=2
	v_add_co_u32 v20, vcc_lo, v78, s22
	s_wait_alu 0xfffd
	v_add_co_ci_u32_e64 v21, null, s23, v79, vcc_lo
	v_mov_b32_e32 v2, s16
	global_load_u8 v22, v[20:21], off offset:224
.LBB325_86:                             ;   in Loop: Header=BB325_72 Depth=2
	s_wait_alu 0xfffe
	s_or_b32 exec_lo, exec_lo, s17
	s_wait_loadcnt 0x0
	v_xor_b32_e32 v90, 0x7f, v90
	s_delay_alu instid0(VALU_DEP_1) | instskip(NEXT) | instid1(VALU_DEP_1)
	v_and_b32_e32 v20, 0xff, v90
	v_lshrrev_b32_e32 v20, s30, v20
	s_delay_alu instid0(VALU_DEP_1) | instskip(NEXT) | instid1(VALU_DEP_1)
	v_and_b32_e32 v21, s31, v20
	v_and_b32_e32 v20, 1, v21
	v_lshlrev_b32_e32 v91, 30, v21
	v_lshlrev_b32_e32 v93, 29, v21
	;; [unrolled: 1-line block ×4, first 2 shown]
	v_add_co_u32 v20, s15, v20, -1
	s_wait_alu 0xf1ff
	v_cndmask_b32_e64 v95, 0, 1, s15
	v_not_b32_e32 v99, v91
	v_cmp_gt_i32_e64 s15, 0, v91
	v_not_b32_e32 v91, v93
	v_lshlrev_b32_e32 v97, 26, v21
	v_cmp_ne_u32_e32 vcc_lo, 0, v95
	v_ashrrev_i32_e32 v99, 31, v99
	v_lshlrev_b32_e32 v98, 25, v21
	v_ashrrev_i32_e32 v91, 31, v91
	v_lshlrev_b32_e32 v95, 24, v21
	s_wait_alu 0xfffd
	v_xor_b32_e32 v20, vcc_lo, v20
	v_cmp_gt_i32_e32 vcc_lo, 0, v93
	v_not_b32_e32 v93, v94
	s_wait_alu 0xf1ff
	v_xor_b32_e32 v99, s15, v99
	v_cmp_gt_i32_e64 s15, 0, v94
	v_and_b32_e32 v20, exec_lo, v20
	v_not_b32_e32 v94, v96
	v_ashrrev_i32_e32 v93, 31, v93
	s_wait_alu 0xfffd
	v_xor_b32_e32 v91, vcc_lo, v91
	v_cmp_gt_i32_e32 vcc_lo, 0, v96
	v_and_b32_e32 v20, v20, v99
	v_not_b32_e32 v96, v97
	v_ashrrev_i32_e32 v94, 31, v94
	s_wait_alu 0xf1ff
	v_xor_b32_e32 v93, s15, v93
	v_cmp_gt_i32_e64 s15, 0, v97
	v_and_b32_e32 v20, v20, v91
	v_not_b32_e32 v91, v98
	v_ashrrev_i32_e32 v96, 31, v96
	s_wait_alu 0xfffd
	v_xor_b32_e32 v94, vcc_lo, v94
	v_cmp_gt_i32_e32 vcc_lo, 0, v98
	v_and_b32_e32 v20, v20, v93
	v_not_b32_e32 v93, v95
	v_ashrrev_i32_e32 v91, 31, v91
	s_wait_alu 0xf1ff
	v_xor_b32_e32 v96, s15, v96
	v_cmp_gt_i32_e64 s15, 0, v95
	v_and_b32_e32 v20, v20, v94
	v_ashrrev_i32_e32 v93, 31, v93
	s_wait_alu 0xfffd
	v_xor_b32_e32 v91, vcc_lo, v91
	v_mul_u32_u24_e32 v21, 36, v21
	v_add_nc_u32_e32 v95, 0x428, v45
	v_and_b32_e32 v20, v20, v96
	s_wait_alu 0xf1ff
	v_xor_b32_e32 v94, s15, v93
	v_add_nc_u32_e32 v93, 0x438, v45
	v_add_nc_u32_e32 v96, 0x430, v45
	;; [unrolled: 1-line block ×3, first 2 shown]
	v_and_b32_e32 v20, v20, v91
	ds_store_2addr_b32 v93, v3, v3 offset1:1
	v_and_b32_e32 v20, v20, v94
	v_add_nc_u32_e32 v94, 0x420, v45
	ds_store_2addr_b32 v94, v3, v3 offset1:1
	ds_store_2addr_b32 v95, v3, v3 offset1:1
	;; [unrolled: 1-line block ×3, first 2 shown]
	ds_store_b32 v45, v3 offset:1088
	v_mbcnt_lo_u32_b32 v91, v20, 0
	v_cmp_ne_u32_e64 s15, 0, v20
	s_wait_dscnt 0x0
	s_barrier_signal -1
	s_barrier_wait -1
	v_cmp_eq_u32_e32 vcc_lo, 0, v91
	global_inv scope:SCOPE_SE
	; wave barrier
	s_and_b32 s16, s15, vcc_lo
	s_wait_alu 0xfffe
	s_and_saveexec_b32 s15, s16
; %bb.87:                               ;   in Loop: Header=BB325_72 Depth=2
	v_bcnt_u32_b32 v20, v20, 0
	ds_store_b32 v97, v20 offset:1056
; %bb.88:                               ;   in Loop: Header=BB325_72 Depth=2
	s_wait_alu 0xfffe
	s_or_b32 exec_lo, exec_lo, s15
	v_xor_b32_e32 v92, 0x7f, v92
	; wave barrier
	s_delay_alu instid0(VALU_DEP_1) | instskip(NEXT) | instid1(VALU_DEP_1)
	v_and_b32_e32 v20, 0xff, v92
	v_lshrrev_b32_e32 v20, s30, v20
	s_delay_alu instid0(VALU_DEP_1) | instskip(NEXT) | instid1(VALU_DEP_1)
	v_and_b32_e32 v21, s31, v20
	v_and_b32_e32 v20, 1, v21
	v_lshlrev_b32_e32 v98, 30, v21
	v_lshlrev_b32_e32 v99, 29, v21
	;; [unrolled: 1-line block ×4, first 2 shown]
	v_add_co_u32 v20, s15, v20, -1
	s_wait_alu 0xf1ff
	v_cndmask_b32_e64 v101, 0, 1, s15
	v_not_b32_e32 v105, v98
	v_cmp_gt_i32_e64 s15, 0, v98
	v_not_b32_e32 v98, v99
	v_lshlrev_b32_e32 v103, 26, v21
	v_cmp_ne_u32_e32 vcc_lo, 0, v101
	v_ashrrev_i32_e32 v105, 31, v105
	v_lshlrev_b32_e32 v104, 25, v21
	v_ashrrev_i32_e32 v98, 31, v98
	v_lshlrev_b32_e32 v101, 24, v21
	s_wait_alu 0xfffd
	v_xor_b32_e32 v20, vcc_lo, v20
	v_cmp_gt_i32_e32 vcc_lo, 0, v99
	v_not_b32_e32 v99, v100
	s_wait_alu 0xf1ff
	v_xor_b32_e32 v105, s15, v105
	v_cmp_gt_i32_e64 s15, 0, v100
	v_and_b32_e32 v20, exec_lo, v20
	v_not_b32_e32 v100, v102
	v_ashrrev_i32_e32 v99, 31, v99
	s_wait_alu 0xfffd
	v_xor_b32_e32 v98, vcc_lo, v98
	v_cmp_gt_i32_e32 vcc_lo, 0, v102
	v_and_b32_e32 v20, v20, v105
	v_not_b32_e32 v102, v103
	v_ashrrev_i32_e32 v100, 31, v100
	s_wait_alu 0xf1ff
	v_xor_b32_e32 v99, s15, v99
	v_cmp_gt_i32_e64 s15, 0, v103
	v_and_b32_e32 v20, v20, v98
	v_not_b32_e32 v98, v104
	v_ashrrev_i32_e32 v102, 31, v102
	s_wait_alu 0xfffd
	v_xor_b32_e32 v100, vcc_lo, v100
	v_cmp_gt_i32_e32 vcc_lo, 0, v104
	v_and_b32_e32 v20, v20, v99
	v_not_b32_e32 v99, v101
	v_ashrrev_i32_e32 v98, 31, v98
	s_wait_alu 0xf1ff
	v_xor_b32_e32 v102, s15, v102
	v_cmp_gt_i32_e64 s15, 0, v101
	v_and_b32_e32 v20, v20, v100
	v_ashrrev_i32_e32 v99, 31, v99
	s_wait_alu 0xfffd
	v_xor_b32_e32 v98, vcc_lo, v98
	v_mad_u32_u24 v100, v21, 36, v81
	v_mul_u32_u24_e32 v21, 36, v21
	v_and_b32_e32 v20, v20, v102
	s_wait_alu 0xf1ff
	v_xor_b32_e32 v99, s15, v99
	s_delay_alu instid0(VALU_DEP_3) | instskip(NEXT) | instid1(VALU_DEP_3)
	v_add_nc_u32_e32 v101, v81, v21
	v_and_b32_e32 v20, v20, v98
	ds_load_b32 v98, v100 offset:1056
	; wave barrier
	v_and_b32_e32 v20, v20, v99
	s_delay_alu instid0(VALU_DEP_1) | instskip(SKIP_1) | instid1(VALU_DEP_2)
	v_mbcnt_lo_u32_b32 v99, v20, 0
	v_cmp_ne_u32_e64 s15, 0, v20
	v_cmp_eq_u32_e32 vcc_lo, 0, v99
	s_and_b32 s16, s15, vcc_lo
	s_wait_alu 0xfffe
	s_and_saveexec_b32 s15, s16
	s_cbranch_execz .LBB325_90
; %bb.89:                               ;   in Loop: Header=BB325_72 Depth=2
	s_wait_dscnt 0x0
	v_bcnt_u32_b32 v20, v20, v98
	ds_store_b32 v101, v20 offset:1056
.LBB325_90:                             ;   in Loop: Header=BB325_72 Depth=2
	s_wait_alu 0xfffe
	s_or_b32 exec_lo, exec_lo, s15
	v_xor_b32_e32 v100, 0x7f, v27
	; wave barrier
	s_delay_alu instid0(VALU_DEP_1) | instskip(NEXT) | instid1(VALU_DEP_1)
	v_and_b32_e32 v20, 0xff, v100
	v_lshrrev_b32_e32 v20, s30, v20
	s_delay_alu instid0(VALU_DEP_1) | instskip(NEXT) | instid1(VALU_DEP_1)
	v_and_b32_e32 v21, s31, v20
	v_and_b32_e32 v20, 1, v21
	v_lshlrev_b32_e32 v27, 30, v21
	v_lshlrev_b32_e32 v102, 29, v21
	;; [unrolled: 1-line block ×4, first 2 shown]
	v_add_co_u32 v20, s15, v20, -1
	s_wait_alu 0xf1ff
	v_cndmask_b32_e64 v104, 0, 1, s15
	v_not_b32_e32 v108, v27
	v_cmp_gt_i32_e64 s15, 0, v27
	v_not_b32_e32 v27, v102
	v_lshlrev_b32_e32 v106, 26, v21
	v_cmp_ne_u32_e32 vcc_lo, 0, v104
	v_ashrrev_i32_e32 v108, 31, v108
	v_lshlrev_b32_e32 v107, 25, v21
	v_ashrrev_i32_e32 v27, 31, v27
	v_lshlrev_b32_e32 v104, 24, v21
	s_wait_alu 0xfffd
	v_xor_b32_e32 v20, vcc_lo, v20
	v_cmp_gt_i32_e32 vcc_lo, 0, v102
	v_not_b32_e32 v102, v103
	s_wait_alu 0xf1ff
	v_xor_b32_e32 v108, s15, v108
	v_cmp_gt_i32_e64 s15, 0, v103
	v_and_b32_e32 v20, exec_lo, v20
	v_not_b32_e32 v103, v105
	v_ashrrev_i32_e32 v102, 31, v102
	s_wait_alu 0xfffd
	v_xor_b32_e32 v27, vcc_lo, v27
	v_cmp_gt_i32_e32 vcc_lo, 0, v105
	v_and_b32_e32 v20, v20, v108
	v_not_b32_e32 v105, v106
	v_ashrrev_i32_e32 v103, 31, v103
	s_wait_alu 0xf1ff
	v_xor_b32_e32 v102, s15, v102
	v_cmp_gt_i32_e64 s15, 0, v106
	v_and_b32_e32 v20, v20, v27
	v_not_b32_e32 v27, v107
	v_ashrrev_i32_e32 v105, 31, v105
	s_wait_alu 0xfffd
	v_xor_b32_e32 v103, vcc_lo, v103
	v_cmp_gt_i32_e32 vcc_lo, 0, v107
	v_and_b32_e32 v20, v20, v102
	v_not_b32_e32 v102, v104
	v_ashrrev_i32_e32 v27, 31, v27
	s_wait_alu 0xf1ff
	v_xor_b32_e32 v105, s15, v105
	v_cmp_gt_i32_e64 s15, 0, v104
	v_and_b32_e32 v20, v20, v103
	v_ashrrev_i32_e32 v102, 31, v102
	s_wait_alu 0xfffd
	v_xor_b32_e32 v27, vcc_lo, v27
	v_mad_u32_u24 v103, v21, 36, v81
	v_mul_u32_u24_e32 v21, 36, v21
	v_and_b32_e32 v20, v20, v105
	s_wait_alu 0xf1ff
	v_xor_b32_e32 v104, s15, v102
	ds_load_b32 v102, v103 offset:1056
	v_add_nc_u32_e32 v105, v81, v21
	v_and_b32_e32 v20, v20, v27
	; wave barrier
	s_delay_alu instid0(VALU_DEP_1) | instskip(NEXT) | instid1(VALU_DEP_1)
	v_and_b32_e32 v20, v20, v104
	v_mbcnt_lo_u32_b32 v103, v20, 0
	v_cmp_ne_u32_e64 s15, 0, v20
	s_delay_alu instid0(VALU_DEP_2)
	v_cmp_eq_u32_e32 vcc_lo, 0, v103
	s_and_b32 s16, s15, vcc_lo
	s_wait_alu 0xfffe
	s_and_saveexec_b32 s15, s16
	s_cbranch_execz .LBB325_92
; %bb.91:                               ;   in Loop: Header=BB325_72 Depth=2
	s_wait_dscnt 0x0
	v_bcnt_u32_b32 v20, v20, v102
	ds_store_b32 v105, v20 offset:1056
.LBB325_92:                             ;   in Loop: Header=BB325_72 Depth=2
	s_wait_alu 0xfffe
	s_or_b32 exec_lo, exec_lo, s15
	v_xor_b32_e32 v104, 0x7f, v26
	; wave barrier
	s_delay_alu instid0(VALU_DEP_1) | instskip(NEXT) | instid1(VALU_DEP_1)
	v_and_b32_e32 v20, 0xff, v104
	v_lshrrev_b32_e32 v20, s30, v20
	s_delay_alu instid0(VALU_DEP_1) | instskip(NEXT) | instid1(VALU_DEP_1)
	v_and_b32_e32 v21, s31, v20
	v_and_b32_e32 v20, 1, v21
	v_lshlrev_b32_e32 v26, 30, v21
	v_lshlrev_b32_e32 v27, 29, v21
	;; [unrolled: 1-line block ×4, first 2 shown]
	v_add_co_u32 v20, s15, v20, -1
	s_wait_alu 0xf1ff
	v_cndmask_b32_e64 v107, 0, 1, s15
	v_not_b32_e32 v111, v26
	v_cmp_gt_i32_e64 s15, 0, v26
	v_not_b32_e32 v26, v27
	v_lshlrev_b32_e32 v109, 26, v21
	v_cmp_ne_u32_e32 vcc_lo, 0, v107
	v_ashrrev_i32_e32 v111, 31, v111
	v_lshlrev_b32_e32 v110, 25, v21
	v_ashrrev_i32_e32 v26, 31, v26
	v_lshlrev_b32_e32 v107, 24, v21
	s_wait_alu 0xfffd
	v_xor_b32_e32 v20, vcc_lo, v20
	v_cmp_gt_i32_e32 vcc_lo, 0, v27
	v_not_b32_e32 v27, v106
	s_wait_alu 0xf1ff
	v_xor_b32_e32 v111, s15, v111
	v_cmp_gt_i32_e64 s15, 0, v106
	v_and_b32_e32 v20, exec_lo, v20
	v_not_b32_e32 v106, v108
	v_ashrrev_i32_e32 v27, 31, v27
	s_wait_alu 0xfffd
	v_xor_b32_e32 v26, vcc_lo, v26
	v_cmp_gt_i32_e32 vcc_lo, 0, v108
	v_and_b32_e32 v20, v20, v111
	v_not_b32_e32 v108, v109
	v_ashrrev_i32_e32 v106, 31, v106
	s_wait_alu 0xf1ff
	v_xor_b32_e32 v27, s15, v27
	v_cmp_gt_i32_e64 s15, 0, v109
	v_and_b32_e32 v20, v20, v26
	v_not_b32_e32 v26, v110
	v_ashrrev_i32_e32 v108, 31, v108
	s_wait_alu 0xfffd
	v_xor_b32_e32 v106, vcc_lo, v106
	v_cmp_gt_i32_e32 vcc_lo, 0, v110
	v_and_b32_e32 v20, v20, v27
	v_not_b32_e32 v27, v107
	v_ashrrev_i32_e32 v26, 31, v26
	s_wait_alu 0xf1ff
	v_xor_b32_e32 v108, s15, v108
	v_cmp_gt_i32_e64 s15, 0, v107
	v_and_b32_e32 v20, v20, v106
	v_ashrrev_i32_e32 v27, 31, v27
	s_wait_alu 0xfffd
	v_xor_b32_e32 v26, vcc_lo, v26
	v_mad_u32_u24 v106, v21, 36, v81
	v_mul_u32_u24_e32 v21, 36, v21
	v_and_b32_e32 v20, v20, v108
	s_wait_alu 0xf1ff
	v_xor_b32_e32 v27, s15, v27
	ds_load_b32 v106, v106 offset:1056
	v_add_nc_u32_e32 v109, v81, v21
	v_and_b32_e32 v20, v20, v26
	; wave barrier
	s_delay_alu instid0(VALU_DEP_1) | instskip(NEXT) | instid1(VALU_DEP_1)
	v_and_b32_e32 v20, v20, v27
	v_mbcnt_lo_u32_b32 v107, v20, 0
	v_cmp_ne_u32_e64 s15, 0, v20
	s_delay_alu instid0(VALU_DEP_2)
	v_cmp_eq_u32_e32 vcc_lo, 0, v107
	s_and_b32 s16, s15, vcc_lo
	s_wait_alu 0xfffe
	s_and_saveexec_b32 s15, s16
	s_cbranch_execz .LBB325_94
; %bb.93:                               ;   in Loop: Header=BB325_72 Depth=2
	s_wait_dscnt 0x0
	v_bcnt_u32_b32 v20, v20, v106
	ds_store_b32 v109, v20 offset:1056
.LBB325_94:                             ;   in Loop: Header=BB325_72 Depth=2
	s_wait_alu 0xfffe
	s_or_b32 exec_lo, exec_lo, s15
	v_xor_b32_e32 v108, 0x7f, v25
	; wave barrier
	s_delay_alu instid0(VALU_DEP_1) | instskip(NEXT) | instid1(VALU_DEP_1)
	v_and_b32_e32 v20, 0xff, v108
	v_lshrrev_b32_e32 v20, s30, v20
	s_delay_alu instid0(VALU_DEP_1) | instskip(NEXT) | instid1(VALU_DEP_1)
	v_and_b32_e32 v21, s31, v20
	v_and_b32_e32 v20, 1, v21
	v_lshlrev_b32_e32 v25, 30, v21
	v_lshlrev_b32_e32 v26, 29, v21
	;; [unrolled: 1-line block ×4, first 2 shown]
	v_add_co_u32 v20, s15, v20, -1
	s_wait_alu 0xf1ff
	v_cndmask_b32_e64 v110, 0, 1, s15
	v_not_b32_e32 v114, v25
	v_cmp_gt_i32_e64 s15, 0, v25
	v_not_b32_e32 v25, v26
	v_lshlrev_b32_e32 v112, 26, v21
	v_cmp_ne_u32_e32 vcc_lo, 0, v110
	v_ashrrev_i32_e32 v114, 31, v114
	v_lshlrev_b32_e32 v113, 25, v21
	v_ashrrev_i32_e32 v25, 31, v25
	v_lshlrev_b32_e32 v110, 24, v21
	s_wait_alu 0xfffd
	v_xor_b32_e32 v20, vcc_lo, v20
	v_cmp_gt_i32_e32 vcc_lo, 0, v26
	v_not_b32_e32 v26, v27
	s_wait_alu 0xf1ff
	v_xor_b32_e32 v114, s15, v114
	v_cmp_gt_i32_e64 s15, 0, v27
	v_and_b32_e32 v20, exec_lo, v20
	v_not_b32_e32 v27, v111
	v_ashrrev_i32_e32 v26, 31, v26
	s_wait_alu 0xfffd
	v_xor_b32_e32 v25, vcc_lo, v25
	v_cmp_gt_i32_e32 vcc_lo, 0, v111
	v_and_b32_e32 v20, v20, v114
	v_not_b32_e32 v111, v112
	v_ashrrev_i32_e32 v27, 31, v27
	s_wait_alu 0xf1ff
	v_xor_b32_e32 v26, s15, v26
	v_cmp_gt_i32_e64 s15, 0, v112
	v_and_b32_e32 v20, v20, v25
	v_not_b32_e32 v25, v113
	v_ashrrev_i32_e32 v111, 31, v111
	s_wait_alu 0xfffd
	v_xor_b32_e32 v27, vcc_lo, v27
	v_cmp_gt_i32_e32 vcc_lo, 0, v113
	v_and_b32_e32 v20, v20, v26
	v_not_b32_e32 v26, v110
	v_ashrrev_i32_e32 v25, 31, v25
	s_wait_alu 0xf1ff
	v_xor_b32_e32 v111, s15, v111
	v_cmp_gt_i32_e64 s15, 0, v110
	v_and_b32_e32 v20, v20, v27
	v_ashrrev_i32_e32 v26, 31, v26
	s_wait_alu 0xfffd
	v_xor_b32_e32 v25, vcc_lo, v25
	v_mad_u32_u24 v27, v21, 36, v81
	v_mul_u32_u24_e32 v21, 36, v21
	v_and_b32_e32 v20, v20, v111
	s_wait_alu 0xf1ff
	v_xor_b32_e32 v26, s15, v26
	ds_load_b32 v110, v27 offset:1056
	v_add_nc_u32_e32 v113, v81, v21
	v_and_b32_e32 v20, v20, v25
	; wave barrier
	s_delay_alu instid0(VALU_DEP_1) | instskip(NEXT) | instid1(VALU_DEP_1)
	v_and_b32_e32 v20, v20, v26
	v_mbcnt_lo_u32_b32 v111, v20, 0
	v_cmp_ne_u32_e64 s15, 0, v20
	s_delay_alu instid0(VALU_DEP_2)
	v_cmp_eq_u32_e32 vcc_lo, 0, v111
	s_and_b32 s16, s15, vcc_lo
	s_wait_alu 0xfffe
	s_and_saveexec_b32 s15, s16
	s_cbranch_execz .LBB325_96
; %bb.95:                               ;   in Loop: Header=BB325_72 Depth=2
	s_wait_dscnt 0x0
	v_bcnt_u32_b32 v20, v20, v110
	ds_store_b32 v113, v20 offset:1056
.LBB325_96:                             ;   in Loop: Header=BB325_72 Depth=2
	s_wait_alu 0xfffe
	s_or_b32 exec_lo, exec_lo, s15
	v_xor_b32_e32 v112, 0x7f, v24
	; wave barrier
	s_delay_alu instid0(VALU_DEP_1) | instskip(NEXT) | instid1(VALU_DEP_1)
	v_and_b32_e32 v20, 0xff, v112
	v_lshrrev_b32_e32 v20, s30, v20
	s_delay_alu instid0(VALU_DEP_1) | instskip(NEXT) | instid1(VALU_DEP_1)
	v_and_b32_e32 v21, s31, v20
	v_and_b32_e32 v20, 1, v21
	v_lshlrev_b32_e32 v24, 30, v21
	v_lshlrev_b32_e32 v25, 29, v21
	;; [unrolled: 1-line block ×4, first 2 shown]
	v_add_co_u32 v20, s15, v20, -1
	s_wait_alu 0xf1ff
	v_cndmask_b32_e64 v27, 0, 1, s15
	v_not_b32_e32 v117, v24
	v_cmp_gt_i32_e64 s15, 0, v24
	v_not_b32_e32 v24, v25
	v_lshlrev_b32_e32 v115, 26, v21
	v_cmp_ne_u32_e32 vcc_lo, 0, v27
	v_ashrrev_i32_e32 v117, 31, v117
	v_lshlrev_b32_e32 v116, 25, v21
	v_ashrrev_i32_e32 v24, 31, v24
	v_lshlrev_b32_e32 v27, 24, v21
	s_wait_alu 0xfffd
	v_xor_b32_e32 v20, vcc_lo, v20
	v_cmp_gt_i32_e32 vcc_lo, 0, v25
	v_not_b32_e32 v25, v26
	s_wait_alu 0xf1ff
	v_xor_b32_e32 v117, s15, v117
	v_cmp_gt_i32_e64 s15, 0, v26
	v_and_b32_e32 v20, exec_lo, v20
	v_not_b32_e32 v26, v114
	v_ashrrev_i32_e32 v25, 31, v25
	s_wait_alu 0xfffd
	v_xor_b32_e32 v24, vcc_lo, v24
	v_cmp_gt_i32_e32 vcc_lo, 0, v114
	v_and_b32_e32 v20, v20, v117
	v_not_b32_e32 v114, v115
	v_ashrrev_i32_e32 v26, 31, v26
	s_wait_alu 0xf1ff
	v_xor_b32_e32 v25, s15, v25
	v_cmp_gt_i32_e64 s15, 0, v115
	v_and_b32_e32 v20, v20, v24
	v_not_b32_e32 v24, v116
	v_ashrrev_i32_e32 v114, 31, v114
	s_wait_alu 0xfffd
	v_xor_b32_e32 v26, vcc_lo, v26
	v_cmp_gt_i32_e32 vcc_lo, 0, v116
	v_and_b32_e32 v20, v20, v25
	v_not_b32_e32 v25, v27
	v_ashrrev_i32_e32 v24, 31, v24
	s_wait_alu 0xf1ff
	v_xor_b32_e32 v114, s15, v114
	v_cmp_gt_i32_e64 s15, 0, v27
	v_and_b32_e32 v20, v20, v26
	v_ashrrev_i32_e32 v25, 31, v25
	s_wait_alu 0xfffd
	v_xor_b32_e32 v24, vcc_lo, v24
	v_mad_u32_u24 v26, v21, 36, v81
	v_mul_u32_u24_e32 v21, 36, v21
	v_and_b32_e32 v20, v20, v114
	s_wait_alu 0xf1ff
	v_xor_b32_e32 v25, s15, v25
	ds_load_b32 v114, v26 offset:1056
	v_add_nc_u32_e32 v117, v81, v21
	v_and_b32_e32 v20, v20, v24
	; wave barrier
	s_delay_alu instid0(VALU_DEP_1) | instskip(NEXT) | instid1(VALU_DEP_1)
	v_and_b32_e32 v20, v20, v25
	v_mbcnt_lo_u32_b32 v115, v20, 0
	v_cmp_ne_u32_e64 s15, 0, v20
	s_delay_alu instid0(VALU_DEP_2)
	v_cmp_eq_u32_e32 vcc_lo, 0, v115
	s_and_b32 s16, s15, vcc_lo
	s_wait_alu 0xfffe
	s_and_saveexec_b32 s15, s16
	s_cbranch_execz .LBB325_98
; %bb.97:                               ;   in Loop: Header=BB325_72 Depth=2
	s_wait_dscnt 0x0
	v_bcnt_u32_b32 v20, v20, v114
	ds_store_b32 v117, v20 offset:1056
.LBB325_98:                             ;   in Loop: Header=BB325_72 Depth=2
	s_wait_alu 0xfffe
	s_or_b32 exec_lo, exec_lo, s15
	v_xor_b32_e32 v116, 0x7f, v23
	; wave barrier
	s_delay_alu instid0(VALU_DEP_1) | instskip(NEXT) | instid1(VALU_DEP_1)
	v_and_b32_e32 v20, 0xff, v116
	v_lshrrev_b32_e32 v20, s30, v20
	s_delay_alu instid0(VALU_DEP_1) | instskip(NEXT) | instid1(VALU_DEP_1)
	v_and_b32_e32 v21, s31, v20
	v_and_b32_e32 v20, 1, v21
	v_lshlrev_b32_e32 v23, 30, v21
	v_lshlrev_b32_e32 v24, 29, v21
	;; [unrolled: 1-line block ×4, first 2 shown]
	v_add_co_u32 v20, s15, v20, -1
	s_wait_alu 0xf1ff
	v_cndmask_b32_e64 v26, 0, 1, s15
	v_not_b32_e32 v120, v23
	v_cmp_gt_i32_e64 s15, 0, v23
	v_not_b32_e32 v23, v24
	v_lshlrev_b32_e32 v118, 26, v21
	v_cmp_ne_u32_e32 vcc_lo, 0, v26
	v_ashrrev_i32_e32 v120, 31, v120
	v_lshlrev_b32_e32 v119, 25, v21
	v_ashrrev_i32_e32 v23, 31, v23
	v_lshlrev_b32_e32 v26, 24, v21
	s_wait_alu 0xfffd
	v_xor_b32_e32 v20, vcc_lo, v20
	v_cmp_gt_i32_e32 vcc_lo, 0, v24
	v_not_b32_e32 v24, v25
	s_wait_alu 0xf1ff
	v_xor_b32_e32 v120, s15, v120
	v_cmp_gt_i32_e64 s15, 0, v25
	v_and_b32_e32 v20, exec_lo, v20
	v_not_b32_e32 v25, v27
	v_ashrrev_i32_e32 v24, 31, v24
	s_wait_alu 0xfffd
	v_xor_b32_e32 v23, vcc_lo, v23
	v_cmp_gt_i32_e32 vcc_lo, 0, v27
	v_and_b32_e32 v20, v20, v120
	v_not_b32_e32 v27, v118
	v_ashrrev_i32_e32 v25, 31, v25
	s_wait_alu 0xf1ff
	v_xor_b32_e32 v24, s15, v24
	v_cmp_gt_i32_e64 s15, 0, v118
	v_and_b32_e32 v20, v20, v23
	v_not_b32_e32 v23, v119
	v_ashrrev_i32_e32 v27, 31, v27
	s_wait_alu 0xfffd
	v_xor_b32_e32 v25, vcc_lo, v25
	v_cmp_gt_i32_e32 vcc_lo, 0, v119
	v_and_b32_e32 v20, v20, v24
	v_not_b32_e32 v24, v26
	v_ashrrev_i32_e32 v23, 31, v23
	s_wait_alu 0xf1ff
	v_xor_b32_e32 v27, s15, v27
	v_cmp_gt_i32_e64 s15, 0, v26
	v_and_b32_e32 v20, v20, v25
	v_ashrrev_i32_e32 v24, 31, v24
	s_wait_alu 0xfffd
	v_xor_b32_e32 v23, vcc_lo, v23
	v_mad_u32_u24 v25, v21, 36, v81
	v_mul_u32_u24_e32 v21, 36, v21
	v_and_b32_e32 v20, v20, v27
	s_wait_alu 0xf1ff
	v_xor_b32_e32 v24, s15, v24
	ds_load_b32 v118, v25 offset:1056
	v_add_nc_u32_e32 v121, v81, v21
	v_and_b32_e32 v20, v20, v23
	; wave barrier
	s_delay_alu instid0(VALU_DEP_1) | instskip(NEXT) | instid1(VALU_DEP_1)
	v_and_b32_e32 v20, v20, v24
	v_mbcnt_lo_u32_b32 v119, v20, 0
	v_cmp_ne_u32_e64 s15, 0, v20
	s_delay_alu instid0(VALU_DEP_2)
	v_cmp_eq_u32_e32 vcc_lo, 0, v119
	s_and_b32 s16, s15, vcc_lo
	s_wait_alu 0xfffe
	s_and_saveexec_b32 s15, s16
	s_cbranch_execz .LBB325_100
; %bb.99:                               ;   in Loop: Header=BB325_72 Depth=2
	s_wait_dscnt 0x0
	v_bcnt_u32_b32 v20, v20, v118
	ds_store_b32 v121, v20 offset:1056
.LBB325_100:                            ;   in Loop: Header=BB325_72 Depth=2
	s_wait_alu 0xfffe
	s_or_b32 exec_lo, exec_lo, s15
	v_xor_b32_e32 v120, 0x7f, v22
	; wave barrier
	s_delay_alu instid0(VALU_DEP_1) | instskip(NEXT) | instid1(VALU_DEP_1)
	v_and_b32_e32 v20, 0xff, v120
	v_lshrrev_b32_e32 v20, s30, v20
	s_delay_alu instid0(VALU_DEP_1) | instskip(NEXT) | instid1(VALU_DEP_1)
	v_and_b32_e32 v21, s31, v20
	v_and_b32_e32 v20, 1, v21
	v_lshlrev_b32_e32 v22, 30, v21
	v_lshlrev_b32_e32 v23, 29, v21
	;; [unrolled: 1-line block ×4, first 2 shown]
	v_add_co_u32 v20, s15, v20, -1
	s_wait_alu 0xf1ff
	v_cndmask_b32_e64 v25, 0, 1, s15
	v_not_b32_e32 v123, v22
	v_cmp_gt_i32_e64 s15, 0, v22
	v_not_b32_e32 v22, v23
	v_lshlrev_b32_e32 v27, 26, v21
	v_cmp_ne_u32_e32 vcc_lo, 0, v25
	v_ashrrev_i32_e32 v123, 31, v123
	v_lshlrev_b32_e32 v122, 25, v21
	v_ashrrev_i32_e32 v22, 31, v22
	v_lshlrev_b32_e32 v25, 24, v21
	s_wait_alu 0xfffd
	v_xor_b32_e32 v20, vcc_lo, v20
	v_cmp_gt_i32_e32 vcc_lo, 0, v23
	v_not_b32_e32 v23, v24
	s_wait_alu 0xf1ff
	v_xor_b32_e32 v123, s15, v123
	v_cmp_gt_i32_e64 s15, 0, v24
	v_and_b32_e32 v20, exec_lo, v20
	v_not_b32_e32 v24, v26
	v_ashrrev_i32_e32 v23, 31, v23
	s_wait_alu 0xfffd
	v_xor_b32_e32 v22, vcc_lo, v22
	v_cmp_gt_i32_e32 vcc_lo, 0, v26
	v_and_b32_e32 v20, v20, v123
	v_not_b32_e32 v26, v27
	v_ashrrev_i32_e32 v24, 31, v24
	s_wait_alu 0xf1ff
	v_xor_b32_e32 v23, s15, v23
	v_cmp_gt_i32_e64 s15, 0, v27
	v_and_b32_e32 v20, v20, v22
	v_not_b32_e32 v22, v122
	v_ashrrev_i32_e32 v26, 31, v26
	s_wait_alu 0xfffd
	v_xor_b32_e32 v24, vcc_lo, v24
	v_cmp_gt_i32_e32 vcc_lo, 0, v122
	v_and_b32_e32 v20, v20, v23
	v_not_b32_e32 v23, v25
	v_ashrrev_i32_e32 v22, 31, v22
	s_wait_alu 0xf1ff
	v_xor_b32_e32 v26, s15, v26
	v_cmp_gt_i32_e64 s15, 0, v25
	v_and_b32_e32 v20, v20, v24
	v_ashrrev_i32_e32 v23, 31, v23
	s_wait_alu 0xfffd
	v_xor_b32_e32 v22, vcc_lo, v22
	v_mad_u32_u24 v24, v21, 36, v81
	v_mul_u32_u24_e32 v21, 36, v21
	v_and_b32_e32 v20, v20, v26
	s_wait_alu 0xf1ff
	v_xor_b32_e32 v23, s15, v23
	ds_load_b32 v122, v24 offset:1056
	v_add_nc_u32_e32 v124, v81, v21
	v_and_b32_e32 v20, v20, v22
	; wave barrier
	s_delay_alu instid0(VALU_DEP_1) | instskip(NEXT) | instid1(VALU_DEP_1)
	v_and_b32_e32 v20, v20, v23
	v_mbcnt_lo_u32_b32 v123, v20, 0
	v_cmp_ne_u32_e64 s15, 0, v20
	s_delay_alu instid0(VALU_DEP_2)
	v_cmp_eq_u32_e32 vcc_lo, 0, v123
	s_and_b32 s16, s15, vcc_lo
	s_wait_alu 0xfffe
	s_and_saveexec_b32 s15, s16
	s_cbranch_execz .LBB325_102
; %bb.101:                              ;   in Loop: Header=BB325_72 Depth=2
	s_wait_dscnt 0x0
	v_bcnt_u32_b32 v20, v20, v122
	ds_store_b32 v124, v20 offset:1056
.LBB325_102:                            ;   in Loop: Header=BB325_72 Depth=2
	s_wait_alu 0xfffe
	s_or_b32 exec_lo, exec_lo, s15
	; wave barrier
	s_wait_loadcnt_dscnt 0x0
	s_barrier_signal -1
	s_barrier_wait -1
	global_inv scope:SCOPE_SE
	ds_load_2addr_b32 v[26:27], v94 offset1:1
	ds_load_2addr_b32 v[24:25], v95 offset1:1
	;; [unrolled: 1-line block ×4, first 2 shown]
	ds_load_b32 v125, v45 offset:1088
	s_wait_dscnt 0x3
	v_add3_u32 v126, v27, v26, v24
	s_wait_dscnt 0x2
	s_delay_alu instid0(VALU_DEP_1) | instskip(SKIP_1) | instid1(VALU_DEP_1)
	v_add3_u32 v126, v126, v25, v22
	s_wait_dscnt 0x1
	v_add3_u32 v126, v126, v23, v20
	s_wait_dscnt 0x0
	s_delay_alu instid0(VALU_DEP_1) | instskip(NEXT) | instid1(VALU_DEP_1)
	v_add3_u32 v125, v126, v21, v125
	v_mov_b32_dpp v126, v125 row_shr:1 row_mask:0xf bank_mask:0xf
	s_delay_alu instid0(VALU_DEP_1) | instskip(NEXT) | instid1(VALU_DEP_1)
	v_cndmask_b32_e64 v126, v126, 0, s0
	v_add_nc_u32_e32 v125, v126, v125
	s_delay_alu instid0(VALU_DEP_1) | instskip(NEXT) | instid1(VALU_DEP_1)
	v_mov_b32_dpp v126, v125 row_shr:2 row_mask:0xf bank_mask:0xf
	v_cndmask_b32_e64 v126, 0, v126, s1
	s_delay_alu instid0(VALU_DEP_1) | instskip(NEXT) | instid1(VALU_DEP_1)
	v_add_nc_u32_e32 v125, v125, v126
	v_mov_b32_dpp v126, v125 row_shr:4 row_mask:0xf bank_mask:0xf
	s_delay_alu instid0(VALU_DEP_1) | instskip(NEXT) | instid1(VALU_DEP_1)
	v_cndmask_b32_e64 v126, 0, v126, s9
	v_add_nc_u32_e32 v125, v125, v126
	s_delay_alu instid0(VALU_DEP_1) | instskip(NEXT) | instid1(VALU_DEP_1)
	v_mov_b32_dpp v126, v125 row_shr:8 row_mask:0xf bank_mask:0xf
	v_cndmask_b32_e64 v126, 0, v126, s10
	s_delay_alu instid0(VALU_DEP_1) | instskip(SKIP_3) | instid1(VALU_DEP_1)
	v_add_nc_u32_e32 v125, v125, v126
	ds_swizzle_b32 v126, v125 offset:swizzle(BROADCAST,32,15)
	s_wait_dscnt 0x0
	v_cndmask_b32_e64 v126, v126, 0, s11
	v_add_nc_u32_e32 v125, v125, v126
	s_and_saveexec_b32 s15, s3
; %bb.103:                              ;   in Loop: Header=BB325_72 Depth=2
	ds_store_b32 v38, v125 offset:1024
; %bb.104:                              ;   in Loop: Header=BB325_72 Depth=2
	s_wait_alu 0xfffe
	s_or_b32 exec_lo, exec_lo, s15
	s_wait_loadcnt_dscnt 0x0
	s_barrier_signal -1
	s_barrier_wait -1
	global_inv scope:SCOPE_SE
	s_and_saveexec_b32 s15, s4
	s_cbranch_execz .LBB325_106
; %bb.105:                              ;   in Loop: Header=BB325_72 Depth=2
	v_add_nc_u32_e32 v126, v45, v46
	ds_load_b32 v127, v126 offset:1024
	s_wait_dscnt 0x0
	v_mov_b32_dpp v128, v127 row_shr:1 row_mask:0xf bank_mask:0xf
	s_delay_alu instid0(VALU_DEP_1) | instskip(NEXT) | instid1(VALU_DEP_1)
	v_cndmask_b32_e64 v128, v128, 0, s12
	v_add_nc_u32_e32 v127, v128, v127
	s_delay_alu instid0(VALU_DEP_1) | instskip(NEXT) | instid1(VALU_DEP_1)
	v_mov_b32_dpp v128, v127 row_shr:2 row_mask:0xf bank_mask:0xf
	v_cndmask_b32_e64 v128, 0, v128, s13
	s_delay_alu instid0(VALU_DEP_1) | instskip(NEXT) | instid1(VALU_DEP_1)
	v_add_nc_u32_e32 v127, v127, v128
	v_mov_b32_dpp v128, v127 row_shr:4 row_mask:0xf bank_mask:0xf
	s_delay_alu instid0(VALU_DEP_1) | instskip(NEXT) | instid1(VALU_DEP_1)
	v_cndmask_b32_e64 v128, 0, v128, s14
	v_add_nc_u32_e32 v127, v127, v128
	ds_store_b32 v126, v127 offset:1024
.LBB325_106:                            ;   in Loop: Header=BB325_72 Depth=2
	s_wait_alu 0xfffe
	s_or_b32 exec_lo, exec_lo, s15
	v_mov_b32_e32 v126, 0
	s_wait_loadcnt_dscnt 0x0
	s_barrier_signal -1
	s_barrier_wait -1
	global_inv scope:SCOPE_SE
	s_and_saveexec_b32 s15, s5
; %bb.107:                              ;   in Loop: Header=BB325_72 Depth=2
	ds_load_b32 v126, v38 offset:1020
; %bb.108:                              ;   in Loop: Header=BB325_72 Depth=2
	s_wait_alu 0xfffe
	s_or_b32 exec_lo, exec_lo, s15
	s_wait_dscnt 0x0
	v_add_nc_u32_e32 v125, v126, v125
	ds_bpermute_b32 v125, v80, v125
	s_wait_dscnt 0x0
	v_cndmask_b32_e64 v125, v125, v126, s8
	s_delay_alu instid0(VALU_DEP_1) | instskip(NEXT) | instid1(VALU_DEP_1)
	v_cndmask_b32_e64 v125, v125, 0, s6
	v_add_nc_u32_e32 v26, v125, v26
	s_delay_alu instid0(VALU_DEP_1) | instskip(NEXT) | instid1(VALU_DEP_1)
	v_add_nc_u32_e32 v27, v26, v27
	v_add_nc_u32_e32 v24, v27, v24
	s_delay_alu instid0(VALU_DEP_1) | instskip(NEXT) | instid1(VALU_DEP_1)
	v_add_nc_u32_e32 v25, v24, v25
	;; [unrolled: 3-line block ×3, first 2 shown]
	v_add_nc_u32_e32 v20, v23, v20
	s_delay_alu instid0(VALU_DEP_1)
	v_add_nc_u32_e32 v21, v20, v21
	ds_store_2addr_b32 v93, v23, v20 offset1:1
	ds_store_2addr_b32 v94, v125, v26 offset1:1
	;; [unrolled: 1-line block ×4, first 2 shown]
	ds_store_b32 v45, v21 offset:1088
	s_wait_loadcnt_dscnt 0x0
	s_barrier_signal -1
	s_barrier_wait -1
	global_inv scope:SCOPE_SE
	ds_load_b32 v20, v97 offset:1056
	ds_load_b32 v21, v101 offset:1056
	;; [unrolled: 1-line block ×9, first 2 shown]
	v_mov_b32_e32 v22, 0x800
	s_and_saveexec_b32 s15, s7
; %bb.109:                              ;   in Loop: Header=BB325_72 Depth=2
	ds_load_b32 v22, v45 offset:1092
; %bb.110:                              ;   in Loop: Header=BB325_72 Depth=2
	s_wait_alu 0xfffe
	s_or_b32 exec_lo, exec_lo, s15
	s_wait_loadcnt_dscnt 0x0
	s_barrier_signal -1
	s_barrier_wait -1
	global_inv scope:SCOPE_SE
	s_and_saveexec_b32 s15, s2
	s_cbranch_execz .LBB325_112
; %bb.111:                              ;   in Loop: Header=BB325_72 Depth=2
	ds_load_b32 v27, v28
	s_wait_dscnt 0x0
	v_sub_nc_u32_e32 v26, v27, v26
	ds_store_b32 v28, v26
.LBB325_112:                            ;   in Loop: Header=BB325_72 Depth=2
	s_wait_alu 0xfffe
	s_or_b32 exec_lo, exec_lo, s15
	v_add_nc_u32_e32 v94, v20, v91
	v_add3_u32 v93, v99, v98, v21
	v_add3_u32 v91, v103, v102, v23
	;; [unrolled: 1-line block ×7, first 2 shown]
	v_cmp_lt_u32_e64 s20, v1, v2
	ds_store_b8 v94, v90 offset:1024
	ds_store_b8 v93, v92 offset:1024
	;; [unrolled: 1-line block ×8, first 2 shown]
	s_wait_loadcnt_dscnt 0x0
	s_barrier_signal -1
	s_barrier_wait -1
	global_inv scope:SCOPE_SE
	s_and_saveexec_b32 s15, s20
	s_cbranch_execnz .LBB325_149
; %bb.113:                              ;   in Loop: Header=BB325_72 Depth=2
	s_wait_alu 0xfffe
	s_or_b32 exec_lo, exec_lo, s15
	v_cmp_lt_u32_e64 s21, v29, v2
	s_and_saveexec_b32 s15, s21
	s_cbranch_execnz .LBB325_150
.LBB325_114:                            ;   in Loop: Header=BB325_72 Depth=2
	s_wait_alu 0xfffe
	s_or_b32 exec_lo, exec_lo, s15
	v_cmp_lt_u32_e64 s19, v30, v2
	s_and_saveexec_b32 s15, s19
	s_cbranch_execnz .LBB325_151
.LBB325_115:                            ;   in Loop: Header=BB325_72 Depth=2
	s_wait_alu 0xfffe
	s_or_b32 exec_lo, exec_lo, s15
	v_cmp_lt_u32_e64 s18, v31, v2
	s_and_saveexec_b32 s15, s18
	s_cbranch_execnz .LBB325_152
.LBB325_116:                            ;   in Loop: Header=BB325_72 Depth=2
	s_wait_alu 0xfffe
	s_or_b32 exec_lo, exec_lo, s15
	v_cmp_lt_u32_e64 s17, v34, v2
	s_and_saveexec_b32 s15, s17
	s_cbranch_execnz .LBB325_153
.LBB325_117:                            ;   in Loop: Header=BB325_72 Depth=2
	s_wait_alu 0xfffe
	s_or_b32 exec_lo, exec_lo, s15
	v_cmp_lt_u32_e64 s16, v35, v2
	s_and_saveexec_b32 s15, s16
	s_cbranch_execnz .LBB325_154
.LBB325_118:                            ;   in Loop: Header=BB325_72 Depth=2
	s_wait_alu 0xfffe
	s_or_b32 exec_lo, exec_lo, s15
	v_cmp_lt_u32_e64 s15, v36, v2
	s_and_saveexec_b32 s44, s15
	s_cbranch_execnz .LBB325_155
.LBB325_119:                            ;   in Loop: Header=BB325_72 Depth=2
	s_wait_alu 0xfffe
	s_or_b32 exec_lo, exec_lo, s44
	v_cmp_lt_u32_e32 vcc_lo, v37, v2
	s_and_saveexec_b32 s44, vcc_lo
	s_cbranch_execz .LBB325_121
.LBB325_120:                            ;   in Loop: Header=BB325_72 Depth=2
	ds_load_u8 v20, v1 offset:2816
	s_wait_dscnt 0x0
	v_and_b32_e32 v21, 0xff, v20
	v_xor_b32_e32 v20, 0x7f, v20
	s_delay_alu instid0(VALU_DEP_2) | instskip(NEXT) | instid1(VALU_DEP_1)
	v_lshrrev_b32_e32 v21, s30, v21
	v_and_b32_e32 v21, s31, v21
	s_delay_alu instid0(VALU_DEP_1)
	v_lshlrev_b32_e32 v21, 2, v21
	ds_load_b32 v21, v21
	s_wait_dscnt 0x0
	v_add_nc_u32_e32 v21, v21, v37
	global_store_b8 v21, v20, s[38:39]
.LBB325_121:                            ;   in Loop: Header=BB325_72 Depth=2
	s_wait_alu 0xfffe
	s_or_b32 exec_lo, exec_lo, s44
	s_lshl_b64 s[48:49], s[22:23], 3
	s_wait_alu 0xfffe
	v_add_co_u32 v20, s22, v69, s48
	s_wait_alu 0xf1ff
	v_add_co_ci_u32_e64 v21, null, s49, v70, s22
	v_cmp_lt_u32_e64 s22, v68, v2
	s_and_saveexec_b32 s44, s22
	s_wait_alu 0xfffe
	s_xor_b32 s22, exec_lo, s44
	s_cbranch_execnz .LBB325_156
; %bb.122:                              ;   in Loop: Header=BB325_72 Depth=2
	s_wait_alu 0xfffe
	s_or_b32 exec_lo, exec_lo, s22
	s_delay_alu instid0(SALU_CYCLE_1)
	s_mov_b32 s44, exec_lo
	v_cmpx_lt_u32_e64 v71, v2
	s_cbranch_execnz .LBB325_157
.LBB325_123:                            ;   in Loop: Header=BB325_72 Depth=2
	s_wait_alu 0xfffe
	s_or_b32 exec_lo, exec_lo, s44
	s_delay_alu instid0(SALU_CYCLE_1)
	s_mov_b32 s44, exec_lo
	v_cmpx_lt_u32_e64 v72, v2
	s_cbranch_execnz .LBB325_158
.LBB325_124:                            ;   in Loop: Header=BB325_72 Depth=2
	s_wait_alu 0xfffe
	s_or_b32 exec_lo, exec_lo, s44
	s_delay_alu instid0(SALU_CYCLE_1)
	s_mov_b32 s44, exec_lo
	v_cmpx_lt_u32_e64 v73, v2
	s_cbranch_execnz .LBB325_159
.LBB325_125:                            ;   in Loop: Header=BB325_72 Depth=2
	s_wait_alu 0xfffe
	s_or_b32 exec_lo, exec_lo, s44
	s_delay_alu instid0(SALU_CYCLE_1)
	s_mov_b32 s44, exec_lo
	v_cmpx_lt_u32_e64 v74, v2
	s_cbranch_execnz .LBB325_160
.LBB325_126:                            ;   in Loop: Header=BB325_72 Depth=2
	s_wait_alu 0xfffe
	s_or_b32 exec_lo, exec_lo, s44
	s_delay_alu instid0(SALU_CYCLE_1)
	s_mov_b32 s44, exec_lo
	v_cmpx_lt_u32_e64 v75, v2
	s_cbranch_execnz .LBB325_161
.LBB325_127:                            ;   in Loop: Header=BB325_72 Depth=2
	s_wait_alu 0xfffe
	s_or_b32 exec_lo, exec_lo, s44
	s_delay_alu instid0(SALU_CYCLE_1)
	s_mov_b32 s44, exec_lo
	v_cmpx_lt_u32_e64 v76, v2
	s_cbranch_execnz .LBB325_162
.LBB325_128:                            ;   in Loop: Header=BB325_72 Depth=2
	s_wait_alu 0xfffe
	s_or_b32 exec_lo, exec_lo, s44
	s_delay_alu instid0(SALU_CYCLE_1)
	s_mov_b32 s44, exec_lo
	v_cmpx_lt_u32_e64 v77, v2
	s_cbranch_execnz .LBB325_163
.LBB325_129:                            ;   in Loop: Header=BB325_72 Depth=2
	s_wait_alu 0xfffe
	s_or_b32 exec_lo, exec_lo, s44
	s_and_saveexec_b32 s22, s20
	s_cbranch_execnz .LBB325_164
.LBB325_130:                            ;   in Loop: Header=BB325_72 Depth=2
	s_wait_alu 0xfffe
	s_or_b32 exec_lo, exec_lo, s22
	s_and_saveexec_b32 s22, s21
	s_cbranch_execnz .LBB325_165
.LBB325_131:                            ;   in Loop: Header=BB325_72 Depth=2
	s_wait_alu 0xfffe
	s_or_b32 exec_lo, exec_lo, s22
	s_and_saveexec_b32 s22, s19
	s_cbranch_execnz .LBB325_166
.LBB325_132:                            ;   in Loop: Header=BB325_72 Depth=2
	s_wait_alu 0xfffe
	s_or_b32 exec_lo, exec_lo, s22
	s_and_saveexec_b32 s22, s18
	s_cbranch_execnz .LBB325_167
.LBB325_133:                            ;   in Loop: Header=BB325_72 Depth=2
	s_wait_alu 0xfffe
	s_or_b32 exec_lo, exec_lo, s22
	s_and_saveexec_b32 s22, s17
	s_cbranch_execnz .LBB325_168
.LBB325_134:                            ;   in Loop: Header=BB325_72 Depth=2
	s_wait_alu 0xfffe
	s_or_b32 exec_lo, exec_lo, s22
	s_and_saveexec_b32 s22, s16
	s_cbranch_execnz .LBB325_169
.LBB325_135:                            ;   in Loop: Header=BB325_72 Depth=2
	s_wait_alu 0xfffe
	s_or_b32 exec_lo, exec_lo, s22
	s_and_saveexec_b32 s22, s15
	s_cbranch_execnz .LBB325_170
.LBB325_136:                            ;   in Loop: Header=BB325_72 Depth=2
	s_wait_alu 0xfffe
	s_or_b32 exec_lo, exec_lo, s22
	s_and_saveexec_b32 s22, vcc_lo
	s_cbranch_execz .LBB325_138
.LBB325_137:                            ;   in Loop: Header=BB325_72 Depth=2
	ds_load_u8 v2, v1 offset:2816
	s_wait_dscnt 0x0
	v_lshrrev_b32_e32 v2, s30, v2
	s_delay_alu instid0(VALU_DEP_1)
	v_and_b32_e32 v82, s31, v2
.LBB325_138:                            ;   in Loop: Header=BB325_72 Depth=2
	s_wait_alu 0xfffe
	s_or_b32 exec_lo, exec_lo, s22
	v_lshlrev_b32_e32 v2, 3, v94
	v_lshlrev_b32_e32 v20, 3, v93
	;; [unrolled: 1-line block ×3, first 2 shown]
	s_wait_loadcnt 0x0
	s_wait_storecnt 0x0
	s_barrier_signal -1
	s_barrier_wait -1
	global_inv scope:SCOPE_SE
	ds_store_b64 v2, v[18:19] offset:1024
	ds_store_b64 v20, v[16:17] offset:1024
	;; [unrolled: 1-line block ×3, first 2 shown]
	v_lshlrev_b32_e32 v2, 3, v27
	v_lshlrev_b32_e32 v20, 3, v26
	;; [unrolled: 1-line block ×5, first 2 shown]
	ds_store_b64 v2, v[12:13] offset:1024
	ds_store_b64 v20, v[10:11] offset:1024
	;; [unrolled: 1-line block ×5, first 2 shown]
	s_wait_loadcnt_dscnt 0x0
	s_barrier_signal -1
	s_barrier_wait -1
	global_inv scope:SCOPE_SE
	s_and_saveexec_b32 s22, s20
	s_cbranch_execnz .LBB325_171
; %bb.139:                              ;   in Loop: Header=BB325_72 Depth=2
	s_wait_alu 0xfffe
	s_or_b32 exec_lo, exec_lo, s22
	s_and_saveexec_b32 s22, s21
	s_cbranch_execnz .LBB325_172
.LBB325_140:                            ;   in Loop: Header=BB325_72 Depth=2
	s_wait_alu 0xfffe
	s_or_b32 exec_lo, exec_lo, s22
	s_and_saveexec_b32 s20, s19
	s_cbranch_execnz .LBB325_173
.LBB325_141:                            ;   in Loop: Header=BB325_72 Depth=2
	s_wait_alu 0xfffe
	s_or_b32 exec_lo, exec_lo, s20
	s_and_saveexec_b32 s19, s18
	s_cbranch_execnz .LBB325_174
.LBB325_142:                            ;   in Loop: Header=BB325_72 Depth=2
	s_wait_alu 0xfffe
	s_or_b32 exec_lo, exec_lo, s19
	s_and_saveexec_b32 s18, s17
	s_cbranch_execnz .LBB325_175
.LBB325_143:                            ;   in Loop: Header=BB325_72 Depth=2
	s_wait_alu 0xfffe
	s_or_b32 exec_lo, exec_lo, s18
	s_and_saveexec_b32 s17, s16
	s_cbranch_execnz .LBB325_176
.LBB325_144:                            ;   in Loop: Header=BB325_72 Depth=2
	s_wait_alu 0xfffe
	s_or_b32 exec_lo, exec_lo, s17
	s_and_saveexec_b32 s16, s15
	s_cbranch_execnz .LBB325_177
.LBB325_145:                            ;   in Loop: Header=BB325_72 Depth=2
	s_wait_alu 0xfffe
	s_or_b32 exec_lo, exec_lo, s16
	s_and_saveexec_b32 s15, vcc_lo
	s_cbranch_execz .LBB325_147
.LBB325_146:                            ;   in Loop: Header=BB325_72 Depth=2
	v_lshlrev_b32_e32 v2, 2, v82
	v_add_nc_u32_e32 v20, v1, v47
	ds_load_b32 v2, v2
	ds_load_b64 v[20:21], v20 offset:15360
	s_wait_dscnt 0x1
	v_add_nc_u32_e32 v2, v2, v37
	s_delay_alu instid0(VALU_DEP_1) | instskip(NEXT) | instid1(VALU_DEP_1)
	v_lshlrev_b64_e32 v[23:24], 3, v[2:3]
	v_add_co_u32 v23, vcc_lo, s24, v23
	s_wait_alu 0xfffd
	s_delay_alu instid0(VALU_DEP_2)
	v_add_co_ci_u32_e64 v24, null, s25, v24, vcc_lo
	s_wait_dscnt 0x0
	global_store_b64 v[23:24], v[20:21], off
.LBB325_147:                            ;   in Loop: Header=BB325_72 Depth=2
	s_wait_alu 0xfffe
	s_or_b32 exec_lo, exec_lo, s15
	s_wait_loadcnt 0x0
	s_wait_storecnt 0x0
	s_barrier_signal -1
	s_barrier_wait -1
	global_inv scope:SCOPE_SE
	s_and_saveexec_b32 s15, s2
	s_cbranch_execz .LBB325_71
; %bb.148:                              ;   in Loop: Header=BB325_72 Depth=2
	ds_load_b32 v2, v28
	s_wait_dscnt 0x0
	v_add_nc_u32_e32 v2, v2, v22
	ds_store_b32 v28, v2
	s_branch .LBB325_71
.LBB325_149:                            ;   in Loop: Header=BB325_72 Depth=2
	ds_load_u8 v20, v1 offset:1024
	s_wait_dscnt 0x0
	v_and_b32_e32 v21, 0xff, v20
	v_xor_b32_e32 v20, 0x7f, v20
	s_delay_alu instid0(VALU_DEP_2) | instskip(NEXT) | instid1(VALU_DEP_1)
	v_lshrrev_b32_e32 v21, s30, v21
	v_and_b32_e32 v21, s31, v21
	s_delay_alu instid0(VALU_DEP_1)
	v_lshlrev_b32_e32 v21, 2, v21
	ds_load_b32 v21, v21
	s_wait_dscnt 0x0
	v_add_nc_u32_e32 v21, v21, v1
	global_store_b8 v21, v20, s[38:39]
	s_wait_alu 0xfffe
	s_or_b32 exec_lo, exec_lo, s15
	v_cmp_lt_u32_e64 s21, v29, v2
	s_and_saveexec_b32 s15, s21
	s_cbranch_execz .LBB325_114
.LBB325_150:                            ;   in Loop: Header=BB325_72 Depth=2
	ds_load_u8 v20, v1 offset:1280
	s_wait_dscnt 0x0
	v_and_b32_e32 v21, 0xff, v20
	v_xor_b32_e32 v20, 0x7f, v20
	s_delay_alu instid0(VALU_DEP_2) | instskip(NEXT) | instid1(VALU_DEP_1)
	v_lshrrev_b32_e32 v21, s30, v21
	v_and_b32_e32 v21, s31, v21
	s_delay_alu instid0(VALU_DEP_1)
	v_lshlrev_b32_e32 v21, 2, v21
	ds_load_b32 v21, v21
	s_wait_dscnt 0x0
	v_add_nc_u32_e32 v21, v21, v29
	global_store_b8 v21, v20, s[38:39]
	s_wait_alu 0xfffe
	s_or_b32 exec_lo, exec_lo, s15
	v_cmp_lt_u32_e64 s19, v30, v2
	s_and_saveexec_b32 s15, s19
	s_cbranch_execz .LBB325_115
.LBB325_151:                            ;   in Loop: Header=BB325_72 Depth=2
	ds_load_u8 v20, v1 offset:1536
	s_wait_dscnt 0x0
	v_and_b32_e32 v21, 0xff, v20
	v_xor_b32_e32 v20, 0x7f, v20
	s_delay_alu instid0(VALU_DEP_2) | instskip(NEXT) | instid1(VALU_DEP_1)
	v_lshrrev_b32_e32 v21, s30, v21
	v_and_b32_e32 v21, s31, v21
	s_delay_alu instid0(VALU_DEP_1)
	v_lshlrev_b32_e32 v21, 2, v21
	ds_load_b32 v21, v21
	s_wait_dscnt 0x0
	v_add_nc_u32_e32 v21, v21, v30
	global_store_b8 v21, v20, s[38:39]
	s_wait_alu 0xfffe
	s_or_b32 exec_lo, exec_lo, s15
	v_cmp_lt_u32_e64 s18, v31, v2
	s_and_saveexec_b32 s15, s18
	s_cbranch_execz .LBB325_116
.LBB325_152:                            ;   in Loop: Header=BB325_72 Depth=2
	ds_load_u8 v20, v1 offset:1792
	s_wait_dscnt 0x0
	v_and_b32_e32 v21, 0xff, v20
	v_xor_b32_e32 v20, 0x7f, v20
	s_delay_alu instid0(VALU_DEP_2) | instskip(NEXT) | instid1(VALU_DEP_1)
	v_lshrrev_b32_e32 v21, s30, v21
	v_and_b32_e32 v21, s31, v21
	s_delay_alu instid0(VALU_DEP_1)
	v_lshlrev_b32_e32 v21, 2, v21
	ds_load_b32 v21, v21
	s_wait_dscnt 0x0
	v_add_nc_u32_e32 v21, v21, v31
	global_store_b8 v21, v20, s[38:39]
	s_wait_alu 0xfffe
	s_or_b32 exec_lo, exec_lo, s15
	v_cmp_lt_u32_e64 s17, v34, v2
	s_and_saveexec_b32 s15, s17
	s_cbranch_execz .LBB325_117
.LBB325_153:                            ;   in Loop: Header=BB325_72 Depth=2
	ds_load_u8 v20, v1 offset:2048
	s_wait_dscnt 0x0
	v_and_b32_e32 v21, 0xff, v20
	v_xor_b32_e32 v20, 0x7f, v20
	s_delay_alu instid0(VALU_DEP_2) | instskip(NEXT) | instid1(VALU_DEP_1)
	v_lshrrev_b32_e32 v21, s30, v21
	v_and_b32_e32 v21, s31, v21
	s_delay_alu instid0(VALU_DEP_1)
	v_lshlrev_b32_e32 v21, 2, v21
	ds_load_b32 v21, v21
	s_wait_dscnt 0x0
	v_add_nc_u32_e32 v21, v21, v34
	global_store_b8 v21, v20, s[38:39]
	s_wait_alu 0xfffe
	s_or_b32 exec_lo, exec_lo, s15
	v_cmp_lt_u32_e64 s16, v35, v2
	s_and_saveexec_b32 s15, s16
	s_cbranch_execz .LBB325_118
.LBB325_154:                            ;   in Loop: Header=BB325_72 Depth=2
	ds_load_u8 v20, v1 offset:2304
	s_wait_dscnt 0x0
	v_and_b32_e32 v21, 0xff, v20
	v_xor_b32_e32 v20, 0x7f, v20
	s_delay_alu instid0(VALU_DEP_2) | instskip(NEXT) | instid1(VALU_DEP_1)
	v_lshrrev_b32_e32 v21, s30, v21
	v_and_b32_e32 v21, s31, v21
	s_delay_alu instid0(VALU_DEP_1)
	v_lshlrev_b32_e32 v21, 2, v21
	ds_load_b32 v21, v21
	s_wait_dscnt 0x0
	v_add_nc_u32_e32 v21, v21, v35
	global_store_b8 v21, v20, s[38:39]
	s_wait_alu 0xfffe
	s_or_b32 exec_lo, exec_lo, s15
	v_cmp_lt_u32_e64 s15, v36, v2
	s_and_saveexec_b32 s44, s15
	s_cbranch_execz .LBB325_119
.LBB325_155:                            ;   in Loop: Header=BB325_72 Depth=2
	ds_load_u8 v20, v1 offset:2560
	s_wait_dscnt 0x0
	v_and_b32_e32 v21, 0xff, v20
	v_xor_b32_e32 v20, 0x7f, v20
	s_delay_alu instid0(VALU_DEP_2) | instskip(NEXT) | instid1(VALU_DEP_1)
	v_lshrrev_b32_e32 v21, s30, v21
	v_and_b32_e32 v21, s31, v21
	s_delay_alu instid0(VALU_DEP_1)
	v_lshlrev_b32_e32 v21, 2, v21
	ds_load_b32 v21, v21
	s_wait_dscnt 0x0
	v_add_nc_u32_e32 v21, v21, v36
	global_store_b8 v21, v20, s[38:39]
	s_wait_alu 0xfffe
	s_or_b32 exec_lo, exec_lo, s44
	v_cmp_lt_u32_e32 vcc_lo, v37, v2
	s_and_saveexec_b32 s44, vcc_lo
	s_cbranch_execnz .LBB325_120
	s_branch .LBB325_121
.LBB325_156:                            ;   in Loop: Header=BB325_72 Depth=2
	global_load_b64 v[18:19], v[20:21], off
	s_wait_alu 0xfffe
	s_or_b32 exec_lo, exec_lo, s22
	s_delay_alu instid0(SALU_CYCLE_1)
	s_mov_b32 s44, exec_lo
	v_cmpx_lt_u32_e64 v71, v2
	s_cbranch_execz .LBB325_123
.LBB325_157:                            ;   in Loop: Header=BB325_72 Depth=2
	global_load_b64 v[16:17], v[20:21], off offset:256
	s_wait_alu 0xfffe
	s_or_b32 exec_lo, exec_lo, s44
	s_delay_alu instid0(SALU_CYCLE_1)
	s_mov_b32 s44, exec_lo
	v_cmpx_lt_u32_e64 v72, v2
	s_cbranch_execz .LBB325_124
.LBB325_158:                            ;   in Loop: Header=BB325_72 Depth=2
	global_load_b64 v[14:15], v[20:21], off offset:512
	s_wait_alu 0xfffe
	s_or_b32 exec_lo, exec_lo, s44
	s_delay_alu instid0(SALU_CYCLE_1)
	s_mov_b32 s44, exec_lo
	v_cmpx_lt_u32_e64 v73, v2
	s_cbranch_execz .LBB325_125
.LBB325_159:                            ;   in Loop: Header=BB325_72 Depth=2
	global_load_b64 v[12:13], v[20:21], off offset:768
	s_wait_alu 0xfffe
	s_or_b32 exec_lo, exec_lo, s44
	s_delay_alu instid0(SALU_CYCLE_1)
	s_mov_b32 s44, exec_lo
	v_cmpx_lt_u32_e64 v74, v2
	s_cbranch_execz .LBB325_126
.LBB325_160:                            ;   in Loop: Header=BB325_72 Depth=2
	global_load_b64 v[10:11], v[20:21], off offset:1024
	s_wait_alu 0xfffe
	s_or_b32 exec_lo, exec_lo, s44
	s_delay_alu instid0(SALU_CYCLE_1)
	s_mov_b32 s44, exec_lo
	v_cmpx_lt_u32_e64 v75, v2
	s_cbranch_execz .LBB325_127
.LBB325_161:                            ;   in Loop: Header=BB325_72 Depth=2
	global_load_b64 v[8:9], v[20:21], off offset:1280
	s_wait_alu 0xfffe
	s_or_b32 exec_lo, exec_lo, s44
	s_delay_alu instid0(SALU_CYCLE_1)
	s_mov_b32 s44, exec_lo
	v_cmpx_lt_u32_e64 v76, v2
	s_cbranch_execz .LBB325_128
.LBB325_162:                            ;   in Loop: Header=BB325_72 Depth=2
	global_load_b64 v[6:7], v[20:21], off offset:1536
	s_wait_alu 0xfffe
	s_or_b32 exec_lo, exec_lo, s44
	s_delay_alu instid0(SALU_CYCLE_1)
	s_mov_b32 s44, exec_lo
	v_cmpx_lt_u32_e64 v77, v2
	s_cbranch_execz .LBB325_129
.LBB325_163:                            ;   in Loop: Header=BB325_72 Depth=2
	global_load_b64 v[4:5], v[20:21], off offset:1792
	s_wait_alu 0xfffe
	s_or_b32 exec_lo, exec_lo, s44
	s_and_saveexec_b32 s22, s20
	s_cbranch_execz .LBB325_130
.LBB325_164:                            ;   in Loop: Header=BB325_72 Depth=2
	ds_load_u8 v2, v1 offset:1024
	s_wait_dscnt 0x0
	v_lshrrev_b32_e32 v2, s30, v2
	s_delay_alu instid0(VALU_DEP_1)
	v_and_b32_e32 v89, s31, v2
	s_wait_alu 0xfffe
	s_or_b32 exec_lo, exec_lo, s22
	s_and_saveexec_b32 s22, s21
	s_cbranch_execz .LBB325_131
.LBB325_165:                            ;   in Loop: Header=BB325_72 Depth=2
	ds_load_u8 v2, v1 offset:1280
	s_wait_dscnt 0x0
	v_lshrrev_b32_e32 v2, s30, v2
	s_delay_alu instid0(VALU_DEP_1)
	v_and_b32_e32 v88, s31, v2
	s_wait_alu 0xfffe
	s_or_b32 exec_lo, exec_lo, s22
	s_and_saveexec_b32 s22, s19
	s_cbranch_execz .LBB325_132
.LBB325_166:                            ;   in Loop: Header=BB325_72 Depth=2
	ds_load_u8 v2, v1 offset:1536
	s_wait_dscnt 0x0
	v_lshrrev_b32_e32 v2, s30, v2
	s_delay_alu instid0(VALU_DEP_1)
	v_and_b32_e32 v87, s31, v2
	s_wait_alu 0xfffe
	s_or_b32 exec_lo, exec_lo, s22
	s_and_saveexec_b32 s22, s18
	s_cbranch_execz .LBB325_133
.LBB325_167:                            ;   in Loop: Header=BB325_72 Depth=2
	ds_load_u8 v2, v1 offset:1792
	s_wait_dscnt 0x0
	v_lshrrev_b32_e32 v2, s30, v2
	s_delay_alu instid0(VALU_DEP_1)
	v_and_b32_e32 v86, s31, v2
	s_wait_alu 0xfffe
	s_or_b32 exec_lo, exec_lo, s22
	s_and_saveexec_b32 s22, s17
	s_cbranch_execz .LBB325_134
.LBB325_168:                            ;   in Loop: Header=BB325_72 Depth=2
	ds_load_u8 v2, v1 offset:2048
	s_wait_dscnt 0x0
	v_lshrrev_b32_e32 v2, s30, v2
	s_delay_alu instid0(VALU_DEP_1)
	v_and_b32_e32 v85, s31, v2
	s_wait_alu 0xfffe
	s_or_b32 exec_lo, exec_lo, s22
	s_and_saveexec_b32 s22, s16
	s_cbranch_execz .LBB325_135
.LBB325_169:                            ;   in Loop: Header=BB325_72 Depth=2
	ds_load_u8 v2, v1 offset:2304
	s_wait_dscnt 0x0
	v_lshrrev_b32_e32 v2, s30, v2
	s_delay_alu instid0(VALU_DEP_1)
	v_and_b32_e32 v84, s31, v2
	s_wait_alu 0xfffe
	s_or_b32 exec_lo, exec_lo, s22
	s_and_saveexec_b32 s22, s15
	s_cbranch_execz .LBB325_136
.LBB325_170:                            ;   in Loop: Header=BB325_72 Depth=2
	ds_load_u8 v2, v1 offset:2560
	s_wait_dscnt 0x0
	v_lshrrev_b32_e32 v2, s30, v2
	s_delay_alu instid0(VALU_DEP_1)
	v_and_b32_e32 v83, s31, v2
	s_wait_alu 0xfffe
	s_or_b32 exec_lo, exec_lo, s22
	s_and_saveexec_b32 s22, vcc_lo
	s_cbranch_execnz .LBB325_137
	s_branch .LBB325_138
.LBB325_171:                            ;   in Loop: Header=BB325_72 Depth=2
	v_lshlrev_b32_e32 v2, 2, v89
	v_add_nc_u32_e32 v20, v1, v47
	ds_load_b32 v2, v2
	ds_load_b64 v[20:21], v20 offset:1024
	s_wait_dscnt 0x1
	v_add_nc_u32_e32 v2, v2, v1
	s_delay_alu instid0(VALU_DEP_1) | instskip(NEXT) | instid1(VALU_DEP_1)
	v_lshlrev_b64_e32 v[23:24], 3, v[2:3]
	v_add_co_u32 v23, s20, s24, v23
	s_wait_alu 0xf1ff
	s_delay_alu instid0(VALU_DEP_2)
	v_add_co_ci_u32_e64 v24, null, s25, v24, s20
	s_wait_dscnt 0x0
	global_store_b64 v[23:24], v[20:21], off
	s_wait_alu 0xfffe
	s_or_b32 exec_lo, exec_lo, s22
	s_and_saveexec_b32 s22, s21
	s_cbranch_execz .LBB325_140
.LBB325_172:                            ;   in Loop: Header=BB325_72 Depth=2
	v_lshlrev_b32_e32 v2, 2, v88
	v_add_nc_u32_e32 v20, v1, v47
	ds_load_b32 v2, v2
	ds_load_b64 v[20:21], v20 offset:3072
	s_wait_dscnt 0x1
	v_add_nc_u32_e32 v2, v2, v29
	s_delay_alu instid0(VALU_DEP_1) | instskip(NEXT) | instid1(VALU_DEP_1)
	v_lshlrev_b64_e32 v[23:24], 3, v[2:3]
	v_add_co_u32 v23, s20, s24, v23
	s_wait_alu 0xf1ff
	s_delay_alu instid0(VALU_DEP_2)
	v_add_co_ci_u32_e64 v24, null, s25, v24, s20
	s_wait_dscnt 0x0
	global_store_b64 v[23:24], v[20:21], off
	s_wait_alu 0xfffe
	s_or_b32 exec_lo, exec_lo, s22
	s_and_saveexec_b32 s20, s19
	s_cbranch_execz .LBB325_141
.LBB325_173:                            ;   in Loop: Header=BB325_72 Depth=2
	v_lshlrev_b32_e32 v2, 2, v87
	v_add_nc_u32_e32 v20, v1, v47
	ds_load_b32 v2, v2
	ds_load_b64 v[20:21], v20 offset:5120
	s_wait_dscnt 0x1
	v_add_nc_u32_e32 v2, v2, v30
	s_delay_alu instid0(VALU_DEP_1) | instskip(NEXT) | instid1(VALU_DEP_1)
	v_lshlrev_b64_e32 v[23:24], 3, v[2:3]
	v_add_co_u32 v23, s19, s24, v23
	s_wait_alu 0xf1ff
	s_delay_alu instid0(VALU_DEP_2)
	v_add_co_ci_u32_e64 v24, null, s25, v24, s19
	s_wait_dscnt 0x0
	global_store_b64 v[23:24], v[20:21], off
	s_wait_alu 0xfffe
	s_or_b32 exec_lo, exec_lo, s20
	s_and_saveexec_b32 s19, s18
	s_cbranch_execz .LBB325_142
.LBB325_174:                            ;   in Loop: Header=BB325_72 Depth=2
	v_lshlrev_b32_e32 v2, 2, v86
	v_add_nc_u32_e32 v20, v1, v47
	ds_load_b32 v2, v2
	ds_load_b64 v[20:21], v20 offset:7168
	s_wait_dscnt 0x1
	v_add_nc_u32_e32 v2, v2, v31
	s_delay_alu instid0(VALU_DEP_1) | instskip(NEXT) | instid1(VALU_DEP_1)
	v_lshlrev_b64_e32 v[23:24], 3, v[2:3]
	v_add_co_u32 v23, s18, s24, v23
	s_wait_alu 0xf1ff
	s_delay_alu instid0(VALU_DEP_2)
	v_add_co_ci_u32_e64 v24, null, s25, v24, s18
	s_wait_dscnt 0x0
	global_store_b64 v[23:24], v[20:21], off
	s_wait_alu 0xfffe
	s_or_b32 exec_lo, exec_lo, s19
	s_and_saveexec_b32 s18, s17
	s_cbranch_execz .LBB325_143
.LBB325_175:                            ;   in Loop: Header=BB325_72 Depth=2
	v_lshlrev_b32_e32 v2, 2, v85
	v_add_nc_u32_e32 v20, v1, v47
	ds_load_b32 v2, v2
	ds_load_b64 v[20:21], v20 offset:9216
	s_wait_dscnt 0x1
	v_add_nc_u32_e32 v2, v2, v34
	s_delay_alu instid0(VALU_DEP_1) | instskip(NEXT) | instid1(VALU_DEP_1)
	v_lshlrev_b64_e32 v[23:24], 3, v[2:3]
	v_add_co_u32 v23, s17, s24, v23
	s_wait_alu 0xf1ff
	s_delay_alu instid0(VALU_DEP_2)
	v_add_co_ci_u32_e64 v24, null, s25, v24, s17
	s_wait_dscnt 0x0
	global_store_b64 v[23:24], v[20:21], off
	s_wait_alu 0xfffe
	s_or_b32 exec_lo, exec_lo, s18
	s_and_saveexec_b32 s17, s16
	s_cbranch_execz .LBB325_144
.LBB325_176:                            ;   in Loop: Header=BB325_72 Depth=2
	v_lshlrev_b32_e32 v2, 2, v84
	v_add_nc_u32_e32 v20, v1, v47
	ds_load_b32 v2, v2
	ds_load_b64 v[20:21], v20 offset:11264
	s_wait_dscnt 0x1
	v_add_nc_u32_e32 v2, v2, v35
	s_delay_alu instid0(VALU_DEP_1) | instskip(NEXT) | instid1(VALU_DEP_1)
	v_lshlrev_b64_e32 v[23:24], 3, v[2:3]
	v_add_co_u32 v23, s16, s24, v23
	s_wait_alu 0xf1ff
	s_delay_alu instid0(VALU_DEP_2)
	v_add_co_ci_u32_e64 v24, null, s25, v24, s16
	s_wait_dscnt 0x0
	global_store_b64 v[23:24], v[20:21], off
	s_wait_alu 0xfffe
	s_or_b32 exec_lo, exec_lo, s17
	s_and_saveexec_b32 s16, s15
	s_cbranch_execz .LBB325_145
.LBB325_177:                            ;   in Loop: Header=BB325_72 Depth=2
	v_lshlrev_b32_e32 v2, 2, v83
	v_add_nc_u32_e32 v20, v1, v47
	ds_load_b32 v2, v2
	ds_load_b64 v[20:21], v20 offset:13312
	s_wait_dscnt 0x1
	v_add_nc_u32_e32 v2, v2, v36
	s_delay_alu instid0(VALU_DEP_1) | instskip(NEXT) | instid1(VALU_DEP_1)
	v_lshlrev_b64_e32 v[23:24], 3, v[2:3]
	v_add_co_u32 v23, s15, s24, v23
	s_wait_alu 0xf1ff
	s_delay_alu instid0(VALU_DEP_2)
	v_add_co_ci_u32_e64 v24, null, s25, v24, s15
	s_wait_dscnt 0x0
	global_store_b64 v[23:24], v[20:21], off
	s_wait_alu 0xfffe
	s_or_b32 exec_lo, exec_lo, s16
	s_and_saveexec_b32 s15, vcc_lo
	s_cbranch_execnz .LBB325_146
	s_branch .LBB325_147
.LBB325_178:                            ;   in Loop: Header=BB325_72 Depth=2
	global_load_u8 v90, v[20:21], off
	v_dual_mov_b32 v22, 0x80 :: v_dual_mov_b32 v27, 0x80
	v_dual_mov_b32 v92, 0x80 :: v_dual_mov_b32 v25, 0x80
	;; [unrolled: 1-line block ×3, first 2 shown]
	v_mov_b32_e32 v24, 0x80
	s_wait_alu 0xfffe
	s_or_b32 exec_lo, exec_lo, s15
	s_delay_alu instid0(SALU_CYCLE_1)
	s_mov_b32 s15, exec_lo
	v_cmpx_gt_u32_e64 s42, v71
	s_cbranch_execz .LBB325_77
.LBB325_179:                            ;   in Loop: Header=BB325_72 Depth=2
	global_load_u8 v92, v[20:21], off offset:32
	s_wait_alu 0xfffe
	s_or_b32 exec_lo, exec_lo, s15
	s_delay_alu instid0(SALU_CYCLE_1)
	s_mov_b32 s15, exec_lo
	v_cmpx_gt_u32_e64 s42, v72
	s_cbranch_execz .LBB325_78
.LBB325_180:                            ;   in Loop: Header=BB325_72 Depth=2
	global_load_u8 v27, v[20:21], off offset:64
	s_wait_alu 0xfffe
	s_or_b32 exec_lo, exec_lo, s15
	s_delay_alu instid0(SALU_CYCLE_1)
	s_mov_b32 s15, exec_lo
	v_cmpx_gt_u32_e64 s42, v73
	s_cbranch_execz .LBB325_79
.LBB325_181:                            ;   in Loop: Header=BB325_72 Depth=2
	global_load_u8 v26, v[20:21], off offset:96
	s_wait_alu 0xfffe
	s_or_b32 exec_lo, exec_lo, s15
	s_delay_alu instid0(SALU_CYCLE_1)
	s_mov_b32 s15, exec_lo
	v_cmpx_gt_u32_e64 s42, v74
	s_cbranch_execz .LBB325_80
.LBB325_182:                            ;   in Loop: Header=BB325_72 Depth=2
	global_load_u8 v25, v[20:21], off offset:128
	s_wait_alu 0xfffe
	s_or_b32 exec_lo, exec_lo, s15
	s_delay_alu instid0(SALU_CYCLE_1)
	s_mov_b32 s15, exec_lo
	v_cmpx_gt_u32_e64 s42, v75
	s_cbranch_execz .LBB325_81
.LBB325_183:                            ;   in Loop: Header=BB325_72 Depth=2
	global_load_u8 v24, v[20:21], off offset:160
	s_wait_alu 0xfffe
	s_or_b32 exec_lo, exec_lo, s15
	s_delay_alu instid0(SALU_CYCLE_1)
	s_mov_b32 s15, exec_lo
	v_cmpx_gt_u32_e64 s42, v76
	s_cbranch_execnz .LBB325_82
	s_branch .LBB325_83
.LBB325_184:                            ;   in Loop: Header=BB325_20 Depth=1
	s_wait_loadcnt_dscnt 0x0
	s_barrier_signal -1
	s_mov_b32 s0, 0
	s_barrier_wait -1
.LBB325_185:                            ;   in Loop: Header=BB325_20 Depth=1
	s_wait_alu 0xfffe
	s_and_b32 vcc_lo, exec_lo, s0
	s_wait_alu 0xfffe
	s_cbranch_vccz .LBB325_349
; %bb.186:                              ;   in Loop: Header=BB325_20 Depth=1
	v_dual_mov_b32 v7, 0 :: v_dual_mov_b32 v10, 0
	v_dual_mov_b32 v9, 0 :: v_dual_mov_b32 v8, 0
	v_dual_mov_b32 v6, 0 :: v_dual_mov_b32 v5, 0
	v_mov_b32_e32 v4, 0
	v_mov_b32_e32 v2, 0
	s_mov_b32 s9, s47
	s_mov_b32 s22, s33
	s_barrier_signal -1
	s_barrier_wait -1
	global_inv scope:SCOPE_SE
	s_branch .LBB325_188
.LBB325_187:                            ;   in Loop: Header=BB325_188 Depth=2
	s_wait_alu 0xfffe
	s_or_b32 exec_lo, exec_lo, s0
	s_addk_co_i32 s9, 0xf800
	s_cmp_ge_u32 s10, s34
	s_mov_b32 s22, s10
	s_cbranch_scc1 .LBB325_224
.LBB325_188:                            ;   Parent Loop BB325_20 Depth=1
                                        ; =>  This Inner Loop Header: Depth=2
	s_wait_alu 0xfffe
	s_add_co_i32 s10, s22, 0x800
	s_mov_b32 s0, -1
	s_wait_alu 0xfffe
	s_cmp_gt_u32 s10, s34
                                        ; implicit-def: $vgpr11
                                        ; implicit-def: $vgpr12
                                        ; implicit-def: $vgpr13
                                        ; implicit-def: $vgpr14
                                        ; implicit-def: $vgpr15
                                        ; implicit-def: $vgpr16
                                        ; implicit-def: $vgpr17
                                        ; implicit-def: $vgpr18
	s_cbranch_scc1 .LBB325_190
; %bb.189:                              ;   in Loop: Header=BB325_188 Depth=2
	v_add_co_u32 v19, vcc_lo, v48, s22
	s_wait_alu 0xfffd
	v_add_co_ci_u32_e64 v20, null, 0, v49, vcc_lo
	s_mov_b32 s0, 0
	s_clause 0x7
	global_load_u8 v18, v[19:20], off offset:1792
	global_load_u8 v17, v[19:20], off offset:1536
	;; [unrolled: 1-line block ×7, first 2 shown]
	global_load_u8 v11, v[19:20], off
.LBB325_190:                            ;   in Loop: Header=BB325_188 Depth=2
	s_wait_alu 0xfffe
	s_and_not1_b32 vcc_lo, exec_lo, s0
	s_movk_i32 s0, 0x800
	s_wait_alu 0xfffe
	s_cbranch_vccnz .LBB325_201
; %bb.191:                              ;   in Loop: Header=BB325_188 Depth=2
	s_add_nc_u64 s[0:1], s[38:39], s[22:23]
	s_mov_b32 s11, exec_lo
	v_cmpx_gt_u32_e64 s9, v1
	s_cbranch_execnz .LBB325_217
; %bb.192:                              ;   in Loop: Header=BB325_188 Depth=2
	s_wait_alu 0xfffe
	s_or_b32 exec_lo, exec_lo, s11
	s_delay_alu instid0(SALU_CYCLE_1)
	s_mov_b32 s11, exec_lo
	v_cmpx_gt_u32_e64 s9, v29
	s_cbranch_execnz .LBB325_218
.LBB325_193:                            ;   in Loop: Header=BB325_188 Depth=2
	s_wait_alu 0xfffe
	s_or_b32 exec_lo, exec_lo, s11
	s_delay_alu instid0(SALU_CYCLE_1)
	s_mov_b32 s11, exec_lo
	v_cmpx_gt_u32_e64 s9, v30
	s_cbranch_execnz .LBB325_219
.LBB325_194:                            ;   in Loop: Header=BB325_188 Depth=2
	s_wait_alu 0xfffe
	s_or_b32 exec_lo, exec_lo, s11
	s_delay_alu instid0(SALU_CYCLE_1)
	s_mov_b32 s11, exec_lo
	v_cmpx_gt_u32_e64 s9, v31
	s_cbranch_execnz .LBB325_220
.LBB325_195:                            ;   in Loop: Header=BB325_188 Depth=2
	s_wait_alu 0xfffe
	s_or_b32 exec_lo, exec_lo, s11
	s_delay_alu instid0(SALU_CYCLE_1)
	s_mov_b32 s11, exec_lo
	v_cmpx_gt_u32_e64 s9, v34
	s_cbranch_execnz .LBB325_221
.LBB325_196:                            ;   in Loop: Header=BB325_188 Depth=2
	s_wait_alu 0xfffe
	s_or_b32 exec_lo, exec_lo, s11
	s_delay_alu instid0(SALU_CYCLE_1)
	s_mov_b32 s11, exec_lo
	v_cmpx_gt_u32_e64 s9, v35
	s_cbranch_execnz .LBB325_222
.LBB325_197:                            ;   in Loop: Header=BB325_188 Depth=2
	s_wait_alu 0xfffe
	s_or_b32 exec_lo, exec_lo, s11
	s_delay_alu instid0(SALU_CYCLE_1)
	s_mov_b32 s11, exec_lo
	v_cmpx_gt_u32_e64 s9, v36
	s_cbranch_execnz .LBB325_223
.LBB325_198:                            ;   in Loop: Header=BB325_188 Depth=2
	s_wait_alu 0xfffe
	s_or_b32 exec_lo, exec_lo, s11
	s_delay_alu instid0(SALU_CYCLE_1)
	s_mov_b32 s11, exec_lo
	v_cmpx_gt_u32_e64 s9, v37
	s_cbranch_execz .LBB325_200
.LBB325_199:                            ;   in Loop: Header=BB325_188 Depth=2
	s_wait_loadcnt 0x0
	v_add_co_u32 v11, s0, s0, v1
	s_wait_alu 0xf1ff
	v_add_co_ci_u32_e64 v12, null, s1, 0, s0
	global_load_u8 v2, v[11:12], off offset:1792
.LBB325_200:                            ;   in Loop: Header=BB325_188 Depth=2
	s_wait_alu 0xfffe
	s_or_b32 exec_lo, exec_lo, s11
	s_wait_loadcnt 0x0
	v_dual_mov_b32 v11, v7 :: v_dual_mov_b32 v12, v10
	v_dual_mov_b32 v13, v9 :: v_dual_mov_b32 v14, v8
	;; [unrolled: 1-line block ×4, first 2 shown]
	s_mov_b32 s0, s9
.LBB325_201:                            ;   in Loop: Header=BB325_188 Depth=2
	s_wait_loadcnt 0x5
	s_delay_alu instid0(VALU_DEP_1)
	v_dual_mov_b32 v2, v18 :: v_dual_mov_b32 v5, v16
	s_wait_loadcnt 0x2
	v_dual_mov_b32 v4, v17 :: v_dual_mov_b32 v9, v13
	s_wait_loadcnt 0x0
	v_dual_mov_b32 v6, v15 :: v_dual_mov_b32 v7, v11
	v_mov_b32_e32 v8, v14
	v_mov_b32_e32 v10, v12
	s_mov_b32 s1, exec_lo
	s_wait_alu 0xfffe
	v_cmpx_gt_u32_e64 s0, v1
	s_cbranch_execnz .LBB325_209
; %bb.202:                              ;   in Loop: Header=BB325_188 Depth=2
	s_or_b32 exec_lo, exec_lo, s1
	s_delay_alu instid0(SALU_CYCLE_1)
	s_mov_b32 s1, exec_lo
	v_cmpx_gt_u32_e64 s0, v29
	s_cbranch_execnz .LBB325_210
.LBB325_203:                            ;   in Loop: Header=BB325_188 Depth=2
	s_wait_alu 0xfffe
	s_or_b32 exec_lo, exec_lo, s1
	s_delay_alu instid0(SALU_CYCLE_1)
	s_mov_b32 s1, exec_lo
	v_cmpx_gt_u32_e64 s0, v30
	s_cbranch_execnz .LBB325_211
.LBB325_204:                            ;   in Loop: Header=BB325_188 Depth=2
	s_wait_alu 0xfffe
	s_or_b32 exec_lo, exec_lo, s1
	s_delay_alu instid0(SALU_CYCLE_1)
	s_mov_b32 s1, exec_lo
	v_cmpx_gt_u32_e64 s0, v31
	s_cbranch_execnz .LBB325_212
.LBB325_205:                            ;   in Loop: Header=BB325_188 Depth=2
	s_wait_alu 0xfffe
	s_or_b32 exec_lo, exec_lo, s1
	s_delay_alu instid0(SALU_CYCLE_1)
	s_mov_b32 s1, exec_lo
	v_cmpx_gt_u32_e64 s0, v34
	s_cbranch_execnz .LBB325_213
.LBB325_206:                            ;   in Loop: Header=BB325_188 Depth=2
	s_wait_alu 0xfffe
	s_or_b32 exec_lo, exec_lo, s1
	s_delay_alu instid0(SALU_CYCLE_1)
	s_mov_b32 s1, exec_lo
	v_cmpx_gt_u32_e64 s0, v35
	s_cbranch_execnz .LBB325_214
.LBB325_207:                            ;   in Loop: Header=BB325_188 Depth=2
	s_wait_alu 0xfffe
	s_or_b32 exec_lo, exec_lo, s1
	s_delay_alu instid0(SALU_CYCLE_1)
	s_mov_b32 s1, exec_lo
	v_cmpx_gt_u32_e64 s0, v36
	s_cbranch_execnz .LBB325_215
.LBB325_208:                            ;   in Loop: Header=BB325_188 Depth=2
	s_wait_alu 0xfffe
	s_or_b32 exec_lo, exec_lo, s1
	v_cmp_gt_u32_e32 vcc_lo, s0, v37
	s_and_saveexec_b32 s0, vcc_lo
	s_cbranch_execz .LBB325_187
	s_branch .LBB325_216
.LBB325_209:                            ;   in Loop: Header=BB325_188 Depth=2
	v_xor_b32_e32 v11, 0x7f, v7
	s_delay_alu instid0(VALU_DEP_1) | instskip(NEXT) | instid1(VALU_DEP_1)
	v_and_b32_e32 v11, 0xff, v11
	v_lshrrev_b32_e32 v11, s30, v11
	s_delay_alu instid0(VALU_DEP_1) | instskip(NEXT) | instid1(VALU_DEP_1)
	v_and_b32_e32 v11, s31, v11
	v_lshl_or_b32 v11, v11, 4, v39
	ds_add_u32 v11, v61
	s_or_b32 exec_lo, exec_lo, s1
	s_delay_alu instid0(SALU_CYCLE_1)
	s_mov_b32 s1, exec_lo
	v_cmpx_gt_u32_e64 s0, v29
	s_cbranch_execz .LBB325_203
.LBB325_210:                            ;   in Loop: Header=BB325_188 Depth=2
	v_xor_b32_e32 v11, 0x7f, v10
	s_delay_alu instid0(VALU_DEP_1) | instskip(NEXT) | instid1(VALU_DEP_1)
	v_and_b32_e32 v11, 0xff, v11
	v_lshrrev_b32_e32 v11, s30, v11
	s_delay_alu instid0(VALU_DEP_1) | instskip(NEXT) | instid1(VALU_DEP_1)
	v_and_b32_e32 v11, s31, v11
	v_lshl_or_b32 v11, v11, 4, v39
	ds_add_u32 v11, v61
	s_wait_alu 0xfffe
	s_or_b32 exec_lo, exec_lo, s1
	s_delay_alu instid0(SALU_CYCLE_1)
	s_mov_b32 s1, exec_lo
	v_cmpx_gt_u32_e64 s0, v30
	s_cbranch_execz .LBB325_204
.LBB325_211:                            ;   in Loop: Header=BB325_188 Depth=2
	v_xor_b32_e32 v11, 0x7f, v9
	s_delay_alu instid0(VALU_DEP_1) | instskip(NEXT) | instid1(VALU_DEP_1)
	v_and_b32_e32 v11, 0xff, v11
	v_lshrrev_b32_e32 v11, s30, v11
	s_delay_alu instid0(VALU_DEP_1) | instskip(NEXT) | instid1(VALU_DEP_1)
	v_and_b32_e32 v11, s31, v11
	v_lshl_or_b32 v11, v11, 4, v39
	ds_add_u32 v11, v61
	s_wait_alu 0xfffe
	s_or_b32 exec_lo, exec_lo, s1
	s_delay_alu instid0(SALU_CYCLE_1)
	s_mov_b32 s1, exec_lo
	v_cmpx_gt_u32_e64 s0, v31
	s_cbranch_execz .LBB325_205
.LBB325_212:                            ;   in Loop: Header=BB325_188 Depth=2
	v_xor_b32_e32 v11, 0x7f, v8
	s_delay_alu instid0(VALU_DEP_1) | instskip(NEXT) | instid1(VALU_DEP_1)
	v_and_b32_e32 v11, 0xff, v11
	v_lshrrev_b32_e32 v11, s30, v11
	s_delay_alu instid0(VALU_DEP_1) | instskip(NEXT) | instid1(VALU_DEP_1)
	v_and_b32_e32 v11, s31, v11
	v_lshl_or_b32 v11, v11, 4, v39
	ds_add_u32 v11, v61
	s_wait_alu 0xfffe
	s_or_b32 exec_lo, exec_lo, s1
	s_delay_alu instid0(SALU_CYCLE_1)
	s_mov_b32 s1, exec_lo
	v_cmpx_gt_u32_e64 s0, v34
	s_cbranch_execz .LBB325_206
.LBB325_213:                            ;   in Loop: Header=BB325_188 Depth=2
	v_xor_b32_e32 v11, 0x7f, v6
	s_delay_alu instid0(VALU_DEP_1) | instskip(NEXT) | instid1(VALU_DEP_1)
	v_and_b32_e32 v11, 0xff, v11
	v_lshrrev_b32_e32 v11, s30, v11
	s_delay_alu instid0(VALU_DEP_1) | instskip(NEXT) | instid1(VALU_DEP_1)
	v_and_b32_e32 v11, s31, v11
	v_lshl_or_b32 v11, v11, 4, v39
	ds_add_u32 v11, v61
	s_wait_alu 0xfffe
	s_or_b32 exec_lo, exec_lo, s1
	s_delay_alu instid0(SALU_CYCLE_1)
	s_mov_b32 s1, exec_lo
	v_cmpx_gt_u32_e64 s0, v35
	s_cbranch_execz .LBB325_207
.LBB325_214:                            ;   in Loop: Header=BB325_188 Depth=2
	v_xor_b32_e32 v11, 0x7f, v5
	s_delay_alu instid0(VALU_DEP_1) | instskip(NEXT) | instid1(VALU_DEP_1)
	v_and_b32_e32 v11, 0xff, v11
	v_lshrrev_b32_e32 v11, s30, v11
	s_delay_alu instid0(VALU_DEP_1) | instskip(NEXT) | instid1(VALU_DEP_1)
	v_and_b32_e32 v11, s31, v11
	v_lshl_or_b32 v11, v11, 4, v39
	ds_add_u32 v11, v61
	s_wait_alu 0xfffe
	s_or_b32 exec_lo, exec_lo, s1
	s_delay_alu instid0(SALU_CYCLE_1)
	s_mov_b32 s1, exec_lo
	v_cmpx_gt_u32_e64 s0, v36
	s_cbranch_execz .LBB325_208
.LBB325_215:                            ;   in Loop: Header=BB325_188 Depth=2
	v_xor_b32_e32 v11, 0x7f, v4
	s_delay_alu instid0(VALU_DEP_1) | instskip(NEXT) | instid1(VALU_DEP_1)
	v_and_b32_e32 v11, 0xff, v11
	v_lshrrev_b32_e32 v11, s30, v11
	s_delay_alu instid0(VALU_DEP_1) | instskip(NEXT) | instid1(VALU_DEP_1)
	v_and_b32_e32 v11, s31, v11
	v_lshl_or_b32 v11, v11, 4, v39
	ds_add_u32 v11, v61
	s_wait_alu 0xfffe
	s_or_b32 exec_lo, exec_lo, s1
	v_cmp_gt_u32_e32 vcc_lo, s0, v37
	s_and_saveexec_b32 s0, vcc_lo
	s_cbranch_execz .LBB325_187
.LBB325_216:                            ;   in Loop: Header=BB325_188 Depth=2
	v_xor_b32_e32 v11, 0x7f, v2
	s_delay_alu instid0(VALU_DEP_1) | instskip(NEXT) | instid1(VALU_DEP_1)
	v_and_b32_e32 v11, 0xff, v11
	v_lshrrev_b32_e32 v11, s30, v11
	s_delay_alu instid0(VALU_DEP_1) | instskip(NEXT) | instid1(VALU_DEP_1)
	v_and_b32_e32 v11, s31, v11
	v_lshl_or_b32 v11, v11, 4, v39
	ds_add_u32 v11, v61
	s_branch .LBB325_187
.LBB325_217:                            ;   in Loop: Header=BB325_188 Depth=2
	s_wait_loadcnt 0x0
	s_wait_alu 0xfffe
	v_add_co_u32 v11, s12, s0, v1
	s_wait_alu 0xf1ff
	v_add_co_ci_u32_e64 v12, null, s1, 0, s12
	global_load_u8 v7, v[11:12], off
	s_or_b32 exec_lo, exec_lo, s11
	s_delay_alu instid0(SALU_CYCLE_1)
	s_mov_b32 s11, exec_lo
	v_cmpx_gt_u32_e64 s9, v29
	s_cbranch_execz .LBB325_193
.LBB325_218:                            ;   in Loop: Header=BB325_188 Depth=2
	v_add_co_u32 v10, s12, s0, v1
	s_wait_loadcnt 0x0
	s_wait_alu 0xf1ff
	v_add_co_ci_u32_e64 v11, null, s1, 0, s12
	global_load_u8 v10, v[10:11], off offset:256
	s_wait_alu 0xfffe
	s_or_b32 exec_lo, exec_lo, s11
	s_delay_alu instid0(SALU_CYCLE_1)
	s_mov_b32 s11, exec_lo
	v_cmpx_gt_u32_e64 s9, v30
	s_cbranch_execz .LBB325_194
.LBB325_219:                            ;   in Loop: Header=BB325_188 Depth=2
	s_wait_loadcnt 0x0
	v_add_co_u32 v11, s12, s0, v1
	s_wait_alu 0xf1ff
	v_add_co_ci_u32_e64 v12, null, s1, 0, s12
	global_load_u8 v9, v[11:12], off offset:512
	s_wait_alu 0xfffe
	s_or_b32 exec_lo, exec_lo, s11
	s_delay_alu instid0(SALU_CYCLE_1)
	s_mov_b32 s11, exec_lo
	v_cmpx_gt_u32_e64 s9, v31
	s_cbranch_execz .LBB325_195
.LBB325_220:                            ;   in Loop: Header=BB325_188 Depth=2
	s_wait_loadcnt 0x0
	v_add_co_u32 v11, s12, s0, v1
	s_wait_alu 0xf1ff
	v_add_co_ci_u32_e64 v12, null, s1, 0, s12
	global_load_u8 v8, v[11:12], off offset:768
	s_wait_alu 0xfffe
	s_or_b32 exec_lo, exec_lo, s11
	s_delay_alu instid0(SALU_CYCLE_1)
	s_mov_b32 s11, exec_lo
	v_cmpx_gt_u32_e64 s9, v34
	s_cbranch_execz .LBB325_196
.LBB325_221:                            ;   in Loop: Header=BB325_188 Depth=2
	s_wait_loadcnt 0x0
	v_add_co_u32 v11, s12, s0, v1
	s_wait_alu 0xf1ff
	v_add_co_ci_u32_e64 v12, null, s1, 0, s12
	global_load_u8 v6, v[11:12], off offset:1024
	s_wait_alu 0xfffe
	s_or_b32 exec_lo, exec_lo, s11
	s_delay_alu instid0(SALU_CYCLE_1)
	s_mov_b32 s11, exec_lo
	v_cmpx_gt_u32_e64 s9, v35
	s_cbranch_execz .LBB325_197
.LBB325_222:                            ;   in Loop: Header=BB325_188 Depth=2
	s_wait_loadcnt 0x0
	v_add_co_u32 v11, s12, s0, v1
	s_wait_alu 0xf1ff
	v_add_co_ci_u32_e64 v12, null, s1, 0, s12
	global_load_u8 v5, v[11:12], off offset:1280
	s_wait_alu 0xfffe
	s_or_b32 exec_lo, exec_lo, s11
	s_delay_alu instid0(SALU_CYCLE_1)
	s_mov_b32 s11, exec_lo
	v_cmpx_gt_u32_e64 s9, v36
	s_cbranch_execz .LBB325_198
.LBB325_223:                            ;   in Loop: Header=BB325_188 Depth=2
	s_wait_loadcnt 0x0
	v_add_co_u32 v11, s12, s0, v1
	s_wait_alu 0xf1ff
	v_add_co_ci_u32_e64 v12, null, s1, 0, s12
	global_load_u8 v4, v[11:12], off offset:1536
	s_wait_alu 0xfffe
	s_or_b32 exec_lo, exec_lo, s11
	s_delay_alu instid0(SALU_CYCLE_1)
	s_mov_b32 s11, exec_lo
	v_cmpx_gt_u32_e64 s9, v37
	s_cbranch_execnz .LBB325_199
	s_branch .LBB325_200
.LBB325_224:                            ;   in Loop: Header=BB325_20 Depth=1
	v_mov_b32_e32 v2, 0
	s_wait_dscnt 0x0
	s_barrier_signal -1
	s_barrier_wait -1
	global_inv scope:SCOPE_SE
	s_and_saveexec_b32 s0, s2
	s_cbranch_execz .LBB325_226
; %bb.225:                              ;   in Loop: Header=BB325_20 Depth=1
	ds_load_2addr_b64 v[4:7], v40 offset1:1
	s_wait_dscnt 0x0
	v_add_nc_u32_e32 v2, v5, v4
	s_delay_alu instid0(VALU_DEP_1)
	v_add3_u32 v2, v2, v6, v7
.LBB325_226:                            ;   in Loop: Header=BB325_20 Depth=1
	s_wait_alu 0xfffe
	s_or_b32 exec_lo, exec_lo, s0
	s_delay_alu instid0(VALU_DEP_1)
	v_mov_b32_dpp v4, v2 row_shr:1 row_mask:0xf bank_mask:0xf
	v_cmp_eq_u32_e64 s0, 0, v62
	v_cmp_lt_u32_e64 s1, 1, v62
	v_cmp_lt_u32_e64 s9, 3, v62
	;; [unrolled: 1-line block ×3, first 2 shown]
	v_cmp_eq_u32_e64 s11, 0, v64
	s_wait_alu 0xf1ff
	v_cndmask_b32_e64 v4, v4, 0, s0
	s_delay_alu instid0(VALU_DEP_1) | instskip(NEXT) | instid1(VALU_DEP_1)
	v_add_nc_u32_e32 v2, v4, v2
	v_mov_b32_dpp v4, v2 row_shr:2 row_mask:0xf bank_mask:0xf
	s_delay_alu instid0(VALU_DEP_1) | instskip(NEXT) | instid1(VALU_DEP_1)
	v_cndmask_b32_e64 v4, 0, v4, s1
	v_add_nc_u32_e32 v2, v2, v4
	s_delay_alu instid0(VALU_DEP_1) | instskip(NEXT) | instid1(VALU_DEP_1)
	v_mov_b32_dpp v4, v2 row_shr:4 row_mask:0xf bank_mask:0xf
	v_cndmask_b32_e64 v4, 0, v4, s9
	s_delay_alu instid0(VALU_DEP_1) | instskip(NEXT) | instid1(VALU_DEP_1)
	v_add_nc_u32_e32 v2, v2, v4
	v_mov_b32_dpp v4, v2 row_shr:8 row_mask:0xf bank_mask:0xf
	s_delay_alu instid0(VALU_DEP_1) | instskip(NEXT) | instid1(VALU_DEP_1)
	v_cndmask_b32_e64 v4, 0, v4, s10
	v_add_nc_u32_e32 v2, v2, v4
	ds_swizzle_b32 v4, v2 offset:swizzle(BROADCAST,32,15)
	s_wait_dscnt 0x0
	v_and_b32_e32 v4, v63, v4
	s_delay_alu instid0(VALU_DEP_1)
	v_add_nc_u32_e32 v2, v2, v4
	s_and_saveexec_b32 s12, s3
; %bb.227:                              ;   in Loop: Header=BB325_20 Depth=1
	ds_store_b32 v41, v2
; %bb.228:                              ;   in Loop: Header=BB325_20 Depth=1
	s_wait_alu 0xfffe
	s_or_b32 exec_lo, exec_lo, s12
	s_wait_loadcnt_dscnt 0x0
	s_barrier_signal -1
	s_barrier_wait -1
	global_inv scope:SCOPE_SE
	s_and_saveexec_b32 s12, s4
	s_cbranch_execz .LBB325_230
; %bb.229:                              ;   in Loop: Header=BB325_20 Depth=1
	ds_load_b32 v4, v42
	v_cmp_ne_u32_e32 vcc_lo, 0, v65
	s_wait_dscnt 0x0
	v_mov_b32_dpp v5, v4 row_shr:1 row_mask:0xf bank_mask:0xf
	s_wait_alu 0xfffd
	s_delay_alu instid0(VALU_DEP_1) | instskip(SKIP_1) | instid1(VALU_DEP_2)
	v_cndmask_b32_e32 v5, 0, v5, vcc_lo
	v_cmp_lt_u32_e32 vcc_lo, 1, v65
	v_add_nc_u32_e32 v4, v5, v4
	s_delay_alu instid0(VALU_DEP_1) | instskip(SKIP_1) | instid1(VALU_DEP_1)
	v_mov_b32_dpp v5, v4 row_shr:2 row_mask:0xf bank_mask:0xf
	s_wait_alu 0xfffd
	v_cndmask_b32_e32 v5, 0, v5, vcc_lo
	v_cmp_lt_u32_e32 vcc_lo, 3, v65
	s_delay_alu instid0(VALU_DEP_2) | instskip(NEXT) | instid1(VALU_DEP_1)
	v_add_nc_u32_e32 v4, v4, v5
	v_mov_b32_dpp v5, v4 row_shr:4 row_mask:0xf bank_mask:0xf
	s_wait_alu 0xfffd
	s_delay_alu instid0(VALU_DEP_1) | instskip(NEXT) | instid1(VALU_DEP_1)
	v_cndmask_b32_e32 v5, 0, v5, vcc_lo
	v_add_nc_u32_e32 v4, v4, v5
	ds_store_b32 v42, v4
.LBB325_230:                            ;   in Loop: Header=BB325_20 Depth=1
	s_wait_alu 0xfffe
	s_or_b32 exec_lo, exec_lo, s12
	v_mov_b32_e32 v4, 0
	s_wait_loadcnt_dscnt 0x0
	s_barrier_signal -1
	s_barrier_wait -1
	global_inv scope:SCOPE_SE
	s_and_saveexec_b32 s12, s5
; %bb.231:                              ;   in Loop: Header=BB325_20 Depth=1
	ds_load_b32 v4, v43
; %bb.232:                              ;   in Loop: Header=BB325_20 Depth=1
	s_wait_alu 0xfffe
	s_or_b32 exec_lo, exec_lo, s12
	v_cmp_gt_i32_e32 vcc_lo, 0, v67
	s_wait_dscnt 0x0
	v_add_nc_u32_e32 v2, v4, v2
	s_wait_loadcnt 0x0
	s_barrier_signal -1
	s_barrier_wait -1
	s_wait_alu 0xfffd
	v_cndmask_b32_e32 v5, v67, v58, vcc_lo
	global_inv scope:SCOPE_SE
	v_lshlrev_b32_e32 v80, 2, v5
	ds_bpermute_b32 v2, v80, v2
	s_and_saveexec_b32 s12, s2
	s_cbranch_execz .LBB325_234
; %bb.233:                              ;   in Loop: Header=BB325_20 Depth=1
	s_wait_dscnt 0x0
	v_cndmask_b32_e64 v2, v2, v4, s8
	s_delay_alu instid0(VALU_DEP_1)
	v_add_nc_u32_e32 v2, s33, v2
	ds_store_b32 v28, v2
.LBB325_234:                            ;   in Loop: Header=BB325_20 Depth=1
	s_wait_alu 0xfffe
	s_or_b32 exec_lo, exec_lo, s12
	s_load_b64 s[12:13], s[28:29], 0x0
	v_add_co_u32 v81, vcc_lo, v50, v66
	s_wait_alu 0xfffd
	v_add_co_ci_u32_e64 v82, null, 0, v51, vcc_lo
	v_add_co_u32 v83, vcc_lo, v52, v58
	s_wait_alu 0xfffd
	v_add_co_ci_u32_e64 v84, null, 0, v53, vcc_lo
	s_mov_b32 s42, s47
                                        ; implicit-def: $vgpr6_vgpr7
                                        ; implicit-def: $vgpr8_vgpr9
                                        ; implicit-def: $vgpr10_vgpr11
                                        ; implicit-def: $vgpr12_vgpr13
                                        ; implicit-def: $vgpr14_vgpr15
                                        ; implicit-def: $vgpr16_vgpr17
                                        ; implicit-def: $vgpr18_vgpr19
                                        ; implicit-def: $vgpr86
                                        ; implicit-def: $vgpr87
                                        ; implicit-def: $vgpr88
                                        ; implicit-def: $vgpr89
                                        ; implicit-def: $vgpr90
                                        ; implicit-def: $vgpr91
                                        ; implicit-def: $vgpr92
                                        ; implicit-def: $vgpr93
	s_wait_kmcnt 0x0
	s_cmp_lt_u32 ttmp7, s13
	s_cselect_b32 s22, 14, 20
	s_cmp_lt_u32 ttmp9, s12
	s_wait_alu 0xfffe
	s_add_nc_u64 s[14:15], s[28:29], s[22:23]
	s_cselect_b32 s22, 12, 18
	s_load_u16 s14, s[14:15], 0x0
	s_add_nc_u64 s[12:13], s[28:29], s[22:23]
	s_mov_b32 s22, s33
	s_load_u16 s12, s[12:13], 0x0
	v_cmp_lt_u32_e64 s13, 1, v65
	s_wait_dscnt 0x0
	s_wait_kmcnt 0x0
	v_mad_u32_u24 v2, v44, s14, v0
	v_cmp_lt_u32_e64 s14, 3, v65
	s_delay_alu instid0(VALU_DEP_2) | instskip(SKIP_1) | instid1(VALU_DEP_2)
	v_mad_co_u64_u32 v[4:5], null, v2, s12, v[1:2]
	v_cmp_eq_u32_e64 s12, 0, v65
	v_lshrrev_b32_e32 v2, 3, v4
                                        ; implicit-def: $vgpr4_vgpr5
	s_delay_alu instid0(VALU_DEP_1)
	v_and_b32_e32 v85, 0x1ffffffc, v2
	s_branch .LBB325_236
.LBB325_235:                            ;   in Loop: Header=BB325_236 Depth=2
	s_wait_alu 0xfffe
	s_or_b32 exec_lo, exec_lo, s15
	s_addk_co_i32 s42, 0xf800
	s_cmp_lt_u32 s43, s34
	s_mov_b32 s22, s43
	s_cbranch_scc0 .LBB325_348
.LBB325_236:                            ;   Parent Loop BB325_20 Depth=1
                                        ; =>  This Inner Loop Header: Depth=2
	s_wait_alu 0xfffe
	s_add_co_i32 s43, s22, 0x800
	s_wait_alu 0xfffe
	s_cmp_gt_u32 s43, s34
	s_cbranch_scc1 .LBB325_238
; %bb.237:                              ;   in Loop: Header=BB325_236 Depth=2
	v_add_co_u32 v20, vcc_lo, v83, s22
	s_wait_alu 0xfffd
	v_add_co_ci_u32_e64 v21, null, 0, v84, vcc_lo
	s_mov_b32 s15, -1
	s_clause 0x6
	global_load_u8 v23, v[20:21], off offset:192
	global_load_u8 v24, v[20:21], off offset:160
	;; [unrolled: 1-line block ×6, first 2 shown]
	global_load_u8 v94, v[20:21], off
	s_movk_i32 s16, 0x800
                                        ; implicit-def: $vgpr22
	s_cbranch_execz .LBB325_239
	s_branch .LBB325_248
.LBB325_238:                            ;   in Loop: Header=BB325_236 Depth=2
	s_mov_b32 s15, 0
                                        ; implicit-def: $vgpr94
                                        ; implicit-def: $vgpr96
                                        ; implicit-def: $vgpr27
                                        ; implicit-def: $vgpr26
                                        ; implicit-def: $vgpr25
                                        ; implicit-def: $vgpr24
                                        ; implicit-def: $vgpr23
	s_movk_i32 s16, 0x800
                                        ; implicit-def: $vgpr22
.LBB325_239:                            ;   in Loop: Header=BB325_236 Depth=2
	v_add_co_u32 v20, vcc_lo, v83, s22
	s_wait_alu 0xfffd
	v_add_co_ci_u32_e64 v21, null, 0, v84, vcc_lo
	s_wait_loadcnt 0x2
	v_dual_mov_b32 v22, 0x80 :: v_dual_mov_b32 v27, 0x80
	s_wait_loadcnt 0x0
	v_dual_mov_b32 v94, 0x80 :: v_dual_mov_b32 v25, 0x80
	v_dual_mov_b32 v96, 0x80 :: v_dual_mov_b32 v23, 0x80
	v_mov_b32_e32 v26, 0x80
	v_mov_b32_e32 v24, 0x80
	s_mov_b32 s15, exec_lo
	v_cmpx_gt_u32_e64 s42, v68
	s_cbranch_execnz .LBB325_342
; %bb.240:                              ;   in Loop: Header=BB325_236 Depth=2
	s_wait_alu 0xfffe
	s_or_b32 exec_lo, exec_lo, s15
	s_delay_alu instid0(SALU_CYCLE_1)
	s_mov_b32 s15, exec_lo
	v_cmpx_gt_u32_e64 s42, v71
	s_cbranch_execnz .LBB325_343
.LBB325_241:                            ;   in Loop: Header=BB325_236 Depth=2
	s_wait_alu 0xfffe
	s_or_b32 exec_lo, exec_lo, s15
	s_delay_alu instid0(SALU_CYCLE_1)
	s_mov_b32 s15, exec_lo
	v_cmpx_gt_u32_e64 s42, v72
	s_cbranch_execnz .LBB325_344
.LBB325_242:                            ;   in Loop: Header=BB325_236 Depth=2
	s_wait_alu 0xfffe
	s_or_b32 exec_lo, exec_lo, s15
	s_delay_alu instid0(SALU_CYCLE_1)
	s_mov_b32 s15, exec_lo
	v_cmpx_gt_u32_e64 s42, v73
	s_cbranch_execnz .LBB325_345
.LBB325_243:                            ;   in Loop: Header=BB325_236 Depth=2
	s_wait_alu 0xfffe
	s_or_b32 exec_lo, exec_lo, s15
	s_delay_alu instid0(SALU_CYCLE_1)
	s_mov_b32 s15, exec_lo
	v_cmpx_gt_u32_e64 s42, v74
	s_cbranch_execnz .LBB325_346
.LBB325_244:                            ;   in Loop: Header=BB325_236 Depth=2
	s_wait_alu 0xfffe
	s_or_b32 exec_lo, exec_lo, s15
	s_delay_alu instid0(SALU_CYCLE_1)
	s_mov_b32 s15, exec_lo
	v_cmpx_gt_u32_e64 s42, v75
	s_cbranch_execnz .LBB325_347
.LBB325_245:                            ;   in Loop: Header=BB325_236 Depth=2
	s_wait_alu 0xfffe
	s_or_b32 exec_lo, exec_lo, s15
	s_delay_alu instid0(SALU_CYCLE_1)
	s_mov_b32 s15, exec_lo
	v_cmpx_gt_u32_e64 s42, v76
	s_cbranch_execz .LBB325_247
.LBB325_246:                            ;   in Loop: Header=BB325_236 Depth=2
	global_load_u8 v23, v[20:21], off offset:192
.LBB325_247:                            ;   in Loop: Header=BB325_236 Depth=2
	s_wait_alu 0xfffe
	s_or_b32 exec_lo, exec_lo, s15
	v_cmp_gt_u32_e64 s15, s42, v77
	s_sub_co_i32 s16, s34, s22
.LBB325_248:                            ;   in Loop: Header=BB325_236 Depth=2
	v_mov_b32_e32 v2, s42
	s_wait_alu 0xfffe
	s_and_saveexec_b32 s17, s15
	s_cbranch_execz .LBB325_250
; %bb.249:                              ;   in Loop: Header=BB325_236 Depth=2
	v_add_co_u32 v20, vcc_lo, v83, s22
	s_wait_alu 0xfffd
	v_add_co_ci_u32_e64 v21, null, s23, v84, vcc_lo
	v_mov_b32_e32 v2, s16
	global_load_u8 v22, v[20:21], off offset:224
.LBB325_250:                            ;   in Loop: Header=BB325_236 Depth=2
	s_wait_alu 0xfffe
	s_or_b32 exec_lo, exec_lo, s17
	s_wait_loadcnt 0x0
	v_xor_b32_e32 v94, 0x7f, v94
	s_delay_alu instid0(VALU_DEP_1) | instskip(NEXT) | instid1(VALU_DEP_1)
	v_and_b32_e32 v20, 0xff, v94
	v_lshrrev_b32_e32 v20, s30, v20
	s_delay_alu instid0(VALU_DEP_1) | instskip(NEXT) | instid1(VALU_DEP_1)
	v_and_b32_e32 v21, s31, v20
	v_and_b32_e32 v20, 1, v21
	v_lshlrev_b32_e32 v95, 30, v21
	v_lshlrev_b32_e32 v97, 29, v21
	;; [unrolled: 1-line block ×4, first 2 shown]
	v_add_co_u32 v20, s15, v20, -1
	s_wait_alu 0xf1ff
	v_cndmask_b32_e64 v99, 0, 1, s15
	v_not_b32_e32 v103, v95
	v_cmp_gt_i32_e64 s15, 0, v95
	v_not_b32_e32 v95, v97
	v_lshlrev_b32_e32 v101, 26, v21
	v_cmp_ne_u32_e32 vcc_lo, 0, v99
	v_ashrrev_i32_e32 v103, 31, v103
	v_lshlrev_b32_e32 v102, 25, v21
	v_ashrrev_i32_e32 v95, 31, v95
	v_lshlrev_b32_e32 v99, 24, v21
	s_wait_alu 0xfffd
	v_xor_b32_e32 v20, vcc_lo, v20
	v_cmp_gt_i32_e32 vcc_lo, 0, v97
	v_not_b32_e32 v97, v98
	s_wait_alu 0xf1ff
	v_xor_b32_e32 v103, s15, v103
	v_cmp_gt_i32_e64 s15, 0, v98
	v_and_b32_e32 v20, exec_lo, v20
	v_not_b32_e32 v98, v100
	v_ashrrev_i32_e32 v97, 31, v97
	s_wait_alu 0xfffd
	v_xor_b32_e32 v95, vcc_lo, v95
	v_cmp_gt_i32_e32 vcc_lo, 0, v100
	v_and_b32_e32 v20, v20, v103
	v_not_b32_e32 v100, v101
	v_ashrrev_i32_e32 v98, 31, v98
	s_wait_alu 0xf1ff
	v_xor_b32_e32 v97, s15, v97
	v_cmp_gt_i32_e64 s15, 0, v101
	v_and_b32_e32 v20, v20, v95
	v_not_b32_e32 v95, v102
	v_ashrrev_i32_e32 v100, 31, v100
	s_wait_alu 0xfffd
	v_xor_b32_e32 v98, vcc_lo, v98
	v_cmp_gt_i32_e32 vcc_lo, 0, v102
	v_and_b32_e32 v20, v20, v97
	v_not_b32_e32 v97, v99
	v_ashrrev_i32_e32 v95, 31, v95
	s_wait_alu 0xf1ff
	v_xor_b32_e32 v100, s15, v100
	v_cmp_gt_i32_e64 s15, 0, v99
	v_and_b32_e32 v20, v20, v98
	v_ashrrev_i32_e32 v97, 31, v97
	s_wait_alu 0xfffd
	v_xor_b32_e32 v95, vcc_lo, v95
	v_mul_u32_u24_e32 v21, 36, v21
	v_add_nc_u32_e32 v99, 0x428, v45
	v_and_b32_e32 v20, v20, v100
	s_wait_alu 0xf1ff
	v_xor_b32_e32 v98, s15, v97
	v_add_nc_u32_e32 v97, 0x438, v45
	v_add_nc_u32_e32 v100, 0x430, v45
	;; [unrolled: 1-line block ×3, first 2 shown]
	v_and_b32_e32 v20, v20, v95
	ds_store_2addr_b32 v97, v3, v3 offset1:1
	v_and_b32_e32 v20, v20, v98
	v_add_nc_u32_e32 v98, 0x420, v45
	ds_store_2addr_b32 v98, v3, v3 offset1:1
	ds_store_2addr_b32 v99, v3, v3 offset1:1
	;; [unrolled: 1-line block ×3, first 2 shown]
	ds_store_b32 v45, v3 offset:1088
	v_mbcnt_lo_u32_b32 v95, v20, 0
	v_cmp_ne_u32_e64 s15, 0, v20
	s_wait_dscnt 0x0
	s_barrier_signal -1
	s_barrier_wait -1
	v_cmp_eq_u32_e32 vcc_lo, 0, v95
	global_inv scope:SCOPE_SE
	; wave barrier
	s_and_b32 s16, s15, vcc_lo
	s_wait_alu 0xfffe
	s_and_saveexec_b32 s15, s16
; %bb.251:                              ;   in Loop: Header=BB325_236 Depth=2
	v_bcnt_u32_b32 v20, v20, 0
	ds_store_b32 v101, v20 offset:1056
; %bb.252:                              ;   in Loop: Header=BB325_236 Depth=2
	s_wait_alu 0xfffe
	s_or_b32 exec_lo, exec_lo, s15
	v_xor_b32_e32 v96, 0x7f, v96
	; wave barrier
	s_delay_alu instid0(VALU_DEP_1) | instskip(NEXT) | instid1(VALU_DEP_1)
	v_and_b32_e32 v20, 0xff, v96
	v_lshrrev_b32_e32 v20, s30, v20
	s_delay_alu instid0(VALU_DEP_1) | instskip(NEXT) | instid1(VALU_DEP_1)
	v_and_b32_e32 v21, s31, v20
	v_and_b32_e32 v20, 1, v21
	v_lshlrev_b32_e32 v102, 30, v21
	v_lshlrev_b32_e32 v103, 29, v21
	;; [unrolled: 1-line block ×4, first 2 shown]
	v_add_co_u32 v20, s15, v20, -1
	s_wait_alu 0xf1ff
	v_cndmask_b32_e64 v105, 0, 1, s15
	v_not_b32_e32 v109, v102
	v_cmp_gt_i32_e64 s15, 0, v102
	v_not_b32_e32 v102, v103
	v_lshlrev_b32_e32 v107, 26, v21
	v_cmp_ne_u32_e32 vcc_lo, 0, v105
	v_ashrrev_i32_e32 v109, 31, v109
	v_lshlrev_b32_e32 v108, 25, v21
	v_ashrrev_i32_e32 v102, 31, v102
	v_lshlrev_b32_e32 v105, 24, v21
	s_wait_alu 0xfffd
	v_xor_b32_e32 v20, vcc_lo, v20
	v_cmp_gt_i32_e32 vcc_lo, 0, v103
	v_not_b32_e32 v103, v104
	s_wait_alu 0xf1ff
	v_xor_b32_e32 v109, s15, v109
	v_cmp_gt_i32_e64 s15, 0, v104
	v_and_b32_e32 v20, exec_lo, v20
	v_not_b32_e32 v104, v106
	v_ashrrev_i32_e32 v103, 31, v103
	s_wait_alu 0xfffd
	v_xor_b32_e32 v102, vcc_lo, v102
	v_cmp_gt_i32_e32 vcc_lo, 0, v106
	v_and_b32_e32 v20, v20, v109
	v_not_b32_e32 v106, v107
	v_ashrrev_i32_e32 v104, 31, v104
	s_wait_alu 0xf1ff
	v_xor_b32_e32 v103, s15, v103
	v_cmp_gt_i32_e64 s15, 0, v107
	v_and_b32_e32 v20, v20, v102
	v_not_b32_e32 v102, v108
	v_ashrrev_i32_e32 v106, 31, v106
	s_wait_alu 0xfffd
	v_xor_b32_e32 v104, vcc_lo, v104
	v_cmp_gt_i32_e32 vcc_lo, 0, v108
	v_and_b32_e32 v20, v20, v103
	v_not_b32_e32 v103, v105
	v_ashrrev_i32_e32 v102, 31, v102
	s_wait_alu 0xf1ff
	v_xor_b32_e32 v106, s15, v106
	v_cmp_gt_i32_e64 s15, 0, v105
	v_and_b32_e32 v20, v20, v104
	v_ashrrev_i32_e32 v103, 31, v103
	s_wait_alu 0xfffd
	v_xor_b32_e32 v102, vcc_lo, v102
	v_mad_u32_u24 v104, v21, 36, v85
	v_mul_u32_u24_e32 v21, 36, v21
	v_and_b32_e32 v20, v20, v106
	s_wait_alu 0xf1ff
	v_xor_b32_e32 v103, s15, v103
	s_delay_alu instid0(VALU_DEP_3) | instskip(NEXT) | instid1(VALU_DEP_3)
	v_add_nc_u32_e32 v105, v85, v21
	v_and_b32_e32 v20, v20, v102
	ds_load_b32 v102, v104 offset:1056
	; wave barrier
	v_and_b32_e32 v20, v20, v103
	s_delay_alu instid0(VALU_DEP_1) | instskip(SKIP_1) | instid1(VALU_DEP_2)
	v_mbcnt_lo_u32_b32 v103, v20, 0
	v_cmp_ne_u32_e64 s15, 0, v20
	v_cmp_eq_u32_e32 vcc_lo, 0, v103
	s_and_b32 s16, s15, vcc_lo
	s_wait_alu 0xfffe
	s_and_saveexec_b32 s15, s16
	s_cbranch_execz .LBB325_254
; %bb.253:                              ;   in Loop: Header=BB325_236 Depth=2
	s_wait_dscnt 0x0
	v_bcnt_u32_b32 v20, v20, v102
	ds_store_b32 v105, v20 offset:1056
.LBB325_254:                            ;   in Loop: Header=BB325_236 Depth=2
	s_wait_alu 0xfffe
	s_or_b32 exec_lo, exec_lo, s15
	v_xor_b32_e32 v104, 0x7f, v27
	; wave barrier
	s_delay_alu instid0(VALU_DEP_1) | instskip(NEXT) | instid1(VALU_DEP_1)
	v_and_b32_e32 v20, 0xff, v104
	v_lshrrev_b32_e32 v20, s30, v20
	s_delay_alu instid0(VALU_DEP_1) | instskip(NEXT) | instid1(VALU_DEP_1)
	v_and_b32_e32 v21, s31, v20
	v_and_b32_e32 v20, 1, v21
	v_lshlrev_b32_e32 v27, 30, v21
	v_lshlrev_b32_e32 v106, 29, v21
	;; [unrolled: 1-line block ×4, first 2 shown]
	v_add_co_u32 v20, s15, v20, -1
	s_wait_alu 0xf1ff
	v_cndmask_b32_e64 v108, 0, 1, s15
	v_not_b32_e32 v112, v27
	v_cmp_gt_i32_e64 s15, 0, v27
	v_not_b32_e32 v27, v106
	v_lshlrev_b32_e32 v110, 26, v21
	v_cmp_ne_u32_e32 vcc_lo, 0, v108
	v_ashrrev_i32_e32 v112, 31, v112
	v_lshlrev_b32_e32 v111, 25, v21
	v_ashrrev_i32_e32 v27, 31, v27
	v_lshlrev_b32_e32 v108, 24, v21
	s_wait_alu 0xfffd
	v_xor_b32_e32 v20, vcc_lo, v20
	v_cmp_gt_i32_e32 vcc_lo, 0, v106
	v_not_b32_e32 v106, v107
	s_wait_alu 0xf1ff
	v_xor_b32_e32 v112, s15, v112
	v_cmp_gt_i32_e64 s15, 0, v107
	v_and_b32_e32 v20, exec_lo, v20
	v_not_b32_e32 v107, v109
	v_ashrrev_i32_e32 v106, 31, v106
	s_wait_alu 0xfffd
	v_xor_b32_e32 v27, vcc_lo, v27
	v_cmp_gt_i32_e32 vcc_lo, 0, v109
	v_and_b32_e32 v20, v20, v112
	v_not_b32_e32 v109, v110
	v_ashrrev_i32_e32 v107, 31, v107
	s_wait_alu 0xf1ff
	v_xor_b32_e32 v106, s15, v106
	v_cmp_gt_i32_e64 s15, 0, v110
	v_and_b32_e32 v20, v20, v27
	v_not_b32_e32 v27, v111
	v_ashrrev_i32_e32 v109, 31, v109
	s_wait_alu 0xfffd
	v_xor_b32_e32 v107, vcc_lo, v107
	v_cmp_gt_i32_e32 vcc_lo, 0, v111
	v_and_b32_e32 v20, v20, v106
	v_not_b32_e32 v106, v108
	v_ashrrev_i32_e32 v27, 31, v27
	s_wait_alu 0xf1ff
	v_xor_b32_e32 v109, s15, v109
	v_cmp_gt_i32_e64 s15, 0, v108
	v_and_b32_e32 v20, v20, v107
	v_ashrrev_i32_e32 v106, 31, v106
	s_wait_alu 0xfffd
	v_xor_b32_e32 v27, vcc_lo, v27
	v_mad_u32_u24 v107, v21, 36, v85
	v_mul_u32_u24_e32 v21, 36, v21
	v_and_b32_e32 v20, v20, v109
	s_wait_alu 0xf1ff
	v_xor_b32_e32 v108, s15, v106
	ds_load_b32 v106, v107 offset:1056
	v_add_nc_u32_e32 v109, v85, v21
	v_and_b32_e32 v20, v20, v27
	; wave barrier
	s_delay_alu instid0(VALU_DEP_1) | instskip(NEXT) | instid1(VALU_DEP_1)
	v_and_b32_e32 v20, v20, v108
	v_mbcnt_lo_u32_b32 v107, v20, 0
	v_cmp_ne_u32_e64 s15, 0, v20
	s_delay_alu instid0(VALU_DEP_2)
	v_cmp_eq_u32_e32 vcc_lo, 0, v107
	s_and_b32 s16, s15, vcc_lo
	s_wait_alu 0xfffe
	s_and_saveexec_b32 s15, s16
	s_cbranch_execz .LBB325_256
; %bb.255:                              ;   in Loop: Header=BB325_236 Depth=2
	s_wait_dscnt 0x0
	v_bcnt_u32_b32 v20, v20, v106
	ds_store_b32 v109, v20 offset:1056
.LBB325_256:                            ;   in Loop: Header=BB325_236 Depth=2
	s_wait_alu 0xfffe
	s_or_b32 exec_lo, exec_lo, s15
	v_xor_b32_e32 v108, 0x7f, v26
	; wave barrier
	s_delay_alu instid0(VALU_DEP_1) | instskip(NEXT) | instid1(VALU_DEP_1)
	v_and_b32_e32 v20, 0xff, v108
	v_lshrrev_b32_e32 v20, s30, v20
	s_delay_alu instid0(VALU_DEP_1) | instskip(NEXT) | instid1(VALU_DEP_1)
	v_and_b32_e32 v21, s31, v20
	v_and_b32_e32 v20, 1, v21
	v_lshlrev_b32_e32 v26, 30, v21
	v_lshlrev_b32_e32 v27, 29, v21
	;; [unrolled: 1-line block ×4, first 2 shown]
	v_add_co_u32 v20, s15, v20, -1
	s_wait_alu 0xf1ff
	v_cndmask_b32_e64 v111, 0, 1, s15
	v_not_b32_e32 v115, v26
	v_cmp_gt_i32_e64 s15, 0, v26
	v_not_b32_e32 v26, v27
	v_lshlrev_b32_e32 v113, 26, v21
	v_cmp_ne_u32_e32 vcc_lo, 0, v111
	v_ashrrev_i32_e32 v115, 31, v115
	v_lshlrev_b32_e32 v114, 25, v21
	v_ashrrev_i32_e32 v26, 31, v26
	v_lshlrev_b32_e32 v111, 24, v21
	s_wait_alu 0xfffd
	v_xor_b32_e32 v20, vcc_lo, v20
	v_cmp_gt_i32_e32 vcc_lo, 0, v27
	v_not_b32_e32 v27, v110
	s_wait_alu 0xf1ff
	v_xor_b32_e32 v115, s15, v115
	v_cmp_gt_i32_e64 s15, 0, v110
	v_and_b32_e32 v20, exec_lo, v20
	v_not_b32_e32 v110, v112
	v_ashrrev_i32_e32 v27, 31, v27
	s_wait_alu 0xfffd
	v_xor_b32_e32 v26, vcc_lo, v26
	v_cmp_gt_i32_e32 vcc_lo, 0, v112
	v_and_b32_e32 v20, v20, v115
	v_not_b32_e32 v112, v113
	v_ashrrev_i32_e32 v110, 31, v110
	s_wait_alu 0xf1ff
	v_xor_b32_e32 v27, s15, v27
	v_cmp_gt_i32_e64 s15, 0, v113
	v_and_b32_e32 v20, v20, v26
	v_not_b32_e32 v26, v114
	v_ashrrev_i32_e32 v112, 31, v112
	s_wait_alu 0xfffd
	v_xor_b32_e32 v110, vcc_lo, v110
	v_cmp_gt_i32_e32 vcc_lo, 0, v114
	v_and_b32_e32 v20, v20, v27
	v_not_b32_e32 v27, v111
	v_ashrrev_i32_e32 v26, 31, v26
	s_wait_alu 0xf1ff
	v_xor_b32_e32 v112, s15, v112
	v_cmp_gt_i32_e64 s15, 0, v111
	v_and_b32_e32 v20, v20, v110
	v_ashrrev_i32_e32 v27, 31, v27
	s_wait_alu 0xfffd
	v_xor_b32_e32 v26, vcc_lo, v26
	v_mad_u32_u24 v110, v21, 36, v85
	v_mul_u32_u24_e32 v21, 36, v21
	v_and_b32_e32 v20, v20, v112
	s_wait_alu 0xf1ff
	v_xor_b32_e32 v27, s15, v27
	ds_load_b32 v110, v110 offset:1056
	v_add_nc_u32_e32 v113, v85, v21
	v_and_b32_e32 v20, v20, v26
	; wave barrier
	s_delay_alu instid0(VALU_DEP_1) | instskip(NEXT) | instid1(VALU_DEP_1)
	v_and_b32_e32 v20, v20, v27
	v_mbcnt_lo_u32_b32 v111, v20, 0
	v_cmp_ne_u32_e64 s15, 0, v20
	s_delay_alu instid0(VALU_DEP_2)
	v_cmp_eq_u32_e32 vcc_lo, 0, v111
	s_and_b32 s16, s15, vcc_lo
	s_wait_alu 0xfffe
	s_and_saveexec_b32 s15, s16
	s_cbranch_execz .LBB325_258
; %bb.257:                              ;   in Loop: Header=BB325_236 Depth=2
	s_wait_dscnt 0x0
	v_bcnt_u32_b32 v20, v20, v110
	ds_store_b32 v113, v20 offset:1056
.LBB325_258:                            ;   in Loop: Header=BB325_236 Depth=2
	s_wait_alu 0xfffe
	s_or_b32 exec_lo, exec_lo, s15
	v_xor_b32_e32 v112, 0x7f, v25
	; wave barrier
	s_delay_alu instid0(VALU_DEP_1) | instskip(NEXT) | instid1(VALU_DEP_1)
	v_and_b32_e32 v20, 0xff, v112
	v_lshrrev_b32_e32 v20, s30, v20
	s_delay_alu instid0(VALU_DEP_1) | instskip(NEXT) | instid1(VALU_DEP_1)
	v_and_b32_e32 v21, s31, v20
	v_and_b32_e32 v20, 1, v21
	v_lshlrev_b32_e32 v25, 30, v21
	v_lshlrev_b32_e32 v26, 29, v21
	;; [unrolled: 1-line block ×4, first 2 shown]
	v_add_co_u32 v20, s15, v20, -1
	s_wait_alu 0xf1ff
	v_cndmask_b32_e64 v114, 0, 1, s15
	v_not_b32_e32 v118, v25
	v_cmp_gt_i32_e64 s15, 0, v25
	v_not_b32_e32 v25, v26
	v_lshlrev_b32_e32 v116, 26, v21
	v_cmp_ne_u32_e32 vcc_lo, 0, v114
	v_ashrrev_i32_e32 v118, 31, v118
	v_lshlrev_b32_e32 v117, 25, v21
	v_ashrrev_i32_e32 v25, 31, v25
	v_lshlrev_b32_e32 v114, 24, v21
	s_wait_alu 0xfffd
	v_xor_b32_e32 v20, vcc_lo, v20
	v_cmp_gt_i32_e32 vcc_lo, 0, v26
	v_not_b32_e32 v26, v27
	s_wait_alu 0xf1ff
	v_xor_b32_e32 v118, s15, v118
	v_cmp_gt_i32_e64 s15, 0, v27
	v_and_b32_e32 v20, exec_lo, v20
	v_not_b32_e32 v27, v115
	v_ashrrev_i32_e32 v26, 31, v26
	s_wait_alu 0xfffd
	v_xor_b32_e32 v25, vcc_lo, v25
	v_cmp_gt_i32_e32 vcc_lo, 0, v115
	v_and_b32_e32 v20, v20, v118
	v_not_b32_e32 v115, v116
	v_ashrrev_i32_e32 v27, 31, v27
	s_wait_alu 0xf1ff
	v_xor_b32_e32 v26, s15, v26
	v_cmp_gt_i32_e64 s15, 0, v116
	v_and_b32_e32 v20, v20, v25
	v_not_b32_e32 v25, v117
	v_ashrrev_i32_e32 v115, 31, v115
	s_wait_alu 0xfffd
	v_xor_b32_e32 v27, vcc_lo, v27
	v_cmp_gt_i32_e32 vcc_lo, 0, v117
	v_and_b32_e32 v20, v20, v26
	v_not_b32_e32 v26, v114
	v_ashrrev_i32_e32 v25, 31, v25
	s_wait_alu 0xf1ff
	v_xor_b32_e32 v115, s15, v115
	v_cmp_gt_i32_e64 s15, 0, v114
	v_and_b32_e32 v20, v20, v27
	v_ashrrev_i32_e32 v26, 31, v26
	s_wait_alu 0xfffd
	v_xor_b32_e32 v25, vcc_lo, v25
	v_mad_u32_u24 v27, v21, 36, v85
	v_mul_u32_u24_e32 v21, 36, v21
	v_and_b32_e32 v20, v20, v115
	s_wait_alu 0xf1ff
	v_xor_b32_e32 v26, s15, v26
	ds_load_b32 v114, v27 offset:1056
	v_add_nc_u32_e32 v117, v85, v21
	v_and_b32_e32 v20, v20, v25
	; wave barrier
	s_delay_alu instid0(VALU_DEP_1) | instskip(NEXT) | instid1(VALU_DEP_1)
	v_and_b32_e32 v20, v20, v26
	v_mbcnt_lo_u32_b32 v115, v20, 0
	v_cmp_ne_u32_e64 s15, 0, v20
	s_delay_alu instid0(VALU_DEP_2)
	v_cmp_eq_u32_e32 vcc_lo, 0, v115
	s_and_b32 s16, s15, vcc_lo
	s_wait_alu 0xfffe
	s_and_saveexec_b32 s15, s16
	s_cbranch_execz .LBB325_260
; %bb.259:                              ;   in Loop: Header=BB325_236 Depth=2
	s_wait_dscnt 0x0
	v_bcnt_u32_b32 v20, v20, v114
	ds_store_b32 v117, v20 offset:1056
.LBB325_260:                            ;   in Loop: Header=BB325_236 Depth=2
	s_wait_alu 0xfffe
	s_or_b32 exec_lo, exec_lo, s15
	v_xor_b32_e32 v116, 0x7f, v24
	; wave barrier
	s_delay_alu instid0(VALU_DEP_1) | instskip(NEXT) | instid1(VALU_DEP_1)
	v_and_b32_e32 v20, 0xff, v116
	v_lshrrev_b32_e32 v20, s30, v20
	s_delay_alu instid0(VALU_DEP_1) | instskip(NEXT) | instid1(VALU_DEP_1)
	v_and_b32_e32 v21, s31, v20
	v_and_b32_e32 v20, 1, v21
	v_lshlrev_b32_e32 v24, 30, v21
	v_lshlrev_b32_e32 v25, 29, v21
	;; [unrolled: 1-line block ×4, first 2 shown]
	v_add_co_u32 v20, s15, v20, -1
	s_wait_alu 0xf1ff
	v_cndmask_b32_e64 v27, 0, 1, s15
	v_not_b32_e32 v121, v24
	v_cmp_gt_i32_e64 s15, 0, v24
	v_not_b32_e32 v24, v25
	v_lshlrev_b32_e32 v119, 26, v21
	v_cmp_ne_u32_e32 vcc_lo, 0, v27
	v_ashrrev_i32_e32 v121, 31, v121
	v_lshlrev_b32_e32 v120, 25, v21
	v_ashrrev_i32_e32 v24, 31, v24
	v_lshlrev_b32_e32 v27, 24, v21
	s_wait_alu 0xfffd
	v_xor_b32_e32 v20, vcc_lo, v20
	v_cmp_gt_i32_e32 vcc_lo, 0, v25
	v_not_b32_e32 v25, v26
	s_wait_alu 0xf1ff
	v_xor_b32_e32 v121, s15, v121
	v_cmp_gt_i32_e64 s15, 0, v26
	v_and_b32_e32 v20, exec_lo, v20
	v_not_b32_e32 v26, v118
	v_ashrrev_i32_e32 v25, 31, v25
	s_wait_alu 0xfffd
	v_xor_b32_e32 v24, vcc_lo, v24
	v_cmp_gt_i32_e32 vcc_lo, 0, v118
	v_and_b32_e32 v20, v20, v121
	v_not_b32_e32 v118, v119
	v_ashrrev_i32_e32 v26, 31, v26
	s_wait_alu 0xf1ff
	v_xor_b32_e32 v25, s15, v25
	v_cmp_gt_i32_e64 s15, 0, v119
	v_and_b32_e32 v20, v20, v24
	v_not_b32_e32 v24, v120
	v_ashrrev_i32_e32 v118, 31, v118
	s_wait_alu 0xfffd
	v_xor_b32_e32 v26, vcc_lo, v26
	v_cmp_gt_i32_e32 vcc_lo, 0, v120
	v_and_b32_e32 v20, v20, v25
	v_not_b32_e32 v25, v27
	v_ashrrev_i32_e32 v24, 31, v24
	s_wait_alu 0xf1ff
	v_xor_b32_e32 v118, s15, v118
	v_cmp_gt_i32_e64 s15, 0, v27
	v_and_b32_e32 v20, v20, v26
	v_ashrrev_i32_e32 v25, 31, v25
	s_wait_alu 0xfffd
	v_xor_b32_e32 v24, vcc_lo, v24
	v_mad_u32_u24 v26, v21, 36, v85
	v_mul_u32_u24_e32 v21, 36, v21
	v_and_b32_e32 v20, v20, v118
	s_wait_alu 0xf1ff
	v_xor_b32_e32 v25, s15, v25
	ds_load_b32 v118, v26 offset:1056
	v_add_nc_u32_e32 v121, v85, v21
	v_and_b32_e32 v20, v20, v24
	; wave barrier
	s_delay_alu instid0(VALU_DEP_1) | instskip(NEXT) | instid1(VALU_DEP_1)
	v_and_b32_e32 v20, v20, v25
	v_mbcnt_lo_u32_b32 v119, v20, 0
	v_cmp_ne_u32_e64 s15, 0, v20
	s_delay_alu instid0(VALU_DEP_2)
	v_cmp_eq_u32_e32 vcc_lo, 0, v119
	s_and_b32 s16, s15, vcc_lo
	s_wait_alu 0xfffe
	s_and_saveexec_b32 s15, s16
	s_cbranch_execz .LBB325_262
; %bb.261:                              ;   in Loop: Header=BB325_236 Depth=2
	s_wait_dscnt 0x0
	v_bcnt_u32_b32 v20, v20, v118
	ds_store_b32 v121, v20 offset:1056
.LBB325_262:                            ;   in Loop: Header=BB325_236 Depth=2
	s_wait_alu 0xfffe
	s_or_b32 exec_lo, exec_lo, s15
	v_xor_b32_e32 v120, 0x7f, v23
	; wave barrier
	s_delay_alu instid0(VALU_DEP_1) | instskip(NEXT) | instid1(VALU_DEP_1)
	v_and_b32_e32 v20, 0xff, v120
	v_lshrrev_b32_e32 v20, s30, v20
	s_delay_alu instid0(VALU_DEP_1) | instskip(NEXT) | instid1(VALU_DEP_1)
	v_and_b32_e32 v21, s31, v20
	v_and_b32_e32 v20, 1, v21
	v_lshlrev_b32_e32 v23, 30, v21
	v_lshlrev_b32_e32 v24, 29, v21
	;; [unrolled: 1-line block ×4, first 2 shown]
	v_add_co_u32 v20, s15, v20, -1
	s_wait_alu 0xf1ff
	v_cndmask_b32_e64 v26, 0, 1, s15
	v_not_b32_e32 v124, v23
	v_cmp_gt_i32_e64 s15, 0, v23
	v_not_b32_e32 v23, v24
	v_lshlrev_b32_e32 v122, 26, v21
	v_cmp_ne_u32_e32 vcc_lo, 0, v26
	v_ashrrev_i32_e32 v124, 31, v124
	v_lshlrev_b32_e32 v123, 25, v21
	v_ashrrev_i32_e32 v23, 31, v23
	v_lshlrev_b32_e32 v26, 24, v21
	s_wait_alu 0xfffd
	v_xor_b32_e32 v20, vcc_lo, v20
	v_cmp_gt_i32_e32 vcc_lo, 0, v24
	v_not_b32_e32 v24, v25
	s_wait_alu 0xf1ff
	v_xor_b32_e32 v124, s15, v124
	v_cmp_gt_i32_e64 s15, 0, v25
	v_and_b32_e32 v20, exec_lo, v20
	v_not_b32_e32 v25, v27
	v_ashrrev_i32_e32 v24, 31, v24
	s_wait_alu 0xfffd
	v_xor_b32_e32 v23, vcc_lo, v23
	v_cmp_gt_i32_e32 vcc_lo, 0, v27
	v_and_b32_e32 v20, v20, v124
	v_not_b32_e32 v27, v122
	v_ashrrev_i32_e32 v25, 31, v25
	s_wait_alu 0xf1ff
	v_xor_b32_e32 v24, s15, v24
	v_cmp_gt_i32_e64 s15, 0, v122
	v_and_b32_e32 v20, v20, v23
	v_not_b32_e32 v23, v123
	v_ashrrev_i32_e32 v27, 31, v27
	s_wait_alu 0xfffd
	v_xor_b32_e32 v25, vcc_lo, v25
	v_cmp_gt_i32_e32 vcc_lo, 0, v123
	v_and_b32_e32 v20, v20, v24
	v_not_b32_e32 v24, v26
	v_ashrrev_i32_e32 v23, 31, v23
	s_wait_alu 0xf1ff
	v_xor_b32_e32 v27, s15, v27
	v_cmp_gt_i32_e64 s15, 0, v26
	v_and_b32_e32 v20, v20, v25
	v_ashrrev_i32_e32 v24, 31, v24
	s_wait_alu 0xfffd
	v_xor_b32_e32 v23, vcc_lo, v23
	v_mad_u32_u24 v25, v21, 36, v85
	v_mul_u32_u24_e32 v21, 36, v21
	v_and_b32_e32 v20, v20, v27
	s_wait_alu 0xf1ff
	v_xor_b32_e32 v24, s15, v24
	ds_load_b32 v122, v25 offset:1056
	v_add_nc_u32_e32 v125, v85, v21
	v_and_b32_e32 v20, v20, v23
	; wave barrier
	s_delay_alu instid0(VALU_DEP_1) | instskip(NEXT) | instid1(VALU_DEP_1)
	v_and_b32_e32 v20, v20, v24
	v_mbcnt_lo_u32_b32 v123, v20, 0
	v_cmp_ne_u32_e64 s15, 0, v20
	s_delay_alu instid0(VALU_DEP_2)
	v_cmp_eq_u32_e32 vcc_lo, 0, v123
	s_and_b32 s16, s15, vcc_lo
	s_wait_alu 0xfffe
	s_and_saveexec_b32 s15, s16
	s_cbranch_execz .LBB325_264
; %bb.263:                              ;   in Loop: Header=BB325_236 Depth=2
	s_wait_dscnt 0x0
	v_bcnt_u32_b32 v20, v20, v122
	ds_store_b32 v125, v20 offset:1056
.LBB325_264:                            ;   in Loop: Header=BB325_236 Depth=2
	s_wait_alu 0xfffe
	s_or_b32 exec_lo, exec_lo, s15
	v_xor_b32_e32 v124, 0x7f, v22
	; wave barrier
	s_delay_alu instid0(VALU_DEP_1) | instskip(NEXT) | instid1(VALU_DEP_1)
	v_and_b32_e32 v20, 0xff, v124
	v_lshrrev_b32_e32 v20, s30, v20
	s_delay_alu instid0(VALU_DEP_1) | instskip(NEXT) | instid1(VALU_DEP_1)
	v_and_b32_e32 v21, s31, v20
	v_and_b32_e32 v20, 1, v21
	v_lshlrev_b32_e32 v22, 30, v21
	v_lshlrev_b32_e32 v23, 29, v21
	;; [unrolled: 1-line block ×4, first 2 shown]
	v_add_co_u32 v20, s15, v20, -1
	s_wait_alu 0xf1ff
	v_cndmask_b32_e64 v25, 0, 1, s15
	v_not_b32_e32 v127, v22
	v_cmp_gt_i32_e64 s15, 0, v22
	v_not_b32_e32 v22, v23
	v_lshlrev_b32_e32 v27, 26, v21
	v_cmp_ne_u32_e32 vcc_lo, 0, v25
	v_ashrrev_i32_e32 v127, 31, v127
	v_lshlrev_b32_e32 v126, 25, v21
	v_ashrrev_i32_e32 v22, 31, v22
	v_lshlrev_b32_e32 v25, 24, v21
	s_wait_alu 0xfffd
	v_xor_b32_e32 v20, vcc_lo, v20
	v_cmp_gt_i32_e32 vcc_lo, 0, v23
	v_not_b32_e32 v23, v24
	s_wait_alu 0xf1ff
	v_xor_b32_e32 v127, s15, v127
	v_cmp_gt_i32_e64 s15, 0, v24
	v_and_b32_e32 v20, exec_lo, v20
	v_not_b32_e32 v24, v26
	v_ashrrev_i32_e32 v23, 31, v23
	s_wait_alu 0xfffd
	v_xor_b32_e32 v22, vcc_lo, v22
	v_cmp_gt_i32_e32 vcc_lo, 0, v26
	v_and_b32_e32 v20, v20, v127
	v_not_b32_e32 v26, v27
	v_ashrrev_i32_e32 v24, 31, v24
	s_wait_alu 0xf1ff
	v_xor_b32_e32 v23, s15, v23
	v_cmp_gt_i32_e64 s15, 0, v27
	v_and_b32_e32 v20, v20, v22
	v_not_b32_e32 v22, v126
	v_ashrrev_i32_e32 v26, 31, v26
	s_wait_alu 0xfffd
	v_xor_b32_e32 v24, vcc_lo, v24
	v_cmp_gt_i32_e32 vcc_lo, 0, v126
	v_and_b32_e32 v20, v20, v23
	v_not_b32_e32 v23, v25
	v_ashrrev_i32_e32 v22, 31, v22
	s_wait_alu 0xf1ff
	v_xor_b32_e32 v26, s15, v26
	v_cmp_gt_i32_e64 s15, 0, v25
	v_and_b32_e32 v20, v20, v24
	v_ashrrev_i32_e32 v23, 31, v23
	s_wait_alu 0xfffd
	v_xor_b32_e32 v22, vcc_lo, v22
	v_mad_u32_u24 v24, v21, 36, v85
	v_mul_u32_u24_e32 v21, 36, v21
	v_and_b32_e32 v20, v20, v26
	s_wait_alu 0xf1ff
	v_xor_b32_e32 v23, s15, v23
	ds_load_b32 v126, v24 offset:1056
	v_add_nc_u32_e32 v128, v85, v21
	v_and_b32_e32 v20, v20, v22
	; wave barrier
	s_delay_alu instid0(VALU_DEP_1) | instskip(NEXT) | instid1(VALU_DEP_1)
	v_and_b32_e32 v20, v20, v23
	v_mbcnt_lo_u32_b32 v127, v20, 0
	v_cmp_ne_u32_e64 s15, 0, v20
	s_delay_alu instid0(VALU_DEP_2)
	v_cmp_eq_u32_e32 vcc_lo, 0, v127
	s_and_b32 s16, s15, vcc_lo
	s_wait_alu 0xfffe
	s_and_saveexec_b32 s15, s16
	s_cbranch_execz .LBB325_266
; %bb.265:                              ;   in Loop: Header=BB325_236 Depth=2
	s_wait_dscnt 0x0
	v_bcnt_u32_b32 v20, v20, v126
	ds_store_b32 v128, v20 offset:1056
.LBB325_266:                            ;   in Loop: Header=BB325_236 Depth=2
	s_wait_alu 0xfffe
	s_or_b32 exec_lo, exec_lo, s15
	; wave barrier
	s_wait_loadcnt_dscnt 0x0
	s_barrier_signal -1
	s_barrier_wait -1
	global_inv scope:SCOPE_SE
	ds_load_2addr_b32 v[26:27], v98 offset1:1
	ds_load_2addr_b32 v[24:25], v99 offset1:1
	;; [unrolled: 1-line block ×4, first 2 shown]
	ds_load_b32 v129, v45 offset:1088
	s_wait_dscnt 0x3
	v_add3_u32 v130, v27, v26, v24
	s_wait_dscnt 0x2
	s_delay_alu instid0(VALU_DEP_1) | instskip(SKIP_1) | instid1(VALU_DEP_1)
	v_add3_u32 v130, v130, v25, v22
	s_wait_dscnt 0x1
	v_add3_u32 v130, v130, v23, v20
	s_wait_dscnt 0x0
	s_delay_alu instid0(VALU_DEP_1) | instskip(NEXT) | instid1(VALU_DEP_1)
	v_add3_u32 v129, v130, v21, v129
	v_mov_b32_dpp v130, v129 row_shr:1 row_mask:0xf bank_mask:0xf
	s_delay_alu instid0(VALU_DEP_1) | instskip(NEXT) | instid1(VALU_DEP_1)
	v_cndmask_b32_e64 v130, v130, 0, s0
	v_add_nc_u32_e32 v129, v130, v129
	s_delay_alu instid0(VALU_DEP_1) | instskip(NEXT) | instid1(VALU_DEP_1)
	v_mov_b32_dpp v130, v129 row_shr:2 row_mask:0xf bank_mask:0xf
	v_cndmask_b32_e64 v130, 0, v130, s1
	s_delay_alu instid0(VALU_DEP_1) | instskip(NEXT) | instid1(VALU_DEP_1)
	v_add_nc_u32_e32 v129, v129, v130
	v_mov_b32_dpp v130, v129 row_shr:4 row_mask:0xf bank_mask:0xf
	s_delay_alu instid0(VALU_DEP_1) | instskip(NEXT) | instid1(VALU_DEP_1)
	v_cndmask_b32_e64 v130, 0, v130, s9
	v_add_nc_u32_e32 v129, v129, v130
	s_delay_alu instid0(VALU_DEP_1) | instskip(NEXT) | instid1(VALU_DEP_1)
	v_mov_b32_dpp v130, v129 row_shr:8 row_mask:0xf bank_mask:0xf
	v_cndmask_b32_e64 v130, 0, v130, s10
	s_delay_alu instid0(VALU_DEP_1) | instskip(SKIP_3) | instid1(VALU_DEP_1)
	v_add_nc_u32_e32 v129, v129, v130
	ds_swizzle_b32 v130, v129 offset:swizzle(BROADCAST,32,15)
	s_wait_dscnt 0x0
	v_cndmask_b32_e64 v130, v130, 0, s11
	v_add_nc_u32_e32 v129, v129, v130
	s_and_saveexec_b32 s15, s3
; %bb.267:                              ;   in Loop: Header=BB325_236 Depth=2
	ds_store_b32 v38, v129 offset:1024
; %bb.268:                              ;   in Loop: Header=BB325_236 Depth=2
	s_wait_alu 0xfffe
	s_or_b32 exec_lo, exec_lo, s15
	s_wait_loadcnt_dscnt 0x0
	s_barrier_signal -1
	s_barrier_wait -1
	global_inv scope:SCOPE_SE
	s_and_saveexec_b32 s15, s4
	s_cbranch_execz .LBB325_270
; %bb.269:                              ;   in Loop: Header=BB325_236 Depth=2
	v_add_nc_u32_e32 v130, v45, v46
	ds_load_b32 v131, v130 offset:1024
	s_wait_dscnt 0x0
	v_mov_b32_dpp v132, v131 row_shr:1 row_mask:0xf bank_mask:0xf
	s_delay_alu instid0(VALU_DEP_1) | instskip(NEXT) | instid1(VALU_DEP_1)
	v_cndmask_b32_e64 v132, v132, 0, s12
	v_add_nc_u32_e32 v131, v132, v131
	s_delay_alu instid0(VALU_DEP_1) | instskip(NEXT) | instid1(VALU_DEP_1)
	v_mov_b32_dpp v132, v131 row_shr:2 row_mask:0xf bank_mask:0xf
	v_cndmask_b32_e64 v132, 0, v132, s13
	s_delay_alu instid0(VALU_DEP_1) | instskip(NEXT) | instid1(VALU_DEP_1)
	v_add_nc_u32_e32 v131, v131, v132
	v_mov_b32_dpp v132, v131 row_shr:4 row_mask:0xf bank_mask:0xf
	s_delay_alu instid0(VALU_DEP_1) | instskip(NEXT) | instid1(VALU_DEP_1)
	v_cndmask_b32_e64 v132, 0, v132, s14
	v_add_nc_u32_e32 v131, v131, v132
	ds_store_b32 v130, v131 offset:1024
.LBB325_270:                            ;   in Loop: Header=BB325_236 Depth=2
	s_wait_alu 0xfffe
	s_or_b32 exec_lo, exec_lo, s15
	v_mov_b32_e32 v130, 0
	s_wait_loadcnt_dscnt 0x0
	s_barrier_signal -1
	s_barrier_wait -1
	global_inv scope:SCOPE_SE
	s_and_saveexec_b32 s15, s5
; %bb.271:                              ;   in Loop: Header=BB325_236 Depth=2
	ds_load_b32 v130, v38 offset:1020
; %bb.272:                              ;   in Loop: Header=BB325_236 Depth=2
	s_wait_alu 0xfffe
	s_or_b32 exec_lo, exec_lo, s15
	s_wait_dscnt 0x0
	v_add_nc_u32_e32 v129, v130, v129
	ds_bpermute_b32 v129, v80, v129
	s_wait_dscnt 0x0
	v_cndmask_b32_e64 v129, v129, v130, s8
	s_delay_alu instid0(VALU_DEP_1) | instskip(NEXT) | instid1(VALU_DEP_1)
	v_cndmask_b32_e64 v129, v129, 0, s6
	v_add_nc_u32_e32 v26, v129, v26
	s_delay_alu instid0(VALU_DEP_1) | instskip(NEXT) | instid1(VALU_DEP_1)
	v_add_nc_u32_e32 v27, v26, v27
	v_add_nc_u32_e32 v24, v27, v24
	s_delay_alu instid0(VALU_DEP_1) | instskip(NEXT) | instid1(VALU_DEP_1)
	v_add_nc_u32_e32 v25, v24, v25
	;; [unrolled: 3-line block ×3, first 2 shown]
	v_add_nc_u32_e32 v20, v23, v20
	s_delay_alu instid0(VALU_DEP_1)
	v_add_nc_u32_e32 v21, v20, v21
	ds_store_2addr_b32 v97, v23, v20 offset1:1
	ds_store_2addr_b32 v98, v129, v26 offset1:1
	ds_store_2addr_b32 v99, v27, v24 offset1:1
	ds_store_2addr_b32 v100, v25, v22 offset1:1
	ds_store_b32 v45, v21 offset:1088
	s_wait_loadcnt_dscnt 0x0
	s_barrier_signal -1
	s_barrier_wait -1
	global_inv scope:SCOPE_SE
	ds_load_b32 v20, v101 offset:1056
	ds_load_b32 v21, v105 offset:1056
	;; [unrolled: 1-line block ×9, first 2 shown]
	v_mov_b32_e32 v22, 0x800
	s_and_saveexec_b32 s15, s7
; %bb.273:                              ;   in Loop: Header=BB325_236 Depth=2
	ds_load_b32 v22, v45 offset:1092
; %bb.274:                              ;   in Loop: Header=BB325_236 Depth=2
	s_wait_alu 0xfffe
	s_or_b32 exec_lo, exec_lo, s15
	s_wait_loadcnt_dscnt 0x0
	s_barrier_signal -1
	s_barrier_wait -1
	global_inv scope:SCOPE_SE
	s_and_saveexec_b32 s15, s2
	s_cbranch_execz .LBB325_276
; %bb.275:                              ;   in Loop: Header=BB325_236 Depth=2
	ds_load_b32 v27, v28
	s_wait_dscnt 0x0
	v_sub_nc_u32_e32 v26, v27, v26
	ds_store_b32 v28, v26
.LBB325_276:                            ;   in Loop: Header=BB325_236 Depth=2
	s_wait_alu 0xfffe
	s_or_b32 exec_lo, exec_lo, s15
	v_add_nc_u32_e32 v98, v20, v95
	v_add3_u32 v97, v103, v102, v21
	v_add3_u32 v95, v107, v106, v23
	;; [unrolled: 1-line block ×7, first 2 shown]
	v_cmp_lt_u32_e64 s20, v1, v2
	ds_store_b8 v98, v94 offset:1024
	ds_store_b8 v97, v96 offset:1024
	;; [unrolled: 1-line block ×8, first 2 shown]
	s_wait_loadcnt_dscnt 0x0
	s_barrier_signal -1
	s_barrier_wait -1
	global_inv scope:SCOPE_SE
	s_and_saveexec_b32 s15, s20
	s_cbranch_execnz .LBB325_313
; %bb.277:                              ;   in Loop: Header=BB325_236 Depth=2
	s_wait_alu 0xfffe
	s_or_b32 exec_lo, exec_lo, s15
	v_cmp_lt_u32_e64 s21, v29, v2
	s_and_saveexec_b32 s15, s21
	s_cbranch_execnz .LBB325_314
.LBB325_278:                            ;   in Loop: Header=BB325_236 Depth=2
	s_wait_alu 0xfffe
	s_or_b32 exec_lo, exec_lo, s15
	v_cmp_lt_u32_e64 s19, v30, v2
	s_and_saveexec_b32 s15, s19
	s_cbranch_execnz .LBB325_315
.LBB325_279:                            ;   in Loop: Header=BB325_236 Depth=2
	s_wait_alu 0xfffe
	s_or_b32 exec_lo, exec_lo, s15
	v_cmp_lt_u32_e64 s18, v31, v2
	s_and_saveexec_b32 s15, s18
	s_cbranch_execnz .LBB325_316
.LBB325_280:                            ;   in Loop: Header=BB325_236 Depth=2
	s_wait_alu 0xfffe
	s_or_b32 exec_lo, exec_lo, s15
	v_cmp_lt_u32_e64 s17, v34, v2
	s_and_saveexec_b32 s15, s17
	s_cbranch_execnz .LBB325_317
.LBB325_281:                            ;   in Loop: Header=BB325_236 Depth=2
	s_wait_alu 0xfffe
	s_or_b32 exec_lo, exec_lo, s15
	v_cmp_lt_u32_e64 s16, v35, v2
	s_and_saveexec_b32 s15, s16
	s_cbranch_execnz .LBB325_318
.LBB325_282:                            ;   in Loop: Header=BB325_236 Depth=2
	s_wait_alu 0xfffe
	s_or_b32 exec_lo, exec_lo, s15
	v_cmp_lt_u32_e64 s15, v36, v2
	s_and_saveexec_b32 s44, s15
	s_cbranch_execnz .LBB325_319
.LBB325_283:                            ;   in Loop: Header=BB325_236 Depth=2
	s_wait_alu 0xfffe
	s_or_b32 exec_lo, exec_lo, s44
	v_cmp_lt_u32_e32 vcc_lo, v37, v2
	s_and_saveexec_b32 s44, vcc_lo
	s_cbranch_execz .LBB325_285
.LBB325_284:                            ;   in Loop: Header=BB325_236 Depth=2
	ds_load_u8 v20, v1 offset:2816
	s_wait_dscnt 0x0
	v_and_b32_e32 v21, 0xff, v20
	v_xor_b32_e32 v20, 0x7f, v20
	s_delay_alu instid0(VALU_DEP_2) | instskip(NEXT) | instid1(VALU_DEP_1)
	v_lshrrev_b32_e32 v21, s30, v21
	v_and_b32_e32 v21, s31, v21
	s_delay_alu instid0(VALU_DEP_1)
	v_lshlrev_b32_e32 v21, 2, v21
	ds_load_b32 v21, v21
	s_wait_dscnt 0x0
	v_add_nc_u32_e32 v21, v21, v37
	global_store_b8 v21, v20, s[40:41]
.LBB325_285:                            ;   in Loop: Header=BB325_236 Depth=2
	s_wait_alu 0xfffe
	s_or_b32 exec_lo, exec_lo, s44
	s_lshl_b64 s[48:49], s[22:23], 3
	s_wait_alu 0xfffe
	v_add_co_u32 v20, s22, v81, s48
	s_wait_alu 0xf1ff
	v_add_co_ci_u32_e64 v21, null, s49, v82, s22
	v_cmp_lt_u32_e64 s22, v68, v2
	s_and_saveexec_b32 s44, s22
	s_wait_alu 0xfffe
	s_xor_b32 s22, exec_lo, s44
	s_cbranch_execnz .LBB325_320
; %bb.286:                              ;   in Loop: Header=BB325_236 Depth=2
	s_wait_alu 0xfffe
	s_or_b32 exec_lo, exec_lo, s22
	s_delay_alu instid0(SALU_CYCLE_1)
	s_mov_b32 s44, exec_lo
	v_cmpx_lt_u32_e64 v71, v2
	s_cbranch_execnz .LBB325_321
.LBB325_287:                            ;   in Loop: Header=BB325_236 Depth=2
	s_wait_alu 0xfffe
	s_or_b32 exec_lo, exec_lo, s44
	s_delay_alu instid0(SALU_CYCLE_1)
	s_mov_b32 s44, exec_lo
	v_cmpx_lt_u32_e64 v72, v2
	s_cbranch_execnz .LBB325_322
.LBB325_288:                            ;   in Loop: Header=BB325_236 Depth=2
	s_wait_alu 0xfffe
	s_or_b32 exec_lo, exec_lo, s44
	s_delay_alu instid0(SALU_CYCLE_1)
	s_mov_b32 s44, exec_lo
	v_cmpx_lt_u32_e64 v73, v2
	s_cbranch_execnz .LBB325_323
.LBB325_289:                            ;   in Loop: Header=BB325_236 Depth=2
	s_wait_alu 0xfffe
	s_or_b32 exec_lo, exec_lo, s44
	s_delay_alu instid0(SALU_CYCLE_1)
	s_mov_b32 s44, exec_lo
	v_cmpx_lt_u32_e64 v74, v2
	s_cbranch_execnz .LBB325_324
.LBB325_290:                            ;   in Loop: Header=BB325_236 Depth=2
	s_wait_alu 0xfffe
	s_or_b32 exec_lo, exec_lo, s44
	s_delay_alu instid0(SALU_CYCLE_1)
	s_mov_b32 s44, exec_lo
	v_cmpx_lt_u32_e64 v75, v2
	s_cbranch_execnz .LBB325_325
.LBB325_291:                            ;   in Loop: Header=BB325_236 Depth=2
	s_wait_alu 0xfffe
	s_or_b32 exec_lo, exec_lo, s44
	s_delay_alu instid0(SALU_CYCLE_1)
	s_mov_b32 s44, exec_lo
	v_cmpx_lt_u32_e64 v76, v2
	s_cbranch_execnz .LBB325_326
.LBB325_292:                            ;   in Loop: Header=BB325_236 Depth=2
	s_wait_alu 0xfffe
	s_or_b32 exec_lo, exec_lo, s44
	s_delay_alu instid0(SALU_CYCLE_1)
	s_mov_b32 s44, exec_lo
	v_cmpx_lt_u32_e64 v77, v2
	s_cbranch_execnz .LBB325_327
.LBB325_293:                            ;   in Loop: Header=BB325_236 Depth=2
	s_wait_alu 0xfffe
	s_or_b32 exec_lo, exec_lo, s44
	s_and_saveexec_b32 s22, s20
	s_cbranch_execnz .LBB325_328
.LBB325_294:                            ;   in Loop: Header=BB325_236 Depth=2
	s_wait_alu 0xfffe
	s_or_b32 exec_lo, exec_lo, s22
	s_and_saveexec_b32 s22, s21
	s_cbranch_execnz .LBB325_329
.LBB325_295:                            ;   in Loop: Header=BB325_236 Depth=2
	s_wait_alu 0xfffe
	s_or_b32 exec_lo, exec_lo, s22
	s_and_saveexec_b32 s22, s19
	s_cbranch_execnz .LBB325_330
.LBB325_296:                            ;   in Loop: Header=BB325_236 Depth=2
	s_wait_alu 0xfffe
	s_or_b32 exec_lo, exec_lo, s22
	s_and_saveexec_b32 s22, s18
	s_cbranch_execnz .LBB325_331
.LBB325_297:                            ;   in Loop: Header=BB325_236 Depth=2
	s_wait_alu 0xfffe
	s_or_b32 exec_lo, exec_lo, s22
	s_and_saveexec_b32 s22, s17
	s_cbranch_execnz .LBB325_332
.LBB325_298:                            ;   in Loop: Header=BB325_236 Depth=2
	s_wait_alu 0xfffe
	s_or_b32 exec_lo, exec_lo, s22
	s_and_saveexec_b32 s22, s16
	s_cbranch_execnz .LBB325_333
.LBB325_299:                            ;   in Loop: Header=BB325_236 Depth=2
	s_wait_alu 0xfffe
	s_or_b32 exec_lo, exec_lo, s22
	s_and_saveexec_b32 s22, s15
	s_cbranch_execnz .LBB325_334
.LBB325_300:                            ;   in Loop: Header=BB325_236 Depth=2
	s_wait_alu 0xfffe
	s_or_b32 exec_lo, exec_lo, s22
	s_and_saveexec_b32 s22, vcc_lo
	s_cbranch_execz .LBB325_302
.LBB325_301:                            ;   in Loop: Header=BB325_236 Depth=2
	ds_load_u8 v2, v1 offset:2816
	s_wait_dscnt 0x0
	v_lshrrev_b32_e32 v2, s30, v2
	s_delay_alu instid0(VALU_DEP_1)
	v_and_b32_e32 v86, s31, v2
.LBB325_302:                            ;   in Loop: Header=BB325_236 Depth=2
	s_wait_alu 0xfffe
	s_or_b32 exec_lo, exec_lo, s22
	v_lshlrev_b32_e32 v2, 3, v98
	v_lshlrev_b32_e32 v20, 3, v97
	v_lshlrev_b32_e32 v21, 3, v95
	s_wait_loadcnt 0x0
	s_wait_storecnt 0x0
	s_barrier_signal -1
	s_barrier_wait -1
	global_inv scope:SCOPE_SE
	ds_store_b64 v2, v[18:19] offset:1024
	ds_store_b64 v20, v[16:17] offset:1024
	;; [unrolled: 1-line block ×3, first 2 shown]
	v_lshlrev_b32_e32 v2, 3, v27
	v_lshlrev_b32_e32 v20, 3, v26
	;; [unrolled: 1-line block ×5, first 2 shown]
	ds_store_b64 v2, v[12:13] offset:1024
	ds_store_b64 v20, v[10:11] offset:1024
	;; [unrolled: 1-line block ×5, first 2 shown]
	s_wait_loadcnt_dscnt 0x0
	s_barrier_signal -1
	s_barrier_wait -1
	global_inv scope:SCOPE_SE
	s_and_saveexec_b32 s22, s20
	s_cbranch_execnz .LBB325_335
; %bb.303:                              ;   in Loop: Header=BB325_236 Depth=2
	s_wait_alu 0xfffe
	s_or_b32 exec_lo, exec_lo, s22
	s_and_saveexec_b32 s22, s21
	s_cbranch_execnz .LBB325_336
.LBB325_304:                            ;   in Loop: Header=BB325_236 Depth=2
	s_wait_alu 0xfffe
	s_or_b32 exec_lo, exec_lo, s22
	s_and_saveexec_b32 s20, s19
	s_cbranch_execnz .LBB325_337
.LBB325_305:                            ;   in Loop: Header=BB325_236 Depth=2
	s_wait_alu 0xfffe
	s_or_b32 exec_lo, exec_lo, s20
	s_and_saveexec_b32 s19, s18
	s_cbranch_execnz .LBB325_338
.LBB325_306:                            ;   in Loop: Header=BB325_236 Depth=2
	s_wait_alu 0xfffe
	s_or_b32 exec_lo, exec_lo, s19
	s_and_saveexec_b32 s18, s17
	s_cbranch_execnz .LBB325_339
.LBB325_307:                            ;   in Loop: Header=BB325_236 Depth=2
	s_wait_alu 0xfffe
	s_or_b32 exec_lo, exec_lo, s18
	s_and_saveexec_b32 s17, s16
	s_cbranch_execnz .LBB325_340
.LBB325_308:                            ;   in Loop: Header=BB325_236 Depth=2
	s_wait_alu 0xfffe
	s_or_b32 exec_lo, exec_lo, s17
	s_and_saveexec_b32 s16, s15
	s_cbranch_execnz .LBB325_341
.LBB325_309:                            ;   in Loop: Header=BB325_236 Depth=2
	s_wait_alu 0xfffe
	s_or_b32 exec_lo, exec_lo, s16
	s_and_saveexec_b32 s15, vcc_lo
	s_cbranch_execz .LBB325_311
.LBB325_310:                            ;   in Loop: Header=BB325_236 Depth=2
	v_lshlrev_b32_e32 v2, 2, v86
	v_add_nc_u32_e32 v20, v1, v47
	ds_load_b32 v2, v2
	ds_load_b64 v[20:21], v20 offset:15360
	s_wait_dscnt 0x1
	v_add_nc_u32_e32 v2, v2, v37
	s_delay_alu instid0(VALU_DEP_1) | instskip(NEXT) | instid1(VALU_DEP_1)
	v_lshlrev_b64_e32 v[23:24], 3, v[2:3]
	v_add_co_u32 v23, vcc_lo, s26, v23
	s_wait_alu 0xfffd
	s_delay_alu instid0(VALU_DEP_2)
	v_add_co_ci_u32_e64 v24, null, s27, v24, vcc_lo
	s_wait_dscnt 0x0
	global_store_b64 v[23:24], v[20:21], off
.LBB325_311:                            ;   in Loop: Header=BB325_236 Depth=2
	s_wait_alu 0xfffe
	s_or_b32 exec_lo, exec_lo, s15
	s_wait_loadcnt 0x0
	s_wait_storecnt 0x0
	s_barrier_signal -1
	s_barrier_wait -1
	global_inv scope:SCOPE_SE
	s_and_saveexec_b32 s15, s2
	s_cbranch_execz .LBB325_235
; %bb.312:                              ;   in Loop: Header=BB325_236 Depth=2
	ds_load_b32 v2, v28
	s_wait_dscnt 0x0
	v_add_nc_u32_e32 v2, v2, v22
	ds_store_b32 v28, v2
	s_branch .LBB325_235
.LBB325_313:                            ;   in Loop: Header=BB325_236 Depth=2
	ds_load_u8 v20, v1 offset:1024
	s_wait_dscnt 0x0
	v_and_b32_e32 v21, 0xff, v20
	v_xor_b32_e32 v20, 0x7f, v20
	s_delay_alu instid0(VALU_DEP_2) | instskip(NEXT) | instid1(VALU_DEP_1)
	v_lshrrev_b32_e32 v21, s30, v21
	v_and_b32_e32 v21, s31, v21
	s_delay_alu instid0(VALU_DEP_1)
	v_lshlrev_b32_e32 v21, 2, v21
	ds_load_b32 v21, v21
	s_wait_dscnt 0x0
	v_add_nc_u32_e32 v21, v21, v1
	global_store_b8 v21, v20, s[40:41]
	s_wait_alu 0xfffe
	s_or_b32 exec_lo, exec_lo, s15
	v_cmp_lt_u32_e64 s21, v29, v2
	s_and_saveexec_b32 s15, s21
	s_cbranch_execz .LBB325_278
.LBB325_314:                            ;   in Loop: Header=BB325_236 Depth=2
	ds_load_u8 v20, v1 offset:1280
	s_wait_dscnt 0x0
	v_and_b32_e32 v21, 0xff, v20
	v_xor_b32_e32 v20, 0x7f, v20
	s_delay_alu instid0(VALU_DEP_2) | instskip(NEXT) | instid1(VALU_DEP_1)
	v_lshrrev_b32_e32 v21, s30, v21
	v_and_b32_e32 v21, s31, v21
	s_delay_alu instid0(VALU_DEP_1)
	v_lshlrev_b32_e32 v21, 2, v21
	ds_load_b32 v21, v21
	s_wait_dscnt 0x0
	v_add_nc_u32_e32 v21, v21, v29
	global_store_b8 v21, v20, s[40:41]
	s_wait_alu 0xfffe
	s_or_b32 exec_lo, exec_lo, s15
	v_cmp_lt_u32_e64 s19, v30, v2
	s_and_saveexec_b32 s15, s19
	s_cbranch_execz .LBB325_279
.LBB325_315:                            ;   in Loop: Header=BB325_236 Depth=2
	ds_load_u8 v20, v1 offset:1536
	s_wait_dscnt 0x0
	v_and_b32_e32 v21, 0xff, v20
	v_xor_b32_e32 v20, 0x7f, v20
	s_delay_alu instid0(VALU_DEP_2) | instskip(NEXT) | instid1(VALU_DEP_1)
	v_lshrrev_b32_e32 v21, s30, v21
	v_and_b32_e32 v21, s31, v21
	s_delay_alu instid0(VALU_DEP_1)
	v_lshlrev_b32_e32 v21, 2, v21
	ds_load_b32 v21, v21
	s_wait_dscnt 0x0
	v_add_nc_u32_e32 v21, v21, v30
	global_store_b8 v21, v20, s[40:41]
	s_wait_alu 0xfffe
	s_or_b32 exec_lo, exec_lo, s15
	v_cmp_lt_u32_e64 s18, v31, v2
	s_and_saveexec_b32 s15, s18
	s_cbranch_execz .LBB325_280
.LBB325_316:                            ;   in Loop: Header=BB325_236 Depth=2
	ds_load_u8 v20, v1 offset:1792
	s_wait_dscnt 0x0
	v_and_b32_e32 v21, 0xff, v20
	v_xor_b32_e32 v20, 0x7f, v20
	s_delay_alu instid0(VALU_DEP_2) | instskip(NEXT) | instid1(VALU_DEP_1)
	v_lshrrev_b32_e32 v21, s30, v21
	v_and_b32_e32 v21, s31, v21
	s_delay_alu instid0(VALU_DEP_1)
	v_lshlrev_b32_e32 v21, 2, v21
	ds_load_b32 v21, v21
	s_wait_dscnt 0x0
	v_add_nc_u32_e32 v21, v21, v31
	global_store_b8 v21, v20, s[40:41]
	s_wait_alu 0xfffe
	s_or_b32 exec_lo, exec_lo, s15
	v_cmp_lt_u32_e64 s17, v34, v2
	s_and_saveexec_b32 s15, s17
	s_cbranch_execz .LBB325_281
.LBB325_317:                            ;   in Loop: Header=BB325_236 Depth=2
	ds_load_u8 v20, v1 offset:2048
	s_wait_dscnt 0x0
	v_and_b32_e32 v21, 0xff, v20
	v_xor_b32_e32 v20, 0x7f, v20
	s_delay_alu instid0(VALU_DEP_2) | instskip(NEXT) | instid1(VALU_DEP_1)
	v_lshrrev_b32_e32 v21, s30, v21
	v_and_b32_e32 v21, s31, v21
	s_delay_alu instid0(VALU_DEP_1)
	v_lshlrev_b32_e32 v21, 2, v21
	ds_load_b32 v21, v21
	s_wait_dscnt 0x0
	v_add_nc_u32_e32 v21, v21, v34
	global_store_b8 v21, v20, s[40:41]
	s_wait_alu 0xfffe
	s_or_b32 exec_lo, exec_lo, s15
	v_cmp_lt_u32_e64 s16, v35, v2
	s_and_saveexec_b32 s15, s16
	s_cbranch_execz .LBB325_282
.LBB325_318:                            ;   in Loop: Header=BB325_236 Depth=2
	ds_load_u8 v20, v1 offset:2304
	s_wait_dscnt 0x0
	v_and_b32_e32 v21, 0xff, v20
	v_xor_b32_e32 v20, 0x7f, v20
	s_delay_alu instid0(VALU_DEP_2) | instskip(NEXT) | instid1(VALU_DEP_1)
	v_lshrrev_b32_e32 v21, s30, v21
	v_and_b32_e32 v21, s31, v21
	s_delay_alu instid0(VALU_DEP_1)
	v_lshlrev_b32_e32 v21, 2, v21
	ds_load_b32 v21, v21
	s_wait_dscnt 0x0
	v_add_nc_u32_e32 v21, v21, v35
	global_store_b8 v21, v20, s[40:41]
	s_wait_alu 0xfffe
	s_or_b32 exec_lo, exec_lo, s15
	v_cmp_lt_u32_e64 s15, v36, v2
	s_and_saveexec_b32 s44, s15
	s_cbranch_execz .LBB325_283
.LBB325_319:                            ;   in Loop: Header=BB325_236 Depth=2
	ds_load_u8 v20, v1 offset:2560
	s_wait_dscnt 0x0
	v_and_b32_e32 v21, 0xff, v20
	v_xor_b32_e32 v20, 0x7f, v20
	s_delay_alu instid0(VALU_DEP_2) | instskip(NEXT) | instid1(VALU_DEP_1)
	v_lshrrev_b32_e32 v21, s30, v21
	v_and_b32_e32 v21, s31, v21
	s_delay_alu instid0(VALU_DEP_1)
	v_lshlrev_b32_e32 v21, 2, v21
	ds_load_b32 v21, v21
	s_wait_dscnt 0x0
	v_add_nc_u32_e32 v21, v21, v36
	global_store_b8 v21, v20, s[40:41]
	s_wait_alu 0xfffe
	s_or_b32 exec_lo, exec_lo, s44
	v_cmp_lt_u32_e32 vcc_lo, v37, v2
	s_and_saveexec_b32 s44, vcc_lo
	s_cbranch_execnz .LBB325_284
	s_branch .LBB325_285
.LBB325_320:                            ;   in Loop: Header=BB325_236 Depth=2
	global_load_b64 v[18:19], v[20:21], off
	s_wait_alu 0xfffe
	s_or_b32 exec_lo, exec_lo, s22
	s_delay_alu instid0(SALU_CYCLE_1)
	s_mov_b32 s44, exec_lo
	v_cmpx_lt_u32_e64 v71, v2
	s_cbranch_execz .LBB325_287
.LBB325_321:                            ;   in Loop: Header=BB325_236 Depth=2
	global_load_b64 v[16:17], v[20:21], off offset:256
	s_wait_alu 0xfffe
	s_or_b32 exec_lo, exec_lo, s44
	s_delay_alu instid0(SALU_CYCLE_1)
	s_mov_b32 s44, exec_lo
	v_cmpx_lt_u32_e64 v72, v2
	s_cbranch_execz .LBB325_288
.LBB325_322:                            ;   in Loop: Header=BB325_236 Depth=2
	global_load_b64 v[14:15], v[20:21], off offset:512
	s_wait_alu 0xfffe
	s_or_b32 exec_lo, exec_lo, s44
	s_delay_alu instid0(SALU_CYCLE_1)
	s_mov_b32 s44, exec_lo
	v_cmpx_lt_u32_e64 v73, v2
	s_cbranch_execz .LBB325_289
.LBB325_323:                            ;   in Loop: Header=BB325_236 Depth=2
	global_load_b64 v[12:13], v[20:21], off offset:768
	s_wait_alu 0xfffe
	s_or_b32 exec_lo, exec_lo, s44
	s_delay_alu instid0(SALU_CYCLE_1)
	s_mov_b32 s44, exec_lo
	v_cmpx_lt_u32_e64 v74, v2
	s_cbranch_execz .LBB325_290
.LBB325_324:                            ;   in Loop: Header=BB325_236 Depth=2
	global_load_b64 v[10:11], v[20:21], off offset:1024
	s_wait_alu 0xfffe
	s_or_b32 exec_lo, exec_lo, s44
	s_delay_alu instid0(SALU_CYCLE_1)
	s_mov_b32 s44, exec_lo
	v_cmpx_lt_u32_e64 v75, v2
	s_cbranch_execz .LBB325_291
.LBB325_325:                            ;   in Loop: Header=BB325_236 Depth=2
	global_load_b64 v[8:9], v[20:21], off offset:1280
	s_wait_alu 0xfffe
	s_or_b32 exec_lo, exec_lo, s44
	s_delay_alu instid0(SALU_CYCLE_1)
	s_mov_b32 s44, exec_lo
	v_cmpx_lt_u32_e64 v76, v2
	s_cbranch_execz .LBB325_292
.LBB325_326:                            ;   in Loop: Header=BB325_236 Depth=2
	global_load_b64 v[6:7], v[20:21], off offset:1536
	s_wait_alu 0xfffe
	s_or_b32 exec_lo, exec_lo, s44
	s_delay_alu instid0(SALU_CYCLE_1)
	s_mov_b32 s44, exec_lo
	v_cmpx_lt_u32_e64 v77, v2
	s_cbranch_execz .LBB325_293
.LBB325_327:                            ;   in Loop: Header=BB325_236 Depth=2
	global_load_b64 v[4:5], v[20:21], off offset:1792
	s_wait_alu 0xfffe
	s_or_b32 exec_lo, exec_lo, s44
	s_and_saveexec_b32 s22, s20
	s_cbranch_execz .LBB325_294
.LBB325_328:                            ;   in Loop: Header=BB325_236 Depth=2
	ds_load_u8 v2, v1 offset:1024
	s_wait_dscnt 0x0
	v_lshrrev_b32_e32 v2, s30, v2
	s_delay_alu instid0(VALU_DEP_1)
	v_and_b32_e32 v93, s31, v2
	s_wait_alu 0xfffe
	s_or_b32 exec_lo, exec_lo, s22
	s_and_saveexec_b32 s22, s21
	s_cbranch_execz .LBB325_295
.LBB325_329:                            ;   in Loop: Header=BB325_236 Depth=2
	ds_load_u8 v2, v1 offset:1280
	s_wait_dscnt 0x0
	v_lshrrev_b32_e32 v2, s30, v2
	s_delay_alu instid0(VALU_DEP_1)
	v_and_b32_e32 v92, s31, v2
	s_wait_alu 0xfffe
	s_or_b32 exec_lo, exec_lo, s22
	s_and_saveexec_b32 s22, s19
	s_cbranch_execz .LBB325_296
.LBB325_330:                            ;   in Loop: Header=BB325_236 Depth=2
	ds_load_u8 v2, v1 offset:1536
	s_wait_dscnt 0x0
	v_lshrrev_b32_e32 v2, s30, v2
	s_delay_alu instid0(VALU_DEP_1)
	v_and_b32_e32 v91, s31, v2
	s_wait_alu 0xfffe
	s_or_b32 exec_lo, exec_lo, s22
	s_and_saveexec_b32 s22, s18
	s_cbranch_execz .LBB325_297
.LBB325_331:                            ;   in Loop: Header=BB325_236 Depth=2
	ds_load_u8 v2, v1 offset:1792
	s_wait_dscnt 0x0
	v_lshrrev_b32_e32 v2, s30, v2
	s_delay_alu instid0(VALU_DEP_1)
	v_and_b32_e32 v90, s31, v2
	s_wait_alu 0xfffe
	s_or_b32 exec_lo, exec_lo, s22
	s_and_saveexec_b32 s22, s17
	s_cbranch_execz .LBB325_298
.LBB325_332:                            ;   in Loop: Header=BB325_236 Depth=2
	ds_load_u8 v2, v1 offset:2048
	s_wait_dscnt 0x0
	v_lshrrev_b32_e32 v2, s30, v2
	s_delay_alu instid0(VALU_DEP_1)
	v_and_b32_e32 v89, s31, v2
	s_wait_alu 0xfffe
	s_or_b32 exec_lo, exec_lo, s22
	s_and_saveexec_b32 s22, s16
	s_cbranch_execz .LBB325_299
.LBB325_333:                            ;   in Loop: Header=BB325_236 Depth=2
	ds_load_u8 v2, v1 offset:2304
	s_wait_dscnt 0x0
	v_lshrrev_b32_e32 v2, s30, v2
	s_delay_alu instid0(VALU_DEP_1)
	v_and_b32_e32 v88, s31, v2
	s_wait_alu 0xfffe
	s_or_b32 exec_lo, exec_lo, s22
	s_and_saveexec_b32 s22, s15
	s_cbranch_execz .LBB325_300
.LBB325_334:                            ;   in Loop: Header=BB325_236 Depth=2
	ds_load_u8 v2, v1 offset:2560
	s_wait_dscnt 0x0
	v_lshrrev_b32_e32 v2, s30, v2
	s_delay_alu instid0(VALU_DEP_1)
	v_and_b32_e32 v87, s31, v2
	s_wait_alu 0xfffe
	s_or_b32 exec_lo, exec_lo, s22
	s_and_saveexec_b32 s22, vcc_lo
	s_cbranch_execnz .LBB325_301
	s_branch .LBB325_302
.LBB325_335:                            ;   in Loop: Header=BB325_236 Depth=2
	v_lshlrev_b32_e32 v2, 2, v93
	v_add_nc_u32_e32 v20, v1, v47
	ds_load_b32 v2, v2
	ds_load_b64 v[20:21], v20 offset:1024
	s_wait_dscnt 0x1
	v_add_nc_u32_e32 v2, v2, v1
	s_delay_alu instid0(VALU_DEP_1) | instskip(NEXT) | instid1(VALU_DEP_1)
	v_lshlrev_b64_e32 v[23:24], 3, v[2:3]
	v_add_co_u32 v23, s20, s26, v23
	s_wait_alu 0xf1ff
	s_delay_alu instid0(VALU_DEP_2)
	v_add_co_ci_u32_e64 v24, null, s27, v24, s20
	s_wait_dscnt 0x0
	global_store_b64 v[23:24], v[20:21], off
	s_wait_alu 0xfffe
	s_or_b32 exec_lo, exec_lo, s22
	s_and_saveexec_b32 s22, s21
	s_cbranch_execz .LBB325_304
.LBB325_336:                            ;   in Loop: Header=BB325_236 Depth=2
	v_lshlrev_b32_e32 v2, 2, v92
	v_add_nc_u32_e32 v20, v1, v47
	ds_load_b32 v2, v2
	ds_load_b64 v[20:21], v20 offset:3072
	s_wait_dscnt 0x1
	v_add_nc_u32_e32 v2, v2, v29
	s_delay_alu instid0(VALU_DEP_1) | instskip(NEXT) | instid1(VALU_DEP_1)
	v_lshlrev_b64_e32 v[23:24], 3, v[2:3]
	v_add_co_u32 v23, s20, s26, v23
	s_wait_alu 0xf1ff
	s_delay_alu instid0(VALU_DEP_2)
	v_add_co_ci_u32_e64 v24, null, s27, v24, s20
	s_wait_dscnt 0x0
	global_store_b64 v[23:24], v[20:21], off
	s_wait_alu 0xfffe
	s_or_b32 exec_lo, exec_lo, s22
	s_and_saveexec_b32 s20, s19
	s_cbranch_execz .LBB325_305
.LBB325_337:                            ;   in Loop: Header=BB325_236 Depth=2
	v_lshlrev_b32_e32 v2, 2, v91
	v_add_nc_u32_e32 v20, v1, v47
	ds_load_b32 v2, v2
	ds_load_b64 v[20:21], v20 offset:5120
	s_wait_dscnt 0x1
	v_add_nc_u32_e32 v2, v2, v30
	s_delay_alu instid0(VALU_DEP_1) | instskip(NEXT) | instid1(VALU_DEP_1)
	v_lshlrev_b64_e32 v[23:24], 3, v[2:3]
	v_add_co_u32 v23, s19, s26, v23
	s_wait_alu 0xf1ff
	s_delay_alu instid0(VALU_DEP_2)
	v_add_co_ci_u32_e64 v24, null, s27, v24, s19
	s_wait_dscnt 0x0
	global_store_b64 v[23:24], v[20:21], off
	s_wait_alu 0xfffe
	s_or_b32 exec_lo, exec_lo, s20
	s_and_saveexec_b32 s19, s18
	s_cbranch_execz .LBB325_306
.LBB325_338:                            ;   in Loop: Header=BB325_236 Depth=2
	v_lshlrev_b32_e32 v2, 2, v90
	v_add_nc_u32_e32 v20, v1, v47
	ds_load_b32 v2, v2
	ds_load_b64 v[20:21], v20 offset:7168
	s_wait_dscnt 0x1
	v_add_nc_u32_e32 v2, v2, v31
	s_delay_alu instid0(VALU_DEP_1) | instskip(NEXT) | instid1(VALU_DEP_1)
	v_lshlrev_b64_e32 v[23:24], 3, v[2:3]
	v_add_co_u32 v23, s18, s26, v23
	s_wait_alu 0xf1ff
	s_delay_alu instid0(VALU_DEP_2)
	v_add_co_ci_u32_e64 v24, null, s27, v24, s18
	s_wait_dscnt 0x0
	global_store_b64 v[23:24], v[20:21], off
	s_wait_alu 0xfffe
	s_or_b32 exec_lo, exec_lo, s19
	s_and_saveexec_b32 s18, s17
	s_cbranch_execz .LBB325_307
.LBB325_339:                            ;   in Loop: Header=BB325_236 Depth=2
	v_lshlrev_b32_e32 v2, 2, v89
	v_add_nc_u32_e32 v20, v1, v47
	ds_load_b32 v2, v2
	ds_load_b64 v[20:21], v20 offset:9216
	s_wait_dscnt 0x1
	v_add_nc_u32_e32 v2, v2, v34
	s_delay_alu instid0(VALU_DEP_1) | instskip(NEXT) | instid1(VALU_DEP_1)
	v_lshlrev_b64_e32 v[23:24], 3, v[2:3]
	v_add_co_u32 v23, s17, s26, v23
	s_wait_alu 0xf1ff
	s_delay_alu instid0(VALU_DEP_2)
	v_add_co_ci_u32_e64 v24, null, s27, v24, s17
	s_wait_dscnt 0x0
	global_store_b64 v[23:24], v[20:21], off
	s_wait_alu 0xfffe
	s_or_b32 exec_lo, exec_lo, s18
	s_and_saveexec_b32 s17, s16
	s_cbranch_execz .LBB325_308
.LBB325_340:                            ;   in Loop: Header=BB325_236 Depth=2
	v_lshlrev_b32_e32 v2, 2, v88
	v_add_nc_u32_e32 v20, v1, v47
	ds_load_b32 v2, v2
	ds_load_b64 v[20:21], v20 offset:11264
	s_wait_dscnt 0x1
	v_add_nc_u32_e32 v2, v2, v35
	s_delay_alu instid0(VALU_DEP_1) | instskip(NEXT) | instid1(VALU_DEP_1)
	v_lshlrev_b64_e32 v[23:24], 3, v[2:3]
	v_add_co_u32 v23, s16, s26, v23
	s_wait_alu 0xf1ff
	s_delay_alu instid0(VALU_DEP_2)
	v_add_co_ci_u32_e64 v24, null, s27, v24, s16
	s_wait_dscnt 0x0
	global_store_b64 v[23:24], v[20:21], off
	s_wait_alu 0xfffe
	s_or_b32 exec_lo, exec_lo, s17
	s_and_saveexec_b32 s16, s15
	s_cbranch_execz .LBB325_309
.LBB325_341:                            ;   in Loop: Header=BB325_236 Depth=2
	v_lshlrev_b32_e32 v2, 2, v87
	v_add_nc_u32_e32 v20, v1, v47
	ds_load_b32 v2, v2
	ds_load_b64 v[20:21], v20 offset:13312
	s_wait_dscnt 0x1
	v_add_nc_u32_e32 v2, v2, v36
	s_delay_alu instid0(VALU_DEP_1) | instskip(NEXT) | instid1(VALU_DEP_1)
	v_lshlrev_b64_e32 v[23:24], 3, v[2:3]
	v_add_co_u32 v23, s15, s26, v23
	s_wait_alu 0xf1ff
	s_delay_alu instid0(VALU_DEP_2)
	v_add_co_ci_u32_e64 v24, null, s27, v24, s15
	s_wait_dscnt 0x0
	global_store_b64 v[23:24], v[20:21], off
	s_wait_alu 0xfffe
	s_or_b32 exec_lo, exec_lo, s16
	s_and_saveexec_b32 s15, vcc_lo
	s_cbranch_execnz .LBB325_310
	s_branch .LBB325_311
.LBB325_342:                            ;   in Loop: Header=BB325_236 Depth=2
	global_load_u8 v94, v[20:21], off
	v_dual_mov_b32 v22, 0x80 :: v_dual_mov_b32 v27, 0x80
	v_dual_mov_b32 v96, 0x80 :: v_dual_mov_b32 v25, 0x80
	v_dual_mov_b32 v26, 0x80 :: v_dual_mov_b32 v23, 0x80
	v_mov_b32_e32 v24, 0x80
	s_wait_alu 0xfffe
	s_or_b32 exec_lo, exec_lo, s15
	s_delay_alu instid0(SALU_CYCLE_1)
	s_mov_b32 s15, exec_lo
	v_cmpx_gt_u32_e64 s42, v71
	s_cbranch_execz .LBB325_241
.LBB325_343:                            ;   in Loop: Header=BB325_236 Depth=2
	global_load_u8 v96, v[20:21], off offset:32
	s_wait_alu 0xfffe
	s_or_b32 exec_lo, exec_lo, s15
	s_delay_alu instid0(SALU_CYCLE_1)
	s_mov_b32 s15, exec_lo
	v_cmpx_gt_u32_e64 s42, v72
	s_cbranch_execz .LBB325_242
.LBB325_344:                            ;   in Loop: Header=BB325_236 Depth=2
	global_load_u8 v27, v[20:21], off offset:64
	s_wait_alu 0xfffe
	s_or_b32 exec_lo, exec_lo, s15
	s_delay_alu instid0(SALU_CYCLE_1)
	s_mov_b32 s15, exec_lo
	v_cmpx_gt_u32_e64 s42, v73
	s_cbranch_execz .LBB325_243
.LBB325_345:                            ;   in Loop: Header=BB325_236 Depth=2
	global_load_u8 v26, v[20:21], off offset:96
	s_wait_alu 0xfffe
	s_or_b32 exec_lo, exec_lo, s15
	s_delay_alu instid0(SALU_CYCLE_1)
	s_mov_b32 s15, exec_lo
	v_cmpx_gt_u32_e64 s42, v74
	s_cbranch_execz .LBB325_244
.LBB325_346:                            ;   in Loop: Header=BB325_236 Depth=2
	global_load_u8 v25, v[20:21], off offset:128
	s_wait_alu 0xfffe
	s_or_b32 exec_lo, exec_lo, s15
	s_delay_alu instid0(SALU_CYCLE_1)
	s_mov_b32 s15, exec_lo
	v_cmpx_gt_u32_e64 s42, v75
	s_cbranch_execz .LBB325_245
.LBB325_347:                            ;   in Loop: Header=BB325_236 Depth=2
	global_load_u8 v24, v[20:21], off offset:160
	s_wait_alu 0xfffe
	s_or_b32 exec_lo, exec_lo, s15
	s_delay_alu instid0(SALU_CYCLE_1)
	s_mov_b32 s15, exec_lo
	v_cmpx_gt_u32_e64 s42, v76
	s_cbranch_execnz .LBB325_246
	s_branch .LBB325_247
.LBB325_348:                            ;   in Loop: Header=BB325_20 Depth=1
	s_wait_loadcnt_dscnt 0x0
	s_barrier_signal -1
	s_barrier_wait -1
.LBB325_349:                            ;   in Loop: Header=BB325_20 Depth=1
	s_mov_b32 s0, 0
.LBB325_350:                            ;   in Loop: Header=BB325_20 Depth=1
	s_wait_alu 0xfffe
	s_and_not1_b32 vcc_lo, exec_lo, s0
	s_wait_alu 0xfffe
	s_cbranch_vccnz .LBB325_19
; %bb.351:                              ;   in Loop: Header=BB325_20 Depth=1
	s_and_b32 vcc_lo, exec_lo, s35
	s_mov_b32 s0, -1
	s_wait_alu 0xfffe
	s_cbranch_vccz .LBB325_515
; %bb.352:                              ;   in Loop: Header=BB325_20 Depth=1
	v_dual_mov_b32 v7, 0 :: v_dual_mov_b32 v10, 0
	v_dual_mov_b32 v9, 0 :: v_dual_mov_b32 v8, 0
	;; [unrolled: 1-line block ×3, first 2 shown]
	v_mov_b32_e32 v4, 0
	v_mov_b32_e32 v2, 0
	s_mov_b32 s9, s47
	s_mov_b32 s22, s33
	s_barrier_signal -1
	s_barrier_wait -1
	global_inv scope:SCOPE_SE
	s_branch .LBB325_354
.LBB325_353:                            ;   in Loop: Header=BB325_354 Depth=2
	s_wait_alu 0xfffe
	s_or_b32 exec_lo, exec_lo, s0
	s_addk_co_i32 s9, 0xf800
	s_cmp_ge_u32 s10, s34
	s_mov_b32 s22, s10
	s_cbranch_scc1 .LBB325_390
.LBB325_354:                            ;   Parent Loop BB325_20 Depth=1
                                        ; =>  This Inner Loop Header: Depth=2
	s_wait_alu 0xfffe
	s_add_co_i32 s10, s22, 0x800
	s_mov_b32 s0, -1
	s_wait_alu 0xfffe
	s_cmp_gt_u32 s10, s34
                                        ; implicit-def: $vgpr11
                                        ; implicit-def: $vgpr12
                                        ; implicit-def: $vgpr13
                                        ; implicit-def: $vgpr14
                                        ; implicit-def: $vgpr15
                                        ; implicit-def: $vgpr16
                                        ; implicit-def: $vgpr17
                                        ; implicit-def: $vgpr18
	s_cbranch_scc1 .LBB325_356
; %bb.355:                              ;   in Loop: Header=BB325_354 Depth=2
	v_add_co_u32 v19, vcc_lo, v54, s22
	s_wait_alu 0xfffd
	v_add_co_ci_u32_e64 v20, null, 0, v55, vcc_lo
	s_mov_b32 s0, 0
	s_clause 0x7
	global_load_u8 v18, v[19:20], off offset:1792
	global_load_u8 v17, v[19:20], off offset:1536
	;; [unrolled: 1-line block ×7, first 2 shown]
	global_load_u8 v11, v[19:20], off
.LBB325_356:                            ;   in Loop: Header=BB325_354 Depth=2
	s_wait_alu 0xfffe
	s_and_not1_b32 vcc_lo, exec_lo, s0
	s_movk_i32 s0, 0x800
	s_wait_alu 0xfffe
	s_cbranch_vccnz .LBB325_367
; %bb.357:                              ;   in Loop: Header=BB325_354 Depth=2
	s_add_nc_u64 s[0:1], s[36:37], s[22:23]
	s_mov_b32 s11, exec_lo
	v_cmpx_gt_u32_e64 s9, v1
	s_cbranch_execnz .LBB325_383
; %bb.358:                              ;   in Loop: Header=BB325_354 Depth=2
	s_wait_alu 0xfffe
	s_or_b32 exec_lo, exec_lo, s11
	s_delay_alu instid0(SALU_CYCLE_1)
	s_mov_b32 s11, exec_lo
	v_cmpx_gt_u32_e64 s9, v29
	s_cbranch_execnz .LBB325_384
.LBB325_359:                            ;   in Loop: Header=BB325_354 Depth=2
	s_wait_alu 0xfffe
	s_or_b32 exec_lo, exec_lo, s11
	s_delay_alu instid0(SALU_CYCLE_1)
	s_mov_b32 s11, exec_lo
	v_cmpx_gt_u32_e64 s9, v30
	s_cbranch_execnz .LBB325_385
.LBB325_360:                            ;   in Loop: Header=BB325_354 Depth=2
	s_wait_alu 0xfffe
	s_or_b32 exec_lo, exec_lo, s11
	s_delay_alu instid0(SALU_CYCLE_1)
	s_mov_b32 s11, exec_lo
	v_cmpx_gt_u32_e64 s9, v31
	s_cbranch_execnz .LBB325_386
.LBB325_361:                            ;   in Loop: Header=BB325_354 Depth=2
	s_wait_alu 0xfffe
	s_or_b32 exec_lo, exec_lo, s11
	s_delay_alu instid0(SALU_CYCLE_1)
	s_mov_b32 s11, exec_lo
	v_cmpx_gt_u32_e64 s9, v34
	s_cbranch_execnz .LBB325_387
.LBB325_362:                            ;   in Loop: Header=BB325_354 Depth=2
	s_wait_alu 0xfffe
	s_or_b32 exec_lo, exec_lo, s11
	s_delay_alu instid0(SALU_CYCLE_1)
	s_mov_b32 s11, exec_lo
	v_cmpx_gt_u32_e64 s9, v35
	s_cbranch_execnz .LBB325_388
.LBB325_363:                            ;   in Loop: Header=BB325_354 Depth=2
	s_wait_alu 0xfffe
	s_or_b32 exec_lo, exec_lo, s11
	s_delay_alu instid0(SALU_CYCLE_1)
	s_mov_b32 s11, exec_lo
	v_cmpx_gt_u32_e64 s9, v36
	s_cbranch_execnz .LBB325_389
.LBB325_364:                            ;   in Loop: Header=BB325_354 Depth=2
	s_wait_alu 0xfffe
	s_or_b32 exec_lo, exec_lo, s11
	s_delay_alu instid0(SALU_CYCLE_1)
	s_mov_b32 s11, exec_lo
	v_cmpx_gt_u32_e64 s9, v37
	s_cbranch_execz .LBB325_366
.LBB325_365:                            ;   in Loop: Header=BB325_354 Depth=2
	s_wait_loadcnt 0x0
	v_add_co_u32 v11, s0, s0, v1
	s_wait_alu 0xf1ff
	v_add_co_ci_u32_e64 v12, null, s1, 0, s0
	global_load_u8 v2, v[11:12], off offset:1792
.LBB325_366:                            ;   in Loop: Header=BB325_354 Depth=2
	s_wait_alu 0xfffe
	s_or_b32 exec_lo, exec_lo, s11
	s_wait_loadcnt 0x0
	v_dual_mov_b32 v11, v7 :: v_dual_mov_b32 v12, v10
	v_dual_mov_b32 v13, v9 :: v_dual_mov_b32 v14, v8
	;; [unrolled: 1-line block ×4, first 2 shown]
	s_mov_b32 s0, s9
.LBB325_367:                            ;   in Loop: Header=BB325_354 Depth=2
	s_wait_loadcnt 0x5
	s_delay_alu instid0(VALU_DEP_1)
	v_dual_mov_b32 v2, v18 :: v_dual_mov_b32 v5, v16
	s_wait_loadcnt 0x2
	v_dual_mov_b32 v4, v17 :: v_dual_mov_b32 v9, v13
	s_wait_loadcnt 0x0
	v_dual_mov_b32 v6, v15 :: v_dual_mov_b32 v7, v11
	v_mov_b32_e32 v8, v14
	v_mov_b32_e32 v10, v12
	s_mov_b32 s1, exec_lo
	s_wait_alu 0xfffe
	v_cmpx_gt_u32_e64 s0, v1
	s_cbranch_execnz .LBB325_375
; %bb.368:                              ;   in Loop: Header=BB325_354 Depth=2
	s_or_b32 exec_lo, exec_lo, s1
	s_delay_alu instid0(SALU_CYCLE_1)
	s_mov_b32 s1, exec_lo
	v_cmpx_gt_u32_e64 s0, v29
	s_cbranch_execnz .LBB325_376
.LBB325_369:                            ;   in Loop: Header=BB325_354 Depth=2
	s_wait_alu 0xfffe
	s_or_b32 exec_lo, exec_lo, s1
	s_delay_alu instid0(SALU_CYCLE_1)
	s_mov_b32 s1, exec_lo
	v_cmpx_gt_u32_e64 s0, v30
	s_cbranch_execnz .LBB325_377
.LBB325_370:                            ;   in Loop: Header=BB325_354 Depth=2
	s_wait_alu 0xfffe
	s_or_b32 exec_lo, exec_lo, s1
	s_delay_alu instid0(SALU_CYCLE_1)
	s_mov_b32 s1, exec_lo
	v_cmpx_gt_u32_e64 s0, v31
	s_cbranch_execnz .LBB325_378
.LBB325_371:                            ;   in Loop: Header=BB325_354 Depth=2
	s_wait_alu 0xfffe
	s_or_b32 exec_lo, exec_lo, s1
	s_delay_alu instid0(SALU_CYCLE_1)
	s_mov_b32 s1, exec_lo
	v_cmpx_gt_u32_e64 s0, v34
	s_cbranch_execnz .LBB325_379
.LBB325_372:                            ;   in Loop: Header=BB325_354 Depth=2
	s_wait_alu 0xfffe
	s_or_b32 exec_lo, exec_lo, s1
	s_delay_alu instid0(SALU_CYCLE_1)
	s_mov_b32 s1, exec_lo
	v_cmpx_gt_u32_e64 s0, v35
	s_cbranch_execnz .LBB325_380
.LBB325_373:                            ;   in Loop: Header=BB325_354 Depth=2
	s_wait_alu 0xfffe
	s_or_b32 exec_lo, exec_lo, s1
	s_delay_alu instid0(SALU_CYCLE_1)
	s_mov_b32 s1, exec_lo
	v_cmpx_gt_u32_e64 s0, v36
	s_cbranch_execnz .LBB325_381
.LBB325_374:                            ;   in Loop: Header=BB325_354 Depth=2
	s_wait_alu 0xfffe
	s_or_b32 exec_lo, exec_lo, s1
	v_cmp_gt_u32_e32 vcc_lo, s0, v37
	s_and_saveexec_b32 s0, vcc_lo
	s_cbranch_execz .LBB325_353
	s_branch .LBB325_382
.LBB325_375:                            ;   in Loop: Header=BB325_354 Depth=2
	v_xor_b32_e32 v11, 0x7f, v7
	s_delay_alu instid0(VALU_DEP_1) | instskip(NEXT) | instid1(VALU_DEP_1)
	v_and_b32_e32 v11, 0xff, v11
	v_lshrrev_b32_e32 v11, s45, v11
	s_delay_alu instid0(VALU_DEP_1) | instskip(NEXT) | instid1(VALU_DEP_1)
	v_and_b32_e32 v11, s31, v11
	v_lshl_or_b32 v11, v11, 4, v39
	ds_add_u32 v11, v61
	s_or_b32 exec_lo, exec_lo, s1
	s_delay_alu instid0(SALU_CYCLE_1)
	s_mov_b32 s1, exec_lo
	v_cmpx_gt_u32_e64 s0, v29
	s_cbranch_execz .LBB325_369
.LBB325_376:                            ;   in Loop: Header=BB325_354 Depth=2
	v_xor_b32_e32 v11, 0x7f, v10
	s_delay_alu instid0(VALU_DEP_1) | instskip(NEXT) | instid1(VALU_DEP_1)
	v_and_b32_e32 v11, 0xff, v11
	v_lshrrev_b32_e32 v11, s45, v11
	s_delay_alu instid0(VALU_DEP_1) | instskip(NEXT) | instid1(VALU_DEP_1)
	v_and_b32_e32 v11, s31, v11
	v_lshl_or_b32 v11, v11, 4, v39
	ds_add_u32 v11, v61
	s_wait_alu 0xfffe
	s_or_b32 exec_lo, exec_lo, s1
	s_delay_alu instid0(SALU_CYCLE_1)
	s_mov_b32 s1, exec_lo
	v_cmpx_gt_u32_e64 s0, v30
	s_cbranch_execz .LBB325_370
.LBB325_377:                            ;   in Loop: Header=BB325_354 Depth=2
	v_xor_b32_e32 v11, 0x7f, v9
	s_delay_alu instid0(VALU_DEP_1) | instskip(NEXT) | instid1(VALU_DEP_1)
	v_and_b32_e32 v11, 0xff, v11
	v_lshrrev_b32_e32 v11, s45, v11
	s_delay_alu instid0(VALU_DEP_1) | instskip(NEXT) | instid1(VALU_DEP_1)
	v_and_b32_e32 v11, s31, v11
	v_lshl_or_b32 v11, v11, 4, v39
	ds_add_u32 v11, v61
	s_wait_alu 0xfffe
	s_or_b32 exec_lo, exec_lo, s1
	s_delay_alu instid0(SALU_CYCLE_1)
	s_mov_b32 s1, exec_lo
	v_cmpx_gt_u32_e64 s0, v31
	s_cbranch_execz .LBB325_371
.LBB325_378:                            ;   in Loop: Header=BB325_354 Depth=2
	v_xor_b32_e32 v11, 0x7f, v8
	s_delay_alu instid0(VALU_DEP_1) | instskip(NEXT) | instid1(VALU_DEP_1)
	v_and_b32_e32 v11, 0xff, v11
	v_lshrrev_b32_e32 v11, s45, v11
	s_delay_alu instid0(VALU_DEP_1) | instskip(NEXT) | instid1(VALU_DEP_1)
	v_and_b32_e32 v11, s31, v11
	v_lshl_or_b32 v11, v11, 4, v39
	ds_add_u32 v11, v61
	s_wait_alu 0xfffe
	s_or_b32 exec_lo, exec_lo, s1
	s_delay_alu instid0(SALU_CYCLE_1)
	s_mov_b32 s1, exec_lo
	v_cmpx_gt_u32_e64 s0, v34
	s_cbranch_execz .LBB325_372
.LBB325_379:                            ;   in Loop: Header=BB325_354 Depth=2
	v_xor_b32_e32 v11, 0x7f, v6
	s_delay_alu instid0(VALU_DEP_1) | instskip(NEXT) | instid1(VALU_DEP_1)
	v_and_b32_e32 v11, 0xff, v11
	v_lshrrev_b32_e32 v11, s45, v11
	s_delay_alu instid0(VALU_DEP_1) | instskip(NEXT) | instid1(VALU_DEP_1)
	v_and_b32_e32 v11, s31, v11
	v_lshl_or_b32 v11, v11, 4, v39
	ds_add_u32 v11, v61
	s_wait_alu 0xfffe
	s_or_b32 exec_lo, exec_lo, s1
	s_delay_alu instid0(SALU_CYCLE_1)
	s_mov_b32 s1, exec_lo
	v_cmpx_gt_u32_e64 s0, v35
	s_cbranch_execz .LBB325_373
.LBB325_380:                            ;   in Loop: Header=BB325_354 Depth=2
	v_xor_b32_e32 v11, 0x7f, v5
	s_delay_alu instid0(VALU_DEP_1) | instskip(NEXT) | instid1(VALU_DEP_1)
	v_and_b32_e32 v11, 0xff, v11
	v_lshrrev_b32_e32 v11, s45, v11
	s_delay_alu instid0(VALU_DEP_1) | instskip(NEXT) | instid1(VALU_DEP_1)
	v_and_b32_e32 v11, s31, v11
	v_lshl_or_b32 v11, v11, 4, v39
	ds_add_u32 v11, v61
	s_wait_alu 0xfffe
	s_or_b32 exec_lo, exec_lo, s1
	s_delay_alu instid0(SALU_CYCLE_1)
	s_mov_b32 s1, exec_lo
	v_cmpx_gt_u32_e64 s0, v36
	s_cbranch_execz .LBB325_374
.LBB325_381:                            ;   in Loop: Header=BB325_354 Depth=2
	v_xor_b32_e32 v11, 0x7f, v4
	s_delay_alu instid0(VALU_DEP_1) | instskip(NEXT) | instid1(VALU_DEP_1)
	v_and_b32_e32 v11, 0xff, v11
	v_lshrrev_b32_e32 v11, s45, v11
	s_delay_alu instid0(VALU_DEP_1) | instskip(NEXT) | instid1(VALU_DEP_1)
	v_and_b32_e32 v11, s31, v11
	v_lshl_or_b32 v11, v11, 4, v39
	ds_add_u32 v11, v61
	s_wait_alu 0xfffe
	s_or_b32 exec_lo, exec_lo, s1
	v_cmp_gt_u32_e32 vcc_lo, s0, v37
	s_and_saveexec_b32 s0, vcc_lo
	s_cbranch_execz .LBB325_353
.LBB325_382:                            ;   in Loop: Header=BB325_354 Depth=2
	v_xor_b32_e32 v11, 0x7f, v2
	s_delay_alu instid0(VALU_DEP_1) | instskip(NEXT) | instid1(VALU_DEP_1)
	v_and_b32_e32 v11, 0xff, v11
	v_lshrrev_b32_e32 v11, s45, v11
	s_delay_alu instid0(VALU_DEP_1) | instskip(NEXT) | instid1(VALU_DEP_1)
	v_and_b32_e32 v11, s31, v11
	v_lshl_or_b32 v11, v11, 4, v39
	ds_add_u32 v11, v61
	s_branch .LBB325_353
.LBB325_383:                            ;   in Loop: Header=BB325_354 Depth=2
	s_wait_loadcnt 0x0
	s_wait_alu 0xfffe
	v_add_co_u32 v11, s12, s0, v1
	s_wait_alu 0xf1ff
	v_add_co_ci_u32_e64 v12, null, s1, 0, s12
	global_load_u8 v7, v[11:12], off
	s_or_b32 exec_lo, exec_lo, s11
	s_delay_alu instid0(SALU_CYCLE_1)
	s_mov_b32 s11, exec_lo
	v_cmpx_gt_u32_e64 s9, v29
	s_cbranch_execz .LBB325_359
.LBB325_384:                            ;   in Loop: Header=BB325_354 Depth=2
	v_add_co_u32 v10, s12, s0, v1
	s_wait_loadcnt 0x0
	s_wait_alu 0xf1ff
	v_add_co_ci_u32_e64 v11, null, s1, 0, s12
	global_load_u8 v10, v[10:11], off offset:256
	s_wait_alu 0xfffe
	s_or_b32 exec_lo, exec_lo, s11
	s_delay_alu instid0(SALU_CYCLE_1)
	s_mov_b32 s11, exec_lo
	v_cmpx_gt_u32_e64 s9, v30
	s_cbranch_execz .LBB325_360
.LBB325_385:                            ;   in Loop: Header=BB325_354 Depth=2
	s_wait_loadcnt 0x0
	v_add_co_u32 v11, s12, s0, v1
	s_wait_alu 0xf1ff
	v_add_co_ci_u32_e64 v12, null, s1, 0, s12
	global_load_u8 v9, v[11:12], off offset:512
	s_wait_alu 0xfffe
	s_or_b32 exec_lo, exec_lo, s11
	s_delay_alu instid0(SALU_CYCLE_1)
	s_mov_b32 s11, exec_lo
	v_cmpx_gt_u32_e64 s9, v31
	s_cbranch_execz .LBB325_361
.LBB325_386:                            ;   in Loop: Header=BB325_354 Depth=2
	s_wait_loadcnt 0x0
	v_add_co_u32 v11, s12, s0, v1
	s_wait_alu 0xf1ff
	v_add_co_ci_u32_e64 v12, null, s1, 0, s12
	global_load_u8 v8, v[11:12], off offset:768
	s_wait_alu 0xfffe
	s_or_b32 exec_lo, exec_lo, s11
	s_delay_alu instid0(SALU_CYCLE_1)
	s_mov_b32 s11, exec_lo
	v_cmpx_gt_u32_e64 s9, v34
	s_cbranch_execz .LBB325_362
.LBB325_387:                            ;   in Loop: Header=BB325_354 Depth=2
	s_wait_loadcnt 0x0
	v_add_co_u32 v11, s12, s0, v1
	s_wait_alu 0xf1ff
	v_add_co_ci_u32_e64 v12, null, s1, 0, s12
	global_load_u8 v6, v[11:12], off offset:1024
	s_wait_alu 0xfffe
	s_or_b32 exec_lo, exec_lo, s11
	s_delay_alu instid0(SALU_CYCLE_1)
	s_mov_b32 s11, exec_lo
	v_cmpx_gt_u32_e64 s9, v35
	s_cbranch_execz .LBB325_363
.LBB325_388:                            ;   in Loop: Header=BB325_354 Depth=2
	s_wait_loadcnt 0x0
	v_add_co_u32 v11, s12, s0, v1
	s_wait_alu 0xf1ff
	v_add_co_ci_u32_e64 v12, null, s1, 0, s12
	global_load_u8 v5, v[11:12], off offset:1280
	s_wait_alu 0xfffe
	s_or_b32 exec_lo, exec_lo, s11
	s_delay_alu instid0(SALU_CYCLE_1)
	s_mov_b32 s11, exec_lo
	v_cmpx_gt_u32_e64 s9, v36
	s_cbranch_execz .LBB325_364
.LBB325_389:                            ;   in Loop: Header=BB325_354 Depth=2
	s_wait_loadcnt 0x0
	v_add_co_u32 v11, s12, s0, v1
	s_wait_alu 0xf1ff
	v_add_co_ci_u32_e64 v12, null, s1, 0, s12
	global_load_u8 v4, v[11:12], off offset:1536
	s_wait_alu 0xfffe
	s_or_b32 exec_lo, exec_lo, s11
	s_delay_alu instid0(SALU_CYCLE_1)
	s_mov_b32 s11, exec_lo
	v_cmpx_gt_u32_e64 s9, v37
	s_cbranch_execnz .LBB325_365
	s_branch .LBB325_366
.LBB325_390:                            ;   in Loop: Header=BB325_20 Depth=1
	v_mov_b32_e32 v2, 0
	s_wait_dscnt 0x0
	s_barrier_signal -1
	s_barrier_wait -1
	global_inv scope:SCOPE_SE
	s_and_saveexec_b32 s0, s2
	s_cbranch_execz .LBB325_392
; %bb.391:                              ;   in Loop: Header=BB325_20 Depth=1
	ds_load_2addr_b64 v[4:7], v40 offset1:1
	s_wait_dscnt 0x0
	v_add_nc_u32_e32 v2, v5, v4
	s_delay_alu instid0(VALU_DEP_1)
	v_add3_u32 v2, v2, v6, v7
.LBB325_392:                            ;   in Loop: Header=BB325_20 Depth=1
	s_wait_alu 0xfffe
	s_or_b32 exec_lo, exec_lo, s0
	s_delay_alu instid0(VALU_DEP_1)
	v_mov_b32_dpp v4, v2 row_shr:1 row_mask:0xf bank_mask:0xf
	v_cmp_eq_u32_e64 s0, 0, v62
	v_cmp_lt_u32_e64 s1, 1, v62
	v_cmp_lt_u32_e64 s9, 3, v62
	;; [unrolled: 1-line block ×3, first 2 shown]
	v_cmp_eq_u32_e64 s11, 0, v64
	s_wait_alu 0xf1ff
	v_cndmask_b32_e64 v4, v4, 0, s0
	s_delay_alu instid0(VALU_DEP_1) | instskip(NEXT) | instid1(VALU_DEP_1)
	v_add_nc_u32_e32 v2, v4, v2
	v_mov_b32_dpp v4, v2 row_shr:2 row_mask:0xf bank_mask:0xf
	s_delay_alu instid0(VALU_DEP_1) | instskip(NEXT) | instid1(VALU_DEP_1)
	v_cndmask_b32_e64 v4, 0, v4, s1
	v_add_nc_u32_e32 v2, v2, v4
	s_delay_alu instid0(VALU_DEP_1) | instskip(NEXT) | instid1(VALU_DEP_1)
	v_mov_b32_dpp v4, v2 row_shr:4 row_mask:0xf bank_mask:0xf
	v_cndmask_b32_e64 v4, 0, v4, s9
	s_delay_alu instid0(VALU_DEP_1) | instskip(NEXT) | instid1(VALU_DEP_1)
	v_add_nc_u32_e32 v2, v2, v4
	v_mov_b32_dpp v4, v2 row_shr:8 row_mask:0xf bank_mask:0xf
	s_delay_alu instid0(VALU_DEP_1) | instskip(NEXT) | instid1(VALU_DEP_1)
	v_cndmask_b32_e64 v4, 0, v4, s10
	v_add_nc_u32_e32 v2, v2, v4
	ds_swizzle_b32 v4, v2 offset:swizzle(BROADCAST,32,15)
	s_wait_dscnt 0x0
	v_and_b32_e32 v4, v63, v4
	s_delay_alu instid0(VALU_DEP_1)
	v_add_nc_u32_e32 v2, v2, v4
	s_and_saveexec_b32 s12, s3
; %bb.393:                              ;   in Loop: Header=BB325_20 Depth=1
	ds_store_b32 v41, v2
; %bb.394:                              ;   in Loop: Header=BB325_20 Depth=1
	s_wait_alu 0xfffe
	s_or_b32 exec_lo, exec_lo, s12
	s_wait_loadcnt_dscnt 0x0
	s_barrier_signal -1
	s_barrier_wait -1
	global_inv scope:SCOPE_SE
	s_and_saveexec_b32 s12, s4
	s_cbranch_execz .LBB325_396
; %bb.395:                              ;   in Loop: Header=BB325_20 Depth=1
	ds_load_b32 v4, v42
	v_cmp_ne_u32_e32 vcc_lo, 0, v65
	s_wait_dscnt 0x0
	v_mov_b32_dpp v5, v4 row_shr:1 row_mask:0xf bank_mask:0xf
	s_wait_alu 0xfffd
	s_delay_alu instid0(VALU_DEP_1) | instskip(SKIP_1) | instid1(VALU_DEP_2)
	v_cndmask_b32_e32 v5, 0, v5, vcc_lo
	v_cmp_lt_u32_e32 vcc_lo, 1, v65
	v_add_nc_u32_e32 v4, v5, v4
	s_delay_alu instid0(VALU_DEP_1) | instskip(SKIP_1) | instid1(VALU_DEP_1)
	v_mov_b32_dpp v5, v4 row_shr:2 row_mask:0xf bank_mask:0xf
	s_wait_alu 0xfffd
	v_cndmask_b32_e32 v5, 0, v5, vcc_lo
	v_cmp_lt_u32_e32 vcc_lo, 3, v65
	s_delay_alu instid0(VALU_DEP_2) | instskip(NEXT) | instid1(VALU_DEP_1)
	v_add_nc_u32_e32 v4, v4, v5
	v_mov_b32_dpp v5, v4 row_shr:4 row_mask:0xf bank_mask:0xf
	s_wait_alu 0xfffd
	s_delay_alu instid0(VALU_DEP_1) | instskip(NEXT) | instid1(VALU_DEP_1)
	v_cndmask_b32_e32 v5, 0, v5, vcc_lo
	v_add_nc_u32_e32 v4, v4, v5
	ds_store_b32 v42, v4
.LBB325_396:                            ;   in Loop: Header=BB325_20 Depth=1
	s_wait_alu 0xfffe
	s_or_b32 exec_lo, exec_lo, s12
	v_mov_b32_e32 v4, 0
	s_wait_loadcnt_dscnt 0x0
	s_barrier_signal -1
	s_barrier_wait -1
	global_inv scope:SCOPE_SE
	s_and_saveexec_b32 s12, s5
; %bb.397:                              ;   in Loop: Header=BB325_20 Depth=1
	ds_load_b32 v4, v43
; %bb.398:                              ;   in Loop: Header=BB325_20 Depth=1
	s_wait_alu 0xfffe
	s_or_b32 exec_lo, exec_lo, s12
	v_cmp_gt_i32_e32 vcc_lo, 0, v67
	s_wait_dscnt 0x0
	v_add_nc_u32_e32 v2, v4, v2
	s_wait_loadcnt 0x0
	s_barrier_signal -1
	s_barrier_wait -1
	s_wait_alu 0xfffd
	v_cndmask_b32_e32 v5, v67, v58, vcc_lo
	global_inv scope:SCOPE_SE
	v_lshlrev_b32_e32 v80, 2, v5
	ds_bpermute_b32 v2, v80, v2
	s_and_saveexec_b32 s12, s2
	s_cbranch_execz .LBB325_400
; %bb.399:                              ;   in Loop: Header=BB325_20 Depth=1
	s_wait_dscnt 0x0
	v_cndmask_b32_e64 v2, v2, v4, s8
	s_delay_alu instid0(VALU_DEP_1)
	v_add_nc_u32_e32 v2, s33, v2
	ds_store_b32 v28, v2
.LBB325_400:                            ;   in Loop: Header=BB325_20 Depth=1
	s_wait_alu 0xfffe
	s_or_b32 exec_lo, exec_lo, s12
	s_load_b64 s[12:13], s[28:29], 0x0
	v_add_co_u32 v81, vcc_lo, v56, v66
	s_wait_alu 0xfffd
	v_add_co_ci_u32_e64 v82, null, 0, v57, vcc_lo
	v_add_co_u32 v83, vcc_lo, v59, v58
	s_wait_alu 0xfffd
	v_add_co_ci_u32_e64 v84, null, 0, v60, vcc_lo
	s_mov_b32 s42, s47
                                        ; implicit-def: $vgpr6_vgpr7
                                        ; implicit-def: $vgpr8_vgpr9
                                        ; implicit-def: $vgpr10_vgpr11
                                        ; implicit-def: $vgpr12_vgpr13
                                        ; implicit-def: $vgpr14_vgpr15
                                        ; implicit-def: $vgpr16_vgpr17
                                        ; implicit-def: $vgpr18_vgpr19
                                        ; implicit-def: $vgpr86
                                        ; implicit-def: $vgpr87
                                        ; implicit-def: $vgpr88
                                        ; implicit-def: $vgpr89
                                        ; implicit-def: $vgpr90
                                        ; implicit-def: $vgpr91
                                        ; implicit-def: $vgpr92
                                        ; implicit-def: $vgpr93
	s_wait_kmcnt 0x0
	s_cmp_lt_u32 ttmp7, s13
	s_cselect_b32 s22, 14, 20
	s_cmp_lt_u32 ttmp9, s12
	s_wait_alu 0xfffe
	s_add_nc_u64 s[14:15], s[28:29], s[22:23]
	s_cselect_b32 s22, 12, 18
	s_load_u16 s14, s[14:15], 0x0
	s_add_nc_u64 s[12:13], s[28:29], s[22:23]
	s_mov_b32 s22, s33
	s_load_u16 s12, s[12:13], 0x0
	v_cmp_lt_u32_e64 s13, 1, v65
	s_wait_dscnt 0x0
	s_wait_kmcnt 0x0
	v_mad_u32_u24 v2, v44, s14, v0
	v_cmp_lt_u32_e64 s14, 3, v65
	s_delay_alu instid0(VALU_DEP_2) | instskip(SKIP_1) | instid1(VALU_DEP_2)
	v_mad_co_u64_u32 v[4:5], null, v2, s12, v[1:2]
	v_cmp_eq_u32_e64 s12, 0, v65
	v_lshrrev_b32_e32 v2, 3, v4
                                        ; implicit-def: $vgpr4_vgpr5
	s_delay_alu instid0(VALU_DEP_1)
	v_and_b32_e32 v85, 0x1ffffffc, v2
	s_branch .LBB325_402
.LBB325_401:                            ;   in Loop: Header=BB325_402 Depth=2
	s_wait_alu 0xfffe
	s_or_b32 exec_lo, exec_lo, s15
	s_addk_co_i32 s42, 0xf800
	s_cmp_lt_u32 s43, s34
	s_mov_b32 s22, s43
	s_cbranch_scc0 .LBB325_514
.LBB325_402:                            ;   Parent Loop BB325_20 Depth=1
                                        ; =>  This Inner Loop Header: Depth=2
	s_wait_alu 0xfffe
	s_add_co_i32 s43, s22, 0x800
	s_wait_alu 0xfffe
	s_cmp_gt_u32 s43, s34
	s_cbranch_scc1 .LBB325_404
; %bb.403:                              ;   in Loop: Header=BB325_402 Depth=2
	v_add_co_u32 v20, vcc_lo, v83, s22
	s_wait_alu 0xfffd
	v_add_co_ci_u32_e64 v21, null, 0, v84, vcc_lo
	s_mov_b32 s15, -1
	s_clause 0x6
	global_load_u8 v23, v[20:21], off offset:192
	global_load_u8 v24, v[20:21], off offset:160
	;; [unrolled: 1-line block ×6, first 2 shown]
	global_load_u8 v94, v[20:21], off
	s_movk_i32 s16, 0x800
                                        ; implicit-def: $vgpr22
	s_cbranch_execz .LBB325_405
	s_branch .LBB325_414
.LBB325_404:                            ;   in Loop: Header=BB325_402 Depth=2
	s_mov_b32 s15, 0
                                        ; implicit-def: $vgpr94
                                        ; implicit-def: $vgpr96
                                        ; implicit-def: $vgpr27
                                        ; implicit-def: $vgpr26
                                        ; implicit-def: $vgpr25
                                        ; implicit-def: $vgpr24
                                        ; implicit-def: $vgpr23
	s_movk_i32 s16, 0x800
                                        ; implicit-def: $vgpr22
.LBB325_405:                            ;   in Loop: Header=BB325_402 Depth=2
	v_add_co_u32 v20, vcc_lo, v83, s22
	s_wait_alu 0xfffd
	v_add_co_ci_u32_e64 v21, null, 0, v84, vcc_lo
	s_wait_loadcnt 0x2
	v_dual_mov_b32 v22, 0x80 :: v_dual_mov_b32 v27, 0x80
	s_wait_loadcnt 0x0
	v_dual_mov_b32 v94, 0x80 :: v_dual_mov_b32 v25, 0x80
	v_dual_mov_b32 v96, 0x80 :: v_dual_mov_b32 v23, 0x80
	v_mov_b32_e32 v26, 0x80
	v_mov_b32_e32 v24, 0x80
	s_mov_b32 s15, exec_lo
	v_cmpx_gt_u32_e64 s42, v68
	s_cbranch_execnz .LBB325_508
; %bb.406:                              ;   in Loop: Header=BB325_402 Depth=2
	s_wait_alu 0xfffe
	s_or_b32 exec_lo, exec_lo, s15
	s_delay_alu instid0(SALU_CYCLE_1)
	s_mov_b32 s15, exec_lo
	v_cmpx_gt_u32_e64 s42, v71
	s_cbranch_execnz .LBB325_509
.LBB325_407:                            ;   in Loop: Header=BB325_402 Depth=2
	s_wait_alu 0xfffe
	s_or_b32 exec_lo, exec_lo, s15
	s_delay_alu instid0(SALU_CYCLE_1)
	s_mov_b32 s15, exec_lo
	v_cmpx_gt_u32_e64 s42, v72
	s_cbranch_execnz .LBB325_510
.LBB325_408:                            ;   in Loop: Header=BB325_402 Depth=2
	s_wait_alu 0xfffe
	s_or_b32 exec_lo, exec_lo, s15
	s_delay_alu instid0(SALU_CYCLE_1)
	s_mov_b32 s15, exec_lo
	v_cmpx_gt_u32_e64 s42, v73
	s_cbranch_execnz .LBB325_511
.LBB325_409:                            ;   in Loop: Header=BB325_402 Depth=2
	s_wait_alu 0xfffe
	s_or_b32 exec_lo, exec_lo, s15
	s_delay_alu instid0(SALU_CYCLE_1)
	s_mov_b32 s15, exec_lo
	v_cmpx_gt_u32_e64 s42, v74
	s_cbranch_execnz .LBB325_512
.LBB325_410:                            ;   in Loop: Header=BB325_402 Depth=2
	s_wait_alu 0xfffe
	s_or_b32 exec_lo, exec_lo, s15
	s_delay_alu instid0(SALU_CYCLE_1)
	s_mov_b32 s15, exec_lo
	v_cmpx_gt_u32_e64 s42, v75
	s_cbranch_execnz .LBB325_513
.LBB325_411:                            ;   in Loop: Header=BB325_402 Depth=2
	s_wait_alu 0xfffe
	s_or_b32 exec_lo, exec_lo, s15
	s_delay_alu instid0(SALU_CYCLE_1)
	s_mov_b32 s15, exec_lo
	v_cmpx_gt_u32_e64 s42, v76
	s_cbranch_execz .LBB325_413
.LBB325_412:                            ;   in Loop: Header=BB325_402 Depth=2
	global_load_u8 v23, v[20:21], off offset:192
.LBB325_413:                            ;   in Loop: Header=BB325_402 Depth=2
	s_wait_alu 0xfffe
	s_or_b32 exec_lo, exec_lo, s15
	v_cmp_gt_u32_e64 s15, s42, v77
	s_sub_co_i32 s16, s34, s22
.LBB325_414:                            ;   in Loop: Header=BB325_402 Depth=2
	v_mov_b32_e32 v2, s42
	s_wait_alu 0xfffe
	s_and_saveexec_b32 s17, s15
	s_cbranch_execz .LBB325_416
; %bb.415:                              ;   in Loop: Header=BB325_402 Depth=2
	v_add_co_u32 v20, vcc_lo, v83, s22
	s_wait_alu 0xfffd
	v_add_co_ci_u32_e64 v21, null, s23, v84, vcc_lo
	v_mov_b32_e32 v2, s16
	global_load_u8 v22, v[20:21], off offset:224
.LBB325_416:                            ;   in Loop: Header=BB325_402 Depth=2
	s_wait_alu 0xfffe
	s_or_b32 exec_lo, exec_lo, s17
	s_wait_loadcnt 0x0
	v_xor_b32_e32 v94, 0x7f, v94
	s_delay_alu instid0(VALU_DEP_1) | instskip(NEXT) | instid1(VALU_DEP_1)
	v_and_b32_e32 v20, 0xff, v94
	v_lshrrev_b32_e32 v20, s45, v20
	s_delay_alu instid0(VALU_DEP_1) | instskip(NEXT) | instid1(VALU_DEP_1)
	v_and_b32_e32 v21, s31, v20
	v_and_b32_e32 v20, 1, v21
	v_lshlrev_b32_e32 v95, 30, v21
	v_lshlrev_b32_e32 v97, 29, v21
	;; [unrolled: 1-line block ×4, first 2 shown]
	v_add_co_u32 v20, s15, v20, -1
	s_wait_alu 0xf1ff
	v_cndmask_b32_e64 v99, 0, 1, s15
	v_not_b32_e32 v103, v95
	v_cmp_gt_i32_e64 s15, 0, v95
	v_not_b32_e32 v95, v97
	v_lshlrev_b32_e32 v101, 26, v21
	v_cmp_ne_u32_e32 vcc_lo, 0, v99
	v_ashrrev_i32_e32 v103, 31, v103
	v_lshlrev_b32_e32 v102, 25, v21
	v_ashrrev_i32_e32 v95, 31, v95
	v_lshlrev_b32_e32 v99, 24, v21
	s_wait_alu 0xfffd
	v_xor_b32_e32 v20, vcc_lo, v20
	v_cmp_gt_i32_e32 vcc_lo, 0, v97
	v_not_b32_e32 v97, v98
	s_wait_alu 0xf1ff
	v_xor_b32_e32 v103, s15, v103
	v_cmp_gt_i32_e64 s15, 0, v98
	v_and_b32_e32 v20, exec_lo, v20
	v_not_b32_e32 v98, v100
	v_ashrrev_i32_e32 v97, 31, v97
	s_wait_alu 0xfffd
	v_xor_b32_e32 v95, vcc_lo, v95
	v_cmp_gt_i32_e32 vcc_lo, 0, v100
	v_and_b32_e32 v20, v20, v103
	v_not_b32_e32 v100, v101
	v_ashrrev_i32_e32 v98, 31, v98
	s_wait_alu 0xf1ff
	v_xor_b32_e32 v97, s15, v97
	v_cmp_gt_i32_e64 s15, 0, v101
	v_and_b32_e32 v20, v20, v95
	v_not_b32_e32 v95, v102
	v_ashrrev_i32_e32 v100, 31, v100
	s_wait_alu 0xfffd
	v_xor_b32_e32 v98, vcc_lo, v98
	v_cmp_gt_i32_e32 vcc_lo, 0, v102
	v_and_b32_e32 v20, v20, v97
	v_not_b32_e32 v97, v99
	v_ashrrev_i32_e32 v95, 31, v95
	s_wait_alu 0xf1ff
	v_xor_b32_e32 v100, s15, v100
	v_cmp_gt_i32_e64 s15, 0, v99
	v_and_b32_e32 v20, v20, v98
	v_ashrrev_i32_e32 v97, 31, v97
	s_wait_alu 0xfffd
	v_xor_b32_e32 v95, vcc_lo, v95
	v_mul_u32_u24_e32 v21, 36, v21
	v_add_nc_u32_e32 v99, 0x428, v45
	v_and_b32_e32 v20, v20, v100
	s_wait_alu 0xf1ff
	v_xor_b32_e32 v98, s15, v97
	v_add_nc_u32_e32 v97, 0x438, v45
	v_add_nc_u32_e32 v100, 0x430, v45
	;; [unrolled: 1-line block ×3, first 2 shown]
	v_and_b32_e32 v20, v20, v95
	ds_store_2addr_b32 v97, v3, v3 offset1:1
	v_and_b32_e32 v20, v20, v98
	v_add_nc_u32_e32 v98, 0x420, v45
	ds_store_2addr_b32 v98, v3, v3 offset1:1
	ds_store_2addr_b32 v99, v3, v3 offset1:1
	;; [unrolled: 1-line block ×3, first 2 shown]
	ds_store_b32 v45, v3 offset:1088
	v_mbcnt_lo_u32_b32 v95, v20, 0
	v_cmp_ne_u32_e64 s15, 0, v20
	s_wait_dscnt 0x0
	s_barrier_signal -1
	s_barrier_wait -1
	v_cmp_eq_u32_e32 vcc_lo, 0, v95
	global_inv scope:SCOPE_SE
	; wave barrier
	s_and_b32 s16, s15, vcc_lo
	s_wait_alu 0xfffe
	s_and_saveexec_b32 s15, s16
; %bb.417:                              ;   in Loop: Header=BB325_402 Depth=2
	v_bcnt_u32_b32 v20, v20, 0
	ds_store_b32 v101, v20 offset:1056
; %bb.418:                              ;   in Loop: Header=BB325_402 Depth=2
	s_wait_alu 0xfffe
	s_or_b32 exec_lo, exec_lo, s15
	v_xor_b32_e32 v96, 0x7f, v96
	; wave barrier
	s_delay_alu instid0(VALU_DEP_1) | instskip(NEXT) | instid1(VALU_DEP_1)
	v_and_b32_e32 v20, 0xff, v96
	v_lshrrev_b32_e32 v20, s45, v20
	s_delay_alu instid0(VALU_DEP_1) | instskip(NEXT) | instid1(VALU_DEP_1)
	v_and_b32_e32 v21, s31, v20
	v_and_b32_e32 v20, 1, v21
	v_lshlrev_b32_e32 v102, 30, v21
	v_lshlrev_b32_e32 v103, 29, v21
	v_lshlrev_b32_e32 v104, 28, v21
	v_lshlrev_b32_e32 v106, 27, v21
	v_add_co_u32 v20, s15, v20, -1
	s_wait_alu 0xf1ff
	v_cndmask_b32_e64 v105, 0, 1, s15
	v_not_b32_e32 v109, v102
	v_cmp_gt_i32_e64 s15, 0, v102
	v_not_b32_e32 v102, v103
	v_lshlrev_b32_e32 v107, 26, v21
	v_cmp_ne_u32_e32 vcc_lo, 0, v105
	v_ashrrev_i32_e32 v109, 31, v109
	v_lshlrev_b32_e32 v108, 25, v21
	v_ashrrev_i32_e32 v102, 31, v102
	v_lshlrev_b32_e32 v105, 24, v21
	s_wait_alu 0xfffd
	v_xor_b32_e32 v20, vcc_lo, v20
	v_cmp_gt_i32_e32 vcc_lo, 0, v103
	v_not_b32_e32 v103, v104
	s_wait_alu 0xf1ff
	v_xor_b32_e32 v109, s15, v109
	v_cmp_gt_i32_e64 s15, 0, v104
	v_and_b32_e32 v20, exec_lo, v20
	v_not_b32_e32 v104, v106
	v_ashrrev_i32_e32 v103, 31, v103
	s_wait_alu 0xfffd
	v_xor_b32_e32 v102, vcc_lo, v102
	v_cmp_gt_i32_e32 vcc_lo, 0, v106
	v_and_b32_e32 v20, v20, v109
	v_not_b32_e32 v106, v107
	v_ashrrev_i32_e32 v104, 31, v104
	s_wait_alu 0xf1ff
	v_xor_b32_e32 v103, s15, v103
	v_cmp_gt_i32_e64 s15, 0, v107
	v_and_b32_e32 v20, v20, v102
	v_not_b32_e32 v102, v108
	v_ashrrev_i32_e32 v106, 31, v106
	s_wait_alu 0xfffd
	v_xor_b32_e32 v104, vcc_lo, v104
	v_cmp_gt_i32_e32 vcc_lo, 0, v108
	v_and_b32_e32 v20, v20, v103
	v_not_b32_e32 v103, v105
	v_ashrrev_i32_e32 v102, 31, v102
	s_wait_alu 0xf1ff
	v_xor_b32_e32 v106, s15, v106
	v_cmp_gt_i32_e64 s15, 0, v105
	v_and_b32_e32 v20, v20, v104
	v_ashrrev_i32_e32 v103, 31, v103
	s_wait_alu 0xfffd
	v_xor_b32_e32 v102, vcc_lo, v102
	v_mad_u32_u24 v104, v21, 36, v85
	v_mul_u32_u24_e32 v21, 36, v21
	v_and_b32_e32 v20, v20, v106
	s_wait_alu 0xf1ff
	v_xor_b32_e32 v103, s15, v103
	s_delay_alu instid0(VALU_DEP_3) | instskip(NEXT) | instid1(VALU_DEP_3)
	v_add_nc_u32_e32 v105, v85, v21
	v_and_b32_e32 v20, v20, v102
	ds_load_b32 v102, v104 offset:1056
	; wave barrier
	v_and_b32_e32 v20, v20, v103
	s_delay_alu instid0(VALU_DEP_1) | instskip(SKIP_1) | instid1(VALU_DEP_2)
	v_mbcnt_lo_u32_b32 v103, v20, 0
	v_cmp_ne_u32_e64 s15, 0, v20
	v_cmp_eq_u32_e32 vcc_lo, 0, v103
	s_and_b32 s16, s15, vcc_lo
	s_wait_alu 0xfffe
	s_and_saveexec_b32 s15, s16
	s_cbranch_execz .LBB325_420
; %bb.419:                              ;   in Loop: Header=BB325_402 Depth=2
	s_wait_dscnt 0x0
	v_bcnt_u32_b32 v20, v20, v102
	ds_store_b32 v105, v20 offset:1056
.LBB325_420:                            ;   in Loop: Header=BB325_402 Depth=2
	s_wait_alu 0xfffe
	s_or_b32 exec_lo, exec_lo, s15
	v_xor_b32_e32 v104, 0x7f, v27
	; wave barrier
	s_delay_alu instid0(VALU_DEP_1) | instskip(NEXT) | instid1(VALU_DEP_1)
	v_and_b32_e32 v20, 0xff, v104
	v_lshrrev_b32_e32 v20, s45, v20
	s_delay_alu instid0(VALU_DEP_1) | instskip(NEXT) | instid1(VALU_DEP_1)
	v_and_b32_e32 v21, s31, v20
	v_and_b32_e32 v20, 1, v21
	v_lshlrev_b32_e32 v27, 30, v21
	v_lshlrev_b32_e32 v106, 29, v21
	;; [unrolled: 1-line block ×4, first 2 shown]
	v_add_co_u32 v20, s15, v20, -1
	s_wait_alu 0xf1ff
	v_cndmask_b32_e64 v108, 0, 1, s15
	v_not_b32_e32 v112, v27
	v_cmp_gt_i32_e64 s15, 0, v27
	v_not_b32_e32 v27, v106
	v_lshlrev_b32_e32 v110, 26, v21
	v_cmp_ne_u32_e32 vcc_lo, 0, v108
	v_ashrrev_i32_e32 v112, 31, v112
	v_lshlrev_b32_e32 v111, 25, v21
	v_ashrrev_i32_e32 v27, 31, v27
	v_lshlrev_b32_e32 v108, 24, v21
	s_wait_alu 0xfffd
	v_xor_b32_e32 v20, vcc_lo, v20
	v_cmp_gt_i32_e32 vcc_lo, 0, v106
	v_not_b32_e32 v106, v107
	s_wait_alu 0xf1ff
	v_xor_b32_e32 v112, s15, v112
	v_cmp_gt_i32_e64 s15, 0, v107
	v_and_b32_e32 v20, exec_lo, v20
	v_not_b32_e32 v107, v109
	v_ashrrev_i32_e32 v106, 31, v106
	s_wait_alu 0xfffd
	v_xor_b32_e32 v27, vcc_lo, v27
	v_cmp_gt_i32_e32 vcc_lo, 0, v109
	v_and_b32_e32 v20, v20, v112
	v_not_b32_e32 v109, v110
	v_ashrrev_i32_e32 v107, 31, v107
	s_wait_alu 0xf1ff
	v_xor_b32_e32 v106, s15, v106
	v_cmp_gt_i32_e64 s15, 0, v110
	v_and_b32_e32 v20, v20, v27
	v_not_b32_e32 v27, v111
	v_ashrrev_i32_e32 v109, 31, v109
	s_wait_alu 0xfffd
	v_xor_b32_e32 v107, vcc_lo, v107
	v_cmp_gt_i32_e32 vcc_lo, 0, v111
	v_and_b32_e32 v20, v20, v106
	v_not_b32_e32 v106, v108
	v_ashrrev_i32_e32 v27, 31, v27
	s_wait_alu 0xf1ff
	v_xor_b32_e32 v109, s15, v109
	v_cmp_gt_i32_e64 s15, 0, v108
	v_and_b32_e32 v20, v20, v107
	v_ashrrev_i32_e32 v106, 31, v106
	s_wait_alu 0xfffd
	v_xor_b32_e32 v27, vcc_lo, v27
	v_mad_u32_u24 v107, v21, 36, v85
	v_mul_u32_u24_e32 v21, 36, v21
	v_and_b32_e32 v20, v20, v109
	s_wait_alu 0xf1ff
	v_xor_b32_e32 v108, s15, v106
	ds_load_b32 v106, v107 offset:1056
	v_add_nc_u32_e32 v109, v85, v21
	v_and_b32_e32 v20, v20, v27
	; wave barrier
	s_delay_alu instid0(VALU_DEP_1) | instskip(NEXT) | instid1(VALU_DEP_1)
	v_and_b32_e32 v20, v20, v108
	v_mbcnt_lo_u32_b32 v107, v20, 0
	v_cmp_ne_u32_e64 s15, 0, v20
	s_delay_alu instid0(VALU_DEP_2)
	v_cmp_eq_u32_e32 vcc_lo, 0, v107
	s_and_b32 s16, s15, vcc_lo
	s_wait_alu 0xfffe
	s_and_saveexec_b32 s15, s16
	s_cbranch_execz .LBB325_422
; %bb.421:                              ;   in Loop: Header=BB325_402 Depth=2
	s_wait_dscnt 0x0
	v_bcnt_u32_b32 v20, v20, v106
	ds_store_b32 v109, v20 offset:1056
.LBB325_422:                            ;   in Loop: Header=BB325_402 Depth=2
	s_wait_alu 0xfffe
	s_or_b32 exec_lo, exec_lo, s15
	v_xor_b32_e32 v108, 0x7f, v26
	; wave barrier
	s_delay_alu instid0(VALU_DEP_1) | instskip(NEXT) | instid1(VALU_DEP_1)
	v_and_b32_e32 v20, 0xff, v108
	v_lshrrev_b32_e32 v20, s45, v20
	s_delay_alu instid0(VALU_DEP_1) | instskip(NEXT) | instid1(VALU_DEP_1)
	v_and_b32_e32 v21, s31, v20
	v_and_b32_e32 v20, 1, v21
	v_lshlrev_b32_e32 v26, 30, v21
	v_lshlrev_b32_e32 v27, 29, v21
	;; [unrolled: 1-line block ×4, first 2 shown]
	v_add_co_u32 v20, s15, v20, -1
	s_wait_alu 0xf1ff
	v_cndmask_b32_e64 v111, 0, 1, s15
	v_not_b32_e32 v115, v26
	v_cmp_gt_i32_e64 s15, 0, v26
	v_not_b32_e32 v26, v27
	v_lshlrev_b32_e32 v113, 26, v21
	v_cmp_ne_u32_e32 vcc_lo, 0, v111
	v_ashrrev_i32_e32 v115, 31, v115
	v_lshlrev_b32_e32 v114, 25, v21
	v_ashrrev_i32_e32 v26, 31, v26
	v_lshlrev_b32_e32 v111, 24, v21
	s_wait_alu 0xfffd
	v_xor_b32_e32 v20, vcc_lo, v20
	v_cmp_gt_i32_e32 vcc_lo, 0, v27
	v_not_b32_e32 v27, v110
	s_wait_alu 0xf1ff
	v_xor_b32_e32 v115, s15, v115
	v_cmp_gt_i32_e64 s15, 0, v110
	v_and_b32_e32 v20, exec_lo, v20
	v_not_b32_e32 v110, v112
	v_ashrrev_i32_e32 v27, 31, v27
	s_wait_alu 0xfffd
	v_xor_b32_e32 v26, vcc_lo, v26
	v_cmp_gt_i32_e32 vcc_lo, 0, v112
	v_and_b32_e32 v20, v20, v115
	v_not_b32_e32 v112, v113
	v_ashrrev_i32_e32 v110, 31, v110
	s_wait_alu 0xf1ff
	v_xor_b32_e32 v27, s15, v27
	v_cmp_gt_i32_e64 s15, 0, v113
	v_and_b32_e32 v20, v20, v26
	v_not_b32_e32 v26, v114
	v_ashrrev_i32_e32 v112, 31, v112
	s_wait_alu 0xfffd
	v_xor_b32_e32 v110, vcc_lo, v110
	v_cmp_gt_i32_e32 vcc_lo, 0, v114
	v_and_b32_e32 v20, v20, v27
	v_not_b32_e32 v27, v111
	v_ashrrev_i32_e32 v26, 31, v26
	s_wait_alu 0xf1ff
	v_xor_b32_e32 v112, s15, v112
	v_cmp_gt_i32_e64 s15, 0, v111
	v_and_b32_e32 v20, v20, v110
	v_ashrrev_i32_e32 v27, 31, v27
	s_wait_alu 0xfffd
	v_xor_b32_e32 v26, vcc_lo, v26
	v_mad_u32_u24 v110, v21, 36, v85
	v_mul_u32_u24_e32 v21, 36, v21
	v_and_b32_e32 v20, v20, v112
	s_wait_alu 0xf1ff
	v_xor_b32_e32 v27, s15, v27
	ds_load_b32 v110, v110 offset:1056
	v_add_nc_u32_e32 v113, v85, v21
	v_and_b32_e32 v20, v20, v26
	; wave barrier
	s_delay_alu instid0(VALU_DEP_1) | instskip(NEXT) | instid1(VALU_DEP_1)
	v_and_b32_e32 v20, v20, v27
	v_mbcnt_lo_u32_b32 v111, v20, 0
	v_cmp_ne_u32_e64 s15, 0, v20
	s_delay_alu instid0(VALU_DEP_2)
	v_cmp_eq_u32_e32 vcc_lo, 0, v111
	s_and_b32 s16, s15, vcc_lo
	s_wait_alu 0xfffe
	s_and_saveexec_b32 s15, s16
	s_cbranch_execz .LBB325_424
; %bb.423:                              ;   in Loop: Header=BB325_402 Depth=2
	s_wait_dscnt 0x0
	v_bcnt_u32_b32 v20, v20, v110
	ds_store_b32 v113, v20 offset:1056
.LBB325_424:                            ;   in Loop: Header=BB325_402 Depth=2
	s_wait_alu 0xfffe
	s_or_b32 exec_lo, exec_lo, s15
	v_xor_b32_e32 v112, 0x7f, v25
	; wave barrier
	s_delay_alu instid0(VALU_DEP_1) | instskip(NEXT) | instid1(VALU_DEP_1)
	v_and_b32_e32 v20, 0xff, v112
	v_lshrrev_b32_e32 v20, s45, v20
	s_delay_alu instid0(VALU_DEP_1) | instskip(NEXT) | instid1(VALU_DEP_1)
	v_and_b32_e32 v21, s31, v20
	v_and_b32_e32 v20, 1, v21
	v_lshlrev_b32_e32 v25, 30, v21
	v_lshlrev_b32_e32 v26, 29, v21
	;; [unrolled: 1-line block ×4, first 2 shown]
	v_add_co_u32 v20, s15, v20, -1
	s_wait_alu 0xf1ff
	v_cndmask_b32_e64 v114, 0, 1, s15
	v_not_b32_e32 v118, v25
	v_cmp_gt_i32_e64 s15, 0, v25
	v_not_b32_e32 v25, v26
	v_lshlrev_b32_e32 v116, 26, v21
	v_cmp_ne_u32_e32 vcc_lo, 0, v114
	v_ashrrev_i32_e32 v118, 31, v118
	v_lshlrev_b32_e32 v117, 25, v21
	v_ashrrev_i32_e32 v25, 31, v25
	v_lshlrev_b32_e32 v114, 24, v21
	s_wait_alu 0xfffd
	v_xor_b32_e32 v20, vcc_lo, v20
	v_cmp_gt_i32_e32 vcc_lo, 0, v26
	v_not_b32_e32 v26, v27
	s_wait_alu 0xf1ff
	v_xor_b32_e32 v118, s15, v118
	v_cmp_gt_i32_e64 s15, 0, v27
	v_and_b32_e32 v20, exec_lo, v20
	v_not_b32_e32 v27, v115
	v_ashrrev_i32_e32 v26, 31, v26
	s_wait_alu 0xfffd
	v_xor_b32_e32 v25, vcc_lo, v25
	v_cmp_gt_i32_e32 vcc_lo, 0, v115
	v_and_b32_e32 v20, v20, v118
	v_not_b32_e32 v115, v116
	v_ashrrev_i32_e32 v27, 31, v27
	s_wait_alu 0xf1ff
	v_xor_b32_e32 v26, s15, v26
	v_cmp_gt_i32_e64 s15, 0, v116
	v_and_b32_e32 v20, v20, v25
	v_not_b32_e32 v25, v117
	v_ashrrev_i32_e32 v115, 31, v115
	s_wait_alu 0xfffd
	v_xor_b32_e32 v27, vcc_lo, v27
	v_cmp_gt_i32_e32 vcc_lo, 0, v117
	v_and_b32_e32 v20, v20, v26
	v_not_b32_e32 v26, v114
	v_ashrrev_i32_e32 v25, 31, v25
	s_wait_alu 0xf1ff
	v_xor_b32_e32 v115, s15, v115
	v_cmp_gt_i32_e64 s15, 0, v114
	v_and_b32_e32 v20, v20, v27
	v_ashrrev_i32_e32 v26, 31, v26
	s_wait_alu 0xfffd
	v_xor_b32_e32 v25, vcc_lo, v25
	v_mad_u32_u24 v27, v21, 36, v85
	v_mul_u32_u24_e32 v21, 36, v21
	v_and_b32_e32 v20, v20, v115
	s_wait_alu 0xf1ff
	v_xor_b32_e32 v26, s15, v26
	ds_load_b32 v114, v27 offset:1056
	v_add_nc_u32_e32 v117, v85, v21
	v_and_b32_e32 v20, v20, v25
	; wave barrier
	s_delay_alu instid0(VALU_DEP_1) | instskip(NEXT) | instid1(VALU_DEP_1)
	v_and_b32_e32 v20, v20, v26
	v_mbcnt_lo_u32_b32 v115, v20, 0
	v_cmp_ne_u32_e64 s15, 0, v20
	s_delay_alu instid0(VALU_DEP_2)
	v_cmp_eq_u32_e32 vcc_lo, 0, v115
	s_and_b32 s16, s15, vcc_lo
	s_wait_alu 0xfffe
	s_and_saveexec_b32 s15, s16
	s_cbranch_execz .LBB325_426
; %bb.425:                              ;   in Loop: Header=BB325_402 Depth=2
	s_wait_dscnt 0x0
	v_bcnt_u32_b32 v20, v20, v114
	ds_store_b32 v117, v20 offset:1056
.LBB325_426:                            ;   in Loop: Header=BB325_402 Depth=2
	s_wait_alu 0xfffe
	s_or_b32 exec_lo, exec_lo, s15
	v_xor_b32_e32 v116, 0x7f, v24
	; wave barrier
	s_delay_alu instid0(VALU_DEP_1) | instskip(NEXT) | instid1(VALU_DEP_1)
	v_and_b32_e32 v20, 0xff, v116
	v_lshrrev_b32_e32 v20, s45, v20
	s_delay_alu instid0(VALU_DEP_1) | instskip(NEXT) | instid1(VALU_DEP_1)
	v_and_b32_e32 v21, s31, v20
	v_and_b32_e32 v20, 1, v21
	v_lshlrev_b32_e32 v24, 30, v21
	v_lshlrev_b32_e32 v25, 29, v21
	;; [unrolled: 1-line block ×4, first 2 shown]
	v_add_co_u32 v20, s15, v20, -1
	s_wait_alu 0xf1ff
	v_cndmask_b32_e64 v27, 0, 1, s15
	v_not_b32_e32 v121, v24
	v_cmp_gt_i32_e64 s15, 0, v24
	v_not_b32_e32 v24, v25
	v_lshlrev_b32_e32 v119, 26, v21
	v_cmp_ne_u32_e32 vcc_lo, 0, v27
	v_ashrrev_i32_e32 v121, 31, v121
	v_lshlrev_b32_e32 v120, 25, v21
	v_ashrrev_i32_e32 v24, 31, v24
	v_lshlrev_b32_e32 v27, 24, v21
	s_wait_alu 0xfffd
	v_xor_b32_e32 v20, vcc_lo, v20
	v_cmp_gt_i32_e32 vcc_lo, 0, v25
	v_not_b32_e32 v25, v26
	s_wait_alu 0xf1ff
	v_xor_b32_e32 v121, s15, v121
	v_cmp_gt_i32_e64 s15, 0, v26
	v_and_b32_e32 v20, exec_lo, v20
	v_not_b32_e32 v26, v118
	v_ashrrev_i32_e32 v25, 31, v25
	s_wait_alu 0xfffd
	v_xor_b32_e32 v24, vcc_lo, v24
	v_cmp_gt_i32_e32 vcc_lo, 0, v118
	v_and_b32_e32 v20, v20, v121
	v_not_b32_e32 v118, v119
	v_ashrrev_i32_e32 v26, 31, v26
	s_wait_alu 0xf1ff
	v_xor_b32_e32 v25, s15, v25
	v_cmp_gt_i32_e64 s15, 0, v119
	v_and_b32_e32 v20, v20, v24
	v_not_b32_e32 v24, v120
	v_ashrrev_i32_e32 v118, 31, v118
	s_wait_alu 0xfffd
	v_xor_b32_e32 v26, vcc_lo, v26
	v_cmp_gt_i32_e32 vcc_lo, 0, v120
	v_and_b32_e32 v20, v20, v25
	v_not_b32_e32 v25, v27
	v_ashrrev_i32_e32 v24, 31, v24
	s_wait_alu 0xf1ff
	v_xor_b32_e32 v118, s15, v118
	v_cmp_gt_i32_e64 s15, 0, v27
	v_and_b32_e32 v20, v20, v26
	v_ashrrev_i32_e32 v25, 31, v25
	s_wait_alu 0xfffd
	v_xor_b32_e32 v24, vcc_lo, v24
	v_mad_u32_u24 v26, v21, 36, v85
	v_mul_u32_u24_e32 v21, 36, v21
	v_and_b32_e32 v20, v20, v118
	s_wait_alu 0xf1ff
	v_xor_b32_e32 v25, s15, v25
	ds_load_b32 v118, v26 offset:1056
	v_add_nc_u32_e32 v121, v85, v21
	v_and_b32_e32 v20, v20, v24
	; wave barrier
	s_delay_alu instid0(VALU_DEP_1) | instskip(NEXT) | instid1(VALU_DEP_1)
	v_and_b32_e32 v20, v20, v25
	v_mbcnt_lo_u32_b32 v119, v20, 0
	v_cmp_ne_u32_e64 s15, 0, v20
	s_delay_alu instid0(VALU_DEP_2)
	v_cmp_eq_u32_e32 vcc_lo, 0, v119
	s_and_b32 s16, s15, vcc_lo
	s_wait_alu 0xfffe
	s_and_saveexec_b32 s15, s16
	s_cbranch_execz .LBB325_428
; %bb.427:                              ;   in Loop: Header=BB325_402 Depth=2
	s_wait_dscnt 0x0
	v_bcnt_u32_b32 v20, v20, v118
	ds_store_b32 v121, v20 offset:1056
.LBB325_428:                            ;   in Loop: Header=BB325_402 Depth=2
	s_wait_alu 0xfffe
	s_or_b32 exec_lo, exec_lo, s15
	v_xor_b32_e32 v120, 0x7f, v23
	; wave barrier
	s_delay_alu instid0(VALU_DEP_1) | instskip(NEXT) | instid1(VALU_DEP_1)
	v_and_b32_e32 v20, 0xff, v120
	v_lshrrev_b32_e32 v20, s45, v20
	s_delay_alu instid0(VALU_DEP_1) | instskip(NEXT) | instid1(VALU_DEP_1)
	v_and_b32_e32 v21, s31, v20
	v_and_b32_e32 v20, 1, v21
	v_lshlrev_b32_e32 v23, 30, v21
	v_lshlrev_b32_e32 v24, 29, v21
	;; [unrolled: 1-line block ×4, first 2 shown]
	v_add_co_u32 v20, s15, v20, -1
	s_wait_alu 0xf1ff
	v_cndmask_b32_e64 v26, 0, 1, s15
	v_not_b32_e32 v124, v23
	v_cmp_gt_i32_e64 s15, 0, v23
	v_not_b32_e32 v23, v24
	v_lshlrev_b32_e32 v122, 26, v21
	v_cmp_ne_u32_e32 vcc_lo, 0, v26
	v_ashrrev_i32_e32 v124, 31, v124
	v_lshlrev_b32_e32 v123, 25, v21
	v_ashrrev_i32_e32 v23, 31, v23
	v_lshlrev_b32_e32 v26, 24, v21
	s_wait_alu 0xfffd
	v_xor_b32_e32 v20, vcc_lo, v20
	v_cmp_gt_i32_e32 vcc_lo, 0, v24
	v_not_b32_e32 v24, v25
	s_wait_alu 0xf1ff
	v_xor_b32_e32 v124, s15, v124
	v_cmp_gt_i32_e64 s15, 0, v25
	v_and_b32_e32 v20, exec_lo, v20
	v_not_b32_e32 v25, v27
	v_ashrrev_i32_e32 v24, 31, v24
	s_wait_alu 0xfffd
	v_xor_b32_e32 v23, vcc_lo, v23
	v_cmp_gt_i32_e32 vcc_lo, 0, v27
	v_and_b32_e32 v20, v20, v124
	v_not_b32_e32 v27, v122
	v_ashrrev_i32_e32 v25, 31, v25
	s_wait_alu 0xf1ff
	v_xor_b32_e32 v24, s15, v24
	v_cmp_gt_i32_e64 s15, 0, v122
	v_and_b32_e32 v20, v20, v23
	v_not_b32_e32 v23, v123
	v_ashrrev_i32_e32 v27, 31, v27
	s_wait_alu 0xfffd
	v_xor_b32_e32 v25, vcc_lo, v25
	v_cmp_gt_i32_e32 vcc_lo, 0, v123
	v_and_b32_e32 v20, v20, v24
	v_not_b32_e32 v24, v26
	v_ashrrev_i32_e32 v23, 31, v23
	s_wait_alu 0xf1ff
	v_xor_b32_e32 v27, s15, v27
	v_cmp_gt_i32_e64 s15, 0, v26
	v_and_b32_e32 v20, v20, v25
	v_ashrrev_i32_e32 v24, 31, v24
	s_wait_alu 0xfffd
	v_xor_b32_e32 v23, vcc_lo, v23
	v_mad_u32_u24 v25, v21, 36, v85
	v_mul_u32_u24_e32 v21, 36, v21
	v_and_b32_e32 v20, v20, v27
	s_wait_alu 0xf1ff
	v_xor_b32_e32 v24, s15, v24
	ds_load_b32 v122, v25 offset:1056
	v_add_nc_u32_e32 v125, v85, v21
	v_and_b32_e32 v20, v20, v23
	; wave barrier
	s_delay_alu instid0(VALU_DEP_1) | instskip(NEXT) | instid1(VALU_DEP_1)
	v_and_b32_e32 v20, v20, v24
	v_mbcnt_lo_u32_b32 v123, v20, 0
	v_cmp_ne_u32_e64 s15, 0, v20
	s_delay_alu instid0(VALU_DEP_2)
	v_cmp_eq_u32_e32 vcc_lo, 0, v123
	s_and_b32 s16, s15, vcc_lo
	s_wait_alu 0xfffe
	s_and_saveexec_b32 s15, s16
	s_cbranch_execz .LBB325_430
; %bb.429:                              ;   in Loop: Header=BB325_402 Depth=2
	s_wait_dscnt 0x0
	v_bcnt_u32_b32 v20, v20, v122
	ds_store_b32 v125, v20 offset:1056
.LBB325_430:                            ;   in Loop: Header=BB325_402 Depth=2
	s_wait_alu 0xfffe
	s_or_b32 exec_lo, exec_lo, s15
	v_xor_b32_e32 v124, 0x7f, v22
	; wave barrier
	s_delay_alu instid0(VALU_DEP_1) | instskip(NEXT) | instid1(VALU_DEP_1)
	v_and_b32_e32 v20, 0xff, v124
	v_lshrrev_b32_e32 v20, s45, v20
	s_delay_alu instid0(VALU_DEP_1) | instskip(NEXT) | instid1(VALU_DEP_1)
	v_and_b32_e32 v21, s31, v20
	v_and_b32_e32 v20, 1, v21
	v_lshlrev_b32_e32 v22, 30, v21
	v_lshlrev_b32_e32 v23, 29, v21
	;; [unrolled: 1-line block ×4, first 2 shown]
	v_add_co_u32 v20, s15, v20, -1
	s_wait_alu 0xf1ff
	v_cndmask_b32_e64 v25, 0, 1, s15
	v_not_b32_e32 v127, v22
	v_cmp_gt_i32_e64 s15, 0, v22
	v_not_b32_e32 v22, v23
	v_lshlrev_b32_e32 v27, 26, v21
	v_cmp_ne_u32_e32 vcc_lo, 0, v25
	v_ashrrev_i32_e32 v127, 31, v127
	v_lshlrev_b32_e32 v126, 25, v21
	v_ashrrev_i32_e32 v22, 31, v22
	v_lshlrev_b32_e32 v25, 24, v21
	s_wait_alu 0xfffd
	v_xor_b32_e32 v20, vcc_lo, v20
	v_cmp_gt_i32_e32 vcc_lo, 0, v23
	v_not_b32_e32 v23, v24
	s_wait_alu 0xf1ff
	v_xor_b32_e32 v127, s15, v127
	v_cmp_gt_i32_e64 s15, 0, v24
	v_and_b32_e32 v20, exec_lo, v20
	v_not_b32_e32 v24, v26
	v_ashrrev_i32_e32 v23, 31, v23
	s_wait_alu 0xfffd
	v_xor_b32_e32 v22, vcc_lo, v22
	v_cmp_gt_i32_e32 vcc_lo, 0, v26
	v_and_b32_e32 v20, v20, v127
	v_not_b32_e32 v26, v27
	v_ashrrev_i32_e32 v24, 31, v24
	s_wait_alu 0xf1ff
	v_xor_b32_e32 v23, s15, v23
	v_cmp_gt_i32_e64 s15, 0, v27
	v_and_b32_e32 v20, v20, v22
	v_not_b32_e32 v22, v126
	v_ashrrev_i32_e32 v26, 31, v26
	s_wait_alu 0xfffd
	v_xor_b32_e32 v24, vcc_lo, v24
	v_cmp_gt_i32_e32 vcc_lo, 0, v126
	v_and_b32_e32 v20, v20, v23
	v_not_b32_e32 v23, v25
	v_ashrrev_i32_e32 v22, 31, v22
	s_wait_alu 0xf1ff
	v_xor_b32_e32 v26, s15, v26
	v_cmp_gt_i32_e64 s15, 0, v25
	v_and_b32_e32 v20, v20, v24
	v_ashrrev_i32_e32 v23, 31, v23
	s_wait_alu 0xfffd
	v_xor_b32_e32 v22, vcc_lo, v22
	v_mad_u32_u24 v24, v21, 36, v85
	v_mul_u32_u24_e32 v21, 36, v21
	v_and_b32_e32 v20, v20, v26
	s_wait_alu 0xf1ff
	v_xor_b32_e32 v23, s15, v23
	ds_load_b32 v126, v24 offset:1056
	v_add_nc_u32_e32 v128, v85, v21
	v_and_b32_e32 v20, v20, v22
	; wave barrier
	s_delay_alu instid0(VALU_DEP_1) | instskip(NEXT) | instid1(VALU_DEP_1)
	v_and_b32_e32 v20, v20, v23
	v_mbcnt_lo_u32_b32 v127, v20, 0
	v_cmp_ne_u32_e64 s15, 0, v20
	s_delay_alu instid0(VALU_DEP_2)
	v_cmp_eq_u32_e32 vcc_lo, 0, v127
	s_and_b32 s16, s15, vcc_lo
	s_wait_alu 0xfffe
	s_and_saveexec_b32 s15, s16
	s_cbranch_execz .LBB325_432
; %bb.431:                              ;   in Loop: Header=BB325_402 Depth=2
	s_wait_dscnt 0x0
	v_bcnt_u32_b32 v20, v20, v126
	ds_store_b32 v128, v20 offset:1056
.LBB325_432:                            ;   in Loop: Header=BB325_402 Depth=2
	s_wait_alu 0xfffe
	s_or_b32 exec_lo, exec_lo, s15
	; wave barrier
	s_wait_loadcnt_dscnt 0x0
	s_barrier_signal -1
	s_barrier_wait -1
	global_inv scope:SCOPE_SE
	ds_load_2addr_b32 v[26:27], v98 offset1:1
	ds_load_2addr_b32 v[24:25], v99 offset1:1
	ds_load_2addr_b32 v[22:23], v100 offset1:1
	ds_load_2addr_b32 v[20:21], v97 offset1:1
	ds_load_b32 v129, v45 offset:1088
	s_wait_dscnt 0x3
	v_add3_u32 v130, v27, v26, v24
	s_wait_dscnt 0x2
	s_delay_alu instid0(VALU_DEP_1) | instskip(SKIP_1) | instid1(VALU_DEP_1)
	v_add3_u32 v130, v130, v25, v22
	s_wait_dscnt 0x1
	v_add3_u32 v130, v130, v23, v20
	s_wait_dscnt 0x0
	s_delay_alu instid0(VALU_DEP_1) | instskip(NEXT) | instid1(VALU_DEP_1)
	v_add3_u32 v129, v130, v21, v129
	v_mov_b32_dpp v130, v129 row_shr:1 row_mask:0xf bank_mask:0xf
	s_delay_alu instid0(VALU_DEP_1) | instskip(NEXT) | instid1(VALU_DEP_1)
	v_cndmask_b32_e64 v130, v130, 0, s0
	v_add_nc_u32_e32 v129, v130, v129
	s_delay_alu instid0(VALU_DEP_1) | instskip(NEXT) | instid1(VALU_DEP_1)
	v_mov_b32_dpp v130, v129 row_shr:2 row_mask:0xf bank_mask:0xf
	v_cndmask_b32_e64 v130, 0, v130, s1
	s_delay_alu instid0(VALU_DEP_1) | instskip(NEXT) | instid1(VALU_DEP_1)
	v_add_nc_u32_e32 v129, v129, v130
	v_mov_b32_dpp v130, v129 row_shr:4 row_mask:0xf bank_mask:0xf
	s_delay_alu instid0(VALU_DEP_1) | instskip(NEXT) | instid1(VALU_DEP_1)
	v_cndmask_b32_e64 v130, 0, v130, s9
	v_add_nc_u32_e32 v129, v129, v130
	s_delay_alu instid0(VALU_DEP_1) | instskip(NEXT) | instid1(VALU_DEP_1)
	v_mov_b32_dpp v130, v129 row_shr:8 row_mask:0xf bank_mask:0xf
	v_cndmask_b32_e64 v130, 0, v130, s10
	s_delay_alu instid0(VALU_DEP_1) | instskip(SKIP_3) | instid1(VALU_DEP_1)
	v_add_nc_u32_e32 v129, v129, v130
	ds_swizzle_b32 v130, v129 offset:swizzle(BROADCAST,32,15)
	s_wait_dscnt 0x0
	v_cndmask_b32_e64 v130, v130, 0, s11
	v_add_nc_u32_e32 v129, v129, v130
	s_and_saveexec_b32 s15, s3
; %bb.433:                              ;   in Loop: Header=BB325_402 Depth=2
	ds_store_b32 v38, v129 offset:1024
; %bb.434:                              ;   in Loop: Header=BB325_402 Depth=2
	s_wait_alu 0xfffe
	s_or_b32 exec_lo, exec_lo, s15
	s_wait_loadcnt_dscnt 0x0
	s_barrier_signal -1
	s_barrier_wait -1
	global_inv scope:SCOPE_SE
	s_and_saveexec_b32 s15, s4
	s_cbranch_execz .LBB325_436
; %bb.435:                              ;   in Loop: Header=BB325_402 Depth=2
	v_add_nc_u32_e32 v130, v45, v46
	ds_load_b32 v131, v130 offset:1024
	s_wait_dscnt 0x0
	v_mov_b32_dpp v132, v131 row_shr:1 row_mask:0xf bank_mask:0xf
	s_delay_alu instid0(VALU_DEP_1) | instskip(NEXT) | instid1(VALU_DEP_1)
	v_cndmask_b32_e64 v132, v132, 0, s12
	v_add_nc_u32_e32 v131, v132, v131
	s_delay_alu instid0(VALU_DEP_1) | instskip(NEXT) | instid1(VALU_DEP_1)
	v_mov_b32_dpp v132, v131 row_shr:2 row_mask:0xf bank_mask:0xf
	v_cndmask_b32_e64 v132, 0, v132, s13
	s_delay_alu instid0(VALU_DEP_1) | instskip(NEXT) | instid1(VALU_DEP_1)
	v_add_nc_u32_e32 v131, v131, v132
	v_mov_b32_dpp v132, v131 row_shr:4 row_mask:0xf bank_mask:0xf
	s_delay_alu instid0(VALU_DEP_1) | instskip(NEXT) | instid1(VALU_DEP_1)
	v_cndmask_b32_e64 v132, 0, v132, s14
	v_add_nc_u32_e32 v131, v131, v132
	ds_store_b32 v130, v131 offset:1024
.LBB325_436:                            ;   in Loop: Header=BB325_402 Depth=2
	s_wait_alu 0xfffe
	s_or_b32 exec_lo, exec_lo, s15
	v_mov_b32_e32 v130, 0
	s_wait_loadcnt_dscnt 0x0
	s_barrier_signal -1
	s_barrier_wait -1
	global_inv scope:SCOPE_SE
	s_and_saveexec_b32 s15, s5
; %bb.437:                              ;   in Loop: Header=BB325_402 Depth=2
	ds_load_b32 v130, v38 offset:1020
; %bb.438:                              ;   in Loop: Header=BB325_402 Depth=2
	s_wait_alu 0xfffe
	s_or_b32 exec_lo, exec_lo, s15
	s_wait_dscnt 0x0
	v_add_nc_u32_e32 v129, v130, v129
	ds_bpermute_b32 v129, v80, v129
	s_wait_dscnt 0x0
	v_cndmask_b32_e64 v129, v129, v130, s8
	s_delay_alu instid0(VALU_DEP_1) | instskip(NEXT) | instid1(VALU_DEP_1)
	v_cndmask_b32_e64 v129, v129, 0, s6
	v_add_nc_u32_e32 v26, v129, v26
	s_delay_alu instid0(VALU_DEP_1) | instskip(NEXT) | instid1(VALU_DEP_1)
	v_add_nc_u32_e32 v27, v26, v27
	v_add_nc_u32_e32 v24, v27, v24
	s_delay_alu instid0(VALU_DEP_1) | instskip(NEXT) | instid1(VALU_DEP_1)
	v_add_nc_u32_e32 v25, v24, v25
	;; [unrolled: 3-line block ×3, first 2 shown]
	v_add_nc_u32_e32 v20, v23, v20
	s_delay_alu instid0(VALU_DEP_1)
	v_add_nc_u32_e32 v21, v20, v21
	ds_store_2addr_b32 v97, v23, v20 offset1:1
	ds_store_2addr_b32 v98, v129, v26 offset1:1
	ds_store_2addr_b32 v99, v27, v24 offset1:1
	ds_store_2addr_b32 v100, v25, v22 offset1:1
	ds_store_b32 v45, v21 offset:1088
	s_wait_loadcnt_dscnt 0x0
	s_barrier_signal -1
	s_barrier_wait -1
	global_inv scope:SCOPE_SE
	ds_load_b32 v20, v101 offset:1056
	ds_load_b32 v21, v105 offset:1056
	;; [unrolled: 1-line block ×9, first 2 shown]
	v_mov_b32_e32 v22, 0x800
	s_and_saveexec_b32 s15, s7
; %bb.439:                              ;   in Loop: Header=BB325_402 Depth=2
	ds_load_b32 v22, v45 offset:1092
; %bb.440:                              ;   in Loop: Header=BB325_402 Depth=2
	s_wait_alu 0xfffe
	s_or_b32 exec_lo, exec_lo, s15
	s_wait_loadcnt_dscnt 0x0
	s_barrier_signal -1
	s_barrier_wait -1
	global_inv scope:SCOPE_SE
	s_and_saveexec_b32 s15, s2
	s_cbranch_execz .LBB325_442
; %bb.441:                              ;   in Loop: Header=BB325_402 Depth=2
	ds_load_b32 v27, v28
	s_wait_dscnt 0x0
	v_sub_nc_u32_e32 v26, v27, v26
	ds_store_b32 v28, v26
.LBB325_442:                            ;   in Loop: Header=BB325_402 Depth=2
	s_wait_alu 0xfffe
	s_or_b32 exec_lo, exec_lo, s15
	v_add_nc_u32_e32 v98, v20, v95
	v_add3_u32 v97, v103, v102, v21
	v_add3_u32 v95, v107, v106, v23
	;; [unrolled: 1-line block ×7, first 2 shown]
	v_cmp_lt_u32_e64 s20, v1, v2
	ds_store_b8 v98, v94 offset:1024
	ds_store_b8 v97, v96 offset:1024
	;; [unrolled: 1-line block ×8, first 2 shown]
	s_wait_loadcnt_dscnt 0x0
	s_barrier_signal -1
	s_barrier_wait -1
	global_inv scope:SCOPE_SE
	s_and_saveexec_b32 s15, s20
	s_cbranch_execnz .LBB325_479
; %bb.443:                              ;   in Loop: Header=BB325_402 Depth=2
	s_wait_alu 0xfffe
	s_or_b32 exec_lo, exec_lo, s15
	v_cmp_lt_u32_e64 s21, v29, v2
	s_and_saveexec_b32 s15, s21
	s_cbranch_execnz .LBB325_480
.LBB325_444:                            ;   in Loop: Header=BB325_402 Depth=2
	s_wait_alu 0xfffe
	s_or_b32 exec_lo, exec_lo, s15
	v_cmp_lt_u32_e64 s19, v30, v2
	s_and_saveexec_b32 s15, s19
	s_cbranch_execnz .LBB325_481
.LBB325_445:                            ;   in Loop: Header=BB325_402 Depth=2
	s_wait_alu 0xfffe
	s_or_b32 exec_lo, exec_lo, s15
	v_cmp_lt_u32_e64 s18, v31, v2
	s_and_saveexec_b32 s15, s18
	s_cbranch_execnz .LBB325_482
.LBB325_446:                            ;   in Loop: Header=BB325_402 Depth=2
	s_wait_alu 0xfffe
	s_or_b32 exec_lo, exec_lo, s15
	v_cmp_lt_u32_e64 s17, v34, v2
	s_and_saveexec_b32 s15, s17
	s_cbranch_execnz .LBB325_483
.LBB325_447:                            ;   in Loop: Header=BB325_402 Depth=2
	s_wait_alu 0xfffe
	s_or_b32 exec_lo, exec_lo, s15
	v_cmp_lt_u32_e64 s16, v35, v2
	s_and_saveexec_b32 s15, s16
	s_cbranch_execnz .LBB325_484
.LBB325_448:                            ;   in Loop: Header=BB325_402 Depth=2
	s_wait_alu 0xfffe
	s_or_b32 exec_lo, exec_lo, s15
	v_cmp_lt_u32_e64 s15, v36, v2
	s_and_saveexec_b32 s44, s15
	s_cbranch_execnz .LBB325_485
.LBB325_449:                            ;   in Loop: Header=BB325_402 Depth=2
	s_wait_alu 0xfffe
	s_or_b32 exec_lo, exec_lo, s44
	v_cmp_lt_u32_e32 vcc_lo, v37, v2
	s_and_saveexec_b32 s44, vcc_lo
	s_cbranch_execz .LBB325_451
.LBB325_450:                            ;   in Loop: Header=BB325_402 Depth=2
	ds_load_u8 v20, v1 offset:2816
	s_wait_dscnt 0x0
	v_and_b32_e32 v21, 0xff, v20
	v_xor_b32_e32 v20, 0x7f, v20
	s_delay_alu instid0(VALU_DEP_2) | instskip(NEXT) | instid1(VALU_DEP_1)
	v_lshrrev_b32_e32 v21, s45, v21
	v_and_b32_e32 v21, s31, v21
	s_delay_alu instid0(VALU_DEP_1)
	v_lshlrev_b32_e32 v21, 2, v21
	ds_load_b32 v21, v21
	s_wait_dscnt 0x0
	v_add_nc_u32_e32 v21, v21, v37
	global_store_b8 v21, v20, s[38:39]
.LBB325_451:                            ;   in Loop: Header=BB325_402 Depth=2
	s_wait_alu 0xfffe
	s_or_b32 exec_lo, exec_lo, s44
	s_lshl_b64 s[48:49], s[22:23], 3
	s_wait_alu 0xfffe
	v_add_co_u32 v20, s22, v81, s48
	s_wait_alu 0xf1ff
	v_add_co_ci_u32_e64 v21, null, s49, v82, s22
	v_cmp_lt_u32_e64 s22, v68, v2
	s_and_saveexec_b32 s44, s22
	s_wait_alu 0xfffe
	s_xor_b32 s22, exec_lo, s44
	s_cbranch_execnz .LBB325_486
; %bb.452:                              ;   in Loop: Header=BB325_402 Depth=2
	s_wait_alu 0xfffe
	s_or_b32 exec_lo, exec_lo, s22
	s_delay_alu instid0(SALU_CYCLE_1)
	s_mov_b32 s44, exec_lo
	v_cmpx_lt_u32_e64 v71, v2
	s_cbranch_execnz .LBB325_487
.LBB325_453:                            ;   in Loop: Header=BB325_402 Depth=2
	s_wait_alu 0xfffe
	s_or_b32 exec_lo, exec_lo, s44
	s_delay_alu instid0(SALU_CYCLE_1)
	s_mov_b32 s44, exec_lo
	v_cmpx_lt_u32_e64 v72, v2
	s_cbranch_execnz .LBB325_488
.LBB325_454:                            ;   in Loop: Header=BB325_402 Depth=2
	s_wait_alu 0xfffe
	s_or_b32 exec_lo, exec_lo, s44
	s_delay_alu instid0(SALU_CYCLE_1)
	s_mov_b32 s44, exec_lo
	v_cmpx_lt_u32_e64 v73, v2
	s_cbranch_execnz .LBB325_489
.LBB325_455:                            ;   in Loop: Header=BB325_402 Depth=2
	s_wait_alu 0xfffe
	s_or_b32 exec_lo, exec_lo, s44
	s_delay_alu instid0(SALU_CYCLE_1)
	s_mov_b32 s44, exec_lo
	v_cmpx_lt_u32_e64 v74, v2
	s_cbranch_execnz .LBB325_490
.LBB325_456:                            ;   in Loop: Header=BB325_402 Depth=2
	s_wait_alu 0xfffe
	s_or_b32 exec_lo, exec_lo, s44
	s_delay_alu instid0(SALU_CYCLE_1)
	s_mov_b32 s44, exec_lo
	v_cmpx_lt_u32_e64 v75, v2
	s_cbranch_execnz .LBB325_491
.LBB325_457:                            ;   in Loop: Header=BB325_402 Depth=2
	s_wait_alu 0xfffe
	s_or_b32 exec_lo, exec_lo, s44
	s_delay_alu instid0(SALU_CYCLE_1)
	s_mov_b32 s44, exec_lo
	v_cmpx_lt_u32_e64 v76, v2
	s_cbranch_execnz .LBB325_492
.LBB325_458:                            ;   in Loop: Header=BB325_402 Depth=2
	s_wait_alu 0xfffe
	s_or_b32 exec_lo, exec_lo, s44
	s_delay_alu instid0(SALU_CYCLE_1)
	s_mov_b32 s44, exec_lo
	v_cmpx_lt_u32_e64 v77, v2
	s_cbranch_execnz .LBB325_493
.LBB325_459:                            ;   in Loop: Header=BB325_402 Depth=2
	s_wait_alu 0xfffe
	s_or_b32 exec_lo, exec_lo, s44
	s_and_saveexec_b32 s22, s20
	s_cbranch_execnz .LBB325_494
.LBB325_460:                            ;   in Loop: Header=BB325_402 Depth=2
	s_wait_alu 0xfffe
	s_or_b32 exec_lo, exec_lo, s22
	s_and_saveexec_b32 s22, s21
	s_cbranch_execnz .LBB325_495
.LBB325_461:                            ;   in Loop: Header=BB325_402 Depth=2
	s_wait_alu 0xfffe
	s_or_b32 exec_lo, exec_lo, s22
	s_and_saveexec_b32 s22, s19
	s_cbranch_execnz .LBB325_496
.LBB325_462:                            ;   in Loop: Header=BB325_402 Depth=2
	s_wait_alu 0xfffe
	s_or_b32 exec_lo, exec_lo, s22
	s_and_saveexec_b32 s22, s18
	s_cbranch_execnz .LBB325_497
.LBB325_463:                            ;   in Loop: Header=BB325_402 Depth=2
	s_wait_alu 0xfffe
	s_or_b32 exec_lo, exec_lo, s22
	s_and_saveexec_b32 s22, s17
	s_cbranch_execnz .LBB325_498
.LBB325_464:                            ;   in Loop: Header=BB325_402 Depth=2
	s_wait_alu 0xfffe
	s_or_b32 exec_lo, exec_lo, s22
	s_and_saveexec_b32 s22, s16
	s_cbranch_execnz .LBB325_499
.LBB325_465:                            ;   in Loop: Header=BB325_402 Depth=2
	s_wait_alu 0xfffe
	s_or_b32 exec_lo, exec_lo, s22
	s_and_saveexec_b32 s22, s15
	s_cbranch_execnz .LBB325_500
.LBB325_466:                            ;   in Loop: Header=BB325_402 Depth=2
	s_wait_alu 0xfffe
	s_or_b32 exec_lo, exec_lo, s22
	s_and_saveexec_b32 s22, vcc_lo
	s_cbranch_execz .LBB325_468
.LBB325_467:                            ;   in Loop: Header=BB325_402 Depth=2
	ds_load_u8 v2, v1 offset:2816
	s_wait_dscnt 0x0
	v_lshrrev_b32_e32 v2, s45, v2
	s_delay_alu instid0(VALU_DEP_1)
	v_and_b32_e32 v86, s31, v2
.LBB325_468:                            ;   in Loop: Header=BB325_402 Depth=2
	s_wait_alu 0xfffe
	s_or_b32 exec_lo, exec_lo, s22
	v_lshlrev_b32_e32 v2, 3, v98
	v_lshlrev_b32_e32 v20, 3, v97
	;; [unrolled: 1-line block ×3, first 2 shown]
	s_wait_loadcnt 0x0
	s_wait_storecnt 0x0
	s_barrier_signal -1
	s_barrier_wait -1
	global_inv scope:SCOPE_SE
	ds_store_b64 v2, v[18:19] offset:1024
	ds_store_b64 v20, v[16:17] offset:1024
	;; [unrolled: 1-line block ×3, first 2 shown]
	v_lshlrev_b32_e32 v2, 3, v27
	v_lshlrev_b32_e32 v20, 3, v26
	;; [unrolled: 1-line block ×5, first 2 shown]
	ds_store_b64 v2, v[12:13] offset:1024
	ds_store_b64 v20, v[10:11] offset:1024
	ds_store_b64 v21, v[8:9] offset:1024
	ds_store_b64 v24, v[6:7] offset:1024
	ds_store_b64 v23, v[4:5] offset:1024
	s_wait_loadcnt_dscnt 0x0
	s_barrier_signal -1
	s_barrier_wait -1
	global_inv scope:SCOPE_SE
	s_and_saveexec_b32 s22, s20
	s_cbranch_execnz .LBB325_501
; %bb.469:                              ;   in Loop: Header=BB325_402 Depth=2
	s_wait_alu 0xfffe
	s_or_b32 exec_lo, exec_lo, s22
	s_and_saveexec_b32 s22, s21
	s_cbranch_execnz .LBB325_502
.LBB325_470:                            ;   in Loop: Header=BB325_402 Depth=2
	s_wait_alu 0xfffe
	s_or_b32 exec_lo, exec_lo, s22
	s_and_saveexec_b32 s20, s19
	s_cbranch_execnz .LBB325_503
.LBB325_471:                            ;   in Loop: Header=BB325_402 Depth=2
	s_wait_alu 0xfffe
	s_or_b32 exec_lo, exec_lo, s20
	s_and_saveexec_b32 s19, s18
	s_cbranch_execnz .LBB325_504
.LBB325_472:                            ;   in Loop: Header=BB325_402 Depth=2
	s_wait_alu 0xfffe
	s_or_b32 exec_lo, exec_lo, s19
	s_and_saveexec_b32 s18, s17
	s_cbranch_execnz .LBB325_505
.LBB325_473:                            ;   in Loop: Header=BB325_402 Depth=2
	s_wait_alu 0xfffe
	s_or_b32 exec_lo, exec_lo, s18
	s_and_saveexec_b32 s17, s16
	s_cbranch_execnz .LBB325_506
.LBB325_474:                            ;   in Loop: Header=BB325_402 Depth=2
	s_wait_alu 0xfffe
	s_or_b32 exec_lo, exec_lo, s17
	s_and_saveexec_b32 s16, s15
	s_cbranch_execnz .LBB325_507
.LBB325_475:                            ;   in Loop: Header=BB325_402 Depth=2
	s_wait_alu 0xfffe
	s_or_b32 exec_lo, exec_lo, s16
	s_and_saveexec_b32 s15, vcc_lo
	s_cbranch_execz .LBB325_477
.LBB325_476:                            ;   in Loop: Header=BB325_402 Depth=2
	v_lshlrev_b32_e32 v2, 2, v86
	v_add_nc_u32_e32 v20, v1, v47
	ds_load_b32 v2, v2
	ds_load_b64 v[20:21], v20 offset:15360
	s_wait_dscnt 0x1
	v_add_nc_u32_e32 v2, v2, v37
	s_delay_alu instid0(VALU_DEP_1) | instskip(NEXT) | instid1(VALU_DEP_1)
	v_lshlrev_b64_e32 v[23:24], 3, v[2:3]
	v_add_co_u32 v23, vcc_lo, s24, v23
	s_wait_alu 0xfffd
	s_delay_alu instid0(VALU_DEP_2)
	v_add_co_ci_u32_e64 v24, null, s25, v24, vcc_lo
	s_wait_dscnt 0x0
	global_store_b64 v[23:24], v[20:21], off
.LBB325_477:                            ;   in Loop: Header=BB325_402 Depth=2
	s_wait_alu 0xfffe
	s_or_b32 exec_lo, exec_lo, s15
	s_wait_loadcnt 0x0
	s_wait_storecnt 0x0
	s_barrier_signal -1
	s_barrier_wait -1
	global_inv scope:SCOPE_SE
	s_and_saveexec_b32 s15, s2
	s_cbranch_execz .LBB325_401
; %bb.478:                              ;   in Loop: Header=BB325_402 Depth=2
	ds_load_b32 v2, v28
	s_wait_dscnt 0x0
	v_add_nc_u32_e32 v2, v2, v22
	ds_store_b32 v28, v2
	s_branch .LBB325_401
.LBB325_479:                            ;   in Loop: Header=BB325_402 Depth=2
	ds_load_u8 v20, v1 offset:1024
	s_wait_dscnt 0x0
	v_and_b32_e32 v21, 0xff, v20
	v_xor_b32_e32 v20, 0x7f, v20
	s_delay_alu instid0(VALU_DEP_2) | instskip(NEXT) | instid1(VALU_DEP_1)
	v_lshrrev_b32_e32 v21, s45, v21
	v_and_b32_e32 v21, s31, v21
	s_delay_alu instid0(VALU_DEP_1)
	v_lshlrev_b32_e32 v21, 2, v21
	ds_load_b32 v21, v21
	s_wait_dscnt 0x0
	v_add_nc_u32_e32 v21, v21, v1
	global_store_b8 v21, v20, s[38:39]
	s_wait_alu 0xfffe
	s_or_b32 exec_lo, exec_lo, s15
	v_cmp_lt_u32_e64 s21, v29, v2
	s_and_saveexec_b32 s15, s21
	s_cbranch_execz .LBB325_444
.LBB325_480:                            ;   in Loop: Header=BB325_402 Depth=2
	ds_load_u8 v20, v1 offset:1280
	s_wait_dscnt 0x0
	v_and_b32_e32 v21, 0xff, v20
	v_xor_b32_e32 v20, 0x7f, v20
	s_delay_alu instid0(VALU_DEP_2) | instskip(NEXT) | instid1(VALU_DEP_1)
	v_lshrrev_b32_e32 v21, s45, v21
	v_and_b32_e32 v21, s31, v21
	s_delay_alu instid0(VALU_DEP_1)
	v_lshlrev_b32_e32 v21, 2, v21
	ds_load_b32 v21, v21
	s_wait_dscnt 0x0
	v_add_nc_u32_e32 v21, v21, v29
	global_store_b8 v21, v20, s[38:39]
	s_wait_alu 0xfffe
	s_or_b32 exec_lo, exec_lo, s15
	v_cmp_lt_u32_e64 s19, v30, v2
	s_and_saveexec_b32 s15, s19
	s_cbranch_execz .LBB325_445
.LBB325_481:                            ;   in Loop: Header=BB325_402 Depth=2
	ds_load_u8 v20, v1 offset:1536
	s_wait_dscnt 0x0
	v_and_b32_e32 v21, 0xff, v20
	v_xor_b32_e32 v20, 0x7f, v20
	s_delay_alu instid0(VALU_DEP_2) | instskip(NEXT) | instid1(VALU_DEP_1)
	v_lshrrev_b32_e32 v21, s45, v21
	v_and_b32_e32 v21, s31, v21
	s_delay_alu instid0(VALU_DEP_1)
	v_lshlrev_b32_e32 v21, 2, v21
	ds_load_b32 v21, v21
	s_wait_dscnt 0x0
	v_add_nc_u32_e32 v21, v21, v30
	global_store_b8 v21, v20, s[38:39]
	s_wait_alu 0xfffe
	s_or_b32 exec_lo, exec_lo, s15
	v_cmp_lt_u32_e64 s18, v31, v2
	s_and_saveexec_b32 s15, s18
	s_cbranch_execz .LBB325_446
.LBB325_482:                            ;   in Loop: Header=BB325_402 Depth=2
	ds_load_u8 v20, v1 offset:1792
	s_wait_dscnt 0x0
	v_and_b32_e32 v21, 0xff, v20
	v_xor_b32_e32 v20, 0x7f, v20
	s_delay_alu instid0(VALU_DEP_2) | instskip(NEXT) | instid1(VALU_DEP_1)
	v_lshrrev_b32_e32 v21, s45, v21
	v_and_b32_e32 v21, s31, v21
	s_delay_alu instid0(VALU_DEP_1)
	v_lshlrev_b32_e32 v21, 2, v21
	ds_load_b32 v21, v21
	s_wait_dscnt 0x0
	v_add_nc_u32_e32 v21, v21, v31
	global_store_b8 v21, v20, s[38:39]
	s_wait_alu 0xfffe
	s_or_b32 exec_lo, exec_lo, s15
	v_cmp_lt_u32_e64 s17, v34, v2
	s_and_saveexec_b32 s15, s17
	s_cbranch_execz .LBB325_447
.LBB325_483:                            ;   in Loop: Header=BB325_402 Depth=2
	ds_load_u8 v20, v1 offset:2048
	s_wait_dscnt 0x0
	v_and_b32_e32 v21, 0xff, v20
	v_xor_b32_e32 v20, 0x7f, v20
	s_delay_alu instid0(VALU_DEP_2) | instskip(NEXT) | instid1(VALU_DEP_1)
	v_lshrrev_b32_e32 v21, s45, v21
	v_and_b32_e32 v21, s31, v21
	s_delay_alu instid0(VALU_DEP_1)
	v_lshlrev_b32_e32 v21, 2, v21
	ds_load_b32 v21, v21
	s_wait_dscnt 0x0
	v_add_nc_u32_e32 v21, v21, v34
	global_store_b8 v21, v20, s[38:39]
	s_wait_alu 0xfffe
	s_or_b32 exec_lo, exec_lo, s15
	v_cmp_lt_u32_e64 s16, v35, v2
	s_and_saveexec_b32 s15, s16
	s_cbranch_execz .LBB325_448
.LBB325_484:                            ;   in Loop: Header=BB325_402 Depth=2
	ds_load_u8 v20, v1 offset:2304
	s_wait_dscnt 0x0
	v_and_b32_e32 v21, 0xff, v20
	v_xor_b32_e32 v20, 0x7f, v20
	s_delay_alu instid0(VALU_DEP_2) | instskip(NEXT) | instid1(VALU_DEP_1)
	v_lshrrev_b32_e32 v21, s45, v21
	v_and_b32_e32 v21, s31, v21
	s_delay_alu instid0(VALU_DEP_1)
	v_lshlrev_b32_e32 v21, 2, v21
	ds_load_b32 v21, v21
	s_wait_dscnt 0x0
	v_add_nc_u32_e32 v21, v21, v35
	global_store_b8 v21, v20, s[38:39]
	s_wait_alu 0xfffe
	s_or_b32 exec_lo, exec_lo, s15
	v_cmp_lt_u32_e64 s15, v36, v2
	s_and_saveexec_b32 s44, s15
	s_cbranch_execz .LBB325_449
.LBB325_485:                            ;   in Loop: Header=BB325_402 Depth=2
	ds_load_u8 v20, v1 offset:2560
	s_wait_dscnt 0x0
	v_and_b32_e32 v21, 0xff, v20
	v_xor_b32_e32 v20, 0x7f, v20
	s_delay_alu instid0(VALU_DEP_2) | instskip(NEXT) | instid1(VALU_DEP_1)
	v_lshrrev_b32_e32 v21, s45, v21
	v_and_b32_e32 v21, s31, v21
	s_delay_alu instid0(VALU_DEP_1)
	v_lshlrev_b32_e32 v21, 2, v21
	ds_load_b32 v21, v21
	s_wait_dscnt 0x0
	v_add_nc_u32_e32 v21, v21, v36
	global_store_b8 v21, v20, s[38:39]
	s_wait_alu 0xfffe
	s_or_b32 exec_lo, exec_lo, s44
	v_cmp_lt_u32_e32 vcc_lo, v37, v2
	s_and_saveexec_b32 s44, vcc_lo
	s_cbranch_execnz .LBB325_450
	s_branch .LBB325_451
.LBB325_486:                            ;   in Loop: Header=BB325_402 Depth=2
	global_load_b64 v[18:19], v[20:21], off
	s_wait_alu 0xfffe
	s_or_b32 exec_lo, exec_lo, s22
	s_delay_alu instid0(SALU_CYCLE_1)
	s_mov_b32 s44, exec_lo
	v_cmpx_lt_u32_e64 v71, v2
	s_cbranch_execz .LBB325_453
.LBB325_487:                            ;   in Loop: Header=BB325_402 Depth=2
	global_load_b64 v[16:17], v[20:21], off offset:256
	s_wait_alu 0xfffe
	s_or_b32 exec_lo, exec_lo, s44
	s_delay_alu instid0(SALU_CYCLE_1)
	s_mov_b32 s44, exec_lo
	v_cmpx_lt_u32_e64 v72, v2
	s_cbranch_execz .LBB325_454
.LBB325_488:                            ;   in Loop: Header=BB325_402 Depth=2
	global_load_b64 v[14:15], v[20:21], off offset:512
	s_wait_alu 0xfffe
	s_or_b32 exec_lo, exec_lo, s44
	s_delay_alu instid0(SALU_CYCLE_1)
	s_mov_b32 s44, exec_lo
	v_cmpx_lt_u32_e64 v73, v2
	s_cbranch_execz .LBB325_455
.LBB325_489:                            ;   in Loop: Header=BB325_402 Depth=2
	global_load_b64 v[12:13], v[20:21], off offset:768
	s_wait_alu 0xfffe
	s_or_b32 exec_lo, exec_lo, s44
	s_delay_alu instid0(SALU_CYCLE_1)
	s_mov_b32 s44, exec_lo
	v_cmpx_lt_u32_e64 v74, v2
	s_cbranch_execz .LBB325_456
.LBB325_490:                            ;   in Loop: Header=BB325_402 Depth=2
	global_load_b64 v[10:11], v[20:21], off offset:1024
	s_wait_alu 0xfffe
	s_or_b32 exec_lo, exec_lo, s44
	s_delay_alu instid0(SALU_CYCLE_1)
	s_mov_b32 s44, exec_lo
	v_cmpx_lt_u32_e64 v75, v2
	s_cbranch_execz .LBB325_457
.LBB325_491:                            ;   in Loop: Header=BB325_402 Depth=2
	global_load_b64 v[8:9], v[20:21], off offset:1280
	s_wait_alu 0xfffe
	s_or_b32 exec_lo, exec_lo, s44
	s_delay_alu instid0(SALU_CYCLE_1)
	s_mov_b32 s44, exec_lo
	v_cmpx_lt_u32_e64 v76, v2
	s_cbranch_execz .LBB325_458
.LBB325_492:                            ;   in Loop: Header=BB325_402 Depth=2
	global_load_b64 v[6:7], v[20:21], off offset:1536
	s_wait_alu 0xfffe
	s_or_b32 exec_lo, exec_lo, s44
	s_delay_alu instid0(SALU_CYCLE_1)
	s_mov_b32 s44, exec_lo
	v_cmpx_lt_u32_e64 v77, v2
	s_cbranch_execz .LBB325_459
.LBB325_493:                            ;   in Loop: Header=BB325_402 Depth=2
	global_load_b64 v[4:5], v[20:21], off offset:1792
	s_wait_alu 0xfffe
	s_or_b32 exec_lo, exec_lo, s44
	s_and_saveexec_b32 s22, s20
	s_cbranch_execz .LBB325_460
.LBB325_494:                            ;   in Loop: Header=BB325_402 Depth=2
	ds_load_u8 v2, v1 offset:1024
	s_wait_dscnt 0x0
	v_lshrrev_b32_e32 v2, s45, v2
	s_delay_alu instid0(VALU_DEP_1)
	v_and_b32_e32 v93, s31, v2
	s_wait_alu 0xfffe
	s_or_b32 exec_lo, exec_lo, s22
	s_and_saveexec_b32 s22, s21
	s_cbranch_execz .LBB325_461
.LBB325_495:                            ;   in Loop: Header=BB325_402 Depth=2
	ds_load_u8 v2, v1 offset:1280
	s_wait_dscnt 0x0
	v_lshrrev_b32_e32 v2, s45, v2
	s_delay_alu instid0(VALU_DEP_1)
	v_and_b32_e32 v92, s31, v2
	s_wait_alu 0xfffe
	s_or_b32 exec_lo, exec_lo, s22
	s_and_saveexec_b32 s22, s19
	s_cbranch_execz .LBB325_462
.LBB325_496:                            ;   in Loop: Header=BB325_402 Depth=2
	ds_load_u8 v2, v1 offset:1536
	s_wait_dscnt 0x0
	v_lshrrev_b32_e32 v2, s45, v2
	s_delay_alu instid0(VALU_DEP_1)
	v_and_b32_e32 v91, s31, v2
	s_wait_alu 0xfffe
	s_or_b32 exec_lo, exec_lo, s22
	s_and_saveexec_b32 s22, s18
	s_cbranch_execz .LBB325_463
.LBB325_497:                            ;   in Loop: Header=BB325_402 Depth=2
	ds_load_u8 v2, v1 offset:1792
	s_wait_dscnt 0x0
	v_lshrrev_b32_e32 v2, s45, v2
	s_delay_alu instid0(VALU_DEP_1)
	v_and_b32_e32 v90, s31, v2
	s_wait_alu 0xfffe
	s_or_b32 exec_lo, exec_lo, s22
	s_and_saveexec_b32 s22, s17
	s_cbranch_execz .LBB325_464
.LBB325_498:                            ;   in Loop: Header=BB325_402 Depth=2
	ds_load_u8 v2, v1 offset:2048
	s_wait_dscnt 0x0
	v_lshrrev_b32_e32 v2, s45, v2
	s_delay_alu instid0(VALU_DEP_1)
	v_and_b32_e32 v89, s31, v2
	s_wait_alu 0xfffe
	s_or_b32 exec_lo, exec_lo, s22
	s_and_saveexec_b32 s22, s16
	s_cbranch_execz .LBB325_465
.LBB325_499:                            ;   in Loop: Header=BB325_402 Depth=2
	ds_load_u8 v2, v1 offset:2304
	s_wait_dscnt 0x0
	v_lshrrev_b32_e32 v2, s45, v2
	s_delay_alu instid0(VALU_DEP_1)
	v_and_b32_e32 v88, s31, v2
	s_wait_alu 0xfffe
	s_or_b32 exec_lo, exec_lo, s22
	s_and_saveexec_b32 s22, s15
	s_cbranch_execz .LBB325_466
.LBB325_500:                            ;   in Loop: Header=BB325_402 Depth=2
	ds_load_u8 v2, v1 offset:2560
	s_wait_dscnt 0x0
	v_lshrrev_b32_e32 v2, s45, v2
	s_delay_alu instid0(VALU_DEP_1)
	v_and_b32_e32 v87, s31, v2
	s_wait_alu 0xfffe
	s_or_b32 exec_lo, exec_lo, s22
	s_and_saveexec_b32 s22, vcc_lo
	s_cbranch_execnz .LBB325_467
	s_branch .LBB325_468
.LBB325_501:                            ;   in Loop: Header=BB325_402 Depth=2
	v_lshlrev_b32_e32 v2, 2, v93
	v_add_nc_u32_e32 v20, v1, v47
	ds_load_b32 v2, v2
	ds_load_b64 v[20:21], v20 offset:1024
	s_wait_dscnt 0x1
	v_add_nc_u32_e32 v2, v2, v1
	s_delay_alu instid0(VALU_DEP_1) | instskip(NEXT) | instid1(VALU_DEP_1)
	v_lshlrev_b64_e32 v[23:24], 3, v[2:3]
	v_add_co_u32 v23, s20, s24, v23
	s_wait_alu 0xf1ff
	s_delay_alu instid0(VALU_DEP_2)
	v_add_co_ci_u32_e64 v24, null, s25, v24, s20
	s_wait_dscnt 0x0
	global_store_b64 v[23:24], v[20:21], off
	s_wait_alu 0xfffe
	s_or_b32 exec_lo, exec_lo, s22
	s_and_saveexec_b32 s22, s21
	s_cbranch_execz .LBB325_470
.LBB325_502:                            ;   in Loop: Header=BB325_402 Depth=2
	v_lshlrev_b32_e32 v2, 2, v92
	v_add_nc_u32_e32 v20, v1, v47
	ds_load_b32 v2, v2
	ds_load_b64 v[20:21], v20 offset:3072
	s_wait_dscnt 0x1
	v_add_nc_u32_e32 v2, v2, v29
	s_delay_alu instid0(VALU_DEP_1) | instskip(NEXT) | instid1(VALU_DEP_1)
	v_lshlrev_b64_e32 v[23:24], 3, v[2:3]
	v_add_co_u32 v23, s20, s24, v23
	s_wait_alu 0xf1ff
	s_delay_alu instid0(VALU_DEP_2)
	v_add_co_ci_u32_e64 v24, null, s25, v24, s20
	s_wait_dscnt 0x0
	global_store_b64 v[23:24], v[20:21], off
	s_wait_alu 0xfffe
	s_or_b32 exec_lo, exec_lo, s22
	s_and_saveexec_b32 s20, s19
	s_cbranch_execz .LBB325_471
.LBB325_503:                            ;   in Loop: Header=BB325_402 Depth=2
	v_lshlrev_b32_e32 v2, 2, v91
	v_add_nc_u32_e32 v20, v1, v47
	ds_load_b32 v2, v2
	ds_load_b64 v[20:21], v20 offset:5120
	s_wait_dscnt 0x1
	v_add_nc_u32_e32 v2, v2, v30
	s_delay_alu instid0(VALU_DEP_1) | instskip(NEXT) | instid1(VALU_DEP_1)
	v_lshlrev_b64_e32 v[23:24], 3, v[2:3]
	v_add_co_u32 v23, s19, s24, v23
	s_wait_alu 0xf1ff
	s_delay_alu instid0(VALU_DEP_2)
	v_add_co_ci_u32_e64 v24, null, s25, v24, s19
	s_wait_dscnt 0x0
	global_store_b64 v[23:24], v[20:21], off
	s_wait_alu 0xfffe
	s_or_b32 exec_lo, exec_lo, s20
	s_and_saveexec_b32 s19, s18
	s_cbranch_execz .LBB325_472
.LBB325_504:                            ;   in Loop: Header=BB325_402 Depth=2
	v_lshlrev_b32_e32 v2, 2, v90
	v_add_nc_u32_e32 v20, v1, v47
	ds_load_b32 v2, v2
	ds_load_b64 v[20:21], v20 offset:7168
	s_wait_dscnt 0x1
	v_add_nc_u32_e32 v2, v2, v31
	s_delay_alu instid0(VALU_DEP_1) | instskip(NEXT) | instid1(VALU_DEP_1)
	v_lshlrev_b64_e32 v[23:24], 3, v[2:3]
	v_add_co_u32 v23, s18, s24, v23
	s_wait_alu 0xf1ff
	s_delay_alu instid0(VALU_DEP_2)
	v_add_co_ci_u32_e64 v24, null, s25, v24, s18
	s_wait_dscnt 0x0
	global_store_b64 v[23:24], v[20:21], off
	s_wait_alu 0xfffe
	s_or_b32 exec_lo, exec_lo, s19
	s_and_saveexec_b32 s18, s17
	s_cbranch_execz .LBB325_473
.LBB325_505:                            ;   in Loop: Header=BB325_402 Depth=2
	v_lshlrev_b32_e32 v2, 2, v89
	v_add_nc_u32_e32 v20, v1, v47
	ds_load_b32 v2, v2
	ds_load_b64 v[20:21], v20 offset:9216
	s_wait_dscnt 0x1
	v_add_nc_u32_e32 v2, v2, v34
	s_delay_alu instid0(VALU_DEP_1) | instskip(NEXT) | instid1(VALU_DEP_1)
	v_lshlrev_b64_e32 v[23:24], 3, v[2:3]
	v_add_co_u32 v23, s17, s24, v23
	s_wait_alu 0xf1ff
	s_delay_alu instid0(VALU_DEP_2)
	v_add_co_ci_u32_e64 v24, null, s25, v24, s17
	s_wait_dscnt 0x0
	global_store_b64 v[23:24], v[20:21], off
	s_wait_alu 0xfffe
	s_or_b32 exec_lo, exec_lo, s18
	s_and_saveexec_b32 s17, s16
	s_cbranch_execz .LBB325_474
.LBB325_506:                            ;   in Loop: Header=BB325_402 Depth=2
	v_lshlrev_b32_e32 v2, 2, v88
	v_add_nc_u32_e32 v20, v1, v47
	ds_load_b32 v2, v2
	ds_load_b64 v[20:21], v20 offset:11264
	s_wait_dscnt 0x1
	v_add_nc_u32_e32 v2, v2, v35
	s_delay_alu instid0(VALU_DEP_1) | instskip(NEXT) | instid1(VALU_DEP_1)
	v_lshlrev_b64_e32 v[23:24], 3, v[2:3]
	v_add_co_u32 v23, s16, s24, v23
	s_wait_alu 0xf1ff
	s_delay_alu instid0(VALU_DEP_2)
	v_add_co_ci_u32_e64 v24, null, s25, v24, s16
	s_wait_dscnt 0x0
	global_store_b64 v[23:24], v[20:21], off
	s_wait_alu 0xfffe
	s_or_b32 exec_lo, exec_lo, s17
	s_and_saveexec_b32 s16, s15
	s_cbranch_execz .LBB325_475
.LBB325_507:                            ;   in Loop: Header=BB325_402 Depth=2
	v_lshlrev_b32_e32 v2, 2, v87
	v_add_nc_u32_e32 v20, v1, v47
	ds_load_b32 v2, v2
	ds_load_b64 v[20:21], v20 offset:13312
	s_wait_dscnt 0x1
	v_add_nc_u32_e32 v2, v2, v36
	s_delay_alu instid0(VALU_DEP_1) | instskip(NEXT) | instid1(VALU_DEP_1)
	v_lshlrev_b64_e32 v[23:24], 3, v[2:3]
	v_add_co_u32 v23, s15, s24, v23
	s_wait_alu 0xf1ff
	s_delay_alu instid0(VALU_DEP_2)
	v_add_co_ci_u32_e64 v24, null, s25, v24, s15
	s_wait_dscnt 0x0
	global_store_b64 v[23:24], v[20:21], off
	s_wait_alu 0xfffe
	s_or_b32 exec_lo, exec_lo, s16
	s_and_saveexec_b32 s15, vcc_lo
	s_cbranch_execnz .LBB325_476
	s_branch .LBB325_477
.LBB325_508:                            ;   in Loop: Header=BB325_402 Depth=2
	global_load_u8 v94, v[20:21], off
	v_dual_mov_b32 v22, 0x80 :: v_dual_mov_b32 v27, 0x80
	v_dual_mov_b32 v96, 0x80 :: v_dual_mov_b32 v25, 0x80
	v_dual_mov_b32 v26, 0x80 :: v_dual_mov_b32 v23, 0x80
	v_mov_b32_e32 v24, 0x80
	s_wait_alu 0xfffe
	s_or_b32 exec_lo, exec_lo, s15
	s_delay_alu instid0(SALU_CYCLE_1)
	s_mov_b32 s15, exec_lo
	v_cmpx_gt_u32_e64 s42, v71
	s_cbranch_execz .LBB325_407
.LBB325_509:                            ;   in Loop: Header=BB325_402 Depth=2
	global_load_u8 v96, v[20:21], off offset:32
	s_wait_alu 0xfffe
	s_or_b32 exec_lo, exec_lo, s15
	s_delay_alu instid0(SALU_CYCLE_1)
	s_mov_b32 s15, exec_lo
	v_cmpx_gt_u32_e64 s42, v72
	s_cbranch_execz .LBB325_408
.LBB325_510:                            ;   in Loop: Header=BB325_402 Depth=2
	global_load_u8 v27, v[20:21], off offset:64
	s_wait_alu 0xfffe
	s_or_b32 exec_lo, exec_lo, s15
	s_delay_alu instid0(SALU_CYCLE_1)
	s_mov_b32 s15, exec_lo
	v_cmpx_gt_u32_e64 s42, v73
	s_cbranch_execz .LBB325_409
.LBB325_511:                            ;   in Loop: Header=BB325_402 Depth=2
	global_load_u8 v26, v[20:21], off offset:96
	s_wait_alu 0xfffe
	s_or_b32 exec_lo, exec_lo, s15
	s_delay_alu instid0(SALU_CYCLE_1)
	s_mov_b32 s15, exec_lo
	v_cmpx_gt_u32_e64 s42, v74
	s_cbranch_execz .LBB325_410
.LBB325_512:                            ;   in Loop: Header=BB325_402 Depth=2
	global_load_u8 v25, v[20:21], off offset:128
	s_wait_alu 0xfffe
	s_or_b32 exec_lo, exec_lo, s15
	s_delay_alu instid0(SALU_CYCLE_1)
	s_mov_b32 s15, exec_lo
	v_cmpx_gt_u32_e64 s42, v75
	s_cbranch_execz .LBB325_411
.LBB325_513:                            ;   in Loop: Header=BB325_402 Depth=2
	global_load_u8 v24, v[20:21], off offset:160
	s_wait_alu 0xfffe
	s_or_b32 exec_lo, exec_lo, s15
	s_delay_alu instid0(SALU_CYCLE_1)
	s_mov_b32 s15, exec_lo
	v_cmpx_gt_u32_e64 s42, v76
	s_cbranch_execnz .LBB325_412
	s_branch .LBB325_413
.LBB325_514:                            ;   in Loop: Header=BB325_20 Depth=1
	s_wait_loadcnt_dscnt 0x0
	s_barrier_signal -1
	s_mov_b32 s0, 0
	s_barrier_wait -1
.LBB325_515:                            ;   in Loop: Header=BB325_20 Depth=1
	s_wait_alu 0xfffe
	s_and_b32 vcc_lo, exec_lo, s0
	s_wait_alu 0xfffe
	s_cbranch_vccz .LBB325_19
; %bb.516:                              ;   in Loop: Header=BB325_20 Depth=1
	v_dual_mov_b32 v7, 0 :: v_dual_mov_b32 v10, 0
	v_dual_mov_b32 v9, 0 :: v_dual_mov_b32 v8, 0
	;; [unrolled: 1-line block ×3, first 2 shown]
	v_mov_b32_e32 v4, 0
	v_mov_b32_e32 v2, 0
	s_mov_b32 s9, s47
	s_mov_b32 s22, s33
	s_barrier_signal -1
	s_barrier_wait -1
	global_inv scope:SCOPE_SE
	s_branch .LBB325_518
.LBB325_517:                            ;   in Loop: Header=BB325_518 Depth=2
	s_wait_alu 0xfffe
	s_or_b32 exec_lo, exec_lo, s0
	s_addk_co_i32 s9, 0xf800
	s_cmp_ge_u32 s10, s34
	s_mov_b32 s22, s10
	s_cbranch_scc1 .LBB325_554
.LBB325_518:                            ;   Parent Loop BB325_20 Depth=1
                                        ; =>  This Inner Loop Header: Depth=2
	s_wait_alu 0xfffe
	s_add_co_i32 s10, s22, 0x800
	s_mov_b32 s0, -1
	s_wait_alu 0xfffe
	s_cmp_gt_u32 s10, s34
                                        ; implicit-def: $vgpr11
                                        ; implicit-def: $vgpr12
                                        ; implicit-def: $vgpr13
                                        ; implicit-def: $vgpr14
                                        ; implicit-def: $vgpr15
                                        ; implicit-def: $vgpr16
                                        ; implicit-def: $vgpr17
                                        ; implicit-def: $vgpr18
	s_cbranch_scc1 .LBB325_520
; %bb.519:                              ;   in Loop: Header=BB325_518 Depth=2
	v_add_co_u32 v19, vcc_lo, v54, s22
	s_wait_alu 0xfffd
	v_add_co_ci_u32_e64 v20, null, 0, v55, vcc_lo
	s_mov_b32 s0, 0
	s_clause 0x7
	global_load_u8 v18, v[19:20], off offset:1792
	global_load_u8 v17, v[19:20], off offset:1536
	;; [unrolled: 1-line block ×7, first 2 shown]
	global_load_u8 v11, v[19:20], off
.LBB325_520:                            ;   in Loop: Header=BB325_518 Depth=2
	s_wait_alu 0xfffe
	s_and_not1_b32 vcc_lo, exec_lo, s0
	s_movk_i32 s0, 0x800
	s_wait_alu 0xfffe
	s_cbranch_vccnz .LBB325_531
; %bb.521:                              ;   in Loop: Header=BB325_518 Depth=2
	s_add_nc_u64 s[0:1], s[36:37], s[22:23]
	s_mov_b32 s11, exec_lo
	v_cmpx_gt_u32_e64 s9, v1
	s_cbranch_execnz .LBB325_547
; %bb.522:                              ;   in Loop: Header=BB325_518 Depth=2
	s_wait_alu 0xfffe
	s_or_b32 exec_lo, exec_lo, s11
	s_delay_alu instid0(SALU_CYCLE_1)
	s_mov_b32 s11, exec_lo
	v_cmpx_gt_u32_e64 s9, v29
	s_cbranch_execnz .LBB325_548
.LBB325_523:                            ;   in Loop: Header=BB325_518 Depth=2
	s_wait_alu 0xfffe
	s_or_b32 exec_lo, exec_lo, s11
	s_delay_alu instid0(SALU_CYCLE_1)
	s_mov_b32 s11, exec_lo
	v_cmpx_gt_u32_e64 s9, v30
	s_cbranch_execnz .LBB325_549
.LBB325_524:                            ;   in Loop: Header=BB325_518 Depth=2
	s_wait_alu 0xfffe
	s_or_b32 exec_lo, exec_lo, s11
	s_delay_alu instid0(SALU_CYCLE_1)
	s_mov_b32 s11, exec_lo
	v_cmpx_gt_u32_e64 s9, v31
	s_cbranch_execnz .LBB325_550
.LBB325_525:                            ;   in Loop: Header=BB325_518 Depth=2
	s_wait_alu 0xfffe
	s_or_b32 exec_lo, exec_lo, s11
	s_delay_alu instid0(SALU_CYCLE_1)
	s_mov_b32 s11, exec_lo
	v_cmpx_gt_u32_e64 s9, v34
	s_cbranch_execnz .LBB325_551
.LBB325_526:                            ;   in Loop: Header=BB325_518 Depth=2
	s_wait_alu 0xfffe
	s_or_b32 exec_lo, exec_lo, s11
	s_delay_alu instid0(SALU_CYCLE_1)
	s_mov_b32 s11, exec_lo
	v_cmpx_gt_u32_e64 s9, v35
	s_cbranch_execnz .LBB325_552
.LBB325_527:                            ;   in Loop: Header=BB325_518 Depth=2
	s_wait_alu 0xfffe
	s_or_b32 exec_lo, exec_lo, s11
	s_delay_alu instid0(SALU_CYCLE_1)
	s_mov_b32 s11, exec_lo
	v_cmpx_gt_u32_e64 s9, v36
	s_cbranch_execnz .LBB325_553
.LBB325_528:                            ;   in Loop: Header=BB325_518 Depth=2
	s_wait_alu 0xfffe
	s_or_b32 exec_lo, exec_lo, s11
	s_delay_alu instid0(SALU_CYCLE_1)
	s_mov_b32 s11, exec_lo
	v_cmpx_gt_u32_e64 s9, v37
	s_cbranch_execz .LBB325_530
.LBB325_529:                            ;   in Loop: Header=BB325_518 Depth=2
	s_wait_loadcnt 0x0
	v_add_co_u32 v11, s0, s0, v1
	s_wait_alu 0xf1ff
	v_add_co_ci_u32_e64 v12, null, s1, 0, s0
	global_load_u8 v2, v[11:12], off offset:1792
.LBB325_530:                            ;   in Loop: Header=BB325_518 Depth=2
	s_wait_alu 0xfffe
	s_or_b32 exec_lo, exec_lo, s11
	s_wait_loadcnt 0x0
	v_dual_mov_b32 v11, v7 :: v_dual_mov_b32 v12, v10
	v_dual_mov_b32 v13, v9 :: v_dual_mov_b32 v14, v8
	;; [unrolled: 1-line block ×4, first 2 shown]
	s_mov_b32 s0, s9
.LBB325_531:                            ;   in Loop: Header=BB325_518 Depth=2
	s_wait_loadcnt 0x5
	s_delay_alu instid0(VALU_DEP_1)
	v_dual_mov_b32 v2, v18 :: v_dual_mov_b32 v5, v16
	s_wait_loadcnt 0x2
	v_dual_mov_b32 v4, v17 :: v_dual_mov_b32 v9, v13
	s_wait_loadcnt 0x0
	v_dual_mov_b32 v6, v15 :: v_dual_mov_b32 v7, v11
	v_mov_b32_e32 v8, v14
	v_mov_b32_e32 v10, v12
	s_mov_b32 s1, exec_lo
	s_wait_alu 0xfffe
	v_cmpx_gt_u32_e64 s0, v1
	s_cbranch_execnz .LBB325_539
; %bb.532:                              ;   in Loop: Header=BB325_518 Depth=2
	s_or_b32 exec_lo, exec_lo, s1
	s_delay_alu instid0(SALU_CYCLE_1)
	s_mov_b32 s1, exec_lo
	v_cmpx_gt_u32_e64 s0, v29
	s_cbranch_execnz .LBB325_540
.LBB325_533:                            ;   in Loop: Header=BB325_518 Depth=2
	s_wait_alu 0xfffe
	s_or_b32 exec_lo, exec_lo, s1
	s_delay_alu instid0(SALU_CYCLE_1)
	s_mov_b32 s1, exec_lo
	v_cmpx_gt_u32_e64 s0, v30
	s_cbranch_execnz .LBB325_541
.LBB325_534:                            ;   in Loop: Header=BB325_518 Depth=2
	s_wait_alu 0xfffe
	s_or_b32 exec_lo, exec_lo, s1
	s_delay_alu instid0(SALU_CYCLE_1)
	s_mov_b32 s1, exec_lo
	v_cmpx_gt_u32_e64 s0, v31
	s_cbranch_execnz .LBB325_542
.LBB325_535:                            ;   in Loop: Header=BB325_518 Depth=2
	s_wait_alu 0xfffe
	s_or_b32 exec_lo, exec_lo, s1
	s_delay_alu instid0(SALU_CYCLE_1)
	s_mov_b32 s1, exec_lo
	v_cmpx_gt_u32_e64 s0, v34
	s_cbranch_execnz .LBB325_543
.LBB325_536:                            ;   in Loop: Header=BB325_518 Depth=2
	s_wait_alu 0xfffe
	s_or_b32 exec_lo, exec_lo, s1
	s_delay_alu instid0(SALU_CYCLE_1)
	s_mov_b32 s1, exec_lo
	v_cmpx_gt_u32_e64 s0, v35
	s_cbranch_execnz .LBB325_544
.LBB325_537:                            ;   in Loop: Header=BB325_518 Depth=2
	s_wait_alu 0xfffe
	s_or_b32 exec_lo, exec_lo, s1
	s_delay_alu instid0(SALU_CYCLE_1)
	s_mov_b32 s1, exec_lo
	v_cmpx_gt_u32_e64 s0, v36
	s_cbranch_execnz .LBB325_545
.LBB325_538:                            ;   in Loop: Header=BB325_518 Depth=2
	s_wait_alu 0xfffe
	s_or_b32 exec_lo, exec_lo, s1
	v_cmp_gt_u32_e32 vcc_lo, s0, v37
	s_and_saveexec_b32 s0, vcc_lo
	s_cbranch_execz .LBB325_517
	s_branch .LBB325_546
.LBB325_539:                            ;   in Loop: Header=BB325_518 Depth=2
	v_xor_b32_e32 v11, 0x7f, v7
	s_delay_alu instid0(VALU_DEP_1) | instskip(NEXT) | instid1(VALU_DEP_1)
	v_and_b32_e32 v11, 0xff, v11
	v_lshrrev_b32_e32 v11, s45, v11
	s_delay_alu instid0(VALU_DEP_1) | instskip(NEXT) | instid1(VALU_DEP_1)
	v_and_b32_e32 v11, s31, v11
	v_lshl_or_b32 v11, v11, 4, v39
	ds_add_u32 v11, v61
	s_or_b32 exec_lo, exec_lo, s1
	s_delay_alu instid0(SALU_CYCLE_1)
	s_mov_b32 s1, exec_lo
	v_cmpx_gt_u32_e64 s0, v29
	s_cbranch_execz .LBB325_533
.LBB325_540:                            ;   in Loop: Header=BB325_518 Depth=2
	v_xor_b32_e32 v11, 0x7f, v10
	s_delay_alu instid0(VALU_DEP_1) | instskip(NEXT) | instid1(VALU_DEP_1)
	v_and_b32_e32 v11, 0xff, v11
	v_lshrrev_b32_e32 v11, s45, v11
	s_delay_alu instid0(VALU_DEP_1) | instskip(NEXT) | instid1(VALU_DEP_1)
	v_and_b32_e32 v11, s31, v11
	v_lshl_or_b32 v11, v11, 4, v39
	ds_add_u32 v11, v61
	s_wait_alu 0xfffe
	s_or_b32 exec_lo, exec_lo, s1
	s_delay_alu instid0(SALU_CYCLE_1)
	s_mov_b32 s1, exec_lo
	v_cmpx_gt_u32_e64 s0, v30
	s_cbranch_execz .LBB325_534
.LBB325_541:                            ;   in Loop: Header=BB325_518 Depth=2
	v_xor_b32_e32 v11, 0x7f, v9
	s_delay_alu instid0(VALU_DEP_1) | instskip(NEXT) | instid1(VALU_DEP_1)
	v_and_b32_e32 v11, 0xff, v11
	v_lshrrev_b32_e32 v11, s45, v11
	s_delay_alu instid0(VALU_DEP_1) | instskip(NEXT) | instid1(VALU_DEP_1)
	v_and_b32_e32 v11, s31, v11
	v_lshl_or_b32 v11, v11, 4, v39
	ds_add_u32 v11, v61
	s_wait_alu 0xfffe
	s_or_b32 exec_lo, exec_lo, s1
	s_delay_alu instid0(SALU_CYCLE_1)
	s_mov_b32 s1, exec_lo
	v_cmpx_gt_u32_e64 s0, v31
	s_cbranch_execz .LBB325_535
.LBB325_542:                            ;   in Loop: Header=BB325_518 Depth=2
	v_xor_b32_e32 v11, 0x7f, v8
	s_delay_alu instid0(VALU_DEP_1) | instskip(NEXT) | instid1(VALU_DEP_1)
	v_and_b32_e32 v11, 0xff, v11
	v_lshrrev_b32_e32 v11, s45, v11
	s_delay_alu instid0(VALU_DEP_1) | instskip(NEXT) | instid1(VALU_DEP_1)
	v_and_b32_e32 v11, s31, v11
	v_lshl_or_b32 v11, v11, 4, v39
	ds_add_u32 v11, v61
	s_wait_alu 0xfffe
	s_or_b32 exec_lo, exec_lo, s1
	s_delay_alu instid0(SALU_CYCLE_1)
	s_mov_b32 s1, exec_lo
	v_cmpx_gt_u32_e64 s0, v34
	s_cbranch_execz .LBB325_536
.LBB325_543:                            ;   in Loop: Header=BB325_518 Depth=2
	v_xor_b32_e32 v11, 0x7f, v6
	s_delay_alu instid0(VALU_DEP_1) | instskip(NEXT) | instid1(VALU_DEP_1)
	v_and_b32_e32 v11, 0xff, v11
	v_lshrrev_b32_e32 v11, s45, v11
	s_delay_alu instid0(VALU_DEP_1) | instskip(NEXT) | instid1(VALU_DEP_1)
	v_and_b32_e32 v11, s31, v11
	v_lshl_or_b32 v11, v11, 4, v39
	ds_add_u32 v11, v61
	s_wait_alu 0xfffe
	s_or_b32 exec_lo, exec_lo, s1
	s_delay_alu instid0(SALU_CYCLE_1)
	s_mov_b32 s1, exec_lo
	v_cmpx_gt_u32_e64 s0, v35
	s_cbranch_execz .LBB325_537
.LBB325_544:                            ;   in Loop: Header=BB325_518 Depth=2
	v_xor_b32_e32 v11, 0x7f, v5
	s_delay_alu instid0(VALU_DEP_1) | instskip(NEXT) | instid1(VALU_DEP_1)
	v_and_b32_e32 v11, 0xff, v11
	v_lshrrev_b32_e32 v11, s45, v11
	s_delay_alu instid0(VALU_DEP_1) | instskip(NEXT) | instid1(VALU_DEP_1)
	v_and_b32_e32 v11, s31, v11
	v_lshl_or_b32 v11, v11, 4, v39
	ds_add_u32 v11, v61
	s_wait_alu 0xfffe
	s_or_b32 exec_lo, exec_lo, s1
	s_delay_alu instid0(SALU_CYCLE_1)
	s_mov_b32 s1, exec_lo
	v_cmpx_gt_u32_e64 s0, v36
	s_cbranch_execz .LBB325_538
.LBB325_545:                            ;   in Loop: Header=BB325_518 Depth=2
	v_xor_b32_e32 v11, 0x7f, v4
	s_delay_alu instid0(VALU_DEP_1) | instskip(NEXT) | instid1(VALU_DEP_1)
	v_and_b32_e32 v11, 0xff, v11
	v_lshrrev_b32_e32 v11, s45, v11
	s_delay_alu instid0(VALU_DEP_1) | instskip(NEXT) | instid1(VALU_DEP_1)
	v_and_b32_e32 v11, s31, v11
	v_lshl_or_b32 v11, v11, 4, v39
	ds_add_u32 v11, v61
	s_wait_alu 0xfffe
	s_or_b32 exec_lo, exec_lo, s1
	v_cmp_gt_u32_e32 vcc_lo, s0, v37
	s_and_saveexec_b32 s0, vcc_lo
	s_cbranch_execz .LBB325_517
.LBB325_546:                            ;   in Loop: Header=BB325_518 Depth=2
	v_xor_b32_e32 v11, 0x7f, v2
	s_delay_alu instid0(VALU_DEP_1) | instskip(NEXT) | instid1(VALU_DEP_1)
	v_and_b32_e32 v11, 0xff, v11
	v_lshrrev_b32_e32 v11, s45, v11
	s_delay_alu instid0(VALU_DEP_1) | instskip(NEXT) | instid1(VALU_DEP_1)
	v_and_b32_e32 v11, s31, v11
	v_lshl_or_b32 v11, v11, 4, v39
	ds_add_u32 v11, v61
	s_branch .LBB325_517
.LBB325_547:                            ;   in Loop: Header=BB325_518 Depth=2
	s_wait_loadcnt 0x0
	s_wait_alu 0xfffe
	v_add_co_u32 v11, s12, s0, v1
	s_wait_alu 0xf1ff
	v_add_co_ci_u32_e64 v12, null, s1, 0, s12
	global_load_u8 v7, v[11:12], off
	s_or_b32 exec_lo, exec_lo, s11
	s_delay_alu instid0(SALU_CYCLE_1)
	s_mov_b32 s11, exec_lo
	v_cmpx_gt_u32_e64 s9, v29
	s_cbranch_execz .LBB325_523
.LBB325_548:                            ;   in Loop: Header=BB325_518 Depth=2
	v_add_co_u32 v10, s12, s0, v1
	s_wait_loadcnt 0x0
	s_wait_alu 0xf1ff
	v_add_co_ci_u32_e64 v11, null, s1, 0, s12
	global_load_u8 v10, v[10:11], off offset:256
	s_wait_alu 0xfffe
	s_or_b32 exec_lo, exec_lo, s11
	s_delay_alu instid0(SALU_CYCLE_1)
	s_mov_b32 s11, exec_lo
	v_cmpx_gt_u32_e64 s9, v30
	s_cbranch_execz .LBB325_524
.LBB325_549:                            ;   in Loop: Header=BB325_518 Depth=2
	s_wait_loadcnt 0x0
	v_add_co_u32 v11, s12, s0, v1
	s_wait_alu 0xf1ff
	v_add_co_ci_u32_e64 v12, null, s1, 0, s12
	global_load_u8 v9, v[11:12], off offset:512
	s_wait_alu 0xfffe
	s_or_b32 exec_lo, exec_lo, s11
	s_delay_alu instid0(SALU_CYCLE_1)
	s_mov_b32 s11, exec_lo
	v_cmpx_gt_u32_e64 s9, v31
	s_cbranch_execz .LBB325_525
.LBB325_550:                            ;   in Loop: Header=BB325_518 Depth=2
	s_wait_loadcnt 0x0
	v_add_co_u32 v11, s12, s0, v1
	s_wait_alu 0xf1ff
	v_add_co_ci_u32_e64 v12, null, s1, 0, s12
	global_load_u8 v8, v[11:12], off offset:768
	s_wait_alu 0xfffe
	s_or_b32 exec_lo, exec_lo, s11
	s_delay_alu instid0(SALU_CYCLE_1)
	s_mov_b32 s11, exec_lo
	v_cmpx_gt_u32_e64 s9, v34
	s_cbranch_execz .LBB325_526
.LBB325_551:                            ;   in Loop: Header=BB325_518 Depth=2
	s_wait_loadcnt 0x0
	v_add_co_u32 v11, s12, s0, v1
	s_wait_alu 0xf1ff
	v_add_co_ci_u32_e64 v12, null, s1, 0, s12
	global_load_u8 v6, v[11:12], off offset:1024
	s_wait_alu 0xfffe
	s_or_b32 exec_lo, exec_lo, s11
	s_delay_alu instid0(SALU_CYCLE_1)
	s_mov_b32 s11, exec_lo
	v_cmpx_gt_u32_e64 s9, v35
	s_cbranch_execz .LBB325_527
.LBB325_552:                            ;   in Loop: Header=BB325_518 Depth=2
	s_wait_loadcnt 0x0
	v_add_co_u32 v11, s12, s0, v1
	s_wait_alu 0xf1ff
	v_add_co_ci_u32_e64 v12, null, s1, 0, s12
	global_load_u8 v5, v[11:12], off offset:1280
	s_wait_alu 0xfffe
	s_or_b32 exec_lo, exec_lo, s11
	s_delay_alu instid0(SALU_CYCLE_1)
	s_mov_b32 s11, exec_lo
	v_cmpx_gt_u32_e64 s9, v36
	s_cbranch_execz .LBB325_528
.LBB325_553:                            ;   in Loop: Header=BB325_518 Depth=2
	s_wait_loadcnt 0x0
	v_add_co_u32 v11, s12, s0, v1
	s_wait_alu 0xf1ff
	v_add_co_ci_u32_e64 v12, null, s1, 0, s12
	global_load_u8 v4, v[11:12], off offset:1536
	s_wait_alu 0xfffe
	s_or_b32 exec_lo, exec_lo, s11
	s_delay_alu instid0(SALU_CYCLE_1)
	s_mov_b32 s11, exec_lo
	v_cmpx_gt_u32_e64 s9, v37
	s_cbranch_execnz .LBB325_529
	s_branch .LBB325_530
.LBB325_554:                            ;   in Loop: Header=BB325_20 Depth=1
	v_mov_b32_e32 v2, 0
	s_wait_dscnt 0x0
	s_barrier_signal -1
	s_barrier_wait -1
	global_inv scope:SCOPE_SE
	s_and_saveexec_b32 s0, s2
	s_cbranch_execz .LBB325_556
; %bb.555:                              ;   in Loop: Header=BB325_20 Depth=1
	ds_load_2addr_b64 v[4:7], v40 offset1:1
	s_wait_dscnt 0x0
	v_add_nc_u32_e32 v2, v5, v4
	s_delay_alu instid0(VALU_DEP_1)
	v_add3_u32 v2, v2, v6, v7
.LBB325_556:                            ;   in Loop: Header=BB325_20 Depth=1
	s_wait_alu 0xfffe
	s_or_b32 exec_lo, exec_lo, s0
	s_delay_alu instid0(VALU_DEP_1)
	v_mov_b32_dpp v4, v2 row_shr:1 row_mask:0xf bank_mask:0xf
	v_cmp_eq_u32_e64 s0, 0, v62
	v_cmp_lt_u32_e64 s1, 1, v62
	v_cmp_lt_u32_e64 s9, 3, v62
	;; [unrolled: 1-line block ×3, first 2 shown]
	v_cmp_eq_u32_e64 s11, 0, v64
	s_wait_alu 0xf1ff
	v_cndmask_b32_e64 v4, v4, 0, s0
	s_delay_alu instid0(VALU_DEP_1) | instskip(NEXT) | instid1(VALU_DEP_1)
	v_add_nc_u32_e32 v2, v4, v2
	v_mov_b32_dpp v4, v2 row_shr:2 row_mask:0xf bank_mask:0xf
	s_delay_alu instid0(VALU_DEP_1) | instskip(NEXT) | instid1(VALU_DEP_1)
	v_cndmask_b32_e64 v4, 0, v4, s1
	v_add_nc_u32_e32 v2, v2, v4
	s_delay_alu instid0(VALU_DEP_1) | instskip(NEXT) | instid1(VALU_DEP_1)
	v_mov_b32_dpp v4, v2 row_shr:4 row_mask:0xf bank_mask:0xf
	v_cndmask_b32_e64 v4, 0, v4, s9
	s_delay_alu instid0(VALU_DEP_1) | instskip(NEXT) | instid1(VALU_DEP_1)
	v_add_nc_u32_e32 v2, v2, v4
	v_mov_b32_dpp v4, v2 row_shr:8 row_mask:0xf bank_mask:0xf
	s_delay_alu instid0(VALU_DEP_1) | instskip(NEXT) | instid1(VALU_DEP_1)
	v_cndmask_b32_e64 v4, 0, v4, s10
	v_add_nc_u32_e32 v2, v2, v4
	ds_swizzle_b32 v4, v2 offset:swizzle(BROADCAST,32,15)
	s_wait_dscnt 0x0
	v_and_b32_e32 v4, v63, v4
	s_delay_alu instid0(VALU_DEP_1)
	v_add_nc_u32_e32 v2, v2, v4
	s_and_saveexec_b32 s12, s3
; %bb.557:                              ;   in Loop: Header=BB325_20 Depth=1
	ds_store_b32 v41, v2
; %bb.558:                              ;   in Loop: Header=BB325_20 Depth=1
	s_wait_alu 0xfffe
	s_or_b32 exec_lo, exec_lo, s12
	s_wait_loadcnt_dscnt 0x0
	s_barrier_signal -1
	s_barrier_wait -1
	global_inv scope:SCOPE_SE
	s_and_saveexec_b32 s12, s4
	s_cbranch_execz .LBB325_560
; %bb.559:                              ;   in Loop: Header=BB325_20 Depth=1
	ds_load_b32 v4, v42
	v_cmp_ne_u32_e32 vcc_lo, 0, v65
	s_wait_dscnt 0x0
	v_mov_b32_dpp v5, v4 row_shr:1 row_mask:0xf bank_mask:0xf
	s_wait_alu 0xfffd
	s_delay_alu instid0(VALU_DEP_1) | instskip(SKIP_1) | instid1(VALU_DEP_2)
	v_cndmask_b32_e32 v5, 0, v5, vcc_lo
	v_cmp_lt_u32_e32 vcc_lo, 1, v65
	v_add_nc_u32_e32 v4, v5, v4
	s_delay_alu instid0(VALU_DEP_1) | instskip(SKIP_1) | instid1(VALU_DEP_1)
	v_mov_b32_dpp v5, v4 row_shr:2 row_mask:0xf bank_mask:0xf
	s_wait_alu 0xfffd
	v_cndmask_b32_e32 v5, 0, v5, vcc_lo
	v_cmp_lt_u32_e32 vcc_lo, 3, v65
	s_delay_alu instid0(VALU_DEP_2) | instskip(NEXT) | instid1(VALU_DEP_1)
	v_add_nc_u32_e32 v4, v4, v5
	v_mov_b32_dpp v5, v4 row_shr:4 row_mask:0xf bank_mask:0xf
	s_wait_alu 0xfffd
	s_delay_alu instid0(VALU_DEP_1) | instskip(NEXT) | instid1(VALU_DEP_1)
	v_cndmask_b32_e32 v5, 0, v5, vcc_lo
	v_add_nc_u32_e32 v4, v4, v5
	ds_store_b32 v42, v4
.LBB325_560:                            ;   in Loop: Header=BB325_20 Depth=1
	s_wait_alu 0xfffe
	s_or_b32 exec_lo, exec_lo, s12
	v_mov_b32_e32 v4, 0
	s_wait_loadcnt_dscnt 0x0
	s_barrier_signal -1
	s_barrier_wait -1
	global_inv scope:SCOPE_SE
	s_and_saveexec_b32 s12, s5
; %bb.561:                              ;   in Loop: Header=BB325_20 Depth=1
	ds_load_b32 v4, v43
; %bb.562:                              ;   in Loop: Header=BB325_20 Depth=1
	s_wait_alu 0xfffe
	s_or_b32 exec_lo, exec_lo, s12
	v_cmp_gt_i32_e32 vcc_lo, 0, v67
	s_wait_dscnt 0x0
	v_add_nc_u32_e32 v2, v4, v2
	s_wait_loadcnt 0x0
	s_barrier_signal -1
	s_barrier_wait -1
	s_wait_alu 0xfffd
	v_cndmask_b32_e32 v5, v67, v58, vcc_lo
	global_inv scope:SCOPE_SE
	v_lshlrev_b32_e32 v80, 2, v5
	ds_bpermute_b32 v2, v80, v2
	s_and_saveexec_b32 s12, s2
	s_cbranch_execz .LBB325_564
; %bb.563:                              ;   in Loop: Header=BB325_20 Depth=1
	s_wait_dscnt 0x0
	v_cndmask_b32_e64 v2, v2, v4, s8
	s_delay_alu instid0(VALU_DEP_1)
	v_add_nc_u32_e32 v2, s33, v2
	ds_store_b32 v28, v2
.LBB325_564:                            ;   in Loop: Header=BB325_20 Depth=1
	s_wait_alu 0xfffe
	s_or_b32 exec_lo, exec_lo, s12
	s_load_b64 s[12:13], s[28:29], 0x0
	v_add_co_u32 v81, vcc_lo, v56, v66
	s_wait_alu 0xfffd
	v_add_co_ci_u32_e64 v82, null, 0, v57, vcc_lo
	v_add_co_u32 v83, vcc_lo, v59, v58
	s_wait_alu 0xfffd
	v_add_co_ci_u32_e64 v84, null, 0, v60, vcc_lo
	s_mov_b32 s42, s47
                                        ; implicit-def: $vgpr6_vgpr7
                                        ; implicit-def: $vgpr8_vgpr9
                                        ; implicit-def: $vgpr10_vgpr11
                                        ; implicit-def: $vgpr12_vgpr13
                                        ; implicit-def: $vgpr14_vgpr15
                                        ; implicit-def: $vgpr16_vgpr17
                                        ; implicit-def: $vgpr18_vgpr19
                                        ; implicit-def: $vgpr86
                                        ; implicit-def: $vgpr87
                                        ; implicit-def: $vgpr88
                                        ; implicit-def: $vgpr89
                                        ; implicit-def: $vgpr90
                                        ; implicit-def: $vgpr91
                                        ; implicit-def: $vgpr92
                                        ; implicit-def: $vgpr93
	s_wait_kmcnt 0x0
	s_cmp_lt_u32 ttmp7, s13
	s_cselect_b32 s22, 14, 20
	s_cmp_lt_u32 ttmp9, s12
	s_wait_alu 0xfffe
	s_add_nc_u64 s[14:15], s[28:29], s[22:23]
	s_cselect_b32 s22, 12, 18
	s_load_u16 s14, s[14:15], 0x0
	s_add_nc_u64 s[12:13], s[28:29], s[22:23]
	s_mov_b32 s22, s33
	s_load_u16 s12, s[12:13], 0x0
	v_cmp_lt_u32_e64 s13, 1, v65
	s_wait_dscnt 0x0
	s_wait_kmcnt 0x0
	v_mad_u32_u24 v2, v44, s14, v0
	v_cmp_lt_u32_e64 s14, 3, v65
	s_delay_alu instid0(VALU_DEP_2) | instskip(SKIP_1) | instid1(VALU_DEP_2)
	v_mad_co_u64_u32 v[4:5], null, v2, s12, v[1:2]
	v_cmp_eq_u32_e64 s12, 0, v65
	v_lshrrev_b32_e32 v2, 3, v4
                                        ; implicit-def: $vgpr4_vgpr5
	s_delay_alu instid0(VALU_DEP_1)
	v_and_b32_e32 v85, 0x1ffffffc, v2
	s_branch .LBB325_566
.LBB325_565:                            ;   in Loop: Header=BB325_566 Depth=2
	s_wait_alu 0xfffe
	s_or_b32 exec_lo, exec_lo, s15
	s_addk_co_i32 s42, 0xf800
	s_cmp_lt_u32 s43, s34
	s_mov_b32 s22, s43
	s_cbranch_scc0 .LBB325_18
.LBB325_566:                            ;   Parent Loop BB325_20 Depth=1
                                        ; =>  This Inner Loop Header: Depth=2
	s_wait_alu 0xfffe
	s_add_co_i32 s43, s22, 0x800
	s_wait_alu 0xfffe
	s_cmp_gt_u32 s43, s34
	s_cbranch_scc1 .LBB325_568
; %bb.567:                              ;   in Loop: Header=BB325_566 Depth=2
	v_add_co_u32 v20, vcc_lo, v83, s22
	s_wait_alu 0xfffd
	v_add_co_ci_u32_e64 v21, null, 0, v84, vcc_lo
	s_mov_b32 s15, -1
	s_clause 0x6
	global_load_u8 v23, v[20:21], off offset:192
	global_load_u8 v24, v[20:21], off offset:160
	;; [unrolled: 1-line block ×6, first 2 shown]
	global_load_u8 v94, v[20:21], off
	s_movk_i32 s16, 0x800
                                        ; implicit-def: $vgpr22
	s_cbranch_execz .LBB325_569
	s_branch .LBB325_578
.LBB325_568:                            ;   in Loop: Header=BB325_566 Depth=2
	s_mov_b32 s15, 0
                                        ; implicit-def: $vgpr94
                                        ; implicit-def: $vgpr96
                                        ; implicit-def: $vgpr27
                                        ; implicit-def: $vgpr26
                                        ; implicit-def: $vgpr25
                                        ; implicit-def: $vgpr24
                                        ; implicit-def: $vgpr23
	s_movk_i32 s16, 0x800
                                        ; implicit-def: $vgpr22
.LBB325_569:                            ;   in Loop: Header=BB325_566 Depth=2
	v_add_co_u32 v20, vcc_lo, v83, s22
	s_wait_alu 0xfffd
	v_add_co_ci_u32_e64 v21, null, 0, v84, vcc_lo
	s_wait_loadcnt 0x2
	v_dual_mov_b32 v22, 0x80 :: v_dual_mov_b32 v27, 0x80
	s_wait_loadcnt 0x0
	v_dual_mov_b32 v94, 0x80 :: v_dual_mov_b32 v25, 0x80
	v_dual_mov_b32 v96, 0x80 :: v_dual_mov_b32 v23, 0x80
	v_mov_b32_e32 v26, 0x80
	v_mov_b32_e32 v24, 0x80
	s_mov_b32 s15, exec_lo
	v_cmpx_gt_u32_e64 s42, v68
	s_cbranch_execnz .LBB325_672
; %bb.570:                              ;   in Loop: Header=BB325_566 Depth=2
	s_wait_alu 0xfffe
	s_or_b32 exec_lo, exec_lo, s15
	s_delay_alu instid0(SALU_CYCLE_1)
	s_mov_b32 s15, exec_lo
	v_cmpx_gt_u32_e64 s42, v71
	s_cbranch_execnz .LBB325_673
.LBB325_571:                            ;   in Loop: Header=BB325_566 Depth=2
	s_wait_alu 0xfffe
	s_or_b32 exec_lo, exec_lo, s15
	s_delay_alu instid0(SALU_CYCLE_1)
	s_mov_b32 s15, exec_lo
	v_cmpx_gt_u32_e64 s42, v72
	s_cbranch_execnz .LBB325_674
.LBB325_572:                            ;   in Loop: Header=BB325_566 Depth=2
	s_wait_alu 0xfffe
	s_or_b32 exec_lo, exec_lo, s15
	s_delay_alu instid0(SALU_CYCLE_1)
	s_mov_b32 s15, exec_lo
	v_cmpx_gt_u32_e64 s42, v73
	s_cbranch_execnz .LBB325_675
.LBB325_573:                            ;   in Loop: Header=BB325_566 Depth=2
	s_wait_alu 0xfffe
	s_or_b32 exec_lo, exec_lo, s15
	s_delay_alu instid0(SALU_CYCLE_1)
	s_mov_b32 s15, exec_lo
	v_cmpx_gt_u32_e64 s42, v74
	s_cbranch_execnz .LBB325_676
.LBB325_574:                            ;   in Loop: Header=BB325_566 Depth=2
	s_wait_alu 0xfffe
	s_or_b32 exec_lo, exec_lo, s15
	s_delay_alu instid0(SALU_CYCLE_1)
	s_mov_b32 s15, exec_lo
	v_cmpx_gt_u32_e64 s42, v75
	s_cbranch_execnz .LBB325_677
.LBB325_575:                            ;   in Loop: Header=BB325_566 Depth=2
	s_wait_alu 0xfffe
	s_or_b32 exec_lo, exec_lo, s15
	s_delay_alu instid0(SALU_CYCLE_1)
	s_mov_b32 s15, exec_lo
	v_cmpx_gt_u32_e64 s42, v76
	s_cbranch_execz .LBB325_577
.LBB325_576:                            ;   in Loop: Header=BB325_566 Depth=2
	global_load_u8 v23, v[20:21], off offset:192
.LBB325_577:                            ;   in Loop: Header=BB325_566 Depth=2
	s_wait_alu 0xfffe
	s_or_b32 exec_lo, exec_lo, s15
	v_cmp_gt_u32_e64 s15, s42, v77
	s_sub_co_i32 s16, s34, s22
.LBB325_578:                            ;   in Loop: Header=BB325_566 Depth=2
	v_mov_b32_e32 v2, s42
	s_wait_alu 0xfffe
	s_and_saveexec_b32 s17, s15
	s_cbranch_execz .LBB325_580
; %bb.579:                              ;   in Loop: Header=BB325_566 Depth=2
	v_add_co_u32 v20, vcc_lo, v83, s22
	s_wait_alu 0xfffd
	v_add_co_ci_u32_e64 v21, null, s23, v84, vcc_lo
	v_mov_b32_e32 v2, s16
	global_load_u8 v22, v[20:21], off offset:224
.LBB325_580:                            ;   in Loop: Header=BB325_566 Depth=2
	s_wait_alu 0xfffe
	s_or_b32 exec_lo, exec_lo, s17
	s_wait_loadcnt 0x0
	v_xor_b32_e32 v94, 0x7f, v94
	s_delay_alu instid0(VALU_DEP_1) | instskip(NEXT) | instid1(VALU_DEP_1)
	v_and_b32_e32 v20, 0xff, v94
	v_lshrrev_b32_e32 v20, s45, v20
	s_delay_alu instid0(VALU_DEP_1) | instskip(NEXT) | instid1(VALU_DEP_1)
	v_and_b32_e32 v21, s31, v20
	v_and_b32_e32 v20, 1, v21
	v_lshlrev_b32_e32 v95, 30, v21
	v_lshlrev_b32_e32 v97, 29, v21
	;; [unrolled: 1-line block ×4, first 2 shown]
	v_add_co_u32 v20, s15, v20, -1
	s_wait_alu 0xf1ff
	v_cndmask_b32_e64 v99, 0, 1, s15
	v_not_b32_e32 v103, v95
	v_cmp_gt_i32_e64 s15, 0, v95
	v_not_b32_e32 v95, v97
	v_lshlrev_b32_e32 v101, 26, v21
	v_cmp_ne_u32_e32 vcc_lo, 0, v99
	v_ashrrev_i32_e32 v103, 31, v103
	v_lshlrev_b32_e32 v102, 25, v21
	v_ashrrev_i32_e32 v95, 31, v95
	v_lshlrev_b32_e32 v99, 24, v21
	s_wait_alu 0xfffd
	v_xor_b32_e32 v20, vcc_lo, v20
	v_cmp_gt_i32_e32 vcc_lo, 0, v97
	v_not_b32_e32 v97, v98
	s_wait_alu 0xf1ff
	v_xor_b32_e32 v103, s15, v103
	v_cmp_gt_i32_e64 s15, 0, v98
	v_and_b32_e32 v20, exec_lo, v20
	v_not_b32_e32 v98, v100
	v_ashrrev_i32_e32 v97, 31, v97
	s_wait_alu 0xfffd
	v_xor_b32_e32 v95, vcc_lo, v95
	v_cmp_gt_i32_e32 vcc_lo, 0, v100
	v_and_b32_e32 v20, v20, v103
	v_not_b32_e32 v100, v101
	v_ashrrev_i32_e32 v98, 31, v98
	s_wait_alu 0xf1ff
	v_xor_b32_e32 v97, s15, v97
	v_cmp_gt_i32_e64 s15, 0, v101
	v_and_b32_e32 v20, v20, v95
	v_not_b32_e32 v95, v102
	v_ashrrev_i32_e32 v100, 31, v100
	s_wait_alu 0xfffd
	v_xor_b32_e32 v98, vcc_lo, v98
	v_cmp_gt_i32_e32 vcc_lo, 0, v102
	v_and_b32_e32 v20, v20, v97
	v_not_b32_e32 v97, v99
	v_ashrrev_i32_e32 v95, 31, v95
	s_wait_alu 0xf1ff
	v_xor_b32_e32 v100, s15, v100
	v_cmp_gt_i32_e64 s15, 0, v99
	v_and_b32_e32 v20, v20, v98
	v_ashrrev_i32_e32 v97, 31, v97
	s_wait_alu 0xfffd
	v_xor_b32_e32 v95, vcc_lo, v95
	v_mul_u32_u24_e32 v21, 36, v21
	v_add_nc_u32_e32 v99, 0x428, v45
	v_and_b32_e32 v20, v20, v100
	s_wait_alu 0xf1ff
	v_xor_b32_e32 v98, s15, v97
	v_add_nc_u32_e32 v97, 0x438, v45
	v_add_nc_u32_e32 v100, 0x430, v45
	;; [unrolled: 1-line block ×3, first 2 shown]
	v_and_b32_e32 v20, v20, v95
	ds_store_2addr_b32 v97, v3, v3 offset1:1
	v_and_b32_e32 v20, v20, v98
	v_add_nc_u32_e32 v98, 0x420, v45
	ds_store_2addr_b32 v98, v3, v3 offset1:1
	ds_store_2addr_b32 v99, v3, v3 offset1:1
	ds_store_2addr_b32 v100, v3, v3 offset1:1
	ds_store_b32 v45, v3 offset:1088
	v_mbcnt_lo_u32_b32 v95, v20, 0
	v_cmp_ne_u32_e64 s15, 0, v20
	s_wait_dscnt 0x0
	s_barrier_signal -1
	s_barrier_wait -1
	v_cmp_eq_u32_e32 vcc_lo, 0, v95
	global_inv scope:SCOPE_SE
	; wave barrier
	s_and_b32 s16, s15, vcc_lo
	s_wait_alu 0xfffe
	s_and_saveexec_b32 s15, s16
; %bb.581:                              ;   in Loop: Header=BB325_566 Depth=2
	v_bcnt_u32_b32 v20, v20, 0
	ds_store_b32 v101, v20 offset:1056
; %bb.582:                              ;   in Loop: Header=BB325_566 Depth=2
	s_wait_alu 0xfffe
	s_or_b32 exec_lo, exec_lo, s15
	v_xor_b32_e32 v96, 0x7f, v96
	; wave barrier
	s_delay_alu instid0(VALU_DEP_1) | instskip(NEXT) | instid1(VALU_DEP_1)
	v_and_b32_e32 v20, 0xff, v96
	v_lshrrev_b32_e32 v20, s45, v20
	s_delay_alu instid0(VALU_DEP_1) | instskip(NEXT) | instid1(VALU_DEP_1)
	v_and_b32_e32 v21, s31, v20
	v_and_b32_e32 v20, 1, v21
	v_lshlrev_b32_e32 v102, 30, v21
	v_lshlrev_b32_e32 v103, 29, v21
	;; [unrolled: 1-line block ×4, first 2 shown]
	v_add_co_u32 v20, s15, v20, -1
	s_wait_alu 0xf1ff
	v_cndmask_b32_e64 v105, 0, 1, s15
	v_not_b32_e32 v109, v102
	v_cmp_gt_i32_e64 s15, 0, v102
	v_not_b32_e32 v102, v103
	v_lshlrev_b32_e32 v107, 26, v21
	v_cmp_ne_u32_e32 vcc_lo, 0, v105
	v_ashrrev_i32_e32 v109, 31, v109
	v_lshlrev_b32_e32 v108, 25, v21
	v_ashrrev_i32_e32 v102, 31, v102
	v_lshlrev_b32_e32 v105, 24, v21
	s_wait_alu 0xfffd
	v_xor_b32_e32 v20, vcc_lo, v20
	v_cmp_gt_i32_e32 vcc_lo, 0, v103
	v_not_b32_e32 v103, v104
	s_wait_alu 0xf1ff
	v_xor_b32_e32 v109, s15, v109
	v_cmp_gt_i32_e64 s15, 0, v104
	v_and_b32_e32 v20, exec_lo, v20
	v_not_b32_e32 v104, v106
	v_ashrrev_i32_e32 v103, 31, v103
	s_wait_alu 0xfffd
	v_xor_b32_e32 v102, vcc_lo, v102
	v_cmp_gt_i32_e32 vcc_lo, 0, v106
	v_and_b32_e32 v20, v20, v109
	v_not_b32_e32 v106, v107
	v_ashrrev_i32_e32 v104, 31, v104
	s_wait_alu 0xf1ff
	v_xor_b32_e32 v103, s15, v103
	v_cmp_gt_i32_e64 s15, 0, v107
	v_and_b32_e32 v20, v20, v102
	v_not_b32_e32 v102, v108
	v_ashrrev_i32_e32 v106, 31, v106
	s_wait_alu 0xfffd
	v_xor_b32_e32 v104, vcc_lo, v104
	v_cmp_gt_i32_e32 vcc_lo, 0, v108
	v_and_b32_e32 v20, v20, v103
	v_not_b32_e32 v103, v105
	v_ashrrev_i32_e32 v102, 31, v102
	s_wait_alu 0xf1ff
	v_xor_b32_e32 v106, s15, v106
	v_cmp_gt_i32_e64 s15, 0, v105
	v_and_b32_e32 v20, v20, v104
	v_ashrrev_i32_e32 v103, 31, v103
	s_wait_alu 0xfffd
	v_xor_b32_e32 v102, vcc_lo, v102
	v_mad_u32_u24 v104, v21, 36, v85
	v_mul_u32_u24_e32 v21, 36, v21
	v_and_b32_e32 v20, v20, v106
	s_wait_alu 0xf1ff
	v_xor_b32_e32 v103, s15, v103
	s_delay_alu instid0(VALU_DEP_3) | instskip(NEXT) | instid1(VALU_DEP_3)
	v_add_nc_u32_e32 v105, v85, v21
	v_and_b32_e32 v20, v20, v102
	ds_load_b32 v102, v104 offset:1056
	; wave barrier
	v_and_b32_e32 v20, v20, v103
	s_delay_alu instid0(VALU_DEP_1) | instskip(SKIP_1) | instid1(VALU_DEP_2)
	v_mbcnt_lo_u32_b32 v103, v20, 0
	v_cmp_ne_u32_e64 s15, 0, v20
	v_cmp_eq_u32_e32 vcc_lo, 0, v103
	s_and_b32 s16, s15, vcc_lo
	s_wait_alu 0xfffe
	s_and_saveexec_b32 s15, s16
	s_cbranch_execz .LBB325_584
; %bb.583:                              ;   in Loop: Header=BB325_566 Depth=2
	s_wait_dscnt 0x0
	v_bcnt_u32_b32 v20, v20, v102
	ds_store_b32 v105, v20 offset:1056
.LBB325_584:                            ;   in Loop: Header=BB325_566 Depth=2
	s_wait_alu 0xfffe
	s_or_b32 exec_lo, exec_lo, s15
	v_xor_b32_e32 v104, 0x7f, v27
	; wave barrier
	s_delay_alu instid0(VALU_DEP_1) | instskip(NEXT) | instid1(VALU_DEP_1)
	v_and_b32_e32 v20, 0xff, v104
	v_lshrrev_b32_e32 v20, s45, v20
	s_delay_alu instid0(VALU_DEP_1) | instskip(NEXT) | instid1(VALU_DEP_1)
	v_and_b32_e32 v21, s31, v20
	v_and_b32_e32 v20, 1, v21
	v_lshlrev_b32_e32 v27, 30, v21
	v_lshlrev_b32_e32 v106, 29, v21
	;; [unrolled: 1-line block ×4, first 2 shown]
	v_add_co_u32 v20, s15, v20, -1
	s_wait_alu 0xf1ff
	v_cndmask_b32_e64 v108, 0, 1, s15
	v_not_b32_e32 v112, v27
	v_cmp_gt_i32_e64 s15, 0, v27
	v_not_b32_e32 v27, v106
	v_lshlrev_b32_e32 v110, 26, v21
	v_cmp_ne_u32_e32 vcc_lo, 0, v108
	v_ashrrev_i32_e32 v112, 31, v112
	v_lshlrev_b32_e32 v111, 25, v21
	v_ashrrev_i32_e32 v27, 31, v27
	v_lshlrev_b32_e32 v108, 24, v21
	s_wait_alu 0xfffd
	v_xor_b32_e32 v20, vcc_lo, v20
	v_cmp_gt_i32_e32 vcc_lo, 0, v106
	v_not_b32_e32 v106, v107
	s_wait_alu 0xf1ff
	v_xor_b32_e32 v112, s15, v112
	v_cmp_gt_i32_e64 s15, 0, v107
	v_and_b32_e32 v20, exec_lo, v20
	v_not_b32_e32 v107, v109
	v_ashrrev_i32_e32 v106, 31, v106
	s_wait_alu 0xfffd
	v_xor_b32_e32 v27, vcc_lo, v27
	v_cmp_gt_i32_e32 vcc_lo, 0, v109
	v_and_b32_e32 v20, v20, v112
	v_not_b32_e32 v109, v110
	v_ashrrev_i32_e32 v107, 31, v107
	s_wait_alu 0xf1ff
	v_xor_b32_e32 v106, s15, v106
	v_cmp_gt_i32_e64 s15, 0, v110
	v_and_b32_e32 v20, v20, v27
	v_not_b32_e32 v27, v111
	v_ashrrev_i32_e32 v109, 31, v109
	s_wait_alu 0xfffd
	v_xor_b32_e32 v107, vcc_lo, v107
	v_cmp_gt_i32_e32 vcc_lo, 0, v111
	v_and_b32_e32 v20, v20, v106
	v_not_b32_e32 v106, v108
	v_ashrrev_i32_e32 v27, 31, v27
	s_wait_alu 0xf1ff
	v_xor_b32_e32 v109, s15, v109
	v_cmp_gt_i32_e64 s15, 0, v108
	v_and_b32_e32 v20, v20, v107
	v_ashrrev_i32_e32 v106, 31, v106
	s_wait_alu 0xfffd
	v_xor_b32_e32 v27, vcc_lo, v27
	v_mad_u32_u24 v107, v21, 36, v85
	v_mul_u32_u24_e32 v21, 36, v21
	v_and_b32_e32 v20, v20, v109
	s_wait_alu 0xf1ff
	v_xor_b32_e32 v108, s15, v106
	ds_load_b32 v106, v107 offset:1056
	v_add_nc_u32_e32 v109, v85, v21
	v_and_b32_e32 v20, v20, v27
	; wave barrier
	s_delay_alu instid0(VALU_DEP_1) | instskip(NEXT) | instid1(VALU_DEP_1)
	v_and_b32_e32 v20, v20, v108
	v_mbcnt_lo_u32_b32 v107, v20, 0
	v_cmp_ne_u32_e64 s15, 0, v20
	s_delay_alu instid0(VALU_DEP_2)
	v_cmp_eq_u32_e32 vcc_lo, 0, v107
	s_and_b32 s16, s15, vcc_lo
	s_wait_alu 0xfffe
	s_and_saveexec_b32 s15, s16
	s_cbranch_execz .LBB325_586
; %bb.585:                              ;   in Loop: Header=BB325_566 Depth=2
	s_wait_dscnt 0x0
	v_bcnt_u32_b32 v20, v20, v106
	ds_store_b32 v109, v20 offset:1056
.LBB325_586:                            ;   in Loop: Header=BB325_566 Depth=2
	s_wait_alu 0xfffe
	s_or_b32 exec_lo, exec_lo, s15
	v_xor_b32_e32 v108, 0x7f, v26
	; wave barrier
	s_delay_alu instid0(VALU_DEP_1) | instskip(NEXT) | instid1(VALU_DEP_1)
	v_and_b32_e32 v20, 0xff, v108
	v_lshrrev_b32_e32 v20, s45, v20
	s_delay_alu instid0(VALU_DEP_1) | instskip(NEXT) | instid1(VALU_DEP_1)
	v_and_b32_e32 v21, s31, v20
	v_and_b32_e32 v20, 1, v21
	v_lshlrev_b32_e32 v26, 30, v21
	v_lshlrev_b32_e32 v27, 29, v21
	;; [unrolled: 1-line block ×4, first 2 shown]
	v_add_co_u32 v20, s15, v20, -1
	s_wait_alu 0xf1ff
	v_cndmask_b32_e64 v111, 0, 1, s15
	v_not_b32_e32 v115, v26
	v_cmp_gt_i32_e64 s15, 0, v26
	v_not_b32_e32 v26, v27
	v_lshlrev_b32_e32 v113, 26, v21
	v_cmp_ne_u32_e32 vcc_lo, 0, v111
	v_ashrrev_i32_e32 v115, 31, v115
	v_lshlrev_b32_e32 v114, 25, v21
	v_ashrrev_i32_e32 v26, 31, v26
	v_lshlrev_b32_e32 v111, 24, v21
	s_wait_alu 0xfffd
	v_xor_b32_e32 v20, vcc_lo, v20
	v_cmp_gt_i32_e32 vcc_lo, 0, v27
	v_not_b32_e32 v27, v110
	s_wait_alu 0xf1ff
	v_xor_b32_e32 v115, s15, v115
	v_cmp_gt_i32_e64 s15, 0, v110
	v_and_b32_e32 v20, exec_lo, v20
	v_not_b32_e32 v110, v112
	v_ashrrev_i32_e32 v27, 31, v27
	s_wait_alu 0xfffd
	v_xor_b32_e32 v26, vcc_lo, v26
	v_cmp_gt_i32_e32 vcc_lo, 0, v112
	v_and_b32_e32 v20, v20, v115
	v_not_b32_e32 v112, v113
	v_ashrrev_i32_e32 v110, 31, v110
	s_wait_alu 0xf1ff
	v_xor_b32_e32 v27, s15, v27
	v_cmp_gt_i32_e64 s15, 0, v113
	v_and_b32_e32 v20, v20, v26
	v_not_b32_e32 v26, v114
	v_ashrrev_i32_e32 v112, 31, v112
	s_wait_alu 0xfffd
	v_xor_b32_e32 v110, vcc_lo, v110
	v_cmp_gt_i32_e32 vcc_lo, 0, v114
	v_and_b32_e32 v20, v20, v27
	v_not_b32_e32 v27, v111
	v_ashrrev_i32_e32 v26, 31, v26
	s_wait_alu 0xf1ff
	v_xor_b32_e32 v112, s15, v112
	v_cmp_gt_i32_e64 s15, 0, v111
	v_and_b32_e32 v20, v20, v110
	v_ashrrev_i32_e32 v27, 31, v27
	s_wait_alu 0xfffd
	v_xor_b32_e32 v26, vcc_lo, v26
	v_mad_u32_u24 v110, v21, 36, v85
	v_mul_u32_u24_e32 v21, 36, v21
	v_and_b32_e32 v20, v20, v112
	s_wait_alu 0xf1ff
	v_xor_b32_e32 v27, s15, v27
	ds_load_b32 v110, v110 offset:1056
	v_add_nc_u32_e32 v113, v85, v21
	v_and_b32_e32 v20, v20, v26
	; wave barrier
	s_delay_alu instid0(VALU_DEP_1) | instskip(NEXT) | instid1(VALU_DEP_1)
	v_and_b32_e32 v20, v20, v27
	v_mbcnt_lo_u32_b32 v111, v20, 0
	v_cmp_ne_u32_e64 s15, 0, v20
	s_delay_alu instid0(VALU_DEP_2)
	v_cmp_eq_u32_e32 vcc_lo, 0, v111
	s_and_b32 s16, s15, vcc_lo
	s_wait_alu 0xfffe
	s_and_saveexec_b32 s15, s16
	s_cbranch_execz .LBB325_588
; %bb.587:                              ;   in Loop: Header=BB325_566 Depth=2
	s_wait_dscnt 0x0
	v_bcnt_u32_b32 v20, v20, v110
	ds_store_b32 v113, v20 offset:1056
.LBB325_588:                            ;   in Loop: Header=BB325_566 Depth=2
	s_wait_alu 0xfffe
	s_or_b32 exec_lo, exec_lo, s15
	v_xor_b32_e32 v112, 0x7f, v25
	; wave barrier
	s_delay_alu instid0(VALU_DEP_1) | instskip(NEXT) | instid1(VALU_DEP_1)
	v_and_b32_e32 v20, 0xff, v112
	v_lshrrev_b32_e32 v20, s45, v20
	s_delay_alu instid0(VALU_DEP_1) | instskip(NEXT) | instid1(VALU_DEP_1)
	v_and_b32_e32 v21, s31, v20
	v_and_b32_e32 v20, 1, v21
	v_lshlrev_b32_e32 v25, 30, v21
	v_lshlrev_b32_e32 v26, 29, v21
	;; [unrolled: 1-line block ×4, first 2 shown]
	v_add_co_u32 v20, s15, v20, -1
	s_wait_alu 0xf1ff
	v_cndmask_b32_e64 v114, 0, 1, s15
	v_not_b32_e32 v118, v25
	v_cmp_gt_i32_e64 s15, 0, v25
	v_not_b32_e32 v25, v26
	v_lshlrev_b32_e32 v116, 26, v21
	v_cmp_ne_u32_e32 vcc_lo, 0, v114
	v_ashrrev_i32_e32 v118, 31, v118
	v_lshlrev_b32_e32 v117, 25, v21
	v_ashrrev_i32_e32 v25, 31, v25
	v_lshlrev_b32_e32 v114, 24, v21
	s_wait_alu 0xfffd
	v_xor_b32_e32 v20, vcc_lo, v20
	v_cmp_gt_i32_e32 vcc_lo, 0, v26
	v_not_b32_e32 v26, v27
	s_wait_alu 0xf1ff
	v_xor_b32_e32 v118, s15, v118
	v_cmp_gt_i32_e64 s15, 0, v27
	v_and_b32_e32 v20, exec_lo, v20
	v_not_b32_e32 v27, v115
	v_ashrrev_i32_e32 v26, 31, v26
	s_wait_alu 0xfffd
	v_xor_b32_e32 v25, vcc_lo, v25
	v_cmp_gt_i32_e32 vcc_lo, 0, v115
	v_and_b32_e32 v20, v20, v118
	v_not_b32_e32 v115, v116
	v_ashrrev_i32_e32 v27, 31, v27
	s_wait_alu 0xf1ff
	v_xor_b32_e32 v26, s15, v26
	v_cmp_gt_i32_e64 s15, 0, v116
	v_and_b32_e32 v20, v20, v25
	v_not_b32_e32 v25, v117
	v_ashrrev_i32_e32 v115, 31, v115
	s_wait_alu 0xfffd
	v_xor_b32_e32 v27, vcc_lo, v27
	v_cmp_gt_i32_e32 vcc_lo, 0, v117
	v_and_b32_e32 v20, v20, v26
	v_not_b32_e32 v26, v114
	v_ashrrev_i32_e32 v25, 31, v25
	s_wait_alu 0xf1ff
	v_xor_b32_e32 v115, s15, v115
	v_cmp_gt_i32_e64 s15, 0, v114
	v_and_b32_e32 v20, v20, v27
	v_ashrrev_i32_e32 v26, 31, v26
	s_wait_alu 0xfffd
	v_xor_b32_e32 v25, vcc_lo, v25
	v_mad_u32_u24 v27, v21, 36, v85
	v_mul_u32_u24_e32 v21, 36, v21
	v_and_b32_e32 v20, v20, v115
	s_wait_alu 0xf1ff
	v_xor_b32_e32 v26, s15, v26
	ds_load_b32 v114, v27 offset:1056
	v_add_nc_u32_e32 v117, v85, v21
	v_and_b32_e32 v20, v20, v25
	; wave barrier
	s_delay_alu instid0(VALU_DEP_1) | instskip(NEXT) | instid1(VALU_DEP_1)
	v_and_b32_e32 v20, v20, v26
	v_mbcnt_lo_u32_b32 v115, v20, 0
	v_cmp_ne_u32_e64 s15, 0, v20
	s_delay_alu instid0(VALU_DEP_2)
	v_cmp_eq_u32_e32 vcc_lo, 0, v115
	s_and_b32 s16, s15, vcc_lo
	s_wait_alu 0xfffe
	s_and_saveexec_b32 s15, s16
	s_cbranch_execz .LBB325_590
; %bb.589:                              ;   in Loop: Header=BB325_566 Depth=2
	s_wait_dscnt 0x0
	v_bcnt_u32_b32 v20, v20, v114
	ds_store_b32 v117, v20 offset:1056
.LBB325_590:                            ;   in Loop: Header=BB325_566 Depth=2
	s_wait_alu 0xfffe
	s_or_b32 exec_lo, exec_lo, s15
	v_xor_b32_e32 v116, 0x7f, v24
	; wave barrier
	s_delay_alu instid0(VALU_DEP_1) | instskip(NEXT) | instid1(VALU_DEP_1)
	v_and_b32_e32 v20, 0xff, v116
	v_lshrrev_b32_e32 v20, s45, v20
	s_delay_alu instid0(VALU_DEP_1) | instskip(NEXT) | instid1(VALU_DEP_1)
	v_and_b32_e32 v21, s31, v20
	v_and_b32_e32 v20, 1, v21
	v_lshlrev_b32_e32 v24, 30, v21
	v_lshlrev_b32_e32 v25, 29, v21
	;; [unrolled: 1-line block ×4, first 2 shown]
	v_add_co_u32 v20, s15, v20, -1
	s_wait_alu 0xf1ff
	v_cndmask_b32_e64 v27, 0, 1, s15
	v_not_b32_e32 v121, v24
	v_cmp_gt_i32_e64 s15, 0, v24
	v_not_b32_e32 v24, v25
	v_lshlrev_b32_e32 v119, 26, v21
	v_cmp_ne_u32_e32 vcc_lo, 0, v27
	v_ashrrev_i32_e32 v121, 31, v121
	v_lshlrev_b32_e32 v120, 25, v21
	v_ashrrev_i32_e32 v24, 31, v24
	v_lshlrev_b32_e32 v27, 24, v21
	s_wait_alu 0xfffd
	v_xor_b32_e32 v20, vcc_lo, v20
	v_cmp_gt_i32_e32 vcc_lo, 0, v25
	v_not_b32_e32 v25, v26
	s_wait_alu 0xf1ff
	v_xor_b32_e32 v121, s15, v121
	v_cmp_gt_i32_e64 s15, 0, v26
	v_and_b32_e32 v20, exec_lo, v20
	v_not_b32_e32 v26, v118
	v_ashrrev_i32_e32 v25, 31, v25
	s_wait_alu 0xfffd
	v_xor_b32_e32 v24, vcc_lo, v24
	v_cmp_gt_i32_e32 vcc_lo, 0, v118
	v_and_b32_e32 v20, v20, v121
	v_not_b32_e32 v118, v119
	v_ashrrev_i32_e32 v26, 31, v26
	s_wait_alu 0xf1ff
	v_xor_b32_e32 v25, s15, v25
	v_cmp_gt_i32_e64 s15, 0, v119
	v_and_b32_e32 v20, v20, v24
	v_not_b32_e32 v24, v120
	v_ashrrev_i32_e32 v118, 31, v118
	s_wait_alu 0xfffd
	v_xor_b32_e32 v26, vcc_lo, v26
	v_cmp_gt_i32_e32 vcc_lo, 0, v120
	v_and_b32_e32 v20, v20, v25
	v_not_b32_e32 v25, v27
	v_ashrrev_i32_e32 v24, 31, v24
	s_wait_alu 0xf1ff
	v_xor_b32_e32 v118, s15, v118
	v_cmp_gt_i32_e64 s15, 0, v27
	v_and_b32_e32 v20, v20, v26
	v_ashrrev_i32_e32 v25, 31, v25
	s_wait_alu 0xfffd
	v_xor_b32_e32 v24, vcc_lo, v24
	v_mad_u32_u24 v26, v21, 36, v85
	v_mul_u32_u24_e32 v21, 36, v21
	v_and_b32_e32 v20, v20, v118
	s_wait_alu 0xf1ff
	v_xor_b32_e32 v25, s15, v25
	ds_load_b32 v118, v26 offset:1056
	v_add_nc_u32_e32 v121, v85, v21
	v_and_b32_e32 v20, v20, v24
	; wave barrier
	s_delay_alu instid0(VALU_DEP_1) | instskip(NEXT) | instid1(VALU_DEP_1)
	v_and_b32_e32 v20, v20, v25
	v_mbcnt_lo_u32_b32 v119, v20, 0
	v_cmp_ne_u32_e64 s15, 0, v20
	s_delay_alu instid0(VALU_DEP_2)
	v_cmp_eq_u32_e32 vcc_lo, 0, v119
	s_and_b32 s16, s15, vcc_lo
	s_wait_alu 0xfffe
	s_and_saveexec_b32 s15, s16
	s_cbranch_execz .LBB325_592
; %bb.591:                              ;   in Loop: Header=BB325_566 Depth=2
	s_wait_dscnt 0x0
	v_bcnt_u32_b32 v20, v20, v118
	ds_store_b32 v121, v20 offset:1056
.LBB325_592:                            ;   in Loop: Header=BB325_566 Depth=2
	s_wait_alu 0xfffe
	s_or_b32 exec_lo, exec_lo, s15
	v_xor_b32_e32 v120, 0x7f, v23
	; wave barrier
	s_delay_alu instid0(VALU_DEP_1) | instskip(NEXT) | instid1(VALU_DEP_1)
	v_and_b32_e32 v20, 0xff, v120
	v_lshrrev_b32_e32 v20, s45, v20
	s_delay_alu instid0(VALU_DEP_1) | instskip(NEXT) | instid1(VALU_DEP_1)
	v_and_b32_e32 v21, s31, v20
	v_and_b32_e32 v20, 1, v21
	v_lshlrev_b32_e32 v23, 30, v21
	v_lshlrev_b32_e32 v24, 29, v21
	;; [unrolled: 1-line block ×4, first 2 shown]
	v_add_co_u32 v20, s15, v20, -1
	s_wait_alu 0xf1ff
	v_cndmask_b32_e64 v26, 0, 1, s15
	v_not_b32_e32 v124, v23
	v_cmp_gt_i32_e64 s15, 0, v23
	v_not_b32_e32 v23, v24
	v_lshlrev_b32_e32 v122, 26, v21
	v_cmp_ne_u32_e32 vcc_lo, 0, v26
	v_ashrrev_i32_e32 v124, 31, v124
	v_lshlrev_b32_e32 v123, 25, v21
	v_ashrrev_i32_e32 v23, 31, v23
	v_lshlrev_b32_e32 v26, 24, v21
	s_wait_alu 0xfffd
	v_xor_b32_e32 v20, vcc_lo, v20
	v_cmp_gt_i32_e32 vcc_lo, 0, v24
	v_not_b32_e32 v24, v25
	s_wait_alu 0xf1ff
	v_xor_b32_e32 v124, s15, v124
	v_cmp_gt_i32_e64 s15, 0, v25
	v_and_b32_e32 v20, exec_lo, v20
	v_not_b32_e32 v25, v27
	v_ashrrev_i32_e32 v24, 31, v24
	s_wait_alu 0xfffd
	v_xor_b32_e32 v23, vcc_lo, v23
	v_cmp_gt_i32_e32 vcc_lo, 0, v27
	v_and_b32_e32 v20, v20, v124
	v_not_b32_e32 v27, v122
	v_ashrrev_i32_e32 v25, 31, v25
	s_wait_alu 0xf1ff
	v_xor_b32_e32 v24, s15, v24
	v_cmp_gt_i32_e64 s15, 0, v122
	v_and_b32_e32 v20, v20, v23
	v_not_b32_e32 v23, v123
	v_ashrrev_i32_e32 v27, 31, v27
	s_wait_alu 0xfffd
	v_xor_b32_e32 v25, vcc_lo, v25
	v_cmp_gt_i32_e32 vcc_lo, 0, v123
	v_and_b32_e32 v20, v20, v24
	v_not_b32_e32 v24, v26
	v_ashrrev_i32_e32 v23, 31, v23
	s_wait_alu 0xf1ff
	v_xor_b32_e32 v27, s15, v27
	v_cmp_gt_i32_e64 s15, 0, v26
	v_and_b32_e32 v20, v20, v25
	v_ashrrev_i32_e32 v24, 31, v24
	s_wait_alu 0xfffd
	v_xor_b32_e32 v23, vcc_lo, v23
	v_mad_u32_u24 v25, v21, 36, v85
	v_mul_u32_u24_e32 v21, 36, v21
	v_and_b32_e32 v20, v20, v27
	s_wait_alu 0xf1ff
	v_xor_b32_e32 v24, s15, v24
	ds_load_b32 v122, v25 offset:1056
	v_add_nc_u32_e32 v125, v85, v21
	v_and_b32_e32 v20, v20, v23
	; wave barrier
	s_delay_alu instid0(VALU_DEP_1) | instskip(NEXT) | instid1(VALU_DEP_1)
	v_and_b32_e32 v20, v20, v24
	v_mbcnt_lo_u32_b32 v123, v20, 0
	v_cmp_ne_u32_e64 s15, 0, v20
	s_delay_alu instid0(VALU_DEP_2)
	v_cmp_eq_u32_e32 vcc_lo, 0, v123
	s_and_b32 s16, s15, vcc_lo
	s_wait_alu 0xfffe
	s_and_saveexec_b32 s15, s16
	s_cbranch_execz .LBB325_594
; %bb.593:                              ;   in Loop: Header=BB325_566 Depth=2
	s_wait_dscnt 0x0
	v_bcnt_u32_b32 v20, v20, v122
	ds_store_b32 v125, v20 offset:1056
.LBB325_594:                            ;   in Loop: Header=BB325_566 Depth=2
	s_wait_alu 0xfffe
	s_or_b32 exec_lo, exec_lo, s15
	v_xor_b32_e32 v124, 0x7f, v22
	; wave barrier
	s_delay_alu instid0(VALU_DEP_1) | instskip(NEXT) | instid1(VALU_DEP_1)
	v_and_b32_e32 v20, 0xff, v124
	v_lshrrev_b32_e32 v20, s45, v20
	s_delay_alu instid0(VALU_DEP_1) | instskip(NEXT) | instid1(VALU_DEP_1)
	v_and_b32_e32 v21, s31, v20
	v_and_b32_e32 v20, 1, v21
	v_lshlrev_b32_e32 v22, 30, v21
	v_lshlrev_b32_e32 v23, 29, v21
	;; [unrolled: 1-line block ×4, first 2 shown]
	v_add_co_u32 v20, s15, v20, -1
	s_wait_alu 0xf1ff
	v_cndmask_b32_e64 v25, 0, 1, s15
	v_not_b32_e32 v127, v22
	v_cmp_gt_i32_e64 s15, 0, v22
	v_not_b32_e32 v22, v23
	v_lshlrev_b32_e32 v27, 26, v21
	v_cmp_ne_u32_e32 vcc_lo, 0, v25
	v_ashrrev_i32_e32 v127, 31, v127
	v_lshlrev_b32_e32 v126, 25, v21
	v_ashrrev_i32_e32 v22, 31, v22
	v_lshlrev_b32_e32 v25, 24, v21
	s_wait_alu 0xfffd
	v_xor_b32_e32 v20, vcc_lo, v20
	v_cmp_gt_i32_e32 vcc_lo, 0, v23
	v_not_b32_e32 v23, v24
	s_wait_alu 0xf1ff
	v_xor_b32_e32 v127, s15, v127
	v_cmp_gt_i32_e64 s15, 0, v24
	v_and_b32_e32 v20, exec_lo, v20
	v_not_b32_e32 v24, v26
	v_ashrrev_i32_e32 v23, 31, v23
	s_wait_alu 0xfffd
	v_xor_b32_e32 v22, vcc_lo, v22
	v_cmp_gt_i32_e32 vcc_lo, 0, v26
	v_and_b32_e32 v20, v20, v127
	v_not_b32_e32 v26, v27
	v_ashrrev_i32_e32 v24, 31, v24
	s_wait_alu 0xf1ff
	v_xor_b32_e32 v23, s15, v23
	v_cmp_gt_i32_e64 s15, 0, v27
	v_and_b32_e32 v20, v20, v22
	v_not_b32_e32 v22, v126
	v_ashrrev_i32_e32 v26, 31, v26
	s_wait_alu 0xfffd
	v_xor_b32_e32 v24, vcc_lo, v24
	v_cmp_gt_i32_e32 vcc_lo, 0, v126
	v_and_b32_e32 v20, v20, v23
	v_not_b32_e32 v23, v25
	v_ashrrev_i32_e32 v22, 31, v22
	s_wait_alu 0xf1ff
	v_xor_b32_e32 v26, s15, v26
	v_cmp_gt_i32_e64 s15, 0, v25
	v_and_b32_e32 v20, v20, v24
	v_ashrrev_i32_e32 v23, 31, v23
	s_wait_alu 0xfffd
	v_xor_b32_e32 v22, vcc_lo, v22
	v_mad_u32_u24 v24, v21, 36, v85
	v_mul_u32_u24_e32 v21, 36, v21
	v_and_b32_e32 v20, v20, v26
	s_wait_alu 0xf1ff
	v_xor_b32_e32 v23, s15, v23
	ds_load_b32 v126, v24 offset:1056
	v_add_nc_u32_e32 v128, v85, v21
	v_and_b32_e32 v20, v20, v22
	; wave barrier
	s_delay_alu instid0(VALU_DEP_1) | instskip(NEXT) | instid1(VALU_DEP_1)
	v_and_b32_e32 v20, v20, v23
	v_mbcnt_lo_u32_b32 v127, v20, 0
	v_cmp_ne_u32_e64 s15, 0, v20
	s_delay_alu instid0(VALU_DEP_2)
	v_cmp_eq_u32_e32 vcc_lo, 0, v127
	s_and_b32 s16, s15, vcc_lo
	s_wait_alu 0xfffe
	s_and_saveexec_b32 s15, s16
	s_cbranch_execz .LBB325_596
; %bb.595:                              ;   in Loop: Header=BB325_566 Depth=2
	s_wait_dscnt 0x0
	v_bcnt_u32_b32 v20, v20, v126
	ds_store_b32 v128, v20 offset:1056
.LBB325_596:                            ;   in Loop: Header=BB325_566 Depth=2
	s_wait_alu 0xfffe
	s_or_b32 exec_lo, exec_lo, s15
	; wave barrier
	s_wait_loadcnt_dscnt 0x0
	s_barrier_signal -1
	s_barrier_wait -1
	global_inv scope:SCOPE_SE
	ds_load_2addr_b32 v[26:27], v98 offset1:1
	ds_load_2addr_b32 v[24:25], v99 offset1:1
	;; [unrolled: 1-line block ×4, first 2 shown]
	ds_load_b32 v129, v45 offset:1088
	s_wait_dscnt 0x3
	v_add3_u32 v130, v27, v26, v24
	s_wait_dscnt 0x2
	s_delay_alu instid0(VALU_DEP_1) | instskip(SKIP_1) | instid1(VALU_DEP_1)
	v_add3_u32 v130, v130, v25, v22
	s_wait_dscnt 0x1
	v_add3_u32 v130, v130, v23, v20
	s_wait_dscnt 0x0
	s_delay_alu instid0(VALU_DEP_1) | instskip(NEXT) | instid1(VALU_DEP_1)
	v_add3_u32 v129, v130, v21, v129
	v_mov_b32_dpp v130, v129 row_shr:1 row_mask:0xf bank_mask:0xf
	s_delay_alu instid0(VALU_DEP_1) | instskip(NEXT) | instid1(VALU_DEP_1)
	v_cndmask_b32_e64 v130, v130, 0, s0
	v_add_nc_u32_e32 v129, v130, v129
	s_delay_alu instid0(VALU_DEP_1) | instskip(NEXT) | instid1(VALU_DEP_1)
	v_mov_b32_dpp v130, v129 row_shr:2 row_mask:0xf bank_mask:0xf
	v_cndmask_b32_e64 v130, 0, v130, s1
	s_delay_alu instid0(VALU_DEP_1) | instskip(NEXT) | instid1(VALU_DEP_1)
	v_add_nc_u32_e32 v129, v129, v130
	v_mov_b32_dpp v130, v129 row_shr:4 row_mask:0xf bank_mask:0xf
	s_delay_alu instid0(VALU_DEP_1) | instskip(NEXT) | instid1(VALU_DEP_1)
	v_cndmask_b32_e64 v130, 0, v130, s9
	v_add_nc_u32_e32 v129, v129, v130
	s_delay_alu instid0(VALU_DEP_1) | instskip(NEXT) | instid1(VALU_DEP_1)
	v_mov_b32_dpp v130, v129 row_shr:8 row_mask:0xf bank_mask:0xf
	v_cndmask_b32_e64 v130, 0, v130, s10
	s_delay_alu instid0(VALU_DEP_1) | instskip(SKIP_3) | instid1(VALU_DEP_1)
	v_add_nc_u32_e32 v129, v129, v130
	ds_swizzle_b32 v130, v129 offset:swizzle(BROADCAST,32,15)
	s_wait_dscnt 0x0
	v_cndmask_b32_e64 v130, v130, 0, s11
	v_add_nc_u32_e32 v129, v129, v130
	s_and_saveexec_b32 s15, s3
; %bb.597:                              ;   in Loop: Header=BB325_566 Depth=2
	ds_store_b32 v38, v129 offset:1024
; %bb.598:                              ;   in Loop: Header=BB325_566 Depth=2
	s_wait_alu 0xfffe
	s_or_b32 exec_lo, exec_lo, s15
	s_wait_loadcnt_dscnt 0x0
	s_barrier_signal -1
	s_barrier_wait -1
	global_inv scope:SCOPE_SE
	s_and_saveexec_b32 s15, s4
	s_cbranch_execz .LBB325_600
; %bb.599:                              ;   in Loop: Header=BB325_566 Depth=2
	v_add_nc_u32_e32 v130, v45, v46
	ds_load_b32 v131, v130 offset:1024
	s_wait_dscnt 0x0
	v_mov_b32_dpp v132, v131 row_shr:1 row_mask:0xf bank_mask:0xf
	s_delay_alu instid0(VALU_DEP_1) | instskip(NEXT) | instid1(VALU_DEP_1)
	v_cndmask_b32_e64 v132, v132, 0, s12
	v_add_nc_u32_e32 v131, v132, v131
	s_delay_alu instid0(VALU_DEP_1) | instskip(NEXT) | instid1(VALU_DEP_1)
	v_mov_b32_dpp v132, v131 row_shr:2 row_mask:0xf bank_mask:0xf
	v_cndmask_b32_e64 v132, 0, v132, s13
	s_delay_alu instid0(VALU_DEP_1) | instskip(NEXT) | instid1(VALU_DEP_1)
	v_add_nc_u32_e32 v131, v131, v132
	v_mov_b32_dpp v132, v131 row_shr:4 row_mask:0xf bank_mask:0xf
	s_delay_alu instid0(VALU_DEP_1) | instskip(NEXT) | instid1(VALU_DEP_1)
	v_cndmask_b32_e64 v132, 0, v132, s14
	v_add_nc_u32_e32 v131, v131, v132
	ds_store_b32 v130, v131 offset:1024
.LBB325_600:                            ;   in Loop: Header=BB325_566 Depth=2
	s_wait_alu 0xfffe
	s_or_b32 exec_lo, exec_lo, s15
	v_mov_b32_e32 v130, 0
	s_wait_loadcnt_dscnt 0x0
	s_barrier_signal -1
	s_barrier_wait -1
	global_inv scope:SCOPE_SE
	s_and_saveexec_b32 s15, s5
; %bb.601:                              ;   in Loop: Header=BB325_566 Depth=2
	ds_load_b32 v130, v38 offset:1020
; %bb.602:                              ;   in Loop: Header=BB325_566 Depth=2
	s_wait_alu 0xfffe
	s_or_b32 exec_lo, exec_lo, s15
	s_wait_dscnt 0x0
	v_add_nc_u32_e32 v129, v130, v129
	ds_bpermute_b32 v129, v80, v129
	s_wait_dscnt 0x0
	v_cndmask_b32_e64 v129, v129, v130, s8
	s_delay_alu instid0(VALU_DEP_1) | instskip(NEXT) | instid1(VALU_DEP_1)
	v_cndmask_b32_e64 v129, v129, 0, s6
	v_add_nc_u32_e32 v26, v129, v26
	s_delay_alu instid0(VALU_DEP_1) | instskip(NEXT) | instid1(VALU_DEP_1)
	v_add_nc_u32_e32 v27, v26, v27
	v_add_nc_u32_e32 v24, v27, v24
	s_delay_alu instid0(VALU_DEP_1) | instskip(NEXT) | instid1(VALU_DEP_1)
	v_add_nc_u32_e32 v25, v24, v25
	;; [unrolled: 3-line block ×3, first 2 shown]
	v_add_nc_u32_e32 v20, v23, v20
	s_delay_alu instid0(VALU_DEP_1)
	v_add_nc_u32_e32 v21, v20, v21
	ds_store_2addr_b32 v97, v23, v20 offset1:1
	ds_store_2addr_b32 v98, v129, v26 offset1:1
	;; [unrolled: 1-line block ×4, first 2 shown]
	ds_store_b32 v45, v21 offset:1088
	s_wait_loadcnt_dscnt 0x0
	s_barrier_signal -1
	s_barrier_wait -1
	global_inv scope:SCOPE_SE
	ds_load_b32 v20, v101 offset:1056
	ds_load_b32 v21, v105 offset:1056
	;; [unrolled: 1-line block ×9, first 2 shown]
	v_mov_b32_e32 v22, 0x800
	s_and_saveexec_b32 s15, s7
; %bb.603:                              ;   in Loop: Header=BB325_566 Depth=2
	ds_load_b32 v22, v45 offset:1092
; %bb.604:                              ;   in Loop: Header=BB325_566 Depth=2
	s_wait_alu 0xfffe
	s_or_b32 exec_lo, exec_lo, s15
	s_wait_loadcnt_dscnt 0x0
	s_barrier_signal -1
	s_barrier_wait -1
	global_inv scope:SCOPE_SE
	s_and_saveexec_b32 s15, s2
	s_cbranch_execz .LBB325_606
; %bb.605:                              ;   in Loop: Header=BB325_566 Depth=2
	ds_load_b32 v27, v28
	s_wait_dscnt 0x0
	v_sub_nc_u32_e32 v26, v27, v26
	ds_store_b32 v28, v26
.LBB325_606:                            ;   in Loop: Header=BB325_566 Depth=2
	s_wait_alu 0xfffe
	s_or_b32 exec_lo, exec_lo, s15
	v_add_nc_u32_e32 v98, v20, v95
	v_add3_u32 v97, v103, v102, v21
	v_add3_u32 v95, v107, v106, v23
	;; [unrolled: 1-line block ×7, first 2 shown]
	v_cmp_lt_u32_e64 s19, v1, v2
	ds_store_b8 v98, v94 offset:1024
	ds_store_b8 v97, v96 offset:1024
	;; [unrolled: 1-line block ×8, first 2 shown]
	s_wait_loadcnt_dscnt 0x0
	s_barrier_signal -1
	s_barrier_wait -1
	global_inv scope:SCOPE_SE
	s_and_saveexec_b32 s15, s19
	s_cbranch_execnz .LBB325_643
; %bb.607:                              ;   in Loop: Header=BB325_566 Depth=2
	s_wait_alu 0xfffe
	s_or_b32 exec_lo, exec_lo, s15
	v_cmp_lt_u32_e64 s21, v29, v2
	s_and_saveexec_b32 s15, s21
	s_cbranch_execnz .LBB325_644
.LBB325_608:                            ;   in Loop: Header=BB325_566 Depth=2
	s_wait_alu 0xfffe
	s_or_b32 exec_lo, exec_lo, s15
	v_cmp_lt_u32_e64 s20, v30, v2
	s_and_saveexec_b32 s15, s20
	s_cbranch_execnz .LBB325_645
.LBB325_609:                            ;   in Loop: Header=BB325_566 Depth=2
	s_wait_alu 0xfffe
	s_or_b32 exec_lo, exec_lo, s15
	v_cmp_lt_u32_e64 s18, v31, v2
	s_and_saveexec_b32 s15, s18
	s_cbranch_execnz .LBB325_646
.LBB325_610:                            ;   in Loop: Header=BB325_566 Depth=2
	s_wait_alu 0xfffe
	s_or_b32 exec_lo, exec_lo, s15
	v_cmp_lt_u32_e64 s17, v34, v2
	s_and_saveexec_b32 s15, s17
	s_cbranch_execnz .LBB325_647
.LBB325_611:                            ;   in Loop: Header=BB325_566 Depth=2
	s_wait_alu 0xfffe
	s_or_b32 exec_lo, exec_lo, s15
	v_cmp_lt_u32_e64 s16, v35, v2
	s_and_saveexec_b32 s15, s16
	s_cbranch_execnz .LBB325_648
.LBB325_612:                            ;   in Loop: Header=BB325_566 Depth=2
	s_wait_alu 0xfffe
	s_or_b32 exec_lo, exec_lo, s15
	v_cmp_lt_u32_e64 s15, v36, v2
	s_and_saveexec_b32 s44, s15
	s_cbranch_execnz .LBB325_649
.LBB325_613:                            ;   in Loop: Header=BB325_566 Depth=2
	s_wait_alu 0xfffe
	s_or_b32 exec_lo, exec_lo, s44
	v_cmp_lt_u32_e32 vcc_lo, v37, v2
	s_and_saveexec_b32 s44, vcc_lo
	s_cbranch_execz .LBB325_615
.LBB325_614:                            ;   in Loop: Header=BB325_566 Depth=2
	ds_load_u8 v20, v1 offset:2816
	s_wait_dscnt 0x0
	v_and_b32_e32 v21, 0xff, v20
	v_xor_b32_e32 v20, 0x7f, v20
	s_delay_alu instid0(VALU_DEP_2) | instskip(NEXT) | instid1(VALU_DEP_1)
	v_lshrrev_b32_e32 v21, s45, v21
	v_and_b32_e32 v21, s31, v21
	s_delay_alu instid0(VALU_DEP_1)
	v_lshlrev_b32_e32 v21, 2, v21
	ds_load_b32 v21, v21
	s_wait_dscnt 0x0
	v_add_nc_u32_e32 v21, v21, v37
	global_store_b8 v21, v20, s[40:41]
.LBB325_615:                            ;   in Loop: Header=BB325_566 Depth=2
	s_wait_alu 0xfffe
	s_or_b32 exec_lo, exec_lo, s44
	s_lshl_b64 s[48:49], s[22:23], 3
	s_wait_alu 0xfffe
	v_add_co_u32 v20, s22, v81, s48
	s_wait_alu 0xf1ff
	v_add_co_ci_u32_e64 v21, null, s49, v82, s22
	v_cmp_lt_u32_e64 s22, v68, v2
	s_and_saveexec_b32 s44, s22
	s_wait_alu 0xfffe
	s_xor_b32 s22, exec_lo, s44
	s_cbranch_execnz .LBB325_650
; %bb.616:                              ;   in Loop: Header=BB325_566 Depth=2
	s_wait_alu 0xfffe
	s_or_b32 exec_lo, exec_lo, s22
	s_delay_alu instid0(SALU_CYCLE_1)
	s_mov_b32 s44, exec_lo
	v_cmpx_lt_u32_e64 v71, v2
	s_cbranch_execnz .LBB325_651
.LBB325_617:                            ;   in Loop: Header=BB325_566 Depth=2
	s_wait_alu 0xfffe
	s_or_b32 exec_lo, exec_lo, s44
	s_delay_alu instid0(SALU_CYCLE_1)
	s_mov_b32 s44, exec_lo
	v_cmpx_lt_u32_e64 v72, v2
	s_cbranch_execnz .LBB325_652
.LBB325_618:                            ;   in Loop: Header=BB325_566 Depth=2
	s_wait_alu 0xfffe
	s_or_b32 exec_lo, exec_lo, s44
	s_delay_alu instid0(SALU_CYCLE_1)
	s_mov_b32 s44, exec_lo
	v_cmpx_lt_u32_e64 v73, v2
	s_cbranch_execnz .LBB325_653
.LBB325_619:                            ;   in Loop: Header=BB325_566 Depth=2
	s_wait_alu 0xfffe
	s_or_b32 exec_lo, exec_lo, s44
	s_delay_alu instid0(SALU_CYCLE_1)
	s_mov_b32 s44, exec_lo
	v_cmpx_lt_u32_e64 v74, v2
	s_cbranch_execnz .LBB325_654
.LBB325_620:                            ;   in Loop: Header=BB325_566 Depth=2
	s_wait_alu 0xfffe
	s_or_b32 exec_lo, exec_lo, s44
	s_delay_alu instid0(SALU_CYCLE_1)
	s_mov_b32 s44, exec_lo
	v_cmpx_lt_u32_e64 v75, v2
	s_cbranch_execnz .LBB325_655
.LBB325_621:                            ;   in Loop: Header=BB325_566 Depth=2
	s_wait_alu 0xfffe
	s_or_b32 exec_lo, exec_lo, s44
	s_delay_alu instid0(SALU_CYCLE_1)
	s_mov_b32 s44, exec_lo
	v_cmpx_lt_u32_e64 v76, v2
	s_cbranch_execnz .LBB325_656
.LBB325_622:                            ;   in Loop: Header=BB325_566 Depth=2
	s_wait_alu 0xfffe
	s_or_b32 exec_lo, exec_lo, s44
	s_delay_alu instid0(SALU_CYCLE_1)
	s_mov_b32 s44, exec_lo
	v_cmpx_lt_u32_e64 v77, v2
	s_cbranch_execnz .LBB325_657
.LBB325_623:                            ;   in Loop: Header=BB325_566 Depth=2
	s_wait_alu 0xfffe
	s_or_b32 exec_lo, exec_lo, s44
	s_and_saveexec_b32 s22, s19
	s_cbranch_execnz .LBB325_658
.LBB325_624:                            ;   in Loop: Header=BB325_566 Depth=2
	s_wait_alu 0xfffe
	s_or_b32 exec_lo, exec_lo, s22
	s_and_saveexec_b32 s22, s21
	s_cbranch_execnz .LBB325_659
.LBB325_625:                            ;   in Loop: Header=BB325_566 Depth=2
	s_wait_alu 0xfffe
	s_or_b32 exec_lo, exec_lo, s22
	s_and_saveexec_b32 s22, s20
	s_cbranch_execnz .LBB325_660
.LBB325_626:                            ;   in Loop: Header=BB325_566 Depth=2
	s_wait_alu 0xfffe
	s_or_b32 exec_lo, exec_lo, s22
	s_and_saveexec_b32 s22, s18
	s_cbranch_execnz .LBB325_661
.LBB325_627:                            ;   in Loop: Header=BB325_566 Depth=2
	s_wait_alu 0xfffe
	s_or_b32 exec_lo, exec_lo, s22
	s_and_saveexec_b32 s22, s17
	s_cbranch_execnz .LBB325_662
.LBB325_628:                            ;   in Loop: Header=BB325_566 Depth=2
	s_wait_alu 0xfffe
	s_or_b32 exec_lo, exec_lo, s22
	s_and_saveexec_b32 s22, s16
	s_cbranch_execnz .LBB325_663
.LBB325_629:                            ;   in Loop: Header=BB325_566 Depth=2
	s_wait_alu 0xfffe
	s_or_b32 exec_lo, exec_lo, s22
	s_and_saveexec_b32 s22, s15
	s_cbranch_execnz .LBB325_664
.LBB325_630:                            ;   in Loop: Header=BB325_566 Depth=2
	s_wait_alu 0xfffe
	s_or_b32 exec_lo, exec_lo, s22
	s_and_saveexec_b32 s22, vcc_lo
	s_cbranch_execz .LBB325_632
.LBB325_631:                            ;   in Loop: Header=BB325_566 Depth=2
	ds_load_u8 v2, v1 offset:2816
	s_wait_dscnt 0x0
	v_lshrrev_b32_e32 v2, s45, v2
	s_delay_alu instid0(VALU_DEP_1)
	v_and_b32_e32 v86, s31, v2
.LBB325_632:                            ;   in Loop: Header=BB325_566 Depth=2
	s_wait_alu 0xfffe
	s_or_b32 exec_lo, exec_lo, s22
	v_lshlrev_b32_e32 v2, 3, v98
	v_lshlrev_b32_e32 v20, 3, v97
	;; [unrolled: 1-line block ×3, first 2 shown]
	s_wait_loadcnt 0x0
	s_wait_storecnt 0x0
	s_barrier_signal -1
	s_barrier_wait -1
	global_inv scope:SCOPE_SE
	ds_store_b64 v2, v[18:19] offset:1024
	ds_store_b64 v20, v[16:17] offset:1024
	;; [unrolled: 1-line block ×3, first 2 shown]
	v_lshlrev_b32_e32 v2, 3, v27
	v_lshlrev_b32_e32 v20, 3, v26
	;; [unrolled: 1-line block ×5, first 2 shown]
	ds_store_b64 v2, v[12:13] offset:1024
	ds_store_b64 v20, v[10:11] offset:1024
	ds_store_b64 v21, v[8:9] offset:1024
	ds_store_b64 v24, v[6:7] offset:1024
	ds_store_b64 v23, v[4:5] offset:1024
	v_add_nc_u32_e32 v20, v1, v47
	s_wait_loadcnt_dscnt 0x0
	s_barrier_signal -1
	s_barrier_wait -1
	global_inv scope:SCOPE_SE
	s_and_saveexec_b32 s22, s19
	s_cbranch_execnz .LBB325_665
; %bb.633:                              ;   in Loop: Header=BB325_566 Depth=2
	s_wait_alu 0xfffe
	s_or_b32 exec_lo, exec_lo, s22
	s_and_saveexec_b32 s22, s21
	s_cbranch_execnz .LBB325_666
.LBB325_634:                            ;   in Loop: Header=BB325_566 Depth=2
	s_wait_alu 0xfffe
	s_or_b32 exec_lo, exec_lo, s22
	s_and_saveexec_b32 s21, s20
	s_cbranch_execnz .LBB325_667
.LBB325_635:                            ;   in Loop: Header=BB325_566 Depth=2
	s_wait_alu 0xfffe
	s_or_b32 exec_lo, exec_lo, s21
	s_and_saveexec_b32 s19, s18
	s_cbranch_execnz .LBB325_668
.LBB325_636:                            ;   in Loop: Header=BB325_566 Depth=2
	s_wait_alu 0xfffe
	s_or_b32 exec_lo, exec_lo, s19
	s_and_saveexec_b32 s18, s17
	s_cbranch_execnz .LBB325_669
.LBB325_637:                            ;   in Loop: Header=BB325_566 Depth=2
	s_wait_alu 0xfffe
	s_or_b32 exec_lo, exec_lo, s18
	s_and_saveexec_b32 s17, s16
	s_cbranch_execnz .LBB325_670
.LBB325_638:                            ;   in Loop: Header=BB325_566 Depth=2
	s_wait_alu 0xfffe
	s_or_b32 exec_lo, exec_lo, s17
	s_and_saveexec_b32 s16, s15
	s_cbranch_execnz .LBB325_671
.LBB325_639:                            ;   in Loop: Header=BB325_566 Depth=2
	s_wait_alu 0xfffe
	s_or_b32 exec_lo, exec_lo, s16
	s_and_saveexec_b32 s15, vcc_lo
	s_cbranch_execz .LBB325_641
.LBB325_640:                            ;   in Loop: Header=BB325_566 Depth=2
	v_lshlrev_b32_e32 v2, 2, v86
	ds_load_b32 v2, v2
	ds_load_b64 v[20:21], v20 offset:15360
	s_wait_dscnt 0x1
	v_add_nc_u32_e32 v2, v2, v37
	s_delay_alu instid0(VALU_DEP_1) | instskip(NEXT) | instid1(VALU_DEP_1)
	v_lshlrev_b64_e32 v[23:24], 3, v[2:3]
	v_add_co_u32 v23, vcc_lo, s26, v23
	s_wait_alu 0xfffd
	s_delay_alu instid0(VALU_DEP_2)
	v_add_co_ci_u32_e64 v24, null, s27, v24, vcc_lo
	s_wait_dscnt 0x0
	global_store_b64 v[23:24], v[20:21], off
.LBB325_641:                            ;   in Loop: Header=BB325_566 Depth=2
	s_wait_alu 0xfffe
	s_or_b32 exec_lo, exec_lo, s15
	s_wait_loadcnt 0x0
	s_wait_storecnt 0x0
	s_barrier_signal -1
	s_barrier_wait -1
	global_inv scope:SCOPE_SE
	s_and_saveexec_b32 s15, s2
	s_cbranch_execz .LBB325_565
; %bb.642:                              ;   in Loop: Header=BB325_566 Depth=2
	ds_load_b32 v2, v28
	s_wait_dscnt 0x0
	v_add_nc_u32_e32 v2, v2, v22
	ds_store_b32 v28, v2
	s_branch .LBB325_565
.LBB325_643:                            ;   in Loop: Header=BB325_566 Depth=2
	ds_load_u8 v20, v1 offset:1024
	s_wait_dscnt 0x0
	v_and_b32_e32 v21, 0xff, v20
	v_xor_b32_e32 v20, 0x7f, v20
	s_delay_alu instid0(VALU_DEP_2) | instskip(NEXT) | instid1(VALU_DEP_1)
	v_lshrrev_b32_e32 v21, s45, v21
	v_and_b32_e32 v21, s31, v21
	s_delay_alu instid0(VALU_DEP_1)
	v_lshlrev_b32_e32 v21, 2, v21
	ds_load_b32 v21, v21
	s_wait_dscnt 0x0
	v_add_nc_u32_e32 v21, v21, v1
	global_store_b8 v21, v20, s[40:41]
	s_wait_alu 0xfffe
	s_or_b32 exec_lo, exec_lo, s15
	v_cmp_lt_u32_e64 s21, v29, v2
	s_and_saveexec_b32 s15, s21
	s_cbranch_execz .LBB325_608
.LBB325_644:                            ;   in Loop: Header=BB325_566 Depth=2
	ds_load_u8 v20, v1 offset:1280
	s_wait_dscnt 0x0
	v_and_b32_e32 v21, 0xff, v20
	v_xor_b32_e32 v20, 0x7f, v20
	s_delay_alu instid0(VALU_DEP_2) | instskip(NEXT) | instid1(VALU_DEP_1)
	v_lshrrev_b32_e32 v21, s45, v21
	v_and_b32_e32 v21, s31, v21
	s_delay_alu instid0(VALU_DEP_1)
	v_lshlrev_b32_e32 v21, 2, v21
	ds_load_b32 v21, v21
	s_wait_dscnt 0x0
	v_add_nc_u32_e32 v21, v21, v29
	global_store_b8 v21, v20, s[40:41]
	s_wait_alu 0xfffe
	s_or_b32 exec_lo, exec_lo, s15
	v_cmp_lt_u32_e64 s20, v30, v2
	s_and_saveexec_b32 s15, s20
	s_cbranch_execz .LBB325_609
.LBB325_645:                            ;   in Loop: Header=BB325_566 Depth=2
	ds_load_u8 v20, v1 offset:1536
	s_wait_dscnt 0x0
	v_and_b32_e32 v21, 0xff, v20
	v_xor_b32_e32 v20, 0x7f, v20
	s_delay_alu instid0(VALU_DEP_2) | instskip(NEXT) | instid1(VALU_DEP_1)
	v_lshrrev_b32_e32 v21, s45, v21
	v_and_b32_e32 v21, s31, v21
	s_delay_alu instid0(VALU_DEP_1)
	v_lshlrev_b32_e32 v21, 2, v21
	ds_load_b32 v21, v21
	s_wait_dscnt 0x0
	v_add_nc_u32_e32 v21, v21, v30
	global_store_b8 v21, v20, s[40:41]
	s_wait_alu 0xfffe
	s_or_b32 exec_lo, exec_lo, s15
	v_cmp_lt_u32_e64 s18, v31, v2
	s_and_saveexec_b32 s15, s18
	s_cbranch_execz .LBB325_610
.LBB325_646:                            ;   in Loop: Header=BB325_566 Depth=2
	ds_load_u8 v20, v1 offset:1792
	s_wait_dscnt 0x0
	v_and_b32_e32 v21, 0xff, v20
	v_xor_b32_e32 v20, 0x7f, v20
	s_delay_alu instid0(VALU_DEP_2) | instskip(NEXT) | instid1(VALU_DEP_1)
	v_lshrrev_b32_e32 v21, s45, v21
	v_and_b32_e32 v21, s31, v21
	s_delay_alu instid0(VALU_DEP_1)
	v_lshlrev_b32_e32 v21, 2, v21
	ds_load_b32 v21, v21
	s_wait_dscnt 0x0
	v_add_nc_u32_e32 v21, v21, v31
	global_store_b8 v21, v20, s[40:41]
	s_wait_alu 0xfffe
	s_or_b32 exec_lo, exec_lo, s15
	v_cmp_lt_u32_e64 s17, v34, v2
	s_and_saveexec_b32 s15, s17
	s_cbranch_execz .LBB325_611
.LBB325_647:                            ;   in Loop: Header=BB325_566 Depth=2
	ds_load_u8 v20, v1 offset:2048
	s_wait_dscnt 0x0
	v_and_b32_e32 v21, 0xff, v20
	v_xor_b32_e32 v20, 0x7f, v20
	s_delay_alu instid0(VALU_DEP_2) | instskip(NEXT) | instid1(VALU_DEP_1)
	v_lshrrev_b32_e32 v21, s45, v21
	v_and_b32_e32 v21, s31, v21
	s_delay_alu instid0(VALU_DEP_1)
	v_lshlrev_b32_e32 v21, 2, v21
	ds_load_b32 v21, v21
	s_wait_dscnt 0x0
	v_add_nc_u32_e32 v21, v21, v34
	global_store_b8 v21, v20, s[40:41]
	s_wait_alu 0xfffe
	s_or_b32 exec_lo, exec_lo, s15
	v_cmp_lt_u32_e64 s16, v35, v2
	s_and_saveexec_b32 s15, s16
	s_cbranch_execz .LBB325_612
.LBB325_648:                            ;   in Loop: Header=BB325_566 Depth=2
	ds_load_u8 v20, v1 offset:2304
	s_wait_dscnt 0x0
	v_and_b32_e32 v21, 0xff, v20
	v_xor_b32_e32 v20, 0x7f, v20
	s_delay_alu instid0(VALU_DEP_2) | instskip(NEXT) | instid1(VALU_DEP_1)
	v_lshrrev_b32_e32 v21, s45, v21
	v_and_b32_e32 v21, s31, v21
	s_delay_alu instid0(VALU_DEP_1)
	v_lshlrev_b32_e32 v21, 2, v21
	ds_load_b32 v21, v21
	s_wait_dscnt 0x0
	v_add_nc_u32_e32 v21, v21, v35
	global_store_b8 v21, v20, s[40:41]
	s_wait_alu 0xfffe
	s_or_b32 exec_lo, exec_lo, s15
	v_cmp_lt_u32_e64 s15, v36, v2
	s_and_saveexec_b32 s44, s15
	s_cbranch_execz .LBB325_613
.LBB325_649:                            ;   in Loop: Header=BB325_566 Depth=2
	ds_load_u8 v20, v1 offset:2560
	s_wait_dscnt 0x0
	v_and_b32_e32 v21, 0xff, v20
	v_xor_b32_e32 v20, 0x7f, v20
	s_delay_alu instid0(VALU_DEP_2) | instskip(NEXT) | instid1(VALU_DEP_1)
	v_lshrrev_b32_e32 v21, s45, v21
	v_and_b32_e32 v21, s31, v21
	s_delay_alu instid0(VALU_DEP_1)
	v_lshlrev_b32_e32 v21, 2, v21
	ds_load_b32 v21, v21
	s_wait_dscnt 0x0
	v_add_nc_u32_e32 v21, v21, v36
	global_store_b8 v21, v20, s[40:41]
	s_wait_alu 0xfffe
	s_or_b32 exec_lo, exec_lo, s44
	v_cmp_lt_u32_e32 vcc_lo, v37, v2
	s_and_saveexec_b32 s44, vcc_lo
	s_cbranch_execnz .LBB325_614
	s_branch .LBB325_615
.LBB325_650:                            ;   in Loop: Header=BB325_566 Depth=2
	global_load_b64 v[18:19], v[20:21], off
	s_wait_alu 0xfffe
	s_or_b32 exec_lo, exec_lo, s22
	s_delay_alu instid0(SALU_CYCLE_1)
	s_mov_b32 s44, exec_lo
	v_cmpx_lt_u32_e64 v71, v2
	s_cbranch_execz .LBB325_617
.LBB325_651:                            ;   in Loop: Header=BB325_566 Depth=2
	global_load_b64 v[16:17], v[20:21], off offset:256
	s_wait_alu 0xfffe
	s_or_b32 exec_lo, exec_lo, s44
	s_delay_alu instid0(SALU_CYCLE_1)
	s_mov_b32 s44, exec_lo
	v_cmpx_lt_u32_e64 v72, v2
	s_cbranch_execz .LBB325_618
.LBB325_652:                            ;   in Loop: Header=BB325_566 Depth=2
	global_load_b64 v[14:15], v[20:21], off offset:512
	s_wait_alu 0xfffe
	s_or_b32 exec_lo, exec_lo, s44
	s_delay_alu instid0(SALU_CYCLE_1)
	s_mov_b32 s44, exec_lo
	v_cmpx_lt_u32_e64 v73, v2
	s_cbranch_execz .LBB325_619
.LBB325_653:                            ;   in Loop: Header=BB325_566 Depth=2
	global_load_b64 v[12:13], v[20:21], off offset:768
	s_wait_alu 0xfffe
	s_or_b32 exec_lo, exec_lo, s44
	s_delay_alu instid0(SALU_CYCLE_1)
	s_mov_b32 s44, exec_lo
	v_cmpx_lt_u32_e64 v74, v2
	s_cbranch_execz .LBB325_620
.LBB325_654:                            ;   in Loop: Header=BB325_566 Depth=2
	global_load_b64 v[10:11], v[20:21], off offset:1024
	s_wait_alu 0xfffe
	s_or_b32 exec_lo, exec_lo, s44
	s_delay_alu instid0(SALU_CYCLE_1)
	s_mov_b32 s44, exec_lo
	v_cmpx_lt_u32_e64 v75, v2
	s_cbranch_execz .LBB325_621
.LBB325_655:                            ;   in Loop: Header=BB325_566 Depth=2
	global_load_b64 v[8:9], v[20:21], off offset:1280
	s_wait_alu 0xfffe
	s_or_b32 exec_lo, exec_lo, s44
	s_delay_alu instid0(SALU_CYCLE_1)
	s_mov_b32 s44, exec_lo
	v_cmpx_lt_u32_e64 v76, v2
	s_cbranch_execz .LBB325_622
.LBB325_656:                            ;   in Loop: Header=BB325_566 Depth=2
	global_load_b64 v[6:7], v[20:21], off offset:1536
	s_wait_alu 0xfffe
	s_or_b32 exec_lo, exec_lo, s44
	s_delay_alu instid0(SALU_CYCLE_1)
	s_mov_b32 s44, exec_lo
	v_cmpx_lt_u32_e64 v77, v2
	s_cbranch_execz .LBB325_623
.LBB325_657:                            ;   in Loop: Header=BB325_566 Depth=2
	global_load_b64 v[4:5], v[20:21], off offset:1792
	s_wait_alu 0xfffe
	s_or_b32 exec_lo, exec_lo, s44
	s_and_saveexec_b32 s22, s19
	s_cbranch_execz .LBB325_624
.LBB325_658:                            ;   in Loop: Header=BB325_566 Depth=2
	ds_load_u8 v2, v1 offset:1024
	s_wait_dscnt 0x0
	v_lshrrev_b32_e32 v2, s45, v2
	s_delay_alu instid0(VALU_DEP_1)
	v_and_b32_e32 v93, s31, v2
	s_wait_alu 0xfffe
	s_or_b32 exec_lo, exec_lo, s22
	s_and_saveexec_b32 s22, s21
	s_cbranch_execz .LBB325_625
.LBB325_659:                            ;   in Loop: Header=BB325_566 Depth=2
	ds_load_u8 v2, v1 offset:1280
	s_wait_dscnt 0x0
	v_lshrrev_b32_e32 v2, s45, v2
	s_delay_alu instid0(VALU_DEP_1)
	v_and_b32_e32 v92, s31, v2
	s_wait_alu 0xfffe
	s_or_b32 exec_lo, exec_lo, s22
	s_and_saveexec_b32 s22, s20
	s_cbranch_execz .LBB325_626
.LBB325_660:                            ;   in Loop: Header=BB325_566 Depth=2
	ds_load_u8 v2, v1 offset:1536
	s_wait_dscnt 0x0
	v_lshrrev_b32_e32 v2, s45, v2
	s_delay_alu instid0(VALU_DEP_1)
	v_and_b32_e32 v91, s31, v2
	s_wait_alu 0xfffe
	s_or_b32 exec_lo, exec_lo, s22
	s_and_saveexec_b32 s22, s18
	s_cbranch_execz .LBB325_627
.LBB325_661:                            ;   in Loop: Header=BB325_566 Depth=2
	ds_load_u8 v2, v1 offset:1792
	s_wait_dscnt 0x0
	v_lshrrev_b32_e32 v2, s45, v2
	s_delay_alu instid0(VALU_DEP_1)
	v_and_b32_e32 v90, s31, v2
	s_wait_alu 0xfffe
	s_or_b32 exec_lo, exec_lo, s22
	s_and_saveexec_b32 s22, s17
	s_cbranch_execz .LBB325_628
.LBB325_662:                            ;   in Loop: Header=BB325_566 Depth=2
	ds_load_u8 v2, v1 offset:2048
	s_wait_dscnt 0x0
	v_lshrrev_b32_e32 v2, s45, v2
	s_delay_alu instid0(VALU_DEP_1)
	v_and_b32_e32 v89, s31, v2
	s_wait_alu 0xfffe
	s_or_b32 exec_lo, exec_lo, s22
	s_and_saveexec_b32 s22, s16
	s_cbranch_execz .LBB325_629
.LBB325_663:                            ;   in Loop: Header=BB325_566 Depth=2
	ds_load_u8 v2, v1 offset:2304
	s_wait_dscnt 0x0
	v_lshrrev_b32_e32 v2, s45, v2
	s_delay_alu instid0(VALU_DEP_1)
	v_and_b32_e32 v88, s31, v2
	s_wait_alu 0xfffe
	s_or_b32 exec_lo, exec_lo, s22
	s_and_saveexec_b32 s22, s15
	s_cbranch_execz .LBB325_630
.LBB325_664:                            ;   in Loop: Header=BB325_566 Depth=2
	ds_load_u8 v2, v1 offset:2560
	s_wait_dscnt 0x0
	v_lshrrev_b32_e32 v2, s45, v2
	s_delay_alu instid0(VALU_DEP_1)
	v_and_b32_e32 v87, s31, v2
	s_wait_alu 0xfffe
	s_or_b32 exec_lo, exec_lo, s22
	s_and_saveexec_b32 s22, vcc_lo
	s_cbranch_execnz .LBB325_631
	s_branch .LBB325_632
.LBB325_665:                            ;   in Loop: Header=BB325_566 Depth=2
	v_lshlrev_b32_e32 v2, 2, v93
	ds_load_b32 v2, v2
	ds_load_b64 v[23:24], v20 offset:1024
	s_wait_dscnt 0x1
	v_add_nc_u32_e32 v2, v2, v1
	s_delay_alu instid0(VALU_DEP_1) | instskip(NEXT) | instid1(VALU_DEP_1)
	v_lshlrev_b64_e32 v[25:26], 3, v[2:3]
	v_add_co_u32 v25, s19, s26, v25
	s_wait_alu 0xf1ff
	s_delay_alu instid0(VALU_DEP_2)
	v_add_co_ci_u32_e64 v26, null, s27, v26, s19
	s_wait_dscnt 0x0
	global_store_b64 v[25:26], v[23:24], off
	s_wait_alu 0xfffe
	s_or_b32 exec_lo, exec_lo, s22
	s_and_saveexec_b32 s22, s21
	s_cbranch_execz .LBB325_634
.LBB325_666:                            ;   in Loop: Header=BB325_566 Depth=2
	v_lshlrev_b32_e32 v2, 2, v92
	ds_load_b32 v2, v2
	ds_load_b64 v[23:24], v20 offset:3072
	s_wait_dscnt 0x1
	v_add_nc_u32_e32 v2, v2, v29
	s_delay_alu instid0(VALU_DEP_1) | instskip(NEXT) | instid1(VALU_DEP_1)
	v_lshlrev_b64_e32 v[25:26], 3, v[2:3]
	v_add_co_u32 v25, s19, s26, v25
	s_wait_alu 0xf1ff
	s_delay_alu instid0(VALU_DEP_2)
	v_add_co_ci_u32_e64 v26, null, s27, v26, s19
	s_wait_dscnt 0x0
	global_store_b64 v[25:26], v[23:24], off
	s_wait_alu 0xfffe
	s_or_b32 exec_lo, exec_lo, s22
	s_and_saveexec_b32 s21, s20
	s_cbranch_execz .LBB325_635
.LBB325_667:                            ;   in Loop: Header=BB325_566 Depth=2
	v_lshlrev_b32_e32 v2, 2, v91
	ds_load_b32 v2, v2
	ds_load_b64 v[23:24], v20 offset:5120
	s_wait_dscnt 0x1
	v_add_nc_u32_e32 v2, v2, v30
	s_delay_alu instid0(VALU_DEP_1) | instskip(NEXT) | instid1(VALU_DEP_1)
	v_lshlrev_b64_e32 v[25:26], 3, v[2:3]
	v_add_co_u32 v25, s19, s26, v25
	s_wait_alu 0xf1ff
	s_delay_alu instid0(VALU_DEP_2)
	v_add_co_ci_u32_e64 v26, null, s27, v26, s19
	s_wait_dscnt 0x0
	global_store_b64 v[25:26], v[23:24], off
	s_wait_alu 0xfffe
	s_or_b32 exec_lo, exec_lo, s21
	s_and_saveexec_b32 s19, s18
	s_cbranch_execz .LBB325_636
.LBB325_668:                            ;   in Loop: Header=BB325_566 Depth=2
	v_lshlrev_b32_e32 v2, 2, v90
	ds_load_b32 v2, v2
	ds_load_b64 v[23:24], v20 offset:7168
	s_wait_dscnt 0x1
	v_add_nc_u32_e32 v2, v2, v31
	s_delay_alu instid0(VALU_DEP_1) | instskip(NEXT) | instid1(VALU_DEP_1)
	v_lshlrev_b64_e32 v[25:26], 3, v[2:3]
	v_add_co_u32 v25, s18, s26, v25
	s_wait_alu 0xf1ff
	s_delay_alu instid0(VALU_DEP_2)
	v_add_co_ci_u32_e64 v26, null, s27, v26, s18
	s_wait_dscnt 0x0
	global_store_b64 v[25:26], v[23:24], off
	s_wait_alu 0xfffe
	s_or_b32 exec_lo, exec_lo, s19
	s_and_saveexec_b32 s18, s17
	s_cbranch_execz .LBB325_637
.LBB325_669:                            ;   in Loop: Header=BB325_566 Depth=2
	v_lshlrev_b32_e32 v2, 2, v89
	ds_load_b32 v2, v2
	ds_load_b64 v[23:24], v20 offset:9216
	s_wait_dscnt 0x1
	v_add_nc_u32_e32 v2, v2, v34
	s_delay_alu instid0(VALU_DEP_1) | instskip(NEXT) | instid1(VALU_DEP_1)
	v_lshlrev_b64_e32 v[25:26], 3, v[2:3]
	v_add_co_u32 v25, s17, s26, v25
	s_wait_alu 0xf1ff
	s_delay_alu instid0(VALU_DEP_2)
	v_add_co_ci_u32_e64 v26, null, s27, v26, s17
	s_wait_dscnt 0x0
	global_store_b64 v[25:26], v[23:24], off
	s_wait_alu 0xfffe
	s_or_b32 exec_lo, exec_lo, s18
	s_and_saveexec_b32 s17, s16
	s_cbranch_execz .LBB325_638
.LBB325_670:                            ;   in Loop: Header=BB325_566 Depth=2
	v_lshlrev_b32_e32 v2, 2, v88
	ds_load_b32 v2, v2
	ds_load_b64 v[23:24], v20 offset:11264
	s_wait_dscnt 0x1
	v_add_nc_u32_e32 v2, v2, v35
	s_delay_alu instid0(VALU_DEP_1) | instskip(NEXT) | instid1(VALU_DEP_1)
	v_lshlrev_b64_e32 v[25:26], 3, v[2:3]
	v_add_co_u32 v25, s16, s26, v25
	s_wait_alu 0xf1ff
	s_delay_alu instid0(VALU_DEP_2)
	v_add_co_ci_u32_e64 v26, null, s27, v26, s16
	s_wait_dscnt 0x0
	global_store_b64 v[25:26], v[23:24], off
	s_wait_alu 0xfffe
	s_or_b32 exec_lo, exec_lo, s17
	s_and_saveexec_b32 s16, s15
	s_cbranch_execz .LBB325_639
.LBB325_671:                            ;   in Loop: Header=BB325_566 Depth=2
	v_lshlrev_b32_e32 v2, 2, v87
	ds_load_b32 v2, v2
	ds_load_b64 v[23:24], v20 offset:13312
	s_wait_dscnt 0x1
	v_add_nc_u32_e32 v2, v2, v36
	s_delay_alu instid0(VALU_DEP_1) | instskip(NEXT) | instid1(VALU_DEP_1)
	v_lshlrev_b64_e32 v[25:26], 3, v[2:3]
	v_add_co_u32 v25, s15, s26, v25
	s_wait_alu 0xf1ff
	s_delay_alu instid0(VALU_DEP_2)
	v_add_co_ci_u32_e64 v26, null, s27, v26, s15
	s_wait_dscnt 0x0
	global_store_b64 v[25:26], v[23:24], off
	s_wait_alu 0xfffe
	s_or_b32 exec_lo, exec_lo, s16
	s_and_saveexec_b32 s15, vcc_lo
	s_cbranch_execnz .LBB325_640
	s_branch .LBB325_641
.LBB325_672:                            ;   in Loop: Header=BB325_566 Depth=2
	global_load_u8 v94, v[20:21], off
	v_dual_mov_b32 v22, 0x80 :: v_dual_mov_b32 v27, 0x80
	v_dual_mov_b32 v96, 0x80 :: v_dual_mov_b32 v25, 0x80
	v_dual_mov_b32 v26, 0x80 :: v_dual_mov_b32 v23, 0x80
	v_mov_b32_e32 v24, 0x80
	s_wait_alu 0xfffe
	s_or_b32 exec_lo, exec_lo, s15
	s_delay_alu instid0(SALU_CYCLE_1)
	s_mov_b32 s15, exec_lo
	v_cmpx_gt_u32_e64 s42, v71
	s_cbranch_execz .LBB325_571
.LBB325_673:                            ;   in Loop: Header=BB325_566 Depth=2
	global_load_u8 v96, v[20:21], off offset:32
	s_wait_alu 0xfffe
	s_or_b32 exec_lo, exec_lo, s15
	s_delay_alu instid0(SALU_CYCLE_1)
	s_mov_b32 s15, exec_lo
	v_cmpx_gt_u32_e64 s42, v72
	s_cbranch_execz .LBB325_572
.LBB325_674:                            ;   in Loop: Header=BB325_566 Depth=2
	global_load_u8 v27, v[20:21], off offset:64
	s_wait_alu 0xfffe
	s_or_b32 exec_lo, exec_lo, s15
	s_delay_alu instid0(SALU_CYCLE_1)
	s_mov_b32 s15, exec_lo
	v_cmpx_gt_u32_e64 s42, v73
	s_cbranch_execz .LBB325_573
.LBB325_675:                            ;   in Loop: Header=BB325_566 Depth=2
	global_load_u8 v26, v[20:21], off offset:96
	s_wait_alu 0xfffe
	s_or_b32 exec_lo, exec_lo, s15
	s_delay_alu instid0(SALU_CYCLE_1)
	s_mov_b32 s15, exec_lo
	v_cmpx_gt_u32_e64 s42, v74
	s_cbranch_execz .LBB325_574
.LBB325_676:                            ;   in Loop: Header=BB325_566 Depth=2
	global_load_u8 v25, v[20:21], off offset:128
	s_wait_alu 0xfffe
	s_or_b32 exec_lo, exec_lo, s15
	s_delay_alu instid0(SALU_CYCLE_1)
	s_mov_b32 s15, exec_lo
	v_cmpx_gt_u32_e64 s42, v75
	s_cbranch_execz .LBB325_575
.LBB325_677:                            ;   in Loop: Header=BB325_566 Depth=2
	global_load_u8 v24, v[20:21], off offset:160
	s_wait_alu 0xfffe
	s_or_b32 exec_lo, exec_lo, s15
	s_delay_alu instid0(SALU_CYCLE_1)
	s_mov_b32 s15, exec_lo
	v_cmpx_gt_u32_e64 s42, v76
	s_cbranch_execnz .LBB325_576
	s_branch .LBB325_577
.LBB325_678:
	s_endpgm
	.section	.rodata,"a",@progbits
	.p2align	6, 0x0
	.amdhsa_kernel _ZN7rocprim17ROCPRIM_400000_NS6detail17trampoline_kernelINS0_14default_configENS1_36segmented_radix_sort_config_selectorIalEEZNS1_25segmented_radix_sort_implIS3_Lb1EPKaPaPKlPlN2at6native12_GLOBAL__N_18offset_tEEE10hipError_tPvRmT1_PNSt15iterator_traitsISK_E10value_typeET2_T3_PNSL_ISQ_E10value_typeET4_jRbjT5_SW_jjP12ihipStream_tbEUlT_E2_NS1_11comp_targetILNS1_3genE10ELNS1_11target_archE1201ELNS1_3gpuE5ELNS1_3repE0EEENS1_30default_config_static_selectorELNS0_4arch9wavefront6targetE0EEEvSK_
		.amdhsa_group_segment_fixed_size 17440
		.amdhsa_private_segment_fixed_size 0
		.amdhsa_kernarg_size 336
		.amdhsa_user_sgpr_count 2
		.amdhsa_user_sgpr_dispatch_ptr 0
		.amdhsa_user_sgpr_queue_ptr 0
		.amdhsa_user_sgpr_kernarg_segment_ptr 1
		.amdhsa_user_sgpr_dispatch_id 0
		.amdhsa_user_sgpr_private_segment_size 0
		.amdhsa_wavefront_size32 1
		.amdhsa_uses_dynamic_stack 0
		.amdhsa_enable_private_segment 0
		.amdhsa_system_sgpr_workgroup_id_x 1
		.amdhsa_system_sgpr_workgroup_id_y 1
		.amdhsa_system_sgpr_workgroup_id_z 0
		.amdhsa_system_sgpr_workgroup_info 0
		.amdhsa_system_vgpr_workitem_id 2
		.amdhsa_next_free_vgpr 197
		.amdhsa_next_free_sgpr 50
		.amdhsa_reserve_vcc 1
		.amdhsa_float_round_mode_32 0
		.amdhsa_float_round_mode_16_64 0
		.amdhsa_float_denorm_mode_32 3
		.amdhsa_float_denorm_mode_16_64 3
		.amdhsa_fp16_overflow 0
		.amdhsa_workgroup_processor_mode 1
		.amdhsa_memory_ordered 1
		.amdhsa_forward_progress 1
		.amdhsa_inst_pref_size 255
		.amdhsa_round_robin_scheduling 0
		.amdhsa_exception_fp_ieee_invalid_op 0
		.amdhsa_exception_fp_denorm_src 0
		.amdhsa_exception_fp_ieee_div_zero 0
		.amdhsa_exception_fp_ieee_overflow 0
		.amdhsa_exception_fp_ieee_underflow 0
		.amdhsa_exception_fp_ieee_inexact 0
		.amdhsa_exception_int_div_zero 0
	.end_amdhsa_kernel
	.section	.text._ZN7rocprim17ROCPRIM_400000_NS6detail17trampoline_kernelINS0_14default_configENS1_36segmented_radix_sort_config_selectorIalEEZNS1_25segmented_radix_sort_implIS3_Lb1EPKaPaPKlPlN2at6native12_GLOBAL__N_18offset_tEEE10hipError_tPvRmT1_PNSt15iterator_traitsISK_E10value_typeET2_T3_PNSL_ISQ_E10value_typeET4_jRbjT5_SW_jjP12ihipStream_tbEUlT_E2_NS1_11comp_targetILNS1_3genE10ELNS1_11target_archE1201ELNS1_3gpuE5ELNS1_3repE0EEENS1_30default_config_static_selectorELNS0_4arch9wavefront6targetE0EEEvSK_,"axG",@progbits,_ZN7rocprim17ROCPRIM_400000_NS6detail17trampoline_kernelINS0_14default_configENS1_36segmented_radix_sort_config_selectorIalEEZNS1_25segmented_radix_sort_implIS3_Lb1EPKaPaPKlPlN2at6native12_GLOBAL__N_18offset_tEEE10hipError_tPvRmT1_PNSt15iterator_traitsISK_E10value_typeET2_T3_PNSL_ISQ_E10value_typeET4_jRbjT5_SW_jjP12ihipStream_tbEUlT_E2_NS1_11comp_targetILNS1_3genE10ELNS1_11target_archE1201ELNS1_3gpuE5ELNS1_3repE0EEENS1_30default_config_static_selectorELNS0_4arch9wavefront6targetE0EEEvSK_,comdat
.Lfunc_end325:
	.size	_ZN7rocprim17ROCPRIM_400000_NS6detail17trampoline_kernelINS0_14default_configENS1_36segmented_radix_sort_config_selectorIalEEZNS1_25segmented_radix_sort_implIS3_Lb1EPKaPaPKlPlN2at6native12_GLOBAL__N_18offset_tEEE10hipError_tPvRmT1_PNSt15iterator_traitsISK_E10value_typeET2_T3_PNSL_ISQ_E10value_typeET4_jRbjT5_SW_jjP12ihipStream_tbEUlT_E2_NS1_11comp_targetILNS1_3genE10ELNS1_11target_archE1201ELNS1_3gpuE5ELNS1_3repE0EEENS1_30default_config_static_selectorELNS0_4arch9wavefront6targetE0EEEvSK_, .Lfunc_end325-_ZN7rocprim17ROCPRIM_400000_NS6detail17trampoline_kernelINS0_14default_configENS1_36segmented_radix_sort_config_selectorIalEEZNS1_25segmented_radix_sort_implIS3_Lb1EPKaPaPKlPlN2at6native12_GLOBAL__N_18offset_tEEE10hipError_tPvRmT1_PNSt15iterator_traitsISK_E10value_typeET2_T3_PNSL_ISQ_E10value_typeET4_jRbjT5_SW_jjP12ihipStream_tbEUlT_E2_NS1_11comp_targetILNS1_3genE10ELNS1_11target_archE1201ELNS1_3gpuE5ELNS1_3repE0EEENS1_30default_config_static_selectorELNS0_4arch9wavefront6targetE0EEEvSK_
                                        ; -- End function
	.set _ZN7rocprim17ROCPRIM_400000_NS6detail17trampoline_kernelINS0_14default_configENS1_36segmented_radix_sort_config_selectorIalEEZNS1_25segmented_radix_sort_implIS3_Lb1EPKaPaPKlPlN2at6native12_GLOBAL__N_18offset_tEEE10hipError_tPvRmT1_PNSt15iterator_traitsISK_E10value_typeET2_T3_PNSL_ISQ_E10value_typeET4_jRbjT5_SW_jjP12ihipStream_tbEUlT_E2_NS1_11comp_targetILNS1_3genE10ELNS1_11target_archE1201ELNS1_3gpuE5ELNS1_3repE0EEENS1_30default_config_static_selectorELNS0_4arch9wavefront6targetE0EEEvSK_.num_vgpr, max(133, .L_ZN7rocprim17ROCPRIM_400000_NS6detail26segmented_warp_sort_helperINS1_20WarpSortHelperConfigILj8ELj4ELj256EEEalLi256ELb1EvE4sortIPKaPaPKlPlEEvT_T0_T1_T2_jjjjRNS5_12storage_typeE.num_vgpr, .L_ZN7rocprim17ROCPRIM_400000_NS6detail40segmented_radix_sort_single_block_helperIalLj256ELj8ELb1EE4sortIPKaPaPKlPlEEbT_T0_T1_T2_jjjjRNS3_12storage_typeE.num_vgpr)
	.set _ZN7rocprim17ROCPRIM_400000_NS6detail17trampoline_kernelINS0_14default_configENS1_36segmented_radix_sort_config_selectorIalEEZNS1_25segmented_radix_sort_implIS3_Lb1EPKaPaPKlPlN2at6native12_GLOBAL__N_18offset_tEEE10hipError_tPvRmT1_PNSt15iterator_traitsISK_E10value_typeET2_T3_PNSL_ISQ_E10value_typeET4_jRbjT5_SW_jjP12ihipStream_tbEUlT_E2_NS1_11comp_targetILNS1_3genE10ELNS1_11target_archE1201ELNS1_3gpuE5ELNS1_3repE0EEENS1_30default_config_static_selectorELNS0_4arch9wavefront6targetE0EEEvSK_.num_agpr, max(0, .L_ZN7rocprim17ROCPRIM_400000_NS6detail26segmented_warp_sort_helperINS1_20WarpSortHelperConfigILj8ELj4ELj256EEEalLi256ELb1EvE4sortIPKaPaPKlPlEEvT_T0_T1_T2_jjjjRNS5_12storage_typeE.num_agpr, .L_ZN7rocprim17ROCPRIM_400000_NS6detail40segmented_radix_sort_single_block_helperIalLj256ELj8ELb1EE4sortIPKaPaPKlPlEEbT_T0_T1_T2_jjjjRNS3_12storage_typeE.num_agpr)
	.set _ZN7rocprim17ROCPRIM_400000_NS6detail17trampoline_kernelINS0_14default_configENS1_36segmented_radix_sort_config_selectorIalEEZNS1_25segmented_radix_sort_implIS3_Lb1EPKaPaPKlPlN2at6native12_GLOBAL__N_18offset_tEEE10hipError_tPvRmT1_PNSt15iterator_traitsISK_E10value_typeET2_T3_PNSL_ISQ_E10value_typeET4_jRbjT5_SW_jjP12ihipStream_tbEUlT_E2_NS1_11comp_targetILNS1_3genE10ELNS1_11target_archE1201ELNS1_3gpuE5ELNS1_3repE0EEENS1_30default_config_static_selectorELNS0_4arch9wavefront6targetE0EEEvSK_.numbered_sgpr, max(50, .L_ZN7rocprim17ROCPRIM_400000_NS6detail26segmented_warp_sort_helperINS1_20WarpSortHelperConfigILj8ELj4ELj256EEEalLi256ELb1EvE4sortIPKaPaPKlPlEEvT_T0_T1_T2_jjjjRNS5_12storage_typeE.numbered_sgpr, .L_ZN7rocprim17ROCPRIM_400000_NS6detail40segmented_radix_sort_single_block_helperIalLj256ELj8ELb1EE4sortIPKaPaPKlPlEEbT_T0_T1_T2_jjjjRNS3_12storage_typeE.numbered_sgpr)
	.set _ZN7rocprim17ROCPRIM_400000_NS6detail17trampoline_kernelINS0_14default_configENS1_36segmented_radix_sort_config_selectorIalEEZNS1_25segmented_radix_sort_implIS3_Lb1EPKaPaPKlPlN2at6native12_GLOBAL__N_18offset_tEEE10hipError_tPvRmT1_PNSt15iterator_traitsISK_E10value_typeET2_T3_PNSL_ISQ_E10value_typeET4_jRbjT5_SW_jjP12ihipStream_tbEUlT_E2_NS1_11comp_targetILNS1_3genE10ELNS1_11target_archE1201ELNS1_3gpuE5ELNS1_3repE0EEENS1_30default_config_static_selectorELNS0_4arch9wavefront6targetE0EEEvSK_.num_named_barrier, max(0, .L_ZN7rocprim17ROCPRIM_400000_NS6detail26segmented_warp_sort_helperINS1_20WarpSortHelperConfigILj8ELj4ELj256EEEalLi256ELb1EvE4sortIPKaPaPKlPlEEvT_T0_T1_T2_jjjjRNS5_12storage_typeE.num_named_barrier, .L_ZN7rocprim17ROCPRIM_400000_NS6detail40segmented_radix_sort_single_block_helperIalLj256ELj8ELb1EE4sortIPKaPaPKlPlEEbT_T0_T1_T2_jjjjRNS3_12storage_typeE.num_named_barrier)
	.set _ZN7rocprim17ROCPRIM_400000_NS6detail17trampoline_kernelINS0_14default_configENS1_36segmented_radix_sort_config_selectorIalEEZNS1_25segmented_radix_sort_implIS3_Lb1EPKaPaPKlPlN2at6native12_GLOBAL__N_18offset_tEEE10hipError_tPvRmT1_PNSt15iterator_traitsISK_E10value_typeET2_T3_PNSL_ISQ_E10value_typeET4_jRbjT5_SW_jjP12ihipStream_tbEUlT_E2_NS1_11comp_targetILNS1_3genE10ELNS1_11target_archE1201ELNS1_3gpuE5ELNS1_3repE0EEENS1_30default_config_static_selectorELNS0_4arch9wavefront6targetE0EEEvSK_.private_seg_size, 0+max(.L_ZN7rocprim17ROCPRIM_400000_NS6detail26segmented_warp_sort_helperINS1_20WarpSortHelperConfigILj8ELj4ELj256EEEalLi256ELb1EvE4sortIPKaPaPKlPlEEvT_T0_T1_T2_jjjjRNS5_12storage_typeE.private_seg_size, .L_ZN7rocprim17ROCPRIM_400000_NS6detail40segmented_radix_sort_single_block_helperIalLj256ELj8ELb1EE4sortIPKaPaPKlPlEEbT_T0_T1_T2_jjjjRNS3_12storage_typeE.private_seg_size)
	.set _ZN7rocprim17ROCPRIM_400000_NS6detail17trampoline_kernelINS0_14default_configENS1_36segmented_radix_sort_config_selectorIalEEZNS1_25segmented_radix_sort_implIS3_Lb1EPKaPaPKlPlN2at6native12_GLOBAL__N_18offset_tEEE10hipError_tPvRmT1_PNSt15iterator_traitsISK_E10value_typeET2_T3_PNSL_ISQ_E10value_typeET4_jRbjT5_SW_jjP12ihipStream_tbEUlT_E2_NS1_11comp_targetILNS1_3genE10ELNS1_11target_archE1201ELNS1_3gpuE5ELNS1_3repE0EEENS1_30default_config_static_selectorELNS0_4arch9wavefront6targetE0EEEvSK_.uses_vcc, or(1, .L_ZN7rocprim17ROCPRIM_400000_NS6detail26segmented_warp_sort_helperINS1_20WarpSortHelperConfigILj8ELj4ELj256EEEalLi256ELb1EvE4sortIPKaPaPKlPlEEvT_T0_T1_T2_jjjjRNS5_12storage_typeE.uses_vcc, .L_ZN7rocprim17ROCPRIM_400000_NS6detail40segmented_radix_sort_single_block_helperIalLj256ELj8ELb1EE4sortIPKaPaPKlPlEEbT_T0_T1_T2_jjjjRNS3_12storage_typeE.uses_vcc)
	.set _ZN7rocprim17ROCPRIM_400000_NS6detail17trampoline_kernelINS0_14default_configENS1_36segmented_radix_sort_config_selectorIalEEZNS1_25segmented_radix_sort_implIS3_Lb1EPKaPaPKlPlN2at6native12_GLOBAL__N_18offset_tEEE10hipError_tPvRmT1_PNSt15iterator_traitsISK_E10value_typeET2_T3_PNSL_ISQ_E10value_typeET4_jRbjT5_SW_jjP12ihipStream_tbEUlT_E2_NS1_11comp_targetILNS1_3genE10ELNS1_11target_archE1201ELNS1_3gpuE5ELNS1_3repE0EEENS1_30default_config_static_selectorELNS0_4arch9wavefront6targetE0EEEvSK_.uses_flat_scratch, or(0, .L_ZN7rocprim17ROCPRIM_400000_NS6detail26segmented_warp_sort_helperINS1_20WarpSortHelperConfigILj8ELj4ELj256EEEalLi256ELb1EvE4sortIPKaPaPKlPlEEvT_T0_T1_T2_jjjjRNS5_12storage_typeE.uses_flat_scratch, .L_ZN7rocprim17ROCPRIM_400000_NS6detail40segmented_radix_sort_single_block_helperIalLj256ELj8ELb1EE4sortIPKaPaPKlPlEEbT_T0_T1_T2_jjjjRNS3_12storage_typeE.uses_flat_scratch)
	.set _ZN7rocprim17ROCPRIM_400000_NS6detail17trampoline_kernelINS0_14default_configENS1_36segmented_radix_sort_config_selectorIalEEZNS1_25segmented_radix_sort_implIS3_Lb1EPKaPaPKlPlN2at6native12_GLOBAL__N_18offset_tEEE10hipError_tPvRmT1_PNSt15iterator_traitsISK_E10value_typeET2_T3_PNSL_ISQ_E10value_typeET4_jRbjT5_SW_jjP12ihipStream_tbEUlT_E2_NS1_11comp_targetILNS1_3genE10ELNS1_11target_archE1201ELNS1_3gpuE5ELNS1_3repE0EEENS1_30default_config_static_selectorELNS0_4arch9wavefront6targetE0EEEvSK_.has_dyn_sized_stack, or(0, .L_ZN7rocprim17ROCPRIM_400000_NS6detail26segmented_warp_sort_helperINS1_20WarpSortHelperConfigILj8ELj4ELj256EEEalLi256ELb1EvE4sortIPKaPaPKlPlEEvT_T0_T1_T2_jjjjRNS5_12storage_typeE.has_dyn_sized_stack, .L_ZN7rocprim17ROCPRIM_400000_NS6detail40segmented_radix_sort_single_block_helperIalLj256ELj8ELb1EE4sortIPKaPaPKlPlEEbT_T0_T1_T2_jjjjRNS3_12storage_typeE.has_dyn_sized_stack)
	.set _ZN7rocprim17ROCPRIM_400000_NS6detail17trampoline_kernelINS0_14default_configENS1_36segmented_radix_sort_config_selectorIalEEZNS1_25segmented_radix_sort_implIS3_Lb1EPKaPaPKlPlN2at6native12_GLOBAL__N_18offset_tEEE10hipError_tPvRmT1_PNSt15iterator_traitsISK_E10value_typeET2_T3_PNSL_ISQ_E10value_typeET4_jRbjT5_SW_jjP12ihipStream_tbEUlT_E2_NS1_11comp_targetILNS1_3genE10ELNS1_11target_archE1201ELNS1_3gpuE5ELNS1_3repE0EEENS1_30default_config_static_selectorELNS0_4arch9wavefront6targetE0EEEvSK_.has_recursion, or(0, .L_ZN7rocprim17ROCPRIM_400000_NS6detail26segmented_warp_sort_helperINS1_20WarpSortHelperConfigILj8ELj4ELj256EEEalLi256ELb1EvE4sortIPKaPaPKlPlEEvT_T0_T1_T2_jjjjRNS5_12storage_typeE.has_recursion, .L_ZN7rocprim17ROCPRIM_400000_NS6detail40segmented_radix_sort_single_block_helperIalLj256ELj8ELb1EE4sortIPKaPaPKlPlEEbT_T0_T1_T2_jjjjRNS3_12storage_typeE.has_recursion)
	.set _ZN7rocprim17ROCPRIM_400000_NS6detail17trampoline_kernelINS0_14default_configENS1_36segmented_radix_sort_config_selectorIalEEZNS1_25segmented_radix_sort_implIS3_Lb1EPKaPaPKlPlN2at6native12_GLOBAL__N_18offset_tEEE10hipError_tPvRmT1_PNSt15iterator_traitsISK_E10value_typeET2_T3_PNSL_ISQ_E10value_typeET4_jRbjT5_SW_jjP12ihipStream_tbEUlT_E2_NS1_11comp_targetILNS1_3genE10ELNS1_11target_archE1201ELNS1_3gpuE5ELNS1_3repE0EEENS1_30default_config_static_selectorELNS0_4arch9wavefront6targetE0EEEvSK_.has_indirect_call, or(0, .L_ZN7rocprim17ROCPRIM_400000_NS6detail26segmented_warp_sort_helperINS1_20WarpSortHelperConfigILj8ELj4ELj256EEEalLi256ELb1EvE4sortIPKaPaPKlPlEEvT_T0_T1_T2_jjjjRNS5_12storage_typeE.has_indirect_call, .L_ZN7rocprim17ROCPRIM_400000_NS6detail40segmented_radix_sort_single_block_helperIalLj256ELj8ELb1EE4sortIPKaPaPKlPlEEbT_T0_T1_T2_jjjjRNS3_12storage_typeE.has_indirect_call)
	.section	.AMDGPU.csdata,"",@progbits
; Kernel info:
; codeLenInByte = 43572
; TotalNumSgprs: 52
; NumVgprs: 197
; ScratchSize: 0
; MemoryBound: 0
; FloatMode: 240
; IeeeMode: 1
; LDSByteSize: 17440 bytes/workgroup (compile time only)
; SGPRBlocks: 0
; VGPRBlocks: 24
; NumSGPRsForWavesPerEU: 52
; NumVGPRsForWavesPerEU: 197
; Occupancy: 7
; WaveLimiterHint : 1
; COMPUTE_PGM_RSRC2:SCRATCH_EN: 0
; COMPUTE_PGM_RSRC2:USER_SGPR: 2
; COMPUTE_PGM_RSRC2:TRAP_HANDLER: 0
; COMPUTE_PGM_RSRC2:TGID_X_EN: 1
; COMPUTE_PGM_RSRC2:TGID_Y_EN: 1
; COMPUTE_PGM_RSRC2:TGID_Z_EN: 0
; COMPUTE_PGM_RSRC2:TIDIG_COMP_CNT: 2
	.section	.text._ZN7rocprim17ROCPRIM_400000_NS6detail17trampoline_kernelINS0_14default_configENS1_36segmented_radix_sort_config_selectorIalEEZNS1_25segmented_radix_sort_implIS3_Lb1EPKaPaPKlPlN2at6native12_GLOBAL__N_18offset_tEEE10hipError_tPvRmT1_PNSt15iterator_traitsISK_E10value_typeET2_T3_PNSL_ISQ_E10value_typeET4_jRbjT5_SW_jjP12ihipStream_tbEUlT_E2_NS1_11comp_targetILNS1_3genE10ELNS1_11target_archE1200ELNS1_3gpuE4ELNS1_3repE0EEENS1_30default_config_static_selectorELNS0_4arch9wavefront6targetE0EEEvSK_,"axG",@progbits,_ZN7rocprim17ROCPRIM_400000_NS6detail17trampoline_kernelINS0_14default_configENS1_36segmented_radix_sort_config_selectorIalEEZNS1_25segmented_radix_sort_implIS3_Lb1EPKaPaPKlPlN2at6native12_GLOBAL__N_18offset_tEEE10hipError_tPvRmT1_PNSt15iterator_traitsISK_E10value_typeET2_T3_PNSL_ISQ_E10value_typeET4_jRbjT5_SW_jjP12ihipStream_tbEUlT_E2_NS1_11comp_targetILNS1_3genE10ELNS1_11target_archE1200ELNS1_3gpuE4ELNS1_3repE0EEENS1_30default_config_static_selectorELNS0_4arch9wavefront6targetE0EEEvSK_,comdat
	.globl	_ZN7rocprim17ROCPRIM_400000_NS6detail17trampoline_kernelINS0_14default_configENS1_36segmented_radix_sort_config_selectorIalEEZNS1_25segmented_radix_sort_implIS3_Lb1EPKaPaPKlPlN2at6native12_GLOBAL__N_18offset_tEEE10hipError_tPvRmT1_PNSt15iterator_traitsISK_E10value_typeET2_T3_PNSL_ISQ_E10value_typeET4_jRbjT5_SW_jjP12ihipStream_tbEUlT_E2_NS1_11comp_targetILNS1_3genE10ELNS1_11target_archE1200ELNS1_3gpuE4ELNS1_3repE0EEENS1_30default_config_static_selectorELNS0_4arch9wavefront6targetE0EEEvSK_ ; -- Begin function _ZN7rocprim17ROCPRIM_400000_NS6detail17trampoline_kernelINS0_14default_configENS1_36segmented_radix_sort_config_selectorIalEEZNS1_25segmented_radix_sort_implIS3_Lb1EPKaPaPKlPlN2at6native12_GLOBAL__N_18offset_tEEE10hipError_tPvRmT1_PNSt15iterator_traitsISK_E10value_typeET2_T3_PNSL_ISQ_E10value_typeET4_jRbjT5_SW_jjP12ihipStream_tbEUlT_E2_NS1_11comp_targetILNS1_3genE10ELNS1_11target_archE1200ELNS1_3gpuE4ELNS1_3repE0EEENS1_30default_config_static_selectorELNS0_4arch9wavefront6targetE0EEEvSK_
	.p2align	8
	.type	_ZN7rocprim17ROCPRIM_400000_NS6detail17trampoline_kernelINS0_14default_configENS1_36segmented_radix_sort_config_selectorIalEEZNS1_25segmented_radix_sort_implIS3_Lb1EPKaPaPKlPlN2at6native12_GLOBAL__N_18offset_tEEE10hipError_tPvRmT1_PNSt15iterator_traitsISK_E10value_typeET2_T3_PNSL_ISQ_E10value_typeET4_jRbjT5_SW_jjP12ihipStream_tbEUlT_E2_NS1_11comp_targetILNS1_3genE10ELNS1_11target_archE1200ELNS1_3gpuE4ELNS1_3repE0EEENS1_30default_config_static_selectorELNS0_4arch9wavefront6targetE0EEEvSK_,@function
_ZN7rocprim17ROCPRIM_400000_NS6detail17trampoline_kernelINS0_14default_configENS1_36segmented_radix_sort_config_selectorIalEEZNS1_25segmented_radix_sort_implIS3_Lb1EPKaPaPKlPlN2at6native12_GLOBAL__N_18offset_tEEE10hipError_tPvRmT1_PNSt15iterator_traitsISK_E10value_typeET2_T3_PNSL_ISQ_E10value_typeET4_jRbjT5_SW_jjP12ihipStream_tbEUlT_E2_NS1_11comp_targetILNS1_3genE10ELNS1_11target_archE1200ELNS1_3gpuE4ELNS1_3repE0EEENS1_30default_config_static_selectorELNS0_4arch9wavefront6targetE0EEEvSK_: ; @_ZN7rocprim17ROCPRIM_400000_NS6detail17trampoline_kernelINS0_14default_configENS1_36segmented_radix_sort_config_selectorIalEEZNS1_25segmented_radix_sort_implIS3_Lb1EPKaPaPKlPlN2at6native12_GLOBAL__N_18offset_tEEE10hipError_tPvRmT1_PNSt15iterator_traitsISK_E10value_typeET2_T3_PNSL_ISQ_E10value_typeET4_jRbjT5_SW_jjP12ihipStream_tbEUlT_E2_NS1_11comp_targetILNS1_3genE10ELNS1_11target_archE1200ELNS1_3gpuE4ELNS1_3repE0EEENS1_30default_config_static_selectorELNS0_4arch9wavefront6targetE0EEEvSK_
; %bb.0:
	.section	.rodata,"a",@progbits
	.p2align	6, 0x0
	.amdhsa_kernel _ZN7rocprim17ROCPRIM_400000_NS6detail17trampoline_kernelINS0_14default_configENS1_36segmented_radix_sort_config_selectorIalEEZNS1_25segmented_radix_sort_implIS3_Lb1EPKaPaPKlPlN2at6native12_GLOBAL__N_18offset_tEEE10hipError_tPvRmT1_PNSt15iterator_traitsISK_E10value_typeET2_T3_PNSL_ISQ_E10value_typeET4_jRbjT5_SW_jjP12ihipStream_tbEUlT_E2_NS1_11comp_targetILNS1_3genE10ELNS1_11target_archE1200ELNS1_3gpuE4ELNS1_3repE0EEENS1_30default_config_static_selectorELNS0_4arch9wavefront6targetE0EEEvSK_
		.amdhsa_group_segment_fixed_size 0
		.amdhsa_private_segment_fixed_size 0
		.amdhsa_kernarg_size 80
		.amdhsa_user_sgpr_count 2
		.amdhsa_user_sgpr_dispatch_ptr 0
		.amdhsa_user_sgpr_queue_ptr 0
		.amdhsa_user_sgpr_kernarg_segment_ptr 1
		.amdhsa_user_sgpr_dispatch_id 0
		.amdhsa_user_sgpr_private_segment_size 0
		.amdhsa_wavefront_size32 1
		.amdhsa_uses_dynamic_stack 0
		.amdhsa_enable_private_segment 0
		.amdhsa_system_sgpr_workgroup_id_x 1
		.amdhsa_system_sgpr_workgroup_id_y 0
		.amdhsa_system_sgpr_workgroup_id_z 0
		.amdhsa_system_sgpr_workgroup_info 0
		.amdhsa_system_vgpr_workitem_id 0
		.amdhsa_next_free_vgpr 1
		.amdhsa_next_free_sgpr 1
		.amdhsa_reserve_vcc 0
		.amdhsa_float_round_mode_32 0
		.amdhsa_float_round_mode_16_64 0
		.amdhsa_float_denorm_mode_32 3
		.amdhsa_float_denorm_mode_16_64 3
		.amdhsa_fp16_overflow 0
		.amdhsa_workgroup_processor_mode 1
		.amdhsa_memory_ordered 1
		.amdhsa_forward_progress 1
		.amdhsa_inst_pref_size 0
		.amdhsa_round_robin_scheduling 0
		.amdhsa_exception_fp_ieee_invalid_op 0
		.amdhsa_exception_fp_denorm_src 0
		.amdhsa_exception_fp_ieee_div_zero 0
		.amdhsa_exception_fp_ieee_overflow 0
		.amdhsa_exception_fp_ieee_underflow 0
		.amdhsa_exception_fp_ieee_inexact 0
		.amdhsa_exception_int_div_zero 0
	.end_amdhsa_kernel
	.section	.text._ZN7rocprim17ROCPRIM_400000_NS6detail17trampoline_kernelINS0_14default_configENS1_36segmented_radix_sort_config_selectorIalEEZNS1_25segmented_radix_sort_implIS3_Lb1EPKaPaPKlPlN2at6native12_GLOBAL__N_18offset_tEEE10hipError_tPvRmT1_PNSt15iterator_traitsISK_E10value_typeET2_T3_PNSL_ISQ_E10value_typeET4_jRbjT5_SW_jjP12ihipStream_tbEUlT_E2_NS1_11comp_targetILNS1_3genE10ELNS1_11target_archE1200ELNS1_3gpuE4ELNS1_3repE0EEENS1_30default_config_static_selectorELNS0_4arch9wavefront6targetE0EEEvSK_,"axG",@progbits,_ZN7rocprim17ROCPRIM_400000_NS6detail17trampoline_kernelINS0_14default_configENS1_36segmented_radix_sort_config_selectorIalEEZNS1_25segmented_radix_sort_implIS3_Lb1EPKaPaPKlPlN2at6native12_GLOBAL__N_18offset_tEEE10hipError_tPvRmT1_PNSt15iterator_traitsISK_E10value_typeET2_T3_PNSL_ISQ_E10value_typeET4_jRbjT5_SW_jjP12ihipStream_tbEUlT_E2_NS1_11comp_targetILNS1_3genE10ELNS1_11target_archE1200ELNS1_3gpuE4ELNS1_3repE0EEENS1_30default_config_static_selectorELNS0_4arch9wavefront6targetE0EEEvSK_,comdat
.Lfunc_end326:
	.size	_ZN7rocprim17ROCPRIM_400000_NS6detail17trampoline_kernelINS0_14default_configENS1_36segmented_radix_sort_config_selectorIalEEZNS1_25segmented_radix_sort_implIS3_Lb1EPKaPaPKlPlN2at6native12_GLOBAL__N_18offset_tEEE10hipError_tPvRmT1_PNSt15iterator_traitsISK_E10value_typeET2_T3_PNSL_ISQ_E10value_typeET4_jRbjT5_SW_jjP12ihipStream_tbEUlT_E2_NS1_11comp_targetILNS1_3genE10ELNS1_11target_archE1200ELNS1_3gpuE4ELNS1_3repE0EEENS1_30default_config_static_selectorELNS0_4arch9wavefront6targetE0EEEvSK_, .Lfunc_end326-_ZN7rocprim17ROCPRIM_400000_NS6detail17trampoline_kernelINS0_14default_configENS1_36segmented_radix_sort_config_selectorIalEEZNS1_25segmented_radix_sort_implIS3_Lb1EPKaPaPKlPlN2at6native12_GLOBAL__N_18offset_tEEE10hipError_tPvRmT1_PNSt15iterator_traitsISK_E10value_typeET2_T3_PNSL_ISQ_E10value_typeET4_jRbjT5_SW_jjP12ihipStream_tbEUlT_E2_NS1_11comp_targetILNS1_3genE10ELNS1_11target_archE1200ELNS1_3gpuE4ELNS1_3repE0EEENS1_30default_config_static_selectorELNS0_4arch9wavefront6targetE0EEEvSK_
                                        ; -- End function
	.set _ZN7rocprim17ROCPRIM_400000_NS6detail17trampoline_kernelINS0_14default_configENS1_36segmented_radix_sort_config_selectorIalEEZNS1_25segmented_radix_sort_implIS3_Lb1EPKaPaPKlPlN2at6native12_GLOBAL__N_18offset_tEEE10hipError_tPvRmT1_PNSt15iterator_traitsISK_E10value_typeET2_T3_PNSL_ISQ_E10value_typeET4_jRbjT5_SW_jjP12ihipStream_tbEUlT_E2_NS1_11comp_targetILNS1_3genE10ELNS1_11target_archE1200ELNS1_3gpuE4ELNS1_3repE0EEENS1_30default_config_static_selectorELNS0_4arch9wavefront6targetE0EEEvSK_.num_vgpr, 0
	.set _ZN7rocprim17ROCPRIM_400000_NS6detail17trampoline_kernelINS0_14default_configENS1_36segmented_radix_sort_config_selectorIalEEZNS1_25segmented_radix_sort_implIS3_Lb1EPKaPaPKlPlN2at6native12_GLOBAL__N_18offset_tEEE10hipError_tPvRmT1_PNSt15iterator_traitsISK_E10value_typeET2_T3_PNSL_ISQ_E10value_typeET4_jRbjT5_SW_jjP12ihipStream_tbEUlT_E2_NS1_11comp_targetILNS1_3genE10ELNS1_11target_archE1200ELNS1_3gpuE4ELNS1_3repE0EEENS1_30default_config_static_selectorELNS0_4arch9wavefront6targetE0EEEvSK_.num_agpr, 0
	.set _ZN7rocprim17ROCPRIM_400000_NS6detail17trampoline_kernelINS0_14default_configENS1_36segmented_radix_sort_config_selectorIalEEZNS1_25segmented_radix_sort_implIS3_Lb1EPKaPaPKlPlN2at6native12_GLOBAL__N_18offset_tEEE10hipError_tPvRmT1_PNSt15iterator_traitsISK_E10value_typeET2_T3_PNSL_ISQ_E10value_typeET4_jRbjT5_SW_jjP12ihipStream_tbEUlT_E2_NS1_11comp_targetILNS1_3genE10ELNS1_11target_archE1200ELNS1_3gpuE4ELNS1_3repE0EEENS1_30default_config_static_selectorELNS0_4arch9wavefront6targetE0EEEvSK_.numbered_sgpr, 0
	.set _ZN7rocprim17ROCPRIM_400000_NS6detail17trampoline_kernelINS0_14default_configENS1_36segmented_radix_sort_config_selectorIalEEZNS1_25segmented_radix_sort_implIS3_Lb1EPKaPaPKlPlN2at6native12_GLOBAL__N_18offset_tEEE10hipError_tPvRmT1_PNSt15iterator_traitsISK_E10value_typeET2_T3_PNSL_ISQ_E10value_typeET4_jRbjT5_SW_jjP12ihipStream_tbEUlT_E2_NS1_11comp_targetILNS1_3genE10ELNS1_11target_archE1200ELNS1_3gpuE4ELNS1_3repE0EEENS1_30default_config_static_selectorELNS0_4arch9wavefront6targetE0EEEvSK_.num_named_barrier, 0
	.set _ZN7rocprim17ROCPRIM_400000_NS6detail17trampoline_kernelINS0_14default_configENS1_36segmented_radix_sort_config_selectorIalEEZNS1_25segmented_radix_sort_implIS3_Lb1EPKaPaPKlPlN2at6native12_GLOBAL__N_18offset_tEEE10hipError_tPvRmT1_PNSt15iterator_traitsISK_E10value_typeET2_T3_PNSL_ISQ_E10value_typeET4_jRbjT5_SW_jjP12ihipStream_tbEUlT_E2_NS1_11comp_targetILNS1_3genE10ELNS1_11target_archE1200ELNS1_3gpuE4ELNS1_3repE0EEENS1_30default_config_static_selectorELNS0_4arch9wavefront6targetE0EEEvSK_.private_seg_size, 0
	.set _ZN7rocprim17ROCPRIM_400000_NS6detail17trampoline_kernelINS0_14default_configENS1_36segmented_radix_sort_config_selectorIalEEZNS1_25segmented_radix_sort_implIS3_Lb1EPKaPaPKlPlN2at6native12_GLOBAL__N_18offset_tEEE10hipError_tPvRmT1_PNSt15iterator_traitsISK_E10value_typeET2_T3_PNSL_ISQ_E10value_typeET4_jRbjT5_SW_jjP12ihipStream_tbEUlT_E2_NS1_11comp_targetILNS1_3genE10ELNS1_11target_archE1200ELNS1_3gpuE4ELNS1_3repE0EEENS1_30default_config_static_selectorELNS0_4arch9wavefront6targetE0EEEvSK_.uses_vcc, 0
	.set _ZN7rocprim17ROCPRIM_400000_NS6detail17trampoline_kernelINS0_14default_configENS1_36segmented_radix_sort_config_selectorIalEEZNS1_25segmented_radix_sort_implIS3_Lb1EPKaPaPKlPlN2at6native12_GLOBAL__N_18offset_tEEE10hipError_tPvRmT1_PNSt15iterator_traitsISK_E10value_typeET2_T3_PNSL_ISQ_E10value_typeET4_jRbjT5_SW_jjP12ihipStream_tbEUlT_E2_NS1_11comp_targetILNS1_3genE10ELNS1_11target_archE1200ELNS1_3gpuE4ELNS1_3repE0EEENS1_30default_config_static_selectorELNS0_4arch9wavefront6targetE0EEEvSK_.uses_flat_scratch, 0
	.set _ZN7rocprim17ROCPRIM_400000_NS6detail17trampoline_kernelINS0_14default_configENS1_36segmented_radix_sort_config_selectorIalEEZNS1_25segmented_radix_sort_implIS3_Lb1EPKaPaPKlPlN2at6native12_GLOBAL__N_18offset_tEEE10hipError_tPvRmT1_PNSt15iterator_traitsISK_E10value_typeET2_T3_PNSL_ISQ_E10value_typeET4_jRbjT5_SW_jjP12ihipStream_tbEUlT_E2_NS1_11comp_targetILNS1_3genE10ELNS1_11target_archE1200ELNS1_3gpuE4ELNS1_3repE0EEENS1_30default_config_static_selectorELNS0_4arch9wavefront6targetE0EEEvSK_.has_dyn_sized_stack, 0
	.set _ZN7rocprim17ROCPRIM_400000_NS6detail17trampoline_kernelINS0_14default_configENS1_36segmented_radix_sort_config_selectorIalEEZNS1_25segmented_radix_sort_implIS3_Lb1EPKaPaPKlPlN2at6native12_GLOBAL__N_18offset_tEEE10hipError_tPvRmT1_PNSt15iterator_traitsISK_E10value_typeET2_T3_PNSL_ISQ_E10value_typeET4_jRbjT5_SW_jjP12ihipStream_tbEUlT_E2_NS1_11comp_targetILNS1_3genE10ELNS1_11target_archE1200ELNS1_3gpuE4ELNS1_3repE0EEENS1_30default_config_static_selectorELNS0_4arch9wavefront6targetE0EEEvSK_.has_recursion, 0
	.set _ZN7rocprim17ROCPRIM_400000_NS6detail17trampoline_kernelINS0_14default_configENS1_36segmented_radix_sort_config_selectorIalEEZNS1_25segmented_radix_sort_implIS3_Lb1EPKaPaPKlPlN2at6native12_GLOBAL__N_18offset_tEEE10hipError_tPvRmT1_PNSt15iterator_traitsISK_E10value_typeET2_T3_PNSL_ISQ_E10value_typeET4_jRbjT5_SW_jjP12ihipStream_tbEUlT_E2_NS1_11comp_targetILNS1_3genE10ELNS1_11target_archE1200ELNS1_3gpuE4ELNS1_3repE0EEENS1_30default_config_static_selectorELNS0_4arch9wavefront6targetE0EEEvSK_.has_indirect_call, 0
	.section	.AMDGPU.csdata,"",@progbits
; Kernel info:
; codeLenInByte = 0
; TotalNumSgprs: 0
; NumVgprs: 0
; ScratchSize: 0
; MemoryBound: 0
; FloatMode: 240
; IeeeMode: 1
; LDSByteSize: 0 bytes/workgroup (compile time only)
; SGPRBlocks: 0
; VGPRBlocks: 0
; NumSGPRsForWavesPerEU: 1
; NumVGPRsForWavesPerEU: 1
; Occupancy: 16
; WaveLimiterHint : 0
; COMPUTE_PGM_RSRC2:SCRATCH_EN: 0
; COMPUTE_PGM_RSRC2:USER_SGPR: 2
; COMPUTE_PGM_RSRC2:TRAP_HANDLER: 0
; COMPUTE_PGM_RSRC2:TGID_X_EN: 1
; COMPUTE_PGM_RSRC2:TGID_Y_EN: 0
; COMPUTE_PGM_RSRC2:TGID_Z_EN: 0
; COMPUTE_PGM_RSRC2:TIDIG_COMP_CNT: 0
	.section	.text._ZN7rocprim17ROCPRIM_400000_NS6detail17trampoline_kernelINS0_14default_configENS1_36segmented_radix_sort_config_selectorIalEEZNS1_25segmented_radix_sort_implIS3_Lb1EPKaPaPKlPlN2at6native12_GLOBAL__N_18offset_tEEE10hipError_tPvRmT1_PNSt15iterator_traitsISK_E10value_typeET2_T3_PNSL_ISQ_E10value_typeET4_jRbjT5_SW_jjP12ihipStream_tbEUlT_E2_NS1_11comp_targetILNS1_3genE9ELNS1_11target_archE1100ELNS1_3gpuE3ELNS1_3repE0EEENS1_30default_config_static_selectorELNS0_4arch9wavefront6targetE0EEEvSK_,"axG",@progbits,_ZN7rocprim17ROCPRIM_400000_NS6detail17trampoline_kernelINS0_14default_configENS1_36segmented_radix_sort_config_selectorIalEEZNS1_25segmented_radix_sort_implIS3_Lb1EPKaPaPKlPlN2at6native12_GLOBAL__N_18offset_tEEE10hipError_tPvRmT1_PNSt15iterator_traitsISK_E10value_typeET2_T3_PNSL_ISQ_E10value_typeET4_jRbjT5_SW_jjP12ihipStream_tbEUlT_E2_NS1_11comp_targetILNS1_3genE9ELNS1_11target_archE1100ELNS1_3gpuE3ELNS1_3repE0EEENS1_30default_config_static_selectorELNS0_4arch9wavefront6targetE0EEEvSK_,comdat
	.globl	_ZN7rocprim17ROCPRIM_400000_NS6detail17trampoline_kernelINS0_14default_configENS1_36segmented_radix_sort_config_selectorIalEEZNS1_25segmented_radix_sort_implIS3_Lb1EPKaPaPKlPlN2at6native12_GLOBAL__N_18offset_tEEE10hipError_tPvRmT1_PNSt15iterator_traitsISK_E10value_typeET2_T3_PNSL_ISQ_E10value_typeET4_jRbjT5_SW_jjP12ihipStream_tbEUlT_E2_NS1_11comp_targetILNS1_3genE9ELNS1_11target_archE1100ELNS1_3gpuE3ELNS1_3repE0EEENS1_30default_config_static_selectorELNS0_4arch9wavefront6targetE0EEEvSK_ ; -- Begin function _ZN7rocprim17ROCPRIM_400000_NS6detail17trampoline_kernelINS0_14default_configENS1_36segmented_radix_sort_config_selectorIalEEZNS1_25segmented_radix_sort_implIS3_Lb1EPKaPaPKlPlN2at6native12_GLOBAL__N_18offset_tEEE10hipError_tPvRmT1_PNSt15iterator_traitsISK_E10value_typeET2_T3_PNSL_ISQ_E10value_typeET4_jRbjT5_SW_jjP12ihipStream_tbEUlT_E2_NS1_11comp_targetILNS1_3genE9ELNS1_11target_archE1100ELNS1_3gpuE3ELNS1_3repE0EEENS1_30default_config_static_selectorELNS0_4arch9wavefront6targetE0EEEvSK_
	.p2align	8
	.type	_ZN7rocprim17ROCPRIM_400000_NS6detail17trampoline_kernelINS0_14default_configENS1_36segmented_radix_sort_config_selectorIalEEZNS1_25segmented_radix_sort_implIS3_Lb1EPKaPaPKlPlN2at6native12_GLOBAL__N_18offset_tEEE10hipError_tPvRmT1_PNSt15iterator_traitsISK_E10value_typeET2_T3_PNSL_ISQ_E10value_typeET4_jRbjT5_SW_jjP12ihipStream_tbEUlT_E2_NS1_11comp_targetILNS1_3genE9ELNS1_11target_archE1100ELNS1_3gpuE3ELNS1_3repE0EEENS1_30default_config_static_selectorELNS0_4arch9wavefront6targetE0EEEvSK_,@function
_ZN7rocprim17ROCPRIM_400000_NS6detail17trampoline_kernelINS0_14default_configENS1_36segmented_radix_sort_config_selectorIalEEZNS1_25segmented_radix_sort_implIS3_Lb1EPKaPaPKlPlN2at6native12_GLOBAL__N_18offset_tEEE10hipError_tPvRmT1_PNSt15iterator_traitsISK_E10value_typeET2_T3_PNSL_ISQ_E10value_typeET4_jRbjT5_SW_jjP12ihipStream_tbEUlT_E2_NS1_11comp_targetILNS1_3genE9ELNS1_11target_archE1100ELNS1_3gpuE3ELNS1_3repE0EEENS1_30default_config_static_selectorELNS0_4arch9wavefront6targetE0EEEvSK_: ; @_ZN7rocprim17ROCPRIM_400000_NS6detail17trampoline_kernelINS0_14default_configENS1_36segmented_radix_sort_config_selectorIalEEZNS1_25segmented_radix_sort_implIS3_Lb1EPKaPaPKlPlN2at6native12_GLOBAL__N_18offset_tEEE10hipError_tPvRmT1_PNSt15iterator_traitsISK_E10value_typeET2_T3_PNSL_ISQ_E10value_typeET4_jRbjT5_SW_jjP12ihipStream_tbEUlT_E2_NS1_11comp_targetILNS1_3genE9ELNS1_11target_archE1100ELNS1_3gpuE3ELNS1_3repE0EEENS1_30default_config_static_selectorELNS0_4arch9wavefront6targetE0EEEvSK_
; %bb.0:
	.section	.rodata,"a",@progbits
	.p2align	6, 0x0
	.amdhsa_kernel _ZN7rocprim17ROCPRIM_400000_NS6detail17trampoline_kernelINS0_14default_configENS1_36segmented_radix_sort_config_selectorIalEEZNS1_25segmented_radix_sort_implIS3_Lb1EPKaPaPKlPlN2at6native12_GLOBAL__N_18offset_tEEE10hipError_tPvRmT1_PNSt15iterator_traitsISK_E10value_typeET2_T3_PNSL_ISQ_E10value_typeET4_jRbjT5_SW_jjP12ihipStream_tbEUlT_E2_NS1_11comp_targetILNS1_3genE9ELNS1_11target_archE1100ELNS1_3gpuE3ELNS1_3repE0EEENS1_30default_config_static_selectorELNS0_4arch9wavefront6targetE0EEEvSK_
		.amdhsa_group_segment_fixed_size 0
		.amdhsa_private_segment_fixed_size 0
		.amdhsa_kernarg_size 80
		.amdhsa_user_sgpr_count 2
		.amdhsa_user_sgpr_dispatch_ptr 0
		.amdhsa_user_sgpr_queue_ptr 0
		.amdhsa_user_sgpr_kernarg_segment_ptr 1
		.amdhsa_user_sgpr_dispatch_id 0
		.amdhsa_user_sgpr_private_segment_size 0
		.amdhsa_wavefront_size32 1
		.amdhsa_uses_dynamic_stack 0
		.amdhsa_enable_private_segment 0
		.amdhsa_system_sgpr_workgroup_id_x 1
		.amdhsa_system_sgpr_workgroup_id_y 0
		.amdhsa_system_sgpr_workgroup_id_z 0
		.amdhsa_system_sgpr_workgroup_info 0
		.amdhsa_system_vgpr_workitem_id 0
		.amdhsa_next_free_vgpr 1
		.amdhsa_next_free_sgpr 1
		.amdhsa_reserve_vcc 0
		.amdhsa_float_round_mode_32 0
		.amdhsa_float_round_mode_16_64 0
		.amdhsa_float_denorm_mode_32 3
		.amdhsa_float_denorm_mode_16_64 3
		.amdhsa_fp16_overflow 0
		.amdhsa_workgroup_processor_mode 1
		.amdhsa_memory_ordered 1
		.amdhsa_forward_progress 1
		.amdhsa_inst_pref_size 0
		.amdhsa_round_robin_scheduling 0
		.amdhsa_exception_fp_ieee_invalid_op 0
		.amdhsa_exception_fp_denorm_src 0
		.amdhsa_exception_fp_ieee_div_zero 0
		.amdhsa_exception_fp_ieee_overflow 0
		.amdhsa_exception_fp_ieee_underflow 0
		.amdhsa_exception_fp_ieee_inexact 0
		.amdhsa_exception_int_div_zero 0
	.end_amdhsa_kernel
	.section	.text._ZN7rocprim17ROCPRIM_400000_NS6detail17trampoline_kernelINS0_14default_configENS1_36segmented_radix_sort_config_selectorIalEEZNS1_25segmented_radix_sort_implIS3_Lb1EPKaPaPKlPlN2at6native12_GLOBAL__N_18offset_tEEE10hipError_tPvRmT1_PNSt15iterator_traitsISK_E10value_typeET2_T3_PNSL_ISQ_E10value_typeET4_jRbjT5_SW_jjP12ihipStream_tbEUlT_E2_NS1_11comp_targetILNS1_3genE9ELNS1_11target_archE1100ELNS1_3gpuE3ELNS1_3repE0EEENS1_30default_config_static_selectorELNS0_4arch9wavefront6targetE0EEEvSK_,"axG",@progbits,_ZN7rocprim17ROCPRIM_400000_NS6detail17trampoline_kernelINS0_14default_configENS1_36segmented_radix_sort_config_selectorIalEEZNS1_25segmented_radix_sort_implIS3_Lb1EPKaPaPKlPlN2at6native12_GLOBAL__N_18offset_tEEE10hipError_tPvRmT1_PNSt15iterator_traitsISK_E10value_typeET2_T3_PNSL_ISQ_E10value_typeET4_jRbjT5_SW_jjP12ihipStream_tbEUlT_E2_NS1_11comp_targetILNS1_3genE9ELNS1_11target_archE1100ELNS1_3gpuE3ELNS1_3repE0EEENS1_30default_config_static_selectorELNS0_4arch9wavefront6targetE0EEEvSK_,comdat
.Lfunc_end327:
	.size	_ZN7rocprim17ROCPRIM_400000_NS6detail17trampoline_kernelINS0_14default_configENS1_36segmented_radix_sort_config_selectorIalEEZNS1_25segmented_radix_sort_implIS3_Lb1EPKaPaPKlPlN2at6native12_GLOBAL__N_18offset_tEEE10hipError_tPvRmT1_PNSt15iterator_traitsISK_E10value_typeET2_T3_PNSL_ISQ_E10value_typeET4_jRbjT5_SW_jjP12ihipStream_tbEUlT_E2_NS1_11comp_targetILNS1_3genE9ELNS1_11target_archE1100ELNS1_3gpuE3ELNS1_3repE0EEENS1_30default_config_static_selectorELNS0_4arch9wavefront6targetE0EEEvSK_, .Lfunc_end327-_ZN7rocprim17ROCPRIM_400000_NS6detail17trampoline_kernelINS0_14default_configENS1_36segmented_radix_sort_config_selectorIalEEZNS1_25segmented_radix_sort_implIS3_Lb1EPKaPaPKlPlN2at6native12_GLOBAL__N_18offset_tEEE10hipError_tPvRmT1_PNSt15iterator_traitsISK_E10value_typeET2_T3_PNSL_ISQ_E10value_typeET4_jRbjT5_SW_jjP12ihipStream_tbEUlT_E2_NS1_11comp_targetILNS1_3genE9ELNS1_11target_archE1100ELNS1_3gpuE3ELNS1_3repE0EEENS1_30default_config_static_selectorELNS0_4arch9wavefront6targetE0EEEvSK_
                                        ; -- End function
	.set _ZN7rocprim17ROCPRIM_400000_NS6detail17trampoline_kernelINS0_14default_configENS1_36segmented_radix_sort_config_selectorIalEEZNS1_25segmented_radix_sort_implIS3_Lb1EPKaPaPKlPlN2at6native12_GLOBAL__N_18offset_tEEE10hipError_tPvRmT1_PNSt15iterator_traitsISK_E10value_typeET2_T3_PNSL_ISQ_E10value_typeET4_jRbjT5_SW_jjP12ihipStream_tbEUlT_E2_NS1_11comp_targetILNS1_3genE9ELNS1_11target_archE1100ELNS1_3gpuE3ELNS1_3repE0EEENS1_30default_config_static_selectorELNS0_4arch9wavefront6targetE0EEEvSK_.num_vgpr, 0
	.set _ZN7rocprim17ROCPRIM_400000_NS6detail17trampoline_kernelINS0_14default_configENS1_36segmented_radix_sort_config_selectorIalEEZNS1_25segmented_radix_sort_implIS3_Lb1EPKaPaPKlPlN2at6native12_GLOBAL__N_18offset_tEEE10hipError_tPvRmT1_PNSt15iterator_traitsISK_E10value_typeET2_T3_PNSL_ISQ_E10value_typeET4_jRbjT5_SW_jjP12ihipStream_tbEUlT_E2_NS1_11comp_targetILNS1_3genE9ELNS1_11target_archE1100ELNS1_3gpuE3ELNS1_3repE0EEENS1_30default_config_static_selectorELNS0_4arch9wavefront6targetE0EEEvSK_.num_agpr, 0
	.set _ZN7rocprim17ROCPRIM_400000_NS6detail17trampoline_kernelINS0_14default_configENS1_36segmented_radix_sort_config_selectorIalEEZNS1_25segmented_radix_sort_implIS3_Lb1EPKaPaPKlPlN2at6native12_GLOBAL__N_18offset_tEEE10hipError_tPvRmT1_PNSt15iterator_traitsISK_E10value_typeET2_T3_PNSL_ISQ_E10value_typeET4_jRbjT5_SW_jjP12ihipStream_tbEUlT_E2_NS1_11comp_targetILNS1_3genE9ELNS1_11target_archE1100ELNS1_3gpuE3ELNS1_3repE0EEENS1_30default_config_static_selectorELNS0_4arch9wavefront6targetE0EEEvSK_.numbered_sgpr, 0
	.set _ZN7rocprim17ROCPRIM_400000_NS6detail17trampoline_kernelINS0_14default_configENS1_36segmented_radix_sort_config_selectorIalEEZNS1_25segmented_radix_sort_implIS3_Lb1EPKaPaPKlPlN2at6native12_GLOBAL__N_18offset_tEEE10hipError_tPvRmT1_PNSt15iterator_traitsISK_E10value_typeET2_T3_PNSL_ISQ_E10value_typeET4_jRbjT5_SW_jjP12ihipStream_tbEUlT_E2_NS1_11comp_targetILNS1_3genE9ELNS1_11target_archE1100ELNS1_3gpuE3ELNS1_3repE0EEENS1_30default_config_static_selectorELNS0_4arch9wavefront6targetE0EEEvSK_.num_named_barrier, 0
	.set _ZN7rocprim17ROCPRIM_400000_NS6detail17trampoline_kernelINS0_14default_configENS1_36segmented_radix_sort_config_selectorIalEEZNS1_25segmented_radix_sort_implIS3_Lb1EPKaPaPKlPlN2at6native12_GLOBAL__N_18offset_tEEE10hipError_tPvRmT1_PNSt15iterator_traitsISK_E10value_typeET2_T3_PNSL_ISQ_E10value_typeET4_jRbjT5_SW_jjP12ihipStream_tbEUlT_E2_NS1_11comp_targetILNS1_3genE9ELNS1_11target_archE1100ELNS1_3gpuE3ELNS1_3repE0EEENS1_30default_config_static_selectorELNS0_4arch9wavefront6targetE0EEEvSK_.private_seg_size, 0
	.set _ZN7rocprim17ROCPRIM_400000_NS6detail17trampoline_kernelINS0_14default_configENS1_36segmented_radix_sort_config_selectorIalEEZNS1_25segmented_radix_sort_implIS3_Lb1EPKaPaPKlPlN2at6native12_GLOBAL__N_18offset_tEEE10hipError_tPvRmT1_PNSt15iterator_traitsISK_E10value_typeET2_T3_PNSL_ISQ_E10value_typeET4_jRbjT5_SW_jjP12ihipStream_tbEUlT_E2_NS1_11comp_targetILNS1_3genE9ELNS1_11target_archE1100ELNS1_3gpuE3ELNS1_3repE0EEENS1_30default_config_static_selectorELNS0_4arch9wavefront6targetE0EEEvSK_.uses_vcc, 0
	.set _ZN7rocprim17ROCPRIM_400000_NS6detail17trampoline_kernelINS0_14default_configENS1_36segmented_radix_sort_config_selectorIalEEZNS1_25segmented_radix_sort_implIS3_Lb1EPKaPaPKlPlN2at6native12_GLOBAL__N_18offset_tEEE10hipError_tPvRmT1_PNSt15iterator_traitsISK_E10value_typeET2_T3_PNSL_ISQ_E10value_typeET4_jRbjT5_SW_jjP12ihipStream_tbEUlT_E2_NS1_11comp_targetILNS1_3genE9ELNS1_11target_archE1100ELNS1_3gpuE3ELNS1_3repE0EEENS1_30default_config_static_selectorELNS0_4arch9wavefront6targetE0EEEvSK_.uses_flat_scratch, 0
	.set _ZN7rocprim17ROCPRIM_400000_NS6detail17trampoline_kernelINS0_14default_configENS1_36segmented_radix_sort_config_selectorIalEEZNS1_25segmented_radix_sort_implIS3_Lb1EPKaPaPKlPlN2at6native12_GLOBAL__N_18offset_tEEE10hipError_tPvRmT1_PNSt15iterator_traitsISK_E10value_typeET2_T3_PNSL_ISQ_E10value_typeET4_jRbjT5_SW_jjP12ihipStream_tbEUlT_E2_NS1_11comp_targetILNS1_3genE9ELNS1_11target_archE1100ELNS1_3gpuE3ELNS1_3repE0EEENS1_30default_config_static_selectorELNS0_4arch9wavefront6targetE0EEEvSK_.has_dyn_sized_stack, 0
	.set _ZN7rocprim17ROCPRIM_400000_NS6detail17trampoline_kernelINS0_14default_configENS1_36segmented_radix_sort_config_selectorIalEEZNS1_25segmented_radix_sort_implIS3_Lb1EPKaPaPKlPlN2at6native12_GLOBAL__N_18offset_tEEE10hipError_tPvRmT1_PNSt15iterator_traitsISK_E10value_typeET2_T3_PNSL_ISQ_E10value_typeET4_jRbjT5_SW_jjP12ihipStream_tbEUlT_E2_NS1_11comp_targetILNS1_3genE9ELNS1_11target_archE1100ELNS1_3gpuE3ELNS1_3repE0EEENS1_30default_config_static_selectorELNS0_4arch9wavefront6targetE0EEEvSK_.has_recursion, 0
	.set _ZN7rocprim17ROCPRIM_400000_NS6detail17trampoline_kernelINS0_14default_configENS1_36segmented_radix_sort_config_selectorIalEEZNS1_25segmented_radix_sort_implIS3_Lb1EPKaPaPKlPlN2at6native12_GLOBAL__N_18offset_tEEE10hipError_tPvRmT1_PNSt15iterator_traitsISK_E10value_typeET2_T3_PNSL_ISQ_E10value_typeET4_jRbjT5_SW_jjP12ihipStream_tbEUlT_E2_NS1_11comp_targetILNS1_3genE9ELNS1_11target_archE1100ELNS1_3gpuE3ELNS1_3repE0EEENS1_30default_config_static_selectorELNS0_4arch9wavefront6targetE0EEEvSK_.has_indirect_call, 0
	.section	.AMDGPU.csdata,"",@progbits
; Kernel info:
; codeLenInByte = 0
; TotalNumSgprs: 0
; NumVgprs: 0
; ScratchSize: 0
; MemoryBound: 0
; FloatMode: 240
; IeeeMode: 1
; LDSByteSize: 0 bytes/workgroup (compile time only)
; SGPRBlocks: 0
; VGPRBlocks: 0
; NumSGPRsForWavesPerEU: 1
; NumVGPRsForWavesPerEU: 1
; Occupancy: 16
; WaveLimiterHint : 0
; COMPUTE_PGM_RSRC2:SCRATCH_EN: 0
; COMPUTE_PGM_RSRC2:USER_SGPR: 2
; COMPUTE_PGM_RSRC2:TRAP_HANDLER: 0
; COMPUTE_PGM_RSRC2:TGID_X_EN: 1
; COMPUTE_PGM_RSRC2:TGID_Y_EN: 0
; COMPUTE_PGM_RSRC2:TGID_Z_EN: 0
; COMPUTE_PGM_RSRC2:TIDIG_COMP_CNT: 0
	.section	.text._ZN7rocprim17ROCPRIM_400000_NS6detail17trampoline_kernelINS0_14default_configENS1_36segmented_radix_sort_config_selectorIalEEZNS1_25segmented_radix_sort_implIS3_Lb1EPKaPaPKlPlN2at6native12_GLOBAL__N_18offset_tEEE10hipError_tPvRmT1_PNSt15iterator_traitsISK_E10value_typeET2_T3_PNSL_ISQ_E10value_typeET4_jRbjT5_SW_jjP12ihipStream_tbEUlT_E2_NS1_11comp_targetILNS1_3genE8ELNS1_11target_archE1030ELNS1_3gpuE2ELNS1_3repE0EEENS1_30default_config_static_selectorELNS0_4arch9wavefront6targetE0EEEvSK_,"axG",@progbits,_ZN7rocprim17ROCPRIM_400000_NS6detail17trampoline_kernelINS0_14default_configENS1_36segmented_radix_sort_config_selectorIalEEZNS1_25segmented_radix_sort_implIS3_Lb1EPKaPaPKlPlN2at6native12_GLOBAL__N_18offset_tEEE10hipError_tPvRmT1_PNSt15iterator_traitsISK_E10value_typeET2_T3_PNSL_ISQ_E10value_typeET4_jRbjT5_SW_jjP12ihipStream_tbEUlT_E2_NS1_11comp_targetILNS1_3genE8ELNS1_11target_archE1030ELNS1_3gpuE2ELNS1_3repE0EEENS1_30default_config_static_selectorELNS0_4arch9wavefront6targetE0EEEvSK_,comdat
	.globl	_ZN7rocprim17ROCPRIM_400000_NS6detail17trampoline_kernelINS0_14default_configENS1_36segmented_radix_sort_config_selectorIalEEZNS1_25segmented_radix_sort_implIS3_Lb1EPKaPaPKlPlN2at6native12_GLOBAL__N_18offset_tEEE10hipError_tPvRmT1_PNSt15iterator_traitsISK_E10value_typeET2_T3_PNSL_ISQ_E10value_typeET4_jRbjT5_SW_jjP12ihipStream_tbEUlT_E2_NS1_11comp_targetILNS1_3genE8ELNS1_11target_archE1030ELNS1_3gpuE2ELNS1_3repE0EEENS1_30default_config_static_selectorELNS0_4arch9wavefront6targetE0EEEvSK_ ; -- Begin function _ZN7rocprim17ROCPRIM_400000_NS6detail17trampoline_kernelINS0_14default_configENS1_36segmented_radix_sort_config_selectorIalEEZNS1_25segmented_radix_sort_implIS3_Lb1EPKaPaPKlPlN2at6native12_GLOBAL__N_18offset_tEEE10hipError_tPvRmT1_PNSt15iterator_traitsISK_E10value_typeET2_T3_PNSL_ISQ_E10value_typeET4_jRbjT5_SW_jjP12ihipStream_tbEUlT_E2_NS1_11comp_targetILNS1_3genE8ELNS1_11target_archE1030ELNS1_3gpuE2ELNS1_3repE0EEENS1_30default_config_static_selectorELNS0_4arch9wavefront6targetE0EEEvSK_
	.p2align	8
	.type	_ZN7rocprim17ROCPRIM_400000_NS6detail17trampoline_kernelINS0_14default_configENS1_36segmented_radix_sort_config_selectorIalEEZNS1_25segmented_radix_sort_implIS3_Lb1EPKaPaPKlPlN2at6native12_GLOBAL__N_18offset_tEEE10hipError_tPvRmT1_PNSt15iterator_traitsISK_E10value_typeET2_T3_PNSL_ISQ_E10value_typeET4_jRbjT5_SW_jjP12ihipStream_tbEUlT_E2_NS1_11comp_targetILNS1_3genE8ELNS1_11target_archE1030ELNS1_3gpuE2ELNS1_3repE0EEENS1_30default_config_static_selectorELNS0_4arch9wavefront6targetE0EEEvSK_,@function
_ZN7rocprim17ROCPRIM_400000_NS6detail17trampoline_kernelINS0_14default_configENS1_36segmented_radix_sort_config_selectorIalEEZNS1_25segmented_radix_sort_implIS3_Lb1EPKaPaPKlPlN2at6native12_GLOBAL__N_18offset_tEEE10hipError_tPvRmT1_PNSt15iterator_traitsISK_E10value_typeET2_T3_PNSL_ISQ_E10value_typeET4_jRbjT5_SW_jjP12ihipStream_tbEUlT_E2_NS1_11comp_targetILNS1_3genE8ELNS1_11target_archE1030ELNS1_3gpuE2ELNS1_3repE0EEENS1_30default_config_static_selectorELNS0_4arch9wavefront6targetE0EEEvSK_: ; @_ZN7rocprim17ROCPRIM_400000_NS6detail17trampoline_kernelINS0_14default_configENS1_36segmented_radix_sort_config_selectorIalEEZNS1_25segmented_radix_sort_implIS3_Lb1EPKaPaPKlPlN2at6native12_GLOBAL__N_18offset_tEEE10hipError_tPvRmT1_PNSt15iterator_traitsISK_E10value_typeET2_T3_PNSL_ISQ_E10value_typeET4_jRbjT5_SW_jjP12ihipStream_tbEUlT_E2_NS1_11comp_targetILNS1_3genE8ELNS1_11target_archE1030ELNS1_3gpuE2ELNS1_3repE0EEENS1_30default_config_static_selectorELNS0_4arch9wavefront6targetE0EEEvSK_
; %bb.0:
	.section	.rodata,"a",@progbits
	.p2align	6, 0x0
	.amdhsa_kernel _ZN7rocprim17ROCPRIM_400000_NS6detail17trampoline_kernelINS0_14default_configENS1_36segmented_radix_sort_config_selectorIalEEZNS1_25segmented_radix_sort_implIS3_Lb1EPKaPaPKlPlN2at6native12_GLOBAL__N_18offset_tEEE10hipError_tPvRmT1_PNSt15iterator_traitsISK_E10value_typeET2_T3_PNSL_ISQ_E10value_typeET4_jRbjT5_SW_jjP12ihipStream_tbEUlT_E2_NS1_11comp_targetILNS1_3genE8ELNS1_11target_archE1030ELNS1_3gpuE2ELNS1_3repE0EEENS1_30default_config_static_selectorELNS0_4arch9wavefront6targetE0EEEvSK_
		.amdhsa_group_segment_fixed_size 0
		.amdhsa_private_segment_fixed_size 0
		.amdhsa_kernarg_size 80
		.amdhsa_user_sgpr_count 2
		.amdhsa_user_sgpr_dispatch_ptr 0
		.amdhsa_user_sgpr_queue_ptr 0
		.amdhsa_user_sgpr_kernarg_segment_ptr 1
		.amdhsa_user_sgpr_dispatch_id 0
		.amdhsa_user_sgpr_private_segment_size 0
		.amdhsa_wavefront_size32 1
		.amdhsa_uses_dynamic_stack 0
		.amdhsa_enable_private_segment 0
		.amdhsa_system_sgpr_workgroup_id_x 1
		.amdhsa_system_sgpr_workgroup_id_y 0
		.amdhsa_system_sgpr_workgroup_id_z 0
		.amdhsa_system_sgpr_workgroup_info 0
		.amdhsa_system_vgpr_workitem_id 0
		.amdhsa_next_free_vgpr 1
		.amdhsa_next_free_sgpr 1
		.amdhsa_reserve_vcc 0
		.amdhsa_float_round_mode_32 0
		.amdhsa_float_round_mode_16_64 0
		.amdhsa_float_denorm_mode_32 3
		.amdhsa_float_denorm_mode_16_64 3
		.amdhsa_fp16_overflow 0
		.amdhsa_workgroup_processor_mode 1
		.amdhsa_memory_ordered 1
		.amdhsa_forward_progress 1
		.amdhsa_inst_pref_size 0
		.amdhsa_round_robin_scheduling 0
		.amdhsa_exception_fp_ieee_invalid_op 0
		.amdhsa_exception_fp_denorm_src 0
		.amdhsa_exception_fp_ieee_div_zero 0
		.amdhsa_exception_fp_ieee_overflow 0
		.amdhsa_exception_fp_ieee_underflow 0
		.amdhsa_exception_fp_ieee_inexact 0
		.amdhsa_exception_int_div_zero 0
	.end_amdhsa_kernel
	.section	.text._ZN7rocprim17ROCPRIM_400000_NS6detail17trampoline_kernelINS0_14default_configENS1_36segmented_radix_sort_config_selectorIalEEZNS1_25segmented_radix_sort_implIS3_Lb1EPKaPaPKlPlN2at6native12_GLOBAL__N_18offset_tEEE10hipError_tPvRmT1_PNSt15iterator_traitsISK_E10value_typeET2_T3_PNSL_ISQ_E10value_typeET4_jRbjT5_SW_jjP12ihipStream_tbEUlT_E2_NS1_11comp_targetILNS1_3genE8ELNS1_11target_archE1030ELNS1_3gpuE2ELNS1_3repE0EEENS1_30default_config_static_selectorELNS0_4arch9wavefront6targetE0EEEvSK_,"axG",@progbits,_ZN7rocprim17ROCPRIM_400000_NS6detail17trampoline_kernelINS0_14default_configENS1_36segmented_radix_sort_config_selectorIalEEZNS1_25segmented_radix_sort_implIS3_Lb1EPKaPaPKlPlN2at6native12_GLOBAL__N_18offset_tEEE10hipError_tPvRmT1_PNSt15iterator_traitsISK_E10value_typeET2_T3_PNSL_ISQ_E10value_typeET4_jRbjT5_SW_jjP12ihipStream_tbEUlT_E2_NS1_11comp_targetILNS1_3genE8ELNS1_11target_archE1030ELNS1_3gpuE2ELNS1_3repE0EEENS1_30default_config_static_selectorELNS0_4arch9wavefront6targetE0EEEvSK_,comdat
.Lfunc_end328:
	.size	_ZN7rocprim17ROCPRIM_400000_NS6detail17trampoline_kernelINS0_14default_configENS1_36segmented_radix_sort_config_selectorIalEEZNS1_25segmented_radix_sort_implIS3_Lb1EPKaPaPKlPlN2at6native12_GLOBAL__N_18offset_tEEE10hipError_tPvRmT1_PNSt15iterator_traitsISK_E10value_typeET2_T3_PNSL_ISQ_E10value_typeET4_jRbjT5_SW_jjP12ihipStream_tbEUlT_E2_NS1_11comp_targetILNS1_3genE8ELNS1_11target_archE1030ELNS1_3gpuE2ELNS1_3repE0EEENS1_30default_config_static_selectorELNS0_4arch9wavefront6targetE0EEEvSK_, .Lfunc_end328-_ZN7rocprim17ROCPRIM_400000_NS6detail17trampoline_kernelINS0_14default_configENS1_36segmented_radix_sort_config_selectorIalEEZNS1_25segmented_radix_sort_implIS3_Lb1EPKaPaPKlPlN2at6native12_GLOBAL__N_18offset_tEEE10hipError_tPvRmT1_PNSt15iterator_traitsISK_E10value_typeET2_T3_PNSL_ISQ_E10value_typeET4_jRbjT5_SW_jjP12ihipStream_tbEUlT_E2_NS1_11comp_targetILNS1_3genE8ELNS1_11target_archE1030ELNS1_3gpuE2ELNS1_3repE0EEENS1_30default_config_static_selectorELNS0_4arch9wavefront6targetE0EEEvSK_
                                        ; -- End function
	.set _ZN7rocprim17ROCPRIM_400000_NS6detail17trampoline_kernelINS0_14default_configENS1_36segmented_radix_sort_config_selectorIalEEZNS1_25segmented_radix_sort_implIS3_Lb1EPKaPaPKlPlN2at6native12_GLOBAL__N_18offset_tEEE10hipError_tPvRmT1_PNSt15iterator_traitsISK_E10value_typeET2_T3_PNSL_ISQ_E10value_typeET4_jRbjT5_SW_jjP12ihipStream_tbEUlT_E2_NS1_11comp_targetILNS1_3genE8ELNS1_11target_archE1030ELNS1_3gpuE2ELNS1_3repE0EEENS1_30default_config_static_selectorELNS0_4arch9wavefront6targetE0EEEvSK_.num_vgpr, 0
	.set _ZN7rocprim17ROCPRIM_400000_NS6detail17trampoline_kernelINS0_14default_configENS1_36segmented_radix_sort_config_selectorIalEEZNS1_25segmented_radix_sort_implIS3_Lb1EPKaPaPKlPlN2at6native12_GLOBAL__N_18offset_tEEE10hipError_tPvRmT1_PNSt15iterator_traitsISK_E10value_typeET2_T3_PNSL_ISQ_E10value_typeET4_jRbjT5_SW_jjP12ihipStream_tbEUlT_E2_NS1_11comp_targetILNS1_3genE8ELNS1_11target_archE1030ELNS1_3gpuE2ELNS1_3repE0EEENS1_30default_config_static_selectorELNS0_4arch9wavefront6targetE0EEEvSK_.num_agpr, 0
	.set _ZN7rocprim17ROCPRIM_400000_NS6detail17trampoline_kernelINS0_14default_configENS1_36segmented_radix_sort_config_selectorIalEEZNS1_25segmented_radix_sort_implIS3_Lb1EPKaPaPKlPlN2at6native12_GLOBAL__N_18offset_tEEE10hipError_tPvRmT1_PNSt15iterator_traitsISK_E10value_typeET2_T3_PNSL_ISQ_E10value_typeET4_jRbjT5_SW_jjP12ihipStream_tbEUlT_E2_NS1_11comp_targetILNS1_3genE8ELNS1_11target_archE1030ELNS1_3gpuE2ELNS1_3repE0EEENS1_30default_config_static_selectorELNS0_4arch9wavefront6targetE0EEEvSK_.numbered_sgpr, 0
	.set _ZN7rocprim17ROCPRIM_400000_NS6detail17trampoline_kernelINS0_14default_configENS1_36segmented_radix_sort_config_selectorIalEEZNS1_25segmented_radix_sort_implIS3_Lb1EPKaPaPKlPlN2at6native12_GLOBAL__N_18offset_tEEE10hipError_tPvRmT1_PNSt15iterator_traitsISK_E10value_typeET2_T3_PNSL_ISQ_E10value_typeET4_jRbjT5_SW_jjP12ihipStream_tbEUlT_E2_NS1_11comp_targetILNS1_3genE8ELNS1_11target_archE1030ELNS1_3gpuE2ELNS1_3repE0EEENS1_30default_config_static_selectorELNS0_4arch9wavefront6targetE0EEEvSK_.num_named_barrier, 0
	.set _ZN7rocprim17ROCPRIM_400000_NS6detail17trampoline_kernelINS0_14default_configENS1_36segmented_radix_sort_config_selectorIalEEZNS1_25segmented_radix_sort_implIS3_Lb1EPKaPaPKlPlN2at6native12_GLOBAL__N_18offset_tEEE10hipError_tPvRmT1_PNSt15iterator_traitsISK_E10value_typeET2_T3_PNSL_ISQ_E10value_typeET4_jRbjT5_SW_jjP12ihipStream_tbEUlT_E2_NS1_11comp_targetILNS1_3genE8ELNS1_11target_archE1030ELNS1_3gpuE2ELNS1_3repE0EEENS1_30default_config_static_selectorELNS0_4arch9wavefront6targetE0EEEvSK_.private_seg_size, 0
	.set _ZN7rocprim17ROCPRIM_400000_NS6detail17trampoline_kernelINS0_14default_configENS1_36segmented_radix_sort_config_selectorIalEEZNS1_25segmented_radix_sort_implIS3_Lb1EPKaPaPKlPlN2at6native12_GLOBAL__N_18offset_tEEE10hipError_tPvRmT1_PNSt15iterator_traitsISK_E10value_typeET2_T3_PNSL_ISQ_E10value_typeET4_jRbjT5_SW_jjP12ihipStream_tbEUlT_E2_NS1_11comp_targetILNS1_3genE8ELNS1_11target_archE1030ELNS1_3gpuE2ELNS1_3repE0EEENS1_30default_config_static_selectorELNS0_4arch9wavefront6targetE0EEEvSK_.uses_vcc, 0
	.set _ZN7rocprim17ROCPRIM_400000_NS6detail17trampoline_kernelINS0_14default_configENS1_36segmented_radix_sort_config_selectorIalEEZNS1_25segmented_radix_sort_implIS3_Lb1EPKaPaPKlPlN2at6native12_GLOBAL__N_18offset_tEEE10hipError_tPvRmT1_PNSt15iterator_traitsISK_E10value_typeET2_T3_PNSL_ISQ_E10value_typeET4_jRbjT5_SW_jjP12ihipStream_tbEUlT_E2_NS1_11comp_targetILNS1_3genE8ELNS1_11target_archE1030ELNS1_3gpuE2ELNS1_3repE0EEENS1_30default_config_static_selectorELNS0_4arch9wavefront6targetE0EEEvSK_.uses_flat_scratch, 0
	.set _ZN7rocprim17ROCPRIM_400000_NS6detail17trampoline_kernelINS0_14default_configENS1_36segmented_radix_sort_config_selectorIalEEZNS1_25segmented_radix_sort_implIS3_Lb1EPKaPaPKlPlN2at6native12_GLOBAL__N_18offset_tEEE10hipError_tPvRmT1_PNSt15iterator_traitsISK_E10value_typeET2_T3_PNSL_ISQ_E10value_typeET4_jRbjT5_SW_jjP12ihipStream_tbEUlT_E2_NS1_11comp_targetILNS1_3genE8ELNS1_11target_archE1030ELNS1_3gpuE2ELNS1_3repE0EEENS1_30default_config_static_selectorELNS0_4arch9wavefront6targetE0EEEvSK_.has_dyn_sized_stack, 0
	.set _ZN7rocprim17ROCPRIM_400000_NS6detail17trampoline_kernelINS0_14default_configENS1_36segmented_radix_sort_config_selectorIalEEZNS1_25segmented_radix_sort_implIS3_Lb1EPKaPaPKlPlN2at6native12_GLOBAL__N_18offset_tEEE10hipError_tPvRmT1_PNSt15iterator_traitsISK_E10value_typeET2_T3_PNSL_ISQ_E10value_typeET4_jRbjT5_SW_jjP12ihipStream_tbEUlT_E2_NS1_11comp_targetILNS1_3genE8ELNS1_11target_archE1030ELNS1_3gpuE2ELNS1_3repE0EEENS1_30default_config_static_selectorELNS0_4arch9wavefront6targetE0EEEvSK_.has_recursion, 0
	.set _ZN7rocprim17ROCPRIM_400000_NS6detail17trampoline_kernelINS0_14default_configENS1_36segmented_radix_sort_config_selectorIalEEZNS1_25segmented_radix_sort_implIS3_Lb1EPKaPaPKlPlN2at6native12_GLOBAL__N_18offset_tEEE10hipError_tPvRmT1_PNSt15iterator_traitsISK_E10value_typeET2_T3_PNSL_ISQ_E10value_typeET4_jRbjT5_SW_jjP12ihipStream_tbEUlT_E2_NS1_11comp_targetILNS1_3genE8ELNS1_11target_archE1030ELNS1_3gpuE2ELNS1_3repE0EEENS1_30default_config_static_selectorELNS0_4arch9wavefront6targetE0EEEvSK_.has_indirect_call, 0
	.section	.AMDGPU.csdata,"",@progbits
; Kernel info:
; codeLenInByte = 0
; TotalNumSgprs: 0
; NumVgprs: 0
; ScratchSize: 0
; MemoryBound: 0
; FloatMode: 240
; IeeeMode: 1
; LDSByteSize: 0 bytes/workgroup (compile time only)
; SGPRBlocks: 0
; VGPRBlocks: 0
; NumSGPRsForWavesPerEU: 1
; NumVGPRsForWavesPerEU: 1
; Occupancy: 16
; WaveLimiterHint : 0
; COMPUTE_PGM_RSRC2:SCRATCH_EN: 0
; COMPUTE_PGM_RSRC2:USER_SGPR: 2
; COMPUTE_PGM_RSRC2:TRAP_HANDLER: 0
; COMPUTE_PGM_RSRC2:TGID_X_EN: 1
; COMPUTE_PGM_RSRC2:TGID_Y_EN: 0
; COMPUTE_PGM_RSRC2:TGID_Z_EN: 0
; COMPUTE_PGM_RSRC2:TIDIG_COMP_CNT: 0
	.section	.text._ZN7rocprim17ROCPRIM_400000_NS6detail17trampoline_kernelINS0_13select_configILj256ELj13ELNS0_17block_load_methodE3ELS4_3ELS4_3ELNS0_20block_scan_algorithmE0ELj4294967295EEENS1_25partition_config_selectorILNS1_17partition_subalgoE4EjNS0_10empty_typeEbEEZZNS1_14partition_implILS8_4ELb0ES6_15HIP_vector_typeIjLj2EENS0_17counting_iteratorIjlEEPS9_SG_NS0_5tupleIJPjSI_NS0_16reverse_iteratorISI_EEEEENSH_IJSG_SG_SG_EEES9_SI_JZNS1_25segmented_radix_sort_implINS0_14default_configELb0EPKaPaPKlPlN2at6native12_GLOBAL__N_18offset_tEEE10hipError_tPvRmT1_PNSt15iterator_traitsIS12_E10value_typeET2_T3_PNS13_IS18_E10value_typeET4_jRbjT5_S1E_jjP12ihipStream_tbEUljE_ZNSN_ISO_Lb0ESQ_SR_ST_SU_SY_EESZ_S10_S11_S12_S16_S17_S18_S1B_S1C_jS1D_jS1E_S1E_jjS1G_bEUljE0_EEESZ_S10_S11_S18_S1C_S1E_T6_T7_T9_mT8_S1G_bDpT10_ENKUlT_T0_E_clISt17integral_constantIbLb0EES1U_EEDaS1P_S1Q_EUlS1P_E_NS1_11comp_targetILNS1_3genE0ELNS1_11target_archE4294967295ELNS1_3gpuE0ELNS1_3repE0EEENS1_30default_config_static_selectorELNS0_4arch9wavefront6targetE0EEEvS12_,"axG",@progbits,_ZN7rocprim17ROCPRIM_400000_NS6detail17trampoline_kernelINS0_13select_configILj256ELj13ELNS0_17block_load_methodE3ELS4_3ELS4_3ELNS0_20block_scan_algorithmE0ELj4294967295EEENS1_25partition_config_selectorILNS1_17partition_subalgoE4EjNS0_10empty_typeEbEEZZNS1_14partition_implILS8_4ELb0ES6_15HIP_vector_typeIjLj2EENS0_17counting_iteratorIjlEEPS9_SG_NS0_5tupleIJPjSI_NS0_16reverse_iteratorISI_EEEEENSH_IJSG_SG_SG_EEES9_SI_JZNS1_25segmented_radix_sort_implINS0_14default_configELb0EPKaPaPKlPlN2at6native12_GLOBAL__N_18offset_tEEE10hipError_tPvRmT1_PNSt15iterator_traitsIS12_E10value_typeET2_T3_PNS13_IS18_E10value_typeET4_jRbjT5_S1E_jjP12ihipStream_tbEUljE_ZNSN_ISO_Lb0ESQ_SR_ST_SU_SY_EESZ_S10_S11_S12_S16_S17_S18_S1B_S1C_jS1D_jS1E_S1E_jjS1G_bEUljE0_EEESZ_S10_S11_S18_S1C_S1E_T6_T7_T9_mT8_S1G_bDpT10_ENKUlT_T0_E_clISt17integral_constantIbLb0EES1U_EEDaS1P_S1Q_EUlS1P_E_NS1_11comp_targetILNS1_3genE0ELNS1_11target_archE4294967295ELNS1_3gpuE0ELNS1_3repE0EEENS1_30default_config_static_selectorELNS0_4arch9wavefront6targetE0EEEvS12_,comdat
	.globl	_ZN7rocprim17ROCPRIM_400000_NS6detail17trampoline_kernelINS0_13select_configILj256ELj13ELNS0_17block_load_methodE3ELS4_3ELS4_3ELNS0_20block_scan_algorithmE0ELj4294967295EEENS1_25partition_config_selectorILNS1_17partition_subalgoE4EjNS0_10empty_typeEbEEZZNS1_14partition_implILS8_4ELb0ES6_15HIP_vector_typeIjLj2EENS0_17counting_iteratorIjlEEPS9_SG_NS0_5tupleIJPjSI_NS0_16reverse_iteratorISI_EEEEENSH_IJSG_SG_SG_EEES9_SI_JZNS1_25segmented_radix_sort_implINS0_14default_configELb0EPKaPaPKlPlN2at6native12_GLOBAL__N_18offset_tEEE10hipError_tPvRmT1_PNSt15iterator_traitsIS12_E10value_typeET2_T3_PNS13_IS18_E10value_typeET4_jRbjT5_S1E_jjP12ihipStream_tbEUljE_ZNSN_ISO_Lb0ESQ_SR_ST_SU_SY_EESZ_S10_S11_S12_S16_S17_S18_S1B_S1C_jS1D_jS1E_S1E_jjS1G_bEUljE0_EEESZ_S10_S11_S18_S1C_S1E_T6_T7_T9_mT8_S1G_bDpT10_ENKUlT_T0_E_clISt17integral_constantIbLb0EES1U_EEDaS1P_S1Q_EUlS1P_E_NS1_11comp_targetILNS1_3genE0ELNS1_11target_archE4294967295ELNS1_3gpuE0ELNS1_3repE0EEENS1_30default_config_static_selectorELNS0_4arch9wavefront6targetE0EEEvS12_ ; -- Begin function _ZN7rocprim17ROCPRIM_400000_NS6detail17trampoline_kernelINS0_13select_configILj256ELj13ELNS0_17block_load_methodE3ELS4_3ELS4_3ELNS0_20block_scan_algorithmE0ELj4294967295EEENS1_25partition_config_selectorILNS1_17partition_subalgoE4EjNS0_10empty_typeEbEEZZNS1_14partition_implILS8_4ELb0ES6_15HIP_vector_typeIjLj2EENS0_17counting_iteratorIjlEEPS9_SG_NS0_5tupleIJPjSI_NS0_16reverse_iteratorISI_EEEEENSH_IJSG_SG_SG_EEES9_SI_JZNS1_25segmented_radix_sort_implINS0_14default_configELb0EPKaPaPKlPlN2at6native12_GLOBAL__N_18offset_tEEE10hipError_tPvRmT1_PNSt15iterator_traitsIS12_E10value_typeET2_T3_PNS13_IS18_E10value_typeET4_jRbjT5_S1E_jjP12ihipStream_tbEUljE_ZNSN_ISO_Lb0ESQ_SR_ST_SU_SY_EESZ_S10_S11_S12_S16_S17_S18_S1B_S1C_jS1D_jS1E_S1E_jjS1G_bEUljE0_EEESZ_S10_S11_S18_S1C_S1E_T6_T7_T9_mT8_S1G_bDpT10_ENKUlT_T0_E_clISt17integral_constantIbLb0EES1U_EEDaS1P_S1Q_EUlS1P_E_NS1_11comp_targetILNS1_3genE0ELNS1_11target_archE4294967295ELNS1_3gpuE0ELNS1_3repE0EEENS1_30default_config_static_selectorELNS0_4arch9wavefront6targetE0EEEvS12_
	.p2align	8
	.type	_ZN7rocprim17ROCPRIM_400000_NS6detail17trampoline_kernelINS0_13select_configILj256ELj13ELNS0_17block_load_methodE3ELS4_3ELS4_3ELNS0_20block_scan_algorithmE0ELj4294967295EEENS1_25partition_config_selectorILNS1_17partition_subalgoE4EjNS0_10empty_typeEbEEZZNS1_14partition_implILS8_4ELb0ES6_15HIP_vector_typeIjLj2EENS0_17counting_iteratorIjlEEPS9_SG_NS0_5tupleIJPjSI_NS0_16reverse_iteratorISI_EEEEENSH_IJSG_SG_SG_EEES9_SI_JZNS1_25segmented_radix_sort_implINS0_14default_configELb0EPKaPaPKlPlN2at6native12_GLOBAL__N_18offset_tEEE10hipError_tPvRmT1_PNSt15iterator_traitsIS12_E10value_typeET2_T3_PNS13_IS18_E10value_typeET4_jRbjT5_S1E_jjP12ihipStream_tbEUljE_ZNSN_ISO_Lb0ESQ_SR_ST_SU_SY_EESZ_S10_S11_S12_S16_S17_S18_S1B_S1C_jS1D_jS1E_S1E_jjS1G_bEUljE0_EEESZ_S10_S11_S18_S1C_S1E_T6_T7_T9_mT8_S1G_bDpT10_ENKUlT_T0_E_clISt17integral_constantIbLb0EES1U_EEDaS1P_S1Q_EUlS1P_E_NS1_11comp_targetILNS1_3genE0ELNS1_11target_archE4294967295ELNS1_3gpuE0ELNS1_3repE0EEENS1_30default_config_static_selectorELNS0_4arch9wavefront6targetE0EEEvS12_,@function
_ZN7rocprim17ROCPRIM_400000_NS6detail17trampoline_kernelINS0_13select_configILj256ELj13ELNS0_17block_load_methodE3ELS4_3ELS4_3ELNS0_20block_scan_algorithmE0ELj4294967295EEENS1_25partition_config_selectorILNS1_17partition_subalgoE4EjNS0_10empty_typeEbEEZZNS1_14partition_implILS8_4ELb0ES6_15HIP_vector_typeIjLj2EENS0_17counting_iteratorIjlEEPS9_SG_NS0_5tupleIJPjSI_NS0_16reverse_iteratorISI_EEEEENSH_IJSG_SG_SG_EEES9_SI_JZNS1_25segmented_radix_sort_implINS0_14default_configELb0EPKaPaPKlPlN2at6native12_GLOBAL__N_18offset_tEEE10hipError_tPvRmT1_PNSt15iterator_traitsIS12_E10value_typeET2_T3_PNS13_IS18_E10value_typeET4_jRbjT5_S1E_jjP12ihipStream_tbEUljE_ZNSN_ISO_Lb0ESQ_SR_ST_SU_SY_EESZ_S10_S11_S12_S16_S17_S18_S1B_S1C_jS1D_jS1E_S1E_jjS1G_bEUljE0_EEESZ_S10_S11_S18_S1C_S1E_T6_T7_T9_mT8_S1G_bDpT10_ENKUlT_T0_E_clISt17integral_constantIbLb0EES1U_EEDaS1P_S1Q_EUlS1P_E_NS1_11comp_targetILNS1_3genE0ELNS1_11target_archE4294967295ELNS1_3gpuE0ELNS1_3repE0EEENS1_30default_config_static_selectorELNS0_4arch9wavefront6targetE0EEEvS12_: ; @_ZN7rocprim17ROCPRIM_400000_NS6detail17trampoline_kernelINS0_13select_configILj256ELj13ELNS0_17block_load_methodE3ELS4_3ELS4_3ELNS0_20block_scan_algorithmE0ELj4294967295EEENS1_25partition_config_selectorILNS1_17partition_subalgoE4EjNS0_10empty_typeEbEEZZNS1_14partition_implILS8_4ELb0ES6_15HIP_vector_typeIjLj2EENS0_17counting_iteratorIjlEEPS9_SG_NS0_5tupleIJPjSI_NS0_16reverse_iteratorISI_EEEEENSH_IJSG_SG_SG_EEES9_SI_JZNS1_25segmented_radix_sort_implINS0_14default_configELb0EPKaPaPKlPlN2at6native12_GLOBAL__N_18offset_tEEE10hipError_tPvRmT1_PNSt15iterator_traitsIS12_E10value_typeET2_T3_PNS13_IS18_E10value_typeET4_jRbjT5_S1E_jjP12ihipStream_tbEUljE_ZNSN_ISO_Lb0ESQ_SR_ST_SU_SY_EESZ_S10_S11_S12_S16_S17_S18_S1B_S1C_jS1D_jS1E_S1E_jjS1G_bEUljE0_EEESZ_S10_S11_S18_S1C_S1E_T6_T7_T9_mT8_S1G_bDpT10_ENKUlT_T0_E_clISt17integral_constantIbLb0EES1U_EEDaS1P_S1Q_EUlS1P_E_NS1_11comp_targetILNS1_3genE0ELNS1_11target_archE4294967295ELNS1_3gpuE0ELNS1_3repE0EEENS1_30default_config_static_selectorELNS0_4arch9wavefront6targetE0EEEvS12_
; %bb.0:
	.section	.rodata,"a",@progbits
	.p2align	6, 0x0
	.amdhsa_kernel _ZN7rocprim17ROCPRIM_400000_NS6detail17trampoline_kernelINS0_13select_configILj256ELj13ELNS0_17block_load_methodE3ELS4_3ELS4_3ELNS0_20block_scan_algorithmE0ELj4294967295EEENS1_25partition_config_selectorILNS1_17partition_subalgoE4EjNS0_10empty_typeEbEEZZNS1_14partition_implILS8_4ELb0ES6_15HIP_vector_typeIjLj2EENS0_17counting_iteratorIjlEEPS9_SG_NS0_5tupleIJPjSI_NS0_16reverse_iteratorISI_EEEEENSH_IJSG_SG_SG_EEES9_SI_JZNS1_25segmented_radix_sort_implINS0_14default_configELb0EPKaPaPKlPlN2at6native12_GLOBAL__N_18offset_tEEE10hipError_tPvRmT1_PNSt15iterator_traitsIS12_E10value_typeET2_T3_PNS13_IS18_E10value_typeET4_jRbjT5_S1E_jjP12ihipStream_tbEUljE_ZNSN_ISO_Lb0ESQ_SR_ST_SU_SY_EESZ_S10_S11_S12_S16_S17_S18_S1B_S1C_jS1D_jS1E_S1E_jjS1G_bEUljE0_EEESZ_S10_S11_S18_S1C_S1E_T6_T7_T9_mT8_S1G_bDpT10_ENKUlT_T0_E_clISt17integral_constantIbLb0EES1U_EEDaS1P_S1Q_EUlS1P_E_NS1_11comp_targetILNS1_3genE0ELNS1_11target_archE4294967295ELNS1_3gpuE0ELNS1_3repE0EEENS1_30default_config_static_selectorELNS0_4arch9wavefront6targetE0EEEvS12_
		.amdhsa_group_segment_fixed_size 0
		.amdhsa_private_segment_fixed_size 0
		.amdhsa_kernarg_size 176
		.amdhsa_user_sgpr_count 2
		.amdhsa_user_sgpr_dispatch_ptr 0
		.amdhsa_user_sgpr_queue_ptr 0
		.amdhsa_user_sgpr_kernarg_segment_ptr 1
		.amdhsa_user_sgpr_dispatch_id 0
		.amdhsa_user_sgpr_private_segment_size 0
		.amdhsa_wavefront_size32 1
		.amdhsa_uses_dynamic_stack 0
		.amdhsa_enable_private_segment 0
		.amdhsa_system_sgpr_workgroup_id_x 1
		.amdhsa_system_sgpr_workgroup_id_y 0
		.amdhsa_system_sgpr_workgroup_id_z 0
		.amdhsa_system_sgpr_workgroup_info 0
		.amdhsa_system_vgpr_workitem_id 0
		.amdhsa_next_free_vgpr 1
		.amdhsa_next_free_sgpr 1
		.amdhsa_reserve_vcc 0
		.amdhsa_float_round_mode_32 0
		.amdhsa_float_round_mode_16_64 0
		.amdhsa_float_denorm_mode_32 3
		.amdhsa_float_denorm_mode_16_64 3
		.amdhsa_fp16_overflow 0
		.amdhsa_workgroup_processor_mode 1
		.amdhsa_memory_ordered 1
		.amdhsa_forward_progress 1
		.amdhsa_inst_pref_size 0
		.amdhsa_round_robin_scheduling 0
		.amdhsa_exception_fp_ieee_invalid_op 0
		.amdhsa_exception_fp_denorm_src 0
		.amdhsa_exception_fp_ieee_div_zero 0
		.amdhsa_exception_fp_ieee_overflow 0
		.amdhsa_exception_fp_ieee_underflow 0
		.amdhsa_exception_fp_ieee_inexact 0
		.amdhsa_exception_int_div_zero 0
	.end_amdhsa_kernel
	.section	.text._ZN7rocprim17ROCPRIM_400000_NS6detail17trampoline_kernelINS0_13select_configILj256ELj13ELNS0_17block_load_methodE3ELS4_3ELS4_3ELNS0_20block_scan_algorithmE0ELj4294967295EEENS1_25partition_config_selectorILNS1_17partition_subalgoE4EjNS0_10empty_typeEbEEZZNS1_14partition_implILS8_4ELb0ES6_15HIP_vector_typeIjLj2EENS0_17counting_iteratorIjlEEPS9_SG_NS0_5tupleIJPjSI_NS0_16reverse_iteratorISI_EEEEENSH_IJSG_SG_SG_EEES9_SI_JZNS1_25segmented_radix_sort_implINS0_14default_configELb0EPKaPaPKlPlN2at6native12_GLOBAL__N_18offset_tEEE10hipError_tPvRmT1_PNSt15iterator_traitsIS12_E10value_typeET2_T3_PNS13_IS18_E10value_typeET4_jRbjT5_S1E_jjP12ihipStream_tbEUljE_ZNSN_ISO_Lb0ESQ_SR_ST_SU_SY_EESZ_S10_S11_S12_S16_S17_S18_S1B_S1C_jS1D_jS1E_S1E_jjS1G_bEUljE0_EEESZ_S10_S11_S18_S1C_S1E_T6_T7_T9_mT8_S1G_bDpT10_ENKUlT_T0_E_clISt17integral_constantIbLb0EES1U_EEDaS1P_S1Q_EUlS1P_E_NS1_11comp_targetILNS1_3genE0ELNS1_11target_archE4294967295ELNS1_3gpuE0ELNS1_3repE0EEENS1_30default_config_static_selectorELNS0_4arch9wavefront6targetE0EEEvS12_,"axG",@progbits,_ZN7rocprim17ROCPRIM_400000_NS6detail17trampoline_kernelINS0_13select_configILj256ELj13ELNS0_17block_load_methodE3ELS4_3ELS4_3ELNS0_20block_scan_algorithmE0ELj4294967295EEENS1_25partition_config_selectorILNS1_17partition_subalgoE4EjNS0_10empty_typeEbEEZZNS1_14partition_implILS8_4ELb0ES6_15HIP_vector_typeIjLj2EENS0_17counting_iteratorIjlEEPS9_SG_NS0_5tupleIJPjSI_NS0_16reverse_iteratorISI_EEEEENSH_IJSG_SG_SG_EEES9_SI_JZNS1_25segmented_radix_sort_implINS0_14default_configELb0EPKaPaPKlPlN2at6native12_GLOBAL__N_18offset_tEEE10hipError_tPvRmT1_PNSt15iterator_traitsIS12_E10value_typeET2_T3_PNS13_IS18_E10value_typeET4_jRbjT5_S1E_jjP12ihipStream_tbEUljE_ZNSN_ISO_Lb0ESQ_SR_ST_SU_SY_EESZ_S10_S11_S12_S16_S17_S18_S1B_S1C_jS1D_jS1E_S1E_jjS1G_bEUljE0_EEESZ_S10_S11_S18_S1C_S1E_T6_T7_T9_mT8_S1G_bDpT10_ENKUlT_T0_E_clISt17integral_constantIbLb0EES1U_EEDaS1P_S1Q_EUlS1P_E_NS1_11comp_targetILNS1_3genE0ELNS1_11target_archE4294967295ELNS1_3gpuE0ELNS1_3repE0EEENS1_30default_config_static_selectorELNS0_4arch9wavefront6targetE0EEEvS12_,comdat
.Lfunc_end329:
	.size	_ZN7rocprim17ROCPRIM_400000_NS6detail17trampoline_kernelINS0_13select_configILj256ELj13ELNS0_17block_load_methodE3ELS4_3ELS4_3ELNS0_20block_scan_algorithmE0ELj4294967295EEENS1_25partition_config_selectorILNS1_17partition_subalgoE4EjNS0_10empty_typeEbEEZZNS1_14partition_implILS8_4ELb0ES6_15HIP_vector_typeIjLj2EENS0_17counting_iteratorIjlEEPS9_SG_NS0_5tupleIJPjSI_NS0_16reverse_iteratorISI_EEEEENSH_IJSG_SG_SG_EEES9_SI_JZNS1_25segmented_radix_sort_implINS0_14default_configELb0EPKaPaPKlPlN2at6native12_GLOBAL__N_18offset_tEEE10hipError_tPvRmT1_PNSt15iterator_traitsIS12_E10value_typeET2_T3_PNS13_IS18_E10value_typeET4_jRbjT5_S1E_jjP12ihipStream_tbEUljE_ZNSN_ISO_Lb0ESQ_SR_ST_SU_SY_EESZ_S10_S11_S12_S16_S17_S18_S1B_S1C_jS1D_jS1E_S1E_jjS1G_bEUljE0_EEESZ_S10_S11_S18_S1C_S1E_T6_T7_T9_mT8_S1G_bDpT10_ENKUlT_T0_E_clISt17integral_constantIbLb0EES1U_EEDaS1P_S1Q_EUlS1P_E_NS1_11comp_targetILNS1_3genE0ELNS1_11target_archE4294967295ELNS1_3gpuE0ELNS1_3repE0EEENS1_30default_config_static_selectorELNS0_4arch9wavefront6targetE0EEEvS12_, .Lfunc_end329-_ZN7rocprim17ROCPRIM_400000_NS6detail17trampoline_kernelINS0_13select_configILj256ELj13ELNS0_17block_load_methodE3ELS4_3ELS4_3ELNS0_20block_scan_algorithmE0ELj4294967295EEENS1_25partition_config_selectorILNS1_17partition_subalgoE4EjNS0_10empty_typeEbEEZZNS1_14partition_implILS8_4ELb0ES6_15HIP_vector_typeIjLj2EENS0_17counting_iteratorIjlEEPS9_SG_NS0_5tupleIJPjSI_NS0_16reverse_iteratorISI_EEEEENSH_IJSG_SG_SG_EEES9_SI_JZNS1_25segmented_radix_sort_implINS0_14default_configELb0EPKaPaPKlPlN2at6native12_GLOBAL__N_18offset_tEEE10hipError_tPvRmT1_PNSt15iterator_traitsIS12_E10value_typeET2_T3_PNS13_IS18_E10value_typeET4_jRbjT5_S1E_jjP12ihipStream_tbEUljE_ZNSN_ISO_Lb0ESQ_SR_ST_SU_SY_EESZ_S10_S11_S12_S16_S17_S18_S1B_S1C_jS1D_jS1E_S1E_jjS1G_bEUljE0_EEESZ_S10_S11_S18_S1C_S1E_T6_T7_T9_mT8_S1G_bDpT10_ENKUlT_T0_E_clISt17integral_constantIbLb0EES1U_EEDaS1P_S1Q_EUlS1P_E_NS1_11comp_targetILNS1_3genE0ELNS1_11target_archE4294967295ELNS1_3gpuE0ELNS1_3repE0EEENS1_30default_config_static_selectorELNS0_4arch9wavefront6targetE0EEEvS12_
                                        ; -- End function
	.set _ZN7rocprim17ROCPRIM_400000_NS6detail17trampoline_kernelINS0_13select_configILj256ELj13ELNS0_17block_load_methodE3ELS4_3ELS4_3ELNS0_20block_scan_algorithmE0ELj4294967295EEENS1_25partition_config_selectorILNS1_17partition_subalgoE4EjNS0_10empty_typeEbEEZZNS1_14partition_implILS8_4ELb0ES6_15HIP_vector_typeIjLj2EENS0_17counting_iteratorIjlEEPS9_SG_NS0_5tupleIJPjSI_NS0_16reverse_iteratorISI_EEEEENSH_IJSG_SG_SG_EEES9_SI_JZNS1_25segmented_radix_sort_implINS0_14default_configELb0EPKaPaPKlPlN2at6native12_GLOBAL__N_18offset_tEEE10hipError_tPvRmT1_PNSt15iterator_traitsIS12_E10value_typeET2_T3_PNS13_IS18_E10value_typeET4_jRbjT5_S1E_jjP12ihipStream_tbEUljE_ZNSN_ISO_Lb0ESQ_SR_ST_SU_SY_EESZ_S10_S11_S12_S16_S17_S18_S1B_S1C_jS1D_jS1E_S1E_jjS1G_bEUljE0_EEESZ_S10_S11_S18_S1C_S1E_T6_T7_T9_mT8_S1G_bDpT10_ENKUlT_T0_E_clISt17integral_constantIbLb0EES1U_EEDaS1P_S1Q_EUlS1P_E_NS1_11comp_targetILNS1_3genE0ELNS1_11target_archE4294967295ELNS1_3gpuE0ELNS1_3repE0EEENS1_30default_config_static_selectorELNS0_4arch9wavefront6targetE0EEEvS12_.num_vgpr, 0
	.set _ZN7rocprim17ROCPRIM_400000_NS6detail17trampoline_kernelINS0_13select_configILj256ELj13ELNS0_17block_load_methodE3ELS4_3ELS4_3ELNS0_20block_scan_algorithmE0ELj4294967295EEENS1_25partition_config_selectorILNS1_17partition_subalgoE4EjNS0_10empty_typeEbEEZZNS1_14partition_implILS8_4ELb0ES6_15HIP_vector_typeIjLj2EENS0_17counting_iteratorIjlEEPS9_SG_NS0_5tupleIJPjSI_NS0_16reverse_iteratorISI_EEEEENSH_IJSG_SG_SG_EEES9_SI_JZNS1_25segmented_radix_sort_implINS0_14default_configELb0EPKaPaPKlPlN2at6native12_GLOBAL__N_18offset_tEEE10hipError_tPvRmT1_PNSt15iterator_traitsIS12_E10value_typeET2_T3_PNS13_IS18_E10value_typeET4_jRbjT5_S1E_jjP12ihipStream_tbEUljE_ZNSN_ISO_Lb0ESQ_SR_ST_SU_SY_EESZ_S10_S11_S12_S16_S17_S18_S1B_S1C_jS1D_jS1E_S1E_jjS1G_bEUljE0_EEESZ_S10_S11_S18_S1C_S1E_T6_T7_T9_mT8_S1G_bDpT10_ENKUlT_T0_E_clISt17integral_constantIbLb0EES1U_EEDaS1P_S1Q_EUlS1P_E_NS1_11comp_targetILNS1_3genE0ELNS1_11target_archE4294967295ELNS1_3gpuE0ELNS1_3repE0EEENS1_30default_config_static_selectorELNS0_4arch9wavefront6targetE0EEEvS12_.num_agpr, 0
	.set _ZN7rocprim17ROCPRIM_400000_NS6detail17trampoline_kernelINS0_13select_configILj256ELj13ELNS0_17block_load_methodE3ELS4_3ELS4_3ELNS0_20block_scan_algorithmE0ELj4294967295EEENS1_25partition_config_selectorILNS1_17partition_subalgoE4EjNS0_10empty_typeEbEEZZNS1_14partition_implILS8_4ELb0ES6_15HIP_vector_typeIjLj2EENS0_17counting_iteratorIjlEEPS9_SG_NS0_5tupleIJPjSI_NS0_16reverse_iteratorISI_EEEEENSH_IJSG_SG_SG_EEES9_SI_JZNS1_25segmented_radix_sort_implINS0_14default_configELb0EPKaPaPKlPlN2at6native12_GLOBAL__N_18offset_tEEE10hipError_tPvRmT1_PNSt15iterator_traitsIS12_E10value_typeET2_T3_PNS13_IS18_E10value_typeET4_jRbjT5_S1E_jjP12ihipStream_tbEUljE_ZNSN_ISO_Lb0ESQ_SR_ST_SU_SY_EESZ_S10_S11_S12_S16_S17_S18_S1B_S1C_jS1D_jS1E_S1E_jjS1G_bEUljE0_EEESZ_S10_S11_S18_S1C_S1E_T6_T7_T9_mT8_S1G_bDpT10_ENKUlT_T0_E_clISt17integral_constantIbLb0EES1U_EEDaS1P_S1Q_EUlS1P_E_NS1_11comp_targetILNS1_3genE0ELNS1_11target_archE4294967295ELNS1_3gpuE0ELNS1_3repE0EEENS1_30default_config_static_selectorELNS0_4arch9wavefront6targetE0EEEvS12_.numbered_sgpr, 0
	.set _ZN7rocprim17ROCPRIM_400000_NS6detail17trampoline_kernelINS0_13select_configILj256ELj13ELNS0_17block_load_methodE3ELS4_3ELS4_3ELNS0_20block_scan_algorithmE0ELj4294967295EEENS1_25partition_config_selectorILNS1_17partition_subalgoE4EjNS0_10empty_typeEbEEZZNS1_14partition_implILS8_4ELb0ES6_15HIP_vector_typeIjLj2EENS0_17counting_iteratorIjlEEPS9_SG_NS0_5tupleIJPjSI_NS0_16reverse_iteratorISI_EEEEENSH_IJSG_SG_SG_EEES9_SI_JZNS1_25segmented_radix_sort_implINS0_14default_configELb0EPKaPaPKlPlN2at6native12_GLOBAL__N_18offset_tEEE10hipError_tPvRmT1_PNSt15iterator_traitsIS12_E10value_typeET2_T3_PNS13_IS18_E10value_typeET4_jRbjT5_S1E_jjP12ihipStream_tbEUljE_ZNSN_ISO_Lb0ESQ_SR_ST_SU_SY_EESZ_S10_S11_S12_S16_S17_S18_S1B_S1C_jS1D_jS1E_S1E_jjS1G_bEUljE0_EEESZ_S10_S11_S18_S1C_S1E_T6_T7_T9_mT8_S1G_bDpT10_ENKUlT_T0_E_clISt17integral_constantIbLb0EES1U_EEDaS1P_S1Q_EUlS1P_E_NS1_11comp_targetILNS1_3genE0ELNS1_11target_archE4294967295ELNS1_3gpuE0ELNS1_3repE0EEENS1_30default_config_static_selectorELNS0_4arch9wavefront6targetE0EEEvS12_.num_named_barrier, 0
	.set _ZN7rocprim17ROCPRIM_400000_NS6detail17trampoline_kernelINS0_13select_configILj256ELj13ELNS0_17block_load_methodE3ELS4_3ELS4_3ELNS0_20block_scan_algorithmE0ELj4294967295EEENS1_25partition_config_selectorILNS1_17partition_subalgoE4EjNS0_10empty_typeEbEEZZNS1_14partition_implILS8_4ELb0ES6_15HIP_vector_typeIjLj2EENS0_17counting_iteratorIjlEEPS9_SG_NS0_5tupleIJPjSI_NS0_16reverse_iteratorISI_EEEEENSH_IJSG_SG_SG_EEES9_SI_JZNS1_25segmented_radix_sort_implINS0_14default_configELb0EPKaPaPKlPlN2at6native12_GLOBAL__N_18offset_tEEE10hipError_tPvRmT1_PNSt15iterator_traitsIS12_E10value_typeET2_T3_PNS13_IS18_E10value_typeET4_jRbjT5_S1E_jjP12ihipStream_tbEUljE_ZNSN_ISO_Lb0ESQ_SR_ST_SU_SY_EESZ_S10_S11_S12_S16_S17_S18_S1B_S1C_jS1D_jS1E_S1E_jjS1G_bEUljE0_EEESZ_S10_S11_S18_S1C_S1E_T6_T7_T9_mT8_S1G_bDpT10_ENKUlT_T0_E_clISt17integral_constantIbLb0EES1U_EEDaS1P_S1Q_EUlS1P_E_NS1_11comp_targetILNS1_3genE0ELNS1_11target_archE4294967295ELNS1_3gpuE0ELNS1_3repE0EEENS1_30default_config_static_selectorELNS0_4arch9wavefront6targetE0EEEvS12_.private_seg_size, 0
	.set _ZN7rocprim17ROCPRIM_400000_NS6detail17trampoline_kernelINS0_13select_configILj256ELj13ELNS0_17block_load_methodE3ELS4_3ELS4_3ELNS0_20block_scan_algorithmE0ELj4294967295EEENS1_25partition_config_selectorILNS1_17partition_subalgoE4EjNS0_10empty_typeEbEEZZNS1_14partition_implILS8_4ELb0ES6_15HIP_vector_typeIjLj2EENS0_17counting_iteratorIjlEEPS9_SG_NS0_5tupleIJPjSI_NS0_16reverse_iteratorISI_EEEEENSH_IJSG_SG_SG_EEES9_SI_JZNS1_25segmented_radix_sort_implINS0_14default_configELb0EPKaPaPKlPlN2at6native12_GLOBAL__N_18offset_tEEE10hipError_tPvRmT1_PNSt15iterator_traitsIS12_E10value_typeET2_T3_PNS13_IS18_E10value_typeET4_jRbjT5_S1E_jjP12ihipStream_tbEUljE_ZNSN_ISO_Lb0ESQ_SR_ST_SU_SY_EESZ_S10_S11_S12_S16_S17_S18_S1B_S1C_jS1D_jS1E_S1E_jjS1G_bEUljE0_EEESZ_S10_S11_S18_S1C_S1E_T6_T7_T9_mT8_S1G_bDpT10_ENKUlT_T0_E_clISt17integral_constantIbLb0EES1U_EEDaS1P_S1Q_EUlS1P_E_NS1_11comp_targetILNS1_3genE0ELNS1_11target_archE4294967295ELNS1_3gpuE0ELNS1_3repE0EEENS1_30default_config_static_selectorELNS0_4arch9wavefront6targetE0EEEvS12_.uses_vcc, 0
	.set _ZN7rocprim17ROCPRIM_400000_NS6detail17trampoline_kernelINS0_13select_configILj256ELj13ELNS0_17block_load_methodE3ELS4_3ELS4_3ELNS0_20block_scan_algorithmE0ELj4294967295EEENS1_25partition_config_selectorILNS1_17partition_subalgoE4EjNS0_10empty_typeEbEEZZNS1_14partition_implILS8_4ELb0ES6_15HIP_vector_typeIjLj2EENS0_17counting_iteratorIjlEEPS9_SG_NS0_5tupleIJPjSI_NS0_16reverse_iteratorISI_EEEEENSH_IJSG_SG_SG_EEES9_SI_JZNS1_25segmented_radix_sort_implINS0_14default_configELb0EPKaPaPKlPlN2at6native12_GLOBAL__N_18offset_tEEE10hipError_tPvRmT1_PNSt15iterator_traitsIS12_E10value_typeET2_T3_PNS13_IS18_E10value_typeET4_jRbjT5_S1E_jjP12ihipStream_tbEUljE_ZNSN_ISO_Lb0ESQ_SR_ST_SU_SY_EESZ_S10_S11_S12_S16_S17_S18_S1B_S1C_jS1D_jS1E_S1E_jjS1G_bEUljE0_EEESZ_S10_S11_S18_S1C_S1E_T6_T7_T9_mT8_S1G_bDpT10_ENKUlT_T0_E_clISt17integral_constantIbLb0EES1U_EEDaS1P_S1Q_EUlS1P_E_NS1_11comp_targetILNS1_3genE0ELNS1_11target_archE4294967295ELNS1_3gpuE0ELNS1_3repE0EEENS1_30default_config_static_selectorELNS0_4arch9wavefront6targetE0EEEvS12_.uses_flat_scratch, 0
	.set _ZN7rocprim17ROCPRIM_400000_NS6detail17trampoline_kernelINS0_13select_configILj256ELj13ELNS0_17block_load_methodE3ELS4_3ELS4_3ELNS0_20block_scan_algorithmE0ELj4294967295EEENS1_25partition_config_selectorILNS1_17partition_subalgoE4EjNS0_10empty_typeEbEEZZNS1_14partition_implILS8_4ELb0ES6_15HIP_vector_typeIjLj2EENS0_17counting_iteratorIjlEEPS9_SG_NS0_5tupleIJPjSI_NS0_16reverse_iteratorISI_EEEEENSH_IJSG_SG_SG_EEES9_SI_JZNS1_25segmented_radix_sort_implINS0_14default_configELb0EPKaPaPKlPlN2at6native12_GLOBAL__N_18offset_tEEE10hipError_tPvRmT1_PNSt15iterator_traitsIS12_E10value_typeET2_T3_PNS13_IS18_E10value_typeET4_jRbjT5_S1E_jjP12ihipStream_tbEUljE_ZNSN_ISO_Lb0ESQ_SR_ST_SU_SY_EESZ_S10_S11_S12_S16_S17_S18_S1B_S1C_jS1D_jS1E_S1E_jjS1G_bEUljE0_EEESZ_S10_S11_S18_S1C_S1E_T6_T7_T9_mT8_S1G_bDpT10_ENKUlT_T0_E_clISt17integral_constantIbLb0EES1U_EEDaS1P_S1Q_EUlS1P_E_NS1_11comp_targetILNS1_3genE0ELNS1_11target_archE4294967295ELNS1_3gpuE0ELNS1_3repE0EEENS1_30default_config_static_selectorELNS0_4arch9wavefront6targetE0EEEvS12_.has_dyn_sized_stack, 0
	.set _ZN7rocprim17ROCPRIM_400000_NS6detail17trampoline_kernelINS0_13select_configILj256ELj13ELNS0_17block_load_methodE3ELS4_3ELS4_3ELNS0_20block_scan_algorithmE0ELj4294967295EEENS1_25partition_config_selectorILNS1_17partition_subalgoE4EjNS0_10empty_typeEbEEZZNS1_14partition_implILS8_4ELb0ES6_15HIP_vector_typeIjLj2EENS0_17counting_iteratorIjlEEPS9_SG_NS0_5tupleIJPjSI_NS0_16reverse_iteratorISI_EEEEENSH_IJSG_SG_SG_EEES9_SI_JZNS1_25segmented_radix_sort_implINS0_14default_configELb0EPKaPaPKlPlN2at6native12_GLOBAL__N_18offset_tEEE10hipError_tPvRmT1_PNSt15iterator_traitsIS12_E10value_typeET2_T3_PNS13_IS18_E10value_typeET4_jRbjT5_S1E_jjP12ihipStream_tbEUljE_ZNSN_ISO_Lb0ESQ_SR_ST_SU_SY_EESZ_S10_S11_S12_S16_S17_S18_S1B_S1C_jS1D_jS1E_S1E_jjS1G_bEUljE0_EEESZ_S10_S11_S18_S1C_S1E_T6_T7_T9_mT8_S1G_bDpT10_ENKUlT_T0_E_clISt17integral_constantIbLb0EES1U_EEDaS1P_S1Q_EUlS1P_E_NS1_11comp_targetILNS1_3genE0ELNS1_11target_archE4294967295ELNS1_3gpuE0ELNS1_3repE0EEENS1_30default_config_static_selectorELNS0_4arch9wavefront6targetE0EEEvS12_.has_recursion, 0
	.set _ZN7rocprim17ROCPRIM_400000_NS6detail17trampoline_kernelINS0_13select_configILj256ELj13ELNS0_17block_load_methodE3ELS4_3ELS4_3ELNS0_20block_scan_algorithmE0ELj4294967295EEENS1_25partition_config_selectorILNS1_17partition_subalgoE4EjNS0_10empty_typeEbEEZZNS1_14partition_implILS8_4ELb0ES6_15HIP_vector_typeIjLj2EENS0_17counting_iteratorIjlEEPS9_SG_NS0_5tupleIJPjSI_NS0_16reverse_iteratorISI_EEEEENSH_IJSG_SG_SG_EEES9_SI_JZNS1_25segmented_radix_sort_implINS0_14default_configELb0EPKaPaPKlPlN2at6native12_GLOBAL__N_18offset_tEEE10hipError_tPvRmT1_PNSt15iterator_traitsIS12_E10value_typeET2_T3_PNS13_IS18_E10value_typeET4_jRbjT5_S1E_jjP12ihipStream_tbEUljE_ZNSN_ISO_Lb0ESQ_SR_ST_SU_SY_EESZ_S10_S11_S12_S16_S17_S18_S1B_S1C_jS1D_jS1E_S1E_jjS1G_bEUljE0_EEESZ_S10_S11_S18_S1C_S1E_T6_T7_T9_mT8_S1G_bDpT10_ENKUlT_T0_E_clISt17integral_constantIbLb0EES1U_EEDaS1P_S1Q_EUlS1P_E_NS1_11comp_targetILNS1_3genE0ELNS1_11target_archE4294967295ELNS1_3gpuE0ELNS1_3repE0EEENS1_30default_config_static_selectorELNS0_4arch9wavefront6targetE0EEEvS12_.has_indirect_call, 0
	.section	.AMDGPU.csdata,"",@progbits
; Kernel info:
; codeLenInByte = 0
; TotalNumSgprs: 0
; NumVgprs: 0
; ScratchSize: 0
; MemoryBound: 0
; FloatMode: 240
; IeeeMode: 1
; LDSByteSize: 0 bytes/workgroup (compile time only)
; SGPRBlocks: 0
; VGPRBlocks: 0
; NumSGPRsForWavesPerEU: 1
; NumVGPRsForWavesPerEU: 1
; Occupancy: 16
; WaveLimiterHint : 0
; COMPUTE_PGM_RSRC2:SCRATCH_EN: 0
; COMPUTE_PGM_RSRC2:USER_SGPR: 2
; COMPUTE_PGM_RSRC2:TRAP_HANDLER: 0
; COMPUTE_PGM_RSRC2:TGID_X_EN: 1
; COMPUTE_PGM_RSRC2:TGID_Y_EN: 0
; COMPUTE_PGM_RSRC2:TGID_Z_EN: 0
; COMPUTE_PGM_RSRC2:TIDIG_COMP_CNT: 0
	.section	.text._ZN7rocprim17ROCPRIM_400000_NS6detail17trampoline_kernelINS0_13select_configILj256ELj13ELNS0_17block_load_methodE3ELS4_3ELS4_3ELNS0_20block_scan_algorithmE0ELj4294967295EEENS1_25partition_config_selectorILNS1_17partition_subalgoE4EjNS0_10empty_typeEbEEZZNS1_14partition_implILS8_4ELb0ES6_15HIP_vector_typeIjLj2EENS0_17counting_iteratorIjlEEPS9_SG_NS0_5tupleIJPjSI_NS0_16reverse_iteratorISI_EEEEENSH_IJSG_SG_SG_EEES9_SI_JZNS1_25segmented_radix_sort_implINS0_14default_configELb0EPKaPaPKlPlN2at6native12_GLOBAL__N_18offset_tEEE10hipError_tPvRmT1_PNSt15iterator_traitsIS12_E10value_typeET2_T3_PNS13_IS18_E10value_typeET4_jRbjT5_S1E_jjP12ihipStream_tbEUljE_ZNSN_ISO_Lb0ESQ_SR_ST_SU_SY_EESZ_S10_S11_S12_S16_S17_S18_S1B_S1C_jS1D_jS1E_S1E_jjS1G_bEUljE0_EEESZ_S10_S11_S18_S1C_S1E_T6_T7_T9_mT8_S1G_bDpT10_ENKUlT_T0_E_clISt17integral_constantIbLb0EES1U_EEDaS1P_S1Q_EUlS1P_E_NS1_11comp_targetILNS1_3genE5ELNS1_11target_archE942ELNS1_3gpuE9ELNS1_3repE0EEENS1_30default_config_static_selectorELNS0_4arch9wavefront6targetE0EEEvS12_,"axG",@progbits,_ZN7rocprim17ROCPRIM_400000_NS6detail17trampoline_kernelINS0_13select_configILj256ELj13ELNS0_17block_load_methodE3ELS4_3ELS4_3ELNS0_20block_scan_algorithmE0ELj4294967295EEENS1_25partition_config_selectorILNS1_17partition_subalgoE4EjNS0_10empty_typeEbEEZZNS1_14partition_implILS8_4ELb0ES6_15HIP_vector_typeIjLj2EENS0_17counting_iteratorIjlEEPS9_SG_NS0_5tupleIJPjSI_NS0_16reverse_iteratorISI_EEEEENSH_IJSG_SG_SG_EEES9_SI_JZNS1_25segmented_radix_sort_implINS0_14default_configELb0EPKaPaPKlPlN2at6native12_GLOBAL__N_18offset_tEEE10hipError_tPvRmT1_PNSt15iterator_traitsIS12_E10value_typeET2_T3_PNS13_IS18_E10value_typeET4_jRbjT5_S1E_jjP12ihipStream_tbEUljE_ZNSN_ISO_Lb0ESQ_SR_ST_SU_SY_EESZ_S10_S11_S12_S16_S17_S18_S1B_S1C_jS1D_jS1E_S1E_jjS1G_bEUljE0_EEESZ_S10_S11_S18_S1C_S1E_T6_T7_T9_mT8_S1G_bDpT10_ENKUlT_T0_E_clISt17integral_constantIbLb0EES1U_EEDaS1P_S1Q_EUlS1P_E_NS1_11comp_targetILNS1_3genE5ELNS1_11target_archE942ELNS1_3gpuE9ELNS1_3repE0EEENS1_30default_config_static_selectorELNS0_4arch9wavefront6targetE0EEEvS12_,comdat
	.globl	_ZN7rocprim17ROCPRIM_400000_NS6detail17trampoline_kernelINS0_13select_configILj256ELj13ELNS0_17block_load_methodE3ELS4_3ELS4_3ELNS0_20block_scan_algorithmE0ELj4294967295EEENS1_25partition_config_selectorILNS1_17partition_subalgoE4EjNS0_10empty_typeEbEEZZNS1_14partition_implILS8_4ELb0ES6_15HIP_vector_typeIjLj2EENS0_17counting_iteratorIjlEEPS9_SG_NS0_5tupleIJPjSI_NS0_16reverse_iteratorISI_EEEEENSH_IJSG_SG_SG_EEES9_SI_JZNS1_25segmented_radix_sort_implINS0_14default_configELb0EPKaPaPKlPlN2at6native12_GLOBAL__N_18offset_tEEE10hipError_tPvRmT1_PNSt15iterator_traitsIS12_E10value_typeET2_T3_PNS13_IS18_E10value_typeET4_jRbjT5_S1E_jjP12ihipStream_tbEUljE_ZNSN_ISO_Lb0ESQ_SR_ST_SU_SY_EESZ_S10_S11_S12_S16_S17_S18_S1B_S1C_jS1D_jS1E_S1E_jjS1G_bEUljE0_EEESZ_S10_S11_S18_S1C_S1E_T6_T7_T9_mT8_S1G_bDpT10_ENKUlT_T0_E_clISt17integral_constantIbLb0EES1U_EEDaS1P_S1Q_EUlS1P_E_NS1_11comp_targetILNS1_3genE5ELNS1_11target_archE942ELNS1_3gpuE9ELNS1_3repE0EEENS1_30default_config_static_selectorELNS0_4arch9wavefront6targetE0EEEvS12_ ; -- Begin function _ZN7rocprim17ROCPRIM_400000_NS6detail17trampoline_kernelINS0_13select_configILj256ELj13ELNS0_17block_load_methodE3ELS4_3ELS4_3ELNS0_20block_scan_algorithmE0ELj4294967295EEENS1_25partition_config_selectorILNS1_17partition_subalgoE4EjNS0_10empty_typeEbEEZZNS1_14partition_implILS8_4ELb0ES6_15HIP_vector_typeIjLj2EENS0_17counting_iteratorIjlEEPS9_SG_NS0_5tupleIJPjSI_NS0_16reverse_iteratorISI_EEEEENSH_IJSG_SG_SG_EEES9_SI_JZNS1_25segmented_radix_sort_implINS0_14default_configELb0EPKaPaPKlPlN2at6native12_GLOBAL__N_18offset_tEEE10hipError_tPvRmT1_PNSt15iterator_traitsIS12_E10value_typeET2_T3_PNS13_IS18_E10value_typeET4_jRbjT5_S1E_jjP12ihipStream_tbEUljE_ZNSN_ISO_Lb0ESQ_SR_ST_SU_SY_EESZ_S10_S11_S12_S16_S17_S18_S1B_S1C_jS1D_jS1E_S1E_jjS1G_bEUljE0_EEESZ_S10_S11_S18_S1C_S1E_T6_T7_T9_mT8_S1G_bDpT10_ENKUlT_T0_E_clISt17integral_constantIbLb0EES1U_EEDaS1P_S1Q_EUlS1P_E_NS1_11comp_targetILNS1_3genE5ELNS1_11target_archE942ELNS1_3gpuE9ELNS1_3repE0EEENS1_30default_config_static_selectorELNS0_4arch9wavefront6targetE0EEEvS12_
	.p2align	8
	.type	_ZN7rocprim17ROCPRIM_400000_NS6detail17trampoline_kernelINS0_13select_configILj256ELj13ELNS0_17block_load_methodE3ELS4_3ELS4_3ELNS0_20block_scan_algorithmE0ELj4294967295EEENS1_25partition_config_selectorILNS1_17partition_subalgoE4EjNS0_10empty_typeEbEEZZNS1_14partition_implILS8_4ELb0ES6_15HIP_vector_typeIjLj2EENS0_17counting_iteratorIjlEEPS9_SG_NS0_5tupleIJPjSI_NS0_16reverse_iteratorISI_EEEEENSH_IJSG_SG_SG_EEES9_SI_JZNS1_25segmented_radix_sort_implINS0_14default_configELb0EPKaPaPKlPlN2at6native12_GLOBAL__N_18offset_tEEE10hipError_tPvRmT1_PNSt15iterator_traitsIS12_E10value_typeET2_T3_PNS13_IS18_E10value_typeET4_jRbjT5_S1E_jjP12ihipStream_tbEUljE_ZNSN_ISO_Lb0ESQ_SR_ST_SU_SY_EESZ_S10_S11_S12_S16_S17_S18_S1B_S1C_jS1D_jS1E_S1E_jjS1G_bEUljE0_EEESZ_S10_S11_S18_S1C_S1E_T6_T7_T9_mT8_S1G_bDpT10_ENKUlT_T0_E_clISt17integral_constantIbLb0EES1U_EEDaS1P_S1Q_EUlS1P_E_NS1_11comp_targetILNS1_3genE5ELNS1_11target_archE942ELNS1_3gpuE9ELNS1_3repE0EEENS1_30default_config_static_selectorELNS0_4arch9wavefront6targetE0EEEvS12_,@function
_ZN7rocprim17ROCPRIM_400000_NS6detail17trampoline_kernelINS0_13select_configILj256ELj13ELNS0_17block_load_methodE3ELS4_3ELS4_3ELNS0_20block_scan_algorithmE0ELj4294967295EEENS1_25partition_config_selectorILNS1_17partition_subalgoE4EjNS0_10empty_typeEbEEZZNS1_14partition_implILS8_4ELb0ES6_15HIP_vector_typeIjLj2EENS0_17counting_iteratorIjlEEPS9_SG_NS0_5tupleIJPjSI_NS0_16reverse_iteratorISI_EEEEENSH_IJSG_SG_SG_EEES9_SI_JZNS1_25segmented_radix_sort_implINS0_14default_configELb0EPKaPaPKlPlN2at6native12_GLOBAL__N_18offset_tEEE10hipError_tPvRmT1_PNSt15iterator_traitsIS12_E10value_typeET2_T3_PNS13_IS18_E10value_typeET4_jRbjT5_S1E_jjP12ihipStream_tbEUljE_ZNSN_ISO_Lb0ESQ_SR_ST_SU_SY_EESZ_S10_S11_S12_S16_S17_S18_S1B_S1C_jS1D_jS1E_S1E_jjS1G_bEUljE0_EEESZ_S10_S11_S18_S1C_S1E_T6_T7_T9_mT8_S1G_bDpT10_ENKUlT_T0_E_clISt17integral_constantIbLb0EES1U_EEDaS1P_S1Q_EUlS1P_E_NS1_11comp_targetILNS1_3genE5ELNS1_11target_archE942ELNS1_3gpuE9ELNS1_3repE0EEENS1_30default_config_static_selectorELNS0_4arch9wavefront6targetE0EEEvS12_: ; @_ZN7rocprim17ROCPRIM_400000_NS6detail17trampoline_kernelINS0_13select_configILj256ELj13ELNS0_17block_load_methodE3ELS4_3ELS4_3ELNS0_20block_scan_algorithmE0ELj4294967295EEENS1_25partition_config_selectorILNS1_17partition_subalgoE4EjNS0_10empty_typeEbEEZZNS1_14partition_implILS8_4ELb0ES6_15HIP_vector_typeIjLj2EENS0_17counting_iteratorIjlEEPS9_SG_NS0_5tupleIJPjSI_NS0_16reverse_iteratorISI_EEEEENSH_IJSG_SG_SG_EEES9_SI_JZNS1_25segmented_radix_sort_implINS0_14default_configELb0EPKaPaPKlPlN2at6native12_GLOBAL__N_18offset_tEEE10hipError_tPvRmT1_PNSt15iterator_traitsIS12_E10value_typeET2_T3_PNS13_IS18_E10value_typeET4_jRbjT5_S1E_jjP12ihipStream_tbEUljE_ZNSN_ISO_Lb0ESQ_SR_ST_SU_SY_EESZ_S10_S11_S12_S16_S17_S18_S1B_S1C_jS1D_jS1E_S1E_jjS1G_bEUljE0_EEESZ_S10_S11_S18_S1C_S1E_T6_T7_T9_mT8_S1G_bDpT10_ENKUlT_T0_E_clISt17integral_constantIbLb0EES1U_EEDaS1P_S1Q_EUlS1P_E_NS1_11comp_targetILNS1_3genE5ELNS1_11target_archE942ELNS1_3gpuE9ELNS1_3repE0EEENS1_30default_config_static_selectorELNS0_4arch9wavefront6targetE0EEEvS12_
; %bb.0:
	.section	.rodata,"a",@progbits
	.p2align	6, 0x0
	.amdhsa_kernel _ZN7rocprim17ROCPRIM_400000_NS6detail17trampoline_kernelINS0_13select_configILj256ELj13ELNS0_17block_load_methodE3ELS4_3ELS4_3ELNS0_20block_scan_algorithmE0ELj4294967295EEENS1_25partition_config_selectorILNS1_17partition_subalgoE4EjNS0_10empty_typeEbEEZZNS1_14partition_implILS8_4ELb0ES6_15HIP_vector_typeIjLj2EENS0_17counting_iteratorIjlEEPS9_SG_NS0_5tupleIJPjSI_NS0_16reverse_iteratorISI_EEEEENSH_IJSG_SG_SG_EEES9_SI_JZNS1_25segmented_radix_sort_implINS0_14default_configELb0EPKaPaPKlPlN2at6native12_GLOBAL__N_18offset_tEEE10hipError_tPvRmT1_PNSt15iterator_traitsIS12_E10value_typeET2_T3_PNS13_IS18_E10value_typeET4_jRbjT5_S1E_jjP12ihipStream_tbEUljE_ZNSN_ISO_Lb0ESQ_SR_ST_SU_SY_EESZ_S10_S11_S12_S16_S17_S18_S1B_S1C_jS1D_jS1E_S1E_jjS1G_bEUljE0_EEESZ_S10_S11_S18_S1C_S1E_T6_T7_T9_mT8_S1G_bDpT10_ENKUlT_T0_E_clISt17integral_constantIbLb0EES1U_EEDaS1P_S1Q_EUlS1P_E_NS1_11comp_targetILNS1_3genE5ELNS1_11target_archE942ELNS1_3gpuE9ELNS1_3repE0EEENS1_30default_config_static_selectorELNS0_4arch9wavefront6targetE0EEEvS12_
		.amdhsa_group_segment_fixed_size 0
		.amdhsa_private_segment_fixed_size 0
		.amdhsa_kernarg_size 176
		.amdhsa_user_sgpr_count 2
		.amdhsa_user_sgpr_dispatch_ptr 0
		.amdhsa_user_sgpr_queue_ptr 0
		.amdhsa_user_sgpr_kernarg_segment_ptr 1
		.amdhsa_user_sgpr_dispatch_id 0
		.amdhsa_user_sgpr_private_segment_size 0
		.amdhsa_wavefront_size32 1
		.amdhsa_uses_dynamic_stack 0
		.amdhsa_enable_private_segment 0
		.amdhsa_system_sgpr_workgroup_id_x 1
		.amdhsa_system_sgpr_workgroup_id_y 0
		.amdhsa_system_sgpr_workgroup_id_z 0
		.amdhsa_system_sgpr_workgroup_info 0
		.amdhsa_system_vgpr_workitem_id 0
		.amdhsa_next_free_vgpr 1
		.amdhsa_next_free_sgpr 1
		.amdhsa_reserve_vcc 0
		.amdhsa_float_round_mode_32 0
		.amdhsa_float_round_mode_16_64 0
		.amdhsa_float_denorm_mode_32 3
		.amdhsa_float_denorm_mode_16_64 3
		.amdhsa_fp16_overflow 0
		.amdhsa_workgroup_processor_mode 1
		.amdhsa_memory_ordered 1
		.amdhsa_forward_progress 1
		.amdhsa_inst_pref_size 0
		.amdhsa_round_robin_scheduling 0
		.amdhsa_exception_fp_ieee_invalid_op 0
		.amdhsa_exception_fp_denorm_src 0
		.amdhsa_exception_fp_ieee_div_zero 0
		.amdhsa_exception_fp_ieee_overflow 0
		.amdhsa_exception_fp_ieee_underflow 0
		.amdhsa_exception_fp_ieee_inexact 0
		.amdhsa_exception_int_div_zero 0
	.end_amdhsa_kernel
	.section	.text._ZN7rocprim17ROCPRIM_400000_NS6detail17trampoline_kernelINS0_13select_configILj256ELj13ELNS0_17block_load_methodE3ELS4_3ELS4_3ELNS0_20block_scan_algorithmE0ELj4294967295EEENS1_25partition_config_selectorILNS1_17partition_subalgoE4EjNS0_10empty_typeEbEEZZNS1_14partition_implILS8_4ELb0ES6_15HIP_vector_typeIjLj2EENS0_17counting_iteratorIjlEEPS9_SG_NS0_5tupleIJPjSI_NS0_16reverse_iteratorISI_EEEEENSH_IJSG_SG_SG_EEES9_SI_JZNS1_25segmented_radix_sort_implINS0_14default_configELb0EPKaPaPKlPlN2at6native12_GLOBAL__N_18offset_tEEE10hipError_tPvRmT1_PNSt15iterator_traitsIS12_E10value_typeET2_T3_PNS13_IS18_E10value_typeET4_jRbjT5_S1E_jjP12ihipStream_tbEUljE_ZNSN_ISO_Lb0ESQ_SR_ST_SU_SY_EESZ_S10_S11_S12_S16_S17_S18_S1B_S1C_jS1D_jS1E_S1E_jjS1G_bEUljE0_EEESZ_S10_S11_S18_S1C_S1E_T6_T7_T9_mT8_S1G_bDpT10_ENKUlT_T0_E_clISt17integral_constantIbLb0EES1U_EEDaS1P_S1Q_EUlS1P_E_NS1_11comp_targetILNS1_3genE5ELNS1_11target_archE942ELNS1_3gpuE9ELNS1_3repE0EEENS1_30default_config_static_selectorELNS0_4arch9wavefront6targetE0EEEvS12_,"axG",@progbits,_ZN7rocprim17ROCPRIM_400000_NS6detail17trampoline_kernelINS0_13select_configILj256ELj13ELNS0_17block_load_methodE3ELS4_3ELS4_3ELNS0_20block_scan_algorithmE0ELj4294967295EEENS1_25partition_config_selectorILNS1_17partition_subalgoE4EjNS0_10empty_typeEbEEZZNS1_14partition_implILS8_4ELb0ES6_15HIP_vector_typeIjLj2EENS0_17counting_iteratorIjlEEPS9_SG_NS0_5tupleIJPjSI_NS0_16reverse_iteratorISI_EEEEENSH_IJSG_SG_SG_EEES9_SI_JZNS1_25segmented_radix_sort_implINS0_14default_configELb0EPKaPaPKlPlN2at6native12_GLOBAL__N_18offset_tEEE10hipError_tPvRmT1_PNSt15iterator_traitsIS12_E10value_typeET2_T3_PNS13_IS18_E10value_typeET4_jRbjT5_S1E_jjP12ihipStream_tbEUljE_ZNSN_ISO_Lb0ESQ_SR_ST_SU_SY_EESZ_S10_S11_S12_S16_S17_S18_S1B_S1C_jS1D_jS1E_S1E_jjS1G_bEUljE0_EEESZ_S10_S11_S18_S1C_S1E_T6_T7_T9_mT8_S1G_bDpT10_ENKUlT_T0_E_clISt17integral_constantIbLb0EES1U_EEDaS1P_S1Q_EUlS1P_E_NS1_11comp_targetILNS1_3genE5ELNS1_11target_archE942ELNS1_3gpuE9ELNS1_3repE0EEENS1_30default_config_static_selectorELNS0_4arch9wavefront6targetE0EEEvS12_,comdat
.Lfunc_end330:
	.size	_ZN7rocprim17ROCPRIM_400000_NS6detail17trampoline_kernelINS0_13select_configILj256ELj13ELNS0_17block_load_methodE3ELS4_3ELS4_3ELNS0_20block_scan_algorithmE0ELj4294967295EEENS1_25partition_config_selectorILNS1_17partition_subalgoE4EjNS0_10empty_typeEbEEZZNS1_14partition_implILS8_4ELb0ES6_15HIP_vector_typeIjLj2EENS0_17counting_iteratorIjlEEPS9_SG_NS0_5tupleIJPjSI_NS0_16reverse_iteratorISI_EEEEENSH_IJSG_SG_SG_EEES9_SI_JZNS1_25segmented_radix_sort_implINS0_14default_configELb0EPKaPaPKlPlN2at6native12_GLOBAL__N_18offset_tEEE10hipError_tPvRmT1_PNSt15iterator_traitsIS12_E10value_typeET2_T3_PNS13_IS18_E10value_typeET4_jRbjT5_S1E_jjP12ihipStream_tbEUljE_ZNSN_ISO_Lb0ESQ_SR_ST_SU_SY_EESZ_S10_S11_S12_S16_S17_S18_S1B_S1C_jS1D_jS1E_S1E_jjS1G_bEUljE0_EEESZ_S10_S11_S18_S1C_S1E_T6_T7_T9_mT8_S1G_bDpT10_ENKUlT_T0_E_clISt17integral_constantIbLb0EES1U_EEDaS1P_S1Q_EUlS1P_E_NS1_11comp_targetILNS1_3genE5ELNS1_11target_archE942ELNS1_3gpuE9ELNS1_3repE0EEENS1_30default_config_static_selectorELNS0_4arch9wavefront6targetE0EEEvS12_, .Lfunc_end330-_ZN7rocprim17ROCPRIM_400000_NS6detail17trampoline_kernelINS0_13select_configILj256ELj13ELNS0_17block_load_methodE3ELS4_3ELS4_3ELNS0_20block_scan_algorithmE0ELj4294967295EEENS1_25partition_config_selectorILNS1_17partition_subalgoE4EjNS0_10empty_typeEbEEZZNS1_14partition_implILS8_4ELb0ES6_15HIP_vector_typeIjLj2EENS0_17counting_iteratorIjlEEPS9_SG_NS0_5tupleIJPjSI_NS0_16reverse_iteratorISI_EEEEENSH_IJSG_SG_SG_EEES9_SI_JZNS1_25segmented_radix_sort_implINS0_14default_configELb0EPKaPaPKlPlN2at6native12_GLOBAL__N_18offset_tEEE10hipError_tPvRmT1_PNSt15iterator_traitsIS12_E10value_typeET2_T3_PNS13_IS18_E10value_typeET4_jRbjT5_S1E_jjP12ihipStream_tbEUljE_ZNSN_ISO_Lb0ESQ_SR_ST_SU_SY_EESZ_S10_S11_S12_S16_S17_S18_S1B_S1C_jS1D_jS1E_S1E_jjS1G_bEUljE0_EEESZ_S10_S11_S18_S1C_S1E_T6_T7_T9_mT8_S1G_bDpT10_ENKUlT_T0_E_clISt17integral_constantIbLb0EES1U_EEDaS1P_S1Q_EUlS1P_E_NS1_11comp_targetILNS1_3genE5ELNS1_11target_archE942ELNS1_3gpuE9ELNS1_3repE0EEENS1_30default_config_static_selectorELNS0_4arch9wavefront6targetE0EEEvS12_
                                        ; -- End function
	.set _ZN7rocprim17ROCPRIM_400000_NS6detail17trampoline_kernelINS0_13select_configILj256ELj13ELNS0_17block_load_methodE3ELS4_3ELS4_3ELNS0_20block_scan_algorithmE0ELj4294967295EEENS1_25partition_config_selectorILNS1_17partition_subalgoE4EjNS0_10empty_typeEbEEZZNS1_14partition_implILS8_4ELb0ES6_15HIP_vector_typeIjLj2EENS0_17counting_iteratorIjlEEPS9_SG_NS0_5tupleIJPjSI_NS0_16reverse_iteratorISI_EEEEENSH_IJSG_SG_SG_EEES9_SI_JZNS1_25segmented_radix_sort_implINS0_14default_configELb0EPKaPaPKlPlN2at6native12_GLOBAL__N_18offset_tEEE10hipError_tPvRmT1_PNSt15iterator_traitsIS12_E10value_typeET2_T3_PNS13_IS18_E10value_typeET4_jRbjT5_S1E_jjP12ihipStream_tbEUljE_ZNSN_ISO_Lb0ESQ_SR_ST_SU_SY_EESZ_S10_S11_S12_S16_S17_S18_S1B_S1C_jS1D_jS1E_S1E_jjS1G_bEUljE0_EEESZ_S10_S11_S18_S1C_S1E_T6_T7_T9_mT8_S1G_bDpT10_ENKUlT_T0_E_clISt17integral_constantIbLb0EES1U_EEDaS1P_S1Q_EUlS1P_E_NS1_11comp_targetILNS1_3genE5ELNS1_11target_archE942ELNS1_3gpuE9ELNS1_3repE0EEENS1_30default_config_static_selectorELNS0_4arch9wavefront6targetE0EEEvS12_.num_vgpr, 0
	.set _ZN7rocprim17ROCPRIM_400000_NS6detail17trampoline_kernelINS0_13select_configILj256ELj13ELNS0_17block_load_methodE3ELS4_3ELS4_3ELNS0_20block_scan_algorithmE0ELj4294967295EEENS1_25partition_config_selectorILNS1_17partition_subalgoE4EjNS0_10empty_typeEbEEZZNS1_14partition_implILS8_4ELb0ES6_15HIP_vector_typeIjLj2EENS0_17counting_iteratorIjlEEPS9_SG_NS0_5tupleIJPjSI_NS0_16reverse_iteratorISI_EEEEENSH_IJSG_SG_SG_EEES9_SI_JZNS1_25segmented_radix_sort_implINS0_14default_configELb0EPKaPaPKlPlN2at6native12_GLOBAL__N_18offset_tEEE10hipError_tPvRmT1_PNSt15iterator_traitsIS12_E10value_typeET2_T3_PNS13_IS18_E10value_typeET4_jRbjT5_S1E_jjP12ihipStream_tbEUljE_ZNSN_ISO_Lb0ESQ_SR_ST_SU_SY_EESZ_S10_S11_S12_S16_S17_S18_S1B_S1C_jS1D_jS1E_S1E_jjS1G_bEUljE0_EEESZ_S10_S11_S18_S1C_S1E_T6_T7_T9_mT8_S1G_bDpT10_ENKUlT_T0_E_clISt17integral_constantIbLb0EES1U_EEDaS1P_S1Q_EUlS1P_E_NS1_11comp_targetILNS1_3genE5ELNS1_11target_archE942ELNS1_3gpuE9ELNS1_3repE0EEENS1_30default_config_static_selectorELNS0_4arch9wavefront6targetE0EEEvS12_.num_agpr, 0
	.set _ZN7rocprim17ROCPRIM_400000_NS6detail17trampoline_kernelINS0_13select_configILj256ELj13ELNS0_17block_load_methodE3ELS4_3ELS4_3ELNS0_20block_scan_algorithmE0ELj4294967295EEENS1_25partition_config_selectorILNS1_17partition_subalgoE4EjNS0_10empty_typeEbEEZZNS1_14partition_implILS8_4ELb0ES6_15HIP_vector_typeIjLj2EENS0_17counting_iteratorIjlEEPS9_SG_NS0_5tupleIJPjSI_NS0_16reverse_iteratorISI_EEEEENSH_IJSG_SG_SG_EEES9_SI_JZNS1_25segmented_radix_sort_implINS0_14default_configELb0EPKaPaPKlPlN2at6native12_GLOBAL__N_18offset_tEEE10hipError_tPvRmT1_PNSt15iterator_traitsIS12_E10value_typeET2_T3_PNS13_IS18_E10value_typeET4_jRbjT5_S1E_jjP12ihipStream_tbEUljE_ZNSN_ISO_Lb0ESQ_SR_ST_SU_SY_EESZ_S10_S11_S12_S16_S17_S18_S1B_S1C_jS1D_jS1E_S1E_jjS1G_bEUljE0_EEESZ_S10_S11_S18_S1C_S1E_T6_T7_T9_mT8_S1G_bDpT10_ENKUlT_T0_E_clISt17integral_constantIbLb0EES1U_EEDaS1P_S1Q_EUlS1P_E_NS1_11comp_targetILNS1_3genE5ELNS1_11target_archE942ELNS1_3gpuE9ELNS1_3repE0EEENS1_30default_config_static_selectorELNS0_4arch9wavefront6targetE0EEEvS12_.numbered_sgpr, 0
	.set _ZN7rocprim17ROCPRIM_400000_NS6detail17trampoline_kernelINS0_13select_configILj256ELj13ELNS0_17block_load_methodE3ELS4_3ELS4_3ELNS0_20block_scan_algorithmE0ELj4294967295EEENS1_25partition_config_selectorILNS1_17partition_subalgoE4EjNS0_10empty_typeEbEEZZNS1_14partition_implILS8_4ELb0ES6_15HIP_vector_typeIjLj2EENS0_17counting_iteratorIjlEEPS9_SG_NS0_5tupleIJPjSI_NS0_16reverse_iteratorISI_EEEEENSH_IJSG_SG_SG_EEES9_SI_JZNS1_25segmented_radix_sort_implINS0_14default_configELb0EPKaPaPKlPlN2at6native12_GLOBAL__N_18offset_tEEE10hipError_tPvRmT1_PNSt15iterator_traitsIS12_E10value_typeET2_T3_PNS13_IS18_E10value_typeET4_jRbjT5_S1E_jjP12ihipStream_tbEUljE_ZNSN_ISO_Lb0ESQ_SR_ST_SU_SY_EESZ_S10_S11_S12_S16_S17_S18_S1B_S1C_jS1D_jS1E_S1E_jjS1G_bEUljE0_EEESZ_S10_S11_S18_S1C_S1E_T6_T7_T9_mT8_S1G_bDpT10_ENKUlT_T0_E_clISt17integral_constantIbLb0EES1U_EEDaS1P_S1Q_EUlS1P_E_NS1_11comp_targetILNS1_3genE5ELNS1_11target_archE942ELNS1_3gpuE9ELNS1_3repE0EEENS1_30default_config_static_selectorELNS0_4arch9wavefront6targetE0EEEvS12_.num_named_barrier, 0
	.set _ZN7rocprim17ROCPRIM_400000_NS6detail17trampoline_kernelINS0_13select_configILj256ELj13ELNS0_17block_load_methodE3ELS4_3ELS4_3ELNS0_20block_scan_algorithmE0ELj4294967295EEENS1_25partition_config_selectorILNS1_17partition_subalgoE4EjNS0_10empty_typeEbEEZZNS1_14partition_implILS8_4ELb0ES6_15HIP_vector_typeIjLj2EENS0_17counting_iteratorIjlEEPS9_SG_NS0_5tupleIJPjSI_NS0_16reverse_iteratorISI_EEEEENSH_IJSG_SG_SG_EEES9_SI_JZNS1_25segmented_radix_sort_implINS0_14default_configELb0EPKaPaPKlPlN2at6native12_GLOBAL__N_18offset_tEEE10hipError_tPvRmT1_PNSt15iterator_traitsIS12_E10value_typeET2_T3_PNS13_IS18_E10value_typeET4_jRbjT5_S1E_jjP12ihipStream_tbEUljE_ZNSN_ISO_Lb0ESQ_SR_ST_SU_SY_EESZ_S10_S11_S12_S16_S17_S18_S1B_S1C_jS1D_jS1E_S1E_jjS1G_bEUljE0_EEESZ_S10_S11_S18_S1C_S1E_T6_T7_T9_mT8_S1G_bDpT10_ENKUlT_T0_E_clISt17integral_constantIbLb0EES1U_EEDaS1P_S1Q_EUlS1P_E_NS1_11comp_targetILNS1_3genE5ELNS1_11target_archE942ELNS1_3gpuE9ELNS1_3repE0EEENS1_30default_config_static_selectorELNS0_4arch9wavefront6targetE0EEEvS12_.private_seg_size, 0
	.set _ZN7rocprim17ROCPRIM_400000_NS6detail17trampoline_kernelINS0_13select_configILj256ELj13ELNS0_17block_load_methodE3ELS4_3ELS4_3ELNS0_20block_scan_algorithmE0ELj4294967295EEENS1_25partition_config_selectorILNS1_17partition_subalgoE4EjNS0_10empty_typeEbEEZZNS1_14partition_implILS8_4ELb0ES6_15HIP_vector_typeIjLj2EENS0_17counting_iteratorIjlEEPS9_SG_NS0_5tupleIJPjSI_NS0_16reverse_iteratorISI_EEEEENSH_IJSG_SG_SG_EEES9_SI_JZNS1_25segmented_radix_sort_implINS0_14default_configELb0EPKaPaPKlPlN2at6native12_GLOBAL__N_18offset_tEEE10hipError_tPvRmT1_PNSt15iterator_traitsIS12_E10value_typeET2_T3_PNS13_IS18_E10value_typeET4_jRbjT5_S1E_jjP12ihipStream_tbEUljE_ZNSN_ISO_Lb0ESQ_SR_ST_SU_SY_EESZ_S10_S11_S12_S16_S17_S18_S1B_S1C_jS1D_jS1E_S1E_jjS1G_bEUljE0_EEESZ_S10_S11_S18_S1C_S1E_T6_T7_T9_mT8_S1G_bDpT10_ENKUlT_T0_E_clISt17integral_constantIbLb0EES1U_EEDaS1P_S1Q_EUlS1P_E_NS1_11comp_targetILNS1_3genE5ELNS1_11target_archE942ELNS1_3gpuE9ELNS1_3repE0EEENS1_30default_config_static_selectorELNS0_4arch9wavefront6targetE0EEEvS12_.uses_vcc, 0
	.set _ZN7rocprim17ROCPRIM_400000_NS6detail17trampoline_kernelINS0_13select_configILj256ELj13ELNS0_17block_load_methodE3ELS4_3ELS4_3ELNS0_20block_scan_algorithmE0ELj4294967295EEENS1_25partition_config_selectorILNS1_17partition_subalgoE4EjNS0_10empty_typeEbEEZZNS1_14partition_implILS8_4ELb0ES6_15HIP_vector_typeIjLj2EENS0_17counting_iteratorIjlEEPS9_SG_NS0_5tupleIJPjSI_NS0_16reverse_iteratorISI_EEEEENSH_IJSG_SG_SG_EEES9_SI_JZNS1_25segmented_radix_sort_implINS0_14default_configELb0EPKaPaPKlPlN2at6native12_GLOBAL__N_18offset_tEEE10hipError_tPvRmT1_PNSt15iterator_traitsIS12_E10value_typeET2_T3_PNS13_IS18_E10value_typeET4_jRbjT5_S1E_jjP12ihipStream_tbEUljE_ZNSN_ISO_Lb0ESQ_SR_ST_SU_SY_EESZ_S10_S11_S12_S16_S17_S18_S1B_S1C_jS1D_jS1E_S1E_jjS1G_bEUljE0_EEESZ_S10_S11_S18_S1C_S1E_T6_T7_T9_mT8_S1G_bDpT10_ENKUlT_T0_E_clISt17integral_constantIbLb0EES1U_EEDaS1P_S1Q_EUlS1P_E_NS1_11comp_targetILNS1_3genE5ELNS1_11target_archE942ELNS1_3gpuE9ELNS1_3repE0EEENS1_30default_config_static_selectorELNS0_4arch9wavefront6targetE0EEEvS12_.uses_flat_scratch, 0
	.set _ZN7rocprim17ROCPRIM_400000_NS6detail17trampoline_kernelINS0_13select_configILj256ELj13ELNS0_17block_load_methodE3ELS4_3ELS4_3ELNS0_20block_scan_algorithmE0ELj4294967295EEENS1_25partition_config_selectorILNS1_17partition_subalgoE4EjNS0_10empty_typeEbEEZZNS1_14partition_implILS8_4ELb0ES6_15HIP_vector_typeIjLj2EENS0_17counting_iteratorIjlEEPS9_SG_NS0_5tupleIJPjSI_NS0_16reverse_iteratorISI_EEEEENSH_IJSG_SG_SG_EEES9_SI_JZNS1_25segmented_radix_sort_implINS0_14default_configELb0EPKaPaPKlPlN2at6native12_GLOBAL__N_18offset_tEEE10hipError_tPvRmT1_PNSt15iterator_traitsIS12_E10value_typeET2_T3_PNS13_IS18_E10value_typeET4_jRbjT5_S1E_jjP12ihipStream_tbEUljE_ZNSN_ISO_Lb0ESQ_SR_ST_SU_SY_EESZ_S10_S11_S12_S16_S17_S18_S1B_S1C_jS1D_jS1E_S1E_jjS1G_bEUljE0_EEESZ_S10_S11_S18_S1C_S1E_T6_T7_T9_mT8_S1G_bDpT10_ENKUlT_T0_E_clISt17integral_constantIbLb0EES1U_EEDaS1P_S1Q_EUlS1P_E_NS1_11comp_targetILNS1_3genE5ELNS1_11target_archE942ELNS1_3gpuE9ELNS1_3repE0EEENS1_30default_config_static_selectorELNS0_4arch9wavefront6targetE0EEEvS12_.has_dyn_sized_stack, 0
	.set _ZN7rocprim17ROCPRIM_400000_NS6detail17trampoline_kernelINS0_13select_configILj256ELj13ELNS0_17block_load_methodE3ELS4_3ELS4_3ELNS0_20block_scan_algorithmE0ELj4294967295EEENS1_25partition_config_selectorILNS1_17partition_subalgoE4EjNS0_10empty_typeEbEEZZNS1_14partition_implILS8_4ELb0ES6_15HIP_vector_typeIjLj2EENS0_17counting_iteratorIjlEEPS9_SG_NS0_5tupleIJPjSI_NS0_16reverse_iteratorISI_EEEEENSH_IJSG_SG_SG_EEES9_SI_JZNS1_25segmented_radix_sort_implINS0_14default_configELb0EPKaPaPKlPlN2at6native12_GLOBAL__N_18offset_tEEE10hipError_tPvRmT1_PNSt15iterator_traitsIS12_E10value_typeET2_T3_PNS13_IS18_E10value_typeET4_jRbjT5_S1E_jjP12ihipStream_tbEUljE_ZNSN_ISO_Lb0ESQ_SR_ST_SU_SY_EESZ_S10_S11_S12_S16_S17_S18_S1B_S1C_jS1D_jS1E_S1E_jjS1G_bEUljE0_EEESZ_S10_S11_S18_S1C_S1E_T6_T7_T9_mT8_S1G_bDpT10_ENKUlT_T0_E_clISt17integral_constantIbLb0EES1U_EEDaS1P_S1Q_EUlS1P_E_NS1_11comp_targetILNS1_3genE5ELNS1_11target_archE942ELNS1_3gpuE9ELNS1_3repE0EEENS1_30default_config_static_selectorELNS0_4arch9wavefront6targetE0EEEvS12_.has_recursion, 0
	.set _ZN7rocprim17ROCPRIM_400000_NS6detail17trampoline_kernelINS0_13select_configILj256ELj13ELNS0_17block_load_methodE3ELS4_3ELS4_3ELNS0_20block_scan_algorithmE0ELj4294967295EEENS1_25partition_config_selectorILNS1_17partition_subalgoE4EjNS0_10empty_typeEbEEZZNS1_14partition_implILS8_4ELb0ES6_15HIP_vector_typeIjLj2EENS0_17counting_iteratorIjlEEPS9_SG_NS0_5tupleIJPjSI_NS0_16reverse_iteratorISI_EEEEENSH_IJSG_SG_SG_EEES9_SI_JZNS1_25segmented_radix_sort_implINS0_14default_configELb0EPKaPaPKlPlN2at6native12_GLOBAL__N_18offset_tEEE10hipError_tPvRmT1_PNSt15iterator_traitsIS12_E10value_typeET2_T3_PNS13_IS18_E10value_typeET4_jRbjT5_S1E_jjP12ihipStream_tbEUljE_ZNSN_ISO_Lb0ESQ_SR_ST_SU_SY_EESZ_S10_S11_S12_S16_S17_S18_S1B_S1C_jS1D_jS1E_S1E_jjS1G_bEUljE0_EEESZ_S10_S11_S18_S1C_S1E_T6_T7_T9_mT8_S1G_bDpT10_ENKUlT_T0_E_clISt17integral_constantIbLb0EES1U_EEDaS1P_S1Q_EUlS1P_E_NS1_11comp_targetILNS1_3genE5ELNS1_11target_archE942ELNS1_3gpuE9ELNS1_3repE0EEENS1_30default_config_static_selectorELNS0_4arch9wavefront6targetE0EEEvS12_.has_indirect_call, 0
	.section	.AMDGPU.csdata,"",@progbits
; Kernel info:
; codeLenInByte = 0
; TotalNumSgprs: 0
; NumVgprs: 0
; ScratchSize: 0
; MemoryBound: 0
; FloatMode: 240
; IeeeMode: 1
; LDSByteSize: 0 bytes/workgroup (compile time only)
; SGPRBlocks: 0
; VGPRBlocks: 0
; NumSGPRsForWavesPerEU: 1
; NumVGPRsForWavesPerEU: 1
; Occupancy: 16
; WaveLimiterHint : 0
; COMPUTE_PGM_RSRC2:SCRATCH_EN: 0
; COMPUTE_PGM_RSRC2:USER_SGPR: 2
; COMPUTE_PGM_RSRC2:TRAP_HANDLER: 0
; COMPUTE_PGM_RSRC2:TGID_X_EN: 1
; COMPUTE_PGM_RSRC2:TGID_Y_EN: 0
; COMPUTE_PGM_RSRC2:TGID_Z_EN: 0
; COMPUTE_PGM_RSRC2:TIDIG_COMP_CNT: 0
	.section	.text._ZN7rocprim17ROCPRIM_400000_NS6detail17trampoline_kernelINS0_13select_configILj256ELj13ELNS0_17block_load_methodE3ELS4_3ELS4_3ELNS0_20block_scan_algorithmE0ELj4294967295EEENS1_25partition_config_selectorILNS1_17partition_subalgoE4EjNS0_10empty_typeEbEEZZNS1_14partition_implILS8_4ELb0ES6_15HIP_vector_typeIjLj2EENS0_17counting_iteratorIjlEEPS9_SG_NS0_5tupleIJPjSI_NS0_16reverse_iteratorISI_EEEEENSH_IJSG_SG_SG_EEES9_SI_JZNS1_25segmented_radix_sort_implINS0_14default_configELb0EPKaPaPKlPlN2at6native12_GLOBAL__N_18offset_tEEE10hipError_tPvRmT1_PNSt15iterator_traitsIS12_E10value_typeET2_T3_PNS13_IS18_E10value_typeET4_jRbjT5_S1E_jjP12ihipStream_tbEUljE_ZNSN_ISO_Lb0ESQ_SR_ST_SU_SY_EESZ_S10_S11_S12_S16_S17_S18_S1B_S1C_jS1D_jS1E_S1E_jjS1G_bEUljE0_EEESZ_S10_S11_S18_S1C_S1E_T6_T7_T9_mT8_S1G_bDpT10_ENKUlT_T0_E_clISt17integral_constantIbLb0EES1U_EEDaS1P_S1Q_EUlS1P_E_NS1_11comp_targetILNS1_3genE4ELNS1_11target_archE910ELNS1_3gpuE8ELNS1_3repE0EEENS1_30default_config_static_selectorELNS0_4arch9wavefront6targetE0EEEvS12_,"axG",@progbits,_ZN7rocprim17ROCPRIM_400000_NS6detail17trampoline_kernelINS0_13select_configILj256ELj13ELNS0_17block_load_methodE3ELS4_3ELS4_3ELNS0_20block_scan_algorithmE0ELj4294967295EEENS1_25partition_config_selectorILNS1_17partition_subalgoE4EjNS0_10empty_typeEbEEZZNS1_14partition_implILS8_4ELb0ES6_15HIP_vector_typeIjLj2EENS0_17counting_iteratorIjlEEPS9_SG_NS0_5tupleIJPjSI_NS0_16reverse_iteratorISI_EEEEENSH_IJSG_SG_SG_EEES9_SI_JZNS1_25segmented_radix_sort_implINS0_14default_configELb0EPKaPaPKlPlN2at6native12_GLOBAL__N_18offset_tEEE10hipError_tPvRmT1_PNSt15iterator_traitsIS12_E10value_typeET2_T3_PNS13_IS18_E10value_typeET4_jRbjT5_S1E_jjP12ihipStream_tbEUljE_ZNSN_ISO_Lb0ESQ_SR_ST_SU_SY_EESZ_S10_S11_S12_S16_S17_S18_S1B_S1C_jS1D_jS1E_S1E_jjS1G_bEUljE0_EEESZ_S10_S11_S18_S1C_S1E_T6_T7_T9_mT8_S1G_bDpT10_ENKUlT_T0_E_clISt17integral_constantIbLb0EES1U_EEDaS1P_S1Q_EUlS1P_E_NS1_11comp_targetILNS1_3genE4ELNS1_11target_archE910ELNS1_3gpuE8ELNS1_3repE0EEENS1_30default_config_static_selectorELNS0_4arch9wavefront6targetE0EEEvS12_,comdat
	.globl	_ZN7rocprim17ROCPRIM_400000_NS6detail17trampoline_kernelINS0_13select_configILj256ELj13ELNS0_17block_load_methodE3ELS4_3ELS4_3ELNS0_20block_scan_algorithmE0ELj4294967295EEENS1_25partition_config_selectorILNS1_17partition_subalgoE4EjNS0_10empty_typeEbEEZZNS1_14partition_implILS8_4ELb0ES6_15HIP_vector_typeIjLj2EENS0_17counting_iteratorIjlEEPS9_SG_NS0_5tupleIJPjSI_NS0_16reverse_iteratorISI_EEEEENSH_IJSG_SG_SG_EEES9_SI_JZNS1_25segmented_radix_sort_implINS0_14default_configELb0EPKaPaPKlPlN2at6native12_GLOBAL__N_18offset_tEEE10hipError_tPvRmT1_PNSt15iterator_traitsIS12_E10value_typeET2_T3_PNS13_IS18_E10value_typeET4_jRbjT5_S1E_jjP12ihipStream_tbEUljE_ZNSN_ISO_Lb0ESQ_SR_ST_SU_SY_EESZ_S10_S11_S12_S16_S17_S18_S1B_S1C_jS1D_jS1E_S1E_jjS1G_bEUljE0_EEESZ_S10_S11_S18_S1C_S1E_T6_T7_T9_mT8_S1G_bDpT10_ENKUlT_T0_E_clISt17integral_constantIbLb0EES1U_EEDaS1P_S1Q_EUlS1P_E_NS1_11comp_targetILNS1_3genE4ELNS1_11target_archE910ELNS1_3gpuE8ELNS1_3repE0EEENS1_30default_config_static_selectorELNS0_4arch9wavefront6targetE0EEEvS12_ ; -- Begin function _ZN7rocprim17ROCPRIM_400000_NS6detail17trampoline_kernelINS0_13select_configILj256ELj13ELNS0_17block_load_methodE3ELS4_3ELS4_3ELNS0_20block_scan_algorithmE0ELj4294967295EEENS1_25partition_config_selectorILNS1_17partition_subalgoE4EjNS0_10empty_typeEbEEZZNS1_14partition_implILS8_4ELb0ES6_15HIP_vector_typeIjLj2EENS0_17counting_iteratorIjlEEPS9_SG_NS0_5tupleIJPjSI_NS0_16reverse_iteratorISI_EEEEENSH_IJSG_SG_SG_EEES9_SI_JZNS1_25segmented_radix_sort_implINS0_14default_configELb0EPKaPaPKlPlN2at6native12_GLOBAL__N_18offset_tEEE10hipError_tPvRmT1_PNSt15iterator_traitsIS12_E10value_typeET2_T3_PNS13_IS18_E10value_typeET4_jRbjT5_S1E_jjP12ihipStream_tbEUljE_ZNSN_ISO_Lb0ESQ_SR_ST_SU_SY_EESZ_S10_S11_S12_S16_S17_S18_S1B_S1C_jS1D_jS1E_S1E_jjS1G_bEUljE0_EEESZ_S10_S11_S18_S1C_S1E_T6_T7_T9_mT8_S1G_bDpT10_ENKUlT_T0_E_clISt17integral_constantIbLb0EES1U_EEDaS1P_S1Q_EUlS1P_E_NS1_11comp_targetILNS1_3genE4ELNS1_11target_archE910ELNS1_3gpuE8ELNS1_3repE0EEENS1_30default_config_static_selectorELNS0_4arch9wavefront6targetE0EEEvS12_
	.p2align	8
	.type	_ZN7rocprim17ROCPRIM_400000_NS6detail17trampoline_kernelINS0_13select_configILj256ELj13ELNS0_17block_load_methodE3ELS4_3ELS4_3ELNS0_20block_scan_algorithmE0ELj4294967295EEENS1_25partition_config_selectorILNS1_17partition_subalgoE4EjNS0_10empty_typeEbEEZZNS1_14partition_implILS8_4ELb0ES6_15HIP_vector_typeIjLj2EENS0_17counting_iteratorIjlEEPS9_SG_NS0_5tupleIJPjSI_NS0_16reverse_iteratorISI_EEEEENSH_IJSG_SG_SG_EEES9_SI_JZNS1_25segmented_radix_sort_implINS0_14default_configELb0EPKaPaPKlPlN2at6native12_GLOBAL__N_18offset_tEEE10hipError_tPvRmT1_PNSt15iterator_traitsIS12_E10value_typeET2_T3_PNS13_IS18_E10value_typeET4_jRbjT5_S1E_jjP12ihipStream_tbEUljE_ZNSN_ISO_Lb0ESQ_SR_ST_SU_SY_EESZ_S10_S11_S12_S16_S17_S18_S1B_S1C_jS1D_jS1E_S1E_jjS1G_bEUljE0_EEESZ_S10_S11_S18_S1C_S1E_T6_T7_T9_mT8_S1G_bDpT10_ENKUlT_T0_E_clISt17integral_constantIbLb0EES1U_EEDaS1P_S1Q_EUlS1P_E_NS1_11comp_targetILNS1_3genE4ELNS1_11target_archE910ELNS1_3gpuE8ELNS1_3repE0EEENS1_30default_config_static_selectorELNS0_4arch9wavefront6targetE0EEEvS12_,@function
_ZN7rocprim17ROCPRIM_400000_NS6detail17trampoline_kernelINS0_13select_configILj256ELj13ELNS0_17block_load_methodE3ELS4_3ELS4_3ELNS0_20block_scan_algorithmE0ELj4294967295EEENS1_25partition_config_selectorILNS1_17partition_subalgoE4EjNS0_10empty_typeEbEEZZNS1_14partition_implILS8_4ELb0ES6_15HIP_vector_typeIjLj2EENS0_17counting_iteratorIjlEEPS9_SG_NS0_5tupleIJPjSI_NS0_16reverse_iteratorISI_EEEEENSH_IJSG_SG_SG_EEES9_SI_JZNS1_25segmented_radix_sort_implINS0_14default_configELb0EPKaPaPKlPlN2at6native12_GLOBAL__N_18offset_tEEE10hipError_tPvRmT1_PNSt15iterator_traitsIS12_E10value_typeET2_T3_PNS13_IS18_E10value_typeET4_jRbjT5_S1E_jjP12ihipStream_tbEUljE_ZNSN_ISO_Lb0ESQ_SR_ST_SU_SY_EESZ_S10_S11_S12_S16_S17_S18_S1B_S1C_jS1D_jS1E_S1E_jjS1G_bEUljE0_EEESZ_S10_S11_S18_S1C_S1E_T6_T7_T9_mT8_S1G_bDpT10_ENKUlT_T0_E_clISt17integral_constantIbLb0EES1U_EEDaS1P_S1Q_EUlS1P_E_NS1_11comp_targetILNS1_3genE4ELNS1_11target_archE910ELNS1_3gpuE8ELNS1_3repE0EEENS1_30default_config_static_selectorELNS0_4arch9wavefront6targetE0EEEvS12_: ; @_ZN7rocprim17ROCPRIM_400000_NS6detail17trampoline_kernelINS0_13select_configILj256ELj13ELNS0_17block_load_methodE3ELS4_3ELS4_3ELNS0_20block_scan_algorithmE0ELj4294967295EEENS1_25partition_config_selectorILNS1_17partition_subalgoE4EjNS0_10empty_typeEbEEZZNS1_14partition_implILS8_4ELb0ES6_15HIP_vector_typeIjLj2EENS0_17counting_iteratorIjlEEPS9_SG_NS0_5tupleIJPjSI_NS0_16reverse_iteratorISI_EEEEENSH_IJSG_SG_SG_EEES9_SI_JZNS1_25segmented_radix_sort_implINS0_14default_configELb0EPKaPaPKlPlN2at6native12_GLOBAL__N_18offset_tEEE10hipError_tPvRmT1_PNSt15iterator_traitsIS12_E10value_typeET2_T3_PNS13_IS18_E10value_typeET4_jRbjT5_S1E_jjP12ihipStream_tbEUljE_ZNSN_ISO_Lb0ESQ_SR_ST_SU_SY_EESZ_S10_S11_S12_S16_S17_S18_S1B_S1C_jS1D_jS1E_S1E_jjS1G_bEUljE0_EEESZ_S10_S11_S18_S1C_S1E_T6_T7_T9_mT8_S1G_bDpT10_ENKUlT_T0_E_clISt17integral_constantIbLb0EES1U_EEDaS1P_S1Q_EUlS1P_E_NS1_11comp_targetILNS1_3genE4ELNS1_11target_archE910ELNS1_3gpuE8ELNS1_3repE0EEENS1_30default_config_static_selectorELNS0_4arch9wavefront6targetE0EEEvS12_
; %bb.0:
	.section	.rodata,"a",@progbits
	.p2align	6, 0x0
	.amdhsa_kernel _ZN7rocprim17ROCPRIM_400000_NS6detail17trampoline_kernelINS0_13select_configILj256ELj13ELNS0_17block_load_methodE3ELS4_3ELS4_3ELNS0_20block_scan_algorithmE0ELj4294967295EEENS1_25partition_config_selectorILNS1_17partition_subalgoE4EjNS0_10empty_typeEbEEZZNS1_14partition_implILS8_4ELb0ES6_15HIP_vector_typeIjLj2EENS0_17counting_iteratorIjlEEPS9_SG_NS0_5tupleIJPjSI_NS0_16reverse_iteratorISI_EEEEENSH_IJSG_SG_SG_EEES9_SI_JZNS1_25segmented_radix_sort_implINS0_14default_configELb0EPKaPaPKlPlN2at6native12_GLOBAL__N_18offset_tEEE10hipError_tPvRmT1_PNSt15iterator_traitsIS12_E10value_typeET2_T3_PNS13_IS18_E10value_typeET4_jRbjT5_S1E_jjP12ihipStream_tbEUljE_ZNSN_ISO_Lb0ESQ_SR_ST_SU_SY_EESZ_S10_S11_S12_S16_S17_S18_S1B_S1C_jS1D_jS1E_S1E_jjS1G_bEUljE0_EEESZ_S10_S11_S18_S1C_S1E_T6_T7_T9_mT8_S1G_bDpT10_ENKUlT_T0_E_clISt17integral_constantIbLb0EES1U_EEDaS1P_S1Q_EUlS1P_E_NS1_11comp_targetILNS1_3genE4ELNS1_11target_archE910ELNS1_3gpuE8ELNS1_3repE0EEENS1_30default_config_static_selectorELNS0_4arch9wavefront6targetE0EEEvS12_
		.amdhsa_group_segment_fixed_size 0
		.amdhsa_private_segment_fixed_size 0
		.amdhsa_kernarg_size 176
		.amdhsa_user_sgpr_count 2
		.amdhsa_user_sgpr_dispatch_ptr 0
		.amdhsa_user_sgpr_queue_ptr 0
		.amdhsa_user_sgpr_kernarg_segment_ptr 1
		.amdhsa_user_sgpr_dispatch_id 0
		.amdhsa_user_sgpr_private_segment_size 0
		.amdhsa_wavefront_size32 1
		.amdhsa_uses_dynamic_stack 0
		.amdhsa_enable_private_segment 0
		.amdhsa_system_sgpr_workgroup_id_x 1
		.amdhsa_system_sgpr_workgroup_id_y 0
		.amdhsa_system_sgpr_workgroup_id_z 0
		.amdhsa_system_sgpr_workgroup_info 0
		.amdhsa_system_vgpr_workitem_id 0
		.amdhsa_next_free_vgpr 1
		.amdhsa_next_free_sgpr 1
		.amdhsa_reserve_vcc 0
		.amdhsa_float_round_mode_32 0
		.amdhsa_float_round_mode_16_64 0
		.amdhsa_float_denorm_mode_32 3
		.amdhsa_float_denorm_mode_16_64 3
		.amdhsa_fp16_overflow 0
		.amdhsa_workgroup_processor_mode 1
		.amdhsa_memory_ordered 1
		.amdhsa_forward_progress 1
		.amdhsa_inst_pref_size 0
		.amdhsa_round_robin_scheduling 0
		.amdhsa_exception_fp_ieee_invalid_op 0
		.amdhsa_exception_fp_denorm_src 0
		.amdhsa_exception_fp_ieee_div_zero 0
		.amdhsa_exception_fp_ieee_overflow 0
		.amdhsa_exception_fp_ieee_underflow 0
		.amdhsa_exception_fp_ieee_inexact 0
		.amdhsa_exception_int_div_zero 0
	.end_amdhsa_kernel
	.section	.text._ZN7rocprim17ROCPRIM_400000_NS6detail17trampoline_kernelINS0_13select_configILj256ELj13ELNS0_17block_load_methodE3ELS4_3ELS4_3ELNS0_20block_scan_algorithmE0ELj4294967295EEENS1_25partition_config_selectorILNS1_17partition_subalgoE4EjNS0_10empty_typeEbEEZZNS1_14partition_implILS8_4ELb0ES6_15HIP_vector_typeIjLj2EENS0_17counting_iteratorIjlEEPS9_SG_NS0_5tupleIJPjSI_NS0_16reverse_iteratorISI_EEEEENSH_IJSG_SG_SG_EEES9_SI_JZNS1_25segmented_radix_sort_implINS0_14default_configELb0EPKaPaPKlPlN2at6native12_GLOBAL__N_18offset_tEEE10hipError_tPvRmT1_PNSt15iterator_traitsIS12_E10value_typeET2_T3_PNS13_IS18_E10value_typeET4_jRbjT5_S1E_jjP12ihipStream_tbEUljE_ZNSN_ISO_Lb0ESQ_SR_ST_SU_SY_EESZ_S10_S11_S12_S16_S17_S18_S1B_S1C_jS1D_jS1E_S1E_jjS1G_bEUljE0_EEESZ_S10_S11_S18_S1C_S1E_T6_T7_T9_mT8_S1G_bDpT10_ENKUlT_T0_E_clISt17integral_constantIbLb0EES1U_EEDaS1P_S1Q_EUlS1P_E_NS1_11comp_targetILNS1_3genE4ELNS1_11target_archE910ELNS1_3gpuE8ELNS1_3repE0EEENS1_30default_config_static_selectorELNS0_4arch9wavefront6targetE0EEEvS12_,"axG",@progbits,_ZN7rocprim17ROCPRIM_400000_NS6detail17trampoline_kernelINS0_13select_configILj256ELj13ELNS0_17block_load_methodE3ELS4_3ELS4_3ELNS0_20block_scan_algorithmE0ELj4294967295EEENS1_25partition_config_selectorILNS1_17partition_subalgoE4EjNS0_10empty_typeEbEEZZNS1_14partition_implILS8_4ELb0ES6_15HIP_vector_typeIjLj2EENS0_17counting_iteratorIjlEEPS9_SG_NS0_5tupleIJPjSI_NS0_16reverse_iteratorISI_EEEEENSH_IJSG_SG_SG_EEES9_SI_JZNS1_25segmented_radix_sort_implINS0_14default_configELb0EPKaPaPKlPlN2at6native12_GLOBAL__N_18offset_tEEE10hipError_tPvRmT1_PNSt15iterator_traitsIS12_E10value_typeET2_T3_PNS13_IS18_E10value_typeET4_jRbjT5_S1E_jjP12ihipStream_tbEUljE_ZNSN_ISO_Lb0ESQ_SR_ST_SU_SY_EESZ_S10_S11_S12_S16_S17_S18_S1B_S1C_jS1D_jS1E_S1E_jjS1G_bEUljE0_EEESZ_S10_S11_S18_S1C_S1E_T6_T7_T9_mT8_S1G_bDpT10_ENKUlT_T0_E_clISt17integral_constantIbLb0EES1U_EEDaS1P_S1Q_EUlS1P_E_NS1_11comp_targetILNS1_3genE4ELNS1_11target_archE910ELNS1_3gpuE8ELNS1_3repE0EEENS1_30default_config_static_selectorELNS0_4arch9wavefront6targetE0EEEvS12_,comdat
.Lfunc_end331:
	.size	_ZN7rocprim17ROCPRIM_400000_NS6detail17trampoline_kernelINS0_13select_configILj256ELj13ELNS0_17block_load_methodE3ELS4_3ELS4_3ELNS0_20block_scan_algorithmE0ELj4294967295EEENS1_25partition_config_selectorILNS1_17partition_subalgoE4EjNS0_10empty_typeEbEEZZNS1_14partition_implILS8_4ELb0ES6_15HIP_vector_typeIjLj2EENS0_17counting_iteratorIjlEEPS9_SG_NS0_5tupleIJPjSI_NS0_16reverse_iteratorISI_EEEEENSH_IJSG_SG_SG_EEES9_SI_JZNS1_25segmented_radix_sort_implINS0_14default_configELb0EPKaPaPKlPlN2at6native12_GLOBAL__N_18offset_tEEE10hipError_tPvRmT1_PNSt15iterator_traitsIS12_E10value_typeET2_T3_PNS13_IS18_E10value_typeET4_jRbjT5_S1E_jjP12ihipStream_tbEUljE_ZNSN_ISO_Lb0ESQ_SR_ST_SU_SY_EESZ_S10_S11_S12_S16_S17_S18_S1B_S1C_jS1D_jS1E_S1E_jjS1G_bEUljE0_EEESZ_S10_S11_S18_S1C_S1E_T6_T7_T9_mT8_S1G_bDpT10_ENKUlT_T0_E_clISt17integral_constantIbLb0EES1U_EEDaS1P_S1Q_EUlS1P_E_NS1_11comp_targetILNS1_3genE4ELNS1_11target_archE910ELNS1_3gpuE8ELNS1_3repE0EEENS1_30default_config_static_selectorELNS0_4arch9wavefront6targetE0EEEvS12_, .Lfunc_end331-_ZN7rocprim17ROCPRIM_400000_NS6detail17trampoline_kernelINS0_13select_configILj256ELj13ELNS0_17block_load_methodE3ELS4_3ELS4_3ELNS0_20block_scan_algorithmE0ELj4294967295EEENS1_25partition_config_selectorILNS1_17partition_subalgoE4EjNS0_10empty_typeEbEEZZNS1_14partition_implILS8_4ELb0ES6_15HIP_vector_typeIjLj2EENS0_17counting_iteratorIjlEEPS9_SG_NS0_5tupleIJPjSI_NS0_16reverse_iteratorISI_EEEEENSH_IJSG_SG_SG_EEES9_SI_JZNS1_25segmented_radix_sort_implINS0_14default_configELb0EPKaPaPKlPlN2at6native12_GLOBAL__N_18offset_tEEE10hipError_tPvRmT1_PNSt15iterator_traitsIS12_E10value_typeET2_T3_PNS13_IS18_E10value_typeET4_jRbjT5_S1E_jjP12ihipStream_tbEUljE_ZNSN_ISO_Lb0ESQ_SR_ST_SU_SY_EESZ_S10_S11_S12_S16_S17_S18_S1B_S1C_jS1D_jS1E_S1E_jjS1G_bEUljE0_EEESZ_S10_S11_S18_S1C_S1E_T6_T7_T9_mT8_S1G_bDpT10_ENKUlT_T0_E_clISt17integral_constantIbLb0EES1U_EEDaS1P_S1Q_EUlS1P_E_NS1_11comp_targetILNS1_3genE4ELNS1_11target_archE910ELNS1_3gpuE8ELNS1_3repE0EEENS1_30default_config_static_selectorELNS0_4arch9wavefront6targetE0EEEvS12_
                                        ; -- End function
	.set _ZN7rocprim17ROCPRIM_400000_NS6detail17trampoline_kernelINS0_13select_configILj256ELj13ELNS0_17block_load_methodE3ELS4_3ELS4_3ELNS0_20block_scan_algorithmE0ELj4294967295EEENS1_25partition_config_selectorILNS1_17partition_subalgoE4EjNS0_10empty_typeEbEEZZNS1_14partition_implILS8_4ELb0ES6_15HIP_vector_typeIjLj2EENS0_17counting_iteratorIjlEEPS9_SG_NS0_5tupleIJPjSI_NS0_16reverse_iteratorISI_EEEEENSH_IJSG_SG_SG_EEES9_SI_JZNS1_25segmented_radix_sort_implINS0_14default_configELb0EPKaPaPKlPlN2at6native12_GLOBAL__N_18offset_tEEE10hipError_tPvRmT1_PNSt15iterator_traitsIS12_E10value_typeET2_T3_PNS13_IS18_E10value_typeET4_jRbjT5_S1E_jjP12ihipStream_tbEUljE_ZNSN_ISO_Lb0ESQ_SR_ST_SU_SY_EESZ_S10_S11_S12_S16_S17_S18_S1B_S1C_jS1D_jS1E_S1E_jjS1G_bEUljE0_EEESZ_S10_S11_S18_S1C_S1E_T6_T7_T9_mT8_S1G_bDpT10_ENKUlT_T0_E_clISt17integral_constantIbLb0EES1U_EEDaS1P_S1Q_EUlS1P_E_NS1_11comp_targetILNS1_3genE4ELNS1_11target_archE910ELNS1_3gpuE8ELNS1_3repE0EEENS1_30default_config_static_selectorELNS0_4arch9wavefront6targetE0EEEvS12_.num_vgpr, 0
	.set _ZN7rocprim17ROCPRIM_400000_NS6detail17trampoline_kernelINS0_13select_configILj256ELj13ELNS0_17block_load_methodE3ELS4_3ELS4_3ELNS0_20block_scan_algorithmE0ELj4294967295EEENS1_25partition_config_selectorILNS1_17partition_subalgoE4EjNS0_10empty_typeEbEEZZNS1_14partition_implILS8_4ELb0ES6_15HIP_vector_typeIjLj2EENS0_17counting_iteratorIjlEEPS9_SG_NS0_5tupleIJPjSI_NS0_16reverse_iteratorISI_EEEEENSH_IJSG_SG_SG_EEES9_SI_JZNS1_25segmented_radix_sort_implINS0_14default_configELb0EPKaPaPKlPlN2at6native12_GLOBAL__N_18offset_tEEE10hipError_tPvRmT1_PNSt15iterator_traitsIS12_E10value_typeET2_T3_PNS13_IS18_E10value_typeET4_jRbjT5_S1E_jjP12ihipStream_tbEUljE_ZNSN_ISO_Lb0ESQ_SR_ST_SU_SY_EESZ_S10_S11_S12_S16_S17_S18_S1B_S1C_jS1D_jS1E_S1E_jjS1G_bEUljE0_EEESZ_S10_S11_S18_S1C_S1E_T6_T7_T9_mT8_S1G_bDpT10_ENKUlT_T0_E_clISt17integral_constantIbLb0EES1U_EEDaS1P_S1Q_EUlS1P_E_NS1_11comp_targetILNS1_3genE4ELNS1_11target_archE910ELNS1_3gpuE8ELNS1_3repE0EEENS1_30default_config_static_selectorELNS0_4arch9wavefront6targetE0EEEvS12_.num_agpr, 0
	.set _ZN7rocprim17ROCPRIM_400000_NS6detail17trampoline_kernelINS0_13select_configILj256ELj13ELNS0_17block_load_methodE3ELS4_3ELS4_3ELNS0_20block_scan_algorithmE0ELj4294967295EEENS1_25partition_config_selectorILNS1_17partition_subalgoE4EjNS0_10empty_typeEbEEZZNS1_14partition_implILS8_4ELb0ES6_15HIP_vector_typeIjLj2EENS0_17counting_iteratorIjlEEPS9_SG_NS0_5tupleIJPjSI_NS0_16reverse_iteratorISI_EEEEENSH_IJSG_SG_SG_EEES9_SI_JZNS1_25segmented_radix_sort_implINS0_14default_configELb0EPKaPaPKlPlN2at6native12_GLOBAL__N_18offset_tEEE10hipError_tPvRmT1_PNSt15iterator_traitsIS12_E10value_typeET2_T3_PNS13_IS18_E10value_typeET4_jRbjT5_S1E_jjP12ihipStream_tbEUljE_ZNSN_ISO_Lb0ESQ_SR_ST_SU_SY_EESZ_S10_S11_S12_S16_S17_S18_S1B_S1C_jS1D_jS1E_S1E_jjS1G_bEUljE0_EEESZ_S10_S11_S18_S1C_S1E_T6_T7_T9_mT8_S1G_bDpT10_ENKUlT_T0_E_clISt17integral_constantIbLb0EES1U_EEDaS1P_S1Q_EUlS1P_E_NS1_11comp_targetILNS1_3genE4ELNS1_11target_archE910ELNS1_3gpuE8ELNS1_3repE0EEENS1_30default_config_static_selectorELNS0_4arch9wavefront6targetE0EEEvS12_.numbered_sgpr, 0
	.set _ZN7rocprim17ROCPRIM_400000_NS6detail17trampoline_kernelINS0_13select_configILj256ELj13ELNS0_17block_load_methodE3ELS4_3ELS4_3ELNS0_20block_scan_algorithmE0ELj4294967295EEENS1_25partition_config_selectorILNS1_17partition_subalgoE4EjNS0_10empty_typeEbEEZZNS1_14partition_implILS8_4ELb0ES6_15HIP_vector_typeIjLj2EENS0_17counting_iteratorIjlEEPS9_SG_NS0_5tupleIJPjSI_NS0_16reverse_iteratorISI_EEEEENSH_IJSG_SG_SG_EEES9_SI_JZNS1_25segmented_radix_sort_implINS0_14default_configELb0EPKaPaPKlPlN2at6native12_GLOBAL__N_18offset_tEEE10hipError_tPvRmT1_PNSt15iterator_traitsIS12_E10value_typeET2_T3_PNS13_IS18_E10value_typeET4_jRbjT5_S1E_jjP12ihipStream_tbEUljE_ZNSN_ISO_Lb0ESQ_SR_ST_SU_SY_EESZ_S10_S11_S12_S16_S17_S18_S1B_S1C_jS1D_jS1E_S1E_jjS1G_bEUljE0_EEESZ_S10_S11_S18_S1C_S1E_T6_T7_T9_mT8_S1G_bDpT10_ENKUlT_T0_E_clISt17integral_constantIbLb0EES1U_EEDaS1P_S1Q_EUlS1P_E_NS1_11comp_targetILNS1_3genE4ELNS1_11target_archE910ELNS1_3gpuE8ELNS1_3repE0EEENS1_30default_config_static_selectorELNS0_4arch9wavefront6targetE0EEEvS12_.num_named_barrier, 0
	.set _ZN7rocprim17ROCPRIM_400000_NS6detail17trampoline_kernelINS0_13select_configILj256ELj13ELNS0_17block_load_methodE3ELS4_3ELS4_3ELNS0_20block_scan_algorithmE0ELj4294967295EEENS1_25partition_config_selectorILNS1_17partition_subalgoE4EjNS0_10empty_typeEbEEZZNS1_14partition_implILS8_4ELb0ES6_15HIP_vector_typeIjLj2EENS0_17counting_iteratorIjlEEPS9_SG_NS0_5tupleIJPjSI_NS0_16reverse_iteratorISI_EEEEENSH_IJSG_SG_SG_EEES9_SI_JZNS1_25segmented_radix_sort_implINS0_14default_configELb0EPKaPaPKlPlN2at6native12_GLOBAL__N_18offset_tEEE10hipError_tPvRmT1_PNSt15iterator_traitsIS12_E10value_typeET2_T3_PNS13_IS18_E10value_typeET4_jRbjT5_S1E_jjP12ihipStream_tbEUljE_ZNSN_ISO_Lb0ESQ_SR_ST_SU_SY_EESZ_S10_S11_S12_S16_S17_S18_S1B_S1C_jS1D_jS1E_S1E_jjS1G_bEUljE0_EEESZ_S10_S11_S18_S1C_S1E_T6_T7_T9_mT8_S1G_bDpT10_ENKUlT_T0_E_clISt17integral_constantIbLb0EES1U_EEDaS1P_S1Q_EUlS1P_E_NS1_11comp_targetILNS1_3genE4ELNS1_11target_archE910ELNS1_3gpuE8ELNS1_3repE0EEENS1_30default_config_static_selectorELNS0_4arch9wavefront6targetE0EEEvS12_.private_seg_size, 0
	.set _ZN7rocprim17ROCPRIM_400000_NS6detail17trampoline_kernelINS0_13select_configILj256ELj13ELNS0_17block_load_methodE3ELS4_3ELS4_3ELNS0_20block_scan_algorithmE0ELj4294967295EEENS1_25partition_config_selectorILNS1_17partition_subalgoE4EjNS0_10empty_typeEbEEZZNS1_14partition_implILS8_4ELb0ES6_15HIP_vector_typeIjLj2EENS0_17counting_iteratorIjlEEPS9_SG_NS0_5tupleIJPjSI_NS0_16reverse_iteratorISI_EEEEENSH_IJSG_SG_SG_EEES9_SI_JZNS1_25segmented_radix_sort_implINS0_14default_configELb0EPKaPaPKlPlN2at6native12_GLOBAL__N_18offset_tEEE10hipError_tPvRmT1_PNSt15iterator_traitsIS12_E10value_typeET2_T3_PNS13_IS18_E10value_typeET4_jRbjT5_S1E_jjP12ihipStream_tbEUljE_ZNSN_ISO_Lb0ESQ_SR_ST_SU_SY_EESZ_S10_S11_S12_S16_S17_S18_S1B_S1C_jS1D_jS1E_S1E_jjS1G_bEUljE0_EEESZ_S10_S11_S18_S1C_S1E_T6_T7_T9_mT8_S1G_bDpT10_ENKUlT_T0_E_clISt17integral_constantIbLb0EES1U_EEDaS1P_S1Q_EUlS1P_E_NS1_11comp_targetILNS1_3genE4ELNS1_11target_archE910ELNS1_3gpuE8ELNS1_3repE0EEENS1_30default_config_static_selectorELNS0_4arch9wavefront6targetE0EEEvS12_.uses_vcc, 0
	.set _ZN7rocprim17ROCPRIM_400000_NS6detail17trampoline_kernelINS0_13select_configILj256ELj13ELNS0_17block_load_methodE3ELS4_3ELS4_3ELNS0_20block_scan_algorithmE0ELj4294967295EEENS1_25partition_config_selectorILNS1_17partition_subalgoE4EjNS0_10empty_typeEbEEZZNS1_14partition_implILS8_4ELb0ES6_15HIP_vector_typeIjLj2EENS0_17counting_iteratorIjlEEPS9_SG_NS0_5tupleIJPjSI_NS0_16reverse_iteratorISI_EEEEENSH_IJSG_SG_SG_EEES9_SI_JZNS1_25segmented_radix_sort_implINS0_14default_configELb0EPKaPaPKlPlN2at6native12_GLOBAL__N_18offset_tEEE10hipError_tPvRmT1_PNSt15iterator_traitsIS12_E10value_typeET2_T3_PNS13_IS18_E10value_typeET4_jRbjT5_S1E_jjP12ihipStream_tbEUljE_ZNSN_ISO_Lb0ESQ_SR_ST_SU_SY_EESZ_S10_S11_S12_S16_S17_S18_S1B_S1C_jS1D_jS1E_S1E_jjS1G_bEUljE0_EEESZ_S10_S11_S18_S1C_S1E_T6_T7_T9_mT8_S1G_bDpT10_ENKUlT_T0_E_clISt17integral_constantIbLb0EES1U_EEDaS1P_S1Q_EUlS1P_E_NS1_11comp_targetILNS1_3genE4ELNS1_11target_archE910ELNS1_3gpuE8ELNS1_3repE0EEENS1_30default_config_static_selectorELNS0_4arch9wavefront6targetE0EEEvS12_.uses_flat_scratch, 0
	.set _ZN7rocprim17ROCPRIM_400000_NS6detail17trampoline_kernelINS0_13select_configILj256ELj13ELNS0_17block_load_methodE3ELS4_3ELS4_3ELNS0_20block_scan_algorithmE0ELj4294967295EEENS1_25partition_config_selectorILNS1_17partition_subalgoE4EjNS0_10empty_typeEbEEZZNS1_14partition_implILS8_4ELb0ES6_15HIP_vector_typeIjLj2EENS0_17counting_iteratorIjlEEPS9_SG_NS0_5tupleIJPjSI_NS0_16reverse_iteratorISI_EEEEENSH_IJSG_SG_SG_EEES9_SI_JZNS1_25segmented_radix_sort_implINS0_14default_configELb0EPKaPaPKlPlN2at6native12_GLOBAL__N_18offset_tEEE10hipError_tPvRmT1_PNSt15iterator_traitsIS12_E10value_typeET2_T3_PNS13_IS18_E10value_typeET4_jRbjT5_S1E_jjP12ihipStream_tbEUljE_ZNSN_ISO_Lb0ESQ_SR_ST_SU_SY_EESZ_S10_S11_S12_S16_S17_S18_S1B_S1C_jS1D_jS1E_S1E_jjS1G_bEUljE0_EEESZ_S10_S11_S18_S1C_S1E_T6_T7_T9_mT8_S1G_bDpT10_ENKUlT_T0_E_clISt17integral_constantIbLb0EES1U_EEDaS1P_S1Q_EUlS1P_E_NS1_11comp_targetILNS1_3genE4ELNS1_11target_archE910ELNS1_3gpuE8ELNS1_3repE0EEENS1_30default_config_static_selectorELNS0_4arch9wavefront6targetE0EEEvS12_.has_dyn_sized_stack, 0
	.set _ZN7rocprim17ROCPRIM_400000_NS6detail17trampoline_kernelINS0_13select_configILj256ELj13ELNS0_17block_load_methodE3ELS4_3ELS4_3ELNS0_20block_scan_algorithmE0ELj4294967295EEENS1_25partition_config_selectorILNS1_17partition_subalgoE4EjNS0_10empty_typeEbEEZZNS1_14partition_implILS8_4ELb0ES6_15HIP_vector_typeIjLj2EENS0_17counting_iteratorIjlEEPS9_SG_NS0_5tupleIJPjSI_NS0_16reverse_iteratorISI_EEEEENSH_IJSG_SG_SG_EEES9_SI_JZNS1_25segmented_radix_sort_implINS0_14default_configELb0EPKaPaPKlPlN2at6native12_GLOBAL__N_18offset_tEEE10hipError_tPvRmT1_PNSt15iterator_traitsIS12_E10value_typeET2_T3_PNS13_IS18_E10value_typeET4_jRbjT5_S1E_jjP12ihipStream_tbEUljE_ZNSN_ISO_Lb0ESQ_SR_ST_SU_SY_EESZ_S10_S11_S12_S16_S17_S18_S1B_S1C_jS1D_jS1E_S1E_jjS1G_bEUljE0_EEESZ_S10_S11_S18_S1C_S1E_T6_T7_T9_mT8_S1G_bDpT10_ENKUlT_T0_E_clISt17integral_constantIbLb0EES1U_EEDaS1P_S1Q_EUlS1P_E_NS1_11comp_targetILNS1_3genE4ELNS1_11target_archE910ELNS1_3gpuE8ELNS1_3repE0EEENS1_30default_config_static_selectorELNS0_4arch9wavefront6targetE0EEEvS12_.has_recursion, 0
	.set _ZN7rocprim17ROCPRIM_400000_NS6detail17trampoline_kernelINS0_13select_configILj256ELj13ELNS0_17block_load_methodE3ELS4_3ELS4_3ELNS0_20block_scan_algorithmE0ELj4294967295EEENS1_25partition_config_selectorILNS1_17partition_subalgoE4EjNS0_10empty_typeEbEEZZNS1_14partition_implILS8_4ELb0ES6_15HIP_vector_typeIjLj2EENS0_17counting_iteratorIjlEEPS9_SG_NS0_5tupleIJPjSI_NS0_16reverse_iteratorISI_EEEEENSH_IJSG_SG_SG_EEES9_SI_JZNS1_25segmented_radix_sort_implINS0_14default_configELb0EPKaPaPKlPlN2at6native12_GLOBAL__N_18offset_tEEE10hipError_tPvRmT1_PNSt15iterator_traitsIS12_E10value_typeET2_T3_PNS13_IS18_E10value_typeET4_jRbjT5_S1E_jjP12ihipStream_tbEUljE_ZNSN_ISO_Lb0ESQ_SR_ST_SU_SY_EESZ_S10_S11_S12_S16_S17_S18_S1B_S1C_jS1D_jS1E_S1E_jjS1G_bEUljE0_EEESZ_S10_S11_S18_S1C_S1E_T6_T7_T9_mT8_S1G_bDpT10_ENKUlT_T0_E_clISt17integral_constantIbLb0EES1U_EEDaS1P_S1Q_EUlS1P_E_NS1_11comp_targetILNS1_3genE4ELNS1_11target_archE910ELNS1_3gpuE8ELNS1_3repE0EEENS1_30default_config_static_selectorELNS0_4arch9wavefront6targetE0EEEvS12_.has_indirect_call, 0
	.section	.AMDGPU.csdata,"",@progbits
; Kernel info:
; codeLenInByte = 0
; TotalNumSgprs: 0
; NumVgprs: 0
; ScratchSize: 0
; MemoryBound: 0
; FloatMode: 240
; IeeeMode: 1
; LDSByteSize: 0 bytes/workgroup (compile time only)
; SGPRBlocks: 0
; VGPRBlocks: 0
; NumSGPRsForWavesPerEU: 1
; NumVGPRsForWavesPerEU: 1
; Occupancy: 16
; WaveLimiterHint : 0
; COMPUTE_PGM_RSRC2:SCRATCH_EN: 0
; COMPUTE_PGM_RSRC2:USER_SGPR: 2
; COMPUTE_PGM_RSRC2:TRAP_HANDLER: 0
; COMPUTE_PGM_RSRC2:TGID_X_EN: 1
; COMPUTE_PGM_RSRC2:TGID_Y_EN: 0
; COMPUTE_PGM_RSRC2:TGID_Z_EN: 0
; COMPUTE_PGM_RSRC2:TIDIG_COMP_CNT: 0
	.section	.text._ZN7rocprim17ROCPRIM_400000_NS6detail17trampoline_kernelINS0_13select_configILj256ELj13ELNS0_17block_load_methodE3ELS4_3ELS4_3ELNS0_20block_scan_algorithmE0ELj4294967295EEENS1_25partition_config_selectorILNS1_17partition_subalgoE4EjNS0_10empty_typeEbEEZZNS1_14partition_implILS8_4ELb0ES6_15HIP_vector_typeIjLj2EENS0_17counting_iteratorIjlEEPS9_SG_NS0_5tupleIJPjSI_NS0_16reverse_iteratorISI_EEEEENSH_IJSG_SG_SG_EEES9_SI_JZNS1_25segmented_radix_sort_implINS0_14default_configELb0EPKaPaPKlPlN2at6native12_GLOBAL__N_18offset_tEEE10hipError_tPvRmT1_PNSt15iterator_traitsIS12_E10value_typeET2_T3_PNS13_IS18_E10value_typeET4_jRbjT5_S1E_jjP12ihipStream_tbEUljE_ZNSN_ISO_Lb0ESQ_SR_ST_SU_SY_EESZ_S10_S11_S12_S16_S17_S18_S1B_S1C_jS1D_jS1E_S1E_jjS1G_bEUljE0_EEESZ_S10_S11_S18_S1C_S1E_T6_T7_T9_mT8_S1G_bDpT10_ENKUlT_T0_E_clISt17integral_constantIbLb0EES1U_EEDaS1P_S1Q_EUlS1P_E_NS1_11comp_targetILNS1_3genE3ELNS1_11target_archE908ELNS1_3gpuE7ELNS1_3repE0EEENS1_30default_config_static_selectorELNS0_4arch9wavefront6targetE0EEEvS12_,"axG",@progbits,_ZN7rocprim17ROCPRIM_400000_NS6detail17trampoline_kernelINS0_13select_configILj256ELj13ELNS0_17block_load_methodE3ELS4_3ELS4_3ELNS0_20block_scan_algorithmE0ELj4294967295EEENS1_25partition_config_selectorILNS1_17partition_subalgoE4EjNS0_10empty_typeEbEEZZNS1_14partition_implILS8_4ELb0ES6_15HIP_vector_typeIjLj2EENS0_17counting_iteratorIjlEEPS9_SG_NS0_5tupleIJPjSI_NS0_16reverse_iteratorISI_EEEEENSH_IJSG_SG_SG_EEES9_SI_JZNS1_25segmented_radix_sort_implINS0_14default_configELb0EPKaPaPKlPlN2at6native12_GLOBAL__N_18offset_tEEE10hipError_tPvRmT1_PNSt15iterator_traitsIS12_E10value_typeET2_T3_PNS13_IS18_E10value_typeET4_jRbjT5_S1E_jjP12ihipStream_tbEUljE_ZNSN_ISO_Lb0ESQ_SR_ST_SU_SY_EESZ_S10_S11_S12_S16_S17_S18_S1B_S1C_jS1D_jS1E_S1E_jjS1G_bEUljE0_EEESZ_S10_S11_S18_S1C_S1E_T6_T7_T9_mT8_S1G_bDpT10_ENKUlT_T0_E_clISt17integral_constantIbLb0EES1U_EEDaS1P_S1Q_EUlS1P_E_NS1_11comp_targetILNS1_3genE3ELNS1_11target_archE908ELNS1_3gpuE7ELNS1_3repE0EEENS1_30default_config_static_selectorELNS0_4arch9wavefront6targetE0EEEvS12_,comdat
	.globl	_ZN7rocprim17ROCPRIM_400000_NS6detail17trampoline_kernelINS0_13select_configILj256ELj13ELNS0_17block_load_methodE3ELS4_3ELS4_3ELNS0_20block_scan_algorithmE0ELj4294967295EEENS1_25partition_config_selectorILNS1_17partition_subalgoE4EjNS0_10empty_typeEbEEZZNS1_14partition_implILS8_4ELb0ES6_15HIP_vector_typeIjLj2EENS0_17counting_iteratorIjlEEPS9_SG_NS0_5tupleIJPjSI_NS0_16reverse_iteratorISI_EEEEENSH_IJSG_SG_SG_EEES9_SI_JZNS1_25segmented_radix_sort_implINS0_14default_configELb0EPKaPaPKlPlN2at6native12_GLOBAL__N_18offset_tEEE10hipError_tPvRmT1_PNSt15iterator_traitsIS12_E10value_typeET2_T3_PNS13_IS18_E10value_typeET4_jRbjT5_S1E_jjP12ihipStream_tbEUljE_ZNSN_ISO_Lb0ESQ_SR_ST_SU_SY_EESZ_S10_S11_S12_S16_S17_S18_S1B_S1C_jS1D_jS1E_S1E_jjS1G_bEUljE0_EEESZ_S10_S11_S18_S1C_S1E_T6_T7_T9_mT8_S1G_bDpT10_ENKUlT_T0_E_clISt17integral_constantIbLb0EES1U_EEDaS1P_S1Q_EUlS1P_E_NS1_11comp_targetILNS1_3genE3ELNS1_11target_archE908ELNS1_3gpuE7ELNS1_3repE0EEENS1_30default_config_static_selectorELNS0_4arch9wavefront6targetE0EEEvS12_ ; -- Begin function _ZN7rocprim17ROCPRIM_400000_NS6detail17trampoline_kernelINS0_13select_configILj256ELj13ELNS0_17block_load_methodE3ELS4_3ELS4_3ELNS0_20block_scan_algorithmE0ELj4294967295EEENS1_25partition_config_selectorILNS1_17partition_subalgoE4EjNS0_10empty_typeEbEEZZNS1_14partition_implILS8_4ELb0ES6_15HIP_vector_typeIjLj2EENS0_17counting_iteratorIjlEEPS9_SG_NS0_5tupleIJPjSI_NS0_16reverse_iteratorISI_EEEEENSH_IJSG_SG_SG_EEES9_SI_JZNS1_25segmented_radix_sort_implINS0_14default_configELb0EPKaPaPKlPlN2at6native12_GLOBAL__N_18offset_tEEE10hipError_tPvRmT1_PNSt15iterator_traitsIS12_E10value_typeET2_T3_PNS13_IS18_E10value_typeET4_jRbjT5_S1E_jjP12ihipStream_tbEUljE_ZNSN_ISO_Lb0ESQ_SR_ST_SU_SY_EESZ_S10_S11_S12_S16_S17_S18_S1B_S1C_jS1D_jS1E_S1E_jjS1G_bEUljE0_EEESZ_S10_S11_S18_S1C_S1E_T6_T7_T9_mT8_S1G_bDpT10_ENKUlT_T0_E_clISt17integral_constantIbLb0EES1U_EEDaS1P_S1Q_EUlS1P_E_NS1_11comp_targetILNS1_3genE3ELNS1_11target_archE908ELNS1_3gpuE7ELNS1_3repE0EEENS1_30default_config_static_selectorELNS0_4arch9wavefront6targetE0EEEvS12_
	.p2align	8
	.type	_ZN7rocprim17ROCPRIM_400000_NS6detail17trampoline_kernelINS0_13select_configILj256ELj13ELNS0_17block_load_methodE3ELS4_3ELS4_3ELNS0_20block_scan_algorithmE0ELj4294967295EEENS1_25partition_config_selectorILNS1_17partition_subalgoE4EjNS0_10empty_typeEbEEZZNS1_14partition_implILS8_4ELb0ES6_15HIP_vector_typeIjLj2EENS0_17counting_iteratorIjlEEPS9_SG_NS0_5tupleIJPjSI_NS0_16reverse_iteratorISI_EEEEENSH_IJSG_SG_SG_EEES9_SI_JZNS1_25segmented_radix_sort_implINS0_14default_configELb0EPKaPaPKlPlN2at6native12_GLOBAL__N_18offset_tEEE10hipError_tPvRmT1_PNSt15iterator_traitsIS12_E10value_typeET2_T3_PNS13_IS18_E10value_typeET4_jRbjT5_S1E_jjP12ihipStream_tbEUljE_ZNSN_ISO_Lb0ESQ_SR_ST_SU_SY_EESZ_S10_S11_S12_S16_S17_S18_S1B_S1C_jS1D_jS1E_S1E_jjS1G_bEUljE0_EEESZ_S10_S11_S18_S1C_S1E_T6_T7_T9_mT8_S1G_bDpT10_ENKUlT_T0_E_clISt17integral_constantIbLb0EES1U_EEDaS1P_S1Q_EUlS1P_E_NS1_11comp_targetILNS1_3genE3ELNS1_11target_archE908ELNS1_3gpuE7ELNS1_3repE0EEENS1_30default_config_static_selectorELNS0_4arch9wavefront6targetE0EEEvS12_,@function
_ZN7rocprim17ROCPRIM_400000_NS6detail17trampoline_kernelINS0_13select_configILj256ELj13ELNS0_17block_load_methodE3ELS4_3ELS4_3ELNS0_20block_scan_algorithmE0ELj4294967295EEENS1_25partition_config_selectorILNS1_17partition_subalgoE4EjNS0_10empty_typeEbEEZZNS1_14partition_implILS8_4ELb0ES6_15HIP_vector_typeIjLj2EENS0_17counting_iteratorIjlEEPS9_SG_NS0_5tupleIJPjSI_NS0_16reverse_iteratorISI_EEEEENSH_IJSG_SG_SG_EEES9_SI_JZNS1_25segmented_radix_sort_implINS0_14default_configELb0EPKaPaPKlPlN2at6native12_GLOBAL__N_18offset_tEEE10hipError_tPvRmT1_PNSt15iterator_traitsIS12_E10value_typeET2_T3_PNS13_IS18_E10value_typeET4_jRbjT5_S1E_jjP12ihipStream_tbEUljE_ZNSN_ISO_Lb0ESQ_SR_ST_SU_SY_EESZ_S10_S11_S12_S16_S17_S18_S1B_S1C_jS1D_jS1E_S1E_jjS1G_bEUljE0_EEESZ_S10_S11_S18_S1C_S1E_T6_T7_T9_mT8_S1G_bDpT10_ENKUlT_T0_E_clISt17integral_constantIbLb0EES1U_EEDaS1P_S1Q_EUlS1P_E_NS1_11comp_targetILNS1_3genE3ELNS1_11target_archE908ELNS1_3gpuE7ELNS1_3repE0EEENS1_30default_config_static_selectorELNS0_4arch9wavefront6targetE0EEEvS12_: ; @_ZN7rocprim17ROCPRIM_400000_NS6detail17trampoline_kernelINS0_13select_configILj256ELj13ELNS0_17block_load_methodE3ELS4_3ELS4_3ELNS0_20block_scan_algorithmE0ELj4294967295EEENS1_25partition_config_selectorILNS1_17partition_subalgoE4EjNS0_10empty_typeEbEEZZNS1_14partition_implILS8_4ELb0ES6_15HIP_vector_typeIjLj2EENS0_17counting_iteratorIjlEEPS9_SG_NS0_5tupleIJPjSI_NS0_16reverse_iteratorISI_EEEEENSH_IJSG_SG_SG_EEES9_SI_JZNS1_25segmented_radix_sort_implINS0_14default_configELb0EPKaPaPKlPlN2at6native12_GLOBAL__N_18offset_tEEE10hipError_tPvRmT1_PNSt15iterator_traitsIS12_E10value_typeET2_T3_PNS13_IS18_E10value_typeET4_jRbjT5_S1E_jjP12ihipStream_tbEUljE_ZNSN_ISO_Lb0ESQ_SR_ST_SU_SY_EESZ_S10_S11_S12_S16_S17_S18_S1B_S1C_jS1D_jS1E_S1E_jjS1G_bEUljE0_EEESZ_S10_S11_S18_S1C_S1E_T6_T7_T9_mT8_S1G_bDpT10_ENKUlT_T0_E_clISt17integral_constantIbLb0EES1U_EEDaS1P_S1Q_EUlS1P_E_NS1_11comp_targetILNS1_3genE3ELNS1_11target_archE908ELNS1_3gpuE7ELNS1_3repE0EEENS1_30default_config_static_selectorELNS0_4arch9wavefront6targetE0EEEvS12_
; %bb.0:
	.section	.rodata,"a",@progbits
	.p2align	6, 0x0
	.amdhsa_kernel _ZN7rocprim17ROCPRIM_400000_NS6detail17trampoline_kernelINS0_13select_configILj256ELj13ELNS0_17block_load_methodE3ELS4_3ELS4_3ELNS0_20block_scan_algorithmE0ELj4294967295EEENS1_25partition_config_selectorILNS1_17partition_subalgoE4EjNS0_10empty_typeEbEEZZNS1_14partition_implILS8_4ELb0ES6_15HIP_vector_typeIjLj2EENS0_17counting_iteratorIjlEEPS9_SG_NS0_5tupleIJPjSI_NS0_16reverse_iteratorISI_EEEEENSH_IJSG_SG_SG_EEES9_SI_JZNS1_25segmented_radix_sort_implINS0_14default_configELb0EPKaPaPKlPlN2at6native12_GLOBAL__N_18offset_tEEE10hipError_tPvRmT1_PNSt15iterator_traitsIS12_E10value_typeET2_T3_PNS13_IS18_E10value_typeET4_jRbjT5_S1E_jjP12ihipStream_tbEUljE_ZNSN_ISO_Lb0ESQ_SR_ST_SU_SY_EESZ_S10_S11_S12_S16_S17_S18_S1B_S1C_jS1D_jS1E_S1E_jjS1G_bEUljE0_EEESZ_S10_S11_S18_S1C_S1E_T6_T7_T9_mT8_S1G_bDpT10_ENKUlT_T0_E_clISt17integral_constantIbLb0EES1U_EEDaS1P_S1Q_EUlS1P_E_NS1_11comp_targetILNS1_3genE3ELNS1_11target_archE908ELNS1_3gpuE7ELNS1_3repE0EEENS1_30default_config_static_selectorELNS0_4arch9wavefront6targetE0EEEvS12_
		.amdhsa_group_segment_fixed_size 0
		.amdhsa_private_segment_fixed_size 0
		.amdhsa_kernarg_size 176
		.amdhsa_user_sgpr_count 2
		.amdhsa_user_sgpr_dispatch_ptr 0
		.amdhsa_user_sgpr_queue_ptr 0
		.amdhsa_user_sgpr_kernarg_segment_ptr 1
		.amdhsa_user_sgpr_dispatch_id 0
		.amdhsa_user_sgpr_private_segment_size 0
		.amdhsa_wavefront_size32 1
		.amdhsa_uses_dynamic_stack 0
		.amdhsa_enable_private_segment 0
		.amdhsa_system_sgpr_workgroup_id_x 1
		.amdhsa_system_sgpr_workgroup_id_y 0
		.amdhsa_system_sgpr_workgroup_id_z 0
		.amdhsa_system_sgpr_workgroup_info 0
		.amdhsa_system_vgpr_workitem_id 0
		.amdhsa_next_free_vgpr 1
		.amdhsa_next_free_sgpr 1
		.amdhsa_reserve_vcc 0
		.amdhsa_float_round_mode_32 0
		.amdhsa_float_round_mode_16_64 0
		.amdhsa_float_denorm_mode_32 3
		.amdhsa_float_denorm_mode_16_64 3
		.amdhsa_fp16_overflow 0
		.amdhsa_workgroup_processor_mode 1
		.amdhsa_memory_ordered 1
		.amdhsa_forward_progress 1
		.amdhsa_inst_pref_size 0
		.amdhsa_round_robin_scheduling 0
		.amdhsa_exception_fp_ieee_invalid_op 0
		.amdhsa_exception_fp_denorm_src 0
		.amdhsa_exception_fp_ieee_div_zero 0
		.amdhsa_exception_fp_ieee_overflow 0
		.amdhsa_exception_fp_ieee_underflow 0
		.amdhsa_exception_fp_ieee_inexact 0
		.amdhsa_exception_int_div_zero 0
	.end_amdhsa_kernel
	.section	.text._ZN7rocprim17ROCPRIM_400000_NS6detail17trampoline_kernelINS0_13select_configILj256ELj13ELNS0_17block_load_methodE3ELS4_3ELS4_3ELNS0_20block_scan_algorithmE0ELj4294967295EEENS1_25partition_config_selectorILNS1_17partition_subalgoE4EjNS0_10empty_typeEbEEZZNS1_14partition_implILS8_4ELb0ES6_15HIP_vector_typeIjLj2EENS0_17counting_iteratorIjlEEPS9_SG_NS0_5tupleIJPjSI_NS0_16reverse_iteratorISI_EEEEENSH_IJSG_SG_SG_EEES9_SI_JZNS1_25segmented_radix_sort_implINS0_14default_configELb0EPKaPaPKlPlN2at6native12_GLOBAL__N_18offset_tEEE10hipError_tPvRmT1_PNSt15iterator_traitsIS12_E10value_typeET2_T3_PNS13_IS18_E10value_typeET4_jRbjT5_S1E_jjP12ihipStream_tbEUljE_ZNSN_ISO_Lb0ESQ_SR_ST_SU_SY_EESZ_S10_S11_S12_S16_S17_S18_S1B_S1C_jS1D_jS1E_S1E_jjS1G_bEUljE0_EEESZ_S10_S11_S18_S1C_S1E_T6_T7_T9_mT8_S1G_bDpT10_ENKUlT_T0_E_clISt17integral_constantIbLb0EES1U_EEDaS1P_S1Q_EUlS1P_E_NS1_11comp_targetILNS1_3genE3ELNS1_11target_archE908ELNS1_3gpuE7ELNS1_3repE0EEENS1_30default_config_static_selectorELNS0_4arch9wavefront6targetE0EEEvS12_,"axG",@progbits,_ZN7rocprim17ROCPRIM_400000_NS6detail17trampoline_kernelINS0_13select_configILj256ELj13ELNS0_17block_load_methodE3ELS4_3ELS4_3ELNS0_20block_scan_algorithmE0ELj4294967295EEENS1_25partition_config_selectorILNS1_17partition_subalgoE4EjNS0_10empty_typeEbEEZZNS1_14partition_implILS8_4ELb0ES6_15HIP_vector_typeIjLj2EENS0_17counting_iteratorIjlEEPS9_SG_NS0_5tupleIJPjSI_NS0_16reverse_iteratorISI_EEEEENSH_IJSG_SG_SG_EEES9_SI_JZNS1_25segmented_radix_sort_implINS0_14default_configELb0EPKaPaPKlPlN2at6native12_GLOBAL__N_18offset_tEEE10hipError_tPvRmT1_PNSt15iterator_traitsIS12_E10value_typeET2_T3_PNS13_IS18_E10value_typeET4_jRbjT5_S1E_jjP12ihipStream_tbEUljE_ZNSN_ISO_Lb0ESQ_SR_ST_SU_SY_EESZ_S10_S11_S12_S16_S17_S18_S1B_S1C_jS1D_jS1E_S1E_jjS1G_bEUljE0_EEESZ_S10_S11_S18_S1C_S1E_T6_T7_T9_mT8_S1G_bDpT10_ENKUlT_T0_E_clISt17integral_constantIbLb0EES1U_EEDaS1P_S1Q_EUlS1P_E_NS1_11comp_targetILNS1_3genE3ELNS1_11target_archE908ELNS1_3gpuE7ELNS1_3repE0EEENS1_30default_config_static_selectorELNS0_4arch9wavefront6targetE0EEEvS12_,comdat
.Lfunc_end332:
	.size	_ZN7rocprim17ROCPRIM_400000_NS6detail17trampoline_kernelINS0_13select_configILj256ELj13ELNS0_17block_load_methodE3ELS4_3ELS4_3ELNS0_20block_scan_algorithmE0ELj4294967295EEENS1_25partition_config_selectorILNS1_17partition_subalgoE4EjNS0_10empty_typeEbEEZZNS1_14partition_implILS8_4ELb0ES6_15HIP_vector_typeIjLj2EENS0_17counting_iteratorIjlEEPS9_SG_NS0_5tupleIJPjSI_NS0_16reverse_iteratorISI_EEEEENSH_IJSG_SG_SG_EEES9_SI_JZNS1_25segmented_radix_sort_implINS0_14default_configELb0EPKaPaPKlPlN2at6native12_GLOBAL__N_18offset_tEEE10hipError_tPvRmT1_PNSt15iterator_traitsIS12_E10value_typeET2_T3_PNS13_IS18_E10value_typeET4_jRbjT5_S1E_jjP12ihipStream_tbEUljE_ZNSN_ISO_Lb0ESQ_SR_ST_SU_SY_EESZ_S10_S11_S12_S16_S17_S18_S1B_S1C_jS1D_jS1E_S1E_jjS1G_bEUljE0_EEESZ_S10_S11_S18_S1C_S1E_T6_T7_T9_mT8_S1G_bDpT10_ENKUlT_T0_E_clISt17integral_constantIbLb0EES1U_EEDaS1P_S1Q_EUlS1P_E_NS1_11comp_targetILNS1_3genE3ELNS1_11target_archE908ELNS1_3gpuE7ELNS1_3repE0EEENS1_30default_config_static_selectorELNS0_4arch9wavefront6targetE0EEEvS12_, .Lfunc_end332-_ZN7rocprim17ROCPRIM_400000_NS6detail17trampoline_kernelINS0_13select_configILj256ELj13ELNS0_17block_load_methodE3ELS4_3ELS4_3ELNS0_20block_scan_algorithmE0ELj4294967295EEENS1_25partition_config_selectorILNS1_17partition_subalgoE4EjNS0_10empty_typeEbEEZZNS1_14partition_implILS8_4ELb0ES6_15HIP_vector_typeIjLj2EENS0_17counting_iteratorIjlEEPS9_SG_NS0_5tupleIJPjSI_NS0_16reverse_iteratorISI_EEEEENSH_IJSG_SG_SG_EEES9_SI_JZNS1_25segmented_radix_sort_implINS0_14default_configELb0EPKaPaPKlPlN2at6native12_GLOBAL__N_18offset_tEEE10hipError_tPvRmT1_PNSt15iterator_traitsIS12_E10value_typeET2_T3_PNS13_IS18_E10value_typeET4_jRbjT5_S1E_jjP12ihipStream_tbEUljE_ZNSN_ISO_Lb0ESQ_SR_ST_SU_SY_EESZ_S10_S11_S12_S16_S17_S18_S1B_S1C_jS1D_jS1E_S1E_jjS1G_bEUljE0_EEESZ_S10_S11_S18_S1C_S1E_T6_T7_T9_mT8_S1G_bDpT10_ENKUlT_T0_E_clISt17integral_constantIbLb0EES1U_EEDaS1P_S1Q_EUlS1P_E_NS1_11comp_targetILNS1_3genE3ELNS1_11target_archE908ELNS1_3gpuE7ELNS1_3repE0EEENS1_30default_config_static_selectorELNS0_4arch9wavefront6targetE0EEEvS12_
                                        ; -- End function
	.set _ZN7rocprim17ROCPRIM_400000_NS6detail17trampoline_kernelINS0_13select_configILj256ELj13ELNS0_17block_load_methodE3ELS4_3ELS4_3ELNS0_20block_scan_algorithmE0ELj4294967295EEENS1_25partition_config_selectorILNS1_17partition_subalgoE4EjNS0_10empty_typeEbEEZZNS1_14partition_implILS8_4ELb0ES6_15HIP_vector_typeIjLj2EENS0_17counting_iteratorIjlEEPS9_SG_NS0_5tupleIJPjSI_NS0_16reverse_iteratorISI_EEEEENSH_IJSG_SG_SG_EEES9_SI_JZNS1_25segmented_radix_sort_implINS0_14default_configELb0EPKaPaPKlPlN2at6native12_GLOBAL__N_18offset_tEEE10hipError_tPvRmT1_PNSt15iterator_traitsIS12_E10value_typeET2_T3_PNS13_IS18_E10value_typeET4_jRbjT5_S1E_jjP12ihipStream_tbEUljE_ZNSN_ISO_Lb0ESQ_SR_ST_SU_SY_EESZ_S10_S11_S12_S16_S17_S18_S1B_S1C_jS1D_jS1E_S1E_jjS1G_bEUljE0_EEESZ_S10_S11_S18_S1C_S1E_T6_T7_T9_mT8_S1G_bDpT10_ENKUlT_T0_E_clISt17integral_constantIbLb0EES1U_EEDaS1P_S1Q_EUlS1P_E_NS1_11comp_targetILNS1_3genE3ELNS1_11target_archE908ELNS1_3gpuE7ELNS1_3repE0EEENS1_30default_config_static_selectorELNS0_4arch9wavefront6targetE0EEEvS12_.num_vgpr, 0
	.set _ZN7rocprim17ROCPRIM_400000_NS6detail17trampoline_kernelINS0_13select_configILj256ELj13ELNS0_17block_load_methodE3ELS4_3ELS4_3ELNS0_20block_scan_algorithmE0ELj4294967295EEENS1_25partition_config_selectorILNS1_17partition_subalgoE4EjNS0_10empty_typeEbEEZZNS1_14partition_implILS8_4ELb0ES6_15HIP_vector_typeIjLj2EENS0_17counting_iteratorIjlEEPS9_SG_NS0_5tupleIJPjSI_NS0_16reverse_iteratorISI_EEEEENSH_IJSG_SG_SG_EEES9_SI_JZNS1_25segmented_radix_sort_implINS0_14default_configELb0EPKaPaPKlPlN2at6native12_GLOBAL__N_18offset_tEEE10hipError_tPvRmT1_PNSt15iterator_traitsIS12_E10value_typeET2_T3_PNS13_IS18_E10value_typeET4_jRbjT5_S1E_jjP12ihipStream_tbEUljE_ZNSN_ISO_Lb0ESQ_SR_ST_SU_SY_EESZ_S10_S11_S12_S16_S17_S18_S1B_S1C_jS1D_jS1E_S1E_jjS1G_bEUljE0_EEESZ_S10_S11_S18_S1C_S1E_T6_T7_T9_mT8_S1G_bDpT10_ENKUlT_T0_E_clISt17integral_constantIbLb0EES1U_EEDaS1P_S1Q_EUlS1P_E_NS1_11comp_targetILNS1_3genE3ELNS1_11target_archE908ELNS1_3gpuE7ELNS1_3repE0EEENS1_30default_config_static_selectorELNS0_4arch9wavefront6targetE0EEEvS12_.num_agpr, 0
	.set _ZN7rocprim17ROCPRIM_400000_NS6detail17trampoline_kernelINS0_13select_configILj256ELj13ELNS0_17block_load_methodE3ELS4_3ELS4_3ELNS0_20block_scan_algorithmE0ELj4294967295EEENS1_25partition_config_selectorILNS1_17partition_subalgoE4EjNS0_10empty_typeEbEEZZNS1_14partition_implILS8_4ELb0ES6_15HIP_vector_typeIjLj2EENS0_17counting_iteratorIjlEEPS9_SG_NS0_5tupleIJPjSI_NS0_16reverse_iteratorISI_EEEEENSH_IJSG_SG_SG_EEES9_SI_JZNS1_25segmented_radix_sort_implINS0_14default_configELb0EPKaPaPKlPlN2at6native12_GLOBAL__N_18offset_tEEE10hipError_tPvRmT1_PNSt15iterator_traitsIS12_E10value_typeET2_T3_PNS13_IS18_E10value_typeET4_jRbjT5_S1E_jjP12ihipStream_tbEUljE_ZNSN_ISO_Lb0ESQ_SR_ST_SU_SY_EESZ_S10_S11_S12_S16_S17_S18_S1B_S1C_jS1D_jS1E_S1E_jjS1G_bEUljE0_EEESZ_S10_S11_S18_S1C_S1E_T6_T7_T9_mT8_S1G_bDpT10_ENKUlT_T0_E_clISt17integral_constantIbLb0EES1U_EEDaS1P_S1Q_EUlS1P_E_NS1_11comp_targetILNS1_3genE3ELNS1_11target_archE908ELNS1_3gpuE7ELNS1_3repE0EEENS1_30default_config_static_selectorELNS0_4arch9wavefront6targetE0EEEvS12_.numbered_sgpr, 0
	.set _ZN7rocprim17ROCPRIM_400000_NS6detail17trampoline_kernelINS0_13select_configILj256ELj13ELNS0_17block_load_methodE3ELS4_3ELS4_3ELNS0_20block_scan_algorithmE0ELj4294967295EEENS1_25partition_config_selectorILNS1_17partition_subalgoE4EjNS0_10empty_typeEbEEZZNS1_14partition_implILS8_4ELb0ES6_15HIP_vector_typeIjLj2EENS0_17counting_iteratorIjlEEPS9_SG_NS0_5tupleIJPjSI_NS0_16reverse_iteratorISI_EEEEENSH_IJSG_SG_SG_EEES9_SI_JZNS1_25segmented_radix_sort_implINS0_14default_configELb0EPKaPaPKlPlN2at6native12_GLOBAL__N_18offset_tEEE10hipError_tPvRmT1_PNSt15iterator_traitsIS12_E10value_typeET2_T3_PNS13_IS18_E10value_typeET4_jRbjT5_S1E_jjP12ihipStream_tbEUljE_ZNSN_ISO_Lb0ESQ_SR_ST_SU_SY_EESZ_S10_S11_S12_S16_S17_S18_S1B_S1C_jS1D_jS1E_S1E_jjS1G_bEUljE0_EEESZ_S10_S11_S18_S1C_S1E_T6_T7_T9_mT8_S1G_bDpT10_ENKUlT_T0_E_clISt17integral_constantIbLb0EES1U_EEDaS1P_S1Q_EUlS1P_E_NS1_11comp_targetILNS1_3genE3ELNS1_11target_archE908ELNS1_3gpuE7ELNS1_3repE0EEENS1_30default_config_static_selectorELNS0_4arch9wavefront6targetE0EEEvS12_.num_named_barrier, 0
	.set _ZN7rocprim17ROCPRIM_400000_NS6detail17trampoline_kernelINS0_13select_configILj256ELj13ELNS0_17block_load_methodE3ELS4_3ELS4_3ELNS0_20block_scan_algorithmE0ELj4294967295EEENS1_25partition_config_selectorILNS1_17partition_subalgoE4EjNS0_10empty_typeEbEEZZNS1_14partition_implILS8_4ELb0ES6_15HIP_vector_typeIjLj2EENS0_17counting_iteratorIjlEEPS9_SG_NS0_5tupleIJPjSI_NS0_16reverse_iteratorISI_EEEEENSH_IJSG_SG_SG_EEES9_SI_JZNS1_25segmented_radix_sort_implINS0_14default_configELb0EPKaPaPKlPlN2at6native12_GLOBAL__N_18offset_tEEE10hipError_tPvRmT1_PNSt15iterator_traitsIS12_E10value_typeET2_T3_PNS13_IS18_E10value_typeET4_jRbjT5_S1E_jjP12ihipStream_tbEUljE_ZNSN_ISO_Lb0ESQ_SR_ST_SU_SY_EESZ_S10_S11_S12_S16_S17_S18_S1B_S1C_jS1D_jS1E_S1E_jjS1G_bEUljE0_EEESZ_S10_S11_S18_S1C_S1E_T6_T7_T9_mT8_S1G_bDpT10_ENKUlT_T0_E_clISt17integral_constantIbLb0EES1U_EEDaS1P_S1Q_EUlS1P_E_NS1_11comp_targetILNS1_3genE3ELNS1_11target_archE908ELNS1_3gpuE7ELNS1_3repE0EEENS1_30default_config_static_selectorELNS0_4arch9wavefront6targetE0EEEvS12_.private_seg_size, 0
	.set _ZN7rocprim17ROCPRIM_400000_NS6detail17trampoline_kernelINS0_13select_configILj256ELj13ELNS0_17block_load_methodE3ELS4_3ELS4_3ELNS0_20block_scan_algorithmE0ELj4294967295EEENS1_25partition_config_selectorILNS1_17partition_subalgoE4EjNS0_10empty_typeEbEEZZNS1_14partition_implILS8_4ELb0ES6_15HIP_vector_typeIjLj2EENS0_17counting_iteratorIjlEEPS9_SG_NS0_5tupleIJPjSI_NS0_16reverse_iteratorISI_EEEEENSH_IJSG_SG_SG_EEES9_SI_JZNS1_25segmented_radix_sort_implINS0_14default_configELb0EPKaPaPKlPlN2at6native12_GLOBAL__N_18offset_tEEE10hipError_tPvRmT1_PNSt15iterator_traitsIS12_E10value_typeET2_T3_PNS13_IS18_E10value_typeET4_jRbjT5_S1E_jjP12ihipStream_tbEUljE_ZNSN_ISO_Lb0ESQ_SR_ST_SU_SY_EESZ_S10_S11_S12_S16_S17_S18_S1B_S1C_jS1D_jS1E_S1E_jjS1G_bEUljE0_EEESZ_S10_S11_S18_S1C_S1E_T6_T7_T9_mT8_S1G_bDpT10_ENKUlT_T0_E_clISt17integral_constantIbLb0EES1U_EEDaS1P_S1Q_EUlS1P_E_NS1_11comp_targetILNS1_3genE3ELNS1_11target_archE908ELNS1_3gpuE7ELNS1_3repE0EEENS1_30default_config_static_selectorELNS0_4arch9wavefront6targetE0EEEvS12_.uses_vcc, 0
	.set _ZN7rocprim17ROCPRIM_400000_NS6detail17trampoline_kernelINS0_13select_configILj256ELj13ELNS0_17block_load_methodE3ELS4_3ELS4_3ELNS0_20block_scan_algorithmE0ELj4294967295EEENS1_25partition_config_selectorILNS1_17partition_subalgoE4EjNS0_10empty_typeEbEEZZNS1_14partition_implILS8_4ELb0ES6_15HIP_vector_typeIjLj2EENS0_17counting_iteratorIjlEEPS9_SG_NS0_5tupleIJPjSI_NS0_16reverse_iteratorISI_EEEEENSH_IJSG_SG_SG_EEES9_SI_JZNS1_25segmented_radix_sort_implINS0_14default_configELb0EPKaPaPKlPlN2at6native12_GLOBAL__N_18offset_tEEE10hipError_tPvRmT1_PNSt15iterator_traitsIS12_E10value_typeET2_T3_PNS13_IS18_E10value_typeET4_jRbjT5_S1E_jjP12ihipStream_tbEUljE_ZNSN_ISO_Lb0ESQ_SR_ST_SU_SY_EESZ_S10_S11_S12_S16_S17_S18_S1B_S1C_jS1D_jS1E_S1E_jjS1G_bEUljE0_EEESZ_S10_S11_S18_S1C_S1E_T6_T7_T9_mT8_S1G_bDpT10_ENKUlT_T0_E_clISt17integral_constantIbLb0EES1U_EEDaS1P_S1Q_EUlS1P_E_NS1_11comp_targetILNS1_3genE3ELNS1_11target_archE908ELNS1_3gpuE7ELNS1_3repE0EEENS1_30default_config_static_selectorELNS0_4arch9wavefront6targetE0EEEvS12_.uses_flat_scratch, 0
	.set _ZN7rocprim17ROCPRIM_400000_NS6detail17trampoline_kernelINS0_13select_configILj256ELj13ELNS0_17block_load_methodE3ELS4_3ELS4_3ELNS0_20block_scan_algorithmE0ELj4294967295EEENS1_25partition_config_selectorILNS1_17partition_subalgoE4EjNS0_10empty_typeEbEEZZNS1_14partition_implILS8_4ELb0ES6_15HIP_vector_typeIjLj2EENS0_17counting_iteratorIjlEEPS9_SG_NS0_5tupleIJPjSI_NS0_16reverse_iteratorISI_EEEEENSH_IJSG_SG_SG_EEES9_SI_JZNS1_25segmented_radix_sort_implINS0_14default_configELb0EPKaPaPKlPlN2at6native12_GLOBAL__N_18offset_tEEE10hipError_tPvRmT1_PNSt15iterator_traitsIS12_E10value_typeET2_T3_PNS13_IS18_E10value_typeET4_jRbjT5_S1E_jjP12ihipStream_tbEUljE_ZNSN_ISO_Lb0ESQ_SR_ST_SU_SY_EESZ_S10_S11_S12_S16_S17_S18_S1B_S1C_jS1D_jS1E_S1E_jjS1G_bEUljE0_EEESZ_S10_S11_S18_S1C_S1E_T6_T7_T9_mT8_S1G_bDpT10_ENKUlT_T0_E_clISt17integral_constantIbLb0EES1U_EEDaS1P_S1Q_EUlS1P_E_NS1_11comp_targetILNS1_3genE3ELNS1_11target_archE908ELNS1_3gpuE7ELNS1_3repE0EEENS1_30default_config_static_selectorELNS0_4arch9wavefront6targetE0EEEvS12_.has_dyn_sized_stack, 0
	.set _ZN7rocprim17ROCPRIM_400000_NS6detail17trampoline_kernelINS0_13select_configILj256ELj13ELNS0_17block_load_methodE3ELS4_3ELS4_3ELNS0_20block_scan_algorithmE0ELj4294967295EEENS1_25partition_config_selectorILNS1_17partition_subalgoE4EjNS0_10empty_typeEbEEZZNS1_14partition_implILS8_4ELb0ES6_15HIP_vector_typeIjLj2EENS0_17counting_iteratorIjlEEPS9_SG_NS0_5tupleIJPjSI_NS0_16reverse_iteratorISI_EEEEENSH_IJSG_SG_SG_EEES9_SI_JZNS1_25segmented_radix_sort_implINS0_14default_configELb0EPKaPaPKlPlN2at6native12_GLOBAL__N_18offset_tEEE10hipError_tPvRmT1_PNSt15iterator_traitsIS12_E10value_typeET2_T3_PNS13_IS18_E10value_typeET4_jRbjT5_S1E_jjP12ihipStream_tbEUljE_ZNSN_ISO_Lb0ESQ_SR_ST_SU_SY_EESZ_S10_S11_S12_S16_S17_S18_S1B_S1C_jS1D_jS1E_S1E_jjS1G_bEUljE0_EEESZ_S10_S11_S18_S1C_S1E_T6_T7_T9_mT8_S1G_bDpT10_ENKUlT_T0_E_clISt17integral_constantIbLb0EES1U_EEDaS1P_S1Q_EUlS1P_E_NS1_11comp_targetILNS1_3genE3ELNS1_11target_archE908ELNS1_3gpuE7ELNS1_3repE0EEENS1_30default_config_static_selectorELNS0_4arch9wavefront6targetE0EEEvS12_.has_recursion, 0
	.set _ZN7rocprim17ROCPRIM_400000_NS6detail17trampoline_kernelINS0_13select_configILj256ELj13ELNS0_17block_load_methodE3ELS4_3ELS4_3ELNS0_20block_scan_algorithmE0ELj4294967295EEENS1_25partition_config_selectorILNS1_17partition_subalgoE4EjNS0_10empty_typeEbEEZZNS1_14partition_implILS8_4ELb0ES6_15HIP_vector_typeIjLj2EENS0_17counting_iteratorIjlEEPS9_SG_NS0_5tupleIJPjSI_NS0_16reverse_iteratorISI_EEEEENSH_IJSG_SG_SG_EEES9_SI_JZNS1_25segmented_radix_sort_implINS0_14default_configELb0EPKaPaPKlPlN2at6native12_GLOBAL__N_18offset_tEEE10hipError_tPvRmT1_PNSt15iterator_traitsIS12_E10value_typeET2_T3_PNS13_IS18_E10value_typeET4_jRbjT5_S1E_jjP12ihipStream_tbEUljE_ZNSN_ISO_Lb0ESQ_SR_ST_SU_SY_EESZ_S10_S11_S12_S16_S17_S18_S1B_S1C_jS1D_jS1E_S1E_jjS1G_bEUljE0_EEESZ_S10_S11_S18_S1C_S1E_T6_T7_T9_mT8_S1G_bDpT10_ENKUlT_T0_E_clISt17integral_constantIbLb0EES1U_EEDaS1P_S1Q_EUlS1P_E_NS1_11comp_targetILNS1_3genE3ELNS1_11target_archE908ELNS1_3gpuE7ELNS1_3repE0EEENS1_30default_config_static_selectorELNS0_4arch9wavefront6targetE0EEEvS12_.has_indirect_call, 0
	.section	.AMDGPU.csdata,"",@progbits
; Kernel info:
; codeLenInByte = 0
; TotalNumSgprs: 0
; NumVgprs: 0
; ScratchSize: 0
; MemoryBound: 0
; FloatMode: 240
; IeeeMode: 1
; LDSByteSize: 0 bytes/workgroup (compile time only)
; SGPRBlocks: 0
; VGPRBlocks: 0
; NumSGPRsForWavesPerEU: 1
; NumVGPRsForWavesPerEU: 1
; Occupancy: 16
; WaveLimiterHint : 0
; COMPUTE_PGM_RSRC2:SCRATCH_EN: 0
; COMPUTE_PGM_RSRC2:USER_SGPR: 2
; COMPUTE_PGM_RSRC2:TRAP_HANDLER: 0
; COMPUTE_PGM_RSRC2:TGID_X_EN: 1
; COMPUTE_PGM_RSRC2:TGID_Y_EN: 0
; COMPUTE_PGM_RSRC2:TGID_Z_EN: 0
; COMPUTE_PGM_RSRC2:TIDIG_COMP_CNT: 0
	.section	.text._ZN7rocprim17ROCPRIM_400000_NS6detail17trampoline_kernelINS0_13select_configILj256ELj13ELNS0_17block_load_methodE3ELS4_3ELS4_3ELNS0_20block_scan_algorithmE0ELj4294967295EEENS1_25partition_config_selectorILNS1_17partition_subalgoE4EjNS0_10empty_typeEbEEZZNS1_14partition_implILS8_4ELb0ES6_15HIP_vector_typeIjLj2EENS0_17counting_iteratorIjlEEPS9_SG_NS0_5tupleIJPjSI_NS0_16reverse_iteratorISI_EEEEENSH_IJSG_SG_SG_EEES9_SI_JZNS1_25segmented_radix_sort_implINS0_14default_configELb0EPKaPaPKlPlN2at6native12_GLOBAL__N_18offset_tEEE10hipError_tPvRmT1_PNSt15iterator_traitsIS12_E10value_typeET2_T3_PNS13_IS18_E10value_typeET4_jRbjT5_S1E_jjP12ihipStream_tbEUljE_ZNSN_ISO_Lb0ESQ_SR_ST_SU_SY_EESZ_S10_S11_S12_S16_S17_S18_S1B_S1C_jS1D_jS1E_S1E_jjS1G_bEUljE0_EEESZ_S10_S11_S18_S1C_S1E_T6_T7_T9_mT8_S1G_bDpT10_ENKUlT_T0_E_clISt17integral_constantIbLb0EES1U_EEDaS1P_S1Q_EUlS1P_E_NS1_11comp_targetILNS1_3genE2ELNS1_11target_archE906ELNS1_3gpuE6ELNS1_3repE0EEENS1_30default_config_static_selectorELNS0_4arch9wavefront6targetE0EEEvS12_,"axG",@progbits,_ZN7rocprim17ROCPRIM_400000_NS6detail17trampoline_kernelINS0_13select_configILj256ELj13ELNS0_17block_load_methodE3ELS4_3ELS4_3ELNS0_20block_scan_algorithmE0ELj4294967295EEENS1_25partition_config_selectorILNS1_17partition_subalgoE4EjNS0_10empty_typeEbEEZZNS1_14partition_implILS8_4ELb0ES6_15HIP_vector_typeIjLj2EENS0_17counting_iteratorIjlEEPS9_SG_NS0_5tupleIJPjSI_NS0_16reverse_iteratorISI_EEEEENSH_IJSG_SG_SG_EEES9_SI_JZNS1_25segmented_radix_sort_implINS0_14default_configELb0EPKaPaPKlPlN2at6native12_GLOBAL__N_18offset_tEEE10hipError_tPvRmT1_PNSt15iterator_traitsIS12_E10value_typeET2_T3_PNS13_IS18_E10value_typeET4_jRbjT5_S1E_jjP12ihipStream_tbEUljE_ZNSN_ISO_Lb0ESQ_SR_ST_SU_SY_EESZ_S10_S11_S12_S16_S17_S18_S1B_S1C_jS1D_jS1E_S1E_jjS1G_bEUljE0_EEESZ_S10_S11_S18_S1C_S1E_T6_T7_T9_mT8_S1G_bDpT10_ENKUlT_T0_E_clISt17integral_constantIbLb0EES1U_EEDaS1P_S1Q_EUlS1P_E_NS1_11comp_targetILNS1_3genE2ELNS1_11target_archE906ELNS1_3gpuE6ELNS1_3repE0EEENS1_30default_config_static_selectorELNS0_4arch9wavefront6targetE0EEEvS12_,comdat
	.globl	_ZN7rocprim17ROCPRIM_400000_NS6detail17trampoline_kernelINS0_13select_configILj256ELj13ELNS0_17block_load_methodE3ELS4_3ELS4_3ELNS0_20block_scan_algorithmE0ELj4294967295EEENS1_25partition_config_selectorILNS1_17partition_subalgoE4EjNS0_10empty_typeEbEEZZNS1_14partition_implILS8_4ELb0ES6_15HIP_vector_typeIjLj2EENS0_17counting_iteratorIjlEEPS9_SG_NS0_5tupleIJPjSI_NS0_16reverse_iteratorISI_EEEEENSH_IJSG_SG_SG_EEES9_SI_JZNS1_25segmented_radix_sort_implINS0_14default_configELb0EPKaPaPKlPlN2at6native12_GLOBAL__N_18offset_tEEE10hipError_tPvRmT1_PNSt15iterator_traitsIS12_E10value_typeET2_T3_PNS13_IS18_E10value_typeET4_jRbjT5_S1E_jjP12ihipStream_tbEUljE_ZNSN_ISO_Lb0ESQ_SR_ST_SU_SY_EESZ_S10_S11_S12_S16_S17_S18_S1B_S1C_jS1D_jS1E_S1E_jjS1G_bEUljE0_EEESZ_S10_S11_S18_S1C_S1E_T6_T7_T9_mT8_S1G_bDpT10_ENKUlT_T0_E_clISt17integral_constantIbLb0EES1U_EEDaS1P_S1Q_EUlS1P_E_NS1_11comp_targetILNS1_3genE2ELNS1_11target_archE906ELNS1_3gpuE6ELNS1_3repE0EEENS1_30default_config_static_selectorELNS0_4arch9wavefront6targetE0EEEvS12_ ; -- Begin function _ZN7rocprim17ROCPRIM_400000_NS6detail17trampoline_kernelINS0_13select_configILj256ELj13ELNS0_17block_load_methodE3ELS4_3ELS4_3ELNS0_20block_scan_algorithmE0ELj4294967295EEENS1_25partition_config_selectorILNS1_17partition_subalgoE4EjNS0_10empty_typeEbEEZZNS1_14partition_implILS8_4ELb0ES6_15HIP_vector_typeIjLj2EENS0_17counting_iteratorIjlEEPS9_SG_NS0_5tupleIJPjSI_NS0_16reverse_iteratorISI_EEEEENSH_IJSG_SG_SG_EEES9_SI_JZNS1_25segmented_radix_sort_implINS0_14default_configELb0EPKaPaPKlPlN2at6native12_GLOBAL__N_18offset_tEEE10hipError_tPvRmT1_PNSt15iterator_traitsIS12_E10value_typeET2_T3_PNS13_IS18_E10value_typeET4_jRbjT5_S1E_jjP12ihipStream_tbEUljE_ZNSN_ISO_Lb0ESQ_SR_ST_SU_SY_EESZ_S10_S11_S12_S16_S17_S18_S1B_S1C_jS1D_jS1E_S1E_jjS1G_bEUljE0_EEESZ_S10_S11_S18_S1C_S1E_T6_T7_T9_mT8_S1G_bDpT10_ENKUlT_T0_E_clISt17integral_constantIbLb0EES1U_EEDaS1P_S1Q_EUlS1P_E_NS1_11comp_targetILNS1_3genE2ELNS1_11target_archE906ELNS1_3gpuE6ELNS1_3repE0EEENS1_30default_config_static_selectorELNS0_4arch9wavefront6targetE0EEEvS12_
	.p2align	8
	.type	_ZN7rocprim17ROCPRIM_400000_NS6detail17trampoline_kernelINS0_13select_configILj256ELj13ELNS0_17block_load_methodE3ELS4_3ELS4_3ELNS0_20block_scan_algorithmE0ELj4294967295EEENS1_25partition_config_selectorILNS1_17partition_subalgoE4EjNS0_10empty_typeEbEEZZNS1_14partition_implILS8_4ELb0ES6_15HIP_vector_typeIjLj2EENS0_17counting_iteratorIjlEEPS9_SG_NS0_5tupleIJPjSI_NS0_16reverse_iteratorISI_EEEEENSH_IJSG_SG_SG_EEES9_SI_JZNS1_25segmented_radix_sort_implINS0_14default_configELb0EPKaPaPKlPlN2at6native12_GLOBAL__N_18offset_tEEE10hipError_tPvRmT1_PNSt15iterator_traitsIS12_E10value_typeET2_T3_PNS13_IS18_E10value_typeET4_jRbjT5_S1E_jjP12ihipStream_tbEUljE_ZNSN_ISO_Lb0ESQ_SR_ST_SU_SY_EESZ_S10_S11_S12_S16_S17_S18_S1B_S1C_jS1D_jS1E_S1E_jjS1G_bEUljE0_EEESZ_S10_S11_S18_S1C_S1E_T6_T7_T9_mT8_S1G_bDpT10_ENKUlT_T0_E_clISt17integral_constantIbLb0EES1U_EEDaS1P_S1Q_EUlS1P_E_NS1_11comp_targetILNS1_3genE2ELNS1_11target_archE906ELNS1_3gpuE6ELNS1_3repE0EEENS1_30default_config_static_selectorELNS0_4arch9wavefront6targetE0EEEvS12_,@function
_ZN7rocprim17ROCPRIM_400000_NS6detail17trampoline_kernelINS0_13select_configILj256ELj13ELNS0_17block_load_methodE3ELS4_3ELS4_3ELNS0_20block_scan_algorithmE0ELj4294967295EEENS1_25partition_config_selectorILNS1_17partition_subalgoE4EjNS0_10empty_typeEbEEZZNS1_14partition_implILS8_4ELb0ES6_15HIP_vector_typeIjLj2EENS0_17counting_iteratorIjlEEPS9_SG_NS0_5tupleIJPjSI_NS0_16reverse_iteratorISI_EEEEENSH_IJSG_SG_SG_EEES9_SI_JZNS1_25segmented_radix_sort_implINS0_14default_configELb0EPKaPaPKlPlN2at6native12_GLOBAL__N_18offset_tEEE10hipError_tPvRmT1_PNSt15iterator_traitsIS12_E10value_typeET2_T3_PNS13_IS18_E10value_typeET4_jRbjT5_S1E_jjP12ihipStream_tbEUljE_ZNSN_ISO_Lb0ESQ_SR_ST_SU_SY_EESZ_S10_S11_S12_S16_S17_S18_S1B_S1C_jS1D_jS1E_S1E_jjS1G_bEUljE0_EEESZ_S10_S11_S18_S1C_S1E_T6_T7_T9_mT8_S1G_bDpT10_ENKUlT_T0_E_clISt17integral_constantIbLb0EES1U_EEDaS1P_S1Q_EUlS1P_E_NS1_11comp_targetILNS1_3genE2ELNS1_11target_archE906ELNS1_3gpuE6ELNS1_3repE0EEENS1_30default_config_static_selectorELNS0_4arch9wavefront6targetE0EEEvS12_: ; @_ZN7rocprim17ROCPRIM_400000_NS6detail17trampoline_kernelINS0_13select_configILj256ELj13ELNS0_17block_load_methodE3ELS4_3ELS4_3ELNS0_20block_scan_algorithmE0ELj4294967295EEENS1_25partition_config_selectorILNS1_17partition_subalgoE4EjNS0_10empty_typeEbEEZZNS1_14partition_implILS8_4ELb0ES6_15HIP_vector_typeIjLj2EENS0_17counting_iteratorIjlEEPS9_SG_NS0_5tupleIJPjSI_NS0_16reverse_iteratorISI_EEEEENSH_IJSG_SG_SG_EEES9_SI_JZNS1_25segmented_radix_sort_implINS0_14default_configELb0EPKaPaPKlPlN2at6native12_GLOBAL__N_18offset_tEEE10hipError_tPvRmT1_PNSt15iterator_traitsIS12_E10value_typeET2_T3_PNS13_IS18_E10value_typeET4_jRbjT5_S1E_jjP12ihipStream_tbEUljE_ZNSN_ISO_Lb0ESQ_SR_ST_SU_SY_EESZ_S10_S11_S12_S16_S17_S18_S1B_S1C_jS1D_jS1E_S1E_jjS1G_bEUljE0_EEESZ_S10_S11_S18_S1C_S1E_T6_T7_T9_mT8_S1G_bDpT10_ENKUlT_T0_E_clISt17integral_constantIbLb0EES1U_EEDaS1P_S1Q_EUlS1P_E_NS1_11comp_targetILNS1_3genE2ELNS1_11target_archE906ELNS1_3gpuE6ELNS1_3repE0EEENS1_30default_config_static_selectorELNS0_4arch9wavefront6targetE0EEEvS12_
; %bb.0:
	.section	.rodata,"a",@progbits
	.p2align	6, 0x0
	.amdhsa_kernel _ZN7rocprim17ROCPRIM_400000_NS6detail17trampoline_kernelINS0_13select_configILj256ELj13ELNS0_17block_load_methodE3ELS4_3ELS4_3ELNS0_20block_scan_algorithmE0ELj4294967295EEENS1_25partition_config_selectorILNS1_17partition_subalgoE4EjNS0_10empty_typeEbEEZZNS1_14partition_implILS8_4ELb0ES6_15HIP_vector_typeIjLj2EENS0_17counting_iteratorIjlEEPS9_SG_NS0_5tupleIJPjSI_NS0_16reverse_iteratorISI_EEEEENSH_IJSG_SG_SG_EEES9_SI_JZNS1_25segmented_radix_sort_implINS0_14default_configELb0EPKaPaPKlPlN2at6native12_GLOBAL__N_18offset_tEEE10hipError_tPvRmT1_PNSt15iterator_traitsIS12_E10value_typeET2_T3_PNS13_IS18_E10value_typeET4_jRbjT5_S1E_jjP12ihipStream_tbEUljE_ZNSN_ISO_Lb0ESQ_SR_ST_SU_SY_EESZ_S10_S11_S12_S16_S17_S18_S1B_S1C_jS1D_jS1E_S1E_jjS1G_bEUljE0_EEESZ_S10_S11_S18_S1C_S1E_T6_T7_T9_mT8_S1G_bDpT10_ENKUlT_T0_E_clISt17integral_constantIbLb0EES1U_EEDaS1P_S1Q_EUlS1P_E_NS1_11comp_targetILNS1_3genE2ELNS1_11target_archE906ELNS1_3gpuE6ELNS1_3repE0EEENS1_30default_config_static_selectorELNS0_4arch9wavefront6targetE0EEEvS12_
		.amdhsa_group_segment_fixed_size 0
		.amdhsa_private_segment_fixed_size 0
		.amdhsa_kernarg_size 176
		.amdhsa_user_sgpr_count 2
		.amdhsa_user_sgpr_dispatch_ptr 0
		.amdhsa_user_sgpr_queue_ptr 0
		.amdhsa_user_sgpr_kernarg_segment_ptr 1
		.amdhsa_user_sgpr_dispatch_id 0
		.amdhsa_user_sgpr_private_segment_size 0
		.amdhsa_wavefront_size32 1
		.amdhsa_uses_dynamic_stack 0
		.amdhsa_enable_private_segment 0
		.amdhsa_system_sgpr_workgroup_id_x 1
		.amdhsa_system_sgpr_workgroup_id_y 0
		.amdhsa_system_sgpr_workgroup_id_z 0
		.amdhsa_system_sgpr_workgroup_info 0
		.amdhsa_system_vgpr_workitem_id 0
		.amdhsa_next_free_vgpr 1
		.amdhsa_next_free_sgpr 1
		.amdhsa_reserve_vcc 0
		.amdhsa_float_round_mode_32 0
		.amdhsa_float_round_mode_16_64 0
		.amdhsa_float_denorm_mode_32 3
		.amdhsa_float_denorm_mode_16_64 3
		.amdhsa_fp16_overflow 0
		.amdhsa_workgroup_processor_mode 1
		.amdhsa_memory_ordered 1
		.amdhsa_forward_progress 1
		.amdhsa_inst_pref_size 0
		.amdhsa_round_robin_scheduling 0
		.amdhsa_exception_fp_ieee_invalid_op 0
		.amdhsa_exception_fp_denorm_src 0
		.amdhsa_exception_fp_ieee_div_zero 0
		.amdhsa_exception_fp_ieee_overflow 0
		.amdhsa_exception_fp_ieee_underflow 0
		.amdhsa_exception_fp_ieee_inexact 0
		.amdhsa_exception_int_div_zero 0
	.end_amdhsa_kernel
	.section	.text._ZN7rocprim17ROCPRIM_400000_NS6detail17trampoline_kernelINS0_13select_configILj256ELj13ELNS0_17block_load_methodE3ELS4_3ELS4_3ELNS0_20block_scan_algorithmE0ELj4294967295EEENS1_25partition_config_selectorILNS1_17partition_subalgoE4EjNS0_10empty_typeEbEEZZNS1_14partition_implILS8_4ELb0ES6_15HIP_vector_typeIjLj2EENS0_17counting_iteratorIjlEEPS9_SG_NS0_5tupleIJPjSI_NS0_16reverse_iteratorISI_EEEEENSH_IJSG_SG_SG_EEES9_SI_JZNS1_25segmented_radix_sort_implINS0_14default_configELb0EPKaPaPKlPlN2at6native12_GLOBAL__N_18offset_tEEE10hipError_tPvRmT1_PNSt15iterator_traitsIS12_E10value_typeET2_T3_PNS13_IS18_E10value_typeET4_jRbjT5_S1E_jjP12ihipStream_tbEUljE_ZNSN_ISO_Lb0ESQ_SR_ST_SU_SY_EESZ_S10_S11_S12_S16_S17_S18_S1B_S1C_jS1D_jS1E_S1E_jjS1G_bEUljE0_EEESZ_S10_S11_S18_S1C_S1E_T6_T7_T9_mT8_S1G_bDpT10_ENKUlT_T0_E_clISt17integral_constantIbLb0EES1U_EEDaS1P_S1Q_EUlS1P_E_NS1_11comp_targetILNS1_3genE2ELNS1_11target_archE906ELNS1_3gpuE6ELNS1_3repE0EEENS1_30default_config_static_selectorELNS0_4arch9wavefront6targetE0EEEvS12_,"axG",@progbits,_ZN7rocprim17ROCPRIM_400000_NS6detail17trampoline_kernelINS0_13select_configILj256ELj13ELNS0_17block_load_methodE3ELS4_3ELS4_3ELNS0_20block_scan_algorithmE0ELj4294967295EEENS1_25partition_config_selectorILNS1_17partition_subalgoE4EjNS0_10empty_typeEbEEZZNS1_14partition_implILS8_4ELb0ES6_15HIP_vector_typeIjLj2EENS0_17counting_iteratorIjlEEPS9_SG_NS0_5tupleIJPjSI_NS0_16reverse_iteratorISI_EEEEENSH_IJSG_SG_SG_EEES9_SI_JZNS1_25segmented_radix_sort_implINS0_14default_configELb0EPKaPaPKlPlN2at6native12_GLOBAL__N_18offset_tEEE10hipError_tPvRmT1_PNSt15iterator_traitsIS12_E10value_typeET2_T3_PNS13_IS18_E10value_typeET4_jRbjT5_S1E_jjP12ihipStream_tbEUljE_ZNSN_ISO_Lb0ESQ_SR_ST_SU_SY_EESZ_S10_S11_S12_S16_S17_S18_S1B_S1C_jS1D_jS1E_S1E_jjS1G_bEUljE0_EEESZ_S10_S11_S18_S1C_S1E_T6_T7_T9_mT8_S1G_bDpT10_ENKUlT_T0_E_clISt17integral_constantIbLb0EES1U_EEDaS1P_S1Q_EUlS1P_E_NS1_11comp_targetILNS1_3genE2ELNS1_11target_archE906ELNS1_3gpuE6ELNS1_3repE0EEENS1_30default_config_static_selectorELNS0_4arch9wavefront6targetE0EEEvS12_,comdat
.Lfunc_end333:
	.size	_ZN7rocprim17ROCPRIM_400000_NS6detail17trampoline_kernelINS0_13select_configILj256ELj13ELNS0_17block_load_methodE3ELS4_3ELS4_3ELNS0_20block_scan_algorithmE0ELj4294967295EEENS1_25partition_config_selectorILNS1_17partition_subalgoE4EjNS0_10empty_typeEbEEZZNS1_14partition_implILS8_4ELb0ES6_15HIP_vector_typeIjLj2EENS0_17counting_iteratorIjlEEPS9_SG_NS0_5tupleIJPjSI_NS0_16reverse_iteratorISI_EEEEENSH_IJSG_SG_SG_EEES9_SI_JZNS1_25segmented_radix_sort_implINS0_14default_configELb0EPKaPaPKlPlN2at6native12_GLOBAL__N_18offset_tEEE10hipError_tPvRmT1_PNSt15iterator_traitsIS12_E10value_typeET2_T3_PNS13_IS18_E10value_typeET4_jRbjT5_S1E_jjP12ihipStream_tbEUljE_ZNSN_ISO_Lb0ESQ_SR_ST_SU_SY_EESZ_S10_S11_S12_S16_S17_S18_S1B_S1C_jS1D_jS1E_S1E_jjS1G_bEUljE0_EEESZ_S10_S11_S18_S1C_S1E_T6_T7_T9_mT8_S1G_bDpT10_ENKUlT_T0_E_clISt17integral_constantIbLb0EES1U_EEDaS1P_S1Q_EUlS1P_E_NS1_11comp_targetILNS1_3genE2ELNS1_11target_archE906ELNS1_3gpuE6ELNS1_3repE0EEENS1_30default_config_static_selectorELNS0_4arch9wavefront6targetE0EEEvS12_, .Lfunc_end333-_ZN7rocprim17ROCPRIM_400000_NS6detail17trampoline_kernelINS0_13select_configILj256ELj13ELNS0_17block_load_methodE3ELS4_3ELS4_3ELNS0_20block_scan_algorithmE0ELj4294967295EEENS1_25partition_config_selectorILNS1_17partition_subalgoE4EjNS0_10empty_typeEbEEZZNS1_14partition_implILS8_4ELb0ES6_15HIP_vector_typeIjLj2EENS0_17counting_iteratorIjlEEPS9_SG_NS0_5tupleIJPjSI_NS0_16reverse_iteratorISI_EEEEENSH_IJSG_SG_SG_EEES9_SI_JZNS1_25segmented_radix_sort_implINS0_14default_configELb0EPKaPaPKlPlN2at6native12_GLOBAL__N_18offset_tEEE10hipError_tPvRmT1_PNSt15iterator_traitsIS12_E10value_typeET2_T3_PNS13_IS18_E10value_typeET4_jRbjT5_S1E_jjP12ihipStream_tbEUljE_ZNSN_ISO_Lb0ESQ_SR_ST_SU_SY_EESZ_S10_S11_S12_S16_S17_S18_S1B_S1C_jS1D_jS1E_S1E_jjS1G_bEUljE0_EEESZ_S10_S11_S18_S1C_S1E_T6_T7_T9_mT8_S1G_bDpT10_ENKUlT_T0_E_clISt17integral_constantIbLb0EES1U_EEDaS1P_S1Q_EUlS1P_E_NS1_11comp_targetILNS1_3genE2ELNS1_11target_archE906ELNS1_3gpuE6ELNS1_3repE0EEENS1_30default_config_static_selectorELNS0_4arch9wavefront6targetE0EEEvS12_
                                        ; -- End function
	.set _ZN7rocprim17ROCPRIM_400000_NS6detail17trampoline_kernelINS0_13select_configILj256ELj13ELNS0_17block_load_methodE3ELS4_3ELS4_3ELNS0_20block_scan_algorithmE0ELj4294967295EEENS1_25partition_config_selectorILNS1_17partition_subalgoE4EjNS0_10empty_typeEbEEZZNS1_14partition_implILS8_4ELb0ES6_15HIP_vector_typeIjLj2EENS0_17counting_iteratorIjlEEPS9_SG_NS0_5tupleIJPjSI_NS0_16reverse_iteratorISI_EEEEENSH_IJSG_SG_SG_EEES9_SI_JZNS1_25segmented_radix_sort_implINS0_14default_configELb0EPKaPaPKlPlN2at6native12_GLOBAL__N_18offset_tEEE10hipError_tPvRmT1_PNSt15iterator_traitsIS12_E10value_typeET2_T3_PNS13_IS18_E10value_typeET4_jRbjT5_S1E_jjP12ihipStream_tbEUljE_ZNSN_ISO_Lb0ESQ_SR_ST_SU_SY_EESZ_S10_S11_S12_S16_S17_S18_S1B_S1C_jS1D_jS1E_S1E_jjS1G_bEUljE0_EEESZ_S10_S11_S18_S1C_S1E_T6_T7_T9_mT8_S1G_bDpT10_ENKUlT_T0_E_clISt17integral_constantIbLb0EES1U_EEDaS1P_S1Q_EUlS1P_E_NS1_11comp_targetILNS1_3genE2ELNS1_11target_archE906ELNS1_3gpuE6ELNS1_3repE0EEENS1_30default_config_static_selectorELNS0_4arch9wavefront6targetE0EEEvS12_.num_vgpr, 0
	.set _ZN7rocprim17ROCPRIM_400000_NS6detail17trampoline_kernelINS0_13select_configILj256ELj13ELNS0_17block_load_methodE3ELS4_3ELS4_3ELNS0_20block_scan_algorithmE0ELj4294967295EEENS1_25partition_config_selectorILNS1_17partition_subalgoE4EjNS0_10empty_typeEbEEZZNS1_14partition_implILS8_4ELb0ES6_15HIP_vector_typeIjLj2EENS0_17counting_iteratorIjlEEPS9_SG_NS0_5tupleIJPjSI_NS0_16reverse_iteratorISI_EEEEENSH_IJSG_SG_SG_EEES9_SI_JZNS1_25segmented_radix_sort_implINS0_14default_configELb0EPKaPaPKlPlN2at6native12_GLOBAL__N_18offset_tEEE10hipError_tPvRmT1_PNSt15iterator_traitsIS12_E10value_typeET2_T3_PNS13_IS18_E10value_typeET4_jRbjT5_S1E_jjP12ihipStream_tbEUljE_ZNSN_ISO_Lb0ESQ_SR_ST_SU_SY_EESZ_S10_S11_S12_S16_S17_S18_S1B_S1C_jS1D_jS1E_S1E_jjS1G_bEUljE0_EEESZ_S10_S11_S18_S1C_S1E_T6_T7_T9_mT8_S1G_bDpT10_ENKUlT_T0_E_clISt17integral_constantIbLb0EES1U_EEDaS1P_S1Q_EUlS1P_E_NS1_11comp_targetILNS1_3genE2ELNS1_11target_archE906ELNS1_3gpuE6ELNS1_3repE0EEENS1_30default_config_static_selectorELNS0_4arch9wavefront6targetE0EEEvS12_.num_agpr, 0
	.set _ZN7rocprim17ROCPRIM_400000_NS6detail17trampoline_kernelINS0_13select_configILj256ELj13ELNS0_17block_load_methodE3ELS4_3ELS4_3ELNS0_20block_scan_algorithmE0ELj4294967295EEENS1_25partition_config_selectorILNS1_17partition_subalgoE4EjNS0_10empty_typeEbEEZZNS1_14partition_implILS8_4ELb0ES6_15HIP_vector_typeIjLj2EENS0_17counting_iteratorIjlEEPS9_SG_NS0_5tupleIJPjSI_NS0_16reverse_iteratorISI_EEEEENSH_IJSG_SG_SG_EEES9_SI_JZNS1_25segmented_radix_sort_implINS0_14default_configELb0EPKaPaPKlPlN2at6native12_GLOBAL__N_18offset_tEEE10hipError_tPvRmT1_PNSt15iterator_traitsIS12_E10value_typeET2_T3_PNS13_IS18_E10value_typeET4_jRbjT5_S1E_jjP12ihipStream_tbEUljE_ZNSN_ISO_Lb0ESQ_SR_ST_SU_SY_EESZ_S10_S11_S12_S16_S17_S18_S1B_S1C_jS1D_jS1E_S1E_jjS1G_bEUljE0_EEESZ_S10_S11_S18_S1C_S1E_T6_T7_T9_mT8_S1G_bDpT10_ENKUlT_T0_E_clISt17integral_constantIbLb0EES1U_EEDaS1P_S1Q_EUlS1P_E_NS1_11comp_targetILNS1_3genE2ELNS1_11target_archE906ELNS1_3gpuE6ELNS1_3repE0EEENS1_30default_config_static_selectorELNS0_4arch9wavefront6targetE0EEEvS12_.numbered_sgpr, 0
	.set _ZN7rocprim17ROCPRIM_400000_NS6detail17trampoline_kernelINS0_13select_configILj256ELj13ELNS0_17block_load_methodE3ELS4_3ELS4_3ELNS0_20block_scan_algorithmE0ELj4294967295EEENS1_25partition_config_selectorILNS1_17partition_subalgoE4EjNS0_10empty_typeEbEEZZNS1_14partition_implILS8_4ELb0ES6_15HIP_vector_typeIjLj2EENS0_17counting_iteratorIjlEEPS9_SG_NS0_5tupleIJPjSI_NS0_16reverse_iteratorISI_EEEEENSH_IJSG_SG_SG_EEES9_SI_JZNS1_25segmented_radix_sort_implINS0_14default_configELb0EPKaPaPKlPlN2at6native12_GLOBAL__N_18offset_tEEE10hipError_tPvRmT1_PNSt15iterator_traitsIS12_E10value_typeET2_T3_PNS13_IS18_E10value_typeET4_jRbjT5_S1E_jjP12ihipStream_tbEUljE_ZNSN_ISO_Lb0ESQ_SR_ST_SU_SY_EESZ_S10_S11_S12_S16_S17_S18_S1B_S1C_jS1D_jS1E_S1E_jjS1G_bEUljE0_EEESZ_S10_S11_S18_S1C_S1E_T6_T7_T9_mT8_S1G_bDpT10_ENKUlT_T0_E_clISt17integral_constantIbLb0EES1U_EEDaS1P_S1Q_EUlS1P_E_NS1_11comp_targetILNS1_3genE2ELNS1_11target_archE906ELNS1_3gpuE6ELNS1_3repE0EEENS1_30default_config_static_selectorELNS0_4arch9wavefront6targetE0EEEvS12_.num_named_barrier, 0
	.set _ZN7rocprim17ROCPRIM_400000_NS6detail17trampoline_kernelINS0_13select_configILj256ELj13ELNS0_17block_load_methodE3ELS4_3ELS4_3ELNS0_20block_scan_algorithmE0ELj4294967295EEENS1_25partition_config_selectorILNS1_17partition_subalgoE4EjNS0_10empty_typeEbEEZZNS1_14partition_implILS8_4ELb0ES6_15HIP_vector_typeIjLj2EENS0_17counting_iteratorIjlEEPS9_SG_NS0_5tupleIJPjSI_NS0_16reverse_iteratorISI_EEEEENSH_IJSG_SG_SG_EEES9_SI_JZNS1_25segmented_radix_sort_implINS0_14default_configELb0EPKaPaPKlPlN2at6native12_GLOBAL__N_18offset_tEEE10hipError_tPvRmT1_PNSt15iterator_traitsIS12_E10value_typeET2_T3_PNS13_IS18_E10value_typeET4_jRbjT5_S1E_jjP12ihipStream_tbEUljE_ZNSN_ISO_Lb0ESQ_SR_ST_SU_SY_EESZ_S10_S11_S12_S16_S17_S18_S1B_S1C_jS1D_jS1E_S1E_jjS1G_bEUljE0_EEESZ_S10_S11_S18_S1C_S1E_T6_T7_T9_mT8_S1G_bDpT10_ENKUlT_T0_E_clISt17integral_constantIbLb0EES1U_EEDaS1P_S1Q_EUlS1P_E_NS1_11comp_targetILNS1_3genE2ELNS1_11target_archE906ELNS1_3gpuE6ELNS1_3repE0EEENS1_30default_config_static_selectorELNS0_4arch9wavefront6targetE0EEEvS12_.private_seg_size, 0
	.set _ZN7rocprim17ROCPRIM_400000_NS6detail17trampoline_kernelINS0_13select_configILj256ELj13ELNS0_17block_load_methodE3ELS4_3ELS4_3ELNS0_20block_scan_algorithmE0ELj4294967295EEENS1_25partition_config_selectorILNS1_17partition_subalgoE4EjNS0_10empty_typeEbEEZZNS1_14partition_implILS8_4ELb0ES6_15HIP_vector_typeIjLj2EENS0_17counting_iteratorIjlEEPS9_SG_NS0_5tupleIJPjSI_NS0_16reverse_iteratorISI_EEEEENSH_IJSG_SG_SG_EEES9_SI_JZNS1_25segmented_radix_sort_implINS0_14default_configELb0EPKaPaPKlPlN2at6native12_GLOBAL__N_18offset_tEEE10hipError_tPvRmT1_PNSt15iterator_traitsIS12_E10value_typeET2_T3_PNS13_IS18_E10value_typeET4_jRbjT5_S1E_jjP12ihipStream_tbEUljE_ZNSN_ISO_Lb0ESQ_SR_ST_SU_SY_EESZ_S10_S11_S12_S16_S17_S18_S1B_S1C_jS1D_jS1E_S1E_jjS1G_bEUljE0_EEESZ_S10_S11_S18_S1C_S1E_T6_T7_T9_mT8_S1G_bDpT10_ENKUlT_T0_E_clISt17integral_constantIbLb0EES1U_EEDaS1P_S1Q_EUlS1P_E_NS1_11comp_targetILNS1_3genE2ELNS1_11target_archE906ELNS1_3gpuE6ELNS1_3repE0EEENS1_30default_config_static_selectorELNS0_4arch9wavefront6targetE0EEEvS12_.uses_vcc, 0
	.set _ZN7rocprim17ROCPRIM_400000_NS6detail17trampoline_kernelINS0_13select_configILj256ELj13ELNS0_17block_load_methodE3ELS4_3ELS4_3ELNS0_20block_scan_algorithmE0ELj4294967295EEENS1_25partition_config_selectorILNS1_17partition_subalgoE4EjNS0_10empty_typeEbEEZZNS1_14partition_implILS8_4ELb0ES6_15HIP_vector_typeIjLj2EENS0_17counting_iteratorIjlEEPS9_SG_NS0_5tupleIJPjSI_NS0_16reverse_iteratorISI_EEEEENSH_IJSG_SG_SG_EEES9_SI_JZNS1_25segmented_radix_sort_implINS0_14default_configELb0EPKaPaPKlPlN2at6native12_GLOBAL__N_18offset_tEEE10hipError_tPvRmT1_PNSt15iterator_traitsIS12_E10value_typeET2_T3_PNS13_IS18_E10value_typeET4_jRbjT5_S1E_jjP12ihipStream_tbEUljE_ZNSN_ISO_Lb0ESQ_SR_ST_SU_SY_EESZ_S10_S11_S12_S16_S17_S18_S1B_S1C_jS1D_jS1E_S1E_jjS1G_bEUljE0_EEESZ_S10_S11_S18_S1C_S1E_T6_T7_T9_mT8_S1G_bDpT10_ENKUlT_T0_E_clISt17integral_constantIbLb0EES1U_EEDaS1P_S1Q_EUlS1P_E_NS1_11comp_targetILNS1_3genE2ELNS1_11target_archE906ELNS1_3gpuE6ELNS1_3repE0EEENS1_30default_config_static_selectorELNS0_4arch9wavefront6targetE0EEEvS12_.uses_flat_scratch, 0
	.set _ZN7rocprim17ROCPRIM_400000_NS6detail17trampoline_kernelINS0_13select_configILj256ELj13ELNS0_17block_load_methodE3ELS4_3ELS4_3ELNS0_20block_scan_algorithmE0ELj4294967295EEENS1_25partition_config_selectorILNS1_17partition_subalgoE4EjNS0_10empty_typeEbEEZZNS1_14partition_implILS8_4ELb0ES6_15HIP_vector_typeIjLj2EENS0_17counting_iteratorIjlEEPS9_SG_NS0_5tupleIJPjSI_NS0_16reverse_iteratorISI_EEEEENSH_IJSG_SG_SG_EEES9_SI_JZNS1_25segmented_radix_sort_implINS0_14default_configELb0EPKaPaPKlPlN2at6native12_GLOBAL__N_18offset_tEEE10hipError_tPvRmT1_PNSt15iterator_traitsIS12_E10value_typeET2_T3_PNS13_IS18_E10value_typeET4_jRbjT5_S1E_jjP12ihipStream_tbEUljE_ZNSN_ISO_Lb0ESQ_SR_ST_SU_SY_EESZ_S10_S11_S12_S16_S17_S18_S1B_S1C_jS1D_jS1E_S1E_jjS1G_bEUljE0_EEESZ_S10_S11_S18_S1C_S1E_T6_T7_T9_mT8_S1G_bDpT10_ENKUlT_T0_E_clISt17integral_constantIbLb0EES1U_EEDaS1P_S1Q_EUlS1P_E_NS1_11comp_targetILNS1_3genE2ELNS1_11target_archE906ELNS1_3gpuE6ELNS1_3repE0EEENS1_30default_config_static_selectorELNS0_4arch9wavefront6targetE0EEEvS12_.has_dyn_sized_stack, 0
	.set _ZN7rocprim17ROCPRIM_400000_NS6detail17trampoline_kernelINS0_13select_configILj256ELj13ELNS0_17block_load_methodE3ELS4_3ELS4_3ELNS0_20block_scan_algorithmE0ELj4294967295EEENS1_25partition_config_selectorILNS1_17partition_subalgoE4EjNS0_10empty_typeEbEEZZNS1_14partition_implILS8_4ELb0ES6_15HIP_vector_typeIjLj2EENS0_17counting_iteratorIjlEEPS9_SG_NS0_5tupleIJPjSI_NS0_16reverse_iteratorISI_EEEEENSH_IJSG_SG_SG_EEES9_SI_JZNS1_25segmented_radix_sort_implINS0_14default_configELb0EPKaPaPKlPlN2at6native12_GLOBAL__N_18offset_tEEE10hipError_tPvRmT1_PNSt15iterator_traitsIS12_E10value_typeET2_T3_PNS13_IS18_E10value_typeET4_jRbjT5_S1E_jjP12ihipStream_tbEUljE_ZNSN_ISO_Lb0ESQ_SR_ST_SU_SY_EESZ_S10_S11_S12_S16_S17_S18_S1B_S1C_jS1D_jS1E_S1E_jjS1G_bEUljE0_EEESZ_S10_S11_S18_S1C_S1E_T6_T7_T9_mT8_S1G_bDpT10_ENKUlT_T0_E_clISt17integral_constantIbLb0EES1U_EEDaS1P_S1Q_EUlS1P_E_NS1_11comp_targetILNS1_3genE2ELNS1_11target_archE906ELNS1_3gpuE6ELNS1_3repE0EEENS1_30default_config_static_selectorELNS0_4arch9wavefront6targetE0EEEvS12_.has_recursion, 0
	.set _ZN7rocprim17ROCPRIM_400000_NS6detail17trampoline_kernelINS0_13select_configILj256ELj13ELNS0_17block_load_methodE3ELS4_3ELS4_3ELNS0_20block_scan_algorithmE0ELj4294967295EEENS1_25partition_config_selectorILNS1_17partition_subalgoE4EjNS0_10empty_typeEbEEZZNS1_14partition_implILS8_4ELb0ES6_15HIP_vector_typeIjLj2EENS0_17counting_iteratorIjlEEPS9_SG_NS0_5tupleIJPjSI_NS0_16reverse_iteratorISI_EEEEENSH_IJSG_SG_SG_EEES9_SI_JZNS1_25segmented_radix_sort_implINS0_14default_configELb0EPKaPaPKlPlN2at6native12_GLOBAL__N_18offset_tEEE10hipError_tPvRmT1_PNSt15iterator_traitsIS12_E10value_typeET2_T3_PNS13_IS18_E10value_typeET4_jRbjT5_S1E_jjP12ihipStream_tbEUljE_ZNSN_ISO_Lb0ESQ_SR_ST_SU_SY_EESZ_S10_S11_S12_S16_S17_S18_S1B_S1C_jS1D_jS1E_S1E_jjS1G_bEUljE0_EEESZ_S10_S11_S18_S1C_S1E_T6_T7_T9_mT8_S1G_bDpT10_ENKUlT_T0_E_clISt17integral_constantIbLb0EES1U_EEDaS1P_S1Q_EUlS1P_E_NS1_11comp_targetILNS1_3genE2ELNS1_11target_archE906ELNS1_3gpuE6ELNS1_3repE0EEENS1_30default_config_static_selectorELNS0_4arch9wavefront6targetE0EEEvS12_.has_indirect_call, 0
	.section	.AMDGPU.csdata,"",@progbits
; Kernel info:
; codeLenInByte = 0
; TotalNumSgprs: 0
; NumVgprs: 0
; ScratchSize: 0
; MemoryBound: 0
; FloatMode: 240
; IeeeMode: 1
; LDSByteSize: 0 bytes/workgroup (compile time only)
; SGPRBlocks: 0
; VGPRBlocks: 0
; NumSGPRsForWavesPerEU: 1
; NumVGPRsForWavesPerEU: 1
; Occupancy: 16
; WaveLimiterHint : 0
; COMPUTE_PGM_RSRC2:SCRATCH_EN: 0
; COMPUTE_PGM_RSRC2:USER_SGPR: 2
; COMPUTE_PGM_RSRC2:TRAP_HANDLER: 0
; COMPUTE_PGM_RSRC2:TGID_X_EN: 1
; COMPUTE_PGM_RSRC2:TGID_Y_EN: 0
; COMPUTE_PGM_RSRC2:TGID_Z_EN: 0
; COMPUTE_PGM_RSRC2:TIDIG_COMP_CNT: 0
	.section	.text._ZN7rocprim17ROCPRIM_400000_NS6detail17trampoline_kernelINS0_13select_configILj256ELj13ELNS0_17block_load_methodE3ELS4_3ELS4_3ELNS0_20block_scan_algorithmE0ELj4294967295EEENS1_25partition_config_selectorILNS1_17partition_subalgoE4EjNS0_10empty_typeEbEEZZNS1_14partition_implILS8_4ELb0ES6_15HIP_vector_typeIjLj2EENS0_17counting_iteratorIjlEEPS9_SG_NS0_5tupleIJPjSI_NS0_16reverse_iteratorISI_EEEEENSH_IJSG_SG_SG_EEES9_SI_JZNS1_25segmented_radix_sort_implINS0_14default_configELb0EPKaPaPKlPlN2at6native12_GLOBAL__N_18offset_tEEE10hipError_tPvRmT1_PNSt15iterator_traitsIS12_E10value_typeET2_T3_PNS13_IS18_E10value_typeET4_jRbjT5_S1E_jjP12ihipStream_tbEUljE_ZNSN_ISO_Lb0ESQ_SR_ST_SU_SY_EESZ_S10_S11_S12_S16_S17_S18_S1B_S1C_jS1D_jS1E_S1E_jjS1G_bEUljE0_EEESZ_S10_S11_S18_S1C_S1E_T6_T7_T9_mT8_S1G_bDpT10_ENKUlT_T0_E_clISt17integral_constantIbLb0EES1U_EEDaS1P_S1Q_EUlS1P_E_NS1_11comp_targetILNS1_3genE10ELNS1_11target_archE1200ELNS1_3gpuE4ELNS1_3repE0EEENS1_30default_config_static_selectorELNS0_4arch9wavefront6targetE0EEEvS12_,"axG",@progbits,_ZN7rocprim17ROCPRIM_400000_NS6detail17trampoline_kernelINS0_13select_configILj256ELj13ELNS0_17block_load_methodE3ELS4_3ELS4_3ELNS0_20block_scan_algorithmE0ELj4294967295EEENS1_25partition_config_selectorILNS1_17partition_subalgoE4EjNS0_10empty_typeEbEEZZNS1_14partition_implILS8_4ELb0ES6_15HIP_vector_typeIjLj2EENS0_17counting_iteratorIjlEEPS9_SG_NS0_5tupleIJPjSI_NS0_16reverse_iteratorISI_EEEEENSH_IJSG_SG_SG_EEES9_SI_JZNS1_25segmented_radix_sort_implINS0_14default_configELb0EPKaPaPKlPlN2at6native12_GLOBAL__N_18offset_tEEE10hipError_tPvRmT1_PNSt15iterator_traitsIS12_E10value_typeET2_T3_PNS13_IS18_E10value_typeET4_jRbjT5_S1E_jjP12ihipStream_tbEUljE_ZNSN_ISO_Lb0ESQ_SR_ST_SU_SY_EESZ_S10_S11_S12_S16_S17_S18_S1B_S1C_jS1D_jS1E_S1E_jjS1G_bEUljE0_EEESZ_S10_S11_S18_S1C_S1E_T6_T7_T9_mT8_S1G_bDpT10_ENKUlT_T0_E_clISt17integral_constantIbLb0EES1U_EEDaS1P_S1Q_EUlS1P_E_NS1_11comp_targetILNS1_3genE10ELNS1_11target_archE1200ELNS1_3gpuE4ELNS1_3repE0EEENS1_30default_config_static_selectorELNS0_4arch9wavefront6targetE0EEEvS12_,comdat
	.globl	_ZN7rocprim17ROCPRIM_400000_NS6detail17trampoline_kernelINS0_13select_configILj256ELj13ELNS0_17block_load_methodE3ELS4_3ELS4_3ELNS0_20block_scan_algorithmE0ELj4294967295EEENS1_25partition_config_selectorILNS1_17partition_subalgoE4EjNS0_10empty_typeEbEEZZNS1_14partition_implILS8_4ELb0ES6_15HIP_vector_typeIjLj2EENS0_17counting_iteratorIjlEEPS9_SG_NS0_5tupleIJPjSI_NS0_16reverse_iteratorISI_EEEEENSH_IJSG_SG_SG_EEES9_SI_JZNS1_25segmented_radix_sort_implINS0_14default_configELb0EPKaPaPKlPlN2at6native12_GLOBAL__N_18offset_tEEE10hipError_tPvRmT1_PNSt15iterator_traitsIS12_E10value_typeET2_T3_PNS13_IS18_E10value_typeET4_jRbjT5_S1E_jjP12ihipStream_tbEUljE_ZNSN_ISO_Lb0ESQ_SR_ST_SU_SY_EESZ_S10_S11_S12_S16_S17_S18_S1B_S1C_jS1D_jS1E_S1E_jjS1G_bEUljE0_EEESZ_S10_S11_S18_S1C_S1E_T6_T7_T9_mT8_S1G_bDpT10_ENKUlT_T0_E_clISt17integral_constantIbLb0EES1U_EEDaS1P_S1Q_EUlS1P_E_NS1_11comp_targetILNS1_3genE10ELNS1_11target_archE1200ELNS1_3gpuE4ELNS1_3repE0EEENS1_30default_config_static_selectorELNS0_4arch9wavefront6targetE0EEEvS12_ ; -- Begin function _ZN7rocprim17ROCPRIM_400000_NS6detail17trampoline_kernelINS0_13select_configILj256ELj13ELNS0_17block_load_methodE3ELS4_3ELS4_3ELNS0_20block_scan_algorithmE0ELj4294967295EEENS1_25partition_config_selectorILNS1_17partition_subalgoE4EjNS0_10empty_typeEbEEZZNS1_14partition_implILS8_4ELb0ES6_15HIP_vector_typeIjLj2EENS0_17counting_iteratorIjlEEPS9_SG_NS0_5tupleIJPjSI_NS0_16reverse_iteratorISI_EEEEENSH_IJSG_SG_SG_EEES9_SI_JZNS1_25segmented_radix_sort_implINS0_14default_configELb0EPKaPaPKlPlN2at6native12_GLOBAL__N_18offset_tEEE10hipError_tPvRmT1_PNSt15iterator_traitsIS12_E10value_typeET2_T3_PNS13_IS18_E10value_typeET4_jRbjT5_S1E_jjP12ihipStream_tbEUljE_ZNSN_ISO_Lb0ESQ_SR_ST_SU_SY_EESZ_S10_S11_S12_S16_S17_S18_S1B_S1C_jS1D_jS1E_S1E_jjS1G_bEUljE0_EEESZ_S10_S11_S18_S1C_S1E_T6_T7_T9_mT8_S1G_bDpT10_ENKUlT_T0_E_clISt17integral_constantIbLb0EES1U_EEDaS1P_S1Q_EUlS1P_E_NS1_11comp_targetILNS1_3genE10ELNS1_11target_archE1200ELNS1_3gpuE4ELNS1_3repE0EEENS1_30default_config_static_selectorELNS0_4arch9wavefront6targetE0EEEvS12_
	.p2align	8
	.type	_ZN7rocprim17ROCPRIM_400000_NS6detail17trampoline_kernelINS0_13select_configILj256ELj13ELNS0_17block_load_methodE3ELS4_3ELS4_3ELNS0_20block_scan_algorithmE0ELj4294967295EEENS1_25partition_config_selectorILNS1_17partition_subalgoE4EjNS0_10empty_typeEbEEZZNS1_14partition_implILS8_4ELb0ES6_15HIP_vector_typeIjLj2EENS0_17counting_iteratorIjlEEPS9_SG_NS0_5tupleIJPjSI_NS0_16reverse_iteratorISI_EEEEENSH_IJSG_SG_SG_EEES9_SI_JZNS1_25segmented_radix_sort_implINS0_14default_configELb0EPKaPaPKlPlN2at6native12_GLOBAL__N_18offset_tEEE10hipError_tPvRmT1_PNSt15iterator_traitsIS12_E10value_typeET2_T3_PNS13_IS18_E10value_typeET4_jRbjT5_S1E_jjP12ihipStream_tbEUljE_ZNSN_ISO_Lb0ESQ_SR_ST_SU_SY_EESZ_S10_S11_S12_S16_S17_S18_S1B_S1C_jS1D_jS1E_S1E_jjS1G_bEUljE0_EEESZ_S10_S11_S18_S1C_S1E_T6_T7_T9_mT8_S1G_bDpT10_ENKUlT_T0_E_clISt17integral_constantIbLb0EES1U_EEDaS1P_S1Q_EUlS1P_E_NS1_11comp_targetILNS1_3genE10ELNS1_11target_archE1200ELNS1_3gpuE4ELNS1_3repE0EEENS1_30default_config_static_selectorELNS0_4arch9wavefront6targetE0EEEvS12_,@function
_ZN7rocprim17ROCPRIM_400000_NS6detail17trampoline_kernelINS0_13select_configILj256ELj13ELNS0_17block_load_methodE3ELS4_3ELS4_3ELNS0_20block_scan_algorithmE0ELj4294967295EEENS1_25partition_config_selectorILNS1_17partition_subalgoE4EjNS0_10empty_typeEbEEZZNS1_14partition_implILS8_4ELb0ES6_15HIP_vector_typeIjLj2EENS0_17counting_iteratorIjlEEPS9_SG_NS0_5tupleIJPjSI_NS0_16reverse_iteratorISI_EEEEENSH_IJSG_SG_SG_EEES9_SI_JZNS1_25segmented_radix_sort_implINS0_14default_configELb0EPKaPaPKlPlN2at6native12_GLOBAL__N_18offset_tEEE10hipError_tPvRmT1_PNSt15iterator_traitsIS12_E10value_typeET2_T3_PNS13_IS18_E10value_typeET4_jRbjT5_S1E_jjP12ihipStream_tbEUljE_ZNSN_ISO_Lb0ESQ_SR_ST_SU_SY_EESZ_S10_S11_S12_S16_S17_S18_S1B_S1C_jS1D_jS1E_S1E_jjS1G_bEUljE0_EEESZ_S10_S11_S18_S1C_S1E_T6_T7_T9_mT8_S1G_bDpT10_ENKUlT_T0_E_clISt17integral_constantIbLb0EES1U_EEDaS1P_S1Q_EUlS1P_E_NS1_11comp_targetILNS1_3genE10ELNS1_11target_archE1200ELNS1_3gpuE4ELNS1_3repE0EEENS1_30default_config_static_selectorELNS0_4arch9wavefront6targetE0EEEvS12_: ; @_ZN7rocprim17ROCPRIM_400000_NS6detail17trampoline_kernelINS0_13select_configILj256ELj13ELNS0_17block_load_methodE3ELS4_3ELS4_3ELNS0_20block_scan_algorithmE0ELj4294967295EEENS1_25partition_config_selectorILNS1_17partition_subalgoE4EjNS0_10empty_typeEbEEZZNS1_14partition_implILS8_4ELb0ES6_15HIP_vector_typeIjLj2EENS0_17counting_iteratorIjlEEPS9_SG_NS0_5tupleIJPjSI_NS0_16reverse_iteratorISI_EEEEENSH_IJSG_SG_SG_EEES9_SI_JZNS1_25segmented_radix_sort_implINS0_14default_configELb0EPKaPaPKlPlN2at6native12_GLOBAL__N_18offset_tEEE10hipError_tPvRmT1_PNSt15iterator_traitsIS12_E10value_typeET2_T3_PNS13_IS18_E10value_typeET4_jRbjT5_S1E_jjP12ihipStream_tbEUljE_ZNSN_ISO_Lb0ESQ_SR_ST_SU_SY_EESZ_S10_S11_S12_S16_S17_S18_S1B_S1C_jS1D_jS1E_S1E_jjS1G_bEUljE0_EEESZ_S10_S11_S18_S1C_S1E_T6_T7_T9_mT8_S1G_bDpT10_ENKUlT_T0_E_clISt17integral_constantIbLb0EES1U_EEDaS1P_S1Q_EUlS1P_E_NS1_11comp_targetILNS1_3genE10ELNS1_11target_archE1200ELNS1_3gpuE4ELNS1_3repE0EEENS1_30default_config_static_selectorELNS0_4arch9wavefront6targetE0EEEvS12_
; %bb.0:
	s_clause 0x6
	s_load_b32 s6, s[0:1], 0x80
	s_load_b128 s[24:27], s[0:1], 0x58
	s_load_b64 s[34:35], s[0:1], 0x10
	s_load_b64 s[2:3], s[0:1], 0x68
	s_load_b32 s7, s[0:1], 0x8
	s_load_b64 s[42:43], s[0:1], 0xa8
	s_load_b256 s[16:23], s[0:1], 0x88
	s_mov_b32 s5, 0
	s_mul_i32 s40, ttmp9, 0xd00
	s_wait_kmcnt 0x0
	s_mul_i32 s4, s6, 0xd00
	s_load_b128 s[28:31], s[26:27], 0x0
	s_add_co_i32 s8, s4, s34
	s_add_co_i32 s6, s6, -1
	s_sub_co_i32 s33, s2, s8
	s_add_nc_u64 s[4:5], s[34:35], s[4:5]
	s_addk_co_i32 s33, 0xd00
	s_cmp_eq_u32 ttmp9, s6
	v_cmp_gt_u64_e64 s2, s[2:3], s[4:5]
	s_cselect_b32 s15, -1, 0
	s_cmp_lg_u32 ttmp9, s6
	s_mov_b32 s5, -1
	s_cselect_b32 s3, -1, 0
	s_add_co_i32 s4, s7, s40
	s_wait_alu 0xfffe
	s_or_b32 s3, s3, s2
	s_add_co_i32 s4, s4, s34
	s_wait_alu 0xfffe
	s_and_b32 vcc_lo, exec_lo, s3
	v_add_nc_u32_e32 v1, s4, v0
	s_cbranch_vccz .LBB334_2
; %bb.1:
	s_delay_alu instid0(VALU_DEP_1)
	v_add_nc_u32_e32 v2, 0x100, v1
	v_lshlrev_b32_e32 v10, 2, v0
	v_add_nc_u32_e32 v3, 0x200, v1
	v_add_nc_u32_e32 v4, 0x300, v1
	;; [unrolled: 1-line block ×11, first 2 shown]
	ds_store_2addr_stride64_b32 v10, v1, v2 offset1:4
	ds_store_2addr_stride64_b32 v10, v3, v4 offset0:8 offset1:12
	ds_store_2addr_stride64_b32 v10, v5, v6 offset0:16 offset1:20
	;; [unrolled: 1-line block ×5, first 2 shown]
	ds_store_b32 v10, v14 offset:12288
	s_wait_dscnt 0x0
	s_barrier_signal -1
	s_mov_b32 s5, 0
	s_barrier_wait -1
.LBB334_2:
	v_cmp_gt_u32_e64 s2, s33, v0
	v_or_b32_e32 v38, 0x100, v0
	v_or_b32_e32 v37, 0x200, v0
	;; [unrolled: 1-line block ×12, first 2 shown]
	s_wait_alu 0xfffe
	s_and_not1_b32 vcc_lo, exec_lo, s5
	s_cbranch_vccnz .LBB334_4
; %bb.3:
	v_cmp_gt_u32_e32 vcc_lo, s33, v38
	v_add_nc_u32_e32 v3, s4, v37
	v_add_nc_u32_e32 v2, s4, v38
	v_cndmask_b32_e64 v1, 0, v1, s2
	v_lshlrev_b32_e32 v14, 2, v0
	s_delay_alu instid0(VALU_DEP_3)
	v_cndmask_b32_e32 v2, 0, v2, vcc_lo
	v_cmp_gt_u32_e32 vcc_lo, s33, v37
	s_wait_alu 0xfffd
	v_cndmask_b32_e32 v3, 0, v3, vcc_lo
	v_cmp_gt_u32_e32 vcc_lo, s33, v36
	v_add_nc_u32_e32 v5, s4, v35
	v_add_nc_u32_e32 v4, s4, v36
	s_wait_alu 0xfffd
	s_delay_alu instid0(VALU_DEP_1)
	v_cndmask_b32_e32 v4, 0, v4, vcc_lo
	v_cmp_gt_u32_e32 vcc_lo, s33, v35
	s_wait_alu 0xfffd
	v_cndmask_b32_e32 v5, 0, v5, vcc_lo
	v_cmp_gt_u32_e32 vcc_lo, s33, v34
	v_add_nc_u32_e32 v7, s4, v33
	v_add_nc_u32_e32 v6, s4, v34
	s_wait_alu 0xfffd
	s_delay_alu instid0(VALU_DEP_1)
	v_cndmask_b32_e32 v6, 0, v6, vcc_lo
	v_cmp_gt_u32_e32 vcc_lo, s33, v33
	s_wait_alu 0xfffd
	v_cndmask_b32_e32 v7, 0, v7, vcc_lo
	v_cmp_gt_u32_e32 vcc_lo, s33, v32
	v_add_nc_u32_e32 v9, s4, v31
	v_add_nc_u32_e32 v8, s4, v32
	s_wait_alu 0xfffd
	s_delay_alu instid0(VALU_DEP_1)
	v_cndmask_b32_e32 v8, 0, v8, vcc_lo
	v_cmp_gt_u32_e32 vcc_lo, s33, v31
	s_wait_alu 0xfffd
	v_cndmask_b32_e32 v9, 0, v9, vcc_lo
	v_cmp_gt_u32_e32 vcc_lo, s33, v30
	v_add_nc_u32_e32 v11, s4, v29
	v_add_nc_u32_e32 v10, s4, v30
	s_wait_alu 0xfffd
	s_delay_alu instid0(VALU_DEP_1)
	v_cndmask_b32_e32 v10, 0, v10, vcc_lo
	v_cmp_gt_u32_e32 vcc_lo, s33, v29
	s_wait_alu 0xfffd
	v_cndmask_b32_e32 v11, 0, v11, vcc_lo
	v_cmp_gt_u32_e32 vcc_lo, s33, v28
	v_add_nc_u32_e32 v13, s4, v27
	v_add_nc_u32_e32 v12, s4, v28
	s_wait_alu 0xfffd
	s_delay_alu instid0(VALU_DEP_1)
	v_cndmask_b32_e32 v12, 0, v12, vcc_lo
	v_cmp_gt_u32_e32 vcc_lo, s33, v27
	s_wait_alu 0xfffd
	v_cndmask_b32_e32 v13, 0, v13, vcc_lo
	ds_store_2addr_stride64_b32 v14, v1, v2 offset1:4
	ds_store_2addr_stride64_b32 v14, v3, v4 offset0:8 offset1:12
	ds_store_2addr_stride64_b32 v14, v5, v6 offset0:16 offset1:20
	;; [unrolled: 1-line block ×5, first 2 shown]
	ds_store_b32 v14, v13 offset:12288
	s_wait_dscnt 0x0
	s_barrier_signal -1
	s_barrier_wait -1
.LBB334_4:
	v_mul_u32_u24_e32 v41, 13, v0
	s_clause 0x1
	s_load_b128 s[36:39], s[0:1], 0x28
	s_load_b64 s[26:27], s[0:1], 0x38
	global_inv scope:SCOPE_SE
	v_cndmask_b32_e64 v39, 0, 1, s3
	s_and_not1_b32 vcc_lo, exec_lo, s3
	v_lshlrev_b32_e32 v1, 2, v41
	ds_load_2addr_b32 v[19:20], v1 offset1:1
	ds_load_2addr_b32 v[17:18], v1 offset0:2 offset1:3
	ds_load_2addr_b32 v[15:16], v1 offset0:4 offset1:5
	;; [unrolled: 1-line block ×5, first 2 shown]
	ds_load_b32 v40, v1 offset:48
	s_wait_loadcnt_dscnt 0x0
	s_barrier_signal -1
	s_barrier_wait -1
	global_inv scope:SCOPE_SE
	s_wait_alu 0xfffe
	s_cbranch_vccnz .LBB334_32
; %bb.5:
	v_add_nc_u32_e32 v1, s17, v19
	v_add_nc_u32_e32 v2, s19, v19
	s_mov_b32 s44, 0
	s_mov_b32 s41, 0
	s_mov_b32 s3, exec_lo
	v_mul_lo_u32 v1, v1, s16
	v_mul_lo_u32 v2, v2, s18
	s_delay_alu instid0(VALU_DEP_1) | instskip(NEXT) | instid1(VALU_DEP_1)
	v_sub_nc_u32_e32 v1, v1, v2
	v_cmp_lt_u32_e32 vcc_lo, s20, v1
	v_cmpx_ge_u32_e64 s20, v1
	s_cbranch_execz .LBB334_7
; %bb.6:
	v_add_nc_u32_e32 v1, s22, v19
	v_add_nc_u32_e32 v2, s42, v19
	s_delay_alu instid0(VALU_DEP_2) | instskip(NEXT) | instid1(VALU_DEP_2)
	v_mul_lo_u32 v1, v1, s21
	v_mul_lo_u32 v2, v2, s23
	s_delay_alu instid0(VALU_DEP_1) | instskip(NEXT) | instid1(VALU_DEP_1)
	v_sub_nc_u32_e32 v1, v1, v2
	v_cmp_lt_u32_e64 s2, s43, v1
	s_and_b32 s41, s2, exec_lo
.LBB334_7:
	s_wait_alu 0xfffe
	s_or_b32 exec_lo, exec_lo, s3
	v_add_nc_u32_e32 v1, s17, v20
	v_add_nc_u32_e32 v2, s19, v20
	s_mov_b32 s4, exec_lo
	s_delay_alu instid0(VALU_DEP_2) | instskip(NEXT) | instid1(VALU_DEP_2)
	v_mul_lo_u32 v1, v1, s16
	v_mul_lo_u32 v2, v2, s18
	s_delay_alu instid0(VALU_DEP_1) | instskip(NEXT) | instid1(VALU_DEP_1)
	v_sub_nc_u32_e32 v1, v1, v2
	v_cmp_lt_u32_e64 s2, s20, v1
	v_cmpx_ge_u32_e64 s20, v1
	s_cbranch_execz .LBB334_9
; %bb.8:
	v_add_nc_u32_e32 v1, s22, v20
	v_add_nc_u32_e32 v2, s42, v20
	s_delay_alu instid0(VALU_DEP_2) | instskip(NEXT) | instid1(VALU_DEP_2)
	v_mul_lo_u32 v1, v1, s21
	v_mul_lo_u32 v2, v2, s23
	s_delay_alu instid0(VALU_DEP_1) | instskip(NEXT) | instid1(VALU_DEP_1)
	v_sub_nc_u32_e32 v1, v1, v2
	v_cmp_lt_u32_e64 s3, s43, v1
	s_and_b32 s44, s3, exec_lo
.LBB334_9:
	s_wait_alu 0xfffe
	s_or_b32 exec_lo, exec_lo, s4
	v_add_nc_u32_e32 v1, s17, v17
	v_add_nc_u32_e32 v2, s19, v17
	s_mov_b32 s46, 0
	s_mov_b32 s45, 0
	s_mov_b32 s5, exec_lo
	v_mul_lo_u32 v1, v1, s16
	v_mul_lo_u32 v2, v2, s18
	s_delay_alu instid0(VALU_DEP_1) | instskip(NEXT) | instid1(VALU_DEP_1)
	v_sub_nc_u32_e32 v1, v1, v2
	v_cmp_lt_u32_e64 s3, s20, v1
	v_cmpx_ge_u32_e64 s20, v1
	s_cbranch_execz .LBB334_11
; %bb.10:
	v_add_nc_u32_e32 v1, s22, v17
	v_add_nc_u32_e32 v2, s42, v17
	s_delay_alu instid0(VALU_DEP_2) | instskip(NEXT) | instid1(VALU_DEP_2)
	v_mul_lo_u32 v1, v1, s21
	v_mul_lo_u32 v2, v2, s23
	s_delay_alu instid0(VALU_DEP_1) | instskip(NEXT) | instid1(VALU_DEP_1)
	v_sub_nc_u32_e32 v1, v1, v2
	v_cmp_lt_u32_e64 s4, s43, v1
	s_and_b32 s45, s4, exec_lo
.LBB334_11:
	s_wait_alu 0xfffe
	s_or_b32 exec_lo, exec_lo, s5
	v_add_nc_u32_e32 v1, s17, v18
	v_add_nc_u32_e32 v2, s19, v18
	s_mov_b32 s6, exec_lo
	s_delay_alu instid0(VALU_DEP_2) | instskip(NEXT) | instid1(VALU_DEP_2)
	v_mul_lo_u32 v1, v1, s16
	v_mul_lo_u32 v2, v2, s18
	s_delay_alu instid0(VALU_DEP_1) | instskip(NEXT) | instid1(VALU_DEP_1)
	v_sub_nc_u32_e32 v1, v1, v2
	v_cmp_lt_u32_e64 s4, s20, v1
	v_cmpx_ge_u32_e64 s20, v1
	s_cbranch_execz .LBB334_13
; %bb.12:
	v_add_nc_u32_e32 v1, s22, v18
	v_add_nc_u32_e32 v2, s42, v18
	s_delay_alu instid0(VALU_DEP_2) | instskip(NEXT) | instid1(VALU_DEP_2)
	v_mul_lo_u32 v1, v1, s21
	v_mul_lo_u32 v2, v2, s23
	s_delay_alu instid0(VALU_DEP_1) | instskip(NEXT) | instid1(VALU_DEP_1)
	v_sub_nc_u32_e32 v1, v1, v2
	v_cmp_lt_u32_e64 s5, s43, v1
	s_and_b32 s46, s5, exec_lo
.LBB334_13:
	s_or_b32 exec_lo, exec_lo, s6
	v_add_nc_u32_e32 v1, s17, v15
	v_add_nc_u32_e32 v2, s19, v15
	s_mov_b32 s48, 0
	s_mov_b32 s47, 0
	s_mov_b32 s7, exec_lo
	v_mul_lo_u32 v1, v1, s16
	v_mul_lo_u32 v2, v2, s18
	s_delay_alu instid0(VALU_DEP_1) | instskip(NEXT) | instid1(VALU_DEP_1)
	v_sub_nc_u32_e32 v1, v1, v2
	v_cmp_lt_u32_e64 s5, s20, v1
	v_cmpx_ge_u32_e64 s20, v1
	s_cbranch_execz .LBB334_15
; %bb.14:
	v_add_nc_u32_e32 v1, s22, v15
	v_add_nc_u32_e32 v2, s42, v15
	s_delay_alu instid0(VALU_DEP_2) | instskip(NEXT) | instid1(VALU_DEP_2)
	v_mul_lo_u32 v1, v1, s21
	v_mul_lo_u32 v2, v2, s23
	s_delay_alu instid0(VALU_DEP_1) | instskip(NEXT) | instid1(VALU_DEP_1)
	v_sub_nc_u32_e32 v1, v1, v2
	v_cmp_lt_u32_e64 s6, s43, v1
	s_and_b32 s47, s6, exec_lo
.LBB334_15:
	s_or_b32 exec_lo, exec_lo, s7
	v_add_nc_u32_e32 v1, s17, v16
	v_add_nc_u32_e32 v2, s19, v16
	s_mov_b32 s8, exec_lo
	s_delay_alu instid0(VALU_DEP_2) | instskip(NEXT) | instid1(VALU_DEP_2)
	v_mul_lo_u32 v1, v1, s16
	v_mul_lo_u32 v2, v2, s18
	s_delay_alu instid0(VALU_DEP_1) | instskip(NEXT) | instid1(VALU_DEP_1)
	v_sub_nc_u32_e32 v1, v1, v2
	v_cmp_lt_u32_e64 s6, s20, v1
	v_cmpx_ge_u32_e64 s20, v1
	s_cbranch_execz .LBB334_17
; %bb.16:
	v_add_nc_u32_e32 v1, s22, v16
	v_add_nc_u32_e32 v2, s42, v16
	s_delay_alu instid0(VALU_DEP_2) | instskip(NEXT) | instid1(VALU_DEP_2)
	v_mul_lo_u32 v1, v1, s21
	v_mul_lo_u32 v2, v2, s23
	s_delay_alu instid0(VALU_DEP_1) | instskip(NEXT) | instid1(VALU_DEP_1)
	v_sub_nc_u32_e32 v1, v1, v2
	v_cmp_lt_u32_e64 s7, s43, v1
	s_and_b32 s48, s7, exec_lo
.LBB334_17:
	s_or_b32 exec_lo, exec_lo, s8
	v_add_nc_u32_e32 v1, s17, v13
	v_add_nc_u32_e32 v2, s19, v13
	s_mov_b32 s50, 0
	s_mov_b32 s49, 0
	s_mov_b32 s9, exec_lo
	v_mul_lo_u32 v1, v1, s16
	v_mul_lo_u32 v2, v2, s18
	s_delay_alu instid0(VALU_DEP_1) | instskip(NEXT) | instid1(VALU_DEP_1)
	v_sub_nc_u32_e32 v1, v1, v2
	v_cmp_lt_u32_e64 s7, s20, v1
	v_cmpx_ge_u32_e64 s20, v1
	s_cbranch_execz .LBB334_19
; %bb.18:
	v_add_nc_u32_e32 v1, s22, v13
	v_add_nc_u32_e32 v2, s42, v13
	s_delay_alu instid0(VALU_DEP_2) | instskip(NEXT) | instid1(VALU_DEP_2)
	v_mul_lo_u32 v1, v1, s21
	v_mul_lo_u32 v2, v2, s23
	s_delay_alu instid0(VALU_DEP_1) | instskip(NEXT) | instid1(VALU_DEP_1)
	v_sub_nc_u32_e32 v1, v1, v2
	v_cmp_lt_u32_e64 s8, s43, v1
	s_and_b32 s49, s8, exec_lo
.LBB334_19:
	;; [unrolled: 47-line block ×5, first 2 shown]
	s_or_b32 exec_lo, exec_lo, s57
	v_cndmask_b32_e64 v2, 0, 1, s2
	s_wait_alu 0xf1ff
	v_cndmask_b32_e64 v4, 0, 1, s4
	s_wait_alu 0xfffd
	v_cndmask_b32_e64 v1, 0, 1, vcc_lo
	v_cndmask_b32_e64 v3, 0, 1, s3
	v_cndmask_b32_e64 v6, 0, 1, s6
	v_lshlrev_b16 v2, 8, v2
	v_lshlrev_b16 v4, 8, v4
	v_cndmask_b32_e64 v8, 0, 1, s8
	v_cndmask_b32_e64 v22, 0, 1, s10
	;; [unrolled: 1-line block ×3, first 2 shown]
	v_or_b32_e32 v1, v1, v2
	v_or_b32_e32 v2, v3, v4
	v_cndmask_b32_e64 v51, 0, 1, s41
	v_cndmask_b32_e64 v5, 0, 1, s5
	;; [unrolled: 1-line block ×3, first 2 shown]
	v_and_b32_e32 v1, 0xffff, v1
	v_lshlrev_b32_e32 v2, 16, v2
	v_cndmask_b32_e64 v21, 0, 1, s9
	v_cndmask_b32_e64 v23, 0, 1, s11
	;; [unrolled: 1-line block ×8, first 2 shown]
	v_or_b32_e32 v42, v1, v2
	v_lshlrev_b16 v1, 8, v6
	v_lshlrev_b16 v2, 8, v8
	;; [unrolled: 1-line block ×5, first 2 shown]
	v_cndmask_b32_e64 v26, 0, 1, s53
	v_cndmask_b32_e64 v44, 0, 1, s50
	;; [unrolled: 1-line block ×5, first 2 shown]
	v_or_b32_e32 v1, v5, v1
	v_or_b32_e32 v2, v7, v2
	v_or_b32_e32 v5, v21, v6
	v_or_b32_e32 v6, v23, v8
	v_or_b32_e32 v7, v52, v22
	v_lshlrev_b16 v4, 8, v4
	v_lshlrev_b16 v8, 8, v49
	;; [unrolled: 1-line block ×5, first 2 shown]
	v_or_b32_e32 v4, v50, v4
	v_or_b32_e32 v3, v3, v8
	;; [unrolled: 1-line block ×5, first 2 shown]
	v_and_b32_e32 v1, 0xffff, v1
	v_lshlrev_b32_e32 v2, 16, v2
	v_and_b32_e32 v5, 0xffff, v5
	v_lshlrev_b32_e32 v6, 16, v6
	;; [unrolled: 2-line block ×5, first 2 shown]
	v_cndmask_b32_e64 v45, 0, 1, s54
	v_cndmask_b32_e64 v48, 0, 1, s56
	v_or_b32_e32 v44, v1, v2
	v_or_b32_e32 v47, v5, v6
	;; [unrolled: 1-line block ×5, first 2 shown]
	s_load_b64 s[4:5], s[0:1], 0x78
	s_and_b32 vcc_lo, exec_lo, s51
	s_wait_alu 0xfffe
	s_cbranch_vccnz .LBB334_33
	s_branch .LBB334_110
.LBB334_32:
                                        ; implicit-def: $vgpr48
                                        ; implicit-def: $vgpr45
                                        ; implicit-def: $vgpr46
                                        ; implicit-def: $vgpr43
                                        ; implicit-def: $vgpr49
                                        ; implicit-def: $vgpr47
                                        ; implicit-def: $vgpr44
                                        ; implicit-def: $vgpr42
	s_load_b64 s[4:5], s[0:1], 0x78
	s_cbranch_execz .LBB334_110
.LBB334_33:
	v_dual_mov_b32 v2, 0 :: v_dual_mov_b32 v1, 0
	s_mov_b32 s1, exec_lo
	v_cmpx_gt_u32_e64 s33, v41
	s_cbranch_execz .LBB334_37
; %bb.34:
	v_add_nc_u32_e32 v1, s17, v19
	v_add_nc_u32_e32 v2, s19, v19
	s_mov_b32 s3, 0
	s_mov_b32 s2, exec_lo
	s_delay_alu instid0(VALU_DEP_2) | instskip(NEXT) | instid1(VALU_DEP_2)
	v_mul_lo_u32 v1, v1, s16
	v_mul_lo_u32 v2, v2, s18
	s_delay_alu instid0(VALU_DEP_1) | instskip(NEXT) | instid1(VALU_DEP_1)
	v_sub_nc_u32_e32 v1, v1, v2
	v_cmp_lt_u32_e32 vcc_lo, s20, v1
	v_cmpx_ge_u32_e64 s20, v1
	s_cbranch_execz .LBB334_36
; %bb.35:
	v_add_nc_u32_e32 v1, s22, v19
	v_add_nc_u32_e32 v2, s42, v19
	s_delay_alu instid0(VALU_DEP_2) | instskip(NEXT) | instid1(VALU_DEP_2)
	v_mul_lo_u32 v1, v1, s21
	v_mul_lo_u32 v2, v2, s23
	s_delay_alu instid0(VALU_DEP_1) | instskip(NEXT) | instid1(VALU_DEP_1)
	v_sub_nc_u32_e32 v1, v1, v2
	v_cmp_lt_u32_e64 s0, s43, v1
	s_and_b32 s3, s0, exec_lo
.LBB334_36:
	s_wait_alu 0xfffe
	s_or_b32 exec_lo, exec_lo, s2
	v_cndmask_b32_e64 v2, 0, 1, s3
	s_wait_alu 0xfffd
	v_cndmask_b32_e64 v1, 0, 1, vcc_lo
.LBB334_37:
	s_or_b32 exec_lo, exec_lo, s1
	s_delay_alu instid0(VALU_DEP_2) | instskip(SKIP_1) | instid1(VALU_DEP_3)
	v_lshlrev_b16 v2, 8, v2
	v_add_nc_u32_e32 v3, 1, v41
	v_and_b32_e32 v6, 0xff, v1
	v_lshlrev_b16 v1, 8, 0
                                        ; implicit-def: $vgpr5
                                        ; implicit-def: $vgpr8
                                        ; implicit-def: $vgpr4
	s_delay_alu instid0(VALU_DEP_4) | instskip(NEXT) | instid1(VALU_DEP_4)
	v_and_b32_e32 v2, 0xffff, v2
	v_cmp_le_u32_e32 vcc_lo, s33, v3
                                        ; implicit-def: $vgpr3
	s_delay_alu instid0(VALU_DEP_2) | instskip(SKIP_2) | instid1(SALU_CYCLE_1)
	v_lshrrev_b32_e32 v21, 8, v2
	v_and_b32_e32 v7, 0xff, v2
                                        ; implicit-def: $vgpr2
	s_and_saveexec_b32 s0, vcc_lo
	s_xor_b32 s0, exec_lo, s0
	s_cbranch_execz .LBB334_39
; %bb.38:
	v_lshlrev_b16 v2, 8, v21
	v_and_b32_e32 v4, 0xffff, v1
                                        ; implicit-def: $vgpr21
	v_mov_b32_e32 v5, 0
	s_delay_alu instid0(VALU_DEP_3) | instskip(SKIP_1) | instid1(VALU_DEP_2)
	v_or_b32_e32 v3, v7, v2
	v_mov_b32_e32 v2, 0
                                        ; implicit-def: $vgpr7
	v_and_b32_e32 v8, 0xffff, v3
	v_and_b32_e32 v3, 0xffff, v1
                                        ; implicit-def: $vgpr1
.LBB334_39:
	s_and_not1_saveexec_b32 s1, s0
	s_cbranch_execz .LBB334_43
; %bb.40:
	v_add_nc_u32_e32 v2, s17, v20
	v_add_nc_u32_e32 v3, s19, v20
	s_mov_b32 s2, 0
	s_mov_b32 s3, exec_lo
	s_delay_alu instid0(VALU_DEP_2) | instskip(NEXT) | instid1(VALU_DEP_2)
	v_mul_lo_u32 v2, v2, s16
	v_mul_lo_u32 v3, v3, s18
	s_delay_alu instid0(VALU_DEP_1) | instskip(NEXT) | instid1(VALU_DEP_1)
	v_sub_nc_u32_e32 v2, v2, v3
	v_cmp_lt_u32_e32 vcc_lo, s20, v2
	v_cmpx_ge_u32_e64 s20, v2
	s_cbranch_execz .LBB334_42
; %bb.41:
	v_add_nc_u32_e32 v2, s22, v20
	v_add_nc_u32_e32 v3, s42, v20
	s_delay_alu instid0(VALU_DEP_2) | instskip(NEXT) | instid1(VALU_DEP_2)
	v_mul_lo_u32 v2, v2, s21
	v_mul_lo_u32 v3, v3, s23
	s_delay_alu instid0(VALU_DEP_1) | instskip(NEXT) | instid1(VALU_DEP_1)
	v_sub_nc_u32_e32 v2, v2, v3
	v_cmp_lt_u32_e64 s0, s43, v2
	s_and_b32 s2, s0, exec_lo
.LBB334_42:
	s_wait_alu 0xfffe
	s_or_b32 exec_lo, exec_lo, s3
	s_wait_alu 0xfffd
	v_cndmask_b32_e64 v2, 0, 1, vcc_lo
	v_lshlrev_b16 v3, 8, v21
	v_dual_mov_b32 v5, 0 :: v_dual_and_b32 v4, 0xffff, v1
	s_delay_alu instid0(VALU_DEP_3) | instskip(NEXT) | instid1(VALU_DEP_3)
	v_lshlrev_b16 v2, 8, v2
	v_or_b32_e32 v3, v7, v3
	v_cndmask_b32_e64 v7, 0, 1, s2
	s_delay_alu instid0(VALU_DEP_3) | instskip(NEXT) | instid1(VALU_DEP_3)
	v_or_b32_e32 v6, v6, v2
	v_dual_mov_b32 v2, 0 :: v_dual_and_b32 v3, 0xffff, v3
	s_delay_alu instid0(VALU_DEP_2) | instskip(NEXT) | instid1(VALU_DEP_2)
	v_and_b32_e32 v6, 0xffff, v6
	v_lshl_or_b32 v8, v7, 16, v3
	v_and_b32_e32 v3, 0xffff, v1
.LBB334_43:
	s_or_b32 exec_lo, exec_lo, s1
	v_add_nc_u32_e32 v1, 2, v41
	v_and_b32_e32 v21, 0xff, v6
	v_lshrrev_b32_e32 v22, 8, v6
                                        ; implicit-def: $vgpr7
	s_delay_alu instid0(VALU_DEP_3) | instskip(SKIP_1) | instid1(SALU_CYCLE_1)
	v_cmp_le_u32_e32 vcc_lo, s33, v1
                                        ; implicit-def: $vgpr1
	s_and_saveexec_b32 s0, vcc_lo
	s_xor_b32 s0, exec_lo, s0
	s_cbranch_execz .LBB334_45
; %bb.44:
	v_lshlrev_b16 v1, 8, v22
	v_perm_b32 v4, v4, v4, 0x3060504
                                        ; implicit-def: $vgpr22
	s_delay_alu instid0(VALU_DEP_2) | instskip(SKIP_1) | instid1(VALU_DEP_2)
	v_or_b32_e32 v1, v21, v1
	v_and_b32_e32 v21, 0xff0000, v8
	v_and_b32_e32 v1, 0xffff, v1
	s_delay_alu instid0(VALU_DEP_1) | instskip(NEXT) | instid1(VALU_DEP_3)
	v_and_or_b32 v7, 0xff000000, v6, v1
	v_perm_b32 v1, v8, v21, 0x3020504
                                        ; implicit-def: $vgpr21
                                        ; implicit-def: $vgpr6
                                        ; implicit-def: $vgpr8
.LBB334_45:
	s_and_not1_saveexec_b32 s1, s0
	s_cbranch_execz .LBB334_49
; %bb.46:
	v_add_nc_u32_e32 v1, s17, v17
	v_add_nc_u32_e32 v7, s19, v17
	s_mov_b32 s2, 0
	s_mov_b32 s3, exec_lo
	s_delay_alu instid0(VALU_DEP_2) | instskip(NEXT) | instid1(VALU_DEP_2)
	v_mul_lo_u32 v1, v1, s16
	v_mul_lo_u32 v7, v7, s18
	s_delay_alu instid0(VALU_DEP_1) | instskip(NEXT) | instid1(VALU_DEP_1)
	v_sub_nc_u32_e32 v1, v1, v7
	v_cmp_lt_u32_e32 vcc_lo, s20, v1
	v_cmpx_ge_u32_e64 s20, v1
	s_cbranch_execz .LBB334_48
; %bb.47:
	v_add_nc_u32_e32 v1, s22, v17
	v_add_nc_u32_e32 v7, s42, v17
	s_delay_alu instid0(VALU_DEP_2) | instskip(NEXT) | instid1(VALU_DEP_2)
	v_mul_lo_u32 v1, v1, s21
	v_mul_lo_u32 v7, v7, s23
	s_delay_alu instid0(VALU_DEP_1) | instskip(NEXT) | instid1(VALU_DEP_1)
	v_sub_nc_u32_e32 v1, v1, v7
	v_cmp_lt_u32_e64 s0, s43, v1
	s_and_b32 s2, s0, exec_lo
.LBB334_48:
	s_wait_alu 0xfffe
	s_or_b32 exec_lo, exec_lo, s3
	v_lshrrev_b32_e32 v6, 24, v6
	v_cndmask_b32_e64 v7, 0, 1, s2
	v_lshrrev_b32_e32 v23, 8, v8
	v_lshrrev_b32_e32 v24, 16, v8
	s_wait_alu 0xfffd
	v_cndmask_b32_e64 v1, 0, 1, vcc_lo
	v_lshlrev_b16 v22, 8, v22
	v_lshlrev_b16 v6, 8, v6
	v_and_b32_e32 v8, 0xff, v8
	v_lshlrev_b16 v23, 8, v23
	v_lshlrev_b16 v7, 8, v7
	v_and_b32_e32 v24, 0xff, v24
	v_or_b32_e32 v21, v21, v22
	v_or_b32_e32 v1, v1, v6
	;; [unrolled: 1-line block ×3, first 2 shown]
	s_delay_alu instid0(VALU_DEP_4) | instskip(NEXT) | instid1(VALU_DEP_4)
	v_or_b32_e32 v7, v24, v7
	v_and_b32_e32 v8, 0xffff, v21
	s_delay_alu instid0(VALU_DEP_4) | instskip(NEXT) | instid1(VALU_DEP_4)
	v_lshlrev_b32_e32 v1, 16, v1
	v_and_b32_e32 v6, 0xffff, v6
	s_delay_alu instid0(VALU_DEP_4) | instskip(NEXT) | instid1(VALU_DEP_3)
	v_lshlrev_b32_e32 v21, 16, v7
	v_or_b32_e32 v7, v8, v1
	s_delay_alu instid0(VALU_DEP_2)
	v_or_b32_e32 v1, v6, v21
.LBB334_49:
	s_or_b32 exec_lo, exec_lo, s1
	v_add_nc_u32_e32 v6, 3, v41
	v_lshrrev_b32_e32 v8, 24, v5
	v_lshrrev_b32_e32 v21, 16, v5
	;; [unrolled: 1-line block ×3, first 2 shown]
                                        ; implicit-def: $vgpr42
	s_delay_alu instid0(VALU_DEP_4) | instskip(SKIP_1) | instid1(SALU_CYCLE_1)
	v_cmp_le_u32_e32 vcc_lo, s33, v6
                                        ; implicit-def: $vgpr6
	s_and_saveexec_b32 s0, vcc_lo
	s_xor_b32 s0, exec_lo, s0
	s_cbranch_execz .LBB334_51
; %bb.50:
	v_lshlrev_b16 v6, 8, v8
	v_and_b32_e32 v8, 0xff, v21
	v_lshlrev_b16 v5, 8, v5
	v_perm_b32 v4, v4, v4, 0x3060504
	v_perm_b32 v3, v3, v3, 0x3060504
                                        ; implicit-def: $vgpr21
	s_delay_alu instid0(VALU_DEP_4) | instskip(SKIP_2) | instid1(VALU_DEP_3)
	v_or_b32_e32 v6, v8, v6
	v_and_b32_e32 v8, 0xff0000, v7
	v_and_b32_e32 v5, 0xffff, v5
	v_lshlrev_b32_e32 v6, 16, v6
	s_delay_alu instid0(VALU_DEP_3) | instskip(NEXT) | instid1(VALU_DEP_2)
	v_perm_b32 v42, v7, v8, 0x3020504
                                        ; implicit-def: $vgpr7
                                        ; implicit-def: $vgpr8
	v_or_b32_e32 v6, v5, v6
                                        ; implicit-def: $vgpr5
.LBB334_51:
	s_and_not1_saveexec_b32 s1, s0
	s_cbranch_execz .LBB334_55
; %bb.52:
	v_add_nc_u32_e32 v6, s17, v18
	v_add_nc_u32_e32 v22, s19, v18
	s_mov_b32 s2, 0
	s_mov_b32 s3, exec_lo
	s_delay_alu instid0(VALU_DEP_2) | instskip(NEXT) | instid1(VALU_DEP_2)
	v_mul_lo_u32 v6, v6, s16
	v_mul_lo_u32 v22, v22, s18
	s_delay_alu instid0(VALU_DEP_1) | instskip(NEXT) | instid1(VALU_DEP_1)
	v_sub_nc_u32_e32 v6, v6, v22
	v_cmp_lt_u32_e32 vcc_lo, s20, v6
	v_cmpx_ge_u32_e64 s20, v6
	s_cbranch_execz .LBB334_54
; %bb.53:
	v_add_nc_u32_e32 v6, s22, v18
	v_add_nc_u32_e32 v22, s42, v18
	s_delay_alu instid0(VALU_DEP_2) | instskip(NEXT) | instid1(VALU_DEP_2)
	v_mul_lo_u32 v6, v6, s21
	v_mul_lo_u32 v22, v22, s23
	s_delay_alu instid0(VALU_DEP_1) | instskip(NEXT) | instid1(VALU_DEP_1)
	v_sub_nc_u32_e32 v6, v6, v22
	v_cmp_lt_u32_e64 s0, s43, v6
	s_and_b32 s2, s0, exec_lo
.LBB334_54:
	s_wait_alu 0xfffe
	s_or_b32 exec_lo, exec_lo, s3
	v_lshrrev_b32_e32 v6, 8, v7
	s_wait_alu 0xfffd
	v_cndmask_b32_e64 v22, 0, 1, vcc_lo
	v_lshrrev_b32_e32 v23, 16, v7
	v_cndmask_b32_e64 v24, 0, 1, s2
	v_and_b32_e32 v7, 0xff, v7
	v_lshlrev_b16 v6, 8, v6
	v_lshlrev_b16 v22, 8, v22
	v_and_b32_e32 v23, 0xff, v23
	v_lshlrev_b16 v8, 8, v8
	v_and_b32_e32 v21, 0xff, v21
	v_lshlrev_b16 v5, 8, v5
	v_or_b32_e32 v6, v7, v6
	v_or_b32_e32 v7, v23, v22
	s_delay_alu instid0(VALU_DEP_4) | instskip(NEXT) | instid1(VALU_DEP_4)
	v_or_b32_e32 v8, v21, v8
	v_or_b32_e32 v5, v24, v5
	s_delay_alu instid0(VALU_DEP_4) | instskip(NEXT) | instid1(VALU_DEP_4)
	v_and_b32_e32 v6, 0xffff, v6
	v_lshlrev_b32_e32 v7, 16, v7
	s_delay_alu instid0(VALU_DEP_4) | instskip(NEXT) | instid1(VALU_DEP_4)
	v_lshlrev_b32_e32 v8, 16, v8
	v_and_b32_e32 v5, 0xffff, v5
	s_delay_alu instid0(VALU_DEP_3) | instskip(NEXT) | instid1(VALU_DEP_2)
	v_or_b32_e32 v42, v6, v7
	v_or_b32_e32 v6, v5, v8
.LBB334_55:
	s_or_b32 exec_lo, exec_lo, s1
	v_add_nc_u32_e32 v5, 4, v41
	v_lshrrev_b32_e32 v21, 8, v4
	v_lshrrev_b32_e32 v22, 16, v4
	;; [unrolled: 1-line block ×4, first 2 shown]
	v_cmp_le_u32_e32 vcc_lo, s33, v5
	v_lshrrev_b32_e32 v8, 16, v6
                                        ; implicit-def: $vgpr4
                                        ; implicit-def: $vgpr5
	s_and_saveexec_b32 s0, vcc_lo
	s_delay_alu instid0(SALU_CYCLE_1)
	s_xor_b32 s0, exec_lo, s0
	s_cbranch_execz .LBB334_57
; %bb.56:
	v_lshlrev_b16 v4, 8, v23
	v_and_b32_e32 v5, 0xff, v22
	v_lshlrev_b16 v21, 8, v21
	v_lshlrev_b16 v7, 8, v7
	v_and_b32_e32 v8, 0xff, v8
	v_perm_b32 v3, v3, v3, 0x3060504
	v_or_b32_e32 v4, v5, v4
	v_and_b32_e32 v5, 0xffff, v21
                                        ; implicit-def: $vgpr21
                                        ; implicit-def: $vgpr22
                                        ; implicit-def: $vgpr23
	s_delay_alu instid0(VALU_DEP_4) | instskip(NEXT) | instid1(VALU_DEP_3)
	v_or_b32_e32 v7, v8, v7
	v_lshlrev_b32_e32 v8, 16, v4
	s_delay_alu instid0(VALU_DEP_2) | instskip(NEXT) | instid1(VALU_DEP_2)
	v_perm_b32 v4, v7, v6, 0x5040c00
                                        ; implicit-def: $vgpr6
                                        ; implicit-def: $vgpr7
	v_or_b32_e32 v5, v5, v8
                                        ; implicit-def: $vgpr8
.LBB334_57:
	s_and_not1_saveexec_b32 s1, s0
	s_cbranch_execz .LBB334_61
; %bb.58:
	v_add_nc_u32_e32 v4, s17, v15
	v_add_nc_u32_e32 v5, s19, v15
	s_mov_b32 s2, 0
	s_mov_b32 s3, exec_lo
	s_delay_alu instid0(VALU_DEP_2) | instskip(NEXT) | instid1(VALU_DEP_2)
	v_mul_lo_u32 v4, v4, s16
	v_mul_lo_u32 v5, v5, s18
	s_delay_alu instid0(VALU_DEP_1) | instskip(NEXT) | instid1(VALU_DEP_1)
	v_sub_nc_u32_e32 v4, v4, v5
	v_cmp_lt_u32_e32 vcc_lo, s20, v4
	v_cmpx_ge_u32_e64 s20, v4
	s_cbranch_execz .LBB334_60
; %bb.59:
	v_add_nc_u32_e32 v4, s22, v15
	v_add_nc_u32_e32 v5, s42, v15
	s_delay_alu instid0(VALU_DEP_2) | instskip(NEXT) | instid1(VALU_DEP_2)
	v_mul_lo_u32 v4, v4, s21
	v_mul_lo_u32 v5, v5, s23
	s_delay_alu instid0(VALU_DEP_1) | instskip(NEXT) | instid1(VALU_DEP_1)
	v_sub_nc_u32_e32 v4, v4, v5
	v_cmp_lt_u32_e64 s0, s43, v4
	s_and_b32 s2, s0, exec_lo
.LBB334_60:
	s_wait_alu 0xfffe
	s_or_b32 exec_lo, exec_lo, s3
	v_cndmask_b32_e64 v4, 0, 1, s2
	s_wait_alu 0xfffd
	v_cndmask_b32_e64 v5, 0, 1, vcc_lo
	v_lshlrev_b16 v23, 8, v23
	v_and_b32_e32 v22, 0xff, v22
	v_lshlrev_b16 v21, 8, v21
	v_lshlrev_b16 v4, 8, v4
	v_and_b32_e32 v6, 0xff, v6
	v_lshlrev_b16 v7, 8, v7
	v_and_b32_e32 v8, 0xff, v8
	v_or_b32_e32 v22, v22, v23
	v_or_b32_e32 v5, v5, v21
	;; [unrolled: 1-line block ×3, first 2 shown]
	s_delay_alu instid0(VALU_DEP_4) | instskip(NEXT) | instid1(VALU_DEP_4)
	v_or_b32_e32 v6, v8, v7
	v_lshlrev_b32_e32 v7, 16, v22
	s_delay_alu instid0(VALU_DEP_4) | instskip(NEXT) | instid1(VALU_DEP_4)
	v_and_b32_e32 v5, 0xffff, v5
	v_and_b32_e32 v4, 0xffff, v4
	s_delay_alu instid0(VALU_DEP_4) | instskip(NEXT) | instid1(VALU_DEP_3)
	v_lshlrev_b32_e32 v6, 16, v6
	v_or_b32_e32 v5, v5, v7
	s_delay_alu instid0(VALU_DEP_2)
	v_or_b32_e32 v4, v4, v6
.LBB334_61:
	s_or_b32 exec_lo, exec_lo, s1
	v_add_nc_u32_e32 v6, 5, v41
	s_delay_alu instid0(VALU_DEP_2)
	v_lshrrev_b32_e32 v21, 16, v5
	v_lshrrev_b32_e32 v23, 24, v5
	v_and_b32_e32 v8, 0xff, v4
	v_lshrrev_b32_e32 v22, 8, v4
	v_cmp_le_u32_e32 vcc_lo, s33, v6
                                        ; implicit-def: $vgpr6
                                        ; implicit-def: $vgpr7
	s_and_saveexec_b32 s0, vcc_lo
	s_delay_alu instid0(SALU_CYCLE_1)
	s_xor_b32 s0, exec_lo, s0
	s_cbranch_execz .LBB334_63
; %bb.62:
	v_lshlrev_b16 v6, 8, v22
	v_lshlrev_b16 v7, 8, v23
	v_and_b32_e32 v21, 0xff, v21
	v_perm_b32 v3, v3, v3, 0x3060504
                                        ; implicit-def: $vgpr23
                                        ; implicit-def: $vgpr22
	s_delay_alu instid0(VALU_DEP_4) | instskip(NEXT) | instid1(VALU_DEP_3)
	v_or_b32_e32 v6, v8, v6
                                        ; implicit-def: $vgpr8
	v_or_b32_e32 v7, v21, v7
                                        ; implicit-def: $vgpr21
	s_delay_alu instid0(VALU_DEP_2) | instskip(NEXT) | instid1(VALU_DEP_2)
	v_and_b32_e32 v6, 0xffff, v6
	v_perm_b32 v7, v7, v5, 0x5040c00
                                        ; implicit-def: $vgpr5
	s_delay_alu instid0(VALU_DEP_2)
	v_and_or_b32 v6, 0xff000000, v4, v6
                                        ; implicit-def: $vgpr4
.LBB334_63:
	s_and_not1_saveexec_b32 s1, s0
	s_cbranch_execz .LBB334_67
; %bb.64:
	v_add_nc_u32_e32 v6, s17, v16
	v_add_nc_u32_e32 v7, s19, v16
	s_mov_b32 s2, 0
	s_mov_b32 s3, exec_lo
	s_delay_alu instid0(VALU_DEP_2) | instskip(NEXT) | instid1(VALU_DEP_2)
	v_mul_lo_u32 v6, v6, s16
	v_mul_lo_u32 v7, v7, s18
	s_delay_alu instid0(VALU_DEP_1) | instskip(NEXT) | instid1(VALU_DEP_1)
	v_sub_nc_u32_e32 v6, v6, v7
	v_cmp_lt_u32_e32 vcc_lo, s20, v6
	v_cmpx_ge_u32_e64 s20, v6
	s_cbranch_execz .LBB334_66
; %bb.65:
	v_add_nc_u32_e32 v6, s22, v16
	v_add_nc_u32_e32 v7, s42, v16
	s_delay_alu instid0(VALU_DEP_2) | instskip(NEXT) | instid1(VALU_DEP_2)
	v_mul_lo_u32 v6, v6, s21
	v_mul_lo_u32 v7, v7, s23
	s_delay_alu instid0(VALU_DEP_1) | instskip(NEXT) | instid1(VALU_DEP_1)
	v_sub_nc_u32_e32 v6, v6, v7
	v_cmp_lt_u32_e64 s0, s43, v6
	s_and_b32 s2, s0, exec_lo
.LBB334_66:
	s_wait_alu 0xfffe
	s_or_b32 exec_lo, exec_lo, s3
	s_wait_alu 0xfffd
	v_cndmask_b32_e64 v6, 0, 1, vcc_lo
	v_lshrrev_b32_e32 v4, 24, v4
	v_cndmask_b32_e64 v7, 0, 1, s2
	v_lshlrev_b16 v23, 8, v23
	v_and_b32_e32 v21, 0xff, v21
	v_lshlrev_b16 v6, 8, v6
	v_lshlrev_b16 v22, 8, v22
	v_and_b32_e32 v5, 0xff, v5
	v_lshlrev_b16 v4, 8, v4
	v_or_b32_e32 v21, v21, v23
	s_delay_alu instid0(VALU_DEP_4) | instskip(NEXT) | instid1(VALU_DEP_4)
	v_or_b32_e32 v8, v8, v22
	v_or_b32_e32 v5, v5, v6
	s_delay_alu instid0(VALU_DEP_4) | instskip(NEXT) | instid1(VALU_DEP_4)
	v_or_b32_e32 v4, v7, v4
	v_lshlrev_b32_e32 v6, 16, v21
	s_delay_alu instid0(VALU_DEP_4) | instskip(NEXT) | instid1(VALU_DEP_4)
	v_and_b32_e32 v8, 0xffff, v8
	v_and_b32_e32 v5, 0xffff, v5
	s_delay_alu instid0(VALU_DEP_4) | instskip(NEXT) | instid1(VALU_DEP_2)
	v_lshlrev_b32_e32 v4, 16, v4
	v_or_b32_e32 v7, v5, v6
	s_delay_alu instid0(VALU_DEP_2)
	v_or_b32_e32 v6, v8, v4
.LBB334_67:
	s_or_b32 exec_lo, exec_lo, s1
	v_add_nc_u32_e32 v4, 6, v41
	s_delay_alu instid0(VALU_DEP_3) | instskip(NEXT) | instid1(VALU_DEP_2)
	v_lshrrev_b32_e32 v8, 8, v7
                                        ; implicit-def: $vgpr43
                                        ; implicit-def: $vgpr5
	v_cmp_le_u32_e32 vcc_lo, s33, v4
	v_and_b32_e32 v4, 0xff, v7
	s_and_saveexec_b32 s0, vcc_lo
	s_delay_alu instid0(SALU_CYCLE_1)
	s_xor_b32 s0, exec_lo, s0
	s_cbranch_execz .LBB334_69
; %bb.68:
	v_lshlrev_b16 v5, 8, v8
	v_perm_b32 v3, v3, v3, 0x3060504
                                        ; implicit-def: $vgpr8
	s_delay_alu instid0(VALU_DEP_2) | instskip(SKIP_1) | instid1(VALU_DEP_2)
	v_or_b32_e32 v4, v4, v5
	v_and_b32_e32 v5, 0xff0000, v6
	v_and_b32_e32 v4, 0xffff, v4
	s_delay_alu instid0(VALU_DEP_2) | instskip(NEXT) | instid1(VALU_DEP_2)
	v_perm_b32 v43, v6, v5, 0x3020504
                                        ; implicit-def: $vgpr6
	v_and_or_b32 v5, 0xff000000, v7, v4
                                        ; implicit-def: $vgpr4
                                        ; implicit-def: $vgpr7
.LBB334_69:
	s_and_not1_saveexec_b32 s1, s0
	s_cbranch_execz .LBB334_73
; %bb.70:
	v_add_nc_u32_e32 v5, s17, v13
	v_add_nc_u32_e32 v21, s19, v13
	s_mov_b32 s2, 0
	s_mov_b32 s3, exec_lo
	s_delay_alu instid0(VALU_DEP_2) | instskip(NEXT) | instid1(VALU_DEP_2)
	v_mul_lo_u32 v5, v5, s16
	v_mul_lo_u32 v21, v21, s18
	s_delay_alu instid0(VALU_DEP_1) | instskip(NEXT) | instid1(VALU_DEP_1)
	v_sub_nc_u32_e32 v5, v5, v21
	v_cmp_lt_u32_e32 vcc_lo, s20, v5
	v_cmpx_ge_u32_e64 s20, v5
	s_cbranch_execz .LBB334_72
; %bb.71:
	v_add_nc_u32_e32 v5, s22, v13
	v_add_nc_u32_e32 v21, s42, v13
	s_delay_alu instid0(VALU_DEP_2) | instskip(NEXT) | instid1(VALU_DEP_2)
	v_mul_lo_u32 v5, v5, s21
	v_mul_lo_u32 v21, v21, s23
	s_delay_alu instid0(VALU_DEP_1) | instskip(NEXT) | instid1(VALU_DEP_1)
	v_sub_nc_u32_e32 v5, v5, v21
	v_cmp_lt_u32_e64 s0, s43, v5
	s_and_b32 s2, s0, exec_lo
.LBB334_72:
	s_wait_alu 0xfffe
	s_or_b32 exec_lo, exec_lo, s3
	v_lshrrev_b32_e32 v7, 24, v7
	v_cndmask_b32_e64 v21, 0, 1, s2
	v_lshrrev_b32_e32 v22, 8, v6
	v_lshrrev_b32_e32 v23, 16, v6
	s_wait_alu 0xfffd
	v_cndmask_b32_e64 v5, 0, 1, vcc_lo
	v_lshlrev_b16 v8, 8, v8
	v_lshlrev_b16 v7, 8, v7
	v_and_b32_e32 v6, 0xff, v6
	v_lshlrev_b16 v22, 8, v22
	v_lshlrev_b16 v21, 8, v21
	v_and_b32_e32 v23, 0xff, v23
	v_or_b32_e32 v4, v4, v8
	v_or_b32_e32 v5, v5, v7
	;; [unrolled: 1-line block ×3, first 2 shown]
	s_delay_alu instid0(VALU_DEP_4) | instskip(NEXT) | instid1(VALU_DEP_4)
	v_or_b32_e32 v7, v23, v21
	v_and_b32_e32 v4, 0xffff, v4
	s_delay_alu instid0(VALU_DEP_4) | instskip(NEXT) | instid1(VALU_DEP_4)
	v_lshlrev_b32_e32 v5, 16, v5
	v_and_b32_e32 v6, 0xffff, v6
	s_delay_alu instid0(VALU_DEP_4) | instskip(NEXT) | instid1(VALU_DEP_3)
	v_lshlrev_b32_e32 v7, 16, v7
	v_or_b32_e32 v5, v4, v5
	s_delay_alu instid0(VALU_DEP_2)
	v_or_b32_e32 v43, v6, v7
.LBB334_73:
	s_or_b32 exec_lo, exec_lo, s1
	v_add_nc_u32_e32 v4, 7, v41
	v_lshrrev_b32_e32 v6, 8, v3
	v_lshrrev_b32_e32 v7, 16, v3
	;; [unrolled: 1-line block ×3, first 2 shown]
                                        ; implicit-def: $vgpr44
	s_delay_alu instid0(VALU_DEP_4) | instskip(SKIP_1) | instid1(SALU_CYCLE_1)
	v_cmp_le_u32_e32 vcc_lo, s33, v4
                                        ; implicit-def: $vgpr4
	s_and_saveexec_b32 s0, vcc_lo
	s_xor_b32 s0, exec_lo, s0
	s_cbranch_execz .LBB334_75
; %bb.74:
	v_lshlrev_b16 v3, 8, v3
	v_and_b32_e32 v4, 0xff, v7
                                        ; implicit-def: $vgpr7
	s_delay_alu instid0(VALU_DEP_1) | instskip(SKIP_2) | instid1(VALU_DEP_3)
	v_or_b32_e32 v3, v4, v3
	v_lshlrev_b16 v4, 8, v6
	v_and_b32_e32 v6, 0xff0000, v5
	v_lshlrev_b32_e32 v3, 16, v3
	s_delay_alu instid0(VALU_DEP_3) | instskip(NEXT) | instid1(VALU_DEP_3)
	v_and_b32_e32 v4, 0xffff, v4
	v_perm_b32 v44, v5, v6, 0x3020504
                                        ; implicit-def: $vgpr5
                                        ; implicit-def: $vgpr6
	s_delay_alu instid0(VALU_DEP_2)
	v_or_b32_e32 v4, v4, v3
                                        ; implicit-def: $vgpr3
.LBB334_75:
	s_and_not1_saveexec_b32 s1, s0
	s_cbranch_execz .LBB334_79
; %bb.76:
	v_add_nc_u32_e32 v4, s17, v14
	v_add_nc_u32_e32 v8, s19, v14
	s_mov_b32 s2, 0
	s_mov_b32 s3, exec_lo
	s_delay_alu instid0(VALU_DEP_2) | instskip(NEXT) | instid1(VALU_DEP_2)
	v_mul_lo_u32 v4, v4, s16
	v_mul_lo_u32 v8, v8, s18
	s_delay_alu instid0(VALU_DEP_1) | instskip(NEXT) | instid1(VALU_DEP_1)
	v_sub_nc_u32_e32 v4, v4, v8
	v_cmp_lt_u32_e32 vcc_lo, s20, v4
	v_cmpx_ge_u32_e64 s20, v4
	s_cbranch_execz .LBB334_78
; %bb.77:
	v_add_nc_u32_e32 v4, s22, v14
	v_add_nc_u32_e32 v8, s42, v14
	s_delay_alu instid0(VALU_DEP_2) | instskip(NEXT) | instid1(VALU_DEP_2)
	v_mul_lo_u32 v4, v4, s21
	v_mul_lo_u32 v8, v8, s23
	s_delay_alu instid0(VALU_DEP_1) | instskip(NEXT) | instid1(VALU_DEP_1)
	v_sub_nc_u32_e32 v4, v4, v8
	v_cmp_lt_u32_e64 s0, s43, v4
	s_and_b32 s2, s0, exec_lo
.LBB334_78:
	s_wait_alu 0xfffe
	s_or_b32 exec_lo, exec_lo, s3
	v_lshrrev_b32_e32 v4, 8, v5
	s_wait_alu 0xfffd
	v_cndmask_b32_e64 v8, 0, 1, vcc_lo
	v_lshrrev_b32_e32 v21, 16, v5
	v_cndmask_b32_e64 v22, 0, 1, s2
	v_and_b32_e32 v5, 0xff, v5
	v_lshlrev_b16 v4, 8, v4
	v_lshlrev_b16 v8, 8, v8
	v_and_b32_e32 v21, 0xff, v21
	v_lshlrev_b16 v3, 8, v3
	v_and_b32_e32 v7, 0xff, v7
	v_lshlrev_b16 v6, 8, v6
	v_or_b32_e32 v4, v5, v4
	v_or_b32_e32 v5, v21, v8
	s_delay_alu instid0(VALU_DEP_4) | instskip(NEXT) | instid1(VALU_DEP_4)
	v_or_b32_e32 v3, v7, v3
	v_or_b32_e32 v6, v22, v6
	s_delay_alu instid0(VALU_DEP_4) | instskip(NEXT) | instid1(VALU_DEP_4)
	v_and_b32_e32 v4, 0xffff, v4
	v_lshlrev_b32_e32 v5, 16, v5
	s_delay_alu instid0(VALU_DEP_4) | instskip(NEXT) | instid1(VALU_DEP_4)
	v_lshlrev_b32_e32 v3, 16, v3
	v_and_b32_e32 v6, 0xffff, v6
	s_delay_alu instid0(VALU_DEP_3) | instskip(NEXT) | instid1(VALU_DEP_2)
	v_or_b32_e32 v44, v4, v5
	v_or_b32_e32 v4, v6, v3
.LBB334_79:
	s_or_b32 exec_lo, exec_lo, s1
	v_add_nc_u32_e32 v3, 8, v41
	s_delay_alu instid0(VALU_DEP_2)
	v_lshrrev_b32_e32 v5, 16, v4
	v_lshrrev_b32_e32 v6, 24, v4
	;; [unrolled: 1-line block ×4, first 2 shown]
	v_cmp_le_u32_e32 vcc_lo, s33, v3
	v_lshrrev_b32_e32 v7, 8, v2
                                        ; implicit-def: $vgpr2
                                        ; implicit-def: $vgpr3
	s_and_saveexec_b32 s0, vcc_lo
	s_delay_alu instid0(SALU_CYCLE_1)
	s_xor_b32 s0, exec_lo, s0
	s_cbranch_execz .LBB334_81
; %bb.80:
	v_lshlrev_b16 v2, 8, v8
	v_and_b32_e32 v3, 0xff, v21
	v_lshlrev_b16 v7, 8, v7
	v_lshlrev_b16 v6, 8, v6
	v_perm_b32 v1, v1, v1, 0x3060504
                                        ; implicit-def: $vgpr8
                                        ; implicit-def: $vgpr21
	s_delay_alu instid0(VALU_DEP_4) | instskip(SKIP_2) | instid1(VALU_DEP_3)
	v_or_b32_e32 v2, v3, v2
	v_and_b32_e32 v3, 0xff, v5
	v_and_b32_e32 v5, 0xffff, v7
                                        ; implicit-def: $vgpr7
	v_lshlrev_b32_e32 v2, 16, v2
	s_delay_alu instid0(VALU_DEP_3) | instskip(NEXT) | instid1(VALU_DEP_2)
	v_or_b32_e32 v6, v3, v6
	v_or_b32_e32 v3, v5, v2
	s_delay_alu instid0(VALU_DEP_2)
	v_perm_b32 v2, v6, v4, 0x5040c00
                                        ; implicit-def: $vgpr4
                                        ; implicit-def: $vgpr5
                                        ; implicit-def: $vgpr6
.LBB334_81:
	s_and_not1_saveexec_b32 s1, s0
	s_cbranch_execz .LBB334_85
; %bb.82:
	v_add_nc_u32_e32 v2, s17, v11
	v_add_nc_u32_e32 v3, s19, v11
	s_mov_b32 s2, 0
	s_mov_b32 s3, exec_lo
	s_delay_alu instid0(VALU_DEP_2) | instskip(NEXT) | instid1(VALU_DEP_2)
	v_mul_lo_u32 v2, v2, s16
	v_mul_lo_u32 v3, v3, s18
	s_delay_alu instid0(VALU_DEP_1) | instskip(NEXT) | instid1(VALU_DEP_1)
	v_sub_nc_u32_e32 v2, v2, v3
	v_cmp_lt_u32_e32 vcc_lo, s20, v2
	v_cmpx_ge_u32_e64 s20, v2
	s_cbranch_execz .LBB334_84
; %bb.83:
	v_add_nc_u32_e32 v2, s22, v11
	v_add_nc_u32_e32 v3, s42, v11
	s_delay_alu instid0(VALU_DEP_2) | instskip(NEXT) | instid1(VALU_DEP_2)
	v_mul_lo_u32 v2, v2, s21
	v_mul_lo_u32 v3, v3, s23
	s_delay_alu instid0(VALU_DEP_1) | instskip(NEXT) | instid1(VALU_DEP_1)
	v_sub_nc_u32_e32 v2, v2, v3
	v_cmp_lt_u32_e64 s0, s43, v2
	s_and_b32 s2, s0, exec_lo
.LBB334_84:
	s_wait_alu 0xfffe
	s_or_b32 exec_lo, exec_lo, s3
	v_cndmask_b32_e64 v2, 0, 1, s2
	s_wait_alu 0xfffd
	v_cndmask_b32_e64 v3, 0, 1, vcc_lo
	v_lshlrev_b16 v8, 8, v8
	v_and_b32_e32 v21, 0xff, v21
	v_lshlrev_b16 v7, 8, v7
	v_lshlrev_b16 v2, 8, v2
	v_and_b32_e32 v4, 0xff, v4
	v_lshlrev_b16 v6, 8, v6
	v_and_b32_e32 v5, 0xff, v5
	v_or_b32_e32 v8, v21, v8
	v_or_b32_e32 v3, v3, v7
	;; [unrolled: 1-line block ×3, first 2 shown]
	s_delay_alu instid0(VALU_DEP_4) | instskip(NEXT) | instid1(VALU_DEP_4)
	v_or_b32_e32 v4, v5, v6
	v_lshlrev_b32_e32 v5, 16, v8
	s_delay_alu instid0(VALU_DEP_4) | instskip(NEXT) | instid1(VALU_DEP_4)
	v_and_b32_e32 v3, 0xffff, v3
	v_and_b32_e32 v2, 0xffff, v2
	s_delay_alu instid0(VALU_DEP_4) | instskip(NEXT) | instid1(VALU_DEP_3)
	v_lshlrev_b32_e32 v4, 16, v4
	v_or_b32_e32 v3, v3, v5
	s_delay_alu instid0(VALU_DEP_2)
	v_or_b32_e32 v2, v2, v4
.LBB334_85:
	s_or_b32 exec_lo, exec_lo, s1
	v_add_nc_u32_e32 v4, 9, v41
	s_delay_alu instid0(VALU_DEP_2)
	v_lshrrev_b32_e32 v6, 8, v2
	v_lshrrev_b32_e32 v21, 24, v3
	v_lshrrev_b32_e32 v8, 16, v3
	v_and_b32_e32 v7, 0xff, v2
	v_cmp_le_u32_e32 vcc_lo, s33, v4
                                        ; implicit-def: $vgpr4
                                        ; implicit-def: $vgpr5
	s_and_saveexec_b32 s0, vcc_lo
	s_delay_alu instid0(SALU_CYCLE_1)
	s_xor_b32 s0, exec_lo, s0
	s_cbranch_execz .LBB334_87
; %bb.86:
	v_lshlrev_b16 v4, 8, v6
	v_lshlrev_b16 v5, 8, v21
	v_and_b32_e32 v6, 0xff, v8
	v_perm_b32 v1, v1, v1, 0x3060504
                                        ; implicit-def: $vgpr21
                                        ; implicit-def: $vgpr8
	s_delay_alu instid0(VALU_DEP_4) | instskip(NEXT) | instid1(VALU_DEP_3)
	v_or_b32_e32 v4, v7, v4
                                        ; implicit-def: $vgpr7
	v_or_b32_e32 v5, v6, v5
                                        ; implicit-def: $vgpr6
	s_delay_alu instid0(VALU_DEP_2) | instskip(NEXT) | instid1(VALU_DEP_2)
	v_and_b32_e32 v4, 0xffff, v4
	v_perm_b32 v5, v5, v3, 0x5040c00
                                        ; implicit-def: $vgpr3
	s_delay_alu instid0(VALU_DEP_2)
	v_and_or_b32 v4, 0xff000000, v2, v4
                                        ; implicit-def: $vgpr2
.LBB334_87:
	s_and_not1_saveexec_b32 s1, s0
	s_cbranch_execz .LBB334_91
; %bb.88:
	v_add_nc_u32_e32 v4, s17, v12
	v_add_nc_u32_e32 v5, s19, v12
	s_mov_b32 s2, 0
	s_mov_b32 s3, exec_lo
	s_delay_alu instid0(VALU_DEP_2) | instskip(NEXT) | instid1(VALU_DEP_2)
	v_mul_lo_u32 v4, v4, s16
	v_mul_lo_u32 v5, v5, s18
	s_delay_alu instid0(VALU_DEP_1) | instskip(NEXT) | instid1(VALU_DEP_1)
	v_sub_nc_u32_e32 v4, v4, v5
	v_cmp_lt_u32_e32 vcc_lo, s20, v4
	v_cmpx_ge_u32_e64 s20, v4
	s_cbranch_execz .LBB334_90
; %bb.89:
	v_add_nc_u32_e32 v4, s22, v12
	v_add_nc_u32_e32 v5, s42, v12
	s_delay_alu instid0(VALU_DEP_2) | instskip(NEXT) | instid1(VALU_DEP_2)
	v_mul_lo_u32 v4, v4, s21
	v_mul_lo_u32 v5, v5, s23
	s_delay_alu instid0(VALU_DEP_1) | instskip(NEXT) | instid1(VALU_DEP_1)
	v_sub_nc_u32_e32 v4, v4, v5
	v_cmp_lt_u32_e64 s0, s43, v4
	s_and_b32 s2, s0, exec_lo
.LBB334_90:
	s_wait_alu 0xfffe
	s_or_b32 exec_lo, exec_lo, s3
	s_wait_alu 0xfffd
	v_cndmask_b32_e64 v4, 0, 1, vcc_lo
	v_lshrrev_b32_e32 v2, 24, v2
	v_cndmask_b32_e64 v5, 0, 1, s2
	v_lshlrev_b16 v21, 8, v21
	v_and_b32_e32 v8, 0xff, v8
	v_lshlrev_b16 v4, 8, v4
	v_lshlrev_b16 v6, 8, v6
	v_and_b32_e32 v3, 0xff, v3
	v_lshlrev_b16 v2, 8, v2
	v_or_b32_e32 v8, v8, v21
	s_delay_alu instid0(VALU_DEP_4) | instskip(NEXT) | instid1(VALU_DEP_4)
	v_or_b32_e32 v6, v7, v6
	v_or_b32_e32 v3, v3, v4
	s_delay_alu instid0(VALU_DEP_4) | instskip(NEXT) | instid1(VALU_DEP_4)
	v_or_b32_e32 v2, v5, v2
	v_lshlrev_b32_e32 v4, 16, v8
	s_delay_alu instid0(VALU_DEP_4) | instskip(NEXT) | instid1(VALU_DEP_4)
	v_and_b32_e32 v6, 0xffff, v6
	v_and_b32_e32 v3, 0xffff, v3
	s_delay_alu instid0(VALU_DEP_4) | instskip(NEXT) | instid1(VALU_DEP_2)
	v_lshlrev_b32_e32 v2, 16, v2
	v_or_b32_e32 v5, v3, v4
	s_delay_alu instid0(VALU_DEP_2)
	v_or_b32_e32 v4, v6, v2
.LBB334_91:
	s_or_b32 exec_lo, exec_lo, s1
	v_add_nc_u32_e32 v2, 10, v41
	s_delay_alu instid0(VALU_DEP_3) | instskip(SKIP_1) | instid1(VALU_DEP_3)
	v_and_b32_e32 v3, 0xff, v5
	v_lshrrev_b32_e32 v6, 8, v5
                                        ; implicit-def: $vgpr46
	v_cmp_le_u32_e32 vcc_lo, s33, v2
                                        ; implicit-def: $vgpr2
	s_and_saveexec_b32 s0, vcc_lo
	s_delay_alu instid0(SALU_CYCLE_1)
	s_xor_b32 s0, exec_lo, s0
	s_cbranch_execz .LBB334_93
; %bb.92:
	v_lshlrev_b16 v2, 8, v6
	v_perm_b32 v1, v1, v1, 0x3060504
                                        ; implicit-def: $vgpr6
	s_delay_alu instid0(VALU_DEP_2) | instskip(SKIP_1) | instid1(VALU_DEP_2)
	v_or_b32_e32 v2, v3, v2
	v_and_b32_e32 v3, 0xff0000, v4
	v_and_b32_e32 v2, 0xffff, v2
	s_delay_alu instid0(VALU_DEP_2) | instskip(NEXT) | instid1(VALU_DEP_2)
	v_perm_b32 v46, v4, v3, 0x3020504
                                        ; implicit-def: $vgpr3
                                        ; implicit-def: $vgpr4
	v_and_or_b32 v2, 0xff000000, v5, v2
                                        ; implicit-def: $vgpr5
.LBB334_93:
	s_and_not1_saveexec_b32 s1, s0
	s_cbranch_execz .LBB334_97
; %bb.94:
	v_add_nc_u32_e32 v2, s17, v9
	v_add_nc_u32_e32 v7, s19, v9
	s_mov_b32 s2, 0
	s_mov_b32 s3, exec_lo
	s_delay_alu instid0(VALU_DEP_2) | instskip(NEXT) | instid1(VALU_DEP_2)
	v_mul_lo_u32 v2, v2, s16
	v_mul_lo_u32 v7, v7, s18
	s_delay_alu instid0(VALU_DEP_1) | instskip(NEXT) | instid1(VALU_DEP_1)
	v_sub_nc_u32_e32 v2, v2, v7
	v_cmp_lt_u32_e32 vcc_lo, s20, v2
	v_cmpx_ge_u32_e64 s20, v2
	s_cbranch_execz .LBB334_96
; %bb.95:
	v_add_nc_u32_e32 v2, s22, v9
	v_add_nc_u32_e32 v7, s42, v9
	s_delay_alu instid0(VALU_DEP_2) | instskip(NEXT) | instid1(VALU_DEP_2)
	v_mul_lo_u32 v2, v2, s21
	v_mul_lo_u32 v7, v7, s23
	s_delay_alu instid0(VALU_DEP_1) | instskip(NEXT) | instid1(VALU_DEP_1)
	v_sub_nc_u32_e32 v2, v2, v7
	v_cmp_lt_u32_e64 s0, s43, v2
	s_and_b32 s2, s0, exec_lo
.LBB334_96:
	s_wait_alu 0xfffe
	s_or_b32 exec_lo, exec_lo, s3
	v_lshrrev_b32_e32 v5, 24, v5
	v_cndmask_b32_e64 v7, 0, 1, s2
	v_lshrrev_b32_e32 v8, 8, v4
	v_lshrrev_b32_e32 v21, 16, v4
	s_wait_alu 0xfffd
	v_cndmask_b32_e64 v2, 0, 1, vcc_lo
	v_lshlrev_b16 v6, 8, v6
	v_lshlrev_b16 v5, 8, v5
	v_and_b32_e32 v4, 0xff, v4
	v_lshlrev_b16 v8, 8, v8
	v_lshlrev_b16 v7, 8, v7
	v_and_b32_e32 v21, 0xff, v21
	v_or_b32_e32 v3, v3, v6
	v_or_b32_e32 v2, v2, v5
	;; [unrolled: 1-line block ×3, first 2 shown]
	s_delay_alu instid0(VALU_DEP_4) | instskip(NEXT) | instid1(VALU_DEP_4)
	v_or_b32_e32 v5, v21, v7
	v_and_b32_e32 v3, 0xffff, v3
	s_delay_alu instid0(VALU_DEP_4) | instskip(NEXT) | instid1(VALU_DEP_4)
	v_lshlrev_b32_e32 v2, 16, v2
	v_and_b32_e32 v4, 0xffff, v4
	s_delay_alu instid0(VALU_DEP_4) | instskip(NEXT) | instid1(VALU_DEP_3)
	v_lshlrev_b32_e32 v5, 16, v5
	v_or_b32_e32 v2, v3, v2
	s_delay_alu instid0(VALU_DEP_2)
	v_or_b32_e32 v46, v4, v5
.LBB334_97:
	s_or_b32 exec_lo, exec_lo, s1
	v_add_nc_u32_e32 v3, 11, v41
	v_mov_b32_e32 v45, 0
	s_mov_b32 s0, exec_lo
                                        ; implicit-def: $vgpr47
	s_delay_alu instid0(VALU_DEP_2)
	v_cmpx_le_u32_e64 s33, v3
	s_xor_b32 s0, exec_lo, s0
; %bb.98:
	v_and_b32_e32 v3, 0xff0000, v2
	v_perm_b32 v1, v1, v1, 0x3060504
	s_delay_alu instid0(VALU_DEP_2)
	v_perm_b32 v47, v2, v3, 0x3020504
                                        ; implicit-def: $vgpr2
; %bb.99:
	s_and_not1_saveexec_b32 s1, s0
	s_cbranch_execz .LBB334_103
; %bb.100:
	v_add_nc_u32_e32 v3, s17, v10
	v_add_nc_u32_e32 v4, s19, v10
	s_mov_b32 s2, 0
	s_mov_b32 s3, exec_lo
	s_delay_alu instid0(VALU_DEP_2) | instskip(NEXT) | instid1(VALU_DEP_2)
	v_mul_lo_u32 v3, v3, s16
	v_mul_lo_u32 v4, v4, s18
	s_delay_alu instid0(VALU_DEP_1) | instskip(NEXT) | instid1(VALU_DEP_1)
	v_sub_nc_u32_e32 v3, v3, v4
	v_cmp_lt_u32_e32 vcc_lo, s20, v3
	v_cmpx_ge_u32_e64 s20, v3
	s_cbranch_execz .LBB334_102
; %bb.101:
	v_add_nc_u32_e32 v3, s22, v10
	v_add_nc_u32_e32 v4, s42, v10
	s_delay_alu instid0(VALU_DEP_2) | instskip(NEXT) | instid1(VALU_DEP_2)
	v_mul_lo_u32 v3, v3, s21
	v_mul_lo_u32 v4, v4, s23
	s_delay_alu instid0(VALU_DEP_1) | instskip(NEXT) | instid1(VALU_DEP_1)
	v_sub_nc_u32_e32 v3, v3, v4
	v_cmp_lt_u32_e64 s0, s43, v3
	s_and_b32 s2, s0, exec_lo
.LBB334_102:
	s_wait_alu 0xfffe
	s_or_b32 exec_lo, exec_lo, s3
	v_lshrrev_b32_e32 v3, 8, v2
	s_wait_alu 0xfffd
	v_cndmask_b32_e64 v4, 0, 1, vcc_lo
	v_lshrrev_b32_e32 v5, 16, v2
	v_and_b32_e32 v2, 0xff, v2
	v_cndmask_b32_e64 v45, 0, 1, s2
	v_lshlrev_b16 v3, 8, v3
	v_lshlrev_b16 v4, 8, v4
	v_and_b32_e32 v5, 0xff, v5
	s_delay_alu instid0(VALU_DEP_3) | instskip(NEXT) | instid1(VALU_DEP_2)
	v_or_b32_e32 v2, v2, v3
	v_or_b32_e32 v3, v5, v4
	s_delay_alu instid0(VALU_DEP_2) | instskip(NEXT) | instid1(VALU_DEP_2)
	v_and_b32_e32 v2, 0xffff, v2
	v_lshlrev_b32_e32 v3, 16, v3
	s_delay_alu instid0(VALU_DEP_1)
	v_or_b32_e32 v47, v2, v3
.LBB334_103:
	s_or_b32 exec_lo, exec_lo, s1
	v_add_nc_u32_e32 v4, 12, v41
	v_lshrrev_b32_e32 v2, 8, v1
	v_lshrrev_b32_e32 v3, 16, v1
	v_lshrrev_b32_e32 v1, 24, v1
	s_mov_b32 s0, exec_lo
                                        ; implicit-def: $vgpr49
	v_cmpx_le_u32_e64 s33, v4
	s_xor_b32 s0, exec_lo, s0
	s_cbranch_execz .LBB334_105
; %bb.104:
	v_lshlrev_b16 v1, 8, v1
	v_and_b32_e32 v3, 0xff, v3
	v_lshlrev_b16 v2, 8, v2
	s_delay_alu instid0(VALU_DEP_2) | instskip(NEXT) | instid1(VALU_DEP_2)
	v_or_b32_e32 v1, v3, v1
	v_and_b32_e32 v2, 0xffff, v2
                                        ; implicit-def: $vgpr3
	s_delay_alu instid0(VALU_DEP_2) | instskip(NEXT) | instid1(VALU_DEP_1)
	v_lshlrev_b32_e32 v1, 16, v1
	v_or_b32_e32 v49, v2, v1
                                        ; implicit-def: $vgpr1
                                        ; implicit-def: $vgpr2
.LBB334_105:
	s_or_saveexec_b32 s1, s0
	v_mov_b32_e32 v48, 0
	s_xor_b32 exec_lo, exec_lo, s1
	s_cbranch_execz .LBB334_109
; %bb.106:
	v_add_nc_u32_e32 v4, s17, v40
	v_add_nc_u32_e32 v5, s19, v40
	s_mov_b32 s2, 0
	s_mov_b32 s3, exec_lo
	s_delay_alu instid0(VALU_DEP_2) | instskip(NEXT) | instid1(VALU_DEP_2)
	v_mul_lo_u32 v4, v4, s16
	v_mul_lo_u32 v5, v5, s18
	s_delay_alu instid0(VALU_DEP_1) | instskip(NEXT) | instid1(VALU_DEP_1)
	v_sub_nc_u32_e32 v4, v4, v5
	v_cmp_lt_u32_e32 vcc_lo, s20, v4
	v_cmpx_ge_u32_e64 s20, v4
	s_cbranch_execz .LBB334_108
; %bb.107:
	v_add_nc_u32_e32 v4, s22, v40
	v_add_nc_u32_e32 v5, s42, v40
	s_delay_alu instid0(VALU_DEP_2) | instskip(NEXT) | instid1(VALU_DEP_2)
	v_mul_lo_u32 v4, v4, s21
	v_mul_lo_u32 v5, v5, s23
	s_delay_alu instid0(VALU_DEP_1) | instskip(NEXT) | instid1(VALU_DEP_1)
	v_sub_nc_u32_e32 v4, v4, v5
	v_cmp_lt_u32_e64 s0, s43, v4
	s_and_b32 s2, s0, exec_lo
.LBB334_108:
	s_wait_alu 0xfffe
	s_or_b32 exec_lo, exec_lo, s3
	s_wait_alu 0xfffd
	v_cndmask_b32_e64 v4, 0, 1, vcc_lo
	v_lshlrev_b16 v1, 8, v1
	v_and_b32_e32 v3, 0xff, v3
	v_lshlrev_b16 v2, 8, v2
	v_cndmask_b32_e64 v48, 0, 1, s2
	s_delay_alu instid0(VALU_DEP_3) | instskip(NEXT) | instid1(VALU_DEP_3)
	v_or_b32_e32 v1, v3, v1
	v_or_b32_e32 v2, v4, v2
	s_delay_alu instid0(VALU_DEP_2) | instskip(NEXT) | instid1(VALU_DEP_2)
	v_lshlrev_b32_e32 v1, 16, v1
	v_and_b32_e32 v2, 0xffff, v2
	s_delay_alu instid0(VALU_DEP_1)
	v_or_b32_e32 v49, v2, v1
.LBB334_109:
	s_or_b32 exec_lo, exec_lo, s1
.LBB334_110:
	v_and_b32_e32 v72, 0xff, v42
	s_delay_alu instid0(VALU_DEP_2)
	v_bfe_u32 v73, v49, 8, 8
	v_bfe_u32 v70, v42, 8, 8
	;; [unrolled: 1-line block ×4, first 2 shown]
	v_lshrrev_b32_e32 v55, 24, v49
	v_lshrrev_b32_e32 v54, 24, v42
	v_and_b32_e32 v68, 0xff, v43
	v_and_b32_e32 v66, 0xff, v44
	v_bfe_u32 v67, v43, 8, 8
	v_add3_u32 v1, v70, v72, v69
	v_add3_u32 v2, v71, v73, v55
	v_bfe_u32 v64, v44, 8, 8
	v_bfe_u32 v65, v43, 16, 8
	;; [unrolled: 1-line block ×3, first 2 shown]
	v_lshrrev_b32_e32 v53, 24, v43
	v_add3_u32 v1, v1, v54, v66
	v_add3_u32 v2, v2, v68, v67
	v_lshrrev_b32_e32 v52, 24, v44
	v_and_b32_e32 v63, 0xff, v46
	v_and_b32_e32 v61, 0xff, v47
	v_bfe_u32 v62, v46, 8, 8
	v_add3_u32 v1, v1, v64, v59
	v_add3_u32 v2, v2, v65, v53
	v_bfe_u32 v58, v47, 8, 8
	v_bfe_u32 v60, v46, 16, 8
	;; [unrolled: 1-line block ×3, first 2 shown]
	v_lshrrev_b32_e32 v51, 24, v46
	v_add3_u32 v1, v1, v52, v61
	v_add3_u32 v2, v2, v63, v62
	v_mbcnt_lo_u32_b32 v74, -1, 0
	v_lshrrev_b32_e32 v50, 24, v47
	v_and_b32_e32 v57, 0xff, v45
	v_and_b32_e32 v3, 0xff, v49
	;; [unrolled: 1-line block ×3, first 2 shown]
	v_add3_u32 v1, v1, v58, v56
	v_add3_u32 v2, v2, v60, v51
	v_and_b32_e32 v76, 15, v74
	v_and_b32_e32 v78, 16, v74
	v_lshrrev_b32_e32 v75, 5, v0
	v_add3_u32 v79, v1, v50, v3
	v_add3_u32 v80, v2, v57, v4
	v_cmp_eq_u32_e64 s1, 0, v76
	v_cmp_lt_u32_e64 s0, 1, v76
	v_cmp_lt_u32_e64 s2, 3, v76
	v_or_b32_e32 v77, 31, v0
	s_cmp_lg_u32 ttmp9, 0
	s_mov_b32 s3, -1
	v_cmp_lt_u32_e32 vcc_lo, 7, v76
	s_cbranch_scc0 .LBB334_131
; %bb.111:
	v_mov_b32_dpp v2, v79 row_shr:1 row_mask:0xf bank_mask:0xf
	v_mov_b32_dpp v1, v80 row_shr:1 row_mask:0xf bank_mask:0xf
	s_mov_b32 s3, exec_lo
	s_delay_alu instid0(VALU_DEP_2) | instskip(NEXT) | instid1(VALU_DEP_2)
	v_add_nc_u32_e32 v2, v2, v79
	v_add_nc_u32_e32 v1, v1, v80
	s_delay_alu instid0(VALU_DEP_2) | instskip(NEXT) | instid1(VALU_DEP_2)
	v_cndmask_b32_e64 v2, v2, v79, s1
	v_cndmask_b32_e64 v1, v1, v80, s1
	s_delay_alu instid0(VALU_DEP_2) | instskip(NEXT) | instid1(VALU_DEP_2)
	v_mov_b32_dpp v4, v2 row_shr:2 row_mask:0xf bank_mask:0xf
	v_mov_b32_dpp v3, v1 row_shr:2 row_mask:0xf bank_mask:0xf
	s_delay_alu instid0(VALU_DEP_2) | instskip(NEXT) | instid1(VALU_DEP_1)
	v_add_nc_u32_e32 v4, v2, v4
	v_cndmask_b32_e64 v2, v2, v4, s0
	s_delay_alu instid0(VALU_DEP_1) | instskip(NEXT) | instid1(VALU_DEP_1)
	v_mov_b32_dpp v4, v2 row_shr:4 row_mask:0xf bank_mask:0xf
	v_add_nc_u32_e32 v4, v2, v4
	s_wait_alu 0xf1ff
	s_delay_alu instid0(VALU_DEP_1) | instskip(NEXT) | instid1(VALU_DEP_1)
	v_cndmask_b32_e64 v2, v2, v4, s2
	v_mov_b32_dpp v4, v2 row_shr:8 row_mask:0xf bank_mask:0xf
	s_delay_alu instid0(VALU_DEP_1) | instskip(SKIP_1) | instid1(VALU_DEP_1)
	v_add_nc_u32_e32 v4, v2, v4
	s_wait_alu 0xfffd
	v_dual_cndmask_b32 v2, v2, v4 :: v_dual_add_nc_u32 v3, v1, v3
	s_delay_alu instid0(VALU_DEP_1) | instskip(SKIP_2) | instid1(VALU_DEP_1)
	v_cndmask_b32_e64 v1, v1, v3, s0
	ds_swizzle_b32 v4, v2 offset:swizzle(BROADCAST,32,15)
	v_mov_b32_dpp v3, v1 row_shr:4 row_mask:0xf bank_mask:0xf
	v_add_nc_u32_e32 v3, v1, v3
	s_delay_alu instid0(VALU_DEP_1) | instskip(NEXT) | instid1(VALU_DEP_1)
	v_cndmask_b32_e64 v1, v1, v3, s2
	v_mov_b32_dpp v3, v1 row_shr:8 row_mask:0xf bank_mask:0xf
	s_wait_dscnt 0x0
	v_add_nc_u32_e32 v4, v2, v4
	s_delay_alu instid0(VALU_DEP_2) | instskip(NEXT) | instid1(VALU_DEP_1)
	v_add_nc_u32_e32 v3, v1, v3
	v_cndmask_b32_e32 v1, v1, v3, vcc_lo
	v_cmp_eq_u32_e32 vcc_lo, 0, v78
	ds_swizzle_b32 v3, v1 offset:swizzle(BROADCAST,32,15)
	s_wait_dscnt 0x0
	v_add_nc_u32_e32 v3, v1, v3
	v_cmpx_eq_u32_e64 v0, v77
; %bb.112:
	s_wait_alu 0xfffd
	s_delay_alu instid0(VALU_DEP_2)
	v_dual_cndmask_b32 v6, v3, v1 :: v_dual_lshlrev_b32 v7, 3, v75
	v_cndmask_b32_e32 v5, v4, v2, vcc_lo
	ds_store_b64 v7, v[5:6]
; %bb.113:
	s_wait_alu 0xfffe
	s_or_b32 exec_lo, exec_lo, s3
	s_delay_alu instid0(SALU_CYCLE_1)
	s_mov_b32 s3, exec_lo
	s_wait_loadcnt_dscnt 0x0
	s_barrier_signal -1
	s_barrier_wait -1
	global_inv scope:SCOPE_SE
	v_cmpx_gt_u32_e32 8, v0
	s_cbranch_execz .LBB334_115
; %bb.114:
	v_lshlrev_b32_e32 v7, 3, v0
	v_and_b32_e32 v22, 7, v74
	ds_load_b64 v[5:6], v7
	v_cmp_eq_u32_e64 s2, 0, v22
	s_wait_dscnt 0x0
	v_mov_b32_dpp v8, v5 row_shr:1 row_mask:0xf bank_mask:0xf
	v_mov_b32_dpp v21, v6 row_shr:1 row_mask:0xf bank_mask:0xf
	s_delay_alu instid0(VALU_DEP_2) | instskip(NEXT) | instid1(VALU_DEP_2)
	v_add_nc_u32_e32 v8, v8, v5
	v_add_nc_u32_e32 v21, v21, v6
	s_wait_alu 0xf1ff
	s_delay_alu instid0(VALU_DEP_2) | instskip(NEXT) | instid1(VALU_DEP_2)
	v_cndmask_b32_e64 v5, v8, v5, s2
	v_cndmask_b32_e64 v6, v21, v6, s2
	v_cmp_lt_u32_e64 s2, 1, v22
	s_delay_alu instid0(VALU_DEP_3) | instskip(NEXT) | instid1(VALU_DEP_3)
	v_mov_b32_dpp v8, v5 row_shr:2 row_mask:0xf bank_mask:0xf
	v_mov_b32_dpp v21, v6 row_shr:2 row_mask:0xf bank_mask:0xf
	s_delay_alu instid0(VALU_DEP_2) | instskip(NEXT) | instid1(VALU_DEP_2)
	v_add_nc_u32_e32 v8, v5, v8
	v_add_nc_u32_e32 v21, v6, v21
	s_wait_alu 0xf1ff
	s_delay_alu instid0(VALU_DEP_2) | instskip(NEXT) | instid1(VALU_DEP_2)
	v_cndmask_b32_e64 v5, v5, v8, s2
	v_cndmask_b32_e64 v6, v6, v21, s2
	v_cmp_lt_u32_e64 s2, 3, v22
	s_delay_alu instid0(VALU_DEP_3) | instskip(NEXT) | instid1(VALU_DEP_3)
	v_mov_b32_dpp v8, v5 row_shr:4 row_mask:0xf bank_mask:0xf
	v_mov_b32_dpp v21, v6 row_shr:4 row_mask:0xf bank_mask:0xf
	s_wait_alu 0xf1ff
	s_delay_alu instid0(VALU_DEP_2) | instskip(NEXT) | instid1(VALU_DEP_2)
	v_cndmask_b32_e64 v8, 0, v8, s2
	v_cndmask_b32_e64 v21, 0, v21, s2
	s_delay_alu instid0(VALU_DEP_2) | instskip(NEXT) | instid1(VALU_DEP_2)
	v_add_nc_u32_e32 v5, v8, v5
	v_add_nc_u32_e32 v6, v21, v6
	ds_store_b64 v7, v[5:6]
.LBB334_115:
	s_wait_alu 0xfffe
	s_or_b32 exec_lo, exec_lo, s3
	v_dual_cndmask_b32 v1, v3, v1 :: v_dual_cndmask_b32 v2, v4, v2
	s_mov_b32 s3, exec_lo
	v_cmp_gt_u32_e32 vcc_lo, 32, v0
	s_wait_loadcnt_dscnt 0x0
	s_barrier_signal -1
	s_barrier_wait -1
	global_inv scope:SCOPE_SE
                                        ; implicit-def: $vgpr21
	v_cmpx_lt_u32_e32 31, v0
	s_cbranch_execz .LBB334_117
; %bb.116:
	v_lshl_add_u32 v3, v75, 3, -8
	ds_load_b64 v[21:22], v3
	s_wait_dscnt 0x0
	v_add_nc_u32_e32 v1, v22, v1
	v_add_nc_u32_e32 v2, v21, v2
.LBB334_117:
	s_wait_alu 0xfffe
	s_or_b32 exec_lo, exec_lo, s3
	v_sub_co_u32 v3, s2, v74, 1
	s_delay_alu instid0(VALU_DEP_1) | instskip(SKIP_1) | instid1(VALU_DEP_1)
	v_cmp_gt_i32_e64 s3, 0, v3
	s_wait_alu 0xf1ff
	v_cndmask_b32_e64 v3, v3, v74, s3
	s_delay_alu instid0(VALU_DEP_1)
	v_lshlrev_b32_e32 v3, 2, v3
	ds_bpermute_b32 v81, v3, v2
	ds_bpermute_b32 v82, v3, v1
	s_and_saveexec_b32 s3, vcc_lo
	s_cbranch_execz .LBB334_136
; %bb.118:
	v_mov_b32_e32 v4, 0
	ds_load_b64 v[1:2], v4 offset:56
	s_and_saveexec_b32 s6, s2
	s_cbranch_execz .LBB334_120
; %bb.119:
	s_add_co_i32 s8, ttmp9, 32
	s_mov_b32 s9, 0
	s_wait_alu 0xfffe
	s_lshl_b64 s[8:9], s[8:9], 4
	s_wait_kmcnt 0x0
	s_wait_alu 0xfffe
	s_add_nc_u64 s[8:9], s[4:5], s[8:9]
	v_mov_b32_e32 v3, 1
	s_wait_alu 0xfffe
	v_dual_mov_b32 v5, s8 :: v_dual_mov_b32 v6, s9
	s_wait_dscnt 0x0
	;;#ASMSTART
	global_store_b128 v[5:6], v[1:4] off scope:SCOPE_DEV	
s_wait_storecnt 0x0
	;;#ASMEND
.LBB334_120:
	s_wait_alu 0xfffe
	s_or_b32 exec_lo, exec_lo, s6
	v_xad_u32 v23, v74, -1, ttmp9
	s_mov_b32 s7, 0
	s_mov_b32 s6, exec_lo
	s_delay_alu instid0(VALU_DEP_1) | instskip(NEXT) | instid1(VALU_DEP_1)
	v_add_nc_u32_e32 v3, 32, v23
	v_lshlrev_b64_e32 v[3:4], 4, v[3:4]
	s_wait_kmcnt 0x0
	s_delay_alu instid0(VALU_DEP_1) | instskip(SKIP_1) | instid1(VALU_DEP_2)
	v_add_co_u32 v3, vcc_lo, s4, v3
	s_wait_alu 0xfffd
	v_add_co_ci_u32_e64 v4, null, s5, v4, vcc_lo
	;;#ASMSTART
	global_load_b128 v[5:8], v[3:4] off scope:SCOPE_DEV	
s_wait_loadcnt 0x0
	;;#ASMEND
	v_and_b32_e32 v8, 0xff, v7
	s_delay_alu instid0(VALU_DEP_1)
	v_cmpx_eq_u16_e32 0, v8
	s_cbranch_execz .LBB334_123
.LBB334_121:                            ; =>This Inner Loop Header: Depth=1
	;;#ASMSTART
	global_load_b128 v[5:8], v[3:4] off scope:SCOPE_DEV	
s_wait_loadcnt 0x0
	;;#ASMEND
	v_and_b32_e32 v8, 0xff, v7
	s_delay_alu instid0(VALU_DEP_1)
	v_cmp_ne_u16_e32 vcc_lo, 0, v8
	s_wait_alu 0xfffe
	s_or_b32 s7, vcc_lo, s7
	s_wait_alu 0xfffe
	s_and_not1_b32 exec_lo, exec_lo, s7
	s_cbranch_execnz .LBB334_121
; %bb.122:
	s_or_b32 exec_lo, exec_lo, s7
.LBB334_123:
	s_wait_alu 0xfffe
	s_or_b32 exec_lo, exec_lo, s6
	v_cmp_ne_u32_e32 vcc_lo, 31, v74
	v_lshlrev_b32_e64 v84, v74, -1
	v_add_nc_u32_e32 v86, 2, v74
	v_add_nc_u32_e32 v88, 4, v74
	;; [unrolled: 1-line block ×3, first 2 shown]
	s_wait_alu 0xfffd
	v_add_co_ci_u32_e64 v3, null, 0, v74, vcc_lo
	v_lshl_or_b32 v91, v74, 2, 64
	v_add_nc_u32_e32 v92, 16, v74
	s_delay_alu instid0(VALU_DEP_3)
	v_lshlrev_b32_e32 v83, 2, v3
	v_and_b32_e32 v3, 0xff, v7
	ds_bpermute_b32 v4, v83, v6
	v_cmp_eq_u16_e32 vcc_lo, 2, v3
	s_wait_alu 0xfffd
	v_and_b32_e32 v8, vcc_lo, v84
	v_cmp_gt_u32_e32 vcc_lo, 30, v74
	s_delay_alu instid0(VALU_DEP_2) | instskip(SKIP_2) | instid1(VALU_DEP_2)
	v_or_b32_e32 v8, 0x80000000, v8
	s_wait_alu 0xfffd
	v_cndmask_b32_e64 v24, 0, 2, vcc_lo
	v_ctz_i32_b32_e32 v8, v8
	s_delay_alu instid0(VALU_DEP_2) | instskip(SKIP_2) | instid1(VALU_DEP_3)
	v_add_lshl_u32 v85, v24, v74, 2
	s_wait_dscnt 0x0
	v_add_nc_u32_e32 v4, v4, v6
	v_cmp_lt_u32_e32 vcc_lo, v74, v8
	s_wait_alu 0xfffd
	s_delay_alu instid0(VALU_DEP_2) | instskip(SKIP_3) | instid1(VALU_DEP_1)
	v_cndmask_b32_e32 v4, v6, v4, vcc_lo
	ds_bpermute_b32 v3, v83, v5
	s_wait_dscnt 0x0
	v_add_nc_u32_e32 v3, v3, v5
	v_cndmask_b32_e32 v3, v5, v3, vcc_lo
	ds_bpermute_b32 v5, v85, v4
	v_cmp_gt_u32_e32 vcc_lo, 28, v74
	ds_bpermute_b32 v6, v85, v3
	s_wait_alu 0xfffd
	v_cndmask_b32_e64 v24, 0, 4, vcc_lo
	v_cmp_gt_u32_e32 vcc_lo, v86, v8
	s_delay_alu instid0(VALU_DEP_2)
	v_add_lshl_u32 v87, v24, v74, 2
	s_wait_dscnt 0x1
	v_add_nc_u32_e32 v5, v4, v5
	s_wait_dscnt 0x0
	v_add_nc_u32_e32 v6, v3, v6
	s_wait_alu 0xfffd
	s_delay_alu instid0(VALU_DEP_1)
	v_dual_cndmask_b32 v4, v5, v4 :: v_dual_cndmask_b32 v3, v6, v3
	ds_bpermute_b32 v5, v87, v4
	v_cmp_gt_u32_e32 vcc_lo, 24, v74
	ds_bpermute_b32 v6, v87, v3
	s_wait_alu 0xfffd
	v_cndmask_b32_e64 v24, 0, 8, vcc_lo
	v_cmp_gt_u32_e32 vcc_lo, v88, v8
	s_delay_alu instid0(VALU_DEP_2)
	v_add_lshl_u32 v89, v24, v74, 2
	s_wait_dscnt 0x1
	v_dual_mov_b32 v24, 0 :: v_dual_add_nc_u32 v5, v4, v5
	s_wait_dscnt 0x0
	v_add_nc_u32_e32 v6, v3, v6
	s_wait_alu 0xfffd
	s_delay_alu instid0(VALU_DEP_1)
	v_dual_cndmask_b32 v4, v5, v4 :: v_dual_cndmask_b32 v3, v6, v3
	ds_bpermute_b32 v5, v89, v4
	v_cmp_gt_u32_e32 vcc_lo, v90, v8
	ds_bpermute_b32 v6, v89, v3
	s_wait_dscnt 0x1
	v_add_nc_u32_e32 v5, v4, v5
	s_wait_dscnt 0x0
	v_add_nc_u32_e32 v6, v3, v6
	s_wait_alu 0xfffd
	s_delay_alu instid0(VALU_DEP_1)
	v_dual_cndmask_b32 v4, v5, v4 :: v_dual_cndmask_b32 v3, v6, v3
	ds_bpermute_b32 v6, v91, v4
	v_cmp_le_u32_e32 vcc_lo, v92, v8
	ds_bpermute_b32 v5, v91, v3
	s_wait_dscnt 0x0
	s_wait_alu 0xfffd
	v_dual_cndmask_b32 v6, 0, v6 :: v_dual_cndmask_b32 v5, 0, v5
	s_delay_alu instid0(VALU_DEP_1) | instskip(NEXT) | instid1(VALU_DEP_2)
	v_add_nc_u32_e32 v6, v6, v4
	v_add_nc_u32_e32 v5, v5, v3
	s_branch .LBB334_127
.LBB334_124:                            ;   in Loop: Header=BB334_127 Depth=1
	s_or_b32 exec_lo, exec_lo, s7
.LBB334_125:                            ;   in Loop: Header=BB334_127 Depth=1
	s_wait_alu 0xfffe
	s_or_b32 exec_lo, exec_lo, s6
	ds_bpermute_b32 v8, v83, v5
	ds_bpermute_b32 v25, v83, v6
	v_subrev_nc_u32_e32 v23, 32, v23
	s_mov_b32 s6, 0
	s_wait_dscnt 0x1
	v_add_nc_u32_e32 v8, v8, v5
	v_and_b32_e32 v26, 0xff, v7
	s_wait_dscnt 0x0
	v_add_nc_u32_e32 v25, v25, v6
	s_delay_alu instid0(VALU_DEP_2) | instskip(SKIP_2) | instid1(VALU_DEP_1)
	v_cmp_eq_u16_e32 vcc_lo, 2, v26
	s_wait_alu 0xfffd
	v_and_or_b32 v26, vcc_lo, v84, 0x80000000
	v_ctz_i32_b32_e32 v26, v26
	s_delay_alu instid0(VALU_DEP_1)
	v_cmp_lt_u32_e32 vcc_lo, v74, v26
	s_wait_alu 0xfffd
	v_dual_cndmask_b32 v6, v6, v25 :: v_dual_cndmask_b32 v5, v5, v8
	v_cmp_gt_u32_e32 vcc_lo, v86, v26
	ds_bpermute_b32 v25, v85, v6
	ds_bpermute_b32 v8, v85, v5
	s_wait_dscnt 0x1
	v_add_nc_u32_e32 v25, v6, v25
	s_wait_dscnt 0x0
	v_add_nc_u32_e32 v8, v5, v8
	s_wait_alu 0xfffd
	s_delay_alu instid0(VALU_DEP_1)
	v_dual_cndmask_b32 v6, v25, v6 :: v_dual_cndmask_b32 v5, v8, v5
	v_cmp_gt_u32_e32 vcc_lo, v88, v26
	ds_bpermute_b32 v25, v87, v6
	ds_bpermute_b32 v8, v87, v5
	s_wait_dscnt 0x1
	v_add_nc_u32_e32 v25, v6, v25
	s_wait_dscnt 0x0
	v_add_nc_u32_e32 v8, v5, v8
	s_wait_alu 0xfffd
	s_delay_alu instid0(VALU_DEP_1)
	v_dual_cndmask_b32 v6, v25, v6 :: v_dual_cndmask_b32 v5, v8, v5
	v_cmp_gt_u32_e32 vcc_lo, v90, v26
	ds_bpermute_b32 v25, v89, v6
	ds_bpermute_b32 v8, v89, v5
	s_wait_dscnt 0x1
	v_add_nc_u32_e32 v25, v6, v25
	s_wait_dscnt 0x0
	v_add_nc_u32_e32 v8, v5, v8
	s_wait_alu 0xfffd
	s_delay_alu instid0(VALU_DEP_1)
	v_dual_cndmask_b32 v6, v25, v6 :: v_dual_cndmask_b32 v5, v8, v5
	v_cmp_le_u32_e32 vcc_lo, v92, v26
	ds_bpermute_b32 v25, v91, v6
	ds_bpermute_b32 v8, v91, v5
	s_wait_dscnt 0x0
	s_wait_alu 0xfffd
	v_dual_cndmask_b32 v25, 0, v25 :: v_dual_cndmask_b32 v8, 0, v8
	s_delay_alu instid0(VALU_DEP_1) | instskip(NEXT) | instid1(VALU_DEP_2)
	v_add3_u32 v6, v6, v4, v25
	v_add3_u32 v5, v5, v3, v8
.LBB334_126:                            ;   in Loop: Header=BB334_127 Depth=1
	s_wait_alu 0xfffe
	s_and_b32 vcc_lo, exec_lo, s6
	s_wait_alu 0xfffe
	s_cbranch_vccnz .LBB334_132
.LBB334_127:                            ; =>This Loop Header: Depth=1
                                        ;     Child Loop BB334_130 Depth 2
	v_and_b32_e32 v3, 0xff, v7
	s_mov_b32 s6, -1
                                        ; implicit-def: $vgpr7
	s_delay_alu instid0(VALU_DEP_1)
	v_cmp_ne_u16_e32 vcc_lo, 2, v3
	v_dual_mov_b32 v3, v5 :: v_dual_mov_b32 v4, v6
                                        ; implicit-def: $vgpr5_vgpr6
	s_cmp_lg_u32 vcc_lo, exec_lo
	s_cbranch_scc1 .LBB334_126
; %bb.128:                              ;   in Loop: Header=BB334_127 Depth=1
	v_lshlrev_b64_e32 v[5:6], 4, v[23:24]
	s_mov_b32 s6, exec_lo
	s_delay_alu instid0(VALU_DEP_1) | instskip(SKIP_1) | instid1(VALU_DEP_2)
	v_add_co_u32 v25, vcc_lo, s4, v5
	s_wait_alu 0xfffd
	v_add_co_ci_u32_e64 v26, null, s5, v6, vcc_lo
	;;#ASMSTART
	global_load_b128 v[5:8], v[25:26] off scope:SCOPE_DEV	
s_wait_loadcnt 0x0
	;;#ASMEND
	v_and_b32_e32 v8, 0xff, v7
	s_delay_alu instid0(VALU_DEP_1)
	v_cmpx_eq_u16_e32 0, v8
	s_cbranch_execz .LBB334_125
; %bb.129:                              ;   in Loop: Header=BB334_127 Depth=1
	s_mov_b32 s7, 0
.LBB334_130:                            ;   Parent Loop BB334_127 Depth=1
                                        ; =>  This Inner Loop Header: Depth=2
	;;#ASMSTART
	global_load_b128 v[5:8], v[25:26] off scope:SCOPE_DEV	
s_wait_loadcnt 0x0
	;;#ASMEND
	v_and_b32_e32 v8, 0xff, v7
	s_delay_alu instid0(VALU_DEP_1)
	v_cmp_ne_u16_e32 vcc_lo, 0, v8
	s_wait_alu 0xfffe
	s_or_b32 s7, vcc_lo, s7
	s_wait_alu 0xfffe
	s_and_not1_b32 exec_lo, exec_lo, s7
	s_cbranch_execnz .LBB334_130
	s_branch .LBB334_124
.LBB334_131:
                                        ; implicit-def: $vgpr81
                                        ; implicit-def: $vgpr3
                                        ; implicit-def: $vgpr82
	s_wait_alu 0xfffe
	s_and_b32 vcc_lo, exec_lo, s3
	s_wait_alu 0xfffe
	s_cbranch_vccnz .LBB334_137
	s_branch .LBB334_146
.LBB334_132:
	s_and_saveexec_b32 s6, s2
	s_cbranch_execnz .LBB334_374
; %bb.133:
	s_wait_alu 0xfffe
	s_or_b32 exec_lo, exec_lo, s6
	s_and_saveexec_b32 s6, s2
	s_cbranch_execnz .LBB334_375
.LBB334_134:
	s_wait_alu 0xfffe
	s_or_b32 exec_lo, exec_lo, s6
	v_cmp_eq_u32_e32 vcc_lo, 0, v0
	s_and_b32 exec_lo, exec_lo, vcc_lo
.LBB334_135:
	v_mov_b32_e32 v1, 0
	ds_store_b64 v1, v[3:4] offset:56
.LBB334_136:
	s_wait_alu 0xfffe
	s_or_b32 exec_lo, exec_lo, s3
	s_wait_dscnt 0x0
	v_cndmask_b32_e64 v8, v82, v22, s2
	v_mov_b32_e32 v1, 0
	s_wait_loadcnt 0x0
	s_barrier_signal -1
	s_barrier_wait -1
	global_inv scope:SCOPE_SE
	ds_load_b64 v[5:6], v1 offset:56
	s_wait_loadcnt_dscnt 0x0
	s_barrier_signal -1
	s_barrier_wait -1
	global_inv scope:SCOPE_SE
	v_cndmask_b32_e64 v7, v81, v21, s2
	v_cmp_eq_u32_e32 vcc_lo, 0, v0
	v_add_nc_u32_e32 v8, v6, v8
	ds_load_b128 v[1:4], v1 offset:13312
	v_add_nc_u32_e32 v7, v5, v7
	s_wait_alu 0xfffd
	s_delay_alu instid0(VALU_DEP_1)
	v_dual_cndmask_b32 v81, v8, v6 :: v_dual_cndmask_b32 v82, v7, v5
	s_branch .LBB334_146
.LBB334_137:
	s_wait_dscnt 0x0
	v_mov_b32_dpp v2, v80 row_shr:1 row_mask:0xf bank_mask:0xf
	v_cmp_lt_u32_e32 vcc_lo, 3, v76
	v_mov_b32_dpp v1, v79 row_shr:1 row_mask:0xf bank_mask:0xf
	s_delay_alu instid0(VALU_DEP_3) | instskip(NEXT) | instid1(VALU_DEP_1)
	v_add_nc_u32_e32 v2, v2, v80
	v_cndmask_b32_e64 v2, v2, v80, s1
	s_delay_alu instid0(VALU_DEP_1) | instskip(NEXT) | instid1(VALU_DEP_1)
	v_mov_b32_dpp v4, v2 row_shr:2 row_mask:0xf bank_mask:0xf
	v_add_nc_u32_e32 v4, v2, v4
	s_delay_alu instid0(VALU_DEP_1) | instskip(NEXT) | instid1(VALU_DEP_1)
	v_cndmask_b32_e64 v2, v2, v4, s0
	v_mov_b32_dpp v4, v2 row_shr:4 row_mask:0xf bank_mask:0xf
	s_delay_alu instid0(VALU_DEP_1) | instskip(SKIP_1) | instid1(VALU_DEP_1)
	v_add_nc_u32_e32 v4, v2, v4
	s_wait_alu 0xfffd
	v_dual_cndmask_b32 v2, v2, v4 :: v_dual_add_nc_u32 v1, v1, v79
	s_delay_alu instid0(VALU_DEP_1) | instskip(SKIP_1) | instid1(VALU_DEP_2)
	v_cndmask_b32_e64 v1, v1, v79, s1
	s_mov_b32 s1, exec_lo
	v_mov_b32_dpp v4, v2 row_shr:8 row_mask:0xf bank_mask:0xf
	s_delay_alu instid0(VALU_DEP_2) | instskip(NEXT) | instid1(VALU_DEP_1)
	v_mov_b32_dpp v3, v1 row_shr:2 row_mask:0xf bank_mask:0xf
	v_add_nc_u32_e32 v3, v1, v3
	s_delay_alu instid0(VALU_DEP_1) | instskip(NEXT) | instid1(VALU_DEP_1)
	v_cndmask_b32_e64 v1, v1, v3, s0
	v_mov_b32_dpp v3, v1 row_shr:4 row_mask:0xf bank_mask:0xf
	s_delay_alu instid0(VALU_DEP_1) | instskip(NEXT) | instid1(VALU_DEP_1)
	v_add_nc_u32_e32 v3, v1, v3
	v_cndmask_b32_e32 v3, v1, v3, vcc_lo
	v_cmp_lt_u32_e32 vcc_lo, 7, v76
	s_delay_alu instid0(VALU_DEP_2) | instskip(NEXT) | instid1(VALU_DEP_1)
	v_mov_b32_dpp v1, v3 row_shr:8 row_mask:0xf bank_mask:0xf
	v_add_nc_u32_e32 v5, v3, v1
	v_add_nc_u32_e32 v1, v2, v4
	s_wait_alu 0xfffd
	s_delay_alu instid0(VALU_DEP_1) | instskip(NEXT) | instid1(VALU_DEP_3)
	v_cndmask_b32_e32 v1, v2, v1, vcc_lo
	v_cndmask_b32_e32 v2, v3, v5, vcc_lo
	v_cmp_eq_u32_e32 vcc_lo, 0, v78
	ds_swizzle_b32 v3, v1 offset:swizzle(BROADCAST,32,15)
	ds_swizzle_b32 v4, v2 offset:swizzle(BROADCAST,32,15)
	s_wait_dscnt 0x1
	v_add_nc_u32_e32 v3, v1, v3
	s_wait_dscnt 0x0
	v_add_nc_u32_e32 v4, v2, v4
	v_cmpx_eq_u32_e64 v0, v77
; %bb.138:
	s_wait_alu 0xfffd
	s_delay_alu instid0(VALU_DEP_2)
	v_dual_cndmask_b32 v5, v4, v2 :: v_dual_cndmask_b32 v6, v3, v1
	v_lshlrev_b32_e32 v7, 3, v75
	ds_store_b64 v7, v[5:6]
; %bb.139:
	s_wait_alu 0xfffe
	s_or_b32 exec_lo, exec_lo, s1
	s_delay_alu instid0(SALU_CYCLE_1)
	s_mov_b32 s1, exec_lo
	s_wait_loadcnt_dscnt 0x0
	s_barrier_signal -1
	s_barrier_wait -1
	global_inv scope:SCOPE_SE
	v_cmpx_gt_u32_e32 8, v0
	s_cbranch_execz .LBB334_141
; %bb.140:
	v_lshlrev_b32_e32 v7, 3, v0
	v_and_b32_e32 v22, 7, v74
	ds_load_b64 v[5:6], v7
	v_cmp_eq_u32_e64 s0, 0, v22
	s_wait_dscnt 0x0
	v_mov_b32_dpp v8, v5 row_shr:1 row_mask:0xf bank_mask:0xf
	v_mov_b32_dpp v21, v6 row_shr:1 row_mask:0xf bank_mask:0xf
	s_delay_alu instid0(VALU_DEP_2) | instskip(NEXT) | instid1(VALU_DEP_2)
	v_add_nc_u32_e32 v8, v8, v5
	v_add_nc_u32_e32 v21, v21, v6
	s_wait_alu 0xf1ff
	s_delay_alu instid0(VALU_DEP_2) | instskip(NEXT) | instid1(VALU_DEP_2)
	v_cndmask_b32_e64 v5, v8, v5, s0
	v_cndmask_b32_e64 v6, v21, v6, s0
	v_cmp_lt_u32_e64 s0, 1, v22
	s_delay_alu instid0(VALU_DEP_3) | instskip(NEXT) | instid1(VALU_DEP_3)
	v_mov_b32_dpp v8, v5 row_shr:2 row_mask:0xf bank_mask:0xf
	v_mov_b32_dpp v21, v6 row_shr:2 row_mask:0xf bank_mask:0xf
	s_delay_alu instid0(VALU_DEP_2) | instskip(NEXT) | instid1(VALU_DEP_2)
	v_add_nc_u32_e32 v8, v5, v8
	v_add_nc_u32_e32 v21, v6, v21
	s_wait_alu 0xf1ff
	s_delay_alu instid0(VALU_DEP_2) | instskip(NEXT) | instid1(VALU_DEP_2)
	v_cndmask_b32_e64 v5, v5, v8, s0
	v_cndmask_b32_e64 v6, v6, v21, s0
	v_cmp_lt_u32_e64 s0, 3, v22
	s_delay_alu instid0(VALU_DEP_3) | instskip(NEXT) | instid1(VALU_DEP_3)
	v_mov_b32_dpp v8, v5 row_shr:4 row_mask:0xf bank_mask:0xf
	v_mov_b32_dpp v21, v6 row_shr:4 row_mask:0xf bank_mask:0xf
	s_wait_alu 0xf1ff
	s_delay_alu instid0(VALU_DEP_2) | instskip(NEXT) | instid1(VALU_DEP_2)
	v_cndmask_b32_e64 v8, 0, v8, s0
	v_cndmask_b32_e64 v21, 0, v21, s0
	s_delay_alu instid0(VALU_DEP_2) | instskip(NEXT) | instid1(VALU_DEP_2)
	v_add_nc_u32_e32 v5, v8, v5
	v_add_nc_u32_e32 v6, v21, v6
	ds_store_b64 v7, v[5:6]
.LBB334_141:
	s_wait_alu 0xfffe
	s_or_b32 exec_lo, exec_lo, s1
	v_dual_mov_b32 v7, 0 :: v_dual_mov_b32 v6, 0
	v_mov_b32_e32 v5, 0
	s_mov_b32 s1, exec_lo
	s_wait_loadcnt_dscnt 0x0
	s_barrier_signal -1
	s_barrier_wait -1
	global_inv scope:SCOPE_SE
	v_cmpx_lt_u32_e32 31, v0
; %bb.142:
	v_lshl_add_u32 v5, v75, 3, -8
	ds_load_b64 v[5:6], v5
; %bb.143:
	s_wait_alu 0xfffe
	s_or_b32 exec_lo, exec_lo, s1
	v_sub_co_u32 v8, s0, v74, 1
	v_dual_cndmask_b32 v2, v4, v2 :: v_dual_cndmask_b32 v1, v3, v1
	v_cmp_eq_u32_e32 vcc_lo, 0, v0
	s_delay_alu instid0(VALU_DEP_3) | instskip(SKIP_1) | instid1(VALU_DEP_3)
	v_cmp_gt_i32_e64 s1, 0, v8
	s_wait_dscnt 0x0
	v_add_nc_u32_e32 v2, v5, v2
	v_add_nc_u32_e32 v1, v6, v1
	s_wait_alu 0xf1ff
	v_cndmask_b32_e64 v4, v8, v74, s1
	s_delay_alu instid0(VALU_DEP_1)
	v_lshlrev_b32_e32 v3, 2, v4
	ds_bpermute_b32 v8, v3, v2
	ds_bpermute_b32 v21, v3, v1
	ds_load_b64 v[1:2], v7 offset:56
	s_and_saveexec_b32 s1, vcc_lo
	s_cbranch_execz .LBB334_145
; %bb.144:
	s_wait_kmcnt 0x0
	s_add_nc_u64 s[2:3], s[4:5], 0x200
	v_dual_mov_b32 v3, 2 :: v_dual_mov_b32 v4, 0
	s_wait_alu 0xfffe
	v_dual_mov_b32 v23, s3 :: v_dual_mov_b32 v22, s2
	s_wait_dscnt 0x0
	;;#ASMSTART
	global_store_b128 v[22:23], v[1:4] off scope:SCOPE_DEV	
s_wait_storecnt 0x0
	;;#ASMEND
.LBB334_145:
	s_wait_alu 0xfffe
	s_or_b32 exec_lo, exec_lo, s1
	s_wait_dscnt 0x1
	v_cndmask_b32_e64 v3, v21, v6, s0
	v_cndmask_b32_e64 v5, v8, v5, s0
	v_mov_b32_e32 v4, 0
	s_wait_loadcnt_dscnt 0x0
	s_barrier_signal -1
	v_cndmask_b32_e64 v81, v3, 0, vcc_lo
	v_cndmask_b32_e64 v82, v5, 0, vcc_lo
	v_mov_b32_e32 v3, 0
	s_barrier_wait -1
	global_inv scope:SCOPE_SE
.LBB334_146:
	v_lshrrev_b32_e32 v77, 8, v49
	s_delay_alu instid0(VALU_DEP_2)
	v_add_nc_u32_e32 v73, v81, v73
	s_wait_dscnt 0x0
	v_sub_nc_u32_e32 v81, v81, v4
	v_lshlrev_b32_e32 v84, 1, v1
	v_lshrrev_b32_e32 v75, 16, v49
	v_and_b32_e32 v77, 1, v77
	v_add_nc_u32_e32 v71, v73, v71
	v_add_nc_u32_e32 v81, v81, v1
	v_add3_u32 v87, v84, v2, v41
	v_and_b32_e32 v75, 1, v75
	v_cmp_eq_u32_e32 vcc_lo, 1, v77
	v_add_nc_u32_e32 v72, v82, v72
	v_sub_nc_u32_e32 v82, v82, v3
	v_sub_nc_u32_e32 v73, v73, v4
	v_lshrrev_b32_e32 v76, 8, v42
	v_lshrrev_b32_e32 v74, 16, v42
	v_and_b32_e32 v42, 1, v42
	v_add_nc_u32_e32 v41, v82, v81
	v_add_nc_u32_e32 v73, v73, v1
	v_and_b32_e32 v76, 1, v76
	s_wait_kmcnt 0x0
	v_add_co_u32 v5, s0, s28, v3
	v_sub_nc_u32_e32 v41, v87, v41
	s_wait_alu 0xf1ff
	v_add_co_ci_u32_e64 v6, null, s29, 0, s0
	v_sub_co_u32 v80, s0, s30, v1
	s_wait_alu 0xfffd
	v_cndmask_b32_e32 v41, v41, v81, vcc_lo
	v_cmp_eq_u32_e32 vcc_lo, 1, v75
	v_add_nc_u32_e32 v78, v71, v55
	v_sub_nc_u32_e32 v71, v71, v4
	s_wait_alu 0xf1ff
	v_sub_co_ci_u32_e64 v83, null, s31, 0, s0
	v_and_b32_e32 v55, 1, v55
	v_and_b32_e32 v74, 1, v74
	v_add_nc_u32_e32 v71, v71, v1
	v_add_nc_u32_e32 v70, v72, v70
	v_sub_nc_u32_e32 v72, v72, v3
	v_lshrrev_b32_e32 v26, 8, v43
	v_lshrrev_b32_e32 v25, 16, v43
	v_and_b32_e32 v43, 1, v43
	v_lshrrev_b32_e32 v23, 16, v44
	v_add_nc_u32_e32 v88, v73, v72
	v_and_b32_e32 v26, 1, v26
	v_lshrrev_b32_e32 v24, 8, v44
	v_and_b32_e32 v44, 1, v44
	v_lshrrev_b32_e32 v8, 16, v46
	v_sub_nc_u32_e32 v88, v87, v88
	v_lshrrev_b32_e32 v22, 8, v46
	v_and_b32_e32 v24, 1, v24
	v_lshrrev_b32_e32 v21, 8, v47
	v_and_b32_e32 v8, 1, v8
	v_add_nc_u32_e32 v88, 1, v88
	v_and_b32_e32 v22, 1, v22
	v_lshrrev_b32_e32 v7, 16, v47
	s_mov_b32 s41, 0
	s_wait_alu 0xfffd
	v_cndmask_b32_e32 v73, v88, v73, vcc_lo
	v_cmp_eq_u32_e32 vcc_lo, 1, v42
	v_add_nc_u32_e32 v68, v78, v68
	v_and_b32_e32 v7, 1, v7
	s_wait_alu 0xfffd
	v_cndmask_b32_e32 v81, v41, v82, vcc_lo
	v_cmp_eq_u32_e32 vcc_lo, 1, v76
	v_add_nc_u32_e32 v69, v70, v69
	v_sub_nc_u32_e32 v70, v70, v3
	v_sub_nc_u32_e32 v76, v78, v4
	s_wait_alu 0xfffd
	v_dual_cndmask_b32 v72, v73, v72 :: v_dual_add_nc_u32 v67, v68, v67
	v_add_co_u32 v41, vcc_lo, v80, v4
	v_add_nc_u32_e32 v75, v71, v70
	s_wait_alu 0xfffd
	v_add_co_ci_u32_e64 v42, null, 0, v83, vcc_lo
	v_cmp_eq_u32_e32 vcc_lo, 1, v55
	v_add_nc_u32_e32 v79, v69, v54
	v_sub_nc_u32_e32 v73, v87, v75
	v_sub_nc_u32_e32 v69, v69, v3
	;; [unrolled: 1-line block ×3, first 2 shown]
	v_lshlrev_b32_e32 v75, 2, v81
	v_lshlrev_b32_e32 v72, 2, v72
	v_add_nc_u32_e32 v73, 2, v73
	ds_store_b32 v75, v19
	ds_store_b32 v72, v20
	s_wait_alu 0xfffd
	v_dual_cndmask_b32 v55, v73, v71 :: v_dual_add_nc_u32 v68, v68, v1
	v_add_nc_u32_e32 v71, v76, v1
	v_cmp_eq_u32_e32 vcc_lo, 1, v74
	v_and_b32_e32 v54, 1, v54
	s_delay_alu instid0(VALU_DEP_3) | instskip(SKIP_4) | instid1(VALU_DEP_3)
	v_add_nc_u32_e32 v73, v69, v71
	s_wait_alu 0xfffd
	v_cndmask_b32_e32 v55, v55, v70, vcc_lo
	v_sub_nc_u32_e32 v70, v79, v3
	v_cmp_eq_u32_e32 vcc_lo, 1, v43
	v_lshlrev_b32_e32 v19, 2, v55
	s_delay_alu instid0(VALU_DEP_3)
	v_add_nc_u32_e32 v20, v70, v68
	v_sub_nc_u32_e32 v55, v87, v73
	ds_store_b32 v19, v17
	v_sub_nc_u32_e32 v20, v87, v20
	v_add_nc_u32_e32 v55, 3, v55
	v_and_b32_e32 v19, 1, v25
	s_wait_alu 0xfffd
	s_delay_alu instid0(VALU_DEP_2) | instskip(SKIP_2) | instid1(VALU_DEP_2)
	v_dual_cndmask_b32 v43, v55, v71 :: v_dual_add_nc_u32 v20, 4, v20
	v_cmp_eq_u32_e32 vcc_lo, 1, v26
	s_wait_alu 0xfffd
	v_cndmask_b32_e32 v20, v20, v68, vcc_lo
	v_cmp_eq_u32_e32 vcc_lo, 1, v54
	s_wait_alu 0xfffd
	v_cndmask_b32_e32 v26, v43, v69, vcc_lo
	v_cmp_eq_u32_e32 vcc_lo, 1, v44
	v_add_nc_u32_e32 v65, v67, v65
	v_sub_nc_u32_e32 v67, v67, v4
	s_delay_alu instid0(VALU_DEP_4)
	v_lshlrev_b32_e32 v17, 2, v26
	s_wait_alu 0xfffd
	v_cndmask_b32_e32 v20, v20, v70, vcc_lo
	v_cmp_eq_u32_e32 vcc_lo, 1, v19
	v_add_nc_u32_e32 v67, v67, v1
	v_add_nc_u32_e32 v66, v79, v66
	;; [unrolled: 1-line block ×3, first 2 shown]
	v_sub_nc_u32_e32 v26, v65, v4
	v_lshlrev_b32_e32 v20, 2, v20
	ds_store_b32 v17, v18
	ds_store_b32 v20, v15
	v_add_nc_u32_e32 v64, v66, v64
	v_sub_nc_u32_e32 v66, v66, v3
	v_add_nc_u32_e32 v26, v26, v1
	v_add_nc_u32_e32 v63, v85, v63
	v_and_b32_e32 v20, 1, v53
	s_delay_alu instid0(VALU_DEP_4) | instskip(NEXT) | instid1(VALU_DEP_1)
	v_add_nc_u32_e32 v55, v66, v67
	v_sub_nc_u32_e32 v43, v87, v55
	s_delay_alu instid0(VALU_DEP_1) | instskip(SKIP_2) | instid1(VALU_DEP_2)
	v_add_nc_u32_e32 v25, 5, v43
	v_sub_nc_u32_e32 v43, v85, v4
	s_wait_alu 0xfffd
	v_cndmask_b32_e32 v19, v25, v67, vcc_lo
	v_cmp_eq_u32_e32 vcc_lo, 1, v24
	s_delay_alu instid0(VALU_DEP_3) | instskip(SKIP_1) | instid1(VALU_DEP_3)
	v_add_nc_u32_e32 v43, v43, v1
	s_wait_alu 0xfffd
	v_cndmask_b32_e32 v19, v19, v66, vcc_lo
	v_add_nc_u32_e32 v59, v64, v59
	v_sub_nc_u32_e32 v25, v64, v3
	v_cmp_eq_u32_e32 vcc_lo, 1, v20
	v_and_b32_e32 v20, 1, v52
	v_lshlrev_b32_e32 v15, 2, v19
	v_sub_nc_u32_e32 v24, v59, v3
	v_add_nc_u32_e32 v44, v25, v26
	v_add_nc_u32_e32 v86, v59, v52
	v_and_b32_e32 v19, 1, v23
	v_sub_nc_u32_e32 v23, v63, v4
	v_add_nc_u32_e32 v17, v24, v43
	v_sub_nc_u32_e32 v18, v87, v44
	v_and_b32_e32 v44, 1, v46
	v_sub_nc_u32_e32 v46, v86, v3
	v_add_nc_u32_e32 v23, v23, v1
	v_sub_nc_u32_e32 v17, v87, v17
	v_add_nc_u32_e32 v18, 6, v18
	v_add_nc_u32_e32 v61, v86, v61
	s_wait_alu 0xfffd
	s_delay_alu instid0(VALU_DEP_2)
	v_dual_cndmask_b32 v18, v18, v26 :: v_dual_add_nc_u32 v17, 7, v17
	v_cmp_eq_u32_e32 vcc_lo, 1, v44
	v_add_nc_u32_e32 v26, v46, v23
	v_add_nc_u32_e32 v58, v61, v58
	s_wait_alu 0xfffd
	v_cndmask_b32_e32 v17, v17, v43, vcc_lo
	v_cmp_eq_u32_e32 vcc_lo, 1, v19
	v_sub_nc_u32_e32 v19, v87, v26
	s_wait_alu 0xfffd
	v_cndmask_b32_e32 v18, v18, v25, vcc_lo
	v_cmp_eq_u32_e32 vcc_lo, 1, v20
	v_add_nc_u32_e32 v62, v63, v62
	v_add_nc_u32_e32 v19, 8, v19
	v_sub_nc_u32_e32 v25, v61, v3
	s_wait_alu 0xfffd
	v_dual_cndmask_b32 v17, v17, v24 :: v_dual_lshlrev_b32 v18, 2, v18
	v_sub_nc_u32_e32 v20, v62, v4
	v_and_b32_e32 v24, 1, v47
	v_cmp_eq_u32_e32 vcc_lo, 1, v22
	s_delay_alu instid0(VALU_DEP_4) | instskip(NEXT) | instid1(VALU_DEP_4)
	v_lshlrev_b32_e32 v17, 2, v17
	v_add_nc_u32_e32 v20, v20, v1
	ds_store_b32 v15, v16
	ds_store_b32 v18, v13
	;; [unrolled: 1-line block ×3, first 2 shown]
	s_wait_alu 0xfffd
	v_cndmask_b32_e32 v19, v19, v23, vcc_lo
	v_cmp_eq_u32_e32 vcc_lo, 1, v24
	v_add_nc_u32_e32 v60, v62, v60
	v_add_nc_u32_e32 v22, v25, v20
	v_sub_nc_u32_e32 v17, v58, v3
	v_and_b32_e32 v15, 1, v21
	s_wait_alu 0xfffd
	v_cndmask_b32_e32 v19, v19, v46, vcc_lo
	v_sub_nc_u32_e32 v16, v60, v4
	v_sub_nc_u32_e32 v13, v87, v22
	v_cmp_eq_u32_e32 vcc_lo, 1, v8
	v_add_nc_u32_e32 v89, v60, v51
	v_lshlrev_b32_e32 v14, 2, v19
	v_add_nc_u32_e32 v16, v16, v1
	v_add_nc_u32_e32 v13, 9, v13
	s_delay_alu instid0(VALU_DEP_4)
	v_sub_nc_u32_e32 v18, v89, v4
	ds_store_b32 v14, v11
	v_add_nc_u32_e32 v19, v17, v16
	s_wait_alu 0xfffd
	v_cndmask_b32_e32 v8, v13, v20, vcc_lo
	v_cmp_eq_u32_e32 vcc_lo, 1, v15
	v_and_b32_e32 v15, 1, v51
	v_and_b32_e32 v20, 1, v45
	v_sub_nc_u32_e32 v14, v87, v19
	v_add_nc_u32_e32 v18, v18, v1
	s_wait_alu 0xfffd
	v_cndmask_b32_e32 v8, v8, v25, vcc_lo
	v_cmp_eq_u32_e32 vcc_lo, 1, v15
	v_add_nc_u32_e32 v57, v89, v57
	v_add_nc_u32_e32 v14, 10, v14
	v_and_b32_e32 v15, 1, v50
	v_lshlrev_b32_e32 v8, 2, v8
	s_delay_alu instid0(VALU_DEP_4)
	v_sub_nc_u32_e32 v19, v57, v4
	s_wait_alu 0xfffd
	v_cndmask_b32_e32 v14, v14, v16, vcc_lo
	v_cmp_eq_u32_e32 vcc_lo, 1, v20
	v_add_nc_u32_e32 v56, v58, v56
	v_add_nc_u32_e32 v19, v19, v1
	s_delay_alu instid0(VALU_DEP_2) | instskip(NEXT) | instid1(VALU_DEP_1)
	v_sub_nc_u32_e32 v13, v56, v3
	v_add_nc_u32_e32 v11, v13, v18
	s_delay_alu instid0(VALU_DEP_1) | instskip(NEXT) | instid1(VALU_DEP_1)
	v_sub_nc_u32_e32 v11, v87, v11
	v_add_nc_u32_e32 v11, 11, v11
	s_wait_alu 0xfffd
	s_delay_alu instid0(VALU_DEP_1) | instskip(SKIP_2) | instid1(VALU_DEP_2)
	v_cndmask_b32_e32 v11, v11, v18, vcc_lo
	v_add_nc_u32_e32 v77, v56, v50
	v_cmp_eq_u32_e32 vcc_lo, 1, v7
	v_sub_nc_u32_e32 v3, v77, v3
	s_wait_alu 0xfffd
	v_cndmask_b32_e32 v7, v14, v17, vcc_lo
	v_cmp_eq_u32_e32 vcc_lo, 1, v15
	v_and_b32_e32 v15, 1, v49
	v_add_nc_u32_e32 v16, v3, v19
	s_delay_alu instid0(VALU_DEP_4) | instskip(SKIP_4) | instid1(VALU_DEP_3)
	v_lshlrev_b32_e32 v7, 2, v7
	s_wait_alu 0xfffd
	v_cndmask_b32_e32 v11, v11, v13, vcc_lo
	v_and_b32_e32 v13, 1, v48
	v_sub_nc_u32_e32 v14, v87, v16
	v_lshlrev_b32_e32 v11, 2, v11
	s_delay_alu instid0(VALU_DEP_3)
	v_cmp_eq_u32_e32 vcc_lo, 1, v13
	ds_store_b32 v8, v12
	ds_store_b32 v7, v9
	;; [unrolled: 1-line block ×3, first 2 shown]
	v_add_nc_u32_e32 v14, 12, v14
	v_add_co_u32 v7, s0, v2, v84
	s_wait_alu 0xf1ff
	v_add_co_ci_u32_e64 v8, null, 0, 0, s0
	s_wait_alu 0xfffd
	v_cndmask_b32_e32 v13, v14, v19, vcc_lo
	v_cmp_eq_u32_e32 vcc_lo, 1, v15
	s_wait_alu 0xfffe
	s_add_nc_u64 s[0:1], s[34:35], s[40:41]
	v_lshlrev_b64_e32 v[9:10], 2, v[5:6]
	v_add_nc_u32_e32 v12, v1, v2
	s_wait_alu 0xfffd
	v_cndmask_b32_e32 v3, v13, v3, vcc_lo
	v_add_co_u32 v7, vcc_lo, v7, v41
	s_wait_alu 0xfffd
	v_add_co_ci_u32_e64 v8, null, v8, v42, vcc_lo
	s_delay_alu instid0(VALU_DEP_3)
	v_lshlrev_b32_e32 v3, 2, v3
	ds_store_b32 v3, v40
	v_add_co_u32 v3, vcc_lo, v7, v5
	s_wait_alu 0xfffd
	v_add_co_ci_u32_e64 v7, null, v8, v6, vcc_lo
	s_wait_loadcnt_dscnt 0x0
	s_wait_alu 0xfffe
	v_sub_co_u32 v3, vcc_lo, s0, v3
	s_wait_alu 0xfffd
	v_sub_co_ci_u32_e64 v11, null, s1, v7, vcc_lo
	v_lshlrev_b64_e32 v[7:8], 2, v[41:42]
	v_add_co_u32 v9, s0, s36, v9
	s_wait_alu 0xf1ff
	v_add_co_ci_u32_e64 v10, null, s37, v10, s0
	s_mov_b32 s0, -1
	v_add_co_u32 v7, vcc_lo, s38, v7
	s_wait_alu 0xfffd
	v_add_co_ci_u32_e64 v8, null, s39, v8, vcc_lo
	v_cmp_ne_u32_e32 vcc_lo, 1, v39
	s_barrier_signal -1
	s_barrier_wait -1
	global_inv scope:SCOPE_SE
	s_cbranch_vccz .LBB334_150
; %bb.147:
	s_wait_alu 0xfffe
	s_and_b32 vcc_lo, exec_lo, s0
	s_wait_alu 0xfffe
	s_cbranch_vccnz .LBB334_255
.LBB334_148:
	v_cmp_eq_u32_e32 vcc_lo, 0, v0
	s_and_b32 s0, vcc_lo, s15
	s_wait_alu 0xfffe
	s_and_saveexec_b32 s1, s0
	s_cbranch_execnz .LBB334_373
.LBB334_149:
	s_endpgm
.LBB334_150:
	s_mov_b32 s0, exec_lo
	v_cmpx_ge_u32_e64 v0, v1
	s_wait_alu 0xfffe
	s_xor_b32 s0, exec_lo, s0
	s_cbranch_execz .LBB334_156
; %bb.151:
	s_mov_b32 s1, exec_lo
	v_cmpx_ge_u32_e64 v0, v12
	s_wait_alu 0xfffe
	s_xor_b32 s1, exec_lo, s1
	s_cbranch_execz .LBB334_153
; %bb.152:
	v_lshlrev_b32_e32 v13, 2, v0
	ds_load_b32 v15, v13
	v_add_co_u32 v13, vcc_lo, v3, v0
	s_wait_alu 0xfffd
	v_add_co_ci_u32_e64 v14, null, 0, v11, vcc_lo
	s_delay_alu instid0(VALU_DEP_1) | instskip(NEXT) | instid1(VALU_DEP_1)
	v_lshlrev_b64_e32 v[13:14], 2, v[13:14]
	v_sub_co_u32 v13, vcc_lo, s26, v13
	s_wait_alu 0xfffd
	s_delay_alu instid0(VALU_DEP_2)
	v_sub_co_ci_u32_e64 v14, null, s27, v14, vcc_lo
	s_wait_dscnt 0x0
	global_store_b32 v[13:14], v15, off offset:-4
.LBB334_153:
	s_wait_alu 0xfffe
	s_and_not1_saveexec_b32 s1, s1
	s_cbranch_execz .LBB334_155
; %bb.154:
	v_lshlrev_b32_e32 v13, 2, v0
	v_readfirstlane_b32 s2, v7
	v_readfirstlane_b32 s3, v8
	ds_load_b32 v14, v13
	s_wait_dscnt 0x0
	global_store_b32 v13, v14, s[2:3]
.LBB334_155:
	s_wait_alu 0xfffe
	s_or_b32 exec_lo, exec_lo, s1
.LBB334_156:
	s_wait_alu 0xfffe
	s_and_not1_saveexec_b32 s0, s0
	s_cbranch_execz .LBB334_158
; %bb.157:
	v_lshlrev_b32_e32 v13, 2, v0
	v_readfirstlane_b32 s2, v9
	v_readfirstlane_b32 s3, v10
	ds_load_b32 v14, v13
	s_wait_dscnt 0x0
	global_store_b32 v13, v14, s[2:3]
.LBB334_158:
	s_wait_alu 0xfffe
	s_or_b32 exec_lo, exec_lo, s0
	s_delay_alu instid0(SALU_CYCLE_1)
	s_mov_b32 s0, exec_lo
	v_cmpx_ge_u32_e64 v38, v1
	s_wait_alu 0xfffe
	s_xor_b32 s0, exec_lo, s0
	s_cbranch_execz .LBB334_164
; %bb.159:
	s_mov_b32 s1, exec_lo
	v_cmpx_ge_u32_e64 v38, v12
	s_wait_alu 0xfffe
	s_xor_b32 s1, exec_lo, s1
	s_cbranch_execz .LBB334_161
; %bb.160:
	v_lshlrev_b32_e32 v13, 2, v0
	ds_load_b32 v15, v13 offset:1024
	v_add_co_u32 v13, vcc_lo, v3, v0
	s_wait_alu 0xfffd
	v_add_co_ci_u32_e64 v14, null, 0, v11, vcc_lo
	s_delay_alu instid0(VALU_DEP_1) | instskip(NEXT) | instid1(VALU_DEP_1)
	v_lshlrev_b64_e32 v[13:14], 2, v[13:14]
	v_sub_co_u32 v13, vcc_lo, s26, v13
	s_wait_alu 0xfffd
	s_delay_alu instid0(VALU_DEP_2)
	v_sub_co_ci_u32_e64 v14, null, s27, v14, vcc_lo
	s_wait_dscnt 0x0
	global_store_b32 v[13:14], v15, off offset:-1028
.LBB334_161:
	s_wait_alu 0xfffe
	s_and_not1_saveexec_b32 s1, s1
	s_cbranch_execz .LBB334_163
; %bb.162:
	v_lshlrev_b32_e32 v13, 2, v0
	v_readfirstlane_b32 s2, v7
	v_readfirstlane_b32 s3, v8
	ds_load_b32 v14, v13 offset:1024
	s_wait_dscnt 0x0
	global_store_b32 v13, v14, s[2:3] offset:1024
.LBB334_163:
	s_wait_alu 0xfffe
	s_or_b32 exec_lo, exec_lo, s1
.LBB334_164:
	s_wait_alu 0xfffe
	s_and_not1_saveexec_b32 s0, s0
	s_cbranch_execz .LBB334_166
; %bb.165:
	v_lshlrev_b32_e32 v13, 2, v0
	v_readfirstlane_b32 s2, v9
	v_readfirstlane_b32 s3, v10
	ds_load_b32 v14, v13 offset:1024
	s_wait_dscnt 0x0
	global_store_b32 v13, v14, s[2:3] offset:1024
.LBB334_166:
	s_wait_alu 0xfffe
	s_or_b32 exec_lo, exec_lo, s0
	s_delay_alu instid0(SALU_CYCLE_1)
	s_mov_b32 s0, exec_lo
	v_cmpx_ge_u32_e64 v37, v1
	s_wait_alu 0xfffe
	s_xor_b32 s0, exec_lo, s0
	s_cbranch_execz .LBB334_172
; %bb.167:
	s_mov_b32 s1, exec_lo
	v_cmpx_ge_u32_e64 v37, v12
	s_wait_alu 0xfffe
	s_xor_b32 s1, exec_lo, s1
	s_cbranch_execz .LBB334_169
; %bb.168:
	v_lshlrev_b32_e32 v13, 2, v0
	ds_load_b32 v15, v13 offset:2048
	v_add_co_u32 v13, vcc_lo, v3, v0
	s_wait_alu 0xfffd
	v_add_co_ci_u32_e64 v14, null, 0, v11, vcc_lo
	s_delay_alu instid0(VALU_DEP_1) | instskip(NEXT) | instid1(VALU_DEP_1)
	v_lshlrev_b64_e32 v[13:14], 2, v[13:14]
	v_sub_co_u32 v13, vcc_lo, s26, v13
	s_wait_alu 0xfffd
	s_delay_alu instid0(VALU_DEP_2)
	v_sub_co_ci_u32_e64 v14, null, s27, v14, vcc_lo
	s_wait_dscnt 0x0
	global_store_b32 v[13:14], v15, off offset:-2052
.LBB334_169:
	s_wait_alu 0xfffe
	s_and_not1_saveexec_b32 s1, s1
	s_cbranch_execz .LBB334_171
; %bb.170:
	v_lshlrev_b32_e32 v13, 2, v0
	v_readfirstlane_b32 s2, v7
	v_readfirstlane_b32 s3, v8
	ds_load_b32 v14, v13 offset:2048
	s_wait_dscnt 0x0
	global_store_b32 v13, v14, s[2:3] offset:2048
.LBB334_171:
	s_wait_alu 0xfffe
	s_or_b32 exec_lo, exec_lo, s1
.LBB334_172:
	s_wait_alu 0xfffe
	s_and_not1_saveexec_b32 s0, s0
	s_cbranch_execz .LBB334_174
; %bb.173:
	v_lshlrev_b32_e32 v13, 2, v0
	v_readfirstlane_b32 s2, v9
	v_readfirstlane_b32 s3, v10
	ds_load_b32 v14, v13 offset:2048
	s_wait_dscnt 0x0
	global_store_b32 v13, v14, s[2:3] offset:2048
.LBB334_174:
	s_wait_alu 0xfffe
	s_or_b32 exec_lo, exec_lo, s0
	s_delay_alu instid0(SALU_CYCLE_1)
	s_mov_b32 s0, exec_lo
	v_cmpx_ge_u32_e64 v36, v1
	s_wait_alu 0xfffe
	s_xor_b32 s0, exec_lo, s0
	s_cbranch_execz .LBB334_180
; %bb.175:
	s_mov_b32 s1, exec_lo
	v_cmpx_ge_u32_e64 v36, v12
	s_wait_alu 0xfffe
	s_xor_b32 s1, exec_lo, s1
	s_cbranch_execz .LBB334_177
; %bb.176:
	v_lshlrev_b32_e32 v13, 2, v0
	ds_load_b32 v15, v13 offset:3072
	v_add_co_u32 v13, vcc_lo, v3, v0
	s_wait_alu 0xfffd
	v_add_co_ci_u32_e64 v14, null, 0, v11, vcc_lo
	s_delay_alu instid0(VALU_DEP_1) | instskip(NEXT) | instid1(VALU_DEP_1)
	v_lshlrev_b64_e32 v[13:14], 2, v[13:14]
	v_sub_co_u32 v13, vcc_lo, s26, v13
	s_wait_alu 0xfffd
	s_delay_alu instid0(VALU_DEP_2)
	v_sub_co_ci_u32_e64 v14, null, s27, v14, vcc_lo
	s_wait_dscnt 0x0
	global_store_b32 v[13:14], v15, off offset:-3076
.LBB334_177:
	s_wait_alu 0xfffe
	s_and_not1_saveexec_b32 s1, s1
	s_cbranch_execz .LBB334_179
; %bb.178:
	v_lshlrev_b32_e32 v13, 2, v0
	v_readfirstlane_b32 s2, v7
	v_readfirstlane_b32 s3, v8
	ds_load_b32 v14, v13 offset:3072
	s_wait_dscnt 0x0
	global_store_b32 v13, v14, s[2:3] offset:3072
.LBB334_179:
	s_wait_alu 0xfffe
	s_or_b32 exec_lo, exec_lo, s1
.LBB334_180:
	s_wait_alu 0xfffe
	s_and_not1_saveexec_b32 s0, s0
	s_cbranch_execz .LBB334_182
; %bb.181:
	v_lshlrev_b32_e32 v13, 2, v0
	v_readfirstlane_b32 s2, v9
	v_readfirstlane_b32 s3, v10
	ds_load_b32 v14, v13 offset:3072
	s_wait_dscnt 0x0
	global_store_b32 v13, v14, s[2:3] offset:3072
.LBB334_182:
	s_wait_alu 0xfffe
	s_or_b32 exec_lo, exec_lo, s0
	s_delay_alu instid0(SALU_CYCLE_1)
	s_mov_b32 s0, exec_lo
	v_cmpx_ge_u32_e64 v35, v1
	s_wait_alu 0xfffe
	s_xor_b32 s0, exec_lo, s0
	s_cbranch_execz .LBB334_188
; %bb.183:
	s_mov_b32 s1, exec_lo
	v_cmpx_ge_u32_e64 v35, v12
	s_wait_alu 0xfffe
	s_xor_b32 s1, exec_lo, s1
	s_cbranch_execz .LBB334_185
; %bb.184:
	v_lshlrev_b32_e32 v13, 2, v0
	ds_load_b32 v15, v13 offset:4096
	v_add_co_u32 v13, vcc_lo, v3, v0
	s_wait_alu 0xfffd
	v_add_co_ci_u32_e64 v14, null, 0, v11, vcc_lo
	s_delay_alu instid0(VALU_DEP_1) | instskip(NEXT) | instid1(VALU_DEP_1)
	v_lshlrev_b64_e32 v[13:14], 2, v[13:14]
	v_sub_co_u32 v13, vcc_lo, s26, v13
	s_wait_alu 0xfffd
	s_delay_alu instid0(VALU_DEP_2)
	v_sub_co_ci_u32_e64 v14, null, s27, v14, vcc_lo
	s_wait_dscnt 0x0
	global_store_b32 v[13:14], v15, off offset:-4100
.LBB334_185:
	s_wait_alu 0xfffe
	s_and_not1_saveexec_b32 s1, s1
	s_cbranch_execz .LBB334_187
; %bb.186:
	v_lshlrev_b32_e32 v13, 2, v0
	v_readfirstlane_b32 s2, v7
	v_readfirstlane_b32 s3, v8
	ds_load_b32 v14, v13 offset:4096
	s_wait_dscnt 0x0
	global_store_b32 v13, v14, s[2:3] offset:4096
.LBB334_187:
	s_wait_alu 0xfffe
	s_or_b32 exec_lo, exec_lo, s1
.LBB334_188:
	s_wait_alu 0xfffe
	s_and_not1_saveexec_b32 s0, s0
	s_cbranch_execz .LBB334_190
; %bb.189:
	v_lshlrev_b32_e32 v13, 2, v0
	v_readfirstlane_b32 s2, v9
	v_readfirstlane_b32 s3, v10
	ds_load_b32 v14, v13 offset:4096
	s_wait_dscnt 0x0
	global_store_b32 v13, v14, s[2:3] offset:4096
.LBB334_190:
	s_wait_alu 0xfffe
	s_or_b32 exec_lo, exec_lo, s0
	s_delay_alu instid0(SALU_CYCLE_1)
	s_mov_b32 s0, exec_lo
	v_cmpx_ge_u32_e64 v34, v1
	s_wait_alu 0xfffe
	s_xor_b32 s0, exec_lo, s0
	s_cbranch_execz .LBB334_196
; %bb.191:
	s_mov_b32 s1, exec_lo
	v_cmpx_ge_u32_e64 v34, v12
	s_wait_alu 0xfffe
	s_xor_b32 s1, exec_lo, s1
	s_cbranch_execz .LBB334_193
; %bb.192:
	v_lshlrev_b32_e32 v13, 2, v0
	ds_load_b32 v15, v13 offset:5120
	v_add_co_u32 v13, vcc_lo, v3, v0
	s_wait_alu 0xfffd
	v_add_co_ci_u32_e64 v14, null, 0, v11, vcc_lo
	s_delay_alu instid0(VALU_DEP_1) | instskip(NEXT) | instid1(VALU_DEP_1)
	v_lshlrev_b64_e32 v[13:14], 2, v[13:14]
	v_sub_co_u32 v13, vcc_lo, s26, v13
	s_wait_alu 0xfffd
	s_delay_alu instid0(VALU_DEP_2)
	v_sub_co_ci_u32_e64 v14, null, s27, v14, vcc_lo
	s_wait_dscnt 0x0
	global_store_b32 v[13:14], v15, off offset:-5124
.LBB334_193:
	s_wait_alu 0xfffe
	s_and_not1_saveexec_b32 s1, s1
	s_cbranch_execz .LBB334_195
; %bb.194:
	v_lshlrev_b32_e32 v13, 2, v0
	v_readfirstlane_b32 s2, v7
	v_readfirstlane_b32 s3, v8
	ds_load_b32 v14, v13 offset:5120
	s_wait_dscnt 0x0
	global_store_b32 v13, v14, s[2:3] offset:5120
.LBB334_195:
	s_wait_alu 0xfffe
	s_or_b32 exec_lo, exec_lo, s1
.LBB334_196:
	s_wait_alu 0xfffe
	s_and_not1_saveexec_b32 s0, s0
	s_cbranch_execz .LBB334_198
; %bb.197:
	v_lshlrev_b32_e32 v13, 2, v0
	v_readfirstlane_b32 s2, v9
	v_readfirstlane_b32 s3, v10
	ds_load_b32 v14, v13 offset:5120
	s_wait_dscnt 0x0
	global_store_b32 v13, v14, s[2:3] offset:5120
.LBB334_198:
	s_wait_alu 0xfffe
	s_or_b32 exec_lo, exec_lo, s0
	s_delay_alu instid0(SALU_CYCLE_1)
	s_mov_b32 s0, exec_lo
	v_cmpx_ge_u32_e64 v33, v1
	s_wait_alu 0xfffe
	s_xor_b32 s0, exec_lo, s0
	s_cbranch_execz .LBB334_204
; %bb.199:
	s_mov_b32 s1, exec_lo
	v_cmpx_ge_u32_e64 v33, v12
	s_wait_alu 0xfffe
	s_xor_b32 s1, exec_lo, s1
	s_cbranch_execz .LBB334_201
; %bb.200:
	v_lshlrev_b32_e32 v13, 2, v0
	ds_load_b32 v15, v13 offset:6144
	v_add_co_u32 v13, vcc_lo, v3, v0
	s_wait_alu 0xfffd
	v_add_co_ci_u32_e64 v14, null, 0, v11, vcc_lo
	s_delay_alu instid0(VALU_DEP_1) | instskip(NEXT) | instid1(VALU_DEP_1)
	v_lshlrev_b64_e32 v[13:14], 2, v[13:14]
	v_sub_co_u32 v13, vcc_lo, s26, v13
	s_wait_alu 0xfffd
	s_delay_alu instid0(VALU_DEP_2)
	v_sub_co_ci_u32_e64 v14, null, s27, v14, vcc_lo
	s_wait_dscnt 0x0
	global_store_b32 v[13:14], v15, off offset:-6148
.LBB334_201:
	s_wait_alu 0xfffe
	s_and_not1_saveexec_b32 s1, s1
	s_cbranch_execz .LBB334_203
; %bb.202:
	v_lshlrev_b32_e32 v13, 2, v0
	v_readfirstlane_b32 s2, v7
	v_readfirstlane_b32 s3, v8
	ds_load_b32 v14, v13 offset:6144
	s_wait_dscnt 0x0
	global_store_b32 v13, v14, s[2:3] offset:6144
.LBB334_203:
	s_wait_alu 0xfffe
	s_or_b32 exec_lo, exec_lo, s1
.LBB334_204:
	s_wait_alu 0xfffe
	s_and_not1_saveexec_b32 s0, s0
	s_cbranch_execz .LBB334_206
; %bb.205:
	v_lshlrev_b32_e32 v13, 2, v0
	v_readfirstlane_b32 s2, v9
	v_readfirstlane_b32 s3, v10
	ds_load_b32 v14, v13 offset:6144
	s_wait_dscnt 0x0
	global_store_b32 v13, v14, s[2:3] offset:6144
.LBB334_206:
	s_wait_alu 0xfffe
	s_or_b32 exec_lo, exec_lo, s0
	s_delay_alu instid0(SALU_CYCLE_1)
	s_mov_b32 s0, exec_lo
	v_cmpx_ge_u32_e64 v32, v1
	s_wait_alu 0xfffe
	s_xor_b32 s0, exec_lo, s0
	s_cbranch_execz .LBB334_212
; %bb.207:
	s_mov_b32 s1, exec_lo
	v_cmpx_ge_u32_e64 v32, v12
	s_wait_alu 0xfffe
	s_xor_b32 s1, exec_lo, s1
	s_cbranch_execz .LBB334_209
; %bb.208:
	v_lshlrev_b32_e32 v13, 2, v0
	ds_load_b32 v15, v13 offset:7168
	v_add_co_u32 v13, vcc_lo, v3, v0
	s_wait_alu 0xfffd
	v_add_co_ci_u32_e64 v14, null, 0, v11, vcc_lo
	s_delay_alu instid0(VALU_DEP_1) | instskip(NEXT) | instid1(VALU_DEP_1)
	v_lshlrev_b64_e32 v[13:14], 2, v[13:14]
	v_sub_co_u32 v13, vcc_lo, s26, v13
	s_wait_alu 0xfffd
	s_delay_alu instid0(VALU_DEP_2)
	v_sub_co_ci_u32_e64 v14, null, s27, v14, vcc_lo
	s_wait_dscnt 0x0
	global_store_b32 v[13:14], v15, off offset:-7172
.LBB334_209:
	s_wait_alu 0xfffe
	s_and_not1_saveexec_b32 s1, s1
	s_cbranch_execz .LBB334_211
; %bb.210:
	v_lshlrev_b32_e32 v13, 2, v0
	v_readfirstlane_b32 s2, v7
	v_readfirstlane_b32 s3, v8
	ds_load_b32 v14, v13 offset:7168
	s_wait_dscnt 0x0
	global_store_b32 v13, v14, s[2:3] offset:7168
.LBB334_211:
	s_wait_alu 0xfffe
	s_or_b32 exec_lo, exec_lo, s1
.LBB334_212:
	s_wait_alu 0xfffe
	s_and_not1_saveexec_b32 s0, s0
	s_cbranch_execz .LBB334_214
; %bb.213:
	v_lshlrev_b32_e32 v13, 2, v0
	v_readfirstlane_b32 s2, v9
	v_readfirstlane_b32 s3, v10
	ds_load_b32 v14, v13 offset:7168
	s_wait_dscnt 0x0
	global_store_b32 v13, v14, s[2:3] offset:7168
.LBB334_214:
	s_wait_alu 0xfffe
	s_or_b32 exec_lo, exec_lo, s0
	s_delay_alu instid0(SALU_CYCLE_1)
	s_mov_b32 s0, exec_lo
	v_cmpx_ge_u32_e64 v31, v1
	s_wait_alu 0xfffe
	s_xor_b32 s0, exec_lo, s0
	s_cbranch_execz .LBB334_220
; %bb.215:
	s_mov_b32 s1, exec_lo
	v_cmpx_ge_u32_e64 v31, v12
	s_wait_alu 0xfffe
	s_xor_b32 s1, exec_lo, s1
	s_cbranch_execz .LBB334_217
; %bb.216:
	v_lshlrev_b32_e32 v13, 2, v0
	ds_load_b32 v15, v13 offset:8192
	v_add_co_u32 v13, vcc_lo, v3, v0
	s_wait_alu 0xfffd
	v_add_co_ci_u32_e64 v14, null, 0, v11, vcc_lo
	s_delay_alu instid0(VALU_DEP_1) | instskip(NEXT) | instid1(VALU_DEP_1)
	v_lshlrev_b64_e32 v[13:14], 2, v[13:14]
	v_sub_co_u32 v13, vcc_lo, s26, v13
	s_wait_alu 0xfffd
	s_delay_alu instid0(VALU_DEP_2)
	v_sub_co_ci_u32_e64 v14, null, s27, v14, vcc_lo
	s_wait_dscnt 0x0
	global_store_b32 v[13:14], v15, off offset:-8196
.LBB334_217:
	s_wait_alu 0xfffe
	s_and_not1_saveexec_b32 s1, s1
	s_cbranch_execz .LBB334_219
; %bb.218:
	v_lshlrev_b32_e32 v13, 2, v0
	v_readfirstlane_b32 s2, v7
	v_readfirstlane_b32 s3, v8
	ds_load_b32 v14, v13 offset:8192
	s_wait_dscnt 0x0
	global_store_b32 v13, v14, s[2:3] offset:8192
.LBB334_219:
	s_wait_alu 0xfffe
	s_or_b32 exec_lo, exec_lo, s1
.LBB334_220:
	s_wait_alu 0xfffe
	s_and_not1_saveexec_b32 s0, s0
	s_cbranch_execz .LBB334_222
; %bb.221:
	v_lshlrev_b32_e32 v13, 2, v0
	v_readfirstlane_b32 s2, v9
	v_readfirstlane_b32 s3, v10
	ds_load_b32 v14, v13 offset:8192
	s_wait_dscnt 0x0
	global_store_b32 v13, v14, s[2:3] offset:8192
.LBB334_222:
	s_wait_alu 0xfffe
	s_or_b32 exec_lo, exec_lo, s0
	s_delay_alu instid0(SALU_CYCLE_1)
	s_mov_b32 s0, exec_lo
	v_cmpx_ge_u32_e64 v30, v1
	s_wait_alu 0xfffe
	s_xor_b32 s0, exec_lo, s0
	s_cbranch_execz .LBB334_228
; %bb.223:
	s_mov_b32 s1, exec_lo
	v_cmpx_ge_u32_e64 v30, v12
	s_wait_alu 0xfffe
	s_xor_b32 s1, exec_lo, s1
	s_cbranch_execz .LBB334_225
; %bb.224:
	v_lshlrev_b32_e32 v13, 2, v0
	ds_load_b32 v15, v13 offset:9216
	v_add_co_u32 v13, vcc_lo, v3, v0
	s_wait_alu 0xfffd
	v_add_co_ci_u32_e64 v14, null, 0, v11, vcc_lo
	s_delay_alu instid0(VALU_DEP_1) | instskip(NEXT) | instid1(VALU_DEP_1)
	v_lshlrev_b64_e32 v[13:14], 2, v[13:14]
	v_sub_co_u32 v13, vcc_lo, s26, v13
	s_wait_alu 0xfffd
	s_delay_alu instid0(VALU_DEP_2)
	v_sub_co_ci_u32_e64 v14, null, s27, v14, vcc_lo
	s_wait_dscnt 0x0
	global_store_b32 v[13:14], v15, off offset:-9220
.LBB334_225:
	s_wait_alu 0xfffe
	s_and_not1_saveexec_b32 s1, s1
	s_cbranch_execz .LBB334_227
; %bb.226:
	v_lshlrev_b32_e32 v13, 2, v0
	v_readfirstlane_b32 s2, v7
	v_readfirstlane_b32 s3, v8
	ds_load_b32 v14, v13 offset:9216
	s_wait_dscnt 0x0
	global_store_b32 v13, v14, s[2:3] offset:9216
.LBB334_227:
	s_wait_alu 0xfffe
	s_or_b32 exec_lo, exec_lo, s1
.LBB334_228:
	s_wait_alu 0xfffe
	s_and_not1_saveexec_b32 s0, s0
	s_cbranch_execz .LBB334_230
; %bb.229:
	v_lshlrev_b32_e32 v13, 2, v0
	v_readfirstlane_b32 s2, v9
	v_readfirstlane_b32 s3, v10
	ds_load_b32 v14, v13 offset:9216
	s_wait_dscnt 0x0
	global_store_b32 v13, v14, s[2:3] offset:9216
.LBB334_230:
	s_wait_alu 0xfffe
	s_or_b32 exec_lo, exec_lo, s0
	s_delay_alu instid0(SALU_CYCLE_1)
	s_mov_b32 s0, exec_lo
	v_cmpx_ge_u32_e64 v29, v1
	s_wait_alu 0xfffe
	s_xor_b32 s0, exec_lo, s0
	s_cbranch_execz .LBB334_236
; %bb.231:
	s_mov_b32 s1, exec_lo
	v_cmpx_ge_u32_e64 v29, v12
	s_wait_alu 0xfffe
	s_xor_b32 s1, exec_lo, s1
	s_cbranch_execz .LBB334_233
; %bb.232:
	v_lshlrev_b32_e32 v13, 2, v0
	ds_load_b32 v15, v13 offset:10240
	v_add_co_u32 v13, vcc_lo, v3, v0
	s_wait_alu 0xfffd
	v_add_co_ci_u32_e64 v14, null, 0, v11, vcc_lo
	s_delay_alu instid0(VALU_DEP_1) | instskip(NEXT) | instid1(VALU_DEP_1)
	v_lshlrev_b64_e32 v[13:14], 2, v[13:14]
	v_sub_co_u32 v13, vcc_lo, s26, v13
	s_wait_alu 0xfffd
	s_delay_alu instid0(VALU_DEP_2)
	v_sub_co_ci_u32_e64 v14, null, s27, v14, vcc_lo
	s_wait_dscnt 0x0
	global_store_b32 v[13:14], v15, off offset:-10244
.LBB334_233:
	s_wait_alu 0xfffe
	s_and_not1_saveexec_b32 s1, s1
	s_cbranch_execz .LBB334_235
; %bb.234:
	v_lshlrev_b32_e32 v13, 2, v0
	v_readfirstlane_b32 s2, v7
	v_readfirstlane_b32 s3, v8
	ds_load_b32 v14, v13 offset:10240
	s_wait_dscnt 0x0
	global_store_b32 v13, v14, s[2:3] offset:10240
.LBB334_235:
	s_wait_alu 0xfffe
	s_or_b32 exec_lo, exec_lo, s1
.LBB334_236:
	s_wait_alu 0xfffe
	s_and_not1_saveexec_b32 s0, s0
	s_cbranch_execz .LBB334_238
; %bb.237:
	v_lshlrev_b32_e32 v13, 2, v0
	v_readfirstlane_b32 s2, v9
	v_readfirstlane_b32 s3, v10
	ds_load_b32 v14, v13 offset:10240
	s_wait_dscnt 0x0
	global_store_b32 v13, v14, s[2:3] offset:10240
.LBB334_238:
	s_wait_alu 0xfffe
	s_or_b32 exec_lo, exec_lo, s0
	s_delay_alu instid0(SALU_CYCLE_1)
	s_mov_b32 s0, exec_lo
	v_cmpx_ge_u32_e64 v28, v1
	s_wait_alu 0xfffe
	s_xor_b32 s0, exec_lo, s0
	s_cbranch_execz .LBB334_244
; %bb.239:
	s_mov_b32 s1, exec_lo
	v_cmpx_ge_u32_e64 v28, v12
	s_wait_alu 0xfffe
	s_xor_b32 s1, exec_lo, s1
	s_cbranch_execz .LBB334_241
; %bb.240:
	v_lshlrev_b32_e32 v13, 2, v0
	ds_load_b32 v15, v13 offset:11264
	v_add_co_u32 v13, vcc_lo, v3, v0
	s_wait_alu 0xfffd
	v_add_co_ci_u32_e64 v14, null, 0, v11, vcc_lo
	s_delay_alu instid0(VALU_DEP_1) | instskip(NEXT) | instid1(VALU_DEP_1)
	v_lshlrev_b64_e32 v[13:14], 2, v[13:14]
	v_sub_co_u32 v13, vcc_lo, s26, v13
	s_wait_alu 0xfffd
	s_delay_alu instid0(VALU_DEP_2)
	v_sub_co_ci_u32_e64 v14, null, s27, v14, vcc_lo
	s_wait_dscnt 0x0
	global_store_b32 v[13:14], v15, off offset:-11268
.LBB334_241:
	s_wait_alu 0xfffe
	s_and_not1_saveexec_b32 s1, s1
	s_cbranch_execz .LBB334_243
; %bb.242:
	v_lshlrev_b32_e32 v13, 2, v0
	v_readfirstlane_b32 s2, v7
	v_readfirstlane_b32 s3, v8
	ds_load_b32 v14, v13 offset:11264
	s_wait_dscnt 0x0
	global_store_b32 v13, v14, s[2:3] offset:11264
.LBB334_243:
	s_wait_alu 0xfffe
	s_or_b32 exec_lo, exec_lo, s1
.LBB334_244:
	s_wait_alu 0xfffe
	s_and_not1_saveexec_b32 s0, s0
	s_cbranch_execz .LBB334_246
; %bb.245:
	v_lshlrev_b32_e32 v13, 2, v0
	v_readfirstlane_b32 s2, v9
	v_readfirstlane_b32 s3, v10
	ds_load_b32 v14, v13 offset:11264
	s_wait_dscnt 0x0
	global_store_b32 v13, v14, s[2:3] offset:11264
.LBB334_246:
	s_wait_alu 0xfffe
	s_or_b32 exec_lo, exec_lo, s0
	s_delay_alu instid0(SALU_CYCLE_1)
	s_mov_b32 s0, exec_lo
	v_cmpx_ge_u32_e64 v27, v1
	s_wait_alu 0xfffe
	s_xor_b32 s0, exec_lo, s0
	s_cbranch_execz .LBB334_252
; %bb.247:
	s_mov_b32 s1, exec_lo
	v_cmpx_ge_u32_e64 v27, v12
	s_wait_alu 0xfffe
	s_xor_b32 s1, exec_lo, s1
	s_cbranch_execz .LBB334_249
; %bb.248:
	v_lshlrev_b32_e32 v13, 2, v0
	ds_load_b32 v15, v13 offset:12288
	v_add_co_u32 v13, vcc_lo, v3, v0
	s_wait_alu 0xfffd
	v_add_co_ci_u32_e64 v14, null, 0, v11, vcc_lo
	s_delay_alu instid0(VALU_DEP_1) | instskip(NEXT) | instid1(VALU_DEP_1)
	v_lshlrev_b64_e32 v[13:14], 2, v[13:14]
	v_sub_co_u32 v13, vcc_lo, s26, v13
	s_wait_alu 0xfffd
	s_delay_alu instid0(VALU_DEP_2)
	v_sub_co_ci_u32_e64 v14, null, s27, v14, vcc_lo
	s_wait_dscnt 0x0
	global_store_b32 v[13:14], v15, off offset:-12292
.LBB334_249:
	s_wait_alu 0xfffe
	s_and_not1_saveexec_b32 s1, s1
	s_cbranch_execz .LBB334_251
; %bb.250:
	v_lshlrev_b32_e32 v13, 2, v0
	v_readfirstlane_b32 s2, v7
	v_readfirstlane_b32 s3, v8
	ds_load_b32 v14, v13 offset:12288
	s_wait_dscnt 0x0
	global_store_b32 v13, v14, s[2:3] offset:12288
.LBB334_251:
	s_wait_alu 0xfffe
	s_or_b32 exec_lo, exec_lo, s1
.LBB334_252:
	s_wait_alu 0xfffe
	s_and_not1_saveexec_b32 s0, s0
	s_cbranch_execz .LBB334_254
; %bb.253:
	v_lshlrev_b32_e32 v13, 2, v0
	v_readfirstlane_b32 s2, v9
	v_readfirstlane_b32 s3, v10
	ds_load_b32 v14, v13 offset:12288
	s_wait_dscnt 0x0
	global_store_b32 v13, v14, s[2:3] offset:12288
.LBB334_254:
	s_wait_alu 0xfffe
	s_or_b32 exec_lo, exec_lo, s0
	s_branch .LBB334_148
.LBB334_255:
	s_mov_b32 s0, exec_lo
	v_cmpx_gt_u32_e64 s33, v0
	s_cbranch_execz .LBB334_264
; %bb.256:
	s_mov_b32 s1, exec_lo
	v_cmpx_ge_u32_e64 v0, v1
	s_wait_alu 0xfffe
	s_xor_b32 s1, exec_lo, s1
	s_cbranch_execz .LBB334_262
; %bb.257:
	s_mov_b32 s2, exec_lo
	v_cmpx_ge_u32_e64 v0, v12
	s_wait_alu 0xfffe
	s_xor_b32 s2, exec_lo, s2
	s_cbranch_execz .LBB334_259
; %bb.258:
	v_lshlrev_b32_e32 v13, 2, v0
	ds_load_b32 v15, v13
	v_add_co_u32 v13, vcc_lo, v3, v0
	s_wait_alu 0xfffd
	v_add_co_ci_u32_e64 v14, null, 0, v11, vcc_lo
	s_delay_alu instid0(VALU_DEP_1) | instskip(NEXT) | instid1(VALU_DEP_1)
	v_lshlrev_b64_e32 v[13:14], 2, v[13:14]
	v_sub_co_u32 v13, vcc_lo, s26, v13
	s_wait_alu 0xfffd
	s_delay_alu instid0(VALU_DEP_2)
	v_sub_co_ci_u32_e64 v14, null, s27, v14, vcc_lo
	s_wait_dscnt 0x0
	global_store_b32 v[13:14], v15, off offset:-4
.LBB334_259:
	s_wait_alu 0xfffe
	s_and_not1_saveexec_b32 s2, s2
	s_cbranch_execz .LBB334_261
; %bb.260:
	v_lshlrev_b32_e32 v13, 2, v0
	v_readfirstlane_b32 s4, v7
	v_readfirstlane_b32 s5, v8
	ds_load_b32 v14, v13
	s_wait_dscnt 0x0
	global_store_b32 v13, v14, s[4:5]
.LBB334_261:
	s_wait_alu 0xfffe
	s_or_b32 exec_lo, exec_lo, s2
.LBB334_262:
	s_wait_alu 0xfffe
	s_and_not1_saveexec_b32 s1, s1
	s_cbranch_execz .LBB334_264
; %bb.263:
	v_lshlrev_b32_e32 v13, 2, v0
	v_readfirstlane_b32 s2, v9
	v_readfirstlane_b32 s3, v10
	ds_load_b32 v14, v13
	s_wait_dscnt 0x0
	global_store_b32 v13, v14, s[2:3]
.LBB334_264:
	s_wait_alu 0xfffe
	s_or_b32 exec_lo, exec_lo, s0
	s_delay_alu instid0(SALU_CYCLE_1)
	s_mov_b32 s0, exec_lo
	v_cmpx_gt_u32_e64 s33, v38
	s_cbranch_execz .LBB334_273
; %bb.265:
	s_mov_b32 s1, exec_lo
	v_cmpx_ge_u32_e64 v38, v1
	s_wait_alu 0xfffe
	s_xor_b32 s1, exec_lo, s1
	s_cbranch_execz .LBB334_271
; %bb.266:
	s_mov_b32 s2, exec_lo
	v_cmpx_ge_u32_e64 v38, v12
	s_wait_alu 0xfffe
	s_xor_b32 s2, exec_lo, s2
	s_cbranch_execz .LBB334_268
; %bb.267:
	v_lshlrev_b32_e32 v13, 2, v0
	ds_load_b32 v15, v13 offset:1024
	v_add_co_u32 v13, vcc_lo, v3, v0
	s_wait_alu 0xfffd
	v_add_co_ci_u32_e64 v14, null, 0, v11, vcc_lo
	s_delay_alu instid0(VALU_DEP_1) | instskip(NEXT) | instid1(VALU_DEP_1)
	v_lshlrev_b64_e32 v[13:14], 2, v[13:14]
	v_sub_co_u32 v13, vcc_lo, s26, v13
	s_wait_alu 0xfffd
	s_delay_alu instid0(VALU_DEP_2)
	v_sub_co_ci_u32_e64 v14, null, s27, v14, vcc_lo
	s_wait_dscnt 0x0
	global_store_b32 v[13:14], v15, off offset:-1028
.LBB334_268:
	s_wait_alu 0xfffe
	s_and_not1_saveexec_b32 s2, s2
	s_cbranch_execz .LBB334_270
; %bb.269:
	v_lshlrev_b32_e32 v13, 2, v0
	v_readfirstlane_b32 s4, v7
	v_readfirstlane_b32 s5, v8
	ds_load_b32 v14, v13 offset:1024
	s_wait_dscnt 0x0
	global_store_b32 v13, v14, s[4:5] offset:1024
.LBB334_270:
	s_wait_alu 0xfffe
	s_or_b32 exec_lo, exec_lo, s2
.LBB334_271:
	s_wait_alu 0xfffe
	s_and_not1_saveexec_b32 s1, s1
	s_cbranch_execz .LBB334_273
; %bb.272:
	v_lshlrev_b32_e32 v13, 2, v0
	v_readfirstlane_b32 s2, v9
	v_readfirstlane_b32 s3, v10
	ds_load_b32 v14, v13 offset:1024
	s_wait_dscnt 0x0
	global_store_b32 v13, v14, s[2:3] offset:1024
.LBB334_273:
	s_wait_alu 0xfffe
	s_or_b32 exec_lo, exec_lo, s0
	s_delay_alu instid0(SALU_CYCLE_1)
	s_mov_b32 s0, exec_lo
	v_cmpx_gt_u32_e64 s33, v37
	s_cbranch_execz .LBB334_282
; %bb.274:
	s_mov_b32 s1, exec_lo
	v_cmpx_ge_u32_e64 v37, v1
	s_wait_alu 0xfffe
	s_xor_b32 s1, exec_lo, s1
	s_cbranch_execz .LBB334_280
; %bb.275:
	s_mov_b32 s2, exec_lo
	v_cmpx_ge_u32_e64 v37, v12
	s_wait_alu 0xfffe
	s_xor_b32 s2, exec_lo, s2
	s_cbranch_execz .LBB334_277
; %bb.276:
	v_lshlrev_b32_e32 v13, 2, v0
	ds_load_b32 v15, v13 offset:2048
	v_add_co_u32 v13, vcc_lo, v3, v0
	s_wait_alu 0xfffd
	v_add_co_ci_u32_e64 v14, null, 0, v11, vcc_lo
	s_delay_alu instid0(VALU_DEP_1) | instskip(NEXT) | instid1(VALU_DEP_1)
	v_lshlrev_b64_e32 v[13:14], 2, v[13:14]
	v_sub_co_u32 v13, vcc_lo, s26, v13
	s_wait_alu 0xfffd
	s_delay_alu instid0(VALU_DEP_2)
	v_sub_co_ci_u32_e64 v14, null, s27, v14, vcc_lo
	s_wait_dscnt 0x0
	global_store_b32 v[13:14], v15, off offset:-2052
.LBB334_277:
	s_wait_alu 0xfffe
	s_and_not1_saveexec_b32 s2, s2
	s_cbranch_execz .LBB334_279
; %bb.278:
	v_lshlrev_b32_e32 v13, 2, v0
	v_readfirstlane_b32 s4, v7
	v_readfirstlane_b32 s5, v8
	ds_load_b32 v14, v13 offset:2048
	s_wait_dscnt 0x0
	global_store_b32 v13, v14, s[4:5] offset:2048
.LBB334_279:
	s_wait_alu 0xfffe
	s_or_b32 exec_lo, exec_lo, s2
.LBB334_280:
	s_wait_alu 0xfffe
	s_and_not1_saveexec_b32 s1, s1
	s_cbranch_execz .LBB334_282
; %bb.281:
	v_lshlrev_b32_e32 v13, 2, v0
	v_readfirstlane_b32 s2, v9
	v_readfirstlane_b32 s3, v10
	ds_load_b32 v14, v13 offset:2048
	s_wait_dscnt 0x0
	global_store_b32 v13, v14, s[2:3] offset:2048
.LBB334_282:
	;; [unrolled: 58-line block ×11, first 2 shown]
	s_wait_alu 0xfffe
	s_or_b32 exec_lo, exec_lo, s0
	s_delay_alu instid0(SALU_CYCLE_1)
	s_mov_b32 s0, exec_lo
	v_cmpx_gt_u32_e64 s33, v27
	s_cbranch_execz .LBB334_372
; %bb.364:
	s_mov_b32 s1, exec_lo
	v_cmpx_ge_u32_e64 v27, v1
	s_wait_alu 0xfffe
	s_xor_b32 s1, exec_lo, s1
	s_cbranch_execz .LBB334_370
; %bb.365:
	s_mov_b32 s2, exec_lo
	v_cmpx_ge_u32_e64 v27, v12
	s_wait_alu 0xfffe
	s_xor_b32 s2, exec_lo, s2
	s_cbranch_execz .LBB334_367
; %bb.366:
	v_lshlrev_b32_e32 v7, 2, v0
	ds_load_b32 v9, v7 offset:12288
	v_add_co_u32 v7, vcc_lo, v3, v0
	s_wait_alu 0xfffd
	v_add_co_ci_u32_e64 v8, null, 0, v11, vcc_lo
	s_delay_alu instid0(VALU_DEP_1) | instskip(NEXT) | instid1(VALU_DEP_1)
	v_lshlrev_b64_e32 v[7:8], 2, v[7:8]
	v_sub_co_u32 v7, vcc_lo, s26, v7
	s_wait_alu 0xfffd
	s_delay_alu instid0(VALU_DEP_2)
	v_sub_co_ci_u32_e64 v8, null, s27, v8, vcc_lo
	s_wait_dscnt 0x0
	global_store_b32 v[7:8], v9, off offset:-12292
                                        ; implicit-def: $vgpr7_vgpr8
.LBB334_367:
	s_wait_alu 0xfffe
	s_and_not1_saveexec_b32 s2, s2
	s_cbranch_execz .LBB334_369
; %bb.368:
	v_lshlrev_b32_e32 v3, 2, v0
	v_readfirstlane_b32 s4, v7
	v_readfirstlane_b32 s5, v8
	ds_load_b32 v9, v3 offset:12288
	s_wait_dscnt 0x0
	global_store_b32 v3, v9, s[4:5] offset:12288
.LBB334_369:
	s_wait_alu 0xfffe
	s_or_b32 exec_lo, exec_lo, s2
                                        ; implicit-def: $vgpr9_vgpr10
.LBB334_370:
	s_wait_alu 0xfffe
	s_and_not1_saveexec_b32 s1, s1
	s_cbranch_execz .LBB334_372
; %bb.371:
	v_lshlrev_b32_e32 v3, 2, v0
	v_readfirstlane_b32 s2, v9
	v_readfirstlane_b32 s3, v10
	ds_load_b32 v7, v3 offset:12288
	s_wait_dscnt 0x0
	global_store_b32 v3, v7, s[2:3] offset:12288
.LBB334_372:
	s_wait_alu 0xfffe
	s_or_b32 exec_lo, exec_lo, s0
	v_cmp_eq_u32_e32 vcc_lo, 0, v0
	s_and_b32 s0, vcc_lo, s15
	s_wait_alu 0xfffe
	s_and_saveexec_b32 s1, s0
	s_cbranch_execz .LBB334_149
.LBB334_373:
	v_add_co_u32 v0, s0, s30, v2
	s_wait_alu 0xf1ff
	v_add_co_ci_u32_e64 v3, null, s31, 0, s0
	v_mov_b32_e32 v7, 0
	s_delay_alu instid0(VALU_DEP_3) | instskip(SKIP_1) | instid1(VALU_DEP_3)
	v_add_co_u32 v2, vcc_lo, v0, v4
	s_wait_alu 0xfffd
	v_add_co_ci_u32_e64 v3, null, 0, v3, vcc_lo
	v_add_co_u32 v0, vcc_lo, v5, v1
	s_wait_alu 0xfffd
	v_add_co_ci_u32_e64 v1, null, 0, v6, vcc_lo
	global_store_b128 v7, v[0:3], s[24:25]
	s_endpgm
.LBB334_374:
	s_add_co_i32 s8, ttmp9, 32
	s_mov_b32 s9, 0
	v_dual_mov_b32 v7, 2 :: v_dual_add_nc_u32 v6, v4, v2
	s_wait_alu 0xfffe
	s_lshl_b64 s[8:9], s[8:9], 4
	v_dual_mov_b32 v8, 0 :: v_dual_add_nc_u32 v5, v3, v1
	s_wait_alu 0xfffe
	s_add_nc_u64 s[8:9], s[4:5], s[8:9]
	s_wait_alu 0xfffe
	v_dual_mov_b32 v24, s9 :: v_dual_mov_b32 v23, s8
	;;#ASMSTART
	global_store_b128 v[23:24], v[5:8] off scope:SCOPE_DEV	
s_wait_storecnt 0x0
	;;#ASMEND
	s_or_b32 exec_lo, exec_lo, s6
	s_and_saveexec_b32 s6, s2
	s_cbranch_execz .LBB334_134
.LBB334_375:
	v_mov_b32_e32 v5, 0
	ds_store_b128 v5, v[1:4] offset:13312
	s_wait_alu 0xfffe
	s_or_b32 exec_lo, exec_lo, s6
	v_cmp_eq_u32_e32 vcc_lo, 0, v0
	s_and_b32 exec_lo, exec_lo, vcc_lo
	s_cbranch_execnz .LBB334_135
	s_branch .LBB334_136
	.section	.rodata,"a",@progbits
	.p2align	6, 0x0
	.amdhsa_kernel _ZN7rocprim17ROCPRIM_400000_NS6detail17trampoline_kernelINS0_13select_configILj256ELj13ELNS0_17block_load_methodE3ELS4_3ELS4_3ELNS0_20block_scan_algorithmE0ELj4294967295EEENS1_25partition_config_selectorILNS1_17partition_subalgoE4EjNS0_10empty_typeEbEEZZNS1_14partition_implILS8_4ELb0ES6_15HIP_vector_typeIjLj2EENS0_17counting_iteratorIjlEEPS9_SG_NS0_5tupleIJPjSI_NS0_16reverse_iteratorISI_EEEEENSH_IJSG_SG_SG_EEES9_SI_JZNS1_25segmented_radix_sort_implINS0_14default_configELb0EPKaPaPKlPlN2at6native12_GLOBAL__N_18offset_tEEE10hipError_tPvRmT1_PNSt15iterator_traitsIS12_E10value_typeET2_T3_PNS13_IS18_E10value_typeET4_jRbjT5_S1E_jjP12ihipStream_tbEUljE_ZNSN_ISO_Lb0ESQ_SR_ST_SU_SY_EESZ_S10_S11_S12_S16_S17_S18_S1B_S1C_jS1D_jS1E_S1E_jjS1G_bEUljE0_EEESZ_S10_S11_S18_S1C_S1E_T6_T7_T9_mT8_S1G_bDpT10_ENKUlT_T0_E_clISt17integral_constantIbLb0EES1U_EEDaS1P_S1Q_EUlS1P_E_NS1_11comp_targetILNS1_3genE10ELNS1_11target_archE1200ELNS1_3gpuE4ELNS1_3repE0EEENS1_30default_config_static_selectorELNS0_4arch9wavefront6targetE0EEEvS12_
		.amdhsa_group_segment_fixed_size 13328
		.amdhsa_private_segment_fixed_size 0
		.amdhsa_kernarg_size 176
		.amdhsa_user_sgpr_count 2
		.amdhsa_user_sgpr_dispatch_ptr 0
		.amdhsa_user_sgpr_queue_ptr 0
		.amdhsa_user_sgpr_kernarg_segment_ptr 1
		.amdhsa_user_sgpr_dispatch_id 0
		.amdhsa_user_sgpr_private_segment_size 0
		.amdhsa_wavefront_size32 1
		.amdhsa_uses_dynamic_stack 0
		.amdhsa_enable_private_segment 0
		.amdhsa_system_sgpr_workgroup_id_x 1
		.amdhsa_system_sgpr_workgroup_id_y 0
		.amdhsa_system_sgpr_workgroup_id_z 0
		.amdhsa_system_sgpr_workgroup_info 0
		.amdhsa_system_vgpr_workitem_id 0
		.amdhsa_next_free_vgpr 93
		.amdhsa_next_free_sgpr 58
		.amdhsa_reserve_vcc 1
		.amdhsa_float_round_mode_32 0
		.amdhsa_float_round_mode_16_64 0
		.amdhsa_float_denorm_mode_32 3
		.amdhsa_float_denorm_mode_16_64 3
		.amdhsa_fp16_overflow 0
		.amdhsa_workgroup_processor_mode 1
		.amdhsa_memory_ordered 1
		.amdhsa_forward_progress 1
		.amdhsa_inst_pref_size 148
		.amdhsa_round_robin_scheduling 0
		.amdhsa_exception_fp_ieee_invalid_op 0
		.amdhsa_exception_fp_denorm_src 0
		.amdhsa_exception_fp_ieee_div_zero 0
		.amdhsa_exception_fp_ieee_overflow 0
		.amdhsa_exception_fp_ieee_underflow 0
		.amdhsa_exception_fp_ieee_inexact 0
		.amdhsa_exception_int_div_zero 0
	.end_amdhsa_kernel
	.section	.text._ZN7rocprim17ROCPRIM_400000_NS6detail17trampoline_kernelINS0_13select_configILj256ELj13ELNS0_17block_load_methodE3ELS4_3ELS4_3ELNS0_20block_scan_algorithmE0ELj4294967295EEENS1_25partition_config_selectorILNS1_17partition_subalgoE4EjNS0_10empty_typeEbEEZZNS1_14partition_implILS8_4ELb0ES6_15HIP_vector_typeIjLj2EENS0_17counting_iteratorIjlEEPS9_SG_NS0_5tupleIJPjSI_NS0_16reverse_iteratorISI_EEEEENSH_IJSG_SG_SG_EEES9_SI_JZNS1_25segmented_radix_sort_implINS0_14default_configELb0EPKaPaPKlPlN2at6native12_GLOBAL__N_18offset_tEEE10hipError_tPvRmT1_PNSt15iterator_traitsIS12_E10value_typeET2_T3_PNS13_IS18_E10value_typeET4_jRbjT5_S1E_jjP12ihipStream_tbEUljE_ZNSN_ISO_Lb0ESQ_SR_ST_SU_SY_EESZ_S10_S11_S12_S16_S17_S18_S1B_S1C_jS1D_jS1E_S1E_jjS1G_bEUljE0_EEESZ_S10_S11_S18_S1C_S1E_T6_T7_T9_mT8_S1G_bDpT10_ENKUlT_T0_E_clISt17integral_constantIbLb0EES1U_EEDaS1P_S1Q_EUlS1P_E_NS1_11comp_targetILNS1_3genE10ELNS1_11target_archE1200ELNS1_3gpuE4ELNS1_3repE0EEENS1_30default_config_static_selectorELNS0_4arch9wavefront6targetE0EEEvS12_,"axG",@progbits,_ZN7rocprim17ROCPRIM_400000_NS6detail17trampoline_kernelINS0_13select_configILj256ELj13ELNS0_17block_load_methodE3ELS4_3ELS4_3ELNS0_20block_scan_algorithmE0ELj4294967295EEENS1_25partition_config_selectorILNS1_17partition_subalgoE4EjNS0_10empty_typeEbEEZZNS1_14partition_implILS8_4ELb0ES6_15HIP_vector_typeIjLj2EENS0_17counting_iteratorIjlEEPS9_SG_NS0_5tupleIJPjSI_NS0_16reverse_iteratorISI_EEEEENSH_IJSG_SG_SG_EEES9_SI_JZNS1_25segmented_radix_sort_implINS0_14default_configELb0EPKaPaPKlPlN2at6native12_GLOBAL__N_18offset_tEEE10hipError_tPvRmT1_PNSt15iterator_traitsIS12_E10value_typeET2_T3_PNS13_IS18_E10value_typeET4_jRbjT5_S1E_jjP12ihipStream_tbEUljE_ZNSN_ISO_Lb0ESQ_SR_ST_SU_SY_EESZ_S10_S11_S12_S16_S17_S18_S1B_S1C_jS1D_jS1E_S1E_jjS1G_bEUljE0_EEESZ_S10_S11_S18_S1C_S1E_T6_T7_T9_mT8_S1G_bDpT10_ENKUlT_T0_E_clISt17integral_constantIbLb0EES1U_EEDaS1P_S1Q_EUlS1P_E_NS1_11comp_targetILNS1_3genE10ELNS1_11target_archE1200ELNS1_3gpuE4ELNS1_3repE0EEENS1_30default_config_static_selectorELNS0_4arch9wavefront6targetE0EEEvS12_,comdat
.Lfunc_end334:
	.size	_ZN7rocprim17ROCPRIM_400000_NS6detail17trampoline_kernelINS0_13select_configILj256ELj13ELNS0_17block_load_methodE3ELS4_3ELS4_3ELNS0_20block_scan_algorithmE0ELj4294967295EEENS1_25partition_config_selectorILNS1_17partition_subalgoE4EjNS0_10empty_typeEbEEZZNS1_14partition_implILS8_4ELb0ES6_15HIP_vector_typeIjLj2EENS0_17counting_iteratorIjlEEPS9_SG_NS0_5tupleIJPjSI_NS0_16reverse_iteratorISI_EEEEENSH_IJSG_SG_SG_EEES9_SI_JZNS1_25segmented_radix_sort_implINS0_14default_configELb0EPKaPaPKlPlN2at6native12_GLOBAL__N_18offset_tEEE10hipError_tPvRmT1_PNSt15iterator_traitsIS12_E10value_typeET2_T3_PNS13_IS18_E10value_typeET4_jRbjT5_S1E_jjP12ihipStream_tbEUljE_ZNSN_ISO_Lb0ESQ_SR_ST_SU_SY_EESZ_S10_S11_S12_S16_S17_S18_S1B_S1C_jS1D_jS1E_S1E_jjS1G_bEUljE0_EEESZ_S10_S11_S18_S1C_S1E_T6_T7_T9_mT8_S1G_bDpT10_ENKUlT_T0_E_clISt17integral_constantIbLb0EES1U_EEDaS1P_S1Q_EUlS1P_E_NS1_11comp_targetILNS1_3genE10ELNS1_11target_archE1200ELNS1_3gpuE4ELNS1_3repE0EEENS1_30default_config_static_selectorELNS0_4arch9wavefront6targetE0EEEvS12_, .Lfunc_end334-_ZN7rocprim17ROCPRIM_400000_NS6detail17trampoline_kernelINS0_13select_configILj256ELj13ELNS0_17block_load_methodE3ELS4_3ELS4_3ELNS0_20block_scan_algorithmE0ELj4294967295EEENS1_25partition_config_selectorILNS1_17partition_subalgoE4EjNS0_10empty_typeEbEEZZNS1_14partition_implILS8_4ELb0ES6_15HIP_vector_typeIjLj2EENS0_17counting_iteratorIjlEEPS9_SG_NS0_5tupleIJPjSI_NS0_16reverse_iteratorISI_EEEEENSH_IJSG_SG_SG_EEES9_SI_JZNS1_25segmented_radix_sort_implINS0_14default_configELb0EPKaPaPKlPlN2at6native12_GLOBAL__N_18offset_tEEE10hipError_tPvRmT1_PNSt15iterator_traitsIS12_E10value_typeET2_T3_PNS13_IS18_E10value_typeET4_jRbjT5_S1E_jjP12ihipStream_tbEUljE_ZNSN_ISO_Lb0ESQ_SR_ST_SU_SY_EESZ_S10_S11_S12_S16_S17_S18_S1B_S1C_jS1D_jS1E_S1E_jjS1G_bEUljE0_EEESZ_S10_S11_S18_S1C_S1E_T6_T7_T9_mT8_S1G_bDpT10_ENKUlT_T0_E_clISt17integral_constantIbLb0EES1U_EEDaS1P_S1Q_EUlS1P_E_NS1_11comp_targetILNS1_3genE10ELNS1_11target_archE1200ELNS1_3gpuE4ELNS1_3repE0EEENS1_30default_config_static_selectorELNS0_4arch9wavefront6targetE0EEEvS12_
                                        ; -- End function
	.set _ZN7rocprim17ROCPRIM_400000_NS6detail17trampoline_kernelINS0_13select_configILj256ELj13ELNS0_17block_load_methodE3ELS4_3ELS4_3ELNS0_20block_scan_algorithmE0ELj4294967295EEENS1_25partition_config_selectorILNS1_17partition_subalgoE4EjNS0_10empty_typeEbEEZZNS1_14partition_implILS8_4ELb0ES6_15HIP_vector_typeIjLj2EENS0_17counting_iteratorIjlEEPS9_SG_NS0_5tupleIJPjSI_NS0_16reverse_iteratorISI_EEEEENSH_IJSG_SG_SG_EEES9_SI_JZNS1_25segmented_radix_sort_implINS0_14default_configELb0EPKaPaPKlPlN2at6native12_GLOBAL__N_18offset_tEEE10hipError_tPvRmT1_PNSt15iterator_traitsIS12_E10value_typeET2_T3_PNS13_IS18_E10value_typeET4_jRbjT5_S1E_jjP12ihipStream_tbEUljE_ZNSN_ISO_Lb0ESQ_SR_ST_SU_SY_EESZ_S10_S11_S12_S16_S17_S18_S1B_S1C_jS1D_jS1E_S1E_jjS1G_bEUljE0_EEESZ_S10_S11_S18_S1C_S1E_T6_T7_T9_mT8_S1G_bDpT10_ENKUlT_T0_E_clISt17integral_constantIbLb0EES1U_EEDaS1P_S1Q_EUlS1P_E_NS1_11comp_targetILNS1_3genE10ELNS1_11target_archE1200ELNS1_3gpuE4ELNS1_3repE0EEENS1_30default_config_static_selectorELNS0_4arch9wavefront6targetE0EEEvS12_.num_vgpr, 93
	.set _ZN7rocprim17ROCPRIM_400000_NS6detail17trampoline_kernelINS0_13select_configILj256ELj13ELNS0_17block_load_methodE3ELS4_3ELS4_3ELNS0_20block_scan_algorithmE0ELj4294967295EEENS1_25partition_config_selectorILNS1_17partition_subalgoE4EjNS0_10empty_typeEbEEZZNS1_14partition_implILS8_4ELb0ES6_15HIP_vector_typeIjLj2EENS0_17counting_iteratorIjlEEPS9_SG_NS0_5tupleIJPjSI_NS0_16reverse_iteratorISI_EEEEENSH_IJSG_SG_SG_EEES9_SI_JZNS1_25segmented_radix_sort_implINS0_14default_configELb0EPKaPaPKlPlN2at6native12_GLOBAL__N_18offset_tEEE10hipError_tPvRmT1_PNSt15iterator_traitsIS12_E10value_typeET2_T3_PNS13_IS18_E10value_typeET4_jRbjT5_S1E_jjP12ihipStream_tbEUljE_ZNSN_ISO_Lb0ESQ_SR_ST_SU_SY_EESZ_S10_S11_S12_S16_S17_S18_S1B_S1C_jS1D_jS1E_S1E_jjS1G_bEUljE0_EEESZ_S10_S11_S18_S1C_S1E_T6_T7_T9_mT8_S1G_bDpT10_ENKUlT_T0_E_clISt17integral_constantIbLb0EES1U_EEDaS1P_S1Q_EUlS1P_E_NS1_11comp_targetILNS1_3genE10ELNS1_11target_archE1200ELNS1_3gpuE4ELNS1_3repE0EEENS1_30default_config_static_selectorELNS0_4arch9wavefront6targetE0EEEvS12_.num_agpr, 0
	.set _ZN7rocprim17ROCPRIM_400000_NS6detail17trampoline_kernelINS0_13select_configILj256ELj13ELNS0_17block_load_methodE3ELS4_3ELS4_3ELNS0_20block_scan_algorithmE0ELj4294967295EEENS1_25partition_config_selectorILNS1_17partition_subalgoE4EjNS0_10empty_typeEbEEZZNS1_14partition_implILS8_4ELb0ES6_15HIP_vector_typeIjLj2EENS0_17counting_iteratorIjlEEPS9_SG_NS0_5tupleIJPjSI_NS0_16reverse_iteratorISI_EEEEENSH_IJSG_SG_SG_EEES9_SI_JZNS1_25segmented_radix_sort_implINS0_14default_configELb0EPKaPaPKlPlN2at6native12_GLOBAL__N_18offset_tEEE10hipError_tPvRmT1_PNSt15iterator_traitsIS12_E10value_typeET2_T3_PNS13_IS18_E10value_typeET4_jRbjT5_S1E_jjP12ihipStream_tbEUljE_ZNSN_ISO_Lb0ESQ_SR_ST_SU_SY_EESZ_S10_S11_S12_S16_S17_S18_S1B_S1C_jS1D_jS1E_S1E_jjS1G_bEUljE0_EEESZ_S10_S11_S18_S1C_S1E_T6_T7_T9_mT8_S1G_bDpT10_ENKUlT_T0_E_clISt17integral_constantIbLb0EES1U_EEDaS1P_S1Q_EUlS1P_E_NS1_11comp_targetILNS1_3genE10ELNS1_11target_archE1200ELNS1_3gpuE4ELNS1_3repE0EEENS1_30default_config_static_selectorELNS0_4arch9wavefront6targetE0EEEvS12_.numbered_sgpr, 58
	.set _ZN7rocprim17ROCPRIM_400000_NS6detail17trampoline_kernelINS0_13select_configILj256ELj13ELNS0_17block_load_methodE3ELS4_3ELS4_3ELNS0_20block_scan_algorithmE0ELj4294967295EEENS1_25partition_config_selectorILNS1_17partition_subalgoE4EjNS0_10empty_typeEbEEZZNS1_14partition_implILS8_4ELb0ES6_15HIP_vector_typeIjLj2EENS0_17counting_iteratorIjlEEPS9_SG_NS0_5tupleIJPjSI_NS0_16reverse_iteratorISI_EEEEENSH_IJSG_SG_SG_EEES9_SI_JZNS1_25segmented_radix_sort_implINS0_14default_configELb0EPKaPaPKlPlN2at6native12_GLOBAL__N_18offset_tEEE10hipError_tPvRmT1_PNSt15iterator_traitsIS12_E10value_typeET2_T3_PNS13_IS18_E10value_typeET4_jRbjT5_S1E_jjP12ihipStream_tbEUljE_ZNSN_ISO_Lb0ESQ_SR_ST_SU_SY_EESZ_S10_S11_S12_S16_S17_S18_S1B_S1C_jS1D_jS1E_S1E_jjS1G_bEUljE0_EEESZ_S10_S11_S18_S1C_S1E_T6_T7_T9_mT8_S1G_bDpT10_ENKUlT_T0_E_clISt17integral_constantIbLb0EES1U_EEDaS1P_S1Q_EUlS1P_E_NS1_11comp_targetILNS1_3genE10ELNS1_11target_archE1200ELNS1_3gpuE4ELNS1_3repE0EEENS1_30default_config_static_selectorELNS0_4arch9wavefront6targetE0EEEvS12_.num_named_barrier, 0
	.set _ZN7rocprim17ROCPRIM_400000_NS6detail17trampoline_kernelINS0_13select_configILj256ELj13ELNS0_17block_load_methodE3ELS4_3ELS4_3ELNS0_20block_scan_algorithmE0ELj4294967295EEENS1_25partition_config_selectorILNS1_17partition_subalgoE4EjNS0_10empty_typeEbEEZZNS1_14partition_implILS8_4ELb0ES6_15HIP_vector_typeIjLj2EENS0_17counting_iteratorIjlEEPS9_SG_NS0_5tupleIJPjSI_NS0_16reverse_iteratorISI_EEEEENSH_IJSG_SG_SG_EEES9_SI_JZNS1_25segmented_radix_sort_implINS0_14default_configELb0EPKaPaPKlPlN2at6native12_GLOBAL__N_18offset_tEEE10hipError_tPvRmT1_PNSt15iterator_traitsIS12_E10value_typeET2_T3_PNS13_IS18_E10value_typeET4_jRbjT5_S1E_jjP12ihipStream_tbEUljE_ZNSN_ISO_Lb0ESQ_SR_ST_SU_SY_EESZ_S10_S11_S12_S16_S17_S18_S1B_S1C_jS1D_jS1E_S1E_jjS1G_bEUljE0_EEESZ_S10_S11_S18_S1C_S1E_T6_T7_T9_mT8_S1G_bDpT10_ENKUlT_T0_E_clISt17integral_constantIbLb0EES1U_EEDaS1P_S1Q_EUlS1P_E_NS1_11comp_targetILNS1_3genE10ELNS1_11target_archE1200ELNS1_3gpuE4ELNS1_3repE0EEENS1_30default_config_static_selectorELNS0_4arch9wavefront6targetE0EEEvS12_.private_seg_size, 0
	.set _ZN7rocprim17ROCPRIM_400000_NS6detail17trampoline_kernelINS0_13select_configILj256ELj13ELNS0_17block_load_methodE3ELS4_3ELS4_3ELNS0_20block_scan_algorithmE0ELj4294967295EEENS1_25partition_config_selectorILNS1_17partition_subalgoE4EjNS0_10empty_typeEbEEZZNS1_14partition_implILS8_4ELb0ES6_15HIP_vector_typeIjLj2EENS0_17counting_iteratorIjlEEPS9_SG_NS0_5tupleIJPjSI_NS0_16reverse_iteratorISI_EEEEENSH_IJSG_SG_SG_EEES9_SI_JZNS1_25segmented_radix_sort_implINS0_14default_configELb0EPKaPaPKlPlN2at6native12_GLOBAL__N_18offset_tEEE10hipError_tPvRmT1_PNSt15iterator_traitsIS12_E10value_typeET2_T3_PNS13_IS18_E10value_typeET4_jRbjT5_S1E_jjP12ihipStream_tbEUljE_ZNSN_ISO_Lb0ESQ_SR_ST_SU_SY_EESZ_S10_S11_S12_S16_S17_S18_S1B_S1C_jS1D_jS1E_S1E_jjS1G_bEUljE0_EEESZ_S10_S11_S18_S1C_S1E_T6_T7_T9_mT8_S1G_bDpT10_ENKUlT_T0_E_clISt17integral_constantIbLb0EES1U_EEDaS1P_S1Q_EUlS1P_E_NS1_11comp_targetILNS1_3genE10ELNS1_11target_archE1200ELNS1_3gpuE4ELNS1_3repE0EEENS1_30default_config_static_selectorELNS0_4arch9wavefront6targetE0EEEvS12_.uses_vcc, 1
	.set _ZN7rocprim17ROCPRIM_400000_NS6detail17trampoline_kernelINS0_13select_configILj256ELj13ELNS0_17block_load_methodE3ELS4_3ELS4_3ELNS0_20block_scan_algorithmE0ELj4294967295EEENS1_25partition_config_selectorILNS1_17partition_subalgoE4EjNS0_10empty_typeEbEEZZNS1_14partition_implILS8_4ELb0ES6_15HIP_vector_typeIjLj2EENS0_17counting_iteratorIjlEEPS9_SG_NS0_5tupleIJPjSI_NS0_16reverse_iteratorISI_EEEEENSH_IJSG_SG_SG_EEES9_SI_JZNS1_25segmented_radix_sort_implINS0_14default_configELb0EPKaPaPKlPlN2at6native12_GLOBAL__N_18offset_tEEE10hipError_tPvRmT1_PNSt15iterator_traitsIS12_E10value_typeET2_T3_PNS13_IS18_E10value_typeET4_jRbjT5_S1E_jjP12ihipStream_tbEUljE_ZNSN_ISO_Lb0ESQ_SR_ST_SU_SY_EESZ_S10_S11_S12_S16_S17_S18_S1B_S1C_jS1D_jS1E_S1E_jjS1G_bEUljE0_EEESZ_S10_S11_S18_S1C_S1E_T6_T7_T9_mT8_S1G_bDpT10_ENKUlT_T0_E_clISt17integral_constantIbLb0EES1U_EEDaS1P_S1Q_EUlS1P_E_NS1_11comp_targetILNS1_3genE10ELNS1_11target_archE1200ELNS1_3gpuE4ELNS1_3repE0EEENS1_30default_config_static_selectorELNS0_4arch9wavefront6targetE0EEEvS12_.uses_flat_scratch, 0
	.set _ZN7rocprim17ROCPRIM_400000_NS6detail17trampoline_kernelINS0_13select_configILj256ELj13ELNS0_17block_load_methodE3ELS4_3ELS4_3ELNS0_20block_scan_algorithmE0ELj4294967295EEENS1_25partition_config_selectorILNS1_17partition_subalgoE4EjNS0_10empty_typeEbEEZZNS1_14partition_implILS8_4ELb0ES6_15HIP_vector_typeIjLj2EENS0_17counting_iteratorIjlEEPS9_SG_NS0_5tupleIJPjSI_NS0_16reverse_iteratorISI_EEEEENSH_IJSG_SG_SG_EEES9_SI_JZNS1_25segmented_radix_sort_implINS0_14default_configELb0EPKaPaPKlPlN2at6native12_GLOBAL__N_18offset_tEEE10hipError_tPvRmT1_PNSt15iterator_traitsIS12_E10value_typeET2_T3_PNS13_IS18_E10value_typeET4_jRbjT5_S1E_jjP12ihipStream_tbEUljE_ZNSN_ISO_Lb0ESQ_SR_ST_SU_SY_EESZ_S10_S11_S12_S16_S17_S18_S1B_S1C_jS1D_jS1E_S1E_jjS1G_bEUljE0_EEESZ_S10_S11_S18_S1C_S1E_T6_T7_T9_mT8_S1G_bDpT10_ENKUlT_T0_E_clISt17integral_constantIbLb0EES1U_EEDaS1P_S1Q_EUlS1P_E_NS1_11comp_targetILNS1_3genE10ELNS1_11target_archE1200ELNS1_3gpuE4ELNS1_3repE0EEENS1_30default_config_static_selectorELNS0_4arch9wavefront6targetE0EEEvS12_.has_dyn_sized_stack, 0
	.set _ZN7rocprim17ROCPRIM_400000_NS6detail17trampoline_kernelINS0_13select_configILj256ELj13ELNS0_17block_load_methodE3ELS4_3ELS4_3ELNS0_20block_scan_algorithmE0ELj4294967295EEENS1_25partition_config_selectorILNS1_17partition_subalgoE4EjNS0_10empty_typeEbEEZZNS1_14partition_implILS8_4ELb0ES6_15HIP_vector_typeIjLj2EENS0_17counting_iteratorIjlEEPS9_SG_NS0_5tupleIJPjSI_NS0_16reverse_iteratorISI_EEEEENSH_IJSG_SG_SG_EEES9_SI_JZNS1_25segmented_radix_sort_implINS0_14default_configELb0EPKaPaPKlPlN2at6native12_GLOBAL__N_18offset_tEEE10hipError_tPvRmT1_PNSt15iterator_traitsIS12_E10value_typeET2_T3_PNS13_IS18_E10value_typeET4_jRbjT5_S1E_jjP12ihipStream_tbEUljE_ZNSN_ISO_Lb0ESQ_SR_ST_SU_SY_EESZ_S10_S11_S12_S16_S17_S18_S1B_S1C_jS1D_jS1E_S1E_jjS1G_bEUljE0_EEESZ_S10_S11_S18_S1C_S1E_T6_T7_T9_mT8_S1G_bDpT10_ENKUlT_T0_E_clISt17integral_constantIbLb0EES1U_EEDaS1P_S1Q_EUlS1P_E_NS1_11comp_targetILNS1_3genE10ELNS1_11target_archE1200ELNS1_3gpuE4ELNS1_3repE0EEENS1_30default_config_static_selectorELNS0_4arch9wavefront6targetE0EEEvS12_.has_recursion, 0
	.set _ZN7rocprim17ROCPRIM_400000_NS6detail17trampoline_kernelINS0_13select_configILj256ELj13ELNS0_17block_load_methodE3ELS4_3ELS4_3ELNS0_20block_scan_algorithmE0ELj4294967295EEENS1_25partition_config_selectorILNS1_17partition_subalgoE4EjNS0_10empty_typeEbEEZZNS1_14partition_implILS8_4ELb0ES6_15HIP_vector_typeIjLj2EENS0_17counting_iteratorIjlEEPS9_SG_NS0_5tupleIJPjSI_NS0_16reverse_iteratorISI_EEEEENSH_IJSG_SG_SG_EEES9_SI_JZNS1_25segmented_radix_sort_implINS0_14default_configELb0EPKaPaPKlPlN2at6native12_GLOBAL__N_18offset_tEEE10hipError_tPvRmT1_PNSt15iterator_traitsIS12_E10value_typeET2_T3_PNS13_IS18_E10value_typeET4_jRbjT5_S1E_jjP12ihipStream_tbEUljE_ZNSN_ISO_Lb0ESQ_SR_ST_SU_SY_EESZ_S10_S11_S12_S16_S17_S18_S1B_S1C_jS1D_jS1E_S1E_jjS1G_bEUljE0_EEESZ_S10_S11_S18_S1C_S1E_T6_T7_T9_mT8_S1G_bDpT10_ENKUlT_T0_E_clISt17integral_constantIbLb0EES1U_EEDaS1P_S1Q_EUlS1P_E_NS1_11comp_targetILNS1_3genE10ELNS1_11target_archE1200ELNS1_3gpuE4ELNS1_3repE0EEENS1_30default_config_static_selectorELNS0_4arch9wavefront6targetE0EEEvS12_.has_indirect_call, 0
	.section	.AMDGPU.csdata,"",@progbits
; Kernel info:
; codeLenInByte = 18900
; TotalNumSgprs: 60
; NumVgprs: 93
; ScratchSize: 0
; MemoryBound: 0
; FloatMode: 240
; IeeeMode: 1
; LDSByteSize: 13328 bytes/workgroup (compile time only)
; SGPRBlocks: 0
; VGPRBlocks: 11
; NumSGPRsForWavesPerEU: 60
; NumVGPRsForWavesPerEU: 93
; Occupancy: 16
; WaveLimiterHint : 1
; COMPUTE_PGM_RSRC2:SCRATCH_EN: 0
; COMPUTE_PGM_RSRC2:USER_SGPR: 2
; COMPUTE_PGM_RSRC2:TRAP_HANDLER: 0
; COMPUTE_PGM_RSRC2:TGID_X_EN: 1
; COMPUTE_PGM_RSRC2:TGID_Y_EN: 0
; COMPUTE_PGM_RSRC2:TGID_Z_EN: 0
; COMPUTE_PGM_RSRC2:TIDIG_COMP_CNT: 0
	.section	.text._ZN7rocprim17ROCPRIM_400000_NS6detail17trampoline_kernelINS0_13select_configILj256ELj13ELNS0_17block_load_methodE3ELS4_3ELS4_3ELNS0_20block_scan_algorithmE0ELj4294967295EEENS1_25partition_config_selectorILNS1_17partition_subalgoE4EjNS0_10empty_typeEbEEZZNS1_14partition_implILS8_4ELb0ES6_15HIP_vector_typeIjLj2EENS0_17counting_iteratorIjlEEPS9_SG_NS0_5tupleIJPjSI_NS0_16reverse_iteratorISI_EEEEENSH_IJSG_SG_SG_EEES9_SI_JZNS1_25segmented_radix_sort_implINS0_14default_configELb0EPKaPaPKlPlN2at6native12_GLOBAL__N_18offset_tEEE10hipError_tPvRmT1_PNSt15iterator_traitsIS12_E10value_typeET2_T3_PNS13_IS18_E10value_typeET4_jRbjT5_S1E_jjP12ihipStream_tbEUljE_ZNSN_ISO_Lb0ESQ_SR_ST_SU_SY_EESZ_S10_S11_S12_S16_S17_S18_S1B_S1C_jS1D_jS1E_S1E_jjS1G_bEUljE0_EEESZ_S10_S11_S18_S1C_S1E_T6_T7_T9_mT8_S1G_bDpT10_ENKUlT_T0_E_clISt17integral_constantIbLb0EES1U_EEDaS1P_S1Q_EUlS1P_E_NS1_11comp_targetILNS1_3genE9ELNS1_11target_archE1100ELNS1_3gpuE3ELNS1_3repE0EEENS1_30default_config_static_selectorELNS0_4arch9wavefront6targetE0EEEvS12_,"axG",@progbits,_ZN7rocprim17ROCPRIM_400000_NS6detail17trampoline_kernelINS0_13select_configILj256ELj13ELNS0_17block_load_methodE3ELS4_3ELS4_3ELNS0_20block_scan_algorithmE0ELj4294967295EEENS1_25partition_config_selectorILNS1_17partition_subalgoE4EjNS0_10empty_typeEbEEZZNS1_14partition_implILS8_4ELb0ES6_15HIP_vector_typeIjLj2EENS0_17counting_iteratorIjlEEPS9_SG_NS0_5tupleIJPjSI_NS0_16reverse_iteratorISI_EEEEENSH_IJSG_SG_SG_EEES9_SI_JZNS1_25segmented_radix_sort_implINS0_14default_configELb0EPKaPaPKlPlN2at6native12_GLOBAL__N_18offset_tEEE10hipError_tPvRmT1_PNSt15iterator_traitsIS12_E10value_typeET2_T3_PNS13_IS18_E10value_typeET4_jRbjT5_S1E_jjP12ihipStream_tbEUljE_ZNSN_ISO_Lb0ESQ_SR_ST_SU_SY_EESZ_S10_S11_S12_S16_S17_S18_S1B_S1C_jS1D_jS1E_S1E_jjS1G_bEUljE0_EEESZ_S10_S11_S18_S1C_S1E_T6_T7_T9_mT8_S1G_bDpT10_ENKUlT_T0_E_clISt17integral_constantIbLb0EES1U_EEDaS1P_S1Q_EUlS1P_E_NS1_11comp_targetILNS1_3genE9ELNS1_11target_archE1100ELNS1_3gpuE3ELNS1_3repE0EEENS1_30default_config_static_selectorELNS0_4arch9wavefront6targetE0EEEvS12_,comdat
	.globl	_ZN7rocprim17ROCPRIM_400000_NS6detail17trampoline_kernelINS0_13select_configILj256ELj13ELNS0_17block_load_methodE3ELS4_3ELS4_3ELNS0_20block_scan_algorithmE0ELj4294967295EEENS1_25partition_config_selectorILNS1_17partition_subalgoE4EjNS0_10empty_typeEbEEZZNS1_14partition_implILS8_4ELb0ES6_15HIP_vector_typeIjLj2EENS0_17counting_iteratorIjlEEPS9_SG_NS0_5tupleIJPjSI_NS0_16reverse_iteratorISI_EEEEENSH_IJSG_SG_SG_EEES9_SI_JZNS1_25segmented_radix_sort_implINS0_14default_configELb0EPKaPaPKlPlN2at6native12_GLOBAL__N_18offset_tEEE10hipError_tPvRmT1_PNSt15iterator_traitsIS12_E10value_typeET2_T3_PNS13_IS18_E10value_typeET4_jRbjT5_S1E_jjP12ihipStream_tbEUljE_ZNSN_ISO_Lb0ESQ_SR_ST_SU_SY_EESZ_S10_S11_S12_S16_S17_S18_S1B_S1C_jS1D_jS1E_S1E_jjS1G_bEUljE0_EEESZ_S10_S11_S18_S1C_S1E_T6_T7_T9_mT8_S1G_bDpT10_ENKUlT_T0_E_clISt17integral_constantIbLb0EES1U_EEDaS1P_S1Q_EUlS1P_E_NS1_11comp_targetILNS1_3genE9ELNS1_11target_archE1100ELNS1_3gpuE3ELNS1_3repE0EEENS1_30default_config_static_selectorELNS0_4arch9wavefront6targetE0EEEvS12_ ; -- Begin function _ZN7rocprim17ROCPRIM_400000_NS6detail17trampoline_kernelINS0_13select_configILj256ELj13ELNS0_17block_load_methodE3ELS4_3ELS4_3ELNS0_20block_scan_algorithmE0ELj4294967295EEENS1_25partition_config_selectorILNS1_17partition_subalgoE4EjNS0_10empty_typeEbEEZZNS1_14partition_implILS8_4ELb0ES6_15HIP_vector_typeIjLj2EENS0_17counting_iteratorIjlEEPS9_SG_NS0_5tupleIJPjSI_NS0_16reverse_iteratorISI_EEEEENSH_IJSG_SG_SG_EEES9_SI_JZNS1_25segmented_radix_sort_implINS0_14default_configELb0EPKaPaPKlPlN2at6native12_GLOBAL__N_18offset_tEEE10hipError_tPvRmT1_PNSt15iterator_traitsIS12_E10value_typeET2_T3_PNS13_IS18_E10value_typeET4_jRbjT5_S1E_jjP12ihipStream_tbEUljE_ZNSN_ISO_Lb0ESQ_SR_ST_SU_SY_EESZ_S10_S11_S12_S16_S17_S18_S1B_S1C_jS1D_jS1E_S1E_jjS1G_bEUljE0_EEESZ_S10_S11_S18_S1C_S1E_T6_T7_T9_mT8_S1G_bDpT10_ENKUlT_T0_E_clISt17integral_constantIbLb0EES1U_EEDaS1P_S1Q_EUlS1P_E_NS1_11comp_targetILNS1_3genE9ELNS1_11target_archE1100ELNS1_3gpuE3ELNS1_3repE0EEENS1_30default_config_static_selectorELNS0_4arch9wavefront6targetE0EEEvS12_
	.p2align	8
	.type	_ZN7rocprim17ROCPRIM_400000_NS6detail17trampoline_kernelINS0_13select_configILj256ELj13ELNS0_17block_load_methodE3ELS4_3ELS4_3ELNS0_20block_scan_algorithmE0ELj4294967295EEENS1_25partition_config_selectorILNS1_17partition_subalgoE4EjNS0_10empty_typeEbEEZZNS1_14partition_implILS8_4ELb0ES6_15HIP_vector_typeIjLj2EENS0_17counting_iteratorIjlEEPS9_SG_NS0_5tupleIJPjSI_NS0_16reverse_iteratorISI_EEEEENSH_IJSG_SG_SG_EEES9_SI_JZNS1_25segmented_radix_sort_implINS0_14default_configELb0EPKaPaPKlPlN2at6native12_GLOBAL__N_18offset_tEEE10hipError_tPvRmT1_PNSt15iterator_traitsIS12_E10value_typeET2_T3_PNS13_IS18_E10value_typeET4_jRbjT5_S1E_jjP12ihipStream_tbEUljE_ZNSN_ISO_Lb0ESQ_SR_ST_SU_SY_EESZ_S10_S11_S12_S16_S17_S18_S1B_S1C_jS1D_jS1E_S1E_jjS1G_bEUljE0_EEESZ_S10_S11_S18_S1C_S1E_T6_T7_T9_mT8_S1G_bDpT10_ENKUlT_T0_E_clISt17integral_constantIbLb0EES1U_EEDaS1P_S1Q_EUlS1P_E_NS1_11comp_targetILNS1_3genE9ELNS1_11target_archE1100ELNS1_3gpuE3ELNS1_3repE0EEENS1_30default_config_static_selectorELNS0_4arch9wavefront6targetE0EEEvS12_,@function
_ZN7rocprim17ROCPRIM_400000_NS6detail17trampoline_kernelINS0_13select_configILj256ELj13ELNS0_17block_load_methodE3ELS4_3ELS4_3ELNS0_20block_scan_algorithmE0ELj4294967295EEENS1_25partition_config_selectorILNS1_17partition_subalgoE4EjNS0_10empty_typeEbEEZZNS1_14partition_implILS8_4ELb0ES6_15HIP_vector_typeIjLj2EENS0_17counting_iteratorIjlEEPS9_SG_NS0_5tupleIJPjSI_NS0_16reverse_iteratorISI_EEEEENSH_IJSG_SG_SG_EEES9_SI_JZNS1_25segmented_radix_sort_implINS0_14default_configELb0EPKaPaPKlPlN2at6native12_GLOBAL__N_18offset_tEEE10hipError_tPvRmT1_PNSt15iterator_traitsIS12_E10value_typeET2_T3_PNS13_IS18_E10value_typeET4_jRbjT5_S1E_jjP12ihipStream_tbEUljE_ZNSN_ISO_Lb0ESQ_SR_ST_SU_SY_EESZ_S10_S11_S12_S16_S17_S18_S1B_S1C_jS1D_jS1E_S1E_jjS1G_bEUljE0_EEESZ_S10_S11_S18_S1C_S1E_T6_T7_T9_mT8_S1G_bDpT10_ENKUlT_T0_E_clISt17integral_constantIbLb0EES1U_EEDaS1P_S1Q_EUlS1P_E_NS1_11comp_targetILNS1_3genE9ELNS1_11target_archE1100ELNS1_3gpuE3ELNS1_3repE0EEENS1_30default_config_static_selectorELNS0_4arch9wavefront6targetE0EEEvS12_: ; @_ZN7rocprim17ROCPRIM_400000_NS6detail17trampoline_kernelINS0_13select_configILj256ELj13ELNS0_17block_load_methodE3ELS4_3ELS4_3ELNS0_20block_scan_algorithmE0ELj4294967295EEENS1_25partition_config_selectorILNS1_17partition_subalgoE4EjNS0_10empty_typeEbEEZZNS1_14partition_implILS8_4ELb0ES6_15HIP_vector_typeIjLj2EENS0_17counting_iteratorIjlEEPS9_SG_NS0_5tupleIJPjSI_NS0_16reverse_iteratorISI_EEEEENSH_IJSG_SG_SG_EEES9_SI_JZNS1_25segmented_radix_sort_implINS0_14default_configELb0EPKaPaPKlPlN2at6native12_GLOBAL__N_18offset_tEEE10hipError_tPvRmT1_PNSt15iterator_traitsIS12_E10value_typeET2_T3_PNS13_IS18_E10value_typeET4_jRbjT5_S1E_jjP12ihipStream_tbEUljE_ZNSN_ISO_Lb0ESQ_SR_ST_SU_SY_EESZ_S10_S11_S12_S16_S17_S18_S1B_S1C_jS1D_jS1E_S1E_jjS1G_bEUljE0_EEESZ_S10_S11_S18_S1C_S1E_T6_T7_T9_mT8_S1G_bDpT10_ENKUlT_T0_E_clISt17integral_constantIbLb0EES1U_EEDaS1P_S1Q_EUlS1P_E_NS1_11comp_targetILNS1_3genE9ELNS1_11target_archE1100ELNS1_3gpuE3ELNS1_3repE0EEENS1_30default_config_static_selectorELNS0_4arch9wavefront6targetE0EEEvS12_
; %bb.0:
	.section	.rodata,"a",@progbits
	.p2align	6, 0x0
	.amdhsa_kernel _ZN7rocprim17ROCPRIM_400000_NS6detail17trampoline_kernelINS0_13select_configILj256ELj13ELNS0_17block_load_methodE3ELS4_3ELS4_3ELNS0_20block_scan_algorithmE0ELj4294967295EEENS1_25partition_config_selectorILNS1_17partition_subalgoE4EjNS0_10empty_typeEbEEZZNS1_14partition_implILS8_4ELb0ES6_15HIP_vector_typeIjLj2EENS0_17counting_iteratorIjlEEPS9_SG_NS0_5tupleIJPjSI_NS0_16reverse_iteratorISI_EEEEENSH_IJSG_SG_SG_EEES9_SI_JZNS1_25segmented_radix_sort_implINS0_14default_configELb0EPKaPaPKlPlN2at6native12_GLOBAL__N_18offset_tEEE10hipError_tPvRmT1_PNSt15iterator_traitsIS12_E10value_typeET2_T3_PNS13_IS18_E10value_typeET4_jRbjT5_S1E_jjP12ihipStream_tbEUljE_ZNSN_ISO_Lb0ESQ_SR_ST_SU_SY_EESZ_S10_S11_S12_S16_S17_S18_S1B_S1C_jS1D_jS1E_S1E_jjS1G_bEUljE0_EEESZ_S10_S11_S18_S1C_S1E_T6_T7_T9_mT8_S1G_bDpT10_ENKUlT_T0_E_clISt17integral_constantIbLb0EES1U_EEDaS1P_S1Q_EUlS1P_E_NS1_11comp_targetILNS1_3genE9ELNS1_11target_archE1100ELNS1_3gpuE3ELNS1_3repE0EEENS1_30default_config_static_selectorELNS0_4arch9wavefront6targetE0EEEvS12_
		.amdhsa_group_segment_fixed_size 0
		.amdhsa_private_segment_fixed_size 0
		.amdhsa_kernarg_size 176
		.amdhsa_user_sgpr_count 2
		.amdhsa_user_sgpr_dispatch_ptr 0
		.amdhsa_user_sgpr_queue_ptr 0
		.amdhsa_user_sgpr_kernarg_segment_ptr 1
		.amdhsa_user_sgpr_dispatch_id 0
		.amdhsa_user_sgpr_private_segment_size 0
		.amdhsa_wavefront_size32 1
		.amdhsa_uses_dynamic_stack 0
		.amdhsa_enable_private_segment 0
		.amdhsa_system_sgpr_workgroup_id_x 1
		.amdhsa_system_sgpr_workgroup_id_y 0
		.amdhsa_system_sgpr_workgroup_id_z 0
		.amdhsa_system_sgpr_workgroup_info 0
		.amdhsa_system_vgpr_workitem_id 0
		.amdhsa_next_free_vgpr 1
		.amdhsa_next_free_sgpr 1
		.amdhsa_reserve_vcc 0
		.amdhsa_float_round_mode_32 0
		.amdhsa_float_round_mode_16_64 0
		.amdhsa_float_denorm_mode_32 3
		.amdhsa_float_denorm_mode_16_64 3
		.amdhsa_fp16_overflow 0
		.amdhsa_workgroup_processor_mode 1
		.amdhsa_memory_ordered 1
		.amdhsa_forward_progress 1
		.amdhsa_inst_pref_size 0
		.amdhsa_round_robin_scheduling 0
		.amdhsa_exception_fp_ieee_invalid_op 0
		.amdhsa_exception_fp_denorm_src 0
		.amdhsa_exception_fp_ieee_div_zero 0
		.amdhsa_exception_fp_ieee_overflow 0
		.amdhsa_exception_fp_ieee_underflow 0
		.amdhsa_exception_fp_ieee_inexact 0
		.amdhsa_exception_int_div_zero 0
	.end_amdhsa_kernel
	.section	.text._ZN7rocprim17ROCPRIM_400000_NS6detail17trampoline_kernelINS0_13select_configILj256ELj13ELNS0_17block_load_methodE3ELS4_3ELS4_3ELNS0_20block_scan_algorithmE0ELj4294967295EEENS1_25partition_config_selectorILNS1_17partition_subalgoE4EjNS0_10empty_typeEbEEZZNS1_14partition_implILS8_4ELb0ES6_15HIP_vector_typeIjLj2EENS0_17counting_iteratorIjlEEPS9_SG_NS0_5tupleIJPjSI_NS0_16reverse_iteratorISI_EEEEENSH_IJSG_SG_SG_EEES9_SI_JZNS1_25segmented_radix_sort_implINS0_14default_configELb0EPKaPaPKlPlN2at6native12_GLOBAL__N_18offset_tEEE10hipError_tPvRmT1_PNSt15iterator_traitsIS12_E10value_typeET2_T3_PNS13_IS18_E10value_typeET4_jRbjT5_S1E_jjP12ihipStream_tbEUljE_ZNSN_ISO_Lb0ESQ_SR_ST_SU_SY_EESZ_S10_S11_S12_S16_S17_S18_S1B_S1C_jS1D_jS1E_S1E_jjS1G_bEUljE0_EEESZ_S10_S11_S18_S1C_S1E_T6_T7_T9_mT8_S1G_bDpT10_ENKUlT_T0_E_clISt17integral_constantIbLb0EES1U_EEDaS1P_S1Q_EUlS1P_E_NS1_11comp_targetILNS1_3genE9ELNS1_11target_archE1100ELNS1_3gpuE3ELNS1_3repE0EEENS1_30default_config_static_selectorELNS0_4arch9wavefront6targetE0EEEvS12_,"axG",@progbits,_ZN7rocprim17ROCPRIM_400000_NS6detail17trampoline_kernelINS0_13select_configILj256ELj13ELNS0_17block_load_methodE3ELS4_3ELS4_3ELNS0_20block_scan_algorithmE0ELj4294967295EEENS1_25partition_config_selectorILNS1_17partition_subalgoE4EjNS0_10empty_typeEbEEZZNS1_14partition_implILS8_4ELb0ES6_15HIP_vector_typeIjLj2EENS0_17counting_iteratorIjlEEPS9_SG_NS0_5tupleIJPjSI_NS0_16reverse_iteratorISI_EEEEENSH_IJSG_SG_SG_EEES9_SI_JZNS1_25segmented_radix_sort_implINS0_14default_configELb0EPKaPaPKlPlN2at6native12_GLOBAL__N_18offset_tEEE10hipError_tPvRmT1_PNSt15iterator_traitsIS12_E10value_typeET2_T3_PNS13_IS18_E10value_typeET4_jRbjT5_S1E_jjP12ihipStream_tbEUljE_ZNSN_ISO_Lb0ESQ_SR_ST_SU_SY_EESZ_S10_S11_S12_S16_S17_S18_S1B_S1C_jS1D_jS1E_S1E_jjS1G_bEUljE0_EEESZ_S10_S11_S18_S1C_S1E_T6_T7_T9_mT8_S1G_bDpT10_ENKUlT_T0_E_clISt17integral_constantIbLb0EES1U_EEDaS1P_S1Q_EUlS1P_E_NS1_11comp_targetILNS1_3genE9ELNS1_11target_archE1100ELNS1_3gpuE3ELNS1_3repE0EEENS1_30default_config_static_selectorELNS0_4arch9wavefront6targetE0EEEvS12_,comdat
.Lfunc_end335:
	.size	_ZN7rocprim17ROCPRIM_400000_NS6detail17trampoline_kernelINS0_13select_configILj256ELj13ELNS0_17block_load_methodE3ELS4_3ELS4_3ELNS0_20block_scan_algorithmE0ELj4294967295EEENS1_25partition_config_selectorILNS1_17partition_subalgoE4EjNS0_10empty_typeEbEEZZNS1_14partition_implILS8_4ELb0ES6_15HIP_vector_typeIjLj2EENS0_17counting_iteratorIjlEEPS9_SG_NS0_5tupleIJPjSI_NS0_16reverse_iteratorISI_EEEEENSH_IJSG_SG_SG_EEES9_SI_JZNS1_25segmented_radix_sort_implINS0_14default_configELb0EPKaPaPKlPlN2at6native12_GLOBAL__N_18offset_tEEE10hipError_tPvRmT1_PNSt15iterator_traitsIS12_E10value_typeET2_T3_PNS13_IS18_E10value_typeET4_jRbjT5_S1E_jjP12ihipStream_tbEUljE_ZNSN_ISO_Lb0ESQ_SR_ST_SU_SY_EESZ_S10_S11_S12_S16_S17_S18_S1B_S1C_jS1D_jS1E_S1E_jjS1G_bEUljE0_EEESZ_S10_S11_S18_S1C_S1E_T6_T7_T9_mT8_S1G_bDpT10_ENKUlT_T0_E_clISt17integral_constantIbLb0EES1U_EEDaS1P_S1Q_EUlS1P_E_NS1_11comp_targetILNS1_3genE9ELNS1_11target_archE1100ELNS1_3gpuE3ELNS1_3repE0EEENS1_30default_config_static_selectorELNS0_4arch9wavefront6targetE0EEEvS12_, .Lfunc_end335-_ZN7rocprim17ROCPRIM_400000_NS6detail17trampoline_kernelINS0_13select_configILj256ELj13ELNS0_17block_load_methodE3ELS4_3ELS4_3ELNS0_20block_scan_algorithmE0ELj4294967295EEENS1_25partition_config_selectorILNS1_17partition_subalgoE4EjNS0_10empty_typeEbEEZZNS1_14partition_implILS8_4ELb0ES6_15HIP_vector_typeIjLj2EENS0_17counting_iteratorIjlEEPS9_SG_NS0_5tupleIJPjSI_NS0_16reverse_iteratorISI_EEEEENSH_IJSG_SG_SG_EEES9_SI_JZNS1_25segmented_radix_sort_implINS0_14default_configELb0EPKaPaPKlPlN2at6native12_GLOBAL__N_18offset_tEEE10hipError_tPvRmT1_PNSt15iterator_traitsIS12_E10value_typeET2_T3_PNS13_IS18_E10value_typeET4_jRbjT5_S1E_jjP12ihipStream_tbEUljE_ZNSN_ISO_Lb0ESQ_SR_ST_SU_SY_EESZ_S10_S11_S12_S16_S17_S18_S1B_S1C_jS1D_jS1E_S1E_jjS1G_bEUljE0_EEESZ_S10_S11_S18_S1C_S1E_T6_T7_T9_mT8_S1G_bDpT10_ENKUlT_T0_E_clISt17integral_constantIbLb0EES1U_EEDaS1P_S1Q_EUlS1P_E_NS1_11comp_targetILNS1_3genE9ELNS1_11target_archE1100ELNS1_3gpuE3ELNS1_3repE0EEENS1_30default_config_static_selectorELNS0_4arch9wavefront6targetE0EEEvS12_
                                        ; -- End function
	.set _ZN7rocprim17ROCPRIM_400000_NS6detail17trampoline_kernelINS0_13select_configILj256ELj13ELNS0_17block_load_methodE3ELS4_3ELS4_3ELNS0_20block_scan_algorithmE0ELj4294967295EEENS1_25partition_config_selectorILNS1_17partition_subalgoE4EjNS0_10empty_typeEbEEZZNS1_14partition_implILS8_4ELb0ES6_15HIP_vector_typeIjLj2EENS0_17counting_iteratorIjlEEPS9_SG_NS0_5tupleIJPjSI_NS0_16reverse_iteratorISI_EEEEENSH_IJSG_SG_SG_EEES9_SI_JZNS1_25segmented_radix_sort_implINS0_14default_configELb0EPKaPaPKlPlN2at6native12_GLOBAL__N_18offset_tEEE10hipError_tPvRmT1_PNSt15iterator_traitsIS12_E10value_typeET2_T3_PNS13_IS18_E10value_typeET4_jRbjT5_S1E_jjP12ihipStream_tbEUljE_ZNSN_ISO_Lb0ESQ_SR_ST_SU_SY_EESZ_S10_S11_S12_S16_S17_S18_S1B_S1C_jS1D_jS1E_S1E_jjS1G_bEUljE0_EEESZ_S10_S11_S18_S1C_S1E_T6_T7_T9_mT8_S1G_bDpT10_ENKUlT_T0_E_clISt17integral_constantIbLb0EES1U_EEDaS1P_S1Q_EUlS1P_E_NS1_11comp_targetILNS1_3genE9ELNS1_11target_archE1100ELNS1_3gpuE3ELNS1_3repE0EEENS1_30default_config_static_selectorELNS0_4arch9wavefront6targetE0EEEvS12_.num_vgpr, 0
	.set _ZN7rocprim17ROCPRIM_400000_NS6detail17trampoline_kernelINS0_13select_configILj256ELj13ELNS0_17block_load_methodE3ELS4_3ELS4_3ELNS0_20block_scan_algorithmE0ELj4294967295EEENS1_25partition_config_selectorILNS1_17partition_subalgoE4EjNS0_10empty_typeEbEEZZNS1_14partition_implILS8_4ELb0ES6_15HIP_vector_typeIjLj2EENS0_17counting_iteratorIjlEEPS9_SG_NS0_5tupleIJPjSI_NS0_16reverse_iteratorISI_EEEEENSH_IJSG_SG_SG_EEES9_SI_JZNS1_25segmented_radix_sort_implINS0_14default_configELb0EPKaPaPKlPlN2at6native12_GLOBAL__N_18offset_tEEE10hipError_tPvRmT1_PNSt15iterator_traitsIS12_E10value_typeET2_T3_PNS13_IS18_E10value_typeET4_jRbjT5_S1E_jjP12ihipStream_tbEUljE_ZNSN_ISO_Lb0ESQ_SR_ST_SU_SY_EESZ_S10_S11_S12_S16_S17_S18_S1B_S1C_jS1D_jS1E_S1E_jjS1G_bEUljE0_EEESZ_S10_S11_S18_S1C_S1E_T6_T7_T9_mT8_S1G_bDpT10_ENKUlT_T0_E_clISt17integral_constantIbLb0EES1U_EEDaS1P_S1Q_EUlS1P_E_NS1_11comp_targetILNS1_3genE9ELNS1_11target_archE1100ELNS1_3gpuE3ELNS1_3repE0EEENS1_30default_config_static_selectorELNS0_4arch9wavefront6targetE0EEEvS12_.num_agpr, 0
	.set _ZN7rocprim17ROCPRIM_400000_NS6detail17trampoline_kernelINS0_13select_configILj256ELj13ELNS0_17block_load_methodE3ELS4_3ELS4_3ELNS0_20block_scan_algorithmE0ELj4294967295EEENS1_25partition_config_selectorILNS1_17partition_subalgoE4EjNS0_10empty_typeEbEEZZNS1_14partition_implILS8_4ELb0ES6_15HIP_vector_typeIjLj2EENS0_17counting_iteratorIjlEEPS9_SG_NS0_5tupleIJPjSI_NS0_16reverse_iteratorISI_EEEEENSH_IJSG_SG_SG_EEES9_SI_JZNS1_25segmented_radix_sort_implINS0_14default_configELb0EPKaPaPKlPlN2at6native12_GLOBAL__N_18offset_tEEE10hipError_tPvRmT1_PNSt15iterator_traitsIS12_E10value_typeET2_T3_PNS13_IS18_E10value_typeET4_jRbjT5_S1E_jjP12ihipStream_tbEUljE_ZNSN_ISO_Lb0ESQ_SR_ST_SU_SY_EESZ_S10_S11_S12_S16_S17_S18_S1B_S1C_jS1D_jS1E_S1E_jjS1G_bEUljE0_EEESZ_S10_S11_S18_S1C_S1E_T6_T7_T9_mT8_S1G_bDpT10_ENKUlT_T0_E_clISt17integral_constantIbLb0EES1U_EEDaS1P_S1Q_EUlS1P_E_NS1_11comp_targetILNS1_3genE9ELNS1_11target_archE1100ELNS1_3gpuE3ELNS1_3repE0EEENS1_30default_config_static_selectorELNS0_4arch9wavefront6targetE0EEEvS12_.numbered_sgpr, 0
	.set _ZN7rocprim17ROCPRIM_400000_NS6detail17trampoline_kernelINS0_13select_configILj256ELj13ELNS0_17block_load_methodE3ELS4_3ELS4_3ELNS0_20block_scan_algorithmE0ELj4294967295EEENS1_25partition_config_selectorILNS1_17partition_subalgoE4EjNS0_10empty_typeEbEEZZNS1_14partition_implILS8_4ELb0ES6_15HIP_vector_typeIjLj2EENS0_17counting_iteratorIjlEEPS9_SG_NS0_5tupleIJPjSI_NS0_16reverse_iteratorISI_EEEEENSH_IJSG_SG_SG_EEES9_SI_JZNS1_25segmented_radix_sort_implINS0_14default_configELb0EPKaPaPKlPlN2at6native12_GLOBAL__N_18offset_tEEE10hipError_tPvRmT1_PNSt15iterator_traitsIS12_E10value_typeET2_T3_PNS13_IS18_E10value_typeET4_jRbjT5_S1E_jjP12ihipStream_tbEUljE_ZNSN_ISO_Lb0ESQ_SR_ST_SU_SY_EESZ_S10_S11_S12_S16_S17_S18_S1B_S1C_jS1D_jS1E_S1E_jjS1G_bEUljE0_EEESZ_S10_S11_S18_S1C_S1E_T6_T7_T9_mT8_S1G_bDpT10_ENKUlT_T0_E_clISt17integral_constantIbLb0EES1U_EEDaS1P_S1Q_EUlS1P_E_NS1_11comp_targetILNS1_3genE9ELNS1_11target_archE1100ELNS1_3gpuE3ELNS1_3repE0EEENS1_30default_config_static_selectorELNS0_4arch9wavefront6targetE0EEEvS12_.num_named_barrier, 0
	.set _ZN7rocprim17ROCPRIM_400000_NS6detail17trampoline_kernelINS0_13select_configILj256ELj13ELNS0_17block_load_methodE3ELS4_3ELS4_3ELNS0_20block_scan_algorithmE0ELj4294967295EEENS1_25partition_config_selectorILNS1_17partition_subalgoE4EjNS0_10empty_typeEbEEZZNS1_14partition_implILS8_4ELb0ES6_15HIP_vector_typeIjLj2EENS0_17counting_iteratorIjlEEPS9_SG_NS0_5tupleIJPjSI_NS0_16reverse_iteratorISI_EEEEENSH_IJSG_SG_SG_EEES9_SI_JZNS1_25segmented_radix_sort_implINS0_14default_configELb0EPKaPaPKlPlN2at6native12_GLOBAL__N_18offset_tEEE10hipError_tPvRmT1_PNSt15iterator_traitsIS12_E10value_typeET2_T3_PNS13_IS18_E10value_typeET4_jRbjT5_S1E_jjP12ihipStream_tbEUljE_ZNSN_ISO_Lb0ESQ_SR_ST_SU_SY_EESZ_S10_S11_S12_S16_S17_S18_S1B_S1C_jS1D_jS1E_S1E_jjS1G_bEUljE0_EEESZ_S10_S11_S18_S1C_S1E_T6_T7_T9_mT8_S1G_bDpT10_ENKUlT_T0_E_clISt17integral_constantIbLb0EES1U_EEDaS1P_S1Q_EUlS1P_E_NS1_11comp_targetILNS1_3genE9ELNS1_11target_archE1100ELNS1_3gpuE3ELNS1_3repE0EEENS1_30default_config_static_selectorELNS0_4arch9wavefront6targetE0EEEvS12_.private_seg_size, 0
	.set _ZN7rocprim17ROCPRIM_400000_NS6detail17trampoline_kernelINS0_13select_configILj256ELj13ELNS0_17block_load_methodE3ELS4_3ELS4_3ELNS0_20block_scan_algorithmE0ELj4294967295EEENS1_25partition_config_selectorILNS1_17partition_subalgoE4EjNS0_10empty_typeEbEEZZNS1_14partition_implILS8_4ELb0ES6_15HIP_vector_typeIjLj2EENS0_17counting_iteratorIjlEEPS9_SG_NS0_5tupleIJPjSI_NS0_16reverse_iteratorISI_EEEEENSH_IJSG_SG_SG_EEES9_SI_JZNS1_25segmented_radix_sort_implINS0_14default_configELb0EPKaPaPKlPlN2at6native12_GLOBAL__N_18offset_tEEE10hipError_tPvRmT1_PNSt15iterator_traitsIS12_E10value_typeET2_T3_PNS13_IS18_E10value_typeET4_jRbjT5_S1E_jjP12ihipStream_tbEUljE_ZNSN_ISO_Lb0ESQ_SR_ST_SU_SY_EESZ_S10_S11_S12_S16_S17_S18_S1B_S1C_jS1D_jS1E_S1E_jjS1G_bEUljE0_EEESZ_S10_S11_S18_S1C_S1E_T6_T7_T9_mT8_S1G_bDpT10_ENKUlT_T0_E_clISt17integral_constantIbLb0EES1U_EEDaS1P_S1Q_EUlS1P_E_NS1_11comp_targetILNS1_3genE9ELNS1_11target_archE1100ELNS1_3gpuE3ELNS1_3repE0EEENS1_30default_config_static_selectorELNS0_4arch9wavefront6targetE0EEEvS12_.uses_vcc, 0
	.set _ZN7rocprim17ROCPRIM_400000_NS6detail17trampoline_kernelINS0_13select_configILj256ELj13ELNS0_17block_load_methodE3ELS4_3ELS4_3ELNS0_20block_scan_algorithmE0ELj4294967295EEENS1_25partition_config_selectorILNS1_17partition_subalgoE4EjNS0_10empty_typeEbEEZZNS1_14partition_implILS8_4ELb0ES6_15HIP_vector_typeIjLj2EENS0_17counting_iteratorIjlEEPS9_SG_NS0_5tupleIJPjSI_NS0_16reverse_iteratorISI_EEEEENSH_IJSG_SG_SG_EEES9_SI_JZNS1_25segmented_radix_sort_implINS0_14default_configELb0EPKaPaPKlPlN2at6native12_GLOBAL__N_18offset_tEEE10hipError_tPvRmT1_PNSt15iterator_traitsIS12_E10value_typeET2_T3_PNS13_IS18_E10value_typeET4_jRbjT5_S1E_jjP12ihipStream_tbEUljE_ZNSN_ISO_Lb0ESQ_SR_ST_SU_SY_EESZ_S10_S11_S12_S16_S17_S18_S1B_S1C_jS1D_jS1E_S1E_jjS1G_bEUljE0_EEESZ_S10_S11_S18_S1C_S1E_T6_T7_T9_mT8_S1G_bDpT10_ENKUlT_T0_E_clISt17integral_constantIbLb0EES1U_EEDaS1P_S1Q_EUlS1P_E_NS1_11comp_targetILNS1_3genE9ELNS1_11target_archE1100ELNS1_3gpuE3ELNS1_3repE0EEENS1_30default_config_static_selectorELNS0_4arch9wavefront6targetE0EEEvS12_.uses_flat_scratch, 0
	.set _ZN7rocprim17ROCPRIM_400000_NS6detail17trampoline_kernelINS0_13select_configILj256ELj13ELNS0_17block_load_methodE3ELS4_3ELS4_3ELNS0_20block_scan_algorithmE0ELj4294967295EEENS1_25partition_config_selectorILNS1_17partition_subalgoE4EjNS0_10empty_typeEbEEZZNS1_14partition_implILS8_4ELb0ES6_15HIP_vector_typeIjLj2EENS0_17counting_iteratorIjlEEPS9_SG_NS0_5tupleIJPjSI_NS0_16reverse_iteratorISI_EEEEENSH_IJSG_SG_SG_EEES9_SI_JZNS1_25segmented_radix_sort_implINS0_14default_configELb0EPKaPaPKlPlN2at6native12_GLOBAL__N_18offset_tEEE10hipError_tPvRmT1_PNSt15iterator_traitsIS12_E10value_typeET2_T3_PNS13_IS18_E10value_typeET4_jRbjT5_S1E_jjP12ihipStream_tbEUljE_ZNSN_ISO_Lb0ESQ_SR_ST_SU_SY_EESZ_S10_S11_S12_S16_S17_S18_S1B_S1C_jS1D_jS1E_S1E_jjS1G_bEUljE0_EEESZ_S10_S11_S18_S1C_S1E_T6_T7_T9_mT8_S1G_bDpT10_ENKUlT_T0_E_clISt17integral_constantIbLb0EES1U_EEDaS1P_S1Q_EUlS1P_E_NS1_11comp_targetILNS1_3genE9ELNS1_11target_archE1100ELNS1_3gpuE3ELNS1_3repE0EEENS1_30default_config_static_selectorELNS0_4arch9wavefront6targetE0EEEvS12_.has_dyn_sized_stack, 0
	.set _ZN7rocprim17ROCPRIM_400000_NS6detail17trampoline_kernelINS0_13select_configILj256ELj13ELNS0_17block_load_methodE3ELS4_3ELS4_3ELNS0_20block_scan_algorithmE0ELj4294967295EEENS1_25partition_config_selectorILNS1_17partition_subalgoE4EjNS0_10empty_typeEbEEZZNS1_14partition_implILS8_4ELb0ES6_15HIP_vector_typeIjLj2EENS0_17counting_iteratorIjlEEPS9_SG_NS0_5tupleIJPjSI_NS0_16reverse_iteratorISI_EEEEENSH_IJSG_SG_SG_EEES9_SI_JZNS1_25segmented_radix_sort_implINS0_14default_configELb0EPKaPaPKlPlN2at6native12_GLOBAL__N_18offset_tEEE10hipError_tPvRmT1_PNSt15iterator_traitsIS12_E10value_typeET2_T3_PNS13_IS18_E10value_typeET4_jRbjT5_S1E_jjP12ihipStream_tbEUljE_ZNSN_ISO_Lb0ESQ_SR_ST_SU_SY_EESZ_S10_S11_S12_S16_S17_S18_S1B_S1C_jS1D_jS1E_S1E_jjS1G_bEUljE0_EEESZ_S10_S11_S18_S1C_S1E_T6_T7_T9_mT8_S1G_bDpT10_ENKUlT_T0_E_clISt17integral_constantIbLb0EES1U_EEDaS1P_S1Q_EUlS1P_E_NS1_11comp_targetILNS1_3genE9ELNS1_11target_archE1100ELNS1_3gpuE3ELNS1_3repE0EEENS1_30default_config_static_selectorELNS0_4arch9wavefront6targetE0EEEvS12_.has_recursion, 0
	.set _ZN7rocprim17ROCPRIM_400000_NS6detail17trampoline_kernelINS0_13select_configILj256ELj13ELNS0_17block_load_methodE3ELS4_3ELS4_3ELNS0_20block_scan_algorithmE0ELj4294967295EEENS1_25partition_config_selectorILNS1_17partition_subalgoE4EjNS0_10empty_typeEbEEZZNS1_14partition_implILS8_4ELb0ES6_15HIP_vector_typeIjLj2EENS0_17counting_iteratorIjlEEPS9_SG_NS0_5tupleIJPjSI_NS0_16reverse_iteratorISI_EEEEENSH_IJSG_SG_SG_EEES9_SI_JZNS1_25segmented_radix_sort_implINS0_14default_configELb0EPKaPaPKlPlN2at6native12_GLOBAL__N_18offset_tEEE10hipError_tPvRmT1_PNSt15iterator_traitsIS12_E10value_typeET2_T3_PNS13_IS18_E10value_typeET4_jRbjT5_S1E_jjP12ihipStream_tbEUljE_ZNSN_ISO_Lb0ESQ_SR_ST_SU_SY_EESZ_S10_S11_S12_S16_S17_S18_S1B_S1C_jS1D_jS1E_S1E_jjS1G_bEUljE0_EEESZ_S10_S11_S18_S1C_S1E_T6_T7_T9_mT8_S1G_bDpT10_ENKUlT_T0_E_clISt17integral_constantIbLb0EES1U_EEDaS1P_S1Q_EUlS1P_E_NS1_11comp_targetILNS1_3genE9ELNS1_11target_archE1100ELNS1_3gpuE3ELNS1_3repE0EEENS1_30default_config_static_selectorELNS0_4arch9wavefront6targetE0EEEvS12_.has_indirect_call, 0
	.section	.AMDGPU.csdata,"",@progbits
; Kernel info:
; codeLenInByte = 0
; TotalNumSgprs: 0
; NumVgprs: 0
; ScratchSize: 0
; MemoryBound: 0
; FloatMode: 240
; IeeeMode: 1
; LDSByteSize: 0 bytes/workgroup (compile time only)
; SGPRBlocks: 0
; VGPRBlocks: 0
; NumSGPRsForWavesPerEU: 1
; NumVGPRsForWavesPerEU: 1
; Occupancy: 16
; WaveLimiterHint : 0
; COMPUTE_PGM_RSRC2:SCRATCH_EN: 0
; COMPUTE_PGM_RSRC2:USER_SGPR: 2
; COMPUTE_PGM_RSRC2:TRAP_HANDLER: 0
; COMPUTE_PGM_RSRC2:TGID_X_EN: 1
; COMPUTE_PGM_RSRC2:TGID_Y_EN: 0
; COMPUTE_PGM_RSRC2:TGID_Z_EN: 0
; COMPUTE_PGM_RSRC2:TIDIG_COMP_CNT: 0
	.section	.text._ZN7rocprim17ROCPRIM_400000_NS6detail17trampoline_kernelINS0_13select_configILj256ELj13ELNS0_17block_load_methodE3ELS4_3ELS4_3ELNS0_20block_scan_algorithmE0ELj4294967295EEENS1_25partition_config_selectorILNS1_17partition_subalgoE4EjNS0_10empty_typeEbEEZZNS1_14partition_implILS8_4ELb0ES6_15HIP_vector_typeIjLj2EENS0_17counting_iteratorIjlEEPS9_SG_NS0_5tupleIJPjSI_NS0_16reverse_iteratorISI_EEEEENSH_IJSG_SG_SG_EEES9_SI_JZNS1_25segmented_radix_sort_implINS0_14default_configELb0EPKaPaPKlPlN2at6native12_GLOBAL__N_18offset_tEEE10hipError_tPvRmT1_PNSt15iterator_traitsIS12_E10value_typeET2_T3_PNS13_IS18_E10value_typeET4_jRbjT5_S1E_jjP12ihipStream_tbEUljE_ZNSN_ISO_Lb0ESQ_SR_ST_SU_SY_EESZ_S10_S11_S12_S16_S17_S18_S1B_S1C_jS1D_jS1E_S1E_jjS1G_bEUljE0_EEESZ_S10_S11_S18_S1C_S1E_T6_T7_T9_mT8_S1G_bDpT10_ENKUlT_T0_E_clISt17integral_constantIbLb0EES1U_EEDaS1P_S1Q_EUlS1P_E_NS1_11comp_targetILNS1_3genE8ELNS1_11target_archE1030ELNS1_3gpuE2ELNS1_3repE0EEENS1_30default_config_static_selectorELNS0_4arch9wavefront6targetE0EEEvS12_,"axG",@progbits,_ZN7rocprim17ROCPRIM_400000_NS6detail17trampoline_kernelINS0_13select_configILj256ELj13ELNS0_17block_load_methodE3ELS4_3ELS4_3ELNS0_20block_scan_algorithmE0ELj4294967295EEENS1_25partition_config_selectorILNS1_17partition_subalgoE4EjNS0_10empty_typeEbEEZZNS1_14partition_implILS8_4ELb0ES6_15HIP_vector_typeIjLj2EENS0_17counting_iteratorIjlEEPS9_SG_NS0_5tupleIJPjSI_NS0_16reverse_iteratorISI_EEEEENSH_IJSG_SG_SG_EEES9_SI_JZNS1_25segmented_radix_sort_implINS0_14default_configELb0EPKaPaPKlPlN2at6native12_GLOBAL__N_18offset_tEEE10hipError_tPvRmT1_PNSt15iterator_traitsIS12_E10value_typeET2_T3_PNS13_IS18_E10value_typeET4_jRbjT5_S1E_jjP12ihipStream_tbEUljE_ZNSN_ISO_Lb0ESQ_SR_ST_SU_SY_EESZ_S10_S11_S12_S16_S17_S18_S1B_S1C_jS1D_jS1E_S1E_jjS1G_bEUljE0_EEESZ_S10_S11_S18_S1C_S1E_T6_T7_T9_mT8_S1G_bDpT10_ENKUlT_T0_E_clISt17integral_constantIbLb0EES1U_EEDaS1P_S1Q_EUlS1P_E_NS1_11comp_targetILNS1_3genE8ELNS1_11target_archE1030ELNS1_3gpuE2ELNS1_3repE0EEENS1_30default_config_static_selectorELNS0_4arch9wavefront6targetE0EEEvS12_,comdat
	.globl	_ZN7rocprim17ROCPRIM_400000_NS6detail17trampoline_kernelINS0_13select_configILj256ELj13ELNS0_17block_load_methodE3ELS4_3ELS4_3ELNS0_20block_scan_algorithmE0ELj4294967295EEENS1_25partition_config_selectorILNS1_17partition_subalgoE4EjNS0_10empty_typeEbEEZZNS1_14partition_implILS8_4ELb0ES6_15HIP_vector_typeIjLj2EENS0_17counting_iteratorIjlEEPS9_SG_NS0_5tupleIJPjSI_NS0_16reverse_iteratorISI_EEEEENSH_IJSG_SG_SG_EEES9_SI_JZNS1_25segmented_radix_sort_implINS0_14default_configELb0EPKaPaPKlPlN2at6native12_GLOBAL__N_18offset_tEEE10hipError_tPvRmT1_PNSt15iterator_traitsIS12_E10value_typeET2_T3_PNS13_IS18_E10value_typeET4_jRbjT5_S1E_jjP12ihipStream_tbEUljE_ZNSN_ISO_Lb0ESQ_SR_ST_SU_SY_EESZ_S10_S11_S12_S16_S17_S18_S1B_S1C_jS1D_jS1E_S1E_jjS1G_bEUljE0_EEESZ_S10_S11_S18_S1C_S1E_T6_T7_T9_mT8_S1G_bDpT10_ENKUlT_T0_E_clISt17integral_constantIbLb0EES1U_EEDaS1P_S1Q_EUlS1P_E_NS1_11comp_targetILNS1_3genE8ELNS1_11target_archE1030ELNS1_3gpuE2ELNS1_3repE0EEENS1_30default_config_static_selectorELNS0_4arch9wavefront6targetE0EEEvS12_ ; -- Begin function _ZN7rocprim17ROCPRIM_400000_NS6detail17trampoline_kernelINS0_13select_configILj256ELj13ELNS0_17block_load_methodE3ELS4_3ELS4_3ELNS0_20block_scan_algorithmE0ELj4294967295EEENS1_25partition_config_selectorILNS1_17partition_subalgoE4EjNS0_10empty_typeEbEEZZNS1_14partition_implILS8_4ELb0ES6_15HIP_vector_typeIjLj2EENS0_17counting_iteratorIjlEEPS9_SG_NS0_5tupleIJPjSI_NS0_16reverse_iteratorISI_EEEEENSH_IJSG_SG_SG_EEES9_SI_JZNS1_25segmented_radix_sort_implINS0_14default_configELb0EPKaPaPKlPlN2at6native12_GLOBAL__N_18offset_tEEE10hipError_tPvRmT1_PNSt15iterator_traitsIS12_E10value_typeET2_T3_PNS13_IS18_E10value_typeET4_jRbjT5_S1E_jjP12ihipStream_tbEUljE_ZNSN_ISO_Lb0ESQ_SR_ST_SU_SY_EESZ_S10_S11_S12_S16_S17_S18_S1B_S1C_jS1D_jS1E_S1E_jjS1G_bEUljE0_EEESZ_S10_S11_S18_S1C_S1E_T6_T7_T9_mT8_S1G_bDpT10_ENKUlT_T0_E_clISt17integral_constantIbLb0EES1U_EEDaS1P_S1Q_EUlS1P_E_NS1_11comp_targetILNS1_3genE8ELNS1_11target_archE1030ELNS1_3gpuE2ELNS1_3repE0EEENS1_30default_config_static_selectorELNS0_4arch9wavefront6targetE0EEEvS12_
	.p2align	8
	.type	_ZN7rocprim17ROCPRIM_400000_NS6detail17trampoline_kernelINS0_13select_configILj256ELj13ELNS0_17block_load_methodE3ELS4_3ELS4_3ELNS0_20block_scan_algorithmE0ELj4294967295EEENS1_25partition_config_selectorILNS1_17partition_subalgoE4EjNS0_10empty_typeEbEEZZNS1_14partition_implILS8_4ELb0ES6_15HIP_vector_typeIjLj2EENS0_17counting_iteratorIjlEEPS9_SG_NS0_5tupleIJPjSI_NS0_16reverse_iteratorISI_EEEEENSH_IJSG_SG_SG_EEES9_SI_JZNS1_25segmented_radix_sort_implINS0_14default_configELb0EPKaPaPKlPlN2at6native12_GLOBAL__N_18offset_tEEE10hipError_tPvRmT1_PNSt15iterator_traitsIS12_E10value_typeET2_T3_PNS13_IS18_E10value_typeET4_jRbjT5_S1E_jjP12ihipStream_tbEUljE_ZNSN_ISO_Lb0ESQ_SR_ST_SU_SY_EESZ_S10_S11_S12_S16_S17_S18_S1B_S1C_jS1D_jS1E_S1E_jjS1G_bEUljE0_EEESZ_S10_S11_S18_S1C_S1E_T6_T7_T9_mT8_S1G_bDpT10_ENKUlT_T0_E_clISt17integral_constantIbLb0EES1U_EEDaS1P_S1Q_EUlS1P_E_NS1_11comp_targetILNS1_3genE8ELNS1_11target_archE1030ELNS1_3gpuE2ELNS1_3repE0EEENS1_30default_config_static_selectorELNS0_4arch9wavefront6targetE0EEEvS12_,@function
_ZN7rocprim17ROCPRIM_400000_NS6detail17trampoline_kernelINS0_13select_configILj256ELj13ELNS0_17block_load_methodE3ELS4_3ELS4_3ELNS0_20block_scan_algorithmE0ELj4294967295EEENS1_25partition_config_selectorILNS1_17partition_subalgoE4EjNS0_10empty_typeEbEEZZNS1_14partition_implILS8_4ELb0ES6_15HIP_vector_typeIjLj2EENS0_17counting_iteratorIjlEEPS9_SG_NS0_5tupleIJPjSI_NS0_16reverse_iteratorISI_EEEEENSH_IJSG_SG_SG_EEES9_SI_JZNS1_25segmented_radix_sort_implINS0_14default_configELb0EPKaPaPKlPlN2at6native12_GLOBAL__N_18offset_tEEE10hipError_tPvRmT1_PNSt15iterator_traitsIS12_E10value_typeET2_T3_PNS13_IS18_E10value_typeET4_jRbjT5_S1E_jjP12ihipStream_tbEUljE_ZNSN_ISO_Lb0ESQ_SR_ST_SU_SY_EESZ_S10_S11_S12_S16_S17_S18_S1B_S1C_jS1D_jS1E_S1E_jjS1G_bEUljE0_EEESZ_S10_S11_S18_S1C_S1E_T6_T7_T9_mT8_S1G_bDpT10_ENKUlT_T0_E_clISt17integral_constantIbLb0EES1U_EEDaS1P_S1Q_EUlS1P_E_NS1_11comp_targetILNS1_3genE8ELNS1_11target_archE1030ELNS1_3gpuE2ELNS1_3repE0EEENS1_30default_config_static_selectorELNS0_4arch9wavefront6targetE0EEEvS12_: ; @_ZN7rocprim17ROCPRIM_400000_NS6detail17trampoline_kernelINS0_13select_configILj256ELj13ELNS0_17block_load_methodE3ELS4_3ELS4_3ELNS0_20block_scan_algorithmE0ELj4294967295EEENS1_25partition_config_selectorILNS1_17partition_subalgoE4EjNS0_10empty_typeEbEEZZNS1_14partition_implILS8_4ELb0ES6_15HIP_vector_typeIjLj2EENS0_17counting_iteratorIjlEEPS9_SG_NS0_5tupleIJPjSI_NS0_16reverse_iteratorISI_EEEEENSH_IJSG_SG_SG_EEES9_SI_JZNS1_25segmented_radix_sort_implINS0_14default_configELb0EPKaPaPKlPlN2at6native12_GLOBAL__N_18offset_tEEE10hipError_tPvRmT1_PNSt15iterator_traitsIS12_E10value_typeET2_T3_PNS13_IS18_E10value_typeET4_jRbjT5_S1E_jjP12ihipStream_tbEUljE_ZNSN_ISO_Lb0ESQ_SR_ST_SU_SY_EESZ_S10_S11_S12_S16_S17_S18_S1B_S1C_jS1D_jS1E_S1E_jjS1G_bEUljE0_EEESZ_S10_S11_S18_S1C_S1E_T6_T7_T9_mT8_S1G_bDpT10_ENKUlT_T0_E_clISt17integral_constantIbLb0EES1U_EEDaS1P_S1Q_EUlS1P_E_NS1_11comp_targetILNS1_3genE8ELNS1_11target_archE1030ELNS1_3gpuE2ELNS1_3repE0EEENS1_30default_config_static_selectorELNS0_4arch9wavefront6targetE0EEEvS12_
; %bb.0:
	.section	.rodata,"a",@progbits
	.p2align	6, 0x0
	.amdhsa_kernel _ZN7rocprim17ROCPRIM_400000_NS6detail17trampoline_kernelINS0_13select_configILj256ELj13ELNS0_17block_load_methodE3ELS4_3ELS4_3ELNS0_20block_scan_algorithmE0ELj4294967295EEENS1_25partition_config_selectorILNS1_17partition_subalgoE4EjNS0_10empty_typeEbEEZZNS1_14partition_implILS8_4ELb0ES6_15HIP_vector_typeIjLj2EENS0_17counting_iteratorIjlEEPS9_SG_NS0_5tupleIJPjSI_NS0_16reverse_iteratorISI_EEEEENSH_IJSG_SG_SG_EEES9_SI_JZNS1_25segmented_radix_sort_implINS0_14default_configELb0EPKaPaPKlPlN2at6native12_GLOBAL__N_18offset_tEEE10hipError_tPvRmT1_PNSt15iterator_traitsIS12_E10value_typeET2_T3_PNS13_IS18_E10value_typeET4_jRbjT5_S1E_jjP12ihipStream_tbEUljE_ZNSN_ISO_Lb0ESQ_SR_ST_SU_SY_EESZ_S10_S11_S12_S16_S17_S18_S1B_S1C_jS1D_jS1E_S1E_jjS1G_bEUljE0_EEESZ_S10_S11_S18_S1C_S1E_T6_T7_T9_mT8_S1G_bDpT10_ENKUlT_T0_E_clISt17integral_constantIbLb0EES1U_EEDaS1P_S1Q_EUlS1P_E_NS1_11comp_targetILNS1_3genE8ELNS1_11target_archE1030ELNS1_3gpuE2ELNS1_3repE0EEENS1_30default_config_static_selectorELNS0_4arch9wavefront6targetE0EEEvS12_
		.amdhsa_group_segment_fixed_size 0
		.amdhsa_private_segment_fixed_size 0
		.amdhsa_kernarg_size 176
		.amdhsa_user_sgpr_count 2
		.amdhsa_user_sgpr_dispatch_ptr 0
		.amdhsa_user_sgpr_queue_ptr 0
		.amdhsa_user_sgpr_kernarg_segment_ptr 1
		.amdhsa_user_sgpr_dispatch_id 0
		.amdhsa_user_sgpr_private_segment_size 0
		.amdhsa_wavefront_size32 1
		.amdhsa_uses_dynamic_stack 0
		.amdhsa_enable_private_segment 0
		.amdhsa_system_sgpr_workgroup_id_x 1
		.amdhsa_system_sgpr_workgroup_id_y 0
		.amdhsa_system_sgpr_workgroup_id_z 0
		.amdhsa_system_sgpr_workgroup_info 0
		.amdhsa_system_vgpr_workitem_id 0
		.amdhsa_next_free_vgpr 1
		.amdhsa_next_free_sgpr 1
		.amdhsa_reserve_vcc 0
		.amdhsa_float_round_mode_32 0
		.amdhsa_float_round_mode_16_64 0
		.amdhsa_float_denorm_mode_32 3
		.amdhsa_float_denorm_mode_16_64 3
		.amdhsa_fp16_overflow 0
		.amdhsa_workgroup_processor_mode 1
		.amdhsa_memory_ordered 1
		.amdhsa_forward_progress 1
		.amdhsa_inst_pref_size 0
		.amdhsa_round_robin_scheduling 0
		.amdhsa_exception_fp_ieee_invalid_op 0
		.amdhsa_exception_fp_denorm_src 0
		.amdhsa_exception_fp_ieee_div_zero 0
		.amdhsa_exception_fp_ieee_overflow 0
		.amdhsa_exception_fp_ieee_underflow 0
		.amdhsa_exception_fp_ieee_inexact 0
		.amdhsa_exception_int_div_zero 0
	.end_amdhsa_kernel
	.section	.text._ZN7rocprim17ROCPRIM_400000_NS6detail17trampoline_kernelINS0_13select_configILj256ELj13ELNS0_17block_load_methodE3ELS4_3ELS4_3ELNS0_20block_scan_algorithmE0ELj4294967295EEENS1_25partition_config_selectorILNS1_17partition_subalgoE4EjNS0_10empty_typeEbEEZZNS1_14partition_implILS8_4ELb0ES6_15HIP_vector_typeIjLj2EENS0_17counting_iteratorIjlEEPS9_SG_NS0_5tupleIJPjSI_NS0_16reverse_iteratorISI_EEEEENSH_IJSG_SG_SG_EEES9_SI_JZNS1_25segmented_radix_sort_implINS0_14default_configELb0EPKaPaPKlPlN2at6native12_GLOBAL__N_18offset_tEEE10hipError_tPvRmT1_PNSt15iterator_traitsIS12_E10value_typeET2_T3_PNS13_IS18_E10value_typeET4_jRbjT5_S1E_jjP12ihipStream_tbEUljE_ZNSN_ISO_Lb0ESQ_SR_ST_SU_SY_EESZ_S10_S11_S12_S16_S17_S18_S1B_S1C_jS1D_jS1E_S1E_jjS1G_bEUljE0_EEESZ_S10_S11_S18_S1C_S1E_T6_T7_T9_mT8_S1G_bDpT10_ENKUlT_T0_E_clISt17integral_constantIbLb0EES1U_EEDaS1P_S1Q_EUlS1P_E_NS1_11comp_targetILNS1_3genE8ELNS1_11target_archE1030ELNS1_3gpuE2ELNS1_3repE0EEENS1_30default_config_static_selectorELNS0_4arch9wavefront6targetE0EEEvS12_,"axG",@progbits,_ZN7rocprim17ROCPRIM_400000_NS6detail17trampoline_kernelINS0_13select_configILj256ELj13ELNS0_17block_load_methodE3ELS4_3ELS4_3ELNS0_20block_scan_algorithmE0ELj4294967295EEENS1_25partition_config_selectorILNS1_17partition_subalgoE4EjNS0_10empty_typeEbEEZZNS1_14partition_implILS8_4ELb0ES6_15HIP_vector_typeIjLj2EENS0_17counting_iteratorIjlEEPS9_SG_NS0_5tupleIJPjSI_NS0_16reverse_iteratorISI_EEEEENSH_IJSG_SG_SG_EEES9_SI_JZNS1_25segmented_radix_sort_implINS0_14default_configELb0EPKaPaPKlPlN2at6native12_GLOBAL__N_18offset_tEEE10hipError_tPvRmT1_PNSt15iterator_traitsIS12_E10value_typeET2_T3_PNS13_IS18_E10value_typeET4_jRbjT5_S1E_jjP12ihipStream_tbEUljE_ZNSN_ISO_Lb0ESQ_SR_ST_SU_SY_EESZ_S10_S11_S12_S16_S17_S18_S1B_S1C_jS1D_jS1E_S1E_jjS1G_bEUljE0_EEESZ_S10_S11_S18_S1C_S1E_T6_T7_T9_mT8_S1G_bDpT10_ENKUlT_T0_E_clISt17integral_constantIbLb0EES1U_EEDaS1P_S1Q_EUlS1P_E_NS1_11comp_targetILNS1_3genE8ELNS1_11target_archE1030ELNS1_3gpuE2ELNS1_3repE0EEENS1_30default_config_static_selectorELNS0_4arch9wavefront6targetE0EEEvS12_,comdat
.Lfunc_end336:
	.size	_ZN7rocprim17ROCPRIM_400000_NS6detail17trampoline_kernelINS0_13select_configILj256ELj13ELNS0_17block_load_methodE3ELS4_3ELS4_3ELNS0_20block_scan_algorithmE0ELj4294967295EEENS1_25partition_config_selectorILNS1_17partition_subalgoE4EjNS0_10empty_typeEbEEZZNS1_14partition_implILS8_4ELb0ES6_15HIP_vector_typeIjLj2EENS0_17counting_iteratorIjlEEPS9_SG_NS0_5tupleIJPjSI_NS0_16reverse_iteratorISI_EEEEENSH_IJSG_SG_SG_EEES9_SI_JZNS1_25segmented_radix_sort_implINS0_14default_configELb0EPKaPaPKlPlN2at6native12_GLOBAL__N_18offset_tEEE10hipError_tPvRmT1_PNSt15iterator_traitsIS12_E10value_typeET2_T3_PNS13_IS18_E10value_typeET4_jRbjT5_S1E_jjP12ihipStream_tbEUljE_ZNSN_ISO_Lb0ESQ_SR_ST_SU_SY_EESZ_S10_S11_S12_S16_S17_S18_S1B_S1C_jS1D_jS1E_S1E_jjS1G_bEUljE0_EEESZ_S10_S11_S18_S1C_S1E_T6_T7_T9_mT8_S1G_bDpT10_ENKUlT_T0_E_clISt17integral_constantIbLb0EES1U_EEDaS1P_S1Q_EUlS1P_E_NS1_11comp_targetILNS1_3genE8ELNS1_11target_archE1030ELNS1_3gpuE2ELNS1_3repE0EEENS1_30default_config_static_selectorELNS0_4arch9wavefront6targetE0EEEvS12_, .Lfunc_end336-_ZN7rocprim17ROCPRIM_400000_NS6detail17trampoline_kernelINS0_13select_configILj256ELj13ELNS0_17block_load_methodE3ELS4_3ELS4_3ELNS0_20block_scan_algorithmE0ELj4294967295EEENS1_25partition_config_selectorILNS1_17partition_subalgoE4EjNS0_10empty_typeEbEEZZNS1_14partition_implILS8_4ELb0ES6_15HIP_vector_typeIjLj2EENS0_17counting_iteratorIjlEEPS9_SG_NS0_5tupleIJPjSI_NS0_16reverse_iteratorISI_EEEEENSH_IJSG_SG_SG_EEES9_SI_JZNS1_25segmented_radix_sort_implINS0_14default_configELb0EPKaPaPKlPlN2at6native12_GLOBAL__N_18offset_tEEE10hipError_tPvRmT1_PNSt15iterator_traitsIS12_E10value_typeET2_T3_PNS13_IS18_E10value_typeET4_jRbjT5_S1E_jjP12ihipStream_tbEUljE_ZNSN_ISO_Lb0ESQ_SR_ST_SU_SY_EESZ_S10_S11_S12_S16_S17_S18_S1B_S1C_jS1D_jS1E_S1E_jjS1G_bEUljE0_EEESZ_S10_S11_S18_S1C_S1E_T6_T7_T9_mT8_S1G_bDpT10_ENKUlT_T0_E_clISt17integral_constantIbLb0EES1U_EEDaS1P_S1Q_EUlS1P_E_NS1_11comp_targetILNS1_3genE8ELNS1_11target_archE1030ELNS1_3gpuE2ELNS1_3repE0EEENS1_30default_config_static_selectorELNS0_4arch9wavefront6targetE0EEEvS12_
                                        ; -- End function
	.set _ZN7rocprim17ROCPRIM_400000_NS6detail17trampoline_kernelINS0_13select_configILj256ELj13ELNS0_17block_load_methodE3ELS4_3ELS4_3ELNS0_20block_scan_algorithmE0ELj4294967295EEENS1_25partition_config_selectorILNS1_17partition_subalgoE4EjNS0_10empty_typeEbEEZZNS1_14partition_implILS8_4ELb0ES6_15HIP_vector_typeIjLj2EENS0_17counting_iteratorIjlEEPS9_SG_NS0_5tupleIJPjSI_NS0_16reverse_iteratorISI_EEEEENSH_IJSG_SG_SG_EEES9_SI_JZNS1_25segmented_radix_sort_implINS0_14default_configELb0EPKaPaPKlPlN2at6native12_GLOBAL__N_18offset_tEEE10hipError_tPvRmT1_PNSt15iterator_traitsIS12_E10value_typeET2_T3_PNS13_IS18_E10value_typeET4_jRbjT5_S1E_jjP12ihipStream_tbEUljE_ZNSN_ISO_Lb0ESQ_SR_ST_SU_SY_EESZ_S10_S11_S12_S16_S17_S18_S1B_S1C_jS1D_jS1E_S1E_jjS1G_bEUljE0_EEESZ_S10_S11_S18_S1C_S1E_T6_T7_T9_mT8_S1G_bDpT10_ENKUlT_T0_E_clISt17integral_constantIbLb0EES1U_EEDaS1P_S1Q_EUlS1P_E_NS1_11comp_targetILNS1_3genE8ELNS1_11target_archE1030ELNS1_3gpuE2ELNS1_3repE0EEENS1_30default_config_static_selectorELNS0_4arch9wavefront6targetE0EEEvS12_.num_vgpr, 0
	.set _ZN7rocprim17ROCPRIM_400000_NS6detail17trampoline_kernelINS0_13select_configILj256ELj13ELNS0_17block_load_methodE3ELS4_3ELS4_3ELNS0_20block_scan_algorithmE0ELj4294967295EEENS1_25partition_config_selectorILNS1_17partition_subalgoE4EjNS0_10empty_typeEbEEZZNS1_14partition_implILS8_4ELb0ES6_15HIP_vector_typeIjLj2EENS0_17counting_iteratorIjlEEPS9_SG_NS0_5tupleIJPjSI_NS0_16reverse_iteratorISI_EEEEENSH_IJSG_SG_SG_EEES9_SI_JZNS1_25segmented_radix_sort_implINS0_14default_configELb0EPKaPaPKlPlN2at6native12_GLOBAL__N_18offset_tEEE10hipError_tPvRmT1_PNSt15iterator_traitsIS12_E10value_typeET2_T3_PNS13_IS18_E10value_typeET4_jRbjT5_S1E_jjP12ihipStream_tbEUljE_ZNSN_ISO_Lb0ESQ_SR_ST_SU_SY_EESZ_S10_S11_S12_S16_S17_S18_S1B_S1C_jS1D_jS1E_S1E_jjS1G_bEUljE0_EEESZ_S10_S11_S18_S1C_S1E_T6_T7_T9_mT8_S1G_bDpT10_ENKUlT_T0_E_clISt17integral_constantIbLb0EES1U_EEDaS1P_S1Q_EUlS1P_E_NS1_11comp_targetILNS1_3genE8ELNS1_11target_archE1030ELNS1_3gpuE2ELNS1_3repE0EEENS1_30default_config_static_selectorELNS0_4arch9wavefront6targetE0EEEvS12_.num_agpr, 0
	.set _ZN7rocprim17ROCPRIM_400000_NS6detail17trampoline_kernelINS0_13select_configILj256ELj13ELNS0_17block_load_methodE3ELS4_3ELS4_3ELNS0_20block_scan_algorithmE0ELj4294967295EEENS1_25partition_config_selectorILNS1_17partition_subalgoE4EjNS0_10empty_typeEbEEZZNS1_14partition_implILS8_4ELb0ES6_15HIP_vector_typeIjLj2EENS0_17counting_iteratorIjlEEPS9_SG_NS0_5tupleIJPjSI_NS0_16reverse_iteratorISI_EEEEENSH_IJSG_SG_SG_EEES9_SI_JZNS1_25segmented_radix_sort_implINS0_14default_configELb0EPKaPaPKlPlN2at6native12_GLOBAL__N_18offset_tEEE10hipError_tPvRmT1_PNSt15iterator_traitsIS12_E10value_typeET2_T3_PNS13_IS18_E10value_typeET4_jRbjT5_S1E_jjP12ihipStream_tbEUljE_ZNSN_ISO_Lb0ESQ_SR_ST_SU_SY_EESZ_S10_S11_S12_S16_S17_S18_S1B_S1C_jS1D_jS1E_S1E_jjS1G_bEUljE0_EEESZ_S10_S11_S18_S1C_S1E_T6_T7_T9_mT8_S1G_bDpT10_ENKUlT_T0_E_clISt17integral_constantIbLb0EES1U_EEDaS1P_S1Q_EUlS1P_E_NS1_11comp_targetILNS1_3genE8ELNS1_11target_archE1030ELNS1_3gpuE2ELNS1_3repE0EEENS1_30default_config_static_selectorELNS0_4arch9wavefront6targetE0EEEvS12_.numbered_sgpr, 0
	.set _ZN7rocprim17ROCPRIM_400000_NS6detail17trampoline_kernelINS0_13select_configILj256ELj13ELNS0_17block_load_methodE3ELS4_3ELS4_3ELNS0_20block_scan_algorithmE0ELj4294967295EEENS1_25partition_config_selectorILNS1_17partition_subalgoE4EjNS0_10empty_typeEbEEZZNS1_14partition_implILS8_4ELb0ES6_15HIP_vector_typeIjLj2EENS0_17counting_iteratorIjlEEPS9_SG_NS0_5tupleIJPjSI_NS0_16reverse_iteratorISI_EEEEENSH_IJSG_SG_SG_EEES9_SI_JZNS1_25segmented_radix_sort_implINS0_14default_configELb0EPKaPaPKlPlN2at6native12_GLOBAL__N_18offset_tEEE10hipError_tPvRmT1_PNSt15iterator_traitsIS12_E10value_typeET2_T3_PNS13_IS18_E10value_typeET4_jRbjT5_S1E_jjP12ihipStream_tbEUljE_ZNSN_ISO_Lb0ESQ_SR_ST_SU_SY_EESZ_S10_S11_S12_S16_S17_S18_S1B_S1C_jS1D_jS1E_S1E_jjS1G_bEUljE0_EEESZ_S10_S11_S18_S1C_S1E_T6_T7_T9_mT8_S1G_bDpT10_ENKUlT_T0_E_clISt17integral_constantIbLb0EES1U_EEDaS1P_S1Q_EUlS1P_E_NS1_11comp_targetILNS1_3genE8ELNS1_11target_archE1030ELNS1_3gpuE2ELNS1_3repE0EEENS1_30default_config_static_selectorELNS0_4arch9wavefront6targetE0EEEvS12_.num_named_barrier, 0
	.set _ZN7rocprim17ROCPRIM_400000_NS6detail17trampoline_kernelINS0_13select_configILj256ELj13ELNS0_17block_load_methodE3ELS4_3ELS4_3ELNS0_20block_scan_algorithmE0ELj4294967295EEENS1_25partition_config_selectorILNS1_17partition_subalgoE4EjNS0_10empty_typeEbEEZZNS1_14partition_implILS8_4ELb0ES6_15HIP_vector_typeIjLj2EENS0_17counting_iteratorIjlEEPS9_SG_NS0_5tupleIJPjSI_NS0_16reverse_iteratorISI_EEEEENSH_IJSG_SG_SG_EEES9_SI_JZNS1_25segmented_radix_sort_implINS0_14default_configELb0EPKaPaPKlPlN2at6native12_GLOBAL__N_18offset_tEEE10hipError_tPvRmT1_PNSt15iterator_traitsIS12_E10value_typeET2_T3_PNS13_IS18_E10value_typeET4_jRbjT5_S1E_jjP12ihipStream_tbEUljE_ZNSN_ISO_Lb0ESQ_SR_ST_SU_SY_EESZ_S10_S11_S12_S16_S17_S18_S1B_S1C_jS1D_jS1E_S1E_jjS1G_bEUljE0_EEESZ_S10_S11_S18_S1C_S1E_T6_T7_T9_mT8_S1G_bDpT10_ENKUlT_T0_E_clISt17integral_constantIbLb0EES1U_EEDaS1P_S1Q_EUlS1P_E_NS1_11comp_targetILNS1_3genE8ELNS1_11target_archE1030ELNS1_3gpuE2ELNS1_3repE0EEENS1_30default_config_static_selectorELNS0_4arch9wavefront6targetE0EEEvS12_.private_seg_size, 0
	.set _ZN7rocprim17ROCPRIM_400000_NS6detail17trampoline_kernelINS0_13select_configILj256ELj13ELNS0_17block_load_methodE3ELS4_3ELS4_3ELNS0_20block_scan_algorithmE0ELj4294967295EEENS1_25partition_config_selectorILNS1_17partition_subalgoE4EjNS0_10empty_typeEbEEZZNS1_14partition_implILS8_4ELb0ES6_15HIP_vector_typeIjLj2EENS0_17counting_iteratorIjlEEPS9_SG_NS0_5tupleIJPjSI_NS0_16reverse_iteratorISI_EEEEENSH_IJSG_SG_SG_EEES9_SI_JZNS1_25segmented_radix_sort_implINS0_14default_configELb0EPKaPaPKlPlN2at6native12_GLOBAL__N_18offset_tEEE10hipError_tPvRmT1_PNSt15iterator_traitsIS12_E10value_typeET2_T3_PNS13_IS18_E10value_typeET4_jRbjT5_S1E_jjP12ihipStream_tbEUljE_ZNSN_ISO_Lb0ESQ_SR_ST_SU_SY_EESZ_S10_S11_S12_S16_S17_S18_S1B_S1C_jS1D_jS1E_S1E_jjS1G_bEUljE0_EEESZ_S10_S11_S18_S1C_S1E_T6_T7_T9_mT8_S1G_bDpT10_ENKUlT_T0_E_clISt17integral_constantIbLb0EES1U_EEDaS1P_S1Q_EUlS1P_E_NS1_11comp_targetILNS1_3genE8ELNS1_11target_archE1030ELNS1_3gpuE2ELNS1_3repE0EEENS1_30default_config_static_selectorELNS0_4arch9wavefront6targetE0EEEvS12_.uses_vcc, 0
	.set _ZN7rocprim17ROCPRIM_400000_NS6detail17trampoline_kernelINS0_13select_configILj256ELj13ELNS0_17block_load_methodE3ELS4_3ELS4_3ELNS0_20block_scan_algorithmE0ELj4294967295EEENS1_25partition_config_selectorILNS1_17partition_subalgoE4EjNS0_10empty_typeEbEEZZNS1_14partition_implILS8_4ELb0ES6_15HIP_vector_typeIjLj2EENS0_17counting_iteratorIjlEEPS9_SG_NS0_5tupleIJPjSI_NS0_16reverse_iteratorISI_EEEEENSH_IJSG_SG_SG_EEES9_SI_JZNS1_25segmented_radix_sort_implINS0_14default_configELb0EPKaPaPKlPlN2at6native12_GLOBAL__N_18offset_tEEE10hipError_tPvRmT1_PNSt15iterator_traitsIS12_E10value_typeET2_T3_PNS13_IS18_E10value_typeET4_jRbjT5_S1E_jjP12ihipStream_tbEUljE_ZNSN_ISO_Lb0ESQ_SR_ST_SU_SY_EESZ_S10_S11_S12_S16_S17_S18_S1B_S1C_jS1D_jS1E_S1E_jjS1G_bEUljE0_EEESZ_S10_S11_S18_S1C_S1E_T6_T7_T9_mT8_S1G_bDpT10_ENKUlT_T0_E_clISt17integral_constantIbLb0EES1U_EEDaS1P_S1Q_EUlS1P_E_NS1_11comp_targetILNS1_3genE8ELNS1_11target_archE1030ELNS1_3gpuE2ELNS1_3repE0EEENS1_30default_config_static_selectorELNS0_4arch9wavefront6targetE0EEEvS12_.uses_flat_scratch, 0
	.set _ZN7rocprim17ROCPRIM_400000_NS6detail17trampoline_kernelINS0_13select_configILj256ELj13ELNS0_17block_load_methodE3ELS4_3ELS4_3ELNS0_20block_scan_algorithmE0ELj4294967295EEENS1_25partition_config_selectorILNS1_17partition_subalgoE4EjNS0_10empty_typeEbEEZZNS1_14partition_implILS8_4ELb0ES6_15HIP_vector_typeIjLj2EENS0_17counting_iteratorIjlEEPS9_SG_NS0_5tupleIJPjSI_NS0_16reverse_iteratorISI_EEEEENSH_IJSG_SG_SG_EEES9_SI_JZNS1_25segmented_radix_sort_implINS0_14default_configELb0EPKaPaPKlPlN2at6native12_GLOBAL__N_18offset_tEEE10hipError_tPvRmT1_PNSt15iterator_traitsIS12_E10value_typeET2_T3_PNS13_IS18_E10value_typeET4_jRbjT5_S1E_jjP12ihipStream_tbEUljE_ZNSN_ISO_Lb0ESQ_SR_ST_SU_SY_EESZ_S10_S11_S12_S16_S17_S18_S1B_S1C_jS1D_jS1E_S1E_jjS1G_bEUljE0_EEESZ_S10_S11_S18_S1C_S1E_T6_T7_T9_mT8_S1G_bDpT10_ENKUlT_T0_E_clISt17integral_constantIbLb0EES1U_EEDaS1P_S1Q_EUlS1P_E_NS1_11comp_targetILNS1_3genE8ELNS1_11target_archE1030ELNS1_3gpuE2ELNS1_3repE0EEENS1_30default_config_static_selectorELNS0_4arch9wavefront6targetE0EEEvS12_.has_dyn_sized_stack, 0
	.set _ZN7rocprim17ROCPRIM_400000_NS6detail17trampoline_kernelINS0_13select_configILj256ELj13ELNS0_17block_load_methodE3ELS4_3ELS4_3ELNS0_20block_scan_algorithmE0ELj4294967295EEENS1_25partition_config_selectorILNS1_17partition_subalgoE4EjNS0_10empty_typeEbEEZZNS1_14partition_implILS8_4ELb0ES6_15HIP_vector_typeIjLj2EENS0_17counting_iteratorIjlEEPS9_SG_NS0_5tupleIJPjSI_NS0_16reverse_iteratorISI_EEEEENSH_IJSG_SG_SG_EEES9_SI_JZNS1_25segmented_radix_sort_implINS0_14default_configELb0EPKaPaPKlPlN2at6native12_GLOBAL__N_18offset_tEEE10hipError_tPvRmT1_PNSt15iterator_traitsIS12_E10value_typeET2_T3_PNS13_IS18_E10value_typeET4_jRbjT5_S1E_jjP12ihipStream_tbEUljE_ZNSN_ISO_Lb0ESQ_SR_ST_SU_SY_EESZ_S10_S11_S12_S16_S17_S18_S1B_S1C_jS1D_jS1E_S1E_jjS1G_bEUljE0_EEESZ_S10_S11_S18_S1C_S1E_T6_T7_T9_mT8_S1G_bDpT10_ENKUlT_T0_E_clISt17integral_constantIbLb0EES1U_EEDaS1P_S1Q_EUlS1P_E_NS1_11comp_targetILNS1_3genE8ELNS1_11target_archE1030ELNS1_3gpuE2ELNS1_3repE0EEENS1_30default_config_static_selectorELNS0_4arch9wavefront6targetE0EEEvS12_.has_recursion, 0
	.set _ZN7rocprim17ROCPRIM_400000_NS6detail17trampoline_kernelINS0_13select_configILj256ELj13ELNS0_17block_load_methodE3ELS4_3ELS4_3ELNS0_20block_scan_algorithmE0ELj4294967295EEENS1_25partition_config_selectorILNS1_17partition_subalgoE4EjNS0_10empty_typeEbEEZZNS1_14partition_implILS8_4ELb0ES6_15HIP_vector_typeIjLj2EENS0_17counting_iteratorIjlEEPS9_SG_NS0_5tupleIJPjSI_NS0_16reverse_iteratorISI_EEEEENSH_IJSG_SG_SG_EEES9_SI_JZNS1_25segmented_radix_sort_implINS0_14default_configELb0EPKaPaPKlPlN2at6native12_GLOBAL__N_18offset_tEEE10hipError_tPvRmT1_PNSt15iterator_traitsIS12_E10value_typeET2_T3_PNS13_IS18_E10value_typeET4_jRbjT5_S1E_jjP12ihipStream_tbEUljE_ZNSN_ISO_Lb0ESQ_SR_ST_SU_SY_EESZ_S10_S11_S12_S16_S17_S18_S1B_S1C_jS1D_jS1E_S1E_jjS1G_bEUljE0_EEESZ_S10_S11_S18_S1C_S1E_T6_T7_T9_mT8_S1G_bDpT10_ENKUlT_T0_E_clISt17integral_constantIbLb0EES1U_EEDaS1P_S1Q_EUlS1P_E_NS1_11comp_targetILNS1_3genE8ELNS1_11target_archE1030ELNS1_3gpuE2ELNS1_3repE0EEENS1_30default_config_static_selectorELNS0_4arch9wavefront6targetE0EEEvS12_.has_indirect_call, 0
	.section	.AMDGPU.csdata,"",@progbits
; Kernel info:
; codeLenInByte = 0
; TotalNumSgprs: 0
; NumVgprs: 0
; ScratchSize: 0
; MemoryBound: 0
; FloatMode: 240
; IeeeMode: 1
; LDSByteSize: 0 bytes/workgroup (compile time only)
; SGPRBlocks: 0
; VGPRBlocks: 0
; NumSGPRsForWavesPerEU: 1
; NumVGPRsForWavesPerEU: 1
; Occupancy: 16
; WaveLimiterHint : 0
; COMPUTE_PGM_RSRC2:SCRATCH_EN: 0
; COMPUTE_PGM_RSRC2:USER_SGPR: 2
; COMPUTE_PGM_RSRC2:TRAP_HANDLER: 0
; COMPUTE_PGM_RSRC2:TGID_X_EN: 1
; COMPUTE_PGM_RSRC2:TGID_Y_EN: 0
; COMPUTE_PGM_RSRC2:TGID_Z_EN: 0
; COMPUTE_PGM_RSRC2:TIDIG_COMP_CNT: 0
	.section	.text._ZN7rocprim17ROCPRIM_400000_NS6detail17trampoline_kernelINS0_13select_configILj256ELj13ELNS0_17block_load_methodE3ELS4_3ELS4_3ELNS0_20block_scan_algorithmE0ELj4294967295EEENS1_25partition_config_selectorILNS1_17partition_subalgoE4EjNS0_10empty_typeEbEEZZNS1_14partition_implILS8_4ELb0ES6_15HIP_vector_typeIjLj2EENS0_17counting_iteratorIjlEEPS9_SG_NS0_5tupleIJPjSI_NS0_16reverse_iteratorISI_EEEEENSH_IJSG_SG_SG_EEES9_SI_JZNS1_25segmented_radix_sort_implINS0_14default_configELb0EPKaPaPKlPlN2at6native12_GLOBAL__N_18offset_tEEE10hipError_tPvRmT1_PNSt15iterator_traitsIS12_E10value_typeET2_T3_PNS13_IS18_E10value_typeET4_jRbjT5_S1E_jjP12ihipStream_tbEUljE_ZNSN_ISO_Lb0ESQ_SR_ST_SU_SY_EESZ_S10_S11_S12_S16_S17_S18_S1B_S1C_jS1D_jS1E_S1E_jjS1G_bEUljE0_EEESZ_S10_S11_S18_S1C_S1E_T6_T7_T9_mT8_S1G_bDpT10_ENKUlT_T0_E_clISt17integral_constantIbLb1EES1U_EEDaS1P_S1Q_EUlS1P_E_NS1_11comp_targetILNS1_3genE0ELNS1_11target_archE4294967295ELNS1_3gpuE0ELNS1_3repE0EEENS1_30default_config_static_selectorELNS0_4arch9wavefront6targetE0EEEvS12_,"axG",@progbits,_ZN7rocprim17ROCPRIM_400000_NS6detail17trampoline_kernelINS0_13select_configILj256ELj13ELNS0_17block_load_methodE3ELS4_3ELS4_3ELNS0_20block_scan_algorithmE0ELj4294967295EEENS1_25partition_config_selectorILNS1_17partition_subalgoE4EjNS0_10empty_typeEbEEZZNS1_14partition_implILS8_4ELb0ES6_15HIP_vector_typeIjLj2EENS0_17counting_iteratorIjlEEPS9_SG_NS0_5tupleIJPjSI_NS0_16reverse_iteratorISI_EEEEENSH_IJSG_SG_SG_EEES9_SI_JZNS1_25segmented_radix_sort_implINS0_14default_configELb0EPKaPaPKlPlN2at6native12_GLOBAL__N_18offset_tEEE10hipError_tPvRmT1_PNSt15iterator_traitsIS12_E10value_typeET2_T3_PNS13_IS18_E10value_typeET4_jRbjT5_S1E_jjP12ihipStream_tbEUljE_ZNSN_ISO_Lb0ESQ_SR_ST_SU_SY_EESZ_S10_S11_S12_S16_S17_S18_S1B_S1C_jS1D_jS1E_S1E_jjS1G_bEUljE0_EEESZ_S10_S11_S18_S1C_S1E_T6_T7_T9_mT8_S1G_bDpT10_ENKUlT_T0_E_clISt17integral_constantIbLb1EES1U_EEDaS1P_S1Q_EUlS1P_E_NS1_11comp_targetILNS1_3genE0ELNS1_11target_archE4294967295ELNS1_3gpuE0ELNS1_3repE0EEENS1_30default_config_static_selectorELNS0_4arch9wavefront6targetE0EEEvS12_,comdat
	.globl	_ZN7rocprim17ROCPRIM_400000_NS6detail17trampoline_kernelINS0_13select_configILj256ELj13ELNS0_17block_load_methodE3ELS4_3ELS4_3ELNS0_20block_scan_algorithmE0ELj4294967295EEENS1_25partition_config_selectorILNS1_17partition_subalgoE4EjNS0_10empty_typeEbEEZZNS1_14partition_implILS8_4ELb0ES6_15HIP_vector_typeIjLj2EENS0_17counting_iteratorIjlEEPS9_SG_NS0_5tupleIJPjSI_NS0_16reverse_iteratorISI_EEEEENSH_IJSG_SG_SG_EEES9_SI_JZNS1_25segmented_radix_sort_implINS0_14default_configELb0EPKaPaPKlPlN2at6native12_GLOBAL__N_18offset_tEEE10hipError_tPvRmT1_PNSt15iterator_traitsIS12_E10value_typeET2_T3_PNS13_IS18_E10value_typeET4_jRbjT5_S1E_jjP12ihipStream_tbEUljE_ZNSN_ISO_Lb0ESQ_SR_ST_SU_SY_EESZ_S10_S11_S12_S16_S17_S18_S1B_S1C_jS1D_jS1E_S1E_jjS1G_bEUljE0_EEESZ_S10_S11_S18_S1C_S1E_T6_T7_T9_mT8_S1G_bDpT10_ENKUlT_T0_E_clISt17integral_constantIbLb1EES1U_EEDaS1P_S1Q_EUlS1P_E_NS1_11comp_targetILNS1_3genE0ELNS1_11target_archE4294967295ELNS1_3gpuE0ELNS1_3repE0EEENS1_30default_config_static_selectorELNS0_4arch9wavefront6targetE0EEEvS12_ ; -- Begin function _ZN7rocprim17ROCPRIM_400000_NS6detail17trampoline_kernelINS0_13select_configILj256ELj13ELNS0_17block_load_methodE3ELS4_3ELS4_3ELNS0_20block_scan_algorithmE0ELj4294967295EEENS1_25partition_config_selectorILNS1_17partition_subalgoE4EjNS0_10empty_typeEbEEZZNS1_14partition_implILS8_4ELb0ES6_15HIP_vector_typeIjLj2EENS0_17counting_iteratorIjlEEPS9_SG_NS0_5tupleIJPjSI_NS0_16reverse_iteratorISI_EEEEENSH_IJSG_SG_SG_EEES9_SI_JZNS1_25segmented_radix_sort_implINS0_14default_configELb0EPKaPaPKlPlN2at6native12_GLOBAL__N_18offset_tEEE10hipError_tPvRmT1_PNSt15iterator_traitsIS12_E10value_typeET2_T3_PNS13_IS18_E10value_typeET4_jRbjT5_S1E_jjP12ihipStream_tbEUljE_ZNSN_ISO_Lb0ESQ_SR_ST_SU_SY_EESZ_S10_S11_S12_S16_S17_S18_S1B_S1C_jS1D_jS1E_S1E_jjS1G_bEUljE0_EEESZ_S10_S11_S18_S1C_S1E_T6_T7_T9_mT8_S1G_bDpT10_ENKUlT_T0_E_clISt17integral_constantIbLb1EES1U_EEDaS1P_S1Q_EUlS1P_E_NS1_11comp_targetILNS1_3genE0ELNS1_11target_archE4294967295ELNS1_3gpuE0ELNS1_3repE0EEENS1_30default_config_static_selectorELNS0_4arch9wavefront6targetE0EEEvS12_
	.p2align	8
	.type	_ZN7rocprim17ROCPRIM_400000_NS6detail17trampoline_kernelINS0_13select_configILj256ELj13ELNS0_17block_load_methodE3ELS4_3ELS4_3ELNS0_20block_scan_algorithmE0ELj4294967295EEENS1_25partition_config_selectorILNS1_17partition_subalgoE4EjNS0_10empty_typeEbEEZZNS1_14partition_implILS8_4ELb0ES6_15HIP_vector_typeIjLj2EENS0_17counting_iteratorIjlEEPS9_SG_NS0_5tupleIJPjSI_NS0_16reverse_iteratorISI_EEEEENSH_IJSG_SG_SG_EEES9_SI_JZNS1_25segmented_radix_sort_implINS0_14default_configELb0EPKaPaPKlPlN2at6native12_GLOBAL__N_18offset_tEEE10hipError_tPvRmT1_PNSt15iterator_traitsIS12_E10value_typeET2_T3_PNS13_IS18_E10value_typeET4_jRbjT5_S1E_jjP12ihipStream_tbEUljE_ZNSN_ISO_Lb0ESQ_SR_ST_SU_SY_EESZ_S10_S11_S12_S16_S17_S18_S1B_S1C_jS1D_jS1E_S1E_jjS1G_bEUljE0_EEESZ_S10_S11_S18_S1C_S1E_T6_T7_T9_mT8_S1G_bDpT10_ENKUlT_T0_E_clISt17integral_constantIbLb1EES1U_EEDaS1P_S1Q_EUlS1P_E_NS1_11comp_targetILNS1_3genE0ELNS1_11target_archE4294967295ELNS1_3gpuE0ELNS1_3repE0EEENS1_30default_config_static_selectorELNS0_4arch9wavefront6targetE0EEEvS12_,@function
_ZN7rocprim17ROCPRIM_400000_NS6detail17trampoline_kernelINS0_13select_configILj256ELj13ELNS0_17block_load_methodE3ELS4_3ELS4_3ELNS0_20block_scan_algorithmE0ELj4294967295EEENS1_25partition_config_selectorILNS1_17partition_subalgoE4EjNS0_10empty_typeEbEEZZNS1_14partition_implILS8_4ELb0ES6_15HIP_vector_typeIjLj2EENS0_17counting_iteratorIjlEEPS9_SG_NS0_5tupleIJPjSI_NS0_16reverse_iteratorISI_EEEEENSH_IJSG_SG_SG_EEES9_SI_JZNS1_25segmented_radix_sort_implINS0_14default_configELb0EPKaPaPKlPlN2at6native12_GLOBAL__N_18offset_tEEE10hipError_tPvRmT1_PNSt15iterator_traitsIS12_E10value_typeET2_T3_PNS13_IS18_E10value_typeET4_jRbjT5_S1E_jjP12ihipStream_tbEUljE_ZNSN_ISO_Lb0ESQ_SR_ST_SU_SY_EESZ_S10_S11_S12_S16_S17_S18_S1B_S1C_jS1D_jS1E_S1E_jjS1G_bEUljE0_EEESZ_S10_S11_S18_S1C_S1E_T6_T7_T9_mT8_S1G_bDpT10_ENKUlT_T0_E_clISt17integral_constantIbLb1EES1U_EEDaS1P_S1Q_EUlS1P_E_NS1_11comp_targetILNS1_3genE0ELNS1_11target_archE4294967295ELNS1_3gpuE0ELNS1_3repE0EEENS1_30default_config_static_selectorELNS0_4arch9wavefront6targetE0EEEvS12_: ; @_ZN7rocprim17ROCPRIM_400000_NS6detail17trampoline_kernelINS0_13select_configILj256ELj13ELNS0_17block_load_methodE3ELS4_3ELS4_3ELNS0_20block_scan_algorithmE0ELj4294967295EEENS1_25partition_config_selectorILNS1_17partition_subalgoE4EjNS0_10empty_typeEbEEZZNS1_14partition_implILS8_4ELb0ES6_15HIP_vector_typeIjLj2EENS0_17counting_iteratorIjlEEPS9_SG_NS0_5tupleIJPjSI_NS0_16reverse_iteratorISI_EEEEENSH_IJSG_SG_SG_EEES9_SI_JZNS1_25segmented_radix_sort_implINS0_14default_configELb0EPKaPaPKlPlN2at6native12_GLOBAL__N_18offset_tEEE10hipError_tPvRmT1_PNSt15iterator_traitsIS12_E10value_typeET2_T3_PNS13_IS18_E10value_typeET4_jRbjT5_S1E_jjP12ihipStream_tbEUljE_ZNSN_ISO_Lb0ESQ_SR_ST_SU_SY_EESZ_S10_S11_S12_S16_S17_S18_S1B_S1C_jS1D_jS1E_S1E_jjS1G_bEUljE0_EEESZ_S10_S11_S18_S1C_S1E_T6_T7_T9_mT8_S1G_bDpT10_ENKUlT_T0_E_clISt17integral_constantIbLb1EES1U_EEDaS1P_S1Q_EUlS1P_E_NS1_11comp_targetILNS1_3genE0ELNS1_11target_archE4294967295ELNS1_3gpuE0ELNS1_3repE0EEENS1_30default_config_static_selectorELNS0_4arch9wavefront6targetE0EEEvS12_
; %bb.0:
	.section	.rodata,"a",@progbits
	.p2align	6, 0x0
	.amdhsa_kernel _ZN7rocprim17ROCPRIM_400000_NS6detail17trampoline_kernelINS0_13select_configILj256ELj13ELNS0_17block_load_methodE3ELS4_3ELS4_3ELNS0_20block_scan_algorithmE0ELj4294967295EEENS1_25partition_config_selectorILNS1_17partition_subalgoE4EjNS0_10empty_typeEbEEZZNS1_14partition_implILS8_4ELb0ES6_15HIP_vector_typeIjLj2EENS0_17counting_iteratorIjlEEPS9_SG_NS0_5tupleIJPjSI_NS0_16reverse_iteratorISI_EEEEENSH_IJSG_SG_SG_EEES9_SI_JZNS1_25segmented_radix_sort_implINS0_14default_configELb0EPKaPaPKlPlN2at6native12_GLOBAL__N_18offset_tEEE10hipError_tPvRmT1_PNSt15iterator_traitsIS12_E10value_typeET2_T3_PNS13_IS18_E10value_typeET4_jRbjT5_S1E_jjP12ihipStream_tbEUljE_ZNSN_ISO_Lb0ESQ_SR_ST_SU_SY_EESZ_S10_S11_S12_S16_S17_S18_S1B_S1C_jS1D_jS1E_S1E_jjS1G_bEUljE0_EEESZ_S10_S11_S18_S1C_S1E_T6_T7_T9_mT8_S1G_bDpT10_ENKUlT_T0_E_clISt17integral_constantIbLb1EES1U_EEDaS1P_S1Q_EUlS1P_E_NS1_11comp_targetILNS1_3genE0ELNS1_11target_archE4294967295ELNS1_3gpuE0ELNS1_3repE0EEENS1_30default_config_static_selectorELNS0_4arch9wavefront6targetE0EEEvS12_
		.amdhsa_group_segment_fixed_size 0
		.amdhsa_private_segment_fixed_size 0
		.amdhsa_kernarg_size 184
		.amdhsa_user_sgpr_count 2
		.amdhsa_user_sgpr_dispatch_ptr 0
		.amdhsa_user_sgpr_queue_ptr 0
		.amdhsa_user_sgpr_kernarg_segment_ptr 1
		.amdhsa_user_sgpr_dispatch_id 0
		.amdhsa_user_sgpr_private_segment_size 0
		.amdhsa_wavefront_size32 1
		.amdhsa_uses_dynamic_stack 0
		.amdhsa_enable_private_segment 0
		.amdhsa_system_sgpr_workgroup_id_x 1
		.amdhsa_system_sgpr_workgroup_id_y 0
		.amdhsa_system_sgpr_workgroup_id_z 0
		.amdhsa_system_sgpr_workgroup_info 0
		.amdhsa_system_vgpr_workitem_id 0
		.amdhsa_next_free_vgpr 1
		.amdhsa_next_free_sgpr 1
		.amdhsa_reserve_vcc 0
		.amdhsa_float_round_mode_32 0
		.amdhsa_float_round_mode_16_64 0
		.amdhsa_float_denorm_mode_32 3
		.amdhsa_float_denorm_mode_16_64 3
		.amdhsa_fp16_overflow 0
		.amdhsa_workgroup_processor_mode 1
		.amdhsa_memory_ordered 1
		.amdhsa_forward_progress 1
		.amdhsa_inst_pref_size 0
		.amdhsa_round_robin_scheduling 0
		.amdhsa_exception_fp_ieee_invalid_op 0
		.amdhsa_exception_fp_denorm_src 0
		.amdhsa_exception_fp_ieee_div_zero 0
		.amdhsa_exception_fp_ieee_overflow 0
		.amdhsa_exception_fp_ieee_underflow 0
		.amdhsa_exception_fp_ieee_inexact 0
		.amdhsa_exception_int_div_zero 0
	.end_amdhsa_kernel
	.section	.text._ZN7rocprim17ROCPRIM_400000_NS6detail17trampoline_kernelINS0_13select_configILj256ELj13ELNS0_17block_load_methodE3ELS4_3ELS4_3ELNS0_20block_scan_algorithmE0ELj4294967295EEENS1_25partition_config_selectorILNS1_17partition_subalgoE4EjNS0_10empty_typeEbEEZZNS1_14partition_implILS8_4ELb0ES6_15HIP_vector_typeIjLj2EENS0_17counting_iteratorIjlEEPS9_SG_NS0_5tupleIJPjSI_NS0_16reverse_iteratorISI_EEEEENSH_IJSG_SG_SG_EEES9_SI_JZNS1_25segmented_radix_sort_implINS0_14default_configELb0EPKaPaPKlPlN2at6native12_GLOBAL__N_18offset_tEEE10hipError_tPvRmT1_PNSt15iterator_traitsIS12_E10value_typeET2_T3_PNS13_IS18_E10value_typeET4_jRbjT5_S1E_jjP12ihipStream_tbEUljE_ZNSN_ISO_Lb0ESQ_SR_ST_SU_SY_EESZ_S10_S11_S12_S16_S17_S18_S1B_S1C_jS1D_jS1E_S1E_jjS1G_bEUljE0_EEESZ_S10_S11_S18_S1C_S1E_T6_T7_T9_mT8_S1G_bDpT10_ENKUlT_T0_E_clISt17integral_constantIbLb1EES1U_EEDaS1P_S1Q_EUlS1P_E_NS1_11comp_targetILNS1_3genE0ELNS1_11target_archE4294967295ELNS1_3gpuE0ELNS1_3repE0EEENS1_30default_config_static_selectorELNS0_4arch9wavefront6targetE0EEEvS12_,"axG",@progbits,_ZN7rocprim17ROCPRIM_400000_NS6detail17trampoline_kernelINS0_13select_configILj256ELj13ELNS0_17block_load_methodE3ELS4_3ELS4_3ELNS0_20block_scan_algorithmE0ELj4294967295EEENS1_25partition_config_selectorILNS1_17partition_subalgoE4EjNS0_10empty_typeEbEEZZNS1_14partition_implILS8_4ELb0ES6_15HIP_vector_typeIjLj2EENS0_17counting_iteratorIjlEEPS9_SG_NS0_5tupleIJPjSI_NS0_16reverse_iteratorISI_EEEEENSH_IJSG_SG_SG_EEES9_SI_JZNS1_25segmented_radix_sort_implINS0_14default_configELb0EPKaPaPKlPlN2at6native12_GLOBAL__N_18offset_tEEE10hipError_tPvRmT1_PNSt15iterator_traitsIS12_E10value_typeET2_T3_PNS13_IS18_E10value_typeET4_jRbjT5_S1E_jjP12ihipStream_tbEUljE_ZNSN_ISO_Lb0ESQ_SR_ST_SU_SY_EESZ_S10_S11_S12_S16_S17_S18_S1B_S1C_jS1D_jS1E_S1E_jjS1G_bEUljE0_EEESZ_S10_S11_S18_S1C_S1E_T6_T7_T9_mT8_S1G_bDpT10_ENKUlT_T0_E_clISt17integral_constantIbLb1EES1U_EEDaS1P_S1Q_EUlS1P_E_NS1_11comp_targetILNS1_3genE0ELNS1_11target_archE4294967295ELNS1_3gpuE0ELNS1_3repE0EEENS1_30default_config_static_selectorELNS0_4arch9wavefront6targetE0EEEvS12_,comdat
.Lfunc_end337:
	.size	_ZN7rocprim17ROCPRIM_400000_NS6detail17trampoline_kernelINS0_13select_configILj256ELj13ELNS0_17block_load_methodE3ELS4_3ELS4_3ELNS0_20block_scan_algorithmE0ELj4294967295EEENS1_25partition_config_selectorILNS1_17partition_subalgoE4EjNS0_10empty_typeEbEEZZNS1_14partition_implILS8_4ELb0ES6_15HIP_vector_typeIjLj2EENS0_17counting_iteratorIjlEEPS9_SG_NS0_5tupleIJPjSI_NS0_16reverse_iteratorISI_EEEEENSH_IJSG_SG_SG_EEES9_SI_JZNS1_25segmented_radix_sort_implINS0_14default_configELb0EPKaPaPKlPlN2at6native12_GLOBAL__N_18offset_tEEE10hipError_tPvRmT1_PNSt15iterator_traitsIS12_E10value_typeET2_T3_PNS13_IS18_E10value_typeET4_jRbjT5_S1E_jjP12ihipStream_tbEUljE_ZNSN_ISO_Lb0ESQ_SR_ST_SU_SY_EESZ_S10_S11_S12_S16_S17_S18_S1B_S1C_jS1D_jS1E_S1E_jjS1G_bEUljE0_EEESZ_S10_S11_S18_S1C_S1E_T6_T7_T9_mT8_S1G_bDpT10_ENKUlT_T0_E_clISt17integral_constantIbLb1EES1U_EEDaS1P_S1Q_EUlS1P_E_NS1_11comp_targetILNS1_3genE0ELNS1_11target_archE4294967295ELNS1_3gpuE0ELNS1_3repE0EEENS1_30default_config_static_selectorELNS0_4arch9wavefront6targetE0EEEvS12_, .Lfunc_end337-_ZN7rocprim17ROCPRIM_400000_NS6detail17trampoline_kernelINS0_13select_configILj256ELj13ELNS0_17block_load_methodE3ELS4_3ELS4_3ELNS0_20block_scan_algorithmE0ELj4294967295EEENS1_25partition_config_selectorILNS1_17partition_subalgoE4EjNS0_10empty_typeEbEEZZNS1_14partition_implILS8_4ELb0ES6_15HIP_vector_typeIjLj2EENS0_17counting_iteratorIjlEEPS9_SG_NS0_5tupleIJPjSI_NS0_16reverse_iteratorISI_EEEEENSH_IJSG_SG_SG_EEES9_SI_JZNS1_25segmented_radix_sort_implINS0_14default_configELb0EPKaPaPKlPlN2at6native12_GLOBAL__N_18offset_tEEE10hipError_tPvRmT1_PNSt15iterator_traitsIS12_E10value_typeET2_T3_PNS13_IS18_E10value_typeET4_jRbjT5_S1E_jjP12ihipStream_tbEUljE_ZNSN_ISO_Lb0ESQ_SR_ST_SU_SY_EESZ_S10_S11_S12_S16_S17_S18_S1B_S1C_jS1D_jS1E_S1E_jjS1G_bEUljE0_EEESZ_S10_S11_S18_S1C_S1E_T6_T7_T9_mT8_S1G_bDpT10_ENKUlT_T0_E_clISt17integral_constantIbLb1EES1U_EEDaS1P_S1Q_EUlS1P_E_NS1_11comp_targetILNS1_3genE0ELNS1_11target_archE4294967295ELNS1_3gpuE0ELNS1_3repE0EEENS1_30default_config_static_selectorELNS0_4arch9wavefront6targetE0EEEvS12_
                                        ; -- End function
	.set _ZN7rocprim17ROCPRIM_400000_NS6detail17trampoline_kernelINS0_13select_configILj256ELj13ELNS0_17block_load_methodE3ELS4_3ELS4_3ELNS0_20block_scan_algorithmE0ELj4294967295EEENS1_25partition_config_selectorILNS1_17partition_subalgoE4EjNS0_10empty_typeEbEEZZNS1_14partition_implILS8_4ELb0ES6_15HIP_vector_typeIjLj2EENS0_17counting_iteratorIjlEEPS9_SG_NS0_5tupleIJPjSI_NS0_16reverse_iteratorISI_EEEEENSH_IJSG_SG_SG_EEES9_SI_JZNS1_25segmented_radix_sort_implINS0_14default_configELb0EPKaPaPKlPlN2at6native12_GLOBAL__N_18offset_tEEE10hipError_tPvRmT1_PNSt15iterator_traitsIS12_E10value_typeET2_T3_PNS13_IS18_E10value_typeET4_jRbjT5_S1E_jjP12ihipStream_tbEUljE_ZNSN_ISO_Lb0ESQ_SR_ST_SU_SY_EESZ_S10_S11_S12_S16_S17_S18_S1B_S1C_jS1D_jS1E_S1E_jjS1G_bEUljE0_EEESZ_S10_S11_S18_S1C_S1E_T6_T7_T9_mT8_S1G_bDpT10_ENKUlT_T0_E_clISt17integral_constantIbLb1EES1U_EEDaS1P_S1Q_EUlS1P_E_NS1_11comp_targetILNS1_3genE0ELNS1_11target_archE4294967295ELNS1_3gpuE0ELNS1_3repE0EEENS1_30default_config_static_selectorELNS0_4arch9wavefront6targetE0EEEvS12_.num_vgpr, 0
	.set _ZN7rocprim17ROCPRIM_400000_NS6detail17trampoline_kernelINS0_13select_configILj256ELj13ELNS0_17block_load_methodE3ELS4_3ELS4_3ELNS0_20block_scan_algorithmE0ELj4294967295EEENS1_25partition_config_selectorILNS1_17partition_subalgoE4EjNS0_10empty_typeEbEEZZNS1_14partition_implILS8_4ELb0ES6_15HIP_vector_typeIjLj2EENS0_17counting_iteratorIjlEEPS9_SG_NS0_5tupleIJPjSI_NS0_16reverse_iteratorISI_EEEEENSH_IJSG_SG_SG_EEES9_SI_JZNS1_25segmented_radix_sort_implINS0_14default_configELb0EPKaPaPKlPlN2at6native12_GLOBAL__N_18offset_tEEE10hipError_tPvRmT1_PNSt15iterator_traitsIS12_E10value_typeET2_T3_PNS13_IS18_E10value_typeET4_jRbjT5_S1E_jjP12ihipStream_tbEUljE_ZNSN_ISO_Lb0ESQ_SR_ST_SU_SY_EESZ_S10_S11_S12_S16_S17_S18_S1B_S1C_jS1D_jS1E_S1E_jjS1G_bEUljE0_EEESZ_S10_S11_S18_S1C_S1E_T6_T7_T9_mT8_S1G_bDpT10_ENKUlT_T0_E_clISt17integral_constantIbLb1EES1U_EEDaS1P_S1Q_EUlS1P_E_NS1_11comp_targetILNS1_3genE0ELNS1_11target_archE4294967295ELNS1_3gpuE0ELNS1_3repE0EEENS1_30default_config_static_selectorELNS0_4arch9wavefront6targetE0EEEvS12_.num_agpr, 0
	.set _ZN7rocprim17ROCPRIM_400000_NS6detail17trampoline_kernelINS0_13select_configILj256ELj13ELNS0_17block_load_methodE3ELS4_3ELS4_3ELNS0_20block_scan_algorithmE0ELj4294967295EEENS1_25partition_config_selectorILNS1_17partition_subalgoE4EjNS0_10empty_typeEbEEZZNS1_14partition_implILS8_4ELb0ES6_15HIP_vector_typeIjLj2EENS0_17counting_iteratorIjlEEPS9_SG_NS0_5tupleIJPjSI_NS0_16reverse_iteratorISI_EEEEENSH_IJSG_SG_SG_EEES9_SI_JZNS1_25segmented_radix_sort_implINS0_14default_configELb0EPKaPaPKlPlN2at6native12_GLOBAL__N_18offset_tEEE10hipError_tPvRmT1_PNSt15iterator_traitsIS12_E10value_typeET2_T3_PNS13_IS18_E10value_typeET4_jRbjT5_S1E_jjP12ihipStream_tbEUljE_ZNSN_ISO_Lb0ESQ_SR_ST_SU_SY_EESZ_S10_S11_S12_S16_S17_S18_S1B_S1C_jS1D_jS1E_S1E_jjS1G_bEUljE0_EEESZ_S10_S11_S18_S1C_S1E_T6_T7_T9_mT8_S1G_bDpT10_ENKUlT_T0_E_clISt17integral_constantIbLb1EES1U_EEDaS1P_S1Q_EUlS1P_E_NS1_11comp_targetILNS1_3genE0ELNS1_11target_archE4294967295ELNS1_3gpuE0ELNS1_3repE0EEENS1_30default_config_static_selectorELNS0_4arch9wavefront6targetE0EEEvS12_.numbered_sgpr, 0
	.set _ZN7rocprim17ROCPRIM_400000_NS6detail17trampoline_kernelINS0_13select_configILj256ELj13ELNS0_17block_load_methodE3ELS4_3ELS4_3ELNS0_20block_scan_algorithmE0ELj4294967295EEENS1_25partition_config_selectorILNS1_17partition_subalgoE4EjNS0_10empty_typeEbEEZZNS1_14partition_implILS8_4ELb0ES6_15HIP_vector_typeIjLj2EENS0_17counting_iteratorIjlEEPS9_SG_NS0_5tupleIJPjSI_NS0_16reverse_iteratorISI_EEEEENSH_IJSG_SG_SG_EEES9_SI_JZNS1_25segmented_radix_sort_implINS0_14default_configELb0EPKaPaPKlPlN2at6native12_GLOBAL__N_18offset_tEEE10hipError_tPvRmT1_PNSt15iterator_traitsIS12_E10value_typeET2_T3_PNS13_IS18_E10value_typeET4_jRbjT5_S1E_jjP12ihipStream_tbEUljE_ZNSN_ISO_Lb0ESQ_SR_ST_SU_SY_EESZ_S10_S11_S12_S16_S17_S18_S1B_S1C_jS1D_jS1E_S1E_jjS1G_bEUljE0_EEESZ_S10_S11_S18_S1C_S1E_T6_T7_T9_mT8_S1G_bDpT10_ENKUlT_T0_E_clISt17integral_constantIbLb1EES1U_EEDaS1P_S1Q_EUlS1P_E_NS1_11comp_targetILNS1_3genE0ELNS1_11target_archE4294967295ELNS1_3gpuE0ELNS1_3repE0EEENS1_30default_config_static_selectorELNS0_4arch9wavefront6targetE0EEEvS12_.num_named_barrier, 0
	.set _ZN7rocprim17ROCPRIM_400000_NS6detail17trampoline_kernelINS0_13select_configILj256ELj13ELNS0_17block_load_methodE3ELS4_3ELS4_3ELNS0_20block_scan_algorithmE0ELj4294967295EEENS1_25partition_config_selectorILNS1_17partition_subalgoE4EjNS0_10empty_typeEbEEZZNS1_14partition_implILS8_4ELb0ES6_15HIP_vector_typeIjLj2EENS0_17counting_iteratorIjlEEPS9_SG_NS0_5tupleIJPjSI_NS0_16reverse_iteratorISI_EEEEENSH_IJSG_SG_SG_EEES9_SI_JZNS1_25segmented_radix_sort_implINS0_14default_configELb0EPKaPaPKlPlN2at6native12_GLOBAL__N_18offset_tEEE10hipError_tPvRmT1_PNSt15iterator_traitsIS12_E10value_typeET2_T3_PNS13_IS18_E10value_typeET4_jRbjT5_S1E_jjP12ihipStream_tbEUljE_ZNSN_ISO_Lb0ESQ_SR_ST_SU_SY_EESZ_S10_S11_S12_S16_S17_S18_S1B_S1C_jS1D_jS1E_S1E_jjS1G_bEUljE0_EEESZ_S10_S11_S18_S1C_S1E_T6_T7_T9_mT8_S1G_bDpT10_ENKUlT_T0_E_clISt17integral_constantIbLb1EES1U_EEDaS1P_S1Q_EUlS1P_E_NS1_11comp_targetILNS1_3genE0ELNS1_11target_archE4294967295ELNS1_3gpuE0ELNS1_3repE0EEENS1_30default_config_static_selectorELNS0_4arch9wavefront6targetE0EEEvS12_.private_seg_size, 0
	.set _ZN7rocprim17ROCPRIM_400000_NS6detail17trampoline_kernelINS0_13select_configILj256ELj13ELNS0_17block_load_methodE3ELS4_3ELS4_3ELNS0_20block_scan_algorithmE0ELj4294967295EEENS1_25partition_config_selectorILNS1_17partition_subalgoE4EjNS0_10empty_typeEbEEZZNS1_14partition_implILS8_4ELb0ES6_15HIP_vector_typeIjLj2EENS0_17counting_iteratorIjlEEPS9_SG_NS0_5tupleIJPjSI_NS0_16reverse_iteratorISI_EEEEENSH_IJSG_SG_SG_EEES9_SI_JZNS1_25segmented_radix_sort_implINS0_14default_configELb0EPKaPaPKlPlN2at6native12_GLOBAL__N_18offset_tEEE10hipError_tPvRmT1_PNSt15iterator_traitsIS12_E10value_typeET2_T3_PNS13_IS18_E10value_typeET4_jRbjT5_S1E_jjP12ihipStream_tbEUljE_ZNSN_ISO_Lb0ESQ_SR_ST_SU_SY_EESZ_S10_S11_S12_S16_S17_S18_S1B_S1C_jS1D_jS1E_S1E_jjS1G_bEUljE0_EEESZ_S10_S11_S18_S1C_S1E_T6_T7_T9_mT8_S1G_bDpT10_ENKUlT_T0_E_clISt17integral_constantIbLb1EES1U_EEDaS1P_S1Q_EUlS1P_E_NS1_11comp_targetILNS1_3genE0ELNS1_11target_archE4294967295ELNS1_3gpuE0ELNS1_3repE0EEENS1_30default_config_static_selectorELNS0_4arch9wavefront6targetE0EEEvS12_.uses_vcc, 0
	.set _ZN7rocprim17ROCPRIM_400000_NS6detail17trampoline_kernelINS0_13select_configILj256ELj13ELNS0_17block_load_methodE3ELS4_3ELS4_3ELNS0_20block_scan_algorithmE0ELj4294967295EEENS1_25partition_config_selectorILNS1_17partition_subalgoE4EjNS0_10empty_typeEbEEZZNS1_14partition_implILS8_4ELb0ES6_15HIP_vector_typeIjLj2EENS0_17counting_iteratorIjlEEPS9_SG_NS0_5tupleIJPjSI_NS0_16reverse_iteratorISI_EEEEENSH_IJSG_SG_SG_EEES9_SI_JZNS1_25segmented_radix_sort_implINS0_14default_configELb0EPKaPaPKlPlN2at6native12_GLOBAL__N_18offset_tEEE10hipError_tPvRmT1_PNSt15iterator_traitsIS12_E10value_typeET2_T3_PNS13_IS18_E10value_typeET4_jRbjT5_S1E_jjP12ihipStream_tbEUljE_ZNSN_ISO_Lb0ESQ_SR_ST_SU_SY_EESZ_S10_S11_S12_S16_S17_S18_S1B_S1C_jS1D_jS1E_S1E_jjS1G_bEUljE0_EEESZ_S10_S11_S18_S1C_S1E_T6_T7_T9_mT8_S1G_bDpT10_ENKUlT_T0_E_clISt17integral_constantIbLb1EES1U_EEDaS1P_S1Q_EUlS1P_E_NS1_11comp_targetILNS1_3genE0ELNS1_11target_archE4294967295ELNS1_3gpuE0ELNS1_3repE0EEENS1_30default_config_static_selectorELNS0_4arch9wavefront6targetE0EEEvS12_.uses_flat_scratch, 0
	.set _ZN7rocprim17ROCPRIM_400000_NS6detail17trampoline_kernelINS0_13select_configILj256ELj13ELNS0_17block_load_methodE3ELS4_3ELS4_3ELNS0_20block_scan_algorithmE0ELj4294967295EEENS1_25partition_config_selectorILNS1_17partition_subalgoE4EjNS0_10empty_typeEbEEZZNS1_14partition_implILS8_4ELb0ES6_15HIP_vector_typeIjLj2EENS0_17counting_iteratorIjlEEPS9_SG_NS0_5tupleIJPjSI_NS0_16reverse_iteratorISI_EEEEENSH_IJSG_SG_SG_EEES9_SI_JZNS1_25segmented_radix_sort_implINS0_14default_configELb0EPKaPaPKlPlN2at6native12_GLOBAL__N_18offset_tEEE10hipError_tPvRmT1_PNSt15iterator_traitsIS12_E10value_typeET2_T3_PNS13_IS18_E10value_typeET4_jRbjT5_S1E_jjP12ihipStream_tbEUljE_ZNSN_ISO_Lb0ESQ_SR_ST_SU_SY_EESZ_S10_S11_S12_S16_S17_S18_S1B_S1C_jS1D_jS1E_S1E_jjS1G_bEUljE0_EEESZ_S10_S11_S18_S1C_S1E_T6_T7_T9_mT8_S1G_bDpT10_ENKUlT_T0_E_clISt17integral_constantIbLb1EES1U_EEDaS1P_S1Q_EUlS1P_E_NS1_11comp_targetILNS1_3genE0ELNS1_11target_archE4294967295ELNS1_3gpuE0ELNS1_3repE0EEENS1_30default_config_static_selectorELNS0_4arch9wavefront6targetE0EEEvS12_.has_dyn_sized_stack, 0
	.set _ZN7rocprim17ROCPRIM_400000_NS6detail17trampoline_kernelINS0_13select_configILj256ELj13ELNS0_17block_load_methodE3ELS4_3ELS4_3ELNS0_20block_scan_algorithmE0ELj4294967295EEENS1_25partition_config_selectorILNS1_17partition_subalgoE4EjNS0_10empty_typeEbEEZZNS1_14partition_implILS8_4ELb0ES6_15HIP_vector_typeIjLj2EENS0_17counting_iteratorIjlEEPS9_SG_NS0_5tupleIJPjSI_NS0_16reverse_iteratorISI_EEEEENSH_IJSG_SG_SG_EEES9_SI_JZNS1_25segmented_radix_sort_implINS0_14default_configELb0EPKaPaPKlPlN2at6native12_GLOBAL__N_18offset_tEEE10hipError_tPvRmT1_PNSt15iterator_traitsIS12_E10value_typeET2_T3_PNS13_IS18_E10value_typeET4_jRbjT5_S1E_jjP12ihipStream_tbEUljE_ZNSN_ISO_Lb0ESQ_SR_ST_SU_SY_EESZ_S10_S11_S12_S16_S17_S18_S1B_S1C_jS1D_jS1E_S1E_jjS1G_bEUljE0_EEESZ_S10_S11_S18_S1C_S1E_T6_T7_T9_mT8_S1G_bDpT10_ENKUlT_T0_E_clISt17integral_constantIbLb1EES1U_EEDaS1P_S1Q_EUlS1P_E_NS1_11comp_targetILNS1_3genE0ELNS1_11target_archE4294967295ELNS1_3gpuE0ELNS1_3repE0EEENS1_30default_config_static_selectorELNS0_4arch9wavefront6targetE0EEEvS12_.has_recursion, 0
	.set _ZN7rocprim17ROCPRIM_400000_NS6detail17trampoline_kernelINS0_13select_configILj256ELj13ELNS0_17block_load_methodE3ELS4_3ELS4_3ELNS0_20block_scan_algorithmE0ELj4294967295EEENS1_25partition_config_selectorILNS1_17partition_subalgoE4EjNS0_10empty_typeEbEEZZNS1_14partition_implILS8_4ELb0ES6_15HIP_vector_typeIjLj2EENS0_17counting_iteratorIjlEEPS9_SG_NS0_5tupleIJPjSI_NS0_16reverse_iteratorISI_EEEEENSH_IJSG_SG_SG_EEES9_SI_JZNS1_25segmented_radix_sort_implINS0_14default_configELb0EPKaPaPKlPlN2at6native12_GLOBAL__N_18offset_tEEE10hipError_tPvRmT1_PNSt15iterator_traitsIS12_E10value_typeET2_T3_PNS13_IS18_E10value_typeET4_jRbjT5_S1E_jjP12ihipStream_tbEUljE_ZNSN_ISO_Lb0ESQ_SR_ST_SU_SY_EESZ_S10_S11_S12_S16_S17_S18_S1B_S1C_jS1D_jS1E_S1E_jjS1G_bEUljE0_EEESZ_S10_S11_S18_S1C_S1E_T6_T7_T9_mT8_S1G_bDpT10_ENKUlT_T0_E_clISt17integral_constantIbLb1EES1U_EEDaS1P_S1Q_EUlS1P_E_NS1_11comp_targetILNS1_3genE0ELNS1_11target_archE4294967295ELNS1_3gpuE0ELNS1_3repE0EEENS1_30default_config_static_selectorELNS0_4arch9wavefront6targetE0EEEvS12_.has_indirect_call, 0
	.section	.AMDGPU.csdata,"",@progbits
; Kernel info:
; codeLenInByte = 0
; TotalNumSgprs: 0
; NumVgprs: 0
; ScratchSize: 0
; MemoryBound: 0
; FloatMode: 240
; IeeeMode: 1
; LDSByteSize: 0 bytes/workgroup (compile time only)
; SGPRBlocks: 0
; VGPRBlocks: 0
; NumSGPRsForWavesPerEU: 1
; NumVGPRsForWavesPerEU: 1
; Occupancy: 16
; WaveLimiterHint : 0
; COMPUTE_PGM_RSRC2:SCRATCH_EN: 0
; COMPUTE_PGM_RSRC2:USER_SGPR: 2
; COMPUTE_PGM_RSRC2:TRAP_HANDLER: 0
; COMPUTE_PGM_RSRC2:TGID_X_EN: 1
; COMPUTE_PGM_RSRC2:TGID_Y_EN: 0
; COMPUTE_PGM_RSRC2:TGID_Z_EN: 0
; COMPUTE_PGM_RSRC2:TIDIG_COMP_CNT: 0
	.section	.text._ZN7rocprim17ROCPRIM_400000_NS6detail17trampoline_kernelINS0_13select_configILj256ELj13ELNS0_17block_load_methodE3ELS4_3ELS4_3ELNS0_20block_scan_algorithmE0ELj4294967295EEENS1_25partition_config_selectorILNS1_17partition_subalgoE4EjNS0_10empty_typeEbEEZZNS1_14partition_implILS8_4ELb0ES6_15HIP_vector_typeIjLj2EENS0_17counting_iteratorIjlEEPS9_SG_NS0_5tupleIJPjSI_NS0_16reverse_iteratorISI_EEEEENSH_IJSG_SG_SG_EEES9_SI_JZNS1_25segmented_radix_sort_implINS0_14default_configELb0EPKaPaPKlPlN2at6native12_GLOBAL__N_18offset_tEEE10hipError_tPvRmT1_PNSt15iterator_traitsIS12_E10value_typeET2_T3_PNS13_IS18_E10value_typeET4_jRbjT5_S1E_jjP12ihipStream_tbEUljE_ZNSN_ISO_Lb0ESQ_SR_ST_SU_SY_EESZ_S10_S11_S12_S16_S17_S18_S1B_S1C_jS1D_jS1E_S1E_jjS1G_bEUljE0_EEESZ_S10_S11_S18_S1C_S1E_T6_T7_T9_mT8_S1G_bDpT10_ENKUlT_T0_E_clISt17integral_constantIbLb1EES1U_EEDaS1P_S1Q_EUlS1P_E_NS1_11comp_targetILNS1_3genE5ELNS1_11target_archE942ELNS1_3gpuE9ELNS1_3repE0EEENS1_30default_config_static_selectorELNS0_4arch9wavefront6targetE0EEEvS12_,"axG",@progbits,_ZN7rocprim17ROCPRIM_400000_NS6detail17trampoline_kernelINS0_13select_configILj256ELj13ELNS0_17block_load_methodE3ELS4_3ELS4_3ELNS0_20block_scan_algorithmE0ELj4294967295EEENS1_25partition_config_selectorILNS1_17partition_subalgoE4EjNS0_10empty_typeEbEEZZNS1_14partition_implILS8_4ELb0ES6_15HIP_vector_typeIjLj2EENS0_17counting_iteratorIjlEEPS9_SG_NS0_5tupleIJPjSI_NS0_16reverse_iteratorISI_EEEEENSH_IJSG_SG_SG_EEES9_SI_JZNS1_25segmented_radix_sort_implINS0_14default_configELb0EPKaPaPKlPlN2at6native12_GLOBAL__N_18offset_tEEE10hipError_tPvRmT1_PNSt15iterator_traitsIS12_E10value_typeET2_T3_PNS13_IS18_E10value_typeET4_jRbjT5_S1E_jjP12ihipStream_tbEUljE_ZNSN_ISO_Lb0ESQ_SR_ST_SU_SY_EESZ_S10_S11_S12_S16_S17_S18_S1B_S1C_jS1D_jS1E_S1E_jjS1G_bEUljE0_EEESZ_S10_S11_S18_S1C_S1E_T6_T7_T9_mT8_S1G_bDpT10_ENKUlT_T0_E_clISt17integral_constantIbLb1EES1U_EEDaS1P_S1Q_EUlS1P_E_NS1_11comp_targetILNS1_3genE5ELNS1_11target_archE942ELNS1_3gpuE9ELNS1_3repE0EEENS1_30default_config_static_selectorELNS0_4arch9wavefront6targetE0EEEvS12_,comdat
	.globl	_ZN7rocprim17ROCPRIM_400000_NS6detail17trampoline_kernelINS0_13select_configILj256ELj13ELNS0_17block_load_methodE3ELS4_3ELS4_3ELNS0_20block_scan_algorithmE0ELj4294967295EEENS1_25partition_config_selectorILNS1_17partition_subalgoE4EjNS0_10empty_typeEbEEZZNS1_14partition_implILS8_4ELb0ES6_15HIP_vector_typeIjLj2EENS0_17counting_iteratorIjlEEPS9_SG_NS0_5tupleIJPjSI_NS0_16reverse_iteratorISI_EEEEENSH_IJSG_SG_SG_EEES9_SI_JZNS1_25segmented_radix_sort_implINS0_14default_configELb0EPKaPaPKlPlN2at6native12_GLOBAL__N_18offset_tEEE10hipError_tPvRmT1_PNSt15iterator_traitsIS12_E10value_typeET2_T3_PNS13_IS18_E10value_typeET4_jRbjT5_S1E_jjP12ihipStream_tbEUljE_ZNSN_ISO_Lb0ESQ_SR_ST_SU_SY_EESZ_S10_S11_S12_S16_S17_S18_S1B_S1C_jS1D_jS1E_S1E_jjS1G_bEUljE0_EEESZ_S10_S11_S18_S1C_S1E_T6_T7_T9_mT8_S1G_bDpT10_ENKUlT_T0_E_clISt17integral_constantIbLb1EES1U_EEDaS1P_S1Q_EUlS1P_E_NS1_11comp_targetILNS1_3genE5ELNS1_11target_archE942ELNS1_3gpuE9ELNS1_3repE0EEENS1_30default_config_static_selectorELNS0_4arch9wavefront6targetE0EEEvS12_ ; -- Begin function _ZN7rocprim17ROCPRIM_400000_NS6detail17trampoline_kernelINS0_13select_configILj256ELj13ELNS0_17block_load_methodE3ELS4_3ELS4_3ELNS0_20block_scan_algorithmE0ELj4294967295EEENS1_25partition_config_selectorILNS1_17partition_subalgoE4EjNS0_10empty_typeEbEEZZNS1_14partition_implILS8_4ELb0ES6_15HIP_vector_typeIjLj2EENS0_17counting_iteratorIjlEEPS9_SG_NS0_5tupleIJPjSI_NS0_16reverse_iteratorISI_EEEEENSH_IJSG_SG_SG_EEES9_SI_JZNS1_25segmented_radix_sort_implINS0_14default_configELb0EPKaPaPKlPlN2at6native12_GLOBAL__N_18offset_tEEE10hipError_tPvRmT1_PNSt15iterator_traitsIS12_E10value_typeET2_T3_PNS13_IS18_E10value_typeET4_jRbjT5_S1E_jjP12ihipStream_tbEUljE_ZNSN_ISO_Lb0ESQ_SR_ST_SU_SY_EESZ_S10_S11_S12_S16_S17_S18_S1B_S1C_jS1D_jS1E_S1E_jjS1G_bEUljE0_EEESZ_S10_S11_S18_S1C_S1E_T6_T7_T9_mT8_S1G_bDpT10_ENKUlT_T0_E_clISt17integral_constantIbLb1EES1U_EEDaS1P_S1Q_EUlS1P_E_NS1_11comp_targetILNS1_3genE5ELNS1_11target_archE942ELNS1_3gpuE9ELNS1_3repE0EEENS1_30default_config_static_selectorELNS0_4arch9wavefront6targetE0EEEvS12_
	.p2align	8
	.type	_ZN7rocprim17ROCPRIM_400000_NS6detail17trampoline_kernelINS0_13select_configILj256ELj13ELNS0_17block_load_methodE3ELS4_3ELS4_3ELNS0_20block_scan_algorithmE0ELj4294967295EEENS1_25partition_config_selectorILNS1_17partition_subalgoE4EjNS0_10empty_typeEbEEZZNS1_14partition_implILS8_4ELb0ES6_15HIP_vector_typeIjLj2EENS0_17counting_iteratorIjlEEPS9_SG_NS0_5tupleIJPjSI_NS0_16reverse_iteratorISI_EEEEENSH_IJSG_SG_SG_EEES9_SI_JZNS1_25segmented_radix_sort_implINS0_14default_configELb0EPKaPaPKlPlN2at6native12_GLOBAL__N_18offset_tEEE10hipError_tPvRmT1_PNSt15iterator_traitsIS12_E10value_typeET2_T3_PNS13_IS18_E10value_typeET4_jRbjT5_S1E_jjP12ihipStream_tbEUljE_ZNSN_ISO_Lb0ESQ_SR_ST_SU_SY_EESZ_S10_S11_S12_S16_S17_S18_S1B_S1C_jS1D_jS1E_S1E_jjS1G_bEUljE0_EEESZ_S10_S11_S18_S1C_S1E_T6_T7_T9_mT8_S1G_bDpT10_ENKUlT_T0_E_clISt17integral_constantIbLb1EES1U_EEDaS1P_S1Q_EUlS1P_E_NS1_11comp_targetILNS1_3genE5ELNS1_11target_archE942ELNS1_3gpuE9ELNS1_3repE0EEENS1_30default_config_static_selectorELNS0_4arch9wavefront6targetE0EEEvS12_,@function
_ZN7rocprim17ROCPRIM_400000_NS6detail17trampoline_kernelINS0_13select_configILj256ELj13ELNS0_17block_load_methodE3ELS4_3ELS4_3ELNS0_20block_scan_algorithmE0ELj4294967295EEENS1_25partition_config_selectorILNS1_17partition_subalgoE4EjNS0_10empty_typeEbEEZZNS1_14partition_implILS8_4ELb0ES6_15HIP_vector_typeIjLj2EENS0_17counting_iteratorIjlEEPS9_SG_NS0_5tupleIJPjSI_NS0_16reverse_iteratorISI_EEEEENSH_IJSG_SG_SG_EEES9_SI_JZNS1_25segmented_radix_sort_implINS0_14default_configELb0EPKaPaPKlPlN2at6native12_GLOBAL__N_18offset_tEEE10hipError_tPvRmT1_PNSt15iterator_traitsIS12_E10value_typeET2_T3_PNS13_IS18_E10value_typeET4_jRbjT5_S1E_jjP12ihipStream_tbEUljE_ZNSN_ISO_Lb0ESQ_SR_ST_SU_SY_EESZ_S10_S11_S12_S16_S17_S18_S1B_S1C_jS1D_jS1E_S1E_jjS1G_bEUljE0_EEESZ_S10_S11_S18_S1C_S1E_T6_T7_T9_mT8_S1G_bDpT10_ENKUlT_T0_E_clISt17integral_constantIbLb1EES1U_EEDaS1P_S1Q_EUlS1P_E_NS1_11comp_targetILNS1_3genE5ELNS1_11target_archE942ELNS1_3gpuE9ELNS1_3repE0EEENS1_30default_config_static_selectorELNS0_4arch9wavefront6targetE0EEEvS12_: ; @_ZN7rocprim17ROCPRIM_400000_NS6detail17trampoline_kernelINS0_13select_configILj256ELj13ELNS0_17block_load_methodE3ELS4_3ELS4_3ELNS0_20block_scan_algorithmE0ELj4294967295EEENS1_25partition_config_selectorILNS1_17partition_subalgoE4EjNS0_10empty_typeEbEEZZNS1_14partition_implILS8_4ELb0ES6_15HIP_vector_typeIjLj2EENS0_17counting_iteratorIjlEEPS9_SG_NS0_5tupleIJPjSI_NS0_16reverse_iteratorISI_EEEEENSH_IJSG_SG_SG_EEES9_SI_JZNS1_25segmented_radix_sort_implINS0_14default_configELb0EPKaPaPKlPlN2at6native12_GLOBAL__N_18offset_tEEE10hipError_tPvRmT1_PNSt15iterator_traitsIS12_E10value_typeET2_T3_PNS13_IS18_E10value_typeET4_jRbjT5_S1E_jjP12ihipStream_tbEUljE_ZNSN_ISO_Lb0ESQ_SR_ST_SU_SY_EESZ_S10_S11_S12_S16_S17_S18_S1B_S1C_jS1D_jS1E_S1E_jjS1G_bEUljE0_EEESZ_S10_S11_S18_S1C_S1E_T6_T7_T9_mT8_S1G_bDpT10_ENKUlT_T0_E_clISt17integral_constantIbLb1EES1U_EEDaS1P_S1Q_EUlS1P_E_NS1_11comp_targetILNS1_3genE5ELNS1_11target_archE942ELNS1_3gpuE9ELNS1_3repE0EEENS1_30default_config_static_selectorELNS0_4arch9wavefront6targetE0EEEvS12_
; %bb.0:
	.section	.rodata,"a",@progbits
	.p2align	6, 0x0
	.amdhsa_kernel _ZN7rocprim17ROCPRIM_400000_NS6detail17trampoline_kernelINS0_13select_configILj256ELj13ELNS0_17block_load_methodE3ELS4_3ELS4_3ELNS0_20block_scan_algorithmE0ELj4294967295EEENS1_25partition_config_selectorILNS1_17partition_subalgoE4EjNS0_10empty_typeEbEEZZNS1_14partition_implILS8_4ELb0ES6_15HIP_vector_typeIjLj2EENS0_17counting_iteratorIjlEEPS9_SG_NS0_5tupleIJPjSI_NS0_16reverse_iteratorISI_EEEEENSH_IJSG_SG_SG_EEES9_SI_JZNS1_25segmented_radix_sort_implINS0_14default_configELb0EPKaPaPKlPlN2at6native12_GLOBAL__N_18offset_tEEE10hipError_tPvRmT1_PNSt15iterator_traitsIS12_E10value_typeET2_T3_PNS13_IS18_E10value_typeET4_jRbjT5_S1E_jjP12ihipStream_tbEUljE_ZNSN_ISO_Lb0ESQ_SR_ST_SU_SY_EESZ_S10_S11_S12_S16_S17_S18_S1B_S1C_jS1D_jS1E_S1E_jjS1G_bEUljE0_EEESZ_S10_S11_S18_S1C_S1E_T6_T7_T9_mT8_S1G_bDpT10_ENKUlT_T0_E_clISt17integral_constantIbLb1EES1U_EEDaS1P_S1Q_EUlS1P_E_NS1_11comp_targetILNS1_3genE5ELNS1_11target_archE942ELNS1_3gpuE9ELNS1_3repE0EEENS1_30default_config_static_selectorELNS0_4arch9wavefront6targetE0EEEvS12_
		.amdhsa_group_segment_fixed_size 0
		.amdhsa_private_segment_fixed_size 0
		.amdhsa_kernarg_size 184
		.amdhsa_user_sgpr_count 2
		.amdhsa_user_sgpr_dispatch_ptr 0
		.amdhsa_user_sgpr_queue_ptr 0
		.amdhsa_user_sgpr_kernarg_segment_ptr 1
		.amdhsa_user_sgpr_dispatch_id 0
		.amdhsa_user_sgpr_private_segment_size 0
		.amdhsa_wavefront_size32 1
		.amdhsa_uses_dynamic_stack 0
		.amdhsa_enable_private_segment 0
		.amdhsa_system_sgpr_workgroup_id_x 1
		.amdhsa_system_sgpr_workgroup_id_y 0
		.amdhsa_system_sgpr_workgroup_id_z 0
		.amdhsa_system_sgpr_workgroup_info 0
		.amdhsa_system_vgpr_workitem_id 0
		.amdhsa_next_free_vgpr 1
		.amdhsa_next_free_sgpr 1
		.amdhsa_reserve_vcc 0
		.amdhsa_float_round_mode_32 0
		.amdhsa_float_round_mode_16_64 0
		.amdhsa_float_denorm_mode_32 3
		.amdhsa_float_denorm_mode_16_64 3
		.amdhsa_fp16_overflow 0
		.amdhsa_workgroup_processor_mode 1
		.amdhsa_memory_ordered 1
		.amdhsa_forward_progress 1
		.amdhsa_inst_pref_size 0
		.amdhsa_round_robin_scheduling 0
		.amdhsa_exception_fp_ieee_invalid_op 0
		.amdhsa_exception_fp_denorm_src 0
		.amdhsa_exception_fp_ieee_div_zero 0
		.amdhsa_exception_fp_ieee_overflow 0
		.amdhsa_exception_fp_ieee_underflow 0
		.amdhsa_exception_fp_ieee_inexact 0
		.amdhsa_exception_int_div_zero 0
	.end_amdhsa_kernel
	.section	.text._ZN7rocprim17ROCPRIM_400000_NS6detail17trampoline_kernelINS0_13select_configILj256ELj13ELNS0_17block_load_methodE3ELS4_3ELS4_3ELNS0_20block_scan_algorithmE0ELj4294967295EEENS1_25partition_config_selectorILNS1_17partition_subalgoE4EjNS0_10empty_typeEbEEZZNS1_14partition_implILS8_4ELb0ES6_15HIP_vector_typeIjLj2EENS0_17counting_iteratorIjlEEPS9_SG_NS0_5tupleIJPjSI_NS0_16reverse_iteratorISI_EEEEENSH_IJSG_SG_SG_EEES9_SI_JZNS1_25segmented_radix_sort_implINS0_14default_configELb0EPKaPaPKlPlN2at6native12_GLOBAL__N_18offset_tEEE10hipError_tPvRmT1_PNSt15iterator_traitsIS12_E10value_typeET2_T3_PNS13_IS18_E10value_typeET4_jRbjT5_S1E_jjP12ihipStream_tbEUljE_ZNSN_ISO_Lb0ESQ_SR_ST_SU_SY_EESZ_S10_S11_S12_S16_S17_S18_S1B_S1C_jS1D_jS1E_S1E_jjS1G_bEUljE0_EEESZ_S10_S11_S18_S1C_S1E_T6_T7_T9_mT8_S1G_bDpT10_ENKUlT_T0_E_clISt17integral_constantIbLb1EES1U_EEDaS1P_S1Q_EUlS1P_E_NS1_11comp_targetILNS1_3genE5ELNS1_11target_archE942ELNS1_3gpuE9ELNS1_3repE0EEENS1_30default_config_static_selectorELNS0_4arch9wavefront6targetE0EEEvS12_,"axG",@progbits,_ZN7rocprim17ROCPRIM_400000_NS6detail17trampoline_kernelINS0_13select_configILj256ELj13ELNS0_17block_load_methodE3ELS4_3ELS4_3ELNS0_20block_scan_algorithmE0ELj4294967295EEENS1_25partition_config_selectorILNS1_17partition_subalgoE4EjNS0_10empty_typeEbEEZZNS1_14partition_implILS8_4ELb0ES6_15HIP_vector_typeIjLj2EENS0_17counting_iteratorIjlEEPS9_SG_NS0_5tupleIJPjSI_NS0_16reverse_iteratorISI_EEEEENSH_IJSG_SG_SG_EEES9_SI_JZNS1_25segmented_radix_sort_implINS0_14default_configELb0EPKaPaPKlPlN2at6native12_GLOBAL__N_18offset_tEEE10hipError_tPvRmT1_PNSt15iterator_traitsIS12_E10value_typeET2_T3_PNS13_IS18_E10value_typeET4_jRbjT5_S1E_jjP12ihipStream_tbEUljE_ZNSN_ISO_Lb0ESQ_SR_ST_SU_SY_EESZ_S10_S11_S12_S16_S17_S18_S1B_S1C_jS1D_jS1E_S1E_jjS1G_bEUljE0_EEESZ_S10_S11_S18_S1C_S1E_T6_T7_T9_mT8_S1G_bDpT10_ENKUlT_T0_E_clISt17integral_constantIbLb1EES1U_EEDaS1P_S1Q_EUlS1P_E_NS1_11comp_targetILNS1_3genE5ELNS1_11target_archE942ELNS1_3gpuE9ELNS1_3repE0EEENS1_30default_config_static_selectorELNS0_4arch9wavefront6targetE0EEEvS12_,comdat
.Lfunc_end338:
	.size	_ZN7rocprim17ROCPRIM_400000_NS6detail17trampoline_kernelINS0_13select_configILj256ELj13ELNS0_17block_load_methodE3ELS4_3ELS4_3ELNS0_20block_scan_algorithmE0ELj4294967295EEENS1_25partition_config_selectorILNS1_17partition_subalgoE4EjNS0_10empty_typeEbEEZZNS1_14partition_implILS8_4ELb0ES6_15HIP_vector_typeIjLj2EENS0_17counting_iteratorIjlEEPS9_SG_NS0_5tupleIJPjSI_NS0_16reverse_iteratorISI_EEEEENSH_IJSG_SG_SG_EEES9_SI_JZNS1_25segmented_radix_sort_implINS0_14default_configELb0EPKaPaPKlPlN2at6native12_GLOBAL__N_18offset_tEEE10hipError_tPvRmT1_PNSt15iterator_traitsIS12_E10value_typeET2_T3_PNS13_IS18_E10value_typeET4_jRbjT5_S1E_jjP12ihipStream_tbEUljE_ZNSN_ISO_Lb0ESQ_SR_ST_SU_SY_EESZ_S10_S11_S12_S16_S17_S18_S1B_S1C_jS1D_jS1E_S1E_jjS1G_bEUljE0_EEESZ_S10_S11_S18_S1C_S1E_T6_T7_T9_mT8_S1G_bDpT10_ENKUlT_T0_E_clISt17integral_constantIbLb1EES1U_EEDaS1P_S1Q_EUlS1P_E_NS1_11comp_targetILNS1_3genE5ELNS1_11target_archE942ELNS1_3gpuE9ELNS1_3repE0EEENS1_30default_config_static_selectorELNS0_4arch9wavefront6targetE0EEEvS12_, .Lfunc_end338-_ZN7rocprim17ROCPRIM_400000_NS6detail17trampoline_kernelINS0_13select_configILj256ELj13ELNS0_17block_load_methodE3ELS4_3ELS4_3ELNS0_20block_scan_algorithmE0ELj4294967295EEENS1_25partition_config_selectorILNS1_17partition_subalgoE4EjNS0_10empty_typeEbEEZZNS1_14partition_implILS8_4ELb0ES6_15HIP_vector_typeIjLj2EENS0_17counting_iteratorIjlEEPS9_SG_NS0_5tupleIJPjSI_NS0_16reverse_iteratorISI_EEEEENSH_IJSG_SG_SG_EEES9_SI_JZNS1_25segmented_radix_sort_implINS0_14default_configELb0EPKaPaPKlPlN2at6native12_GLOBAL__N_18offset_tEEE10hipError_tPvRmT1_PNSt15iterator_traitsIS12_E10value_typeET2_T3_PNS13_IS18_E10value_typeET4_jRbjT5_S1E_jjP12ihipStream_tbEUljE_ZNSN_ISO_Lb0ESQ_SR_ST_SU_SY_EESZ_S10_S11_S12_S16_S17_S18_S1B_S1C_jS1D_jS1E_S1E_jjS1G_bEUljE0_EEESZ_S10_S11_S18_S1C_S1E_T6_T7_T9_mT8_S1G_bDpT10_ENKUlT_T0_E_clISt17integral_constantIbLb1EES1U_EEDaS1P_S1Q_EUlS1P_E_NS1_11comp_targetILNS1_3genE5ELNS1_11target_archE942ELNS1_3gpuE9ELNS1_3repE0EEENS1_30default_config_static_selectorELNS0_4arch9wavefront6targetE0EEEvS12_
                                        ; -- End function
	.set _ZN7rocprim17ROCPRIM_400000_NS6detail17trampoline_kernelINS0_13select_configILj256ELj13ELNS0_17block_load_methodE3ELS4_3ELS4_3ELNS0_20block_scan_algorithmE0ELj4294967295EEENS1_25partition_config_selectorILNS1_17partition_subalgoE4EjNS0_10empty_typeEbEEZZNS1_14partition_implILS8_4ELb0ES6_15HIP_vector_typeIjLj2EENS0_17counting_iteratorIjlEEPS9_SG_NS0_5tupleIJPjSI_NS0_16reverse_iteratorISI_EEEEENSH_IJSG_SG_SG_EEES9_SI_JZNS1_25segmented_radix_sort_implINS0_14default_configELb0EPKaPaPKlPlN2at6native12_GLOBAL__N_18offset_tEEE10hipError_tPvRmT1_PNSt15iterator_traitsIS12_E10value_typeET2_T3_PNS13_IS18_E10value_typeET4_jRbjT5_S1E_jjP12ihipStream_tbEUljE_ZNSN_ISO_Lb0ESQ_SR_ST_SU_SY_EESZ_S10_S11_S12_S16_S17_S18_S1B_S1C_jS1D_jS1E_S1E_jjS1G_bEUljE0_EEESZ_S10_S11_S18_S1C_S1E_T6_T7_T9_mT8_S1G_bDpT10_ENKUlT_T0_E_clISt17integral_constantIbLb1EES1U_EEDaS1P_S1Q_EUlS1P_E_NS1_11comp_targetILNS1_3genE5ELNS1_11target_archE942ELNS1_3gpuE9ELNS1_3repE0EEENS1_30default_config_static_selectorELNS0_4arch9wavefront6targetE0EEEvS12_.num_vgpr, 0
	.set _ZN7rocprim17ROCPRIM_400000_NS6detail17trampoline_kernelINS0_13select_configILj256ELj13ELNS0_17block_load_methodE3ELS4_3ELS4_3ELNS0_20block_scan_algorithmE0ELj4294967295EEENS1_25partition_config_selectorILNS1_17partition_subalgoE4EjNS0_10empty_typeEbEEZZNS1_14partition_implILS8_4ELb0ES6_15HIP_vector_typeIjLj2EENS0_17counting_iteratorIjlEEPS9_SG_NS0_5tupleIJPjSI_NS0_16reverse_iteratorISI_EEEEENSH_IJSG_SG_SG_EEES9_SI_JZNS1_25segmented_radix_sort_implINS0_14default_configELb0EPKaPaPKlPlN2at6native12_GLOBAL__N_18offset_tEEE10hipError_tPvRmT1_PNSt15iterator_traitsIS12_E10value_typeET2_T3_PNS13_IS18_E10value_typeET4_jRbjT5_S1E_jjP12ihipStream_tbEUljE_ZNSN_ISO_Lb0ESQ_SR_ST_SU_SY_EESZ_S10_S11_S12_S16_S17_S18_S1B_S1C_jS1D_jS1E_S1E_jjS1G_bEUljE0_EEESZ_S10_S11_S18_S1C_S1E_T6_T7_T9_mT8_S1G_bDpT10_ENKUlT_T0_E_clISt17integral_constantIbLb1EES1U_EEDaS1P_S1Q_EUlS1P_E_NS1_11comp_targetILNS1_3genE5ELNS1_11target_archE942ELNS1_3gpuE9ELNS1_3repE0EEENS1_30default_config_static_selectorELNS0_4arch9wavefront6targetE0EEEvS12_.num_agpr, 0
	.set _ZN7rocprim17ROCPRIM_400000_NS6detail17trampoline_kernelINS0_13select_configILj256ELj13ELNS0_17block_load_methodE3ELS4_3ELS4_3ELNS0_20block_scan_algorithmE0ELj4294967295EEENS1_25partition_config_selectorILNS1_17partition_subalgoE4EjNS0_10empty_typeEbEEZZNS1_14partition_implILS8_4ELb0ES6_15HIP_vector_typeIjLj2EENS0_17counting_iteratorIjlEEPS9_SG_NS0_5tupleIJPjSI_NS0_16reverse_iteratorISI_EEEEENSH_IJSG_SG_SG_EEES9_SI_JZNS1_25segmented_radix_sort_implINS0_14default_configELb0EPKaPaPKlPlN2at6native12_GLOBAL__N_18offset_tEEE10hipError_tPvRmT1_PNSt15iterator_traitsIS12_E10value_typeET2_T3_PNS13_IS18_E10value_typeET4_jRbjT5_S1E_jjP12ihipStream_tbEUljE_ZNSN_ISO_Lb0ESQ_SR_ST_SU_SY_EESZ_S10_S11_S12_S16_S17_S18_S1B_S1C_jS1D_jS1E_S1E_jjS1G_bEUljE0_EEESZ_S10_S11_S18_S1C_S1E_T6_T7_T9_mT8_S1G_bDpT10_ENKUlT_T0_E_clISt17integral_constantIbLb1EES1U_EEDaS1P_S1Q_EUlS1P_E_NS1_11comp_targetILNS1_3genE5ELNS1_11target_archE942ELNS1_3gpuE9ELNS1_3repE0EEENS1_30default_config_static_selectorELNS0_4arch9wavefront6targetE0EEEvS12_.numbered_sgpr, 0
	.set _ZN7rocprim17ROCPRIM_400000_NS6detail17trampoline_kernelINS0_13select_configILj256ELj13ELNS0_17block_load_methodE3ELS4_3ELS4_3ELNS0_20block_scan_algorithmE0ELj4294967295EEENS1_25partition_config_selectorILNS1_17partition_subalgoE4EjNS0_10empty_typeEbEEZZNS1_14partition_implILS8_4ELb0ES6_15HIP_vector_typeIjLj2EENS0_17counting_iteratorIjlEEPS9_SG_NS0_5tupleIJPjSI_NS0_16reverse_iteratorISI_EEEEENSH_IJSG_SG_SG_EEES9_SI_JZNS1_25segmented_radix_sort_implINS0_14default_configELb0EPKaPaPKlPlN2at6native12_GLOBAL__N_18offset_tEEE10hipError_tPvRmT1_PNSt15iterator_traitsIS12_E10value_typeET2_T3_PNS13_IS18_E10value_typeET4_jRbjT5_S1E_jjP12ihipStream_tbEUljE_ZNSN_ISO_Lb0ESQ_SR_ST_SU_SY_EESZ_S10_S11_S12_S16_S17_S18_S1B_S1C_jS1D_jS1E_S1E_jjS1G_bEUljE0_EEESZ_S10_S11_S18_S1C_S1E_T6_T7_T9_mT8_S1G_bDpT10_ENKUlT_T0_E_clISt17integral_constantIbLb1EES1U_EEDaS1P_S1Q_EUlS1P_E_NS1_11comp_targetILNS1_3genE5ELNS1_11target_archE942ELNS1_3gpuE9ELNS1_3repE0EEENS1_30default_config_static_selectorELNS0_4arch9wavefront6targetE0EEEvS12_.num_named_barrier, 0
	.set _ZN7rocprim17ROCPRIM_400000_NS6detail17trampoline_kernelINS0_13select_configILj256ELj13ELNS0_17block_load_methodE3ELS4_3ELS4_3ELNS0_20block_scan_algorithmE0ELj4294967295EEENS1_25partition_config_selectorILNS1_17partition_subalgoE4EjNS0_10empty_typeEbEEZZNS1_14partition_implILS8_4ELb0ES6_15HIP_vector_typeIjLj2EENS0_17counting_iteratorIjlEEPS9_SG_NS0_5tupleIJPjSI_NS0_16reverse_iteratorISI_EEEEENSH_IJSG_SG_SG_EEES9_SI_JZNS1_25segmented_radix_sort_implINS0_14default_configELb0EPKaPaPKlPlN2at6native12_GLOBAL__N_18offset_tEEE10hipError_tPvRmT1_PNSt15iterator_traitsIS12_E10value_typeET2_T3_PNS13_IS18_E10value_typeET4_jRbjT5_S1E_jjP12ihipStream_tbEUljE_ZNSN_ISO_Lb0ESQ_SR_ST_SU_SY_EESZ_S10_S11_S12_S16_S17_S18_S1B_S1C_jS1D_jS1E_S1E_jjS1G_bEUljE0_EEESZ_S10_S11_S18_S1C_S1E_T6_T7_T9_mT8_S1G_bDpT10_ENKUlT_T0_E_clISt17integral_constantIbLb1EES1U_EEDaS1P_S1Q_EUlS1P_E_NS1_11comp_targetILNS1_3genE5ELNS1_11target_archE942ELNS1_3gpuE9ELNS1_3repE0EEENS1_30default_config_static_selectorELNS0_4arch9wavefront6targetE0EEEvS12_.private_seg_size, 0
	.set _ZN7rocprim17ROCPRIM_400000_NS6detail17trampoline_kernelINS0_13select_configILj256ELj13ELNS0_17block_load_methodE3ELS4_3ELS4_3ELNS0_20block_scan_algorithmE0ELj4294967295EEENS1_25partition_config_selectorILNS1_17partition_subalgoE4EjNS0_10empty_typeEbEEZZNS1_14partition_implILS8_4ELb0ES6_15HIP_vector_typeIjLj2EENS0_17counting_iteratorIjlEEPS9_SG_NS0_5tupleIJPjSI_NS0_16reverse_iteratorISI_EEEEENSH_IJSG_SG_SG_EEES9_SI_JZNS1_25segmented_radix_sort_implINS0_14default_configELb0EPKaPaPKlPlN2at6native12_GLOBAL__N_18offset_tEEE10hipError_tPvRmT1_PNSt15iterator_traitsIS12_E10value_typeET2_T3_PNS13_IS18_E10value_typeET4_jRbjT5_S1E_jjP12ihipStream_tbEUljE_ZNSN_ISO_Lb0ESQ_SR_ST_SU_SY_EESZ_S10_S11_S12_S16_S17_S18_S1B_S1C_jS1D_jS1E_S1E_jjS1G_bEUljE0_EEESZ_S10_S11_S18_S1C_S1E_T6_T7_T9_mT8_S1G_bDpT10_ENKUlT_T0_E_clISt17integral_constantIbLb1EES1U_EEDaS1P_S1Q_EUlS1P_E_NS1_11comp_targetILNS1_3genE5ELNS1_11target_archE942ELNS1_3gpuE9ELNS1_3repE0EEENS1_30default_config_static_selectorELNS0_4arch9wavefront6targetE0EEEvS12_.uses_vcc, 0
	.set _ZN7rocprim17ROCPRIM_400000_NS6detail17trampoline_kernelINS0_13select_configILj256ELj13ELNS0_17block_load_methodE3ELS4_3ELS4_3ELNS0_20block_scan_algorithmE0ELj4294967295EEENS1_25partition_config_selectorILNS1_17partition_subalgoE4EjNS0_10empty_typeEbEEZZNS1_14partition_implILS8_4ELb0ES6_15HIP_vector_typeIjLj2EENS0_17counting_iteratorIjlEEPS9_SG_NS0_5tupleIJPjSI_NS0_16reverse_iteratorISI_EEEEENSH_IJSG_SG_SG_EEES9_SI_JZNS1_25segmented_radix_sort_implINS0_14default_configELb0EPKaPaPKlPlN2at6native12_GLOBAL__N_18offset_tEEE10hipError_tPvRmT1_PNSt15iterator_traitsIS12_E10value_typeET2_T3_PNS13_IS18_E10value_typeET4_jRbjT5_S1E_jjP12ihipStream_tbEUljE_ZNSN_ISO_Lb0ESQ_SR_ST_SU_SY_EESZ_S10_S11_S12_S16_S17_S18_S1B_S1C_jS1D_jS1E_S1E_jjS1G_bEUljE0_EEESZ_S10_S11_S18_S1C_S1E_T6_T7_T9_mT8_S1G_bDpT10_ENKUlT_T0_E_clISt17integral_constantIbLb1EES1U_EEDaS1P_S1Q_EUlS1P_E_NS1_11comp_targetILNS1_3genE5ELNS1_11target_archE942ELNS1_3gpuE9ELNS1_3repE0EEENS1_30default_config_static_selectorELNS0_4arch9wavefront6targetE0EEEvS12_.uses_flat_scratch, 0
	.set _ZN7rocprim17ROCPRIM_400000_NS6detail17trampoline_kernelINS0_13select_configILj256ELj13ELNS0_17block_load_methodE3ELS4_3ELS4_3ELNS0_20block_scan_algorithmE0ELj4294967295EEENS1_25partition_config_selectorILNS1_17partition_subalgoE4EjNS0_10empty_typeEbEEZZNS1_14partition_implILS8_4ELb0ES6_15HIP_vector_typeIjLj2EENS0_17counting_iteratorIjlEEPS9_SG_NS0_5tupleIJPjSI_NS0_16reverse_iteratorISI_EEEEENSH_IJSG_SG_SG_EEES9_SI_JZNS1_25segmented_radix_sort_implINS0_14default_configELb0EPKaPaPKlPlN2at6native12_GLOBAL__N_18offset_tEEE10hipError_tPvRmT1_PNSt15iterator_traitsIS12_E10value_typeET2_T3_PNS13_IS18_E10value_typeET4_jRbjT5_S1E_jjP12ihipStream_tbEUljE_ZNSN_ISO_Lb0ESQ_SR_ST_SU_SY_EESZ_S10_S11_S12_S16_S17_S18_S1B_S1C_jS1D_jS1E_S1E_jjS1G_bEUljE0_EEESZ_S10_S11_S18_S1C_S1E_T6_T7_T9_mT8_S1G_bDpT10_ENKUlT_T0_E_clISt17integral_constantIbLb1EES1U_EEDaS1P_S1Q_EUlS1P_E_NS1_11comp_targetILNS1_3genE5ELNS1_11target_archE942ELNS1_3gpuE9ELNS1_3repE0EEENS1_30default_config_static_selectorELNS0_4arch9wavefront6targetE0EEEvS12_.has_dyn_sized_stack, 0
	.set _ZN7rocprim17ROCPRIM_400000_NS6detail17trampoline_kernelINS0_13select_configILj256ELj13ELNS0_17block_load_methodE3ELS4_3ELS4_3ELNS0_20block_scan_algorithmE0ELj4294967295EEENS1_25partition_config_selectorILNS1_17partition_subalgoE4EjNS0_10empty_typeEbEEZZNS1_14partition_implILS8_4ELb0ES6_15HIP_vector_typeIjLj2EENS0_17counting_iteratorIjlEEPS9_SG_NS0_5tupleIJPjSI_NS0_16reverse_iteratorISI_EEEEENSH_IJSG_SG_SG_EEES9_SI_JZNS1_25segmented_radix_sort_implINS0_14default_configELb0EPKaPaPKlPlN2at6native12_GLOBAL__N_18offset_tEEE10hipError_tPvRmT1_PNSt15iterator_traitsIS12_E10value_typeET2_T3_PNS13_IS18_E10value_typeET4_jRbjT5_S1E_jjP12ihipStream_tbEUljE_ZNSN_ISO_Lb0ESQ_SR_ST_SU_SY_EESZ_S10_S11_S12_S16_S17_S18_S1B_S1C_jS1D_jS1E_S1E_jjS1G_bEUljE0_EEESZ_S10_S11_S18_S1C_S1E_T6_T7_T9_mT8_S1G_bDpT10_ENKUlT_T0_E_clISt17integral_constantIbLb1EES1U_EEDaS1P_S1Q_EUlS1P_E_NS1_11comp_targetILNS1_3genE5ELNS1_11target_archE942ELNS1_3gpuE9ELNS1_3repE0EEENS1_30default_config_static_selectorELNS0_4arch9wavefront6targetE0EEEvS12_.has_recursion, 0
	.set _ZN7rocprim17ROCPRIM_400000_NS6detail17trampoline_kernelINS0_13select_configILj256ELj13ELNS0_17block_load_methodE3ELS4_3ELS4_3ELNS0_20block_scan_algorithmE0ELj4294967295EEENS1_25partition_config_selectorILNS1_17partition_subalgoE4EjNS0_10empty_typeEbEEZZNS1_14partition_implILS8_4ELb0ES6_15HIP_vector_typeIjLj2EENS0_17counting_iteratorIjlEEPS9_SG_NS0_5tupleIJPjSI_NS0_16reverse_iteratorISI_EEEEENSH_IJSG_SG_SG_EEES9_SI_JZNS1_25segmented_radix_sort_implINS0_14default_configELb0EPKaPaPKlPlN2at6native12_GLOBAL__N_18offset_tEEE10hipError_tPvRmT1_PNSt15iterator_traitsIS12_E10value_typeET2_T3_PNS13_IS18_E10value_typeET4_jRbjT5_S1E_jjP12ihipStream_tbEUljE_ZNSN_ISO_Lb0ESQ_SR_ST_SU_SY_EESZ_S10_S11_S12_S16_S17_S18_S1B_S1C_jS1D_jS1E_S1E_jjS1G_bEUljE0_EEESZ_S10_S11_S18_S1C_S1E_T6_T7_T9_mT8_S1G_bDpT10_ENKUlT_T0_E_clISt17integral_constantIbLb1EES1U_EEDaS1P_S1Q_EUlS1P_E_NS1_11comp_targetILNS1_3genE5ELNS1_11target_archE942ELNS1_3gpuE9ELNS1_3repE0EEENS1_30default_config_static_selectorELNS0_4arch9wavefront6targetE0EEEvS12_.has_indirect_call, 0
	.section	.AMDGPU.csdata,"",@progbits
; Kernel info:
; codeLenInByte = 0
; TotalNumSgprs: 0
; NumVgprs: 0
; ScratchSize: 0
; MemoryBound: 0
; FloatMode: 240
; IeeeMode: 1
; LDSByteSize: 0 bytes/workgroup (compile time only)
; SGPRBlocks: 0
; VGPRBlocks: 0
; NumSGPRsForWavesPerEU: 1
; NumVGPRsForWavesPerEU: 1
; Occupancy: 16
; WaveLimiterHint : 0
; COMPUTE_PGM_RSRC2:SCRATCH_EN: 0
; COMPUTE_PGM_RSRC2:USER_SGPR: 2
; COMPUTE_PGM_RSRC2:TRAP_HANDLER: 0
; COMPUTE_PGM_RSRC2:TGID_X_EN: 1
; COMPUTE_PGM_RSRC2:TGID_Y_EN: 0
; COMPUTE_PGM_RSRC2:TGID_Z_EN: 0
; COMPUTE_PGM_RSRC2:TIDIG_COMP_CNT: 0
	.section	.text._ZN7rocprim17ROCPRIM_400000_NS6detail17trampoline_kernelINS0_13select_configILj256ELj13ELNS0_17block_load_methodE3ELS4_3ELS4_3ELNS0_20block_scan_algorithmE0ELj4294967295EEENS1_25partition_config_selectorILNS1_17partition_subalgoE4EjNS0_10empty_typeEbEEZZNS1_14partition_implILS8_4ELb0ES6_15HIP_vector_typeIjLj2EENS0_17counting_iteratorIjlEEPS9_SG_NS0_5tupleIJPjSI_NS0_16reverse_iteratorISI_EEEEENSH_IJSG_SG_SG_EEES9_SI_JZNS1_25segmented_radix_sort_implINS0_14default_configELb0EPKaPaPKlPlN2at6native12_GLOBAL__N_18offset_tEEE10hipError_tPvRmT1_PNSt15iterator_traitsIS12_E10value_typeET2_T3_PNS13_IS18_E10value_typeET4_jRbjT5_S1E_jjP12ihipStream_tbEUljE_ZNSN_ISO_Lb0ESQ_SR_ST_SU_SY_EESZ_S10_S11_S12_S16_S17_S18_S1B_S1C_jS1D_jS1E_S1E_jjS1G_bEUljE0_EEESZ_S10_S11_S18_S1C_S1E_T6_T7_T9_mT8_S1G_bDpT10_ENKUlT_T0_E_clISt17integral_constantIbLb1EES1U_EEDaS1P_S1Q_EUlS1P_E_NS1_11comp_targetILNS1_3genE4ELNS1_11target_archE910ELNS1_3gpuE8ELNS1_3repE0EEENS1_30default_config_static_selectorELNS0_4arch9wavefront6targetE0EEEvS12_,"axG",@progbits,_ZN7rocprim17ROCPRIM_400000_NS6detail17trampoline_kernelINS0_13select_configILj256ELj13ELNS0_17block_load_methodE3ELS4_3ELS4_3ELNS0_20block_scan_algorithmE0ELj4294967295EEENS1_25partition_config_selectorILNS1_17partition_subalgoE4EjNS0_10empty_typeEbEEZZNS1_14partition_implILS8_4ELb0ES6_15HIP_vector_typeIjLj2EENS0_17counting_iteratorIjlEEPS9_SG_NS0_5tupleIJPjSI_NS0_16reverse_iteratorISI_EEEEENSH_IJSG_SG_SG_EEES9_SI_JZNS1_25segmented_radix_sort_implINS0_14default_configELb0EPKaPaPKlPlN2at6native12_GLOBAL__N_18offset_tEEE10hipError_tPvRmT1_PNSt15iterator_traitsIS12_E10value_typeET2_T3_PNS13_IS18_E10value_typeET4_jRbjT5_S1E_jjP12ihipStream_tbEUljE_ZNSN_ISO_Lb0ESQ_SR_ST_SU_SY_EESZ_S10_S11_S12_S16_S17_S18_S1B_S1C_jS1D_jS1E_S1E_jjS1G_bEUljE0_EEESZ_S10_S11_S18_S1C_S1E_T6_T7_T9_mT8_S1G_bDpT10_ENKUlT_T0_E_clISt17integral_constantIbLb1EES1U_EEDaS1P_S1Q_EUlS1P_E_NS1_11comp_targetILNS1_3genE4ELNS1_11target_archE910ELNS1_3gpuE8ELNS1_3repE0EEENS1_30default_config_static_selectorELNS0_4arch9wavefront6targetE0EEEvS12_,comdat
	.globl	_ZN7rocprim17ROCPRIM_400000_NS6detail17trampoline_kernelINS0_13select_configILj256ELj13ELNS0_17block_load_methodE3ELS4_3ELS4_3ELNS0_20block_scan_algorithmE0ELj4294967295EEENS1_25partition_config_selectorILNS1_17partition_subalgoE4EjNS0_10empty_typeEbEEZZNS1_14partition_implILS8_4ELb0ES6_15HIP_vector_typeIjLj2EENS0_17counting_iteratorIjlEEPS9_SG_NS0_5tupleIJPjSI_NS0_16reverse_iteratorISI_EEEEENSH_IJSG_SG_SG_EEES9_SI_JZNS1_25segmented_radix_sort_implINS0_14default_configELb0EPKaPaPKlPlN2at6native12_GLOBAL__N_18offset_tEEE10hipError_tPvRmT1_PNSt15iterator_traitsIS12_E10value_typeET2_T3_PNS13_IS18_E10value_typeET4_jRbjT5_S1E_jjP12ihipStream_tbEUljE_ZNSN_ISO_Lb0ESQ_SR_ST_SU_SY_EESZ_S10_S11_S12_S16_S17_S18_S1B_S1C_jS1D_jS1E_S1E_jjS1G_bEUljE0_EEESZ_S10_S11_S18_S1C_S1E_T6_T7_T9_mT8_S1G_bDpT10_ENKUlT_T0_E_clISt17integral_constantIbLb1EES1U_EEDaS1P_S1Q_EUlS1P_E_NS1_11comp_targetILNS1_3genE4ELNS1_11target_archE910ELNS1_3gpuE8ELNS1_3repE0EEENS1_30default_config_static_selectorELNS0_4arch9wavefront6targetE0EEEvS12_ ; -- Begin function _ZN7rocprim17ROCPRIM_400000_NS6detail17trampoline_kernelINS0_13select_configILj256ELj13ELNS0_17block_load_methodE3ELS4_3ELS4_3ELNS0_20block_scan_algorithmE0ELj4294967295EEENS1_25partition_config_selectorILNS1_17partition_subalgoE4EjNS0_10empty_typeEbEEZZNS1_14partition_implILS8_4ELb0ES6_15HIP_vector_typeIjLj2EENS0_17counting_iteratorIjlEEPS9_SG_NS0_5tupleIJPjSI_NS0_16reverse_iteratorISI_EEEEENSH_IJSG_SG_SG_EEES9_SI_JZNS1_25segmented_radix_sort_implINS0_14default_configELb0EPKaPaPKlPlN2at6native12_GLOBAL__N_18offset_tEEE10hipError_tPvRmT1_PNSt15iterator_traitsIS12_E10value_typeET2_T3_PNS13_IS18_E10value_typeET4_jRbjT5_S1E_jjP12ihipStream_tbEUljE_ZNSN_ISO_Lb0ESQ_SR_ST_SU_SY_EESZ_S10_S11_S12_S16_S17_S18_S1B_S1C_jS1D_jS1E_S1E_jjS1G_bEUljE0_EEESZ_S10_S11_S18_S1C_S1E_T6_T7_T9_mT8_S1G_bDpT10_ENKUlT_T0_E_clISt17integral_constantIbLb1EES1U_EEDaS1P_S1Q_EUlS1P_E_NS1_11comp_targetILNS1_3genE4ELNS1_11target_archE910ELNS1_3gpuE8ELNS1_3repE0EEENS1_30default_config_static_selectorELNS0_4arch9wavefront6targetE0EEEvS12_
	.p2align	8
	.type	_ZN7rocprim17ROCPRIM_400000_NS6detail17trampoline_kernelINS0_13select_configILj256ELj13ELNS0_17block_load_methodE3ELS4_3ELS4_3ELNS0_20block_scan_algorithmE0ELj4294967295EEENS1_25partition_config_selectorILNS1_17partition_subalgoE4EjNS0_10empty_typeEbEEZZNS1_14partition_implILS8_4ELb0ES6_15HIP_vector_typeIjLj2EENS0_17counting_iteratorIjlEEPS9_SG_NS0_5tupleIJPjSI_NS0_16reverse_iteratorISI_EEEEENSH_IJSG_SG_SG_EEES9_SI_JZNS1_25segmented_radix_sort_implINS0_14default_configELb0EPKaPaPKlPlN2at6native12_GLOBAL__N_18offset_tEEE10hipError_tPvRmT1_PNSt15iterator_traitsIS12_E10value_typeET2_T3_PNS13_IS18_E10value_typeET4_jRbjT5_S1E_jjP12ihipStream_tbEUljE_ZNSN_ISO_Lb0ESQ_SR_ST_SU_SY_EESZ_S10_S11_S12_S16_S17_S18_S1B_S1C_jS1D_jS1E_S1E_jjS1G_bEUljE0_EEESZ_S10_S11_S18_S1C_S1E_T6_T7_T9_mT8_S1G_bDpT10_ENKUlT_T0_E_clISt17integral_constantIbLb1EES1U_EEDaS1P_S1Q_EUlS1P_E_NS1_11comp_targetILNS1_3genE4ELNS1_11target_archE910ELNS1_3gpuE8ELNS1_3repE0EEENS1_30default_config_static_selectorELNS0_4arch9wavefront6targetE0EEEvS12_,@function
_ZN7rocprim17ROCPRIM_400000_NS6detail17trampoline_kernelINS0_13select_configILj256ELj13ELNS0_17block_load_methodE3ELS4_3ELS4_3ELNS0_20block_scan_algorithmE0ELj4294967295EEENS1_25partition_config_selectorILNS1_17partition_subalgoE4EjNS0_10empty_typeEbEEZZNS1_14partition_implILS8_4ELb0ES6_15HIP_vector_typeIjLj2EENS0_17counting_iteratorIjlEEPS9_SG_NS0_5tupleIJPjSI_NS0_16reverse_iteratorISI_EEEEENSH_IJSG_SG_SG_EEES9_SI_JZNS1_25segmented_radix_sort_implINS0_14default_configELb0EPKaPaPKlPlN2at6native12_GLOBAL__N_18offset_tEEE10hipError_tPvRmT1_PNSt15iterator_traitsIS12_E10value_typeET2_T3_PNS13_IS18_E10value_typeET4_jRbjT5_S1E_jjP12ihipStream_tbEUljE_ZNSN_ISO_Lb0ESQ_SR_ST_SU_SY_EESZ_S10_S11_S12_S16_S17_S18_S1B_S1C_jS1D_jS1E_S1E_jjS1G_bEUljE0_EEESZ_S10_S11_S18_S1C_S1E_T6_T7_T9_mT8_S1G_bDpT10_ENKUlT_T0_E_clISt17integral_constantIbLb1EES1U_EEDaS1P_S1Q_EUlS1P_E_NS1_11comp_targetILNS1_3genE4ELNS1_11target_archE910ELNS1_3gpuE8ELNS1_3repE0EEENS1_30default_config_static_selectorELNS0_4arch9wavefront6targetE0EEEvS12_: ; @_ZN7rocprim17ROCPRIM_400000_NS6detail17trampoline_kernelINS0_13select_configILj256ELj13ELNS0_17block_load_methodE3ELS4_3ELS4_3ELNS0_20block_scan_algorithmE0ELj4294967295EEENS1_25partition_config_selectorILNS1_17partition_subalgoE4EjNS0_10empty_typeEbEEZZNS1_14partition_implILS8_4ELb0ES6_15HIP_vector_typeIjLj2EENS0_17counting_iteratorIjlEEPS9_SG_NS0_5tupleIJPjSI_NS0_16reverse_iteratorISI_EEEEENSH_IJSG_SG_SG_EEES9_SI_JZNS1_25segmented_radix_sort_implINS0_14default_configELb0EPKaPaPKlPlN2at6native12_GLOBAL__N_18offset_tEEE10hipError_tPvRmT1_PNSt15iterator_traitsIS12_E10value_typeET2_T3_PNS13_IS18_E10value_typeET4_jRbjT5_S1E_jjP12ihipStream_tbEUljE_ZNSN_ISO_Lb0ESQ_SR_ST_SU_SY_EESZ_S10_S11_S12_S16_S17_S18_S1B_S1C_jS1D_jS1E_S1E_jjS1G_bEUljE0_EEESZ_S10_S11_S18_S1C_S1E_T6_T7_T9_mT8_S1G_bDpT10_ENKUlT_T0_E_clISt17integral_constantIbLb1EES1U_EEDaS1P_S1Q_EUlS1P_E_NS1_11comp_targetILNS1_3genE4ELNS1_11target_archE910ELNS1_3gpuE8ELNS1_3repE0EEENS1_30default_config_static_selectorELNS0_4arch9wavefront6targetE0EEEvS12_
; %bb.0:
	.section	.rodata,"a",@progbits
	.p2align	6, 0x0
	.amdhsa_kernel _ZN7rocprim17ROCPRIM_400000_NS6detail17trampoline_kernelINS0_13select_configILj256ELj13ELNS0_17block_load_methodE3ELS4_3ELS4_3ELNS0_20block_scan_algorithmE0ELj4294967295EEENS1_25partition_config_selectorILNS1_17partition_subalgoE4EjNS0_10empty_typeEbEEZZNS1_14partition_implILS8_4ELb0ES6_15HIP_vector_typeIjLj2EENS0_17counting_iteratorIjlEEPS9_SG_NS0_5tupleIJPjSI_NS0_16reverse_iteratorISI_EEEEENSH_IJSG_SG_SG_EEES9_SI_JZNS1_25segmented_radix_sort_implINS0_14default_configELb0EPKaPaPKlPlN2at6native12_GLOBAL__N_18offset_tEEE10hipError_tPvRmT1_PNSt15iterator_traitsIS12_E10value_typeET2_T3_PNS13_IS18_E10value_typeET4_jRbjT5_S1E_jjP12ihipStream_tbEUljE_ZNSN_ISO_Lb0ESQ_SR_ST_SU_SY_EESZ_S10_S11_S12_S16_S17_S18_S1B_S1C_jS1D_jS1E_S1E_jjS1G_bEUljE0_EEESZ_S10_S11_S18_S1C_S1E_T6_T7_T9_mT8_S1G_bDpT10_ENKUlT_T0_E_clISt17integral_constantIbLb1EES1U_EEDaS1P_S1Q_EUlS1P_E_NS1_11comp_targetILNS1_3genE4ELNS1_11target_archE910ELNS1_3gpuE8ELNS1_3repE0EEENS1_30default_config_static_selectorELNS0_4arch9wavefront6targetE0EEEvS12_
		.amdhsa_group_segment_fixed_size 0
		.amdhsa_private_segment_fixed_size 0
		.amdhsa_kernarg_size 184
		.amdhsa_user_sgpr_count 2
		.amdhsa_user_sgpr_dispatch_ptr 0
		.amdhsa_user_sgpr_queue_ptr 0
		.amdhsa_user_sgpr_kernarg_segment_ptr 1
		.amdhsa_user_sgpr_dispatch_id 0
		.amdhsa_user_sgpr_private_segment_size 0
		.amdhsa_wavefront_size32 1
		.amdhsa_uses_dynamic_stack 0
		.amdhsa_enable_private_segment 0
		.amdhsa_system_sgpr_workgroup_id_x 1
		.amdhsa_system_sgpr_workgroup_id_y 0
		.amdhsa_system_sgpr_workgroup_id_z 0
		.amdhsa_system_sgpr_workgroup_info 0
		.amdhsa_system_vgpr_workitem_id 0
		.amdhsa_next_free_vgpr 1
		.amdhsa_next_free_sgpr 1
		.amdhsa_reserve_vcc 0
		.amdhsa_float_round_mode_32 0
		.amdhsa_float_round_mode_16_64 0
		.amdhsa_float_denorm_mode_32 3
		.amdhsa_float_denorm_mode_16_64 3
		.amdhsa_fp16_overflow 0
		.amdhsa_workgroup_processor_mode 1
		.amdhsa_memory_ordered 1
		.amdhsa_forward_progress 1
		.amdhsa_inst_pref_size 0
		.amdhsa_round_robin_scheduling 0
		.amdhsa_exception_fp_ieee_invalid_op 0
		.amdhsa_exception_fp_denorm_src 0
		.amdhsa_exception_fp_ieee_div_zero 0
		.amdhsa_exception_fp_ieee_overflow 0
		.amdhsa_exception_fp_ieee_underflow 0
		.amdhsa_exception_fp_ieee_inexact 0
		.amdhsa_exception_int_div_zero 0
	.end_amdhsa_kernel
	.section	.text._ZN7rocprim17ROCPRIM_400000_NS6detail17trampoline_kernelINS0_13select_configILj256ELj13ELNS0_17block_load_methodE3ELS4_3ELS4_3ELNS0_20block_scan_algorithmE0ELj4294967295EEENS1_25partition_config_selectorILNS1_17partition_subalgoE4EjNS0_10empty_typeEbEEZZNS1_14partition_implILS8_4ELb0ES6_15HIP_vector_typeIjLj2EENS0_17counting_iteratorIjlEEPS9_SG_NS0_5tupleIJPjSI_NS0_16reverse_iteratorISI_EEEEENSH_IJSG_SG_SG_EEES9_SI_JZNS1_25segmented_radix_sort_implINS0_14default_configELb0EPKaPaPKlPlN2at6native12_GLOBAL__N_18offset_tEEE10hipError_tPvRmT1_PNSt15iterator_traitsIS12_E10value_typeET2_T3_PNS13_IS18_E10value_typeET4_jRbjT5_S1E_jjP12ihipStream_tbEUljE_ZNSN_ISO_Lb0ESQ_SR_ST_SU_SY_EESZ_S10_S11_S12_S16_S17_S18_S1B_S1C_jS1D_jS1E_S1E_jjS1G_bEUljE0_EEESZ_S10_S11_S18_S1C_S1E_T6_T7_T9_mT8_S1G_bDpT10_ENKUlT_T0_E_clISt17integral_constantIbLb1EES1U_EEDaS1P_S1Q_EUlS1P_E_NS1_11comp_targetILNS1_3genE4ELNS1_11target_archE910ELNS1_3gpuE8ELNS1_3repE0EEENS1_30default_config_static_selectorELNS0_4arch9wavefront6targetE0EEEvS12_,"axG",@progbits,_ZN7rocprim17ROCPRIM_400000_NS6detail17trampoline_kernelINS0_13select_configILj256ELj13ELNS0_17block_load_methodE3ELS4_3ELS4_3ELNS0_20block_scan_algorithmE0ELj4294967295EEENS1_25partition_config_selectorILNS1_17partition_subalgoE4EjNS0_10empty_typeEbEEZZNS1_14partition_implILS8_4ELb0ES6_15HIP_vector_typeIjLj2EENS0_17counting_iteratorIjlEEPS9_SG_NS0_5tupleIJPjSI_NS0_16reverse_iteratorISI_EEEEENSH_IJSG_SG_SG_EEES9_SI_JZNS1_25segmented_radix_sort_implINS0_14default_configELb0EPKaPaPKlPlN2at6native12_GLOBAL__N_18offset_tEEE10hipError_tPvRmT1_PNSt15iterator_traitsIS12_E10value_typeET2_T3_PNS13_IS18_E10value_typeET4_jRbjT5_S1E_jjP12ihipStream_tbEUljE_ZNSN_ISO_Lb0ESQ_SR_ST_SU_SY_EESZ_S10_S11_S12_S16_S17_S18_S1B_S1C_jS1D_jS1E_S1E_jjS1G_bEUljE0_EEESZ_S10_S11_S18_S1C_S1E_T6_T7_T9_mT8_S1G_bDpT10_ENKUlT_T0_E_clISt17integral_constantIbLb1EES1U_EEDaS1P_S1Q_EUlS1P_E_NS1_11comp_targetILNS1_3genE4ELNS1_11target_archE910ELNS1_3gpuE8ELNS1_3repE0EEENS1_30default_config_static_selectorELNS0_4arch9wavefront6targetE0EEEvS12_,comdat
.Lfunc_end339:
	.size	_ZN7rocprim17ROCPRIM_400000_NS6detail17trampoline_kernelINS0_13select_configILj256ELj13ELNS0_17block_load_methodE3ELS4_3ELS4_3ELNS0_20block_scan_algorithmE0ELj4294967295EEENS1_25partition_config_selectorILNS1_17partition_subalgoE4EjNS0_10empty_typeEbEEZZNS1_14partition_implILS8_4ELb0ES6_15HIP_vector_typeIjLj2EENS0_17counting_iteratorIjlEEPS9_SG_NS0_5tupleIJPjSI_NS0_16reverse_iteratorISI_EEEEENSH_IJSG_SG_SG_EEES9_SI_JZNS1_25segmented_radix_sort_implINS0_14default_configELb0EPKaPaPKlPlN2at6native12_GLOBAL__N_18offset_tEEE10hipError_tPvRmT1_PNSt15iterator_traitsIS12_E10value_typeET2_T3_PNS13_IS18_E10value_typeET4_jRbjT5_S1E_jjP12ihipStream_tbEUljE_ZNSN_ISO_Lb0ESQ_SR_ST_SU_SY_EESZ_S10_S11_S12_S16_S17_S18_S1B_S1C_jS1D_jS1E_S1E_jjS1G_bEUljE0_EEESZ_S10_S11_S18_S1C_S1E_T6_T7_T9_mT8_S1G_bDpT10_ENKUlT_T0_E_clISt17integral_constantIbLb1EES1U_EEDaS1P_S1Q_EUlS1P_E_NS1_11comp_targetILNS1_3genE4ELNS1_11target_archE910ELNS1_3gpuE8ELNS1_3repE0EEENS1_30default_config_static_selectorELNS0_4arch9wavefront6targetE0EEEvS12_, .Lfunc_end339-_ZN7rocprim17ROCPRIM_400000_NS6detail17trampoline_kernelINS0_13select_configILj256ELj13ELNS0_17block_load_methodE3ELS4_3ELS4_3ELNS0_20block_scan_algorithmE0ELj4294967295EEENS1_25partition_config_selectorILNS1_17partition_subalgoE4EjNS0_10empty_typeEbEEZZNS1_14partition_implILS8_4ELb0ES6_15HIP_vector_typeIjLj2EENS0_17counting_iteratorIjlEEPS9_SG_NS0_5tupleIJPjSI_NS0_16reverse_iteratorISI_EEEEENSH_IJSG_SG_SG_EEES9_SI_JZNS1_25segmented_radix_sort_implINS0_14default_configELb0EPKaPaPKlPlN2at6native12_GLOBAL__N_18offset_tEEE10hipError_tPvRmT1_PNSt15iterator_traitsIS12_E10value_typeET2_T3_PNS13_IS18_E10value_typeET4_jRbjT5_S1E_jjP12ihipStream_tbEUljE_ZNSN_ISO_Lb0ESQ_SR_ST_SU_SY_EESZ_S10_S11_S12_S16_S17_S18_S1B_S1C_jS1D_jS1E_S1E_jjS1G_bEUljE0_EEESZ_S10_S11_S18_S1C_S1E_T6_T7_T9_mT8_S1G_bDpT10_ENKUlT_T0_E_clISt17integral_constantIbLb1EES1U_EEDaS1P_S1Q_EUlS1P_E_NS1_11comp_targetILNS1_3genE4ELNS1_11target_archE910ELNS1_3gpuE8ELNS1_3repE0EEENS1_30default_config_static_selectorELNS0_4arch9wavefront6targetE0EEEvS12_
                                        ; -- End function
	.set _ZN7rocprim17ROCPRIM_400000_NS6detail17trampoline_kernelINS0_13select_configILj256ELj13ELNS0_17block_load_methodE3ELS4_3ELS4_3ELNS0_20block_scan_algorithmE0ELj4294967295EEENS1_25partition_config_selectorILNS1_17partition_subalgoE4EjNS0_10empty_typeEbEEZZNS1_14partition_implILS8_4ELb0ES6_15HIP_vector_typeIjLj2EENS0_17counting_iteratorIjlEEPS9_SG_NS0_5tupleIJPjSI_NS0_16reverse_iteratorISI_EEEEENSH_IJSG_SG_SG_EEES9_SI_JZNS1_25segmented_radix_sort_implINS0_14default_configELb0EPKaPaPKlPlN2at6native12_GLOBAL__N_18offset_tEEE10hipError_tPvRmT1_PNSt15iterator_traitsIS12_E10value_typeET2_T3_PNS13_IS18_E10value_typeET4_jRbjT5_S1E_jjP12ihipStream_tbEUljE_ZNSN_ISO_Lb0ESQ_SR_ST_SU_SY_EESZ_S10_S11_S12_S16_S17_S18_S1B_S1C_jS1D_jS1E_S1E_jjS1G_bEUljE0_EEESZ_S10_S11_S18_S1C_S1E_T6_T7_T9_mT8_S1G_bDpT10_ENKUlT_T0_E_clISt17integral_constantIbLb1EES1U_EEDaS1P_S1Q_EUlS1P_E_NS1_11comp_targetILNS1_3genE4ELNS1_11target_archE910ELNS1_3gpuE8ELNS1_3repE0EEENS1_30default_config_static_selectorELNS0_4arch9wavefront6targetE0EEEvS12_.num_vgpr, 0
	.set _ZN7rocprim17ROCPRIM_400000_NS6detail17trampoline_kernelINS0_13select_configILj256ELj13ELNS0_17block_load_methodE3ELS4_3ELS4_3ELNS0_20block_scan_algorithmE0ELj4294967295EEENS1_25partition_config_selectorILNS1_17partition_subalgoE4EjNS0_10empty_typeEbEEZZNS1_14partition_implILS8_4ELb0ES6_15HIP_vector_typeIjLj2EENS0_17counting_iteratorIjlEEPS9_SG_NS0_5tupleIJPjSI_NS0_16reverse_iteratorISI_EEEEENSH_IJSG_SG_SG_EEES9_SI_JZNS1_25segmented_radix_sort_implINS0_14default_configELb0EPKaPaPKlPlN2at6native12_GLOBAL__N_18offset_tEEE10hipError_tPvRmT1_PNSt15iterator_traitsIS12_E10value_typeET2_T3_PNS13_IS18_E10value_typeET4_jRbjT5_S1E_jjP12ihipStream_tbEUljE_ZNSN_ISO_Lb0ESQ_SR_ST_SU_SY_EESZ_S10_S11_S12_S16_S17_S18_S1B_S1C_jS1D_jS1E_S1E_jjS1G_bEUljE0_EEESZ_S10_S11_S18_S1C_S1E_T6_T7_T9_mT8_S1G_bDpT10_ENKUlT_T0_E_clISt17integral_constantIbLb1EES1U_EEDaS1P_S1Q_EUlS1P_E_NS1_11comp_targetILNS1_3genE4ELNS1_11target_archE910ELNS1_3gpuE8ELNS1_3repE0EEENS1_30default_config_static_selectorELNS0_4arch9wavefront6targetE0EEEvS12_.num_agpr, 0
	.set _ZN7rocprim17ROCPRIM_400000_NS6detail17trampoline_kernelINS0_13select_configILj256ELj13ELNS0_17block_load_methodE3ELS4_3ELS4_3ELNS0_20block_scan_algorithmE0ELj4294967295EEENS1_25partition_config_selectorILNS1_17partition_subalgoE4EjNS0_10empty_typeEbEEZZNS1_14partition_implILS8_4ELb0ES6_15HIP_vector_typeIjLj2EENS0_17counting_iteratorIjlEEPS9_SG_NS0_5tupleIJPjSI_NS0_16reverse_iteratorISI_EEEEENSH_IJSG_SG_SG_EEES9_SI_JZNS1_25segmented_radix_sort_implINS0_14default_configELb0EPKaPaPKlPlN2at6native12_GLOBAL__N_18offset_tEEE10hipError_tPvRmT1_PNSt15iterator_traitsIS12_E10value_typeET2_T3_PNS13_IS18_E10value_typeET4_jRbjT5_S1E_jjP12ihipStream_tbEUljE_ZNSN_ISO_Lb0ESQ_SR_ST_SU_SY_EESZ_S10_S11_S12_S16_S17_S18_S1B_S1C_jS1D_jS1E_S1E_jjS1G_bEUljE0_EEESZ_S10_S11_S18_S1C_S1E_T6_T7_T9_mT8_S1G_bDpT10_ENKUlT_T0_E_clISt17integral_constantIbLb1EES1U_EEDaS1P_S1Q_EUlS1P_E_NS1_11comp_targetILNS1_3genE4ELNS1_11target_archE910ELNS1_3gpuE8ELNS1_3repE0EEENS1_30default_config_static_selectorELNS0_4arch9wavefront6targetE0EEEvS12_.numbered_sgpr, 0
	.set _ZN7rocprim17ROCPRIM_400000_NS6detail17trampoline_kernelINS0_13select_configILj256ELj13ELNS0_17block_load_methodE3ELS4_3ELS4_3ELNS0_20block_scan_algorithmE0ELj4294967295EEENS1_25partition_config_selectorILNS1_17partition_subalgoE4EjNS0_10empty_typeEbEEZZNS1_14partition_implILS8_4ELb0ES6_15HIP_vector_typeIjLj2EENS0_17counting_iteratorIjlEEPS9_SG_NS0_5tupleIJPjSI_NS0_16reverse_iteratorISI_EEEEENSH_IJSG_SG_SG_EEES9_SI_JZNS1_25segmented_radix_sort_implINS0_14default_configELb0EPKaPaPKlPlN2at6native12_GLOBAL__N_18offset_tEEE10hipError_tPvRmT1_PNSt15iterator_traitsIS12_E10value_typeET2_T3_PNS13_IS18_E10value_typeET4_jRbjT5_S1E_jjP12ihipStream_tbEUljE_ZNSN_ISO_Lb0ESQ_SR_ST_SU_SY_EESZ_S10_S11_S12_S16_S17_S18_S1B_S1C_jS1D_jS1E_S1E_jjS1G_bEUljE0_EEESZ_S10_S11_S18_S1C_S1E_T6_T7_T9_mT8_S1G_bDpT10_ENKUlT_T0_E_clISt17integral_constantIbLb1EES1U_EEDaS1P_S1Q_EUlS1P_E_NS1_11comp_targetILNS1_3genE4ELNS1_11target_archE910ELNS1_3gpuE8ELNS1_3repE0EEENS1_30default_config_static_selectorELNS0_4arch9wavefront6targetE0EEEvS12_.num_named_barrier, 0
	.set _ZN7rocprim17ROCPRIM_400000_NS6detail17trampoline_kernelINS0_13select_configILj256ELj13ELNS0_17block_load_methodE3ELS4_3ELS4_3ELNS0_20block_scan_algorithmE0ELj4294967295EEENS1_25partition_config_selectorILNS1_17partition_subalgoE4EjNS0_10empty_typeEbEEZZNS1_14partition_implILS8_4ELb0ES6_15HIP_vector_typeIjLj2EENS0_17counting_iteratorIjlEEPS9_SG_NS0_5tupleIJPjSI_NS0_16reverse_iteratorISI_EEEEENSH_IJSG_SG_SG_EEES9_SI_JZNS1_25segmented_radix_sort_implINS0_14default_configELb0EPKaPaPKlPlN2at6native12_GLOBAL__N_18offset_tEEE10hipError_tPvRmT1_PNSt15iterator_traitsIS12_E10value_typeET2_T3_PNS13_IS18_E10value_typeET4_jRbjT5_S1E_jjP12ihipStream_tbEUljE_ZNSN_ISO_Lb0ESQ_SR_ST_SU_SY_EESZ_S10_S11_S12_S16_S17_S18_S1B_S1C_jS1D_jS1E_S1E_jjS1G_bEUljE0_EEESZ_S10_S11_S18_S1C_S1E_T6_T7_T9_mT8_S1G_bDpT10_ENKUlT_T0_E_clISt17integral_constantIbLb1EES1U_EEDaS1P_S1Q_EUlS1P_E_NS1_11comp_targetILNS1_3genE4ELNS1_11target_archE910ELNS1_3gpuE8ELNS1_3repE0EEENS1_30default_config_static_selectorELNS0_4arch9wavefront6targetE0EEEvS12_.private_seg_size, 0
	.set _ZN7rocprim17ROCPRIM_400000_NS6detail17trampoline_kernelINS0_13select_configILj256ELj13ELNS0_17block_load_methodE3ELS4_3ELS4_3ELNS0_20block_scan_algorithmE0ELj4294967295EEENS1_25partition_config_selectorILNS1_17partition_subalgoE4EjNS0_10empty_typeEbEEZZNS1_14partition_implILS8_4ELb0ES6_15HIP_vector_typeIjLj2EENS0_17counting_iteratorIjlEEPS9_SG_NS0_5tupleIJPjSI_NS0_16reverse_iteratorISI_EEEEENSH_IJSG_SG_SG_EEES9_SI_JZNS1_25segmented_radix_sort_implINS0_14default_configELb0EPKaPaPKlPlN2at6native12_GLOBAL__N_18offset_tEEE10hipError_tPvRmT1_PNSt15iterator_traitsIS12_E10value_typeET2_T3_PNS13_IS18_E10value_typeET4_jRbjT5_S1E_jjP12ihipStream_tbEUljE_ZNSN_ISO_Lb0ESQ_SR_ST_SU_SY_EESZ_S10_S11_S12_S16_S17_S18_S1B_S1C_jS1D_jS1E_S1E_jjS1G_bEUljE0_EEESZ_S10_S11_S18_S1C_S1E_T6_T7_T9_mT8_S1G_bDpT10_ENKUlT_T0_E_clISt17integral_constantIbLb1EES1U_EEDaS1P_S1Q_EUlS1P_E_NS1_11comp_targetILNS1_3genE4ELNS1_11target_archE910ELNS1_3gpuE8ELNS1_3repE0EEENS1_30default_config_static_selectorELNS0_4arch9wavefront6targetE0EEEvS12_.uses_vcc, 0
	.set _ZN7rocprim17ROCPRIM_400000_NS6detail17trampoline_kernelINS0_13select_configILj256ELj13ELNS0_17block_load_methodE3ELS4_3ELS4_3ELNS0_20block_scan_algorithmE0ELj4294967295EEENS1_25partition_config_selectorILNS1_17partition_subalgoE4EjNS0_10empty_typeEbEEZZNS1_14partition_implILS8_4ELb0ES6_15HIP_vector_typeIjLj2EENS0_17counting_iteratorIjlEEPS9_SG_NS0_5tupleIJPjSI_NS0_16reverse_iteratorISI_EEEEENSH_IJSG_SG_SG_EEES9_SI_JZNS1_25segmented_radix_sort_implINS0_14default_configELb0EPKaPaPKlPlN2at6native12_GLOBAL__N_18offset_tEEE10hipError_tPvRmT1_PNSt15iterator_traitsIS12_E10value_typeET2_T3_PNS13_IS18_E10value_typeET4_jRbjT5_S1E_jjP12ihipStream_tbEUljE_ZNSN_ISO_Lb0ESQ_SR_ST_SU_SY_EESZ_S10_S11_S12_S16_S17_S18_S1B_S1C_jS1D_jS1E_S1E_jjS1G_bEUljE0_EEESZ_S10_S11_S18_S1C_S1E_T6_T7_T9_mT8_S1G_bDpT10_ENKUlT_T0_E_clISt17integral_constantIbLb1EES1U_EEDaS1P_S1Q_EUlS1P_E_NS1_11comp_targetILNS1_3genE4ELNS1_11target_archE910ELNS1_3gpuE8ELNS1_3repE0EEENS1_30default_config_static_selectorELNS0_4arch9wavefront6targetE0EEEvS12_.uses_flat_scratch, 0
	.set _ZN7rocprim17ROCPRIM_400000_NS6detail17trampoline_kernelINS0_13select_configILj256ELj13ELNS0_17block_load_methodE3ELS4_3ELS4_3ELNS0_20block_scan_algorithmE0ELj4294967295EEENS1_25partition_config_selectorILNS1_17partition_subalgoE4EjNS0_10empty_typeEbEEZZNS1_14partition_implILS8_4ELb0ES6_15HIP_vector_typeIjLj2EENS0_17counting_iteratorIjlEEPS9_SG_NS0_5tupleIJPjSI_NS0_16reverse_iteratorISI_EEEEENSH_IJSG_SG_SG_EEES9_SI_JZNS1_25segmented_radix_sort_implINS0_14default_configELb0EPKaPaPKlPlN2at6native12_GLOBAL__N_18offset_tEEE10hipError_tPvRmT1_PNSt15iterator_traitsIS12_E10value_typeET2_T3_PNS13_IS18_E10value_typeET4_jRbjT5_S1E_jjP12ihipStream_tbEUljE_ZNSN_ISO_Lb0ESQ_SR_ST_SU_SY_EESZ_S10_S11_S12_S16_S17_S18_S1B_S1C_jS1D_jS1E_S1E_jjS1G_bEUljE0_EEESZ_S10_S11_S18_S1C_S1E_T6_T7_T9_mT8_S1G_bDpT10_ENKUlT_T0_E_clISt17integral_constantIbLb1EES1U_EEDaS1P_S1Q_EUlS1P_E_NS1_11comp_targetILNS1_3genE4ELNS1_11target_archE910ELNS1_3gpuE8ELNS1_3repE0EEENS1_30default_config_static_selectorELNS0_4arch9wavefront6targetE0EEEvS12_.has_dyn_sized_stack, 0
	.set _ZN7rocprim17ROCPRIM_400000_NS6detail17trampoline_kernelINS0_13select_configILj256ELj13ELNS0_17block_load_methodE3ELS4_3ELS4_3ELNS0_20block_scan_algorithmE0ELj4294967295EEENS1_25partition_config_selectorILNS1_17partition_subalgoE4EjNS0_10empty_typeEbEEZZNS1_14partition_implILS8_4ELb0ES6_15HIP_vector_typeIjLj2EENS0_17counting_iteratorIjlEEPS9_SG_NS0_5tupleIJPjSI_NS0_16reverse_iteratorISI_EEEEENSH_IJSG_SG_SG_EEES9_SI_JZNS1_25segmented_radix_sort_implINS0_14default_configELb0EPKaPaPKlPlN2at6native12_GLOBAL__N_18offset_tEEE10hipError_tPvRmT1_PNSt15iterator_traitsIS12_E10value_typeET2_T3_PNS13_IS18_E10value_typeET4_jRbjT5_S1E_jjP12ihipStream_tbEUljE_ZNSN_ISO_Lb0ESQ_SR_ST_SU_SY_EESZ_S10_S11_S12_S16_S17_S18_S1B_S1C_jS1D_jS1E_S1E_jjS1G_bEUljE0_EEESZ_S10_S11_S18_S1C_S1E_T6_T7_T9_mT8_S1G_bDpT10_ENKUlT_T0_E_clISt17integral_constantIbLb1EES1U_EEDaS1P_S1Q_EUlS1P_E_NS1_11comp_targetILNS1_3genE4ELNS1_11target_archE910ELNS1_3gpuE8ELNS1_3repE0EEENS1_30default_config_static_selectorELNS0_4arch9wavefront6targetE0EEEvS12_.has_recursion, 0
	.set _ZN7rocprim17ROCPRIM_400000_NS6detail17trampoline_kernelINS0_13select_configILj256ELj13ELNS0_17block_load_methodE3ELS4_3ELS4_3ELNS0_20block_scan_algorithmE0ELj4294967295EEENS1_25partition_config_selectorILNS1_17partition_subalgoE4EjNS0_10empty_typeEbEEZZNS1_14partition_implILS8_4ELb0ES6_15HIP_vector_typeIjLj2EENS0_17counting_iteratorIjlEEPS9_SG_NS0_5tupleIJPjSI_NS0_16reverse_iteratorISI_EEEEENSH_IJSG_SG_SG_EEES9_SI_JZNS1_25segmented_radix_sort_implINS0_14default_configELb0EPKaPaPKlPlN2at6native12_GLOBAL__N_18offset_tEEE10hipError_tPvRmT1_PNSt15iterator_traitsIS12_E10value_typeET2_T3_PNS13_IS18_E10value_typeET4_jRbjT5_S1E_jjP12ihipStream_tbEUljE_ZNSN_ISO_Lb0ESQ_SR_ST_SU_SY_EESZ_S10_S11_S12_S16_S17_S18_S1B_S1C_jS1D_jS1E_S1E_jjS1G_bEUljE0_EEESZ_S10_S11_S18_S1C_S1E_T6_T7_T9_mT8_S1G_bDpT10_ENKUlT_T0_E_clISt17integral_constantIbLb1EES1U_EEDaS1P_S1Q_EUlS1P_E_NS1_11comp_targetILNS1_3genE4ELNS1_11target_archE910ELNS1_3gpuE8ELNS1_3repE0EEENS1_30default_config_static_selectorELNS0_4arch9wavefront6targetE0EEEvS12_.has_indirect_call, 0
	.section	.AMDGPU.csdata,"",@progbits
; Kernel info:
; codeLenInByte = 0
; TotalNumSgprs: 0
; NumVgprs: 0
; ScratchSize: 0
; MemoryBound: 0
; FloatMode: 240
; IeeeMode: 1
; LDSByteSize: 0 bytes/workgroup (compile time only)
; SGPRBlocks: 0
; VGPRBlocks: 0
; NumSGPRsForWavesPerEU: 1
; NumVGPRsForWavesPerEU: 1
; Occupancy: 16
; WaveLimiterHint : 0
; COMPUTE_PGM_RSRC2:SCRATCH_EN: 0
; COMPUTE_PGM_RSRC2:USER_SGPR: 2
; COMPUTE_PGM_RSRC2:TRAP_HANDLER: 0
; COMPUTE_PGM_RSRC2:TGID_X_EN: 1
; COMPUTE_PGM_RSRC2:TGID_Y_EN: 0
; COMPUTE_PGM_RSRC2:TGID_Z_EN: 0
; COMPUTE_PGM_RSRC2:TIDIG_COMP_CNT: 0
	.section	.text._ZN7rocprim17ROCPRIM_400000_NS6detail17trampoline_kernelINS0_13select_configILj256ELj13ELNS0_17block_load_methodE3ELS4_3ELS4_3ELNS0_20block_scan_algorithmE0ELj4294967295EEENS1_25partition_config_selectorILNS1_17partition_subalgoE4EjNS0_10empty_typeEbEEZZNS1_14partition_implILS8_4ELb0ES6_15HIP_vector_typeIjLj2EENS0_17counting_iteratorIjlEEPS9_SG_NS0_5tupleIJPjSI_NS0_16reverse_iteratorISI_EEEEENSH_IJSG_SG_SG_EEES9_SI_JZNS1_25segmented_radix_sort_implINS0_14default_configELb0EPKaPaPKlPlN2at6native12_GLOBAL__N_18offset_tEEE10hipError_tPvRmT1_PNSt15iterator_traitsIS12_E10value_typeET2_T3_PNS13_IS18_E10value_typeET4_jRbjT5_S1E_jjP12ihipStream_tbEUljE_ZNSN_ISO_Lb0ESQ_SR_ST_SU_SY_EESZ_S10_S11_S12_S16_S17_S18_S1B_S1C_jS1D_jS1E_S1E_jjS1G_bEUljE0_EEESZ_S10_S11_S18_S1C_S1E_T6_T7_T9_mT8_S1G_bDpT10_ENKUlT_T0_E_clISt17integral_constantIbLb1EES1U_EEDaS1P_S1Q_EUlS1P_E_NS1_11comp_targetILNS1_3genE3ELNS1_11target_archE908ELNS1_3gpuE7ELNS1_3repE0EEENS1_30default_config_static_selectorELNS0_4arch9wavefront6targetE0EEEvS12_,"axG",@progbits,_ZN7rocprim17ROCPRIM_400000_NS6detail17trampoline_kernelINS0_13select_configILj256ELj13ELNS0_17block_load_methodE3ELS4_3ELS4_3ELNS0_20block_scan_algorithmE0ELj4294967295EEENS1_25partition_config_selectorILNS1_17partition_subalgoE4EjNS0_10empty_typeEbEEZZNS1_14partition_implILS8_4ELb0ES6_15HIP_vector_typeIjLj2EENS0_17counting_iteratorIjlEEPS9_SG_NS0_5tupleIJPjSI_NS0_16reverse_iteratorISI_EEEEENSH_IJSG_SG_SG_EEES9_SI_JZNS1_25segmented_radix_sort_implINS0_14default_configELb0EPKaPaPKlPlN2at6native12_GLOBAL__N_18offset_tEEE10hipError_tPvRmT1_PNSt15iterator_traitsIS12_E10value_typeET2_T3_PNS13_IS18_E10value_typeET4_jRbjT5_S1E_jjP12ihipStream_tbEUljE_ZNSN_ISO_Lb0ESQ_SR_ST_SU_SY_EESZ_S10_S11_S12_S16_S17_S18_S1B_S1C_jS1D_jS1E_S1E_jjS1G_bEUljE0_EEESZ_S10_S11_S18_S1C_S1E_T6_T7_T9_mT8_S1G_bDpT10_ENKUlT_T0_E_clISt17integral_constantIbLb1EES1U_EEDaS1P_S1Q_EUlS1P_E_NS1_11comp_targetILNS1_3genE3ELNS1_11target_archE908ELNS1_3gpuE7ELNS1_3repE0EEENS1_30default_config_static_selectorELNS0_4arch9wavefront6targetE0EEEvS12_,comdat
	.globl	_ZN7rocprim17ROCPRIM_400000_NS6detail17trampoline_kernelINS0_13select_configILj256ELj13ELNS0_17block_load_methodE3ELS4_3ELS4_3ELNS0_20block_scan_algorithmE0ELj4294967295EEENS1_25partition_config_selectorILNS1_17partition_subalgoE4EjNS0_10empty_typeEbEEZZNS1_14partition_implILS8_4ELb0ES6_15HIP_vector_typeIjLj2EENS0_17counting_iteratorIjlEEPS9_SG_NS0_5tupleIJPjSI_NS0_16reverse_iteratorISI_EEEEENSH_IJSG_SG_SG_EEES9_SI_JZNS1_25segmented_radix_sort_implINS0_14default_configELb0EPKaPaPKlPlN2at6native12_GLOBAL__N_18offset_tEEE10hipError_tPvRmT1_PNSt15iterator_traitsIS12_E10value_typeET2_T3_PNS13_IS18_E10value_typeET4_jRbjT5_S1E_jjP12ihipStream_tbEUljE_ZNSN_ISO_Lb0ESQ_SR_ST_SU_SY_EESZ_S10_S11_S12_S16_S17_S18_S1B_S1C_jS1D_jS1E_S1E_jjS1G_bEUljE0_EEESZ_S10_S11_S18_S1C_S1E_T6_T7_T9_mT8_S1G_bDpT10_ENKUlT_T0_E_clISt17integral_constantIbLb1EES1U_EEDaS1P_S1Q_EUlS1P_E_NS1_11comp_targetILNS1_3genE3ELNS1_11target_archE908ELNS1_3gpuE7ELNS1_3repE0EEENS1_30default_config_static_selectorELNS0_4arch9wavefront6targetE0EEEvS12_ ; -- Begin function _ZN7rocprim17ROCPRIM_400000_NS6detail17trampoline_kernelINS0_13select_configILj256ELj13ELNS0_17block_load_methodE3ELS4_3ELS4_3ELNS0_20block_scan_algorithmE0ELj4294967295EEENS1_25partition_config_selectorILNS1_17partition_subalgoE4EjNS0_10empty_typeEbEEZZNS1_14partition_implILS8_4ELb0ES6_15HIP_vector_typeIjLj2EENS0_17counting_iteratorIjlEEPS9_SG_NS0_5tupleIJPjSI_NS0_16reverse_iteratorISI_EEEEENSH_IJSG_SG_SG_EEES9_SI_JZNS1_25segmented_radix_sort_implINS0_14default_configELb0EPKaPaPKlPlN2at6native12_GLOBAL__N_18offset_tEEE10hipError_tPvRmT1_PNSt15iterator_traitsIS12_E10value_typeET2_T3_PNS13_IS18_E10value_typeET4_jRbjT5_S1E_jjP12ihipStream_tbEUljE_ZNSN_ISO_Lb0ESQ_SR_ST_SU_SY_EESZ_S10_S11_S12_S16_S17_S18_S1B_S1C_jS1D_jS1E_S1E_jjS1G_bEUljE0_EEESZ_S10_S11_S18_S1C_S1E_T6_T7_T9_mT8_S1G_bDpT10_ENKUlT_T0_E_clISt17integral_constantIbLb1EES1U_EEDaS1P_S1Q_EUlS1P_E_NS1_11comp_targetILNS1_3genE3ELNS1_11target_archE908ELNS1_3gpuE7ELNS1_3repE0EEENS1_30default_config_static_selectorELNS0_4arch9wavefront6targetE0EEEvS12_
	.p2align	8
	.type	_ZN7rocprim17ROCPRIM_400000_NS6detail17trampoline_kernelINS0_13select_configILj256ELj13ELNS0_17block_load_methodE3ELS4_3ELS4_3ELNS0_20block_scan_algorithmE0ELj4294967295EEENS1_25partition_config_selectorILNS1_17partition_subalgoE4EjNS0_10empty_typeEbEEZZNS1_14partition_implILS8_4ELb0ES6_15HIP_vector_typeIjLj2EENS0_17counting_iteratorIjlEEPS9_SG_NS0_5tupleIJPjSI_NS0_16reverse_iteratorISI_EEEEENSH_IJSG_SG_SG_EEES9_SI_JZNS1_25segmented_radix_sort_implINS0_14default_configELb0EPKaPaPKlPlN2at6native12_GLOBAL__N_18offset_tEEE10hipError_tPvRmT1_PNSt15iterator_traitsIS12_E10value_typeET2_T3_PNS13_IS18_E10value_typeET4_jRbjT5_S1E_jjP12ihipStream_tbEUljE_ZNSN_ISO_Lb0ESQ_SR_ST_SU_SY_EESZ_S10_S11_S12_S16_S17_S18_S1B_S1C_jS1D_jS1E_S1E_jjS1G_bEUljE0_EEESZ_S10_S11_S18_S1C_S1E_T6_T7_T9_mT8_S1G_bDpT10_ENKUlT_T0_E_clISt17integral_constantIbLb1EES1U_EEDaS1P_S1Q_EUlS1P_E_NS1_11comp_targetILNS1_3genE3ELNS1_11target_archE908ELNS1_3gpuE7ELNS1_3repE0EEENS1_30default_config_static_selectorELNS0_4arch9wavefront6targetE0EEEvS12_,@function
_ZN7rocprim17ROCPRIM_400000_NS6detail17trampoline_kernelINS0_13select_configILj256ELj13ELNS0_17block_load_methodE3ELS4_3ELS4_3ELNS0_20block_scan_algorithmE0ELj4294967295EEENS1_25partition_config_selectorILNS1_17partition_subalgoE4EjNS0_10empty_typeEbEEZZNS1_14partition_implILS8_4ELb0ES6_15HIP_vector_typeIjLj2EENS0_17counting_iteratorIjlEEPS9_SG_NS0_5tupleIJPjSI_NS0_16reverse_iteratorISI_EEEEENSH_IJSG_SG_SG_EEES9_SI_JZNS1_25segmented_radix_sort_implINS0_14default_configELb0EPKaPaPKlPlN2at6native12_GLOBAL__N_18offset_tEEE10hipError_tPvRmT1_PNSt15iterator_traitsIS12_E10value_typeET2_T3_PNS13_IS18_E10value_typeET4_jRbjT5_S1E_jjP12ihipStream_tbEUljE_ZNSN_ISO_Lb0ESQ_SR_ST_SU_SY_EESZ_S10_S11_S12_S16_S17_S18_S1B_S1C_jS1D_jS1E_S1E_jjS1G_bEUljE0_EEESZ_S10_S11_S18_S1C_S1E_T6_T7_T9_mT8_S1G_bDpT10_ENKUlT_T0_E_clISt17integral_constantIbLb1EES1U_EEDaS1P_S1Q_EUlS1P_E_NS1_11comp_targetILNS1_3genE3ELNS1_11target_archE908ELNS1_3gpuE7ELNS1_3repE0EEENS1_30default_config_static_selectorELNS0_4arch9wavefront6targetE0EEEvS12_: ; @_ZN7rocprim17ROCPRIM_400000_NS6detail17trampoline_kernelINS0_13select_configILj256ELj13ELNS0_17block_load_methodE3ELS4_3ELS4_3ELNS0_20block_scan_algorithmE0ELj4294967295EEENS1_25partition_config_selectorILNS1_17partition_subalgoE4EjNS0_10empty_typeEbEEZZNS1_14partition_implILS8_4ELb0ES6_15HIP_vector_typeIjLj2EENS0_17counting_iteratorIjlEEPS9_SG_NS0_5tupleIJPjSI_NS0_16reverse_iteratorISI_EEEEENSH_IJSG_SG_SG_EEES9_SI_JZNS1_25segmented_radix_sort_implINS0_14default_configELb0EPKaPaPKlPlN2at6native12_GLOBAL__N_18offset_tEEE10hipError_tPvRmT1_PNSt15iterator_traitsIS12_E10value_typeET2_T3_PNS13_IS18_E10value_typeET4_jRbjT5_S1E_jjP12ihipStream_tbEUljE_ZNSN_ISO_Lb0ESQ_SR_ST_SU_SY_EESZ_S10_S11_S12_S16_S17_S18_S1B_S1C_jS1D_jS1E_S1E_jjS1G_bEUljE0_EEESZ_S10_S11_S18_S1C_S1E_T6_T7_T9_mT8_S1G_bDpT10_ENKUlT_T0_E_clISt17integral_constantIbLb1EES1U_EEDaS1P_S1Q_EUlS1P_E_NS1_11comp_targetILNS1_3genE3ELNS1_11target_archE908ELNS1_3gpuE7ELNS1_3repE0EEENS1_30default_config_static_selectorELNS0_4arch9wavefront6targetE0EEEvS12_
; %bb.0:
	.section	.rodata,"a",@progbits
	.p2align	6, 0x0
	.amdhsa_kernel _ZN7rocprim17ROCPRIM_400000_NS6detail17trampoline_kernelINS0_13select_configILj256ELj13ELNS0_17block_load_methodE3ELS4_3ELS4_3ELNS0_20block_scan_algorithmE0ELj4294967295EEENS1_25partition_config_selectorILNS1_17partition_subalgoE4EjNS0_10empty_typeEbEEZZNS1_14partition_implILS8_4ELb0ES6_15HIP_vector_typeIjLj2EENS0_17counting_iteratorIjlEEPS9_SG_NS0_5tupleIJPjSI_NS0_16reverse_iteratorISI_EEEEENSH_IJSG_SG_SG_EEES9_SI_JZNS1_25segmented_radix_sort_implINS0_14default_configELb0EPKaPaPKlPlN2at6native12_GLOBAL__N_18offset_tEEE10hipError_tPvRmT1_PNSt15iterator_traitsIS12_E10value_typeET2_T3_PNS13_IS18_E10value_typeET4_jRbjT5_S1E_jjP12ihipStream_tbEUljE_ZNSN_ISO_Lb0ESQ_SR_ST_SU_SY_EESZ_S10_S11_S12_S16_S17_S18_S1B_S1C_jS1D_jS1E_S1E_jjS1G_bEUljE0_EEESZ_S10_S11_S18_S1C_S1E_T6_T7_T9_mT8_S1G_bDpT10_ENKUlT_T0_E_clISt17integral_constantIbLb1EES1U_EEDaS1P_S1Q_EUlS1P_E_NS1_11comp_targetILNS1_3genE3ELNS1_11target_archE908ELNS1_3gpuE7ELNS1_3repE0EEENS1_30default_config_static_selectorELNS0_4arch9wavefront6targetE0EEEvS12_
		.amdhsa_group_segment_fixed_size 0
		.amdhsa_private_segment_fixed_size 0
		.amdhsa_kernarg_size 184
		.amdhsa_user_sgpr_count 2
		.amdhsa_user_sgpr_dispatch_ptr 0
		.amdhsa_user_sgpr_queue_ptr 0
		.amdhsa_user_sgpr_kernarg_segment_ptr 1
		.amdhsa_user_sgpr_dispatch_id 0
		.amdhsa_user_sgpr_private_segment_size 0
		.amdhsa_wavefront_size32 1
		.amdhsa_uses_dynamic_stack 0
		.amdhsa_enable_private_segment 0
		.amdhsa_system_sgpr_workgroup_id_x 1
		.amdhsa_system_sgpr_workgroup_id_y 0
		.amdhsa_system_sgpr_workgroup_id_z 0
		.amdhsa_system_sgpr_workgroup_info 0
		.amdhsa_system_vgpr_workitem_id 0
		.amdhsa_next_free_vgpr 1
		.amdhsa_next_free_sgpr 1
		.amdhsa_reserve_vcc 0
		.amdhsa_float_round_mode_32 0
		.amdhsa_float_round_mode_16_64 0
		.amdhsa_float_denorm_mode_32 3
		.amdhsa_float_denorm_mode_16_64 3
		.amdhsa_fp16_overflow 0
		.amdhsa_workgroup_processor_mode 1
		.amdhsa_memory_ordered 1
		.amdhsa_forward_progress 1
		.amdhsa_inst_pref_size 0
		.amdhsa_round_robin_scheduling 0
		.amdhsa_exception_fp_ieee_invalid_op 0
		.amdhsa_exception_fp_denorm_src 0
		.amdhsa_exception_fp_ieee_div_zero 0
		.amdhsa_exception_fp_ieee_overflow 0
		.amdhsa_exception_fp_ieee_underflow 0
		.amdhsa_exception_fp_ieee_inexact 0
		.amdhsa_exception_int_div_zero 0
	.end_amdhsa_kernel
	.section	.text._ZN7rocprim17ROCPRIM_400000_NS6detail17trampoline_kernelINS0_13select_configILj256ELj13ELNS0_17block_load_methodE3ELS4_3ELS4_3ELNS0_20block_scan_algorithmE0ELj4294967295EEENS1_25partition_config_selectorILNS1_17partition_subalgoE4EjNS0_10empty_typeEbEEZZNS1_14partition_implILS8_4ELb0ES6_15HIP_vector_typeIjLj2EENS0_17counting_iteratorIjlEEPS9_SG_NS0_5tupleIJPjSI_NS0_16reverse_iteratorISI_EEEEENSH_IJSG_SG_SG_EEES9_SI_JZNS1_25segmented_radix_sort_implINS0_14default_configELb0EPKaPaPKlPlN2at6native12_GLOBAL__N_18offset_tEEE10hipError_tPvRmT1_PNSt15iterator_traitsIS12_E10value_typeET2_T3_PNS13_IS18_E10value_typeET4_jRbjT5_S1E_jjP12ihipStream_tbEUljE_ZNSN_ISO_Lb0ESQ_SR_ST_SU_SY_EESZ_S10_S11_S12_S16_S17_S18_S1B_S1C_jS1D_jS1E_S1E_jjS1G_bEUljE0_EEESZ_S10_S11_S18_S1C_S1E_T6_T7_T9_mT8_S1G_bDpT10_ENKUlT_T0_E_clISt17integral_constantIbLb1EES1U_EEDaS1P_S1Q_EUlS1P_E_NS1_11comp_targetILNS1_3genE3ELNS1_11target_archE908ELNS1_3gpuE7ELNS1_3repE0EEENS1_30default_config_static_selectorELNS0_4arch9wavefront6targetE0EEEvS12_,"axG",@progbits,_ZN7rocprim17ROCPRIM_400000_NS6detail17trampoline_kernelINS0_13select_configILj256ELj13ELNS0_17block_load_methodE3ELS4_3ELS4_3ELNS0_20block_scan_algorithmE0ELj4294967295EEENS1_25partition_config_selectorILNS1_17partition_subalgoE4EjNS0_10empty_typeEbEEZZNS1_14partition_implILS8_4ELb0ES6_15HIP_vector_typeIjLj2EENS0_17counting_iteratorIjlEEPS9_SG_NS0_5tupleIJPjSI_NS0_16reverse_iteratorISI_EEEEENSH_IJSG_SG_SG_EEES9_SI_JZNS1_25segmented_radix_sort_implINS0_14default_configELb0EPKaPaPKlPlN2at6native12_GLOBAL__N_18offset_tEEE10hipError_tPvRmT1_PNSt15iterator_traitsIS12_E10value_typeET2_T3_PNS13_IS18_E10value_typeET4_jRbjT5_S1E_jjP12ihipStream_tbEUljE_ZNSN_ISO_Lb0ESQ_SR_ST_SU_SY_EESZ_S10_S11_S12_S16_S17_S18_S1B_S1C_jS1D_jS1E_S1E_jjS1G_bEUljE0_EEESZ_S10_S11_S18_S1C_S1E_T6_T7_T9_mT8_S1G_bDpT10_ENKUlT_T0_E_clISt17integral_constantIbLb1EES1U_EEDaS1P_S1Q_EUlS1P_E_NS1_11comp_targetILNS1_3genE3ELNS1_11target_archE908ELNS1_3gpuE7ELNS1_3repE0EEENS1_30default_config_static_selectorELNS0_4arch9wavefront6targetE0EEEvS12_,comdat
.Lfunc_end340:
	.size	_ZN7rocprim17ROCPRIM_400000_NS6detail17trampoline_kernelINS0_13select_configILj256ELj13ELNS0_17block_load_methodE3ELS4_3ELS4_3ELNS0_20block_scan_algorithmE0ELj4294967295EEENS1_25partition_config_selectorILNS1_17partition_subalgoE4EjNS0_10empty_typeEbEEZZNS1_14partition_implILS8_4ELb0ES6_15HIP_vector_typeIjLj2EENS0_17counting_iteratorIjlEEPS9_SG_NS0_5tupleIJPjSI_NS0_16reverse_iteratorISI_EEEEENSH_IJSG_SG_SG_EEES9_SI_JZNS1_25segmented_radix_sort_implINS0_14default_configELb0EPKaPaPKlPlN2at6native12_GLOBAL__N_18offset_tEEE10hipError_tPvRmT1_PNSt15iterator_traitsIS12_E10value_typeET2_T3_PNS13_IS18_E10value_typeET4_jRbjT5_S1E_jjP12ihipStream_tbEUljE_ZNSN_ISO_Lb0ESQ_SR_ST_SU_SY_EESZ_S10_S11_S12_S16_S17_S18_S1B_S1C_jS1D_jS1E_S1E_jjS1G_bEUljE0_EEESZ_S10_S11_S18_S1C_S1E_T6_T7_T9_mT8_S1G_bDpT10_ENKUlT_T0_E_clISt17integral_constantIbLb1EES1U_EEDaS1P_S1Q_EUlS1P_E_NS1_11comp_targetILNS1_3genE3ELNS1_11target_archE908ELNS1_3gpuE7ELNS1_3repE0EEENS1_30default_config_static_selectorELNS0_4arch9wavefront6targetE0EEEvS12_, .Lfunc_end340-_ZN7rocprim17ROCPRIM_400000_NS6detail17trampoline_kernelINS0_13select_configILj256ELj13ELNS0_17block_load_methodE3ELS4_3ELS4_3ELNS0_20block_scan_algorithmE0ELj4294967295EEENS1_25partition_config_selectorILNS1_17partition_subalgoE4EjNS0_10empty_typeEbEEZZNS1_14partition_implILS8_4ELb0ES6_15HIP_vector_typeIjLj2EENS0_17counting_iteratorIjlEEPS9_SG_NS0_5tupleIJPjSI_NS0_16reverse_iteratorISI_EEEEENSH_IJSG_SG_SG_EEES9_SI_JZNS1_25segmented_radix_sort_implINS0_14default_configELb0EPKaPaPKlPlN2at6native12_GLOBAL__N_18offset_tEEE10hipError_tPvRmT1_PNSt15iterator_traitsIS12_E10value_typeET2_T3_PNS13_IS18_E10value_typeET4_jRbjT5_S1E_jjP12ihipStream_tbEUljE_ZNSN_ISO_Lb0ESQ_SR_ST_SU_SY_EESZ_S10_S11_S12_S16_S17_S18_S1B_S1C_jS1D_jS1E_S1E_jjS1G_bEUljE0_EEESZ_S10_S11_S18_S1C_S1E_T6_T7_T9_mT8_S1G_bDpT10_ENKUlT_T0_E_clISt17integral_constantIbLb1EES1U_EEDaS1P_S1Q_EUlS1P_E_NS1_11comp_targetILNS1_3genE3ELNS1_11target_archE908ELNS1_3gpuE7ELNS1_3repE0EEENS1_30default_config_static_selectorELNS0_4arch9wavefront6targetE0EEEvS12_
                                        ; -- End function
	.set _ZN7rocprim17ROCPRIM_400000_NS6detail17trampoline_kernelINS0_13select_configILj256ELj13ELNS0_17block_load_methodE3ELS4_3ELS4_3ELNS0_20block_scan_algorithmE0ELj4294967295EEENS1_25partition_config_selectorILNS1_17partition_subalgoE4EjNS0_10empty_typeEbEEZZNS1_14partition_implILS8_4ELb0ES6_15HIP_vector_typeIjLj2EENS0_17counting_iteratorIjlEEPS9_SG_NS0_5tupleIJPjSI_NS0_16reverse_iteratorISI_EEEEENSH_IJSG_SG_SG_EEES9_SI_JZNS1_25segmented_radix_sort_implINS0_14default_configELb0EPKaPaPKlPlN2at6native12_GLOBAL__N_18offset_tEEE10hipError_tPvRmT1_PNSt15iterator_traitsIS12_E10value_typeET2_T3_PNS13_IS18_E10value_typeET4_jRbjT5_S1E_jjP12ihipStream_tbEUljE_ZNSN_ISO_Lb0ESQ_SR_ST_SU_SY_EESZ_S10_S11_S12_S16_S17_S18_S1B_S1C_jS1D_jS1E_S1E_jjS1G_bEUljE0_EEESZ_S10_S11_S18_S1C_S1E_T6_T7_T9_mT8_S1G_bDpT10_ENKUlT_T0_E_clISt17integral_constantIbLb1EES1U_EEDaS1P_S1Q_EUlS1P_E_NS1_11comp_targetILNS1_3genE3ELNS1_11target_archE908ELNS1_3gpuE7ELNS1_3repE0EEENS1_30default_config_static_selectorELNS0_4arch9wavefront6targetE0EEEvS12_.num_vgpr, 0
	.set _ZN7rocprim17ROCPRIM_400000_NS6detail17trampoline_kernelINS0_13select_configILj256ELj13ELNS0_17block_load_methodE3ELS4_3ELS4_3ELNS0_20block_scan_algorithmE0ELj4294967295EEENS1_25partition_config_selectorILNS1_17partition_subalgoE4EjNS0_10empty_typeEbEEZZNS1_14partition_implILS8_4ELb0ES6_15HIP_vector_typeIjLj2EENS0_17counting_iteratorIjlEEPS9_SG_NS0_5tupleIJPjSI_NS0_16reverse_iteratorISI_EEEEENSH_IJSG_SG_SG_EEES9_SI_JZNS1_25segmented_radix_sort_implINS0_14default_configELb0EPKaPaPKlPlN2at6native12_GLOBAL__N_18offset_tEEE10hipError_tPvRmT1_PNSt15iterator_traitsIS12_E10value_typeET2_T3_PNS13_IS18_E10value_typeET4_jRbjT5_S1E_jjP12ihipStream_tbEUljE_ZNSN_ISO_Lb0ESQ_SR_ST_SU_SY_EESZ_S10_S11_S12_S16_S17_S18_S1B_S1C_jS1D_jS1E_S1E_jjS1G_bEUljE0_EEESZ_S10_S11_S18_S1C_S1E_T6_T7_T9_mT8_S1G_bDpT10_ENKUlT_T0_E_clISt17integral_constantIbLb1EES1U_EEDaS1P_S1Q_EUlS1P_E_NS1_11comp_targetILNS1_3genE3ELNS1_11target_archE908ELNS1_3gpuE7ELNS1_3repE0EEENS1_30default_config_static_selectorELNS0_4arch9wavefront6targetE0EEEvS12_.num_agpr, 0
	.set _ZN7rocprim17ROCPRIM_400000_NS6detail17trampoline_kernelINS0_13select_configILj256ELj13ELNS0_17block_load_methodE3ELS4_3ELS4_3ELNS0_20block_scan_algorithmE0ELj4294967295EEENS1_25partition_config_selectorILNS1_17partition_subalgoE4EjNS0_10empty_typeEbEEZZNS1_14partition_implILS8_4ELb0ES6_15HIP_vector_typeIjLj2EENS0_17counting_iteratorIjlEEPS9_SG_NS0_5tupleIJPjSI_NS0_16reverse_iteratorISI_EEEEENSH_IJSG_SG_SG_EEES9_SI_JZNS1_25segmented_radix_sort_implINS0_14default_configELb0EPKaPaPKlPlN2at6native12_GLOBAL__N_18offset_tEEE10hipError_tPvRmT1_PNSt15iterator_traitsIS12_E10value_typeET2_T3_PNS13_IS18_E10value_typeET4_jRbjT5_S1E_jjP12ihipStream_tbEUljE_ZNSN_ISO_Lb0ESQ_SR_ST_SU_SY_EESZ_S10_S11_S12_S16_S17_S18_S1B_S1C_jS1D_jS1E_S1E_jjS1G_bEUljE0_EEESZ_S10_S11_S18_S1C_S1E_T6_T7_T9_mT8_S1G_bDpT10_ENKUlT_T0_E_clISt17integral_constantIbLb1EES1U_EEDaS1P_S1Q_EUlS1P_E_NS1_11comp_targetILNS1_3genE3ELNS1_11target_archE908ELNS1_3gpuE7ELNS1_3repE0EEENS1_30default_config_static_selectorELNS0_4arch9wavefront6targetE0EEEvS12_.numbered_sgpr, 0
	.set _ZN7rocprim17ROCPRIM_400000_NS6detail17trampoline_kernelINS0_13select_configILj256ELj13ELNS0_17block_load_methodE3ELS4_3ELS4_3ELNS0_20block_scan_algorithmE0ELj4294967295EEENS1_25partition_config_selectorILNS1_17partition_subalgoE4EjNS0_10empty_typeEbEEZZNS1_14partition_implILS8_4ELb0ES6_15HIP_vector_typeIjLj2EENS0_17counting_iteratorIjlEEPS9_SG_NS0_5tupleIJPjSI_NS0_16reverse_iteratorISI_EEEEENSH_IJSG_SG_SG_EEES9_SI_JZNS1_25segmented_radix_sort_implINS0_14default_configELb0EPKaPaPKlPlN2at6native12_GLOBAL__N_18offset_tEEE10hipError_tPvRmT1_PNSt15iterator_traitsIS12_E10value_typeET2_T3_PNS13_IS18_E10value_typeET4_jRbjT5_S1E_jjP12ihipStream_tbEUljE_ZNSN_ISO_Lb0ESQ_SR_ST_SU_SY_EESZ_S10_S11_S12_S16_S17_S18_S1B_S1C_jS1D_jS1E_S1E_jjS1G_bEUljE0_EEESZ_S10_S11_S18_S1C_S1E_T6_T7_T9_mT8_S1G_bDpT10_ENKUlT_T0_E_clISt17integral_constantIbLb1EES1U_EEDaS1P_S1Q_EUlS1P_E_NS1_11comp_targetILNS1_3genE3ELNS1_11target_archE908ELNS1_3gpuE7ELNS1_3repE0EEENS1_30default_config_static_selectorELNS0_4arch9wavefront6targetE0EEEvS12_.num_named_barrier, 0
	.set _ZN7rocprim17ROCPRIM_400000_NS6detail17trampoline_kernelINS0_13select_configILj256ELj13ELNS0_17block_load_methodE3ELS4_3ELS4_3ELNS0_20block_scan_algorithmE0ELj4294967295EEENS1_25partition_config_selectorILNS1_17partition_subalgoE4EjNS0_10empty_typeEbEEZZNS1_14partition_implILS8_4ELb0ES6_15HIP_vector_typeIjLj2EENS0_17counting_iteratorIjlEEPS9_SG_NS0_5tupleIJPjSI_NS0_16reverse_iteratorISI_EEEEENSH_IJSG_SG_SG_EEES9_SI_JZNS1_25segmented_radix_sort_implINS0_14default_configELb0EPKaPaPKlPlN2at6native12_GLOBAL__N_18offset_tEEE10hipError_tPvRmT1_PNSt15iterator_traitsIS12_E10value_typeET2_T3_PNS13_IS18_E10value_typeET4_jRbjT5_S1E_jjP12ihipStream_tbEUljE_ZNSN_ISO_Lb0ESQ_SR_ST_SU_SY_EESZ_S10_S11_S12_S16_S17_S18_S1B_S1C_jS1D_jS1E_S1E_jjS1G_bEUljE0_EEESZ_S10_S11_S18_S1C_S1E_T6_T7_T9_mT8_S1G_bDpT10_ENKUlT_T0_E_clISt17integral_constantIbLb1EES1U_EEDaS1P_S1Q_EUlS1P_E_NS1_11comp_targetILNS1_3genE3ELNS1_11target_archE908ELNS1_3gpuE7ELNS1_3repE0EEENS1_30default_config_static_selectorELNS0_4arch9wavefront6targetE0EEEvS12_.private_seg_size, 0
	.set _ZN7rocprim17ROCPRIM_400000_NS6detail17trampoline_kernelINS0_13select_configILj256ELj13ELNS0_17block_load_methodE3ELS4_3ELS4_3ELNS0_20block_scan_algorithmE0ELj4294967295EEENS1_25partition_config_selectorILNS1_17partition_subalgoE4EjNS0_10empty_typeEbEEZZNS1_14partition_implILS8_4ELb0ES6_15HIP_vector_typeIjLj2EENS0_17counting_iteratorIjlEEPS9_SG_NS0_5tupleIJPjSI_NS0_16reverse_iteratorISI_EEEEENSH_IJSG_SG_SG_EEES9_SI_JZNS1_25segmented_radix_sort_implINS0_14default_configELb0EPKaPaPKlPlN2at6native12_GLOBAL__N_18offset_tEEE10hipError_tPvRmT1_PNSt15iterator_traitsIS12_E10value_typeET2_T3_PNS13_IS18_E10value_typeET4_jRbjT5_S1E_jjP12ihipStream_tbEUljE_ZNSN_ISO_Lb0ESQ_SR_ST_SU_SY_EESZ_S10_S11_S12_S16_S17_S18_S1B_S1C_jS1D_jS1E_S1E_jjS1G_bEUljE0_EEESZ_S10_S11_S18_S1C_S1E_T6_T7_T9_mT8_S1G_bDpT10_ENKUlT_T0_E_clISt17integral_constantIbLb1EES1U_EEDaS1P_S1Q_EUlS1P_E_NS1_11comp_targetILNS1_3genE3ELNS1_11target_archE908ELNS1_3gpuE7ELNS1_3repE0EEENS1_30default_config_static_selectorELNS0_4arch9wavefront6targetE0EEEvS12_.uses_vcc, 0
	.set _ZN7rocprim17ROCPRIM_400000_NS6detail17trampoline_kernelINS0_13select_configILj256ELj13ELNS0_17block_load_methodE3ELS4_3ELS4_3ELNS0_20block_scan_algorithmE0ELj4294967295EEENS1_25partition_config_selectorILNS1_17partition_subalgoE4EjNS0_10empty_typeEbEEZZNS1_14partition_implILS8_4ELb0ES6_15HIP_vector_typeIjLj2EENS0_17counting_iteratorIjlEEPS9_SG_NS0_5tupleIJPjSI_NS0_16reverse_iteratorISI_EEEEENSH_IJSG_SG_SG_EEES9_SI_JZNS1_25segmented_radix_sort_implINS0_14default_configELb0EPKaPaPKlPlN2at6native12_GLOBAL__N_18offset_tEEE10hipError_tPvRmT1_PNSt15iterator_traitsIS12_E10value_typeET2_T3_PNS13_IS18_E10value_typeET4_jRbjT5_S1E_jjP12ihipStream_tbEUljE_ZNSN_ISO_Lb0ESQ_SR_ST_SU_SY_EESZ_S10_S11_S12_S16_S17_S18_S1B_S1C_jS1D_jS1E_S1E_jjS1G_bEUljE0_EEESZ_S10_S11_S18_S1C_S1E_T6_T7_T9_mT8_S1G_bDpT10_ENKUlT_T0_E_clISt17integral_constantIbLb1EES1U_EEDaS1P_S1Q_EUlS1P_E_NS1_11comp_targetILNS1_3genE3ELNS1_11target_archE908ELNS1_3gpuE7ELNS1_3repE0EEENS1_30default_config_static_selectorELNS0_4arch9wavefront6targetE0EEEvS12_.uses_flat_scratch, 0
	.set _ZN7rocprim17ROCPRIM_400000_NS6detail17trampoline_kernelINS0_13select_configILj256ELj13ELNS0_17block_load_methodE3ELS4_3ELS4_3ELNS0_20block_scan_algorithmE0ELj4294967295EEENS1_25partition_config_selectorILNS1_17partition_subalgoE4EjNS0_10empty_typeEbEEZZNS1_14partition_implILS8_4ELb0ES6_15HIP_vector_typeIjLj2EENS0_17counting_iteratorIjlEEPS9_SG_NS0_5tupleIJPjSI_NS0_16reverse_iteratorISI_EEEEENSH_IJSG_SG_SG_EEES9_SI_JZNS1_25segmented_radix_sort_implINS0_14default_configELb0EPKaPaPKlPlN2at6native12_GLOBAL__N_18offset_tEEE10hipError_tPvRmT1_PNSt15iterator_traitsIS12_E10value_typeET2_T3_PNS13_IS18_E10value_typeET4_jRbjT5_S1E_jjP12ihipStream_tbEUljE_ZNSN_ISO_Lb0ESQ_SR_ST_SU_SY_EESZ_S10_S11_S12_S16_S17_S18_S1B_S1C_jS1D_jS1E_S1E_jjS1G_bEUljE0_EEESZ_S10_S11_S18_S1C_S1E_T6_T7_T9_mT8_S1G_bDpT10_ENKUlT_T0_E_clISt17integral_constantIbLb1EES1U_EEDaS1P_S1Q_EUlS1P_E_NS1_11comp_targetILNS1_3genE3ELNS1_11target_archE908ELNS1_3gpuE7ELNS1_3repE0EEENS1_30default_config_static_selectorELNS0_4arch9wavefront6targetE0EEEvS12_.has_dyn_sized_stack, 0
	.set _ZN7rocprim17ROCPRIM_400000_NS6detail17trampoline_kernelINS0_13select_configILj256ELj13ELNS0_17block_load_methodE3ELS4_3ELS4_3ELNS0_20block_scan_algorithmE0ELj4294967295EEENS1_25partition_config_selectorILNS1_17partition_subalgoE4EjNS0_10empty_typeEbEEZZNS1_14partition_implILS8_4ELb0ES6_15HIP_vector_typeIjLj2EENS0_17counting_iteratorIjlEEPS9_SG_NS0_5tupleIJPjSI_NS0_16reverse_iteratorISI_EEEEENSH_IJSG_SG_SG_EEES9_SI_JZNS1_25segmented_radix_sort_implINS0_14default_configELb0EPKaPaPKlPlN2at6native12_GLOBAL__N_18offset_tEEE10hipError_tPvRmT1_PNSt15iterator_traitsIS12_E10value_typeET2_T3_PNS13_IS18_E10value_typeET4_jRbjT5_S1E_jjP12ihipStream_tbEUljE_ZNSN_ISO_Lb0ESQ_SR_ST_SU_SY_EESZ_S10_S11_S12_S16_S17_S18_S1B_S1C_jS1D_jS1E_S1E_jjS1G_bEUljE0_EEESZ_S10_S11_S18_S1C_S1E_T6_T7_T9_mT8_S1G_bDpT10_ENKUlT_T0_E_clISt17integral_constantIbLb1EES1U_EEDaS1P_S1Q_EUlS1P_E_NS1_11comp_targetILNS1_3genE3ELNS1_11target_archE908ELNS1_3gpuE7ELNS1_3repE0EEENS1_30default_config_static_selectorELNS0_4arch9wavefront6targetE0EEEvS12_.has_recursion, 0
	.set _ZN7rocprim17ROCPRIM_400000_NS6detail17trampoline_kernelINS0_13select_configILj256ELj13ELNS0_17block_load_methodE3ELS4_3ELS4_3ELNS0_20block_scan_algorithmE0ELj4294967295EEENS1_25partition_config_selectorILNS1_17partition_subalgoE4EjNS0_10empty_typeEbEEZZNS1_14partition_implILS8_4ELb0ES6_15HIP_vector_typeIjLj2EENS0_17counting_iteratorIjlEEPS9_SG_NS0_5tupleIJPjSI_NS0_16reverse_iteratorISI_EEEEENSH_IJSG_SG_SG_EEES9_SI_JZNS1_25segmented_radix_sort_implINS0_14default_configELb0EPKaPaPKlPlN2at6native12_GLOBAL__N_18offset_tEEE10hipError_tPvRmT1_PNSt15iterator_traitsIS12_E10value_typeET2_T3_PNS13_IS18_E10value_typeET4_jRbjT5_S1E_jjP12ihipStream_tbEUljE_ZNSN_ISO_Lb0ESQ_SR_ST_SU_SY_EESZ_S10_S11_S12_S16_S17_S18_S1B_S1C_jS1D_jS1E_S1E_jjS1G_bEUljE0_EEESZ_S10_S11_S18_S1C_S1E_T6_T7_T9_mT8_S1G_bDpT10_ENKUlT_T0_E_clISt17integral_constantIbLb1EES1U_EEDaS1P_S1Q_EUlS1P_E_NS1_11comp_targetILNS1_3genE3ELNS1_11target_archE908ELNS1_3gpuE7ELNS1_3repE0EEENS1_30default_config_static_selectorELNS0_4arch9wavefront6targetE0EEEvS12_.has_indirect_call, 0
	.section	.AMDGPU.csdata,"",@progbits
; Kernel info:
; codeLenInByte = 0
; TotalNumSgprs: 0
; NumVgprs: 0
; ScratchSize: 0
; MemoryBound: 0
; FloatMode: 240
; IeeeMode: 1
; LDSByteSize: 0 bytes/workgroup (compile time only)
; SGPRBlocks: 0
; VGPRBlocks: 0
; NumSGPRsForWavesPerEU: 1
; NumVGPRsForWavesPerEU: 1
; Occupancy: 16
; WaveLimiterHint : 0
; COMPUTE_PGM_RSRC2:SCRATCH_EN: 0
; COMPUTE_PGM_RSRC2:USER_SGPR: 2
; COMPUTE_PGM_RSRC2:TRAP_HANDLER: 0
; COMPUTE_PGM_RSRC2:TGID_X_EN: 1
; COMPUTE_PGM_RSRC2:TGID_Y_EN: 0
; COMPUTE_PGM_RSRC2:TGID_Z_EN: 0
; COMPUTE_PGM_RSRC2:TIDIG_COMP_CNT: 0
	.section	.text._ZN7rocprim17ROCPRIM_400000_NS6detail17trampoline_kernelINS0_13select_configILj256ELj13ELNS0_17block_load_methodE3ELS4_3ELS4_3ELNS0_20block_scan_algorithmE0ELj4294967295EEENS1_25partition_config_selectorILNS1_17partition_subalgoE4EjNS0_10empty_typeEbEEZZNS1_14partition_implILS8_4ELb0ES6_15HIP_vector_typeIjLj2EENS0_17counting_iteratorIjlEEPS9_SG_NS0_5tupleIJPjSI_NS0_16reverse_iteratorISI_EEEEENSH_IJSG_SG_SG_EEES9_SI_JZNS1_25segmented_radix_sort_implINS0_14default_configELb0EPKaPaPKlPlN2at6native12_GLOBAL__N_18offset_tEEE10hipError_tPvRmT1_PNSt15iterator_traitsIS12_E10value_typeET2_T3_PNS13_IS18_E10value_typeET4_jRbjT5_S1E_jjP12ihipStream_tbEUljE_ZNSN_ISO_Lb0ESQ_SR_ST_SU_SY_EESZ_S10_S11_S12_S16_S17_S18_S1B_S1C_jS1D_jS1E_S1E_jjS1G_bEUljE0_EEESZ_S10_S11_S18_S1C_S1E_T6_T7_T9_mT8_S1G_bDpT10_ENKUlT_T0_E_clISt17integral_constantIbLb1EES1U_EEDaS1P_S1Q_EUlS1P_E_NS1_11comp_targetILNS1_3genE2ELNS1_11target_archE906ELNS1_3gpuE6ELNS1_3repE0EEENS1_30default_config_static_selectorELNS0_4arch9wavefront6targetE0EEEvS12_,"axG",@progbits,_ZN7rocprim17ROCPRIM_400000_NS6detail17trampoline_kernelINS0_13select_configILj256ELj13ELNS0_17block_load_methodE3ELS4_3ELS4_3ELNS0_20block_scan_algorithmE0ELj4294967295EEENS1_25partition_config_selectorILNS1_17partition_subalgoE4EjNS0_10empty_typeEbEEZZNS1_14partition_implILS8_4ELb0ES6_15HIP_vector_typeIjLj2EENS0_17counting_iteratorIjlEEPS9_SG_NS0_5tupleIJPjSI_NS0_16reverse_iteratorISI_EEEEENSH_IJSG_SG_SG_EEES9_SI_JZNS1_25segmented_radix_sort_implINS0_14default_configELb0EPKaPaPKlPlN2at6native12_GLOBAL__N_18offset_tEEE10hipError_tPvRmT1_PNSt15iterator_traitsIS12_E10value_typeET2_T3_PNS13_IS18_E10value_typeET4_jRbjT5_S1E_jjP12ihipStream_tbEUljE_ZNSN_ISO_Lb0ESQ_SR_ST_SU_SY_EESZ_S10_S11_S12_S16_S17_S18_S1B_S1C_jS1D_jS1E_S1E_jjS1G_bEUljE0_EEESZ_S10_S11_S18_S1C_S1E_T6_T7_T9_mT8_S1G_bDpT10_ENKUlT_T0_E_clISt17integral_constantIbLb1EES1U_EEDaS1P_S1Q_EUlS1P_E_NS1_11comp_targetILNS1_3genE2ELNS1_11target_archE906ELNS1_3gpuE6ELNS1_3repE0EEENS1_30default_config_static_selectorELNS0_4arch9wavefront6targetE0EEEvS12_,comdat
	.globl	_ZN7rocprim17ROCPRIM_400000_NS6detail17trampoline_kernelINS0_13select_configILj256ELj13ELNS0_17block_load_methodE3ELS4_3ELS4_3ELNS0_20block_scan_algorithmE0ELj4294967295EEENS1_25partition_config_selectorILNS1_17partition_subalgoE4EjNS0_10empty_typeEbEEZZNS1_14partition_implILS8_4ELb0ES6_15HIP_vector_typeIjLj2EENS0_17counting_iteratorIjlEEPS9_SG_NS0_5tupleIJPjSI_NS0_16reverse_iteratorISI_EEEEENSH_IJSG_SG_SG_EEES9_SI_JZNS1_25segmented_radix_sort_implINS0_14default_configELb0EPKaPaPKlPlN2at6native12_GLOBAL__N_18offset_tEEE10hipError_tPvRmT1_PNSt15iterator_traitsIS12_E10value_typeET2_T3_PNS13_IS18_E10value_typeET4_jRbjT5_S1E_jjP12ihipStream_tbEUljE_ZNSN_ISO_Lb0ESQ_SR_ST_SU_SY_EESZ_S10_S11_S12_S16_S17_S18_S1B_S1C_jS1D_jS1E_S1E_jjS1G_bEUljE0_EEESZ_S10_S11_S18_S1C_S1E_T6_T7_T9_mT8_S1G_bDpT10_ENKUlT_T0_E_clISt17integral_constantIbLb1EES1U_EEDaS1P_S1Q_EUlS1P_E_NS1_11comp_targetILNS1_3genE2ELNS1_11target_archE906ELNS1_3gpuE6ELNS1_3repE0EEENS1_30default_config_static_selectorELNS0_4arch9wavefront6targetE0EEEvS12_ ; -- Begin function _ZN7rocprim17ROCPRIM_400000_NS6detail17trampoline_kernelINS0_13select_configILj256ELj13ELNS0_17block_load_methodE3ELS4_3ELS4_3ELNS0_20block_scan_algorithmE0ELj4294967295EEENS1_25partition_config_selectorILNS1_17partition_subalgoE4EjNS0_10empty_typeEbEEZZNS1_14partition_implILS8_4ELb0ES6_15HIP_vector_typeIjLj2EENS0_17counting_iteratorIjlEEPS9_SG_NS0_5tupleIJPjSI_NS0_16reverse_iteratorISI_EEEEENSH_IJSG_SG_SG_EEES9_SI_JZNS1_25segmented_radix_sort_implINS0_14default_configELb0EPKaPaPKlPlN2at6native12_GLOBAL__N_18offset_tEEE10hipError_tPvRmT1_PNSt15iterator_traitsIS12_E10value_typeET2_T3_PNS13_IS18_E10value_typeET4_jRbjT5_S1E_jjP12ihipStream_tbEUljE_ZNSN_ISO_Lb0ESQ_SR_ST_SU_SY_EESZ_S10_S11_S12_S16_S17_S18_S1B_S1C_jS1D_jS1E_S1E_jjS1G_bEUljE0_EEESZ_S10_S11_S18_S1C_S1E_T6_T7_T9_mT8_S1G_bDpT10_ENKUlT_T0_E_clISt17integral_constantIbLb1EES1U_EEDaS1P_S1Q_EUlS1P_E_NS1_11comp_targetILNS1_3genE2ELNS1_11target_archE906ELNS1_3gpuE6ELNS1_3repE0EEENS1_30default_config_static_selectorELNS0_4arch9wavefront6targetE0EEEvS12_
	.p2align	8
	.type	_ZN7rocprim17ROCPRIM_400000_NS6detail17trampoline_kernelINS0_13select_configILj256ELj13ELNS0_17block_load_methodE3ELS4_3ELS4_3ELNS0_20block_scan_algorithmE0ELj4294967295EEENS1_25partition_config_selectorILNS1_17partition_subalgoE4EjNS0_10empty_typeEbEEZZNS1_14partition_implILS8_4ELb0ES6_15HIP_vector_typeIjLj2EENS0_17counting_iteratorIjlEEPS9_SG_NS0_5tupleIJPjSI_NS0_16reverse_iteratorISI_EEEEENSH_IJSG_SG_SG_EEES9_SI_JZNS1_25segmented_radix_sort_implINS0_14default_configELb0EPKaPaPKlPlN2at6native12_GLOBAL__N_18offset_tEEE10hipError_tPvRmT1_PNSt15iterator_traitsIS12_E10value_typeET2_T3_PNS13_IS18_E10value_typeET4_jRbjT5_S1E_jjP12ihipStream_tbEUljE_ZNSN_ISO_Lb0ESQ_SR_ST_SU_SY_EESZ_S10_S11_S12_S16_S17_S18_S1B_S1C_jS1D_jS1E_S1E_jjS1G_bEUljE0_EEESZ_S10_S11_S18_S1C_S1E_T6_T7_T9_mT8_S1G_bDpT10_ENKUlT_T0_E_clISt17integral_constantIbLb1EES1U_EEDaS1P_S1Q_EUlS1P_E_NS1_11comp_targetILNS1_3genE2ELNS1_11target_archE906ELNS1_3gpuE6ELNS1_3repE0EEENS1_30default_config_static_selectorELNS0_4arch9wavefront6targetE0EEEvS12_,@function
_ZN7rocprim17ROCPRIM_400000_NS6detail17trampoline_kernelINS0_13select_configILj256ELj13ELNS0_17block_load_methodE3ELS4_3ELS4_3ELNS0_20block_scan_algorithmE0ELj4294967295EEENS1_25partition_config_selectorILNS1_17partition_subalgoE4EjNS0_10empty_typeEbEEZZNS1_14partition_implILS8_4ELb0ES6_15HIP_vector_typeIjLj2EENS0_17counting_iteratorIjlEEPS9_SG_NS0_5tupleIJPjSI_NS0_16reverse_iteratorISI_EEEEENSH_IJSG_SG_SG_EEES9_SI_JZNS1_25segmented_radix_sort_implINS0_14default_configELb0EPKaPaPKlPlN2at6native12_GLOBAL__N_18offset_tEEE10hipError_tPvRmT1_PNSt15iterator_traitsIS12_E10value_typeET2_T3_PNS13_IS18_E10value_typeET4_jRbjT5_S1E_jjP12ihipStream_tbEUljE_ZNSN_ISO_Lb0ESQ_SR_ST_SU_SY_EESZ_S10_S11_S12_S16_S17_S18_S1B_S1C_jS1D_jS1E_S1E_jjS1G_bEUljE0_EEESZ_S10_S11_S18_S1C_S1E_T6_T7_T9_mT8_S1G_bDpT10_ENKUlT_T0_E_clISt17integral_constantIbLb1EES1U_EEDaS1P_S1Q_EUlS1P_E_NS1_11comp_targetILNS1_3genE2ELNS1_11target_archE906ELNS1_3gpuE6ELNS1_3repE0EEENS1_30default_config_static_selectorELNS0_4arch9wavefront6targetE0EEEvS12_: ; @_ZN7rocprim17ROCPRIM_400000_NS6detail17trampoline_kernelINS0_13select_configILj256ELj13ELNS0_17block_load_methodE3ELS4_3ELS4_3ELNS0_20block_scan_algorithmE0ELj4294967295EEENS1_25partition_config_selectorILNS1_17partition_subalgoE4EjNS0_10empty_typeEbEEZZNS1_14partition_implILS8_4ELb0ES6_15HIP_vector_typeIjLj2EENS0_17counting_iteratorIjlEEPS9_SG_NS0_5tupleIJPjSI_NS0_16reverse_iteratorISI_EEEEENSH_IJSG_SG_SG_EEES9_SI_JZNS1_25segmented_radix_sort_implINS0_14default_configELb0EPKaPaPKlPlN2at6native12_GLOBAL__N_18offset_tEEE10hipError_tPvRmT1_PNSt15iterator_traitsIS12_E10value_typeET2_T3_PNS13_IS18_E10value_typeET4_jRbjT5_S1E_jjP12ihipStream_tbEUljE_ZNSN_ISO_Lb0ESQ_SR_ST_SU_SY_EESZ_S10_S11_S12_S16_S17_S18_S1B_S1C_jS1D_jS1E_S1E_jjS1G_bEUljE0_EEESZ_S10_S11_S18_S1C_S1E_T6_T7_T9_mT8_S1G_bDpT10_ENKUlT_T0_E_clISt17integral_constantIbLb1EES1U_EEDaS1P_S1Q_EUlS1P_E_NS1_11comp_targetILNS1_3genE2ELNS1_11target_archE906ELNS1_3gpuE6ELNS1_3repE0EEENS1_30default_config_static_selectorELNS0_4arch9wavefront6targetE0EEEvS12_
; %bb.0:
	.section	.rodata,"a",@progbits
	.p2align	6, 0x0
	.amdhsa_kernel _ZN7rocprim17ROCPRIM_400000_NS6detail17trampoline_kernelINS0_13select_configILj256ELj13ELNS0_17block_load_methodE3ELS4_3ELS4_3ELNS0_20block_scan_algorithmE0ELj4294967295EEENS1_25partition_config_selectorILNS1_17partition_subalgoE4EjNS0_10empty_typeEbEEZZNS1_14partition_implILS8_4ELb0ES6_15HIP_vector_typeIjLj2EENS0_17counting_iteratorIjlEEPS9_SG_NS0_5tupleIJPjSI_NS0_16reverse_iteratorISI_EEEEENSH_IJSG_SG_SG_EEES9_SI_JZNS1_25segmented_radix_sort_implINS0_14default_configELb0EPKaPaPKlPlN2at6native12_GLOBAL__N_18offset_tEEE10hipError_tPvRmT1_PNSt15iterator_traitsIS12_E10value_typeET2_T3_PNS13_IS18_E10value_typeET4_jRbjT5_S1E_jjP12ihipStream_tbEUljE_ZNSN_ISO_Lb0ESQ_SR_ST_SU_SY_EESZ_S10_S11_S12_S16_S17_S18_S1B_S1C_jS1D_jS1E_S1E_jjS1G_bEUljE0_EEESZ_S10_S11_S18_S1C_S1E_T6_T7_T9_mT8_S1G_bDpT10_ENKUlT_T0_E_clISt17integral_constantIbLb1EES1U_EEDaS1P_S1Q_EUlS1P_E_NS1_11comp_targetILNS1_3genE2ELNS1_11target_archE906ELNS1_3gpuE6ELNS1_3repE0EEENS1_30default_config_static_selectorELNS0_4arch9wavefront6targetE0EEEvS12_
		.amdhsa_group_segment_fixed_size 0
		.amdhsa_private_segment_fixed_size 0
		.amdhsa_kernarg_size 184
		.amdhsa_user_sgpr_count 2
		.amdhsa_user_sgpr_dispatch_ptr 0
		.amdhsa_user_sgpr_queue_ptr 0
		.amdhsa_user_sgpr_kernarg_segment_ptr 1
		.amdhsa_user_sgpr_dispatch_id 0
		.amdhsa_user_sgpr_private_segment_size 0
		.amdhsa_wavefront_size32 1
		.amdhsa_uses_dynamic_stack 0
		.amdhsa_enable_private_segment 0
		.amdhsa_system_sgpr_workgroup_id_x 1
		.amdhsa_system_sgpr_workgroup_id_y 0
		.amdhsa_system_sgpr_workgroup_id_z 0
		.amdhsa_system_sgpr_workgroup_info 0
		.amdhsa_system_vgpr_workitem_id 0
		.amdhsa_next_free_vgpr 1
		.amdhsa_next_free_sgpr 1
		.amdhsa_reserve_vcc 0
		.amdhsa_float_round_mode_32 0
		.amdhsa_float_round_mode_16_64 0
		.amdhsa_float_denorm_mode_32 3
		.amdhsa_float_denorm_mode_16_64 3
		.amdhsa_fp16_overflow 0
		.amdhsa_workgroup_processor_mode 1
		.amdhsa_memory_ordered 1
		.amdhsa_forward_progress 1
		.amdhsa_inst_pref_size 0
		.amdhsa_round_robin_scheduling 0
		.amdhsa_exception_fp_ieee_invalid_op 0
		.amdhsa_exception_fp_denorm_src 0
		.amdhsa_exception_fp_ieee_div_zero 0
		.amdhsa_exception_fp_ieee_overflow 0
		.amdhsa_exception_fp_ieee_underflow 0
		.amdhsa_exception_fp_ieee_inexact 0
		.amdhsa_exception_int_div_zero 0
	.end_amdhsa_kernel
	.section	.text._ZN7rocprim17ROCPRIM_400000_NS6detail17trampoline_kernelINS0_13select_configILj256ELj13ELNS0_17block_load_methodE3ELS4_3ELS4_3ELNS0_20block_scan_algorithmE0ELj4294967295EEENS1_25partition_config_selectorILNS1_17partition_subalgoE4EjNS0_10empty_typeEbEEZZNS1_14partition_implILS8_4ELb0ES6_15HIP_vector_typeIjLj2EENS0_17counting_iteratorIjlEEPS9_SG_NS0_5tupleIJPjSI_NS0_16reverse_iteratorISI_EEEEENSH_IJSG_SG_SG_EEES9_SI_JZNS1_25segmented_radix_sort_implINS0_14default_configELb0EPKaPaPKlPlN2at6native12_GLOBAL__N_18offset_tEEE10hipError_tPvRmT1_PNSt15iterator_traitsIS12_E10value_typeET2_T3_PNS13_IS18_E10value_typeET4_jRbjT5_S1E_jjP12ihipStream_tbEUljE_ZNSN_ISO_Lb0ESQ_SR_ST_SU_SY_EESZ_S10_S11_S12_S16_S17_S18_S1B_S1C_jS1D_jS1E_S1E_jjS1G_bEUljE0_EEESZ_S10_S11_S18_S1C_S1E_T6_T7_T9_mT8_S1G_bDpT10_ENKUlT_T0_E_clISt17integral_constantIbLb1EES1U_EEDaS1P_S1Q_EUlS1P_E_NS1_11comp_targetILNS1_3genE2ELNS1_11target_archE906ELNS1_3gpuE6ELNS1_3repE0EEENS1_30default_config_static_selectorELNS0_4arch9wavefront6targetE0EEEvS12_,"axG",@progbits,_ZN7rocprim17ROCPRIM_400000_NS6detail17trampoline_kernelINS0_13select_configILj256ELj13ELNS0_17block_load_methodE3ELS4_3ELS4_3ELNS0_20block_scan_algorithmE0ELj4294967295EEENS1_25partition_config_selectorILNS1_17partition_subalgoE4EjNS0_10empty_typeEbEEZZNS1_14partition_implILS8_4ELb0ES6_15HIP_vector_typeIjLj2EENS0_17counting_iteratorIjlEEPS9_SG_NS0_5tupleIJPjSI_NS0_16reverse_iteratorISI_EEEEENSH_IJSG_SG_SG_EEES9_SI_JZNS1_25segmented_radix_sort_implINS0_14default_configELb0EPKaPaPKlPlN2at6native12_GLOBAL__N_18offset_tEEE10hipError_tPvRmT1_PNSt15iterator_traitsIS12_E10value_typeET2_T3_PNS13_IS18_E10value_typeET4_jRbjT5_S1E_jjP12ihipStream_tbEUljE_ZNSN_ISO_Lb0ESQ_SR_ST_SU_SY_EESZ_S10_S11_S12_S16_S17_S18_S1B_S1C_jS1D_jS1E_S1E_jjS1G_bEUljE0_EEESZ_S10_S11_S18_S1C_S1E_T6_T7_T9_mT8_S1G_bDpT10_ENKUlT_T0_E_clISt17integral_constantIbLb1EES1U_EEDaS1P_S1Q_EUlS1P_E_NS1_11comp_targetILNS1_3genE2ELNS1_11target_archE906ELNS1_3gpuE6ELNS1_3repE0EEENS1_30default_config_static_selectorELNS0_4arch9wavefront6targetE0EEEvS12_,comdat
.Lfunc_end341:
	.size	_ZN7rocprim17ROCPRIM_400000_NS6detail17trampoline_kernelINS0_13select_configILj256ELj13ELNS0_17block_load_methodE3ELS4_3ELS4_3ELNS0_20block_scan_algorithmE0ELj4294967295EEENS1_25partition_config_selectorILNS1_17partition_subalgoE4EjNS0_10empty_typeEbEEZZNS1_14partition_implILS8_4ELb0ES6_15HIP_vector_typeIjLj2EENS0_17counting_iteratorIjlEEPS9_SG_NS0_5tupleIJPjSI_NS0_16reverse_iteratorISI_EEEEENSH_IJSG_SG_SG_EEES9_SI_JZNS1_25segmented_radix_sort_implINS0_14default_configELb0EPKaPaPKlPlN2at6native12_GLOBAL__N_18offset_tEEE10hipError_tPvRmT1_PNSt15iterator_traitsIS12_E10value_typeET2_T3_PNS13_IS18_E10value_typeET4_jRbjT5_S1E_jjP12ihipStream_tbEUljE_ZNSN_ISO_Lb0ESQ_SR_ST_SU_SY_EESZ_S10_S11_S12_S16_S17_S18_S1B_S1C_jS1D_jS1E_S1E_jjS1G_bEUljE0_EEESZ_S10_S11_S18_S1C_S1E_T6_T7_T9_mT8_S1G_bDpT10_ENKUlT_T0_E_clISt17integral_constantIbLb1EES1U_EEDaS1P_S1Q_EUlS1P_E_NS1_11comp_targetILNS1_3genE2ELNS1_11target_archE906ELNS1_3gpuE6ELNS1_3repE0EEENS1_30default_config_static_selectorELNS0_4arch9wavefront6targetE0EEEvS12_, .Lfunc_end341-_ZN7rocprim17ROCPRIM_400000_NS6detail17trampoline_kernelINS0_13select_configILj256ELj13ELNS0_17block_load_methodE3ELS4_3ELS4_3ELNS0_20block_scan_algorithmE0ELj4294967295EEENS1_25partition_config_selectorILNS1_17partition_subalgoE4EjNS0_10empty_typeEbEEZZNS1_14partition_implILS8_4ELb0ES6_15HIP_vector_typeIjLj2EENS0_17counting_iteratorIjlEEPS9_SG_NS0_5tupleIJPjSI_NS0_16reverse_iteratorISI_EEEEENSH_IJSG_SG_SG_EEES9_SI_JZNS1_25segmented_radix_sort_implINS0_14default_configELb0EPKaPaPKlPlN2at6native12_GLOBAL__N_18offset_tEEE10hipError_tPvRmT1_PNSt15iterator_traitsIS12_E10value_typeET2_T3_PNS13_IS18_E10value_typeET4_jRbjT5_S1E_jjP12ihipStream_tbEUljE_ZNSN_ISO_Lb0ESQ_SR_ST_SU_SY_EESZ_S10_S11_S12_S16_S17_S18_S1B_S1C_jS1D_jS1E_S1E_jjS1G_bEUljE0_EEESZ_S10_S11_S18_S1C_S1E_T6_T7_T9_mT8_S1G_bDpT10_ENKUlT_T0_E_clISt17integral_constantIbLb1EES1U_EEDaS1P_S1Q_EUlS1P_E_NS1_11comp_targetILNS1_3genE2ELNS1_11target_archE906ELNS1_3gpuE6ELNS1_3repE0EEENS1_30default_config_static_selectorELNS0_4arch9wavefront6targetE0EEEvS12_
                                        ; -- End function
	.set _ZN7rocprim17ROCPRIM_400000_NS6detail17trampoline_kernelINS0_13select_configILj256ELj13ELNS0_17block_load_methodE3ELS4_3ELS4_3ELNS0_20block_scan_algorithmE0ELj4294967295EEENS1_25partition_config_selectorILNS1_17partition_subalgoE4EjNS0_10empty_typeEbEEZZNS1_14partition_implILS8_4ELb0ES6_15HIP_vector_typeIjLj2EENS0_17counting_iteratorIjlEEPS9_SG_NS0_5tupleIJPjSI_NS0_16reverse_iteratorISI_EEEEENSH_IJSG_SG_SG_EEES9_SI_JZNS1_25segmented_radix_sort_implINS0_14default_configELb0EPKaPaPKlPlN2at6native12_GLOBAL__N_18offset_tEEE10hipError_tPvRmT1_PNSt15iterator_traitsIS12_E10value_typeET2_T3_PNS13_IS18_E10value_typeET4_jRbjT5_S1E_jjP12ihipStream_tbEUljE_ZNSN_ISO_Lb0ESQ_SR_ST_SU_SY_EESZ_S10_S11_S12_S16_S17_S18_S1B_S1C_jS1D_jS1E_S1E_jjS1G_bEUljE0_EEESZ_S10_S11_S18_S1C_S1E_T6_T7_T9_mT8_S1G_bDpT10_ENKUlT_T0_E_clISt17integral_constantIbLb1EES1U_EEDaS1P_S1Q_EUlS1P_E_NS1_11comp_targetILNS1_3genE2ELNS1_11target_archE906ELNS1_3gpuE6ELNS1_3repE0EEENS1_30default_config_static_selectorELNS0_4arch9wavefront6targetE0EEEvS12_.num_vgpr, 0
	.set _ZN7rocprim17ROCPRIM_400000_NS6detail17trampoline_kernelINS0_13select_configILj256ELj13ELNS0_17block_load_methodE3ELS4_3ELS4_3ELNS0_20block_scan_algorithmE0ELj4294967295EEENS1_25partition_config_selectorILNS1_17partition_subalgoE4EjNS0_10empty_typeEbEEZZNS1_14partition_implILS8_4ELb0ES6_15HIP_vector_typeIjLj2EENS0_17counting_iteratorIjlEEPS9_SG_NS0_5tupleIJPjSI_NS0_16reverse_iteratorISI_EEEEENSH_IJSG_SG_SG_EEES9_SI_JZNS1_25segmented_radix_sort_implINS0_14default_configELb0EPKaPaPKlPlN2at6native12_GLOBAL__N_18offset_tEEE10hipError_tPvRmT1_PNSt15iterator_traitsIS12_E10value_typeET2_T3_PNS13_IS18_E10value_typeET4_jRbjT5_S1E_jjP12ihipStream_tbEUljE_ZNSN_ISO_Lb0ESQ_SR_ST_SU_SY_EESZ_S10_S11_S12_S16_S17_S18_S1B_S1C_jS1D_jS1E_S1E_jjS1G_bEUljE0_EEESZ_S10_S11_S18_S1C_S1E_T6_T7_T9_mT8_S1G_bDpT10_ENKUlT_T0_E_clISt17integral_constantIbLb1EES1U_EEDaS1P_S1Q_EUlS1P_E_NS1_11comp_targetILNS1_3genE2ELNS1_11target_archE906ELNS1_3gpuE6ELNS1_3repE0EEENS1_30default_config_static_selectorELNS0_4arch9wavefront6targetE0EEEvS12_.num_agpr, 0
	.set _ZN7rocprim17ROCPRIM_400000_NS6detail17trampoline_kernelINS0_13select_configILj256ELj13ELNS0_17block_load_methodE3ELS4_3ELS4_3ELNS0_20block_scan_algorithmE0ELj4294967295EEENS1_25partition_config_selectorILNS1_17partition_subalgoE4EjNS0_10empty_typeEbEEZZNS1_14partition_implILS8_4ELb0ES6_15HIP_vector_typeIjLj2EENS0_17counting_iteratorIjlEEPS9_SG_NS0_5tupleIJPjSI_NS0_16reverse_iteratorISI_EEEEENSH_IJSG_SG_SG_EEES9_SI_JZNS1_25segmented_radix_sort_implINS0_14default_configELb0EPKaPaPKlPlN2at6native12_GLOBAL__N_18offset_tEEE10hipError_tPvRmT1_PNSt15iterator_traitsIS12_E10value_typeET2_T3_PNS13_IS18_E10value_typeET4_jRbjT5_S1E_jjP12ihipStream_tbEUljE_ZNSN_ISO_Lb0ESQ_SR_ST_SU_SY_EESZ_S10_S11_S12_S16_S17_S18_S1B_S1C_jS1D_jS1E_S1E_jjS1G_bEUljE0_EEESZ_S10_S11_S18_S1C_S1E_T6_T7_T9_mT8_S1G_bDpT10_ENKUlT_T0_E_clISt17integral_constantIbLb1EES1U_EEDaS1P_S1Q_EUlS1P_E_NS1_11comp_targetILNS1_3genE2ELNS1_11target_archE906ELNS1_3gpuE6ELNS1_3repE0EEENS1_30default_config_static_selectorELNS0_4arch9wavefront6targetE0EEEvS12_.numbered_sgpr, 0
	.set _ZN7rocprim17ROCPRIM_400000_NS6detail17trampoline_kernelINS0_13select_configILj256ELj13ELNS0_17block_load_methodE3ELS4_3ELS4_3ELNS0_20block_scan_algorithmE0ELj4294967295EEENS1_25partition_config_selectorILNS1_17partition_subalgoE4EjNS0_10empty_typeEbEEZZNS1_14partition_implILS8_4ELb0ES6_15HIP_vector_typeIjLj2EENS0_17counting_iteratorIjlEEPS9_SG_NS0_5tupleIJPjSI_NS0_16reverse_iteratorISI_EEEEENSH_IJSG_SG_SG_EEES9_SI_JZNS1_25segmented_radix_sort_implINS0_14default_configELb0EPKaPaPKlPlN2at6native12_GLOBAL__N_18offset_tEEE10hipError_tPvRmT1_PNSt15iterator_traitsIS12_E10value_typeET2_T3_PNS13_IS18_E10value_typeET4_jRbjT5_S1E_jjP12ihipStream_tbEUljE_ZNSN_ISO_Lb0ESQ_SR_ST_SU_SY_EESZ_S10_S11_S12_S16_S17_S18_S1B_S1C_jS1D_jS1E_S1E_jjS1G_bEUljE0_EEESZ_S10_S11_S18_S1C_S1E_T6_T7_T9_mT8_S1G_bDpT10_ENKUlT_T0_E_clISt17integral_constantIbLb1EES1U_EEDaS1P_S1Q_EUlS1P_E_NS1_11comp_targetILNS1_3genE2ELNS1_11target_archE906ELNS1_3gpuE6ELNS1_3repE0EEENS1_30default_config_static_selectorELNS0_4arch9wavefront6targetE0EEEvS12_.num_named_barrier, 0
	.set _ZN7rocprim17ROCPRIM_400000_NS6detail17trampoline_kernelINS0_13select_configILj256ELj13ELNS0_17block_load_methodE3ELS4_3ELS4_3ELNS0_20block_scan_algorithmE0ELj4294967295EEENS1_25partition_config_selectorILNS1_17partition_subalgoE4EjNS0_10empty_typeEbEEZZNS1_14partition_implILS8_4ELb0ES6_15HIP_vector_typeIjLj2EENS0_17counting_iteratorIjlEEPS9_SG_NS0_5tupleIJPjSI_NS0_16reverse_iteratorISI_EEEEENSH_IJSG_SG_SG_EEES9_SI_JZNS1_25segmented_radix_sort_implINS0_14default_configELb0EPKaPaPKlPlN2at6native12_GLOBAL__N_18offset_tEEE10hipError_tPvRmT1_PNSt15iterator_traitsIS12_E10value_typeET2_T3_PNS13_IS18_E10value_typeET4_jRbjT5_S1E_jjP12ihipStream_tbEUljE_ZNSN_ISO_Lb0ESQ_SR_ST_SU_SY_EESZ_S10_S11_S12_S16_S17_S18_S1B_S1C_jS1D_jS1E_S1E_jjS1G_bEUljE0_EEESZ_S10_S11_S18_S1C_S1E_T6_T7_T9_mT8_S1G_bDpT10_ENKUlT_T0_E_clISt17integral_constantIbLb1EES1U_EEDaS1P_S1Q_EUlS1P_E_NS1_11comp_targetILNS1_3genE2ELNS1_11target_archE906ELNS1_3gpuE6ELNS1_3repE0EEENS1_30default_config_static_selectorELNS0_4arch9wavefront6targetE0EEEvS12_.private_seg_size, 0
	.set _ZN7rocprim17ROCPRIM_400000_NS6detail17trampoline_kernelINS0_13select_configILj256ELj13ELNS0_17block_load_methodE3ELS4_3ELS4_3ELNS0_20block_scan_algorithmE0ELj4294967295EEENS1_25partition_config_selectorILNS1_17partition_subalgoE4EjNS0_10empty_typeEbEEZZNS1_14partition_implILS8_4ELb0ES6_15HIP_vector_typeIjLj2EENS0_17counting_iteratorIjlEEPS9_SG_NS0_5tupleIJPjSI_NS0_16reverse_iteratorISI_EEEEENSH_IJSG_SG_SG_EEES9_SI_JZNS1_25segmented_radix_sort_implINS0_14default_configELb0EPKaPaPKlPlN2at6native12_GLOBAL__N_18offset_tEEE10hipError_tPvRmT1_PNSt15iterator_traitsIS12_E10value_typeET2_T3_PNS13_IS18_E10value_typeET4_jRbjT5_S1E_jjP12ihipStream_tbEUljE_ZNSN_ISO_Lb0ESQ_SR_ST_SU_SY_EESZ_S10_S11_S12_S16_S17_S18_S1B_S1C_jS1D_jS1E_S1E_jjS1G_bEUljE0_EEESZ_S10_S11_S18_S1C_S1E_T6_T7_T9_mT8_S1G_bDpT10_ENKUlT_T0_E_clISt17integral_constantIbLb1EES1U_EEDaS1P_S1Q_EUlS1P_E_NS1_11comp_targetILNS1_3genE2ELNS1_11target_archE906ELNS1_3gpuE6ELNS1_3repE0EEENS1_30default_config_static_selectorELNS0_4arch9wavefront6targetE0EEEvS12_.uses_vcc, 0
	.set _ZN7rocprim17ROCPRIM_400000_NS6detail17trampoline_kernelINS0_13select_configILj256ELj13ELNS0_17block_load_methodE3ELS4_3ELS4_3ELNS0_20block_scan_algorithmE0ELj4294967295EEENS1_25partition_config_selectorILNS1_17partition_subalgoE4EjNS0_10empty_typeEbEEZZNS1_14partition_implILS8_4ELb0ES6_15HIP_vector_typeIjLj2EENS0_17counting_iteratorIjlEEPS9_SG_NS0_5tupleIJPjSI_NS0_16reverse_iteratorISI_EEEEENSH_IJSG_SG_SG_EEES9_SI_JZNS1_25segmented_radix_sort_implINS0_14default_configELb0EPKaPaPKlPlN2at6native12_GLOBAL__N_18offset_tEEE10hipError_tPvRmT1_PNSt15iterator_traitsIS12_E10value_typeET2_T3_PNS13_IS18_E10value_typeET4_jRbjT5_S1E_jjP12ihipStream_tbEUljE_ZNSN_ISO_Lb0ESQ_SR_ST_SU_SY_EESZ_S10_S11_S12_S16_S17_S18_S1B_S1C_jS1D_jS1E_S1E_jjS1G_bEUljE0_EEESZ_S10_S11_S18_S1C_S1E_T6_T7_T9_mT8_S1G_bDpT10_ENKUlT_T0_E_clISt17integral_constantIbLb1EES1U_EEDaS1P_S1Q_EUlS1P_E_NS1_11comp_targetILNS1_3genE2ELNS1_11target_archE906ELNS1_3gpuE6ELNS1_3repE0EEENS1_30default_config_static_selectorELNS0_4arch9wavefront6targetE0EEEvS12_.uses_flat_scratch, 0
	.set _ZN7rocprim17ROCPRIM_400000_NS6detail17trampoline_kernelINS0_13select_configILj256ELj13ELNS0_17block_load_methodE3ELS4_3ELS4_3ELNS0_20block_scan_algorithmE0ELj4294967295EEENS1_25partition_config_selectorILNS1_17partition_subalgoE4EjNS0_10empty_typeEbEEZZNS1_14partition_implILS8_4ELb0ES6_15HIP_vector_typeIjLj2EENS0_17counting_iteratorIjlEEPS9_SG_NS0_5tupleIJPjSI_NS0_16reverse_iteratorISI_EEEEENSH_IJSG_SG_SG_EEES9_SI_JZNS1_25segmented_radix_sort_implINS0_14default_configELb0EPKaPaPKlPlN2at6native12_GLOBAL__N_18offset_tEEE10hipError_tPvRmT1_PNSt15iterator_traitsIS12_E10value_typeET2_T3_PNS13_IS18_E10value_typeET4_jRbjT5_S1E_jjP12ihipStream_tbEUljE_ZNSN_ISO_Lb0ESQ_SR_ST_SU_SY_EESZ_S10_S11_S12_S16_S17_S18_S1B_S1C_jS1D_jS1E_S1E_jjS1G_bEUljE0_EEESZ_S10_S11_S18_S1C_S1E_T6_T7_T9_mT8_S1G_bDpT10_ENKUlT_T0_E_clISt17integral_constantIbLb1EES1U_EEDaS1P_S1Q_EUlS1P_E_NS1_11comp_targetILNS1_3genE2ELNS1_11target_archE906ELNS1_3gpuE6ELNS1_3repE0EEENS1_30default_config_static_selectorELNS0_4arch9wavefront6targetE0EEEvS12_.has_dyn_sized_stack, 0
	.set _ZN7rocprim17ROCPRIM_400000_NS6detail17trampoline_kernelINS0_13select_configILj256ELj13ELNS0_17block_load_methodE3ELS4_3ELS4_3ELNS0_20block_scan_algorithmE0ELj4294967295EEENS1_25partition_config_selectorILNS1_17partition_subalgoE4EjNS0_10empty_typeEbEEZZNS1_14partition_implILS8_4ELb0ES6_15HIP_vector_typeIjLj2EENS0_17counting_iteratorIjlEEPS9_SG_NS0_5tupleIJPjSI_NS0_16reverse_iteratorISI_EEEEENSH_IJSG_SG_SG_EEES9_SI_JZNS1_25segmented_radix_sort_implINS0_14default_configELb0EPKaPaPKlPlN2at6native12_GLOBAL__N_18offset_tEEE10hipError_tPvRmT1_PNSt15iterator_traitsIS12_E10value_typeET2_T3_PNS13_IS18_E10value_typeET4_jRbjT5_S1E_jjP12ihipStream_tbEUljE_ZNSN_ISO_Lb0ESQ_SR_ST_SU_SY_EESZ_S10_S11_S12_S16_S17_S18_S1B_S1C_jS1D_jS1E_S1E_jjS1G_bEUljE0_EEESZ_S10_S11_S18_S1C_S1E_T6_T7_T9_mT8_S1G_bDpT10_ENKUlT_T0_E_clISt17integral_constantIbLb1EES1U_EEDaS1P_S1Q_EUlS1P_E_NS1_11comp_targetILNS1_3genE2ELNS1_11target_archE906ELNS1_3gpuE6ELNS1_3repE0EEENS1_30default_config_static_selectorELNS0_4arch9wavefront6targetE0EEEvS12_.has_recursion, 0
	.set _ZN7rocprim17ROCPRIM_400000_NS6detail17trampoline_kernelINS0_13select_configILj256ELj13ELNS0_17block_load_methodE3ELS4_3ELS4_3ELNS0_20block_scan_algorithmE0ELj4294967295EEENS1_25partition_config_selectorILNS1_17partition_subalgoE4EjNS0_10empty_typeEbEEZZNS1_14partition_implILS8_4ELb0ES6_15HIP_vector_typeIjLj2EENS0_17counting_iteratorIjlEEPS9_SG_NS0_5tupleIJPjSI_NS0_16reverse_iteratorISI_EEEEENSH_IJSG_SG_SG_EEES9_SI_JZNS1_25segmented_radix_sort_implINS0_14default_configELb0EPKaPaPKlPlN2at6native12_GLOBAL__N_18offset_tEEE10hipError_tPvRmT1_PNSt15iterator_traitsIS12_E10value_typeET2_T3_PNS13_IS18_E10value_typeET4_jRbjT5_S1E_jjP12ihipStream_tbEUljE_ZNSN_ISO_Lb0ESQ_SR_ST_SU_SY_EESZ_S10_S11_S12_S16_S17_S18_S1B_S1C_jS1D_jS1E_S1E_jjS1G_bEUljE0_EEESZ_S10_S11_S18_S1C_S1E_T6_T7_T9_mT8_S1G_bDpT10_ENKUlT_T0_E_clISt17integral_constantIbLb1EES1U_EEDaS1P_S1Q_EUlS1P_E_NS1_11comp_targetILNS1_3genE2ELNS1_11target_archE906ELNS1_3gpuE6ELNS1_3repE0EEENS1_30default_config_static_selectorELNS0_4arch9wavefront6targetE0EEEvS12_.has_indirect_call, 0
	.section	.AMDGPU.csdata,"",@progbits
; Kernel info:
; codeLenInByte = 0
; TotalNumSgprs: 0
; NumVgprs: 0
; ScratchSize: 0
; MemoryBound: 0
; FloatMode: 240
; IeeeMode: 1
; LDSByteSize: 0 bytes/workgroup (compile time only)
; SGPRBlocks: 0
; VGPRBlocks: 0
; NumSGPRsForWavesPerEU: 1
; NumVGPRsForWavesPerEU: 1
; Occupancy: 16
; WaveLimiterHint : 0
; COMPUTE_PGM_RSRC2:SCRATCH_EN: 0
; COMPUTE_PGM_RSRC2:USER_SGPR: 2
; COMPUTE_PGM_RSRC2:TRAP_HANDLER: 0
; COMPUTE_PGM_RSRC2:TGID_X_EN: 1
; COMPUTE_PGM_RSRC2:TGID_Y_EN: 0
; COMPUTE_PGM_RSRC2:TGID_Z_EN: 0
; COMPUTE_PGM_RSRC2:TIDIG_COMP_CNT: 0
	.section	.text._ZN7rocprim17ROCPRIM_400000_NS6detail17trampoline_kernelINS0_13select_configILj256ELj13ELNS0_17block_load_methodE3ELS4_3ELS4_3ELNS0_20block_scan_algorithmE0ELj4294967295EEENS1_25partition_config_selectorILNS1_17partition_subalgoE4EjNS0_10empty_typeEbEEZZNS1_14partition_implILS8_4ELb0ES6_15HIP_vector_typeIjLj2EENS0_17counting_iteratorIjlEEPS9_SG_NS0_5tupleIJPjSI_NS0_16reverse_iteratorISI_EEEEENSH_IJSG_SG_SG_EEES9_SI_JZNS1_25segmented_radix_sort_implINS0_14default_configELb0EPKaPaPKlPlN2at6native12_GLOBAL__N_18offset_tEEE10hipError_tPvRmT1_PNSt15iterator_traitsIS12_E10value_typeET2_T3_PNS13_IS18_E10value_typeET4_jRbjT5_S1E_jjP12ihipStream_tbEUljE_ZNSN_ISO_Lb0ESQ_SR_ST_SU_SY_EESZ_S10_S11_S12_S16_S17_S18_S1B_S1C_jS1D_jS1E_S1E_jjS1G_bEUljE0_EEESZ_S10_S11_S18_S1C_S1E_T6_T7_T9_mT8_S1G_bDpT10_ENKUlT_T0_E_clISt17integral_constantIbLb1EES1U_EEDaS1P_S1Q_EUlS1P_E_NS1_11comp_targetILNS1_3genE10ELNS1_11target_archE1200ELNS1_3gpuE4ELNS1_3repE0EEENS1_30default_config_static_selectorELNS0_4arch9wavefront6targetE0EEEvS12_,"axG",@progbits,_ZN7rocprim17ROCPRIM_400000_NS6detail17trampoline_kernelINS0_13select_configILj256ELj13ELNS0_17block_load_methodE3ELS4_3ELS4_3ELNS0_20block_scan_algorithmE0ELj4294967295EEENS1_25partition_config_selectorILNS1_17partition_subalgoE4EjNS0_10empty_typeEbEEZZNS1_14partition_implILS8_4ELb0ES6_15HIP_vector_typeIjLj2EENS0_17counting_iteratorIjlEEPS9_SG_NS0_5tupleIJPjSI_NS0_16reverse_iteratorISI_EEEEENSH_IJSG_SG_SG_EEES9_SI_JZNS1_25segmented_radix_sort_implINS0_14default_configELb0EPKaPaPKlPlN2at6native12_GLOBAL__N_18offset_tEEE10hipError_tPvRmT1_PNSt15iterator_traitsIS12_E10value_typeET2_T3_PNS13_IS18_E10value_typeET4_jRbjT5_S1E_jjP12ihipStream_tbEUljE_ZNSN_ISO_Lb0ESQ_SR_ST_SU_SY_EESZ_S10_S11_S12_S16_S17_S18_S1B_S1C_jS1D_jS1E_S1E_jjS1G_bEUljE0_EEESZ_S10_S11_S18_S1C_S1E_T6_T7_T9_mT8_S1G_bDpT10_ENKUlT_T0_E_clISt17integral_constantIbLb1EES1U_EEDaS1P_S1Q_EUlS1P_E_NS1_11comp_targetILNS1_3genE10ELNS1_11target_archE1200ELNS1_3gpuE4ELNS1_3repE0EEENS1_30default_config_static_selectorELNS0_4arch9wavefront6targetE0EEEvS12_,comdat
	.globl	_ZN7rocprim17ROCPRIM_400000_NS6detail17trampoline_kernelINS0_13select_configILj256ELj13ELNS0_17block_load_methodE3ELS4_3ELS4_3ELNS0_20block_scan_algorithmE0ELj4294967295EEENS1_25partition_config_selectorILNS1_17partition_subalgoE4EjNS0_10empty_typeEbEEZZNS1_14partition_implILS8_4ELb0ES6_15HIP_vector_typeIjLj2EENS0_17counting_iteratorIjlEEPS9_SG_NS0_5tupleIJPjSI_NS0_16reverse_iteratorISI_EEEEENSH_IJSG_SG_SG_EEES9_SI_JZNS1_25segmented_radix_sort_implINS0_14default_configELb0EPKaPaPKlPlN2at6native12_GLOBAL__N_18offset_tEEE10hipError_tPvRmT1_PNSt15iterator_traitsIS12_E10value_typeET2_T3_PNS13_IS18_E10value_typeET4_jRbjT5_S1E_jjP12ihipStream_tbEUljE_ZNSN_ISO_Lb0ESQ_SR_ST_SU_SY_EESZ_S10_S11_S12_S16_S17_S18_S1B_S1C_jS1D_jS1E_S1E_jjS1G_bEUljE0_EEESZ_S10_S11_S18_S1C_S1E_T6_T7_T9_mT8_S1G_bDpT10_ENKUlT_T0_E_clISt17integral_constantIbLb1EES1U_EEDaS1P_S1Q_EUlS1P_E_NS1_11comp_targetILNS1_3genE10ELNS1_11target_archE1200ELNS1_3gpuE4ELNS1_3repE0EEENS1_30default_config_static_selectorELNS0_4arch9wavefront6targetE0EEEvS12_ ; -- Begin function _ZN7rocprim17ROCPRIM_400000_NS6detail17trampoline_kernelINS0_13select_configILj256ELj13ELNS0_17block_load_methodE3ELS4_3ELS4_3ELNS0_20block_scan_algorithmE0ELj4294967295EEENS1_25partition_config_selectorILNS1_17partition_subalgoE4EjNS0_10empty_typeEbEEZZNS1_14partition_implILS8_4ELb0ES6_15HIP_vector_typeIjLj2EENS0_17counting_iteratorIjlEEPS9_SG_NS0_5tupleIJPjSI_NS0_16reverse_iteratorISI_EEEEENSH_IJSG_SG_SG_EEES9_SI_JZNS1_25segmented_radix_sort_implINS0_14default_configELb0EPKaPaPKlPlN2at6native12_GLOBAL__N_18offset_tEEE10hipError_tPvRmT1_PNSt15iterator_traitsIS12_E10value_typeET2_T3_PNS13_IS18_E10value_typeET4_jRbjT5_S1E_jjP12ihipStream_tbEUljE_ZNSN_ISO_Lb0ESQ_SR_ST_SU_SY_EESZ_S10_S11_S12_S16_S17_S18_S1B_S1C_jS1D_jS1E_S1E_jjS1G_bEUljE0_EEESZ_S10_S11_S18_S1C_S1E_T6_T7_T9_mT8_S1G_bDpT10_ENKUlT_T0_E_clISt17integral_constantIbLb1EES1U_EEDaS1P_S1Q_EUlS1P_E_NS1_11comp_targetILNS1_3genE10ELNS1_11target_archE1200ELNS1_3gpuE4ELNS1_3repE0EEENS1_30default_config_static_selectorELNS0_4arch9wavefront6targetE0EEEvS12_
	.p2align	8
	.type	_ZN7rocprim17ROCPRIM_400000_NS6detail17trampoline_kernelINS0_13select_configILj256ELj13ELNS0_17block_load_methodE3ELS4_3ELS4_3ELNS0_20block_scan_algorithmE0ELj4294967295EEENS1_25partition_config_selectorILNS1_17partition_subalgoE4EjNS0_10empty_typeEbEEZZNS1_14partition_implILS8_4ELb0ES6_15HIP_vector_typeIjLj2EENS0_17counting_iteratorIjlEEPS9_SG_NS0_5tupleIJPjSI_NS0_16reverse_iteratorISI_EEEEENSH_IJSG_SG_SG_EEES9_SI_JZNS1_25segmented_radix_sort_implINS0_14default_configELb0EPKaPaPKlPlN2at6native12_GLOBAL__N_18offset_tEEE10hipError_tPvRmT1_PNSt15iterator_traitsIS12_E10value_typeET2_T3_PNS13_IS18_E10value_typeET4_jRbjT5_S1E_jjP12ihipStream_tbEUljE_ZNSN_ISO_Lb0ESQ_SR_ST_SU_SY_EESZ_S10_S11_S12_S16_S17_S18_S1B_S1C_jS1D_jS1E_S1E_jjS1G_bEUljE0_EEESZ_S10_S11_S18_S1C_S1E_T6_T7_T9_mT8_S1G_bDpT10_ENKUlT_T0_E_clISt17integral_constantIbLb1EES1U_EEDaS1P_S1Q_EUlS1P_E_NS1_11comp_targetILNS1_3genE10ELNS1_11target_archE1200ELNS1_3gpuE4ELNS1_3repE0EEENS1_30default_config_static_selectorELNS0_4arch9wavefront6targetE0EEEvS12_,@function
_ZN7rocprim17ROCPRIM_400000_NS6detail17trampoline_kernelINS0_13select_configILj256ELj13ELNS0_17block_load_methodE3ELS4_3ELS4_3ELNS0_20block_scan_algorithmE0ELj4294967295EEENS1_25partition_config_selectorILNS1_17partition_subalgoE4EjNS0_10empty_typeEbEEZZNS1_14partition_implILS8_4ELb0ES6_15HIP_vector_typeIjLj2EENS0_17counting_iteratorIjlEEPS9_SG_NS0_5tupleIJPjSI_NS0_16reverse_iteratorISI_EEEEENSH_IJSG_SG_SG_EEES9_SI_JZNS1_25segmented_radix_sort_implINS0_14default_configELb0EPKaPaPKlPlN2at6native12_GLOBAL__N_18offset_tEEE10hipError_tPvRmT1_PNSt15iterator_traitsIS12_E10value_typeET2_T3_PNS13_IS18_E10value_typeET4_jRbjT5_S1E_jjP12ihipStream_tbEUljE_ZNSN_ISO_Lb0ESQ_SR_ST_SU_SY_EESZ_S10_S11_S12_S16_S17_S18_S1B_S1C_jS1D_jS1E_S1E_jjS1G_bEUljE0_EEESZ_S10_S11_S18_S1C_S1E_T6_T7_T9_mT8_S1G_bDpT10_ENKUlT_T0_E_clISt17integral_constantIbLb1EES1U_EEDaS1P_S1Q_EUlS1P_E_NS1_11comp_targetILNS1_3genE10ELNS1_11target_archE1200ELNS1_3gpuE4ELNS1_3repE0EEENS1_30default_config_static_selectorELNS0_4arch9wavefront6targetE0EEEvS12_: ; @_ZN7rocprim17ROCPRIM_400000_NS6detail17trampoline_kernelINS0_13select_configILj256ELj13ELNS0_17block_load_methodE3ELS4_3ELS4_3ELNS0_20block_scan_algorithmE0ELj4294967295EEENS1_25partition_config_selectorILNS1_17partition_subalgoE4EjNS0_10empty_typeEbEEZZNS1_14partition_implILS8_4ELb0ES6_15HIP_vector_typeIjLj2EENS0_17counting_iteratorIjlEEPS9_SG_NS0_5tupleIJPjSI_NS0_16reverse_iteratorISI_EEEEENSH_IJSG_SG_SG_EEES9_SI_JZNS1_25segmented_radix_sort_implINS0_14default_configELb0EPKaPaPKlPlN2at6native12_GLOBAL__N_18offset_tEEE10hipError_tPvRmT1_PNSt15iterator_traitsIS12_E10value_typeET2_T3_PNS13_IS18_E10value_typeET4_jRbjT5_S1E_jjP12ihipStream_tbEUljE_ZNSN_ISO_Lb0ESQ_SR_ST_SU_SY_EESZ_S10_S11_S12_S16_S17_S18_S1B_S1C_jS1D_jS1E_S1E_jjS1G_bEUljE0_EEESZ_S10_S11_S18_S1C_S1E_T6_T7_T9_mT8_S1G_bDpT10_ENKUlT_T0_E_clISt17integral_constantIbLb1EES1U_EEDaS1P_S1Q_EUlS1P_E_NS1_11comp_targetILNS1_3genE10ELNS1_11target_archE1200ELNS1_3gpuE4ELNS1_3repE0EEENS1_30default_config_static_selectorELNS0_4arch9wavefront6targetE0EEEvS12_
; %bb.0:
	s_endpgm
	.section	.rodata,"a",@progbits
	.p2align	6, 0x0
	.amdhsa_kernel _ZN7rocprim17ROCPRIM_400000_NS6detail17trampoline_kernelINS0_13select_configILj256ELj13ELNS0_17block_load_methodE3ELS4_3ELS4_3ELNS0_20block_scan_algorithmE0ELj4294967295EEENS1_25partition_config_selectorILNS1_17partition_subalgoE4EjNS0_10empty_typeEbEEZZNS1_14partition_implILS8_4ELb0ES6_15HIP_vector_typeIjLj2EENS0_17counting_iteratorIjlEEPS9_SG_NS0_5tupleIJPjSI_NS0_16reverse_iteratorISI_EEEEENSH_IJSG_SG_SG_EEES9_SI_JZNS1_25segmented_radix_sort_implINS0_14default_configELb0EPKaPaPKlPlN2at6native12_GLOBAL__N_18offset_tEEE10hipError_tPvRmT1_PNSt15iterator_traitsIS12_E10value_typeET2_T3_PNS13_IS18_E10value_typeET4_jRbjT5_S1E_jjP12ihipStream_tbEUljE_ZNSN_ISO_Lb0ESQ_SR_ST_SU_SY_EESZ_S10_S11_S12_S16_S17_S18_S1B_S1C_jS1D_jS1E_S1E_jjS1G_bEUljE0_EEESZ_S10_S11_S18_S1C_S1E_T6_T7_T9_mT8_S1G_bDpT10_ENKUlT_T0_E_clISt17integral_constantIbLb1EES1U_EEDaS1P_S1Q_EUlS1P_E_NS1_11comp_targetILNS1_3genE10ELNS1_11target_archE1200ELNS1_3gpuE4ELNS1_3repE0EEENS1_30default_config_static_selectorELNS0_4arch9wavefront6targetE0EEEvS12_
		.amdhsa_group_segment_fixed_size 0
		.amdhsa_private_segment_fixed_size 0
		.amdhsa_kernarg_size 184
		.amdhsa_user_sgpr_count 2
		.amdhsa_user_sgpr_dispatch_ptr 0
		.amdhsa_user_sgpr_queue_ptr 0
		.amdhsa_user_sgpr_kernarg_segment_ptr 1
		.amdhsa_user_sgpr_dispatch_id 0
		.amdhsa_user_sgpr_private_segment_size 0
		.amdhsa_wavefront_size32 1
		.amdhsa_uses_dynamic_stack 0
		.amdhsa_enable_private_segment 0
		.amdhsa_system_sgpr_workgroup_id_x 1
		.amdhsa_system_sgpr_workgroup_id_y 0
		.amdhsa_system_sgpr_workgroup_id_z 0
		.amdhsa_system_sgpr_workgroup_info 0
		.amdhsa_system_vgpr_workitem_id 0
		.amdhsa_next_free_vgpr 1
		.amdhsa_next_free_sgpr 1
		.amdhsa_reserve_vcc 0
		.amdhsa_float_round_mode_32 0
		.amdhsa_float_round_mode_16_64 0
		.amdhsa_float_denorm_mode_32 3
		.amdhsa_float_denorm_mode_16_64 3
		.amdhsa_fp16_overflow 0
		.amdhsa_workgroup_processor_mode 1
		.amdhsa_memory_ordered 1
		.amdhsa_forward_progress 1
		.amdhsa_inst_pref_size 1
		.amdhsa_round_robin_scheduling 0
		.amdhsa_exception_fp_ieee_invalid_op 0
		.amdhsa_exception_fp_denorm_src 0
		.amdhsa_exception_fp_ieee_div_zero 0
		.amdhsa_exception_fp_ieee_overflow 0
		.amdhsa_exception_fp_ieee_underflow 0
		.amdhsa_exception_fp_ieee_inexact 0
		.amdhsa_exception_int_div_zero 0
	.end_amdhsa_kernel
	.section	.text._ZN7rocprim17ROCPRIM_400000_NS6detail17trampoline_kernelINS0_13select_configILj256ELj13ELNS0_17block_load_methodE3ELS4_3ELS4_3ELNS0_20block_scan_algorithmE0ELj4294967295EEENS1_25partition_config_selectorILNS1_17partition_subalgoE4EjNS0_10empty_typeEbEEZZNS1_14partition_implILS8_4ELb0ES6_15HIP_vector_typeIjLj2EENS0_17counting_iteratorIjlEEPS9_SG_NS0_5tupleIJPjSI_NS0_16reverse_iteratorISI_EEEEENSH_IJSG_SG_SG_EEES9_SI_JZNS1_25segmented_radix_sort_implINS0_14default_configELb0EPKaPaPKlPlN2at6native12_GLOBAL__N_18offset_tEEE10hipError_tPvRmT1_PNSt15iterator_traitsIS12_E10value_typeET2_T3_PNS13_IS18_E10value_typeET4_jRbjT5_S1E_jjP12ihipStream_tbEUljE_ZNSN_ISO_Lb0ESQ_SR_ST_SU_SY_EESZ_S10_S11_S12_S16_S17_S18_S1B_S1C_jS1D_jS1E_S1E_jjS1G_bEUljE0_EEESZ_S10_S11_S18_S1C_S1E_T6_T7_T9_mT8_S1G_bDpT10_ENKUlT_T0_E_clISt17integral_constantIbLb1EES1U_EEDaS1P_S1Q_EUlS1P_E_NS1_11comp_targetILNS1_3genE10ELNS1_11target_archE1200ELNS1_3gpuE4ELNS1_3repE0EEENS1_30default_config_static_selectorELNS0_4arch9wavefront6targetE0EEEvS12_,"axG",@progbits,_ZN7rocprim17ROCPRIM_400000_NS6detail17trampoline_kernelINS0_13select_configILj256ELj13ELNS0_17block_load_methodE3ELS4_3ELS4_3ELNS0_20block_scan_algorithmE0ELj4294967295EEENS1_25partition_config_selectorILNS1_17partition_subalgoE4EjNS0_10empty_typeEbEEZZNS1_14partition_implILS8_4ELb0ES6_15HIP_vector_typeIjLj2EENS0_17counting_iteratorIjlEEPS9_SG_NS0_5tupleIJPjSI_NS0_16reverse_iteratorISI_EEEEENSH_IJSG_SG_SG_EEES9_SI_JZNS1_25segmented_radix_sort_implINS0_14default_configELb0EPKaPaPKlPlN2at6native12_GLOBAL__N_18offset_tEEE10hipError_tPvRmT1_PNSt15iterator_traitsIS12_E10value_typeET2_T3_PNS13_IS18_E10value_typeET4_jRbjT5_S1E_jjP12ihipStream_tbEUljE_ZNSN_ISO_Lb0ESQ_SR_ST_SU_SY_EESZ_S10_S11_S12_S16_S17_S18_S1B_S1C_jS1D_jS1E_S1E_jjS1G_bEUljE0_EEESZ_S10_S11_S18_S1C_S1E_T6_T7_T9_mT8_S1G_bDpT10_ENKUlT_T0_E_clISt17integral_constantIbLb1EES1U_EEDaS1P_S1Q_EUlS1P_E_NS1_11comp_targetILNS1_3genE10ELNS1_11target_archE1200ELNS1_3gpuE4ELNS1_3repE0EEENS1_30default_config_static_selectorELNS0_4arch9wavefront6targetE0EEEvS12_,comdat
.Lfunc_end342:
	.size	_ZN7rocprim17ROCPRIM_400000_NS6detail17trampoline_kernelINS0_13select_configILj256ELj13ELNS0_17block_load_methodE3ELS4_3ELS4_3ELNS0_20block_scan_algorithmE0ELj4294967295EEENS1_25partition_config_selectorILNS1_17partition_subalgoE4EjNS0_10empty_typeEbEEZZNS1_14partition_implILS8_4ELb0ES6_15HIP_vector_typeIjLj2EENS0_17counting_iteratorIjlEEPS9_SG_NS0_5tupleIJPjSI_NS0_16reverse_iteratorISI_EEEEENSH_IJSG_SG_SG_EEES9_SI_JZNS1_25segmented_radix_sort_implINS0_14default_configELb0EPKaPaPKlPlN2at6native12_GLOBAL__N_18offset_tEEE10hipError_tPvRmT1_PNSt15iterator_traitsIS12_E10value_typeET2_T3_PNS13_IS18_E10value_typeET4_jRbjT5_S1E_jjP12ihipStream_tbEUljE_ZNSN_ISO_Lb0ESQ_SR_ST_SU_SY_EESZ_S10_S11_S12_S16_S17_S18_S1B_S1C_jS1D_jS1E_S1E_jjS1G_bEUljE0_EEESZ_S10_S11_S18_S1C_S1E_T6_T7_T9_mT8_S1G_bDpT10_ENKUlT_T0_E_clISt17integral_constantIbLb1EES1U_EEDaS1P_S1Q_EUlS1P_E_NS1_11comp_targetILNS1_3genE10ELNS1_11target_archE1200ELNS1_3gpuE4ELNS1_3repE0EEENS1_30default_config_static_selectorELNS0_4arch9wavefront6targetE0EEEvS12_, .Lfunc_end342-_ZN7rocprim17ROCPRIM_400000_NS6detail17trampoline_kernelINS0_13select_configILj256ELj13ELNS0_17block_load_methodE3ELS4_3ELS4_3ELNS0_20block_scan_algorithmE0ELj4294967295EEENS1_25partition_config_selectorILNS1_17partition_subalgoE4EjNS0_10empty_typeEbEEZZNS1_14partition_implILS8_4ELb0ES6_15HIP_vector_typeIjLj2EENS0_17counting_iteratorIjlEEPS9_SG_NS0_5tupleIJPjSI_NS0_16reverse_iteratorISI_EEEEENSH_IJSG_SG_SG_EEES9_SI_JZNS1_25segmented_radix_sort_implINS0_14default_configELb0EPKaPaPKlPlN2at6native12_GLOBAL__N_18offset_tEEE10hipError_tPvRmT1_PNSt15iterator_traitsIS12_E10value_typeET2_T3_PNS13_IS18_E10value_typeET4_jRbjT5_S1E_jjP12ihipStream_tbEUljE_ZNSN_ISO_Lb0ESQ_SR_ST_SU_SY_EESZ_S10_S11_S12_S16_S17_S18_S1B_S1C_jS1D_jS1E_S1E_jjS1G_bEUljE0_EEESZ_S10_S11_S18_S1C_S1E_T6_T7_T9_mT8_S1G_bDpT10_ENKUlT_T0_E_clISt17integral_constantIbLb1EES1U_EEDaS1P_S1Q_EUlS1P_E_NS1_11comp_targetILNS1_3genE10ELNS1_11target_archE1200ELNS1_3gpuE4ELNS1_3repE0EEENS1_30default_config_static_selectorELNS0_4arch9wavefront6targetE0EEEvS12_
                                        ; -- End function
	.set _ZN7rocprim17ROCPRIM_400000_NS6detail17trampoline_kernelINS0_13select_configILj256ELj13ELNS0_17block_load_methodE3ELS4_3ELS4_3ELNS0_20block_scan_algorithmE0ELj4294967295EEENS1_25partition_config_selectorILNS1_17partition_subalgoE4EjNS0_10empty_typeEbEEZZNS1_14partition_implILS8_4ELb0ES6_15HIP_vector_typeIjLj2EENS0_17counting_iteratorIjlEEPS9_SG_NS0_5tupleIJPjSI_NS0_16reverse_iteratorISI_EEEEENSH_IJSG_SG_SG_EEES9_SI_JZNS1_25segmented_radix_sort_implINS0_14default_configELb0EPKaPaPKlPlN2at6native12_GLOBAL__N_18offset_tEEE10hipError_tPvRmT1_PNSt15iterator_traitsIS12_E10value_typeET2_T3_PNS13_IS18_E10value_typeET4_jRbjT5_S1E_jjP12ihipStream_tbEUljE_ZNSN_ISO_Lb0ESQ_SR_ST_SU_SY_EESZ_S10_S11_S12_S16_S17_S18_S1B_S1C_jS1D_jS1E_S1E_jjS1G_bEUljE0_EEESZ_S10_S11_S18_S1C_S1E_T6_T7_T9_mT8_S1G_bDpT10_ENKUlT_T0_E_clISt17integral_constantIbLb1EES1U_EEDaS1P_S1Q_EUlS1P_E_NS1_11comp_targetILNS1_3genE10ELNS1_11target_archE1200ELNS1_3gpuE4ELNS1_3repE0EEENS1_30default_config_static_selectorELNS0_4arch9wavefront6targetE0EEEvS12_.num_vgpr, 0
	.set _ZN7rocprim17ROCPRIM_400000_NS6detail17trampoline_kernelINS0_13select_configILj256ELj13ELNS0_17block_load_methodE3ELS4_3ELS4_3ELNS0_20block_scan_algorithmE0ELj4294967295EEENS1_25partition_config_selectorILNS1_17partition_subalgoE4EjNS0_10empty_typeEbEEZZNS1_14partition_implILS8_4ELb0ES6_15HIP_vector_typeIjLj2EENS0_17counting_iteratorIjlEEPS9_SG_NS0_5tupleIJPjSI_NS0_16reverse_iteratorISI_EEEEENSH_IJSG_SG_SG_EEES9_SI_JZNS1_25segmented_radix_sort_implINS0_14default_configELb0EPKaPaPKlPlN2at6native12_GLOBAL__N_18offset_tEEE10hipError_tPvRmT1_PNSt15iterator_traitsIS12_E10value_typeET2_T3_PNS13_IS18_E10value_typeET4_jRbjT5_S1E_jjP12ihipStream_tbEUljE_ZNSN_ISO_Lb0ESQ_SR_ST_SU_SY_EESZ_S10_S11_S12_S16_S17_S18_S1B_S1C_jS1D_jS1E_S1E_jjS1G_bEUljE0_EEESZ_S10_S11_S18_S1C_S1E_T6_T7_T9_mT8_S1G_bDpT10_ENKUlT_T0_E_clISt17integral_constantIbLb1EES1U_EEDaS1P_S1Q_EUlS1P_E_NS1_11comp_targetILNS1_3genE10ELNS1_11target_archE1200ELNS1_3gpuE4ELNS1_3repE0EEENS1_30default_config_static_selectorELNS0_4arch9wavefront6targetE0EEEvS12_.num_agpr, 0
	.set _ZN7rocprim17ROCPRIM_400000_NS6detail17trampoline_kernelINS0_13select_configILj256ELj13ELNS0_17block_load_methodE3ELS4_3ELS4_3ELNS0_20block_scan_algorithmE0ELj4294967295EEENS1_25partition_config_selectorILNS1_17partition_subalgoE4EjNS0_10empty_typeEbEEZZNS1_14partition_implILS8_4ELb0ES6_15HIP_vector_typeIjLj2EENS0_17counting_iteratorIjlEEPS9_SG_NS0_5tupleIJPjSI_NS0_16reverse_iteratorISI_EEEEENSH_IJSG_SG_SG_EEES9_SI_JZNS1_25segmented_radix_sort_implINS0_14default_configELb0EPKaPaPKlPlN2at6native12_GLOBAL__N_18offset_tEEE10hipError_tPvRmT1_PNSt15iterator_traitsIS12_E10value_typeET2_T3_PNS13_IS18_E10value_typeET4_jRbjT5_S1E_jjP12ihipStream_tbEUljE_ZNSN_ISO_Lb0ESQ_SR_ST_SU_SY_EESZ_S10_S11_S12_S16_S17_S18_S1B_S1C_jS1D_jS1E_S1E_jjS1G_bEUljE0_EEESZ_S10_S11_S18_S1C_S1E_T6_T7_T9_mT8_S1G_bDpT10_ENKUlT_T0_E_clISt17integral_constantIbLb1EES1U_EEDaS1P_S1Q_EUlS1P_E_NS1_11comp_targetILNS1_3genE10ELNS1_11target_archE1200ELNS1_3gpuE4ELNS1_3repE0EEENS1_30default_config_static_selectorELNS0_4arch9wavefront6targetE0EEEvS12_.numbered_sgpr, 0
	.set _ZN7rocprim17ROCPRIM_400000_NS6detail17trampoline_kernelINS0_13select_configILj256ELj13ELNS0_17block_load_methodE3ELS4_3ELS4_3ELNS0_20block_scan_algorithmE0ELj4294967295EEENS1_25partition_config_selectorILNS1_17partition_subalgoE4EjNS0_10empty_typeEbEEZZNS1_14partition_implILS8_4ELb0ES6_15HIP_vector_typeIjLj2EENS0_17counting_iteratorIjlEEPS9_SG_NS0_5tupleIJPjSI_NS0_16reverse_iteratorISI_EEEEENSH_IJSG_SG_SG_EEES9_SI_JZNS1_25segmented_radix_sort_implINS0_14default_configELb0EPKaPaPKlPlN2at6native12_GLOBAL__N_18offset_tEEE10hipError_tPvRmT1_PNSt15iterator_traitsIS12_E10value_typeET2_T3_PNS13_IS18_E10value_typeET4_jRbjT5_S1E_jjP12ihipStream_tbEUljE_ZNSN_ISO_Lb0ESQ_SR_ST_SU_SY_EESZ_S10_S11_S12_S16_S17_S18_S1B_S1C_jS1D_jS1E_S1E_jjS1G_bEUljE0_EEESZ_S10_S11_S18_S1C_S1E_T6_T7_T9_mT8_S1G_bDpT10_ENKUlT_T0_E_clISt17integral_constantIbLb1EES1U_EEDaS1P_S1Q_EUlS1P_E_NS1_11comp_targetILNS1_3genE10ELNS1_11target_archE1200ELNS1_3gpuE4ELNS1_3repE0EEENS1_30default_config_static_selectorELNS0_4arch9wavefront6targetE0EEEvS12_.num_named_barrier, 0
	.set _ZN7rocprim17ROCPRIM_400000_NS6detail17trampoline_kernelINS0_13select_configILj256ELj13ELNS0_17block_load_methodE3ELS4_3ELS4_3ELNS0_20block_scan_algorithmE0ELj4294967295EEENS1_25partition_config_selectorILNS1_17partition_subalgoE4EjNS0_10empty_typeEbEEZZNS1_14partition_implILS8_4ELb0ES6_15HIP_vector_typeIjLj2EENS0_17counting_iteratorIjlEEPS9_SG_NS0_5tupleIJPjSI_NS0_16reverse_iteratorISI_EEEEENSH_IJSG_SG_SG_EEES9_SI_JZNS1_25segmented_radix_sort_implINS0_14default_configELb0EPKaPaPKlPlN2at6native12_GLOBAL__N_18offset_tEEE10hipError_tPvRmT1_PNSt15iterator_traitsIS12_E10value_typeET2_T3_PNS13_IS18_E10value_typeET4_jRbjT5_S1E_jjP12ihipStream_tbEUljE_ZNSN_ISO_Lb0ESQ_SR_ST_SU_SY_EESZ_S10_S11_S12_S16_S17_S18_S1B_S1C_jS1D_jS1E_S1E_jjS1G_bEUljE0_EEESZ_S10_S11_S18_S1C_S1E_T6_T7_T9_mT8_S1G_bDpT10_ENKUlT_T0_E_clISt17integral_constantIbLb1EES1U_EEDaS1P_S1Q_EUlS1P_E_NS1_11comp_targetILNS1_3genE10ELNS1_11target_archE1200ELNS1_3gpuE4ELNS1_3repE0EEENS1_30default_config_static_selectorELNS0_4arch9wavefront6targetE0EEEvS12_.private_seg_size, 0
	.set _ZN7rocprim17ROCPRIM_400000_NS6detail17trampoline_kernelINS0_13select_configILj256ELj13ELNS0_17block_load_methodE3ELS4_3ELS4_3ELNS0_20block_scan_algorithmE0ELj4294967295EEENS1_25partition_config_selectorILNS1_17partition_subalgoE4EjNS0_10empty_typeEbEEZZNS1_14partition_implILS8_4ELb0ES6_15HIP_vector_typeIjLj2EENS0_17counting_iteratorIjlEEPS9_SG_NS0_5tupleIJPjSI_NS0_16reverse_iteratorISI_EEEEENSH_IJSG_SG_SG_EEES9_SI_JZNS1_25segmented_radix_sort_implINS0_14default_configELb0EPKaPaPKlPlN2at6native12_GLOBAL__N_18offset_tEEE10hipError_tPvRmT1_PNSt15iterator_traitsIS12_E10value_typeET2_T3_PNS13_IS18_E10value_typeET4_jRbjT5_S1E_jjP12ihipStream_tbEUljE_ZNSN_ISO_Lb0ESQ_SR_ST_SU_SY_EESZ_S10_S11_S12_S16_S17_S18_S1B_S1C_jS1D_jS1E_S1E_jjS1G_bEUljE0_EEESZ_S10_S11_S18_S1C_S1E_T6_T7_T9_mT8_S1G_bDpT10_ENKUlT_T0_E_clISt17integral_constantIbLb1EES1U_EEDaS1P_S1Q_EUlS1P_E_NS1_11comp_targetILNS1_3genE10ELNS1_11target_archE1200ELNS1_3gpuE4ELNS1_3repE0EEENS1_30default_config_static_selectorELNS0_4arch9wavefront6targetE0EEEvS12_.uses_vcc, 0
	.set _ZN7rocprim17ROCPRIM_400000_NS6detail17trampoline_kernelINS0_13select_configILj256ELj13ELNS0_17block_load_methodE3ELS4_3ELS4_3ELNS0_20block_scan_algorithmE0ELj4294967295EEENS1_25partition_config_selectorILNS1_17partition_subalgoE4EjNS0_10empty_typeEbEEZZNS1_14partition_implILS8_4ELb0ES6_15HIP_vector_typeIjLj2EENS0_17counting_iteratorIjlEEPS9_SG_NS0_5tupleIJPjSI_NS0_16reverse_iteratorISI_EEEEENSH_IJSG_SG_SG_EEES9_SI_JZNS1_25segmented_radix_sort_implINS0_14default_configELb0EPKaPaPKlPlN2at6native12_GLOBAL__N_18offset_tEEE10hipError_tPvRmT1_PNSt15iterator_traitsIS12_E10value_typeET2_T3_PNS13_IS18_E10value_typeET4_jRbjT5_S1E_jjP12ihipStream_tbEUljE_ZNSN_ISO_Lb0ESQ_SR_ST_SU_SY_EESZ_S10_S11_S12_S16_S17_S18_S1B_S1C_jS1D_jS1E_S1E_jjS1G_bEUljE0_EEESZ_S10_S11_S18_S1C_S1E_T6_T7_T9_mT8_S1G_bDpT10_ENKUlT_T0_E_clISt17integral_constantIbLb1EES1U_EEDaS1P_S1Q_EUlS1P_E_NS1_11comp_targetILNS1_3genE10ELNS1_11target_archE1200ELNS1_3gpuE4ELNS1_3repE0EEENS1_30default_config_static_selectorELNS0_4arch9wavefront6targetE0EEEvS12_.uses_flat_scratch, 0
	.set _ZN7rocprim17ROCPRIM_400000_NS6detail17trampoline_kernelINS0_13select_configILj256ELj13ELNS0_17block_load_methodE3ELS4_3ELS4_3ELNS0_20block_scan_algorithmE0ELj4294967295EEENS1_25partition_config_selectorILNS1_17partition_subalgoE4EjNS0_10empty_typeEbEEZZNS1_14partition_implILS8_4ELb0ES6_15HIP_vector_typeIjLj2EENS0_17counting_iteratorIjlEEPS9_SG_NS0_5tupleIJPjSI_NS0_16reverse_iteratorISI_EEEEENSH_IJSG_SG_SG_EEES9_SI_JZNS1_25segmented_radix_sort_implINS0_14default_configELb0EPKaPaPKlPlN2at6native12_GLOBAL__N_18offset_tEEE10hipError_tPvRmT1_PNSt15iterator_traitsIS12_E10value_typeET2_T3_PNS13_IS18_E10value_typeET4_jRbjT5_S1E_jjP12ihipStream_tbEUljE_ZNSN_ISO_Lb0ESQ_SR_ST_SU_SY_EESZ_S10_S11_S12_S16_S17_S18_S1B_S1C_jS1D_jS1E_S1E_jjS1G_bEUljE0_EEESZ_S10_S11_S18_S1C_S1E_T6_T7_T9_mT8_S1G_bDpT10_ENKUlT_T0_E_clISt17integral_constantIbLb1EES1U_EEDaS1P_S1Q_EUlS1P_E_NS1_11comp_targetILNS1_3genE10ELNS1_11target_archE1200ELNS1_3gpuE4ELNS1_3repE0EEENS1_30default_config_static_selectorELNS0_4arch9wavefront6targetE0EEEvS12_.has_dyn_sized_stack, 0
	.set _ZN7rocprim17ROCPRIM_400000_NS6detail17trampoline_kernelINS0_13select_configILj256ELj13ELNS0_17block_load_methodE3ELS4_3ELS4_3ELNS0_20block_scan_algorithmE0ELj4294967295EEENS1_25partition_config_selectorILNS1_17partition_subalgoE4EjNS0_10empty_typeEbEEZZNS1_14partition_implILS8_4ELb0ES6_15HIP_vector_typeIjLj2EENS0_17counting_iteratorIjlEEPS9_SG_NS0_5tupleIJPjSI_NS0_16reverse_iteratorISI_EEEEENSH_IJSG_SG_SG_EEES9_SI_JZNS1_25segmented_radix_sort_implINS0_14default_configELb0EPKaPaPKlPlN2at6native12_GLOBAL__N_18offset_tEEE10hipError_tPvRmT1_PNSt15iterator_traitsIS12_E10value_typeET2_T3_PNS13_IS18_E10value_typeET4_jRbjT5_S1E_jjP12ihipStream_tbEUljE_ZNSN_ISO_Lb0ESQ_SR_ST_SU_SY_EESZ_S10_S11_S12_S16_S17_S18_S1B_S1C_jS1D_jS1E_S1E_jjS1G_bEUljE0_EEESZ_S10_S11_S18_S1C_S1E_T6_T7_T9_mT8_S1G_bDpT10_ENKUlT_T0_E_clISt17integral_constantIbLb1EES1U_EEDaS1P_S1Q_EUlS1P_E_NS1_11comp_targetILNS1_3genE10ELNS1_11target_archE1200ELNS1_3gpuE4ELNS1_3repE0EEENS1_30default_config_static_selectorELNS0_4arch9wavefront6targetE0EEEvS12_.has_recursion, 0
	.set _ZN7rocprim17ROCPRIM_400000_NS6detail17trampoline_kernelINS0_13select_configILj256ELj13ELNS0_17block_load_methodE3ELS4_3ELS4_3ELNS0_20block_scan_algorithmE0ELj4294967295EEENS1_25partition_config_selectorILNS1_17partition_subalgoE4EjNS0_10empty_typeEbEEZZNS1_14partition_implILS8_4ELb0ES6_15HIP_vector_typeIjLj2EENS0_17counting_iteratorIjlEEPS9_SG_NS0_5tupleIJPjSI_NS0_16reverse_iteratorISI_EEEEENSH_IJSG_SG_SG_EEES9_SI_JZNS1_25segmented_radix_sort_implINS0_14default_configELb0EPKaPaPKlPlN2at6native12_GLOBAL__N_18offset_tEEE10hipError_tPvRmT1_PNSt15iterator_traitsIS12_E10value_typeET2_T3_PNS13_IS18_E10value_typeET4_jRbjT5_S1E_jjP12ihipStream_tbEUljE_ZNSN_ISO_Lb0ESQ_SR_ST_SU_SY_EESZ_S10_S11_S12_S16_S17_S18_S1B_S1C_jS1D_jS1E_S1E_jjS1G_bEUljE0_EEESZ_S10_S11_S18_S1C_S1E_T6_T7_T9_mT8_S1G_bDpT10_ENKUlT_T0_E_clISt17integral_constantIbLb1EES1U_EEDaS1P_S1Q_EUlS1P_E_NS1_11comp_targetILNS1_3genE10ELNS1_11target_archE1200ELNS1_3gpuE4ELNS1_3repE0EEENS1_30default_config_static_selectorELNS0_4arch9wavefront6targetE0EEEvS12_.has_indirect_call, 0
	.section	.AMDGPU.csdata,"",@progbits
; Kernel info:
; codeLenInByte = 4
; TotalNumSgprs: 0
; NumVgprs: 0
; ScratchSize: 0
; MemoryBound: 0
; FloatMode: 240
; IeeeMode: 1
; LDSByteSize: 0 bytes/workgroup (compile time only)
; SGPRBlocks: 0
; VGPRBlocks: 0
; NumSGPRsForWavesPerEU: 1
; NumVGPRsForWavesPerEU: 1
; Occupancy: 16
; WaveLimiterHint : 0
; COMPUTE_PGM_RSRC2:SCRATCH_EN: 0
; COMPUTE_PGM_RSRC2:USER_SGPR: 2
; COMPUTE_PGM_RSRC2:TRAP_HANDLER: 0
; COMPUTE_PGM_RSRC2:TGID_X_EN: 1
; COMPUTE_PGM_RSRC2:TGID_Y_EN: 0
; COMPUTE_PGM_RSRC2:TGID_Z_EN: 0
; COMPUTE_PGM_RSRC2:TIDIG_COMP_CNT: 0
	.section	.text._ZN7rocprim17ROCPRIM_400000_NS6detail17trampoline_kernelINS0_13select_configILj256ELj13ELNS0_17block_load_methodE3ELS4_3ELS4_3ELNS0_20block_scan_algorithmE0ELj4294967295EEENS1_25partition_config_selectorILNS1_17partition_subalgoE4EjNS0_10empty_typeEbEEZZNS1_14partition_implILS8_4ELb0ES6_15HIP_vector_typeIjLj2EENS0_17counting_iteratorIjlEEPS9_SG_NS0_5tupleIJPjSI_NS0_16reverse_iteratorISI_EEEEENSH_IJSG_SG_SG_EEES9_SI_JZNS1_25segmented_radix_sort_implINS0_14default_configELb0EPKaPaPKlPlN2at6native12_GLOBAL__N_18offset_tEEE10hipError_tPvRmT1_PNSt15iterator_traitsIS12_E10value_typeET2_T3_PNS13_IS18_E10value_typeET4_jRbjT5_S1E_jjP12ihipStream_tbEUljE_ZNSN_ISO_Lb0ESQ_SR_ST_SU_SY_EESZ_S10_S11_S12_S16_S17_S18_S1B_S1C_jS1D_jS1E_S1E_jjS1G_bEUljE0_EEESZ_S10_S11_S18_S1C_S1E_T6_T7_T9_mT8_S1G_bDpT10_ENKUlT_T0_E_clISt17integral_constantIbLb1EES1U_EEDaS1P_S1Q_EUlS1P_E_NS1_11comp_targetILNS1_3genE9ELNS1_11target_archE1100ELNS1_3gpuE3ELNS1_3repE0EEENS1_30default_config_static_selectorELNS0_4arch9wavefront6targetE0EEEvS12_,"axG",@progbits,_ZN7rocprim17ROCPRIM_400000_NS6detail17trampoline_kernelINS0_13select_configILj256ELj13ELNS0_17block_load_methodE3ELS4_3ELS4_3ELNS0_20block_scan_algorithmE0ELj4294967295EEENS1_25partition_config_selectorILNS1_17partition_subalgoE4EjNS0_10empty_typeEbEEZZNS1_14partition_implILS8_4ELb0ES6_15HIP_vector_typeIjLj2EENS0_17counting_iteratorIjlEEPS9_SG_NS0_5tupleIJPjSI_NS0_16reverse_iteratorISI_EEEEENSH_IJSG_SG_SG_EEES9_SI_JZNS1_25segmented_radix_sort_implINS0_14default_configELb0EPKaPaPKlPlN2at6native12_GLOBAL__N_18offset_tEEE10hipError_tPvRmT1_PNSt15iterator_traitsIS12_E10value_typeET2_T3_PNS13_IS18_E10value_typeET4_jRbjT5_S1E_jjP12ihipStream_tbEUljE_ZNSN_ISO_Lb0ESQ_SR_ST_SU_SY_EESZ_S10_S11_S12_S16_S17_S18_S1B_S1C_jS1D_jS1E_S1E_jjS1G_bEUljE0_EEESZ_S10_S11_S18_S1C_S1E_T6_T7_T9_mT8_S1G_bDpT10_ENKUlT_T0_E_clISt17integral_constantIbLb1EES1U_EEDaS1P_S1Q_EUlS1P_E_NS1_11comp_targetILNS1_3genE9ELNS1_11target_archE1100ELNS1_3gpuE3ELNS1_3repE0EEENS1_30default_config_static_selectorELNS0_4arch9wavefront6targetE0EEEvS12_,comdat
	.globl	_ZN7rocprim17ROCPRIM_400000_NS6detail17trampoline_kernelINS0_13select_configILj256ELj13ELNS0_17block_load_methodE3ELS4_3ELS4_3ELNS0_20block_scan_algorithmE0ELj4294967295EEENS1_25partition_config_selectorILNS1_17partition_subalgoE4EjNS0_10empty_typeEbEEZZNS1_14partition_implILS8_4ELb0ES6_15HIP_vector_typeIjLj2EENS0_17counting_iteratorIjlEEPS9_SG_NS0_5tupleIJPjSI_NS0_16reverse_iteratorISI_EEEEENSH_IJSG_SG_SG_EEES9_SI_JZNS1_25segmented_radix_sort_implINS0_14default_configELb0EPKaPaPKlPlN2at6native12_GLOBAL__N_18offset_tEEE10hipError_tPvRmT1_PNSt15iterator_traitsIS12_E10value_typeET2_T3_PNS13_IS18_E10value_typeET4_jRbjT5_S1E_jjP12ihipStream_tbEUljE_ZNSN_ISO_Lb0ESQ_SR_ST_SU_SY_EESZ_S10_S11_S12_S16_S17_S18_S1B_S1C_jS1D_jS1E_S1E_jjS1G_bEUljE0_EEESZ_S10_S11_S18_S1C_S1E_T6_T7_T9_mT8_S1G_bDpT10_ENKUlT_T0_E_clISt17integral_constantIbLb1EES1U_EEDaS1P_S1Q_EUlS1P_E_NS1_11comp_targetILNS1_3genE9ELNS1_11target_archE1100ELNS1_3gpuE3ELNS1_3repE0EEENS1_30default_config_static_selectorELNS0_4arch9wavefront6targetE0EEEvS12_ ; -- Begin function _ZN7rocprim17ROCPRIM_400000_NS6detail17trampoline_kernelINS0_13select_configILj256ELj13ELNS0_17block_load_methodE3ELS4_3ELS4_3ELNS0_20block_scan_algorithmE0ELj4294967295EEENS1_25partition_config_selectorILNS1_17partition_subalgoE4EjNS0_10empty_typeEbEEZZNS1_14partition_implILS8_4ELb0ES6_15HIP_vector_typeIjLj2EENS0_17counting_iteratorIjlEEPS9_SG_NS0_5tupleIJPjSI_NS0_16reverse_iteratorISI_EEEEENSH_IJSG_SG_SG_EEES9_SI_JZNS1_25segmented_radix_sort_implINS0_14default_configELb0EPKaPaPKlPlN2at6native12_GLOBAL__N_18offset_tEEE10hipError_tPvRmT1_PNSt15iterator_traitsIS12_E10value_typeET2_T3_PNS13_IS18_E10value_typeET4_jRbjT5_S1E_jjP12ihipStream_tbEUljE_ZNSN_ISO_Lb0ESQ_SR_ST_SU_SY_EESZ_S10_S11_S12_S16_S17_S18_S1B_S1C_jS1D_jS1E_S1E_jjS1G_bEUljE0_EEESZ_S10_S11_S18_S1C_S1E_T6_T7_T9_mT8_S1G_bDpT10_ENKUlT_T0_E_clISt17integral_constantIbLb1EES1U_EEDaS1P_S1Q_EUlS1P_E_NS1_11comp_targetILNS1_3genE9ELNS1_11target_archE1100ELNS1_3gpuE3ELNS1_3repE0EEENS1_30default_config_static_selectorELNS0_4arch9wavefront6targetE0EEEvS12_
	.p2align	8
	.type	_ZN7rocprim17ROCPRIM_400000_NS6detail17trampoline_kernelINS0_13select_configILj256ELj13ELNS0_17block_load_methodE3ELS4_3ELS4_3ELNS0_20block_scan_algorithmE0ELj4294967295EEENS1_25partition_config_selectorILNS1_17partition_subalgoE4EjNS0_10empty_typeEbEEZZNS1_14partition_implILS8_4ELb0ES6_15HIP_vector_typeIjLj2EENS0_17counting_iteratorIjlEEPS9_SG_NS0_5tupleIJPjSI_NS0_16reverse_iteratorISI_EEEEENSH_IJSG_SG_SG_EEES9_SI_JZNS1_25segmented_radix_sort_implINS0_14default_configELb0EPKaPaPKlPlN2at6native12_GLOBAL__N_18offset_tEEE10hipError_tPvRmT1_PNSt15iterator_traitsIS12_E10value_typeET2_T3_PNS13_IS18_E10value_typeET4_jRbjT5_S1E_jjP12ihipStream_tbEUljE_ZNSN_ISO_Lb0ESQ_SR_ST_SU_SY_EESZ_S10_S11_S12_S16_S17_S18_S1B_S1C_jS1D_jS1E_S1E_jjS1G_bEUljE0_EEESZ_S10_S11_S18_S1C_S1E_T6_T7_T9_mT8_S1G_bDpT10_ENKUlT_T0_E_clISt17integral_constantIbLb1EES1U_EEDaS1P_S1Q_EUlS1P_E_NS1_11comp_targetILNS1_3genE9ELNS1_11target_archE1100ELNS1_3gpuE3ELNS1_3repE0EEENS1_30default_config_static_selectorELNS0_4arch9wavefront6targetE0EEEvS12_,@function
_ZN7rocprim17ROCPRIM_400000_NS6detail17trampoline_kernelINS0_13select_configILj256ELj13ELNS0_17block_load_methodE3ELS4_3ELS4_3ELNS0_20block_scan_algorithmE0ELj4294967295EEENS1_25partition_config_selectorILNS1_17partition_subalgoE4EjNS0_10empty_typeEbEEZZNS1_14partition_implILS8_4ELb0ES6_15HIP_vector_typeIjLj2EENS0_17counting_iteratorIjlEEPS9_SG_NS0_5tupleIJPjSI_NS0_16reverse_iteratorISI_EEEEENSH_IJSG_SG_SG_EEES9_SI_JZNS1_25segmented_radix_sort_implINS0_14default_configELb0EPKaPaPKlPlN2at6native12_GLOBAL__N_18offset_tEEE10hipError_tPvRmT1_PNSt15iterator_traitsIS12_E10value_typeET2_T3_PNS13_IS18_E10value_typeET4_jRbjT5_S1E_jjP12ihipStream_tbEUljE_ZNSN_ISO_Lb0ESQ_SR_ST_SU_SY_EESZ_S10_S11_S12_S16_S17_S18_S1B_S1C_jS1D_jS1E_S1E_jjS1G_bEUljE0_EEESZ_S10_S11_S18_S1C_S1E_T6_T7_T9_mT8_S1G_bDpT10_ENKUlT_T0_E_clISt17integral_constantIbLb1EES1U_EEDaS1P_S1Q_EUlS1P_E_NS1_11comp_targetILNS1_3genE9ELNS1_11target_archE1100ELNS1_3gpuE3ELNS1_3repE0EEENS1_30default_config_static_selectorELNS0_4arch9wavefront6targetE0EEEvS12_: ; @_ZN7rocprim17ROCPRIM_400000_NS6detail17trampoline_kernelINS0_13select_configILj256ELj13ELNS0_17block_load_methodE3ELS4_3ELS4_3ELNS0_20block_scan_algorithmE0ELj4294967295EEENS1_25partition_config_selectorILNS1_17partition_subalgoE4EjNS0_10empty_typeEbEEZZNS1_14partition_implILS8_4ELb0ES6_15HIP_vector_typeIjLj2EENS0_17counting_iteratorIjlEEPS9_SG_NS0_5tupleIJPjSI_NS0_16reverse_iteratorISI_EEEEENSH_IJSG_SG_SG_EEES9_SI_JZNS1_25segmented_radix_sort_implINS0_14default_configELb0EPKaPaPKlPlN2at6native12_GLOBAL__N_18offset_tEEE10hipError_tPvRmT1_PNSt15iterator_traitsIS12_E10value_typeET2_T3_PNS13_IS18_E10value_typeET4_jRbjT5_S1E_jjP12ihipStream_tbEUljE_ZNSN_ISO_Lb0ESQ_SR_ST_SU_SY_EESZ_S10_S11_S12_S16_S17_S18_S1B_S1C_jS1D_jS1E_S1E_jjS1G_bEUljE0_EEESZ_S10_S11_S18_S1C_S1E_T6_T7_T9_mT8_S1G_bDpT10_ENKUlT_T0_E_clISt17integral_constantIbLb1EES1U_EEDaS1P_S1Q_EUlS1P_E_NS1_11comp_targetILNS1_3genE9ELNS1_11target_archE1100ELNS1_3gpuE3ELNS1_3repE0EEENS1_30default_config_static_selectorELNS0_4arch9wavefront6targetE0EEEvS12_
; %bb.0:
	.section	.rodata,"a",@progbits
	.p2align	6, 0x0
	.amdhsa_kernel _ZN7rocprim17ROCPRIM_400000_NS6detail17trampoline_kernelINS0_13select_configILj256ELj13ELNS0_17block_load_methodE3ELS4_3ELS4_3ELNS0_20block_scan_algorithmE0ELj4294967295EEENS1_25partition_config_selectorILNS1_17partition_subalgoE4EjNS0_10empty_typeEbEEZZNS1_14partition_implILS8_4ELb0ES6_15HIP_vector_typeIjLj2EENS0_17counting_iteratorIjlEEPS9_SG_NS0_5tupleIJPjSI_NS0_16reverse_iteratorISI_EEEEENSH_IJSG_SG_SG_EEES9_SI_JZNS1_25segmented_radix_sort_implINS0_14default_configELb0EPKaPaPKlPlN2at6native12_GLOBAL__N_18offset_tEEE10hipError_tPvRmT1_PNSt15iterator_traitsIS12_E10value_typeET2_T3_PNS13_IS18_E10value_typeET4_jRbjT5_S1E_jjP12ihipStream_tbEUljE_ZNSN_ISO_Lb0ESQ_SR_ST_SU_SY_EESZ_S10_S11_S12_S16_S17_S18_S1B_S1C_jS1D_jS1E_S1E_jjS1G_bEUljE0_EEESZ_S10_S11_S18_S1C_S1E_T6_T7_T9_mT8_S1G_bDpT10_ENKUlT_T0_E_clISt17integral_constantIbLb1EES1U_EEDaS1P_S1Q_EUlS1P_E_NS1_11comp_targetILNS1_3genE9ELNS1_11target_archE1100ELNS1_3gpuE3ELNS1_3repE0EEENS1_30default_config_static_selectorELNS0_4arch9wavefront6targetE0EEEvS12_
		.amdhsa_group_segment_fixed_size 0
		.amdhsa_private_segment_fixed_size 0
		.amdhsa_kernarg_size 184
		.amdhsa_user_sgpr_count 2
		.amdhsa_user_sgpr_dispatch_ptr 0
		.amdhsa_user_sgpr_queue_ptr 0
		.amdhsa_user_sgpr_kernarg_segment_ptr 1
		.amdhsa_user_sgpr_dispatch_id 0
		.amdhsa_user_sgpr_private_segment_size 0
		.amdhsa_wavefront_size32 1
		.amdhsa_uses_dynamic_stack 0
		.amdhsa_enable_private_segment 0
		.amdhsa_system_sgpr_workgroup_id_x 1
		.amdhsa_system_sgpr_workgroup_id_y 0
		.amdhsa_system_sgpr_workgroup_id_z 0
		.amdhsa_system_sgpr_workgroup_info 0
		.amdhsa_system_vgpr_workitem_id 0
		.amdhsa_next_free_vgpr 1
		.amdhsa_next_free_sgpr 1
		.amdhsa_reserve_vcc 0
		.amdhsa_float_round_mode_32 0
		.amdhsa_float_round_mode_16_64 0
		.amdhsa_float_denorm_mode_32 3
		.amdhsa_float_denorm_mode_16_64 3
		.amdhsa_fp16_overflow 0
		.amdhsa_workgroup_processor_mode 1
		.amdhsa_memory_ordered 1
		.amdhsa_forward_progress 1
		.amdhsa_inst_pref_size 0
		.amdhsa_round_robin_scheduling 0
		.amdhsa_exception_fp_ieee_invalid_op 0
		.amdhsa_exception_fp_denorm_src 0
		.amdhsa_exception_fp_ieee_div_zero 0
		.amdhsa_exception_fp_ieee_overflow 0
		.amdhsa_exception_fp_ieee_underflow 0
		.amdhsa_exception_fp_ieee_inexact 0
		.amdhsa_exception_int_div_zero 0
	.end_amdhsa_kernel
	.section	.text._ZN7rocprim17ROCPRIM_400000_NS6detail17trampoline_kernelINS0_13select_configILj256ELj13ELNS0_17block_load_methodE3ELS4_3ELS4_3ELNS0_20block_scan_algorithmE0ELj4294967295EEENS1_25partition_config_selectorILNS1_17partition_subalgoE4EjNS0_10empty_typeEbEEZZNS1_14partition_implILS8_4ELb0ES6_15HIP_vector_typeIjLj2EENS0_17counting_iteratorIjlEEPS9_SG_NS0_5tupleIJPjSI_NS0_16reverse_iteratorISI_EEEEENSH_IJSG_SG_SG_EEES9_SI_JZNS1_25segmented_radix_sort_implINS0_14default_configELb0EPKaPaPKlPlN2at6native12_GLOBAL__N_18offset_tEEE10hipError_tPvRmT1_PNSt15iterator_traitsIS12_E10value_typeET2_T3_PNS13_IS18_E10value_typeET4_jRbjT5_S1E_jjP12ihipStream_tbEUljE_ZNSN_ISO_Lb0ESQ_SR_ST_SU_SY_EESZ_S10_S11_S12_S16_S17_S18_S1B_S1C_jS1D_jS1E_S1E_jjS1G_bEUljE0_EEESZ_S10_S11_S18_S1C_S1E_T6_T7_T9_mT8_S1G_bDpT10_ENKUlT_T0_E_clISt17integral_constantIbLb1EES1U_EEDaS1P_S1Q_EUlS1P_E_NS1_11comp_targetILNS1_3genE9ELNS1_11target_archE1100ELNS1_3gpuE3ELNS1_3repE0EEENS1_30default_config_static_selectorELNS0_4arch9wavefront6targetE0EEEvS12_,"axG",@progbits,_ZN7rocprim17ROCPRIM_400000_NS6detail17trampoline_kernelINS0_13select_configILj256ELj13ELNS0_17block_load_methodE3ELS4_3ELS4_3ELNS0_20block_scan_algorithmE0ELj4294967295EEENS1_25partition_config_selectorILNS1_17partition_subalgoE4EjNS0_10empty_typeEbEEZZNS1_14partition_implILS8_4ELb0ES6_15HIP_vector_typeIjLj2EENS0_17counting_iteratorIjlEEPS9_SG_NS0_5tupleIJPjSI_NS0_16reverse_iteratorISI_EEEEENSH_IJSG_SG_SG_EEES9_SI_JZNS1_25segmented_radix_sort_implINS0_14default_configELb0EPKaPaPKlPlN2at6native12_GLOBAL__N_18offset_tEEE10hipError_tPvRmT1_PNSt15iterator_traitsIS12_E10value_typeET2_T3_PNS13_IS18_E10value_typeET4_jRbjT5_S1E_jjP12ihipStream_tbEUljE_ZNSN_ISO_Lb0ESQ_SR_ST_SU_SY_EESZ_S10_S11_S12_S16_S17_S18_S1B_S1C_jS1D_jS1E_S1E_jjS1G_bEUljE0_EEESZ_S10_S11_S18_S1C_S1E_T6_T7_T9_mT8_S1G_bDpT10_ENKUlT_T0_E_clISt17integral_constantIbLb1EES1U_EEDaS1P_S1Q_EUlS1P_E_NS1_11comp_targetILNS1_3genE9ELNS1_11target_archE1100ELNS1_3gpuE3ELNS1_3repE0EEENS1_30default_config_static_selectorELNS0_4arch9wavefront6targetE0EEEvS12_,comdat
.Lfunc_end343:
	.size	_ZN7rocprim17ROCPRIM_400000_NS6detail17trampoline_kernelINS0_13select_configILj256ELj13ELNS0_17block_load_methodE3ELS4_3ELS4_3ELNS0_20block_scan_algorithmE0ELj4294967295EEENS1_25partition_config_selectorILNS1_17partition_subalgoE4EjNS0_10empty_typeEbEEZZNS1_14partition_implILS8_4ELb0ES6_15HIP_vector_typeIjLj2EENS0_17counting_iteratorIjlEEPS9_SG_NS0_5tupleIJPjSI_NS0_16reverse_iteratorISI_EEEEENSH_IJSG_SG_SG_EEES9_SI_JZNS1_25segmented_radix_sort_implINS0_14default_configELb0EPKaPaPKlPlN2at6native12_GLOBAL__N_18offset_tEEE10hipError_tPvRmT1_PNSt15iterator_traitsIS12_E10value_typeET2_T3_PNS13_IS18_E10value_typeET4_jRbjT5_S1E_jjP12ihipStream_tbEUljE_ZNSN_ISO_Lb0ESQ_SR_ST_SU_SY_EESZ_S10_S11_S12_S16_S17_S18_S1B_S1C_jS1D_jS1E_S1E_jjS1G_bEUljE0_EEESZ_S10_S11_S18_S1C_S1E_T6_T7_T9_mT8_S1G_bDpT10_ENKUlT_T0_E_clISt17integral_constantIbLb1EES1U_EEDaS1P_S1Q_EUlS1P_E_NS1_11comp_targetILNS1_3genE9ELNS1_11target_archE1100ELNS1_3gpuE3ELNS1_3repE0EEENS1_30default_config_static_selectorELNS0_4arch9wavefront6targetE0EEEvS12_, .Lfunc_end343-_ZN7rocprim17ROCPRIM_400000_NS6detail17trampoline_kernelINS0_13select_configILj256ELj13ELNS0_17block_load_methodE3ELS4_3ELS4_3ELNS0_20block_scan_algorithmE0ELj4294967295EEENS1_25partition_config_selectorILNS1_17partition_subalgoE4EjNS0_10empty_typeEbEEZZNS1_14partition_implILS8_4ELb0ES6_15HIP_vector_typeIjLj2EENS0_17counting_iteratorIjlEEPS9_SG_NS0_5tupleIJPjSI_NS0_16reverse_iteratorISI_EEEEENSH_IJSG_SG_SG_EEES9_SI_JZNS1_25segmented_radix_sort_implINS0_14default_configELb0EPKaPaPKlPlN2at6native12_GLOBAL__N_18offset_tEEE10hipError_tPvRmT1_PNSt15iterator_traitsIS12_E10value_typeET2_T3_PNS13_IS18_E10value_typeET4_jRbjT5_S1E_jjP12ihipStream_tbEUljE_ZNSN_ISO_Lb0ESQ_SR_ST_SU_SY_EESZ_S10_S11_S12_S16_S17_S18_S1B_S1C_jS1D_jS1E_S1E_jjS1G_bEUljE0_EEESZ_S10_S11_S18_S1C_S1E_T6_T7_T9_mT8_S1G_bDpT10_ENKUlT_T0_E_clISt17integral_constantIbLb1EES1U_EEDaS1P_S1Q_EUlS1P_E_NS1_11comp_targetILNS1_3genE9ELNS1_11target_archE1100ELNS1_3gpuE3ELNS1_3repE0EEENS1_30default_config_static_selectorELNS0_4arch9wavefront6targetE0EEEvS12_
                                        ; -- End function
	.set _ZN7rocprim17ROCPRIM_400000_NS6detail17trampoline_kernelINS0_13select_configILj256ELj13ELNS0_17block_load_methodE3ELS4_3ELS4_3ELNS0_20block_scan_algorithmE0ELj4294967295EEENS1_25partition_config_selectorILNS1_17partition_subalgoE4EjNS0_10empty_typeEbEEZZNS1_14partition_implILS8_4ELb0ES6_15HIP_vector_typeIjLj2EENS0_17counting_iteratorIjlEEPS9_SG_NS0_5tupleIJPjSI_NS0_16reverse_iteratorISI_EEEEENSH_IJSG_SG_SG_EEES9_SI_JZNS1_25segmented_radix_sort_implINS0_14default_configELb0EPKaPaPKlPlN2at6native12_GLOBAL__N_18offset_tEEE10hipError_tPvRmT1_PNSt15iterator_traitsIS12_E10value_typeET2_T3_PNS13_IS18_E10value_typeET4_jRbjT5_S1E_jjP12ihipStream_tbEUljE_ZNSN_ISO_Lb0ESQ_SR_ST_SU_SY_EESZ_S10_S11_S12_S16_S17_S18_S1B_S1C_jS1D_jS1E_S1E_jjS1G_bEUljE0_EEESZ_S10_S11_S18_S1C_S1E_T6_T7_T9_mT8_S1G_bDpT10_ENKUlT_T0_E_clISt17integral_constantIbLb1EES1U_EEDaS1P_S1Q_EUlS1P_E_NS1_11comp_targetILNS1_3genE9ELNS1_11target_archE1100ELNS1_3gpuE3ELNS1_3repE0EEENS1_30default_config_static_selectorELNS0_4arch9wavefront6targetE0EEEvS12_.num_vgpr, 0
	.set _ZN7rocprim17ROCPRIM_400000_NS6detail17trampoline_kernelINS0_13select_configILj256ELj13ELNS0_17block_load_methodE3ELS4_3ELS4_3ELNS0_20block_scan_algorithmE0ELj4294967295EEENS1_25partition_config_selectorILNS1_17partition_subalgoE4EjNS0_10empty_typeEbEEZZNS1_14partition_implILS8_4ELb0ES6_15HIP_vector_typeIjLj2EENS0_17counting_iteratorIjlEEPS9_SG_NS0_5tupleIJPjSI_NS0_16reverse_iteratorISI_EEEEENSH_IJSG_SG_SG_EEES9_SI_JZNS1_25segmented_radix_sort_implINS0_14default_configELb0EPKaPaPKlPlN2at6native12_GLOBAL__N_18offset_tEEE10hipError_tPvRmT1_PNSt15iterator_traitsIS12_E10value_typeET2_T3_PNS13_IS18_E10value_typeET4_jRbjT5_S1E_jjP12ihipStream_tbEUljE_ZNSN_ISO_Lb0ESQ_SR_ST_SU_SY_EESZ_S10_S11_S12_S16_S17_S18_S1B_S1C_jS1D_jS1E_S1E_jjS1G_bEUljE0_EEESZ_S10_S11_S18_S1C_S1E_T6_T7_T9_mT8_S1G_bDpT10_ENKUlT_T0_E_clISt17integral_constantIbLb1EES1U_EEDaS1P_S1Q_EUlS1P_E_NS1_11comp_targetILNS1_3genE9ELNS1_11target_archE1100ELNS1_3gpuE3ELNS1_3repE0EEENS1_30default_config_static_selectorELNS0_4arch9wavefront6targetE0EEEvS12_.num_agpr, 0
	.set _ZN7rocprim17ROCPRIM_400000_NS6detail17trampoline_kernelINS0_13select_configILj256ELj13ELNS0_17block_load_methodE3ELS4_3ELS4_3ELNS0_20block_scan_algorithmE0ELj4294967295EEENS1_25partition_config_selectorILNS1_17partition_subalgoE4EjNS0_10empty_typeEbEEZZNS1_14partition_implILS8_4ELb0ES6_15HIP_vector_typeIjLj2EENS0_17counting_iteratorIjlEEPS9_SG_NS0_5tupleIJPjSI_NS0_16reverse_iteratorISI_EEEEENSH_IJSG_SG_SG_EEES9_SI_JZNS1_25segmented_radix_sort_implINS0_14default_configELb0EPKaPaPKlPlN2at6native12_GLOBAL__N_18offset_tEEE10hipError_tPvRmT1_PNSt15iterator_traitsIS12_E10value_typeET2_T3_PNS13_IS18_E10value_typeET4_jRbjT5_S1E_jjP12ihipStream_tbEUljE_ZNSN_ISO_Lb0ESQ_SR_ST_SU_SY_EESZ_S10_S11_S12_S16_S17_S18_S1B_S1C_jS1D_jS1E_S1E_jjS1G_bEUljE0_EEESZ_S10_S11_S18_S1C_S1E_T6_T7_T9_mT8_S1G_bDpT10_ENKUlT_T0_E_clISt17integral_constantIbLb1EES1U_EEDaS1P_S1Q_EUlS1P_E_NS1_11comp_targetILNS1_3genE9ELNS1_11target_archE1100ELNS1_3gpuE3ELNS1_3repE0EEENS1_30default_config_static_selectorELNS0_4arch9wavefront6targetE0EEEvS12_.numbered_sgpr, 0
	.set _ZN7rocprim17ROCPRIM_400000_NS6detail17trampoline_kernelINS0_13select_configILj256ELj13ELNS0_17block_load_methodE3ELS4_3ELS4_3ELNS0_20block_scan_algorithmE0ELj4294967295EEENS1_25partition_config_selectorILNS1_17partition_subalgoE4EjNS0_10empty_typeEbEEZZNS1_14partition_implILS8_4ELb0ES6_15HIP_vector_typeIjLj2EENS0_17counting_iteratorIjlEEPS9_SG_NS0_5tupleIJPjSI_NS0_16reverse_iteratorISI_EEEEENSH_IJSG_SG_SG_EEES9_SI_JZNS1_25segmented_radix_sort_implINS0_14default_configELb0EPKaPaPKlPlN2at6native12_GLOBAL__N_18offset_tEEE10hipError_tPvRmT1_PNSt15iterator_traitsIS12_E10value_typeET2_T3_PNS13_IS18_E10value_typeET4_jRbjT5_S1E_jjP12ihipStream_tbEUljE_ZNSN_ISO_Lb0ESQ_SR_ST_SU_SY_EESZ_S10_S11_S12_S16_S17_S18_S1B_S1C_jS1D_jS1E_S1E_jjS1G_bEUljE0_EEESZ_S10_S11_S18_S1C_S1E_T6_T7_T9_mT8_S1G_bDpT10_ENKUlT_T0_E_clISt17integral_constantIbLb1EES1U_EEDaS1P_S1Q_EUlS1P_E_NS1_11comp_targetILNS1_3genE9ELNS1_11target_archE1100ELNS1_3gpuE3ELNS1_3repE0EEENS1_30default_config_static_selectorELNS0_4arch9wavefront6targetE0EEEvS12_.num_named_barrier, 0
	.set _ZN7rocprim17ROCPRIM_400000_NS6detail17trampoline_kernelINS0_13select_configILj256ELj13ELNS0_17block_load_methodE3ELS4_3ELS4_3ELNS0_20block_scan_algorithmE0ELj4294967295EEENS1_25partition_config_selectorILNS1_17partition_subalgoE4EjNS0_10empty_typeEbEEZZNS1_14partition_implILS8_4ELb0ES6_15HIP_vector_typeIjLj2EENS0_17counting_iteratorIjlEEPS9_SG_NS0_5tupleIJPjSI_NS0_16reverse_iteratorISI_EEEEENSH_IJSG_SG_SG_EEES9_SI_JZNS1_25segmented_radix_sort_implINS0_14default_configELb0EPKaPaPKlPlN2at6native12_GLOBAL__N_18offset_tEEE10hipError_tPvRmT1_PNSt15iterator_traitsIS12_E10value_typeET2_T3_PNS13_IS18_E10value_typeET4_jRbjT5_S1E_jjP12ihipStream_tbEUljE_ZNSN_ISO_Lb0ESQ_SR_ST_SU_SY_EESZ_S10_S11_S12_S16_S17_S18_S1B_S1C_jS1D_jS1E_S1E_jjS1G_bEUljE0_EEESZ_S10_S11_S18_S1C_S1E_T6_T7_T9_mT8_S1G_bDpT10_ENKUlT_T0_E_clISt17integral_constantIbLb1EES1U_EEDaS1P_S1Q_EUlS1P_E_NS1_11comp_targetILNS1_3genE9ELNS1_11target_archE1100ELNS1_3gpuE3ELNS1_3repE0EEENS1_30default_config_static_selectorELNS0_4arch9wavefront6targetE0EEEvS12_.private_seg_size, 0
	.set _ZN7rocprim17ROCPRIM_400000_NS6detail17trampoline_kernelINS0_13select_configILj256ELj13ELNS0_17block_load_methodE3ELS4_3ELS4_3ELNS0_20block_scan_algorithmE0ELj4294967295EEENS1_25partition_config_selectorILNS1_17partition_subalgoE4EjNS0_10empty_typeEbEEZZNS1_14partition_implILS8_4ELb0ES6_15HIP_vector_typeIjLj2EENS0_17counting_iteratorIjlEEPS9_SG_NS0_5tupleIJPjSI_NS0_16reverse_iteratorISI_EEEEENSH_IJSG_SG_SG_EEES9_SI_JZNS1_25segmented_radix_sort_implINS0_14default_configELb0EPKaPaPKlPlN2at6native12_GLOBAL__N_18offset_tEEE10hipError_tPvRmT1_PNSt15iterator_traitsIS12_E10value_typeET2_T3_PNS13_IS18_E10value_typeET4_jRbjT5_S1E_jjP12ihipStream_tbEUljE_ZNSN_ISO_Lb0ESQ_SR_ST_SU_SY_EESZ_S10_S11_S12_S16_S17_S18_S1B_S1C_jS1D_jS1E_S1E_jjS1G_bEUljE0_EEESZ_S10_S11_S18_S1C_S1E_T6_T7_T9_mT8_S1G_bDpT10_ENKUlT_T0_E_clISt17integral_constantIbLb1EES1U_EEDaS1P_S1Q_EUlS1P_E_NS1_11comp_targetILNS1_3genE9ELNS1_11target_archE1100ELNS1_3gpuE3ELNS1_3repE0EEENS1_30default_config_static_selectorELNS0_4arch9wavefront6targetE0EEEvS12_.uses_vcc, 0
	.set _ZN7rocprim17ROCPRIM_400000_NS6detail17trampoline_kernelINS0_13select_configILj256ELj13ELNS0_17block_load_methodE3ELS4_3ELS4_3ELNS0_20block_scan_algorithmE0ELj4294967295EEENS1_25partition_config_selectorILNS1_17partition_subalgoE4EjNS0_10empty_typeEbEEZZNS1_14partition_implILS8_4ELb0ES6_15HIP_vector_typeIjLj2EENS0_17counting_iteratorIjlEEPS9_SG_NS0_5tupleIJPjSI_NS0_16reverse_iteratorISI_EEEEENSH_IJSG_SG_SG_EEES9_SI_JZNS1_25segmented_radix_sort_implINS0_14default_configELb0EPKaPaPKlPlN2at6native12_GLOBAL__N_18offset_tEEE10hipError_tPvRmT1_PNSt15iterator_traitsIS12_E10value_typeET2_T3_PNS13_IS18_E10value_typeET4_jRbjT5_S1E_jjP12ihipStream_tbEUljE_ZNSN_ISO_Lb0ESQ_SR_ST_SU_SY_EESZ_S10_S11_S12_S16_S17_S18_S1B_S1C_jS1D_jS1E_S1E_jjS1G_bEUljE0_EEESZ_S10_S11_S18_S1C_S1E_T6_T7_T9_mT8_S1G_bDpT10_ENKUlT_T0_E_clISt17integral_constantIbLb1EES1U_EEDaS1P_S1Q_EUlS1P_E_NS1_11comp_targetILNS1_3genE9ELNS1_11target_archE1100ELNS1_3gpuE3ELNS1_3repE0EEENS1_30default_config_static_selectorELNS0_4arch9wavefront6targetE0EEEvS12_.uses_flat_scratch, 0
	.set _ZN7rocprim17ROCPRIM_400000_NS6detail17trampoline_kernelINS0_13select_configILj256ELj13ELNS0_17block_load_methodE3ELS4_3ELS4_3ELNS0_20block_scan_algorithmE0ELj4294967295EEENS1_25partition_config_selectorILNS1_17partition_subalgoE4EjNS0_10empty_typeEbEEZZNS1_14partition_implILS8_4ELb0ES6_15HIP_vector_typeIjLj2EENS0_17counting_iteratorIjlEEPS9_SG_NS0_5tupleIJPjSI_NS0_16reverse_iteratorISI_EEEEENSH_IJSG_SG_SG_EEES9_SI_JZNS1_25segmented_radix_sort_implINS0_14default_configELb0EPKaPaPKlPlN2at6native12_GLOBAL__N_18offset_tEEE10hipError_tPvRmT1_PNSt15iterator_traitsIS12_E10value_typeET2_T3_PNS13_IS18_E10value_typeET4_jRbjT5_S1E_jjP12ihipStream_tbEUljE_ZNSN_ISO_Lb0ESQ_SR_ST_SU_SY_EESZ_S10_S11_S12_S16_S17_S18_S1B_S1C_jS1D_jS1E_S1E_jjS1G_bEUljE0_EEESZ_S10_S11_S18_S1C_S1E_T6_T7_T9_mT8_S1G_bDpT10_ENKUlT_T0_E_clISt17integral_constantIbLb1EES1U_EEDaS1P_S1Q_EUlS1P_E_NS1_11comp_targetILNS1_3genE9ELNS1_11target_archE1100ELNS1_3gpuE3ELNS1_3repE0EEENS1_30default_config_static_selectorELNS0_4arch9wavefront6targetE0EEEvS12_.has_dyn_sized_stack, 0
	.set _ZN7rocprim17ROCPRIM_400000_NS6detail17trampoline_kernelINS0_13select_configILj256ELj13ELNS0_17block_load_methodE3ELS4_3ELS4_3ELNS0_20block_scan_algorithmE0ELj4294967295EEENS1_25partition_config_selectorILNS1_17partition_subalgoE4EjNS0_10empty_typeEbEEZZNS1_14partition_implILS8_4ELb0ES6_15HIP_vector_typeIjLj2EENS0_17counting_iteratorIjlEEPS9_SG_NS0_5tupleIJPjSI_NS0_16reverse_iteratorISI_EEEEENSH_IJSG_SG_SG_EEES9_SI_JZNS1_25segmented_radix_sort_implINS0_14default_configELb0EPKaPaPKlPlN2at6native12_GLOBAL__N_18offset_tEEE10hipError_tPvRmT1_PNSt15iterator_traitsIS12_E10value_typeET2_T3_PNS13_IS18_E10value_typeET4_jRbjT5_S1E_jjP12ihipStream_tbEUljE_ZNSN_ISO_Lb0ESQ_SR_ST_SU_SY_EESZ_S10_S11_S12_S16_S17_S18_S1B_S1C_jS1D_jS1E_S1E_jjS1G_bEUljE0_EEESZ_S10_S11_S18_S1C_S1E_T6_T7_T9_mT8_S1G_bDpT10_ENKUlT_T0_E_clISt17integral_constantIbLb1EES1U_EEDaS1P_S1Q_EUlS1P_E_NS1_11comp_targetILNS1_3genE9ELNS1_11target_archE1100ELNS1_3gpuE3ELNS1_3repE0EEENS1_30default_config_static_selectorELNS0_4arch9wavefront6targetE0EEEvS12_.has_recursion, 0
	.set _ZN7rocprim17ROCPRIM_400000_NS6detail17trampoline_kernelINS0_13select_configILj256ELj13ELNS0_17block_load_methodE3ELS4_3ELS4_3ELNS0_20block_scan_algorithmE0ELj4294967295EEENS1_25partition_config_selectorILNS1_17partition_subalgoE4EjNS0_10empty_typeEbEEZZNS1_14partition_implILS8_4ELb0ES6_15HIP_vector_typeIjLj2EENS0_17counting_iteratorIjlEEPS9_SG_NS0_5tupleIJPjSI_NS0_16reverse_iteratorISI_EEEEENSH_IJSG_SG_SG_EEES9_SI_JZNS1_25segmented_radix_sort_implINS0_14default_configELb0EPKaPaPKlPlN2at6native12_GLOBAL__N_18offset_tEEE10hipError_tPvRmT1_PNSt15iterator_traitsIS12_E10value_typeET2_T3_PNS13_IS18_E10value_typeET4_jRbjT5_S1E_jjP12ihipStream_tbEUljE_ZNSN_ISO_Lb0ESQ_SR_ST_SU_SY_EESZ_S10_S11_S12_S16_S17_S18_S1B_S1C_jS1D_jS1E_S1E_jjS1G_bEUljE0_EEESZ_S10_S11_S18_S1C_S1E_T6_T7_T9_mT8_S1G_bDpT10_ENKUlT_T0_E_clISt17integral_constantIbLb1EES1U_EEDaS1P_S1Q_EUlS1P_E_NS1_11comp_targetILNS1_3genE9ELNS1_11target_archE1100ELNS1_3gpuE3ELNS1_3repE0EEENS1_30default_config_static_selectorELNS0_4arch9wavefront6targetE0EEEvS12_.has_indirect_call, 0
	.section	.AMDGPU.csdata,"",@progbits
; Kernel info:
; codeLenInByte = 0
; TotalNumSgprs: 0
; NumVgprs: 0
; ScratchSize: 0
; MemoryBound: 0
; FloatMode: 240
; IeeeMode: 1
; LDSByteSize: 0 bytes/workgroup (compile time only)
; SGPRBlocks: 0
; VGPRBlocks: 0
; NumSGPRsForWavesPerEU: 1
; NumVGPRsForWavesPerEU: 1
; Occupancy: 16
; WaveLimiterHint : 0
; COMPUTE_PGM_RSRC2:SCRATCH_EN: 0
; COMPUTE_PGM_RSRC2:USER_SGPR: 2
; COMPUTE_PGM_RSRC2:TRAP_HANDLER: 0
; COMPUTE_PGM_RSRC2:TGID_X_EN: 1
; COMPUTE_PGM_RSRC2:TGID_Y_EN: 0
; COMPUTE_PGM_RSRC2:TGID_Z_EN: 0
; COMPUTE_PGM_RSRC2:TIDIG_COMP_CNT: 0
	.section	.text._ZN7rocprim17ROCPRIM_400000_NS6detail17trampoline_kernelINS0_13select_configILj256ELj13ELNS0_17block_load_methodE3ELS4_3ELS4_3ELNS0_20block_scan_algorithmE0ELj4294967295EEENS1_25partition_config_selectorILNS1_17partition_subalgoE4EjNS0_10empty_typeEbEEZZNS1_14partition_implILS8_4ELb0ES6_15HIP_vector_typeIjLj2EENS0_17counting_iteratorIjlEEPS9_SG_NS0_5tupleIJPjSI_NS0_16reverse_iteratorISI_EEEEENSH_IJSG_SG_SG_EEES9_SI_JZNS1_25segmented_radix_sort_implINS0_14default_configELb0EPKaPaPKlPlN2at6native12_GLOBAL__N_18offset_tEEE10hipError_tPvRmT1_PNSt15iterator_traitsIS12_E10value_typeET2_T3_PNS13_IS18_E10value_typeET4_jRbjT5_S1E_jjP12ihipStream_tbEUljE_ZNSN_ISO_Lb0ESQ_SR_ST_SU_SY_EESZ_S10_S11_S12_S16_S17_S18_S1B_S1C_jS1D_jS1E_S1E_jjS1G_bEUljE0_EEESZ_S10_S11_S18_S1C_S1E_T6_T7_T9_mT8_S1G_bDpT10_ENKUlT_T0_E_clISt17integral_constantIbLb1EES1U_EEDaS1P_S1Q_EUlS1P_E_NS1_11comp_targetILNS1_3genE8ELNS1_11target_archE1030ELNS1_3gpuE2ELNS1_3repE0EEENS1_30default_config_static_selectorELNS0_4arch9wavefront6targetE0EEEvS12_,"axG",@progbits,_ZN7rocprim17ROCPRIM_400000_NS6detail17trampoline_kernelINS0_13select_configILj256ELj13ELNS0_17block_load_methodE3ELS4_3ELS4_3ELNS0_20block_scan_algorithmE0ELj4294967295EEENS1_25partition_config_selectorILNS1_17partition_subalgoE4EjNS0_10empty_typeEbEEZZNS1_14partition_implILS8_4ELb0ES6_15HIP_vector_typeIjLj2EENS0_17counting_iteratorIjlEEPS9_SG_NS0_5tupleIJPjSI_NS0_16reverse_iteratorISI_EEEEENSH_IJSG_SG_SG_EEES9_SI_JZNS1_25segmented_radix_sort_implINS0_14default_configELb0EPKaPaPKlPlN2at6native12_GLOBAL__N_18offset_tEEE10hipError_tPvRmT1_PNSt15iterator_traitsIS12_E10value_typeET2_T3_PNS13_IS18_E10value_typeET4_jRbjT5_S1E_jjP12ihipStream_tbEUljE_ZNSN_ISO_Lb0ESQ_SR_ST_SU_SY_EESZ_S10_S11_S12_S16_S17_S18_S1B_S1C_jS1D_jS1E_S1E_jjS1G_bEUljE0_EEESZ_S10_S11_S18_S1C_S1E_T6_T7_T9_mT8_S1G_bDpT10_ENKUlT_T0_E_clISt17integral_constantIbLb1EES1U_EEDaS1P_S1Q_EUlS1P_E_NS1_11comp_targetILNS1_3genE8ELNS1_11target_archE1030ELNS1_3gpuE2ELNS1_3repE0EEENS1_30default_config_static_selectorELNS0_4arch9wavefront6targetE0EEEvS12_,comdat
	.globl	_ZN7rocprim17ROCPRIM_400000_NS6detail17trampoline_kernelINS0_13select_configILj256ELj13ELNS0_17block_load_methodE3ELS4_3ELS4_3ELNS0_20block_scan_algorithmE0ELj4294967295EEENS1_25partition_config_selectorILNS1_17partition_subalgoE4EjNS0_10empty_typeEbEEZZNS1_14partition_implILS8_4ELb0ES6_15HIP_vector_typeIjLj2EENS0_17counting_iteratorIjlEEPS9_SG_NS0_5tupleIJPjSI_NS0_16reverse_iteratorISI_EEEEENSH_IJSG_SG_SG_EEES9_SI_JZNS1_25segmented_radix_sort_implINS0_14default_configELb0EPKaPaPKlPlN2at6native12_GLOBAL__N_18offset_tEEE10hipError_tPvRmT1_PNSt15iterator_traitsIS12_E10value_typeET2_T3_PNS13_IS18_E10value_typeET4_jRbjT5_S1E_jjP12ihipStream_tbEUljE_ZNSN_ISO_Lb0ESQ_SR_ST_SU_SY_EESZ_S10_S11_S12_S16_S17_S18_S1B_S1C_jS1D_jS1E_S1E_jjS1G_bEUljE0_EEESZ_S10_S11_S18_S1C_S1E_T6_T7_T9_mT8_S1G_bDpT10_ENKUlT_T0_E_clISt17integral_constantIbLb1EES1U_EEDaS1P_S1Q_EUlS1P_E_NS1_11comp_targetILNS1_3genE8ELNS1_11target_archE1030ELNS1_3gpuE2ELNS1_3repE0EEENS1_30default_config_static_selectorELNS0_4arch9wavefront6targetE0EEEvS12_ ; -- Begin function _ZN7rocprim17ROCPRIM_400000_NS6detail17trampoline_kernelINS0_13select_configILj256ELj13ELNS0_17block_load_methodE3ELS4_3ELS4_3ELNS0_20block_scan_algorithmE0ELj4294967295EEENS1_25partition_config_selectorILNS1_17partition_subalgoE4EjNS0_10empty_typeEbEEZZNS1_14partition_implILS8_4ELb0ES6_15HIP_vector_typeIjLj2EENS0_17counting_iteratorIjlEEPS9_SG_NS0_5tupleIJPjSI_NS0_16reverse_iteratorISI_EEEEENSH_IJSG_SG_SG_EEES9_SI_JZNS1_25segmented_radix_sort_implINS0_14default_configELb0EPKaPaPKlPlN2at6native12_GLOBAL__N_18offset_tEEE10hipError_tPvRmT1_PNSt15iterator_traitsIS12_E10value_typeET2_T3_PNS13_IS18_E10value_typeET4_jRbjT5_S1E_jjP12ihipStream_tbEUljE_ZNSN_ISO_Lb0ESQ_SR_ST_SU_SY_EESZ_S10_S11_S12_S16_S17_S18_S1B_S1C_jS1D_jS1E_S1E_jjS1G_bEUljE0_EEESZ_S10_S11_S18_S1C_S1E_T6_T7_T9_mT8_S1G_bDpT10_ENKUlT_T0_E_clISt17integral_constantIbLb1EES1U_EEDaS1P_S1Q_EUlS1P_E_NS1_11comp_targetILNS1_3genE8ELNS1_11target_archE1030ELNS1_3gpuE2ELNS1_3repE0EEENS1_30default_config_static_selectorELNS0_4arch9wavefront6targetE0EEEvS12_
	.p2align	8
	.type	_ZN7rocprim17ROCPRIM_400000_NS6detail17trampoline_kernelINS0_13select_configILj256ELj13ELNS0_17block_load_methodE3ELS4_3ELS4_3ELNS0_20block_scan_algorithmE0ELj4294967295EEENS1_25partition_config_selectorILNS1_17partition_subalgoE4EjNS0_10empty_typeEbEEZZNS1_14partition_implILS8_4ELb0ES6_15HIP_vector_typeIjLj2EENS0_17counting_iteratorIjlEEPS9_SG_NS0_5tupleIJPjSI_NS0_16reverse_iteratorISI_EEEEENSH_IJSG_SG_SG_EEES9_SI_JZNS1_25segmented_radix_sort_implINS0_14default_configELb0EPKaPaPKlPlN2at6native12_GLOBAL__N_18offset_tEEE10hipError_tPvRmT1_PNSt15iterator_traitsIS12_E10value_typeET2_T3_PNS13_IS18_E10value_typeET4_jRbjT5_S1E_jjP12ihipStream_tbEUljE_ZNSN_ISO_Lb0ESQ_SR_ST_SU_SY_EESZ_S10_S11_S12_S16_S17_S18_S1B_S1C_jS1D_jS1E_S1E_jjS1G_bEUljE0_EEESZ_S10_S11_S18_S1C_S1E_T6_T7_T9_mT8_S1G_bDpT10_ENKUlT_T0_E_clISt17integral_constantIbLb1EES1U_EEDaS1P_S1Q_EUlS1P_E_NS1_11comp_targetILNS1_3genE8ELNS1_11target_archE1030ELNS1_3gpuE2ELNS1_3repE0EEENS1_30default_config_static_selectorELNS0_4arch9wavefront6targetE0EEEvS12_,@function
_ZN7rocprim17ROCPRIM_400000_NS6detail17trampoline_kernelINS0_13select_configILj256ELj13ELNS0_17block_load_methodE3ELS4_3ELS4_3ELNS0_20block_scan_algorithmE0ELj4294967295EEENS1_25partition_config_selectorILNS1_17partition_subalgoE4EjNS0_10empty_typeEbEEZZNS1_14partition_implILS8_4ELb0ES6_15HIP_vector_typeIjLj2EENS0_17counting_iteratorIjlEEPS9_SG_NS0_5tupleIJPjSI_NS0_16reverse_iteratorISI_EEEEENSH_IJSG_SG_SG_EEES9_SI_JZNS1_25segmented_radix_sort_implINS0_14default_configELb0EPKaPaPKlPlN2at6native12_GLOBAL__N_18offset_tEEE10hipError_tPvRmT1_PNSt15iterator_traitsIS12_E10value_typeET2_T3_PNS13_IS18_E10value_typeET4_jRbjT5_S1E_jjP12ihipStream_tbEUljE_ZNSN_ISO_Lb0ESQ_SR_ST_SU_SY_EESZ_S10_S11_S12_S16_S17_S18_S1B_S1C_jS1D_jS1E_S1E_jjS1G_bEUljE0_EEESZ_S10_S11_S18_S1C_S1E_T6_T7_T9_mT8_S1G_bDpT10_ENKUlT_T0_E_clISt17integral_constantIbLb1EES1U_EEDaS1P_S1Q_EUlS1P_E_NS1_11comp_targetILNS1_3genE8ELNS1_11target_archE1030ELNS1_3gpuE2ELNS1_3repE0EEENS1_30default_config_static_selectorELNS0_4arch9wavefront6targetE0EEEvS12_: ; @_ZN7rocprim17ROCPRIM_400000_NS6detail17trampoline_kernelINS0_13select_configILj256ELj13ELNS0_17block_load_methodE3ELS4_3ELS4_3ELNS0_20block_scan_algorithmE0ELj4294967295EEENS1_25partition_config_selectorILNS1_17partition_subalgoE4EjNS0_10empty_typeEbEEZZNS1_14partition_implILS8_4ELb0ES6_15HIP_vector_typeIjLj2EENS0_17counting_iteratorIjlEEPS9_SG_NS0_5tupleIJPjSI_NS0_16reverse_iteratorISI_EEEEENSH_IJSG_SG_SG_EEES9_SI_JZNS1_25segmented_radix_sort_implINS0_14default_configELb0EPKaPaPKlPlN2at6native12_GLOBAL__N_18offset_tEEE10hipError_tPvRmT1_PNSt15iterator_traitsIS12_E10value_typeET2_T3_PNS13_IS18_E10value_typeET4_jRbjT5_S1E_jjP12ihipStream_tbEUljE_ZNSN_ISO_Lb0ESQ_SR_ST_SU_SY_EESZ_S10_S11_S12_S16_S17_S18_S1B_S1C_jS1D_jS1E_S1E_jjS1G_bEUljE0_EEESZ_S10_S11_S18_S1C_S1E_T6_T7_T9_mT8_S1G_bDpT10_ENKUlT_T0_E_clISt17integral_constantIbLb1EES1U_EEDaS1P_S1Q_EUlS1P_E_NS1_11comp_targetILNS1_3genE8ELNS1_11target_archE1030ELNS1_3gpuE2ELNS1_3repE0EEENS1_30default_config_static_selectorELNS0_4arch9wavefront6targetE0EEEvS12_
; %bb.0:
	.section	.rodata,"a",@progbits
	.p2align	6, 0x0
	.amdhsa_kernel _ZN7rocprim17ROCPRIM_400000_NS6detail17trampoline_kernelINS0_13select_configILj256ELj13ELNS0_17block_load_methodE3ELS4_3ELS4_3ELNS0_20block_scan_algorithmE0ELj4294967295EEENS1_25partition_config_selectorILNS1_17partition_subalgoE4EjNS0_10empty_typeEbEEZZNS1_14partition_implILS8_4ELb0ES6_15HIP_vector_typeIjLj2EENS0_17counting_iteratorIjlEEPS9_SG_NS0_5tupleIJPjSI_NS0_16reverse_iteratorISI_EEEEENSH_IJSG_SG_SG_EEES9_SI_JZNS1_25segmented_radix_sort_implINS0_14default_configELb0EPKaPaPKlPlN2at6native12_GLOBAL__N_18offset_tEEE10hipError_tPvRmT1_PNSt15iterator_traitsIS12_E10value_typeET2_T3_PNS13_IS18_E10value_typeET4_jRbjT5_S1E_jjP12ihipStream_tbEUljE_ZNSN_ISO_Lb0ESQ_SR_ST_SU_SY_EESZ_S10_S11_S12_S16_S17_S18_S1B_S1C_jS1D_jS1E_S1E_jjS1G_bEUljE0_EEESZ_S10_S11_S18_S1C_S1E_T6_T7_T9_mT8_S1G_bDpT10_ENKUlT_T0_E_clISt17integral_constantIbLb1EES1U_EEDaS1P_S1Q_EUlS1P_E_NS1_11comp_targetILNS1_3genE8ELNS1_11target_archE1030ELNS1_3gpuE2ELNS1_3repE0EEENS1_30default_config_static_selectorELNS0_4arch9wavefront6targetE0EEEvS12_
		.amdhsa_group_segment_fixed_size 0
		.amdhsa_private_segment_fixed_size 0
		.amdhsa_kernarg_size 184
		.amdhsa_user_sgpr_count 2
		.amdhsa_user_sgpr_dispatch_ptr 0
		.amdhsa_user_sgpr_queue_ptr 0
		.amdhsa_user_sgpr_kernarg_segment_ptr 1
		.amdhsa_user_sgpr_dispatch_id 0
		.amdhsa_user_sgpr_private_segment_size 0
		.amdhsa_wavefront_size32 1
		.amdhsa_uses_dynamic_stack 0
		.amdhsa_enable_private_segment 0
		.amdhsa_system_sgpr_workgroup_id_x 1
		.amdhsa_system_sgpr_workgroup_id_y 0
		.amdhsa_system_sgpr_workgroup_id_z 0
		.amdhsa_system_sgpr_workgroup_info 0
		.amdhsa_system_vgpr_workitem_id 0
		.amdhsa_next_free_vgpr 1
		.amdhsa_next_free_sgpr 1
		.amdhsa_reserve_vcc 0
		.amdhsa_float_round_mode_32 0
		.amdhsa_float_round_mode_16_64 0
		.amdhsa_float_denorm_mode_32 3
		.amdhsa_float_denorm_mode_16_64 3
		.amdhsa_fp16_overflow 0
		.amdhsa_workgroup_processor_mode 1
		.amdhsa_memory_ordered 1
		.amdhsa_forward_progress 1
		.amdhsa_inst_pref_size 0
		.amdhsa_round_robin_scheduling 0
		.amdhsa_exception_fp_ieee_invalid_op 0
		.amdhsa_exception_fp_denorm_src 0
		.amdhsa_exception_fp_ieee_div_zero 0
		.amdhsa_exception_fp_ieee_overflow 0
		.amdhsa_exception_fp_ieee_underflow 0
		.amdhsa_exception_fp_ieee_inexact 0
		.amdhsa_exception_int_div_zero 0
	.end_amdhsa_kernel
	.section	.text._ZN7rocprim17ROCPRIM_400000_NS6detail17trampoline_kernelINS0_13select_configILj256ELj13ELNS0_17block_load_methodE3ELS4_3ELS4_3ELNS0_20block_scan_algorithmE0ELj4294967295EEENS1_25partition_config_selectorILNS1_17partition_subalgoE4EjNS0_10empty_typeEbEEZZNS1_14partition_implILS8_4ELb0ES6_15HIP_vector_typeIjLj2EENS0_17counting_iteratorIjlEEPS9_SG_NS0_5tupleIJPjSI_NS0_16reverse_iteratorISI_EEEEENSH_IJSG_SG_SG_EEES9_SI_JZNS1_25segmented_radix_sort_implINS0_14default_configELb0EPKaPaPKlPlN2at6native12_GLOBAL__N_18offset_tEEE10hipError_tPvRmT1_PNSt15iterator_traitsIS12_E10value_typeET2_T3_PNS13_IS18_E10value_typeET4_jRbjT5_S1E_jjP12ihipStream_tbEUljE_ZNSN_ISO_Lb0ESQ_SR_ST_SU_SY_EESZ_S10_S11_S12_S16_S17_S18_S1B_S1C_jS1D_jS1E_S1E_jjS1G_bEUljE0_EEESZ_S10_S11_S18_S1C_S1E_T6_T7_T9_mT8_S1G_bDpT10_ENKUlT_T0_E_clISt17integral_constantIbLb1EES1U_EEDaS1P_S1Q_EUlS1P_E_NS1_11comp_targetILNS1_3genE8ELNS1_11target_archE1030ELNS1_3gpuE2ELNS1_3repE0EEENS1_30default_config_static_selectorELNS0_4arch9wavefront6targetE0EEEvS12_,"axG",@progbits,_ZN7rocprim17ROCPRIM_400000_NS6detail17trampoline_kernelINS0_13select_configILj256ELj13ELNS0_17block_load_methodE3ELS4_3ELS4_3ELNS0_20block_scan_algorithmE0ELj4294967295EEENS1_25partition_config_selectorILNS1_17partition_subalgoE4EjNS0_10empty_typeEbEEZZNS1_14partition_implILS8_4ELb0ES6_15HIP_vector_typeIjLj2EENS0_17counting_iteratorIjlEEPS9_SG_NS0_5tupleIJPjSI_NS0_16reverse_iteratorISI_EEEEENSH_IJSG_SG_SG_EEES9_SI_JZNS1_25segmented_radix_sort_implINS0_14default_configELb0EPKaPaPKlPlN2at6native12_GLOBAL__N_18offset_tEEE10hipError_tPvRmT1_PNSt15iterator_traitsIS12_E10value_typeET2_T3_PNS13_IS18_E10value_typeET4_jRbjT5_S1E_jjP12ihipStream_tbEUljE_ZNSN_ISO_Lb0ESQ_SR_ST_SU_SY_EESZ_S10_S11_S12_S16_S17_S18_S1B_S1C_jS1D_jS1E_S1E_jjS1G_bEUljE0_EEESZ_S10_S11_S18_S1C_S1E_T6_T7_T9_mT8_S1G_bDpT10_ENKUlT_T0_E_clISt17integral_constantIbLb1EES1U_EEDaS1P_S1Q_EUlS1P_E_NS1_11comp_targetILNS1_3genE8ELNS1_11target_archE1030ELNS1_3gpuE2ELNS1_3repE0EEENS1_30default_config_static_selectorELNS0_4arch9wavefront6targetE0EEEvS12_,comdat
.Lfunc_end344:
	.size	_ZN7rocprim17ROCPRIM_400000_NS6detail17trampoline_kernelINS0_13select_configILj256ELj13ELNS0_17block_load_methodE3ELS4_3ELS4_3ELNS0_20block_scan_algorithmE0ELj4294967295EEENS1_25partition_config_selectorILNS1_17partition_subalgoE4EjNS0_10empty_typeEbEEZZNS1_14partition_implILS8_4ELb0ES6_15HIP_vector_typeIjLj2EENS0_17counting_iteratorIjlEEPS9_SG_NS0_5tupleIJPjSI_NS0_16reverse_iteratorISI_EEEEENSH_IJSG_SG_SG_EEES9_SI_JZNS1_25segmented_radix_sort_implINS0_14default_configELb0EPKaPaPKlPlN2at6native12_GLOBAL__N_18offset_tEEE10hipError_tPvRmT1_PNSt15iterator_traitsIS12_E10value_typeET2_T3_PNS13_IS18_E10value_typeET4_jRbjT5_S1E_jjP12ihipStream_tbEUljE_ZNSN_ISO_Lb0ESQ_SR_ST_SU_SY_EESZ_S10_S11_S12_S16_S17_S18_S1B_S1C_jS1D_jS1E_S1E_jjS1G_bEUljE0_EEESZ_S10_S11_S18_S1C_S1E_T6_T7_T9_mT8_S1G_bDpT10_ENKUlT_T0_E_clISt17integral_constantIbLb1EES1U_EEDaS1P_S1Q_EUlS1P_E_NS1_11comp_targetILNS1_3genE8ELNS1_11target_archE1030ELNS1_3gpuE2ELNS1_3repE0EEENS1_30default_config_static_selectorELNS0_4arch9wavefront6targetE0EEEvS12_, .Lfunc_end344-_ZN7rocprim17ROCPRIM_400000_NS6detail17trampoline_kernelINS0_13select_configILj256ELj13ELNS0_17block_load_methodE3ELS4_3ELS4_3ELNS0_20block_scan_algorithmE0ELj4294967295EEENS1_25partition_config_selectorILNS1_17partition_subalgoE4EjNS0_10empty_typeEbEEZZNS1_14partition_implILS8_4ELb0ES6_15HIP_vector_typeIjLj2EENS0_17counting_iteratorIjlEEPS9_SG_NS0_5tupleIJPjSI_NS0_16reverse_iteratorISI_EEEEENSH_IJSG_SG_SG_EEES9_SI_JZNS1_25segmented_radix_sort_implINS0_14default_configELb0EPKaPaPKlPlN2at6native12_GLOBAL__N_18offset_tEEE10hipError_tPvRmT1_PNSt15iterator_traitsIS12_E10value_typeET2_T3_PNS13_IS18_E10value_typeET4_jRbjT5_S1E_jjP12ihipStream_tbEUljE_ZNSN_ISO_Lb0ESQ_SR_ST_SU_SY_EESZ_S10_S11_S12_S16_S17_S18_S1B_S1C_jS1D_jS1E_S1E_jjS1G_bEUljE0_EEESZ_S10_S11_S18_S1C_S1E_T6_T7_T9_mT8_S1G_bDpT10_ENKUlT_T0_E_clISt17integral_constantIbLb1EES1U_EEDaS1P_S1Q_EUlS1P_E_NS1_11comp_targetILNS1_3genE8ELNS1_11target_archE1030ELNS1_3gpuE2ELNS1_3repE0EEENS1_30default_config_static_selectorELNS0_4arch9wavefront6targetE0EEEvS12_
                                        ; -- End function
	.set _ZN7rocprim17ROCPRIM_400000_NS6detail17trampoline_kernelINS0_13select_configILj256ELj13ELNS0_17block_load_methodE3ELS4_3ELS4_3ELNS0_20block_scan_algorithmE0ELj4294967295EEENS1_25partition_config_selectorILNS1_17partition_subalgoE4EjNS0_10empty_typeEbEEZZNS1_14partition_implILS8_4ELb0ES6_15HIP_vector_typeIjLj2EENS0_17counting_iteratorIjlEEPS9_SG_NS0_5tupleIJPjSI_NS0_16reverse_iteratorISI_EEEEENSH_IJSG_SG_SG_EEES9_SI_JZNS1_25segmented_radix_sort_implINS0_14default_configELb0EPKaPaPKlPlN2at6native12_GLOBAL__N_18offset_tEEE10hipError_tPvRmT1_PNSt15iterator_traitsIS12_E10value_typeET2_T3_PNS13_IS18_E10value_typeET4_jRbjT5_S1E_jjP12ihipStream_tbEUljE_ZNSN_ISO_Lb0ESQ_SR_ST_SU_SY_EESZ_S10_S11_S12_S16_S17_S18_S1B_S1C_jS1D_jS1E_S1E_jjS1G_bEUljE0_EEESZ_S10_S11_S18_S1C_S1E_T6_T7_T9_mT8_S1G_bDpT10_ENKUlT_T0_E_clISt17integral_constantIbLb1EES1U_EEDaS1P_S1Q_EUlS1P_E_NS1_11comp_targetILNS1_3genE8ELNS1_11target_archE1030ELNS1_3gpuE2ELNS1_3repE0EEENS1_30default_config_static_selectorELNS0_4arch9wavefront6targetE0EEEvS12_.num_vgpr, 0
	.set _ZN7rocprim17ROCPRIM_400000_NS6detail17trampoline_kernelINS0_13select_configILj256ELj13ELNS0_17block_load_methodE3ELS4_3ELS4_3ELNS0_20block_scan_algorithmE0ELj4294967295EEENS1_25partition_config_selectorILNS1_17partition_subalgoE4EjNS0_10empty_typeEbEEZZNS1_14partition_implILS8_4ELb0ES6_15HIP_vector_typeIjLj2EENS0_17counting_iteratorIjlEEPS9_SG_NS0_5tupleIJPjSI_NS0_16reverse_iteratorISI_EEEEENSH_IJSG_SG_SG_EEES9_SI_JZNS1_25segmented_radix_sort_implINS0_14default_configELb0EPKaPaPKlPlN2at6native12_GLOBAL__N_18offset_tEEE10hipError_tPvRmT1_PNSt15iterator_traitsIS12_E10value_typeET2_T3_PNS13_IS18_E10value_typeET4_jRbjT5_S1E_jjP12ihipStream_tbEUljE_ZNSN_ISO_Lb0ESQ_SR_ST_SU_SY_EESZ_S10_S11_S12_S16_S17_S18_S1B_S1C_jS1D_jS1E_S1E_jjS1G_bEUljE0_EEESZ_S10_S11_S18_S1C_S1E_T6_T7_T9_mT8_S1G_bDpT10_ENKUlT_T0_E_clISt17integral_constantIbLb1EES1U_EEDaS1P_S1Q_EUlS1P_E_NS1_11comp_targetILNS1_3genE8ELNS1_11target_archE1030ELNS1_3gpuE2ELNS1_3repE0EEENS1_30default_config_static_selectorELNS0_4arch9wavefront6targetE0EEEvS12_.num_agpr, 0
	.set _ZN7rocprim17ROCPRIM_400000_NS6detail17trampoline_kernelINS0_13select_configILj256ELj13ELNS0_17block_load_methodE3ELS4_3ELS4_3ELNS0_20block_scan_algorithmE0ELj4294967295EEENS1_25partition_config_selectorILNS1_17partition_subalgoE4EjNS0_10empty_typeEbEEZZNS1_14partition_implILS8_4ELb0ES6_15HIP_vector_typeIjLj2EENS0_17counting_iteratorIjlEEPS9_SG_NS0_5tupleIJPjSI_NS0_16reverse_iteratorISI_EEEEENSH_IJSG_SG_SG_EEES9_SI_JZNS1_25segmented_radix_sort_implINS0_14default_configELb0EPKaPaPKlPlN2at6native12_GLOBAL__N_18offset_tEEE10hipError_tPvRmT1_PNSt15iterator_traitsIS12_E10value_typeET2_T3_PNS13_IS18_E10value_typeET4_jRbjT5_S1E_jjP12ihipStream_tbEUljE_ZNSN_ISO_Lb0ESQ_SR_ST_SU_SY_EESZ_S10_S11_S12_S16_S17_S18_S1B_S1C_jS1D_jS1E_S1E_jjS1G_bEUljE0_EEESZ_S10_S11_S18_S1C_S1E_T6_T7_T9_mT8_S1G_bDpT10_ENKUlT_T0_E_clISt17integral_constantIbLb1EES1U_EEDaS1P_S1Q_EUlS1P_E_NS1_11comp_targetILNS1_3genE8ELNS1_11target_archE1030ELNS1_3gpuE2ELNS1_3repE0EEENS1_30default_config_static_selectorELNS0_4arch9wavefront6targetE0EEEvS12_.numbered_sgpr, 0
	.set _ZN7rocprim17ROCPRIM_400000_NS6detail17trampoline_kernelINS0_13select_configILj256ELj13ELNS0_17block_load_methodE3ELS4_3ELS4_3ELNS0_20block_scan_algorithmE0ELj4294967295EEENS1_25partition_config_selectorILNS1_17partition_subalgoE4EjNS0_10empty_typeEbEEZZNS1_14partition_implILS8_4ELb0ES6_15HIP_vector_typeIjLj2EENS0_17counting_iteratorIjlEEPS9_SG_NS0_5tupleIJPjSI_NS0_16reverse_iteratorISI_EEEEENSH_IJSG_SG_SG_EEES9_SI_JZNS1_25segmented_radix_sort_implINS0_14default_configELb0EPKaPaPKlPlN2at6native12_GLOBAL__N_18offset_tEEE10hipError_tPvRmT1_PNSt15iterator_traitsIS12_E10value_typeET2_T3_PNS13_IS18_E10value_typeET4_jRbjT5_S1E_jjP12ihipStream_tbEUljE_ZNSN_ISO_Lb0ESQ_SR_ST_SU_SY_EESZ_S10_S11_S12_S16_S17_S18_S1B_S1C_jS1D_jS1E_S1E_jjS1G_bEUljE0_EEESZ_S10_S11_S18_S1C_S1E_T6_T7_T9_mT8_S1G_bDpT10_ENKUlT_T0_E_clISt17integral_constantIbLb1EES1U_EEDaS1P_S1Q_EUlS1P_E_NS1_11comp_targetILNS1_3genE8ELNS1_11target_archE1030ELNS1_3gpuE2ELNS1_3repE0EEENS1_30default_config_static_selectorELNS0_4arch9wavefront6targetE0EEEvS12_.num_named_barrier, 0
	.set _ZN7rocprim17ROCPRIM_400000_NS6detail17trampoline_kernelINS0_13select_configILj256ELj13ELNS0_17block_load_methodE3ELS4_3ELS4_3ELNS0_20block_scan_algorithmE0ELj4294967295EEENS1_25partition_config_selectorILNS1_17partition_subalgoE4EjNS0_10empty_typeEbEEZZNS1_14partition_implILS8_4ELb0ES6_15HIP_vector_typeIjLj2EENS0_17counting_iteratorIjlEEPS9_SG_NS0_5tupleIJPjSI_NS0_16reverse_iteratorISI_EEEEENSH_IJSG_SG_SG_EEES9_SI_JZNS1_25segmented_radix_sort_implINS0_14default_configELb0EPKaPaPKlPlN2at6native12_GLOBAL__N_18offset_tEEE10hipError_tPvRmT1_PNSt15iterator_traitsIS12_E10value_typeET2_T3_PNS13_IS18_E10value_typeET4_jRbjT5_S1E_jjP12ihipStream_tbEUljE_ZNSN_ISO_Lb0ESQ_SR_ST_SU_SY_EESZ_S10_S11_S12_S16_S17_S18_S1B_S1C_jS1D_jS1E_S1E_jjS1G_bEUljE0_EEESZ_S10_S11_S18_S1C_S1E_T6_T7_T9_mT8_S1G_bDpT10_ENKUlT_T0_E_clISt17integral_constantIbLb1EES1U_EEDaS1P_S1Q_EUlS1P_E_NS1_11comp_targetILNS1_3genE8ELNS1_11target_archE1030ELNS1_3gpuE2ELNS1_3repE0EEENS1_30default_config_static_selectorELNS0_4arch9wavefront6targetE0EEEvS12_.private_seg_size, 0
	.set _ZN7rocprim17ROCPRIM_400000_NS6detail17trampoline_kernelINS0_13select_configILj256ELj13ELNS0_17block_load_methodE3ELS4_3ELS4_3ELNS0_20block_scan_algorithmE0ELj4294967295EEENS1_25partition_config_selectorILNS1_17partition_subalgoE4EjNS0_10empty_typeEbEEZZNS1_14partition_implILS8_4ELb0ES6_15HIP_vector_typeIjLj2EENS0_17counting_iteratorIjlEEPS9_SG_NS0_5tupleIJPjSI_NS0_16reverse_iteratorISI_EEEEENSH_IJSG_SG_SG_EEES9_SI_JZNS1_25segmented_radix_sort_implINS0_14default_configELb0EPKaPaPKlPlN2at6native12_GLOBAL__N_18offset_tEEE10hipError_tPvRmT1_PNSt15iterator_traitsIS12_E10value_typeET2_T3_PNS13_IS18_E10value_typeET4_jRbjT5_S1E_jjP12ihipStream_tbEUljE_ZNSN_ISO_Lb0ESQ_SR_ST_SU_SY_EESZ_S10_S11_S12_S16_S17_S18_S1B_S1C_jS1D_jS1E_S1E_jjS1G_bEUljE0_EEESZ_S10_S11_S18_S1C_S1E_T6_T7_T9_mT8_S1G_bDpT10_ENKUlT_T0_E_clISt17integral_constantIbLb1EES1U_EEDaS1P_S1Q_EUlS1P_E_NS1_11comp_targetILNS1_3genE8ELNS1_11target_archE1030ELNS1_3gpuE2ELNS1_3repE0EEENS1_30default_config_static_selectorELNS0_4arch9wavefront6targetE0EEEvS12_.uses_vcc, 0
	.set _ZN7rocprim17ROCPRIM_400000_NS6detail17trampoline_kernelINS0_13select_configILj256ELj13ELNS0_17block_load_methodE3ELS4_3ELS4_3ELNS0_20block_scan_algorithmE0ELj4294967295EEENS1_25partition_config_selectorILNS1_17partition_subalgoE4EjNS0_10empty_typeEbEEZZNS1_14partition_implILS8_4ELb0ES6_15HIP_vector_typeIjLj2EENS0_17counting_iteratorIjlEEPS9_SG_NS0_5tupleIJPjSI_NS0_16reverse_iteratorISI_EEEEENSH_IJSG_SG_SG_EEES9_SI_JZNS1_25segmented_radix_sort_implINS0_14default_configELb0EPKaPaPKlPlN2at6native12_GLOBAL__N_18offset_tEEE10hipError_tPvRmT1_PNSt15iterator_traitsIS12_E10value_typeET2_T3_PNS13_IS18_E10value_typeET4_jRbjT5_S1E_jjP12ihipStream_tbEUljE_ZNSN_ISO_Lb0ESQ_SR_ST_SU_SY_EESZ_S10_S11_S12_S16_S17_S18_S1B_S1C_jS1D_jS1E_S1E_jjS1G_bEUljE0_EEESZ_S10_S11_S18_S1C_S1E_T6_T7_T9_mT8_S1G_bDpT10_ENKUlT_T0_E_clISt17integral_constantIbLb1EES1U_EEDaS1P_S1Q_EUlS1P_E_NS1_11comp_targetILNS1_3genE8ELNS1_11target_archE1030ELNS1_3gpuE2ELNS1_3repE0EEENS1_30default_config_static_selectorELNS0_4arch9wavefront6targetE0EEEvS12_.uses_flat_scratch, 0
	.set _ZN7rocprim17ROCPRIM_400000_NS6detail17trampoline_kernelINS0_13select_configILj256ELj13ELNS0_17block_load_methodE3ELS4_3ELS4_3ELNS0_20block_scan_algorithmE0ELj4294967295EEENS1_25partition_config_selectorILNS1_17partition_subalgoE4EjNS0_10empty_typeEbEEZZNS1_14partition_implILS8_4ELb0ES6_15HIP_vector_typeIjLj2EENS0_17counting_iteratorIjlEEPS9_SG_NS0_5tupleIJPjSI_NS0_16reverse_iteratorISI_EEEEENSH_IJSG_SG_SG_EEES9_SI_JZNS1_25segmented_radix_sort_implINS0_14default_configELb0EPKaPaPKlPlN2at6native12_GLOBAL__N_18offset_tEEE10hipError_tPvRmT1_PNSt15iterator_traitsIS12_E10value_typeET2_T3_PNS13_IS18_E10value_typeET4_jRbjT5_S1E_jjP12ihipStream_tbEUljE_ZNSN_ISO_Lb0ESQ_SR_ST_SU_SY_EESZ_S10_S11_S12_S16_S17_S18_S1B_S1C_jS1D_jS1E_S1E_jjS1G_bEUljE0_EEESZ_S10_S11_S18_S1C_S1E_T6_T7_T9_mT8_S1G_bDpT10_ENKUlT_T0_E_clISt17integral_constantIbLb1EES1U_EEDaS1P_S1Q_EUlS1P_E_NS1_11comp_targetILNS1_3genE8ELNS1_11target_archE1030ELNS1_3gpuE2ELNS1_3repE0EEENS1_30default_config_static_selectorELNS0_4arch9wavefront6targetE0EEEvS12_.has_dyn_sized_stack, 0
	.set _ZN7rocprim17ROCPRIM_400000_NS6detail17trampoline_kernelINS0_13select_configILj256ELj13ELNS0_17block_load_methodE3ELS4_3ELS4_3ELNS0_20block_scan_algorithmE0ELj4294967295EEENS1_25partition_config_selectorILNS1_17partition_subalgoE4EjNS0_10empty_typeEbEEZZNS1_14partition_implILS8_4ELb0ES6_15HIP_vector_typeIjLj2EENS0_17counting_iteratorIjlEEPS9_SG_NS0_5tupleIJPjSI_NS0_16reverse_iteratorISI_EEEEENSH_IJSG_SG_SG_EEES9_SI_JZNS1_25segmented_radix_sort_implINS0_14default_configELb0EPKaPaPKlPlN2at6native12_GLOBAL__N_18offset_tEEE10hipError_tPvRmT1_PNSt15iterator_traitsIS12_E10value_typeET2_T3_PNS13_IS18_E10value_typeET4_jRbjT5_S1E_jjP12ihipStream_tbEUljE_ZNSN_ISO_Lb0ESQ_SR_ST_SU_SY_EESZ_S10_S11_S12_S16_S17_S18_S1B_S1C_jS1D_jS1E_S1E_jjS1G_bEUljE0_EEESZ_S10_S11_S18_S1C_S1E_T6_T7_T9_mT8_S1G_bDpT10_ENKUlT_T0_E_clISt17integral_constantIbLb1EES1U_EEDaS1P_S1Q_EUlS1P_E_NS1_11comp_targetILNS1_3genE8ELNS1_11target_archE1030ELNS1_3gpuE2ELNS1_3repE0EEENS1_30default_config_static_selectorELNS0_4arch9wavefront6targetE0EEEvS12_.has_recursion, 0
	.set _ZN7rocprim17ROCPRIM_400000_NS6detail17trampoline_kernelINS0_13select_configILj256ELj13ELNS0_17block_load_methodE3ELS4_3ELS4_3ELNS0_20block_scan_algorithmE0ELj4294967295EEENS1_25partition_config_selectorILNS1_17partition_subalgoE4EjNS0_10empty_typeEbEEZZNS1_14partition_implILS8_4ELb0ES6_15HIP_vector_typeIjLj2EENS0_17counting_iteratorIjlEEPS9_SG_NS0_5tupleIJPjSI_NS0_16reverse_iteratorISI_EEEEENSH_IJSG_SG_SG_EEES9_SI_JZNS1_25segmented_radix_sort_implINS0_14default_configELb0EPKaPaPKlPlN2at6native12_GLOBAL__N_18offset_tEEE10hipError_tPvRmT1_PNSt15iterator_traitsIS12_E10value_typeET2_T3_PNS13_IS18_E10value_typeET4_jRbjT5_S1E_jjP12ihipStream_tbEUljE_ZNSN_ISO_Lb0ESQ_SR_ST_SU_SY_EESZ_S10_S11_S12_S16_S17_S18_S1B_S1C_jS1D_jS1E_S1E_jjS1G_bEUljE0_EEESZ_S10_S11_S18_S1C_S1E_T6_T7_T9_mT8_S1G_bDpT10_ENKUlT_T0_E_clISt17integral_constantIbLb1EES1U_EEDaS1P_S1Q_EUlS1P_E_NS1_11comp_targetILNS1_3genE8ELNS1_11target_archE1030ELNS1_3gpuE2ELNS1_3repE0EEENS1_30default_config_static_selectorELNS0_4arch9wavefront6targetE0EEEvS12_.has_indirect_call, 0
	.section	.AMDGPU.csdata,"",@progbits
; Kernel info:
; codeLenInByte = 0
; TotalNumSgprs: 0
; NumVgprs: 0
; ScratchSize: 0
; MemoryBound: 0
; FloatMode: 240
; IeeeMode: 1
; LDSByteSize: 0 bytes/workgroup (compile time only)
; SGPRBlocks: 0
; VGPRBlocks: 0
; NumSGPRsForWavesPerEU: 1
; NumVGPRsForWavesPerEU: 1
; Occupancy: 16
; WaveLimiterHint : 0
; COMPUTE_PGM_RSRC2:SCRATCH_EN: 0
; COMPUTE_PGM_RSRC2:USER_SGPR: 2
; COMPUTE_PGM_RSRC2:TRAP_HANDLER: 0
; COMPUTE_PGM_RSRC2:TGID_X_EN: 1
; COMPUTE_PGM_RSRC2:TGID_Y_EN: 0
; COMPUTE_PGM_RSRC2:TGID_Z_EN: 0
; COMPUTE_PGM_RSRC2:TIDIG_COMP_CNT: 0
	.section	.text._ZN7rocprim17ROCPRIM_400000_NS6detail17trampoline_kernelINS0_13select_configILj256ELj13ELNS0_17block_load_methodE3ELS4_3ELS4_3ELNS0_20block_scan_algorithmE0ELj4294967295EEENS1_25partition_config_selectorILNS1_17partition_subalgoE4EjNS0_10empty_typeEbEEZZNS1_14partition_implILS8_4ELb0ES6_15HIP_vector_typeIjLj2EENS0_17counting_iteratorIjlEEPS9_SG_NS0_5tupleIJPjSI_NS0_16reverse_iteratorISI_EEEEENSH_IJSG_SG_SG_EEES9_SI_JZNS1_25segmented_radix_sort_implINS0_14default_configELb0EPKaPaPKlPlN2at6native12_GLOBAL__N_18offset_tEEE10hipError_tPvRmT1_PNSt15iterator_traitsIS12_E10value_typeET2_T3_PNS13_IS18_E10value_typeET4_jRbjT5_S1E_jjP12ihipStream_tbEUljE_ZNSN_ISO_Lb0ESQ_SR_ST_SU_SY_EESZ_S10_S11_S12_S16_S17_S18_S1B_S1C_jS1D_jS1E_S1E_jjS1G_bEUljE0_EEESZ_S10_S11_S18_S1C_S1E_T6_T7_T9_mT8_S1G_bDpT10_ENKUlT_T0_E_clISt17integral_constantIbLb1EES1T_IbLb0EEEEDaS1P_S1Q_EUlS1P_E_NS1_11comp_targetILNS1_3genE0ELNS1_11target_archE4294967295ELNS1_3gpuE0ELNS1_3repE0EEENS1_30default_config_static_selectorELNS0_4arch9wavefront6targetE0EEEvS12_,"axG",@progbits,_ZN7rocprim17ROCPRIM_400000_NS6detail17trampoline_kernelINS0_13select_configILj256ELj13ELNS0_17block_load_methodE3ELS4_3ELS4_3ELNS0_20block_scan_algorithmE0ELj4294967295EEENS1_25partition_config_selectorILNS1_17partition_subalgoE4EjNS0_10empty_typeEbEEZZNS1_14partition_implILS8_4ELb0ES6_15HIP_vector_typeIjLj2EENS0_17counting_iteratorIjlEEPS9_SG_NS0_5tupleIJPjSI_NS0_16reverse_iteratorISI_EEEEENSH_IJSG_SG_SG_EEES9_SI_JZNS1_25segmented_radix_sort_implINS0_14default_configELb0EPKaPaPKlPlN2at6native12_GLOBAL__N_18offset_tEEE10hipError_tPvRmT1_PNSt15iterator_traitsIS12_E10value_typeET2_T3_PNS13_IS18_E10value_typeET4_jRbjT5_S1E_jjP12ihipStream_tbEUljE_ZNSN_ISO_Lb0ESQ_SR_ST_SU_SY_EESZ_S10_S11_S12_S16_S17_S18_S1B_S1C_jS1D_jS1E_S1E_jjS1G_bEUljE0_EEESZ_S10_S11_S18_S1C_S1E_T6_T7_T9_mT8_S1G_bDpT10_ENKUlT_T0_E_clISt17integral_constantIbLb1EES1T_IbLb0EEEEDaS1P_S1Q_EUlS1P_E_NS1_11comp_targetILNS1_3genE0ELNS1_11target_archE4294967295ELNS1_3gpuE0ELNS1_3repE0EEENS1_30default_config_static_selectorELNS0_4arch9wavefront6targetE0EEEvS12_,comdat
	.globl	_ZN7rocprim17ROCPRIM_400000_NS6detail17trampoline_kernelINS0_13select_configILj256ELj13ELNS0_17block_load_methodE3ELS4_3ELS4_3ELNS0_20block_scan_algorithmE0ELj4294967295EEENS1_25partition_config_selectorILNS1_17partition_subalgoE4EjNS0_10empty_typeEbEEZZNS1_14partition_implILS8_4ELb0ES6_15HIP_vector_typeIjLj2EENS0_17counting_iteratorIjlEEPS9_SG_NS0_5tupleIJPjSI_NS0_16reverse_iteratorISI_EEEEENSH_IJSG_SG_SG_EEES9_SI_JZNS1_25segmented_radix_sort_implINS0_14default_configELb0EPKaPaPKlPlN2at6native12_GLOBAL__N_18offset_tEEE10hipError_tPvRmT1_PNSt15iterator_traitsIS12_E10value_typeET2_T3_PNS13_IS18_E10value_typeET4_jRbjT5_S1E_jjP12ihipStream_tbEUljE_ZNSN_ISO_Lb0ESQ_SR_ST_SU_SY_EESZ_S10_S11_S12_S16_S17_S18_S1B_S1C_jS1D_jS1E_S1E_jjS1G_bEUljE0_EEESZ_S10_S11_S18_S1C_S1E_T6_T7_T9_mT8_S1G_bDpT10_ENKUlT_T0_E_clISt17integral_constantIbLb1EES1T_IbLb0EEEEDaS1P_S1Q_EUlS1P_E_NS1_11comp_targetILNS1_3genE0ELNS1_11target_archE4294967295ELNS1_3gpuE0ELNS1_3repE0EEENS1_30default_config_static_selectorELNS0_4arch9wavefront6targetE0EEEvS12_ ; -- Begin function _ZN7rocprim17ROCPRIM_400000_NS6detail17trampoline_kernelINS0_13select_configILj256ELj13ELNS0_17block_load_methodE3ELS4_3ELS4_3ELNS0_20block_scan_algorithmE0ELj4294967295EEENS1_25partition_config_selectorILNS1_17partition_subalgoE4EjNS0_10empty_typeEbEEZZNS1_14partition_implILS8_4ELb0ES6_15HIP_vector_typeIjLj2EENS0_17counting_iteratorIjlEEPS9_SG_NS0_5tupleIJPjSI_NS0_16reverse_iteratorISI_EEEEENSH_IJSG_SG_SG_EEES9_SI_JZNS1_25segmented_radix_sort_implINS0_14default_configELb0EPKaPaPKlPlN2at6native12_GLOBAL__N_18offset_tEEE10hipError_tPvRmT1_PNSt15iterator_traitsIS12_E10value_typeET2_T3_PNS13_IS18_E10value_typeET4_jRbjT5_S1E_jjP12ihipStream_tbEUljE_ZNSN_ISO_Lb0ESQ_SR_ST_SU_SY_EESZ_S10_S11_S12_S16_S17_S18_S1B_S1C_jS1D_jS1E_S1E_jjS1G_bEUljE0_EEESZ_S10_S11_S18_S1C_S1E_T6_T7_T9_mT8_S1G_bDpT10_ENKUlT_T0_E_clISt17integral_constantIbLb1EES1T_IbLb0EEEEDaS1P_S1Q_EUlS1P_E_NS1_11comp_targetILNS1_3genE0ELNS1_11target_archE4294967295ELNS1_3gpuE0ELNS1_3repE0EEENS1_30default_config_static_selectorELNS0_4arch9wavefront6targetE0EEEvS12_
	.p2align	8
	.type	_ZN7rocprim17ROCPRIM_400000_NS6detail17trampoline_kernelINS0_13select_configILj256ELj13ELNS0_17block_load_methodE3ELS4_3ELS4_3ELNS0_20block_scan_algorithmE0ELj4294967295EEENS1_25partition_config_selectorILNS1_17partition_subalgoE4EjNS0_10empty_typeEbEEZZNS1_14partition_implILS8_4ELb0ES6_15HIP_vector_typeIjLj2EENS0_17counting_iteratorIjlEEPS9_SG_NS0_5tupleIJPjSI_NS0_16reverse_iteratorISI_EEEEENSH_IJSG_SG_SG_EEES9_SI_JZNS1_25segmented_radix_sort_implINS0_14default_configELb0EPKaPaPKlPlN2at6native12_GLOBAL__N_18offset_tEEE10hipError_tPvRmT1_PNSt15iterator_traitsIS12_E10value_typeET2_T3_PNS13_IS18_E10value_typeET4_jRbjT5_S1E_jjP12ihipStream_tbEUljE_ZNSN_ISO_Lb0ESQ_SR_ST_SU_SY_EESZ_S10_S11_S12_S16_S17_S18_S1B_S1C_jS1D_jS1E_S1E_jjS1G_bEUljE0_EEESZ_S10_S11_S18_S1C_S1E_T6_T7_T9_mT8_S1G_bDpT10_ENKUlT_T0_E_clISt17integral_constantIbLb1EES1T_IbLb0EEEEDaS1P_S1Q_EUlS1P_E_NS1_11comp_targetILNS1_3genE0ELNS1_11target_archE4294967295ELNS1_3gpuE0ELNS1_3repE0EEENS1_30default_config_static_selectorELNS0_4arch9wavefront6targetE0EEEvS12_,@function
_ZN7rocprim17ROCPRIM_400000_NS6detail17trampoline_kernelINS0_13select_configILj256ELj13ELNS0_17block_load_methodE3ELS4_3ELS4_3ELNS0_20block_scan_algorithmE0ELj4294967295EEENS1_25partition_config_selectorILNS1_17partition_subalgoE4EjNS0_10empty_typeEbEEZZNS1_14partition_implILS8_4ELb0ES6_15HIP_vector_typeIjLj2EENS0_17counting_iteratorIjlEEPS9_SG_NS0_5tupleIJPjSI_NS0_16reverse_iteratorISI_EEEEENSH_IJSG_SG_SG_EEES9_SI_JZNS1_25segmented_radix_sort_implINS0_14default_configELb0EPKaPaPKlPlN2at6native12_GLOBAL__N_18offset_tEEE10hipError_tPvRmT1_PNSt15iterator_traitsIS12_E10value_typeET2_T3_PNS13_IS18_E10value_typeET4_jRbjT5_S1E_jjP12ihipStream_tbEUljE_ZNSN_ISO_Lb0ESQ_SR_ST_SU_SY_EESZ_S10_S11_S12_S16_S17_S18_S1B_S1C_jS1D_jS1E_S1E_jjS1G_bEUljE0_EEESZ_S10_S11_S18_S1C_S1E_T6_T7_T9_mT8_S1G_bDpT10_ENKUlT_T0_E_clISt17integral_constantIbLb1EES1T_IbLb0EEEEDaS1P_S1Q_EUlS1P_E_NS1_11comp_targetILNS1_3genE0ELNS1_11target_archE4294967295ELNS1_3gpuE0ELNS1_3repE0EEENS1_30default_config_static_selectorELNS0_4arch9wavefront6targetE0EEEvS12_: ; @_ZN7rocprim17ROCPRIM_400000_NS6detail17trampoline_kernelINS0_13select_configILj256ELj13ELNS0_17block_load_methodE3ELS4_3ELS4_3ELNS0_20block_scan_algorithmE0ELj4294967295EEENS1_25partition_config_selectorILNS1_17partition_subalgoE4EjNS0_10empty_typeEbEEZZNS1_14partition_implILS8_4ELb0ES6_15HIP_vector_typeIjLj2EENS0_17counting_iteratorIjlEEPS9_SG_NS0_5tupleIJPjSI_NS0_16reverse_iteratorISI_EEEEENSH_IJSG_SG_SG_EEES9_SI_JZNS1_25segmented_radix_sort_implINS0_14default_configELb0EPKaPaPKlPlN2at6native12_GLOBAL__N_18offset_tEEE10hipError_tPvRmT1_PNSt15iterator_traitsIS12_E10value_typeET2_T3_PNS13_IS18_E10value_typeET4_jRbjT5_S1E_jjP12ihipStream_tbEUljE_ZNSN_ISO_Lb0ESQ_SR_ST_SU_SY_EESZ_S10_S11_S12_S16_S17_S18_S1B_S1C_jS1D_jS1E_S1E_jjS1G_bEUljE0_EEESZ_S10_S11_S18_S1C_S1E_T6_T7_T9_mT8_S1G_bDpT10_ENKUlT_T0_E_clISt17integral_constantIbLb1EES1T_IbLb0EEEEDaS1P_S1Q_EUlS1P_E_NS1_11comp_targetILNS1_3genE0ELNS1_11target_archE4294967295ELNS1_3gpuE0ELNS1_3repE0EEENS1_30default_config_static_selectorELNS0_4arch9wavefront6targetE0EEEvS12_
; %bb.0:
	.section	.rodata,"a",@progbits
	.p2align	6, 0x0
	.amdhsa_kernel _ZN7rocprim17ROCPRIM_400000_NS6detail17trampoline_kernelINS0_13select_configILj256ELj13ELNS0_17block_load_methodE3ELS4_3ELS4_3ELNS0_20block_scan_algorithmE0ELj4294967295EEENS1_25partition_config_selectorILNS1_17partition_subalgoE4EjNS0_10empty_typeEbEEZZNS1_14partition_implILS8_4ELb0ES6_15HIP_vector_typeIjLj2EENS0_17counting_iteratorIjlEEPS9_SG_NS0_5tupleIJPjSI_NS0_16reverse_iteratorISI_EEEEENSH_IJSG_SG_SG_EEES9_SI_JZNS1_25segmented_radix_sort_implINS0_14default_configELb0EPKaPaPKlPlN2at6native12_GLOBAL__N_18offset_tEEE10hipError_tPvRmT1_PNSt15iterator_traitsIS12_E10value_typeET2_T3_PNS13_IS18_E10value_typeET4_jRbjT5_S1E_jjP12ihipStream_tbEUljE_ZNSN_ISO_Lb0ESQ_SR_ST_SU_SY_EESZ_S10_S11_S12_S16_S17_S18_S1B_S1C_jS1D_jS1E_S1E_jjS1G_bEUljE0_EEESZ_S10_S11_S18_S1C_S1E_T6_T7_T9_mT8_S1G_bDpT10_ENKUlT_T0_E_clISt17integral_constantIbLb1EES1T_IbLb0EEEEDaS1P_S1Q_EUlS1P_E_NS1_11comp_targetILNS1_3genE0ELNS1_11target_archE4294967295ELNS1_3gpuE0ELNS1_3repE0EEENS1_30default_config_static_selectorELNS0_4arch9wavefront6targetE0EEEvS12_
		.amdhsa_group_segment_fixed_size 0
		.amdhsa_private_segment_fixed_size 0
		.amdhsa_kernarg_size 176
		.amdhsa_user_sgpr_count 2
		.amdhsa_user_sgpr_dispatch_ptr 0
		.amdhsa_user_sgpr_queue_ptr 0
		.amdhsa_user_sgpr_kernarg_segment_ptr 1
		.amdhsa_user_sgpr_dispatch_id 0
		.amdhsa_user_sgpr_private_segment_size 0
		.amdhsa_wavefront_size32 1
		.amdhsa_uses_dynamic_stack 0
		.amdhsa_enable_private_segment 0
		.amdhsa_system_sgpr_workgroup_id_x 1
		.amdhsa_system_sgpr_workgroup_id_y 0
		.amdhsa_system_sgpr_workgroup_id_z 0
		.amdhsa_system_sgpr_workgroup_info 0
		.amdhsa_system_vgpr_workitem_id 0
		.amdhsa_next_free_vgpr 1
		.amdhsa_next_free_sgpr 1
		.amdhsa_reserve_vcc 0
		.amdhsa_float_round_mode_32 0
		.amdhsa_float_round_mode_16_64 0
		.amdhsa_float_denorm_mode_32 3
		.amdhsa_float_denorm_mode_16_64 3
		.amdhsa_fp16_overflow 0
		.amdhsa_workgroup_processor_mode 1
		.amdhsa_memory_ordered 1
		.amdhsa_forward_progress 1
		.amdhsa_inst_pref_size 0
		.amdhsa_round_robin_scheduling 0
		.amdhsa_exception_fp_ieee_invalid_op 0
		.amdhsa_exception_fp_denorm_src 0
		.amdhsa_exception_fp_ieee_div_zero 0
		.amdhsa_exception_fp_ieee_overflow 0
		.amdhsa_exception_fp_ieee_underflow 0
		.amdhsa_exception_fp_ieee_inexact 0
		.amdhsa_exception_int_div_zero 0
	.end_amdhsa_kernel
	.section	.text._ZN7rocprim17ROCPRIM_400000_NS6detail17trampoline_kernelINS0_13select_configILj256ELj13ELNS0_17block_load_methodE3ELS4_3ELS4_3ELNS0_20block_scan_algorithmE0ELj4294967295EEENS1_25partition_config_selectorILNS1_17partition_subalgoE4EjNS0_10empty_typeEbEEZZNS1_14partition_implILS8_4ELb0ES6_15HIP_vector_typeIjLj2EENS0_17counting_iteratorIjlEEPS9_SG_NS0_5tupleIJPjSI_NS0_16reverse_iteratorISI_EEEEENSH_IJSG_SG_SG_EEES9_SI_JZNS1_25segmented_radix_sort_implINS0_14default_configELb0EPKaPaPKlPlN2at6native12_GLOBAL__N_18offset_tEEE10hipError_tPvRmT1_PNSt15iterator_traitsIS12_E10value_typeET2_T3_PNS13_IS18_E10value_typeET4_jRbjT5_S1E_jjP12ihipStream_tbEUljE_ZNSN_ISO_Lb0ESQ_SR_ST_SU_SY_EESZ_S10_S11_S12_S16_S17_S18_S1B_S1C_jS1D_jS1E_S1E_jjS1G_bEUljE0_EEESZ_S10_S11_S18_S1C_S1E_T6_T7_T9_mT8_S1G_bDpT10_ENKUlT_T0_E_clISt17integral_constantIbLb1EES1T_IbLb0EEEEDaS1P_S1Q_EUlS1P_E_NS1_11comp_targetILNS1_3genE0ELNS1_11target_archE4294967295ELNS1_3gpuE0ELNS1_3repE0EEENS1_30default_config_static_selectorELNS0_4arch9wavefront6targetE0EEEvS12_,"axG",@progbits,_ZN7rocprim17ROCPRIM_400000_NS6detail17trampoline_kernelINS0_13select_configILj256ELj13ELNS0_17block_load_methodE3ELS4_3ELS4_3ELNS0_20block_scan_algorithmE0ELj4294967295EEENS1_25partition_config_selectorILNS1_17partition_subalgoE4EjNS0_10empty_typeEbEEZZNS1_14partition_implILS8_4ELb0ES6_15HIP_vector_typeIjLj2EENS0_17counting_iteratorIjlEEPS9_SG_NS0_5tupleIJPjSI_NS0_16reverse_iteratorISI_EEEEENSH_IJSG_SG_SG_EEES9_SI_JZNS1_25segmented_radix_sort_implINS0_14default_configELb0EPKaPaPKlPlN2at6native12_GLOBAL__N_18offset_tEEE10hipError_tPvRmT1_PNSt15iterator_traitsIS12_E10value_typeET2_T3_PNS13_IS18_E10value_typeET4_jRbjT5_S1E_jjP12ihipStream_tbEUljE_ZNSN_ISO_Lb0ESQ_SR_ST_SU_SY_EESZ_S10_S11_S12_S16_S17_S18_S1B_S1C_jS1D_jS1E_S1E_jjS1G_bEUljE0_EEESZ_S10_S11_S18_S1C_S1E_T6_T7_T9_mT8_S1G_bDpT10_ENKUlT_T0_E_clISt17integral_constantIbLb1EES1T_IbLb0EEEEDaS1P_S1Q_EUlS1P_E_NS1_11comp_targetILNS1_3genE0ELNS1_11target_archE4294967295ELNS1_3gpuE0ELNS1_3repE0EEENS1_30default_config_static_selectorELNS0_4arch9wavefront6targetE0EEEvS12_,comdat
.Lfunc_end345:
	.size	_ZN7rocprim17ROCPRIM_400000_NS6detail17trampoline_kernelINS0_13select_configILj256ELj13ELNS0_17block_load_methodE3ELS4_3ELS4_3ELNS0_20block_scan_algorithmE0ELj4294967295EEENS1_25partition_config_selectorILNS1_17partition_subalgoE4EjNS0_10empty_typeEbEEZZNS1_14partition_implILS8_4ELb0ES6_15HIP_vector_typeIjLj2EENS0_17counting_iteratorIjlEEPS9_SG_NS0_5tupleIJPjSI_NS0_16reverse_iteratorISI_EEEEENSH_IJSG_SG_SG_EEES9_SI_JZNS1_25segmented_radix_sort_implINS0_14default_configELb0EPKaPaPKlPlN2at6native12_GLOBAL__N_18offset_tEEE10hipError_tPvRmT1_PNSt15iterator_traitsIS12_E10value_typeET2_T3_PNS13_IS18_E10value_typeET4_jRbjT5_S1E_jjP12ihipStream_tbEUljE_ZNSN_ISO_Lb0ESQ_SR_ST_SU_SY_EESZ_S10_S11_S12_S16_S17_S18_S1B_S1C_jS1D_jS1E_S1E_jjS1G_bEUljE0_EEESZ_S10_S11_S18_S1C_S1E_T6_T7_T9_mT8_S1G_bDpT10_ENKUlT_T0_E_clISt17integral_constantIbLb1EES1T_IbLb0EEEEDaS1P_S1Q_EUlS1P_E_NS1_11comp_targetILNS1_3genE0ELNS1_11target_archE4294967295ELNS1_3gpuE0ELNS1_3repE0EEENS1_30default_config_static_selectorELNS0_4arch9wavefront6targetE0EEEvS12_, .Lfunc_end345-_ZN7rocprim17ROCPRIM_400000_NS6detail17trampoline_kernelINS0_13select_configILj256ELj13ELNS0_17block_load_methodE3ELS4_3ELS4_3ELNS0_20block_scan_algorithmE0ELj4294967295EEENS1_25partition_config_selectorILNS1_17partition_subalgoE4EjNS0_10empty_typeEbEEZZNS1_14partition_implILS8_4ELb0ES6_15HIP_vector_typeIjLj2EENS0_17counting_iteratorIjlEEPS9_SG_NS0_5tupleIJPjSI_NS0_16reverse_iteratorISI_EEEEENSH_IJSG_SG_SG_EEES9_SI_JZNS1_25segmented_radix_sort_implINS0_14default_configELb0EPKaPaPKlPlN2at6native12_GLOBAL__N_18offset_tEEE10hipError_tPvRmT1_PNSt15iterator_traitsIS12_E10value_typeET2_T3_PNS13_IS18_E10value_typeET4_jRbjT5_S1E_jjP12ihipStream_tbEUljE_ZNSN_ISO_Lb0ESQ_SR_ST_SU_SY_EESZ_S10_S11_S12_S16_S17_S18_S1B_S1C_jS1D_jS1E_S1E_jjS1G_bEUljE0_EEESZ_S10_S11_S18_S1C_S1E_T6_T7_T9_mT8_S1G_bDpT10_ENKUlT_T0_E_clISt17integral_constantIbLb1EES1T_IbLb0EEEEDaS1P_S1Q_EUlS1P_E_NS1_11comp_targetILNS1_3genE0ELNS1_11target_archE4294967295ELNS1_3gpuE0ELNS1_3repE0EEENS1_30default_config_static_selectorELNS0_4arch9wavefront6targetE0EEEvS12_
                                        ; -- End function
	.set _ZN7rocprim17ROCPRIM_400000_NS6detail17trampoline_kernelINS0_13select_configILj256ELj13ELNS0_17block_load_methodE3ELS4_3ELS4_3ELNS0_20block_scan_algorithmE0ELj4294967295EEENS1_25partition_config_selectorILNS1_17partition_subalgoE4EjNS0_10empty_typeEbEEZZNS1_14partition_implILS8_4ELb0ES6_15HIP_vector_typeIjLj2EENS0_17counting_iteratorIjlEEPS9_SG_NS0_5tupleIJPjSI_NS0_16reverse_iteratorISI_EEEEENSH_IJSG_SG_SG_EEES9_SI_JZNS1_25segmented_radix_sort_implINS0_14default_configELb0EPKaPaPKlPlN2at6native12_GLOBAL__N_18offset_tEEE10hipError_tPvRmT1_PNSt15iterator_traitsIS12_E10value_typeET2_T3_PNS13_IS18_E10value_typeET4_jRbjT5_S1E_jjP12ihipStream_tbEUljE_ZNSN_ISO_Lb0ESQ_SR_ST_SU_SY_EESZ_S10_S11_S12_S16_S17_S18_S1B_S1C_jS1D_jS1E_S1E_jjS1G_bEUljE0_EEESZ_S10_S11_S18_S1C_S1E_T6_T7_T9_mT8_S1G_bDpT10_ENKUlT_T0_E_clISt17integral_constantIbLb1EES1T_IbLb0EEEEDaS1P_S1Q_EUlS1P_E_NS1_11comp_targetILNS1_3genE0ELNS1_11target_archE4294967295ELNS1_3gpuE0ELNS1_3repE0EEENS1_30default_config_static_selectorELNS0_4arch9wavefront6targetE0EEEvS12_.num_vgpr, 0
	.set _ZN7rocprim17ROCPRIM_400000_NS6detail17trampoline_kernelINS0_13select_configILj256ELj13ELNS0_17block_load_methodE3ELS4_3ELS4_3ELNS0_20block_scan_algorithmE0ELj4294967295EEENS1_25partition_config_selectorILNS1_17partition_subalgoE4EjNS0_10empty_typeEbEEZZNS1_14partition_implILS8_4ELb0ES6_15HIP_vector_typeIjLj2EENS0_17counting_iteratorIjlEEPS9_SG_NS0_5tupleIJPjSI_NS0_16reverse_iteratorISI_EEEEENSH_IJSG_SG_SG_EEES9_SI_JZNS1_25segmented_radix_sort_implINS0_14default_configELb0EPKaPaPKlPlN2at6native12_GLOBAL__N_18offset_tEEE10hipError_tPvRmT1_PNSt15iterator_traitsIS12_E10value_typeET2_T3_PNS13_IS18_E10value_typeET4_jRbjT5_S1E_jjP12ihipStream_tbEUljE_ZNSN_ISO_Lb0ESQ_SR_ST_SU_SY_EESZ_S10_S11_S12_S16_S17_S18_S1B_S1C_jS1D_jS1E_S1E_jjS1G_bEUljE0_EEESZ_S10_S11_S18_S1C_S1E_T6_T7_T9_mT8_S1G_bDpT10_ENKUlT_T0_E_clISt17integral_constantIbLb1EES1T_IbLb0EEEEDaS1P_S1Q_EUlS1P_E_NS1_11comp_targetILNS1_3genE0ELNS1_11target_archE4294967295ELNS1_3gpuE0ELNS1_3repE0EEENS1_30default_config_static_selectorELNS0_4arch9wavefront6targetE0EEEvS12_.num_agpr, 0
	.set _ZN7rocprim17ROCPRIM_400000_NS6detail17trampoline_kernelINS0_13select_configILj256ELj13ELNS0_17block_load_methodE3ELS4_3ELS4_3ELNS0_20block_scan_algorithmE0ELj4294967295EEENS1_25partition_config_selectorILNS1_17partition_subalgoE4EjNS0_10empty_typeEbEEZZNS1_14partition_implILS8_4ELb0ES6_15HIP_vector_typeIjLj2EENS0_17counting_iteratorIjlEEPS9_SG_NS0_5tupleIJPjSI_NS0_16reverse_iteratorISI_EEEEENSH_IJSG_SG_SG_EEES9_SI_JZNS1_25segmented_radix_sort_implINS0_14default_configELb0EPKaPaPKlPlN2at6native12_GLOBAL__N_18offset_tEEE10hipError_tPvRmT1_PNSt15iterator_traitsIS12_E10value_typeET2_T3_PNS13_IS18_E10value_typeET4_jRbjT5_S1E_jjP12ihipStream_tbEUljE_ZNSN_ISO_Lb0ESQ_SR_ST_SU_SY_EESZ_S10_S11_S12_S16_S17_S18_S1B_S1C_jS1D_jS1E_S1E_jjS1G_bEUljE0_EEESZ_S10_S11_S18_S1C_S1E_T6_T7_T9_mT8_S1G_bDpT10_ENKUlT_T0_E_clISt17integral_constantIbLb1EES1T_IbLb0EEEEDaS1P_S1Q_EUlS1P_E_NS1_11comp_targetILNS1_3genE0ELNS1_11target_archE4294967295ELNS1_3gpuE0ELNS1_3repE0EEENS1_30default_config_static_selectorELNS0_4arch9wavefront6targetE0EEEvS12_.numbered_sgpr, 0
	.set _ZN7rocprim17ROCPRIM_400000_NS6detail17trampoline_kernelINS0_13select_configILj256ELj13ELNS0_17block_load_methodE3ELS4_3ELS4_3ELNS0_20block_scan_algorithmE0ELj4294967295EEENS1_25partition_config_selectorILNS1_17partition_subalgoE4EjNS0_10empty_typeEbEEZZNS1_14partition_implILS8_4ELb0ES6_15HIP_vector_typeIjLj2EENS0_17counting_iteratorIjlEEPS9_SG_NS0_5tupleIJPjSI_NS0_16reverse_iteratorISI_EEEEENSH_IJSG_SG_SG_EEES9_SI_JZNS1_25segmented_radix_sort_implINS0_14default_configELb0EPKaPaPKlPlN2at6native12_GLOBAL__N_18offset_tEEE10hipError_tPvRmT1_PNSt15iterator_traitsIS12_E10value_typeET2_T3_PNS13_IS18_E10value_typeET4_jRbjT5_S1E_jjP12ihipStream_tbEUljE_ZNSN_ISO_Lb0ESQ_SR_ST_SU_SY_EESZ_S10_S11_S12_S16_S17_S18_S1B_S1C_jS1D_jS1E_S1E_jjS1G_bEUljE0_EEESZ_S10_S11_S18_S1C_S1E_T6_T7_T9_mT8_S1G_bDpT10_ENKUlT_T0_E_clISt17integral_constantIbLb1EES1T_IbLb0EEEEDaS1P_S1Q_EUlS1P_E_NS1_11comp_targetILNS1_3genE0ELNS1_11target_archE4294967295ELNS1_3gpuE0ELNS1_3repE0EEENS1_30default_config_static_selectorELNS0_4arch9wavefront6targetE0EEEvS12_.num_named_barrier, 0
	.set _ZN7rocprim17ROCPRIM_400000_NS6detail17trampoline_kernelINS0_13select_configILj256ELj13ELNS0_17block_load_methodE3ELS4_3ELS4_3ELNS0_20block_scan_algorithmE0ELj4294967295EEENS1_25partition_config_selectorILNS1_17partition_subalgoE4EjNS0_10empty_typeEbEEZZNS1_14partition_implILS8_4ELb0ES6_15HIP_vector_typeIjLj2EENS0_17counting_iteratorIjlEEPS9_SG_NS0_5tupleIJPjSI_NS0_16reverse_iteratorISI_EEEEENSH_IJSG_SG_SG_EEES9_SI_JZNS1_25segmented_radix_sort_implINS0_14default_configELb0EPKaPaPKlPlN2at6native12_GLOBAL__N_18offset_tEEE10hipError_tPvRmT1_PNSt15iterator_traitsIS12_E10value_typeET2_T3_PNS13_IS18_E10value_typeET4_jRbjT5_S1E_jjP12ihipStream_tbEUljE_ZNSN_ISO_Lb0ESQ_SR_ST_SU_SY_EESZ_S10_S11_S12_S16_S17_S18_S1B_S1C_jS1D_jS1E_S1E_jjS1G_bEUljE0_EEESZ_S10_S11_S18_S1C_S1E_T6_T7_T9_mT8_S1G_bDpT10_ENKUlT_T0_E_clISt17integral_constantIbLb1EES1T_IbLb0EEEEDaS1P_S1Q_EUlS1P_E_NS1_11comp_targetILNS1_3genE0ELNS1_11target_archE4294967295ELNS1_3gpuE0ELNS1_3repE0EEENS1_30default_config_static_selectorELNS0_4arch9wavefront6targetE0EEEvS12_.private_seg_size, 0
	.set _ZN7rocprim17ROCPRIM_400000_NS6detail17trampoline_kernelINS0_13select_configILj256ELj13ELNS0_17block_load_methodE3ELS4_3ELS4_3ELNS0_20block_scan_algorithmE0ELj4294967295EEENS1_25partition_config_selectorILNS1_17partition_subalgoE4EjNS0_10empty_typeEbEEZZNS1_14partition_implILS8_4ELb0ES6_15HIP_vector_typeIjLj2EENS0_17counting_iteratorIjlEEPS9_SG_NS0_5tupleIJPjSI_NS0_16reverse_iteratorISI_EEEEENSH_IJSG_SG_SG_EEES9_SI_JZNS1_25segmented_radix_sort_implINS0_14default_configELb0EPKaPaPKlPlN2at6native12_GLOBAL__N_18offset_tEEE10hipError_tPvRmT1_PNSt15iterator_traitsIS12_E10value_typeET2_T3_PNS13_IS18_E10value_typeET4_jRbjT5_S1E_jjP12ihipStream_tbEUljE_ZNSN_ISO_Lb0ESQ_SR_ST_SU_SY_EESZ_S10_S11_S12_S16_S17_S18_S1B_S1C_jS1D_jS1E_S1E_jjS1G_bEUljE0_EEESZ_S10_S11_S18_S1C_S1E_T6_T7_T9_mT8_S1G_bDpT10_ENKUlT_T0_E_clISt17integral_constantIbLb1EES1T_IbLb0EEEEDaS1P_S1Q_EUlS1P_E_NS1_11comp_targetILNS1_3genE0ELNS1_11target_archE4294967295ELNS1_3gpuE0ELNS1_3repE0EEENS1_30default_config_static_selectorELNS0_4arch9wavefront6targetE0EEEvS12_.uses_vcc, 0
	.set _ZN7rocprim17ROCPRIM_400000_NS6detail17trampoline_kernelINS0_13select_configILj256ELj13ELNS0_17block_load_methodE3ELS4_3ELS4_3ELNS0_20block_scan_algorithmE0ELj4294967295EEENS1_25partition_config_selectorILNS1_17partition_subalgoE4EjNS0_10empty_typeEbEEZZNS1_14partition_implILS8_4ELb0ES6_15HIP_vector_typeIjLj2EENS0_17counting_iteratorIjlEEPS9_SG_NS0_5tupleIJPjSI_NS0_16reverse_iteratorISI_EEEEENSH_IJSG_SG_SG_EEES9_SI_JZNS1_25segmented_radix_sort_implINS0_14default_configELb0EPKaPaPKlPlN2at6native12_GLOBAL__N_18offset_tEEE10hipError_tPvRmT1_PNSt15iterator_traitsIS12_E10value_typeET2_T3_PNS13_IS18_E10value_typeET4_jRbjT5_S1E_jjP12ihipStream_tbEUljE_ZNSN_ISO_Lb0ESQ_SR_ST_SU_SY_EESZ_S10_S11_S12_S16_S17_S18_S1B_S1C_jS1D_jS1E_S1E_jjS1G_bEUljE0_EEESZ_S10_S11_S18_S1C_S1E_T6_T7_T9_mT8_S1G_bDpT10_ENKUlT_T0_E_clISt17integral_constantIbLb1EES1T_IbLb0EEEEDaS1P_S1Q_EUlS1P_E_NS1_11comp_targetILNS1_3genE0ELNS1_11target_archE4294967295ELNS1_3gpuE0ELNS1_3repE0EEENS1_30default_config_static_selectorELNS0_4arch9wavefront6targetE0EEEvS12_.uses_flat_scratch, 0
	.set _ZN7rocprim17ROCPRIM_400000_NS6detail17trampoline_kernelINS0_13select_configILj256ELj13ELNS0_17block_load_methodE3ELS4_3ELS4_3ELNS0_20block_scan_algorithmE0ELj4294967295EEENS1_25partition_config_selectorILNS1_17partition_subalgoE4EjNS0_10empty_typeEbEEZZNS1_14partition_implILS8_4ELb0ES6_15HIP_vector_typeIjLj2EENS0_17counting_iteratorIjlEEPS9_SG_NS0_5tupleIJPjSI_NS0_16reverse_iteratorISI_EEEEENSH_IJSG_SG_SG_EEES9_SI_JZNS1_25segmented_radix_sort_implINS0_14default_configELb0EPKaPaPKlPlN2at6native12_GLOBAL__N_18offset_tEEE10hipError_tPvRmT1_PNSt15iterator_traitsIS12_E10value_typeET2_T3_PNS13_IS18_E10value_typeET4_jRbjT5_S1E_jjP12ihipStream_tbEUljE_ZNSN_ISO_Lb0ESQ_SR_ST_SU_SY_EESZ_S10_S11_S12_S16_S17_S18_S1B_S1C_jS1D_jS1E_S1E_jjS1G_bEUljE0_EEESZ_S10_S11_S18_S1C_S1E_T6_T7_T9_mT8_S1G_bDpT10_ENKUlT_T0_E_clISt17integral_constantIbLb1EES1T_IbLb0EEEEDaS1P_S1Q_EUlS1P_E_NS1_11comp_targetILNS1_3genE0ELNS1_11target_archE4294967295ELNS1_3gpuE0ELNS1_3repE0EEENS1_30default_config_static_selectorELNS0_4arch9wavefront6targetE0EEEvS12_.has_dyn_sized_stack, 0
	.set _ZN7rocprim17ROCPRIM_400000_NS6detail17trampoline_kernelINS0_13select_configILj256ELj13ELNS0_17block_load_methodE3ELS4_3ELS4_3ELNS0_20block_scan_algorithmE0ELj4294967295EEENS1_25partition_config_selectorILNS1_17partition_subalgoE4EjNS0_10empty_typeEbEEZZNS1_14partition_implILS8_4ELb0ES6_15HIP_vector_typeIjLj2EENS0_17counting_iteratorIjlEEPS9_SG_NS0_5tupleIJPjSI_NS0_16reverse_iteratorISI_EEEEENSH_IJSG_SG_SG_EEES9_SI_JZNS1_25segmented_radix_sort_implINS0_14default_configELb0EPKaPaPKlPlN2at6native12_GLOBAL__N_18offset_tEEE10hipError_tPvRmT1_PNSt15iterator_traitsIS12_E10value_typeET2_T3_PNS13_IS18_E10value_typeET4_jRbjT5_S1E_jjP12ihipStream_tbEUljE_ZNSN_ISO_Lb0ESQ_SR_ST_SU_SY_EESZ_S10_S11_S12_S16_S17_S18_S1B_S1C_jS1D_jS1E_S1E_jjS1G_bEUljE0_EEESZ_S10_S11_S18_S1C_S1E_T6_T7_T9_mT8_S1G_bDpT10_ENKUlT_T0_E_clISt17integral_constantIbLb1EES1T_IbLb0EEEEDaS1P_S1Q_EUlS1P_E_NS1_11comp_targetILNS1_3genE0ELNS1_11target_archE4294967295ELNS1_3gpuE0ELNS1_3repE0EEENS1_30default_config_static_selectorELNS0_4arch9wavefront6targetE0EEEvS12_.has_recursion, 0
	.set _ZN7rocprim17ROCPRIM_400000_NS6detail17trampoline_kernelINS0_13select_configILj256ELj13ELNS0_17block_load_methodE3ELS4_3ELS4_3ELNS0_20block_scan_algorithmE0ELj4294967295EEENS1_25partition_config_selectorILNS1_17partition_subalgoE4EjNS0_10empty_typeEbEEZZNS1_14partition_implILS8_4ELb0ES6_15HIP_vector_typeIjLj2EENS0_17counting_iteratorIjlEEPS9_SG_NS0_5tupleIJPjSI_NS0_16reverse_iteratorISI_EEEEENSH_IJSG_SG_SG_EEES9_SI_JZNS1_25segmented_radix_sort_implINS0_14default_configELb0EPKaPaPKlPlN2at6native12_GLOBAL__N_18offset_tEEE10hipError_tPvRmT1_PNSt15iterator_traitsIS12_E10value_typeET2_T3_PNS13_IS18_E10value_typeET4_jRbjT5_S1E_jjP12ihipStream_tbEUljE_ZNSN_ISO_Lb0ESQ_SR_ST_SU_SY_EESZ_S10_S11_S12_S16_S17_S18_S1B_S1C_jS1D_jS1E_S1E_jjS1G_bEUljE0_EEESZ_S10_S11_S18_S1C_S1E_T6_T7_T9_mT8_S1G_bDpT10_ENKUlT_T0_E_clISt17integral_constantIbLb1EES1T_IbLb0EEEEDaS1P_S1Q_EUlS1P_E_NS1_11comp_targetILNS1_3genE0ELNS1_11target_archE4294967295ELNS1_3gpuE0ELNS1_3repE0EEENS1_30default_config_static_selectorELNS0_4arch9wavefront6targetE0EEEvS12_.has_indirect_call, 0
	.section	.AMDGPU.csdata,"",@progbits
; Kernel info:
; codeLenInByte = 0
; TotalNumSgprs: 0
; NumVgprs: 0
; ScratchSize: 0
; MemoryBound: 0
; FloatMode: 240
; IeeeMode: 1
; LDSByteSize: 0 bytes/workgroup (compile time only)
; SGPRBlocks: 0
; VGPRBlocks: 0
; NumSGPRsForWavesPerEU: 1
; NumVGPRsForWavesPerEU: 1
; Occupancy: 16
; WaveLimiterHint : 0
; COMPUTE_PGM_RSRC2:SCRATCH_EN: 0
; COMPUTE_PGM_RSRC2:USER_SGPR: 2
; COMPUTE_PGM_RSRC2:TRAP_HANDLER: 0
; COMPUTE_PGM_RSRC2:TGID_X_EN: 1
; COMPUTE_PGM_RSRC2:TGID_Y_EN: 0
; COMPUTE_PGM_RSRC2:TGID_Z_EN: 0
; COMPUTE_PGM_RSRC2:TIDIG_COMP_CNT: 0
	.section	.text._ZN7rocprim17ROCPRIM_400000_NS6detail17trampoline_kernelINS0_13select_configILj256ELj13ELNS0_17block_load_methodE3ELS4_3ELS4_3ELNS0_20block_scan_algorithmE0ELj4294967295EEENS1_25partition_config_selectorILNS1_17partition_subalgoE4EjNS0_10empty_typeEbEEZZNS1_14partition_implILS8_4ELb0ES6_15HIP_vector_typeIjLj2EENS0_17counting_iteratorIjlEEPS9_SG_NS0_5tupleIJPjSI_NS0_16reverse_iteratorISI_EEEEENSH_IJSG_SG_SG_EEES9_SI_JZNS1_25segmented_radix_sort_implINS0_14default_configELb0EPKaPaPKlPlN2at6native12_GLOBAL__N_18offset_tEEE10hipError_tPvRmT1_PNSt15iterator_traitsIS12_E10value_typeET2_T3_PNS13_IS18_E10value_typeET4_jRbjT5_S1E_jjP12ihipStream_tbEUljE_ZNSN_ISO_Lb0ESQ_SR_ST_SU_SY_EESZ_S10_S11_S12_S16_S17_S18_S1B_S1C_jS1D_jS1E_S1E_jjS1G_bEUljE0_EEESZ_S10_S11_S18_S1C_S1E_T6_T7_T9_mT8_S1G_bDpT10_ENKUlT_T0_E_clISt17integral_constantIbLb1EES1T_IbLb0EEEEDaS1P_S1Q_EUlS1P_E_NS1_11comp_targetILNS1_3genE5ELNS1_11target_archE942ELNS1_3gpuE9ELNS1_3repE0EEENS1_30default_config_static_selectorELNS0_4arch9wavefront6targetE0EEEvS12_,"axG",@progbits,_ZN7rocprim17ROCPRIM_400000_NS6detail17trampoline_kernelINS0_13select_configILj256ELj13ELNS0_17block_load_methodE3ELS4_3ELS4_3ELNS0_20block_scan_algorithmE0ELj4294967295EEENS1_25partition_config_selectorILNS1_17partition_subalgoE4EjNS0_10empty_typeEbEEZZNS1_14partition_implILS8_4ELb0ES6_15HIP_vector_typeIjLj2EENS0_17counting_iteratorIjlEEPS9_SG_NS0_5tupleIJPjSI_NS0_16reverse_iteratorISI_EEEEENSH_IJSG_SG_SG_EEES9_SI_JZNS1_25segmented_radix_sort_implINS0_14default_configELb0EPKaPaPKlPlN2at6native12_GLOBAL__N_18offset_tEEE10hipError_tPvRmT1_PNSt15iterator_traitsIS12_E10value_typeET2_T3_PNS13_IS18_E10value_typeET4_jRbjT5_S1E_jjP12ihipStream_tbEUljE_ZNSN_ISO_Lb0ESQ_SR_ST_SU_SY_EESZ_S10_S11_S12_S16_S17_S18_S1B_S1C_jS1D_jS1E_S1E_jjS1G_bEUljE0_EEESZ_S10_S11_S18_S1C_S1E_T6_T7_T9_mT8_S1G_bDpT10_ENKUlT_T0_E_clISt17integral_constantIbLb1EES1T_IbLb0EEEEDaS1P_S1Q_EUlS1P_E_NS1_11comp_targetILNS1_3genE5ELNS1_11target_archE942ELNS1_3gpuE9ELNS1_3repE0EEENS1_30default_config_static_selectorELNS0_4arch9wavefront6targetE0EEEvS12_,comdat
	.globl	_ZN7rocprim17ROCPRIM_400000_NS6detail17trampoline_kernelINS0_13select_configILj256ELj13ELNS0_17block_load_methodE3ELS4_3ELS4_3ELNS0_20block_scan_algorithmE0ELj4294967295EEENS1_25partition_config_selectorILNS1_17partition_subalgoE4EjNS0_10empty_typeEbEEZZNS1_14partition_implILS8_4ELb0ES6_15HIP_vector_typeIjLj2EENS0_17counting_iteratorIjlEEPS9_SG_NS0_5tupleIJPjSI_NS0_16reverse_iteratorISI_EEEEENSH_IJSG_SG_SG_EEES9_SI_JZNS1_25segmented_radix_sort_implINS0_14default_configELb0EPKaPaPKlPlN2at6native12_GLOBAL__N_18offset_tEEE10hipError_tPvRmT1_PNSt15iterator_traitsIS12_E10value_typeET2_T3_PNS13_IS18_E10value_typeET4_jRbjT5_S1E_jjP12ihipStream_tbEUljE_ZNSN_ISO_Lb0ESQ_SR_ST_SU_SY_EESZ_S10_S11_S12_S16_S17_S18_S1B_S1C_jS1D_jS1E_S1E_jjS1G_bEUljE0_EEESZ_S10_S11_S18_S1C_S1E_T6_T7_T9_mT8_S1G_bDpT10_ENKUlT_T0_E_clISt17integral_constantIbLb1EES1T_IbLb0EEEEDaS1P_S1Q_EUlS1P_E_NS1_11comp_targetILNS1_3genE5ELNS1_11target_archE942ELNS1_3gpuE9ELNS1_3repE0EEENS1_30default_config_static_selectorELNS0_4arch9wavefront6targetE0EEEvS12_ ; -- Begin function _ZN7rocprim17ROCPRIM_400000_NS6detail17trampoline_kernelINS0_13select_configILj256ELj13ELNS0_17block_load_methodE3ELS4_3ELS4_3ELNS0_20block_scan_algorithmE0ELj4294967295EEENS1_25partition_config_selectorILNS1_17partition_subalgoE4EjNS0_10empty_typeEbEEZZNS1_14partition_implILS8_4ELb0ES6_15HIP_vector_typeIjLj2EENS0_17counting_iteratorIjlEEPS9_SG_NS0_5tupleIJPjSI_NS0_16reverse_iteratorISI_EEEEENSH_IJSG_SG_SG_EEES9_SI_JZNS1_25segmented_radix_sort_implINS0_14default_configELb0EPKaPaPKlPlN2at6native12_GLOBAL__N_18offset_tEEE10hipError_tPvRmT1_PNSt15iterator_traitsIS12_E10value_typeET2_T3_PNS13_IS18_E10value_typeET4_jRbjT5_S1E_jjP12ihipStream_tbEUljE_ZNSN_ISO_Lb0ESQ_SR_ST_SU_SY_EESZ_S10_S11_S12_S16_S17_S18_S1B_S1C_jS1D_jS1E_S1E_jjS1G_bEUljE0_EEESZ_S10_S11_S18_S1C_S1E_T6_T7_T9_mT8_S1G_bDpT10_ENKUlT_T0_E_clISt17integral_constantIbLb1EES1T_IbLb0EEEEDaS1P_S1Q_EUlS1P_E_NS1_11comp_targetILNS1_3genE5ELNS1_11target_archE942ELNS1_3gpuE9ELNS1_3repE0EEENS1_30default_config_static_selectorELNS0_4arch9wavefront6targetE0EEEvS12_
	.p2align	8
	.type	_ZN7rocprim17ROCPRIM_400000_NS6detail17trampoline_kernelINS0_13select_configILj256ELj13ELNS0_17block_load_methodE3ELS4_3ELS4_3ELNS0_20block_scan_algorithmE0ELj4294967295EEENS1_25partition_config_selectorILNS1_17partition_subalgoE4EjNS0_10empty_typeEbEEZZNS1_14partition_implILS8_4ELb0ES6_15HIP_vector_typeIjLj2EENS0_17counting_iteratorIjlEEPS9_SG_NS0_5tupleIJPjSI_NS0_16reverse_iteratorISI_EEEEENSH_IJSG_SG_SG_EEES9_SI_JZNS1_25segmented_radix_sort_implINS0_14default_configELb0EPKaPaPKlPlN2at6native12_GLOBAL__N_18offset_tEEE10hipError_tPvRmT1_PNSt15iterator_traitsIS12_E10value_typeET2_T3_PNS13_IS18_E10value_typeET4_jRbjT5_S1E_jjP12ihipStream_tbEUljE_ZNSN_ISO_Lb0ESQ_SR_ST_SU_SY_EESZ_S10_S11_S12_S16_S17_S18_S1B_S1C_jS1D_jS1E_S1E_jjS1G_bEUljE0_EEESZ_S10_S11_S18_S1C_S1E_T6_T7_T9_mT8_S1G_bDpT10_ENKUlT_T0_E_clISt17integral_constantIbLb1EES1T_IbLb0EEEEDaS1P_S1Q_EUlS1P_E_NS1_11comp_targetILNS1_3genE5ELNS1_11target_archE942ELNS1_3gpuE9ELNS1_3repE0EEENS1_30default_config_static_selectorELNS0_4arch9wavefront6targetE0EEEvS12_,@function
_ZN7rocprim17ROCPRIM_400000_NS6detail17trampoline_kernelINS0_13select_configILj256ELj13ELNS0_17block_load_methodE3ELS4_3ELS4_3ELNS0_20block_scan_algorithmE0ELj4294967295EEENS1_25partition_config_selectorILNS1_17partition_subalgoE4EjNS0_10empty_typeEbEEZZNS1_14partition_implILS8_4ELb0ES6_15HIP_vector_typeIjLj2EENS0_17counting_iteratorIjlEEPS9_SG_NS0_5tupleIJPjSI_NS0_16reverse_iteratorISI_EEEEENSH_IJSG_SG_SG_EEES9_SI_JZNS1_25segmented_radix_sort_implINS0_14default_configELb0EPKaPaPKlPlN2at6native12_GLOBAL__N_18offset_tEEE10hipError_tPvRmT1_PNSt15iterator_traitsIS12_E10value_typeET2_T3_PNS13_IS18_E10value_typeET4_jRbjT5_S1E_jjP12ihipStream_tbEUljE_ZNSN_ISO_Lb0ESQ_SR_ST_SU_SY_EESZ_S10_S11_S12_S16_S17_S18_S1B_S1C_jS1D_jS1E_S1E_jjS1G_bEUljE0_EEESZ_S10_S11_S18_S1C_S1E_T6_T7_T9_mT8_S1G_bDpT10_ENKUlT_T0_E_clISt17integral_constantIbLb1EES1T_IbLb0EEEEDaS1P_S1Q_EUlS1P_E_NS1_11comp_targetILNS1_3genE5ELNS1_11target_archE942ELNS1_3gpuE9ELNS1_3repE0EEENS1_30default_config_static_selectorELNS0_4arch9wavefront6targetE0EEEvS12_: ; @_ZN7rocprim17ROCPRIM_400000_NS6detail17trampoline_kernelINS0_13select_configILj256ELj13ELNS0_17block_load_methodE3ELS4_3ELS4_3ELNS0_20block_scan_algorithmE0ELj4294967295EEENS1_25partition_config_selectorILNS1_17partition_subalgoE4EjNS0_10empty_typeEbEEZZNS1_14partition_implILS8_4ELb0ES6_15HIP_vector_typeIjLj2EENS0_17counting_iteratorIjlEEPS9_SG_NS0_5tupleIJPjSI_NS0_16reverse_iteratorISI_EEEEENSH_IJSG_SG_SG_EEES9_SI_JZNS1_25segmented_radix_sort_implINS0_14default_configELb0EPKaPaPKlPlN2at6native12_GLOBAL__N_18offset_tEEE10hipError_tPvRmT1_PNSt15iterator_traitsIS12_E10value_typeET2_T3_PNS13_IS18_E10value_typeET4_jRbjT5_S1E_jjP12ihipStream_tbEUljE_ZNSN_ISO_Lb0ESQ_SR_ST_SU_SY_EESZ_S10_S11_S12_S16_S17_S18_S1B_S1C_jS1D_jS1E_S1E_jjS1G_bEUljE0_EEESZ_S10_S11_S18_S1C_S1E_T6_T7_T9_mT8_S1G_bDpT10_ENKUlT_T0_E_clISt17integral_constantIbLb1EES1T_IbLb0EEEEDaS1P_S1Q_EUlS1P_E_NS1_11comp_targetILNS1_3genE5ELNS1_11target_archE942ELNS1_3gpuE9ELNS1_3repE0EEENS1_30default_config_static_selectorELNS0_4arch9wavefront6targetE0EEEvS12_
; %bb.0:
	.section	.rodata,"a",@progbits
	.p2align	6, 0x0
	.amdhsa_kernel _ZN7rocprim17ROCPRIM_400000_NS6detail17trampoline_kernelINS0_13select_configILj256ELj13ELNS0_17block_load_methodE3ELS4_3ELS4_3ELNS0_20block_scan_algorithmE0ELj4294967295EEENS1_25partition_config_selectorILNS1_17partition_subalgoE4EjNS0_10empty_typeEbEEZZNS1_14partition_implILS8_4ELb0ES6_15HIP_vector_typeIjLj2EENS0_17counting_iteratorIjlEEPS9_SG_NS0_5tupleIJPjSI_NS0_16reverse_iteratorISI_EEEEENSH_IJSG_SG_SG_EEES9_SI_JZNS1_25segmented_radix_sort_implINS0_14default_configELb0EPKaPaPKlPlN2at6native12_GLOBAL__N_18offset_tEEE10hipError_tPvRmT1_PNSt15iterator_traitsIS12_E10value_typeET2_T3_PNS13_IS18_E10value_typeET4_jRbjT5_S1E_jjP12ihipStream_tbEUljE_ZNSN_ISO_Lb0ESQ_SR_ST_SU_SY_EESZ_S10_S11_S12_S16_S17_S18_S1B_S1C_jS1D_jS1E_S1E_jjS1G_bEUljE0_EEESZ_S10_S11_S18_S1C_S1E_T6_T7_T9_mT8_S1G_bDpT10_ENKUlT_T0_E_clISt17integral_constantIbLb1EES1T_IbLb0EEEEDaS1P_S1Q_EUlS1P_E_NS1_11comp_targetILNS1_3genE5ELNS1_11target_archE942ELNS1_3gpuE9ELNS1_3repE0EEENS1_30default_config_static_selectorELNS0_4arch9wavefront6targetE0EEEvS12_
		.amdhsa_group_segment_fixed_size 0
		.amdhsa_private_segment_fixed_size 0
		.amdhsa_kernarg_size 176
		.amdhsa_user_sgpr_count 2
		.amdhsa_user_sgpr_dispatch_ptr 0
		.amdhsa_user_sgpr_queue_ptr 0
		.amdhsa_user_sgpr_kernarg_segment_ptr 1
		.amdhsa_user_sgpr_dispatch_id 0
		.amdhsa_user_sgpr_private_segment_size 0
		.amdhsa_wavefront_size32 1
		.amdhsa_uses_dynamic_stack 0
		.amdhsa_enable_private_segment 0
		.amdhsa_system_sgpr_workgroup_id_x 1
		.amdhsa_system_sgpr_workgroup_id_y 0
		.amdhsa_system_sgpr_workgroup_id_z 0
		.amdhsa_system_sgpr_workgroup_info 0
		.amdhsa_system_vgpr_workitem_id 0
		.amdhsa_next_free_vgpr 1
		.amdhsa_next_free_sgpr 1
		.amdhsa_reserve_vcc 0
		.amdhsa_float_round_mode_32 0
		.amdhsa_float_round_mode_16_64 0
		.amdhsa_float_denorm_mode_32 3
		.amdhsa_float_denorm_mode_16_64 3
		.amdhsa_fp16_overflow 0
		.amdhsa_workgroup_processor_mode 1
		.amdhsa_memory_ordered 1
		.amdhsa_forward_progress 1
		.amdhsa_inst_pref_size 0
		.amdhsa_round_robin_scheduling 0
		.amdhsa_exception_fp_ieee_invalid_op 0
		.amdhsa_exception_fp_denorm_src 0
		.amdhsa_exception_fp_ieee_div_zero 0
		.amdhsa_exception_fp_ieee_overflow 0
		.amdhsa_exception_fp_ieee_underflow 0
		.amdhsa_exception_fp_ieee_inexact 0
		.amdhsa_exception_int_div_zero 0
	.end_amdhsa_kernel
	.section	.text._ZN7rocprim17ROCPRIM_400000_NS6detail17trampoline_kernelINS0_13select_configILj256ELj13ELNS0_17block_load_methodE3ELS4_3ELS4_3ELNS0_20block_scan_algorithmE0ELj4294967295EEENS1_25partition_config_selectorILNS1_17partition_subalgoE4EjNS0_10empty_typeEbEEZZNS1_14partition_implILS8_4ELb0ES6_15HIP_vector_typeIjLj2EENS0_17counting_iteratorIjlEEPS9_SG_NS0_5tupleIJPjSI_NS0_16reverse_iteratorISI_EEEEENSH_IJSG_SG_SG_EEES9_SI_JZNS1_25segmented_radix_sort_implINS0_14default_configELb0EPKaPaPKlPlN2at6native12_GLOBAL__N_18offset_tEEE10hipError_tPvRmT1_PNSt15iterator_traitsIS12_E10value_typeET2_T3_PNS13_IS18_E10value_typeET4_jRbjT5_S1E_jjP12ihipStream_tbEUljE_ZNSN_ISO_Lb0ESQ_SR_ST_SU_SY_EESZ_S10_S11_S12_S16_S17_S18_S1B_S1C_jS1D_jS1E_S1E_jjS1G_bEUljE0_EEESZ_S10_S11_S18_S1C_S1E_T6_T7_T9_mT8_S1G_bDpT10_ENKUlT_T0_E_clISt17integral_constantIbLb1EES1T_IbLb0EEEEDaS1P_S1Q_EUlS1P_E_NS1_11comp_targetILNS1_3genE5ELNS1_11target_archE942ELNS1_3gpuE9ELNS1_3repE0EEENS1_30default_config_static_selectorELNS0_4arch9wavefront6targetE0EEEvS12_,"axG",@progbits,_ZN7rocprim17ROCPRIM_400000_NS6detail17trampoline_kernelINS0_13select_configILj256ELj13ELNS0_17block_load_methodE3ELS4_3ELS4_3ELNS0_20block_scan_algorithmE0ELj4294967295EEENS1_25partition_config_selectorILNS1_17partition_subalgoE4EjNS0_10empty_typeEbEEZZNS1_14partition_implILS8_4ELb0ES6_15HIP_vector_typeIjLj2EENS0_17counting_iteratorIjlEEPS9_SG_NS0_5tupleIJPjSI_NS0_16reverse_iteratorISI_EEEEENSH_IJSG_SG_SG_EEES9_SI_JZNS1_25segmented_radix_sort_implINS0_14default_configELb0EPKaPaPKlPlN2at6native12_GLOBAL__N_18offset_tEEE10hipError_tPvRmT1_PNSt15iterator_traitsIS12_E10value_typeET2_T3_PNS13_IS18_E10value_typeET4_jRbjT5_S1E_jjP12ihipStream_tbEUljE_ZNSN_ISO_Lb0ESQ_SR_ST_SU_SY_EESZ_S10_S11_S12_S16_S17_S18_S1B_S1C_jS1D_jS1E_S1E_jjS1G_bEUljE0_EEESZ_S10_S11_S18_S1C_S1E_T6_T7_T9_mT8_S1G_bDpT10_ENKUlT_T0_E_clISt17integral_constantIbLb1EES1T_IbLb0EEEEDaS1P_S1Q_EUlS1P_E_NS1_11comp_targetILNS1_3genE5ELNS1_11target_archE942ELNS1_3gpuE9ELNS1_3repE0EEENS1_30default_config_static_selectorELNS0_4arch9wavefront6targetE0EEEvS12_,comdat
.Lfunc_end346:
	.size	_ZN7rocprim17ROCPRIM_400000_NS6detail17trampoline_kernelINS0_13select_configILj256ELj13ELNS0_17block_load_methodE3ELS4_3ELS4_3ELNS0_20block_scan_algorithmE0ELj4294967295EEENS1_25partition_config_selectorILNS1_17partition_subalgoE4EjNS0_10empty_typeEbEEZZNS1_14partition_implILS8_4ELb0ES6_15HIP_vector_typeIjLj2EENS0_17counting_iteratorIjlEEPS9_SG_NS0_5tupleIJPjSI_NS0_16reverse_iteratorISI_EEEEENSH_IJSG_SG_SG_EEES9_SI_JZNS1_25segmented_radix_sort_implINS0_14default_configELb0EPKaPaPKlPlN2at6native12_GLOBAL__N_18offset_tEEE10hipError_tPvRmT1_PNSt15iterator_traitsIS12_E10value_typeET2_T3_PNS13_IS18_E10value_typeET4_jRbjT5_S1E_jjP12ihipStream_tbEUljE_ZNSN_ISO_Lb0ESQ_SR_ST_SU_SY_EESZ_S10_S11_S12_S16_S17_S18_S1B_S1C_jS1D_jS1E_S1E_jjS1G_bEUljE0_EEESZ_S10_S11_S18_S1C_S1E_T6_T7_T9_mT8_S1G_bDpT10_ENKUlT_T0_E_clISt17integral_constantIbLb1EES1T_IbLb0EEEEDaS1P_S1Q_EUlS1P_E_NS1_11comp_targetILNS1_3genE5ELNS1_11target_archE942ELNS1_3gpuE9ELNS1_3repE0EEENS1_30default_config_static_selectorELNS0_4arch9wavefront6targetE0EEEvS12_, .Lfunc_end346-_ZN7rocprim17ROCPRIM_400000_NS6detail17trampoline_kernelINS0_13select_configILj256ELj13ELNS0_17block_load_methodE3ELS4_3ELS4_3ELNS0_20block_scan_algorithmE0ELj4294967295EEENS1_25partition_config_selectorILNS1_17partition_subalgoE4EjNS0_10empty_typeEbEEZZNS1_14partition_implILS8_4ELb0ES6_15HIP_vector_typeIjLj2EENS0_17counting_iteratorIjlEEPS9_SG_NS0_5tupleIJPjSI_NS0_16reverse_iteratorISI_EEEEENSH_IJSG_SG_SG_EEES9_SI_JZNS1_25segmented_radix_sort_implINS0_14default_configELb0EPKaPaPKlPlN2at6native12_GLOBAL__N_18offset_tEEE10hipError_tPvRmT1_PNSt15iterator_traitsIS12_E10value_typeET2_T3_PNS13_IS18_E10value_typeET4_jRbjT5_S1E_jjP12ihipStream_tbEUljE_ZNSN_ISO_Lb0ESQ_SR_ST_SU_SY_EESZ_S10_S11_S12_S16_S17_S18_S1B_S1C_jS1D_jS1E_S1E_jjS1G_bEUljE0_EEESZ_S10_S11_S18_S1C_S1E_T6_T7_T9_mT8_S1G_bDpT10_ENKUlT_T0_E_clISt17integral_constantIbLb1EES1T_IbLb0EEEEDaS1P_S1Q_EUlS1P_E_NS1_11comp_targetILNS1_3genE5ELNS1_11target_archE942ELNS1_3gpuE9ELNS1_3repE0EEENS1_30default_config_static_selectorELNS0_4arch9wavefront6targetE0EEEvS12_
                                        ; -- End function
	.set _ZN7rocprim17ROCPRIM_400000_NS6detail17trampoline_kernelINS0_13select_configILj256ELj13ELNS0_17block_load_methodE3ELS4_3ELS4_3ELNS0_20block_scan_algorithmE0ELj4294967295EEENS1_25partition_config_selectorILNS1_17partition_subalgoE4EjNS0_10empty_typeEbEEZZNS1_14partition_implILS8_4ELb0ES6_15HIP_vector_typeIjLj2EENS0_17counting_iteratorIjlEEPS9_SG_NS0_5tupleIJPjSI_NS0_16reverse_iteratorISI_EEEEENSH_IJSG_SG_SG_EEES9_SI_JZNS1_25segmented_radix_sort_implINS0_14default_configELb0EPKaPaPKlPlN2at6native12_GLOBAL__N_18offset_tEEE10hipError_tPvRmT1_PNSt15iterator_traitsIS12_E10value_typeET2_T3_PNS13_IS18_E10value_typeET4_jRbjT5_S1E_jjP12ihipStream_tbEUljE_ZNSN_ISO_Lb0ESQ_SR_ST_SU_SY_EESZ_S10_S11_S12_S16_S17_S18_S1B_S1C_jS1D_jS1E_S1E_jjS1G_bEUljE0_EEESZ_S10_S11_S18_S1C_S1E_T6_T7_T9_mT8_S1G_bDpT10_ENKUlT_T0_E_clISt17integral_constantIbLb1EES1T_IbLb0EEEEDaS1P_S1Q_EUlS1P_E_NS1_11comp_targetILNS1_3genE5ELNS1_11target_archE942ELNS1_3gpuE9ELNS1_3repE0EEENS1_30default_config_static_selectorELNS0_4arch9wavefront6targetE0EEEvS12_.num_vgpr, 0
	.set _ZN7rocprim17ROCPRIM_400000_NS6detail17trampoline_kernelINS0_13select_configILj256ELj13ELNS0_17block_load_methodE3ELS4_3ELS4_3ELNS0_20block_scan_algorithmE0ELj4294967295EEENS1_25partition_config_selectorILNS1_17partition_subalgoE4EjNS0_10empty_typeEbEEZZNS1_14partition_implILS8_4ELb0ES6_15HIP_vector_typeIjLj2EENS0_17counting_iteratorIjlEEPS9_SG_NS0_5tupleIJPjSI_NS0_16reverse_iteratorISI_EEEEENSH_IJSG_SG_SG_EEES9_SI_JZNS1_25segmented_radix_sort_implINS0_14default_configELb0EPKaPaPKlPlN2at6native12_GLOBAL__N_18offset_tEEE10hipError_tPvRmT1_PNSt15iterator_traitsIS12_E10value_typeET2_T3_PNS13_IS18_E10value_typeET4_jRbjT5_S1E_jjP12ihipStream_tbEUljE_ZNSN_ISO_Lb0ESQ_SR_ST_SU_SY_EESZ_S10_S11_S12_S16_S17_S18_S1B_S1C_jS1D_jS1E_S1E_jjS1G_bEUljE0_EEESZ_S10_S11_S18_S1C_S1E_T6_T7_T9_mT8_S1G_bDpT10_ENKUlT_T0_E_clISt17integral_constantIbLb1EES1T_IbLb0EEEEDaS1P_S1Q_EUlS1P_E_NS1_11comp_targetILNS1_3genE5ELNS1_11target_archE942ELNS1_3gpuE9ELNS1_3repE0EEENS1_30default_config_static_selectorELNS0_4arch9wavefront6targetE0EEEvS12_.num_agpr, 0
	.set _ZN7rocprim17ROCPRIM_400000_NS6detail17trampoline_kernelINS0_13select_configILj256ELj13ELNS0_17block_load_methodE3ELS4_3ELS4_3ELNS0_20block_scan_algorithmE0ELj4294967295EEENS1_25partition_config_selectorILNS1_17partition_subalgoE4EjNS0_10empty_typeEbEEZZNS1_14partition_implILS8_4ELb0ES6_15HIP_vector_typeIjLj2EENS0_17counting_iteratorIjlEEPS9_SG_NS0_5tupleIJPjSI_NS0_16reverse_iteratorISI_EEEEENSH_IJSG_SG_SG_EEES9_SI_JZNS1_25segmented_radix_sort_implINS0_14default_configELb0EPKaPaPKlPlN2at6native12_GLOBAL__N_18offset_tEEE10hipError_tPvRmT1_PNSt15iterator_traitsIS12_E10value_typeET2_T3_PNS13_IS18_E10value_typeET4_jRbjT5_S1E_jjP12ihipStream_tbEUljE_ZNSN_ISO_Lb0ESQ_SR_ST_SU_SY_EESZ_S10_S11_S12_S16_S17_S18_S1B_S1C_jS1D_jS1E_S1E_jjS1G_bEUljE0_EEESZ_S10_S11_S18_S1C_S1E_T6_T7_T9_mT8_S1G_bDpT10_ENKUlT_T0_E_clISt17integral_constantIbLb1EES1T_IbLb0EEEEDaS1P_S1Q_EUlS1P_E_NS1_11comp_targetILNS1_3genE5ELNS1_11target_archE942ELNS1_3gpuE9ELNS1_3repE0EEENS1_30default_config_static_selectorELNS0_4arch9wavefront6targetE0EEEvS12_.numbered_sgpr, 0
	.set _ZN7rocprim17ROCPRIM_400000_NS6detail17trampoline_kernelINS0_13select_configILj256ELj13ELNS0_17block_load_methodE3ELS4_3ELS4_3ELNS0_20block_scan_algorithmE0ELj4294967295EEENS1_25partition_config_selectorILNS1_17partition_subalgoE4EjNS0_10empty_typeEbEEZZNS1_14partition_implILS8_4ELb0ES6_15HIP_vector_typeIjLj2EENS0_17counting_iteratorIjlEEPS9_SG_NS0_5tupleIJPjSI_NS0_16reverse_iteratorISI_EEEEENSH_IJSG_SG_SG_EEES9_SI_JZNS1_25segmented_radix_sort_implINS0_14default_configELb0EPKaPaPKlPlN2at6native12_GLOBAL__N_18offset_tEEE10hipError_tPvRmT1_PNSt15iterator_traitsIS12_E10value_typeET2_T3_PNS13_IS18_E10value_typeET4_jRbjT5_S1E_jjP12ihipStream_tbEUljE_ZNSN_ISO_Lb0ESQ_SR_ST_SU_SY_EESZ_S10_S11_S12_S16_S17_S18_S1B_S1C_jS1D_jS1E_S1E_jjS1G_bEUljE0_EEESZ_S10_S11_S18_S1C_S1E_T6_T7_T9_mT8_S1G_bDpT10_ENKUlT_T0_E_clISt17integral_constantIbLb1EES1T_IbLb0EEEEDaS1P_S1Q_EUlS1P_E_NS1_11comp_targetILNS1_3genE5ELNS1_11target_archE942ELNS1_3gpuE9ELNS1_3repE0EEENS1_30default_config_static_selectorELNS0_4arch9wavefront6targetE0EEEvS12_.num_named_barrier, 0
	.set _ZN7rocprim17ROCPRIM_400000_NS6detail17trampoline_kernelINS0_13select_configILj256ELj13ELNS0_17block_load_methodE3ELS4_3ELS4_3ELNS0_20block_scan_algorithmE0ELj4294967295EEENS1_25partition_config_selectorILNS1_17partition_subalgoE4EjNS0_10empty_typeEbEEZZNS1_14partition_implILS8_4ELb0ES6_15HIP_vector_typeIjLj2EENS0_17counting_iteratorIjlEEPS9_SG_NS0_5tupleIJPjSI_NS0_16reverse_iteratorISI_EEEEENSH_IJSG_SG_SG_EEES9_SI_JZNS1_25segmented_radix_sort_implINS0_14default_configELb0EPKaPaPKlPlN2at6native12_GLOBAL__N_18offset_tEEE10hipError_tPvRmT1_PNSt15iterator_traitsIS12_E10value_typeET2_T3_PNS13_IS18_E10value_typeET4_jRbjT5_S1E_jjP12ihipStream_tbEUljE_ZNSN_ISO_Lb0ESQ_SR_ST_SU_SY_EESZ_S10_S11_S12_S16_S17_S18_S1B_S1C_jS1D_jS1E_S1E_jjS1G_bEUljE0_EEESZ_S10_S11_S18_S1C_S1E_T6_T7_T9_mT8_S1G_bDpT10_ENKUlT_T0_E_clISt17integral_constantIbLb1EES1T_IbLb0EEEEDaS1P_S1Q_EUlS1P_E_NS1_11comp_targetILNS1_3genE5ELNS1_11target_archE942ELNS1_3gpuE9ELNS1_3repE0EEENS1_30default_config_static_selectorELNS0_4arch9wavefront6targetE0EEEvS12_.private_seg_size, 0
	.set _ZN7rocprim17ROCPRIM_400000_NS6detail17trampoline_kernelINS0_13select_configILj256ELj13ELNS0_17block_load_methodE3ELS4_3ELS4_3ELNS0_20block_scan_algorithmE0ELj4294967295EEENS1_25partition_config_selectorILNS1_17partition_subalgoE4EjNS0_10empty_typeEbEEZZNS1_14partition_implILS8_4ELb0ES6_15HIP_vector_typeIjLj2EENS0_17counting_iteratorIjlEEPS9_SG_NS0_5tupleIJPjSI_NS0_16reverse_iteratorISI_EEEEENSH_IJSG_SG_SG_EEES9_SI_JZNS1_25segmented_radix_sort_implINS0_14default_configELb0EPKaPaPKlPlN2at6native12_GLOBAL__N_18offset_tEEE10hipError_tPvRmT1_PNSt15iterator_traitsIS12_E10value_typeET2_T3_PNS13_IS18_E10value_typeET4_jRbjT5_S1E_jjP12ihipStream_tbEUljE_ZNSN_ISO_Lb0ESQ_SR_ST_SU_SY_EESZ_S10_S11_S12_S16_S17_S18_S1B_S1C_jS1D_jS1E_S1E_jjS1G_bEUljE0_EEESZ_S10_S11_S18_S1C_S1E_T6_T7_T9_mT8_S1G_bDpT10_ENKUlT_T0_E_clISt17integral_constantIbLb1EES1T_IbLb0EEEEDaS1P_S1Q_EUlS1P_E_NS1_11comp_targetILNS1_3genE5ELNS1_11target_archE942ELNS1_3gpuE9ELNS1_3repE0EEENS1_30default_config_static_selectorELNS0_4arch9wavefront6targetE0EEEvS12_.uses_vcc, 0
	.set _ZN7rocprim17ROCPRIM_400000_NS6detail17trampoline_kernelINS0_13select_configILj256ELj13ELNS0_17block_load_methodE3ELS4_3ELS4_3ELNS0_20block_scan_algorithmE0ELj4294967295EEENS1_25partition_config_selectorILNS1_17partition_subalgoE4EjNS0_10empty_typeEbEEZZNS1_14partition_implILS8_4ELb0ES6_15HIP_vector_typeIjLj2EENS0_17counting_iteratorIjlEEPS9_SG_NS0_5tupleIJPjSI_NS0_16reverse_iteratorISI_EEEEENSH_IJSG_SG_SG_EEES9_SI_JZNS1_25segmented_radix_sort_implINS0_14default_configELb0EPKaPaPKlPlN2at6native12_GLOBAL__N_18offset_tEEE10hipError_tPvRmT1_PNSt15iterator_traitsIS12_E10value_typeET2_T3_PNS13_IS18_E10value_typeET4_jRbjT5_S1E_jjP12ihipStream_tbEUljE_ZNSN_ISO_Lb0ESQ_SR_ST_SU_SY_EESZ_S10_S11_S12_S16_S17_S18_S1B_S1C_jS1D_jS1E_S1E_jjS1G_bEUljE0_EEESZ_S10_S11_S18_S1C_S1E_T6_T7_T9_mT8_S1G_bDpT10_ENKUlT_T0_E_clISt17integral_constantIbLb1EES1T_IbLb0EEEEDaS1P_S1Q_EUlS1P_E_NS1_11comp_targetILNS1_3genE5ELNS1_11target_archE942ELNS1_3gpuE9ELNS1_3repE0EEENS1_30default_config_static_selectorELNS0_4arch9wavefront6targetE0EEEvS12_.uses_flat_scratch, 0
	.set _ZN7rocprim17ROCPRIM_400000_NS6detail17trampoline_kernelINS0_13select_configILj256ELj13ELNS0_17block_load_methodE3ELS4_3ELS4_3ELNS0_20block_scan_algorithmE0ELj4294967295EEENS1_25partition_config_selectorILNS1_17partition_subalgoE4EjNS0_10empty_typeEbEEZZNS1_14partition_implILS8_4ELb0ES6_15HIP_vector_typeIjLj2EENS0_17counting_iteratorIjlEEPS9_SG_NS0_5tupleIJPjSI_NS0_16reverse_iteratorISI_EEEEENSH_IJSG_SG_SG_EEES9_SI_JZNS1_25segmented_radix_sort_implINS0_14default_configELb0EPKaPaPKlPlN2at6native12_GLOBAL__N_18offset_tEEE10hipError_tPvRmT1_PNSt15iterator_traitsIS12_E10value_typeET2_T3_PNS13_IS18_E10value_typeET4_jRbjT5_S1E_jjP12ihipStream_tbEUljE_ZNSN_ISO_Lb0ESQ_SR_ST_SU_SY_EESZ_S10_S11_S12_S16_S17_S18_S1B_S1C_jS1D_jS1E_S1E_jjS1G_bEUljE0_EEESZ_S10_S11_S18_S1C_S1E_T6_T7_T9_mT8_S1G_bDpT10_ENKUlT_T0_E_clISt17integral_constantIbLb1EES1T_IbLb0EEEEDaS1P_S1Q_EUlS1P_E_NS1_11comp_targetILNS1_3genE5ELNS1_11target_archE942ELNS1_3gpuE9ELNS1_3repE0EEENS1_30default_config_static_selectorELNS0_4arch9wavefront6targetE0EEEvS12_.has_dyn_sized_stack, 0
	.set _ZN7rocprim17ROCPRIM_400000_NS6detail17trampoline_kernelINS0_13select_configILj256ELj13ELNS0_17block_load_methodE3ELS4_3ELS4_3ELNS0_20block_scan_algorithmE0ELj4294967295EEENS1_25partition_config_selectorILNS1_17partition_subalgoE4EjNS0_10empty_typeEbEEZZNS1_14partition_implILS8_4ELb0ES6_15HIP_vector_typeIjLj2EENS0_17counting_iteratorIjlEEPS9_SG_NS0_5tupleIJPjSI_NS0_16reverse_iteratorISI_EEEEENSH_IJSG_SG_SG_EEES9_SI_JZNS1_25segmented_radix_sort_implINS0_14default_configELb0EPKaPaPKlPlN2at6native12_GLOBAL__N_18offset_tEEE10hipError_tPvRmT1_PNSt15iterator_traitsIS12_E10value_typeET2_T3_PNS13_IS18_E10value_typeET4_jRbjT5_S1E_jjP12ihipStream_tbEUljE_ZNSN_ISO_Lb0ESQ_SR_ST_SU_SY_EESZ_S10_S11_S12_S16_S17_S18_S1B_S1C_jS1D_jS1E_S1E_jjS1G_bEUljE0_EEESZ_S10_S11_S18_S1C_S1E_T6_T7_T9_mT8_S1G_bDpT10_ENKUlT_T0_E_clISt17integral_constantIbLb1EES1T_IbLb0EEEEDaS1P_S1Q_EUlS1P_E_NS1_11comp_targetILNS1_3genE5ELNS1_11target_archE942ELNS1_3gpuE9ELNS1_3repE0EEENS1_30default_config_static_selectorELNS0_4arch9wavefront6targetE0EEEvS12_.has_recursion, 0
	.set _ZN7rocprim17ROCPRIM_400000_NS6detail17trampoline_kernelINS0_13select_configILj256ELj13ELNS0_17block_load_methodE3ELS4_3ELS4_3ELNS0_20block_scan_algorithmE0ELj4294967295EEENS1_25partition_config_selectorILNS1_17partition_subalgoE4EjNS0_10empty_typeEbEEZZNS1_14partition_implILS8_4ELb0ES6_15HIP_vector_typeIjLj2EENS0_17counting_iteratorIjlEEPS9_SG_NS0_5tupleIJPjSI_NS0_16reverse_iteratorISI_EEEEENSH_IJSG_SG_SG_EEES9_SI_JZNS1_25segmented_radix_sort_implINS0_14default_configELb0EPKaPaPKlPlN2at6native12_GLOBAL__N_18offset_tEEE10hipError_tPvRmT1_PNSt15iterator_traitsIS12_E10value_typeET2_T3_PNS13_IS18_E10value_typeET4_jRbjT5_S1E_jjP12ihipStream_tbEUljE_ZNSN_ISO_Lb0ESQ_SR_ST_SU_SY_EESZ_S10_S11_S12_S16_S17_S18_S1B_S1C_jS1D_jS1E_S1E_jjS1G_bEUljE0_EEESZ_S10_S11_S18_S1C_S1E_T6_T7_T9_mT8_S1G_bDpT10_ENKUlT_T0_E_clISt17integral_constantIbLb1EES1T_IbLb0EEEEDaS1P_S1Q_EUlS1P_E_NS1_11comp_targetILNS1_3genE5ELNS1_11target_archE942ELNS1_3gpuE9ELNS1_3repE0EEENS1_30default_config_static_selectorELNS0_4arch9wavefront6targetE0EEEvS12_.has_indirect_call, 0
	.section	.AMDGPU.csdata,"",@progbits
; Kernel info:
; codeLenInByte = 0
; TotalNumSgprs: 0
; NumVgprs: 0
; ScratchSize: 0
; MemoryBound: 0
; FloatMode: 240
; IeeeMode: 1
; LDSByteSize: 0 bytes/workgroup (compile time only)
; SGPRBlocks: 0
; VGPRBlocks: 0
; NumSGPRsForWavesPerEU: 1
; NumVGPRsForWavesPerEU: 1
; Occupancy: 16
; WaveLimiterHint : 0
; COMPUTE_PGM_RSRC2:SCRATCH_EN: 0
; COMPUTE_PGM_RSRC2:USER_SGPR: 2
; COMPUTE_PGM_RSRC2:TRAP_HANDLER: 0
; COMPUTE_PGM_RSRC2:TGID_X_EN: 1
; COMPUTE_PGM_RSRC2:TGID_Y_EN: 0
; COMPUTE_PGM_RSRC2:TGID_Z_EN: 0
; COMPUTE_PGM_RSRC2:TIDIG_COMP_CNT: 0
	.section	.text._ZN7rocprim17ROCPRIM_400000_NS6detail17trampoline_kernelINS0_13select_configILj256ELj13ELNS0_17block_load_methodE3ELS4_3ELS4_3ELNS0_20block_scan_algorithmE0ELj4294967295EEENS1_25partition_config_selectorILNS1_17partition_subalgoE4EjNS0_10empty_typeEbEEZZNS1_14partition_implILS8_4ELb0ES6_15HIP_vector_typeIjLj2EENS0_17counting_iteratorIjlEEPS9_SG_NS0_5tupleIJPjSI_NS0_16reverse_iteratorISI_EEEEENSH_IJSG_SG_SG_EEES9_SI_JZNS1_25segmented_radix_sort_implINS0_14default_configELb0EPKaPaPKlPlN2at6native12_GLOBAL__N_18offset_tEEE10hipError_tPvRmT1_PNSt15iterator_traitsIS12_E10value_typeET2_T3_PNS13_IS18_E10value_typeET4_jRbjT5_S1E_jjP12ihipStream_tbEUljE_ZNSN_ISO_Lb0ESQ_SR_ST_SU_SY_EESZ_S10_S11_S12_S16_S17_S18_S1B_S1C_jS1D_jS1E_S1E_jjS1G_bEUljE0_EEESZ_S10_S11_S18_S1C_S1E_T6_T7_T9_mT8_S1G_bDpT10_ENKUlT_T0_E_clISt17integral_constantIbLb1EES1T_IbLb0EEEEDaS1P_S1Q_EUlS1P_E_NS1_11comp_targetILNS1_3genE4ELNS1_11target_archE910ELNS1_3gpuE8ELNS1_3repE0EEENS1_30default_config_static_selectorELNS0_4arch9wavefront6targetE0EEEvS12_,"axG",@progbits,_ZN7rocprim17ROCPRIM_400000_NS6detail17trampoline_kernelINS0_13select_configILj256ELj13ELNS0_17block_load_methodE3ELS4_3ELS4_3ELNS0_20block_scan_algorithmE0ELj4294967295EEENS1_25partition_config_selectorILNS1_17partition_subalgoE4EjNS0_10empty_typeEbEEZZNS1_14partition_implILS8_4ELb0ES6_15HIP_vector_typeIjLj2EENS0_17counting_iteratorIjlEEPS9_SG_NS0_5tupleIJPjSI_NS0_16reverse_iteratorISI_EEEEENSH_IJSG_SG_SG_EEES9_SI_JZNS1_25segmented_radix_sort_implINS0_14default_configELb0EPKaPaPKlPlN2at6native12_GLOBAL__N_18offset_tEEE10hipError_tPvRmT1_PNSt15iterator_traitsIS12_E10value_typeET2_T3_PNS13_IS18_E10value_typeET4_jRbjT5_S1E_jjP12ihipStream_tbEUljE_ZNSN_ISO_Lb0ESQ_SR_ST_SU_SY_EESZ_S10_S11_S12_S16_S17_S18_S1B_S1C_jS1D_jS1E_S1E_jjS1G_bEUljE0_EEESZ_S10_S11_S18_S1C_S1E_T6_T7_T9_mT8_S1G_bDpT10_ENKUlT_T0_E_clISt17integral_constantIbLb1EES1T_IbLb0EEEEDaS1P_S1Q_EUlS1P_E_NS1_11comp_targetILNS1_3genE4ELNS1_11target_archE910ELNS1_3gpuE8ELNS1_3repE0EEENS1_30default_config_static_selectorELNS0_4arch9wavefront6targetE0EEEvS12_,comdat
	.globl	_ZN7rocprim17ROCPRIM_400000_NS6detail17trampoline_kernelINS0_13select_configILj256ELj13ELNS0_17block_load_methodE3ELS4_3ELS4_3ELNS0_20block_scan_algorithmE0ELj4294967295EEENS1_25partition_config_selectorILNS1_17partition_subalgoE4EjNS0_10empty_typeEbEEZZNS1_14partition_implILS8_4ELb0ES6_15HIP_vector_typeIjLj2EENS0_17counting_iteratorIjlEEPS9_SG_NS0_5tupleIJPjSI_NS0_16reverse_iteratorISI_EEEEENSH_IJSG_SG_SG_EEES9_SI_JZNS1_25segmented_radix_sort_implINS0_14default_configELb0EPKaPaPKlPlN2at6native12_GLOBAL__N_18offset_tEEE10hipError_tPvRmT1_PNSt15iterator_traitsIS12_E10value_typeET2_T3_PNS13_IS18_E10value_typeET4_jRbjT5_S1E_jjP12ihipStream_tbEUljE_ZNSN_ISO_Lb0ESQ_SR_ST_SU_SY_EESZ_S10_S11_S12_S16_S17_S18_S1B_S1C_jS1D_jS1E_S1E_jjS1G_bEUljE0_EEESZ_S10_S11_S18_S1C_S1E_T6_T7_T9_mT8_S1G_bDpT10_ENKUlT_T0_E_clISt17integral_constantIbLb1EES1T_IbLb0EEEEDaS1P_S1Q_EUlS1P_E_NS1_11comp_targetILNS1_3genE4ELNS1_11target_archE910ELNS1_3gpuE8ELNS1_3repE0EEENS1_30default_config_static_selectorELNS0_4arch9wavefront6targetE0EEEvS12_ ; -- Begin function _ZN7rocprim17ROCPRIM_400000_NS6detail17trampoline_kernelINS0_13select_configILj256ELj13ELNS0_17block_load_methodE3ELS4_3ELS4_3ELNS0_20block_scan_algorithmE0ELj4294967295EEENS1_25partition_config_selectorILNS1_17partition_subalgoE4EjNS0_10empty_typeEbEEZZNS1_14partition_implILS8_4ELb0ES6_15HIP_vector_typeIjLj2EENS0_17counting_iteratorIjlEEPS9_SG_NS0_5tupleIJPjSI_NS0_16reverse_iteratorISI_EEEEENSH_IJSG_SG_SG_EEES9_SI_JZNS1_25segmented_radix_sort_implINS0_14default_configELb0EPKaPaPKlPlN2at6native12_GLOBAL__N_18offset_tEEE10hipError_tPvRmT1_PNSt15iterator_traitsIS12_E10value_typeET2_T3_PNS13_IS18_E10value_typeET4_jRbjT5_S1E_jjP12ihipStream_tbEUljE_ZNSN_ISO_Lb0ESQ_SR_ST_SU_SY_EESZ_S10_S11_S12_S16_S17_S18_S1B_S1C_jS1D_jS1E_S1E_jjS1G_bEUljE0_EEESZ_S10_S11_S18_S1C_S1E_T6_T7_T9_mT8_S1G_bDpT10_ENKUlT_T0_E_clISt17integral_constantIbLb1EES1T_IbLb0EEEEDaS1P_S1Q_EUlS1P_E_NS1_11comp_targetILNS1_3genE4ELNS1_11target_archE910ELNS1_3gpuE8ELNS1_3repE0EEENS1_30default_config_static_selectorELNS0_4arch9wavefront6targetE0EEEvS12_
	.p2align	8
	.type	_ZN7rocprim17ROCPRIM_400000_NS6detail17trampoline_kernelINS0_13select_configILj256ELj13ELNS0_17block_load_methodE3ELS4_3ELS4_3ELNS0_20block_scan_algorithmE0ELj4294967295EEENS1_25partition_config_selectorILNS1_17partition_subalgoE4EjNS0_10empty_typeEbEEZZNS1_14partition_implILS8_4ELb0ES6_15HIP_vector_typeIjLj2EENS0_17counting_iteratorIjlEEPS9_SG_NS0_5tupleIJPjSI_NS0_16reverse_iteratorISI_EEEEENSH_IJSG_SG_SG_EEES9_SI_JZNS1_25segmented_radix_sort_implINS0_14default_configELb0EPKaPaPKlPlN2at6native12_GLOBAL__N_18offset_tEEE10hipError_tPvRmT1_PNSt15iterator_traitsIS12_E10value_typeET2_T3_PNS13_IS18_E10value_typeET4_jRbjT5_S1E_jjP12ihipStream_tbEUljE_ZNSN_ISO_Lb0ESQ_SR_ST_SU_SY_EESZ_S10_S11_S12_S16_S17_S18_S1B_S1C_jS1D_jS1E_S1E_jjS1G_bEUljE0_EEESZ_S10_S11_S18_S1C_S1E_T6_T7_T9_mT8_S1G_bDpT10_ENKUlT_T0_E_clISt17integral_constantIbLb1EES1T_IbLb0EEEEDaS1P_S1Q_EUlS1P_E_NS1_11comp_targetILNS1_3genE4ELNS1_11target_archE910ELNS1_3gpuE8ELNS1_3repE0EEENS1_30default_config_static_selectorELNS0_4arch9wavefront6targetE0EEEvS12_,@function
_ZN7rocprim17ROCPRIM_400000_NS6detail17trampoline_kernelINS0_13select_configILj256ELj13ELNS0_17block_load_methodE3ELS4_3ELS4_3ELNS0_20block_scan_algorithmE0ELj4294967295EEENS1_25partition_config_selectorILNS1_17partition_subalgoE4EjNS0_10empty_typeEbEEZZNS1_14partition_implILS8_4ELb0ES6_15HIP_vector_typeIjLj2EENS0_17counting_iteratorIjlEEPS9_SG_NS0_5tupleIJPjSI_NS0_16reverse_iteratorISI_EEEEENSH_IJSG_SG_SG_EEES9_SI_JZNS1_25segmented_radix_sort_implINS0_14default_configELb0EPKaPaPKlPlN2at6native12_GLOBAL__N_18offset_tEEE10hipError_tPvRmT1_PNSt15iterator_traitsIS12_E10value_typeET2_T3_PNS13_IS18_E10value_typeET4_jRbjT5_S1E_jjP12ihipStream_tbEUljE_ZNSN_ISO_Lb0ESQ_SR_ST_SU_SY_EESZ_S10_S11_S12_S16_S17_S18_S1B_S1C_jS1D_jS1E_S1E_jjS1G_bEUljE0_EEESZ_S10_S11_S18_S1C_S1E_T6_T7_T9_mT8_S1G_bDpT10_ENKUlT_T0_E_clISt17integral_constantIbLb1EES1T_IbLb0EEEEDaS1P_S1Q_EUlS1P_E_NS1_11comp_targetILNS1_3genE4ELNS1_11target_archE910ELNS1_3gpuE8ELNS1_3repE0EEENS1_30default_config_static_selectorELNS0_4arch9wavefront6targetE0EEEvS12_: ; @_ZN7rocprim17ROCPRIM_400000_NS6detail17trampoline_kernelINS0_13select_configILj256ELj13ELNS0_17block_load_methodE3ELS4_3ELS4_3ELNS0_20block_scan_algorithmE0ELj4294967295EEENS1_25partition_config_selectorILNS1_17partition_subalgoE4EjNS0_10empty_typeEbEEZZNS1_14partition_implILS8_4ELb0ES6_15HIP_vector_typeIjLj2EENS0_17counting_iteratorIjlEEPS9_SG_NS0_5tupleIJPjSI_NS0_16reverse_iteratorISI_EEEEENSH_IJSG_SG_SG_EEES9_SI_JZNS1_25segmented_radix_sort_implINS0_14default_configELb0EPKaPaPKlPlN2at6native12_GLOBAL__N_18offset_tEEE10hipError_tPvRmT1_PNSt15iterator_traitsIS12_E10value_typeET2_T3_PNS13_IS18_E10value_typeET4_jRbjT5_S1E_jjP12ihipStream_tbEUljE_ZNSN_ISO_Lb0ESQ_SR_ST_SU_SY_EESZ_S10_S11_S12_S16_S17_S18_S1B_S1C_jS1D_jS1E_S1E_jjS1G_bEUljE0_EEESZ_S10_S11_S18_S1C_S1E_T6_T7_T9_mT8_S1G_bDpT10_ENKUlT_T0_E_clISt17integral_constantIbLb1EES1T_IbLb0EEEEDaS1P_S1Q_EUlS1P_E_NS1_11comp_targetILNS1_3genE4ELNS1_11target_archE910ELNS1_3gpuE8ELNS1_3repE0EEENS1_30default_config_static_selectorELNS0_4arch9wavefront6targetE0EEEvS12_
; %bb.0:
	.section	.rodata,"a",@progbits
	.p2align	6, 0x0
	.amdhsa_kernel _ZN7rocprim17ROCPRIM_400000_NS6detail17trampoline_kernelINS0_13select_configILj256ELj13ELNS0_17block_load_methodE3ELS4_3ELS4_3ELNS0_20block_scan_algorithmE0ELj4294967295EEENS1_25partition_config_selectorILNS1_17partition_subalgoE4EjNS0_10empty_typeEbEEZZNS1_14partition_implILS8_4ELb0ES6_15HIP_vector_typeIjLj2EENS0_17counting_iteratorIjlEEPS9_SG_NS0_5tupleIJPjSI_NS0_16reverse_iteratorISI_EEEEENSH_IJSG_SG_SG_EEES9_SI_JZNS1_25segmented_radix_sort_implINS0_14default_configELb0EPKaPaPKlPlN2at6native12_GLOBAL__N_18offset_tEEE10hipError_tPvRmT1_PNSt15iterator_traitsIS12_E10value_typeET2_T3_PNS13_IS18_E10value_typeET4_jRbjT5_S1E_jjP12ihipStream_tbEUljE_ZNSN_ISO_Lb0ESQ_SR_ST_SU_SY_EESZ_S10_S11_S12_S16_S17_S18_S1B_S1C_jS1D_jS1E_S1E_jjS1G_bEUljE0_EEESZ_S10_S11_S18_S1C_S1E_T6_T7_T9_mT8_S1G_bDpT10_ENKUlT_T0_E_clISt17integral_constantIbLb1EES1T_IbLb0EEEEDaS1P_S1Q_EUlS1P_E_NS1_11comp_targetILNS1_3genE4ELNS1_11target_archE910ELNS1_3gpuE8ELNS1_3repE0EEENS1_30default_config_static_selectorELNS0_4arch9wavefront6targetE0EEEvS12_
		.amdhsa_group_segment_fixed_size 0
		.amdhsa_private_segment_fixed_size 0
		.amdhsa_kernarg_size 176
		.amdhsa_user_sgpr_count 2
		.amdhsa_user_sgpr_dispatch_ptr 0
		.amdhsa_user_sgpr_queue_ptr 0
		.amdhsa_user_sgpr_kernarg_segment_ptr 1
		.amdhsa_user_sgpr_dispatch_id 0
		.amdhsa_user_sgpr_private_segment_size 0
		.amdhsa_wavefront_size32 1
		.amdhsa_uses_dynamic_stack 0
		.amdhsa_enable_private_segment 0
		.amdhsa_system_sgpr_workgroup_id_x 1
		.amdhsa_system_sgpr_workgroup_id_y 0
		.amdhsa_system_sgpr_workgroup_id_z 0
		.amdhsa_system_sgpr_workgroup_info 0
		.amdhsa_system_vgpr_workitem_id 0
		.amdhsa_next_free_vgpr 1
		.amdhsa_next_free_sgpr 1
		.amdhsa_reserve_vcc 0
		.amdhsa_float_round_mode_32 0
		.amdhsa_float_round_mode_16_64 0
		.amdhsa_float_denorm_mode_32 3
		.amdhsa_float_denorm_mode_16_64 3
		.amdhsa_fp16_overflow 0
		.amdhsa_workgroup_processor_mode 1
		.amdhsa_memory_ordered 1
		.amdhsa_forward_progress 1
		.amdhsa_inst_pref_size 0
		.amdhsa_round_robin_scheduling 0
		.amdhsa_exception_fp_ieee_invalid_op 0
		.amdhsa_exception_fp_denorm_src 0
		.amdhsa_exception_fp_ieee_div_zero 0
		.amdhsa_exception_fp_ieee_overflow 0
		.amdhsa_exception_fp_ieee_underflow 0
		.amdhsa_exception_fp_ieee_inexact 0
		.amdhsa_exception_int_div_zero 0
	.end_amdhsa_kernel
	.section	.text._ZN7rocprim17ROCPRIM_400000_NS6detail17trampoline_kernelINS0_13select_configILj256ELj13ELNS0_17block_load_methodE3ELS4_3ELS4_3ELNS0_20block_scan_algorithmE0ELj4294967295EEENS1_25partition_config_selectorILNS1_17partition_subalgoE4EjNS0_10empty_typeEbEEZZNS1_14partition_implILS8_4ELb0ES6_15HIP_vector_typeIjLj2EENS0_17counting_iteratorIjlEEPS9_SG_NS0_5tupleIJPjSI_NS0_16reverse_iteratorISI_EEEEENSH_IJSG_SG_SG_EEES9_SI_JZNS1_25segmented_radix_sort_implINS0_14default_configELb0EPKaPaPKlPlN2at6native12_GLOBAL__N_18offset_tEEE10hipError_tPvRmT1_PNSt15iterator_traitsIS12_E10value_typeET2_T3_PNS13_IS18_E10value_typeET4_jRbjT5_S1E_jjP12ihipStream_tbEUljE_ZNSN_ISO_Lb0ESQ_SR_ST_SU_SY_EESZ_S10_S11_S12_S16_S17_S18_S1B_S1C_jS1D_jS1E_S1E_jjS1G_bEUljE0_EEESZ_S10_S11_S18_S1C_S1E_T6_T7_T9_mT8_S1G_bDpT10_ENKUlT_T0_E_clISt17integral_constantIbLb1EES1T_IbLb0EEEEDaS1P_S1Q_EUlS1P_E_NS1_11comp_targetILNS1_3genE4ELNS1_11target_archE910ELNS1_3gpuE8ELNS1_3repE0EEENS1_30default_config_static_selectorELNS0_4arch9wavefront6targetE0EEEvS12_,"axG",@progbits,_ZN7rocprim17ROCPRIM_400000_NS6detail17trampoline_kernelINS0_13select_configILj256ELj13ELNS0_17block_load_methodE3ELS4_3ELS4_3ELNS0_20block_scan_algorithmE0ELj4294967295EEENS1_25partition_config_selectorILNS1_17partition_subalgoE4EjNS0_10empty_typeEbEEZZNS1_14partition_implILS8_4ELb0ES6_15HIP_vector_typeIjLj2EENS0_17counting_iteratorIjlEEPS9_SG_NS0_5tupleIJPjSI_NS0_16reverse_iteratorISI_EEEEENSH_IJSG_SG_SG_EEES9_SI_JZNS1_25segmented_radix_sort_implINS0_14default_configELb0EPKaPaPKlPlN2at6native12_GLOBAL__N_18offset_tEEE10hipError_tPvRmT1_PNSt15iterator_traitsIS12_E10value_typeET2_T3_PNS13_IS18_E10value_typeET4_jRbjT5_S1E_jjP12ihipStream_tbEUljE_ZNSN_ISO_Lb0ESQ_SR_ST_SU_SY_EESZ_S10_S11_S12_S16_S17_S18_S1B_S1C_jS1D_jS1E_S1E_jjS1G_bEUljE0_EEESZ_S10_S11_S18_S1C_S1E_T6_T7_T9_mT8_S1G_bDpT10_ENKUlT_T0_E_clISt17integral_constantIbLb1EES1T_IbLb0EEEEDaS1P_S1Q_EUlS1P_E_NS1_11comp_targetILNS1_3genE4ELNS1_11target_archE910ELNS1_3gpuE8ELNS1_3repE0EEENS1_30default_config_static_selectorELNS0_4arch9wavefront6targetE0EEEvS12_,comdat
.Lfunc_end347:
	.size	_ZN7rocprim17ROCPRIM_400000_NS6detail17trampoline_kernelINS0_13select_configILj256ELj13ELNS0_17block_load_methodE3ELS4_3ELS4_3ELNS0_20block_scan_algorithmE0ELj4294967295EEENS1_25partition_config_selectorILNS1_17partition_subalgoE4EjNS0_10empty_typeEbEEZZNS1_14partition_implILS8_4ELb0ES6_15HIP_vector_typeIjLj2EENS0_17counting_iteratorIjlEEPS9_SG_NS0_5tupleIJPjSI_NS0_16reverse_iteratorISI_EEEEENSH_IJSG_SG_SG_EEES9_SI_JZNS1_25segmented_radix_sort_implINS0_14default_configELb0EPKaPaPKlPlN2at6native12_GLOBAL__N_18offset_tEEE10hipError_tPvRmT1_PNSt15iterator_traitsIS12_E10value_typeET2_T3_PNS13_IS18_E10value_typeET4_jRbjT5_S1E_jjP12ihipStream_tbEUljE_ZNSN_ISO_Lb0ESQ_SR_ST_SU_SY_EESZ_S10_S11_S12_S16_S17_S18_S1B_S1C_jS1D_jS1E_S1E_jjS1G_bEUljE0_EEESZ_S10_S11_S18_S1C_S1E_T6_T7_T9_mT8_S1G_bDpT10_ENKUlT_T0_E_clISt17integral_constantIbLb1EES1T_IbLb0EEEEDaS1P_S1Q_EUlS1P_E_NS1_11comp_targetILNS1_3genE4ELNS1_11target_archE910ELNS1_3gpuE8ELNS1_3repE0EEENS1_30default_config_static_selectorELNS0_4arch9wavefront6targetE0EEEvS12_, .Lfunc_end347-_ZN7rocprim17ROCPRIM_400000_NS6detail17trampoline_kernelINS0_13select_configILj256ELj13ELNS0_17block_load_methodE3ELS4_3ELS4_3ELNS0_20block_scan_algorithmE0ELj4294967295EEENS1_25partition_config_selectorILNS1_17partition_subalgoE4EjNS0_10empty_typeEbEEZZNS1_14partition_implILS8_4ELb0ES6_15HIP_vector_typeIjLj2EENS0_17counting_iteratorIjlEEPS9_SG_NS0_5tupleIJPjSI_NS0_16reverse_iteratorISI_EEEEENSH_IJSG_SG_SG_EEES9_SI_JZNS1_25segmented_radix_sort_implINS0_14default_configELb0EPKaPaPKlPlN2at6native12_GLOBAL__N_18offset_tEEE10hipError_tPvRmT1_PNSt15iterator_traitsIS12_E10value_typeET2_T3_PNS13_IS18_E10value_typeET4_jRbjT5_S1E_jjP12ihipStream_tbEUljE_ZNSN_ISO_Lb0ESQ_SR_ST_SU_SY_EESZ_S10_S11_S12_S16_S17_S18_S1B_S1C_jS1D_jS1E_S1E_jjS1G_bEUljE0_EEESZ_S10_S11_S18_S1C_S1E_T6_T7_T9_mT8_S1G_bDpT10_ENKUlT_T0_E_clISt17integral_constantIbLb1EES1T_IbLb0EEEEDaS1P_S1Q_EUlS1P_E_NS1_11comp_targetILNS1_3genE4ELNS1_11target_archE910ELNS1_3gpuE8ELNS1_3repE0EEENS1_30default_config_static_selectorELNS0_4arch9wavefront6targetE0EEEvS12_
                                        ; -- End function
	.set _ZN7rocprim17ROCPRIM_400000_NS6detail17trampoline_kernelINS0_13select_configILj256ELj13ELNS0_17block_load_methodE3ELS4_3ELS4_3ELNS0_20block_scan_algorithmE0ELj4294967295EEENS1_25partition_config_selectorILNS1_17partition_subalgoE4EjNS0_10empty_typeEbEEZZNS1_14partition_implILS8_4ELb0ES6_15HIP_vector_typeIjLj2EENS0_17counting_iteratorIjlEEPS9_SG_NS0_5tupleIJPjSI_NS0_16reverse_iteratorISI_EEEEENSH_IJSG_SG_SG_EEES9_SI_JZNS1_25segmented_radix_sort_implINS0_14default_configELb0EPKaPaPKlPlN2at6native12_GLOBAL__N_18offset_tEEE10hipError_tPvRmT1_PNSt15iterator_traitsIS12_E10value_typeET2_T3_PNS13_IS18_E10value_typeET4_jRbjT5_S1E_jjP12ihipStream_tbEUljE_ZNSN_ISO_Lb0ESQ_SR_ST_SU_SY_EESZ_S10_S11_S12_S16_S17_S18_S1B_S1C_jS1D_jS1E_S1E_jjS1G_bEUljE0_EEESZ_S10_S11_S18_S1C_S1E_T6_T7_T9_mT8_S1G_bDpT10_ENKUlT_T0_E_clISt17integral_constantIbLb1EES1T_IbLb0EEEEDaS1P_S1Q_EUlS1P_E_NS1_11comp_targetILNS1_3genE4ELNS1_11target_archE910ELNS1_3gpuE8ELNS1_3repE0EEENS1_30default_config_static_selectorELNS0_4arch9wavefront6targetE0EEEvS12_.num_vgpr, 0
	.set _ZN7rocprim17ROCPRIM_400000_NS6detail17trampoline_kernelINS0_13select_configILj256ELj13ELNS0_17block_load_methodE3ELS4_3ELS4_3ELNS0_20block_scan_algorithmE0ELj4294967295EEENS1_25partition_config_selectorILNS1_17partition_subalgoE4EjNS0_10empty_typeEbEEZZNS1_14partition_implILS8_4ELb0ES6_15HIP_vector_typeIjLj2EENS0_17counting_iteratorIjlEEPS9_SG_NS0_5tupleIJPjSI_NS0_16reverse_iteratorISI_EEEEENSH_IJSG_SG_SG_EEES9_SI_JZNS1_25segmented_radix_sort_implINS0_14default_configELb0EPKaPaPKlPlN2at6native12_GLOBAL__N_18offset_tEEE10hipError_tPvRmT1_PNSt15iterator_traitsIS12_E10value_typeET2_T3_PNS13_IS18_E10value_typeET4_jRbjT5_S1E_jjP12ihipStream_tbEUljE_ZNSN_ISO_Lb0ESQ_SR_ST_SU_SY_EESZ_S10_S11_S12_S16_S17_S18_S1B_S1C_jS1D_jS1E_S1E_jjS1G_bEUljE0_EEESZ_S10_S11_S18_S1C_S1E_T6_T7_T9_mT8_S1G_bDpT10_ENKUlT_T0_E_clISt17integral_constantIbLb1EES1T_IbLb0EEEEDaS1P_S1Q_EUlS1P_E_NS1_11comp_targetILNS1_3genE4ELNS1_11target_archE910ELNS1_3gpuE8ELNS1_3repE0EEENS1_30default_config_static_selectorELNS0_4arch9wavefront6targetE0EEEvS12_.num_agpr, 0
	.set _ZN7rocprim17ROCPRIM_400000_NS6detail17trampoline_kernelINS0_13select_configILj256ELj13ELNS0_17block_load_methodE3ELS4_3ELS4_3ELNS0_20block_scan_algorithmE0ELj4294967295EEENS1_25partition_config_selectorILNS1_17partition_subalgoE4EjNS0_10empty_typeEbEEZZNS1_14partition_implILS8_4ELb0ES6_15HIP_vector_typeIjLj2EENS0_17counting_iteratorIjlEEPS9_SG_NS0_5tupleIJPjSI_NS0_16reverse_iteratorISI_EEEEENSH_IJSG_SG_SG_EEES9_SI_JZNS1_25segmented_radix_sort_implINS0_14default_configELb0EPKaPaPKlPlN2at6native12_GLOBAL__N_18offset_tEEE10hipError_tPvRmT1_PNSt15iterator_traitsIS12_E10value_typeET2_T3_PNS13_IS18_E10value_typeET4_jRbjT5_S1E_jjP12ihipStream_tbEUljE_ZNSN_ISO_Lb0ESQ_SR_ST_SU_SY_EESZ_S10_S11_S12_S16_S17_S18_S1B_S1C_jS1D_jS1E_S1E_jjS1G_bEUljE0_EEESZ_S10_S11_S18_S1C_S1E_T6_T7_T9_mT8_S1G_bDpT10_ENKUlT_T0_E_clISt17integral_constantIbLb1EES1T_IbLb0EEEEDaS1P_S1Q_EUlS1P_E_NS1_11comp_targetILNS1_3genE4ELNS1_11target_archE910ELNS1_3gpuE8ELNS1_3repE0EEENS1_30default_config_static_selectorELNS0_4arch9wavefront6targetE0EEEvS12_.numbered_sgpr, 0
	.set _ZN7rocprim17ROCPRIM_400000_NS6detail17trampoline_kernelINS0_13select_configILj256ELj13ELNS0_17block_load_methodE3ELS4_3ELS4_3ELNS0_20block_scan_algorithmE0ELj4294967295EEENS1_25partition_config_selectorILNS1_17partition_subalgoE4EjNS0_10empty_typeEbEEZZNS1_14partition_implILS8_4ELb0ES6_15HIP_vector_typeIjLj2EENS0_17counting_iteratorIjlEEPS9_SG_NS0_5tupleIJPjSI_NS0_16reverse_iteratorISI_EEEEENSH_IJSG_SG_SG_EEES9_SI_JZNS1_25segmented_radix_sort_implINS0_14default_configELb0EPKaPaPKlPlN2at6native12_GLOBAL__N_18offset_tEEE10hipError_tPvRmT1_PNSt15iterator_traitsIS12_E10value_typeET2_T3_PNS13_IS18_E10value_typeET4_jRbjT5_S1E_jjP12ihipStream_tbEUljE_ZNSN_ISO_Lb0ESQ_SR_ST_SU_SY_EESZ_S10_S11_S12_S16_S17_S18_S1B_S1C_jS1D_jS1E_S1E_jjS1G_bEUljE0_EEESZ_S10_S11_S18_S1C_S1E_T6_T7_T9_mT8_S1G_bDpT10_ENKUlT_T0_E_clISt17integral_constantIbLb1EES1T_IbLb0EEEEDaS1P_S1Q_EUlS1P_E_NS1_11comp_targetILNS1_3genE4ELNS1_11target_archE910ELNS1_3gpuE8ELNS1_3repE0EEENS1_30default_config_static_selectorELNS0_4arch9wavefront6targetE0EEEvS12_.num_named_barrier, 0
	.set _ZN7rocprim17ROCPRIM_400000_NS6detail17trampoline_kernelINS0_13select_configILj256ELj13ELNS0_17block_load_methodE3ELS4_3ELS4_3ELNS0_20block_scan_algorithmE0ELj4294967295EEENS1_25partition_config_selectorILNS1_17partition_subalgoE4EjNS0_10empty_typeEbEEZZNS1_14partition_implILS8_4ELb0ES6_15HIP_vector_typeIjLj2EENS0_17counting_iteratorIjlEEPS9_SG_NS0_5tupleIJPjSI_NS0_16reverse_iteratorISI_EEEEENSH_IJSG_SG_SG_EEES9_SI_JZNS1_25segmented_radix_sort_implINS0_14default_configELb0EPKaPaPKlPlN2at6native12_GLOBAL__N_18offset_tEEE10hipError_tPvRmT1_PNSt15iterator_traitsIS12_E10value_typeET2_T3_PNS13_IS18_E10value_typeET4_jRbjT5_S1E_jjP12ihipStream_tbEUljE_ZNSN_ISO_Lb0ESQ_SR_ST_SU_SY_EESZ_S10_S11_S12_S16_S17_S18_S1B_S1C_jS1D_jS1E_S1E_jjS1G_bEUljE0_EEESZ_S10_S11_S18_S1C_S1E_T6_T7_T9_mT8_S1G_bDpT10_ENKUlT_T0_E_clISt17integral_constantIbLb1EES1T_IbLb0EEEEDaS1P_S1Q_EUlS1P_E_NS1_11comp_targetILNS1_3genE4ELNS1_11target_archE910ELNS1_3gpuE8ELNS1_3repE0EEENS1_30default_config_static_selectorELNS0_4arch9wavefront6targetE0EEEvS12_.private_seg_size, 0
	.set _ZN7rocprim17ROCPRIM_400000_NS6detail17trampoline_kernelINS0_13select_configILj256ELj13ELNS0_17block_load_methodE3ELS4_3ELS4_3ELNS0_20block_scan_algorithmE0ELj4294967295EEENS1_25partition_config_selectorILNS1_17partition_subalgoE4EjNS0_10empty_typeEbEEZZNS1_14partition_implILS8_4ELb0ES6_15HIP_vector_typeIjLj2EENS0_17counting_iteratorIjlEEPS9_SG_NS0_5tupleIJPjSI_NS0_16reverse_iteratorISI_EEEEENSH_IJSG_SG_SG_EEES9_SI_JZNS1_25segmented_radix_sort_implINS0_14default_configELb0EPKaPaPKlPlN2at6native12_GLOBAL__N_18offset_tEEE10hipError_tPvRmT1_PNSt15iterator_traitsIS12_E10value_typeET2_T3_PNS13_IS18_E10value_typeET4_jRbjT5_S1E_jjP12ihipStream_tbEUljE_ZNSN_ISO_Lb0ESQ_SR_ST_SU_SY_EESZ_S10_S11_S12_S16_S17_S18_S1B_S1C_jS1D_jS1E_S1E_jjS1G_bEUljE0_EEESZ_S10_S11_S18_S1C_S1E_T6_T7_T9_mT8_S1G_bDpT10_ENKUlT_T0_E_clISt17integral_constantIbLb1EES1T_IbLb0EEEEDaS1P_S1Q_EUlS1P_E_NS1_11comp_targetILNS1_3genE4ELNS1_11target_archE910ELNS1_3gpuE8ELNS1_3repE0EEENS1_30default_config_static_selectorELNS0_4arch9wavefront6targetE0EEEvS12_.uses_vcc, 0
	.set _ZN7rocprim17ROCPRIM_400000_NS6detail17trampoline_kernelINS0_13select_configILj256ELj13ELNS0_17block_load_methodE3ELS4_3ELS4_3ELNS0_20block_scan_algorithmE0ELj4294967295EEENS1_25partition_config_selectorILNS1_17partition_subalgoE4EjNS0_10empty_typeEbEEZZNS1_14partition_implILS8_4ELb0ES6_15HIP_vector_typeIjLj2EENS0_17counting_iteratorIjlEEPS9_SG_NS0_5tupleIJPjSI_NS0_16reverse_iteratorISI_EEEEENSH_IJSG_SG_SG_EEES9_SI_JZNS1_25segmented_radix_sort_implINS0_14default_configELb0EPKaPaPKlPlN2at6native12_GLOBAL__N_18offset_tEEE10hipError_tPvRmT1_PNSt15iterator_traitsIS12_E10value_typeET2_T3_PNS13_IS18_E10value_typeET4_jRbjT5_S1E_jjP12ihipStream_tbEUljE_ZNSN_ISO_Lb0ESQ_SR_ST_SU_SY_EESZ_S10_S11_S12_S16_S17_S18_S1B_S1C_jS1D_jS1E_S1E_jjS1G_bEUljE0_EEESZ_S10_S11_S18_S1C_S1E_T6_T7_T9_mT8_S1G_bDpT10_ENKUlT_T0_E_clISt17integral_constantIbLb1EES1T_IbLb0EEEEDaS1P_S1Q_EUlS1P_E_NS1_11comp_targetILNS1_3genE4ELNS1_11target_archE910ELNS1_3gpuE8ELNS1_3repE0EEENS1_30default_config_static_selectorELNS0_4arch9wavefront6targetE0EEEvS12_.uses_flat_scratch, 0
	.set _ZN7rocprim17ROCPRIM_400000_NS6detail17trampoline_kernelINS0_13select_configILj256ELj13ELNS0_17block_load_methodE3ELS4_3ELS4_3ELNS0_20block_scan_algorithmE0ELj4294967295EEENS1_25partition_config_selectorILNS1_17partition_subalgoE4EjNS0_10empty_typeEbEEZZNS1_14partition_implILS8_4ELb0ES6_15HIP_vector_typeIjLj2EENS0_17counting_iteratorIjlEEPS9_SG_NS0_5tupleIJPjSI_NS0_16reverse_iteratorISI_EEEEENSH_IJSG_SG_SG_EEES9_SI_JZNS1_25segmented_radix_sort_implINS0_14default_configELb0EPKaPaPKlPlN2at6native12_GLOBAL__N_18offset_tEEE10hipError_tPvRmT1_PNSt15iterator_traitsIS12_E10value_typeET2_T3_PNS13_IS18_E10value_typeET4_jRbjT5_S1E_jjP12ihipStream_tbEUljE_ZNSN_ISO_Lb0ESQ_SR_ST_SU_SY_EESZ_S10_S11_S12_S16_S17_S18_S1B_S1C_jS1D_jS1E_S1E_jjS1G_bEUljE0_EEESZ_S10_S11_S18_S1C_S1E_T6_T7_T9_mT8_S1G_bDpT10_ENKUlT_T0_E_clISt17integral_constantIbLb1EES1T_IbLb0EEEEDaS1P_S1Q_EUlS1P_E_NS1_11comp_targetILNS1_3genE4ELNS1_11target_archE910ELNS1_3gpuE8ELNS1_3repE0EEENS1_30default_config_static_selectorELNS0_4arch9wavefront6targetE0EEEvS12_.has_dyn_sized_stack, 0
	.set _ZN7rocprim17ROCPRIM_400000_NS6detail17trampoline_kernelINS0_13select_configILj256ELj13ELNS0_17block_load_methodE3ELS4_3ELS4_3ELNS0_20block_scan_algorithmE0ELj4294967295EEENS1_25partition_config_selectorILNS1_17partition_subalgoE4EjNS0_10empty_typeEbEEZZNS1_14partition_implILS8_4ELb0ES6_15HIP_vector_typeIjLj2EENS0_17counting_iteratorIjlEEPS9_SG_NS0_5tupleIJPjSI_NS0_16reverse_iteratorISI_EEEEENSH_IJSG_SG_SG_EEES9_SI_JZNS1_25segmented_radix_sort_implINS0_14default_configELb0EPKaPaPKlPlN2at6native12_GLOBAL__N_18offset_tEEE10hipError_tPvRmT1_PNSt15iterator_traitsIS12_E10value_typeET2_T3_PNS13_IS18_E10value_typeET4_jRbjT5_S1E_jjP12ihipStream_tbEUljE_ZNSN_ISO_Lb0ESQ_SR_ST_SU_SY_EESZ_S10_S11_S12_S16_S17_S18_S1B_S1C_jS1D_jS1E_S1E_jjS1G_bEUljE0_EEESZ_S10_S11_S18_S1C_S1E_T6_T7_T9_mT8_S1G_bDpT10_ENKUlT_T0_E_clISt17integral_constantIbLb1EES1T_IbLb0EEEEDaS1P_S1Q_EUlS1P_E_NS1_11comp_targetILNS1_3genE4ELNS1_11target_archE910ELNS1_3gpuE8ELNS1_3repE0EEENS1_30default_config_static_selectorELNS0_4arch9wavefront6targetE0EEEvS12_.has_recursion, 0
	.set _ZN7rocprim17ROCPRIM_400000_NS6detail17trampoline_kernelINS0_13select_configILj256ELj13ELNS0_17block_load_methodE3ELS4_3ELS4_3ELNS0_20block_scan_algorithmE0ELj4294967295EEENS1_25partition_config_selectorILNS1_17partition_subalgoE4EjNS0_10empty_typeEbEEZZNS1_14partition_implILS8_4ELb0ES6_15HIP_vector_typeIjLj2EENS0_17counting_iteratorIjlEEPS9_SG_NS0_5tupleIJPjSI_NS0_16reverse_iteratorISI_EEEEENSH_IJSG_SG_SG_EEES9_SI_JZNS1_25segmented_radix_sort_implINS0_14default_configELb0EPKaPaPKlPlN2at6native12_GLOBAL__N_18offset_tEEE10hipError_tPvRmT1_PNSt15iterator_traitsIS12_E10value_typeET2_T3_PNS13_IS18_E10value_typeET4_jRbjT5_S1E_jjP12ihipStream_tbEUljE_ZNSN_ISO_Lb0ESQ_SR_ST_SU_SY_EESZ_S10_S11_S12_S16_S17_S18_S1B_S1C_jS1D_jS1E_S1E_jjS1G_bEUljE0_EEESZ_S10_S11_S18_S1C_S1E_T6_T7_T9_mT8_S1G_bDpT10_ENKUlT_T0_E_clISt17integral_constantIbLb1EES1T_IbLb0EEEEDaS1P_S1Q_EUlS1P_E_NS1_11comp_targetILNS1_3genE4ELNS1_11target_archE910ELNS1_3gpuE8ELNS1_3repE0EEENS1_30default_config_static_selectorELNS0_4arch9wavefront6targetE0EEEvS12_.has_indirect_call, 0
	.section	.AMDGPU.csdata,"",@progbits
; Kernel info:
; codeLenInByte = 0
; TotalNumSgprs: 0
; NumVgprs: 0
; ScratchSize: 0
; MemoryBound: 0
; FloatMode: 240
; IeeeMode: 1
; LDSByteSize: 0 bytes/workgroup (compile time only)
; SGPRBlocks: 0
; VGPRBlocks: 0
; NumSGPRsForWavesPerEU: 1
; NumVGPRsForWavesPerEU: 1
; Occupancy: 16
; WaveLimiterHint : 0
; COMPUTE_PGM_RSRC2:SCRATCH_EN: 0
; COMPUTE_PGM_RSRC2:USER_SGPR: 2
; COMPUTE_PGM_RSRC2:TRAP_HANDLER: 0
; COMPUTE_PGM_RSRC2:TGID_X_EN: 1
; COMPUTE_PGM_RSRC2:TGID_Y_EN: 0
; COMPUTE_PGM_RSRC2:TGID_Z_EN: 0
; COMPUTE_PGM_RSRC2:TIDIG_COMP_CNT: 0
	.section	.text._ZN7rocprim17ROCPRIM_400000_NS6detail17trampoline_kernelINS0_13select_configILj256ELj13ELNS0_17block_load_methodE3ELS4_3ELS4_3ELNS0_20block_scan_algorithmE0ELj4294967295EEENS1_25partition_config_selectorILNS1_17partition_subalgoE4EjNS0_10empty_typeEbEEZZNS1_14partition_implILS8_4ELb0ES6_15HIP_vector_typeIjLj2EENS0_17counting_iteratorIjlEEPS9_SG_NS0_5tupleIJPjSI_NS0_16reverse_iteratorISI_EEEEENSH_IJSG_SG_SG_EEES9_SI_JZNS1_25segmented_radix_sort_implINS0_14default_configELb0EPKaPaPKlPlN2at6native12_GLOBAL__N_18offset_tEEE10hipError_tPvRmT1_PNSt15iterator_traitsIS12_E10value_typeET2_T3_PNS13_IS18_E10value_typeET4_jRbjT5_S1E_jjP12ihipStream_tbEUljE_ZNSN_ISO_Lb0ESQ_SR_ST_SU_SY_EESZ_S10_S11_S12_S16_S17_S18_S1B_S1C_jS1D_jS1E_S1E_jjS1G_bEUljE0_EEESZ_S10_S11_S18_S1C_S1E_T6_T7_T9_mT8_S1G_bDpT10_ENKUlT_T0_E_clISt17integral_constantIbLb1EES1T_IbLb0EEEEDaS1P_S1Q_EUlS1P_E_NS1_11comp_targetILNS1_3genE3ELNS1_11target_archE908ELNS1_3gpuE7ELNS1_3repE0EEENS1_30default_config_static_selectorELNS0_4arch9wavefront6targetE0EEEvS12_,"axG",@progbits,_ZN7rocprim17ROCPRIM_400000_NS6detail17trampoline_kernelINS0_13select_configILj256ELj13ELNS0_17block_load_methodE3ELS4_3ELS4_3ELNS0_20block_scan_algorithmE0ELj4294967295EEENS1_25partition_config_selectorILNS1_17partition_subalgoE4EjNS0_10empty_typeEbEEZZNS1_14partition_implILS8_4ELb0ES6_15HIP_vector_typeIjLj2EENS0_17counting_iteratorIjlEEPS9_SG_NS0_5tupleIJPjSI_NS0_16reverse_iteratorISI_EEEEENSH_IJSG_SG_SG_EEES9_SI_JZNS1_25segmented_radix_sort_implINS0_14default_configELb0EPKaPaPKlPlN2at6native12_GLOBAL__N_18offset_tEEE10hipError_tPvRmT1_PNSt15iterator_traitsIS12_E10value_typeET2_T3_PNS13_IS18_E10value_typeET4_jRbjT5_S1E_jjP12ihipStream_tbEUljE_ZNSN_ISO_Lb0ESQ_SR_ST_SU_SY_EESZ_S10_S11_S12_S16_S17_S18_S1B_S1C_jS1D_jS1E_S1E_jjS1G_bEUljE0_EEESZ_S10_S11_S18_S1C_S1E_T6_T7_T9_mT8_S1G_bDpT10_ENKUlT_T0_E_clISt17integral_constantIbLb1EES1T_IbLb0EEEEDaS1P_S1Q_EUlS1P_E_NS1_11comp_targetILNS1_3genE3ELNS1_11target_archE908ELNS1_3gpuE7ELNS1_3repE0EEENS1_30default_config_static_selectorELNS0_4arch9wavefront6targetE0EEEvS12_,comdat
	.globl	_ZN7rocprim17ROCPRIM_400000_NS6detail17trampoline_kernelINS0_13select_configILj256ELj13ELNS0_17block_load_methodE3ELS4_3ELS4_3ELNS0_20block_scan_algorithmE0ELj4294967295EEENS1_25partition_config_selectorILNS1_17partition_subalgoE4EjNS0_10empty_typeEbEEZZNS1_14partition_implILS8_4ELb0ES6_15HIP_vector_typeIjLj2EENS0_17counting_iteratorIjlEEPS9_SG_NS0_5tupleIJPjSI_NS0_16reverse_iteratorISI_EEEEENSH_IJSG_SG_SG_EEES9_SI_JZNS1_25segmented_radix_sort_implINS0_14default_configELb0EPKaPaPKlPlN2at6native12_GLOBAL__N_18offset_tEEE10hipError_tPvRmT1_PNSt15iterator_traitsIS12_E10value_typeET2_T3_PNS13_IS18_E10value_typeET4_jRbjT5_S1E_jjP12ihipStream_tbEUljE_ZNSN_ISO_Lb0ESQ_SR_ST_SU_SY_EESZ_S10_S11_S12_S16_S17_S18_S1B_S1C_jS1D_jS1E_S1E_jjS1G_bEUljE0_EEESZ_S10_S11_S18_S1C_S1E_T6_T7_T9_mT8_S1G_bDpT10_ENKUlT_T0_E_clISt17integral_constantIbLb1EES1T_IbLb0EEEEDaS1P_S1Q_EUlS1P_E_NS1_11comp_targetILNS1_3genE3ELNS1_11target_archE908ELNS1_3gpuE7ELNS1_3repE0EEENS1_30default_config_static_selectorELNS0_4arch9wavefront6targetE0EEEvS12_ ; -- Begin function _ZN7rocprim17ROCPRIM_400000_NS6detail17trampoline_kernelINS0_13select_configILj256ELj13ELNS0_17block_load_methodE3ELS4_3ELS4_3ELNS0_20block_scan_algorithmE0ELj4294967295EEENS1_25partition_config_selectorILNS1_17partition_subalgoE4EjNS0_10empty_typeEbEEZZNS1_14partition_implILS8_4ELb0ES6_15HIP_vector_typeIjLj2EENS0_17counting_iteratorIjlEEPS9_SG_NS0_5tupleIJPjSI_NS0_16reverse_iteratorISI_EEEEENSH_IJSG_SG_SG_EEES9_SI_JZNS1_25segmented_radix_sort_implINS0_14default_configELb0EPKaPaPKlPlN2at6native12_GLOBAL__N_18offset_tEEE10hipError_tPvRmT1_PNSt15iterator_traitsIS12_E10value_typeET2_T3_PNS13_IS18_E10value_typeET4_jRbjT5_S1E_jjP12ihipStream_tbEUljE_ZNSN_ISO_Lb0ESQ_SR_ST_SU_SY_EESZ_S10_S11_S12_S16_S17_S18_S1B_S1C_jS1D_jS1E_S1E_jjS1G_bEUljE0_EEESZ_S10_S11_S18_S1C_S1E_T6_T7_T9_mT8_S1G_bDpT10_ENKUlT_T0_E_clISt17integral_constantIbLb1EES1T_IbLb0EEEEDaS1P_S1Q_EUlS1P_E_NS1_11comp_targetILNS1_3genE3ELNS1_11target_archE908ELNS1_3gpuE7ELNS1_3repE0EEENS1_30default_config_static_selectorELNS0_4arch9wavefront6targetE0EEEvS12_
	.p2align	8
	.type	_ZN7rocprim17ROCPRIM_400000_NS6detail17trampoline_kernelINS0_13select_configILj256ELj13ELNS0_17block_load_methodE3ELS4_3ELS4_3ELNS0_20block_scan_algorithmE0ELj4294967295EEENS1_25partition_config_selectorILNS1_17partition_subalgoE4EjNS0_10empty_typeEbEEZZNS1_14partition_implILS8_4ELb0ES6_15HIP_vector_typeIjLj2EENS0_17counting_iteratorIjlEEPS9_SG_NS0_5tupleIJPjSI_NS0_16reverse_iteratorISI_EEEEENSH_IJSG_SG_SG_EEES9_SI_JZNS1_25segmented_radix_sort_implINS0_14default_configELb0EPKaPaPKlPlN2at6native12_GLOBAL__N_18offset_tEEE10hipError_tPvRmT1_PNSt15iterator_traitsIS12_E10value_typeET2_T3_PNS13_IS18_E10value_typeET4_jRbjT5_S1E_jjP12ihipStream_tbEUljE_ZNSN_ISO_Lb0ESQ_SR_ST_SU_SY_EESZ_S10_S11_S12_S16_S17_S18_S1B_S1C_jS1D_jS1E_S1E_jjS1G_bEUljE0_EEESZ_S10_S11_S18_S1C_S1E_T6_T7_T9_mT8_S1G_bDpT10_ENKUlT_T0_E_clISt17integral_constantIbLb1EES1T_IbLb0EEEEDaS1P_S1Q_EUlS1P_E_NS1_11comp_targetILNS1_3genE3ELNS1_11target_archE908ELNS1_3gpuE7ELNS1_3repE0EEENS1_30default_config_static_selectorELNS0_4arch9wavefront6targetE0EEEvS12_,@function
_ZN7rocprim17ROCPRIM_400000_NS6detail17trampoline_kernelINS0_13select_configILj256ELj13ELNS0_17block_load_methodE3ELS4_3ELS4_3ELNS0_20block_scan_algorithmE0ELj4294967295EEENS1_25partition_config_selectorILNS1_17partition_subalgoE4EjNS0_10empty_typeEbEEZZNS1_14partition_implILS8_4ELb0ES6_15HIP_vector_typeIjLj2EENS0_17counting_iteratorIjlEEPS9_SG_NS0_5tupleIJPjSI_NS0_16reverse_iteratorISI_EEEEENSH_IJSG_SG_SG_EEES9_SI_JZNS1_25segmented_radix_sort_implINS0_14default_configELb0EPKaPaPKlPlN2at6native12_GLOBAL__N_18offset_tEEE10hipError_tPvRmT1_PNSt15iterator_traitsIS12_E10value_typeET2_T3_PNS13_IS18_E10value_typeET4_jRbjT5_S1E_jjP12ihipStream_tbEUljE_ZNSN_ISO_Lb0ESQ_SR_ST_SU_SY_EESZ_S10_S11_S12_S16_S17_S18_S1B_S1C_jS1D_jS1E_S1E_jjS1G_bEUljE0_EEESZ_S10_S11_S18_S1C_S1E_T6_T7_T9_mT8_S1G_bDpT10_ENKUlT_T0_E_clISt17integral_constantIbLb1EES1T_IbLb0EEEEDaS1P_S1Q_EUlS1P_E_NS1_11comp_targetILNS1_3genE3ELNS1_11target_archE908ELNS1_3gpuE7ELNS1_3repE0EEENS1_30default_config_static_selectorELNS0_4arch9wavefront6targetE0EEEvS12_: ; @_ZN7rocprim17ROCPRIM_400000_NS6detail17trampoline_kernelINS0_13select_configILj256ELj13ELNS0_17block_load_methodE3ELS4_3ELS4_3ELNS0_20block_scan_algorithmE0ELj4294967295EEENS1_25partition_config_selectorILNS1_17partition_subalgoE4EjNS0_10empty_typeEbEEZZNS1_14partition_implILS8_4ELb0ES6_15HIP_vector_typeIjLj2EENS0_17counting_iteratorIjlEEPS9_SG_NS0_5tupleIJPjSI_NS0_16reverse_iteratorISI_EEEEENSH_IJSG_SG_SG_EEES9_SI_JZNS1_25segmented_radix_sort_implINS0_14default_configELb0EPKaPaPKlPlN2at6native12_GLOBAL__N_18offset_tEEE10hipError_tPvRmT1_PNSt15iterator_traitsIS12_E10value_typeET2_T3_PNS13_IS18_E10value_typeET4_jRbjT5_S1E_jjP12ihipStream_tbEUljE_ZNSN_ISO_Lb0ESQ_SR_ST_SU_SY_EESZ_S10_S11_S12_S16_S17_S18_S1B_S1C_jS1D_jS1E_S1E_jjS1G_bEUljE0_EEESZ_S10_S11_S18_S1C_S1E_T6_T7_T9_mT8_S1G_bDpT10_ENKUlT_T0_E_clISt17integral_constantIbLb1EES1T_IbLb0EEEEDaS1P_S1Q_EUlS1P_E_NS1_11comp_targetILNS1_3genE3ELNS1_11target_archE908ELNS1_3gpuE7ELNS1_3repE0EEENS1_30default_config_static_selectorELNS0_4arch9wavefront6targetE0EEEvS12_
; %bb.0:
	.section	.rodata,"a",@progbits
	.p2align	6, 0x0
	.amdhsa_kernel _ZN7rocprim17ROCPRIM_400000_NS6detail17trampoline_kernelINS0_13select_configILj256ELj13ELNS0_17block_load_methodE3ELS4_3ELS4_3ELNS0_20block_scan_algorithmE0ELj4294967295EEENS1_25partition_config_selectorILNS1_17partition_subalgoE4EjNS0_10empty_typeEbEEZZNS1_14partition_implILS8_4ELb0ES6_15HIP_vector_typeIjLj2EENS0_17counting_iteratorIjlEEPS9_SG_NS0_5tupleIJPjSI_NS0_16reverse_iteratorISI_EEEEENSH_IJSG_SG_SG_EEES9_SI_JZNS1_25segmented_radix_sort_implINS0_14default_configELb0EPKaPaPKlPlN2at6native12_GLOBAL__N_18offset_tEEE10hipError_tPvRmT1_PNSt15iterator_traitsIS12_E10value_typeET2_T3_PNS13_IS18_E10value_typeET4_jRbjT5_S1E_jjP12ihipStream_tbEUljE_ZNSN_ISO_Lb0ESQ_SR_ST_SU_SY_EESZ_S10_S11_S12_S16_S17_S18_S1B_S1C_jS1D_jS1E_S1E_jjS1G_bEUljE0_EEESZ_S10_S11_S18_S1C_S1E_T6_T7_T9_mT8_S1G_bDpT10_ENKUlT_T0_E_clISt17integral_constantIbLb1EES1T_IbLb0EEEEDaS1P_S1Q_EUlS1P_E_NS1_11comp_targetILNS1_3genE3ELNS1_11target_archE908ELNS1_3gpuE7ELNS1_3repE0EEENS1_30default_config_static_selectorELNS0_4arch9wavefront6targetE0EEEvS12_
		.amdhsa_group_segment_fixed_size 0
		.amdhsa_private_segment_fixed_size 0
		.amdhsa_kernarg_size 176
		.amdhsa_user_sgpr_count 2
		.amdhsa_user_sgpr_dispatch_ptr 0
		.amdhsa_user_sgpr_queue_ptr 0
		.amdhsa_user_sgpr_kernarg_segment_ptr 1
		.amdhsa_user_sgpr_dispatch_id 0
		.amdhsa_user_sgpr_private_segment_size 0
		.amdhsa_wavefront_size32 1
		.amdhsa_uses_dynamic_stack 0
		.amdhsa_enable_private_segment 0
		.amdhsa_system_sgpr_workgroup_id_x 1
		.amdhsa_system_sgpr_workgroup_id_y 0
		.amdhsa_system_sgpr_workgroup_id_z 0
		.amdhsa_system_sgpr_workgroup_info 0
		.amdhsa_system_vgpr_workitem_id 0
		.amdhsa_next_free_vgpr 1
		.amdhsa_next_free_sgpr 1
		.amdhsa_reserve_vcc 0
		.amdhsa_float_round_mode_32 0
		.amdhsa_float_round_mode_16_64 0
		.amdhsa_float_denorm_mode_32 3
		.amdhsa_float_denorm_mode_16_64 3
		.amdhsa_fp16_overflow 0
		.amdhsa_workgroup_processor_mode 1
		.amdhsa_memory_ordered 1
		.amdhsa_forward_progress 1
		.amdhsa_inst_pref_size 0
		.amdhsa_round_robin_scheduling 0
		.amdhsa_exception_fp_ieee_invalid_op 0
		.amdhsa_exception_fp_denorm_src 0
		.amdhsa_exception_fp_ieee_div_zero 0
		.amdhsa_exception_fp_ieee_overflow 0
		.amdhsa_exception_fp_ieee_underflow 0
		.amdhsa_exception_fp_ieee_inexact 0
		.amdhsa_exception_int_div_zero 0
	.end_amdhsa_kernel
	.section	.text._ZN7rocprim17ROCPRIM_400000_NS6detail17trampoline_kernelINS0_13select_configILj256ELj13ELNS0_17block_load_methodE3ELS4_3ELS4_3ELNS0_20block_scan_algorithmE0ELj4294967295EEENS1_25partition_config_selectorILNS1_17partition_subalgoE4EjNS0_10empty_typeEbEEZZNS1_14partition_implILS8_4ELb0ES6_15HIP_vector_typeIjLj2EENS0_17counting_iteratorIjlEEPS9_SG_NS0_5tupleIJPjSI_NS0_16reverse_iteratorISI_EEEEENSH_IJSG_SG_SG_EEES9_SI_JZNS1_25segmented_radix_sort_implINS0_14default_configELb0EPKaPaPKlPlN2at6native12_GLOBAL__N_18offset_tEEE10hipError_tPvRmT1_PNSt15iterator_traitsIS12_E10value_typeET2_T3_PNS13_IS18_E10value_typeET4_jRbjT5_S1E_jjP12ihipStream_tbEUljE_ZNSN_ISO_Lb0ESQ_SR_ST_SU_SY_EESZ_S10_S11_S12_S16_S17_S18_S1B_S1C_jS1D_jS1E_S1E_jjS1G_bEUljE0_EEESZ_S10_S11_S18_S1C_S1E_T6_T7_T9_mT8_S1G_bDpT10_ENKUlT_T0_E_clISt17integral_constantIbLb1EES1T_IbLb0EEEEDaS1P_S1Q_EUlS1P_E_NS1_11comp_targetILNS1_3genE3ELNS1_11target_archE908ELNS1_3gpuE7ELNS1_3repE0EEENS1_30default_config_static_selectorELNS0_4arch9wavefront6targetE0EEEvS12_,"axG",@progbits,_ZN7rocprim17ROCPRIM_400000_NS6detail17trampoline_kernelINS0_13select_configILj256ELj13ELNS0_17block_load_methodE3ELS4_3ELS4_3ELNS0_20block_scan_algorithmE0ELj4294967295EEENS1_25partition_config_selectorILNS1_17partition_subalgoE4EjNS0_10empty_typeEbEEZZNS1_14partition_implILS8_4ELb0ES6_15HIP_vector_typeIjLj2EENS0_17counting_iteratorIjlEEPS9_SG_NS0_5tupleIJPjSI_NS0_16reverse_iteratorISI_EEEEENSH_IJSG_SG_SG_EEES9_SI_JZNS1_25segmented_radix_sort_implINS0_14default_configELb0EPKaPaPKlPlN2at6native12_GLOBAL__N_18offset_tEEE10hipError_tPvRmT1_PNSt15iterator_traitsIS12_E10value_typeET2_T3_PNS13_IS18_E10value_typeET4_jRbjT5_S1E_jjP12ihipStream_tbEUljE_ZNSN_ISO_Lb0ESQ_SR_ST_SU_SY_EESZ_S10_S11_S12_S16_S17_S18_S1B_S1C_jS1D_jS1E_S1E_jjS1G_bEUljE0_EEESZ_S10_S11_S18_S1C_S1E_T6_T7_T9_mT8_S1G_bDpT10_ENKUlT_T0_E_clISt17integral_constantIbLb1EES1T_IbLb0EEEEDaS1P_S1Q_EUlS1P_E_NS1_11comp_targetILNS1_3genE3ELNS1_11target_archE908ELNS1_3gpuE7ELNS1_3repE0EEENS1_30default_config_static_selectorELNS0_4arch9wavefront6targetE0EEEvS12_,comdat
.Lfunc_end348:
	.size	_ZN7rocprim17ROCPRIM_400000_NS6detail17trampoline_kernelINS0_13select_configILj256ELj13ELNS0_17block_load_methodE3ELS4_3ELS4_3ELNS0_20block_scan_algorithmE0ELj4294967295EEENS1_25partition_config_selectorILNS1_17partition_subalgoE4EjNS0_10empty_typeEbEEZZNS1_14partition_implILS8_4ELb0ES6_15HIP_vector_typeIjLj2EENS0_17counting_iteratorIjlEEPS9_SG_NS0_5tupleIJPjSI_NS0_16reverse_iteratorISI_EEEEENSH_IJSG_SG_SG_EEES9_SI_JZNS1_25segmented_radix_sort_implINS0_14default_configELb0EPKaPaPKlPlN2at6native12_GLOBAL__N_18offset_tEEE10hipError_tPvRmT1_PNSt15iterator_traitsIS12_E10value_typeET2_T3_PNS13_IS18_E10value_typeET4_jRbjT5_S1E_jjP12ihipStream_tbEUljE_ZNSN_ISO_Lb0ESQ_SR_ST_SU_SY_EESZ_S10_S11_S12_S16_S17_S18_S1B_S1C_jS1D_jS1E_S1E_jjS1G_bEUljE0_EEESZ_S10_S11_S18_S1C_S1E_T6_T7_T9_mT8_S1G_bDpT10_ENKUlT_T0_E_clISt17integral_constantIbLb1EES1T_IbLb0EEEEDaS1P_S1Q_EUlS1P_E_NS1_11comp_targetILNS1_3genE3ELNS1_11target_archE908ELNS1_3gpuE7ELNS1_3repE0EEENS1_30default_config_static_selectorELNS0_4arch9wavefront6targetE0EEEvS12_, .Lfunc_end348-_ZN7rocprim17ROCPRIM_400000_NS6detail17trampoline_kernelINS0_13select_configILj256ELj13ELNS0_17block_load_methodE3ELS4_3ELS4_3ELNS0_20block_scan_algorithmE0ELj4294967295EEENS1_25partition_config_selectorILNS1_17partition_subalgoE4EjNS0_10empty_typeEbEEZZNS1_14partition_implILS8_4ELb0ES6_15HIP_vector_typeIjLj2EENS0_17counting_iteratorIjlEEPS9_SG_NS0_5tupleIJPjSI_NS0_16reverse_iteratorISI_EEEEENSH_IJSG_SG_SG_EEES9_SI_JZNS1_25segmented_radix_sort_implINS0_14default_configELb0EPKaPaPKlPlN2at6native12_GLOBAL__N_18offset_tEEE10hipError_tPvRmT1_PNSt15iterator_traitsIS12_E10value_typeET2_T3_PNS13_IS18_E10value_typeET4_jRbjT5_S1E_jjP12ihipStream_tbEUljE_ZNSN_ISO_Lb0ESQ_SR_ST_SU_SY_EESZ_S10_S11_S12_S16_S17_S18_S1B_S1C_jS1D_jS1E_S1E_jjS1G_bEUljE0_EEESZ_S10_S11_S18_S1C_S1E_T6_T7_T9_mT8_S1G_bDpT10_ENKUlT_T0_E_clISt17integral_constantIbLb1EES1T_IbLb0EEEEDaS1P_S1Q_EUlS1P_E_NS1_11comp_targetILNS1_3genE3ELNS1_11target_archE908ELNS1_3gpuE7ELNS1_3repE0EEENS1_30default_config_static_selectorELNS0_4arch9wavefront6targetE0EEEvS12_
                                        ; -- End function
	.set _ZN7rocprim17ROCPRIM_400000_NS6detail17trampoline_kernelINS0_13select_configILj256ELj13ELNS0_17block_load_methodE3ELS4_3ELS4_3ELNS0_20block_scan_algorithmE0ELj4294967295EEENS1_25partition_config_selectorILNS1_17partition_subalgoE4EjNS0_10empty_typeEbEEZZNS1_14partition_implILS8_4ELb0ES6_15HIP_vector_typeIjLj2EENS0_17counting_iteratorIjlEEPS9_SG_NS0_5tupleIJPjSI_NS0_16reverse_iteratorISI_EEEEENSH_IJSG_SG_SG_EEES9_SI_JZNS1_25segmented_radix_sort_implINS0_14default_configELb0EPKaPaPKlPlN2at6native12_GLOBAL__N_18offset_tEEE10hipError_tPvRmT1_PNSt15iterator_traitsIS12_E10value_typeET2_T3_PNS13_IS18_E10value_typeET4_jRbjT5_S1E_jjP12ihipStream_tbEUljE_ZNSN_ISO_Lb0ESQ_SR_ST_SU_SY_EESZ_S10_S11_S12_S16_S17_S18_S1B_S1C_jS1D_jS1E_S1E_jjS1G_bEUljE0_EEESZ_S10_S11_S18_S1C_S1E_T6_T7_T9_mT8_S1G_bDpT10_ENKUlT_T0_E_clISt17integral_constantIbLb1EES1T_IbLb0EEEEDaS1P_S1Q_EUlS1P_E_NS1_11comp_targetILNS1_3genE3ELNS1_11target_archE908ELNS1_3gpuE7ELNS1_3repE0EEENS1_30default_config_static_selectorELNS0_4arch9wavefront6targetE0EEEvS12_.num_vgpr, 0
	.set _ZN7rocprim17ROCPRIM_400000_NS6detail17trampoline_kernelINS0_13select_configILj256ELj13ELNS0_17block_load_methodE3ELS4_3ELS4_3ELNS0_20block_scan_algorithmE0ELj4294967295EEENS1_25partition_config_selectorILNS1_17partition_subalgoE4EjNS0_10empty_typeEbEEZZNS1_14partition_implILS8_4ELb0ES6_15HIP_vector_typeIjLj2EENS0_17counting_iteratorIjlEEPS9_SG_NS0_5tupleIJPjSI_NS0_16reverse_iteratorISI_EEEEENSH_IJSG_SG_SG_EEES9_SI_JZNS1_25segmented_radix_sort_implINS0_14default_configELb0EPKaPaPKlPlN2at6native12_GLOBAL__N_18offset_tEEE10hipError_tPvRmT1_PNSt15iterator_traitsIS12_E10value_typeET2_T3_PNS13_IS18_E10value_typeET4_jRbjT5_S1E_jjP12ihipStream_tbEUljE_ZNSN_ISO_Lb0ESQ_SR_ST_SU_SY_EESZ_S10_S11_S12_S16_S17_S18_S1B_S1C_jS1D_jS1E_S1E_jjS1G_bEUljE0_EEESZ_S10_S11_S18_S1C_S1E_T6_T7_T9_mT8_S1G_bDpT10_ENKUlT_T0_E_clISt17integral_constantIbLb1EES1T_IbLb0EEEEDaS1P_S1Q_EUlS1P_E_NS1_11comp_targetILNS1_3genE3ELNS1_11target_archE908ELNS1_3gpuE7ELNS1_3repE0EEENS1_30default_config_static_selectorELNS0_4arch9wavefront6targetE0EEEvS12_.num_agpr, 0
	.set _ZN7rocprim17ROCPRIM_400000_NS6detail17trampoline_kernelINS0_13select_configILj256ELj13ELNS0_17block_load_methodE3ELS4_3ELS4_3ELNS0_20block_scan_algorithmE0ELj4294967295EEENS1_25partition_config_selectorILNS1_17partition_subalgoE4EjNS0_10empty_typeEbEEZZNS1_14partition_implILS8_4ELb0ES6_15HIP_vector_typeIjLj2EENS0_17counting_iteratorIjlEEPS9_SG_NS0_5tupleIJPjSI_NS0_16reverse_iteratorISI_EEEEENSH_IJSG_SG_SG_EEES9_SI_JZNS1_25segmented_radix_sort_implINS0_14default_configELb0EPKaPaPKlPlN2at6native12_GLOBAL__N_18offset_tEEE10hipError_tPvRmT1_PNSt15iterator_traitsIS12_E10value_typeET2_T3_PNS13_IS18_E10value_typeET4_jRbjT5_S1E_jjP12ihipStream_tbEUljE_ZNSN_ISO_Lb0ESQ_SR_ST_SU_SY_EESZ_S10_S11_S12_S16_S17_S18_S1B_S1C_jS1D_jS1E_S1E_jjS1G_bEUljE0_EEESZ_S10_S11_S18_S1C_S1E_T6_T7_T9_mT8_S1G_bDpT10_ENKUlT_T0_E_clISt17integral_constantIbLb1EES1T_IbLb0EEEEDaS1P_S1Q_EUlS1P_E_NS1_11comp_targetILNS1_3genE3ELNS1_11target_archE908ELNS1_3gpuE7ELNS1_3repE0EEENS1_30default_config_static_selectorELNS0_4arch9wavefront6targetE0EEEvS12_.numbered_sgpr, 0
	.set _ZN7rocprim17ROCPRIM_400000_NS6detail17trampoline_kernelINS0_13select_configILj256ELj13ELNS0_17block_load_methodE3ELS4_3ELS4_3ELNS0_20block_scan_algorithmE0ELj4294967295EEENS1_25partition_config_selectorILNS1_17partition_subalgoE4EjNS0_10empty_typeEbEEZZNS1_14partition_implILS8_4ELb0ES6_15HIP_vector_typeIjLj2EENS0_17counting_iteratorIjlEEPS9_SG_NS0_5tupleIJPjSI_NS0_16reverse_iteratorISI_EEEEENSH_IJSG_SG_SG_EEES9_SI_JZNS1_25segmented_radix_sort_implINS0_14default_configELb0EPKaPaPKlPlN2at6native12_GLOBAL__N_18offset_tEEE10hipError_tPvRmT1_PNSt15iterator_traitsIS12_E10value_typeET2_T3_PNS13_IS18_E10value_typeET4_jRbjT5_S1E_jjP12ihipStream_tbEUljE_ZNSN_ISO_Lb0ESQ_SR_ST_SU_SY_EESZ_S10_S11_S12_S16_S17_S18_S1B_S1C_jS1D_jS1E_S1E_jjS1G_bEUljE0_EEESZ_S10_S11_S18_S1C_S1E_T6_T7_T9_mT8_S1G_bDpT10_ENKUlT_T0_E_clISt17integral_constantIbLb1EES1T_IbLb0EEEEDaS1P_S1Q_EUlS1P_E_NS1_11comp_targetILNS1_3genE3ELNS1_11target_archE908ELNS1_3gpuE7ELNS1_3repE0EEENS1_30default_config_static_selectorELNS0_4arch9wavefront6targetE0EEEvS12_.num_named_barrier, 0
	.set _ZN7rocprim17ROCPRIM_400000_NS6detail17trampoline_kernelINS0_13select_configILj256ELj13ELNS0_17block_load_methodE3ELS4_3ELS4_3ELNS0_20block_scan_algorithmE0ELj4294967295EEENS1_25partition_config_selectorILNS1_17partition_subalgoE4EjNS0_10empty_typeEbEEZZNS1_14partition_implILS8_4ELb0ES6_15HIP_vector_typeIjLj2EENS0_17counting_iteratorIjlEEPS9_SG_NS0_5tupleIJPjSI_NS0_16reverse_iteratorISI_EEEEENSH_IJSG_SG_SG_EEES9_SI_JZNS1_25segmented_radix_sort_implINS0_14default_configELb0EPKaPaPKlPlN2at6native12_GLOBAL__N_18offset_tEEE10hipError_tPvRmT1_PNSt15iterator_traitsIS12_E10value_typeET2_T3_PNS13_IS18_E10value_typeET4_jRbjT5_S1E_jjP12ihipStream_tbEUljE_ZNSN_ISO_Lb0ESQ_SR_ST_SU_SY_EESZ_S10_S11_S12_S16_S17_S18_S1B_S1C_jS1D_jS1E_S1E_jjS1G_bEUljE0_EEESZ_S10_S11_S18_S1C_S1E_T6_T7_T9_mT8_S1G_bDpT10_ENKUlT_T0_E_clISt17integral_constantIbLb1EES1T_IbLb0EEEEDaS1P_S1Q_EUlS1P_E_NS1_11comp_targetILNS1_3genE3ELNS1_11target_archE908ELNS1_3gpuE7ELNS1_3repE0EEENS1_30default_config_static_selectorELNS0_4arch9wavefront6targetE0EEEvS12_.private_seg_size, 0
	.set _ZN7rocprim17ROCPRIM_400000_NS6detail17trampoline_kernelINS0_13select_configILj256ELj13ELNS0_17block_load_methodE3ELS4_3ELS4_3ELNS0_20block_scan_algorithmE0ELj4294967295EEENS1_25partition_config_selectorILNS1_17partition_subalgoE4EjNS0_10empty_typeEbEEZZNS1_14partition_implILS8_4ELb0ES6_15HIP_vector_typeIjLj2EENS0_17counting_iteratorIjlEEPS9_SG_NS0_5tupleIJPjSI_NS0_16reverse_iteratorISI_EEEEENSH_IJSG_SG_SG_EEES9_SI_JZNS1_25segmented_radix_sort_implINS0_14default_configELb0EPKaPaPKlPlN2at6native12_GLOBAL__N_18offset_tEEE10hipError_tPvRmT1_PNSt15iterator_traitsIS12_E10value_typeET2_T3_PNS13_IS18_E10value_typeET4_jRbjT5_S1E_jjP12ihipStream_tbEUljE_ZNSN_ISO_Lb0ESQ_SR_ST_SU_SY_EESZ_S10_S11_S12_S16_S17_S18_S1B_S1C_jS1D_jS1E_S1E_jjS1G_bEUljE0_EEESZ_S10_S11_S18_S1C_S1E_T6_T7_T9_mT8_S1G_bDpT10_ENKUlT_T0_E_clISt17integral_constantIbLb1EES1T_IbLb0EEEEDaS1P_S1Q_EUlS1P_E_NS1_11comp_targetILNS1_3genE3ELNS1_11target_archE908ELNS1_3gpuE7ELNS1_3repE0EEENS1_30default_config_static_selectorELNS0_4arch9wavefront6targetE0EEEvS12_.uses_vcc, 0
	.set _ZN7rocprim17ROCPRIM_400000_NS6detail17trampoline_kernelINS0_13select_configILj256ELj13ELNS0_17block_load_methodE3ELS4_3ELS4_3ELNS0_20block_scan_algorithmE0ELj4294967295EEENS1_25partition_config_selectorILNS1_17partition_subalgoE4EjNS0_10empty_typeEbEEZZNS1_14partition_implILS8_4ELb0ES6_15HIP_vector_typeIjLj2EENS0_17counting_iteratorIjlEEPS9_SG_NS0_5tupleIJPjSI_NS0_16reverse_iteratorISI_EEEEENSH_IJSG_SG_SG_EEES9_SI_JZNS1_25segmented_radix_sort_implINS0_14default_configELb0EPKaPaPKlPlN2at6native12_GLOBAL__N_18offset_tEEE10hipError_tPvRmT1_PNSt15iterator_traitsIS12_E10value_typeET2_T3_PNS13_IS18_E10value_typeET4_jRbjT5_S1E_jjP12ihipStream_tbEUljE_ZNSN_ISO_Lb0ESQ_SR_ST_SU_SY_EESZ_S10_S11_S12_S16_S17_S18_S1B_S1C_jS1D_jS1E_S1E_jjS1G_bEUljE0_EEESZ_S10_S11_S18_S1C_S1E_T6_T7_T9_mT8_S1G_bDpT10_ENKUlT_T0_E_clISt17integral_constantIbLb1EES1T_IbLb0EEEEDaS1P_S1Q_EUlS1P_E_NS1_11comp_targetILNS1_3genE3ELNS1_11target_archE908ELNS1_3gpuE7ELNS1_3repE0EEENS1_30default_config_static_selectorELNS0_4arch9wavefront6targetE0EEEvS12_.uses_flat_scratch, 0
	.set _ZN7rocprim17ROCPRIM_400000_NS6detail17trampoline_kernelINS0_13select_configILj256ELj13ELNS0_17block_load_methodE3ELS4_3ELS4_3ELNS0_20block_scan_algorithmE0ELj4294967295EEENS1_25partition_config_selectorILNS1_17partition_subalgoE4EjNS0_10empty_typeEbEEZZNS1_14partition_implILS8_4ELb0ES6_15HIP_vector_typeIjLj2EENS0_17counting_iteratorIjlEEPS9_SG_NS0_5tupleIJPjSI_NS0_16reverse_iteratorISI_EEEEENSH_IJSG_SG_SG_EEES9_SI_JZNS1_25segmented_radix_sort_implINS0_14default_configELb0EPKaPaPKlPlN2at6native12_GLOBAL__N_18offset_tEEE10hipError_tPvRmT1_PNSt15iterator_traitsIS12_E10value_typeET2_T3_PNS13_IS18_E10value_typeET4_jRbjT5_S1E_jjP12ihipStream_tbEUljE_ZNSN_ISO_Lb0ESQ_SR_ST_SU_SY_EESZ_S10_S11_S12_S16_S17_S18_S1B_S1C_jS1D_jS1E_S1E_jjS1G_bEUljE0_EEESZ_S10_S11_S18_S1C_S1E_T6_T7_T9_mT8_S1G_bDpT10_ENKUlT_T0_E_clISt17integral_constantIbLb1EES1T_IbLb0EEEEDaS1P_S1Q_EUlS1P_E_NS1_11comp_targetILNS1_3genE3ELNS1_11target_archE908ELNS1_3gpuE7ELNS1_3repE0EEENS1_30default_config_static_selectorELNS0_4arch9wavefront6targetE0EEEvS12_.has_dyn_sized_stack, 0
	.set _ZN7rocprim17ROCPRIM_400000_NS6detail17trampoline_kernelINS0_13select_configILj256ELj13ELNS0_17block_load_methodE3ELS4_3ELS4_3ELNS0_20block_scan_algorithmE0ELj4294967295EEENS1_25partition_config_selectorILNS1_17partition_subalgoE4EjNS0_10empty_typeEbEEZZNS1_14partition_implILS8_4ELb0ES6_15HIP_vector_typeIjLj2EENS0_17counting_iteratorIjlEEPS9_SG_NS0_5tupleIJPjSI_NS0_16reverse_iteratorISI_EEEEENSH_IJSG_SG_SG_EEES9_SI_JZNS1_25segmented_radix_sort_implINS0_14default_configELb0EPKaPaPKlPlN2at6native12_GLOBAL__N_18offset_tEEE10hipError_tPvRmT1_PNSt15iterator_traitsIS12_E10value_typeET2_T3_PNS13_IS18_E10value_typeET4_jRbjT5_S1E_jjP12ihipStream_tbEUljE_ZNSN_ISO_Lb0ESQ_SR_ST_SU_SY_EESZ_S10_S11_S12_S16_S17_S18_S1B_S1C_jS1D_jS1E_S1E_jjS1G_bEUljE0_EEESZ_S10_S11_S18_S1C_S1E_T6_T7_T9_mT8_S1G_bDpT10_ENKUlT_T0_E_clISt17integral_constantIbLb1EES1T_IbLb0EEEEDaS1P_S1Q_EUlS1P_E_NS1_11comp_targetILNS1_3genE3ELNS1_11target_archE908ELNS1_3gpuE7ELNS1_3repE0EEENS1_30default_config_static_selectorELNS0_4arch9wavefront6targetE0EEEvS12_.has_recursion, 0
	.set _ZN7rocprim17ROCPRIM_400000_NS6detail17trampoline_kernelINS0_13select_configILj256ELj13ELNS0_17block_load_methodE3ELS4_3ELS4_3ELNS0_20block_scan_algorithmE0ELj4294967295EEENS1_25partition_config_selectorILNS1_17partition_subalgoE4EjNS0_10empty_typeEbEEZZNS1_14partition_implILS8_4ELb0ES6_15HIP_vector_typeIjLj2EENS0_17counting_iteratorIjlEEPS9_SG_NS0_5tupleIJPjSI_NS0_16reverse_iteratorISI_EEEEENSH_IJSG_SG_SG_EEES9_SI_JZNS1_25segmented_radix_sort_implINS0_14default_configELb0EPKaPaPKlPlN2at6native12_GLOBAL__N_18offset_tEEE10hipError_tPvRmT1_PNSt15iterator_traitsIS12_E10value_typeET2_T3_PNS13_IS18_E10value_typeET4_jRbjT5_S1E_jjP12ihipStream_tbEUljE_ZNSN_ISO_Lb0ESQ_SR_ST_SU_SY_EESZ_S10_S11_S12_S16_S17_S18_S1B_S1C_jS1D_jS1E_S1E_jjS1G_bEUljE0_EEESZ_S10_S11_S18_S1C_S1E_T6_T7_T9_mT8_S1G_bDpT10_ENKUlT_T0_E_clISt17integral_constantIbLb1EES1T_IbLb0EEEEDaS1P_S1Q_EUlS1P_E_NS1_11comp_targetILNS1_3genE3ELNS1_11target_archE908ELNS1_3gpuE7ELNS1_3repE0EEENS1_30default_config_static_selectorELNS0_4arch9wavefront6targetE0EEEvS12_.has_indirect_call, 0
	.section	.AMDGPU.csdata,"",@progbits
; Kernel info:
; codeLenInByte = 0
; TotalNumSgprs: 0
; NumVgprs: 0
; ScratchSize: 0
; MemoryBound: 0
; FloatMode: 240
; IeeeMode: 1
; LDSByteSize: 0 bytes/workgroup (compile time only)
; SGPRBlocks: 0
; VGPRBlocks: 0
; NumSGPRsForWavesPerEU: 1
; NumVGPRsForWavesPerEU: 1
; Occupancy: 16
; WaveLimiterHint : 0
; COMPUTE_PGM_RSRC2:SCRATCH_EN: 0
; COMPUTE_PGM_RSRC2:USER_SGPR: 2
; COMPUTE_PGM_RSRC2:TRAP_HANDLER: 0
; COMPUTE_PGM_RSRC2:TGID_X_EN: 1
; COMPUTE_PGM_RSRC2:TGID_Y_EN: 0
; COMPUTE_PGM_RSRC2:TGID_Z_EN: 0
; COMPUTE_PGM_RSRC2:TIDIG_COMP_CNT: 0
	.section	.text._ZN7rocprim17ROCPRIM_400000_NS6detail17trampoline_kernelINS0_13select_configILj256ELj13ELNS0_17block_load_methodE3ELS4_3ELS4_3ELNS0_20block_scan_algorithmE0ELj4294967295EEENS1_25partition_config_selectorILNS1_17partition_subalgoE4EjNS0_10empty_typeEbEEZZNS1_14partition_implILS8_4ELb0ES6_15HIP_vector_typeIjLj2EENS0_17counting_iteratorIjlEEPS9_SG_NS0_5tupleIJPjSI_NS0_16reverse_iteratorISI_EEEEENSH_IJSG_SG_SG_EEES9_SI_JZNS1_25segmented_radix_sort_implINS0_14default_configELb0EPKaPaPKlPlN2at6native12_GLOBAL__N_18offset_tEEE10hipError_tPvRmT1_PNSt15iterator_traitsIS12_E10value_typeET2_T3_PNS13_IS18_E10value_typeET4_jRbjT5_S1E_jjP12ihipStream_tbEUljE_ZNSN_ISO_Lb0ESQ_SR_ST_SU_SY_EESZ_S10_S11_S12_S16_S17_S18_S1B_S1C_jS1D_jS1E_S1E_jjS1G_bEUljE0_EEESZ_S10_S11_S18_S1C_S1E_T6_T7_T9_mT8_S1G_bDpT10_ENKUlT_T0_E_clISt17integral_constantIbLb1EES1T_IbLb0EEEEDaS1P_S1Q_EUlS1P_E_NS1_11comp_targetILNS1_3genE2ELNS1_11target_archE906ELNS1_3gpuE6ELNS1_3repE0EEENS1_30default_config_static_selectorELNS0_4arch9wavefront6targetE0EEEvS12_,"axG",@progbits,_ZN7rocprim17ROCPRIM_400000_NS6detail17trampoline_kernelINS0_13select_configILj256ELj13ELNS0_17block_load_methodE3ELS4_3ELS4_3ELNS0_20block_scan_algorithmE0ELj4294967295EEENS1_25partition_config_selectorILNS1_17partition_subalgoE4EjNS0_10empty_typeEbEEZZNS1_14partition_implILS8_4ELb0ES6_15HIP_vector_typeIjLj2EENS0_17counting_iteratorIjlEEPS9_SG_NS0_5tupleIJPjSI_NS0_16reverse_iteratorISI_EEEEENSH_IJSG_SG_SG_EEES9_SI_JZNS1_25segmented_radix_sort_implINS0_14default_configELb0EPKaPaPKlPlN2at6native12_GLOBAL__N_18offset_tEEE10hipError_tPvRmT1_PNSt15iterator_traitsIS12_E10value_typeET2_T3_PNS13_IS18_E10value_typeET4_jRbjT5_S1E_jjP12ihipStream_tbEUljE_ZNSN_ISO_Lb0ESQ_SR_ST_SU_SY_EESZ_S10_S11_S12_S16_S17_S18_S1B_S1C_jS1D_jS1E_S1E_jjS1G_bEUljE0_EEESZ_S10_S11_S18_S1C_S1E_T6_T7_T9_mT8_S1G_bDpT10_ENKUlT_T0_E_clISt17integral_constantIbLb1EES1T_IbLb0EEEEDaS1P_S1Q_EUlS1P_E_NS1_11comp_targetILNS1_3genE2ELNS1_11target_archE906ELNS1_3gpuE6ELNS1_3repE0EEENS1_30default_config_static_selectorELNS0_4arch9wavefront6targetE0EEEvS12_,comdat
	.globl	_ZN7rocprim17ROCPRIM_400000_NS6detail17trampoline_kernelINS0_13select_configILj256ELj13ELNS0_17block_load_methodE3ELS4_3ELS4_3ELNS0_20block_scan_algorithmE0ELj4294967295EEENS1_25partition_config_selectorILNS1_17partition_subalgoE4EjNS0_10empty_typeEbEEZZNS1_14partition_implILS8_4ELb0ES6_15HIP_vector_typeIjLj2EENS0_17counting_iteratorIjlEEPS9_SG_NS0_5tupleIJPjSI_NS0_16reverse_iteratorISI_EEEEENSH_IJSG_SG_SG_EEES9_SI_JZNS1_25segmented_radix_sort_implINS0_14default_configELb0EPKaPaPKlPlN2at6native12_GLOBAL__N_18offset_tEEE10hipError_tPvRmT1_PNSt15iterator_traitsIS12_E10value_typeET2_T3_PNS13_IS18_E10value_typeET4_jRbjT5_S1E_jjP12ihipStream_tbEUljE_ZNSN_ISO_Lb0ESQ_SR_ST_SU_SY_EESZ_S10_S11_S12_S16_S17_S18_S1B_S1C_jS1D_jS1E_S1E_jjS1G_bEUljE0_EEESZ_S10_S11_S18_S1C_S1E_T6_T7_T9_mT8_S1G_bDpT10_ENKUlT_T0_E_clISt17integral_constantIbLb1EES1T_IbLb0EEEEDaS1P_S1Q_EUlS1P_E_NS1_11comp_targetILNS1_3genE2ELNS1_11target_archE906ELNS1_3gpuE6ELNS1_3repE0EEENS1_30default_config_static_selectorELNS0_4arch9wavefront6targetE0EEEvS12_ ; -- Begin function _ZN7rocprim17ROCPRIM_400000_NS6detail17trampoline_kernelINS0_13select_configILj256ELj13ELNS0_17block_load_methodE3ELS4_3ELS4_3ELNS0_20block_scan_algorithmE0ELj4294967295EEENS1_25partition_config_selectorILNS1_17partition_subalgoE4EjNS0_10empty_typeEbEEZZNS1_14partition_implILS8_4ELb0ES6_15HIP_vector_typeIjLj2EENS0_17counting_iteratorIjlEEPS9_SG_NS0_5tupleIJPjSI_NS0_16reverse_iteratorISI_EEEEENSH_IJSG_SG_SG_EEES9_SI_JZNS1_25segmented_radix_sort_implINS0_14default_configELb0EPKaPaPKlPlN2at6native12_GLOBAL__N_18offset_tEEE10hipError_tPvRmT1_PNSt15iterator_traitsIS12_E10value_typeET2_T3_PNS13_IS18_E10value_typeET4_jRbjT5_S1E_jjP12ihipStream_tbEUljE_ZNSN_ISO_Lb0ESQ_SR_ST_SU_SY_EESZ_S10_S11_S12_S16_S17_S18_S1B_S1C_jS1D_jS1E_S1E_jjS1G_bEUljE0_EEESZ_S10_S11_S18_S1C_S1E_T6_T7_T9_mT8_S1G_bDpT10_ENKUlT_T0_E_clISt17integral_constantIbLb1EES1T_IbLb0EEEEDaS1P_S1Q_EUlS1P_E_NS1_11comp_targetILNS1_3genE2ELNS1_11target_archE906ELNS1_3gpuE6ELNS1_3repE0EEENS1_30default_config_static_selectorELNS0_4arch9wavefront6targetE0EEEvS12_
	.p2align	8
	.type	_ZN7rocprim17ROCPRIM_400000_NS6detail17trampoline_kernelINS0_13select_configILj256ELj13ELNS0_17block_load_methodE3ELS4_3ELS4_3ELNS0_20block_scan_algorithmE0ELj4294967295EEENS1_25partition_config_selectorILNS1_17partition_subalgoE4EjNS0_10empty_typeEbEEZZNS1_14partition_implILS8_4ELb0ES6_15HIP_vector_typeIjLj2EENS0_17counting_iteratorIjlEEPS9_SG_NS0_5tupleIJPjSI_NS0_16reverse_iteratorISI_EEEEENSH_IJSG_SG_SG_EEES9_SI_JZNS1_25segmented_radix_sort_implINS0_14default_configELb0EPKaPaPKlPlN2at6native12_GLOBAL__N_18offset_tEEE10hipError_tPvRmT1_PNSt15iterator_traitsIS12_E10value_typeET2_T3_PNS13_IS18_E10value_typeET4_jRbjT5_S1E_jjP12ihipStream_tbEUljE_ZNSN_ISO_Lb0ESQ_SR_ST_SU_SY_EESZ_S10_S11_S12_S16_S17_S18_S1B_S1C_jS1D_jS1E_S1E_jjS1G_bEUljE0_EEESZ_S10_S11_S18_S1C_S1E_T6_T7_T9_mT8_S1G_bDpT10_ENKUlT_T0_E_clISt17integral_constantIbLb1EES1T_IbLb0EEEEDaS1P_S1Q_EUlS1P_E_NS1_11comp_targetILNS1_3genE2ELNS1_11target_archE906ELNS1_3gpuE6ELNS1_3repE0EEENS1_30default_config_static_selectorELNS0_4arch9wavefront6targetE0EEEvS12_,@function
_ZN7rocprim17ROCPRIM_400000_NS6detail17trampoline_kernelINS0_13select_configILj256ELj13ELNS0_17block_load_methodE3ELS4_3ELS4_3ELNS0_20block_scan_algorithmE0ELj4294967295EEENS1_25partition_config_selectorILNS1_17partition_subalgoE4EjNS0_10empty_typeEbEEZZNS1_14partition_implILS8_4ELb0ES6_15HIP_vector_typeIjLj2EENS0_17counting_iteratorIjlEEPS9_SG_NS0_5tupleIJPjSI_NS0_16reverse_iteratorISI_EEEEENSH_IJSG_SG_SG_EEES9_SI_JZNS1_25segmented_radix_sort_implINS0_14default_configELb0EPKaPaPKlPlN2at6native12_GLOBAL__N_18offset_tEEE10hipError_tPvRmT1_PNSt15iterator_traitsIS12_E10value_typeET2_T3_PNS13_IS18_E10value_typeET4_jRbjT5_S1E_jjP12ihipStream_tbEUljE_ZNSN_ISO_Lb0ESQ_SR_ST_SU_SY_EESZ_S10_S11_S12_S16_S17_S18_S1B_S1C_jS1D_jS1E_S1E_jjS1G_bEUljE0_EEESZ_S10_S11_S18_S1C_S1E_T6_T7_T9_mT8_S1G_bDpT10_ENKUlT_T0_E_clISt17integral_constantIbLb1EES1T_IbLb0EEEEDaS1P_S1Q_EUlS1P_E_NS1_11comp_targetILNS1_3genE2ELNS1_11target_archE906ELNS1_3gpuE6ELNS1_3repE0EEENS1_30default_config_static_selectorELNS0_4arch9wavefront6targetE0EEEvS12_: ; @_ZN7rocprim17ROCPRIM_400000_NS6detail17trampoline_kernelINS0_13select_configILj256ELj13ELNS0_17block_load_methodE3ELS4_3ELS4_3ELNS0_20block_scan_algorithmE0ELj4294967295EEENS1_25partition_config_selectorILNS1_17partition_subalgoE4EjNS0_10empty_typeEbEEZZNS1_14partition_implILS8_4ELb0ES6_15HIP_vector_typeIjLj2EENS0_17counting_iteratorIjlEEPS9_SG_NS0_5tupleIJPjSI_NS0_16reverse_iteratorISI_EEEEENSH_IJSG_SG_SG_EEES9_SI_JZNS1_25segmented_radix_sort_implINS0_14default_configELb0EPKaPaPKlPlN2at6native12_GLOBAL__N_18offset_tEEE10hipError_tPvRmT1_PNSt15iterator_traitsIS12_E10value_typeET2_T3_PNS13_IS18_E10value_typeET4_jRbjT5_S1E_jjP12ihipStream_tbEUljE_ZNSN_ISO_Lb0ESQ_SR_ST_SU_SY_EESZ_S10_S11_S12_S16_S17_S18_S1B_S1C_jS1D_jS1E_S1E_jjS1G_bEUljE0_EEESZ_S10_S11_S18_S1C_S1E_T6_T7_T9_mT8_S1G_bDpT10_ENKUlT_T0_E_clISt17integral_constantIbLb1EES1T_IbLb0EEEEDaS1P_S1Q_EUlS1P_E_NS1_11comp_targetILNS1_3genE2ELNS1_11target_archE906ELNS1_3gpuE6ELNS1_3repE0EEENS1_30default_config_static_selectorELNS0_4arch9wavefront6targetE0EEEvS12_
; %bb.0:
	.section	.rodata,"a",@progbits
	.p2align	6, 0x0
	.amdhsa_kernel _ZN7rocprim17ROCPRIM_400000_NS6detail17trampoline_kernelINS0_13select_configILj256ELj13ELNS0_17block_load_methodE3ELS4_3ELS4_3ELNS0_20block_scan_algorithmE0ELj4294967295EEENS1_25partition_config_selectorILNS1_17partition_subalgoE4EjNS0_10empty_typeEbEEZZNS1_14partition_implILS8_4ELb0ES6_15HIP_vector_typeIjLj2EENS0_17counting_iteratorIjlEEPS9_SG_NS0_5tupleIJPjSI_NS0_16reverse_iteratorISI_EEEEENSH_IJSG_SG_SG_EEES9_SI_JZNS1_25segmented_radix_sort_implINS0_14default_configELb0EPKaPaPKlPlN2at6native12_GLOBAL__N_18offset_tEEE10hipError_tPvRmT1_PNSt15iterator_traitsIS12_E10value_typeET2_T3_PNS13_IS18_E10value_typeET4_jRbjT5_S1E_jjP12ihipStream_tbEUljE_ZNSN_ISO_Lb0ESQ_SR_ST_SU_SY_EESZ_S10_S11_S12_S16_S17_S18_S1B_S1C_jS1D_jS1E_S1E_jjS1G_bEUljE0_EEESZ_S10_S11_S18_S1C_S1E_T6_T7_T9_mT8_S1G_bDpT10_ENKUlT_T0_E_clISt17integral_constantIbLb1EES1T_IbLb0EEEEDaS1P_S1Q_EUlS1P_E_NS1_11comp_targetILNS1_3genE2ELNS1_11target_archE906ELNS1_3gpuE6ELNS1_3repE0EEENS1_30default_config_static_selectorELNS0_4arch9wavefront6targetE0EEEvS12_
		.amdhsa_group_segment_fixed_size 0
		.amdhsa_private_segment_fixed_size 0
		.amdhsa_kernarg_size 176
		.amdhsa_user_sgpr_count 2
		.amdhsa_user_sgpr_dispatch_ptr 0
		.amdhsa_user_sgpr_queue_ptr 0
		.amdhsa_user_sgpr_kernarg_segment_ptr 1
		.amdhsa_user_sgpr_dispatch_id 0
		.amdhsa_user_sgpr_private_segment_size 0
		.amdhsa_wavefront_size32 1
		.amdhsa_uses_dynamic_stack 0
		.amdhsa_enable_private_segment 0
		.amdhsa_system_sgpr_workgroup_id_x 1
		.amdhsa_system_sgpr_workgroup_id_y 0
		.amdhsa_system_sgpr_workgroup_id_z 0
		.amdhsa_system_sgpr_workgroup_info 0
		.amdhsa_system_vgpr_workitem_id 0
		.amdhsa_next_free_vgpr 1
		.amdhsa_next_free_sgpr 1
		.amdhsa_reserve_vcc 0
		.amdhsa_float_round_mode_32 0
		.amdhsa_float_round_mode_16_64 0
		.amdhsa_float_denorm_mode_32 3
		.amdhsa_float_denorm_mode_16_64 3
		.amdhsa_fp16_overflow 0
		.amdhsa_workgroup_processor_mode 1
		.amdhsa_memory_ordered 1
		.amdhsa_forward_progress 1
		.amdhsa_inst_pref_size 0
		.amdhsa_round_robin_scheduling 0
		.amdhsa_exception_fp_ieee_invalid_op 0
		.amdhsa_exception_fp_denorm_src 0
		.amdhsa_exception_fp_ieee_div_zero 0
		.amdhsa_exception_fp_ieee_overflow 0
		.amdhsa_exception_fp_ieee_underflow 0
		.amdhsa_exception_fp_ieee_inexact 0
		.amdhsa_exception_int_div_zero 0
	.end_amdhsa_kernel
	.section	.text._ZN7rocprim17ROCPRIM_400000_NS6detail17trampoline_kernelINS0_13select_configILj256ELj13ELNS0_17block_load_methodE3ELS4_3ELS4_3ELNS0_20block_scan_algorithmE0ELj4294967295EEENS1_25partition_config_selectorILNS1_17partition_subalgoE4EjNS0_10empty_typeEbEEZZNS1_14partition_implILS8_4ELb0ES6_15HIP_vector_typeIjLj2EENS0_17counting_iteratorIjlEEPS9_SG_NS0_5tupleIJPjSI_NS0_16reverse_iteratorISI_EEEEENSH_IJSG_SG_SG_EEES9_SI_JZNS1_25segmented_radix_sort_implINS0_14default_configELb0EPKaPaPKlPlN2at6native12_GLOBAL__N_18offset_tEEE10hipError_tPvRmT1_PNSt15iterator_traitsIS12_E10value_typeET2_T3_PNS13_IS18_E10value_typeET4_jRbjT5_S1E_jjP12ihipStream_tbEUljE_ZNSN_ISO_Lb0ESQ_SR_ST_SU_SY_EESZ_S10_S11_S12_S16_S17_S18_S1B_S1C_jS1D_jS1E_S1E_jjS1G_bEUljE0_EEESZ_S10_S11_S18_S1C_S1E_T6_T7_T9_mT8_S1G_bDpT10_ENKUlT_T0_E_clISt17integral_constantIbLb1EES1T_IbLb0EEEEDaS1P_S1Q_EUlS1P_E_NS1_11comp_targetILNS1_3genE2ELNS1_11target_archE906ELNS1_3gpuE6ELNS1_3repE0EEENS1_30default_config_static_selectorELNS0_4arch9wavefront6targetE0EEEvS12_,"axG",@progbits,_ZN7rocprim17ROCPRIM_400000_NS6detail17trampoline_kernelINS0_13select_configILj256ELj13ELNS0_17block_load_methodE3ELS4_3ELS4_3ELNS0_20block_scan_algorithmE0ELj4294967295EEENS1_25partition_config_selectorILNS1_17partition_subalgoE4EjNS0_10empty_typeEbEEZZNS1_14partition_implILS8_4ELb0ES6_15HIP_vector_typeIjLj2EENS0_17counting_iteratorIjlEEPS9_SG_NS0_5tupleIJPjSI_NS0_16reverse_iteratorISI_EEEEENSH_IJSG_SG_SG_EEES9_SI_JZNS1_25segmented_radix_sort_implINS0_14default_configELb0EPKaPaPKlPlN2at6native12_GLOBAL__N_18offset_tEEE10hipError_tPvRmT1_PNSt15iterator_traitsIS12_E10value_typeET2_T3_PNS13_IS18_E10value_typeET4_jRbjT5_S1E_jjP12ihipStream_tbEUljE_ZNSN_ISO_Lb0ESQ_SR_ST_SU_SY_EESZ_S10_S11_S12_S16_S17_S18_S1B_S1C_jS1D_jS1E_S1E_jjS1G_bEUljE0_EEESZ_S10_S11_S18_S1C_S1E_T6_T7_T9_mT8_S1G_bDpT10_ENKUlT_T0_E_clISt17integral_constantIbLb1EES1T_IbLb0EEEEDaS1P_S1Q_EUlS1P_E_NS1_11comp_targetILNS1_3genE2ELNS1_11target_archE906ELNS1_3gpuE6ELNS1_3repE0EEENS1_30default_config_static_selectorELNS0_4arch9wavefront6targetE0EEEvS12_,comdat
.Lfunc_end349:
	.size	_ZN7rocprim17ROCPRIM_400000_NS6detail17trampoline_kernelINS0_13select_configILj256ELj13ELNS0_17block_load_methodE3ELS4_3ELS4_3ELNS0_20block_scan_algorithmE0ELj4294967295EEENS1_25partition_config_selectorILNS1_17partition_subalgoE4EjNS0_10empty_typeEbEEZZNS1_14partition_implILS8_4ELb0ES6_15HIP_vector_typeIjLj2EENS0_17counting_iteratorIjlEEPS9_SG_NS0_5tupleIJPjSI_NS0_16reverse_iteratorISI_EEEEENSH_IJSG_SG_SG_EEES9_SI_JZNS1_25segmented_radix_sort_implINS0_14default_configELb0EPKaPaPKlPlN2at6native12_GLOBAL__N_18offset_tEEE10hipError_tPvRmT1_PNSt15iterator_traitsIS12_E10value_typeET2_T3_PNS13_IS18_E10value_typeET4_jRbjT5_S1E_jjP12ihipStream_tbEUljE_ZNSN_ISO_Lb0ESQ_SR_ST_SU_SY_EESZ_S10_S11_S12_S16_S17_S18_S1B_S1C_jS1D_jS1E_S1E_jjS1G_bEUljE0_EEESZ_S10_S11_S18_S1C_S1E_T6_T7_T9_mT8_S1G_bDpT10_ENKUlT_T0_E_clISt17integral_constantIbLb1EES1T_IbLb0EEEEDaS1P_S1Q_EUlS1P_E_NS1_11comp_targetILNS1_3genE2ELNS1_11target_archE906ELNS1_3gpuE6ELNS1_3repE0EEENS1_30default_config_static_selectorELNS0_4arch9wavefront6targetE0EEEvS12_, .Lfunc_end349-_ZN7rocprim17ROCPRIM_400000_NS6detail17trampoline_kernelINS0_13select_configILj256ELj13ELNS0_17block_load_methodE3ELS4_3ELS4_3ELNS0_20block_scan_algorithmE0ELj4294967295EEENS1_25partition_config_selectorILNS1_17partition_subalgoE4EjNS0_10empty_typeEbEEZZNS1_14partition_implILS8_4ELb0ES6_15HIP_vector_typeIjLj2EENS0_17counting_iteratorIjlEEPS9_SG_NS0_5tupleIJPjSI_NS0_16reverse_iteratorISI_EEEEENSH_IJSG_SG_SG_EEES9_SI_JZNS1_25segmented_radix_sort_implINS0_14default_configELb0EPKaPaPKlPlN2at6native12_GLOBAL__N_18offset_tEEE10hipError_tPvRmT1_PNSt15iterator_traitsIS12_E10value_typeET2_T3_PNS13_IS18_E10value_typeET4_jRbjT5_S1E_jjP12ihipStream_tbEUljE_ZNSN_ISO_Lb0ESQ_SR_ST_SU_SY_EESZ_S10_S11_S12_S16_S17_S18_S1B_S1C_jS1D_jS1E_S1E_jjS1G_bEUljE0_EEESZ_S10_S11_S18_S1C_S1E_T6_T7_T9_mT8_S1G_bDpT10_ENKUlT_T0_E_clISt17integral_constantIbLb1EES1T_IbLb0EEEEDaS1P_S1Q_EUlS1P_E_NS1_11comp_targetILNS1_3genE2ELNS1_11target_archE906ELNS1_3gpuE6ELNS1_3repE0EEENS1_30default_config_static_selectorELNS0_4arch9wavefront6targetE0EEEvS12_
                                        ; -- End function
	.set _ZN7rocprim17ROCPRIM_400000_NS6detail17trampoline_kernelINS0_13select_configILj256ELj13ELNS0_17block_load_methodE3ELS4_3ELS4_3ELNS0_20block_scan_algorithmE0ELj4294967295EEENS1_25partition_config_selectorILNS1_17partition_subalgoE4EjNS0_10empty_typeEbEEZZNS1_14partition_implILS8_4ELb0ES6_15HIP_vector_typeIjLj2EENS0_17counting_iteratorIjlEEPS9_SG_NS0_5tupleIJPjSI_NS0_16reverse_iteratorISI_EEEEENSH_IJSG_SG_SG_EEES9_SI_JZNS1_25segmented_radix_sort_implINS0_14default_configELb0EPKaPaPKlPlN2at6native12_GLOBAL__N_18offset_tEEE10hipError_tPvRmT1_PNSt15iterator_traitsIS12_E10value_typeET2_T3_PNS13_IS18_E10value_typeET4_jRbjT5_S1E_jjP12ihipStream_tbEUljE_ZNSN_ISO_Lb0ESQ_SR_ST_SU_SY_EESZ_S10_S11_S12_S16_S17_S18_S1B_S1C_jS1D_jS1E_S1E_jjS1G_bEUljE0_EEESZ_S10_S11_S18_S1C_S1E_T6_T7_T9_mT8_S1G_bDpT10_ENKUlT_T0_E_clISt17integral_constantIbLb1EES1T_IbLb0EEEEDaS1P_S1Q_EUlS1P_E_NS1_11comp_targetILNS1_3genE2ELNS1_11target_archE906ELNS1_3gpuE6ELNS1_3repE0EEENS1_30default_config_static_selectorELNS0_4arch9wavefront6targetE0EEEvS12_.num_vgpr, 0
	.set _ZN7rocprim17ROCPRIM_400000_NS6detail17trampoline_kernelINS0_13select_configILj256ELj13ELNS0_17block_load_methodE3ELS4_3ELS4_3ELNS0_20block_scan_algorithmE0ELj4294967295EEENS1_25partition_config_selectorILNS1_17partition_subalgoE4EjNS0_10empty_typeEbEEZZNS1_14partition_implILS8_4ELb0ES6_15HIP_vector_typeIjLj2EENS0_17counting_iteratorIjlEEPS9_SG_NS0_5tupleIJPjSI_NS0_16reverse_iteratorISI_EEEEENSH_IJSG_SG_SG_EEES9_SI_JZNS1_25segmented_radix_sort_implINS0_14default_configELb0EPKaPaPKlPlN2at6native12_GLOBAL__N_18offset_tEEE10hipError_tPvRmT1_PNSt15iterator_traitsIS12_E10value_typeET2_T3_PNS13_IS18_E10value_typeET4_jRbjT5_S1E_jjP12ihipStream_tbEUljE_ZNSN_ISO_Lb0ESQ_SR_ST_SU_SY_EESZ_S10_S11_S12_S16_S17_S18_S1B_S1C_jS1D_jS1E_S1E_jjS1G_bEUljE0_EEESZ_S10_S11_S18_S1C_S1E_T6_T7_T9_mT8_S1G_bDpT10_ENKUlT_T0_E_clISt17integral_constantIbLb1EES1T_IbLb0EEEEDaS1P_S1Q_EUlS1P_E_NS1_11comp_targetILNS1_3genE2ELNS1_11target_archE906ELNS1_3gpuE6ELNS1_3repE0EEENS1_30default_config_static_selectorELNS0_4arch9wavefront6targetE0EEEvS12_.num_agpr, 0
	.set _ZN7rocprim17ROCPRIM_400000_NS6detail17trampoline_kernelINS0_13select_configILj256ELj13ELNS0_17block_load_methodE3ELS4_3ELS4_3ELNS0_20block_scan_algorithmE0ELj4294967295EEENS1_25partition_config_selectorILNS1_17partition_subalgoE4EjNS0_10empty_typeEbEEZZNS1_14partition_implILS8_4ELb0ES6_15HIP_vector_typeIjLj2EENS0_17counting_iteratorIjlEEPS9_SG_NS0_5tupleIJPjSI_NS0_16reverse_iteratorISI_EEEEENSH_IJSG_SG_SG_EEES9_SI_JZNS1_25segmented_radix_sort_implINS0_14default_configELb0EPKaPaPKlPlN2at6native12_GLOBAL__N_18offset_tEEE10hipError_tPvRmT1_PNSt15iterator_traitsIS12_E10value_typeET2_T3_PNS13_IS18_E10value_typeET4_jRbjT5_S1E_jjP12ihipStream_tbEUljE_ZNSN_ISO_Lb0ESQ_SR_ST_SU_SY_EESZ_S10_S11_S12_S16_S17_S18_S1B_S1C_jS1D_jS1E_S1E_jjS1G_bEUljE0_EEESZ_S10_S11_S18_S1C_S1E_T6_T7_T9_mT8_S1G_bDpT10_ENKUlT_T0_E_clISt17integral_constantIbLb1EES1T_IbLb0EEEEDaS1P_S1Q_EUlS1P_E_NS1_11comp_targetILNS1_3genE2ELNS1_11target_archE906ELNS1_3gpuE6ELNS1_3repE0EEENS1_30default_config_static_selectorELNS0_4arch9wavefront6targetE0EEEvS12_.numbered_sgpr, 0
	.set _ZN7rocprim17ROCPRIM_400000_NS6detail17trampoline_kernelINS0_13select_configILj256ELj13ELNS0_17block_load_methodE3ELS4_3ELS4_3ELNS0_20block_scan_algorithmE0ELj4294967295EEENS1_25partition_config_selectorILNS1_17partition_subalgoE4EjNS0_10empty_typeEbEEZZNS1_14partition_implILS8_4ELb0ES6_15HIP_vector_typeIjLj2EENS0_17counting_iteratorIjlEEPS9_SG_NS0_5tupleIJPjSI_NS0_16reverse_iteratorISI_EEEEENSH_IJSG_SG_SG_EEES9_SI_JZNS1_25segmented_radix_sort_implINS0_14default_configELb0EPKaPaPKlPlN2at6native12_GLOBAL__N_18offset_tEEE10hipError_tPvRmT1_PNSt15iterator_traitsIS12_E10value_typeET2_T3_PNS13_IS18_E10value_typeET4_jRbjT5_S1E_jjP12ihipStream_tbEUljE_ZNSN_ISO_Lb0ESQ_SR_ST_SU_SY_EESZ_S10_S11_S12_S16_S17_S18_S1B_S1C_jS1D_jS1E_S1E_jjS1G_bEUljE0_EEESZ_S10_S11_S18_S1C_S1E_T6_T7_T9_mT8_S1G_bDpT10_ENKUlT_T0_E_clISt17integral_constantIbLb1EES1T_IbLb0EEEEDaS1P_S1Q_EUlS1P_E_NS1_11comp_targetILNS1_3genE2ELNS1_11target_archE906ELNS1_3gpuE6ELNS1_3repE0EEENS1_30default_config_static_selectorELNS0_4arch9wavefront6targetE0EEEvS12_.num_named_barrier, 0
	.set _ZN7rocprim17ROCPRIM_400000_NS6detail17trampoline_kernelINS0_13select_configILj256ELj13ELNS0_17block_load_methodE3ELS4_3ELS4_3ELNS0_20block_scan_algorithmE0ELj4294967295EEENS1_25partition_config_selectorILNS1_17partition_subalgoE4EjNS0_10empty_typeEbEEZZNS1_14partition_implILS8_4ELb0ES6_15HIP_vector_typeIjLj2EENS0_17counting_iteratorIjlEEPS9_SG_NS0_5tupleIJPjSI_NS0_16reverse_iteratorISI_EEEEENSH_IJSG_SG_SG_EEES9_SI_JZNS1_25segmented_radix_sort_implINS0_14default_configELb0EPKaPaPKlPlN2at6native12_GLOBAL__N_18offset_tEEE10hipError_tPvRmT1_PNSt15iterator_traitsIS12_E10value_typeET2_T3_PNS13_IS18_E10value_typeET4_jRbjT5_S1E_jjP12ihipStream_tbEUljE_ZNSN_ISO_Lb0ESQ_SR_ST_SU_SY_EESZ_S10_S11_S12_S16_S17_S18_S1B_S1C_jS1D_jS1E_S1E_jjS1G_bEUljE0_EEESZ_S10_S11_S18_S1C_S1E_T6_T7_T9_mT8_S1G_bDpT10_ENKUlT_T0_E_clISt17integral_constantIbLb1EES1T_IbLb0EEEEDaS1P_S1Q_EUlS1P_E_NS1_11comp_targetILNS1_3genE2ELNS1_11target_archE906ELNS1_3gpuE6ELNS1_3repE0EEENS1_30default_config_static_selectorELNS0_4arch9wavefront6targetE0EEEvS12_.private_seg_size, 0
	.set _ZN7rocprim17ROCPRIM_400000_NS6detail17trampoline_kernelINS0_13select_configILj256ELj13ELNS0_17block_load_methodE3ELS4_3ELS4_3ELNS0_20block_scan_algorithmE0ELj4294967295EEENS1_25partition_config_selectorILNS1_17partition_subalgoE4EjNS0_10empty_typeEbEEZZNS1_14partition_implILS8_4ELb0ES6_15HIP_vector_typeIjLj2EENS0_17counting_iteratorIjlEEPS9_SG_NS0_5tupleIJPjSI_NS0_16reverse_iteratorISI_EEEEENSH_IJSG_SG_SG_EEES9_SI_JZNS1_25segmented_radix_sort_implINS0_14default_configELb0EPKaPaPKlPlN2at6native12_GLOBAL__N_18offset_tEEE10hipError_tPvRmT1_PNSt15iterator_traitsIS12_E10value_typeET2_T3_PNS13_IS18_E10value_typeET4_jRbjT5_S1E_jjP12ihipStream_tbEUljE_ZNSN_ISO_Lb0ESQ_SR_ST_SU_SY_EESZ_S10_S11_S12_S16_S17_S18_S1B_S1C_jS1D_jS1E_S1E_jjS1G_bEUljE0_EEESZ_S10_S11_S18_S1C_S1E_T6_T7_T9_mT8_S1G_bDpT10_ENKUlT_T0_E_clISt17integral_constantIbLb1EES1T_IbLb0EEEEDaS1P_S1Q_EUlS1P_E_NS1_11comp_targetILNS1_3genE2ELNS1_11target_archE906ELNS1_3gpuE6ELNS1_3repE0EEENS1_30default_config_static_selectorELNS0_4arch9wavefront6targetE0EEEvS12_.uses_vcc, 0
	.set _ZN7rocprim17ROCPRIM_400000_NS6detail17trampoline_kernelINS0_13select_configILj256ELj13ELNS0_17block_load_methodE3ELS4_3ELS4_3ELNS0_20block_scan_algorithmE0ELj4294967295EEENS1_25partition_config_selectorILNS1_17partition_subalgoE4EjNS0_10empty_typeEbEEZZNS1_14partition_implILS8_4ELb0ES6_15HIP_vector_typeIjLj2EENS0_17counting_iteratorIjlEEPS9_SG_NS0_5tupleIJPjSI_NS0_16reverse_iteratorISI_EEEEENSH_IJSG_SG_SG_EEES9_SI_JZNS1_25segmented_radix_sort_implINS0_14default_configELb0EPKaPaPKlPlN2at6native12_GLOBAL__N_18offset_tEEE10hipError_tPvRmT1_PNSt15iterator_traitsIS12_E10value_typeET2_T3_PNS13_IS18_E10value_typeET4_jRbjT5_S1E_jjP12ihipStream_tbEUljE_ZNSN_ISO_Lb0ESQ_SR_ST_SU_SY_EESZ_S10_S11_S12_S16_S17_S18_S1B_S1C_jS1D_jS1E_S1E_jjS1G_bEUljE0_EEESZ_S10_S11_S18_S1C_S1E_T6_T7_T9_mT8_S1G_bDpT10_ENKUlT_T0_E_clISt17integral_constantIbLb1EES1T_IbLb0EEEEDaS1P_S1Q_EUlS1P_E_NS1_11comp_targetILNS1_3genE2ELNS1_11target_archE906ELNS1_3gpuE6ELNS1_3repE0EEENS1_30default_config_static_selectorELNS0_4arch9wavefront6targetE0EEEvS12_.uses_flat_scratch, 0
	.set _ZN7rocprim17ROCPRIM_400000_NS6detail17trampoline_kernelINS0_13select_configILj256ELj13ELNS0_17block_load_methodE3ELS4_3ELS4_3ELNS0_20block_scan_algorithmE0ELj4294967295EEENS1_25partition_config_selectorILNS1_17partition_subalgoE4EjNS0_10empty_typeEbEEZZNS1_14partition_implILS8_4ELb0ES6_15HIP_vector_typeIjLj2EENS0_17counting_iteratorIjlEEPS9_SG_NS0_5tupleIJPjSI_NS0_16reverse_iteratorISI_EEEEENSH_IJSG_SG_SG_EEES9_SI_JZNS1_25segmented_radix_sort_implINS0_14default_configELb0EPKaPaPKlPlN2at6native12_GLOBAL__N_18offset_tEEE10hipError_tPvRmT1_PNSt15iterator_traitsIS12_E10value_typeET2_T3_PNS13_IS18_E10value_typeET4_jRbjT5_S1E_jjP12ihipStream_tbEUljE_ZNSN_ISO_Lb0ESQ_SR_ST_SU_SY_EESZ_S10_S11_S12_S16_S17_S18_S1B_S1C_jS1D_jS1E_S1E_jjS1G_bEUljE0_EEESZ_S10_S11_S18_S1C_S1E_T6_T7_T9_mT8_S1G_bDpT10_ENKUlT_T0_E_clISt17integral_constantIbLb1EES1T_IbLb0EEEEDaS1P_S1Q_EUlS1P_E_NS1_11comp_targetILNS1_3genE2ELNS1_11target_archE906ELNS1_3gpuE6ELNS1_3repE0EEENS1_30default_config_static_selectorELNS0_4arch9wavefront6targetE0EEEvS12_.has_dyn_sized_stack, 0
	.set _ZN7rocprim17ROCPRIM_400000_NS6detail17trampoline_kernelINS0_13select_configILj256ELj13ELNS0_17block_load_methodE3ELS4_3ELS4_3ELNS0_20block_scan_algorithmE0ELj4294967295EEENS1_25partition_config_selectorILNS1_17partition_subalgoE4EjNS0_10empty_typeEbEEZZNS1_14partition_implILS8_4ELb0ES6_15HIP_vector_typeIjLj2EENS0_17counting_iteratorIjlEEPS9_SG_NS0_5tupleIJPjSI_NS0_16reverse_iteratorISI_EEEEENSH_IJSG_SG_SG_EEES9_SI_JZNS1_25segmented_radix_sort_implINS0_14default_configELb0EPKaPaPKlPlN2at6native12_GLOBAL__N_18offset_tEEE10hipError_tPvRmT1_PNSt15iterator_traitsIS12_E10value_typeET2_T3_PNS13_IS18_E10value_typeET4_jRbjT5_S1E_jjP12ihipStream_tbEUljE_ZNSN_ISO_Lb0ESQ_SR_ST_SU_SY_EESZ_S10_S11_S12_S16_S17_S18_S1B_S1C_jS1D_jS1E_S1E_jjS1G_bEUljE0_EEESZ_S10_S11_S18_S1C_S1E_T6_T7_T9_mT8_S1G_bDpT10_ENKUlT_T0_E_clISt17integral_constantIbLb1EES1T_IbLb0EEEEDaS1P_S1Q_EUlS1P_E_NS1_11comp_targetILNS1_3genE2ELNS1_11target_archE906ELNS1_3gpuE6ELNS1_3repE0EEENS1_30default_config_static_selectorELNS0_4arch9wavefront6targetE0EEEvS12_.has_recursion, 0
	.set _ZN7rocprim17ROCPRIM_400000_NS6detail17trampoline_kernelINS0_13select_configILj256ELj13ELNS0_17block_load_methodE3ELS4_3ELS4_3ELNS0_20block_scan_algorithmE0ELj4294967295EEENS1_25partition_config_selectorILNS1_17partition_subalgoE4EjNS0_10empty_typeEbEEZZNS1_14partition_implILS8_4ELb0ES6_15HIP_vector_typeIjLj2EENS0_17counting_iteratorIjlEEPS9_SG_NS0_5tupleIJPjSI_NS0_16reverse_iteratorISI_EEEEENSH_IJSG_SG_SG_EEES9_SI_JZNS1_25segmented_radix_sort_implINS0_14default_configELb0EPKaPaPKlPlN2at6native12_GLOBAL__N_18offset_tEEE10hipError_tPvRmT1_PNSt15iterator_traitsIS12_E10value_typeET2_T3_PNS13_IS18_E10value_typeET4_jRbjT5_S1E_jjP12ihipStream_tbEUljE_ZNSN_ISO_Lb0ESQ_SR_ST_SU_SY_EESZ_S10_S11_S12_S16_S17_S18_S1B_S1C_jS1D_jS1E_S1E_jjS1G_bEUljE0_EEESZ_S10_S11_S18_S1C_S1E_T6_T7_T9_mT8_S1G_bDpT10_ENKUlT_T0_E_clISt17integral_constantIbLb1EES1T_IbLb0EEEEDaS1P_S1Q_EUlS1P_E_NS1_11comp_targetILNS1_3genE2ELNS1_11target_archE906ELNS1_3gpuE6ELNS1_3repE0EEENS1_30default_config_static_selectorELNS0_4arch9wavefront6targetE0EEEvS12_.has_indirect_call, 0
	.section	.AMDGPU.csdata,"",@progbits
; Kernel info:
; codeLenInByte = 0
; TotalNumSgprs: 0
; NumVgprs: 0
; ScratchSize: 0
; MemoryBound: 0
; FloatMode: 240
; IeeeMode: 1
; LDSByteSize: 0 bytes/workgroup (compile time only)
; SGPRBlocks: 0
; VGPRBlocks: 0
; NumSGPRsForWavesPerEU: 1
; NumVGPRsForWavesPerEU: 1
; Occupancy: 16
; WaveLimiterHint : 0
; COMPUTE_PGM_RSRC2:SCRATCH_EN: 0
; COMPUTE_PGM_RSRC2:USER_SGPR: 2
; COMPUTE_PGM_RSRC2:TRAP_HANDLER: 0
; COMPUTE_PGM_RSRC2:TGID_X_EN: 1
; COMPUTE_PGM_RSRC2:TGID_Y_EN: 0
; COMPUTE_PGM_RSRC2:TGID_Z_EN: 0
; COMPUTE_PGM_RSRC2:TIDIG_COMP_CNT: 0
	.section	.text._ZN7rocprim17ROCPRIM_400000_NS6detail17trampoline_kernelINS0_13select_configILj256ELj13ELNS0_17block_load_methodE3ELS4_3ELS4_3ELNS0_20block_scan_algorithmE0ELj4294967295EEENS1_25partition_config_selectorILNS1_17partition_subalgoE4EjNS0_10empty_typeEbEEZZNS1_14partition_implILS8_4ELb0ES6_15HIP_vector_typeIjLj2EENS0_17counting_iteratorIjlEEPS9_SG_NS0_5tupleIJPjSI_NS0_16reverse_iteratorISI_EEEEENSH_IJSG_SG_SG_EEES9_SI_JZNS1_25segmented_radix_sort_implINS0_14default_configELb0EPKaPaPKlPlN2at6native12_GLOBAL__N_18offset_tEEE10hipError_tPvRmT1_PNSt15iterator_traitsIS12_E10value_typeET2_T3_PNS13_IS18_E10value_typeET4_jRbjT5_S1E_jjP12ihipStream_tbEUljE_ZNSN_ISO_Lb0ESQ_SR_ST_SU_SY_EESZ_S10_S11_S12_S16_S17_S18_S1B_S1C_jS1D_jS1E_S1E_jjS1G_bEUljE0_EEESZ_S10_S11_S18_S1C_S1E_T6_T7_T9_mT8_S1G_bDpT10_ENKUlT_T0_E_clISt17integral_constantIbLb1EES1T_IbLb0EEEEDaS1P_S1Q_EUlS1P_E_NS1_11comp_targetILNS1_3genE10ELNS1_11target_archE1200ELNS1_3gpuE4ELNS1_3repE0EEENS1_30default_config_static_selectorELNS0_4arch9wavefront6targetE0EEEvS12_,"axG",@progbits,_ZN7rocprim17ROCPRIM_400000_NS6detail17trampoline_kernelINS0_13select_configILj256ELj13ELNS0_17block_load_methodE3ELS4_3ELS4_3ELNS0_20block_scan_algorithmE0ELj4294967295EEENS1_25partition_config_selectorILNS1_17partition_subalgoE4EjNS0_10empty_typeEbEEZZNS1_14partition_implILS8_4ELb0ES6_15HIP_vector_typeIjLj2EENS0_17counting_iteratorIjlEEPS9_SG_NS0_5tupleIJPjSI_NS0_16reverse_iteratorISI_EEEEENSH_IJSG_SG_SG_EEES9_SI_JZNS1_25segmented_radix_sort_implINS0_14default_configELb0EPKaPaPKlPlN2at6native12_GLOBAL__N_18offset_tEEE10hipError_tPvRmT1_PNSt15iterator_traitsIS12_E10value_typeET2_T3_PNS13_IS18_E10value_typeET4_jRbjT5_S1E_jjP12ihipStream_tbEUljE_ZNSN_ISO_Lb0ESQ_SR_ST_SU_SY_EESZ_S10_S11_S12_S16_S17_S18_S1B_S1C_jS1D_jS1E_S1E_jjS1G_bEUljE0_EEESZ_S10_S11_S18_S1C_S1E_T6_T7_T9_mT8_S1G_bDpT10_ENKUlT_T0_E_clISt17integral_constantIbLb1EES1T_IbLb0EEEEDaS1P_S1Q_EUlS1P_E_NS1_11comp_targetILNS1_3genE10ELNS1_11target_archE1200ELNS1_3gpuE4ELNS1_3repE0EEENS1_30default_config_static_selectorELNS0_4arch9wavefront6targetE0EEEvS12_,comdat
	.globl	_ZN7rocprim17ROCPRIM_400000_NS6detail17trampoline_kernelINS0_13select_configILj256ELj13ELNS0_17block_load_methodE3ELS4_3ELS4_3ELNS0_20block_scan_algorithmE0ELj4294967295EEENS1_25partition_config_selectorILNS1_17partition_subalgoE4EjNS0_10empty_typeEbEEZZNS1_14partition_implILS8_4ELb0ES6_15HIP_vector_typeIjLj2EENS0_17counting_iteratorIjlEEPS9_SG_NS0_5tupleIJPjSI_NS0_16reverse_iteratorISI_EEEEENSH_IJSG_SG_SG_EEES9_SI_JZNS1_25segmented_radix_sort_implINS0_14default_configELb0EPKaPaPKlPlN2at6native12_GLOBAL__N_18offset_tEEE10hipError_tPvRmT1_PNSt15iterator_traitsIS12_E10value_typeET2_T3_PNS13_IS18_E10value_typeET4_jRbjT5_S1E_jjP12ihipStream_tbEUljE_ZNSN_ISO_Lb0ESQ_SR_ST_SU_SY_EESZ_S10_S11_S12_S16_S17_S18_S1B_S1C_jS1D_jS1E_S1E_jjS1G_bEUljE0_EEESZ_S10_S11_S18_S1C_S1E_T6_T7_T9_mT8_S1G_bDpT10_ENKUlT_T0_E_clISt17integral_constantIbLb1EES1T_IbLb0EEEEDaS1P_S1Q_EUlS1P_E_NS1_11comp_targetILNS1_3genE10ELNS1_11target_archE1200ELNS1_3gpuE4ELNS1_3repE0EEENS1_30default_config_static_selectorELNS0_4arch9wavefront6targetE0EEEvS12_ ; -- Begin function _ZN7rocprim17ROCPRIM_400000_NS6detail17trampoline_kernelINS0_13select_configILj256ELj13ELNS0_17block_load_methodE3ELS4_3ELS4_3ELNS0_20block_scan_algorithmE0ELj4294967295EEENS1_25partition_config_selectorILNS1_17partition_subalgoE4EjNS0_10empty_typeEbEEZZNS1_14partition_implILS8_4ELb0ES6_15HIP_vector_typeIjLj2EENS0_17counting_iteratorIjlEEPS9_SG_NS0_5tupleIJPjSI_NS0_16reverse_iteratorISI_EEEEENSH_IJSG_SG_SG_EEES9_SI_JZNS1_25segmented_radix_sort_implINS0_14default_configELb0EPKaPaPKlPlN2at6native12_GLOBAL__N_18offset_tEEE10hipError_tPvRmT1_PNSt15iterator_traitsIS12_E10value_typeET2_T3_PNS13_IS18_E10value_typeET4_jRbjT5_S1E_jjP12ihipStream_tbEUljE_ZNSN_ISO_Lb0ESQ_SR_ST_SU_SY_EESZ_S10_S11_S12_S16_S17_S18_S1B_S1C_jS1D_jS1E_S1E_jjS1G_bEUljE0_EEESZ_S10_S11_S18_S1C_S1E_T6_T7_T9_mT8_S1G_bDpT10_ENKUlT_T0_E_clISt17integral_constantIbLb1EES1T_IbLb0EEEEDaS1P_S1Q_EUlS1P_E_NS1_11comp_targetILNS1_3genE10ELNS1_11target_archE1200ELNS1_3gpuE4ELNS1_3repE0EEENS1_30default_config_static_selectorELNS0_4arch9wavefront6targetE0EEEvS12_
	.p2align	8
	.type	_ZN7rocprim17ROCPRIM_400000_NS6detail17trampoline_kernelINS0_13select_configILj256ELj13ELNS0_17block_load_methodE3ELS4_3ELS4_3ELNS0_20block_scan_algorithmE0ELj4294967295EEENS1_25partition_config_selectorILNS1_17partition_subalgoE4EjNS0_10empty_typeEbEEZZNS1_14partition_implILS8_4ELb0ES6_15HIP_vector_typeIjLj2EENS0_17counting_iteratorIjlEEPS9_SG_NS0_5tupleIJPjSI_NS0_16reverse_iteratorISI_EEEEENSH_IJSG_SG_SG_EEES9_SI_JZNS1_25segmented_radix_sort_implINS0_14default_configELb0EPKaPaPKlPlN2at6native12_GLOBAL__N_18offset_tEEE10hipError_tPvRmT1_PNSt15iterator_traitsIS12_E10value_typeET2_T3_PNS13_IS18_E10value_typeET4_jRbjT5_S1E_jjP12ihipStream_tbEUljE_ZNSN_ISO_Lb0ESQ_SR_ST_SU_SY_EESZ_S10_S11_S12_S16_S17_S18_S1B_S1C_jS1D_jS1E_S1E_jjS1G_bEUljE0_EEESZ_S10_S11_S18_S1C_S1E_T6_T7_T9_mT8_S1G_bDpT10_ENKUlT_T0_E_clISt17integral_constantIbLb1EES1T_IbLb0EEEEDaS1P_S1Q_EUlS1P_E_NS1_11comp_targetILNS1_3genE10ELNS1_11target_archE1200ELNS1_3gpuE4ELNS1_3repE0EEENS1_30default_config_static_selectorELNS0_4arch9wavefront6targetE0EEEvS12_,@function
_ZN7rocprim17ROCPRIM_400000_NS6detail17trampoline_kernelINS0_13select_configILj256ELj13ELNS0_17block_load_methodE3ELS4_3ELS4_3ELNS0_20block_scan_algorithmE0ELj4294967295EEENS1_25partition_config_selectorILNS1_17partition_subalgoE4EjNS0_10empty_typeEbEEZZNS1_14partition_implILS8_4ELb0ES6_15HIP_vector_typeIjLj2EENS0_17counting_iteratorIjlEEPS9_SG_NS0_5tupleIJPjSI_NS0_16reverse_iteratorISI_EEEEENSH_IJSG_SG_SG_EEES9_SI_JZNS1_25segmented_radix_sort_implINS0_14default_configELb0EPKaPaPKlPlN2at6native12_GLOBAL__N_18offset_tEEE10hipError_tPvRmT1_PNSt15iterator_traitsIS12_E10value_typeET2_T3_PNS13_IS18_E10value_typeET4_jRbjT5_S1E_jjP12ihipStream_tbEUljE_ZNSN_ISO_Lb0ESQ_SR_ST_SU_SY_EESZ_S10_S11_S12_S16_S17_S18_S1B_S1C_jS1D_jS1E_S1E_jjS1G_bEUljE0_EEESZ_S10_S11_S18_S1C_S1E_T6_T7_T9_mT8_S1G_bDpT10_ENKUlT_T0_E_clISt17integral_constantIbLb1EES1T_IbLb0EEEEDaS1P_S1Q_EUlS1P_E_NS1_11comp_targetILNS1_3genE10ELNS1_11target_archE1200ELNS1_3gpuE4ELNS1_3repE0EEENS1_30default_config_static_selectorELNS0_4arch9wavefront6targetE0EEEvS12_: ; @_ZN7rocprim17ROCPRIM_400000_NS6detail17trampoline_kernelINS0_13select_configILj256ELj13ELNS0_17block_load_methodE3ELS4_3ELS4_3ELNS0_20block_scan_algorithmE0ELj4294967295EEENS1_25partition_config_selectorILNS1_17partition_subalgoE4EjNS0_10empty_typeEbEEZZNS1_14partition_implILS8_4ELb0ES6_15HIP_vector_typeIjLj2EENS0_17counting_iteratorIjlEEPS9_SG_NS0_5tupleIJPjSI_NS0_16reverse_iteratorISI_EEEEENSH_IJSG_SG_SG_EEES9_SI_JZNS1_25segmented_radix_sort_implINS0_14default_configELb0EPKaPaPKlPlN2at6native12_GLOBAL__N_18offset_tEEE10hipError_tPvRmT1_PNSt15iterator_traitsIS12_E10value_typeET2_T3_PNS13_IS18_E10value_typeET4_jRbjT5_S1E_jjP12ihipStream_tbEUljE_ZNSN_ISO_Lb0ESQ_SR_ST_SU_SY_EESZ_S10_S11_S12_S16_S17_S18_S1B_S1C_jS1D_jS1E_S1E_jjS1G_bEUljE0_EEESZ_S10_S11_S18_S1C_S1E_T6_T7_T9_mT8_S1G_bDpT10_ENKUlT_T0_E_clISt17integral_constantIbLb1EES1T_IbLb0EEEEDaS1P_S1Q_EUlS1P_E_NS1_11comp_targetILNS1_3genE10ELNS1_11target_archE1200ELNS1_3gpuE4ELNS1_3repE0EEENS1_30default_config_static_selectorELNS0_4arch9wavefront6targetE0EEEvS12_
; %bb.0:
	s_endpgm
	.section	.rodata,"a",@progbits
	.p2align	6, 0x0
	.amdhsa_kernel _ZN7rocprim17ROCPRIM_400000_NS6detail17trampoline_kernelINS0_13select_configILj256ELj13ELNS0_17block_load_methodE3ELS4_3ELS4_3ELNS0_20block_scan_algorithmE0ELj4294967295EEENS1_25partition_config_selectorILNS1_17partition_subalgoE4EjNS0_10empty_typeEbEEZZNS1_14partition_implILS8_4ELb0ES6_15HIP_vector_typeIjLj2EENS0_17counting_iteratorIjlEEPS9_SG_NS0_5tupleIJPjSI_NS0_16reverse_iteratorISI_EEEEENSH_IJSG_SG_SG_EEES9_SI_JZNS1_25segmented_radix_sort_implINS0_14default_configELb0EPKaPaPKlPlN2at6native12_GLOBAL__N_18offset_tEEE10hipError_tPvRmT1_PNSt15iterator_traitsIS12_E10value_typeET2_T3_PNS13_IS18_E10value_typeET4_jRbjT5_S1E_jjP12ihipStream_tbEUljE_ZNSN_ISO_Lb0ESQ_SR_ST_SU_SY_EESZ_S10_S11_S12_S16_S17_S18_S1B_S1C_jS1D_jS1E_S1E_jjS1G_bEUljE0_EEESZ_S10_S11_S18_S1C_S1E_T6_T7_T9_mT8_S1G_bDpT10_ENKUlT_T0_E_clISt17integral_constantIbLb1EES1T_IbLb0EEEEDaS1P_S1Q_EUlS1P_E_NS1_11comp_targetILNS1_3genE10ELNS1_11target_archE1200ELNS1_3gpuE4ELNS1_3repE0EEENS1_30default_config_static_selectorELNS0_4arch9wavefront6targetE0EEEvS12_
		.amdhsa_group_segment_fixed_size 0
		.amdhsa_private_segment_fixed_size 0
		.amdhsa_kernarg_size 176
		.amdhsa_user_sgpr_count 2
		.amdhsa_user_sgpr_dispatch_ptr 0
		.amdhsa_user_sgpr_queue_ptr 0
		.amdhsa_user_sgpr_kernarg_segment_ptr 1
		.amdhsa_user_sgpr_dispatch_id 0
		.amdhsa_user_sgpr_private_segment_size 0
		.amdhsa_wavefront_size32 1
		.amdhsa_uses_dynamic_stack 0
		.amdhsa_enable_private_segment 0
		.amdhsa_system_sgpr_workgroup_id_x 1
		.amdhsa_system_sgpr_workgroup_id_y 0
		.amdhsa_system_sgpr_workgroup_id_z 0
		.amdhsa_system_sgpr_workgroup_info 0
		.amdhsa_system_vgpr_workitem_id 0
		.amdhsa_next_free_vgpr 1
		.amdhsa_next_free_sgpr 1
		.amdhsa_reserve_vcc 0
		.amdhsa_float_round_mode_32 0
		.amdhsa_float_round_mode_16_64 0
		.amdhsa_float_denorm_mode_32 3
		.amdhsa_float_denorm_mode_16_64 3
		.amdhsa_fp16_overflow 0
		.amdhsa_workgroup_processor_mode 1
		.amdhsa_memory_ordered 1
		.amdhsa_forward_progress 1
		.amdhsa_inst_pref_size 1
		.amdhsa_round_robin_scheduling 0
		.amdhsa_exception_fp_ieee_invalid_op 0
		.amdhsa_exception_fp_denorm_src 0
		.amdhsa_exception_fp_ieee_div_zero 0
		.amdhsa_exception_fp_ieee_overflow 0
		.amdhsa_exception_fp_ieee_underflow 0
		.amdhsa_exception_fp_ieee_inexact 0
		.amdhsa_exception_int_div_zero 0
	.end_amdhsa_kernel
	.section	.text._ZN7rocprim17ROCPRIM_400000_NS6detail17trampoline_kernelINS0_13select_configILj256ELj13ELNS0_17block_load_methodE3ELS4_3ELS4_3ELNS0_20block_scan_algorithmE0ELj4294967295EEENS1_25partition_config_selectorILNS1_17partition_subalgoE4EjNS0_10empty_typeEbEEZZNS1_14partition_implILS8_4ELb0ES6_15HIP_vector_typeIjLj2EENS0_17counting_iteratorIjlEEPS9_SG_NS0_5tupleIJPjSI_NS0_16reverse_iteratorISI_EEEEENSH_IJSG_SG_SG_EEES9_SI_JZNS1_25segmented_radix_sort_implINS0_14default_configELb0EPKaPaPKlPlN2at6native12_GLOBAL__N_18offset_tEEE10hipError_tPvRmT1_PNSt15iterator_traitsIS12_E10value_typeET2_T3_PNS13_IS18_E10value_typeET4_jRbjT5_S1E_jjP12ihipStream_tbEUljE_ZNSN_ISO_Lb0ESQ_SR_ST_SU_SY_EESZ_S10_S11_S12_S16_S17_S18_S1B_S1C_jS1D_jS1E_S1E_jjS1G_bEUljE0_EEESZ_S10_S11_S18_S1C_S1E_T6_T7_T9_mT8_S1G_bDpT10_ENKUlT_T0_E_clISt17integral_constantIbLb1EES1T_IbLb0EEEEDaS1P_S1Q_EUlS1P_E_NS1_11comp_targetILNS1_3genE10ELNS1_11target_archE1200ELNS1_3gpuE4ELNS1_3repE0EEENS1_30default_config_static_selectorELNS0_4arch9wavefront6targetE0EEEvS12_,"axG",@progbits,_ZN7rocprim17ROCPRIM_400000_NS6detail17trampoline_kernelINS0_13select_configILj256ELj13ELNS0_17block_load_methodE3ELS4_3ELS4_3ELNS0_20block_scan_algorithmE0ELj4294967295EEENS1_25partition_config_selectorILNS1_17partition_subalgoE4EjNS0_10empty_typeEbEEZZNS1_14partition_implILS8_4ELb0ES6_15HIP_vector_typeIjLj2EENS0_17counting_iteratorIjlEEPS9_SG_NS0_5tupleIJPjSI_NS0_16reverse_iteratorISI_EEEEENSH_IJSG_SG_SG_EEES9_SI_JZNS1_25segmented_radix_sort_implINS0_14default_configELb0EPKaPaPKlPlN2at6native12_GLOBAL__N_18offset_tEEE10hipError_tPvRmT1_PNSt15iterator_traitsIS12_E10value_typeET2_T3_PNS13_IS18_E10value_typeET4_jRbjT5_S1E_jjP12ihipStream_tbEUljE_ZNSN_ISO_Lb0ESQ_SR_ST_SU_SY_EESZ_S10_S11_S12_S16_S17_S18_S1B_S1C_jS1D_jS1E_S1E_jjS1G_bEUljE0_EEESZ_S10_S11_S18_S1C_S1E_T6_T7_T9_mT8_S1G_bDpT10_ENKUlT_T0_E_clISt17integral_constantIbLb1EES1T_IbLb0EEEEDaS1P_S1Q_EUlS1P_E_NS1_11comp_targetILNS1_3genE10ELNS1_11target_archE1200ELNS1_3gpuE4ELNS1_3repE0EEENS1_30default_config_static_selectorELNS0_4arch9wavefront6targetE0EEEvS12_,comdat
.Lfunc_end350:
	.size	_ZN7rocprim17ROCPRIM_400000_NS6detail17trampoline_kernelINS0_13select_configILj256ELj13ELNS0_17block_load_methodE3ELS4_3ELS4_3ELNS0_20block_scan_algorithmE0ELj4294967295EEENS1_25partition_config_selectorILNS1_17partition_subalgoE4EjNS0_10empty_typeEbEEZZNS1_14partition_implILS8_4ELb0ES6_15HIP_vector_typeIjLj2EENS0_17counting_iteratorIjlEEPS9_SG_NS0_5tupleIJPjSI_NS0_16reverse_iteratorISI_EEEEENSH_IJSG_SG_SG_EEES9_SI_JZNS1_25segmented_radix_sort_implINS0_14default_configELb0EPKaPaPKlPlN2at6native12_GLOBAL__N_18offset_tEEE10hipError_tPvRmT1_PNSt15iterator_traitsIS12_E10value_typeET2_T3_PNS13_IS18_E10value_typeET4_jRbjT5_S1E_jjP12ihipStream_tbEUljE_ZNSN_ISO_Lb0ESQ_SR_ST_SU_SY_EESZ_S10_S11_S12_S16_S17_S18_S1B_S1C_jS1D_jS1E_S1E_jjS1G_bEUljE0_EEESZ_S10_S11_S18_S1C_S1E_T6_T7_T9_mT8_S1G_bDpT10_ENKUlT_T0_E_clISt17integral_constantIbLb1EES1T_IbLb0EEEEDaS1P_S1Q_EUlS1P_E_NS1_11comp_targetILNS1_3genE10ELNS1_11target_archE1200ELNS1_3gpuE4ELNS1_3repE0EEENS1_30default_config_static_selectorELNS0_4arch9wavefront6targetE0EEEvS12_, .Lfunc_end350-_ZN7rocprim17ROCPRIM_400000_NS6detail17trampoline_kernelINS0_13select_configILj256ELj13ELNS0_17block_load_methodE3ELS4_3ELS4_3ELNS0_20block_scan_algorithmE0ELj4294967295EEENS1_25partition_config_selectorILNS1_17partition_subalgoE4EjNS0_10empty_typeEbEEZZNS1_14partition_implILS8_4ELb0ES6_15HIP_vector_typeIjLj2EENS0_17counting_iteratorIjlEEPS9_SG_NS0_5tupleIJPjSI_NS0_16reverse_iteratorISI_EEEEENSH_IJSG_SG_SG_EEES9_SI_JZNS1_25segmented_radix_sort_implINS0_14default_configELb0EPKaPaPKlPlN2at6native12_GLOBAL__N_18offset_tEEE10hipError_tPvRmT1_PNSt15iterator_traitsIS12_E10value_typeET2_T3_PNS13_IS18_E10value_typeET4_jRbjT5_S1E_jjP12ihipStream_tbEUljE_ZNSN_ISO_Lb0ESQ_SR_ST_SU_SY_EESZ_S10_S11_S12_S16_S17_S18_S1B_S1C_jS1D_jS1E_S1E_jjS1G_bEUljE0_EEESZ_S10_S11_S18_S1C_S1E_T6_T7_T9_mT8_S1G_bDpT10_ENKUlT_T0_E_clISt17integral_constantIbLb1EES1T_IbLb0EEEEDaS1P_S1Q_EUlS1P_E_NS1_11comp_targetILNS1_3genE10ELNS1_11target_archE1200ELNS1_3gpuE4ELNS1_3repE0EEENS1_30default_config_static_selectorELNS0_4arch9wavefront6targetE0EEEvS12_
                                        ; -- End function
	.set _ZN7rocprim17ROCPRIM_400000_NS6detail17trampoline_kernelINS0_13select_configILj256ELj13ELNS0_17block_load_methodE3ELS4_3ELS4_3ELNS0_20block_scan_algorithmE0ELj4294967295EEENS1_25partition_config_selectorILNS1_17partition_subalgoE4EjNS0_10empty_typeEbEEZZNS1_14partition_implILS8_4ELb0ES6_15HIP_vector_typeIjLj2EENS0_17counting_iteratorIjlEEPS9_SG_NS0_5tupleIJPjSI_NS0_16reverse_iteratorISI_EEEEENSH_IJSG_SG_SG_EEES9_SI_JZNS1_25segmented_radix_sort_implINS0_14default_configELb0EPKaPaPKlPlN2at6native12_GLOBAL__N_18offset_tEEE10hipError_tPvRmT1_PNSt15iterator_traitsIS12_E10value_typeET2_T3_PNS13_IS18_E10value_typeET4_jRbjT5_S1E_jjP12ihipStream_tbEUljE_ZNSN_ISO_Lb0ESQ_SR_ST_SU_SY_EESZ_S10_S11_S12_S16_S17_S18_S1B_S1C_jS1D_jS1E_S1E_jjS1G_bEUljE0_EEESZ_S10_S11_S18_S1C_S1E_T6_T7_T9_mT8_S1G_bDpT10_ENKUlT_T0_E_clISt17integral_constantIbLb1EES1T_IbLb0EEEEDaS1P_S1Q_EUlS1P_E_NS1_11comp_targetILNS1_3genE10ELNS1_11target_archE1200ELNS1_3gpuE4ELNS1_3repE0EEENS1_30default_config_static_selectorELNS0_4arch9wavefront6targetE0EEEvS12_.num_vgpr, 0
	.set _ZN7rocprim17ROCPRIM_400000_NS6detail17trampoline_kernelINS0_13select_configILj256ELj13ELNS0_17block_load_methodE3ELS4_3ELS4_3ELNS0_20block_scan_algorithmE0ELj4294967295EEENS1_25partition_config_selectorILNS1_17partition_subalgoE4EjNS0_10empty_typeEbEEZZNS1_14partition_implILS8_4ELb0ES6_15HIP_vector_typeIjLj2EENS0_17counting_iteratorIjlEEPS9_SG_NS0_5tupleIJPjSI_NS0_16reverse_iteratorISI_EEEEENSH_IJSG_SG_SG_EEES9_SI_JZNS1_25segmented_radix_sort_implINS0_14default_configELb0EPKaPaPKlPlN2at6native12_GLOBAL__N_18offset_tEEE10hipError_tPvRmT1_PNSt15iterator_traitsIS12_E10value_typeET2_T3_PNS13_IS18_E10value_typeET4_jRbjT5_S1E_jjP12ihipStream_tbEUljE_ZNSN_ISO_Lb0ESQ_SR_ST_SU_SY_EESZ_S10_S11_S12_S16_S17_S18_S1B_S1C_jS1D_jS1E_S1E_jjS1G_bEUljE0_EEESZ_S10_S11_S18_S1C_S1E_T6_T7_T9_mT8_S1G_bDpT10_ENKUlT_T0_E_clISt17integral_constantIbLb1EES1T_IbLb0EEEEDaS1P_S1Q_EUlS1P_E_NS1_11comp_targetILNS1_3genE10ELNS1_11target_archE1200ELNS1_3gpuE4ELNS1_3repE0EEENS1_30default_config_static_selectorELNS0_4arch9wavefront6targetE0EEEvS12_.num_agpr, 0
	.set _ZN7rocprim17ROCPRIM_400000_NS6detail17trampoline_kernelINS0_13select_configILj256ELj13ELNS0_17block_load_methodE3ELS4_3ELS4_3ELNS0_20block_scan_algorithmE0ELj4294967295EEENS1_25partition_config_selectorILNS1_17partition_subalgoE4EjNS0_10empty_typeEbEEZZNS1_14partition_implILS8_4ELb0ES6_15HIP_vector_typeIjLj2EENS0_17counting_iteratorIjlEEPS9_SG_NS0_5tupleIJPjSI_NS0_16reverse_iteratorISI_EEEEENSH_IJSG_SG_SG_EEES9_SI_JZNS1_25segmented_radix_sort_implINS0_14default_configELb0EPKaPaPKlPlN2at6native12_GLOBAL__N_18offset_tEEE10hipError_tPvRmT1_PNSt15iterator_traitsIS12_E10value_typeET2_T3_PNS13_IS18_E10value_typeET4_jRbjT5_S1E_jjP12ihipStream_tbEUljE_ZNSN_ISO_Lb0ESQ_SR_ST_SU_SY_EESZ_S10_S11_S12_S16_S17_S18_S1B_S1C_jS1D_jS1E_S1E_jjS1G_bEUljE0_EEESZ_S10_S11_S18_S1C_S1E_T6_T7_T9_mT8_S1G_bDpT10_ENKUlT_T0_E_clISt17integral_constantIbLb1EES1T_IbLb0EEEEDaS1P_S1Q_EUlS1P_E_NS1_11comp_targetILNS1_3genE10ELNS1_11target_archE1200ELNS1_3gpuE4ELNS1_3repE0EEENS1_30default_config_static_selectorELNS0_4arch9wavefront6targetE0EEEvS12_.numbered_sgpr, 0
	.set _ZN7rocprim17ROCPRIM_400000_NS6detail17trampoline_kernelINS0_13select_configILj256ELj13ELNS0_17block_load_methodE3ELS4_3ELS4_3ELNS0_20block_scan_algorithmE0ELj4294967295EEENS1_25partition_config_selectorILNS1_17partition_subalgoE4EjNS0_10empty_typeEbEEZZNS1_14partition_implILS8_4ELb0ES6_15HIP_vector_typeIjLj2EENS0_17counting_iteratorIjlEEPS9_SG_NS0_5tupleIJPjSI_NS0_16reverse_iteratorISI_EEEEENSH_IJSG_SG_SG_EEES9_SI_JZNS1_25segmented_radix_sort_implINS0_14default_configELb0EPKaPaPKlPlN2at6native12_GLOBAL__N_18offset_tEEE10hipError_tPvRmT1_PNSt15iterator_traitsIS12_E10value_typeET2_T3_PNS13_IS18_E10value_typeET4_jRbjT5_S1E_jjP12ihipStream_tbEUljE_ZNSN_ISO_Lb0ESQ_SR_ST_SU_SY_EESZ_S10_S11_S12_S16_S17_S18_S1B_S1C_jS1D_jS1E_S1E_jjS1G_bEUljE0_EEESZ_S10_S11_S18_S1C_S1E_T6_T7_T9_mT8_S1G_bDpT10_ENKUlT_T0_E_clISt17integral_constantIbLb1EES1T_IbLb0EEEEDaS1P_S1Q_EUlS1P_E_NS1_11comp_targetILNS1_3genE10ELNS1_11target_archE1200ELNS1_3gpuE4ELNS1_3repE0EEENS1_30default_config_static_selectorELNS0_4arch9wavefront6targetE0EEEvS12_.num_named_barrier, 0
	.set _ZN7rocprim17ROCPRIM_400000_NS6detail17trampoline_kernelINS0_13select_configILj256ELj13ELNS0_17block_load_methodE3ELS4_3ELS4_3ELNS0_20block_scan_algorithmE0ELj4294967295EEENS1_25partition_config_selectorILNS1_17partition_subalgoE4EjNS0_10empty_typeEbEEZZNS1_14partition_implILS8_4ELb0ES6_15HIP_vector_typeIjLj2EENS0_17counting_iteratorIjlEEPS9_SG_NS0_5tupleIJPjSI_NS0_16reverse_iteratorISI_EEEEENSH_IJSG_SG_SG_EEES9_SI_JZNS1_25segmented_radix_sort_implINS0_14default_configELb0EPKaPaPKlPlN2at6native12_GLOBAL__N_18offset_tEEE10hipError_tPvRmT1_PNSt15iterator_traitsIS12_E10value_typeET2_T3_PNS13_IS18_E10value_typeET4_jRbjT5_S1E_jjP12ihipStream_tbEUljE_ZNSN_ISO_Lb0ESQ_SR_ST_SU_SY_EESZ_S10_S11_S12_S16_S17_S18_S1B_S1C_jS1D_jS1E_S1E_jjS1G_bEUljE0_EEESZ_S10_S11_S18_S1C_S1E_T6_T7_T9_mT8_S1G_bDpT10_ENKUlT_T0_E_clISt17integral_constantIbLb1EES1T_IbLb0EEEEDaS1P_S1Q_EUlS1P_E_NS1_11comp_targetILNS1_3genE10ELNS1_11target_archE1200ELNS1_3gpuE4ELNS1_3repE0EEENS1_30default_config_static_selectorELNS0_4arch9wavefront6targetE0EEEvS12_.private_seg_size, 0
	.set _ZN7rocprim17ROCPRIM_400000_NS6detail17trampoline_kernelINS0_13select_configILj256ELj13ELNS0_17block_load_methodE3ELS4_3ELS4_3ELNS0_20block_scan_algorithmE0ELj4294967295EEENS1_25partition_config_selectorILNS1_17partition_subalgoE4EjNS0_10empty_typeEbEEZZNS1_14partition_implILS8_4ELb0ES6_15HIP_vector_typeIjLj2EENS0_17counting_iteratorIjlEEPS9_SG_NS0_5tupleIJPjSI_NS0_16reverse_iteratorISI_EEEEENSH_IJSG_SG_SG_EEES9_SI_JZNS1_25segmented_radix_sort_implINS0_14default_configELb0EPKaPaPKlPlN2at6native12_GLOBAL__N_18offset_tEEE10hipError_tPvRmT1_PNSt15iterator_traitsIS12_E10value_typeET2_T3_PNS13_IS18_E10value_typeET4_jRbjT5_S1E_jjP12ihipStream_tbEUljE_ZNSN_ISO_Lb0ESQ_SR_ST_SU_SY_EESZ_S10_S11_S12_S16_S17_S18_S1B_S1C_jS1D_jS1E_S1E_jjS1G_bEUljE0_EEESZ_S10_S11_S18_S1C_S1E_T6_T7_T9_mT8_S1G_bDpT10_ENKUlT_T0_E_clISt17integral_constantIbLb1EES1T_IbLb0EEEEDaS1P_S1Q_EUlS1P_E_NS1_11comp_targetILNS1_3genE10ELNS1_11target_archE1200ELNS1_3gpuE4ELNS1_3repE0EEENS1_30default_config_static_selectorELNS0_4arch9wavefront6targetE0EEEvS12_.uses_vcc, 0
	.set _ZN7rocprim17ROCPRIM_400000_NS6detail17trampoline_kernelINS0_13select_configILj256ELj13ELNS0_17block_load_methodE3ELS4_3ELS4_3ELNS0_20block_scan_algorithmE0ELj4294967295EEENS1_25partition_config_selectorILNS1_17partition_subalgoE4EjNS0_10empty_typeEbEEZZNS1_14partition_implILS8_4ELb0ES6_15HIP_vector_typeIjLj2EENS0_17counting_iteratorIjlEEPS9_SG_NS0_5tupleIJPjSI_NS0_16reverse_iteratorISI_EEEEENSH_IJSG_SG_SG_EEES9_SI_JZNS1_25segmented_radix_sort_implINS0_14default_configELb0EPKaPaPKlPlN2at6native12_GLOBAL__N_18offset_tEEE10hipError_tPvRmT1_PNSt15iterator_traitsIS12_E10value_typeET2_T3_PNS13_IS18_E10value_typeET4_jRbjT5_S1E_jjP12ihipStream_tbEUljE_ZNSN_ISO_Lb0ESQ_SR_ST_SU_SY_EESZ_S10_S11_S12_S16_S17_S18_S1B_S1C_jS1D_jS1E_S1E_jjS1G_bEUljE0_EEESZ_S10_S11_S18_S1C_S1E_T6_T7_T9_mT8_S1G_bDpT10_ENKUlT_T0_E_clISt17integral_constantIbLb1EES1T_IbLb0EEEEDaS1P_S1Q_EUlS1P_E_NS1_11comp_targetILNS1_3genE10ELNS1_11target_archE1200ELNS1_3gpuE4ELNS1_3repE0EEENS1_30default_config_static_selectorELNS0_4arch9wavefront6targetE0EEEvS12_.uses_flat_scratch, 0
	.set _ZN7rocprim17ROCPRIM_400000_NS6detail17trampoline_kernelINS0_13select_configILj256ELj13ELNS0_17block_load_methodE3ELS4_3ELS4_3ELNS0_20block_scan_algorithmE0ELj4294967295EEENS1_25partition_config_selectorILNS1_17partition_subalgoE4EjNS0_10empty_typeEbEEZZNS1_14partition_implILS8_4ELb0ES6_15HIP_vector_typeIjLj2EENS0_17counting_iteratorIjlEEPS9_SG_NS0_5tupleIJPjSI_NS0_16reverse_iteratorISI_EEEEENSH_IJSG_SG_SG_EEES9_SI_JZNS1_25segmented_radix_sort_implINS0_14default_configELb0EPKaPaPKlPlN2at6native12_GLOBAL__N_18offset_tEEE10hipError_tPvRmT1_PNSt15iterator_traitsIS12_E10value_typeET2_T3_PNS13_IS18_E10value_typeET4_jRbjT5_S1E_jjP12ihipStream_tbEUljE_ZNSN_ISO_Lb0ESQ_SR_ST_SU_SY_EESZ_S10_S11_S12_S16_S17_S18_S1B_S1C_jS1D_jS1E_S1E_jjS1G_bEUljE0_EEESZ_S10_S11_S18_S1C_S1E_T6_T7_T9_mT8_S1G_bDpT10_ENKUlT_T0_E_clISt17integral_constantIbLb1EES1T_IbLb0EEEEDaS1P_S1Q_EUlS1P_E_NS1_11comp_targetILNS1_3genE10ELNS1_11target_archE1200ELNS1_3gpuE4ELNS1_3repE0EEENS1_30default_config_static_selectorELNS0_4arch9wavefront6targetE0EEEvS12_.has_dyn_sized_stack, 0
	.set _ZN7rocprim17ROCPRIM_400000_NS6detail17trampoline_kernelINS0_13select_configILj256ELj13ELNS0_17block_load_methodE3ELS4_3ELS4_3ELNS0_20block_scan_algorithmE0ELj4294967295EEENS1_25partition_config_selectorILNS1_17partition_subalgoE4EjNS0_10empty_typeEbEEZZNS1_14partition_implILS8_4ELb0ES6_15HIP_vector_typeIjLj2EENS0_17counting_iteratorIjlEEPS9_SG_NS0_5tupleIJPjSI_NS0_16reverse_iteratorISI_EEEEENSH_IJSG_SG_SG_EEES9_SI_JZNS1_25segmented_radix_sort_implINS0_14default_configELb0EPKaPaPKlPlN2at6native12_GLOBAL__N_18offset_tEEE10hipError_tPvRmT1_PNSt15iterator_traitsIS12_E10value_typeET2_T3_PNS13_IS18_E10value_typeET4_jRbjT5_S1E_jjP12ihipStream_tbEUljE_ZNSN_ISO_Lb0ESQ_SR_ST_SU_SY_EESZ_S10_S11_S12_S16_S17_S18_S1B_S1C_jS1D_jS1E_S1E_jjS1G_bEUljE0_EEESZ_S10_S11_S18_S1C_S1E_T6_T7_T9_mT8_S1G_bDpT10_ENKUlT_T0_E_clISt17integral_constantIbLb1EES1T_IbLb0EEEEDaS1P_S1Q_EUlS1P_E_NS1_11comp_targetILNS1_3genE10ELNS1_11target_archE1200ELNS1_3gpuE4ELNS1_3repE0EEENS1_30default_config_static_selectorELNS0_4arch9wavefront6targetE0EEEvS12_.has_recursion, 0
	.set _ZN7rocprim17ROCPRIM_400000_NS6detail17trampoline_kernelINS0_13select_configILj256ELj13ELNS0_17block_load_methodE3ELS4_3ELS4_3ELNS0_20block_scan_algorithmE0ELj4294967295EEENS1_25partition_config_selectorILNS1_17partition_subalgoE4EjNS0_10empty_typeEbEEZZNS1_14partition_implILS8_4ELb0ES6_15HIP_vector_typeIjLj2EENS0_17counting_iteratorIjlEEPS9_SG_NS0_5tupleIJPjSI_NS0_16reverse_iteratorISI_EEEEENSH_IJSG_SG_SG_EEES9_SI_JZNS1_25segmented_radix_sort_implINS0_14default_configELb0EPKaPaPKlPlN2at6native12_GLOBAL__N_18offset_tEEE10hipError_tPvRmT1_PNSt15iterator_traitsIS12_E10value_typeET2_T3_PNS13_IS18_E10value_typeET4_jRbjT5_S1E_jjP12ihipStream_tbEUljE_ZNSN_ISO_Lb0ESQ_SR_ST_SU_SY_EESZ_S10_S11_S12_S16_S17_S18_S1B_S1C_jS1D_jS1E_S1E_jjS1G_bEUljE0_EEESZ_S10_S11_S18_S1C_S1E_T6_T7_T9_mT8_S1G_bDpT10_ENKUlT_T0_E_clISt17integral_constantIbLb1EES1T_IbLb0EEEEDaS1P_S1Q_EUlS1P_E_NS1_11comp_targetILNS1_3genE10ELNS1_11target_archE1200ELNS1_3gpuE4ELNS1_3repE0EEENS1_30default_config_static_selectorELNS0_4arch9wavefront6targetE0EEEvS12_.has_indirect_call, 0
	.section	.AMDGPU.csdata,"",@progbits
; Kernel info:
; codeLenInByte = 4
; TotalNumSgprs: 0
; NumVgprs: 0
; ScratchSize: 0
; MemoryBound: 0
; FloatMode: 240
; IeeeMode: 1
; LDSByteSize: 0 bytes/workgroup (compile time only)
; SGPRBlocks: 0
; VGPRBlocks: 0
; NumSGPRsForWavesPerEU: 1
; NumVGPRsForWavesPerEU: 1
; Occupancy: 16
; WaveLimiterHint : 0
; COMPUTE_PGM_RSRC2:SCRATCH_EN: 0
; COMPUTE_PGM_RSRC2:USER_SGPR: 2
; COMPUTE_PGM_RSRC2:TRAP_HANDLER: 0
; COMPUTE_PGM_RSRC2:TGID_X_EN: 1
; COMPUTE_PGM_RSRC2:TGID_Y_EN: 0
; COMPUTE_PGM_RSRC2:TGID_Z_EN: 0
; COMPUTE_PGM_RSRC2:TIDIG_COMP_CNT: 0
	.section	.text._ZN7rocprim17ROCPRIM_400000_NS6detail17trampoline_kernelINS0_13select_configILj256ELj13ELNS0_17block_load_methodE3ELS4_3ELS4_3ELNS0_20block_scan_algorithmE0ELj4294967295EEENS1_25partition_config_selectorILNS1_17partition_subalgoE4EjNS0_10empty_typeEbEEZZNS1_14partition_implILS8_4ELb0ES6_15HIP_vector_typeIjLj2EENS0_17counting_iteratorIjlEEPS9_SG_NS0_5tupleIJPjSI_NS0_16reverse_iteratorISI_EEEEENSH_IJSG_SG_SG_EEES9_SI_JZNS1_25segmented_radix_sort_implINS0_14default_configELb0EPKaPaPKlPlN2at6native12_GLOBAL__N_18offset_tEEE10hipError_tPvRmT1_PNSt15iterator_traitsIS12_E10value_typeET2_T3_PNS13_IS18_E10value_typeET4_jRbjT5_S1E_jjP12ihipStream_tbEUljE_ZNSN_ISO_Lb0ESQ_SR_ST_SU_SY_EESZ_S10_S11_S12_S16_S17_S18_S1B_S1C_jS1D_jS1E_S1E_jjS1G_bEUljE0_EEESZ_S10_S11_S18_S1C_S1E_T6_T7_T9_mT8_S1G_bDpT10_ENKUlT_T0_E_clISt17integral_constantIbLb1EES1T_IbLb0EEEEDaS1P_S1Q_EUlS1P_E_NS1_11comp_targetILNS1_3genE9ELNS1_11target_archE1100ELNS1_3gpuE3ELNS1_3repE0EEENS1_30default_config_static_selectorELNS0_4arch9wavefront6targetE0EEEvS12_,"axG",@progbits,_ZN7rocprim17ROCPRIM_400000_NS6detail17trampoline_kernelINS0_13select_configILj256ELj13ELNS0_17block_load_methodE3ELS4_3ELS4_3ELNS0_20block_scan_algorithmE0ELj4294967295EEENS1_25partition_config_selectorILNS1_17partition_subalgoE4EjNS0_10empty_typeEbEEZZNS1_14partition_implILS8_4ELb0ES6_15HIP_vector_typeIjLj2EENS0_17counting_iteratorIjlEEPS9_SG_NS0_5tupleIJPjSI_NS0_16reverse_iteratorISI_EEEEENSH_IJSG_SG_SG_EEES9_SI_JZNS1_25segmented_radix_sort_implINS0_14default_configELb0EPKaPaPKlPlN2at6native12_GLOBAL__N_18offset_tEEE10hipError_tPvRmT1_PNSt15iterator_traitsIS12_E10value_typeET2_T3_PNS13_IS18_E10value_typeET4_jRbjT5_S1E_jjP12ihipStream_tbEUljE_ZNSN_ISO_Lb0ESQ_SR_ST_SU_SY_EESZ_S10_S11_S12_S16_S17_S18_S1B_S1C_jS1D_jS1E_S1E_jjS1G_bEUljE0_EEESZ_S10_S11_S18_S1C_S1E_T6_T7_T9_mT8_S1G_bDpT10_ENKUlT_T0_E_clISt17integral_constantIbLb1EES1T_IbLb0EEEEDaS1P_S1Q_EUlS1P_E_NS1_11comp_targetILNS1_3genE9ELNS1_11target_archE1100ELNS1_3gpuE3ELNS1_3repE0EEENS1_30default_config_static_selectorELNS0_4arch9wavefront6targetE0EEEvS12_,comdat
	.globl	_ZN7rocprim17ROCPRIM_400000_NS6detail17trampoline_kernelINS0_13select_configILj256ELj13ELNS0_17block_load_methodE3ELS4_3ELS4_3ELNS0_20block_scan_algorithmE0ELj4294967295EEENS1_25partition_config_selectorILNS1_17partition_subalgoE4EjNS0_10empty_typeEbEEZZNS1_14partition_implILS8_4ELb0ES6_15HIP_vector_typeIjLj2EENS0_17counting_iteratorIjlEEPS9_SG_NS0_5tupleIJPjSI_NS0_16reverse_iteratorISI_EEEEENSH_IJSG_SG_SG_EEES9_SI_JZNS1_25segmented_radix_sort_implINS0_14default_configELb0EPKaPaPKlPlN2at6native12_GLOBAL__N_18offset_tEEE10hipError_tPvRmT1_PNSt15iterator_traitsIS12_E10value_typeET2_T3_PNS13_IS18_E10value_typeET4_jRbjT5_S1E_jjP12ihipStream_tbEUljE_ZNSN_ISO_Lb0ESQ_SR_ST_SU_SY_EESZ_S10_S11_S12_S16_S17_S18_S1B_S1C_jS1D_jS1E_S1E_jjS1G_bEUljE0_EEESZ_S10_S11_S18_S1C_S1E_T6_T7_T9_mT8_S1G_bDpT10_ENKUlT_T0_E_clISt17integral_constantIbLb1EES1T_IbLb0EEEEDaS1P_S1Q_EUlS1P_E_NS1_11comp_targetILNS1_3genE9ELNS1_11target_archE1100ELNS1_3gpuE3ELNS1_3repE0EEENS1_30default_config_static_selectorELNS0_4arch9wavefront6targetE0EEEvS12_ ; -- Begin function _ZN7rocprim17ROCPRIM_400000_NS6detail17trampoline_kernelINS0_13select_configILj256ELj13ELNS0_17block_load_methodE3ELS4_3ELS4_3ELNS0_20block_scan_algorithmE0ELj4294967295EEENS1_25partition_config_selectorILNS1_17partition_subalgoE4EjNS0_10empty_typeEbEEZZNS1_14partition_implILS8_4ELb0ES6_15HIP_vector_typeIjLj2EENS0_17counting_iteratorIjlEEPS9_SG_NS0_5tupleIJPjSI_NS0_16reverse_iteratorISI_EEEEENSH_IJSG_SG_SG_EEES9_SI_JZNS1_25segmented_radix_sort_implINS0_14default_configELb0EPKaPaPKlPlN2at6native12_GLOBAL__N_18offset_tEEE10hipError_tPvRmT1_PNSt15iterator_traitsIS12_E10value_typeET2_T3_PNS13_IS18_E10value_typeET4_jRbjT5_S1E_jjP12ihipStream_tbEUljE_ZNSN_ISO_Lb0ESQ_SR_ST_SU_SY_EESZ_S10_S11_S12_S16_S17_S18_S1B_S1C_jS1D_jS1E_S1E_jjS1G_bEUljE0_EEESZ_S10_S11_S18_S1C_S1E_T6_T7_T9_mT8_S1G_bDpT10_ENKUlT_T0_E_clISt17integral_constantIbLb1EES1T_IbLb0EEEEDaS1P_S1Q_EUlS1P_E_NS1_11comp_targetILNS1_3genE9ELNS1_11target_archE1100ELNS1_3gpuE3ELNS1_3repE0EEENS1_30default_config_static_selectorELNS0_4arch9wavefront6targetE0EEEvS12_
	.p2align	8
	.type	_ZN7rocprim17ROCPRIM_400000_NS6detail17trampoline_kernelINS0_13select_configILj256ELj13ELNS0_17block_load_methodE3ELS4_3ELS4_3ELNS0_20block_scan_algorithmE0ELj4294967295EEENS1_25partition_config_selectorILNS1_17partition_subalgoE4EjNS0_10empty_typeEbEEZZNS1_14partition_implILS8_4ELb0ES6_15HIP_vector_typeIjLj2EENS0_17counting_iteratorIjlEEPS9_SG_NS0_5tupleIJPjSI_NS0_16reverse_iteratorISI_EEEEENSH_IJSG_SG_SG_EEES9_SI_JZNS1_25segmented_radix_sort_implINS0_14default_configELb0EPKaPaPKlPlN2at6native12_GLOBAL__N_18offset_tEEE10hipError_tPvRmT1_PNSt15iterator_traitsIS12_E10value_typeET2_T3_PNS13_IS18_E10value_typeET4_jRbjT5_S1E_jjP12ihipStream_tbEUljE_ZNSN_ISO_Lb0ESQ_SR_ST_SU_SY_EESZ_S10_S11_S12_S16_S17_S18_S1B_S1C_jS1D_jS1E_S1E_jjS1G_bEUljE0_EEESZ_S10_S11_S18_S1C_S1E_T6_T7_T9_mT8_S1G_bDpT10_ENKUlT_T0_E_clISt17integral_constantIbLb1EES1T_IbLb0EEEEDaS1P_S1Q_EUlS1P_E_NS1_11comp_targetILNS1_3genE9ELNS1_11target_archE1100ELNS1_3gpuE3ELNS1_3repE0EEENS1_30default_config_static_selectorELNS0_4arch9wavefront6targetE0EEEvS12_,@function
_ZN7rocprim17ROCPRIM_400000_NS6detail17trampoline_kernelINS0_13select_configILj256ELj13ELNS0_17block_load_methodE3ELS4_3ELS4_3ELNS0_20block_scan_algorithmE0ELj4294967295EEENS1_25partition_config_selectorILNS1_17partition_subalgoE4EjNS0_10empty_typeEbEEZZNS1_14partition_implILS8_4ELb0ES6_15HIP_vector_typeIjLj2EENS0_17counting_iteratorIjlEEPS9_SG_NS0_5tupleIJPjSI_NS0_16reverse_iteratorISI_EEEEENSH_IJSG_SG_SG_EEES9_SI_JZNS1_25segmented_radix_sort_implINS0_14default_configELb0EPKaPaPKlPlN2at6native12_GLOBAL__N_18offset_tEEE10hipError_tPvRmT1_PNSt15iterator_traitsIS12_E10value_typeET2_T3_PNS13_IS18_E10value_typeET4_jRbjT5_S1E_jjP12ihipStream_tbEUljE_ZNSN_ISO_Lb0ESQ_SR_ST_SU_SY_EESZ_S10_S11_S12_S16_S17_S18_S1B_S1C_jS1D_jS1E_S1E_jjS1G_bEUljE0_EEESZ_S10_S11_S18_S1C_S1E_T6_T7_T9_mT8_S1G_bDpT10_ENKUlT_T0_E_clISt17integral_constantIbLb1EES1T_IbLb0EEEEDaS1P_S1Q_EUlS1P_E_NS1_11comp_targetILNS1_3genE9ELNS1_11target_archE1100ELNS1_3gpuE3ELNS1_3repE0EEENS1_30default_config_static_selectorELNS0_4arch9wavefront6targetE0EEEvS12_: ; @_ZN7rocprim17ROCPRIM_400000_NS6detail17trampoline_kernelINS0_13select_configILj256ELj13ELNS0_17block_load_methodE3ELS4_3ELS4_3ELNS0_20block_scan_algorithmE0ELj4294967295EEENS1_25partition_config_selectorILNS1_17partition_subalgoE4EjNS0_10empty_typeEbEEZZNS1_14partition_implILS8_4ELb0ES6_15HIP_vector_typeIjLj2EENS0_17counting_iteratorIjlEEPS9_SG_NS0_5tupleIJPjSI_NS0_16reverse_iteratorISI_EEEEENSH_IJSG_SG_SG_EEES9_SI_JZNS1_25segmented_radix_sort_implINS0_14default_configELb0EPKaPaPKlPlN2at6native12_GLOBAL__N_18offset_tEEE10hipError_tPvRmT1_PNSt15iterator_traitsIS12_E10value_typeET2_T3_PNS13_IS18_E10value_typeET4_jRbjT5_S1E_jjP12ihipStream_tbEUljE_ZNSN_ISO_Lb0ESQ_SR_ST_SU_SY_EESZ_S10_S11_S12_S16_S17_S18_S1B_S1C_jS1D_jS1E_S1E_jjS1G_bEUljE0_EEESZ_S10_S11_S18_S1C_S1E_T6_T7_T9_mT8_S1G_bDpT10_ENKUlT_T0_E_clISt17integral_constantIbLb1EES1T_IbLb0EEEEDaS1P_S1Q_EUlS1P_E_NS1_11comp_targetILNS1_3genE9ELNS1_11target_archE1100ELNS1_3gpuE3ELNS1_3repE0EEENS1_30default_config_static_selectorELNS0_4arch9wavefront6targetE0EEEvS12_
; %bb.0:
	.section	.rodata,"a",@progbits
	.p2align	6, 0x0
	.amdhsa_kernel _ZN7rocprim17ROCPRIM_400000_NS6detail17trampoline_kernelINS0_13select_configILj256ELj13ELNS0_17block_load_methodE3ELS4_3ELS4_3ELNS0_20block_scan_algorithmE0ELj4294967295EEENS1_25partition_config_selectorILNS1_17partition_subalgoE4EjNS0_10empty_typeEbEEZZNS1_14partition_implILS8_4ELb0ES6_15HIP_vector_typeIjLj2EENS0_17counting_iteratorIjlEEPS9_SG_NS0_5tupleIJPjSI_NS0_16reverse_iteratorISI_EEEEENSH_IJSG_SG_SG_EEES9_SI_JZNS1_25segmented_radix_sort_implINS0_14default_configELb0EPKaPaPKlPlN2at6native12_GLOBAL__N_18offset_tEEE10hipError_tPvRmT1_PNSt15iterator_traitsIS12_E10value_typeET2_T3_PNS13_IS18_E10value_typeET4_jRbjT5_S1E_jjP12ihipStream_tbEUljE_ZNSN_ISO_Lb0ESQ_SR_ST_SU_SY_EESZ_S10_S11_S12_S16_S17_S18_S1B_S1C_jS1D_jS1E_S1E_jjS1G_bEUljE0_EEESZ_S10_S11_S18_S1C_S1E_T6_T7_T9_mT8_S1G_bDpT10_ENKUlT_T0_E_clISt17integral_constantIbLb1EES1T_IbLb0EEEEDaS1P_S1Q_EUlS1P_E_NS1_11comp_targetILNS1_3genE9ELNS1_11target_archE1100ELNS1_3gpuE3ELNS1_3repE0EEENS1_30default_config_static_selectorELNS0_4arch9wavefront6targetE0EEEvS12_
		.amdhsa_group_segment_fixed_size 0
		.amdhsa_private_segment_fixed_size 0
		.amdhsa_kernarg_size 176
		.amdhsa_user_sgpr_count 2
		.amdhsa_user_sgpr_dispatch_ptr 0
		.amdhsa_user_sgpr_queue_ptr 0
		.amdhsa_user_sgpr_kernarg_segment_ptr 1
		.amdhsa_user_sgpr_dispatch_id 0
		.amdhsa_user_sgpr_private_segment_size 0
		.amdhsa_wavefront_size32 1
		.amdhsa_uses_dynamic_stack 0
		.amdhsa_enable_private_segment 0
		.amdhsa_system_sgpr_workgroup_id_x 1
		.amdhsa_system_sgpr_workgroup_id_y 0
		.amdhsa_system_sgpr_workgroup_id_z 0
		.amdhsa_system_sgpr_workgroup_info 0
		.amdhsa_system_vgpr_workitem_id 0
		.amdhsa_next_free_vgpr 1
		.amdhsa_next_free_sgpr 1
		.amdhsa_reserve_vcc 0
		.amdhsa_float_round_mode_32 0
		.amdhsa_float_round_mode_16_64 0
		.amdhsa_float_denorm_mode_32 3
		.amdhsa_float_denorm_mode_16_64 3
		.amdhsa_fp16_overflow 0
		.amdhsa_workgroup_processor_mode 1
		.amdhsa_memory_ordered 1
		.amdhsa_forward_progress 1
		.amdhsa_inst_pref_size 0
		.amdhsa_round_robin_scheduling 0
		.amdhsa_exception_fp_ieee_invalid_op 0
		.amdhsa_exception_fp_denorm_src 0
		.amdhsa_exception_fp_ieee_div_zero 0
		.amdhsa_exception_fp_ieee_overflow 0
		.amdhsa_exception_fp_ieee_underflow 0
		.amdhsa_exception_fp_ieee_inexact 0
		.amdhsa_exception_int_div_zero 0
	.end_amdhsa_kernel
	.section	.text._ZN7rocprim17ROCPRIM_400000_NS6detail17trampoline_kernelINS0_13select_configILj256ELj13ELNS0_17block_load_methodE3ELS4_3ELS4_3ELNS0_20block_scan_algorithmE0ELj4294967295EEENS1_25partition_config_selectorILNS1_17partition_subalgoE4EjNS0_10empty_typeEbEEZZNS1_14partition_implILS8_4ELb0ES6_15HIP_vector_typeIjLj2EENS0_17counting_iteratorIjlEEPS9_SG_NS0_5tupleIJPjSI_NS0_16reverse_iteratorISI_EEEEENSH_IJSG_SG_SG_EEES9_SI_JZNS1_25segmented_radix_sort_implINS0_14default_configELb0EPKaPaPKlPlN2at6native12_GLOBAL__N_18offset_tEEE10hipError_tPvRmT1_PNSt15iterator_traitsIS12_E10value_typeET2_T3_PNS13_IS18_E10value_typeET4_jRbjT5_S1E_jjP12ihipStream_tbEUljE_ZNSN_ISO_Lb0ESQ_SR_ST_SU_SY_EESZ_S10_S11_S12_S16_S17_S18_S1B_S1C_jS1D_jS1E_S1E_jjS1G_bEUljE0_EEESZ_S10_S11_S18_S1C_S1E_T6_T7_T9_mT8_S1G_bDpT10_ENKUlT_T0_E_clISt17integral_constantIbLb1EES1T_IbLb0EEEEDaS1P_S1Q_EUlS1P_E_NS1_11comp_targetILNS1_3genE9ELNS1_11target_archE1100ELNS1_3gpuE3ELNS1_3repE0EEENS1_30default_config_static_selectorELNS0_4arch9wavefront6targetE0EEEvS12_,"axG",@progbits,_ZN7rocprim17ROCPRIM_400000_NS6detail17trampoline_kernelINS0_13select_configILj256ELj13ELNS0_17block_load_methodE3ELS4_3ELS4_3ELNS0_20block_scan_algorithmE0ELj4294967295EEENS1_25partition_config_selectorILNS1_17partition_subalgoE4EjNS0_10empty_typeEbEEZZNS1_14partition_implILS8_4ELb0ES6_15HIP_vector_typeIjLj2EENS0_17counting_iteratorIjlEEPS9_SG_NS0_5tupleIJPjSI_NS0_16reverse_iteratorISI_EEEEENSH_IJSG_SG_SG_EEES9_SI_JZNS1_25segmented_radix_sort_implINS0_14default_configELb0EPKaPaPKlPlN2at6native12_GLOBAL__N_18offset_tEEE10hipError_tPvRmT1_PNSt15iterator_traitsIS12_E10value_typeET2_T3_PNS13_IS18_E10value_typeET4_jRbjT5_S1E_jjP12ihipStream_tbEUljE_ZNSN_ISO_Lb0ESQ_SR_ST_SU_SY_EESZ_S10_S11_S12_S16_S17_S18_S1B_S1C_jS1D_jS1E_S1E_jjS1G_bEUljE0_EEESZ_S10_S11_S18_S1C_S1E_T6_T7_T9_mT8_S1G_bDpT10_ENKUlT_T0_E_clISt17integral_constantIbLb1EES1T_IbLb0EEEEDaS1P_S1Q_EUlS1P_E_NS1_11comp_targetILNS1_3genE9ELNS1_11target_archE1100ELNS1_3gpuE3ELNS1_3repE0EEENS1_30default_config_static_selectorELNS0_4arch9wavefront6targetE0EEEvS12_,comdat
.Lfunc_end351:
	.size	_ZN7rocprim17ROCPRIM_400000_NS6detail17trampoline_kernelINS0_13select_configILj256ELj13ELNS0_17block_load_methodE3ELS4_3ELS4_3ELNS0_20block_scan_algorithmE0ELj4294967295EEENS1_25partition_config_selectorILNS1_17partition_subalgoE4EjNS0_10empty_typeEbEEZZNS1_14partition_implILS8_4ELb0ES6_15HIP_vector_typeIjLj2EENS0_17counting_iteratorIjlEEPS9_SG_NS0_5tupleIJPjSI_NS0_16reverse_iteratorISI_EEEEENSH_IJSG_SG_SG_EEES9_SI_JZNS1_25segmented_radix_sort_implINS0_14default_configELb0EPKaPaPKlPlN2at6native12_GLOBAL__N_18offset_tEEE10hipError_tPvRmT1_PNSt15iterator_traitsIS12_E10value_typeET2_T3_PNS13_IS18_E10value_typeET4_jRbjT5_S1E_jjP12ihipStream_tbEUljE_ZNSN_ISO_Lb0ESQ_SR_ST_SU_SY_EESZ_S10_S11_S12_S16_S17_S18_S1B_S1C_jS1D_jS1E_S1E_jjS1G_bEUljE0_EEESZ_S10_S11_S18_S1C_S1E_T6_T7_T9_mT8_S1G_bDpT10_ENKUlT_T0_E_clISt17integral_constantIbLb1EES1T_IbLb0EEEEDaS1P_S1Q_EUlS1P_E_NS1_11comp_targetILNS1_3genE9ELNS1_11target_archE1100ELNS1_3gpuE3ELNS1_3repE0EEENS1_30default_config_static_selectorELNS0_4arch9wavefront6targetE0EEEvS12_, .Lfunc_end351-_ZN7rocprim17ROCPRIM_400000_NS6detail17trampoline_kernelINS0_13select_configILj256ELj13ELNS0_17block_load_methodE3ELS4_3ELS4_3ELNS0_20block_scan_algorithmE0ELj4294967295EEENS1_25partition_config_selectorILNS1_17partition_subalgoE4EjNS0_10empty_typeEbEEZZNS1_14partition_implILS8_4ELb0ES6_15HIP_vector_typeIjLj2EENS0_17counting_iteratorIjlEEPS9_SG_NS0_5tupleIJPjSI_NS0_16reverse_iteratorISI_EEEEENSH_IJSG_SG_SG_EEES9_SI_JZNS1_25segmented_radix_sort_implINS0_14default_configELb0EPKaPaPKlPlN2at6native12_GLOBAL__N_18offset_tEEE10hipError_tPvRmT1_PNSt15iterator_traitsIS12_E10value_typeET2_T3_PNS13_IS18_E10value_typeET4_jRbjT5_S1E_jjP12ihipStream_tbEUljE_ZNSN_ISO_Lb0ESQ_SR_ST_SU_SY_EESZ_S10_S11_S12_S16_S17_S18_S1B_S1C_jS1D_jS1E_S1E_jjS1G_bEUljE0_EEESZ_S10_S11_S18_S1C_S1E_T6_T7_T9_mT8_S1G_bDpT10_ENKUlT_T0_E_clISt17integral_constantIbLb1EES1T_IbLb0EEEEDaS1P_S1Q_EUlS1P_E_NS1_11comp_targetILNS1_3genE9ELNS1_11target_archE1100ELNS1_3gpuE3ELNS1_3repE0EEENS1_30default_config_static_selectorELNS0_4arch9wavefront6targetE0EEEvS12_
                                        ; -- End function
	.set _ZN7rocprim17ROCPRIM_400000_NS6detail17trampoline_kernelINS0_13select_configILj256ELj13ELNS0_17block_load_methodE3ELS4_3ELS4_3ELNS0_20block_scan_algorithmE0ELj4294967295EEENS1_25partition_config_selectorILNS1_17partition_subalgoE4EjNS0_10empty_typeEbEEZZNS1_14partition_implILS8_4ELb0ES6_15HIP_vector_typeIjLj2EENS0_17counting_iteratorIjlEEPS9_SG_NS0_5tupleIJPjSI_NS0_16reverse_iteratorISI_EEEEENSH_IJSG_SG_SG_EEES9_SI_JZNS1_25segmented_radix_sort_implINS0_14default_configELb0EPKaPaPKlPlN2at6native12_GLOBAL__N_18offset_tEEE10hipError_tPvRmT1_PNSt15iterator_traitsIS12_E10value_typeET2_T3_PNS13_IS18_E10value_typeET4_jRbjT5_S1E_jjP12ihipStream_tbEUljE_ZNSN_ISO_Lb0ESQ_SR_ST_SU_SY_EESZ_S10_S11_S12_S16_S17_S18_S1B_S1C_jS1D_jS1E_S1E_jjS1G_bEUljE0_EEESZ_S10_S11_S18_S1C_S1E_T6_T7_T9_mT8_S1G_bDpT10_ENKUlT_T0_E_clISt17integral_constantIbLb1EES1T_IbLb0EEEEDaS1P_S1Q_EUlS1P_E_NS1_11comp_targetILNS1_3genE9ELNS1_11target_archE1100ELNS1_3gpuE3ELNS1_3repE0EEENS1_30default_config_static_selectorELNS0_4arch9wavefront6targetE0EEEvS12_.num_vgpr, 0
	.set _ZN7rocprim17ROCPRIM_400000_NS6detail17trampoline_kernelINS0_13select_configILj256ELj13ELNS0_17block_load_methodE3ELS4_3ELS4_3ELNS0_20block_scan_algorithmE0ELj4294967295EEENS1_25partition_config_selectorILNS1_17partition_subalgoE4EjNS0_10empty_typeEbEEZZNS1_14partition_implILS8_4ELb0ES6_15HIP_vector_typeIjLj2EENS0_17counting_iteratorIjlEEPS9_SG_NS0_5tupleIJPjSI_NS0_16reverse_iteratorISI_EEEEENSH_IJSG_SG_SG_EEES9_SI_JZNS1_25segmented_radix_sort_implINS0_14default_configELb0EPKaPaPKlPlN2at6native12_GLOBAL__N_18offset_tEEE10hipError_tPvRmT1_PNSt15iterator_traitsIS12_E10value_typeET2_T3_PNS13_IS18_E10value_typeET4_jRbjT5_S1E_jjP12ihipStream_tbEUljE_ZNSN_ISO_Lb0ESQ_SR_ST_SU_SY_EESZ_S10_S11_S12_S16_S17_S18_S1B_S1C_jS1D_jS1E_S1E_jjS1G_bEUljE0_EEESZ_S10_S11_S18_S1C_S1E_T6_T7_T9_mT8_S1G_bDpT10_ENKUlT_T0_E_clISt17integral_constantIbLb1EES1T_IbLb0EEEEDaS1P_S1Q_EUlS1P_E_NS1_11comp_targetILNS1_3genE9ELNS1_11target_archE1100ELNS1_3gpuE3ELNS1_3repE0EEENS1_30default_config_static_selectorELNS0_4arch9wavefront6targetE0EEEvS12_.num_agpr, 0
	.set _ZN7rocprim17ROCPRIM_400000_NS6detail17trampoline_kernelINS0_13select_configILj256ELj13ELNS0_17block_load_methodE3ELS4_3ELS4_3ELNS0_20block_scan_algorithmE0ELj4294967295EEENS1_25partition_config_selectorILNS1_17partition_subalgoE4EjNS0_10empty_typeEbEEZZNS1_14partition_implILS8_4ELb0ES6_15HIP_vector_typeIjLj2EENS0_17counting_iteratorIjlEEPS9_SG_NS0_5tupleIJPjSI_NS0_16reverse_iteratorISI_EEEEENSH_IJSG_SG_SG_EEES9_SI_JZNS1_25segmented_radix_sort_implINS0_14default_configELb0EPKaPaPKlPlN2at6native12_GLOBAL__N_18offset_tEEE10hipError_tPvRmT1_PNSt15iterator_traitsIS12_E10value_typeET2_T3_PNS13_IS18_E10value_typeET4_jRbjT5_S1E_jjP12ihipStream_tbEUljE_ZNSN_ISO_Lb0ESQ_SR_ST_SU_SY_EESZ_S10_S11_S12_S16_S17_S18_S1B_S1C_jS1D_jS1E_S1E_jjS1G_bEUljE0_EEESZ_S10_S11_S18_S1C_S1E_T6_T7_T9_mT8_S1G_bDpT10_ENKUlT_T0_E_clISt17integral_constantIbLb1EES1T_IbLb0EEEEDaS1P_S1Q_EUlS1P_E_NS1_11comp_targetILNS1_3genE9ELNS1_11target_archE1100ELNS1_3gpuE3ELNS1_3repE0EEENS1_30default_config_static_selectorELNS0_4arch9wavefront6targetE0EEEvS12_.numbered_sgpr, 0
	.set _ZN7rocprim17ROCPRIM_400000_NS6detail17trampoline_kernelINS0_13select_configILj256ELj13ELNS0_17block_load_methodE3ELS4_3ELS4_3ELNS0_20block_scan_algorithmE0ELj4294967295EEENS1_25partition_config_selectorILNS1_17partition_subalgoE4EjNS0_10empty_typeEbEEZZNS1_14partition_implILS8_4ELb0ES6_15HIP_vector_typeIjLj2EENS0_17counting_iteratorIjlEEPS9_SG_NS0_5tupleIJPjSI_NS0_16reverse_iteratorISI_EEEEENSH_IJSG_SG_SG_EEES9_SI_JZNS1_25segmented_radix_sort_implINS0_14default_configELb0EPKaPaPKlPlN2at6native12_GLOBAL__N_18offset_tEEE10hipError_tPvRmT1_PNSt15iterator_traitsIS12_E10value_typeET2_T3_PNS13_IS18_E10value_typeET4_jRbjT5_S1E_jjP12ihipStream_tbEUljE_ZNSN_ISO_Lb0ESQ_SR_ST_SU_SY_EESZ_S10_S11_S12_S16_S17_S18_S1B_S1C_jS1D_jS1E_S1E_jjS1G_bEUljE0_EEESZ_S10_S11_S18_S1C_S1E_T6_T7_T9_mT8_S1G_bDpT10_ENKUlT_T0_E_clISt17integral_constantIbLb1EES1T_IbLb0EEEEDaS1P_S1Q_EUlS1P_E_NS1_11comp_targetILNS1_3genE9ELNS1_11target_archE1100ELNS1_3gpuE3ELNS1_3repE0EEENS1_30default_config_static_selectorELNS0_4arch9wavefront6targetE0EEEvS12_.num_named_barrier, 0
	.set _ZN7rocprim17ROCPRIM_400000_NS6detail17trampoline_kernelINS0_13select_configILj256ELj13ELNS0_17block_load_methodE3ELS4_3ELS4_3ELNS0_20block_scan_algorithmE0ELj4294967295EEENS1_25partition_config_selectorILNS1_17partition_subalgoE4EjNS0_10empty_typeEbEEZZNS1_14partition_implILS8_4ELb0ES6_15HIP_vector_typeIjLj2EENS0_17counting_iteratorIjlEEPS9_SG_NS0_5tupleIJPjSI_NS0_16reverse_iteratorISI_EEEEENSH_IJSG_SG_SG_EEES9_SI_JZNS1_25segmented_radix_sort_implINS0_14default_configELb0EPKaPaPKlPlN2at6native12_GLOBAL__N_18offset_tEEE10hipError_tPvRmT1_PNSt15iterator_traitsIS12_E10value_typeET2_T3_PNS13_IS18_E10value_typeET4_jRbjT5_S1E_jjP12ihipStream_tbEUljE_ZNSN_ISO_Lb0ESQ_SR_ST_SU_SY_EESZ_S10_S11_S12_S16_S17_S18_S1B_S1C_jS1D_jS1E_S1E_jjS1G_bEUljE0_EEESZ_S10_S11_S18_S1C_S1E_T6_T7_T9_mT8_S1G_bDpT10_ENKUlT_T0_E_clISt17integral_constantIbLb1EES1T_IbLb0EEEEDaS1P_S1Q_EUlS1P_E_NS1_11comp_targetILNS1_3genE9ELNS1_11target_archE1100ELNS1_3gpuE3ELNS1_3repE0EEENS1_30default_config_static_selectorELNS0_4arch9wavefront6targetE0EEEvS12_.private_seg_size, 0
	.set _ZN7rocprim17ROCPRIM_400000_NS6detail17trampoline_kernelINS0_13select_configILj256ELj13ELNS0_17block_load_methodE3ELS4_3ELS4_3ELNS0_20block_scan_algorithmE0ELj4294967295EEENS1_25partition_config_selectorILNS1_17partition_subalgoE4EjNS0_10empty_typeEbEEZZNS1_14partition_implILS8_4ELb0ES6_15HIP_vector_typeIjLj2EENS0_17counting_iteratorIjlEEPS9_SG_NS0_5tupleIJPjSI_NS0_16reverse_iteratorISI_EEEEENSH_IJSG_SG_SG_EEES9_SI_JZNS1_25segmented_radix_sort_implINS0_14default_configELb0EPKaPaPKlPlN2at6native12_GLOBAL__N_18offset_tEEE10hipError_tPvRmT1_PNSt15iterator_traitsIS12_E10value_typeET2_T3_PNS13_IS18_E10value_typeET4_jRbjT5_S1E_jjP12ihipStream_tbEUljE_ZNSN_ISO_Lb0ESQ_SR_ST_SU_SY_EESZ_S10_S11_S12_S16_S17_S18_S1B_S1C_jS1D_jS1E_S1E_jjS1G_bEUljE0_EEESZ_S10_S11_S18_S1C_S1E_T6_T7_T9_mT8_S1G_bDpT10_ENKUlT_T0_E_clISt17integral_constantIbLb1EES1T_IbLb0EEEEDaS1P_S1Q_EUlS1P_E_NS1_11comp_targetILNS1_3genE9ELNS1_11target_archE1100ELNS1_3gpuE3ELNS1_3repE0EEENS1_30default_config_static_selectorELNS0_4arch9wavefront6targetE0EEEvS12_.uses_vcc, 0
	.set _ZN7rocprim17ROCPRIM_400000_NS6detail17trampoline_kernelINS0_13select_configILj256ELj13ELNS0_17block_load_methodE3ELS4_3ELS4_3ELNS0_20block_scan_algorithmE0ELj4294967295EEENS1_25partition_config_selectorILNS1_17partition_subalgoE4EjNS0_10empty_typeEbEEZZNS1_14partition_implILS8_4ELb0ES6_15HIP_vector_typeIjLj2EENS0_17counting_iteratorIjlEEPS9_SG_NS0_5tupleIJPjSI_NS0_16reverse_iteratorISI_EEEEENSH_IJSG_SG_SG_EEES9_SI_JZNS1_25segmented_radix_sort_implINS0_14default_configELb0EPKaPaPKlPlN2at6native12_GLOBAL__N_18offset_tEEE10hipError_tPvRmT1_PNSt15iterator_traitsIS12_E10value_typeET2_T3_PNS13_IS18_E10value_typeET4_jRbjT5_S1E_jjP12ihipStream_tbEUljE_ZNSN_ISO_Lb0ESQ_SR_ST_SU_SY_EESZ_S10_S11_S12_S16_S17_S18_S1B_S1C_jS1D_jS1E_S1E_jjS1G_bEUljE0_EEESZ_S10_S11_S18_S1C_S1E_T6_T7_T9_mT8_S1G_bDpT10_ENKUlT_T0_E_clISt17integral_constantIbLb1EES1T_IbLb0EEEEDaS1P_S1Q_EUlS1P_E_NS1_11comp_targetILNS1_3genE9ELNS1_11target_archE1100ELNS1_3gpuE3ELNS1_3repE0EEENS1_30default_config_static_selectorELNS0_4arch9wavefront6targetE0EEEvS12_.uses_flat_scratch, 0
	.set _ZN7rocprim17ROCPRIM_400000_NS6detail17trampoline_kernelINS0_13select_configILj256ELj13ELNS0_17block_load_methodE3ELS4_3ELS4_3ELNS0_20block_scan_algorithmE0ELj4294967295EEENS1_25partition_config_selectorILNS1_17partition_subalgoE4EjNS0_10empty_typeEbEEZZNS1_14partition_implILS8_4ELb0ES6_15HIP_vector_typeIjLj2EENS0_17counting_iteratorIjlEEPS9_SG_NS0_5tupleIJPjSI_NS0_16reverse_iteratorISI_EEEEENSH_IJSG_SG_SG_EEES9_SI_JZNS1_25segmented_radix_sort_implINS0_14default_configELb0EPKaPaPKlPlN2at6native12_GLOBAL__N_18offset_tEEE10hipError_tPvRmT1_PNSt15iterator_traitsIS12_E10value_typeET2_T3_PNS13_IS18_E10value_typeET4_jRbjT5_S1E_jjP12ihipStream_tbEUljE_ZNSN_ISO_Lb0ESQ_SR_ST_SU_SY_EESZ_S10_S11_S12_S16_S17_S18_S1B_S1C_jS1D_jS1E_S1E_jjS1G_bEUljE0_EEESZ_S10_S11_S18_S1C_S1E_T6_T7_T9_mT8_S1G_bDpT10_ENKUlT_T0_E_clISt17integral_constantIbLb1EES1T_IbLb0EEEEDaS1P_S1Q_EUlS1P_E_NS1_11comp_targetILNS1_3genE9ELNS1_11target_archE1100ELNS1_3gpuE3ELNS1_3repE0EEENS1_30default_config_static_selectorELNS0_4arch9wavefront6targetE0EEEvS12_.has_dyn_sized_stack, 0
	.set _ZN7rocprim17ROCPRIM_400000_NS6detail17trampoline_kernelINS0_13select_configILj256ELj13ELNS0_17block_load_methodE3ELS4_3ELS4_3ELNS0_20block_scan_algorithmE0ELj4294967295EEENS1_25partition_config_selectorILNS1_17partition_subalgoE4EjNS0_10empty_typeEbEEZZNS1_14partition_implILS8_4ELb0ES6_15HIP_vector_typeIjLj2EENS0_17counting_iteratorIjlEEPS9_SG_NS0_5tupleIJPjSI_NS0_16reverse_iteratorISI_EEEEENSH_IJSG_SG_SG_EEES9_SI_JZNS1_25segmented_radix_sort_implINS0_14default_configELb0EPKaPaPKlPlN2at6native12_GLOBAL__N_18offset_tEEE10hipError_tPvRmT1_PNSt15iterator_traitsIS12_E10value_typeET2_T3_PNS13_IS18_E10value_typeET4_jRbjT5_S1E_jjP12ihipStream_tbEUljE_ZNSN_ISO_Lb0ESQ_SR_ST_SU_SY_EESZ_S10_S11_S12_S16_S17_S18_S1B_S1C_jS1D_jS1E_S1E_jjS1G_bEUljE0_EEESZ_S10_S11_S18_S1C_S1E_T6_T7_T9_mT8_S1G_bDpT10_ENKUlT_T0_E_clISt17integral_constantIbLb1EES1T_IbLb0EEEEDaS1P_S1Q_EUlS1P_E_NS1_11comp_targetILNS1_3genE9ELNS1_11target_archE1100ELNS1_3gpuE3ELNS1_3repE0EEENS1_30default_config_static_selectorELNS0_4arch9wavefront6targetE0EEEvS12_.has_recursion, 0
	.set _ZN7rocprim17ROCPRIM_400000_NS6detail17trampoline_kernelINS0_13select_configILj256ELj13ELNS0_17block_load_methodE3ELS4_3ELS4_3ELNS0_20block_scan_algorithmE0ELj4294967295EEENS1_25partition_config_selectorILNS1_17partition_subalgoE4EjNS0_10empty_typeEbEEZZNS1_14partition_implILS8_4ELb0ES6_15HIP_vector_typeIjLj2EENS0_17counting_iteratorIjlEEPS9_SG_NS0_5tupleIJPjSI_NS0_16reverse_iteratorISI_EEEEENSH_IJSG_SG_SG_EEES9_SI_JZNS1_25segmented_radix_sort_implINS0_14default_configELb0EPKaPaPKlPlN2at6native12_GLOBAL__N_18offset_tEEE10hipError_tPvRmT1_PNSt15iterator_traitsIS12_E10value_typeET2_T3_PNS13_IS18_E10value_typeET4_jRbjT5_S1E_jjP12ihipStream_tbEUljE_ZNSN_ISO_Lb0ESQ_SR_ST_SU_SY_EESZ_S10_S11_S12_S16_S17_S18_S1B_S1C_jS1D_jS1E_S1E_jjS1G_bEUljE0_EEESZ_S10_S11_S18_S1C_S1E_T6_T7_T9_mT8_S1G_bDpT10_ENKUlT_T0_E_clISt17integral_constantIbLb1EES1T_IbLb0EEEEDaS1P_S1Q_EUlS1P_E_NS1_11comp_targetILNS1_3genE9ELNS1_11target_archE1100ELNS1_3gpuE3ELNS1_3repE0EEENS1_30default_config_static_selectorELNS0_4arch9wavefront6targetE0EEEvS12_.has_indirect_call, 0
	.section	.AMDGPU.csdata,"",@progbits
; Kernel info:
; codeLenInByte = 0
; TotalNumSgprs: 0
; NumVgprs: 0
; ScratchSize: 0
; MemoryBound: 0
; FloatMode: 240
; IeeeMode: 1
; LDSByteSize: 0 bytes/workgroup (compile time only)
; SGPRBlocks: 0
; VGPRBlocks: 0
; NumSGPRsForWavesPerEU: 1
; NumVGPRsForWavesPerEU: 1
; Occupancy: 16
; WaveLimiterHint : 0
; COMPUTE_PGM_RSRC2:SCRATCH_EN: 0
; COMPUTE_PGM_RSRC2:USER_SGPR: 2
; COMPUTE_PGM_RSRC2:TRAP_HANDLER: 0
; COMPUTE_PGM_RSRC2:TGID_X_EN: 1
; COMPUTE_PGM_RSRC2:TGID_Y_EN: 0
; COMPUTE_PGM_RSRC2:TGID_Z_EN: 0
; COMPUTE_PGM_RSRC2:TIDIG_COMP_CNT: 0
	.section	.text._ZN7rocprim17ROCPRIM_400000_NS6detail17trampoline_kernelINS0_13select_configILj256ELj13ELNS0_17block_load_methodE3ELS4_3ELS4_3ELNS0_20block_scan_algorithmE0ELj4294967295EEENS1_25partition_config_selectorILNS1_17partition_subalgoE4EjNS0_10empty_typeEbEEZZNS1_14partition_implILS8_4ELb0ES6_15HIP_vector_typeIjLj2EENS0_17counting_iteratorIjlEEPS9_SG_NS0_5tupleIJPjSI_NS0_16reverse_iteratorISI_EEEEENSH_IJSG_SG_SG_EEES9_SI_JZNS1_25segmented_radix_sort_implINS0_14default_configELb0EPKaPaPKlPlN2at6native12_GLOBAL__N_18offset_tEEE10hipError_tPvRmT1_PNSt15iterator_traitsIS12_E10value_typeET2_T3_PNS13_IS18_E10value_typeET4_jRbjT5_S1E_jjP12ihipStream_tbEUljE_ZNSN_ISO_Lb0ESQ_SR_ST_SU_SY_EESZ_S10_S11_S12_S16_S17_S18_S1B_S1C_jS1D_jS1E_S1E_jjS1G_bEUljE0_EEESZ_S10_S11_S18_S1C_S1E_T6_T7_T9_mT8_S1G_bDpT10_ENKUlT_T0_E_clISt17integral_constantIbLb1EES1T_IbLb0EEEEDaS1P_S1Q_EUlS1P_E_NS1_11comp_targetILNS1_3genE8ELNS1_11target_archE1030ELNS1_3gpuE2ELNS1_3repE0EEENS1_30default_config_static_selectorELNS0_4arch9wavefront6targetE0EEEvS12_,"axG",@progbits,_ZN7rocprim17ROCPRIM_400000_NS6detail17trampoline_kernelINS0_13select_configILj256ELj13ELNS0_17block_load_methodE3ELS4_3ELS4_3ELNS0_20block_scan_algorithmE0ELj4294967295EEENS1_25partition_config_selectorILNS1_17partition_subalgoE4EjNS0_10empty_typeEbEEZZNS1_14partition_implILS8_4ELb0ES6_15HIP_vector_typeIjLj2EENS0_17counting_iteratorIjlEEPS9_SG_NS0_5tupleIJPjSI_NS0_16reverse_iteratorISI_EEEEENSH_IJSG_SG_SG_EEES9_SI_JZNS1_25segmented_radix_sort_implINS0_14default_configELb0EPKaPaPKlPlN2at6native12_GLOBAL__N_18offset_tEEE10hipError_tPvRmT1_PNSt15iterator_traitsIS12_E10value_typeET2_T3_PNS13_IS18_E10value_typeET4_jRbjT5_S1E_jjP12ihipStream_tbEUljE_ZNSN_ISO_Lb0ESQ_SR_ST_SU_SY_EESZ_S10_S11_S12_S16_S17_S18_S1B_S1C_jS1D_jS1E_S1E_jjS1G_bEUljE0_EEESZ_S10_S11_S18_S1C_S1E_T6_T7_T9_mT8_S1G_bDpT10_ENKUlT_T0_E_clISt17integral_constantIbLb1EES1T_IbLb0EEEEDaS1P_S1Q_EUlS1P_E_NS1_11comp_targetILNS1_3genE8ELNS1_11target_archE1030ELNS1_3gpuE2ELNS1_3repE0EEENS1_30default_config_static_selectorELNS0_4arch9wavefront6targetE0EEEvS12_,comdat
	.globl	_ZN7rocprim17ROCPRIM_400000_NS6detail17trampoline_kernelINS0_13select_configILj256ELj13ELNS0_17block_load_methodE3ELS4_3ELS4_3ELNS0_20block_scan_algorithmE0ELj4294967295EEENS1_25partition_config_selectorILNS1_17partition_subalgoE4EjNS0_10empty_typeEbEEZZNS1_14partition_implILS8_4ELb0ES6_15HIP_vector_typeIjLj2EENS0_17counting_iteratorIjlEEPS9_SG_NS0_5tupleIJPjSI_NS0_16reverse_iteratorISI_EEEEENSH_IJSG_SG_SG_EEES9_SI_JZNS1_25segmented_radix_sort_implINS0_14default_configELb0EPKaPaPKlPlN2at6native12_GLOBAL__N_18offset_tEEE10hipError_tPvRmT1_PNSt15iterator_traitsIS12_E10value_typeET2_T3_PNS13_IS18_E10value_typeET4_jRbjT5_S1E_jjP12ihipStream_tbEUljE_ZNSN_ISO_Lb0ESQ_SR_ST_SU_SY_EESZ_S10_S11_S12_S16_S17_S18_S1B_S1C_jS1D_jS1E_S1E_jjS1G_bEUljE0_EEESZ_S10_S11_S18_S1C_S1E_T6_T7_T9_mT8_S1G_bDpT10_ENKUlT_T0_E_clISt17integral_constantIbLb1EES1T_IbLb0EEEEDaS1P_S1Q_EUlS1P_E_NS1_11comp_targetILNS1_3genE8ELNS1_11target_archE1030ELNS1_3gpuE2ELNS1_3repE0EEENS1_30default_config_static_selectorELNS0_4arch9wavefront6targetE0EEEvS12_ ; -- Begin function _ZN7rocprim17ROCPRIM_400000_NS6detail17trampoline_kernelINS0_13select_configILj256ELj13ELNS0_17block_load_methodE3ELS4_3ELS4_3ELNS0_20block_scan_algorithmE0ELj4294967295EEENS1_25partition_config_selectorILNS1_17partition_subalgoE4EjNS0_10empty_typeEbEEZZNS1_14partition_implILS8_4ELb0ES6_15HIP_vector_typeIjLj2EENS0_17counting_iteratorIjlEEPS9_SG_NS0_5tupleIJPjSI_NS0_16reverse_iteratorISI_EEEEENSH_IJSG_SG_SG_EEES9_SI_JZNS1_25segmented_radix_sort_implINS0_14default_configELb0EPKaPaPKlPlN2at6native12_GLOBAL__N_18offset_tEEE10hipError_tPvRmT1_PNSt15iterator_traitsIS12_E10value_typeET2_T3_PNS13_IS18_E10value_typeET4_jRbjT5_S1E_jjP12ihipStream_tbEUljE_ZNSN_ISO_Lb0ESQ_SR_ST_SU_SY_EESZ_S10_S11_S12_S16_S17_S18_S1B_S1C_jS1D_jS1E_S1E_jjS1G_bEUljE0_EEESZ_S10_S11_S18_S1C_S1E_T6_T7_T9_mT8_S1G_bDpT10_ENKUlT_T0_E_clISt17integral_constantIbLb1EES1T_IbLb0EEEEDaS1P_S1Q_EUlS1P_E_NS1_11comp_targetILNS1_3genE8ELNS1_11target_archE1030ELNS1_3gpuE2ELNS1_3repE0EEENS1_30default_config_static_selectorELNS0_4arch9wavefront6targetE0EEEvS12_
	.p2align	8
	.type	_ZN7rocprim17ROCPRIM_400000_NS6detail17trampoline_kernelINS0_13select_configILj256ELj13ELNS0_17block_load_methodE3ELS4_3ELS4_3ELNS0_20block_scan_algorithmE0ELj4294967295EEENS1_25partition_config_selectorILNS1_17partition_subalgoE4EjNS0_10empty_typeEbEEZZNS1_14partition_implILS8_4ELb0ES6_15HIP_vector_typeIjLj2EENS0_17counting_iteratorIjlEEPS9_SG_NS0_5tupleIJPjSI_NS0_16reverse_iteratorISI_EEEEENSH_IJSG_SG_SG_EEES9_SI_JZNS1_25segmented_radix_sort_implINS0_14default_configELb0EPKaPaPKlPlN2at6native12_GLOBAL__N_18offset_tEEE10hipError_tPvRmT1_PNSt15iterator_traitsIS12_E10value_typeET2_T3_PNS13_IS18_E10value_typeET4_jRbjT5_S1E_jjP12ihipStream_tbEUljE_ZNSN_ISO_Lb0ESQ_SR_ST_SU_SY_EESZ_S10_S11_S12_S16_S17_S18_S1B_S1C_jS1D_jS1E_S1E_jjS1G_bEUljE0_EEESZ_S10_S11_S18_S1C_S1E_T6_T7_T9_mT8_S1G_bDpT10_ENKUlT_T0_E_clISt17integral_constantIbLb1EES1T_IbLb0EEEEDaS1P_S1Q_EUlS1P_E_NS1_11comp_targetILNS1_3genE8ELNS1_11target_archE1030ELNS1_3gpuE2ELNS1_3repE0EEENS1_30default_config_static_selectorELNS0_4arch9wavefront6targetE0EEEvS12_,@function
_ZN7rocprim17ROCPRIM_400000_NS6detail17trampoline_kernelINS0_13select_configILj256ELj13ELNS0_17block_load_methodE3ELS4_3ELS4_3ELNS0_20block_scan_algorithmE0ELj4294967295EEENS1_25partition_config_selectorILNS1_17partition_subalgoE4EjNS0_10empty_typeEbEEZZNS1_14partition_implILS8_4ELb0ES6_15HIP_vector_typeIjLj2EENS0_17counting_iteratorIjlEEPS9_SG_NS0_5tupleIJPjSI_NS0_16reverse_iteratorISI_EEEEENSH_IJSG_SG_SG_EEES9_SI_JZNS1_25segmented_radix_sort_implINS0_14default_configELb0EPKaPaPKlPlN2at6native12_GLOBAL__N_18offset_tEEE10hipError_tPvRmT1_PNSt15iterator_traitsIS12_E10value_typeET2_T3_PNS13_IS18_E10value_typeET4_jRbjT5_S1E_jjP12ihipStream_tbEUljE_ZNSN_ISO_Lb0ESQ_SR_ST_SU_SY_EESZ_S10_S11_S12_S16_S17_S18_S1B_S1C_jS1D_jS1E_S1E_jjS1G_bEUljE0_EEESZ_S10_S11_S18_S1C_S1E_T6_T7_T9_mT8_S1G_bDpT10_ENKUlT_T0_E_clISt17integral_constantIbLb1EES1T_IbLb0EEEEDaS1P_S1Q_EUlS1P_E_NS1_11comp_targetILNS1_3genE8ELNS1_11target_archE1030ELNS1_3gpuE2ELNS1_3repE0EEENS1_30default_config_static_selectorELNS0_4arch9wavefront6targetE0EEEvS12_: ; @_ZN7rocprim17ROCPRIM_400000_NS6detail17trampoline_kernelINS0_13select_configILj256ELj13ELNS0_17block_load_methodE3ELS4_3ELS4_3ELNS0_20block_scan_algorithmE0ELj4294967295EEENS1_25partition_config_selectorILNS1_17partition_subalgoE4EjNS0_10empty_typeEbEEZZNS1_14partition_implILS8_4ELb0ES6_15HIP_vector_typeIjLj2EENS0_17counting_iteratorIjlEEPS9_SG_NS0_5tupleIJPjSI_NS0_16reverse_iteratorISI_EEEEENSH_IJSG_SG_SG_EEES9_SI_JZNS1_25segmented_radix_sort_implINS0_14default_configELb0EPKaPaPKlPlN2at6native12_GLOBAL__N_18offset_tEEE10hipError_tPvRmT1_PNSt15iterator_traitsIS12_E10value_typeET2_T3_PNS13_IS18_E10value_typeET4_jRbjT5_S1E_jjP12ihipStream_tbEUljE_ZNSN_ISO_Lb0ESQ_SR_ST_SU_SY_EESZ_S10_S11_S12_S16_S17_S18_S1B_S1C_jS1D_jS1E_S1E_jjS1G_bEUljE0_EEESZ_S10_S11_S18_S1C_S1E_T6_T7_T9_mT8_S1G_bDpT10_ENKUlT_T0_E_clISt17integral_constantIbLb1EES1T_IbLb0EEEEDaS1P_S1Q_EUlS1P_E_NS1_11comp_targetILNS1_3genE8ELNS1_11target_archE1030ELNS1_3gpuE2ELNS1_3repE0EEENS1_30default_config_static_selectorELNS0_4arch9wavefront6targetE0EEEvS12_
; %bb.0:
	.section	.rodata,"a",@progbits
	.p2align	6, 0x0
	.amdhsa_kernel _ZN7rocprim17ROCPRIM_400000_NS6detail17trampoline_kernelINS0_13select_configILj256ELj13ELNS0_17block_load_methodE3ELS4_3ELS4_3ELNS0_20block_scan_algorithmE0ELj4294967295EEENS1_25partition_config_selectorILNS1_17partition_subalgoE4EjNS0_10empty_typeEbEEZZNS1_14partition_implILS8_4ELb0ES6_15HIP_vector_typeIjLj2EENS0_17counting_iteratorIjlEEPS9_SG_NS0_5tupleIJPjSI_NS0_16reverse_iteratorISI_EEEEENSH_IJSG_SG_SG_EEES9_SI_JZNS1_25segmented_radix_sort_implINS0_14default_configELb0EPKaPaPKlPlN2at6native12_GLOBAL__N_18offset_tEEE10hipError_tPvRmT1_PNSt15iterator_traitsIS12_E10value_typeET2_T3_PNS13_IS18_E10value_typeET4_jRbjT5_S1E_jjP12ihipStream_tbEUljE_ZNSN_ISO_Lb0ESQ_SR_ST_SU_SY_EESZ_S10_S11_S12_S16_S17_S18_S1B_S1C_jS1D_jS1E_S1E_jjS1G_bEUljE0_EEESZ_S10_S11_S18_S1C_S1E_T6_T7_T9_mT8_S1G_bDpT10_ENKUlT_T0_E_clISt17integral_constantIbLb1EES1T_IbLb0EEEEDaS1P_S1Q_EUlS1P_E_NS1_11comp_targetILNS1_3genE8ELNS1_11target_archE1030ELNS1_3gpuE2ELNS1_3repE0EEENS1_30default_config_static_selectorELNS0_4arch9wavefront6targetE0EEEvS12_
		.amdhsa_group_segment_fixed_size 0
		.amdhsa_private_segment_fixed_size 0
		.amdhsa_kernarg_size 176
		.amdhsa_user_sgpr_count 2
		.amdhsa_user_sgpr_dispatch_ptr 0
		.amdhsa_user_sgpr_queue_ptr 0
		.amdhsa_user_sgpr_kernarg_segment_ptr 1
		.amdhsa_user_sgpr_dispatch_id 0
		.amdhsa_user_sgpr_private_segment_size 0
		.amdhsa_wavefront_size32 1
		.amdhsa_uses_dynamic_stack 0
		.amdhsa_enable_private_segment 0
		.amdhsa_system_sgpr_workgroup_id_x 1
		.amdhsa_system_sgpr_workgroup_id_y 0
		.amdhsa_system_sgpr_workgroup_id_z 0
		.amdhsa_system_sgpr_workgroup_info 0
		.amdhsa_system_vgpr_workitem_id 0
		.amdhsa_next_free_vgpr 1
		.amdhsa_next_free_sgpr 1
		.amdhsa_reserve_vcc 0
		.amdhsa_float_round_mode_32 0
		.amdhsa_float_round_mode_16_64 0
		.amdhsa_float_denorm_mode_32 3
		.amdhsa_float_denorm_mode_16_64 3
		.amdhsa_fp16_overflow 0
		.amdhsa_workgroup_processor_mode 1
		.amdhsa_memory_ordered 1
		.amdhsa_forward_progress 1
		.amdhsa_inst_pref_size 0
		.amdhsa_round_robin_scheduling 0
		.amdhsa_exception_fp_ieee_invalid_op 0
		.amdhsa_exception_fp_denorm_src 0
		.amdhsa_exception_fp_ieee_div_zero 0
		.amdhsa_exception_fp_ieee_overflow 0
		.amdhsa_exception_fp_ieee_underflow 0
		.amdhsa_exception_fp_ieee_inexact 0
		.amdhsa_exception_int_div_zero 0
	.end_amdhsa_kernel
	.section	.text._ZN7rocprim17ROCPRIM_400000_NS6detail17trampoline_kernelINS0_13select_configILj256ELj13ELNS0_17block_load_methodE3ELS4_3ELS4_3ELNS0_20block_scan_algorithmE0ELj4294967295EEENS1_25partition_config_selectorILNS1_17partition_subalgoE4EjNS0_10empty_typeEbEEZZNS1_14partition_implILS8_4ELb0ES6_15HIP_vector_typeIjLj2EENS0_17counting_iteratorIjlEEPS9_SG_NS0_5tupleIJPjSI_NS0_16reverse_iteratorISI_EEEEENSH_IJSG_SG_SG_EEES9_SI_JZNS1_25segmented_radix_sort_implINS0_14default_configELb0EPKaPaPKlPlN2at6native12_GLOBAL__N_18offset_tEEE10hipError_tPvRmT1_PNSt15iterator_traitsIS12_E10value_typeET2_T3_PNS13_IS18_E10value_typeET4_jRbjT5_S1E_jjP12ihipStream_tbEUljE_ZNSN_ISO_Lb0ESQ_SR_ST_SU_SY_EESZ_S10_S11_S12_S16_S17_S18_S1B_S1C_jS1D_jS1E_S1E_jjS1G_bEUljE0_EEESZ_S10_S11_S18_S1C_S1E_T6_T7_T9_mT8_S1G_bDpT10_ENKUlT_T0_E_clISt17integral_constantIbLb1EES1T_IbLb0EEEEDaS1P_S1Q_EUlS1P_E_NS1_11comp_targetILNS1_3genE8ELNS1_11target_archE1030ELNS1_3gpuE2ELNS1_3repE0EEENS1_30default_config_static_selectorELNS0_4arch9wavefront6targetE0EEEvS12_,"axG",@progbits,_ZN7rocprim17ROCPRIM_400000_NS6detail17trampoline_kernelINS0_13select_configILj256ELj13ELNS0_17block_load_methodE3ELS4_3ELS4_3ELNS0_20block_scan_algorithmE0ELj4294967295EEENS1_25partition_config_selectorILNS1_17partition_subalgoE4EjNS0_10empty_typeEbEEZZNS1_14partition_implILS8_4ELb0ES6_15HIP_vector_typeIjLj2EENS0_17counting_iteratorIjlEEPS9_SG_NS0_5tupleIJPjSI_NS0_16reverse_iteratorISI_EEEEENSH_IJSG_SG_SG_EEES9_SI_JZNS1_25segmented_radix_sort_implINS0_14default_configELb0EPKaPaPKlPlN2at6native12_GLOBAL__N_18offset_tEEE10hipError_tPvRmT1_PNSt15iterator_traitsIS12_E10value_typeET2_T3_PNS13_IS18_E10value_typeET4_jRbjT5_S1E_jjP12ihipStream_tbEUljE_ZNSN_ISO_Lb0ESQ_SR_ST_SU_SY_EESZ_S10_S11_S12_S16_S17_S18_S1B_S1C_jS1D_jS1E_S1E_jjS1G_bEUljE0_EEESZ_S10_S11_S18_S1C_S1E_T6_T7_T9_mT8_S1G_bDpT10_ENKUlT_T0_E_clISt17integral_constantIbLb1EES1T_IbLb0EEEEDaS1P_S1Q_EUlS1P_E_NS1_11comp_targetILNS1_3genE8ELNS1_11target_archE1030ELNS1_3gpuE2ELNS1_3repE0EEENS1_30default_config_static_selectorELNS0_4arch9wavefront6targetE0EEEvS12_,comdat
.Lfunc_end352:
	.size	_ZN7rocprim17ROCPRIM_400000_NS6detail17trampoline_kernelINS0_13select_configILj256ELj13ELNS0_17block_load_methodE3ELS4_3ELS4_3ELNS0_20block_scan_algorithmE0ELj4294967295EEENS1_25partition_config_selectorILNS1_17partition_subalgoE4EjNS0_10empty_typeEbEEZZNS1_14partition_implILS8_4ELb0ES6_15HIP_vector_typeIjLj2EENS0_17counting_iteratorIjlEEPS9_SG_NS0_5tupleIJPjSI_NS0_16reverse_iteratorISI_EEEEENSH_IJSG_SG_SG_EEES9_SI_JZNS1_25segmented_radix_sort_implINS0_14default_configELb0EPKaPaPKlPlN2at6native12_GLOBAL__N_18offset_tEEE10hipError_tPvRmT1_PNSt15iterator_traitsIS12_E10value_typeET2_T3_PNS13_IS18_E10value_typeET4_jRbjT5_S1E_jjP12ihipStream_tbEUljE_ZNSN_ISO_Lb0ESQ_SR_ST_SU_SY_EESZ_S10_S11_S12_S16_S17_S18_S1B_S1C_jS1D_jS1E_S1E_jjS1G_bEUljE0_EEESZ_S10_S11_S18_S1C_S1E_T6_T7_T9_mT8_S1G_bDpT10_ENKUlT_T0_E_clISt17integral_constantIbLb1EES1T_IbLb0EEEEDaS1P_S1Q_EUlS1P_E_NS1_11comp_targetILNS1_3genE8ELNS1_11target_archE1030ELNS1_3gpuE2ELNS1_3repE0EEENS1_30default_config_static_selectorELNS0_4arch9wavefront6targetE0EEEvS12_, .Lfunc_end352-_ZN7rocprim17ROCPRIM_400000_NS6detail17trampoline_kernelINS0_13select_configILj256ELj13ELNS0_17block_load_methodE3ELS4_3ELS4_3ELNS0_20block_scan_algorithmE0ELj4294967295EEENS1_25partition_config_selectorILNS1_17partition_subalgoE4EjNS0_10empty_typeEbEEZZNS1_14partition_implILS8_4ELb0ES6_15HIP_vector_typeIjLj2EENS0_17counting_iteratorIjlEEPS9_SG_NS0_5tupleIJPjSI_NS0_16reverse_iteratorISI_EEEEENSH_IJSG_SG_SG_EEES9_SI_JZNS1_25segmented_radix_sort_implINS0_14default_configELb0EPKaPaPKlPlN2at6native12_GLOBAL__N_18offset_tEEE10hipError_tPvRmT1_PNSt15iterator_traitsIS12_E10value_typeET2_T3_PNS13_IS18_E10value_typeET4_jRbjT5_S1E_jjP12ihipStream_tbEUljE_ZNSN_ISO_Lb0ESQ_SR_ST_SU_SY_EESZ_S10_S11_S12_S16_S17_S18_S1B_S1C_jS1D_jS1E_S1E_jjS1G_bEUljE0_EEESZ_S10_S11_S18_S1C_S1E_T6_T7_T9_mT8_S1G_bDpT10_ENKUlT_T0_E_clISt17integral_constantIbLb1EES1T_IbLb0EEEEDaS1P_S1Q_EUlS1P_E_NS1_11comp_targetILNS1_3genE8ELNS1_11target_archE1030ELNS1_3gpuE2ELNS1_3repE0EEENS1_30default_config_static_selectorELNS0_4arch9wavefront6targetE0EEEvS12_
                                        ; -- End function
	.set _ZN7rocprim17ROCPRIM_400000_NS6detail17trampoline_kernelINS0_13select_configILj256ELj13ELNS0_17block_load_methodE3ELS4_3ELS4_3ELNS0_20block_scan_algorithmE0ELj4294967295EEENS1_25partition_config_selectorILNS1_17partition_subalgoE4EjNS0_10empty_typeEbEEZZNS1_14partition_implILS8_4ELb0ES6_15HIP_vector_typeIjLj2EENS0_17counting_iteratorIjlEEPS9_SG_NS0_5tupleIJPjSI_NS0_16reverse_iteratorISI_EEEEENSH_IJSG_SG_SG_EEES9_SI_JZNS1_25segmented_radix_sort_implINS0_14default_configELb0EPKaPaPKlPlN2at6native12_GLOBAL__N_18offset_tEEE10hipError_tPvRmT1_PNSt15iterator_traitsIS12_E10value_typeET2_T3_PNS13_IS18_E10value_typeET4_jRbjT5_S1E_jjP12ihipStream_tbEUljE_ZNSN_ISO_Lb0ESQ_SR_ST_SU_SY_EESZ_S10_S11_S12_S16_S17_S18_S1B_S1C_jS1D_jS1E_S1E_jjS1G_bEUljE0_EEESZ_S10_S11_S18_S1C_S1E_T6_T7_T9_mT8_S1G_bDpT10_ENKUlT_T0_E_clISt17integral_constantIbLb1EES1T_IbLb0EEEEDaS1P_S1Q_EUlS1P_E_NS1_11comp_targetILNS1_3genE8ELNS1_11target_archE1030ELNS1_3gpuE2ELNS1_3repE0EEENS1_30default_config_static_selectorELNS0_4arch9wavefront6targetE0EEEvS12_.num_vgpr, 0
	.set _ZN7rocprim17ROCPRIM_400000_NS6detail17trampoline_kernelINS0_13select_configILj256ELj13ELNS0_17block_load_methodE3ELS4_3ELS4_3ELNS0_20block_scan_algorithmE0ELj4294967295EEENS1_25partition_config_selectorILNS1_17partition_subalgoE4EjNS0_10empty_typeEbEEZZNS1_14partition_implILS8_4ELb0ES6_15HIP_vector_typeIjLj2EENS0_17counting_iteratorIjlEEPS9_SG_NS0_5tupleIJPjSI_NS0_16reverse_iteratorISI_EEEEENSH_IJSG_SG_SG_EEES9_SI_JZNS1_25segmented_radix_sort_implINS0_14default_configELb0EPKaPaPKlPlN2at6native12_GLOBAL__N_18offset_tEEE10hipError_tPvRmT1_PNSt15iterator_traitsIS12_E10value_typeET2_T3_PNS13_IS18_E10value_typeET4_jRbjT5_S1E_jjP12ihipStream_tbEUljE_ZNSN_ISO_Lb0ESQ_SR_ST_SU_SY_EESZ_S10_S11_S12_S16_S17_S18_S1B_S1C_jS1D_jS1E_S1E_jjS1G_bEUljE0_EEESZ_S10_S11_S18_S1C_S1E_T6_T7_T9_mT8_S1G_bDpT10_ENKUlT_T0_E_clISt17integral_constantIbLb1EES1T_IbLb0EEEEDaS1P_S1Q_EUlS1P_E_NS1_11comp_targetILNS1_3genE8ELNS1_11target_archE1030ELNS1_3gpuE2ELNS1_3repE0EEENS1_30default_config_static_selectorELNS0_4arch9wavefront6targetE0EEEvS12_.num_agpr, 0
	.set _ZN7rocprim17ROCPRIM_400000_NS6detail17trampoline_kernelINS0_13select_configILj256ELj13ELNS0_17block_load_methodE3ELS4_3ELS4_3ELNS0_20block_scan_algorithmE0ELj4294967295EEENS1_25partition_config_selectorILNS1_17partition_subalgoE4EjNS0_10empty_typeEbEEZZNS1_14partition_implILS8_4ELb0ES6_15HIP_vector_typeIjLj2EENS0_17counting_iteratorIjlEEPS9_SG_NS0_5tupleIJPjSI_NS0_16reverse_iteratorISI_EEEEENSH_IJSG_SG_SG_EEES9_SI_JZNS1_25segmented_radix_sort_implINS0_14default_configELb0EPKaPaPKlPlN2at6native12_GLOBAL__N_18offset_tEEE10hipError_tPvRmT1_PNSt15iterator_traitsIS12_E10value_typeET2_T3_PNS13_IS18_E10value_typeET4_jRbjT5_S1E_jjP12ihipStream_tbEUljE_ZNSN_ISO_Lb0ESQ_SR_ST_SU_SY_EESZ_S10_S11_S12_S16_S17_S18_S1B_S1C_jS1D_jS1E_S1E_jjS1G_bEUljE0_EEESZ_S10_S11_S18_S1C_S1E_T6_T7_T9_mT8_S1G_bDpT10_ENKUlT_T0_E_clISt17integral_constantIbLb1EES1T_IbLb0EEEEDaS1P_S1Q_EUlS1P_E_NS1_11comp_targetILNS1_3genE8ELNS1_11target_archE1030ELNS1_3gpuE2ELNS1_3repE0EEENS1_30default_config_static_selectorELNS0_4arch9wavefront6targetE0EEEvS12_.numbered_sgpr, 0
	.set _ZN7rocprim17ROCPRIM_400000_NS6detail17trampoline_kernelINS0_13select_configILj256ELj13ELNS0_17block_load_methodE3ELS4_3ELS4_3ELNS0_20block_scan_algorithmE0ELj4294967295EEENS1_25partition_config_selectorILNS1_17partition_subalgoE4EjNS0_10empty_typeEbEEZZNS1_14partition_implILS8_4ELb0ES6_15HIP_vector_typeIjLj2EENS0_17counting_iteratorIjlEEPS9_SG_NS0_5tupleIJPjSI_NS0_16reverse_iteratorISI_EEEEENSH_IJSG_SG_SG_EEES9_SI_JZNS1_25segmented_radix_sort_implINS0_14default_configELb0EPKaPaPKlPlN2at6native12_GLOBAL__N_18offset_tEEE10hipError_tPvRmT1_PNSt15iterator_traitsIS12_E10value_typeET2_T3_PNS13_IS18_E10value_typeET4_jRbjT5_S1E_jjP12ihipStream_tbEUljE_ZNSN_ISO_Lb0ESQ_SR_ST_SU_SY_EESZ_S10_S11_S12_S16_S17_S18_S1B_S1C_jS1D_jS1E_S1E_jjS1G_bEUljE0_EEESZ_S10_S11_S18_S1C_S1E_T6_T7_T9_mT8_S1G_bDpT10_ENKUlT_T0_E_clISt17integral_constantIbLb1EES1T_IbLb0EEEEDaS1P_S1Q_EUlS1P_E_NS1_11comp_targetILNS1_3genE8ELNS1_11target_archE1030ELNS1_3gpuE2ELNS1_3repE0EEENS1_30default_config_static_selectorELNS0_4arch9wavefront6targetE0EEEvS12_.num_named_barrier, 0
	.set _ZN7rocprim17ROCPRIM_400000_NS6detail17trampoline_kernelINS0_13select_configILj256ELj13ELNS0_17block_load_methodE3ELS4_3ELS4_3ELNS0_20block_scan_algorithmE0ELj4294967295EEENS1_25partition_config_selectorILNS1_17partition_subalgoE4EjNS0_10empty_typeEbEEZZNS1_14partition_implILS8_4ELb0ES6_15HIP_vector_typeIjLj2EENS0_17counting_iteratorIjlEEPS9_SG_NS0_5tupleIJPjSI_NS0_16reverse_iteratorISI_EEEEENSH_IJSG_SG_SG_EEES9_SI_JZNS1_25segmented_radix_sort_implINS0_14default_configELb0EPKaPaPKlPlN2at6native12_GLOBAL__N_18offset_tEEE10hipError_tPvRmT1_PNSt15iterator_traitsIS12_E10value_typeET2_T3_PNS13_IS18_E10value_typeET4_jRbjT5_S1E_jjP12ihipStream_tbEUljE_ZNSN_ISO_Lb0ESQ_SR_ST_SU_SY_EESZ_S10_S11_S12_S16_S17_S18_S1B_S1C_jS1D_jS1E_S1E_jjS1G_bEUljE0_EEESZ_S10_S11_S18_S1C_S1E_T6_T7_T9_mT8_S1G_bDpT10_ENKUlT_T0_E_clISt17integral_constantIbLb1EES1T_IbLb0EEEEDaS1P_S1Q_EUlS1P_E_NS1_11comp_targetILNS1_3genE8ELNS1_11target_archE1030ELNS1_3gpuE2ELNS1_3repE0EEENS1_30default_config_static_selectorELNS0_4arch9wavefront6targetE0EEEvS12_.private_seg_size, 0
	.set _ZN7rocprim17ROCPRIM_400000_NS6detail17trampoline_kernelINS0_13select_configILj256ELj13ELNS0_17block_load_methodE3ELS4_3ELS4_3ELNS0_20block_scan_algorithmE0ELj4294967295EEENS1_25partition_config_selectorILNS1_17partition_subalgoE4EjNS0_10empty_typeEbEEZZNS1_14partition_implILS8_4ELb0ES6_15HIP_vector_typeIjLj2EENS0_17counting_iteratorIjlEEPS9_SG_NS0_5tupleIJPjSI_NS0_16reverse_iteratorISI_EEEEENSH_IJSG_SG_SG_EEES9_SI_JZNS1_25segmented_radix_sort_implINS0_14default_configELb0EPKaPaPKlPlN2at6native12_GLOBAL__N_18offset_tEEE10hipError_tPvRmT1_PNSt15iterator_traitsIS12_E10value_typeET2_T3_PNS13_IS18_E10value_typeET4_jRbjT5_S1E_jjP12ihipStream_tbEUljE_ZNSN_ISO_Lb0ESQ_SR_ST_SU_SY_EESZ_S10_S11_S12_S16_S17_S18_S1B_S1C_jS1D_jS1E_S1E_jjS1G_bEUljE0_EEESZ_S10_S11_S18_S1C_S1E_T6_T7_T9_mT8_S1G_bDpT10_ENKUlT_T0_E_clISt17integral_constantIbLb1EES1T_IbLb0EEEEDaS1P_S1Q_EUlS1P_E_NS1_11comp_targetILNS1_3genE8ELNS1_11target_archE1030ELNS1_3gpuE2ELNS1_3repE0EEENS1_30default_config_static_selectorELNS0_4arch9wavefront6targetE0EEEvS12_.uses_vcc, 0
	.set _ZN7rocprim17ROCPRIM_400000_NS6detail17trampoline_kernelINS0_13select_configILj256ELj13ELNS0_17block_load_methodE3ELS4_3ELS4_3ELNS0_20block_scan_algorithmE0ELj4294967295EEENS1_25partition_config_selectorILNS1_17partition_subalgoE4EjNS0_10empty_typeEbEEZZNS1_14partition_implILS8_4ELb0ES6_15HIP_vector_typeIjLj2EENS0_17counting_iteratorIjlEEPS9_SG_NS0_5tupleIJPjSI_NS0_16reverse_iteratorISI_EEEEENSH_IJSG_SG_SG_EEES9_SI_JZNS1_25segmented_radix_sort_implINS0_14default_configELb0EPKaPaPKlPlN2at6native12_GLOBAL__N_18offset_tEEE10hipError_tPvRmT1_PNSt15iterator_traitsIS12_E10value_typeET2_T3_PNS13_IS18_E10value_typeET4_jRbjT5_S1E_jjP12ihipStream_tbEUljE_ZNSN_ISO_Lb0ESQ_SR_ST_SU_SY_EESZ_S10_S11_S12_S16_S17_S18_S1B_S1C_jS1D_jS1E_S1E_jjS1G_bEUljE0_EEESZ_S10_S11_S18_S1C_S1E_T6_T7_T9_mT8_S1G_bDpT10_ENKUlT_T0_E_clISt17integral_constantIbLb1EES1T_IbLb0EEEEDaS1P_S1Q_EUlS1P_E_NS1_11comp_targetILNS1_3genE8ELNS1_11target_archE1030ELNS1_3gpuE2ELNS1_3repE0EEENS1_30default_config_static_selectorELNS0_4arch9wavefront6targetE0EEEvS12_.uses_flat_scratch, 0
	.set _ZN7rocprim17ROCPRIM_400000_NS6detail17trampoline_kernelINS0_13select_configILj256ELj13ELNS0_17block_load_methodE3ELS4_3ELS4_3ELNS0_20block_scan_algorithmE0ELj4294967295EEENS1_25partition_config_selectorILNS1_17partition_subalgoE4EjNS0_10empty_typeEbEEZZNS1_14partition_implILS8_4ELb0ES6_15HIP_vector_typeIjLj2EENS0_17counting_iteratorIjlEEPS9_SG_NS0_5tupleIJPjSI_NS0_16reverse_iteratorISI_EEEEENSH_IJSG_SG_SG_EEES9_SI_JZNS1_25segmented_radix_sort_implINS0_14default_configELb0EPKaPaPKlPlN2at6native12_GLOBAL__N_18offset_tEEE10hipError_tPvRmT1_PNSt15iterator_traitsIS12_E10value_typeET2_T3_PNS13_IS18_E10value_typeET4_jRbjT5_S1E_jjP12ihipStream_tbEUljE_ZNSN_ISO_Lb0ESQ_SR_ST_SU_SY_EESZ_S10_S11_S12_S16_S17_S18_S1B_S1C_jS1D_jS1E_S1E_jjS1G_bEUljE0_EEESZ_S10_S11_S18_S1C_S1E_T6_T7_T9_mT8_S1G_bDpT10_ENKUlT_T0_E_clISt17integral_constantIbLb1EES1T_IbLb0EEEEDaS1P_S1Q_EUlS1P_E_NS1_11comp_targetILNS1_3genE8ELNS1_11target_archE1030ELNS1_3gpuE2ELNS1_3repE0EEENS1_30default_config_static_selectorELNS0_4arch9wavefront6targetE0EEEvS12_.has_dyn_sized_stack, 0
	.set _ZN7rocprim17ROCPRIM_400000_NS6detail17trampoline_kernelINS0_13select_configILj256ELj13ELNS0_17block_load_methodE3ELS4_3ELS4_3ELNS0_20block_scan_algorithmE0ELj4294967295EEENS1_25partition_config_selectorILNS1_17partition_subalgoE4EjNS0_10empty_typeEbEEZZNS1_14partition_implILS8_4ELb0ES6_15HIP_vector_typeIjLj2EENS0_17counting_iteratorIjlEEPS9_SG_NS0_5tupleIJPjSI_NS0_16reverse_iteratorISI_EEEEENSH_IJSG_SG_SG_EEES9_SI_JZNS1_25segmented_radix_sort_implINS0_14default_configELb0EPKaPaPKlPlN2at6native12_GLOBAL__N_18offset_tEEE10hipError_tPvRmT1_PNSt15iterator_traitsIS12_E10value_typeET2_T3_PNS13_IS18_E10value_typeET4_jRbjT5_S1E_jjP12ihipStream_tbEUljE_ZNSN_ISO_Lb0ESQ_SR_ST_SU_SY_EESZ_S10_S11_S12_S16_S17_S18_S1B_S1C_jS1D_jS1E_S1E_jjS1G_bEUljE0_EEESZ_S10_S11_S18_S1C_S1E_T6_T7_T9_mT8_S1G_bDpT10_ENKUlT_T0_E_clISt17integral_constantIbLb1EES1T_IbLb0EEEEDaS1P_S1Q_EUlS1P_E_NS1_11comp_targetILNS1_3genE8ELNS1_11target_archE1030ELNS1_3gpuE2ELNS1_3repE0EEENS1_30default_config_static_selectorELNS0_4arch9wavefront6targetE0EEEvS12_.has_recursion, 0
	.set _ZN7rocprim17ROCPRIM_400000_NS6detail17trampoline_kernelINS0_13select_configILj256ELj13ELNS0_17block_load_methodE3ELS4_3ELS4_3ELNS0_20block_scan_algorithmE0ELj4294967295EEENS1_25partition_config_selectorILNS1_17partition_subalgoE4EjNS0_10empty_typeEbEEZZNS1_14partition_implILS8_4ELb0ES6_15HIP_vector_typeIjLj2EENS0_17counting_iteratorIjlEEPS9_SG_NS0_5tupleIJPjSI_NS0_16reverse_iteratorISI_EEEEENSH_IJSG_SG_SG_EEES9_SI_JZNS1_25segmented_radix_sort_implINS0_14default_configELb0EPKaPaPKlPlN2at6native12_GLOBAL__N_18offset_tEEE10hipError_tPvRmT1_PNSt15iterator_traitsIS12_E10value_typeET2_T3_PNS13_IS18_E10value_typeET4_jRbjT5_S1E_jjP12ihipStream_tbEUljE_ZNSN_ISO_Lb0ESQ_SR_ST_SU_SY_EESZ_S10_S11_S12_S16_S17_S18_S1B_S1C_jS1D_jS1E_S1E_jjS1G_bEUljE0_EEESZ_S10_S11_S18_S1C_S1E_T6_T7_T9_mT8_S1G_bDpT10_ENKUlT_T0_E_clISt17integral_constantIbLb1EES1T_IbLb0EEEEDaS1P_S1Q_EUlS1P_E_NS1_11comp_targetILNS1_3genE8ELNS1_11target_archE1030ELNS1_3gpuE2ELNS1_3repE0EEENS1_30default_config_static_selectorELNS0_4arch9wavefront6targetE0EEEvS12_.has_indirect_call, 0
	.section	.AMDGPU.csdata,"",@progbits
; Kernel info:
; codeLenInByte = 0
; TotalNumSgprs: 0
; NumVgprs: 0
; ScratchSize: 0
; MemoryBound: 0
; FloatMode: 240
; IeeeMode: 1
; LDSByteSize: 0 bytes/workgroup (compile time only)
; SGPRBlocks: 0
; VGPRBlocks: 0
; NumSGPRsForWavesPerEU: 1
; NumVGPRsForWavesPerEU: 1
; Occupancy: 16
; WaveLimiterHint : 0
; COMPUTE_PGM_RSRC2:SCRATCH_EN: 0
; COMPUTE_PGM_RSRC2:USER_SGPR: 2
; COMPUTE_PGM_RSRC2:TRAP_HANDLER: 0
; COMPUTE_PGM_RSRC2:TGID_X_EN: 1
; COMPUTE_PGM_RSRC2:TGID_Y_EN: 0
; COMPUTE_PGM_RSRC2:TGID_Z_EN: 0
; COMPUTE_PGM_RSRC2:TIDIG_COMP_CNT: 0
	.section	.text._ZN7rocprim17ROCPRIM_400000_NS6detail17trampoline_kernelINS0_13select_configILj256ELj13ELNS0_17block_load_methodE3ELS4_3ELS4_3ELNS0_20block_scan_algorithmE0ELj4294967295EEENS1_25partition_config_selectorILNS1_17partition_subalgoE4EjNS0_10empty_typeEbEEZZNS1_14partition_implILS8_4ELb0ES6_15HIP_vector_typeIjLj2EENS0_17counting_iteratorIjlEEPS9_SG_NS0_5tupleIJPjSI_NS0_16reverse_iteratorISI_EEEEENSH_IJSG_SG_SG_EEES9_SI_JZNS1_25segmented_radix_sort_implINS0_14default_configELb0EPKaPaPKlPlN2at6native12_GLOBAL__N_18offset_tEEE10hipError_tPvRmT1_PNSt15iterator_traitsIS12_E10value_typeET2_T3_PNS13_IS18_E10value_typeET4_jRbjT5_S1E_jjP12ihipStream_tbEUljE_ZNSN_ISO_Lb0ESQ_SR_ST_SU_SY_EESZ_S10_S11_S12_S16_S17_S18_S1B_S1C_jS1D_jS1E_S1E_jjS1G_bEUljE0_EEESZ_S10_S11_S18_S1C_S1E_T6_T7_T9_mT8_S1G_bDpT10_ENKUlT_T0_E_clISt17integral_constantIbLb0EES1T_IbLb1EEEEDaS1P_S1Q_EUlS1P_E_NS1_11comp_targetILNS1_3genE0ELNS1_11target_archE4294967295ELNS1_3gpuE0ELNS1_3repE0EEENS1_30default_config_static_selectorELNS0_4arch9wavefront6targetE0EEEvS12_,"axG",@progbits,_ZN7rocprim17ROCPRIM_400000_NS6detail17trampoline_kernelINS0_13select_configILj256ELj13ELNS0_17block_load_methodE3ELS4_3ELS4_3ELNS0_20block_scan_algorithmE0ELj4294967295EEENS1_25partition_config_selectorILNS1_17partition_subalgoE4EjNS0_10empty_typeEbEEZZNS1_14partition_implILS8_4ELb0ES6_15HIP_vector_typeIjLj2EENS0_17counting_iteratorIjlEEPS9_SG_NS0_5tupleIJPjSI_NS0_16reverse_iteratorISI_EEEEENSH_IJSG_SG_SG_EEES9_SI_JZNS1_25segmented_radix_sort_implINS0_14default_configELb0EPKaPaPKlPlN2at6native12_GLOBAL__N_18offset_tEEE10hipError_tPvRmT1_PNSt15iterator_traitsIS12_E10value_typeET2_T3_PNS13_IS18_E10value_typeET4_jRbjT5_S1E_jjP12ihipStream_tbEUljE_ZNSN_ISO_Lb0ESQ_SR_ST_SU_SY_EESZ_S10_S11_S12_S16_S17_S18_S1B_S1C_jS1D_jS1E_S1E_jjS1G_bEUljE0_EEESZ_S10_S11_S18_S1C_S1E_T6_T7_T9_mT8_S1G_bDpT10_ENKUlT_T0_E_clISt17integral_constantIbLb0EES1T_IbLb1EEEEDaS1P_S1Q_EUlS1P_E_NS1_11comp_targetILNS1_3genE0ELNS1_11target_archE4294967295ELNS1_3gpuE0ELNS1_3repE0EEENS1_30default_config_static_selectorELNS0_4arch9wavefront6targetE0EEEvS12_,comdat
	.globl	_ZN7rocprim17ROCPRIM_400000_NS6detail17trampoline_kernelINS0_13select_configILj256ELj13ELNS0_17block_load_methodE3ELS4_3ELS4_3ELNS0_20block_scan_algorithmE0ELj4294967295EEENS1_25partition_config_selectorILNS1_17partition_subalgoE4EjNS0_10empty_typeEbEEZZNS1_14partition_implILS8_4ELb0ES6_15HIP_vector_typeIjLj2EENS0_17counting_iteratorIjlEEPS9_SG_NS0_5tupleIJPjSI_NS0_16reverse_iteratorISI_EEEEENSH_IJSG_SG_SG_EEES9_SI_JZNS1_25segmented_radix_sort_implINS0_14default_configELb0EPKaPaPKlPlN2at6native12_GLOBAL__N_18offset_tEEE10hipError_tPvRmT1_PNSt15iterator_traitsIS12_E10value_typeET2_T3_PNS13_IS18_E10value_typeET4_jRbjT5_S1E_jjP12ihipStream_tbEUljE_ZNSN_ISO_Lb0ESQ_SR_ST_SU_SY_EESZ_S10_S11_S12_S16_S17_S18_S1B_S1C_jS1D_jS1E_S1E_jjS1G_bEUljE0_EEESZ_S10_S11_S18_S1C_S1E_T6_T7_T9_mT8_S1G_bDpT10_ENKUlT_T0_E_clISt17integral_constantIbLb0EES1T_IbLb1EEEEDaS1P_S1Q_EUlS1P_E_NS1_11comp_targetILNS1_3genE0ELNS1_11target_archE4294967295ELNS1_3gpuE0ELNS1_3repE0EEENS1_30default_config_static_selectorELNS0_4arch9wavefront6targetE0EEEvS12_ ; -- Begin function _ZN7rocprim17ROCPRIM_400000_NS6detail17trampoline_kernelINS0_13select_configILj256ELj13ELNS0_17block_load_methodE3ELS4_3ELS4_3ELNS0_20block_scan_algorithmE0ELj4294967295EEENS1_25partition_config_selectorILNS1_17partition_subalgoE4EjNS0_10empty_typeEbEEZZNS1_14partition_implILS8_4ELb0ES6_15HIP_vector_typeIjLj2EENS0_17counting_iteratorIjlEEPS9_SG_NS0_5tupleIJPjSI_NS0_16reverse_iteratorISI_EEEEENSH_IJSG_SG_SG_EEES9_SI_JZNS1_25segmented_radix_sort_implINS0_14default_configELb0EPKaPaPKlPlN2at6native12_GLOBAL__N_18offset_tEEE10hipError_tPvRmT1_PNSt15iterator_traitsIS12_E10value_typeET2_T3_PNS13_IS18_E10value_typeET4_jRbjT5_S1E_jjP12ihipStream_tbEUljE_ZNSN_ISO_Lb0ESQ_SR_ST_SU_SY_EESZ_S10_S11_S12_S16_S17_S18_S1B_S1C_jS1D_jS1E_S1E_jjS1G_bEUljE0_EEESZ_S10_S11_S18_S1C_S1E_T6_T7_T9_mT8_S1G_bDpT10_ENKUlT_T0_E_clISt17integral_constantIbLb0EES1T_IbLb1EEEEDaS1P_S1Q_EUlS1P_E_NS1_11comp_targetILNS1_3genE0ELNS1_11target_archE4294967295ELNS1_3gpuE0ELNS1_3repE0EEENS1_30default_config_static_selectorELNS0_4arch9wavefront6targetE0EEEvS12_
	.p2align	8
	.type	_ZN7rocprim17ROCPRIM_400000_NS6detail17trampoline_kernelINS0_13select_configILj256ELj13ELNS0_17block_load_methodE3ELS4_3ELS4_3ELNS0_20block_scan_algorithmE0ELj4294967295EEENS1_25partition_config_selectorILNS1_17partition_subalgoE4EjNS0_10empty_typeEbEEZZNS1_14partition_implILS8_4ELb0ES6_15HIP_vector_typeIjLj2EENS0_17counting_iteratorIjlEEPS9_SG_NS0_5tupleIJPjSI_NS0_16reverse_iteratorISI_EEEEENSH_IJSG_SG_SG_EEES9_SI_JZNS1_25segmented_radix_sort_implINS0_14default_configELb0EPKaPaPKlPlN2at6native12_GLOBAL__N_18offset_tEEE10hipError_tPvRmT1_PNSt15iterator_traitsIS12_E10value_typeET2_T3_PNS13_IS18_E10value_typeET4_jRbjT5_S1E_jjP12ihipStream_tbEUljE_ZNSN_ISO_Lb0ESQ_SR_ST_SU_SY_EESZ_S10_S11_S12_S16_S17_S18_S1B_S1C_jS1D_jS1E_S1E_jjS1G_bEUljE0_EEESZ_S10_S11_S18_S1C_S1E_T6_T7_T9_mT8_S1G_bDpT10_ENKUlT_T0_E_clISt17integral_constantIbLb0EES1T_IbLb1EEEEDaS1P_S1Q_EUlS1P_E_NS1_11comp_targetILNS1_3genE0ELNS1_11target_archE4294967295ELNS1_3gpuE0ELNS1_3repE0EEENS1_30default_config_static_selectorELNS0_4arch9wavefront6targetE0EEEvS12_,@function
_ZN7rocprim17ROCPRIM_400000_NS6detail17trampoline_kernelINS0_13select_configILj256ELj13ELNS0_17block_load_methodE3ELS4_3ELS4_3ELNS0_20block_scan_algorithmE0ELj4294967295EEENS1_25partition_config_selectorILNS1_17partition_subalgoE4EjNS0_10empty_typeEbEEZZNS1_14partition_implILS8_4ELb0ES6_15HIP_vector_typeIjLj2EENS0_17counting_iteratorIjlEEPS9_SG_NS0_5tupleIJPjSI_NS0_16reverse_iteratorISI_EEEEENSH_IJSG_SG_SG_EEES9_SI_JZNS1_25segmented_radix_sort_implINS0_14default_configELb0EPKaPaPKlPlN2at6native12_GLOBAL__N_18offset_tEEE10hipError_tPvRmT1_PNSt15iterator_traitsIS12_E10value_typeET2_T3_PNS13_IS18_E10value_typeET4_jRbjT5_S1E_jjP12ihipStream_tbEUljE_ZNSN_ISO_Lb0ESQ_SR_ST_SU_SY_EESZ_S10_S11_S12_S16_S17_S18_S1B_S1C_jS1D_jS1E_S1E_jjS1G_bEUljE0_EEESZ_S10_S11_S18_S1C_S1E_T6_T7_T9_mT8_S1G_bDpT10_ENKUlT_T0_E_clISt17integral_constantIbLb0EES1T_IbLb1EEEEDaS1P_S1Q_EUlS1P_E_NS1_11comp_targetILNS1_3genE0ELNS1_11target_archE4294967295ELNS1_3gpuE0ELNS1_3repE0EEENS1_30default_config_static_selectorELNS0_4arch9wavefront6targetE0EEEvS12_: ; @_ZN7rocprim17ROCPRIM_400000_NS6detail17trampoline_kernelINS0_13select_configILj256ELj13ELNS0_17block_load_methodE3ELS4_3ELS4_3ELNS0_20block_scan_algorithmE0ELj4294967295EEENS1_25partition_config_selectorILNS1_17partition_subalgoE4EjNS0_10empty_typeEbEEZZNS1_14partition_implILS8_4ELb0ES6_15HIP_vector_typeIjLj2EENS0_17counting_iteratorIjlEEPS9_SG_NS0_5tupleIJPjSI_NS0_16reverse_iteratorISI_EEEEENSH_IJSG_SG_SG_EEES9_SI_JZNS1_25segmented_radix_sort_implINS0_14default_configELb0EPKaPaPKlPlN2at6native12_GLOBAL__N_18offset_tEEE10hipError_tPvRmT1_PNSt15iterator_traitsIS12_E10value_typeET2_T3_PNS13_IS18_E10value_typeET4_jRbjT5_S1E_jjP12ihipStream_tbEUljE_ZNSN_ISO_Lb0ESQ_SR_ST_SU_SY_EESZ_S10_S11_S12_S16_S17_S18_S1B_S1C_jS1D_jS1E_S1E_jjS1G_bEUljE0_EEESZ_S10_S11_S18_S1C_S1E_T6_T7_T9_mT8_S1G_bDpT10_ENKUlT_T0_E_clISt17integral_constantIbLb0EES1T_IbLb1EEEEDaS1P_S1Q_EUlS1P_E_NS1_11comp_targetILNS1_3genE0ELNS1_11target_archE4294967295ELNS1_3gpuE0ELNS1_3repE0EEENS1_30default_config_static_selectorELNS0_4arch9wavefront6targetE0EEEvS12_
; %bb.0:
	.section	.rodata,"a",@progbits
	.p2align	6, 0x0
	.amdhsa_kernel _ZN7rocprim17ROCPRIM_400000_NS6detail17trampoline_kernelINS0_13select_configILj256ELj13ELNS0_17block_load_methodE3ELS4_3ELS4_3ELNS0_20block_scan_algorithmE0ELj4294967295EEENS1_25partition_config_selectorILNS1_17partition_subalgoE4EjNS0_10empty_typeEbEEZZNS1_14partition_implILS8_4ELb0ES6_15HIP_vector_typeIjLj2EENS0_17counting_iteratorIjlEEPS9_SG_NS0_5tupleIJPjSI_NS0_16reverse_iteratorISI_EEEEENSH_IJSG_SG_SG_EEES9_SI_JZNS1_25segmented_radix_sort_implINS0_14default_configELb0EPKaPaPKlPlN2at6native12_GLOBAL__N_18offset_tEEE10hipError_tPvRmT1_PNSt15iterator_traitsIS12_E10value_typeET2_T3_PNS13_IS18_E10value_typeET4_jRbjT5_S1E_jjP12ihipStream_tbEUljE_ZNSN_ISO_Lb0ESQ_SR_ST_SU_SY_EESZ_S10_S11_S12_S16_S17_S18_S1B_S1C_jS1D_jS1E_S1E_jjS1G_bEUljE0_EEESZ_S10_S11_S18_S1C_S1E_T6_T7_T9_mT8_S1G_bDpT10_ENKUlT_T0_E_clISt17integral_constantIbLb0EES1T_IbLb1EEEEDaS1P_S1Q_EUlS1P_E_NS1_11comp_targetILNS1_3genE0ELNS1_11target_archE4294967295ELNS1_3gpuE0ELNS1_3repE0EEENS1_30default_config_static_selectorELNS0_4arch9wavefront6targetE0EEEvS12_
		.amdhsa_group_segment_fixed_size 0
		.amdhsa_private_segment_fixed_size 0
		.amdhsa_kernarg_size 184
		.amdhsa_user_sgpr_count 2
		.amdhsa_user_sgpr_dispatch_ptr 0
		.amdhsa_user_sgpr_queue_ptr 0
		.amdhsa_user_sgpr_kernarg_segment_ptr 1
		.amdhsa_user_sgpr_dispatch_id 0
		.amdhsa_user_sgpr_private_segment_size 0
		.amdhsa_wavefront_size32 1
		.amdhsa_uses_dynamic_stack 0
		.amdhsa_enable_private_segment 0
		.amdhsa_system_sgpr_workgroup_id_x 1
		.amdhsa_system_sgpr_workgroup_id_y 0
		.amdhsa_system_sgpr_workgroup_id_z 0
		.amdhsa_system_sgpr_workgroup_info 0
		.amdhsa_system_vgpr_workitem_id 0
		.amdhsa_next_free_vgpr 1
		.amdhsa_next_free_sgpr 1
		.amdhsa_reserve_vcc 0
		.amdhsa_float_round_mode_32 0
		.amdhsa_float_round_mode_16_64 0
		.amdhsa_float_denorm_mode_32 3
		.amdhsa_float_denorm_mode_16_64 3
		.amdhsa_fp16_overflow 0
		.amdhsa_workgroup_processor_mode 1
		.amdhsa_memory_ordered 1
		.amdhsa_forward_progress 1
		.amdhsa_inst_pref_size 0
		.amdhsa_round_robin_scheduling 0
		.amdhsa_exception_fp_ieee_invalid_op 0
		.amdhsa_exception_fp_denorm_src 0
		.amdhsa_exception_fp_ieee_div_zero 0
		.amdhsa_exception_fp_ieee_overflow 0
		.amdhsa_exception_fp_ieee_underflow 0
		.amdhsa_exception_fp_ieee_inexact 0
		.amdhsa_exception_int_div_zero 0
	.end_amdhsa_kernel
	.section	.text._ZN7rocprim17ROCPRIM_400000_NS6detail17trampoline_kernelINS0_13select_configILj256ELj13ELNS0_17block_load_methodE3ELS4_3ELS4_3ELNS0_20block_scan_algorithmE0ELj4294967295EEENS1_25partition_config_selectorILNS1_17partition_subalgoE4EjNS0_10empty_typeEbEEZZNS1_14partition_implILS8_4ELb0ES6_15HIP_vector_typeIjLj2EENS0_17counting_iteratorIjlEEPS9_SG_NS0_5tupleIJPjSI_NS0_16reverse_iteratorISI_EEEEENSH_IJSG_SG_SG_EEES9_SI_JZNS1_25segmented_radix_sort_implINS0_14default_configELb0EPKaPaPKlPlN2at6native12_GLOBAL__N_18offset_tEEE10hipError_tPvRmT1_PNSt15iterator_traitsIS12_E10value_typeET2_T3_PNS13_IS18_E10value_typeET4_jRbjT5_S1E_jjP12ihipStream_tbEUljE_ZNSN_ISO_Lb0ESQ_SR_ST_SU_SY_EESZ_S10_S11_S12_S16_S17_S18_S1B_S1C_jS1D_jS1E_S1E_jjS1G_bEUljE0_EEESZ_S10_S11_S18_S1C_S1E_T6_T7_T9_mT8_S1G_bDpT10_ENKUlT_T0_E_clISt17integral_constantIbLb0EES1T_IbLb1EEEEDaS1P_S1Q_EUlS1P_E_NS1_11comp_targetILNS1_3genE0ELNS1_11target_archE4294967295ELNS1_3gpuE0ELNS1_3repE0EEENS1_30default_config_static_selectorELNS0_4arch9wavefront6targetE0EEEvS12_,"axG",@progbits,_ZN7rocprim17ROCPRIM_400000_NS6detail17trampoline_kernelINS0_13select_configILj256ELj13ELNS0_17block_load_methodE3ELS4_3ELS4_3ELNS0_20block_scan_algorithmE0ELj4294967295EEENS1_25partition_config_selectorILNS1_17partition_subalgoE4EjNS0_10empty_typeEbEEZZNS1_14partition_implILS8_4ELb0ES6_15HIP_vector_typeIjLj2EENS0_17counting_iteratorIjlEEPS9_SG_NS0_5tupleIJPjSI_NS0_16reverse_iteratorISI_EEEEENSH_IJSG_SG_SG_EEES9_SI_JZNS1_25segmented_radix_sort_implINS0_14default_configELb0EPKaPaPKlPlN2at6native12_GLOBAL__N_18offset_tEEE10hipError_tPvRmT1_PNSt15iterator_traitsIS12_E10value_typeET2_T3_PNS13_IS18_E10value_typeET4_jRbjT5_S1E_jjP12ihipStream_tbEUljE_ZNSN_ISO_Lb0ESQ_SR_ST_SU_SY_EESZ_S10_S11_S12_S16_S17_S18_S1B_S1C_jS1D_jS1E_S1E_jjS1G_bEUljE0_EEESZ_S10_S11_S18_S1C_S1E_T6_T7_T9_mT8_S1G_bDpT10_ENKUlT_T0_E_clISt17integral_constantIbLb0EES1T_IbLb1EEEEDaS1P_S1Q_EUlS1P_E_NS1_11comp_targetILNS1_3genE0ELNS1_11target_archE4294967295ELNS1_3gpuE0ELNS1_3repE0EEENS1_30default_config_static_selectorELNS0_4arch9wavefront6targetE0EEEvS12_,comdat
.Lfunc_end353:
	.size	_ZN7rocprim17ROCPRIM_400000_NS6detail17trampoline_kernelINS0_13select_configILj256ELj13ELNS0_17block_load_methodE3ELS4_3ELS4_3ELNS0_20block_scan_algorithmE0ELj4294967295EEENS1_25partition_config_selectorILNS1_17partition_subalgoE4EjNS0_10empty_typeEbEEZZNS1_14partition_implILS8_4ELb0ES6_15HIP_vector_typeIjLj2EENS0_17counting_iteratorIjlEEPS9_SG_NS0_5tupleIJPjSI_NS0_16reverse_iteratorISI_EEEEENSH_IJSG_SG_SG_EEES9_SI_JZNS1_25segmented_radix_sort_implINS0_14default_configELb0EPKaPaPKlPlN2at6native12_GLOBAL__N_18offset_tEEE10hipError_tPvRmT1_PNSt15iterator_traitsIS12_E10value_typeET2_T3_PNS13_IS18_E10value_typeET4_jRbjT5_S1E_jjP12ihipStream_tbEUljE_ZNSN_ISO_Lb0ESQ_SR_ST_SU_SY_EESZ_S10_S11_S12_S16_S17_S18_S1B_S1C_jS1D_jS1E_S1E_jjS1G_bEUljE0_EEESZ_S10_S11_S18_S1C_S1E_T6_T7_T9_mT8_S1G_bDpT10_ENKUlT_T0_E_clISt17integral_constantIbLb0EES1T_IbLb1EEEEDaS1P_S1Q_EUlS1P_E_NS1_11comp_targetILNS1_3genE0ELNS1_11target_archE4294967295ELNS1_3gpuE0ELNS1_3repE0EEENS1_30default_config_static_selectorELNS0_4arch9wavefront6targetE0EEEvS12_, .Lfunc_end353-_ZN7rocprim17ROCPRIM_400000_NS6detail17trampoline_kernelINS0_13select_configILj256ELj13ELNS0_17block_load_methodE3ELS4_3ELS4_3ELNS0_20block_scan_algorithmE0ELj4294967295EEENS1_25partition_config_selectorILNS1_17partition_subalgoE4EjNS0_10empty_typeEbEEZZNS1_14partition_implILS8_4ELb0ES6_15HIP_vector_typeIjLj2EENS0_17counting_iteratorIjlEEPS9_SG_NS0_5tupleIJPjSI_NS0_16reverse_iteratorISI_EEEEENSH_IJSG_SG_SG_EEES9_SI_JZNS1_25segmented_radix_sort_implINS0_14default_configELb0EPKaPaPKlPlN2at6native12_GLOBAL__N_18offset_tEEE10hipError_tPvRmT1_PNSt15iterator_traitsIS12_E10value_typeET2_T3_PNS13_IS18_E10value_typeET4_jRbjT5_S1E_jjP12ihipStream_tbEUljE_ZNSN_ISO_Lb0ESQ_SR_ST_SU_SY_EESZ_S10_S11_S12_S16_S17_S18_S1B_S1C_jS1D_jS1E_S1E_jjS1G_bEUljE0_EEESZ_S10_S11_S18_S1C_S1E_T6_T7_T9_mT8_S1G_bDpT10_ENKUlT_T0_E_clISt17integral_constantIbLb0EES1T_IbLb1EEEEDaS1P_S1Q_EUlS1P_E_NS1_11comp_targetILNS1_3genE0ELNS1_11target_archE4294967295ELNS1_3gpuE0ELNS1_3repE0EEENS1_30default_config_static_selectorELNS0_4arch9wavefront6targetE0EEEvS12_
                                        ; -- End function
	.set _ZN7rocprim17ROCPRIM_400000_NS6detail17trampoline_kernelINS0_13select_configILj256ELj13ELNS0_17block_load_methodE3ELS4_3ELS4_3ELNS0_20block_scan_algorithmE0ELj4294967295EEENS1_25partition_config_selectorILNS1_17partition_subalgoE4EjNS0_10empty_typeEbEEZZNS1_14partition_implILS8_4ELb0ES6_15HIP_vector_typeIjLj2EENS0_17counting_iteratorIjlEEPS9_SG_NS0_5tupleIJPjSI_NS0_16reverse_iteratorISI_EEEEENSH_IJSG_SG_SG_EEES9_SI_JZNS1_25segmented_radix_sort_implINS0_14default_configELb0EPKaPaPKlPlN2at6native12_GLOBAL__N_18offset_tEEE10hipError_tPvRmT1_PNSt15iterator_traitsIS12_E10value_typeET2_T3_PNS13_IS18_E10value_typeET4_jRbjT5_S1E_jjP12ihipStream_tbEUljE_ZNSN_ISO_Lb0ESQ_SR_ST_SU_SY_EESZ_S10_S11_S12_S16_S17_S18_S1B_S1C_jS1D_jS1E_S1E_jjS1G_bEUljE0_EEESZ_S10_S11_S18_S1C_S1E_T6_T7_T9_mT8_S1G_bDpT10_ENKUlT_T0_E_clISt17integral_constantIbLb0EES1T_IbLb1EEEEDaS1P_S1Q_EUlS1P_E_NS1_11comp_targetILNS1_3genE0ELNS1_11target_archE4294967295ELNS1_3gpuE0ELNS1_3repE0EEENS1_30default_config_static_selectorELNS0_4arch9wavefront6targetE0EEEvS12_.num_vgpr, 0
	.set _ZN7rocprim17ROCPRIM_400000_NS6detail17trampoline_kernelINS0_13select_configILj256ELj13ELNS0_17block_load_methodE3ELS4_3ELS4_3ELNS0_20block_scan_algorithmE0ELj4294967295EEENS1_25partition_config_selectorILNS1_17partition_subalgoE4EjNS0_10empty_typeEbEEZZNS1_14partition_implILS8_4ELb0ES6_15HIP_vector_typeIjLj2EENS0_17counting_iteratorIjlEEPS9_SG_NS0_5tupleIJPjSI_NS0_16reverse_iteratorISI_EEEEENSH_IJSG_SG_SG_EEES9_SI_JZNS1_25segmented_radix_sort_implINS0_14default_configELb0EPKaPaPKlPlN2at6native12_GLOBAL__N_18offset_tEEE10hipError_tPvRmT1_PNSt15iterator_traitsIS12_E10value_typeET2_T3_PNS13_IS18_E10value_typeET4_jRbjT5_S1E_jjP12ihipStream_tbEUljE_ZNSN_ISO_Lb0ESQ_SR_ST_SU_SY_EESZ_S10_S11_S12_S16_S17_S18_S1B_S1C_jS1D_jS1E_S1E_jjS1G_bEUljE0_EEESZ_S10_S11_S18_S1C_S1E_T6_T7_T9_mT8_S1G_bDpT10_ENKUlT_T0_E_clISt17integral_constantIbLb0EES1T_IbLb1EEEEDaS1P_S1Q_EUlS1P_E_NS1_11comp_targetILNS1_3genE0ELNS1_11target_archE4294967295ELNS1_3gpuE0ELNS1_3repE0EEENS1_30default_config_static_selectorELNS0_4arch9wavefront6targetE0EEEvS12_.num_agpr, 0
	.set _ZN7rocprim17ROCPRIM_400000_NS6detail17trampoline_kernelINS0_13select_configILj256ELj13ELNS0_17block_load_methodE3ELS4_3ELS4_3ELNS0_20block_scan_algorithmE0ELj4294967295EEENS1_25partition_config_selectorILNS1_17partition_subalgoE4EjNS0_10empty_typeEbEEZZNS1_14partition_implILS8_4ELb0ES6_15HIP_vector_typeIjLj2EENS0_17counting_iteratorIjlEEPS9_SG_NS0_5tupleIJPjSI_NS0_16reverse_iteratorISI_EEEEENSH_IJSG_SG_SG_EEES9_SI_JZNS1_25segmented_radix_sort_implINS0_14default_configELb0EPKaPaPKlPlN2at6native12_GLOBAL__N_18offset_tEEE10hipError_tPvRmT1_PNSt15iterator_traitsIS12_E10value_typeET2_T3_PNS13_IS18_E10value_typeET4_jRbjT5_S1E_jjP12ihipStream_tbEUljE_ZNSN_ISO_Lb0ESQ_SR_ST_SU_SY_EESZ_S10_S11_S12_S16_S17_S18_S1B_S1C_jS1D_jS1E_S1E_jjS1G_bEUljE0_EEESZ_S10_S11_S18_S1C_S1E_T6_T7_T9_mT8_S1G_bDpT10_ENKUlT_T0_E_clISt17integral_constantIbLb0EES1T_IbLb1EEEEDaS1P_S1Q_EUlS1P_E_NS1_11comp_targetILNS1_3genE0ELNS1_11target_archE4294967295ELNS1_3gpuE0ELNS1_3repE0EEENS1_30default_config_static_selectorELNS0_4arch9wavefront6targetE0EEEvS12_.numbered_sgpr, 0
	.set _ZN7rocprim17ROCPRIM_400000_NS6detail17trampoline_kernelINS0_13select_configILj256ELj13ELNS0_17block_load_methodE3ELS4_3ELS4_3ELNS0_20block_scan_algorithmE0ELj4294967295EEENS1_25partition_config_selectorILNS1_17partition_subalgoE4EjNS0_10empty_typeEbEEZZNS1_14partition_implILS8_4ELb0ES6_15HIP_vector_typeIjLj2EENS0_17counting_iteratorIjlEEPS9_SG_NS0_5tupleIJPjSI_NS0_16reverse_iteratorISI_EEEEENSH_IJSG_SG_SG_EEES9_SI_JZNS1_25segmented_radix_sort_implINS0_14default_configELb0EPKaPaPKlPlN2at6native12_GLOBAL__N_18offset_tEEE10hipError_tPvRmT1_PNSt15iterator_traitsIS12_E10value_typeET2_T3_PNS13_IS18_E10value_typeET4_jRbjT5_S1E_jjP12ihipStream_tbEUljE_ZNSN_ISO_Lb0ESQ_SR_ST_SU_SY_EESZ_S10_S11_S12_S16_S17_S18_S1B_S1C_jS1D_jS1E_S1E_jjS1G_bEUljE0_EEESZ_S10_S11_S18_S1C_S1E_T6_T7_T9_mT8_S1G_bDpT10_ENKUlT_T0_E_clISt17integral_constantIbLb0EES1T_IbLb1EEEEDaS1P_S1Q_EUlS1P_E_NS1_11comp_targetILNS1_3genE0ELNS1_11target_archE4294967295ELNS1_3gpuE0ELNS1_3repE0EEENS1_30default_config_static_selectorELNS0_4arch9wavefront6targetE0EEEvS12_.num_named_barrier, 0
	.set _ZN7rocprim17ROCPRIM_400000_NS6detail17trampoline_kernelINS0_13select_configILj256ELj13ELNS0_17block_load_methodE3ELS4_3ELS4_3ELNS0_20block_scan_algorithmE0ELj4294967295EEENS1_25partition_config_selectorILNS1_17partition_subalgoE4EjNS0_10empty_typeEbEEZZNS1_14partition_implILS8_4ELb0ES6_15HIP_vector_typeIjLj2EENS0_17counting_iteratorIjlEEPS9_SG_NS0_5tupleIJPjSI_NS0_16reverse_iteratorISI_EEEEENSH_IJSG_SG_SG_EEES9_SI_JZNS1_25segmented_radix_sort_implINS0_14default_configELb0EPKaPaPKlPlN2at6native12_GLOBAL__N_18offset_tEEE10hipError_tPvRmT1_PNSt15iterator_traitsIS12_E10value_typeET2_T3_PNS13_IS18_E10value_typeET4_jRbjT5_S1E_jjP12ihipStream_tbEUljE_ZNSN_ISO_Lb0ESQ_SR_ST_SU_SY_EESZ_S10_S11_S12_S16_S17_S18_S1B_S1C_jS1D_jS1E_S1E_jjS1G_bEUljE0_EEESZ_S10_S11_S18_S1C_S1E_T6_T7_T9_mT8_S1G_bDpT10_ENKUlT_T0_E_clISt17integral_constantIbLb0EES1T_IbLb1EEEEDaS1P_S1Q_EUlS1P_E_NS1_11comp_targetILNS1_3genE0ELNS1_11target_archE4294967295ELNS1_3gpuE0ELNS1_3repE0EEENS1_30default_config_static_selectorELNS0_4arch9wavefront6targetE0EEEvS12_.private_seg_size, 0
	.set _ZN7rocprim17ROCPRIM_400000_NS6detail17trampoline_kernelINS0_13select_configILj256ELj13ELNS0_17block_load_methodE3ELS4_3ELS4_3ELNS0_20block_scan_algorithmE0ELj4294967295EEENS1_25partition_config_selectorILNS1_17partition_subalgoE4EjNS0_10empty_typeEbEEZZNS1_14partition_implILS8_4ELb0ES6_15HIP_vector_typeIjLj2EENS0_17counting_iteratorIjlEEPS9_SG_NS0_5tupleIJPjSI_NS0_16reverse_iteratorISI_EEEEENSH_IJSG_SG_SG_EEES9_SI_JZNS1_25segmented_radix_sort_implINS0_14default_configELb0EPKaPaPKlPlN2at6native12_GLOBAL__N_18offset_tEEE10hipError_tPvRmT1_PNSt15iterator_traitsIS12_E10value_typeET2_T3_PNS13_IS18_E10value_typeET4_jRbjT5_S1E_jjP12ihipStream_tbEUljE_ZNSN_ISO_Lb0ESQ_SR_ST_SU_SY_EESZ_S10_S11_S12_S16_S17_S18_S1B_S1C_jS1D_jS1E_S1E_jjS1G_bEUljE0_EEESZ_S10_S11_S18_S1C_S1E_T6_T7_T9_mT8_S1G_bDpT10_ENKUlT_T0_E_clISt17integral_constantIbLb0EES1T_IbLb1EEEEDaS1P_S1Q_EUlS1P_E_NS1_11comp_targetILNS1_3genE0ELNS1_11target_archE4294967295ELNS1_3gpuE0ELNS1_3repE0EEENS1_30default_config_static_selectorELNS0_4arch9wavefront6targetE0EEEvS12_.uses_vcc, 0
	.set _ZN7rocprim17ROCPRIM_400000_NS6detail17trampoline_kernelINS0_13select_configILj256ELj13ELNS0_17block_load_methodE3ELS4_3ELS4_3ELNS0_20block_scan_algorithmE0ELj4294967295EEENS1_25partition_config_selectorILNS1_17partition_subalgoE4EjNS0_10empty_typeEbEEZZNS1_14partition_implILS8_4ELb0ES6_15HIP_vector_typeIjLj2EENS0_17counting_iteratorIjlEEPS9_SG_NS0_5tupleIJPjSI_NS0_16reverse_iteratorISI_EEEEENSH_IJSG_SG_SG_EEES9_SI_JZNS1_25segmented_radix_sort_implINS0_14default_configELb0EPKaPaPKlPlN2at6native12_GLOBAL__N_18offset_tEEE10hipError_tPvRmT1_PNSt15iterator_traitsIS12_E10value_typeET2_T3_PNS13_IS18_E10value_typeET4_jRbjT5_S1E_jjP12ihipStream_tbEUljE_ZNSN_ISO_Lb0ESQ_SR_ST_SU_SY_EESZ_S10_S11_S12_S16_S17_S18_S1B_S1C_jS1D_jS1E_S1E_jjS1G_bEUljE0_EEESZ_S10_S11_S18_S1C_S1E_T6_T7_T9_mT8_S1G_bDpT10_ENKUlT_T0_E_clISt17integral_constantIbLb0EES1T_IbLb1EEEEDaS1P_S1Q_EUlS1P_E_NS1_11comp_targetILNS1_3genE0ELNS1_11target_archE4294967295ELNS1_3gpuE0ELNS1_3repE0EEENS1_30default_config_static_selectorELNS0_4arch9wavefront6targetE0EEEvS12_.uses_flat_scratch, 0
	.set _ZN7rocprim17ROCPRIM_400000_NS6detail17trampoline_kernelINS0_13select_configILj256ELj13ELNS0_17block_load_methodE3ELS4_3ELS4_3ELNS0_20block_scan_algorithmE0ELj4294967295EEENS1_25partition_config_selectorILNS1_17partition_subalgoE4EjNS0_10empty_typeEbEEZZNS1_14partition_implILS8_4ELb0ES6_15HIP_vector_typeIjLj2EENS0_17counting_iteratorIjlEEPS9_SG_NS0_5tupleIJPjSI_NS0_16reverse_iteratorISI_EEEEENSH_IJSG_SG_SG_EEES9_SI_JZNS1_25segmented_radix_sort_implINS0_14default_configELb0EPKaPaPKlPlN2at6native12_GLOBAL__N_18offset_tEEE10hipError_tPvRmT1_PNSt15iterator_traitsIS12_E10value_typeET2_T3_PNS13_IS18_E10value_typeET4_jRbjT5_S1E_jjP12ihipStream_tbEUljE_ZNSN_ISO_Lb0ESQ_SR_ST_SU_SY_EESZ_S10_S11_S12_S16_S17_S18_S1B_S1C_jS1D_jS1E_S1E_jjS1G_bEUljE0_EEESZ_S10_S11_S18_S1C_S1E_T6_T7_T9_mT8_S1G_bDpT10_ENKUlT_T0_E_clISt17integral_constantIbLb0EES1T_IbLb1EEEEDaS1P_S1Q_EUlS1P_E_NS1_11comp_targetILNS1_3genE0ELNS1_11target_archE4294967295ELNS1_3gpuE0ELNS1_3repE0EEENS1_30default_config_static_selectorELNS0_4arch9wavefront6targetE0EEEvS12_.has_dyn_sized_stack, 0
	.set _ZN7rocprim17ROCPRIM_400000_NS6detail17trampoline_kernelINS0_13select_configILj256ELj13ELNS0_17block_load_methodE3ELS4_3ELS4_3ELNS0_20block_scan_algorithmE0ELj4294967295EEENS1_25partition_config_selectorILNS1_17partition_subalgoE4EjNS0_10empty_typeEbEEZZNS1_14partition_implILS8_4ELb0ES6_15HIP_vector_typeIjLj2EENS0_17counting_iteratorIjlEEPS9_SG_NS0_5tupleIJPjSI_NS0_16reverse_iteratorISI_EEEEENSH_IJSG_SG_SG_EEES9_SI_JZNS1_25segmented_radix_sort_implINS0_14default_configELb0EPKaPaPKlPlN2at6native12_GLOBAL__N_18offset_tEEE10hipError_tPvRmT1_PNSt15iterator_traitsIS12_E10value_typeET2_T3_PNS13_IS18_E10value_typeET4_jRbjT5_S1E_jjP12ihipStream_tbEUljE_ZNSN_ISO_Lb0ESQ_SR_ST_SU_SY_EESZ_S10_S11_S12_S16_S17_S18_S1B_S1C_jS1D_jS1E_S1E_jjS1G_bEUljE0_EEESZ_S10_S11_S18_S1C_S1E_T6_T7_T9_mT8_S1G_bDpT10_ENKUlT_T0_E_clISt17integral_constantIbLb0EES1T_IbLb1EEEEDaS1P_S1Q_EUlS1P_E_NS1_11comp_targetILNS1_3genE0ELNS1_11target_archE4294967295ELNS1_3gpuE0ELNS1_3repE0EEENS1_30default_config_static_selectorELNS0_4arch9wavefront6targetE0EEEvS12_.has_recursion, 0
	.set _ZN7rocprim17ROCPRIM_400000_NS6detail17trampoline_kernelINS0_13select_configILj256ELj13ELNS0_17block_load_methodE3ELS4_3ELS4_3ELNS0_20block_scan_algorithmE0ELj4294967295EEENS1_25partition_config_selectorILNS1_17partition_subalgoE4EjNS0_10empty_typeEbEEZZNS1_14partition_implILS8_4ELb0ES6_15HIP_vector_typeIjLj2EENS0_17counting_iteratorIjlEEPS9_SG_NS0_5tupleIJPjSI_NS0_16reverse_iteratorISI_EEEEENSH_IJSG_SG_SG_EEES9_SI_JZNS1_25segmented_radix_sort_implINS0_14default_configELb0EPKaPaPKlPlN2at6native12_GLOBAL__N_18offset_tEEE10hipError_tPvRmT1_PNSt15iterator_traitsIS12_E10value_typeET2_T3_PNS13_IS18_E10value_typeET4_jRbjT5_S1E_jjP12ihipStream_tbEUljE_ZNSN_ISO_Lb0ESQ_SR_ST_SU_SY_EESZ_S10_S11_S12_S16_S17_S18_S1B_S1C_jS1D_jS1E_S1E_jjS1G_bEUljE0_EEESZ_S10_S11_S18_S1C_S1E_T6_T7_T9_mT8_S1G_bDpT10_ENKUlT_T0_E_clISt17integral_constantIbLb0EES1T_IbLb1EEEEDaS1P_S1Q_EUlS1P_E_NS1_11comp_targetILNS1_3genE0ELNS1_11target_archE4294967295ELNS1_3gpuE0ELNS1_3repE0EEENS1_30default_config_static_selectorELNS0_4arch9wavefront6targetE0EEEvS12_.has_indirect_call, 0
	.section	.AMDGPU.csdata,"",@progbits
; Kernel info:
; codeLenInByte = 0
; TotalNumSgprs: 0
; NumVgprs: 0
; ScratchSize: 0
; MemoryBound: 0
; FloatMode: 240
; IeeeMode: 1
; LDSByteSize: 0 bytes/workgroup (compile time only)
; SGPRBlocks: 0
; VGPRBlocks: 0
; NumSGPRsForWavesPerEU: 1
; NumVGPRsForWavesPerEU: 1
; Occupancy: 16
; WaveLimiterHint : 0
; COMPUTE_PGM_RSRC2:SCRATCH_EN: 0
; COMPUTE_PGM_RSRC2:USER_SGPR: 2
; COMPUTE_PGM_RSRC2:TRAP_HANDLER: 0
; COMPUTE_PGM_RSRC2:TGID_X_EN: 1
; COMPUTE_PGM_RSRC2:TGID_Y_EN: 0
; COMPUTE_PGM_RSRC2:TGID_Z_EN: 0
; COMPUTE_PGM_RSRC2:TIDIG_COMP_CNT: 0
	.section	.text._ZN7rocprim17ROCPRIM_400000_NS6detail17trampoline_kernelINS0_13select_configILj256ELj13ELNS0_17block_load_methodE3ELS4_3ELS4_3ELNS0_20block_scan_algorithmE0ELj4294967295EEENS1_25partition_config_selectorILNS1_17partition_subalgoE4EjNS0_10empty_typeEbEEZZNS1_14partition_implILS8_4ELb0ES6_15HIP_vector_typeIjLj2EENS0_17counting_iteratorIjlEEPS9_SG_NS0_5tupleIJPjSI_NS0_16reverse_iteratorISI_EEEEENSH_IJSG_SG_SG_EEES9_SI_JZNS1_25segmented_radix_sort_implINS0_14default_configELb0EPKaPaPKlPlN2at6native12_GLOBAL__N_18offset_tEEE10hipError_tPvRmT1_PNSt15iterator_traitsIS12_E10value_typeET2_T3_PNS13_IS18_E10value_typeET4_jRbjT5_S1E_jjP12ihipStream_tbEUljE_ZNSN_ISO_Lb0ESQ_SR_ST_SU_SY_EESZ_S10_S11_S12_S16_S17_S18_S1B_S1C_jS1D_jS1E_S1E_jjS1G_bEUljE0_EEESZ_S10_S11_S18_S1C_S1E_T6_T7_T9_mT8_S1G_bDpT10_ENKUlT_T0_E_clISt17integral_constantIbLb0EES1T_IbLb1EEEEDaS1P_S1Q_EUlS1P_E_NS1_11comp_targetILNS1_3genE5ELNS1_11target_archE942ELNS1_3gpuE9ELNS1_3repE0EEENS1_30default_config_static_selectorELNS0_4arch9wavefront6targetE0EEEvS12_,"axG",@progbits,_ZN7rocprim17ROCPRIM_400000_NS6detail17trampoline_kernelINS0_13select_configILj256ELj13ELNS0_17block_load_methodE3ELS4_3ELS4_3ELNS0_20block_scan_algorithmE0ELj4294967295EEENS1_25partition_config_selectorILNS1_17partition_subalgoE4EjNS0_10empty_typeEbEEZZNS1_14partition_implILS8_4ELb0ES6_15HIP_vector_typeIjLj2EENS0_17counting_iteratorIjlEEPS9_SG_NS0_5tupleIJPjSI_NS0_16reverse_iteratorISI_EEEEENSH_IJSG_SG_SG_EEES9_SI_JZNS1_25segmented_radix_sort_implINS0_14default_configELb0EPKaPaPKlPlN2at6native12_GLOBAL__N_18offset_tEEE10hipError_tPvRmT1_PNSt15iterator_traitsIS12_E10value_typeET2_T3_PNS13_IS18_E10value_typeET4_jRbjT5_S1E_jjP12ihipStream_tbEUljE_ZNSN_ISO_Lb0ESQ_SR_ST_SU_SY_EESZ_S10_S11_S12_S16_S17_S18_S1B_S1C_jS1D_jS1E_S1E_jjS1G_bEUljE0_EEESZ_S10_S11_S18_S1C_S1E_T6_T7_T9_mT8_S1G_bDpT10_ENKUlT_T0_E_clISt17integral_constantIbLb0EES1T_IbLb1EEEEDaS1P_S1Q_EUlS1P_E_NS1_11comp_targetILNS1_3genE5ELNS1_11target_archE942ELNS1_3gpuE9ELNS1_3repE0EEENS1_30default_config_static_selectorELNS0_4arch9wavefront6targetE0EEEvS12_,comdat
	.globl	_ZN7rocprim17ROCPRIM_400000_NS6detail17trampoline_kernelINS0_13select_configILj256ELj13ELNS0_17block_load_methodE3ELS4_3ELS4_3ELNS0_20block_scan_algorithmE0ELj4294967295EEENS1_25partition_config_selectorILNS1_17partition_subalgoE4EjNS0_10empty_typeEbEEZZNS1_14partition_implILS8_4ELb0ES6_15HIP_vector_typeIjLj2EENS0_17counting_iteratorIjlEEPS9_SG_NS0_5tupleIJPjSI_NS0_16reverse_iteratorISI_EEEEENSH_IJSG_SG_SG_EEES9_SI_JZNS1_25segmented_radix_sort_implINS0_14default_configELb0EPKaPaPKlPlN2at6native12_GLOBAL__N_18offset_tEEE10hipError_tPvRmT1_PNSt15iterator_traitsIS12_E10value_typeET2_T3_PNS13_IS18_E10value_typeET4_jRbjT5_S1E_jjP12ihipStream_tbEUljE_ZNSN_ISO_Lb0ESQ_SR_ST_SU_SY_EESZ_S10_S11_S12_S16_S17_S18_S1B_S1C_jS1D_jS1E_S1E_jjS1G_bEUljE0_EEESZ_S10_S11_S18_S1C_S1E_T6_T7_T9_mT8_S1G_bDpT10_ENKUlT_T0_E_clISt17integral_constantIbLb0EES1T_IbLb1EEEEDaS1P_S1Q_EUlS1P_E_NS1_11comp_targetILNS1_3genE5ELNS1_11target_archE942ELNS1_3gpuE9ELNS1_3repE0EEENS1_30default_config_static_selectorELNS0_4arch9wavefront6targetE0EEEvS12_ ; -- Begin function _ZN7rocprim17ROCPRIM_400000_NS6detail17trampoline_kernelINS0_13select_configILj256ELj13ELNS0_17block_load_methodE3ELS4_3ELS4_3ELNS0_20block_scan_algorithmE0ELj4294967295EEENS1_25partition_config_selectorILNS1_17partition_subalgoE4EjNS0_10empty_typeEbEEZZNS1_14partition_implILS8_4ELb0ES6_15HIP_vector_typeIjLj2EENS0_17counting_iteratorIjlEEPS9_SG_NS0_5tupleIJPjSI_NS0_16reverse_iteratorISI_EEEEENSH_IJSG_SG_SG_EEES9_SI_JZNS1_25segmented_radix_sort_implINS0_14default_configELb0EPKaPaPKlPlN2at6native12_GLOBAL__N_18offset_tEEE10hipError_tPvRmT1_PNSt15iterator_traitsIS12_E10value_typeET2_T3_PNS13_IS18_E10value_typeET4_jRbjT5_S1E_jjP12ihipStream_tbEUljE_ZNSN_ISO_Lb0ESQ_SR_ST_SU_SY_EESZ_S10_S11_S12_S16_S17_S18_S1B_S1C_jS1D_jS1E_S1E_jjS1G_bEUljE0_EEESZ_S10_S11_S18_S1C_S1E_T6_T7_T9_mT8_S1G_bDpT10_ENKUlT_T0_E_clISt17integral_constantIbLb0EES1T_IbLb1EEEEDaS1P_S1Q_EUlS1P_E_NS1_11comp_targetILNS1_3genE5ELNS1_11target_archE942ELNS1_3gpuE9ELNS1_3repE0EEENS1_30default_config_static_selectorELNS0_4arch9wavefront6targetE0EEEvS12_
	.p2align	8
	.type	_ZN7rocprim17ROCPRIM_400000_NS6detail17trampoline_kernelINS0_13select_configILj256ELj13ELNS0_17block_load_methodE3ELS4_3ELS4_3ELNS0_20block_scan_algorithmE0ELj4294967295EEENS1_25partition_config_selectorILNS1_17partition_subalgoE4EjNS0_10empty_typeEbEEZZNS1_14partition_implILS8_4ELb0ES6_15HIP_vector_typeIjLj2EENS0_17counting_iteratorIjlEEPS9_SG_NS0_5tupleIJPjSI_NS0_16reverse_iteratorISI_EEEEENSH_IJSG_SG_SG_EEES9_SI_JZNS1_25segmented_radix_sort_implINS0_14default_configELb0EPKaPaPKlPlN2at6native12_GLOBAL__N_18offset_tEEE10hipError_tPvRmT1_PNSt15iterator_traitsIS12_E10value_typeET2_T3_PNS13_IS18_E10value_typeET4_jRbjT5_S1E_jjP12ihipStream_tbEUljE_ZNSN_ISO_Lb0ESQ_SR_ST_SU_SY_EESZ_S10_S11_S12_S16_S17_S18_S1B_S1C_jS1D_jS1E_S1E_jjS1G_bEUljE0_EEESZ_S10_S11_S18_S1C_S1E_T6_T7_T9_mT8_S1G_bDpT10_ENKUlT_T0_E_clISt17integral_constantIbLb0EES1T_IbLb1EEEEDaS1P_S1Q_EUlS1P_E_NS1_11comp_targetILNS1_3genE5ELNS1_11target_archE942ELNS1_3gpuE9ELNS1_3repE0EEENS1_30default_config_static_selectorELNS0_4arch9wavefront6targetE0EEEvS12_,@function
_ZN7rocprim17ROCPRIM_400000_NS6detail17trampoline_kernelINS0_13select_configILj256ELj13ELNS0_17block_load_methodE3ELS4_3ELS4_3ELNS0_20block_scan_algorithmE0ELj4294967295EEENS1_25partition_config_selectorILNS1_17partition_subalgoE4EjNS0_10empty_typeEbEEZZNS1_14partition_implILS8_4ELb0ES6_15HIP_vector_typeIjLj2EENS0_17counting_iteratorIjlEEPS9_SG_NS0_5tupleIJPjSI_NS0_16reverse_iteratorISI_EEEEENSH_IJSG_SG_SG_EEES9_SI_JZNS1_25segmented_radix_sort_implINS0_14default_configELb0EPKaPaPKlPlN2at6native12_GLOBAL__N_18offset_tEEE10hipError_tPvRmT1_PNSt15iterator_traitsIS12_E10value_typeET2_T3_PNS13_IS18_E10value_typeET4_jRbjT5_S1E_jjP12ihipStream_tbEUljE_ZNSN_ISO_Lb0ESQ_SR_ST_SU_SY_EESZ_S10_S11_S12_S16_S17_S18_S1B_S1C_jS1D_jS1E_S1E_jjS1G_bEUljE0_EEESZ_S10_S11_S18_S1C_S1E_T6_T7_T9_mT8_S1G_bDpT10_ENKUlT_T0_E_clISt17integral_constantIbLb0EES1T_IbLb1EEEEDaS1P_S1Q_EUlS1P_E_NS1_11comp_targetILNS1_3genE5ELNS1_11target_archE942ELNS1_3gpuE9ELNS1_3repE0EEENS1_30default_config_static_selectorELNS0_4arch9wavefront6targetE0EEEvS12_: ; @_ZN7rocprim17ROCPRIM_400000_NS6detail17trampoline_kernelINS0_13select_configILj256ELj13ELNS0_17block_load_methodE3ELS4_3ELS4_3ELNS0_20block_scan_algorithmE0ELj4294967295EEENS1_25partition_config_selectorILNS1_17partition_subalgoE4EjNS0_10empty_typeEbEEZZNS1_14partition_implILS8_4ELb0ES6_15HIP_vector_typeIjLj2EENS0_17counting_iteratorIjlEEPS9_SG_NS0_5tupleIJPjSI_NS0_16reverse_iteratorISI_EEEEENSH_IJSG_SG_SG_EEES9_SI_JZNS1_25segmented_radix_sort_implINS0_14default_configELb0EPKaPaPKlPlN2at6native12_GLOBAL__N_18offset_tEEE10hipError_tPvRmT1_PNSt15iterator_traitsIS12_E10value_typeET2_T3_PNS13_IS18_E10value_typeET4_jRbjT5_S1E_jjP12ihipStream_tbEUljE_ZNSN_ISO_Lb0ESQ_SR_ST_SU_SY_EESZ_S10_S11_S12_S16_S17_S18_S1B_S1C_jS1D_jS1E_S1E_jjS1G_bEUljE0_EEESZ_S10_S11_S18_S1C_S1E_T6_T7_T9_mT8_S1G_bDpT10_ENKUlT_T0_E_clISt17integral_constantIbLb0EES1T_IbLb1EEEEDaS1P_S1Q_EUlS1P_E_NS1_11comp_targetILNS1_3genE5ELNS1_11target_archE942ELNS1_3gpuE9ELNS1_3repE0EEENS1_30default_config_static_selectorELNS0_4arch9wavefront6targetE0EEEvS12_
; %bb.0:
	.section	.rodata,"a",@progbits
	.p2align	6, 0x0
	.amdhsa_kernel _ZN7rocprim17ROCPRIM_400000_NS6detail17trampoline_kernelINS0_13select_configILj256ELj13ELNS0_17block_load_methodE3ELS4_3ELS4_3ELNS0_20block_scan_algorithmE0ELj4294967295EEENS1_25partition_config_selectorILNS1_17partition_subalgoE4EjNS0_10empty_typeEbEEZZNS1_14partition_implILS8_4ELb0ES6_15HIP_vector_typeIjLj2EENS0_17counting_iteratorIjlEEPS9_SG_NS0_5tupleIJPjSI_NS0_16reverse_iteratorISI_EEEEENSH_IJSG_SG_SG_EEES9_SI_JZNS1_25segmented_radix_sort_implINS0_14default_configELb0EPKaPaPKlPlN2at6native12_GLOBAL__N_18offset_tEEE10hipError_tPvRmT1_PNSt15iterator_traitsIS12_E10value_typeET2_T3_PNS13_IS18_E10value_typeET4_jRbjT5_S1E_jjP12ihipStream_tbEUljE_ZNSN_ISO_Lb0ESQ_SR_ST_SU_SY_EESZ_S10_S11_S12_S16_S17_S18_S1B_S1C_jS1D_jS1E_S1E_jjS1G_bEUljE0_EEESZ_S10_S11_S18_S1C_S1E_T6_T7_T9_mT8_S1G_bDpT10_ENKUlT_T0_E_clISt17integral_constantIbLb0EES1T_IbLb1EEEEDaS1P_S1Q_EUlS1P_E_NS1_11comp_targetILNS1_3genE5ELNS1_11target_archE942ELNS1_3gpuE9ELNS1_3repE0EEENS1_30default_config_static_selectorELNS0_4arch9wavefront6targetE0EEEvS12_
		.amdhsa_group_segment_fixed_size 0
		.amdhsa_private_segment_fixed_size 0
		.amdhsa_kernarg_size 184
		.amdhsa_user_sgpr_count 2
		.amdhsa_user_sgpr_dispatch_ptr 0
		.amdhsa_user_sgpr_queue_ptr 0
		.amdhsa_user_sgpr_kernarg_segment_ptr 1
		.amdhsa_user_sgpr_dispatch_id 0
		.amdhsa_user_sgpr_private_segment_size 0
		.amdhsa_wavefront_size32 1
		.amdhsa_uses_dynamic_stack 0
		.amdhsa_enable_private_segment 0
		.amdhsa_system_sgpr_workgroup_id_x 1
		.amdhsa_system_sgpr_workgroup_id_y 0
		.amdhsa_system_sgpr_workgroup_id_z 0
		.amdhsa_system_sgpr_workgroup_info 0
		.amdhsa_system_vgpr_workitem_id 0
		.amdhsa_next_free_vgpr 1
		.amdhsa_next_free_sgpr 1
		.amdhsa_reserve_vcc 0
		.amdhsa_float_round_mode_32 0
		.amdhsa_float_round_mode_16_64 0
		.amdhsa_float_denorm_mode_32 3
		.amdhsa_float_denorm_mode_16_64 3
		.amdhsa_fp16_overflow 0
		.amdhsa_workgroup_processor_mode 1
		.amdhsa_memory_ordered 1
		.amdhsa_forward_progress 1
		.amdhsa_inst_pref_size 0
		.amdhsa_round_robin_scheduling 0
		.amdhsa_exception_fp_ieee_invalid_op 0
		.amdhsa_exception_fp_denorm_src 0
		.amdhsa_exception_fp_ieee_div_zero 0
		.amdhsa_exception_fp_ieee_overflow 0
		.amdhsa_exception_fp_ieee_underflow 0
		.amdhsa_exception_fp_ieee_inexact 0
		.amdhsa_exception_int_div_zero 0
	.end_amdhsa_kernel
	.section	.text._ZN7rocprim17ROCPRIM_400000_NS6detail17trampoline_kernelINS0_13select_configILj256ELj13ELNS0_17block_load_methodE3ELS4_3ELS4_3ELNS0_20block_scan_algorithmE0ELj4294967295EEENS1_25partition_config_selectorILNS1_17partition_subalgoE4EjNS0_10empty_typeEbEEZZNS1_14partition_implILS8_4ELb0ES6_15HIP_vector_typeIjLj2EENS0_17counting_iteratorIjlEEPS9_SG_NS0_5tupleIJPjSI_NS0_16reverse_iteratorISI_EEEEENSH_IJSG_SG_SG_EEES9_SI_JZNS1_25segmented_radix_sort_implINS0_14default_configELb0EPKaPaPKlPlN2at6native12_GLOBAL__N_18offset_tEEE10hipError_tPvRmT1_PNSt15iterator_traitsIS12_E10value_typeET2_T3_PNS13_IS18_E10value_typeET4_jRbjT5_S1E_jjP12ihipStream_tbEUljE_ZNSN_ISO_Lb0ESQ_SR_ST_SU_SY_EESZ_S10_S11_S12_S16_S17_S18_S1B_S1C_jS1D_jS1E_S1E_jjS1G_bEUljE0_EEESZ_S10_S11_S18_S1C_S1E_T6_T7_T9_mT8_S1G_bDpT10_ENKUlT_T0_E_clISt17integral_constantIbLb0EES1T_IbLb1EEEEDaS1P_S1Q_EUlS1P_E_NS1_11comp_targetILNS1_3genE5ELNS1_11target_archE942ELNS1_3gpuE9ELNS1_3repE0EEENS1_30default_config_static_selectorELNS0_4arch9wavefront6targetE0EEEvS12_,"axG",@progbits,_ZN7rocprim17ROCPRIM_400000_NS6detail17trampoline_kernelINS0_13select_configILj256ELj13ELNS0_17block_load_methodE3ELS4_3ELS4_3ELNS0_20block_scan_algorithmE0ELj4294967295EEENS1_25partition_config_selectorILNS1_17partition_subalgoE4EjNS0_10empty_typeEbEEZZNS1_14partition_implILS8_4ELb0ES6_15HIP_vector_typeIjLj2EENS0_17counting_iteratorIjlEEPS9_SG_NS0_5tupleIJPjSI_NS0_16reverse_iteratorISI_EEEEENSH_IJSG_SG_SG_EEES9_SI_JZNS1_25segmented_radix_sort_implINS0_14default_configELb0EPKaPaPKlPlN2at6native12_GLOBAL__N_18offset_tEEE10hipError_tPvRmT1_PNSt15iterator_traitsIS12_E10value_typeET2_T3_PNS13_IS18_E10value_typeET4_jRbjT5_S1E_jjP12ihipStream_tbEUljE_ZNSN_ISO_Lb0ESQ_SR_ST_SU_SY_EESZ_S10_S11_S12_S16_S17_S18_S1B_S1C_jS1D_jS1E_S1E_jjS1G_bEUljE0_EEESZ_S10_S11_S18_S1C_S1E_T6_T7_T9_mT8_S1G_bDpT10_ENKUlT_T0_E_clISt17integral_constantIbLb0EES1T_IbLb1EEEEDaS1P_S1Q_EUlS1P_E_NS1_11comp_targetILNS1_3genE5ELNS1_11target_archE942ELNS1_3gpuE9ELNS1_3repE0EEENS1_30default_config_static_selectorELNS0_4arch9wavefront6targetE0EEEvS12_,comdat
.Lfunc_end354:
	.size	_ZN7rocprim17ROCPRIM_400000_NS6detail17trampoline_kernelINS0_13select_configILj256ELj13ELNS0_17block_load_methodE3ELS4_3ELS4_3ELNS0_20block_scan_algorithmE0ELj4294967295EEENS1_25partition_config_selectorILNS1_17partition_subalgoE4EjNS0_10empty_typeEbEEZZNS1_14partition_implILS8_4ELb0ES6_15HIP_vector_typeIjLj2EENS0_17counting_iteratorIjlEEPS9_SG_NS0_5tupleIJPjSI_NS0_16reverse_iteratorISI_EEEEENSH_IJSG_SG_SG_EEES9_SI_JZNS1_25segmented_radix_sort_implINS0_14default_configELb0EPKaPaPKlPlN2at6native12_GLOBAL__N_18offset_tEEE10hipError_tPvRmT1_PNSt15iterator_traitsIS12_E10value_typeET2_T3_PNS13_IS18_E10value_typeET4_jRbjT5_S1E_jjP12ihipStream_tbEUljE_ZNSN_ISO_Lb0ESQ_SR_ST_SU_SY_EESZ_S10_S11_S12_S16_S17_S18_S1B_S1C_jS1D_jS1E_S1E_jjS1G_bEUljE0_EEESZ_S10_S11_S18_S1C_S1E_T6_T7_T9_mT8_S1G_bDpT10_ENKUlT_T0_E_clISt17integral_constantIbLb0EES1T_IbLb1EEEEDaS1P_S1Q_EUlS1P_E_NS1_11comp_targetILNS1_3genE5ELNS1_11target_archE942ELNS1_3gpuE9ELNS1_3repE0EEENS1_30default_config_static_selectorELNS0_4arch9wavefront6targetE0EEEvS12_, .Lfunc_end354-_ZN7rocprim17ROCPRIM_400000_NS6detail17trampoline_kernelINS0_13select_configILj256ELj13ELNS0_17block_load_methodE3ELS4_3ELS4_3ELNS0_20block_scan_algorithmE0ELj4294967295EEENS1_25partition_config_selectorILNS1_17partition_subalgoE4EjNS0_10empty_typeEbEEZZNS1_14partition_implILS8_4ELb0ES6_15HIP_vector_typeIjLj2EENS0_17counting_iteratorIjlEEPS9_SG_NS0_5tupleIJPjSI_NS0_16reverse_iteratorISI_EEEEENSH_IJSG_SG_SG_EEES9_SI_JZNS1_25segmented_radix_sort_implINS0_14default_configELb0EPKaPaPKlPlN2at6native12_GLOBAL__N_18offset_tEEE10hipError_tPvRmT1_PNSt15iterator_traitsIS12_E10value_typeET2_T3_PNS13_IS18_E10value_typeET4_jRbjT5_S1E_jjP12ihipStream_tbEUljE_ZNSN_ISO_Lb0ESQ_SR_ST_SU_SY_EESZ_S10_S11_S12_S16_S17_S18_S1B_S1C_jS1D_jS1E_S1E_jjS1G_bEUljE0_EEESZ_S10_S11_S18_S1C_S1E_T6_T7_T9_mT8_S1G_bDpT10_ENKUlT_T0_E_clISt17integral_constantIbLb0EES1T_IbLb1EEEEDaS1P_S1Q_EUlS1P_E_NS1_11comp_targetILNS1_3genE5ELNS1_11target_archE942ELNS1_3gpuE9ELNS1_3repE0EEENS1_30default_config_static_selectorELNS0_4arch9wavefront6targetE0EEEvS12_
                                        ; -- End function
	.set _ZN7rocprim17ROCPRIM_400000_NS6detail17trampoline_kernelINS0_13select_configILj256ELj13ELNS0_17block_load_methodE3ELS4_3ELS4_3ELNS0_20block_scan_algorithmE0ELj4294967295EEENS1_25partition_config_selectorILNS1_17partition_subalgoE4EjNS0_10empty_typeEbEEZZNS1_14partition_implILS8_4ELb0ES6_15HIP_vector_typeIjLj2EENS0_17counting_iteratorIjlEEPS9_SG_NS0_5tupleIJPjSI_NS0_16reverse_iteratorISI_EEEEENSH_IJSG_SG_SG_EEES9_SI_JZNS1_25segmented_radix_sort_implINS0_14default_configELb0EPKaPaPKlPlN2at6native12_GLOBAL__N_18offset_tEEE10hipError_tPvRmT1_PNSt15iterator_traitsIS12_E10value_typeET2_T3_PNS13_IS18_E10value_typeET4_jRbjT5_S1E_jjP12ihipStream_tbEUljE_ZNSN_ISO_Lb0ESQ_SR_ST_SU_SY_EESZ_S10_S11_S12_S16_S17_S18_S1B_S1C_jS1D_jS1E_S1E_jjS1G_bEUljE0_EEESZ_S10_S11_S18_S1C_S1E_T6_T7_T9_mT8_S1G_bDpT10_ENKUlT_T0_E_clISt17integral_constantIbLb0EES1T_IbLb1EEEEDaS1P_S1Q_EUlS1P_E_NS1_11comp_targetILNS1_3genE5ELNS1_11target_archE942ELNS1_3gpuE9ELNS1_3repE0EEENS1_30default_config_static_selectorELNS0_4arch9wavefront6targetE0EEEvS12_.num_vgpr, 0
	.set _ZN7rocprim17ROCPRIM_400000_NS6detail17trampoline_kernelINS0_13select_configILj256ELj13ELNS0_17block_load_methodE3ELS4_3ELS4_3ELNS0_20block_scan_algorithmE0ELj4294967295EEENS1_25partition_config_selectorILNS1_17partition_subalgoE4EjNS0_10empty_typeEbEEZZNS1_14partition_implILS8_4ELb0ES6_15HIP_vector_typeIjLj2EENS0_17counting_iteratorIjlEEPS9_SG_NS0_5tupleIJPjSI_NS0_16reverse_iteratorISI_EEEEENSH_IJSG_SG_SG_EEES9_SI_JZNS1_25segmented_radix_sort_implINS0_14default_configELb0EPKaPaPKlPlN2at6native12_GLOBAL__N_18offset_tEEE10hipError_tPvRmT1_PNSt15iterator_traitsIS12_E10value_typeET2_T3_PNS13_IS18_E10value_typeET4_jRbjT5_S1E_jjP12ihipStream_tbEUljE_ZNSN_ISO_Lb0ESQ_SR_ST_SU_SY_EESZ_S10_S11_S12_S16_S17_S18_S1B_S1C_jS1D_jS1E_S1E_jjS1G_bEUljE0_EEESZ_S10_S11_S18_S1C_S1E_T6_T7_T9_mT8_S1G_bDpT10_ENKUlT_T0_E_clISt17integral_constantIbLb0EES1T_IbLb1EEEEDaS1P_S1Q_EUlS1P_E_NS1_11comp_targetILNS1_3genE5ELNS1_11target_archE942ELNS1_3gpuE9ELNS1_3repE0EEENS1_30default_config_static_selectorELNS0_4arch9wavefront6targetE0EEEvS12_.num_agpr, 0
	.set _ZN7rocprim17ROCPRIM_400000_NS6detail17trampoline_kernelINS0_13select_configILj256ELj13ELNS0_17block_load_methodE3ELS4_3ELS4_3ELNS0_20block_scan_algorithmE0ELj4294967295EEENS1_25partition_config_selectorILNS1_17partition_subalgoE4EjNS0_10empty_typeEbEEZZNS1_14partition_implILS8_4ELb0ES6_15HIP_vector_typeIjLj2EENS0_17counting_iteratorIjlEEPS9_SG_NS0_5tupleIJPjSI_NS0_16reverse_iteratorISI_EEEEENSH_IJSG_SG_SG_EEES9_SI_JZNS1_25segmented_radix_sort_implINS0_14default_configELb0EPKaPaPKlPlN2at6native12_GLOBAL__N_18offset_tEEE10hipError_tPvRmT1_PNSt15iterator_traitsIS12_E10value_typeET2_T3_PNS13_IS18_E10value_typeET4_jRbjT5_S1E_jjP12ihipStream_tbEUljE_ZNSN_ISO_Lb0ESQ_SR_ST_SU_SY_EESZ_S10_S11_S12_S16_S17_S18_S1B_S1C_jS1D_jS1E_S1E_jjS1G_bEUljE0_EEESZ_S10_S11_S18_S1C_S1E_T6_T7_T9_mT8_S1G_bDpT10_ENKUlT_T0_E_clISt17integral_constantIbLb0EES1T_IbLb1EEEEDaS1P_S1Q_EUlS1P_E_NS1_11comp_targetILNS1_3genE5ELNS1_11target_archE942ELNS1_3gpuE9ELNS1_3repE0EEENS1_30default_config_static_selectorELNS0_4arch9wavefront6targetE0EEEvS12_.numbered_sgpr, 0
	.set _ZN7rocprim17ROCPRIM_400000_NS6detail17trampoline_kernelINS0_13select_configILj256ELj13ELNS0_17block_load_methodE3ELS4_3ELS4_3ELNS0_20block_scan_algorithmE0ELj4294967295EEENS1_25partition_config_selectorILNS1_17partition_subalgoE4EjNS0_10empty_typeEbEEZZNS1_14partition_implILS8_4ELb0ES6_15HIP_vector_typeIjLj2EENS0_17counting_iteratorIjlEEPS9_SG_NS0_5tupleIJPjSI_NS0_16reverse_iteratorISI_EEEEENSH_IJSG_SG_SG_EEES9_SI_JZNS1_25segmented_radix_sort_implINS0_14default_configELb0EPKaPaPKlPlN2at6native12_GLOBAL__N_18offset_tEEE10hipError_tPvRmT1_PNSt15iterator_traitsIS12_E10value_typeET2_T3_PNS13_IS18_E10value_typeET4_jRbjT5_S1E_jjP12ihipStream_tbEUljE_ZNSN_ISO_Lb0ESQ_SR_ST_SU_SY_EESZ_S10_S11_S12_S16_S17_S18_S1B_S1C_jS1D_jS1E_S1E_jjS1G_bEUljE0_EEESZ_S10_S11_S18_S1C_S1E_T6_T7_T9_mT8_S1G_bDpT10_ENKUlT_T0_E_clISt17integral_constantIbLb0EES1T_IbLb1EEEEDaS1P_S1Q_EUlS1P_E_NS1_11comp_targetILNS1_3genE5ELNS1_11target_archE942ELNS1_3gpuE9ELNS1_3repE0EEENS1_30default_config_static_selectorELNS0_4arch9wavefront6targetE0EEEvS12_.num_named_barrier, 0
	.set _ZN7rocprim17ROCPRIM_400000_NS6detail17trampoline_kernelINS0_13select_configILj256ELj13ELNS0_17block_load_methodE3ELS4_3ELS4_3ELNS0_20block_scan_algorithmE0ELj4294967295EEENS1_25partition_config_selectorILNS1_17partition_subalgoE4EjNS0_10empty_typeEbEEZZNS1_14partition_implILS8_4ELb0ES6_15HIP_vector_typeIjLj2EENS0_17counting_iteratorIjlEEPS9_SG_NS0_5tupleIJPjSI_NS0_16reverse_iteratorISI_EEEEENSH_IJSG_SG_SG_EEES9_SI_JZNS1_25segmented_radix_sort_implINS0_14default_configELb0EPKaPaPKlPlN2at6native12_GLOBAL__N_18offset_tEEE10hipError_tPvRmT1_PNSt15iterator_traitsIS12_E10value_typeET2_T3_PNS13_IS18_E10value_typeET4_jRbjT5_S1E_jjP12ihipStream_tbEUljE_ZNSN_ISO_Lb0ESQ_SR_ST_SU_SY_EESZ_S10_S11_S12_S16_S17_S18_S1B_S1C_jS1D_jS1E_S1E_jjS1G_bEUljE0_EEESZ_S10_S11_S18_S1C_S1E_T6_T7_T9_mT8_S1G_bDpT10_ENKUlT_T0_E_clISt17integral_constantIbLb0EES1T_IbLb1EEEEDaS1P_S1Q_EUlS1P_E_NS1_11comp_targetILNS1_3genE5ELNS1_11target_archE942ELNS1_3gpuE9ELNS1_3repE0EEENS1_30default_config_static_selectorELNS0_4arch9wavefront6targetE0EEEvS12_.private_seg_size, 0
	.set _ZN7rocprim17ROCPRIM_400000_NS6detail17trampoline_kernelINS0_13select_configILj256ELj13ELNS0_17block_load_methodE3ELS4_3ELS4_3ELNS0_20block_scan_algorithmE0ELj4294967295EEENS1_25partition_config_selectorILNS1_17partition_subalgoE4EjNS0_10empty_typeEbEEZZNS1_14partition_implILS8_4ELb0ES6_15HIP_vector_typeIjLj2EENS0_17counting_iteratorIjlEEPS9_SG_NS0_5tupleIJPjSI_NS0_16reverse_iteratorISI_EEEEENSH_IJSG_SG_SG_EEES9_SI_JZNS1_25segmented_radix_sort_implINS0_14default_configELb0EPKaPaPKlPlN2at6native12_GLOBAL__N_18offset_tEEE10hipError_tPvRmT1_PNSt15iterator_traitsIS12_E10value_typeET2_T3_PNS13_IS18_E10value_typeET4_jRbjT5_S1E_jjP12ihipStream_tbEUljE_ZNSN_ISO_Lb0ESQ_SR_ST_SU_SY_EESZ_S10_S11_S12_S16_S17_S18_S1B_S1C_jS1D_jS1E_S1E_jjS1G_bEUljE0_EEESZ_S10_S11_S18_S1C_S1E_T6_T7_T9_mT8_S1G_bDpT10_ENKUlT_T0_E_clISt17integral_constantIbLb0EES1T_IbLb1EEEEDaS1P_S1Q_EUlS1P_E_NS1_11comp_targetILNS1_3genE5ELNS1_11target_archE942ELNS1_3gpuE9ELNS1_3repE0EEENS1_30default_config_static_selectorELNS0_4arch9wavefront6targetE0EEEvS12_.uses_vcc, 0
	.set _ZN7rocprim17ROCPRIM_400000_NS6detail17trampoline_kernelINS0_13select_configILj256ELj13ELNS0_17block_load_methodE3ELS4_3ELS4_3ELNS0_20block_scan_algorithmE0ELj4294967295EEENS1_25partition_config_selectorILNS1_17partition_subalgoE4EjNS0_10empty_typeEbEEZZNS1_14partition_implILS8_4ELb0ES6_15HIP_vector_typeIjLj2EENS0_17counting_iteratorIjlEEPS9_SG_NS0_5tupleIJPjSI_NS0_16reverse_iteratorISI_EEEEENSH_IJSG_SG_SG_EEES9_SI_JZNS1_25segmented_radix_sort_implINS0_14default_configELb0EPKaPaPKlPlN2at6native12_GLOBAL__N_18offset_tEEE10hipError_tPvRmT1_PNSt15iterator_traitsIS12_E10value_typeET2_T3_PNS13_IS18_E10value_typeET4_jRbjT5_S1E_jjP12ihipStream_tbEUljE_ZNSN_ISO_Lb0ESQ_SR_ST_SU_SY_EESZ_S10_S11_S12_S16_S17_S18_S1B_S1C_jS1D_jS1E_S1E_jjS1G_bEUljE0_EEESZ_S10_S11_S18_S1C_S1E_T6_T7_T9_mT8_S1G_bDpT10_ENKUlT_T0_E_clISt17integral_constantIbLb0EES1T_IbLb1EEEEDaS1P_S1Q_EUlS1P_E_NS1_11comp_targetILNS1_3genE5ELNS1_11target_archE942ELNS1_3gpuE9ELNS1_3repE0EEENS1_30default_config_static_selectorELNS0_4arch9wavefront6targetE0EEEvS12_.uses_flat_scratch, 0
	.set _ZN7rocprim17ROCPRIM_400000_NS6detail17trampoline_kernelINS0_13select_configILj256ELj13ELNS0_17block_load_methodE3ELS4_3ELS4_3ELNS0_20block_scan_algorithmE0ELj4294967295EEENS1_25partition_config_selectorILNS1_17partition_subalgoE4EjNS0_10empty_typeEbEEZZNS1_14partition_implILS8_4ELb0ES6_15HIP_vector_typeIjLj2EENS0_17counting_iteratorIjlEEPS9_SG_NS0_5tupleIJPjSI_NS0_16reverse_iteratorISI_EEEEENSH_IJSG_SG_SG_EEES9_SI_JZNS1_25segmented_radix_sort_implINS0_14default_configELb0EPKaPaPKlPlN2at6native12_GLOBAL__N_18offset_tEEE10hipError_tPvRmT1_PNSt15iterator_traitsIS12_E10value_typeET2_T3_PNS13_IS18_E10value_typeET4_jRbjT5_S1E_jjP12ihipStream_tbEUljE_ZNSN_ISO_Lb0ESQ_SR_ST_SU_SY_EESZ_S10_S11_S12_S16_S17_S18_S1B_S1C_jS1D_jS1E_S1E_jjS1G_bEUljE0_EEESZ_S10_S11_S18_S1C_S1E_T6_T7_T9_mT8_S1G_bDpT10_ENKUlT_T0_E_clISt17integral_constantIbLb0EES1T_IbLb1EEEEDaS1P_S1Q_EUlS1P_E_NS1_11comp_targetILNS1_3genE5ELNS1_11target_archE942ELNS1_3gpuE9ELNS1_3repE0EEENS1_30default_config_static_selectorELNS0_4arch9wavefront6targetE0EEEvS12_.has_dyn_sized_stack, 0
	.set _ZN7rocprim17ROCPRIM_400000_NS6detail17trampoline_kernelINS0_13select_configILj256ELj13ELNS0_17block_load_methodE3ELS4_3ELS4_3ELNS0_20block_scan_algorithmE0ELj4294967295EEENS1_25partition_config_selectorILNS1_17partition_subalgoE4EjNS0_10empty_typeEbEEZZNS1_14partition_implILS8_4ELb0ES6_15HIP_vector_typeIjLj2EENS0_17counting_iteratorIjlEEPS9_SG_NS0_5tupleIJPjSI_NS0_16reverse_iteratorISI_EEEEENSH_IJSG_SG_SG_EEES9_SI_JZNS1_25segmented_radix_sort_implINS0_14default_configELb0EPKaPaPKlPlN2at6native12_GLOBAL__N_18offset_tEEE10hipError_tPvRmT1_PNSt15iterator_traitsIS12_E10value_typeET2_T3_PNS13_IS18_E10value_typeET4_jRbjT5_S1E_jjP12ihipStream_tbEUljE_ZNSN_ISO_Lb0ESQ_SR_ST_SU_SY_EESZ_S10_S11_S12_S16_S17_S18_S1B_S1C_jS1D_jS1E_S1E_jjS1G_bEUljE0_EEESZ_S10_S11_S18_S1C_S1E_T6_T7_T9_mT8_S1G_bDpT10_ENKUlT_T0_E_clISt17integral_constantIbLb0EES1T_IbLb1EEEEDaS1P_S1Q_EUlS1P_E_NS1_11comp_targetILNS1_3genE5ELNS1_11target_archE942ELNS1_3gpuE9ELNS1_3repE0EEENS1_30default_config_static_selectorELNS0_4arch9wavefront6targetE0EEEvS12_.has_recursion, 0
	.set _ZN7rocprim17ROCPRIM_400000_NS6detail17trampoline_kernelINS0_13select_configILj256ELj13ELNS0_17block_load_methodE3ELS4_3ELS4_3ELNS0_20block_scan_algorithmE0ELj4294967295EEENS1_25partition_config_selectorILNS1_17partition_subalgoE4EjNS0_10empty_typeEbEEZZNS1_14partition_implILS8_4ELb0ES6_15HIP_vector_typeIjLj2EENS0_17counting_iteratorIjlEEPS9_SG_NS0_5tupleIJPjSI_NS0_16reverse_iteratorISI_EEEEENSH_IJSG_SG_SG_EEES9_SI_JZNS1_25segmented_radix_sort_implINS0_14default_configELb0EPKaPaPKlPlN2at6native12_GLOBAL__N_18offset_tEEE10hipError_tPvRmT1_PNSt15iterator_traitsIS12_E10value_typeET2_T3_PNS13_IS18_E10value_typeET4_jRbjT5_S1E_jjP12ihipStream_tbEUljE_ZNSN_ISO_Lb0ESQ_SR_ST_SU_SY_EESZ_S10_S11_S12_S16_S17_S18_S1B_S1C_jS1D_jS1E_S1E_jjS1G_bEUljE0_EEESZ_S10_S11_S18_S1C_S1E_T6_T7_T9_mT8_S1G_bDpT10_ENKUlT_T0_E_clISt17integral_constantIbLb0EES1T_IbLb1EEEEDaS1P_S1Q_EUlS1P_E_NS1_11comp_targetILNS1_3genE5ELNS1_11target_archE942ELNS1_3gpuE9ELNS1_3repE0EEENS1_30default_config_static_selectorELNS0_4arch9wavefront6targetE0EEEvS12_.has_indirect_call, 0
	.section	.AMDGPU.csdata,"",@progbits
; Kernel info:
; codeLenInByte = 0
; TotalNumSgprs: 0
; NumVgprs: 0
; ScratchSize: 0
; MemoryBound: 0
; FloatMode: 240
; IeeeMode: 1
; LDSByteSize: 0 bytes/workgroup (compile time only)
; SGPRBlocks: 0
; VGPRBlocks: 0
; NumSGPRsForWavesPerEU: 1
; NumVGPRsForWavesPerEU: 1
; Occupancy: 16
; WaveLimiterHint : 0
; COMPUTE_PGM_RSRC2:SCRATCH_EN: 0
; COMPUTE_PGM_RSRC2:USER_SGPR: 2
; COMPUTE_PGM_RSRC2:TRAP_HANDLER: 0
; COMPUTE_PGM_RSRC2:TGID_X_EN: 1
; COMPUTE_PGM_RSRC2:TGID_Y_EN: 0
; COMPUTE_PGM_RSRC2:TGID_Z_EN: 0
; COMPUTE_PGM_RSRC2:TIDIG_COMP_CNT: 0
	.section	.text._ZN7rocprim17ROCPRIM_400000_NS6detail17trampoline_kernelINS0_13select_configILj256ELj13ELNS0_17block_load_methodE3ELS4_3ELS4_3ELNS0_20block_scan_algorithmE0ELj4294967295EEENS1_25partition_config_selectorILNS1_17partition_subalgoE4EjNS0_10empty_typeEbEEZZNS1_14partition_implILS8_4ELb0ES6_15HIP_vector_typeIjLj2EENS0_17counting_iteratorIjlEEPS9_SG_NS0_5tupleIJPjSI_NS0_16reverse_iteratorISI_EEEEENSH_IJSG_SG_SG_EEES9_SI_JZNS1_25segmented_radix_sort_implINS0_14default_configELb0EPKaPaPKlPlN2at6native12_GLOBAL__N_18offset_tEEE10hipError_tPvRmT1_PNSt15iterator_traitsIS12_E10value_typeET2_T3_PNS13_IS18_E10value_typeET4_jRbjT5_S1E_jjP12ihipStream_tbEUljE_ZNSN_ISO_Lb0ESQ_SR_ST_SU_SY_EESZ_S10_S11_S12_S16_S17_S18_S1B_S1C_jS1D_jS1E_S1E_jjS1G_bEUljE0_EEESZ_S10_S11_S18_S1C_S1E_T6_T7_T9_mT8_S1G_bDpT10_ENKUlT_T0_E_clISt17integral_constantIbLb0EES1T_IbLb1EEEEDaS1P_S1Q_EUlS1P_E_NS1_11comp_targetILNS1_3genE4ELNS1_11target_archE910ELNS1_3gpuE8ELNS1_3repE0EEENS1_30default_config_static_selectorELNS0_4arch9wavefront6targetE0EEEvS12_,"axG",@progbits,_ZN7rocprim17ROCPRIM_400000_NS6detail17trampoline_kernelINS0_13select_configILj256ELj13ELNS0_17block_load_methodE3ELS4_3ELS4_3ELNS0_20block_scan_algorithmE0ELj4294967295EEENS1_25partition_config_selectorILNS1_17partition_subalgoE4EjNS0_10empty_typeEbEEZZNS1_14partition_implILS8_4ELb0ES6_15HIP_vector_typeIjLj2EENS0_17counting_iteratorIjlEEPS9_SG_NS0_5tupleIJPjSI_NS0_16reverse_iteratorISI_EEEEENSH_IJSG_SG_SG_EEES9_SI_JZNS1_25segmented_radix_sort_implINS0_14default_configELb0EPKaPaPKlPlN2at6native12_GLOBAL__N_18offset_tEEE10hipError_tPvRmT1_PNSt15iterator_traitsIS12_E10value_typeET2_T3_PNS13_IS18_E10value_typeET4_jRbjT5_S1E_jjP12ihipStream_tbEUljE_ZNSN_ISO_Lb0ESQ_SR_ST_SU_SY_EESZ_S10_S11_S12_S16_S17_S18_S1B_S1C_jS1D_jS1E_S1E_jjS1G_bEUljE0_EEESZ_S10_S11_S18_S1C_S1E_T6_T7_T9_mT8_S1G_bDpT10_ENKUlT_T0_E_clISt17integral_constantIbLb0EES1T_IbLb1EEEEDaS1P_S1Q_EUlS1P_E_NS1_11comp_targetILNS1_3genE4ELNS1_11target_archE910ELNS1_3gpuE8ELNS1_3repE0EEENS1_30default_config_static_selectorELNS0_4arch9wavefront6targetE0EEEvS12_,comdat
	.globl	_ZN7rocprim17ROCPRIM_400000_NS6detail17trampoline_kernelINS0_13select_configILj256ELj13ELNS0_17block_load_methodE3ELS4_3ELS4_3ELNS0_20block_scan_algorithmE0ELj4294967295EEENS1_25partition_config_selectorILNS1_17partition_subalgoE4EjNS0_10empty_typeEbEEZZNS1_14partition_implILS8_4ELb0ES6_15HIP_vector_typeIjLj2EENS0_17counting_iteratorIjlEEPS9_SG_NS0_5tupleIJPjSI_NS0_16reverse_iteratorISI_EEEEENSH_IJSG_SG_SG_EEES9_SI_JZNS1_25segmented_radix_sort_implINS0_14default_configELb0EPKaPaPKlPlN2at6native12_GLOBAL__N_18offset_tEEE10hipError_tPvRmT1_PNSt15iterator_traitsIS12_E10value_typeET2_T3_PNS13_IS18_E10value_typeET4_jRbjT5_S1E_jjP12ihipStream_tbEUljE_ZNSN_ISO_Lb0ESQ_SR_ST_SU_SY_EESZ_S10_S11_S12_S16_S17_S18_S1B_S1C_jS1D_jS1E_S1E_jjS1G_bEUljE0_EEESZ_S10_S11_S18_S1C_S1E_T6_T7_T9_mT8_S1G_bDpT10_ENKUlT_T0_E_clISt17integral_constantIbLb0EES1T_IbLb1EEEEDaS1P_S1Q_EUlS1P_E_NS1_11comp_targetILNS1_3genE4ELNS1_11target_archE910ELNS1_3gpuE8ELNS1_3repE0EEENS1_30default_config_static_selectorELNS0_4arch9wavefront6targetE0EEEvS12_ ; -- Begin function _ZN7rocprim17ROCPRIM_400000_NS6detail17trampoline_kernelINS0_13select_configILj256ELj13ELNS0_17block_load_methodE3ELS4_3ELS4_3ELNS0_20block_scan_algorithmE0ELj4294967295EEENS1_25partition_config_selectorILNS1_17partition_subalgoE4EjNS0_10empty_typeEbEEZZNS1_14partition_implILS8_4ELb0ES6_15HIP_vector_typeIjLj2EENS0_17counting_iteratorIjlEEPS9_SG_NS0_5tupleIJPjSI_NS0_16reverse_iteratorISI_EEEEENSH_IJSG_SG_SG_EEES9_SI_JZNS1_25segmented_radix_sort_implINS0_14default_configELb0EPKaPaPKlPlN2at6native12_GLOBAL__N_18offset_tEEE10hipError_tPvRmT1_PNSt15iterator_traitsIS12_E10value_typeET2_T3_PNS13_IS18_E10value_typeET4_jRbjT5_S1E_jjP12ihipStream_tbEUljE_ZNSN_ISO_Lb0ESQ_SR_ST_SU_SY_EESZ_S10_S11_S12_S16_S17_S18_S1B_S1C_jS1D_jS1E_S1E_jjS1G_bEUljE0_EEESZ_S10_S11_S18_S1C_S1E_T6_T7_T9_mT8_S1G_bDpT10_ENKUlT_T0_E_clISt17integral_constantIbLb0EES1T_IbLb1EEEEDaS1P_S1Q_EUlS1P_E_NS1_11comp_targetILNS1_3genE4ELNS1_11target_archE910ELNS1_3gpuE8ELNS1_3repE0EEENS1_30default_config_static_selectorELNS0_4arch9wavefront6targetE0EEEvS12_
	.p2align	8
	.type	_ZN7rocprim17ROCPRIM_400000_NS6detail17trampoline_kernelINS0_13select_configILj256ELj13ELNS0_17block_load_methodE3ELS4_3ELS4_3ELNS0_20block_scan_algorithmE0ELj4294967295EEENS1_25partition_config_selectorILNS1_17partition_subalgoE4EjNS0_10empty_typeEbEEZZNS1_14partition_implILS8_4ELb0ES6_15HIP_vector_typeIjLj2EENS0_17counting_iteratorIjlEEPS9_SG_NS0_5tupleIJPjSI_NS0_16reverse_iteratorISI_EEEEENSH_IJSG_SG_SG_EEES9_SI_JZNS1_25segmented_radix_sort_implINS0_14default_configELb0EPKaPaPKlPlN2at6native12_GLOBAL__N_18offset_tEEE10hipError_tPvRmT1_PNSt15iterator_traitsIS12_E10value_typeET2_T3_PNS13_IS18_E10value_typeET4_jRbjT5_S1E_jjP12ihipStream_tbEUljE_ZNSN_ISO_Lb0ESQ_SR_ST_SU_SY_EESZ_S10_S11_S12_S16_S17_S18_S1B_S1C_jS1D_jS1E_S1E_jjS1G_bEUljE0_EEESZ_S10_S11_S18_S1C_S1E_T6_T7_T9_mT8_S1G_bDpT10_ENKUlT_T0_E_clISt17integral_constantIbLb0EES1T_IbLb1EEEEDaS1P_S1Q_EUlS1P_E_NS1_11comp_targetILNS1_3genE4ELNS1_11target_archE910ELNS1_3gpuE8ELNS1_3repE0EEENS1_30default_config_static_selectorELNS0_4arch9wavefront6targetE0EEEvS12_,@function
_ZN7rocprim17ROCPRIM_400000_NS6detail17trampoline_kernelINS0_13select_configILj256ELj13ELNS0_17block_load_methodE3ELS4_3ELS4_3ELNS0_20block_scan_algorithmE0ELj4294967295EEENS1_25partition_config_selectorILNS1_17partition_subalgoE4EjNS0_10empty_typeEbEEZZNS1_14partition_implILS8_4ELb0ES6_15HIP_vector_typeIjLj2EENS0_17counting_iteratorIjlEEPS9_SG_NS0_5tupleIJPjSI_NS0_16reverse_iteratorISI_EEEEENSH_IJSG_SG_SG_EEES9_SI_JZNS1_25segmented_radix_sort_implINS0_14default_configELb0EPKaPaPKlPlN2at6native12_GLOBAL__N_18offset_tEEE10hipError_tPvRmT1_PNSt15iterator_traitsIS12_E10value_typeET2_T3_PNS13_IS18_E10value_typeET4_jRbjT5_S1E_jjP12ihipStream_tbEUljE_ZNSN_ISO_Lb0ESQ_SR_ST_SU_SY_EESZ_S10_S11_S12_S16_S17_S18_S1B_S1C_jS1D_jS1E_S1E_jjS1G_bEUljE0_EEESZ_S10_S11_S18_S1C_S1E_T6_T7_T9_mT8_S1G_bDpT10_ENKUlT_T0_E_clISt17integral_constantIbLb0EES1T_IbLb1EEEEDaS1P_S1Q_EUlS1P_E_NS1_11comp_targetILNS1_3genE4ELNS1_11target_archE910ELNS1_3gpuE8ELNS1_3repE0EEENS1_30default_config_static_selectorELNS0_4arch9wavefront6targetE0EEEvS12_: ; @_ZN7rocprim17ROCPRIM_400000_NS6detail17trampoline_kernelINS0_13select_configILj256ELj13ELNS0_17block_load_methodE3ELS4_3ELS4_3ELNS0_20block_scan_algorithmE0ELj4294967295EEENS1_25partition_config_selectorILNS1_17partition_subalgoE4EjNS0_10empty_typeEbEEZZNS1_14partition_implILS8_4ELb0ES6_15HIP_vector_typeIjLj2EENS0_17counting_iteratorIjlEEPS9_SG_NS0_5tupleIJPjSI_NS0_16reverse_iteratorISI_EEEEENSH_IJSG_SG_SG_EEES9_SI_JZNS1_25segmented_radix_sort_implINS0_14default_configELb0EPKaPaPKlPlN2at6native12_GLOBAL__N_18offset_tEEE10hipError_tPvRmT1_PNSt15iterator_traitsIS12_E10value_typeET2_T3_PNS13_IS18_E10value_typeET4_jRbjT5_S1E_jjP12ihipStream_tbEUljE_ZNSN_ISO_Lb0ESQ_SR_ST_SU_SY_EESZ_S10_S11_S12_S16_S17_S18_S1B_S1C_jS1D_jS1E_S1E_jjS1G_bEUljE0_EEESZ_S10_S11_S18_S1C_S1E_T6_T7_T9_mT8_S1G_bDpT10_ENKUlT_T0_E_clISt17integral_constantIbLb0EES1T_IbLb1EEEEDaS1P_S1Q_EUlS1P_E_NS1_11comp_targetILNS1_3genE4ELNS1_11target_archE910ELNS1_3gpuE8ELNS1_3repE0EEENS1_30default_config_static_selectorELNS0_4arch9wavefront6targetE0EEEvS12_
; %bb.0:
	.section	.rodata,"a",@progbits
	.p2align	6, 0x0
	.amdhsa_kernel _ZN7rocprim17ROCPRIM_400000_NS6detail17trampoline_kernelINS0_13select_configILj256ELj13ELNS0_17block_load_methodE3ELS4_3ELS4_3ELNS0_20block_scan_algorithmE0ELj4294967295EEENS1_25partition_config_selectorILNS1_17partition_subalgoE4EjNS0_10empty_typeEbEEZZNS1_14partition_implILS8_4ELb0ES6_15HIP_vector_typeIjLj2EENS0_17counting_iteratorIjlEEPS9_SG_NS0_5tupleIJPjSI_NS0_16reverse_iteratorISI_EEEEENSH_IJSG_SG_SG_EEES9_SI_JZNS1_25segmented_radix_sort_implINS0_14default_configELb0EPKaPaPKlPlN2at6native12_GLOBAL__N_18offset_tEEE10hipError_tPvRmT1_PNSt15iterator_traitsIS12_E10value_typeET2_T3_PNS13_IS18_E10value_typeET4_jRbjT5_S1E_jjP12ihipStream_tbEUljE_ZNSN_ISO_Lb0ESQ_SR_ST_SU_SY_EESZ_S10_S11_S12_S16_S17_S18_S1B_S1C_jS1D_jS1E_S1E_jjS1G_bEUljE0_EEESZ_S10_S11_S18_S1C_S1E_T6_T7_T9_mT8_S1G_bDpT10_ENKUlT_T0_E_clISt17integral_constantIbLb0EES1T_IbLb1EEEEDaS1P_S1Q_EUlS1P_E_NS1_11comp_targetILNS1_3genE4ELNS1_11target_archE910ELNS1_3gpuE8ELNS1_3repE0EEENS1_30default_config_static_selectorELNS0_4arch9wavefront6targetE0EEEvS12_
		.amdhsa_group_segment_fixed_size 0
		.amdhsa_private_segment_fixed_size 0
		.amdhsa_kernarg_size 184
		.amdhsa_user_sgpr_count 2
		.amdhsa_user_sgpr_dispatch_ptr 0
		.amdhsa_user_sgpr_queue_ptr 0
		.amdhsa_user_sgpr_kernarg_segment_ptr 1
		.amdhsa_user_sgpr_dispatch_id 0
		.amdhsa_user_sgpr_private_segment_size 0
		.amdhsa_wavefront_size32 1
		.amdhsa_uses_dynamic_stack 0
		.amdhsa_enable_private_segment 0
		.amdhsa_system_sgpr_workgroup_id_x 1
		.amdhsa_system_sgpr_workgroup_id_y 0
		.amdhsa_system_sgpr_workgroup_id_z 0
		.amdhsa_system_sgpr_workgroup_info 0
		.amdhsa_system_vgpr_workitem_id 0
		.amdhsa_next_free_vgpr 1
		.amdhsa_next_free_sgpr 1
		.amdhsa_reserve_vcc 0
		.amdhsa_float_round_mode_32 0
		.amdhsa_float_round_mode_16_64 0
		.amdhsa_float_denorm_mode_32 3
		.amdhsa_float_denorm_mode_16_64 3
		.amdhsa_fp16_overflow 0
		.amdhsa_workgroup_processor_mode 1
		.amdhsa_memory_ordered 1
		.amdhsa_forward_progress 1
		.amdhsa_inst_pref_size 0
		.amdhsa_round_robin_scheduling 0
		.amdhsa_exception_fp_ieee_invalid_op 0
		.amdhsa_exception_fp_denorm_src 0
		.amdhsa_exception_fp_ieee_div_zero 0
		.amdhsa_exception_fp_ieee_overflow 0
		.amdhsa_exception_fp_ieee_underflow 0
		.amdhsa_exception_fp_ieee_inexact 0
		.amdhsa_exception_int_div_zero 0
	.end_amdhsa_kernel
	.section	.text._ZN7rocprim17ROCPRIM_400000_NS6detail17trampoline_kernelINS0_13select_configILj256ELj13ELNS0_17block_load_methodE3ELS4_3ELS4_3ELNS0_20block_scan_algorithmE0ELj4294967295EEENS1_25partition_config_selectorILNS1_17partition_subalgoE4EjNS0_10empty_typeEbEEZZNS1_14partition_implILS8_4ELb0ES6_15HIP_vector_typeIjLj2EENS0_17counting_iteratorIjlEEPS9_SG_NS0_5tupleIJPjSI_NS0_16reverse_iteratorISI_EEEEENSH_IJSG_SG_SG_EEES9_SI_JZNS1_25segmented_radix_sort_implINS0_14default_configELb0EPKaPaPKlPlN2at6native12_GLOBAL__N_18offset_tEEE10hipError_tPvRmT1_PNSt15iterator_traitsIS12_E10value_typeET2_T3_PNS13_IS18_E10value_typeET4_jRbjT5_S1E_jjP12ihipStream_tbEUljE_ZNSN_ISO_Lb0ESQ_SR_ST_SU_SY_EESZ_S10_S11_S12_S16_S17_S18_S1B_S1C_jS1D_jS1E_S1E_jjS1G_bEUljE0_EEESZ_S10_S11_S18_S1C_S1E_T6_T7_T9_mT8_S1G_bDpT10_ENKUlT_T0_E_clISt17integral_constantIbLb0EES1T_IbLb1EEEEDaS1P_S1Q_EUlS1P_E_NS1_11comp_targetILNS1_3genE4ELNS1_11target_archE910ELNS1_3gpuE8ELNS1_3repE0EEENS1_30default_config_static_selectorELNS0_4arch9wavefront6targetE0EEEvS12_,"axG",@progbits,_ZN7rocprim17ROCPRIM_400000_NS6detail17trampoline_kernelINS0_13select_configILj256ELj13ELNS0_17block_load_methodE3ELS4_3ELS4_3ELNS0_20block_scan_algorithmE0ELj4294967295EEENS1_25partition_config_selectorILNS1_17partition_subalgoE4EjNS0_10empty_typeEbEEZZNS1_14partition_implILS8_4ELb0ES6_15HIP_vector_typeIjLj2EENS0_17counting_iteratorIjlEEPS9_SG_NS0_5tupleIJPjSI_NS0_16reverse_iteratorISI_EEEEENSH_IJSG_SG_SG_EEES9_SI_JZNS1_25segmented_radix_sort_implINS0_14default_configELb0EPKaPaPKlPlN2at6native12_GLOBAL__N_18offset_tEEE10hipError_tPvRmT1_PNSt15iterator_traitsIS12_E10value_typeET2_T3_PNS13_IS18_E10value_typeET4_jRbjT5_S1E_jjP12ihipStream_tbEUljE_ZNSN_ISO_Lb0ESQ_SR_ST_SU_SY_EESZ_S10_S11_S12_S16_S17_S18_S1B_S1C_jS1D_jS1E_S1E_jjS1G_bEUljE0_EEESZ_S10_S11_S18_S1C_S1E_T6_T7_T9_mT8_S1G_bDpT10_ENKUlT_T0_E_clISt17integral_constantIbLb0EES1T_IbLb1EEEEDaS1P_S1Q_EUlS1P_E_NS1_11comp_targetILNS1_3genE4ELNS1_11target_archE910ELNS1_3gpuE8ELNS1_3repE0EEENS1_30default_config_static_selectorELNS0_4arch9wavefront6targetE0EEEvS12_,comdat
.Lfunc_end355:
	.size	_ZN7rocprim17ROCPRIM_400000_NS6detail17trampoline_kernelINS0_13select_configILj256ELj13ELNS0_17block_load_methodE3ELS4_3ELS4_3ELNS0_20block_scan_algorithmE0ELj4294967295EEENS1_25partition_config_selectorILNS1_17partition_subalgoE4EjNS0_10empty_typeEbEEZZNS1_14partition_implILS8_4ELb0ES6_15HIP_vector_typeIjLj2EENS0_17counting_iteratorIjlEEPS9_SG_NS0_5tupleIJPjSI_NS0_16reverse_iteratorISI_EEEEENSH_IJSG_SG_SG_EEES9_SI_JZNS1_25segmented_radix_sort_implINS0_14default_configELb0EPKaPaPKlPlN2at6native12_GLOBAL__N_18offset_tEEE10hipError_tPvRmT1_PNSt15iterator_traitsIS12_E10value_typeET2_T3_PNS13_IS18_E10value_typeET4_jRbjT5_S1E_jjP12ihipStream_tbEUljE_ZNSN_ISO_Lb0ESQ_SR_ST_SU_SY_EESZ_S10_S11_S12_S16_S17_S18_S1B_S1C_jS1D_jS1E_S1E_jjS1G_bEUljE0_EEESZ_S10_S11_S18_S1C_S1E_T6_T7_T9_mT8_S1G_bDpT10_ENKUlT_T0_E_clISt17integral_constantIbLb0EES1T_IbLb1EEEEDaS1P_S1Q_EUlS1P_E_NS1_11comp_targetILNS1_3genE4ELNS1_11target_archE910ELNS1_3gpuE8ELNS1_3repE0EEENS1_30default_config_static_selectorELNS0_4arch9wavefront6targetE0EEEvS12_, .Lfunc_end355-_ZN7rocprim17ROCPRIM_400000_NS6detail17trampoline_kernelINS0_13select_configILj256ELj13ELNS0_17block_load_methodE3ELS4_3ELS4_3ELNS0_20block_scan_algorithmE0ELj4294967295EEENS1_25partition_config_selectorILNS1_17partition_subalgoE4EjNS0_10empty_typeEbEEZZNS1_14partition_implILS8_4ELb0ES6_15HIP_vector_typeIjLj2EENS0_17counting_iteratorIjlEEPS9_SG_NS0_5tupleIJPjSI_NS0_16reverse_iteratorISI_EEEEENSH_IJSG_SG_SG_EEES9_SI_JZNS1_25segmented_radix_sort_implINS0_14default_configELb0EPKaPaPKlPlN2at6native12_GLOBAL__N_18offset_tEEE10hipError_tPvRmT1_PNSt15iterator_traitsIS12_E10value_typeET2_T3_PNS13_IS18_E10value_typeET4_jRbjT5_S1E_jjP12ihipStream_tbEUljE_ZNSN_ISO_Lb0ESQ_SR_ST_SU_SY_EESZ_S10_S11_S12_S16_S17_S18_S1B_S1C_jS1D_jS1E_S1E_jjS1G_bEUljE0_EEESZ_S10_S11_S18_S1C_S1E_T6_T7_T9_mT8_S1G_bDpT10_ENKUlT_T0_E_clISt17integral_constantIbLb0EES1T_IbLb1EEEEDaS1P_S1Q_EUlS1P_E_NS1_11comp_targetILNS1_3genE4ELNS1_11target_archE910ELNS1_3gpuE8ELNS1_3repE0EEENS1_30default_config_static_selectorELNS0_4arch9wavefront6targetE0EEEvS12_
                                        ; -- End function
	.set _ZN7rocprim17ROCPRIM_400000_NS6detail17trampoline_kernelINS0_13select_configILj256ELj13ELNS0_17block_load_methodE3ELS4_3ELS4_3ELNS0_20block_scan_algorithmE0ELj4294967295EEENS1_25partition_config_selectorILNS1_17partition_subalgoE4EjNS0_10empty_typeEbEEZZNS1_14partition_implILS8_4ELb0ES6_15HIP_vector_typeIjLj2EENS0_17counting_iteratorIjlEEPS9_SG_NS0_5tupleIJPjSI_NS0_16reverse_iteratorISI_EEEEENSH_IJSG_SG_SG_EEES9_SI_JZNS1_25segmented_radix_sort_implINS0_14default_configELb0EPKaPaPKlPlN2at6native12_GLOBAL__N_18offset_tEEE10hipError_tPvRmT1_PNSt15iterator_traitsIS12_E10value_typeET2_T3_PNS13_IS18_E10value_typeET4_jRbjT5_S1E_jjP12ihipStream_tbEUljE_ZNSN_ISO_Lb0ESQ_SR_ST_SU_SY_EESZ_S10_S11_S12_S16_S17_S18_S1B_S1C_jS1D_jS1E_S1E_jjS1G_bEUljE0_EEESZ_S10_S11_S18_S1C_S1E_T6_T7_T9_mT8_S1G_bDpT10_ENKUlT_T0_E_clISt17integral_constantIbLb0EES1T_IbLb1EEEEDaS1P_S1Q_EUlS1P_E_NS1_11comp_targetILNS1_3genE4ELNS1_11target_archE910ELNS1_3gpuE8ELNS1_3repE0EEENS1_30default_config_static_selectorELNS0_4arch9wavefront6targetE0EEEvS12_.num_vgpr, 0
	.set _ZN7rocprim17ROCPRIM_400000_NS6detail17trampoline_kernelINS0_13select_configILj256ELj13ELNS0_17block_load_methodE3ELS4_3ELS4_3ELNS0_20block_scan_algorithmE0ELj4294967295EEENS1_25partition_config_selectorILNS1_17partition_subalgoE4EjNS0_10empty_typeEbEEZZNS1_14partition_implILS8_4ELb0ES6_15HIP_vector_typeIjLj2EENS0_17counting_iteratorIjlEEPS9_SG_NS0_5tupleIJPjSI_NS0_16reverse_iteratorISI_EEEEENSH_IJSG_SG_SG_EEES9_SI_JZNS1_25segmented_radix_sort_implINS0_14default_configELb0EPKaPaPKlPlN2at6native12_GLOBAL__N_18offset_tEEE10hipError_tPvRmT1_PNSt15iterator_traitsIS12_E10value_typeET2_T3_PNS13_IS18_E10value_typeET4_jRbjT5_S1E_jjP12ihipStream_tbEUljE_ZNSN_ISO_Lb0ESQ_SR_ST_SU_SY_EESZ_S10_S11_S12_S16_S17_S18_S1B_S1C_jS1D_jS1E_S1E_jjS1G_bEUljE0_EEESZ_S10_S11_S18_S1C_S1E_T6_T7_T9_mT8_S1G_bDpT10_ENKUlT_T0_E_clISt17integral_constantIbLb0EES1T_IbLb1EEEEDaS1P_S1Q_EUlS1P_E_NS1_11comp_targetILNS1_3genE4ELNS1_11target_archE910ELNS1_3gpuE8ELNS1_3repE0EEENS1_30default_config_static_selectorELNS0_4arch9wavefront6targetE0EEEvS12_.num_agpr, 0
	.set _ZN7rocprim17ROCPRIM_400000_NS6detail17trampoline_kernelINS0_13select_configILj256ELj13ELNS0_17block_load_methodE3ELS4_3ELS4_3ELNS0_20block_scan_algorithmE0ELj4294967295EEENS1_25partition_config_selectorILNS1_17partition_subalgoE4EjNS0_10empty_typeEbEEZZNS1_14partition_implILS8_4ELb0ES6_15HIP_vector_typeIjLj2EENS0_17counting_iteratorIjlEEPS9_SG_NS0_5tupleIJPjSI_NS0_16reverse_iteratorISI_EEEEENSH_IJSG_SG_SG_EEES9_SI_JZNS1_25segmented_radix_sort_implINS0_14default_configELb0EPKaPaPKlPlN2at6native12_GLOBAL__N_18offset_tEEE10hipError_tPvRmT1_PNSt15iterator_traitsIS12_E10value_typeET2_T3_PNS13_IS18_E10value_typeET4_jRbjT5_S1E_jjP12ihipStream_tbEUljE_ZNSN_ISO_Lb0ESQ_SR_ST_SU_SY_EESZ_S10_S11_S12_S16_S17_S18_S1B_S1C_jS1D_jS1E_S1E_jjS1G_bEUljE0_EEESZ_S10_S11_S18_S1C_S1E_T6_T7_T9_mT8_S1G_bDpT10_ENKUlT_T0_E_clISt17integral_constantIbLb0EES1T_IbLb1EEEEDaS1P_S1Q_EUlS1P_E_NS1_11comp_targetILNS1_3genE4ELNS1_11target_archE910ELNS1_3gpuE8ELNS1_3repE0EEENS1_30default_config_static_selectorELNS0_4arch9wavefront6targetE0EEEvS12_.numbered_sgpr, 0
	.set _ZN7rocprim17ROCPRIM_400000_NS6detail17trampoline_kernelINS0_13select_configILj256ELj13ELNS0_17block_load_methodE3ELS4_3ELS4_3ELNS0_20block_scan_algorithmE0ELj4294967295EEENS1_25partition_config_selectorILNS1_17partition_subalgoE4EjNS0_10empty_typeEbEEZZNS1_14partition_implILS8_4ELb0ES6_15HIP_vector_typeIjLj2EENS0_17counting_iteratorIjlEEPS9_SG_NS0_5tupleIJPjSI_NS0_16reverse_iteratorISI_EEEEENSH_IJSG_SG_SG_EEES9_SI_JZNS1_25segmented_radix_sort_implINS0_14default_configELb0EPKaPaPKlPlN2at6native12_GLOBAL__N_18offset_tEEE10hipError_tPvRmT1_PNSt15iterator_traitsIS12_E10value_typeET2_T3_PNS13_IS18_E10value_typeET4_jRbjT5_S1E_jjP12ihipStream_tbEUljE_ZNSN_ISO_Lb0ESQ_SR_ST_SU_SY_EESZ_S10_S11_S12_S16_S17_S18_S1B_S1C_jS1D_jS1E_S1E_jjS1G_bEUljE0_EEESZ_S10_S11_S18_S1C_S1E_T6_T7_T9_mT8_S1G_bDpT10_ENKUlT_T0_E_clISt17integral_constantIbLb0EES1T_IbLb1EEEEDaS1P_S1Q_EUlS1P_E_NS1_11comp_targetILNS1_3genE4ELNS1_11target_archE910ELNS1_3gpuE8ELNS1_3repE0EEENS1_30default_config_static_selectorELNS0_4arch9wavefront6targetE0EEEvS12_.num_named_barrier, 0
	.set _ZN7rocprim17ROCPRIM_400000_NS6detail17trampoline_kernelINS0_13select_configILj256ELj13ELNS0_17block_load_methodE3ELS4_3ELS4_3ELNS0_20block_scan_algorithmE0ELj4294967295EEENS1_25partition_config_selectorILNS1_17partition_subalgoE4EjNS0_10empty_typeEbEEZZNS1_14partition_implILS8_4ELb0ES6_15HIP_vector_typeIjLj2EENS0_17counting_iteratorIjlEEPS9_SG_NS0_5tupleIJPjSI_NS0_16reverse_iteratorISI_EEEEENSH_IJSG_SG_SG_EEES9_SI_JZNS1_25segmented_radix_sort_implINS0_14default_configELb0EPKaPaPKlPlN2at6native12_GLOBAL__N_18offset_tEEE10hipError_tPvRmT1_PNSt15iterator_traitsIS12_E10value_typeET2_T3_PNS13_IS18_E10value_typeET4_jRbjT5_S1E_jjP12ihipStream_tbEUljE_ZNSN_ISO_Lb0ESQ_SR_ST_SU_SY_EESZ_S10_S11_S12_S16_S17_S18_S1B_S1C_jS1D_jS1E_S1E_jjS1G_bEUljE0_EEESZ_S10_S11_S18_S1C_S1E_T6_T7_T9_mT8_S1G_bDpT10_ENKUlT_T0_E_clISt17integral_constantIbLb0EES1T_IbLb1EEEEDaS1P_S1Q_EUlS1P_E_NS1_11comp_targetILNS1_3genE4ELNS1_11target_archE910ELNS1_3gpuE8ELNS1_3repE0EEENS1_30default_config_static_selectorELNS0_4arch9wavefront6targetE0EEEvS12_.private_seg_size, 0
	.set _ZN7rocprim17ROCPRIM_400000_NS6detail17trampoline_kernelINS0_13select_configILj256ELj13ELNS0_17block_load_methodE3ELS4_3ELS4_3ELNS0_20block_scan_algorithmE0ELj4294967295EEENS1_25partition_config_selectorILNS1_17partition_subalgoE4EjNS0_10empty_typeEbEEZZNS1_14partition_implILS8_4ELb0ES6_15HIP_vector_typeIjLj2EENS0_17counting_iteratorIjlEEPS9_SG_NS0_5tupleIJPjSI_NS0_16reverse_iteratorISI_EEEEENSH_IJSG_SG_SG_EEES9_SI_JZNS1_25segmented_radix_sort_implINS0_14default_configELb0EPKaPaPKlPlN2at6native12_GLOBAL__N_18offset_tEEE10hipError_tPvRmT1_PNSt15iterator_traitsIS12_E10value_typeET2_T3_PNS13_IS18_E10value_typeET4_jRbjT5_S1E_jjP12ihipStream_tbEUljE_ZNSN_ISO_Lb0ESQ_SR_ST_SU_SY_EESZ_S10_S11_S12_S16_S17_S18_S1B_S1C_jS1D_jS1E_S1E_jjS1G_bEUljE0_EEESZ_S10_S11_S18_S1C_S1E_T6_T7_T9_mT8_S1G_bDpT10_ENKUlT_T0_E_clISt17integral_constantIbLb0EES1T_IbLb1EEEEDaS1P_S1Q_EUlS1P_E_NS1_11comp_targetILNS1_3genE4ELNS1_11target_archE910ELNS1_3gpuE8ELNS1_3repE0EEENS1_30default_config_static_selectorELNS0_4arch9wavefront6targetE0EEEvS12_.uses_vcc, 0
	.set _ZN7rocprim17ROCPRIM_400000_NS6detail17trampoline_kernelINS0_13select_configILj256ELj13ELNS0_17block_load_methodE3ELS4_3ELS4_3ELNS0_20block_scan_algorithmE0ELj4294967295EEENS1_25partition_config_selectorILNS1_17partition_subalgoE4EjNS0_10empty_typeEbEEZZNS1_14partition_implILS8_4ELb0ES6_15HIP_vector_typeIjLj2EENS0_17counting_iteratorIjlEEPS9_SG_NS0_5tupleIJPjSI_NS0_16reverse_iteratorISI_EEEEENSH_IJSG_SG_SG_EEES9_SI_JZNS1_25segmented_radix_sort_implINS0_14default_configELb0EPKaPaPKlPlN2at6native12_GLOBAL__N_18offset_tEEE10hipError_tPvRmT1_PNSt15iterator_traitsIS12_E10value_typeET2_T3_PNS13_IS18_E10value_typeET4_jRbjT5_S1E_jjP12ihipStream_tbEUljE_ZNSN_ISO_Lb0ESQ_SR_ST_SU_SY_EESZ_S10_S11_S12_S16_S17_S18_S1B_S1C_jS1D_jS1E_S1E_jjS1G_bEUljE0_EEESZ_S10_S11_S18_S1C_S1E_T6_T7_T9_mT8_S1G_bDpT10_ENKUlT_T0_E_clISt17integral_constantIbLb0EES1T_IbLb1EEEEDaS1P_S1Q_EUlS1P_E_NS1_11comp_targetILNS1_3genE4ELNS1_11target_archE910ELNS1_3gpuE8ELNS1_3repE0EEENS1_30default_config_static_selectorELNS0_4arch9wavefront6targetE0EEEvS12_.uses_flat_scratch, 0
	.set _ZN7rocprim17ROCPRIM_400000_NS6detail17trampoline_kernelINS0_13select_configILj256ELj13ELNS0_17block_load_methodE3ELS4_3ELS4_3ELNS0_20block_scan_algorithmE0ELj4294967295EEENS1_25partition_config_selectorILNS1_17partition_subalgoE4EjNS0_10empty_typeEbEEZZNS1_14partition_implILS8_4ELb0ES6_15HIP_vector_typeIjLj2EENS0_17counting_iteratorIjlEEPS9_SG_NS0_5tupleIJPjSI_NS0_16reverse_iteratorISI_EEEEENSH_IJSG_SG_SG_EEES9_SI_JZNS1_25segmented_radix_sort_implINS0_14default_configELb0EPKaPaPKlPlN2at6native12_GLOBAL__N_18offset_tEEE10hipError_tPvRmT1_PNSt15iterator_traitsIS12_E10value_typeET2_T3_PNS13_IS18_E10value_typeET4_jRbjT5_S1E_jjP12ihipStream_tbEUljE_ZNSN_ISO_Lb0ESQ_SR_ST_SU_SY_EESZ_S10_S11_S12_S16_S17_S18_S1B_S1C_jS1D_jS1E_S1E_jjS1G_bEUljE0_EEESZ_S10_S11_S18_S1C_S1E_T6_T7_T9_mT8_S1G_bDpT10_ENKUlT_T0_E_clISt17integral_constantIbLb0EES1T_IbLb1EEEEDaS1P_S1Q_EUlS1P_E_NS1_11comp_targetILNS1_3genE4ELNS1_11target_archE910ELNS1_3gpuE8ELNS1_3repE0EEENS1_30default_config_static_selectorELNS0_4arch9wavefront6targetE0EEEvS12_.has_dyn_sized_stack, 0
	.set _ZN7rocprim17ROCPRIM_400000_NS6detail17trampoline_kernelINS0_13select_configILj256ELj13ELNS0_17block_load_methodE3ELS4_3ELS4_3ELNS0_20block_scan_algorithmE0ELj4294967295EEENS1_25partition_config_selectorILNS1_17partition_subalgoE4EjNS0_10empty_typeEbEEZZNS1_14partition_implILS8_4ELb0ES6_15HIP_vector_typeIjLj2EENS0_17counting_iteratorIjlEEPS9_SG_NS0_5tupleIJPjSI_NS0_16reverse_iteratorISI_EEEEENSH_IJSG_SG_SG_EEES9_SI_JZNS1_25segmented_radix_sort_implINS0_14default_configELb0EPKaPaPKlPlN2at6native12_GLOBAL__N_18offset_tEEE10hipError_tPvRmT1_PNSt15iterator_traitsIS12_E10value_typeET2_T3_PNS13_IS18_E10value_typeET4_jRbjT5_S1E_jjP12ihipStream_tbEUljE_ZNSN_ISO_Lb0ESQ_SR_ST_SU_SY_EESZ_S10_S11_S12_S16_S17_S18_S1B_S1C_jS1D_jS1E_S1E_jjS1G_bEUljE0_EEESZ_S10_S11_S18_S1C_S1E_T6_T7_T9_mT8_S1G_bDpT10_ENKUlT_T0_E_clISt17integral_constantIbLb0EES1T_IbLb1EEEEDaS1P_S1Q_EUlS1P_E_NS1_11comp_targetILNS1_3genE4ELNS1_11target_archE910ELNS1_3gpuE8ELNS1_3repE0EEENS1_30default_config_static_selectorELNS0_4arch9wavefront6targetE0EEEvS12_.has_recursion, 0
	.set _ZN7rocprim17ROCPRIM_400000_NS6detail17trampoline_kernelINS0_13select_configILj256ELj13ELNS0_17block_load_methodE3ELS4_3ELS4_3ELNS0_20block_scan_algorithmE0ELj4294967295EEENS1_25partition_config_selectorILNS1_17partition_subalgoE4EjNS0_10empty_typeEbEEZZNS1_14partition_implILS8_4ELb0ES6_15HIP_vector_typeIjLj2EENS0_17counting_iteratorIjlEEPS9_SG_NS0_5tupleIJPjSI_NS0_16reverse_iteratorISI_EEEEENSH_IJSG_SG_SG_EEES9_SI_JZNS1_25segmented_radix_sort_implINS0_14default_configELb0EPKaPaPKlPlN2at6native12_GLOBAL__N_18offset_tEEE10hipError_tPvRmT1_PNSt15iterator_traitsIS12_E10value_typeET2_T3_PNS13_IS18_E10value_typeET4_jRbjT5_S1E_jjP12ihipStream_tbEUljE_ZNSN_ISO_Lb0ESQ_SR_ST_SU_SY_EESZ_S10_S11_S12_S16_S17_S18_S1B_S1C_jS1D_jS1E_S1E_jjS1G_bEUljE0_EEESZ_S10_S11_S18_S1C_S1E_T6_T7_T9_mT8_S1G_bDpT10_ENKUlT_T0_E_clISt17integral_constantIbLb0EES1T_IbLb1EEEEDaS1P_S1Q_EUlS1P_E_NS1_11comp_targetILNS1_3genE4ELNS1_11target_archE910ELNS1_3gpuE8ELNS1_3repE0EEENS1_30default_config_static_selectorELNS0_4arch9wavefront6targetE0EEEvS12_.has_indirect_call, 0
	.section	.AMDGPU.csdata,"",@progbits
; Kernel info:
; codeLenInByte = 0
; TotalNumSgprs: 0
; NumVgprs: 0
; ScratchSize: 0
; MemoryBound: 0
; FloatMode: 240
; IeeeMode: 1
; LDSByteSize: 0 bytes/workgroup (compile time only)
; SGPRBlocks: 0
; VGPRBlocks: 0
; NumSGPRsForWavesPerEU: 1
; NumVGPRsForWavesPerEU: 1
; Occupancy: 16
; WaveLimiterHint : 0
; COMPUTE_PGM_RSRC2:SCRATCH_EN: 0
; COMPUTE_PGM_RSRC2:USER_SGPR: 2
; COMPUTE_PGM_RSRC2:TRAP_HANDLER: 0
; COMPUTE_PGM_RSRC2:TGID_X_EN: 1
; COMPUTE_PGM_RSRC2:TGID_Y_EN: 0
; COMPUTE_PGM_RSRC2:TGID_Z_EN: 0
; COMPUTE_PGM_RSRC2:TIDIG_COMP_CNT: 0
	.section	.text._ZN7rocprim17ROCPRIM_400000_NS6detail17trampoline_kernelINS0_13select_configILj256ELj13ELNS0_17block_load_methodE3ELS4_3ELS4_3ELNS0_20block_scan_algorithmE0ELj4294967295EEENS1_25partition_config_selectorILNS1_17partition_subalgoE4EjNS0_10empty_typeEbEEZZNS1_14partition_implILS8_4ELb0ES6_15HIP_vector_typeIjLj2EENS0_17counting_iteratorIjlEEPS9_SG_NS0_5tupleIJPjSI_NS0_16reverse_iteratorISI_EEEEENSH_IJSG_SG_SG_EEES9_SI_JZNS1_25segmented_radix_sort_implINS0_14default_configELb0EPKaPaPKlPlN2at6native12_GLOBAL__N_18offset_tEEE10hipError_tPvRmT1_PNSt15iterator_traitsIS12_E10value_typeET2_T3_PNS13_IS18_E10value_typeET4_jRbjT5_S1E_jjP12ihipStream_tbEUljE_ZNSN_ISO_Lb0ESQ_SR_ST_SU_SY_EESZ_S10_S11_S12_S16_S17_S18_S1B_S1C_jS1D_jS1E_S1E_jjS1G_bEUljE0_EEESZ_S10_S11_S18_S1C_S1E_T6_T7_T9_mT8_S1G_bDpT10_ENKUlT_T0_E_clISt17integral_constantIbLb0EES1T_IbLb1EEEEDaS1P_S1Q_EUlS1P_E_NS1_11comp_targetILNS1_3genE3ELNS1_11target_archE908ELNS1_3gpuE7ELNS1_3repE0EEENS1_30default_config_static_selectorELNS0_4arch9wavefront6targetE0EEEvS12_,"axG",@progbits,_ZN7rocprim17ROCPRIM_400000_NS6detail17trampoline_kernelINS0_13select_configILj256ELj13ELNS0_17block_load_methodE3ELS4_3ELS4_3ELNS0_20block_scan_algorithmE0ELj4294967295EEENS1_25partition_config_selectorILNS1_17partition_subalgoE4EjNS0_10empty_typeEbEEZZNS1_14partition_implILS8_4ELb0ES6_15HIP_vector_typeIjLj2EENS0_17counting_iteratorIjlEEPS9_SG_NS0_5tupleIJPjSI_NS0_16reverse_iteratorISI_EEEEENSH_IJSG_SG_SG_EEES9_SI_JZNS1_25segmented_radix_sort_implINS0_14default_configELb0EPKaPaPKlPlN2at6native12_GLOBAL__N_18offset_tEEE10hipError_tPvRmT1_PNSt15iterator_traitsIS12_E10value_typeET2_T3_PNS13_IS18_E10value_typeET4_jRbjT5_S1E_jjP12ihipStream_tbEUljE_ZNSN_ISO_Lb0ESQ_SR_ST_SU_SY_EESZ_S10_S11_S12_S16_S17_S18_S1B_S1C_jS1D_jS1E_S1E_jjS1G_bEUljE0_EEESZ_S10_S11_S18_S1C_S1E_T6_T7_T9_mT8_S1G_bDpT10_ENKUlT_T0_E_clISt17integral_constantIbLb0EES1T_IbLb1EEEEDaS1P_S1Q_EUlS1P_E_NS1_11comp_targetILNS1_3genE3ELNS1_11target_archE908ELNS1_3gpuE7ELNS1_3repE0EEENS1_30default_config_static_selectorELNS0_4arch9wavefront6targetE0EEEvS12_,comdat
	.globl	_ZN7rocprim17ROCPRIM_400000_NS6detail17trampoline_kernelINS0_13select_configILj256ELj13ELNS0_17block_load_methodE3ELS4_3ELS4_3ELNS0_20block_scan_algorithmE0ELj4294967295EEENS1_25partition_config_selectorILNS1_17partition_subalgoE4EjNS0_10empty_typeEbEEZZNS1_14partition_implILS8_4ELb0ES6_15HIP_vector_typeIjLj2EENS0_17counting_iteratorIjlEEPS9_SG_NS0_5tupleIJPjSI_NS0_16reverse_iteratorISI_EEEEENSH_IJSG_SG_SG_EEES9_SI_JZNS1_25segmented_radix_sort_implINS0_14default_configELb0EPKaPaPKlPlN2at6native12_GLOBAL__N_18offset_tEEE10hipError_tPvRmT1_PNSt15iterator_traitsIS12_E10value_typeET2_T3_PNS13_IS18_E10value_typeET4_jRbjT5_S1E_jjP12ihipStream_tbEUljE_ZNSN_ISO_Lb0ESQ_SR_ST_SU_SY_EESZ_S10_S11_S12_S16_S17_S18_S1B_S1C_jS1D_jS1E_S1E_jjS1G_bEUljE0_EEESZ_S10_S11_S18_S1C_S1E_T6_T7_T9_mT8_S1G_bDpT10_ENKUlT_T0_E_clISt17integral_constantIbLb0EES1T_IbLb1EEEEDaS1P_S1Q_EUlS1P_E_NS1_11comp_targetILNS1_3genE3ELNS1_11target_archE908ELNS1_3gpuE7ELNS1_3repE0EEENS1_30default_config_static_selectorELNS0_4arch9wavefront6targetE0EEEvS12_ ; -- Begin function _ZN7rocprim17ROCPRIM_400000_NS6detail17trampoline_kernelINS0_13select_configILj256ELj13ELNS0_17block_load_methodE3ELS4_3ELS4_3ELNS0_20block_scan_algorithmE0ELj4294967295EEENS1_25partition_config_selectorILNS1_17partition_subalgoE4EjNS0_10empty_typeEbEEZZNS1_14partition_implILS8_4ELb0ES6_15HIP_vector_typeIjLj2EENS0_17counting_iteratorIjlEEPS9_SG_NS0_5tupleIJPjSI_NS0_16reverse_iteratorISI_EEEEENSH_IJSG_SG_SG_EEES9_SI_JZNS1_25segmented_radix_sort_implINS0_14default_configELb0EPKaPaPKlPlN2at6native12_GLOBAL__N_18offset_tEEE10hipError_tPvRmT1_PNSt15iterator_traitsIS12_E10value_typeET2_T3_PNS13_IS18_E10value_typeET4_jRbjT5_S1E_jjP12ihipStream_tbEUljE_ZNSN_ISO_Lb0ESQ_SR_ST_SU_SY_EESZ_S10_S11_S12_S16_S17_S18_S1B_S1C_jS1D_jS1E_S1E_jjS1G_bEUljE0_EEESZ_S10_S11_S18_S1C_S1E_T6_T7_T9_mT8_S1G_bDpT10_ENKUlT_T0_E_clISt17integral_constantIbLb0EES1T_IbLb1EEEEDaS1P_S1Q_EUlS1P_E_NS1_11comp_targetILNS1_3genE3ELNS1_11target_archE908ELNS1_3gpuE7ELNS1_3repE0EEENS1_30default_config_static_selectorELNS0_4arch9wavefront6targetE0EEEvS12_
	.p2align	8
	.type	_ZN7rocprim17ROCPRIM_400000_NS6detail17trampoline_kernelINS0_13select_configILj256ELj13ELNS0_17block_load_methodE3ELS4_3ELS4_3ELNS0_20block_scan_algorithmE0ELj4294967295EEENS1_25partition_config_selectorILNS1_17partition_subalgoE4EjNS0_10empty_typeEbEEZZNS1_14partition_implILS8_4ELb0ES6_15HIP_vector_typeIjLj2EENS0_17counting_iteratorIjlEEPS9_SG_NS0_5tupleIJPjSI_NS0_16reverse_iteratorISI_EEEEENSH_IJSG_SG_SG_EEES9_SI_JZNS1_25segmented_radix_sort_implINS0_14default_configELb0EPKaPaPKlPlN2at6native12_GLOBAL__N_18offset_tEEE10hipError_tPvRmT1_PNSt15iterator_traitsIS12_E10value_typeET2_T3_PNS13_IS18_E10value_typeET4_jRbjT5_S1E_jjP12ihipStream_tbEUljE_ZNSN_ISO_Lb0ESQ_SR_ST_SU_SY_EESZ_S10_S11_S12_S16_S17_S18_S1B_S1C_jS1D_jS1E_S1E_jjS1G_bEUljE0_EEESZ_S10_S11_S18_S1C_S1E_T6_T7_T9_mT8_S1G_bDpT10_ENKUlT_T0_E_clISt17integral_constantIbLb0EES1T_IbLb1EEEEDaS1P_S1Q_EUlS1P_E_NS1_11comp_targetILNS1_3genE3ELNS1_11target_archE908ELNS1_3gpuE7ELNS1_3repE0EEENS1_30default_config_static_selectorELNS0_4arch9wavefront6targetE0EEEvS12_,@function
_ZN7rocprim17ROCPRIM_400000_NS6detail17trampoline_kernelINS0_13select_configILj256ELj13ELNS0_17block_load_methodE3ELS4_3ELS4_3ELNS0_20block_scan_algorithmE0ELj4294967295EEENS1_25partition_config_selectorILNS1_17partition_subalgoE4EjNS0_10empty_typeEbEEZZNS1_14partition_implILS8_4ELb0ES6_15HIP_vector_typeIjLj2EENS0_17counting_iteratorIjlEEPS9_SG_NS0_5tupleIJPjSI_NS0_16reverse_iteratorISI_EEEEENSH_IJSG_SG_SG_EEES9_SI_JZNS1_25segmented_radix_sort_implINS0_14default_configELb0EPKaPaPKlPlN2at6native12_GLOBAL__N_18offset_tEEE10hipError_tPvRmT1_PNSt15iterator_traitsIS12_E10value_typeET2_T3_PNS13_IS18_E10value_typeET4_jRbjT5_S1E_jjP12ihipStream_tbEUljE_ZNSN_ISO_Lb0ESQ_SR_ST_SU_SY_EESZ_S10_S11_S12_S16_S17_S18_S1B_S1C_jS1D_jS1E_S1E_jjS1G_bEUljE0_EEESZ_S10_S11_S18_S1C_S1E_T6_T7_T9_mT8_S1G_bDpT10_ENKUlT_T0_E_clISt17integral_constantIbLb0EES1T_IbLb1EEEEDaS1P_S1Q_EUlS1P_E_NS1_11comp_targetILNS1_3genE3ELNS1_11target_archE908ELNS1_3gpuE7ELNS1_3repE0EEENS1_30default_config_static_selectorELNS0_4arch9wavefront6targetE0EEEvS12_: ; @_ZN7rocprim17ROCPRIM_400000_NS6detail17trampoline_kernelINS0_13select_configILj256ELj13ELNS0_17block_load_methodE3ELS4_3ELS4_3ELNS0_20block_scan_algorithmE0ELj4294967295EEENS1_25partition_config_selectorILNS1_17partition_subalgoE4EjNS0_10empty_typeEbEEZZNS1_14partition_implILS8_4ELb0ES6_15HIP_vector_typeIjLj2EENS0_17counting_iteratorIjlEEPS9_SG_NS0_5tupleIJPjSI_NS0_16reverse_iteratorISI_EEEEENSH_IJSG_SG_SG_EEES9_SI_JZNS1_25segmented_radix_sort_implINS0_14default_configELb0EPKaPaPKlPlN2at6native12_GLOBAL__N_18offset_tEEE10hipError_tPvRmT1_PNSt15iterator_traitsIS12_E10value_typeET2_T3_PNS13_IS18_E10value_typeET4_jRbjT5_S1E_jjP12ihipStream_tbEUljE_ZNSN_ISO_Lb0ESQ_SR_ST_SU_SY_EESZ_S10_S11_S12_S16_S17_S18_S1B_S1C_jS1D_jS1E_S1E_jjS1G_bEUljE0_EEESZ_S10_S11_S18_S1C_S1E_T6_T7_T9_mT8_S1G_bDpT10_ENKUlT_T0_E_clISt17integral_constantIbLb0EES1T_IbLb1EEEEDaS1P_S1Q_EUlS1P_E_NS1_11comp_targetILNS1_3genE3ELNS1_11target_archE908ELNS1_3gpuE7ELNS1_3repE0EEENS1_30default_config_static_selectorELNS0_4arch9wavefront6targetE0EEEvS12_
; %bb.0:
	.section	.rodata,"a",@progbits
	.p2align	6, 0x0
	.amdhsa_kernel _ZN7rocprim17ROCPRIM_400000_NS6detail17trampoline_kernelINS0_13select_configILj256ELj13ELNS0_17block_load_methodE3ELS4_3ELS4_3ELNS0_20block_scan_algorithmE0ELj4294967295EEENS1_25partition_config_selectorILNS1_17partition_subalgoE4EjNS0_10empty_typeEbEEZZNS1_14partition_implILS8_4ELb0ES6_15HIP_vector_typeIjLj2EENS0_17counting_iteratorIjlEEPS9_SG_NS0_5tupleIJPjSI_NS0_16reverse_iteratorISI_EEEEENSH_IJSG_SG_SG_EEES9_SI_JZNS1_25segmented_radix_sort_implINS0_14default_configELb0EPKaPaPKlPlN2at6native12_GLOBAL__N_18offset_tEEE10hipError_tPvRmT1_PNSt15iterator_traitsIS12_E10value_typeET2_T3_PNS13_IS18_E10value_typeET4_jRbjT5_S1E_jjP12ihipStream_tbEUljE_ZNSN_ISO_Lb0ESQ_SR_ST_SU_SY_EESZ_S10_S11_S12_S16_S17_S18_S1B_S1C_jS1D_jS1E_S1E_jjS1G_bEUljE0_EEESZ_S10_S11_S18_S1C_S1E_T6_T7_T9_mT8_S1G_bDpT10_ENKUlT_T0_E_clISt17integral_constantIbLb0EES1T_IbLb1EEEEDaS1P_S1Q_EUlS1P_E_NS1_11comp_targetILNS1_3genE3ELNS1_11target_archE908ELNS1_3gpuE7ELNS1_3repE0EEENS1_30default_config_static_selectorELNS0_4arch9wavefront6targetE0EEEvS12_
		.amdhsa_group_segment_fixed_size 0
		.amdhsa_private_segment_fixed_size 0
		.amdhsa_kernarg_size 184
		.amdhsa_user_sgpr_count 2
		.amdhsa_user_sgpr_dispatch_ptr 0
		.amdhsa_user_sgpr_queue_ptr 0
		.amdhsa_user_sgpr_kernarg_segment_ptr 1
		.amdhsa_user_sgpr_dispatch_id 0
		.amdhsa_user_sgpr_private_segment_size 0
		.amdhsa_wavefront_size32 1
		.amdhsa_uses_dynamic_stack 0
		.amdhsa_enable_private_segment 0
		.amdhsa_system_sgpr_workgroup_id_x 1
		.amdhsa_system_sgpr_workgroup_id_y 0
		.amdhsa_system_sgpr_workgroup_id_z 0
		.amdhsa_system_sgpr_workgroup_info 0
		.amdhsa_system_vgpr_workitem_id 0
		.amdhsa_next_free_vgpr 1
		.amdhsa_next_free_sgpr 1
		.amdhsa_reserve_vcc 0
		.amdhsa_float_round_mode_32 0
		.amdhsa_float_round_mode_16_64 0
		.amdhsa_float_denorm_mode_32 3
		.amdhsa_float_denorm_mode_16_64 3
		.amdhsa_fp16_overflow 0
		.amdhsa_workgroup_processor_mode 1
		.amdhsa_memory_ordered 1
		.amdhsa_forward_progress 1
		.amdhsa_inst_pref_size 0
		.amdhsa_round_robin_scheduling 0
		.amdhsa_exception_fp_ieee_invalid_op 0
		.amdhsa_exception_fp_denorm_src 0
		.amdhsa_exception_fp_ieee_div_zero 0
		.amdhsa_exception_fp_ieee_overflow 0
		.amdhsa_exception_fp_ieee_underflow 0
		.amdhsa_exception_fp_ieee_inexact 0
		.amdhsa_exception_int_div_zero 0
	.end_amdhsa_kernel
	.section	.text._ZN7rocprim17ROCPRIM_400000_NS6detail17trampoline_kernelINS0_13select_configILj256ELj13ELNS0_17block_load_methodE3ELS4_3ELS4_3ELNS0_20block_scan_algorithmE0ELj4294967295EEENS1_25partition_config_selectorILNS1_17partition_subalgoE4EjNS0_10empty_typeEbEEZZNS1_14partition_implILS8_4ELb0ES6_15HIP_vector_typeIjLj2EENS0_17counting_iteratorIjlEEPS9_SG_NS0_5tupleIJPjSI_NS0_16reverse_iteratorISI_EEEEENSH_IJSG_SG_SG_EEES9_SI_JZNS1_25segmented_radix_sort_implINS0_14default_configELb0EPKaPaPKlPlN2at6native12_GLOBAL__N_18offset_tEEE10hipError_tPvRmT1_PNSt15iterator_traitsIS12_E10value_typeET2_T3_PNS13_IS18_E10value_typeET4_jRbjT5_S1E_jjP12ihipStream_tbEUljE_ZNSN_ISO_Lb0ESQ_SR_ST_SU_SY_EESZ_S10_S11_S12_S16_S17_S18_S1B_S1C_jS1D_jS1E_S1E_jjS1G_bEUljE0_EEESZ_S10_S11_S18_S1C_S1E_T6_T7_T9_mT8_S1G_bDpT10_ENKUlT_T0_E_clISt17integral_constantIbLb0EES1T_IbLb1EEEEDaS1P_S1Q_EUlS1P_E_NS1_11comp_targetILNS1_3genE3ELNS1_11target_archE908ELNS1_3gpuE7ELNS1_3repE0EEENS1_30default_config_static_selectorELNS0_4arch9wavefront6targetE0EEEvS12_,"axG",@progbits,_ZN7rocprim17ROCPRIM_400000_NS6detail17trampoline_kernelINS0_13select_configILj256ELj13ELNS0_17block_load_methodE3ELS4_3ELS4_3ELNS0_20block_scan_algorithmE0ELj4294967295EEENS1_25partition_config_selectorILNS1_17partition_subalgoE4EjNS0_10empty_typeEbEEZZNS1_14partition_implILS8_4ELb0ES6_15HIP_vector_typeIjLj2EENS0_17counting_iteratorIjlEEPS9_SG_NS0_5tupleIJPjSI_NS0_16reverse_iteratorISI_EEEEENSH_IJSG_SG_SG_EEES9_SI_JZNS1_25segmented_radix_sort_implINS0_14default_configELb0EPKaPaPKlPlN2at6native12_GLOBAL__N_18offset_tEEE10hipError_tPvRmT1_PNSt15iterator_traitsIS12_E10value_typeET2_T3_PNS13_IS18_E10value_typeET4_jRbjT5_S1E_jjP12ihipStream_tbEUljE_ZNSN_ISO_Lb0ESQ_SR_ST_SU_SY_EESZ_S10_S11_S12_S16_S17_S18_S1B_S1C_jS1D_jS1E_S1E_jjS1G_bEUljE0_EEESZ_S10_S11_S18_S1C_S1E_T6_T7_T9_mT8_S1G_bDpT10_ENKUlT_T0_E_clISt17integral_constantIbLb0EES1T_IbLb1EEEEDaS1P_S1Q_EUlS1P_E_NS1_11comp_targetILNS1_3genE3ELNS1_11target_archE908ELNS1_3gpuE7ELNS1_3repE0EEENS1_30default_config_static_selectorELNS0_4arch9wavefront6targetE0EEEvS12_,comdat
.Lfunc_end356:
	.size	_ZN7rocprim17ROCPRIM_400000_NS6detail17trampoline_kernelINS0_13select_configILj256ELj13ELNS0_17block_load_methodE3ELS4_3ELS4_3ELNS0_20block_scan_algorithmE0ELj4294967295EEENS1_25partition_config_selectorILNS1_17partition_subalgoE4EjNS0_10empty_typeEbEEZZNS1_14partition_implILS8_4ELb0ES6_15HIP_vector_typeIjLj2EENS0_17counting_iteratorIjlEEPS9_SG_NS0_5tupleIJPjSI_NS0_16reverse_iteratorISI_EEEEENSH_IJSG_SG_SG_EEES9_SI_JZNS1_25segmented_radix_sort_implINS0_14default_configELb0EPKaPaPKlPlN2at6native12_GLOBAL__N_18offset_tEEE10hipError_tPvRmT1_PNSt15iterator_traitsIS12_E10value_typeET2_T3_PNS13_IS18_E10value_typeET4_jRbjT5_S1E_jjP12ihipStream_tbEUljE_ZNSN_ISO_Lb0ESQ_SR_ST_SU_SY_EESZ_S10_S11_S12_S16_S17_S18_S1B_S1C_jS1D_jS1E_S1E_jjS1G_bEUljE0_EEESZ_S10_S11_S18_S1C_S1E_T6_T7_T9_mT8_S1G_bDpT10_ENKUlT_T0_E_clISt17integral_constantIbLb0EES1T_IbLb1EEEEDaS1P_S1Q_EUlS1P_E_NS1_11comp_targetILNS1_3genE3ELNS1_11target_archE908ELNS1_3gpuE7ELNS1_3repE0EEENS1_30default_config_static_selectorELNS0_4arch9wavefront6targetE0EEEvS12_, .Lfunc_end356-_ZN7rocprim17ROCPRIM_400000_NS6detail17trampoline_kernelINS0_13select_configILj256ELj13ELNS0_17block_load_methodE3ELS4_3ELS4_3ELNS0_20block_scan_algorithmE0ELj4294967295EEENS1_25partition_config_selectorILNS1_17partition_subalgoE4EjNS0_10empty_typeEbEEZZNS1_14partition_implILS8_4ELb0ES6_15HIP_vector_typeIjLj2EENS0_17counting_iteratorIjlEEPS9_SG_NS0_5tupleIJPjSI_NS0_16reverse_iteratorISI_EEEEENSH_IJSG_SG_SG_EEES9_SI_JZNS1_25segmented_radix_sort_implINS0_14default_configELb0EPKaPaPKlPlN2at6native12_GLOBAL__N_18offset_tEEE10hipError_tPvRmT1_PNSt15iterator_traitsIS12_E10value_typeET2_T3_PNS13_IS18_E10value_typeET4_jRbjT5_S1E_jjP12ihipStream_tbEUljE_ZNSN_ISO_Lb0ESQ_SR_ST_SU_SY_EESZ_S10_S11_S12_S16_S17_S18_S1B_S1C_jS1D_jS1E_S1E_jjS1G_bEUljE0_EEESZ_S10_S11_S18_S1C_S1E_T6_T7_T9_mT8_S1G_bDpT10_ENKUlT_T0_E_clISt17integral_constantIbLb0EES1T_IbLb1EEEEDaS1P_S1Q_EUlS1P_E_NS1_11comp_targetILNS1_3genE3ELNS1_11target_archE908ELNS1_3gpuE7ELNS1_3repE0EEENS1_30default_config_static_selectorELNS0_4arch9wavefront6targetE0EEEvS12_
                                        ; -- End function
	.set _ZN7rocprim17ROCPRIM_400000_NS6detail17trampoline_kernelINS0_13select_configILj256ELj13ELNS0_17block_load_methodE3ELS4_3ELS4_3ELNS0_20block_scan_algorithmE0ELj4294967295EEENS1_25partition_config_selectorILNS1_17partition_subalgoE4EjNS0_10empty_typeEbEEZZNS1_14partition_implILS8_4ELb0ES6_15HIP_vector_typeIjLj2EENS0_17counting_iteratorIjlEEPS9_SG_NS0_5tupleIJPjSI_NS0_16reverse_iteratorISI_EEEEENSH_IJSG_SG_SG_EEES9_SI_JZNS1_25segmented_radix_sort_implINS0_14default_configELb0EPKaPaPKlPlN2at6native12_GLOBAL__N_18offset_tEEE10hipError_tPvRmT1_PNSt15iterator_traitsIS12_E10value_typeET2_T3_PNS13_IS18_E10value_typeET4_jRbjT5_S1E_jjP12ihipStream_tbEUljE_ZNSN_ISO_Lb0ESQ_SR_ST_SU_SY_EESZ_S10_S11_S12_S16_S17_S18_S1B_S1C_jS1D_jS1E_S1E_jjS1G_bEUljE0_EEESZ_S10_S11_S18_S1C_S1E_T6_T7_T9_mT8_S1G_bDpT10_ENKUlT_T0_E_clISt17integral_constantIbLb0EES1T_IbLb1EEEEDaS1P_S1Q_EUlS1P_E_NS1_11comp_targetILNS1_3genE3ELNS1_11target_archE908ELNS1_3gpuE7ELNS1_3repE0EEENS1_30default_config_static_selectorELNS0_4arch9wavefront6targetE0EEEvS12_.num_vgpr, 0
	.set _ZN7rocprim17ROCPRIM_400000_NS6detail17trampoline_kernelINS0_13select_configILj256ELj13ELNS0_17block_load_methodE3ELS4_3ELS4_3ELNS0_20block_scan_algorithmE0ELj4294967295EEENS1_25partition_config_selectorILNS1_17partition_subalgoE4EjNS0_10empty_typeEbEEZZNS1_14partition_implILS8_4ELb0ES6_15HIP_vector_typeIjLj2EENS0_17counting_iteratorIjlEEPS9_SG_NS0_5tupleIJPjSI_NS0_16reverse_iteratorISI_EEEEENSH_IJSG_SG_SG_EEES9_SI_JZNS1_25segmented_radix_sort_implINS0_14default_configELb0EPKaPaPKlPlN2at6native12_GLOBAL__N_18offset_tEEE10hipError_tPvRmT1_PNSt15iterator_traitsIS12_E10value_typeET2_T3_PNS13_IS18_E10value_typeET4_jRbjT5_S1E_jjP12ihipStream_tbEUljE_ZNSN_ISO_Lb0ESQ_SR_ST_SU_SY_EESZ_S10_S11_S12_S16_S17_S18_S1B_S1C_jS1D_jS1E_S1E_jjS1G_bEUljE0_EEESZ_S10_S11_S18_S1C_S1E_T6_T7_T9_mT8_S1G_bDpT10_ENKUlT_T0_E_clISt17integral_constantIbLb0EES1T_IbLb1EEEEDaS1P_S1Q_EUlS1P_E_NS1_11comp_targetILNS1_3genE3ELNS1_11target_archE908ELNS1_3gpuE7ELNS1_3repE0EEENS1_30default_config_static_selectorELNS0_4arch9wavefront6targetE0EEEvS12_.num_agpr, 0
	.set _ZN7rocprim17ROCPRIM_400000_NS6detail17trampoline_kernelINS0_13select_configILj256ELj13ELNS0_17block_load_methodE3ELS4_3ELS4_3ELNS0_20block_scan_algorithmE0ELj4294967295EEENS1_25partition_config_selectorILNS1_17partition_subalgoE4EjNS0_10empty_typeEbEEZZNS1_14partition_implILS8_4ELb0ES6_15HIP_vector_typeIjLj2EENS0_17counting_iteratorIjlEEPS9_SG_NS0_5tupleIJPjSI_NS0_16reverse_iteratorISI_EEEEENSH_IJSG_SG_SG_EEES9_SI_JZNS1_25segmented_radix_sort_implINS0_14default_configELb0EPKaPaPKlPlN2at6native12_GLOBAL__N_18offset_tEEE10hipError_tPvRmT1_PNSt15iterator_traitsIS12_E10value_typeET2_T3_PNS13_IS18_E10value_typeET4_jRbjT5_S1E_jjP12ihipStream_tbEUljE_ZNSN_ISO_Lb0ESQ_SR_ST_SU_SY_EESZ_S10_S11_S12_S16_S17_S18_S1B_S1C_jS1D_jS1E_S1E_jjS1G_bEUljE0_EEESZ_S10_S11_S18_S1C_S1E_T6_T7_T9_mT8_S1G_bDpT10_ENKUlT_T0_E_clISt17integral_constantIbLb0EES1T_IbLb1EEEEDaS1P_S1Q_EUlS1P_E_NS1_11comp_targetILNS1_3genE3ELNS1_11target_archE908ELNS1_3gpuE7ELNS1_3repE0EEENS1_30default_config_static_selectorELNS0_4arch9wavefront6targetE0EEEvS12_.numbered_sgpr, 0
	.set _ZN7rocprim17ROCPRIM_400000_NS6detail17trampoline_kernelINS0_13select_configILj256ELj13ELNS0_17block_load_methodE3ELS4_3ELS4_3ELNS0_20block_scan_algorithmE0ELj4294967295EEENS1_25partition_config_selectorILNS1_17partition_subalgoE4EjNS0_10empty_typeEbEEZZNS1_14partition_implILS8_4ELb0ES6_15HIP_vector_typeIjLj2EENS0_17counting_iteratorIjlEEPS9_SG_NS0_5tupleIJPjSI_NS0_16reverse_iteratorISI_EEEEENSH_IJSG_SG_SG_EEES9_SI_JZNS1_25segmented_radix_sort_implINS0_14default_configELb0EPKaPaPKlPlN2at6native12_GLOBAL__N_18offset_tEEE10hipError_tPvRmT1_PNSt15iterator_traitsIS12_E10value_typeET2_T3_PNS13_IS18_E10value_typeET4_jRbjT5_S1E_jjP12ihipStream_tbEUljE_ZNSN_ISO_Lb0ESQ_SR_ST_SU_SY_EESZ_S10_S11_S12_S16_S17_S18_S1B_S1C_jS1D_jS1E_S1E_jjS1G_bEUljE0_EEESZ_S10_S11_S18_S1C_S1E_T6_T7_T9_mT8_S1G_bDpT10_ENKUlT_T0_E_clISt17integral_constantIbLb0EES1T_IbLb1EEEEDaS1P_S1Q_EUlS1P_E_NS1_11comp_targetILNS1_3genE3ELNS1_11target_archE908ELNS1_3gpuE7ELNS1_3repE0EEENS1_30default_config_static_selectorELNS0_4arch9wavefront6targetE0EEEvS12_.num_named_barrier, 0
	.set _ZN7rocprim17ROCPRIM_400000_NS6detail17trampoline_kernelINS0_13select_configILj256ELj13ELNS0_17block_load_methodE3ELS4_3ELS4_3ELNS0_20block_scan_algorithmE0ELj4294967295EEENS1_25partition_config_selectorILNS1_17partition_subalgoE4EjNS0_10empty_typeEbEEZZNS1_14partition_implILS8_4ELb0ES6_15HIP_vector_typeIjLj2EENS0_17counting_iteratorIjlEEPS9_SG_NS0_5tupleIJPjSI_NS0_16reverse_iteratorISI_EEEEENSH_IJSG_SG_SG_EEES9_SI_JZNS1_25segmented_radix_sort_implINS0_14default_configELb0EPKaPaPKlPlN2at6native12_GLOBAL__N_18offset_tEEE10hipError_tPvRmT1_PNSt15iterator_traitsIS12_E10value_typeET2_T3_PNS13_IS18_E10value_typeET4_jRbjT5_S1E_jjP12ihipStream_tbEUljE_ZNSN_ISO_Lb0ESQ_SR_ST_SU_SY_EESZ_S10_S11_S12_S16_S17_S18_S1B_S1C_jS1D_jS1E_S1E_jjS1G_bEUljE0_EEESZ_S10_S11_S18_S1C_S1E_T6_T7_T9_mT8_S1G_bDpT10_ENKUlT_T0_E_clISt17integral_constantIbLb0EES1T_IbLb1EEEEDaS1P_S1Q_EUlS1P_E_NS1_11comp_targetILNS1_3genE3ELNS1_11target_archE908ELNS1_3gpuE7ELNS1_3repE0EEENS1_30default_config_static_selectorELNS0_4arch9wavefront6targetE0EEEvS12_.private_seg_size, 0
	.set _ZN7rocprim17ROCPRIM_400000_NS6detail17trampoline_kernelINS0_13select_configILj256ELj13ELNS0_17block_load_methodE3ELS4_3ELS4_3ELNS0_20block_scan_algorithmE0ELj4294967295EEENS1_25partition_config_selectorILNS1_17partition_subalgoE4EjNS0_10empty_typeEbEEZZNS1_14partition_implILS8_4ELb0ES6_15HIP_vector_typeIjLj2EENS0_17counting_iteratorIjlEEPS9_SG_NS0_5tupleIJPjSI_NS0_16reverse_iteratorISI_EEEEENSH_IJSG_SG_SG_EEES9_SI_JZNS1_25segmented_radix_sort_implINS0_14default_configELb0EPKaPaPKlPlN2at6native12_GLOBAL__N_18offset_tEEE10hipError_tPvRmT1_PNSt15iterator_traitsIS12_E10value_typeET2_T3_PNS13_IS18_E10value_typeET4_jRbjT5_S1E_jjP12ihipStream_tbEUljE_ZNSN_ISO_Lb0ESQ_SR_ST_SU_SY_EESZ_S10_S11_S12_S16_S17_S18_S1B_S1C_jS1D_jS1E_S1E_jjS1G_bEUljE0_EEESZ_S10_S11_S18_S1C_S1E_T6_T7_T9_mT8_S1G_bDpT10_ENKUlT_T0_E_clISt17integral_constantIbLb0EES1T_IbLb1EEEEDaS1P_S1Q_EUlS1P_E_NS1_11comp_targetILNS1_3genE3ELNS1_11target_archE908ELNS1_3gpuE7ELNS1_3repE0EEENS1_30default_config_static_selectorELNS0_4arch9wavefront6targetE0EEEvS12_.uses_vcc, 0
	.set _ZN7rocprim17ROCPRIM_400000_NS6detail17trampoline_kernelINS0_13select_configILj256ELj13ELNS0_17block_load_methodE3ELS4_3ELS4_3ELNS0_20block_scan_algorithmE0ELj4294967295EEENS1_25partition_config_selectorILNS1_17partition_subalgoE4EjNS0_10empty_typeEbEEZZNS1_14partition_implILS8_4ELb0ES6_15HIP_vector_typeIjLj2EENS0_17counting_iteratorIjlEEPS9_SG_NS0_5tupleIJPjSI_NS0_16reverse_iteratorISI_EEEEENSH_IJSG_SG_SG_EEES9_SI_JZNS1_25segmented_radix_sort_implINS0_14default_configELb0EPKaPaPKlPlN2at6native12_GLOBAL__N_18offset_tEEE10hipError_tPvRmT1_PNSt15iterator_traitsIS12_E10value_typeET2_T3_PNS13_IS18_E10value_typeET4_jRbjT5_S1E_jjP12ihipStream_tbEUljE_ZNSN_ISO_Lb0ESQ_SR_ST_SU_SY_EESZ_S10_S11_S12_S16_S17_S18_S1B_S1C_jS1D_jS1E_S1E_jjS1G_bEUljE0_EEESZ_S10_S11_S18_S1C_S1E_T6_T7_T9_mT8_S1G_bDpT10_ENKUlT_T0_E_clISt17integral_constantIbLb0EES1T_IbLb1EEEEDaS1P_S1Q_EUlS1P_E_NS1_11comp_targetILNS1_3genE3ELNS1_11target_archE908ELNS1_3gpuE7ELNS1_3repE0EEENS1_30default_config_static_selectorELNS0_4arch9wavefront6targetE0EEEvS12_.uses_flat_scratch, 0
	.set _ZN7rocprim17ROCPRIM_400000_NS6detail17trampoline_kernelINS0_13select_configILj256ELj13ELNS0_17block_load_methodE3ELS4_3ELS4_3ELNS0_20block_scan_algorithmE0ELj4294967295EEENS1_25partition_config_selectorILNS1_17partition_subalgoE4EjNS0_10empty_typeEbEEZZNS1_14partition_implILS8_4ELb0ES6_15HIP_vector_typeIjLj2EENS0_17counting_iteratorIjlEEPS9_SG_NS0_5tupleIJPjSI_NS0_16reverse_iteratorISI_EEEEENSH_IJSG_SG_SG_EEES9_SI_JZNS1_25segmented_radix_sort_implINS0_14default_configELb0EPKaPaPKlPlN2at6native12_GLOBAL__N_18offset_tEEE10hipError_tPvRmT1_PNSt15iterator_traitsIS12_E10value_typeET2_T3_PNS13_IS18_E10value_typeET4_jRbjT5_S1E_jjP12ihipStream_tbEUljE_ZNSN_ISO_Lb0ESQ_SR_ST_SU_SY_EESZ_S10_S11_S12_S16_S17_S18_S1B_S1C_jS1D_jS1E_S1E_jjS1G_bEUljE0_EEESZ_S10_S11_S18_S1C_S1E_T6_T7_T9_mT8_S1G_bDpT10_ENKUlT_T0_E_clISt17integral_constantIbLb0EES1T_IbLb1EEEEDaS1P_S1Q_EUlS1P_E_NS1_11comp_targetILNS1_3genE3ELNS1_11target_archE908ELNS1_3gpuE7ELNS1_3repE0EEENS1_30default_config_static_selectorELNS0_4arch9wavefront6targetE0EEEvS12_.has_dyn_sized_stack, 0
	.set _ZN7rocprim17ROCPRIM_400000_NS6detail17trampoline_kernelINS0_13select_configILj256ELj13ELNS0_17block_load_methodE3ELS4_3ELS4_3ELNS0_20block_scan_algorithmE0ELj4294967295EEENS1_25partition_config_selectorILNS1_17partition_subalgoE4EjNS0_10empty_typeEbEEZZNS1_14partition_implILS8_4ELb0ES6_15HIP_vector_typeIjLj2EENS0_17counting_iteratorIjlEEPS9_SG_NS0_5tupleIJPjSI_NS0_16reverse_iteratorISI_EEEEENSH_IJSG_SG_SG_EEES9_SI_JZNS1_25segmented_radix_sort_implINS0_14default_configELb0EPKaPaPKlPlN2at6native12_GLOBAL__N_18offset_tEEE10hipError_tPvRmT1_PNSt15iterator_traitsIS12_E10value_typeET2_T3_PNS13_IS18_E10value_typeET4_jRbjT5_S1E_jjP12ihipStream_tbEUljE_ZNSN_ISO_Lb0ESQ_SR_ST_SU_SY_EESZ_S10_S11_S12_S16_S17_S18_S1B_S1C_jS1D_jS1E_S1E_jjS1G_bEUljE0_EEESZ_S10_S11_S18_S1C_S1E_T6_T7_T9_mT8_S1G_bDpT10_ENKUlT_T0_E_clISt17integral_constantIbLb0EES1T_IbLb1EEEEDaS1P_S1Q_EUlS1P_E_NS1_11comp_targetILNS1_3genE3ELNS1_11target_archE908ELNS1_3gpuE7ELNS1_3repE0EEENS1_30default_config_static_selectorELNS0_4arch9wavefront6targetE0EEEvS12_.has_recursion, 0
	.set _ZN7rocprim17ROCPRIM_400000_NS6detail17trampoline_kernelINS0_13select_configILj256ELj13ELNS0_17block_load_methodE3ELS4_3ELS4_3ELNS0_20block_scan_algorithmE0ELj4294967295EEENS1_25partition_config_selectorILNS1_17partition_subalgoE4EjNS0_10empty_typeEbEEZZNS1_14partition_implILS8_4ELb0ES6_15HIP_vector_typeIjLj2EENS0_17counting_iteratorIjlEEPS9_SG_NS0_5tupleIJPjSI_NS0_16reverse_iteratorISI_EEEEENSH_IJSG_SG_SG_EEES9_SI_JZNS1_25segmented_radix_sort_implINS0_14default_configELb0EPKaPaPKlPlN2at6native12_GLOBAL__N_18offset_tEEE10hipError_tPvRmT1_PNSt15iterator_traitsIS12_E10value_typeET2_T3_PNS13_IS18_E10value_typeET4_jRbjT5_S1E_jjP12ihipStream_tbEUljE_ZNSN_ISO_Lb0ESQ_SR_ST_SU_SY_EESZ_S10_S11_S12_S16_S17_S18_S1B_S1C_jS1D_jS1E_S1E_jjS1G_bEUljE0_EEESZ_S10_S11_S18_S1C_S1E_T6_T7_T9_mT8_S1G_bDpT10_ENKUlT_T0_E_clISt17integral_constantIbLb0EES1T_IbLb1EEEEDaS1P_S1Q_EUlS1P_E_NS1_11comp_targetILNS1_3genE3ELNS1_11target_archE908ELNS1_3gpuE7ELNS1_3repE0EEENS1_30default_config_static_selectorELNS0_4arch9wavefront6targetE0EEEvS12_.has_indirect_call, 0
	.section	.AMDGPU.csdata,"",@progbits
; Kernel info:
; codeLenInByte = 0
; TotalNumSgprs: 0
; NumVgprs: 0
; ScratchSize: 0
; MemoryBound: 0
; FloatMode: 240
; IeeeMode: 1
; LDSByteSize: 0 bytes/workgroup (compile time only)
; SGPRBlocks: 0
; VGPRBlocks: 0
; NumSGPRsForWavesPerEU: 1
; NumVGPRsForWavesPerEU: 1
; Occupancy: 16
; WaveLimiterHint : 0
; COMPUTE_PGM_RSRC2:SCRATCH_EN: 0
; COMPUTE_PGM_RSRC2:USER_SGPR: 2
; COMPUTE_PGM_RSRC2:TRAP_HANDLER: 0
; COMPUTE_PGM_RSRC2:TGID_X_EN: 1
; COMPUTE_PGM_RSRC2:TGID_Y_EN: 0
; COMPUTE_PGM_RSRC2:TGID_Z_EN: 0
; COMPUTE_PGM_RSRC2:TIDIG_COMP_CNT: 0
	.section	.text._ZN7rocprim17ROCPRIM_400000_NS6detail17trampoline_kernelINS0_13select_configILj256ELj13ELNS0_17block_load_methodE3ELS4_3ELS4_3ELNS0_20block_scan_algorithmE0ELj4294967295EEENS1_25partition_config_selectorILNS1_17partition_subalgoE4EjNS0_10empty_typeEbEEZZNS1_14partition_implILS8_4ELb0ES6_15HIP_vector_typeIjLj2EENS0_17counting_iteratorIjlEEPS9_SG_NS0_5tupleIJPjSI_NS0_16reverse_iteratorISI_EEEEENSH_IJSG_SG_SG_EEES9_SI_JZNS1_25segmented_radix_sort_implINS0_14default_configELb0EPKaPaPKlPlN2at6native12_GLOBAL__N_18offset_tEEE10hipError_tPvRmT1_PNSt15iterator_traitsIS12_E10value_typeET2_T3_PNS13_IS18_E10value_typeET4_jRbjT5_S1E_jjP12ihipStream_tbEUljE_ZNSN_ISO_Lb0ESQ_SR_ST_SU_SY_EESZ_S10_S11_S12_S16_S17_S18_S1B_S1C_jS1D_jS1E_S1E_jjS1G_bEUljE0_EEESZ_S10_S11_S18_S1C_S1E_T6_T7_T9_mT8_S1G_bDpT10_ENKUlT_T0_E_clISt17integral_constantIbLb0EES1T_IbLb1EEEEDaS1P_S1Q_EUlS1P_E_NS1_11comp_targetILNS1_3genE2ELNS1_11target_archE906ELNS1_3gpuE6ELNS1_3repE0EEENS1_30default_config_static_selectorELNS0_4arch9wavefront6targetE0EEEvS12_,"axG",@progbits,_ZN7rocprim17ROCPRIM_400000_NS6detail17trampoline_kernelINS0_13select_configILj256ELj13ELNS0_17block_load_methodE3ELS4_3ELS4_3ELNS0_20block_scan_algorithmE0ELj4294967295EEENS1_25partition_config_selectorILNS1_17partition_subalgoE4EjNS0_10empty_typeEbEEZZNS1_14partition_implILS8_4ELb0ES6_15HIP_vector_typeIjLj2EENS0_17counting_iteratorIjlEEPS9_SG_NS0_5tupleIJPjSI_NS0_16reverse_iteratorISI_EEEEENSH_IJSG_SG_SG_EEES9_SI_JZNS1_25segmented_radix_sort_implINS0_14default_configELb0EPKaPaPKlPlN2at6native12_GLOBAL__N_18offset_tEEE10hipError_tPvRmT1_PNSt15iterator_traitsIS12_E10value_typeET2_T3_PNS13_IS18_E10value_typeET4_jRbjT5_S1E_jjP12ihipStream_tbEUljE_ZNSN_ISO_Lb0ESQ_SR_ST_SU_SY_EESZ_S10_S11_S12_S16_S17_S18_S1B_S1C_jS1D_jS1E_S1E_jjS1G_bEUljE0_EEESZ_S10_S11_S18_S1C_S1E_T6_T7_T9_mT8_S1G_bDpT10_ENKUlT_T0_E_clISt17integral_constantIbLb0EES1T_IbLb1EEEEDaS1P_S1Q_EUlS1P_E_NS1_11comp_targetILNS1_3genE2ELNS1_11target_archE906ELNS1_3gpuE6ELNS1_3repE0EEENS1_30default_config_static_selectorELNS0_4arch9wavefront6targetE0EEEvS12_,comdat
	.globl	_ZN7rocprim17ROCPRIM_400000_NS6detail17trampoline_kernelINS0_13select_configILj256ELj13ELNS0_17block_load_methodE3ELS4_3ELS4_3ELNS0_20block_scan_algorithmE0ELj4294967295EEENS1_25partition_config_selectorILNS1_17partition_subalgoE4EjNS0_10empty_typeEbEEZZNS1_14partition_implILS8_4ELb0ES6_15HIP_vector_typeIjLj2EENS0_17counting_iteratorIjlEEPS9_SG_NS0_5tupleIJPjSI_NS0_16reverse_iteratorISI_EEEEENSH_IJSG_SG_SG_EEES9_SI_JZNS1_25segmented_radix_sort_implINS0_14default_configELb0EPKaPaPKlPlN2at6native12_GLOBAL__N_18offset_tEEE10hipError_tPvRmT1_PNSt15iterator_traitsIS12_E10value_typeET2_T3_PNS13_IS18_E10value_typeET4_jRbjT5_S1E_jjP12ihipStream_tbEUljE_ZNSN_ISO_Lb0ESQ_SR_ST_SU_SY_EESZ_S10_S11_S12_S16_S17_S18_S1B_S1C_jS1D_jS1E_S1E_jjS1G_bEUljE0_EEESZ_S10_S11_S18_S1C_S1E_T6_T7_T9_mT8_S1G_bDpT10_ENKUlT_T0_E_clISt17integral_constantIbLb0EES1T_IbLb1EEEEDaS1P_S1Q_EUlS1P_E_NS1_11comp_targetILNS1_3genE2ELNS1_11target_archE906ELNS1_3gpuE6ELNS1_3repE0EEENS1_30default_config_static_selectorELNS0_4arch9wavefront6targetE0EEEvS12_ ; -- Begin function _ZN7rocprim17ROCPRIM_400000_NS6detail17trampoline_kernelINS0_13select_configILj256ELj13ELNS0_17block_load_methodE3ELS4_3ELS4_3ELNS0_20block_scan_algorithmE0ELj4294967295EEENS1_25partition_config_selectorILNS1_17partition_subalgoE4EjNS0_10empty_typeEbEEZZNS1_14partition_implILS8_4ELb0ES6_15HIP_vector_typeIjLj2EENS0_17counting_iteratorIjlEEPS9_SG_NS0_5tupleIJPjSI_NS0_16reverse_iteratorISI_EEEEENSH_IJSG_SG_SG_EEES9_SI_JZNS1_25segmented_radix_sort_implINS0_14default_configELb0EPKaPaPKlPlN2at6native12_GLOBAL__N_18offset_tEEE10hipError_tPvRmT1_PNSt15iterator_traitsIS12_E10value_typeET2_T3_PNS13_IS18_E10value_typeET4_jRbjT5_S1E_jjP12ihipStream_tbEUljE_ZNSN_ISO_Lb0ESQ_SR_ST_SU_SY_EESZ_S10_S11_S12_S16_S17_S18_S1B_S1C_jS1D_jS1E_S1E_jjS1G_bEUljE0_EEESZ_S10_S11_S18_S1C_S1E_T6_T7_T9_mT8_S1G_bDpT10_ENKUlT_T0_E_clISt17integral_constantIbLb0EES1T_IbLb1EEEEDaS1P_S1Q_EUlS1P_E_NS1_11comp_targetILNS1_3genE2ELNS1_11target_archE906ELNS1_3gpuE6ELNS1_3repE0EEENS1_30default_config_static_selectorELNS0_4arch9wavefront6targetE0EEEvS12_
	.p2align	8
	.type	_ZN7rocprim17ROCPRIM_400000_NS6detail17trampoline_kernelINS0_13select_configILj256ELj13ELNS0_17block_load_methodE3ELS4_3ELS4_3ELNS0_20block_scan_algorithmE0ELj4294967295EEENS1_25partition_config_selectorILNS1_17partition_subalgoE4EjNS0_10empty_typeEbEEZZNS1_14partition_implILS8_4ELb0ES6_15HIP_vector_typeIjLj2EENS0_17counting_iteratorIjlEEPS9_SG_NS0_5tupleIJPjSI_NS0_16reverse_iteratorISI_EEEEENSH_IJSG_SG_SG_EEES9_SI_JZNS1_25segmented_radix_sort_implINS0_14default_configELb0EPKaPaPKlPlN2at6native12_GLOBAL__N_18offset_tEEE10hipError_tPvRmT1_PNSt15iterator_traitsIS12_E10value_typeET2_T3_PNS13_IS18_E10value_typeET4_jRbjT5_S1E_jjP12ihipStream_tbEUljE_ZNSN_ISO_Lb0ESQ_SR_ST_SU_SY_EESZ_S10_S11_S12_S16_S17_S18_S1B_S1C_jS1D_jS1E_S1E_jjS1G_bEUljE0_EEESZ_S10_S11_S18_S1C_S1E_T6_T7_T9_mT8_S1G_bDpT10_ENKUlT_T0_E_clISt17integral_constantIbLb0EES1T_IbLb1EEEEDaS1P_S1Q_EUlS1P_E_NS1_11comp_targetILNS1_3genE2ELNS1_11target_archE906ELNS1_3gpuE6ELNS1_3repE0EEENS1_30default_config_static_selectorELNS0_4arch9wavefront6targetE0EEEvS12_,@function
_ZN7rocprim17ROCPRIM_400000_NS6detail17trampoline_kernelINS0_13select_configILj256ELj13ELNS0_17block_load_methodE3ELS4_3ELS4_3ELNS0_20block_scan_algorithmE0ELj4294967295EEENS1_25partition_config_selectorILNS1_17partition_subalgoE4EjNS0_10empty_typeEbEEZZNS1_14partition_implILS8_4ELb0ES6_15HIP_vector_typeIjLj2EENS0_17counting_iteratorIjlEEPS9_SG_NS0_5tupleIJPjSI_NS0_16reverse_iteratorISI_EEEEENSH_IJSG_SG_SG_EEES9_SI_JZNS1_25segmented_radix_sort_implINS0_14default_configELb0EPKaPaPKlPlN2at6native12_GLOBAL__N_18offset_tEEE10hipError_tPvRmT1_PNSt15iterator_traitsIS12_E10value_typeET2_T3_PNS13_IS18_E10value_typeET4_jRbjT5_S1E_jjP12ihipStream_tbEUljE_ZNSN_ISO_Lb0ESQ_SR_ST_SU_SY_EESZ_S10_S11_S12_S16_S17_S18_S1B_S1C_jS1D_jS1E_S1E_jjS1G_bEUljE0_EEESZ_S10_S11_S18_S1C_S1E_T6_T7_T9_mT8_S1G_bDpT10_ENKUlT_T0_E_clISt17integral_constantIbLb0EES1T_IbLb1EEEEDaS1P_S1Q_EUlS1P_E_NS1_11comp_targetILNS1_3genE2ELNS1_11target_archE906ELNS1_3gpuE6ELNS1_3repE0EEENS1_30default_config_static_selectorELNS0_4arch9wavefront6targetE0EEEvS12_: ; @_ZN7rocprim17ROCPRIM_400000_NS6detail17trampoline_kernelINS0_13select_configILj256ELj13ELNS0_17block_load_methodE3ELS4_3ELS4_3ELNS0_20block_scan_algorithmE0ELj4294967295EEENS1_25partition_config_selectorILNS1_17partition_subalgoE4EjNS0_10empty_typeEbEEZZNS1_14partition_implILS8_4ELb0ES6_15HIP_vector_typeIjLj2EENS0_17counting_iteratorIjlEEPS9_SG_NS0_5tupleIJPjSI_NS0_16reverse_iteratorISI_EEEEENSH_IJSG_SG_SG_EEES9_SI_JZNS1_25segmented_radix_sort_implINS0_14default_configELb0EPKaPaPKlPlN2at6native12_GLOBAL__N_18offset_tEEE10hipError_tPvRmT1_PNSt15iterator_traitsIS12_E10value_typeET2_T3_PNS13_IS18_E10value_typeET4_jRbjT5_S1E_jjP12ihipStream_tbEUljE_ZNSN_ISO_Lb0ESQ_SR_ST_SU_SY_EESZ_S10_S11_S12_S16_S17_S18_S1B_S1C_jS1D_jS1E_S1E_jjS1G_bEUljE0_EEESZ_S10_S11_S18_S1C_S1E_T6_T7_T9_mT8_S1G_bDpT10_ENKUlT_T0_E_clISt17integral_constantIbLb0EES1T_IbLb1EEEEDaS1P_S1Q_EUlS1P_E_NS1_11comp_targetILNS1_3genE2ELNS1_11target_archE906ELNS1_3gpuE6ELNS1_3repE0EEENS1_30default_config_static_selectorELNS0_4arch9wavefront6targetE0EEEvS12_
; %bb.0:
	.section	.rodata,"a",@progbits
	.p2align	6, 0x0
	.amdhsa_kernel _ZN7rocprim17ROCPRIM_400000_NS6detail17trampoline_kernelINS0_13select_configILj256ELj13ELNS0_17block_load_methodE3ELS4_3ELS4_3ELNS0_20block_scan_algorithmE0ELj4294967295EEENS1_25partition_config_selectorILNS1_17partition_subalgoE4EjNS0_10empty_typeEbEEZZNS1_14partition_implILS8_4ELb0ES6_15HIP_vector_typeIjLj2EENS0_17counting_iteratorIjlEEPS9_SG_NS0_5tupleIJPjSI_NS0_16reverse_iteratorISI_EEEEENSH_IJSG_SG_SG_EEES9_SI_JZNS1_25segmented_radix_sort_implINS0_14default_configELb0EPKaPaPKlPlN2at6native12_GLOBAL__N_18offset_tEEE10hipError_tPvRmT1_PNSt15iterator_traitsIS12_E10value_typeET2_T3_PNS13_IS18_E10value_typeET4_jRbjT5_S1E_jjP12ihipStream_tbEUljE_ZNSN_ISO_Lb0ESQ_SR_ST_SU_SY_EESZ_S10_S11_S12_S16_S17_S18_S1B_S1C_jS1D_jS1E_S1E_jjS1G_bEUljE0_EEESZ_S10_S11_S18_S1C_S1E_T6_T7_T9_mT8_S1G_bDpT10_ENKUlT_T0_E_clISt17integral_constantIbLb0EES1T_IbLb1EEEEDaS1P_S1Q_EUlS1P_E_NS1_11comp_targetILNS1_3genE2ELNS1_11target_archE906ELNS1_3gpuE6ELNS1_3repE0EEENS1_30default_config_static_selectorELNS0_4arch9wavefront6targetE0EEEvS12_
		.amdhsa_group_segment_fixed_size 0
		.amdhsa_private_segment_fixed_size 0
		.amdhsa_kernarg_size 184
		.amdhsa_user_sgpr_count 2
		.amdhsa_user_sgpr_dispatch_ptr 0
		.amdhsa_user_sgpr_queue_ptr 0
		.amdhsa_user_sgpr_kernarg_segment_ptr 1
		.amdhsa_user_sgpr_dispatch_id 0
		.amdhsa_user_sgpr_private_segment_size 0
		.amdhsa_wavefront_size32 1
		.amdhsa_uses_dynamic_stack 0
		.amdhsa_enable_private_segment 0
		.amdhsa_system_sgpr_workgroup_id_x 1
		.amdhsa_system_sgpr_workgroup_id_y 0
		.amdhsa_system_sgpr_workgroup_id_z 0
		.amdhsa_system_sgpr_workgroup_info 0
		.amdhsa_system_vgpr_workitem_id 0
		.amdhsa_next_free_vgpr 1
		.amdhsa_next_free_sgpr 1
		.amdhsa_reserve_vcc 0
		.amdhsa_float_round_mode_32 0
		.amdhsa_float_round_mode_16_64 0
		.amdhsa_float_denorm_mode_32 3
		.amdhsa_float_denorm_mode_16_64 3
		.amdhsa_fp16_overflow 0
		.amdhsa_workgroup_processor_mode 1
		.amdhsa_memory_ordered 1
		.amdhsa_forward_progress 1
		.amdhsa_inst_pref_size 0
		.amdhsa_round_robin_scheduling 0
		.amdhsa_exception_fp_ieee_invalid_op 0
		.amdhsa_exception_fp_denorm_src 0
		.amdhsa_exception_fp_ieee_div_zero 0
		.amdhsa_exception_fp_ieee_overflow 0
		.amdhsa_exception_fp_ieee_underflow 0
		.amdhsa_exception_fp_ieee_inexact 0
		.amdhsa_exception_int_div_zero 0
	.end_amdhsa_kernel
	.section	.text._ZN7rocprim17ROCPRIM_400000_NS6detail17trampoline_kernelINS0_13select_configILj256ELj13ELNS0_17block_load_methodE3ELS4_3ELS4_3ELNS0_20block_scan_algorithmE0ELj4294967295EEENS1_25partition_config_selectorILNS1_17partition_subalgoE4EjNS0_10empty_typeEbEEZZNS1_14partition_implILS8_4ELb0ES6_15HIP_vector_typeIjLj2EENS0_17counting_iteratorIjlEEPS9_SG_NS0_5tupleIJPjSI_NS0_16reverse_iteratorISI_EEEEENSH_IJSG_SG_SG_EEES9_SI_JZNS1_25segmented_radix_sort_implINS0_14default_configELb0EPKaPaPKlPlN2at6native12_GLOBAL__N_18offset_tEEE10hipError_tPvRmT1_PNSt15iterator_traitsIS12_E10value_typeET2_T3_PNS13_IS18_E10value_typeET4_jRbjT5_S1E_jjP12ihipStream_tbEUljE_ZNSN_ISO_Lb0ESQ_SR_ST_SU_SY_EESZ_S10_S11_S12_S16_S17_S18_S1B_S1C_jS1D_jS1E_S1E_jjS1G_bEUljE0_EEESZ_S10_S11_S18_S1C_S1E_T6_T7_T9_mT8_S1G_bDpT10_ENKUlT_T0_E_clISt17integral_constantIbLb0EES1T_IbLb1EEEEDaS1P_S1Q_EUlS1P_E_NS1_11comp_targetILNS1_3genE2ELNS1_11target_archE906ELNS1_3gpuE6ELNS1_3repE0EEENS1_30default_config_static_selectorELNS0_4arch9wavefront6targetE0EEEvS12_,"axG",@progbits,_ZN7rocprim17ROCPRIM_400000_NS6detail17trampoline_kernelINS0_13select_configILj256ELj13ELNS0_17block_load_methodE3ELS4_3ELS4_3ELNS0_20block_scan_algorithmE0ELj4294967295EEENS1_25partition_config_selectorILNS1_17partition_subalgoE4EjNS0_10empty_typeEbEEZZNS1_14partition_implILS8_4ELb0ES6_15HIP_vector_typeIjLj2EENS0_17counting_iteratorIjlEEPS9_SG_NS0_5tupleIJPjSI_NS0_16reverse_iteratorISI_EEEEENSH_IJSG_SG_SG_EEES9_SI_JZNS1_25segmented_radix_sort_implINS0_14default_configELb0EPKaPaPKlPlN2at6native12_GLOBAL__N_18offset_tEEE10hipError_tPvRmT1_PNSt15iterator_traitsIS12_E10value_typeET2_T3_PNS13_IS18_E10value_typeET4_jRbjT5_S1E_jjP12ihipStream_tbEUljE_ZNSN_ISO_Lb0ESQ_SR_ST_SU_SY_EESZ_S10_S11_S12_S16_S17_S18_S1B_S1C_jS1D_jS1E_S1E_jjS1G_bEUljE0_EEESZ_S10_S11_S18_S1C_S1E_T6_T7_T9_mT8_S1G_bDpT10_ENKUlT_T0_E_clISt17integral_constantIbLb0EES1T_IbLb1EEEEDaS1P_S1Q_EUlS1P_E_NS1_11comp_targetILNS1_3genE2ELNS1_11target_archE906ELNS1_3gpuE6ELNS1_3repE0EEENS1_30default_config_static_selectorELNS0_4arch9wavefront6targetE0EEEvS12_,comdat
.Lfunc_end357:
	.size	_ZN7rocprim17ROCPRIM_400000_NS6detail17trampoline_kernelINS0_13select_configILj256ELj13ELNS0_17block_load_methodE3ELS4_3ELS4_3ELNS0_20block_scan_algorithmE0ELj4294967295EEENS1_25partition_config_selectorILNS1_17partition_subalgoE4EjNS0_10empty_typeEbEEZZNS1_14partition_implILS8_4ELb0ES6_15HIP_vector_typeIjLj2EENS0_17counting_iteratorIjlEEPS9_SG_NS0_5tupleIJPjSI_NS0_16reverse_iteratorISI_EEEEENSH_IJSG_SG_SG_EEES9_SI_JZNS1_25segmented_radix_sort_implINS0_14default_configELb0EPKaPaPKlPlN2at6native12_GLOBAL__N_18offset_tEEE10hipError_tPvRmT1_PNSt15iterator_traitsIS12_E10value_typeET2_T3_PNS13_IS18_E10value_typeET4_jRbjT5_S1E_jjP12ihipStream_tbEUljE_ZNSN_ISO_Lb0ESQ_SR_ST_SU_SY_EESZ_S10_S11_S12_S16_S17_S18_S1B_S1C_jS1D_jS1E_S1E_jjS1G_bEUljE0_EEESZ_S10_S11_S18_S1C_S1E_T6_T7_T9_mT8_S1G_bDpT10_ENKUlT_T0_E_clISt17integral_constantIbLb0EES1T_IbLb1EEEEDaS1P_S1Q_EUlS1P_E_NS1_11comp_targetILNS1_3genE2ELNS1_11target_archE906ELNS1_3gpuE6ELNS1_3repE0EEENS1_30default_config_static_selectorELNS0_4arch9wavefront6targetE0EEEvS12_, .Lfunc_end357-_ZN7rocprim17ROCPRIM_400000_NS6detail17trampoline_kernelINS0_13select_configILj256ELj13ELNS0_17block_load_methodE3ELS4_3ELS4_3ELNS0_20block_scan_algorithmE0ELj4294967295EEENS1_25partition_config_selectorILNS1_17partition_subalgoE4EjNS0_10empty_typeEbEEZZNS1_14partition_implILS8_4ELb0ES6_15HIP_vector_typeIjLj2EENS0_17counting_iteratorIjlEEPS9_SG_NS0_5tupleIJPjSI_NS0_16reverse_iteratorISI_EEEEENSH_IJSG_SG_SG_EEES9_SI_JZNS1_25segmented_radix_sort_implINS0_14default_configELb0EPKaPaPKlPlN2at6native12_GLOBAL__N_18offset_tEEE10hipError_tPvRmT1_PNSt15iterator_traitsIS12_E10value_typeET2_T3_PNS13_IS18_E10value_typeET4_jRbjT5_S1E_jjP12ihipStream_tbEUljE_ZNSN_ISO_Lb0ESQ_SR_ST_SU_SY_EESZ_S10_S11_S12_S16_S17_S18_S1B_S1C_jS1D_jS1E_S1E_jjS1G_bEUljE0_EEESZ_S10_S11_S18_S1C_S1E_T6_T7_T9_mT8_S1G_bDpT10_ENKUlT_T0_E_clISt17integral_constantIbLb0EES1T_IbLb1EEEEDaS1P_S1Q_EUlS1P_E_NS1_11comp_targetILNS1_3genE2ELNS1_11target_archE906ELNS1_3gpuE6ELNS1_3repE0EEENS1_30default_config_static_selectorELNS0_4arch9wavefront6targetE0EEEvS12_
                                        ; -- End function
	.set _ZN7rocprim17ROCPRIM_400000_NS6detail17trampoline_kernelINS0_13select_configILj256ELj13ELNS0_17block_load_methodE3ELS4_3ELS4_3ELNS0_20block_scan_algorithmE0ELj4294967295EEENS1_25partition_config_selectorILNS1_17partition_subalgoE4EjNS0_10empty_typeEbEEZZNS1_14partition_implILS8_4ELb0ES6_15HIP_vector_typeIjLj2EENS0_17counting_iteratorIjlEEPS9_SG_NS0_5tupleIJPjSI_NS0_16reverse_iteratorISI_EEEEENSH_IJSG_SG_SG_EEES9_SI_JZNS1_25segmented_radix_sort_implINS0_14default_configELb0EPKaPaPKlPlN2at6native12_GLOBAL__N_18offset_tEEE10hipError_tPvRmT1_PNSt15iterator_traitsIS12_E10value_typeET2_T3_PNS13_IS18_E10value_typeET4_jRbjT5_S1E_jjP12ihipStream_tbEUljE_ZNSN_ISO_Lb0ESQ_SR_ST_SU_SY_EESZ_S10_S11_S12_S16_S17_S18_S1B_S1C_jS1D_jS1E_S1E_jjS1G_bEUljE0_EEESZ_S10_S11_S18_S1C_S1E_T6_T7_T9_mT8_S1G_bDpT10_ENKUlT_T0_E_clISt17integral_constantIbLb0EES1T_IbLb1EEEEDaS1P_S1Q_EUlS1P_E_NS1_11comp_targetILNS1_3genE2ELNS1_11target_archE906ELNS1_3gpuE6ELNS1_3repE0EEENS1_30default_config_static_selectorELNS0_4arch9wavefront6targetE0EEEvS12_.num_vgpr, 0
	.set _ZN7rocprim17ROCPRIM_400000_NS6detail17trampoline_kernelINS0_13select_configILj256ELj13ELNS0_17block_load_methodE3ELS4_3ELS4_3ELNS0_20block_scan_algorithmE0ELj4294967295EEENS1_25partition_config_selectorILNS1_17partition_subalgoE4EjNS0_10empty_typeEbEEZZNS1_14partition_implILS8_4ELb0ES6_15HIP_vector_typeIjLj2EENS0_17counting_iteratorIjlEEPS9_SG_NS0_5tupleIJPjSI_NS0_16reverse_iteratorISI_EEEEENSH_IJSG_SG_SG_EEES9_SI_JZNS1_25segmented_radix_sort_implINS0_14default_configELb0EPKaPaPKlPlN2at6native12_GLOBAL__N_18offset_tEEE10hipError_tPvRmT1_PNSt15iterator_traitsIS12_E10value_typeET2_T3_PNS13_IS18_E10value_typeET4_jRbjT5_S1E_jjP12ihipStream_tbEUljE_ZNSN_ISO_Lb0ESQ_SR_ST_SU_SY_EESZ_S10_S11_S12_S16_S17_S18_S1B_S1C_jS1D_jS1E_S1E_jjS1G_bEUljE0_EEESZ_S10_S11_S18_S1C_S1E_T6_T7_T9_mT8_S1G_bDpT10_ENKUlT_T0_E_clISt17integral_constantIbLb0EES1T_IbLb1EEEEDaS1P_S1Q_EUlS1P_E_NS1_11comp_targetILNS1_3genE2ELNS1_11target_archE906ELNS1_3gpuE6ELNS1_3repE0EEENS1_30default_config_static_selectorELNS0_4arch9wavefront6targetE0EEEvS12_.num_agpr, 0
	.set _ZN7rocprim17ROCPRIM_400000_NS6detail17trampoline_kernelINS0_13select_configILj256ELj13ELNS0_17block_load_methodE3ELS4_3ELS4_3ELNS0_20block_scan_algorithmE0ELj4294967295EEENS1_25partition_config_selectorILNS1_17partition_subalgoE4EjNS0_10empty_typeEbEEZZNS1_14partition_implILS8_4ELb0ES6_15HIP_vector_typeIjLj2EENS0_17counting_iteratorIjlEEPS9_SG_NS0_5tupleIJPjSI_NS0_16reverse_iteratorISI_EEEEENSH_IJSG_SG_SG_EEES9_SI_JZNS1_25segmented_radix_sort_implINS0_14default_configELb0EPKaPaPKlPlN2at6native12_GLOBAL__N_18offset_tEEE10hipError_tPvRmT1_PNSt15iterator_traitsIS12_E10value_typeET2_T3_PNS13_IS18_E10value_typeET4_jRbjT5_S1E_jjP12ihipStream_tbEUljE_ZNSN_ISO_Lb0ESQ_SR_ST_SU_SY_EESZ_S10_S11_S12_S16_S17_S18_S1B_S1C_jS1D_jS1E_S1E_jjS1G_bEUljE0_EEESZ_S10_S11_S18_S1C_S1E_T6_T7_T9_mT8_S1G_bDpT10_ENKUlT_T0_E_clISt17integral_constantIbLb0EES1T_IbLb1EEEEDaS1P_S1Q_EUlS1P_E_NS1_11comp_targetILNS1_3genE2ELNS1_11target_archE906ELNS1_3gpuE6ELNS1_3repE0EEENS1_30default_config_static_selectorELNS0_4arch9wavefront6targetE0EEEvS12_.numbered_sgpr, 0
	.set _ZN7rocprim17ROCPRIM_400000_NS6detail17trampoline_kernelINS0_13select_configILj256ELj13ELNS0_17block_load_methodE3ELS4_3ELS4_3ELNS0_20block_scan_algorithmE0ELj4294967295EEENS1_25partition_config_selectorILNS1_17partition_subalgoE4EjNS0_10empty_typeEbEEZZNS1_14partition_implILS8_4ELb0ES6_15HIP_vector_typeIjLj2EENS0_17counting_iteratorIjlEEPS9_SG_NS0_5tupleIJPjSI_NS0_16reverse_iteratorISI_EEEEENSH_IJSG_SG_SG_EEES9_SI_JZNS1_25segmented_radix_sort_implINS0_14default_configELb0EPKaPaPKlPlN2at6native12_GLOBAL__N_18offset_tEEE10hipError_tPvRmT1_PNSt15iterator_traitsIS12_E10value_typeET2_T3_PNS13_IS18_E10value_typeET4_jRbjT5_S1E_jjP12ihipStream_tbEUljE_ZNSN_ISO_Lb0ESQ_SR_ST_SU_SY_EESZ_S10_S11_S12_S16_S17_S18_S1B_S1C_jS1D_jS1E_S1E_jjS1G_bEUljE0_EEESZ_S10_S11_S18_S1C_S1E_T6_T7_T9_mT8_S1G_bDpT10_ENKUlT_T0_E_clISt17integral_constantIbLb0EES1T_IbLb1EEEEDaS1P_S1Q_EUlS1P_E_NS1_11comp_targetILNS1_3genE2ELNS1_11target_archE906ELNS1_3gpuE6ELNS1_3repE0EEENS1_30default_config_static_selectorELNS0_4arch9wavefront6targetE0EEEvS12_.num_named_barrier, 0
	.set _ZN7rocprim17ROCPRIM_400000_NS6detail17trampoline_kernelINS0_13select_configILj256ELj13ELNS0_17block_load_methodE3ELS4_3ELS4_3ELNS0_20block_scan_algorithmE0ELj4294967295EEENS1_25partition_config_selectorILNS1_17partition_subalgoE4EjNS0_10empty_typeEbEEZZNS1_14partition_implILS8_4ELb0ES6_15HIP_vector_typeIjLj2EENS0_17counting_iteratorIjlEEPS9_SG_NS0_5tupleIJPjSI_NS0_16reverse_iteratorISI_EEEEENSH_IJSG_SG_SG_EEES9_SI_JZNS1_25segmented_radix_sort_implINS0_14default_configELb0EPKaPaPKlPlN2at6native12_GLOBAL__N_18offset_tEEE10hipError_tPvRmT1_PNSt15iterator_traitsIS12_E10value_typeET2_T3_PNS13_IS18_E10value_typeET4_jRbjT5_S1E_jjP12ihipStream_tbEUljE_ZNSN_ISO_Lb0ESQ_SR_ST_SU_SY_EESZ_S10_S11_S12_S16_S17_S18_S1B_S1C_jS1D_jS1E_S1E_jjS1G_bEUljE0_EEESZ_S10_S11_S18_S1C_S1E_T6_T7_T9_mT8_S1G_bDpT10_ENKUlT_T0_E_clISt17integral_constantIbLb0EES1T_IbLb1EEEEDaS1P_S1Q_EUlS1P_E_NS1_11comp_targetILNS1_3genE2ELNS1_11target_archE906ELNS1_3gpuE6ELNS1_3repE0EEENS1_30default_config_static_selectorELNS0_4arch9wavefront6targetE0EEEvS12_.private_seg_size, 0
	.set _ZN7rocprim17ROCPRIM_400000_NS6detail17trampoline_kernelINS0_13select_configILj256ELj13ELNS0_17block_load_methodE3ELS4_3ELS4_3ELNS0_20block_scan_algorithmE0ELj4294967295EEENS1_25partition_config_selectorILNS1_17partition_subalgoE4EjNS0_10empty_typeEbEEZZNS1_14partition_implILS8_4ELb0ES6_15HIP_vector_typeIjLj2EENS0_17counting_iteratorIjlEEPS9_SG_NS0_5tupleIJPjSI_NS0_16reverse_iteratorISI_EEEEENSH_IJSG_SG_SG_EEES9_SI_JZNS1_25segmented_radix_sort_implINS0_14default_configELb0EPKaPaPKlPlN2at6native12_GLOBAL__N_18offset_tEEE10hipError_tPvRmT1_PNSt15iterator_traitsIS12_E10value_typeET2_T3_PNS13_IS18_E10value_typeET4_jRbjT5_S1E_jjP12ihipStream_tbEUljE_ZNSN_ISO_Lb0ESQ_SR_ST_SU_SY_EESZ_S10_S11_S12_S16_S17_S18_S1B_S1C_jS1D_jS1E_S1E_jjS1G_bEUljE0_EEESZ_S10_S11_S18_S1C_S1E_T6_T7_T9_mT8_S1G_bDpT10_ENKUlT_T0_E_clISt17integral_constantIbLb0EES1T_IbLb1EEEEDaS1P_S1Q_EUlS1P_E_NS1_11comp_targetILNS1_3genE2ELNS1_11target_archE906ELNS1_3gpuE6ELNS1_3repE0EEENS1_30default_config_static_selectorELNS0_4arch9wavefront6targetE0EEEvS12_.uses_vcc, 0
	.set _ZN7rocprim17ROCPRIM_400000_NS6detail17trampoline_kernelINS0_13select_configILj256ELj13ELNS0_17block_load_methodE3ELS4_3ELS4_3ELNS0_20block_scan_algorithmE0ELj4294967295EEENS1_25partition_config_selectorILNS1_17partition_subalgoE4EjNS0_10empty_typeEbEEZZNS1_14partition_implILS8_4ELb0ES6_15HIP_vector_typeIjLj2EENS0_17counting_iteratorIjlEEPS9_SG_NS0_5tupleIJPjSI_NS0_16reverse_iteratorISI_EEEEENSH_IJSG_SG_SG_EEES9_SI_JZNS1_25segmented_radix_sort_implINS0_14default_configELb0EPKaPaPKlPlN2at6native12_GLOBAL__N_18offset_tEEE10hipError_tPvRmT1_PNSt15iterator_traitsIS12_E10value_typeET2_T3_PNS13_IS18_E10value_typeET4_jRbjT5_S1E_jjP12ihipStream_tbEUljE_ZNSN_ISO_Lb0ESQ_SR_ST_SU_SY_EESZ_S10_S11_S12_S16_S17_S18_S1B_S1C_jS1D_jS1E_S1E_jjS1G_bEUljE0_EEESZ_S10_S11_S18_S1C_S1E_T6_T7_T9_mT8_S1G_bDpT10_ENKUlT_T0_E_clISt17integral_constantIbLb0EES1T_IbLb1EEEEDaS1P_S1Q_EUlS1P_E_NS1_11comp_targetILNS1_3genE2ELNS1_11target_archE906ELNS1_3gpuE6ELNS1_3repE0EEENS1_30default_config_static_selectorELNS0_4arch9wavefront6targetE0EEEvS12_.uses_flat_scratch, 0
	.set _ZN7rocprim17ROCPRIM_400000_NS6detail17trampoline_kernelINS0_13select_configILj256ELj13ELNS0_17block_load_methodE3ELS4_3ELS4_3ELNS0_20block_scan_algorithmE0ELj4294967295EEENS1_25partition_config_selectorILNS1_17partition_subalgoE4EjNS0_10empty_typeEbEEZZNS1_14partition_implILS8_4ELb0ES6_15HIP_vector_typeIjLj2EENS0_17counting_iteratorIjlEEPS9_SG_NS0_5tupleIJPjSI_NS0_16reverse_iteratorISI_EEEEENSH_IJSG_SG_SG_EEES9_SI_JZNS1_25segmented_radix_sort_implINS0_14default_configELb0EPKaPaPKlPlN2at6native12_GLOBAL__N_18offset_tEEE10hipError_tPvRmT1_PNSt15iterator_traitsIS12_E10value_typeET2_T3_PNS13_IS18_E10value_typeET4_jRbjT5_S1E_jjP12ihipStream_tbEUljE_ZNSN_ISO_Lb0ESQ_SR_ST_SU_SY_EESZ_S10_S11_S12_S16_S17_S18_S1B_S1C_jS1D_jS1E_S1E_jjS1G_bEUljE0_EEESZ_S10_S11_S18_S1C_S1E_T6_T7_T9_mT8_S1G_bDpT10_ENKUlT_T0_E_clISt17integral_constantIbLb0EES1T_IbLb1EEEEDaS1P_S1Q_EUlS1P_E_NS1_11comp_targetILNS1_3genE2ELNS1_11target_archE906ELNS1_3gpuE6ELNS1_3repE0EEENS1_30default_config_static_selectorELNS0_4arch9wavefront6targetE0EEEvS12_.has_dyn_sized_stack, 0
	.set _ZN7rocprim17ROCPRIM_400000_NS6detail17trampoline_kernelINS0_13select_configILj256ELj13ELNS0_17block_load_methodE3ELS4_3ELS4_3ELNS0_20block_scan_algorithmE0ELj4294967295EEENS1_25partition_config_selectorILNS1_17partition_subalgoE4EjNS0_10empty_typeEbEEZZNS1_14partition_implILS8_4ELb0ES6_15HIP_vector_typeIjLj2EENS0_17counting_iteratorIjlEEPS9_SG_NS0_5tupleIJPjSI_NS0_16reverse_iteratorISI_EEEEENSH_IJSG_SG_SG_EEES9_SI_JZNS1_25segmented_radix_sort_implINS0_14default_configELb0EPKaPaPKlPlN2at6native12_GLOBAL__N_18offset_tEEE10hipError_tPvRmT1_PNSt15iterator_traitsIS12_E10value_typeET2_T3_PNS13_IS18_E10value_typeET4_jRbjT5_S1E_jjP12ihipStream_tbEUljE_ZNSN_ISO_Lb0ESQ_SR_ST_SU_SY_EESZ_S10_S11_S12_S16_S17_S18_S1B_S1C_jS1D_jS1E_S1E_jjS1G_bEUljE0_EEESZ_S10_S11_S18_S1C_S1E_T6_T7_T9_mT8_S1G_bDpT10_ENKUlT_T0_E_clISt17integral_constantIbLb0EES1T_IbLb1EEEEDaS1P_S1Q_EUlS1P_E_NS1_11comp_targetILNS1_3genE2ELNS1_11target_archE906ELNS1_3gpuE6ELNS1_3repE0EEENS1_30default_config_static_selectorELNS0_4arch9wavefront6targetE0EEEvS12_.has_recursion, 0
	.set _ZN7rocprim17ROCPRIM_400000_NS6detail17trampoline_kernelINS0_13select_configILj256ELj13ELNS0_17block_load_methodE3ELS4_3ELS4_3ELNS0_20block_scan_algorithmE0ELj4294967295EEENS1_25partition_config_selectorILNS1_17partition_subalgoE4EjNS0_10empty_typeEbEEZZNS1_14partition_implILS8_4ELb0ES6_15HIP_vector_typeIjLj2EENS0_17counting_iteratorIjlEEPS9_SG_NS0_5tupleIJPjSI_NS0_16reverse_iteratorISI_EEEEENSH_IJSG_SG_SG_EEES9_SI_JZNS1_25segmented_radix_sort_implINS0_14default_configELb0EPKaPaPKlPlN2at6native12_GLOBAL__N_18offset_tEEE10hipError_tPvRmT1_PNSt15iterator_traitsIS12_E10value_typeET2_T3_PNS13_IS18_E10value_typeET4_jRbjT5_S1E_jjP12ihipStream_tbEUljE_ZNSN_ISO_Lb0ESQ_SR_ST_SU_SY_EESZ_S10_S11_S12_S16_S17_S18_S1B_S1C_jS1D_jS1E_S1E_jjS1G_bEUljE0_EEESZ_S10_S11_S18_S1C_S1E_T6_T7_T9_mT8_S1G_bDpT10_ENKUlT_T0_E_clISt17integral_constantIbLb0EES1T_IbLb1EEEEDaS1P_S1Q_EUlS1P_E_NS1_11comp_targetILNS1_3genE2ELNS1_11target_archE906ELNS1_3gpuE6ELNS1_3repE0EEENS1_30default_config_static_selectorELNS0_4arch9wavefront6targetE0EEEvS12_.has_indirect_call, 0
	.section	.AMDGPU.csdata,"",@progbits
; Kernel info:
; codeLenInByte = 0
; TotalNumSgprs: 0
; NumVgprs: 0
; ScratchSize: 0
; MemoryBound: 0
; FloatMode: 240
; IeeeMode: 1
; LDSByteSize: 0 bytes/workgroup (compile time only)
; SGPRBlocks: 0
; VGPRBlocks: 0
; NumSGPRsForWavesPerEU: 1
; NumVGPRsForWavesPerEU: 1
; Occupancy: 16
; WaveLimiterHint : 0
; COMPUTE_PGM_RSRC2:SCRATCH_EN: 0
; COMPUTE_PGM_RSRC2:USER_SGPR: 2
; COMPUTE_PGM_RSRC2:TRAP_HANDLER: 0
; COMPUTE_PGM_RSRC2:TGID_X_EN: 1
; COMPUTE_PGM_RSRC2:TGID_Y_EN: 0
; COMPUTE_PGM_RSRC2:TGID_Z_EN: 0
; COMPUTE_PGM_RSRC2:TIDIG_COMP_CNT: 0
	.section	.text._ZN7rocprim17ROCPRIM_400000_NS6detail17trampoline_kernelINS0_13select_configILj256ELj13ELNS0_17block_load_methodE3ELS4_3ELS4_3ELNS0_20block_scan_algorithmE0ELj4294967295EEENS1_25partition_config_selectorILNS1_17partition_subalgoE4EjNS0_10empty_typeEbEEZZNS1_14partition_implILS8_4ELb0ES6_15HIP_vector_typeIjLj2EENS0_17counting_iteratorIjlEEPS9_SG_NS0_5tupleIJPjSI_NS0_16reverse_iteratorISI_EEEEENSH_IJSG_SG_SG_EEES9_SI_JZNS1_25segmented_radix_sort_implINS0_14default_configELb0EPKaPaPKlPlN2at6native12_GLOBAL__N_18offset_tEEE10hipError_tPvRmT1_PNSt15iterator_traitsIS12_E10value_typeET2_T3_PNS13_IS18_E10value_typeET4_jRbjT5_S1E_jjP12ihipStream_tbEUljE_ZNSN_ISO_Lb0ESQ_SR_ST_SU_SY_EESZ_S10_S11_S12_S16_S17_S18_S1B_S1C_jS1D_jS1E_S1E_jjS1G_bEUljE0_EEESZ_S10_S11_S18_S1C_S1E_T6_T7_T9_mT8_S1G_bDpT10_ENKUlT_T0_E_clISt17integral_constantIbLb0EES1T_IbLb1EEEEDaS1P_S1Q_EUlS1P_E_NS1_11comp_targetILNS1_3genE10ELNS1_11target_archE1200ELNS1_3gpuE4ELNS1_3repE0EEENS1_30default_config_static_selectorELNS0_4arch9wavefront6targetE0EEEvS12_,"axG",@progbits,_ZN7rocprim17ROCPRIM_400000_NS6detail17trampoline_kernelINS0_13select_configILj256ELj13ELNS0_17block_load_methodE3ELS4_3ELS4_3ELNS0_20block_scan_algorithmE0ELj4294967295EEENS1_25partition_config_selectorILNS1_17partition_subalgoE4EjNS0_10empty_typeEbEEZZNS1_14partition_implILS8_4ELb0ES6_15HIP_vector_typeIjLj2EENS0_17counting_iteratorIjlEEPS9_SG_NS0_5tupleIJPjSI_NS0_16reverse_iteratorISI_EEEEENSH_IJSG_SG_SG_EEES9_SI_JZNS1_25segmented_radix_sort_implINS0_14default_configELb0EPKaPaPKlPlN2at6native12_GLOBAL__N_18offset_tEEE10hipError_tPvRmT1_PNSt15iterator_traitsIS12_E10value_typeET2_T3_PNS13_IS18_E10value_typeET4_jRbjT5_S1E_jjP12ihipStream_tbEUljE_ZNSN_ISO_Lb0ESQ_SR_ST_SU_SY_EESZ_S10_S11_S12_S16_S17_S18_S1B_S1C_jS1D_jS1E_S1E_jjS1G_bEUljE0_EEESZ_S10_S11_S18_S1C_S1E_T6_T7_T9_mT8_S1G_bDpT10_ENKUlT_T0_E_clISt17integral_constantIbLb0EES1T_IbLb1EEEEDaS1P_S1Q_EUlS1P_E_NS1_11comp_targetILNS1_3genE10ELNS1_11target_archE1200ELNS1_3gpuE4ELNS1_3repE0EEENS1_30default_config_static_selectorELNS0_4arch9wavefront6targetE0EEEvS12_,comdat
	.globl	_ZN7rocprim17ROCPRIM_400000_NS6detail17trampoline_kernelINS0_13select_configILj256ELj13ELNS0_17block_load_methodE3ELS4_3ELS4_3ELNS0_20block_scan_algorithmE0ELj4294967295EEENS1_25partition_config_selectorILNS1_17partition_subalgoE4EjNS0_10empty_typeEbEEZZNS1_14partition_implILS8_4ELb0ES6_15HIP_vector_typeIjLj2EENS0_17counting_iteratorIjlEEPS9_SG_NS0_5tupleIJPjSI_NS0_16reverse_iteratorISI_EEEEENSH_IJSG_SG_SG_EEES9_SI_JZNS1_25segmented_radix_sort_implINS0_14default_configELb0EPKaPaPKlPlN2at6native12_GLOBAL__N_18offset_tEEE10hipError_tPvRmT1_PNSt15iterator_traitsIS12_E10value_typeET2_T3_PNS13_IS18_E10value_typeET4_jRbjT5_S1E_jjP12ihipStream_tbEUljE_ZNSN_ISO_Lb0ESQ_SR_ST_SU_SY_EESZ_S10_S11_S12_S16_S17_S18_S1B_S1C_jS1D_jS1E_S1E_jjS1G_bEUljE0_EEESZ_S10_S11_S18_S1C_S1E_T6_T7_T9_mT8_S1G_bDpT10_ENKUlT_T0_E_clISt17integral_constantIbLb0EES1T_IbLb1EEEEDaS1P_S1Q_EUlS1P_E_NS1_11comp_targetILNS1_3genE10ELNS1_11target_archE1200ELNS1_3gpuE4ELNS1_3repE0EEENS1_30default_config_static_selectorELNS0_4arch9wavefront6targetE0EEEvS12_ ; -- Begin function _ZN7rocprim17ROCPRIM_400000_NS6detail17trampoline_kernelINS0_13select_configILj256ELj13ELNS0_17block_load_methodE3ELS4_3ELS4_3ELNS0_20block_scan_algorithmE0ELj4294967295EEENS1_25partition_config_selectorILNS1_17partition_subalgoE4EjNS0_10empty_typeEbEEZZNS1_14partition_implILS8_4ELb0ES6_15HIP_vector_typeIjLj2EENS0_17counting_iteratorIjlEEPS9_SG_NS0_5tupleIJPjSI_NS0_16reverse_iteratorISI_EEEEENSH_IJSG_SG_SG_EEES9_SI_JZNS1_25segmented_radix_sort_implINS0_14default_configELb0EPKaPaPKlPlN2at6native12_GLOBAL__N_18offset_tEEE10hipError_tPvRmT1_PNSt15iterator_traitsIS12_E10value_typeET2_T3_PNS13_IS18_E10value_typeET4_jRbjT5_S1E_jjP12ihipStream_tbEUljE_ZNSN_ISO_Lb0ESQ_SR_ST_SU_SY_EESZ_S10_S11_S12_S16_S17_S18_S1B_S1C_jS1D_jS1E_S1E_jjS1G_bEUljE0_EEESZ_S10_S11_S18_S1C_S1E_T6_T7_T9_mT8_S1G_bDpT10_ENKUlT_T0_E_clISt17integral_constantIbLb0EES1T_IbLb1EEEEDaS1P_S1Q_EUlS1P_E_NS1_11comp_targetILNS1_3genE10ELNS1_11target_archE1200ELNS1_3gpuE4ELNS1_3repE0EEENS1_30default_config_static_selectorELNS0_4arch9wavefront6targetE0EEEvS12_
	.p2align	8
	.type	_ZN7rocprim17ROCPRIM_400000_NS6detail17trampoline_kernelINS0_13select_configILj256ELj13ELNS0_17block_load_methodE3ELS4_3ELS4_3ELNS0_20block_scan_algorithmE0ELj4294967295EEENS1_25partition_config_selectorILNS1_17partition_subalgoE4EjNS0_10empty_typeEbEEZZNS1_14partition_implILS8_4ELb0ES6_15HIP_vector_typeIjLj2EENS0_17counting_iteratorIjlEEPS9_SG_NS0_5tupleIJPjSI_NS0_16reverse_iteratorISI_EEEEENSH_IJSG_SG_SG_EEES9_SI_JZNS1_25segmented_radix_sort_implINS0_14default_configELb0EPKaPaPKlPlN2at6native12_GLOBAL__N_18offset_tEEE10hipError_tPvRmT1_PNSt15iterator_traitsIS12_E10value_typeET2_T3_PNS13_IS18_E10value_typeET4_jRbjT5_S1E_jjP12ihipStream_tbEUljE_ZNSN_ISO_Lb0ESQ_SR_ST_SU_SY_EESZ_S10_S11_S12_S16_S17_S18_S1B_S1C_jS1D_jS1E_S1E_jjS1G_bEUljE0_EEESZ_S10_S11_S18_S1C_S1E_T6_T7_T9_mT8_S1G_bDpT10_ENKUlT_T0_E_clISt17integral_constantIbLb0EES1T_IbLb1EEEEDaS1P_S1Q_EUlS1P_E_NS1_11comp_targetILNS1_3genE10ELNS1_11target_archE1200ELNS1_3gpuE4ELNS1_3repE0EEENS1_30default_config_static_selectorELNS0_4arch9wavefront6targetE0EEEvS12_,@function
_ZN7rocprim17ROCPRIM_400000_NS6detail17trampoline_kernelINS0_13select_configILj256ELj13ELNS0_17block_load_methodE3ELS4_3ELS4_3ELNS0_20block_scan_algorithmE0ELj4294967295EEENS1_25partition_config_selectorILNS1_17partition_subalgoE4EjNS0_10empty_typeEbEEZZNS1_14partition_implILS8_4ELb0ES6_15HIP_vector_typeIjLj2EENS0_17counting_iteratorIjlEEPS9_SG_NS0_5tupleIJPjSI_NS0_16reverse_iteratorISI_EEEEENSH_IJSG_SG_SG_EEES9_SI_JZNS1_25segmented_radix_sort_implINS0_14default_configELb0EPKaPaPKlPlN2at6native12_GLOBAL__N_18offset_tEEE10hipError_tPvRmT1_PNSt15iterator_traitsIS12_E10value_typeET2_T3_PNS13_IS18_E10value_typeET4_jRbjT5_S1E_jjP12ihipStream_tbEUljE_ZNSN_ISO_Lb0ESQ_SR_ST_SU_SY_EESZ_S10_S11_S12_S16_S17_S18_S1B_S1C_jS1D_jS1E_S1E_jjS1G_bEUljE0_EEESZ_S10_S11_S18_S1C_S1E_T6_T7_T9_mT8_S1G_bDpT10_ENKUlT_T0_E_clISt17integral_constantIbLb0EES1T_IbLb1EEEEDaS1P_S1Q_EUlS1P_E_NS1_11comp_targetILNS1_3genE10ELNS1_11target_archE1200ELNS1_3gpuE4ELNS1_3repE0EEENS1_30default_config_static_selectorELNS0_4arch9wavefront6targetE0EEEvS12_: ; @_ZN7rocprim17ROCPRIM_400000_NS6detail17trampoline_kernelINS0_13select_configILj256ELj13ELNS0_17block_load_methodE3ELS4_3ELS4_3ELNS0_20block_scan_algorithmE0ELj4294967295EEENS1_25partition_config_selectorILNS1_17partition_subalgoE4EjNS0_10empty_typeEbEEZZNS1_14partition_implILS8_4ELb0ES6_15HIP_vector_typeIjLj2EENS0_17counting_iteratorIjlEEPS9_SG_NS0_5tupleIJPjSI_NS0_16reverse_iteratorISI_EEEEENSH_IJSG_SG_SG_EEES9_SI_JZNS1_25segmented_radix_sort_implINS0_14default_configELb0EPKaPaPKlPlN2at6native12_GLOBAL__N_18offset_tEEE10hipError_tPvRmT1_PNSt15iterator_traitsIS12_E10value_typeET2_T3_PNS13_IS18_E10value_typeET4_jRbjT5_S1E_jjP12ihipStream_tbEUljE_ZNSN_ISO_Lb0ESQ_SR_ST_SU_SY_EESZ_S10_S11_S12_S16_S17_S18_S1B_S1C_jS1D_jS1E_S1E_jjS1G_bEUljE0_EEESZ_S10_S11_S18_S1C_S1E_T6_T7_T9_mT8_S1G_bDpT10_ENKUlT_T0_E_clISt17integral_constantIbLb0EES1T_IbLb1EEEEDaS1P_S1Q_EUlS1P_E_NS1_11comp_targetILNS1_3genE10ELNS1_11target_archE1200ELNS1_3gpuE4ELNS1_3repE0EEENS1_30default_config_static_selectorELNS0_4arch9wavefront6targetE0EEEvS12_
; %bb.0:
	s_clause 0x7
	s_load_b64 s[34:35], s[0:1], 0x10
	s_load_b128 s[28:31], s[0:1], 0x28
	s_load_b64 s[14:15], s[0:1], 0x38
	s_load_b128 s[24:27], s[0:1], 0x58
	s_load_b64 s[4:5], s[0:1], 0x68
	s_load_b64 s[36:37], s[0:1], 0x78
	;; [unrolled: 1-line block ×3, first 2 shown]
	s_load_b256 s[16:23], s[0:1], 0x90
	v_cmp_eq_u32_e64 s2, 0, v0
	s_and_saveexec_b32 s3, s2
	s_cbranch_execz .LBB358_4
; %bb.1:
	s_mov_b32 s7, exec_lo
	s_mov_b32 s6, exec_lo
	v_mbcnt_lo_u32_b32 v1, s7, 0
                                        ; implicit-def: $vgpr2
	s_delay_alu instid0(VALU_DEP_1)
	v_cmpx_eq_u32_e32 0, v1
	s_cbranch_execz .LBB358_3
; %bb.2:
	s_load_b64 s[8:9], s[0:1], 0x88
	s_bcnt1_i32_b32 s7, s7
	s_wait_alu 0xfffe
	v_dual_mov_b32 v2, 0 :: v_dual_mov_b32 v3, s7
	s_wait_kmcnt 0x0
	global_atomic_add_u32 v2, v2, v3, s[8:9] th:TH_ATOMIC_RETURN scope:SCOPE_DEV
.LBB358_3:
	s_or_b32 exec_lo, exec_lo, s6
	s_wait_loadcnt 0x0
	v_readfirstlane_b32 s6, v2
	s_wait_alu 0xf1ff
	s_delay_alu instid0(VALU_DEP_1)
	v_dual_mov_b32 v2, 0 :: v_dual_add_nc_u32 v1, s6, v1
	ds_store_b32 v2, v1
.LBB358_4:
	s_or_b32 exec_lo, exec_lo, s3
	v_mov_b32_e32 v1, 0
	s_clause 0x1
	s_load_b32 s3, s[0:1], 0x8
	s_load_b32 s0, s[0:1], 0x80
	s_wait_dscnt 0x0
	s_barrier_signal -1
	s_barrier_wait -1
	global_inv scope:SCOPE_SE
	ds_load_b32 v5, v1
	s_wait_loadcnt_dscnt 0x0
	s_barrier_signal -1
	s_barrier_wait -1
	global_inv scope:SCOPE_SE
	s_wait_kmcnt 0x0
	global_load_b128 v[1:4], v1, s[26:27]
	s_mov_b32 s1, 0
	s_add_co_i32 s3, s3, s34
	s_add_co_i32 s6, s0, -1
	s_mulk_i32 s0, 0xd00
	s_delay_alu instid0(SALU_CYCLE_1)
	s_add_co_i32 s7, s0, s34
	s_add_nc_u64 s[0:1], s[34:35], s[0:1]
	v_readfirstlane_b32 s33, v5
	v_cmp_gt_u64_e64 s0, s[4:5], s[0:1]
	s_wait_alu 0xfffe
	s_sub_co_i32 s27, s4, s7
	v_cmp_ne_u32_e32 vcc_lo, s6, v5
	v_mul_lo_u32 v43, 0xd00, v5
	s_addk_co_i32 s27, 0xd00
	s_cmp_eq_u32 s33, s6
	s_mov_b32 s4, -1
	s_cselect_b32 s26, -1, 0
	s_or_b32 s1, s0, vcc_lo
	s_wait_alu 0xfffe
	s_and_b32 vcc_lo, exec_lo, s1
	s_cbranch_vccz .LBB358_6
; %bb.5:
	v_add3_u32 v5, v43, s3, v0
	v_lshlrev_b32_e32 v14, 2, v0
	s_mov_b32 s4, 0
	s_delay_alu instid0(VALU_DEP_2)
	v_add_nc_u32_e32 v6, 0x100, v5
	v_add_nc_u32_e32 v7, 0x200, v5
	;; [unrolled: 1-line block ×12, first 2 shown]
	ds_store_2addr_stride64_b32 v14, v5, v6 offset1:4
	ds_store_2addr_stride64_b32 v14, v7, v8 offset0:8 offset1:12
	ds_store_2addr_stride64_b32 v14, v9, v10 offset0:16 offset1:20
	;; [unrolled: 1-line block ×5, first 2 shown]
	ds_store_b32 v14, v18 offset:12288
	s_wait_loadcnt_dscnt 0x0
	s_barrier_signal -1
	s_barrier_wait -1
.LBB358_6:
	v_cmp_gt_u32_e64 s0, s27, v0
	v_or_b32_e32 v42, 0x100, v0
	v_or_b32_e32 v41, 0x200, v0
	;; [unrolled: 1-line block ×12, first 2 shown]
	s_wait_alu 0xfffe
	s_and_not1_b32 vcc_lo, exec_lo, s4
	s_cbranch_vccnz .LBB358_8
; %bb.7:
	v_add_nc_u32_e32 v5, s3, v43
	v_cmp_gt_u32_e32 vcc_lo, s27, v42
	s_delay_alu instid0(VALU_DEP_2) | instskip(NEXT) | instid1(VALU_DEP_1)
	v_add_nc_u32_e32 v7, v5, v42
	v_dual_cndmask_b32 v7, 0, v7 :: v_dual_add_nc_u32 v8, v5, v41
	v_cmp_gt_u32_e32 vcc_lo, s27, v41
	s_wait_alu 0xfffd
	s_delay_alu instid0(VALU_DEP_2)
	v_cndmask_b32_e32 v8, 0, v8, vcc_lo
	v_cmp_gt_u32_e32 vcc_lo, s27, v40
	v_add_nc_u32_e32 v17, v5, v32
	v_add_nc_u32_e32 v14, v5, v35
	;; [unrolled: 1-line block ×9, first 2 shown]
	s_wait_alu 0xfffd
	v_cndmask_b32_e32 v9, 0, v9, vcc_lo
	v_cmp_gt_u32_e32 vcc_lo, s27, v39
	v_cndmask_b32_e64 v6, 0, v6, s0
	s_wait_alu 0xfffd
	v_cndmask_b32_e32 v10, 0, v10, vcc_lo
	v_cmp_gt_u32_e32 vcc_lo, s27, v38
	v_add_nc_u32_e32 v12, v5, v37
	v_add_nc_u32_e32 v5, v5, v31
	s_wait_alu 0xfffd
	v_cndmask_b32_e32 v11, 0, v11, vcc_lo
	v_cmp_gt_u32_e32 vcc_lo, s27, v37
	s_wait_alu 0xfffd
	v_cndmask_b32_e32 v12, 0, v12, vcc_lo
	v_cmp_gt_u32_e32 vcc_lo, s27, v36
	;; [unrolled: 3-line block ×7, first 2 shown]
	s_wait_alu 0xfffd
	v_dual_cndmask_b32 v5, 0, v5 :: v_dual_lshlrev_b32 v18, 2, v0
	ds_store_2addr_stride64_b32 v18, v6, v7 offset1:4
	ds_store_2addr_stride64_b32 v18, v8, v9 offset0:8 offset1:12
	ds_store_2addr_stride64_b32 v18, v10, v11 offset0:16 offset1:20
	;; [unrolled: 1-line block ×5, first 2 shown]
	ds_store_b32 v18, v5 offset:12288
	s_wait_loadcnt_dscnt 0x0
	s_barrier_signal -1
	s_barrier_wait -1
.LBB358_8:
	v_mul_u32_u24_e32 v46, 13, v0
	s_wait_loadcnt 0x0
	global_inv scope:SCOPE_SE
	v_cndmask_b32_e64 v44, 0, 1, s1
	s_and_not1_b32 vcc_lo, exec_lo, s1
	v_lshlrev_b32_e32 v5, 2, v46
	ds_load_2addr_b32 v[23:24], v5 offset1:1
	ds_load_2addr_b32 v[21:22], v5 offset0:2 offset1:3
	ds_load_2addr_b32 v[19:20], v5 offset0:4 offset1:5
	;; [unrolled: 1-line block ×5, first 2 shown]
	ds_load_b32 v45, v5 offset:48
	s_wait_loadcnt_dscnt 0x0
	s_barrier_signal -1
	s_barrier_wait -1
	global_inv scope:SCOPE_SE
	s_wait_alu 0xfffe
	s_cbranch_vccnz .LBB358_36
; %bb.9:
	v_add_nc_u32_e32 v5, s17, v23
	v_add_nc_u32_e32 v6, s19, v23
	s_mov_b32 s41, 0
	s_mov_b32 s40, 0
	s_mov_b32 s1, exec_lo
	v_mul_lo_u32 v5, v5, s16
	v_mul_lo_u32 v6, v6, s18
	s_delay_alu instid0(VALU_DEP_1) | instskip(NEXT) | instid1(VALU_DEP_1)
	v_sub_nc_u32_e32 v5, v5, v6
	v_cmp_lt_u32_e32 vcc_lo, s20, v5
	v_cmpx_ge_u32_e64 s20, v5
	s_cbranch_execz .LBB358_11
; %bb.10:
	v_add_nc_u32_e32 v5, s22, v23
	v_add_nc_u32_e32 v6, s38, v23
	s_delay_alu instid0(VALU_DEP_2) | instskip(NEXT) | instid1(VALU_DEP_2)
	v_mul_lo_u32 v5, v5, s21
	v_mul_lo_u32 v6, v6, s23
	s_delay_alu instid0(VALU_DEP_1) | instskip(NEXT) | instid1(VALU_DEP_1)
	v_sub_nc_u32_e32 v5, v5, v6
	v_cmp_lt_u32_e64 s0, s39, v5
	s_and_b32 s40, s0, exec_lo
.LBB358_11:
	s_wait_alu 0xfffe
	s_or_b32 exec_lo, exec_lo, s1
	v_add_nc_u32_e32 v5, s17, v24
	v_add_nc_u32_e32 v6, s19, v24
	s_mov_b32 s3, exec_lo
	s_delay_alu instid0(VALU_DEP_2) | instskip(NEXT) | instid1(VALU_DEP_2)
	v_mul_lo_u32 v5, v5, s16
	v_mul_lo_u32 v6, v6, s18
	s_delay_alu instid0(VALU_DEP_1) | instskip(NEXT) | instid1(VALU_DEP_1)
	v_sub_nc_u32_e32 v5, v5, v6
	v_cmp_lt_u32_e64 s0, s20, v5
	v_cmpx_ge_u32_e64 s20, v5
	s_cbranch_execz .LBB358_13
; %bb.12:
	v_add_nc_u32_e32 v5, s22, v24
	v_add_nc_u32_e32 v6, s38, v24
	s_delay_alu instid0(VALU_DEP_2) | instskip(NEXT) | instid1(VALU_DEP_2)
	v_mul_lo_u32 v5, v5, s21
	v_mul_lo_u32 v6, v6, s23
	s_delay_alu instid0(VALU_DEP_1) | instskip(NEXT) | instid1(VALU_DEP_1)
	v_sub_nc_u32_e32 v5, v5, v6
	v_cmp_lt_u32_e64 s1, s39, v5
	s_and_b32 s41, s1, exec_lo
.LBB358_13:
	s_wait_alu 0xfffe
	s_or_b32 exec_lo, exec_lo, s3
	v_add_nc_u32_e32 v5, s17, v21
	v_add_nc_u32_e32 v6, s19, v21
	s_mov_b32 s43, 0
	s_mov_b32 s42, 0
	s_mov_b32 s4, exec_lo
	v_mul_lo_u32 v5, v5, s16
	v_mul_lo_u32 v6, v6, s18
	s_delay_alu instid0(VALU_DEP_1) | instskip(NEXT) | instid1(VALU_DEP_1)
	v_sub_nc_u32_e32 v5, v5, v6
	v_cmp_lt_u32_e64 s1, s20, v5
	v_cmpx_ge_u32_e64 s20, v5
	s_cbranch_execz .LBB358_15
; %bb.14:
	v_add_nc_u32_e32 v5, s22, v21
	v_add_nc_u32_e32 v6, s38, v21
	s_delay_alu instid0(VALU_DEP_2) | instskip(NEXT) | instid1(VALU_DEP_2)
	v_mul_lo_u32 v5, v5, s21
	v_mul_lo_u32 v6, v6, s23
	s_delay_alu instid0(VALU_DEP_1) | instskip(NEXT) | instid1(VALU_DEP_1)
	v_sub_nc_u32_e32 v5, v5, v6
	v_cmp_lt_u32_e64 s3, s39, v5
	s_and_b32 s42, s3, exec_lo
.LBB358_15:
	s_wait_alu 0xfffe
	s_or_b32 exec_lo, exec_lo, s4
	v_add_nc_u32_e32 v5, s17, v22
	v_add_nc_u32_e32 v6, s19, v22
	s_mov_b32 s5, exec_lo
	s_delay_alu instid0(VALU_DEP_2) | instskip(NEXT) | instid1(VALU_DEP_2)
	v_mul_lo_u32 v5, v5, s16
	v_mul_lo_u32 v6, v6, s18
	s_delay_alu instid0(VALU_DEP_1) | instskip(NEXT) | instid1(VALU_DEP_1)
	v_sub_nc_u32_e32 v5, v5, v6
	v_cmp_lt_u32_e64 s3, s20, v5
	v_cmpx_ge_u32_e64 s20, v5
	s_cbranch_execz .LBB358_17
; %bb.16:
	v_add_nc_u32_e32 v5, s22, v22
	v_add_nc_u32_e32 v6, s38, v22
	s_delay_alu instid0(VALU_DEP_2) | instskip(NEXT) | instid1(VALU_DEP_2)
	v_mul_lo_u32 v5, v5, s21
	v_mul_lo_u32 v6, v6, s23
	s_delay_alu instid0(VALU_DEP_1) | instskip(NEXT) | instid1(VALU_DEP_1)
	v_sub_nc_u32_e32 v5, v5, v6
	v_cmp_lt_u32_e64 s4, s39, v5
	s_and_b32 s43, s4, exec_lo
.LBB358_17:
	s_wait_alu 0xfffe
	s_or_b32 exec_lo, exec_lo, s5
	v_add_nc_u32_e32 v5, s17, v19
	v_add_nc_u32_e32 v6, s19, v19
	s_mov_b32 s45, 0
	s_mov_b32 s44, 0
	s_mov_b32 s6, exec_lo
	v_mul_lo_u32 v5, v5, s16
	v_mul_lo_u32 v6, v6, s18
	s_delay_alu instid0(VALU_DEP_1) | instskip(NEXT) | instid1(VALU_DEP_1)
	v_sub_nc_u32_e32 v5, v5, v6
	v_cmp_lt_u32_e64 s4, s20, v5
	v_cmpx_ge_u32_e64 s20, v5
	s_cbranch_execz .LBB358_19
; %bb.18:
	v_add_nc_u32_e32 v5, s22, v19
	v_add_nc_u32_e32 v6, s38, v19
	s_delay_alu instid0(VALU_DEP_2) | instskip(NEXT) | instid1(VALU_DEP_2)
	v_mul_lo_u32 v5, v5, s21
	v_mul_lo_u32 v6, v6, s23
	s_delay_alu instid0(VALU_DEP_1) | instskip(NEXT) | instid1(VALU_DEP_1)
	v_sub_nc_u32_e32 v5, v5, v6
	v_cmp_lt_u32_e64 s5, s39, v5
	s_and_b32 s44, s5, exec_lo
.LBB358_19:
	s_wait_alu 0xfffe
	s_or_b32 exec_lo, exec_lo, s6
	v_add_nc_u32_e32 v5, s17, v20
	v_add_nc_u32_e32 v6, s19, v20
	s_mov_b32 s7, exec_lo
	s_delay_alu instid0(VALU_DEP_2) | instskip(NEXT) | instid1(VALU_DEP_2)
	v_mul_lo_u32 v5, v5, s16
	v_mul_lo_u32 v6, v6, s18
	s_delay_alu instid0(VALU_DEP_1) | instskip(NEXT) | instid1(VALU_DEP_1)
	v_sub_nc_u32_e32 v5, v5, v6
	v_cmp_lt_u32_e64 s5, s20, v5
	v_cmpx_ge_u32_e64 s20, v5
	s_cbranch_execz .LBB358_21
; %bb.20:
	v_add_nc_u32_e32 v5, s22, v20
	v_add_nc_u32_e32 v6, s38, v20
	s_delay_alu instid0(VALU_DEP_2) | instskip(NEXT) | instid1(VALU_DEP_2)
	v_mul_lo_u32 v5, v5, s21
	v_mul_lo_u32 v6, v6, s23
	s_delay_alu instid0(VALU_DEP_1) | instskip(NEXT) | instid1(VALU_DEP_1)
	v_sub_nc_u32_e32 v5, v5, v6
	v_cmp_lt_u32_e64 s6, s39, v5
	s_and_b32 s45, s6, exec_lo
.LBB358_21:
	s_wait_alu 0xfffe
	s_or_b32 exec_lo, exec_lo, s7
	v_add_nc_u32_e32 v5, s17, v17
	v_add_nc_u32_e32 v6, s19, v17
	s_mov_b32 s47, 0
	s_mov_b32 s46, 0
	s_mov_b32 s8, exec_lo
	v_mul_lo_u32 v5, v5, s16
	v_mul_lo_u32 v6, v6, s18
	s_delay_alu instid0(VALU_DEP_1) | instskip(NEXT) | instid1(VALU_DEP_1)
	v_sub_nc_u32_e32 v5, v5, v6
	v_cmp_lt_u32_e64 s6, s20, v5
	v_cmpx_ge_u32_e64 s20, v5
	s_cbranch_execz .LBB358_23
; %bb.22:
	v_add_nc_u32_e32 v5, s22, v17
	v_add_nc_u32_e32 v6, s38, v17
	s_delay_alu instid0(VALU_DEP_2) | instskip(NEXT) | instid1(VALU_DEP_2)
	v_mul_lo_u32 v5, v5, s21
	v_mul_lo_u32 v6, v6, s23
	s_delay_alu instid0(VALU_DEP_1) | instskip(NEXT) | instid1(VALU_DEP_1)
	v_sub_nc_u32_e32 v5, v5, v6
	v_cmp_lt_u32_e64 s7, s39, v5
	s_and_b32 s46, s7, exec_lo
.LBB358_23:
	s_or_b32 exec_lo, exec_lo, s8
	v_add_nc_u32_e32 v5, s17, v18
	v_add_nc_u32_e32 v6, s19, v18
	s_mov_b32 s9, exec_lo
	s_delay_alu instid0(VALU_DEP_2) | instskip(NEXT) | instid1(VALU_DEP_2)
	v_mul_lo_u32 v5, v5, s16
	v_mul_lo_u32 v6, v6, s18
	s_delay_alu instid0(VALU_DEP_1) | instskip(NEXT) | instid1(VALU_DEP_1)
	v_sub_nc_u32_e32 v5, v5, v6
	v_cmp_lt_u32_e64 s7, s20, v5
	v_cmpx_ge_u32_e64 s20, v5
	s_cbranch_execz .LBB358_25
; %bb.24:
	v_add_nc_u32_e32 v5, s22, v18
	v_add_nc_u32_e32 v6, s38, v18
	s_delay_alu instid0(VALU_DEP_2) | instskip(NEXT) | instid1(VALU_DEP_2)
	v_mul_lo_u32 v5, v5, s21
	v_mul_lo_u32 v6, v6, s23
	s_delay_alu instid0(VALU_DEP_1) | instskip(NEXT) | instid1(VALU_DEP_1)
	v_sub_nc_u32_e32 v5, v5, v6
	v_cmp_lt_u32_e64 s8, s39, v5
	s_and_b32 s47, s8, exec_lo
.LBB358_25:
	s_or_b32 exec_lo, exec_lo, s9
	v_add_nc_u32_e32 v5, s17, v15
	v_add_nc_u32_e32 v6, s19, v15
	s_mov_b32 s50, 0
	s_mov_b32 s49, 0
	s_mov_b32 s10, exec_lo
	v_mul_lo_u32 v5, v5, s16
	v_mul_lo_u32 v6, v6, s18
	s_delay_alu instid0(VALU_DEP_1) | instskip(NEXT) | instid1(VALU_DEP_1)
	v_sub_nc_u32_e32 v5, v5, v6
	v_cmp_lt_u32_e64 s8, s20, v5
	v_cmpx_ge_u32_e64 s20, v5
	s_cbranch_execz .LBB358_27
; %bb.26:
	v_add_nc_u32_e32 v5, s22, v15
	v_add_nc_u32_e32 v6, s38, v15
	s_delay_alu instid0(VALU_DEP_2) | instskip(NEXT) | instid1(VALU_DEP_2)
	v_mul_lo_u32 v5, v5, s21
	v_mul_lo_u32 v6, v6, s23
	s_delay_alu instid0(VALU_DEP_1) | instskip(NEXT) | instid1(VALU_DEP_1)
	v_sub_nc_u32_e32 v5, v5, v6
	v_cmp_lt_u32_e64 s9, s39, v5
	s_and_b32 s49, s9, exec_lo
.LBB358_27:
	s_or_b32 exec_lo, exec_lo, s10
	v_add_nc_u32_e32 v5, s17, v16
	v_add_nc_u32_e32 v6, s19, v16
	s_mov_b32 s11, exec_lo
	s_delay_alu instid0(VALU_DEP_2) | instskip(NEXT) | instid1(VALU_DEP_2)
	v_mul_lo_u32 v5, v5, s16
	v_mul_lo_u32 v6, v6, s18
	s_delay_alu instid0(VALU_DEP_1) | instskip(NEXT) | instid1(VALU_DEP_1)
	v_sub_nc_u32_e32 v5, v5, v6
	v_cmp_lt_u32_e64 s9, s20, v5
	v_cmpx_ge_u32_e64 s20, v5
	s_cbranch_execz .LBB358_29
; %bb.28:
	v_add_nc_u32_e32 v5, s22, v16
	v_add_nc_u32_e32 v6, s38, v16
	s_delay_alu instid0(VALU_DEP_2) | instskip(NEXT) | instid1(VALU_DEP_2)
	v_mul_lo_u32 v5, v5, s21
	v_mul_lo_u32 v6, v6, s23
	s_delay_alu instid0(VALU_DEP_1) | instskip(NEXT) | instid1(VALU_DEP_1)
	v_sub_nc_u32_e32 v5, v5, v6
	v_cmp_lt_u32_e64 s10, s39, v5
	s_and_b32 s50, s10, exec_lo
.LBB358_29:
	s_or_b32 exec_lo, exec_lo, s11
	v_add_nc_u32_e32 v5, s17, v13
	v_add_nc_u32_e32 v6, s19, v13
	s_mov_b32 s51, 0
	s_mov_b32 s52, 0
	s_mov_b32 s12, exec_lo
	v_mul_lo_u32 v5, v5, s16
	v_mul_lo_u32 v6, v6, s18
	s_delay_alu instid0(VALU_DEP_1) | instskip(NEXT) | instid1(VALU_DEP_1)
	v_sub_nc_u32_e32 v5, v5, v6
	v_cmp_lt_u32_e64 s10, s20, v5
	;; [unrolled: 47-line block ×3, first 2 shown]
	v_cmpx_ge_u32_e64 s20, v5
	s_cbranch_execz .LBB358_35
; %bb.34:
	v_add_nc_u32_e32 v5, s22, v45
	v_add_nc_u32_e32 v6, s38, v45
	s_delay_alu instid0(VALU_DEP_2) | instskip(NEXT) | instid1(VALU_DEP_2)
	v_mul_lo_u32 v5, v5, s21
	v_mul_lo_u32 v6, v6, s23
	s_delay_alu instid0(VALU_DEP_1) | instskip(NEXT) | instid1(VALU_DEP_1)
	v_sub_nc_u32_e32 v5, v5, v6
	v_cmp_lt_u32_e64 s13, s39, v5
	s_and_b32 s53, s13, exec_lo
.LBB358_35:
	s_or_b32 exec_lo, exec_lo, s54
	v_cndmask_b32_e64 v6, 0, 1, s0
	v_cndmask_b32_e64 v8, 0, 1, s3
	s_wait_alu 0xfffd
	v_cndmask_b32_e64 v5, 0, 1, vcc_lo
	v_cndmask_b32_e64 v7, 0, 1, s1
	v_cndmask_b32_e64 v10, 0, 1, s5
	v_lshlrev_b16 v6, 8, v6
	v_lshlrev_b16 v8, 8, v8
	s_wait_alu 0xf1ff
	v_cndmask_b32_e64 v12, 0, 1, s7
	v_cndmask_b32_e64 v26, 0, 1, s9
	;; [unrolled: 1-line block ×3, first 2 shown]
	v_or_b32_e32 v5, v5, v6
	v_or_b32_e32 v6, v7, v8
	v_cndmask_b32_e64 v56, 0, 1, s40
	v_cndmask_b32_e64 v9, 0, 1, s4
	;; [unrolled: 1-line block ×3, first 2 shown]
	v_and_b32_e32 v5, 0xffff, v5
	v_lshlrev_b32_e32 v6, 16, v6
	v_cndmask_b32_e64 v25, 0, 1, s8
	v_cndmask_b32_e64 v27, 0, 1, s10
	;; [unrolled: 1-line block ×8, first 2 shown]
	v_or_b32_e32 v47, v5, v6
	v_lshlrev_b16 v5, 8, v10
	v_lshlrev_b16 v6, 8, v12
	;; [unrolled: 1-line block ×5, first 2 shown]
	v_cndmask_b32_e64 v30, 0, 1, s50
	v_cndmask_b32_e64 v49, 0, 1, s47
	;; [unrolled: 1-line block ×5, first 2 shown]
	v_or_b32_e32 v5, v9, v5
	v_or_b32_e32 v6, v11, v6
	;; [unrolled: 1-line block ×5, first 2 shown]
	v_lshlrev_b16 v8, 8, v8
	v_lshlrev_b16 v12, 8, v54
	;; [unrolled: 1-line block ×5, first 2 shown]
	v_or_b32_e32 v8, v55, v8
	v_or_b32_e32 v7, v7, v12
	;; [unrolled: 1-line block ×5, first 2 shown]
	v_and_b32_e32 v5, 0xffff, v5
	v_lshlrev_b32_e32 v6, 16, v6
	v_and_b32_e32 v9, 0xffff, v9
	v_lshlrev_b32_e32 v10, 16, v10
	;; [unrolled: 2-line block ×5, first 2 shown]
	v_cndmask_b32_e64 v50, 0, 1, s51
	v_cndmask_b32_e64 v53, 0, 1, s53
	v_or_b32_e32 v49, v5, v6
	v_or_b32_e32 v52, v9, v10
	;; [unrolled: 1-line block ×5, first 2 shown]
	s_and_b32 vcc_lo, exec_lo, s48
	s_wait_alu 0xfffe
	s_cbranch_vccnz .LBB358_37
	s_branch .LBB358_114
.LBB358_36:
                                        ; implicit-def: $vgpr53
                                        ; implicit-def: $vgpr50
                                        ; implicit-def: $vgpr51
                                        ; implicit-def: $vgpr48
                                        ; implicit-def: $vgpr54
                                        ; implicit-def: $vgpr52
                                        ; implicit-def: $vgpr49
                                        ; implicit-def: $vgpr47
	s_cbranch_execz .LBB358_114
.LBB358_37:
	v_dual_mov_b32 v6, 0 :: v_dual_mov_b32 v5, 0
	s_mov_b32 s1, exec_lo
	v_cmpx_gt_u32_e64 s27, v46
	s_cbranch_execz .LBB358_41
; %bb.38:
	v_add_nc_u32_e32 v5, s17, v23
	v_add_nc_u32_e32 v6, s19, v23
	s_mov_b32 s4, 0
	s_mov_b32 s3, exec_lo
	s_delay_alu instid0(VALU_DEP_2) | instskip(NEXT) | instid1(VALU_DEP_2)
	v_mul_lo_u32 v5, v5, s16
	v_mul_lo_u32 v6, v6, s18
	s_delay_alu instid0(VALU_DEP_1) | instskip(NEXT) | instid1(VALU_DEP_1)
	v_sub_nc_u32_e32 v5, v5, v6
	v_cmp_lt_u32_e32 vcc_lo, s20, v5
	v_cmpx_ge_u32_e64 s20, v5
	s_cbranch_execz .LBB358_40
; %bb.39:
	v_add_nc_u32_e32 v5, s22, v23
	v_add_nc_u32_e32 v6, s38, v23
	s_delay_alu instid0(VALU_DEP_2) | instskip(NEXT) | instid1(VALU_DEP_2)
	v_mul_lo_u32 v5, v5, s21
	v_mul_lo_u32 v6, v6, s23
	s_delay_alu instid0(VALU_DEP_1) | instskip(NEXT) | instid1(VALU_DEP_1)
	v_sub_nc_u32_e32 v5, v5, v6
	v_cmp_lt_u32_e64 s0, s39, v5
	s_and_b32 s4, s0, exec_lo
.LBB358_40:
	s_wait_alu 0xfffe
	s_or_b32 exec_lo, exec_lo, s3
	v_cndmask_b32_e64 v6, 0, 1, s4
	s_wait_alu 0xfffd
	v_cndmask_b32_e64 v5, 0, 1, vcc_lo
.LBB358_41:
	s_wait_alu 0xfffe
	s_or_b32 exec_lo, exec_lo, s1
	v_lshlrev_b16 v6, 8, v6
	v_add_nc_u32_e32 v7, 1, v46
	v_and_b32_e32 v10, 0xff, v5
	v_lshlrev_b16 v5, 8, 0
                                        ; implicit-def: $vgpr9
                                        ; implicit-def: $vgpr12
                                        ; implicit-def: $vgpr8
	s_delay_alu instid0(VALU_DEP_4) | instskip(NEXT) | instid1(VALU_DEP_4)
	v_and_b32_e32 v6, 0xffff, v6
	v_cmp_le_u32_e32 vcc_lo, s27, v7
                                        ; implicit-def: $vgpr7
	s_delay_alu instid0(VALU_DEP_2)
	v_lshrrev_b32_e32 v25, 8, v6
	v_and_b32_e32 v11, 0xff, v6
                                        ; implicit-def: $vgpr6
	s_and_saveexec_b32 s0, vcc_lo
	s_wait_alu 0xfffe
	s_xor_b32 s0, exec_lo, s0
	s_cbranch_execz .LBB358_43
; %bb.42:
	v_lshlrev_b16 v6, 8, v25
	v_and_b32_e32 v8, 0xffff, v5
                                        ; implicit-def: $vgpr25
	v_mov_b32_e32 v9, 0
	s_delay_alu instid0(VALU_DEP_3) | instskip(SKIP_1) | instid1(VALU_DEP_2)
	v_or_b32_e32 v7, v11, v6
	v_mov_b32_e32 v6, 0
                                        ; implicit-def: $vgpr11
	v_and_b32_e32 v12, 0xffff, v7
	v_and_b32_e32 v7, 0xffff, v5
                                        ; implicit-def: $vgpr5
.LBB358_43:
	s_wait_alu 0xfffe
	s_and_not1_saveexec_b32 s1, s0
	s_cbranch_execz .LBB358_47
; %bb.44:
	v_add_nc_u32_e32 v6, s17, v24
	v_add_nc_u32_e32 v7, s19, v24
	s_mov_b32 s3, 0
	s_mov_b32 s4, exec_lo
	s_delay_alu instid0(VALU_DEP_2) | instskip(NEXT) | instid1(VALU_DEP_2)
	v_mul_lo_u32 v6, v6, s16
	v_mul_lo_u32 v7, v7, s18
	s_delay_alu instid0(VALU_DEP_1) | instskip(NEXT) | instid1(VALU_DEP_1)
	v_sub_nc_u32_e32 v6, v6, v7
	v_cmp_lt_u32_e32 vcc_lo, s20, v6
	v_cmpx_ge_u32_e64 s20, v6
	s_cbranch_execz .LBB358_46
; %bb.45:
	v_add_nc_u32_e32 v6, s22, v24
	v_add_nc_u32_e32 v7, s38, v24
	s_delay_alu instid0(VALU_DEP_2) | instskip(NEXT) | instid1(VALU_DEP_2)
	v_mul_lo_u32 v6, v6, s21
	v_mul_lo_u32 v7, v7, s23
	s_delay_alu instid0(VALU_DEP_1) | instskip(NEXT) | instid1(VALU_DEP_1)
	v_sub_nc_u32_e32 v6, v6, v7
	v_cmp_lt_u32_e64 s0, s39, v6
	s_and_b32 s3, s0, exec_lo
.LBB358_46:
	s_wait_alu 0xfffe
	s_or_b32 exec_lo, exec_lo, s4
	s_wait_alu 0xfffd
	v_cndmask_b32_e64 v6, 0, 1, vcc_lo
	v_lshlrev_b16 v7, 8, v25
	v_dual_mov_b32 v9, 0 :: v_dual_and_b32 v8, 0xffff, v5
	s_delay_alu instid0(VALU_DEP_3) | instskip(NEXT) | instid1(VALU_DEP_3)
	v_lshlrev_b16 v6, 8, v6
	v_or_b32_e32 v7, v11, v7
	v_cndmask_b32_e64 v11, 0, 1, s3
	s_delay_alu instid0(VALU_DEP_3) | instskip(NEXT) | instid1(VALU_DEP_3)
	v_or_b32_e32 v10, v10, v6
	v_dual_mov_b32 v6, 0 :: v_dual_and_b32 v7, 0xffff, v7
	s_delay_alu instid0(VALU_DEP_2) | instskip(NEXT) | instid1(VALU_DEP_2)
	v_and_b32_e32 v10, 0xffff, v10
	v_lshl_or_b32 v12, v11, 16, v7
	v_and_b32_e32 v7, 0xffff, v5
.LBB358_47:
	s_wait_alu 0xfffe
	s_or_b32 exec_lo, exec_lo, s1
	v_add_nc_u32_e32 v5, 2, v46
	v_and_b32_e32 v25, 0xff, v10
	v_lshrrev_b32_e32 v26, 8, v10
                                        ; implicit-def: $vgpr11
	s_delay_alu instid0(VALU_DEP_3)
	v_cmp_le_u32_e32 vcc_lo, s27, v5
                                        ; implicit-def: $vgpr5
	s_and_saveexec_b32 s0, vcc_lo
	s_wait_alu 0xfffe
	s_xor_b32 s0, exec_lo, s0
	s_cbranch_execz .LBB358_49
; %bb.48:
	v_lshlrev_b16 v5, 8, v26
	v_perm_b32 v8, v8, v8, 0x3060504
                                        ; implicit-def: $vgpr26
	s_delay_alu instid0(VALU_DEP_2) | instskip(SKIP_1) | instid1(VALU_DEP_2)
	v_or_b32_e32 v5, v25, v5
	v_and_b32_e32 v25, 0xff0000, v12
	v_and_b32_e32 v5, 0xffff, v5
	s_delay_alu instid0(VALU_DEP_1) | instskip(NEXT) | instid1(VALU_DEP_3)
	v_and_or_b32 v11, 0xff000000, v10, v5
	v_perm_b32 v5, v12, v25, 0x3020504
                                        ; implicit-def: $vgpr25
                                        ; implicit-def: $vgpr10
                                        ; implicit-def: $vgpr12
.LBB358_49:
	s_wait_alu 0xfffe
	s_and_not1_saveexec_b32 s1, s0
	s_cbranch_execz .LBB358_53
; %bb.50:
	v_add_nc_u32_e32 v5, s17, v21
	v_add_nc_u32_e32 v11, s19, v21
	s_mov_b32 s3, 0
	s_mov_b32 s4, exec_lo
	s_delay_alu instid0(VALU_DEP_2) | instskip(NEXT) | instid1(VALU_DEP_2)
	v_mul_lo_u32 v5, v5, s16
	v_mul_lo_u32 v11, v11, s18
	s_delay_alu instid0(VALU_DEP_1) | instskip(NEXT) | instid1(VALU_DEP_1)
	v_sub_nc_u32_e32 v5, v5, v11
	v_cmp_lt_u32_e32 vcc_lo, s20, v5
	v_cmpx_ge_u32_e64 s20, v5
	s_cbranch_execz .LBB358_52
; %bb.51:
	v_add_nc_u32_e32 v5, s22, v21
	v_add_nc_u32_e32 v11, s38, v21
	s_delay_alu instid0(VALU_DEP_2) | instskip(NEXT) | instid1(VALU_DEP_2)
	v_mul_lo_u32 v5, v5, s21
	v_mul_lo_u32 v11, v11, s23
	s_delay_alu instid0(VALU_DEP_1) | instskip(NEXT) | instid1(VALU_DEP_1)
	v_sub_nc_u32_e32 v5, v5, v11
	v_cmp_lt_u32_e64 s0, s39, v5
	s_and_b32 s3, s0, exec_lo
.LBB358_52:
	s_wait_alu 0xfffe
	s_or_b32 exec_lo, exec_lo, s4
	v_lshrrev_b32_e32 v10, 24, v10
	v_cndmask_b32_e64 v11, 0, 1, s3
	v_lshrrev_b32_e32 v27, 8, v12
	v_lshrrev_b32_e32 v28, 16, v12
	s_wait_alu 0xfffd
	v_cndmask_b32_e64 v5, 0, 1, vcc_lo
	v_lshlrev_b16 v26, 8, v26
	v_lshlrev_b16 v10, 8, v10
	v_and_b32_e32 v12, 0xff, v12
	v_lshlrev_b16 v27, 8, v27
	v_lshlrev_b16 v11, 8, v11
	v_and_b32_e32 v28, 0xff, v28
	v_or_b32_e32 v25, v25, v26
	v_or_b32_e32 v5, v5, v10
	;; [unrolled: 1-line block ×3, first 2 shown]
	s_delay_alu instid0(VALU_DEP_4) | instskip(NEXT) | instid1(VALU_DEP_4)
	v_or_b32_e32 v11, v28, v11
	v_and_b32_e32 v12, 0xffff, v25
	s_delay_alu instid0(VALU_DEP_4) | instskip(NEXT) | instid1(VALU_DEP_4)
	v_lshlrev_b32_e32 v5, 16, v5
	v_and_b32_e32 v10, 0xffff, v10
	s_delay_alu instid0(VALU_DEP_4) | instskip(NEXT) | instid1(VALU_DEP_3)
	v_lshlrev_b32_e32 v25, 16, v11
	v_or_b32_e32 v11, v12, v5
	s_delay_alu instid0(VALU_DEP_2)
	v_or_b32_e32 v5, v10, v25
.LBB358_53:
	s_wait_alu 0xfffe
	s_or_b32 exec_lo, exec_lo, s1
	v_add_nc_u32_e32 v10, 3, v46
	v_lshrrev_b32_e32 v12, 24, v9
	v_lshrrev_b32_e32 v25, 16, v9
	;; [unrolled: 1-line block ×3, first 2 shown]
                                        ; implicit-def: $vgpr47
	s_delay_alu instid0(VALU_DEP_4)
	v_cmp_le_u32_e32 vcc_lo, s27, v10
                                        ; implicit-def: $vgpr10
	s_and_saveexec_b32 s0, vcc_lo
	s_wait_alu 0xfffe
	s_xor_b32 s0, exec_lo, s0
	s_cbranch_execz .LBB358_55
; %bb.54:
	v_lshlrev_b16 v10, 8, v12
	v_and_b32_e32 v12, 0xff, v25
	v_lshlrev_b16 v9, 8, v9
	v_perm_b32 v8, v8, v8, 0x3060504
	v_perm_b32 v7, v7, v7, 0x3060504
                                        ; implicit-def: $vgpr25
	s_delay_alu instid0(VALU_DEP_4) | instskip(SKIP_2) | instid1(VALU_DEP_3)
	v_or_b32_e32 v10, v12, v10
	v_and_b32_e32 v12, 0xff0000, v11
	v_and_b32_e32 v9, 0xffff, v9
	v_lshlrev_b32_e32 v10, 16, v10
	s_delay_alu instid0(VALU_DEP_3) | instskip(NEXT) | instid1(VALU_DEP_2)
	v_perm_b32 v47, v11, v12, 0x3020504
                                        ; implicit-def: $vgpr11
                                        ; implicit-def: $vgpr12
	v_or_b32_e32 v10, v9, v10
                                        ; implicit-def: $vgpr9
.LBB358_55:
	s_wait_alu 0xfffe
	s_and_not1_saveexec_b32 s1, s0
	s_cbranch_execz .LBB358_59
; %bb.56:
	v_add_nc_u32_e32 v10, s17, v22
	v_add_nc_u32_e32 v26, s19, v22
	s_mov_b32 s3, 0
	s_mov_b32 s4, exec_lo
	s_delay_alu instid0(VALU_DEP_2) | instskip(NEXT) | instid1(VALU_DEP_2)
	v_mul_lo_u32 v10, v10, s16
	v_mul_lo_u32 v26, v26, s18
	s_delay_alu instid0(VALU_DEP_1) | instskip(NEXT) | instid1(VALU_DEP_1)
	v_sub_nc_u32_e32 v10, v10, v26
	v_cmp_lt_u32_e32 vcc_lo, s20, v10
	v_cmpx_ge_u32_e64 s20, v10
	s_cbranch_execz .LBB358_58
; %bb.57:
	v_add_nc_u32_e32 v10, s22, v22
	v_add_nc_u32_e32 v26, s38, v22
	s_delay_alu instid0(VALU_DEP_2) | instskip(NEXT) | instid1(VALU_DEP_2)
	v_mul_lo_u32 v10, v10, s21
	v_mul_lo_u32 v26, v26, s23
	s_delay_alu instid0(VALU_DEP_1) | instskip(NEXT) | instid1(VALU_DEP_1)
	v_sub_nc_u32_e32 v10, v10, v26
	v_cmp_lt_u32_e64 s0, s39, v10
	s_and_b32 s3, s0, exec_lo
.LBB358_58:
	s_wait_alu 0xfffe
	s_or_b32 exec_lo, exec_lo, s4
	v_lshrrev_b32_e32 v10, 8, v11
	s_wait_alu 0xfffd
	v_cndmask_b32_e64 v26, 0, 1, vcc_lo
	v_lshrrev_b32_e32 v27, 16, v11
	v_cndmask_b32_e64 v28, 0, 1, s3
	v_and_b32_e32 v11, 0xff, v11
	v_lshlrev_b16 v10, 8, v10
	v_lshlrev_b16 v26, 8, v26
	v_and_b32_e32 v27, 0xff, v27
	v_lshlrev_b16 v12, 8, v12
	v_and_b32_e32 v25, 0xff, v25
	v_lshlrev_b16 v9, 8, v9
	v_or_b32_e32 v10, v11, v10
	v_or_b32_e32 v11, v27, v26
	s_delay_alu instid0(VALU_DEP_4) | instskip(NEXT) | instid1(VALU_DEP_4)
	v_or_b32_e32 v12, v25, v12
	v_or_b32_e32 v9, v28, v9
	s_delay_alu instid0(VALU_DEP_4) | instskip(NEXT) | instid1(VALU_DEP_4)
	v_and_b32_e32 v10, 0xffff, v10
	v_lshlrev_b32_e32 v11, 16, v11
	s_delay_alu instid0(VALU_DEP_4) | instskip(NEXT) | instid1(VALU_DEP_4)
	v_lshlrev_b32_e32 v12, 16, v12
	v_and_b32_e32 v9, 0xffff, v9
	s_delay_alu instid0(VALU_DEP_3) | instskip(NEXT) | instid1(VALU_DEP_2)
	v_or_b32_e32 v47, v10, v11
	v_or_b32_e32 v10, v9, v12
.LBB358_59:
	s_wait_alu 0xfffe
	s_or_b32 exec_lo, exec_lo, s1
	v_add_nc_u32_e32 v9, 4, v46
	v_lshrrev_b32_e32 v25, 8, v8
	v_lshrrev_b32_e32 v26, 16, v8
	;; [unrolled: 1-line block ×4, first 2 shown]
	v_cmp_le_u32_e32 vcc_lo, s27, v9
	v_lshrrev_b32_e32 v12, 16, v10
                                        ; implicit-def: $vgpr8
                                        ; implicit-def: $vgpr9
	s_and_saveexec_b32 s0, vcc_lo
	s_wait_alu 0xfffe
	s_xor_b32 s0, exec_lo, s0
	s_cbranch_execz .LBB358_61
; %bb.60:
	v_lshlrev_b16 v8, 8, v27
	v_and_b32_e32 v9, 0xff, v26
	v_lshlrev_b16 v25, 8, v25
	v_lshlrev_b16 v11, 8, v11
	v_and_b32_e32 v12, 0xff, v12
	v_perm_b32 v7, v7, v7, 0x3060504
	v_or_b32_e32 v8, v9, v8
	v_and_b32_e32 v9, 0xffff, v25
                                        ; implicit-def: $vgpr25
                                        ; implicit-def: $vgpr26
                                        ; implicit-def: $vgpr27
	s_delay_alu instid0(VALU_DEP_4) | instskip(NEXT) | instid1(VALU_DEP_3)
	v_or_b32_e32 v11, v12, v11
	v_lshlrev_b32_e32 v12, 16, v8
	s_delay_alu instid0(VALU_DEP_2) | instskip(NEXT) | instid1(VALU_DEP_2)
	v_perm_b32 v8, v11, v10, 0x5040c00
                                        ; implicit-def: $vgpr10
                                        ; implicit-def: $vgpr11
	v_or_b32_e32 v9, v9, v12
                                        ; implicit-def: $vgpr12
.LBB358_61:
	s_wait_alu 0xfffe
	s_and_not1_saveexec_b32 s1, s0
	s_cbranch_execz .LBB358_65
; %bb.62:
	v_add_nc_u32_e32 v8, s17, v19
	v_add_nc_u32_e32 v9, s19, v19
	s_mov_b32 s3, 0
	s_mov_b32 s4, exec_lo
	s_delay_alu instid0(VALU_DEP_2) | instskip(NEXT) | instid1(VALU_DEP_2)
	v_mul_lo_u32 v8, v8, s16
	v_mul_lo_u32 v9, v9, s18
	s_delay_alu instid0(VALU_DEP_1) | instskip(NEXT) | instid1(VALU_DEP_1)
	v_sub_nc_u32_e32 v8, v8, v9
	v_cmp_lt_u32_e32 vcc_lo, s20, v8
	v_cmpx_ge_u32_e64 s20, v8
	s_cbranch_execz .LBB358_64
; %bb.63:
	v_add_nc_u32_e32 v8, s22, v19
	v_add_nc_u32_e32 v9, s38, v19
	s_delay_alu instid0(VALU_DEP_2) | instskip(NEXT) | instid1(VALU_DEP_2)
	v_mul_lo_u32 v8, v8, s21
	v_mul_lo_u32 v9, v9, s23
	s_delay_alu instid0(VALU_DEP_1) | instskip(NEXT) | instid1(VALU_DEP_1)
	v_sub_nc_u32_e32 v8, v8, v9
	v_cmp_lt_u32_e64 s0, s39, v8
	s_and_b32 s3, s0, exec_lo
.LBB358_64:
	s_wait_alu 0xfffe
	s_or_b32 exec_lo, exec_lo, s4
	v_cndmask_b32_e64 v8, 0, 1, s3
	s_wait_alu 0xfffd
	v_cndmask_b32_e64 v9, 0, 1, vcc_lo
	v_lshlrev_b16 v27, 8, v27
	v_and_b32_e32 v26, 0xff, v26
	v_lshlrev_b16 v25, 8, v25
	v_lshlrev_b16 v8, 8, v8
	v_and_b32_e32 v10, 0xff, v10
	v_lshlrev_b16 v11, 8, v11
	v_and_b32_e32 v12, 0xff, v12
	v_or_b32_e32 v26, v26, v27
	v_or_b32_e32 v9, v9, v25
	;; [unrolled: 1-line block ×3, first 2 shown]
	s_delay_alu instid0(VALU_DEP_4) | instskip(NEXT) | instid1(VALU_DEP_4)
	v_or_b32_e32 v10, v12, v11
	v_lshlrev_b32_e32 v11, 16, v26
	s_delay_alu instid0(VALU_DEP_4) | instskip(NEXT) | instid1(VALU_DEP_4)
	v_and_b32_e32 v9, 0xffff, v9
	v_and_b32_e32 v8, 0xffff, v8
	s_delay_alu instid0(VALU_DEP_4) | instskip(NEXT) | instid1(VALU_DEP_3)
	v_lshlrev_b32_e32 v10, 16, v10
	v_or_b32_e32 v9, v9, v11
	s_delay_alu instid0(VALU_DEP_2)
	v_or_b32_e32 v8, v8, v10
.LBB358_65:
	s_wait_alu 0xfffe
	s_or_b32 exec_lo, exec_lo, s1
	v_add_nc_u32_e32 v10, 5, v46
	v_lshrrev_b32_e32 v25, 16, v9
	v_lshrrev_b32_e32 v27, 24, v9
	v_and_b32_e32 v12, 0xff, v8
	v_lshrrev_b32_e32 v26, 8, v8
	v_cmp_le_u32_e32 vcc_lo, s27, v10
                                        ; implicit-def: $vgpr10
                                        ; implicit-def: $vgpr11
	s_and_saveexec_b32 s0, vcc_lo
	s_wait_alu 0xfffe
	s_xor_b32 s0, exec_lo, s0
	s_cbranch_execz .LBB358_67
; %bb.66:
	v_lshlrev_b16 v10, 8, v26
	v_lshlrev_b16 v11, 8, v27
	v_and_b32_e32 v25, 0xff, v25
	v_perm_b32 v7, v7, v7, 0x3060504
                                        ; implicit-def: $vgpr27
                                        ; implicit-def: $vgpr26
	s_delay_alu instid0(VALU_DEP_4) | instskip(NEXT) | instid1(VALU_DEP_3)
	v_or_b32_e32 v10, v12, v10
                                        ; implicit-def: $vgpr12
	v_or_b32_e32 v11, v25, v11
                                        ; implicit-def: $vgpr25
	s_delay_alu instid0(VALU_DEP_2) | instskip(NEXT) | instid1(VALU_DEP_2)
	v_and_b32_e32 v10, 0xffff, v10
	v_perm_b32 v11, v11, v9, 0x5040c00
                                        ; implicit-def: $vgpr9
	s_delay_alu instid0(VALU_DEP_2)
	v_and_or_b32 v10, 0xff000000, v8, v10
                                        ; implicit-def: $vgpr8
.LBB358_67:
	s_wait_alu 0xfffe
	s_and_not1_saveexec_b32 s1, s0
	s_cbranch_execz .LBB358_71
; %bb.68:
	v_add_nc_u32_e32 v10, s17, v20
	v_add_nc_u32_e32 v11, s19, v20
	s_mov_b32 s3, 0
	s_mov_b32 s4, exec_lo
	s_delay_alu instid0(VALU_DEP_2) | instskip(NEXT) | instid1(VALU_DEP_2)
	v_mul_lo_u32 v10, v10, s16
	v_mul_lo_u32 v11, v11, s18
	s_delay_alu instid0(VALU_DEP_1) | instskip(NEXT) | instid1(VALU_DEP_1)
	v_sub_nc_u32_e32 v10, v10, v11
	v_cmp_lt_u32_e32 vcc_lo, s20, v10
	v_cmpx_ge_u32_e64 s20, v10
	s_cbranch_execz .LBB358_70
; %bb.69:
	v_add_nc_u32_e32 v10, s22, v20
	v_add_nc_u32_e32 v11, s38, v20
	s_delay_alu instid0(VALU_DEP_2) | instskip(NEXT) | instid1(VALU_DEP_2)
	v_mul_lo_u32 v10, v10, s21
	v_mul_lo_u32 v11, v11, s23
	s_delay_alu instid0(VALU_DEP_1) | instskip(NEXT) | instid1(VALU_DEP_1)
	v_sub_nc_u32_e32 v10, v10, v11
	v_cmp_lt_u32_e64 s0, s39, v10
	s_and_b32 s3, s0, exec_lo
.LBB358_70:
	s_wait_alu 0xfffe
	s_or_b32 exec_lo, exec_lo, s4
	s_wait_alu 0xfffd
	v_cndmask_b32_e64 v10, 0, 1, vcc_lo
	v_lshrrev_b32_e32 v8, 24, v8
	v_cndmask_b32_e64 v11, 0, 1, s3
	v_lshlrev_b16 v27, 8, v27
	v_and_b32_e32 v25, 0xff, v25
	v_lshlrev_b16 v10, 8, v10
	v_lshlrev_b16 v26, 8, v26
	v_and_b32_e32 v9, 0xff, v9
	v_lshlrev_b16 v8, 8, v8
	v_or_b32_e32 v25, v25, v27
	s_delay_alu instid0(VALU_DEP_4) | instskip(NEXT) | instid1(VALU_DEP_4)
	v_or_b32_e32 v12, v12, v26
	v_or_b32_e32 v9, v9, v10
	s_delay_alu instid0(VALU_DEP_4) | instskip(NEXT) | instid1(VALU_DEP_4)
	v_or_b32_e32 v8, v11, v8
	v_lshlrev_b32_e32 v10, 16, v25
	s_delay_alu instid0(VALU_DEP_4) | instskip(NEXT) | instid1(VALU_DEP_4)
	v_and_b32_e32 v12, 0xffff, v12
	v_and_b32_e32 v9, 0xffff, v9
	s_delay_alu instid0(VALU_DEP_4) | instskip(NEXT) | instid1(VALU_DEP_2)
	v_lshlrev_b32_e32 v8, 16, v8
	v_or_b32_e32 v11, v9, v10
	s_delay_alu instid0(VALU_DEP_2)
	v_or_b32_e32 v10, v12, v8
.LBB358_71:
	s_wait_alu 0xfffe
	s_or_b32 exec_lo, exec_lo, s1
	v_add_nc_u32_e32 v8, 6, v46
	v_lshrrev_b32_e32 v12, 8, v11
                                        ; implicit-def: $vgpr48
                                        ; implicit-def: $vgpr9
	s_delay_alu instid0(VALU_DEP_2)
	v_cmp_le_u32_e32 vcc_lo, s27, v8
	v_and_b32_e32 v8, 0xff, v11
	s_and_saveexec_b32 s0, vcc_lo
	s_wait_alu 0xfffe
	s_xor_b32 s0, exec_lo, s0
	s_cbranch_execz .LBB358_73
; %bb.72:
	v_lshlrev_b16 v9, 8, v12
	v_perm_b32 v7, v7, v7, 0x3060504
                                        ; implicit-def: $vgpr12
	s_delay_alu instid0(VALU_DEP_2) | instskip(SKIP_1) | instid1(VALU_DEP_2)
	v_or_b32_e32 v8, v8, v9
	v_and_b32_e32 v9, 0xff0000, v10
	v_and_b32_e32 v8, 0xffff, v8
	s_delay_alu instid0(VALU_DEP_2) | instskip(NEXT) | instid1(VALU_DEP_2)
	v_perm_b32 v48, v10, v9, 0x3020504
                                        ; implicit-def: $vgpr10
	v_and_or_b32 v9, 0xff000000, v11, v8
                                        ; implicit-def: $vgpr8
                                        ; implicit-def: $vgpr11
.LBB358_73:
	s_wait_alu 0xfffe
	s_and_not1_saveexec_b32 s1, s0
	s_cbranch_execz .LBB358_77
; %bb.74:
	v_add_nc_u32_e32 v9, s17, v17
	v_add_nc_u32_e32 v25, s19, v17
	s_mov_b32 s3, 0
	s_mov_b32 s4, exec_lo
	s_delay_alu instid0(VALU_DEP_2) | instskip(NEXT) | instid1(VALU_DEP_2)
	v_mul_lo_u32 v9, v9, s16
	v_mul_lo_u32 v25, v25, s18
	s_delay_alu instid0(VALU_DEP_1) | instskip(NEXT) | instid1(VALU_DEP_1)
	v_sub_nc_u32_e32 v9, v9, v25
	v_cmp_lt_u32_e32 vcc_lo, s20, v9
	v_cmpx_ge_u32_e64 s20, v9
	s_cbranch_execz .LBB358_76
; %bb.75:
	v_add_nc_u32_e32 v9, s22, v17
	v_add_nc_u32_e32 v25, s38, v17
	s_delay_alu instid0(VALU_DEP_2) | instskip(NEXT) | instid1(VALU_DEP_2)
	v_mul_lo_u32 v9, v9, s21
	v_mul_lo_u32 v25, v25, s23
	s_delay_alu instid0(VALU_DEP_1) | instskip(NEXT) | instid1(VALU_DEP_1)
	v_sub_nc_u32_e32 v9, v9, v25
	v_cmp_lt_u32_e64 s0, s39, v9
	s_and_b32 s3, s0, exec_lo
.LBB358_76:
	s_wait_alu 0xfffe
	s_or_b32 exec_lo, exec_lo, s4
	v_lshrrev_b32_e32 v11, 24, v11
	v_cndmask_b32_e64 v25, 0, 1, s3
	v_lshrrev_b32_e32 v26, 8, v10
	v_lshrrev_b32_e32 v27, 16, v10
	s_wait_alu 0xfffd
	v_cndmask_b32_e64 v9, 0, 1, vcc_lo
	v_lshlrev_b16 v12, 8, v12
	v_lshlrev_b16 v11, 8, v11
	v_and_b32_e32 v10, 0xff, v10
	v_lshlrev_b16 v26, 8, v26
	v_lshlrev_b16 v25, 8, v25
	v_and_b32_e32 v27, 0xff, v27
	v_or_b32_e32 v8, v8, v12
	v_or_b32_e32 v9, v9, v11
	;; [unrolled: 1-line block ×3, first 2 shown]
	s_delay_alu instid0(VALU_DEP_4) | instskip(NEXT) | instid1(VALU_DEP_4)
	v_or_b32_e32 v11, v27, v25
	v_and_b32_e32 v8, 0xffff, v8
	s_delay_alu instid0(VALU_DEP_4) | instskip(NEXT) | instid1(VALU_DEP_4)
	v_lshlrev_b32_e32 v9, 16, v9
	v_and_b32_e32 v10, 0xffff, v10
	s_delay_alu instid0(VALU_DEP_4) | instskip(NEXT) | instid1(VALU_DEP_3)
	v_lshlrev_b32_e32 v11, 16, v11
	v_or_b32_e32 v9, v8, v9
	s_delay_alu instid0(VALU_DEP_2)
	v_or_b32_e32 v48, v10, v11
.LBB358_77:
	s_wait_alu 0xfffe
	s_or_b32 exec_lo, exec_lo, s1
	v_add_nc_u32_e32 v8, 7, v46
	v_lshrrev_b32_e32 v10, 8, v7
	v_lshrrev_b32_e32 v11, 16, v7
	;; [unrolled: 1-line block ×3, first 2 shown]
                                        ; implicit-def: $vgpr49
	s_delay_alu instid0(VALU_DEP_4)
	v_cmp_le_u32_e32 vcc_lo, s27, v8
                                        ; implicit-def: $vgpr8
	s_and_saveexec_b32 s0, vcc_lo
	s_wait_alu 0xfffe
	s_xor_b32 s0, exec_lo, s0
	s_cbranch_execz .LBB358_79
; %bb.78:
	v_lshlrev_b16 v7, 8, v7
	v_and_b32_e32 v8, 0xff, v11
                                        ; implicit-def: $vgpr11
	s_delay_alu instid0(VALU_DEP_1) | instskip(SKIP_2) | instid1(VALU_DEP_3)
	v_or_b32_e32 v7, v8, v7
	v_lshlrev_b16 v8, 8, v10
	v_and_b32_e32 v10, 0xff0000, v9
	v_lshlrev_b32_e32 v7, 16, v7
	s_delay_alu instid0(VALU_DEP_3) | instskip(NEXT) | instid1(VALU_DEP_3)
	v_and_b32_e32 v8, 0xffff, v8
	v_perm_b32 v49, v9, v10, 0x3020504
                                        ; implicit-def: $vgpr9
                                        ; implicit-def: $vgpr10
	s_delay_alu instid0(VALU_DEP_2)
	v_or_b32_e32 v8, v8, v7
                                        ; implicit-def: $vgpr7
.LBB358_79:
	s_wait_alu 0xfffe
	s_and_not1_saveexec_b32 s1, s0
	s_cbranch_execz .LBB358_83
; %bb.80:
	v_add_nc_u32_e32 v8, s17, v18
	v_add_nc_u32_e32 v12, s19, v18
	s_mov_b32 s3, 0
	s_mov_b32 s4, exec_lo
	s_delay_alu instid0(VALU_DEP_2) | instskip(NEXT) | instid1(VALU_DEP_2)
	v_mul_lo_u32 v8, v8, s16
	v_mul_lo_u32 v12, v12, s18
	s_delay_alu instid0(VALU_DEP_1) | instskip(NEXT) | instid1(VALU_DEP_1)
	v_sub_nc_u32_e32 v8, v8, v12
	v_cmp_lt_u32_e32 vcc_lo, s20, v8
	v_cmpx_ge_u32_e64 s20, v8
	s_cbranch_execz .LBB358_82
; %bb.81:
	v_add_nc_u32_e32 v8, s22, v18
	v_add_nc_u32_e32 v12, s38, v18
	s_delay_alu instid0(VALU_DEP_2) | instskip(NEXT) | instid1(VALU_DEP_2)
	v_mul_lo_u32 v8, v8, s21
	v_mul_lo_u32 v12, v12, s23
	s_delay_alu instid0(VALU_DEP_1) | instskip(NEXT) | instid1(VALU_DEP_1)
	v_sub_nc_u32_e32 v8, v8, v12
	v_cmp_lt_u32_e64 s0, s39, v8
	s_and_b32 s3, s0, exec_lo
.LBB358_82:
	s_wait_alu 0xfffe
	s_or_b32 exec_lo, exec_lo, s4
	v_lshrrev_b32_e32 v8, 8, v9
	s_wait_alu 0xfffd
	v_cndmask_b32_e64 v12, 0, 1, vcc_lo
	v_lshrrev_b32_e32 v25, 16, v9
	v_cndmask_b32_e64 v26, 0, 1, s3
	v_and_b32_e32 v9, 0xff, v9
	v_lshlrev_b16 v8, 8, v8
	v_lshlrev_b16 v12, 8, v12
	v_and_b32_e32 v25, 0xff, v25
	v_lshlrev_b16 v7, 8, v7
	v_and_b32_e32 v11, 0xff, v11
	v_lshlrev_b16 v10, 8, v10
	v_or_b32_e32 v8, v9, v8
	v_or_b32_e32 v9, v25, v12
	s_delay_alu instid0(VALU_DEP_4) | instskip(NEXT) | instid1(VALU_DEP_4)
	v_or_b32_e32 v7, v11, v7
	v_or_b32_e32 v10, v26, v10
	s_delay_alu instid0(VALU_DEP_4) | instskip(NEXT) | instid1(VALU_DEP_4)
	v_and_b32_e32 v8, 0xffff, v8
	v_lshlrev_b32_e32 v9, 16, v9
	s_delay_alu instid0(VALU_DEP_4) | instskip(NEXT) | instid1(VALU_DEP_4)
	v_lshlrev_b32_e32 v7, 16, v7
	v_and_b32_e32 v10, 0xffff, v10
	s_delay_alu instid0(VALU_DEP_3) | instskip(NEXT) | instid1(VALU_DEP_2)
	v_or_b32_e32 v49, v8, v9
	v_or_b32_e32 v8, v10, v7
.LBB358_83:
	s_wait_alu 0xfffe
	s_or_b32 exec_lo, exec_lo, s1
	v_add_nc_u32_e32 v7, 8, v46
	s_delay_alu instid0(VALU_DEP_2)
	v_lshrrev_b32_e32 v9, 16, v8
	v_lshrrev_b32_e32 v10, 24, v8
	;; [unrolled: 1-line block ×4, first 2 shown]
	v_cmp_le_u32_e32 vcc_lo, s27, v7
	v_lshrrev_b32_e32 v11, 8, v6
                                        ; implicit-def: $vgpr6
                                        ; implicit-def: $vgpr7
	s_and_saveexec_b32 s0, vcc_lo
	s_wait_alu 0xfffe
	s_xor_b32 s0, exec_lo, s0
	s_cbranch_execz .LBB358_85
; %bb.84:
	v_lshlrev_b16 v6, 8, v12
	v_and_b32_e32 v7, 0xff, v25
	v_lshlrev_b16 v11, 8, v11
	v_lshlrev_b16 v10, 8, v10
	v_perm_b32 v5, v5, v5, 0x3060504
                                        ; implicit-def: $vgpr12
                                        ; implicit-def: $vgpr25
	s_delay_alu instid0(VALU_DEP_4) | instskip(SKIP_2) | instid1(VALU_DEP_3)
	v_or_b32_e32 v6, v7, v6
	v_and_b32_e32 v7, 0xff, v9
	v_and_b32_e32 v9, 0xffff, v11
                                        ; implicit-def: $vgpr11
	v_lshlrev_b32_e32 v6, 16, v6
	s_delay_alu instid0(VALU_DEP_3) | instskip(NEXT) | instid1(VALU_DEP_2)
	v_or_b32_e32 v10, v7, v10
	v_or_b32_e32 v7, v9, v6
	s_delay_alu instid0(VALU_DEP_2)
	v_perm_b32 v6, v10, v8, 0x5040c00
                                        ; implicit-def: $vgpr8
                                        ; implicit-def: $vgpr9
                                        ; implicit-def: $vgpr10
.LBB358_85:
	s_wait_alu 0xfffe
	s_and_not1_saveexec_b32 s1, s0
	s_cbranch_execz .LBB358_89
; %bb.86:
	v_add_nc_u32_e32 v6, s17, v15
	v_add_nc_u32_e32 v7, s19, v15
	s_mov_b32 s3, 0
	s_mov_b32 s4, exec_lo
	s_delay_alu instid0(VALU_DEP_2) | instskip(NEXT) | instid1(VALU_DEP_2)
	v_mul_lo_u32 v6, v6, s16
	v_mul_lo_u32 v7, v7, s18
	s_delay_alu instid0(VALU_DEP_1) | instskip(NEXT) | instid1(VALU_DEP_1)
	v_sub_nc_u32_e32 v6, v6, v7
	v_cmp_lt_u32_e32 vcc_lo, s20, v6
	v_cmpx_ge_u32_e64 s20, v6
	s_cbranch_execz .LBB358_88
; %bb.87:
	v_add_nc_u32_e32 v6, s22, v15
	v_add_nc_u32_e32 v7, s38, v15
	s_delay_alu instid0(VALU_DEP_2) | instskip(NEXT) | instid1(VALU_DEP_2)
	v_mul_lo_u32 v6, v6, s21
	v_mul_lo_u32 v7, v7, s23
	s_delay_alu instid0(VALU_DEP_1) | instskip(NEXT) | instid1(VALU_DEP_1)
	v_sub_nc_u32_e32 v6, v6, v7
	v_cmp_lt_u32_e64 s0, s39, v6
	s_and_b32 s3, s0, exec_lo
.LBB358_88:
	s_wait_alu 0xfffe
	s_or_b32 exec_lo, exec_lo, s4
	v_cndmask_b32_e64 v6, 0, 1, s3
	s_wait_alu 0xfffd
	v_cndmask_b32_e64 v7, 0, 1, vcc_lo
	v_lshlrev_b16 v12, 8, v12
	v_and_b32_e32 v25, 0xff, v25
	v_lshlrev_b16 v11, 8, v11
	v_lshlrev_b16 v6, 8, v6
	v_and_b32_e32 v8, 0xff, v8
	v_lshlrev_b16 v10, 8, v10
	v_and_b32_e32 v9, 0xff, v9
	v_or_b32_e32 v12, v25, v12
	v_or_b32_e32 v7, v7, v11
	;; [unrolled: 1-line block ×3, first 2 shown]
	s_delay_alu instid0(VALU_DEP_4) | instskip(NEXT) | instid1(VALU_DEP_4)
	v_or_b32_e32 v8, v9, v10
	v_lshlrev_b32_e32 v9, 16, v12
	s_delay_alu instid0(VALU_DEP_4) | instskip(NEXT) | instid1(VALU_DEP_4)
	v_and_b32_e32 v7, 0xffff, v7
	v_and_b32_e32 v6, 0xffff, v6
	s_delay_alu instid0(VALU_DEP_4) | instskip(NEXT) | instid1(VALU_DEP_3)
	v_lshlrev_b32_e32 v8, 16, v8
	v_or_b32_e32 v7, v7, v9
	s_delay_alu instid0(VALU_DEP_2)
	v_or_b32_e32 v6, v6, v8
.LBB358_89:
	s_wait_alu 0xfffe
	s_or_b32 exec_lo, exec_lo, s1
	v_add_nc_u32_e32 v8, 9, v46
	s_delay_alu instid0(VALU_DEP_2)
	v_lshrrev_b32_e32 v10, 8, v6
	v_lshrrev_b32_e32 v25, 24, v7
	;; [unrolled: 1-line block ×3, first 2 shown]
	v_and_b32_e32 v11, 0xff, v6
	v_cmp_le_u32_e32 vcc_lo, s27, v8
                                        ; implicit-def: $vgpr8
                                        ; implicit-def: $vgpr9
	s_and_saveexec_b32 s0, vcc_lo
	s_wait_alu 0xfffe
	s_xor_b32 s0, exec_lo, s0
	s_cbranch_execz .LBB358_91
; %bb.90:
	v_lshlrev_b16 v8, 8, v10
	v_lshlrev_b16 v9, 8, v25
	v_and_b32_e32 v10, 0xff, v12
	v_perm_b32 v5, v5, v5, 0x3060504
                                        ; implicit-def: $vgpr25
                                        ; implicit-def: $vgpr12
	s_delay_alu instid0(VALU_DEP_4) | instskip(NEXT) | instid1(VALU_DEP_3)
	v_or_b32_e32 v8, v11, v8
                                        ; implicit-def: $vgpr11
	v_or_b32_e32 v9, v10, v9
                                        ; implicit-def: $vgpr10
	s_delay_alu instid0(VALU_DEP_2) | instskip(NEXT) | instid1(VALU_DEP_2)
	v_and_b32_e32 v8, 0xffff, v8
	v_perm_b32 v9, v9, v7, 0x5040c00
                                        ; implicit-def: $vgpr7
	s_delay_alu instid0(VALU_DEP_2)
	v_and_or_b32 v8, 0xff000000, v6, v8
                                        ; implicit-def: $vgpr6
.LBB358_91:
	s_wait_alu 0xfffe
	s_and_not1_saveexec_b32 s1, s0
	s_cbranch_execz .LBB358_95
; %bb.92:
	v_add_nc_u32_e32 v8, s17, v16
	v_add_nc_u32_e32 v9, s19, v16
	s_mov_b32 s3, 0
	s_mov_b32 s4, exec_lo
	s_delay_alu instid0(VALU_DEP_2) | instskip(NEXT) | instid1(VALU_DEP_2)
	v_mul_lo_u32 v8, v8, s16
	v_mul_lo_u32 v9, v9, s18
	s_delay_alu instid0(VALU_DEP_1) | instskip(NEXT) | instid1(VALU_DEP_1)
	v_sub_nc_u32_e32 v8, v8, v9
	v_cmp_lt_u32_e32 vcc_lo, s20, v8
	v_cmpx_ge_u32_e64 s20, v8
	s_cbranch_execz .LBB358_94
; %bb.93:
	v_add_nc_u32_e32 v8, s22, v16
	v_add_nc_u32_e32 v9, s38, v16
	s_delay_alu instid0(VALU_DEP_2) | instskip(NEXT) | instid1(VALU_DEP_2)
	v_mul_lo_u32 v8, v8, s21
	v_mul_lo_u32 v9, v9, s23
	s_delay_alu instid0(VALU_DEP_1) | instskip(NEXT) | instid1(VALU_DEP_1)
	v_sub_nc_u32_e32 v8, v8, v9
	v_cmp_lt_u32_e64 s0, s39, v8
	s_and_b32 s3, s0, exec_lo
.LBB358_94:
	s_wait_alu 0xfffe
	s_or_b32 exec_lo, exec_lo, s4
	s_wait_alu 0xfffd
	v_cndmask_b32_e64 v8, 0, 1, vcc_lo
	v_lshrrev_b32_e32 v6, 24, v6
	v_cndmask_b32_e64 v9, 0, 1, s3
	v_lshlrev_b16 v25, 8, v25
	v_and_b32_e32 v12, 0xff, v12
	v_lshlrev_b16 v8, 8, v8
	v_lshlrev_b16 v10, 8, v10
	v_and_b32_e32 v7, 0xff, v7
	v_lshlrev_b16 v6, 8, v6
	v_or_b32_e32 v12, v12, v25
	s_delay_alu instid0(VALU_DEP_4) | instskip(NEXT) | instid1(VALU_DEP_4)
	v_or_b32_e32 v10, v11, v10
	v_or_b32_e32 v7, v7, v8
	s_delay_alu instid0(VALU_DEP_4) | instskip(NEXT) | instid1(VALU_DEP_4)
	v_or_b32_e32 v6, v9, v6
	v_lshlrev_b32_e32 v8, 16, v12
	s_delay_alu instid0(VALU_DEP_4) | instskip(NEXT) | instid1(VALU_DEP_4)
	v_and_b32_e32 v10, 0xffff, v10
	v_and_b32_e32 v7, 0xffff, v7
	s_delay_alu instid0(VALU_DEP_4) | instskip(NEXT) | instid1(VALU_DEP_2)
	v_lshlrev_b32_e32 v6, 16, v6
	v_or_b32_e32 v9, v7, v8
	s_delay_alu instid0(VALU_DEP_2)
	v_or_b32_e32 v8, v10, v6
.LBB358_95:
	s_wait_alu 0xfffe
	s_or_b32 exec_lo, exec_lo, s1
	v_add_nc_u32_e32 v6, 10, v46
	v_and_b32_e32 v7, 0xff, v9
	v_lshrrev_b32_e32 v10, 8, v9
                                        ; implicit-def: $vgpr51
	s_delay_alu instid0(VALU_DEP_3)
	v_cmp_le_u32_e32 vcc_lo, s27, v6
                                        ; implicit-def: $vgpr6
	s_and_saveexec_b32 s0, vcc_lo
	s_wait_alu 0xfffe
	s_xor_b32 s0, exec_lo, s0
	s_cbranch_execz .LBB358_97
; %bb.96:
	v_lshlrev_b16 v6, 8, v10
	v_perm_b32 v5, v5, v5, 0x3060504
                                        ; implicit-def: $vgpr10
	s_delay_alu instid0(VALU_DEP_2) | instskip(SKIP_1) | instid1(VALU_DEP_2)
	v_or_b32_e32 v6, v7, v6
	v_and_b32_e32 v7, 0xff0000, v8
	v_and_b32_e32 v6, 0xffff, v6
	s_delay_alu instid0(VALU_DEP_2) | instskip(NEXT) | instid1(VALU_DEP_2)
	v_perm_b32 v51, v8, v7, 0x3020504
                                        ; implicit-def: $vgpr7
                                        ; implicit-def: $vgpr8
	v_and_or_b32 v6, 0xff000000, v9, v6
                                        ; implicit-def: $vgpr9
.LBB358_97:
	s_wait_alu 0xfffe
	s_and_not1_saveexec_b32 s1, s0
	s_cbranch_execz .LBB358_101
; %bb.98:
	v_add_nc_u32_e32 v6, s17, v13
	v_add_nc_u32_e32 v11, s19, v13
	s_mov_b32 s3, 0
	s_mov_b32 s4, exec_lo
	s_delay_alu instid0(VALU_DEP_2) | instskip(NEXT) | instid1(VALU_DEP_2)
	v_mul_lo_u32 v6, v6, s16
	v_mul_lo_u32 v11, v11, s18
	s_delay_alu instid0(VALU_DEP_1) | instskip(NEXT) | instid1(VALU_DEP_1)
	v_sub_nc_u32_e32 v6, v6, v11
	v_cmp_lt_u32_e32 vcc_lo, s20, v6
	v_cmpx_ge_u32_e64 s20, v6
	s_cbranch_execz .LBB358_100
; %bb.99:
	v_add_nc_u32_e32 v6, s22, v13
	v_add_nc_u32_e32 v11, s38, v13
	s_delay_alu instid0(VALU_DEP_2) | instskip(NEXT) | instid1(VALU_DEP_2)
	v_mul_lo_u32 v6, v6, s21
	v_mul_lo_u32 v11, v11, s23
	s_delay_alu instid0(VALU_DEP_1) | instskip(NEXT) | instid1(VALU_DEP_1)
	v_sub_nc_u32_e32 v6, v6, v11
	v_cmp_lt_u32_e64 s0, s39, v6
	s_and_b32 s3, s0, exec_lo
.LBB358_100:
	s_wait_alu 0xfffe
	s_or_b32 exec_lo, exec_lo, s4
	v_lshrrev_b32_e32 v9, 24, v9
	v_cndmask_b32_e64 v11, 0, 1, s3
	v_lshrrev_b32_e32 v12, 8, v8
	v_lshrrev_b32_e32 v25, 16, v8
	s_wait_alu 0xfffd
	v_cndmask_b32_e64 v6, 0, 1, vcc_lo
	v_lshlrev_b16 v10, 8, v10
	v_lshlrev_b16 v9, 8, v9
	v_and_b32_e32 v8, 0xff, v8
	v_lshlrev_b16 v12, 8, v12
	v_lshlrev_b16 v11, 8, v11
	v_and_b32_e32 v25, 0xff, v25
	v_or_b32_e32 v7, v7, v10
	v_or_b32_e32 v6, v6, v9
	;; [unrolled: 1-line block ×3, first 2 shown]
	s_delay_alu instid0(VALU_DEP_4) | instskip(NEXT) | instid1(VALU_DEP_4)
	v_or_b32_e32 v9, v25, v11
	v_and_b32_e32 v7, 0xffff, v7
	s_delay_alu instid0(VALU_DEP_4) | instskip(NEXT) | instid1(VALU_DEP_4)
	v_lshlrev_b32_e32 v6, 16, v6
	v_and_b32_e32 v8, 0xffff, v8
	s_delay_alu instid0(VALU_DEP_4) | instskip(NEXT) | instid1(VALU_DEP_3)
	v_lshlrev_b32_e32 v9, 16, v9
	v_or_b32_e32 v6, v7, v6
	s_delay_alu instid0(VALU_DEP_2)
	v_or_b32_e32 v51, v8, v9
.LBB358_101:
	s_wait_alu 0xfffe
	s_or_b32 exec_lo, exec_lo, s1
	v_dual_mov_b32 v50, 0 :: v_dual_add_nc_u32 v7, 11, v46
	s_mov_b32 s0, exec_lo
                                        ; implicit-def: $vgpr52
	s_delay_alu instid0(VALU_DEP_1)
	v_cmpx_le_u32_e64 s27, v7
	s_wait_alu 0xfffe
	s_xor_b32 s0, exec_lo, s0
; %bb.102:
	v_and_b32_e32 v7, 0xff0000, v6
	v_perm_b32 v5, v5, v5, 0x3060504
	s_delay_alu instid0(VALU_DEP_2)
	v_perm_b32 v52, v6, v7, 0x3020504
                                        ; implicit-def: $vgpr6
; %bb.103:
	s_wait_alu 0xfffe
	s_and_not1_saveexec_b32 s1, s0
	s_cbranch_execz .LBB358_107
; %bb.104:
	v_add_nc_u32_e32 v7, s17, v14
	v_add_nc_u32_e32 v8, s19, v14
	s_mov_b32 s3, 0
	s_mov_b32 s4, exec_lo
	s_delay_alu instid0(VALU_DEP_2) | instskip(NEXT) | instid1(VALU_DEP_2)
	v_mul_lo_u32 v7, v7, s16
	v_mul_lo_u32 v8, v8, s18
	s_delay_alu instid0(VALU_DEP_1) | instskip(NEXT) | instid1(VALU_DEP_1)
	v_sub_nc_u32_e32 v7, v7, v8
	v_cmp_lt_u32_e32 vcc_lo, s20, v7
	v_cmpx_ge_u32_e64 s20, v7
	s_cbranch_execz .LBB358_106
; %bb.105:
	v_add_nc_u32_e32 v7, s22, v14
	v_add_nc_u32_e32 v8, s38, v14
	s_delay_alu instid0(VALU_DEP_2) | instskip(NEXT) | instid1(VALU_DEP_2)
	v_mul_lo_u32 v7, v7, s21
	v_mul_lo_u32 v8, v8, s23
	s_delay_alu instid0(VALU_DEP_1) | instskip(NEXT) | instid1(VALU_DEP_1)
	v_sub_nc_u32_e32 v7, v7, v8
	v_cmp_lt_u32_e64 s0, s39, v7
	s_and_b32 s3, s0, exec_lo
.LBB358_106:
	s_wait_alu 0xfffe
	s_or_b32 exec_lo, exec_lo, s4
	v_lshrrev_b32_e32 v7, 8, v6
	s_wait_alu 0xfffd
	v_cndmask_b32_e64 v8, 0, 1, vcc_lo
	v_lshrrev_b32_e32 v9, 16, v6
	v_and_b32_e32 v6, 0xff, v6
	v_cndmask_b32_e64 v50, 0, 1, s3
	v_lshlrev_b16 v7, 8, v7
	v_lshlrev_b16 v8, 8, v8
	v_and_b32_e32 v9, 0xff, v9
	s_delay_alu instid0(VALU_DEP_3) | instskip(NEXT) | instid1(VALU_DEP_2)
	v_or_b32_e32 v6, v6, v7
	v_or_b32_e32 v7, v9, v8
	s_delay_alu instid0(VALU_DEP_2) | instskip(NEXT) | instid1(VALU_DEP_2)
	v_and_b32_e32 v6, 0xffff, v6
	v_lshlrev_b32_e32 v7, 16, v7
	s_delay_alu instid0(VALU_DEP_1)
	v_or_b32_e32 v52, v6, v7
.LBB358_107:
	s_wait_alu 0xfffe
	s_or_b32 exec_lo, exec_lo, s1
	v_add_nc_u32_e32 v8, 12, v46
	v_lshrrev_b32_e32 v6, 8, v5
	v_lshrrev_b32_e32 v7, 16, v5
	;; [unrolled: 1-line block ×3, first 2 shown]
	s_mov_b32 s0, exec_lo
                                        ; implicit-def: $vgpr54
	v_cmpx_le_u32_e64 s27, v8
	s_wait_alu 0xfffe
	s_xor_b32 s0, exec_lo, s0
	s_cbranch_execz .LBB358_109
; %bb.108:
	v_lshlrev_b16 v5, 8, v5
	v_and_b32_e32 v7, 0xff, v7
	v_lshlrev_b16 v6, 8, v6
	s_delay_alu instid0(VALU_DEP_2) | instskip(NEXT) | instid1(VALU_DEP_2)
	v_or_b32_e32 v5, v7, v5
	v_and_b32_e32 v6, 0xffff, v6
                                        ; implicit-def: $vgpr7
	s_delay_alu instid0(VALU_DEP_2) | instskip(NEXT) | instid1(VALU_DEP_1)
	v_lshlrev_b32_e32 v5, 16, v5
	v_or_b32_e32 v54, v6, v5
                                        ; implicit-def: $vgpr5
                                        ; implicit-def: $vgpr6
.LBB358_109:
	s_wait_alu 0xfffe
	s_or_saveexec_b32 s1, s0
	v_mov_b32_e32 v53, 0
	s_wait_alu 0xfffe
	s_xor_b32 exec_lo, exec_lo, s1
	s_cbranch_execz .LBB358_113
; %bb.110:
	v_add_nc_u32_e32 v8, s17, v45
	v_add_nc_u32_e32 v9, s19, v45
	s_mov_b32 s3, 0
	s_mov_b32 s4, exec_lo
	s_delay_alu instid0(VALU_DEP_2) | instskip(NEXT) | instid1(VALU_DEP_2)
	v_mul_lo_u32 v8, v8, s16
	v_mul_lo_u32 v9, v9, s18
	s_delay_alu instid0(VALU_DEP_1) | instskip(NEXT) | instid1(VALU_DEP_1)
	v_sub_nc_u32_e32 v8, v8, v9
	v_cmp_lt_u32_e32 vcc_lo, s20, v8
	v_cmpx_ge_u32_e64 s20, v8
	s_cbranch_execz .LBB358_112
; %bb.111:
	v_add_nc_u32_e32 v8, s22, v45
	v_add_nc_u32_e32 v9, s38, v45
	s_delay_alu instid0(VALU_DEP_2) | instskip(NEXT) | instid1(VALU_DEP_2)
	v_mul_lo_u32 v8, v8, s21
	v_mul_lo_u32 v9, v9, s23
	s_delay_alu instid0(VALU_DEP_1) | instskip(NEXT) | instid1(VALU_DEP_1)
	v_sub_nc_u32_e32 v8, v8, v9
	v_cmp_lt_u32_e64 s0, s39, v8
	s_and_b32 s3, s0, exec_lo
.LBB358_112:
	s_wait_alu 0xfffe
	s_or_b32 exec_lo, exec_lo, s4
	s_wait_alu 0xfffd
	v_cndmask_b32_e64 v8, 0, 1, vcc_lo
	v_lshlrev_b16 v5, 8, v5
	v_and_b32_e32 v7, 0xff, v7
	v_lshlrev_b16 v6, 8, v6
	v_cndmask_b32_e64 v53, 0, 1, s3
	s_delay_alu instid0(VALU_DEP_3) | instskip(NEXT) | instid1(VALU_DEP_3)
	v_or_b32_e32 v5, v7, v5
	v_or_b32_e32 v6, v8, v6
	s_delay_alu instid0(VALU_DEP_2) | instskip(NEXT) | instid1(VALU_DEP_2)
	v_lshlrev_b32_e32 v5, 16, v5
	v_and_b32_e32 v6, 0xffff, v6
	s_delay_alu instid0(VALU_DEP_1)
	v_or_b32_e32 v54, v6, v5
.LBB358_113:
	s_or_b32 exec_lo, exec_lo, s1
.LBB358_114:
	v_and_b32_e32 v77, 0xff, v47
	s_delay_alu instid0(VALU_DEP_2)
	v_bfe_u32 v78, v54, 8, 8
	v_bfe_u32 v74, v47, 8, 8
	;; [unrolled: 1-line block ×4, first 2 shown]
	v_lshrrev_b32_e32 v60, 24, v54
	v_lshrrev_b32_e32 v59, 24, v47
	v_and_b32_e32 v73, 0xff, v48
	v_and_b32_e32 v71, 0xff, v49
	v_bfe_u32 v72, v48, 8, 8
	v_add3_u32 v5, v74, v77, v76
	v_add3_u32 v6, v75, v78, v60
	v_bfe_u32 v69, v49, 8, 8
	v_bfe_u32 v70, v48, 16, 8
	;; [unrolled: 1-line block ×3, first 2 shown]
	v_lshrrev_b32_e32 v58, 24, v48
	v_add3_u32 v5, v5, v59, v71
	v_add3_u32 v6, v6, v73, v72
	v_lshrrev_b32_e32 v57, 24, v49
	v_and_b32_e32 v68, 0xff, v51
	v_and_b32_e32 v66, 0xff, v52
	v_bfe_u32 v67, v51, 8, 8
	v_add3_u32 v5, v5, v69, v65
	v_add3_u32 v6, v6, v70, v58
	v_bfe_u32 v63, v52, 8, 8
	v_bfe_u32 v64, v51, 16, 8
	;; [unrolled: 1-line block ×3, first 2 shown]
	v_lshrrev_b32_e32 v56, 24, v51
	v_add3_u32 v5, v5, v57, v66
	v_add3_u32 v6, v6, v68, v67
	v_mbcnt_lo_u32_b32 v79, -1, 0
	v_lshrrev_b32_e32 v55, 24, v52
	v_and_b32_e32 v61, 0xff, v50
	v_and_b32_e32 v7, 0xff, v54
	;; [unrolled: 1-line block ×3, first 2 shown]
	v_add3_u32 v5, v5, v63, v62
	v_add3_u32 v6, v6, v64, v56
	v_and_b32_e32 v81, 15, v79
	v_and_b32_e32 v83, 16, v79
	v_lshrrev_b32_e32 v80, 5, v0
	v_add3_u32 v84, v5, v55, v7
	v_add3_u32 v85, v6, v61, v8
	v_cmp_eq_u32_e64 s1, 0, v81
	v_cmp_lt_u32_e64 s0, 1, v81
	v_cmp_lt_u32_e64 s3, 3, v81
	v_or_b32_e32 v82, 31, v0
	s_cmp_lg_u32 s33, 0
	s_mov_b32 s4, -1
	v_cmp_lt_u32_e32 vcc_lo, 7, v81
	s_cbranch_scc0 .LBB358_135
; %bb.115:
	v_mov_b32_dpp v6, v84 row_shr:1 row_mask:0xf bank_mask:0xf
	v_mov_b32_dpp v5, v85 row_shr:1 row_mask:0xf bank_mask:0xf
	s_mov_b32 s4, exec_lo
	s_delay_alu instid0(VALU_DEP_2) | instskip(SKIP_1) | instid1(VALU_DEP_1)
	v_add_nc_u32_e32 v6, v6, v84
	s_wait_alu 0xf1ff
	v_cndmask_b32_e64 v6, v6, v84, s1
	s_delay_alu instid0(VALU_DEP_1) | instskip(NEXT) | instid1(VALU_DEP_1)
	v_mov_b32_dpp v8, v6 row_shr:2 row_mask:0xf bank_mask:0xf
	v_add_nc_u32_e32 v8, v6, v8
	s_delay_alu instid0(VALU_DEP_1) | instskip(NEXT) | instid1(VALU_DEP_1)
	v_cndmask_b32_e64 v6, v6, v8, s0
	v_mov_b32_dpp v8, v6 row_shr:4 row_mask:0xf bank_mask:0xf
	s_delay_alu instid0(VALU_DEP_1) | instskip(NEXT) | instid1(VALU_DEP_1)
	v_add_nc_u32_e32 v8, v6, v8
	v_cndmask_b32_e64 v6, v6, v8, s3
	s_delay_alu instid0(VALU_DEP_1) | instskip(NEXT) | instid1(VALU_DEP_1)
	v_mov_b32_dpp v8, v6 row_shr:8 row_mask:0xf bank_mask:0xf
	v_add_nc_u32_e32 v8, v6, v8
	s_wait_alu 0xfffd
	s_delay_alu instid0(VALU_DEP_1) | instskip(NEXT) | instid1(VALU_DEP_1)
	v_dual_cndmask_b32 v6, v6, v8 :: v_dual_add_nc_u32 v5, v5, v85
	v_cndmask_b32_e64 v5, v5, v85, s1
	ds_swizzle_b32 v8, v6 offset:swizzle(BROADCAST,32,15)
	v_mov_b32_dpp v7, v5 row_shr:2 row_mask:0xf bank_mask:0xf
	s_delay_alu instid0(VALU_DEP_1) | instskip(NEXT) | instid1(VALU_DEP_1)
	v_add_nc_u32_e32 v7, v5, v7
	v_cndmask_b32_e64 v5, v5, v7, s0
	s_delay_alu instid0(VALU_DEP_1) | instskip(SKIP_2) | instid1(VALU_DEP_2)
	v_mov_b32_dpp v7, v5 row_shr:4 row_mask:0xf bank_mask:0xf
	s_wait_dscnt 0x0
	v_add_nc_u32_e32 v8, v6, v8
	v_add_nc_u32_e32 v7, v5, v7
	s_delay_alu instid0(VALU_DEP_1) | instskip(NEXT) | instid1(VALU_DEP_1)
	v_cndmask_b32_e64 v5, v5, v7, s3
	v_mov_b32_dpp v7, v5 row_shr:8 row_mask:0xf bank_mask:0xf
	s_delay_alu instid0(VALU_DEP_1) | instskip(NEXT) | instid1(VALU_DEP_1)
	v_add_nc_u32_e32 v7, v5, v7
	v_cndmask_b32_e32 v5, v5, v7, vcc_lo
	v_cmp_eq_u32_e32 vcc_lo, 0, v83
	ds_swizzle_b32 v7, v5 offset:swizzle(BROADCAST,32,15)
	s_wait_dscnt 0x0
	v_add_nc_u32_e32 v7, v5, v7
	v_cmpx_eq_u32_e64 v0, v82
; %bb.116:
	s_wait_alu 0xfffd
	s_delay_alu instid0(VALU_DEP_2)
	v_dual_cndmask_b32 v10, v7, v5 :: v_dual_lshlrev_b32 v11, 3, v80
	v_cndmask_b32_e32 v9, v8, v6, vcc_lo
	ds_store_b64 v11, v[9:10]
; %bb.117:
	s_wait_alu 0xfffe
	s_or_b32 exec_lo, exec_lo, s4
	s_delay_alu instid0(SALU_CYCLE_1)
	s_mov_b32 s4, exec_lo
	s_wait_loadcnt_dscnt 0x0
	s_barrier_signal -1
	s_barrier_wait -1
	global_inv scope:SCOPE_SE
	v_cmpx_gt_u32_e32 8, v0
	s_cbranch_execz .LBB358_119
; %bb.118:
	v_lshlrev_b32_e32 v11, 3, v0
	v_and_b32_e32 v26, 7, v79
	ds_load_b64 v[9:10], v11
	v_cmp_eq_u32_e64 s3, 0, v26
	s_wait_dscnt 0x0
	v_mov_b32_dpp v12, v9 row_shr:1 row_mask:0xf bank_mask:0xf
	v_mov_b32_dpp v25, v10 row_shr:1 row_mask:0xf bank_mask:0xf
	s_delay_alu instid0(VALU_DEP_2) | instskip(NEXT) | instid1(VALU_DEP_2)
	v_add_nc_u32_e32 v12, v12, v9
	v_add_nc_u32_e32 v25, v25, v10
	s_wait_alu 0xf1ff
	s_delay_alu instid0(VALU_DEP_2) | instskip(NEXT) | instid1(VALU_DEP_2)
	v_cndmask_b32_e64 v9, v12, v9, s3
	v_cndmask_b32_e64 v10, v25, v10, s3
	v_cmp_lt_u32_e64 s3, 1, v26
	s_delay_alu instid0(VALU_DEP_3) | instskip(NEXT) | instid1(VALU_DEP_3)
	v_mov_b32_dpp v12, v9 row_shr:2 row_mask:0xf bank_mask:0xf
	v_mov_b32_dpp v25, v10 row_shr:2 row_mask:0xf bank_mask:0xf
	s_delay_alu instid0(VALU_DEP_2) | instskip(NEXT) | instid1(VALU_DEP_2)
	v_add_nc_u32_e32 v12, v9, v12
	v_add_nc_u32_e32 v25, v10, v25
	s_wait_alu 0xf1ff
	s_delay_alu instid0(VALU_DEP_2) | instskip(NEXT) | instid1(VALU_DEP_2)
	v_cndmask_b32_e64 v9, v9, v12, s3
	v_cndmask_b32_e64 v10, v10, v25, s3
	v_cmp_lt_u32_e64 s3, 3, v26
	s_delay_alu instid0(VALU_DEP_3) | instskip(NEXT) | instid1(VALU_DEP_3)
	v_mov_b32_dpp v12, v9 row_shr:4 row_mask:0xf bank_mask:0xf
	v_mov_b32_dpp v25, v10 row_shr:4 row_mask:0xf bank_mask:0xf
	s_wait_alu 0xf1ff
	s_delay_alu instid0(VALU_DEP_2) | instskip(NEXT) | instid1(VALU_DEP_2)
	v_cndmask_b32_e64 v12, 0, v12, s3
	v_cndmask_b32_e64 v25, 0, v25, s3
	s_delay_alu instid0(VALU_DEP_2) | instskip(NEXT) | instid1(VALU_DEP_2)
	v_add_nc_u32_e32 v9, v12, v9
	v_add_nc_u32_e32 v10, v25, v10
	ds_store_b64 v11, v[9:10]
.LBB358_119:
	s_wait_alu 0xfffe
	s_or_b32 exec_lo, exec_lo, s4
	v_dual_cndmask_b32 v5, v7, v5 :: v_dual_cndmask_b32 v6, v8, v6
	s_mov_b32 s4, exec_lo
	v_cmp_gt_u32_e32 vcc_lo, 32, v0
	s_wait_loadcnt_dscnt 0x0
	s_barrier_signal -1
	s_barrier_wait -1
	global_inv scope:SCOPE_SE
                                        ; implicit-def: $vgpr25
	v_cmpx_lt_u32_e32 31, v0
	s_cbranch_execz .LBB358_121
; %bb.120:
	v_lshl_add_u32 v7, v80, 3, -8
	ds_load_b64 v[25:26], v7
	s_wait_dscnt 0x0
	v_add_nc_u32_e32 v5, v26, v5
	v_add_nc_u32_e32 v6, v25, v6
.LBB358_121:
	s_wait_alu 0xfffe
	s_or_b32 exec_lo, exec_lo, s4
	v_sub_co_u32 v7, s3, v79, 1
	s_delay_alu instid0(VALU_DEP_1) | instskip(SKIP_1) | instid1(VALU_DEP_1)
	v_cmp_gt_i32_e64 s4, 0, v7
	s_wait_alu 0xf1ff
	v_cndmask_b32_e64 v7, v7, v79, s4
	s_delay_alu instid0(VALU_DEP_1)
	v_lshlrev_b32_e32 v7, 2, v7
	ds_bpermute_b32 v86, v7, v6
	ds_bpermute_b32 v87, v7, v5
	s_and_saveexec_b32 s4, vcc_lo
	s_cbranch_execz .LBB358_140
; %bb.122:
	v_mov_b32_e32 v8, 0
	ds_load_b64 v[5:6], v8 offset:56
	s_and_saveexec_b32 s5, s3
	s_cbranch_execz .LBB358_124
; %bb.123:
	s_add_co_i32 s6, s33, 32
	s_mov_b32 s7, 0
	s_wait_alu 0xfffe
	s_lshl_b64 s[6:7], s[6:7], 4
	s_wait_alu 0xfffe
	s_add_nc_u64 s[6:7], s[36:37], s[6:7]
	s_wait_alu 0xfffe
	v_dual_mov_b32 v7, 1 :: v_dual_mov_b32 v10, s7
	v_mov_b32_e32 v9, s6
	s_wait_dscnt 0x0
	;;#ASMSTART
	global_store_b128 v[9:10], v[5:8] off scope:SCOPE_DEV	
s_wait_storecnt 0x0
	;;#ASMEND
.LBB358_124:
	s_wait_alu 0xfffe
	s_or_b32 exec_lo, exec_lo, s5
	v_xad_u32 v27, v79, -1, s33
	s_mov_b32 s6, 0
	s_mov_b32 s5, exec_lo
	s_delay_alu instid0(VALU_DEP_1) | instskip(NEXT) | instid1(VALU_DEP_1)
	v_add_nc_u32_e32 v7, 32, v27
	v_lshlrev_b64_e32 v[7:8], 4, v[7:8]
	s_delay_alu instid0(VALU_DEP_1) | instskip(SKIP_1) | instid1(VALU_DEP_2)
	v_add_co_u32 v7, vcc_lo, s36, v7
	s_wait_alu 0xfffd
	v_add_co_ci_u32_e64 v8, null, s37, v8, vcc_lo
	;;#ASMSTART
	global_load_b128 v[9:12], v[7:8] off scope:SCOPE_DEV	
s_wait_loadcnt 0x0
	;;#ASMEND
	v_and_b32_e32 v12, 0xff, v11
	s_delay_alu instid0(VALU_DEP_1)
	v_cmpx_eq_u16_e32 0, v12
	s_cbranch_execz .LBB358_127
.LBB358_125:                            ; =>This Inner Loop Header: Depth=1
	;;#ASMSTART
	global_load_b128 v[9:12], v[7:8] off scope:SCOPE_DEV	
s_wait_loadcnt 0x0
	;;#ASMEND
	v_and_b32_e32 v12, 0xff, v11
	s_delay_alu instid0(VALU_DEP_1)
	v_cmp_ne_u16_e32 vcc_lo, 0, v12
	s_wait_alu 0xfffe
	s_or_b32 s6, vcc_lo, s6
	s_wait_alu 0xfffe
	s_and_not1_b32 exec_lo, exec_lo, s6
	s_cbranch_execnz .LBB358_125
; %bb.126:
	s_or_b32 exec_lo, exec_lo, s6
.LBB358_127:
	s_wait_alu 0xfffe
	s_or_b32 exec_lo, exec_lo, s5
	v_cmp_ne_u32_e32 vcc_lo, 31, v79
	v_lshlrev_b32_e64 v89, v79, -1
	v_add_nc_u32_e32 v91, 2, v79
	v_add_nc_u32_e32 v93, 4, v79
	v_add_nc_u32_e32 v95, 8, v79
	s_wait_alu 0xfffd
	v_add_co_ci_u32_e64 v7, null, 0, v79, vcc_lo
	v_lshl_or_b32 v96, v79, 2, 64
	v_add_nc_u32_e32 v97, 16, v79
	s_delay_alu instid0(VALU_DEP_3) | instskip(SKIP_4) | instid1(VALU_DEP_1)
	v_lshlrev_b32_e32 v88, 2, v7
	ds_bpermute_b32 v8, v88, v10
	s_wait_dscnt 0x0
	v_add_nc_u32_e32 v8, v8, v10
	v_and_b32_e32 v7, 0xff, v11
	v_cmp_eq_u16_e32 vcc_lo, 2, v7
	ds_bpermute_b32 v7, v88, v9
	s_wait_dscnt 0x0
	v_add_nc_u32_e32 v7, v7, v9
	s_wait_alu 0xfffd
	v_and_b32_e32 v12, vcc_lo, v89
	v_cmp_gt_u32_e32 vcc_lo, 30, v79
	s_delay_alu instid0(VALU_DEP_2) | instskip(SKIP_2) | instid1(VALU_DEP_2)
	v_or_b32_e32 v12, 0x80000000, v12
	s_wait_alu 0xfffd
	v_cndmask_b32_e64 v28, 0, 2, vcc_lo
	v_ctz_i32_b32_e32 v12, v12
	s_delay_alu instid0(VALU_DEP_2) | instskip(NEXT) | instid1(VALU_DEP_2)
	v_add_lshl_u32 v90, v28, v79, 2
	v_cmp_lt_u32_e32 vcc_lo, v79, v12
	s_wait_alu 0xfffd
	v_dual_cndmask_b32 v8, v10, v8 :: v_dual_cndmask_b32 v7, v9, v7
	v_cmp_gt_u32_e32 vcc_lo, 28, v79
	ds_bpermute_b32 v9, v90, v8
	ds_bpermute_b32 v10, v90, v7
	s_wait_alu 0xfffd
	v_cndmask_b32_e64 v28, 0, 4, vcc_lo
	v_cmp_gt_u32_e32 vcc_lo, v91, v12
	s_delay_alu instid0(VALU_DEP_2)
	v_add_lshl_u32 v92, v28, v79, 2
	s_wait_dscnt 0x1
	v_add_nc_u32_e32 v9, v8, v9
	s_wait_dscnt 0x0
	v_add_nc_u32_e32 v10, v7, v10
	s_wait_alu 0xfffd
	s_delay_alu instid0(VALU_DEP_1)
	v_dual_cndmask_b32 v8, v9, v8 :: v_dual_cndmask_b32 v7, v10, v7
	v_cmp_gt_u32_e32 vcc_lo, 24, v79
	ds_bpermute_b32 v9, v92, v8
	ds_bpermute_b32 v10, v92, v7
	s_wait_alu 0xfffd
	v_cndmask_b32_e64 v28, 0, 8, vcc_lo
	v_cmp_gt_u32_e32 vcc_lo, v93, v12
	s_delay_alu instid0(VALU_DEP_2)
	v_add_lshl_u32 v94, v28, v79, 2
	s_wait_dscnt 0x1
	v_dual_mov_b32 v28, 0 :: v_dual_add_nc_u32 v9, v8, v9
	s_wait_dscnt 0x0
	v_add_nc_u32_e32 v10, v7, v10
	s_wait_alu 0xfffd
	s_delay_alu instid0(VALU_DEP_1)
	v_dual_cndmask_b32 v8, v9, v8 :: v_dual_cndmask_b32 v7, v10, v7
	v_cmp_gt_u32_e32 vcc_lo, v95, v12
	ds_bpermute_b32 v9, v94, v8
	ds_bpermute_b32 v10, v94, v7
	s_wait_dscnt 0x1
	v_add_nc_u32_e32 v9, v8, v9
	s_wait_dscnt 0x0
	v_add_nc_u32_e32 v10, v7, v10
	s_wait_alu 0xfffd
	s_delay_alu instid0(VALU_DEP_1)
	v_dual_cndmask_b32 v8, v9, v8 :: v_dual_cndmask_b32 v7, v10, v7
	v_cmp_le_u32_e32 vcc_lo, v97, v12
	ds_bpermute_b32 v10, v96, v8
	ds_bpermute_b32 v9, v96, v7
	s_wait_dscnt 0x0
	s_wait_alu 0xfffd
	v_dual_cndmask_b32 v10, 0, v10 :: v_dual_cndmask_b32 v9, 0, v9
	s_delay_alu instid0(VALU_DEP_1) | instskip(NEXT) | instid1(VALU_DEP_2)
	v_add_nc_u32_e32 v10, v10, v8
	v_add_nc_u32_e32 v9, v9, v7
	s_branch .LBB358_131
.LBB358_128:                            ;   in Loop: Header=BB358_131 Depth=1
	s_or_b32 exec_lo, exec_lo, s6
.LBB358_129:                            ;   in Loop: Header=BB358_131 Depth=1
	s_wait_alu 0xfffe
	s_or_b32 exec_lo, exec_lo, s5
	ds_bpermute_b32 v12, v88, v9
	ds_bpermute_b32 v29, v88, v10
	v_subrev_nc_u32_e32 v27, 32, v27
	s_mov_b32 s5, 0
	s_wait_dscnt 0x1
	v_add_nc_u32_e32 v12, v12, v9
	v_and_b32_e32 v30, 0xff, v11
	s_wait_dscnt 0x0
	v_add_nc_u32_e32 v29, v29, v10
	s_delay_alu instid0(VALU_DEP_2) | instskip(SKIP_2) | instid1(VALU_DEP_1)
	v_cmp_eq_u16_e32 vcc_lo, 2, v30
	s_wait_alu 0xfffd
	v_and_or_b32 v30, vcc_lo, v89, 0x80000000
	v_ctz_i32_b32_e32 v30, v30
	s_delay_alu instid0(VALU_DEP_1)
	v_cmp_lt_u32_e32 vcc_lo, v79, v30
	s_wait_alu 0xfffd
	v_dual_cndmask_b32 v10, v10, v29 :: v_dual_cndmask_b32 v9, v9, v12
	v_cmp_gt_u32_e32 vcc_lo, v91, v30
	ds_bpermute_b32 v29, v90, v10
	ds_bpermute_b32 v12, v90, v9
	s_wait_dscnt 0x1
	v_add_nc_u32_e32 v29, v10, v29
	s_wait_dscnt 0x0
	v_add_nc_u32_e32 v12, v9, v12
	s_wait_alu 0xfffd
	s_delay_alu instid0(VALU_DEP_1)
	v_dual_cndmask_b32 v10, v29, v10 :: v_dual_cndmask_b32 v9, v12, v9
	v_cmp_gt_u32_e32 vcc_lo, v93, v30
	ds_bpermute_b32 v29, v92, v10
	ds_bpermute_b32 v12, v92, v9
	s_wait_dscnt 0x1
	v_add_nc_u32_e32 v29, v10, v29
	s_wait_dscnt 0x0
	v_add_nc_u32_e32 v12, v9, v12
	s_wait_alu 0xfffd
	s_delay_alu instid0(VALU_DEP_1)
	;; [unrolled: 10-line block ×3, first 2 shown]
	v_dual_cndmask_b32 v10, v29, v10 :: v_dual_cndmask_b32 v9, v12, v9
	v_cmp_le_u32_e32 vcc_lo, v97, v30
	ds_bpermute_b32 v29, v96, v10
	ds_bpermute_b32 v12, v96, v9
	s_wait_dscnt 0x0
	s_wait_alu 0xfffd
	v_dual_cndmask_b32 v29, 0, v29 :: v_dual_cndmask_b32 v12, 0, v12
	s_delay_alu instid0(VALU_DEP_1) | instskip(NEXT) | instid1(VALU_DEP_2)
	v_add3_u32 v10, v10, v8, v29
	v_add3_u32 v9, v9, v7, v12
.LBB358_130:                            ;   in Loop: Header=BB358_131 Depth=1
	s_wait_alu 0xfffe
	s_and_b32 vcc_lo, exec_lo, s5
	s_wait_alu 0xfffe
	s_cbranch_vccnz .LBB358_136
.LBB358_131:                            ; =>This Loop Header: Depth=1
                                        ;     Child Loop BB358_134 Depth 2
	v_and_b32_e32 v7, 0xff, v11
	s_mov_b32 s5, -1
                                        ; implicit-def: $vgpr11
	s_delay_alu instid0(VALU_DEP_1)
	v_cmp_ne_u16_e32 vcc_lo, 2, v7
	v_dual_mov_b32 v7, v9 :: v_dual_mov_b32 v8, v10
                                        ; implicit-def: $vgpr9_vgpr10
	s_cmp_lg_u32 vcc_lo, exec_lo
	s_cbranch_scc1 .LBB358_130
; %bb.132:                              ;   in Loop: Header=BB358_131 Depth=1
	v_lshlrev_b64_e32 v[9:10], 4, v[27:28]
	s_mov_b32 s5, exec_lo
	s_delay_alu instid0(VALU_DEP_1) | instskip(SKIP_1) | instid1(VALU_DEP_2)
	v_add_co_u32 v29, vcc_lo, s36, v9
	s_wait_alu 0xfffd
	v_add_co_ci_u32_e64 v30, null, s37, v10, vcc_lo
	;;#ASMSTART
	global_load_b128 v[9:12], v[29:30] off scope:SCOPE_DEV	
s_wait_loadcnt 0x0
	;;#ASMEND
	v_and_b32_e32 v12, 0xff, v11
	s_delay_alu instid0(VALU_DEP_1)
	v_cmpx_eq_u16_e32 0, v12
	s_cbranch_execz .LBB358_129
; %bb.133:                              ;   in Loop: Header=BB358_131 Depth=1
	s_mov_b32 s6, 0
.LBB358_134:                            ;   Parent Loop BB358_131 Depth=1
                                        ; =>  This Inner Loop Header: Depth=2
	;;#ASMSTART
	global_load_b128 v[9:12], v[29:30] off scope:SCOPE_DEV	
s_wait_loadcnt 0x0
	;;#ASMEND
	v_and_b32_e32 v12, 0xff, v11
	s_delay_alu instid0(VALU_DEP_1)
	v_cmp_ne_u16_e32 vcc_lo, 0, v12
	s_wait_alu 0xfffe
	s_or_b32 s6, vcc_lo, s6
	s_wait_alu 0xfffe
	s_and_not1_b32 exec_lo, exec_lo, s6
	s_cbranch_execnz .LBB358_134
	s_branch .LBB358_128
.LBB358_135:
                                        ; implicit-def: $vgpr29
                                        ; implicit-def: $vgpr7
                                        ; implicit-def: $vgpr86
	s_wait_alu 0xfffe
	s_and_b32 vcc_lo, exec_lo, s4
	s_wait_alu 0xfffe
	s_cbranch_vccnz .LBB358_141
	s_branch .LBB358_150
.LBB358_136:
	s_and_saveexec_b32 s5, s3
	s_cbranch_execnz .LBB358_378
; %bb.137:
	s_wait_alu 0xfffe
	s_or_b32 exec_lo, exec_lo, s5
	s_and_saveexec_b32 s5, s3
	s_cbranch_execnz .LBB358_379
.LBB358_138:
	s_wait_alu 0xfffe
	s_or_b32 exec_lo, exec_lo, s5
	s_delay_alu instid0(SALU_CYCLE_1)
	s_and_b32 exec_lo, exec_lo, s2
.LBB358_139:
	v_mov_b32_e32 v5, 0
	ds_store_b64 v5, v[7:8] offset:56
.LBB358_140:
	s_wait_alu 0xfffe
	s_or_b32 exec_lo, exec_lo, s4
	s_wait_dscnt 0x1
	v_cndmask_b32_e64 v12, v86, v25, s3
	v_mov_b32_e32 v5, 0
	s_wait_loadcnt_dscnt 0x0
	s_barrier_signal -1
	s_barrier_wait -1
	global_inv scope:SCOPE_SE
	ds_load_b64 v[9:10], v5 offset:56
	s_wait_loadcnt_dscnt 0x0
	s_barrier_signal -1
	s_barrier_wait -1
	global_inv scope:SCOPE_SE
	v_cndmask_b32_e64 v11, v87, v26, s3
	v_add_nc_u32_e32 v12, v9, v12
	ds_load_b128 v[5:8], v5 offset:13312
	v_add_nc_u32_e32 v11, v10, v11
	v_cndmask_b32_e64 v86, v12, v9, s2
	s_delay_alu instid0(VALU_DEP_2)
	v_cndmask_b32_e64 v29, v11, v10, s2
	s_branch .LBB358_150
.LBB358_141:
	s_wait_dscnt 0x0
	v_mov_b32_dpp v5, v84 row_shr:1 row_mask:0xf bank_mask:0xf
	v_cmp_lt_u32_e32 vcc_lo, 3, v81
	v_mov_b32_dpp v6, v85 row_shr:1 row_mask:0xf bank_mask:0xf
	s_delay_alu instid0(VALU_DEP_3) | instskip(NEXT) | instid1(VALU_DEP_1)
	v_add_nc_u32_e32 v5, v5, v84
	v_cndmask_b32_e64 v5, v5, v84, s1
	s_delay_alu instid0(VALU_DEP_1) | instskip(NEXT) | instid1(VALU_DEP_1)
	v_mov_b32_dpp v7, v5 row_shr:2 row_mask:0xf bank_mask:0xf
	v_add_nc_u32_e32 v7, v5, v7
	s_delay_alu instid0(VALU_DEP_1) | instskip(NEXT) | instid1(VALU_DEP_1)
	v_cndmask_b32_e64 v5, v5, v7, s0
	v_mov_b32_dpp v7, v5 row_shr:4 row_mask:0xf bank_mask:0xf
	s_delay_alu instid0(VALU_DEP_1) | instskip(SKIP_1) | instid1(VALU_DEP_1)
	v_add_nc_u32_e32 v7, v5, v7
	s_wait_alu 0xfffd
	v_dual_cndmask_b32 v7, v5, v7 :: v_dual_add_nc_u32 v6, v6, v85
	s_delay_alu instid0(VALU_DEP_1) | instskip(SKIP_1) | instid1(VALU_DEP_2)
	v_cndmask_b32_e64 v6, v6, v85, s1
	s_mov_b32 s1, exec_lo
	v_mov_b32_dpp v5, v7 row_shr:8 row_mask:0xf bank_mask:0xf
	s_delay_alu instid0(VALU_DEP_2) | instskip(NEXT) | instid1(VALU_DEP_2)
	v_mov_b32_dpp v8, v6 row_shr:2 row_mask:0xf bank_mask:0xf
	v_add_nc_u32_e32 v9, v7, v5
	s_delay_alu instid0(VALU_DEP_2) | instskip(NEXT) | instid1(VALU_DEP_1)
	v_add_nc_u32_e32 v8, v6, v8
	v_cndmask_b32_e64 v6, v6, v8, s0
	s_delay_alu instid0(VALU_DEP_1) | instskip(NEXT) | instid1(VALU_DEP_1)
	v_mov_b32_dpp v8, v6 row_shr:4 row_mask:0xf bank_mask:0xf
	v_add_nc_u32_e32 v8, v6, v8
	s_delay_alu instid0(VALU_DEP_1) | instskip(SKIP_1) | instid1(VALU_DEP_2)
	v_cndmask_b32_e32 v6, v6, v8, vcc_lo
	v_cmp_lt_u32_e32 vcc_lo, 7, v81
	v_mov_b32_dpp v8, v6 row_shr:8 row_mask:0xf bank_mask:0xf
	s_delay_alu instid0(VALU_DEP_1) | instskip(SKIP_1) | instid1(VALU_DEP_1)
	v_add_nc_u32_e32 v5, v6, v8
	s_wait_alu 0xfffd
	v_cndmask_b32_e32 v5, v6, v5, vcc_lo
	v_cndmask_b32_e32 v6, v7, v9, vcc_lo
	v_cmp_eq_u32_e32 vcc_lo, 0, v83
	ds_swizzle_b32 v7, v5 offset:swizzle(BROADCAST,32,15)
	ds_swizzle_b32 v8, v6 offset:swizzle(BROADCAST,32,15)
	s_wait_dscnt 0x1
	v_add_nc_u32_e32 v7, v5, v7
	s_wait_dscnt 0x0
	v_add_nc_u32_e32 v8, v6, v8
	v_cmpx_eq_u32_e64 v0, v82
; %bb.142:
	s_wait_alu 0xfffd
	s_delay_alu instid0(VALU_DEP_2)
	v_dual_cndmask_b32 v9, v8, v6 :: v_dual_cndmask_b32 v10, v7, v5
	v_lshlrev_b32_e32 v11, 3, v80
	ds_store_b64 v11, v[9:10]
; %bb.143:
	s_wait_alu 0xfffe
	s_or_b32 exec_lo, exec_lo, s1
	s_delay_alu instid0(SALU_CYCLE_1)
	s_mov_b32 s1, exec_lo
	s_wait_loadcnt_dscnt 0x0
	s_barrier_signal -1
	s_barrier_wait -1
	global_inv scope:SCOPE_SE
	v_cmpx_gt_u32_e32 8, v0
	s_cbranch_execz .LBB358_145
; %bb.144:
	v_lshlrev_b32_e32 v11, 3, v0
	v_and_b32_e32 v26, 7, v79
	ds_load_b64 v[9:10], v11
	v_cmp_eq_u32_e64 s0, 0, v26
	s_wait_dscnt 0x0
	v_mov_b32_dpp v12, v9 row_shr:1 row_mask:0xf bank_mask:0xf
	v_mov_b32_dpp v25, v10 row_shr:1 row_mask:0xf bank_mask:0xf
	s_delay_alu instid0(VALU_DEP_2) | instskip(NEXT) | instid1(VALU_DEP_2)
	v_add_nc_u32_e32 v12, v12, v9
	v_add_nc_u32_e32 v25, v25, v10
	s_wait_alu 0xf1ff
	s_delay_alu instid0(VALU_DEP_2) | instskip(NEXT) | instid1(VALU_DEP_2)
	v_cndmask_b32_e64 v9, v12, v9, s0
	v_cndmask_b32_e64 v10, v25, v10, s0
	v_cmp_lt_u32_e64 s0, 1, v26
	s_delay_alu instid0(VALU_DEP_3) | instskip(NEXT) | instid1(VALU_DEP_3)
	v_mov_b32_dpp v12, v9 row_shr:2 row_mask:0xf bank_mask:0xf
	v_mov_b32_dpp v25, v10 row_shr:2 row_mask:0xf bank_mask:0xf
	s_delay_alu instid0(VALU_DEP_2) | instskip(NEXT) | instid1(VALU_DEP_2)
	v_add_nc_u32_e32 v12, v9, v12
	v_add_nc_u32_e32 v25, v10, v25
	s_wait_alu 0xf1ff
	s_delay_alu instid0(VALU_DEP_2) | instskip(NEXT) | instid1(VALU_DEP_2)
	v_cndmask_b32_e64 v9, v9, v12, s0
	v_cndmask_b32_e64 v10, v10, v25, s0
	v_cmp_lt_u32_e64 s0, 3, v26
	s_delay_alu instid0(VALU_DEP_3) | instskip(NEXT) | instid1(VALU_DEP_3)
	v_mov_b32_dpp v12, v9 row_shr:4 row_mask:0xf bank_mask:0xf
	v_mov_b32_dpp v25, v10 row_shr:4 row_mask:0xf bank_mask:0xf
	s_wait_alu 0xf1ff
	s_delay_alu instid0(VALU_DEP_2) | instskip(NEXT) | instid1(VALU_DEP_2)
	v_cndmask_b32_e64 v12, 0, v12, s0
	v_cndmask_b32_e64 v25, 0, v25, s0
	s_delay_alu instid0(VALU_DEP_2) | instskip(NEXT) | instid1(VALU_DEP_2)
	v_add_nc_u32_e32 v9, v12, v9
	v_add_nc_u32_e32 v10, v25, v10
	ds_store_b64 v11, v[9:10]
.LBB358_145:
	s_wait_alu 0xfffe
	s_or_b32 exec_lo, exec_lo, s1
	v_dual_mov_b32 v11, 0 :: v_dual_mov_b32 v10, 0
	v_mov_b32_e32 v9, 0
	s_mov_b32 s1, exec_lo
	s_wait_loadcnt_dscnt 0x0
	s_barrier_signal -1
	s_barrier_wait -1
	global_inv scope:SCOPE_SE
	v_cmpx_lt_u32_e32 31, v0
; %bb.146:
	v_lshl_add_u32 v9, v80, 3, -8
	ds_load_b64 v[9:10], v9
; %bb.147:
	s_wait_alu 0xfffe
	s_or_b32 exec_lo, exec_lo, s1
	v_sub_co_u32 v12, s0, v79, 1
	v_dual_cndmask_b32 v6, v8, v6 :: v_dual_cndmask_b32 v5, v7, v5
	s_delay_alu instid0(VALU_DEP_2) | instskip(SKIP_1) | instid1(VALU_DEP_2)
	v_cmp_gt_i32_e64 s1, 0, v12
	s_wait_dscnt 0x0
	v_add_nc_u32_e32 v6, v9, v6
	s_delay_alu instid0(VALU_DEP_3) | instskip(SKIP_2) | instid1(VALU_DEP_1)
	v_add_nc_u32_e32 v5, v10, v5
	s_wait_alu 0xf1ff
	v_cndmask_b32_e64 v8, v12, v79, s1
	v_lshlrev_b32_e32 v7, 2, v8
	ds_bpermute_b32 v12, v7, v6
	ds_bpermute_b32 v25, v7, v5
	ds_load_b64 v[5:6], v11 offset:56
	s_and_saveexec_b32 s1, s2
	s_cbranch_execz .LBB358_149
; %bb.148:
	s_add_nc_u64 s[4:5], s[36:37], 0x200
	v_dual_mov_b32 v7, 2 :: v_dual_mov_b32 v8, 0
	s_wait_alu 0xfffe
	v_dual_mov_b32 v27, s5 :: v_dual_mov_b32 v26, s4
	s_wait_dscnt 0x0
	;;#ASMSTART
	global_store_b128 v[26:27], v[5:8] off scope:SCOPE_DEV	
s_wait_storecnt 0x0
	;;#ASMEND
.LBB358_149:
	s_wait_alu 0xfffe
	s_or_b32 exec_lo, exec_lo, s1
	s_wait_dscnt 0x1
	v_cndmask_b32_e64 v7, v25, v10, s0
	v_cndmask_b32_e64 v9, v12, v9, s0
	v_mov_b32_e32 v8, 0
	s_wait_loadcnt_dscnt 0x0
	s_barrier_signal -1
	v_cndmask_b32_e64 v29, v7, 0, s2
	v_cndmask_b32_e64 v86, v9, 0, s2
	v_mov_b32_e32 v7, 0
	s_barrier_wait -1
	global_inv scope:SCOPE_SE
.LBB358_150:
	v_lshrrev_b32_e32 v81, 8, v54
	s_wait_dscnt 0x0
	v_add_co_u32 v1, vcc_lo, v1, v7
	s_wait_alu 0xfffd
	v_add_co_ci_u32_e64 v2, null, 0, v2, vcc_lo
	v_and_b32_e32 v81, 1, v81
	v_sub_co_u32 v84, vcc_lo, v3, v5
	s_wait_alu 0xfffd
	v_subrev_co_ci_u32_e64 v85, null, 0, v4, vcc_lo
	s_delay_alu instid0(VALU_DEP_3)
	v_cmp_eq_u32_e32 vcc_lo, 1, v81
	v_add_nc_u32_e32 v78, v29, v78
	v_sub_nc_u32_e32 v29, v29, v8
	v_lshlrev_b32_e32 v87, 1, v5
	v_lshrrev_b32_e32 v79, 16, v54
	v_lshrrev_b32_e32 v80, 8, v47
	v_add_nc_u32_e32 v75, v78, v75
	v_sub_nc_u32_e32 v78, v78, v8
	v_add_nc_u32_e32 v29, v29, v5
	v_add3_u32 v90, v87, v6, v46
	v_and_b32_e32 v79, 1, v79
	v_lshrrev_b32_e32 v30, 16, v47
	v_add_nc_u32_e32 v78, v78, v5
	v_add_nc_u32_e32 v77, v86, v77
	v_sub_nc_u32_e32 v86, v86, v7
	v_and_b32_e32 v47, 1, v47
	v_and_b32_e32 v80, 1, v80
	;; [unrolled: 1-line block ×3, first 2 shown]
	v_add_nc_u32_e32 v74, v77, v74
	v_sub_nc_u32_e32 v77, v77, v7
	v_add_nc_u32_e32 v46, v86, v29
	v_lshrrev_b32_e32 v28, 8, v48
	v_lshrrev_b32_e32 v27, 16, v48
	v_and_b32_e32 v48, 1, v48
	v_add_nc_u32_e32 v91, v78, v77
	v_sub_nc_u32_e32 v46, v90, v46
	v_and_b32_e32 v28, 1, v28
	v_lshrrev_b32_e32 v25, 16, v49
	v_lshrrev_b32_e32 v26, 8, v49
	v_sub_nc_u32_e32 v91, v90, v91
	s_wait_alu 0xfffd
	v_cndmask_b32_e32 v29, v46, v29, vcc_lo
	v_cmp_eq_u32_e32 vcc_lo, 1, v79
	v_lshrrev_b32_e32 v12, 8, v51
	v_and_b32_e32 v26, 1, v26
	v_add_nc_u32_e32 v91, 1, v91
	v_lshrrev_b32_e32 v10, 16, v51
	v_lshrrev_b32_e32 v11, 8, v52
	v_and_b32_e32 v12, 1, v12
	v_lshrrev_b32_e32 v9, 16, v52
	s_wait_alu 0xfffd
	v_cndmask_b32_e32 v46, v91, v78, vcc_lo
	v_cmp_eq_u32_e32 vcc_lo, 1, v47
	v_add_nc_u32_e32 v82, v75, v60
	v_sub_nc_u32_e32 v75, v75, v8
	v_and_b32_e32 v60, 1, v60
	v_and_b32_e32 v10, 1, v10
	s_wait_alu 0xfffd
	v_cndmask_b32_e32 v29, v29, v86, vcc_lo
	v_cmp_eq_u32_e32 vcc_lo, 1, v80
	v_add_nc_u32_e32 v75, v75, v5
	v_sub_nc_u32_e32 v80, v82, v8
	v_and_b32_e32 v11, 1, v11
	v_lshlrev_b32_e32 v29, 2, v29
	s_wait_alu 0xfffd
	v_cndmask_b32_e32 v77, v46, v77, vcc_lo
	v_add_nc_u32_e32 v76, v74, v76
	v_sub_nc_u32_e32 v74, v74, v7
	v_add_co_u32 v46, vcc_lo, v84, v8
	s_wait_alu 0xfffd
	v_add_co_ci_u32_e64 v47, null, 0, v85, vcc_lo
	s_delay_alu instid0(VALU_DEP_3)
	v_add_nc_u32_e32 v79, v75, v74
	v_cmp_eq_u32_e32 vcc_lo, 1, v60
	v_add_nc_u32_e32 v83, v76, v59
	v_lshlrev_b32_e32 v77, 2, v77
	ds_store_b32 v29, v23
	ds_store_b32 v77, v24
	v_sub_nc_u32_e32 v79, v90, v79
	v_and_b32_e32 v9, 1, v9
	s_delay_alu instid0(VALU_DEP_2) | instskip(SKIP_1) | instid1(VALU_DEP_1)
	v_add_nc_u32_e32 v79, 2, v79
	s_wait_alu 0xfffd
	v_dual_cndmask_b32 v60, v79, v75 :: v_dual_add_nc_u32 v73, v82, v73
	s_delay_alu instid0(VALU_DEP_1)
	v_add_nc_u32_e32 v72, v73, v72
	v_sub_nc_u32_e32 v75, v76, v7
	v_sub_nc_u32_e32 v73, v73, v8
	v_add_nc_u32_e32 v76, v80, v5
	v_cmp_eq_u32_e32 vcc_lo, 1, v30
	s_wait_alu 0xfffd
	s_delay_alu instid0(VALU_DEP_3)
	v_dual_cndmask_b32 v30, v60, v74 :: v_dual_add_nc_u32 v73, v73, v5
	v_sub_nc_u32_e32 v60, v83, v7
	v_add_nc_u32_e32 v74, v75, v76
	v_cmp_eq_u32_e32 vcc_lo, 1, v48
	v_and_b32_e32 v48, 1, v49
	v_lshlrev_b32_e32 v23, 2, v30
	v_add_nc_u32_e32 v24, v60, v73
	v_sub_nc_u32_e32 v29, v90, v74
	v_and_b32_e32 v30, 1, v59
	v_sub_nc_u32_e32 v59, v72, v8
	ds_store_b32 v23, v21
	v_sub_nc_u32_e32 v24, v90, v24
	v_add_nc_u32_e32 v29, 3, v29
	v_and_b32_e32 v23, 1, v27
	v_add_nc_u32_e32 v59, v59, v5
	s_delay_alu instid0(VALU_DEP_4)
	v_add_nc_u32_e32 v24, 4, v24
	s_wait_alu 0xfffd
	v_cndmask_b32_e32 v29, v29, v76, vcc_lo
	v_cmp_eq_u32_e32 vcc_lo, 1, v28
	s_wait_alu 0xfffd
	v_dual_cndmask_b32 v24, v24, v73 :: v_dual_add_nc_u32 v71, v83, v71
	s_delay_alu instid0(VALU_DEP_1) | instskip(SKIP_2) | instid1(VALU_DEP_3)
	v_add_nc_u32_e32 v69, v71, v69
	v_sub_nc_u32_e32 v71, v71, v7
	v_cmp_eq_u32_e32 vcc_lo, 1, v30
	v_add_nc_u32_e32 v65, v69, v65
	s_delay_alu instid0(VALU_DEP_3)
	v_add_nc_u32_e32 v49, v71, v59
	s_wait_alu 0xfffd
	v_cndmask_b32_e32 v28, v29, v75, vcc_lo
	v_cmp_eq_u32_e32 vcc_lo, 1, v48
	v_add_nc_u32_e32 v89, v65, v57
	v_sub_nc_u32_e32 v29, v90, v49
	s_delay_alu instid0(VALU_DEP_4)
	v_lshlrev_b32_e32 v21, 2, v28
	s_wait_alu 0xfffd
	v_cndmask_b32_e32 v24, v24, v60, vcc_lo
	v_cmp_eq_u32_e32 vcc_lo, 1, v23
	v_sub_nc_u32_e32 v48, v89, v7
	v_add_nc_u32_e32 v27, 5, v29
	v_add_nc_u32_e32 v66, v89, v66
	v_lshlrev_b32_e32 v24, 2, v24
	ds_store_b32 v21, v22
	ds_store_b32 v24, v19
	s_wait_alu 0xfffd
	v_cndmask_b32_e32 v23, v27, v59, vcc_lo
	v_cmp_eq_u32_e32 vcc_lo, 1, v26
	v_sub_nc_u32_e32 v27, v69, v7
	v_sub_nc_u32_e32 v26, v65, v7
	v_and_b32_e32 v24, 1, v58
	v_add_nc_u32_e32 v63, v66, v63
	s_wait_alu 0xfffd
	v_dual_cndmask_b32 v23, v23, v71 :: v_dual_add_nc_u32 v70, v72, v70
	s_delay_alu instid0(VALU_DEP_3) | instskip(SKIP_1) | instid1(VALU_DEP_3)
	v_cmp_eq_u32_e32 vcc_lo, 1, v24
	v_and_b32_e32 v24, 1, v57
	v_lshlrev_b32_e32 v19, 2, v23
	s_delay_alu instid0(VALU_DEP_4) | instskip(SKIP_3) | instid1(VALU_DEP_4)
	v_add_nc_u32_e32 v88, v70, v58
	v_sub_nc_u32_e32 v28, v70, v8
	v_and_b32_e32 v23, 1, v25
	v_add_nc_u32_e32 v62, v63, v62
	v_sub_nc_u32_e32 v29, v88, v8
	s_delay_alu instid0(VALU_DEP_4) | instskip(SKIP_1) | instid1(VALU_DEP_4)
	v_add_nc_u32_e32 v28, v28, v5
	v_add_nc_u32_e32 v68, v88, v68
	;; [unrolled: 1-line block ×3, first 2 shown]
	s_delay_alu instid0(VALU_DEP_4) | instskip(NEXT) | instid1(VALU_DEP_4)
	v_add_nc_u32_e32 v29, v29, v5
	v_add_nc_u32_e32 v30, v27, v28
	s_delay_alu instid0(VALU_DEP_4) | instskip(SKIP_1) | instid1(VALU_DEP_4)
	v_sub_nc_u32_e32 v25, v68, v8
	v_add_nc_u32_e32 v67, v68, v67
	v_add_nc_u32_e32 v21, v26, v29
	s_delay_alu instid0(VALU_DEP_4)
	v_sub_nc_u32_e32 v22, v90, v30
	v_and_b32_e32 v30, 1, v51
	v_add_nc_u32_e32 v25, v25, v5
	v_add_nc_u32_e32 v64, v67, v64
	v_sub_nc_u32_e32 v21, v90, v21
	v_add_nc_u32_e32 v22, 6, v22
	s_delay_alu instid0(VALU_DEP_3) | instskip(SKIP_1) | instid1(VALU_DEP_2)
	v_add_nc_u32_e32 v92, v64, v56
	s_wait_alu 0xfffd
	v_dual_cndmask_b32 v22, v22, v28 :: v_dual_add_nc_u32 v21, 7, v21
	v_cmp_eq_u32_e32 vcc_lo, 1, v30
	v_add_nc_u32_e32 v28, v48, v25
	v_add_nc_u32_e32 v61, v92, v61
	s_wait_alu 0xfffd
	v_cndmask_b32_e32 v21, v21, v29, vcc_lo
	v_cmp_eq_u32_e32 vcc_lo, 1, v23
	v_sub_nc_u32_e32 v23, v90, v28
	s_wait_alu 0xfffd
	v_cndmask_b32_e32 v22, v22, v27, vcc_lo
	v_cmp_eq_u32_e32 vcc_lo, 1, v24
	v_sub_nc_u32_e32 v24, v67, v8
	v_add_nc_u32_e32 v23, 8, v23
	v_sub_nc_u32_e32 v27, v66, v7
	v_lshlrev_b32_e32 v22, 2, v22
	s_wait_alu 0xfffd
	v_dual_cndmask_b32 v21, v21, v26 :: v_dual_add_nc_u32 v24, v24, v5
	v_cmp_eq_u32_e32 vcc_lo, 1, v12
	v_and_b32_e32 v26, 1, v52
	s_delay_alu instid0(VALU_DEP_3)
	v_lshlrev_b32_e32 v21, 2, v21
	ds_store_b32 v19, v20
	ds_store_b32 v22, v17
	;; [unrolled: 1-line block ×3, first 2 shown]
	s_wait_alu 0xfffd
	v_cndmask_b32_e32 v12, v23, v25, vcc_lo
	v_add_nc_u32_e32 v23, v27, v24
	v_cmp_eq_u32_e32 vcc_lo, 1, v26
	v_sub_nc_u32_e32 v18, v64, v8
	v_sub_nc_u32_e32 v19, v63, v7
	;; [unrolled: 1-line block ×4, first 2 shown]
	s_wait_alu 0xfffd
	v_cndmask_b32_e32 v12, v12, v48, vcc_lo
	v_add_nc_u32_e32 v18, v18, v5
	v_cmp_eq_u32_e32 vcc_lo, 1, v10
	v_add_nc_u32_e32 v20, v20, v5
	v_add_nc_u32_e32 v17, 9, v17
	v_lshlrev_b32_e32 v12, 2, v12
	v_add_nc_u32_e32 v21, v19, v18
	v_and_b32_e32 v22, 1, v50
	s_wait_alu 0xfffd
	v_cndmask_b32_e32 v10, v17, v24, vcc_lo
	v_sub_nc_u32_e32 v17, v62, v7
	ds_store_b32 v12, v15
	v_cmp_eq_u32_e32 vcc_lo, 1, v11
	v_sub_nc_u32_e32 v12, v90, v21
	v_and_b32_e32 v15, 1, v56
	v_add_nc_u32_e32 v11, v17, v20
	v_sub_nc_u32_e32 v21, v61, v8
	s_wait_alu 0xfffd
	v_cndmask_b32_e32 v10, v10, v27, vcc_lo
	v_add_nc_u32_e32 v12, 10, v12
	v_cmp_eq_u32_e32 vcc_lo, 1, v15
	v_sub_nc_u32_e32 v11, v90, v11
	v_sub_nc_u32_e32 v7, v78, v7
	v_add_nc_u32_e32 v21, v21, v5
	s_wait_alu 0xfffd
	v_dual_cndmask_b32 v12, v12, v18 :: v_dual_and_b32 v15, 1, v55
	v_add_nc_u32_e32 v11, 11, v11
	v_cmp_eq_u32_e32 vcc_lo, 1, v22
	v_add_nc_u32_e32 v18, v7, v21
	s_wait_alu 0xfffd
	s_delay_alu instid0(VALU_DEP_3)
	v_dual_cndmask_b32 v11, v11, v20 :: v_dual_lshlrev_b32 v10, 2, v10
	v_cmp_eq_u32_e32 vcc_lo, 1, v9
	s_wait_alu 0xfffd
	v_cndmask_b32_e32 v9, v12, v19, vcc_lo
	v_cmp_eq_u32_e32 vcc_lo, 1, v15
	v_sub_nc_u32_e32 v12, v90, v18
	v_and_b32_e32 v15, 1, v53
	s_delay_alu instid0(VALU_DEP_4) | instskip(SKIP_1) | instid1(VALU_DEP_3)
	v_lshlrev_b32_e32 v9, 2, v9
	s_wait_alu 0xfffd
	v_dual_cndmask_b32 v11, v11, v17 :: v_dual_add_nc_u32 v12, 12, v12
	v_and_b32_e32 v17, 1, v54
	v_cmp_eq_u32_e32 vcc_lo, 1, v15
	s_delay_alu instid0(VALU_DEP_3)
	v_lshlrev_b32_e32 v11, 2, v11
	ds_store_b32 v10, v16
	ds_store_b32 v9, v13
	;; [unrolled: 1-line block ×3, first 2 shown]
	s_wait_alu 0xfffd
	v_cndmask_b32_e32 v12, v12, v21, vcc_lo
	v_cmp_eq_u32_e32 vcc_lo, 1, v17
	v_add_co_u32 v9, s0, v6, v87
	s_wait_alu 0xf1ff
	v_add_co_ci_u32_e64 v10, null, 0, 0, s0
	s_wait_alu 0xfffd
	v_cndmask_b32_e32 v7, v12, v7, vcc_lo
	v_add_co_u32 v9, vcc_lo, v9, v46
	s_wait_alu 0xfffd
	v_add_co_ci_u32_e64 v10, null, v10, v47, vcc_lo
	s_delay_alu instid0(VALU_DEP_3)
	v_lshlrev_b32_e32 v7, 2, v7
	v_add_co_u32 v11, s0, s34, v43
	v_add_co_u32 v9, vcc_lo, v9, v1
	s_wait_alu 0xf1ff
	v_add_co_ci_u32_e64 v12, null, s35, 0, s0
	s_wait_alu 0xfffd
	v_add_co_ci_u32_e64 v10, null, v10, v2, vcc_lo
	ds_store_b32 v7, v45
	v_sub_co_u32 v7, vcc_lo, v11, v9
	s_wait_alu 0xfffd
	v_sub_co_ci_u32_e64 v13, null, v12, v10, vcc_lo
	v_lshlrev_b64_e32 v[9:10], 2, v[46:47]
	v_lshlrev_b64_e32 v[11:12], 2, v[1:2]
	v_add_nc_u32_e32 v14, v5, v6
	s_wait_loadcnt_dscnt 0x0
	s_barrier_signal -1
	s_barrier_wait -1
	v_add_co_u32 v9, vcc_lo, s30, v9
	s_wait_alu 0xfffd
	v_add_co_ci_u32_e64 v10, null, s31, v10, vcc_lo
	v_cmp_ne_u32_e32 vcc_lo, 1, v44
	v_add_co_u32 v11, s0, s28, v11
	s_wait_alu 0xf1ff
	v_add_co_ci_u32_e64 v12, null, s29, v12, s0
	s_mov_b32 s0, -1
	global_inv scope:SCOPE_SE
	s_cbranch_vccz .LBB358_154
; %bb.151:
	s_wait_alu 0xfffe
	s_and_b32 vcc_lo, exec_lo, s0
	s_wait_alu 0xfffe
	s_cbranch_vccnz .LBB358_259
.LBB358_152:
	s_and_b32 s0, s2, s26
	s_wait_alu 0xfffe
	s_and_saveexec_b32 s1, s0
	s_cbranch_execnz .LBB358_377
.LBB358_153:
	s_nop 0
	s_sendmsg sendmsg(MSG_DEALLOC_VGPRS)
	s_endpgm
.LBB358_154:
	s_mov_b32 s0, exec_lo
	v_cmpx_ge_u32_e64 v0, v5
	s_wait_alu 0xfffe
	s_xor_b32 s0, exec_lo, s0
	s_cbranch_execz .LBB358_160
; %bb.155:
	s_mov_b32 s1, exec_lo
	v_cmpx_ge_u32_e64 v0, v14
	s_wait_alu 0xfffe
	s_xor_b32 s1, exec_lo, s1
	s_cbranch_execz .LBB358_157
; %bb.156:
	v_lshlrev_b32_e32 v15, 2, v0
	ds_load_b32 v17, v15
	v_add_co_u32 v15, vcc_lo, v7, v0
	s_wait_alu 0xfffd
	v_add_co_ci_u32_e64 v16, null, 0, v13, vcc_lo
	s_delay_alu instid0(VALU_DEP_1) | instskip(NEXT) | instid1(VALU_DEP_1)
	v_lshlrev_b64_e32 v[15:16], 2, v[15:16]
	v_sub_co_u32 v15, vcc_lo, s14, v15
	s_wait_alu 0xfffd
	s_delay_alu instid0(VALU_DEP_2)
	v_sub_co_ci_u32_e64 v16, null, s15, v16, vcc_lo
	s_wait_dscnt 0x0
	global_store_b32 v[15:16], v17, off offset:-4
.LBB358_157:
	s_wait_alu 0xfffe
	s_and_not1_saveexec_b32 s1, s1
	s_cbranch_execz .LBB358_159
; %bb.158:
	v_lshlrev_b32_e32 v15, 2, v0
	v_readfirstlane_b32 s4, v9
	v_readfirstlane_b32 s5, v10
	ds_load_b32 v16, v15
	s_wait_dscnt 0x0
	global_store_b32 v15, v16, s[4:5]
.LBB358_159:
	s_wait_alu 0xfffe
	s_or_b32 exec_lo, exec_lo, s1
.LBB358_160:
	s_wait_alu 0xfffe
	s_and_not1_saveexec_b32 s0, s0
	s_cbranch_execz .LBB358_162
; %bb.161:
	v_lshlrev_b32_e32 v15, 2, v0
	v_readfirstlane_b32 s4, v11
	v_readfirstlane_b32 s5, v12
	ds_load_b32 v16, v15
	s_wait_dscnt 0x0
	global_store_b32 v15, v16, s[4:5]
.LBB358_162:
	s_wait_alu 0xfffe
	s_or_b32 exec_lo, exec_lo, s0
	s_delay_alu instid0(SALU_CYCLE_1)
	s_mov_b32 s0, exec_lo
	v_cmpx_ge_u32_e64 v42, v5
	s_wait_alu 0xfffe
	s_xor_b32 s0, exec_lo, s0
	s_cbranch_execz .LBB358_168
; %bb.163:
	s_mov_b32 s1, exec_lo
	v_cmpx_ge_u32_e64 v42, v14
	s_wait_alu 0xfffe
	s_xor_b32 s1, exec_lo, s1
	s_cbranch_execz .LBB358_165
; %bb.164:
	v_lshlrev_b32_e32 v15, 2, v0
	ds_load_b32 v17, v15 offset:1024
	v_add_co_u32 v15, vcc_lo, v7, v0
	s_wait_alu 0xfffd
	v_add_co_ci_u32_e64 v16, null, 0, v13, vcc_lo
	s_delay_alu instid0(VALU_DEP_1) | instskip(NEXT) | instid1(VALU_DEP_1)
	v_lshlrev_b64_e32 v[15:16], 2, v[15:16]
	v_sub_co_u32 v15, vcc_lo, s14, v15
	s_wait_alu 0xfffd
	s_delay_alu instid0(VALU_DEP_2)
	v_sub_co_ci_u32_e64 v16, null, s15, v16, vcc_lo
	s_wait_dscnt 0x0
	global_store_b32 v[15:16], v17, off offset:-1028
.LBB358_165:
	s_wait_alu 0xfffe
	s_and_not1_saveexec_b32 s1, s1
	s_cbranch_execz .LBB358_167
; %bb.166:
	v_lshlrev_b32_e32 v15, 2, v0
	v_readfirstlane_b32 s4, v9
	v_readfirstlane_b32 s5, v10
	ds_load_b32 v16, v15 offset:1024
	s_wait_dscnt 0x0
	global_store_b32 v15, v16, s[4:5] offset:1024
.LBB358_167:
	s_wait_alu 0xfffe
	s_or_b32 exec_lo, exec_lo, s1
.LBB358_168:
	s_wait_alu 0xfffe
	s_and_not1_saveexec_b32 s0, s0
	s_cbranch_execz .LBB358_170
; %bb.169:
	v_lshlrev_b32_e32 v15, 2, v0
	v_readfirstlane_b32 s4, v11
	v_readfirstlane_b32 s5, v12
	ds_load_b32 v16, v15 offset:1024
	s_wait_dscnt 0x0
	global_store_b32 v15, v16, s[4:5] offset:1024
.LBB358_170:
	s_wait_alu 0xfffe
	s_or_b32 exec_lo, exec_lo, s0
	s_delay_alu instid0(SALU_CYCLE_1)
	s_mov_b32 s0, exec_lo
	v_cmpx_ge_u32_e64 v41, v5
	s_wait_alu 0xfffe
	s_xor_b32 s0, exec_lo, s0
	s_cbranch_execz .LBB358_176
; %bb.171:
	s_mov_b32 s1, exec_lo
	v_cmpx_ge_u32_e64 v41, v14
	s_wait_alu 0xfffe
	s_xor_b32 s1, exec_lo, s1
	s_cbranch_execz .LBB358_173
; %bb.172:
	v_lshlrev_b32_e32 v15, 2, v0
	ds_load_b32 v17, v15 offset:2048
	v_add_co_u32 v15, vcc_lo, v7, v0
	s_wait_alu 0xfffd
	v_add_co_ci_u32_e64 v16, null, 0, v13, vcc_lo
	s_delay_alu instid0(VALU_DEP_1) | instskip(NEXT) | instid1(VALU_DEP_1)
	v_lshlrev_b64_e32 v[15:16], 2, v[15:16]
	v_sub_co_u32 v15, vcc_lo, s14, v15
	s_wait_alu 0xfffd
	s_delay_alu instid0(VALU_DEP_2)
	v_sub_co_ci_u32_e64 v16, null, s15, v16, vcc_lo
	s_wait_dscnt 0x0
	global_store_b32 v[15:16], v17, off offset:-2052
.LBB358_173:
	s_wait_alu 0xfffe
	s_and_not1_saveexec_b32 s1, s1
	s_cbranch_execz .LBB358_175
; %bb.174:
	v_lshlrev_b32_e32 v15, 2, v0
	v_readfirstlane_b32 s4, v9
	v_readfirstlane_b32 s5, v10
	ds_load_b32 v16, v15 offset:2048
	s_wait_dscnt 0x0
	global_store_b32 v15, v16, s[4:5] offset:2048
.LBB358_175:
	s_wait_alu 0xfffe
	s_or_b32 exec_lo, exec_lo, s1
.LBB358_176:
	s_wait_alu 0xfffe
	s_and_not1_saveexec_b32 s0, s0
	s_cbranch_execz .LBB358_178
; %bb.177:
	v_lshlrev_b32_e32 v15, 2, v0
	v_readfirstlane_b32 s4, v11
	v_readfirstlane_b32 s5, v12
	ds_load_b32 v16, v15 offset:2048
	s_wait_dscnt 0x0
	global_store_b32 v15, v16, s[4:5] offset:2048
.LBB358_178:
	;; [unrolled: 54-line block ×12, first 2 shown]
	s_wait_alu 0xfffe
	s_or_b32 exec_lo, exec_lo, s0
	s_branch .LBB358_152
.LBB358_259:
	s_mov_b32 s0, exec_lo
	v_cmpx_gt_u32_e64 s27, v0
	s_cbranch_execz .LBB358_268
; %bb.260:
	s_mov_b32 s1, exec_lo
	v_cmpx_ge_u32_e64 v0, v5
	s_wait_alu 0xfffe
	s_xor_b32 s1, exec_lo, s1
	s_cbranch_execz .LBB358_266
; %bb.261:
	s_mov_b32 s3, exec_lo
	v_cmpx_ge_u32_e64 v0, v14
	s_wait_alu 0xfffe
	s_xor_b32 s3, exec_lo, s3
	s_cbranch_execz .LBB358_263
; %bb.262:
	v_lshlrev_b32_e32 v15, 2, v0
	ds_load_b32 v17, v15
	v_add_co_u32 v15, vcc_lo, v7, v0
	s_wait_alu 0xfffd
	v_add_co_ci_u32_e64 v16, null, 0, v13, vcc_lo
	s_delay_alu instid0(VALU_DEP_1) | instskip(NEXT) | instid1(VALU_DEP_1)
	v_lshlrev_b64_e32 v[15:16], 2, v[15:16]
	v_sub_co_u32 v15, vcc_lo, s14, v15
	s_wait_alu 0xfffd
	s_delay_alu instid0(VALU_DEP_2)
	v_sub_co_ci_u32_e64 v16, null, s15, v16, vcc_lo
	s_wait_dscnt 0x0
	global_store_b32 v[15:16], v17, off offset:-4
.LBB358_263:
	s_wait_alu 0xfffe
	s_and_not1_saveexec_b32 s3, s3
	s_cbranch_execz .LBB358_265
; %bb.264:
	v_lshlrev_b32_e32 v15, 2, v0
	v_readfirstlane_b32 s4, v9
	v_readfirstlane_b32 s5, v10
	ds_load_b32 v16, v15
	s_wait_dscnt 0x0
	global_store_b32 v15, v16, s[4:5]
.LBB358_265:
	s_wait_alu 0xfffe
	s_or_b32 exec_lo, exec_lo, s3
.LBB358_266:
	s_wait_alu 0xfffe
	s_and_not1_saveexec_b32 s1, s1
	s_cbranch_execz .LBB358_268
; %bb.267:
	v_lshlrev_b32_e32 v15, 2, v0
	v_readfirstlane_b32 s4, v11
	v_readfirstlane_b32 s5, v12
	ds_load_b32 v16, v15
	s_wait_dscnt 0x0
	global_store_b32 v15, v16, s[4:5]
.LBB358_268:
	s_wait_alu 0xfffe
	s_or_b32 exec_lo, exec_lo, s0
	s_delay_alu instid0(SALU_CYCLE_1)
	s_mov_b32 s0, exec_lo
	v_cmpx_gt_u32_e64 s27, v42
	s_cbranch_execz .LBB358_277
; %bb.269:
	s_mov_b32 s1, exec_lo
	v_cmpx_ge_u32_e64 v42, v5
	s_wait_alu 0xfffe
	s_xor_b32 s1, exec_lo, s1
	s_cbranch_execz .LBB358_275
; %bb.270:
	s_mov_b32 s3, exec_lo
	v_cmpx_ge_u32_e64 v42, v14
	s_wait_alu 0xfffe
	s_xor_b32 s3, exec_lo, s3
	s_cbranch_execz .LBB358_272
; %bb.271:
	v_lshlrev_b32_e32 v15, 2, v0
	ds_load_b32 v17, v15 offset:1024
	v_add_co_u32 v15, vcc_lo, v7, v0
	s_wait_alu 0xfffd
	v_add_co_ci_u32_e64 v16, null, 0, v13, vcc_lo
	s_delay_alu instid0(VALU_DEP_1) | instskip(NEXT) | instid1(VALU_DEP_1)
	v_lshlrev_b64_e32 v[15:16], 2, v[15:16]
	v_sub_co_u32 v15, vcc_lo, s14, v15
	s_wait_alu 0xfffd
	s_delay_alu instid0(VALU_DEP_2)
	v_sub_co_ci_u32_e64 v16, null, s15, v16, vcc_lo
	s_wait_dscnt 0x0
	global_store_b32 v[15:16], v17, off offset:-1028
.LBB358_272:
	s_wait_alu 0xfffe
	s_and_not1_saveexec_b32 s3, s3
	s_cbranch_execz .LBB358_274
; %bb.273:
	v_lshlrev_b32_e32 v15, 2, v0
	v_readfirstlane_b32 s4, v9
	v_readfirstlane_b32 s5, v10
	ds_load_b32 v16, v15 offset:1024
	s_wait_dscnt 0x0
	global_store_b32 v15, v16, s[4:5] offset:1024
.LBB358_274:
	s_wait_alu 0xfffe
	s_or_b32 exec_lo, exec_lo, s3
.LBB358_275:
	s_wait_alu 0xfffe
	s_and_not1_saveexec_b32 s1, s1
	s_cbranch_execz .LBB358_277
; %bb.276:
	v_lshlrev_b32_e32 v15, 2, v0
	v_readfirstlane_b32 s4, v11
	v_readfirstlane_b32 s5, v12
	ds_load_b32 v16, v15 offset:1024
	s_wait_dscnt 0x0
	global_store_b32 v15, v16, s[4:5] offset:1024
.LBB358_277:
	s_wait_alu 0xfffe
	s_or_b32 exec_lo, exec_lo, s0
	s_delay_alu instid0(SALU_CYCLE_1)
	s_mov_b32 s0, exec_lo
	v_cmpx_gt_u32_e64 s27, v41
	s_cbranch_execz .LBB358_286
; %bb.278:
	s_mov_b32 s1, exec_lo
	v_cmpx_ge_u32_e64 v41, v5
	s_wait_alu 0xfffe
	s_xor_b32 s1, exec_lo, s1
	s_cbranch_execz .LBB358_284
; %bb.279:
	s_mov_b32 s3, exec_lo
	v_cmpx_ge_u32_e64 v41, v14
	s_wait_alu 0xfffe
	s_xor_b32 s3, exec_lo, s3
	s_cbranch_execz .LBB358_281
; %bb.280:
	v_lshlrev_b32_e32 v15, 2, v0
	ds_load_b32 v17, v15 offset:2048
	v_add_co_u32 v15, vcc_lo, v7, v0
	s_wait_alu 0xfffd
	v_add_co_ci_u32_e64 v16, null, 0, v13, vcc_lo
	s_delay_alu instid0(VALU_DEP_1) | instskip(NEXT) | instid1(VALU_DEP_1)
	v_lshlrev_b64_e32 v[15:16], 2, v[15:16]
	v_sub_co_u32 v15, vcc_lo, s14, v15
	s_wait_alu 0xfffd
	s_delay_alu instid0(VALU_DEP_2)
	v_sub_co_ci_u32_e64 v16, null, s15, v16, vcc_lo
	s_wait_dscnt 0x0
	global_store_b32 v[15:16], v17, off offset:-2052
.LBB358_281:
	s_wait_alu 0xfffe
	s_and_not1_saveexec_b32 s3, s3
	s_cbranch_execz .LBB358_283
; %bb.282:
	v_lshlrev_b32_e32 v15, 2, v0
	v_readfirstlane_b32 s4, v9
	v_readfirstlane_b32 s5, v10
	ds_load_b32 v16, v15 offset:2048
	s_wait_dscnt 0x0
	global_store_b32 v15, v16, s[4:5] offset:2048
.LBB358_283:
	s_wait_alu 0xfffe
	s_or_b32 exec_lo, exec_lo, s3
.LBB358_284:
	s_wait_alu 0xfffe
	s_and_not1_saveexec_b32 s1, s1
	s_cbranch_execz .LBB358_286
; %bb.285:
	v_lshlrev_b32_e32 v15, 2, v0
	v_readfirstlane_b32 s4, v11
	v_readfirstlane_b32 s5, v12
	ds_load_b32 v16, v15 offset:2048
	s_wait_dscnt 0x0
	global_store_b32 v15, v16, s[4:5] offset:2048
.LBB358_286:
	;; [unrolled: 58-line block ×11, first 2 shown]
	s_wait_alu 0xfffe
	s_or_b32 exec_lo, exec_lo, s0
	s_delay_alu instid0(SALU_CYCLE_1)
	s_mov_b32 s0, exec_lo
	v_cmpx_gt_u32_e64 s27, v31
	s_cbranch_execz .LBB358_376
; %bb.368:
	s_mov_b32 s1, exec_lo
	v_cmpx_ge_u32_e64 v31, v5
	s_wait_alu 0xfffe
	s_xor_b32 s1, exec_lo, s1
	s_cbranch_execz .LBB358_374
; %bb.369:
	s_mov_b32 s3, exec_lo
	v_cmpx_ge_u32_e64 v31, v14
	s_wait_alu 0xfffe
	s_xor_b32 s3, exec_lo, s3
	s_cbranch_execz .LBB358_371
; %bb.370:
	v_lshlrev_b32_e32 v9, 2, v0
	ds_load_b32 v11, v9 offset:12288
	v_add_co_u32 v9, vcc_lo, v7, v0
	s_wait_alu 0xfffd
	v_add_co_ci_u32_e64 v10, null, 0, v13, vcc_lo
                                        ; implicit-def: $vgpr0
	s_delay_alu instid0(VALU_DEP_1) | instskip(NEXT) | instid1(VALU_DEP_1)
	v_lshlrev_b64_e32 v[9:10], 2, v[9:10]
	v_sub_co_u32 v9, vcc_lo, s14, v9
	s_wait_alu 0xfffd
	s_delay_alu instid0(VALU_DEP_2)
	v_sub_co_ci_u32_e64 v10, null, s15, v10, vcc_lo
	s_wait_dscnt 0x0
	global_store_b32 v[9:10], v11, off offset:-12292
                                        ; implicit-def: $vgpr9_vgpr10
.LBB358_371:
	s_wait_alu 0xfffe
	s_and_not1_saveexec_b32 s3, s3
	s_cbranch_execz .LBB358_373
; %bb.372:
	v_lshlrev_b32_e32 v0, 2, v0
	v_readfirstlane_b32 s4, v9
	v_readfirstlane_b32 s5, v10
	ds_load_b32 v7, v0 offset:12288
	s_wait_dscnt 0x0
	global_store_b32 v0, v7, s[4:5] offset:12288
.LBB358_373:
	s_wait_alu 0xfffe
	s_or_b32 exec_lo, exec_lo, s3
                                        ; implicit-def: $vgpr0
                                        ; implicit-def: $vgpr11_vgpr12
.LBB358_374:
	s_wait_alu 0xfffe
	s_and_not1_saveexec_b32 s1, s1
	s_cbranch_execz .LBB358_376
; %bb.375:
	v_lshlrev_b32_e32 v0, 2, v0
	v_readfirstlane_b32 s4, v11
	v_readfirstlane_b32 s5, v12
	ds_load_b32 v7, v0 offset:12288
	s_wait_dscnt 0x0
	global_store_b32 v0, v7, s[4:5] offset:12288
.LBB358_376:
	s_wait_alu 0xfffe
	s_or_b32 exec_lo, exec_lo, s0
	s_and_b32 s0, s2, s26
	s_wait_alu 0xfffe
	s_and_saveexec_b32 s1, s0
	s_cbranch_execz .LBB358_153
.LBB358_377:
	v_add_co_u32 v0, vcc_lo, v3, v6
	s_wait_alu 0xfffd
	v_add_co_ci_u32_e64 v4, null, 0, v4, vcc_lo
	v_mov_b32_e32 v6, 0
	s_delay_alu instid0(VALU_DEP_3) | instskip(SKIP_1) | instid1(VALU_DEP_3)
	v_add_co_u32 v3, vcc_lo, v0, v8
	s_wait_alu 0xfffd
	v_add_co_ci_u32_e64 v4, null, 0, v4, vcc_lo
	v_add_co_u32 v1, vcc_lo, v1, v5
	s_wait_alu 0xfffd
	v_add_co_ci_u32_e64 v2, null, 0, v2, vcc_lo
	global_store_b128 v6, v[1:4], s[24:25]
	s_nop 0
	s_sendmsg sendmsg(MSG_DEALLOC_VGPRS)
	s_endpgm
.LBB358_378:
	s_add_co_i32 s6, s33, 32
	s_mov_b32 s7, 0
	v_dual_mov_b32 v11, 2 :: v_dual_add_nc_u32 v10, v8, v6
	s_wait_alu 0xfffe
	s_lshl_b64 s[6:7], s[6:7], 4
	v_dual_mov_b32 v12, 0 :: v_dual_add_nc_u32 v9, v7, v5
	s_wait_alu 0xfffe
	s_add_nc_u64 s[6:7], s[36:37], s[6:7]
	s_wait_alu 0xfffe
	v_dual_mov_b32 v28, s7 :: v_dual_mov_b32 v27, s6
	;;#ASMSTART
	global_store_b128 v[27:28], v[9:12] off scope:SCOPE_DEV	
s_wait_storecnt 0x0
	;;#ASMEND
	s_or_b32 exec_lo, exec_lo, s5
	s_and_saveexec_b32 s5, s3
	s_cbranch_execz .LBB358_138
.LBB358_379:
	v_mov_b32_e32 v9, 0
	ds_store_b128 v9, v[5:8] offset:13312
	s_wait_alu 0xfffe
	s_or_b32 exec_lo, exec_lo, s5
	s_delay_alu instid0(SALU_CYCLE_1)
	s_and_b32 exec_lo, exec_lo, s2
	s_cbranch_execnz .LBB358_139
	s_branch .LBB358_140
	.section	.rodata,"a",@progbits
	.p2align	6, 0x0
	.amdhsa_kernel _ZN7rocprim17ROCPRIM_400000_NS6detail17trampoline_kernelINS0_13select_configILj256ELj13ELNS0_17block_load_methodE3ELS4_3ELS4_3ELNS0_20block_scan_algorithmE0ELj4294967295EEENS1_25partition_config_selectorILNS1_17partition_subalgoE4EjNS0_10empty_typeEbEEZZNS1_14partition_implILS8_4ELb0ES6_15HIP_vector_typeIjLj2EENS0_17counting_iteratorIjlEEPS9_SG_NS0_5tupleIJPjSI_NS0_16reverse_iteratorISI_EEEEENSH_IJSG_SG_SG_EEES9_SI_JZNS1_25segmented_radix_sort_implINS0_14default_configELb0EPKaPaPKlPlN2at6native12_GLOBAL__N_18offset_tEEE10hipError_tPvRmT1_PNSt15iterator_traitsIS12_E10value_typeET2_T3_PNS13_IS18_E10value_typeET4_jRbjT5_S1E_jjP12ihipStream_tbEUljE_ZNSN_ISO_Lb0ESQ_SR_ST_SU_SY_EESZ_S10_S11_S12_S16_S17_S18_S1B_S1C_jS1D_jS1E_S1E_jjS1G_bEUljE0_EEESZ_S10_S11_S18_S1C_S1E_T6_T7_T9_mT8_S1G_bDpT10_ENKUlT_T0_E_clISt17integral_constantIbLb0EES1T_IbLb1EEEEDaS1P_S1Q_EUlS1P_E_NS1_11comp_targetILNS1_3genE10ELNS1_11target_archE1200ELNS1_3gpuE4ELNS1_3repE0EEENS1_30default_config_static_selectorELNS0_4arch9wavefront6targetE0EEEvS12_
		.amdhsa_group_segment_fixed_size 13328
		.amdhsa_private_segment_fixed_size 0
		.amdhsa_kernarg_size 184
		.amdhsa_user_sgpr_count 2
		.amdhsa_user_sgpr_dispatch_ptr 0
		.amdhsa_user_sgpr_queue_ptr 0
		.amdhsa_user_sgpr_kernarg_segment_ptr 1
		.amdhsa_user_sgpr_dispatch_id 0
		.amdhsa_user_sgpr_private_segment_size 0
		.amdhsa_wavefront_size32 1
		.amdhsa_uses_dynamic_stack 0
		.amdhsa_enable_private_segment 0
		.amdhsa_system_sgpr_workgroup_id_x 1
		.amdhsa_system_sgpr_workgroup_id_y 0
		.amdhsa_system_sgpr_workgroup_id_z 0
		.amdhsa_system_sgpr_workgroup_info 0
		.amdhsa_system_vgpr_workitem_id 0
		.amdhsa_next_free_vgpr 98
		.amdhsa_next_free_sgpr 55
		.amdhsa_reserve_vcc 1
		.amdhsa_float_round_mode_32 0
		.amdhsa_float_round_mode_16_64 0
		.amdhsa_float_denorm_mode_32 3
		.amdhsa_float_denorm_mode_16_64 3
		.amdhsa_fp16_overflow 0
		.amdhsa_workgroup_processor_mode 1
		.amdhsa_memory_ordered 1
		.amdhsa_forward_progress 1
		.amdhsa_inst_pref_size 151
		.amdhsa_round_robin_scheduling 0
		.amdhsa_exception_fp_ieee_invalid_op 0
		.amdhsa_exception_fp_denorm_src 0
		.amdhsa_exception_fp_ieee_div_zero 0
		.amdhsa_exception_fp_ieee_overflow 0
		.amdhsa_exception_fp_ieee_underflow 0
		.amdhsa_exception_fp_ieee_inexact 0
		.amdhsa_exception_int_div_zero 0
	.end_amdhsa_kernel
	.section	.text._ZN7rocprim17ROCPRIM_400000_NS6detail17trampoline_kernelINS0_13select_configILj256ELj13ELNS0_17block_load_methodE3ELS4_3ELS4_3ELNS0_20block_scan_algorithmE0ELj4294967295EEENS1_25partition_config_selectorILNS1_17partition_subalgoE4EjNS0_10empty_typeEbEEZZNS1_14partition_implILS8_4ELb0ES6_15HIP_vector_typeIjLj2EENS0_17counting_iteratorIjlEEPS9_SG_NS0_5tupleIJPjSI_NS0_16reverse_iteratorISI_EEEEENSH_IJSG_SG_SG_EEES9_SI_JZNS1_25segmented_radix_sort_implINS0_14default_configELb0EPKaPaPKlPlN2at6native12_GLOBAL__N_18offset_tEEE10hipError_tPvRmT1_PNSt15iterator_traitsIS12_E10value_typeET2_T3_PNS13_IS18_E10value_typeET4_jRbjT5_S1E_jjP12ihipStream_tbEUljE_ZNSN_ISO_Lb0ESQ_SR_ST_SU_SY_EESZ_S10_S11_S12_S16_S17_S18_S1B_S1C_jS1D_jS1E_S1E_jjS1G_bEUljE0_EEESZ_S10_S11_S18_S1C_S1E_T6_T7_T9_mT8_S1G_bDpT10_ENKUlT_T0_E_clISt17integral_constantIbLb0EES1T_IbLb1EEEEDaS1P_S1Q_EUlS1P_E_NS1_11comp_targetILNS1_3genE10ELNS1_11target_archE1200ELNS1_3gpuE4ELNS1_3repE0EEENS1_30default_config_static_selectorELNS0_4arch9wavefront6targetE0EEEvS12_,"axG",@progbits,_ZN7rocprim17ROCPRIM_400000_NS6detail17trampoline_kernelINS0_13select_configILj256ELj13ELNS0_17block_load_methodE3ELS4_3ELS4_3ELNS0_20block_scan_algorithmE0ELj4294967295EEENS1_25partition_config_selectorILNS1_17partition_subalgoE4EjNS0_10empty_typeEbEEZZNS1_14partition_implILS8_4ELb0ES6_15HIP_vector_typeIjLj2EENS0_17counting_iteratorIjlEEPS9_SG_NS0_5tupleIJPjSI_NS0_16reverse_iteratorISI_EEEEENSH_IJSG_SG_SG_EEES9_SI_JZNS1_25segmented_radix_sort_implINS0_14default_configELb0EPKaPaPKlPlN2at6native12_GLOBAL__N_18offset_tEEE10hipError_tPvRmT1_PNSt15iterator_traitsIS12_E10value_typeET2_T3_PNS13_IS18_E10value_typeET4_jRbjT5_S1E_jjP12ihipStream_tbEUljE_ZNSN_ISO_Lb0ESQ_SR_ST_SU_SY_EESZ_S10_S11_S12_S16_S17_S18_S1B_S1C_jS1D_jS1E_S1E_jjS1G_bEUljE0_EEESZ_S10_S11_S18_S1C_S1E_T6_T7_T9_mT8_S1G_bDpT10_ENKUlT_T0_E_clISt17integral_constantIbLb0EES1T_IbLb1EEEEDaS1P_S1Q_EUlS1P_E_NS1_11comp_targetILNS1_3genE10ELNS1_11target_archE1200ELNS1_3gpuE4ELNS1_3repE0EEENS1_30default_config_static_selectorELNS0_4arch9wavefront6targetE0EEEvS12_,comdat
.Lfunc_end358:
	.size	_ZN7rocprim17ROCPRIM_400000_NS6detail17trampoline_kernelINS0_13select_configILj256ELj13ELNS0_17block_load_methodE3ELS4_3ELS4_3ELNS0_20block_scan_algorithmE0ELj4294967295EEENS1_25partition_config_selectorILNS1_17partition_subalgoE4EjNS0_10empty_typeEbEEZZNS1_14partition_implILS8_4ELb0ES6_15HIP_vector_typeIjLj2EENS0_17counting_iteratorIjlEEPS9_SG_NS0_5tupleIJPjSI_NS0_16reverse_iteratorISI_EEEEENSH_IJSG_SG_SG_EEES9_SI_JZNS1_25segmented_radix_sort_implINS0_14default_configELb0EPKaPaPKlPlN2at6native12_GLOBAL__N_18offset_tEEE10hipError_tPvRmT1_PNSt15iterator_traitsIS12_E10value_typeET2_T3_PNS13_IS18_E10value_typeET4_jRbjT5_S1E_jjP12ihipStream_tbEUljE_ZNSN_ISO_Lb0ESQ_SR_ST_SU_SY_EESZ_S10_S11_S12_S16_S17_S18_S1B_S1C_jS1D_jS1E_S1E_jjS1G_bEUljE0_EEESZ_S10_S11_S18_S1C_S1E_T6_T7_T9_mT8_S1G_bDpT10_ENKUlT_T0_E_clISt17integral_constantIbLb0EES1T_IbLb1EEEEDaS1P_S1Q_EUlS1P_E_NS1_11comp_targetILNS1_3genE10ELNS1_11target_archE1200ELNS1_3gpuE4ELNS1_3repE0EEENS1_30default_config_static_selectorELNS0_4arch9wavefront6targetE0EEEvS12_, .Lfunc_end358-_ZN7rocprim17ROCPRIM_400000_NS6detail17trampoline_kernelINS0_13select_configILj256ELj13ELNS0_17block_load_methodE3ELS4_3ELS4_3ELNS0_20block_scan_algorithmE0ELj4294967295EEENS1_25partition_config_selectorILNS1_17partition_subalgoE4EjNS0_10empty_typeEbEEZZNS1_14partition_implILS8_4ELb0ES6_15HIP_vector_typeIjLj2EENS0_17counting_iteratorIjlEEPS9_SG_NS0_5tupleIJPjSI_NS0_16reverse_iteratorISI_EEEEENSH_IJSG_SG_SG_EEES9_SI_JZNS1_25segmented_radix_sort_implINS0_14default_configELb0EPKaPaPKlPlN2at6native12_GLOBAL__N_18offset_tEEE10hipError_tPvRmT1_PNSt15iterator_traitsIS12_E10value_typeET2_T3_PNS13_IS18_E10value_typeET4_jRbjT5_S1E_jjP12ihipStream_tbEUljE_ZNSN_ISO_Lb0ESQ_SR_ST_SU_SY_EESZ_S10_S11_S12_S16_S17_S18_S1B_S1C_jS1D_jS1E_S1E_jjS1G_bEUljE0_EEESZ_S10_S11_S18_S1C_S1E_T6_T7_T9_mT8_S1G_bDpT10_ENKUlT_T0_E_clISt17integral_constantIbLb0EES1T_IbLb1EEEEDaS1P_S1Q_EUlS1P_E_NS1_11comp_targetILNS1_3genE10ELNS1_11target_archE1200ELNS1_3gpuE4ELNS1_3repE0EEENS1_30default_config_static_selectorELNS0_4arch9wavefront6targetE0EEEvS12_
                                        ; -- End function
	.set _ZN7rocprim17ROCPRIM_400000_NS6detail17trampoline_kernelINS0_13select_configILj256ELj13ELNS0_17block_load_methodE3ELS4_3ELS4_3ELNS0_20block_scan_algorithmE0ELj4294967295EEENS1_25partition_config_selectorILNS1_17partition_subalgoE4EjNS0_10empty_typeEbEEZZNS1_14partition_implILS8_4ELb0ES6_15HIP_vector_typeIjLj2EENS0_17counting_iteratorIjlEEPS9_SG_NS0_5tupleIJPjSI_NS0_16reverse_iteratorISI_EEEEENSH_IJSG_SG_SG_EEES9_SI_JZNS1_25segmented_radix_sort_implINS0_14default_configELb0EPKaPaPKlPlN2at6native12_GLOBAL__N_18offset_tEEE10hipError_tPvRmT1_PNSt15iterator_traitsIS12_E10value_typeET2_T3_PNS13_IS18_E10value_typeET4_jRbjT5_S1E_jjP12ihipStream_tbEUljE_ZNSN_ISO_Lb0ESQ_SR_ST_SU_SY_EESZ_S10_S11_S12_S16_S17_S18_S1B_S1C_jS1D_jS1E_S1E_jjS1G_bEUljE0_EEESZ_S10_S11_S18_S1C_S1E_T6_T7_T9_mT8_S1G_bDpT10_ENKUlT_T0_E_clISt17integral_constantIbLb0EES1T_IbLb1EEEEDaS1P_S1Q_EUlS1P_E_NS1_11comp_targetILNS1_3genE10ELNS1_11target_archE1200ELNS1_3gpuE4ELNS1_3repE0EEENS1_30default_config_static_selectorELNS0_4arch9wavefront6targetE0EEEvS12_.num_vgpr, 98
	.set _ZN7rocprim17ROCPRIM_400000_NS6detail17trampoline_kernelINS0_13select_configILj256ELj13ELNS0_17block_load_methodE3ELS4_3ELS4_3ELNS0_20block_scan_algorithmE0ELj4294967295EEENS1_25partition_config_selectorILNS1_17partition_subalgoE4EjNS0_10empty_typeEbEEZZNS1_14partition_implILS8_4ELb0ES6_15HIP_vector_typeIjLj2EENS0_17counting_iteratorIjlEEPS9_SG_NS0_5tupleIJPjSI_NS0_16reverse_iteratorISI_EEEEENSH_IJSG_SG_SG_EEES9_SI_JZNS1_25segmented_radix_sort_implINS0_14default_configELb0EPKaPaPKlPlN2at6native12_GLOBAL__N_18offset_tEEE10hipError_tPvRmT1_PNSt15iterator_traitsIS12_E10value_typeET2_T3_PNS13_IS18_E10value_typeET4_jRbjT5_S1E_jjP12ihipStream_tbEUljE_ZNSN_ISO_Lb0ESQ_SR_ST_SU_SY_EESZ_S10_S11_S12_S16_S17_S18_S1B_S1C_jS1D_jS1E_S1E_jjS1G_bEUljE0_EEESZ_S10_S11_S18_S1C_S1E_T6_T7_T9_mT8_S1G_bDpT10_ENKUlT_T0_E_clISt17integral_constantIbLb0EES1T_IbLb1EEEEDaS1P_S1Q_EUlS1P_E_NS1_11comp_targetILNS1_3genE10ELNS1_11target_archE1200ELNS1_3gpuE4ELNS1_3repE0EEENS1_30default_config_static_selectorELNS0_4arch9wavefront6targetE0EEEvS12_.num_agpr, 0
	.set _ZN7rocprim17ROCPRIM_400000_NS6detail17trampoline_kernelINS0_13select_configILj256ELj13ELNS0_17block_load_methodE3ELS4_3ELS4_3ELNS0_20block_scan_algorithmE0ELj4294967295EEENS1_25partition_config_selectorILNS1_17partition_subalgoE4EjNS0_10empty_typeEbEEZZNS1_14partition_implILS8_4ELb0ES6_15HIP_vector_typeIjLj2EENS0_17counting_iteratorIjlEEPS9_SG_NS0_5tupleIJPjSI_NS0_16reverse_iteratorISI_EEEEENSH_IJSG_SG_SG_EEES9_SI_JZNS1_25segmented_radix_sort_implINS0_14default_configELb0EPKaPaPKlPlN2at6native12_GLOBAL__N_18offset_tEEE10hipError_tPvRmT1_PNSt15iterator_traitsIS12_E10value_typeET2_T3_PNS13_IS18_E10value_typeET4_jRbjT5_S1E_jjP12ihipStream_tbEUljE_ZNSN_ISO_Lb0ESQ_SR_ST_SU_SY_EESZ_S10_S11_S12_S16_S17_S18_S1B_S1C_jS1D_jS1E_S1E_jjS1G_bEUljE0_EEESZ_S10_S11_S18_S1C_S1E_T6_T7_T9_mT8_S1G_bDpT10_ENKUlT_T0_E_clISt17integral_constantIbLb0EES1T_IbLb1EEEEDaS1P_S1Q_EUlS1P_E_NS1_11comp_targetILNS1_3genE10ELNS1_11target_archE1200ELNS1_3gpuE4ELNS1_3repE0EEENS1_30default_config_static_selectorELNS0_4arch9wavefront6targetE0EEEvS12_.numbered_sgpr, 55
	.set _ZN7rocprim17ROCPRIM_400000_NS6detail17trampoline_kernelINS0_13select_configILj256ELj13ELNS0_17block_load_methodE3ELS4_3ELS4_3ELNS0_20block_scan_algorithmE0ELj4294967295EEENS1_25partition_config_selectorILNS1_17partition_subalgoE4EjNS0_10empty_typeEbEEZZNS1_14partition_implILS8_4ELb0ES6_15HIP_vector_typeIjLj2EENS0_17counting_iteratorIjlEEPS9_SG_NS0_5tupleIJPjSI_NS0_16reverse_iteratorISI_EEEEENSH_IJSG_SG_SG_EEES9_SI_JZNS1_25segmented_radix_sort_implINS0_14default_configELb0EPKaPaPKlPlN2at6native12_GLOBAL__N_18offset_tEEE10hipError_tPvRmT1_PNSt15iterator_traitsIS12_E10value_typeET2_T3_PNS13_IS18_E10value_typeET4_jRbjT5_S1E_jjP12ihipStream_tbEUljE_ZNSN_ISO_Lb0ESQ_SR_ST_SU_SY_EESZ_S10_S11_S12_S16_S17_S18_S1B_S1C_jS1D_jS1E_S1E_jjS1G_bEUljE0_EEESZ_S10_S11_S18_S1C_S1E_T6_T7_T9_mT8_S1G_bDpT10_ENKUlT_T0_E_clISt17integral_constantIbLb0EES1T_IbLb1EEEEDaS1P_S1Q_EUlS1P_E_NS1_11comp_targetILNS1_3genE10ELNS1_11target_archE1200ELNS1_3gpuE4ELNS1_3repE0EEENS1_30default_config_static_selectorELNS0_4arch9wavefront6targetE0EEEvS12_.num_named_barrier, 0
	.set _ZN7rocprim17ROCPRIM_400000_NS6detail17trampoline_kernelINS0_13select_configILj256ELj13ELNS0_17block_load_methodE3ELS4_3ELS4_3ELNS0_20block_scan_algorithmE0ELj4294967295EEENS1_25partition_config_selectorILNS1_17partition_subalgoE4EjNS0_10empty_typeEbEEZZNS1_14partition_implILS8_4ELb0ES6_15HIP_vector_typeIjLj2EENS0_17counting_iteratorIjlEEPS9_SG_NS0_5tupleIJPjSI_NS0_16reverse_iteratorISI_EEEEENSH_IJSG_SG_SG_EEES9_SI_JZNS1_25segmented_radix_sort_implINS0_14default_configELb0EPKaPaPKlPlN2at6native12_GLOBAL__N_18offset_tEEE10hipError_tPvRmT1_PNSt15iterator_traitsIS12_E10value_typeET2_T3_PNS13_IS18_E10value_typeET4_jRbjT5_S1E_jjP12ihipStream_tbEUljE_ZNSN_ISO_Lb0ESQ_SR_ST_SU_SY_EESZ_S10_S11_S12_S16_S17_S18_S1B_S1C_jS1D_jS1E_S1E_jjS1G_bEUljE0_EEESZ_S10_S11_S18_S1C_S1E_T6_T7_T9_mT8_S1G_bDpT10_ENKUlT_T0_E_clISt17integral_constantIbLb0EES1T_IbLb1EEEEDaS1P_S1Q_EUlS1P_E_NS1_11comp_targetILNS1_3genE10ELNS1_11target_archE1200ELNS1_3gpuE4ELNS1_3repE0EEENS1_30default_config_static_selectorELNS0_4arch9wavefront6targetE0EEEvS12_.private_seg_size, 0
	.set _ZN7rocprim17ROCPRIM_400000_NS6detail17trampoline_kernelINS0_13select_configILj256ELj13ELNS0_17block_load_methodE3ELS4_3ELS4_3ELNS0_20block_scan_algorithmE0ELj4294967295EEENS1_25partition_config_selectorILNS1_17partition_subalgoE4EjNS0_10empty_typeEbEEZZNS1_14partition_implILS8_4ELb0ES6_15HIP_vector_typeIjLj2EENS0_17counting_iteratorIjlEEPS9_SG_NS0_5tupleIJPjSI_NS0_16reverse_iteratorISI_EEEEENSH_IJSG_SG_SG_EEES9_SI_JZNS1_25segmented_radix_sort_implINS0_14default_configELb0EPKaPaPKlPlN2at6native12_GLOBAL__N_18offset_tEEE10hipError_tPvRmT1_PNSt15iterator_traitsIS12_E10value_typeET2_T3_PNS13_IS18_E10value_typeET4_jRbjT5_S1E_jjP12ihipStream_tbEUljE_ZNSN_ISO_Lb0ESQ_SR_ST_SU_SY_EESZ_S10_S11_S12_S16_S17_S18_S1B_S1C_jS1D_jS1E_S1E_jjS1G_bEUljE0_EEESZ_S10_S11_S18_S1C_S1E_T6_T7_T9_mT8_S1G_bDpT10_ENKUlT_T0_E_clISt17integral_constantIbLb0EES1T_IbLb1EEEEDaS1P_S1Q_EUlS1P_E_NS1_11comp_targetILNS1_3genE10ELNS1_11target_archE1200ELNS1_3gpuE4ELNS1_3repE0EEENS1_30default_config_static_selectorELNS0_4arch9wavefront6targetE0EEEvS12_.uses_vcc, 1
	.set _ZN7rocprim17ROCPRIM_400000_NS6detail17trampoline_kernelINS0_13select_configILj256ELj13ELNS0_17block_load_methodE3ELS4_3ELS4_3ELNS0_20block_scan_algorithmE0ELj4294967295EEENS1_25partition_config_selectorILNS1_17partition_subalgoE4EjNS0_10empty_typeEbEEZZNS1_14partition_implILS8_4ELb0ES6_15HIP_vector_typeIjLj2EENS0_17counting_iteratorIjlEEPS9_SG_NS0_5tupleIJPjSI_NS0_16reverse_iteratorISI_EEEEENSH_IJSG_SG_SG_EEES9_SI_JZNS1_25segmented_radix_sort_implINS0_14default_configELb0EPKaPaPKlPlN2at6native12_GLOBAL__N_18offset_tEEE10hipError_tPvRmT1_PNSt15iterator_traitsIS12_E10value_typeET2_T3_PNS13_IS18_E10value_typeET4_jRbjT5_S1E_jjP12ihipStream_tbEUljE_ZNSN_ISO_Lb0ESQ_SR_ST_SU_SY_EESZ_S10_S11_S12_S16_S17_S18_S1B_S1C_jS1D_jS1E_S1E_jjS1G_bEUljE0_EEESZ_S10_S11_S18_S1C_S1E_T6_T7_T9_mT8_S1G_bDpT10_ENKUlT_T0_E_clISt17integral_constantIbLb0EES1T_IbLb1EEEEDaS1P_S1Q_EUlS1P_E_NS1_11comp_targetILNS1_3genE10ELNS1_11target_archE1200ELNS1_3gpuE4ELNS1_3repE0EEENS1_30default_config_static_selectorELNS0_4arch9wavefront6targetE0EEEvS12_.uses_flat_scratch, 0
	.set _ZN7rocprim17ROCPRIM_400000_NS6detail17trampoline_kernelINS0_13select_configILj256ELj13ELNS0_17block_load_methodE3ELS4_3ELS4_3ELNS0_20block_scan_algorithmE0ELj4294967295EEENS1_25partition_config_selectorILNS1_17partition_subalgoE4EjNS0_10empty_typeEbEEZZNS1_14partition_implILS8_4ELb0ES6_15HIP_vector_typeIjLj2EENS0_17counting_iteratorIjlEEPS9_SG_NS0_5tupleIJPjSI_NS0_16reverse_iteratorISI_EEEEENSH_IJSG_SG_SG_EEES9_SI_JZNS1_25segmented_radix_sort_implINS0_14default_configELb0EPKaPaPKlPlN2at6native12_GLOBAL__N_18offset_tEEE10hipError_tPvRmT1_PNSt15iterator_traitsIS12_E10value_typeET2_T3_PNS13_IS18_E10value_typeET4_jRbjT5_S1E_jjP12ihipStream_tbEUljE_ZNSN_ISO_Lb0ESQ_SR_ST_SU_SY_EESZ_S10_S11_S12_S16_S17_S18_S1B_S1C_jS1D_jS1E_S1E_jjS1G_bEUljE0_EEESZ_S10_S11_S18_S1C_S1E_T6_T7_T9_mT8_S1G_bDpT10_ENKUlT_T0_E_clISt17integral_constantIbLb0EES1T_IbLb1EEEEDaS1P_S1Q_EUlS1P_E_NS1_11comp_targetILNS1_3genE10ELNS1_11target_archE1200ELNS1_3gpuE4ELNS1_3repE0EEENS1_30default_config_static_selectorELNS0_4arch9wavefront6targetE0EEEvS12_.has_dyn_sized_stack, 0
	.set _ZN7rocprim17ROCPRIM_400000_NS6detail17trampoline_kernelINS0_13select_configILj256ELj13ELNS0_17block_load_methodE3ELS4_3ELS4_3ELNS0_20block_scan_algorithmE0ELj4294967295EEENS1_25partition_config_selectorILNS1_17partition_subalgoE4EjNS0_10empty_typeEbEEZZNS1_14partition_implILS8_4ELb0ES6_15HIP_vector_typeIjLj2EENS0_17counting_iteratorIjlEEPS9_SG_NS0_5tupleIJPjSI_NS0_16reverse_iteratorISI_EEEEENSH_IJSG_SG_SG_EEES9_SI_JZNS1_25segmented_radix_sort_implINS0_14default_configELb0EPKaPaPKlPlN2at6native12_GLOBAL__N_18offset_tEEE10hipError_tPvRmT1_PNSt15iterator_traitsIS12_E10value_typeET2_T3_PNS13_IS18_E10value_typeET4_jRbjT5_S1E_jjP12ihipStream_tbEUljE_ZNSN_ISO_Lb0ESQ_SR_ST_SU_SY_EESZ_S10_S11_S12_S16_S17_S18_S1B_S1C_jS1D_jS1E_S1E_jjS1G_bEUljE0_EEESZ_S10_S11_S18_S1C_S1E_T6_T7_T9_mT8_S1G_bDpT10_ENKUlT_T0_E_clISt17integral_constantIbLb0EES1T_IbLb1EEEEDaS1P_S1Q_EUlS1P_E_NS1_11comp_targetILNS1_3genE10ELNS1_11target_archE1200ELNS1_3gpuE4ELNS1_3repE0EEENS1_30default_config_static_selectorELNS0_4arch9wavefront6targetE0EEEvS12_.has_recursion, 0
	.set _ZN7rocprim17ROCPRIM_400000_NS6detail17trampoline_kernelINS0_13select_configILj256ELj13ELNS0_17block_load_methodE3ELS4_3ELS4_3ELNS0_20block_scan_algorithmE0ELj4294967295EEENS1_25partition_config_selectorILNS1_17partition_subalgoE4EjNS0_10empty_typeEbEEZZNS1_14partition_implILS8_4ELb0ES6_15HIP_vector_typeIjLj2EENS0_17counting_iteratorIjlEEPS9_SG_NS0_5tupleIJPjSI_NS0_16reverse_iteratorISI_EEEEENSH_IJSG_SG_SG_EEES9_SI_JZNS1_25segmented_radix_sort_implINS0_14default_configELb0EPKaPaPKlPlN2at6native12_GLOBAL__N_18offset_tEEE10hipError_tPvRmT1_PNSt15iterator_traitsIS12_E10value_typeET2_T3_PNS13_IS18_E10value_typeET4_jRbjT5_S1E_jjP12ihipStream_tbEUljE_ZNSN_ISO_Lb0ESQ_SR_ST_SU_SY_EESZ_S10_S11_S12_S16_S17_S18_S1B_S1C_jS1D_jS1E_S1E_jjS1G_bEUljE0_EEESZ_S10_S11_S18_S1C_S1E_T6_T7_T9_mT8_S1G_bDpT10_ENKUlT_T0_E_clISt17integral_constantIbLb0EES1T_IbLb1EEEEDaS1P_S1Q_EUlS1P_E_NS1_11comp_targetILNS1_3genE10ELNS1_11target_archE1200ELNS1_3gpuE4ELNS1_3repE0EEENS1_30default_config_static_selectorELNS0_4arch9wavefront6targetE0EEEvS12_.has_indirect_call, 0
	.section	.AMDGPU.csdata,"",@progbits
; Kernel info:
; codeLenInByte = 19208
; TotalNumSgprs: 57
; NumVgprs: 98
; ScratchSize: 0
; MemoryBound: 0
; FloatMode: 240
; IeeeMode: 1
; LDSByteSize: 13328 bytes/workgroup (compile time only)
; SGPRBlocks: 0
; VGPRBlocks: 12
; NumSGPRsForWavesPerEU: 57
; NumVGPRsForWavesPerEU: 98
; Occupancy: 12
; WaveLimiterHint : 1
; COMPUTE_PGM_RSRC2:SCRATCH_EN: 0
; COMPUTE_PGM_RSRC2:USER_SGPR: 2
; COMPUTE_PGM_RSRC2:TRAP_HANDLER: 0
; COMPUTE_PGM_RSRC2:TGID_X_EN: 1
; COMPUTE_PGM_RSRC2:TGID_Y_EN: 0
; COMPUTE_PGM_RSRC2:TGID_Z_EN: 0
; COMPUTE_PGM_RSRC2:TIDIG_COMP_CNT: 0
	.section	.text._ZN7rocprim17ROCPRIM_400000_NS6detail17trampoline_kernelINS0_13select_configILj256ELj13ELNS0_17block_load_methodE3ELS4_3ELS4_3ELNS0_20block_scan_algorithmE0ELj4294967295EEENS1_25partition_config_selectorILNS1_17partition_subalgoE4EjNS0_10empty_typeEbEEZZNS1_14partition_implILS8_4ELb0ES6_15HIP_vector_typeIjLj2EENS0_17counting_iteratorIjlEEPS9_SG_NS0_5tupleIJPjSI_NS0_16reverse_iteratorISI_EEEEENSH_IJSG_SG_SG_EEES9_SI_JZNS1_25segmented_radix_sort_implINS0_14default_configELb0EPKaPaPKlPlN2at6native12_GLOBAL__N_18offset_tEEE10hipError_tPvRmT1_PNSt15iterator_traitsIS12_E10value_typeET2_T3_PNS13_IS18_E10value_typeET4_jRbjT5_S1E_jjP12ihipStream_tbEUljE_ZNSN_ISO_Lb0ESQ_SR_ST_SU_SY_EESZ_S10_S11_S12_S16_S17_S18_S1B_S1C_jS1D_jS1E_S1E_jjS1G_bEUljE0_EEESZ_S10_S11_S18_S1C_S1E_T6_T7_T9_mT8_S1G_bDpT10_ENKUlT_T0_E_clISt17integral_constantIbLb0EES1T_IbLb1EEEEDaS1P_S1Q_EUlS1P_E_NS1_11comp_targetILNS1_3genE9ELNS1_11target_archE1100ELNS1_3gpuE3ELNS1_3repE0EEENS1_30default_config_static_selectorELNS0_4arch9wavefront6targetE0EEEvS12_,"axG",@progbits,_ZN7rocprim17ROCPRIM_400000_NS6detail17trampoline_kernelINS0_13select_configILj256ELj13ELNS0_17block_load_methodE3ELS4_3ELS4_3ELNS0_20block_scan_algorithmE0ELj4294967295EEENS1_25partition_config_selectorILNS1_17partition_subalgoE4EjNS0_10empty_typeEbEEZZNS1_14partition_implILS8_4ELb0ES6_15HIP_vector_typeIjLj2EENS0_17counting_iteratorIjlEEPS9_SG_NS0_5tupleIJPjSI_NS0_16reverse_iteratorISI_EEEEENSH_IJSG_SG_SG_EEES9_SI_JZNS1_25segmented_radix_sort_implINS0_14default_configELb0EPKaPaPKlPlN2at6native12_GLOBAL__N_18offset_tEEE10hipError_tPvRmT1_PNSt15iterator_traitsIS12_E10value_typeET2_T3_PNS13_IS18_E10value_typeET4_jRbjT5_S1E_jjP12ihipStream_tbEUljE_ZNSN_ISO_Lb0ESQ_SR_ST_SU_SY_EESZ_S10_S11_S12_S16_S17_S18_S1B_S1C_jS1D_jS1E_S1E_jjS1G_bEUljE0_EEESZ_S10_S11_S18_S1C_S1E_T6_T7_T9_mT8_S1G_bDpT10_ENKUlT_T0_E_clISt17integral_constantIbLb0EES1T_IbLb1EEEEDaS1P_S1Q_EUlS1P_E_NS1_11comp_targetILNS1_3genE9ELNS1_11target_archE1100ELNS1_3gpuE3ELNS1_3repE0EEENS1_30default_config_static_selectorELNS0_4arch9wavefront6targetE0EEEvS12_,comdat
	.globl	_ZN7rocprim17ROCPRIM_400000_NS6detail17trampoline_kernelINS0_13select_configILj256ELj13ELNS0_17block_load_methodE3ELS4_3ELS4_3ELNS0_20block_scan_algorithmE0ELj4294967295EEENS1_25partition_config_selectorILNS1_17partition_subalgoE4EjNS0_10empty_typeEbEEZZNS1_14partition_implILS8_4ELb0ES6_15HIP_vector_typeIjLj2EENS0_17counting_iteratorIjlEEPS9_SG_NS0_5tupleIJPjSI_NS0_16reverse_iteratorISI_EEEEENSH_IJSG_SG_SG_EEES9_SI_JZNS1_25segmented_radix_sort_implINS0_14default_configELb0EPKaPaPKlPlN2at6native12_GLOBAL__N_18offset_tEEE10hipError_tPvRmT1_PNSt15iterator_traitsIS12_E10value_typeET2_T3_PNS13_IS18_E10value_typeET4_jRbjT5_S1E_jjP12ihipStream_tbEUljE_ZNSN_ISO_Lb0ESQ_SR_ST_SU_SY_EESZ_S10_S11_S12_S16_S17_S18_S1B_S1C_jS1D_jS1E_S1E_jjS1G_bEUljE0_EEESZ_S10_S11_S18_S1C_S1E_T6_T7_T9_mT8_S1G_bDpT10_ENKUlT_T0_E_clISt17integral_constantIbLb0EES1T_IbLb1EEEEDaS1P_S1Q_EUlS1P_E_NS1_11comp_targetILNS1_3genE9ELNS1_11target_archE1100ELNS1_3gpuE3ELNS1_3repE0EEENS1_30default_config_static_selectorELNS0_4arch9wavefront6targetE0EEEvS12_ ; -- Begin function _ZN7rocprim17ROCPRIM_400000_NS6detail17trampoline_kernelINS0_13select_configILj256ELj13ELNS0_17block_load_methodE3ELS4_3ELS4_3ELNS0_20block_scan_algorithmE0ELj4294967295EEENS1_25partition_config_selectorILNS1_17partition_subalgoE4EjNS0_10empty_typeEbEEZZNS1_14partition_implILS8_4ELb0ES6_15HIP_vector_typeIjLj2EENS0_17counting_iteratorIjlEEPS9_SG_NS0_5tupleIJPjSI_NS0_16reverse_iteratorISI_EEEEENSH_IJSG_SG_SG_EEES9_SI_JZNS1_25segmented_radix_sort_implINS0_14default_configELb0EPKaPaPKlPlN2at6native12_GLOBAL__N_18offset_tEEE10hipError_tPvRmT1_PNSt15iterator_traitsIS12_E10value_typeET2_T3_PNS13_IS18_E10value_typeET4_jRbjT5_S1E_jjP12ihipStream_tbEUljE_ZNSN_ISO_Lb0ESQ_SR_ST_SU_SY_EESZ_S10_S11_S12_S16_S17_S18_S1B_S1C_jS1D_jS1E_S1E_jjS1G_bEUljE0_EEESZ_S10_S11_S18_S1C_S1E_T6_T7_T9_mT8_S1G_bDpT10_ENKUlT_T0_E_clISt17integral_constantIbLb0EES1T_IbLb1EEEEDaS1P_S1Q_EUlS1P_E_NS1_11comp_targetILNS1_3genE9ELNS1_11target_archE1100ELNS1_3gpuE3ELNS1_3repE0EEENS1_30default_config_static_selectorELNS0_4arch9wavefront6targetE0EEEvS12_
	.p2align	8
	.type	_ZN7rocprim17ROCPRIM_400000_NS6detail17trampoline_kernelINS0_13select_configILj256ELj13ELNS0_17block_load_methodE3ELS4_3ELS4_3ELNS0_20block_scan_algorithmE0ELj4294967295EEENS1_25partition_config_selectorILNS1_17partition_subalgoE4EjNS0_10empty_typeEbEEZZNS1_14partition_implILS8_4ELb0ES6_15HIP_vector_typeIjLj2EENS0_17counting_iteratorIjlEEPS9_SG_NS0_5tupleIJPjSI_NS0_16reverse_iteratorISI_EEEEENSH_IJSG_SG_SG_EEES9_SI_JZNS1_25segmented_radix_sort_implINS0_14default_configELb0EPKaPaPKlPlN2at6native12_GLOBAL__N_18offset_tEEE10hipError_tPvRmT1_PNSt15iterator_traitsIS12_E10value_typeET2_T3_PNS13_IS18_E10value_typeET4_jRbjT5_S1E_jjP12ihipStream_tbEUljE_ZNSN_ISO_Lb0ESQ_SR_ST_SU_SY_EESZ_S10_S11_S12_S16_S17_S18_S1B_S1C_jS1D_jS1E_S1E_jjS1G_bEUljE0_EEESZ_S10_S11_S18_S1C_S1E_T6_T7_T9_mT8_S1G_bDpT10_ENKUlT_T0_E_clISt17integral_constantIbLb0EES1T_IbLb1EEEEDaS1P_S1Q_EUlS1P_E_NS1_11comp_targetILNS1_3genE9ELNS1_11target_archE1100ELNS1_3gpuE3ELNS1_3repE0EEENS1_30default_config_static_selectorELNS0_4arch9wavefront6targetE0EEEvS12_,@function
_ZN7rocprim17ROCPRIM_400000_NS6detail17trampoline_kernelINS0_13select_configILj256ELj13ELNS0_17block_load_methodE3ELS4_3ELS4_3ELNS0_20block_scan_algorithmE0ELj4294967295EEENS1_25partition_config_selectorILNS1_17partition_subalgoE4EjNS0_10empty_typeEbEEZZNS1_14partition_implILS8_4ELb0ES6_15HIP_vector_typeIjLj2EENS0_17counting_iteratorIjlEEPS9_SG_NS0_5tupleIJPjSI_NS0_16reverse_iteratorISI_EEEEENSH_IJSG_SG_SG_EEES9_SI_JZNS1_25segmented_radix_sort_implINS0_14default_configELb0EPKaPaPKlPlN2at6native12_GLOBAL__N_18offset_tEEE10hipError_tPvRmT1_PNSt15iterator_traitsIS12_E10value_typeET2_T3_PNS13_IS18_E10value_typeET4_jRbjT5_S1E_jjP12ihipStream_tbEUljE_ZNSN_ISO_Lb0ESQ_SR_ST_SU_SY_EESZ_S10_S11_S12_S16_S17_S18_S1B_S1C_jS1D_jS1E_S1E_jjS1G_bEUljE0_EEESZ_S10_S11_S18_S1C_S1E_T6_T7_T9_mT8_S1G_bDpT10_ENKUlT_T0_E_clISt17integral_constantIbLb0EES1T_IbLb1EEEEDaS1P_S1Q_EUlS1P_E_NS1_11comp_targetILNS1_3genE9ELNS1_11target_archE1100ELNS1_3gpuE3ELNS1_3repE0EEENS1_30default_config_static_selectorELNS0_4arch9wavefront6targetE0EEEvS12_: ; @_ZN7rocprim17ROCPRIM_400000_NS6detail17trampoline_kernelINS0_13select_configILj256ELj13ELNS0_17block_load_methodE3ELS4_3ELS4_3ELNS0_20block_scan_algorithmE0ELj4294967295EEENS1_25partition_config_selectorILNS1_17partition_subalgoE4EjNS0_10empty_typeEbEEZZNS1_14partition_implILS8_4ELb0ES6_15HIP_vector_typeIjLj2EENS0_17counting_iteratorIjlEEPS9_SG_NS0_5tupleIJPjSI_NS0_16reverse_iteratorISI_EEEEENSH_IJSG_SG_SG_EEES9_SI_JZNS1_25segmented_radix_sort_implINS0_14default_configELb0EPKaPaPKlPlN2at6native12_GLOBAL__N_18offset_tEEE10hipError_tPvRmT1_PNSt15iterator_traitsIS12_E10value_typeET2_T3_PNS13_IS18_E10value_typeET4_jRbjT5_S1E_jjP12ihipStream_tbEUljE_ZNSN_ISO_Lb0ESQ_SR_ST_SU_SY_EESZ_S10_S11_S12_S16_S17_S18_S1B_S1C_jS1D_jS1E_S1E_jjS1G_bEUljE0_EEESZ_S10_S11_S18_S1C_S1E_T6_T7_T9_mT8_S1G_bDpT10_ENKUlT_T0_E_clISt17integral_constantIbLb0EES1T_IbLb1EEEEDaS1P_S1Q_EUlS1P_E_NS1_11comp_targetILNS1_3genE9ELNS1_11target_archE1100ELNS1_3gpuE3ELNS1_3repE0EEENS1_30default_config_static_selectorELNS0_4arch9wavefront6targetE0EEEvS12_
; %bb.0:
	.section	.rodata,"a",@progbits
	.p2align	6, 0x0
	.amdhsa_kernel _ZN7rocprim17ROCPRIM_400000_NS6detail17trampoline_kernelINS0_13select_configILj256ELj13ELNS0_17block_load_methodE3ELS4_3ELS4_3ELNS0_20block_scan_algorithmE0ELj4294967295EEENS1_25partition_config_selectorILNS1_17partition_subalgoE4EjNS0_10empty_typeEbEEZZNS1_14partition_implILS8_4ELb0ES6_15HIP_vector_typeIjLj2EENS0_17counting_iteratorIjlEEPS9_SG_NS0_5tupleIJPjSI_NS0_16reverse_iteratorISI_EEEEENSH_IJSG_SG_SG_EEES9_SI_JZNS1_25segmented_radix_sort_implINS0_14default_configELb0EPKaPaPKlPlN2at6native12_GLOBAL__N_18offset_tEEE10hipError_tPvRmT1_PNSt15iterator_traitsIS12_E10value_typeET2_T3_PNS13_IS18_E10value_typeET4_jRbjT5_S1E_jjP12ihipStream_tbEUljE_ZNSN_ISO_Lb0ESQ_SR_ST_SU_SY_EESZ_S10_S11_S12_S16_S17_S18_S1B_S1C_jS1D_jS1E_S1E_jjS1G_bEUljE0_EEESZ_S10_S11_S18_S1C_S1E_T6_T7_T9_mT8_S1G_bDpT10_ENKUlT_T0_E_clISt17integral_constantIbLb0EES1T_IbLb1EEEEDaS1P_S1Q_EUlS1P_E_NS1_11comp_targetILNS1_3genE9ELNS1_11target_archE1100ELNS1_3gpuE3ELNS1_3repE0EEENS1_30default_config_static_selectorELNS0_4arch9wavefront6targetE0EEEvS12_
		.amdhsa_group_segment_fixed_size 0
		.amdhsa_private_segment_fixed_size 0
		.amdhsa_kernarg_size 184
		.amdhsa_user_sgpr_count 2
		.amdhsa_user_sgpr_dispatch_ptr 0
		.amdhsa_user_sgpr_queue_ptr 0
		.amdhsa_user_sgpr_kernarg_segment_ptr 1
		.amdhsa_user_sgpr_dispatch_id 0
		.amdhsa_user_sgpr_private_segment_size 0
		.amdhsa_wavefront_size32 1
		.amdhsa_uses_dynamic_stack 0
		.amdhsa_enable_private_segment 0
		.amdhsa_system_sgpr_workgroup_id_x 1
		.amdhsa_system_sgpr_workgroup_id_y 0
		.amdhsa_system_sgpr_workgroup_id_z 0
		.amdhsa_system_sgpr_workgroup_info 0
		.amdhsa_system_vgpr_workitem_id 0
		.amdhsa_next_free_vgpr 1
		.amdhsa_next_free_sgpr 1
		.amdhsa_reserve_vcc 0
		.amdhsa_float_round_mode_32 0
		.amdhsa_float_round_mode_16_64 0
		.amdhsa_float_denorm_mode_32 3
		.amdhsa_float_denorm_mode_16_64 3
		.amdhsa_fp16_overflow 0
		.amdhsa_workgroup_processor_mode 1
		.amdhsa_memory_ordered 1
		.amdhsa_forward_progress 1
		.amdhsa_inst_pref_size 0
		.amdhsa_round_robin_scheduling 0
		.amdhsa_exception_fp_ieee_invalid_op 0
		.amdhsa_exception_fp_denorm_src 0
		.amdhsa_exception_fp_ieee_div_zero 0
		.amdhsa_exception_fp_ieee_overflow 0
		.amdhsa_exception_fp_ieee_underflow 0
		.amdhsa_exception_fp_ieee_inexact 0
		.amdhsa_exception_int_div_zero 0
	.end_amdhsa_kernel
	.section	.text._ZN7rocprim17ROCPRIM_400000_NS6detail17trampoline_kernelINS0_13select_configILj256ELj13ELNS0_17block_load_methodE3ELS4_3ELS4_3ELNS0_20block_scan_algorithmE0ELj4294967295EEENS1_25partition_config_selectorILNS1_17partition_subalgoE4EjNS0_10empty_typeEbEEZZNS1_14partition_implILS8_4ELb0ES6_15HIP_vector_typeIjLj2EENS0_17counting_iteratorIjlEEPS9_SG_NS0_5tupleIJPjSI_NS0_16reverse_iteratorISI_EEEEENSH_IJSG_SG_SG_EEES9_SI_JZNS1_25segmented_radix_sort_implINS0_14default_configELb0EPKaPaPKlPlN2at6native12_GLOBAL__N_18offset_tEEE10hipError_tPvRmT1_PNSt15iterator_traitsIS12_E10value_typeET2_T3_PNS13_IS18_E10value_typeET4_jRbjT5_S1E_jjP12ihipStream_tbEUljE_ZNSN_ISO_Lb0ESQ_SR_ST_SU_SY_EESZ_S10_S11_S12_S16_S17_S18_S1B_S1C_jS1D_jS1E_S1E_jjS1G_bEUljE0_EEESZ_S10_S11_S18_S1C_S1E_T6_T7_T9_mT8_S1G_bDpT10_ENKUlT_T0_E_clISt17integral_constantIbLb0EES1T_IbLb1EEEEDaS1P_S1Q_EUlS1P_E_NS1_11comp_targetILNS1_3genE9ELNS1_11target_archE1100ELNS1_3gpuE3ELNS1_3repE0EEENS1_30default_config_static_selectorELNS0_4arch9wavefront6targetE0EEEvS12_,"axG",@progbits,_ZN7rocprim17ROCPRIM_400000_NS6detail17trampoline_kernelINS0_13select_configILj256ELj13ELNS0_17block_load_methodE3ELS4_3ELS4_3ELNS0_20block_scan_algorithmE0ELj4294967295EEENS1_25partition_config_selectorILNS1_17partition_subalgoE4EjNS0_10empty_typeEbEEZZNS1_14partition_implILS8_4ELb0ES6_15HIP_vector_typeIjLj2EENS0_17counting_iteratorIjlEEPS9_SG_NS0_5tupleIJPjSI_NS0_16reverse_iteratorISI_EEEEENSH_IJSG_SG_SG_EEES9_SI_JZNS1_25segmented_radix_sort_implINS0_14default_configELb0EPKaPaPKlPlN2at6native12_GLOBAL__N_18offset_tEEE10hipError_tPvRmT1_PNSt15iterator_traitsIS12_E10value_typeET2_T3_PNS13_IS18_E10value_typeET4_jRbjT5_S1E_jjP12ihipStream_tbEUljE_ZNSN_ISO_Lb0ESQ_SR_ST_SU_SY_EESZ_S10_S11_S12_S16_S17_S18_S1B_S1C_jS1D_jS1E_S1E_jjS1G_bEUljE0_EEESZ_S10_S11_S18_S1C_S1E_T6_T7_T9_mT8_S1G_bDpT10_ENKUlT_T0_E_clISt17integral_constantIbLb0EES1T_IbLb1EEEEDaS1P_S1Q_EUlS1P_E_NS1_11comp_targetILNS1_3genE9ELNS1_11target_archE1100ELNS1_3gpuE3ELNS1_3repE0EEENS1_30default_config_static_selectorELNS0_4arch9wavefront6targetE0EEEvS12_,comdat
.Lfunc_end359:
	.size	_ZN7rocprim17ROCPRIM_400000_NS6detail17trampoline_kernelINS0_13select_configILj256ELj13ELNS0_17block_load_methodE3ELS4_3ELS4_3ELNS0_20block_scan_algorithmE0ELj4294967295EEENS1_25partition_config_selectorILNS1_17partition_subalgoE4EjNS0_10empty_typeEbEEZZNS1_14partition_implILS8_4ELb0ES6_15HIP_vector_typeIjLj2EENS0_17counting_iteratorIjlEEPS9_SG_NS0_5tupleIJPjSI_NS0_16reverse_iteratorISI_EEEEENSH_IJSG_SG_SG_EEES9_SI_JZNS1_25segmented_radix_sort_implINS0_14default_configELb0EPKaPaPKlPlN2at6native12_GLOBAL__N_18offset_tEEE10hipError_tPvRmT1_PNSt15iterator_traitsIS12_E10value_typeET2_T3_PNS13_IS18_E10value_typeET4_jRbjT5_S1E_jjP12ihipStream_tbEUljE_ZNSN_ISO_Lb0ESQ_SR_ST_SU_SY_EESZ_S10_S11_S12_S16_S17_S18_S1B_S1C_jS1D_jS1E_S1E_jjS1G_bEUljE0_EEESZ_S10_S11_S18_S1C_S1E_T6_T7_T9_mT8_S1G_bDpT10_ENKUlT_T0_E_clISt17integral_constantIbLb0EES1T_IbLb1EEEEDaS1P_S1Q_EUlS1P_E_NS1_11comp_targetILNS1_3genE9ELNS1_11target_archE1100ELNS1_3gpuE3ELNS1_3repE0EEENS1_30default_config_static_selectorELNS0_4arch9wavefront6targetE0EEEvS12_, .Lfunc_end359-_ZN7rocprim17ROCPRIM_400000_NS6detail17trampoline_kernelINS0_13select_configILj256ELj13ELNS0_17block_load_methodE3ELS4_3ELS4_3ELNS0_20block_scan_algorithmE0ELj4294967295EEENS1_25partition_config_selectorILNS1_17partition_subalgoE4EjNS0_10empty_typeEbEEZZNS1_14partition_implILS8_4ELb0ES6_15HIP_vector_typeIjLj2EENS0_17counting_iteratorIjlEEPS9_SG_NS0_5tupleIJPjSI_NS0_16reverse_iteratorISI_EEEEENSH_IJSG_SG_SG_EEES9_SI_JZNS1_25segmented_radix_sort_implINS0_14default_configELb0EPKaPaPKlPlN2at6native12_GLOBAL__N_18offset_tEEE10hipError_tPvRmT1_PNSt15iterator_traitsIS12_E10value_typeET2_T3_PNS13_IS18_E10value_typeET4_jRbjT5_S1E_jjP12ihipStream_tbEUljE_ZNSN_ISO_Lb0ESQ_SR_ST_SU_SY_EESZ_S10_S11_S12_S16_S17_S18_S1B_S1C_jS1D_jS1E_S1E_jjS1G_bEUljE0_EEESZ_S10_S11_S18_S1C_S1E_T6_T7_T9_mT8_S1G_bDpT10_ENKUlT_T0_E_clISt17integral_constantIbLb0EES1T_IbLb1EEEEDaS1P_S1Q_EUlS1P_E_NS1_11comp_targetILNS1_3genE9ELNS1_11target_archE1100ELNS1_3gpuE3ELNS1_3repE0EEENS1_30default_config_static_selectorELNS0_4arch9wavefront6targetE0EEEvS12_
                                        ; -- End function
	.set _ZN7rocprim17ROCPRIM_400000_NS6detail17trampoline_kernelINS0_13select_configILj256ELj13ELNS0_17block_load_methodE3ELS4_3ELS4_3ELNS0_20block_scan_algorithmE0ELj4294967295EEENS1_25partition_config_selectorILNS1_17partition_subalgoE4EjNS0_10empty_typeEbEEZZNS1_14partition_implILS8_4ELb0ES6_15HIP_vector_typeIjLj2EENS0_17counting_iteratorIjlEEPS9_SG_NS0_5tupleIJPjSI_NS0_16reverse_iteratorISI_EEEEENSH_IJSG_SG_SG_EEES9_SI_JZNS1_25segmented_radix_sort_implINS0_14default_configELb0EPKaPaPKlPlN2at6native12_GLOBAL__N_18offset_tEEE10hipError_tPvRmT1_PNSt15iterator_traitsIS12_E10value_typeET2_T3_PNS13_IS18_E10value_typeET4_jRbjT5_S1E_jjP12ihipStream_tbEUljE_ZNSN_ISO_Lb0ESQ_SR_ST_SU_SY_EESZ_S10_S11_S12_S16_S17_S18_S1B_S1C_jS1D_jS1E_S1E_jjS1G_bEUljE0_EEESZ_S10_S11_S18_S1C_S1E_T6_T7_T9_mT8_S1G_bDpT10_ENKUlT_T0_E_clISt17integral_constantIbLb0EES1T_IbLb1EEEEDaS1P_S1Q_EUlS1P_E_NS1_11comp_targetILNS1_3genE9ELNS1_11target_archE1100ELNS1_3gpuE3ELNS1_3repE0EEENS1_30default_config_static_selectorELNS0_4arch9wavefront6targetE0EEEvS12_.num_vgpr, 0
	.set _ZN7rocprim17ROCPRIM_400000_NS6detail17trampoline_kernelINS0_13select_configILj256ELj13ELNS0_17block_load_methodE3ELS4_3ELS4_3ELNS0_20block_scan_algorithmE0ELj4294967295EEENS1_25partition_config_selectorILNS1_17partition_subalgoE4EjNS0_10empty_typeEbEEZZNS1_14partition_implILS8_4ELb0ES6_15HIP_vector_typeIjLj2EENS0_17counting_iteratorIjlEEPS9_SG_NS0_5tupleIJPjSI_NS0_16reverse_iteratorISI_EEEEENSH_IJSG_SG_SG_EEES9_SI_JZNS1_25segmented_radix_sort_implINS0_14default_configELb0EPKaPaPKlPlN2at6native12_GLOBAL__N_18offset_tEEE10hipError_tPvRmT1_PNSt15iterator_traitsIS12_E10value_typeET2_T3_PNS13_IS18_E10value_typeET4_jRbjT5_S1E_jjP12ihipStream_tbEUljE_ZNSN_ISO_Lb0ESQ_SR_ST_SU_SY_EESZ_S10_S11_S12_S16_S17_S18_S1B_S1C_jS1D_jS1E_S1E_jjS1G_bEUljE0_EEESZ_S10_S11_S18_S1C_S1E_T6_T7_T9_mT8_S1G_bDpT10_ENKUlT_T0_E_clISt17integral_constantIbLb0EES1T_IbLb1EEEEDaS1P_S1Q_EUlS1P_E_NS1_11comp_targetILNS1_3genE9ELNS1_11target_archE1100ELNS1_3gpuE3ELNS1_3repE0EEENS1_30default_config_static_selectorELNS0_4arch9wavefront6targetE0EEEvS12_.num_agpr, 0
	.set _ZN7rocprim17ROCPRIM_400000_NS6detail17trampoline_kernelINS0_13select_configILj256ELj13ELNS0_17block_load_methodE3ELS4_3ELS4_3ELNS0_20block_scan_algorithmE0ELj4294967295EEENS1_25partition_config_selectorILNS1_17partition_subalgoE4EjNS0_10empty_typeEbEEZZNS1_14partition_implILS8_4ELb0ES6_15HIP_vector_typeIjLj2EENS0_17counting_iteratorIjlEEPS9_SG_NS0_5tupleIJPjSI_NS0_16reverse_iteratorISI_EEEEENSH_IJSG_SG_SG_EEES9_SI_JZNS1_25segmented_radix_sort_implINS0_14default_configELb0EPKaPaPKlPlN2at6native12_GLOBAL__N_18offset_tEEE10hipError_tPvRmT1_PNSt15iterator_traitsIS12_E10value_typeET2_T3_PNS13_IS18_E10value_typeET4_jRbjT5_S1E_jjP12ihipStream_tbEUljE_ZNSN_ISO_Lb0ESQ_SR_ST_SU_SY_EESZ_S10_S11_S12_S16_S17_S18_S1B_S1C_jS1D_jS1E_S1E_jjS1G_bEUljE0_EEESZ_S10_S11_S18_S1C_S1E_T6_T7_T9_mT8_S1G_bDpT10_ENKUlT_T0_E_clISt17integral_constantIbLb0EES1T_IbLb1EEEEDaS1P_S1Q_EUlS1P_E_NS1_11comp_targetILNS1_3genE9ELNS1_11target_archE1100ELNS1_3gpuE3ELNS1_3repE0EEENS1_30default_config_static_selectorELNS0_4arch9wavefront6targetE0EEEvS12_.numbered_sgpr, 0
	.set _ZN7rocprim17ROCPRIM_400000_NS6detail17trampoline_kernelINS0_13select_configILj256ELj13ELNS0_17block_load_methodE3ELS4_3ELS4_3ELNS0_20block_scan_algorithmE0ELj4294967295EEENS1_25partition_config_selectorILNS1_17partition_subalgoE4EjNS0_10empty_typeEbEEZZNS1_14partition_implILS8_4ELb0ES6_15HIP_vector_typeIjLj2EENS0_17counting_iteratorIjlEEPS9_SG_NS0_5tupleIJPjSI_NS0_16reverse_iteratorISI_EEEEENSH_IJSG_SG_SG_EEES9_SI_JZNS1_25segmented_radix_sort_implINS0_14default_configELb0EPKaPaPKlPlN2at6native12_GLOBAL__N_18offset_tEEE10hipError_tPvRmT1_PNSt15iterator_traitsIS12_E10value_typeET2_T3_PNS13_IS18_E10value_typeET4_jRbjT5_S1E_jjP12ihipStream_tbEUljE_ZNSN_ISO_Lb0ESQ_SR_ST_SU_SY_EESZ_S10_S11_S12_S16_S17_S18_S1B_S1C_jS1D_jS1E_S1E_jjS1G_bEUljE0_EEESZ_S10_S11_S18_S1C_S1E_T6_T7_T9_mT8_S1G_bDpT10_ENKUlT_T0_E_clISt17integral_constantIbLb0EES1T_IbLb1EEEEDaS1P_S1Q_EUlS1P_E_NS1_11comp_targetILNS1_3genE9ELNS1_11target_archE1100ELNS1_3gpuE3ELNS1_3repE0EEENS1_30default_config_static_selectorELNS0_4arch9wavefront6targetE0EEEvS12_.num_named_barrier, 0
	.set _ZN7rocprim17ROCPRIM_400000_NS6detail17trampoline_kernelINS0_13select_configILj256ELj13ELNS0_17block_load_methodE3ELS4_3ELS4_3ELNS0_20block_scan_algorithmE0ELj4294967295EEENS1_25partition_config_selectorILNS1_17partition_subalgoE4EjNS0_10empty_typeEbEEZZNS1_14partition_implILS8_4ELb0ES6_15HIP_vector_typeIjLj2EENS0_17counting_iteratorIjlEEPS9_SG_NS0_5tupleIJPjSI_NS0_16reverse_iteratorISI_EEEEENSH_IJSG_SG_SG_EEES9_SI_JZNS1_25segmented_radix_sort_implINS0_14default_configELb0EPKaPaPKlPlN2at6native12_GLOBAL__N_18offset_tEEE10hipError_tPvRmT1_PNSt15iterator_traitsIS12_E10value_typeET2_T3_PNS13_IS18_E10value_typeET4_jRbjT5_S1E_jjP12ihipStream_tbEUljE_ZNSN_ISO_Lb0ESQ_SR_ST_SU_SY_EESZ_S10_S11_S12_S16_S17_S18_S1B_S1C_jS1D_jS1E_S1E_jjS1G_bEUljE0_EEESZ_S10_S11_S18_S1C_S1E_T6_T7_T9_mT8_S1G_bDpT10_ENKUlT_T0_E_clISt17integral_constantIbLb0EES1T_IbLb1EEEEDaS1P_S1Q_EUlS1P_E_NS1_11comp_targetILNS1_3genE9ELNS1_11target_archE1100ELNS1_3gpuE3ELNS1_3repE0EEENS1_30default_config_static_selectorELNS0_4arch9wavefront6targetE0EEEvS12_.private_seg_size, 0
	.set _ZN7rocprim17ROCPRIM_400000_NS6detail17trampoline_kernelINS0_13select_configILj256ELj13ELNS0_17block_load_methodE3ELS4_3ELS4_3ELNS0_20block_scan_algorithmE0ELj4294967295EEENS1_25partition_config_selectorILNS1_17partition_subalgoE4EjNS0_10empty_typeEbEEZZNS1_14partition_implILS8_4ELb0ES6_15HIP_vector_typeIjLj2EENS0_17counting_iteratorIjlEEPS9_SG_NS0_5tupleIJPjSI_NS0_16reverse_iteratorISI_EEEEENSH_IJSG_SG_SG_EEES9_SI_JZNS1_25segmented_radix_sort_implINS0_14default_configELb0EPKaPaPKlPlN2at6native12_GLOBAL__N_18offset_tEEE10hipError_tPvRmT1_PNSt15iterator_traitsIS12_E10value_typeET2_T3_PNS13_IS18_E10value_typeET4_jRbjT5_S1E_jjP12ihipStream_tbEUljE_ZNSN_ISO_Lb0ESQ_SR_ST_SU_SY_EESZ_S10_S11_S12_S16_S17_S18_S1B_S1C_jS1D_jS1E_S1E_jjS1G_bEUljE0_EEESZ_S10_S11_S18_S1C_S1E_T6_T7_T9_mT8_S1G_bDpT10_ENKUlT_T0_E_clISt17integral_constantIbLb0EES1T_IbLb1EEEEDaS1P_S1Q_EUlS1P_E_NS1_11comp_targetILNS1_3genE9ELNS1_11target_archE1100ELNS1_3gpuE3ELNS1_3repE0EEENS1_30default_config_static_selectorELNS0_4arch9wavefront6targetE0EEEvS12_.uses_vcc, 0
	.set _ZN7rocprim17ROCPRIM_400000_NS6detail17trampoline_kernelINS0_13select_configILj256ELj13ELNS0_17block_load_methodE3ELS4_3ELS4_3ELNS0_20block_scan_algorithmE0ELj4294967295EEENS1_25partition_config_selectorILNS1_17partition_subalgoE4EjNS0_10empty_typeEbEEZZNS1_14partition_implILS8_4ELb0ES6_15HIP_vector_typeIjLj2EENS0_17counting_iteratorIjlEEPS9_SG_NS0_5tupleIJPjSI_NS0_16reverse_iteratorISI_EEEEENSH_IJSG_SG_SG_EEES9_SI_JZNS1_25segmented_radix_sort_implINS0_14default_configELb0EPKaPaPKlPlN2at6native12_GLOBAL__N_18offset_tEEE10hipError_tPvRmT1_PNSt15iterator_traitsIS12_E10value_typeET2_T3_PNS13_IS18_E10value_typeET4_jRbjT5_S1E_jjP12ihipStream_tbEUljE_ZNSN_ISO_Lb0ESQ_SR_ST_SU_SY_EESZ_S10_S11_S12_S16_S17_S18_S1B_S1C_jS1D_jS1E_S1E_jjS1G_bEUljE0_EEESZ_S10_S11_S18_S1C_S1E_T6_T7_T9_mT8_S1G_bDpT10_ENKUlT_T0_E_clISt17integral_constantIbLb0EES1T_IbLb1EEEEDaS1P_S1Q_EUlS1P_E_NS1_11comp_targetILNS1_3genE9ELNS1_11target_archE1100ELNS1_3gpuE3ELNS1_3repE0EEENS1_30default_config_static_selectorELNS0_4arch9wavefront6targetE0EEEvS12_.uses_flat_scratch, 0
	.set _ZN7rocprim17ROCPRIM_400000_NS6detail17trampoline_kernelINS0_13select_configILj256ELj13ELNS0_17block_load_methodE3ELS4_3ELS4_3ELNS0_20block_scan_algorithmE0ELj4294967295EEENS1_25partition_config_selectorILNS1_17partition_subalgoE4EjNS0_10empty_typeEbEEZZNS1_14partition_implILS8_4ELb0ES6_15HIP_vector_typeIjLj2EENS0_17counting_iteratorIjlEEPS9_SG_NS0_5tupleIJPjSI_NS0_16reverse_iteratorISI_EEEEENSH_IJSG_SG_SG_EEES9_SI_JZNS1_25segmented_radix_sort_implINS0_14default_configELb0EPKaPaPKlPlN2at6native12_GLOBAL__N_18offset_tEEE10hipError_tPvRmT1_PNSt15iterator_traitsIS12_E10value_typeET2_T3_PNS13_IS18_E10value_typeET4_jRbjT5_S1E_jjP12ihipStream_tbEUljE_ZNSN_ISO_Lb0ESQ_SR_ST_SU_SY_EESZ_S10_S11_S12_S16_S17_S18_S1B_S1C_jS1D_jS1E_S1E_jjS1G_bEUljE0_EEESZ_S10_S11_S18_S1C_S1E_T6_T7_T9_mT8_S1G_bDpT10_ENKUlT_T0_E_clISt17integral_constantIbLb0EES1T_IbLb1EEEEDaS1P_S1Q_EUlS1P_E_NS1_11comp_targetILNS1_3genE9ELNS1_11target_archE1100ELNS1_3gpuE3ELNS1_3repE0EEENS1_30default_config_static_selectorELNS0_4arch9wavefront6targetE0EEEvS12_.has_dyn_sized_stack, 0
	.set _ZN7rocprim17ROCPRIM_400000_NS6detail17trampoline_kernelINS0_13select_configILj256ELj13ELNS0_17block_load_methodE3ELS4_3ELS4_3ELNS0_20block_scan_algorithmE0ELj4294967295EEENS1_25partition_config_selectorILNS1_17partition_subalgoE4EjNS0_10empty_typeEbEEZZNS1_14partition_implILS8_4ELb0ES6_15HIP_vector_typeIjLj2EENS0_17counting_iteratorIjlEEPS9_SG_NS0_5tupleIJPjSI_NS0_16reverse_iteratorISI_EEEEENSH_IJSG_SG_SG_EEES9_SI_JZNS1_25segmented_radix_sort_implINS0_14default_configELb0EPKaPaPKlPlN2at6native12_GLOBAL__N_18offset_tEEE10hipError_tPvRmT1_PNSt15iterator_traitsIS12_E10value_typeET2_T3_PNS13_IS18_E10value_typeET4_jRbjT5_S1E_jjP12ihipStream_tbEUljE_ZNSN_ISO_Lb0ESQ_SR_ST_SU_SY_EESZ_S10_S11_S12_S16_S17_S18_S1B_S1C_jS1D_jS1E_S1E_jjS1G_bEUljE0_EEESZ_S10_S11_S18_S1C_S1E_T6_T7_T9_mT8_S1G_bDpT10_ENKUlT_T0_E_clISt17integral_constantIbLb0EES1T_IbLb1EEEEDaS1P_S1Q_EUlS1P_E_NS1_11comp_targetILNS1_3genE9ELNS1_11target_archE1100ELNS1_3gpuE3ELNS1_3repE0EEENS1_30default_config_static_selectorELNS0_4arch9wavefront6targetE0EEEvS12_.has_recursion, 0
	.set _ZN7rocprim17ROCPRIM_400000_NS6detail17trampoline_kernelINS0_13select_configILj256ELj13ELNS0_17block_load_methodE3ELS4_3ELS4_3ELNS0_20block_scan_algorithmE0ELj4294967295EEENS1_25partition_config_selectorILNS1_17partition_subalgoE4EjNS0_10empty_typeEbEEZZNS1_14partition_implILS8_4ELb0ES6_15HIP_vector_typeIjLj2EENS0_17counting_iteratorIjlEEPS9_SG_NS0_5tupleIJPjSI_NS0_16reverse_iteratorISI_EEEEENSH_IJSG_SG_SG_EEES9_SI_JZNS1_25segmented_radix_sort_implINS0_14default_configELb0EPKaPaPKlPlN2at6native12_GLOBAL__N_18offset_tEEE10hipError_tPvRmT1_PNSt15iterator_traitsIS12_E10value_typeET2_T3_PNS13_IS18_E10value_typeET4_jRbjT5_S1E_jjP12ihipStream_tbEUljE_ZNSN_ISO_Lb0ESQ_SR_ST_SU_SY_EESZ_S10_S11_S12_S16_S17_S18_S1B_S1C_jS1D_jS1E_S1E_jjS1G_bEUljE0_EEESZ_S10_S11_S18_S1C_S1E_T6_T7_T9_mT8_S1G_bDpT10_ENKUlT_T0_E_clISt17integral_constantIbLb0EES1T_IbLb1EEEEDaS1P_S1Q_EUlS1P_E_NS1_11comp_targetILNS1_3genE9ELNS1_11target_archE1100ELNS1_3gpuE3ELNS1_3repE0EEENS1_30default_config_static_selectorELNS0_4arch9wavefront6targetE0EEEvS12_.has_indirect_call, 0
	.section	.AMDGPU.csdata,"",@progbits
; Kernel info:
; codeLenInByte = 0
; TotalNumSgprs: 0
; NumVgprs: 0
; ScratchSize: 0
; MemoryBound: 0
; FloatMode: 240
; IeeeMode: 1
; LDSByteSize: 0 bytes/workgroup (compile time only)
; SGPRBlocks: 0
; VGPRBlocks: 0
; NumSGPRsForWavesPerEU: 1
; NumVGPRsForWavesPerEU: 1
; Occupancy: 16
; WaveLimiterHint : 0
; COMPUTE_PGM_RSRC2:SCRATCH_EN: 0
; COMPUTE_PGM_RSRC2:USER_SGPR: 2
; COMPUTE_PGM_RSRC2:TRAP_HANDLER: 0
; COMPUTE_PGM_RSRC2:TGID_X_EN: 1
; COMPUTE_PGM_RSRC2:TGID_Y_EN: 0
; COMPUTE_PGM_RSRC2:TGID_Z_EN: 0
; COMPUTE_PGM_RSRC2:TIDIG_COMP_CNT: 0
	.section	.text._ZN7rocprim17ROCPRIM_400000_NS6detail17trampoline_kernelINS0_13select_configILj256ELj13ELNS0_17block_load_methodE3ELS4_3ELS4_3ELNS0_20block_scan_algorithmE0ELj4294967295EEENS1_25partition_config_selectorILNS1_17partition_subalgoE4EjNS0_10empty_typeEbEEZZNS1_14partition_implILS8_4ELb0ES6_15HIP_vector_typeIjLj2EENS0_17counting_iteratorIjlEEPS9_SG_NS0_5tupleIJPjSI_NS0_16reverse_iteratorISI_EEEEENSH_IJSG_SG_SG_EEES9_SI_JZNS1_25segmented_radix_sort_implINS0_14default_configELb0EPKaPaPKlPlN2at6native12_GLOBAL__N_18offset_tEEE10hipError_tPvRmT1_PNSt15iterator_traitsIS12_E10value_typeET2_T3_PNS13_IS18_E10value_typeET4_jRbjT5_S1E_jjP12ihipStream_tbEUljE_ZNSN_ISO_Lb0ESQ_SR_ST_SU_SY_EESZ_S10_S11_S12_S16_S17_S18_S1B_S1C_jS1D_jS1E_S1E_jjS1G_bEUljE0_EEESZ_S10_S11_S18_S1C_S1E_T6_T7_T9_mT8_S1G_bDpT10_ENKUlT_T0_E_clISt17integral_constantIbLb0EES1T_IbLb1EEEEDaS1P_S1Q_EUlS1P_E_NS1_11comp_targetILNS1_3genE8ELNS1_11target_archE1030ELNS1_3gpuE2ELNS1_3repE0EEENS1_30default_config_static_selectorELNS0_4arch9wavefront6targetE0EEEvS12_,"axG",@progbits,_ZN7rocprim17ROCPRIM_400000_NS6detail17trampoline_kernelINS0_13select_configILj256ELj13ELNS0_17block_load_methodE3ELS4_3ELS4_3ELNS0_20block_scan_algorithmE0ELj4294967295EEENS1_25partition_config_selectorILNS1_17partition_subalgoE4EjNS0_10empty_typeEbEEZZNS1_14partition_implILS8_4ELb0ES6_15HIP_vector_typeIjLj2EENS0_17counting_iteratorIjlEEPS9_SG_NS0_5tupleIJPjSI_NS0_16reverse_iteratorISI_EEEEENSH_IJSG_SG_SG_EEES9_SI_JZNS1_25segmented_radix_sort_implINS0_14default_configELb0EPKaPaPKlPlN2at6native12_GLOBAL__N_18offset_tEEE10hipError_tPvRmT1_PNSt15iterator_traitsIS12_E10value_typeET2_T3_PNS13_IS18_E10value_typeET4_jRbjT5_S1E_jjP12ihipStream_tbEUljE_ZNSN_ISO_Lb0ESQ_SR_ST_SU_SY_EESZ_S10_S11_S12_S16_S17_S18_S1B_S1C_jS1D_jS1E_S1E_jjS1G_bEUljE0_EEESZ_S10_S11_S18_S1C_S1E_T6_T7_T9_mT8_S1G_bDpT10_ENKUlT_T0_E_clISt17integral_constantIbLb0EES1T_IbLb1EEEEDaS1P_S1Q_EUlS1P_E_NS1_11comp_targetILNS1_3genE8ELNS1_11target_archE1030ELNS1_3gpuE2ELNS1_3repE0EEENS1_30default_config_static_selectorELNS0_4arch9wavefront6targetE0EEEvS12_,comdat
	.globl	_ZN7rocprim17ROCPRIM_400000_NS6detail17trampoline_kernelINS0_13select_configILj256ELj13ELNS0_17block_load_methodE3ELS4_3ELS4_3ELNS0_20block_scan_algorithmE0ELj4294967295EEENS1_25partition_config_selectorILNS1_17partition_subalgoE4EjNS0_10empty_typeEbEEZZNS1_14partition_implILS8_4ELb0ES6_15HIP_vector_typeIjLj2EENS0_17counting_iteratorIjlEEPS9_SG_NS0_5tupleIJPjSI_NS0_16reverse_iteratorISI_EEEEENSH_IJSG_SG_SG_EEES9_SI_JZNS1_25segmented_radix_sort_implINS0_14default_configELb0EPKaPaPKlPlN2at6native12_GLOBAL__N_18offset_tEEE10hipError_tPvRmT1_PNSt15iterator_traitsIS12_E10value_typeET2_T3_PNS13_IS18_E10value_typeET4_jRbjT5_S1E_jjP12ihipStream_tbEUljE_ZNSN_ISO_Lb0ESQ_SR_ST_SU_SY_EESZ_S10_S11_S12_S16_S17_S18_S1B_S1C_jS1D_jS1E_S1E_jjS1G_bEUljE0_EEESZ_S10_S11_S18_S1C_S1E_T6_T7_T9_mT8_S1G_bDpT10_ENKUlT_T0_E_clISt17integral_constantIbLb0EES1T_IbLb1EEEEDaS1P_S1Q_EUlS1P_E_NS1_11comp_targetILNS1_3genE8ELNS1_11target_archE1030ELNS1_3gpuE2ELNS1_3repE0EEENS1_30default_config_static_selectorELNS0_4arch9wavefront6targetE0EEEvS12_ ; -- Begin function _ZN7rocprim17ROCPRIM_400000_NS6detail17trampoline_kernelINS0_13select_configILj256ELj13ELNS0_17block_load_methodE3ELS4_3ELS4_3ELNS0_20block_scan_algorithmE0ELj4294967295EEENS1_25partition_config_selectorILNS1_17partition_subalgoE4EjNS0_10empty_typeEbEEZZNS1_14partition_implILS8_4ELb0ES6_15HIP_vector_typeIjLj2EENS0_17counting_iteratorIjlEEPS9_SG_NS0_5tupleIJPjSI_NS0_16reverse_iteratorISI_EEEEENSH_IJSG_SG_SG_EEES9_SI_JZNS1_25segmented_radix_sort_implINS0_14default_configELb0EPKaPaPKlPlN2at6native12_GLOBAL__N_18offset_tEEE10hipError_tPvRmT1_PNSt15iterator_traitsIS12_E10value_typeET2_T3_PNS13_IS18_E10value_typeET4_jRbjT5_S1E_jjP12ihipStream_tbEUljE_ZNSN_ISO_Lb0ESQ_SR_ST_SU_SY_EESZ_S10_S11_S12_S16_S17_S18_S1B_S1C_jS1D_jS1E_S1E_jjS1G_bEUljE0_EEESZ_S10_S11_S18_S1C_S1E_T6_T7_T9_mT8_S1G_bDpT10_ENKUlT_T0_E_clISt17integral_constantIbLb0EES1T_IbLb1EEEEDaS1P_S1Q_EUlS1P_E_NS1_11comp_targetILNS1_3genE8ELNS1_11target_archE1030ELNS1_3gpuE2ELNS1_3repE0EEENS1_30default_config_static_selectorELNS0_4arch9wavefront6targetE0EEEvS12_
	.p2align	8
	.type	_ZN7rocprim17ROCPRIM_400000_NS6detail17trampoline_kernelINS0_13select_configILj256ELj13ELNS0_17block_load_methodE3ELS4_3ELS4_3ELNS0_20block_scan_algorithmE0ELj4294967295EEENS1_25partition_config_selectorILNS1_17partition_subalgoE4EjNS0_10empty_typeEbEEZZNS1_14partition_implILS8_4ELb0ES6_15HIP_vector_typeIjLj2EENS0_17counting_iteratorIjlEEPS9_SG_NS0_5tupleIJPjSI_NS0_16reverse_iteratorISI_EEEEENSH_IJSG_SG_SG_EEES9_SI_JZNS1_25segmented_radix_sort_implINS0_14default_configELb0EPKaPaPKlPlN2at6native12_GLOBAL__N_18offset_tEEE10hipError_tPvRmT1_PNSt15iterator_traitsIS12_E10value_typeET2_T3_PNS13_IS18_E10value_typeET4_jRbjT5_S1E_jjP12ihipStream_tbEUljE_ZNSN_ISO_Lb0ESQ_SR_ST_SU_SY_EESZ_S10_S11_S12_S16_S17_S18_S1B_S1C_jS1D_jS1E_S1E_jjS1G_bEUljE0_EEESZ_S10_S11_S18_S1C_S1E_T6_T7_T9_mT8_S1G_bDpT10_ENKUlT_T0_E_clISt17integral_constantIbLb0EES1T_IbLb1EEEEDaS1P_S1Q_EUlS1P_E_NS1_11comp_targetILNS1_3genE8ELNS1_11target_archE1030ELNS1_3gpuE2ELNS1_3repE0EEENS1_30default_config_static_selectorELNS0_4arch9wavefront6targetE0EEEvS12_,@function
_ZN7rocprim17ROCPRIM_400000_NS6detail17trampoline_kernelINS0_13select_configILj256ELj13ELNS0_17block_load_methodE3ELS4_3ELS4_3ELNS0_20block_scan_algorithmE0ELj4294967295EEENS1_25partition_config_selectorILNS1_17partition_subalgoE4EjNS0_10empty_typeEbEEZZNS1_14partition_implILS8_4ELb0ES6_15HIP_vector_typeIjLj2EENS0_17counting_iteratorIjlEEPS9_SG_NS0_5tupleIJPjSI_NS0_16reverse_iteratorISI_EEEEENSH_IJSG_SG_SG_EEES9_SI_JZNS1_25segmented_radix_sort_implINS0_14default_configELb0EPKaPaPKlPlN2at6native12_GLOBAL__N_18offset_tEEE10hipError_tPvRmT1_PNSt15iterator_traitsIS12_E10value_typeET2_T3_PNS13_IS18_E10value_typeET4_jRbjT5_S1E_jjP12ihipStream_tbEUljE_ZNSN_ISO_Lb0ESQ_SR_ST_SU_SY_EESZ_S10_S11_S12_S16_S17_S18_S1B_S1C_jS1D_jS1E_S1E_jjS1G_bEUljE0_EEESZ_S10_S11_S18_S1C_S1E_T6_T7_T9_mT8_S1G_bDpT10_ENKUlT_T0_E_clISt17integral_constantIbLb0EES1T_IbLb1EEEEDaS1P_S1Q_EUlS1P_E_NS1_11comp_targetILNS1_3genE8ELNS1_11target_archE1030ELNS1_3gpuE2ELNS1_3repE0EEENS1_30default_config_static_selectorELNS0_4arch9wavefront6targetE0EEEvS12_: ; @_ZN7rocprim17ROCPRIM_400000_NS6detail17trampoline_kernelINS0_13select_configILj256ELj13ELNS0_17block_load_methodE3ELS4_3ELS4_3ELNS0_20block_scan_algorithmE0ELj4294967295EEENS1_25partition_config_selectorILNS1_17partition_subalgoE4EjNS0_10empty_typeEbEEZZNS1_14partition_implILS8_4ELb0ES6_15HIP_vector_typeIjLj2EENS0_17counting_iteratorIjlEEPS9_SG_NS0_5tupleIJPjSI_NS0_16reverse_iteratorISI_EEEEENSH_IJSG_SG_SG_EEES9_SI_JZNS1_25segmented_radix_sort_implINS0_14default_configELb0EPKaPaPKlPlN2at6native12_GLOBAL__N_18offset_tEEE10hipError_tPvRmT1_PNSt15iterator_traitsIS12_E10value_typeET2_T3_PNS13_IS18_E10value_typeET4_jRbjT5_S1E_jjP12ihipStream_tbEUljE_ZNSN_ISO_Lb0ESQ_SR_ST_SU_SY_EESZ_S10_S11_S12_S16_S17_S18_S1B_S1C_jS1D_jS1E_S1E_jjS1G_bEUljE0_EEESZ_S10_S11_S18_S1C_S1E_T6_T7_T9_mT8_S1G_bDpT10_ENKUlT_T0_E_clISt17integral_constantIbLb0EES1T_IbLb1EEEEDaS1P_S1Q_EUlS1P_E_NS1_11comp_targetILNS1_3genE8ELNS1_11target_archE1030ELNS1_3gpuE2ELNS1_3repE0EEENS1_30default_config_static_selectorELNS0_4arch9wavefront6targetE0EEEvS12_
; %bb.0:
	.section	.rodata,"a",@progbits
	.p2align	6, 0x0
	.amdhsa_kernel _ZN7rocprim17ROCPRIM_400000_NS6detail17trampoline_kernelINS0_13select_configILj256ELj13ELNS0_17block_load_methodE3ELS4_3ELS4_3ELNS0_20block_scan_algorithmE0ELj4294967295EEENS1_25partition_config_selectorILNS1_17partition_subalgoE4EjNS0_10empty_typeEbEEZZNS1_14partition_implILS8_4ELb0ES6_15HIP_vector_typeIjLj2EENS0_17counting_iteratorIjlEEPS9_SG_NS0_5tupleIJPjSI_NS0_16reverse_iteratorISI_EEEEENSH_IJSG_SG_SG_EEES9_SI_JZNS1_25segmented_radix_sort_implINS0_14default_configELb0EPKaPaPKlPlN2at6native12_GLOBAL__N_18offset_tEEE10hipError_tPvRmT1_PNSt15iterator_traitsIS12_E10value_typeET2_T3_PNS13_IS18_E10value_typeET4_jRbjT5_S1E_jjP12ihipStream_tbEUljE_ZNSN_ISO_Lb0ESQ_SR_ST_SU_SY_EESZ_S10_S11_S12_S16_S17_S18_S1B_S1C_jS1D_jS1E_S1E_jjS1G_bEUljE0_EEESZ_S10_S11_S18_S1C_S1E_T6_T7_T9_mT8_S1G_bDpT10_ENKUlT_T0_E_clISt17integral_constantIbLb0EES1T_IbLb1EEEEDaS1P_S1Q_EUlS1P_E_NS1_11comp_targetILNS1_3genE8ELNS1_11target_archE1030ELNS1_3gpuE2ELNS1_3repE0EEENS1_30default_config_static_selectorELNS0_4arch9wavefront6targetE0EEEvS12_
		.amdhsa_group_segment_fixed_size 0
		.amdhsa_private_segment_fixed_size 0
		.amdhsa_kernarg_size 184
		.amdhsa_user_sgpr_count 2
		.amdhsa_user_sgpr_dispatch_ptr 0
		.amdhsa_user_sgpr_queue_ptr 0
		.amdhsa_user_sgpr_kernarg_segment_ptr 1
		.amdhsa_user_sgpr_dispatch_id 0
		.amdhsa_user_sgpr_private_segment_size 0
		.amdhsa_wavefront_size32 1
		.amdhsa_uses_dynamic_stack 0
		.amdhsa_enable_private_segment 0
		.amdhsa_system_sgpr_workgroup_id_x 1
		.amdhsa_system_sgpr_workgroup_id_y 0
		.amdhsa_system_sgpr_workgroup_id_z 0
		.amdhsa_system_sgpr_workgroup_info 0
		.amdhsa_system_vgpr_workitem_id 0
		.amdhsa_next_free_vgpr 1
		.amdhsa_next_free_sgpr 1
		.amdhsa_reserve_vcc 0
		.amdhsa_float_round_mode_32 0
		.amdhsa_float_round_mode_16_64 0
		.amdhsa_float_denorm_mode_32 3
		.amdhsa_float_denorm_mode_16_64 3
		.amdhsa_fp16_overflow 0
		.amdhsa_workgroup_processor_mode 1
		.amdhsa_memory_ordered 1
		.amdhsa_forward_progress 1
		.amdhsa_inst_pref_size 0
		.amdhsa_round_robin_scheduling 0
		.amdhsa_exception_fp_ieee_invalid_op 0
		.amdhsa_exception_fp_denorm_src 0
		.amdhsa_exception_fp_ieee_div_zero 0
		.amdhsa_exception_fp_ieee_overflow 0
		.amdhsa_exception_fp_ieee_underflow 0
		.amdhsa_exception_fp_ieee_inexact 0
		.amdhsa_exception_int_div_zero 0
	.end_amdhsa_kernel
	.section	.text._ZN7rocprim17ROCPRIM_400000_NS6detail17trampoline_kernelINS0_13select_configILj256ELj13ELNS0_17block_load_methodE3ELS4_3ELS4_3ELNS0_20block_scan_algorithmE0ELj4294967295EEENS1_25partition_config_selectorILNS1_17partition_subalgoE4EjNS0_10empty_typeEbEEZZNS1_14partition_implILS8_4ELb0ES6_15HIP_vector_typeIjLj2EENS0_17counting_iteratorIjlEEPS9_SG_NS0_5tupleIJPjSI_NS0_16reverse_iteratorISI_EEEEENSH_IJSG_SG_SG_EEES9_SI_JZNS1_25segmented_radix_sort_implINS0_14default_configELb0EPKaPaPKlPlN2at6native12_GLOBAL__N_18offset_tEEE10hipError_tPvRmT1_PNSt15iterator_traitsIS12_E10value_typeET2_T3_PNS13_IS18_E10value_typeET4_jRbjT5_S1E_jjP12ihipStream_tbEUljE_ZNSN_ISO_Lb0ESQ_SR_ST_SU_SY_EESZ_S10_S11_S12_S16_S17_S18_S1B_S1C_jS1D_jS1E_S1E_jjS1G_bEUljE0_EEESZ_S10_S11_S18_S1C_S1E_T6_T7_T9_mT8_S1G_bDpT10_ENKUlT_T0_E_clISt17integral_constantIbLb0EES1T_IbLb1EEEEDaS1P_S1Q_EUlS1P_E_NS1_11comp_targetILNS1_3genE8ELNS1_11target_archE1030ELNS1_3gpuE2ELNS1_3repE0EEENS1_30default_config_static_selectorELNS0_4arch9wavefront6targetE0EEEvS12_,"axG",@progbits,_ZN7rocprim17ROCPRIM_400000_NS6detail17trampoline_kernelINS0_13select_configILj256ELj13ELNS0_17block_load_methodE3ELS4_3ELS4_3ELNS0_20block_scan_algorithmE0ELj4294967295EEENS1_25partition_config_selectorILNS1_17partition_subalgoE4EjNS0_10empty_typeEbEEZZNS1_14partition_implILS8_4ELb0ES6_15HIP_vector_typeIjLj2EENS0_17counting_iteratorIjlEEPS9_SG_NS0_5tupleIJPjSI_NS0_16reverse_iteratorISI_EEEEENSH_IJSG_SG_SG_EEES9_SI_JZNS1_25segmented_radix_sort_implINS0_14default_configELb0EPKaPaPKlPlN2at6native12_GLOBAL__N_18offset_tEEE10hipError_tPvRmT1_PNSt15iterator_traitsIS12_E10value_typeET2_T3_PNS13_IS18_E10value_typeET4_jRbjT5_S1E_jjP12ihipStream_tbEUljE_ZNSN_ISO_Lb0ESQ_SR_ST_SU_SY_EESZ_S10_S11_S12_S16_S17_S18_S1B_S1C_jS1D_jS1E_S1E_jjS1G_bEUljE0_EEESZ_S10_S11_S18_S1C_S1E_T6_T7_T9_mT8_S1G_bDpT10_ENKUlT_T0_E_clISt17integral_constantIbLb0EES1T_IbLb1EEEEDaS1P_S1Q_EUlS1P_E_NS1_11comp_targetILNS1_3genE8ELNS1_11target_archE1030ELNS1_3gpuE2ELNS1_3repE0EEENS1_30default_config_static_selectorELNS0_4arch9wavefront6targetE0EEEvS12_,comdat
.Lfunc_end360:
	.size	_ZN7rocprim17ROCPRIM_400000_NS6detail17trampoline_kernelINS0_13select_configILj256ELj13ELNS0_17block_load_methodE3ELS4_3ELS4_3ELNS0_20block_scan_algorithmE0ELj4294967295EEENS1_25partition_config_selectorILNS1_17partition_subalgoE4EjNS0_10empty_typeEbEEZZNS1_14partition_implILS8_4ELb0ES6_15HIP_vector_typeIjLj2EENS0_17counting_iteratorIjlEEPS9_SG_NS0_5tupleIJPjSI_NS0_16reverse_iteratorISI_EEEEENSH_IJSG_SG_SG_EEES9_SI_JZNS1_25segmented_radix_sort_implINS0_14default_configELb0EPKaPaPKlPlN2at6native12_GLOBAL__N_18offset_tEEE10hipError_tPvRmT1_PNSt15iterator_traitsIS12_E10value_typeET2_T3_PNS13_IS18_E10value_typeET4_jRbjT5_S1E_jjP12ihipStream_tbEUljE_ZNSN_ISO_Lb0ESQ_SR_ST_SU_SY_EESZ_S10_S11_S12_S16_S17_S18_S1B_S1C_jS1D_jS1E_S1E_jjS1G_bEUljE0_EEESZ_S10_S11_S18_S1C_S1E_T6_T7_T9_mT8_S1G_bDpT10_ENKUlT_T0_E_clISt17integral_constantIbLb0EES1T_IbLb1EEEEDaS1P_S1Q_EUlS1P_E_NS1_11comp_targetILNS1_3genE8ELNS1_11target_archE1030ELNS1_3gpuE2ELNS1_3repE0EEENS1_30default_config_static_selectorELNS0_4arch9wavefront6targetE0EEEvS12_, .Lfunc_end360-_ZN7rocprim17ROCPRIM_400000_NS6detail17trampoline_kernelINS0_13select_configILj256ELj13ELNS0_17block_load_methodE3ELS4_3ELS4_3ELNS0_20block_scan_algorithmE0ELj4294967295EEENS1_25partition_config_selectorILNS1_17partition_subalgoE4EjNS0_10empty_typeEbEEZZNS1_14partition_implILS8_4ELb0ES6_15HIP_vector_typeIjLj2EENS0_17counting_iteratorIjlEEPS9_SG_NS0_5tupleIJPjSI_NS0_16reverse_iteratorISI_EEEEENSH_IJSG_SG_SG_EEES9_SI_JZNS1_25segmented_radix_sort_implINS0_14default_configELb0EPKaPaPKlPlN2at6native12_GLOBAL__N_18offset_tEEE10hipError_tPvRmT1_PNSt15iterator_traitsIS12_E10value_typeET2_T3_PNS13_IS18_E10value_typeET4_jRbjT5_S1E_jjP12ihipStream_tbEUljE_ZNSN_ISO_Lb0ESQ_SR_ST_SU_SY_EESZ_S10_S11_S12_S16_S17_S18_S1B_S1C_jS1D_jS1E_S1E_jjS1G_bEUljE0_EEESZ_S10_S11_S18_S1C_S1E_T6_T7_T9_mT8_S1G_bDpT10_ENKUlT_T0_E_clISt17integral_constantIbLb0EES1T_IbLb1EEEEDaS1P_S1Q_EUlS1P_E_NS1_11comp_targetILNS1_3genE8ELNS1_11target_archE1030ELNS1_3gpuE2ELNS1_3repE0EEENS1_30default_config_static_selectorELNS0_4arch9wavefront6targetE0EEEvS12_
                                        ; -- End function
	.set _ZN7rocprim17ROCPRIM_400000_NS6detail17trampoline_kernelINS0_13select_configILj256ELj13ELNS0_17block_load_methodE3ELS4_3ELS4_3ELNS0_20block_scan_algorithmE0ELj4294967295EEENS1_25partition_config_selectorILNS1_17partition_subalgoE4EjNS0_10empty_typeEbEEZZNS1_14partition_implILS8_4ELb0ES6_15HIP_vector_typeIjLj2EENS0_17counting_iteratorIjlEEPS9_SG_NS0_5tupleIJPjSI_NS0_16reverse_iteratorISI_EEEEENSH_IJSG_SG_SG_EEES9_SI_JZNS1_25segmented_radix_sort_implINS0_14default_configELb0EPKaPaPKlPlN2at6native12_GLOBAL__N_18offset_tEEE10hipError_tPvRmT1_PNSt15iterator_traitsIS12_E10value_typeET2_T3_PNS13_IS18_E10value_typeET4_jRbjT5_S1E_jjP12ihipStream_tbEUljE_ZNSN_ISO_Lb0ESQ_SR_ST_SU_SY_EESZ_S10_S11_S12_S16_S17_S18_S1B_S1C_jS1D_jS1E_S1E_jjS1G_bEUljE0_EEESZ_S10_S11_S18_S1C_S1E_T6_T7_T9_mT8_S1G_bDpT10_ENKUlT_T0_E_clISt17integral_constantIbLb0EES1T_IbLb1EEEEDaS1P_S1Q_EUlS1P_E_NS1_11comp_targetILNS1_3genE8ELNS1_11target_archE1030ELNS1_3gpuE2ELNS1_3repE0EEENS1_30default_config_static_selectorELNS0_4arch9wavefront6targetE0EEEvS12_.num_vgpr, 0
	.set _ZN7rocprim17ROCPRIM_400000_NS6detail17trampoline_kernelINS0_13select_configILj256ELj13ELNS0_17block_load_methodE3ELS4_3ELS4_3ELNS0_20block_scan_algorithmE0ELj4294967295EEENS1_25partition_config_selectorILNS1_17partition_subalgoE4EjNS0_10empty_typeEbEEZZNS1_14partition_implILS8_4ELb0ES6_15HIP_vector_typeIjLj2EENS0_17counting_iteratorIjlEEPS9_SG_NS0_5tupleIJPjSI_NS0_16reverse_iteratorISI_EEEEENSH_IJSG_SG_SG_EEES9_SI_JZNS1_25segmented_radix_sort_implINS0_14default_configELb0EPKaPaPKlPlN2at6native12_GLOBAL__N_18offset_tEEE10hipError_tPvRmT1_PNSt15iterator_traitsIS12_E10value_typeET2_T3_PNS13_IS18_E10value_typeET4_jRbjT5_S1E_jjP12ihipStream_tbEUljE_ZNSN_ISO_Lb0ESQ_SR_ST_SU_SY_EESZ_S10_S11_S12_S16_S17_S18_S1B_S1C_jS1D_jS1E_S1E_jjS1G_bEUljE0_EEESZ_S10_S11_S18_S1C_S1E_T6_T7_T9_mT8_S1G_bDpT10_ENKUlT_T0_E_clISt17integral_constantIbLb0EES1T_IbLb1EEEEDaS1P_S1Q_EUlS1P_E_NS1_11comp_targetILNS1_3genE8ELNS1_11target_archE1030ELNS1_3gpuE2ELNS1_3repE0EEENS1_30default_config_static_selectorELNS0_4arch9wavefront6targetE0EEEvS12_.num_agpr, 0
	.set _ZN7rocprim17ROCPRIM_400000_NS6detail17trampoline_kernelINS0_13select_configILj256ELj13ELNS0_17block_load_methodE3ELS4_3ELS4_3ELNS0_20block_scan_algorithmE0ELj4294967295EEENS1_25partition_config_selectorILNS1_17partition_subalgoE4EjNS0_10empty_typeEbEEZZNS1_14partition_implILS8_4ELb0ES6_15HIP_vector_typeIjLj2EENS0_17counting_iteratorIjlEEPS9_SG_NS0_5tupleIJPjSI_NS0_16reverse_iteratorISI_EEEEENSH_IJSG_SG_SG_EEES9_SI_JZNS1_25segmented_radix_sort_implINS0_14default_configELb0EPKaPaPKlPlN2at6native12_GLOBAL__N_18offset_tEEE10hipError_tPvRmT1_PNSt15iterator_traitsIS12_E10value_typeET2_T3_PNS13_IS18_E10value_typeET4_jRbjT5_S1E_jjP12ihipStream_tbEUljE_ZNSN_ISO_Lb0ESQ_SR_ST_SU_SY_EESZ_S10_S11_S12_S16_S17_S18_S1B_S1C_jS1D_jS1E_S1E_jjS1G_bEUljE0_EEESZ_S10_S11_S18_S1C_S1E_T6_T7_T9_mT8_S1G_bDpT10_ENKUlT_T0_E_clISt17integral_constantIbLb0EES1T_IbLb1EEEEDaS1P_S1Q_EUlS1P_E_NS1_11comp_targetILNS1_3genE8ELNS1_11target_archE1030ELNS1_3gpuE2ELNS1_3repE0EEENS1_30default_config_static_selectorELNS0_4arch9wavefront6targetE0EEEvS12_.numbered_sgpr, 0
	.set _ZN7rocprim17ROCPRIM_400000_NS6detail17trampoline_kernelINS0_13select_configILj256ELj13ELNS0_17block_load_methodE3ELS4_3ELS4_3ELNS0_20block_scan_algorithmE0ELj4294967295EEENS1_25partition_config_selectorILNS1_17partition_subalgoE4EjNS0_10empty_typeEbEEZZNS1_14partition_implILS8_4ELb0ES6_15HIP_vector_typeIjLj2EENS0_17counting_iteratorIjlEEPS9_SG_NS0_5tupleIJPjSI_NS0_16reverse_iteratorISI_EEEEENSH_IJSG_SG_SG_EEES9_SI_JZNS1_25segmented_radix_sort_implINS0_14default_configELb0EPKaPaPKlPlN2at6native12_GLOBAL__N_18offset_tEEE10hipError_tPvRmT1_PNSt15iterator_traitsIS12_E10value_typeET2_T3_PNS13_IS18_E10value_typeET4_jRbjT5_S1E_jjP12ihipStream_tbEUljE_ZNSN_ISO_Lb0ESQ_SR_ST_SU_SY_EESZ_S10_S11_S12_S16_S17_S18_S1B_S1C_jS1D_jS1E_S1E_jjS1G_bEUljE0_EEESZ_S10_S11_S18_S1C_S1E_T6_T7_T9_mT8_S1G_bDpT10_ENKUlT_T0_E_clISt17integral_constantIbLb0EES1T_IbLb1EEEEDaS1P_S1Q_EUlS1P_E_NS1_11comp_targetILNS1_3genE8ELNS1_11target_archE1030ELNS1_3gpuE2ELNS1_3repE0EEENS1_30default_config_static_selectorELNS0_4arch9wavefront6targetE0EEEvS12_.num_named_barrier, 0
	.set _ZN7rocprim17ROCPRIM_400000_NS6detail17trampoline_kernelINS0_13select_configILj256ELj13ELNS0_17block_load_methodE3ELS4_3ELS4_3ELNS0_20block_scan_algorithmE0ELj4294967295EEENS1_25partition_config_selectorILNS1_17partition_subalgoE4EjNS0_10empty_typeEbEEZZNS1_14partition_implILS8_4ELb0ES6_15HIP_vector_typeIjLj2EENS0_17counting_iteratorIjlEEPS9_SG_NS0_5tupleIJPjSI_NS0_16reverse_iteratorISI_EEEEENSH_IJSG_SG_SG_EEES9_SI_JZNS1_25segmented_radix_sort_implINS0_14default_configELb0EPKaPaPKlPlN2at6native12_GLOBAL__N_18offset_tEEE10hipError_tPvRmT1_PNSt15iterator_traitsIS12_E10value_typeET2_T3_PNS13_IS18_E10value_typeET4_jRbjT5_S1E_jjP12ihipStream_tbEUljE_ZNSN_ISO_Lb0ESQ_SR_ST_SU_SY_EESZ_S10_S11_S12_S16_S17_S18_S1B_S1C_jS1D_jS1E_S1E_jjS1G_bEUljE0_EEESZ_S10_S11_S18_S1C_S1E_T6_T7_T9_mT8_S1G_bDpT10_ENKUlT_T0_E_clISt17integral_constantIbLb0EES1T_IbLb1EEEEDaS1P_S1Q_EUlS1P_E_NS1_11comp_targetILNS1_3genE8ELNS1_11target_archE1030ELNS1_3gpuE2ELNS1_3repE0EEENS1_30default_config_static_selectorELNS0_4arch9wavefront6targetE0EEEvS12_.private_seg_size, 0
	.set _ZN7rocprim17ROCPRIM_400000_NS6detail17trampoline_kernelINS0_13select_configILj256ELj13ELNS0_17block_load_methodE3ELS4_3ELS4_3ELNS0_20block_scan_algorithmE0ELj4294967295EEENS1_25partition_config_selectorILNS1_17partition_subalgoE4EjNS0_10empty_typeEbEEZZNS1_14partition_implILS8_4ELb0ES6_15HIP_vector_typeIjLj2EENS0_17counting_iteratorIjlEEPS9_SG_NS0_5tupleIJPjSI_NS0_16reverse_iteratorISI_EEEEENSH_IJSG_SG_SG_EEES9_SI_JZNS1_25segmented_radix_sort_implINS0_14default_configELb0EPKaPaPKlPlN2at6native12_GLOBAL__N_18offset_tEEE10hipError_tPvRmT1_PNSt15iterator_traitsIS12_E10value_typeET2_T3_PNS13_IS18_E10value_typeET4_jRbjT5_S1E_jjP12ihipStream_tbEUljE_ZNSN_ISO_Lb0ESQ_SR_ST_SU_SY_EESZ_S10_S11_S12_S16_S17_S18_S1B_S1C_jS1D_jS1E_S1E_jjS1G_bEUljE0_EEESZ_S10_S11_S18_S1C_S1E_T6_T7_T9_mT8_S1G_bDpT10_ENKUlT_T0_E_clISt17integral_constantIbLb0EES1T_IbLb1EEEEDaS1P_S1Q_EUlS1P_E_NS1_11comp_targetILNS1_3genE8ELNS1_11target_archE1030ELNS1_3gpuE2ELNS1_3repE0EEENS1_30default_config_static_selectorELNS0_4arch9wavefront6targetE0EEEvS12_.uses_vcc, 0
	.set _ZN7rocprim17ROCPRIM_400000_NS6detail17trampoline_kernelINS0_13select_configILj256ELj13ELNS0_17block_load_methodE3ELS4_3ELS4_3ELNS0_20block_scan_algorithmE0ELj4294967295EEENS1_25partition_config_selectorILNS1_17partition_subalgoE4EjNS0_10empty_typeEbEEZZNS1_14partition_implILS8_4ELb0ES6_15HIP_vector_typeIjLj2EENS0_17counting_iteratorIjlEEPS9_SG_NS0_5tupleIJPjSI_NS0_16reverse_iteratorISI_EEEEENSH_IJSG_SG_SG_EEES9_SI_JZNS1_25segmented_radix_sort_implINS0_14default_configELb0EPKaPaPKlPlN2at6native12_GLOBAL__N_18offset_tEEE10hipError_tPvRmT1_PNSt15iterator_traitsIS12_E10value_typeET2_T3_PNS13_IS18_E10value_typeET4_jRbjT5_S1E_jjP12ihipStream_tbEUljE_ZNSN_ISO_Lb0ESQ_SR_ST_SU_SY_EESZ_S10_S11_S12_S16_S17_S18_S1B_S1C_jS1D_jS1E_S1E_jjS1G_bEUljE0_EEESZ_S10_S11_S18_S1C_S1E_T6_T7_T9_mT8_S1G_bDpT10_ENKUlT_T0_E_clISt17integral_constantIbLb0EES1T_IbLb1EEEEDaS1P_S1Q_EUlS1P_E_NS1_11comp_targetILNS1_3genE8ELNS1_11target_archE1030ELNS1_3gpuE2ELNS1_3repE0EEENS1_30default_config_static_selectorELNS0_4arch9wavefront6targetE0EEEvS12_.uses_flat_scratch, 0
	.set _ZN7rocprim17ROCPRIM_400000_NS6detail17trampoline_kernelINS0_13select_configILj256ELj13ELNS0_17block_load_methodE3ELS4_3ELS4_3ELNS0_20block_scan_algorithmE0ELj4294967295EEENS1_25partition_config_selectorILNS1_17partition_subalgoE4EjNS0_10empty_typeEbEEZZNS1_14partition_implILS8_4ELb0ES6_15HIP_vector_typeIjLj2EENS0_17counting_iteratorIjlEEPS9_SG_NS0_5tupleIJPjSI_NS0_16reverse_iteratorISI_EEEEENSH_IJSG_SG_SG_EEES9_SI_JZNS1_25segmented_radix_sort_implINS0_14default_configELb0EPKaPaPKlPlN2at6native12_GLOBAL__N_18offset_tEEE10hipError_tPvRmT1_PNSt15iterator_traitsIS12_E10value_typeET2_T3_PNS13_IS18_E10value_typeET4_jRbjT5_S1E_jjP12ihipStream_tbEUljE_ZNSN_ISO_Lb0ESQ_SR_ST_SU_SY_EESZ_S10_S11_S12_S16_S17_S18_S1B_S1C_jS1D_jS1E_S1E_jjS1G_bEUljE0_EEESZ_S10_S11_S18_S1C_S1E_T6_T7_T9_mT8_S1G_bDpT10_ENKUlT_T0_E_clISt17integral_constantIbLb0EES1T_IbLb1EEEEDaS1P_S1Q_EUlS1P_E_NS1_11comp_targetILNS1_3genE8ELNS1_11target_archE1030ELNS1_3gpuE2ELNS1_3repE0EEENS1_30default_config_static_selectorELNS0_4arch9wavefront6targetE0EEEvS12_.has_dyn_sized_stack, 0
	.set _ZN7rocprim17ROCPRIM_400000_NS6detail17trampoline_kernelINS0_13select_configILj256ELj13ELNS0_17block_load_methodE3ELS4_3ELS4_3ELNS0_20block_scan_algorithmE0ELj4294967295EEENS1_25partition_config_selectorILNS1_17partition_subalgoE4EjNS0_10empty_typeEbEEZZNS1_14partition_implILS8_4ELb0ES6_15HIP_vector_typeIjLj2EENS0_17counting_iteratorIjlEEPS9_SG_NS0_5tupleIJPjSI_NS0_16reverse_iteratorISI_EEEEENSH_IJSG_SG_SG_EEES9_SI_JZNS1_25segmented_radix_sort_implINS0_14default_configELb0EPKaPaPKlPlN2at6native12_GLOBAL__N_18offset_tEEE10hipError_tPvRmT1_PNSt15iterator_traitsIS12_E10value_typeET2_T3_PNS13_IS18_E10value_typeET4_jRbjT5_S1E_jjP12ihipStream_tbEUljE_ZNSN_ISO_Lb0ESQ_SR_ST_SU_SY_EESZ_S10_S11_S12_S16_S17_S18_S1B_S1C_jS1D_jS1E_S1E_jjS1G_bEUljE0_EEESZ_S10_S11_S18_S1C_S1E_T6_T7_T9_mT8_S1G_bDpT10_ENKUlT_T0_E_clISt17integral_constantIbLb0EES1T_IbLb1EEEEDaS1P_S1Q_EUlS1P_E_NS1_11comp_targetILNS1_3genE8ELNS1_11target_archE1030ELNS1_3gpuE2ELNS1_3repE0EEENS1_30default_config_static_selectorELNS0_4arch9wavefront6targetE0EEEvS12_.has_recursion, 0
	.set _ZN7rocprim17ROCPRIM_400000_NS6detail17trampoline_kernelINS0_13select_configILj256ELj13ELNS0_17block_load_methodE3ELS4_3ELS4_3ELNS0_20block_scan_algorithmE0ELj4294967295EEENS1_25partition_config_selectorILNS1_17partition_subalgoE4EjNS0_10empty_typeEbEEZZNS1_14partition_implILS8_4ELb0ES6_15HIP_vector_typeIjLj2EENS0_17counting_iteratorIjlEEPS9_SG_NS0_5tupleIJPjSI_NS0_16reverse_iteratorISI_EEEEENSH_IJSG_SG_SG_EEES9_SI_JZNS1_25segmented_radix_sort_implINS0_14default_configELb0EPKaPaPKlPlN2at6native12_GLOBAL__N_18offset_tEEE10hipError_tPvRmT1_PNSt15iterator_traitsIS12_E10value_typeET2_T3_PNS13_IS18_E10value_typeET4_jRbjT5_S1E_jjP12ihipStream_tbEUljE_ZNSN_ISO_Lb0ESQ_SR_ST_SU_SY_EESZ_S10_S11_S12_S16_S17_S18_S1B_S1C_jS1D_jS1E_S1E_jjS1G_bEUljE0_EEESZ_S10_S11_S18_S1C_S1E_T6_T7_T9_mT8_S1G_bDpT10_ENKUlT_T0_E_clISt17integral_constantIbLb0EES1T_IbLb1EEEEDaS1P_S1Q_EUlS1P_E_NS1_11comp_targetILNS1_3genE8ELNS1_11target_archE1030ELNS1_3gpuE2ELNS1_3repE0EEENS1_30default_config_static_selectorELNS0_4arch9wavefront6targetE0EEEvS12_.has_indirect_call, 0
	.section	.AMDGPU.csdata,"",@progbits
; Kernel info:
; codeLenInByte = 0
; TotalNumSgprs: 0
; NumVgprs: 0
; ScratchSize: 0
; MemoryBound: 0
; FloatMode: 240
; IeeeMode: 1
; LDSByteSize: 0 bytes/workgroup (compile time only)
; SGPRBlocks: 0
; VGPRBlocks: 0
; NumSGPRsForWavesPerEU: 1
; NumVGPRsForWavesPerEU: 1
; Occupancy: 16
; WaveLimiterHint : 0
; COMPUTE_PGM_RSRC2:SCRATCH_EN: 0
; COMPUTE_PGM_RSRC2:USER_SGPR: 2
; COMPUTE_PGM_RSRC2:TRAP_HANDLER: 0
; COMPUTE_PGM_RSRC2:TGID_X_EN: 1
; COMPUTE_PGM_RSRC2:TGID_Y_EN: 0
; COMPUTE_PGM_RSRC2:TGID_Z_EN: 0
; COMPUTE_PGM_RSRC2:TIDIG_COMP_CNT: 0
	.section	.text._ZN7rocprim17ROCPRIM_400000_NS6detail17trampoline_kernelINS0_13select_configILj256ELj13ELNS0_17block_load_methodE3ELS4_3ELS4_3ELNS0_20block_scan_algorithmE0ELj4294967295EEENS1_25partition_config_selectorILNS1_17partition_subalgoE3EjNS0_10empty_typeEbEEZZNS1_14partition_implILS8_3ELb0ES6_jNS0_17counting_iteratorIjlEEPS9_SE_NS0_5tupleIJPjSE_EEENSF_IJSE_SE_EEES9_SG_JZNS1_25segmented_radix_sort_implINS0_14default_configELb0EPKaPaPKlPlN2at6native12_GLOBAL__N_18offset_tEEE10hipError_tPvRmT1_PNSt15iterator_traitsISY_E10value_typeET2_T3_PNSZ_IS14_E10value_typeET4_jRbjT5_S1A_jjP12ihipStream_tbEUljE_EEESV_SW_SX_S14_S18_S1A_T6_T7_T9_mT8_S1C_bDpT10_ENKUlT_T0_E_clISt17integral_constantIbLb0EES1P_EEDaS1K_S1L_EUlS1K_E_NS1_11comp_targetILNS1_3genE0ELNS1_11target_archE4294967295ELNS1_3gpuE0ELNS1_3repE0EEENS1_30default_config_static_selectorELNS0_4arch9wavefront6targetE0EEEvSY_,"axG",@progbits,_ZN7rocprim17ROCPRIM_400000_NS6detail17trampoline_kernelINS0_13select_configILj256ELj13ELNS0_17block_load_methodE3ELS4_3ELS4_3ELNS0_20block_scan_algorithmE0ELj4294967295EEENS1_25partition_config_selectorILNS1_17partition_subalgoE3EjNS0_10empty_typeEbEEZZNS1_14partition_implILS8_3ELb0ES6_jNS0_17counting_iteratorIjlEEPS9_SE_NS0_5tupleIJPjSE_EEENSF_IJSE_SE_EEES9_SG_JZNS1_25segmented_radix_sort_implINS0_14default_configELb0EPKaPaPKlPlN2at6native12_GLOBAL__N_18offset_tEEE10hipError_tPvRmT1_PNSt15iterator_traitsISY_E10value_typeET2_T3_PNSZ_IS14_E10value_typeET4_jRbjT5_S1A_jjP12ihipStream_tbEUljE_EEESV_SW_SX_S14_S18_S1A_T6_T7_T9_mT8_S1C_bDpT10_ENKUlT_T0_E_clISt17integral_constantIbLb0EES1P_EEDaS1K_S1L_EUlS1K_E_NS1_11comp_targetILNS1_3genE0ELNS1_11target_archE4294967295ELNS1_3gpuE0ELNS1_3repE0EEENS1_30default_config_static_selectorELNS0_4arch9wavefront6targetE0EEEvSY_,comdat
	.globl	_ZN7rocprim17ROCPRIM_400000_NS6detail17trampoline_kernelINS0_13select_configILj256ELj13ELNS0_17block_load_methodE3ELS4_3ELS4_3ELNS0_20block_scan_algorithmE0ELj4294967295EEENS1_25partition_config_selectorILNS1_17partition_subalgoE3EjNS0_10empty_typeEbEEZZNS1_14partition_implILS8_3ELb0ES6_jNS0_17counting_iteratorIjlEEPS9_SE_NS0_5tupleIJPjSE_EEENSF_IJSE_SE_EEES9_SG_JZNS1_25segmented_radix_sort_implINS0_14default_configELb0EPKaPaPKlPlN2at6native12_GLOBAL__N_18offset_tEEE10hipError_tPvRmT1_PNSt15iterator_traitsISY_E10value_typeET2_T3_PNSZ_IS14_E10value_typeET4_jRbjT5_S1A_jjP12ihipStream_tbEUljE_EEESV_SW_SX_S14_S18_S1A_T6_T7_T9_mT8_S1C_bDpT10_ENKUlT_T0_E_clISt17integral_constantIbLb0EES1P_EEDaS1K_S1L_EUlS1K_E_NS1_11comp_targetILNS1_3genE0ELNS1_11target_archE4294967295ELNS1_3gpuE0ELNS1_3repE0EEENS1_30default_config_static_selectorELNS0_4arch9wavefront6targetE0EEEvSY_ ; -- Begin function _ZN7rocprim17ROCPRIM_400000_NS6detail17trampoline_kernelINS0_13select_configILj256ELj13ELNS0_17block_load_methodE3ELS4_3ELS4_3ELNS0_20block_scan_algorithmE0ELj4294967295EEENS1_25partition_config_selectorILNS1_17partition_subalgoE3EjNS0_10empty_typeEbEEZZNS1_14partition_implILS8_3ELb0ES6_jNS0_17counting_iteratorIjlEEPS9_SE_NS0_5tupleIJPjSE_EEENSF_IJSE_SE_EEES9_SG_JZNS1_25segmented_radix_sort_implINS0_14default_configELb0EPKaPaPKlPlN2at6native12_GLOBAL__N_18offset_tEEE10hipError_tPvRmT1_PNSt15iterator_traitsISY_E10value_typeET2_T3_PNSZ_IS14_E10value_typeET4_jRbjT5_S1A_jjP12ihipStream_tbEUljE_EEESV_SW_SX_S14_S18_S1A_T6_T7_T9_mT8_S1C_bDpT10_ENKUlT_T0_E_clISt17integral_constantIbLb0EES1P_EEDaS1K_S1L_EUlS1K_E_NS1_11comp_targetILNS1_3genE0ELNS1_11target_archE4294967295ELNS1_3gpuE0ELNS1_3repE0EEENS1_30default_config_static_selectorELNS0_4arch9wavefront6targetE0EEEvSY_
	.p2align	8
	.type	_ZN7rocprim17ROCPRIM_400000_NS6detail17trampoline_kernelINS0_13select_configILj256ELj13ELNS0_17block_load_methodE3ELS4_3ELS4_3ELNS0_20block_scan_algorithmE0ELj4294967295EEENS1_25partition_config_selectorILNS1_17partition_subalgoE3EjNS0_10empty_typeEbEEZZNS1_14partition_implILS8_3ELb0ES6_jNS0_17counting_iteratorIjlEEPS9_SE_NS0_5tupleIJPjSE_EEENSF_IJSE_SE_EEES9_SG_JZNS1_25segmented_radix_sort_implINS0_14default_configELb0EPKaPaPKlPlN2at6native12_GLOBAL__N_18offset_tEEE10hipError_tPvRmT1_PNSt15iterator_traitsISY_E10value_typeET2_T3_PNSZ_IS14_E10value_typeET4_jRbjT5_S1A_jjP12ihipStream_tbEUljE_EEESV_SW_SX_S14_S18_S1A_T6_T7_T9_mT8_S1C_bDpT10_ENKUlT_T0_E_clISt17integral_constantIbLb0EES1P_EEDaS1K_S1L_EUlS1K_E_NS1_11comp_targetILNS1_3genE0ELNS1_11target_archE4294967295ELNS1_3gpuE0ELNS1_3repE0EEENS1_30default_config_static_selectorELNS0_4arch9wavefront6targetE0EEEvSY_,@function
_ZN7rocprim17ROCPRIM_400000_NS6detail17trampoline_kernelINS0_13select_configILj256ELj13ELNS0_17block_load_methodE3ELS4_3ELS4_3ELNS0_20block_scan_algorithmE0ELj4294967295EEENS1_25partition_config_selectorILNS1_17partition_subalgoE3EjNS0_10empty_typeEbEEZZNS1_14partition_implILS8_3ELb0ES6_jNS0_17counting_iteratorIjlEEPS9_SE_NS0_5tupleIJPjSE_EEENSF_IJSE_SE_EEES9_SG_JZNS1_25segmented_radix_sort_implINS0_14default_configELb0EPKaPaPKlPlN2at6native12_GLOBAL__N_18offset_tEEE10hipError_tPvRmT1_PNSt15iterator_traitsISY_E10value_typeET2_T3_PNSZ_IS14_E10value_typeET4_jRbjT5_S1A_jjP12ihipStream_tbEUljE_EEESV_SW_SX_S14_S18_S1A_T6_T7_T9_mT8_S1C_bDpT10_ENKUlT_T0_E_clISt17integral_constantIbLb0EES1P_EEDaS1K_S1L_EUlS1K_E_NS1_11comp_targetILNS1_3genE0ELNS1_11target_archE4294967295ELNS1_3gpuE0ELNS1_3repE0EEENS1_30default_config_static_selectorELNS0_4arch9wavefront6targetE0EEEvSY_: ; @_ZN7rocprim17ROCPRIM_400000_NS6detail17trampoline_kernelINS0_13select_configILj256ELj13ELNS0_17block_load_methodE3ELS4_3ELS4_3ELNS0_20block_scan_algorithmE0ELj4294967295EEENS1_25partition_config_selectorILNS1_17partition_subalgoE3EjNS0_10empty_typeEbEEZZNS1_14partition_implILS8_3ELb0ES6_jNS0_17counting_iteratorIjlEEPS9_SE_NS0_5tupleIJPjSE_EEENSF_IJSE_SE_EEES9_SG_JZNS1_25segmented_radix_sort_implINS0_14default_configELb0EPKaPaPKlPlN2at6native12_GLOBAL__N_18offset_tEEE10hipError_tPvRmT1_PNSt15iterator_traitsISY_E10value_typeET2_T3_PNSZ_IS14_E10value_typeET4_jRbjT5_S1A_jjP12ihipStream_tbEUljE_EEESV_SW_SX_S14_S18_S1A_T6_T7_T9_mT8_S1C_bDpT10_ENKUlT_T0_E_clISt17integral_constantIbLb0EES1P_EEDaS1K_S1L_EUlS1K_E_NS1_11comp_targetILNS1_3genE0ELNS1_11target_archE4294967295ELNS1_3gpuE0ELNS1_3repE0EEENS1_30default_config_static_selectorELNS0_4arch9wavefront6targetE0EEEvSY_
; %bb.0:
	.section	.rodata,"a",@progbits
	.p2align	6, 0x0
	.amdhsa_kernel _ZN7rocprim17ROCPRIM_400000_NS6detail17trampoline_kernelINS0_13select_configILj256ELj13ELNS0_17block_load_methodE3ELS4_3ELS4_3ELNS0_20block_scan_algorithmE0ELj4294967295EEENS1_25partition_config_selectorILNS1_17partition_subalgoE3EjNS0_10empty_typeEbEEZZNS1_14partition_implILS8_3ELb0ES6_jNS0_17counting_iteratorIjlEEPS9_SE_NS0_5tupleIJPjSE_EEENSF_IJSE_SE_EEES9_SG_JZNS1_25segmented_radix_sort_implINS0_14default_configELb0EPKaPaPKlPlN2at6native12_GLOBAL__N_18offset_tEEE10hipError_tPvRmT1_PNSt15iterator_traitsISY_E10value_typeET2_T3_PNSZ_IS14_E10value_typeET4_jRbjT5_S1A_jjP12ihipStream_tbEUljE_EEESV_SW_SX_S14_S18_S1A_T6_T7_T9_mT8_S1C_bDpT10_ENKUlT_T0_E_clISt17integral_constantIbLb0EES1P_EEDaS1K_S1L_EUlS1K_E_NS1_11comp_targetILNS1_3genE0ELNS1_11target_archE4294967295ELNS1_3gpuE0ELNS1_3repE0EEENS1_30default_config_static_selectorELNS0_4arch9wavefront6targetE0EEEvSY_
		.amdhsa_group_segment_fixed_size 0
		.amdhsa_private_segment_fixed_size 0
		.amdhsa_kernarg_size 144
		.amdhsa_user_sgpr_count 2
		.amdhsa_user_sgpr_dispatch_ptr 0
		.amdhsa_user_sgpr_queue_ptr 0
		.amdhsa_user_sgpr_kernarg_segment_ptr 1
		.amdhsa_user_sgpr_dispatch_id 0
		.amdhsa_user_sgpr_private_segment_size 0
		.amdhsa_wavefront_size32 1
		.amdhsa_uses_dynamic_stack 0
		.amdhsa_enable_private_segment 0
		.amdhsa_system_sgpr_workgroup_id_x 1
		.amdhsa_system_sgpr_workgroup_id_y 0
		.amdhsa_system_sgpr_workgroup_id_z 0
		.amdhsa_system_sgpr_workgroup_info 0
		.amdhsa_system_vgpr_workitem_id 0
		.amdhsa_next_free_vgpr 1
		.amdhsa_next_free_sgpr 1
		.amdhsa_reserve_vcc 0
		.amdhsa_float_round_mode_32 0
		.amdhsa_float_round_mode_16_64 0
		.amdhsa_float_denorm_mode_32 3
		.amdhsa_float_denorm_mode_16_64 3
		.amdhsa_fp16_overflow 0
		.amdhsa_workgroup_processor_mode 1
		.amdhsa_memory_ordered 1
		.amdhsa_forward_progress 1
		.amdhsa_inst_pref_size 0
		.amdhsa_round_robin_scheduling 0
		.amdhsa_exception_fp_ieee_invalid_op 0
		.amdhsa_exception_fp_denorm_src 0
		.amdhsa_exception_fp_ieee_div_zero 0
		.amdhsa_exception_fp_ieee_overflow 0
		.amdhsa_exception_fp_ieee_underflow 0
		.amdhsa_exception_fp_ieee_inexact 0
		.amdhsa_exception_int_div_zero 0
	.end_amdhsa_kernel
	.section	.text._ZN7rocprim17ROCPRIM_400000_NS6detail17trampoline_kernelINS0_13select_configILj256ELj13ELNS0_17block_load_methodE3ELS4_3ELS4_3ELNS0_20block_scan_algorithmE0ELj4294967295EEENS1_25partition_config_selectorILNS1_17partition_subalgoE3EjNS0_10empty_typeEbEEZZNS1_14partition_implILS8_3ELb0ES6_jNS0_17counting_iteratorIjlEEPS9_SE_NS0_5tupleIJPjSE_EEENSF_IJSE_SE_EEES9_SG_JZNS1_25segmented_radix_sort_implINS0_14default_configELb0EPKaPaPKlPlN2at6native12_GLOBAL__N_18offset_tEEE10hipError_tPvRmT1_PNSt15iterator_traitsISY_E10value_typeET2_T3_PNSZ_IS14_E10value_typeET4_jRbjT5_S1A_jjP12ihipStream_tbEUljE_EEESV_SW_SX_S14_S18_S1A_T6_T7_T9_mT8_S1C_bDpT10_ENKUlT_T0_E_clISt17integral_constantIbLb0EES1P_EEDaS1K_S1L_EUlS1K_E_NS1_11comp_targetILNS1_3genE0ELNS1_11target_archE4294967295ELNS1_3gpuE0ELNS1_3repE0EEENS1_30default_config_static_selectorELNS0_4arch9wavefront6targetE0EEEvSY_,"axG",@progbits,_ZN7rocprim17ROCPRIM_400000_NS6detail17trampoline_kernelINS0_13select_configILj256ELj13ELNS0_17block_load_methodE3ELS4_3ELS4_3ELNS0_20block_scan_algorithmE0ELj4294967295EEENS1_25partition_config_selectorILNS1_17partition_subalgoE3EjNS0_10empty_typeEbEEZZNS1_14partition_implILS8_3ELb0ES6_jNS0_17counting_iteratorIjlEEPS9_SE_NS0_5tupleIJPjSE_EEENSF_IJSE_SE_EEES9_SG_JZNS1_25segmented_radix_sort_implINS0_14default_configELb0EPKaPaPKlPlN2at6native12_GLOBAL__N_18offset_tEEE10hipError_tPvRmT1_PNSt15iterator_traitsISY_E10value_typeET2_T3_PNSZ_IS14_E10value_typeET4_jRbjT5_S1A_jjP12ihipStream_tbEUljE_EEESV_SW_SX_S14_S18_S1A_T6_T7_T9_mT8_S1C_bDpT10_ENKUlT_T0_E_clISt17integral_constantIbLb0EES1P_EEDaS1K_S1L_EUlS1K_E_NS1_11comp_targetILNS1_3genE0ELNS1_11target_archE4294967295ELNS1_3gpuE0ELNS1_3repE0EEENS1_30default_config_static_selectorELNS0_4arch9wavefront6targetE0EEEvSY_,comdat
.Lfunc_end361:
	.size	_ZN7rocprim17ROCPRIM_400000_NS6detail17trampoline_kernelINS0_13select_configILj256ELj13ELNS0_17block_load_methodE3ELS4_3ELS4_3ELNS0_20block_scan_algorithmE0ELj4294967295EEENS1_25partition_config_selectorILNS1_17partition_subalgoE3EjNS0_10empty_typeEbEEZZNS1_14partition_implILS8_3ELb0ES6_jNS0_17counting_iteratorIjlEEPS9_SE_NS0_5tupleIJPjSE_EEENSF_IJSE_SE_EEES9_SG_JZNS1_25segmented_radix_sort_implINS0_14default_configELb0EPKaPaPKlPlN2at6native12_GLOBAL__N_18offset_tEEE10hipError_tPvRmT1_PNSt15iterator_traitsISY_E10value_typeET2_T3_PNSZ_IS14_E10value_typeET4_jRbjT5_S1A_jjP12ihipStream_tbEUljE_EEESV_SW_SX_S14_S18_S1A_T6_T7_T9_mT8_S1C_bDpT10_ENKUlT_T0_E_clISt17integral_constantIbLb0EES1P_EEDaS1K_S1L_EUlS1K_E_NS1_11comp_targetILNS1_3genE0ELNS1_11target_archE4294967295ELNS1_3gpuE0ELNS1_3repE0EEENS1_30default_config_static_selectorELNS0_4arch9wavefront6targetE0EEEvSY_, .Lfunc_end361-_ZN7rocprim17ROCPRIM_400000_NS6detail17trampoline_kernelINS0_13select_configILj256ELj13ELNS0_17block_load_methodE3ELS4_3ELS4_3ELNS0_20block_scan_algorithmE0ELj4294967295EEENS1_25partition_config_selectorILNS1_17partition_subalgoE3EjNS0_10empty_typeEbEEZZNS1_14partition_implILS8_3ELb0ES6_jNS0_17counting_iteratorIjlEEPS9_SE_NS0_5tupleIJPjSE_EEENSF_IJSE_SE_EEES9_SG_JZNS1_25segmented_radix_sort_implINS0_14default_configELb0EPKaPaPKlPlN2at6native12_GLOBAL__N_18offset_tEEE10hipError_tPvRmT1_PNSt15iterator_traitsISY_E10value_typeET2_T3_PNSZ_IS14_E10value_typeET4_jRbjT5_S1A_jjP12ihipStream_tbEUljE_EEESV_SW_SX_S14_S18_S1A_T6_T7_T9_mT8_S1C_bDpT10_ENKUlT_T0_E_clISt17integral_constantIbLb0EES1P_EEDaS1K_S1L_EUlS1K_E_NS1_11comp_targetILNS1_3genE0ELNS1_11target_archE4294967295ELNS1_3gpuE0ELNS1_3repE0EEENS1_30default_config_static_selectorELNS0_4arch9wavefront6targetE0EEEvSY_
                                        ; -- End function
	.set _ZN7rocprim17ROCPRIM_400000_NS6detail17trampoline_kernelINS0_13select_configILj256ELj13ELNS0_17block_load_methodE3ELS4_3ELS4_3ELNS0_20block_scan_algorithmE0ELj4294967295EEENS1_25partition_config_selectorILNS1_17partition_subalgoE3EjNS0_10empty_typeEbEEZZNS1_14partition_implILS8_3ELb0ES6_jNS0_17counting_iteratorIjlEEPS9_SE_NS0_5tupleIJPjSE_EEENSF_IJSE_SE_EEES9_SG_JZNS1_25segmented_radix_sort_implINS0_14default_configELb0EPKaPaPKlPlN2at6native12_GLOBAL__N_18offset_tEEE10hipError_tPvRmT1_PNSt15iterator_traitsISY_E10value_typeET2_T3_PNSZ_IS14_E10value_typeET4_jRbjT5_S1A_jjP12ihipStream_tbEUljE_EEESV_SW_SX_S14_S18_S1A_T6_T7_T9_mT8_S1C_bDpT10_ENKUlT_T0_E_clISt17integral_constantIbLb0EES1P_EEDaS1K_S1L_EUlS1K_E_NS1_11comp_targetILNS1_3genE0ELNS1_11target_archE4294967295ELNS1_3gpuE0ELNS1_3repE0EEENS1_30default_config_static_selectorELNS0_4arch9wavefront6targetE0EEEvSY_.num_vgpr, 0
	.set _ZN7rocprim17ROCPRIM_400000_NS6detail17trampoline_kernelINS0_13select_configILj256ELj13ELNS0_17block_load_methodE3ELS4_3ELS4_3ELNS0_20block_scan_algorithmE0ELj4294967295EEENS1_25partition_config_selectorILNS1_17partition_subalgoE3EjNS0_10empty_typeEbEEZZNS1_14partition_implILS8_3ELb0ES6_jNS0_17counting_iteratorIjlEEPS9_SE_NS0_5tupleIJPjSE_EEENSF_IJSE_SE_EEES9_SG_JZNS1_25segmented_radix_sort_implINS0_14default_configELb0EPKaPaPKlPlN2at6native12_GLOBAL__N_18offset_tEEE10hipError_tPvRmT1_PNSt15iterator_traitsISY_E10value_typeET2_T3_PNSZ_IS14_E10value_typeET4_jRbjT5_S1A_jjP12ihipStream_tbEUljE_EEESV_SW_SX_S14_S18_S1A_T6_T7_T9_mT8_S1C_bDpT10_ENKUlT_T0_E_clISt17integral_constantIbLb0EES1P_EEDaS1K_S1L_EUlS1K_E_NS1_11comp_targetILNS1_3genE0ELNS1_11target_archE4294967295ELNS1_3gpuE0ELNS1_3repE0EEENS1_30default_config_static_selectorELNS0_4arch9wavefront6targetE0EEEvSY_.num_agpr, 0
	.set _ZN7rocprim17ROCPRIM_400000_NS6detail17trampoline_kernelINS0_13select_configILj256ELj13ELNS0_17block_load_methodE3ELS4_3ELS4_3ELNS0_20block_scan_algorithmE0ELj4294967295EEENS1_25partition_config_selectorILNS1_17partition_subalgoE3EjNS0_10empty_typeEbEEZZNS1_14partition_implILS8_3ELb0ES6_jNS0_17counting_iteratorIjlEEPS9_SE_NS0_5tupleIJPjSE_EEENSF_IJSE_SE_EEES9_SG_JZNS1_25segmented_radix_sort_implINS0_14default_configELb0EPKaPaPKlPlN2at6native12_GLOBAL__N_18offset_tEEE10hipError_tPvRmT1_PNSt15iterator_traitsISY_E10value_typeET2_T3_PNSZ_IS14_E10value_typeET4_jRbjT5_S1A_jjP12ihipStream_tbEUljE_EEESV_SW_SX_S14_S18_S1A_T6_T7_T9_mT8_S1C_bDpT10_ENKUlT_T0_E_clISt17integral_constantIbLb0EES1P_EEDaS1K_S1L_EUlS1K_E_NS1_11comp_targetILNS1_3genE0ELNS1_11target_archE4294967295ELNS1_3gpuE0ELNS1_3repE0EEENS1_30default_config_static_selectorELNS0_4arch9wavefront6targetE0EEEvSY_.numbered_sgpr, 0
	.set _ZN7rocprim17ROCPRIM_400000_NS6detail17trampoline_kernelINS0_13select_configILj256ELj13ELNS0_17block_load_methodE3ELS4_3ELS4_3ELNS0_20block_scan_algorithmE0ELj4294967295EEENS1_25partition_config_selectorILNS1_17partition_subalgoE3EjNS0_10empty_typeEbEEZZNS1_14partition_implILS8_3ELb0ES6_jNS0_17counting_iteratorIjlEEPS9_SE_NS0_5tupleIJPjSE_EEENSF_IJSE_SE_EEES9_SG_JZNS1_25segmented_radix_sort_implINS0_14default_configELb0EPKaPaPKlPlN2at6native12_GLOBAL__N_18offset_tEEE10hipError_tPvRmT1_PNSt15iterator_traitsISY_E10value_typeET2_T3_PNSZ_IS14_E10value_typeET4_jRbjT5_S1A_jjP12ihipStream_tbEUljE_EEESV_SW_SX_S14_S18_S1A_T6_T7_T9_mT8_S1C_bDpT10_ENKUlT_T0_E_clISt17integral_constantIbLb0EES1P_EEDaS1K_S1L_EUlS1K_E_NS1_11comp_targetILNS1_3genE0ELNS1_11target_archE4294967295ELNS1_3gpuE0ELNS1_3repE0EEENS1_30default_config_static_selectorELNS0_4arch9wavefront6targetE0EEEvSY_.num_named_barrier, 0
	.set _ZN7rocprim17ROCPRIM_400000_NS6detail17trampoline_kernelINS0_13select_configILj256ELj13ELNS0_17block_load_methodE3ELS4_3ELS4_3ELNS0_20block_scan_algorithmE0ELj4294967295EEENS1_25partition_config_selectorILNS1_17partition_subalgoE3EjNS0_10empty_typeEbEEZZNS1_14partition_implILS8_3ELb0ES6_jNS0_17counting_iteratorIjlEEPS9_SE_NS0_5tupleIJPjSE_EEENSF_IJSE_SE_EEES9_SG_JZNS1_25segmented_radix_sort_implINS0_14default_configELb0EPKaPaPKlPlN2at6native12_GLOBAL__N_18offset_tEEE10hipError_tPvRmT1_PNSt15iterator_traitsISY_E10value_typeET2_T3_PNSZ_IS14_E10value_typeET4_jRbjT5_S1A_jjP12ihipStream_tbEUljE_EEESV_SW_SX_S14_S18_S1A_T6_T7_T9_mT8_S1C_bDpT10_ENKUlT_T0_E_clISt17integral_constantIbLb0EES1P_EEDaS1K_S1L_EUlS1K_E_NS1_11comp_targetILNS1_3genE0ELNS1_11target_archE4294967295ELNS1_3gpuE0ELNS1_3repE0EEENS1_30default_config_static_selectorELNS0_4arch9wavefront6targetE0EEEvSY_.private_seg_size, 0
	.set _ZN7rocprim17ROCPRIM_400000_NS6detail17trampoline_kernelINS0_13select_configILj256ELj13ELNS0_17block_load_methodE3ELS4_3ELS4_3ELNS0_20block_scan_algorithmE0ELj4294967295EEENS1_25partition_config_selectorILNS1_17partition_subalgoE3EjNS0_10empty_typeEbEEZZNS1_14partition_implILS8_3ELb0ES6_jNS0_17counting_iteratorIjlEEPS9_SE_NS0_5tupleIJPjSE_EEENSF_IJSE_SE_EEES9_SG_JZNS1_25segmented_radix_sort_implINS0_14default_configELb0EPKaPaPKlPlN2at6native12_GLOBAL__N_18offset_tEEE10hipError_tPvRmT1_PNSt15iterator_traitsISY_E10value_typeET2_T3_PNSZ_IS14_E10value_typeET4_jRbjT5_S1A_jjP12ihipStream_tbEUljE_EEESV_SW_SX_S14_S18_S1A_T6_T7_T9_mT8_S1C_bDpT10_ENKUlT_T0_E_clISt17integral_constantIbLb0EES1P_EEDaS1K_S1L_EUlS1K_E_NS1_11comp_targetILNS1_3genE0ELNS1_11target_archE4294967295ELNS1_3gpuE0ELNS1_3repE0EEENS1_30default_config_static_selectorELNS0_4arch9wavefront6targetE0EEEvSY_.uses_vcc, 0
	.set _ZN7rocprim17ROCPRIM_400000_NS6detail17trampoline_kernelINS0_13select_configILj256ELj13ELNS0_17block_load_methodE3ELS4_3ELS4_3ELNS0_20block_scan_algorithmE0ELj4294967295EEENS1_25partition_config_selectorILNS1_17partition_subalgoE3EjNS0_10empty_typeEbEEZZNS1_14partition_implILS8_3ELb0ES6_jNS0_17counting_iteratorIjlEEPS9_SE_NS0_5tupleIJPjSE_EEENSF_IJSE_SE_EEES9_SG_JZNS1_25segmented_radix_sort_implINS0_14default_configELb0EPKaPaPKlPlN2at6native12_GLOBAL__N_18offset_tEEE10hipError_tPvRmT1_PNSt15iterator_traitsISY_E10value_typeET2_T3_PNSZ_IS14_E10value_typeET4_jRbjT5_S1A_jjP12ihipStream_tbEUljE_EEESV_SW_SX_S14_S18_S1A_T6_T7_T9_mT8_S1C_bDpT10_ENKUlT_T0_E_clISt17integral_constantIbLb0EES1P_EEDaS1K_S1L_EUlS1K_E_NS1_11comp_targetILNS1_3genE0ELNS1_11target_archE4294967295ELNS1_3gpuE0ELNS1_3repE0EEENS1_30default_config_static_selectorELNS0_4arch9wavefront6targetE0EEEvSY_.uses_flat_scratch, 0
	.set _ZN7rocprim17ROCPRIM_400000_NS6detail17trampoline_kernelINS0_13select_configILj256ELj13ELNS0_17block_load_methodE3ELS4_3ELS4_3ELNS0_20block_scan_algorithmE0ELj4294967295EEENS1_25partition_config_selectorILNS1_17partition_subalgoE3EjNS0_10empty_typeEbEEZZNS1_14partition_implILS8_3ELb0ES6_jNS0_17counting_iteratorIjlEEPS9_SE_NS0_5tupleIJPjSE_EEENSF_IJSE_SE_EEES9_SG_JZNS1_25segmented_radix_sort_implINS0_14default_configELb0EPKaPaPKlPlN2at6native12_GLOBAL__N_18offset_tEEE10hipError_tPvRmT1_PNSt15iterator_traitsISY_E10value_typeET2_T3_PNSZ_IS14_E10value_typeET4_jRbjT5_S1A_jjP12ihipStream_tbEUljE_EEESV_SW_SX_S14_S18_S1A_T6_T7_T9_mT8_S1C_bDpT10_ENKUlT_T0_E_clISt17integral_constantIbLb0EES1P_EEDaS1K_S1L_EUlS1K_E_NS1_11comp_targetILNS1_3genE0ELNS1_11target_archE4294967295ELNS1_3gpuE0ELNS1_3repE0EEENS1_30default_config_static_selectorELNS0_4arch9wavefront6targetE0EEEvSY_.has_dyn_sized_stack, 0
	.set _ZN7rocprim17ROCPRIM_400000_NS6detail17trampoline_kernelINS0_13select_configILj256ELj13ELNS0_17block_load_methodE3ELS4_3ELS4_3ELNS0_20block_scan_algorithmE0ELj4294967295EEENS1_25partition_config_selectorILNS1_17partition_subalgoE3EjNS0_10empty_typeEbEEZZNS1_14partition_implILS8_3ELb0ES6_jNS0_17counting_iteratorIjlEEPS9_SE_NS0_5tupleIJPjSE_EEENSF_IJSE_SE_EEES9_SG_JZNS1_25segmented_radix_sort_implINS0_14default_configELb0EPKaPaPKlPlN2at6native12_GLOBAL__N_18offset_tEEE10hipError_tPvRmT1_PNSt15iterator_traitsISY_E10value_typeET2_T3_PNSZ_IS14_E10value_typeET4_jRbjT5_S1A_jjP12ihipStream_tbEUljE_EEESV_SW_SX_S14_S18_S1A_T6_T7_T9_mT8_S1C_bDpT10_ENKUlT_T0_E_clISt17integral_constantIbLb0EES1P_EEDaS1K_S1L_EUlS1K_E_NS1_11comp_targetILNS1_3genE0ELNS1_11target_archE4294967295ELNS1_3gpuE0ELNS1_3repE0EEENS1_30default_config_static_selectorELNS0_4arch9wavefront6targetE0EEEvSY_.has_recursion, 0
	.set _ZN7rocprim17ROCPRIM_400000_NS6detail17trampoline_kernelINS0_13select_configILj256ELj13ELNS0_17block_load_methodE3ELS4_3ELS4_3ELNS0_20block_scan_algorithmE0ELj4294967295EEENS1_25partition_config_selectorILNS1_17partition_subalgoE3EjNS0_10empty_typeEbEEZZNS1_14partition_implILS8_3ELb0ES6_jNS0_17counting_iteratorIjlEEPS9_SE_NS0_5tupleIJPjSE_EEENSF_IJSE_SE_EEES9_SG_JZNS1_25segmented_radix_sort_implINS0_14default_configELb0EPKaPaPKlPlN2at6native12_GLOBAL__N_18offset_tEEE10hipError_tPvRmT1_PNSt15iterator_traitsISY_E10value_typeET2_T3_PNSZ_IS14_E10value_typeET4_jRbjT5_S1A_jjP12ihipStream_tbEUljE_EEESV_SW_SX_S14_S18_S1A_T6_T7_T9_mT8_S1C_bDpT10_ENKUlT_T0_E_clISt17integral_constantIbLb0EES1P_EEDaS1K_S1L_EUlS1K_E_NS1_11comp_targetILNS1_3genE0ELNS1_11target_archE4294967295ELNS1_3gpuE0ELNS1_3repE0EEENS1_30default_config_static_selectorELNS0_4arch9wavefront6targetE0EEEvSY_.has_indirect_call, 0
	.section	.AMDGPU.csdata,"",@progbits
; Kernel info:
; codeLenInByte = 0
; TotalNumSgprs: 0
; NumVgprs: 0
; ScratchSize: 0
; MemoryBound: 0
; FloatMode: 240
; IeeeMode: 1
; LDSByteSize: 0 bytes/workgroup (compile time only)
; SGPRBlocks: 0
; VGPRBlocks: 0
; NumSGPRsForWavesPerEU: 1
; NumVGPRsForWavesPerEU: 1
; Occupancy: 16
; WaveLimiterHint : 0
; COMPUTE_PGM_RSRC2:SCRATCH_EN: 0
; COMPUTE_PGM_RSRC2:USER_SGPR: 2
; COMPUTE_PGM_RSRC2:TRAP_HANDLER: 0
; COMPUTE_PGM_RSRC2:TGID_X_EN: 1
; COMPUTE_PGM_RSRC2:TGID_Y_EN: 0
; COMPUTE_PGM_RSRC2:TGID_Z_EN: 0
; COMPUTE_PGM_RSRC2:TIDIG_COMP_CNT: 0
	.section	.text._ZN7rocprim17ROCPRIM_400000_NS6detail17trampoline_kernelINS0_13select_configILj256ELj13ELNS0_17block_load_methodE3ELS4_3ELS4_3ELNS0_20block_scan_algorithmE0ELj4294967295EEENS1_25partition_config_selectorILNS1_17partition_subalgoE3EjNS0_10empty_typeEbEEZZNS1_14partition_implILS8_3ELb0ES6_jNS0_17counting_iteratorIjlEEPS9_SE_NS0_5tupleIJPjSE_EEENSF_IJSE_SE_EEES9_SG_JZNS1_25segmented_radix_sort_implINS0_14default_configELb0EPKaPaPKlPlN2at6native12_GLOBAL__N_18offset_tEEE10hipError_tPvRmT1_PNSt15iterator_traitsISY_E10value_typeET2_T3_PNSZ_IS14_E10value_typeET4_jRbjT5_S1A_jjP12ihipStream_tbEUljE_EEESV_SW_SX_S14_S18_S1A_T6_T7_T9_mT8_S1C_bDpT10_ENKUlT_T0_E_clISt17integral_constantIbLb0EES1P_EEDaS1K_S1L_EUlS1K_E_NS1_11comp_targetILNS1_3genE5ELNS1_11target_archE942ELNS1_3gpuE9ELNS1_3repE0EEENS1_30default_config_static_selectorELNS0_4arch9wavefront6targetE0EEEvSY_,"axG",@progbits,_ZN7rocprim17ROCPRIM_400000_NS6detail17trampoline_kernelINS0_13select_configILj256ELj13ELNS0_17block_load_methodE3ELS4_3ELS4_3ELNS0_20block_scan_algorithmE0ELj4294967295EEENS1_25partition_config_selectorILNS1_17partition_subalgoE3EjNS0_10empty_typeEbEEZZNS1_14partition_implILS8_3ELb0ES6_jNS0_17counting_iteratorIjlEEPS9_SE_NS0_5tupleIJPjSE_EEENSF_IJSE_SE_EEES9_SG_JZNS1_25segmented_radix_sort_implINS0_14default_configELb0EPKaPaPKlPlN2at6native12_GLOBAL__N_18offset_tEEE10hipError_tPvRmT1_PNSt15iterator_traitsISY_E10value_typeET2_T3_PNSZ_IS14_E10value_typeET4_jRbjT5_S1A_jjP12ihipStream_tbEUljE_EEESV_SW_SX_S14_S18_S1A_T6_T7_T9_mT8_S1C_bDpT10_ENKUlT_T0_E_clISt17integral_constantIbLb0EES1P_EEDaS1K_S1L_EUlS1K_E_NS1_11comp_targetILNS1_3genE5ELNS1_11target_archE942ELNS1_3gpuE9ELNS1_3repE0EEENS1_30default_config_static_selectorELNS0_4arch9wavefront6targetE0EEEvSY_,comdat
	.globl	_ZN7rocprim17ROCPRIM_400000_NS6detail17trampoline_kernelINS0_13select_configILj256ELj13ELNS0_17block_load_methodE3ELS4_3ELS4_3ELNS0_20block_scan_algorithmE0ELj4294967295EEENS1_25partition_config_selectorILNS1_17partition_subalgoE3EjNS0_10empty_typeEbEEZZNS1_14partition_implILS8_3ELb0ES6_jNS0_17counting_iteratorIjlEEPS9_SE_NS0_5tupleIJPjSE_EEENSF_IJSE_SE_EEES9_SG_JZNS1_25segmented_radix_sort_implINS0_14default_configELb0EPKaPaPKlPlN2at6native12_GLOBAL__N_18offset_tEEE10hipError_tPvRmT1_PNSt15iterator_traitsISY_E10value_typeET2_T3_PNSZ_IS14_E10value_typeET4_jRbjT5_S1A_jjP12ihipStream_tbEUljE_EEESV_SW_SX_S14_S18_S1A_T6_T7_T9_mT8_S1C_bDpT10_ENKUlT_T0_E_clISt17integral_constantIbLb0EES1P_EEDaS1K_S1L_EUlS1K_E_NS1_11comp_targetILNS1_3genE5ELNS1_11target_archE942ELNS1_3gpuE9ELNS1_3repE0EEENS1_30default_config_static_selectorELNS0_4arch9wavefront6targetE0EEEvSY_ ; -- Begin function _ZN7rocprim17ROCPRIM_400000_NS6detail17trampoline_kernelINS0_13select_configILj256ELj13ELNS0_17block_load_methodE3ELS4_3ELS4_3ELNS0_20block_scan_algorithmE0ELj4294967295EEENS1_25partition_config_selectorILNS1_17partition_subalgoE3EjNS0_10empty_typeEbEEZZNS1_14partition_implILS8_3ELb0ES6_jNS0_17counting_iteratorIjlEEPS9_SE_NS0_5tupleIJPjSE_EEENSF_IJSE_SE_EEES9_SG_JZNS1_25segmented_radix_sort_implINS0_14default_configELb0EPKaPaPKlPlN2at6native12_GLOBAL__N_18offset_tEEE10hipError_tPvRmT1_PNSt15iterator_traitsISY_E10value_typeET2_T3_PNSZ_IS14_E10value_typeET4_jRbjT5_S1A_jjP12ihipStream_tbEUljE_EEESV_SW_SX_S14_S18_S1A_T6_T7_T9_mT8_S1C_bDpT10_ENKUlT_T0_E_clISt17integral_constantIbLb0EES1P_EEDaS1K_S1L_EUlS1K_E_NS1_11comp_targetILNS1_3genE5ELNS1_11target_archE942ELNS1_3gpuE9ELNS1_3repE0EEENS1_30default_config_static_selectorELNS0_4arch9wavefront6targetE0EEEvSY_
	.p2align	8
	.type	_ZN7rocprim17ROCPRIM_400000_NS6detail17trampoline_kernelINS0_13select_configILj256ELj13ELNS0_17block_load_methodE3ELS4_3ELS4_3ELNS0_20block_scan_algorithmE0ELj4294967295EEENS1_25partition_config_selectorILNS1_17partition_subalgoE3EjNS0_10empty_typeEbEEZZNS1_14partition_implILS8_3ELb0ES6_jNS0_17counting_iteratorIjlEEPS9_SE_NS0_5tupleIJPjSE_EEENSF_IJSE_SE_EEES9_SG_JZNS1_25segmented_radix_sort_implINS0_14default_configELb0EPKaPaPKlPlN2at6native12_GLOBAL__N_18offset_tEEE10hipError_tPvRmT1_PNSt15iterator_traitsISY_E10value_typeET2_T3_PNSZ_IS14_E10value_typeET4_jRbjT5_S1A_jjP12ihipStream_tbEUljE_EEESV_SW_SX_S14_S18_S1A_T6_T7_T9_mT8_S1C_bDpT10_ENKUlT_T0_E_clISt17integral_constantIbLb0EES1P_EEDaS1K_S1L_EUlS1K_E_NS1_11comp_targetILNS1_3genE5ELNS1_11target_archE942ELNS1_3gpuE9ELNS1_3repE0EEENS1_30default_config_static_selectorELNS0_4arch9wavefront6targetE0EEEvSY_,@function
_ZN7rocprim17ROCPRIM_400000_NS6detail17trampoline_kernelINS0_13select_configILj256ELj13ELNS0_17block_load_methodE3ELS4_3ELS4_3ELNS0_20block_scan_algorithmE0ELj4294967295EEENS1_25partition_config_selectorILNS1_17partition_subalgoE3EjNS0_10empty_typeEbEEZZNS1_14partition_implILS8_3ELb0ES6_jNS0_17counting_iteratorIjlEEPS9_SE_NS0_5tupleIJPjSE_EEENSF_IJSE_SE_EEES9_SG_JZNS1_25segmented_radix_sort_implINS0_14default_configELb0EPKaPaPKlPlN2at6native12_GLOBAL__N_18offset_tEEE10hipError_tPvRmT1_PNSt15iterator_traitsISY_E10value_typeET2_T3_PNSZ_IS14_E10value_typeET4_jRbjT5_S1A_jjP12ihipStream_tbEUljE_EEESV_SW_SX_S14_S18_S1A_T6_T7_T9_mT8_S1C_bDpT10_ENKUlT_T0_E_clISt17integral_constantIbLb0EES1P_EEDaS1K_S1L_EUlS1K_E_NS1_11comp_targetILNS1_3genE5ELNS1_11target_archE942ELNS1_3gpuE9ELNS1_3repE0EEENS1_30default_config_static_selectorELNS0_4arch9wavefront6targetE0EEEvSY_: ; @_ZN7rocprim17ROCPRIM_400000_NS6detail17trampoline_kernelINS0_13select_configILj256ELj13ELNS0_17block_load_methodE3ELS4_3ELS4_3ELNS0_20block_scan_algorithmE0ELj4294967295EEENS1_25partition_config_selectorILNS1_17partition_subalgoE3EjNS0_10empty_typeEbEEZZNS1_14partition_implILS8_3ELb0ES6_jNS0_17counting_iteratorIjlEEPS9_SE_NS0_5tupleIJPjSE_EEENSF_IJSE_SE_EEES9_SG_JZNS1_25segmented_radix_sort_implINS0_14default_configELb0EPKaPaPKlPlN2at6native12_GLOBAL__N_18offset_tEEE10hipError_tPvRmT1_PNSt15iterator_traitsISY_E10value_typeET2_T3_PNSZ_IS14_E10value_typeET4_jRbjT5_S1A_jjP12ihipStream_tbEUljE_EEESV_SW_SX_S14_S18_S1A_T6_T7_T9_mT8_S1C_bDpT10_ENKUlT_T0_E_clISt17integral_constantIbLb0EES1P_EEDaS1K_S1L_EUlS1K_E_NS1_11comp_targetILNS1_3genE5ELNS1_11target_archE942ELNS1_3gpuE9ELNS1_3repE0EEENS1_30default_config_static_selectorELNS0_4arch9wavefront6targetE0EEEvSY_
; %bb.0:
	.section	.rodata,"a",@progbits
	.p2align	6, 0x0
	.amdhsa_kernel _ZN7rocprim17ROCPRIM_400000_NS6detail17trampoline_kernelINS0_13select_configILj256ELj13ELNS0_17block_load_methodE3ELS4_3ELS4_3ELNS0_20block_scan_algorithmE0ELj4294967295EEENS1_25partition_config_selectorILNS1_17partition_subalgoE3EjNS0_10empty_typeEbEEZZNS1_14partition_implILS8_3ELb0ES6_jNS0_17counting_iteratorIjlEEPS9_SE_NS0_5tupleIJPjSE_EEENSF_IJSE_SE_EEES9_SG_JZNS1_25segmented_radix_sort_implINS0_14default_configELb0EPKaPaPKlPlN2at6native12_GLOBAL__N_18offset_tEEE10hipError_tPvRmT1_PNSt15iterator_traitsISY_E10value_typeET2_T3_PNSZ_IS14_E10value_typeET4_jRbjT5_S1A_jjP12ihipStream_tbEUljE_EEESV_SW_SX_S14_S18_S1A_T6_T7_T9_mT8_S1C_bDpT10_ENKUlT_T0_E_clISt17integral_constantIbLb0EES1P_EEDaS1K_S1L_EUlS1K_E_NS1_11comp_targetILNS1_3genE5ELNS1_11target_archE942ELNS1_3gpuE9ELNS1_3repE0EEENS1_30default_config_static_selectorELNS0_4arch9wavefront6targetE0EEEvSY_
		.amdhsa_group_segment_fixed_size 0
		.amdhsa_private_segment_fixed_size 0
		.amdhsa_kernarg_size 144
		.amdhsa_user_sgpr_count 2
		.amdhsa_user_sgpr_dispatch_ptr 0
		.amdhsa_user_sgpr_queue_ptr 0
		.amdhsa_user_sgpr_kernarg_segment_ptr 1
		.amdhsa_user_sgpr_dispatch_id 0
		.amdhsa_user_sgpr_private_segment_size 0
		.amdhsa_wavefront_size32 1
		.amdhsa_uses_dynamic_stack 0
		.amdhsa_enable_private_segment 0
		.amdhsa_system_sgpr_workgroup_id_x 1
		.amdhsa_system_sgpr_workgroup_id_y 0
		.amdhsa_system_sgpr_workgroup_id_z 0
		.amdhsa_system_sgpr_workgroup_info 0
		.amdhsa_system_vgpr_workitem_id 0
		.amdhsa_next_free_vgpr 1
		.amdhsa_next_free_sgpr 1
		.amdhsa_reserve_vcc 0
		.amdhsa_float_round_mode_32 0
		.amdhsa_float_round_mode_16_64 0
		.amdhsa_float_denorm_mode_32 3
		.amdhsa_float_denorm_mode_16_64 3
		.amdhsa_fp16_overflow 0
		.amdhsa_workgroup_processor_mode 1
		.amdhsa_memory_ordered 1
		.amdhsa_forward_progress 1
		.amdhsa_inst_pref_size 0
		.amdhsa_round_robin_scheduling 0
		.amdhsa_exception_fp_ieee_invalid_op 0
		.amdhsa_exception_fp_denorm_src 0
		.amdhsa_exception_fp_ieee_div_zero 0
		.amdhsa_exception_fp_ieee_overflow 0
		.amdhsa_exception_fp_ieee_underflow 0
		.amdhsa_exception_fp_ieee_inexact 0
		.amdhsa_exception_int_div_zero 0
	.end_amdhsa_kernel
	.section	.text._ZN7rocprim17ROCPRIM_400000_NS6detail17trampoline_kernelINS0_13select_configILj256ELj13ELNS0_17block_load_methodE3ELS4_3ELS4_3ELNS0_20block_scan_algorithmE0ELj4294967295EEENS1_25partition_config_selectorILNS1_17partition_subalgoE3EjNS0_10empty_typeEbEEZZNS1_14partition_implILS8_3ELb0ES6_jNS0_17counting_iteratorIjlEEPS9_SE_NS0_5tupleIJPjSE_EEENSF_IJSE_SE_EEES9_SG_JZNS1_25segmented_radix_sort_implINS0_14default_configELb0EPKaPaPKlPlN2at6native12_GLOBAL__N_18offset_tEEE10hipError_tPvRmT1_PNSt15iterator_traitsISY_E10value_typeET2_T3_PNSZ_IS14_E10value_typeET4_jRbjT5_S1A_jjP12ihipStream_tbEUljE_EEESV_SW_SX_S14_S18_S1A_T6_T7_T9_mT8_S1C_bDpT10_ENKUlT_T0_E_clISt17integral_constantIbLb0EES1P_EEDaS1K_S1L_EUlS1K_E_NS1_11comp_targetILNS1_3genE5ELNS1_11target_archE942ELNS1_3gpuE9ELNS1_3repE0EEENS1_30default_config_static_selectorELNS0_4arch9wavefront6targetE0EEEvSY_,"axG",@progbits,_ZN7rocprim17ROCPRIM_400000_NS6detail17trampoline_kernelINS0_13select_configILj256ELj13ELNS0_17block_load_methodE3ELS4_3ELS4_3ELNS0_20block_scan_algorithmE0ELj4294967295EEENS1_25partition_config_selectorILNS1_17partition_subalgoE3EjNS0_10empty_typeEbEEZZNS1_14partition_implILS8_3ELb0ES6_jNS0_17counting_iteratorIjlEEPS9_SE_NS0_5tupleIJPjSE_EEENSF_IJSE_SE_EEES9_SG_JZNS1_25segmented_radix_sort_implINS0_14default_configELb0EPKaPaPKlPlN2at6native12_GLOBAL__N_18offset_tEEE10hipError_tPvRmT1_PNSt15iterator_traitsISY_E10value_typeET2_T3_PNSZ_IS14_E10value_typeET4_jRbjT5_S1A_jjP12ihipStream_tbEUljE_EEESV_SW_SX_S14_S18_S1A_T6_T7_T9_mT8_S1C_bDpT10_ENKUlT_T0_E_clISt17integral_constantIbLb0EES1P_EEDaS1K_S1L_EUlS1K_E_NS1_11comp_targetILNS1_3genE5ELNS1_11target_archE942ELNS1_3gpuE9ELNS1_3repE0EEENS1_30default_config_static_selectorELNS0_4arch9wavefront6targetE0EEEvSY_,comdat
.Lfunc_end362:
	.size	_ZN7rocprim17ROCPRIM_400000_NS6detail17trampoline_kernelINS0_13select_configILj256ELj13ELNS0_17block_load_methodE3ELS4_3ELS4_3ELNS0_20block_scan_algorithmE0ELj4294967295EEENS1_25partition_config_selectorILNS1_17partition_subalgoE3EjNS0_10empty_typeEbEEZZNS1_14partition_implILS8_3ELb0ES6_jNS0_17counting_iteratorIjlEEPS9_SE_NS0_5tupleIJPjSE_EEENSF_IJSE_SE_EEES9_SG_JZNS1_25segmented_radix_sort_implINS0_14default_configELb0EPKaPaPKlPlN2at6native12_GLOBAL__N_18offset_tEEE10hipError_tPvRmT1_PNSt15iterator_traitsISY_E10value_typeET2_T3_PNSZ_IS14_E10value_typeET4_jRbjT5_S1A_jjP12ihipStream_tbEUljE_EEESV_SW_SX_S14_S18_S1A_T6_T7_T9_mT8_S1C_bDpT10_ENKUlT_T0_E_clISt17integral_constantIbLb0EES1P_EEDaS1K_S1L_EUlS1K_E_NS1_11comp_targetILNS1_3genE5ELNS1_11target_archE942ELNS1_3gpuE9ELNS1_3repE0EEENS1_30default_config_static_selectorELNS0_4arch9wavefront6targetE0EEEvSY_, .Lfunc_end362-_ZN7rocprim17ROCPRIM_400000_NS6detail17trampoline_kernelINS0_13select_configILj256ELj13ELNS0_17block_load_methodE3ELS4_3ELS4_3ELNS0_20block_scan_algorithmE0ELj4294967295EEENS1_25partition_config_selectorILNS1_17partition_subalgoE3EjNS0_10empty_typeEbEEZZNS1_14partition_implILS8_3ELb0ES6_jNS0_17counting_iteratorIjlEEPS9_SE_NS0_5tupleIJPjSE_EEENSF_IJSE_SE_EEES9_SG_JZNS1_25segmented_radix_sort_implINS0_14default_configELb0EPKaPaPKlPlN2at6native12_GLOBAL__N_18offset_tEEE10hipError_tPvRmT1_PNSt15iterator_traitsISY_E10value_typeET2_T3_PNSZ_IS14_E10value_typeET4_jRbjT5_S1A_jjP12ihipStream_tbEUljE_EEESV_SW_SX_S14_S18_S1A_T6_T7_T9_mT8_S1C_bDpT10_ENKUlT_T0_E_clISt17integral_constantIbLb0EES1P_EEDaS1K_S1L_EUlS1K_E_NS1_11comp_targetILNS1_3genE5ELNS1_11target_archE942ELNS1_3gpuE9ELNS1_3repE0EEENS1_30default_config_static_selectorELNS0_4arch9wavefront6targetE0EEEvSY_
                                        ; -- End function
	.set _ZN7rocprim17ROCPRIM_400000_NS6detail17trampoline_kernelINS0_13select_configILj256ELj13ELNS0_17block_load_methodE3ELS4_3ELS4_3ELNS0_20block_scan_algorithmE0ELj4294967295EEENS1_25partition_config_selectorILNS1_17partition_subalgoE3EjNS0_10empty_typeEbEEZZNS1_14partition_implILS8_3ELb0ES6_jNS0_17counting_iteratorIjlEEPS9_SE_NS0_5tupleIJPjSE_EEENSF_IJSE_SE_EEES9_SG_JZNS1_25segmented_radix_sort_implINS0_14default_configELb0EPKaPaPKlPlN2at6native12_GLOBAL__N_18offset_tEEE10hipError_tPvRmT1_PNSt15iterator_traitsISY_E10value_typeET2_T3_PNSZ_IS14_E10value_typeET4_jRbjT5_S1A_jjP12ihipStream_tbEUljE_EEESV_SW_SX_S14_S18_S1A_T6_T7_T9_mT8_S1C_bDpT10_ENKUlT_T0_E_clISt17integral_constantIbLb0EES1P_EEDaS1K_S1L_EUlS1K_E_NS1_11comp_targetILNS1_3genE5ELNS1_11target_archE942ELNS1_3gpuE9ELNS1_3repE0EEENS1_30default_config_static_selectorELNS0_4arch9wavefront6targetE0EEEvSY_.num_vgpr, 0
	.set _ZN7rocprim17ROCPRIM_400000_NS6detail17trampoline_kernelINS0_13select_configILj256ELj13ELNS0_17block_load_methodE3ELS4_3ELS4_3ELNS0_20block_scan_algorithmE0ELj4294967295EEENS1_25partition_config_selectorILNS1_17partition_subalgoE3EjNS0_10empty_typeEbEEZZNS1_14partition_implILS8_3ELb0ES6_jNS0_17counting_iteratorIjlEEPS9_SE_NS0_5tupleIJPjSE_EEENSF_IJSE_SE_EEES9_SG_JZNS1_25segmented_radix_sort_implINS0_14default_configELb0EPKaPaPKlPlN2at6native12_GLOBAL__N_18offset_tEEE10hipError_tPvRmT1_PNSt15iterator_traitsISY_E10value_typeET2_T3_PNSZ_IS14_E10value_typeET4_jRbjT5_S1A_jjP12ihipStream_tbEUljE_EEESV_SW_SX_S14_S18_S1A_T6_T7_T9_mT8_S1C_bDpT10_ENKUlT_T0_E_clISt17integral_constantIbLb0EES1P_EEDaS1K_S1L_EUlS1K_E_NS1_11comp_targetILNS1_3genE5ELNS1_11target_archE942ELNS1_3gpuE9ELNS1_3repE0EEENS1_30default_config_static_selectorELNS0_4arch9wavefront6targetE0EEEvSY_.num_agpr, 0
	.set _ZN7rocprim17ROCPRIM_400000_NS6detail17trampoline_kernelINS0_13select_configILj256ELj13ELNS0_17block_load_methodE3ELS4_3ELS4_3ELNS0_20block_scan_algorithmE0ELj4294967295EEENS1_25partition_config_selectorILNS1_17partition_subalgoE3EjNS0_10empty_typeEbEEZZNS1_14partition_implILS8_3ELb0ES6_jNS0_17counting_iteratorIjlEEPS9_SE_NS0_5tupleIJPjSE_EEENSF_IJSE_SE_EEES9_SG_JZNS1_25segmented_radix_sort_implINS0_14default_configELb0EPKaPaPKlPlN2at6native12_GLOBAL__N_18offset_tEEE10hipError_tPvRmT1_PNSt15iterator_traitsISY_E10value_typeET2_T3_PNSZ_IS14_E10value_typeET4_jRbjT5_S1A_jjP12ihipStream_tbEUljE_EEESV_SW_SX_S14_S18_S1A_T6_T7_T9_mT8_S1C_bDpT10_ENKUlT_T0_E_clISt17integral_constantIbLb0EES1P_EEDaS1K_S1L_EUlS1K_E_NS1_11comp_targetILNS1_3genE5ELNS1_11target_archE942ELNS1_3gpuE9ELNS1_3repE0EEENS1_30default_config_static_selectorELNS0_4arch9wavefront6targetE0EEEvSY_.numbered_sgpr, 0
	.set _ZN7rocprim17ROCPRIM_400000_NS6detail17trampoline_kernelINS0_13select_configILj256ELj13ELNS0_17block_load_methodE3ELS4_3ELS4_3ELNS0_20block_scan_algorithmE0ELj4294967295EEENS1_25partition_config_selectorILNS1_17partition_subalgoE3EjNS0_10empty_typeEbEEZZNS1_14partition_implILS8_3ELb0ES6_jNS0_17counting_iteratorIjlEEPS9_SE_NS0_5tupleIJPjSE_EEENSF_IJSE_SE_EEES9_SG_JZNS1_25segmented_radix_sort_implINS0_14default_configELb0EPKaPaPKlPlN2at6native12_GLOBAL__N_18offset_tEEE10hipError_tPvRmT1_PNSt15iterator_traitsISY_E10value_typeET2_T3_PNSZ_IS14_E10value_typeET4_jRbjT5_S1A_jjP12ihipStream_tbEUljE_EEESV_SW_SX_S14_S18_S1A_T6_T7_T9_mT8_S1C_bDpT10_ENKUlT_T0_E_clISt17integral_constantIbLb0EES1P_EEDaS1K_S1L_EUlS1K_E_NS1_11comp_targetILNS1_3genE5ELNS1_11target_archE942ELNS1_3gpuE9ELNS1_3repE0EEENS1_30default_config_static_selectorELNS0_4arch9wavefront6targetE0EEEvSY_.num_named_barrier, 0
	.set _ZN7rocprim17ROCPRIM_400000_NS6detail17trampoline_kernelINS0_13select_configILj256ELj13ELNS0_17block_load_methodE3ELS4_3ELS4_3ELNS0_20block_scan_algorithmE0ELj4294967295EEENS1_25partition_config_selectorILNS1_17partition_subalgoE3EjNS0_10empty_typeEbEEZZNS1_14partition_implILS8_3ELb0ES6_jNS0_17counting_iteratorIjlEEPS9_SE_NS0_5tupleIJPjSE_EEENSF_IJSE_SE_EEES9_SG_JZNS1_25segmented_radix_sort_implINS0_14default_configELb0EPKaPaPKlPlN2at6native12_GLOBAL__N_18offset_tEEE10hipError_tPvRmT1_PNSt15iterator_traitsISY_E10value_typeET2_T3_PNSZ_IS14_E10value_typeET4_jRbjT5_S1A_jjP12ihipStream_tbEUljE_EEESV_SW_SX_S14_S18_S1A_T6_T7_T9_mT8_S1C_bDpT10_ENKUlT_T0_E_clISt17integral_constantIbLb0EES1P_EEDaS1K_S1L_EUlS1K_E_NS1_11comp_targetILNS1_3genE5ELNS1_11target_archE942ELNS1_3gpuE9ELNS1_3repE0EEENS1_30default_config_static_selectorELNS0_4arch9wavefront6targetE0EEEvSY_.private_seg_size, 0
	.set _ZN7rocprim17ROCPRIM_400000_NS6detail17trampoline_kernelINS0_13select_configILj256ELj13ELNS0_17block_load_methodE3ELS4_3ELS4_3ELNS0_20block_scan_algorithmE0ELj4294967295EEENS1_25partition_config_selectorILNS1_17partition_subalgoE3EjNS0_10empty_typeEbEEZZNS1_14partition_implILS8_3ELb0ES6_jNS0_17counting_iteratorIjlEEPS9_SE_NS0_5tupleIJPjSE_EEENSF_IJSE_SE_EEES9_SG_JZNS1_25segmented_radix_sort_implINS0_14default_configELb0EPKaPaPKlPlN2at6native12_GLOBAL__N_18offset_tEEE10hipError_tPvRmT1_PNSt15iterator_traitsISY_E10value_typeET2_T3_PNSZ_IS14_E10value_typeET4_jRbjT5_S1A_jjP12ihipStream_tbEUljE_EEESV_SW_SX_S14_S18_S1A_T6_T7_T9_mT8_S1C_bDpT10_ENKUlT_T0_E_clISt17integral_constantIbLb0EES1P_EEDaS1K_S1L_EUlS1K_E_NS1_11comp_targetILNS1_3genE5ELNS1_11target_archE942ELNS1_3gpuE9ELNS1_3repE0EEENS1_30default_config_static_selectorELNS0_4arch9wavefront6targetE0EEEvSY_.uses_vcc, 0
	.set _ZN7rocprim17ROCPRIM_400000_NS6detail17trampoline_kernelINS0_13select_configILj256ELj13ELNS0_17block_load_methodE3ELS4_3ELS4_3ELNS0_20block_scan_algorithmE0ELj4294967295EEENS1_25partition_config_selectorILNS1_17partition_subalgoE3EjNS0_10empty_typeEbEEZZNS1_14partition_implILS8_3ELb0ES6_jNS0_17counting_iteratorIjlEEPS9_SE_NS0_5tupleIJPjSE_EEENSF_IJSE_SE_EEES9_SG_JZNS1_25segmented_radix_sort_implINS0_14default_configELb0EPKaPaPKlPlN2at6native12_GLOBAL__N_18offset_tEEE10hipError_tPvRmT1_PNSt15iterator_traitsISY_E10value_typeET2_T3_PNSZ_IS14_E10value_typeET4_jRbjT5_S1A_jjP12ihipStream_tbEUljE_EEESV_SW_SX_S14_S18_S1A_T6_T7_T9_mT8_S1C_bDpT10_ENKUlT_T0_E_clISt17integral_constantIbLb0EES1P_EEDaS1K_S1L_EUlS1K_E_NS1_11comp_targetILNS1_3genE5ELNS1_11target_archE942ELNS1_3gpuE9ELNS1_3repE0EEENS1_30default_config_static_selectorELNS0_4arch9wavefront6targetE0EEEvSY_.uses_flat_scratch, 0
	.set _ZN7rocprim17ROCPRIM_400000_NS6detail17trampoline_kernelINS0_13select_configILj256ELj13ELNS0_17block_load_methodE3ELS4_3ELS4_3ELNS0_20block_scan_algorithmE0ELj4294967295EEENS1_25partition_config_selectorILNS1_17partition_subalgoE3EjNS0_10empty_typeEbEEZZNS1_14partition_implILS8_3ELb0ES6_jNS0_17counting_iteratorIjlEEPS9_SE_NS0_5tupleIJPjSE_EEENSF_IJSE_SE_EEES9_SG_JZNS1_25segmented_radix_sort_implINS0_14default_configELb0EPKaPaPKlPlN2at6native12_GLOBAL__N_18offset_tEEE10hipError_tPvRmT1_PNSt15iterator_traitsISY_E10value_typeET2_T3_PNSZ_IS14_E10value_typeET4_jRbjT5_S1A_jjP12ihipStream_tbEUljE_EEESV_SW_SX_S14_S18_S1A_T6_T7_T9_mT8_S1C_bDpT10_ENKUlT_T0_E_clISt17integral_constantIbLb0EES1P_EEDaS1K_S1L_EUlS1K_E_NS1_11comp_targetILNS1_3genE5ELNS1_11target_archE942ELNS1_3gpuE9ELNS1_3repE0EEENS1_30default_config_static_selectorELNS0_4arch9wavefront6targetE0EEEvSY_.has_dyn_sized_stack, 0
	.set _ZN7rocprim17ROCPRIM_400000_NS6detail17trampoline_kernelINS0_13select_configILj256ELj13ELNS0_17block_load_methodE3ELS4_3ELS4_3ELNS0_20block_scan_algorithmE0ELj4294967295EEENS1_25partition_config_selectorILNS1_17partition_subalgoE3EjNS0_10empty_typeEbEEZZNS1_14partition_implILS8_3ELb0ES6_jNS0_17counting_iteratorIjlEEPS9_SE_NS0_5tupleIJPjSE_EEENSF_IJSE_SE_EEES9_SG_JZNS1_25segmented_radix_sort_implINS0_14default_configELb0EPKaPaPKlPlN2at6native12_GLOBAL__N_18offset_tEEE10hipError_tPvRmT1_PNSt15iterator_traitsISY_E10value_typeET2_T3_PNSZ_IS14_E10value_typeET4_jRbjT5_S1A_jjP12ihipStream_tbEUljE_EEESV_SW_SX_S14_S18_S1A_T6_T7_T9_mT8_S1C_bDpT10_ENKUlT_T0_E_clISt17integral_constantIbLb0EES1P_EEDaS1K_S1L_EUlS1K_E_NS1_11comp_targetILNS1_3genE5ELNS1_11target_archE942ELNS1_3gpuE9ELNS1_3repE0EEENS1_30default_config_static_selectorELNS0_4arch9wavefront6targetE0EEEvSY_.has_recursion, 0
	.set _ZN7rocprim17ROCPRIM_400000_NS6detail17trampoline_kernelINS0_13select_configILj256ELj13ELNS0_17block_load_methodE3ELS4_3ELS4_3ELNS0_20block_scan_algorithmE0ELj4294967295EEENS1_25partition_config_selectorILNS1_17partition_subalgoE3EjNS0_10empty_typeEbEEZZNS1_14partition_implILS8_3ELb0ES6_jNS0_17counting_iteratorIjlEEPS9_SE_NS0_5tupleIJPjSE_EEENSF_IJSE_SE_EEES9_SG_JZNS1_25segmented_radix_sort_implINS0_14default_configELb0EPKaPaPKlPlN2at6native12_GLOBAL__N_18offset_tEEE10hipError_tPvRmT1_PNSt15iterator_traitsISY_E10value_typeET2_T3_PNSZ_IS14_E10value_typeET4_jRbjT5_S1A_jjP12ihipStream_tbEUljE_EEESV_SW_SX_S14_S18_S1A_T6_T7_T9_mT8_S1C_bDpT10_ENKUlT_T0_E_clISt17integral_constantIbLb0EES1P_EEDaS1K_S1L_EUlS1K_E_NS1_11comp_targetILNS1_3genE5ELNS1_11target_archE942ELNS1_3gpuE9ELNS1_3repE0EEENS1_30default_config_static_selectorELNS0_4arch9wavefront6targetE0EEEvSY_.has_indirect_call, 0
	.section	.AMDGPU.csdata,"",@progbits
; Kernel info:
; codeLenInByte = 0
; TotalNumSgprs: 0
; NumVgprs: 0
; ScratchSize: 0
; MemoryBound: 0
; FloatMode: 240
; IeeeMode: 1
; LDSByteSize: 0 bytes/workgroup (compile time only)
; SGPRBlocks: 0
; VGPRBlocks: 0
; NumSGPRsForWavesPerEU: 1
; NumVGPRsForWavesPerEU: 1
; Occupancy: 16
; WaveLimiterHint : 0
; COMPUTE_PGM_RSRC2:SCRATCH_EN: 0
; COMPUTE_PGM_RSRC2:USER_SGPR: 2
; COMPUTE_PGM_RSRC2:TRAP_HANDLER: 0
; COMPUTE_PGM_RSRC2:TGID_X_EN: 1
; COMPUTE_PGM_RSRC2:TGID_Y_EN: 0
; COMPUTE_PGM_RSRC2:TGID_Z_EN: 0
; COMPUTE_PGM_RSRC2:TIDIG_COMP_CNT: 0
	.section	.text._ZN7rocprim17ROCPRIM_400000_NS6detail17trampoline_kernelINS0_13select_configILj256ELj13ELNS0_17block_load_methodE3ELS4_3ELS4_3ELNS0_20block_scan_algorithmE0ELj4294967295EEENS1_25partition_config_selectorILNS1_17partition_subalgoE3EjNS0_10empty_typeEbEEZZNS1_14partition_implILS8_3ELb0ES6_jNS0_17counting_iteratorIjlEEPS9_SE_NS0_5tupleIJPjSE_EEENSF_IJSE_SE_EEES9_SG_JZNS1_25segmented_radix_sort_implINS0_14default_configELb0EPKaPaPKlPlN2at6native12_GLOBAL__N_18offset_tEEE10hipError_tPvRmT1_PNSt15iterator_traitsISY_E10value_typeET2_T3_PNSZ_IS14_E10value_typeET4_jRbjT5_S1A_jjP12ihipStream_tbEUljE_EEESV_SW_SX_S14_S18_S1A_T6_T7_T9_mT8_S1C_bDpT10_ENKUlT_T0_E_clISt17integral_constantIbLb0EES1P_EEDaS1K_S1L_EUlS1K_E_NS1_11comp_targetILNS1_3genE4ELNS1_11target_archE910ELNS1_3gpuE8ELNS1_3repE0EEENS1_30default_config_static_selectorELNS0_4arch9wavefront6targetE0EEEvSY_,"axG",@progbits,_ZN7rocprim17ROCPRIM_400000_NS6detail17trampoline_kernelINS0_13select_configILj256ELj13ELNS0_17block_load_methodE3ELS4_3ELS4_3ELNS0_20block_scan_algorithmE0ELj4294967295EEENS1_25partition_config_selectorILNS1_17partition_subalgoE3EjNS0_10empty_typeEbEEZZNS1_14partition_implILS8_3ELb0ES6_jNS0_17counting_iteratorIjlEEPS9_SE_NS0_5tupleIJPjSE_EEENSF_IJSE_SE_EEES9_SG_JZNS1_25segmented_radix_sort_implINS0_14default_configELb0EPKaPaPKlPlN2at6native12_GLOBAL__N_18offset_tEEE10hipError_tPvRmT1_PNSt15iterator_traitsISY_E10value_typeET2_T3_PNSZ_IS14_E10value_typeET4_jRbjT5_S1A_jjP12ihipStream_tbEUljE_EEESV_SW_SX_S14_S18_S1A_T6_T7_T9_mT8_S1C_bDpT10_ENKUlT_T0_E_clISt17integral_constantIbLb0EES1P_EEDaS1K_S1L_EUlS1K_E_NS1_11comp_targetILNS1_3genE4ELNS1_11target_archE910ELNS1_3gpuE8ELNS1_3repE0EEENS1_30default_config_static_selectorELNS0_4arch9wavefront6targetE0EEEvSY_,comdat
	.globl	_ZN7rocprim17ROCPRIM_400000_NS6detail17trampoline_kernelINS0_13select_configILj256ELj13ELNS0_17block_load_methodE3ELS4_3ELS4_3ELNS0_20block_scan_algorithmE0ELj4294967295EEENS1_25partition_config_selectorILNS1_17partition_subalgoE3EjNS0_10empty_typeEbEEZZNS1_14partition_implILS8_3ELb0ES6_jNS0_17counting_iteratorIjlEEPS9_SE_NS0_5tupleIJPjSE_EEENSF_IJSE_SE_EEES9_SG_JZNS1_25segmented_radix_sort_implINS0_14default_configELb0EPKaPaPKlPlN2at6native12_GLOBAL__N_18offset_tEEE10hipError_tPvRmT1_PNSt15iterator_traitsISY_E10value_typeET2_T3_PNSZ_IS14_E10value_typeET4_jRbjT5_S1A_jjP12ihipStream_tbEUljE_EEESV_SW_SX_S14_S18_S1A_T6_T7_T9_mT8_S1C_bDpT10_ENKUlT_T0_E_clISt17integral_constantIbLb0EES1P_EEDaS1K_S1L_EUlS1K_E_NS1_11comp_targetILNS1_3genE4ELNS1_11target_archE910ELNS1_3gpuE8ELNS1_3repE0EEENS1_30default_config_static_selectorELNS0_4arch9wavefront6targetE0EEEvSY_ ; -- Begin function _ZN7rocprim17ROCPRIM_400000_NS6detail17trampoline_kernelINS0_13select_configILj256ELj13ELNS0_17block_load_methodE3ELS4_3ELS4_3ELNS0_20block_scan_algorithmE0ELj4294967295EEENS1_25partition_config_selectorILNS1_17partition_subalgoE3EjNS0_10empty_typeEbEEZZNS1_14partition_implILS8_3ELb0ES6_jNS0_17counting_iteratorIjlEEPS9_SE_NS0_5tupleIJPjSE_EEENSF_IJSE_SE_EEES9_SG_JZNS1_25segmented_radix_sort_implINS0_14default_configELb0EPKaPaPKlPlN2at6native12_GLOBAL__N_18offset_tEEE10hipError_tPvRmT1_PNSt15iterator_traitsISY_E10value_typeET2_T3_PNSZ_IS14_E10value_typeET4_jRbjT5_S1A_jjP12ihipStream_tbEUljE_EEESV_SW_SX_S14_S18_S1A_T6_T7_T9_mT8_S1C_bDpT10_ENKUlT_T0_E_clISt17integral_constantIbLb0EES1P_EEDaS1K_S1L_EUlS1K_E_NS1_11comp_targetILNS1_3genE4ELNS1_11target_archE910ELNS1_3gpuE8ELNS1_3repE0EEENS1_30default_config_static_selectorELNS0_4arch9wavefront6targetE0EEEvSY_
	.p2align	8
	.type	_ZN7rocprim17ROCPRIM_400000_NS6detail17trampoline_kernelINS0_13select_configILj256ELj13ELNS0_17block_load_methodE3ELS4_3ELS4_3ELNS0_20block_scan_algorithmE0ELj4294967295EEENS1_25partition_config_selectorILNS1_17partition_subalgoE3EjNS0_10empty_typeEbEEZZNS1_14partition_implILS8_3ELb0ES6_jNS0_17counting_iteratorIjlEEPS9_SE_NS0_5tupleIJPjSE_EEENSF_IJSE_SE_EEES9_SG_JZNS1_25segmented_radix_sort_implINS0_14default_configELb0EPKaPaPKlPlN2at6native12_GLOBAL__N_18offset_tEEE10hipError_tPvRmT1_PNSt15iterator_traitsISY_E10value_typeET2_T3_PNSZ_IS14_E10value_typeET4_jRbjT5_S1A_jjP12ihipStream_tbEUljE_EEESV_SW_SX_S14_S18_S1A_T6_T7_T9_mT8_S1C_bDpT10_ENKUlT_T0_E_clISt17integral_constantIbLb0EES1P_EEDaS1K_S1L_EUlS1K_E_NS1_11comp_targetILNS1_3genE4ELNS1_11target_archE910ELNS1_3gpuE8ELNS1_3repE0EEENS1_30default_config_static_selectorELNS0_4arch9wavefront6targetE0EEEvSY_,@function
_ZN7rocprim17ROCPRIM_400000_NS6detail17trampoline_kernelINS0_13select_configILj256ELj13ELNS0_17block_load_methodE3ELS4_3ELS4_3ELNS0_20block_scan_algorithmE0ELj4294967295EEENS1_25partition_config_selectorILNS1_17partition_subalgoE3EjNS0_10empty_typeEbEEZZNS1_14partition_implILS8_3ELb0ES6_jNS0_17counting_iteratorIjlEEPS9_SE_NS0_5tupleIJPjSE_EEENSF_IJSE_SE_EEES9_SG_JZNS1_25segmented_radix_sort_implINS0_14default_configELb0EPKaPaPKlPlN2at6native12_GLOBAL__N_18offset_tEEE10hipError_tPvRmT1_PNSt15iterator_traitsISY_E10value_typeET2_T3_PNSZ_IS14_E10value_typeET4_jRbjT5_S1A_jjP12ihipStream_tbEUljE_EEESV_SW_SX_S14_S18_S1A_T6_T7_T9_mT8_S1C_bDpT10_ENKUlT_T0_E_clISt17integral_constantIbLb0EES1P_EEDaS1K_S1L_EUlS1K_E_NS1_11comp_targetILNS1_3genE4ELNS1_11target_archE910ELNS1_3gpuE8ELNS1_3repE0EEENS1_30default_config_static_selectorELNS0_4arch9wavefront6targetE0EEEvSY_: ; @_ZN7rocprim17ROCPRIM_400000_NS6detail17trampoline_kernelINS0_13select_configILj256ELj13ELNS0_17block_load_methodE3ELS4_3ELS4_3ELNS0_20block_scan_algorithmE0ELj4294967295EEENS1_25partition_config_selectorILNS1_17partition_subalgoE3EjNS0_10empty_typeEbEEZZNS1_14partition_implILS8_3ELb0ES6_jNS0_17counting_iteratorIjlEEPS9_SE_NS0_5tupleIJPjSE_EEENSF_IJSE_SE_EEES9_SG_JZNS1_25segmented_radix_sort_implINS0_14default_configELb0EPKaPaPKlPlN2at6native12_GLOBAL__N_18offset_tEEE10hipError_tPvRmT1_PNSt15iterator_traitsISY_E10value_typeET2_T3_PNSZ_IS14_E10value_typeET4_jRbjT5_S1A_jjP12ihipStream_tbEUljE_EEESV_SW_SX_S14_S18_S1A_T6_T7_T9_mT8_S1C_bDpT10_ENKUlT_T0_E_clISt17integral_constantIbLb0EES1P_EEDaS1K_S1L_EUlS1K_E_NS1_11comp_targetILNS1_3genE4ELNS1_11target_archE910ELNS1_3gpuE8ELNS1_3repE0EEENS1_30default_config_static_selectorELNS0_4arch9wavefront6targetE0EEEvSY_
; %bb.0:
	.section	.rodata,"a",@progbits
	.p2align	6, 0x0
	.amdhsa_kernel _ZN7rocprim17ROCPRIM_400000_NS6detail17trampoline_kernelINS0_13select_configILj256ELj13ELNS0_17block_load_methodE3ELS4_3ELS4_3ELNS0_20block_scan_algorithmE0ELj4294967295EEENS1_25partition_config_selectorILNS1_17partition_subalgoE3EjNS0_10empty_typeEbEEZZNS1_14partition_implILS8_3ELb0ES6_jNS0_17counting_iteratorIjlEEPS9_SE_NS0_5tupleIJPjSE_EEENSF_IJSE_SE_EEES9_SG_JZNS1_25segmented_radix_sort_implINS0_14default_configELb0EPKaPaPKlPlN2at6native12_GLOBAL__N_18offset_tEEE10hipError_tPvRmT1_PNSt15iterator_traitsISY_E10value_typeET2_T3_PNSZ_IS14_E10value_typeET4_jRbjT5_S1A_jjP12ihipStream_tbEUljE_EEESV_SW_SX_S14_S18_S1A_T6_T7_T9_mT8_S1C_bDpT10_ENKUlT_T0_E_clISt17integral_constantIbLb0EES1P_EEDaS1K_S1L_EUlS1K_E_NS1_11comp_targetILNS1_3genE4ELNS1_11target_archE910ELNS1_3gpuE8ELNS1_3repE0EEENS1_30default_config_static_selectorELNS0_4arch9wavefront6targetE0EEEvSY_
		.amdhsa_group_segment_fixed_size 0
		.amdhsa_private_segment_fixed_size 0
		.amdhsa_kernarg_size 144
		.amdhsa_user_sgpr_count 2
		.amdhsa_user_sgpr_dispatch_ptr 0
		.amdhsa_user_sgpr_queue_ptr 0
		.amdhsa_user_sgpr_kernarg_segment_ptr 1
		.amdhsa_user_sgpr_dispatch_id 0
		.amdhsa_user_sgpr_private_segment_size 0
		.amdhsa_wavefront_size32 1
		.amdhsa_uses_dynamic_stack 0
		.amdhsa_enable_private_segment 0
		.amdhsa_system_sgpr_workgroup_id_x 1
		.amdhsa_system_sgpr_workgroup_id_y 0
		.amdhsa_system_sgpr_workgroup_id_z 0
		.amdhsa_system_sgpr_workgroup_info 0
		.amdhsa_system_vgpr_workitem_id 0
		.amdhsa_next_free_vgpr 1
		.amdhsa_next_free_sgpr 1
		.amdhsa_reserve_vcc 0
		.amdhsa_float_round_mode_32 0
		.amdhsa_float_round_mode_16_64 0
		.amdhsa_float_denorm_mode_32 3
		.amdhsa_float_denorm_mode_16_64 3
		.amdhsa_fp16_overflow 0
		.amdhsa_workgroup_processor_mode 1
		.amdhsa_memory_ordered 1
		.amdhsa_forward_progress 1
		.amdhsa_inst_pref_size 0
		.amdhsa_round_robin_scheduling 0
		.amdhsa_exception_fp_ieee_invalid_op 0
		.amdhsa_exception_fp_denorm_src 0
		.amdhsa_exception_fp_ieee_div_zero 0
		.amdhsa_exception_fp_ieee_overflow 0
		.amdhsa_exception_fp_ieee_underflow 0
		.amdhsa_exception_fp_ieee_inexact 0
		.amdhsa_exception_int_div_zero 0
	.end_amdhsa_kernel
	.section	.text._ZN7rocprim17ROCPRIM_400000_NS6detail17trampoline_kernelINS0_13select_configILj256ELj13ELNS0_17block_load_methodE3ELS4_3ELS4_3ELNS0_20block_scan_algorithmE0ELj4294967295EEENS1_25partition_config_selectorILNS1_17partition_subalgoE3EjNS0_10empty_typeEbEEZZNS1_14partition_implILS8_3ELb0ES6_jNS0_17counting_iteratorIjlEEPS9_SE_NS0_5tupleIJPjSE_EEENSF_IJSE_SE_EEES9_SG_JZNS1_25segmented_radix_sort_implINS0_14default_configELb0EPKaPaPKlPlN2at6native12_GLOBAL__N_18offset_tEEE10hipError_tPvRmT1_PNSt15iterator_traitsISY_E10value_typeET2_T3_PNSZ_IS14_E10value_typeET4_jRbjT5_S1A_jjP12ihipStream_tbEUljE_EEESV_SW_SX_S14_S18_S1A_T6_T7_T9_mT8_S1C_bDpT10_ENKUlT_T0_E_clISt17integral_constantIbLb0EES1P_EEDaS1K_S1L_EUlS1K_E_NS1_11comp_targetILNS1_3genE4ELNS1_11target_archE910ELNS1_3gpuE8ELNS1_3repE0EEENS1_30default_config_static_selectorELNS0_4arch9wavefront6targetE0EEEvSY_,"axG",@progbits,_ZN7rocprim17ROCPRIM_400000_NS6detail17trampoline_kernelINS0_13select_configILj256ELj13ELNS0_17block_load_methodE3ELS4_3ELS4_3ELNS0_20block_scan_algorithmE0ELj4294967295EEENS1_25partition_config_selectorILNS1_17partition_subalgoE3EjNS0_10empty_typeEbEEZZNS1_14partition_implILS8_3ELb0ES6_jNS0_17counting_iteratorIjlEEPS9_SE_NS0_5tupleIJPjSE_EEENSF_IJSE_SE_EEES9_SG_JZNS1_25segmented_radix_sort_implINS0_14default_configELb0EPKaPaPKlPlN2at6native12_GLOBAL__N_18offset_tEEE10hipError_tPvRmT1_PNSt15iterator_traitsISY_E10value_typeET2_T3_PNSZ_IS14_E10value_typeET4_jRbjT5_S1A_jjP12ihipStream_tbEUljE_EEESV_SW_SX_S14_S18_S1A_T6_T7_T9_mT8_S1C_bDpT10_ENKUlT_T0_E_clISt17integral_constantIbLb0EES1P_EEDaS1K_S1L_EUlS1K_E_NS1_11comp_targetILNS1_3genE4ELNS1_11target_archE910ELNS1_3gpuE8ELNS1_3repE0EEENS1_30default_config_static_selectorELNS0_4arch9wavefront6targetE0EEEvSY_,comdat
.Lfunc_end363:
	.size	_ZN7rocprim17ROCPRIM_400000_NS6detail17trampoline_kernelINS0_13select_configILj256ELj13ELNS0_17block_load_methodE3ELS4_3ELS4_3ELNS0_20block_scan_algorithmE0ELj4294967295EEENS1_25partition_config_selectorILNS1_17partition_subalgoE3EjNS0_10empty_typeEbEEZZNS1_14partition_implILS8_3ELb0ES6_jNS0_17counting_iteratorIjlEEPS9_SE_NS0_5tupleIJPjSE_EEENSF_IJSE_SE_EEES9_SG_JZNS1_25segmented_radix_sort_implINS0_14default_configELb0EPKaPaPKlPlN2at6native12_GLOBAL__N_18offset_tEEE10hipError_tPvRmT1_PNSt15iterator_traitsISY_E10value_typeET2_T3_PNSZ_IS14_E10value_typeET4_jRbjT5_S1A_jjP12ihipStream_tbEUljE_EEESV_SW_SX_S14_S18_S1A_T6_T7_T9_mT8_S1C_bDpT10_ENKUlT_T0_E_clISt17integral_constantIbLb0EES1P_EEDaS1K_S1L_EUlS1K_E_NS1_11comp_targetILNS1_3genE4ELNS1_11target_archE910ELNS1_3gpuE8ELNS1_3repE0EEENS1_30default_config_static_selectorELNS0_4arch9wavefront6targetE0EEEvSY_, .Lfunc_end363-_ZN7rocprim17ROCPRIM_400000_NS6detail17trampoline_kernelINS0_13select_configILj256ELj13ELNS0_17block_load_methodE3ELS4_3ELS4_3ELNS0_20block_scan_algorithmE0ELj4294967295EEENS1_25partition_config_selectorILNS1_17partition_subalgoE3EjNS0_10empty_typeEbEEZZNS1_14partition_implILS8_3ELb0ES6_jNS0_17counting_iteratorIjlEEPS9_SE_NS0_5tupleIJPjSE_EEENSF_IJSE_SE_EEES9_SG_JZNS1_25segmented_radix_sort_implINS0_14default_configELb0EPKaPaPKlPlN2at6native12_GLOBAL__N_18offset_tEEE10hipError_tPvRmT1_PNSt15iterator_traitsISY_E10value_typeET2_T3_PNSZ_IS14_E10value_typeET4_jRbjT5_S1A_jjP12ihipStream_tbEUljE_EEESV_SW_SX_S14_S18_S1A_T6_T7_T9_mT8_S1C_bDpT10_ENKUlT_T0_E_clISt17integral_constantIbLb0EES1P_EEDaS1K_S1L_EUlS1K_E_NS1_11comp_targetILNS1_3genE4ELNS1_11target_archE910ELNS1_3gpuE8ELNS1_3repE0EEENS1_30default_config_static_selectorELNS0_4arch9wavefront6targetE0EEEvSY_
                                        ; -- End function
	.set _ZN7rocprim17ROCPRIM_400000_NS6detail17trampoline_kernelINS0_13select_configILj256ELj13ELNS0_17block_load_methodE3ELS4_3ELS4_3ELNS0_20block_scan_algorithmE0ELj4294967295EEENS1_25partition_config_selectorILNS1_17partition_subalgoE3EjNS0_10empty_typeEbEEZZNS1_14partition_implILS8_3ELb0ES6_jNS0_17counting_iteratorIjlEEPS9_SE_NS0_5tupleIJPjSE_EEENSF_IJSE_SE_EEES9_SG_JZNS1_25segmented_radix_sort_implINS0_14default_configELb0EPKaPaPKlPlN2at6native12_GLOBAL__N_18offset_tEEE10hipError_tPvRmT1_PNSt15iterator_traitsISY_E10value_typeET2_T3_PNSZ_IS14_E10value_typeET4_jRbjT5_S1A_jjP12ihipStream_tbEUljE_EEESV_SW_SX_S14_S18_S1A_T6_T7_T9_mT8_S1C_bDpT10_ENKUlT_T0_E_clISt17integral_constantIbLb0EES1P_EEDaS1K_S1L_EUlS1K_E_NS1_11comp_targetILNS1_3genE4ELNS1_11target_archE910ELNS1_3gpuE8ELNS1_3repE0EEENS1_30default_config_static_selectorELNS0_4arch9wavefront6targetE0EEEvSY_.num_vgpr, 0
	.set _ZN7rocprim17ROCPRIM_400000_NS6detail17trampoline_kernelINS0_13select_configILj256ELj13ELNS0_17block_load_methodE3ELS4_3ELS4_3ELNS0_20block_scan_algorithmE0ELj4294967295EEENS1_25partition_config_selectorILNS1_17partition_subalgoE3EjNS0_10empty_typeEbEEZZNS1_14partition_implILS8_3ELb0ES6_jNS0_17counting_iteratorIjlEEPS9_SE_NS0_5tupleIJPjSE_EEENSF_IJSE_SE_EEES9_SG_JZNS1_25segmented_radix_sort_implINS0_14default_configELb0EPKaPaPKlPlN2at6native12_GLOBAL__N_18offset_tEEE10hipError_tPvRmT1_PNSt15iterator_traitsISY_E10value_typeET2_T3_PNSZ_IS14_E10value_typeET4_jRbjT5_S1A_jjP12ihipStream_tbEUljE_EEESV_SW_SX_S14_S18_S1A_T6_T7_T9_mT8_S1C_bDpT10_ENKUlT_T0_E_clISt17integral_constantIbLb0EES1P_EEDaS1K_S1L_EUlS1K_E_NS1_11comp_targetILNS1_3genE4ELNS1_11target_archE910ELNS1_3gpuE8ELNS1_3repE0EEENS1_30default_config_static_selectorELNS0_4arch9wavefront6targetE0EEEvSY_.num_agpr, 0
	.set _ZN7rocprim17ROCPRIM_400000_NS6detail17trampoline_kernelINS0_13select_configILj256ELj13ELNS0_17block_load_methodE3ELS4_3ELS4_3ELNS0_20block_scan_algorithmE0ELj4294967295EEENS1_25partition_config_selectorILNS1_17partition_subalgoE3EjNS0_10empty_typeEbEEZZNS1_14partition_implILS8_3ELb0ES6_jNS0_17counting_iteratorIjlEEPS9_SE_NS0_5tupleIJPjSE_EEENSF_IJSE_SE_EEES9_SG_JZNS1_25segmented_radix_sort_implINS0_14default_configELb0EPKaPaPKlPlN2at6native12_GLOBAL__N_18offset_tEEE10hipError_tPvRmT1_PNSt15iterator_traitsISY_E10value_typeET2_T3_PNSZ_IS14_E10value_typeET4_jRbjT5_S1A_jjP12ihipStream_tbEUljE_EEESV_SW_SX_S14_S18_S1A_T6_T7_T9_mT8_S1C_bDpT10_ENKUlT_T0_E_clISt17integral_constantIbLb0EES1P_EEDaS1K_S1L_EUlS1K_E_NS1_11comp_targetILNS1_3genE4ELNS1_11target_archE910ELNS1_3gpuE8ELNS1_3repE0EEENS1_30default_config_static_selectorELNS0_4arch9wavefront6targetE0EEEvSY_.numbered_sgpr, 0
	.set _ZN7rocprim17ROCPRIM_400000_NS6detail17trampoline_kernelINS0_13select_configILj256ELj13ELNS0_17block_load_methodE3ELS4_3ELS4_3ELNS0_20block_scan_algorithmE0ELj4294967295EEENS1_25partition_config_selectorILNS1_17partition_subalgoE3EjNS0_10empty_typeEbEEZZNS1_14partition_implILS8_3ELb0ES6_jNS0_17counting_iteratorIjlEEPS9_SE_NS0_5tupleIJPjSE_EEENSF_IJSE_SE_EEES9_SG_JZNS1_25segmented_radix_sort_implINS0_14default_configELb0EPKaPaPKlPlN2at6native12_GLOBAL__N_18offset_tEEE10hipError_tPvRmT1_PNSt15iterator_traitsISY_E10value_typeET2_T3_PNSZ_IS14_E10value_typeET4_jRbjT5_S1A_jjP12ihipStream_tbEUljE_EEESV_SW_SX_S14_S18_S1A_T6_T7_T9_mT8_S1C_bDpT10_ENKUlT_T0_E_clISt17integral_constantIbLb0EES1P_EEDaS1K_S1L_EUlS1K_E_NS1_11comp_targetILNS1_3genE4ELNS1_11target_archE910ELNS1_3gpuE8ELNS1_3repE0EEENS1_30default_config_static_selectorELNS0_4arch9wavefront6targetE0EEEvSY_.num_named_barrier, 0
	.set _ZN7rocprim17ROCPRIM_400000_NS6detail17trampoline_kernelINS0_13select_configILj256ELj13ELNS0_17block_load_methodE3ELS4_3ELS4_3ELNS0_20block_scan_algorithmE0ELj4294967295EEENS1_25partition_config_selectorILNS1_17partition_subalgoE3EjNS0_10empty_typeEbEEZZNS1_14partition_implILS8_3ELb0ES6_jNS0_17counting_iteratorIjlEEPS9_SE_NS0_5tupleIJPjSE_EEENSF_IJSE_SE_EEES9_SG_JZNS1_25segmented_radix_sort_implINS0_14default_configELb0EPKaPaPKlPlN2at6native12_GLOBAL__N_18offset_tEEE10hipError_tPvRmT1_PNSt15iterator_traitsISY_E10value_typeET2_T3_PNSZ_IS14_E10value_typeET4_jRbjT5_S1A_jjP12ihipStream_tbEUljE_EEESV_SW_SX_S14_S18_S1A_T6_T7_T9_mT8_S1C_bDpT10_ENKUlT_T0_E_clISt17integral_constantIbLb0EES1P_EEDaS1K_S1L_EUlS1K_E_NS1_11comp_targetILNS1_3genE4ELNS1_11target_archE910ELNS1_3gpuE8ELNS1_3repE0EEENS1_30default_config_static_selectorELNS0_4arch9wavefront6targetE0EEEvSY_.private_seg_size, 0
	.set _ZN7rocprim17ROCPRIM_400000_NS6detail17trampoline_kernelINS0_13select_configILj256ELj13ELNS0_17block_load_methodE3ELS4_3ELS4_3ELNS0_20block_scan_algorithmE0ELj4294967295EEENS1_25partition_config_selectorILNS1_17partition_subalgoE3EjNS0_10empty_typeEbEEZZNS1_14partition_implILS8_3ELb0ES6_jNS0_17counting_iteratorIjlEEPS9_SE_NS0_5tupleIJPjSE_EEENSF_IJSE_SE_EEES9_SG_JZNS1_25segmented_radix_sort_implINS0_14default_configELb0EPKaPaPKlPlN2at6native12_GLOBAL__N_18offset_tEEE10hipError_tPvRmT1_PNSt15iterator_traitsISY_E10value_typeET2_T3_PNSZ_IS14_E10value_typeET4_jRbjT5_S1A_jjP12ihipStream_tbEUljE_EEESV_SW_SX_S14_S18_S1A_T6_T7_T9_mT8_S1C_bDpT10_ENKUlT_T0_E_clISt17integral_constantIbLb0EES1P_EEDaS1K_S1L_EUlS1K_E_NS1_11comp_targetILNS1_3genE4ELNS1_11target_archE910ELNS1_3gpuE8ELNS1_3repE0EEENS1_30default_config_static_selectorELNS0_4arch9wavefront6targetE0EEEvSY_.uses_vcc, 0
	.set _ZN7rocprim17ROCPRIM_400000_NS6detail17trampoline_kernelINS0_13select_configILj256ELj13ELNS0_17block_load_methodE3ELS4_3ELS4_3ELNS0_20block_scan_algorithmE0ELj4294967295EEENS1_25partition_config_selectorILNS1_17partition_subalgoE3EjNS0_10empty_typeEbEEZZNS1_14partition_implILS8_3ELb0ES6_jNS0_17counting_iteratorIjlEEPS9_SE_NS0_5tupleIJPjSE_EEENSF_IJSE_SE_EEES9_SG_JZNS1_25segmented_radix_sort_implINS0_14default_configELb0EPKaPaPKlPlN2at6native12_GLOBAL__N_18offset_tEEE10hipError_tPvRmT1_PNSt15iterator_traitsISY_E10value_typeET2_T3_PNSZ_IS14_E10value_typeET4_jRbjT5_S1A_jjP12ihipStream_tbEUljE_EEESV_SW_SX_S14_S18_S1A_T6_T7_T9_mT8_S1C_bDpT10_ENKUlT_T0_E_clISt17integral_constantIbLb0EES1P_EEDaS1K_S1L_EUlS1K_E_NS1_11comp_targetILNS1_3genE4ELNS1_11target_archE910ELNS1_3gpuE8ELNS1_3repE0EEENS1_30default_config_static_selectorELNS0_4arch9wavefront6targetE0EEEvSY_.uses_flat_scratch, 0
	.set _ZN7rocprim17ROCPRIM_400000_NS6detail17trampoline_kernelINS0_13select_configILj256ELj13ELNS0_17block_load_methodE3ELS4_3ELS4_3ELNS0_20block_scan_algorithmE0ELj4294967295EEENS1_25partition_config_selectorILNS1_17partition_subalgoE3EjNS0_10empty_typeEbEEZZNS1_14partition_implILS8_3ELb0ES6_jNS0_17counting_iteratorIjlEEPS9_SE_NS0_5tupleIJPjSE_EEENSF_IJSE_SE_EEES9_SG_JZNS1_25segmented_radix_sort_implINS0_14default_configELb0EPKaPaPKlPlN2at6native12_GLOBAL__N_18offset_tEEE10hipError_tPvRmT1_PNSt15iterator_traitsISY_E10value_typeET2_T3_PNSZ_IS14_E10value_typeET4_jRbjT5_S1A_jjP12ihipStream_tbEUljE_EEESV_SW_SX_S14_S18_S1A_T6_T7_T9_mT8_S1C_bDpT10_ENKUlT_T0_E_clISt17integral_constantIbLb0EES1P_EEDaS1K_S1L_EUlS1K_E_NS1_11comp_targetILNS1_3genE4ELNS1_11target_archE910ELNS1_3gpuE8ELNS1_3repE0EEENS1_30default_config_static_selectorELNS0_4arch9wavefront6targetE0EEEvSY_.has_dyn_sized_stack, 0
	.set _ZN7rocprim17ROCPRIM_400000_NS6detail17trampoline_kernelINS0_13select_configILj256ELj13ELNS0_17block_load_methodE3ELS4_3ELS4_3ELNS0_20block_scan_algorithmE0ELj4294967295EEENS1_25partition_config_selectorILNS1_17partition_subalgoE3EjNS0_10empty_typeEbEEZZNS1_14partition_implILS8_3ELb0ES6_jNS0_17counting_iteratorIjlEEPS9_SE_NS0_5tupleIJPjSE_EEENSF_IJSE_SE_EEES9_SG_JZNS1_25segmented_radix_sort_implINS0_14default_configELb0EPKaPaPKlPlN2at6native12_GLOBAL__N_18offset_tEEE10hipError_tPvRmT1_PNSt15iterator_traitsISY_E10value_typeET2_T3_PNSZ_IS14_E10value_typeET4_jRbjT5_S1A_jjP12ihipStream_tbEUljE_EEESV_SW_SX_S14_S18_S1A_T6_T7_T9_mT8_S1C_bDpT10_ENKUlT_T0_E_clISt17integral_constantIbLb0EES1P_EEDaS1K_S1L_EUlS1K_E_NS1_11comp_targetILNS1_3genE4ELNS1_11target_archE910ELNS1_3gpuE8ELNS1_3repE0EEENS1_30default_config_static_selectorELNS0_4arch9wavefront6targetE0EEEvSY_.has_recursion, 0
	.set _ZN7rocprim17ROCPRIM_400000_NS6detail17trampoline_kernelINS0_13select_configILj256ELj13ELNS0_17block_load_methodE3ELS4_3ELS4_3ELNS0_20block_scan_algorithmE0ELj4294967295EEENS1_25partition_config_selectorILNS1_17partition_subalgoE3EjNS0_10empty_typeEbEEZZNS1_14partition_implILS8_3ELb0ES6_jNS0_17counting_iteratorIjlEEPS9_SE_NS0_5tupleIJPjSE_EEENSF_IJSE_SE_EEES9_SG_JZNS1_25segmented_radix_sort_implINS0_14default_configELb0EPKaPaPKlPlN2at6native12_GLOBAL__N_18offset_tEEE10hipError_tPvRmT1_PNSt15iterator_traitsISY_E10value_typeET2_T3_PNSZ_IS14_E10value_typeET4_jRbjT5_S1A_jjP12ihipStream_tbEUljE_EEESV_SW_SX_S14_S18_S1A_T6_T7_T9_mT8_S1C_bDpT10_ENKUlT_T0_E_clISt17integral_constantIbLb0EES1P_EEDaS1K_S1L_EUlS1K_E_NS1_11comp_targetILNS1_3genE4ELNS1_11target_archE910ELNS1_3gpuE8ELNS1_3repE0EEENS1_30default_config_static_selectorELNS0_4arch9wavefront6targetE0EEEvSY_.has_indirect_call, 0
	.section	.AMDGPU.csdata,"",@progbits
; Kernel info:
; codeLenInByte = 0
; TotalNumSgprs: 0
; NumVgprs: 0
; ScratchSize: 0
; MemoryBound: 0
; FloatMode: 240
; IeeeMode: 1
; LDSByteSize: 0 bytes/workgroup (compile time only)
; SGPRBlocks: 0
; VGPRBlocks: 0
; NumSGPRsForWavesPerEU: 1
; NumVGPRsForWavesPerEU: 1
; Occupancy: 16
; WaveLimiterHint : 0
; COMPUTE_PGM_RSRC2:SCRATCH_EN: 0
; COMPUTE_PGM_RSRC2:USER_SGPR: 2
; COMPUTE_PGM_RSRC2:TRAP_HANDLER: 0
; COMPUTE_PGM_RSRC2:TGID_X_EN: 1
; COMPUTE_PGM_RSRC2:TGID_Y_EN: 0
; COMPUTE_PGM_RSRC2:TGID_Z_EN: 0
; COMPUTE_PGM_RSRC2:TIDIG_COMP_CNT: 0
	.section	.text._ZN7rocprim17ROCPRIM_400000_NS6detail17trampoline_kernelINS0_13select_configILj256ELj13ELNS0_17block_load_methodE3ELS4_3ELS4_3ELNS0_20block_scan_algorithmE0ELj4294967295EEENS1_25partition_config_selectorILNS1_17partition_subalgoE3EjNS0_10empty_typeEbEEZZNS1_14partition_implILS8_3ELb0ES6_jNS0_17counting_iteratorIjlEEPS9_SE_NS0_5tupleIJPjSE_EEENSF_IJSE_SE_EEES9_SG_JZNS1_25segmented_radix_sort_implINS0_14default_configELb0EPKaPaPKlPlN2at6native12_GLOBAL__N_18offset_tEEE10hipError_tPvRmT1_PNSt15iterator_traitsISY_E10value_typeET2_T3_PNSZ_IS14_E10value_typeET4_jRbjT5_S1A_jjP12ihipStream_tbEUljE_EEESV_SW_SX_S14_S18_S1A_T6_T7_T9_mT8_S1C_bDpT10_ENKUlT_T0_E_clISt17integral_constantIbLb0EES1P_EEDaS1K_S1L_EUlS1K_E_NS1_11comp_targetILNS1_3genE3ELNS1_11target_archE908ELNS1_3gpuE7ELNS1_3repE0EEENS1_30default_config_static_selectorELNS0_4arch9wavefront6targetE0EEEvSY_,"axG",@progbits,_ZN7rocprim17ROCPRIM_400000_NS6detail17trampoline_kernelINS0_13select_configILj256ELj13ELNS0_17block_load_methodE3ELS4_3ELS4_3ELNS0_20block_scan_algorithmE0ELj4294967295EEENS1_25partition_config_selectorILNS1_17partition_subalgoE3EjNS0_10empty_typeEbEEZZNS1_14partition_implILS8_3ELb0ES6_jNS0_17counting_iteratorIjlEEPS9_SE_NS0_5tupleIJPjSE_EEENSF_IJSE_SE_EEES9_SG_JZNS1_25segmented_radix_sort_implINS0_14default_configELb0EPKaPaPKlPlN2at6native12_GLOBAL__N_18offset_tEEE10hipError_tPvRmT1_PNSt15iterator_traitsISY_E10value_typeET2_T3_PNSZ_IS14_E10value_typeET4_jRbjT5_S1A_jjP12ihipStream_tbEUljE_EEESV_SW_SX_S14_S18_S1A_T6_T7_T9_mT8_S1C_bDpT10_ENKUlT_T0_E_clISt17integral_constantIbLb0EES1P_EEDaS1K_S1L_EUlS1K_E_NS1_11comp_targetILNS1_3genE3ELNS1_11target_archE908ELNS1_3gpuE7ELNS1_3repE0EEENS1_30default_config_static_selectorELNS0_4arch9wavefront6targetE0EEEvSY_,comdat
	.globl	_ZN7rocprim17ROCPRIM_400000_NS6detail17trampoline_kernelINS0_13select_configILj256ELj13ELNS0_17block_load_methodE3ELS4_3ELS4_3ELNS0_20block_scan_algorithmE0ELj4294967295EEENS1_25partition_config_selectorILNS1_17partition_subalgoE3EjNS0_10empty_typeEbEEZZNS1_14partition_implILS8_3ELb0ES6_jNS0_17counting_iteratorIjlEEPS9_SE_NS0_5tupleIJPjSE_EEENSF_IJSE_SE_EEES9_SG_JZNS1_25segmented_radix_sort_implINS0_14default_configELb0EPKaPaPKlPlN2at6native12_GLOBAL__N_18offset_tEEE10hipError_tPvRmT1_PNSt15iterator_traitsISY_E10value_typeET2_T3_PNSZ_IS14_E10value_typeET4_jRbjT5_S1A_jjP12ihipStream_tbEUljE_EEESV_SW_SX_S14_S18_S1A_T6_T7_T9_mT8_S1C_bDpT10_ENKUlT_T0_E_clISt17integral_constantIbLb0EES1P_EEDaS1K_S1L_EUlS1K_E_NS1_11comp_targetILNS1_3genE3ELNS1_11target_archE908ELNS1_3gpuE7ELNS1_3repE0EEENS1_30default_config_static_selectorELNS0_4arch9wavefront6targetE0EEEvSY_ ; -- Begin function _ZN7rocprim17ROCPRIM_400000_NS6detail17trampoline_kernelINS0_13select_configILj256ELj13ELNS0_17block_load_methodE3ELS4_3ELS4_3ELNS0_20block_scan_algorithmE0ELj4294967295EEENS1_25partition_config_selectorILNS1_17partition_subalgoE3EjNS0_10empty_typeEbEEZZNS1_14partition_implILS8_3ELb0ES6_jNS0_17counting_iteratorIjlEEPS9_SE_NS0_5tupleIJPjSE_EEENSF_IJSE_SE_EEES9_SG_JZNS1_25segmented_radix_sort_implINS0_14default_configELb0EPKaPaPKlPlN2at6native12_GLOBAL__N_18offset_tEEE10hipError_tPvRmT1_PNSt15iterator_traitsISY_E10value_typeET2_T3_PNSZ_IS14_E10value_typeET4_jRbjT5_S1A_jjP12ihipStream_tbEUljE_EEESV_SW_SX_S14_S18_S1A_T6_T7_T9_mT8_S1C_bDpT10_ENKUlT_T0_E_clISt17integral_constantIbLb0EES1P_EEDaS1K_S1L_EUlS1K_E_NS1_11comp_targetILNS1_3genE3ELNS1_11target_archE908ELNS1_3gpuE7ELNS1_3repE0EEENS1_30default_config_static_selectorELNS0_4arch9wavefront6targetE0EEEvSY_
	.p2align	8
	.type	_ZN7rocprim17ROCPRIM_400000_NS6detail17trampoline_kernelINS0_13select_configILj256ELj13ELNS0_17block_load_methodE3ELS4_3ELS4_3ELNS0_20block_scan_algorithmE0ELj4294967295EEENS1_25partition_config_selectorILNS1_17partition_subalgoE3EjNS0_10empty_typeEbEEZZNS1_14partition_implILS8_3ELb0ES6_jNS0_17counting_iteratorIjlEEPS9_SE_NS0_5tupleIJPjSE_EEENSF_IJSE_SE_EEES9_SG_JZNS1_25segmented_radix_sort_implINS0_14default_configELb0EPKaPaPKlPlN2at6native12_GLOBAL__N_18offset_tEEE10hipError_tPvRmT1_PNSt15iterator_traitsISY_E10value_typeET2_T3_PNSZ_IS14_E10value_typeET4_jRbjT5_S1A_jjP12ihipStream_tbEUljE_EEESV_SW_SX_S14_S18_S1A_T6_T7_T9_mT8_S1C_bDpT10_ENKUlT_T0_E_clISt17integral_constantIbLb0EES1P_EEDaS1K_S1L_EUlS1K_E_NS1_11comp_targetILNS1_3genE3ELNS1_11target_archE908ELNS1_3gpuE7ELNS1_3repE0EEENS1_30default_config_static_selectorELNS0_4arch9wavefront6targetE0EEEvSY_,@function
_ZN7rocprim17ROCPRIM_400000_NS6detail17trampoline_kernelINS0_13select_configILj256ELj13ELNS0_17block_load_methodE3ELS4_3ELS4_3ELNS0_20block_scan_algorithmE0ELj4294967295EEENS1_25partition_config_selectorILNS1_17partition_subalgoE3EjNS0_10empty_typeEbEEZZNS1_14partition_implILS8_3ELb0ES6_jNS0_17counting_iteratorIjlEEPS9_SE_NS0_5tupleIJPjSE_EEENSF_IJSE_SE_EEES9_SG_JZNS1_25segmented_radix_sort_implINS0_14default_configELb0EPKaPaPKlPlN2at6native12_GLOBAL__N_18offset_tEEE10hipError_tPvRmT1_PNSt15iterator_traitsISY_E10value_typeET2_T3_PNSZ_IS14_E10value_typeET4_jRbjT5_S1A_jjP12ihipStream_tbEUljE_EEESV_SW_SX_S14_S18_S1A_T6_T7_T9_mT8_S1C_bDpT10_ENKUlT_T0_E_clISt17integral_constantIbLb0EES1P_EEDaS1K_S1L_EUlS1K_E_NS1_11comp_targetILNS1_3genE3ELNS1_11target_archE908ELNS1_3gpuE7ELNS1_3repE0EEENS1_30default_config_static_selectorELNS0_4arch9wavefront6targetE0EEEvSY_: ; @_ZN7rocprim17ROCPRIM_400000_NS6detail17trampoline_kernelINS0_13select_configILj256ELj13ELNS0_17block_load_methodE3ELS4_3ELS4_3ELNS0_20block_scan_algorithmE0ELj4294967295EEENS1_25partition_config_selectorILNS1_17partition_subalgoE3EjNS0_10empty_typeEbEEZZNS1_14partition_implILS8_3ELb0ES6_jNS0_17counting_iteratorIjlEEPS9_SE_NS0_5tupleIJPjSE_EEENSF_IJSE_SE_EEES9_SG_JZNS1_25segmented_radix_sort_implINS0_14default_configELb0EPKaPaPKlPlN2at6native12_GLOBAL__N_18offset_tEEE10hipError_tPvRmT1_PNSt15iterator_traitsISY_E10value_typeET2_T3_PNSZ_IS14_E10value_typeET4_jRbjT5_S1A_jjP12ihipStream_tbEUljE_EEESV_SW_SX_S14_S18_S1A_T6_T7_T9_mT8_S1C_bDpT10_ENKUlT_T0_E_clISt17integral_constantIbLb0EES1P_EEDaS1K_S1L_EUlS1K_E_NS1_11comp_targetILNS1_3genE3ELNS1_11target_archE908ELNS1_3gpuE7ELNS1_3repE0EEENS1_30default_config_static_selectorELNS0_4arch9wavefront6targetE0EEEvSY_
; %bb.0:
	.section	.rodata,"a",@progbits
	.p2align	6, 0x0
	.amdhsa_kernel _ZN7rocprim17ROCPRIM_400000_NS6detail17trampoline_kernelINS0_13select_configILj256ELj13ELNS0_17block_load_methodE3ELS4_3ELS4_3ELNS0_20block_scan_algorithmE0ELj4294967295EEENS1_25partition_config_selectorILNS1_17partition_subalgoE3EjNS0_10empty_typeEbEEZZNS1_14partition_implILS8_3ELb0ES6_jNS0_17counting_iteratorIjlEEPS9_SE_NS0_5tupleIJPjSE_EEENSF_IJSE_SE_EEES9_SG_JZNS1_25segmented_radix_sort_implINS0_14default_configELb0EPKaPaPKlPlN2at6native12_GLOBAL__N_18offset_tEEE10hipError_tPvRmT1_PNSt15iterator_traitsISY_E10value_typeET2_T3_PNSZ_IS14_E10value_typeET4_jRbjT5_S1A_jjP12ihipStream_tbEUljE_EEESV_SW_SX_S14_S18_S1A_T6_T7_T9_mT8_S1C_bDpT10_ENKUlT_T0_E_clISt17integral_constantIbLb0EES1P_EEDaS1K_S1L_EUlS1K_E_NS1_11comp_targetILNS1_3genE3ELNS1_11target_archE908ELNS1_3gpuE7ELNS1_3repE0EEENS1_30default_config_static_selectorELNS0_4arch9wavefront6targetE0EEEvSY_
		.amdhsa_group_segment_fixed_size 0
		.amdhsa_private_segment_fixed_size 0
		.amdhsa_kernarg_size 144
		.amdhsa_user_sgpr_count 2
		.amdhsa_user_sgpr_dispatch_ptr 0
		.amdhsa_user_sgpr_queue_ptr 0
		.amdhsa_user_sgpr_kernarg_segment_ptr 1
		.amdhsa_user_sgpr_dispatch_id 0
		.amdhsa_user_sgpr_private_segment_size 0
		.amdhsa_wavefront_size32 1
		.amdhsa_uses_dynamic_stack 0
		.amdhsa_enable_private_segment 0
		.amdhsa_system_sgpr_workgroup_id_x 1
		.amdhsa_system_sgpr_workgroup_id_y 0
		.amdhsa_system_sgpr_workgroup_id_z 0
		.amdhsa_system_sgpr_workgroup_info 0
		.amdhsa_system_vgpr_workitem_id 0
		.amdhsa_next_free_vgpr 1
		.amdhsa_next_free_sgpr 1
		.amdhsa_reserve_vcc 0
		.amdhsa_float_round_mode_32 0
		.amdhsa_float_round_mode_16_64 0
		.amdhsa_float_denorm_mode_32 3
		.amdhsa_float_denorm_mode_16_64 3
		.amdhsa_fp16_overflow 0
		.amdhsa_workgroup_processor_mode 1
		.amdhsa_memory_ordered 1
		.amdhsa_forward_progress 1
		.amdhsa_inst_pref_size 0
		.amdhsa_round_robin_scheduling 0
		.amdhsa_exception_fp_ieee_invalid_op 0
		.amdhsa_exception_fp_denorm_src 0
		.amdhsa_exception_fp_ieee_div_zero 0
		.amdhsa_exception_fp_ieee_overflow 0
		.amdhsa_exception_fp_ieee_underflow 0
		.amdhsa_exception_fp_ieee_inexact 0
		.amdhsa_exception_int_div_zero 0
	.end_amdhsa_kernel
	.section	.text._ZN7rocprim17ROCPRIM_400000_NS6detail17trampoline_kernelINS0_13select_configILj256ELj13ELNS0_17block_load_methodE3ELS4_3ELS4_3ELNS0_20block_scan_algorithmE0ELj4294967295EEENS1_25partition_config_selectorILNS1_17partition_subalgoE3EjNS0_10empty_typeEbEEZZNS1_14partition_implILS8_3ELb0ES6_jNS0_17counting_iteratorIjlEEPS9_SE_NS0_5tupleIJPjSE_EEENSF_IJSE_SE_EEES9_SG_JZNS1_25segmented_radix_sort_implINS0_14default_configELb0EPKaPaPKlPlN2at6native12_GLOBAL__N_18offset_tEEE10hipError_tPvRmT1_PNSt15iterator_traitsISY_E10value_typeET2_T3_PNSZ_IS14_E10value_typeET4_jRbjT5_S1A_jjP12ihipStream_tbEUljE_EEESV_SW_SX_S14_S18_S1A_T6_T7_T9_mT8_S1C_bDpT10_ENKUlT_T0_E_clISt17integral_constantIbLb0EES1P_EEDaS1K_S1L_EUlS1K_E_NS1_11comp_targetILNS1_3genE3ELNS1_11target_archE908ELNS1_3gpuE7ELNS1_3repE0EEENS1_30default_config_static_selectorELNS0_4arch9wavefront6targetE0EEEvSY_,"axG",@progbits,_ZN7rocprim17ROCPRIM_400000_NS6detail17trampoline_kernelINS0_13select_configILj256ELj13ELNS0_17block_load_methodE3ELS4_3ELS4_3ELNS0_20block_scan_algorithmE0ELj4294967295EEENS1_25partition_config_selectorILNS1_17partition_subalgoE3EjNS0_10empty_typeEbEEZZNS1_14partition_implILS8_3ELb0ES6_jNS0_17counting_iteratorIjlEEPS9_SE_NS0_5tupleIJPjSE_EEENSF_IJSE_SE_EEES9_SG_JZNS1_25segmented_radix_sort_implINS0_14default_configELb0EPKaPaPKlPlN2at6native12_GLOBAL__N_18offset_tEEE10hipError_tPvRmT1_PNSt15iterator_traitsISY_E10value_typeET2_T3_PNSZ_IS14_E10value_typeET4_jRbjT5_S1A_jjP12ihipStream_tbEUljE_EEESV_SW_SX_S14_S18_S1A_T6_T7_T9_mT8_S1C_bDpT10_ENKUlT_T0_E_clISt17integral_constantIbLb0EES1P_EEDaS1K_S1L_EUlS1K_E_NS1_11comp_targetILNS1_3genE3ELNS1_11target_archE908ELNS1_3gpuE7ELNS1_3repE0EEENS1_30default_config_static_selectorELNS0_4arch9wavefront6targetE0EEEvSY_,comdat
.Lfunc_end364:
	.size	_ZN7rocprim17ROCPRIM_400000_NS6detail17trampoline_kernelINS0_13select_configILj256ELj13ELNS0_17block_load_methodE3ELS4_3ELS4_3ELNS0_20block_scan_algorithmE0ELj4294967295EEENS1_25partition_config_selectorILNS1_17partition_subalgoE3EjNS0_10empty_typeEbEEZZNS1_14partition_implILS8_3ELb0ES6_jNS0_17counting_iteratorIjlEEPS9_SE_NS0_5tupleIJPjSE_EEENSF_IJSE_SE_EEES9_SG_JZNS1_25segmented_radix_sort_implINS0_14default_configELb0EPKaPaPKlPlN2at6native12_GLOBAL__N_18offset_tEEE10hipError_tPvRmT1_PNSt15iterator_traitsISY_E10value_typeET2_T3_PNSZ_IS14_E10value_typeET4_jRbjT5_S1A_jjP12ihipStream_tbEUljE_EEESV_SW_SX_S14_S18_S1A_T6_T7_T9_mT8_S1C_bDpT10_ENKUlT_T0_E_clISt17integral_constantIbLb0EES1P_EEDaS1K_S1L_EUlS1K_E_NS1_11comp_targetILNS1_3genE3ELNS1_11target_archE908ELNS1_3gpuE7ELNS1_3repE0EEENS1_30default_config_static_selectorELNS0_4arch9wavefront6targetE0EEEvSY_, .Lfunc_end364-_ZN7rocprim17ROCPRIM_400000_NS6detail17trampoline_kernelINS0_13select_configILj256ELj13ELNS0_17block_load_methodE3ELS4_3ELS4_3ELNS0_20block_scan_algorithmE0ELj4294967295EEENS1_25partition_config_selectorILNS1_17partition_subalgoE3EjNS0_10empty_typeEbEEZZNS1_14partition_implILS8_3ELb0ES6_jNS0_17counting_iteratorIjlEEPS9_SE_NS0_5tupleIJPjSE_EEENSF_IJSE_SE_EEES9_SG_JZNS1_25segmented_radix_sort_implINS0_14default_configELb0EPKaPaPKlPlN2at6native12_GLOBAL__N_18offset_tEEE10hipError_tPvRmT1_PNSt15iterator_traitsISY_E10value_typeET2_T3_PNSZ_IS14_E10value_typeET4_jRbjT5_S1A_jjP12ihipStream_tbEUljE_EEESV_SW_SX_S14_S18_S1A_T6_T7_T9_mT8_S1C_bDpT10_ENKUlT_T0_E_clISt17integral_constantIbLb0EES1P_EEDaS1K_S1L_EUlS1K_E_NS1_11comp_targetILNS1_3genE3ELNS1_11target_archE908ELNS1_3gpuE7ELNS1_3repE0EEENS1_30default_config_static_selectorELNS0_4arch9wavefront6targetE0EEEvSY_
                                        ; -- End function
	.set _ZN7rocprim17ROCPRIM_400000_NS6detail17trampoline_kernelINS0_13select_configILj256ELj13ELNS0_17block_load_methodE3ELS4_3ELS4_3ELNS0_20block_scan_algorithmE0ELj4294967295EEENS1_25partition_config_selectorILNS1_17partition_subalgoE3EjNS0_10empty_typeEbEEZZNS1_14partition_implILS8_3ELb0ES6_jNS0_17counting_iteratorIjlEEPS9_SE_NS0_5tupleIJPjSE_EEENSF_IJSE_SE_EEES9_SG_JZNS1_25segmented_radix_sort_implINS0_14default_configELb0EPKaPaPKlPlN2at6native12_GLOBAL__N_18offset_tEEE10hipError_tPvRmT1_PNSt15iterator_traitsISY_E10value_typeET2_T3_PNSZ_IS14_E10value_typeET4_jRbjT5_S1A_jjP12ihipStream_tbEUljE_EEESV_SW_SX_S14_S18_S1A_T6_T7_T9_mT8_S1C_bDpT10_ENKUlT_T0_E_clISt17integral_constantIbLb0EES1P_EEDaS1K_S1L_EUlS1K_E_NS1_11comp_targetILNS1_3genE3ELNS1_11target_archE908ELNS1_3gpuE7ELNS1_3repE0EEENS1_30default_config_static_selectorELNS0_4arch9wavefront6targetE0EEEvSY_.num_vgpr, 0
	.set _ZN7rocprim17ROCPRIM_400000_NS6detail17trampoline_kernelINS0_13select_configILj256ELj13ELNS0_17block_load_methodE3ELS4_3ELS4_3ELNS0_20block_scan_algorithmE0ELj4294967295EEENS1_25partition_config_selectorILNS1_17partition_subalgoE3EjNS0_10empty_typeEbEEZZNS1_14partition_implILS8_3ELb0ES6_jNS0_17counting_iteratorIjlEEPS9_SE_NS0_5tupleIJPjSE_EEENSF_IJSE_SE_EEES9_SG_JZNS1_25segmented_radix_sort_implINS0_14default_configELb0EPKaPaPKlPlN2at6native12_GLOBAL__N_18offset_tEEE10hipError_tPvRmT1_PNSt15iterator_traitsISY_E10value_typeET2_T3_PNSZ_IS14_E10value_typeET4_jRbjT5_S1A_jjP12ihipStream_tbEUljE_EEESV_SW_SX_S14_S18_S1A_T6_T7_T9_mT8_S1C_bDpT10_ENKUlT_T0_E_clISt17integral_constantIbLb0EES1P_EEDaS1K_S1L_EUlS1K_E_NS1_11comp_targetILNS1_3genE3ELNS1_11target_archE908ELNS1_3gpuE7ELNS1_3repE0EEENS1_30default_config_static_selectorELNS0_4arch9wavefront6targetE0EEEvSY_.num_agpr, 0
	.set _ZN7rocprim17ROCPRIM_400000_NS6detail17trampoline_kernelINS0_13select_configILj256ELj13ELNS0_17block_load_methodE3ELS4_3ELS4_3ELNS0_20block_scan_algorithmE0ELj4294967295EEENS1_25partition_config_selectorILNS1_17partition_subalgoE3EjNS0_10empty_typeEbEEZZNS1_14partition_implILS8_3ELb0ES6_jNS0_17counting_iteratorIjlEEPS9_SE_NS0_5tupleIJPjSE_EEENSF_IJSE_SE_EEES9_SG_JZNS1_25segmented_radix_sort_implINS0_14default_configELb0EPKaPaPKlPlN2at6native12_GLOBAL__N_18offset_tEEE10hipError_tPvRmT1_PNSt15iterator_traitsISY_E10value_typeET2_T3_PNSZ_IS14_E10value_typeET4_jRbjT5_S1A_jjP12ihipStream_tbEUljE_EEESV_SW_SX_S14_S18_S1A_T6_T7_T9_mT8_S1C_bDpT10_ENKUlT_T0_E_clISt17integral_constantIbLb0EES1P_EEDaS1K_S1L_EUlS1K_E_NS1_11comp_targetILNS1_3genE3ELNS1_11target_archE908ELNS1_3gpuE7ELNS1_3repE0EEENS1_30default_config_static_selectorELNS0_4arch9wavefront6targetE0EEEvSY_.numbered_sgpr, 0
	.set _ZN7rocprim17ROCPRIM_400000_NS6detail17trampoline_kernelINS0_13select_configILj256ELj13ELNS0_17block_load_methodE3ELS4_3ELS4_3ELNS0_20block_scan_algorithmE0ELj4294967295EEENS1_25partition_config_selectorILNS1_17partition_subalgoE3EjNS0_10empty_typeEbEEZZNS1_14partition_implILS8_3ELb0ES6_jNS0_17counting_iteratorIjlEEPS9_SE_NS0_5tupleIJPjSE_EEENSF_IJSE_SE_EEES9_SG_JZNS1_25segmented_radix_sort_implINS0_14default_configELb0EPKaPaPKlPlN2at6native12_GLOBAL__N_18offset_tEEE10hipError_tPvRmT1_PNSt15iterator_traitsISY_E10value_typeET2_T3_PNSZ_IS14_E10value_typeET4_jRbjT5_S1A_jjP12ihipStream_tbEUljE_EEESV_SW_SX_S14_S18_S1A_T6_T7_T9_mT8_S1C_bDpT10_ENKUlT_T0_E_clISt17integral_constantIbLb0EES1P_EEDaS1K_S1L_EUlS1K_E_NS1_11comp_targetILNS1_3genE3ELNS1_11target_archE908ELNS1_3gpuE7ELNS1_3repE0EEENS1_30default_config_static_selectorELNS0_4arch9wavefront6targetE0EEEvSY_.num_named_barrier, 0
	.set _ZN7rocprim17ROCPRIM_400000_NS6detail17trampoline_kernelINS0_13select_configILj256ELj13ELNS0_17block_load_methodE3ELS4_3ELS4_3ELNS0_20block_scan_algorithmE0ELj4294967295EEENS1_25partition_config_selectorILNS1_17partition_subalgoE3EjNS0_10empty_typeEbEEZZNS1_14partition_implILS8_3ELb0ES6_jNS0_17counting_iteratorIjlEEPS9_SE_NS0_5tupleIJPjSE_EEENSF_IJSE_SE_EEES9_SG_JZNS1_25segmented_radix_sort_implINS0_14default_configELb0EPKaPaPKlPlN2at6native12_GLOBAL__N_18offset_tEEE10hipError_tPvRmT1_PNSt15iterator_traitsISY_E10value_typeET2_T3_PNSZ_IS14_E10value_typeET4_jRbjT5_S1A_jjP12ihipStream_tbEUljE_EEESV_SW_SX_S14_S18_S1A_T6_T7_T9_mT8_S1C_bDpT10_ENKUlT_T0_E_clISt17integral_constantIbLb0EES1P_EEDaS1K_S1L_EUlS1K_E_NS1_11comp_targetILNS1_3genE3ELNS1_11target_archE908ELNS1_3gpuE7ELNS1_3repE0EEENS1_30default_config_static_selectorELNS0_4arch9wavefront6targetE0EEEvSY_.private_seg_size, 0
	.set _ZN7rocprim17ROCPRIM_400000_NS6detail17trampoline_kernelINS0_13select_configILj256ELj13ELNS0_17block_load_methodE3ELS4_3ELS4_3ELNS0_20block_scan_algorithmE0ELj4294967295EEENS1_25partition_config_selectorILNS1_17partition_subalgoE3EjNS0_10empty_typeEbEEZZNS1_14partition_implILS8_3ELb0ES6_jNS0_17counting_iteratorIjlEEPS9_SE_NS0_5tupleIJPjSE_EEENSF_IJSE_SE_EEES9_SG_JZNS1_25segmented_radix_sort_implINS0_14default_configELb0EPKaPaPKlPlN2at6native12_GLOBAL__N_18offset_tEEE10hipError_tPvRmT1_PNSt15iterator_traitsISY_E10value_typeET2_T3_PNSZ_IS14_E10value_typeET4_jRbjT5_S1A_jjP12ihipStream_tbEUljE_EEESV_SW_SX_S14_S18_S1A_T6_T7_T9_mT8_S1C_bDpT10_ENKUlT_T0_E_clISt17integral_constantIbLb0EES1P_EEDaS1K_S1L_EUlS1K_E_NS1_11comp_targetILNS1_3genE3ELNS1_11target_archE908ELNS1_3gpuE7ELNS1_3repE0EEENS1_30default_config_static_selectorELNS0_4arch9wavefront6targetE0EEEvSY_.uses_vcc, 0
	.set _ZN7rocprim17ROCPRIM_400000_NS6detail17trampoline_kernelINS0_13select_configILj256ELj13ELNS0_17block_load_methodE3ELS4_3ELS4_3ELNS0_20block_scan_algorithmE0ELj4294967295EEENS1_25partition_config_selectorILNS1_17partition_subalgoE3EjNS0_10empty_typeEbEEZZNS1_14partition_implILS8_3ELb0ES6_jNS0_17counting_iteratorIjlEEPS9_SE_NS0_5tupleIJPjSE_EEENSF_IJSE_SE_EEES9_SG_JZNS1_25segmented_radix_sort_implINS0_14default_configELb0EPKaPaPKlPlN2at6native12_GLOBAL__N_18offset_tEEE10hipError_tPvRmT1_PNSt15iterator_traitsISY_E10value_typeET2_T3_PNSZ_IS14_E10value_typeET4_jRbjT5_S1A_jjP12ihipStream_tbEUljE_EEESV_SW_SX_S14_S18_S1A_T6_T7_T9_mT8_S1C_bDpT10_ENKUlT_T0_E_clISt17integral_constantIbLb0EES1P_EEDaS1K_S1L_EUlS1K_E_NS1_11comp_targetILNS1_3genE3ELNS1_11target_archE908ELNS1_3gpuE7ELNS1_3repE0EEENS1_30default_config_static_selectorELNS0_4arch9wavefront6targetE0EEEvSY_.uses_flat_scratch, 0
	.set _ZN7rocprim17ROCPRIM_400000_NS6detail17trampoline_kernelINS0_13select_configILj256ELj13ELNS0_17block_load_methodE3ELS4_3ELS4_3ELNS0_20block_scan_algorithmE0ELj4294967295EEENS1_25partition_config_selectorILNS1_17partition_subalgoE3EjNS0_10empty_typeEbEEZZNS1_14partition_implILS8_3ELb0ES6_jNS0_17counting_iteratorIjlEEPS9_SE_NS0_5tupleIJPjSE_EEENSF_IJSE_SE_EEES9_SG_JZNS1_25segmented_radix_sort_implINS0_14default_configELb0EPKaPaPKlPlN2at6native12_GLOBAL__N_18offset_tEEE10hipError_tPvRmT1_PNSt15iterator_traitsISY_E10value_typeET2_T3_PNSZ_IS14_E10value_typeET4_jRbjT5_S1A_jjP12ihipStream_tbEUljE_EEESV_SW_SX_S14_S18_S1A_T6_T7_T9_mT8_S1C_bDpT10_ENKUlT_T0_E_clISt17integral_constantIbLb0EES1P_EEDaS1K_S1L_EUlS1K_E_NS1_11comp_targetILNS1_3genE3ELNS1_11target_archE908ELNS1_3gpuE7ELNS1_3repE0EEENS1_30default_config_static_selectorELNS0_4arch9wavefront6targetE0EEEvSY_.has_dyn_sized_stack, 0
	.set _ZN7rocprim17ROCPRIM_400000_NS6detail17trampoline_kernelINS0_13select_configILj256ELj13ELNS0_17block_load_methodE3ELS4_3ELS4_3ELNS0_20block_scan_algorithmE0ELj4294967295EEENS1_25partition_config_selectorILNS1_17partition_subalgoE3EjNS0_10empty_typeEbEEZZNS1_14partition_implILS8_3ELb0ES6_jNS0_17counting_iteratorIjlEEPS9_SE_NS0_5tupleIJPjSE_EEENSF_IJSE_SE_EEES9_SG_JZNS1_25segmented_radix_sort_implINS0_14default_configELb0EPKaPaPKlPlN2at6native12_GLOBAL__N_18offset_tEEE10hipError_tPvRmT1_PNSt15iterator_traitsISY_E10value_typeET2_T3_PNSZ_IS14_E10value_typeET4_jRbjT5_S1A_jjP12ihipStream_tbEUljE_EEESV_SW_SX_S14_S18_S1A_T6_T7_T9_mT8_S1C_bDpT10_ENKUlT_T0_E_clISt17integral_constantIbLb0EES1P_EEDaS1K_S1L_EUlS1K_E_NS1_11comp_targetILNS1_3genE3ELNS1_11target_archE908ELNS1_3gpuE7ELNS1_3repE0EEENS1_30default_config_static_selectorELNS0_4arch9wavefront6targetE0EEEvSY_.has_recursion, 0
	.set _ZN7rocprim17ROCPRIM_400000_NS6detail17trampoline_kernelINS0_13select_configILj256ELj13ELNS0_17block_load_methodE3ELS4_3ELS4_3ELNS0_20block_scan_algorithmE0ELj4294967295EEENS1_25partition_config_selectorILNS1_17partition_subalgoE3EjNS0_10empty_typeEbEEZZNS1_14partition_implILS8_3ELb0ES6_jNS0_17counting_iteratorIjlEEPS9_SE_NS0_5tupleIJPjSE_EEENSF_IJSE_SE_EEES9_SG_JZNS1_25segmented_radix_sort_implINS0_14default_configELb0EPKaPaPKlPlN2at6native12_GLOBAL__N_18offset_tEEE10hipError_tPvRmT1_PNSt15iterator_traitsISY_E10value_typeET2_T3_PNSZ_IS14_E10value_typeET4_jRbjT5_S1A_jjP12ihipStream_tbEUljE_EEESV_SW_SX_S14_S18_S1A_T6_T7_T9_mT8_S1C_bDpT10_ENKUlT_T0_E_clISt17integral_constantIbLb0EES1P_EEDaS1K_S1L_EUlS1K_E_NS1_11comp_targetILNS1_3genE3ELNS1_11target_archE908ELNS1_3gpuE7ELNS1_3repE0EEENS1_30default_config_static_selectorELNS0_4arch9wavefront6targetE0EEEvSY_.has_indirect_call, 0
	.section	.AMDGPU.csdata,"",@progbits
; Kernel info:
; codeLenInByte = 0
; TotalNumSgprs: 0
; NumVgprs: 0
; ScratchSize: 0
; MemoryBound: 0
; FloatMode: 240
; IeeeMode: 1
; LDSByteSize: 0 bytes/workgroup (compile time only)
; SGPRBlocks: 0
; VGPRBlocks: 0
; NumSGPRsForWavesPerEU: 1
; NumVGPRsForWavesPerEU: 1
; Occupancy: 16
; WaveLimiterHint : 0
; COMPUTE_PGM_RSRC2:SCRATCH_EN: 0
; COMPUTE_PGM_RSRC2:USER_SGPR: 2
; COMPUTE_PGM_RSRC2:TRAP_HANDLER: 0
; COMPUTE_PGM_RSRC2:TGID_X_EN: 1
; COMPUTE_PGM_RSRC2:TGID_Y_EN: 0
; COMPUTE_PGM_RSRC2:TGID_Z_EN: 0
; COMPUTE_PGM_RSRC2:TIDIG_COMP_CNT: 0
	.section	.text._ZN7rocprim17ROCPRIM_400000_NS6detail17trampoline_kernelINS0_13select_configILj256ELj13ELNS0_17block_load_methodE3ELS4_3ELS4_3ELNS0_20block_scan_algorithmE0ELj4294967295EEENS1_25partition_config_selectorILNS1_17partition_subalgoE3EjNS0_10empty_typeEbEEZZNS1_14partition_implILS8_3ELb0ES6_jNS0_17counting_iteratorIjlEEPS9_SE_NS0_5tupleIJPjSE_EEENSF_IJSE_SE_EEES9_SG_JZNS1_25segmented_radix_sort_implINS0_14default_configELb0EPKaPaPKlPlN2at6native12_GLOBAL__N_18offset_tEEE10hipError_tPvRmT1_PNSt15iterator_traitsISY_E10value_typeET2_T3_PNSZ_IS14_E10value_typeET4_jRbjT5_S1A_jjP12ihipStream_tbEUljE_EEESV_SW_SX_S14_S18_S1A_T6_T7_T9_mT8_S1C_bDpT10_ENKUlT_T0_E_clISt17integral_constantIbLb0EES1P_EEDaS1K_S1L_EUlS1K_E_NS1_11comp_targetILNS1_3genE2ELNS1_11target_archE906ELNS1_3gpuE6ELNS1_3repE0EEENS1_30default_config_static_selectorELNS0_4arch9wavefront6targetE0EEEvSY_,"axG",@progbits,_ZN7rocprim17ROCPRIM_400000_NS6detail17trampoline_kernelINS0_13select_configILj256ELj13ELNS0_17block_load_methodE3ELS4_3ELS4_3ELNS0_20block_scan_algorithmE0ELj4294967295EEENS1_25partition_config_selectorILNS1_17partition_subalgoE3EjNS0_10empty_typeEbEEZZNS1_14partition_implILS8_3ELb0ES6_jNS0_17counting_iteratorIjlEEPS9_SE_NS0_5tupleIJPjSE_EEENSF_IJSE_SE_EEES9_SG_JZNS1_25segmented_radix_sort_implINS0_14default_configELb0EPKaPaPKlPlN2at6native12_GLOBAL__N_18offset_tEEE10hipError_tPvRmT1_PNSt15iterator_traitsISY_E10value_typeET2_T3_PNSZ_IS14_E10value_typeET4_jRbjT5_S1A_jjP12ihipStream_tbEUljE_EEESV_SW_SX_S14_S18_S1A_T6_T7_T9_mT8_S1C_bDpT10_ENKUlT_T0_E_clISt17integral_constantIbLb0EES1P_EEDaS1K_S1L_EUlS1K_E_NS1_11comp_targetILNS1_3genE2ELNS1_11target_archE906ELNS1_3gpuE6ELNS1_3repE0EEENS1_30default_config_static_selectorELNS0_4arch9wavefront6targetE0EEEvSY_,comdat
	.globl	_ZN7rocprim17ROCPRIM_400000_NS6detail17trampoline_kernelINS0_13select_configILj256ELj13ELNS0_17block_load_methodE3ELS4_3ELS4_3ELNS0_20block_scan_algorithmE0ELj4294967295EEENS1_25partition_config_selectorILNS1_17partition_subalgoE3EjNS0_10empty_typeEbEEZZNS1_14partition_implILS8_3ELb0ES6_jNS0_17counting_iteratorIjlEEPS9_SE_NS0_5tupleIJPjSE_EEENSF_IJSE_SE_EEES9_SG_JZNS1_25segmented_radix_sort_implINS0_14default_configELb0EPKaPaPKlPlN2at6native12_GLOBAL__N_18offset_tEEE10hipError_tPvRmT1_PNSt15iterator_traitsISY_E10value_typeET2_T3_PNSZ_IS14_E10value_typeET4_jRbjT5_S1A_jjP12ihipStream_tbEUljE_EEESV_SW_SX_S14_S18_S1A_T6_T7_T9_mT8_S1C_bDpT10_ENKUlT_T0_E_clISt17integral_constantIbLb0EES1P_EEDaS1K_S1L_EUlS1K_E_NS1_11comp_targetILNS1_3genE2ELNS1_11target_archE906ELNS1_3gpuE6ELNS1_3repE0EEENS1_30default_config_static_selectorELNS0_4arch9wavefront6targetE0EEEvSY_ ; -- Begin function _ZN7rocprim17ROCPRIM_400000_NS6detail17trampoline_kernelINS0_13select_configILj256ELj13ELNS0_17block_load_methodE3ELS4_3ELS4_3ELNS0_20block_scan_algorithmE0ELj4294967295EEENS1_25partition_config_selectorILNS1_17partition_subalgoE3EjNS0_10empty_typeEbEEZZNS1_14partition_implILS8_3ELb0ES6_jNS0_17counting_iteratorIjlEEPS9_SE_NS0_5tupleIJPjSE_EEENSF_IJSE_SE_EEES9_SG_JZNS1_25segmented_radix_sort_implINS0_14default_configELb0EPKaPaPKlPlN2at6native12_GLOBAL__N_18offset_tEEE10hipError_tPvRmT1_PNSt15iterator_traitsISY_E10value_typeET2_T3_PNSZ_IS14_E10value_typeET4_jRbjT5_S1A_jjP12ihipStream_tbEUljE_EEESV_SW_SX_S14_S18_S1A_T6_T7_T9_mT8_S1C_bDpT10_ENKUlT_T0_E_clISt17integral_constantIbLb0EES1P_EEDaS1K_S1L_EUlS1K_E_NS1_11comp_targetILNS1_3genE2ELNS1_11target_archE906ELNS1_3gpuE6ELNS1_3repE0EEENS1_30default_config_static_selectorELNS0_4arch9wavefront6targetE0EEEvSY_
	.p2align	8
	.type	_ZN7rocprim17ROCPRIM_400000_NS6detail17trampoline_kernelINS0_13select_configILj256ELj13ELNS0_17block_load_methodE3ELS4_3ELS4_3ELNS0_20block_scan_algorithmE0ELj4294967295EEENS1_25partition_config_selectorILNS1_17partition_subalgoE3EjNS0_10empty_typeEbEEZZNS1_14partition_implILS8_3ELb0ES6_jNS0_17counting_iteratorIjlEEPS9_SE_NS0_5tupleIJPjSE_EEENSF_IJSE_SE_EEES9_SG_JZNS1_25segmented_radix_sort_implINS0_14default_configELb0EPKaPaPKlPlN2at6native12_GLOBAL__N_18offset_tEEE10hipError_tPvRmT1_PNSt15iterator_traitsISY_E10value_typeET2_T3_PNSZ_IS14_E10value_typeET4_jRbjT5_S1A_jjP12ihipStream_tbEUljE_EEESV_SW_SX_S14_S18_S1A_T6_T7_T9_mT8_S1C_bDpT10_ENKUlT_T0_E_clISt17integral_constantIbLb0EES1P_EEDaS1K_S1L_EUlS1K_E_NS1_11comp_targetILNS1_3genE2ELNS1_11target_archE906ELNS1_3gpuE6ELNS1_3repE0EEENS1_30default_config_static_selectorELNS0_4arch9wavefront6targetE0EEEvSY_,@function
_ZN7rocprim17ROCPRIM_400000_NS6detail17trampoline_kernelINS0_13select_configILj256ELj13ELNS0_17block_load_methodE3ELS4_3ELS4_3ELNS0_20block_scan_algorithmE0ELj4294967295EEENS1_25partition_config_selectorILNS1_17partition_subalgoE3EjNS0_10empty_typeEbEEZZNS1_14partition_implILS8_3ELb0ES6_jNS0_17counting_iteratorIjlEEPS9_SE_NS0_5tupleIJPjSE_EEENSF_IJSE_SE_EEES9_SG_JZNS1_25segmented_radix_sort_implINS0_14default_configELb0EPKaPaPKlPlN2at6native12_GLOBAL__N_18offset_tEEE10hipError_tPvRmT1_PNSt15iterator_traitsISY_E10value_typeET2_T3_PNSZ_IS14_E10value_typeET4_jRbjT5_S1A_jjP12ihipStream_tbEUljE_EEESV_SW_SX_S14_S18_S1A_T6_T7_T9_mT8_S1C_bDpT10_ENKUlT_T0_E_clISt17integral_constantIbLb0EES1P_EEDaS1K_S1L_EUlS1K_E_NS1_11comp_targetILNS1_3genE2ELNS1_11target_archE906ELNS1_3gpuE6ELNS1_3repE0EEENS1_30default_config_static_selectorELNS0_4arch9wavefront6targetE0EEEvSY_: ; @_ZN7rocprim17ROCPRIM_400000_NS6detail17trampoline_kernelINS0_13select_configILj256ELj13ELNS0_17block_load_methodE3ELS4_3ELS4_3ELNS0_20block_scan_algorithmE0ELj4294967295EEENS1_25partition_config_selectorILNS1_17partition_subalgoE3EjNS0_10empty_typeEbEEZZNS1_14partition_implILS8_3ELb0ES6_jNS0_17counting_iteratorIjlEEPS9_SE_NS0_5tupleIJPjSE_EEENSF_IJSE_SE_EEES9_SG_JZNS1_25segmented_radix_sort_implINS0_14default_configELb0EPKaPaPKlPlN2at6native12_GLOBAL__N_18offset_tEEE10hipError_tPvRmT1_PNSt15iterator_traitsISY_E10value_typeET2_T3_PNSZ_IS14_E10value_typeET4_jRbjT5_S1A_jjP12ihipStream_tbEUljE_EEESV_SW_SX_S14_S18_S1A_T6_T7_T9_mT8_S1C_bDpT10_ENKUlT_T0_E_clISt17integral_constantIbLb0EES1P_EEDaS1K_S1L_EUlS1K_E_NS1_11comp_targetILNS1_3genE2ELNS1_11target_archE906ELNS1_3gpuE6ELNS1_3repE0EEENS1_30default_config_static_selectorELNS0_4arch9wavefront6targetE0EEEvSY_
; %bb.0:
	.section	.rodata,"a",@progbits
	.p2align	6, 0x0
	.amdhsa_kernel _ZN7rocprim17ROCPRIM_400000_NS6detail17trampoline_kernelINS0_13select_configILj256ELj13ELNS0_17block_load_methodE3ELS4_3ELS4_3ELNS0_20block_scan_algorithmE0ELj4294967295EEENS1_25partition_config_selectorILNS1_17partition_subalgoE3EjNS0_10empty_typeEbEEZZNS1_14partition_implILS8_3ELb0ES6_jNS0_17counting_iteratorIjlEEPS9_SE_NS0_5tupleIJPjSE_EEENSF_IJSE_SE_EEES9_SG_JZNS1_25segmented_radix_sort_implINS0_14default_configELb0EPKaPaPKlPlN2at6native12_GLOBAL__N_18offset_tEEE10hipError_tPvRmT1_PNSt15iterator_traitsISY_E10value_typeET2_T3_PNSZ_IS14_E10value_typeET4_jRbjT5_S1A_jjP12ihipStream_tbEUljE_EEESV_SW_SX_S14_S18_S1A_T6_T7_T9_mT8_S1C_bDpT10_ENKUlT_T0_E_clISt17integral_constantIbLb0EES1P_EEDaS1K_S1L_EUlS1K_E_NS1_11comp_targetILNS1_3genE2ELNS1_11target_archE906ELNS1_3gpuE6ELNS1_3repE0EEENS1_30default_config_static_selectorELNS0_4arch9wavefront6targetE0EEEvSY_
		.amdhsa_group_segment_fixed_size 0
		.amdhsa_private_segment_fixed_size 0
		.amdhsa_kernarg_size 144
		.amdhsa_user_sgpr_count 2
		.amdhsa_user_sgpr_dispatch_ptr 0
		.amdhsa_user_sgpr_queue_ptr 0
		.amdhsa_user_sgpr_kernarg_segment_ptr 1
		.amdhsa_user_sgpr_dispatch_id 0
		.amdhsa_user_sgpr_private_segment_size 0
		.amdhsa_wavefront_size32 1
		.amdhsa_uses_dynamic_stack 0
		.amdhsa_enable_private_segment 0
		.amdhsa_system_sgpr_workgroup_id_x 1
		.amdhsa_system_sgpr_workgroup_id_y 0
		.amdhsa_system_sgpr_workgroup_id_z 0
		.amdhsa_system_sgpr_workgroup_info 0
		.amdhsa_system_vgpr_workitem_id 0
		.amdhsa_next_free_vgpr 1
		.amdhsa_next_free_sgpr 1
		.amdhsa_reserve_vcc 0
		.amdhsa_float_round_mode_32 0
		.amdhsa_float_round_mode_16_64 0
		.amdhsa_float_denorm_mode_32 3
		.amdhsa_float_denorm_mode_16_64 3
		.amdhsa_fp16_overflow 0
		.amdhsa_workgroup_processor_mode 1
		.amdhsa_memory_ordered 1
		.amdhsa_forward_progress 1
		.amdhsa_inst_pref_size 0
		.amdhsa_round_robin_scheduling 0
		.amdhsa_exception_fp_ieee_invalid_op 0
		.amdhsa_exception_fp_denorm_src 0
		.amdhsa_exception_fp_ieee_div_zero 0
		.amdhsa_exception_fp_ieee_overflow 0
		.amdhsa_exception_fp_ieee_underflow 0
		.amdhsa_exception_fp_ieee_inexact 0
		.amdhsa_exception_int_div_zero 0
	.end_amdhsa_kernel
	.section	.text._ZN7rocprim17ROCPRIM_400000_NS6detail17trampoline_kernelINS0_13select_configILj256ELj13ELNS0_17block_load_methodE3ELS4_3ELS4_3ELNS0_20block_scan_algorithmE0ELj4294967295EEENS1_25partition_config_selectorILNS1_17partition_subalgoE3EjNS0_10empty_typeEbEEZZNS1_14partition_implILS8_3ELb0ES6_jNS0_17counting_iteratorIjlEEPS9_SE_NS0_5tupleIJPjSE_EEENSF_IJSE_SE_EEES9_SG_JZNS1_25segmented_radix_sort_implINS0_14default_configELb0EPKaPaPKlPlN2at6native12_GLOBAL__N_18offset_tEEE10hipError_tPvRmT1_PNSt15iterator_traitsISY_E10value_typeET2_T3_PNSZ_IS14_E10value_typeET4_jRbjT5_S1A_jjP12ihipStream_tbEUljE_EEESV_SW_SX_S14_S18_S1A_T6_T7_T9_mT8_S1C_bDpT10_ENKUlT_T0_E_clISt17integral_constantIbLb0EES1P_EEDaS1K_S1L_EUlS1K_E_NS1_11comp_targetILNS1_3genE2ELNS1_11target_archE906ELNS1_3gpuE6ELNS1_3repE0EEENS1_30default_config_static_selectorELNS0_4arch9wavefront6targetE0EEEvSY_,"axG",@progbits,_ZN7rocprim17ROCPRIM_400000_NS6detail17trampoline_kernelINS0_13select_configILj256ELj13ELNS0_17block_load_methodE3ELS4_3ELS4_3ELNS0_20block_scan_algorithmE0ELj4294967295EEENS1_25partition_config_selectorILNS1_17partition_subalgoE3EjNS0_10empty_typeEbEEZZNS1_14partition_implILS8_3ELb0ES6_jNS0_17counting_iteratorIjlEEPS9_SE_NS0_5tupleIJPjSE_EEENSF_IJSE_SE_EEES9_SG_JZNS1_25segmented_radix_sort_implINS0_14default_configELb0EPKaPaPKlPlN2at6native12_GLOBAL__N_18offset_tEEE10hipError_tPvRmT1_PNSt15iterator_traitsISY_E10value_typeET2_T3_PNSZ_IS14_E10value_typeET4_jRbjT5_S1A_jjP12ihipStream_tbEUljE_EEESV_SW_SX_S14_S18_S1A_T6_T7_T9_mT8_S1C_bDpT10_ENKUlT_T0_E_clISt17integral_constantIbLb0EES1P_EEDaS1K_S1L_EUlS1K_E_NS1_11comp_targetILNS1_3genE2ELNS1_11target_archE906ELNS1_3gpuE6ELNS1_3repE0EEENS1_30default_config_static_selectorELNS0_4arch9wavefront6targetE0EEEvSY_,comdat
.Lfunc_end365:
	.size	_ZN7rocprim17ROCPRIM_400000_NS6detail17trampoline_kernelINS0_13select_configILj256ELj13ELNS0_17block_load_methodE3ELS4_3ELS4_3ELNS0_20block_scan_algorithmE0ELj4294967295EEENS1_25partition_config_selectorILNS1_17partition_subalgoE3EjNS0_10empty_typeEbEEZZNS1_14partition_implILS8_3ELb0ES6_jNS0_17counting_iteratorIjlEEPS9_SE_NS0_5tupleIJPjSE_EEENSF_IJSE_SE_EEES9_SG_JZNS1_25segmented_radix_sort_implINS0_14default_configELb0EPKaPaPKlPlN2at6native12_GLOBAL__N_18offset_tEEE10hipError_tPvRmT1_PNSt15iterator_traitsISY_E10value_typeET2_T3_PNSZ_IS14_E10value_typeET4_jRbjT5_S1A_jjP12ihipStream_tbEUljE_EEESV_SW_SX_S14_S18_S1A_T6_T7_T9_mT8_S1C_bDpT10_ENKUlT_T0_E_clISt17integral_constantIbLb0EES1P_EEDaS1K_S1L_EUlS1K_E_NS1_11comp_targetILNS1_3genE2ELNS1_11target_archE906ELNS1_3gpuE6ELNS1_3repE0EEENS1_30default_config_static_selectorELNS0_4arch9wavefront6targetE0EEEvSY_, .Lfunc_end365-_ZN7rocprim17ROCPRIM_400000_NS6detail17trampoline_kernelINS0_13select_configILj256ELj13ELNS0_17block_load_methodE3ELS4_3ELS4_3ELNS0_20block_scan_algorithmE0ELj4294967295EEENS1_25partition_config_selectorILNS1_17partition_subalgoE3EjNS0_10empty_typeEbEEZZNS1_14partition_implILS8_3ELb0ES6_jNS0_17counting_iteratorIjlEEPS9_SE_NS0_5tupleIJPjSE_EEENSF_IJSE_SE_EEES9_SG_JZNS1_25segmented_radix_sort_implINS0_14default_configELb0EPKaPaPKlPlN2at6native12_GLOBAL__N_18offset_tEEE10hipError_tPvRmT1_PNSt15iterator_traitsISY_E10value_typeET2_T3_PNSZ_IS14_E10value_typeET4_jRbjT5_S1A_jjP12ihipStream_tbEUljE_EEESV_SW_SX_S14_S18_S1A_T6_T7_T9_mT8_S1C_bDpT10_ENKUlT_T0_E_clISt17integral_constantIbLb0EES1P_EEDaS1K_S1L_EUlS1K_E_NS1_11comp_targetILNS1_3genE2ELNS1_11target_archE906ELNS1_3gpuE6ELNS1_3repE0EEENS1_30default_config_static_selectorELNS0_4arch9wavefront6targetE0EEEvSY_
                                        ; -- End function
	.set _ZN7rocprim17ROCPRIM_400000_NS6detail17trampoline_kernelINS0_13select_configILj256ELj13ELNS0_17block_load_methodE3ELS4_3ELS4_3ELNS0_20block_scan_algorithmE0ELj4294967295EEENS1_25partition_config_selectorILNS1_17partition_subalgoE3EjNS0_10empty_typeEbEEZZNS1_14partition_implILS8_3ELb0ES6_jNS0_17counting_iteratorIjlEEPS9_SE_NS0_5tupleIJPjSE_EEENSF_IJSE_SE_EEES9_SG_JZNS1_25segmented_radix_sort_implINS0_14default_configELb0EPKaPaPKlPlN2at6native12_GLOBAL__N_18offset_tEEE10hipError_tPvRmT1_PNSt15iterator_traitsISY_E10value_typeET2_T3_PNSZ_IS14_E10value_typeET4_jRbjT5_S1A_jjP12ihipStream_tbEUljE_EEESV_SW_SX_S14_S18_S1A_T6_T7_T9_mT8_S1C_bDpT10_ENKUlT_T0_E_clISt17integral_constantIbLb0EES1P_EEDaS1K_S1L_EUlS1K_E_NS1_11comp_targetILNS1_3genE2ELNS1_11target_archE906ELNS1_3gpuE6ELNS1_3repE0EEENS1_30default_config_static_selectorELNS0_4arch9wavefront6targetE0EEEvSY_.num_vgpr, 0
	.set _ZN7rocprim17ROCPRIM_400000_NS6detail17trampoline_kernelINS0_13select_configILj256ELj13ELNS0_17block_load_methodE3ELS4_3ELS4_3ELNS0_20block_scan_algorithmE0ELj4294967295EEENS1_25partition_config_selectorILNS1_17partition_subalgoE3EjNS0_10empty_typeEbEEZZNS1_14partition_implILS8_3ELb0ES6_jNS0_17counting_iteratorIjlEEPS9_SE_NS0_5tupleIJPjSE_EEENSF_IJSE_SE_EEES9_SG_JZNS1_25segmented_radix_sort_implINS0_14default_configELb0EPKaPaPKlPlN2at6native12_GLOBAL__N_18offset_tEEE10hipError_tPvRmT1_PNSt15iterator_traitsISY_E10value_typeET2_T3_PNSZ_IS14_E10value_typeET4_jRbjT5_S1A_jjP12ihipStream_tbEUljE_EEESV_SW_SX_S14_S18_S1A_T6_T7_T9_mT8_S1C_bDpT10_ENKUlT_T0_E_clISt17integral_constantIbLb0EES1P_EEDaS1K_S1L_EUlS1K_E_NS1_11comp_targetILNS1_3genE2ELNS1_11target_archE906ELNS1_3gpuE6ELNS1_3repE0EEENS1_30default_config_static_selectorELNS0_4arch9wavefront6targetE0EEEvSY_.num_agpr, 0
	.set _ZN7rocprim17ROCPRIM_400000_NS6detail17trampoline_kernelINS0_13select_configILj256ELj13ELNS0_17block_load_methodE3ELS4_3ELS4_3ELNS0_20block_scan_algorithmE0ELj4294967295EEENS1_25partition_config_selectorILNS1_17partition_subalgoE3EjNS0_10empty_typeEbEEZZNS1_14partition_implILS8_3ELb0ES6_jNS0_17counting_iteratorIjlEEPS9_SE_NS0_5tupleIJPjSE_EEENSF_IJSE_SE_EEES9_SG_JZNS1_25segmented_radix_sort_implINS0_14default_configELb0EPKaPaPKlPlN2at6native12_GLOBAL__N_18offset_tEEE10hipError_tPvRmT1_PNSt15iterator_traitsISY_E10value_typeET2_T3_PNSZ_IS14_E10value_typeET4_jRbjT5_S1A_jjP12ihipStream_tbEUljE_EEESV_SW_SX_S14_S18_S1A_T6_T7_T9_mT8_S1C_bDpT10_ENKUlT_T0_E_clISt17integral_constantIbLb0EES1P_EEDaS1K_S1L_EUlS1K_E_NS1_11comp_targetILNS1_3genE2ELNS1_11target_archE906ELNS1_3gpuE6ELNS1_3repE0EEENS1_30default_config_static_selectorELNS0_4arch9wavefront6targetE0EEEvSY_.numbered_sgpr, 0
	.set _ZN7rocprim17ROCPRIM_400000_NS6detail17trampoline_kernelINS0_13select_configILj256ELj13ELNS0_17block_load_methodE3ELS4_3ELS4_3ELNS0_20block_scan_algorithmE0ELj4294967295EEENS1_25partition_config_selectorILNS1_17partition_subalgoE3EjNS0_10empty_typeEbEEZZNS1_14partition_implILS8_3ELb0ES6_jNS0_17counting_iteratorIjlEEPS9_SE_NS0_5tupleIJPjSE_EEENSF_IJSE_SE_EEES9_SG_JZNS1_25segmented_radix_sort_implINS0_14default_configELb0EPKaPaPKlPlN2at6native12_GLOBAL__N_18offset_tEEE10hipError_tPvRmT1_PNSt15iterator_traitsISY_E10value_typeET2_T3_PNSZ_IS14_E10value_typeET4_jRbjT5_S1A_jjP12ihipStream_tbEUljE_EEESV_SW_SX_S14_S18_S1A_T6_T7_T9_mT8_S1C_bDpT10_ENKUlT_T0_E_clISt17integral_constantIbLb0EES1P_EEDaS1K_S1L_EUlS1K_E_NS1_11comp_targetILNS1_3genE2ELNS1_11target_archE906ELNS1_3gpuE6ELNS1_3repE0EEENS1_30default_config_static_selectorELNS0_4arch9wavefront6targetE0EEEvSY_.num_named_barrier, 0
	.set _ZN7rocprim17ROCPRIM_400000_NS6detail17trampoline_kernelINS0_13select_configILj256ELj13ELNS0_17block_load_methodE3ELS4_3ELS4_3ELNS0_20block_scan_algorithmE0ELj4294967295EEENS1_25partition_config_selectorILNS1_17partition_subalgoE3EjNS0_10empty_typeEbEEZZNS1_14partition_implILS8_3ELb0ES6_jNS0_17counting_iteratorIjlEEPS9_SE_NS0_5tupleIJPjSE_EEENSF_IJSE_SE_EEES9_SG_JZNS1_25segmented_radix_sort_implINS0_14default_configELb0EPKaPaPKlPlN2at6native12_GLOBAL__N_18offset_tEEE10hipError_tPvRmT1_PNSt15iterator_traitsISY_E10value_typeET2_T3_PNSZ_IS14_E10value_typeET4_jRbjT5_S1A_jjP12ihipStream_tbEUljE_EEESV_SW_SX_S14_S18_S1A_T6_T7_T9_mT8_S1C_bDpT10_ENKUlT_T0_E_clISt17integral_constantIbLb0EES1P_EEDaS1K_S1L_EUlS1K_E_NS1_11comp_targetILNS1_3genE2ELNS1_11target_archE906ELNS1_3gpuE6ELNS1_3repE0EEENS1_30default_config_static_selectorELNS0_4arch9wavefront6targetE0EEEvSY_.private_seg_size, 0
	.set _ZN7rocprim17ROCPRIM_400000_NS6detail17trampoline_kernelINS0_13select_configILj256ELj13ELNS0_17block_load_methodE3ELS4_3ELS4_3ELNS0_20block_scan_algorithmE0ELj4294967295EEENS1_25partition_config_selectorILNS1_17partition_subalgoE3EjNS0_10empty_typeEbEEZZNS1_14partition_implILS8_3ELb0ES6_jNS0_17counting_iteratorIjlEEPS9_SE_NS0_5tupleIJPjSE_EEENSF_IJSE_SE_EEES9_SG_JZNS1_25segmented_radix_sort_implINS0_14default_configELb0EPKaPaPKlPlN2at6native12_GLOBAL__N_18offset_tEEE10hipError_tPvRmT1_PNSt15iterator_traitsISY_E10value_typeET2_T3_PNSZ_IS14_E10value_typeET4_jRbjT5_S1A_jjP12ihipStream_tbEUljE_EEESV_SW_SX_S14_S18_S1A_T6_T7_T9_mT8_S1C_bDpT10_ENKUlT_T0_E_clISt17integral_constantIbLb0EES1P_EEDaS1K_S1L_EUlS1K_E_NS1_11comp_targetILNS1_3genE2ELNS1_11target_archE906ELNS1_3gpuE6ELNS1_3repE0EEENS1_30default_config_static_selectorELNS0_4arch9wavefront6targetE0EEEvSY_.uses_vcc, 0
	.set _ZN7rocprim17ROCPRIM_400000_NS6detail17trampoline_kernelINS0_13select_configILj256ELj13ELNS0_17block_load_methodE3ELS4_3ELS4_3ELNS0_20block_scan_algorithmE0ELj4294967295EEENS1_25partition_config_selectorILNS1_17partition_subalgoE3EjNS0_10empty_typeEbEEZZNS1_14partition_implILS8_3ELb0ES6_jNS0_17counting_iteratorIjlEEPS9_SE_NS0_5tupleIJPjSE_EEENSF_IJSE_SE_EEES9_SG_JZNS1_25segmented_radix_sort_implINS0_14default_configELb0EPKaPaPKlPlN2at6native12_GLOBAL__N_18offset_tEEE10hipError_tPvRmT1_PNSt15iterator_traitsISY_E10value_typeET2_T3_PNSZ_IS14_E10value_typeET4_jRbjT5_S1A_jjP12ihipStream_tbEUljE_EEESV_SW_SX_S14_S18_S1A_T6_T7_T9_mT8_S1C_bDpT10_ENKUlT_T0_E_clISt17integral_constantIbLb0EES1P_EEDaS1K_S1L_EUlS1K_E_NS1_11comp_targetILNS1_3genE2ELNS1_11target_archE906ELNS1_3gpuE6ELNS1_3repE0EEENS1_30default_config_static_selectorELNS0_4arch9wavefront6targetE0EEEvSY_.uses_flat_scratch, 0
	.set _ZN7rocprim17ROCPRIM_400000_NS6detail17trampoline_kernelINS0_13select_configILj256ELj13ELNS0_17block_load_methodE3ELS4_3ELS4_3ELNS0_20block_scan_algorithmE0ELj4294967295EEENS1_25partition_config_selectorILNS1_17partition_subalgoE3EjNS0_10empty_typeEbEEZZNS1_14partition_implILS8_3ELb0ES6_jNS0_17counting_iteratorIjlEEPS9_SE_NS0_5tupleIJPjSE_EEENSF_IJSE_SE_EEES9_SG_JZNS1_25segmented_radix_sort_implINS0_14default_configELb0EPKaPaPKlPlN2at6native12_GLOBAL__N_18offset_tEEE10hipError_tPvRmT1_PNSt15iterator_traitsISY_E10value_typeET2_T3_PNSZ_IS14_E10value_typeET4_jRbjT5_S1A_jjP12ihipStream_tbEUljE_EEESV_SW_SX_S14_S18_S1A_T6_T7_T9_mT8_S1C_bDpT10_ENKUlT_T0_E_clISt17integral_constantIbLb0EES1P_EEDaS1K_S1L_EUlS1K_E_NS1_11comp_targetILNS1_3genE2ELNS1_11target_archE906ELNS1_3gpuE6ELNS1_3repE0EEENS1_30default_config_static_selectorELNS0_4arch9wavefront6targetE0EEEvSY_.has_dyn_sized_stack, 0
	.set _ZN7rocprim17ROCPRIM_400000_NS6detail17trampoline_kernelINS0_13select_configILj256ELj13ELNS0_17block_load_methodE3ELS4_3ELS4_3ELNS0_20block_scan_algorithmE0ELj4294967295EEENS1_25partition_config_selectorILNS1_17partition_subalgoE3EjNS0_10empty_typeEbEEZZNS1_14partition_implILS8_3ELb0ES6_jNS0_17counting_iteratorIjlEEPS9_SE_NS0_5tupleIJPjSE_EEENSF_IJSE_SE_EEES9_SG_JZNS1_25segmented_radix_sort_implINS0_14default_configELb0EPKaPaPKlPlN2at6native12_GLOBAL__N_18offset_tEEE10hipError_tPvRmT1_PNSt15iterator_traitsISY_E10value_typeET2_T3_PNSZ_IS14_E10value_typeET4_jRbjT5_S1A_jjP12ihipStream_tbEUljE_EEESV_SW_SX_S14_S18_S1A_T6_T7_T9_mT8_S1C_bDpT10_ENKUlT_T0_E_clISt17integral_constantIbLb0EES1P_EEDaS1K_S1L_EUlS1K_E_NS1_11comp_targetILNS1_3genE2ELNS1_11target_archE906ELNS1_3gpuE6ELNS1_3repE0EEENS1_30default_config_static_selectorELNS0_4arch9wavefront6targetE0EEEvSY_.has_recursion, 0
	.set _ZN7rocprim17ROCPRIM_400000_NS6detail17trampoline_kernelINS0_13select_configILj256ELj13ELNS0_17block_load_methodE3ELS4_3ELS4_3ELNS0_20block_scan_algorithmE0ELj4294967295EEENS1_25partition_config_selectorILNS1_17partition_subalgoE3EjNS0_10empty_typeEbEEZZNS1_14partition_implILS8_3ELb0ES6_jNS0_17counting_iteratorIjlEEPS9_SE_NS0_5tupleIJPjSE_EEENSF_IJSE_SE_EEES9_SG_JZNS1_25segmented_radix_sort_implINS0_14default_configELb0EPKaPaPKlPlN2at6native12_GLOBAL__N_18offset_tEEE10hipError_tPvRmT1_PNSt15iterator_traitsISY_E10value_typeET2_T3_PNSZ_IS14_E10value_typeET4_jRbjT5_S1A_jjP12ihipStream_tbEUljE_EEESV_SW_SX_S14_S18_S1A_T6_T7_T9_mT8_S1C_bDpT10_ENKUlT_T0_E_clISt17integral_constantIbLb0EES1P_EEDaS1K_S1L_EUlS1K_E_NS1_11comp_targetILNS1_3genE2ELNS1_11target_archE906ELNS1_3gpuE6ELNS1_3repE0EEENS1_30default_config_static_selectorELNS0_4arch9wavefront6targetE0EEEvSY_.has_indirect_call, 0
	.section	.AMDGPU.csdata,"",@progbits
; Kernel info:
; codeLenInByte = 0
; TotalNumSgprs: 0
; NumVgprs: 0
; ScratchSize: 0
; MemoryBound: 0
; FloatMode: 240
; IeeeMode: 1
; LDSByteSize: 0 bytes/workgroup (compile time only)
; SGPRBlocks: 0
; VGPRBlocks: 0
; NumSGPRsForWavesPerEU: 1
; NumVGPRsForWavesPerEU: 1
; Occupancy: 16
; WaveLimiterHint : 0
; COMPUTE_PGM_RSRC2:SCRATCH_EN: 0
; COMPUTE_PGM_RSRC2:USER_SGPR: 2
; COMPUTE_PGM_RSRC2:TRAP_HANDLER: 0
; COMPUTE_PGM_RSRC2:TGID_X_EN: 1
; COMPUTE_PGM_RSRC2:TGID_Y_EN: 0
; COMPUTE_PGM_RSRC2:TGID_Z_EN: 0
; COMPUTE_PGM_RSRC2:TIDIG_COMP_CNT: 0
	.section	.text._ZN7rocprim17ROCPRIM_400000_NS6detail17trampoline_kernelINS0_13select_configILj256ELj13ELNS0_17block_load_methodE3ELS4_3ELS4_3ELNS0_20block_scan_algorithmE0ELj4294967295EEENS1_25partition_config_selectorILNS1_17partition_subalgoE3EjNS0_10empty_typeEbEEZZNS1_14partition_implILS8_3ELb0ES6_jNS0_17counting_iteratorIjlEEPS9_SE_NS0_5tupleIJPjSE_EEENSF_IJSE_SE_EEES9_SG_JZNS1_25segmented_radix_sort_implINS0_14default_configELb0EPKaPaPKlPlN2at6native12_GLOBAL__N_18offset_tEEE10hipError_tPvRmT1_PNSt15iterator_traitsISY_E10value_typeET2_T3_PNSZ_IS14_E10value_typeET4_jRbjT5_S1A_jjP12ihipStream_tbEUljE_EEESV_SW_SX_S14_S18_S1A_T6_T7_T9_mT8_S1C_bDpT10_ENKUlT_T0_E_clISt17integral_constantIbLb0EES1P_EEDaS1K_S1L_EUlS1K_E_NS1_11comp_targetILNS1_3genE10ELNS1_11target_archE1200ELNS1_3gpuE4ELNS1_3repE0EEENS1_30default_config_static_selectorELNS0_4arch9wavefront6targetE0EEEvSY_,"axG",@progbits,_ZN7rocprim17ROCPRIM_400000_NS6detail17trampoline_kernelINS0_13select_configILj256ELj13ELNS0_17block_load_methodE3ELS4_3ELS4_3ELNS0_20block_scan_algorithmE0ELj4294967295EEENS1_25partition_config_selectorILNS1_17partition_subalgoE3EjNS0_10empty_typeEbEEZZNS1_14partition_implILS8_3ELb0ES6_jNS0_17counting_iteratorIjlEEPS9_SE_NS0_5tupleIJPjSE_EEENSF_IJSE_SE_EEES9_SG_JZNS1_25segmented_radix_sort_implINS0_14default_configELb0EPKaPaPKlPlN2at6native12_GLOBAL__N_18offset_tEEE10hipError_tPvRmT1_PNSt15iterator_traitsISY_E10value_typeET2_T3_PNSZ_IS14_E10value_typeET4_jRbjT5_S1A_jjP12ihipStream_tbEUljE_EEESV_SW_SX_S14_S18_S1A_T6_T7_T9_mT8_S1C_bDpT10_ENKUlT_T0_E_clISt17integral_constantIbLb0EES1P_EEDaS1K_S1L_EUlS1K_E_NS1_11comp_targetILNS1_3genE10ELNS1_11target_archE1200ELNS1_3gpuE4ELNS1_3repE0EEENS1_30default_config_static_selectorELNS0_4arch9wavefront6targetE0EEEvSY_,comdat
	.globl	_ZN7rocprim17ROCPRIM_400000_NS6detail17trampoline_kernelINS0_13select_configILj256ELj13ELNS0_17block_load_methodE3ELS4_3ELS4_3ELNS0_20block_scan_algorithmE0ELj4294967295EEENS1_25partition_config_selectorILNS1_17partition_subalgoE3EjNS0_10empty_typeEbEEZZNS1_14partition_implILS8_3ELb0ES6_jNS0_17counting_iteratorIjlEEPS9_SE_NS0_5tupleIJPjSE_EEENSF_IJSE_SE_EEES9_SG_JZNS1_25segmented_radix_sort_implINS0_14default_configELb0EPKaPaPKlPlN2at6native12_GLOBAL__N_18offset_tEEE10hipError_tPvRmT1_PNSt15iterator_traitsISY_E10value_typeET2_T3_PNSZ_IS14_E10value_typeET4_jRbjT5_S1A_jjP12ihipStream_tbEUljE_EEESV_SW_SX_S14_S18_S1A_T6_T7_T9_mT8_S1C_bDpT10_ENKUlT_T0_E_clISt17integral_constantIbLb0EES1P_EEDaS1K_S1L_EUlS1K_E_NS1_11comp_targetILNS1_3genE10ELNS1_11target_archE1200ELNS1_3gpuE4ELNS1_3repE0EEENS1_30default_config_static_selectorELNS0_4arch9wavefront6targetE0EEEvSY_ ; -- Begin function _ZN7rocprim17ROCPRIM_400000_NS6detail17trampoline_kernelINS0_13select_configILj256ELj13ELNS0_17block_load_methodE3ELS4_3ELS4_3ELNS0_20block_scan_algorithmE0ELj4294967295EEENS1_25partition_config_selectorILNS1_17partition_subalgoE3EjNS0_10empty_typeEbEEZZNS1_14partition_implILS8_3ELb0ES6_jNS0_17counting_iteratorIjlEEPS9_SE_NS0_5tupleIJPjSE_EEENSF_IJSE_SE_EEES9_SG_JZNS1_25segmented_radix_sort_implINS0_14default_configELb0EPKaPaPKlPlN2at6native12_GLOBAL__N_18offset_tEEE10hipError_tPvRmT1_PNSt15iterator_traitsISY_E10value_typeET2_T3_PNSZ_IS14_E10value_typeET4_jRbjT5_S1A_jjP12ihipStream_tbEUljE_EEESV_SW_SX_S14_S18_S1A_T6_T7_T9_mT8_S1C_bDpT10_ENKUlT_T0_E_clISt17integral_constantIbLb0EES1P_EEDaS1K_S1L_EUlS1K_E_NS1_11comp_targetILNS1_3genE10ELNS1_11target_archE1200ELNS1_3gpuE4ELNS1_3repE0EEENS1_30default_config_static_selectorELNS0_4arch9wavefront6targetE0EEEvSY_
	.p2align	8
	.type	_ZN7rocprim17ROCPRIM_400000_NS6detail17trampoline_kernelINS0_13select_configILj256ELj13ELNS0_17block_load_methodE3ELS4_3ELS4_3ELNS0_20block_scan_algorithmE0ELj4294967295EEENS1_25partition_config_selectorILNS1_17partition_subalgoE3EjNS0_10empty_typeEbEEZZNS1_14partition_implILS8_3ELb0ES6_jNS0_17counting_iteratorIjlEEPS9_SE_NS0_5tupleIJPjSE_EEENSF_IJSE_SE_EEES9_SG_JZNS1_25segmented_radix_sort_implINS0_14default_configELb0EPKaPaPKlPlN2at6native12_GLOBAL__N_18offset_tEEE10hipError_tPvRmT1_PNSt15iterator_traitsISY_E10value_typeET2_T3_PNSZ_IS14_E10value_typeET4_jRbjT5_S1A_jjP12ihipStream_tbEUljE_EEESV_SW_SX_S14_S18_S1A_T6_T7_T9_mT8_S1C_bDpT10_ENKUlT_T0_E_clISt17integral_constantIbLb0EES1P_EEDaS1K_S1L_EUlS1K_E_NS1_11comp_targetILNS1_3genE10ELNS1_11target_archE1200ELNS1_3gpuE4ELNS1_3repE0EEENS1_30default_config_static_selectorELNS0_4arch9wavefront6targetE0EEEvSY_,@function
_ZN7rocprim17ROCPRIM_400000_NS6detail17trampoline_kernelINS0_13select_configILj256ELj13ELNS0_17block_load_methodE3ELS4_3ELS4_3ELNS0_20block_scan_algorithmE0ELj4294967295EEENS1_25partition_config_selectorILNS1_17partition_subalgoE3EjNS0_10empty_typeEbEEZZNS1_14partition_implILS8_3ELb0ES6_jNS0_17counting_iteratorIjlEEPS9_SE_NS0_5tupleIJPjSE_EEENSF_IJSE_SE_EEES9_SG_JZNS1_25segmented_radix_sort_implINS0_14default_configELb0EPKaPaPKlPlN2at6native12_GLOBAL__N_18offset_tEEE10hipError_tPvRmT1_PNSt15iterator_traitsISY_E10value_typeET2_T3_PNSZ_IS14_E10value_typeET4_jRbjT5_S1A_jjP12ihipStream_tbEUljE_EEESV_SW_SX_S14_S18_S1A_T6_T7_T9_mT8_S1C_bDpT10_ENKUlT_T0_E_clISt17integral_constantIbLb0EES1P_EEDaS1K_S1L_EUlS1K_E_NS1_11comp_targetILNS1_3genE10ELNS1_11target_archE1200ELNS1_3gpuE4ELNS1_3repE0EEENS1_30default_config_static_selectorELNS0_4arch9wavefront6targetE0EEEvSY_: ; @_ZN7rocprim17ROCPRIM_400000_NS6detail17trampoline_kernelINS0_13select_configILj256ELj13ELNS0_17block_load_methodE3ELS4_3ELS4_3ELNS0_20block_scan_algorithmE0ELj4294967295EEENS1_25partition_config_selectorILNS1_17partition_subalgoE3EjNS0_10empty_typeEbEEZZNS1_14partition_implILS8_3ELb0ES6_jNS0_17counting_iteratorIjlEEPS9_SE_NS0_5tupleIJPjSE_EEENSF_IJSE_SE_EEES9_SG_JZNS1_25segmented_radix_sort_implINS0_14default_configELb0EPKaPaPKlPlN2at6native12_GLOBAL__N_18offset_tEEE10hipError_tPvRmT1_PNSt15iterator_traitsISY_E10value_typeET2_T3_PNSZ_IS14_E10value_typeET4_jRbjT5_S1A_jjP12ihipStream_tbEUljE_EEESV_SW_SX_S14_S18_S1A_T6_T7_T9_mT8_S1C_bDpT10_ENKUlT_T0_E_clISt17integral_constantIbLb0EES1P_EEDaS1K_S1L_EUlS1K_E_NS1_11comp_targetILNS1_3genE10ELNS1_11target_archE1200ELNS1_3gpuE4ELNS1_3repE0EEENS1_30default_config_static_selectorELNS0_4arch9wavefront6targetE0EEEvSY_
; %bb.0:
	s_clause 0x6
	s_load_b32 s2, s[0:1], 0x70
	s_load_b128 s[8:11], s[0:1], 0x48
	s_load_b64 s[12:13], s[0:1], 0x10
	s_load_b64 s[14:15], s[0:1], 0x58
	s_load_b32 s20, s[0:1], 0x8
	s_load_b32 s3, s[0:1], 0x88
	s_load_b128 s[4:7], s[0:1], 0x78
	s_mov_b32 s17, 0
	v_lshlrev_b32_e32 v42, 2, v0
	s_wait_kmcnt 0x0
	s_mul_i32 s16, s2, 0xd00
	s_load_b64 s[18:19], s[10:11], 0x0
	s_add_co_i32 s10, s16, s12
	s_add_co_i32 s2, s2, -1
	s_sub_co_i32 s23, s14, s10
	s_add_nc_u64 s[10:11], s[12:13], s[16:17]
	s_addk_co_i32 s23, 0xd00
	s_cmp_eq_u32 ttmp9, s2
	s_mul_i32 s16, ttmp9, 0xd00
	s_cselect_b32 s22, -1, 0
	s_cmp_lg_u32 ttmp9, s2
	v_cmp_gt_u64_e64 s10, s[14:15], s[10:11]
	s_cselect_b32 s2, -1, 0
	s_add_co_i32 s11, s20, s16
	s_mov_b32 s17, -1
	s_wait_alu 0xfffe
	s_add_co_i32 s11, s11, s12
	s_wait_alu 0xfffe
	v_add_nc_u32_e32 v1, s11, v0
	s_or_b32 s10, s2, s10
	s_wait_alu 0xfffe
	s_and_b32 vcc_lo, exec_lo, s10
	s_cbranch_vccz .LBB366_2
; %bb.1:
	v_add_nc_u32_e32 v2, 0x100, v1
	v_add_nc_u32_e32 v3, 0x200, v1
	;; [unrolled: 1-line block ×12, first 2 shown]
	ds_store_2addr_stride64_b32 v42, v1, v2 offset1:4
	ds_store_2addr_stride64_b32 v42, v3, v4 offset0:8 offset1:12
	ds_store_2addr_stride64_b32 v42, v5, v6 offset0:16 offset1:20
	;; [unrolled: 1-line block ×5, first 2 shown]
	ds_store_b32 v42, v13 offset:12288
	s_wait_dscnt 0x0
	s_barrier_signal -1
	s_mov_b32 s17, 0
	s_barrier_wait -1
.LBB366_2:
	v_cmp_gt_u32_e64 s2, s23, v0
	v_or_b32_e32 v41, 0x100, v0
	v_or_b32_e32 v40, 0x200, v0
	;; [unrolled: 1-line block ×12, first 2 shown]
	s_and_not1_b32 vcc_lo, exec_lo, s17
	s_cbranch_vccnz .LBB366_4
; %bb.3:
	v_cmp_gt_u32_e32 vcc_lo, s23, v41
	v_add_nc_u32_e32 v3, s11, v40
	v_add_nc_u32_e32 v2, s11, v41
	v_cndmask_b32_e64 v1, 0, v1, s2
	s_delay_alu instid0(VALU_DEP_2)
	v_cndmask_b32_e32 v2, 0, v2, vcc_lo
	v_cmp_gt_u32_e32 vcc_lo, s23, v40
	s_wait_alu 0xfffd
	v_cndmask_b32_e32 v3, 0, v3, vcc_lo
	v_cmp_gt_u32_e32 vcc_lo, s23, v39
	v_add_nc_u32_e32 v5, s11, v38
	v_add_nc_u32_e32 v4, s11, v39
	s_wait_alu 0xfffd
	s_delay_alu instid0(VALU_DEP_1)
	v_cndmask_b32_e32 v4, 0, v4, vcc_lo
	v_cmp_gt_u32_e32 vcc_lo, s23, v38
	s_wait_alu 0xfffd
	v_cndmask_b32_e32 v5, 0, v5, vcc_lo
	v_cmp_gt_u32_e32 vcc_lo, s23, v37
	v_add_nc_u32_e32 v7, s11, v36
	v_add_nc_u32_e32 v6, s11, v37
	s_wait_alu 0xfffd
	s_delay_alu instid0(VALU_DEP_1)
	;; [unrolled: 9-line block ×5, first 2 shown]
	v_cndmask_b32_e32 v12, 0, v12, vcc_lo
	v_cmp_gt_u32_e32 vcc_lo, s23, v30
	s_wait_alu 0xfffd
	v_cndmask_b32_e32 v13, 0, v13, vcc_lo
	ds_store_2addr_stride64_b32 v42, v1, v2 offset1:4
	ds_store_2addr_stride64_b32 v42, v3, v4 offset0:8 offset1:12
	ds_store_2addr_stride64_b32 v42, v5, v6 offset0:16 offset1:20
	;; [unrolled: 1-line block ×5, first 2 shown]
	ds_store_b32 v42, v13 offset:12288
	s_wait_dscnt 0x0
	s_barrier_signal -1
	s_barrier_wait -1
.LBB366_4:
	v_mul_u32_u24_e32 v45, 13, v0
	global_inv scope:SCOPE_SE
	v_cndmask_b32_e64 v43, 0, 1, s10
	s_and_not1_b32 vcc_lo, exec_lo, s10
	v_lshlrev_b32_e32 v1, 2, v45
	ds_load_2addr_b32 v[26:27], v1 offset0:2 offset1:3
	ds_load_2addr_b32 v[22:23], v1 offset0:6 offset1:7
	;; [unrolled: 1-line block ×3, first 2 shown]
	ds_load_2addr_b32 v[28:29], v1 offset1:1
	ds_load_2addr_b32 v[18:19], v1 offset0:10 offset1:11
	ds_load_b32 v44, v1 offset:48
	ds_load_2addr_b32 v[20:21], v1 offset0:8 offset1:9
	s_wait_loadcnt_dscnt 0x0
	s_barrier_signal -1
	s_barrier_wait -1
	global_inv scope:SCOPE_SE
	s_wait_alu 0xfffe
	s_cbranch_vccnz .LBB366_6
; %bb.5:
	v_add_nc_u32_e32 v1, s5, v27
	v_add_nc_u32_e32 v2, s7, v27
	v_add_nc_u32_e32 v4, s5, v28
	v_add_nc_u32_e32 v5, s5, v26
	v_add_nc_u32_e32 v7, s7, v28
	v_mul_lo_u32 v1, v1, s4
	v_mul_lo_u32 v2, v2, s6
	v_add_nc_u32_e32 v8, s7, v26
	v_add_nc_u32_e32 v3, s5, v29
	;; [unrolled: 1-line block ×3, first 2 shown]
	v_mul_lo_u32 v5, v5, s4
	v_mul_lo_u32 v4, v4, s4
	v_add_nc_u32_e32 v9, s5, v24
	v_mul_lo_u32 v3, v3, s4
	v_sub_nc_u32_e32 v1, v1, v2
	v_mul_lo_u32 v2, v7, s6
	v_mul_lo_u32 v7, v8, s6
	;; [unrolled: 1-line block ×3, first 2 shown]
	v_add_nc_u32_e32 v8, s5, v25
	v_add_nc_u32_e32 v10, s7, v24
	v_mul_lo_u32 v9, v9, s4
	v_cmp_lt_u32_e32 vcc_lo, s3, v1
	v_add_nc_u32_e32 v14, s7, v19
	v_sub_nc_u32_e32 v2, v4, v2
	v_sub_nc_u32_e32 v4, v5, v7
	v_add_nc_u32_e32 v5, s7, v25
	v_sub_nc_u32_e32 v3, v3, v6
	v_add_nc_u32_e32 v6, s5, v23
	v_add_nc_u32_e32 v7, s7, v23
	v_mul_lo_u32 v8, v8, s4
	v_mul_lo_u32 v5, v5, s6
	;; [unrolled: 1-line block ×5, first 2 shown]
	s_wait_alu 0xfffd
	v_cndmask_b32_e64 v1, 0, 1, vcc_lo
	v_cmp_lt_u32_e32 vcc_lo, s3, v3
	v_mul_lo_u32 v14, v14, s6
	v_add_nc_u32_e32 v15, s7, v21
	v_sub_nc_u32_e32 v5, v8, v5
	v_add_nc_u32_e32 v8, s7, v22
	s_wait_alu 0xfffd
	v_cndmask_b32_e64 v3, 0, 1, vcc_lo
	v_sub_nc_u32_e32 v6, v6, v7
	v_mul_lo_u32 v15, v15, s6
	v_cmp_lt_u32_e32 vcc_lo, s3, v5
	v_mul_lo_u32 v7, v8, s6
	v_sub_nc_u32_e32 v8, v9, v10
	v_add_nc_u32_e32 v9, s5, v19
	v_add_nc_u32_e32 v10, s5, v21
	s_wait_alu 0xfffd
	v_cndmask_b32_e64 v5, 0, 1, vcc_lo
	v_cmp_lt_u32_e32 vcc_lo, s3, v6
	v_add_nc_u32_e32 v11, s5, v22
	v_mul_lo_u32 v9, v9, s4
	v_mul_lo_u32 v10, v10, s4
	v_add_nc_u32_e32 v12, s5, v20
	s_wait_alu 0xfffd
	v_cndmask_b32_e64 v6, 0, 1, vcc_lo
	v_mul_lo_u32 v11, v11, s4
	v_add_nc_u32_e32 v16, s7, v20
	v_lshlrev_b16 v3, 8, v3
	v_add_nc_u32_e32 v13, s5, v18
	v_sub_nc_u32_e32 v9, v9, v14
	v_sub_nc_u32_e32 v10, v10, v15
	v_add_nc_u32_e32 v17, s7, v18
	v_mul_lo_u32 v12, v12, s4
	v_mul_lo_u32 v16, v16, s6
	v_cmp_lt_u32_e32 vcc_lo, s3, v9
	v_sub_nc_u32_e32 v7, v11, v7
	v_lshrrev_b32_e32 v3, 8, v3
	v_mul_lo_u32 v11, v13, s4
	v_mul_lo_u32 v13, v17, s6
	s_wait_alu 0xfffd
	v_cndmask_b32_e64 v9, 0, 1, vcc_lo
	v_cmp_lt_u32_e32 vcc_lo, s3, v2
	v_sub_nc_u32_e32 v12, v12, v16
	v_lshlrev_b16 v3, 8, v3
	v_lshlrev_b16 v1, 8, v1
	;; [unrolled: 1-line block ×3, first 2 shown]
	s_wait_alu 0xfffd
	v_cndmask_b32_e64 v2, 0, 1, vcc_lo
	v_cmp_lt_u32_e32 vcc_lo, s3, v10
	v_sub_nc_u32_e32 v11, v11, v13
	v_add_nc_u32_e32 v14, s5, v44
	v_add_nc_u32_e32 v15, s7, v44
	v_or_b32_e32 v2, v2, v3
	s_wait_alu 0xfffd
	v_cndmask_b32_e64 v10, 0, 1, vcc_lo
	v_cmp_lt_u32_e32 vcc_lo, s3, v4
	v_lshlrev_b16 v3, 8, v9
	v_lshrrev_b32_e32 v5, 8, v5
	v_lshrrev_b32_e32 v1, 8, v1
	v_lshlrev_b16 v9, 8, v10
	s_wait_alu 0xfffd
	v_cndmask_b32_e64 v4, 0, 1, vcc_lo
	v_cmp_lt_u32_e32 vcc_lo, s3, v8
	v_lshrrev_b32_e32 v3, 8, v3
	v_mul_lo_u32 v14, v14, s4
	v_lshrrev_b32_e32 v9, 8, v9
	v_mul_lo_u32 v15, v15, s6
	s_wait_alu 0xfffd
	v_cndmask_b32_e64 v8, 0, 1, vcc_lo
	v_cmp_lt_u32_e32 vcc_lo, s3, v7
	v_lshlrev_b16 v6, 8, v6
	v_lshlrev_b16 v1, 8, v1
	;; [unrolled: 1-line block ×4, first 2 shown]
	s_wait_alu 0xfffd
	v_cndmask_b32_e64 v7, 0, 1, vcc_lo
	v_cmp_lt_u32_e32 vcc_lo, s3, v12
	v_lshlrev_b16 v3, 8, v3
	v_sub_nc_u32_e32 v10, v14, v15
	v_or_b32_e32 v1, v4, v1
	v_or_b32_e32 v4, v8, v5
	s_wait_alu 0xfffd
	v_cndmask_b32_e64 v12, 0, 1, vcc_lo
	v_cmp_lt_u32_e32 vcc_lo, s3, v11
	v_or_b32_e32 v5, v7, v6
	v_and_b32_e32 v2, 0xffff, v2
	v_lshlrev_b32_e32 v1, 16, v1
	v_or_b32_e32 v6, v12, v9
	s_wait_alu 0xfffd
	v_cndmask_b32_e64 v11, 0, 1, vcc_lo
	v_and_b32_e32 v4, 0xffff, v4
	v_lshlrev_b32_e32 v5, 16, v5
	v_cmp_lt_u32_e32 vcc_lo, s3, v10
	v_and_b32_e32 v6, 0xffff, v6
	v_or_b32_e32 v3, v11, v3
	v_or_b32_e32 v51, v2, v1
	;; [unrolled: 1-line block ×3, first 2 shown]
	s_wait_alu 0xfffd
	v_cndmask_b32_e64 v46, 0, 1, vcc_lo
	v_lshlrev_b32_e32 v3, 16, v3
	s_delay_alu instid0(VALU_DEP_1)
	v_or_b32_e32 v47, v6, v3
	s_clause 0x1
	s_load_b64 s[10:11], s[0:1], 0x28
	s_load_b64 s[20:21], s[0:1], 0x68
	s_cbranch_execz .LBB366_7
	s_branch .LBB366_34
.LBB366_6:
                                        ; implicit-def: $vgpr46
                                        ; implicit-def: $vgpr47
                                        ; implicit-def: $vgpr49
                                        ; implicit-def: $vgpr51
	s_clause 0x1
	s_load_b64 s[10:11], s[0:1], 0x28
	s_load_b64 s[20:21], s[0:1], 0x68
.LBB366_7:
	v_dual_mov_b32 v2, 0 :: v_dual_mov_b32 v1, 0
	s_mov_b32 s0, exec_lo
	v_cmpx_gt_u32_e64 s23, v45
	s_cbranch_execz .LBB366_9
; %bb.8:
	v_add_nc_u32_e32 v1, s5, v28
	v_add_nc_u32_e32 v3, s7, v28
	s_delay_alu instid0(VALU_DEP_2) | instskip(NEXT) | instid1(VALU_DEP_2)
	v_mul_lo_u32 v1, v1, s4
	v_mul_lo_u32 v3, v3, s6
	s_delay_alu instid0(VALU_DEP_1) | instskip(NEXT) | instid1(VALU_DEP_1)
	v_sub_nc_u32_e32 v1, v1, v3
	v_cmp_lt_u32_e32 vcc_lo, s3, v1
	s_wait_alu 0xfffd
	v_cndmask_b32_e64 v1, 0, 1, vcc_lo
.LBB366_9:
	s_or_b32 exec_lo, exec_lo, s0
	v_add_nc_u32_e32 v3, 1, v45
	s_mov_b32 s0, exec_lo
	s_delay_alu instid0(VALU_DEP_1)
	v_cmpx_gt_u32_e64 s23, v3
	s_cbranch_execz .LBB366_11
; %bb.10:
	v_add_nc_u32_e32 v2, s5, v29
	v_add_nc_u32_e32 v3, s7, v29
	s_delay_alu instid0(VALU_DEP_2) | instskip(NEXT) | instid1(VALU_DEP_2)
	v_mul_lo_u32 v2, v2, s4
	v_mul_lo_u32 v3, v3, s6
	s_delay_alu instid0(VALU_DEP_1) | instskip(NEXT) | instid1(VALU_DEP_1)
	v_sub_nc_u32_e32 v2, v2, v3
	v_cmp_lt_u32_e32 vcc_lo, s3, v2
	s_wait_alu 0xfffd
	v_cndmask_b32_e64 v2, 0, 1, vcc_lo
.LBB366_11:
	s_or_b32 exec_lo, exec_lo, s0
	v_dual_mov_b32 v4, 0 :: v_dual_add_nc_u32 v3, 2, v45
	s_delay_alu instid0(VALU_DEP_1)
	v_cmp_gt_u32_e32 vcc_lo, s23, v3
	v_mov_b32_e32 v3, 0
	s_and_saveexec_b32 s0, vcc_lo
	s_cbranch_execz .LBB366_13
; %bb.12:
	v_add_nc_u32_e32 v3, s5, v26
	v_add_nc_u32_e32 v5, s7, v26
	s_delay_alu instid0(VALU_DEP_2) | instskip(NEXT) | instid1(VALU_DEP_2)
	v_mul_lo_u32 v3, v3, s4
	v_mul_lo_u32 v5, v5, s6
	s_delay_alu instid0(VALU_DEP_1) | instskip(NEXT) | instid1(VALU_DEP_1)
	v_sub_nc_u32_e32 v3, v3, v5
	v_cmp_lt_u32_e32 vcc_lo, s3, v3
	s_wait_alu 0xfffd
	v_cndmask_b32_e64 v3, 0, 1, vcc_lo
.LBB366_13:
	s_or_b32 exec_lo, exec_lo, s0
	v_add_nc_u32_e32 v5, 3, v45
	s_mov_b32 s0, exec_lo
	s_delay_alu instid0(VALU_DEP_1)
	v_cmpx_gt_u32_e64 s23, v5
	s_cbranch_execz .LBB366_15
; %bb.14:
	v_add_nc_u32_e32 v4, s5, v27
	v_add_nc_u32_e32 v5, s7, v27
	s_delay_alu instid0(VALU_DEP_2) | instskip(NEXT) | instid1(VALU_DEP_2)
	v_mul_lo_u32 v4, v4, s4
	v_mul_lo_u32 v5, v5, s6
	s_delay_alu instid0(VALU_DEP_1) | instskip(NEXT) | instid1(VALU_DEP_1)
	v_sub_nc_u32_e32 v4, v4, v5
	v_cmp_lt_u32_e32 vcc_lo, s3, v4
	s_wait_alu 0xfffd
	v_cndmask_b32_e64 v4, 0, 1, vcc_lo
.LBB366_15:
	s_or_b32 exec_lo, exec_lo, s0
	v_dual_mov_b32 v6, 0 :: v_dual_add_nc_u32 v5, 4, v45
	s_delay_alu instid0(VALU_DEP_1)
	v_cmp_gt_u32_e32 vcc_lo, s23, v5
	v_mov_b32_e32 v5, 0
	s_and_saveexec_b32 s0, vcc_lo
	s_cbranch_execz .LBB366_17
; %bb.16:
	v_add_nc_u32_e32 v5, s5, v24
	v_add_nc_u32_e32 v7, s7, v24
	s_delay_alu instid0(VALU_DEP_2) | instskip(NEXT) | instid1(VALU_DEP_2)
	v_mul_lo_u32 v5, v5, s4
	v_mul_lo_u32 v7, v7, s6
	s_delay_alu instid0(VALU_DEP_1) | instskip(NEXT) | instid1(VALU_DEP_1)
	v_sub_nc_u32_e32 v5, v5, v7
	v_cmp_lt_u32_e32 vcc_lo, s3, v5
	s_wait_alu 0xfffd
	v_cndmask_b32_e64 v5, 0, 1, vcc_lo
.LBB366_17:
	s_or_b32 exec_lo, exec_lo, s0
	v_add_nc_u32_e32 v7, 5, v45
	s_mov_b32 s0, exec_lo
	s_delay_alu instid0(VALU_DEP_1)
	v_cmpx_gt_u32_e64 s23, v7
	s_cbranch_execz .LBB366_19
; %bb.18:
	v_add_nc_u32_e32 v6, s5, v25
	v_add_nc_u32_e32 v7, s7, v25
	s_delay_alu instid0(VALU_DEP_2) | instskip(NEXT) | instid1(VALU_DEP_2)
	v_mul_lo_u32 v6, v6, s4
	v_mul_lo_u32 v7, v7, s6
	s_delay_alu instid0(VALU_DEP_1) | instskip(NEXT) | instid1(VALU_DEP_1)
	v_sub_nc_u32_e32 v6, v6, v7
	v_cmp_lt_u32_e32 vcc_lo, s3, v6
	s_wait_alu 0xfffd
	v_cndmask_b32_e64 v6, 0, 1, vcc_lo
.LBB366_19:
	s_or_b32 exec_lo, exec_lo, s0
	v_dual_mov_b32 v8, 0 :: v_dual_add_nc_u32 v7, 6, v45
	s_delay_alu instid0(VALU_DEP_1)
	v_cmp_gt_u32_e32 vcc_lo, s23, v7
	v_mov_b32_e32 v7, 0
	s_and_saveexec_b32 s0, vcc_lo
	s_cbranch_execz .LBB366_21
; %bb.20:
	v_add_nc_u32_e32 v7, s5, v22
	v_add_nc_u32_e32 v9, s7, v22
	s_delay_alu instid0(VALU_DEP_2) | instskip(NEXT) | instid1(VALU_DEP_2)
	v_mul_lo_u32 v7, v7, s4
	v_mul_lo_u32 v9, v9, s6
	s_delay_alu instid0(VALU_DEP_1) | instskip(NEXT) | instid1(VALU_DEP_1)
	v_sub_nc_u32_e32 v7, v7, v9
	v_cmp_lt_u32_e32 vcc_lo, s3, v7
	s_wait_alu 0xfffd
	v_cndmask_b32_e64 v7, 0, 1, vcc_lo
.LBB366_21:
	s_or_b32 exec_lo, exec_lo, s0
	v_add_nc_u32_e32 v9, 7, v45
	s_mov_b32 s0, exec_lo
	s_delay_alu instid0(VALU_DEP_1)
	v_cmpx_gt_u32_e64 s23, v9
	s_cbranch_execz .LBB366_23
; %bb.22:
	v_add_nc_u32_e32 v8, s5, v23
	v_add_nc_u32_e32 v9, s7, v23
	s_delay_alu instid0(VALU_DEP_2) | instskip(NEXT) | instid1(VALU_DEP_2)
	v_mul_lo_u32 v8, v8, s4
	v_mul_lo_u32 v9, v9, s6
	s_delay_alu instid0(VALU_DEP_1) | instskip(NEXT) | instid1(VALU_DEP_1)
	v_sub_nc_u32_e32 v8, v8, v9
	v_cmp_lt_u32_e32 vcc_lo, s3, v8
	s_wait_alu 0xfffd
	v_cndmask_b32_e64 v8, 0, 1, vcc_lo
.LBB366_23:
	s_or_b32 exec_lo, exec_lo, s0
	v_dual_mov_b32 v10, 0 :: v_dual_add_nc_u32 v9, 8, v45
	s_delay_alu instid0(VALU_DEP_1)
	v_cmp_gt_u32_e32 vcc_lo, s23, v9
	v_mov_b32_e32 v9, 0
	s_and_saveexec_b32 s0, vcc_lo
	s_cbranch_execz .LBB366_25
; %bb.24:
	v_add_nc_u32_e32 v9, s5, v20
	v_add_nc_u32_e32 v11, s7, v20
	s_delay_alu instid0(VALU_DEP_2) | instskip(NEXT) | instid1(VALU_DEP_2)
	v_mul_lo_u32 v9, v9, s4
	v_mul_lo_u32 v11, v11, s6
	s_delay_alu instid0(VALU_DEP_1) | instskip(NEXT) | instid1(VALU_DEP_1)
	v_sub_nc_u32_e32 v9, v9, v11
	v_cmp_lt_u32_e32 vcc_lo, s3, v9
	s_wait_alu 0xfffd
	v_cndmask_b32_e64 v9, 0, 1, vcc_lo
.LBB366_25:
	s_or_b32 exec_lo, exec_lo, s0
	v_add_nc_u32_e32 v11, 9, v45
	s_mov_b32 s0, exec_lo
	s_delay_alu instid0(VALU_DEP_1)
	v_cmpx_gt_u32_e64 s23, v11
	s_cbranch_execz .LBB366_27
; %bb.26:
	v_add_nc_u32_e32 v10, s5, v21
	v_add_nc_u32_e32 v11, s7, v21
	s_delay_alu instid0(VALU_DEP_2) | instskip(NEXT) | instid1(VALU_DEP_2)
	v_mul_lo_u32 v10, v10, s4
	v_mul_lo_u32 v11, v11, s6
	s_delay_alu instid0(VALU_DEP_1) | instskip(NEXT) | instid1(VALU_DEP_1)
	v_sub_nc_u32_e32 v10, v10, v11
	v_cmp_lt_u32_e32 vcc_lo, s3, v10
	s_wait_alu 0xfffd
	v_cndmask_b32_e64 v10, 0, 1, vcc_lo
.LBB366_27:
	s_or_b32 exec_lo, exec_lo, s0
	v_dual_mov_b32 v12, 0 :: v_dual_add_nc_u32 v11, 10, v45
	s_delay_alu instid0(VALU_DEP_1)
	v_cmp_gt_u32_e32 vcc_lo, s23, v11
	v_mov_b32_e32 v11, 0
	s_and_saveexec_b32 s0, vcc_lo
	s_cbranch_execz .LBB366_29
; %bb.28:
	v_add_nc_u32_e32 v11, s5, v18
	v_add_nc_u32_e32 v13, s7, v18
	s_delay_alu instid0(VALU_DEP_2) | instskip(NEXT) | instid1(VALU_DEP_2)
	v_mul_lo_u32 v11, v11, s4
	v_mul_lo_u32 v13, v13, s6
	s_delay_alu instid0(VALU_DEP_1) | instskip(NEXT) | instid1(VALU_DEP_1)
	v_sub_nc_u32_e32 v11, v11, v13
	v_cmp_lt_u32_e32 vcc_lo, s3, v11
	s_wait_alu 0xfffd
	v_cndmask_b32_e64 v11, 0, 1, vcc_lo
.LBB366_29:
	s_or_b32 exec_lo, exec_lo, s0
	v_add_nc_u32_e32 v13, 11, v45
	s_mov_b32 s0, exec_lo
	s_delay_alu instid0(VALU_DEP_1)
	v_cmpx_gt_u32_e64 s23, v13
	s_cbranch_execz .LBB366_31
; %bb.30:
	v_add_nc_u32_e32 v12, s5, v19
	v_add_nc_u32_e32 v13, s7, v19
	s_delay_alu instid0(VALU_DEP_2) | instskip(NEXT) | instid1(VALU_DEP_2)
	v_mul_lo_u32 v12, v12, s4
	v_mul_lo_u32 v13, v13, s6
	s_delay_alu instid0(VALU_DEP_1) | instskip(NEXT) | instid1(VALU_DEP_1)
	v_sub_nc_u32_e32 v12, v12, v13
	v_cmp_lt_u32_e32 vcc_lo, s3, v12
	s_wait_alu 0xfffd
	v_cndmask_b32_e64 v12, 0, 1, vcc_lo
.LBB366_31:
	s_or_b32 exec_lo, exec_lo, s0
	v_dual_mov_b32 v46, 0 :: v_dual_add_nc_u32 v13, 12, v45
	s_mov_b32 s0, exec_lo
	s_delay_alu instid0(VALU_DEP_1)
	v_cmpx_gt_u32_e64 s23, v13
	s_cbranch_execz .LBB366_33
; %bb.32:
	v_add_nc_u32_e32 v13, s5, v44
	v_add_nc_u32_e32 v14, s7, v44
	s_delay_alu instid0(VALU_DEP_2) | instskip(NEXT) | instid1(VALU_DEP_2)
	v_mul_lo_u32 v13, v13, s4
	v_mul_lo_u32 v14, v14, s6
	s_delay_alu instid0(VALU_DEP_1) | instskip(NEXT) | instid1(VALU_DEP_1)
	v_sub_nc_u32_e32 v13, v13, v14
	v_cmp_lt_u32_e32 vcc_lo, s3, v13
	s_wait_alu 0xfffd
	v_cndmask_b32_e64 v46, 0, 1, vcc_lo
.LBB366_33:
	s_or_b32 exec_lo, exec_lo, s0
	v_lshlrev_b16 v2, 8, v2
	v_lshlrev_b16 v4, 8, v4
	;; [unrolled: 1-line block ×5, first 2 shown]
	v_or_b32_e32 v1, v1, v2
	v_lshlrev_b16 v2, 8, v12
	v_or_b32_e32 v3, v3, v4
	v_or_b32_e32 v4, v5, v6
	;; [unrolled: 1-line block ×5, first 2 shown]
	v_and_b32_e32 v1, 0xffff, v1
	v_lshlrev_b32_e32 v3, 16, v3
	v_and_b32_e32 v4, 0xffff, v4
	v_lshlrev_b32_e32 v5, 16, v5
	;; [unrolled: 2-line block ×3, first 2 shown]
	v_or_b32_e32 v51, v1, v3
	s_delay_alu instid0(VALU_DEP_4) | instskip(NEXT) | instid1(VALU_DEP_3)
	v_or_b32_e32 v49, v4, v5
	v_or_b32_e32 v47, v6, v2
.LBB366_34:
	s_delay_alu instid0(VALU_DEP_3)
	v_and_b32_e32 v53, 0xff, v51
	v_bfe_u32 v54, v51, 8, 8
	v_bfe_u32 v55, v51, 16, 8
	v_lshrrev_b32_e32 v52, 24, v51
	v_and_b32_e32 v56, 0xff, v49
	v_bfe_u32 v57, v49, 8, 8
	v_bfe_u32 v58, v49, 16, 8
	v_add3_u32 v1, v54, v53, v55
	v_lshrrev_b32_e32 v50, 24, v49
	v_and_b32_e32 v59, 0xff, v47
	v_bfe_u32 v60, v47, 8, 8
	v_mbcnt_lo_u32_b32 v62, -1, 0
	v_add3_u32 v1, v1, v52, v56
	v_bfe_u32 v61, v47, 16, 8
	v_lshrrev_b32_e32 v48, 24, v47
	v_and_b32_e32 v2, 0xff, v46
	v_and_b32_e32 v3, 15, v62
	v_add3_u32 v1, v1, v57, v58
	v_or_b32_e32 v4, 31, v0
	v_and_b32_e32 v5, 16, v62
	v_lshrrev_b32_e32 v63, 5, v0
	v_cmp_eq_u32_e64 s5, 0, v3
	v_add3_u32 v1, v1, v50, v59
	v_cmp_lt_u32_e64 s4, 1, v3
	v_cmp_lt_u32_e64 s3, 3, v3
	v_cmp_lt_u32_e64 s2, 7, v3
	v_cmp_eq_u32_e64 s1, 0, v5
	v_add3_u32 v1, v1, v60, v61
	v_cmp_eq_u32_e64 s0, v0, v4
	s_cmp_lg_u32 ttmp9, 0
	s_mov_b32 s6, -1
	v_add3_u32 v64, v1, v48, v2
	s_cbranch_scc0 .LBB366_55
; %bb.35:
	s_delay_alu instid0(VALU_DEP_1) | instskip(SKIP_1) | instid1(VALU_DEP_1)
	v_mov_b32_dpp v1, v64 row_shr:1 row_mask:0xf bank_mask:0xf
	s_wait_alu 0xf1ff
	v_cndmask_b32_e64 v1, v1, 0, s5
	s_delay_alu instid0(VALU_DEP_1) | instskip(NEXT) | instid1(VALU_DEP_1)
	v_add_nc_u32_e32 v1, v1, v64
	v_mov_b32_dpp v2, v1 row_shr:2 row_mask:0xf bank_mask:0xf
	s_delay_alu instid0(VALU_DEP_1) | instskip(NEXT) | instid1(VALU_DEP_1)
	v_cndmask_b32_e64 v2, 0, v2, s4
	v_add_nc_u32_e32 v1, v1, v2
	s_delay_alu instid0(VALU_DEP_1) | instskip(NEXT) | instid1(VALU_DEP_1)
	v_mov_b32_dpp v2, v1 row_shr:4 row_mask:0xf bank_mask:0xf
	v_cndmask_b32_e64 v2, 0, v2, s3
	s_delay_alu instid0(VALU_DEP_1) | instskip(NEXT) | instid1(VALU_DEP_1)
	v_add_nc_u32_e32 v1, v1, v2
	v_mov_b32_dpp v2, v1 row_shr:8 row_mask:0xf bank_mask:0xf
	s_delay_alu instid0(VALU_DEP_1) | instskip(NEXT) | instid1(VALU_DEP_1)
	v_cndmask_b32_e64 v2, 0, v2, s2
	v_add_nc_u32_e32 v1, v1, v2
	ds_swizzle_b32 v2, v1 offset:swizzle(BROADCAST,32,15)
	s_wait_dscnt 0x0
	v_cndmask_b32_e64 v2, v2, 0, s1
	s_delay_alu instid0(VALU_DEP_1)
	v_add_nc_u32_e32 v1, v1, v2
	s_and_saveexec_b32 s6, s0
; %bb.36:
	v_lshlrev_b32_e32 v2, 2, v63
	ds_store_b32 v2, v1
; %bb.37:
	s_wait_alu 0xfffe
	s_or_b32 exec_lo, exec_lo, s6
	s_delay_alu instid0(SALU_CYCLE_1)
	s_mov_b32 s6, exec_lo
	s_wait_loadcnt_dscnt 0x0
	s_barrier_signal -1
	s_barrier_wait -1
	global_inv scope:SCOPE_SE
	v_cmpx_gt_u32_e32 8, v0
	s_cbranch_execz .LBB366_39
; %bb.38:
	ds_load_b32 v2, v42
	s_wait_dscnt 0x0
	v_mov_b32_dpp v4, v2 row_shr:1 row_mask:0xf bank_mask:0xf
	v_and_b32_e32 v3, 7, v62
	s_delay_alu instid0(VALU_DEP_1) | instskip(SKIP_1) | instid1(VALU_DEP_3)
	v_cmp_ne_u32_e32 vcc_lo, 0, v3
	s_wait_alu 0xfffd
	v_cndmask_b32_e32 v4, 0, v4, vcc_lo
	v_cmp_lt_u32_e32 vcc_lo, 1, v3
	s_delay_alu instid0(VALU_DEP_2) | instskip(NEXT) | instid1(VALU_DEP_1)
	v_add_nc_u32_e32 v2, v4, v2
	v_mov_b32_dpp v4, v2 row_shr:2 row_mask:0xf bank_mask:0xf
	s_wait_alu 0xfffd
	s_delay_alu instid0(VALU_DEP_1) | instskip(SKIP_1) | instid1(VALU_DEP_2)
	v_cndmask_b32_e32 v4, 0, v4, vcc_lo
	v_cmp_lt_u32_e32 vcc_lo, 3, v3
	v_add_nc_u32_e32 v2, v2, v4
	s_delay_alu instid0(VALU_DEP_1) | instskip(SKIP_1) | instid1(VALU_DEP_1)
	v_mov_b32_dpp v4, v2 row_shr:4 row_mask:0xf bank_mask:0xf
	s_wait_alu 0xfffd
	v_cndmask_b32_e32 v3, 0, v4, vcc_lo
	s_delay_alu instid0(VALU_DEP_1)
	v_add_nc_u32_e32 v2, v2, v3
	ds_store_b32 v42, v2
.LBB366_39:
	s_wait_alu 0xfffe
	s_or_b32 exec_lo, exec_lo, s6
	s_delay_alu instid0(SALU_CYCLE_1)
	s_mov_b32 s7, exec_lo
	v_cmp_gt_u32_e32 vcc_lo, 32, v0
	s_wait_loadcnt_dscnt 0x0
	s_barrier_signal -1
	s_barrier_wait -1
	global_inv scope:SCOPE_SE
                                        ; implicit-def: $vgpr9
	v_cmpx_lt_u32_e32 31, v0
	s_cbranch_execz .LBB366_41
; %bb.40:
	v_lshl_add_u32 v2, v63, 2, -4
	ds_load_b32 v9, v2
	s_wait_dscnt 0x0
	v_add_nc_u32_e32 v1, v9, v1
.LBB366_41:
	s_wait_alu 0xfffe
	s_or_b32 exec_lo, exec_lo, s7
	v_sub_co_u32 v2, s6, v62, 1
	s_delay_alu instid0(VALU_DEP_1) | instskip(SKIP_1) | instid1(VALU_DEP_1)
	v_cmp_gt_i32_e64 s7, 0, v2
	s_wait_alu 0xf1ff
	v_cndmask_b32_e64 v2, v2, v62, s7
	s_delay_alu instid0(VALU_DEP_1)
	v_lshlrev_b32_e32 v2, 2, v2
	ds_bpermute_b32 v10, v2, v1
	s_and_saveexec_b32 s7, vcc_lo
	s_cbranch_execz .LBB366_60
; %bb.42:
	v_mov_b32_e32 v5, 0
	ds_load_b32 v1, v5 offset:28
	s_and_saveexec_b32 s17, s6
	s_cbranch_execz .LBB366_44
; %bb.43:
	s_add_co_i32 s24, ttmp9, 32
	s_mov_b32 s25, 0
	v_mov_b32_e32 v2, 1
	s_lshl_b64 s[24:25], s[24:25], 3
	s_wait_kmcnt 0x0
	s_add_nc_u64 s[24:25], s[20:21], s[24:25]
	s_wait_dscnt 0x0
	global_store_b64 v5, v[1:2], s[24:25] scope:SCOPE_DEV
.LBB366_44:
	s_or_b32 exec_lo, exec_lo, s17
	v_xad_u32 v3, v62, -1, ttmp9
	s_mov_b32 s24, 0
	s_mov_b32 s17, exec_lo
	s_delay_alu instid0(VALU_DEP_1) | instskip(NEXT) | instid1(VALU_DEP_1)
	v_add_nc_u32_e32 v4, 32, v3
	v_lshlrev_b64_e32 v[4:5], 3, v[4:5]
	s_wait_kmcnt 0x0
	s_delay_alu instid0(VALU_DEP_1) | instskip(SKIP_1) | instid1(VALU_DEP_2)
	v_add_co_u32 v7, vcc_lo, s20, v4
	s_wait_alu 0xfffd
	v_add_co_ci_u32_e64 v8, null, s21, v5, vcc_lo
	global_load_b64 v[5:6], v[7:8], off scope:SCOPE_DEV
	s_wait_loadcnt 0x0
	v_and_b32_e32 v2, 0xff, v6
	s_delay_alu instid0(VALU_DEP_1)
	v_cmpx_eq_u16_e32 0, v2
	s_cbranch_execz .LBB366_47
.LBB366_45:                             ; =>This Inner Loop Header: Depth=1
	global_load_b64 v[5:6], v[7:8], off scope:SCOPE_DEV
	s_wait_loadcnt 0x0
	v_and_b32_e32 v2, 0xff, v6
	s_delay_alu instid0(VALU_DEP_1) | instskip(SKIP_1) | instid1(SALU_CYCLE_1)
	v_cmp_ne_u16_e32 vcc_lo, 0, v2
	s_or_b32 s24, vcc_lo, s24
	s_and_not1_b32 exec_lo, exec_lo, s24
	s_cbranch_execnz .LBB366_45
; %bb.46:
	s_or_b32 exec_lo, exec_lo, s24
.LBB366_47:
	s_delay_alu instid0(SALU_CYCLE_1)
	s_or_b32 exec_lo, exec_lo, s17
	v_cmp_ne_u32_e32 vcc_lo, 31, v62
	v_lshlrev_b32_e64 v12, v62, -1
	v_add_nc_u32_e32 v14, 2, v62
	v_add_nc_u32_e32 v16, 4, v62
	;; [unrolled: 1-line block ×3, first 2 shown]
	s_wait_alu 0xfffd
	v_add_co_ci_u32_e64 v2, null, 0, v62, vcc_lo
	v_lshl_or_b32 v66, v62, 2, 64
	v_add_nc_u32_e32 v67, 16, v62
	s_delay_alu instid0(VALU_DEP_3)
	v_lshlrev_b32_e32 v11, 2, v2
	v_and_b32_e32 v2, 0xff, v6
	ds_bpermute_b32 v4, v11, v5
	v_cmp_eq_u16_e32 vcc_lo, 2, v2
	s_wait_alu 0xfffd
	v_and_or_b32 v2, vcc_lo, v12, 0x80000000
	v_cmp_gt_u32_e32 vcc_lo, 30, v62
	s_delay_alu instid0(VALU_DEP_2) | instskip(SKIP_2) | instid1(VALU_DEP_2)
	v_ctz_i32_b32_e32 v2, v2
	s_wait_alu 0xfffd
	v_cndmask_b32_e64 v7, 0, 2, vcc_lo
	v_cmp_lt_u32_e32 vcc_lo, v62, v2
	s_delay_alu instid0(VALU_DEP_2) | instskip(SKIP_4) | instid1(VALU_DEP_2)
	v_add_lshl_u32 v13, v7, v62, 2
	s_wait_dscnt 0x0
	s_wait_alu 0xfffd
	v_cndmask_b32_e32 v4, 0, v4, vcc_lo
	v_cmp_gt_u32_e32 vcc_lo, 28, v62
	v_add_nc_u32_e32 v4, v4, v5
	s_wait_alu 0xfffd
	v_cndmask_b32_e64 v7, 0, 4, vcc_lo
	v_cmp_le_u32_e32 vcc_lo, v14, v2
	ds_bpermute_b32 v5, v13, v4
	v_add_lshl_u32 v15, v7, v62, 2
	s_wait_dscnt 0x0
	s_wait_alu 0xfffd
	v_cndmask_b32_e32 v5, 0, v5, vcc_lo
	v_cmp_gt_u32_e32 vcc_lo, 24, v62
	s_delay_alu instid0(VALU_DEP_2)
	v_add_nc_u32_e32 v4, v4, v5
	s_wait_alu 0xfffd
	v_cndmask_b32_e64 v7, 0, 8, vcc_lo
	v_cmp_le_u32_e32 vcc_lo, v16, v2
	ds_bpermute_b32 v5, v15, v4
	v_add_lshl_u32 v17, v7, v62, 2
	s_wait_dscnt 0x0
	s_wait_alu 0xfffd
	v_cndmask_b32_e32 v5, 0, v5, vcc_lo
	v_cmp_le_u32_e32 vcc_lo, v65, v2
	s_delay_alu instid0(VALU_DEP_2)
	v_add_nc_u32_e32 v4, v4, v5
	ds_bpermute_b32 v5, v17, v4
	s_wait_dscnt 0x0
	s_wait_alu 0xfffd
	v_cndmask_b32_e32 v5, 0, v5, vcc_lo
	v_cmp_le_u32_e32 vcc_lo, v67, v2
	s_delay_alu instid0(VALU_DEP_2) | instskip(SKIP_4) | instid1(VALU_DEP_1)
	v_add_nc_u32_e32 v4, v4, v5
	ds_bpermute_b32 v5, v66, v4
	s_wait_dscnt 0x0
	s_wait_alu 0xfffd
	v_cndmask_b32_e32 v2, 0, v5, vcc_lo
	v_dual_mov_b32 v4, 0 :: v_dual_add_nc_u32 v5, v4, v2
	s_branch .LBB366_51
.LBB366_48:                             ;   in Loop: Header=BB366_51 Depth=1
	s_or_b32 exec_lo, exec_lo, s24
.LBB366_49:                             ;   in Loop: Header=BB366_51 Depth=1
	s_delay_alu instid0(SALU_CYCLE_1) | instskip(SKIP_4) | instid1(VALU_DEP_2)
	s_or_b32 exec_lo, exec_lo, s17
	ds_bpermute_b32 v8, v11, v5
	v_and_b32_e32 v7, 0xff, v6
	v_subrev_nc_u32_e32 v3, 32, v3
	s_mov_b32 s17, 0
	v_cmp_eq_u16_e32 vcc_lo, 2, v7
	s_wait_alu 0xfffd
	v_and_or_b32 v7, vcc_lo, v12, 0x80000000
	s_delay_alu instid0(VALU_DEP_1) | instskip(NEXT) | instid1(VALU_DEP_1)
	v_ctz_i32_b32_e32 v7, v7
	v_cmp_lt_u32_e32 vcc_lo, v62, v7
	s_wait_dscnt 0x0
	s_wait_alu 0xfffd
	v_cndmask_b32_e32 v8, 0, v8, vcc_lo
	v_cmp_le_u32_e32 vcc_lo, v14, v7
	s_delay_alu instid0(VALU_DEP_2)
	v_add_nc_u32_e32 v5, v8, v5
	ds_bpermute_b32 v8, v13, v5
	s_wait_dscnt 0x0
	s_wait_alu 0xfffd
	v_cndmask_b32_e32 v8, 0, v8, vcc_lo
	v_cmp_le_u32_e32 vcc_lo, v16, v7
	s_delay_alu instid0(VALU_DEP_2)
	v_add_nc_u32_e32 v5, v5, v8
	ds_bpermute_b32 v8, v15, v5
	;; [unrolled: 7-line block ×3, first 2 shown]
	s_wait_dscnt 0x0
	s_wait_alu 0xfffd
	v_cndmask_b32_e32 v8, 0, v8, vcc_lo
	v_cmp_le_u32_e32 vcc_lo, v67, v7
	s_delay_alu instid0(VALU_DEP_2) | instskip(SKIP_4) | instid1(VALU_DEP_1)
	v_add_nc_u32_e32 v5, v5, v8
	ds_bpermute_b32 v8, v66, v5
	s_wait_dscnt 0x0
	s_wait_alu 0xfffd
	v_cndmask_b32_e32 v7, 0, v8, vcc_lo
	v_add3_u32 v5, v7, v2, v5
.LBB366_50:                             ;   in Loop: Header=BB366_51 Depth=1
	s_and_b32 vcc_lo, exec_lo, s17
	s_wait_alu 0xfffe
	s_cbranch_vccnz .LBB366_56
.LBB366_51:                             ; =>This Loop Header: Depth=1
                                        ;     Child Loop BB366_54 Depth 2
	v_and_b32_e32 v2, 0xff, v6
	s_mov_b32 s17, -1
                                        ; implicit-def: $vgpr6
	s_delay_alu instid0(VALU_DEP_1)
	v_cmp_ne_u16_e32 vcc_lo, 2, v2
	v_mov_b32_e32 v2, v5
                                        ; implicit-def: $vgpr5
	s_cmp_lg_u32 vcc_lo, exec_lo
	s_cbranch_scc1 .LBB366_50
; %bb.52:                               ;   in Loop: Header=BB366_51 Depth=1
	v_lshlrev_b64_e32 v[5:6], 3, v[3:4]
	s_mov_b32 s17, exec_lo
	s_delay_alu instid0(VALU_DEP_1) | instskip(SKIP_1) | instid1(VALU_DEP_2)
	v_add_co_u32 v7, vcc_lo, s20, v5
	s_wait_alu 0xfffd
	v_add_co_ci_u32_e64 v8, null, s21, v6, vcc_lo
	global_load_b64 v[5:6], v[7:8], off scope:SCOPE_DEV
	s_wait_loadcnt 0x0
	v_and_b32_e32 v68, 0xff, v6
	s_delay_alu instid0(VALU_DEP_1)
	v_cmpx_eq_u16_e32 0, v68
	s_cbranch_execz .LBB366_49
; %bb.53:                               ;   in Loop: Header=BB366_51 Depth=1
	s_mov_b32 s24, 0
.LBB366_54:                             ;   Parent Loop BB366_51 Depth=1
                                        ; =>  This Inner Loop Header: Depth=2
	global_load_b64 v[5:6], v[7:8], off scope:SCOPE_DEV
	s_wait_loadcnt 0x0
	v_and_b32_e32 v68, 0xff, v6
	s_delay_alu instid0(VALU_DEP_1) | instskip(SKIP_1) | instid1(SALU_CYCLE_1)
	v_cmp_ne_u16_e32 vcc_lo, 0, v68
	s_or_b32 s24, vcc_lo, s24
	s_and_not1_b32 exec_lo, exec_lo, s24
	s_cbranch_execnz .LBB366_54
	s_branch .LBB366_48
.LBB366_55:
                                        ; implicit-def: $vgpr17
                                        ; implicit-def: $vgpr1_vgpr2_vgpr3_vgpr4_vgpr5_vgpr6_vgpr7_vgpr8_vgpr9_vgpr10_vgpr11_vgpr12_vgpr13_vgpr14_vgpr15_vgpr16
	s_wait_alu 0xfffe
	s_and_b32 vcc_lo, exec_lo, s6
	s_wait_alu 0xfffe
	s_cbranch_vccnz .LBB366_61
	s_branch .LBB366_70
.LBB366_56:
	s_and_saveexec_b32 s17, s6
	s_cbranch_execz .LBB366_58
; %bb.57:
	s_add_co_i32 s24, ttmp9, 32
	s_mov_b32 s25, 0
	v_dual_mov_b32 v4, 2 :: v_dual_add_nc_u32 v3, v2, v1
	v_mov_b32_e32 v5, 0
	s_lshl_b64 s[24:25], s[24:25], 3
	s_delay_alu instid0(SALU_CYCLE_1)
	s_add_nc_u64 s[24:25], s[20:21], s[24:25]
	global_store_b64 v5, v[3:4], s[24:25] scope:SCOPE_DEV
	ds_store_b64 v5, v[1:2] offset:13312
.LBB366_58:
	s_or_b32 exec_lo, exec_lo, s17
	v_cmp_eq_u32_e32 vcc_lo, 0, v0
	s_and_b32 exec_lo, exec_lo, vcc_lo
; %bb.59:
	v_mov_b32_e32 v1, 0
	ds_store_b32 v1, v2 offset:28
.LBB366_60:
	s_wait_alu 0xfffe
	s_or_b32 exec_lo, exec_lo, s7
	s_wait_dscnt 0x0
	v_cndmask_b32_e64 v2, v10, v9, s6
	v_cmp_ne_u32_e32 vcc_lo, 0, v0
	v_mov_b32_e32 v11, 0
	s_wait_loadcnt 0x0
	s_wait_storecnt 0x0
	s_barrier_signal -1
	s_barrier_wait -1
	global_inv scope:SCOPE_SE
	s_wait_alu 0xfffd
	v_cndmask_b32_e32 v2, 0, v2, vcc_lo
	ds_load_b32 v1, v11 offset:28
	s_wait_loadcnt_dscnt 0x0
	s_barrier_signal -1
	s_barrier_wait -1
	global_inv scope:SCOPE_SE
	ds_load_b64 v[16:17], v11 offset:13312
	v_add_nc_u32_e32 v1, v1, v2
	s_delay_alu instid0(VALU_DEP_1) | instskip(NEXT) | instid1(VALU_DEP_1)
	v_add_nc_u32_e32 v2, v1, v53
	v_add_nc_u32_e32 v3, v2, v54
	s_delay_alu instid0(VALU_DEP_1) | instskip(NEXT) | instid1(VALU_DEP_1)
	v_add_nc_u32_e32 v4, v3, v55
	;; [unrolled: 3-line block ×6, first 2 shown]
	v_add_nc_u32_e32 v13, v12, v48
	s_branch .LBB366_70
.LBB366_61:
	v_mov_b32_dpp v1, v64 row_shr:1 row_mask:0xf bank_mask:0xf
	s_delay_alu instid0(VALU_DEP_1) | instskip(NEXT) | instid1(VALU_DEP_1)
	v_cndmask_b32_e64 v1, v1, 0, s5
	v_add_nc_u32_e32 v1, v1, v64
	s_delay_alu instid0(VALU_DEP_1) | instskip(NEXT) | instid1(VALU_DEP_1)
	v_mov_b32_dpp v2, v1 row_shr:2 row_mask:0xf bank_mask:0xf
	v_cndmask_b32_e64 v2, 0, v2, s4
	s_delay_alu instid0(VALU_DEP_1) | instskip(NEXT) | instid1(VALU_DEP_1)
	v_add_nc_u32_e32 v1, v1, v2
	v_mov_b32_dpp v2, v1 row_shr:4 row_mask:0xf bank_mask:0xf
	s_delay_alu instid0(VALU_DEP_1) | instskip(NEXT) | instid1(VALU_DEP_1)
	v_cndmask_b32_e64 v2, 0, v2, s3
	v_add_nc_u32_e32 v1, v1, v2
	s_delay_alu instid0(VALU_DEP_1) | instskip(NEXT) | instid1(VALU_DEP_1)
	v_mov_b32_dpp v2, v1 row_shr:8 row_mask:0xf bank_mask:0xf
	v_cndmask_b32_e64 v2, 0, v2, s2
	s_delay_alu instid0(VALU_DEP_1) | instskip(SKIP_3) | instid1(VALU_DEP_1)
	v_add_nc_u32_e32 v1, v1, v2
	ds_swizzle_b32 v2, v1 offset:swizzle(BROADCAST,32,15)
	s_wait_dscnt 0x0
	v_cndmask_b32_e64 v2, v2, 0, s1
	v_add_nc_u32_e32 v1, v1, v2
	s_and_saveexec_b32 s1, s0
; %bb.62:
	v_lshlrev_b32_e32 v2, 2, v63
	ds_store_b32 v2, v1
; %bb.63:
	s_wait_alu 0xfffe
	s_or_b32 exec_lo, exec_lo, s1
	s_delay_alu instid0(SALU_CYCLE_1)
	s_mov_b32 s0, exec_lo
	s_wait_loadcnt_dscnt 0x0
	s_barrier_signal -1
	s_barrier_wait -1
	global_inv scope:SCOPE_SE
	v_cmpx_gt_u32_e32 8, v0
	s_cbranch_execz .LBB366_65
; %bb.64:
	ds_load_b32 v2, v42
	s_wait_dscnt 0x0
	v_mov_b32_dpp v4, v2 row_shr:1 row_mask:0xf bank_mask:0xf
	v_and_b32_e32 v3, 7, v62
	s_delay_alu instid0(VALU_DEP_1) | instskip(SKIP_1) | instid1(VALU_DEP_3)
	v_cmp_ne_u32_e32 vcc_lo, 0, v3
	s_wait_alu 0xfffd
	v_cndmask_b32_e32 v4, 0, v4, vcc_lo
	v_cmp_lt_u32_e32 vcc_lo, 1, v3
	s_delay_alu instid0(VALU_DEP_2) | instskip(NEXT) | instid1(VALU_DEP_1)
	v_add_nc_u32_e32 v2, v4, v2
	v_mov_b32_dpp v4, v2 row_shr:2 row_mask:0xf bank_mask:0xf
	s_wait_alu 0xfffd
	s_delay_alu instid0(VALU_DEP_1) | instskip(SKIP_1) | instid1(VALU_DEP_2)
	v_cndmask_b32_e32 v4, 0, v4, vcc_lo
	v_cmp_lt_u32_e32 vcc_lo, 3, v3
	v_add_nc_u32_e32 v2, v2, v4
	s_delay_alu instid0(VALU_DEP_1) | instskip(SKIP_1) | instid1(VALU_DEP_1)
	v_mov_b32_dpp v4, v2 row_shr:4 row_mask:0xf bank_mask:0xf
	s_wait_alu 0xfffd
	v_cndmask_b32_e32 v3, 0, v4, vcc_lo
	s_delay_alu instid0(VALU_DEP_1)
	v_add_nc_u32_e32 v2, v2, v3
	ds_store_b32 v42, v2
.LBB366_65:
	s_wait_alu 0xfffe
	s_or_b32 exec_lo, exec_lo, s0
	v_dual_mov_b32 v3, 0 :: v_dual_mov_b32 v2, 0
	s_mov_b32 s0, exec_lo
	s_wait_loadcnt_dscnt 0x0
	s_barrier_signal -1
	s_barrier_wait -1
	global_inv scope:SCOPE_SE
	v_cmpx_lt_u32_e32 31, v0
; %bb.66:
	v_lshl_add_u32 v2, v63, 2, -4
	ds_load_b32 v2, v2
; %bb.67:
	s_wait_alu 0xfffe
	s_or_b32 exec_lo, exec_lo, s0
	v_sub_co_u32 v4, vcc_lo, v62, 1
	s_wait_dscnt 0x0
	v_add_nc_u32_e32 v1, v2, v1
	ds_load_b32 v16, v3 offset:28
	v_cmp_gt_i32_e64 s0, 0, v4
	s_wait_alu 0xf1ff
	s_delay_alu instid0(VALU_DEP_1) | instskip(SKIP_1) | instid1(VALU_DEP_2)
	v_cndmask_b32_e64 v4, v4, v62, s0
	v_cmp_eq_u32_e64 s0, 0, v0
	v_lshlrev_b32_e32 v4, 2, v4
	ds_bpermute_b32 v1, v4, v1
	s_and_saveexec_b32 s1, s0
	s_cbranch_execz .LBB366_69
; %bb.68:
	v_mov_b32_e32 v3, 0
	v_mov_b32_e32 v17, 2
	s_wait_dscnt 0x1
	s_wait_kmcnt 0x0
	global_store_b64 v3, v[16:17], s[20:21] offset:256 scope:SCOPE_DEV
.LBB366_69:
	s_wait_alu 0xfffe
	s_or_b32 exec_lo, exec_lo, s1
	s_wait_dscnt 0x0
	s_wait_alu 0xfffd
	v_cndmask_b32_e32 v1, v1, v2, vcc_lo
	s_wait_loadcnt 0x0
	s_wait_storecnt 0x0
	s_barrier_signal -1
	s_barrier_wait -1
	global_inv scope:SCOPE_SE
	v_cndmask_b32_e64 v1, v1, 0, s0
	s_delay_alu instid0(VALU_DEP_1) | instskip(NEXT) | instid1(VALU_DEP_1)
	v_dual_mov_b32 v17, 0 :: v_dual_add_nc_u32 v2, v1, v53
	v_add_nc_u32_e32 v3, v2, v54
	s_delay_alu instid0(VALU_DEP_1) | instskip(NEXT) | instid1(VALU_DEP_1)
	v_add_nc_u32_e32 v4, v3, v55
	v_add_nc_u32_e32 v5, v4, v52
	s_delay_alu instid0(VALU_DEP_1) | instskip(NEXT) | instid1(VALU_DEP_1)
	v_add_nc_u32_e32 v6, v5, v56
	v_add_nc_u32_e32 v7, v6, v57
	s_delay_alu instid0(VALU_DEP_1) | instskip(NEXT) | instid1(VALU_DEP_1)
	v_add_nc_u32_e32 v8, v7, v58
	v_add_nc_u32_e32 v9, v8, v50
	s_delay_alu instid0(VALU_DEP_1) | instskip(NEXT) | instid1(VALU_DEP_1)
	v_add_nc_u32_e32 v10, v9, v59
	v_add_nc_u32_e32 v11, v10, v60
	s_delay_alu instid0(VALU_DEP_1) | instskip(NEXT) | instid1(VALU_DEP_1)
	v_add_nc_u32_e32 v12, v11, v61
	v_add_nc_u32_e32 v13, v12, v48
.LBB366_70:
	v_lshrrev_b32_e32 v56, 8, v51
	v_lshrrev_b32_e32 v55, 16, v51
	s_wait_dscnt 0x0
	v_sub_nc_u32_e32 v1, v1, v17
	v_and_b32_e32 v51, 1, v51
	v_sub_nc_u32_e32 v3, v3, v17
	v_add_nc_u32_e32 v45, v16, v45
	v_sub_nc_u32_e32 v2, v2, v17
	v_sub_nc_u32_e32 v4, v4, v17
	v_cmp_eq_u32_e32 vcc_lo, 1, v51
	v_and_b32_e32 v51, 1, v55
	v_sub_nc_u32_e32 v57, v45, v1
	v_and_b32_e32 v56, 1, v56
	v_sub_nc_u32_e32 v55, v45, v2
	v_lshrrev_b32_e32 v54, 8, v49
	v_lshrrev_b32_e32 v53, 16, v49
	s_wait_alu 0xfffd
	v_cndmask_b32_e32 v1, v57, v1, vcc_lo
	v_sub_nc_u32_e32 v57, v45, v3
	v_add_nc_u32_e32 v55, 1, v55
	v_cmp_eq_u32_e32 vcc_lo, 1, v56
	v_and_b32_e32 v52, 1, v52
	v_lshlrev_b32_e32 v1, 2, v1
	v_add_nc_u32_e32 v57, 2, v57
	v_lshrrev_b32_e32 v15, 8, v47
	v_lshrrev_b32_e32 v14, 16, v47
	ds_store_b32 v1, v28
	s_wait_alu 0xfffd
	v_cndmask_b32_e32 v1, v55, v2, vcc_lo
	v_cmp_eq_u32_e32 vcc_lo, 1, v51
	s_wait_alu 0xfffd
	s_delay_alu instid0(VALU_DEP_2)
	v_dual_cndmask_b32 v2, v57, v3 :: v_dual_lshlrev_b32 v1, 2, v1
	v_sub_nc_u32_e32 v58, v45, v4
	v_cmp_eq_u32_e32 vcc_lo, 1, v52
	ds_store_b32 v1, v29
	v_lshlrev_b32_e32 v2, 2, v2
	v_add_nc_u32_e32 v58, 3, v58
	s_wait_alu 0xfffd
	s_delay_alu instid0(VALU_DEP_1) | instskip(SKIP_2) | instid1(VALU_DEP_3)
	v_cndmask_b32_e32 v3, v58, v4, vcc_lo
	v_sub_nc_u32_e32 v4, v5, v17
	v_sub_nc_u32_e32 v5, v6, v17
	v_lshlrev_b32_e32 v3, 2, v3
	s_delay_alu instid0(VALU_DEP_3) | instskip(NEXT) | instid1(VALU_DEP_3)
	v_sub_nc_u32_e32 v1, v45, v4
	v_sub_nc_u32_e32 v6, v45, v5
	ds_store_b32 v2, v26
	ds_store_b32 v3, v27
	v_and_b32_e32 v2, 1, v49
	v_add_nc_u32_e32 v1, 4, v1
	v_add_nc_u32_e32 v3, 5, v6
	v_sub_nc_u32_e32 v6, v7, v17
	v_and_b32_e32 v7, 1, v54
	v_cmp_eq_u32_e32 vcc_lo, 1, v2
	v_sub_nc_u32_e32 v2, v8, v17
	s_wait_alu 0xfffd
	v_dual_cndmask_b32 v1, v1, v4 :: v_dual_and_b32 v8, 1, v50
	v_sub_nc_u32_e32 v4, v45, v6
	v_cmp_eq_u32_e32 vcc_lo, 1, v7
	v_and_b32_e32 v7, 1, v53
	s_delay_alu instid0(VALU_DEP_4)
	v_lshlrev_b32_e32 v1, 2, v1
	s_wait_alu 0xfffd
	v_dual_cndmask_b32 v3, v3, v5 :: v_dual_add_nc_u32 v4, 6, v4
	v_sub_nc_u32_e32 v5, v45, v2
	v_cmp_eq_u32_e32 vcc_lo, 1, v7
	v_sub_nc_u32_e32 v7, v13, v17
	s_delay_alu instid0(VALU_DEP_4)
	v_lshlrev_b32_e32 v3, 2, v3
	s_wait_alu 0xfffd
	v_dual_cndmask_b32 v4, v4, v6 :: v_dual_add_nc_u32 v5, 7, v5
	v_cmp_eq_u32_e32 vcc_lo, 1, v8
	v_sub_nc_u32_e32 v6, v9, v17
	ds_store_b32 v1, v24
	ds_store_b32 v3, v25
	s_wait_alu 0xfffd
	v_dual_cndmask_b32 v2, v5, v2 :: v_dual_lshlrev_b32 v3, 2, v4
	v_and_b32_e32 v5, 1, v47
	v_sub_nc_u32_e32 v1, v45, v6
	v_sub_nc_u32_e32 v4, v10, v17
	v_and_b32_e32 v10, 1, v48
	s_delay_alu instid0(VALU_DEP_4) | instskip(SKIP_2) | instid1(VALU_DEP_2)
	v_cmp_eq_u32_e32 vcc_lo, 1, v5
	v_sub_nc_u32_e32 v5, v12, v17
	v_add_nc_u32_e32 v1, 8, v1
	v_sub_nc_u32_e32 v9, v45, v5
	s_wait_alu 0xfffd
	s_delay_alu instid0(VALU_DEP_2)
	v_dual_cndmask_b32 v1, v1, v6 :: v_dual_and_b32 v6, 1, v15
	s_wait_kmcnt 0x0
	v_add_co_u32 v15, s0, s18, v17
	v_add_nc_u32_e32 v9, 11, v9
	v_lshlrev_b32_e32 v2, 2, v2
	ds_store_b32 v3, v22
	ds_store_b32 v2, v23
	v_sub_nc_u32_e32 v3, v11, v17
	v_sub_nc_u32_e32 v2, v45, v4
	v_cmp_eq_u32_e32 vcc_lo, 1, v6
	v_and_b32_e32 v11, 1, v46
	v_lshlrev_b32_e32 v1, 2, v1
	v_sub_nc_u32_e32 v8, v45, v3
	v_add_nc_u32_e32 v2, 9, v2
	s_wait_alu 0xf1ff
	v_add_co_ci_u32_e64 v17, null, s19, 0, s0
	s_delay_alu instid0(VALU_DEP_3) | instskip(SKIP_4) | instid1(VALU_DEP_3)
	v_add_nc_u32_e32 v6, 10, v8
	v_and_b32_e32 v8, 1, v14
	s_wait_alu 0xfffd
	v_cndmask_b32_e32 v2, v2, v4, vcc_lo
	v_sub_nc_u32_e32 v4, v45, v7
	v_cmp_eq_u32_e32 vcc_lo, 1, v8
	s_delay_alu instid0(VALU_DEP_3) | instskip(SKIP_1) | instid1(VALU_DEP_3)
	v_lshlrev_b32_e32 v2, 2, v2
	s_wait_alu 0xfffd
	v_dual_cndmask_b32 v3, v6, v3 :: v_dual_add_nc_u32 v4, 12, v4
	v_cmp_eq_u32_e32 vcc_lo, 1, v10
	s_delay_alu instid0(VALU_DEP_2) | instskip(SKIP_4) | instid1(VALU_DEP_2)
	v_lshlrev_b32_e32 v3, 2, v3
	s_wait_alu 0xfffd
	v_cndmask_b32_e32 v5, v9, v5, vcc_lo
	v_cmp_eq_u32_e32 vcc_lo, 1, v11
	s_wait_alu 0xfffd
	v_dual_cndmask_b32 v4, v4, v7 :: v_dual_lshlrev_b32 v5, 2, v5
	v_cmp_ne_u32_e32 vcc_lo, 1, v43
	s_delay_alu instid0(VALU_DEP_2)
	v_lshlrev_b32_e32 v4, 2, v4
	ds_store_b32 v1, v20
	ds_store_b32 v2, v21
	;; [unrolled: 1-line block ×5, first 2 shown]
	s_wait_loadcnt_dscnt 0x0
	s_barrier_signal -1
	s_barrier_wait -1
	global_inv scope:SCOPE_SE
	ds_load_2addr_stride64_b32 v[11:12], v42 offset1:4
	ds_load_2addr_stride64_b32 v[9:10], v42 offset0:8 offset1:12
	ds_load_2addr_stride64_b32 v[7:8], v42 offset0:16 offset1:20
	;; [unrolled: 1-line block ×5, first 2 shown]
	ds_load_b32 v18, v42 offset:12288
	s_cbranch_vccnz .LBB366_124
; %bb.71:
	s_mov_b32 s17, 0
	v_sub_co_u32 v13, vcc_lo, v15, s12
	s_sub_nc_u64 s[0:1], s[14:15], s[16:17]
	s_wait_alu 0xfffd
	v_subrev_co_ci_u32_e64 v14, null, s13, v17, vcc_lo
	s_wait_alu 0xfffe
	v_add_co_u32 v19, s0, s0, v16
	s_wait_alu 0xf1ff
	v_add_co_ci_u32_e64 v20, null, s1, 0, s0
	s_mov_b32 s0, exec_lo
	v_add_co_u32 v19, vcc_lo, v19, v13
	s_wait_alu 0xfffd
	v_add_co_ci_u32_e64 v20, null, v20, v14, vcc_lo
                                        ; implicit-def: $vgpr13_vgpr14
	v_cmpx_ge_u32_e64 v0, v16
	s_wait_alu 0xfffe
	s_xor_b32 s0, exec_lo, s0
; %bb.72:
	v_not_b32_e32 v13, v0
	s_delay_alu instid0(VALU_DEP_1) | instskip(SKIP_2) | instid1(VALU_DEP_2)
	v_ashrrev_i32_e32 v14, 31, v13
	v_add_co_u32 v13, vcc_lo, v19, v13
	s_wait_alu 0xfffd
	v_add_co_ci_u32_e64 v14, null, v20, v14, vcc_lo
; %bb.73:
	s_wait_alu 0xfffe
	s_and_not1_saveexec_b32 s0, s0
; %bb.74:
	v_add_co_u32 v13, vcc_lo, v15, v0
	s_wait_alu 0xfffd
	v_add_co_ci_u32_e64 v14, null, 0, v17, vcc_lo
; %bb.75:
	s_wait_alu 0xfffe
	s_or_b32 exec_lo, exec_lo, s0
	s_delay_alu instid0(VALU_DEP_1) | instskip(SKIP_1) | instid1(VALU_DEP_1)
	v_lshlrev_b64_e32 v[13:14], 2, v[13:14]
	s_mov_b32 s0, exec_lo
	v_add_co_u32 v13, vcc_lo, s10, v13
	s_wait_alu 0xfffd
	s_delay_alu instid0(VALU_DEP_2)
	v_add_co_ci_u32_e64 v14, null, s11, v14, vcc_lo
	s_wait_dscnt 0x6
	global_store_b32 v[13:14], v11, off
                                        ; implicit-def: $vgpr13_vgpr14
	v_cmpx_ge_u32_e64 v41, v16
	s_wait_alu 0xfffe
	s_xor_b32 s0, exec_lo, s0
; %bb.76:
	v_xor_b32_e32 v13, 0xfffffeff, v0
	s_delay_alu instid0(VALU_DEP_1) | instskip(SKIP_2) | instid1(VALU_DEP_2)
	v_ashrrev_i32_e32 v14, 31, v13
	v_add_co_u32 v13, vcc_lo, v19, v13
	s_wait_alu 0xfffd
	v_add_co_ci_u32_e64 v14, null, v20, v14, vcc_lo
; %bb.77:
	s_wait_alu 0xfffe
	s_and_not1_saveexec_b32 s0, s0
; %bb.78:
	v_add_co_u32 v13, vcc_lo, v15, v41
	s_wait_alu 0xfffd
	v_add_co_ci_u32_e64 v14, null, 0, v17, vcc_lo
; %bb.79:
	s_wait_alu 0xfffe
	s_or_b32 exec_lo, exec_lo, s0
	s_delay_alu instid0(VALU_DEP_1) | instskip(SKIP_1) | instid1(VALU_DEP_1)
	v_lshlrev_b64_e32 v[13:14], 2, v[13:14]
	s_mov_b32 s0, exec_lo
	v_add_co_u32 v13, vcc_lo, s10, v13
	s_wait_alu 0xfffd
	s_delay_alu instid0(VALU_DEP_2)
	v_add_co_ci_u32_e64 v14, null, s11, v14, vcc_lo
	global_store_b32 v[13:14], v12, off
                                        ; implicit-def: $vgpr13_vgpr14
	v_cmpx_ge_u32_e64 v40, v16
	s_wait_alu 0xfffe
	s_xor_b32 s0, exec_lo, s0
; %bb.80:
	v_xor_b32_e32 v13, 0xfffffdff, v0
	s_delay_alu instid0(VALU_DEP_1) | instskip(SKIP_2) | instid1(VALU_DEP_2)
	v_ashrrev_i32_e32 v14, 31, v13
	v_add_co_u32 v13, vcc_lo, v19, v13
	s_wait_alu 0xfffd
	v_add_co_ci_u32_e64 v14, null, v20, v14, vcc_lo
; %bb.81:
	s_wait_alu 0xfffe
	s_and_not1_saveexec_b32 s0, s0
; %bb.82:
	v_add_co_u32 v13, vcc_lo, v15, v40
	s_wait_alu 0xfffd
	v_add_co_ci_u32_e64 v14, null, 0, v17, vcc_lo
; %bb.83:
	s_wait_alu 0xfffe
	s_or_b32 exec_lo, exec_lo, s0
	s_delay_alu instid0(VALU_DEP_1) | instskip(SKIP_1) | instid1(VALU_DEP_1)
	v_lshlrev_b64_e32 v[13:14], 2, v[13:14]
	s_mov_b32 s0, exec_lo
	v_add_co_u32 v13, vcc_lo, s10, v13
	s_wait_alu 0xfffd
	s_delay_alu instid0(VALU_DEP_2)
	v_add_co_ci_u32_e64 v14, null, s11, v14, vcc_lo
	s_wait_dscnt 0x5
	global_store_b32 v[13:14], v9, off
                                        ; implicit-def: $vgpr13_vgpr14
	v_cmpx_ge_u32_e64 v39, v16
	s_wait_alu 0xfffe
	s_xor_b32 s0, exec_lo, s0
; %bb.84:
	v_xor_b32_e32 v13, 0xfffffcff, v0
	s_delay_alu instid0(VALU_DEP_1) | instskip(SKIP_2) | instid1(VALU_DEP_2)
	v_ashrrev_i32_e32 v14, 31, v13
	v_add_co_u32 v13, vcc_lo, v19, v13
	s_wait_alu 0xfffd
	v_add_co_ci_u32_e64 v14, null, v20, v14, vcc_lo
; %bb.85:
	s_wait_alu 0xfffe
	s_and_not1_saveexec_b32 s0, s0
; %bb.86:
	v_add_co_u32 v13, vcc_lo, v15, v39
	s_wait_alu 0xfffd
	v_add_co_ci_u32_e64 v14, null, 0, v17, vcc_lo
; %bb.87:
	s_wait_alu 0xfffe
	s_or_b32 exec_lo, exec_lo, s0
	s_delay_alu instid0(VALU_DEP_1) | instskip(SKIP_1) | instid1(VALU_DEP_1)
	v_lshlrev_b64_e32 v[13:14], 2, v[13:14]
	s_mov_b32 s0, exec_lo
	v_add_co_u32 v13, vcc_lo, s10, v13
	s_wait_alu 0xfffd
	s_delay_alu instid0(VALU_DEP_2)
	v_add_co_ci_u32_e64 v14, null, s11, v14, vcc_lo
	global_store_b32 v[13:14], v10, off
                                        ; implicit-def: $vgpr13_vgpr14
	v_cmpx_ge_u32_e64 v38, v16
	s_wait_alu 0xfffe
	s_xor_b32 s0, exec_lo, s0
; %bb.88:
	v_xor_b32_e32 v13, 0xfffffbff, v0
	;; [unrolled: 59-line block ×6, first 2 shown]
	s_delay_alu instid0(VALU_DEP_1) | instskip(SKIP_2) | instid1(VALU_DEP_2)
	v_ashrrev_i32_e32 v14, 31, v13
	v_add_co_u32 v13, vcc_lo, v19, v13
	s_wait_alu 0xfffd
	v_add_co_ci_u32_e64 v14, null, v20, v14, vcc_lo
; %bb.121:
	s_wait_alu 0xfffe
	s_and_not1_saveexec_b32 s0, s0
; %bb.122:
	v_add_co_u32 v13, vcc_lo, v15, v30
	s_wait_alu 0xfffd
	v_add_co_ci_u32_e64 v14, null, 0, v17, vcc_lo
; %bb.123:
	s_wait_alu 0xfffe
	s_or_b32 exec_lo, exec_lo, s0
	s_mov_b32 s0, -1
	s_branch .LBB366_204
.LBB366_124:
	s_mov_b32 s0, 0
                                        ; implicit-def: $vgpr13_vgpr14
	s_cbranch_execz .LBB366_204
; %bb.125:
	s_mov_b32 s17, 0
	s_delay_alu instid0(SALU_CYCLE_1)
	s_add_nc_u64 s[2:3], s[12:13], s[16:17]
	s_wait_alu 0xfffe
	s_sub_nc_u64 s[2:3], s[14:15], s[2:3]
	s_wait_alu 0xfffe
	v_add_co_u32 v13, s1, s2, v16
	s_wait_alu 0xf1ff
	v_add_co_ci_u32_e64 v14, null, s3, 0, s1
	s_mov_b32 s1, exec_lo
	v_add_co_u32 v19, vcc_lo, v13, v15
	s_wait_alu 0xfffd
	v_add_co_ci_u32_e64 v20, null, v14, v17, vcc_lo
	v_cmpx_gt_u32_e64 s23, v0
	s_cbranch_execz .LBB366_161
; %bb.126:
	s_mov_b32 s2, exec_lo
                                        ; implicit-def: $vgpr13_vgpr14
	v_cmpx_ge_u32_e64 v0, v16
	s_wait_alu 0xfffe
	s_xor_b32 s2, exec_lo, s2
; %bb.127:
	v_not_b32_e32 v13, v0
	s_delay_alu instid0(VALU_DEP_1) | instskip(SKIP_2) | instid1(VALU_DEP_2)
	v_ashrrev_i32_e32 v14, 31, v13
	v_add_co_u32 v13, vcc_lo, v19, v13
	s_wait_alu 0xfffd
	v_add_co_ci_u32_e64 v14, null, v20, v14, vcc_lo
; %bb.128:
	s_wait_alu 0xfffe
	s_and_not1_saveexec_b32 s2, s2
; %bb.129:
	v_add_co_u32 v13, vcc_lo, v15, v0
	s_wait_alu 0xfffd
	v_add_co_ci_u32_e64 v14, null, 0, v17, vcc_lo
; %bb.130:
	s_wait_alu 0xfffe
	s_or_b32 exec_lo, exec_lo, s2
	s_delay_alu instid0(VALU_DEP_1) | instskip(NEXT) | instid1(VALU_DEP_1)
	v_lshlrev_b64_e32 v[13:14], 2, v[13:14]
	v_add_co_u32 v13, vcc_lo, s10, v13
	s_wait_alu 0xfffd
	s_delay_alu instid0(VALU_DEP_2) | instskip(SKIP_3) | instid1(SALU_CYCLE_1)
	v_add_co_ci_u32_e64 v14, null, s11, v14, vcc_lo
	s_wait_dscnt 0x6
	global_store_b32 v[13:14], v11, off
	s_or_b32 exec_lo, exec_lo, s1
	s_mov_b32 s1, exec_lo
	v_cmpx_gt_u32_e64 s23, v41
	s_cbranch_execnz .LBB366_162
.LBB366_131:
	s_wait_alu 0xfffe
	s_or_b32 exec_lo, exec_lo, s1
	s_delay_alu instid0(SALU_CYCLE_1)
	s_mov_b32 s1, exec_lo
	v_cmpx_gt_u32_e64 s23, v40
	s_cbranch_execz .LBB366_167
.LBB366_132:
	s_mov_b32 s2, exec_lo
                                        ; implicit-def: $vgpr11_vgpr12
	v_cmpx_ge_u32_e64 v40, v16
	s_wait_alu 0xfffe
	s_xor_b32 s2, exec_lo, s2
	s_cbranch_execz .LBB366_134
; %bb.133:
	s_wait_dscnt 0x6
	v_xor_b32_e32 v11, 0xfffffdff, v0
                                        ; implicit-def: $vgpr40
	s_delay_alu instid0(VALU_DEP_1) | instskip(SKIP_2) | instid1(VALU_DEP_2)
	v_ashrrev_i32_e32 v12, 31, v11
	v_add_co_u32 v11, vcc_lo, v19, v11
	s_wait_alu 0xfffd
	v_add_co_ci_u32_e64 v12, null, v20, v12, vcc_lo
.LBB366_134:
	s_wait_alu 0xfffe
	s_and_not1_saveexec_b32 s2, s2
	s_cbranch_execz .LBB366_136
; %bb.135:
	s_wait_dscnt 0x6
	v_add_co_u32 v11, vcc_lo, v15, v40
	s_wait_alu 0xfffd
	v_add_co_ci_u32_e64 v12, null, 0, v17, vcc_lo
.LBB366_136:
	s_wait_alu 0xfffe
	s_or_b32 exec_lo, exec_lo, s2
	s_wait_dscnt 0x6
	s_delay_alu instid0(VALU_DEP_1) | instskip(NEXT) | instid1(VALU_DEP_1)
	v_lshlrev_b64_e32 v[11:12], 2, v[11:12]
	v_add_co_u32 v11, vcc_lo, s10, v11
	s_wait_alu 0xfffd
	s_delay_alu instid0(VALU_DEP_2) | instskip(SKIP_3) | instid1(SALU_CYCLE_1)
	v_add_co_ci_u32_e64 v12, null, s11, v12, vcc_lo
	s_wait_dscnt 0x5
	global_store_b32 v[11:12], v9, off
	s_or_b32 exec_lo, exec_lo, s1
	s_mov_b32 s1, exec_lo
	v_cmpx_gt_u32_e64 s23, v39
	s_cbranch_execnz .LBB366_168
.LBB366_137:
	s_wait_alu 0xfffe
	s_or_b32 exec_lo, exec_lo, s1
	s_delay_alu instid0(SALU_CYCLE_1)
	s_mov_b32 s1, exec_lo
	v_cmpx_gt_u32_e64 s23, v38
	s_cbranch_execz .LBB366_173
.LBB366_138:
	s_mov_b32 s2, exec_lo
                                        ; implicit-def: $vgpr9_vgpr10
	v_cmpx_ge_u32_e64 v38, v16
	s_wait_alu 0xfffe
	s_xor_b32 s2, exec_lo, s2
	s_cbranch_execz .LBB366_140
; %bb.139:
	s_wait_dscnt 0x5
	v_xor_b32_e32 v9, 0xfffffbff, v0
                                        ; implicit-def: $vgpr38
	s_delay_alu instid0(VALU_DEP_1) | instskip(SKIP_2) | instid1(VALU_DEP_2)
	v_ashrrev_i32_e32 v10, 31, v9
	v_add_co_u32 v9, vcc_lo, v19, v9
	s_wait_alu 0xfffd
	v_add_co_ci_u32_e64 v10, null, v20, v10, vcc_lo
.LBB366_140:
	s_wait_alu 0xfffe
	s_and_not1_saveexec_b32 s2, s2
	s_cbranch_execz .LBB366_142
; %bb.141:
	s_wait_dscnt 0x5
	v_add_co_u32 v9, vcc_lo, v15, v38
	s_wait_alu 0xfffd
	v_add_co_ci_u32_e64 v10, null, 0, v17, vcc_lo
.LBB366_142:
	s_wait_alu 0xfffe
	s_or_b32 exec_lo, exec_lo, s2
	s_wait_dscnt 0x5
	s_delay_alu instid0(VALU_DEP_1) | instskip(NEXT) | instid1(VALU_DEP_1)
	v_lshlrev_b64_e32 v[9:10], 2, v[9:10]
	v_add_co_u32 v9, vcc_lo, s10, v9
	s_wait_alu 0xfffd
	s_delay_alu instid0(VALU_DEP_2) | instskip(SKIP_3) | instid1(SALU_CYCLE_1)
	v_add_co_ci_u32_e64 v10, null, s11, v10, vcc_lo
	s_wait_dscnt 0x4
	global_store_b32 v[9:10], v7, off
	s_or_b32 exec_lo, exec_lo, s1
	s_mov_b32 s1, exec_lo
	v_cmpx_gt_u32_e64 s23, v37
	s_cbranch_execnz .LBB366_174
.LBB366_143:
	s_wait_alu 0xfffe
	s_or_b32 exec_lo, exec_lo, s1
	s_delay_alu instid0(SALU_CYCLE_1)
	s_mov_b32 s1, exec_lo
	v_cmpx_gt_u32_e64 s23, v36
	s_cbranch_execz .LBB366_179
.LBB366_144:
	s_mov_b32 s2, exec_lo
                                        ; implicit-def: $vgpr7_vgpr8
	v_cmpx_ge_u32_e64 v36, v16
	s_wait_alu 0xfffe
	s_xor_b32 s2, exec_lo, s2
	s_cbranch_execz .LBB366_146
; %bb.145:
	s_wait_dscnt 0x4
	v_xor_b32_e32 v7, 0xfffff9ff, v0
                                        ; implicit-def: $vgpr36
	s_delay_alu instid0(VALU_DEP_1) | instskip(SKIP_2) | instid1(VALU_DEP_2)
	v_ashrrev_i32_e32 v8, 31, v7
	v_add_co_u32 v7, vcc_lo, v19, v7
	s_wait_alu 0xfffd
	v_add_co_ci_u32_e64 v8, null, v20, v8, vcc_lo
.LBB366_146:
	s_wait_alu 0xfffe
	s_and_not1_saveexec_b32 s2, s2
	s_cbranch_execz .LBB366_148
; %bb.147:
	s_wait_dscnt 0x4
	v_add_co_u32 v7, vcc_lo, v15, v36
	s_wait_alu 0xfffd
	v_add_co_ci_u32_e64 v8, null, 0, v17, vcc_lo
.LBB366_148:
	s_wait_alu 0xfffe
	s_or_b32 exec_lo, exec_lo, s2
	s_wait_dscnt 0x4
	s_delay_alu instid0(VALU_DEP_1) | instskip(NEXT) | instid1(VALU_DEP_1)
	v_lshlrev_b64_e32 v[7:8], 2, v[7:8]
	v_add_co_u32 v7, vcc_lo, s10, v7
	s_wait_alu 0xfffd
	s_delay_alu instid0(VALU_DEP_2) | instskip(SKIP_3) | instid1(SALU_CYCLE_1)
	v_add_co_ci_u32_e64 v8, null, s11, v8, vcc_lo
	s_wait_dscnt 0x3
	global_store_b32 v[7:8], v5, off
	s_or_b32 exec_lo, exec_lo, s1
	s_mov_b32 s1, exec_lo
	v_cmpx_gt_u32_e64 s23, v35
	s_cbranch_execnz .LBB366_180
.LBB366_149:
	s_wait_alu 0xfffe
	s_or_b32 exec_lo, exec_lo, s1
	s_delay_alu instid0(SALU_CYCLE_1)
	s_mov_b32 s1, exec_lo
	v_cmpx_gt_u32_e64 s23, v34
	s_cbranch_execz .LBB366_185
.LBB366_150:
	s_mov_b32 s2, exec_lo
                                        ; implicit-def: $vgpr5_vgpr6
	v_cmpx_ge_u32_e64 v34, v16
	s_wait_alu 0xfffe
	s_xor_b32 s2, exec_lo, s2
	s_cbranch_execz .LBB366_152
; %bb.151:
	s_wait_dscnt 0x3
	v_xor_b32_e32 v5, 0xfffff7ff, v0
                                        ; implicit-def: $vgpr34
	s_delay_alu instid0(VALU_DEP_1) | instskip(SKIP_2) | instid1(VALU_DEP_2)
	v_ashrrev_i32_e32 v6, 31, v5
	v_add_co_u32 v5, vcc_lo, v19, v5
	s_wait_alu 0xfffd
	v_add_co_ci_u32_e64 v6, null, v20, v6, vcc_lo
.LBB366_152:
	s_wait_alu 0xfffe
	s_and_not1_saveexec_b32 s2, s2
	s_cbranch_execz .LBB366_154
; %bb.153:
	s_wait_dscnt 0x3
	v_add_co_u32 v5, vcc_lo, v15, v34
	s_wait_alu 0xfffd
	v_add_co_ci_u32_e64 v6, null, 0, v17, vcc_lo
.LBB366_154:
	s_wait_alu 0xfffe
	s_or_b32 exec_lo, exec_lo, s2
	s_wait_dscnt 0x3
	s_delay_alu instid0(VALU_DEP_1) | instskip(NEXT) | instid1(VALU_DEP_1)
	v_lshlrev_b64_e32 v[5:6], 2, v[5:6]
	v_add_co_u32 v5, vcc_lo, s10, v5
	s_wait_alu 0xfffd
	s_delay_alu instid0(VALU_DEP_2) | instskip(SKIP_3) | instid1(SALU_CYCLE_1)
	v_add_co_ci_u32_e64 v6, null, s11, v6, vcc_lo
	s_wait_dscnt 0x2
	global_store_b32 v[5:6], v3, off
	s_or_b32 exec_lo, exec_lo, s1
	s_mov_b32 s1, exec_lo
	v_cmpx_gt_u32_e64 s23, v33
	s_cbranch_execnz .LBB366_186
.LBB366_155:
	s_wait_alu 0xfffe
	s_or_b32 exec_lo, exec_lo, s1
	s_delay_alu instid0(SALU_CYCLE_1)
	s_mov_b32 s1, exec_lo
	v_cmpx_gt_u32_e64 s23, v32
	s_cbranch_execz .LBB366_191
.LBB366_156:
	s_mov_b32 s2, exec_lo
                                        ; implicit-def: $vgpr3_vgpr4
	v_cmpx_ge_u32_e64 v32, v16
	s_wait_alu 0xfffe
	s_xor_b32 s2, exec_lo, s2
	s_cbranch_execz .LBB366_158
; %bb.157:
	s_wait_dscnt 0x2
	v_xor_b32_e32 v3, 0xfffff5ff, v0
                                        ; implicit-def: $vgpr32
	s_delay_alu instid0(VALU_DEP_1) | instskip(SKIP_2) | instid1(VALU_DEP_2)
	v_ashrrev_i32_e32 v4, 31, v3
	v_add_co_u32 v3, vcc_lo, v19, v3
	s_wait_alu 0xfffd
	v_add_co_ci_u32_e64 v4, null, v20, v4, vcc_lo
.LBB366_158:
	s_wait_alu 0xfffe
	s_and_not1_saveexec_b32 s2, s2
	s_cbranch_execz .LBB366_160
; %bb.159:
	s_wait_dscnt 0x2
	v_add_co_u32 v3, vcc_lo, v15, v32
	s_wait_alu 0xfffd
	v_add_co_ci_u32_e64 v4, null, 0, v17, vcc_lo
.LBB366_160:
	s_wait_alu 0xfffe
	s_or_b32 exec_lo, exec_lo, s2
	s_wait_dscnt 0x2
	s_delay_alu instid0(VALU_DEP_1) | instskip(NEXT) | instid1(VALU_DEP_1)
	v_lshlrev_b64_e32 v[3:4], 2, v[3:4]
	v_add_co_u32 v3, vcc_lo, s10, v3
	s_wait_alu 0xfffd
	s_delay_alu instid0(VALU_DEP_2) | instskip(SKIP_3) | instid1(SALU_CYCLE_1)
	v_add_co_ci_u32_e64 v4, null, s11, v4, vcc_lo
	s_wait_dscnt 0x1
	global_store_b32 v[3:4], v1, off
	s_or_b32 exec_lo, exec_lo, s1
	s_mov_b32 s1, exec_lo
	v_cmpx_gt_u32_e64 s23, v31
	s_cbranch_execz .LBB366_197
	s_branch .LBB366_192
.LBB366_161:
	s_wait_alu 0xfffe
	s_or_b32 exec_lo, exec_lo, s1
	s_delay_alu instid0(SALU_CYCLE_1)
	s_mov_b32 s1, exec_lo
	v_cmpx_gt_u32_e64 s23, v41
	s_cbranch_execz .LBB366_131
.LBB366_162:
	s_mov_b32 s2, exec_lo
                                        ; implicit-def: $vgpr13_vgpr14
	v_cmpx_ge_u32_e64 v41, v16
	s_wait_alu 0xfffe
	s_xor_b32 s2, exec_lo, s2
	s_cbranch_execz .LBB366_164
; %bb.163:
	s_wait_dscnt 0x6
	v_xor_b32_e32 v11, 0xfffffeff, v0
                                        ; implicit-def: $vgpr41
	s_delay_alu instid0(VALU_DEP_1) | instskip(SKIP_2) | instid1(VALU_DEP_2)
	v_ashrrev_i32_e32 v14, 31, v11
	v_add_co_u32 v13, vcc_lo, v19, v11
	s_wait_alu 0xfffd
	v_add_co_ci_u32_e64 v14, null, v20, v14, vcc_lo
.LBB366_164:
	s_wait_alu 0xfffe
	s_and_not1_saveexec_b32 s2, s2
; %bb.165:
	v_add_co_u32 v13, vcc_lo, v15, v41
	s_wait_alu 0xfffd
	v_add_co_ci_u32_e64 v14, null, 0, v17, vcc_lo
; %bb.166:
	s_wait_alu 0xfffe
	s_or_b32 exec_lo, exec_lo, s2
	s_delay_alu instid0(VALU_DEP_1) | instskip(NEXT) | instid1(VALU_DEP_1)
	v_lshlrev_b64_e32 v[13:14], 2, v[13:14]
	v_add_co_u32 v13, vcc_lo, s10, v13
	s_wait_alu 0xfffd
	s_delay_alu instid0(VALU_DEP_2) | instskip(SKIP_3) | instid1(SALU_CYCLE_1)
	v_add_co_ci_u32_e64 v14, null, s11, v14, vcc_lo
	s_wait_dscnt 0x6
	global_store_b32 v[13:14], v12, off
	s_or_b32 exec_lo, exec_lo, s1
	s_mov_b32 s1, exec_lo
	v_cmpx_gt_u32_e64 s23, v40
	s_cbranch_execnz .LBB366_132
.LBB366_167:
	s_wait_alu 0xfffe
	s_or_b32 exec_lo, exec_lo, s1
	s_delay_alu instid0(SALU_CYCLE_1)
	s_mov_b32 s1, exec_lo
	v_cmpx_gt_u32_e64 s23, v39
	s_cbranch_execz .LBB366_137
.LBB366_168:
	s_mov_b32 s2, exec_lo
                                        ; implicit-def: $vgpr11_vgpr12
	v_cmpx_ge_u32_e64 v39, v16
	s_wait_alu 0xfffe
	s_xor_b32 s2, exec_lo, s2
	s_cbranch_execz .LBB366_170
; %bb.169:
	s_wait_dscnt 0x5
	v_xor_b32_e32 v9, 0xfffffcff, v0
                                        ; implicit-def: $vgpr39
	s_delay_alu instid0(VALU_DEP_1) | instskip(SKIP_2) | instid1(VALU_DEP_2)
	v_ashrrev_i32_e32 v12, 31, v9
	v_add_co_u32 v11, vcc_lo, v19, v9
	s_wait_alu 0xfffd
	v_add_co_ci_u32_e64 v12, null, v20, v12, vcc_lo
.LBB366_170:
	s_wait_alu 0xfffe
	s_and_not1_saveexec_b32 s2, s2
	s_cbranch_execz .LBB366_172
; %bb.171:
	s_wait_dscnt 0x6
	v_add_co_u32 v11, vcc_lo, v15, v39
	s_wait_alu 0xfffd
	v_add_co_ci_u32_e64 v12, null, 0, v17, vcc_lo
.LBB366_172:
	s_wait_alu 0xfffe
	s_or_b32 exec_lo, exec_lo, s2
	s_wait_dscnt 0x6
	s_delay_alu instid0(VALU_DEP_1) | instskip(NEXT) | instid1(VALU_DEP_1)
	v_lshlrev_b64_e32 v[11:12], 2, v[11:12]
	v_add_co_u32 v11, vcc_lo, s10, v11
	s_wait_alu 0xfffd
	s_delay_alu instid0(VALU_DEP_2) | instskip(SKIP_3) | instid1(SALU_CYCLE_1)
	v_add_co_ci_u32_e64 v12, null, s11, v12, vcc_lo
	s_wait_dscnt 0x5
	global_store_b32 v[11:12], v10, off
	s_or_b32 exec_lo, exec_lo, s1
	s_mov_b32 s1, exec_lo
	v_cmpx_gt_u32_e64 s23, v38
	s_cbranch_execnz .LBB366_138
.LBB366_173:
	s_wait_alu 0xfffe
	s_or_b32 exec_lo, exec_lo, s1
	s_delay_alu instid0(SALU_CYCLE_1)
	s_mov_b32 s1, exec_lo
	v_cmpx_gt_u32_e64 s23, v37
	s_cbranch_execz .LBB366_143
.LBB366_174:
	s_mov_b32 s2, exec_lo
                                        ; implicit-def: $vgpr9_vgpr10
	v_cmpx_ge_u32_e64 v37, v16
	s_wait_alu 0xfffe
	s_xor_b32 s2, exec_lo, s2
	s_cbranch_execz .LBB366_176
; %bb.175:
	s_wait_dscnt 0x4
	v_xor_b32_e32 v7, 0xfffffaff, v0
                                        ; implicit-def: $vgpr37
	s_delay_alu instid0(VALU_DEP_1) | instskip(SKIP_2) | instid1(VALU_DEP_2)
	v_ashrrev_i32_e32 v10, 31, v7
	v_add_co_u32 v9, vcc_lo, v19, v7
	s_wait_alu 0xfffd
	v_add_co_ci_u32_e64 v10, null, v20, v10, vcc_lo
.LBB366_176:
	s_wait_alu 0xfffe
	s_and_not1_saveexec_b32 s2, s2
	s_cbranch_execz .LBB366_178
; %bb.177:
	s_wait_dscnt 0x5
	v_add_co_u32 v9, vcc_lo, v15, v37
	s_wait_alu 0xfffd
	v_add_co_ci_u32_e64 v10, null, 0, v17, vcc_lo
.LBB366_178:
	s_wait_alu 0xfffe
	s_or_b32 exec_lo, exec_lo, s2
	s_wait_dscnt 0x5
	s_delay_alu instid0(VALU_DEP_1) | instskip(NEXT) | instid1(VALU_DEP_1)
	v_lshlrev_b64_e32 v[9:10], 2, v[9:10]
	v_add_co_u32 v9, vcc_lo, s10, v9
	s_wait_alu 0xfffd
	s_delay_alu instid0(VALU_DEP_2) | instskip(SKIP_3) | instid1(SALU_CYCLE_1)
	v_add_co_ci_u32_e64 v10, null, s11, v10, vcc_lo
	s_wait_dscnt 0x4
	global_store_b32 v[9:10], v8, off
	s_or_b32 exec_lo, exec_lo, s1
	s_mov_b32 s1, exec_lo
	v_cmpx_gt_u32_e64 s23, v36
	s_cbranch_execnz .LBB366_144
.LBB366_179:
	s_wait_alu 0xfffe
	s_or_b32 exec_lo, exec_lo, s1
	s_delay_alu instid0(SALU_CYCLE_1)
	s_mov_b32 s1, exec_lo
	v_cmpx_gt_u32_e64 s23, v35
	s_cbranch_execz .LBB366_149
.LBB366_180:
	s_mov_b32 s2, exec_lo
                                        ; implicit-def: $vgpr7_vgpr8
	v_cmpx_ge_u32_e64 v35, v16
	s_wait_alu 0xfffe
	s_xor_b32 s2, exec_lo, s2
	s_cbranch_execz .LBB366_182
; %bb.181:
	s_wait_dscnt 0x3
	v_xor_b32_e32 v5, 0xfffff8ff, v0
                                        ; implicit-def: $vgpr35
	s_delay_alu instid0(VALU_DEP_1) | instskip(SKIP_2) | instid1(VALU_DEP_2)
	v_ashrrev_i32_e32 v8, 31, v5
	v_add_co_u32 v7, vcc_lo, v19, v5
	s_wait_alu 0xfffd
	v_add_co_ci_u32_e64 v8, null, v20, v8, vcc_lo
.LBB366_182:
	s_wait_alu 0xfffe
	s_and_not1_saveexec_b32 s2, s2
	s_cbranch_execz .LBB366_184
; %bb.183:
	s_wait_dscnt 0x4
	v_add_co_u32 v7, vcc_lo, v15, v35
	s_wait_alu 0xfffd
	v_add_co_ci_u32_e64 v8, null, 0, v17, vcc_lo
.LBB366_184:
	s_wait_alu 0xfffe
	s_or_b32 exec_lo, exec_lo, s2
	s_wait_dscnt 0x4
	s_delay_alu instid0(VALU_DEP_1) | instskip(NEXT) | instid1(VALU_DEP_1)
	v_lshlrev_b64_e32 v[7:8], 2, v[7:8]
	v_add_co_u32 v7, vcc_lo, s10, v7
	s_wait_alu 0xfffd
	s_delay_alu instid0(VALU_DEP_2) | instskip(SKIP_3) | instid1(SALU_CYCLE_1)
	v_add_co_ci_u32_e64 v8, null, s11, v8, vcc_lo
	s_wait_dscnt 0x3
	global_store_b32 v[7:8], v6, off
	s_or_b32 exec_lo, exec_lo, s1
	s_mov_b32 s1, exec_lo
	v_cmpx_gt_u32_e64 s23, v34
	s_cbranch_execnz .LBB366_150
.LBB366_185:
	s_wait_alu 0xfffe
	s_or_b32 exec_lo, exec_lo, s1
	s_delay_alu instid0(SALU_CYCLE_1)
	s_mov_b32 s1, exec_lo
	v_cmpx_gt_u32_e64 s23, v33
	s_cbranch_execz .LBB366_155
.LBB366_186:
	s_mov_b32 s2, exec_lo
                                        ; implicit-def: $vgpr5_vgpr6
	v_cmpx_ge_u32_e64 v33, v16
	s_wait_alu 0xfffe
	s_xor_b32 s2, exec_lo, s2
	s_cbranch_execz .LBB366_188
; %bb.187:
	s_wait_dscnt 0x2
	v_xor_b32_e32 v3, 0xfffff6ff, v0
                                        ; implicit-def: $vgpr33
	s_delay_alu instid0(VALU_DEP_1) | instskip(SKIP_2) | instid1(VALU_DEP_2)
	v_ashrrev_i32_e32 v6, 31, v3
	v_add_co_u32 v5, vcc_lo, v19, v3
	s_wait_alu 0xfffd
	v_add_co_ci_u32_e64 v6, null, v20, v6, vcc_lo
.LBB366_188:
	s_wait_alu 0xfffe
	s_and_not1_saveexec_b32 s2, s2
	s_cbranch_execz .LBB366_190
; %bb.189:
	s_wait_dscnt 0x3
	v_add_co_u32 v5, vcc_lo, v15, v33
	s_wait_alu 0xfffd
	v_add_co_ci_u32_e64 v6, null, 0, v17, vcc_lo
.LBB366_190:
	s_wait_alu 0xfffe
	s_or_b32 exec_lo, exec_lo, s2
	s_wait_dscnt 0x3
	s_delay_alu instid0(VALU_DEP_1) | instskip(NEXT) | instid1(VALU_DEP_1)
	v_lshlrev_b64_e32 v[5:6], 2, v[5:6]
	v_add_co_u32 v5, vcc_lo, s10, v5
	s_wait_alu 0xfffd
	s_delay_alu instid0(VALU_DEP_2) | instskip(SKIP_3) | instid1(SALU_CYCLE_1)
	v_add_co_ci_u32_e64 v6, null, s11, v6, vcc_lo
	s_wait_dscnt 0x2
	global_store_b32 v[5:6], v4, off
	s_or_b32 exec_lo, exec_lo, s1
	s_mov_b32 s1, exec_lo
	v_cmpx_gt_u32_e64 s23, v32
	s_cbranch_execnz .LBB366_156
.LBB366_191:
	s_wait_alu 0xfffe
	s_or_b32 exec_lo, exec_lo, s1
	s_delay_alu instid0(SALU_CYCLE_1)
	s_mov_b32 s1, exec_lo
	v_cmpx_gt_u32_e64 s23, v31
	s_cbranch_execz .LBB366_197
.LBB366_192:
	s_mov_b32 s2, exec_lo
                                        ; implicit-def: $vgpr3_vgpr4
	v_cmpx_ge_u32_e64 v31, v16
	s_wait_alu 0xfffe
	s_xor_b32 s2, exec_lo, s2
	s_cbranch_execz .LBB366_194
; %bb.193:
	s_wait_dscnt 0x1
	v_xor_b32_e32 v1, 0xfffff4ff, v0
                                        ; implicit-def: $vgpr31
	s_delay_alu instid0(VALU_DEP_1) | instskip(SKIP_2) | instid1(VALU_DEP_2)
	v_ashrrev_i32_e32 v4, 31, v1
	v_add_co_u32 v3, vcc_lo, v19, v1
	s_wait_alu 0xfffd
	v_add_co_ci_u32_e64 v4, null, v20, v4, vcc_lo
.LBB366_194:
	s_wait_alu 0xfffe
	s_and_not1_saveexec_b32 s2, s2
	s_cbranch_execz .LBB366_196
; %bb.195:
	s_wait_dscnt 0x2
	v_add_co_u32 v3, vcc_lo, v15, v31
	s_wait_alu 0xfffd
	v_add_co_ci_u32_e64 v4, null, 0, v17, vcc_lo
.LBB366_196:
	s_wait_alu 0xfffe
	s_or_b32 exec_lo, exec_lo, s2
	s_wait_dscnt 0x2
	s_delay_alu instid0(VALU_DEP_1) | instskip(NEXT) | instid1(VALU_DEP_1)
	v_lshlrev_b64_e32 v[3:4], 2, v[3:4]
	v_add_co_u32 v3, vcc_lo, s10, v3
	s_wait_alu 0xfffd
	s_delay_alu instid0(VALU_DEP_2)
	v_add_co_ci_u32_e64 v4, null, s11, v4, vcc_lo
	s_wait_dscnt 0x1
	global_store_b32 v[3:4], v2, off
.LBB366_197:
	s_wait_alu 0xfffe
	s_or_b32 exec_lo, exec_lo, s1
	s_delay_alu instid0(SALU_CYCLE_1)
	s_mov_b32 s1, exec_lo
                                        ; implicit-def: $vgpr13_vgpr14
	v_cmpx_gt_u32_e64 s23, v30
	s_cbranch_execz .LBB366_203
; %bb.198:
	s_mov_b32 s2, exec_lo
                                        ; implicit-def: $vgpr13_vgpr14
	v_cmpx_ge_u32_e64 v30, v16
	s_wait_alu 0xfffe
	s_xor_b32 s2, exec_lo, s2
	s_cbranch_execz .LBB366_200
; %bb.199:
	s_wait_dscnt 0x1
	v_xor_b32_e32 v1, 0xfffff3ff, v0
                                        ; implicit-def: $vgpr30
	s_delay_alu instid0(VALU_DEP_1) | instskip(SKIP_2) | instid1(VALU_DEP_2)
	v_ashrrev_i32_e32 v2, 31, v1
	v_add_co_u32 v13, vcc_lo, v19, v1
	s_wait_alu 0xfffd
	v_add_co_ci_u32_e64 v14, null, v20, v2, vcc_lo
.LBB366_200:
	s_wait_alu 0xfffe
	s_and_not1_saveexec_b32 s2, s2
; %bb.201:
	v_add_co_u32 v13, vcc_lo, v15, v30
	s_wait_alu 0xfffd
	v_add_co_ci_u32_e64 v14, null, 0, v17, vcc_lo
; %bb.202:
	s_wait_alu 0xfffe
	s_or_b32 exec_lo, exec_lo, s2
	s_delay_alu instid0(SALU_CYCLE_1)
	s_or_b32 s0, s0, exec_lo
.LBB366_203:
	s_wait_alu 0xfffe
	s_or_b32 exec_lo, exec_lo, s1
.LBB366_204:
	s_wait_alu 0xfffe
	s_and_saveexec_b32 s1, s0
	s_cbranch_execz .LBB366_206
; %bb.205:
	s_wait_dscnt 0x1
	v_lshlrev_b64_e32 v[1:2], 2, v[13:14]
	s_delay_alu instid0(VALU_DEP_1) | instskip(SKIP_1) | instid1(VALU_DEP_2)
	v_add_co_u32 v1, vcc_lo, s10, v1
	s_wait_alu 0xfffd
	v_add_co_ci_u32_e64 v2, null, s11, v2, vcc_lo
	s_wait_dscnt 0x0
	global_store_b32 v[1:2], v18, off
.LBB366_206:
	s_wait_alu 0xfffe
	s_or_b32 exec_lo, exec_lo, s1
	v_cmp_eq_u32_e32 vcc_lo, 0, v0
	s_and_b32 s0, vcc_lo, s22
	s_wait_alu 0xfffe
	s_and_saveexec_b32 s1, s0
	s_cbranch_execz .LBB366_208
; %bb.207:
	v_add_co_u32 v0, vcc_lo, v15, v16
	s_wait_dscnt 0x1
	v_mov_b32_e32 v2, 0
	s_wait_alu 0xfffd
	v_add_co_ci_u32_e64 v1, null, 0, v17, vcc_lo
	global_store_b64 v2, v[0:1], s[8:9]
.LBB366_208:
	s_endpgm
	.section	.rodata,"a",@progbits
	.p2align	6, 0x0
	.amdhsa_kernel _ZN7rocprim17ROCPRIM_400000_NS6detail17trampoline_kernelINS0_13select_configILj256ELj13ELNS0_17block_load_methodE3ELS4_3ELS4_3ELNS0_20block_scan_algorithmE0ELj4294967295EEENS1_25partition_config_selectorILNS1_17partition_subalgoE3EjNS0_10empty_typeEbEEZZNS1_14partition_implILS8_3ELb0ES6_jNS0_17counting_iteratorIjlEEPS9_SE_NS0_5tupleIJPjSE_EEENSF_IJSE_SE_EEES9_SG_JZNS1_25segmented_radix_sort_implINS0_14default_configELb0EPKaPaPKlPlN2at6native12_GLOBAL__N_18offset_tEEE10hipError_tPvRmT1_PNSt15iterator_traitsISY_E10value_typeET2_T3_PNSZ_IS14_E10value_typeET4_jRbjT5_S1A_jjP12ihipStream_tbEUljE_EEESV_SW_SX_S14_S18_S1A_T6_T7_T9_mT8_S1C_bDpT10_ENKUlT_T0_E_clISt17integral_constantIbLb0EES1P_EEDaS1K_S1L_EUlS1K_E_NS1_11comp_targetILNS1_3genE10ELNS1_11target_archE1200ELNS1_3gpuE4ELNS1_3repE0EEENS1_30default_config_static_selectorELNS0_4arch9wavefront6targetE0EEEvSY_
		.amdhsa_group_segment_fixed_size 13320
		.amdhsa_private_segment_fixed_size 0
		.amdhsa_kernarg_size 144
		.amdhsa_user_sgpr_count 2
		.amdhsa_user_sgpr_dispatch_ptr 0
		.amdhsa_user_sgpr_queue_ptr 0
		.amdhsa_user_sgpr_kernarg_segment_ptr 1
		.amdhsa_user_sgpr_dispatch_id 0
		.amdhsa_user_sgpr_private_segment_size 0
		.amdhsa_wavefront_size32 1
		.amdhsa_uses_dynamic_stack 0
		.amdhsa_enable_private_segment 0
		.amdhsa_system_sgpr_workgroup_id_x 1
		.amdhsa_system_sgpr_workgroup_id_y 0
		.amdhsa_system_sgpr_workgroup_id_z 0
		.amdhsa_system_sgpr_workgroup_info 0
		.amdhsa_system_vgpr_workitem_id 0
		.amdhsa_next_free_vgpr 69
		.amdhsa_next_free_sgpr 26
		.amdhsa_reserve_vcc 1
		.amdhsa_float_round_mode_32 0
		.amdhsa_float_round_mode_16_64 0
		.amdhsa_float_denorm_mode_32 3
		.amdhsa_float_denorm_mode_16_64 3
		.amdhsa_fp16_overflow 0
		.amdhsa_workgroup_processor_mode 1
		.amdhsa_memory_ordered 1
		.amdhsa_forward_progress 1
		.amdhsa_inst_pref_size 84
		.amdhsa_round_robin_scheduling 0
		.amdhsa_exception_fp_ieee_invalid_op 0
		.amdhsa_exception_fp_denorm_src 0
		.amdhsa_exception_fp_ieee_div_zero 0
		.amdhsa_exception_fp_ieee_overflow 0
		.amdhsa_exception_fp_ieee_underflow 0
		.amdhsa_exception_fp_ieee_inexact 0
		.amdhsa_exception_int_div_zero 0
	.end_amdhsa_kernel
	.section	.text._ZN7rocprim17ROCPRIM_400000_NS6detail17trampoline_kernelINS0_13select_configILj256ELj13ELNS0_17block_load_methodE3ELS4_3ELS4_3ELNS0_20block_scan_algorithmE0ELj4294967295EEENS1_25partition_config_selectorILNS1_17partition_subalgoE3EjNS0_10empty_typeEbEEZZNS1_14partition_implILS8_3ELb0ES6_jNS0_17counting_iteratorIjlEEPS9_SE_NS0_5tupleIJPjSE_EEENSF_IJSE_SE_EEES9_SG_JZNS1_25segmented_radix_sort_implINS0_14default_configELb0EPKaPaPKlPlN2at6native12_GLOBAL__N_18offset_tEEE10hipError_tPvRmT1_PNSt15iterator_traitsISY_E10value_typeET2_T3_PNSZ_IS14_E10value_typeET4_jRbjT5_S1A_jjP12ihipStream_tbEUljE_EEESV_SW_SX_S14_S18_S1A_T6_T7_T9_mT8_S1C_bDpT10_ENKUlT_T0_E_clISt17integral_constantIbLb0EES1P_EEDaS1K_S1L_EUlS1K_E_NS1_11comp_targetILNS1_3genE10ELNS1_11target_archE1200ELNS1_3gpuE4ELNS1_3repE0EEENS1_30default_config_static_selectorELNS0_4arch9wavefront6targetE0EEEvSY_,"axG",@progbits,_ZN7rocprim17ROCPRIM_400000_NS6detail17trampoline_kernelINS0_13select_configILj256ELj13ELNS0_17block_load_methodE3ELS4_3ELS4_3ELNS0_20block_scan_algorithmE0ELj4294967295EEENS1_25partition_config_selectorILNS1_17partition_subalgoE3EjNS0_10empty_typeEbEEZZNS1_14partition_implILS8_3ELb0ES6_jNS0_17counting_iteratorIjlEEPS9_SE_NS0_5tupleIJPjSE_EEENSF_IJSE_SE_EEES9_SG_JZNS1_25segmented_radix_sort_implINS0_14default_configELb0EPKaPaPKlPlN2at6native12_GLOBAL__N_18offset_tEEE10hipError_tPvRmT1_PNSt15iterator_traitsISY_E10value_typeET2_T3_PNSZ_IS14_E10value_typeET4_jRbjT5_S1A_jjP12ihipStream_tbEUljE_EEESV_SW_SX_S14_S18_S1A_T6_T7_T9_mT8_S1C_bDpT10_ENKUlT_T0_E_clISt17integral_constantIbLb0EES1P_EEDaS1K_S1L_EUlS1K_E_NS1_11comp_targetILNS1_3genE10ELNS1_11target_archE1200ELNS1_3gpuE4ELNS1_3repE0EEENS1_30default_config_static_selectorELNS0_4arch9wavefront6targetE0EEEvSY_,comdat
.Lfunc_end366:
	.size	_ZN7rocprim17ROCPRIM_400000_NS6detail17trampoline_kernelINS0_13select_configILj256ELj13ELNS0_17block_load_methodE3ELS4_3ELS4_3ELNS0_20block_scan_algorithmE0ELj4294967295EEENS1_25partition_config_selectorILNS1_17partition_subalgoE3EjNS0_10empty_typeEbEEZZNS1_14partition_implILS8_3ELb0ES6_jNS0_17counting_iteratorIjlEEPS9_SE_NS0_5tupleIJPjSE_EEENSF_IJSE_SE_EEES9_SG_JZNS1_25segmented_radix_sort_implINS0_14default_configELb0EPKaPaPKlPlN2at6native12_GLOBAL__N_18offset_tEEE10hipError_tPvRmT1_PNSt15iterator_traitsISY_E10value_typeET2_T3_PNSZ_IS14_E10value_typeET4_jRbjT5_S1A_jjP12ihipStream_tbEUljE_EEESV_SW_SX_S14_S18_S1A_T6_T7_T9_mT8_S1C_bDpT10_ENKUlT_T0_E_clISt17integral_constantIbLb0EES1P_EEDaS1K_S1L_EUlS1K_E_NS1_11comp_targetILNS1_3genE10ELNS1_11target_archE1200ELNS1_3gpuE4ELNS1_3repE0EEENS1_30default_config_static_selectorELNS0_4arch9wavefront6targetE0EEEvSY_, .Lfunc_end366-_ZN7rocprim17ROCPRIM_400000_NS6detail17trampoline_kernelINS0_13select_configILj256ELj13ELNS0_17block_load_methodE3ELS4_3ELS4_3ELNS0_20block_scan_algorithmE0ELj4294967295EEENS1_25partition_config_selectorILNS1_17partition_subalgoE3EjNS0_10empty_typeEbEEZZNS1_14partition_implILS8_3ELb0ES6_jNS0_17counting_iteratorIjlEEPS9_SE_NS0_5tupleIJPjSE_EEENSF_IJSE_SE_EEES9_SG_JZNS1_25segmented_radix_sort_implINS0_14default_configELb0EPKaPaPKlPlN2at6native12_GLOBAL__N_18offset_tEEE10hipError_tPvRmT1_PNSt15iterator_traitsISY_E10value_typeET2_T3_PNSZ_IS14_E10value_typeET4_jRbjT5_S1A_jjP12ihipStream_tbEUljE_EEESV_SW_SX_S14_S18_S1A_T6_T7_T9_mT8_S1C_bDpT10_ENKUlT_T0_E_clISt17integral_constantIbLb0EES1P_EEDaS1K_S1L_EUlS1K_E_NS1_11comp_targetILNS1_3genE10ELNS1_11target_archE1200ELNS1_3gpuE4ELNS1_3repE0EEENS1_30default_config_static_selectorELNS0_4arch9wavefront6targetE0EEEvSY_
                                        ; -- End function
	.set _ZN7rocprim17ROCPRIM_400000_NS6detail17trampoline_kernelINS0_13select_configILj256ELj13ELNS0_17block_load_methodE3ELS4_3ELS4_3ELNS0_20block_scan_algorithmE0ELj4294967295EEENS1_25partition_config_selectorILNS1_17partition_subalgoE3EjNS0_10empty_typeEbEEZZNS1_14partition_implILS8_3ELb0ES6_jNS0_17counting_iteratorIjlEEPS9_SE_NS0_5tupleIJPjSE_EEENSF_IJSE_SE_EEES9_SG_JZNS1_25segmented_radix_sort_implINS0_14default_configELb0EPKaPaPKlPlN2at6native12_GLOBAL__N_18offset_tEEE10hipError_tPvRmT1_PNSt15iterator_traitsISY_E10value_typeET2_T3_PNSZ_IS14_E10value_typeET4_jRbjT5_S1A_jjP12ihipStream_tbEUljE_EEESV_SW_SX_S14_S18_S1A_T6_T7_T9_mT8_S1C_bDpT10_ENKUlT_T0_E_clISt17integral_constantIbLb0EES1P_EEDaS1K_S1L_EUlS1K_E_NS1_11comp_targetILNS1_3genE10ELNS1_11target_archE1200ELNS1_3gpuE4ELNS1_3repE0EEENS1_30default_config_static_selectorELNS0_4arch9wavefront6targetE0EEEvSY_.num_vgpr, 69
	.set _ZN7rocprim17ROCPRIM_400000_NS6detail17trampoline_kernelINS0_13select_configILj256ELj13ELNS0_17block_load_methodE3ELS4_3ELS4_3ELNS0_20block_scan_algorithmE0ELj4294967295EEENS1_25partition_config_selectorILNS1_17partition_subalgoE3EjNS0_10empty_typeEbEEZZNS1_14partition_implILS8_3ELb0ES6_jNS0_17counting_iteratorIjlEEPS9_SE_NS0_5tupleIJPjSE_EEENSF_IJSE_SE_EEES9_SG_JZNS1_25segmented_radix_sort_implINS0_14default_configELb0EPKaPaPKlPlN2at6native12_GLOBAL__N_18offset_tEEE10hipError_tPvRmT1_PNSt15iterator_traitsISY_E10value_typeET2_T3_PNSZ_IS14_E10value_typeET4_jRbjT5_S1A_jjP12ihipStream_tbEUljE_EEESV_SW_SX_S14_S18_S1A_T6_T7_T9_mT8_S1C_bDpT10_ENKUlT_T0_E_clISt17integral_constantIbLb0EES1P_EEDaS1K_S1L_EUlS1K_E_NS1_11comp_targetILNS1_3genE10ELNS1_11target_archE1200ELNS1_3gpuE4ELNS1_3repE0EEENS1_30default_config_static_selectorELNS0_4arch9wavefront6targetE0EEEvSY_.num_agpr, 0
	.set _ZN7rocprim17ROCPRIM_400000_NS6detail17trampoline_kernelINS0_13select_configILj256ELj13ELNS0_17block_load_methodE3ELS4_3ELS4_3ELNS0_20block_scan_algorithmE0ELj4294967295EEENS1_25partition_config_selectorILNS1_17partition_subalgoE3EjNS0_10empty_typeEbEEZZNS1_14partition_implILS8_3ELb0ES6_jNS0_17counting_iteratorIjlEEPS9_SE_NS0_5tupleIJPjSE_EEENSF_IJSE_SE_EEES9_SG_JZNS1_25segmented_radix_sort_implINS0_14default_configELb0EPKaPaPKlPlN2at6native12_GLOBAL__N_18offset_tEEE10hipError_tPvRmT1_PNSt15iterator_traitsISY_E10value_typeET2_T3_PNSZ_IS14_E10value_typeET4_jRbjT5_S1A_jjP12ihipStream_tbEUljE_EEESV_SW_SX_S14_S18_S1A_T6_T7_T9_mT8_S1C_bDpT10_ENKUlT_T0_E_clISt17integral_constantIbLb0EES1P_EEDaS1K_S1L_EUlS1K_E_NS1_11comp_targetILNS1_3genE10ELNS1_11target_archE1200ELNS1_3gpuE4ELNS1_3repE0EEENS1_30default_config_static_selectorELNS0_4arch9wavefront6targetE0EEEvSY_.numbered_sgpr, 26
	.set _ZN7rocprim17ROCPRIM_400000_NS6detail17trampoline_kernelINS0_13select_configILj256ELj13ELNS0_17block_load_methodE3ELS4_3ELS4_3ELNS0_20block_scan_algorithmE0ELj4294967295EEENS1_25partition_config_selectorILNS1_17partition_subalgoE3EjNS0_10empty_typeEbEEZZNS1_14partition_implILS8_3ELb0ES6_jNS0_17counting_iteratorIjlEEPS9_SE_NS0_5tupleIJPjSE_EEENSF_IJSE_SE_EEES9_SG_JZNS1_25segmented_radix_sort_implINS0_14default_configELb0EPKaPaPKlPlN2at6native12_GLOBAL__N_18offset_tEEE10hipError_tPvRmT1_PNSt15iterator_traitsISY_E10value_typeET2_T3_PNSZ_IS14_E10value_typeET4_jRbjT5_S1A_jjP12ihipStream_tbEUljE_EEESV_SW_SX_S14_S18_S1A_T6_T7_T9_mT8_S1C_bDpT10_ENKUlT_T0_E_clISt17integral_constantIbLb0EES1P_EEDaS1K_S1L_EUlS1K_E_NS1_11comp_targetILNS1_3genE10ELNS1_11target_archE1200ELNS1_3gpuE4ELNS1_3repE0EEENS1_30default_config_static_selectorELNS0_4arch9wavefront6targetE0EEEvSY_.num_named_barrier, 0
	.set _ZN7rocprim17ROCPRIM_400000_NS6detail17trampoline_kernelINS0_13select_configILj256ELj13ELNS0_17block_load_methodE3ELS4_3ELS4_3ELNS0_20block_scan_algorithmE0ELj4294967295EEENS1_25partition_config_selectorILNS1_17partition_subalgoE3EjNS0_10empty_typeEbEEZZNS1_14partition_implILS8_3ELb0ES6_jNS0_17counting_iteratorIjlEEPS9_SE_NS0_5tupleIJPjSE_EEENSF_IJSE_SE_EEES9_SG_JZNS1_25segmented_radix_sort_implINS0_14default_configELb0EPKaPaPKlPlN2at6native12_GLOBAL__N_18offset_tEEE10hipError_tPvRmT1_PNSt15iterator_traitsISY_E10value_typeET2_T3_PNSZ_IS14_E10value_typeET4_jRbjT5_S1A_jjP12ihipStream_tbEUljE_EEESV_SW_SX_S14_S18_S1A_T6_T7_T9_mT8_S1C_bDpT10_ENKUlT_T0_E_clISt17integral_constantIbLb0EES1P_EEDaS1K_S1L_EUlS1K_E_NS1_11comp_targetILNS1_3genE10ELNS1_11target_archE1200ELNS1_3gpuE4ELNS1_3repE0EEENS1_30default_config_static_selectorELNS0_4arch9wavefront6targetE0EEEvSY_.private_seg_size, 0
	.set _ZN7rocprim17ROCPRIM_400000_NS6detail17trampoline_kernelINS0_13select_configILj256ELj13ELNS0_17block_load_methodE3ELS4_3ELS4_3ELNS0_20block_scan_algorithmE0ELj4294967295EEENS1_25partition_config_selectorILNS1_17partition_subalgoE3EjNS0_10empty_typeEbEEZZNS1_14partition_implILS8_3ELb0ES6_jNS0_17counting_iteratorIjlEEPS9_SE_NS0_5tupleIJPjSE_EEENSF_IJSE_SE_EEES9_SG_JZNS1_25segmented_radix_sort_implINS0_14default_configELb0EPKaPaPKlPlN2at6native12_GLOBAL__N_18offset_tEEE10hipError_tPvRmT1_PNSt15iterator_traitsISY_E10value_typeET2_T3_PNSZ_IS14_E10value_typeET4_jRbjT5_S1A_jjP12ihipStream_tbEUljE_EEESV_SW_SX_S14_S18_S1A_T6_T7_T9_mT8_S1C_bDpT10_ENKUlT_T0_E_clISt17integral_constantIbLb0EES1P_EEDaS1K_S1L_EUlS1K_E_NS1_11comp_targetILNS1_3genE10ELNS1_11target_archE1200ELNS1_3gpuE4ELNS1_3repE0EEENS1_30default_config_static_selectorELNS0_4arch9wavefront6targetE0EEEvSY_.uses_vcc, 1
	.set _ZN7rocprim17ROCPRIM_400000_NS6detail17trampoline_kernelINS0_13select_configILj256ELj13ELNS0_17block_load_methodE3ELS4_3ELS4_3ELNS0_20block_scan_algorithmE0ELj4294967295EEENS1_25partition_config_selectorILNS1_17partition_subalgoE3EjNS0_10empty_typeEbEEZZNS1_14partition_implILS8_3ELb0ES6_jNS0_17counting_iteratorIjlEEPS9_SE_NS0_5tupleIJPjSE_EEENSF_IJSE_SE_EEES9_SG_JZNS1_25segmented_radix_sort_implINS0_14default_configELb0EPKaPaPKlPlN2at6native12_GLOBAL__N_18offset_tEEE10hipError_tPvRmT1_PNSt15iterator_traitsISY_E10value_typeET2_T3_PNSZ_IS14_E10value_typeET4_jRbjT5_S1A_jjP12ihipStream_tbEUljE_EEESV_SW_SX_S14_S18_S1A_T6_T7_T9_mT8_S1C_bDpT10_ENKUlT_T0_E_clISt17integral_constantIbLb0EES1P_EEDaS1K_S1L_EUlS1K_E_NS1_11comp_targetILNS1_3genE10ELNS1_11target_archE1200ELNS1_3gpuE4ELNS1_3repE0EEENS1_30default_config_static_selectorELNS0_4arch9wavefront6targetE0EEEvSY_.uses_flat_scratch, 0
	.set _ZN7rocprim17ROCPRIM_400000_NS6detail17trampoline_kernelINS0_13select_configILj256ELj13ELNS0_17block_load_methodE3ELS4_3ELS4_3ELNS0_20block_scan_algorithmE0ELj4294967295EEENS1_25partition_config_selectorILNS1_17partition_subalgoE3EjNS0_10empty_typeEbEEZZNS1_14partition_implILS8_3ELb0ES6_jNS0_17counting_iteratorIjlEEPS9_SE_NS0_5tupleIJPjSE_EEENSF_IJSE_SE_EEES9_SG_JZNS1_25segmented_radix_sort_implINS0_14default_configELb0EPKaPaPKlPlN2at6native12_GLOBAL__N_18offset_tEEE10hipError_tPvRmT1_PNSt15iterator_traitsISY_E10value_typeET2_T3_PNSZ_IS14_E10value_typeET4_jRbjT5_S1A_jjP12ihipStream_tbEUljE_EEESV_SW_SX_S14_S18_S1A_T6_T7_T9_mT8_S1C_bDpT10_ENKUlT_T0_E_clISt17integral_constantIbLb0EES1P_EEDaS1K_S1L_EUlS1K_E_NS1_11comp_targetILNS1_3genE10ELNS1_11target_archE1200ELNS1_3gpuE4ELNS1_3repE0EEENS1_30default_config_static_selectorELNS0_4arch9wavefront6targetE0EEEvSY_.has_dyn_sized_stack, 0
	.set _ZN7rocprim17ROCPRIM_400000_NS6detail17trampoline_kernelINS0_13select_configILj256ELj13ELNS0_17block_load_methodE3ELS4_3ELS4_3ELNS0_20block_scan_algorithmE0ELj4294967295EEENS1_25partition_config_selectorILNS1_17partition_subalgoE3EjNS0_10empty_typeEbEEZZNS1_14partition_implILS8_3ELb0ES6_jNS0_17counting_iteratorIjlEEPS9_SE_NS0_5tupleIJPjSE_EEENSF_IJSE_SE_EEES9_SG_JZNS1_25segmented_radix_sort_implINS0_14default_configELb0EPKaPaPKlPlN2at6native12_GLOBAL__N_18offset_tEEE10hipError_tPvRmT1_PNSt15iterator_traitsISY_E10value_typeET2_T3_PNSZ_IS14_E10value_typeET4_jRbjT5_S1A_jjP12ihipStream_tbEUljE_EEESV_SW_SX_S14_S18_S1A_T6_T7_T9_mT8_S1C_bDpT10_ENKUlT_T0_E_clISt17integral_constantIbLb0EES1P_EEDaS1K_S1L_EUlS1K_E_NS1_11comp_targetILNS1_3genE10ELNS1_11target_archE1200ELNS1_3gpuE4ELNS1_3repE0EEENS1_30default_config_static_selectorELNS0_4arch9wavefront6targetE0EEEvSY_.has_recursion, 0
	.set _ZN7rocprim17ROCPRIM_400000_NS6detail17trampoline_kernelINS0_13select_configILj256ELj13ELNS0_17block_load_methodE3ELS4_3ELS4_3ELNS0_20block_scan_algorithmE0ELj4294967295EEENS1_25partition_config_selectorILNS1_17partition_subalgoE3EjNS0_10empty_typeEbEEZZNS1_14partition_implILS8_3ELb0ES6_jNS0_17counting_iteratorIjlEEPS9_SE_NS0_5tupleIJPjSE_EEENSF_IJSE_SE_EEES9_SG_JZNS1_25segmented_radix_sort_implINS0_14default_configELb0EPKaPaPKlPlN2at6native12_GLOBAL__N_18offset_tEEE10hipError_tPvRmT1_PNSt15iterator_traitsISY_E10value_typeET2_T3_PNSZ_IS14_E10value_typeET4_jRbjT5_S1A_jjP12ihipStream_tbEUljE_EEESV_SW_SX_S14_S18_S1A_T6_T7_T9_mT8_S1C_bDpT10_ENKUlT_T0_E_clISt17integral_constantIbLb0EES1P_EEDaS1K_S1L_EUlS1K_E_NS1_11comp_targetILNS1_3genE10ELNS1_11target_archE1200ELNS1_3gpuE4ELNS1_3repE0EEENS1_30default_config_static_selectorELNS0_4arch9wavefront6targetE0EEEvSY_.has_indirect_call, 0
	.section	.AMDGPU.csdata,"",@progbits
; Kernel info:
; codeLenInByte = 10676
; TotalNumSgprs: 28
; NumVgprs: 69
; ScratchSize: 0
; MemoryBound: 0
; FloatMode: 240
; IeeeMode: 1
; LDSByteSize: 13320 bytes/workgroup (compile time only)
; SGPRBlocks: 0
; VGPRBlocks: 8
; NumSGPRsForWavesPerEU: 28
; NumVGPRsForWavesPerEU: 69
; Occupancy: 16
; WaveLimiterHint : 0
; COMPUTE_PGM_RSRC2:SCRATCH_EN: 0
; COMPUTE_PGM_RSRC2:USER_SGPR: 2
; COMPUTE_PGM_RSRC2:TRAP_HANDLER: 0
; COMPUTE_PGM_RSRC2:TGID_X_EN: 1
; COMPUTE_PGM_RSRC2:TGID_Y_EN: 0
; COMPUTE_PGM_RSRC2:TGID_Z_EN: 0
; COMPUTE_PGM_RSRC2:TIDIG_COMP_CNT: 0
	.section	.text._ZN7rocprim17ROCPRIM_400000_NS6detail17trampoline_kernelINS0_13select_configILj256ELj13ELNS0_17block_load_methodE3ELS4_3ELS4_3ELNS0_20block_scan_algorithmE0ELj4294967295EEENS1_25partition_config_selectorILNS1_17partition_subalgoE3EjNS0_10empty_typeEbEEZZNS1_14partition_implILS8_3ELb0ES6_jNS0_17counting_iteratorIjlEEPS9_SE_NS0_5tupleIJPjSE_EEENSF_IJSE_SE_EEES9_SG_JZNS1_25segmented_radix_sort_implINS0_14default_configELb0EPKaPaPKlPlN2at6native12_GLOBAL__N_18offset_tEEE10hipError_tPvRmT1_PNSt15iterator_traitsISY_E10value_typeET2_T3_PNSZ_IS14_E10value_typeET4_jRbjT5_S1A_jjP12ihipStream_tbEUljE_EEESV_SW_SX_S14_S18_S1A_T6_T7_T9_mT8_S1C_bDpT10_ENKUlT_T0_E_clISt17integral_constantIbLb0EES1P_EEDaS1K_S1L_EUlS1K_E_NS1_11comp_targetILNS1_3genE9ELNS1_11target_archE1100ELNS1_3gpuE3ELNS1_3repE0EEENS1_30default_config_static_selectorELNS0_4arch9wavefront6targetE0EEEvSY_,"axG",@progbits,_ZN7rocprim17ROCPRIM_400000_NS6detail17trampoline_kernelINS0_13select_configILj256ELj13ELNS0_17block_load_methodE3ELS4_3ELS4_3ELNS0_20block_scan_algorithmE0ELj4294967295EEENS1_25partition_config_selectorILNS1_17partition_subalgoE3EjNS0_10empty_typeEbEEZZNS1_14partition_implILS8_3ELb0ES6_jNS0_17counting_iteratorIjlEEPS9_SE_NS0_5tupleIJPjSE_EEENSF_IJSE_SE_EEES9_SG_JZNS1_25segmented_radix_sort_implINS0_14default_configELb0EPKaPaPKlPlN2at6native12_GLOBAL__N_18offset_tEEE10hipError_tPvRmT1_PNSt15iterator_traitsISY_E10value_typeET2_T3_PNSZ_IS14_E10value_typeET4_jRbjT5_S1A_jjP12ihipStream_tbEUljE_EEESV_SW_SX_S14_S18_S1A_T6_T7_T9_mT8_S1C_bDpT10_ENKUlT_T0_E_clISt17integral_constantIbLb0EES1P_EEDaS1K_S1L_EUlS1K_E_NS1_11comp_targetILNS1_3genE9ELNS1_11target_archE1100ELNS1_3gpuE3ELNS1_3repE0EEENS1_30default_config_static_selectorELNS0_4arch9wavefront6targetE0EEEvSY_,comdat
	.globl	_ZN7rocprim17ROCPRIM_400000_NS6detail17trampoline_kernelINS0_13select_configILj256ELj13ELNS0_17block_load_methodE3ELS4_3ELS4_3ELNS0_20block_scan_algorithmE0ELj4294967295EEENS1_25partition_config_selectorILNS1_17partition_subalgoE3EjNS0_10empty_typeEbEEZZNS1_14partition_implILS8_3ELb0ES6_jNS0_17counting_iteratorIjlEEPS9_SE_NS0_5tupleIJPjSE_EEENSF_IJSE_SE_EEES9_SG_JZNS1_25segmented_radix_sort_implINS0_14default_configELb0EPKaPaPKlPlN2at6native12_GLOBAL__N_18offset_tEEE10hipError_tPvRmT1_PNSt15iterator_traitsISY_E10value_typeET2_T3_PNSZ_IS14_E10value_typeET4_jRbjT5_S1A_jjP12ihipStream_tbEUljE_EEESV_SW_SX_S14_S18_S1A_T6_T7_T9_mT8_S1C_bDpT10_ENKUlT_T0_E_clISt17integral_constantIbLb0EES1P_EEDaS1K_S1L_EUlS1K_E_NS1_11comp_targetILNS1_3genE9ELNS1_11target_archE1100ELNS1_3gpuE3ELNS1_3repE0EEENS1_30default_config_static_selectorELNS0_4arch9wavefront6targetE0EEEvSY_ ; -- Begin function _ZN7rocprim17ROCPRIM_400000_NS6detail17trampoline_kernelINS0_13select_configILj256ELj13ELNS0_17block_load_methodE3ELS4_3ELS4_3ELNS0_20block_scan_algorithmE0ELj4294967295EEENS1_25partition_config_selectorILNS1_17partition_subalgoE3EjNS0_10empty_typeEbEEZZNS1_14partition_implILS8_3ELb0ES6_jNS0_17counting_iteratorIjlEEPS9_SE_NS0_5tupleIJPjSE_EEENSF_IJSE_SE_EEES9_SG_JZNS1_25segmented_radix_sort_implINS0_14default_configELb0EPKaPaPKlPlN2at6native12_GLOBAL__N_18offset_tEEE10hipError_tPvRmT1_PNSt15iterator_traitsISY_E10value_typeET2_T3_PNSZ_IS14_E10value_typeET4_jRbjT5_S1A_jjP12ihipStream_tbEUljE_EEESV_SW_SX_S14_S18_S1A_T6_T7_T9_mT8_S1C_bDpT10_ENKUlT_T0_E_clISt17integral_constantIbLb0EES1P_EEDaS1K_S1L_EUlS1K_E_NS1_11comp_targetILNS1_3genE9ELNS1_11target_archE1100ELNS1_3gpuE3ELNS1_3repE0EEENS1_30default_config_static_selectorELNS0_4arch9wavefront6targetE0EEEvSY_
	.p2align	8
	.type	_ZN7rocprim17ROCPRIM_400000_NS6detail17trampoline_kernelINS0_13select_configILj256ELj13ELNS0_17block_load_methodE3ELS4_3ELS4_3ELNS0_20block_scan_algorithmE0ELj4294967295EEENS1_25partition_config_selectorILNS1_17partition_subalgoE3EjNS0_10empty_typeEbEEZZNS1_14partition_implILS8_3ELb0ES6_jNS0_17counting_iteratorIjlEEPS9_SE_NS0_5tupleIJPjSE_EEENSF_IJSE_SE_EEES9_SG_JZNS1_25segmented_radix_sort_implINS0_14default_configELb0EPKaPaPKlPlN2at6native12_GLOBAL__N_18offset_tEEE10hipError_tPvRmT1_PNSt15iterator_traitsISY_E10value_typeET2_T3_PNSZ_IS14_E10value_typeET4_jRbjT5_S1A_jjP12ihipStream_tbEUljE_EEESV_SW_SX_S14_S18_S1A_T6_T7_T9_mT8_S1C_bDpT10_ENKUlT_T0_E_clISt17integral_constantIbLb0EES1P_EEDaS1K_S1L_EUlS1K_E_NS1_11comp_targetILNS1_3genE9ELNS1_11target_archE1100ELNS1_3gpuE3ELNS1_3repE0EEENS1_30default_config_static_selectorELNS0_4arch9wavefront6targetE0EEEvSY_,@function
_ZN7rocprim17ROCPRIM_400000_NS6detail17trampoline_kernelINS0_13select_configILj256ELj13ELNS0_17block_load_methodE3ELS4_3ELS4_3ELNS0_20block_scan_algorithmE0ELj4294967295EEENS1_25partition_config_selectorILNS1_17partition_subalgoE3EjNS0_10empty_typeEbEEZZNS1_14partition_implILS8_3ELb0ES6_jNS0_17counting_iteratorIjlEEPS9_SE_NS0_5tupleIJPjSE_EEENSF_IJSE_SE_EEES9_SG_JZNS1_25segmented_radix_sort_implINS0_14default_configELb0EPKaPaPKlPlN2at6native12_GLOBAL__N_18offset_tEEE10hipError_tPvRmT1_PNSt15iterator_traitsISY_E10value_typeET2_T3_PNSZ_IS14_E10value_typeET4_jRbjT5_S1A_jjP12ihipStream_tbEUljE_EEESV_SW_SX_S14_S18_S1A_T6_T7_T9_mT8_S1C_bDpT10_ENKUlT_T0_E_clISt17integral_constantIbLb0EES1P_EEDaS1K_S1L_EUlS1K_E_NS1_11comp_targetILNS1_3genE9ELNS1_11target_archE1100ELNS1_3gpuE3ELNS1_3repE0EEENS1_30default_config_static_selectorELNS0_4arch9wavefront6targetE0EEEvSY_: ; @_ZN7rocprim17ROCPRIM_400000_NS6detail17trampoline_kernelINS0_13select_configILj256ELj13ELNS0_17block_load_methodE3ELS4_3ELS4_3ELNS0_20block_scan_algorithmE0ELj4294967295EEENS1_25partition_config_selectorILNS1_17partition_subalgoE3EjNS0_10empty_typeEbEEZZNS1_14partition_implILS8_3ELb0ES6_jNS0_17counting_iteratorIjlEEPS9_SE_NS0_5tupleIJPjSE_EEENSF_IJSE_SE_EEES9_SG_JZNS1_25segmented_radix_sort_implINS0_14default_configELb0EPKaPaPKlPlN2at6native12_GLOBAL__N_18offset_tEEE10hipError_tPvRmT1_PNSt15iterator_traitsISY_E10value_typeET2_T3_PNSZ_IS14_E10value_typeET4_jRbjT5_S1A_jjP12ihipStream_tbEUljE_EEESV_SW_SX_S14_S18_S1A_T6_T7_T9_mT8_S1C_bDpT10_ENKUlT_T0_E_clISt17integral_constantIbLb0EES1P_EEDaS1K_S1L_EUlS1K_E_NS1_11comp_targetILNS1_3genE9ELNS1_11target_archE1100ELNS1_3gpuE3ELNS1_3repE0EEENS1_30default_config_static_selectorELNS0_4arch9wavefront6targetE0EEEvSY_
; %bb.0:
	.section	.rodata,"a",@progbits
	.p2align	6, 0x0
	.amdhsa_kernel _ZN7rocprim17ROCPRIM_400000_NS6detail17trampoline_kernelINS0_13select_configILj256ELj13ELNS0_17block_load_methodE3ELS4_3ELS4_3ELNS0_20block_scan_algorithmE0ELj4294967295EEENS1_25partition_config_selectorILNS1_17partition_subalgoE3EjNS0_10empty_typeEbEEZZNS1_14partition_implILS8_3ELb0ES6_jNS0_17counting_iteratorIjlEEPS9_SE_NS0_5tupleIJPjSE_EEENSF_IJSE_SE_EEES9_SG_JZNS1_25segmented_radix_sort_implINS0_14default_configELb0EPKaPaPKlPlN2at6native12_GLOBAL__N_18offset_tEEE10hipError_tPvRmT1_PNSt15iterator_traitsISY_E10value_typeET2_T3_PNSZ_IS14_E10value_typeET4_jRbjT5_S1A_jjP12ihipStream_tbEUljE_EEESV_SW_SX_S14_S18_S1A_T6_T7_T9_mT8_S1C_bDpT10_ENKUlT_T0_E_clISt17integral_constantIbLb0EES1P_EEDaS1K_S1L_EUlS1K_E_NS1_11comp_targetILNS1_3genE9ELNS1_11target_archE1100ELNS1_3gpuE3ELNS1_3repE0EEENS1_30default_config_static_selectorELNS0_4arch9wavefront6targetE0EEEvSY_
		.amdhsa_group_segment_fixed_size 0
		.amdhsa_private_segment_fixed_size 0
		.amdhsa_kernarg_size 144
		.amdhsa_user_sgpr_count 2
		.amdhsa_user_sgpr_dispatch_ptr 0
		.amdhsa_user_sgpr_queue_ptr 0
		.amdhsa_user_sgpr_kernarg_segment_ptr 1
		.amdhsa_user_sgpr_dispatch_id 0
		.amdhsa_user_sgpr_private_segment_size 0
		.amdhsa_wavefront_size32 1
		.amdhsa_uses_dynamic_stack 0
		.amdhsa_enable_private_segment 0
		.amdhsa_system_sgpr_workgroup_id_x 1
		.amdhsa_system_sgpr_workgroup_id_y 0
		.amdhsa_system_sgpr_workgroup_id_z 0
		.amdhsa_system_sgpr_workgroup_info 0
		.amdhsa_system_vgpr_workitem_id 0
		.amdhsa_next_free_vgpr 1
		.amdhsa_next_free_sgpr 1
		.amdhsa_reserve_vcc 0
		.amdhsa_float_round_mode_32 0
		.amdhsa_float_round_mode_16_64 0
		.amdhsa_float_denorm_mode_32 3
		.amdhsa_float_denorm_mode_16_64 3
		.amdhsa_fp16_overflow 0
		.amdhsa_workgroup_processor_mode 1
		.amdhsa_memory_ordered 1
		.amdhsa_forward_progress 1
		.amdhsa_inst_pref_size 0
		.amdhsa_round_robin_scheduling 0
		.amdhsa_exception_fp_ieee_invalid_op 0
		.amdhsa_exception_fp_denorm_src 0
		.amdhsa_exception_fp_ieee_div_zero 0
		.amdhsa_exception_fp_ieee_overflow 0
		.amdhsa_exception_fp_ieee_underflow 0
		.amdhsa_exception_fp_ieee_inexact 0
		.amdhsa_exception_int_div_zero 0
	.end_amdhsa_kernel
	.section	.text._ZN7rocprim17ROCPRIM_400000_NS6detail17trampoline_kernelINS0_13select_configILj256ELj13ELNS0_17block_load_methodE3ELS4_3ELS4_3ELNS0_20block_scan_algorithmE0ELj4294967295EEENS1_25partition_config_selectorILNS1_17partition_subalgoE3EjNS0_10empty_typeEbEEZZNS1_14partition_implILS8_3ELb0ES6_jNS0_17counting_iteratorIjlEEPS9_SE_NS0_5tupleIJPjSE_EEENSF_IJSE_SE_EEES9_SG_JZNS1_25segmented_radix_sort_implINS0_14default_configELb0EPKaPaPKlPlN2at6native12_GLOBAL__N_18offset_tEEE10hipError_tPvRmT1_PNSt15iterator_traitsISY_E10value_typeET2_T3_PNSZ_IS14_E10value_typeET4_jRbjT5_S1A_jjP12ihipStream_tbEUljE_EEESV_SW_SX_S14_S18_S1A_T6_T7_T9_mT8_S1C_bDpT10_ENKUlT_T0_E_clISt17integral_constantIbLb0EES1P_EEDaS1K_S1L_EUlS1K_E_NS1_11comp_targetILNS1_3genE9ELNS1_11target_archE1100ELNS1_3gpuE3ELNS1_3repE0EEENS1_30default_config_static_selectorELNS0_4arch9wavefront6targetE0EEEvSY_,"axG",@progbits,_ZN7rocprim17ROCPRIM_400000_NS6detail17trampoline_kernelINS0_13select_configILj256ELj13ELNS0_17block_load_methodE3ELS4_3ELS4_3ELNS0_20block_scan_algorithmE0ELj4294967295EEENS1_25partition_config_selectorILNS1_17partition_subalgoE3EjNS0_10empty_typeEbEEZZNS1_14partition_implILS8_3ELb0ES6_jNS0_17counting_iteratorIjlEEPS9_SE_NS0_5tupleIJPjSE_EEENSF_IJSE_SE_EEES9_SG_JZNS1_25segmented_radix_sort_implINS0_14default_configELb0EPKaPaPKlPlN2at6native12_GLOBAL__N_18offset_tEEE10hipError_tPvRmT1_PNSt15iterator_traitsISY_E10value_typeET2_T3_PNSZ_IS14_E10value_typeET4_jRbjT5_S1A_jjP12ihipStream_tbEUljE_EEESV_SW_SX_S14_S18_S1A_T6_T7_T9_mT8_S1C_bDpT10_ENKUlT_T0_E_clISt17integral_constantIbLb0EES1P_EEDaS1K_S1L_EUlS1K_E_NS1_11comp_targetILNS1_3genE9ELNS1_11target_archE1100ELNS1_3gpuE3ELNS1_3repE0EEENS1_30default_config_static_selectorELNS0_4arch9wavefront6targetE0EEEvSY_,comdat
.Lfunc_end367:
	.size	_ZN7rocprim17ROCPRIM_400000_NS6detail17trampoline_kernelINS0_13select_configILj256ELj13ELNS0_17block_load_methodE3ELS4_3ELS4_3ELNS0_20block_scan_algorithmE0ELj4294967295EEENS1_25partition_config_selectorILNS1_17partition_subalgoE3EjNS0_10empty_typeEbEEZZNS1_14partition_implILS8_3ELb0ES6_jNS0_17counting_iteratorIjlEEPS9_SE_NS0_5tupleIJPjSE_EEENSF_IJSE_SE_EEES9_SG_JZNS1_25segmented_radix_sort_implINS0_14default_configELb0EPKaPaPKlPlN2at6native12_GLOBAL__N_18offset_tEEE10hipError_tPvRmT1_PNSt15iterator_traitsISY_E10value_typeET2_T3_PNSZ_IS14_E10value_typeET4_jRbjT5_S1A_jjP12ihipStream_tbEUljE_EEESV_SW_SX_S14_S18_S1A_T6_T7_T9_mT8_S1C_bDpT10_ENKUlT_T0_E_clISt17integral_constantIbLb0EES1P_EEDaS1K_S1L_EUlS1K_E_NS1_11comp_targetILNS1_3genE9ELNS1_11target_archE1100ELNS1_3gpuE3ELNS1_3repE0EEENS1_30default_config_static_selectorELNS0_4arch9wavefront6targetE0EEEvSY_, .Lfunc_end367-_ZN7rocprim17ROCPRIM_400000_NS6detail17trampoline_kernelINS0_13select_configILj256ELj13ELNS0_17block_load_methodE3ELS4_3ELS4_3ELNS0_20block_scan_algorithmE0ELj4294967295EEENS1_25partition_config_selectorILNS1_17partition_subalgoE3EjNS0_10empty_typeEbEEZZNS1_14partition_implILS8_3ELb0ES6_jNS0_17counting_iteratorIjlEEPS9_SE_NS0_5tupleIJPjSE_EEENSF_IJSE_SE_EEES9_SG_JZNS1_25segmented_radix_sort_implINS0_14default_configELb0EPKaPaPKlPlN2at6native12_GLOBAL__N_18offset_tEEE10hipError_tPvRmT1_PNSt15iterator_traitsISY_E10value_typeET2_T3_PNSZ_IS14_E10value_typeET4_jRbjT5_S1A_jjP12ihipStream_tbEUljE_EEESV_SW_SX_S14_S18_S1A_T6_T7_T9_mT8_S1C_bDpT10_ENKUlT_T0_E_clISt17integral_constantIbLb0EES1P_EEDaS1K_S1L_EUlS1K_E_NS1_11comp_targetILNS1_3genE9ELNS1_11target_archE1100ELNS1_3gpuE3ELNS1_3repE0EEENS1_30default_config_static_selectorELNS0_4arch9wavefront6targetE0EEEvSY_
                                        ; -- End function
	.set _ZN7rocprim17ROCPRIM_400000_NS6detail17trampoline_kernelINS0_13select_configILj256ELj13ELNS0_17block_load_methodE3ELS4_3ELS4_3ELNS0_20block_scan_algorithmE0ELj4294967295EEENS1_25partition_config_selectorILNS1_17partition_subalgoE3EjNS0_10empty_typeEbEEZZNS1_14partition_implILS8_3ELb0ES6_jNS0_17counting_iteratorIjlEEPS9_SE_NS0_5tupleIJPjSE_EEENSF_IJSE_SE_EEES9_SG_JZNS1_25segmented_radix_sort_implINS0_14default_configELb0EPKaPaPKlPlN2at6native12_GLOBAL__N_18offset_tEEE10hipError_tPvRmT1_PNSt15iterator_traitsISY_E10value_typeET2_T3_PNSZ_IS14_E10value_typeET4_jRbjT5_S1A_jjP12ihipStream_tbEUljE_EEESV_SW_SX_S14_S18_S1A_T6_T7_T9_mT8_S1C_bDpT10_ENKUlT_T0_E_clISt17integral_constantIbLb0EES1P_EEDaS1K_S1L_EUlS1K_E_NS1_11comp_targetILNS1_3genE9ELNS1_11target_archE1100ELNS1_3gpuE3ELNS1_3repE0EEENS1_30default_config_static_selectorELNS0_4arch9wavefront6targetE0EEEvSY_.num_vgpr, 0
	.set _ZN7rocprim17ROCPRIM_400000_NS6detail17trampoline_kernelINS0_13select_configILj256ELj13ELNS0_17block_load_methodE3ELS4_3ELS4_3ELNS0_20block_scan_algorithmE0ELj4294967295EEENS1_25partition_config_selectorILNS1_17partition_subalgoE3EjNS0_10empty_typeEbEEZZNS1_14partition_implILS8_3ELb0ES6_jNS0_17counting_iteratorIjlEEPS9_SE_NS0_5tupleIJPjSE_EEENSF_IJSE_SE_EEES9_SG_JZNS1_25segmented_radix_sort_implINS0_14default_configELb0EPKaPaPKlPlN2at6native12_GLOBAL__N_18offset_tEEE10hipError_tPvRmT1_PNSt15iterator_traitsISY_E10value_typeET2_T3_PNSZ_IS14_E10value_typeET4_jRbjT5_S1A_jjP12ihipStream_tbEUljE_EEESV_SW_SX_S14_S18_S1A_T6_T7_T9_mT8_S1C_bDpT10_ENKUlT_T0_E_clISt17integral_constantIbLb0EES1P_EEDaS1K_S1L_EUlS1K_E_NS1_11comp_targetILNS1_3genE9ELNS1_11target_archE1100ELNS1_3gpuE3ELNS1_3repE0EEENS1_30default_config_static_selectorELNS0_4arch9wavefront6targetE0EEEvSY_.num_agpr, 0
	.set _ZN7rocprim17ROCPRIM_400000_NS6detail17trampoline_kernelINS0_13select_configILj256ELj13ELNS0_17block_load_methodE3ELS4_3ELS4_3ELNS0_20block_scan_algorithmE0ELj4294967295EEENS1_25partition_config_selectorILNS1_17partition_subalgoE3EjNS0_10empty_typeEbEEZZNS1_14partition_implILS8_3ELb0ES6_jNS0_17counting_iteratorIjlEEPS9_SE_NS0_5tupleIJPjSE_EEENSF_IJSE_SE_EEES9_SG_JZNS1_25segmented_radix_sort_implINS0_14default_configELb0EPKaPaPKlPlN2at6native12_GLOBAL__N_18offset_tEEE10hipError_tPvRmT1_PNSt15iterator_traitsISY_E10value_typeET2_T3_PNSZ_IS14_E10value_typeET4_jRbjT5_S1A_jjP12ihipStream_tbEUljE_EEESV_SW_SX_S14_S18_S1A_T6_T7_T9_mT8_S1C_bDpT10_ENKUlT_T0_E_clISt17integral_constantIbLb0EES1P_EEDaS1K_S1L_EUlS1K_E_NS1_11comp_targetILNS1_3genE9ELNS1_11target_archE1100ELNS1_3gpuE3ELNS1_3repE0EEENS1_30default_config_static_selectorELNS0_4arch9wavefront6targetE0EEEvSY_.numbered_sgpr, 0
	.set _ZN7rocprim17ROCPRIM_400000_NS6detail17trampoline_kernelINS0_13select_configILj256ELj13ELNS0_17block_load_methodE3ELS4_3ELS4_3ELNS0_20block_scan_algorithmE0ELj4294967295EEENS1_25partition_config_selectorILNS1_17partition_subalgoE3EjNS0_10empty_typeEbEEZZNS1_14partition_implILS8_3ELb0ES6_jNS0_17counting_iteratorIjlEEPS9_SE_NS0_5tupleIJPjSE_EEENSF_IJSE_SE_EEES9_SG_JZNS1_25segmented_radix_sort_implINS0_14default_configELb0EPKaPaPKlPlN2at6native12_GLOBAL__N_18offset_tEEE10hipError_tPvRmT1_PNSt15iterator_traitsISY_E10value_typeET2_T3_PNSZ_IS14_E10value_typeET4_jRbjT5_S1A_jjP12ihipStream_tbEUljE_EEESV_SW_SX_S14_S18_S1A_T6_T7_T9_mT8_S1C_bDpT10_ENKUlT_T0_E_clISt17integral_constantIbLb0EES1P_EEDaS1K_S1L_EUlS1K_E_NS1_11comp_targetILNS1_3genE9ELNS1_11target_archE1100ELNS1_3gpuE3ELNS1_3repE0EEENS1_30default_config_static_selectorELNS0_4arch9wavefront6targetE0EEEvSY_.num_named_barrier, 0
	.set _ZN7rocprim17ROCPRIM_400000_NS6detail17trampoline_kernelINS0_13select_configILj256ELj13ELNS0_17block_load_methodE3ELS4_3ELS4_3ELNS0_20block_scan_algorithmE0ELj4294967295EEENS1_25partition_config_selectorILNS1_17partition_subalgoE3EjNS0_10empty_typeEbEEZZNS1_14partition_implILS8_3ELb0ES6_jNS0_17counting_iteratorIjlEEPS9_SE_NS0_5tupleIJPjSE_EEENSF_IJSE_SE_EEES9_SG_JZNS1_25segmented_radix_sort_implINS0_14default_configELb0EPKaPaPKlPlN2at6native12_GLOBAL__N_18offset_tEEE10hipError_tPvRmT1_PNSt15iterator_traitsISY_E10value_typeET2_T3_PNSZ_IS14_E10value_typeET4_jRbjT5_S1A_jjP12ihipStream_tbEUljE_EEESV_SW_SX_S14_S18_S1A_T6_T7_T9_mT8_S1C_bDpT10_ENKUlT_T0_E_clISt17integral_constantIbLb0EES1P_EEDaS1K_S1L_EUlS1K_E_NS1_11comp_targetILNS1_3genE9ELNS1_11target_archE1100ELNS1_3gpuE3ELNS1_3repE0EEENS1_30default_config_static_selectorELNS0_4arch9wavefront6targetE0EEEvSY_.private_seg_size, 0
	.set _ZN7rocprim17ROCPRIM_400000_NS6detail17trampoline_kernelINS0_13select_configILj256ELj13ELNS0_17block_load_methodE3ELS4_3ELS4_3ELNS0_20block_scan_algorithmE0ELj4294967295EEENS1_25partition_config_selectorILNS1_17partition_subalgoE3EjNS0_10empty_typeEbEEZZNS1_14partition_implILS8_3ELb0ES6_jNS0_17counting_iteratorIjlEEPS9_SE_NS0_5tupleIJPjSE_EEENSF_IJSE_SE_EEES9_SG_JZNS1_25segmented_radix_sort_implINS0_14default_configELb0EPKaPaPKlPlN2at6native12_GLOBAL__N_18offset_tEEE10hipError_tPvRmT1_PNSt15iterator_traitsISY_E10value_typeET2_T3_PNSZ_IS14_E10value_typeET4_jRbjT5_S1A_jjP12ihipStream_tbEUljE_EEESV_SW_SX_S14_S18_S1A_T6_T7_T9_mT8_S1C_bDpT10_ENKUlT_T0_E_clISt17integral_constantIbLb0EES1P_EEDaS1K_S1L_EUlS1K_E_NS1_11comp_targetILNS1_3genE9ELNS1_11target_archE1100ELNS1_3gpuE3ELNS1_3repE0EEENS1_30default_config_static_selectorELNS0_4arch9wavefront6targetE0EEEvSY_.uses_vcc, 0
	.set _ZN7rocprim17ROCPRIM_400000_NS6detail17trampoline_kernelINS0_13select_configILj256ELj13ELNS0_17block_load_methodE3ELS4_3ELS4_3ELNS0_20block_scan_algorithmE0ELj4294967295EEENS1_25partition_config_selectorILNS1_17partition_subalgoE3EjNS0_10empty_typeEbEEZZNS1_14partition_implILS8_3ELb0ES6_jNS0_17counting_iteratorIjlEEPS9_SE_NS0_5tupleIJPjSE_EEENSF_IJSE_SE_EEES9_SG_JZNS1_25segmented_radix_sort_implINS0_14default_configELb0EPKaPaPKlPlN2at6native12_GLOBAL__N_18offset_tEEE10hipError_tPvRmT1_PNSt15iterator_traitsISY_E10value_typeET2_T3_PNSZ_IS14_E10value_typeET4_jRbjT5_S1A_jjP12ihipStream_tbEUljE_EEESV_SW_SX_S14_S18_S1A_T6_T7_T9_mT8_S1C_bDpT10_ENKUlT_T0_E_clISt17integral_constantIbLb0EES1P_EEDaS1K_S1L_EUlS1K_E_NS1_11comp_targetILNS1_3genE9ELNS1_11target_archE1100ELNS1_3gpuE3ELNS1_3repE0EEENS1_30default_config_static_selectorELNS0_4arch9wavefront6targetE0EEEvSY_.uses_flat_scratch, 0
	.set _ZN7rocprim17ROCPRIM_400000_NS6detail17trampoline_kernelINS0_13select_configILj256ELj13ELNS0_17block_load_methodE3ELS4_3ELS4_3ELNS0_20block_scan_algorithmE0ELj4294967295EEENS1_25partition_config_selectorILNS1_17partition_subalgoE3EjNS0_10empty_typeEbEEZZNS1_14partition_implILS8_3ELb0ES6_jNS0_17counting_iteratorIjlEEPS9_SE_NS0_5tupleIJPjSE_EEENSF_IJSE_SE_EEES9_SG_JZNS1_25segmented_radix_sort_implINS0_14default_configELb0EPKaPaPKlPlN2at6native12_GLOBAL__N_18offset_tEEE10hipError_tPvRmT1_PNSt15iterator_traitsISY_E10value_typeET2_T3_PNSZ_IS14_E10value_typeET4_jRbjT5_S1A_jjP12ihipStream_tbEUljE_EEESV_SW_SX_S14_S18_S1A_T6_T7_T9_mT8_S1C_bDpT10_ENKUlT_T0_E_clISt17integral_constantIbLb0EES1P_EEDaS1K_S1L_EUlS1K_E_NS1_11comp_targetILNS1_3genE9ELNS1_11target_archE1100ELNS1_3gpuE3ELNS1_3repE0EEENS1_30default_config_static_selectorELNS0_4arch9wavefront6targetE0EEEvSY_.has_dyn_sized_stack, 0
	.set _ZN7rocprim17ROCPRIM_400000_NS6detail17trampoline_kernelINS0_13select_configILj256ELj13ELNS0_17block_load_methodE3ELS4_3ELS4_3ELNS0_20block_scan_algorithmE0ELj4294967295EEENS1_25partition_config_selectorILNS1_17partition_subalgoE3EjNS0_10empty_typeEbEEZZNS1_14partition_implILS8_3ELb0ES6_jNS0_17counting_iteratorIjlEEPS9_SE_NS0_5tupleIJPjSE_EEENSF_IJSE_SE_EEES9_SG_JZNS1_25segmented_radix_sort_implINS0_14default_configELb0EPKaPaPKlPlN2at6native12_GLOBAL__N_18offset_tEEE10hipError_tPvRmT1_PNSt15iterator_traitsISY_E10value_typeET2_T3_PNSZ_IS14_E10value_typeET4_jRbjT5_S1A_jjP12ihipStream_tbEUljE_EEESV_SW_SX_S14_S18_S1A_T6_T7_T9_mT8_S1C_bDpT10_ENKUlT_T0_E_clISt17integral_constantIbLb0EES1P_EEDaS1K_S1L_EUlS1K_E_NS1_11comp_targetILNS1_3genE9ELNS1_11target_archE1100ELNS1_3gpuE3ELNS1_3repE0EEENS1_30default_config_static_selectorELNS0_4arch9wavefront6targetE0EEEvSY_.has_recursion, 0
	.set _ZN7rocprim17ROCPRIM_400000_NS6detail17trampoline_kernelINS0_13select_configILj256ELj13ELNS0_17block_load_methodE3ELS4_3ELS4_3ELNS0_20block_scan_algorithmE0ELj4294967295EEENS1_25partition_config_selectorILNS1_17partition_subalgoE3EjNS0_10empty_typeEbEEZZNS1_14partition_implILS8_3ELb0ES6_jNS0_17counting_iteratorIjlEEPS9_SE_NS0_5tupleIJPjSE_EEENSF_IJSE_SE_EEES9_SG_JZNS1_25segmented_radix_sort_implINS0_14default_configELb0EPKaPaPKlPlN2at6native12_GLOBAL__N_18offset_tEEE10hipError_tPvRmT1_PNSt15iterator_traitsISY_E10value_typeET2_T3_PNSZ_IS14_E10value_typeET4_jRbjT5_S1A_jjP12ihipStream_tbEUljE_EEESV_SW_SX_S14_S18_S1A_T6_T7_T9_mT8_S1C_bDpT10_ENKUlT_T0_E_clISt17integral_constantIbLb0EES1P_EEDaS1K_S1L_EUlS1K_E_NS1_11comp_targetILNS1_3genE9ELNS1_11target_archE1100ELNS1_3gpuE3ELNS1_3repE0EEENS1_30default_config_static_selectorELNS0_4arch9wavefront6targetE0EEEvSY_.has_indirect_call, 0
	.section	.AMDGPU.csdata,"",@progbits
; Kernel info:
; codeLenInByte = 0
; TotalNumSgprs: 0
; NumVgprs: 0
; ScratchSize: 0
; MemoryBound: 0
; FloatMode: 240
; IeeeMode: 1
; LDSByteSize: 0 bytes/workgroup (compile time only)
; SGPRBlocks: 0
; VGPRBlocks: 0
; NumSGPRsForWavesPerEU: 1
; NumVGPRsForWavesPerEU: 1
; Occupancy: 16
; WaveLimiterHint : 0
; COMPUTE_PGM_RSRC2:SCRATCH_EN: 0
; COMPUTE_PGM_RSRC2:USER_SGPR: 2
; COMPUTE_PGM_RSRC2:TRAP_HANDLER: 0
; COMPUTE_PGM_RSRC2:TGID_X_EN: 1
; COMPUTE_PGM_RSRC2:TGID_Y_EN: 0
; COMPUTE_PGM_RSRC2:TGID_Z_EN: 0
; COMPUTE_PGM_RSRC2:TIDIG_COMP_CNT: 0
	.section	.text._ZN7rocprim17ROCPRIM_400000_NS6detail17trampoline_kernelINS0_13select_configILj256ELj13ELNS0_17block_load_methodE3ELS4_3ELS4_3ELNS0_20block_scan_algorithmE0ELj4294967295EEENS1_25partition_config_selectorILNS1_17partition_subalgoE3EjNS0_10empty_typeEbEEZZNS1_14partition_implILS8_3ELb0ES6_jNS0_17counting_iteratorIjlEEPS9_SE_NS0_5tupleIJPjSE_EEENSF_IJSE_SE_EEES9_SG_JZNS1_25segmented_radix_sort_implINS0_14default_configELb0EPKaPaPKlPlN2at6native12_GLOBAL__N_18offset_tEEE10hipError_tPvRmT1_PNSt15iterator_traitsISY_E10value_typeET2_T3_PNSZ_IS14_E10value_typeET4_jRbjT5_S1A_jjP12ihipStream_tbEUljE_EEESV_SW_SX_S14_S18_S1A_T6_T7_T9_mT8_S1C_bDpT10_ENKUlT_T0_E_clISt17integral_constantIbLb0EES1P_EEDaS1K_S1L_EUlS1K_E_NS1_11comp_targetILNS1_3genE8ELNS1_11target_archE1030ELNS1_3gpuE2ELNS1_3repE0EEENS1_30default_config_static_selectorELNS0_4arch9wavefront6targetE0EEEvSY_,"axG",@progbits,_ZN7rocprim17ROCPRIM_400000_NS6detail17trampoline_kernelINS0_13select_configILj256ELj13ELNS0_17block_load_methodE3ELS4_3ELS4_3ELNS0_20block_scan_algorithmE0ELj4294967295EEENS1_25partition_config_selectorILNS1_17partition_subalgoE3EjNS0_10empty_typeEbEEZZNS1_14partition_implILS8_3ELb0ES6_jNS0_17counting_iteratorIjlEEPS9_SE_NS0_5tupleIJPjSE_EEENSF_IJSE_SE_EEES9_SG_JZNS1_25segmented_radix_sort_implINS0_14default_configELb0EPKaPaPKlPlN2at6native12_GLOBAL__N_18offset_tEEE10hipError_tPvRmT1_PNSt15iterator_traitsISY_E10value_typeET2_T3_PNSZ_IS14_E10value_typeET4_jRbjT5_S1A_jjP12ihipStream_tbEUljE_EEESV_SW_SX_S14_S18_S1A_T6_T7_T9_mT8_S1C_bDpT10_ENKUlT_T0_E_clISt17integral_constantIbLb0EES1P_EEDaS1K_S1L_EUlS1K_E_NS1_11comp_targetILNS1_3genE8ELNS1_11target_archE1030ELNS1_3gpuE2ELNS1_3repE0EEENS1_30default_config_static_selectorELNS0_4arch9wavefront6targetE0EEEvSY_,comdat
	.globl	_ZN7rocprim17ROCPRIM_400000_NS6detail17trampoline_kernelINS0_13select_configILj256ELj13ELNS0_17block_load_methodE3ELS4_3ELS4_3ELNS0_20block_scan_algorithmE0ELj4294967295EEENS1_25partition_config_selectorILNS1_17partition_subalgoE3EjNS0_10empty_typeEbEEZZNS1_14partition_implILS8_3ELb0ES6_jNS0_17counting_iteratorIjlEEPS9_SE_NS0_5tupleIJPjSE_EEENSF_IJSE_SE_EEES9_SG_JZNS1_25segmented_radix_sort_implINS0_14default_configELb0EPKaPaPKlPlN2at6native12_GLOBAL__N_18offset_tEEE10hipError_tPvRmT1_PNSt15iterator_traitsISY_E10value_typeET2_T3_PNSZ_IS14_E10value_typeET4_jRbjT5_S1A_jjP12ihipStream_tbEUljE_EEESV_SW_SX_S14_S18_S1A_T6_T7_T9_mT8_S1C_bDpT10_ENKUlT_T0_E_clISt17integral_constantIbLb0EES1P_EEDaS1K_S1L_EUlS1K_E_NS1_11comp_targetILNS1_3genE8ELNS1_11target_archE1030ELNS1_3gpuE2ELNS1_3repE0EEENS1_30default_config_static_selectorELNS0_4arch9wavefront6targetE0EEEvSY_ ; -- Begin function _ZN7rocprim17ROCPRIM_400000_NS6detail17trampoline_kernelINS0_13select_configILj256ELj13ELNS0_17block_load_methodE3ELS4_3ELS4_3ELNS0_20block_scan_algorithmE0ELj4294967295EEENS1_25partition_config_selectorILNS1_17partition_subalgoE3EjNS0_10empty_typeEbEEZZNS1_14partition_implILS8_3ELb0ES6_jNS0_17counting_iteratorIjlEEPS9_SE_NS0_5tupleIJPjSE_EEENSF_IJSE_SE_EEES9_SG_JZNS1_25segmented_radix_sort_implINS0_14default_configELb0EPKaPaPKlPlN2at6native12_GLOBAL__N_18offset_tEEE10hipError_tPvRmT1_PNSt15iterator_traitsISY_E10value_typeET2_T3_PNSZ_IS14_E10value_typeET4_jRbjT5_S1A_jjP12ihipStream_tbEUljE_EEESV_SW_SX_S14_S18_S1A_T6_T7_T9_mT8_S1C_bDpT10_ENKUlT_T0_E_clISt17integral_constantIbLb0EES1P_EEDaS1K_S1L_EUlS1K_E_NS1_11comp_targetILNS1_3genE8ELNS1_11target_archE1030ELNS1_3gpuE2ELNS1_3repE0EEENS1_30default_config_static_selectorELNS0_4arch9wavefront6targetE0EEEvSY_
	.p2align	8
	.type	_ZN7rocprim17ROCPRIM_400000_NS6detail17trampoline_kernelINS0_13select_configILj256ELj13ELNS0_17block_load_methodE3ELS4_3ELS4_3ELNS0_20block_scan_algorithmE0ELj4294967295EEENS1_25partition_config_selectorILNS1_17partition_subalgoE3EjNS0_10empty_typeEbEEZZNS1_14partition_implILS8_3ELb0ES6_jNS0_17counting_iteratorIjlEEPS9_SE_NS0_5tupleIJPjSE_EEENSF_IJSE_SE_EEES9_SG_JZNS1_25segmented_radix_sort_implINS0_14default_configELb0EPKaPaPKlPlN2at6native12_GLOBAL__N_18offset_tEEE10hipError_tPvRmT1_PNSt15iterator_traitsISY_E10value_typeET2_T3_PNSZ_IS14_E10value_typeET4_jRbjT5_S1A_jjP12ihipStream_tbEUljE_EEESV_SW_SX_S14_S18_S1A_T6_T7_T9_mT8_S1C_bDpT10_ENKUlT_T0_E_clISt17integral_constantIbLb0EES1P_EEDaS1K_S1L_EUlS1K_E_NS1_11comp_targetILNS1_3genE8ELNS1_11target_archE1030ELNS1_3gpuE2ELNS1_3repE0EEENS1_30default_config_static_selectorELNS0_4arch9wavefront6targetE0EEEvSY_,@function
_ZN7rocprim17ROCPRIM_400000_NS6detail17trampoline_kernelINS0_13select_configILj256ELj13ELNS0_17block_load_methodE3ELS4_3ELS4_3ELNS0_20block_scan_algorithmE0ELj4294967295EEENS1_25partition_config_selectorILNS1_17partition_subalgoE3EjNS0_10empty_typeEbEEZZNS1_14partition_implILS8_3ELb0ES6_jNS0_17counting_iteratorIjlEEPS9_SE_NS0_5tupleIJPjSE_EEENSF_IJSE_SE_EEES9_SG_JZNS1_25segmented_radix_sort_implINS0_14default_configELb0EPKaPaPKlPlN2at6native12_GLOBAL__N_18offset_tEEE10hipError_tPvRmT1_PNSt15iterator_traitsISY_E10value_typeET2_T3_PNSZ_IS14_E10value_typeET4_jRbjT5_S1A_jjP12ihipStream_tbEUljE_EEESV_SW_SX_S14_S18_S1A_T6_T7_T9_mT8_S1C_bDpT10_ENKUlT_T0_E_clISt17integral_constantIbLb0EES1P_EEDaS1K_S1L_EUlS1K_E_NS1_11comp_targetILNS1_3genE8ELNS1_11target_archE1030ELNS1_3gpuE2ELNS1_3repE0EEENS1_30default_config_static_selectorELNS0_4arch9wavefront6targetE0EEEvSY_: ; @_ZN7rocprim17ROCPRIM_400000_NS6detail17trampoline_kernelINS0_13select_configILj256ELj13ELNS0_17block_load_methodE3ELS4_3ELS4_3ELNS0_20block_scan_algorithmE0ELj4294967295EEENS1_25partition_config_selectorILNS1_17partition_subalgoE3EjNS0_10empty_typeEbEEZZNS1_14partition_implILS8_3ELb0ES6_jNS0_17counting_iteratorIjlEEPS9_SE_NS0_5tupleIJPjSE_EEENSF_IJSE_SE_EEES9_SG_JZNS1_25segmented_radix_sort_implINS0_14default_configELb0EPKaPaPKlPlN2at6native12_GLOBAL__N_18offset_tEEE10hipError_tPvRmT1_PNSt15iterator_traitsISY_E10value_typeET2_T3_PNSZ_IS14_E10value_typeET4_jRbjT5_S1A_jjP12ihipStream_tbEUljE_EEESV_SW_SX_S14_S18_S1A_T6_T7_T9_mT8_S1C_bDpT10_ENKUlT_T0_E_clISt17integral_constantIbLb0EES1P_EEDaS1K_S1L_EUlS1K_E_NS1_11comp_targetILNS1_3genE8ELNS1_11target_archE1030ELNS1_3gpuE2ELNS1_3repE0EEENS1_30default_config_static_selectorELNS0_4arch9wavefront6targetE0EEEvSY_
; %bb.0:
	.section	.rodata,"a",@progbits
	.p2align	6, 0x0
	.amdhsa_kernel _ZN7rocprim17ROCPRIM_400000_NS6detail17trampoline_kernelINS0_13select_configILj256ELj13ELNS0_17block_load_methodE3ELS4_3ELS4_3ELNS0_20block_scan_algorithmE0ELj4294967295EEENS1_25partition_config_selectorILNS1_17partition_subalgoE3EjNS0_10empty_typeEbEEZZNS1_14partition_implILS8_3ELb0ES6_jNS0_17counting_iteratorIjlEEPS9_SE_NS0_5tupleIJPjSE_EEENSF_IJSE_SE_EEES9_SG_JZNS1_25segmented_radix_sort_implINS0_14default_configELb0EPKaPaPKlPlN2at6native12_GLOBAL__N_18offset_tEEE10hipError_tPvRmT1_PNSt15iterator_traitsISY_E10value_typeET2_T3_PNSZ_IS14_E10value_typeET4_jRbjT5_S1A_jjP12ihipStream_tbEUljE_EEESV_SW_SX_S14_S18_S1A_T6_T7_T9_mT8_S1C_bDpT10_ENKUlT_T0_E_clISt17integral_constantIbLb0EES1P_EEDaS1K_S1L_EUlS1K_E_NS1_11comp_targetILNS1_3genE8ELNS1_11target_archE1030ELNS1_3gpuE2ELNS1_3repE0EEENS1_30default_config_static_selectorELNS0_4arch9wavefront6targetE0EEEvSY_
		.amdhsa_group_segment_fixed_size 0
		.amdhsa_private_segment_fixed_size 0
		.amdhsa_kernarg_size 144
		.amdhsa_user_sgpr_count 2
		.amdhsa_user_sgpr_dispatch_ptr 0
		.amdhsa_user_sgpr_queue_ptr 0
		.amdhsa_user_sgpr_kernarg_segment_ptr 1
		.amdhsa_user_sgpr_dispatch_id 0
		.amdhsa_user_sgpr_private_segment_size 0
		.amdhsa_wavefront_size32 1
		.amdhsa_uses_dynamic_stack 0
		.amdhsa_enable_private_segment 0
		.amdhsa_system_sgpr_workgroup_id_x 1
		.amdhsa_system_sgpr_workgroup_id_y 0
		.amdhsa_system_sgpr_workgroup_id_z 0
		.amdhsa_system_sgpr_workgroup_info 0
		.amdhsa_system_vgpr_workitem_id 0
		.amdhsa_next_free_vgpr 1
		.amdhsa_next_free_sgpr 1
		.amdhsa_reserve_vcc 0
		.amdhsa_float_round_mode_32 0
		.amdhsa_float_round_mode_16_64 0
		.amdhsa_float_denorm_mode_32 3
		.amdhsa_float_denorm_mode_16_64 3
		.amdhsa_fp16_overflow 0
		.amdhsa_workgroup_processor_mode 1
		.amdhsa_memory_ordered 1
		.amdhsa_forward_progress 1
		.amdhsa_inst_pref_size 0
		.amdhsa_round_robin_scheduling 0
		.amdhsa_exception_fp_ieee_invalid_op 0
		.amdhsa_exception_fp_denorm_src 0
		.amdhsa_exception_fp_ieee_div_zero 0
		.amdhsa_exception_fp_ieee_overflow 0
		.amdhsa_exception_fp_ieee_underflow 0
		.amdhsa_exception_fp_ieee_inexact 0
		.amdhsa_exception_int_div_zero 0
	.end_amdhsa_kernel
	.section	.text._ZN7rocprim17ROCPRIM_400000_NS6detail17trampoline_kernelINS0_13select_configILj256ELj13ELNS0_17block_load_methodE3ELS4_3ELS4_3ELNS0_20block_scan_algorithmE0ELj4294967295EEENS1_25partition_config_selectorILNS1_17partition_subalgoE3EjNS0_10empty_typeEbEEZZNS1_14partition_implILS8_3ELb0ES6_jNS0_17counting_iteratorIjlEEPS9_SE_NS0_5tupleIJPjSE_EEENSF_IJSE_SE_EEES9_SG_JZNS1_25segmented_radix_sort_implINS0_14default_configELb0EPKaPaPKlPlN2at6native12_GLOBAL__N_18offset_tEEE10hipError_tPvRmT1_PNSt15iterator_traitsISY_E10value_typeET2_T3_PNSZ_IS14_E10value_typeET4_jRbjT5_S1A_jjP12ihipStream_tbEUljE_EEESV_SW_SX_S14_S18_S1A_T6_T7_T9_mT8_S1C_bDpT10_ENKUlT_T0_E_clISt17integral_constantIbLb0EES1P_EEDaS1K_S1L_EUlS1K_E_NS1_11comp_targetILNS1_3genE8ELNS1_11target_archE1030ELNS1_3gpuE2ELNS1_3repE0EEENS1_30default_config_static_selectorELNS0_4arch9wavefront6targetE0EEEvSY_,"axG",@progbits,_ZN7rocprim17ROCPRIM_400000_NS6detail17trampoline_kernelINS0_13select_configILj256ELj13ELNS0_17block_load_methodE3ELS4_3ELS4_3ELNS0_20block_scan_algorithmE0ELj4294967295EEENS1_25partition_config_selectorILNS1_17partition_subalgoE3EjNS0_10empty_typeEbEEZZNS1_14partition_implILS8_3ELb0ES6_jNS0_17counting_iteratorIjlEEPS9_SE_NS0_5tupleIJPjSE_EEENSF_IJSE_SE_EEES9_SG_JZNS1_25segmented_radix_sort_implINS0_14default_configELb0EPKaPaPKlPlN2at6native12_GLOBAL__N_18offset_tEEE10hipError_tPvRmT1_PNSt15iterator_traitsISY_E10value_typeET2_T3_PNSZ_IS14_E10value_typeET4_jRbjT5_S1A_jjP12ihipStream_tbEUljE_EEESV_SW_SX_S14_S18_S1A_T6_T7_T9_mT8_S1C_bDpT10_ENKUlT_T0_E_clISt17integral_constantIbLb0EES1P_EEDaS1K_S1L_EUlS1K_E_NS1_11comp_targetILNS1_3genE8ELNS1_11target_archE1030ELNS1_3gpuE2ELNS1_3repE0EEENS1_30default_config_static_selectorELNS0_4arch9wavefront6targetE0EEEvSY_,comdat
.Lfunc_end368:
	.size	_ZN7rocprim17ROCPRIM_400000_NS6detail17trampoline_kernelINS0_13select_configILj256ELj13ELNS0_17block_load_methodE3ELS4_3ELS4_3ELNS0_20block_scan_algorithmE0ELj4294967295EEENS1_25partition_config_selectorILNS1_17partition_subalgoE3EjNS0_10empty_typeEbEEZZNS1_14partition_implILS8_3ELb0ES6_jNS0_17counting_iteratorIjlEEPS9_SE_NS0_5tupleIJPjSE_EEENSF_IJSE_SE_EEES9_SG_JZNS1_25segmented_radix_sort_implINS0_14default_configELb0EPKaPaPKlPlN2at6native12_GLOBAL__N_18offset_tEEE10hipError_tPvRmT1_PNSt15iterator_traitsISY_E10value_typeET2_T3_PNSZ_IS14_E10value_typeET4_jRbjT5_S1A_jjP12ihipStream_tbEUljE_EEESV_SW_SX_S14_S18_S1A_T6_T7_T9_mT8_S1C_bDpT10_ENKUlT_T0_E_clISt17integral_constantIbLb0EES1P_EEDaS1K_S1L_EUlS1K_E_NS1_11comp_targetILNS1_3genE8ELNS1_11target_archE1030ELNS1_3gpuE2ELNS1_3repE0EEENS1_30default_config_static_selectorELNS0_4arch9wavefront6targetE0EEEvSY_, .Lfunc_end368-_ZN7rocprim17ROCPRIM_400000_NS6detail17trampoline_kernelINS0_13select_configILj256ELj13ELNS0_17block_load_methodE3ELS4_3ELS4_3ELNS0_20block_scan_algorithmE0ELj4294967295EEENS1_25partition_config_selectorILNS1_17partition_subalgoE3EjNS0_10empty_typeEbEEZZNS1_14partition_implILS8_3ELb0ES6_jNS0_17counting_iteratorIjlEEPS9_SE_NS0_5tupleIJPjSE_EEENSF_IJSE_SE_EEES9_SG_JZNS1_25segmented_radix_sort_implINS0_14default_configELb0EPKaPaPKlPlN2at6native12_GLOBAL__N_18offset_tEEE10hipError_tPvRmT1_PNSt15iterator_traitsISY_E10value_typeET2_T3_PNSZ_IS14_E10value_typeET4_jRbjT5_S1A_jjP12ihipStream_tbEUljE_EEESV_SW_SX_S14_S18_S1A_T6_T7_T9_mT8_S1C_bDpT10_ENKUlT_T0_E_clISt17integral_constantIbLb0EES1P_EEDaS1K_S1L_EUlS1K_E_NS1_11comp_targetILNS1_3genE8ELNS1_11target_archE1030ELNS1_3gpuE2ELNS1_3repE0EEENS1_30default_config_static_selectorELNS0_4arch9wavefront6targetE0EEEvSY_
                                        ; -- End function
	.set _ZN7rocprim17ROCPRIM_400000_NS6detail17trampoline_kernelINS0_13select_configILj256ELj13ELNS0_17block_load_methodE3ELS4_3ELS4_3ELNS0_20block_scan_algorithmE0ELj4294967295EEENS1_25partition_config_selectorILNS1_17partition_subalgoE3EjNS0_10empty_typeEbEEZZNS1_14partition_implILS8_3ELb0ES6_jNS0_17counting_iteratorIjlEEPS9_SE_NS0_5tupleIJPjSE_EEENSF_IJSE_SE_EEES9_SG_JZNS1_25segmented_radix_sort_implINS0_14default_configELb0EPKaPaPKlPlN2at6native12_GLOBAL__N_18offset_tEEE10hipError_tPvRmT1_PNSt15iterator_traitsISY_E10value_typeET2_T3_PNSZ_IS14_E10value_typeET4_jRbjT5_S1A_jjP12ihipStream_tbEUljE_EEESV_SW_SX_S14_S18_S1A_T6_T7_T9_mT8_S1C_bDpT10_ENKUlT_T0_E_clISt17integral_constantIbLb0EES1P_EEDaS1K_S1L_EUlS1K_E_NS1_11comp_targetILNS1_3genE8ELNS1_11target_archE1030ELNS1_3gpuE2ELNS1_3repE0EEENS1_30default_config_static_selectorELNS0_4arch9wavefront6targetE0EEEvSY_.num_vgpr, 0
	.set _ZN7rocprim17ROCPRIM_400000_NS6detail17trampoline_kernelINS0_13select_configILj256ELj13ELNS0_17block_load_methodE3ELS4_3ELS4_3ELNS0_20block_scan_algorithmE0ELj4294967295EEENS1_25partition_config_selectorILNS1_17partition_subalgoE3EjNS0_10empty_typeEbEEZZNS1_14partition_implILS8_3ELb0ES6_jNS0_17counting_iteratorIjlEEPS9_SE_NS0_5tupleIJPjSE_EEENSF_IJSE_SE_EEES9_SG_JZNS1_25segmented_radix_sort_implINS0_14default_configELb0EPKaPaPKlPlN2at6native12_GLOBAL__N_18offset_tEEE10hipError_tPvRmT1_PNSt15iterator_traitsISY_E10value_typeET2_T3_PNSZ_IS14_E10value_typeET4_jRbjT5_S1A_jjP12ihipStream_tbEUljE_EEESV_SW_SX_S14_S18_S1A_T6_T7_T9_mT8_S1C_bDpT10_ENKUlT_T0_E_clISt17integral_constantIbLb0EES1P_EEDaS1K_S1L_EUlS1K_E_NS1_11comp_targetILNS1_3genE8ELNS1_11target_archE1030ELNS1_3gpuE2ELNS1_3repE0EEENS1_30default_config_static_selectorELNS0_4arch9wavefront6targetE0EEEvSY_.num_agpr, 0
	.set _ZN7rocprim17ROCPRIM_400000_NS6detail17trampoline_kernelINS0_13select_configILj256ELj13ELNS0_17block_load_methodE3ELS4_3ELS4_3ELNS0_20block_scan_algorithmE0ELj4294967295EEENS1_25partition_config_selectorILNS1_17partition_subalgoE3EjNS0_10empty_typeEbEEZZNS1_14partition_implILS8_3ELb0ES6_jNS0_17counting_iteratorIjlEEPS9_SE_NS0_5tupleIJPjSE_EEENSF_IJSE_SE_EEES9_SG_JZNS1_25segmented_radix_sort_implINS0_14default_configELb0EPKaPaPKlPlN2at6native12_GLOBAL__N_18offset_tEEE10hipError_tPvRmT1_PNSt15iterator_traitsISY_E10value_typeET2_T3_PNSZ_IS14_E10value_typeET4_jRbjT5_S1A_jjP12ihipStream_tbEUljE_EEESV_SW_SX_S14_S18_S1A_T6_T7_T9_mT8_S1C_bDpT10_ENKUlT_T0_E_clISt17integral_constantIbLb0EES1P_EEDaS1K_S1L_EUlS1K_E_NS1_11comp_targetILNS1_3genE8ELNS1_11target_archE1030ELNS1_3gpuE2ELNS1_3repE0EEENS1_30default_config_static_selectorELNS0_4arch9wavefront6targetE0EEEvSY_.numbered_sgpr, 0
	.set _ZN7rocprim17ROCPRIM_400000_NS6detail17trampoline_kernelINS0_13select_configILj256ELj13ELNS0_17block_load_methodE3ELS4_3ELS4_3ELNS0_20block_scan_algorithmE0ELj4294967295EEENS1_25partition_config_selectorILNS1_17partition_subalgoE3EjNS0_10empty_typeEbEEZZNS1_14partition_implILS8_3ELb0ES6_jNS0_17counting_iteratorIjlEEPS9_SE_NS0_5tupleIJPjSE_EEENSF_IJSE_SE_EEES9_SG_JZNS1_25segmented_radix_sort_implINS0_14default_configELb0EPKaPaPKlPlN2at6native12_GLOBAL__N_18offset_tEEE10hipError_tPvRmT1_PNSt15iterator_traitsISY_E10value_typeET2_T3_PNSZ_IS14_E10value_typeET4_jRbjT5_S1A_jjP12ihipStream_tbEUljE_EEESV_SW_SX_S14_S18_S1A_T6_T7_T9_mT8_S1C_bDpT10_ENKUlT_T0_E_clISt17integral_constantIbLb0EES1P_EEDaS1K_S1L_EUlS1K_E_NS1_11comp_targetILNS1_3genE8ELNS1_11target_archE1030ELNS1_3gpuE2ELNS1_3repE0EEENS1_30default_config_static_selectorELNS0_4arch9wavefront6targetE0EEEvSY_.num_named_barrier, 0
	.set _ZN7rocprim17ROCPRIM_400000_NS6detail17trampoline_kernelINS0_13select_configILj256ELj13ELNS0_17block_load_methodE3ELS4_3ELS4_3ELNS0_20block_scan_algorithmE0ELj4294967295EEENS1_25partition_config_selectorILNS1_17partition_subalgoE3EjNS0_10empty_typeEbEEZZNS1_14partition_implILS8_3ELb0ES6_jNS0_17counting_iteratorIjlEEPS9_SE_NS0_5tupleIJPjSE_EEENSF_IJSE_SE_EEES9_SG_JZNS1_25segmented_radix_sort_implINS0_14default_configELb0EPKaPaPKlPlN2at6native12_GLOBAL__N_18offset_tEEE10hipError_tPvRmT1_PNSt15iterator_traitsISY_E10value_typeET2_T3_PNSZ_IS14_E10value_typeET4_jRbjT5_S1A_jjP12ihipStream_tbEUljE_EEESV_SW_SX_S14_S18_S1A_T6_T7_T9_mT8_S1C_bDpT10_ENKUlT_T0_E_clISt17integral_constantIbLb0EES1P_EEDaS1K_S1L_EUlS1K_E_NS1_11comp_targetILNS1_3genE8ELNS1_11target_archE1030ELNS1_3gpuE2ELNS1_3repE0EEENS1_30default_config_static_selectorELNS0_4arch9wavefront6targetE0EEEvSY_.private_seg_size, 0
	.set _ZN7rocprim17ROCPRIM_400000_NS6detail17trampoline_kernelINS0_13select_configILj256ELj13ELNS0_17block_load_methodE3ELS4_3ELS4_3ELNS0_20block_scan_algorithmE0ELj4294967295EEENS1_25partition_config_selectorILNS1_17partition_subalgoE3EjNS0_10empty_typeEbEEZZNS1_14partition_implILS8_3ELb0ES6_jNS0_17counting_iteratorIjlEEPS9_SE_NS0_5tupleIJPjSE_EEENSF_IJSE_SE_EEES9_SG_JZNS1_25segmented_radix_sort_implINS0_14default_configELb0EPKaPaPKlPlN2at6native12_GLOBAL__N_18offset_tEEE10hipError_tPvRmT1_PNSt15iterator_traitsISY_E10value_typeET2_T3_PNSZ_IS14_E10value_typeET4_jRbjT5_S1A_jjP12ihipStream_tbEUljE_EEESV_SW_SX_S14_S18_S1A_T6_T7_T9_mT8_S1C_bDpT10_ENKUlT_T0_E_clISt17integral_constantIbLb0EES1P_EEDaS1K_S1L_EUlS1K_E_NS1_11comp_targetILNS1_3genE8ELNS1_11target_archE1030ELNS1_3gpuE2ELNS1_3repE0EEENS1_30default_config_static_selectorELNS0_4arch9wavefront6targetE0EEEvSY_.uses_vcc, 0
	.set _ZN7rocprim17ROCPRIM_400000_NS6detail17trampoline_kernelINS0_13select_configILj256ELj13ELNS0_17block_load_methodE3ELS4_3ELS4_3ELNS0_20block_scan_algorithmE0ELj4294967295EEENS1_25partition_config_selectorILNS1_17partition_subalgoE3EjNS0_10empty_typeEbEEZZNS1_14partition_implILS8_3ELb0ES6_jNS0_17counting_iteratorIjlEEPS9_SE_NS0_5tupleIJPjSE_EEENSF_IJSE_SE_EEES9_SG_JZNS1_25segmented_radix_sort_implINS0_14default_configELb0EPKaPaPKlPlN2at6native12_GLOBAL__N_18offset_tEEE10hipError_tPvRmT1_PNSt15iterator_traitsISY_E10value_typeET2_T3_PNSZ_IS14_E10value_typeET4_jRbjT5_S1A_jjP12ihipStream_tbEUljE_EEESV_SW_SX_S14_S18_S1A_T6_T7_T9_mT8_S1C_bDpT10_ENKUlT_T0_E_clISt17integral_constantIbLb0EES1P_EEDaS1K_S1L_EUlS1K_E_NS1_11comp_targetILNS1_3genE8ELNS1_11target_archE1030ELNS1_3gpuE2ELNS1_3repE0EEENS1_30default_config_static_selectorELNS0_4arch9wavefront6targetE0EEEvSY_.uses_flat_scratch, 0
	.set _ZN7rocprim17ROCPRIM_400000_NS6detail17trampoline_kernelINS0_13select_configILj256ELj13ELNS0_17block_load_methodE3ELS4_3ELS4_3ELNS0_20block_scan_algorithmE0ELj4294967295EEENS1_25partition_config_selectorILNS1_17partition_subalgoE3EjNS0_10empty_typeEbEEZZNS1_14partition_implILS8_3ELb0ES6_jNS0_17counting_iteratorIjlEEPS9_SE_NS0_5tupleIJPjSE_EEENSF_IJSE_SE_EEES9_SG_JZNS1_25segmented_radix_sort_implINS0_14default_configELb0EPKaPaPKlPlN2at6native12_GLOBAL__N_18offset_tEEE10hipError_tPvRmT1_PNSt15iterator_traitsISY_E10value_typeET2_T3_PNSZ_IS14_E10value_typeET4_jRbjT5_S1A_jjP12ihipStream_tbEUljE_EEESV_SW_SX_S14_S18_S1A_T6_T7_T9_mT8_S1C_bDpT10_ENKUlT_T0_E_clISt17integral_constantIbLb0EES1P_EEDaS1K_S1L_EUlS1K_E_NS1_11comp_targetILNS1_3genE8ELNS1_11target_archE1030ELNS1_3gpuE2ELNS1_3repE0EEENS1_30default_config_static_selectorELNS0_4arch9wavefront6targetE0EEEvSY_.has_dyn_sized_stack, 0
	.set _ZN7rocprim17ROCPRIM_400000_NS6detail17trampoline_kernelINS0_13select_configILj256ELj13ELNS0_17block_load_methodE3ELS4_3ELS4_3ELNS0_20block_scan_algorithmE0ELj4294967295EEENS1_25partition_config_selectorILNS1_17partition_subalgoE3EjNS0_10empty_typeEbEEZZNS1_14partition_implILS8_3ELb0ES6_jNS0_17counting_iteratorIjlEEPS9_SE_NS0_5tupleIJPjSE_EEENSF_IJSE_SE_EEES9_SG_JZNS1_25segmented_radix_sort_implINS0_14default_configELb0EPKaPaPKlPlN2at6native12_GLOBAL__N_18offset_tEEE10hipError_tPvRmT1_PNSt15iterator_traitsISY_E10value_typeET2_T3_PNSZ_IS14_E10value_typeET4_jRbjT5_S1A_jjP12ihipStream_tbEUljE_EEESV_SW_SX_S14_S18_S1A_T6_T7_T9_mT8_S1C_bDpT10_ENKUlT_T0_E_clISt17integral_constantIbLb0EES1P_EEDaS1K_S1L_EUlS1K_E_NS1_11comp_targetILNS1_3genE8ELNS1_11target_archE1030ELNS1_3gpuE2ELNS1_3repE0EEENS1_30default_config_static_selectorELNS0_4arch9wavefront6targetE0EEEvSY_.has_recursion, 0
	.set _ZN7rocprim17ROCPRIM_400000_NS6detail17trampoline_kernelINS0_13select_configILj256ELj13ELNS0_17block_load_methodE3ELS4_3ELS4_3ELNS0_20block_scan_algorithmE0ELj4294967295EEENS1_25partition_config_selectorILNS1_17partition_subalgoE3EjNS0_10empty_typeEbEEZZNS1_14partition_implILS8_3ELb0ES6_jNS0_17counting_iteratorIjlEEPS9_SE_NS0_5tupleIJPjSE_EEENSF_IJSE_SE_EEES9_SG_JZNS1_25segmented_radix_sort_implINS0_14default_configELb0EPKaPaPKlPlN2at6native12_GLOBAL__N_18offset_tEEE10hipError_tPvRmT1_PNSt15iterator_traitsISY_E10value_typeET2_T3_PNSZ_IS14_E10value_typeET4_jRbjT5_S1A_jjP12ihipStream_tbEUljE_EEESV_SW_SX_S14_S18_S1A_T6_T7_T9_mT8_S1C_bDpT10_ENKUlT_T0_E_clISt17integral_constantIbLb0EES1P_EEDaS1K_S1L_EUlS1K_E_NS1_11comp_targetILNS1_3genE8ELNS1_11target_archE1030ELNS1_3gpuE2ELNS1_3repE0EEENS1_30default_config_static_selectorELNS0_4arch9wavefront6targetE0EEEvSY_.has_indirect_call, 0
	.section	.AMDGPU.csdata,"",@progbits
; Kernel info:
; codeLenInByte = 0
; TotalNumSgprs: 0
; NumVgprs: 0
; ScratchSize: 0
; MemoryBound: 0
; FloatMode: 240
; IeeeMode: 1
; LDSByteSize: 0 bytes/workgroup (compile time only)
; SGPRBlocks: 0
; VGPRBlocks: 0
; NumSGPRsForWavesPerEU: 1
; NumVGPRsForWavesPerEU: 1
; Occupancy: 16
; WaveLimiterHint : 0
; COMPUTE_PGM_RSRC2:SCRATCH_EN: 0
; COMPUTE_PGM_RSRC2:USER_SGPR: 2
; COMPUTE_PGM_RSRC2:TRAP_HANDLER: 0
; COMPUTE_PGM_RSRC2:TGID_X_EN: 1
; COMPUTE_PGM_RSRC2:TGID_Y_EN: 0
; COMPUTE_PGM_RSRC2:TGID_Z_EN: 0
; COMPUTE_PGM_RSRC2:TIDIG_COMP_CNT: 0
	.section	.text._ZN7rocprim17ROCPRIM_400000_NS6detail17trampoline_kernelINS0_13select_configILj256ELj13ELNS0_17block_load_methodE3ELS4_3ELS4_3ELNS0_20block_scan_algorithmE0ELj4294967295EEENS1_25partition_config_selectorILNS1_17partition_subalgoE3EjNS0_10empty_typeEbEEZZNS1_14partition_implILS8_3ELb0ES6_jNS0_17counting_iteratorIjlEEPS9_SE_NS0_5tupleIJPjSE_EEENSF_IJSE_SE_EEES9_SG_JZNS1_25segmented_radix_sort_implINS0_14default_configELb0EPKaPaPKlPlN2at6native12_GLOBAL__N_18offset_tEEE10hipError_tPvRmT1_PNSt15iterator_traitsISY_E10value_typeET2_T3_PNSZ_IS14_E10value_typeET4_jRbjT5_S1A_jjP12ihipStream_tbEUljE_EEESV_SW_SX_S14_S18_S1A_T6_T7_T9_mT8_S1C_bDpT10_ENKUlT_T0_E_clISt17integral_constantIbLb1EES1P_EEDaS1K_S1L_EUlS1K_E_NS1_11comp_targetILNS1_3genE0ELNS1_11target_archE4294967295ELNS1_3gpuE0ELNS1_3repE0EEENS1_30default_config_static_selectorELNS0_4arch9wavefront6targetE0EEEvSY_,"axG",@progbits,_ZN7rocprim17ROCPRIM_400000_NS6detail17trampoline_kernelINS0_13select_configILj256ELj13ELNS0_17block_load_methodE3ELS4_3ELS4_3ELNS0_20block_scan_algorithmE0ELj4294967295EEENS1_25partition_config_selectorILNS1_17partition_subalgoE3EjNS0_10empty_typeEbEEZZNS1_14partition_implILS8_3ELb0ES6_jNS0_17counting_iteratorIjlEEPS9_SE_NS0_5tupleIJPjSE_EEENSF_IJSE_SE_EEES9_SG_JZNS1_25segmented_radix_sort_implINS0_14default_configELb0EPKaPaPKlPlN2at6native12_GLOBAL__N_18offset_tEEE10hipError_tPvRmT1_PNSt15iterator_traitsISY_E10value_typeET2_T3_PNSZ_IS14_E10value_typeET4_jRbjT5_S1A_jjP12ihipStream_tbEUljE_EEESV_SW_SX_S14_S18_S1A_T6_T7_T9_mT8_S1C_bDpT10_ENKUlT_T0_E_clISt17integral_constantIbLb1EES1P_EEDaS1K_S1L_EUlS1K_E_NS1_11comp_targetILNS1_3genE0ELNS1_11target_archE4294967295ELNS1_3gpuE0ELNS1_3repE0EEENS1_30default_config_static_selectorELNS0_4arch9wavefront6targetE0EEEvSY_,comdat
	.globl	_ZN7rocprim17ROCPRIM_400000_NS6detail17trampoline_kernelINS0_13select_configILj256ELj13ELNS0_17block_load_methodE3ELS4_3ELS4_3ELNS0_20block_scan_algorithmE0ELj4294967295EEENS1_25partition_config_selectorILNS1_17partition_subalgoE3EjNS0_10empty_typeEbEEZZNS1_14partition_implILS8_3ELb0ES6_jNS0_17counting_iteratorIjlEEPS9_SE_NS0_5tupleIJPjSE_EEENSF_IJSE_SE_EEES9_SG_JZNS1_25segmented_radix_sort_implINS0_14default_configELb0EPKaPaPKlPlN2at6native12_GLOBAL__N_18offset_tEEE10hipError_tPvRmT1_PNSt15iterator_traitsISY_E10value_typeET2_T3_PNSZ_IS14_E10value_typeET4_jRbjT5_S1A_jjP12ihipStream_tbEUljE_EEESV_SW_SX_S14_S18_S1A_T6_T7_T9_mT8_S1C_bDpT10_ENKUlT_T0_E_clISt17integral_constantIbLb1EES1P_EEDaS1K_S1L_EUlS1K_E_NS1_11comp_targetILNS1_3genE0ELNS1_11target_archE4294967295ELNS1_3gpuE0ELNS1_3repE0EEENS1_30default_config_static_selectorELNS0_4arch9wavefront6targetE0EEEvSY_ ; -- Begin function _ZN7rocprim17ROCPRIM_400000_NS6detail17trampoline_kernelINS0_13select_configILj256ELj13ELNS0_17block_load_methodE3ELS4_3ELS4_3ELNS0_20block_scan_algorithmE0ELj4294967295EEENS1_25partition_config_selectorILNS1_17partition_subalgoE3EjNS0_10empty_typeEbEEZZNS1_14partition_implILS8_3ELb0ES6_jNS0_17counting_iteratorIjlEEPS9_SE_NS0_5tupleIJPjSE_EEENSF_IJSE_SE_EEES9_SG_JZNS1_25segmented_radix_sort_implINS0_14default_configELb0EPKaPaPKlPlN2at6native12_GLOBAL__N_18offset_tEEE10hipError_tPvRmT1_PNSt15iterator_traitsISY_E10value_typeET2_T3_PNSZ_IS14_E10value_typeET4_jRbjT5_S1A_jjP12ihipStream_tbEUljE_EEESV_SW_SX_S14_S18_S1A_T6_T7_T9_mT8_S1C_bDpT10_ENKUlT_T0_E_clISt17integral_constantIbLb1EES1P_EEDaS1K_S1L_EUlS1K_E_NS1_11comp_targetILNS1_3genE0ELNS1_11target_archE4294967295ELNS1_3gpuE0ELNS1_3repE0EEENS1_30default_config_static_selectorELNS0_4arch9wavefront6targetE0EEEvSY_
	.p2align	8
	.type	_ZN7rocprim17ROCPRIM_400000_NS6detail17trampoline_kernelINS0_13select_configILj256ELj13ELNS0_17block_load_methodE3ELS4_3ELS4_3ELNS0_20block_scan_algorithmE0ELj4294967295EEENS1_25partition_config_selectorILNS1_17partition_subalgoE3EjNS0_10empty_typeEbEEZZNS1_14partition_implILS8_3ELb0ES6_jNS0_17counting_iteratorIjlEEPS9_SE_NS0_5tupleIJPjSE_EEENSF_IJSE_SE_EEES9_SG_JZNS1_25segmented_radix_sort_implINS0_14default_configELb0EPKaPaPKlPlN2at6native12_GLOBAL__N_18offset_tEEE10hipError_tPvRmT1_PNSt15iterator_traitsISY_E10value_typeET2_T3_PNSZ_IS14_E10value_typeET4_jRbjT5_S1A_jjP12ihipStream_tbEUljE_EEESV_SW_SX_S14_S18_S1A_T6_T7_T9_mT8_S1C_bDpT10_ENKUlT_T0_E_clISt17integral_constantIbLb1EES1P_EEDaS1K_S1L_EUlS1K_E_NS1_11comp_targetILNS1_3genE0ELNS1_11target_archE4294967295ELNS1_3gpuE0ELNS1_3repE0EEENS1_30default_config_static_selectorELNS0_4arch9wavefront6targetE0EEEvSY_,@function
_ZN7rocprim17ROCPRIM_400000_NS6detail17trampoline_kernelINS0_13select_configILj256ELj13ELNS0_17block_load_methodE3ELS4_3ELS4_3ELNS0_20block_scan_algorithmE0ELj4294967295EEENS1_25partition_config_selectorILNS1_17partition_subalgoE3EjNS0_10empty_typeEbEEZZNS1_14partition_implILS8_3ELb0ES6_jNS0_17counting_iteratorIjlEEPS9_SE_NS0_5tupleIJPjSE_EEENSF_IJSE_SE_EEES9_SG_JZNS1_25segmented_radix_sort_implINS0_14default_configELb0EPKaPaPKlPlN2at6native12_GLOBAL__N_18offset_tEEE10hipError_tPvRmT1_PNSt15iterator_traitsISY_E10value_typeET2_T3_PNSZ_IS14_E10value_typeET4_jRbjT5_S1A_jjP12ihipStream_tbEUljE_EEESV_SW_SX_S14_S18_S1A_T6_T7_T9_mT8_S1C_bDpT10_ENKUlT_T0_E_clISt17integral_constantIbLb1EES1P_EEDaS1K_S1L_EUlS1K_E_NS1_11comp_targetILNS1_3genE0ELNS1_11target_archE4294967295ELNS1_3gpuE0ELNS1_3repE0EEENS1_30default_config_static_selectorELNS0_4arch9wavefront6targetE0EEEvSY_: ; @_ZN7rocprim17ROCPRIM_400000_NS6detail17trampoline_kernelINS0_13select_configILj256ELj13ELNS0_17block_load_methodE3ELS4_3ELS4_3ELNS0_20block_scan_algorithmE0ELj4294967295EEENS1_25partition_config_selectorILNS1_17partition_subalgoE3EjNS0_10empty_typeEbEEZZNS1_14partition_implILS8_3ELb0ES6_jNS0_17counting_iteratorIjlEEPS9_SE_NS0_5tupleIJPjSE_EEENSF_IJSE_SE_EEES9_SG_JZNS1_25segmented_radix_sort_implINS0_14default_configELb0EPKaPaPKlPlN2at6native12_GLOBAL__N_18offset_tEEE10hipError_tPvRmT1_PNSt15iterator_traitsISY_E10value_typeET2_T3_PNSZ_IS14_E10value_typeET4_jRbjT5_S1A_jjP12ihipStream_tbEUljE_EEESV_SW_SX_S14_S18_S1A_T6_T7_T9_mT8_S1C_bDpT10_ENKUlT_T0_E_clISt17integral_constantIbLb1EES1P_EEDaS1K_S1L_EUlS1K_E_NS1_11comp_targetILNS1_3genE0ELNS1_11target_archE4294967295ELNS1_3gpuE0ELNS1_3repE0EEENS1_30default_config_static_selectorELNS0_4arch9wavefront6targetE0EEEvSY_
; %bb.0:
	.section	.rodata,"a",@progbits
	.p2align	6, 0x0
	.amdhsa_kernel _ZN7rocprim17ROCPRIM_400000_NS6detail17trampoline_kernelINS0_13select_configILj256ELj13ELNS0_17block_load_methodE3ELS4_3ELS4_3ELNS0_20block_scan_algorithmE0ELj4294967295EEENS1_25partition_config_selectorILNS1_17partition_subalgoE3EjNS0_10empty_typeEbEEZZNS1_14partition_implILS8_3ELb0ES6_jNS0_17counting_iteratorIjlEEPS9_SE_NS0_5tupleIJPjSE_EEENSF_IJSE_SE_EEES9_SG_JZNS1_25segmented_radix_sort_implINS0_14default_configELb0EPKaPaPKlPlN2at6native12_GLOBAL__N_18offset_tEEE10hipError_tPvRmT1_PNSt15iterator_traitsISY_E10value_typeET2_T3_PNSZ_IS14_E10value_typeET4_jRbjT5_S1A_jjP12ihipStream_tbEUljE_EEESV_SW_SX_S14_S18_S1A_T6_T7_T9_mT8_S1C_bDpT10_ENKUlT_T0_E_clISt17integral_constantIbLb1EES1P_EEDaS1K_S1L_EUlS1K_E_NS1_11comp_targetILNS1_3genE0ELNS1_11target_archE4294967295ELNS1_3gpuE0ELNS1_3repE0EEENS1_30default_config_static_selectorELNS0_4arch9wavefront6targetE0EEEvSY_
		.amdhsa_group_segment_fixed_size 0
		.amdhsa_private_segment_fixed_size 0
		.amdhsa_kernarg_size 152
		.amdhsa_user_sgpr_count 2
		.amdhsa_user_sgpr_dispatch_ptr 0
		.amdhsa_user_sgpr_queue_ptr 0
		.amdhsa_user_sgpr_kernarg_segment_ptr 1
		.amdhsa_user_sgpr_dispatch_id 0
		.amdhsa_user_sgpr_private_segment_size 0
		.amdhsa_wavefront_size32 1
		.amdhsa_uses_dynamic_stack 0
		.amdhsa_enable_private_segment 0
		.amdhsa_system_sgpr_workgroup_id_x 1
		.amdhsa_system_sgpr_workgroup_id_y 0
		.amdhsa_system_sgpr_workgroup_id_z 0
		.amdhsa_system_sgpr_workgroup_info 0
		.amdhsa_system_vgpr_workitem_id 0
		.amdhsa_next_free_vgpr 1
		.amdhsa_next_free_sgpr 1
		.amdhsa_reserve_vcc 0
		.amdhsa_float_round_mode_32 0
		.amdhsa_float_round_mode_16_64 0
		.amdhsa_float_denorm_mode_32 3
		.amdhsa_float_denorm_mode_16_64 3
		.amdhsa_fp16_overflow 0
		.amdhsa_workgroup_processor_mode 1
		.amdhsa_memory_ordered 1
		.amdhsa_forward_progress 1
		.amdhsa_inst_pref_size 0
		.amdhsa_round_robin_scheduling 0
		.amdhsa_exception_fp_ieee_invalid_op 0
		.amdhsa_exception_fp_denorm_src 0
		.amdhsa_exception_fp_ieee_div_zero 0
		.amdhsa_exception_fp_ieee_overflow 0
		.amdhsa_exception_fp_ieee_underflow 0
		.amdhsa_exception_fp_ieee_inexact 0
		.amdhsa_exception_int_div_zero 0
	.end_amdhsa_kernel
	.section	.text._ZN7rocprim17ROCPRIM_400000_NS6detail17trampoline_kernelINS0_13select_configILj256ELj13ELNS0_17block_load_methodE3ELS4_3ELS4_3ELNS0_20block_scan_algorithmE0ELj4294967295EEENS1_25partition_config_selectorILNS1_17partition_subalgoE3EjNS0_10empty_typeEbEEZZNS1_14partition_implILS8_3ELb0ES6_jNS0_17counting_iteratorIjlEEPS9_SE_NS0_5tupleIJPjSE_EEENSF_IJSE_SE_EEES9_SG_JZNS1_25segmented_radix_sort_implINS0_14default_configELb0EPKaPaPKlPlN2at6native12_GLOBAL__N_18offset_tEEE10hipError_tPvRmT1_PNSt15iterator_traitsISY_E10value_typeET2_T3_PNSZ_IS14_E10value_typeET4_jRbjT5_S1A_jjP12ihipStream_tbEUljE_EEESV_SW_SX_S14_S18_S1A_T6_T7_T9_mT8_S1C_bDpT10_ENKUlT_T0_E_clISt17integral_constantIbLb1EES1P_EEDaS1K_S1L_EUlS1K_E_NS1_11comp_targetILNS1_3genE0ELNS1_11target_archE4294967295ELNS1_3gpuE0ELNS1_3repE0EEENS1_30default_config_static_selectorELNS0_4arch9wavefront6targetE0EEEvSY_,"axG",@progbits,_ZN7rocprim17ROCPRIM_400000_NS6detail17trampoline_kernelINS0_13select_configILj256ELj13ELNS0_17block_load_methodE3ELS4_3ELS4_3ELNS0_20block_scan_algorithmE0ELj4294967295EEENS1_25partition_config_selectorILNS1_17partition_subalgoE3EjNS0_10empty_typeEbEEZZNS1_14partition_implILS8_3ELb0ES6_jNS0_17counting_iteratorIjlEEPS9_SE_NS0_5tupleIJPjSE_EEENSF_IJSE_SE_EEES9_SG_JZNS1_25segmented_radix_sort_implINS0_14default_configELb0EPKaPaPKlPlN2at6native12_GLOBAL__N_18offset_tEEE10hipError_tPvRmT1_PNSt15iterator_traitsISY_E10value_typeET2_T3_PNSZ_IS14_E10value_typeET4_jRbjT5_S1A_jjP12ihipStream_tbEUljE_EEESV_SW_SX_S14_S18_S1A_T6_T7_T9_mT8_S1C_bDpT10_ENKUlT_T0_E_clISt17integral_constantIbLb1EES1P_EEDaS1K_S1L_EUlS1K_E_NS1_11comp_targetILNS1_3genE0ELNS1_11target_archE4294967295ELNS1_3gpuE0ELNS1_3repE0EEENS1_30default_config_static_selectorELNS0_4arch9wavefront6targetE0EEEvSY_,comdat
.Lfunc_end369:
	.size	_ZN7rocprim17ROCPRIM_400000_NS6detail17trampoline_kernelINS0_13select_configILj256ELj13ELNS0_17block_load_methodE3ELS4_3ELS4_3ELNS0_20block_scan_algorithmE0ELj4294967295EEENS1_25partition_config_selectorILNS1_17partition_subalgoE3EjNS0_10empty_typeEbEEZZNS1_14partition_implILS8_3ELb0ES6_jNS0_17counting_iteratorIjlEEPS9_SE_NS0_5tupleIJPjSE_EEENSF_IJSE_SE_EEES9_SG_JZNS1_25segmented_radix_sort_implINS0_14default_configELb0EPKaPaPKlPlN2at6native12_GLOBAL__N_18offset_tEEE10hipError_tPvRmT1_PNSt15iterator_traitsISY_E10value_typeET2_T3_PNSZ_IS14_E10value_typeET4_jRbjT5_S1A_jjP12ihipStream_tbEUljE_EEESV_SW_SX_S14_S18_S1A_T6_T7_T9_mT8_S1C_bDpT10_ENKUlT_T0_E_clISt17integral_constantIbLb1EES1P_EEDaS1K_S1L_EUlS1K_E_NS1_11comp_targetILNS1_3genE0ELNS1_11target_archE4294967295ELNS1_3gpuE0ELNS1_3repE0EEENS1_30default_config_static_selectorELNS0_4arch9wavefront6targetE0EEEvSY_, .Lfunc_end369-_ZN7rocprim17ROCPRIM_400000_NS6detail17trampoline_kernelINS0_13select_configILj256ELj13ELNS0_17block_load_methodE3ELS4_3ELS4_3ELNS0_20block_scan_algorithmE0ELj4294967295EEENS1_25partition_config_selectorILNS1_17partition_subalgoE3EjNS0_10empty_typeEbEEZZNS1_14partition_implILS8_3ELb0ES6_jNS0_17counting_iteratorIjlEEPS9_SE_NS0_5tupleIJPjSE_EEENSF_IJSE_SE_EEES9_SG_JZNS1_25segmented_radix_sort_implINS0_14default_configELb0EPKaPaPKlPlN2at6native12_GLOBAL__N_18offset_tEEE10hipError_tPvRmT1_PNSt15iterator_traitsISY_E10value_typeET2_T3_PNSZ_IS14_E10value_typeET4_jRbjT5_S1A_jjP12ihipStream_tbEUljE_EEESV_SW_SX_S14_S18_S1A_T6_T7_T9_mT8_S1C_bDpT10_ENKUlT_T0_E_clISt17integral_constantIbLb1EES1P_EEDaS1K_S1L_EUlS1K_E_NS1_11comp_targetILNS1_3genE0ELNS1_11target_archE4294967295ELNS1_3gpuE0ELNS1_3repE0EEENS1_30default_config_static_selectorELNS0_4arch9wavefront6targetE0EEEvSY_
                                        ; -- End function
	.set _ZN7rocprim17ROCPRIM_400000_NS6detail17trampoline_kernelINS0_13select_configILj256ELj13ELNS0_17block_load_methodE3ELS4_3ELS4_3ELNS0_20block_scan_algorithmE0ELj4294967295EEENS1_25partition_config_selectorILNS1_17partition_subalgoE3EjNS0_10empty_typeEbEEZZNS1_14partition_implILS8_3ELb0ES6_jNS0_17counting_iteratorIjlEEPS9_SE_NS0_5tupleIJPjSE_EEENSF_IJSE_SE_EEES9_SG_JZNS1_25segmented_radix_sort_implINS0_14default_configELb0EPKaPaPKlPlN2at6native12_GLOBAL__N_18offset_tEEE10hipError_tPvRmT1_PNSt15iterator_traitsISY_E10value_typeET2_T3_PNSZ_IS14_E10value_typeET4_jRbjT5_S1A_jjP12ihipStream_tbEUljE_EEESV_SW_SX_S14_S18_S1A_T6_T7_T9_mT8_S1C_bDpT10_ENKUlT_T0_E_clISt17integral_constantIbLb1EES1P_EEDaS1K_S1L_EUlS1K_E_NS1_11comp_targetILNS1_3genE0ELNS1_11target_archE4294967295ELNS1_3gpuE0ELNS1_3repE0EEENS1_30default_config_static_selectorELNS0_4arch9wavefront6targetE0EEEvSY_.num_vgpr, 0
	.set _ZN7rocprim17ROCPRIM_400000_NS6detail17trampoline_kernelINS0_13select_configILj256ELj13ELNS0_17block_load_methodE3ELS4_3ELS4_3ELNS0_20block_scan_algorithmE0ELj4294967295EEENS1_25partition_config_selectorILNS1_17partition_subalgoE3EjNS0_10empty_typeEbEEZZNS1_14partition_implILS8_3ELb0ES6_jNS0_17counting_iteratorIjlEEPS9_SE_NS0_5tupleIJPjSE_EEENSF_IJSE_SE_EEES9_SG_JZNS1_25segmented_radix_sort_implINS0_14default_configELb0EPKaPaPKlPlN2at6native12_GLOBAL__N_18offset_tEEE10hipError_tPvRmT1_PNSt15iterator_traitsISY_E10value_typeET2_T3_PNSZ_IS14_E10value_typeET4_jRbjT5_S1A_jjP12ihipStream_tbEUljE_EEESV_SW_SX_S14_S18_S1A_T6_T7_T9_mT8_S1C_bDpT10_ENKUlT_T0_E_clISt17integral_constantIbLb1EES1P_EEDaS1K_S1L_EUlS1K_E_NS1_11comp_targetILNS1_3genE0ELNS1_11target_archE4294967295ELNS1_3gpuE0ELNS1_3repE0EEENS1_30default_config_static_selectorELNS0_4arch9wavefront6targetE0EEEvSY_.num_agpr, 0
	.set _ZN7rocprim17ROCPRIM_400000_NS6detail17trampoline_kernelINS0_13select_configILj256ELj13ELNS0_17block_load_methodE3ELS4_3ELS4_3ELNS0_20block_scan_algorithmE0ELj4294967295EEENS1_25partition_config_selectorILNS1_17partition_subalgoE3EjNS0_10empty_typeEbEEZZNS1_14partition_implILS8_3ELb0ES6_jNS0_17counting_iteratorIjlEEPS9_SE_NS0_5tupleIJPjSE_EEENSF_IJSE_SE_EEES9_SG_JZNS1_25segmented_radix_sort_implINS0_14default_configELb0EPKaPaPKlPlN2at6native12_GLOBAL__N_18offset_tEEE10hipError_tPvRmT1_PNSt15iterator_traitsISY_E10value_typeET2_T3_PNSZ_IS14_E10value_typeET4_jRbjT5_S1A_jjP12ihipStream_tbEUljE_EEESV_SW_SX_S14_S18_S1A_T6_T7_T9_mT8_S1C_bDpT10_ENKUlT_T0_E_clISt17integral_constantIbLb1EES1P_EEDaS1K_S1L_EUlS1K_E_NS1_11comp_targetILNS1_3genE0ELNS1_11target_archE4294967295ELNS1_3gpuE0ELNS1_3repE0EEENS1_30default_config_static_selectorELNS0_4arch9wavefront6targetE0EEEvSY_.numbered_sgpr, 0
	.set _ZN7rocprim17ROCPRIM_400000_NS6detail17trampoline_kernelINS0_13select_configILj256ELj13ELNS0_17block_load_methodE3ELS4_3ELS4_3ELNS0_20block_scan_algorithmE0ELj4294967295EEENS1_25partition_config_selectorILNS1_17partition_subalgoE3EjNS0_10empty_typeEbEEZZNS1_14partition_implILS8_3ELb0ES6_jNS0_17counting_iteratorIjlEEPS9_SE_NS0_5tupleIJPjSE_EEENSF_IJSE_SE_EEES9_SG_JZNS1_25segmented_radix_sort_implINS0_14default_configELb0EPKaPaPKlPlN2at6native12_GLOBAL__N_18offset_tEEE10hipError_tPvRmT1_PNSt15iterator_traitsISY_E10value_typeET2_T3_PNSZ_IS14_E10value_typeET4_jRbjT5_S1A_jjP12ihipStream_tbEUljE_EEESV_SW_SX_S14_S18_S1A_T6_T7_T9_mT8_S1C_bDpT10_ENKUlT_T0_E_clISt17integral_constantIbLb1EES1P_EEDaS1K_S1L_EUlS1K_E_NS1_11comp_targetILNS1_3genE0ELNS1_11target_archE4294967295ELNS1_3gpuE0ELNS1_3repE0EEENS1_30default_config_static_selectorELNS0_4arch9wavefront6targetE0EEEvSY_.num_named_barrier, 0
	.set _ZN7rocprim17ROCPRIM_400000_NS6detail17trampoline_kernelINS0_13select_configILj256ELj13ELNS0_17block_load_methodE3ELS4_3ELS4_3ELNS0_20block_scan_algorithmE0ELj4294967295EEENS1_25partition_config_selectorILNS1_17partition_subalgoE3EjNS0_10empty_typeEbEEZZNS1_14partition_implILS8_3ELb0ES6_jNS0_17counting_iteratorIjlEEPS9_SE_NS0_5tupleIJPjSE_EEENSF_IJSE_SE_EEES9_SG_JZNS1_25segmented_radix_sort_implINS0_14default_configELb0EPKaPaPKlPlN2at6native12_GLOBAL__N_18offset_tEEE10hipError_tPvRmT1_PNSt15iterator_traitsISY_E10value_typeET2_T3_PNSZ_IS14_E10value_typeET4_jRbjT5_S1A_jjP12ihipStream_tbEUljE_EEESV_SW_SX_S14_S18_S1A_T6_T7_T9_mT8_S1C_bDpT10_ENKUlT_T0_E_clISt17integral_constantIbLb1EES1P_EEDaS1K_S1L_EUlS1K_E_NS1_11comp_targetILNS1_3genE0ELNS1_11target_archE4294967295ELNS1_3gpuE0ELNS1_3repE0EEENS1_30default_config_static_selectorELNS0_4arch9wavefront6targetE0EEEvSY_.private_seg_size, 0
	.set _ZN7rocprim17ROCPRIM_400000_NS6detail17trampoline_kernelINS0_13select_configILj256ELj13ELNS0_17block_load_methodE3ELS4_3ELS4_3ELNS0_20block_scan_algorithmE0ELj4294967295EEENS1_25partition_config_selectorILNS1_17partition_subalgoE3EjNS0_10empty_typeEbEEZZNS1_14partition_implILS8_3ELb0ES6_jNS0_17counting_iteratorIjlEEPS9_SE_NS0_5tupleIJPjSE_EEENSF_IJSE_SE_EEES9_SG_JZNS1_25segmented_radix_sort_implINS0_14default_configELb0EPKaPaPKlPlN2at6native12_GLOBAL__N_18offset_tEEE10hipError_tPvRmT1_PNSt15iterator_traitsISY_E10value_typeET2_T3_PNSZ_IS14_E10value_typeET4_jRbjT5_S1A_jjP12ihipStream_tbEUljE_EEESV_SW_SX_S14_S18_S1A_T6_T7_T9_mT8_S1C_bDpT10_ENKUlT_T0_E_clISt17integral_constantIbLb1EES1P_EEDaS1K_S1L_EUlS1K_E_NS1_11comp_targetILNS1_3genE0ELNS1_11target_archE4294967295ELNS1_3gpuE0ELNS1_3repE0EEENS1_30default_config_static_selectorELNS0_4arch9wavefront6targetE0EEEvSY_.uses_vcc, 0
	.set _ZN7rocprim17ROCPRIM_400000_NS6detail17trampoline_kernelINS0_13select_configILj256ELj13ELNS0_17block_load_methodE3ELS4_3ELS4_3ELNS0_20block_scan_algorithmE0ELj4294967295EEENS1_25partition_config_selectorILNS1_17partition_subalgoE3EjNS0_10empty_typeEbEEZZNS1_14partition_implILS8_3ELb0ES6_jNS0_17counting_iteratorIjlEEPS9_SE_NS0_5tupleIJPjSE_EEENSF_IJSE_SE_EEES9_SG_JZNS1_25segmented_radix_sort_implINS0_14default_configELb0EPKaPaPKlPlN2at6native12_GLOBAL__N_18offset_tEEE10hipError_tPvRmT1_PNSt15iterator_traitsISY_E10value_typeET2_T3_PNSZ_IS14_E10value_typeET4_jRbjT5_S1A_jjP12ihipStream_tbEUljE_EEESV_SW_SX_S14_S18_S1A_T6_T7_T9_mT8_S1C_bDpT10_ENKUlT_T0_E_clISt17integral_constantIbLb1EES1P_EEDaS1K_S1L_EUlS1K_E_NS1_11comp_targetILNS1_3genE0ELNS1_11target_archE4294967295ELNS1_3gpuE0ELNS1_3repE0EEENS1_30default_config_static_selectorELNS0_4arch9wavefront6targetE0EEEvSY_.uses_flat_scratch, 0
	.set _ZN7rocprim17ROCPRIM_400000_NS6detail17trampoline_kernelINS0_13select_configILj256ELj13ELNS0_17block_load_methodE3ELS4_3ELS4_3ELNS0_20block_scan_algorithmE0ELj4294967295EEENS1_25partition_config_selectorILNS1_17partition_subalgoE3EjNS0_10empty_typeEbEEZZNS1_14partition_implILS8_3ELb0ES6_jNS0_17counting_iteratorIjlEEPS9_SE_NS0_5tupleIJPjSE_EEENSF_IJSE_SE_EEES9_SG_JZNS1_25segmented_radix_sort_implINS0_14default_configELb0EPKaPaPKlPlN2at6native12_GLOBAL__N_18offset_tEEE10hipError_tPvRmT1_PNSt15iterator_traitsISY_E10value_typeET2_T3_PNSZ_IS14_E10value_typeET4_jRbjT5_S1A_jjP12ihipStream_tbEUljE_EEESV_SW_SX_S14_S18_S1A_T6_T7_T9_mT8_S1C_bDpT10_ENKUlT_T0_E_clISt17integral_constantIbLb1EES1P_EEDaS1K_S1L_EUlS1K_E_NS1_11comp_targetILNS1_3genE0ELNS1_11target_archE4294967295ELNS1_3gpuE0ELNS1_3repE0EEENS1_30default_config_static_selectorELNS0_4arch9wavefront6targetE0EEEvSY_.has_dyn_sized_stack, 0
	.set _ZN7rocprim17ROCPRIM_400000_NS6detail17trampoline_kernelINS0_13select_configILj256ELj13ELNS0_17block_load_methodE3ELS4_3ELS4_3ELNS0_20block_scan_algorithmE0ELj4294967295EEENS1_25partition_config_selectorILNS1_17partition_subalgoE3EjNS0_10empty_typeEbEEZZNS1_14partition_implILS8_3ELb0ES6_jNS0_17counting_iteratorIjlEEPS9_SE_NS0_5tupleIJPjSE_EEENSF_IJSE_SE_EEES9_SG_JZNS1_25segmented_radix_sort_implINS0_14default_configELb0EPKaPaPKlPlN2at6native12_GLOBAL__N_18offset_tEEE10hipError_tPvRmT1_PNSt15iterator_traitsISY_E10value_typeET2_T3_PNSZ_IS14_E10value_typeET4_jRbjT5_S1A_jjP12ihipStream_tbEUljE_EEESV_SW_SX_S14_S18_S1A_T6_T7_T9_mT8_S1C_bDpT10_ENKUlT_T0_E_clISt17integral_constantIbLb1EES1P_EEDaS1K_S1L_EUlS1K_E_NS1_11comp_targetILNS1_3genE0ELNS1_11target_archE4294967295ELNS1_3gpuE0ELNS1_3repE0EEENS1_30default_config_static_selectorELNS0_4arch9wavefront6targetE0EEEvSY_.has_recursion, 0
	.set _ZN7rocprim17ROCPRIM_400000_NS6detail17trampoline_kernelINS0_13select_configILj256ELj13ELNS0_17block_load_methodE3ELS4_3ELS4_3ELNS0_20block_scan_algorithmE0ELj4294967295EEENS1_25partition_config_selectorILNS1_17partition_subalgoE3EjNS0_10empty_typeEbEEZZNS1_14partition_implILS8_3ELb0ES6_jNS0_17counting_iteratorIjlEEPS9_SE_NS0_5tupleIJPjSE_EEENSF_IJSE_SE_EEES9_SG_JZNS1_25segmented_radix_sort_implINS0_14default_configELb0EPKaPaPKlPlN2at6native12_GLOBAL__N_18offset_tEEE10hipError_tPvRmT1_PNSt15iterator_traitsISY_E10value_typeET2_T3_PNSZ_IS14_E10value_typeET4_jRbjT5_S1A_jjP12ihipStream_tbEUljE_EEESV_SW_SX_S14_S18_S1A_T6_T7_T9_mT8_S1C_bDpT10_ENKUlT_T0_E_clISt17integral_constantIbLb1EES1P_EEDaS1K_S1L_EUlS1K_E_NS1_11comp_targetILNS1_3genE0ELNS1_11target_archE4294967295ELNS1_3gpuE0ELNS1_3repE0EEENS1_30default_config_static_selectorELNS0_4arch9wavefront6targetE0EEEvSY_.has_indirect_call, 0
	.section	.AMDGPU.csdata,"",@progbits
; Kernel info:
; codeLenInByte = 0
; TotalNumSgprs: 0
; NumVgprs: 0
; ScratchSize: 0
; MemoryBound: 0
; FloatMode: 240
; IeeeMode: 1
; LDSByteSize: 0 bytes/workgroup (compile time only)
; SGPRBlocks: 0
; VGPRBlocks: 0
; NumSGPRsForWavesPerEU: 1
; NumVGPRsForWavesPerEU: 1
; Occupancy: 16
; WaveLimiterHint : 0
; COMPUTE_PGM_RSRC2:SCRATCH_EN: 0
; COMPUTE_PGM_RSRC2:USER_SGPR: 2
; COMPUTE_PGM_RSRC2:TRAP_HANDLER: 0
; COMPUTE_PGM_RSRC2:TGID_X_EN: 1
; COMPUTE_PGM_RSRC2:TGID_Y_EN: 0
; COMPUTE_PGM_RSRC2:TGID_Z_EN: 0
; COMPUTE_PGM_RSRC2:TIDIG_COMP_CNT: 0
	.section	.text._ZN7rocprim17ROCPRIM_400000_NS6detail17trampoline_kernelINS0_13select_configILj256ELj13ELNS0_17block_load_methodE3ELS4_3ELS4_3ELNS0_20block_scan_algorithmE0ELj4294967295EEENS1_25partition_config_selectorILNS1_17partition_subalgoE3EjNS0_10empty_typeEbEEZZNS1_14partition_implILS8_3ELb0ES6_jNS0_17counting_iteratorIjlEEPS9_SE_NS0_5tupleIJPjSE_EEENSF_IJSE_SE_EEES9_SG_JZNS1_25segmented_radix_sort_implINS0_14default_configELb0EPKaPaPKlPlN2at6native12_GLOBAL__N_18offset_tEEE10hipError_tPvRmT1_PNSt15iterator_traitsISY_E10value_typeET2_T3_PNSZ_IS14_E10value_typeET4_jRbjT5_S1A_jjP12ihipStream_tbEUljE_EEESV_SW_SX_S14_S18_S1A_T6_T7_T9_mT8_S1C_bDpT10_ENKUlT_T0_E_clISt17integral_constantIbLb1EES1P_EEDaS1K_S1L_EUlS1K_E_NS1_11comp_targetILNS1_3genE5ELNS1_11target_archE942ELNS1_3gpuE9ELNS1_3repE0EEENS1_30default_config_static_selectorELNS0_4arch9wavefront6targetE0EEEvSY_,"axG",@progbits,_ZN7rocprim17ROCPRIM_400000_NS6detail17trampoline_kernelINS0_13select_configILj256ELj13ELNS0_17block_load_methodE3ELS4_3ELS4_3ELNS0_20block_scan_algorithmE0ELj4294967295EEENS1_25partition_config_selectorILNS1_17partition_subalgoE3EjNS0_10empty_typeEbEEZZNS1_14partition_implILS8_3ELb0ES6_jNS0_17counting_iteratorIjlEEPS9_SE_NS0_5tupleIJPjSE_EEENSF_IJSE_SE_EEES9_SG_JZNS1_25segmented_radix_sort_implINS0_14default_configELb0EPKaPaPKlPlN2at6native12_GLOBAL__N_18offset_tEEE10hipError_tPvRmT1_PNSt15iterator_traitsISY_E10value_typeET2_T3_PNSZ_IS14_E10value_typeET4_jRbjT5_S1A_jjP12ihipStream_tbEUljE_EEESV_SW_SX_S14_S18_S1A_T6_T7_T9_mT8_S1C_bDpT10_ENKUlT_T0_E_clISt17integral_constantIbLb1EES1P_EEDaS1K_S1L_EUlS1K_E_NS1_11comp_targetILNS1_3genE5ELNS1_11target_archE942ELNS1_3gpuE9ELNS1_3repE0EEENS1_30default_config_static_selectorELNS0_4arch9wavefront6targetE0EEEvSY_,comdat
	.globl	_ZN7rocprim17ROCPRIM_400000_NS6detail17trampoline_kernelINS0_13select_configILj256ELj13ELNS0_17block_load_methodE3ELS4_3ELS4_3ELNS0_20block_scan_algorithmE0ELj4294967295EEENS1_25partition_config_selectorILNS1_17partition_subalgoE3EjNS0_10empty_typeEbEEZZNS1_14partition_implILS8_3ELb0ES6_jNS0_17counting_iteratorIjlEEPS9_SE_NS0_5tupleIJPjSE_EEENSF_IJSE_SE_EEES9_SG_JZNS1_25segmented_radix_sort_implINS0_14default_configELb0EPKaPaPKlPlN2at6native12_GLOBAL__N_18offset_tEEE10hipError_tPvRmT1_PNSt15iterator_traitsISY_E10value_typeET2_T3_PNSZ_IS14_E10value_typeET4_jRbjT5_S1A_jjP12ihipStream_tbEUljE_EEESV_SW_SX_S14_S18_S1A_T6_T7_T9_mT8_S1C_bDpT10_ENKUlT_T0_E_clISt17integral_constantIbLb1EES1P_EEDaS1K_S1L_EUlS1K_E_NS1_11comp_targetILNS1_3genE5ELNS1_11target_archE942ELNS1_3gpuE9ELNS1_3repE0EEENS1_30default_config_static_selectorELNS0_4arch9wavefront6targetE0EEEvSY_ ; -- Begin function _ZN7rocprim17ROCPRIM_400000_NS6detail17trampoline_kernelINS0_13select_configILj256ELj13ELNS0_17block_load_methodE3ELS4_3ELS4_3ELNS0_20block_scan_algorithmE0ELj4294967295EEENS1_25partition_config_selectorILNS1_17partition_subalgoE3EjNS0_10empty_typeEbEEZZNS1_14partition_implILS8_3ELb0ES6_jNS0_17counting_iteratorIjlEEPS9_SE_NS0_5tupleIJPjSE_EEENSF_IJSE_SE_EEES9_SG_JZNS1_25segmented_radix_sort_implINS0_14default_configELb0EPKaPaPKlPlN2at6native12_GLOBAL__N_18offset_tEEE10hipError_tPvRmT1_PNSt15iterator_traitsISY_E10value_typeET2_T3_PNSZ_IS14_E10value_typeET4_jRbjT5_S1A_jjP12ihipStream_tbEUljE_EEESV_SW_SX_S14_S18_S1A_T6_T7_T9_mT8_S1C_bDpT10_ENKUlT_T0_E_clISt17integral_constantIbLb1EES1P_EEDaS1K_S1L_EUlS1K_E_NS1_11comp_targetILNS1_3genE5ELNS1_11target_archE942ELNS1_3gpuE9ELNS1_3repE0EEENS1_30default_config_static_selectorELNS0_4arch9wavefront6targetE0EEEvSY_
	.p2align	8
	.type	_ZN7rocprim17ROCPRIM_400000_NS6detail17trampoline_kernelINS0_13select_configILj256ELj13ELNS0_17block_load_methodE3ELS4_3ELS4_3ELNS0_20block_scan_algorithmE0ELj4294967295EEENS1_25partition_config_selectorILNS1_17partition_subalgoE3EjNS0_10empty_typeEbEEZZNS1_14partition_implILS8_3ELb0ES6_jNS0_17counting_iteratorIjlEEPS9_SE_NS0_5tupleIJPjSE_EEENSF_IJSE_SE_EEES9_SG_JZNS1_25segmented_radix_sort_implINS0_14default_configELb0EPKaPaPKlPlN2at6native12_GLOBAL__N_18offset_tEEE10hipError_tPvRmT1_PNSt15iterator_traitsISY_E10value_typeET2_T3_PNSZ_IS14_E10value_typeET4_jRbjT5_S1A_jjP12ihipStream_tbEUljE_EEESV_SW_SX_S14_S18_S1A_T6_T7_T9_mT8_S1C_bDpT10_ENKUlT_T0_E_clISt17integral_constantIbLb1EES1P_EEDaS1K_S1L_EUlS1K_E_NS1_11comp_targetILNS1_3genE5ELNS1_11target_archE942ELNS1_3gpuE9ELNS1_3repE0EEENS1_30default_config_static_selectorELNS0_4arch9wavefront6targetE0EEEvSY_,@function
_ZN7rocprim17ROCPRIM_400000_NS6detail17trampoline_kernelINS0_13select_configILj256ELj13ELNS0_17block_load_methodE3ELS4_3ELS4_3ELNS0_20block_scan_algorithmE0ELj4294967295EEENS1_25partition_config_selectorILNS1_17partition_subalgoE3EjNS0_10empty_typeEbEEZZNS1_14partition_implILS8_3ELb0ES6_jNS0_17counting_iteratorIjlEEPS9_SE_NS0_5tupleIJPjSE_EEENSF_IJSE_SE_EEES9_SG_JZNS1_25segmented_radix_sort_implINS0_14default_configELb0EPKaPaPKlPlN2at6native12_GLOBAL__N_18offset_tEEE10hipError_tPvRmT1_PNSt15iterator_traitsISY_E10value_typeET2_T3_PNSZ_IS14_E10value_typeET4_jRbjT5_S1A_jjP12ihipStream_tbEUljE_EEESV_SW_SX_S14_S18_S1A_T6_T7_T9_mT8_S1C_bDpT10_ENKUlT_T0_E_clISt17integral_constantIbLb1EES1P_EEDaS1K_S1L_EUlS1K_E_NS1_11comp_targetILNS1_3genE5ELNS1_11target_archE942ELNS1_3gpuE9ELNS1_3repE0EEENS1_30default_config_static_selectorELNS0_4arch9wavefront6targetE0EEEvSY_: ; @_ZN7rocprim17ROCPRIM_400000_NS6detail17trampoline_kernelINS0_13select_configILj256ELj13ELNS0_17block_load_methodE3ELS4_3ELS4_3ELNS0_20block_scan_algorithmE0ELj4294967295EEENS1_25partition_config_selectorILNS1_17partition_subalgoE3EjNS0_10empty_typeEbEEZZNS1_14partition_implILS8_3ELb0ES6_jNS0_17counting_iteratorIjlEEPS9_SE_NS0_5tupleIJPjSE_EEENSF_IJSE_SE_EEES9_SG_JZNS1_25segmented_radix_sort_implINS0_14default_configELb0EPKaPaPKlPlN2at6native12_GLOBAL__N_18offset_tEEE10hipError_tPvRmT1_PNSt15iterator_traitsISY_E10value_typeET2_T3_PNSZ_IS14_E10value_typeET4_jRbjT5_S1A_jjP12ihipStream_tbEUljE_EEESV_SW_SX_S14_S18_S1A_T6_T7_T9_mT8_S1C_bDpT10_ENKUlT_T0_E_clISt17integral_constantIbLb1EES1P_EEDaS1K_S1L_EUlS1K_E_NS1_11comp_targetILNS1_3genE5ELNS1_11target_archE942ELNS1_3gpuE9ELNS1_3repE0EEENS1_30default_config_static_selectorELNS0_4arch9wavefront6targetE0EEEvSY_
; %bb.0:
	.section	.rodata,"a",@progbits
	.p2align	6, 0x0
	.amdhsa_kernel _ZN7rocprim17ROCPRIM_400000_NS6detail17trampoline_kernelINS0_13select_configILj256ELj13ELNS0_17block_load_methodE3ELS4_3ELS4_3ELNS0_20block_scan_algorithmE0ELj4294967295EEENS1_25partition_config_selectorILNS1_17partition_subalgoE3EjNS0_10empty_typeEbEEZZNS1_14partition_implILS8_3ELb0ES6_jNS0_17counting_iteratorIjlEEPS9_SE_NS0_5tupleIJPjSE_EEENSF_IJSE_SE_EEES9_SG_JZNS1_25segmented_radix_sort_implINS0_14default_configELb0EPKaPaPKlPlN2at6native12_GLOBAL__N_18offset_tEEE10hipError_tPvRmT1_PNSt15iterator_traitsISY_E10value_typeET2_T3_PNSZ_IS14_E10value_typeET4_jRbjT5_S1A_jjP12ihipStream_tbEUljE_EEESV_SW_SX_S14_S18_S1A_T6_T7_T9_mT8_S1C_bDpT10_ENKUlT_T0_E_clISt17integral_constantIbLb1EES1P_EEDaS1K_S1L_EUlS1K_E_NS1_11comp_targetILNS1_3genE5ELNS1_11target_archE942ELNS1_3gpuE9ELNS1_3repE0EEENS1_30default_config_static_selectorELNS0_4arch9wavefront6targetE0EEEvSY_
		.amdhsa_group_segment_fixed_size 0
		.amdhsa_private_segment_fixed_size 0
		.amdhsa_kernarg_size 152
		.amdhsa_user_sgpr_count 2
		.amdhsa_user_sgpr_dispatch_ptr 0
		.amdhsa_user_sgpr_queue_ptr 0
		.amdhsa_user_sgpr_kernarg_segment_ptr 1
		.amdhsa_user_sgpr_dispatch_id 0
		.amdhsa_user_sgpr_private_segment_size 0
		.amdhsa_wavefront_size32 1
		.amdhsa_uses_dynamic_stack 0
		.amdhsa_enable_private_segment 0
		.amdhsa_system_sgpr_workgroup_id_x 1
		.amdhsa_system_sgpr_workgroup_id_y 0
		.amdhsa_system_sgpr_workgroup_id_z 0
		.amdhsa_system_sgpr_workgroup_info 0
		.amdhsa_system_vgpr_workitem_id 0
		.amdhsa_next_free_vgpr 1
		.amdhsa_next_free_sgpr 1
		.amdhsa_reserve_vcc 0
		.amdhsa_float_round_mode_32 0
		.amdhsa_float_round_mode_16_64 0
		.amdhsa_float_denorm_mode_32 3
		.amdhsa_float_denorm_mode_16_64 3
		.amdhsa_fp16_overflow 0
		.amdhsa_workgroup_processor_mode 1
		.amdhsa_memory_ordered 1
		.amdhsa_forward_progress 1
		.amdhsa_inst_pref_size 0
		.amdhsa_round_robin_scheduling 0
		.amdhsa_exception_fp_ieee_invalid_op 0
		.amdhsa_exception_fp_denorm_src 0
		.amdhsa_exception_fp_ieee_div_zero 0
		.amdhsa_exception_fp_ieee_overflow 0
		.amdhsa_exception_fp_ieee_underflow 0
		.amdhsa_exception_fp_ieee_inexact 0
		.amdhsa_exception_int_div_zero 0
	.end_amdhsa_kernel
	.section	.text._ZN7rocprim17ROCPRIM_400000_NS6detail17trampoline_kernelINS0_13select_configILj256ELj13ELNS0_17block_load_methodE3ELS4_3ELS4_3ELNS0_20block_scan_algorithmE0ELj4294967295EEENS1_25partition_config_selectorILNS1_17partition_subalgoE3EjNS0_10empty_typeEbEEZZNS1_14partition_implILS8_3ELb0ES6_jNS0_17counting_iteratorIjlEEPS9_SE_NS0_5tupleIJPjSE_EEENSF_IJSE_SE_EEES9_SG_JZNS1_25segmented_radix_sort_implINS0_14default_configELb0EPKaPaPKlPlN2at6native12_GLOBAL__N_18offset_tEEE10hipError_tPvRmT1_PNSt15iterator_traitsISY_E10value_typeET2_T3_PNSZ_IS14_E10value_typeET4_jRbjT5_S1A_jjP12ihipStream_tbEUljE_EEESV_SW_SX_S14_S18_S1A_T6_T7_T9_mT8_S1C_bDpT10_ENKUlT_T0_E_clISt17integral_constantIbLb1EES1P_EEDaS1K_S1L_EUlS1K_E_NS1_11comp_targetILNS1_3genE5ELNS1_11target_archE942ELNS1_3gpuE9ELNS1_3repE0EEENS1_30default_config_static_selectorELNS0_4arch9wavefront6targetE0EEEvSY_,"axG",@progbits,_ZN7rocprim17ROCPRIM_400000_NS6detail17trampoline_kernelINS0_13select_configILj256ELj13ELNS0_17block_load_methodE3ELS4_3ELS4_3ELNS0_20block_scan_algorithmE0ELj4294967295EEENS1_25partition_config_selectorILNS1_17partition_subalgoE3EjNS0_10empty_typeEbEEZZNS1_14partition_implILS8_3ELb0ES6_jNS0_17counting_iteratorIjlEEPS9_SE_NS0_5tupleIJPjSE_EEENSF_IJSE_SE_EEES9_SG_JZNS1_25segmented_radix_sort_implINS0_14default_configELb0EPKaPaPKlPlN2at6native12_GLOBAL__N_18offset_tEEE10hipError_tPvRmT1_PNSt15iterator_traitsISY_E10value_typeET2_T3_PNSZ_IS14_E10value_typeET4_jRbjT5_S1A_jjP12ihipStream_tbEUljE_EEESV_SW_SX_S14_S18_S1A_T6_T7_T9_mT8_S1C_bDpT10_ENKUlT_T0_E_clISt17integral_constantIbLb1EES1P_EEDaS1K_S1L_EUlS1K_E_NS1_11comp_targetILNS1_3genE5ELNS1_11target_archE942ELNS1_3gpuE9ELNS1_3repE0EEENS1_30default_config_static_selectorELNS0_4arch9wavefront6targetE0EEEvSY_,comdat
.Lfunc_end370:
	.size	_ZN7rocprim17ROCPRIM_400000_NS6detail17trampoline_kernelINS0_13select_configILj256ELj13ELNS0_17block_load_methodE3ELS4_3ELS4_3ELNS0_20block_scan_algorithmE0ELj4294967295EEENS1_25partition_config_selectorILNS1_17partition_subalgoE3EjNS0_10empty_typeEbEEZZNS1_14partition_implILS8_3ELb0ES6_jNS0_17counting_iteratorIjlEEPS9_SE_NS0_5tupleIJPjSE_EEENSF_IJSE_SE_EEES9_SG_JZNS1_25segmented_radix_sort_implINS0_14default_configELb0EPKaPaPKlPlN2at6native12_GLOBAL__N_18offset_tEEE10hipError_tPvRmT1_PNSt15iterator_traitsISY_E10value_typeET2_T3_PNSZ_IS14_E10value_typeET4_jRbjT5_S1A_jjP12ihipStream_tbEUljE_EEESV_SW_SX_S14_S18_S1A_T6_T7_T9_mT8_S1C_bDpT10_ENKUlT_T0_E_clISt17integral_constantIbLb1EES1P_EEDaS1K_S1L_EUlS1K_E_NS1_11comp_targetILNS1_3genE5ELNS1_11target_archE942ELNS1_3gpuE9ELNS1_3repE0EEENS1_30default_config_static_selectorELNS0_4arch9wavefront6targetE0EEEvSY_, .Lfunc_end370-_ZN7rocprim17ROCPRIM_400000_NS6detail17trampoline_kernelINS0_13select_configILj256ELj13ELNS0_17block_load_methodE3ELS4_3ELS4_3ELNS0_20block_scan_algorithmE0ELj4294967295EEENS1_25partition_config_selectorILNS1_17partition_subalgoE3EjNS0_10empty_typeEbEEZZNS1_14partition_implILS8_3ELb0ES6_jNS0_17counting_iteratorIjlEEPS9_SE_NS0_5tupleIJPjSE_EEENSF_IJSE_SE_EEES9_SG_JZNS1_25segmented_radix_sort_implINS0_14default_configELb0EPKaPaPKlPlN2at6native12_GLOBAL__N_18offset_tEEE10hipError_tPvRmT1_PNSt15iterator_traitsISY_E10value_typeET2_T3_PNSZ_IS14_E10value_typeET4_jRbjT5_S1A_jjP12ihipStream_tbEUljE_EEESV_SW_SX_S14_S18_S1A_T6_T7_T9_mT8_S1C_bDpT10_ENKUlT_T0_E_clISt17integral_constantIbLb1EES1P_EEDaS1K_S1L_EUlS1K_E_NS1_11comp_targetILNS1_3genE5ELNS1_11target_archE942ELNS1_3gpuE9ELNS1_3repE0EEENS1_30default_config_static_selectorELNS0_4arch9wavefront6targetE0EEEvSY_
                                        ; -- End function
	.set _ZN7rocprim17ROCPRIM_400000_NS6detail17trampoline_kernelINS0_13select_configILj256ELj13ELNS0_17block_load_methodE3ELS4_3ELS4_3ELNS0_20block_scan_algorithmE0ELj4294967295EEENS1_25partition_config_selectorILNS1_17partition_subalgoE3EjNS0_10empty_typeEbEEZZNS1_14partition_implILS8_3ELb0ES6_jNS0_17counting_iteratorIjlEEPS9_SE_NS0_5tupleIJPjSE_EEENSF_IJSE_SE_EEES9_SG_JZNS1_25segmented_radix_sort_implINS0_14default_configELb0EPKaPaPKlPlN2at6native12_GLOBAL__N_18offset_tEEE10hipError_tPvRmT1_PNSt15iterator_traitsISY_E10value_typeET2_T3_PNSZ_IS14_E10value_typeET4_jRbjT5_S1A_jjP12ihipStream_tbEUljE_EEESV_SW_SX_S14_S18_S1A_T6_T7_T9_mT8_S1C_bDpT10_ENKUlT_T0_E_clISt17integral_constantIbLb1EES1P_EEDaS1K_S1L_EUlS1K_E_NS1_11comp_targetILNS1_3genE5ELNS1_11target_archE942ELNS1_3gpuE9ELNS1_3repE0EEENS1_30default_config_static_selectorELNS0_4arch9wavefront6targetE0EEEvSY_.num_vgpr, 0
	.set _ZN7rocprim17ROCPRIM_400000_NS6detail17trampoline_kernelINS0_13select_configILj256ELj13ELNS0_17block_load_methodE3ELS4_3ELS4_3ELNS0_20block_scan_algorithmE0ELj4294967295EEENS1_25partition_config_selectorILNS1_17partition_subalgoE3EjNS0_10empty_typeEbEEZZNS1_14partition_implILS8_3ELb0ES6_jNS0_17counting_iteratorIjlEEPS9_SE_NS0_5tupleIJPjSE_EEENSF_IJSE_SE_EEES9_SG_JZNS1_25segmented_radix_sort_implINS0_14default_configELb0EPKaPaPKlPlN2at6native12_GLOBAL__N_18offset_tEEE10hipError_tPvRmT1_PNSt15iterator_traitsISY_E10value_typeET2_T3_PNSZ_IS14_E10value_typeET4_jRbjT5_S1A_jjP12ihipStream_tbEUljE_EEESV_SW_SX_S14_S18_S1A_T6_T7_T9_mT8_S1C_bDpT10_ENKUlT_T0_E_clISt17integral_constantIbLb1EES1P_EEDaS1K_S1L_EUlS1K_E_NS1_11comp_targetILNS1_3genE5ELNS1_11target_archE942ELNS1_3gpuE9ELNS1_3repE0EEENS1_30default_config_static_selectorELNS0_4arch9wavefront6targetE0EEEvSY_.num_agpr, 0
	.set _ZN7rocprim17ROCPRIM_400000_NS6detail17trampoline_kernelINS0_13select_configILj256ELj13ELNS0_17block_load_methodE3ELS4_3ELS4_3ELNS0_20block_scan_algorithmE0ELj4294967295EEENS1_25partition_config_selectorILNS1_17partition_subalgoE3EjNS0_10empty_typeEbEEZZNS1_14partition_implILS8_3ELb0ES6_jNS0_17counting_iteratorIjlEEPS9_SE_NS0_5tupleIJPjSE_EEENSF_IJSE_SE_EEES9_SG_JZNS1_25segmented_radix_sort_implINS0_14default_configELb0EPKaPaPKlPlN2at6native12_GLOBAL__N_18offset_tEEE10hipError_tPvRmT1_PNSt15iterator_traitsISY_E10value_typeET2_T3_PNSZ_IS14_E10value_typeET4_jRbjT5_S1A_jjP12ihipStream_tbEUljE_EEESV_SW_SX_S14_S18_S1A_T6_T7_T9_mT8_S1C_bDpT10_ENKUlT_T0_E_clISt17integral_constantIbLb1EES1P_EEDaS1K_S1L_EUlS1K_E_NS1_11comp_targetILNS1_3genE5ELNS1_11target_archE942ELNS1_3gpuE9ELNS1_3repE0EEENS1_30default_config_static_selectorELNS0_4arch9wavefront6targetE0EEEvSY_.numbered_sgpr, 0
	.set _ZN7rocprim17ROCPRIM_400000_NS6detail17trampoline_kernelINS0_13select_configILj256ELj13ELNS0_17block_load_methodE3ELS4_3ELS4_3ELNS0_20block_scan_algorithmE0ELj4294967295EEENS1_25partition_config_selectorILNS1_17partition_subalgoE3EjNS0_10empty_typeEbEEZZNS1_14partition_implILS8_3ELb0ES6_jNS0_17counting_iteratorIjlEEPS9_SE_NS0_5tupleIJPjSE_EEENSF_IJSE_SE_EEES9_SG_JZNS1_25segmented_radix_sort_implINS0_14default_configELb0EPKaPaPKlPlN2at6native12_GLOBAL__N_18offset_tEEE10hipError_tPvRmT1_PNSt15iterator_traitsISY_E10value_typeET2_T3_PNSZ_IS14_E10value_typeET4_jRbjT5_S1A_jjP12ihipStream_tbEUljE_EEESV_SW_SX_S14_S18_S1A_T6_T7_T9_mT8_S1C_bDpT10_ENKUlT_T0_E_clISt17integral_constantIbLb1EES1P_EEDaS1K_S1L_EUlS1K_E_NS1_11comp_targetILNS1_3genE5ELNS1_11target_archE942ELNS1_3gpuE9ELNS1_3repE0EEENS1_30default_config_static_selectorELNS0_4arch9wavefront6targetE0EEEvSY_.num_named_barrier, 0
	.set _ZN7rocprim17ROCPRIM_400000_NS6detail17trampoline_kernelINS0_13select_configILj256ELj13ELNS0_17block_load_methodE3ELS4_3ELS4_3ELNS0_20block_scan_algorithmE0ELj4294967295EEENS1_25partition_config_selectorILNS1_17partition_subalgoE3EjNS0_10empty_typeEbEEZZNS1_14partition_implILS8_3ELb0ES6_jNS0_17counting_iteratorIjlEEPS9_SE_NS0_5tupleIJPjSE_EEENSF_IJSE_SE_EEES9_SG_JZNS1_25segmented_radix_sort_implINS0_14default_configELb0EPKaPaPKlPlN2at6native12_GLOBAL__N_18offset_tEEE10hipError_tPvRmT1_PNSt15iterator_traitsISY_E10value_typeET2_T3_PNSZ_IS14_E10value_typeET4_jRbjT5_S1A_jjP12ihipStream_tbEUljE_EEESV_SW_SX_S14_S18_S1A_T6_T7_T9_mT8_S1C_bDpT10_ENKUlT_T0_E_clISt17integral_constantIbLb1EES1P_EEDaS1K_S1L_EUlS1K_E_NS1_11comp_targetILNS1_3genE5ELNS1_11target_archE942ELNS1_3gpuE9ELNS1_3repE0EEENS1_30default_config_static_selectorELNS0_4arch9wavefront6targetE0EEEvSY_.private_seg_size, 0
	.set _ZN7rocprim17ROCPRIM_400000_NS6detail17trampoline_kernelINS0_13select_configILj256ELj13ELNS0_17block_load_methodE3ELS4_3ELS4_3ELNS0_20block_scan_algorithmE0ELj4294967295EEENS1_25partition_config_selectorILNS1_17partition_subalgoE3EjNS0_10empty_typeEbEEZZNS1_14partition_implILS8_3ELb0ES6_jNS0_17counting_iteratorIjlEEPS9_SE_NS0_5tupleIJPjSE_EEENSF_IJSE_SE_EEES9_SG_JZNS1_25segmented_radix_sort_implINS0_14default_configELb0EPKaPaPKlPlN2at6native12_GLOBAL__N_18offset_tEEE10hipError_tPvRmT1_PNSt15iterator_traitsISY_E10value_typeET2_T3_PNSZ_IS14_E10value_typeET4_jRbjT5_S1A_jjP12ihipStream_tbEUljE_EEESV_SW_SX_S14_S18_S1A_T6_T7_T9_mT8_S1C_bDpT10_ENKUlT_T0_E_clISt17integral_constantIbLb1EES1P_EEDaS1K_S1L_EUlS1K_E_NS1_11comp_targetILNS1_3genE5ELNS1_11target_archE942ELNS1_3gpuE9ELNS1_3repE0EEENS1_30default_config_static_selectorELNS0_4arch9wavefront6targetE0EEEvSY_.uses_vcc, 0
	.set _ZN7rocprim17ROCPRIM_400000_NS6detail17trampoline_kernelINS0_13select_configILj256ELj13ELNS0_17block_load_methodE3ELS4_3ELS4_3ELNS0_20block_scan_algorithmE0ELj4294967295EEENS1_25partition_config_selectorILNS1_17partition_subalgoE3EjNS0_10empty_typeEbEEZZNS1_14partition_implILS8_3ELb0ES6_jNS0_17counting_iteratorIjlEEPS9_SE_NS0_5tupleIJPjSE_EEENSF_IJSE_SE_EEES9_SG_JZNS1_25segmented_radix_sort_implINS0_14default_configELb0EPKaPaPKlPlN2at6native12_GLOBAL__N_18offset_tEEE10hipError_tPvRmT1_PNSt15iterator_traitsISY_E10value_typeET2_T3_PNSZ_IS14_E10value_typeET4_jRbjT5_S1A_jjP12ihipStream_tbEUljE_EEESV_SW_SX_S14_S18_S1A_T6_T7_T9_mT8_S1C_bDpT10_ENKUlT_T0_E_clISt17integral_constantIbLb1EES1P_EEDaS1K_S1L_EUlS1K_E_NS1_11comp_targetILNS1_3genE5ELNS1_11target_archE942ELNS1_3gpuE9ELNS1_3repE0EEENS1_30default_config_static_selectorELNS0_4arch9wavefront6targetE0EEEvSY_.uses_flat_scratch, 0
	.set _ZN7rocprim17ROCPRIM_400000_NS6detail17trampoline_kernelINS0_13select_configILj256ELj13ELNS0_17block_load_methodE3ELS4_3ELS4_3ELNS0_20block_scan_algorithmE0ELj4294967295EEENS1_25partition_config_selectorILNS1_17partition_subalgoE3EjNS0_10empty_typeEbEEZZNS1_14partition_implILS8_3ELb0ES6_jNS0_17counting_iteratorIjlEEPS9_SE_NS0_5tupleIJPjSE_EEENSF_IJSE_SE_EEES9_SG_JZNS1_25segmented_radix_sort_implINS0_14default_configELb0EPKaPaPKlPlN2at6native12_GLOBAL__N_18offset_tEEE10hipError_tPvRmT1_PNSt15iterator_traitsISY_E10value_typeET2_T3_PNSZ_IS14_E10value_typeET4_jRbjT5_S1A_jjP12ihipStream_tbEUljE_EEESV_SW_SX_S14_S18_S1A_T6_T7_T9_mT8_S1C_bDpT10_ENKUlT_T0_E_clISt17integral_constantIbLb1EES1P_EEDaS1K_S1L_EUlS1K_E_NS1_11comp_targetILNS1_3genE5ELNS1_11target_archE942ELNS1_3gpuE9ELNS1_3repE0EEENS1_30default_config_static_selectorELNS0_4arch9wavefront6targetE0EEEvSY_.has_dyn_sized_stack, 0
	.set _ZN7rocprim17ROCPRIM_400000_NS6detail17trampoline_kernelINS0_13select_configILj256ELj13ELNS0_17block_load_methodE3ELS4_3ELS4_3ELNS0_20block_scan_algorithmE0ELj4294967295EEENS1_25partition_config_selectorILNS1_17partition_subalgoE3EjNS0_10empty_typeEbEEZZNS1_14partition_implILS8_3ELb0ES6_jNS0_17counting_iteratorIjlEEPS9_SE_NS0_5tupleIJPjSE_EEENSF_IJSE_SE_EEES9_SG_JZNS1_25segmented_radix_sort_implINS0_14default_configELb0EPKaPaPKlPlN2at6native12_GLOBAL__N_18offset_tEEE10hipError_tPvRmT1_PNSt15iterator_traitsISY_E10value_typeET2_T3_PNSZ_IS14_E10value_typeET4_jRbjT5_S1A_jjP12ihipStream_tbEUljE_EEESV_SW_SX_S14_S18_S1A_T6_T7_T9_mT8_S1C_bDpT10_ENKUlT_T0_E_clISt17integral_constantIbLb1EES1P_EEDaS1K_S1L_EUlS1K_E_NS1_11comp_targetILNS1_3genE5ELNS1_11target_archE942ELNS1_3gpuE9ELNS1_3repE0EEENS1_30default_config_static_selectorELNS0_4arch9wavefront6targetE0EEEvSY_.has_recursion, 0
	.set _ZN7rocprim17ROCPRIM_400000_NS6detail17trampoline_kernelINS0_13select_configILj256ELj13ELNS0_17block_load_methodE3ELS4_3ELS4_3ELNS0_20block_scan_algorithmE0ELj4294967295EEENS1_25partition_config_selectorILNS1_17partition_subalgoE3EjNS0_10empty_typeEbEEZZNS1_14partition_implILS8_3ELb0ES6_jNS0_17counting_iteratorIjlEEPS9_SE_NS0_5tupleIJPjSE_EEENSF_IJSE_SE_EEES9_SG_JZNS1_25segmented_radix_sort_implINS0_14default_configELb0EPKaPaPKlPlN2at6native12_GLOBAL__N_18offset_tEEE10hipError_tPvRmT1_PNSt15iterator_traitsISY_E10value_typeET2_T3_PNSZ_IS14_E10value_typeET4_jRbjT5_S1A_jjP12ihipStream_tbEUljE_EEESV_SW_SX_S14_S18_S1A_T6_T7_T9_mT8_S1C_bDpT10_ENKUlT_T0_E_clISt17integral_constantIbLb1EES1P_EEDaS1K_S1L_EUlS1K_E_NS1_11comp_targetILNS1_3genE5ELNS1_11target_archE942ELNS1_3gpuE9ELNS1_3repE0EEENS1_30default_config_static_selectorELNS0_4arch9wavefront6targetE0EEEvSY_.has_indirect_call, 0
	.section	.AMDGPU.csdata,"",@progbits
; Kernel info:
; codeLenInByte = 0
; TotalNumSgprs: 0
; NumVgprs: 0
; ScratchSize: 0
; MemoryBound: 0
; FloatMode: 240
; IeeeMode: 1
; LDSByteSize: 0 bytes/workgroup (compile time only)
; SGPRBlocks: 0
; VGPRBlocks: 0
; NumSGPRsForWavesPerEU: 1
; NumVGPRsForWavesPerEU: 1
; Occupancy: 16
; WaveLimiterHint : 0
; COMPUTE_PGM_RSRC2:SCRATCH_EN: 0
; COMPUTE_PGM_RSRC2:USER_SGPR: 2
; COMPUTE_PGM_RSRC2:TRAP_HANDLER: 0
; COMPUTE_PGM_RSRC2:TGID_X_EN: 1
; COMPUTE_PGM_RSRC2:TGID_Y_EN: 0
; COMPUTE_PGM_RSRC2:TGID_Z_EN: 0
; COMPUTE_PGM_RSRC2:TIDIG_COMP_CNT: 0
	.section	.text._ZN7rocprim17ROCPRIM_400000_NS6detail17trampoline_kernelINS0_13select_configILj256ELj13ELNS0_17block_load_methodE3ELS4_3ELS4_3ELNS0_20block_scan_algorithmE0ELj4294967295EEENS1_25partition_config_selectorILNS1_17partition_subalgoE3EjNS0_10empty_typeEbEEZZNS1_14partition_implILS8_3ELb0ES6_jNS0_17counting_iteratorIjlEEPS9_SE_NS0_5tupleIJPjSE_EEENSF_IJSE_SE_EEES9_SG_JZNS1_25segmented_radix_sort_implINS0_14default_configELb0EPKaPaPKlPlN2at6native12_GLOBAL__N_18offset_tEEE10hipError_tPvRmT1_PNSt15iterator_traitsISY_E10value_typeET2_T3_PNSZ_IS14_E10value_typeET4_jRbjT5_S1A_jjP12ihipStream_tbEUljE_EEESV_SW_SX_S14_S18_S1A_T6_T7_T9_mT8_S1C_bDpT10_ENKUlT_T0_E_clISt17integral_constantIbLb1EES1P_EEDaS1K_S1L_EUlS1K_E_NS1_11comp_targetILNS1_3genE4ELNS1_11target_archE910ELNS1_3gpuE8ELNS1_3repE0EEENS1_30default_config_static_selectorELNS0_4arch9wavefront6targetE0EEEvSY_,"axG",@progbits,_ZN7rocprim17ROCPRIM_400000_NS6detail17trampoline_kernelINS0_13select_configILj256ELj13ELNS0_17block_load_methodE3ELS4_3ELS4_3ELNS0_20block_scan_algorithmE0ELj4294967295EEENS1_25partition_config_selectorILNS1_17partition_subalgoE3EjNS0_10empty_typeEbEEZZNS1_14partition_implILS8_3ELb0ES6_jNS0_17counting_iteratorIjlEEPS9_SE_NS0_5tupleIJPjSE_EEENSF_IJSE_SE_EEES9_SG_JZNS1_25segmented_radix_sort_implINS0_14default_configELb0EPKaPaPKlPlN2at6native12_GLOBAL__N_18offset_tEEE10hipError_tPvRmT1_PNSt15iterator_traitsISY_E10value_typeET2_T3_PNSZ_IS14_E10value_typeET4_jRbjT5_S1A_jjP12ihipStream_tbEUljE_EEESV_SW_SX_S14_S18_S1A_T6_T7_T9_mT8_S1C_bDpT10_ENKUlT_T0_E_clISt17integral_constantIbLb1EES1P_EEDaS1K_S1L_EUlS1K_E_NS1_11comp_targetILNS1_3genE4ELNS1_11target_archE910ELNS1_3gpuE8ELNS1_3repE0EEENS1_30default_config_static_selectorELNS0_4arch9wavefront6targetE0EEEvSY_,comdat
	.globl	_ZN7rocprim17ROCPRIM_400000_NS6detail17trampoline_kernelINS0_13select_configILj256ELj13ELNS0_17block_load_methodE3ELS4_3ELS4_3ELNS0_20block_scan_algorithmE0ELj4294967295EEENS1_25partition_config_selectorILNS1_17partition_subalgoE3EjNS0_10empty_typeEbEEZZNS1_14partition_implILS8_3ELb0ES6_jNS0_17counting_iteratorIjlEEPS9_SE_NS0_5tupleIJPjSE_EEENSF_IJSE_SE_EEES9_SG_JZNS1_25segmented_radix_sort_implINS0_14default_configELb0EPKaPaPKlPlN2at6native12_GLOBAL__N_18offset_tEEE10hipError_tPvRmT1_PNSt15iterator_traitsISY_E10value_typeET2_T3_PNSZ_IS14_E10value_typeET4_jRbjT5_S1A_jjP12ihipStream_tbEUljE_EEESV_SW_SX_S14_S18_S1A_T6_T7_T9_mT8_S1C_bDpT10_ENKUlT_T0_E_clISt17integral_constantIbLb1EES1P_EEDaS1K_S1L_EUlS1K_E_NS1_11comp_targetILNS1_3genE4ELNS1_11target_archE910ELNS1_3gpuE8ELNS1_3repE0EEENS1_30default_config_static_selectorELNS0_4arch9wavefront6targetE0EEEvSY_ ; -- Begin function _ZN7rocprim17ROCPRIM_400000_NS6detail17trampoline_kernelINS0_13select_configILj256ELj13ELNS0_17block_load_methodE3ELS4_3ELS4_3ELNS0_20block_scan_algorithmE0ELj4294967295EEENS1_25partition_config_selectorILNS1_17partition_subalgoE3EjNS0_10empty_typeEbEEZZNS1_14partition_implILS8_3ELb0ES6_jNS0_17counting_iteratorIjlEEPS9_SE_NS0_5tupleIJPjSE_EEENSF_IJSE_SE_EEES9_SG_JZNS1_25segmented_radix_sort_implINS0_14default_configELb0EPKaPaPKlPlN2at6native12_GLOBAL__N_18offset_tEEE10hipError_tPvRmT1_PNSt15iterator_traitsISY_E10value_typeET2_T3_PNSZ_IS14_E10value_typeET4_jRbjT5_S1A_jjP12ihipStream_tbEUljE_EEESV_SW_SX_S14_S18_S1A_T6_T7_T9_mT8_S1C_bDpT10_ENKUlT_T0_E_clISt17integral_constantIbLb1EES1P_EEDaS1K_S1L_EUlS1K_E_NS1_11comp_targetILNS1_3genE4ELNS1_11target_archE910ELNS1_3gpuE8ELNS1_3repE0EEENS1_30default_config_static_selectorELNS0_4arch9wavefront6targetE0EEEvSY_
	.p2align	8
	.type	_ZN7rocprim17ROCPRIM_400000_NS6detail17trampoline_kernelINS0_13select_configILj256ELj13ELNS0_17block_load_methodE3ELS4_3ELS4_3ELNS0_20block_scan_algorithmE0ELj4294967295EEENS1_25partition_config_selectorILNS1_17partition_subalgoE3EjNS0_10empty_typeEbEEZZNS1_14partition_implILS8_3ELb0ES6_jNS0_17counting_iteratorIjlEEPS9_SE_NS0_5tupleIJPjSE_EEENSF_IJSE_SE_EEES9_SG_JZNS1_25segmented_radix_sort_implINS0_14default_configELb0EPKaPaPKlPlN2at6native12_GLOBAL__N_18offset_tEEE10hipError_tPvRmT1_PNSt15iterator_traitsISY_E10value_typeET2_T3_PNSZ_IS14_E10value_typeET4_jRbjT5_S1A_jjP12ihipStream_tbEUljE_EEESV_SW_SX_S14_S18_S1A_T6_T7_T9_mT8_S1C_bDpT10_ENKUlT_T0_E_clISt17integral_constantIbLb1EES1P_EEDaS1K_S1L_EUlS1K_E_NS1_11comp_targetILNS1_3genE4ELNS1_11target_archE910ELNS1_3gpuE8ELNS1_3repE0EEENS1_30default_config_static_selectorELNS0_4arch9wavefront6targetE0EEEvSY_,@function
_ZN7rocprim17ROCPRIM_400000_NS6detail17trampoline_kernelINS0_13select_configILj256ELj13ELNS0_17block_load_methodE3ELS4_3ELS4_3ELNS0_20block_scan_algorithmE0ELj4294967295EEENS1_25partition_config_selectorILNS1_17partition_subalgoE3EjNS0_10empty_typeEbEEZZNS1_14partition_implILS8_3ELb0ES6_jNS0_17counting_iteratorIjlEEPS9_SE_NS0_5tupleIJPjSE_EEENSF_IJSE_SE_EEES9_SG_JZNS1_25segmented_radix_sort_implINS0_14default_configELb0EPKaPaPKlPlN2at6native12_GLOBAL__N_18offset_tEEE10hipError_tPvRmT1_PNSt15iterator_traitsISY_E10value_typeET2_T3_PNSZ_IS14_E10value_typeET4_jRbjT5_S1A_jjP12ihipStream_tbEUljE_EEESV_SW_SX_S14_S18_S1A_T6_T7_T9_mT8_S1C_bDpT10_ENKUlT_T0_E_clISt17integral_constantIbLb1EES1P_EEDaS1K_S1L_EUlS1K_E_NS1_11comp_targetILNS1_3genE4ELNS1_11target_archE910ELNS1_3gpuE8ELNS1_3repE0EEENS1_30default_config_static_selectorELNS0_4arch9wavefront6targetE0EEEvSY_: ; @_ZN7rocprim17ROCPRIM_400000_NS6detail17trampoline_kernelINS0_13select_configILj256ELj13ELNS0_17block_load_methodE3ELS4_3ELS4_3ELNS0_20block_scan_algorithmE0ELj4294967295EEENS1_25partition_config_selectorILNS1_17partition_subalgoE3EjNS0_10empty_typeEbEEZZNS1_14partition_implILS8_3ELb0ES6_jNS0_17counting_iteratorIjlEEPS9_SE_NS0_5tupleIJPjSE_EEENSF_IJSE_SE_EEES9_SG_JZNS1_25segmented_radix_sort_implINS0_14default_configELb0EPKaPaPKlPlN2at6native12_GLOBAL__N_18offset_tEEE10hipError_tPvRmT1_PNSt15iterator_traitsISY_E10value_typeET2_T3_PNSZ_IS14_E10value_typeET4_jRbjT5_S1A_jjP12ihipStream_tbEUljE_EEESV_SW_SX_S14_S18_S1A_T6_T7_T9_mT8_S1C_bDpT10_ENKUlT_T0_E_clISt17integral_constantIbLb1EES1P_EEDaS1K_S1L_EUlS1K_E_NS1_11comp_targetILNS1_3genE4ELNS1_11target_archE910ELNS1_3gpuE8ELNS1_3repE0EEENS1_30default_config_static_selectorELNS0_4arch9wavefront6targetE0EEEvSY_
; %bb.0:
	.section	.rodata,"a",@progbits
	.p2align	6, 0x0
	.amdhsa_kernel _ZN7rocprim17ROCPRIM_400000_NS6detail17trampoline_kernelINS0_13select_configILj256ELj13ELNS0_17block_load_methodE3ELS4_3ELS4_3ELNS0_20block_scan_algorithmE0ELj4294967295EEENS1_25partition_config_selectorILNS1_17partition_subalgoE3EjNS0_10empty_typeEbEEZZNS1_14partition_implILS8_3ELb0ES6_jNS0_17counting_iteratorIjlEEPS9_SE_NS0_5tupleIJPjSE_EEENSF_IJSE_SE_EEES9_SG_JZNS1_25segmented_radix_sort_implINS0_14default_configELb0EPKaPaPKlPlN2at6native12_GLOBAL__N_18offset_tEEE10hipError_tPvRmT1_PNSt15iterator_traitsISY_E10value_typeET2_T3_PNSZ_IS14_E10value_typeET4_jRbjT5_S1A_jjP12ihipStream_tbEUljE_EEESV_SW_SX_S14_S18_S1A_T6_T7_T9_mT8_S1C_bDpT10_ENKUlT_T0_E_clISt17integral_constantIbLb1EES1P_EEDaS1K_S1L_EUlS1K_E_NS1_11comp_targetILNS1_3genE4ELNS1_11target_archE910ELNS1_3gpuE8ELNS1_3repE0EEENS1_30default_config_static_selectorELNS0_4arch9wavefront6targetE0EEEvSY_
		.amdhsa_group_segment_fixed_size 0
		.amdhsa_private_segment_fixed_size 0
		.amdhsa_kernarg_size 152
		.amdhsa_user_sgpr_count 2
		.amdhsa_user_sgpr_dispatch_ptr 0
		.amdhsa_user_sgpr_queue_ptr 0
		.amdhsa_user_sgpr_kernarg_segment_ptr 1
		.amdhsa_user_sgpr_dispatch_id 0
		.amdhsa_user_sgpr_private_segment_size 0
		.amdhsa_wavefront_size32 1
		.amdhsa_uses_dynamic_stack 0
		.amdhsa_enable_private_segment 0
		.amdhsa_system_sgpr_workgroup_id_x 1
		.amdhsa_system_sgpr_workgroup_id_y 0
		.amdhsa_system_sgpr_workgroup_id_z 0
		.amdhsa_system_sgpr_workgroup_info 0
		.amdhsa_system_vgpr_workitem_id 0
		.amdhsa_next_free_vgpr 1
		.amdhsa_next_free_sgpr 1
		.amdhsa_reserve_vcc 0
		.amdhsa_float_round_mode_32 0
		.amdhsa_float_round_mode_16_64 0
		.amdhsa_float_denorm_mode_32 3
		.amdhsa_float_denorm_mode_16_64 3
		.amdhsa_fp16_overflow 0
		.amdhsa_workgroup_processor_mode 1
		.amdhsa_memory_ordered 1
		.amdhsa_forward_progress 1
		.amdhsa_inst_pref_size 0
		.amdhsa_round_robin_scheduling 0
		.amdhsa_exception_fp_ieee_invalid_op 0
		.amdhsa_exception_fp_denorm_src 0
		.amdhsa_exception_fp_ieee_div_zero 0
		.amdhsa_exception_fp_ieee_overflow 0
		.amdhsa_exception_fp_ieee_underflow 0
		.amdhsa_exception_fp_ieee_inexact 0
		.amdhsa_exception_int_div_zero 0
	.end_amdhsa_kernel
	.section	.text._ZN7rocprim17ROCPRIM_400000_NS6detail17trampoline_kernelINS0_13select_configILj256ELj13ELNS0_17block_load_methodE3ELS4_3ELS4_3ELNS0_20block_scan_algorithmE0ELj4294967295EEENS1_25partition_config_selectorILNS1_17partition_subalgoE3EjNS0_10empty_typeEbEEZZNS1_14partition_implILS8_3ELb0ES6_jNS0_17counting_iteratorIjlEEPS9_SE_NS0_5tupleIJPjSE_EEENSF_IJSE_SE_EEES9_SG_JZNS1_25segmented_radix_sort_implINS0_14default_configELb0EPKaPaPKlPlN2at6native12_GLOBAL__N_18offset_tEEE10hipError_tPvRmT1_PNSt15iterator_traitsISY_E10value_typeET2_T3_PNSZ_IS14_E10value_typeET4_jRbjT5_S1A_jjP12ihipStream_tbEUljE_EEESV_SW_SX_S14_S18_S1A_T6_T7_T9_mT8_S1C_bDpT10_ENKUlT_T0_E_clISt17integral_constantIbLb1EES1P_EEDaS1K_S1L_EUlS1K_E_NS1_11comp_targetILNS1_3genE4ELNS1_11target_archE910ELNS1_3gpuE8ELNS1_3repE0EEENS1_30default_config_static_selectorELNS0_4arch9wavefront6targetE0EEEvSY_,"axG",@progbits,_ZN7rocprim17ROCPRIM_400000_NS6detail17trampoline_kernelINS0_13select_configILj256ELj13ELNS0_17block_load_methodE3ELS4_3ELS4_3ELNS0_20block_scan_algorithmE0ELj4294967295EEENS1_25partition_config_selectorILNS1_17partition_subalgoE3EjNS0_10empty_typeEbEEZZNS1_14partition_implILS8_3ELb0ES6_jNS0_17counting_iteratorIjlEEPS9_SE_NS0_5tupleIJPjSE_EEENSF_IJSE_SE_EEES9_SG_JZNS1_25segmented_radix_sort_implINS0_14default_configELb0EPKaPaPKlPlN2at6native12_GLOBAL__N_18offset_tEEE10hipError_tPvRmT1_PNSt15iterator_traitsISY_E10value_typeET2_T3_PNSZ_IS14_E10value_typeET4_jRbjT5_S1A_jjP12ihipStream_tbEUljE_EEESV_SW_SX_S14_S18_S1A_T6_T7_T9_mT8_S1C_bDpT10_ENKUlT_T0_E_clISt17integral_constantIbLb1EES1P_EEDaS1K_S1L_EUlS1K_E_NS1_11comp_targetILNS1_3genE4ELNS1_11target_archE910ELNS1_3gpuE8ELNS1_3repE0EEENS1_30default_config_static_selectorELNS0_4arch9wavefront6targetE0EEEvSY_,comdat
.Lfunc_end371:
	.size	_ZN7rocprim17ROCPRIM_400000_NS6detail17trampoline_kernelINS0_13select_configILj256ELj13ELNS0_17block_load_methodE3ELS4_3ELS4_3ELNS0_20block_scan_algorithmE0ELj4294967295EEENS1_25partition_config_selectorILNS1_17partition_subalgoE3EjNS0_10empty_typeEbEEZZNS1_14partition_implILS8_3ELb0ES6_jNS0_17counting_iteratorIjlEEPS9_SE_NS0_5tupleIJPjSE_EEENSF_IJSE_SE_EEES9_SG_JZNS1_25segmented_radix_sort_implINS0_14default_configELb0EPKaPaPKlPlN2at6native12_GLOBAL__N_18offset_tEEE10hipError_tPvRmT1_PNSt15iterator_traitsISY_E10value_typeET2_T3_PNSZ_IS14_E10value_typeET4_jRbjT5_S1A_jjP12ihipStream_tbEUljE_EEESV_SW_SX_S14_S18_S1A_T6_T7_T9_mT8_S1C_bDpT10_ENKUlT_T0_E_clISt17integral_constantIbLb1EES1P_EEDaS1K_S1L_EUlS1K_E_NS1_11comp_targetILNS1_3genE4ELNS1_11target_archE910ELNS1_3gpuE8ELNS1_3repE0EEENS1_30default_config_static_selectorELNS0_4arch9wavefront6targetE0EEEvSY_, .Lfunc_end371-_ZN7rocprim17ROCPRIM_400000_NS6detail17trampoline_kernelINS0_13select_configILj256ELj13ELNS0_17block_load_methodE3ELS4_3ELS4_3ELNS0_20block_scan_algorithmE0ELj4294967295EEENS1_25partition_config_selectorILNS1_17partition_subalgoE3EjNS0_10empty_typeEbEEZZNS1_14partition_implILS8_3ELb0ES6_jNS0_17counting_iteratorIjlEEPS9_SE_NS0_5tupleIJPjSE_EEENSF_IJSE_SE_EEES9_SG_JZNS1_25segmented_radix_sort_implINS0_14default_configELb0EPKaPaPKlPlN2at6native12_GLOBAL__N_18offset_tEEE10hipError_tPvRmT1_PNSt15iterator_traitsISY_E10value_typeET2_T3_PNSZ_IS14_E10value_typeET4_jRbjT5_S1A_jjP12ihipStream_tbEUljE_EEESV_SW_SX_S14_S18_S1A_T6_T7_T9_mT8_S1C_bDpT10_ENKUlT_T0_E_clISt17integral_constantIbLb1EES1P_EEDaS1K_S1L_EUlS1K_E_NS1_11comp_targetILNS1_3genE4ELNS1_11target_archE910ELNS1_3gpuE8ELNS1_3repE0EEENS1_30default_config_static_selectorELNS0_4arch9wavefront6targetE0EEEvSY_
                                        ; -- End function
	.set _ZN7rocprim17ROCPRIM_400000_NS6detail17trampoline_kernelINS0_13select_configILj256ELj13ELNS0_17block_load_methodE3ELS4_3ELS4_3ELNS0_20block_scan_algorithmE0ELj4294967295EEENS1_25partition_config_selectorILNS1_17partition_subalgoE3EjNS0_10empty_typeEbEEZZNS1_14partition_implILS8_3ELb0ES6_jNS0_17counting_iteratorIjlEEPS9_SE_NS0_5tupleIJPjSE_EEENSF_IJSE_SE_EEES9_SG_JZNS1_25segmented_radix_sort_implINS0_14default_configELb0EPKaPaPKlPlN2at6native12_GLOBAL__N_18offset_tEEE10hipError_tPvRmT1_PNSt15iterator_traitsISY_E10value_typeET2_T3_PNSZ_IS14_E10value_typeET4_jRbjT5_S1A_jjP12ihipStream_tbEUljE_EEESV_SW_SX_S14_S18_S1A_T6_T7_T9_mT8_S1C_bDpT10_ENKUlT_T0_E_clISt17integral_constantIbLb1EES1P_EEDaS1K_S1L_EUlS1K_E_NS1_11comp_targetILNS1_3genE4ELNS1_11target_archE910ELNS1_3gpuE8ELNS1_3repE0EEENS1_30default_config_static_selectorELNS0_4arch9wavefront6targetE0EEEvSY_.num_vgpr, 0
	.set _ZN7rocprim17ROCPRIM_400000_NS6detail17trampoline_kernelINS0_13select_configILj256ELj13ELNS0_17block_load_methodE3ELS4_3ELS4_3ELNS0_20block_scan_algorithmE0ELj4294967295EEENS1_25partition_config_selectorILNS1_17partition_subalgoE3EjNS0_10empty_typeEbEEZZNS1_14partition_implILS8_3ELb0ES6_jNS0_17counting_iteratorIjlEEPS9_SE_NS0_5tupleIJPjSE_EEENSF_IJSE_SE_EEES9_SG_JZNS1_25segmented_radix_sort_implINS0_14default_configELb0EPKaPaPKlPlN2at6native12_GLOBAL__N_18offset_tEEE10hipError_tPvRmT1_PNSt15iterator_traitsISY_E10value_typeET2_T3_PNSZ_IS14_E10value_typeET4_jRbjT5_S1A_jjP12ihipStream_tbEUljE_EEESV_SW_SX_S14_S18_S1A_T6_T7_T9_mT8_S1C_bDpT10_ENKUlT_T0_E_clISt17integral_constantIbLb1EES1P_EEDaS1K_S1L_EUlS1K_E_NS1_11comp_targetILNS1_3genE4ELNS1_11target_archE910ELNS1_3gpuE8ELNS1_3repE0EEENS1_30default_config_static_selectorELNS0_4arch9wavefront6targetE0EEEvSY_.num_agpr, 0
	.set _ZN7rocprim17ROCPRIM_400000_NS6detail17trampoline_kernelINS0_13select_configILj256ELj13ELNS0_17block_load_methodE3ELS4_3ELS4_3ELNS0_20block_scan_algorithmE0ELj4294967295EEENS1_25partition_config_selectorILNS1_17partition_subalgoE3EjNS0_10empty_typeEbEEZZNS1_14partition_implILS8_3ELb0ES6_jNS0_17counting_iteratorIjlEEPS9_SE_NS0_5tupleIJPjSE_EEENSF_IJSE_SE_EEES9_SG_JZNS1_25segmented_radix_sort_implINS0_14default_configELb0EPKaPaPKlPlN2at6native12_GLOBAL__N_18offset_tEEE10hipError_tPvRmT1_PNSt15iterator_traitsISY_E10value_typeET2_T3_PNSZ_IS14_E10value_typeET4_jRbjT5_S1A_jjP12ihipStream_tbEUljE_EEESV_SW_SX_S14_S18_S1A_T6_T7_T9_mT8_S1C_bDpT10_ENKUlT_T0_E_clISt17integral_constantIbLb1EES1P_EEDaS1K_S1L_EUlS1K_E_NS1_11comp_targetILNS1_3genE4ELNS1_11target_archE910ELNS1_3gpuE8ELNS1_3repE0EEENS1_30default_config_static_selectorELNS0_4arch9wavefront6targetE0EEEvSY_.numbered_sgpr, 0
	.set _ZN7rocprim17ROCPRIM_400000_NS6detail17trampoline_kernelINS0_13select_configILj256ELj13ELNS0_17block_load_methodE3ELS4_3ELS4_3ELNS0_20block_scan_algorithmE0ELj4294967295EEENS1_25partition_config_selectorILNS1_17partition_subalgoE3EjNS0_10empty_typeEbEEZZNS1_14partition_implILS8_3ELb0ES6_jNS0_17counting_iteratorIjlEEPS9_SE_NS0_5tupleIJPjSE_EEENSF_IJSE_SE_EEES9_SG_JZNS1_25segmented_radix_sort_implINS0_14default_configELb0EPKaPaPKlPlN2at6native12_GLOBAL__N_18offset_tEEE10hipError_tPvRmT1_PNSt15iterator_traitsISY_E10value_typeET2_T3_PNSZ_IS14_E10value_typeET4_jRbjT5_S1A_jjP12ihipStream_tbEUljE_EEESV_SW_SX_S14_S18_S1A_T6_T7_T9_mT8_S1C_bDpT10_ENKUlT_T0_E_clISt17integral_constantIbLb1EES1P_EEDaS1K_S1L_EUlS1K_E_NS1_11comp_targetILNS1_3genE4ELNS1_11target_archE910ELNS1_3gpuE8ELNS1_3repE0EEENS1_30default_config_static_selectorELNS0_4arch9wavefront6targetE0EEEvSY_.num_named_barrier, 0
	.set _ZN7rocprim17ROCPRIM_400000_NS6detail17trampoline_kernelINS0_13select_configILj256ELj13ELNS0_17block_load_methodE3ELS4_3ELS4_3ELNS0_20block_scan_algorithmE0ELj4294967295EEENS1_25partition_config_selectorILNS1_17partition_subalgoE3EjNS0_10empty_typeEbEEZZNS1_14partition_implILS8_3ELb0ES6_jNS0_17counting_iteratorIjlEEPS9_SE_NS0_5tupleIJPjSE_EEENSF_IJSE_SE_EEES9_SG_JZNS1_25segmented_radix_sort_implINS0_14default_configELb0EPKaPaPKlPlN2at6native12_GLOBAL__N_18offset_tEEE10hipError_tPvRmT1_PNSt15iterator_traitsISY_E10value_typeET2_T3_PNSZ_IS14_E10value_typeET4_jRbjT5_S1A_jjP12ihipStream_tbEUljE_EEESV_SW_SX_S14_S18_S1A_T6_T7_T9_mT8_S1C_bDpT10_ENKUlT_T0_E_clISt17integral_constantIbLb1EES1P_EEDaS1K_S1L_EUlS1K_E_NS1_11comp_targetILNS1_3genE4ELNS1_11target_archE910ELNS1_3gpuE8ELNS1_3repE0EEENS1_30default_config_static_selectorELNS0_4arch9wavefront6targetE0EEEvSY_.private_seg_size, 0
	.set _ZN7rocprim17ROCPRIM_400000_NS6detail17trampoline_kernelINS0_13select_configILj256ELj13ELNS0_17block_load_methodE3ELS4_3ELS4_3ELNS0_20block_scan_algorithmE0ELj4294967295EEENS1_25partition_config_selectorILNS1_17partition_subalgoE3EjNS0_10empty_typeEbEEZZNS1_14partition_implILS8_3ELb0ES6_jNS0_17counting_iteratorIjlEEPS9_SE_NS0_5tupleIJPjSE_EEENSF_IJSE_SE_EEES9_SG_JZNS1_25segmented_radix_sort_implINS0_14default_configELb0EPKaPaPKlPlN2at6native12_GLOBAL__N_18offset_tEEE10hipError_tPvRmT1_PNSt15iterator_traitsISY_E10value_typeET2_T3_PNSZ_IS14_E10value_typeET4_jRbjT5_S1A_jjP12ihipStream_tbEUljE_EEESV_SW_SX_S14_S18_S1A_T6_T7_T9_mT8_S1C_bDpT10_ENKUlT_T0_E_clISt17integral_constantIbLb1EES1P_EEDaS1K_S1L_EUlS1K_E_NS1_11comp_targetILNS1_3genE4ELNS1_11target_archE910ELNS1_3gpuE8ELNS1_3repE0EEENS1_30default_config_static_selectorELNS0_4arch9wavefront6targetE0EEEvSY_.uses_vcc, 0
	.set _ZN7rocprim17ROCPRIM_400000_NS6detail17trampoline_kernelINS0_13select_configILj256ELj13ELNS0_17block_load_methodE3ELS4_3ELS4_3ELNS0_20block_scan_algorithmE0ELj4294967295EEENS1_25partition_config_selectorILNS1_17partition_subalgoE3EjNS0_10empty_typeEbEEZZNS1_14partition_implILS8_3ELb0ES6_jNS0_17counting_iteratorIjlEEPS9_SE_NS0_5tupleIJPjSE_EEENSF_IJSE_SE_EEES9_SG_JZNS1_25segmented_radix_sort_implINS0_14default_configELb0EPKaPaPKlPlN2at6native12_GLOBAL__N_18offset_tEEE10hipError_tPvRmT1_PNSt15iterator_traitsISY_E10value_typeET2_T3_PNSZ_IS14_E10value_typeET4_jRbjT5_S1A_jjP12ihipStream_tbEUljE_EEESV_SW_SX_S14_S18_S1A_T6_T7_T9_mT8_S1C_bDpT10_ENKUlT_T0_E_clISt17integral_constantIbLb1EES1P_EEDaS1K_S1L_EUlS1K_E_NS1_11comp_targetILNS1_3genE4ELNS1_11target_archE910ELNS1_3gpuE8ELNS1_3repE0EEENS1_30default_config_static_selectorELNS0_4arch9wavefront6targetE0EEEvSY_.uses_flat_scratch, 0
	.set _ZN7rocprim17ROCPRIM_400000_NS6detail17trampoline_kernelINS0_13select_configILj256ELj13ELNS0_17block_load_methodE3ELS4_3ELS4_3ELNS0_20block_scan_algorithmE0ELj4294967295EEENS1_25partition_config_selectorILNS1_17partition_subalgoE3EjNS0_10empty_typeEbEEZZNS1_14partition_implILS8_3ELb0ES6_jNS0_17counting_iteratorIjlEEPS9_SE_NS0_5tupleIJPjSE_EEENSF_IJSE_SE_EEES9_SG_JZNS1_25segmented_radix_sort_implINS0_14default_configELb0EPKaPaPKlPlN2at6native12_GLOBAL__N_18offset_tEEE10hipError_tPvRmT1_PNSt15iterator_traitsISY_E10value_typeET2_T3_PNSZ_IS14_E10value_typeET4_jRbjT5_S1A_jjP12ihipStream_tbEUljE_EEESV_SW_SX_S14_S18_S1A_T6_T7_T9_mT8_S1C_bDpT10_ENKUlT_T0_E_clISt17integral_constantIbLb1EES1P_EEDaS1K_S1L_EUlS1K_E_NS1_11comp_targetILNS1_3genE4ELNS1_11target_archE910ELNS1_3gpuE8ELNS1_3repE0EEENS1_30default_config_static_selectorELNS0_4arch9wavefront6targetE0EEEvSY_.has_dyn_sized_stack, 0
	.set _ZN7rocprim17ROCPRIM_400000_NS6detail17trampoline_kernelINS0_13select_configILj256ELj13ELNS0_17block_load_methodE3ELS4_3ELS4_3ELNS0_20block_scan_algorithmE0ELj4294967295EEENS1_25partition_config_selectorILNS1_17partition_subalgoE3EjNS0_10empty_typeEbEEZZNS1_14partition_implILS8_3ELb0ES6_jNS0_17counting_iteratorIjlEEPS9_SE_NS0_5tupleIJPjSE_EEENSF_IJSE_SE_EEES9_SG_JZNS1_25segmented_radix_sort_implINS0_14default_configELb0EPKaPaPKlPlN2at6native12_GLOBAL__N_18offset_tEEE10hipError_tPvRmT1_PNSt15iterator_traitsISY_E10value_typeET2_T3_PNSZ_IS14_E10value_typeET4_jRbjT5_S1A_jjP12ihipStream_tbEUljE_EEESV_SW_SX_S14_S18_S1A_T6_T7_T9_mT8_S1C_bDpT10_ENKUlT_T0_E_clISt17integral_constantIbLb1EES1P_EEDaS1K_S1L_EUlS1K_E_NS1_11comp_targetILNS1_3genE4ELNS1_11target_archE910ELNS1_3gpuE8ELNS1_3repE0EEENS1_30default_config_static_selectorELNS0_4arch9wavefront6targetE0EEEvSY_.has_recursion, 0
	.set _ZN7rocprim17ROCPRIM_400000_NS6detail17trampoline_kernelINS0_13select_configILj256ELj13ELNS0_17block_load_methodE3ELS4_3ELS4_3ELNS0_20block_scan_algorithmE0ELj4294967295EEENS1_25partition_config_selectorILNS1_17partition_subalgoE3EjNS0_10empty_typeEbEEZZNS1_14partition_implILS8_3ELb0ES6_jNS0_17counting_iteratorIjlEEPS9_SE_NS0_5tupleIJPjSE_EEENSF_IJSE_SE_EEES9_SG_JZNS1_25segmented_radix_sort_implINS0_14default_configELb0EPKaPaPKlPlN2at6native12_GLOBAL__N_18offset_tEEE10hipError_tPvRmT1_PNSt15iterator_traitsISY_E10value_typeET2_T3_PNSZ_IS14_E10value_typeET4_jRbjT5_S1A_jjP12ihipStream_tbEUljE_EEESV_SW_SX_S14_S18_S1A_T6_T7_T9_mT8_S1C_bDpT10_ENKUlT_T0_E_clISt17integral_constantIbLb1EES1P_EEDaS1K_S1L_EUlS1K_E_NS1_11comp_targetILNS1_3genE4ELNS1_11target_archE910ELNS1_3gpuE8ELNS1_3repE0EEENS1_30default_config_static_selectorELNS0_4arch9wavefront6targetE0EEEvSY_.has_indirect_call, 0
	.section	.AMDGPU.csdata,"",@progbits
; Kernel info:
; codeLenInByte = 0
; TotalNumSgprs: 0
; NumVgprs: 0
; ScratchSize: 0
; MemoryBound: 0
; FloatMode: 240
; IeeeMode: 1
; LDSByteSize: 0 bytes/workgroup (compile time only)
; SGPRBlocks: 0
; VGPRBlocks: 0
; NumSGPRsForWavesPerEU: 1
; NumVGPRsForWavesPerEU: 1
; Occupancy: 16
; WaveLimiterHint : 0
; COMPUTE_PGM_RSRC2:SCRATCH_EN: 0
; COMPUTE_PGM_RSRC2:USER_SGPR: 2
; COMPUTE_PGM_RSRC2:TRAP_HANDLER: 0
; COMPUTE_PGM_RSRC2:TGID_X_EN: 1
; COMPUTE_PGM_RSRC2:TGID_Y_EN: 0
; COMPUTE_PGM_RSRC2:TGID_Z_EN: 0
; COMPUTE_PGM_RSRC2:TIDIG_COMP_CNT: 0
	.section	.text._ZN7rocprim17ROCPRIM_400000_NS6detail17trampoline_kernelINS0_13select_configILj256ELj13ELNS0_17block_load_methodE3ELS4_3ELS4_3ELNS0_20block_scan_algorithmE0ELj4294967295EEENS1_25partition_config_selectorILNS1_17partition_subalgoE3EjNS0_10empty_typeEbEEZZNS1_14partition_implILS8_3ELb0ES6_jNS0_17counting_iteratorIjlEEPS9_SE_NS0_5tupleIJPjSE_EEENSF_IJSE_SE_EEES9_SG_JZNS1_25segmented_radix_sort_implINS0_14default_configELb0EPKaPaPKlPlN2at6native12_GLOBAL__N_18offset_tEEE10hipError_tPvRmT1_PNSt15iterator_traitsISY_E10value_typeET2_T3_PNSZ_IS14_E10value_typeET4_jRbjT5_S1A_jjP12ihipStream_tbEUljE_EEESV_SW_SX_S14_S18_S1A_T6_T7_T9_mT8_S1C_bDpT10_ENKUlT_T0_E_clISt17integral_constantIbLb1EES1P_EEDaS1K_S1L_EUlS1K_E_NS1_11comp_targetILNS1_3genE3ELNS1_11target_archE908ELNS1_3gpuE7ELNS1_3repE0EEENS1_30default_config_static_selectorELNS0_4arch9wavefront6targetE0EEEvSY_,"axG",@progbits,_ZN7rocprim17ROCPRIM_400000_NS6detail17trampoline_kernelINS0_13select_configILj256ELj13ELNS0_17block_load_methodE3ELS4_3ELS4_3ELNS0_20block_scan_algorithmE0ELj4294967295EEENS1_25partition_config_selectorILNS1_17partition_subalgoE3EjNS0_10empty_typeEbEEZZNS1_14partition_implILS8_3ELb0ES6_jNS0_17counting_iteratorIjlEEPS9_SE_NS0_5tupleIJPjSE_EEENSF_IJSE_SE_EEES9_SG_JZNS1_25segmented_radix_sort_implINS0_14default_configELb0EPKaPaPKlPlN2at6native12_GLOBAL__N_18offset_tEEE10hipError_tPvRmT1_PNSt15iterator_traitsISY_E10value_typeET2_T3_PNSZ_IS14_E10value_typeET4_jRbjT5_S1A_jjP12ihipStream_tbEUljE_EEESV_SW_SX_S14_S18_S1A_T6_T7_T9_mT8_S1C_bDpT10_ENKUlT_T0_E_clISt17integral_constantIbLb1EES1P_EEDaS1K_S1L_EUlS1K_E_NS1_11comp_targetILNS1_3genE3ELNS1_11target_archE908ELNS1_3gpuE7ELNS1_3repE0EEENS1_30default_config_static_selectorELNS0_4arch9wavefront6targetE0EEEvSY_,comdat
	.globl	_ZN7rocprim17ROCPRIM_400000_NS6detail17trampoline_kernelINS0_13select_configILj256ELj13ELNS0_17block_load_methodE3ELS4_3ELS4_3ELNS0_20block_scan_algorithmE0ELj4294967295EEENS1_25partition_config_selectorILNS1_17partition_subalgoE3EjNS0_10empty_typeEbEEZZNS1_14partition_implILS8_3ELb0ES6_jNS0_17counting_iteratorIjlEEPS9_SE_NS0_5tupleIJPjSE_EEENSF_IJSE_SE_EEES9_SG_JZNS1_25segmented_radix_sort_implINS0_14default_configELb0EPKaPaPKlPlN2at6native12_GLOBAL__N_18offset_tEEE10hipError_tPvRmT1_PNSt15iterator_traitsISY_E10value_typeET2_T3_PNSZ_IS14_E10value_typeET4_jRbjT5_S1A_jjP12ihipStream_tbEUljE_EEESV_SW_SX_S14_S18_S1A_T6_T7_T9_mT8_S1C_bDpT10_ENKUlT_T0_E_clISt17integral_constantIbLb1EES1P_EEDaS1K_S1L_EUlS1K_E_NS1_11comp_targetILNS1_3genE3ELNS1_11target_archE908ELNS1_3gpuE7ELNS1_3repE0EEENS1_30default_config_static_selectorELNS0_4arch9wavefront6targetE0EEEvSY_ ; -- Begin function _ZN7rocprim17ROCPRIM_400000_NS6detail17trampoline_kernelINS0_13select_configILj256ELj13ELNS0_17block_load_methodE3ELS4_3ELS4_3ELNS0_20block_scan_algorithmE0ELj4294967295EEENS1_25partition_config_selectorILNS1_17partition_subalgoE3EjNS0_10empty_typeEbEEZZNS1_14partition_implILS8_3ELb0ES6_jNS0_17counting_iteratorIjlEEPS9_SE_NS0_5tupleIJPjSE_EEENSF_IJSE_SE_EEES9_SG_JZNS1_25segmented_radix_sort_implINS0_14default_configELb0EPKaPaPKlPlN2at6native12_GLOBAL__N_18offset_tEEE10hipError_tPvRmT1_PNSt15iterator_traitsISY_E10value_typeET2_T3_PNSZ_IS14_E10value_typeET4_jRbjT5_S1A_jjP12ihipStream_tbEUljE_EEESV_SW_SX_S14_S18_S1A_T6_T7_T9_mT8_S1C_bDpT10_ENKUlT_T0_E_clISt17integral_constantIbLb1EES1P_EEDaS1K_S1L_EUlS1K_E_NS1_11comp_targetILNS1_3genE3ELNS1_11target_archE908ELNS1_3gpuE7ELNS1_3repE0EEENS1_30default_config_static_selectorELNS0_4arch9wavefront6targetE0EEEvSY_
	.p2align	8
	.type	_ZN7rocprim17ROCPRIM_400000_NS6detail17trampoline_kernelINS0_13select_configILj256ELj13ELNS0_17block_load_methodE3ELS4_3ELS4_3ELNS0_20block_scan_algorithmE0ELj4294967295EEENS1_25partition_config_selectorILNS1_17partition_subalgoE3EjNS0_10empty_typeEbEEZZNS1_14partition_implILS8_3ELb0ES6_jNS0_17counting_iteratorIjlEEPS9_SE_NS0_5tupleIJPjSE_EEENSF_IJSE_SE_EEES9_SG_JZNS1_25segmented_radix_sort_implINS0_14default_configELb0EPKaPaPKlPlN2at6native12_GLOBAL__N_18offset_tEEE10hipError_tPvRmT1_PNSt15iterator_traitsISY_E10value_typeET2_T3_PNSZ_IS14_E10value_typeET4_jRbjT5_S1A_jjP12ihipStream_tbEUljE_EEESV_SW_SX_S14_S18_S1A_T6_T7_T9_mT8_S1C_bDpT10_ENKUlT_T0_E_clISt17integral_constantIbLb1EES1P_EEDaS1K_S1L_EUlS1K_E_NS1_11comp_targetILNS1_3genE3ELNS1_11target_archE908ELNS1_3gpuE7ELNS1_3repE0EEENS1_30default_config_static_selectorELNS0_4arch9wavefront6targetE0EEEvSY_,@function
_ZN7rocprim17ROCPRIM_400000_NS6detail17trampoline_kernelINS0_13select_configILj256ELj13ELNS0_17block_load_methodE3ELS4_3ELS4_3ELNS0_20block_scan_algorithmE0ELj4294967295EEENS1_25partition_config_selectorILNS1_17partition_subalgoE3EjNS0_10empty_typeEbEEZZNS1_14partition_implILS8_3ELb0ES6_jNS0_17counting_iteratorIjlEEPS9_SE_NS0_5tupleIJPjSE_EEENSF_IJSE_SE_EEES9_SG_JZNS1_25segmented_radix_sort_implINS0_14default_configELb0EPKaPaPKlPlN2at6native12_GLOBAL__N_18offset_tEEE10hipError_tPvRmT1_PNSt15iterator_traitsISY_E10value_typeET2_T3_PNSZ_IS14_E10value_typeET4_jRbjT5_S1A_jjP12ihipStream_tbEUljE_EEESV_SW_SX_S14_S18_S1A_T6_T7_T9_mT8_S1C_bDpT10_ENKUlT_T0_E_clISt17integral_constantIbLb1EES1P_EEDaS1K_S1L_EUlS1K_E_NS1_11comp_targetILNS1_3genE3ELNS1_11target_archE908ELNS1_3gpuE7ELNS1_3repE0EEENS1_30default_config_static_selectorELNS0_4arch9wavefront6targetE0EEEvSY_: ; @_ZN7rocprim17ROCPRIM_400000_NS6detail17trampoline_kernelINS0_13select_configILj256ELj13ELNS0_17block_load_methodE3ELS4_3ELS4_3ELNS0_20block_scan_algorithmE0ELj4294967295EEENS1_25partition_config_selectorILNS1_17partition_subalgoE3EjNS0_10empty_typeEbEEZZNS1_14partition_implILS8_3ELb0ES6_jNS0_17counting_iteratorIjlEEPS9_SE_NS0_5tupleIJPjSE_EEENSF_IJSE_SE_EEES9_SG_JZNS1_25segmented_radix_sort_implINS0_14default_configELb0EPKaPaPKlPlN2at6native12_GLOBAL__N_18offset_tEEE10hipError_tPvRmT1_PNSt15iterator_traitsISY_E10value_typeET2_T3_PNSZ_IS14_E10value_typeET4_jRbjT5_S1A_jjP12ihipStream_tbEUljE_EEESV_SW_SX_S14_S18_S1A_T6_T7_T9_mT8_S1C_bDpT10_ENKUlT_T0_E_clISt17integral_constantIbLb1EES1P_EEDaS1K_S1L_EUlS1K_E_NS1_11comp_targetILNS1_3genE3ELNS1_11target_archE908ELNS1_3gpuE7ELNS1_3repE0EEENS1_30default_config_static_selectorELNS0_4arch9wavefront6targetE0EEEvSY_
; %bb.0:
	.section	.rodata,"a",@progbits
	.p2align	6, 0x0
	.amdhsa_kernel _ZN7rocprim17ROCPRIM_400000_NS6detail17trampoline_kernelINS0_13select_configILj256ELj13ELNS0_17block_load_methodE3ELS4_3ELS4_3ELNS0_20block_scan_algorithmE0ELj4294967295EEENS1_25partition_config_selectorILNS1_17partition_subalgoE3EjNS0_10empty_typeEbEEZZNS1_14partition_implILS8_3ELb0ES6_jNS0_17counting_iteratorIjlEEPS9_SE_NS0_5tupleIJPjSE_EEENSF_IJSE_SE_EEES9_SG_JZNS1_25segmented_radix_sort_implINS0_14default_configELb0EPKaPaPKlPlN2at6native12_GLOBAL__N_18offset_tEEE10hipError_tPvRmT1_PNSt15iterator_traitsISY_E10value_typeET2_T3_PNSZ_IS14_E10value_typeET4_jRbjT5_S1A_jjP12ihipStream_tbEUljE_EEESV_SW_SX_S14_S18_S1A_T6_T7_T9_mT8_S1C_bDpT10_ENKUlT_T0_E_clISt17integral_constantIbLb1EES1P_EEDaS1K_S1L_EUlS1K_E_NS1_11comp_targetILNS1_3genE3ELNS1_11target_archE908ELNS1_3gpuE7ELNS1_3repE0EEENS1_30default_config_static_selectorELNS0_4arch9wavefront6targetE0EEEvSY_
		.amdhsa_group_segment_fixed_size 0
		.amdhsa_private_segment_fixed_size 0
		.amdhsa_kernarg_size 152
		.amdhsa_user_sgpr_count 2
		.amdhsa_user_sgpr_dispatch_ptr 0
		.amdhsa_user_sgpr_queue_ptr 0
		.amdhsa_user_sgpr_kernarg_segment_ptr 1
		.amdhsa_user_sgpr_dispatch_id 0
		.amdhsa_user_sgpr_private_segment_size 0
		.amdhsa_wavefront_size32 1
		.amdhsa_uses_dynamic_stack 0
		.amdhsa_enable_private_segment 0
		.amdhsa_system_sgpr_workgroup_id_x 1
		.amdhsa_system_sgpr_workgroup_id_y 0
		.amdhsa_system_sgpr_workgroup_id_z 0
		.amdhsa_system_sgpr_workgroup_info 0
		.amdhsa_system_vgpr_workitem_id 0
		.amdhsa_next_free_vgpr 1
		.amdhsa_next_free_sgpr 1
		.amdhsa_reserve_vcc 0
		.amdhsa_float_round_mode_32 0
		.amdhsa_float_round_mode_16_64 0
		.amdhsa_float_denorm_mode_32 3
		.amdhsa_float_denorm_mode_16_64 3
		.amdhsa_fp16_overflow 0
		.amdhsa_workgroup_processor_mode 1
		.amdhsa_memory_ordered 1
		.amdhsa_forward_progress 1
		.amdhsa_inst_pref_size 0
		.amdhsa_round_robin_scheduling 0
		.amdhsa_exception_fp_ieee_invalid_op 0
		.amdhsa_exception_fp_denorm_src 0
		.amdhsa_exception_fp_ieee_div_zero 0
		.amdhsa_exception_fp_ieee_overflow 0
		.amdhsa_exception_fp_ieee_underflow 0
		.amdhsa_exception_fp_ieee_inexact 0
		.amdhsa_exception_int_div_zero 0
	.end_amdhsa_kernel
	.section	.text._ZN7rocprim17ROCPRIM_400000_NS6detail17trampoline_kernelINS0_13select_configILj256ELj13ELNS0_17block_load_methodE3ELS4_3ELS4_3ELNS0_20block_scan_algorithmE0ELj4294967295EEENS1_25partition_config_selectorILNS1_17partition_subalgoE3EjNS0_10empty_typeEbEEZZNS1_14partition_implILS8_3ELb0ES6_jNS0_17counting_iteratorIjlEEPS9_SE_NS0_5tupleIJPjSE_EEENSF_IJSE_SE_EEES9_SG_JZNS1_25segmented_radix_sort_implINS0_14default_configELb0EPKaPaPKlPlN2at6native12_GLOBAL__N_18offset_tEEE10hipError_tPvRmT1_PNSt15iterator_traitsISY_E10value_typeET2_T3_PNSZ_IS14_E10value_typeET4_jRbjT5_S1A_jjP12ihipStream_tbEUljE_EEESV_SW_SX_S14_S18_S1A_T6_T7_T9_mT8_S1C_bDpT10_ENKUlT_T0_E_clISt17integral_constantIbLb1EES1P_EEDaS1K_S1L_EUlS1K_E_NS1_11comp_targetILNS1_3genE3ELNS1_11target_archE908ELNS1_3gpuE7ELNS1_3repE0EEENS1_30default_config_static_selectorELNS0_4arch9wavefront6targetE0EEEvSY_,"axG",@progbits,_ZN7rocprim17ROCPRIM_400000_NS6detail17trampoline_kernelINS0_13select_configILj256ELj13ELNS0_17block_load_methodE3ELS4_3ELS4_3ELNS0_20block_scan_algorithmE0ELj4294967295EEENS1_25partition_config_selectorILNS1_17partition_subalgoE3EjNS0_10empty_typeEbEEZZNS1_14partition_implILS8_3ELb0ES6_jNS0_17counting_iteratorIjlEEPS9_SE_NS0_5tupleIJPjSE_EEENSF_IJSE_SE_EEES9_SG_JZNS1_25segmented_radix_sort_implINS0_14default_configELb0EPKaPaPKlPlN2at6native12_GLOBAL__N_18offset_tEEE10hipError_tPvRmT1_PNSt15iterator_traitsISY_E10value_typeET2_T3_PNSZ_IS14_E10value_typeET4_jRbjT5_S1A_jjP12ihipStream_tbEUljE_EEESV_SW_SX_S14_S18_S1A_T6_T7_T9_mT8_S1C_bDpT10_ENKUlT_T0_E_clISt17integral_constantIbLb1EES1P_EEDaS1K_S1L_EUlS1K_E_NS1_11comp_targetILNS1_3genE3ELNS1_11target_archE908ELNS1_3gpuE7ELNS1_3repE0EEENS1_30default_config_static_selectorELNS0_4arch9wavefront6targetE0EEEvSY_,comdat
.Lfunc_end372:
	.size	_ZN7rocprim17ROCPRIM_400000_NS6detail17trampoline_kernelINS0_13select_configILj256ELj13ELNS0_17block_load_methodE3ELS4_3ELS4_3ELNS0_20block_scan_algorithmE0ELj4294967295EEENS1_25partition_config_selectorILNS1_17partition_subalgoE3EjNS0_10empty_typeEbEEZZNS1_14partition_implILS8_3ELb0ES6_jNS0_17counting_iteratorIjlEEPS9_SE_NS0_5tupleIJPjSE_EEENSF_IJSE_SE_EEES9_SG_JZNS1_25segmented_radix_sort_implINS0_14default_configELb0EPKaPaPKlPlN2at6native12_GLOBAL__N_18offset_tEEE10hipError_tPvRmT1_PNSt15iterator_traitsISY_E10value_typeET2_T3_PNSZ_IS14_E10value_typeET4_jRbjT5_S1A_jjP12ihipStream_tbEUljE_EEESV_SW_SX_S14_S18_S1A_T6_T7_T9_mT8_S1C_bDpT10_ENKUlT_T0_E_clISt17integral_constantIbLb1EES1P_EEDaS1K_S1L_EUlS1K_E_NS1_11comp_targetILNS1_3genE3ELNS1_11target_archE908ELNS1_3gpuE7ELNS1_3repE0EEENS1_30default_config_static_selectorELNS0_4arch9wavefront6targetE0EEEvSY_, .Lfunc_end372-_ZN7rocprim17ROCPRIM_400000_NS6detail17trampoline_kernelINS0_13select_configILj256ELj13ELNS0_17block_load_methodE3ELS4_3ELS4_3ELNS0_20block_scan_algorithmE0ELj4294967295EEENS1_25partition_config_selectorILNS1_17partition_subalgoE3EjNS0_10empty_typeEbEEZZNS1_14partition_implILS8_3ELb0ES6_jNS0_17counting_iteratorIjlEEPS9_SE_NS0_5tupleIJPjSE_EEENSF_IJSE_SE_EEES9_SG_JZNS1_25segmented_radix_sort_implINS0_14default_configELb0EPKaPaPKlPlN2at6native12_GLOBAL__N_18offset_tEEE10hipError_tPvRmT1_PNSt15iterator_traitsISY_E10value_typeET2_T3_PNSZ_IS14_E10value_typeET4_jRbjT5_S1A_jjP12ihipStream_tbEUljE_EEESV_SW_SX_S14_S18_S1A_T6_T7_T9_mT8_S1C_bDpT10_ENKUlT_T0_E_clISt17integral_constantIbLb1EES1P_EEDaS1K_S1L_EUlS1K_E_NS1_11comp_targetILNS1_3genE3ELNS1_11target_archE908ELNS1_3gpuE7ELNS1_3repE0EEENS1_30default_config_static_selectorELNS0_4arch9wavefront6targetE0EEEvSY_
                                        ; -- End function
	.set _ZN7rocprim17ROCPRIM_400000_NS6detail17trampoline_kernelINS0_13select_configILj256ELj13ELNS0_17block_load_methodE3ELS4_3ELS4_3ELNS0_20block_scan_algorithmE0ELj4294967295EEENS1_25partition_config_selectorILNS1_17partition_subalgoE3EjNS0_10empty_typeEbEEZZNS1_14partition_implILS8_3ELb0ES6_jNS0_17counting_iteratorIjlEEPS9_SE_NS0_5tupleIJPjSE_EEENSF_IJSE_SE_EEES9_SG_JZNS1_25segmented_radix_sort_implINS0_14default_configELb0EPKaPaPKlPlN2at6native12_GLOBAL__N_18offset_tEEE10hipError_tPvRmT1_PNSt15iterator_traitsISY_E10value_typeET2_T3_PNSZ_IS14_E10value_typeET4_jRbjT5_S1A_jjP12ihipStream_tbEUljE_EEESV_SW_SX_S14_S18_S1A_T6_T7_T9_mT8_S1C_bDpT10_ENKUlT_T0_E_clISt17integral_constantIbLb1EES1P_EEDaS1K_S1L_EUlS1K_E_NS1_11comp_targetILNS1_3genE3ELNS1_11target_archE908ELNS1_3gpuE7ELNS1_3repE0EEENS1_30default_config_static_selectorELNS0_4arch9wavefront6targetE0EEEvSY_.num_vgpr, 0
	.set _ZN7rocprim17ROCPRIM_400000_NS6detail17trampoline_kernelINS0_13select_configILj256ELj13ELNS0_17block_load_methodE3ELS4_3ELS4_3ELNS0_20block_scan_algorithmE0ELj4294967295EEENS1_25partition_config_selectorILNS1_17partition_subalgoE3EjNS0_10empty_typeEbEEZZNS1_14partition_implILS8_3ELb0ES6_jNS0_17counting_iteratorIjlEEPS9_SE_NS0_5tupleIJPjSE_EEENSF_IJSE_SE_EEES9_SG_JZNS1_25segmented_radix_sort_implINS0_14default_configELb0EPKaPaPKlPlN2at6native12_GLOBAL__N_18offset_tEEE10hipError_tPvRmT1_PNSt15iterator_traitsISY_E10value_typeET2_T3_PNSZ_IS14_E10value_typeET4_jRbjT5_S1A_jjP12ihipStream_tbEUljE_EEESV_SW_SX_S14_S18_S1A_T6_T7_T9_mT8_S1C_bDpT10_ENKUlT_T0_E_clISt17integral_constantIbLb1EES1P_EEDaS1K_S1L_EUlS1K_E_NS1_11comp_targetILNS1_3genE3ELNS1_11target_archE908ELNS1_3gpuE7ELNS1_3repE0EEENS1_30default_config_static_selectorELNS0_4arch9wavefront6targetE0EEEvSY_.num_agpr, 0
	.set _ZN7rocprim17ROCPRIM_400000_NS6detail17trampoline_kernelINS0_13select_configILj256ELj13ELNS0_17block_load_methodE3ELS4_3ELS4_3ELNS0_20block_scan_algorithmE0ELj4294967295EEENS1_25partition_config_selectorILNS1_17partition_subalgoE3EjNS0_10empty_typeEbEEZZNS1_14partition_implILS8_3ELb0ES6_jNS0_17counting_iteratorIjlEEPS9_SE_NS0_5tupleIJPjSE_EEENSF_IJSE_SE_EEES9_SG_JZNS1_25segmented_radix_sort_implINS0_14default_configELb0EPKaPaPKlPlN2at6native12_GLOBAL__N_18offset_tEEE10hipError_tPvRmT1_PNSt15iterator_traitsISY_E10value_typeET2_T3_PNSZ_IS14_E10value_typeET4_jRbjT5_S1A_jjP12ihipStream_tbEUljE_EEESV_SW_SX_S14_S18_S1A_T6_T7_T9_mT8_S1C_bDpT10_ENKUlT_T0_E_clISt17integral_constantIbLb1EES1P_EEDaS1K_S1L_EUlS1K_E_NS1_11comp_targetILNS1_3genE3ELNS1_11target_archE908ELNS1_3gpuE7ELNS1_3repE0EEENS1_30default_config_static_selectorELNS0_4arch9wavefront6targetE0EEEvSY_.numbered_sgpr, 0
	.set _ZN7rocprim17ROCPRIM_400000_NS6detail17trampoline_kernelINS0_13select_configILj256ELj13ELNS0_17block_load_methodE3ELS4_3ELS4_3ELNS0_20block_scan_algorithmE0ELj4294967295EEENS1_25partition_config_selectorILNS1_17partition_subalgoE3EjNS0_10empty_typeEbEEZZNS1_14partition_implILS8_3ELb0ES6_jNS0_17counting_iteratorIjlEEPS9_SE_NS0_5tupleIJPjSE_EEENSF_IJSE_SE_EEES9_SG_JZNS1_25segmented_radix_sort_implINS0_14default_configELb0EPKaPaPKlPlN2at6native12_GLOBAL__N_18offset_tEEE10hipError_tPvRmT1_PNSt15iterator_traitsISY_E10value_typeET2_T3_PNSZ_IS14_E10value_typeET4_jRbjT5_S1A_jjP12ihipStream_tbEUljE_EEESV_SW_SX_S14_S18_S1A_T6_T7_T9_mT8_S1C_bDpT10_ENKUlT_T0_E_clISt17integral_constantIbLb1EES1P_EEDaS1K_S1L_EUlS1K_E_NS1_11comp_targetILNS1_3genE3ELNS1_11target_archE908ELNS1_3gpuE7ELNS1_3repE0EEENS1_30default_config_static_selectorELNS0_4arch9wavefront6targetE0EEEvSY_.num_named_barrier, 0
	.set _ZN7rocprim17ROCPRIM_400000_NS6detail17trampoline_kernelINS0_13select_configILj256ELj13ELNS0_17block_load_methodE3ELS4_3ELS4_3ELNS0_20block_scan_algorithmE0ELj4294967295EEENS1_25partition_config_selectorILNS1_17partition_subalgoE3EjNS0_10empty_typeEbEEZZNS1_14partition_implILS8_3ELb0ES6_jNS0_17counting_iteratorIjlEEPS9_SE_NS0_5tupleIJPjSE_EEENSF_IJSE_SE_EEES9_SG_JZNS1_25segmented_radix_sort_implINS0_14default_configELb0EPKaPaPKlPlN2at6native12_GLOBAL__N_18offset_tEEE10hipError_tPvRmT1_PNSt15iterator_traitsISY_E10value_typeET2_T3_PNSZ_IS14_E10value_typeET4_jRbjT5_S1A_jjP12ihipStream_tbEUljE_EEESV_SW_SX_S14_S18_S1A_T6_T7_T9_mT8_S1C_bDpT10_ENKUlT_T0_E_clISt17integral_constantIbLb1EES1P_EEDaS1K_S1L_EUlS1K_E_NS1_11comp_targetILNS1_3genE3ELNS1_11target_archE908ELNS1_3gpuE7ELNS1_3repE0EEENS1_30default_config_static_selectorELNS0_4arch9wavefront6targetE0EEEvSY_.private_seg_size, 0
	.set _ZN7rocprim17ROCPRIM_400000_NS6detail17trampoline_kernelINS0_13select_configILj256ELj13ELNS0_17block_load_methodE3ELS4_3ELS4_3ELNS0_20block_scan_algorithmE0ELj4294967295EEENS1_25partition_config_selectorILNS1_17partition_subalgoE3EjNS0_10empty_typeEbEEZZNS1_14partition_implILS8_3ELb0ES6_jNS0_17counting_iteratorIjlEEPS9_SE_NS0_5tupleIJPjSE_EEENSF_IJSE_SE_EEES9_SG_JZNS1_25segmented_radix_sort_implINS0_14default_configELb0EPKaPaPKlPlN2at6native12_GLOBAL__N_18offset_tEEE10hipError_tPvRmT1_PNSt15iterator_traitsISY_E10value_typeET2_T3_PNSZ_IS14_E10value_typeET4_jRbjT5_S1A_jjP12ihipStream_tbEUljE_EEESV_SW_SX_S14_S18_S1A_T6_T7_T9_mT8_S1C_bDpT10_ENKUlT_T0_E_clISt17integral_constantIbLb1EES1P_EEDaS1K_S1L_EUlS1K_E_NS1_11comp_targetILNS1_3genE3ELNS1_11target_archE908ELNS1_3gpuE7ELNS1_3repE0EEENS1_30default_config_static_selectorELNS0_4arch9wavefront6targetE0EEEvSY_.uses_vcc, 0
	.set _ZN7rocprim17ROCPRIM_400000_NS6detail17trampoline_kernelINS0_13select_configILj256ELj13ELNS0_17block_load_methodE3ELS4_3ELS4_3ELNS0_20block_scan_algorithmE0ELj4294967295EEENS1_25partition_config_selectorILNS1_17partition_subalgoE3EjNS0_10empty_typeEbEEZZNS1_14partition_implILS8_3ELb0ES6_jNS0_17counting_iteratorIjlEEPS9_SE_NS0_5tupleIJPjSE_EEENSF_IJSE_SE_EEES9_SG_JZNS1_25segmented_radix_sort_implINS0_14default_configELb0EPKaPaPKlPlN2at6native12_GLOBAL__N_18offset_tEEE10hipError_tPvRmT1_PNSt15iterator_traitsISY_E10value_typeET2_T3_PNSZ_IS14_E10value_typeET4_jRbjT5_S1A_jjP12ihipStream_tbEUljE_EEESV_SW_SX_S14_S18_S1A_T6_T7_T9_mT8_S1C_bDpT10_ENKUlT_T0_E_clISt17integral_constantIbLb1EES1P_EEDaS1K_S1L_EUlS1K_E_NS1_11comp_targetILNS1_3genE3ELNS1_11target_archE908ELNS1_3gpuE7ELNS1_3repE0EEENS1_30default_config_static_selectorELNS0_4arch9wavefront6targetE0EEEvSY_.uses_flat_scratch, 0
	.set _ZN7rocprim17ROCPRIM_400000_NS6detail17trampoline_kernelINS0_13select_configILj256ELj13ELNS0_17block_load_methodE3ELS4_3ELS4_3ELNS0_20block_scan_algorithmE0ELj4294967295EEENS1_25partition_config_selectorILNS1_17partition_subalgoE3EjNS0_10empty_typeEbEEZZNS1_14partition_implILS8_3ELb0ES6_jNS0_17counting_iteratorIjlEEPS9_SE_NS0_5tupleIJPjSE_EEENSF_IJSE_SE_EEES9_SG_JZNS1_25segmented_radix_sort_implINS0_14default_configELb0EPKaPaPKlPlN2at6native12_GLOBAL__N_18offset_tEEE10hipError_tPvRmT1_PNSt15iterator_traitsISY_E10value_typeET2_T3_PNSZ_IS14_E10value_typeET4_jRbjT5_S1A_jjP12ihipStream_tbEUljE_EEESV_SW_SX_S14_S18_S1A_T6_T7_T9_mT8_S1C_bDpT10_ENKUlT_T0_E_clISt17integral_constantIbLb1EES1P_EEDaS1K_S1L_EUlS1K_E_NS1_11comp_targetILNS1_3genE3ELNS1_11target_archE908ELNS1_3gpuE7ELNS1_3repE0EEENS1_30default_config_static_selectorELNS0_4arch9wavefront6targetE0EEEvSY_.has_dyn_sized_stack, 0
	.set _ZN7rocprim17ROCPRIM_400000_NS6detail17trampoline_kernelINS0_13select_configILj256ELj13ELNS0_17block_load_methodE3ELS4_3ELS4_3ELNS0_20block_scan_algorithmE0ELj4294967295EEENS1_25partition_config_selectorILNS1_17partition_subalgoE3EjNS0_10empty_typeEbEEZZNS1_14partition_implILS8_3ELb0ES6_jNS0_17counting_iteratorIjlEEPS9_SE_NS0_5tupleIJPjSE_EEENSF_IJSE_SE_EEES9_SG_JZNS1_25segmented_radix_sort_implINS0_14default_configELb0EPKaPaPKlPlN2at6native12_GLOBAL__N_18offset_tEEE10hipError_tPvRmT1_PNSt15iterator_traitsISY_E10value_typeET2_T3_PNSZ_IS14_E10value_typeET4_jRbjT5_S1A_jjP12ihipStream_tbEUljE_EEESV_SW_SX_S14_S18_S1A_T6_T7_T9_mT8_S1C_bDpT10_ENKUlT_T0_E_clISt17integral_constantIbLb1EES1P_EEDaS1K_S1L_EUlS1K_E_NS1_11comp_targetILNS1_3genE3ELNS1_11target_archE908ELNS1_3gpuE7ELNS1_3repE0EEENS1_30default_config_static_selectorELNS0_4arch9wavefront6targetE0EEEvSY_.has_recursion, 0
	.set _ZN7rocprim17ROCPRIM_400000_NS6detail17trampoline_kernelINS0_13select_configILj256ELj13ELNS0_17block_load_methodE3ELS4_3ELS4_3ELNS0_20block_scan_algorithmE0ELj4294967295EEENS1_25partition_config_selectorILNS1_17partition_subalgoE3EjNS0_10empty_typeEbEEZZNS1_14partition_implILS8_3ELb0ES6_jNS0_17counting_iteratorIjlEEPS9_SE_NS0_5tupleIJPjSE_EEENSF_IJSE_SE_EEES9_SG_JZNS1_25segmented_radix_sort_implINS0_14default_configELb0EPKaPaPKlPlN2at6native12_GLOBAL__N_18offset_tEEE10hipError_tPvRmT1_PNSt15iterator_traitsISY_E10value_typeET2_T3_PNSZ_IS14_E10value_typeET4_jRbjT5_S1A_jjP12ihipStream_tbEUljE_EEESV_SW_SX_S14_S18_S1A_T6_T7_T9_mT8_S1C_bDpT10_ENKUlT_T0_E_clISt17integral_constantIbLb1EES1P_EEDaS1K_S1L_EUlS1K_E_NS1_11comp_targetILNS1_3genE3ELNS1_11target_archE908ELNS1_3gpuE7ELNS1_3repE0EEENS1_30default_config_static_selectorELNS0_4arch9wavefront6targetE0EEEvSY_.has_indirect_call, 0
	.section	.AMDGPU.csdata,"",@progbits
; Kernel info:
; codeLenInByte = 0
; TotalNumSgprs: 0
; NumVgprs: 0
; ScratchSize: 0
; MemoryBound: 0
; FloatMode: 240
; IeeeMode: 1
; LDSByteSize: 0 bytes/workgroup (compile time only)
; SGPRBlocks: 0
; VGPRBlocks: 0
; NumSGPRsForWavesPerEU: 1
; NumVGPRsForWavesPerEU: 1
; Occupancy: 16
; WaveLimiterHint : 0
; COMPUTE_PGM_RSRC2:SCRATCH_EN: 0
; COMPUTE_PGM_RSRC2:USER_SGPR: 2
; COMPUTE_PGM_RSRC2:TRAP_HANDLER: 0
; COMPUTE_PGM_RSRC2:TGID_X_EN: 1
; COMPUTE_PGM_RSRC2:TGID_Y_EN: 0
; COMPUTE_PGM_RSRC2:TGID_Z_EN: 0
; COMPUTE_PGM_RSRC2:TIDIG_COMP_CNT: 0
	.section	.text._ZN7rocprim17ROCPRIM_400000_NS6detail17trampoline_kernelINS0_13select_configILj256ELj13ELNS0_17block_load_methodE3ELS4_3ELS4_3ELNS0_20block_scan_algorithmE0ELj4294967295EEENS1_25partition_config_selectorILNS1_17partition_subalgoE3EjNS0_10empty_typeEbEEZZNS1_14partition_implILS8_3ELb0ES6_jNS0_17counting_iteratorIjlEEPS9_SE_NS0_5tupleIJPjSE_EEENSF_IJSE_SE_EEES9_SG_JZNS1_25segmented_radix_sort_implINS0_14default_configELb0EPKaPaPKlPlN2at6native12_GLOBAL__N_18offset_tEEE10hipError_tPvRmT1_PNSt15iterator_traitsISY_E10value_typeET2_T3_PNSZ_IS14_E10value_typeET4_jRbjT5_S1A_jjP12ihipStream_tbEUljE_EEESV_SW_SX_S14_S18_S1A_T6_T7_T9_mT8_S1C_bDpT10_ENKUlT_T0_E_clISt17integral_constantIbLb1EES1P_EEDaS1K_S1L_EUlS1K_E_NS1_11comp_targetILNS1_3genE2ELNS1_11target_archE906ELNS1_3gpuE6ELNS1_3repE0EEENS1_30default_config_static_selectorELNS0_4arch9wavefront6targetE0EEEvSY_,"axG",@progbits,_ZN7rocprim17ROCPRIM_400000_NS6detail17trampoline_kernelINS0_13select_configILj256ELj13ELNS0_17block_load_methodE3ELS4_3ELS4_3ELNS0_20block_scan_algorithmE0ELj4294967295EEENS1_25partition_config_selectorILNS1_17partition_subalgoE3EjNS0_10empty_typeEbEEZZNS1_14partition_implILS8_3ELb0ES6_jNS0_17counting_iteratorIjlEEPS9_SE_NS0_5tupleIJPjSE_EEENSF_IJSE_SE_EEES9_SG_JZNS1_25segmented_radix_sort_implINS0_14default_configELb0EPKaPaPKlPlN2at6native12_GLOBAL__N_18offset_tEEE10hipError_tPvRmT1_PNSt15iterator_traitsISY_E10value_typeET2_T3_PNSZ_IS14_E10value_typeET4_jRbjT5_S1A_jjP12ihipStream_tbEUljE_EEESV_SW_SX_S14_S18_S1A_T6_T7_T9_mT8_S1C_bDpT10_ENKUlT_T0_E_clISt17integral_constantIbLb1EES1P_EEDaS1K_S1L_EUlS1K_E_NS1_11comp_targetILNS1_3genE2ELNS1_11target_archE906ELNS1_3gpuE6ELNS1_3repE0EEENS1_30default_config_static_selectorELNS0_4arch9wavefront6targetE0EEEvSY_,comdat
	.globl	_ZN7rocprim17ROCPRIM_400000_NS6detail17trampoline_kernelINS0_13select_configILj256ELj13ELNS0_17block_load_methodE3ELS4_3ELS4_3ELNS0_20block_scan_algorithmE0ELj4294967295EEENS1_25partition_config_selectorILNS1_17partition_subalgoE3EjNS0_10empty_typeEbEEZZNS1_14partition_implILS8_3ELb0ES6_jNS0_17counting_iteratorIjlEEPS9_SE_NS0_5tupleIJPjSE_EEENSF_IJSE_SE_EEES9_SG_JZNS1_25segmented_radix_sort_implINS0_14default_configELb0EPKaPaPKlPlN2at6native12_GLOBAL__N_18offset_tEEE10hipError_tPvRmT1_PNSt15iterator_traitsISY_E10value_typeET2_T3_PNSZ_IS14_E10value_typeET4_jRbjT5_S1A_jjP12ihipStream_tbEUljE_EEESV_SW_SX_S14_S18_S1A_T6_T7_T9_mT8_S1C_bDpT10_ENKUlT_T0_E_clISt17integral_constantIbLb1EES1P_EEDaS1K_S1L_EUlS1K_E_NS1_11comp_targetILNS1_3genE2ELNS1_11target_archE906ELNS1_3gpuE6ELNS1_3repE0EEENS1_30default_config_static_selectorELNS0_4arch9wavefront6targetE0EEEvSY_ ; -- Begin function _ZN7rocprim17ROCPRIM_400000_NS6detail17trampoline_kernelINS0_13select_configILj256ELj13ELNS0_17block_load_methodE3ELS4_3ELS4_3ELNS0_20block_scan_algorithmE0ELj4294967295EEENS1_25partition_config_selectorILNS1_17partition_subalgoE3EjNS0_10empty_typeEbEEZZNS1_14partition_implILS8_3ELb0ES6_jNS0_17counting_iteratorIjlEEPS9_SE_NS0_5tupleIJPjSE_EEENSF_IJSE_SE_EEES9_SG_JZNS1_25segmented_radix_sort_implINS0_14default_configELb0EPKaPaPKlPlN2at6native12_GLOBAL__N_18offset_tEEE10hipError_tPvRmT1_PNSt15iterator_traitsISY_E10value_typeET2_T3_PNSZ_IS14_E10value_typeET4_jRbjT5_S1A_jjP12ihipStream_tbEUljE_EEESV_SW_SX_S14_S18_S1A_T6_T7_T9_mT8_S1C_bDpT10_ENKUlT_T0_E_clISt17integral_constantIbLb1EES1P_EEDaS1K_S1L_EUlS1K_E_NS1_11comp_targetILNS1_3genE2ELNS1_11target_archE906ELNS1_3gpuE6ELNS1_3repE0EEENS1_30default_config_static_selectorELNS0_4arch9wavefront6targetE0EEEvSY_
	.p2align	8
	.type	_ZN7rocprim17ROCPRIM_400000_NS6detail17trampoline_kernelINS0_13select_configILj256ELj13ELNS0_17block_load_methodE3ELS4_3ELS4_3ELNS0_20block_scan_algorithmE0ELj4294967295EEENS1_25partition_config_selectorILNS1_17partition_subalgoE3EjNS0_10empty_typeEbEEZZNS1_14partition_implILS8_3ELb0ES6_jNS0_17counting_iteratorIjlEEPS9_SE_NS0_5tupleIJPjSE_EEENSF_IJSE_SE_EEES9_SG_JZNS1_25segmented_radix_sort_implINS0_14default_configELb0EPKaPaPKlPlN2at6native12_GLOBAL__N_18offset_tEEE10hipError_tPvRmT1_PNSt15iterator_traitsISY_E10value_typeET2_T3_PNSZ_IS14_E10value_typeET4_jRbjT5_S1A_jjP12ihipStream_tbEUljE_EEESV_SW_SX_S14_S18_S1A_T6_T7_T9_mT8_S1C_bDpT10_ENKUlT_T0_E_clISt17integral_constantIbLb1EES1P_EEDaS1K_S1L_EUlS1K_E_NS1_11comp_targetILNS1_3genE2ELNS1_11target_archE906ELNS1_3gpuE6ELNS1_3repE0EEENS1_30default_config_static_selectorELNS0_4arch9wavefront6targetE0EEEvSY_,@function
_ZN7rocprim17ROCPRIM_400000_NS6detail17trampoline_kernelINS0_13select_configILj256ELj13ELNS0_17block_load_methodE3ELS4_3ELS4_3ELNS0_20block_scan_algorithmE0ELj4294967295EEENS1_25partition_config_selectorILNS1_17partition_subalgoE3EjNS0_10empty_typeEbEEZZNS1_14partition_implILS8_3ELb0ES6_jNS0_17counting_iteratorIjlEEPS9_SE_NS0_5tupleIJPjSE_EEENSF_IJSE_SE_EEES9_SG_JZNS1_25segmented_radix_sort_implINS0_14default_configELb0EPKaPaPKlPlN2at6native12_GLOBAL__N_18offset_tEEE10hipError_tPvRmT1_PNSt15iterator_traitsISY_E10value_typeET2_T3_PNSZ_IS14_E10value_typeET4_jRbjT5_S1A_jjP12ihipStream_tbEUljE_EEESV_SW_SX_S14_S18_S1A_T6_T7_T9_mT8_S1C_bDpT10_ENKUlT_T0_E_clISt17integral_constantIbLb1EES1P_EEDaS1K_S1L_EUlS1K_E_NS1_11comp_targetILNS1_3genE2ELNS1_11target_archE906ELNS1_3gpuE6ELNS1_3repE0EEENS1_30default_config_static_selectorELNS0_4arch9wavefront6targetE0EEEvSY_: ; @_ZN7rocprim17ROCPRIM_400000_NS6detail17trampoline_kernelINS0_13select_configILj256ELj13ELNS0_17block_load_methodE3ELS4_3ELS4_3ELNS0_20block_scan_algorithmE0ELj4294967295EEENS1_25partition_config_selectorILNS1_17partition_subalgoE3EjNS0_10empty_typeEbEEZZNS1_14partition_implILS8_3ELb0ES6_jNS0_17counting_iteratorIjlEEPS9_SE_NS0_5tupleIJPjSE_EEENSF_IJSE_SE_EEES9_SG_JZNS1_25segmented_radix_sort_implINS0_14default_configELb0EPKaPaPKlPlN2at6native12_GLOBAL__N_18offset_tEEE10hipError_tPvRmT1_PNSt15iterator_traitsISY_E10value_typeET2_T3_PNSZ_IS14_E10value_typeET4_jRbjT5_S1A_jjP12ihipStream_tbEUljE_EEESV_SW_SX_S14_S18_S1A_T6_T7_T9_mT8_S1C_bDpT10_ENKUlT_T0_E_clISt17integral_constantIbLb1EES1P_EEDaS1K_S1L_EUlS1K_E_NS1_11comp_targetILNS1_3genE2ELNS1_11target_archE906ELNS1_3gpuE6ELNS1_3repE0EEENS1_30default_config_static_selectorELNS0_4arch9wavefront6targetE0EEEvSY_
; %bb.0:
	.section	.rodata,"a",@progbits
	.p2align	6, 0x0
	.amdhsa_kernel _ZN7rocprim17ROCPRIM_400000_NS6detail17trampoline_kernelINS0_13select_configILj256ELj13ELNS0_17block_load_methodE3ELS4_3ELS4_3ELNS0_20block_scan_algorithmE0ELj4294967295EEENS1_25partition_config_selectorILNS1_17partition_subalgoE3EjNS0_10empty_typeEbEEZZNS1_14partition_implILS8_3ELb0ES6_jNS0_17counting_iteratorIjlEEPS9_SE_NS0_5tupleIJPjSE_EEENSF_IJSE_SE_EEES9_SG_JZNS1_25segmented_radix_sort_implINS0_14default_configELb0EPKaPaPKlPlN2at6native12_GLOBAL__N_18offset_tEEE10hipError_tPvRmT1_PNSt15iterator_traitsISY_E10value_typeET2_T3_PNSZ_IS14_E10value_typeET4_jRbjT5_S1A_jjP12ihipStream_tbEUljE_EEESV_SW_SX_S14_S18_S1A_T6_T7_T9_mT8_S1C_bDpT10_ENKUlT_T0_E_clISt17integral_constantIbLb1EES1P_EEDaS1K_S1L_EUlS1K_E_NS1_11comp_targetILNS1_3genE2ELNS1_11target_archE906ELNS1_3gpuE6ELNS1_3repE0EEENS1_30default_config_static_selectorELNS0_4arch9wavefront6targetE0EEEvSY_
		.amdhsa_group_segment_fixed_size 0
		.amdhsa_private_segment_fixed_size 0
		.amdhsa_kernarg_size 152
		.amdhsa_user_sgpr_count 2
		.amdhsa_user_sgpr_dispatch_ptr 0
		.amdhsa_user_sgpr_queue_ptr 0
		.amdhsa_user_sgpr_kernarg_segment_ptr 1
		.amdhsa_user_sgpr_dispatch_id 0
		.amdhsa_user_sgpr_private_segment_size 0
		.amdhsa_wavefront_size32 1
		.amdhsa_uses_dynamic_stack 0
		.amdhsa_enable_private_segment 0
		.amdhsa_system_sgpr_workgroup_id_x 1
		.amdhsa_system_sgpr_workgroup_id_y 0
		.amdhsa_system_sgpr_workgroup_id_z 0
		.amdhsa_system_sgpr_workgroup_info 0
		.amdhsa_system_vgpr_workitem_id 0
		.amdhsa_next_free_vgpr 1
		.amdhsa_next_free_sgpr 1
		.amdhsa_reserve_vcc 0
		.amdhsa_float_round_mode_32 0
		.amdhsa_float_round_mode_16_64 0
		.amdhsa_float_denorm_mode_32 3
		.amdhsa_float_denorm_mode_16_64 3
		.amdhsa_fp16_overflow 0
		.amdhsa_workgroup_processor_mode 1
		.amdhsa_memory_ordered 1
		.amdhsa_forward_progress 1
		.amdhsa_inst_pref_size 0
		.amdhsa_round_robin_scheduling 0
		.amdhsa_exception_fp_ieee_invalid_op 0
		.amdhsa_exception_fp_denorm_src 0
		.amdhsa_exception_fp_ieee_div_zero 0
		.amdhsa_exception_fp_ieee_overflow 0
		.amdhsa_exception_fp_ieee_underflow 0
		.amdhsa_exception_fp_ieee_inexact 0
		.amdhsa_exception_int_div_zero 0
	.end_amdhsa_kernel
	.section	.text._ZN7rocprim17ROCPRIM_400000_NS6detail17trampoline_kernelINS0_13select_configILj256ELj13ELNS0_17block_load_methodE3ELS4_3ELS4_3ELNS0_20block_scan_algorithmE0ELj4294967295EEENS1_25partition_config_selectorILNS1_17partition_subalgoE3EjNS0_10empty_typeEbEEZZNS1_14partition_implILS8_3ELb0ES6_jNS0_17counting_iteratorIjlEEPS9_SE_NS0_5tupleIJPjSE_EEENSF_IJSE_SE_EEES9_SG_JZNS1_25segmented_radix_sort_implINS0_14default_configELb0EPKaPaPKlPlN2at6native12_GLOBAL__N_18offset_tEEE10hipError_tPvRmT1_PNSt15iterator_traitsISY_E10value_typeET2_T3_PNSZ_IS14_E10value_typeET4_jRbjT5_S1A_jjP12ihipStream_tbEUljE_EEESV_SW_SX_S14_S18_S1A_T6_T7_T9_mT8_S1C_bDpT10_ENKUlT_T0_E_clISt17integral_constantIbLb1EES1P_EEDaS1K_S1L_EUlS1K_E_NS1_11comp_targetILNS1_3genE2ELNS1_11target_archE906ELNS1_3gpuE6ELNS1_3repE0EEENS1_30default_config_static_selectorELNS0_4arch9wavefront6targetE0EEEvSY_,"axG",@progbits,_ZN7rocprim17ROCPRIM_400000_NS6detail17trampoline_kernelINS0_13select_configILj256ELj13ELNS0_17block_load_methodE3ELS4_3ELS4_3ELNS0_20block_scan_algorithmE0ELj4294967295EEENS1_25partition_config_selectorILNS1_17partition_subalgoE3EjNS0_10empty_typeEbEEZZNS1_14partition_implILS8_3ELb0ES6_jNS0_17counting_iteratorIjlEEPS9_SE_NS0_5tupleIJPjSE_EEENSF_IJSE_SE_EEES9_SG_JZNS1_25segmented_radix_sort_implINS0_14default_configELb0EPKaPaPKlPlN2at6native12_GLOBAL__N_18offset_tEEE10hipError_tPvRmT1_PNSt15iterator_traitsISY_E10value_typeET2_T3_PNSZ_IS14_E10value_typeET4_jRbjT5_S1A_jjP12ihipStream_tbEUljE_EEESV_SW_SX_S14_S18_S1A_T6_T7_T9_mT8_S1C_bDpT10_ENKUlT_T0_E_clISt17integral_constantIbLb1EES1P_EEDaS1K_S1L_EUlS1K_E_NS1_11comp_targetILNS1_3genE2ELNS1_11target_archE906ELNS1_3gpuE6ELNS1_3repE0EEENS1_30default_config_static_selectorELNS0_4arch9wavefront6targetE0EEEvSY_,comdat
.Lfunc_end373:
	.size	_ZN7rocprim17ROCPRIM_400000_NS6detail17trampoline_kernelINS0_13select_configILj256ELj13ELNS0_17block_load_methodE3ELS4_3ELS4_3ELNS0_20block_scan_algorithmE0ELj4294967295EEENS1_25partition_config_selectorILNS1_17partition_subalgoE3EjNS0_10empty_typeEbEEZZNS1_14partition_implILS8_3ELb0ES6_jNS0_17counting_iteratorIjlEEPS9_SE_NS0_5tupleIJPjSE_EEENSF_IJSE_SE_EEES9_SG_JZNS1_25segmented_radix_sort_implINS0_14default_configELb0EPKaPaPKlPlN2at6native12_GLOBAL__N_18offset_tEEE10hipError_tPvRmT1_PNSt15iterator_traitsISY_E10value_typeET2_T3_PNSZ_IS14_E10value_typeET4_jRbjT5_S1A_jjP12ihipStream_tbEUljE_EEESV_SW_SX_S14_S18_S1A_T6_T7_T9_mT8_S1C_bDpT10_ENKUlT_T0_E_clISt17integral_constantIbLb1EES1P_EEDaS1K_S1L_EUlS1K_E_NS1_11comp_targetILNS1_3genE2ELNS1_11target_archE906ELNS1_3gpuE6ELNS1_3repE0EEENS1_30default_config_static_selectorELNS0_4arch9wavefront6targetE0EEEvSY_, .Lfunc_end373-_ZN7rocprim17ROCPRIM_400000_NS6detail17trampoline_kernelINS0_13select_configILj256ELj13ELNS0_17block_load_methodE3ELS4_3ELS4_3ELNS0_20block_scan_algorithmE0ELj4294967295EEENS1_25partition_config_selectorILNS1_17partition_subalgoE3EjNS0_10empty_typeEbEEZZNS1_14partition_implILS8_3ELb0ES6_jNS0_17counting_iteratorIjlEEPS9_SE_NS0_5tupleIJPjSE_EEENSF_IJSE_SE_EEES9_SG_JZNS1_25segmented_radix_sort_implINS0_14default_configELb0EPKaPaPKlPlN2at6native12_GLOBAL__N_18offset_tEEE10hipError_tPvRmT1_PNSt15iterator_traitsISY_E10value_typeET2_T3_PNSZ_IS14_E10value_typeET4_jRbjT5_S1A_jjP12ihipStream_tbEUljE_EEESV_SW_SX_S14_S18_S1A_T6_T7_T9_mT8_S1C_bDpT10_ENKUlT_T0_E_clISt17integral_constantIbLb1EES1P_EEDaS1K_S1L_EUlS1K_E_NS1_11comp_targetILNS1_3genE2ELNS1_11target_archE906ELNS1_3gpuE6ELNS1_3repE0EEENS1_30default_config_static_selectorELNS0_4arch9wavefront6targetE0EEEvSY_
                                        ; -- End function
	.set _ZN7rocprim17ROCPRIM_400000_NS6detail17trampoline_kernelINS0_13select_configILj256ELj13ELNS0_17block_load_methodE3ELS4_3ELS4_3ELNS0_20block_scan_algorithmE0ELj4294967295EEENS1_25partition_config_selectorILNS1_17partition_subalgoE3EjNS0_10empty_typeEbEEZZNS1_14partition_implILS8_3ELb0ES6_jNS0_17counting_iteratorIjlEEPS9_SE_NS0_5tupleIJPjSE_EEENSF_IJSE_SE_EEES9_SG_JZNS1_25segmented_radix_sort_implINS0_14default_configELb0EPKaPaPKlPlN2at6native12_GLOBAL__N_18offset_tEEE10hipError_tPvRmT1_PNSt15iterator_traitsISY_E10value_typeET2_T3_PNSZ_IS14_E10value_typeET4_jRbjT5_S1A_jjP12ihipStream_tbEUljE_EEESV_SW_SX_S14_S18_S1A_T6_T7_T9_mT8_S1C_bDpT10_ENKUlT_T0_E_clISt17integral_constantIbLb1EES1P_EEDaS1K_S1L_EUlS1K_E_NS1_11comp_targetILNS1_3genE2ELNS1_11target_archE906ELNS1_3gpuE6ELNS1_3repE0EEENS1_30default_config_static_selectorELNS0_4arch9wavefront6targetE0EEEvSY_.num_vgpr, 0
	.set _ZN7rocprim17ROCPRIM_400000_NS6detail17trampoline_kernelINS0_13select_configILj256ELj13ELNS0_17block_load_methodE3ELS4_3ELS4_3ELNS0_20block_scan_algorithmE0ELj4294967295EEENS1_25partition_config_selectorILNS1_17partition_subalgoE3EjNS0_10empty_typeEbEEZZNS1_14partition_implILS8_3ELb0ES6_jNS0_17counting_iteratorIjlEEPS9_SE_NS0_5tupleIJPjSE_EEENSF_IJSE_SE_EEES9_SG_JZNS1_25segmented_radix_sort_implINS0_14default_configELb0EPKaPaPKlPlN2at6native12_GLOBAL__N_18offset_tEEE10hipError_tPvRmT1_PNSt15iterator_traitsISY_E10value_typeET2_T3_PNSZ_IS14_E10value_typeET4_jRbjT5_S1A_jjP12ihipStream_tbEUljE_EEESV_SW_SX_S14_S18_S1A_T6_T7_T9_mT8_S1C_bDpT10_ENKUlT_T0_E_clISt17integral_constantIbLb1EES1P_EEDaS1K_S1L_EUlS1K_E_NS1_11comp_targetILNS1_3genE2ELNS1_11target_archE906ELNS1_3gpuE6ELNS1_3repE0EEENS1_30default_config_static_selectorELNS0_4arch9wavefront6targetE0EEEvSY_.num_agpr, 0
	.set _ZN7rocprim17ROCPRIM_400000_NS6detail17trampoline_kernelINS0_13select_configILj256ELj13ELNS0_17block_load_methodE3ELS4_3ELS4_3ELNS0_20block_scan_algorithmE0ELj4294967295EEENS1_25partition_config_selectorILNS1_17partition_subalgoE3EjNS0_10empty_typeEbEEZZNS1_14partition_implILS8_3ELb0ES6_jNS0_17counting_iteratorIjlEEPS9_SE_NS0_5tupleIJPjSE_EEENSF_IJSE_SE_EEES9_SG_JZNS1_25segmented_radix_sort_implINS0_14default_configELb0EPKaPaPKlPlN2at6native12_GLOBAL__N_18offset_tEEE10hipError_tPvRmT1_PNSt15iterator_traitsISY_E10value_typeET2_T3_PNSZ_IS14_E10value_typeET4_jRbjT5_S1A_jjP12ihipStream_tbEUljE_EEESV_SW_SX_S14_S18_S1A_T6_T7_T9_mT8_S1C_bDpT10_ENKUlT_T0_E_clISt17integral_constantIbLb1EES1P_EEDaS1K_S1L_EUlS1K_E_NS1_11comp_targetILNS1_3genE2ELNS1_11target_archE906ELNS1_3gpuE6ELNS1_3repE0EEENS1_30default_config_static_selectorELNS0_4arch9wavefront6targetE0EEEvSY_.numbered_sgpr, 0
	.set _ZN7rocprim17ROCPRIM_400000_NS6detail17trampoline_kernelINS0_13select_configILj256ELj13ELNS0_17block_load_methodE3ELS4_3ELS4_3ELNS0_20block_scan_algorithmE0ELj4294967295EEENS1_25partition_config_selectorILNS1_17partition_subalgoE3EjNS0_10empty_typeEbEEZZNS1_14partition_implILS8_3ELb0ES6_jNS0_17counting_iteratorIjlEEPS9_SE_NS0_5tupleIJPjSE_EEENSF_IJSE_SE_EEES9_SG_JZNS1_25segmented_radix_sort_implINS0_14default_configELb0EPKaPaPKlPlN2at6native12_GLOBAL__N_18offset_tEEE10hipError_tPvRmT1_PNSt15iterator_traitsISY_E10value_typeET2_T3_PNSZ_IS14_E10value_typeET4_jRbjT5_S1A_jjP12ihipStream_tbEUljE_EEESV_SW_SX_S14_S18_S1A_T6_T7_T9_mT8_S1C_bDpT10_ENKUlT_T0_E_clISt17integral_constantIbLb1EES1P_EEDaS1K_S1L_EUlS1K_E_NS1_11comp_targetILNS1_3genE2ELNS1_11target_archE906ELNS1_3gpuE6ELNS1_3repE0EEENS1_30default_config_static_selectorELNS0_4arch9wavefront6targetE0EEEvSY_.num_named_barrier, 0
	.set _ZN7rocprim17ROCPRIM_400000_NS6detail17trampoline_kernelINS0_13select_configILj256ELj13ELNS0_17block_load_methodE3ELS4_3ELS4_3ELNS0_20block_scan_algorithmE0ELj4294967295EEENS1_25partition_config_selectorILNS1_17partition_subalgoE3EjNS0_10empty_typeEbEEZZNS1_14partition_implILS8_3ELb0ES6_jNS0_17counting_iteratorIjlEEPS9_SE_NS0_5tupleIJPjSE_EEENSF_IJSE_SE_EEES9_SG_JZNS1_25segmented_radix_sort_implINS0_14default_configELb0EPKaPaPKlPlN2at6native12_GLOBAL__N_18offset_tEEE10hipError_tPvRmT1_PNSt15iterator_traitsISY_E10value_typeET2_T3_PNSZ_IS14_E10value_typeET4_jRbjT5_S1A_jjP12ihipStream_tbEUljE_EEESV_SW_SX_S14_S18_S1A_T6_T7_T9_mT8_S1C_bDpT10_ENKUlT_T0_E_clISt17integral_constantIbLb1EES1P_EEDaS1K_S1L_EUlS1K_E_NS1_11comp_targetILNS1_3genE2ELNS1_11target_archE906ELNS1_3gpuE6ELNS1_3repE0EEENS1_30default_config_static_selectorELNS0_4arch9wavefront6targetE0EEEvSY_.private_seg_size, 0
	.set _ZN7rocprim17ROCPRIM_400000_NS6detail17trampoline_kernelINS0_13select_configILj256ELj13ELNS0_17block_load_methodE3ELS4_3ELS4_3ELNS0_20block_scan_algorithmE0ELj4294967295EEENS1_25partition_config_selectorILNS1_17partition_subalgoE3EjNS0_10empty_typeEbEEZZNS1_14partition_implILS8_3ELb0ES6_jNS0_17counting_iteratorIjlEEPS9_SE_NS0_5tupleIJPjSE_EEENSF_IJSE_SE_EEES9_SG_JZNS1_25segmented_radix_sort_implINS0_14default_configELb0EPKaPaPKlPlN2at6native12_GLOBAL__N_18offset_tEEE10hipError_tPvRmT1_PNSt15iterator_traitsISY_E10value_typeET2_T3_PNSZ_IS14_E10value_typeET4_jRbjT5_S1A_jjP12ihipStream_tbEUljE_EEESV_SW_SX_S14_S18_S1A_T6_T7_T9_mT8_S1C_bDpT10_ENKUlT_T0_E_clISt17integral_constantIbLb1EES1P_EEDaS1K_S1L_EUlS1K_E_NS1_11comp_targetILNS1_3genE2ELNS1_11target_archE906ELNS1_3gpuE6ELNS1_3repE0EEENS1_30default_config_static_selectorELNS0_4arch9wavefront6targetE0EEEvSY_.uses_vcc, 0
	.set _ZN7rocprim17ROCPRIM_400000_NS6detail17trampoline_kernelINS0_13select_configILj256ELj13ELNS0_17block_load_methodE3ELS4_3ELS4_3ELNS0_20block_scan_algorithmE0ELj4294967295EEENS1_25partition_config_selectorILNS1_17partition_subalgoE3EjNS0_10empty_typeEbEEZZNS1_14partition_implILS8_3ELb0ES6_jNS0_17counting_iteratorIjlEEPS9_SE_NS0_5tupleIJPjSE_EEENSF_IJSE_SE_EEES9_SG_JZNS1_25segmented_radix_sort_implINS0_14default_configELb0EPKaPaPKlPlN2at6native12_GLOBAL__N_18offset_tEEE10hipError_tPvRmT1_PNSt15iterator_traitsISY_E10value_typeET2_T3_PNSZ_IS14_E10value_typeET4_jRbjT5_S1A_jjP12ihipStream_tbEUljE_EEESV_SW_SX_S14_S18_S1A_T6_T7_T9_mT8_S1C_bDpT10_ENKUlT_T0_E_clISt17integral_constantIbLb1EES1P_EEDaS1K_S1L_EUlS1K_E_NS1_11comp_targetILNS1_3genE2ELNS1_11target_archE906ELNS1_3gpuE6ELNS1_3repE0EEENS1_30default_config_static_selectorELNS0_4arch9wavefront6targetE0EEEvSY_.uses_flat_scratch, 0
	.set _ZN7rocprim17ROCPRIM_400000_NS6detail17trampoline_kernelINS0_13select_configILj256ELj13ELNS0_17block_load_methodE3ELS4_3ELS4_3ELNS0_20block_scan_algorithmE0ELj4294967295EEENS1_25partition_config_selectorILNS1_17partition_subalgoE3EjNS0_10empty_typeEbEEZZNS1_14partition_implILS8_3ELb0ES6_jNS0_17counting_iteratorIjlEEPS9_SE_NS0_5tupleIJPjSE_EEENSF_IJSE_SE_EEES9_SG_JZNS1_25segmented_radix_sort_implINS0_14default_configELb0EPKaPaPKlPlN2at6native12_GLOBAL__N_18offset_tEEE10hipError_tPvRmT1_PNSt15iterator_traitsISY_E10value_typeET2_T3_PNSZ_IS14_E10value_typeET4_jRbjT5_S1A_jjP12ihipStream_tbEUljE_EEESV_SW_SX_S14_S18_S1A_T6_T7_T9_mT8_S1C_bDpT10_ENKUlT_T0_E_clISt17integral_constantIbLb1EES1P_EEDaS1K_S1L_EUlS1K_E_NS1_11comp_targetILNS1_3genE2ELNS1_11target_archE906ELNS1_3gpuE6ELNS1_3repE0EEENS1_30default_config_static_selectorELNS0_4arch9wavefront6targetE0EEEvSY_.has_dyn_sized_stack, 0
	.set _ZN7rocprim17ROCPRIM_400000_NS6detail17trampoline_kernelINS0_13select_configILj256ELj13ELNS0_17block_load_methodE3ELS4_3ELS4_3ELNS0_20block_scan_algorithmE0ELj4294967295EEENS1_25partition_config_selectorILNS1_17partition_subalgoE3EjNS0_10empty_typeEbEEZZNS1_14partition_implILS8_3ELb0ES6_jNS0_17counting_iteratorIjlEEPS9_SE_NS0_5tupleIJPjSE_EEENSF_IJSE_SE_EEES9_SG_JZNS1_25segmented_radix_sort_implINS0_14default_configELb0EPKaPaPKlPlN2at6native12_GLOBAL__N_18offset_tEEE10hipError_tPvRmT1_PNSt15iterator_traitsISY_E10value_typeET2_T3_PNSZ_IS14_E10value_typeET4_jRbjT5_S1A_jjP12ihipStream_tbEUljE_EEESV_SW_SX_S14_S18_S1A_T6_T7_T9_mT8_S1C_bDpT10_ENKUlT_T0_E_clISt17integral_constantIbLb1EES1P_EEDaS1K_S1L_EUlS1K_E_NS1_11comp_targetILNS1_3genE2ELNS1_11target_archE906ELNS1_3gpuE6ELNS1_3repE0EEENS1_30default_config_static_selectorELNS0_4arch9wavefront6targetE0EEEvSY_.has_recursion, 0
	.set _ZN7rocprim17ROCPRIM_400000_NS6detail17trampoline_kernelINS0_13select_configILj256ELj13ELNS0_17block_load_methodE3ELS4_3ELS4_3ELNS0_20block_scan_algorithmE0ELj4294967295EEENS1_25partition_config_selectorILNS1_17partition_subalgoE3EjNS0_10empty_typeEbEEZZNS1_14partition_implILS8_3ELb0ES6_jNS0_17counting_iteratorIjlEEPS9_SE_NS0_5tupleIJPjSE_EEENSF_IJSE_SE_EEES9_SG_JZNS1_25segmented_radix_sort_implINS0_14default_configELb0EPKaPaPKlPlN2at6native12_GLOBAL__N_18offset_tEEE10hipError_tPvRmT1_PNSt15iterator_traitsISY_E10value_typeET2_T3_PNSZ_IS14_E10value_typeET4_jRbjT5_S1A_jjP12ihipStream_tbEUljE_EEESV_SW_SX_S14_S18_S1A_T6_T7_T9_mT8_S1C_bDpT10_ENKUlT_T0_E_clISt17integral_constantIbLb1EES1P_EEDaS1K_S1L_EUlS1K_E_NS1_11comp_targetILNS1_3genE2ELNS1_11target_archE906ELNS1_3gpuE6ELNS1_3repE0EEENS1_30default_config_static_selectorELNS0_4arch9wavefront6targetE0EEEvSY_.has_indirect_call, 0
	.section	.AMDGPU.csdata,"",@progbits
; Kernel info:
; codeLenInByte = 0
; TotalNumSgprs: 0
; NumVgprs: 0
; ScratchSize: 0
; MemoryBound: 0
; FloatMode: 240
; IeeeMode: 1
; LDSByteSize: 0 bytes/workgroup (compile time only)
; SGPRBlocks: 0
; VGPRBlocks: 0
; NumSGPRsForWavesPerEU: 1
; NumVGPRsForWavesPerEU: 1
; Occupancy: 16
; WaveLimiterHint : 0
; COMPUTE_PGM_RSRC2:SCRATCH_EN: 0
; COMPUTE_PGM_RSRC2:USER_SGPR: 2
; COMPUTE_PGM_RSRC2:TRAP_HANDLER: 0
; COMPUTE_PGM_RSRC2:TGID_X_EN: 1
; COMPUTE_PGM_RSRC2:TGID_Y_EN: 0
; COMPUTE_PGM_RSRC2:TGID_Z_EN: 0
; COMPUTE_PGM_RSRC2:TIDIG_COMP_CNT: 0
	.section	.text._ZN7rocprim17ROCPRIM_400000_NS6detail17trampoline_kernelINS0_13select_configILj256ELj13ELNS0_17block_load_methodE3ELS4_3ELS4_3ELNS0_20block_scan_algorithmE0ELj4294967295EEENS1_25partition_config_selectorILNS1_17partition_subalgoE3EjNS0_10empty_typeEbEEZZNS1_14partition_implILS8_3ELb0ES6_jNS0_17counting_iteratorIjlEEPS9_SE_NS0_5tupleIJPjSE_EEENSF_IJSE_SE_EEES9_SG_JZNS1_25segmented_radix_sort_implINS0_14default_configELb0EPKaPaPKlPlN2at6native12_GLOBAL__N_18offset_tEEE10hipError_tPvRmT1_PNSt15iterator_traitsISY_E10value_typeET2_T3_PNSZ_IS14_E10value_typeET4_jRbjT5_S1A_jjP12ihipStream_tbEUljE_EEESV_SW_SX_S14_S18_S1A_T6_T7_T9_mT8_S1C_bDpT10_ENKUlT_T0_E_clISt17integral_constantIbLb1EES1P_EEDaS1K_S1L_EUlS1K_E_NS1_11comp_targetILNS1_3genE10ELNS1_11target_archE1200ELNS1_3gpuE4ELNS1_3repE0EEENS1_30default_config_static_selectorELNS0_4arch9wavefront6targetE0EEEvSY_,"axG",@progbits,_ZN7rocprim17ROCPRIM_400000_NS6detail17trampoline_kernelINS0_13select_configILj256ELj13ELNS0_17block_load_methodE3ELS4_3ELS4_3ELNS0_20block_scan_algorithmE0ELj4294967295EEENS1_25partition_config_selectorILNS1_17partition_subalgoE3EjNS0_10empty_typeEbEEZZNS1_14partition_implILS8_3ELb0ES6_jNS0_17counting_iteratorIjlEEPS9_SE_NS0_5tupleIJPjSE_EEENSF_IJSE_SE_EEES9_SG_JZNS1_25segmented_radix_sort_implINS0_14default_configELb0EPKaPaPKlPlN2at6native12_GLOBAL__N_18offset_tEEE10hipError_tPvRmT1_PNSt15iterator_traitsISY_E10value_typeET2_T3_PNSZ_IS14_E10value_typeET4_jRbjT5_S1A_jjP12ihipStream_tbEUljE_EEESV_SW_SX_S14_S18_S1A_T6_T7_T9_mT8_S1C_bDpT10_ENKUlT_T0_E_clISt17integral_constantIbLb1EES1P_EEDaS1K_S1L_EUlS1K_E_NS1_11comp_targetILNS1_3genE10ELNS1_11target_archE1200ELNS1_3gpuE4ELNS1_3repE0EEENS1_30default_config_static_selectorELNS0_4arch9wavefront6targetE0EEEvSY_,comdat
	.globl	_ZN7rocprim17ROCPRIM_400000_NS6detail17trampoline_kernelINS0_13select_configILj256ELj13ELNS0_17block_load_methodE3ELS4_3ELS4_3ELNS0_20block_scan_algorithmE0ELj4294967295EEENS1_25partition_config_selectorILNS1_17partition_subalgoE3EjNS0_10empty_typeEbEEZZNS1_14partition_implILS8_3ELb0ES6_jNS0_17counting_iteratorIjlEEPS9_SE_NS0_5tupleIJPjSE_EEENSF_IJSE_SE_EEES9_SG_JZNS1_25segmented_radix_sort_implINS0_14default_configELb0EPKaPaPKlPlN2at6native12_GLOBAL__N_18offset_tEEE10hipError_tPvRmT1_PNSt15iterator_traitsISY_E10value_typeET2_T3_PNSZ_IS14_E10value_typeET4_jRbjT5_S1A_jjP12ihipStream_tbEUljE_EEESV_SW_SX_S14_S18_S1A_T6_T7_T9_mT8_S1C_bDpT10_ENKUlT_T0_E_clISt17integral_constantIbLb1EES1P_EEDaS1K_S1L_EUlS1K_E_NS1_11comp_targetILNS1_3genE10ELNS1_11target_archE1200ELNS1_3gpuE4ELNS1_3repE0EEENS1_30default_config_static_selectorELNS0_4arch9wavefront6targetE0EEEvSY_ ; -- Begin function _ZN7rocprim17ROCPRIM_400000_NS6detail17trampoline_kernelINS0_13select_configILj256ELj13ELNS0_17block_load_methodE3ELS4_3ELS4_3ELNS0_20block_scan_algorithmE0ELj4294967295EEENS1_25partition_config_selectorILNS1_17partition_subalgoE3EjNS0_10empty_typeEbEEZZNS1_14partition_implILS8_3ELb0ES6_jNS0_17counting_iteratorIjlEEPS9_SE_NS0_5tupleIJPjSE_EEENSF_IJSE_SE_EEES9_SG_JZNS1_25segmented_radix_sort_implINS0_14default_configELb0EPKaPaPKlPlN2at6native12_GLOBAL__N_18offset_tEEE10hipError_tPvRmT1_PNSt15iterator_traitsISY_E10value_typeET2_T3_PNSZ_IS14_E10value_typeET4_jRbjT5_S1A_jjP12ihipStream_tbEUljE_EEESV_SW_SX_S14_S18_S1A_T6_T7_T9_mT8_S1C_bDpT10_ENKUlT_T0_E_clISt17integral_constantIbLb1EES1P_EEDaS1K_S1L_EUlS1K_E_NS1_11comp_targetILNS1_3genE10ELNS1_11target_archE1200ELNS1_3gpuE4ELNS1_3repE0EEENS1_30default_config_static_selectorELNS0_4arch9wavefront6targetE0EEEvSY_
	.p2align	8
	.type	_ZN7rocprim17ROCPRIM_400000_NS6detail17trampoline_kernelINS0_13select_configILj256ELj13ELNS0_17block_load_methodE3ELS4_3ELS4_3ELNS0_20block_scan_algorithmE0ELj4294967295EEENS1_25partition_config_selectorILNS1_17partition_subalgoE3EjNS0_10empty_typeEbEEZZNS1_14partition_implILS8_3ELb0ES6_jNS0_17counting_iteratorIjlEEPS9_SE_NS0_5tupleIJPjSE_EEENSF_IJSE_SE_EEES9_SG_JZNS1_25segmented_radix_sort_implINS0_14default_configELb0EPKaPaPKlPlN2at6native12_GLOBAL__N_18offset_tEEE10hipError_tPvRmT1_PNSt15iterator_traitsISY_E10value_typeET2_T3_PNSZ_IS14_E10value_typeET4_jRbjT5_S1A_jjP12ihipStream_tbEUljE_EEESV_SW_SX_S14_S18_S1A_T6_T7_T9_mT8_S1C_bDpT10_ENKUlT_T0_E_clISt17integral_constantIbLb1EES1P_EEDaS1K_S1L_EUlS1K_E_NS1_11comp_targetILNS1_3genE10ELNS1_11target_archE1200ELNS1_3gpuE4ELNS1_3repE0EEENS1_30default_config_static_selectorELNS0_4arch9wavefront6targetE0EEEvSY_,@function
_ZN7rocprim17ROCPRIM_400000_NS6detail17trampoline_kernelINS0_13select_configILj256ELj13ELNS0_17block_load_methodE3ELS4_3ELS4_3ELNS0_20block_scan_algorithmE0ELj4294967295EEENS1_25partition_config_selectorILNS1_17partition_subalgoE3EjNS0_10empty_typeEbEEZZNS1_14partition_implILS8_3ELb0ES6_jNS0_17counting_iteratorIjlEEPS9_SE_NS0_5tupleIJPjSE_EEENSF_IJSE_SE_EEES9_SG_JZNS1_25segmented_radix_sort_implINS0_14default_configELb0EPKaPaPKlPlN2at6native12_GLOBAL__N_18offset_tEEE10hipError_tPvRmT1_PNSt15iterator_traitsISY_E10value_typeET2_T3_PNSZ_IS14_E10value_typeET4_jRbjT5_S1A_jjP12ihipStream_tbEUljE_EEESV_SW_SX_S14_S18_S1A_T6_T7_T9_mT8_S1C_bDpT10_ENKUlT_T0_E_clISt17integral_constantIbLb1EES1P_EEDaS1K_S1L_EUlS1K_E_NS1_11comp_targetILNS1_3genE10ELNS1_11target_archE1200ELNS1_3gpuE4ELNS1_3repE0EEENS1_30default_config_static_selectorELNS0_4arch9wavefront6targetE0EEEvSY_: ; @_ZN7rocprim17ROCPRIM_400000_NS6detail17trampoline_kernelINS0_13select_configILj256ELj13ELNS0_17block_load_methodE3ELS4_3ELS4_3ELNS0_20block_scan_algorithmE0ELj4294967295EEENS1_25partition_config_selectorILNS1_17partition_subalgoE3EjNS0_10empty_typeEbEEZZNS1_14partition_implILS8_3ELb0ES6_jNS0_17counting_iteratorIjlEEPS9_SE_NS0_5tupleIJPjSE_EEENSF_IJSE_SE_EEES9_SG_JZNS1_25segmented_radix_sort_implINS0_14default_configELb0EPKaPaPKlPlN2at6native12_GLOBAL__N_18offset_tEEE10hipError_tPvRmT1_PNSt15iterator_traitsISY_E10value_typeET2_T3_PNSZ_IS14_E10value_typeET4_jRbjT5_S1A_jjP12ihipStream_tbEUljE_EEESV_SW_SX_S14_S18_S1A_T6_T7_T9_mT8_S1C_bDpT10_ENKUlT_T0_E_clISt17integral_constantIbLb1EES1P_EEDaS1K_S1L_EUlS1K_E_NS1_11comp_targetILNS1_3genE10ELNS1_11target_archE1200ELNS1_3gpuE4ELNS1_3repE0EEENS1_30default_config_static_selectorELNS0_4arch9wavefront6targetE0EEEvSY_
; %bb.0:
	s_endpgm
	.section	.rodata,"a",@progbits
	.p2align	6, 0x0
	.amdhsa_kernel _ZN7rocprim17ROCPRIM_400000_NS6detail17trampoline_kernelINS0_13select_configILj256ELj13ELNS0_17block_load_methodE3ELS4_3ELS4_3ELNS0_20block_scan_algorithmE0ELj4294967295EEENS1_25partition_config_selectorILNS1_17partition_subalgoE3EjNS0_10empty_typeEbEEZZNS1_14partition_implILS8_3ELb0ES6_jNS0_17counting_iteratorIjlEEPS9_SE_NS0_5tupleIJPjSE_EEENSF_IJSE_SE_EEES9_SG_JZNS1_25segmented_radix_sort_implINS0_14default_configELb0EPKaPaPKlPlN2at6native12_GLOBAL__N_18offset_tEEE10hipError_tPvRmT1_PNSt15iterator_traitsISY_E10value_typeET2_T3_PNSZ_IS14_E10value_typeET4_jRbjT5_S1A_jjP12ihipStream_tbEUljE_EEESV_SW_SX_S14_S18_S1A_T6_T7_T9_mT8_S1C_bDpT10_ENKUlT_T0_E_clISt17integral_constantIbLb1EES1P_EEDaS1K_S1L_EUlS1K_E_NS1_11comp_targetILNS1_3genE10ELNS1_11target_archE1200ELNS1_3gpuE4ELNS1_3repE0EEENS1_30default_config_static_selectorELNS0_4arch9wavefront6targetE0EEEvSY_
		.amdhsa_group_segment_fixed_size 0
		.amdhsa_private_segment_fixed_size 0
		.amdhsa_kernarg_size 152
		.amdhsa_user_sgpr_count 2
		.amdhsa_user_sgpr_dispatch_ptr 0
		.amdhsa_user_sgpr_queue_ptr 0
		.amdhsa_user_sgpr_kernarg_segment_ptr 1
		.amdhsa_user_sgpr_dispatch_id 0
		.amdhsa_user_sgpr_private_segment_size 0
		.amdhsa_wavefront_size32 1
		.amdhsa_uses_dynamic_stack 0
		.amdhsa_enable_private_segment 0
		.amdhsa_system_sgpr_workgroup_id_x 1
		.amdhsa_system_sgpr_workgroup_id_y 0
		.amdhsa_system_sgpr_workgroup_id_z 0
		.amdhsa_system_sgpr_workgroup_info 0
		.amdhsa_system_vgpr_workitem_id 0
		.amdhsa_next_free_vgpr 1
		.amdhsa_next_free_sgpr 1
		.amdhsa_reserve_vcc 0
		.amdhsa_float_round_mode_32 0
		.amdhsa_float_round_mode_16_64 0
		.amdhsa_float_denorm_mode_32 3
		.amdhsa_float_denorm_mode_16_64 3
		.amdhsa_fp16_overflow 0
		.amdhsa_workgroup_processor_mode 1
		.amdhsa_memory_ordered 1
		.amdhsa_forward_progress 1
		.amdhsa_inst_pref_size 1
		.amdhsa_round_robin_scheduling 0
		.amdhsa_exception_fp_ieee_invalid_op 0
		.amdhsa_exception_fp_denorm_src 0
		.amdhsa_exception_fp_ieee_div_zero 0
		.amdhsa_exception_fp_ieee_overflow 0
		.amdhsa_exception_fp_ieee_underflow 0
		.amdhsa_exception_fp_ieee_inexact 0
		.amdhsa_exception_int_div_zero 0
	.end_amdhsa_kernel
	.section	.text._ZN7rocprim17ROCPRIM_400000_NS6detail17trampoline_kernelINS0_13select_configILj256ELj13ELNS0_17block_load_methodE3ELS4_3ELS4_3ELNS0_20block_scan_algorithmE0ELj4294967295EEENS1_25partition_config_selectorILNS1_17partition_subalgoE3EjNS0_10empty_typeEbEEZZNS1_14partition_implILS8_3ELb0ES6_jNS0_17counting_iteratorIjlEEPS9_SE_NS0_5tupleIJPjSE_EEENSF_IJSE_SE_EEES9_SG_JZNS1_25segmented_radix_sort_implINS0_14default_configELb0EPKaPaPKlPlN2at6native12_GLOBAL__N_18offset_tEEE10hipError_tPvRmT1_PNSt15iterator_traitsISY_E10value_typeET2_T3_PNSZ_IS14_E10value_typeET4_jRbjT5_S1A_jjP12ihipStream_tbEUljE_EEESV_SW_SX_S14_S18_S1A_T6_T7_T9_mT8_S1C_bDpT10_ENKUlT_T0_E_clISt17integral_constantIbLb1EES1P_EEDaS1K_S1L_EUlS1K_E_NS1_11comp_targetILNS1_3genE10ELNS1_11target_archE1200ELNS1_3gpuE4ELNS1_3repE0EEENS1_30default_config_static_selectorELNS0_4arch9wavefront6targetE0EEEvSY_,"axG",@progbits,_ZN7rocprim17ROCPRIM_400000_NS6detail17trampoline_kernelINS0_13select_configILj256ELj13ELNS0_17block_load_methodE3ELS4_3ELS4_3ELNS0_20block_scan_algorithmE0ELj4294967295EEENS1_25partition_config_selectorILNS1_17partition_subalgoE3EjNS0_10empty_typeEbEEZZNS1_14partition_implILS8_3ELb0ES6_jNS0_17counting_iteratorIjlEEPS9_SE_NS0_5tupleIJPjSE_EEENSF_IJSE_SE_EEES9_SG_JZNS1_25segmented_radix_sort_implINS0_14default_configELb0EPKaPaPKlPlN2at6native12_GLOBAL__N_18offset_tEEE10hipError_tPvRmT1_PNSt15iterator_traitsISY_E10value_typeET2_T3_PNSZ_IS14_E10value_typeET4_jRbjT5_S1A_jjP12ihipStream_tbEUljE_EEESV_SW_SX_S14_S18_S1A_T6_T7_T9_mT8_S1C_bDpT10_ENKUlT_T0_E_clISt17integral_constantIbLb1EES1P_EEDaS1K_S1L_EUlS1K_E_NS1_11comp_targetILNS1_3genE10ELNS1_11target_archE1200ELNS1_3gpuE4ELNS1_3repE0EEENS1_30default_config_static_selectorELNS0_4arch9wavefront6targetE0EEEvSY_,comdat
.Lfunc_end374:
	.size	_ZN7rocprim17ROCPRIM_400000_NS6detail17trampoline_kernelINS0_13select_configILj256ELj13ELNS0_17block_load_methodE3ELS4_3ELS4_3ELNS0_20block_scan_algorithmE0ELj4294967295EEENS1_25partition_config_selectorILNS1_17partition_subalgoE3EjNS0_10empty_typeEbEEZZNS1_14partition_implILS8_3ELb0ES6_jNS0_17counting_iteratorIjlEEPS9_SE_NS0_5tupleIJPjSE_EEENSF_IJSE_SE_EEES9_SG_JZNS1_25segmented_radix_sort_implINS0_14default_configELb0EPKaPaPKlPlN2at6native12_GLOBAL__N_18offset_tEEE10hipError_tPvRmT1_PNSt15iterator_traitsISY_E10value_typeET2_T3_PNSZ_IS14_E10value_typeET4_jRbjT5_S1A_jjP12ihipStream_tbEUljE_EEESV_SW_SX_S14_S18_S1A_T6_T7_T9_mT8_S1C_bDpT10_ENKUlT_T0_E_clISt17integral_constantIbLb1EES1P_EEDaS1K_S1L_EUlS1K_E_NS1_11comp_targetILNS1_3genE10ELNS1_11target_archE1200ELNS1_3gpuE4ELNS1_3repE0EEENS1_30default_config_static_selectorELNS0_4arch9wavefront6targetE0EEEvSY_, .Lfunc_end374-_ZN7rocprim17ROCPRIM_400000_NS6detail17trampoline_kernelINS0_13select_configILj256ELj13ELNS0_17block_load_methodE3ELS4_3ELS4_3ELNS0_20block_scan_algorithmE0ELj4294967295EEENS1_25partition_config_selectorILNS1_17partition_subalgoE3EjNS0_10empty_typeEbEEZZNS1_14partition_implILS8_3ELb0ES6_jNS0_17counting_iteratorIjlEEPS9_SE_NS0_5tupleIJPjSE_EEENSF_IJSE_SE_EEES9_SG_JZNS1_25segmented_radix_sort_implINS0_14default_configELb0EPKaPaPKlPlN2at6native12_GLOBAL__N_18offset_tEEE10hipError_tPvRmT1_PNSt15iterator_traitsISY_E10value_typeET2_T3_PNSZ_IS14_E10value_typeET4_jRbjT5_S1A_jjP12ihipStream_tbEUljE_EEESV_SW_SX_S14_S18_S1A_T6_T7_T9_mT8_S1C_bDpT10_ENKUlT_T0_E_clISt17integral_constantIbLb1EES1P_EEDaS1K_S1L_EUlS1K_E_NS1_11comp_targetILNS1_3genE10ELNS1_11target_archE1200ELNS1_3gpuE4ELNS1_3repE0EEENS1_30default_config_static_selectorELNS0_4arch9wavefront6targetE0EEEvSY_
                                        ; -- End function
	.set _ZN7rocprim17ROCPRIM_400000_NS6detail17trampoline_kernelINS0_13select_configILj256ELj13ELNS0_17block_load_methodE3ELS4_3ELS4_3ELNS0_20block_scan_algorithmE0ELj4294967295EEENS1_25partition_config_selectorILNS1_17partition_subalgoE3EjNS0_10empty_typeEbEEZZNS1_14partition_implILS8_3ELb0ES6_jNS0_17counting_iteratorIjlEEPS9_SE_NS0_5tupleIJPjSE_EEENSF_IJSE_SE_EEES9_SG_JZNS1_25segmented_radix_sort_implINS0_14default_configELb0EPKaPaPKlPlN2at6native12_GLOBAL__N_18offset_tEEE10hipError_tPvRmT1_PNSt15iterator_traitsISY_E10value_typeET2_T3_PNSZ_IS14_E10value_typeET4_jRbjT5_S1A_jjP12ihipStream_tbEUljE_EEESV_SW_SX_S14_S18_S1A_T6_T7_T9_mT8_S1C_bDpT10_ENKUlT_T0_E_clISt17integral_constantIbLb1EES1P_EEDaS1K_S1L_EUlS1K_E_NS1_11comp_targetILNS1_3genE10ELNS1_11target_archE1200ELNS1_3gpuE4ELNS1_3repE0EEENS1_30default_config_static_selectorELNS0_4arch9wavefront6targetE0EEEvSY_.num_vgpr, 0
	.set _ZN7rocprim17ROCPRIM_400000_NS6detail17trampoline_kernelINS0_13select_configILj256ELj13ELNS0_17block_load_methodE3ELS4_3ELS4_3ELNS0_20block_scan_algorithmE0ELj4294967295EEENS1_25partition_config_selectorILNS1_17partition_subalgoE3EjNS0_10empty_typeEbEEZZNS1_14partition_implILS8_3ELb0ES6_jNS0_17counting_iteratorIjlEEPS9_SE_NS0_5tupleIJPjSE_EEENSF_IJSE_SE_EEES9_SG_JZNS1_25segmented_radix_sort_implINS0_14default_configELb0EPKaPaPKlPlN2at6native12_GLOBAL__N_18offset_tEEE10hipError_tPvRmT1_PNSt15iterator_traitsISY_E10value_typeET2_T3_PNSZ_IS14_E10value_typeET4_jRbjT5_S1A_jjP12ihipStream_tbEUljE_EEESV_SW_SX_S14_S18_S1A_T6_T7_T9_mT8_S1C_bDpT10_ENKUlT_T0_E_clISt17integral_constantIbLb1EES1P_EEDaS1K_S1L_EUlS1K_E_NS1_11comp_targetILNS1_3genE10ELNS1_11target_archE1200ELNS1_3gpuE4ELNS1_3repE0EEENS1_30default_config_static_selectorELNS0_4arch9wavefront6targetE0EEEvSY_.num_agpr, 0
	.set _ZN7rocprim17ROCPRIM_400000_NS6detail17trampoline_kernelINS0_13select_configILj256ELj13ELNS0_17block_load_methodE3ELS4_3ELS4_3ELNS0_20block_scan_algorithmE0ELj4294967295EEENS1_25partition_config_selectorILNS1_17partition_subalgoE3EjNS0_10empty_typeEbEEZZNS1_14partition_implILS8_3ELb0ES6_jNS0_17counting_iteratorIjlEEPS9_SE_NS0_5tupleIJPjSE_EEENSF_IJSE_SE_EEES9_SG_JZNS1_25segmented_radix_sort_implINS0_14default_configELb0EPKaPaPKlPlN2at6native12_GLOBAL__N_18offset_tEEE10hipError_tPvRmT1_PNSt15iterator_traitsISY_E10value_typeET2_T3_PNSZ_IS14_E10value_typeET4_jRbjT5_S1A_jjP12ihipStream_tbEUljE_EEESV_SW_SX_S14_S18_S1A_T6_T7_T9_mT8_S1C_bDpT10_ENKUlT_T0_E_clISt17integral_constantIbLb1EES1P_EEDaS1K_S1L_EUlS1K_E_NS1_11comp_targetILNS1_3genE10ELNS1_11target_archE1200ELNS1_3gpuE4ELNS1_3repE0EEENS1_30default_config_static_selectorELNS0_4arch9wavefront6targetE0EEEvSY_.numbered_sgpr, 0
	.set _ZN7rocprim17ROCPRIM_400000_NS6detail17trampoline_kernelINS0_13select_configILj256ELj13ELNS0_17block_load_methodE3ELS4_3ELS4_3ELNS0_20block_scan_algorithmE0ELj4294967295EEENS1_25partition_config_selectorILNS1_17partition_subalgoE3EjNS0_10empty_typeEbEEZZNS1_14partition_implILS8_3ELb0ES6_jNS0_17counting_iteratorIjlEEPS9_SE_NS0_5tupleIJPjSE_EEENSF_IJSE_SE_EEES9_SG_JZNS1_25segmented_radix_sort_implINS0_14default_configELb0EPKaPaPKlPlN2at6native12_GLOBAL__N_18offset_tEEE10hipError_tPvRmT1_PNSt15iterator_traitsISY_E10value_typeET2_T3_PNSZ_IS14_E10value_typeET4_jRbjT5_S1A_jjP12ihipStream_tbEUljE_EEESV_SW_SX_S14_S18_S1A_T6_T7_T9_mT8_S1C_bDpT10_ENKUlT_T0_E_clISt17integral_constantIbLb1EES1P_EEDaS1K_S1L_EUlS1K_E_NS1_11comp_targetILNS1_3genE10ELNS1_11target_archE1200ELNS1_3gpuE4ELNS1_3repE0EEENS1_30default_config_static_selectorELNS0_4arch9wavefront6targetE0EEEvSY_.num_named_barrier, 0
	.set _ZN7rocprim17ROCPRIM_400000_NS6detail17trampoline_kernelINS0_13select_configILj256ELj13ELNS0_17block_load_methodE3ELS4_3ELS4_3ELNS0_20block_scan_algorithmE0ELj4294967295EEENS1_25partition_config_selectorILNS1_17partition_subalgoE3EjNS0_10empty_typeEbEEZZNS1_14partition_implILS8_3ELb0ES6_jNS0_17counting_iteratorIjlEEPS9_SE_NS0_5tupleIJPjSE_EEENSF_IJSE_SE_EEES9_SG_JZNS1_25segmented_radix_sort_implINS0_14default_configELb0EPKaPaPKlPlN2at6native12_GLOBAL__N_18offset_tEEE10hipError_tPvRmT1_PNSt15iterator_traitsISY_E10value_typeET2_T3_PNSZ_IS14_E10value_typeET4_jRbjT5_S1A_jjP12ihipStream_tbEUljE_EEESV_SW_SX_S14_S18_S1A_T6_T7_T9_mT8_S1C_bDpT10_ENKUlT_T0_E_clISt17integral_constantIbLb1EES1P_EEDaS1K_S1L_EUlS1K_E_NS1_11comp_targetILNS1_3genE10ELNS1_11target_archE1200ELNS1_3gpuE4ELNS1_3repE0EEENS1_30default_config_static_selectorELNS0_4arch9wavefront6targetE0EEEvSY_.private_seg_size, 0
	.set _ZN7rocprim17ROCPRIM_400000_NS6detail17trampoline_kernelINS0_13select_configILj256ELj13ELNS0_17block_load_methodE3ELS4_3ELS4_3ELNS0_20block_scan_algorithmE0ELj4294967295EEENS1_25partition_config_selectorILNS1_17partition_subalgoE3EjNS0_10empty_typeEbEEZZNS1_14partition_implILS8_3ELb0ES6_jNS0_17counting_iteratorIjlEEPS9_SE_NS0_5tupleIJPjSE_EEENSF_IJSE_SE_EEES9_SG_JZNS1_25segmented_radix_sort_implINS0_14default_configELb0EPKaPaPKlPlN2at6native12_GLOBAL__N_18offset_tEEE10hipError_tPvRmT1_PNSt15iterator_traitsISY_E10value_typeET2_T3_PNSZ_IS14_E10value_typeET4_jRbjT5_S1A_jjP12ihipStream_tbEUljE_EEESV_SW_SX_S14_S18_S1A_T6_T7_T9_mT8_S1C_bDpT10_ENKUlT_T0_E_clISt17integral_constantIbLb1EES1P_EEDaS1K_S1L_EUlS1K_E_NS1_11comp_targetILNS1_3genE10ELNS1_11target_archE1200ELNS1_3gpuE4ELNS1_3repE0EEENS1_30default_config_static_selectorELNS0_4arch9wavefront6targetE0EEEvSY_.uses_vcc, 0
	.set _ZN7rocprim17ROCPRIM_400000_NS6detail17trampoline_kernelINS0_13select_configILj256ELj13ELNS0_17block_load_methodE3ELS4_3ELS4_3ELNS0_20block_scan_algorithmE0ELj4294967295EEENS1_25partition_config_selectorILNS1_17partition_subalgoE3EjNS0_10empty_typeEbEEZZNS1_14partition_implILS8_3ELb0ES6_jNS0_17counting_iteratorIjlEEPS9_SE_NS0_5tupleIJPjSE_EEENSF_IJSE_SE_EEES9_SG_JZNS1_25segmented_radix_sort_implINS0_14default_configELb0EPKaPaPKlPlN2at6native12_GLOBAL__N_18offset_tEEE10hipError_tPvRmT1_PNSt15iterator_traitsISY_E10value_typeET2_T3_PNSZ_IS14_E10value_typeET4_jRbjT5_S1A_jjP12ihipStream_tbEUljE_EEESV_SW_SX_S14_S18_S1A_T6_T7_T9_mT8_S1C_bDpT10_ENKUlT_T0_E_clISt17integral_constantIbLb1EES1P_EEDaS1K_S1L_EUlS1K_E_NS1_11comp_targetILNS1_3genE10ELNS1_11target_archE1200ELNS1_3gpuE4ELNS1_3repE0EEENS1_30default_config_static_selectorELNS0_4arch9wavefront6targetE0EEEvSY_.uses_flat_scratch, 0
	.set _ZN7rocprim17ROCPRIM_400000_NS6detail17trampoline_kernelINS0_13select_configILj256ELj13ELNS0_17block_load_methodE3ELS4_3ELS4_3ELNS0_20block_scan_algorithmE0ELj4294967295EEENS1_25partition_config_selectorILNS1_17partition_subalgoE3EjNS0_10empty_typeEbEEZZNS1_14partition_implILS8_3ELb0ES6_jNS0_17counting_iteratorIjlEEPS9_SE_NS0_5tupleIJPjSE_EEENSF_IJSE_SE_EEES9_SG_JZNS1_25segmented_radix_sort_implINS0_14default_configELb0EPKaPaPKlPlN2at6native12_GLOBAL__N_18offset_tEEE10hipError_tPvRmT1_PNSt15iterator_traitsISY_E10value_typeET2_T3_PNSZ_IS14_E10value_typeET4_jRbjT5_S1A_jjP12ihipStream_tbEUljE_EEESV_SW_SX_S14_S18_S1A_T6_T7_T9_mT8_S1C_bDpT10_ENKUlT_T0_E_clISt17integral_constantIbLb1EES1P_EEDaS1K_S1L_EUlS1K_E_NS1_11comp_targetILNS1_3genE10ELNS1_11target_archE1200ELNS1_3gpuE4ELNS1_3repE0EEENS1_30default_config_static_selectorELNS0_4arch9wavefront6targetE0EEEvSY_.has_dyn_sized_stack, 0
	.set _ZN7rocprim17ROCPRIM_400000_NS6detail17trampoline_kernelINS0_13select_configILj256ELj13ELNS0_17block_load_methodE3ELS4_3ELS4_3ELNS0_20block_scan_algorithmE0ELj4294967295EEENS1_25partition_config_selectorILNS1_17partition_subalgoE3EjNS0_10empty_typeEbEEZZNS1_14partition_implILS8_3ELb0ES6_jNS0_17counting_iteratorIjlEEPS9_SE_NS0_5tupleIJPjSE_EEENSF_IJSE_SE_EEES9_SG_JZNS1_25segmented_radix_sort_implINS0_14default_configELb0EPKaPaPKlPlN2at6native12_GLOBAL__N_18offset_tEEE10hipError_tPvRmT1_PNSt15iterator_traitsISY_E10value_typeET2_T3_PNSZ_IS14_E10value_typeET4_jRbjT5_S1A_jjP12ihipStream_tbEUljE_EEESV_SW_SX_S14_S18_S1A_T6_T7_T9_mT8_S1C_bDpT10_ENKUlT_T0_E_clISt17integral_constantIbLb1EES1P_EEDaS1K_S1L_EUlS1K_E_NS1_11comp_targetILNS1_3genE10ELNS1_11target_archE1200ELNS1_3gpuE4ELNS1_3repE0EEENS1_30default_config_static_selectorELNS0_4arch9wavefront6targetE0EEEvSY_.has_recursion, 0
	.set _ZN7rocprim17ROCPRIM_400000_NS6detail17trampoline_kernelINS0_13select_configILj256ELj13ELNS0_17block_load_methodE3ELS4_3ELS4_3ELNS0_20block_scan_algorithmE0ELj4294967295EEENS1_25partition_config_selectorILNS1_17partition_subalgoE3EjNS0_10empty_typeEbEEZZNS1_14partition_implILS8_3ELb0ES6_jNS0_17counting_iteratorIjlEEPS9_SE_NS0_5tupleIJPjSE_EEENSF_IJSE_SE_EEES9_SG_JZNS1_25segmented_radix_sort_implINS0_14default_configELb0EPKaPaPKlPlN2at6native12_GLOBAL__N_18offset_tEEE10hipError_tPvRmT1_PNSt15iterator_traitsISY_E10value_typeET2_T3_PNSZ_IS14_E10value_typeET4_jRbjT5_S1A_jjP12ihipStream_tbEUljE_EEESV_SW_SX_S14_S18_S1A_T6_T7_T9_mT8_S1C_bDpT10_ENKUlT_T0_E_clISt17integral_constantIbLb1EES1P_EEDaS1K_S1L_EUlS1K_E_NS1_11comp_targetILNS1_3genE10ELNS1_11target_archE1200ELNS1_3gpuE4ELNS1_3repE0EEENS1_30default_config_static_selectorELNS0_4arch9wavefront6targetE0EEEvSY_.has_indirect_call, 0
	.section	.AMDGPU.csdata,"",@progbits
; Kernel info:
; codeLenInByte = 4
; TotalNumSgprs: 0
; NumVgprs: 0
; ScratchSize: 0
; MemoryBound: 0
; FloatMode: 240
; IeeeMode: 1
; LDSByteSize: 0 bytes/workgroup (compile time only)
; SGPRBlocks: 0
; VGPRBlocks: 0
; NumSGPRsForWavesPerEU: 1
; NumVGPRsForWavesPerEU: 1
; Occupancy: 16
; WaveLimiterHint : 0
; COMPUTE_PGM_RSRC2:SCRATCH_EN: 0
; COMPUTE_PGM_RSRC2:USER_SGPR: 2
; COMPUTE_PGM_RSRC2:TRAP_HANDLER: 0
; COMPUTE_PGM_RSRC2:TGID_X_EN: 1
; COMPUTE_PGM_RSRC2:TGID_Y_EN: 0
; COMPUTE_PGM_RSRC2:TGID_Z_EN: 0
; COMPUTE_PGM_RSRC2:TIDIG_COMP_CNT: 0
	.section	.text._ZN7rocprim17ROCPRIM_400000_NS6detail17trampoline_kernelINS0_13select_configILj256ELj13ELNS0_17block_load_methodE3ELS4_3ELS4_3ELNS0_20block_scan_algorithmE0ELj4294967295EEENS1_25partition_config_selectorILNS1_17partition_subalgoE3EjNS0_10empty_typeEbEEZZNS1_14partition_implILS8_3ELb0ES6_jNS0_17counting_iteratorIjlEEPS9_SE_NS0_5tupleIJPjSE_EEENSF_IJSE_SE_EEES9_SG_JZNS1_25segmented_radix_sort_implINS0_14default_configELb0EPKaPaPKlPlN2at6native12_GLOBAL__N_18offset_tEEE10hipError_tPvRmT1_PNSt15iterator_traitsISY_E10value_typeET2_T3_PNSZ_IS14_E10value_typeET4_jRbjT5_S1A_jjP12ihipStream_tbEUljE_EEESV_SW_SX_S14_S18_S1A_T6_T7_T9_mT8_S1C_bDpT10_ENKUlT_T0_E_clISt17integral_constantIbLb1EES1P_EEDaS1K_S1L_EUlS1K_E_NS1_11comp_targetILNS1_3genE9ELNS1_11target_archE1100ELNS1_3gpuE3ELNS1_3repE0EEENS1_30default_config_static_selectorELNS0_4arch9wavefront6targetE0EEEvSY_,"axG",@progbits,_ZN7rocprim17ROCPRIM_400000_NS6detail17trampoline_kernelINS0_13select_configILj256ELj13ELNS0_17block_load_methodE3ELS4_3ELS4_3ELNS0_20block_scan_algorithmE0ELj4294967295EEENS1_25partition_config_selectorILNS1_17partition_subalgoE3EjNS0_10empty_typeEbEEZZNS1_14partition_implILS8_3ELb0ES6_jNS0_17counting_iteratorIjlEEPS9_SE_NS0_5tupleIJPjSE_EEENSF_IJSE_SE_EEES9_SG_JZNS1_25segmented_radix_sort_implINS0_14default_configELb0EPKaPaPKlPlN2at6native12_GLOBAL__N_18offset_tEEE10hipError_tPvRmT1_PNSt15iterator_traitsISY_E10value_typeET2_T3_PNSZ_IS14_E10value_typeET4_jRbjT5_S1A_jjP12ihipStream_tbEUljE_EEESV_SW_SX_S14_S18_S1A_T6_T7_T9_mT8_S1C_bDpT10_ENKUlT_T0_E_clISt17integral_constantIbLb1EES1P_EEDaS1K_S1L_EUlS1K_E_NS1_11comp_targetILNS1_3genE9ELNS1_11target_archE1100ELNS1_3gpuE3ELNS1_3repE0EEENS1_30default_config_static_selectorELNS0_4arch9wavefront6targetE0EEEvSY_,comdat
	.globl	_ZN7rocprim17ROCPRIM_400000_NS6detail17trampoline_kernelINS0_13select_configILj256ELj13ELNS0_17block_load_methodE3ELS4_3ELS4_3ELNS0_20block_scan_algorithmE0ELj4294967295EEENS1_25partition_config_selectorILNS1_17partition_subalgoE3EjNS0_10empty_typeEbEEZZNS1_14partition_implILS8_3ELb0ES6_jNS0_17counting_iteratorIjlEEPS9_SE_NS0_5tupleIJPjSE_EEENSF_IJSE_SE_EEES9_SG_JZNS1_25segmented_radix_sort_implINS0_14default_configELb0EPKaPaPKlPlN2at6native12_GLOBAL__N_18offset_tEEE10hipError_tPvRmT1_PNSt15iterator_traitsISY_E10value_typeET2_T3_PNSZ_IS14_E10value_typeET4_jRbjT5_S1A_jjP12ihipStream_tbEUljE_EEESV_SW_SX_S14_S18_S1A_T6_T7_T9_mT8_S1C_bDpT10_ENKUlT_T0_E_clISt17integral_constantIbLb1EES1P_EEDaS1K_S1L_EUlS1K_E_NS1_11comp_targetILNS1_3genE9ELNS1_11target_archE1100ELNS1_3gpuE3ELNS1_3repE0EEENS1_30default_config_static_selectorELNS0_4arch9wavefront6targetE0EEEvSY_ ; -- Begin function _ZN7rocprim17ROCPRIM_400000_NS6detail17trampoline_kernelINS0_13select_configILj256ELj13ELNS0_17block_load_methodE3ELS4_3ELS4_3ELNS0_20block_scan_algorithmE0ELj4294967295EEENS1_25partition_config_selectorILNS1_17partition_subalgoE3EjNS0_10empty_typeEbEEZZNS1_14partition_implILS8_3ELb0ES6_jNS0_17counting_iteratorIjlEEPS9_SE_NS0_5tupleIJPjSE_EEENSF_IJSE_SE_EEES9_SG_JZNS1_25segmented_radix_sort_implINS0_14default_configELb0EPKaPaPKlPlN2at6native12_GLOBAL__N_18offset_tEEE10hipError_tPvRmT1_PNSt15iterator_traitsISY_E10value_typeET2_T3_PNSZ_IS14_E10value_typeET4_jRbjT5_S1A_jjP12ihipStream_tbEUljE_EEESV_SW_SX_S14_S18_S1A_T6_T7_T9_mT8_S1C_bDpT10_ENKUlT_T0_E_clISt17integral_constantIbLb1EES1P_EEDaS1K_S1L_EUlS1K_E_NS1_11comp_targetILNS1_3genE9ELNS1_11target_archE1100ELNS1_3gpuE3ELNS1_3repE0EEENS1_30default_config_static_selectorELNS0_4arch9wavefront6targetE0EEEvSY_
	.p2align	8
	.type	_ZN7rocprim17ROCPRIM_400000_NS6detail17trampoline_kernelINS0_13select_configILj256ELj13ELNS0_17block_load_methodE3ELS4_3ELS4_3ELNS0_20block_scan_algorithmE0ELj4294967295EEENS1_25partition_config_selectorILNS1_17partition_subalgoE3EjNS0_10empty_typeEbEEZZNS1_14partition_implILS8_3ELb0ES6_jNS0_17counting_iteratorIjlEEPS9_SE_NS0_5tupleIJPjSE_EEENSF_IJSE_SE_EEES9_SG_JZNS1_25segmented_radix_sort_implINS0_14default_configELb0EPKaPaPKlPlN2at6native12_GLOBAL__N_18offset_tEEE10hipError_tPvRmT1_PNSt15iterator_traitsISY_E10value_typeET2_T3_PNSZ_IS14_E10value_typeET4_jRbjT5_S1A_jjP12ihipStream_tbEUljE_EEESV_SW_SX_S14_S18_S1A_T6_T7_T9_mT8_S1C_bDpT10_ENKUlT_T0_E_clISt17integral_constantIbLb1EES1P_EEDaS1K_S1L_EUlS1K_E_NS1_11comp_targetILNS1_3genE9ELNS1_11target_archE1100ELNS1_3gpuE3ELNS1_3repE0EEENS1_30default_config_static_selectorELNS0_4arch9wavefront6targetE0EEEvSY_,@function
_ZN7rocprim17ROCPRIM_400000_NS6detail17trampoline_kernelINS0_13select_configILj256ELj13ELNS0_17block_load_methodE3ELS4_3ELS4_3ELNS0_20block_scan_algorithmE0ELj4294967295EEENS1_25partition_config_selectorILNS1_17partition_subalgoE3EjNS0_10empty_typeEbEEZZNS1_14partition_implILS8_3ELb0ES6_jNS0_17counting_iteratorIjlEEPS9_SE_NS0_5tupleIJPjSE_EEENSF_IJSE_SE_EEES9_SG_JZNS1_25segmented_radix_sort_implINS0_14default_configELb0EPKaPaPKlPlN2at6native12_GLOBAL__N_18offset_tEEE10hipError_tPvRmT1_PNSt15iterator_traitsISY_E10value_typeET2_T3_PNSZ_IS14_E10value_typeET4_jRbjT5_S1A_jjP12ihipStream_tbEUljE_EEESV_SW_SX_S14_S18_S1A_T6_T7_T9_mT8_S1C_bDpT10_ENKUlT_T0_E_clISt17integral_constantIbLb1EES1P_EEDaS1K_S1L_EUlS1K_E_NS1_11comp_targetILNS1_3genE9ELNS1_11target_archE1100ELNS1_3gpuE3ELNS1_3repE0EEENS1_30default_config_static_selectorELNS0_4arch9wavefront6targetE0EEEvSY_: ; @_ZN7rocprim17ROCPRIM_400000_NS6detail17trampoline_kernelINS0_13select_configILj256ELj13ELNS0_17block_load_methodE3ELS4_3ELS4_3ELNS0_20block_scan_algorithmE0ELj4294967295EEENS1_25partition_config_selectorILNS1_17partition_subalgoE3EjNS0_10empty_typeEbEEZZNS1_14partition_implILS8_3ELb0ES6_jNS0_17counting_iteratorIjlEEPS9_SE_NS0_5tupleIJPjSE_EEENSF_IJSE_SE_EEES9_SG_JZNS1_25segmented_radix_sort_implINS0_14default_configELb0EPKaPaPKlPlN2at6native12_GLOBAL__N_18offset_tEEE10hipError_tPvRmT1_PNSt15iterator_traitsISY_E10value_typeET2_T3_PNSZ_IS14_E10value_typeET4_jRbjT5_S1A_jjP12ihipStream_tbEUljE_EEESV_SW_SX_S14_S18_S1A_T6_T7_T9_mT8_S1C_bDpT10_ENKUlT_T0_E_clISt17integral_constantIbLb1EES1P_EEDaS1K_S1L_EUlS1K_E_NS1_11comp_targetILNS1_3genE9ELNS1_11target_archE1100ELNS1_3gpuE3ELNS1_3repE0EEENS1_30default_config_static_selectorELNS0_4arch9wavefront6targetE0EEEvSY_
; %bb.0:
	.section	.rodata,"a",@progbits
	.p2align	6, 0x0
	.amdhsa_kernel _ZN7rocprim17ROCPRIM_400000_NS6detail17trampoline_kernelINS0_13select_configILj256ELj13ELNS0_17block_load_methodE3ELS4_3ELS4_3ELNS0_20block_scan_algorithmE0ELj4294967295EEENS1_25partition_config_selectorILNS1_17partition_subalgoE3EjNS0_10empty_typeEbEEZZNS1_14partition_implILS8_3ELb0ES6_jNS0_17counting_iteratorIjlEEPS9_SE_NS0_5tupleIJPjSE_EEENSF_IJSE_SE_EEES9_SG_JZNS1_25segmented_radix_sort_implINS0_14default_configELb0EPKaPaPKlPlN2at6native12_GLOBAL__N_18offset_tEEE10hipError_tPvRmT1_PNSt15iterator_traitsISY_E10value_typeET2_T3_PNSZ_IS14_E10value_typeET4_jRbjT5_S1A_jjP12ihipStream_tbEUljE_EEESV_SW_SX_S14_S18_S1A_T6_T7_T9_mT8_S1C_bDpT10_ENKUlT_T0_E_clISt17integral_constantIbLb1EES1P_EEDaS1K_S1L_EUlS1K_E_NS1_11comp_targetILNS1_3genE9ELNS1_11target_archE1100ELNS1_3gpuE3ELNS1_3repE0EEENS1_30default_config_static_selectorELNS0_4arch9wavefront6targetE0EEEvSY_
		.amdhsa_group_segment_fixed_size 0
		.amdhsa_private_segment_fixed_size 0
		.amdhsa_kernarg_size 152
		.amdhsa_user_sgpr_count 2
		.amdhsa_user_sgpr_dispatch_ptr 0
		.amdhsa_user_sgpr_queue_ptr 0
		.amdhsa_user_sgpr_kernarg_segment_ptr 1
		.amdhsa_user_sgpr_dispatch_id 0
		.amdhsa_user_sgpr_private_segment_size 0
		.amdhsa_wavefront_size32 1
		.amdhsa_uses_dynamic_stack 0
		.amdhsa_enable_private_segment 0
		.amdhsa_system_sgpr_workgroup_id_x 1
		.amdhsa_system_sgpr_workgroup_id_y 0
		.amdhsa_system_sgpr_workgroup_id_z 0
		.amdhsa_system_sgpr_workgroup_info 0
		.amdhsa_system_vgpr_workitem_id 0
		.amdhsa_next_free_vgpr 1
		.amdhsa_next_free_sgpr 1
		.amdhsa_reserve_vcc 0
		.amdhsa_float_round_mode_32 0
		.amdhsa_float_round_mode_16_64 0
		.amdhsa_float_denorm_mode_32 3
		.amdhsa_float_denorm_mode_16_64 3
		.amdhsa_fp16_overflow 0
		.amdhsa_workgroup_processor_mode 1
		.amdhsa_memory_ordered 1
		.amdhsa_forward_progress 1
		.amdhsa_inst_pref_size 0
		.amdhsa_round_robin_scheduling 0
		.amdhsa_exception_fp_ieee_invalid_op 0
		.amdhsa_exception_fp_denorm_src 0
		.amdhsa_exception_fp_ieee_div_zero 0
		.amdhsa_exception_fp_ieee_overflow 0
		.amdhsa_exception_fp_ieee_underflow 0
		.amdhsa_exception_fp_ieee_inexact 0
		.amdhsa_exception_int_div_zero 0
	.end_amdhsa_kernel
	.section	.text._ZN7rocprim17ROCPRIM_400000_NS6detail17trampoline_kernelINS0_13select_configILj256ELj13ELNS0_17block_load_methodE3ELS4_3ELS4_3ELNS0_20block_scan_algorithmE0ELj4294967295EEENS1_25partition_config_selectorILNS1_17partition_subalgoE3EjNS0_10empty_typeEbEEZZNS1_14partition_implILS8_3ELb0ES6_jNS0_17counting_iteratorIjlEEPS9_SE_NS0_5tupleIJPjSE_EEENSF_IJSE_SE_EEES9_SG_JZNS1_25segmented_radix_sort_implINS0_14default_configELb0EPKaPaPKlPlN2at6native12_GLOBAL__N_18offset_tEEE10hipError_tPvRmT1_PNSt15iterator_traitsISY_E10value_typeET2_T3_PNSZ_IS14_E10value_typeET4_jRbjT5_S1A_jjP12ihipStream_tbEUljE_EEESV_SW_SX_S14_S18_S1A_T6_T7_T9_mT8_S1C_bDpT10_ENKUlT_T0_E_clISt17integral_constantIbLb1EES1P_EEDaS1K_S1L_EUlS1K_E_NS1_11comp_targetILNS1_3genE9ELNS1_11target_archE1100ELNS1_3gpuE3ELNS1_3repE0EEENS1_30default_config_static_selectorELNS0_4arch9wavefront6targetE0EEEvSY_,"axG",@progbits,_ZN7rocprim17ROCPRIM_400000_NS6detail17trampoline_kernelINS0_13select_configILj256ELj13ELNS0_17block_load_methodE3ELS4_3ELS4_3ELNS0_20block_scan_algorithmE0ELj4294967295EEENS1_25partition_config_selectorILNS1_17partition_subalgoE3EjNS0_10empty_typeEbEEZZNS1_14partition_implILS8_3ELb0ES6_jNS0_17counting_iteratorIjlEEPS9_SE_NS0_5tupleIJPjSE_EEENSF_IJSE_SE_EEES9_SG_JZNS1_25segmented_radix_sort_implINS0_14default_configELb0EPKaPaPKlPlN2at6native12_GLOBAL__N_18offset_tEEE10hipError_tPvRmT1_PNSt15iterator_traitsISY_E10value_typeET2_T3_PNSZ_IS14_E10value_typeET4_jRbjT5_S1A_jjP12ihipStream_tbEUljE_EEESV_SW_SX_S14_S18_S1A_T6_T7_T9_mT8_S1C_bDpT10_ENKUlT_T0_E_clISt17integral_constantIbLb1EES1P_EEDaS1K_S1L_EUlS1K_E_NS1_11comp_targetILNS1_3genE9ELNS1_11target_archE1100ELNS1_3gpuE3ELNS1_3repE0EEENS1_30default_config_static_selectorELNS0_4arch9wavefront6targetE0EEEvSY_,comdat
.Lfunc_end375:
	.size	_ZN7rocprim17ROCPRIM_400000_NS6detail17trampoline_kernelINS0_13select_configILj256ELj13ELNS0_17block_load_methodE3ELS4_3ELS4_3ELNS0_20block_scan_algorithmE0ELj4294967295EEENS1_25partition_config_selectorILNS1_17partition_subalgoE3EjNS0_10empty_typeEbEEZZNS1_14partition_implILS8_3ELb0ES6_jNS0_17counting_iteratorIjlEEPS9_SE_NS0_5tupleIJPjSE_EEENSF_IJSE_SE_EEES9_SG_JZNS1_25segmented_radix_sort_implINS0_14default_configELb0EPKaPaPKlPlN2at6native12_GLOBAL__N_18offset_tEEE10hipError_tPvRmT1_PNSt15iterator_traitsISY_E10value_typeET2_T3_PNSZ_IS14_E10value_typeET4_jRbjT5_S1A_jjP12ihipStream_tbEUljE_EEESV_SW_SX_S14_S18_S1A_T6_T7_T9_mT8_S1C_bDpT10_ENKUlT_T0_E_clISt17integral_constantIbLb1EES1P_EEDaS1K_S1L_EUlS1K_E_NS1_11comp_targetILNS1_3genE9ELNS1_11target_archE1100ELNS1_3gpuE3ELNS1_3repE0EEENS1_30default_config_static_selectorELNS0_4arch9wavefront6targetE0EEEvSY_, .Lfunc_end375-_ZN7rocprim17ROCPRIM_400000_NS6detail17trampoline_kernelINS0_13select_configILj256ELj13ELNS0_17block_load_methodE3ELS4_3ELS4_3ELNS0_20block_scan_algorithmE0ELj4294967295EEENS1_25partition_config_selectorILNS1_17partition_subalgoE3EjNS0_10empty_typeEbEEZZNS1_14partition_implILS8_3ELb0ES6_jNS0_17counting_iteratorIjlEEPS9_SE_NS0_5tupleIJPjSE_EEENSF_IJSE_SE_EEES9_SG_JZNS1_25segmented_radix_sort_implINS0_14default_configELb0EPKaPaPKlPlN2at6native12_GLOBAL__N_18offset_tEEE10hipError_tPvRmT1_PNSt15iterator_traitsISY_E10value_typeET2_T3_PNSZ_IS14_E10value_typeET4_jRbjT5_S1A_jjP12ihipStream_tbEUljE_EEESV_SW_SX_S14_S18_S1A_T6_T7_T9_mT8_S1C_bDpT10_ENKUlT_T0_E_clISt17integral_constantIbLb1EES1P_EEDaS1K_S1L_EUlS1K_E_NS1_11comp_targetILNS1_3genE9ELNS1_11target_archE1100ELNS1_3gpuE3ELNS1_3repE0EEENS1_30default_config_static_selectorELNS0_4arch9wavefront6targetE0EEEvSY_
                                        ; -- End function
	.set _ZN7rocprim17ROCPRIM_400000_NS6detail17trampoline_kernelINS0_13select_configILj256ELj13ELNS0_17block_load_methodE3ELS4_3ELS4_3ELNS0_20block_scan_algorithmE0ELj4294967295EEENS1_25partition_config_selectorILNS1_17partition_subalgoE3EjNS0_10empty_typeEbEEZZNS1_14partition_implILS8_3ELb0ES6_jNS0_17counting_iteratorIjlEEPS9_SE_NS0_5tupleIJPjSE_EEENSF_IJSE_SE_EEES9_SG_JZNS1_25segmented_radix_sort_implINS0_14default_configELb0EPKaPaPKlPlN2at6native12_GLOBAL__N_18offset_tEEE10hipError_tPvRmT1_PNSt15iterator_traitsISY_E10value_typeET2_T3_PNSZ_IS14_E10value_typeET4_jRbjT5_S1A_jjP12ihipStream_tbEUljE_EEESV_SW_SX_S14_S18_S1A_T6_T7_T9_mT8_S1C_bDpT10_ENKUlT_T0_E_clISt17integral_constantIbLb1EES1P_EEDaS1K_S1L_EUlS1K_E_NS1_11comp_targetILNS1_3genE9ELNS1_11target_archE1100ELNS1_3gpuE3ELNS1_3repE0EEENS1_30default_config_static_selectorELNS0_4arch9wavefront6targetE0EEEvSY_.num_vgpr, 0
	.set _ZN7rocprim17ROCPRIM_400000_NS6detail17trampoline_kernelINS0_13select_configILj256ELj13ELNS0_17block_load_methodE3ELS4_3ELS4_3ELNS0_20block_scan_algorithmE0ELj4294967295EEENS1_25partition_config_selectorILNS1_17partition_subalgoE3EjNS0_10empty_typeEbEEZZNS1_14partition_implILS8_3ELb0ES6_jNS0_17counting_iteratorIjlEEPS9_SE_NS0_5tupleIJPjSE_EEENSF_IJSE_SE_EEES9_SG_JZNS1_25segmented_radix_sort_implINS0_14default_configELb0EPKaPaPKlPlN2at6native12_GLOBAL__N_18offset_tEEE10hipError_tPvRmT1_PNSt15iterator_traitsISY_E10value_typeET2_T3_PNSZ_IS14_E10value_typeET4_jRbjT5_S1A_jjP12ihipStream_tbEUljE_EEESV_SW_SX_S14_S18_S1A_T6_T7_T9_mT8_S1C_bDpT10_ENKUlT_T0_E_clISt17integral_constantIbLb1EES1P_EEDaS1K_S1L_EUlS1K_E_NS1_11comp_targetILNS1_3genE9ELNS1_11target_archE1100ELNS1_3gpuE3ELNS1_3repE0EEENS1_30default_config_static_selectorELNS0_4arch9wavefront6targetE0EEEvSY_.num_agpr, 0
	.set _ZN7rocprim17ROCPRIM_400000_NS6detail17trampoline_kernelINS0_13select_configILj256ELj13ELNS0_17block_load_methodE3ELS4_3ELS4_3ELNS0_20block_scan_algorithmE0ELj4294967295EEENS1_25partition_config_selectorILNS1_17partition_subalgoE3EjNS0_10empty_typeEbEEZZNS1_14partition_implILS8_3ELb0ES6_jNS0_17counting_iteratorIjlEEPS9_SE_NS0_5tupleIJPjSE_EEENSF_IJSE_SE_EEES9_SG_JZNS1_25segmented_radix_sort_implINS0_14default_configELb0EPKaPaPKlPlN2at6native12_GLOBAL__N_18offset_tEEE10hipError_tPvRmT1_PNSt15iterator_traitsISY_E10value_typeET2_T3_PNSZ_IS14_E10value_typeET4_jRbjT5_S1A_jjP12ihipStream_tbEUljE_EEESV_SW_SX_S14_S18_S1A_T6_T7_T9_mT8_S1C_bDpT10_ENKUlT_T0_E_clISt17integral_constantIbLb1EES1P_EEDaS1K_S1L_EUlS1K_E_NS1_11comp_targetILNS1_3genE9ELNS1_11target_archE1100ELNS1_3gpuE3ELNS1_3repE0EEENS1_30default_config_static_selectorELNS0_4arch9wavefront6targetE0EEEvSY_.numbered_sgpr, 0
	.set _ZN7rocprim17ROCPRIM_400000_NS6detail17trampoline_kernelINS0_13select_configILj256ELj13ELNS0_17block_load_methodE3ELS4_3ELS4_3ELNS0_20block_scan_algorithmE0ELj4294967295EEENS1_25partition_config_selectorILNS1_17partition_subalgoE3EjNS0_10empty_typeEbEEZZNS1_14partition_implILS8_3ELb0ES6_jNS0_17counting_iteratorIjlEEPS9_SE_NS0_5tupleIJPjSE_EEENSF_IJSE_SE_EEES9_SG_JZNS1_25segmented_radix_sort_implINS0_14default_configELb0EPKaPaPKlPlN2at6native12_GLOBAL__N_18offset_tEEE10hipError_tPvRmT1_PNSt15iterator_traitsISY_E10value_typeET2_T3_PNSZ_IS14_E10value_typeET4_jRbjT5_S1A_jjP12ihipStream_tbEUljE_EEESV_SW_SX_S14_S18_S1A_T6_T7_T9_mT8_S1C_bDpT10_ENKUlT_T0_E_clISt17integral_constantIbLb1EES1P_EEDaS1K_S1L_EUlS1K_E_NS1_11comp_targetILNS1_3genE9ELNS1_11target_archE1100ELNS1_3gpuE3ELNS1_3repE0EEENS1_30default_config_static_selectorELNS0_4arch9wavefront6targetE0EEEvSY_.num_named_barrier, 0
	.set _ZN7rocprim17ROCPRIM_400000_NS6detail17trampoline_kernelINS0_13select_configILj256ELj13ELNS0_17block_load_methodE3ELS4_3ELS4_3ELNS0_20block_scan_algorithmE0ELj4294967295EEENS1_25partition_config_selectorILNS1_17partition_subalgoE3EjNS0_10empty_typeEbEEZZNS1_14partition_implILS8_3ELb0ES6_jNS0_17counting_iteratorIjlEEPS9_SE_NS0_5tupleIJPjSE_EEENSF_IJSE_SE_EEES9_SG_JZNS1_25segmented_radix_sort_implINS0_14default_configELb0EPKaPaPKlPlN2at6native12_GLOBAL__N_18offset_tEEE10hipError_tPvRmT1_PNSt15iterator_traitsISY_E10value_typeET2_T3_PNSZ_IS14_E10value_typeET4_jRbjT5_S1A_jjP12ihipStream_tbEUljE_EEESV_SW_SX_S14_S18_S1A_T6_T7_T9_mT8_S1C_bDpT10_ENKUlT_T0_E_clISt17integral_constantIbLb1EES1P_EEDaS1K_S1L_EUlS1K_E_NS1_11comp_targetILNS1_3genE9ELNS1_11target_archE1100ELNS1_3gpuE3ELNS1_3repE0EEENS1_30default_config_static_selectorELNS0_4arch9wavefront6targetE0EEEvSY_.private_seg_size, 0
	.set _ZN7rocprim17ROCPRIM_400000_NS6detail17trampoline_kernelINS0_13select_configILj256ELj13ELNS0_17block_load_methodE3ELS4_3ELS4_3ELNS0_20block_scan_algorithmE0ELj4294967295EEENS1_25partition_config_selectorILNS1_17partition_subalgoE3EjNS0_10empty_typeEbEEZZNS1_14partition_implILS8_3ELb0ES6_jNS0_17counting_iteratorIjlEEPS9_SE_NS0_5tupleIJPjSE_EEENSF_IJSE_SE_EEES9_SG_JZNS1_25segmented_radix_sort_implINS0_14default_configELb0EPKaPaPKlPlN2at6native12_GLOBAL__N_18offset_tEEE10hipError_tPvRmT1_PNSt15iterator_traitsISY_E10value_typeET2_T3_PNSZ_IS14_E10value_typeET4_jRbjT5_S1A_jjP12ihipStream_tbEUljE_EEESV_SW_SX_S14_S18_S1A_T6_T7_T9_mT8_S1C_bDpT10_ENKUlT_T0_E_clISt17integral_constantIbLb1EES1P_EEDaS1K_S1L_EUlS1K_E_NS1_11comp_targetILNS1_3genE9ELNS1_11target_archE1100ELNS1_3gpuE3ELNS1_3repE0EEENS1_30default_config_static_selectorELNS0_4arch9wavefront6targetE0EEEvSY_.uses_vcc, 0
	.set _ZN7rocprim17ROCPRIM_400000_NS6detail17trampoline_kernelINS0_13select_configILj256ELj13ELNS0_17block_load_methodE3ELS4_3ELS4_3ELNS0_20block_scan_algorithmE0ELj4294967295EEENS1_25partition_config_selectorILNS1_17partition_subalgoE3EjNS0_10empty_typeEbEEZZNS1_14partition_implILS8_3ELb0ES6_jNS0_17counting_iteratorIjlEEPS9_SE_NS0_5tupleIJPjSE_EEENSF_IJSE_SE_EEES9_SG_JZNS1_25segmented_radix_sort_implINS0_14default_configELb0EPKaPaPKlPlN2at6native12_GLOBAL__N_18offset_tEEE10hipError_tPvRmT1_PNSt15iterator_traitsISY_E10value_typeET2_T3_PNSZ_IS14_E10value_typeET4_jRbjT5_S1A_jjP12ihipStream_tbEUljE_EEESV_SW_SX_S14_S18_S1A_T6_T7_T9_mT8_S1C_bDpT10_ENKUlT_T0_E_clISt17integral_constantIbLb1EES1P_EEDaS1K_S1L_EUlS1K_E_NS1_11comp_targetILNS1_3genE9ELNS1_11target_archE1100ELNS1_3gpuE3ELNS1_3repE0EEENS1_30default_config_static_selectorELNS0_4arch9wavefront6targetE0EEEvSY_.uses_flat_scratch, 0
	.set _ZN7rocprim17ROCPRIM_400000_NS6detail17trampoline_kernelINS0_13select_configILj256ELj13ELNS0_17block_load_methodE3ELS4_3ELS4_3ELNS0_20block_scan_algorithmE0ELj4294967295EEENS1_25partition_config_selectorILNS1_17partition_subalgoE3EjNS0_10empty_typeEbEEZZNS1_14partition_implILS8_3ELb0ES6_jNS0_17counting_iteratorIjlEEPS9_SE_NS0_5tupleIJPjSE_EEENSF_IJSE_SE_EEES9_SG_JZNS1_25segmented_radix_sort_implINS0_14default_configELb0EPKaPaPKlPlN2at6native12_GLOBAL__N_18offset_tEEE10hipError_tPvRmT1_PNSt15iterator_traitsISY_E10value_typeET2_T3_PNSZ_IS14_E10value_typeET4_jRbjT5_S1A_jjP12ihipStream_tbEUljE_EEESV_SW_SX_S14_S18_S1A_T6_T7_T9_mT8_S1C_bDpT10_ENKUlT_T0_E_clISt17integral_constantIbLb1EES1P_EEDaS1K_S1L_EUlS1K_E_NS1_11comp_targetILNS1_3genE9ELNS1_11target_archE1100ELNS1_3gpuE3ELNS1_3repE0EEENS1_30default_config_static_selectorELNS0_4arch9wavefront6targetE0EEEvSY_.has_dyn_sized_stack, 0
	.set _ZN7rocprim17ROCPRIM_400000_NS6detail17trampoline_kernelINS0_13select_configILj256ELj13ELNS0_17block_load_methodE3ELS4_3ELS4_3ELNS0_20block_scan_algorithmE0ELj4294967295EEENS1_25partition_config_selectorILNS1_17partition_subalgoE3EjNS0_10empty_typeEbEEZZNS1_14partition_implILS8_3ELb0ES6_jNS0_17counting_iteratorIjlEEPS9_SE_NS0_5tupleIJPjSE_EEENSF_IJSE_SE_EEES9_SG_JZNS1_25segmented_radix_sort_implINS0_14default_configELb0EPKaPaPKlPlN2at6native12_GLOBAL__N_18offset_tEEE10hipError_tPvRmT1_PNSt15iterator_traitsISY_E10value_typeET2_T3_PNSZ_IS14_E10value_typeET4_jRbjT5_S1A_jjP12ihipStream_tbEUljE_EEESV_SW_SX_S14_S18_S1A_T6_T7_T9_mT8_S1C_bDpT10_ENKUlT_T0_E_clISt17integral_constantIbLb1EES1P_EEDaS1K_S1L_EUlS1K_E_NS1_11comp_targetILNS1_3genE9ELNS1_11target_archE1100ELNS1_3gpuE3ELNS1_3repE0EEENS1_30default_config_static_selectorELNS0_4arch9wavefront6targetE0EEEvSY_.has_recursion, 0
	.set _ZN7rocprim17ROCPRIM_400000_NS6detail17trampoline_kernelINS0_13select_configILj256ELj13ELNS0_17block_load_methodE3ELS4_3ELS4_3ELNS0_20block_scan_algorithmE0ELj4294967295EEENS1_25partition_config_selectorILNS1_17partition_subalgoE3EjNS0_10empty_typeEbEEZZNS1_14partition_implILS8_3ELb0ES6_jNS0_17counting_iteratorIjlEEPS9_SE_NS0_5tupleIJPjSE_EEENSF_IJSE_SE_EEES9_SG_JZNS1_25segmented_radix_sort_implINS0_14default_configELb0EPKaPaPKlPlN2at6native12_GLOBAL__N_18offset_tEEE10hipError_tPvRmT1_PNSt15iterator_traitsISY_E10value_typeET2_T3_PNSZ_IS14_E10value_typeET4_jRbjT5_S1A_jjP12ihipStream_tbEUljE_EEESV_SW_SX_S14_S18_S1A_T6_T7_T9_mT8_S1C_bDpT10_ENKUlT_T0_E_clISt17integral_constantIbLb1EES1P_EEDaS1K_S1L_EUlS1K_E_NS1_11comp_targetILNS1_3genE9ELNS1_11target_archE1100ELNS1_3gpuE3ELNS1_3repE0EEENS1_30default_config_static_selectorELNS0_4arch9wavefront6targetE0EEEvSY_.has_indirect_call, 0
	.section	.AMDGPU.csdata,"",@progbits
; Kernel info:
; codeLenInByte = 0
; TotalNumSgprs: 0
; NumVgprs: 0
; ScratchSize: 0
; MemoryBound: 0
; FloatMode: 240
; IeeeMode: 1
; LDSByteSize: 0 bytes/workgroup (compile time only)
; SGPRBlocks: 0
; VGPRBlocks: 0
; NumSGPRsForWavesPerEU: 1
; NumVGPRsForWavesPerEU: 1
; Occupancy: 16
; WaveLimiterHint : 0
; COMPUTE_PGM_RSRC2:SCRATCH_EN: 0
; COMPUTE_PGM_RSRC2:USER_SGPR: 2
; COMPUTE_PGM_RSRC2:TRAP_HANDLER: 0
; COMPUTE_PGM_RSRC2:TGID_X_EN: 1
; COMPUTE_PGM_RSRC2:TGID_Y_EN: 0
; COMPUTE_PGM_RSRC2:TGID_Z_EN: 0
; COMPUTE_PGM_RSRC2:TIDIG_COMP_CNT: 0
	.section	.text._ZN7rocprim17ROCPRIM_400000_NS6detail17trampoline_kernelINS0_13select_configILj256ELj13ELNS0_17block_load_methodE3ELS4_3ELS4_3ELNS0_20block_scan_algorithmE0ELj4294967295EEENS1_25partition_config_selectorILNS1_17partition_subalgoE3EjNS0_10empty_typeEbEEZZNS1_14partition_implILS8_3ELb0ES6_jNS0_17counting_iteratorIjlEEPS9_SE_NS0_5tupleIJPjSE_EEENSF_IJSE_SE_EEES9_SG_JZNS1_25segmented_radix_sort_implINS0_14default_configELb0EPKaPaPKlPlN2at6native12_GLOBAL__N_18offset_tEEE10hipError_tPvRmT1_PNSt15iterator_traitsISY_E10value_typeET2_T3_PNSZ_IS14_E10value_typeET4_jRbjT5_S1A_jjP12ihipStream_tbEUljE_EEESV_SW_SX_S14_S18_S1A_T6_T7_T9_mT8_S1C_bDpT10_ENKUlT_T0_E_clISt17integral_constantIbLb1EES1P_EEDaS1K_S1L_EUlS1K_E_NS1_11comp_targetILNS1_3genE8ELNS1_11target_archE1030ELNS1_3gpuE2ELNS1_3repE0EEENS1_30default_config_static_selectorELNS0_4arch9wavefront6targetE0EEEvSY_,"axG",@progbits,_ZN7rocprim17ROCPRIM_400000_NS6detail17trampoline_kernelINS0_13select_configILj256ELj13ELNS0_17block_load_methodE3ELS4_3ELS4_3ELNS0_20block_scan_algorithmE0ELj4294967295EEENS1_25partition_config_selectorILNS1_17partition_subalgoE3EjNS0_10empty_typeEbEEZZNS1_14partition_implILS8_3ELb0ES6_jNS0_17counting_iteratorIjlEEPS9_SE_NS0_5tupleIJPjSE_EEENSF_IJSE_SE_EEES9_SG_JZNS1_25segmented_radix_sort_implINS0_14default_configELb0EPKaPaPKlPlN2at6native12_GLOBAL__N_18offset_tEEE10hipError_tPvRmT1_PNSt15iterator_traitsISY_E10value_typeET2_T3_PNSZ_IS14_E10value_typeET4_jRbjT5_S1A_jjP12ihipStream_tbEUljE_EEESV_SW_SX_S14_S18_S1A_T6_T7_T9_mT8_S1C_bDpT10_ENKUlT_T0_E_clISt17integral_constantIbLb1EES1P_EEDaS1K_S1L_EUlS1K_E_NS1_11comp_targetILNS1_3genE8ELNS1_11target_archE1030ELNS1_3gpuE2ELNS1_3repE0EEENS1_30default_config_static_selectorELNS0_4arch9wavefront6targetE0EEEvSY_,comdat
	.globl	_ZN7rocprim17ROCPRIM_400000_NS6detail17trampoline_kernelINS0_13select_configILj256ELj13ELNS0_17block_load_methodE3ELS4_3ELS4_3ELNS0_20block_scan_algorithmE0ELj4294967295EEENS1_25partition_config_selectorILNS1_17partition_subalgoE3EjNS0_10empty_typeEbEEZZNS1_14partition_implILS8_3ELb0ES6_jNS0_17counting_iteratorIjlEEPS9_SE_NS0_5tupleIJPjSE_EEENSF_IJSE_SE_EEES9_SG_JZNS1_25segmented_radix_sort_implINS0_14default_configELb0EPKaPaPKlPlN2at6native12_GLOBAL__N_18offset_tEEE10hipError_tPvRmT1_PNSt15iterator_traitsISY_E10value_typeET2_T3_PNSZ_IS14_E10value_typeET4_jRbjT5_S1A_jjP12ihipStream_tbEUljE_EEESV_SW_SX_S14_S18_S1A_T6_T7_T9_mT8_S1C_bDpT10_ENKUlT_T0_E_clISt17integral_constantIbLb1EES1P_EEDaS1K_S1L_EUlS1K_E_NS1_11comp_targetILNS1_3genE8ELNS1_11target_archE1030ELNS1_3gpuE2ELNS1_3repE0EEENS1_30default_config_static_selectorELNS0_4arch9wavefront6targetE0EEEvSY_ ; -- Begin function _ZN7rocprim17ROCPRIM_400000_NS6detail17trampoline_kernelINS0_13select_configILj256ELj13ELNS0_17block_load_methodE3ELS4_3ELS4_3ELNS0_20block_scan_algorithmE0ELj4294967295EEENS1_25partition_config_selectorILNS1_17partition_subalgoE3EjNS0_10empty_typeEbEEZZNS1_14partition_implILS8_3ELb0ES6_jNS0_17counting_iteratorIjlEEPS9_SE_NS0_5tupleIJPjSE_EEENSF_IJSE_SE_EEES9_SG_JZNS1_25segmented_radix_sort_implINS0_14default_configELb0EPKaPaPKlPlN2at6native12_GLOBAL__N_18offset_tEEE10hipError_tPvRmT1_PNSt15iterator_traitsISY_E10value_typeET2_T3_PNSZ_IS14_E10value_typeET4_jRbjT5_S1A_jjP12ihipStream_tbEUljE_EEESV_SW_SX_S14_S18_S1A_T6_T7_T9_mT8_S1C_bDpT10_ENKUlT_T0_E_clISt17integral_constantIbLb1EES1P_EEDaS1K_S1L_EUlS1K_E_NS1_11comp_targetILNS1_3genE8ELNS1_11target_archE1030ELNS1_3gpuE2ELNS1_3repE0EEENS1_30default_config_static_selectorELNS0_4arch9wavefront6targetE0EEEvSY_
	.p2align	8
	.type	_ZN7rocprim17ROCPRIM_400000_NS6detail17trampoline_kernelINS0_13select_configILj256ELj13ELNS0_17block_load_methodE3ELS4_3ELS4_3ELNS0_20block_scan_algorithmE0ELj4294967295EEENS1_25partition_config_selectorILNS1_17partition_subalgoE3EjNS0_10empty_typeEbEEZZNS1_14partition_implILS8_3ELb0ES6_jNS0_17counting_iteratorIjlEEPS9_SE_NS0_5tupleIJPjSE_EEENSF_IJSE_SE_EEES9_SG_JZNS1_25segmented_radix_sort_implINS0_14default_configELb0EPKaPaPKlPlN2at6native12_GLOBAL__N_18offset_tEEE10hipError_tPvRmT1_PNSt15iterator_traitsISY_E10value_typeET2_T3_PNSZ_IS14_E10value_typeET4_jRbjT5_S1A_jjP12ihipStream_tbEUljE_EEESV_SW_SX_S14_S18_S1A_T6_T7_T9_mT8_S1C_bDpT10_ENKUlT_T0_E_clISt17integral_constantIbLb1EES1P_EEDaS1K_S1L_EUlS1K_E_NS1_11comp_targetILNS1_3genE8ELNS1_11target_archE1030ELNS1_3gpuE2ELNS1_3repE0EEENS1_30default_config_static_selectorELNS0_4arch9wavefront6targetE0EEEvSY_,@function
_ZN7rocprim17ROCPRIM_400000_NS6detail17trampoline_kernelINS0_13select_configILj256ELj13ELNS0_17block_load_methodE3ELS4_3ELS4_3ELNS0_20block_scan_algorithmE0ELj4294967295EEENS1_25partition_config_selectorILNS1_17partition_subalgoE3EjNS0_10empty_typeEbEEZZNS1_14partition_implILS8_3ELb0ES6_jNS0_17counting_iteratorIjlEEPS9_SE_NS0_5tupleIJPjSE_EEENSF_IJSE_SE_EEES9_SG_JZNS1_25segmented_radix_sort_implINS0_14default_configELb0EPKaPaPKlPlN2at6native12_GLOBAL__N_18offset_tEEE10hipError_tPvRmT1_PNSt15iterator_traitsISY_E10value_typeET2_T3_PNSZ_IS14_E10value_typeET4_jRbjT5_S1A_jjP12ihipStream_tbEUljE_EEESV_SW_SX_S14_S18_S1A_T6_T7_T9_mT8_S1C_bDpT10_ENKUlT_T0_E_clISt17integral_constantIbLb1EES1P_EEDaS1K_S1L_EUlS1K_E_NS1_11comp_targetILNS1_3genE8ELNS1_11target_archE1030ELNS1_3gpuE2ELNS1_3repE0EEENS1_30default_config_static_selectorELNS0_4arch9wavefront6targetE0EEEvSY_: ; @_ZN7rocprim17ROCPRIM_400000_NS6detail17trampoline_kernelINS0_13select_configILj256ELj13ELNS0_17block_load_methodE3ELS4_3ELS4_3ELNS0_20block_scan_algorithmE0ELj4294967295EEENS1_25partition_config_selectorILNS1_17partition_subalgoE3EjNS0_10empty_typeEbEEZZNS1_14partition_implILS8_3ELb0ES6_jNS0_17counting_iteratorIjlEEPS9_SE_NS0_5tupleIJPjSE_EEENSF_IJSE_SE_EEES9_SG_JZNS1_25segmented_radix_sort_implINS0_14default_configELb0EPKaPaPKlPlN2at6native12_GLOBAL__N_18offset_tEEE10hipError_tPvRmT1_PNSt15iterator_traitsISY_E10value_typeET2_T3_PNSZ_IS14_E10value_typeET4_jRbjT5_S1A_jjP12ihipStream_tbEUljE_EEESV_SW_SX_S14_S18_S1A_T6_T7_T9_mT8_S1C_bDpT10_ENKUlT_T0_E_clISt17integral_constantIbLb1EES1P_EEDaS1K_S1L_EUlS1K_E_NS1_11comp_targetILNS1_3genE8ELNS1_11target_archE1030ELNS1_3gpuE2ELNS1_3repE0EEENS1_30default_config_static_selectorELNS0_4arch9wavefront6targetE0EEEvSY_
; %bb.0:
	.section	.rodata,"a",@progbits
	.p2align	6, 0x0
	.amdhsa_kernel _ZN7rocprim17ROCPRIM_400000_NS6detail17trampoline_kernelINS0_13select_configILj256ELj13ELNS0_17block_load_methodE3ELS4_3ELS4_3ELNS0_20block_scan_algorithmE0ELj4294967295EEENS1_25partition_config_selectorILNS1_17partition_subalgoE3EjNS0_10empty_typeEbEEZZNS1_14partition_implILS8_3ELb0ES6_jNS0_17counting_iteratorIjlEEPS9_SE_NS0_5tupleIJPjSE_EEENSF_IJSE_SE_EEES9_SG_JZNS1_25segmented_radix_sort_implINS0_14default_configELb0EPKaPaPKlPlN2at6native12_GLOBAL__N_18offset_tEEE10hipError_tPvRmT1_PNSt15iterator_traitsISY_E10value_typeET2_T3_PNSZ_IS14_E10value_typeET4_jRbjT5_S1A_jjP12ihipStream_tbEUljE_EEESV_SW_SX_S14_S18_S1A_T6_T7_T9_mT8_S1C_bDpT10_ENKUlT_T0_E_clISt17integral_constantIbLb1EES1P_EEDaS1K_S1L_EUlS1K_E_NS1_11comp_targetILNS1_3genE8ELNS1_11target_archE1030ELNS1_3gpuE2ELNS1_3repE0EEENS1_30default_config_static_selectorELNS0_4arch9wavefront6targetE0EEEvSY_
		.amdhsa_group_segment_fixed_size 0
		.amdhsa_private_segment_fixed_size 0
		.amdhsa_kernarg_size 152
		.amdhsa_user_sgpr_count 2
		.amdhsa_user_sgpr_dispatch_ptr 0
		.amdhsa_user_sgpr_queue_ptr 0
		.amdhsa_user_sgpr_kernarg_segment_ptr 1
		.amdhsa_user_sgpr_dispatch_id 0
		.amdhsa_user_sgpr_private_segment_size 0
		.amdhsa_wavefront_size32 1
		.amdhsa_uses_dynamic_stack 0
		.amdhsa_enable_private_segment 0
		.amdhsa_system_sgpr_workgroup_id_x 1
		.amdhsa_system_sgpr_workgroup_id_y 0
		.amdhsa_system_sgpr_workgroup_id_z 0
		.amdhsa_system_sgpr_workgroup_info 0
		.amdhsa_system_vgpr_workitem_id 0
		.amdhsa_next_free_vgpr 1
		.amdhsa_next_free_sgpr 1
		.amdhsa_reserve_vcc 0
		.amdhsa_float_round_mode_32 0
		.amdhsa_float_round_mode_16_64 0
		.amdhsa_float_denorm_mode_32 3
		.amdhsa_float_denorm_mode_16_64 3
		.amdhsa_fp16_overflow 0
		.amdhsa_workgroup_processor_mode 1
		.amdhsa_memory_ordered 1
		.amdhsa_forward_progress 1
		.amdhsa_inst_pref_size 0
		.amdhsa_round_robin_scheduling 0
		.amdhsa_exception_fp_ieee_invalid_op 0
		.amdhsa_exception_fp_denorm_src 0
		.amdhsa_exception_fp_ieee_div_zero 0
		.amdhsa_exception_fp_ieee_overflow 0
		.amdhsa_exception_fp_ieee_underflow 0
		.amdhsa_exception_fp_ieee_inexact 0
		.amdhsa_exception_int_div_zero 0
	.end_amdhsa_kernel
	.section	.text._ZN7rocprim17ROCPRIM_400000_NS6detail17trampoline_kernelINS0_13select_configILj256ELj13ELNS0_17block_load_methodE3ELS4_3ELS4_3ELNS0_20block_scan_algorithmE0ELj4294967295EEENS1_25partition_config_selectorILNS1_17partition_subalgoE3EjNS0_10empty_typeEbEEZZNS1_14partition_implILS8_3ELb0ES6_jNS0_17counting_iteratorIjlEEPS9_SE_NS0_5tupleIJPjSE_EEENSF_IJSE_SE_EEES9_SG_JZNS1_25segmented_radix_sort_implINS0_14default_configELb0EPKaPaPKlPlN2at6native12_GLOBAL__N_18offset_tEEE10hipError_tPvRmT1_PNSt15iterator_traitsISY_E10value_typeET2_T3_PNSZ_IS14_E10value_typeET4_jRbjT5_S1A_jjP12ihipStream_tbEUljE_EEESV_SW_SX_S14_S18_S1A_T6_T7_T9_mT8_S1C_bDpT10_ENKUlT_T0_E_clISt17integral_constantIbLb1EES1P_EEDaS1K_S1L_EUlS1K_E_NS1_11comp_targetILNS1_3genE8ELNS1_11target_archE1030ELNS1_3gpuE2ELNS1_3repE0EEENS1_30default_config_static_selectorELNS0_4arch9wavefront6targetE0EEEvSY_,"axG",@progbits,_ZN7rocprim17ROCPRIM_400000_NS6detail17trampoline_kernelINS0_13select_configILj256ELj13ELNS0_17block_load_methodE3ELS4_3ELS4_3ELNS0_20block_scan_algorithmE0ELj4294967295EEENS1_25partition_config_selectorILNS1_17partition_subalgoE3EjNS0_10empty_typeEbEEZZNS1_14partition_implILS8_3ELb0ES6_jNS0_17counting_iteratorIjlEEPS9_SE_NS0_5tupleIJPjSE_EEENSF_IJSE_SE_EEES9_SG_JZNS1_25segmented_radix_sort_implINS0_14default_configELb0EPKaPaPKlPlN2at6native12_GLOBAL__N_18offset_tEEE10hipError_tPvRmT1_PNSt15iterator_traitsISY_E10value_typeET2_T3_PNSZ_IS14_E10value_typeET4_jRbjT5_S1A_jjP12ihipStream_tbEUljE_EEESV_SW_SX_S14_S18_S1A_T6_T7_T9_mT8_S1C_bDpT10_ENKUlT_T0_E_clISt17integral_constantIbLb1EES1P_EEDaS1K_S1L_EUlS1K_E_NS1_11comp_targetILNS1_3genE8ELNS1_11target_archE1030ELNS1_3gpuE2ELNS1_3repE0EEENS1_30default_config_static_selectorELNS0_4arch9wavefront6targetE0EEEvSY_,comdat
.Lfunc_end376:
	.size	_ZN7rocprim17ROCPRIM_400000_NS6detail17trampoline_kernelINS0_13select_configILj256ELj13ELNS0_17block_load_methodE3ELS4_3ELS4_3ELNS0_20block_scan_algorithmE0ELj4294967295EEENS1_25partition_config_selectorILNS1_17partition_subalgoE3EjNS0_10empty_typeEbEEZZNS1_14partition_implILS8_3ELb0ES6_jNS0_17counting_iteratorIjlEEPS9_SE_NS0_5tupleIJPjSE_EEENSF_IJSE_SE_EEES9_SG_JZNS1_25segmented_radix_sort_implINS0_14default_configELb0EPKaPaPKlPlN2at6native12_GLOBAL__N_18offset_tEEE10hipError_tPvRmT1_PNSt15iterator_traitsISY_E10value_typeET2_T3_PNSZ_IS14_E10value_typeET4_jRbjT5_S1A_jjP12ihipStream_tbEUljE_EEESV_SW_SX_S14_S18_S1A_T6_T7_T9_mT8_S1C_bDpT10_ENKUlT_T0_E_clISt17integral_constantIbLb1EES1P_EEDaS1K_S1L_EUlS1K_E_NS1_11comp_targetILNS1_3genE8ELNS1_11target_archE1030ELNS1_3gpuE2ELNS1_3repE0EEENS1_30default_config_static_selectorELNS0_4arch9wavefront6targetE0EEEvSY_, .Lfunc_end376-_ZN7rocprim17ROCPRIM_400000_NS6detail17trampoline_kernelINS0_13select_configILj256ELj13ELNS0_17block_load_methodE3ELS4_3ELS4_3ELNS0_20block_scan_algorithmE0ELj4294967295EEENS1_25partition_config_selectorILNS1_17partition_subalgoE3EjNS0_10empty_typeEbEEZZNS1_14partition_implILS8_3ELb0ES6_jNS0_17counting_iteratorIjlEEPS9_SE_NS0_5tupleIJPjSE_EEENSF_IJSE_SE_EEES9_SG_JZNS1_25segmented_radix_sort_implINS0_14default_configELb0EPKaPaPKlPlN2at6native12_GLOBAL__N_18offset_tEEE10hipError_tPvRmT1_PNSt15iterator_traitsISY_E10value_typeET2_T3_PNSZ_IS14_E10value_typeET4_jRbjT5_S1A_jjP12ihipStream_tbEUljE_EEESV_SW_SX_S14_S18_S1A_T6_T7_T9_mT8_S1C_bDpT10_ENKUlT_T0_E_clISt17integral_constantIbLb1EES1P_EEDaS1K_S1L_EUlS1K_E_NS1_11comp_targetILNS1_3genE8ELNS1_11target_archE1030ELNS1_3gpuE2ELNS1_3repE0EEENS1_30default_config_static_selectorELNS0_4arch9wavefront6targetE0EEEvSY_
                                        ; -- End function
	.set _ZN7rocprim17ROCPRIM_400000_NS6detail17trampoline_kernelINS0_13select_configILj256ELj13ELNS0_17block_load_methodE3ELS4_3ELS4_3ELNS0_20block_scan_algorithmE0ELj4294967295EEENS1_25partition_config_selectorILNS1_17partition_subalgoE3EjNS0_10empty_typeEbEEZZNS1_14partition_implILS8_3ELb0ES6_jNS0_17counting_iteratorIjlEEPS9_SE_NS0_5tupleIJPjSE_EEENSF_IJSE_SE_EEES9_SG_JZNS1_25segmented_radix_sort_implINS0_14default_configELb0EPKaPaPKlPlN2at6native12_GLOBAL__N_18offset_tEEE10hipError_tPvRmT1_PNSt15iterator_traitsISY_E10value_typeET2_T3_PNSZ_IS14_E10value_typeET4_jRbjT5_S1A_jjP12ihipStream_tbEUljE_EEESV_SW_SX_S14_S18_S1A_T6_T7_T9_mT8_S1C_bDpT10_ENKUlT_T0_E_clISt17integral_constantIbLb1EES1P_EEDaS1K_S1L_EUlS1K_E_NS1_11comp_targetILNS1_3genE8ELNS1_11target_archE1030ELNS1_3gpuE2ELNS1_3repE0EEENS1_30default_config_static_selectorELNS0_4arch9wavefront6targetE0EEEvSY_.num_vgpr, 0
	.set _ZN7rocprim17ROCPRIM_400000_NS6detail17trampoline_kernelINS0_13select_configILj256ELj13ELNS0_17block_load_methodE3ELS4_3ELS4_3ELNS0_20block_scan_algorithmE0ELj4294967295EEENS1_25partition_config_selectorILNS1_17partition_subalgoE3EjNS0_10empty_typeEbEEZZNS1_14partition_implILS8_3ELb0ES6_jNS0_17counting_iteratorIjlEEPS9_SE_NS0_5tupleIJPjSE_EEENSF_IJSE_SE_EEES9_SG_JZNS1_25segmented_radix_sort_implINS0_14default_configELb0EPKaPaPKlPlN2at6native12_GLOBAL__N_18offset_tEEE10hipError_tPvRmT1_PNSt15iterator_traitsISY_E10value_typeET2_T3_PNSZ_IS14_E10value_typeET4_jRbjT5_S1A_jjP12ihipStream_tbEUljE_EEESV_SW_SX_S14_S18_S1A_T6_T7_T9_mT8_S1C_bDpT10_ENKUlT_T0_E_clISt17integral_constantIbLb1EES1P_EEDaS1K_S1L_EUlS1K_E_NS1_11comp_targetILNS1_3genE8ELNS1_11target_archE1030ELNS1_3gpuE2ELNS1_3repE0EEENS1_30default_config_static_selectorELNS0_4arch9wavefront6targetE0EEEvSY_.num_agpr, 0
	.set _ZN7rocprim17ROCPRIM_400000_NS6detail17trampoline_kernelINS0_13select_configILj256ELj13ELNS0_17block_load_methodE3ELS4_3ELS4_3ELNS0_20block_scan_algorithmE0ELj4294967295EEENS1_25partition_config_selectorILNS1_17partition_subalgoE3EjNS0_10empty_typeEbEEZZNS1_14partition_implILS8_3ELb0ES6_jNS0_17counting_iteratorIjlEEPS9_SE_NS0_5tupleIJPjSE_EEENSF_IJSE_SE_EEES9_SG_JZNS1_25segmented_radix_sort_implINS0_14default_configELb0EPKaPaPKlPlN2at6native12_GLOBAL__N_18offset_tEEE10hipError_tPvRmT1_PNSt15iterator_traitsISY_E10value_typeET2_T3_PNSZ_IS14_E10value_typeET4_jRbjT5_S1A_jjP12ihipStream_tbEUljE_EEESV_SW_SX_S14_S18_S1A_T6_T7_T9_mT8_S1C_bDpT10_ENKUlT_T0_E_clISt17integral_constantIbLb1EES1P_EEDaS1K_S1L_EUlS1K_E_NS1_11comp_targetILNS1_3genE8ELNS1_11target_archE1030ELNS1_3gpuE2ELNS1_3repE0EEENS1_30default_config_static_selectorELNS0_4arch9wavefront6targetE0EEEvSY_.numbered_sgpr, 0
	.set _ZN7rocprim17ROCPRIM_400000_NS6detail17trampoline_kernelINS0_13select_configILj256ELj13ELNS0_17block_load_methodE3ELS4_3ELS4_3ELNS0_20block_scan_algorithmE0ELj4294967295EEENS1_25partition_config_selectorILNS1_17partition_subalgoE3EjNS0_10empty_typeEbEEZZNS1_14partition_implILS8_3ELb0ES6_jNS0_17counting_iteratorIjlEEPS9_SE_NS0_5tupleIJPjSE_EEENSF_IJSE_SE_EEES9_SG_JZNS1_25segmented_radix_sort_implINS0_14default_configELb0EPKaPaPKlPlN2at6native12_GLOBAL__N_18offset_tEEE10hipError_tPvRmT1_PNSt15iterator_traitsISY_E10value_typeET2_T3_PNSZ_IS14_E10value_typeET4_jRbjT5_S1A_jjP12ihipStream_tbEUljE_EEESV_SW_SX_S14_S18_S1A_T6_T7_T9_mT8_S1C_bDpT10_ENKUlT_T0_E_clISt17integral_constantIbLb1EES1P_EEDaS1K_S1L_EUlS1K_E_NS1_11comp_targetILNS1_3genE8ELNS1_11target_archE1030ELNS1_3gpuE2ELNS1_3repE0EEENS1_30default_config_static_selectorELNS0_4arch9wavefront6targetE0EEEvSY_.num_named_barrier, 0
	.set _ZN7rocprim17ROCPRIM_400000_NS6detail17trampoline_kernelINS0_13select_configILj256ELj13ELNS0_17block_load_methodE3ELS4_3ELS4_3ELNS0_20block_scan_algorithmE0ELj4294967295EEENS1_25partition_config_selectorILNS1_17partition_subalgoE3EjNS0_10empty_typeEbEEZZNS1_14partition_implILS8_3ELb0ES6_jNS0_17counting_iteratorIjlEEPS9_SE_NS0_5tupleIJPjSE_EEENSF_IJSE_SE_EEES9_SG_JZNS1_25segmented_radix_sort_implINS0_14default_configELb0EPKaPaPKlPlN2at6native12_GLOBAL__N_18offset_tEEE10hipError_tPvRmT1_PNSt15iterator_traitsISY_E10value_typeET2_T3_PNSZ_IS14_E10value_typeET4_jRbjT5_S1A_jjP12ihipStream_tbEUljE_EEESV_SW_SX_S14_S18_S1A_T6_T7_T9_mT8_S1C_bDpT10_ENKUlT_T0_E_clISt17integral_constantIbLb1EES1P_EEDaS1K_S1L_EUlS1K_E_NS1_11comp_targetILNS1_3genE8ELNS1_11target_archE1030ELNS1_3gpuE2ELNS1_3repE0EEENS1_30default_config_static_selectorELNS0_4arch9wavefront6targetE0EEEvSY_.private_seg_size, 0
	.set _ZN7rocprim17ROCPRIM_400000_NS6detail17trampoline_kernelINS0_13select_configILj256ELj13ELNS0_17block_load_methodE3ELS4_3ELS4_3ELNS0_20block_scan_algorithmE0ELj4294967295EEENS1_25partition_config_selectorILNS1_17partition_subalgoE3EjNS0_10empty_typeEbEEZZNS1_14partition_implILS8_3ELb0ES6_jNS0_17counting_iteratorIjlEEPS9_SE_NS0_5tupleIJPjSE_EEENSF_IJSE_SE_EEES9_SG_JZNS1_25segmented_radix_sort_implINS0_14default_configELb0EPKaPaPKlPlN2at6native12_GLOBAL__N_18offset_tEEE10hipError_tPvRmT1_PNSt15iterator_traitsISY_E10value_typeET2_T3_PNSZ_IS14_E10value_typeET4_jRbjT5_S1A_jjP12ihipStream_tbEUljE_EEESV_SW_SX_S14_S18_S1A_T6_T7_T9_mT8_S1C_bDpT10_ENKUlT_T0_E_clISt17integral_constantIbLb1EES1P_EEDaS1K_S1L_EUlS1K_E_NS1_11comp_targetILNS1_3genE8ELNS1_11target_archE1030ELNS1_3gpuE2ELNS1_3repE0EEENS1_30default_config_static_selectorELNS0_4arch9wavefront6targetE0EEEvSY_.uses_vcc, 0
	.set _ZN7rocprim17ROCPRIM_400000_NS6detail17trampoline_kernelINS0_13select_configILj256ELj13ELNS0_17block_load_methodE3ELS4_3ELS4_3ELNS0_20block_scan_algorithmE0ELj4294967295EEENS1_25partition_config_selectorILNS1_17partition_subalgoE3EjNS0_10empty_typeEbEEZZNS1_14partition_implILS8_3ELb0ES6_jNS0_17counting_iteratorIjlEEPS9_SE_NS0_5tupleIJPjSE_EEENSF_IJSE_SE_EEES9_SG_JZNS1_25segmented_radix_sort_implINS0_14default_configELb0EPKaPaPKlPlN2at6native12_GLOBAL__N_18offset_tEEE10hipError_tPvRmT1_PNSt15iterator_traitsISY_E10value_typeET2_T3_PNSZ_IS14_E10value_typeET4_jRbjT5_S1A_jjP12ihipStream_tbEUljE_EEESV_SW_SX_S14_S18_S1A_T6_T7_T9_mT8_S1C_bDpT10_ENKUlT_T0_E_clISt17integral_constantIbLb1EES1P_EEDaS1K_S1L_EUlS1K_E_NS1_11comp_targetILNS1_3genE8ELNS1_11target_archE1030ELNS1_3gpuE2ELNS1_3repE0EEENS1_30default_config_static_selectorELNS0_4arch9wavefront6targetE0EEEvSY_.uses_flat_scratch, 0
	.set _ZN7rocprim17ROCPRIM_400000_NS6detail17trampoline_kernelINS0_13select_configILj256ELj13ELNS0_17block_load_methodE3ELS4_3ELS4_3ELNS0_20block_scan_algorithmE0ELj4294967295EEENS1_25partition_config_selectorILNS1_17partition_subalgoE3EjNS0_10empty_typeEbEEZZNS1_14partition_implILS8_3ELb0ES6_jNS0_17counting_iteratorIjlEEPS9_SE_NS0_5tupleIJPjSE_EEENSF_IJSE_SE_EEES9_SG_JZNS1_25segmented_radix_sort_implINS0_14default_configELb0EPKaPaPKlPlN2at6native12_GLOBAL__N_18offset_tEEE10hipError_tPvRmT1_PNSt15iterator_traitsISY_E10value_typeET2_T3_PNSZ_IS14_E10value_typeET4_jRbjT5_S1A_jjP12ihipStream_tbEUljE_EEESV_SW_SX_S14_S18_S1A_T6_T7_T9_mT8_S1C_bDpT10_ENKUlT_T0_E_clISt17integral_constantIbLb1EES1P_EEDaS1K_S1L_EUlS1K_E_NS1_11comp_targetILNS1_3genE8ELNS1_11target_archE1030ELNS1_3gpuE2ELNS1_3repE0EEENS1_30default_config_static_selectorELNS0_4arch9wavefront6targetE0EEEvSY_.has_dyn_sized_stack, 0
	.set _ZN7rocprim17ROCPRIM_400000_NS6detail17trampoline_kernelINS0_13select_configILj256ELj13ELNS0_17block_load_methodE3ELS4_3ELS4_3ELNS0_20block_scan_algorithmE0ELj4294967295EEENS1_25partition_config_selectorILNS1_17partition_subalgoE3EjNS0_10empty_typeEbEEZZNS1_14partition_implILS8_3ELb0ES6_jNS0_17counting_iteratorIjlEEPS9_SE_NS0_5tupleIJPjSE_EEENSF_IJSE_SE_EEES9_SG_JZNS1_25segmented_radix_sort_implINS0_14default_configELb0EPKaPaPKlPlN2at6native12_GLOBAL__N_18offset_tEEE10hipError_tPvRmT1_PNSt15iterator_traitsISY_E10value_typeET2_T3_PNSZ_IS14_E10value_typeET4_jRbjT5_S1A_jjP12ihipStream_tbEUljE_EEESV_SW_SX_S14_S18_S1A_T6_T7_T9_mT8_S1C_bDpT10_ENKUlT_T0_E_clISt17integral_constantIbLb1EES1P_EEDaS1K_S1L_EUlS1K_E_NS1_11comp_targetILNS1_3genE8ELNS1_11target_archE1030ELNS1_3gpuE2ELNS1_3repE0EEENS1_30default_config_static_selectorELNS0_4arch9wavefront6targetE0EEEvSY_.has_recursion, 0
	.set _ZN7rocprim17ROCPRIM_400000_NS6detail17trampoline_kernelINS0_13select_configILj256ELj13ELNS0_17block_load_methodE3ELS4_3ELS4_3ELNS0_20block_scan_algorithmE0ELj4294967295EEENS1_25partition_config_selectorILNS1_17partition_subalgoE3EjNS0_10empty_typeEbEEZZNS1_14partition_implILS8_3ELb0ES6_jNS0_17counting_iteratorIjlEEPS9_SE_NS0_5tupleIJPjSE_EEENSF_IJSE_SE_EEES9_SG_JZNS1_25segmented_radix_sort_implINS0_14default_configELb0EPKaPaPKlPlN2at6native12_GLOBAL__N_18offset_tEEE10hipError_tPvRmT1_PNSt15iterator_traitsISY_E10value_typeET2_T3_PNSZ_IS14_E10value_typeET4_jRbjT5_S1A_jjP12ihipStream_tbEUljE_EEESV_SW_SX_S14_S18_S1A_T6_T7_T9_mT8_S1C_bDpT10_ENKUlT_T0_E_clISt17integral_constantIbLb1EES1P_EEDaS1K_S1L_EUlS1K_E_NS1_11comp_targetILNS1_3genE8ELNS1_11target_archE1030ELNS1_3gpuE2ELNS1_3repE0EEENS1_30default_config_static_selectorELNS0_4arch9wavefront6targetE0EEEvSY_.has_indirect_call, 0
	.section	.AMDGPU.csdata,"",@progbits
; Kernel info:
; codeLenInByte = 0
; TotalNumSgprs: 0
; NumVgprs: 0
; ScratchSize: 0
; MemoryBound: 0
; FloatMode: 240
; IeeeMode: 1
; LDSByteSize: 0 bytes/workgroup (compile time only)
; SGPRBlocks: 0
; VGPRBlocks: 0
; NumSGPRsForWavesPerEU: 1
; NumVGPRsForWavesPerEU: 1
; Occupancy: 16
; WaveLimiterHint : 0
; COMPUTE_PGM_RSRC2:SCRATCH_EN: 0
; COMPUTE_PGM_RSRC2:USER_SGPR: 2
; COMPUTE_PGM_RSRC2:TRAP_HANDLER: 0
; COMPUTE_PGM_RSRC2:TGID_X_EN: 1
; COMPUTE_PGM_RSRC2:TGID_Y_EN: 0
; COMPUTE_PGM_RSRC2:TGID_Z_EN: 0
; COMPUTE_PGM_RSRC2:TIDIG_COMP_CNT: 0
	.section	.text._ZN7rocprim17ROCPRIM_400000_NS6detail17trampoline_kernelINS0_13select_configILj256ELj13ELNS0_17block_load_methodE3ELS4_3ELS4_3ELNS0_20block_scan_algorithmE0ELj4294967295EEENS1_25partition_config_selectorILNS1_17partition_subalgoE3EjNS0_10empty_typeEbEEZZNS1_14partition_implILS8_3ELb0ES6_jNS0_17counting_iteratorIjlEEPS9_SE_NS0_5tupleIJPjSE_EEENSF_IJSE_SE_EEES9_SG_JZNS1_25segmented_radix_sort_implINS0_14default_configELb0EPKaPaPKlPlN2at6native12_GLOBAL__N_18offset_tEEE10hipError_tPvRmT1_PNSt15iterator_traitsISY_E10value_typeET2_T3_PNSZ_IS14_E10value_typeET4_jRbjT5_S1A_jjP12ihipStream_tbEUljE_EEESV_SW_SX_S14_S18_S1A_T6_T7_T9_mT8_S1C_bDpT10_ENKUlT_T0_E_clISt17integral_constantIbLb1EES1O_IbLb0EEEEDaS1K_S1L_EUlS1K_E_NS1_11comp_targetILNS1_3genE0ELNS1_11target_archE4294967295ELNS1_3gpuE0ELNS1_3repE0EEENS1_30default_config_static_selectorELNS0_4arch9wavefront6targetE0EEEvSY_,"axG",@progbits,_ZN7rocprim17ROCPRIM_400000_NS6detail17trampoline_kernelINS0_13select_configILj256ELj13ELNS0_17block_load_methodE3ELS4_3ELS4_3ELNS0_20block_scan_algorithmE0ELj4294967295EEENS1_25partition_config_selectorILNS1_17partition_subalgoE3EjNS0_10empty_typeEbEEZZNS1_14partition_implILS8_3ELb0ES6_jNS0_17counting_iteratorIjlEEPS9_SE_NS0_5tupleIJPjSE_EEENSF_IJSE_SE_EEES9_SG_JZNS1_25segmented_radix_sort_implINS0_14default_configELb0EPKaPaPKlPlN2at6native12_GLOBAL__N_18offset_tEEE10hipError_tPvRmT1_PNSt15iterator_traitsISY_E10value_typeET2_T3_PNSZ_IS14_E10value_typeET4_jRbjT5_S1A_jjP12ihipStream_tbEUljE_EEESV_SW_SX_S14_S18_S1A_T6_T7_T9_mT8_S1C_bDpT10_ENKUlT_T0_E_clISt17integral_constantIbLb1EES1O_IbLb0EEEEDaS1K_S1L_EUlS1K_E_NS1_11comp_targetILNS1_3genE0ELNS1_11target_archE4294967295ELNS1_3gpuE0ELNS1_3repE0EEENS1_30default_config_static_selectorELNS0_4arch9wavefront6targetE0EEEvSY_,comdat
	.globl	_ZN7rocprim17ROCPRIM_400000_NS6detail17trampoline_kernelINS0_13select_configILj256ELj13ELNS0_17block_load_methodE3ELS4_3ELS4_3ELNS0_20block_scan_algorithmE0ELj4294967295EEENS1_25partition_config_selectorILNS1_17partition_subalgoE3EjNS0_10empty_typeEbEEZZNS1_14partition_implILS8_3ELb0ES6_jNS0_17counting_iteratorIjlEEPS9_SE_NS0_5tupleIJPjSE_EEENSF_IJSE_SE_EEES9_SG_JZNS1_25segmented_radix_sort_implINS0_14default_configELb0EPKaPaPKlPlN2at6native12_GLOBAL__N_18offset_tEEE10hipError_tPvRmT1_PNSt15iterator_traitsISY_E10value_typeET2_T3_PNSZ_IS14_E10value_typeET4_jRbjT5_S1A_jjP12ihipStream_tbEUljE_EEESV_SW_SX_S14_S18_S1A_T6_T7_T9_mT8_S1C_bDpT10_ENKUlT_T0_E_clISt17integral_constantIbLb1EES1O_IbLb0EEEEDaS1K_S1L_EUlS1K_E_NS1_11comp_targetILNS1_3genE0ELNS1_11target_archE4294967295ELNS1_3gpuE0ELNS1_3repE0EEENS1_30default_config_static_selectorELNS0_4arch9wavefront6targetE0EEEvSY_ ; -- Begin function _ZN7rocprim17ROCPRIM_400000_NS6detail17trampoline_kernelINS0_13select_configILj256ELj13ELNS0_17block_load_methodE3ELS4_3ELS4_3ELNS0_20block_scan_algorithmE0ELj4294967295EEENS1_25partition_config_selectorILNS1_17partition_subalgoE3EjNS0_10empty_typeEbEEZZNS1_14partition_implILS8_3ELb0ES6_jNS0_17counting_iteratorIjlEEPS9_SE_NS0_5tupleIJPjSE_EEENSF_IJSE_SE_EEES9_SG_JZNS1_25segmented_radix_sort_implINS0_14default_configELb0EPKaPaPKlPlN2at6native12_GLOBAL__N_18offset_tEEE10hipError_tPvRmT1_PNSt15iterator_traitsISY_E10value_typeET2_T3_PNSZ_IS14_E10value_typeET4_jRbjT5_S1A_jjP12ihipStream_tbEUljE_EEESV_SW_SX_S14_S18_S1A_T6_T7_T9_mT8_S1C_bDpT10_ENKUlT_T0_E_clISt17integral_constantIbLb1EES1O_IbLb0EEEEDaS1K_S1L_EUlS1K_E_NS1_11comp_targetILNS1_3genE0ELNS1_11target_archE4294967295ELNS1_3gpuE0ELNS1_3repE0EEENS1_30default_config_static_selectorELNS0_4arch9wavefront6targetE0EEEvSY_
	.p2align	8
	.type	_ZN7rocprim17ROCPRIM_400000_NS6detail17trampoline_kernelINS0_13select_configILj256ELj13ELNS0_17block_load_methodE3ELS4_3ELS4_3ELNS0_20block_scan_algorithmE0ELj4294967295EEENS1_25partition_config_selectorILNS1_17partition_subalgoE3EjNS0_10empty_typeEbEEZZNS1_14partition_implILS8_3ELb0ES6_jNS0_17counting_iteratorIjlEEPS9_SE_NS0_5tupleIJPjSE_EEENSF_IJSE_SE_EEES9_SG_JZNS1_25segmented_radix_sort_implINS0_14default_configELb0EPKaPaPKlPlN2at6native12_GLOBAL__N_18offset_tEEE10hipError_tPvRmT1_PNSt15iterator_traitsISY_E10value_typeET2_T3_PNSZ_IS14_E10value_typeET4_jRbjT5_S1A_jjP12ihipStream_tbEUljE_EEESV_SW_SX_S14_S18_S1A_T6_T7_T9_mT8_S1C_bDpT10_ENKUlT_T0_E_clISt17integral_constantIbLb1EES1O_IbLb0EEEEDaS1K_S1L_EUlS1K_E_NS1_11comp_targetILNS1_3genE0ELNS1_11target_archE4294967295ELNS1_3gpuE0ELNS1_3repE0EEENS1_30default_config_static_selectorELNS0_4arch9wavefront6targetE0EEEvSY_,@function
_ZN7rocprim17ROCPRIM_400000_NS6detail17trampoline_kernelINS0_13select_configILj256ELj13ELNS0_17block_load_methodE3ELS4_3ELS4_3ELNS0_20block_scan_algorithmE0ELj4294967295EEENS1_25partition_config_selectorILNS1_17partition_subalgoE3EjNS0_10empty_typeEbEEZZNS1_14partition_implILS8_3ELb0ES6_jNS0_17counting_iteratorIjlEEPS9_SE_NS0_5tupleIJPjSE_EEENSF_IJSE_SE_EEES9_SG_JZNS1_25segmented_radix_sort_implINS0_14default_configELb0EPKaPaPKlPlN2at6native12_GLOBAL__N_18offset_tEEE10hipError_tPvRmT1_PNSt15iterator_traitsISY_E10value_typeET2_T3_PNSZ_IS14_E10value_typeET4_jRbjT5_S1A_jjP12ihipStream_tbEUljE_EEESV_SW_SX_S14_S18_S1A_T6_T7_T9_mT8_S1C_bDpT10_ENKUlT_T0_E_clISt17integral_constantIbLb1EES1O_IbLb0EEEEDaS1K_S1L_EUlS1K_E_NS1_11comp_targetILNS1_3genE0ELNS1_11target_archE4294967295ELNS1_3gpuE0ELNS1_3repE0EEENS1_30default_config_static_selectorELNS0_4arch9wavefront6targetE0EEEvSY_: ; @_ZN7rocprim17ROCPRIM_400000_NS6detail17trampoline_kernelINS0_13select_configILj256ELj13ELNS0_17block_load_methodE3ELS4_3ELS4_3ELNS0_20block_scan_algorithmE0ELj4294967295EEENS1_25partition_config_selectorILNS1_17partition_subalgoE3EjNS0_10empty_typeEbEEZZNS1_14partition_implILS8_3ELb0ES6_jNS0_17counting_iteratorIjlEEPS9_SE_NS0_5tupleIJPjSE_EEENSF_IJSE_SE_EEES9_SG_JZNS1_25segmented_radix_sort_implINS0_14default_configELb0EPKaPaPKlPlN2at6native12_GLOBAL__N_18offset_tEEE10hipError_tPvRmT1_PNSt15iterator_traitsISY_E10value_typeET2_T3_PNSZ_IS14_E10value_typeET4_jRbjT5_S1A_jjP12ihipStream_tbEUljE_EEESV_SW_SX_S14_S18_S1A_T6_T7_T9_mT8_S1C_bDpT10_ENKUlT_T0_E_clISt17integral_constantIbLb1EES1O_IbLb0EEEEDaS1K_S1L_EUlS1K_E_NS1_11comp_targetILNS1_3genE0ELNS1_11target_archE4294967295ELNS1_3gpuE0ELNS1_3repE0EEENS1_30default_config_static_selectorELNS0_4arch9wavefront6targetE0EEEvSY_
; %bb.0:
	.section	.rodata,"a",@progbits
	.p2align	6, 0x0
	.amdhsa_kernel _ZN7rocprim17ROCPRIM_400000_NS6detail17trampoline_kernelINS0_13select_configILj256ELj13ELNS0_17block_load_methodE3ELS4_3ELS4_3ELNS0_20block_scan_algorithmE0ELj4294967295EEENS1_25partition_config_selectorILNS1_17partition_subalgoE3EjNS0_10empty_typeEbEEZZNS1_14partition_implILS8_3ELb0ES6_jNS0_17counting_iteratorIjlEEPS9_SE_NS0_5tupleIJPjSE_EEENSF_IJSE_SE_EEES9_SG_JZNS1_25segmented_radix_sort_implINS0_14default_configELb0EPKaPaPKlPlN2at6native12_GLOBAL__N_18offset_tEEE10hipError_tPvRmT1_PNSt15iterator_traitsISY_E10value_typeET2_T3_PNSZ_IS14_E10value_typeET4_jRbjT5_S1A_jjP12ihipStream_tbEUljE_EEESV_SW_SX_S14_S18_S1A_T6_T7_T9_mT8_S1C_bDpT10_ENKUlT_T0_E_clISt17integral_constantIbLb1EES1O_IbLb0EEEEDaS1K_S1L_EUlS1K_E_NS1_11comp_targetILNS1_3genE0ELNS1_11target_archE4294967295ELNS1_3gpuE0ELNS1_3repE0EEENS1_30default_config_static_selectorELNS0_4arch9wavefront6targetE0EEEvSY_
		.amdhsa_group_segment_fixed_size 0
		.amdhsa_private_segment_fixed_size 0
		.amdhsa_kernarg_size 144
		.amdhsa_user_sgpr_count 2
		.amdhsa_user_sgpr_dispatch_ptr 0
		.amdhsa_user_sgpr_queue_ptr 0
		.amdhsa_user_sgpr_kernarg_segment_ptr 1
		.amdhsa_user_sgpr_dispatch_id 0
		.amdhsa_user_sgpr_private_segment_size 0
		.amdhsa_wavefront_size32 1
		.amdhsa_uses_dynamic_stack 0
		.amdhsa_enable_private_segment 0
		.amdhsa_system_sgpr_workgroup_id_x 1
		.amdhsa_system_sgpr_workgroup_id_y 0
		.amdhsa_system_sgpr_workgroup_id_z 0
		.amdhsa_system_sgpr_workgroup_info 0
		.amdhsa_system_vgpr_workitem_id 0
		.amdhsa_next_free_vgpr 1
		.amdhsa_next_free_sgpr 1
		.amdhsa_reserve_vcc 0
		.amdhsa_float_round_mode_32 0
		.amdhsa_float_round_mode_16_64 0
		.amdhsa_float_denorm_mode_32 3
		.amdhsa_float_denorm_mode_16_64 3
		.amdhsa_fp16_overflow 0
		.amdhsa_workgroup_processor_mode 1
		.amdhsa_memory_ordered 1
		.amdhsa_forward_progress 1
		.amdhsa_inst_pref_size 0
		.amdhsa_round_robin_scheduling 0
		.amdhsa_exception_fp_ieee_invalid_op 0
		.amdhsa_exception_fp_denorm_src 0
		.amdhsa_exception_fp_ieee_div_zero 0
		.amdhsa_exception_fp_ieee_overflow 0
		.amdhsa_exception_fp_ieee_underflow 0
		.amdhsa_exception_fp_ieee_inexact 0
		.amdhsa_exception_int_div_zero 0
	.end_amdhsa_kernel
	.section	.text._ZN7rocprim17ROCPRIM_400000_NS6detail17trampoline_kernelINS0_13select_configILj256ELj13ELNS0_17block_load_methodE3ELS4_3ELS4_3ELNS0_20block_scan_algorithmE0ELj4294967295EEENS1_25partition_config_selectorILNS1_17partition_subalgoE3EjNS0_10empty_typeEbEEZZNS1_14partition_implILS8_3ELb0ES6_jNS0_17counting_iteratorIjlEEPS9_SE_NS0_5tupleIJPjSE_EEENSF_IJSE_SE_EEES9_SG_JZNS1_25segmented_radix_sort_implINS0_14default_configELb0EPKaPaPKlPlN2at6native12_GLOBAL__N_18offset_tEEE10hipError_tPvRmT1_PNSt15iterator_traitsISY_E10value_typeET2_T3_PNSZ_IS14_E10value_typeET4_jRbjT5_S1A_jjP12ihipStream_tbEUljE_EEESV_SW_SX_S14_S18_S1A_T6_T7_T9_mT8_S1C_bDpT10_ENKUlT_T0_E_clISt17integral_constantIbLb1EES1O_IbLb0EEEEDaS1K_S1L_EUlS1K_E_NS1_11comp_targetILNS1_3genE0ELNS1_11target_archE4294967295ELNS1_3gpuE0ELNS1_3repE0EEENS1_30default_config_static_selectorELNS0_4arch9wavefront6targetE0EEEvSY_,"axG",@progbits,_ZN7rocprim17ROCPRIM_400000_NS6detail17trampoline_kernelINS0_13select_configILj256ELj13ELNS0_17block_load_methodE3ELS4_3ELS4_3ELNS0_20block_scan_algorithmE0ELj4294967295EEENS1_25partition_config_selectorILNS1_17partition_subalgoE3EjNS0_10empty_typeEbEEZZNS1_14partition_implILS8_3ELb0ES6_jNS0_17counting_iteratorIjlEEPS9_SE_NS0_5tupleIJPjSE_EEENSF_IJSE_SE_EEES9_SG_JZNS1_25segmented_radix_sort_implINS0_14default_configELb0EPKaPaPKlPlN2at6native12_GLOBAL__N_18offset_tEEE10hipError_tPvRmT1_PNSt15iterator_traitsISY_E10value_typeET2_T3_PNSZ_IS14_E10value_typeET4_jRbjT5_S1A_jjP12ihipStream_tbEUljE_EEESV_SW_SX_S14_S18_S1A_T6_T7_T9_mT8_S1C_bDpT10_ENKUlT_T0_E_clISt17integral_constantIbLb1EES1O_IbLb0EEEEDaS1K_S1L_EUlS1K_E_NS1_11comp_targetILNS1_3genE0ELNS1_11target_archE4294967295ELNS1_3gpuE0ELNS1_3repE0EEENS1_30default_config_static_selectorELNS0_4arch9wavefront6targetE0EEEvSY_,comdat
.Lfunc_end377:
	.size	_ZN7rocprim17ROCPRIM_400000_NS6detail17trampoline_kernelINS0_13select_configILj256ELj13ELNS0_17block_load_methodE3ELS4_3ELS4_3ELNS0_20block_scan_algorithmE0ELj4294967295EEENS1_25partition_config_selectorILNS1_17partition_subalgoE3EjNS0_10empty_typeEbEEZZNS1_14partition_implILS8_3ELb0ES6_jNS0_17counting_iteratorIjlEEPS9_SE_NS0_5tupleIJPjSE_EEENSF_IJSE_SE_EEES9_SG_JZNS1_25segmented_radix_sort_implINS0_14default_configELb0EPKaPaPKlPlN2at6native12_GLOBAL__N_18offset_tEEE10hipError_tPvRmT1_PNSt15iterator_traitsISY_E10value_typeET2_T3_PNSZ_IS14_E10value_typeET4_jRbjT5_S1A_jjP12ihipStream_tbEUljE_EEESV_SW_SX_S14_S18_S1A_T6_T7_T9_mT8_S1C_bDpT10_ENKUlT_T0_E_clISt17integral_constantIbLb1EES1O_IbLb0EEEEDaS1K_S1L_EUlS1K_E_NS1_11comp_targetILNS1_3genE0ELNS1_11target_archE4294967295ELNS1_3gpuE0ELNS1_3repE0EEENS1_30default_config_static_selectorELNS0_4arch9wavefront6targetE0EEEvSY_, .Lfunc_end377-_ZN7rocprim17ROCPRIM_400000_NS6detail17trampoline_kernelINS0_13select_configILj256ELj13ELNS0_17block_load_methodE3ELS4_3ELS4_3ELNS0_20block_scan_algorithmE0ELj4294967295EEENS1_25partition_config_selectorILNS1_17partition_subalgoE3EjNS0_10empty_typeEbEEZZNS1_14partition_implILS8_3ELb0ES6_jNS0_17counting_iteratorIjlEEPS9_SE_NS0_5tupleIJPjSE_EEENSF_IJSE_SE_EEES9_SG_JZNS1_25segmented_radix_sort_implINS0_14default_configELb0EPKaPaPKlPlN2at6native12_GLOBAL__N_18offset_tEEE10hipError_tPvRmT1_PNSt15iterator_traitsISY_E10value_typeET2_T3_PNSZ_IS14_E10value_typeET4_jRbjT5_S1A_jjP12ihipStream_tbEUljE_EEESV_SW_SX_S14_S18_S1A_T6_T7_T9_mT8_S1C_bDpT10_ENKUlT_T0_E_clISt17integral_constantIbLb1EES1O_IbLb0EEEEDaS1K_S1L_EUlS1K_E_NS1_11comp_targetILNS1_3genE0ELNS1_11target_archE4294967295ELNS1_3gpuE0ELNS1_3repE0EEENS1_30default_config_static_selectorELNS0_4arch9wavefront6targetE0EEEvSY_
                                        ; -- End function
	.set _ZN7rocprim17ROCPRIM_400000_NS6detail17trampoline_kernelINS0_13select_configILj256ELj13ELNS0_17block_load_methodE3ELS4_3ELS4_3ELNS0_20block_scan_algorithmE0ELj4294967295EEENS1_25partition_config_selectorILNS1_17partition_subalgoE3EjNS0_10empty_typeEbEEZZNS1_14partition_implILS8_3ELb0ES6_jNS0_17counting_iteratorIjlEEPS9_SE_NS0_5tupleIJPjSE_EEENSF_IJSE_SE_EEES9_SG_JZNS1_25segmented_radix_sort_implINS0_14default_configELb0EPKaPaPKlPlN2at6native12_GLOBAL__N_18offset_tEEE10hipError_tPvRmT1_PNSt15iterator_traitsISY_E10value_typeET2_T3_PNSZ_IS14_E10value_typeET4_jRbjT5_S1A_jjP12ihipStream_tbEUljE_EEESV_SW_SX_S14_S18_S1A_T6_T7_T9_mT8_S1C_bDpT10_ENKUlT_T0_E_clISt17integral_constantIbLb1EES1O_IbLb0EEEEDaS1K_S1L_EUlS1K_E_NS1_11comp_targetILNS1_3genE0ELNS1_11target_archE4294967295ELNS1_3gpuE0ELNS1_3repE0EEENS1_30default_config_static_selectorELNS0_4arch9wavefront6targetE0EEEvSY_.num_vgpr, 0
	.set _ZN7rocprim17ROCPRIM_400000_NS6detail17trampoline_kernelINS0_13select_configILj256ELj13ELNS0_17block_load_methodE3ELS4_3ELS4_3ELNS0_20block_scan_algorithmE0ELj4294967295EEENS1_25partition_config_selectorILNS1_17partition_subalgoE3EjNS0_10empty_typeEbEEZZNS1_14partition_implILS8_3ELb0ES6_jNS0_17counting_iteratorIjlEEPS9_SE_NS0_5tupleIJPjSE_EEENSF_IJSE_SE_EEES9_SG_JZNS1_25segmented_radix_sort_implINS0_14default_configELb0EPKaPaPKlPlN2at6native12_GLOBAL__N_18offset_tEEE10hipError_tPvRmT1_PNSt15iterator_traitsISY_E10value_typeET2_T3_PNSZ_IS14_E10value_typeET4_jRbjT5_S1A_jjP12ihipStream_tbEUljE_EEESV_SW_SX_S14_S18_S1A_T6_T7_T9_mT8_S1C_bDpT10_ENKUlT_T0_E_clISt17integral_constantIbLb1EES1O_IbLb0EEEEDaS1K_S1L_EUlS1K_E_NS1_11comp_targetILNS1_3genE0ELNS1_11target_archE4294967295ELNS1_3gpuE0ELNS1_3repE0EEENS1_30default_config_static_selectorELNS0_4arch9wavefront6targetE0EEEvSY_.num_agpr, 0
	.set _ZN7rocprim17ROCPRIM_400000_NS6detail17trampoline_kernelINS0_13select_configILj256ELj13ELNS0_17block_load_methodE3ELS4_3ELS4_3ELNS0_20block_scan_algorithmE0ELj4294967295EEENS1_25partition_config_selectorILNS1_17partition_subalgoE3EjNS0_10empty_typeEbEEZZNS1_14partition_implILS8_3ELb0ES6_jNS0_17counting_iteratorIjlEEPS9_SE_NS0_5tupleIJPjSE_EEENSF_IJSE_SE_EEES9_SG_JZNS1_25segmented_radix_sort_implINS0_14default_configELb0EPKaPaPKlPlN2at6native12_GLOBAL__N_18offset_tEEE10hipError_tPvRmT1_PNSt15iterator_traitsISY_E10value_typeET2_T3_PNSZ_IS14_E10value_typeET4_jRbjT5_S1A_jjP12ihipStream_tbEUljE_EEESV_SW_SX_S14_S18_S1A_T6_T7_T9_mT8_S1C_bDpT10_ENKUlT_T0_E_clISt17integral_constantIbLb1EES1O_IbLb0EEEEDaS1K_S1L_EUlS1K_E_NS1_11comp_targetILNS1_3genE0ELNS1_11target_archE4294967295ELNS1_3gpuE0ELNS1_3repE0EEENS1_30default_config_static_selectorELNS0_4arch9wavefront6targetE0EEEvSY_.numbered_sgpr, 0
	.set _ZN7rocprim17ROCPRIM_400000_NS6detail17trampoline_kernelINS0_13select_configILj256ELj13ELNS0_17block_load_methodE3ELS4_3ELS4_3ELNS0_20block_scan_algorithmE0ELj4294967295EEENS1_25partition_config_selectorILNS1_17partition_subalgoE3EjNS0_10empty_typeEbEEZZNS1_14partition_implILS8_3ELb0ES6_jNS0_17counting_iteratorIjlEEPS9_SE_NS0_5tupleIJPjSE_EEENSF_IJSE_SE_EEES9_SG_JZNS1_25segmented_radix_sort_implINS0_14default_configELb0EPKaPaPKlPlN2at6native12_GLOBAL__N_18offset_tEEE10hipError_tPvRmT1_PNSt15iterator_traitsISY_E10value_typeET2_T3_PNSZ_IS14_E10value_typeET4_jRbjT5_S1A_jjP12ihipStream_tbEUljE_EEESV_SW_SX_S14_S18_S1A_T6_T7_T9_mT8_S1C_bDpT10_ENKUlT_T0_E_clISt17integral_constantIbLb1EES1O_IbLb0EEEEDaS1K_S1L_EUlS1K_E_NS1_11comp_targetILNS1_3genE0ELNS1_11target_archE4294967295ELNS1_3gpuE0ELNS1_3repE0EEENS1_30default_config_static_selectorELNS0_4arch9wavefront6targetE0EEEvSY_.num_named_barrier, 0
	.set _ZN7rocprim17ROCPRIM_400000_NS6detail17trampoline_kernelINS0_13select_configILj256ELj13ELNS0_17block_load_methodE3ELS4_3ELS4_3ELNS0_20block_scan_algorithmE0ELj4294967295EEENS1_25partition_config_selectorILNS1_17partition_subalgoE3EjNS0_10empty_typeEbEEZZNS1_14partition_implILS8_3ELb0ES6_jNS0_17counting_iteratorIjlEEPS9_SE_NS0_5tupleIJPjSE_EEENSF_IJSE_SE_EEES9_SG_JZNS1_25segmented_radix_sort_implINS0_14default_configELb0EPKaPaPKlPlN2at6native12_GLOBAL__N_18offset_tEEE10hipError_tPvRmT1_PNSt15iterator_traitsISY_E10value_typeET2_T3_PNSZ_IS14_E10value_typeET4_jRbjT5_S1A_jjP12ihipStream_tbEUljE_EEESV_SW_SX_S14_S18_S1A_T6_T7_T9_mT8_S1C_bDpT10_ENKUlT_T0_E_clISt17integral_constantIbLb1EES1O_IbLb0EEEEDaS1K_S1L_EUlS1K_E_NS1_11comp_targetILNS1_3genE0ELNS1_11target_archE4294967295ELNS1_3gpuE0ELNS1_3repE0EEENS1_30default_config_static_selectorELNS0_4arch9wavefront6targetE0EEEvSY_.private_seg_size, 0
	.set _ZN7rocprim17ROCPRIM_400000_NS6detail17trampoline_kernelINS0_13select_configILj256ELj13ELNS0_17block_load_methodE3ELS4_3ELS4_3ELNS0_20block_scan_algorithmE0ELj4294967295EEENS1_25partition_config_selectorILNS1_17partition_subalgoE3EjNS0_10empty_typeEbEEZZNS1_14partition_implILS8_3ELb0ES6_jNS0_17counting_iteratorIjlEEPS9_SE_NS0_5tupleIJPjSE_EEENSF_IJSE_SE_EEES9_SG_JZNS1_25segmented_radix_sort_implINS0_14default_configELb0EPKaPaPKlPlN2at6native12_GLOBAL__N_18offset_tEEE10hipError_tPvRmT1_PNSt15iterator_traitsISY_E10value_typeET2_T3_PNSZ_IS14_E10value_typeET4_jRbjT5_S1A_jjP12ihipStream_tbEUljE_EEESV_SW_SX_S14_S18_S1A_T6_T7_T9_mT8_S1C_bDpT10_ENKUlT_T0_E_clISt17integral_constantIbLb1EES1O_IbLb0EEEEDaS1K_S1L_EUlS1K_E_NS1_11comp_targetILNS1_3genE0ELNS1_11target_archE4294967295ELNS1_3gpuE0ELNS1_3repE0EEENS1_30default_config_static_selectorELNS0_4arch9wavefront6targetE0EEEvSY_.uses_vcc, 0
	.set _ZN7rocprim17ROCPRIM_400000_NS6detail17trampoline_kernelINS0_13select_configILj256ELj13ELNS0_17block_load_methodE3ELS4_3ELS4_3ELNS0_20block_scan_algorithmE0ELj4294967295EEENS1_25partition_config_selectorILNS1_17partition_subalgoE3EjNS0_10empty_typeEbEEZZNS1_14partition_implILS8_3ELb0ES6_jNS0_17counting_iteratorIjlEEPS9_SE_NS0_5tupleIJPjSE_EEENSF_IJSE_SE_EEES9_SG_JZNS1_25segmented_radix_sort_implINS0_14default_configELb0EPKaPaPKlPlN2at6native12_GLOBAL__N_18offset_tEEE10hipError_tPvRmT1_PNSt15iterator_traitsISY_E10value_typeET2_T3_PNSZ_IS14_E10value_typeET4_jRbjT5_S1A_jjP12ihipStream_tbEUljE_EEESV_SW_SX_S14_S18_S1A_T6_T7_T9_mT8_S1C_bDpT10_ENKUlT_T0_E_clISt17integral_constantIbLb1EES1O_IbLb0EEEEDaS1K_S1L_EUlS1K_E_NS1_11comp_targetILNS1_3genE0ELNS1_11target_archE4294967295ELNS1_3gpuE0ELNS1_3repE0EEENS1_30default_config_static_selectorELNS0_4arch9wavefront6targetE0EEEvSY_.uses_flat_scratch, 0
	.set _ZN7rocprim17ROCPRIM_400000_NS6detail17trampoline_kernelINS0_13select_configILj256ELj13ELNS0_17block_load_methodE3ELS4_3ELS4_3ELNS0_20block_scan_algorithmE0ELj4294967295EEENS1_25partition_config_selectorILNS1_17partition_subalgoE3EjNS0_10empty_typeEbEEZZNS1_14partition_implILS8_3ELb0ES6_jNS0_17counting_iteratorIjlEEPS9_SE_NS0_5tupleIJPjSE_EEENSF_IJSE_SE_EEES9_SG_JZNS1_25segmented_radix_sort_implINS0_14default_configELb0EPKaPaPKlPlN2at6native12_GLOBAL__N_18offset_tEEE10hipError_tPvRmT1_PNSt15iterator_traitsISY_E10value_typeET2_T3_PNSZ_IS14_E10value_typeET4_jRbjT5_S1A_jjP12ihipStream_tbEUljE_EEESV_SW_SX_S14_S18_S1A_T6_T7_T9_mT8_S1C_bDpT10_ENKUlT_T0_E_clISt17integral_constantIbLb1EES1O_IbLb0EEEEDaS1K_S1L_EUlS1K_E_NS1_11comp_targetILNS1_3genE0ELNS1_11target_archE4294967295ELNS1_3gpuE0ELNS1_3repE0EEENS1_30default_config_static_selectorELNS0_4arch9wavefront6targetE0EEEvSY_.has_dyn_sized_stack, 0
	.set _ZN7rocprim17ROCPRIM_400000_NS6detail17trampoline_kernelINS0_13select_configILj256ELj13ELNS0_17block_load_methodE3ELS4_3ELS4_3ELNS0_20block_scan_algorithmE0ELj4294967295EEENS1_25partition_config_selectorILNS1_17partition_subalgoE3EjNS0_10empty_typeEbEEZZNS1_14partition_implILS8_3ELb0ES6_jNS0_17counting_iteratorIjlEEPS9_SE_NS0_5tupleIJPjSE_EEENSF_IJSE_SE_EEES9_SG_JZNS1_25segmented_radix_sort_implINS0_14default_configELb0EPKaPaPKlPlN2at6native12_GLOBAL__N_18offset_tEEE10hipError_tPvRmT1_PNSt15iterator_traitsISY_E10value_typeET2_T3_PNSZ_IS14_E10value_typeET4_jRbjT5_S1A_jjP12ihipStream_tbEUljE_EEESV_SW_SX_S14_S18_S1A_T6_T7_T9_mT8_S1C_bDpT10_ENKUlT_T0_E_clISt17integral_constantIbLb1EES1O_IbLb0EEEEDaS1K_S1L_EUlS1K_E_NS1_11comp_targetILNS1_3genE0ELNS1_11target_archE4294967295ELNS1_3gpuE0ELNS1_3repE0EEENS1_30default_config_static_selectorELNS0_4arch9wavefront6targetE0EEEvSY_.has_recursion, 0
	.set _ZN7rocprim17ROCPRIM_400000_NS6detail17trampoline_kernelINS0_13select_configILj256ELj13ELNS0_17block_load_methodE3ELS4_3ELS4_3ELNS0_20block_scan_algorithmE0ELj4294967295EEENS1_25partition_config_selectorILNS1_17partition_subalgoE3EjNS0_10empty_typeEbEEZZNS1_14partition_implILS8_3ELb0ES6_jNS0_17counting_iteratorIjlEEPS9_SE_NS0_5tupleIJPjSE_EEENSF_IJSE_SE_EEES9_SG_JZNS1_25segmented_radix_sort_implINS0_14default_configELb0EPKaPaPKlPlN2at6native12_GLOBAL__N_18offset_tEEE10hipError_tPvRmT1_PNSt15iterator_traitsISY_E10value_typeET2_T3_PNSZ_IS14_E10value_typeET4_jRbjT5_S1A_jjP12ihipStream_tbEUljE_EEESV_SW_SX_S14_S18_S1A_T6_T7_T9_mT8_S1C_bDpT10_ENKUlT_T0_E_clISt17integral_constantIbLb1EES1O_IbLb0EEEEDaS1K_S1L_EUlS1K_E_NS1_11comp_targetILNS1_3genE0ELNS1_11target_archE4294967295ELNS1_3gpuE0ELNS1_3repE0EEENS1_30default_config_static_selectorELNS0_4arch9wavefront6targetE0EEEvSY_.has_indirect_call, 0
	.section	.AMDGPU.csdata,"",@progbits
; Kernel info:
; codeLenInByte = 0
; TotalNumSgprs: 0
; NumVgprs: 0
; ScratchSize: 0
; MemoryBound: 0
; FloatMode: 240
; IeeeMode: 1
; LDSByteSize: 0 bytes/workgroup (compile time only)
; SGPRBlocks: 0
; VGPRBlocks: 0
; NumSGPRsForWavesPerEU: 1
; NumVGPRsForWavesPerEU: 1
; Occupancy: 16
; WaveLimiterHint : 0
; COMPUTE_PGM_RSRC2:SCRATCH_EN: 0
; COMPUTE_PGM_RSRC2:USER_SGPR: 2
; COMPUTE_PGM_RSRC2:TRAP_HANDLER: 0
; COMPUTE_PGM_RSRC2:TGID_X_EN: 1
; COMPUTE_PGM_RSRC2:TGID_Y_EN: 0
; COMPUTE_PGM_RSRC2:TGID_Z_EN: 0
; COMPUTE_PGM_RSRC2:TIDIG_COMP_CNT: 0
	.section	.text._ZN7rocprim17ROCPRIM_400000_NS6detail17trampoline_kernelINS0_13select_configILj256ELj13ELNS0_17block_load_methodE3ELS4_3ELS4_3ELNS0_20block_scan_algorithmE0ELj4294967295EEENS1_25partition_config_selectorILNS1_17partition_subalgoE3EjNS0_10empty_typeEbEEZZNS1_14partition_implILS8_3ELb0ES6_jNS0_17counting_iteratorIjlEEPS9_SE_NS0_5tupleIJPjSE_EEENSF_IJSE_SE_EEES9_SG_JZNS1_25segmented_radix_sort_implINS0_14default_configELb0EPKaPaPKlPlN2at6native12_GLOBAL__N_18offset_tEEE10hipError_tPvRmT1_PNSt15iterator_traitsISY_E10value_typeET2_T3_PNSZ_IS14_E10value_typeET4_jRbjT5_S1A_jjP12ihipStream_tbEUljE_EEESV_SW_SX_S14_S18_S1A_T6_T7_T9_mT8_S1C_bDpT10_ENKUlT_T0_E_clISt17integral_constantIbLb1EES1O_IbLb0EEEEDaS1K_S1L_EUlS1K_E_NS1_11comp_targetILNS1_3genE5ELNS1_11target_archE942ELNS1_3gpuE9ELNS1_3repE0EEENS1_30default_config_static_selectorELNS0_4arch9wavefront6targetE0EEEvSY_,"axG",@progbits,_ZN7rocprim17ROCPRIM_400000_NS6detail17trampoline_kernelINS0_13select_configILj256ELj13ELNS0_17block_load_methodE3ELS4_3ELS4_3ELNS0_20block_scan_algorithmE0ELj4294967295EEENS1_25partition_config_selectorILNS1_17partition_subalgoE3EjNS0_10empty_typeEbEEZZNS1_14partition_implILS8_3ELb0ES6_jNS0_17counting_iteratorIjlEEPS9_SE_NS0_5tupleIJPjSE_EEENSF_IJSE_SE_EEES9_SG_JZNS1_25segmented_radix_sort_implINS0_14default_configELb0EPKaPaPKlPlN2at6native12_GLOBAL__N_18offset_tEEE10hipError_tPvRmT1_PNSt15iterator_traitsISY_E10value_typeET2_T3_PNSZ_IS14_E10value_typeET4_jRbjT5_S1A_jjP12ihipStream_tbEUljE_EEESV_SW_SX_S14_S18_S1A_T6_T7_T9_mT8_S1C_bDpT10_ENKUlT_T0_E_clISt17integral_constantIbLb1EES1O_IbLb0EEEEDaS1K_S1L_EUlS1K_E_NS1_11comp_targetILNS1_3genE5ELNS1_11target_archE942ELNS1_3gpuE9ELNS1_3repE0EEENS1_30default_config_static_selectorELNS0_4arch9wavefront6targetE0EEEvSY_,comdat
	.globl	_ZN7rocprim17ROCPRIM_400000_NS6detail17trampoline_kernelINS0_13select_configILj256ELj13ELNS0_17block_load_methodE3ELS4_3ELS4_3ELNS0_20block_scan_algorithmE0ELj4294967295EEENS1_25partition_config_selectorILNS1_17partition_subalgoE3EjNS0_10empty_typeEbEEZZNS1_14partition_implILS8_3ELb0ES6_jNS0_17counting_iteratorIjlEEPS9_SE_NS0_5tupleIJPjSE_EEENSF_IJSE_SE_EEES9_SG_JZNS1_25segmented_radix_sort_implINS0_14default_configELb0EPKaPaPKlPlN2at6native12_GLOBAL__N_18offset_tEEE10hipError_tPvRmT1_PNSt15iterator_traitsISY_E10value_typeET2_T3_PNSZ_IS14_E10value_typeET4_jRbjT5_S1A_jjP12ihipStream_tbEUljE_EEESV_SW_SX_S14_S18_S1A_T6_T7_T9_mT8_S1C_bDpT10_ENKUlT_T0_E_clISt17integral_constantIbLb1EES1O_IbLb0EEEEDaS1K_S1L_EUlS1K_E_NS1_11comp_targetILNS1_3genE5ELNS1_11target_archE942ELNS1_3gpuE9ELNS1_3repE0EEENS1_30default_config_static_selectorELNS0_4arch9wavefront6targetE0EEEvSY_ ; -- Begin function _ZN7rocprim17ROCPRIM_400000_NS6detail17trampoline_kernelINS0_13select_configILj256ELj13ELNS0_17block_load_methodE3ELS4_3ELS4_3ELNS0_20block_scan_algorithmE0ELj4294967295EEENS1_25partition_config_selectorILNS1_17partition_subalgoE3EjNS0_10empty_typeEbEEZZNS1_14partition_implILS8_3ELb0ES6_jNS0_17counting_iteratorIjlEEPS9_SE_NS0_5tupleIJPjSE_EEENSF_IJSE_SE_EEES9_SG_JZNS1_25segmented_radix_sort_implINS0_14default_configELb0EPKaPaPKlPlN2at6native12_GLOBAL__N_18offset_tEEE10hipError_tPvRmT1_PNSt15iterator_traitsISY_E10value_typeET2_T3_PNSZ_IS14_E10value_typeET4_jRbjT5_S1A_jjP12ihipStream_tbEUljE_EEESV_SW_SX_S14_S18_S1A_T6_T7_T9_mT8_S1C_bDpT10_ENKUlT_T0_E_clISt17integral_constantIbLb1EES1O_IbLb0EEEEDaS1K_S1L_EUlS1K_E_NS1_11comp_targetILNS1_3genE5ELNS1_11target_archE942ELNS1_3gpuE9ELNS1_3repE0EEENS1_30default_config_static_selectorELNS0_4arch9wavefront6targetE0EEEvSY_
	.p2align	8
	.type	_ZN7rocprim17ROCPRIM_400000_NS6detail17trampoline_kernelINS0_13select_configILj256ELj13ELNS0_17block_load_methodE3ELS4_3ELS4_3ELNS0_20block_scan_algorithmE0ELj4294967295EEENS1_25partition_config_selectorILNS1_17partition_subalgoE3EjNS0_10empty_typeEbEEZZNS1_14partition_implILS8_3ELb0ES6_jNS0_17counting_iteratorIjlEEPS9_SE_NS0_5tupleIJPjSE_EEENSF_IJSE_SE_EEES9_SG_JZNS1_25segmented_radix_sort_implINS0_14default_configELb0EPKaPaPKlPlN2at6native12_GLOBAL__N_18offset_tEEE10hipError_tPvRmT1_PNSt15iterator_traitsISY_E10value_typeET2_T3_PNSZ_IS14_E10value_typeET4_jRbjT5_S1A_jjP12ihipStream_tbEUljE_EEESV_SW_SX_S14_S18_S1A_T6_T7_T9_mT8_S1C_bDpT10_ENKUlT_T0_E_clISt17integral_constantIbLb1EES1O_IbLb0EEEEDaS1K_S1L_EUlS1K_E_NS1_11comp_targetILNS1_3genE5ELNS1_11target_archE942ELNS1_3gpuE9ELNS1_3repE0EEENS1_30default_config_static_selectorELNS0_4arch9wavefront6targetE0EEEvSY_,@function
_ZN7rocprim17ROCPRIM_400000_NS6detail17trampoline_kernelINS0_13select_configILj256ELj13ELNS0_17block_load_methodE3ELS4_3ELS4_3ELNS0_20block_scan_algorithmE0ELj4294967295EEENS1_25partition_config_selectorILNS1_17partition_subalgoE3EjNS0_10empty_typeEbEEZZNS1_14partition_implILS8_3ELb0ES6_jNS0_17counting_iteratorIjlEEPS9_SE_NS0_5tupleIJPjSE_EEENSF_IJSE_SE_EEES9_SG_JZNS1_25segmented_radix_sort_implINS0_14default_configELb0EPKaPaPKlPlN2at6native12_GLOBAL__N_18offset_tEEE10hipError_tPvRmT1_PNSt15iterator_traitsISY_E10value_typeET2_T3_PNSZ_IS14_E10value_typeET4_jRbjT5_S1A_jjP12ihipStream_tbEUljE_EEESV_SW_SX_S14_S18_S1A_T6_T7_T9_mT8_S1C_bDpT10_ENKUlT_T0_E_clISt17integral_constantIbLb1EES1O_IbLb0EEEEDaS1K_S1L_EUlS1K_E_NS1_11comp_targetILNS1_3genE5ELNS1_11target_archE942ELNS1_3gpuE9ELNS1_3repE0EEENS1_30default_config_static_selectorELNS0_4arch9wavefront6targetE0EEEvSY_: ; @_ZN7rocprim17ROCPRIM_400000_NS6detail17trampoline_kernelINS0_13select_configILj256ELj13ELNS0_17block_load_methodE3ELS4_3ELS4_3ELNS0_20block_scan_algorithmE0ELj4294967295EEENS1_25partition_config_selectorILNS1_17partition_subalgoE3EjNS0_10empty_typeEbEEZZNS1_14partition_implILS8_3ELb0ES6_jNS0_17counting_iteratorIjlEEPS9_SE_NS0_5tupleIJPjSE_EEENSF_IJSE_SE_EEES9_SG_JZNS1_25segmented_radix_sort_implINS0_14default_configELb0EPKaPaPKlPlN2at6native12_GLOBAL__N_18offset_tEEE10hipError_tPvRmT1_PNSt15iterator_traitsISY_E10value_typeET2_T3_PNSZ_IS14_E10value_typeET4_jRbjT5_S1A_jjP12ihipStream_tbEUljE_EEESV_SW_SX_S14_S18_S1A_T6_T7_T9_mT8_S1C_bDpT10_ENKUlT_T0_E_clISt17integral_constantIbLb1EES1O_IbLb0EEEEDaS1K_S1L_EUlS1K_E_NS1_11comp_targetILNS1_3genE5ELNS1_11target_archE942ELNS1_3gpuE9ELNS1_3repE0EEENS1_30default_config_static_selectorELNS0_4arch9wavefront6targetE0EEEvSY_
; %bb.0:
	.section	.rodata,"a",@progbits
	.p2align	6, 0x0
	.amdhsa_kernel _ZN7rocprim17ROCPRIM_400000_NS6detail17trampoline_kernelINS0_13select_configILj256ELj13ELNS0_17block_load_methodE3ELS4_3ELS4_3ELNS0_20block_scan_algorithmE0ELj4294967295EEENS1_25partition_config_selectorILNS1_17partition_subalgoE3EjNS0_10empty_typeEbEEZZNS1_14partition_implILS8_3ELb0ES6_jNS0_17counting_iteratorIjlEEPS9_SE_NS0_5tupleIJPjSE_EEENSF_IJSE_SE_EEES9_SG_JZNS1_25segmented_radix_sort_implINS0_14default_configELb0EPKaPaPKlPlN2at6native12_GLOBAL__N_18offset_tEEE10hipError_tPvRmT1_PNSt15iterator_traitsISY_E10value_typeET2_T3_PNSZ_IS14_E10value_typeET4_jRbjT5_S1A_jjP12ihipStream_tbEUljE_EEESV_SW_SX_S14_S18_S1A_T6_T7_T9_mT8_S1C_bDpT10_ENKUlT_T0_E_clISt17integral_constantIbLb1EES1O_IbLb0EEEEDaS1K_S1L_EUlS1K_E_NS1_11comp_targetILNS1_3genE5ELNS1_11target_archE942ELNS1_3gpuE9ELNS1_3repE0EEENS1_30default_config_static_selectorELNS0_4arch9wavefront6targetE0EEEvSY_
		.amdhsa_group_segment_fixed_size 0
		.amdhsa_private_segment_fixed_size 0
		.amdhsa_kernarg_size 144
		.amdhsa_user_sgpr_count 2
		.amdhsa_user_sgpr_dispatch_ptr 0
		.amdhsa_user_sgpr_queue_ptr 0
		.amdhsa_user_sgpr_kernarg_segment_ptr 1
		.amdhsa_user_sgpr_dispatch_id 0
		.amdhsa_user_sgpr_private_segment_size 0
		.amdhsa_wavefront_size32 1
		.amdhsa_uses_dynamic_stack 0
		.amdhsa_enable_private_segment 0
		.amdhsa_system_sgpr_workgroup_id_x 1
		.amdhsa_system_sgpr_workgroup_id_y 0
		.amdhsa_system_sgpr_workgroup_id_z 0
		.amdhsa_system_sgpr_workgroup_info 0
		.amdhsa_system_vgpr_workitem_id 0
		.amdhsa_next_free_vgpr 1
		.amdhsa_next_free_sgpr 1
		.amdhsa_reserve_vcc 0
		.amdhsa_float_round_mode_32 0
		.amdhsa_float_round_mode_16_64 0
		.amdhsa_float_denorm_mode_32 3
		.amdhsa_float_denorm_mode_16_64 3
		.amdhsa_fp16_overflow 0
		.amdhsa_workgroup_processor_mode 1
		.amdhsa_memory_ordered 1
		.amdhsa_forward_progress 1
		.amdhsa_inst_pref_size 0
		.amdhsa_round_robin_scheduling 0
		.amdhsa_exception_fp_ieee_invalid_op 0
		.amdhsa_exception_fp_denorm_src 0
		.amdhsa_exception_fp_ieee_div_zero 0
		.amdhsa_exception_fp_ieee_overflow 0
		.amdhsa_exception_fp_ieee_underflow 0
		.amdhsa_exception_fp_ieee_inexact 0
		.amdhsa_exception_int_div_zero 0
	.end_amdhsa_kernel
	.section	.text._ZN7rocprim17ROCPRIM_400000_NS6detail17trampoline_kernelINS0_13select_configILj256ELj13ELNS0_17block_load_methodE3ELS4_3ELS4_3ELNS0_20block_scan_algorithmE0ELj4294967295EEENS1_25partition_config_selectorILNS1_17partition_subalgoE3EjNS0_10empty_typeEbEEZZNS1_14partition_implILS8_3ELb0ES6_jNS0_17counting_iteratorIjlEEPS9_SE_NS0_5tupleIJPjSE_EEENSF_IJSE_SE_EEES9_SG_JZNS1_25segmented_radix_sort_implINS0_14default_configELb0EPKaPaPKlPlN2at6native12_GLOBAL__N_18offset_tEEE10hipError_tPvRmT1_PNSt15iterator_traitsISY_E10value_typeET2_T3_PNSZ_IS14_E10value_typeET4_jRbjT5_S1A_jjP12ihipStream_tbEUljE_EEESV_SW_SX_S14_S18_S1A_T6_T7_T9_mT8_S1C_bDpT10_ENKUlT_T0_E_clISt17integral_constantIbLb1EES1O_IbLb0EEEEDaS1K_S1L_EUlS1K_E_NS1_11comp_targetILNS1_3genE5ELNS1_11target_archE942ELNS1_3gpuE9ELNS1_3repE0EEENS1_30default_config_static_selectorELNS0_4arch9wavefront6targetE0EEEvSY_,"axG",@progbits,_ZN7rocprim17ROCPRIM_400000_NS6detail17trampoline_kernelINS0_13select_configILj256ELj13ELNS0_17block_load_methodE3ELS4_3ELS4_3ELNS0_20block_scan_algorithmE0ELj4294967295EEENS1_25partition_config_selectorILNS1_17partition_subalgoE3EjNS0_10empty_typeEbEEZZNS1_14partition_implILS8_3ELb0ES6_jNS0_17counting_iteratorIjlEEPS9_SE_NS0_5tupleIJPjSE_EEENSF_IJSE_SE_EEES9_SG_JZNS1_25segmented_radix_sort_implINS0_14default_configELb0EPKaPaPKlPlN2at6native12_GLOBAL__N_18offset_tEEE10hipError_tPvRmT1_PNSt15iterator_traitsISY_E10value_typeET2_T3_PNSZ_IS14_E10value_typeET4_jRbjT5_S1A_jjP12ihipStream_tbEUljE_EEESV_SW_SX_S14_S18_S1A_T6_T7_T9_mT8_S1C_bDpT10_ENKUlT_T0_E_clISt17integral_constantIbLb1EES1O_IbLb0EEEEDaS1K_S1L_EUlS1K_E_NS1_11comp_targetILNS1_3genE5ELNS1_11target_archE942ELNS1_3gpuE9ELNS1_3repE0EEENS1_30default_config_static_selectorELNS0_4arch9wavefront6targetE0EEEvSY_,comdat
.Lfunc_end378:
	.size	_ZN7rocprim17ROCPRIM_400000_NS6detail17trampoline_kernelINS0_13select_configILj256ELj13ELNS0_17block_load_methodE3ELS4_3ELS4_3ELNS0_20block_scan_algorithmE0ELj4294967295EEENS1_25partition_config_selectorILNS1_17partition_subalgoE3EjNS0_10empty_typeEbEEZZNS1_14partition_implILS8_3ELb0ES6_jNS0_17counting_iteratorIjlEEPS9_SE_NS0_5tupleIJPjSE_EEENSF_IJSE_SE_EEES9_SG_JZNS1_25segmented_radix_sort_implINS0_14default_configELb0EPKaPaPKlPlN2at6native12_GLOBAL__N_18offset_tEEE10hipError_tPvRmT1_PNSt15iterator_traitsISY_E10value_typeET2_T3_PNSZ_IS14_E10value_typeET4_jRbjT5_S1A_jjP12ihipStream_tbEUljE_EEESV_SW_SX_S14_S18_S1A_T6_T7_T9_mT8_S1C_bDpT10_ENKUlT_T0_E_clISt17integral_constantIbLb1EES1O_IbLb0EEEEDaS1K_S1L_EUlS1K_E_NS1_11comp_targetILNS1_3genE5ELNS1_11target_archE942ELNS1_3gpuE9ELNS1_3repE0EEENS1_30default_config_static_selectorELNS0_4arch9wavefront6targetE0EEEvSY_, .Lfunc_end378-_ZN7rocprim17ROCPRIM_400000_NS6detail17trampoline_kernelINS0_13select_configILj256ELj13ELNS0_17block_load_methodE3ELS4_3ELS4_3ELNS0_20block_scan_algorithmE0ELj4294967295EEENS1_25partition_config_selectorILNS1_17partition_subalgoE3EjNS0_10empty_typeEbEEZZNS1_14partition_implILS8_3ELb0ES6_jNS0_17counting_iteratorIjlEEPS9_SE_NS0_5tupleIJPjSE_EEENSF_IJSE_SE_EEES9_SG_JZNS1_25segmented_radix_sort_implINS0_14default_configELb0EPKaPaPKlPlN2at6native12_GLOBAL__N_18offset_tEEE10hipError_tPvRmT1_PNSt15iterator_traitsISY_E10value_typeET2_T3_PNSZ_IS14_E10value_typeET4_jRbjT5_S1A_jjP12ihipStream_tbEUljE_EEESV_SW_SX_S14_S18_S1A_T6_T7_T9_mT8_S1C_bDpT10_ENKUlT_T0_E_clISt17integral_constantIbLb1EES1O_IbLb0EEEEDaS1K_S1L_EUlS1K_E_NS1_11comp_targetILNS1_3genE5ELNS1_11target_archE942ELNS1_3gpuE9ELNS1_3repE0EEENS1_30default_config_static_selectorELNS0_4arch9wavefront6targetE0EEEvSY_
                                        ; -- End function
	.set _ZN7rocprim17ROCPRIM_400000_NS6detail17trampoline_kernelINS0_13select_configILj256ELj13ELNS0_17block_load_methodE3ELS4_3ELS4_3ELNS0_20block_scan_algorithmE0ELj4294967295EEENS1_25partition_config_selectorILNS1_17partition_subalgoE3EjNS0_10empty_typeEbEEZZNS1_14partition_implILS8_3ELb0ES6_jNS0_17counting_iteratorIjlEEPS9_SE_NS0_5tupleIJPjSE_EEENSF_IJSE_SE_EEES9_SG_JZNS1_25segmented_radix_sort_implINS0_14default_configELb0EPKaPaPKlPlN2at6native12_GLOBAL__N_18offset_tEEE10hipError_tPvRmT1_PNSt15iterator_traitsISY_E10value_typeET2_T3_PNSZ_IS14_E10value_typeET4_jRbjT5_S1A_jjP12ihipStream_tbEUljE_EEESV_SW_SX_S14_S18_S1A_T6_T7_T9_mT8_S1C_bDpT10_ENKUlT_T0_E_clISt17integral_constantIbLb1EES1O_IbLb0EEEEDaS1K_S1L_EUlS1K_E_NS1_11comp_targetILNS1_3genE5ELNS1_11target_archE942ELNS1_3gpuE9ELNS1_3repE0EEENS1_30default_config_static_selectorELNS0_4arch9wavefront6targetE0EEEvSY_.num_vgpr, 0
	.set _ZN7rocprim17ROCPRIM_400000_NS6detail17trampoline_kernelINS0_13select_configILj256ELj13ELNS0_17block_load_methodE3ELS4_3ELS4_3ELNS0_20block_scan_algorithmE0ELj4294967295EEENS1_25partition_config_selectorILNS1_17partition_subalgoE3EjNS0_10empty_typeEbEEZZNS1_14partition_implILS8_3ELb0ES6_jNS0_17counting_iteratorIjlEEPS9_SE_NS0_5tupleIJPjSE_EEENSF_IJSE_SE_EEES9_SG_JZNS1_25segmented_radix_sort_implINS0_14default_configELb0EPKaPaPKlPlN2at6native12_GLOBAL__N_18offset_tEEE10hipError_tPvRmT1_PNSt15iterator_traitsISY_E10value_typeET2_T3_PNSZ_IS14_E10value_typeET4_jRbjT5_S1A_jjP12ihipStream_tbEUljE_EEESV_SW_SX_S14_S18_S1A_T6_T7_T9_mT8_S1C_bDpT10_ENKUlT_T0_E_clISt17integral_constantIbLb1EES1O_IbLb0EEEEDaS1K_S1L_EUlS1K_E_NS1_11comp_targetILNS1_3genE5ELNS1_11target_archE942ELNS1_3gpuE9ELNS1_3repE0EEENS1_30default_config_static_selectorELNS0_4arch9wavefront6targetE0EEEvSY_.num_agpr, 0
	.set _ZN7rocprim17ROCPRIM_400000_NS6detail17trampoline_kernelINS0_13select_configILj256ELj13ELNS0_17block_load_methodE3ELS4_3ELS4_3ELNS0_20block_scan_algorithmE0ELj4294967295EEENS1_25partition_config_selectorILNS1_17partition_subalgoE3EjNS0_10empty_typeEbEEZZNS1_14partition_implILS8_3ELb0ES6_jNS0_17counting_iteratorIjlEEPS9_SE_NS0_5tupleIJPjSE_EEENSF_IJSE_SE_EEES9_SG_JZNS1_25segmented_radix_sort_implINS0_14default_configELb0EPKaPaPKlPlN2at6native12_GLOBAL__N_18offset_tEEE10hipError_tPvRmT1_PNSt15iterator_traitsISY_E10value_typeET2_T3_PNSZ_IS14_E10value_typeET4_jRbjT5_S1A_jjP12ihipStream_tbEUljE_EEESV_SW_SX_S14_S18_S1A_T6_T7_T9_mT8_S1C_bDpT10_ENKUlT_T0_E_clISt17integral_constantIbLb1EES1O_IbLb0EEEEDaS1K_S1L_EUlS1K_E_NS1_11comp_targetILNS1_3genE5ELNS1_11target_archE942ELNS1_3gpuE9ELNS1_3repE0EEENS1_30default_config_static_selectorELNS0_4arch9wavefront6targetE0EEEvSY_.numbered_sgpr, 0
	.set _ZN7rocprim17ROCPRIM_400000_NS6detail17trampoline_kernelINS0_13select_configILj256ELj13ELNS0_17block_load_methodE3ELS4_3ELS4_3ELNS0_20block_scan_algorithmE0ELj4294967295EEENS1_25partition_config_selectorILNS1_17partition_subalgoE3EjNS0_10empty_typeEbEEZZNS1_14partition_implILS8_3ELb0ES6_jNS0_17counting_iteratorIjlEEPS9_SE_NS0_5tupleIJPjSE_EEENSF_IJSE_SE_EEES9_SG_JZNS1_25segmented_radix_sort_implINS0_14default_configELb0EPKaPaPKlPlN2at6native12_GLOBAL__N_18offset_tEEE10hipError_tPvRmT1_PNSt15iterator_traitsISY_E10value_typeET2_T3_PNSZ_IS14_E10value_typeET4_jRbjT5_S1A_jjP12ihipStream_tbEUljE_EEESV_SW_SX_S14_S18_S1A_T6_T7_T9_mT8_S1C_bDpT10_ENKUlT_T0_E_clISt17integral_constantIbLb1EES1O_IbLb0EEEEDaS1K_S1L_EUlS1K_E_NS1_11comp_targetILNS1_3genE5ELNS1_11target_archE942ELNS1_3gpuE9ELNS1_3repE0EEENS1_30default_config_static_selectorELNS0_4arch9wavefront6targetE0EEEvSY_.num_named_barrier, 0
	.set _ZN7rocprim17ROCPRIM_400000_NS6detail17trampoline_kernelINS0_13select_configILj256ELj13ELNS0_17block_load_methodE3ELS4_3ELS4_3ELNS0_20block_scan_algorithmE0ELj4294967295EEENS1_25partition_config_selectorILNS1_17partition_subalgoE3EjNS0_10empty_typeEbEEZZNS1_14partition_implILS8_3ELb0ES6_jNS0_17counting_iteratorIjlEEPS9_SE_NS0_5tupleIJPjSE_EEENSF_IJSE_SE_EEES9_SG_JZNS1_25segmented_radix_sort_implINS0_14default_configELb0EPKaPaPKlPlN2at6native12_GLOBAL__N_18offset_tEEE10hipError_tPvRmT1_PNSt15iterator_traitsISY_E10value_typeET2_T3_PNSZ_IS14_E10value_typeET4_jRbjT5_S1A_jjP12ihipStream_tbEUljE_EEESV_SW_SX_S14_S18_S1A_T6_T7_T9_mT8_S1C_bDpT10_ENKUlT_T0_E_clISt17integral_constantIbLb1EES1O_IbLb0EEEEDaS1K_S1L_EUlS1K_E_NS1_11comp_targetILNS1_3genE5ELNS1_11target_archE942ELNS1_3gpuE9ELNS1_3repE0EEENS1_30default_config_static_selectorELNS0_4arch9wavefront6targetE0EEEvSY_.private_seg_size, 0
	.set _ZN7rocprim17ROCPRIM_400000_NS6detail17trampoline_kernelINS0_13select_configILj256ELj13ELNS0_17block_load_methodE3ELS4_3ELS4_3ELNS0_20block_scan_algorithmE0ELj4294967295EEENS1_25partition_config_selectorILNS1_17partition_subalgoE3EjNS0_10empty_typeEbEEZZNS1_14partition_implILS8_3ELb0ES6_jNS0_17counting_iteratorIjlEEPS9_SE_NS0_5tupleIJPjSE_EEENSF_IJSE_SE_EEES9_SG_JZNS1_25segmented_radix_sort_implINS0_14default_configELb0EPKaPaPKlPlN2at6native12_GLOBAL__N_18offset_tEEE10hipError_tPvRmT1_PNSt15iterator_traitsISY_E10value_typeET2_T3_PNSZ_IS14_E10value_typeET4_jRbjT5_S1A_jjP12ihipStream_tbEUljE_EEESV_SW_SX_S14_S18_S1A_T6_T7_T9_mT8_S1C_bDpT10_ENKUlT_T0_E_clISt17integral_constantIbLb1EES1O_IbLb0EEEEDaS1K_S1L_EUlS1K_E_NS1_11comp_targetILNS1_3genE5ELNS1_11target_archE942ELNS1_3gpuE9ELNS1_3repE0EEENS1_30default_config_static_selectorELNS0_4arch9wavefront6targetE0EEEvSY_.uses_vcc, 0
	.set _ZN7rocprim17ROCPRIM_400000_NS6detail17trampoline_kernelINS0_13select_configILj256ELj13ELNS0_17block_load_methodE3ELS4_3ELS4_3ELNS0_20block_scan_algorithmE0ELj4294967295EEENS1_25partition_config_selectorILNS1_17partition_subalgoE3EjNS0_10empty_typeEbEEZZNS1_14partition_implILS8_3ELb0ES6_jNS0_17counting_iteratorIjlEEPS9_SE_NS0_5tupleIJPjSE_EEENSF_IJSE_SE_EEES9_SG_JZNS1_25segmented_radix_sort_implINS0_14default_configELb0EPKaPaPKlPlN2at6native12_GLOBAL__N_18offset_tEEE10hipError_tPvRmT1_PNSt15iterator_traitsISY_E10value_typeET2_T3_PNSZ_IS14_E10value_typeET4_jRbjT5_S1A_jjP12ihipStream_tbEUljE_EEESV_SW_SX_S14_S18_S1A_T6_T7_T9_mT8_S1C_bDpT10_ENKUlT_T0_E_clISt17integral_constantIbLb1EES1O_IbLb0EEEEDaS1K_S1L_EUlS1K_E_NS1_11comp_targetILNS1_3genE5ELNS1_11target_archE942ELNS1_3gpuE9ELNS1_3repE0EEENS1_30default_config_static_selectorELNS0_4arch9wavefront6targetE0EEEvSY_.uses_flat_scratch, 0
	.set _ZN7rocprim17ROCPRIM_400000_NS6detail17trampoline_kernelINS0_13select_configILj256ELj13ELNS0_17block_load_methodE3ELS4_3ELS4_3ELNS0_20block_scan_algorithmE0ELj4294967295EEENS1_25partition_config_selectorILNS1_17partition_subalgoE3EjNS0_10empty_typeEbEEZZNS1_14partition_implILS8_3ELb0ES6_jNS0_17counting_iteratorIjlEEPS9_SE_NS0_5tupleIJPjSE_EEENSF_IJSE_SE_EEES9_SG_JZNS1_25segmented_radix_sort_implINS0_14default_configELb0EPKaPaPKlPlN2at6native12_GLOBAL__N_18offset_tEEE10hipError_tPvRmT1_PNSt15iterator_traitsISY_E10value_typeET2_T3_PNSZ_IS14_E10value_typeET4_jRbjT5_S1A_jjP12ihipStream_tbEUljE_EEESV_SW_SX_S14_S18_S1A_T6_T7_T9_mT8_S1C_bDpT10_ENKUlT_T0_E_clISt17integral_constantIbLb1EES1O_IbLb0EEEEDaS1K_S1L_EUlS1K_E_NS1_11comp_targetILNS1_3genE5ELNS1_11target_archE942ELNS1_3gpuE9ELNS1_3repE0EEENS1_30default_config_static_selectorELNS0_4arch9wavefront6targetE0EEEvSY_.has_dyn_sized_stack, 0
	.set _ZN7rocprim17ROCPRIM_400000_NS6detail17trampoline_kernelINS0_13select_configILj256ELj13ELNS0_17block_load_methodE3ELS4_3ELS4_3ELNS0_20block_scan_algorithmE0ELj4294967295EEENS1_25partition_config_selectorILNS1_17partition_subalgoE3EjNS0_10empty_typeEbEEZZNS1_14partition_implILS8_3ELb0ES6_jNS0_17counting_iteratorIjlEEPS9_SE_NS0_5tupleIJPjSE_EEENSF_IJSE_SE_EEES9_SG_JZNS1_25segmented_radix_sort_implINS0_14default_configELb0EPKaPaPKlPlN2at6native12_GLOBAL__N_18offset_tEEE10hipError_tPvRmT1_PNSt15iterator_traitsISY_E10value_typeET2_T3_PNSZ_IS14_E10value_typeET4_jRbjT5_S1A_jjP12ihipStream_tbEUljE_EEESV_SW_SX_S14_S18_S1A_T6_T7_T9_mT8_S1C_bDpT10_ENKUlT_T0_E_clISt17integral_constantIbLb1EES1O_IbLb0EEEEDaS1K_S1L_EUlS1K_E_NS1_11comp_targetILNS1_3genE5ELNS1_11target_archE942ELNS1_3gpuE9ELNS1_3repE0EEENS1_30default_config_static_selectorELNS0_4arch9wavefront6targetE0EEEvSY_.has_recursion, 0
	.set _ZN7rocprim17ROCPRIM_400000_NS6detail17trampoline_kernelINS0_13select_configILj256ELj13ELNS0_17block_load_methodE3ELS4_3ELS4_3ELNS0_20block_scan_algorithmE0ELj4294967295EEENS1_25partition_config_selectorILNS1_17partition_subalgoE3EjNS0_10empty_typeEbEEZZNS1_14partition_implILS8_3ELb0ES6_jNS0_17counting_iteratorIjlEEPS9_SE_NS0_5tupleIJPjSE_EEENSF_IJSE_SE_EEES9_SG_JZNS1_25segmented_radix_sort_implINS0_14default_configELb0EPKaPaPKlPlN2at6native12_GLOBAL__N_18offset_tEEE10hipError_tPvRmT1_PNSt15iterator_traitsISY_E10value_typeET2_T3_PNSZ_IS14_E10value_typeET4_jRbjT5_S1A_jjP12ihipStream_tbEUljE_EEESV_SW_SX_S14_S18_S1A_T6_T7_T9_mT8_S1C_bDpT10_ENKUlT_T0_E_clISt17integral_constantIbLb1EES1O_IbLb0EEEEDaS1K_S1L_EUlS1K_E_NS1_11comp_targetILNS1_3genE5ELNS1_11target_archE942ELNS1_3gpuE9ELNS1_3repE0EEENS1_30default_config_static_selectorELNS0_4arch9wavefront6targetE0EEEvSY_.has_indirect_call, 0
	.section	.AMDGPU.csdata,"",@progbits
; Kernel info:
; codeLenInByte = 0
; TotalNumSgprs: 0
; NumVgprs: 0
; ScratchSize: 0
; MemoryBound: 0
; FloatMode: 240
; IeeeMode: 1
; LDSByteSize: 0 bytes/workgroup (compile time only)
; SGPRBlocks: 0
; VGPRBlocks: 0
; NumSGPRsForWavesPerEU: 1
; NumVGPRsForWavesPerEU: 1
; Occupancy: 16
; WaveLimiterHint : 0
; COMPUTE_PGM_RSRC2:SCRATCH_EN: 0
; COMPUTE_PGM_RSRC2:USER_SGPR: 2
; COMPUTE_PGM_RSRC2:TRAP_HANDLER: 0
; COMPUTE_PGM_RSRC2:TGID_X_EN: 1
; COMPUTE_PGM_RSRC2:TGID_Y_EN: 0
; COMPUTE_PGM_RSRC2:TGID_Z_EN: 0
; COMPUTE_PGM_RSRC2:TIDIG_COMP_CNT: 0
	.section	.text._ZN7rocprim17ROCPRIM_400000_NS6detail17trampoline_kernelINS0_13select_configILj256ELj13ELNS0_17block_load_methodE3ELS4_3ELS4_3ELNS0_20block_scan_algorithmE0ELj4294967295EEENS1_25partition_config_selectorILNS1_17partition_subalgoE3EjNS0_10empty_typeEbEEZZNS1_14partition_implILS8_3ELb0ES6_jNS0_17counting_iteratorIjlEEPS9_SE_NS0_5tupleIJPjSE_EEENSF_IJSE_SE_EEES9_SG_JZNS1_25segmented_radix_sort_implINS0_14default_configELb0EPKaPaPKlPlN2at6native12_GLOBAL__N_18offset_tEEE10hipError_tPvRmT1_PNSt15iterator_traitsISY_E10value_typeET2_T3_PNSZ_IS14_E10value_typeET4_jRbjT5_S1A_jjP12ihipStream_tbEUljE_EEESV_SW_SX_S14_S18_S1A_T6_T7_T9_mT8_S1C_bDpT10_ENKUlT_T0_E_clISt17integral_constantIbLb1EES1O_IbLb0EEEEDaS1K_S1L_EUlS1K_E_NS1_11comp_targetILNS1_3genE4ELNS1_11target_archE910ELNS1_3gpuE8ELNS1_3repE0EEENS1_30default_config_static_selectorELNS0_4arch9wavefront6targetE0EEEvSY_,"axG",@progbits,_ZN7rocprim17ROCPRIM_400000_NS6detail17trampoline_kernelINS0_13select_configILj256ELj13ELNS0_17block_load_methodE3ELS4_3ELS4_3ELNS0_20block_scan_algorithmE0ELj4294967295EEENS1_25partition_config_selectorILNS1_17partition_subalgoE3EjNS0_10empty_typeEbEEZZNS1_14partition_implILS8_3ELb0ES6_jNS0_17counting_iteratorIjlEEPS9_SE_NS0_5tupleIJPjSE_EEENSF_IJSE_SE_EEES9_SG_JZNS1_25segmented_radix_sort_implINS0_14default_configELb0EPKaPaPKlPlN2at6native12_GLOBAL__N_18offset_tEEE10hipError_tPvRmT1_PNSt15iterator_traitsISY_E10value_typeET2_T3_PNSZ_IS14_E10value_typeET4_jRbjT5_S1A_jjP12ihipStream_tbEUljE_EEESV_SW_SX_S14_S18_S1A_T6_T7_T9_mT8_S1C_bDpT10_ENKUlT_T0_E_clISt17integral_constantIbLb1EES1O_IbLb0EEEEDaS1K_S1L_EUlS1K_E_NS1_11comp_targetILNS1_3genE4ELNS1_11target_archE910ELNS1_3gpuE8ELNS1_3repE0EEENS1_30default_config_static_selectorELNS0_4arch9wavefront6targetE0EEEvSY_,comdat
	.globl	_ZN7rocprim17ROCPRIM_400000_NS6detail17trampoline_kernelINS0_13select_configILj256ELj13ELNS0_17block_load_methodE3ELS4_3ELS4_3ELNS0_20block_scan_algorithmE0ELj4294967295EEENS1_25partition_config_selectorILNS1_17partition_subalgoE3EjNS0_10empty_typeEbEEZZNS1_14partition_implILS8_3ELb0ES6_jNS0_17counting_iteratorIjlEEPS9_SE_NS0_5tupleIJPjSE_EEENSF_IJSE_SE_EEES9_SG_JZNS1_25segmented_radix_sort_implINS0_14default_configELb0EPKaPaPKlPlN2at6native12_GLOBAL__N_18offset_tEEE10hipError_tPvRmT1_PNSt15iterator_traitsISY_E10value_typeET2_T3_PNSZ_IS14_E10value_typeET4_jRbjT5_S1A_jjP12ihipStream_tbEUljE_EEESV_SW_SX_S14_S18_S1A_T6_T7_T9_mT8_S1C_bDpT10_ENKUlT_T0_E_clISt17integral_constantIbLb1EES1O_IbLb0EEEEDaS1K_S1L_EUlS1K_E_NS1_11comp_targetILNS1_3genE4ELNS1_11target_archE910ELNS1_3gpuE8ELNS1_3repE0EEENS1_30default_config_static_selectorELNS0_4arch9wavefront6targetE0EEEvSY_ ; -- Begin function _ZN7rocprim17ROCPRIM_400000_NS6detail17trampoline_kernelINS0_13select_configILj256ELj13ELNS0_17block_load_methodE3ELS4_3ELS4_3ELNS0_20block_scan_algorithmE0ELj4294967295EEENS1_25partition_config_selectorILNS1_17partition_subalgoE3EjNS0_10empty_typeEbEEZZNS1_14partition_implILS8_3ELb0ES6_jNS0_17counting_iteratorIjlEEPS9_SE_NS0_5tupleIJPjSE_EEENSF_IJSE_SE_EEES9_SG_JZNS1_25segmented_radix_sort_implINS0_14default_configELb0EPKaPaPKlPlN2at6native12_GLOBAL__N_18offset_tEEE10hipError_tPvRmT1_PNSt15iterator_traitsISY_E10value_typeET2_T3_PNSZ_IS14_E10value_typeET4_jRbjT5_S1A_jjP12ihipStream_tbEUljE_EEESV_SW_SX_S14_S18_S1A_T6_T7_T9_mT8_S1C_bDpT10_ENKUlT_T0_E_clISt17integral_constantIbLb1EES1O_IbLb0EEEEDaS1K_S1L_EUlS1K_E_NS1_11comp_targetILNS1_3genE4ELNS1_11target_archE910ELNS1_3gpuE8ELNS1_3repE0EEENS1_30default_config_static_selectorELNS0_4arch9wavefront6targetE0EEEvSY_
	.p2align	8
	.type	_ZN7rocprim17ROCPRIM_400000_NS6detail17trampoline_kernelINS0_13select_configILj256ELj13ELNS0_17block_load_methodE3ELS4_3ELS4_3ELNS0_20block_scan_algorithmE0ELj4294967295EEENS1_25partition_config_selectorILNS1_17partition_subalgoE3EjNS0_10empty_typeEbEEZZNS1_14partition_implILS8_3ELb0ES6_jNS0_17counting_iteratorIjlEEPS9_SE_NS0_5tupleIJPjSE_EEENSF_IJSE_SE_EEES9_SG_JZNS1_25segmented_radix_sort_implINS0_14default_configELb0EPKaPaPKlPlN2at6native12_GLOBAL__N_18offset_tEEE10hipError_tPvRmT1_PNSt15iterator_traitsISY_E10value_typeET2_T3_PNSZ_IS14_E10value_typeET4_jRbjT5_S1A_jjP12ihipStream_tbEUljE_EEESV_SW_SX_S14_S18_S1A_T6_T7_T9_mT8_S1C_bDpT10_ENKUlT_T0_E_clISt17integral_constantIbLb1EES1O_IbLb0EEEEDaS1K_S1L_EUlS1K_E_NS1_11comp_targetILNS1_3genE4ELNS1_11target_archE910ELNS1_3gpuE8ELNS1_3repE0EEENS1_30default_config_static_selectorELNS0_4arch9wavefront6targetE0EEEvSY_,@function
_ZN7rocprim17ROCPRIM_400000_NS6detail17trampoline_kernelINS0_13select_configILj256ELj13ELNS0_17block_load_methodE3ELS4_3ELS4_3ELNS0_20block_scan_algorithmE0ELj4294967295EEENS1_25partition_config_selectorILNS1_17partition_subalgoE3EjNS0_10empty_typeEbEEZZNS1_14partition_implILS8_3ELb0ES6_jNS0_17counting_iteratorIjlEEPS9_SE_NS0_5tupleIJPjSE_EEENSF_IJSE_SE_EEES9_SG_JZNS1_25segmented_radix_sort_implINS0_14default_configELb0EPKaPaPKlPlN2at6native12_GLOBAL__N_18offset_tEEE10hipError_tPvRmT1_PNSt15iterator_traitsISY_E10value_typeET2_T3_PNSZ_IS14_E10value_typeET4_jRbjT5_S1A_jjP12ihipStream_tbEUljE_EEESV_SW_SX_S14_S18_S1A_T6_T7_T9_mT8_S1C_bDpT10_ENKUlT_T0_E_clISt17integral_constantIbLb1EES1O_IbLb0EEEEDaS1K_S1L_EUlS1K_E_NS1_11comp_targetILNS1_3genE4ELNS1_11target_archE910ELNS1_3gpuE8ELNS1_3repE0EEENS1_30default_config_static_selectorELNS0_4arch9wavefront6targetE0EEEvSY_: ; @_ZN7rocprim17ROCPRIM_400000_NS6detail17trampoline_kernelINS0_13select_configILj256ELj13ELNS0_17block_load_methodE3ELS4_3ELS4_3ELNS0_20block_scan_algorithmE0ELj4294967295EEENS1_25partition_config_selectorILNS1_17partition_subalgoE3EjNS0_10empty_typeEbEEZZNS1_14partition_implILS8_3ELb0ES6_jNS0_17counting_iteratorIjlEEPS9_SE_NS0_5tupleIJPjSE_EEENSF_IJSE_SE_EEES9_SG_JZNS1_25segmented_radix_sort_implINS0_14default_configELb0EPKaPaPKlPlN2at6native12_GLOBAL__N_18offset_tEEE10hipError_tPvRmT1_PNSt15iterator_traitsISY_E10value_typeET2_T3_PNSZ_IS14_E10value_typeET4_jRbjT5_S1A_jjP12ihipStream_tbEUljE_EEESV_SW_SX_S14_S18_S1A_T6_T7_T9_mT8_S1C_bDpT10_ENKUlT_T0_E_clISt17integral_constantIbLb1EES1O_IbLb0EEEEDaS1K_S1L_EUlS1K_E_NS1_11comp_targetILNS1_3genE4ELNS1_11target_archE910ELNS1_3gpuE8ELNS1_3repE0EEENS1_30default_config_static_selectorELNS0_4arch9wavefront6targetE0EEEvSY_
; %bb.0:
	.section	.rodata,"a",@progbits
	.p2align	6, 0x0
	.amdhsa_kernel _ZN7rocprim17ROCPRIM_400000_NS6detail17trampoline_kernelINS0_13select_configILj256ELj13ELNS0_17block_load_methodE3ELS4_3ELS4_3ELNS0_20block_scan_algorithmE0ELj4294967295EEENS1_25partition_config_selectorILNS1_17partition_subalgoE3EjNS0_10empty_typeEbEEZZNS1_14partition_implILS8_3ELb0ES6_jNS0_17counting_iteratorIjlEEPS9_SE_NS0_5tupleIJPjSE_EEENSF_IJSE_SE_EEES9_SG_JZNS1_25segmented_radix_sort_implINS0_14default_configELb0EPKaPaPKlPlN2at6native12_GLOBAL__N_18offset_tEEE10hipError_tPvRmT1_PNSt15iterator_traitsISY_E10value_typeET2_T3_PNSZ_IS14_E10value_typeET4_jRbjT5_S1A_jjP12ihipStream_tbEUljE_EEESV_SW_SX_S14_S18_S1A_T6_T7_T9_mT8_S1C_bDpT10_ENKUlT_T0_E_clISt17integral_constantIbLb1EES1O_IbLb0EEEEDaS1K_S1L_EUlS1K_E_NS1_11comp_targetILNS1_3genE4ELNS1_11target_archE910ELNS1_3gpuE8ELNS1_3repE0EEENS1_30default_config_static_selectorELNS0_4arch9wavefront6targetE0EEEvSY_
		.amdhsa_group_segment_fixed_size 0
		.amdhsa_private_segment_fixed_size 0
		.amdhsa_kernarg_size 144
		.amdhsa_user_sgpr_count 2
		.amdhsa_user_sgpr_dispatch_ptr 0
		.amdhsa_user_sgpr_queue_ptr 0
		.amdhsa_user_sgpr_kernarg_segment_ptr 1
		.amdhsa_user_sgpr_dispatch_id 0
		.amdhsa_user_sgpr_private_segment_size 0
		.amdhsa_wavefront_size32 1
		.amdhsa_uses_dynamic_stack 0
		.amdhsa_enable_private_segment 0
		.amdhsa_system_sgpr_workgroup_id_x 1
		.amdhsa_system_sgpr_workgroup_id_y 0
		.amdhsa_system_sgpr_workgroup_id_z 0
		.amdhsa_system_sgpr_workgroup_info 0
		.amdhsa_system_vgpr_workitem_id 0
		.amdhsa_next_free_vgpr 1
		.amdhsa_next_free_sgpr 1
		.amdhsa_reserve_vcc 0
		.amdhsa_float_round_mode_32 0
		.amdhsa_float_round_mode_16_64 0
		.amdhsa_float_denorm_mode_32 3
		.amdhsa_float_denorm_mode_16_64 3
		.amdhsa_fp16_overflow 0
		.amdhsa_workgroup_processor_mode 1
		.amdhsa_memory_ordered 1
		.amdhsa_forward_progress 1
		.amdhsa_inst_pref_size 0
		.amdhsa_round_robin_scheduling 0
		.amdhsa_exception_fp_ieee_invalid_op 0
		.amdhsa_exception_fp_denorm_src 0
		.amdhsa_exception_fp_ieee_div_zero 0
		.amdhsa_exception_fp_ieee_overflow 0
		.amdhsa_exception_fp_ieee_underflow 0
		.amdhsa_exception_fp_ieee_inexact 0
		.amdhsa_exception_int_div_zero 0
	.end_amdhsa_kernel
	.section	.text._ZN7rocprim17ROCPRIM_400000_NS6detail17trampoline_kernelINS0_13select_configILj256ELj13ELNS0_17block_load_methodE3ELS4_3ELS4_3ELNS0_20block_scan_algorithmE0ELj4294967295EEENS1_25partition_config_selectorILNS1_17partition_subalgoE3EjNS0_10empty_typeEbEEZZNS1_14partition_implILS8_3ELb0ES6_jNS0_17counting_iteratorIjlEEPS9_SE_NS0_5tupleIJPjSE_EEENSF_IJSE_SE_EEES9_SG_JZNS1_25segmented_radix_sort_implINS0_14default_configELb0EPKaPaPKlPlN2at6native12_GLOBAL__N_18offset_tEEE10hipError_tPvRmT1_PNSt15iterator_traitsISY_E10value_typeET2_T3_PNSZ_IS14_E10value_typeET4_jRbjT5_S1A_jjP12ihipStream_tbEUljE_EEESV_SW_SX_S14_S18_S1A_T6_T7_T9_mT8_S1C_bDpT10_ENKUlT_T0_E_clISt17integral_constantIbLb1EES1O_IbLb0EEEEDaS1K_S1L_EUlS1K_E_NS1_11comp_targetILNS1_3genE4ELNS1_11target_archE910ELNS1_3gpuE8ELNS1_3repE0EEENS1_30default_config_static_selectorELNS0_4arch9wavefront6targetE0EEEvSY_,"axG",@progbits,_ZN7rocprim17ROCPRIM_400000_NS6detail17trampoline_kernelINS0_13select_configILj256ELj13ELNS0_17block_load_methodE3ELS4_3ELS4_3ELNS0_20block_scan_algorithmE0ELj4294967295EEENS1_25partition_config_selectorILNS1_17partition_subalgoE3EjNS0_10empty_typeEbEEZZNS1_14partition_implILS8_3ELb0ES6_jNS0_17counting_iteratorIjlEEPS9_SE_NS0_5tupleIJPjSE_EEENSF_IJSE_SE_EEES9_SG_JZNS1_25segmented_radix_sort_implINS0_14default_configELb0EPKaPaPKlPlN2at6native12_GLOBAL__N_18offset_tEEE10hipError_tPvRmT1_PNSt15iterator_traitsISY_E10value_typeET2_T3_PNSZ_IS14_E10value_typeET4_jRbjT5_S1A_jjP12ihipStream_tbEUljE_EEESV_SW_SX_S14_S18_S1A_T6_T7_T9_mT8_S1C_bDpT10_ENKUlT_T0_E_clISt17integral_constantIbLb1EES1O_IbLb0EEEEDaS1K_S1L_EUlS1K_E_NS1_11comp_targetILNS1_3genE4ELNS1_11target_archE910ELNS1_3gpuE8ELNS1_3repE0EEENS1_30default_config_static_selectorELNS0_4arch9wavefront6targetE0EEEvSY_,comdat
.Lfunc_end379:
	.size	_ZN7rocprim17ROCPRIM_400000_NS6detail17trampoline_kernelINS0_13select_configILj256ELj13ELNS0_17block_load_methodE3ELS4_3ELS4_3ELNS0_20block_scan_algorithmE0ELj4294967295EEENS1_25partition_config_selectorILNS1_17partition_subalgoE3EjNS0_10empty_typeEbEEZZNS1_14partition_implILS8_3ELb0ES6_jNS0_17counting_iteratorIjlEEPS9_SE_NS0_5tupleIJPjSE_EEENSF_IJSE_SE_EEES9_SG_JZNS1_25segmented_radix_sort_implINS0_14default_configELb0EPKaPaPKlPlN2at6native12_GLOBAL__N_18offset_tEEE10hipError_tPvRmT1_PNSt15iterator_traitsISY_E10value_typeET2_T3_PNSZ_IS14_E10value_typeET4_jRbjT5_S1A_jjP12ihipStream_tbEUljE_EEESV_SW_SX_S14_S18_S1A_T6_T7_T9_mT8_S1C_bDpT10_ENKUlT_T0_E_clISt17integral_constantIbLb1EES1O_IbLb0EEEEDaS1K_S1L_EUlS1K_E_NS1_11comp_targetILNS1_3genE4ELNS1_11target_archE910ELNS1_3gpuE8ELNS1_3repE0EEENS1_30default_config_static_selectorELNS0_4arch9wavefront6targetE0EEEvSY_, .Lfunc_end379-_ZN7rocprim17ROCPRIM_400000_NS6detail17trampoline_kernelINS0_13select_configILj256ELj13ELNS0_17block_load_methodE3ELS4_3ELS4_3ELNS0_20block_scan_algorithmE0ELj4294967295EEENS1_25partition_config_selectorILNS1_17partition_subalgoE3EjNS0_10empty_typeEbEEZZNS1_14partition_implILS8_3ELb0ES6_jNS0_17counting_iteratorIjlEEPS9_SE_NS0_5tupleIJPjSE_EEENSF_IJSE_SE_EEES9_SG_JZNS1_25segmented_radix_sort_implINS0_14default_configELb0EPKaPaPKlPlN2at6native12_GLOBAL__N_18offset_tEEE10hipError_tPvRmT1_PNSt15iterator_traitsISY_E10value_typeET2_T3_PNSZ_IS14_E10value_typeET4_jRbjT5_S1A_jjP12ihipStream_tbEUljE_EEESV_SW_SX_S14_S18_S1A_T6_T7_T9_mT8_S1C_bDpT10_ENKUlT_T0_E_clISt17integral_constantIbLb1EES1O_IbLb0EEEEDaS1K_S1L_EUlS1K_E_NS1_11comp_targetILNS1_3genE4ELNS1_11target_archE910ELNS1_3gpuE8ELNS1_3repE0EEENS1_30default_config_static_selectorELNS0_4arch9wavefront6targetE0EEEvSY_
                                        ; -- End function
	.set _ZN7rocprim17ROCPRIM_400000_NS6detail17trampoline_kernelINS0_13select_configILj256ELj13ELNS0_17block_load_methodE3ELS4_3ELS4_3ELNS0_20block_scan_algorithmE0ELj4294967295EEENS1_25partition_config_selectorILNS1_17partition_subalgoE3EjNS0_10empty_typeEbEEZZNS1_14partition_implILS8_3ELb0ES6_jNS0_17counting_iteratorIjlEEPS9_SE_NS0_5tupleIJPjSE_EEENSF_IJSE_SE_EEES9_SG_JZNS1_25segmented_radix_sort_implINS0_14default_configELb0EPKaPaPKlPlN2at6native12_GLOBAL__N_18offset_tEEE10hipError_tPvRmT1_PNSt15iterator_traitsISY_E10value_typeET2_T3_PNSZ_IS14_E10value_typeET4_jRbjT5_S1A_jjP12ihipStream_tbEUljE_EEESV_SW_SX_S14_S18_S1A_T6_T7_T9_mT8_S1C_bDpT10_ENKUlT_T0_E_clISt17integral_constantIbLb1EES1O_IbLb0EEEEDaS1K_S1L_EUlS1K_E_NS1_11comp_targetILNS1_3genE4ELNS1_11target_archE910ELNS1_3gpuE8ELNS1_3repE0EEENS1_30default_config_static_selectorELNS0_4arch9wavefront6targetE0EEEvSY_.num_vgpr, 0
	.set _ZN7rocprim17ROCPRIM_400000_NS6detail17trampoline_kernelINS0_13select_configILj256ELj13ELNS0_17block_load_methodE3ELS4_3ELS4_3ELNS0_20block_scan_algorithmE0ELj4294967295EEENS1_25partition_config_selectorILNS1_17partition_subalgoE3EjNS0_10empty_typeEbEEZZNS1_14partition_implILS8_3ELb0ES6_jNS0_17counting_iteratorIjlEEPS9_SE_NS0_5tupleIJPjSE_EEENSF_IJSE_SE_EEES9_SG_JZNS1_25segmented_radix_sort_implINS0_14default_configELb0EPKaPaPKlPlN2at6native12_GLOBAL__N_18offset_tEEE10hipError_tPvRmT1_PNSt15iterator_traitsISY_E10value_typeET2_T3_PNSZ_IS14_E10value_typeET4_jRbjT5_S1A_jjP12ihipStream_tbEUljE_EEESV_SW_SX_S14_S18_S1A_T6_T7_T9_mT8_S1C_bDpT10_ENKUlT_T0_E_clISt17integral_constantIbLb1EES1O_IbLb0EEEEDaS1K_S1L_EUlS1K_E_NS1_11comp_targetILNS1_3genE4ELNS1_11target_archE910ELNS1_3gpuE8ELNS1_3repE0EEENS1_30default_config_static_selectorELNS0_4arch9wavefront6targetE0EEEvSY_.num_agpr, 0
	.set _ZN7rocprim17ROCPRIM_400000_NS6detail17trampoline_kernelINS0_13select_configILj256ELj13ELNS0_17block_load_methodE3ELS4_3ELS4_3ELNS0_20block_scan_algorithmE0ELj4294967295EEENS1_25partition_config_selectorILNS1_17partition_subalgoE3EjNS0_10empty_typeEbEEZZNS1_14partition_implILS8_3ELb0ES6_jNS0_17counting_iteratorIjlEEPS9_SE_NS0_5tupleIJPjSE_EEENSF_IJSE_SE_EEES9_SG_JZNS1_25segmented_radix_sort_implINS0_14default_configELb0EPKaPaPKlPlN2at6native12_GLOBAL__N_18offset_tEEE10hipError_tPvRmT1_PNSt15iterator_traitsISY_E10value_typeET2_T3_PNSZ_IS14_E10value_typeET4_jRbjT5_S1A_jjP12ihipStream_tbEUljE_EEESV_SW_SX_S14_S18_S1A_T6_T7_T9_mT8_S1C_bDpT10_ENKUlT_T0_E_clISt17integral_constantIbLb1EES1O_IbLb0EEEEDaS1K_S1L_EUlS1K_E_NS1_11comp_targetILNS1_3genE4ELNS1_11target_archE910ELNS1_3gpuE8ELNS1_3repE0EEENS1_30default_config_static_selectorELNS0_4arch9wavefront6targetE0EEEvSY_.numbered_sgpr, 0
	.set _ZN7rocprim17ROCPRIM_400000_NS6detail17trampoline_kernelINS0_13select_configILj256ELj13ELNS0_17block_load_methodE3ELS4_3ELS4_3ELNS0_20block_scan_algorithmE0ELj4294967295EEENS1_25partition_config_selectorILNS1_17partition_subalgoE3EjNS0_10empty_typeEbEEZZNS1_14partition_implILS8_3ELb0ES6_jNS0_17counting_iteratorIjlEEPS9_SE_NS0_5tupleIJPjSE_EEENSF_IJSE_SE_EEES9_SG_JZNS1_25segmented_radix_sort_implINS0_14default_configELb0EPKaPaPKlPlN2at6native12_GLOBAL__N_18offset_tEEE10hipError_tPvRmT1_PNSt15iterator_traitsISY_E10value_typeET2_T3_PNSZ_IS14_E10value_typeET4_jRbjT5_S1A_jjP12ihipStream_tbEUljE_EEESV_SW_SX_S14_S18_S1A_T6_T7_T9_mT8_S1C_bDpT10_ENKUlT_T0_E_clISt17integral_constantIbLb1EES1O_IbLb0EEEEDaS1K_S1L_EUlS1K_E_NS1_11comp_targetILNS1_3genE4ELNS1_11target_archE910ELNS1_3gpuE8ELNS1_3repE0EEENS1_30default_config_static_selectorELNS0_4arch9wavefront6targetE0EEEvSY_.num_named_barrier, 0
	.set _ZN7rocprim17ROCPRIM_400000_NS6detail17trampoline_kernelINS0_13select_configILj256ELj13ELNS0_17block_load_methodE3ELS4_3ELS4_3ELNS0_20block_scan_algorithmE0ELj4294967295EEENS1_25partition_config_selectorILNS1_17partition_subalgoE3EjNS0_10empty_typeEbEEZZNS1_14partition_implILS8_3ELb0ES6_jNS0_17counting_iteratorIjlEEPS9_SE_NS0_5tupleIJPjSE_EEENSF_IJSE_SE_EEES9_SG_JZNS1_25segmented_radix_sort_implINS0_14default_configELb0EPKaPaPKlPlN2at6native12_GLOBAL__N_18offset_tEEE10hipError_tPvRmT1_PNSt15iterator_traitsISY_E10value_typeET2_T3_PNSZ_IS14_E10value_typeET4_jRbjT5_S1A_jjP12ihipStream_tbEUljE_EEESV_SW_SX_S14_S18_S1A_T6_T7_T9_mT8_S1C_bDpT10_ENKUlT_T0_E_clISt17integral_constantIbLb1EES1O_IbLb0EEEEDaS1K_S1L_EUlS1K_E_NS1_11comp_targetILNS1_3genE4ELNS1_11target_archE910ELNS1_3gpuE8ELNS1_3repE0EEENS1_30default_config_static_selectorELNS0_4arch9wavefront6targetE0EEEvSY_.private_seg_size, 0
	.set _ZN7rocprim17ROCPRIM_400000_NS6detail17trampoline_kernelINS0_13select_configILj256ELj13ELNS0_17block_load_methodE3ELS4_3ELS4_3ELNS0_20block_scan_algorithmE0ELj4294967295EEENS1_25partition_config_selectorILNS1_17partition_subalgoE3EjNS0_10empty_typeEbEEZZNS1_14partition_implILS8_3ELb0ES6_jNS0_17counting_iteratorIjlEEPS9_SE_NS0_5tupleIJPjSE_EEENSF_IJSE_SE_EEES9_SG_JZNS1_25segmented_radix_sort_implINS0_14default_configELb0EPKaPaPKlPlN2at6native12_GLOBAL__N_18offset_tEEE10hipError_tPvRmT1_PNSt15iterator_traitsISY_E10value_typeET2_T3_PNSZ_IS14_E10value_typeET4_jRbjT5_S1A_jjP12ihipStream_tbEUljE_EEESV_SW_SX_S14_S18_S1A_T6_T7_T9_mT8_S1C_bDpT10_ENKUlT_T0_E_clISt17integral_constantIbLb1EES1O_IbLb0EEEEDaS1K_S1L_EUlS1K_E_NS1_11comp_targetILNS1_3genE4ELNS1_11target_archE910ELNS1_3gpuE8ELNS1_3repE0EEENS1_30default_config_static_selectorELNS0_4arch9wavefront6targetE0EEEvSY_.uses_vcc, 0
	.set _ZN7rocprim17ROCPRIM_400000_NS6detail17trampoline_kernelINS0_13select_configILj256ELj13ELNS0_17block_load_methodE3ELS4_3ELS4_3ELNS0_20block_scan_algorithmE0ELj4294967295EEENS1_25partition_config_selectorILNS1_17partition_subalgoE3EjNS0_10empty_typeEbEEZZNS1_14partition_implILS8_3ELb0ES6_jNS0_17counting_iteratorIjlEEPS9_SE_NS0_5tupleIJPjSE_EEENSF_IJSE_SE_EEES9_SG_JZNS1_25segmented_radix_sort_implINS0_14default_configELb0EPKaPaPKlPlN2at6native12_GLOBAL__N_18offset_tEEE10hipError_tPvRmT1_PNSt15iterator_traitsISY_E10value_typeET2_T3_PNSZ_IS14_E10value_typeET4_jRbjT5_S1A_jjP12ihipStream_tbEUljE_EEESV_SW_SX_S14_S18_S1A_T6_T7_T9_mT8_S1C_bDpT10_ENKUlT_T0_E_clISt17integral_constantIbLb1EES1O_IbLb0EEEEDaS1K_S1L_EUlS1K_E_NS1_11comp_targetILNS1_3genE4ELNS1_11target_archE910ELNS1_3gpuE8ELNS1_3repE0EEENS1_30default_config_static_selectorELNS0_4arch9wavefront6targetE0EEEvSY_.uses_flat_scratch, 0
	.set _ZN7rocprim17ROCPRIM_400000_NS6detail17trampoline_kernelINS0_13select_configILj256ELj13ELNS0_17block_load_methodE3ELS4_3ELS4_3ELNS0_20block_scan_algorithmE0ELj4294967295EEENS1_25partition_config_selectorILNS1_17partition_subalgoE3EjNS0_10empty_typeEbEEZZNS1_14partition_implILS8_3ELb0ES6_jNS0_17counting_iteratorIjlEEPS9_SE_NS0_5tupleIJPjSE_EEENSF_IJSE_SE_EEES9_SG_JZNS1_25segmented_radix_sort_implINS0_14default_configELb0EPKaPaPKlPlN2at6native12_GLOBAL__N_18offset_tEEE10hipError_tPvRmT1_PNSt15iterator_traitsISY_E10value_typeET2_T3_PNSZ_IS14_E10value_typeET4_jRbjT5_S1A_jjP12ihipStream_tbEUljE_EEESV_SW_SX_S14_S18_S1A_T6_T7_T9_mT8_S1C_bDpT10_ENKUlT_T0_E_clISt17integral_constantIbLb1EES1O_IbLb0EEEEDaS1K_S1L_EUlS1K_E_NS1_11comp_targetILNS1_3genE4ELNS1_11target_archE910ELNS1_3gpuE8ELNS1_3repE0EEENS1_30default_config_static_selectorELNS0_4arch9wavefront6targetE0EEEvSY_.has_dyn_sized_stack, 0
	.set _ZN7rocprim17ROCPRIM_400000_NS6detail17trampoline_kernelINS0_13select_configILj256ELj13ELNS0_17block_load_methodE3ELS4_3ELS4_3ELNS0_20block_scan_algorithmE0ELj4294967295EEENS1_25partition_config_selectorILNS1_17partition_subalgoE3EjNS0_10empty_typeEbEEZZNS1_14partition_implILS8_3ELb0ES6_jNS0_17counting_iteratorIjlEEPS9_SE_NS0_5tupleIJPjSE_EEENSF_IJSE_SE_EEES9_SG_JZNS1_25segmented_radix_sort_implINS0_14default_configELb0EPKaPaPKlPlN2at6native12_GLOBAL__N_18offset_tEEE10hipError_tPvRmT1_PNSt15iterator_traitsISY_E10value_typeET2_T3_PNSZ_IS14_E10value_typeET4_jRbjT5_S1A_jjP12ihipStream_tbEUljE_EEESV_SW_SX_S14_S18_S1A_T6_T7_T9_mT8_S1C_bDpT10_ENKUlT_T0_E_clISt17integral_constantIbLb1EES1O_IbLb0EEEEDaS1K_S1L_EUlS1K_E_NS1_11comp_targetILNS1_3genE4ELNS1_11target_archE910ELNS1_3gpuE8ELNS1_3repE0EEENS1_30default_config_static_selectorELNS0_4arch9wavefront6targetE0EEEvSY_.has_recursion, 0
	.set _ZN7rocprim17ROCPRIM_400000_NS6detail17trampoline_kernelINS0_13select_configILj256ELj13ELNS0_17block_load_methodE3ELS4_3ELS4_3ELNS0_20block_scan_algorithmE0ELj4294967295EEENS1_25partition_config_selectorILNS1_17partition_subalgoE3EjNS0_10empty_typeEbEEZZNS1_14partition_implILS8_3ELb0ES6_jNS0_17counting_iteratorIjlEEPS9_SE_NS0_5tupleIJPjSE_EEENSF_IJSE_SE_EEES9_SG_JZNS1_25segmented_radix_sort_implINS0_14default_configELb0EPKaPaPKlPlN2at6native12_GLOBAL__N_18offset_tEEE10hipError_tPvRmT1_PNSt15iterator_traitsISY_E10value_typeET2_T3_PNSZ_IS14_E10value_typeET4_jRbjT5_S1A_jjP12ihipStream_tbEUljE_EEESV_SW_SX_S14_S18_S1A_T6_T7_T9_mT8_S1C_bDpT10_ENKUlT_T0_E_clISt17integral_constantIbLb1EES1O_IbLb0EEEEDaS1K_S1L_EUlS1K_E_NS1_11comp_targetILNS1_3genE4ELNS1_11target_archE910ELNS1_3gpuE8ELNS1_3repE0EEENS1_30default_config_static_selectorELNS0_4arch9wavefront6targetE0EEEvSY_.has_indirect_call, 0
	.section	.AMDGPU.csdata,"",@progbits
; Kernel info:
; codeLenInByte = 0
; TotalNumSgprs: 0
; NumVgprs: 0
; ScratchSize: 0
; MemoryBound: 0
; FloatMode: 240
; IeeeMode: 1
; LDSByteSize: 0 bytes/workgroup (compile time only)
; SGPRBlocks: 0
; VGPRBlocks: 0
; NumSGPRsForWavesPerEU: 1
; NumVGPRsForWavesPerEU: 1
; Occupancy: 16
; WaveLimiterHint : 0
; COMPUTE_PGM_RSRC2:SCRATCH_EN: 0
; COMPUTE_PGM_RSRC2:USER_SGPR: 2
; COMPUTE_PGM_RSRC2:TRAP_HANDLER: 0
; COMPUTE_PGM_RSRC2:TGID_X_EN: 1
; COMPUTE_PGM_RSRC2:TGID_Y_EN: 0
; COMPUTE_PGM_RSRC2:TGID_Z_EN: 0
; COMPUTE_PGM_RSRC2:TIDIG_COMP_CNT: 0
	.section	.text._ZN7rocprim17ROCPRIM_400000_NS6detail17trampoline_kernelINS0_13select_configILj256ELj13ELNS0_17block_load_methodE3ELS4_3ELS4_3ELNS0_20block_scan_algorithmE0ELj4294967295EEENS1_25partition_config_selectorILNS1_17partition_subalgoE3EjNS0_10empty_typeEbEEZZNS1_14partition_implILS8_3ELb0ES6_jNS0_17counting_iteratorIjlEEPS9_SE_NS0_5tupleIJPjSE_EEENSF_IJSE_SE_EEES9_SG_JZNS1_25segmented_radix_sort_implINS0_14default_configELb0EPKaPaPKlPlN2at6native12_GLOBAL__N_18offset_tEEE10hipError_tPvRmT1_PNSt15iterator_traitsISY_E10value_typeET2_T3_PNSZ_IS14_E10value_typeET4_jRbjT5_S1A_jjP12ihipStream_tbEUljE_EEESV_SW_SX_S14_S18_S1A_T6_T7_T9_mT8_S1C_bDpT10_ENKUlT_T0_E_clISt17integral_constantIbLb1EES1O_IbLb0EEEEDaS1K_S1L_EUlS1K_E_NS1_11comp_targetILNS1_3genE3ELNS1_11target_archE908ELNS1_3gpuE7ELNS1_3repE0EEENS1_30default_config_static_selectorELNS0_4arch9wavefront6targetE0EEEvSY_,"axG",@progbits,_ZN7rocprim17ROCPRIM_400000_NS6detail17trampoline_kernelINS0_13select_configILj256ELj13ELNS0_17block_load_methodE3ELS4_3ELS4_3ELNS0_20block_scan_algorithmE0ELj4294967295EEENS1_25partition_config_selectorILNS1_17partition_subalgoE3EjNS0_10empty_typeEbEEZZNS1_14partition_implILS8_3ELb0ES6_jNS0_17counting_iteratorIjlEEPS9_SE_NS0_5tupleIJPjSE_EEENSF_IJSE_SE_EEES9_SG_JZNS1_25segmented_radix_sort_implINS0_14default_configELb0EPKaPaPKlPlN2at6native12_GLOBAL__N_18offset_tEEE10hipError_tPvRmT1_PNSt15iterator_traitsISY_E10value_typeET2_T3_PNSZ_IS14_E10value_typeET4_jRbjT5_S1A_jjP12ihipStream_tbEUljE_EEESV_SW_SX_S14_S18_S1A_T6_T7_T9_mT8_S1C_bDpT10_ENKUlT_T0_E_clISt17integral_constantIbLb1EES1O_IbLb0EEEEDaS1K_S1L_EUlS1K_E_NS1_11comp_targetILNS1_3genE3ELNS1_11target_archE908ELNS1_3gpuE7ELNS1_3repE0EEENS1_30default_config_static_selectorELNS0_4arch9wavefront6targetE0EEEvSY_,comdat
	.globl	_ZN7rocprim17ROCPRIM_400000_NS6detail17trampoline_kernelINS0_13select_configILj256ELj13ELNS0_17block_load_methodE3ELS4_3ELS4_3ELNS0_20block_scan_algorithmE0ELj4294967295EEENS1_25partition_config_selectorILNS1_17partition_subalgoE3EjNS0_10empty_typeEbEEZZNS1_14partition_implILS8_3ELb0ES6_jNS0_17counting_iteratorIjlEEPS9_SE_NS0_5tupleIJPjSE_EEENSF_IJSE_SE_EEES9_SG_JZNS1_25segmented_radix_sort_implINS0_14default_configELb0EPKaPaPKlPlN2at6native12_GLOBAL__N_18offset_tEEE10hipError_tPvRmT1_PNSt15iterator_traitsISY_E10value_typeET2_T3_PNSZ_IS14_E10value_typeET4_jRbjT5_S1A_jjP12ihipStream_tbEUljE_EEESV_SW_SX_S14_S18_S1A_T6_T7_T9_mT8_S1C_bDpT10_ENKUlT_T0_E_clISt17integral_constantIbLb1EES1O_IbLb0EEEEDaS1K_S1L_EUlS1K_E_NS1_11comp_targetILNS1_3genE3ELNS1_11target_archE908ELNS1_3gpuE7ELNS1_3repE0EEENS1_30default_config_static_selectorELNS0_4arch9wavefront6targetE0EEEvSY_ ; -- Begin function _ZN7rocprim17ROCPRIM_400000_NS6detail17trampoline_kernelINS0_13select_configILj256ELj13ELNS0_17block_load_methodE3ELS4_3ELS4_3ELNS0_20block_scan_algorithmE0ELj4294967295EEENS1_25partition_config_selectorILNS1_17partition_subalgoE3EjNS0_10empty_typeEbEEZZNS1_14partition_implILS8_3ELb0ES6_jNS0_17counting_iteratorIjlEEPS9_SE_NS0_5tupleIJPjSE_EEENSF_IJSE_SE_EEES9_SG_JZNS1_25segmented_radix_sort_implINS0_14default_configELb0EPKaPaPKlPlN2at6native12_GLOBAL__N_18offset_tEEE10hipError_tPvRmT1_PNSt15iterator_traitsISY_E10value_typeET2_T3_PNSZ_IS14_E10value_typeET4_jRbjT5_S1A_jjP12ihipStream_tbEUljE_EEESV_SW_SX_S14_S18_S1A_T6_T7_T9_mT8_S1C_bDpT10_ENKUlT_T0_E_clISt17integral_constantIbLb1EES1O_IbLb0EEEEDaS1K_S1L_EUlS1K_E_NS1_11comp_targetILNS1_3genE3ELNS1_11target_archE908ELNS1_3gpuE7ELNS1_3repE0EEENS1_30default_config_static_selectorELNS0_4arch9wavefront6targetE0EEEvSY_
	.p2align	8
	.type	_ZN7rocprim17ROCPRIM_400000_NS6detail17trampoline_kernelINS0_13select_configILj256ELj13ELNS0_17block_load_methodE3ELS4_3ELS4_3ELNS0_20block_scan_algorithmE0ELj4294967295EEENS1_25partition_config_selectorILNS1_17partition_subalgoE3EjNS0_10empty_typeEbEEZZNS1_14partition_implILS8_3ELb0ES6_jNS0_17counting_iteratorIjlEEPS9_SE_NS0_5tupleIJPjSE_EEENSF_IJSE_SE_EEES9_SG_JZNS1_25segmented_radix_sort_implINS0_14default_configELb0EPKaPaPKlPlN2at6native12_GLOBAL__N_18offset_tEEE10hipError_tPvRmT1_PNSt15iterator_traitsISY_E10value_typeET2_T3_PNSZ_IS14_E10value_typeET4_jRbjT5_S1A_jjP12ihipStream_tbEUljE_EEESV_SW_SX_S14_S18_S1A_T6_T7_T9_mT8_S1C_bDpT10_ENKUlT_T0_E_clISt17integral_constantIbLb1EES1O_IbLb0EEEEDaS1K_S1L_EUlS1K_E_NS1_11comp_targetILNS1_3genE3ELNS1_11target_archE908ELNS1_3gpuE7ELNS1_3repE0EEENS1_30default_config_static_selectorELNS0_4arch9wavefront6targetE0EEEvSY_,@function
_ZN7rocprim17ROCPRIM_400000_NS6detail17trampoline_kernelINS0_13select_configILj256ELj13ELNS0_17block_load_methodE3ELS4_3ELS4_3ELNS0_20block_scan_algorithmE0ELj4294967295EEENS1_25partition_config_selectorILNS1_17partition_subalgoE3EjNS0_10empty_typeEbEEZZNS1_14partition_implILS8_3ELb0ES6_jNS0_17counting_iteratorIjlEEPS9_SE_NS0_5tupleIJPjSE_EEENSF_IJSE_SE_EEES9_SG_JZNS1_25segmented_radix_sort_implINS0_14default_configELb0EPKaPaPKlPlN2at6native12_GLOBAL__N_18offset_tEEE10hipError_tPvRmT1_PNSt15iterator_traitsISY_E10value_typeET2_T3_PNSZ_IS14_E10value_typeET4_jRbjT5_S1A_jjP12ihipStream_tbEUljE_EEESV_SW_SX_S14_S18_S1A_T6_T7_T9_mT8_S1C_bDpT10_ENKUlT_T0_E_clISt17integral_constantIbLb1EES1O_IbLb0EEEEDaS1K_S1L_EUlS1K_E_NS1_11comp_targetILNS1_3genE3ELNS1_11target_archE908ELNS1_3gpuE7ELNS1_3repE0EEENS1_30default_config_static_selectorELNS0_4arch9wavefront6targetE0EEEvSY_: ; @_ZN7rocprim17ROCPRIM_400000_NS6detail17trampoline_kernelINS0_13select_configILj256ELj13ELNS0_17block_load_methodE3ELS4_3ELS4_3ELNS0_20block_scan_algorithmE0ELj4294967295EEENS1_25partition_config_selectorILNS1_17partition_subalgoE3EjNS0_10empty_typeEbEEZZNS1_14partition_implILS8_3ELb0ES6_jNS0_17counting_iteratorIjlEEPS9_SE_NS0_5tupleIJPjSE_EEENSF_IJSE_SE_EEES9_SG_JZNS1_25segmented_radix_sort_implINS0_14default_configELb0EPKaPaPKlPlN2at6native12_GLOBAL__N_18offset_tEEE10hipError_tPvRmT1_PNSt15iterator_traitsISY_E10value_typeET2_T3_PNSZ_IS14_E10value_typeET4_jRbjT5_S1A_jjP12ihipStream_tbEUljE_EEESV_SW_SX_S14_S18_S1A_T6_T7_T9_mT8_S1C_bDpT10_ENKUlT_T0_E_clISt17integral_constantIbLb1EES1O_IbLb0EEEEDaS1K_S1L_EUlS1K_E_NS1_11comp_targetILNS1_3genE3ELNS1_11target_archE908ELNS1_3gpuE7ELNS1_3repE0EEENS1_30default_config_static_selectorELNS0_4arch9wavefront6targetE0EEEvSY_
; %bb.0:
	.section	.rodata,"a",@progbits
	.p2align	6, 0x0
	.amdhsa_kernel _ZN7rocprim17ROCPRIM_400000_NS6detail17trampoline_kernelINS0_13select_configILj256ELj13ELNS0_17block_load_methodE3ELS4_3ELS4_3ELNS0_20block_scan_algorithmE0ELj4294967295EEENS1_25partition_config_selectorILNS1_17partition_subalgoE3EjNS0_10empty_typeEbEEZZNS1_14partition_implILS8_3ELb0ES6_jNS0_17counting_iteratorIjlEEPS9_SE_NS0_5tupleIJPjSE_EEENSF_IJSE_SE_EEES9_SG_JZNS1_25segmented_radix_sort_implINS0_14default_configELb0EPKaPaPKlPlN2at6native12_GLOBAL__N_18offset_tEEE10hipError_tPvRmT1_PNSt15iterator_traitsISY_E10value_typeET2_T3_PNSZ_IS14_E10value_typeET4_jRbjT5_S1A_jjP12ihipStream_tbEUljE_EEESV_SW_SX_S14_S18_S1A_T6_T7_T9_mT8_S1C_bDpT10_ENKUlT_T0_E_clISt17integral_constantIbLb1EES1O_IbLb0EEEEDaS1K_S1L_EUlS1K_E_NS1_11comp_targetILNS1_3genE3ELNS1_11target_archE908ELNS1_3gpuE7ELNS1_3repE0EEENS1_30default_config_static_selectorELNS0_4arch9wavefront6targetE0EEEvSY_
		.amdhsa_group_segment_fixed_size 0
		.amdhsa_private_segment_fixed_size 0
		.amdhsa_kernarg_size 144
		.amdhsa_user_sgpr_count 2
		.amdhsa_user_sgpr_dispatch_ptr 0
		.amdhsa_user_sgpr_queue_ptr 0
		.amdhsa_user_sgpr_kernarg_segment_ptr 1
		.amdhsa_user_sgpr_dispatch_id 0
		.amdhsa_user_sgpr_private_segment_size 0
		.amdhsa_wavefront_size32 1
		.amdhsa_uses_dynamic_stack 0
		.amdhsa_enable_private_segment 0
		.amdhsa_system_sgpr_workgroup_id_x 1
		.amdhsa_system_sgpr_workgroup_id_y 0
		.amdhsa_system_sgpr_workgroup_id_z 0
		.amdhsa_system_sgpr_workgroup_info 0
		.amdhsa_system_vgpr_workitem_id 0
		.amdhsa_next_free_vgpr 1
		.amdhsa_next_free_sgpr 1
		.amdhsa_reserve_vcc 0
		.amdhsa_float_round_mode_32 0
		.amdhsa_float_round_mode_16_64 0
		.amdhsa_float_denorm_mode_32 3
		.amdhsa_float_denorm_mode_16_64 3
		.amdhsa_fp16_overflow 0
		.amdhsa_workgroup_processor_mode 1
		.amdhsa_memory_ordered 1
		.amdhsa_forward_progress 1
		.amdhsa_inst_pref_size 0
		.amdhsa_round_robin_scheduling 0
		.amdhsa_exception_fp_ieee_invalid_op 0
		.amdhsa_exception_fp_denorm_src 0
		.amdhsa_exception_fp_ieee_div_zero 0
		.amdhsa_exception_fp_ieee_overflow 0
		.amdhsa_exception_fp_ieee_underflow 0
		.amdhsa_exception_fp_ieee_inexact 0
		.amdhsa_exception_int_div_zero 0
	.end_amdhsa_kernel
	.section	.text._ZN7rocprim17ROCPRIM_400000_NS6detail17trampoline_kernelINS0_13select_configILj256ELj13ELNS0_17block_load_methodE3ELS4_3ELS4_3ELNS0_20block_scan_algorithmE0ELj4294967295EEENS1_25partition_config_selectorILNS1_17partition_subalgoE3EjNS0_10empty_typeEbEEZZNS1_14partition_implILS8_3ELb0ES6_jNS0_17counting_iteratorIjlEEPS9_SE_NS0_5tupleIJPjSE_EEENSF_IJSE_SE_EEES9_SG_JZNS1_25segmented_radix_sort_implINS0_14default_configELb0EPKaPaPKlPlN2at6native12_GLOBAL__N_18offset_tEEE10hipError_tPvRmT1_PNSt15iterator_traitsISY_E10value_typeET2_T3_PNSZ_IS14_E10value_typeET4_jRbjT5_S1A_jjP12ihipStream_tbEUljE_EEESV_SW_SX_S14_S18_S1A_T6_T7_T9_mT8_S1C_bDpT10_ENKUlT_T0_E_clISt17integral_constantIbLb1EES1O_IbLb0EEEEDaS1K_S1L_EUlS1K_E_NS1_11comp_targetILNS1_3genE3ELNS1_11target_archE908ELNS1_3gpuE7ELNS1_3repE0EEENS1_30default_config_static_selectorELNS0_4arch9wavefront6targetE0EEEvSY_,"axG",@progbits,_ZN7rocprim17ROCPRIM_400000_NS6detail17trampoline_kernelINS0_13select_configILj256ELj13ELNS0_17block_load_methodE3ELS4_3ELS4_3ELNS0_20block_scan_algorithmE0ELj4294967295EEENS1_25partition_config_selectorILNS1_17partition_subalgoE3EjNS0_10empty_typeEbEEZZNS1_14partition_implILS8_3ELb0ES6_jNS0_17counting_iteratorIjlEEPS9_SE_NS0_5tupleIJPjSE_EEENSF_IJSE_SE_EEES9_SG_JZNS1_25segmented_radix_sort_implINS0_14default_configELb0EPKaPaPKlPlN2at6native12_GLOBAL__N_18offset_tEEE10hipError_tPvRmT1_PNSt15iterator_traitsISY_E10value_typeET2_T3_PNSZ_IS14_E10value_typeET4_jRbjT5_S1A_jjP12ihipStream_tbEUljE_EEESV_SW_SX_S14_S18_S1A_T6_T7_T9_mT8_S1C_bDpT10_ENKUlT_T0_E_clISt17integral_constantIbLb1EES1O_IbLb0EEEEDaS1K_S1L_EUlS1K_E_NS1_11comp_targetILNS1_3genE3ELNS1_11target_archE908ELNS1_3gpuE7ELNS1_3repE0EEENS1_30default_config_static_selectorELNS0_4arch9wavefront6targetE0EEEvSY_,comdat
.Lfunc_end380:
	.size	_ZN7rocprim17ROCPRIM_400000_NS6detail17trampoline_kernelINS0_13select_configILj256ELj13ELNS0_17block_load_methodE3ELS4_3ELS4_3ELNS0_20block_scan_algorithmE0ELj4294967295EEENS1_25partition_config_selectorILNS1_17partition_subalgoE3EjNS0_10empty_typeEbEEZZNS1_14partition_implILS8_3ELb0ES6_jNS0_17counting_iteratorIjlEEPS9_SE_NS0_5tupleIJPjSE_EEENSF_IJSE_SE_EEES9_SG_JZNS1_25segmented_radix_sort_implINS0_14default_configELb0EPKaPaPKlPlN2at6native12_GLOBAL__N_18offset_tEEE10hipError_tPvRmT1_PNSt15iterator_traitsISY_E10value_typeET2_T3_PNSZ_IS14_E10value_typeET4_jRbjT5_S1A_jjP12ihipStream_tbEUljE_EEESV_SW_SX_S14_S18_S1A_T6_T7_T9_mT8_S1C_bDpT10_ENKUlT_T0_E_clISt17integral_constantIbLb1EES1O_IbLb0EEEEDaS1K_S1L_EUlS1K_E_NS1_11comp_targetILNS1_3genE3ELNS1_11target_archE908ELNS1_3gpuE7ELNS1_3repE0EEENS1_30default_config_static_selectorELNS0_4arch9wavefront6targetE0EEEvSY_, .Lfunc_end380-_ZN7rocprim17ROCPRIM_400000_NS6detail17trampoline_kernelINS0_13select_configILj256ELj13ELNS0_17block_load_methodE3ELS4_3ELS4_3ELNS0_20block_scan_algorithmE0ELj4294967295EEENS1_25partition_config_selectorILNS1_17partition_subalgoE3EjNS0_10empty_typeEbEEZZNS1_14partition_implILS8_3ELb0ES6_jNS0_17counting_iteratorIjlEEPS9_SE_NS0_5tupleIJPjSE_EEENSF_IJSE_SE_EEES9_SG_JZNS1_25segmented_radix_sort_implINS0_14default_configELb0EPKaPaPKlPlN2at6native12_GLOBAL__N_18offset_tEEE10hipError_tPvRmT1_PNSt15iterator_traitsISY_E10value_typeET2_T3_PNSZ_IS14_E10value_typeET4_jRbjT5_S1A_jjP12ihipStream_tbEUljE_EEESV_SW_SX_S14_S18_S1A_T6_T7_T9_mT8_S1C_bDpT10_ENKUlT_T0_E_clISt17integral_constantIbLb1EES1O_IbLb0EEEEDaS1K_S1L_EUlS1K_E_NS1_11comp_targetILNS1_3genE3ELNS1_11target_archE908ELNS1_3gpuE7ELNS1_3repE0EEENS1_30default_config_static_selectorELNS0_4arch9wavefront6targetE0EEEvSY_
                                        ; -- End function
	.set _ZN7rocprim17ROCPRIM_400000_NS6detail17trampoline_kernelINS0_13select_configILj256ELj13ELNS0_17block_load_methodE3ELS4_3ELS4_3ELNS0_20block_scan_algorithmE0ELj4294967295EEENS1_25partition_config_selectorILNS1_17partition_subalgoE3EjNS0_10empty_typeEbEEZZNS1_14partition_implILS8_3ELb0ES6_jNS0_17counting_iteratorIjlEEPS9_SE_NS0_5tupleIJPjSE_EEENSF_IJSE_SE_EEES9_SG_JZNS1_25segmented_radix_sort_implINS0_14default_configELb0EPKaPaPKlPlN2at6native12_GLOBAL__N_18offset_tEEE10hipError_tPvRmT1_PNSt15iterator_traitsISY_E10value_typeET2_T3_PNSZ_IS14_E10value_typeET4_jRbjT5_S1A_jjP12ihipStream_tbEUljE_EEESV_SW_SX_S14_S18_S1A_T6_T7_T9_mT8_S1C_bDpT10_ENKUlT_T0_E_clISt17integral_constantIbLb1EES1O_IbLb0EEEEDaS1K_S1L_EUlS1K_E_NS1_11comp_targetILNS1_3genE3ELNS1_11target_archE908ELNS1_3gpuE7ELNS1_3repE0EEENS1_30default_config_static_selectorELNS0_4arch9wavefront6targetE0EEEvSY_.num_vgpr, 0
	.set _ZN7rocprim17ROCPRIM_400000_NS6detail17trampoline_kernelINS0_13select_configILj256ELj13ELNS0_17block_load_methodE3ELS4_3ELS4_3ELNS0_20block_scan_algorithmE0ELj4294967295EEENS1_25partition_config_selectorILNS1_17partition_subalgoE3EjNS0_10empty_typeEbEEZZNS1_14partition_implILS8_3ELb0ES6_jNS0_17counting_iteratorIjlEEPS9_SE_NS0_5tupleIJPjSE_EEENSF_IJSE_SE_EEES9_SG_JZNS1_25segmented_radix_sort_implINS0_14default_configELb0EPKaPaPKlPlN2at6native12_GLOBAL__N_18offset_tEEE10hipError_tPvRmT1_PNSt15iterator_traitsISY_E10value_typeET2_T3_PNSZ_IS14_E10value_typeET4_jRbjT5_S1A_jjP12ihipStream_tbEUljE_EEESV_SW_SX_S14_S18_S1A_T6_T7_T9_mT8_S1C_bDpT10_ENKUlT_T0_E_clISt17integral_constantIbLb1EES1O_IbLb0EEEEDaS1K_S1L_EUlS1K_E_NS1_11comp_targetILNS1_3genE3ELNS1_11target_archE908ELNS1_3gpuE7ELNS1_3repE0EEENS1_30default_config_static_selectorELNS0_4arch9wavefront6targetE0EEEvSY_.num_agpr, 0
	.set _ZN7rocprim17ROCPRIM_400000_NS6detail17trampoline_kernelINS0_13select_configILj256ELj13ELNS0_17block_load_methodE3ELS4_3ELS4_3ELNS0_20block_scan_algorithmE0ELj4294967295EEENS1_25partition_config_selectorILNS1_17partition_subalgoE3EjNS0_10empty_typeEbEEZZNS1_14partition_implILS8_3ELb0ES6_jNS0_17counting_iteratorIjlEEPS9_SE_NS0_5tupleIJPjSE_EEENSF_IJSE_SE_EEES9_SG_JZNS1_25segmented_radix_sort_implINS0_14default_configELb0EPKaPaPKlPlN2at6native12_GLOBAL__N_18offset_tEEE10hipError_tPvRmT1_PNSt15iterator_traitsISY_E10value_typeET2_T3_PNSZ_IS14_E10value_typeET4_jRbjT5_S1A_jjP12ihipStream_tbEUljE_EEESV_SW_SX_S14_S18_S1A_T6_T7_T9_mT8_S1C_bDpT10_ENKUlT_T0_E_clISt17integral_constantIbLb1EES1O_IbLb0EEEEDaS1K_S1L_EUlS1K_E_NS1_11comp_targetILNS1_3genE3ELNS1_11target_archE908ELNS1_3gpuE7ELNS1_3repE0EEENS1_30default_config_static_selectorELNS0_4arch9wavefront6targetE0EEEvSY_.numbered_sgpr, 0
	.set _ZN7rocprim17ROCPRIM_400000_NS6detail17trampoline_kernelINS0_13select_configILj256ELj13ELNS0_17block_load_methodE3ELS4_3ELS4_3ELNS0_20block_scan_algorithmE0ELj4294967295EEENS1_25partition_config_selectorILNS1_17partition_subalgoE3EjNS0_10empty_typeEbEEZZNS1_14partition_implILS8_3ELb0ES6_jNS0_17counting_iteratorIjlEEPS9_SE_NS0_5tupleIJPjSE_EEENSF_IJSE_SE_EEES9_SG_JZNS1_25segmented_radix_sort_implINS0_14default_configELb0EPKaPaPKlPlN2at6native12_GLOBAL__N_18offset_tEEE10hipError_tPvRmT1_PNSt15iterator_traitsISY_E10value_typeET2_T3_PNSZ_IS14_E10value_typeET4_jRbjT5_S1A_jjP12ihipStream_tbEUljE_EEESV_SW_SX_S14_S18_S1A_T6_T7_T9_mT8_S1C_bDpT10_ENKUlT_T0_E_clISt17integral_constantIbLb1EES1O_IbLb0EEEEDaS1K_S1L_EUlS1K_E_NS1_11comp_targetILNS1_3genE3ELNS1_11target_archE908ELNS1_3gpuE7ELNS1_3repE0EEENS1_30default_config_static_selectorELNS0_4arch9wavefront6targetE0EEEvSY_.num_named_barrier, 0
	.set _ZN7rocprim17ROCPRIM_400000_NS6detail17trampoline_kernelINS0_13select_configILj256ELj13ELNS0_17block_load_methodE3ELS4_3ELS4_3ELNS0_20block_scan_algorithmE0ELj4294967295EEENS1_25partition_config_selectorILNS1_17partition_subalgoE3EjNS0_10empty_typeEbEEZZNS1_14partition_implILS8_3ELb0ES6_jNS0_17counting_iteratorIjlEEPS9_SE_NS0_5tupleIJPjSE_EEENSF_IJSE_SE_EEES9_SG_JZNS1_25segmented_radix_sort_implINS0_14default_configELb0EPKaPaPKlPlN2at6native12_GLOBAL__N_18offset_tEEE10hipError_tPvRmT1_PNSt15iterator_traitsISY_E10value_typeET2_T3_PNSZ_IS14_E10value_typeET4_jRbjT5_S1A_jjP12ihipStream_tbEUljE_EEESV_SW_SX_S14_S18_S1A_T6_T7_T9_mT8_S1C_bDpT10_ENKUlT_T0_E_clISt17integral_constantIbLb1EES1O_IbLb0EEEEDaS1K_S1L_EUlS1K_E_NS1_11comp_targetILNS1_3genE3ELNS1_11target_archE908ELNS1_3gpuE7ELNS1_3repE0EEENS1_30default_config_static_selectorELNS0_4arch9wavefront6targetE0EEEvSY_.private_seg_size, 0
	.set _ZN7rocprim17ROCPRIM_400000_NS6detail17trampoline_kernelINS0_13select_configILj256ELj13ELNS0_17block_load_methodE3ELS4_3ELS4_3ELNS0_20block_scan_algorithmE0ELj4294967295EEENS1_25partition_config_selectorILNS1_17partition_subalgoE3EjNS0_10empty_typeEbEEZZNS1_14partition_implILS8_3ELb0ES6_jNS0_17counting_iteratorIjlEEPS9_SE_NS0_5tupleIJPjSE_EEENSF_IJSE_SE_EEES9_SG_JZNS1_25segmented_radix_sort_implINS0_14default_configELb0EPKaPaPKlPlN2at6native12_GLOBAL__N_18offset_tEEE10hipError_tPvRmT1_PNSt15iterator_traitsISY_E10value_typeET2_T3_PNSZ_IS14_E10value_typeET4_jRbjT5_S1A_jjP12ihipStream_tbEUljE_EEESV_SW_SX_S14_S18_S1A_T6_T7_T9_mT8_S1C_bDpT10_ENKUlT_T0_E_clISt17integral_constantIbLb1EES1O_IbLb0EEEEDaS1K_S1L_EUlS1K_E_NS1_11comp_targetILNS1_3genE3ELNS1_11target_archE908ELNS1_3gpuE7ELNS1_3repE0EEENS1_30default_config_static_selectorELNS0_4arch9wavefront6targetE0EEEvSY_.uses_vcc, 0
	.set _ZN7rocprim17ROCPRIM_400000_NS6detail17trampoline_kernelINS0_13select_configILj256ELj13ELNS0_17block_load_methodE3ELS4_3ELS4_3ELNS0_20block_scan_algorithmE0ELj4294967295EEENS1_25partition_config_selectorILNS1_17partition_subalgoE3EjNS0_10empty_typeEbEEZZNS1_14partition_implILS8_3ELb0ES6_jNS0_17counting_iteratorIjlEEPS9_SE_NS0_5tupleIJPjSE_EEENSF_IJSE_SE_EEES9_SG_JZNS1_25segmented_radix_sort_implINS0_14default_configELb0EPKaPaPKlPlN2at6native12_GLOBAL__N_18offset_tEEE10hipError_tPvRmT1_PNSt15iterator_traitsISY_E10value_typeET2_T3_PNSZ_IS14_E10value_typeET4_jRbjT5_S1A_jjP12ihipStream_tbEUljE_EEESV_SW_SX_S14_S18_S1A_T6_T7_T9_mT8_S1C_bDpT10_ENKUlT_T0_E_clISt17integral_constantIbLb1EES1O_IbLb0EEEEDaS1K_S1L_EUlS1K_E_NS1_11comp_targetILNS1_3genE3ELNS1_11target_archE908ELNS1_3gpuE7ELNS1_3repE0EEENS1_30default_config_static_selectorELNS0_4arch9wavefront6targetE0EEEvSY_.uses_flat_scratch, 0
	.set _ZN7rocprim17ROCPRIM_400000_NS6detail17trampoline_kernelINS0_13select_configILj256ELj13ELNS0_17block_load_methodE3ELS4_3ELS4_3ELNS0_20block_scan_algorithmE0ELj4294967295EEENS1_25partition_config_selectorILNS1_17partition_subalgoE3EjNS0_10empty_typeEbEEZZNS1_14partition_implILS8_3ELb0ES6_jNS0_17counting_iteratorIjlEEPS9_SE_NS0_5tupleIJPjSE_EEENSF_IJSE_SE_EEES9_SG_JZNS1_25segmented_radix_sort_implINS0_14default_configELb0EPKaPaPKlPlN2at6native12_GLOBAL__N_18offset_tEEE10hipError_tPvRmT1_PNSt15iterator_traitsISY_E10value_typeET2_T3_PNSZ_IS14_E10value_typeET4_jRbjT5_S1A_jjP12ihipStream_tbEUljE_EEESV_SW_SX_S14_S18_S1A_T6_T7_T9_mT8_S1C_bDpT10_ENKUlT_T0_E_clISt17integral_constantIbLb1EES1O_IbLb0EEEEDaS1K_S1L_EUlS1K_E_NS1_11comp_targetILNS1_3genE3ELNS1_11target_archE908ELNS1_3gpuE7ELNS1_3repE0EEENS1_30default_config_static_selectorELNS0_4arch9wavefront6targetE0EEEvSY_.has_dyn_sized_stack, 0
	.set _ZN7rocprim17ROCPRIM_400000_NS6detail17trampoline_kernelINS0_13select_configILj256ELj13ELNS0_17block_load_methodE3ELS4_3ELS4_3ELNS0_20block_scan_algorithmE0ELj4294967295EEENS1_25partition_config_selectorILNS1_17partition_subalgoE3EjNS0_10empty_typeEbEEZZNS1_14partition_implILS8_3ELb0ES6_jNS0_17counting_iteratorIjlEEPS9_SE_NS0_5tupleIJPjSE_EEENSF_IJSE_SE_EEES9_SG_JZNS1_25segmented_radix_sort_implINS0_14default_configELb0EPKaPaPKlPlN2at6native12_GLOBAL__N_18offset_tEEE10hipError_tPvRmT1_PNSt15iterator_traitsISY_E10value_typeET2_T3_PNSZ_IS14_E10value_typeET4_jRbjT5_S1A_jjP12ihipStream_tbEUljE_EEESV_SW_SX_S14_S18_S1A_T6_T7_T9_mT8_S1C_bDpT10_ENKUlT_T0_E_clISt17integral_constantIbLb1EES1O_IbLb0EEEEDaS1K_S1L_EUlS1K_E_NS1_11comp_targetILNS1_3genE3ELNS1_11target_archE908ELNS1_3gpuE7ELNS1_3repE0EEENS1_30default_config_static_selectorELNS0_4arch9wavefront6targetE0EEEvSY_.has_recursion, 0
	.set _ZN7rocprim17ROCPRIM_400000_NS6detail17trampoline_kernelINS0_13select_configILj256ELj13ELNS0_17block_load_methodE3ELS4_3ELS4_3ELNS0_20block_scan_algorithmE0ELj4294967295EEENS1_25partition_config_selectorILNS1_17partition_subalgoE3EjNS0_10empty_typeEbEEZZNS1_14partition_implILS8_3ELb0ES6_jNS0_17counting_iteratorIjlEEPS9_SE_NS0_5tupleIJPjSE_EEENSF_IJSE_SE_EEES9_SG_JZNS1_25segmented_radix_sort_implINS0_14default_configELb0EPKaPaPKlPlN2at6native12_GLOBAL__N_18offset_tEEE10hipError_tPvRmT1_PNSt15iterator_traitsISY_E10value_typeET2_T3_PNSZ_IS14_E10value_typeET4_jRbjT5_S1A_jjP12ihipStream_tbEUljE_EEESV_SW_SX_S14_S18_S1A_T6_T7_T9_mT8_S1C_bDpT10_ENKUlT_T0_E_clISt17integral_constantIbLb1EES1O_IbLb0EEEEDaS1K_S1L_EUlS1K_E_NS1_11comp_targetILNS1_3genE3ELNS1_11target_archE908ELNS1_3gpuE7ELNS1_3repE0EEENS1_30default_config_static_selectorELNS0_4arch9wavefront6targetE0EEEvSY_.has_indirect_call, 0
	.section	.AMDGPU.csdata,"",@progbits
; Kernel info:
; codeLenInByte = 0
; TotalNumSgprs: 0
; NumVgprs: 0
; ScratchSize: 0
; MemoryBound: 0
; FloatMode: 240
; IeeeMode: 1
; LDSByteSize: 0 bytes/workgroup (compile time only)
; SGPRBlocks: 0
; VGPRBlocks: 0
; NumSGPRsForWavesPerEU: 1
; NumVGPRsForWavesPerEU: 1
; Occupancy: 16
; WaveLimiterHint : 0
; COMPUTE_PGM_RSRC2:SCRATCH_EN: 0
; COMPUTE_PGM_RSRC2:USER_SGPR: 2
; COMPUTE_PGM_RSRC2:TRAP_HANDLER: 0
; COMPUTE_PGM_RSRC2:TGID_X_EN: 1
; COMPUTE_PGM_RSRC2:TGID_Y_EN: 0
; COMPUTE_PGM_RSRC2:TGID_Z_EN: 0
; COMPUTE_PGM_RSRC2:TIDIG_COMP_CNT: 0
	.section	.text._ZN7rocprim17ROCPRIM_400000_NS6detail17trampoline_kernelINS0_13select_configILj256ELj13ELNS0_17block_load_methodE3ELS4_3ELS4_3ELNS0_20block_scan_algorithmE0ELj4294967295EEENS1_25partition_config_selectorILNS1_17partition_subalgoE3EjNS0_10empty_typeEbEEZZNS1_14partition_implILS8_3ELb0ES6_jNS0_17counting_iteratorIjlEEPS9_SE_NS0_5tupleIJPjSE_EEENSF_IJSE_SE_EEES9_SG_JZNS1_25segmented_radix_sort_implINS0_14default_configELb0EPKaPaPKlPlN2at6native12_GLOBAL__N_18offset_tEEE10hipError_tPvRmT1_PNSt15iterator_traitsISY_E10value_typeET2_T3_PNSZ_IS14_E10value_typeET4_jRbjT5_S1A_jjP12ihipStream_tbEUljE_EEESV_SW_SX_S14_S18_S1A_T6_T7_T9_mT8_S1C_bDpT10_ENKUlT_T0_E_clISt17integral_constantIbLb1EES1O_IbLb0EEEEDaS1K_S1L_EUlS1K_E_NS1_11comp_targetILNS1_3genE2ELNS1_11target_archE906ELNS1_3gpuE6ELNS1_3repE0EEENS1_30default_config_static_selectorELNS0_4arch9wavefront6targetE0EEEvSY_,"axG",@progbits,_ZN7rocprim17ROCPRIM_400000_NS6detail17trampoline_kernelINS0_13select_configILj256ELj13ELNS0_17block_load_methodE3ELS4_3ELS4_3ELNS0_20block_scan_algorithmE0ELj4294967295EEENS1_25partition_config_selectorILNS1_17partition_subalgoE3EjNS0_10empty_typeEbEEZZNS1_14partition_implILS8_3ELb0ES6_jNS0_17counting_iteratorIjlEEPS9_SE_NS0_5tupleIJPjSE_EEENSF_IJSE_SE_EEES9_SG_JZNS1_25segmented_radix_sort_implINS0_14default_configELb0EPKaPaPKlPlN2at6native12_GLOBAL__N_18offset_tEEE10hipError_tPvRmT1_PNSt15iterator_traitsISY_E10value_typeET2_T3_PNSZ_IS14_E10value_typeET4_jRbjT5_S1A_jjP12ihipStream_tbEUljE_EEESV_SW_SX_S14_S18_S1A_T6_T7_T9_mT8_S1C_bDpT10_ENKUlT_T0_E_clISt17integral_constantIbLb1EES1O_IbLb0EEEEDaS1K_S1L_EUlS1K_E_NS1_11comp_targetILNS1_3genE2ELNS1_11target_archE906ELNS1_3gpuE6ELNS1_3repE0EEENS1_30default_config_static_selectorELNS0_4arch9wavefront6targetE0EEEvSY_,comdat
	.globl	_ZN7rocprim17ROCPRIM_400000_NS6detail17trampoline_kernelINS0_13select_configILj256ELj13ELNS0_17block_load_methodE3ELS4_3ELS4_3ELNS0_20block_scan_algorithmE0ELj4294967295EEENS1_25partition_config_selectorILNS1_17partition_subalgoE3EjNS0_10empty_typeEbEEZZNS1_14partition_implILS8_3ELb0ES6_jNS0_17counting_iteratorIjlEEPS9_SE_NS0_5tupleIJPjSE_EEENSF_IJSE_SE_EEES9_SG_JZNS1_25segmented_radix_sort_implINS0_14default_configELb0EPKaPaPKlPlN2at6native12_GLOBAL__N_18offset_tEEE10hipError_tPvRmT1_PNSt15iterator_traitsISY_E10value_typeET2_T3_PNSZ_IS14_E10value_typeET4_jRbjT5_S1A_jjP12ihipStream_tbEUljE_EEESV_SW_SX_S14_S18_S1A_T6_T7_T9_mT8_S1C_bDpT10_ENKUlT_T0_E_clISt17integral_constantIbLb1EES1O_IbLb0EEEEDaS1K_S1L_EUlS1K_E_NS1_11comp_targetILNS1_3genE2ELNS1_11target_archE906ELNS1_3gpuE6ELNS1_3repE0EEENS1_30default_config_static_selectorELNS0_4arch9wavefront6targetE0EEEvSY_ ; -- Begin function _ZN7rocprim17ROCPRIM_400000_NS6detail17trampoline_kernelINS0_13select_configILj256ELj13ELNS0_17block_load_methodE3ELS4_3ELS4_3ELNS0_20block_scan_algorithmE0ELj4294967295EEENS1_25partition_config_selectorILNS1_17partition_subalgoE3EjNS0_10empty_typeEbEEZZNS1_14partition_implILS8_3ELb0ES6_jNS0_17counting_iteratorIjlEEPS9_SE_NS0_5tupleIJPjSE_EEENSF_IJSE_SE_EEES9_SG_JZNS1_25segmented_radix_sort_implINS0_14default_configELb0EPKaPaPKlPlN2at6native12_GLOBAL__N_18offset_tEEE10hipError_tPvRmT1_PNSt15iterator_traitsISY_E10value_typeET2_T3_PNSZ_IS14_E10value_typeET4_jRbjT5_S1A_jjP12ihipStream_tbEUljE_EEESV_SW_SX_S14_S18_S1A_T6_T7_T9_mT8_S1C_bDpT10_ENKUlT_T0_E_clISt17integral_constantIbLb1EES1O_IbLb0EEEEDaS1K_S1L_EUlS1K_E_NS1_11comp_targetILNS1_3genE2ELNS1_11target_archE906ELNS1_3gpuE6ELNS1_3repE0EEENS1_30default_config_static_selectorELNS0_4arch9wavefront6targetE0EEEvSY_
	.p2align	8
	.type	_ZN7rocprim17ROCPRIM_400000_NS6detail17trampoline_kernelINS0_13select_configILj256ELj13ELNS0_17block_load_methodE3ELS4_3ELS4_3ELNS0_20block_scan_algorithmE0ELj4294967295EEENS1_25partition_config_selectorILNS1_17partition_subalgoE3EjNS0_10empty_typeEbEEZZNS1_14partition_implILS8_3ELb0ES6_jNS0_17counting_iteratorIjlEEPS9_SE_NS0_5tupleIJPjSE_EEENSF_IJSE_SE_EEES9_SG_JZNS1_25segmented_radix_sort_implINS0_14default_configELb0EPKaPaPKlPlN2at6native12_GLOBAL__N_18offset_tEEE10hipError_tPvRmT1_PNSt15iterator_traitsISY_E10value_typeET2_T3_PNSZ_IS14_E10value_typeET4_jRbjT5_S1A_jjP12ihipStream_tbEUljE_EEESV_SW_SX_S14_S18_S1A_T6_T7_T9_mT8_S1C_bDpT10_ENKUlT_T0_E_clISt17integral_constantIbLb1EES1O_IbLb0EEEEDaS1K_S1L_EUlS1K_E_NS1_11comp_targetILNS1_3genE2ELNS1_11target_archE906ELNS1_3gpuE6ELNS1_3repE0EEENS1_30default_config_static_selectorELNS0_4arch9wavefront6targetE0EEEvSY_,@function
_ZN7rocprim17ROCPRIM_400000_NS6detail17trampoline_kernelINS0_13select_configILj256ELj13ELNS0_17block_load_methodE3ELS4_3ELS4_3ELNS0_20block_scan_algorithmE0ELj4294967295EEENS1_25partition_config_selectorILNS1_17partition_subalgoE3EjNS0_10empty_typeEbEEZZNS1_14partition_implILS8_3ELb0ES6_jNS0_17counting_iteratorIjlEEPS9_SE_NS0_5tupleIJPjSE_EEENSF_IJSE_SE_EEES9_SG_JZNS1_25segmented_radix_sort_implINS0_14default_configELb0EPKaPaPKlPlN2at6native12_GLOBAL__N_18offset_tEEE10hipError_tPvRmT1_PNSt15iterator_traitsISY_E10value_typeET2_T3_PNSZ_IS14_E10value_typeET4_jRbjT5_S1A_jjP12ihipStream_tbEUljE_EEESV_SW_SX_S14_S18_S1A_T6_T7_T9_mT8_S1C_bDpT10_ENKUlT_T0_E_clISt17integral_constantIbLb1EES1O_IbLb0EEEEDaS1K_S1L_EUlS1K_E_NS1_11comp_targetILNS1_3genE2ELNS1_11target_archE906ELNS1_3gpuE6ELNS1_3repE0EEENS1_30default_config_static_selectorELNS0_4arch9wavefront6targetE0EEEvSY_: ; @_ZN7rocprim17ROCPRIM_400000_NS6detail17trampoline_kernelINS0_13select_configILj256ELj13ELNS0_17block_load_methodE3ELS4_3ELS4_3ELNS0_20block_scan_algorithmE0ELj4294967295EEENS1_25partition_config_selectorILNS1_17partition_subalgoE3EjNS0_10empty_typeEbEEZZNS1_14partition_implILS8_3ELb0ES6_jNS0_17counting_iteratorIjlEEPS9_SE_NS0_5tupleIJPjSE_EEENSF_IJSE_SE_EEES9_SG_JZNS1_25segmented_radix_sort_implINS0_14default_configELb0EPKaPaPKlPlN2at6native12_GLOBAL__N_18offset_tEEE10hipError_tPvRmT1_PNSt15iterator_traitsISY_E10value_typeET2_T3_PNSZ_IS14_E10value_typeET4_jRbjT5_S1A_jjP12ihipStream_tbEUljE_EEESV_SW_SX_S14_S18_S1A_T6_T7_T9_mT8_S1C_bDpT10_ENKUlT_T0_E_clISt17integral_constantIbLb1EES1O_IbLb0EEEEDaS1K_S1L_EUlS1K_E_NS1_11comp_targetILNS1_3genE2ELNS1_11target_archE906ELNS1_3gpuE6ELNS1_3repE0EEENS1_30default_config_static_selectorELNS0_4arch9wavefront6targetE0EEEvSY_
; %bb.0:
	.section	.rodata,"a",@progbits
	.p2align	6, 0x0
	.amdhsa_kernel _ZN7rocprim17ROCPRIM_400000_NS6detail17trampoline_kernelINS0_13select_configILj256ELj13ELNS0_17block_load_methodE3ELS4_3ELS4_3ELNS0_20block_scan_algorithmE0ELj4294967295EEENS1_25partition_config_selectorILNS1_17partition_subalgoE3EjNS0_10empty_typeEbEEZZNS1_14partition_implILS8_3ELb0ES6_jNS0_17counting_iteratorIjlEEPS9_SE_NS0_5tupleIJPjSE_EEENSF_IJSE_SE_EEES9_SG_JZNS1_25segmented_radix_sort_implINS0_14default_configELb0EPKaPaPKlPlN2at6native12_GLOBAL__N_18offset_tEEE10hipError_tPvRmT1_PNSt15iterator_traitsISY_E10value_typeET2_T3_PNSZ_IS14_E10value_typeET4_jRbjT5_S1A_jjP12ihipStream_tbEUljE_EEESV_SW_SX_S14_S18_S1A_T6_T7_T9_mT8_S1C_bDpT10_ENKUlT_T0_E_clISt17integral_constantIbLb1EES1O_IbLb0EEEEDaS1K_S1L_EUlS1K_E_NS1_11comp_targetILNS1_3genE2ELNS1_11target_archE906ELNS1_3gpuE6ELNS1_3repE0EEENS1_30default_config_static_selectorELNS0_4arch9wavefront6targetE0EEEvSY_
		.amdhsa_group_segment_fixed_size 0
		.amdhsa_private_segment_fixed_size 0
		.amdhsa_kernarg_size 144
		.amdhsa_user_sgpr_count 2
		.amdhsa_user_sgpr_dispatch_ptr 0
		.amdhsa_user_sgpr_queue_ptr 0
		.amdhsa_user_sgpr_kernarg_segment_ptr 1
		.amdhsa_user_sgpr_dispatch_id 0
		.amdhsa_user_sgpr_private_segment_size 0
		.amdhsa_wavefront_size32 1
		.amdhsa_uses_dynamic_stack 0
		.amdhsa_enable_private_segment 0
		.amdhsa_system_sgpr_workgroup_id_x 1
		.amdhsa_system_sgpr_workgroup_id_y 0
		.amdhsa_system_sgpr_workgroup_id_z 0
		.amdhsa_system_sgpr_workgroup_info 0
		.amdhsa_system_vgpr_workitem_id 0
		.amdhsa_next_free_vgpr 1
		.amdhsa_next_free_sgpr 1
		.amdhsa_reserve_vcc 0
		.amdhsa_float_round_mode_32 0
		.amdhsa_float_round_mode_16_64 0
		.amdhsa_float_denorm_mode_32 3
		.amdhsa_float_denorm_mode_16_64 3
		.amdhsa_fp16_overflow 0
		.amdhsa_workgroup_processor_mode 1
		.amdhsa_memory_ordered 1
		.amdhsa_forward_progress 1
		.amdhsa_inst_pref_size 0
		.amdhsa_round_robin_scheduling 0
		.amdhsa_exception_fp_ieee_invalid_op 0
		.amdhsa_exception_fp_denorm_src 0
		.amdhsa_exception_fp_ieee_div_zero 0
		.amdhsa_exception_fp_ieee_overflow 0
		.amdhsa_exception_fp_ieee_underflow 0
		.amdhsa_exception_fp_ieee_inexact 0
		.amdhsa_exception_int_div_zero 0
	.end_amdhsa_kernel
	.section	.text._ZN7rocprim17ROCPRIM_400000_NS6detail17trampoline_kernelINS0_13select_configILj256ELj13ELNS0_17block_load_methodE3ELS4_3ELS4_3ELNS0_20block_scan_algorithmE0ELj4294967295EEENS1_25partition_config_selectorILNS1_17partition_subalgoE3EjNS0_10empty_typeEbEEZZNS1_14partition_implILS8_3ELb0ES6_jNS0_17counting_iteratorIjlEEPS9_SE_NS0_5tupleIJPjSE_EEENSF_IJSE_SE_EEES9_SG_JZNS1_25segmented_radix_sort_implINS0_14default_configELb0EPKaPaPKlPlN2at6native12_GLOBAL__N_18offset_tEEE10hipError_tPvRmT1_PNSt15iterator_traitsISY_E10value_typeET2_T3_PNSZ_IS14_E10value_typeET4_jRbjT5_S1A_jjP12ihipStream_tbEUljE_EEESV_SW_SX_S14_S18_S1A_T6_T7_T9_mT8_S1C_bDpT10_ENKUlT_T0_E_clISt17integral_constantIbLb1EES1O_IbLb0EEEEDaS1K_S1L_EUlS1K_E_NS1_11comp_targetILNS1_3genE2ELNS1_11target_archE906ELNS1_3gpuE6ELNS1_3repE0EEENS1_30default_config_static_selectorELNS0_4arch9wavefront6targetE0EEEvSY_,"axG",@progbits,_ZN7rocprim17ROCPRIM_400000_NS6detail17trampoline_kernelINS0_13select_configILj256ELj13ELNS0_17block_load_methodE3ELS4_3ELS4_3ELNS0_20block_scan_algorithmE0ELj4294967295EEENS1_25partition_config_selectorILNS1_17partition_subalgoE3EjNS0_10empty_typeEbEEZZNS1_14partition_implILS8_3ELb0ES6_jNS0_17counting_iteratorIjlEEPS9_SE_NS0_5tupleIJPjSE_EEENSF_IJSE_SE_EEES9_SG_JZNS1_25segmented_radix_sort_implINS0_14default_configELb0EPKaPaPKlPlN2at6native12_GLOBAL__N_18offset_tEEE10hipError_tPvRmT1_PNSt15iterator_traitsISY_E10value_typeET2_T3_PNSZ_IS14_E10value_typeET4_jRbjT5_S1A_jjP12ihipStream_tbEUljE_EEESV_SW_SX_S14_S18_S1A_T6_T7_T9_mT8_S1C_bDpT10_ENKUlT_T0_E_clISt17integral_constantIbLb1EES1O_IbLb0EEEEDaS1K_S1L_EUlS1K_E_NS1_11comp_targetILNS1_3genE2ELNS1_11target_archE906ELNS1_3gpuE6ELNS1_3repE0EEENS1_30default_config_static_selectorELNS0_4arch9wavefront6targetE0EEEvSY_,comdat
.Lfunc_end381:
	.size	_ZN7rocprim17ROCPRIM_400000_NS6detail17trampoline_kernelINS0_13select_configILj256ELj13ELNS0_17block_load_methodE3ELS4_3ELS4_3ELNS0_20block_scan_algorithmE0ELj4294967295EEENS1_25partition_config_selectorILNS1_17partition_subalgoE3EjNS0_10empty_typeEbEEZZNS1_14partition_implILS8_3ELb0ES6_jNS0_17counting_iteratorIjlEEPS9_SE_NS0_5tupleIJPjSE_EEENSF_IJSE_SE_EEES9_SG_JZNS1_25segmented_radix_sort_implINS0_14default_configELb0EPKaPaPKlPlN2at6native12_GLOBAL__N_18offset_tEEE10hipError_tPvRmT1_PNSt15iterator_traitsISY_E10value_typeET2_T3_PNSZ_IS14_E10value_typeET4_jRbjT5_S1A_jjP12ihipStream_tbEUljE_EEESV_SW_SX_S14_S18_S1A_T6_T7_T9_mT8_S1C_bDpT10_ENKUlT_T0_E_clISt17integral_constantIbLb1EES1O_IbLb0EEEEDaS1K_S1L_EUlS1K_E_NS1_11comp_targetILNS1_3genE2ELNS1_11target_archE906ELNS1_3gpuE6ELNS1_3repE0EEENS1_30default_config_static_selectorELNS0_4arch9wavefront6targetE0EEEvSY_, .Lfunc_end381-_ZN7rocprim17ROCPRIM_400000_NS6detail17trampoline_kernelINS0_13select_configILj256ELj13ELNS0_17block_load_methodE3ELS4_3ELS4_3ELNS0_20block_scan_algorithmE0ELj4294967295EEENS1_25partition_config_selectorILNS1_17partition_subalgoE3EjNS0_10empty_typeEbEEZZNS1_14partition_implILS8_3ELb0ES6_jNS0_17counting_iteratorIjlEEPS9_SE_NS0_5tupleIJPjSE_EEENSF_IJSE_SE_EEES9_SG_JZNS1_25segmented_radix_sort_implINS0_14default_configELb0EPKaPaPKlPlN2at6native12_GLOBAL__N_18offset_tEEE10hipError_tPvRmT1_PNSt15iterator_traitsISY_E10value_typeET2_T3_PNSZ_IS14_E10value_typeET4_jRbjT5_S1A_jjP12ihipStream_tbEUljE_EEESV_SW_SX_S14_S18_S1A_T6_T7_T9_mT8_S1C_bDpT10_ENKUlT_T0_E_clISt17integral_constantIbLb1EES1O_IbLb0EEEEDaS1K_S1L_EUlS1K_E_NS1_11comp_targetILNS1_3genE2ELNS1_11target_archE906ELNS1_3gpuE6ELNS1_3repE0EEENS1_30default_config_static_selectorELNS0_4arch9wavefront6targetE0EEEvSY_
                                        ; -- End function
	.set _ZN7rocprim17ROCPRIM_400000_NS6detail17trampoline_kernelINS0_13select_configILj256ELj13ELNS0_17block_load_methodE3ELS4_3ELS4_3ELNS0_20block_scan_algorithmE0ELj4294967295EEENS1_25partition_config_selectorILNS1_17partition_subalgoE3EjNS0_10empty_typeEbEEZZNS1_14partition_implILS8_3ELb0ES6_jNS0_17counting_iteratorIjlEEPS9_SE_NS0_5tupleIJPjSE_EEENSF_IJSE_SE_EEES9_SG_JZNS1_25segmented_radix_sort_implINS0_14default_configELb0EPKaPaPKlPlN2at6native12_GLOBAL__N_18offset_tEEE10hipError_tPvRmT1_PNSt15iterator_traitsISY_E10value_typeET2_T3_PNSZ_IS14_E10value_typeET4_jRbjT5_S1A_jjP12ihipStream_tbEUljE_EEESV_SW_SX_S14_S18_S1A_T6_T7_T9_mT8_S1C_bDpT10_ENKUlT_T0_E_clISt17integral_constantIbLb1EES1O_IbLb0EEEEDaS1K_S1L_EUlS1K_E_NS1_11comp_targetILNS1_3genE2ELNS1_11target_archE906ELNS1_3gpuE6ELNS1_3repE0EEENS1_30default_config_static_selectorELNS0_4arch9wavefront6targetE0EEEvSY_.num_vgpr, 0
	.set _ZN7rocprim17ROCPRIM_400000_NS6detail17trampoline_kernelINS0_13select_configILj256ELj13ELNS0_17block_load_methodE3ELS4_3ELS4_3ELNS0_20block_scan_algorithmE0ELj4294967295EEENS1_25partition_config_selectorILNS1_17partition_subalgoE3EjNS0_10empty_typeEbEEZZNS1_14partition_implILS8_3ELb0ES6_jNS0_17counting_iteratorIjlEEPS9_SE_NS0_5tupleIJPjSE_EEENSF_IJSE_SE_EEES9_SG_JZNS1_25segmented_radix_sort_implINS0_14default_configELb0EPKaPaPKlPlN2at6native12_GLOBAL__N_18offset_tEEE10hipError_tPvRmT1_PNSt15iterator_traitsISY_E10value_typeET2_T3_PNSZ_IS14_E10value_typeET4_jRbjT5_S1A_jjP12ihipStream_tbEUljE_EEESV_SW_SX_S14_S18_S1A_T6_T7_T9_mT8_S1C_bDpT10_ENKUlT_T0_E_clISt17integral_constantIbLb1EES1O_IbLb0EEEEDaS1K_S1L_EUlS1K_E_NS1_11comp_targetILNS1_3genE2ELNS1_11target_archE906ELNS1_3gpuE6ELNS1_3repE0EEENS1_30default_config_static_selectorELNS0_4arch9wavefront6targetE0EEEvSY_.num_agpr, 0
	.set _ZN7rocprim17ROCPRIM_400000_NS6detail17trampoline_kernelINS0_13select_configILj256ELj13ELNS0_17block_load_methodE3ELS4_3ELS4_3ELNS0_20block_scan_algorithmE0ELj4294967295EEENS1_25partition_config_selectorILNS1_17partition_subalgoE3EjNS0_10empty_typeEbEEZZNS1_14partition_implILS8_3ELb0ES6_jNS0_17counting_iteratorIjlEEPS9_SE_NS0_5tupleIJPjSE_EEENSF_IJSE_SE_EEES9_SG_JZNS1_25segmented_radix_sort_implINS0_14default_configELb0EPKaPaPKlPlN2at6native12_GLOBAL__N_18offset_tEEE10hipError_tPvRmT1_PNSt15iterator_traitsISY_E10value_typeET2_T3_PNSZ_IS14_E10value_typeET4_jRbjT5_S1A_jjP12ihipStream_tbEUljE_EEESV_SW_SX_S14_S18_S1A_T6_T7_T9_mT8_S1C_bDpT10_ENKUlT_T0_E_clISt17integral_constantIbLb1EES1O_IbLb0EEEEDaS1K_S1L_EUlS1K_E_NS1_11comp_targetILNS1_3genE2ELNS1_11target_archE906ELNS1_3gpuE6ELNS1_3repE0EEENS1_30default_config_static_selectorELNS0_4arch9wavefront6targetE0EEEvSY_.numbered_sgpr, 0
	.set _ZN7rocprim17ROCPRIM_400000_NS6detail17trampoline_kernelINS0_13select_configILj256ELj13ELNS0_17block_load_methodE3ELS4_3ELS4_3ELNS0_20block_scan_algorithmE0ELj4294967295EEENS1_25partition_config_selectorILNS1_17partition_subalgoE3EjNS0_10empty_typeEbEEZZNS1_14partition_implILS8_3ELb0ES6_jNS0_17counting_iteratorIjlEEPS9_SE_NS0_5tupleIJPjSE_EEENSF_IJSE_SE_EEES9_SG_JZNS1_25segmented_radix_sort_implINS0_14default_configELb0EPKaPaPKlPlN2at6native12_GLOBAL__N_18offset_tEEE10hipError_tPvRmT1_PNSt15iterator_traitsISY_E10value_typeET2_T3_PNSZ_IS14_E10value_typeET4_jRbjT5_S1A_jjP12ihipStream_tbEUljE_EEESV_SW_SX_S14_S18_S1A_T6_T7_T9_mT8_S1C_bDpT10_ENKUlT_T0_E_clISt17integral_constantIbLb1EES1O_IbLb0EEEEDaS1K_S1L_EUlS1K_E_NS1_11comp_targetILNS1_3genE2ELNS1_11target_archE906ELNS1_3gpuE6ELNS1_3repE0EEENS1_30default_config_static_selectorELNS0_4arch9wavefront6targetE0EEEvSY_.num_named_barrier, 0
	.set _ZN7rocprim17ROCPRIM_400000_NS6detail17trampoline_kernelINS0_13select_configILj256ELj13ELNS0_17block_load_methodE3ELS4_3ELS4_3ELNS0_20block_scan_algorithmE0ELj4294967295EEENS1_25partition_config_selectorILNS1_17partition_subalgoE3EjNS0_10empty_typeEbEEZZNS1_14partition_implILS8_3ELb0ES6_jNS0_17counting_iteratorIjlEEPS9_SE_NS0_5tupleIJPjSE_EEENSF_IJSE_SE_EEES9_SG_JZNS1_25segmented_radix_sort_implINS0_14default_configELb0EPKaPaPKlPlN2at6native12_GLOBAL__N_18offset_tEEE10hipError_tPvRmT1_PNSt15iterator_traitsISY_E10value_typeET2_T3_PNSZ_IS14_E10value_typeET4_jRbjT5_S1A_jjP12ihipStream_tbEUljE_EEESV_SW_SX_S14_S18_S1A_T6_T7_T9_mT8_S1C_bDpT10_ENKUlT_T0_E_clISt17integral_constantIbLb1EES1O_IbLb0EEEEDaS1K_S1L_EUlS1K_E_NS1_11comp_targetILNS1_3genE2ELNS1_11target_archE906ELNS1_3gpuE6ELNS1_3repE0EEENS1_30default_config_static_selectorELNS0_4arch9wavefront6targetE0EEEvSY_.private_seg_size, 0
	.set _ZN7rocprim17ROCPRIM_400000_NS6detail17trampoline_kernelINS0_13select_configILj256ELj13ELNS0_17block_load_methodE3ELS4_3ELS4_3ELNS0_20block_scan_algorithmE0ELj4294967295EEENS1_25partition_config_selectorILNS1_17partition_subalgoE3EjNS0_10empty_typeEbEEZZNS1_14partition_implILS8_3ELb0ES6_jNS0_17counting_iteratorIjlEEPS9_SE_NS0_5tupleIJPjSE_EEENSF_IJSE_SE_EEES9_SG_JZNS1_25segmented_radix_sort_implINS0_14default_configELb0EPKaPaPKlPlN2at6native12_GLOBAL__N_18offset_tEEE10hipError_tPvRmT1_PNSt15iterator_traitsISY_E10value_typeET2_T3_PNSZ_IS14_E10value_typeET4_jRbjT5_S1A_jjP12ihipStream_tbEUljE_EEESV_SW_SX_S14_S18_S1A_T6_T7_T9_mT8_S1C_bDpT10_ENKUlT_T0_E_clISt17integral_constantIbLb1EES1O_IbLb0EEEEDaS1K_S1L_EUlS1K_E_NS1_11comp_targetILNS1_3genE2ELNS1_11target_archE906ELNS1_3gpuE6ELNS1_3repE0EEENS1_30default_config_static_selectorELNS0_4arch9wavefront6targetE0EEEvSY_.uses_vcc, 0
	.set _ZN7rocprim17ROCPRIM_400000_NS6detail17trampoline_kernelINS0_13select_configILj256ELj13ELNS0_17block_load_methodE3ELS4_3ELS4_3ELNS0_20block_scan_algorithmE0ELj4294967295EEENS1_25partition_config_selectorILNS1_17partition_subalgoE3EjNS0_10empty_typeEbEEZZNS1_14partition_implILS8_3ELb0ES6_jNS0_17counting_iteratorIjlEEPS9_SE_NS0_5tupleIJPjSE_EEENSF_IJSE_SE_EEES9_SG_JZNS1_25segmented_radix_sort_implINS0_14default_configELb0EPKaPaPKlPlN2at6native12_GLOBAL__N_18offset_tEEE10hipError_tPvRmT1_PNSt15iterator_traitsISY_E10value_typeET2_T3_PNSZ_IS14_E10value_typeET4_jRbjT5_S1A_jjP12ihipStream_tbEUljE_EEESV_SW_SX_S14_S18_S1A_T6_T7_T9_mT8_S1C_bDpT10_ENKUlT_T0_E_clISt17integral_constantIbLb1EES1O_IbLb0EEEEDaS1K_S1L_EUlS1K_E_NS1_11comp_targetILNS1_3genE2ELNS1_11target_archE906ELNS1_3gpuE6ELNS1_3repE0EEENS1_30default_config_static_selectorELNS0_4arch9wavefront6targetE0EEEvSY_.uses_flat_scratch, 0
	.set _ZN7rocprim17ROCPRIM_400000_NS6detail17trampoline_kernelINS0_13select_configILj256ELj13ELNS0_17block_load_methodE3ELS4_3ELS4_3ELNS0_20block_scan_algorithmE0ELj4294967295EEENS1_25partition_config_selectorILNS1_17partition_subalgoE3EjNS0_10empty_typeEbEEZZNS1_14partition_implILS8_3ELb0ES6_jNS0_17counting_iteratorIjlEEPS9_SE_NS0_5tupleIJPjSE_EEENSF_IJSE_SE_EEES9_SG_JZNS1_25segmented_radix_sort_implINS0_14default_configELb0EPKaPaPKlPlN2at6native12_GLOBAL__N_18offset_tEEE10hipError_tPvRmT1_PNSt15iterator_traitsISY_E10value_typeET2_T3_PNSZ_IS14_E10value_typeET4_jRbjT5_S1A_jjP12ihipStream_tbEUljE_EEESV_SW_SX_S14_S18_S1A_T6_T7_T9_mT8_S1C_bDpT10_ENKUlT_T0_E_clISt17integral_constantIbLb1EES1O_IbLb0EEEEDaS1K_S1L_EUlS1K_E_NS1_11comp_targetILNS1_3genE2ELNS1_11target_archE906ELNS1_3gpuE6ELNS1_3repE0EEENS1_30default_config_static_selectorELNS0_4arch9wavefront6targetE0EEEvSY_.has_dyn_sized_stack, 0
	.set _ZN7rocprim17ROCPRIM_400000_NS6detail17trampoline_kernelINS0_13select_configILj256ELj13ELNS0_17block_load_methodE3ELS4_3ELS4_3ELNS0_20block_scan_algorithmE0ELj4294967295EEENS1_25partition_config_selectorILNS1_17partition_subalgoE3EjNS0_10empty_typeEbEEZZNS1_14partition_implILS8_3ELb0ES6_jNS0_17counting_iteratorIjlEEPS9_SE_NS0_5tupleIJPjSE_EEENSF_IJSE_SE_EEES9_SG_JZNS1_25segmented_radix_sort_implINS0_14default_configELb0EPKaPaPKlPlN2at6native12_GLOBAL__N_18offset_tEEE10hipError_tPvRmT1_PNSt15iterator_traitsISY_E10value_typeET2_T3_PNSZ_IS14_E10value_typeET4_jRbjT5_S1A_jjP12ihipStream_tbEUljE_EEESV_SW_SX_S14_S18_S1A_T6_T7_T9_mT8_S1C_bDpT10_ENKUlT_T0_E_clISt17integral_constantIbLb1EES1O_IbLb0EEEEDaS1K_S1L_EUlS1K_E_NS1_11comp_targetILNS1_3genE2ELNS1_11target_archE906ELNS1_3gpuE6ELNS1_3repE0EEENS1_30default_config_static_selectorELNS0_4arch9wavefront6targetE0EEEvSY_.has_recursion, 0
	.set _ZN7rocprim17ROCPRIM_400000_NS6detail17trampoline_kernelINS0_13select_configILj256ELj13ELNS0_17block_load_methodE3ELS4_3ELS4_3ELNS0_20block_scan_algorithmE0ELj4294967295EEENS1_25partition_config_selectorILNS1_17partition_subalgoE3EjNS0_10empty_typeEbEEZZNS1_14partition_implILS8_3ELb0ES6_jNS0_17counting_iteratorIjlEEPS9_SE_NS0_5tupleIJPjSE_EEENSF_IJSE_SE_EEES9_SG_JZNS1_25segmented_radix_sort_implINS0_14default_configELb0EPKaPaPKlPlN2at6native12_GLOBAL__N_18offset_tEEE10hipError_tPvRmT1_PNSt15iterator_traitsISY_E10value_typeET2_T3_PNSZ_IS14_E10value_typeET4_jRbjT5_S1A_jjP12ihipStream_tbEUljE_EEESV_SW_SX_S14_S18_S1A_T6_T7_T9_mT8_S1C_bDpT10_ENKUlT_T0_E_clISt17integral_constantIbLb1EES1O_IbLb0EEEEDaS1K_S1L_EUlS1K_E_NS1_11comp_targetILNS1_3genE2ELNS1_11target_archE906ELNS1_3gpuE6ELNS1_3repE0EEENS1_30default_config_static_selectorELNS0_4arch9wavefront6targetE0EEEvSY_.has_indirect_call, 0
	.section	.AMDGPU.csdata,"",@progbits
; Kernel info:
; codeLenInByte = 0
; TotalNumSgprs: 0
; NumVgprs: 0
; ScratchSize: 0
; MemoryBound: 0
; FloatMode: 240
; IeeeMode: 1
; LDSByteSize: 0 bytes/workgroup (compile time only)
; SGPRBlocks: 0
; VGPRBlocks: 0
; NumSGPRsForWavesPerEU: 1
; NumVGPRsForWavesPerEU: 1
; Occupancy: 16
; WaveLimiterHint : 0
; COMPUTE_PGM_RSRC2:SCRATCH_EN: 0
; COMPUTE_PGM_RSRC2:USER_SGPR: 2
; COMPUTE_PGM_RSRC2:TRAP_HANDLER: 0
; COMPUTE_PGM_RSRC2:TGID_X_EN: 1
; COMPUTE_PGM_RSRC2:TGID_Y_EN: 0
; COMPUTE_PGM_RSRC2:TGID_Z_EN: 0
; COMPUTE_PGM_RSRC2:TIDIG_COMP_CNT: 0
	.section	.text._ZN7rocprim17ROCPRIM_400000_NS6detail17trampoline_kernelINS0_13select_configILj256ELj13ELNS0_17block_load_methodE3ELS4_3ELS4_3ELNS0_20block_scan_algorithmE0ELj4294967295EEENS1_25partition_config_selectorILNS1_17partition_subalgoE3EjNS0_10empty_typeEbEEZZNS1_14partition_implILS8_3ELb0ES6_jNS0_17counting_iteratorIjlEEPS9_SE_NS0_5tupleIJPjSE_EEENSF_IJSE_SE_EEES9_SG_JZNS1_25segmented_radix_sort_implINS0_14default_configELb0EPKaPaPKlPlN2at6native12_GLOBAL__N_18offset_tEEE10hipError_tPvRmT1_PNSt15iterator_traitsISY_E10value_typeET2_T3_PNSZ_IS14_E10value_typeET4_jRbjT5_S1A_jjP12ihipStream_tbEUljE_EEESV_SW_SX_S14_S18_S1A_T6_T7_T9_mT8_S1C_bDpT10_ENKUlT_T0_E_clISt17integral_constantIbLb1EES1O_IbLb0EEEEDaS1K_S1L_EUlS1K_E_NS1_11comp_targetILNS1_3genE10ELNS1_11target_archE1200ELNS1_3gpuE4ELNS1_3repE0EEENS1_30default_config_static_selectorELNS0_4arch9wavefront6targetE0EEEvSY_,"axG",@progbits,_ZN7rocprim17ROCPRIM_400000_NS6detail17trampoline_kernelINS0_13select_configILj256ELj13ELNS0_17block_load_methodE3ELS4_3ELS4_3ELNS0_20block_scan_algorithmE0ELj4294967295EEENS1_25partition_config_selectorILNS1_17partition_subalgoE3EjNS0_10empty_typeEbEEZZNS1_14partition_implILS8_3ELb0ES6_jNS0_17counting_iteratorIjlEEPS9_SE_NS0_5tupleIJPjSE_EEENSF_IJSE_SE_EEES9_SG_JZNS1_25segmented_radix_sort_implINS0_14default_configELb0EPKaPaPKlPlN2at6native12_GLOBAL__N_18offset_tEEE10hipError_tPvRmT1_PNSt15iterator_traitsISY_E10value_typeET2_T3_PNSZ_IS14_E10value_typeET4_jRbjT5_S1A_jjP12ihipStream_tbEUljE_EEESV_SW_SX_S14_S18_S1A_T6_T7_T9_mT8_S1C_bDpT10_ENKUlT_T0_E_clISt17integral_constantIbLb1EES1O_IbLb0EEEEDaS1K_S1L_EUlS1K_E_NS1_11comp_targetILNS1_3genE10ELNS1_11target_archE1200ELNS1_3gpuE4ELNS1_3repE0EEENS1_30default_config_static_selectorELNS0_4arch9wavefront6targetE0EEEvSY_,comdat
	.globl	_ZN7rocprim17ROCPRIM_400000_NS6detail17trampoline_kernelINS0_13select_configILj256ELj13ELNS0_17block_load_methodE3ELS4_3ELS4_3ELNS0_20block_scan_algorithmE0ELj4294967295EEENS1_25partition_config_selectorILNS1_17partition_subalgoE3EjNS0_10empty_typeEbEEZZNS1_14partition_implILS8_3ELb0ES6_jNS0_17counting_iteratorIjlEEPS9_SE_NS0_5tupleIJPjSE_EEENSF_IJSE_SE_EEES9_SG_JZNS1_25segmented_radix_sort_implINS0_14default_configELb0EPKaPaPKlPlN2at6native12_GLOBAL__N_18offset_tEEE10hipError_tPvRmT1_PNSt15iterator_traitsISY_E10value_typeET2_T3_PNSZ_IS14_E10value_typeET4_jRbjT5_S1A_jjP12ihipStream_tbEUljE_EEESV_SW_SX_S14_S18_S1A_T6_T7_T9_mT8_S1C_bDpT10_ENKUlT_T0_E_clISt17integral_constantIbLb1EES1O_IbLb0EEEEDaS1K_S1L_EUlS1K_E_NS1_11comp_targetILNS1_3genE10ELNS1_11target_archE1200ELNS1_3gpuE4ELNS1_3repE0EEENS1_30default_config_static_selectorELNS0_4arch9wavefront6targetE0EEEvSY_ ; -- Begin function _ZN7rocprim17ROCPRIM_400000_NS6detail17trampoline_kernelINS0_13select_configILj256ELj13ELNS0_17block_load_methodE3ELS4_3ELS4_3ELNS0_20block_scan_algorithmE0ELj4294967295EEENS1_25partition_config_selectorILNS1_17partition_subalgoE3EjNS0_10empty_typeEbEEZZNS1_14partition_implILS8_3ELb0ES6_jNS0_17counting_iteratorIjlEEPS9_SE_NS0_5tupleIJPjSE_EEENSF_IJSE_SE_EEES9_SG_JZNS1_25segmented_radix_sort_implINS0_14default_configELb0EPKaPaPKlPlN2at6native12_GLOBAL__N_18offset_tEEE10hipError_tPvRmT1_PNSt15iterator_traitsISY_E10value_typeET2_T3_PNSZ_IS14_E10value_typeET4_jRbjT5_S1A_jjP12ihipStream_tbEUljE_EEESV_SW_SX_S14_S18_S1A_T6_T7_T9_mT8_S1C_bDpT10_ENKUlT_T0_E_clISt17integral_constantIbLb1EES1O_IbLb0EEEEDaS1K_S1L_EUlS1K_E_NS1_11comp_targetILNS1_3genE10ELNS1_11target_archE1200ELNS1_3gpuE4ELNS1_3repE0EEENS1_30default_config_static_selectorELNS0_4arch9wavefront6targetE0EEEvSY_
	.p2align	8
	.type	_ZN7rocprim17ROCPRIM_400000_NS6detail17trampoline_kernelINS0_13select_configILj256ELj13ELNS0_17block_load_methodE3ELS4_3ELS4_3ELNS0_20block_scan_algorithmE0ELj4294967295EEENS1_25partition_config_selectorILNS1_17partition_subalgoE3EjNS0_10empty_typeEbEEZZNS1_14partition_implILS8_3ELb0ES6_jNS0_17counting_iteratorIjlEEPS9_SE_NS0_5tupleIJPjSE_EEENSF_IJSE_SE_EEES9_SG_JZNS1_25segmented_radix_sort_implINS0_14default_configELb0EPKaPaPKlPlN2at6native12_GLOBAL__N_18offset_tEEE10hipError_tPvRmT1_PNSt15iterator_traitsISY_E10value_typeET2_T3_PNSZ_IS14_E10value_typeET4_jRbjT5_S1A_jjP12ihipStream_tbEUljE_EEESV_SW_SX_S14_S18_S1A_T6_T7_T9_mT8_S1C_bDpT10_ENKUlT_T0_E_clISt17integral_constantIbLb1EES1O_IbLb0EEEEDaS1K_S1L_EUlS1K_E_NS1_11comp_targetILNS1_3genE10ELNS1_11target_archE1200ELNS1_3gpuE4ELNS1_3repE0EEENS1_30default_config_static_selectorELNS0_4arch9wavefront6targetE0EEEvSY_,@function
_ZN7rocprim17ROCPRIM_400000_NS6detail17trampoline_kernelINS0_13select_configILj256ELj13ELNS0_17block_load_methodE3ELS4_3ELS4_3ELNS0_20block_scan_algorithmE0ELj4294967295EEENS1_25partition_config_selectorILNS1_17partition_subalgoE3EjNS0_10empty_typeEbEEZZNS1_14partition_implILS8_3ELb0ES6_jNS0_17counting_iteratorIjlEEPS9_SE_NS0_5tupleIJPjSE_EEENSF_IJSE_SE_EEES9_SG_JZNS1_25segmented_radix_sort_implINS0_14default_configELb0EPKaPaPKlPlN2at6native12_GLOBAL__N_18offset_tEEE10hipError_tPvRmT1_PNSt15iterator_traitsISY_E10value_typeET2_T3_PNSZ_IS14_E10value_typeET4_jRbjT5_S1A_jjP12ihipStream_tbEUljE_EEESV_SW_SX_S14_S18_S1A_T6_T7_T9_mT8_S1C_bDpT10_ENKUlT_T0_E_clISt17integral_constantIbLb1EES1O_IbLb0EEEEDaS1K_S1L_EUlS1K_E_NS1_11comp_targetILNS1_3genE10ELNS1_11target_archE1200ELNS1_3gpuE4ELNS1_3repE0EEENS1_30default_config_static_selectorELNS0_4arch9wavefront6targetE0EEEvSY_: ; @_ZN7rocprim17ROCPRIM_400000_NS6detail17trampoline_kernelINS0_13select_configILj256ELj13ELNS0_17block_load_methodE3ELS4_3ELS4_3ELNS0_20block_scan_algorithmE0ELj4294967295EEENS1_25partition_config_selectorILNS1_17partition_subalgoE3EjNS0_10empty_typeEbEEZZNS1_14partition_implILS8_3ELb0ES6_jNS0_17counting_iteratorIjlEEPS9_SE_NS0_5tupleIJPjSE_EEENSF_IJSE_SE_EEES9_SG_JZNS1_25segmented_radix_sort_implINS0_14default_configELb0EPKaPaPKlPlN2at6native12_GLOBAL__N_18offset_tEEE10hipError_tPvRmT1_PNSt15iterator_traitsISY_E10value_typeET2_T3_PNSZ_IS14_E10value_typeET4_jRbjT5_S1A_jjP12ihipStream_tbEUljE_EEESV_SW_SX_S14_S18_S1A_T6_T7_T9_mT8_S1C_bDpT10_ENKUlT_T0_E_clISt17integral_constantIbLb1EES1O_IbLb0EEEEDaS1K_S1L_EUlS1K_E_NS1_11comp_targetILNS1_3genE10ELNS1_11target_archE1200ELNS1_3gpuE4ELNS1_3repE0EEENS1_30default_config_static_selectorELNS0_4arch9wavefront6targetE0EEEvSY_
; %bb.0:
	s_endpgm
	.section	.rodata,"a",@progbits
	.p2align	6, 0x0
	.amdhsa_kernel _ZN7rocprim17ROCPRIM_400000_NS6detail17trampoline_kernelINS0_13select_configILj256ELj13ELNS0_17block_load_methodE3ELS4_3ELS4_3ELNS0_20block_scan_algorithmE0ELj4294967295EEENS1_25partition_config_selectorILNS1_17partition_subalgoE3EjNS0_10empty_typeEbEEZZNS1_14partition_implILS8_3ELb0ES6_jNS0_17counting_iteratorIjlEEPS9_SE_NS0_5tupleIJPjSE_EEENSF_IJSE_SE_EEES9_SG_JZNS1_25segmented_radix_sort_implINS0_14default_configELb0EPKaPaPKlPlN2at6native12_GLOBAL__N_18offset_tEEE10hipError_tPvRmT1_PNSt15iterator_traitsISY_E10value_typeET2_T3_PNSZ_IS14_E10value_typeET4_jRbjT5_S1A_jjP12ihipStream_tbEUljE_EEESV_SW_SX_S14_S18_S1A_T6_T7_T9_mT8_S1C_bDpT10_ENKUlT_T0_E_clISt17integral_constantIbLb1EES1O_IbLb0EEEEDaS1K_S1L_EUlS1K_E_NS1_11comp_targetILNS1_3genE10ELNS1_11target_archE1200ELNS1_3gpuE4ELNS1_3repE0EEENS1_30default_config_static_selectorELNS0_4arch9wavefront6targetE0EEEvSY_
		.amdhsa_group_segment_fixed_size 0
		.amdhsa_private_segment_fixed_size 0
		.amdhsa_kernarg_size 144
		.amdhsa_user_sgpr_count 2
		.amdhsa_user_sgpr_dispatch_ptr 0
		.amdhsa_user_sgpr_queue_ptr 0
		.amdhsa_user_sgpr_kernarg_segment_ptr 1
		.amdhsa_user_sgpr_dispatch_id 0
		.amdhsa_user_sgpr_private_segment_size 0
		.amdhsa_wavefront_size32 1
		.amdhsa_uses_dynamic_stack 0
		.amdhsa_enable_private_segment 0
		.amdhsa_system_sgpr_workgroup_id_x 1
		.amdhsa_system_sgpr_workgroup_id_y 0
		.amdhsa_system_sgpr_workgroup_id_z 0
		.amdhsa_system_sgpr_workgroup_info 0
		.amdhsa_system_vgpr_workitem_id 0
		.amdhsa_next_free_vgpr 1
		.amdhsa_next_free_sgpr 1
		.amdhsa_reserve_vcc 0
		.amdhsa_float_round_mode_32 0
		.amdhsa_float_round_mode_16_64 0
		.amdhsa_float_denorm_mode_32 3
		.amdhsa_float_denorm_mode_16_64 3
		.amdhsa_fp16_overflow 0
		.amdhsa_workgroup_processor_mode 1
		.amdhsa_memory_ordered 1
		.amdhsa_forward_progress 1
		.amdhsa_inst_pref_size 1
		.amdhsa_round_robin_scheduling 0
		.amdhsa_exception_fp_ieee_invalid_op 0
		.amdhsa_exception_fp_denorm_src 0
		.amdhsa_exception_fp_ieee_div_zero 0
		.amdhsa_exception_fp_ieee_overflow 0
		.amdhsa_exception_fp_ieee_underflow 0
		.amdhsa_exception_fp_ieee_inexact 0
		.amdhsa_exception_int_div_zero 0
	.end_amdhsa_kernel
	.section	.text._ZN7rocprim17ROCPRIM_400000_NS6detail17trampoline_kernelINS0_13select_configILj256ELj13ELNS0_17block_load_methodE3ELS4_3ELS4_3ELNS0_20block_scan_algorithmE0ELj4294967295EEENS1_25partition_config_selectorILNS1_17partition_subalgoE3EjNS0_10empty_typeEbEEZZNS1_14partition_implILS8_3ELb0ES6_jNS0_17counting_iteratorIjlEEPS9_SE_NS0_5tupleIJPjSE_EEENSF_IJSE_SE_EEES9_SG_JZNS1_25segmented_radix_sort_implINS0_14default_configELb0EPKaPaPKlPlN2at6native12_GLOBAL__N_18offset_tEEE10hipError_tPvRmT1_PNSt15iterator_traitsISY_E10value_typeET2_T3_PNSZ_IS14_E10value_typeET4_jRbjT5_S1A_jjP12ihipStream_tbEUljE_EEESV_SW_SX_S14_S18_S1A_T6_T7_T9_mT8_S1C_bDpT10_ENKUlT_T0_E_clISt17integral_constantIbLb1EES1O_IbLb0EEEEDaS1K_S1L_EUlS1K_E_NS1_11comp_targetILNS1_3genE10ELNS1_11target_archE1200ELNS1_3gpuE4ELNS1_3repE0EEENS1_30default_config_static_selectorELNS0_4arch9wavefront6targetE0EEEvSY_,"axG",@progbits,_ZN7rocprim17ROCPRIM_400000_NS6detail17trampoline_kernelINS0_13select_configILj256ELj13ELNS0_17block_load_methodE3ELS4_3ELS4_3ELNS0_20block_scan_algorithmE0ELj4294967295EEENS1_25partition_config_selectorILNS1_17partition_subalgoE3EjNS0_10empty_typeEbEEZZNS1_14partition_implILS8_3ELb0ES6_jNS0_17counting_iteratorIjlEEPS9_SE_NS0_5tupleIJPjSE_EEENSF_IJSE_SE_EEES9_SG_JZNS1_25segmented_radix_sort_implINS0_14default_configELb0EPKaPaPKlPlN2at6native12_GLOBAL__N_18offset_tEEE10hipError_tPvRmT1_PNSt15iterator_traitsISY_E10value_typeET2_T3_PNSZ_IS14_E10value_typeET4_jRbjT5_S1A_jjP12ihipStream_tbEUljE_EEESV_SW_SX_S14_S18_S1A_T6_T7_T9_mT8_S1C_bDpT10_ENKUlT_T0_E_clISt17integral_constantIbLb1EES1O_IbLb0EEEEDaS1K_S1L_EUlS1K_E_NS1_11comp_targetILNS1_3genE10ELNS1_11target_archE1200ELNS1_3gpuE4ELNS1_3repE0EEENS1_30default_config_static_selectorELNS0_4arch9wavefront6targetE0EEEvSY_,comdat
.Lfunc_end382:
	.size	_ZN7rocprim17ROCPRIM_400000_NS6detail17trampoline_kernelINS0_13select_configILj256ELj13ELNS0_17block_load_methodE3ELS4_3ELS4_3ELNS0_20block_scan_algorithmE0ELj4294967295EEENS1_25partition_config_selectorILNS1_17partition_subalgoE3EjNS0_10empty_typeEbEEZZNS1_14partition_implILS8_3ELb0ES6_jNS0_17counting_iteratorIjlEEPS9_SE_NS0_5tupleIJPjSE_EEENSF_IJSE_SE_EEES9_SG_JZNS1_25segmented_radix_sort_implINS0_14default_configELb0EPKaPaPKlPlN2at6native12_GLOBAL__N_18offset_tEEE10hipError_tPvRmT1_PNSt15iterator_traitsISY_E10value_typeET2_T3_PNSZ_IS14_E10value_typeET4_jRbjT5_S1A_jjP12ihipStream_tbEUljE_EEESV_SW_SX_S14_S18_S1A_T6_T7_T9_mT8_S1C_bDpT10_ENKUlT_T0_E_clISt17integral_constantIbLb1EES1O_IbLb0EEEEDaS1K_S1L_EUlS1K_E_NS1_11comp_targetILNS1_3genE10ELNS1_11target_archE1200ELNS1_3gpuE4ELNS1_3repE0EEENS1_30default_config_static_selectorELNS0_4arch9wavefront6targetE0EEEvSY_, .Lfunc_end382-_ZN7rocprim17ROCPRIM_400000_NS6detail17trampoline_kernelINS0_13select_configILj256ELj13ELNS0_17block_load_methodE3ELS4_3ELS4_3ELNS0_20block_scan_algorithmE0ELj4294967295EEENS1_25partition_config_selectorILNS1_17partition_subalgoE3EjNS0_10empty_typeEbEEZZNS1_14partition_implILS8_3ELb0ES6_jNS0_17counting_iteratorIjlEEPS9_SE_NS0_5tupleIJPjSE_EEENSF_IJSE_SE_EEES9_SG_JZNS1_25segmented_radix_sort_implINS0_14default_configELb0EPKaPaPKlPlN2at6native12_GLOBAL__N_18offset_tEEE10hipError_tPvRmT1_PNSt15iterator_traitsISY_E10value_typeET2_T3_PNSZ_IS14_E10value_typeET4_jRbjT5_S1A_jjP12ihipStream_tbEUljE_EEESV_SW_SX_S14_S18_S1A_T6_T7_T9_mT8_S1C_bDpT10_ENKUlT_T0_E_clISt17integral_constantIbLb1EES1O_IbLb0EEEEDaS1K_S1L_EUlS1K_E_NS1_11comp_targetILNS1_3genE10ELNS1_11target_archE1200ELNS1_3gpuE4ELNS1_3repE0EEENS1_30default_config_static_selectorELNS0_4arch9wavefront6targetE0EEEvSY_
                                        ; -- End function
	.set _ZN7rocprim17ROCPRIM_400000_NS6detail17trampoline_kernelINS0_13select_configILj256ELj13ELNS0_17block_load_methodE3ELS4_3ELS4_3ELNS0_20block_scan_algorithmE0ELj4294967295EEENS1_25partition_config_selectorILNS1_17partition_subalgoE3EjNS0_10empty_typeEbEEZZNS1_14partition_implILS8_3ELb0ES6_jNS0_17counting_iteratorIjlEEPS9_SE_NS0_5tupleIJPjSE_EEENSF_IJSE_SE_EEES9_SG_JZNS1_25segmented_radix_sort_implINS0_14default_configELb0EPKaPaPKlPlN2at6native12_GLOBAL__N_18offset_tEEE10hipError_tPvRmT1_PNSt15iterator_traitsISY_E10value_typeET2_T3_PNSZ_IS14_E10value_typeET4_jRbjT5_S1A_jjP12ihipStream_tbEUljE_EEESV_SW_SX_S14_S18_S1A_T6_T7_T9_mT8_S1C_bDpT10_ENKUlT_T0_E_clISt17integral_constantIbLb1EES1O_IbLb0EEEEDaS1K_S1L_EUlS1K_E_NS1_11comp_targetILNS1_3genE10ELNS1_11target_archE1200ELNS1_3gpuE4ELNS1_3repE0EEENS1_30default_config_static_selectorELNS0_4arch9wavefront6targetE0EEEvSY_.num_vgpr, 0
	.set _ZN7rocprim17ROCPRIM_400000_NS6detail17trampoline_kernelINS0_13select_configILj256ELj13ELNS0_17block_load_methodE3ELS4_3ELS4_3ELNS0_20block_scan_algorithmE0ELj4294967295EEENS1_25partition_config_selectorILNS1_17partition_subalgoE3EjNS0_10empty_typeEbEEZZNS1_14partition_implILS8_3ELb0ES6_jNS0_17counting_iteratorIjlEEPS9_SE_NS0_5tupleIJPjSE_EEENSF_IJSE_SE_EEES9_SG_JZNS1_25segmented_radix_sort_implINS0_14default_configELb0EPKaPaPKlPlN2at6native12_GLOBAL__N_18offset_tEEE10hipError_tPvRmT1_PNSt15iterator_traitsISY_E10value_typeET2_T3_PNSZ_IS14_E10value_typeET4_jRbjT5_S1A_jjP12ihipStream_tbEUljE_EEESV_SW_SX_S14_S18_S1A_T6_T7_T9_mT8_S1C_bDpT10_ENKUlT_T0_E_clISt17integral_constantIbLb1EES1O_IbLb0EEEEDaS1K_S1L_EUlS1K_E_NS1_11comp_targetILNS1_3genE10ELNS1_11target_archE1200ELNS1_3gpuE4ELNS1_3repE0EEENS1_30default_config_static_selectorELNS0_4arch9wavefront6targetE0EEEvSY_.num_agpr, 0
	.set _ZN7rocprim17ROCPRIM_400000_NS6detail17trampoline_kernelINS0_13select_configILj256ELj13ELNS0_17block_load_methodE3ELS4_3ELS4_3ELNS0_20block_scan_algorithmE0ELj4294967295EEENS1_25partition_config_selectorILNS1_17partition_subalgoE3EjNS0_10empty_typeEbEEZZNS1_14partition_implILS8_3ELb0ES6_jNS0_17counting_iteratorIjlEEPS9_SE_NS0_5tupleIJPjSE_EEENSF_IJSE_SE_EEES9_SG_JZNS1_25segmented_radix_sort_implINS0_14default_configELb0EPKaPaPKlPlN2at6native12_GLOBAL__N_18offset_tEEE10hipError_tPvRmT1_PNSt15iterator_traitsISY_E10value_typeET2_T3_PNSZ_IS14_E10value_typeET4_jRbjT5_S1A_jjP12ihipStream_tbEUljE_EEESV_SW_SX_S14_S18_S1A_T6_T7_T9_mT8_S1C_bDpT10_ENKUlT_T0_E_clISt17integral_constantIbLb1EES1O_IbLb0EEEEDaS1K_S1L_EUlS1K_E_NS1_11comp_targetILNS1_3genE10ELNS1_11target_archE1200ELNS1_3gpuE4ELNS1_3repE0EEENS1_30default_config_static_selectorELNS0_4arch9wavefront6targetE0EEEvSY_.numbered_sgpr, 0
	.set _ZN7rocprim17ROCPRIM_400000_NS6detail17trampoline_kernelINS0_13select_configILj256ELj13ELNS0_17block_load_methodE3ELS4_3ELS4_3ELNS0_20block_scan_algorithmE0ELj4294967295EEENS1_25partition_config_selectorILNS1_17partition_subalgoE3EjNS0_10empty_typeEbEEZZNS1_14partition_implILS8_3ELb0ES6_jNS0_17counting_iteratorIjlEEPS9_SE_NS0_5tupleIJPjSE_EEENSF_IJSE_SE_EEES9_SG_JZNS1_25segmented_radix_sort_implINS0_14default_configELb0EPKaPaPKlPlN2at6native12_GLOBAL__N_18offset_tEEE10hipError_tPvRmT1_PNSt15iterator_traitsISY_E10value_typeET2_T3_PNSZ_IS14_E10value_typeET4_jRbjT5_S1A_jjP12ihipStream_tbEUljE_EEESV_SW_SX_S14_S18_S1A_T6_T7_T9_mT8_S1C_bDpT10_ENKUlT_T0_E_clISt17integral_constantIbLb1EES1O_IbLb0EEEEDaS1K_S1L_EUlS1K_E_NS1_11comp_targetILNS1_3genE10ELNS1_11target_archE1200ELNS1_3gpuE4ELNS1_3repE0EEENS1_30default_config_static_selectorELNS0_4arch9wavefront6targetE0EEEvSY_.num_named_barrier, 0
	.set _ZN7rocprim17ROCPRIM_400000_NS6detail17trampoline_kernelINS0_13select_configILj256ELj13ELNS0_17block_load_methodE3ELS4_3ELS4_3ELNS0_20block_scan_algorithmE0ELj4294967295EEENS1_25partition_config_selectorILNS1_17partition_subalgoE3EjNS0_10empty_typeEbEEZZNS1_14partition_implILS8_3ELb0ES6_jNS0_17counting_iteratorIjlEEPS9_SE_NS0_5tupleIJPjSE_EEENSF_IJSE_SE_EEES9_SG_JZNS1_25segmented_radix_sort_implINS0_14default_configELb0EPKaPaPKlPlN2at6native12_GLOBAL__N_18offset_tEEE10hipError_tPvRmT1_PNSt15iterator_traitsISY_E10value_typeET2_T3_PNSZ_IS14_E10value_typeET4_jRbjT5_S1A_jjP12ihipStream_tbEUljE_EEESV_SW_SX_S14_S18_S1A_T6_T7_T9_mT8_S1C_bDpT10_ENKUlT_T0_E_clISt17integral_constantIbLb1EES1O_IbLb0EEEEDaS1K_S1L_EUlS1K_E_NS1_11comp_targetILNS1_3genE10ELNS1_11target_archE1200ELNS1_3gpuE4ELNS1_3repE0EEENS1_30default_config_static_selectorELNS0_4arch9wavefront6targetE0EEEvSY_.private_seg_size, 0
	.set _ZN7rocprim17ROCPRIM_400000_NS6detail17trampoline_kernelINS0_13select_configILj256ELj13ELNS0_17block_load_methodE3ELS4_3ELS4_3ELNS0_20block_scan_algorithmE0ELj4294967295EEENS1_25partition_config_selectorILNS1_17partition_subalgoE3EjNS0_10empty_typeEbEEZZNS1_14partition_implILS8_3ELb0ES6_jNS0_17counting_iteratorIjlEEPS9_SE_NS0_5tupleIJPjSE_EEENSF_IJSE_SE_EEES9_SG_JZNS1_25segmented_radix_sort_implINS0_14default_configELb0EPKaPaPKlPlN2at6native12_GLOBAL__N_18offset_tEEE10hipError_tPvRmT1_PNSt15iterator_traitsISY_E10value_typeET2_T3_PNSZ_IS14_E10value_typeET4_jRbjT5_S1A_jjP12ihipStream_tbEUljE_EEESV_SW_SX_S14_S18_S1A_T6_T7_T9_mT8_S1C_bDpT10_ENKUlT_T0_E_clISt17integral_constantIbLb1EES1O_IbLb0EEEEDaS1K_S1L_EUlS1K_E_NS1_11comp_targetILNS1_3genE10ELNS1_11target_archE1200ELNS1_3gpuE4ELNS1_3repE0EEENS1_30default_config_static_selectorELNS0_4arch9wavefront6targetE0EEEvSY_.uses_vcc, 0
	.set _ZN7rocprim17ROCPRIM_400000_NS6detail17trampoline_kernelINS0_13select_configILj256ELj13ELNS0_17block_load_methodE3ELS4_3ELS4_3ELNS0_20block_scan_algorithmE0ELj4294967295EEENS1_25partition_config_selectorILNS1_17partition_subalgoE3EjNS0_10empty_typeEbEEZZNS1_14partition_implILS8_3ELb0ES6_jNS0_17counting_iteratorIjlEEPS9_SE_NS0_5tupleIJPjSE_EEENSF_IJSE_SE_EEES9_SG_JZNS1_25segmented_radix_sort_implINS0_14default_configELb0EPKaPaPKlPlN2at6native12_GLOBAL__N_18offset_tEEE10hipError_tPvRmT1_PNSt15iterator_traitsISY_E10value_typeET2_T3_PNSZ_IS14_E10value_typeET4_jRbjT5_S1A_jjP12ihipStream_tbEUljE_EEESV_SW_SX_S14_S18_S1A_T6_T7_T9_mT8_S1C_bDpT10_ENKUlT_T0_E_clISt17integral_constantIbLb1EES1O_IbLb0EEEEDaS1K_S1L_EUlS1K_E_NS1_11comp_targetILNS1_3genE10ELNS1_11target_archE1200ELNS1_3gpuE4ELNS1_3repE0EEENS1_30default_config_static_selectorELNS0_4arch9wavefront6targetE0EEEvSY_.uses_flat_scratch, 0
	.set _ZN7rocprim17ROCPRIM_400000_NS6detail17trampoline_kernelINS0_13select_configILj256ELj13ELNS0_17block_load_methodE3ELS4_3ELS4_3ELNS0_20block_scan_algorithmE0ELj4294967295EEENS1_25partition_config_selectorILNS1_17partition_subalgoE3EjNS0_10empty_typeEbEEZZNS1_14partition_implILS8_3ELb0ES6_jNS0_17counting_iteratorIjlEEPS9_SE_NS0_5tupleIJPjSE_EEENSF_IJSE_SE_EEES9_SG_JZNS1_25segmented_radix_sort_implINS0_14default_configELb0EPKaPaPKlPlN2at6native12_GLOBAL__N_18offset_tEEE10hipError_tPvRmT1_PNSt15iterator_traitsISY_E10value_typeET2_T3_PNSZ_IS14_E10value_typeET4_jRbjT5_S1A_jjP12ihipStream_tbEUljE_EEESV_SW_SX_S14_S18_S1A_T6_T7_T9_mT8_S1C_bDpT10_ENKUlT_T0_E_clISt17integral_constantIbLb1EES1O_IbLb0EEEEDaS1K_S1L_EUlS1K_E_NS1_11comp_targetILNS1_3genE10ELNS1_11target_archE1200ELNS1_3gpuE4ELNS1_3repE0EEENS1_30default_config_static_selectorELNS0_4arch9wavefront6targetE0EEEvSY_.has_dyn_sized_stack, 0
	.set _ZN7rocprim17ROCPRIM_400000_NS6detail17trampoline_kernelINS0_13select_configILj256ELj13ELNS0_17block_load_methodE3ELS4_3ELS4_3ELNS0_20block_scan_algorithmE0ELj4294967295EEENS1_25partition_config_selectorILNS1_17partition_subalgoE3EjNS0_10empty_typeEbEEZZNS1_14partition_implILS8_3ELb0ES6_jNS0_17counting_iteratorIjlEEPS9_SE_NS0_5tupleIJPjSE_EEENSF_IJSE_SE_EEES9_SG_JZNS1_25segmented_radix_sort_implINS0_14default_configELb0EPKaPaPKlPlN2at6native12_GLOBAL__N_18offset_tEEE10hipError_tPvRmT1_PNSt15iterator_traitsISY_E10value_typeET2_T3_PNSZ_IS14_E10value_typeET4_jRbjT5_S1A_jjP12ihipStream_tbEUljE_EEESV_SW_SX_S14_S18_S1A_T6_T7_T9_mT8_S1C_bDpT10_ENKUlT_T0_E_clISt17integral_constantIbLb1EES1O_IbLb0EEEEDaS1K_S1L_EUlS1K_E_NS1_11comp_targetILNS1_3genE10ELNS1_11target_archE1200ELNS1_3gpuE4ELNS1_3repE0EEENS1_30default_config_static_selectorELNS0_4arch9wavefront6targetE0EEEvSY_.has_recursion, 0
	.set _ZN7rocprim17ROCPRIM_400000_NS6detail17trampoline_kernelINS0_13select_configILj256ELj13ELNS0_17block_load_methodE3ELS4_3ELS4_3ELNS0_20block_scan_algorithmE0ELj4294967295EEENS1_25partition_config_selectorILNS1_17partition_subalgoE3EjNS0_10empty_typeEbEEZZNS1_14partition_implILS8_3ELb0ES6_jNS0_17counting_iteratorIjlEEPS9_SE_NS0_5tupleIJPjSE_EEENSF_IJSE_SE_EEES9_SG_JZNS1_25segmented_radix_sort_implINS0_14default_configELb0EPKaPaPKlPlN2at6native12_GLOBAL__N_18offset_tEEE10hipError_tPvRmT1_PNSt15iterator_traitsISY_E10value_typeET2_T3_PNSZ_IS14_E10value_typeET4_jRbjT5_S1A_jjP12ihipStream_tbEUljE_EEESV_SW_SX_S14_S18_S1A_T6_T7_T9_mT8_S1C_bDpT10_ENKUlT_T0_E_clISt17integral_constantIbLb1EES1O_IbLb0EEEEDaS1K_S1L_EUlS1K_E_NS1_11comp_targetILNS1_3genE10ELNS1_11target_archE1200ELNS1_3gpuE4ELNS1_3repE0EEENS1_30default_config_static_selectorELNS0_4arch9wavefront6targetE0EEEvSY_.has_indirect_call, 0
	.section	.AMDGPU.csdata,"",@progbits
; Kernel info:
; codeLenInByte = 4
; TotalNumSgprs: 0
; NumVgprs: 0
; ScratchSize: 0
; MemoryBound: 0
; FloatMode: 240
; IeeeMode: 1
; LDSByteSize: 0 bytes/workgroup (compile time only)
; SGPRBlocks: 0
; VGPRBlocks: 0
; NumSGPRsForWavesPerEU: 1
; NumVGPRsForWavesPerEU: 1
; Occupancy: 16
; WaveLimiterHint : 0
; COMPUTE_PGM_RSRC2:SCRATCH_EN: 0
; COMPUTE_PGM_RSRC2:USER_SGPR: 2
; COMPUTE_PGM_RSRC2:TRAP_HANDLER: 0
; COMPUTE_PGM_RSRC2:TGID_X_EN: 1
; COMPUTE_PGM_RSRC2:TGID_Y_EN: 0
; COMPUTE_PGM_RSRC2:TGID_Z_EN: 0
; COMPUTE_PGM_RSRC2:TIDIG_COMP_CNT: 0
	.section	.text._ZN7rocprim17ROCPRIM_400000_NS6detail17trampoline_kernelINS0_13select_configILj256ELj13ELNS0_17block_load_methodE3ELS4_3ELS4_3ELNS0_20block_scan_algorithmE0ELj4294967295EEENS1_25partition_config_selectorILNS1_17partition_subalgoE3EjNS0_10empty_typeEbEEZZNS1_14partition_implILS8_3ELb0ES6_jNS0_17counting_iteratorIjlEEPS9_SE_NS0_5tupleIJPjSE_EEENSF_IJSE_SE_EEES9_SG_JZNS1_25segmented_radix_sort_implINS0_14default_configELb0EPKaPaPKlPlN2at6native12_GLOBAL__N_18offset_tEEE10hipError_tPvRmT1_PNSt15iterator_traitsISY_E10value_typeET2_T3_PNSZ_IS14_E10value_typeET4_jRbjT5_S1A_jjP12ihipStream_tbEUljE_EEESV_SW_SX_S14_S18_S1A_T6_T7_T9_mT8_S1C_bDpT10_ENKUlT_T0_E_clISt17integral_constantIbLb1EES1O_IbLb0EEEEDaS1K_S1L_EUlS1K_E_NS1_11comp_targetILNS1_3genE9ELNS1_11target_archE1100ELNS1_3gpuE3ELNS1_3repE0EEENS1_30default_config_static_selectorELNS0_4arch9wavefront6targetE0EEEvSY_,"axG",@progbits,_ZN7rocprim17ROCPRIM_400000_NS6detail17trampoline_kernelINS0_13select_configILj256ELj13ELNS0_17block_load_methodE3ELS4_3ELS4_3ELNS0_20block_scan_algorithmE0ELj4294967295EEENS1_25partition_config_selectorILNS1_17partition_subalgoE3EjNS0_10empty_typeEbEEZZNS1_14partition_implILS8_3ELb0ES6_jNS0_17counting_iteratorIjlEEPS9_SE_NS0_5tupleIJPjSE_EEENSF_IJSE_SE_EEES9_SG_JZNS1_25segmented_radix_sort_implINS0_14default_configELb0EPKaPaPKlPlN2at6native12_GLOBAL__N_18offset_tEEE10hipError_tPvRmT1_PNSt15iterator_traitsISY_E10value_typeET2_T3_PNSZ_IS14_E10value_typeET4_jRbjT5_S1A_jjP12ihipStream_tbEUljE_EEESV_SW_SX_S14_S18_S1A_T6_T7_T9_mT8_S1C_bDpT10_ENKUlT_T0_E_clISt17integral_constantIbLb1EES1O_IbLb0EEEEDaS1K_S1L_EUlS1K_E_NS1_11comp_targetILNS1_3genE9ELNS1_11target_archE1100ELNS1_3gpuE3ELNS1_3repE0EEENS1_30default_config_static_selectorELNS0_4arch9wavefront6targetE0EEEvSY_,comdat
	.globl	_ZN7rocprim17ROCPRIM_400000_NS6detail17trampoline_kernelINS0_13select_configILj256ELj13ELNS0_17block_load_methodE3ELS4_3ELS4_3ELNS0_20block_scan_algorithmE0ELj4294967295EEENS1_25partition_config_selectorILNS1_17partition_subalgoE3EjNS0_10empty_typeEbEEZZNS1_14partition_implILS8_3ELb0ES6_jNS0_17counting_iteratorIjlEEPS9_SE_NS0_5tupleIJPjSE_EEENSF_IJSE_SE_EEES9_SG_JZNS1_25segmented_radix_sort_implINS0_14default_configELb0EPKaPaPKlPlN2at6native12_GLOBAL__N_18offset_tEEE10hipError_tPvRmT1_PNSt15iterator_traitsISY_E10value_typeET2_T3_PNSZ_IS14_E10value_typeET4_jRbjT5_S1A_jjP12ihipStream_tbEUljE_EEESV_SW_SX_S14_S18_S1A_T6_T7_T9_mT8_S1C_bDpT10_ENKUlT_T0_E_clISt17integral_constantIbLb1EES1O_IbLb0EEEEDaS1K_S1L_EUlS1K_E_NS1_11comp_targetILNS1_3genE9ELNS1_11target_archE1100ELNS1_3gpuE3ELNS1_3repE0EEENS1_30default_config_static_selectorELNS0_4arch9wavefront6targetE0EEEvSY_ ; -- Begin function _ZN7rocprim17ROCPRIM_400000_NS6detail17trampoline_kernelINS0_13select_configILj256ELj13ELNS0_17block_load_methodE3ELS4_3ELS4_3ELNS0_20block_scan_algorithmE0ELj4294967295EEENS1_25partition_config_selectorILNS1_17partition_subalgoE3EjNS0_10empty_typeEbEEZZNS1_14partition_implILS8_3ELb0ES6_jNS0_17counting_iteratorIjlEEPS9_SE_NS0_5tupleIJPjSE_EEENSF_IJSE_SE_EEES9_SG_JZNS1_25segmented_radix_sort_implINS0_14default_configELb0EPKaPaPKlPlN2at6native12_GLOBAL__N_18offset_tEEE10hipError_tPvRmT1_PNSt15iterator_traitsISY_E10value_typeET2_T3_PNSZ_IS14_E10value_typeET4_jRbjT5_S1A_jjP12ihipStream_tbEUljE_EEESV_SW_SX_S14_S18_S1A_T6_T7_T9_mT8_S1C_bDpT10_ENKUlT_T0_E_clISt17integral_constantIbLb1EES1O_IbLb0EEEEDaS1K_S1L_EUlS1K_E_NS1_11comp_targetILNS1_3genE9ELNS1_11target_archE1100ELNS1_3gpuE3ELNS1_3repE0EEENS1_30default_config_static_selectorELNS0_4arch9wavefront6targetE0EEEvSY_
	.p2align	8
	.type	_ZN7rocprim17ROCPRIM_400000_NS6detail17trampoline_kernelINS0_13select_configILj256ELj13ELNS0_17block_load_methodE3ELS4_3ELS4_3ELNS0_20block_scan_algorithmE0ELj4294967295EEENS1_25partition_config_selectorILNS1_17partition_subalgoE3EjNS0_10empty_typeEbEEZZNS1_14partition_implILS8_3ELb0ES6_jNS0_17counting_iteratorIjlEEPS9_SE_NS0_5tupleIJPjSE_EEENSF_IJSE_SE_EEES9_SG_JZNS1_25segmented_radix_sort_implINS0_14default_configELb0EPKaPaPKlPlN2at6native12_GLOBAL__N_18offset_tEEE10hipError_tPvRmT1_PNSt15iterator_traitsISY_E10value_typeET2_T3_PNSZ_IS14_E10value_typeET4_jRbjT5_S1A_jjP12ihipStream_tbEUljE_EEESV_SW_SX_S14_S18_S1A_T6_T7_T9_mT8_S1C_bDpT10_ENKUlT_T0_E_clISt17integral_constantIbLb1EES1O_IbLb0EEEEDaS1K_S1L_EUlS1K_E_NS1_11comp_targetILNS1_3genE9ELNS1_11target_archE1100ELNS1_3gpuE3ELNS1_3repE0EEENS1_30default_config_static_selectorELNS0_4arch9wavefront6targetE0EEEvSY_,@function
_ZN7rocprim17ROCPRIM_400000_NS6detail17trampoline_kernelINS0_13select_configILj256ELj13ELNS0_17block_load_methodE3ELS4_3ELS4_3ELNS0_20block_scan_algorithmE0ELj4294967295EEENS1_25partition_config_selectorILNS1_17partition_subalgoE3EjNS0_10empty_typeEbEEZZNS1_14partition_implILS8_3ELb0ES6_jNS0_17counting_iteratorIjlEEPS9_SE_NS0_5tupleIJPjSE_EEENSF_IJSE_SE_EEES9_SG_JZNS1_25segmented_radix_sort_implINS0_14default_configELb0EPKaPaPKlPlN2at6native12_GLOBAL__N_18offset_tEEE10hipError_tPvRmT1_PNSt15iterator_traitsISY_E10value_typeET2_T3_PNSZ_IS14_E10value_typeET4_jRbjT5_S1A_jjP12ihipStream_tbEUljE_EEESV_SW_SX_S14_S18_S1A_T6_T7_T9_mT8_S1C_bDpT10_ENKUlT_T0_E_clISt17integral_constantIbLb1EES1O_IbLb0EEEEDaS1K_S1L_EUlS1K_E_NS1_11comp_targetILNS1_3genE9ELNS1_11target_archE1100ELNS1_3gpuE3ELNS1_3repE0EEENS1_30default_config_static_selectorELNS0_4arch9wavefront6targetE0EEEvSY_: ; @_ZN7rocprim17ROCPRIM_400000_NS6detail17trampoline_kernelINS0_13select_configILj256ELj13ELNS0_17block_load_methodE3ELS4_3ELS4_3ELNS0_20block_scan_algorithmE0ELj4294967295EEENS1_25partition_config_selectorILNS1_17partition_subalgoE3EjNS0_10empty_typeEbEEZZNS1_14partition_implILS8_3ELb0ES6_jNS0_17counting_iteratorIjlEEPS9_SE_NS0_5tupleIJPjSE_EEENSF_IJSE_SE_EEES9_SG_JZNS1_25segmented_radix_sort_implINS0_14default_configELb0EPKaPaPKlPlN2at6native12_GLOBAL__N_18offset_tEEE10hipError_tPvRmT1_PNSt15iterator_traitsISY_E10value_typeET2_T3_PNSZ_IS14_E10value_typeET4_jRbjT5_S1A_jjP12ihipStream_tbEUljE_EEESV_SW_SX_S14_S18_S1A_T6_T7_T9_mT8_S1C_bDpT10_ENKUlT_T0_E_clISt17integral_constantIbLb1EES1O_IbLb0EEEEDaS1K_S1L_EUlS1K_E_NS1_11comp_targetILNS1_3genE9ELNS1_11target_archE1100ELNS1_3gpuE3ELNS1_3repE0EEENS1_30default_config_static_selectorELNS0_4arch9wavefront6targetE0EEEvSY_
; %bb.0:
	.section	.rodata,"a",@progbits
	.p2align	6, 0x0
	.amdhsa_kernel _ZN7rocprim17ROCPRIM_400000_NS6detail17trampoline_kernelINS0_13select_configILj256ELj13ELNS0_17block_load_methodE3ELS4_3ELS4_3ELNS0_20block_scan_algorithmE0ELj4294967295EEENS1_25partition_config_selectorILNS1_17partition_subalgoE3EjNS0_10empty_typeEbEEZZNS1_14partition_implILS8_3ELb0ES6_jNS0_17counting_iteratorIjlEEPS9_SE_NS0_5tupleIJPjSE_EEENSF_IJSE_SE_EEES9_SG_JZNS1_25segmented_radix_sort_implINS0_14default_configELb0EPKaPaPKlPlN2at6native12_GLOBAL__N_18offset_tEEE10hipError_tPvRmT1_PNSt15iterator_traitsISY_E10value_typeET2_T3_PNSZ_IS14_E10value_typeET4_jRbjT5_S1A_jjP12ihipStream_tbEUljE_EEESV_SW_SX_S14_S18_S1A_T6_T7_T9_mT8_S1C_bDpT10_ENKUlT_T0_E_clISt17integral_constantIbLb1EES1O_IbLb0EEEEDaS1K_S1L_EUlS1K_E_NS1_11comp_targetILNS1_3genE9ELNS1_11target_archE1100ELNS1_3gpuE3ELNS1_3repE0EEENS1_30default_config_static_selectorELNS0_4arch9wavefront6targetE0EEEvSY_
		.amdhsa_group_segment_fixed_size 0
		.amdhsa_private_segment_fixed_size 0
		.amdhsa_kernarg_size 144
		.amdhsa_user_sgpr_count 2
		.amdhsa_user_sgpr_dispatch_ptr 0
		.amdhsa_user_sgpr_queue_ptr 0
		.amdhsa_user_sgpr_kernarg_segment_ptr 1
		.amdhsa_user_sgpr_dispatch_id 0
		.amdhsa_user_sgpr_private_segment_size 0
		.amdhsa_wavefront_size32 1
		.amdhsa_uses_dynamic_stack 0
		.amdhsa_enable_private_segment 0
		.amdhsa_system_sgpr_workgroup_id_x 1
		.amdhsa_system_sgpr_workgroup_id_y 0
		.amdhsa_system_sgpr_workgroup_id_z 0
		.amdhsa_system_sgpr_workgroup_info 0
		.amdhsa_system_vgpr_workitem_id 0
		.amdhsa_next_free_vgpr 1
		.amdhsa_next_free_sgpr 1
		.amdhsa_reserve_vcc 0
		.amdhsa_float_round_mode_32 0
		.amdhsa_float_round_mode_16_64 0
		.amdhsa_float_denorm_mode_32 3
		.amdhsa_float_denorm_mode_16_64 3
		.amdhsa_fp16_overflow 0
		.amdhsa_workgroup_processor_mode 1
		.amdhsa_memory_ordered 1
		.amdhsa_forward_progress 1
		.amdhsa_inst_pref_size 0
		.amdhsa_round_robin_scheduling 0
		.amdhsa_exception_fp_ieee_invalid_op 0
		.amdhsa_exception_fp_denorm_src 0
		.amdhsa_exception_fp_ieee_div_zero 0
		.amdhsa_exception_fp_ieee_overflow 0
		.amdhsa_exception_fp_ieee_underflow 0
		.amdhsa_exception_fp_ieee_inexact 0
		.amdhsa_exception_int_div_zero 0
	.end_amdhsa_kernel
	.section	.text._ZN7rocprim17ROCPRIM_400000_NS6detail17trampoline_kernelINS0_13select_configILj256ELj13ELNS0_17block_load_methodE3ELS4_3ELS4_3ELNS0_20block_scan_algorithmE0ELj4294967295EEENS1_25partition_config_selectorILNS1_17partition_subalgoE3EjNS0_10empty_typeEbEEZZNS1_14partition_implILS8_3ELb0ES6_jNS0_17counting_iteratorIjlEEPS9_SE_NS0_5tupleIJPjSE_EEENSF_IJSE_SE_EEES9_SG_JZNS1_25segmented_radix_sort_implINS0_14default_configELb0EPKaPaPKlPlN2at6native12_GLOBAL__N_18offset_tEEE10hipError_tPvRmT1_PNSt15iterator_traitsISY_E10value_typeET2_T3_PNSZ_IS14_E10value_typeET4_jRbjT5_S1A_jjP12ihipStream_tbEUljE_EEESV_SW_SX_S14_S18_S1A_T6_T7_T9_mT8_S1C_bDpT10_ENKUlT_T0_E_clISt17integral_constantIbLb1EES1O_IbLb0EEEEDaS1K_S1L_EUlS1K_E_NS1_11comp_targetILNS1_3genE9ELNS1_11target_archE1100ELNS1_3gpuE3ELNS1_3repE0EEENS1_30default_config_static_selectorELNS0_4arch9wavefront6targetE0EEEvSY_,"axG",@progbits,_ZN7rocprim17ROCPRIM_400000_NS6detail17trampoline_kernelINS0_13select_configILj256ELj13ELNS0_17block_load_methodE3ELS4_3ELS4_3ELNS0_20block_scan_algorithmE0ELj4294967295EEENS1_25partition_config_selectorILNS1_17partition_subalgoE3EjNS0_10empty_typeEbEEZZNS1_14partition_implILS8_3ELb0ES6_jNS0_17counting_iteratorIjlEEPS9_SE_NS0_5tupleIJPjSE_EEENSF_IJSE_SE_EEES9_SG_JZNS1_25segmented_radix_sort_implINS0_14default_configELb0EPKaPaPKlPlN2at6native12_GLOBAL__N_18offset_tEEE10hipError_tPvRmT1_PNSt15iterator_traitsISY_E10value_typeET2_T3_PNSZ_IS14_E10value_typeET4_jRbjT5_S1A_jjP12ihipStream_tbEUljE_EEESV_SW_SX_S14_S18_S1A_T6_T7_T9_mT8_S1C_bDpT10_ENKUlT_T0_E_clISt17integral_constantIbLb1EES1O_IbLb0EEEEDaS1K_S1L_EUlS1K_E_NS1_11comp_targetILNS1_3genE9ELNS1_11target_archE1100ELNS1_3gpuE3ELNS1_3repE0EEENS1_30default_config_static_selectorELNS0_4arch9wavefront6targetE0EEEvSY_,comdat
.Lfunc_end383:
	.size	_ZN7rocprim17ROCPRIM_400000_NS6detail17trampoline_kernelINS0_13select_configILj256ELj13ELNS0_17block_load_methodE3ELS4_3ELS4_3ELNS0_20block_scan_algorithmE0ELj4294967295EEENS1_25partition_config_selectorILNS1_17partition_subalgoE3EjNS0_10empty_typeEbEEZZNS1_14partition_implILS8_3ELb0ES6_jNS0_17counting_iteratorIjlEEPS9_SE_NS0_5tupleIJPjSE_EEENSF_IJSE_SE_EEES9_SG_JZNS1_25segmented_radix_sort_implINS0_14default_configELb0EPKaPaPKlPlN2at6native12_GLOBAL__N_18offset_tEEE10hipError_tPvRmT1_PNSt15iterator_traitsISY_E10value_typeET2_T3_PNSZ_IS14_E10value_typeET4_jRbjT5_S1A_jjP12ihipStream_tbEUljE_EEESV_SW_SX_S14_S18_S1A_T6_T7_T9_mT8_S1C_bDpT10_ENKUlT_T0_E_clISt17integral_constantIbLb1EES1O_IbLb0EEEEDaS1K_S1L_EUlS1K_E_NS1_11comp_targetILNS1_3genE9ELNS1_11target_archE1100ELNS1_3gpuE3ELNS1_3repE0EEENS1_30default_config_static_selectorELNS0_4arch9wavefront6targetE0EEEvSY_, .Lfunc_end383-_ZN7rocprim17ROCPRIM_400000_NS6detail17trampoline_kernelINS0_13select_configILj256ELj13ELNS0_17block_load_methodE3ELS4_3ELS4_3ELNS0_20block_scan_algorithmE0ELj4294967295EEENS1_25partition_config_selectorILNS1_17partition_subalgoE3EjNS0_10empty_typeEbEEZZNS1_14partition_implILS8_3ELb0ES6_jNS0_17counting_iteratorIjlEEPS9_SE_NS0_5tupleIJPjSE_EEENSF_IJSE_SE_EEES9_SG_JZNS1_25segmented_radix_sort_implINS0_14default_configELb0EPKaPaPKlPlN2at6native12_GLOBAL__N_18offset_tEEE10hipError_tPvRmT1_PNSt15iterator_traitsISY_E10value_typeET2_T3_PNSZ_IS14_E10value_typeET4_jRbjT5_S1A_jjP12ihipStream_tbEUljE_EEESV_SW_SX_S14_S18_S1A_T6_T7_T9_mT8_S1C_bDpT10_ENKUlT_T0_E_clISt17integral_constantIbLb1EES1O_IbLb0EEEEDaS1K_S1L_EUlS1K_E_NS1_11comp_targetILNS1_3genE9ELNS1_11target_archE1100ELNS1_3gpuE3ELNS1_3repE0EEENS1_30default_config_static_selectorELNS0_4arch9wavefront6targetE0EEEvSY_
                                        ; -- End function
	.set _ZN7rocprim17ROCPRIM_400000_NS6detail17trampoline_kernelINS0_13select_configILj256ELj13ELNS0_17block_load_methodE3ELS4_3ELS4_3ELNS0_20block_scan_algorithmE0ELj4294967295EEENS1_25partition_config_selectorILNS1_17partition_subalgoE3EjNS0_10empty_typeEbEEZZNS1_14partition_implILS8_3ELb0ES6_jNS0_17counting_iteratorIjlEEPS9_SE_NS0_5tupleIJPjSE_EEENSF_IJSE_SE_EEES9_SG_JZNS1_25segmented_radix_sort_implINS0_14default_configELb0EPKaPaPKlPlN2at6native12_GLOBAL__N_18offset_tEEE10hipError_tPvRmT1_PNSt15iterator_traitsISY_E10value_typeET2_T3_PNSZ_IS14_E10value_typeET4_jRbjT5_S1A_jjP12ihipStream_tbEUljE_EEESV_SW_SX_S14_S18_S1A_T6_T7_T9_mT8_S1C_bDpT10_ENKUlT_T0_E_clISt17integral_constantIbLb1EES1O_IbLb0EEEEDaS1K_S1L_EUlS1K_E_NS1_11comp_targetILNS1_3genE9ELNS1_11target_archE1100ELNS1_3gpuE3ELNS1_3repE0EEENS1_30default_config_static_selectorELNS0_4arch9wavefront6targetE0EEEvSY_.num_vgpr, 0
	.set _ZN7rocprim17ROCPRIM_400000_NS6detail17trampoline_kernelINS0_13select_configILj256ELj13ELNS0_17block_load_methodE3ELS4_3ELS4_3ELNS0_20block_scan_algorithmE0ELj4294967295EEENS1_25partition_config_selectorILNS1_17partition_subalgoE3EjNS0_10empty_typeEbEEZZNS1_14partition_implILS8_3ELb0ES6_jNS0_17counting_iteratorIjlEEPS9_SE_NS0_5tupleIJPjSE_EEENSF_IJSE_SE_EEES9_SG_JZNS1_25segmented_radix_sort_implINS0_14default_configELb0EPKaPaPKlPlN2at6native12_GLOBAL__N_18offset_tEEE10hipError_tPvRmT1_PNSt15iterator_traitsISY_E10value_typeET2_T3_PNSZ_IS14_E10value_typeET4_jRbjT5_S1A_jjP12ihipStream_tbEUljE_EEESV_SW_SX_S14_S18_S1A_T6_T7_T9_mT8_S1C_bDpT10_ENKUlT_T0_E_clISt17integral_constantIbLb1EES1O_IbLb0EEEEDaS1K_S1L_EUlS1K_E_NS1_11comp_targetILNS1_3genE9ELNS1_11target_archE1100ELNS1_3gpuE3ELNS1_3repE0EEENS1_30default_config_static_selectorELNS0_4arch9wavefront6targetE0EEEvSY_.num_agpr, 0
	.set _ZN7rocprim17ROCPRIM_400000_NS6detail17trampoline_kernelINS0_13select_configILj256ELj13ELNS0_17block_load_methodE3ELS4_3ELS4_3ELNS0_20block_scan_algorithmE0ELj4294967295EEENS1_25partition_config_selectorILNS1_17partition_subalgoE3EjNS0_10empty_typeEbEEZZNS1_14partition_implILS8_3ELb0ES6_jNS0_17counting_iteratorIjlEEPS9_SE_NS0_5tupleIJPjSE_EEENSF_IJSE_SE_EEES9_SG_JZNS1_25segmented_radix_sort_implINS0_14default_configELb0EPKaPaPKlPlN2at6native12_GLOBAL__N_18offset_tEEE10hipError_tPvRmT1_PNSt15iterator_traitsISY_E10value_typeET2_T3_PNSZ_IS14_E10value_typeET4_jRbjT5_S1A_jjP12ihipStream_tbEUljE_EEESV_SW_SX_S14_S18_S1A_T6_T7_T9_mT8_S1C_bDpT10_ENKUlT_T0_E_clISt17integral_constantIbLb1EES1O_IbLb0EEEEDaS1K_S1L_EUlS1K_E_NS1_11comp_targetILNS1_3genE9ELNS1_11target_archE1100ELNS1_3gpuE3ELNS1_3repE0EEENS1_30default_config_static_selectorELNS0_4arch9wavefront6targetE0EEEvSY_.numbered_sgpr, 0
	.set _ZN7rocprim17ROCPRIM_400000_NS6detail17trampoline_kernelINS0_13select_configILj256ELj13ELNS0_17block_load_methodE3ELS4_3ELS4_3ELNS0_20block_scan_algorithmE0ELj4294967295EEENS1_25partition_config_selectorILNS1_17partition_subalgoE3EjNS0_10empty_typeEbEEZZNS1_14partition_implILS8_3ELb0ES6_jNS0_17counting_iteratorIjlEEPS9_SE_NS0_5tupleIJPjSE_EEENSF_IJSE_SE_EEES9_SG_JZNS1_25segmented_radix_sort_implINS0_14default_configELb0EPKaPaPKlPlN2at6native12_GLOBAL__N_18offset_tEEE10hipError_tPvRmT1_PNSt15iterator_traitsISY_E10value_typeET2_T3_PNSZ_IS14_E10value_typeET4_jRbjT5_S1A_jjP12ihipStream_tbEUljE_EEESV_SW_SX_S14_S18_S1A_T6_T7_T9_mT8_S1C_bDpT10_ENKUlT_T0_E_clISt17integral_constantIbLb1EES1O_IbLb0EEEEDaS1K_S1L_EUlS1K_E_NS1_11comp_targetILNS1_3genE9ELNS1_11target_archE1100ELNS1_3gpuE3ELNS1_3repE0EEENS1_30default_config_static_selectorELNS0_4arch9wavefront6targetE0EEEvSY_.num_named_barrier, 0
	.set _ZN7rocprim17ROCPRIM_400000_NS6detail17trampoline_kernelINS0_13select_configILj256ELj13ELNS0_17block_load_methodE3ELS4_3ELS4_3ELNS0_20block_scan_algorithmE0ELj4294967295EEENS1_25partition_config_selectorILNS1_17partition_subalgoE3EjNS0_10empty_typeEbEEZZNS1_14partition_implILS8_3ELb0ES6_jNS0_17counting_iteratorIjlEEPS9_SE_NS0_5tupleIJPjSE_EEENSF_IJSE_SE_EEES9_SG_JZNS1_25segmented_radix_sort_implINS0_14default_configELb0EPKaPaPKlPlN2at6native12_GLOBAL__N_18offset_tEEE10hipError_tPvRmT1_PNSt15iterator_traitsISY_E10value_typeET2_T3_PNSZ_IS14_E10value_typeET4_jRbjT5_S1A_jjP12ihipStream_tbEUljE_EEESV_SW_SX_S14_S18_S1A_T6_T7_T9_mT8_S1C_bDpT10_ENKUlT_T0_E_clISt17integral_constantIbLb1EES1O_IbLb0EEEEDaS1K_S1L_EUlS1K_E_NS1_11comp_targetILNS1_3genE9ELNS1_11target_archE1100ELNS1_3gpuE3ELNS1_3repE0EEENS1_30default_config_static_selectorELNS0_4arch9wavefront6targetE0EEEvSY_.private_seg_size, 0
	.set _ZN7rocprim17ROCPRIM_400000_NS6detail17trampoline_kernelINS0_13select_configILj256ELj13ELNS0_17block_load_methodE3ELS4_3ELS4_3ELNS0_20block_scan_algorithmE0ELj4294967295EEENS1_25partition_config_selectorILNS1_17partition_subalgoE3EjNS0_10empty_typeEbEEZZNS1_14partition_implILS8_3ELb0ES6_jNS0_17counting_iteratorIjlEEPS9_SE_NS0_5tupleIJPjSE_EEENSF_IJSE_SE_EEES9_SG_JZNS1_25segmented_radix_sort_implINS0_14default_configELb0EPKaPaPKlPlN2at6native12_GLOBAL__N_18offset_tEEE10hipError_tPvRmT1_PNSt15iterator_traitsISY_E10value_typeET2_T3_PNSZ_IS14_E10value_typeET4_jRbjT5_S1A_jjP12ihipStream_tbEUljE_EEESV_SW_SX_S14_S18_S1A_T6_T7_T9_mT8_S1C_bDpT10_ENKUlT_T0_E_clISt17integral_constantIbLb1EES1O_IbLb0EEEEDaS1K_S1L_EUlS1K_E_NS1_11comp_targetILNS1_3genE9ELNS1_11target_archE1100ELNS1_3gpuE3ELNS1_3repE0EEENS1_30default_config_static_selectorELNS0_4arch9wavefront6targetE0EEEvSY_.uses_vcc, 0
	.set _ZN7rocprim17ROCPRIM_400000_NS6detail17trampoline_kernelINS0_13select_configILj256ELj13ELNS0_17block_load_methodE3ELS4_3ELS4_3ELNS0_20block_scan_algorithmE0ELj4294967295EEENS1_25partition_config_selectorILNS1_17partition_subalgoE3EjNS0_10empty_typeEbEEZZNS1_14partition_implILS8_3ELb0ES6_jNS0_17counting_iteratorIjlEEPS9_SE_NS0_5tupleIJPjSE_EEENSF_IJSE_SE_EEES9_SG_JZNS1_25segmented_radix_sort_implINS0_14default_configELb0EPKaPaPKlPlN2at6native12_GLOBAL__N_18offset_tEEE10hipError_tPvRmT1_PNSt15iterator_traitsISY_E10value_typeET2_T3_PNSZ_IS14_E10value_typeET4_jRbjT5_S1A_jjP12ihipStream_tbEUljE_EEESV_SW_SX_S14_S18_S1A_T6_T7_T9_mT8_S1C_bDpT10_ENKUlT_T0_E_clISt17integral_constantIbLb1EES1O_IbLb0EEEEDaS1K_S1L_EUlS1K_E_NS1_11comp_targetILNS1_3genE9ELNS1_11target_archE1100ELNS1_3gpuE3ELNS1_3repE0EEENS1_30default_config_static_selectorELNS0_4arch9wavefront6targetE0EEEvSY_.uses_flat_scratch, 0
	.set _ZN7rocprim17ROCPRIM_400000_NS6detail17trampoline_kernelINS0_13select_configILj256ELj13ELNS0_17block_load_methodE3ELS4_3ELS4_3ELNS0_20block_scan_algorithmE0ELj4294967295EEENS1_25partition_config_selectorILNS1_17partition_subalgoE3EjNS0_10empty_typeEbEEZZNS1_14partition_implILS8_3ELb0ES6_jNS0_17counting_iteratorIjlEEPS9_SE_NS0_5tupleIJPjSE_EEENSF_IJSE_SE_EEES9_SG_JZNS1_25segmented_radix_sort_implINS0_14default_configELb0EPKaPaPKlPlN2at6native12_GLOBAL__N_18offset_tEEE10hipError_tPvRmT1_PNSt15iterator_traitsISY_E10value_typeET2_T3_PNSZ_IS14_E10value_typeET4_jRbjT5_S1A_jjP12ihipStream_tbEUljE_EEESV_SW_SX_S14_S18_S1A_T6_T7_T9_mT8_S1C_bDpT10_ENKUlT_T0_E_clISt17integral_constantIbLb1EES1O_IbLb0EEEEDaS1K_S1L_EUlS1K_E_NS1_11comp_targetILNS1_3genE9ELNS1_11target_archE1100ELNS1_3gpuE3ELNS1_3repE0EEENS1_30default_config_static_selectorELNS0_4arch9wavefront6targetE0EEEvSY_.has_dyn_sized_stack, 0
	.set _ZN7rocprim17ROCPRIM_400000_NS6detail17trampoline_kernelINS0_13select_configILj256ELj13ELNS0_17block_load_methodE3ELS4_3ELS4_3ELNS0_20block_scan_algorithmE0ELj4294967295EEENS1_25partition_config_selectorILNS1_17partition_subalgoE3EjNS0_10empty_typeEbEEZZNS1_14partition_implILS8_3ELb0ES6_jNS0_17counting_iteratorIjlEEPS9_SE_NS0_5tupleIJPjSE_EEENSF_IJSE_SE_EEES9_SG_JZNS1_25segmented_radix_sort_implINS0_14default_configELb0EPKaPaPKlPlN2at6native12_GLOBAL__N_18offset_tEEE10hipError_tPvRmT1_PNSt15iterator_traitsISY_E10value_typeET2_T3_PNSZ_IS14_E10value_typeET4_jRbjT5_S1A_jjP12ihipStream_tbEUljE_EEESV_SW_SX_S14_S18_S1A_T6_T7_T9_mT8_S1C_bDpT10_ENKUlT_T0_E_clISt17integral_constantIbLb1EES1O_IbLb0EEEEDaS1K_S1L_EUlS1K_E_NS1_11comp_targetILNS1_3genE9ELNS1_11target_archE1100ELNS1_3gpuE3ELNS1_3repE0EEENS1_30default_config_static_selectorELNS0_4arch9wavefront6targetE0EEEvSY_.has_recursion, 0
	.set _ZN7rocprim17ROCPRIM_400000_NS6detail17trampoline_kernelINS0_13select_configILj256ELj13ELNS0_17block_load_methodE3ELS4_3ELS4_3ELNS0_20block_scan_algorithmE0ELj4294967295EEENS1_25partition_config_selectorILNS1_17partition_subalgoE3EjNS0_10empty_typeEbEEZZNS1_14partition_implILS8_3ELb0ES6_jNS0_17counting_iteratorIjlEEPS9_SE_NS0_5tupleIJPjSE_EEENSF_IJSE_SE_EEES9_SG_JZNS1_25segmented_radix_sort_implINS0_14default_configELb0EPKaPaPKlPlN2at6native12_GLOBAL__N_18offset_tEEE10hipError_tPvRmT1_PNSt15iterator_traitsISY_E10value_typeET2_T3_PNSZ_IS14_E10value_typeET4_jRbjT5_S1A_jjP12ihipStream_tbEUljE_EEESV_SW_SX_S14_S18_S1A_T6_T7_T9_mT8_S1C_bDpT10_ENKUlT_T0_E_clISt17integral_constantIbLb1EES1O_IbLb0EEEEDaS1K_S1L_EUlS1K_E_NS1_11comp_targetILNS1_3genE9ELNS1_11target_archE1100ELNS1_3gpuE3ELNS1_3repE0EEENS1_30default_config_static_selectorELNS0_4arch9wavefront6targetE0EEEvSY_.has_indirect_call, 0
	.section	.AMDGPU.csdata,"",@progbits
; Kernel info:
; codeLenInByte = 0
; TotalNumSgprs: 0
; NumVgprs: 0
; ScratchSize: 0
; MemoryBound: 0
; FloatMode: 240
; IeeeMode: 1
; LDSByteSize: 0 bytes/workgroup (compile time only)
; SGPRBlocks: 0
; VGPRBlocks: 0
; NumSGPRsForWavesPerEU: 1
; NumVGPRsForWavesPerEU: 1
; Occupancy: 16
; WaveLimiterHint : 0
; COMPUTE_PGM_RSRC2:SCRATCH_EN: 0
; COMPUTE_PGM_RSRC2:USER_SGPR: 2
; COMPUTE_PGM_RSRC2:TRAP_HANDLER: 0
; COMPUTE_PGM_RSRC2:TGID_X_EN: 1
; COMPUTE_PGM_RSRC2:TGID_Y_EN: 0
; COMPUTE_PGM_RSRC2:TGID_Z_EN: 0
; COMPUTE_PGM_RSRC2:TIDIG_COMP_CNT: 0
	.section	.text._ZN7rocprim17ROCPRIM_400000_NS6detail17trampoline_kernelINS0_13select_configILj256ELj13ELNS0_17block_load_methodE3ELS4_3ELS4_3ELNS0_20block_scan_algorithmE0ELj4294967295EEENS1_25partition_config_selectorILNS1_17partition_subalgoE3EjNS0_10empty_typeEbEEZZNS1_14partition_implILS8_3ELb0ES6_jNS0_17counting_iteratorIjlEEPS9_SE_NS0_5tupleIJPjSE_EEENSF_IJSE_SE_EEES9_SG_JZNS1_25segmented_radix_sort_implINS0_14default_configELb0EPKaPaPKlPlN2at6native12_GLOBAL__N_18offset_tEEE10hipError_tPvRmT1_PNSt15iterator_traitsISY_E10value_typeET2_T3_PNSZ_IS14_E10value_typeET4_jRbjT5_S1A_jjP12ihipStream_tbEUljE_EEESV_SW_SX_S14_S18_S1A_T6_T7_T9_mT8_S1C_bDpT10_ENKUlT_T0_E_clISt17integral_constantIbLb1EES1O_IbLb0EEEEDaS1K_S1L_EUlS1K_E_NS1_11comp_targetILNS1_3genE8ELNS1_11target_archE1030ELNS1_3gpuE2ELNS1_3repE0EEENS1_30default_config_static_selectorELNS0_4arch9wavefront6targetE0EEEvSY_,"axG",@progbits,_ZN7rocprim17ROCPRIM_400000_NS6detail17trampoline_kernelINS0_13select_configILj256ELj13ELNS0_17block_load_methodE3ELS4_3ELS4_3ELNS0_20block_scan_algorithmE0ELj4294967295EEENS1_25partition_config_selectorILNS1_17partition_subalgoE3EjNS0_10empty_typeEbEEZZNS1_14partition_implILS8_3ELb0ES6_jNS0_17counting_iteratorIjlEEPS9_SE_NS0_5tupleIJPjSE_EEENSF_IJSE_SE_EEES9_SG_JZNS1_25segmented_radix_sort_implINS0_14default_configELb0EPKaPaPKlPlN2at6native12_GLOBAL__N_18offset_tEEE10hipError_tPvRmT1_PNSt15iterator_traitsISY_E10value_typeET2_T3_PNSZ_IS14_E10value_typeET4_jRbjT5_S1A_jjP12ihipStream_tbEUljE_EEESV_SW_SX_S14_S18_S1A_T6_T7_T9_mT8_S1C_bDpT10_ENKUlT_T0_E_clISt17integral_constantIbLb1EES1O_IbLb0EEEEDaS1K_S1L_EUlS1K_E_NS1_11comp_targetILNS1_3genE8ELNS1_11target_archE1030ELNS1_3gpuE2ELNS1_3repE0EEENS1_30default_config_static_selectorELNS0_4arch9wavefront6targetE0EEEvSY_,comdat
	.globl	_ZN7rocprim17ROCPRIM_400000_NS6detail17trampoline_kernelINS0_13select_configILj256ELj13ELNS0_17block_load_methodE3ELS4_3ELS4_3ELNS0_20block_scan_algorithmE0ELj4294967295EEENS1_25partition_config_selectorILNS1_17partition_subalgoE3EjNS0_10empty_typeEbEEZZNS1_14partition_implILS8_3ELb0ES6_jNS0_17counting_iteratorIjlEEPS9_SE_NS0_5tupleIJPjSE_EEENSF_IJSE_SE_EEES9_SG_JZNS1_25segmented_radix_sort_implINS0_14default_configELb0EPKaPaPKlPlN2at6native12_GLOBAL__N_18offset_tEEE10hipError_tPvRmT1_PNSt15iterator_traitsISY_E10value_typeET2_T3_PNSZ_IS14_E10value_typeET4_jRbjT5_S1A_jjP12ihipStream_tbEUljE_EEESV_SW_SX_S14_S18_S1A_T6_T7_T9_mT8_S1C_bDpT10_ENKUlT_T0_E_clISt17integral_constantIbLb1EES1O_IbLb0EEEEDaS1K_S1L_EUlS1K_E_NS1_11comp_targetILNS1_3genE8ELNS1_11target_archE1030ELNS1_3gpuE2ELNS1_3repE0EEENS1_30default_config_static_selectorELNS0_4arch9wavefront6targetE0EEEvSY_ ; -- Begin function _ZN7rocprim17ROCPRIM_400000_NS6detail17trampoline_kernelINS0_13select_configILj256ELj13ELNS0_17block_load_methodE3ELS4_3ELS4_3ELNS0_20block_scan_algorithmE0ELj4294967295EEENS1_25partition_config_selectorILNS1_17partition_subalgoE3EjNS0_10empty_typeEbEEZZNS1_14partition_implILS8_3ELb0ES6_jNS0_17counting_iteratorIjlEEPS9_SE_NS0_5tupleIJPjSE_EEENSF_IJSE_SE_EEES9_SG_JZNS1_25segmented_radix_sort_implINS0_14default_configELb0EPKaPaPKlPlN2at6native12_GLOBAL__N_18offset_tEEE10hipError_tPvRmT1_PNSt15iterator_traitsISY_E10value_typeET2_T3_PNSZ_IS14_E10value_typeET4_jRbjT5_S1A_jjP12ihipStream_tbEUljE_EEESV_SW_SX_S14_S18_S1A_T6_T7_T9_mT8_S1C_bDpT10_ENKUlT_T0_E_clISt17integral_constantIbLb1EES1O_IbLb0EEEEDaS1K_S1L_EUlS1K_E_NS1_11comp_targetILNS1_3genE8ELNS1_11target_archE1030ELNS1_3gpuE2ELNS1_3repE0EEENS1_30default_config_static_selectorELNS0_4arch9wavefront6targetE0EEEvSY_
	.p2align	8
	.type	_ZN7rocprim17ROCPRIM_400000_NS6detail17trampoline_kernelINS0_13select_configILj256ELj13ELNS0_17block_load_methodE3ELS4_3ELS4_3ELNS0_20block_scan_algorithmE0ELj4294967295EEENS1_25partition_config_selectorILNS1_17partition_subalgoE3EjNS0_10empty_typeEbEEZZNS1_14partition_implILS8_3ELb0ES6_jNS0_17counting_iteratorIjlEEPS9_SE_NS0_5tupleIJPjSE_EEENSF_IJSE_SE_EEES9_SG_JZNS1_25segmented_radix_sort_implINS0_14default_configELb0EPKaPaPKlPlN2at6native12_GLOBAL__N_18offset_tEEE10hipError_tPvRmT1_PNSt15iterator_traitsISY_E10value_typeET2_T3_PNSZ_IS14_E10value_typeET4_jRbjT5_S1A_jjP12ihipStream_tbEUljE_EEESV_SW_SX_S14_S18_S1A_T6_T7_T9_mT8_S1C_bDpT10_ENKUlT_T0_E_clISt17integral_constantIbLb1EES1O_IbLb0EEEEDaS1K_S1L_EUlS1K_E_NS1_11comp_targetILNS1_3genE8ELNS1_11target_archE1030ELNS1_3gpuE2ELNS1_3repE0EEENS1_30default_config_static_selectorELNS0_4arch9wavefront6targetE0EEEvSY_,@function
_ZN7rocprim17ROCPRIM_400000_NS6detail17trampoline_kernelINS0_13select_configILj256ELj13ELNS0_17block_load_methodE3ELS4_3ELS4_3ELNS0_20block_scan_algorithmE0ELj4294967295EEENS1_25partition_config_selectorILNS1_17partition_subalgoE3EjNS0_10empty_typeEbEEZZNS1_14partition_implILS8_3ELb0ES6_jNS0_17counting_iteratorIjlEEPS9_SE_NS0_5tupleIJPjSE_EEENSF_IJSE_SE_EEES9_SG_JZNS1_25segmented_radix_sort_implINS0_14default_configELb0EPKaPaPKlPlN2at6native12_GLOBAL__N_18offset_tEEE10hipError_tPvRmT1_PNSt15iterator_traitsISY_E10value_typeET2_T3_PNSZ_IS14_E10value_typeET4_jRbjT5_S1A_jjP12ihipStream_tbEUljE_EEESV_SW_SX_S14_S18_S1A_T6_T7_T9_mT8_S1C_bDpT10_ENKUlT_T0_E_clISt17integral_constantIbLb1EES1O_IbLb0EEEEDaS1K_S1L_EUlS1K_E_NS1_11comp_targetILNS1_3genE8ELNS1_11target_archE1030ELNS1_3gpuE2ELNS1_3repE0EEENS1_30default_config_static_selectorELNS0_4arch9wavefront6targetE0EEEvSY_: ; @_ZN7rocprim17ROCPRIM_400000_NS6detail17trampoline_kernelINS0_13select_configILj256ELj13ELNS0_17block_load_methodE3ELS4_3ELS4_3ELNS0_20block_scan_algorithmE0ELj4294967295EEENS1_25partition_config_selectorILNS1_17partition_subalgoE3EjNS0_10empty_typeEbEEZZNS1_14partition_implILS8_3ELb0ES6_jNS0_17counting_iteratorIjlEEPS9_SE_NS0_5tupleIJPjSE_EEENSF_IJSE_SE_EEES9_SG_JZNS1_25segmented_radix_sort_implINS0_14default_configELb0EPKaPaPKlPlN2at6native12_GLOBAL__N_18offset_tEEE10hipError_tPvRmT1_PNSt15iterator_traitsISY_E10value_typeET2_T3_PNSZ_IS14_E10value_typeET4_jRbjT5_S1A_jjP12ihipStream_tbEUljE_EEESV_SW_SX_S14_S18_S1A_T6_T7_T9_mT8_S1C_bDpT10_ENKUlT_T0_E_clISt17integral_constantIbLb1EES1O_IbLb0EEEEDaS1K_S1L_EUlS1K_E_NS1_11comp_targetILNS1_3genE8ELNS1_11target_archE1030ELNS1_3gpuE2ELNS1_3repE0EEENS1_30default_config_static_selectorELNS0_4arch9wavefront6targetE0EEEvSY_
; %bb.0:
	.section	.rodata,"a",@progbits
	.p2align	6, 0x0
	.amdhsa_kernel _ZN7rocprim17ROCPRIM_400000_NS6detail17trampoline_kernelINS0_13select_configILj256ELj13ELNS0_17block_load_methodE3ELS4_3ELS4_3ELNS0_20block_scan_algorithmE0ELj4294967295EEENS1_25partition_config_selectorILNS1_17partition_subalgoE3EjNS0_10empty_typeEbEEZZNS1_14partition_implILS8_3ELb0ES6_jNS0_17counting_iteratorIjlEEPS9_SE_NS0_5tupleIJPjSE_EEENSF_IJSE_SE_EEES9_SG_JZNS1_25segmented_radix_sort_implINS0_14default_configELb0EPKaPaPKlPlN2at6native12_GLOBAL__N_18offset_tEEE10hipError_tPvRmT1_PNSt15iterator_traitsISY_E10value_typeET2_T3_PNSZ_IS14_E10value_typeET4_jRbjT5_S1A_jjP12ihipStream_tbEUljE_EEESV_SW_SX_S14_S18_S1A_T6_T7_T9_mT8_S1C_bDpT10_ENKUlT_T0_E_clISt17integral_constantIbLb1EES1O_IbLb0EEEEDaS1K_S1L_EUlS1K_E_NS1_11comp_targetILNS1_3genE8ELNS1_11target_archE1030ELNS1_3gpuE2ELNS1_3repE0EEENS1_30default_config_static_selectorELNS0_4arch9wavefront6targetE0EEEvSY_
		.amdhsa_group_segment_fixed_size 0
		.amdhsa_private_segment_fixed_size 0
		.amdhsa_kernarg_size 144
		.amdhsa_user_sgpr_count 2
		.amdhsa_user_sgpr_dispatch_ptr 0
		.amdhsa_user_sgpr_queue_ptr 0
		.amdhsa_user_sgpr_kernarg_segment_ptr 1
		.amdhsa_user_sgpr_dispatch_id 0
		.amdhsa_user_sgpr_private_segment_size 0
		.amdhsa_wavefront_size32 1
		.amdhsa_uses_dynamic_stack 0
		.amdhsa_enable_private_segment 0
		.amdhsa_system_sgpr_workgroup_id_x 1
		.amdhsa_system_sgpr_workgroup_id_y 0
		.amdhsa_system_sgpr_workgroup_id_z 0
		.amdhsa_system_sgpr_workgroup_info 0
		.amdhsa_system_vgpr_workitem_id 0
		.amdhsa_next_free_vgpr 1
		.amdhsa_next_free_sgpr 1
		.amdhsa_reserve_vcc 0
		.amdhsa_float_round_mode_32 0
		.amdhsa_float_round_mode_16_64 0
		.amdhsa_float_denorm_mode_32 3
		.amdhsa_float_denorm_mode_16_64 3
		.amdhsa_fp16_overflow 0
		.amdhsa_workgroup_processor_mode 1
		.amdhsa_memory_ordered 1
		.amdhsa_forward_progress 1
		.amdhsa_inst_pref_size 0
		.amdhsa_round_robin_scheduling 0
		.amdhsa_exception_fp_ieee_invalid_op 0
		.amdhsa_exception_fp_denorm_src 0
		.amdhsa_exception_fp_ieee_div_zero 0
		.amdhsa_exception_fp_ieee_overflow 0
		.amdhsa_exception_fp_ieee_underflow 0
		.amdhsa_exception_fp_ieee_inexact 0
		.amdhsa_exception_int_div_zero 0
	.end_amdhsa_kernel
	.section	.text._ZN7rocprim17ROCPRIM_400000_NS6detail17trampoline_kernelINS0_13select_configILj256ELj13ELNS0_17block_load_methodE3ELS4_3ELS4_3ELNS0_20block_scan_algorithmE0ELj4294967295EEENS1_25partition_config_selectorILNS1_17partition_subalgoE3EjNS0_10empty_typeEbEEZZNS1_14partition_implILS8_3ELb0ES6_jNS0_17counting_iteratorIjlEEPS9_SE_NS0_5tupleIJPjSE_EEENSF_IJSE_SE_EEES9_SG_JZNS1_25segmented_radix_sort_implINS0_14default_configELb0EPKaPaPKlPlN2at6native12_GLOBAL__N_18offset_tEEE10hipError_tPvRmT1_PNSt15iterator_traitsISY_E10value_typeET2_T3_PNSZ_IS14_E10value_typeET4_jRbjT5_S1A_jjP12ihipStream_tbEUljE_EEESV_SW_SX_S14_S18_S1A_T6_T7_T9_mT8_S1C_bDpT10_ENKUlT_T0_E_clISt17integral_constantIbLb1EES1O_IbLb0EEEEDaS1K_S1L_EUlS1K_E_NS1_11comp_targetILNS1_3genE8ELNS1_11target_archE1030ELNS1_3gpuE2ELNS1_3repE0EEENS1_30default_config_static_selectorELNS0_4arch9wavefront6targetE0EEEvSY_,"axG",@progbits,_ZN7rocprim17ROCPRIM_400000_NS6detail17trampoline_kernelINS0_13select_configILj256ELj13ELNS0_17block_load_methodE3ELS4_3ELS4_3ELNS0_20block_scan_algorithmE0ELj4294967295EEENS1_25partition_config_selectorILNS1_17partition_subalgoE3EjNS0_10empty_typeEbEEZZNS1_14partition_implILS8_3ELb0ES6_jNS0_17counting_iteratorIjlEEPS9_SE_NS0_5tupleIJPjSE_EEENSF_IJSE_SE_EEES9_SG_JZNS1_25segmented_radix_sort_implINS0_14default_configELb0EPKaPaPKlPlN2at6native12_GLOBAL__N_18offset_tEEE10hipError_tPvRmT1_PNSt15iterator_traitsISY_E10value_typeET2_T3_PNSZ_IS14_E10value_typeET4_jRbjT5_S1A_jjP12ihipStream_tbEUljE_EEESV_SW_SX_S14_S18_S1A_T6_T7_T9_mT8_S1C_bDpT10_ENKUlT_T0_E_clISt17integral_constantIbLb1EES1O_IbLb0EEEEDaS1K_S1L_EUlS1K_E_NS1_11comp_targetILNS1_3genE8ELNS1_11target_archE1030ELNS1_3gpuE2ELNS1_3repE0EEENS1_30default_config_static_selectorELNS0_4arch9wavefront6targetE0EEEvSY_,comdat
.Lfunc_end384:
	.size	_ZN7rocprim17ROCPRIM_400000_NS6detail17trampoline_kernelINS0_13select_configILj256ELj13ELNS0_17block_load_methodE3ELS4_3ELS4_3ELNS0_20block_scan_algorithmE0ELj4294967295EEENS1_25partition_config_selectorILNS1_17partition_subalgoE3EjNS0_10empty_typeEbEEZZNS1_14partition_implILS8_3ELb0ES6_jNS0_17counting_iteratorIjlEEPS9_SE_NS0_5tupleIJPjSE_EEENSF_IJSE_SE_EEES9_SG_JZNS1_25segmented_radix_sort_implINS0_14default_configELb0EPKaPaPKlPlN2at6native12_GLOBAL__N_18offset_tEEE10hipError_tPvRmT1_PNSt15iterator_traitsISY_E10value_typeET2_T3_PNSZ_IS14_E10value_typeET4_jRbjT5_S1A_jjP12ihipStream_tbEUljE_EEESV_SW_SX_S14_S18_S1A_T6_T7_T9_mT8_S1C_bDpT10_ENKUlT_T0_E_clISt17integral_constantIbLb1EES1O_IbLb0EEEEDaS1K_S1L_EUlS1K_E_NS1_11comp_targetILNS1_3genE8ELNS1_11target_archE1030ELNS1_3gpuE2ELNS1_3repE0EEENS1_30default_config_static_selectorELNS0_4arch9wavefront6targetE0EEEvSY_, .Lfunc_end384-_ZN7rocprim17ROCPRIM_400000_NS6detail17trampoline_kernelINS0_13select_configILj256ELj13ELNS0_17block_load_methodE3ELS4_3ELS4_3ELNS0_20block_scan_algorithmE0ELj4294967295EEENS1_25partition_config_selectorILNS1_17partition_subalgoE3EjNS0_10empty_typeEbEEZZNS1_14partition_implILS8_3ELb0ES6_jNS0_17counting_iteratorIjlEEPS9_SE_NS0_5tupleIJPjSE_EEENSF_IJSE_SE_EEES9_SG_JZNS1_25segmented_radix_sort_implINS0_14default_configELb0EPKaPaPKlPlN2at6native12_GLOBAL__N_18offset_tEEE10hipError_tPvRmT1_PNSt15iterator_traitsISY_E10value_typeET2_T3_PNSZ_IS14_E10value_typeET4_jRbjT5_S1A_jjP12ihipStream_tbEUljE_EEESV_SW_SX_S14_S18_S1A_T6_T7_T9_mT8_S1C_bDpT10_ENKUlT_T0_E_clISt17integral_constantIbLb1EES1O_IbLb0EEEEDaS1K_S1L_EUlS1K_E_NS1_11comp_targetILNS1_3genE8ELNS1_11target_archE1030ELNS1_3gpuE2ELNS1_3repE0EEENS1_30default_config_static_selectorELNS0_4arch9wavefront6targetE0EEEvSY_
                                        ; -- End function
	.set _ZN7rocprim17ROCPRIM_400000_NS6detail17trampoline_kernelINS0_13select_configILj256ELj13ELNS0_17block_load_methodE3ELS4_3ELS4_3ELNS0_20block_scan_algorithmE0ELj4294967295EEENS1_25partition_config_selectorILNS1_17partition_subalgoE3EjNS0_10empty_typeEbEEZZNS1_14partition_implILS8_3ELb0ES6_jNS0_17counting_iteratorIjlEEPS9_SE_NS0_5tupleIJPjSE_EEENSF_IJSE_SE_EEES9_SG_JZNS1_25segmented_radix_sort_implINS0_14default_configELb0EPKaPaPKlPlN2at6native12_GLOBAL__N_18offset_tEEE10hipError_tPvRmT1_PNSt15iterator_traitsISY_E10value_typeET2_T3_PNSZ_IS14_E10value_typeET4_jRbjT5_S1A_jjP12ihipStream_tbEUljE_EEESV_SW_SX_S14_S18_S1A_T6_T7_T9_mT8_S1C_bDpT10_ENKUlT_T0_E_clISt17integral_constantIbLb1EES1O_IbLb0EEEEDaS1K_S1L_EUlS1K_E_NS1_11comp_targetILNS1_3genE8ELNS1_11target_archE1030ELNS1_3gpuE2ELNS1_3repE0EEENS1_30default_config_static_selectorELNS0_4arch9wavefront6targetE0EEEvSY_.num_vgpr, 0
	.set _ZN7rocprim17ROCPRIM_400000_NS6detail17trampoline_kernelINS0_13select_configILj256ELj13ELNS0_17block_load_methodE3ELS4_3ELS4_3ELNS0_20block_scan_algorithmE0ELj4294967295EEENS1_25partition_config_selectorILNS1_17partition_subalgoE3EjNS0_10empty_typeEbEEZZNS1_14partition_implILS8_3ELb0ES6_jNS0_17counting_iteratorIjlEEPS9_SE_NS0_5tupleIJPjSE_EEENSF_IJSE_SE_EEES9_SG_JZNS1_25segmented_radix_sort_implINS0_14default_configELb0EPKaPaPKlPlN2at6native12_GLOBAL__N_18offset_tEEE10hipError_tPvRmT1_PNSt15iterator_traitsISY_E10value_typeET2_T3_PNSZ_IS14_E10value_typeET4_jRbjT5_S1A_jjP12ihipStream_tbEUljE_EEESV_SW_SX_S14_S18_S1A_T6_T7_T9_mT8_S1C_bDpT10_ENKUlT_T0_E_clISt17integral_constantIbLb1EES1O_IbLb0EEEEDaS1K_S1L_EUlS1K_E_NS1_11comp_targetILNS1_3genE8ELNS1_11target_archE1030ELNS1_3gpuE2ELNS1_3repE0EEENS1_30default_config_static_selectorELNS0_4arch9wavefront6targetE0EEEvSY_.num_agpr, 0
	.set _ZN7rocprim17ROCPRIM_400000_NS6detail17trampoline_kernelINS0_13select_configILj256ELj13ELNS0_17block_load_methodE3ELS4_3ELS4_3ELNS0_20block_scan_algorithmE0ELj4294967295EEENS1_25partition_config_selectorILNS1_17partition_subalgoE3EjNS0_10empty_typeEbEEZZNS1_14partition_implILS8_3ELb0ES6_jNS0_17counting_iteratorIjlEEPS9_SE_NS0_5tupleIJPjSE_EEENSF_IJSE_SE_EEES9_SG_JZNS1_25segmented_radix_sort_implINS0_14default_configELb0EPKaPaPKlPlN2at6native12_GLOBAL__N_18offset_tEEE10hipError_tPvRmT1_PNSt15iterator_traitsISY_E10value_typeET2_T3_PNSZ_IS14_E10value_typeET4_jRbjT5_S1A_jjP12ihipStream_tbEUljE_EEESV_SW_SX_S14_S18_S1A_T6_T7_T9_mT8_S1C_bDpT10_ENKUlT_T0_E_clISt17integral_constantIbLb1EES1O_IbLb0EEEEDaS1K_S1L_EUlS1K_E_NS1_11comp_targetILNS1_3genE8ELNS1_11target_archE1030ELNS1_3gpuE2ELNS1_3repE0EEENS1_30default_config_static_selectorELNS0_4arch9wavefront6targetE0EEEvSY_.numbered_sgpr, 0
	.set _ZN7rocprim17ROCPRIM_400000_NS6detail17trampoline_kernelINS0_13select_configILj256ELj13ELNS0_17block_load_methodE3ELS4_3ELS4_3ELNS0_20block_scan_algorithmE0ELj4294967295EEENS1_25partition_config_selectorILNS1_17partition_subalgoE3EjNS0_10empty_typeEbEEZZNS1_14partition_implILS8_3ELb0ES6_jNS0_17counting_iteratorIjlEEPS9_SE_NS0_5tupleIJPjSE_EEENSF_IJSE_SE_EEES9_SG_JZNS1_25segmented_radix_sort_implINS0_14default_configELb0EPKaPaPKlPlN2at6native12_GLOBAL__N_18offset_tEEE10hipError_tPvRmT1_PNSt15iterator_traitsISY_E10value_typeET2_T3_PNSZ_IS14_E10value_typeET4_jRbjT5_S1A_jjP12ihipStream_tbEUljE_EEESV_SW_SX_S14_S18_S1A_T6_T7_T9_mT8_S1C_bDpT10_ENKUlT_T0_E_clISt17integral_constantIbLb1EES1O_IbLb0EEEEDaS1K_S1L_EUlS1K_E_NS1_11comp_targetILNS1_3genE8ELNS1_11target_archE1030ELNS1_3gpuE2ELNS1_3repE0EEENS1_30default_config_static_selectorELNS0_4arch9wavefront6targetE0EEEvSY_.num_named_barrier, 0
	.set _ZN7rocprim17ROCPRIM_400000_NS6detail17trampoline_kernelINS0_13select_configILj256ELj13ELNS0_17block_load_methodE3ELS4_3ELS4_3ELNS0_20block_scan_algorithmE0ELj4294967295EEENS1_25partition_config_selectorILNS1_17partition_subalgoE3EjNS0_10empty_typeEbEEZZNS1_14partition_implILS8_3ELb0ES6_jNS0_17counting_iteratorIjlEEPS9_SE_NS0_5tupleIJPjSE_EEENSF_IJSE_SE_EEES9_SG_JZNS1_25segmented_radix_sort_implINS0_14default_configELb0EPKaPaPKlPlN2at6native12_GLOBAL__N_18offset_tEEE10hipError_tPvRmT1_PNSt15iterator_traitsISY_E10value_typeET2_T3_PNSZ_IS14_E10value_typeET4_jRbjT5_S1A_jjP12ihipStream_tbEUljE_EEESV_SW_SX_S14_S18_S1A_T6_T7_T9_mT8_S1C_bDpT10_ENKUlT_T0_E_clISt17integral_constantIbLb1EES1O_IbLb0EEEEDaS1K_S1L_EUlS1K_E_NS1_11comp_targetILNS1_3genE8ELNS1_11target_archE1030ELNS1_3gpuE2ELNS1_3repE0EEENS1_30default_config_static_selectorELNS0_4arch9wavefront6targetE0EEEvSY_.private_seg_size, 0
	.set _ZN7rocprim17ROCPRIM_400000_NS6detail17trampoline_kernelINS0_13select_configILj256ELj13ELNS0_17block_load_methodE3ELS4_3ELS4_3ELNS0_20block_scan_algorithmE0ELj4294967295EEENS1_25partition_config_selectorILNS1_17partition_subalgoE3EjNS0_10empty_typeEbEEZZNS1_14partition_implILS8_3ELb0ES6_jNS0_17counting_iteratorIjlEEPS9_SE_NS0_5tupleIJPjSE_EEENSF_IJSE_SE_EEES9_SG_JZNS1_25segmented_radix_sort_implINS0_14default_configELb0EPKaPaPKlPlN2at6native12_GLOBAL__N_18offset_tEEE10hipError_tPvRmT1_PNSt15iterator_traitsISY_E10value_typeET2_T3_PNSZ_IS14_E10value_typeET4_jRbjT5_S1A_jjP12ihipStream_tbEUljE_EEESV_SW_SX_S14_S18_S1A_T6_T7_T9_mT8_S1C_bDpT10_ENKUlT_T0_E_clISt17integral_constantIbLb1EES1O_IbLb0EEEEDaS1K_S1L_EUlS1K_E_NS1_11comp_targetILNS1_3genE8ELNS1_11target_archE1030ELNS1_3gpuE2ELNS1_3repE0EEENS1_30default_config_static_selectorELNS0_4arch9wavefront6targetE0EEEvSY_.uses_vcc, 0
	.set _ZN7rocprim17ROCPRIM_400000_NS6detail17trampoline_kernelINS0_13select_configILj256ELj13ELNS0_17block_load_methodE3ELS4_3ELS4_3ELNS0_20block_scan_algorithmE0ELj4294967295EEENS1_25partition_config_selectorILNS1_17partition_subalgoE3EjNS0_10empty_typeEbEEZZNS1_14partition_implILS8_3ELb0ES6_jNS0_17counting_iteratorIjlEEPS9_SE_NS0_5tupleIJPjSE_EEENSF_IJSE_SE_EEES9_SG_JZNS1_25segmented_radix_sort_implINS0_14default_configELb0EPKaPaPKlPlN2at6native12_GLOBAL__N_18offset_tEEE10hipError_tPvRmT1_PNSt15iterator_traitsISY_E10value_typeET2_T3_PNSZ_IS14_E10value_typeET4_jRbjT5_S1A_jjP12ihipStream_tbEUljE_EEESV_SW_SX_S14_S18_S1A_T6_T7_T9_mT8_S1C_bDpT10_ENKUlT_T0_E_clISt17integral_constantIbLb1EES1O_IbLb0EEEEDaS1K_S1L_EUlS1K_E_NS1_11comp_targetILNS1_3genE8ELNS1_11target_archE1030ELNS1_3gpuE2ELNS1_3repE0EEENS1_30default_config_static_selectorELNS0_4arch9wavefront6targetE0EEEvSY_.uses_flat_scratch, 0
	.set _ZN7rocprim17ROCPRIM_400000_NS6detail17trampoline_kernelINS0_13select_configILj256ELj13ELNS0_17block_load_methodE3ELS4_3ELS4_3ELNS0_20block_scan_algorithmE0ELj4294967295EEENS1_25partition_config_selectorILNS1_17partition_subalgoE3EjNS0_10empty_typeEbEEZZNS1_14partition_implILS8_3ELb0ES6_jNS0_17counting_iteratorIjlEEPS9_SE_NS0_5tupleIJPjSE_EEENSF_IJSE_SE_EEES9_SG_JZNS1_25segmented_radix_sort_implINS0_14default_configELb0EPKaPaPKlPlN2at6native12_GLOBAL__N_18offset_tEEE10hipError_tPvRmT1_PNSt15iterator_traitsISY_E10value_typeET2_T3_PNSZ_IS14_E10value_typeET4_jRbjT5_S1A_jjP12ihipStream_tbEUljE_EEESV_SW_SX_S14_S18_S1A_T6_T7_T9_mT8_S1C_bDpT10_ENKUlT_T0_E_clISt17integral_constantIbLb1EES1O_IbLb0EEEEDaS1K_S1L_EUlS1K_E_NS1_11comp_targetILNS1_3genE8ELNS1_11target_archE1030ELNS1_3gpuE2ELNS1_3repE0EEENS1_30default_config_static_selectorELNS0_4arch9wavefront6targetE0EEEvSY_.has_dyn_sized_stack, 0
	.set _ZN7rocprim17ROCPRIM_400000_NS6detail17trampoline_kernelINS0_13select_configILj256ELj13ELNS0_17block_load_methodE3ELS4_3ELS4_3ELNS0_20block_scan_algorithmE0ELj4294967295EEENS1_25partition_config_selectorILNS1_17partition_subalgoE3EjNS0_10empty_typeEbEEZZNS1_14partition_implILS8_3ELb0ES6_jNS0_17counting_iteratorIjlEEPS9_SE_NS0_5tupleIJPjSE_EEENSF_IJSE_SE_EEES9_SG_JZNS1_25segmented_radix_sort_implINS0_14default_configELb0EPKaPaPKlPlN2at6native12_GLOBAL__N_18offset_tEEE10hipError_tPvRmT1_PNSt15iterator_traitsISY_E10value_typeET2_T3_PNSZ_IS14_E10value_typeET4_jRbjT5_S1A_jjP12ihipStream_tbEUljE_EEESV_SW_SX_S14_S18_S1A_T6_T7_T9_mT8_S1C_bDpT10_ENKUlT_T0_E_clISt17integral_constantIbLb1EES1O_IbLb0EEEEDaS1K_S1L_EUlS1K_E_NS1_11comp_targetILNS1_3genE8ELNS1_11target_archE1030ELNS1_3gpuE2ELNS1_3repE0EEENS1_30default_config_static_selectorELNS0_4arch9wavefront6targetE0EEEvSY_.has_recursion, 0
	.set _ZN7rocprim17ROCPRIM_400000_NS6detail17trampoline_kernelINS0_13select_configILj256ELj13ELNS0_17block_load_methodE3ELS4_3ELS4_3ELNS0_20block_scan_algorithmE0ELj4294967295EEENS1_25partition_config_selectorILNS1_17partition_subalgoE3EjNS0_10empty_typeEbEEZZNS1_14partition_implILS8_3ELb0ES6_jNS0_17counting_iteratorIjlEEPS9_SE_NS0_5tupleIJPjSE_EEENSF_IJSE_SE_EEES9_SG_JZNS1_25segmented_radix_sort_implINS0_14default_configELb0EPKaPaPKlPlN2at6native12_GLOBAL__N_18offset_tEEE10hipError_tPvRmT1_PNSt15iterator_traitsISY_E10value_typeET2_T3_PNSZ_IS14_E10value_typeET4_jRbjT5_S1A_jjP12ihipStream_tbEUljE_EEESV_SW_SX_S14_S18_S1A_T6_T7_T9_mT8_S1C_bDpT10_ENKUlT_T0_E_clISt17integral_constantIbLb1EES1O_IbLb0EEEEDaS1K_S1L_EUlS1K_E_NS1_11comp_targetILNS1_3genE8ELNS1_11target_archE1030ELNS1_3gpuE2ELNS1_3repE0EEENS1_30default_config_static_selectorELNS0_4arch9wavefront6targetE0EEEvSY_.has_indirect_call, 0
	.section	.AMDGPU.csdata,"",@progbits
; Kernel info:
; codeLenInByte = 0
; TotalNumSgprs: 0
; NumVgprs: 0
; ScratchSize: 0
; MemoryBound: 0
; FloatMode: 240
; IeeeMode: 1
; LDSByteSize: 0 bytes/workgroup (compile time only)
; SGPRBlocks: 0
; VGPRBlocks: 0
; NumSGPRsForWavesPerEU: 1
; NumVGPRsForWavesPerEU: 1
; Occupancy: 16
; WaveLimiterHint : 0
; COMPUTE_PGM_RSRC2:SCRATCH_EN: 0
; COMPUTE_PGM_RSRC2:USER_SGPR: 2
; COMPUTE_PGM_RSRC2:TRAP_HANDLER: 0
; COMPUTE_PGM_RSRC2:TGID_X_EN: 1
; COMPUTE_PGM_RSRC2:TGID_Y_EN: 0
; COMPUTE_PGM_RSRC2:TGID_Z_EN: 0
; COMPUTE_PGM_RSRC2:TIDIG_COMP_CNT: 0
	.section	.text._ZN7rocprim17ROCPRIM_400000_NS6detail17trampoline_kernelINS0_13select_configILj256ELj13ELNS0_17block_load_methodE3ELS4_3ELS4_3ELNS0_20block_scan_algorithmE0ELj4294967295EEENS1_25partition_config_selectorILNS1_17partition_subalgoE3EjNS0_10empty_typeEbEEZZNS1_14partition_implILS8_3ELb0ES6_jNS0_17counting_iteratorIjlEEPS9_SE_NS0_5tupleIJPjSE_EEENSF_IJSE_SE_EEES9_SG_JZNS1_25segmented_radix_sort_implINS0_14default_configELb0EPKaPaPKlPlN2at6native12_GLOBAL__N_18offset_tEEE10hipError_tPvRmT1_PNSt15iterator_traitsISY_E10value_typeET2_T3_PNSZ_IS14_E10value_typeET4_jRbjT5_S1A_jjP12ihipStream_tbEUljE_EEESV_SW_SX_S14_S18_S1A_T6_T7_T9_mT8_S1C_bDpT10_ENKUlT_T0_E_clISt17integral_constantIbLb0EES1O_IbLb1EEEEDaS1K_S1L_EUlS1K_E_NS1_11comp_targetILNS1_3genE0ELNS1_11target_archE4294967295ELNS1_3gpuE0ELNS1_3repE0EEENS1_30default_config_static_selectorELNS0_4arch9wavefront6targetE0EEEvSY_,"axG",@progbits,_ZN7rocprim17ROCPRIM_400000_NS6detail17trampoline_kernelINS0_13select_configILj256ELj13ELNS0_17block_load_methodE3ELS4_3ELS4_3ELNS0_20block_scan_algorithmE0ELj4294967295EEENS1_25partition_config_selectorILNS1_17partition_subalgoE3EjNS0_10empty_typeEbEEZZNS1_14partition_implILS8_3ELb0ES6_jNS0_17counting_iteratorIjlEEPS9_SE_NS0_5tupleIJPjSE_EEENSF_IJSE_SE_EEES9_SG_JZNS1_25segmented_radix_sort_implINS0_14default_configELb0EPKaPaPKlPlN2at6native12_GLOBAL__N_18offset_tEEE10hipError_tPvRmT1_PNSt15iterator_traitsISY_E10value_typeET2_T3_PNSZ_IS14_E10value_typeET4_jRbjT5_S1A_jjP12ihipStream_tbEUljE_EEESV_SW_SX_S14_S18_S1A_T6_T7_T9_mT8_S1C_bDpT10_ENKUlT_T0_E_clISt17integral_constantIbLb0EES1O_IbLb1EEEEDaS1K_S1L_EUlS1K_E_NS1_11comp_targetILNS1_3genE0ELNS1_11target_archE4294967295ELNS1_3gpuE0ELNS1_3repE0EEENS1_30default_config_static_selectorELNS0_4arch9wavefront6targetE0EEEvSY_,comdat
	.globl	_ZN7rocprim17ROCPRIM_400000_NS6detail17trampoline_kernelINS0_13select_configILj256ELj13ELNS0_17block_load_methodE3ELS4_3ELS4_3ELNS0_20block_scan_algorithmE0ELj4294967295EEENS1_25partition_config_selectorILNS1_17partition_subalgoE3EjNS0_10empty_typeEbEEZZNS1_14partition_implILS8_3ELb0ES6_jNS0_17counting_iteratorIjlEEPS9_SE_NS0_5tupleIJPjSE_EEENSF_IJSE_SE_EEES9_SG_JZNS1_25segmented_radix_sort_implINS0_14default_configELb0EPKaPaPKlPlN2at6native12_GLOBAL__N_18offset_tEEE10hipError_tPvRmT1_PNSt15iterator_traitsISY_E10value_typeET2_T3_PNSZ_IS14_E10value_typeET4_jRbjT5_S1A_jjP12ihipStream_tbEUljE_EEESV_SW_SX_S14_S18_S1A_T6_T7_T9_mT8_S1C_bDpT10_ENKUlT_T0_E_clISt17integral_constantIbLb0EES1O_IbLb1EEEEDaS1K_S1L_EUlS1K_E_NS1_11comp_targetILNS1_3genE0ELNS1_11target_archE4294967295ELNS1_3gpuE0ELNS1_3repE0EEENS1_30default_config_static_selectorELNS0_4arch9wavefront6targetE0EEEvSY_ ; -- Begin function _ZN7rocprim17ROCPRIM_400000_NS6detail17trampoline_kernelINS0_13select_configILj256ELj13ELNS0_17block_load_methodE3ELS4_3ELS4_3ELNS0_20block_scan_algorithmE0ELj4294967295EEENS1_25partition_config_selectorILNS1_17partition_subalgoE3EjNS0_10empty_typeEbEEZZNS1_14partition_implILS8_3ELb0ES6_jNS0_17counting_iteratorIjlEEPS9_SE_NS0_5tupleIJPjSE_EEENSF_IJSE_SE_EEES9_SG_JZNS1_25segmented_radix_sort_implINS0_14default_configELb0EPKaPaPKlPlN2at6native12_GLOBAL__N_18offset_tEEE10hipError_tPvRmT1_PNSt15iterator_traitsISY_E10value_typeET2_T3_PNSZ_IS14_E10value_typeET4_jRbjT5_S1A_jjP12ihipStream_tbEUljE_EEESV_SW_SX_S14_S18_S1A_T6_T7_T9_mT8_S1C_bDpT10_ENKUlT_T0_E_clISt17integral_constantIbLb0EES1O_IbLb1EEEEDaS1K_S1L_EUlS1K_E_NS1_11comp_targetILNS1_3genE0ELNS1_11target_archE4294967295ELNS1_3gpuE0ELNS1_3repE0EEENS1_30default_config_static_selectorELNS0_4arch9wavefront6targetE0EEEvSY_
	.p2align	8
	.type	_ZN7rocprim17ROCPRIM_400000_NS6detail17trampoline_kernelINS0_13select_configILj256ELj13ELNS0_17block_load_methodE3ELS4_3ELS4_3ELNS0_20block_scan_algorithmE0ELj4294967295EEENS1_25partition_config_selectorILNS1_17partition_subalgoE3EjNS0_10empty_typeEbEEZZNS1_14partition_implILS8_3ELb0ES6_jNS0_17counting_iteratorIjlEEPS9_SE_NS0_5tupleIJPjSE_EEENSF_IJSE_SE_EEES9_SG_JZNS1_25segmented_radix_sort_implINS0_14default_configELb0EPKaPaPKlPlN2at6native12_GLOBAL__N_18offset_tEEE10hipError_tPvRmT1_PNSt15iterator_traitsISY_E10value_typeET2_T3_PNSZ_IS14_E10value_typeET4_jRbjT5_S1A_jjP12ihipStream_tbEUljE_EEESV_SW_SX_S14_S18_S1A_T6_T7_T9_mT8_S1C_bDpT10_ENKUlT_T0_E_clISt17integral_constantIbLb0EES1O_IbLb1EEEEDaS1K_S1L_EUlS1K_E_NS1_11comp_targetILNS1_3genE0ELNS1_11target_archE4294967295ELNS1_3gpuE0ELNS1_3repE0EEENS1_30default_config_static_selectorELNS0_4arch9wavefront6targetE0EEEvSY_,@function
_ZN7rocprim17ROCPRIM_400000_NS6detail17trampoline_kernelINS0_13select_configILj256ELj13ELNS0_17block_load_methodE3ELS4_3ELS4_3ELNS0_20block_scan_algorithmE0ELj4294967295EEENS1_25partition_config_selectorILNS1_17partition_subalgoE3EjNS0_10empty_typeEbEEZZNS1_14partition_implILS8_3ELb0ES6_jNS0_17counting_iteratorIjlEEPS9_SE_NS0_5tupleIJPjSE_EEENSF_IJSE_SE_EEES9_SG_JZNS1_25segmented_radix_sort_implINS0_14default_configELb0EPKaPaPKlPlN2at6native12_GLOBAL__N_18offset_tEEE10hipError_tPvRmT1_PNSt15iterator_traitsISY_E10value_typeET2_T3_PNSZ_IS14_E10value_typeET4_jRbjT5_S1A_jjP12ihipStream_tbEUljE_EEESV_SW_SX_S14_S18_S1A_T6_T7_T9_mT8_S1C_bDpT10_ENKUlT_T0_E_clISt17integral_constantIbLb0EES1O_IbLb1EEEEDaS1K_S1L_EUlS1K_E_NS1_11comp_targetILNS1_3genE0ELNS1_11target_archE4294967295ELNS1_3gpuE0ELNS1_3repE0EEENS1_30default_config_static_selectorELNS0_4arch9wavefront6targetE0EEEvSY_: ; @_ZN7rocprim17ROCPRIM_400000_NS6detail17trampoline_kernelINS0_13select_configILj256ELj13ELNS0_17block_load_methodE3ELS4_3ELS4_3ELNS0_20block_scan_algorithmE0ELj4294967295EEENS1_25partition_config_selectorILNS1_17partition_subalgoE3EjNS0_10empty_typeEbEEZZNS1_14partition_implILS8_3ELb0ES6_jNS0_17counting_iteratorIjlEEPS9_SE_NS0_5tupleIJPjSE_EEENSF_IJSE_SE_EEES9_SG_JZNS1_25segmented_radix_sort_implINS0_14default_configELb0EPKaPaPKlPlN2at6native12_GLOBAL__N_18offset_tEEE10hipError_tPvRmT1_PNSt15iterator_traitsISY_E10value_typeET2_T3_PNSZ_IS14_E10value_typeET4_jRbjT5_S1A_jjP12ihipStream_tbEUljE_EEESV_SW_SX_S14_S18_S1A_T6_T7_T9_mT8_S1C_bDpT10_ENKUlT_T0_E_clISt17integral_constantIbLb0EES1O_IbLb1EEEEDaS1K_S1L_EUlS1K_E_NS1_11comp_targetILNS1_3genE0ELNS1_11target_archE4294967295ELNS1_3gpuE0ELNS1_3repE0EEENS1_30default_config_static_selectorELNS0_4arch9wavefront6targetE0EEEvSY_
; %bb.0:
	.section	.rodata,"a",@progbits
	.p2align	6, 0x0
	.amdhsa_kernel _ZN7rocprim17ROCPRIM_400000_NS6detail17trampoline_kernelINS0_13select_configILj256ELj13ELNS0_17block_load_methodE3ELS4_3ELS4_3ELNS0_20block_scan_algorithmE0ELj4294967295EEENS1_25partition_config_selectorILNS1_17partition_subalgoE3EjNS0_10empty_typeEbEEZZNS1_14partition_implILS8_3ELb0ES6_jNS0_17counting_iteratorIjlEEPS9_SE_NS0_5tupleIJPjSE_EEENSF_IJSE_SE_EEES9_SG_JZNS1_25segmented_radix_sort_implINS0_14default_configELb0EPKaPaPKlPlN2at6native12_GLOBAL__N_18offset_tEEE10hipError_tPvRmT1_PNSt15iterator_traitsISY_E10value_typeET2_T3_PNSZ_IS14_E10value_typeET4_jRbjT5_S1A_jjP12ihipStream_tbEUljE_EEESV_SW_SX_S14_S18_S1A_T6_T7_T9_mT8_S1C_bDpT10_ENKUlT_T0_E_clISt17integral_constantIbLb0EES1O_IbLb1EEEEDaS1K_S1L_EUlS1K_E_NS1_11comp_targetILNS1_3genE0ELNS1_11target_archE4294967295ELNS1_3gpuE0ELNS1_3repE0EEENS1_30default_config_static_selectorELNS0_4arch9wavefront6targetE0EEEvSY_
		.amdhsa_group_segment_fixed_size 0
		.amdhsa_private_segment_fixed_size 0
		.amdhsa_kernarg_size 152
		.amdhsa_user_sgpr_count 2
		.amdhsa_user_sgpr_dispatch_ptr 0
		.amdhsa_user_sgpr_queue_ptr 0
		.amdhsa_user_sgpr_kernarg_segment_ptr 1
		.amdhsa_user_sgpr_dispatch_id 0
		.amdhsa_user_sgpr_private_segment_size 0
		.amdhsa_wavefront_size32 1
		.amdhsa_uses_dynamic_stack 0
		.amdhsa_enable_private_segment 0
		.amdhsa_system_sgpr_workgroup_id_x 1
		.amdhsa_system_sgpr_workgroup_id_y 0
		.amdhsa_system_sgpr_workgroup_id_z 0
		.amdhsa_system_sgpr_workgroup_info 0
		.amdhsa_system_vgpr_workitem_id 0
		.amdhsa_next_free_vgpr 1
		.amdhsa_next_free_sgpr 1
		.amdhsa_reserve_vcc 0
		.amdhsa_float_round_mode_32 0
		.amdhsa_float_round_mode_16_64 0
		.amdhsa_float_denorm_mode_32 3
		.amdhsa_float_denorm_mode_16_64 3
		.amdhsa_fp16_overflow 0
		.amdhsa_workgroup_processor_mode 1
		.amdhsa_memory_ordered 1
		.amdhsa_forward_progress 1
		.amdhsa_inst_pref_size 0
		.amdhsa_round_robin_scheduling 0
		.amdhsa_exception_fp_ieee_invalid_op 0
		.amdhsa_exception_fp_denorm_src 0
		.amdhsa_exception_fp_ieee_div_zero 0
		.amdhsa_exception_fp_ieee_overflow 0
		.amdhsa_exception_fp_ieee_underflow 0
		.amdhsa_exception_fp_ieee_inexact 0
		.amdhsa_exception_int_div_zero 0
	.end_amdhsa_kernel
	.section	.text._ZN7rocprim17ROCPRIM_400000_NS6detail17trampoline_kernelINS0_13select_configILj256ELj13ELNS0_17block_load_methodE3ELS4_3ELS4_3ELNS0_20block_scan_algorithmE0ELj4294967295EEENS1_25partition_config_selectorILNS1_17partition_subalgoE3EjNS0_10empty_typeEbEEZZNS1_14partition_implILS8_3ELb0ES6_jNS0_17counting_iteratorIjlEEPS9_SE_NS0_5tupleIJPjSE_EEENSF_IJSE_SE_EEES9_SG_JZNS1_25segmented_radix_sort_implINS0_14default_configELb0EPKaPaPKlPlN2at6native12_GLOBAL__N_18offset_tEEE10hipError_tPvRmT1_PNSt15iterator_traitsISY_E10value_typeET2_T3_PNSZ_IS14_E10value_typeET4_jRbjT5_S1A_jjP12ihipStream_tbEUljE_EEESV_SW_SX_S14_S18_S1A_T6_T7_T9_mT8_S1C_bDpT10_ENKUlT_T0_E_clISt17integral_constantIbLb0EES1O_IbLb1EEEEDaS1K_S1L_EUlS1K_E_NS1_11comp_targetILNS1_3genE0ELNS1_11target_archE4294967295ELNS1_3gpuE0ELNS1_3repE0EEENS1_30default_config_static_selectorELNS0_4arch9wavefront6targetE0EEEvSY_,"axG",@progbits,_ZN7rocprim17ROCPRIM_400000_NS6detail17trampoline_kernelINS0_13select_configILj256ELj13ELNS0_17block_load_methodE3ELS4_3ELS4_3ELNS0_20block_scan_algorithmE0ELj4294967295EEENS1_25partition_config_selectorILNS1_17partition_subalgoE3EjNS0_10empty_typeEbEEZZNS1_14partition_implILS8_3ELb0ES6_jNS0_17counting_iteratorIjlEEPS9_SE_NS0_5tupleIJPjSE_EEENSF_IJSE_SE_EEES9_SG_JZNS1_25segmented_radix_sort_implINS0_14default_configELb0EPKaPaPKlPlN2at6native12_GLOBAL__N_18offset_tEEE10hipError_tPvRmT1_PNSt15iterator_traitsISY_E10value_typeET2_T3_PNSZ_IS14_E10value_typeET4_jRbjT5_S1A_jjP12ihipStream_tbEUljE_EEESV_SW_SX_S14_S18_S1A_T6_T7_T9_mT8_S1C_bDpT10_ENKUlT_T0_E_clISt17integral_constantIbLb0EES1O_IbLb1EEEEDaS1K_S1L_EUlS1K_E_NS1_11comp_targetILNS1_3genE0ELNS1_11target_archE4294967295ELNS1_3gpuE0ELNS1_3repE0EEENS1_30default_config_static_selectorELNS0_4arch9wavefront6targetE0EEEvSY_,comdat
.Lfunc_end385:
	.size	_ZN7rocprim17ROCPRIM_400000_NS6detail17trampoline_kernelINS0_13select_configILj256ELj13ELNS0_17block_load_methodE3ELS4_3ELS4_3ELNS0_20block_scan_algorithmE0ELj4294967295EEENS1_25partition_config_selectorILNS1_17partition_subalgoE3EjNS0_10empty_typeEbEEZZNS1_14partition_implILS8_3ELb0ES6_jNS0_17counting_iteratorIjlEEPS9_SE_NS0_5tupleIJPjSE_EEENSF_IJSE_SE_EEES9_SG_JZNS1_25segmented_radix_sort_implINS0_14default_configELb0EPKaPaPKlPlN2at6native12_GLOBAL__N_18offset_tEEE10hipError_tPvRmT1_PNSt15iterator_traitsISY_E10value_typeET2_T3_PNSZ_IS14_E10value_typeET4_jRbjT5_S1A_jjP12ihipStream_tbEUljE_EEESV_SW_SX_S14_S18_S1A_T6_T7_T9_mT8_S1C_bDpT10_ENKUlT_T0_E_clISt17integral_constantIbLb0EES1O_IbLb1EEEEDaS1K_S1L_EUlS1K_E_NS1_11comp_targetILNS1_3genE0ELNS1_11target_archE4294967295ELNS1_3gpuE0ELNS1_3repE0EEENS1_30default_config_static_selectorELNS0_4arch9wavefront6targetE0EEEvSY_, .Lfunc_end385-_ZN7rocprim17ROCPRIM_400000_NS6detail17trampoline_kernelINS0_13select_configILj256ELj13ELNS0_17block_load_methodE3ELS4_3ELS4_3ELNS0_20block_scan_algorithmE0ELj4294967295EEENS1_25partition_config_selectorILNS1_17partition_subalgoE3EjNS0_10empty_typeEbEEZZNS1_14partition_implILS8_3ELb0ES6_jNS0_17counting_iteratorIjlEEPS9_SE_NS0_5tupleIJPjSE_EEENSF_IJSE_SE_EEES9_SG_JZNS1_25segmented_radix_sort_implINS0_14default_configELb0EPKaPaPKlPlN2at6native12_GLOBAL__N_18offset_tEEE10hipError_tPvRmT1_PNSt15iterator_traitsISY_E10value_typeET2_T3_PNSZ_IS14_E10value_typeET4_jRbjT5_S1A_jjP12ihipStream_tbEUljE_EEESV_SW_SX_S14_S18_S1A_T6_T7_T9_mT8_S1C_bDpT10_ENKUlT_T0_E_clISt17integral_constantIbLb0EES1O_IbLb1EEEEDaS1K_S1L_EUlS1K_E_NS1_11comp_targetILNS1_3genE0ELNS1_11target_archE4294967295ELNS1_3gpuE0ELNS1_3repE0EEENS1_30default_config_static_selectorELNS0_4arch9wavefront6targetE0EEEvSY_
                                        ; -- End function
	.set _ZN7rocprim17ROCPRIM_400000_NS6detail17trampoline_kernelINS0_13select_configILj256ELj13ELNS0_17block_load_methodE3ELS4_3ELS4_3ELNS0_20block_scan_algorithmE0ELj4294967295EEENS1_25partition_config_selectorILNS1_17partition_subalgoE3EjNS0_10empty_typeEbEEZZNS1_14partition_implILS8_3ELb0ES6_jNS0_17counting_iteratorIjlEEPS9_SE_NS0_5tupleIJPjSE_EEENSF_IJSE_SE_EEES9_SG_JZNS1_25segmented_radix_sort_implINS0_14default_configELb0EPKaPaPKlPlN2at6native12_GLOBAL__N_18offset_tEEE10hipError_tPvRmT1_PNSt15iterator_traitsISY_E10value_typeET2_T3_PNSZ_IS14_E10value_typeET4_jRbjT5_S1A_jjP12ihipStream_tbEUljE_EEESV_SW_SX_S14_S18_S1A_T6_T7_T9_mT8_S1C_bDpT10_ENKUlT_T0_E_clISt17integral_constantIbLb0EES1O_IbLb1EEEEDaS1K_S1L_EUlS1K_E_NS1_11comp_targetILNS1_3genE0ELNS1_11target_archE4294967295ELNS1_3gpuE0ELNS1_3repE0EEENS1_30default_config_static_selectorELNS0_4arch9wavefront6targetE0EEEvSY_.num_vgpr, 0
	.set _ZN7rocprim17ROCPRIM_400000_NS6detail17trampoline_kernelINS0_13select_configILj256ELj13ELNS0_17block_load_methodE3ELS4_3ELS4_3ELNS0_20block_scan_algorithmE0ELj4294967295EEENS1_25partition_config_selectorILNS1_17partition_subalgoE3EjNS0_10empty_typeEbEEZZNS1_14partition_implILS8_3ELb0ES6_jNS0_17counting_iteratorIjlEEPS9_SE_NS0_5tupleIJPjSE_EEENSF_IJSE_SE_EEES9_SG_JZNS1_25segmented_radix_sort_implINS0_14default_configELb0EPKaPaPKlPlN2at6native12_GLOBAL__N_18offset_tEEE10hipError_tPvRmT1_PNSt15iterator_traitsISY_E10value_typeET2_T3_PNSZ_IS14_E10value_typeET4_jRbjT5_S1A_jjP12ihipStream_tbEUljE_EEESV_SW_SX_S14_S18_S1A_T6_T7_T9_mT8_S1C_bDpT10_ENKUlT_T0_E_clISt17integral_constantIbLb0EES1O_IbLb1EEEEDaS1K_S1L_EUlS1K_E_NS1_11comp_targetILNS1_3genE0ELNS1_11target_archE4294967295ELNS1_3gpuE0ELNS1_3repE0EEENS1_30default_config_static_selectorELNS0_4arch9wavefront6targetE0EEEvSY_.num_agpr, 0
	.set _ZN7rocprim17ROCPRIM_400000_NS6detail17trampoline_kernelINS0_13select_configILj256ELj13ELNS0_17block_load_methodE3ELS4_3ELS4_3ELNS0_20block_scan_algorithmE0ELj4294967295EEENS1_25partition_config_selectorILNS1_17partition_subalgoE3EjNS0_10empty_typeEbEEZZNS1_14partition_implILS8_3ELb0ES6_jNS0_17counting_iteratorIjlEEPS9_SE_NS0_5tupleIJPjSE_EEENSF_IJSE_SE_EEES9_SG_JZNS1_25segmented_radix_sort_implINS0_14default_configELb0EPKaPaPKlPlN2at6native12_GLOBAL__N_18offset_tEEE10hipError_tPvRmT1_PNSt15iterator_traitsISY_E10value_typeET2_T3_PNSZ_IS14_E10value_typeET4_jRbjT5_S1A_jjP12ihipStream_tbEUljE_EEESV_SW_SX_S14_S18_S1A_T6_T7_T9_mT8_S1C_bDpT10_ENKUlT_T0_E_clISt17integral_constantIbLb0EES1O_IbLb1EEEEDaS1K_S1L_EUlS1K_E_NS1_11comp_targetILNS1_3genE0ELNS1_11target_archE4294967295ELNS1_3gpuE0ELNS1_3repE0EEENS1_30default_config_static_selectorELNS0_4arch9wavefront6targetE0EEEvSY_.numbered_sgpr, 0
	.set _ZN7rocprim17ROCPRIM_400000_NS6detail17trampoline_kernelINS0_13select_configILj256ELj13ELNS0_17block_load_methodE3ELS4_3ELS4_3ELNS0_20block_scan_algorithmE0ELj4294967295EEENS1_25partition_config_selectorILNS1_17partition_subalgoE3EjNS0_10empty_typeEbEEZZNS1_14partition_implILS8_3ELb0ES6_jNS0_17counting_iteratorIjlEEPS9_SE_NS0_5tupleIJPjSE_EEENSF_IJSE_SE_EEES9_SG_JZNS1_25segmented_radix_sort_implINS0_14default_configELb0EPKaPaPKlPlN2at6native12_GLOBAL__N_18offset_tEEE10hipError_tPvRmT1_PNSt15iterator_traitsISY_E10value_typeET2_T3_PNSZ_IS14_E10value_typeET4_jRbjT5_S1A_jjP12ihipStream_tbEUljE_EEESV_SW_SX_S14_S18_S1A_T6_T7_T9_mT8_S1C_bDpT10_ENKUlT_T0_E_clISt17integral_constantIbLb0EES1O_IbLb1EEEEDaS1K_S1L_EUlS1K_E_NS1_11comp_targetILNS1_3genE0ELNS1_11target_archE4294967295ELNS1_3gpuE0ELNS1_3repE0EEENS1_30default_config_static_selectorELNS0_4arch9wavefront6targetE0EEEvSY_.num_named_barrier, 0
	.set _ZN7rocprim17ROCPRIM_400000_NS6detail17trampoline_kernelINS0_13select_configILj256ELj13ELNS0_17block_load_methodE3ELS4_3ELS4_3ELNS0_20block_scan_algorithmE0ELj4294967295EEENS1_25partition_config_selectorILNS1_17partition_subalgoE3EjNS0_10empty_typeEbEEZZNS1_14partition_implILS8_3ELb0ES6_jNS0_17counting_iteratorIjlEEPS9_SE_NS0_5tupleIJPjSE_EEENSF_IJSE_SE_EEES9_SG_JZNS1_25segmented_radix_sort_implINS0_14default_configELb0EPKaPaPKlPlN2at6native12_GLOBAL__N_18offset_tEEE10hipError_tPvRmT1_PNSt15iterator_traitsISY_E10value_typeET2_T3_PNSZ_IS14_E10value_typeET4_jRbjT5_S1A_jjP12ihipStream_tbEUljE_EEESV_SW_SX_S14_S18_S1A_T6_T7_T9_mT8_S1C_bDpT10_ENKUlT_T0_E_clISt17integral_constantIbLb0EES1O_IbLb1EEEEDaS1K_S1L_EUlS1K_E_NS1_11comp_targetILNS1_3genE0ELNS1_11target_archE4294967295ELNS1_3gpuE0ELNS1_3repE0EEENS1_30default_config_static_selectorELNS0_4arch9wavefront6targetE0EEEvSY_.private_seg_size, 0
	.set _ZN7rocprim17ROCPRIM_400000_NS6detail17trampoline_kernelINS0_13select_configILj256ELj13ELNS0_17block_load_methodE3ELS4_3ELS4_3ELNS0_20block_scan_algorithmE0ELj4294967295EEENS1_25partition_config_selectorILNS1_17partition_subalgoE3EjNS0_10empty_typeEbEEZZNS1_14partition_implILS8_3ELb0ES6_jNS0_17counting_iteratorIjlEEPS9_SE_NS0_5tupleIJPjSE_EEENSF_IJSE_SE_EEES9_SG_JZNS1_25segmented_radix_sort_implINS0_14default_configELb0EPKaPaPKlPlN2at6native12_GLOBAL__N_18offset_tEEE10hipError_tPvRmT1_PNSt15iterator_traitsISY_E10value_typeET2_T3_PNSZ_IS14_E10value_typeET4_jRbjT5_S1A_jjP12ihipStream_tbEUljE_EEESV_SW_SX_S14_S18_S1A_T6_T7_T9_mT8_S1C_bDpT10_ENKUlT_T0_E_clISt17integral_constantIbLb0EES1O_IbLb1EEEEDaS1K_S1L_EUlS1K_E_NS1_11comp_targetILNS1_3genE0ELNS1_11target_archE4294967295ELNS1_3gpuE0ELNS1_3repE0EEENS1_30default_config_static_selectorELNS0_4arch9wavefront6targetE0EEEvSY_.uses_vcc, 0
	.set _ZN7rocprim17ROCPRIM_400000_NS6detail17trampoline_kernelINS0_13select_configILj256ELj13ELNS0_17block_load_methodE3ELS4_3ELS4_3ELNS0_20block_scan_algorithmE0ELj4294967295EEENS1_25partition_config_selectorILNS1_17partition_subalgoE3EjNS0_10empty_typeEbEEZZNS1_14partition_implILS8_3ELb0ES6_jNS0_17counting_iteratorIjlEEPS9_SE_NS0_5tupleIJPjSE_EEENSF_IJSE_SE_EEES9_SG_JZNS1_25segmented_radix_sort_implINS0_14default_configELb0EPKaPaPKlPlN2at6native12_GLOBAL__N_18offset_tEEE10hipError_tPvRmT1_PNSt15iterator_traitsISY_E10value_typeET2_T3_PNSZ_IS14_E10value_typeET4_jRbjT5_S1A_jjP12ihipStream_tbEUljE_EEESV_SW_SX_S14_S18_S1A_T6_T7_T9_mT8_S1C_bDpT10_ENKUlT_T0_E_clISt17integral_constantIbLb0EES1O_IbLb1EEEEDaS1K_S1L_EUlS1K_E_NS1_11comp_targetILNS1_3genE0ELNS1_11target_archE4294967295ELNS1_3gpuE0ELNS1_3repE0EEENS1_30default_config_static_selectorELNS0_4arch9wavefront6targetE0EEEvSY_.uses_flat_scratch, 0
	.set _ZN7rocprim17ROCPRIM_400000_NS6detail17trampoline_kernelINS0_13select_configILj256ELj13ELNS0_17block_load_methodE3ELS4_3ELS4_3ELNS0_20block_scan_algorithmE0ELj4294967295EEENS1_25partition_config_selectorILNS1_17partition_subalgoE3EjNS0_10empty_typeEbEEZZNS1_14partition_implILS8_3ELb0ES6_jNS0_17counting_iteratorIjlEEPS9_SE_NS0_5tupleIJPjSE_EEENSF_IJSE_SE_EEES9_SG_JZNS1_25segmented_radix_sort_implINS0_14default_configELb0EPKaPaPKlPlN2at6native12_GLOBAL__N_18offset_tEEE10hipError_tPvRmT1_PNSt15iterator_traitsISY_E10value_typeET2_T3_PNSZ_IS14_E10value_typeET4_jRbjT5_S1A_jjP12ihipStream_tbEUljE_EEESV_SW_SX_S14_S18_S1A_T6_T7_T9_mT8_S1C_bDpT10_ENKUlT_T0_E_clISt17integral_constantIbLb0EES1O_IbLb1EEEEDaS1K_S1L_EUlS1K_E_NS1_11comp_targetILNS1_3genE0ELNS1_11target_archE4294967295ELNS1_3gpuE0ELNS1_3repE0EEENS1_30default_config_static_selectorELNS0_4arch9wavefront6targetE0EEEvSY_.has_dyn_sized_stack, 0
	.set _ZN7rocprim17ROCPRIM_400000_NS6detail17trampoline_kernelINS0_13select_configILj256ELj13ELNS0_17block_load_methodE3ELS4_3ELS4_3ELNS0_20block_scan_algorithmE0ELj4294967295EEENS1_25partition_config_selectorILNS1_17partition_subalgoE3EjNS0_10empty_typeEbEEZZNS1_14partition_implILS8_3ELb0ES6_jNS0_17counting_iteratorIjlEEPS9_SE_NS0_5tupleIJPjSE_EEENSF_IJSE_SE_EEES9_SG_JZNS1_25segmented_radix_sort_implINS0_14default_configELb0EPKaPaPKlPlN2at6native12_GLOBAL__N_18offset_tEEE10hipError_tPvRmT1_PNSt15iterator_traitsISY_E10value_typeET2_T3_PNSZ_IS14_E10value_typeET4_jRbjT5_S1A_jjP12ihipStream_tbEUljE_EEESV_SW_SX_S14_S18_S1A_T6_T7_T9_mT8_S1C_bDpT10_ENKUlT_T0_E_clISt17integral_constantIbLb0EES1O_IbLb1EEEEDaS1K_S1L_EUlS1K_E_NS1_11comp_targetILNS1_3genE0ELNS1_11target_archE4294967295ELNS1_3gpuE0ELNS1_3repE0EEENS1_30default_config_static_selectorELNS0_4arch9wavefront6targetE0EEEvSY_.has_recursion, 0
	.set _ZN7rocprim17ROCPRIM_400000_NS6detail17trampoline_kernelINS0_13select_configILj256ELj13ELNS0_17block_load_methodE3ELS4_3ELS4_3ELNS0_20block_scan_algorithmE0ELj4294967295EEENS1_25partition_config_selectorILNS1_17partition_subalgoE3EjNS0_10empty_typeEbEEZZNS1_14partition_implILS8_3ELb0ES6_jNS0_17counting_iteratorIjlEEPS9_SE_NS0_5tupleIJPjSE_EEENSF_IJSE_SE_EEES9_SG_JZNS1_25segmented_radix_sort_implINS0_14default_configELb0EPKaPaPKlPlN2at6native12_GLOBAL__N_18offset_tEEE10hipError_tPvRmT1_PNSt15iterator_traitsISY_E10value_typeET2_T3_PNSZ_IS14_E10value_typeET4_jRbjT5_S1A_jjP12ihipStream_tbEUljE_EEESV_SW_SX_S14_S18_S1A_T6_T7_T9_mT8_S1C_bDpT10_ENKUlT_T0_E_clISt17integral_constantIbLb0EES1O_IbLb1EEEEDaS1K_S1L_EUlS1K_E_NS1_11comp_targetILNS1_3genE0ELNS1_11target_archE4294967295ELNS1_3gpuE0ELNS1_3repE0EEENS1_30default_config_static_selectorELNS0_4arch9wavefront6targetE0EEEvSY_.has_indirect_call, 0
	.section	.AMDGPU.csdata,"",@progbits
; Kernel info:
; codeLenInByte = 0
; TotalNumSgprs: 0
; NumVgprs: 0
; ScratchSize: 0
; MemoryBound: 0
; FloatMode: 240
; IeeeMode: 1
; LDSByteSize: 0 bytes/workgroup (compile time only)
; SGPRBlocks: 0
; VGPRBlocks: 0
; NumSGPRsForWavesPerEU: 1
; NumVGPRsForWavesPerEU: 1
; Occupancy: 16
; WaveLimiterHint : 0
; COMPUTE_PGM_RSRC2:SCRATCH_EN: 0
; COMPUTE_PGM_RSRC2:USER_SGPR: 2
; COMPUTE_PGM_RSRC2:TRAP_HANDLER: 0
; COMPUTE_PGM_RSRC2:TGID_X_EN: 1
; COMPUTE_PGM_RSRC2:TGID_Y_EN: 0
; COMPUTE_PGM_RSRC2:TGID_Z_EN: 0
; COMPUTE_PGM_RSRC2:TIDIG_COMP_CNT: 0
	.section	.text._ZN7rocprim17ROCPRIM_400000_NS6detail17trampoline_kernelINS0_13select_configILj256ELj13ELNS0_17block_load_methodE3ELS4_3ELS4_3ELNS0_20block_scan_algorithmE0ELj4294967295EEENS1_25partition_config_selectorILNS1_17partition_subalgoE3EjNS0_10empty_typeEbEEZZNS1_14partition_implILS8_3ELb0ES6_jNS0_17counting_iteratorIjlEEPS9_SE_NS0_5tupleIJPjSE_EEENSF_IJSE_SE_EEES9_SG_JZNS1_25segmented_radix_sort_implINS0_14default_configELb0EPKaPaPKlPlN2at6native12_GLOBAL__N_18offset_tEEE10hipError_tPvRmT1_PNSt15iterator_traitsISY_E10value_typeET2_T3_PNSZ_IS14_E10value_typeET4_jRbjT5_S1A_jjP12ihipStream_tbEUljE_EEESV_SW_SX_S14_S18_S1A_T6_T7_T9_mT8_S1C_bDpT10_ENKUlT_T0_E_clISt17integral_constantIbLb0EES1O_IbLb1EEEEDaS1K_S1L_EUlS1K_E_NS1_11comp_targetILNS1_3genE5ELNS1_11target_archE942ELNS1_3gpuE9ELNS1_3repE0EEENS1_30default_config_static_selectorELNS0_4arch9wavefront6targetE0EEEvSY_,"axG",@progbits,_ZN7rocprim17ROCPRIM_400000_NS6detail17trampoline_kernelINS0_13select_configILj256ELj13ELNS0_17block_load_methodE3ELS4_3ELS4_3ELNS0_20block_scan_algorithmE0ELj4294967295EEENS1_25partition_config_selectorILNS1_17partition_subalgoE3EjNS0_10empty_typeEbEEZZNS1_14partition_implILS8_3ELb0ES6_jNS0_17counting_iteratorIjlEEPS9_SE_NS0_5tupleIJPjSE_EEENSF_IJSE_SE_EEES9_SG_JZNS1_25segmented_radix_sort_implINS0_14default_configELb0EPKaPaPKlPlN2at6native12_GLOBAL__N_18offset_tEEE10hipError_tPvRmT1_PNSt15iterator_traitsISY_E10value_typeET2_T3_PNSZ_IS14_E10value_typeET4_jRbjT5_S1A_jjP12ihipStream_tbEUljE_EEESV_SW_SX_S14_S18_S1A_T6_T7_T9_mT8_S1C_bDpT10_ENKUlT_T0_E_clISt17integral_constantIbLb0EES1O_IbLb1EEEEDaS1K_S1L_EUlS1K_E_NS1_11comp_targetILNS1_3genE5ELNS1_11target_archE942ELNS1_3gpuE9ELNS1_3repE0EEENS1_30default_config_static_selectorELNS0_4arch9wavefront6targetE0EEEvSY_,comdat
	.globl	_ZN7rocprim17ROCPRIM_400000_NS6detail17trampoline_kernelINS0_13select_configILj256ELj13ELNS0_17block_load_methodE3ELS4_3ELS4_3ELNS0_20block_scan_algorithmE0ELj4294967295EEENS1_25partition_config_selectorILNS1_17partition_subalgoE3EjNS0_10empty_typeEbEEZZNS1_14partition_implILS8_3ELb0ES6_jNS0_17counting_iteratorIjlEEPS9_SE_NS0_5tupleIJPjSE_EEENSF_IJSE_SE_EEES9_SG_JZNS1_25segmented_radix_sort_implINS0_14default_configELb0EPKaPaPKlPlN2at6native12_GLOBAL__N_18offset_tEEE10hipError_tPvRmT1_PNSt15iterator_traitsISY_E10value_typeET2_T3_PNSZ_IS14_E10value_typeET4_jRbjT5_S1A_jjP12ihipStream_tbEUljE_EEESV_SW_SX_S14_S18_S1A_T6_T7_T9_mT8_S1C_bDpT10_ENKUlT_T0_E_clISt17integral_constantIbLb0EES1O_IbLb1EEEEDaS1K_S1L_EUlS1K_E_NS1_11comp_targetILNS1_3genE5ELNS1_11target_archE942ELNS1_3gpuE9ELNS1_3repE0EEENS1_30default_config_static_selectorELNS0_4arch9wavefront6targetE0EEEvSY_ ; -- Begin function _ZN7rocprim17ROCPRIM_400000_NS6detail17trampoline_kernelINS0_13select_configILj256ELj13ELNS0_17block_load_methodE3ELS4_3ELS4_3ELNS0_20block_scan_algorithmE0ELj4294967295EEENS1_25partition_config_selectorILNS1_17partition_subalgoE3EjNS0_10empty_typeEbEEZZNS1_14partition_implILS8_3ELb0ES6_jNS0_17counting_iteratorIjlEEPS9_SE_NS0_5tupleIJPjSE_EEENSF_IJSE_SE_EEES9_SG_JZNS1_25segmented_radix_sort_implINS0_14default_configELb0EPKaPaPKlPlN2at6native12_GLOBAL__N_18offset_tEEE10hipError_tPvRmT1_PNSt15iterator_traitsISY_E10value_typeET2_T3_PNSZ_IS14_E10value_typeET4_jRbjT5_S1A_jjP12ihipStream_tbEUljE_EEESV_SW_SX_S14_S18_S1A_T6_T7_T9_mT8_S1C_bDpT10_ENKUlT_T0_E_clISt17integral_constantIbLb0EES1O_IbLb1EEEEDaS1K_S1L_EUlS1K_E_NS1_11comp_targetILNS1_3genE5ELNS1_11target_archE942ELNS1_3gpuE9ELNS1_3repE0EEENS1_30default_config_static_selectorELNS0_4arch9wavefront6targetE0EEEvSY_
	.p2align	8
	.type	_ZN7rocprim17ROCPRIM_400000_NS6detail17trampoline_kernelINS0_13select_configILj256ELj13ELNS0_17block_load_methodE3ELS4_3ELS4_3ELNS0_20block_scan_algorithmE0ELj4294967295EEENS1_25partition_config_selectorILNS1_17partition_subalgoE3EjNS0_10empty_typeEbEEZZNS1_14partition_implILS8_3ELb0ES6_jNS0_17counting_iteratorIjlEEPS9_SE_NS0_5tupleIJPjSE_EEENSF_IJSE_SE_EEES9_SG_JZNS1_25segmented_radix_sort_implINS0_14default_configELb0EPKaPaPKlPlN2at6native12_GLOBAL__N_18offset_tEEE10hipError_tPvRmT1_PNSt15iterator_traitsISY_E10value_typeET2_T3_PNSZ_IS14_E10value_typeET4_jRbjT5_S1A_jjP12ihipStream_tbEUljE_EEESV_SW_SX_S14_S18_S1A_T6_T7_T9_mT8_S1C_bDpT10_ENKUlT_T0_E_clISt17integral_constantIbLb0EES1O_IbLb1EEEEDaS1K_S1L_EUlS1K_E_NS1_11comp_targetILNS1_3genE5ELNS1_11target_archE942ELNS1_3gpuE9ELNS1_3repE0EEENS1_30default_config_static_selectorELNS0_4arch9wavefront6targetE0EEEvSY_,@function
_ZN7rocprim17ROCPRIM_400000_NS6detail17trampoline_kernelINS0_13select_configILj256ELj13ELNS0_17block_load_methodE3ELS4_3ELS4_3ELNS0_20block_scan_algorithmE0ELj4294967295EEENS1_25partition_config_selectorILNS1_17partition_subalgoE3EjNS0_10empty_typeEbEEZZNS1_14partition_implILS8_3ELb0ES6_jNS0_17counting_iteratorIjlEEPS9_SE_NS0_5tupleIJPjSE_EEENSF_IJSE_SE_EEES9_SG_JZNS1_25segmented_radix_sort_implINS0_14default_configELb0EPKaPaPKlPlN2at6native12_GLOBAL__N_18offset_tEEE10hipError_tPvRmT1_PNSt15iterator_traitsISY_E10value_typeET2_T3_PNSZ_IS14_E10value_typeET4_jRbjT5_S1A_jjP12ihipStream_tbEUljE_EEESV_SW_SX_S14_S18_S1A_T6_T7_T9_mT8_S1C_bDpT10_ENKUlT_T0_E_clISt17integral_constantIbLb0EES1O_IbLb1EEEEDaS1K_S1L_EUlS1K_E_NS1_11comp_targetILNS1_3genE5ELNS1_11target_archE942ELNS1_3gpuE9ELNS1_3repE0EEENS1_30default_config_static_selectorELNS0_4arch9wavefront6targetE0EEEvSY_: ; @_ZN7rocprim17ROCPRIM_400000_NS6detail17trampoline_kernelINS0_13select_configILj256ELj13ELNS0_17block_load_methodE3ELS4_3ELS4_3ELNS0_20block_scan_algorithmE0ELj4294967295EEENS1_25partition_config_selectorILNS1_17partition_subalgoE3EjNS0_10empty_typeEbEEZZNS1_14partition_implILS8_3ELb0ES6_jNS0_17counting_iteratorIjlEEPS9_SE_NS0_5tupleIJPjSE_EEENSF_IJSE_SE_EEES9_SG_JZNS1_25segmented_radix_sort_implINS0_14default_configELb0EPKaPaPKlPlN2at6native12_GLOBAL__N_18offset_tEEE10hipError_tPvRmT1_PNSt15iterator_traitsISY_E10value_typeET2_T3_PNSZ_IS14_E10value_typeET4_jRbjT5_S1A_jjP12ihipStream_tbEUljE_EEESV_SW_SX_S14_S18_S1A_T6_T7_T9_mT8_S1C_bDpT10_ENKUlT_T0_E_clISt17integral_constantIbLb0EES1O_IbLb1EEEEDaS1K_S1L_EUlS1K_E_NS1_11comp_targetILNS1_3genE5ELNS1_11target_archE942ELNS1_3gpuE9ELNS1_3repE0EEENS1_30default_config_static_selectorELNS0_4arch9wavefront6targetE0EEEvSY_
; %bb.0:
	.section	.rodata,"a",@progbits
	.p2align	6, 0x0
	.amdhsa_kernel _ZN7rocprim17ROCPRIM_400000_NS6detail17trampoline_kernelINS0_13select_configILj256ELj13ELNS0_17block_load_methodE3ELS4_3ELS4_3ELNS0_20block_scan_algorithmE0ELj4294967295EEENS1_25partition_config_selectorILNS1_17partition_subalgoE3EjNS0_10empty_typeEbEEZZNS1_14partition_implILS8_3ELb0ES6_jNS0_17counting_iteratorIjlEEPS9_SE_NS0_5tupleIJPjSE_EEENSF_IJSE_SE_EEES9_SG_JZNS1_25segmented_radix_sort_implINS0_14default_configELb0EPKaPaPKlPlN2at6native12_GLOBAL__N_18offset_tEEE10hipError_tPvRmT1_PNSt15iterator_traitsISY_E10value_typeET2_T3_PNSZ_IS14_E10value_typeET4_jRbjT5_S1A_jjP12ihipStream_tbEUljE_EEESV_SW_SX_S14_S18_S1A_T6_T7_T9_mT8_S1C_bDpT10_ENKUlT_T0_E_clISt17integral_constantIbLb0EES1O_IbLb1EEEEDaS1K_S1L_EUlS1K_E_NS1_11comp_targetILNS1_3genE5ELNS1_11target_archE942ELNS1_3gpuE9ELNS1_3repE0EEENS1_30default_config_static_selectorELNS0_4arch9wavefront6targetE0EEEvSY_
		.amdhsa_group_segment_fixed_size 0
		.amdhsa_private_segment_fixed_size 0
		.amdhsa_kernarg_size 152
		.amdhsa_user_sgpr_count 2
		.amdhsa_user_sgpr_dispatch_ptr 0
		.amdhsa_user_sgpr_queue_ptr 0
		.amdhsa_user_sgpr_kernarg_segment_ptr 1
		.amdhsa_user_sgpr_dispatch_id 0
		.amdhsa_user_sgpr_private_segment_size 0
		.amdhsa_wavefront_size32 1
		.amdhsa_uses_dynamic_stack 0
		.amdhsa_enable_private_segment 0
		.amdhsa_system_sgpr_workgroup_id_x 1
		.amdhsa_system_sgpr_workgroup_id_y 0
		.amdhsa_system_sgpr_workgroup_id_z 0
		.amdhsa_system_sgpr_workgroup_info 0
		.amdhsa_system_vgpr_workitem_id 0
		.amdhsa_next_free_vgpr 1
		.amdhsa_next_free_sgpr 1
		.amdhsa_reserve_vcc 0
		.amdhsa_float_round_mode_32 0
		.amdhsa_float_round_mode_16_64 0
		.amdhsa_float_denorm_mode_32 3
		.amdhsa_float_denorm_mode_16_64 3
		.amdhsa_fp16_overflow 0
		.amdhsa_workgroup_processor_mode 1
		.amdhsa_memory_ordered 1
		.amdhsa_forward_progress 1
		.amdhsa_inst_pref_size 0
		.amdhsa_round_robin_scheduling 0
		.amdhsa_exception_fp_ieee_invalid_op 0
		.amdhsa_exception_fp_denorm_src 0
		.amdhsa_exception_fp_ieee_div_zero 0
		.amdhsa_exception_fp_ieee_overflow 0
		.amdhsa_exception_fp_ieee_underflow 0
		.amdhsa_exception_fp_ieee_inexact 0
		.amdhsa_exception_int_div_zero 0
	.end_amdhsa_kernel
	.section	.text._ZN7rocprim17ROCPRIM_400000_NS6detail17trampoline_kernelINS0_13select_configILj256ELj13ELNS0_17block_load_methodE3ELS4_3ELS4_3ELNS0_20block_scan_algorithmE0ELj4294967295EEENS1_25partition_config_selectorILNS1_17partition_subalgoE3EjNS0_10empty_typeEbEEZZNS1_14partition_implILS8_3ELb0ES6_jNS0_17counting_iteratorIjlEEPS9_SE_NS0_5tupleIJPjSE_EEENSF_IJSE_SE_EEES9_SG_JZNS1_25segmented_radix_sort_implINS0_14default_configELb0EPKaPaPKlPlN2at6native12_GLOBAL__N_18offset_tEEE10hipError_tPvRmT1_PNSt15iterator_traitsISY_E10value_typeET2_T3_PNSZ_IS14_E10value_typeET4_jRbjT5_S1A_jjP12ihipStream_tbEUljE_EEESV_SW_SX_S14_S18_S1A_T6_T7_T9_mT8_S1C_bDpT10_ENKUlT_T0_E_clISt17integral_constantIbLb0EES1O_IbLb1EEEEDaS1K_S1L_EUlS1K_E_NS1_11comp_targetILNS1_3genE5ELNS1_11target_archE942ELNS1_3gpuE9ELNS1_3repE0EEENS1_30default_config_static_selectorELNS0_4arch9wavefront6targetE0EEEvSY_,"axG",@progbits,_ZN7rocprim17ROCPRIM_400000_NS6detail17trampoline_kernelINS0_13select_configILj256ELj13ELNS0_17block_load_methodE3ELS4_3ELS4_3ELNS0_20block_scan_algorithmE0ELj4294967295EEENS1_25partition_config_selectorILNS1_17partition_subalgoE3EjNS0_10empty_typeEbEEZZNS1_14partition_implILS8_3ELb0ES6_jNS0_17counting_iteratorIjlEEPS9_SE_NS0_5tupleIJPjSE_EEENSF_IJSE_SE_EEES9_SG_JZNS1_25segmented_radix_sort_implINS0_14default_configELb0EPKaPaPKlPlN2at6native12_GLOBAL__N_18offset_tEEE10hipError_tPvRmT1_PNSt15iterator_traitsISY_E10value_typeET2_T3_PNSZ_IS14_E10value_typeET4_jRbjT5_S1A_jjP12ihipStream_tbEUljE_EEESV_SW_SX_S14_S18_S1A_T6_T7_T9_mT8_S1C_bDpT10_ENKUlT_T0_E_clISt17integral_constantIbLb0EES1O_IbLb1EEEEDaS1K_S1L_EUlS1K_E_NS1_11comp_targetILNS1_3genE5ELNS1_11target_archE942ELNS1_3gpuE9ELNS1_3repE0EEENS1_30default_config_static_selectorELNS0_4arch9wavefront6targetE0EEEvSY_,comdat
.Lfunc_end386:
	.size	_ZN7rocprim17ROCPRIM_400000_NS6detail17trampoline_kernelINS0_13select_configILj256ELj13ELNS0_17block_load_methodE3ELS4_3ELS4_3ELNS0_20block_scan_algorithmE0ELj4294967295EEENS1_25partition_config_selectorILNS1_17partition_subalgoE3EjNS0_10empty_typeEbEEZZNS1_14partition_implILS8_3ELb0ES6_jNS0_17counting_iteratorIjlEEPS9_SE_NS0_5tupleIJPjSE_EEENSF_IJSE_SE_EEES9_SG_JZNS1_25segmented_radix_sort_implINS0_14default_configELb0EPKaPaPKlPlN2at6native12_GLOBAL__N_18offset_tEEE10hipError_tPvRmT1_PNSt15iterator_traitsISY_E10value_typeET2_T3_PNSZ_IS14_E10value_typeET4_jRbjT5_S1A_jjP12ihipStream_tbEUljE_EEESV_SW_SX_S14_S18_S1A_T6_T7_T9_mT8_S1C_bDpT10_ENKUlT_T0_E_clISt17integral_constantIbLb0EES1O_IbLb1EEEEDaS1K_S1L_EUlS1K_E_NS1_11comp_targetILNS1_3genE5ELNS1_11target_archE942ELNS1_3gpuE9ELNS1_3repE0EEENS1_30default_config_static_selectorELNS0_4arch9wavefront6targetE0EEEvSY_, .Lfunc_end386-_ZN7rocprim17ROCPRIM_400000_NS6detail17trampoline_kernelINS0_13select_configILj256ELj13ELNS0_17block_load_methodE3ELS4_3ELS4_3ELNS0_20block_scan_algorithmE0ELj4294967295EEENS1_25partition_config_selectorILNS1_17partition_subalgoE3EjNS0_10empty_typeEbEEZZNS1_14partition_implILS8_3ELb0ES6_jNS0_17counting_iteratorIjlEEPS9_SE_NS0_5tupleIJPjSE_EEENSF_IJSE_SE_EEES9_SG_JZNS1_25segmented_radix_sort_implINS0_14default_configELb0EPKaPaPKlPlN2at6native12_GLOBAL__N_18offset_tEEE10hipError_tPvRmT1_PNSt15iterator_traitsISY_E10value_typeET2_T3_PNSZ_IS14_E10value_typeET4_jRbjT5_S1A_jjP12ihipStream_tbEUljE_EEESV_SW_SX_S14_S18_S1A_T6_T7_T9_mT8_S1C_bDpT10_ENKUlT_T0_E_clISt17integral_constantIbLb0EES1O_IbLb1EEEEDaS1K_S1L_EUlS1K_E_NS1_11comp_targetILNS1_3genE5ELNS1_11target_archE942ELNS1_3gpuE9ELNS1_3repE0EEENS1_30default_config_static_selectorELNS0_4arch9wavefront6targetE0EEEvSY_
                                        ; -- End function
	.set _ZN7rocprim17ROCPRIM_400000_NS6detail17trampoline_kernelINS0_13select_configILj256ELj13ELNS0_17block_load_methodE3ELS4_3ELS4_3ELNS0_20block_scan_algorithmE0ELj4294967295EEENS1_25partition_config_selectorILNS1_17partition_subalgoE3EjNS0_10empty_typeEbEEZZNS1_14partition_implILS8_3ELb0ES6_jNS0_17counting_iteratorIjlEEPS9_SE_NS0_5tupleIJPjSE_EEENSF_IJSE_SE_EEES9_SG_JZNS1_25segmented_radix_sort_implINS0_14default_configELb0EPKaPaPKlPlN2at6native12_GLOBAL__N_18offset_tEEE10hipError_tPvRmT1_PNSt15iterator_traitsISY_E10value_typeET2_T3_PNSZ_IS14_E10value_typeET4_jRbjT5_S1A_jjP12ihipStream_tbEUljE_EEESV_SW_SX_S14_S18_S1A_T6_T7_T9_mT8_S1C_bDpT10_ENKUlT_T0_E_clISt17integral_constantIbLb0EES1O_IbLb1EEEEDaS1K_S1L_EUlS1K_E_NS1_11comp_targetILNS1_3genE5ELNS1_11target_archE942ELNS1_3gpuE9ELNS1_3repE0EEENS1_30default_config_static_selectorELNS0_4arch9wavefront6targetE0EEEvSY_.num_vgpr, 0
	.set _ZN7rocprim17ROCPRIM_400000_NS6detail17trampoline_kernelINS0_13select_configILj256ELj13ELNS0_17block_load_methodE3ELS4_3ELS4_3ELNS0_20block_scan_algorithmE0ELj4294967295EEENS1_25partition_config_selectorILNS1_17partition_subalgoE3EjNS0_10empty_typeEbEEZZNS1_14partition_implILS8_3ELb0ES6_jNS0_17counting_iteratorIjlEEPS9_SE_NS0_5tupleIJPjSE_EEENSF_IJSE_SE_EEES9_SG_JZNS1_25segmented_radix_sort_implINS0_14default_configELb0EPKaPaPKlPlN2at6native12_GLOBAL__N_18offset_tEEE10hipError_tPvRmT1_PNSt15iterator_traitsISY_E10value_typeET2_T3_PNSZ_IS14_E10value_typeET4_jRbjT5_S1A_jjP12ihipStream_tbEUljE_EEESV_SW_SX_S14_S18_S1A_T6_T7_T9_mT8_S1C_bDpT10_ENKUlT_T0_E_clISt17integral_constantIbLb0EES1O_IbLb1EEEEDaS1K_S1L_EUlS1K_E_NS1_11comp_targetILNS1_3genE5ELNS1_11target_archE942ELNS1_3gpuE9ELNS1_3repE0EEENS1_30default_config_static_selectorELNS0_4arch9wavefront6targetE0EEEvSY_.num_agpr, 0
	.set _ZN7rocprim17ROCPRIM_400000_NS6detail17trampoline_kernelINS0_13select_configILj256ELj13ELNS0_17block_load_methodE3ELS4_3ELS4_3ELNS0_20block_scan_algorithmE0ELj4294967295EEENS1_25partition_config_selectorILNS1_17partition_subalgoE3EjNS0_10empty_typeEbEEZZNS1_14partition_implILS8_3ELb0ES6_jNS0_17counting_iteratorIjlEEPS9_SE_NS0_5tupleIJPjSE_EEENSF_IJSE_SE_EEES9_SG_JZNS1_25segmented_radix_sort_implINS0_14default_configELb0EPKaPaPKlPlN2at6native12_GLOBAL__N_18offset_tEEE10hipError_tPvRmT1_PNSt15iterator_traitsISY_E10value_typeET2_T3_PNSZ_IS14_E10value_typeET4_jRbjT5_S1A_jjP12ihipStream_tbEUljE_EEESV_SW_SX_S14_S18_S1A_T6_T7_T9_mT8_S1C_bDpT10_ENKUlT_T0_E_clISt17integral_constantIbLb0EES1O_IbLb1EEEEDaS1K_S1L_EUlS1K_E_NS1_11comp_targetILNS1_3genE5ELNS1_11target_archE942ELNS1_3gpuE9ELNS1_3repE0EEENS1_30default_config_static_selectorELNS0_4arch9wavefront6targetE0EEEvSY_.numbered_sgpr, 0
	.set _ZN7rocprim17ROCPRIM_400000_NS6detail17trampoline_kernelINS0_13select_configILj256ELj13ELNS0_17block_load_methodE3ELS4_3ELS4_3ELNS0_20block_scan_algorithmE0ELj4294967295EEENS1_25partition_config_selectorILNS1_17partition_subalgoE3EjNS0_10empty_typeEbEEZZNS1_14partition_implILS8_3ELb0ES6_jNS0_17counting_iteratorIjlEEPS9_SE_NS0_5tupleIJPjSE_EEENSF_IJSE_SE_EEES9_SG_JZNS1_25segmented_radix_sort_implINS0_14default_configELb0EPKaPaPKlPlN2at6native12_GLOBAL__N_18offset_tEEE10hipError_tPvRmT1_PNSt15iterator_traitsISY_E10value_typeET2_T3_PNSZ_IS14_E10value_typeET4_jRbjT5_S1A_jjP12ihipStream_tbEUljE_EEESV_SW_SX_S14_S18_S1A_T6_T7_T9_mT8_S1C_bDpT10_ENKUlT_T0_E_clISt17integral_constantIbLb0EES1O_IbLb1EEEEDaS1K_S1L_EUlS1K_E_NS1_11comp_targetILNS1_3genE5ELNS1_11target_archE942ELNS1_3gpuE9ELNS1_3repE0EEENS1_30default_config_static_selectorELNS0_4arch9wavefront6targetE0EEEvSY_.num_named_barrier, 0
	.set _ZN7rocprim17ROCPRIM_400000_NS6detail17trampoline_kernelINS0_13select_configILj256ELj13ELNS0_17block_load_methodE3ELS4_3ELS4_3ELNS0_20block_scan_algorithmE0ELj4294967295EEENS1_25partition_config_selectorILNS1_17partition_subalgoE3EjNS0_10empty_typeEbEEZZNS1_14partition_implILS8_3ELb0ES6_jNS0_17counting_iteratorIjlEEPS9_SE_NS0_5tupleIJPjSE_EEENSF_IJSE_SE_EEES9_SG_JZNS1_25segmented_radix_sort_implINS0_14default_configELb0EPKaPaPKlPlN2at6native12_GLOBAL__N_18offset_tEEE10hipError_tPvRmT1_PNSt15iterator_traitsISY_E10value_typeET2_T3_PNSZ_IS14_E10value_typeET4_jRbjT5_S1A_jjP12ihipStream_tbEUljE_EEESV_SW_SX_S14_S18_S1A_T6_T7_T9_mT8_S1C_bDpT10_ENKUlT_T0_E_clISt17integral_constantIbLb0EES1O_IbLb1EEEEDaS1K_S1L_EUlS1K_E_NS1_11comp_targetILNS1_3genE5ELNS1_11target_archE942ELNS1_3gpuE9ELNS1_3repE0EEENS1_30default_config_static_selectorELNS0_4arch9wavefront6targetE0EEEvSY_.private_seg_size, 0
	.set _ZN7rocprim17ROCPRIM_400000_NS6detail17trampoline_kernelINS0_13select_configILj256ELj13ELNS0_17block_load_methodE3ELS4_3ELS4_3ELNS0_20block_scan_algorithmE0ELj4294967295EEENS1_25partition_config_selectorILNS1_17partition_subalgoE3EjNS0_10empty_typeEbEEZZNS1_14partition_implILS8_3ELb0ES6_jNS0_17counting_iteratorIjlEEPS9_SE_NS0_5tupleIJPjSE_EEENSF_IJSE_SE_EEES9_SG_JZNS1_25segmented_radix_sort_implINS0_14default_configELb0EPKaPaPKlPlN2at6native12_GLOBAL__N_18offset_tEEE10hipError_tPvRmT1_PNSt15iterator_traitsISY_E10value_typeET2_T3_PNSZ_IS14_E10value_typeET4_jRbjT5_S1A_jjP12ihipStream_tbEUljE_EEESV_SW_SX_S14_S18_S1A_T6_T7_T9_mT8_S1C_bDpT10_ENKUlT_T0_E_clISt17integral_constantIbLb0EES1O_IbLb1EEEEDaS1K_S1L_EUlS1K_E_NS1_11comp_targetILNS1_3genE5ELNS1_11target_archE942ELNS1_3gpuE9ELNS1_3repE0EEENS1_30default_config_static_selectorELNS0_4arch9wavefront6targetE0EEEvSY_.uses_vcc, 0
	.set _ZN7rocprim17ROCPRIM_400000_NS6detail17trampoline_kernelINS0_13select_configILj256ELj13ELNS0_17block_load_methodE3ELS4_3ELS4_3ELNS0_20block_scan_algorithmE0ELj4294967295EEENS1_25partition_config_selectorILNS1_17partition_subalgoE3EjNS0_10empty_typeEbEEZZNS1_14partition_implILS8_3ELb0ES6_jNS0_17counting_iteratorIjlEEPS9_SE_NS0_5tupleIJPjSE_EEENSF_IJSE_SE_EEES9_SG_JZNS1_25segmented_radix_sort_implINS0_14default_configELb0EPKaPaPKlPlN2at6native12_GLOBAL__N_18offset_tEEE10hipError_tPvRmT1_PNSt15iterator_traitsISY_E10value_typeET2_T3_PNSZ_IS14_E10value_typeET4_jRbjT5_S1A_jjP12ihipStream_tbEUljE_EEESV_SW_SX_S14_S18_S1A_T6_T7_T9_mT8_S1C_bDpT10_ENKUlT_T0_E_clISt17integral_constantIbLb0EES1O_IbLb1EEEEDaS1K_S1L_EUlS1K_E_NS1_11comp_targetILNS1_3genE5ELNS1_11target_archE942ELNS1_3gpuE9ELNS1_3repE0EEENS1_30default_config_static_selectorELNS0_4arch9wavefront6targetE0EEEvSY_.uses_flat_scratch, 0
	.set _ZN7rocprim17ROCPRIM_400000_NS6detail17trampoline_kernelINS0_13select_configILj256ELj13ELNS0_17block_load_methodE3ELS4_3ELS4_3ELNS0_20block_scan_algorithmE0ELj4294967295EEENS1_25partition_config_selectorILNS1_17partition_subalgoE3EjNS0_10empty_typeEbEEZZNS1_14partition_implILS8_3ELb0ES6_jNS0_17counting_iteratorIjlEEPS9_SE_NS0_5tupleIJPjSE_EEENSF_IJSE_SE_EEES9_SG_JZNS1_25segmented_radix_sort_implINS0_14default_configELb0EPKaPaPKlPlN2at6native12_GLOBAL__N_18offset_tEEE10hipError_tPvRmT1_PNSt15iterator_traitsISY_E10value_typeET2_T3_PNSZ_IS14_E10value_typeET4_jRbjT5_S1A_jjP12ihipStream_tbEUljE_EEESV_SW_SX_S14_S18_S1A_T6_T7_T9_mT8_S1C_bDpT10_ENKUlT_T0_E_clISt17integral_constantIbLb0EES1O_IbLb1EEEEDaS1K_S1L_EUlS1K_E_NS1_11comp_targetILNS1_3genE5ELNS1_11target_archE942ELNS1_3gpuE9ELNS1_3repE0EEENS1_30default_config_static_selectorELNS0_4arch9wavefront6targetE0EEEvSY_.has_dyn_sized_stack, 0
	.set _ZN7rocprim17ROCPRIM_400000_NS6detail17trampoline_kernelINS0_13select_configILj256ELj13ELNS0_17block_load_methodE3ELS4_3ELS4_3ELNS0_20block_scan_algorithmE0ELj4294967295EEENS1_25partition_config_selectorILNS1_17partition_subalgoE3EjNS0_10empty_typeEbEEZZNS1_14partition_implILS8_3ELb0ES6_jNS0_17counting_iteratorIjlEEPS9_SE_NS0_5tupleIJPjSE_EEENSF_IJSE_SE_EEES9_SG_JZNS1_25segmented_radix_sort_implINS0_14default_configELb0EPKaPaPKlPlN2at6native12_GLOBAL__N_18offset_tEEE10hipError_tPvRmT1_PNSt15iterator_traitsISY_E10value_typeET2_T3_PNSZ_IS14_E10value_typeET4_jRbjT5_S1A_jjP12ihipStream_tbEUljE_EEESV_SW_SX_S14_S18_S1A_T6_T7_T9_mT8_S1C_bDpT10_ENKUlT_T0_E_clISt17integral_constantIbLb0EES1O_IbLb1EEEEDaS1K_S1L_EUlS1K_E_NS1_11comp_targetILNS1_3genE5ELNS1_11target_archE942ELNS1_3gpuE9ELNS1_3repE0EEENS1_30default_config_static_selectorELNS0_4arch9wavefront6targetE0EEEvSY_.has_recursion, 0
	.set _ZN7rocprim17ROCPRIM_400000_NS6detail17trampoline_kernelINS0_13select_configILj256ELj13ELNS0_17block_load_methodE3ELS4_3ELS4_3ELNS0_20block_scan_algorithmE0ELj4294967295EEENS1_25partition_config_selectorILNS1_17partition_subalgoE3EjNS0_10empty_typeEbEEZZNS1_14partition_implILS8_3ELb0ES6_jNS0_17counting_iteratorIjlEEPS9_SE_NS0_5tupleIJPjSE_EEENSF_IJSE_SE_EEES9_SG_JZNS1_25segmented_radix_sort_implINS0_14default_configELb0EPKaPaPKlPlN2at6native12_GLOBAL__N_18offset_tEEE10hipError_tPvRmT1_PNSt15iterator_traitsISY_E10value_typeET2_T3_PNSZ_IS14_E10value_typeET4_jRbjT5_S1A_jjP12ihipStream_tbEUljE_EEESV_SW_SX_S14_S18_S1A_T6_T7_T9_mT8_S1C_bDpT10_ENKUlT_T0_E_clISt17integral_constantIbLb0EES1O_IbLb1EEEEDaS1K_S1L_EUlS1K_E_NS1_11comp_targetILNS1_3genE5ELNS1_11target_archE942ELNS1_3gpuE9ELNS1_3repE0EEENS1_30default_config_static_selectorELNS0_4arch9wavefront6targetE0EEEvSY_.has_indirect_call, 0
	.section	.AMDGPU.csdata,"",@progbits
; Kernel info:
; codeLenInByte = 0
; TotalNumSgprs: 0
; NumVgprs: 0
; ScratchSize: 0
; MemoryBound: 0
; FloatMode: 240
; IeeeMode: 1
; LDSByteSize: 0 bytes/workgroup (compile time only)
; SGPRBlocks: 0
; VGPRBlocks: 0
; NumSGPRsForWavesPerEU: 1
; NumVGPRsForWavesPerEU: 1
; Occupancy: 16
; WaveLimiterHint : 0
; COMPUTE_PGM_RSRC2:SCRATCH_EN: 0
; COMPUTE_PGM_RSRC2:USER_SGPR: 2
; COMPUTE_PGM_RSRC2:TRAP_HANDLER: 0
; COMPUTE_PGM_RSRC2:TGID_X_EN: 1
; COMPUTE_PGM_RSRC2:TGID_Y_EN: 0
; COMPUTE_PGM_RSRC2:TGID_Z_EN: 0
; COMPUTE_PGM_RSRC2:TIDIG_COMP_CNT: 0
	.section	.text._ZN7rocprim17ROCPRIM_400000_NS6detail17trampoline_kernelINS0_13select_configILj256ELj13ELNS0_17block_load_methodE3ELS4_3ELS4_3ELNS0_20block_scan_algorithmE0ELj4294967295EEENS1_25partition_config_selectorILNS1_17partition_subalgoE3EjNS0_10empty_typeEbEEZZNS1_14partition_implILS8_3ELb0ES6_jNS0_17counting_iteratorIjlEEPS9_SE_NS0_5tupleIJPjSE_EEENSF_IJSE_SE_EEES9_SG_JZNS1_25segmented_radix_sort_implINS0_14default_configELb0EPKaPaPKlPlN2at6native12_GLOBAL__N_18offset_tEEE10hipError_tPvRmT1_PNSt15iterator_traitsISY_E10value_typeET2_T3_PNSZ_IS14_E10value_typeET4_jRbjT5_S1A_jjP12ihipStream_tbEUljE_EEESV_SW_SX_S14_S18_S1A_T6_T7_T9_mT8_S1C_bDpT10_ENKUlT_T0_E_clISt17integral_constantIbLb0EES1O_IbLb1EEEEDaS1K_S1L_EUlS1K_E_NS1_11comp_targetILNS1_3genE4ELNS1_11target_archE910ELNS1_3gpuE8ELNS1_3repE0EEENS1_30default_config_static_selectorELNS0_4arch9wavefront6targetE0EEEvSY_,"axG",@progbits,_ZN7rocprim17ROCPRIM_400000_NS6detail17trampoline_kernelINS0_13select_configILj256ELj13ELNS0_17block_load_methodE3ELS4_3ELS4_3ELNS0_20block_scan_algorithmE0ELj4294967295EEENS1_25partition_config_selectorILNS1_17partition_subalgoE3EjNS0_10empty_typeEbEEZZNS1_14partition_implILS8_3ELb0ES6_jNS0_17counting_iteratorIjlEEPS9_SE_NS0_5tupleIJPjSE_EEENSF_IJSE_SE_EEES9_SG_JZNS1_25segmented_radix_sort_implINS0_14default_configELb0EPKaPaPKlPlN2at6native12_GLOBAL__N_18offset_tEEE10hipError_tPvRmT1_PNSt15iterator_traitsISY_E10value_typeET2_T3_PNSZ_IS14_E10value_typeET4_jRbjT5_S1A_jjP12ihipStream_tbEUljE_EEESV_SW_SX_S14_S18_S1A_T6_T7_T9_mT8_S1C_bDpT10_ENKUlT_T0_E_clISt17integral_constantIbLb0EES1O_IbLb1EEEEDaS1K_S1L_EUlS1K_E_NS1_11comp_targetILNS1_3genE4ELNS1_11target_archE910ELNS1_3gpuE8ELNS1_3repE0EEENS1_30default_config_static_selectorELNS0_4arch9wavefront6targetE0EEEvSY_,comdat
	.globl	_ZN7rocprim17ROCPRIM_400000_NS6detail17trampoline_kernelINS0_13select_configILj256ELj13ELNS0_17block_load_methodE3ELS4_3ELS4_3ELNS0_20block_scan_algorithmE0ELj4294967295EEENS1_25partition_config_selectorILNS1_17partition_subalgoE3EjNS0_10empty_typeEbEEZZNS1_14partition_implILS8_3ELb0ES6_jNS0_17counting_iteratorIjlEEPS9_SE_NS0_5tupleIJPjSE_EEENSF_IJSE_SE_EEES9_SG_JZNS1_25segmented_radix_sort_implINS0_14default_configELb0EPKaPaPKlPlN2at6native12_GLOBAL__N_18offset_tEEE10hipError_tPvRmT1_PNSt15iterator_traitsISY_E10value_typeET2_T3_PNSZ_IS14_E10value_typeET4_jRbjT5_S1A_jjP12ihipStream_tbEUljE_EEESV_SW_SX_S14_S18_S1A_T6_T7_T9_mT8_S1C_bDpT10_ENKUlT_T0_E_clISt17integral_constantIbLb0EES1O_IbLb1EEEEDaS1K_S1L_EUlS1K_E_NS1_11comp_targetILNS1_3genE4ELNS1_11target_archE910ELNS1_3gpuE8ELNS1_3repE0EEENS1_30default_config_static_selectorELNS0_4arch9wavefront6targetE0EEEvSY_ ; -- Begin function _ZN7rocprim17ROCPRIM_400000_NS6detail17trampoline_kernelINS0_13select_configILj256ELj13ELNS0_17block_load_methodE3ELS4_3ELS4_3ELNS0_20block_scan_algorithmE0ELj4294967295EEENS1_25partition_config_selectorILNS1_17partition_subalgoE3EjNS0_10empty_typeEbEEZZNS1_14partition_implILS8_3ELb0ES6_jNS0_17counting_iteratorIjlEEPS9_SE_NS0_5tupleIJPjSE_EEENSF_IJSE_SE_EEES9_SG_JZNS1_25segmented_radix_sort_implINS0_14default_configELb0EPKaPaPKlPlN2at6native12_GLOBAL__N_18offset_tEEE10hipError_tPvRmT1_PNSt15iterator_traitsISY_E10value_typeET2_T3_PNSZ_IS14_E10value_typeET4_jRbjT5_S1A_jjP12ihipStream_tbEUljE_EEESV_SW_SX_S14_S18_S1A_T6_T7_T9_mT8_S1C_bDpT10_ENKUlT_T0_E_clISt17integral_constantIbLb0EES1O_IbLb1EEEEDaS1K_S1L_EUlS1K_E_NS1_11comp_targetILNS1_3genE4ELNS1_11target_archE910ELNS1_3gpuE8ELNS1_3repE0EEENS1_30default_config_static_selectorELNS0_4arch9wavefront6targetE0EEEvSY_
	.p2align	8
	.type	_ZN7rocprim17ROCPRIM_400000_NS6detail17trampoline_kernelINS0_13select_configILj256ELj13ELNS0_17block_load_methodE3ELS4_3ELS4_3ELNS0_20block_scan_algorithmE0ELj4294967295EEENS1_25partition_config_selectorILNS1_17partition_subalgoE3EjNS0_10empty_typeEbEEZZNS1_14partition_implILS8_3ELb0ES6_jNS0_17counting_iteratorIjlEEPS9_SE_NS0_5tupleIJPjSE_EEENSF_IJSE_SE_EEES9_SG_JZNS1_25segmented_radix_sort_implINS0_14default_configELb0EPKaPaPKlPlN2at6native12_GLOBAL__N_18offset_tEEE10hipError_tPvRmT1_PNSt15iterator_traitsISY_E10value_typeET2_T3_PNSZ_IS14_E10value_typeET4_jRbjT5_S1A_jjP12ihipStream_tbEUljE_EEESV_SW_SX_S14_S18_S1A_T6_T7_T9_mT8_S1C_bDpT10_ENKUlT_T0_E_clISt17integral_constantIbLb0EES1O_IbLb1EEEEDaS1K_S1L_EUlS1K_E_NS1_11comp_targetILNS1_3genE4ELNS1_11target_archE910ELNS1_3gpuE8ELNS1_3repE0EEENS1_30default_config_static_selectorELNS0_4arch9wavefront6targetE0EEEvSY_,@function
_ZN7rocprim17ROCPRIM_400000_NS6detail17trampoline_kernelINS0_13select_configILj256ELj13ELNS0_17block_load_methodE3ELS4_3ELS4_3ELNS0_20block_scan_algorithmE0ELj4294967295EEENS1_25partition_config_selectorILNS1_17partition_subalgoE3EjNS0_10empty_typeEbEEZZNS1_14partition_implILS8_3ELb0ES6_jNS0_17counting_iteratorIjlEEPS9_SE_NS0_5tupleIJPjSE_EEENSF_IJSE_SE_EEES9_SG_JZNS1_25segmented_radix_sort_implINS0_14default_configELb0EPKaPaPKlPlN2at6native12_GLOBAL__N_18offset_tEEE10hipError_tPvRmT1_PNSt15iterator_traitsISY_E10value_typeET2_T3_PNSZ_IS14_E10value_typeET4_jRbjT5_S1A_jjP12ihipStream_tbEUljE_EEESV_SW_SX_S14_S18_S1A_T6_T7_T9_mT8_S1C_bDpT10_ENKUlT_T0_E_clISt17integral_constantIbLb0EES1O_IbLb1EEEEDaS1K_S1L_EUlS1K_E_NS1_11comp_targetILNS1_3genE4ELNS1_11target_archE910ELNS1_3gpuE8ELNS1_3repE0EEENS1_30default_config_static_selectorELNS0_4arch9wavefront6targetE0EEEvSY_: ; @_ZN7rocprim17ROCPRIM_400000_NS6detail17trampoline_kernelINS0_13select_configILj256ELj13ELNS0_17block_load_methodE3ELS4_3ELS4_3ELNS0_20block_scan_algorithmE0ELj4294967295EEENS1_25partition_config_selectorILNS1_17partition_subalgoE3EjNS0_10empty_typeEbEEZZNS1_14partition_implILS8_3ELb0ES6_jNS0_17counting_iteratorIjlEEPS9_SE_NS0_5tupleIJPjSE_EEENSF_IJSE_SE_EEES9_SG_JZNS1_25segmented_radix_sort_implINS0_14default_configELb0EPKaPaPKlPlN2at6native12_GLOBAL__N_18offset_tEEE10hipError_tPvRmT1_PNSt15iterator_traitsISY_E10value_typeET2_T3_PNSZ_IS14_E10value_typeET4_jRbjT5_S1A_jjP12ihipStream_tbEUljE_EEESV_SW_SX_S14_S18_S1A_T6_T7_T9_mT8_S1C_bDpT10_ENKUlT_T0_E_clISt17integral_constantIbLb0EES1O_IbLb1EEEEDaS1K_S1L_EUlS1K_E_NS1_11comp_targetILNS1_3genE4ELNS1_11target_archE910ELNS1_3gpuE8ELNS1_3repE0EEENS1_30default_config_static_selectorELNS0_4arch9wavefront6targetE0EEEvSY_
; %bb.0:
	.section	.rodata,"a",@progbits
	.p2align	6, 0x0
	.amdhsa_kernel _ZN7rocprim17ROCPRIM_400000_NS6detail17trampoline_kernelINS0_13select_configILj256ELj13ELNS0_17block_load_methodE3ELS4_3ELS4_3ELNS0_20block_scan_algorithmE0ELj4294967295EEENS1_25partition_config_selectorILNS1_17partition_subalgoE3EjNS0_10empty_typeEbEEZZNS1_14partition_implILS8_3ELb0ES6_jNS0_17counting_iteratorIjlEEPS9_SE_NS0_5tupleIJPjSE_EEENSF_IJSE_SE_EEES9_SG_JZNS1_25segmented_radix_sort_implINS0_14default_configELb0EPKaPaPKlPlN2at6native12_GLOBAL__N_18offset_tEEE10hipError_tPvRmT1_PNSt15iterator_traitsISY_E10value_typeET2_T3_PNSZ_IS14_E10value_typeET4_jRbjT5_S1A_jjP12ihipStream_tbEUljE_EEESV_SW_SX_S14_S18_S1A_T6_T7_T9_mT8_S1C_bDpT10_ENKUlT_T0_E_clISt17integral_constantIbLb0EES1O_IbLb1EEEEDaS1K_S1L_EUlS1K_E_NS1_11comp_targetILNS1_3genE4ELNS1_11target_archE910ELNS1_3gpuE8ELNS1_3repE0EEENS1_30default_config_static_selectorELNS0_4arch9wavefront6targetE0EEEvSY_
		.amdhsa_group_segment_fixed_size 0
		.amdhsa_private_segment_fixed_size 0
		.amdhsa_kernarg_size 152
		.amdhsa_user_sgpr_count 2
		.amdhsa_user_sgpr_dispatch_ptr 0
		.amdhsa_user_sgpr_queue_ptr 0
		.amdhsa_user_sgpr_kernarg_segment_ptr 1
		.amdhsa_user_sgpr_dispatch_id 0
		.amdhsa_user_sgpr_private_segment_size 0
		.amdhsa_wavefront_size32 1
		.amdhsa_uses_dynamic_stack 0
		.amdhsa_enable_private_segment 0
		.amdhsa_system_sgpr_workgroup_id_x 1
		.amdhsa_system_sgpr_workgroup_id_y 0
		.amdhsa_system_sgpr_workgroup_id_z 0
		.amdhsa_system_sgpr_workgroup_info 0
		.amdhsa_system_vgpr_workitem_id 0
		.amdhsa_next_free_vgpr 1
		.amdhsa_next_free_sgpr 1
		.amdhsa_reserve_vcc 0
		.amdhsa_float_round_mode_32 0
		.amdhsa_float_round_mode_16_64 0
		.amdhsa_float_denorm_mode_32 3
		.amdhsa_float_denorm_mode_16_64 3
		.amdhsa_fp16_overflow 0
		.amdhsa_workgroup_processor_mode 1
		.amdhsa_memory_ordered 1
		.amdhsa_forward_progress 1
		.amdhsa_inst_pref_size 0
		.amdhsa_round_robin_scheduling 0
		.amdhsa_exception_fp_ieee_invalid_op 0
		.amdhsa_exception_fp_denorm_src 0
		.amdhsa_exception_fp_ieee_div_zero 0
		.amdhsa_exception_fp_ieee_overflow 0
		.amdhsa_exception_fp_ieee_underflow 0
		.amdhsa_exception_fp_ieee_inexact 0
		.amdhsa_exception_int_div_zero 0
	.end_amdhsa_kernel
	.section	.text._ZN7rocprim17ROCPRIM_400000_NS6detail17trampoline_kernelINS0_13select_configILj256ELj13ELNS0_17block_load_methodE3ELS4_3ELS4_3ELNS0_20block_scan_algorithmE0ELj4294967295EEENS1_25partition_config_selectorILNS1_17partition_subalgoE3EjNS0_10empty_typeEbEEZZNS1_14partition_implILS8_3ELb0ES6_jNS0_17counting_iteratorIjlEEPS9_SE_NS0_5tupleIJPjSE_EEENSF_IJSE_SE_EEES9_SG_JZNS1_25segmented_radix_sort_implINS0_14default_configELb0EPKaPaPKlPlN2at6native12_GLOBAL__N_18offset_tEEE10hipError_tPvRmT1_PNSt15iterator_traitsISY_E10value_typeET2_T3_PNSZ_IS14_E10value_typeET4_jRbjT5_S1A_jjP12ihipStream_tbEUljE_EEESV_SW_SX_S14_S18_S1A_T6_T7_T9_mT8_S1C_bDpT10_ENKUlT_T0_E_clISt17integral_constantIbLb0EES1O_IbLb1EEEEDaS1K_S1L_EUlS1K_E_NS1_11comp_targetILNS1_3genE4ELNS1_11target_archE910ELNS1_3gpuE8ELNS1_3repE0EEENS1_30default_config_static_selectorELNS0_4arch9wavefront6targetE0EEEvSY_,"axG",@progbits,_ZN7rocprim17ROCPRIM_400000_NS6detail17trampoline_kernelINS0_13select_configILj256ELj13ELNS0_17block_load_methodE3ELS4_3ELS4_3ELNS0_20block_scan_algorithmE0ELj4294967295EEENS1_25partition_config_selectorILNS1_17partition_subalgoE3EjNS0_10empty_typeEbEEZZNS1_14partition_implILS8_3ELb0ES6_jNS0_17counting_iteratorIjlEEPS9_SE_NS0_5tupleIJPjSE_EEENSF_IJSE_SE_EEES9_SG_JZNS1_25segmented_radix_sort_implINS0_14default_configELb0EPKaPaPKlPlN2at6native12_GLOBAL__N_18offset_tEEE10hipError_tPvRmT1_PNSt15iterator_traitsISY_E10value_typeET2_T3_PNSZ_IS14_E10value_typeET4_jRbjT5_S1A_jjP12ihipStream_tbEUljE_EEESV_SW_SX_S14_S18_S1A_T6_T7_T9_mT8_S1C_bDpT10_ENKUlT_T0_E_clISt17integral_constantIbLb0EES1O_IbLb1EEEEDaS1K_S1L_EUlS1K_E_NS1_11comp_targetILNS1_3genE4ELNS1_11target_archE910ELNS1_3gpuE8ELNS1_3repE0EEENS1_30default_config_static_selectorELNS0_4arch9wavefront6targetE0EEEvSY_,comdat
.Lfunc_end387:
	.size	_ZN7rocprim17ROCPRIM_400000_NS6detail17trampoline_kernelINS0_13select_configILj256ELj13ELNS0_17block_load_methodE3ELS4_3ELS4_3ELNS0_20block_scan_algorithmE0ELj4294967295EEENS1_25partition_config_selectorILNS1_17partition_subalgoE3EjNS0_10empty_typeEbEEZZNS1_14partition_implILS8_3ELb0ES6_jNS0_17counting_iteratorIjlEEPS9_SE_NS0_5tupleIJPjSE_EEENSF_IJSE_SE_EEES9_SG_JZNS1_25segmented_radix_sort_implINS0_14default_configELb0EPKaPaPKlPlN2at6native12_GLOBAL__N_18offset_tEEE10hipError_tPvRmT1_PNSt15iterator_traitsISY_E10value_typeET2_T3_PNSZ_IS14_E10value_typeET4_jRbjT5_S1A_jjP12ihipStream_tbEUljE_EEESV_SW_SX_S14_S18_S1A_T6_T7_T9_mT8_S1C_bDpT10_ENKUlT_T0_E_clISt17integral_constantIbLb0EES1O_IbLb1EEEEDaS1K_S1L_EUlS1K_E_NS1_11comp_targetILNS1_3genE4ELNS1_11target_archE910ELNS1_3gpuE8ELNS1_3repE0EEENS1_30default_config_static_selectorELNS0_4arch9wavefront6targetE0EEEvSY_, .Lfunc_end387-_ZN7rocprim17ROCPRIM_400000_NS6detail17trampoline_kernelINS0_13select_configILj256ELj13ELNS0_17block_load_methodE3ELS4_3ELS4_3ELNS0_20block_scan_algorithmE0ELj4294967295EEENS1_25partition_config_selectorILNS1_17partition_subalgoE3EjNS0_10empty_typeEbEEZZNS1_14partition_implILS8_3ELb0ES6_jNS0_17counting_iteratorIjlEEPS9_SE_NS0_5tupleIJPjSE_EEENSF_IJSE_SE_EEES9_SG_JZNS1_25segmented_radix_sort_implINS0_14default_configELb0EPKaPaPKlPlN2at6native12_GLOBAL__N_18offset_tEEE10hipError_tPvRmT1_PNSt15iterator_traitsISY_E10value_typeET2_T3_PNSZ_IS14_E10value_typeET4_jRbjT5_S1A_jjP12ihipStream_tbEUljE_EEESV_SW_SX_S14_S18_S1A_T6_T7_T9_mT8_S1C_bDpT10_ENKUlT_T0_E_clISt17integral_constantIbLb0EES1O_IbLb1EEEEDaS1K_S1L_EUlS1K_E_NS1_11comp_targetILNS1_3genE4ELNS1_11target_archE910ELNS1_3gpuE8ELNS1_3repE0EEENS1_30default_config_static_selectorELNS0_4arch9wavefront6targetE0EEEvSY_
                                        ; -- End function
	.set _ZN7rocprim17ROCPRIM_400000_NS6detail17trampoline_kernelINS0_13select_configILj256ELj13ELNS0_17block_load_methodE3ELS4_3ELS4_3ELNS0_20block_scan_algorithmE0ELj4294967295EEENS1_25partition_config_selectorILNS1_17partition_subalgoE3EjNS0_10empty_typeEbEEZZNS1_14partition_implILS8_3ELb0ES6_jNS0_17counting_iteratorIjlEEPS9_SE_NS0_5tupleIJPjSE_EEENSF_IJSE_SE_EEES9_SG_JZNS1_25segmented_radix_sort_implINS0_14default_configELb0EPKaPaPKlPlN2at6native12_GLOBAL__N_18offset_tEEE10hipError_tPvRmT1_PNSt15iterator_traitsISY_E10value_typeET2_T3_PNSZ_IS14_E10value_typeET4_jRbjT5_S1A_jjP12ihipStream_tbEUljE_EEESV_SW_SX_S14_S18_S1A_T6_T7_T9_mT8_S1C_bDpT10_ENKUlT_T0_E_clISt17integral_constantIbLb0EES1O_IbLb1EEEEDaS1K_S1L_EUlS1K_E_NS1_11comp_targetILNS1_3genE4ELNS1_11target_archE910ELNS1_3gpuE8ELNS1_3repE0EEENS1_30default_config_static_selectorELNS0_4arch9wavefront6targetE0EEEvSY_.num_vgpr, 0
	.set _ZN7rocprim17ROCPRIM_400000_NS6detail17trampoline_kernelINS0_13select_configILj256ELj13ELNS0_17block_load_methodE3ELS4_3ELS4_3ELNS0_20block_scan_algorithmE0ELj4294967295EEENS1_25partition_config_selectorILNS1_17partition_subalgoE3EjNS0_10empty_typeEbEEZZNS1_14partition_implILS8_3ELb0ES6_jNS0_17counting_iteratorIjlEEPS9_SE_NS0_5tupleIJPjSE_EEENSF_IJSE_SE_EEES9_SG_JZNS1_25segmented_radix_sort_implINS0_14default_configELb0EPKaPaPKlPlN2at6native12_GLOBAL__N_18offset_tEEE10hipError_tPvRmT1_PNSt15iterator_traitsISY_E10value_typeET2_T3_PNSZ_IS14_E10value_typeET4_jRbjT5_S1A_jjP12ihipStream_tbEUljE_EEESV_SW_SX_S14_S18_S1A_T6_T7_T9_mT8_S1C_bDpT10_ENKUlT_T0_E_clISt17integral_constantIbLb0EES1O_IbLb1EEEEDaS1K_S1L_EUlS1K_E_NS1_11comp_targetILNS1_3genE4ELNS1_11target_archE910ELNS1_3gpuE8ELNS1_3repE0EEENS1_30default_config_static_selectorELNS0_4arch9wavefront6targetE0EEEvSY_.num_agpr, 0
	.set _ZN7rocprim17ROCPRIM_400000_NS6detail17trampoline_kernelINS0_13select_configILj256ELj13ELNS0_17block_load_methodE3ELS4_3ELS4_3ELNS0_20block_scan_algorithmE0ELj4294967295EEENS1_25partition_config_selectorILNS1_17partition_subalgoE3EjNS0_10empty_typeEbEEZZNS1_14partition_implILS8_3ELb0ES6_jNS0_17counting_iteratorIjlEEPS9_SE_NS0_5tupleIJPjSE_EEENSF_IJSE_SE_EEES9_SG_JZNS1_25segmented_radix_sort_implINS0_14default_configELb0EPKaPaPKlPlN2at6native12_GLOBAL__N_18offset_tEEE10hipError_tPvRmT1_PNSt15iterator_traitsISY_E10value_typeET2_T3_PNSZ_IS14_E10value_typeET4_jRbjT5_S1A_jjP12ihipStream_tbEUljE_EEESV_SW_SX_S14_S18_S1A_T6_T7_T9_mT8_S1C_bDpT10_ENKUlT_T0_E_clISt17integral_constantIbLb0EES1O_IbLb1EEEEDaS1K_S1L_EUlS1K_E_NS1_11comp_targetILNS1_3genE4ELNS1_11target_archE910ELNS1_3gpuE8ELNS1_3repE0EEENS1_30default_config_static_selectorELNS0_4arch9wavefront6targetE0EEEvSY_.numbered_sgpr, 0
	.set _ZN7rocprim17ROCPRIM_400000_NS6detail17trampoline_kernelINS0_13select_configILj256ELj13ELNS0_17block_load_methodE3ELS4_3ELS4_3ELNS0_20block_scan_algorithmE0ELj4294967295EEENS1_25partition_config_selectorILNS1_17partition_subalgoE3EjNS0_10empty_typeEbEEZZNS1_14partition_implILS8_3ELb0ES6_jNS0_17counting_iteratorIjlEEPS9_SE_NS0_5tupleIJPjSE_EEENSF_IJSE_SE_EEES9_SG_JZNS1_25segmented_radix_sort_implINS0_14default_configELb0EPKaPaPKlPlN2at6native12_GLOBAL__N_18offset_tEEE10hipError_tPvRmT1_PNSt15iterator_traitsISY_E10value_typeET2_T3_PNSZ_IS14_E10value_typeET4_jRbjT5_S1A_jjP12ihipStream_tbEUljE_EEESV_SW_SX_S14_S18_S1A_T6_T7_T9_mT8_S1C_bDpT10_ENKUlT_T0_E_clISt17integral_constantIbLb0EES1O_IbLb1EEEEDaS1K_S1L_EUlS1K_E_NS1_11comp_targetILNS1_3genE4ELNS1_11target_archE910ELNS1_3gpuE8ELNS1_3repE0EEENS1_30default_config_static_selectorELNS0_4arch9wavefront6targetE0EEEvSY_.num_named_barrier, 0
	.set _ZN7rocprim17ROCPRIM_400000_NS6detail17trampoline_kernelINS0_13select_configILj256ELj13ELNS0_17block_load_methodE3ELS4_3ELS4_3ELNS0_20block_scan_algorithmE0ELj4294967295EEENS1_25partition_config_selectorILNS1_17partition_subalgoE3EjNS0_10empty_typeEbEEZZNS1_14partition_implILS8_3ELb0ES6_jNS0_17counting_iteratorIjlEEPS9_SE_NS0_5tupleIJPjSE_EEENSF_IJSE_SE_EEES9_SG_JZNS1_25segmented_radix_sort_implINS0_14default_configELb0EPKaPaPKlPlN2at6native12_GLOBAL__N_18offset_tEEE10hipError_tPvRmT1_PNSt15iterator_traitsISY_E10value_typeET2_T3_PNSZ_IS14_E10value_typeET4_jRbjT5_S1A_jjP12ihipStream_tbEUljE_EEESV_SW_SX_S14_S18_S1A_T6_T7_T9_mT8_S1C_bDpT10_ENKUlT_T0_E_clISt17integral_constantIbLb0EES1O_IbLb1EEEEDaS1K_S1L_EUlS1K_E_NS1_11comp_targetILNS1_3genE4ELNS1_11target_archE910ELNS1_3gpuE8ELNS1_3repE0EEENS1_30default_config_static_selectorELNS0_4arch9wavefront6targetE0EEEvSY_.private_seg_size, 0
	.set _ZN7rocprim17ROCPRIM_400000_NS6detail17trampoline_kernelINS0_13select_configILj256ELj13ELNS0_17block_load_methodE3ELS4_3ELS4_3ELNS0_20block_scan_algorithmE0ELj4294967295EEENS1_25partition_config_selectorILNS1_17partition_subalgoE3EjNS0_10empty_typeEbEEZZNS1_14partition_implILS8_3ELb0ES6_jNS0_17counting_iteratorIjlEEPS9_SE_NS0_5tupleIJPjSE_EEENSF_IJSE_SE_EEES9_SG_JZNS1_25segmented_radix_sort_implINS0_14default_configELb0EPKaPaPKlPlN2at6native12_GLOBAL__N_18offset_tEEE10hipError_tPvRmT1_PNSt15iterator_traitsISY_E10value_typeET2_T3_PNSZ_IS14_E10value_typeET4_jRbjT5_S1A_jjP12ihipStream_tbEUljE_EEESV_SW_SX_S14_S18_S1A_T6_T7_T9_mT8_S1C_bDpT10_ENKUlT_T0_E_clISt17integral_constantIbLb0EES1O_IbLb1EEEEDaS1K_S1L_EUlS1K_E_NS1_11comp_targetILNS1_3genE4ELNS1_11target_archE910ELNS1_3gpuE8ELNS1_3repE0EEENS1_30default_config_static_selectorELNS0_4arch9wavefront6targetE0EEEvSY_.uses_vcc, 0
	.set _ZN7rocprim17ROCPRIM_400000_NS6detail17trampoline_kernelINS0_13select_configILj256ELj13ELNS0_17block_load_methodE3ELS4_3ELS4_3ELNS0_20block_scan_algorithmE0ELj4294967295EEENS1_25partition_config_selectorILNS1_17partition_subalgoE3EjNS0_10empty_typeEbEEZZNS1_14partition_implILS8_3ELb0ES6_jNS0_17counting_iteratorIjlEEPS9_SE_NS0_5tupleIJPjSE_EEENSF_IJSE_SE_EEES9_SG_JZNS1_25segmented_radix_sort_implINS0_14default_configELb0EPKaPaPKlPlN2at6native12_GLOBAL__N_18offset_tEEE10hipError_tPvRmT1_PNSt15iterator_traitsISY_E10value_typeET2_T3_PNSZ_IS14_E10value_typeET4_jRbjT5_S1A_jjP12ihipStream_tbEUljE_EEESV_SW_SX_S14_S18_S1A_T6_T7_T9_mT8_S1C_bDpT10_ENKUlT_T0_E_clISt17integral_constantIbLb0EES1O_IbLb1EEEEDaS1K_S1L_EUlS1K_E_NS1_11comp_targetILNS1_3genE4ELNS1_11target_archE910ELNS1_3gpuE8ELNS1_3repE0EEENS1_30default_config_static_selectorELNS0_4arch9wavefront6targetE0EEEvSY_.uses_flat_scratch, 0
	.set _ZN7rocprim17ROCPRIM_400000_NS6detail17trampoline_kernelINS0_13select_configILj256ELj13ELNS0_17block_load_methodE3ELS4_3ELS4_3ELNS0_20block_scan_algorithmE0ELj4294967295EEENS1_25partition_config_selectorILNS1_17partition_subalgoE3EjNS0_10empty_typeEbEEZZNS1_14partition_implILS8_3ELb0ES6_jNS0_17counting_iteratorIjlEEPS9_SE_NS0_5tupleIJPjSE_EEENSF_IJSE_SE_EEES9_SG_JZNS1_25segmented_radix_sort_implINS0_14default_configELb0EPKaPaPKlPlN2at6native12_GLOBAL__N_18offset_tEEE10hipError_tPvRmT1_PNSt15iterator_traitsISY_E10value_typeET2_T3_PNSZ_IS14_E10value_typeET4_jRbjT5_S1A_jjP12ihipStream_tbEUljE_EEESV_SW_SX_S14_S18_S1A_T6_T7_T9_mT8_S1C_bDpT10_ENKUlT_T0_E_clISt17integral_constantIbLb0EES1O_IbLb1EEEEDaS1K_S1L_EUlS1K_E_NS1_11comp_targetILNS1_3genE4ELNS1_11target_archE910ELNS1_3gpuE8ELNS1_3repE0EEENS1_30default_config_static_selectorELNS0_4arch9wavefront6targetE0EEEvSY_.has_dyn_sized_stack, 0
	.set _ZN7rocprim17ROCPRIM_400000_NS6detail17trampoline_kernelINS0_13select_configILj256ELj13ELNS0_17block_load_methodE3ELS4_3ELS4_3ELNS0_20block_scan_algorithmE0ELj4294967295EEENS1_25partition_config_selectorILNS1_17partition_subalgoE3EjNS0_10empty_typeEbEEZZNS1_14partition_implILS8_3ELb0ES6_jNS0_17counting_iteratorIjlEEPS9_SE_NS0_5tupleIJPjSE_EEENSF_IJSE_SE_EEES9_SG_JZNS1_25segmented_radix_sort_implINS0_14default_configELb0EPKaPaPKlPlN2at6native12_GLOBAL__N_18offset_tEEE10hipError_tPvRmT1_PNSt15iterator_traitsISY_E10value_typeET2_T3_PNSZ_IS14_E10value_typeET4_jRbjT5_S1A_jjP12ihipStream_tbEUljE_EEESV_SW_SX_S14_S18_S1A_T6_T7_T9_mT8_S1C_bDpT10_ENKUlT_T0_E_clISt17integral_constantIbLb0EES1O_IbLb1EEEEDaS1K_S1L_EUlS1K_E_NS1_11comp_targetILNS1_3genE4ELNS1_11target_archE910ELNS1_3gpuE8ELNS1_3repE0EEENS1_30default_config_static_selectorELNS0_4arch9wavefront6targetE0EEEvSY_.has_recursion, 0
	.set _ZN7rocprim17ROCPRIM_400000_NS6detail17trampoline_kernelINS0_13select_configILj256ELj13ELNS0_17block_load_methodE3ELS4_3ELS4_3ELNS0_20block_scan_algorithmE0ELj4294967295EEENS1_25partition_config_selectorILNS1_17partition_subalgoE3EjNS0_10empty_typeEbEEZZNS1_14partition_implILS8_3ELb0ES6_jNS0_17counting_iteratorIjlEEPS9_SE_NS0_5tupleIJPjSE_EEENSF_IJSE_SE_EEES9_SG_JZNS1_25segmented_radix_sort_implINS0_14default_configELb0EPKaPaPKlPlN2at6native12_GLOBAL__N_18offset_tEEE10hipError_tPvRmT1_PNSt15iterator_traitsISY_E10value_typeET2_T3_PNSZ_IS14_E10value_typeET4_jRbjT5_S1A_jjP12ihipStream_tbEUljE_EEESV_SW_SX_S14_S18_S1A_T6_T7_T9_mT8_S1C_bDpT10_ENKUlT_T0_E_clISt17integral_constantIbLb0EES1O_IbLb1EEEEDaS1K_S1L_EUlS1K_E_NS1_11comp_targetILNS1_3genE4ELNS1_11target_archE910ELNS1_3gpuE8ELNS1_3repE0EEENS1_30default_config_static_selectorELNS0_4arch9wavefront6targetE0EEEvSY_.has_indirect_call, 0
	.section	.AMDGPU.csdata,"",@progbits
; Kernel info:
; codeLenInByte = 0
; TotalNumSgprs: 0
; NumVgprs: 0
; ScratchSize: 0
; MemoryBound: 0
; FloatMode: 240
; IeeeMode: 1
; LDSByteSize: 0 bytes/workgroup (compile time only)
; SGPRBlocks: 0
; VGPRBlocks: 0
; NumSGPRsForWavesPerEU: 1
; NumVGPRsForWavesPerEU: 1
; Occupancy: 16
; WaveLimiterHint : 0
; COMPUTE_PGM_RSRC2:SCRATCH_EN: 0
; COMPUTE_PGM_RSRC2:USER_SGPR: 2
; COMPUTE_PGM_RSRC2:TRAP_HANDLER: 0
; COMPUTE_PGM_RSRC2:TGID_X_EN: 1
; COMPUTE_PGM_RSRC2:TGID_Y_EN: 0
; COMPUTE_PGM_RSRC2:TGID_Z_EN: 0
; COMPUTE_PGM_RSRC2:TIDIG_COMP_CNT: 0
	.section	.text._ZN7rocprim17ROCPRIM_400000_NS6detail17trampoline_kernelINS0_13select_configILj256ELj13ELNS0_17block_load_methodE3ELS4_3ELS4_3ELNS0_20block_scan_algorithmE0ELj4294967295EEENS1_25partition_config_selectorILNS1_17partition_subalgoE3EjNS0_10empty_typeEbEEZZNS1_14partition_implILS8_3ELb0ES6_jNS0_17counting_iteratorIjlEEPS9_SE_NS0_5tupleIJPjSE_EEENSF_IJSE_SE_EEES9_SG_JZNS1_25segmented_radix_sort_implINS0_14default_configELb0EPKaPaPKlPlN2at6native12_GLOBAL__N_18offset_tEEE10hipError_tPvRmT1_PNSt15iterator_traitsISY_E10value_typeET2_T3_PNSZ_IS14_E10value_typeET4_jRbjT5_S1A_jjP12ihipStream_tbEUljE_EEESV_SW_SX_S14_S18_S1A_T6_T7_T9_mT8_S1C_bDpT10_ENKUlT_T0_E_clISt17integral_constantIbLb0EES1O_IbLb1EEEEDaS1K_S1L_EUlS1K_E_NS1_11comp_targetILNS1_3genE3ELNS1_11target_archE908ELNS1_3gpuE7ELNS1_3repE0EEENS1_30default_config_static_selectorELNS0_4arch9wavefront6targetE0EEEvSY_,"axG",@progbits,_ZN7rocprim17ROCPRIM_400000_NS6detail17trampoline_kernelINS0_13select_configILj256ELj13ELNS0_17block_load_methodE3ELS4_3ELS4_3ELNS0_20block_scan_algorithmE0ELj4294967295EEENS1_25partition_config_selectorILNS1_17partition_subalgoE3EjNS0_10empty_typeEbEEZZNS1_14partition_implILS8_3ELb0ES6_jNS0_17counting_iteratorIjlEEPS9_SE_NS0_5tupleIJPjSE_EEENSF_IJSE_SE_EEES9_SG_JZNS1_25segmented_radix_sort_implINS0_14default_configELb0EPKaPaPKlPlN2at6native12_GLOBAL__N_18offset_tEEE10hipError_tPvRmT1_PNSt15iterator_traitsISY_E10value_typeET2_T3_PNSZ_IS14_E10value_typeET4_jRbjT5_S1A_jjP12ihipStream_tbEUljE_EEESV_SW_SX_S14_S18_S1A_T6_T7_T9_mT8_S1C_bDpT10_ENKUlT_T0_E_clISt17integral_constantIbLb0EES1O_IbLb1EEEEDaS1K_S1L_EUlS1K_E_NS1_11comp_targetILNS1_3genE3ELNS1_11target_archE908ELNS1_3gpuE7ELNS1_3repE0EEENS1_30default_config_static_selectorELNS0_4arch9wavefront6targetE0EEEvSY_,comdat
	.globl	_ZN7rocprim17ROCPRIM_400000_NS6detail17trampoline_kernelINS0_13select_configILj256ELj13ELNS0_17block_load_methodE3ELS4_3ELS4_3ELNS0_20block_scan_algorithmE0ELj4294967295EEENS1_25partition_config_selectorILNS1_17partition_subalgoE3EjNS0_10empty_typeEbEEZZNS1_14partition_implILS8_3ELb0ES6_jNS0_17counting_iteratorIjlEEPS9_SE_NS0_5tupleIJPjSE_EEENSF_IJSE_SE_EEES9_SG_JZNS1_25segmented_radix_sort_implINS0_14default_configELb0EPKaPaPKlPlN2at6native12_GLOBAL__N_18offset_tEEE10hipError_tPvRmT1_PNSt15iterator_traitsISY_E10value_typeET2_T3_PNSZ_IS14_E10value_typeET4_jRbjT5_S1A_jjP12ihipStream_tbEUljE_EEESV_SW_SX_S14_S18_S1A_T6_T7_T9_mT8_S1C_bDpT10_ENKUlT_T0_E_clISt17integral_constantIbLb0EES1O_IbLb1EEEEDaS1K_S1L_EUlS1K_E_NS1_11comp_targetILNS1_3genE3ELNS1_11target_archE908ELNS1_3gpuE7ELNS1_3repE0EEENS1_30default_config_static_selectorELNS0_4arch9wavefront6targetE0EEEvSY_ ; -- Begin function _ZN7rocprim17ROCPRIM_400000_NS6detail17trampoline_kernelINS0_13select_configILj256ELj13ELNS0_17block_load_methodE3ELS4_3ELS4_3ELNS0_20block_scan_algorithmE0ELj4294967295EEENS1_25partition_config_selectorILNS1_17partition_subalgoE3EjNS0_10empty_typeEbEEZZNS1_14partition_implILS8_3ELb0ES6_jNS0_17counting_iteratorIjlEEPS9_SE_NS0_5tupleIJPjSE_EEENSF_IJSE_SE_EEES9_SG_JZNS1_25segmented_radix_sort_implINS0_14default_configELb0EPKaPaPKlPlN2at6native12_GLOBAL__N_18offset_tEEE10hipError_tPvRmT1_PNSt15iterator_traitsISY_E10value_typeET2_T3_PNSZ_IS14_E10value_typeET4_jRbjT5_S1A_jjP12ihipStream_tbEUljE_EEESV_SW_SX_S14_S18_S1A_T6_T7_T9_mT8_S1C_bDpT10_ENKUlT_T0_E_clISt17integral_constantIbLb0EES1O_IbLb1EEEEDaS1K_S1L_EUlS1K_E_NS1_11comp_targetILNS1_3genE3ELNS1_11target_archE908ELNS1_3gpuE7ELNS1_3repE0EEENS1_30default_config_static_selectorELNS0_4arch9wavefront6targetE0EEEvSY_
	.p2align	8
	.type	_ZN7rocprim17ROCPRIM_400000_NS6detail17trampoline_kernelINS0_13select_configILj256ELj13ELNS0_17block_load_methodE3ELS4_3ELS4_3ELNS0_20block_scan_algorithmE0ELj4294967295EEENS1_25partition_config_selectorILNS1_17partition_subalgoE3EjNS0_10empty_typeEbEEZZNS1_14partition_implILS8_3ELb0ES6_jNS0_17counting_iteratorIjlEEPS9_SE_NS0_5tupleIJPjSE_EEENSF_IJSE_SE_EEES9_SG_JZNS1_25segmented_radix_sort_implINS0_14default_configELb0EPKaPaPKlPlN2at6native12_GLOBAL__N_18offset_tEEE10hipError_tPvRmT1_PNSt15iterator_traitsISY_E10value_typeET2_T3_PNSZ_IS14_E10value_typeET4_jRbjT5_S1A_jjP12ihipStream_tbEUljE_EEESV_SW_SX_S14_S18_S1A_T6_T7_T9_mT8_S1C_bDpT10_ENKUlT_T0_E_clISt17integral_constantIbLb0EES1O_IbLb1EEEEDaS1K_S1L_EUlS1K_E_NS1_11comp_targetILNS1_3genE3ELNS1_11target_archE908ELNS1_3gpuE7ELNS1_3repE0EEENS1_30default_config_static_selectorELNS0_4arch9wavefront6targetE0EEEvSY_,@function
_ZN7rocprim17ROCPRIM_400000_NS6detail17trampoline_kernelINS0_13select_configILj256ELj13ELNS0_17block_load_methodE3ELS4_3ELS4_3ELNS0_20block_scan_algorithmE0ELj4294967295EEENS1_25partition_config_selectorILNS1_17partition_subalgoE3EjNS0_10empty_typeEbEEZZNS1_14partition_implILS8_3ELb0ES6_jNS0_17counting_iteratorIjlEEPS9_SE_NS0_5tupleIJPjSE_EEENSF_IJSE_SE_EEES9_SG_JZNS1_25segmented_radix_sort_implINS0_14default_configELb0EPKaPaPKlPlN2at6native12_GLOBAL__N_18offset_tEEE10hipError_tPvRmT1_PNSt15iterator_traitsISY_E10value_typeET2_T3_PNSZ_IS14_E10value_typeET4_jRbjT5_S1A_jjP12ihipStream_tbEUljE_EEESV_SW_SX_S14_S18_S1A_T6_T7_T9_mT8_S1C_bDpT10_ENKUlT_T0_E_clISt17integral_constantIbLb0EES1O_IbLb1EEEEDaS1K_S1L_EUlS1K_E_NS1_11comp_targetILNS1_3genE3ELNS1_11target_archE908ELNS1_3gpuE7ELNS1_3repE0EEENS1_30default_config_static_selectorELNS0_4arch9wavefront6targetE0EEEvSY_: ; @_ZN7rocprim17ROCPRIM_400000_NS6detail17trampoline_kernelINS0_13select_configILj256ELj13ELNS0_17block_load_methodE3ELS4_3ELS4_3ELNS0_20block_scan_algorithmE0ELj4294967295EEENS1_25partition_config_selectorILNS1_17partition_subalgoE3EjNS0_10empty_typeEbEEZZNS1_14partition_implILS8_3ELb0ES6_jNS0_17counting_iteratorIjlEEPS9_SE_NS0_5tupleIJPjSE_EEENSF_IJSE_SE_EEES9_SG_JZNS1_25segmented_radix_sort_implINS0_14default_configELb0EPKaPaPKlPlN2at6native12_GLOBAL__N_18offset_tEEE10hipError_tPvRmT1_PNSt15iterator_traitsISY_E10value_typeET2_T3_PNSZ_IS14_E10value_typeET4_jRbjT5_S1A_jjP12ihipStream_tbEUljE_EEESV_SW_SX_S14_S18_S1A_T6_T7_T9_mT8_S1C_bDpT10_ENKUlT_T0_E_clISt17integral_constantIbLb0EES1O_IbLb1EEEEDaS1K_S1L_EUlS1K_E_NS1_11comp_targetILNS1_3genE3ELNS1_11target_archE908ELNS1_3gpuE7ELNS1_3repE0EEENS1_30default_config_static_selectorELNS0_4arch9wavefront6targetE0EEEvSY_
; %bb.0:
	.section	.rodata,"a",@progbits
	.p2align	6, 0x0
	.amdhsa_kernel _ZN7rocprim17ROCPRIM_400000_NS6detail17trampoline_kernelINS0_13select_configILj256ELj13ELNS0_17block_load_methodE3ELS4_3ELS4_3ELNS0_20block_scan_algorithmE0ELj4294967295EEENS1_25partition_config_selectorILNS1_17partition_subalgoE3EjNS0_10empty_typeEbEEZZNS1_14partition_implILS8_3ELb0ES6_jNS0_17counting_iteratorIjlEEPS9_SE_NS0_5tupleIJPjSE_EEENSF_IJSE_SE_EEES9_SG_JZNS1_25segmented_radix_sort_implINS0_14default_configELb0EPKaPaPKlPlN2at6native12_GLOBAL__N_18offset_tEEE10hipError_tPvRmT1_PNSt15iterator_traitsISY_E10value_typeET2_T3_PNSZ_IS14_E10value_typeET4_jRbjT5_S1A_jjP12ihipStream_tbEUljE_EEESV_SW_SX_S14_S18_S1A_T6_T7_T9_mT8_S1C_bDpT10_ENKUlT_T0_E_clISt17integral_constantIbLb0EES1O_IbLb1EEEEDaS1K_S1L_EUlS1K_E_NS1_11comp_targetILNS1_3genE3ELNS1_11target_archE908ELNS1_3gpuE7ELNS1_3repE0EEENS1_30default_config_static_selectorELNS0_4arch9wavefront6targetE0EEEvSY_
		.amdhsa_group_segment_fixed_size 0
		.amdhsa_private_segment_fixed_size 0
		.amdhsa_kernarg_size 152
		.amdhsa_user_sgpr_count 2
		.amdhsa_user_sgpr_dispatch_ptr 0
		.amdhsa_user_sgpr_queue_ptr 0
		.amdhsa_user_sgpr_kernarg_segment_ptr 1
		.amdhsa_user_sgpr_dispatch_id 0
		.amdhsa_user_sgpr_private_segment_size 0
		.amdhsa_wavefront_size32 1
		.amdhsa_uses_dynamic_stack 0
		.amdhsa_enable_private_segment 0
		.amdhsa_system_sgpr_workgroup_id_x 1
		.amdhsa_system_sgpr_workgroup_id_y 0
		.amdhsa_system_sgpr_workgroup_id_z 0
		.amdhsa_system_sgpr_workgroup_info 0
		.amdhsa_system_vgpr_workitem_id 0
		.amdhsa_next_free_vgpr 1
		.amdhsa_next_free_sgpr 1
		.amdhsa_reserve_vcc 0
		.amdhsa_float_round_mode_32 0
		.amdhsa_float_round_mode_16_64 0
		.amdhsa_float_denorm_mode_32 3
		.amdhsa_float_denorm_mode_16_64 3
		.amdhsa_fp16_overflow 0
		.amdhsa_workgroup_processor_mode 1
		.amdhsa_memory_ordered 1
		.amdhsa_forward_progress 1
		.amdhsa_inst_pref_size 0
		.amdhsa_round_robin_scheduling 0
		.amdhsa_exception_fp_ieee_invalid_op 0
		.amdhsa_exception_fp_denorm_src 0
		.amdhsa_exception_fp_ieee_div_zero 0
		.amdhsa_exception_fp_ieee_overflow 0
		.amdhsa_exception_fp_ieee_underflow 0
		.amdhsa_exception_fp_ieee_inexact 0
		.amdhsa_exception_int_div_zero 0
	.end_amdhsa_kernel
	.section	.text._ZN7rocprim17ROCPRIM_400000_NS6detail17trampoline_kernelINS0_13select_configILj256ELj13ELNS0_17block_load_methodE3ELS4_3ELS4_3ELNS0_20block_scan_algorithmE0ELj4294967295EEENS1_25partition_config_selectorILNS1_17partition_subalgoE3EjNS0_10empty_typeEbEEZZNS1_14partition_implILS8_3ELb0ES6_jNS0_17counting_iteratorIjlEEPS9_SE_NS0_5tupleIJPjSE_EEENSF_IJSE_SE_EEES9_SG_JZNS1_25segmented_radix_sort_implINS0_14default_configELb0EPKaPaPKlPlN2at6native12_GLOBAL__N_18offset_tEEE10hipError_tPvRmT1_PNSt15iterator_traitsISY_E10value_typeET2_T3_PNSZ_IS14_E10value_typeET4_jRbjT5_S1A_jjP12ihipStream_tbEUljE_EEESV_SW_SX_S14_S18_S1A_T6_T7_T9_mT8_S1C_bDpT10_ENKUlT_T0_E_clISt17integral_constantIbLb0EES1O_IbLb1EEEEDaS1K_S1L_EUlS1K_E_NS1_11comp_targetILNS1_3genE3ELNS1_11target_archE908ELNS1_3gpuE7ELNS1_3repE0EEENS1_30default_config_static_selectorELNS0_4arch9wavefront6targetE0EEEvSY_,"axG",@progbits,_ZN7rocprim17ROCPRIM_400000_NS6detail17trampoline_kernelINS0_13select_configILj256ELj13ELNS0_17block_load_methodE3ELS4_3ELS4_3ELNS0_20block_scan_algorithmE0ELj4294967295EEENS1_25partition_config_selectorILNS1_17partition_subalgoE3EjNS0_10empty_typeEbEEZZNS1_14partition_implILS8_3ELb0ES6_jNS0_17counting_iteratorIjlEEPS9_SE_NS0_5tupleIJPjSE_EEENSF_IJSE_SE_EEES9_SG_JZNS1_25segmented_radix_sort_implINS0_14default_configELb0EPKaPaPKlPlN2at6native12_GLOBAL__N_18offset_tEEE10hipError_tPvRmT1_PNSt15iterator_traitsISY_E10value_typeET2_T3_PNSZ_IS14_E10value_typeET4_jRbjT5_S1A_jjP12ihipStream_tbEUljE_EEESV_SW_SX_S14_S18_S1A_T6_T7_T9_mT8_S1C_bDpT10_ENKUlT_T0_E_clISt17integral_constantIbLb0EES1O_IbLb1EEEEDaS1K_S1L_EUlS1K_E_NS1_11comp_targetILNS1_3genE3ELNS1_11target_archE908ELNS1_3gpuE7ELNS1_3repE0EEENS1_30default_config_static_selectorELNS0_4arch9wavefront6targetE0EEEvSY_,comdat
.Lfunc_end388:
	.size	_ZN7rocprim17ROCPRIM_400000_NS6detail17trampoline_kernelINS0_13select_configILj256ELj13ELNS0_17block_load_methodE3ELS4_3ELS4_3ELNS0_20block_scan_algorithmE0ELj4294967295EEENS1_25partition_config_selectorILNS1_17partition_subalgoE3EjNS0_10empty_typeEbEEZZNS1_14partition_implILS8_3ELb0ES6_jNS0_17counting_iteratorIjlEEPS9_SE_NS0_5tupleIJPjSE_EEENSF_IJSE_SE_EEES9_SG_JZNS1_25segmented_radix_sort_implINS0_14default_configELb0EPKaPaPKlPlN2at6native12_GLOBAL__N_18offset_tEEE10hipError_tPvRmT1_PNSt15iterator_traitsISY_E10value_typeET2_T3_PNSZ_IS14_E10value_typeET4_jRbjT5_S1A_jjP12ihipStream_tbEUljE_EEESV_SW_SX_S14_S18_S1A_T6_T7_T9_mT8_S1C_bDpT10_ENKUlT_T0_E_clISt17integral_constantIbLb0EES1O_IbLb1EEEEDaS1K_S1L_EUlS1K_E_NS1_11comp_targetILNS1_3genE3ELNS1_11target_archE908ELNS1_3gpuE7ELNS1_3repE0EEENS1_30default_config_static_selectorELNS0_4arch9wavefront6targetE0EEEvSY_, .Lfunc_end388-_ZN7rocprim17ROCPRIM_400000_NS6detail17trampoline_kernelINS0_13select_configILj256ELj13ELNS0_17block_load_methodE3ELS4_3ELS4_3ELNS0_20block_scan_algorithmE0ELj4294967295EEENS1_25partition_config_selectorILNS1_17partition_subalgoE3EjNS0_10empty_typeEbEEZZNS1_14partition_implILS8_3ELb0ES6_jNS0_17counting_iteratorIjlEEPS9_SE_NS0_5tupleIJPjSE_EEENSF_IJSE_SE_EEES9_SG_JZNS1_25segmented_radix_sort_implINS0_14default_configELb0EPKaPaPKlPlN2at6native12_GLOBAL__N_18offset_tEEE10hipError_tPvRmT1_PNSt15iterator_traitsISY_E10value_typeET2_T3_PNSZ_IS14_E10value_typeET4_jRbjT5_S1A_jjP12ihipStream_tbEUljE_EEESV_SW_SX_S14_S18_S1A_T6_T7_T9_mT8_S1C_bDpT10_ENKUlT_T0_E_clISt17integral_constantIbLb0EES1O_IbLb1EEEEDaS1K_S1L_EUlS1K_E_NS1_11comp_targetILNS1_3genE3ELNS1_11target_archE908ELNS1_3gpuE7ELNS1_3repE0EEENS1_30default_config_static_selectorELNS0_4arch9wavefront6targetE0EEEvSY_
                                        ; -- End function
	.set _ZN7rocprim17ROCPRIM_400000_NS6detail17trampoline_kernelINS0_13select_configILj256ELj13ELNS0_17block_load_methodE3ELS4_3ELS4_3ELNS0_20block_scan_algorithmE0ELj4294967295EEENS1_25partition_config_selectorILNS1_17partition_subalgoE3EjNS0_10empty_typeEbEEZZNS1_14partition_implILS8_3ELb0ES6_jNS0_17counting_iteratorIjlEEPS9_SE_NS0_5tupleIJPjSE_EEENSF_IJSE_SE_EEES9_SG_JZNS1_25segmented_radix_sort_implINS0_14default_configELb0EPKaPaPKlPlN2at6native12_GLOBAL__N_18offset_tEEE10hipError_tPvRmT1_PNSt15iterator_traitsISY_E10value_typeET2_T3_PNSZ_IS14_E10value_typeET4_jRbjT5_S1A_jjP12ihipStream_tbEUljE_EEESV_SW_SX_S14_S18_S1A_T6_T7_T9_mT8_S1C_bDpT10_ENKUlT_T0_E_clISt17integral_constantIbLb0EES1O_IbLb1EEEEDaS1K_S1L_EUlS1K_E_NS1_11comp_targetILNS1_3genE3ELNS1_11target_archE908ELNS1_3gpuE7ELNS1_3repE0EEENS1_30default_config_static_selectorELNS0_4arch9wavefront6targetE0EEEvSY_.num_vgpr, 0
	.set _ZN7rocprim17ROCPRIM_400000_NS6detail17trampoline_kernelINS0_13select_configILj256ELj13ELNS0_17block_load_methodE3ELS4_3ELS4_3ELNS0_20block_scan_algorithmE0ELj4294967295EEENS1_25partition_config_selectorILNS1_17partition_subalgoE3EjNS0_10empty_typeEbEEZZNS1_14partition_implILS8_3ELb0ES6_jNS0_17counting_iteratorIjlEEPS9_SE_NS0_5tupleIJPjSE_EEENSF_IJSE_SE_EEES9_SG_JZNS1_25segmented_radix_sort_implINS0_14default_configELb0EPKaPaPKlPlN2at6native12_GLOBAL__N_18offset_tEEE10hipError_tPvRmT1_PNSt15iterator_traitsISY_E10value_typeET2_T3_PNSZ_IS14_E10value_typeET4_jRbjT5_S1A_jjP12ihipStream_tbEUljE_EEESV_SW_SX_S14_S18_S1A_T6_T7_T9_mT8_S1C_bDpT10_ENKUlT_T0_E_clISt17integral_constantIbLb0EES1O_IbLb1EEEEDaS1K_S1L_EUlS1K_E_NS1_11comp_targetILNS1_3genE3ELNS1_11target_archE908ELNS1_3gpuE7ELNS1_3repE0EEENS1_30default_config_static_selectorELNS0_4arch9wavefront6targetE0EEEvSY_.num_agpr, 0
	.set _ZN7rocprim17ROCPRIM_400000_NS6detail17trampoline_kernelINS0_13select_configILj256ELj13ELNS0_17block_load_methodE3ELS4_3ELS4_3ELNS0_20block_scan_algorithmE0ELj4294967295EEENS1_25partition_config_selectorILNS1_17partition_subalgoE3EjNS0_10empty_typeEbEEZZNS1_14partition_implILS8_3ELb0ES6_jNS0_17counting_iteratorIjlEEPS9_SE_NS0_5tupleIJPjSE_EEENSF_IJSE_SE_EEES9_SG_JZNS1_25segmented_radix_sort_implINS0_14default_configELb0EPKaPaPKlPlN2at6native12_GLOBAL__N_18offset_tEEE10hipError_tPvRmT1_PNSt15iterator_traitsISY_E10value_typeET2_T3_PNSZ_IS14_E10value_typeET4_jRbjT5_S1A_jjP12ihipStream_tbEUljE_EEESV_SW_SX_S14_S18_S1A_T6_T7_T9_mT8_S1C_bDpT10_ENKUlT_T0_E_clISt17integral_constantIbLb0EES1O_IbLb1EEEEDaS1K_S1L_EUlS1K_E_NS1_11comp_targetILNS1_3genE3ELNS1_11target_archE908ELNS1_3gpuE7ELNS1_3repE0EEENS1_30default_config_static_selectorELNS0_4arch9wavefront6targetE0EEEvSY_.numbered_sgpr, 0
	.set _ZN7rocprim17ROCPRIM_400000_NS6detail17trampoline_kernelINS0_13select_configILj256ELj13ELNS0_17block_load_methodE3ELS4_3ELS4_3ELNS0_20block_scan_algorithmE0ELj4294967295EEENS1_25partition_config_selectorILNS1_17partition_subalgoE3EjNS0_10empty_typeEbEEZZNS1_14partition_implILS8_3ELb0ES6_jNS0_17counting_iteratorIjlEEPS9_SE_NS0_5tupleIJPjSE_EEENSF_IJSE_SE_EEES9_SG_JZNS1_25segmented_radix_sort_implINS0_14default_configELb0EPKaPaPKlPlN2at6native12_GLOBAL__N_18offset_tEEE10hipError_tPvRmT1_PNSt15iterator_traitsISY_E10value_typeET2_T3_PNSZ_IS14_E10value_typeET4_jRbjT5_S1A_jjP12ihipStream_tbEUljE_EEESV_SW_SX_S14_S18_S1A_T6_T7_T9_mT8_S1C_bDpT10_ENKUlT_T0_E_clISt17integral_constantIbLb0EES1O_IbLb1EEEEDaS1K_S1L_EUlS1K_E_NS1_11comp_targetILNS1_3genE3ELNS1_11target_archE908ELNS1_3gpuE7ELNS1_3repE0EEENS1_30default_config_static_selectorELNS0_4arch9wavefront6targetE0EEEvSY_.num_named_barrier, 0
	.set _ZN7rocprim17ROCPRIM_400000_NS6detail17trampoline_kernelINS0_13select_configILj256ELj13ELNS0_17block_load_methodE3ELS4_3ELS4_3ELNS0_20block_scan_algorithmE0ELj4294967295EEENS1_25partition_config_selectorILNS1_17partition_subalgoE3EjNS0_10empty_typeEbEEZZNS1_14partition_implILS8_3ELb0ES6_jNS0_17counting_iteratorIjlEEPS9_SE_NS0_5tupleIJPjSE_EEENSF_IJSE_SE_EEES9_SG_JZNS1_25segmented_radix_sort_implINS0_14default_configELb0EPKaPaPKlPlN2at6native12_GLOBAL__N_18offset_tEEE10hipError_tPvRmT1_PNSt15iterator_traitsISY_E10value_typeET2_T3_PNSZ_IS14_E10value_typeET4_jRbjT5_S1A_jjP12ihipStream_tbEUljE_EEESV_SW_SX_S14_S18_S1A_T6_T7_T9_mT8_S1C_bDpT10_ENKUlT_T0_E_clISt17integral_constantIbLb0EES1O_IbLb1EEEEDaS1K_S1L_EUlS1K_E_NS1_11comp_targetILNS1_3genE3ELNS1_11target_archE908ELNS1_3gpuE7ELNS1_3repE0EEENS1_30default_config_static_selectorELNS0_4arch9wavefront6targetE0EEEvSY_.private_seg_size, 0
	.set _ZN7rocprim17ROCPRIM_400000_NS6detail17trampoline_kernelINS0_13select_configILj256ELj13ELNS0_17block_load_methodE3ELS4_3ELS4_3ELNS0_20block_scan_algorithmE0ELj4294967295EEENS1_25partition_config_selectorILNS1_17partition_subalgoE3EjNS0_10empty_typeEbEEZZNS1_14partition_implILS8_3ELb0ES6_jNS0_17counting_iteratorIjlEEPS9_SE_NS0_5tupleIJPjSE_EEENSF_IJSE_SE_EEES9_SG_JZNS1_25segmented_radix_sort_implINS0_14default_configELb0EPKaPaPKlPlN2at6native12_GLOBAL__N_18offset_tEEE10hipError_tPvRmT1_PNSt15iterator_traitsISY_E10value_typeET2_T3_PNSZ_IS14_E10value_typeET4_jRbjT5_S1A_jjP12ihipStream_tbEUljE_EEESV_SW_SX_S14_S18_S1A_T6_T7_T9_mT8_S1C_bDpT10_ENKUlT_T0_E_clISt17integral_constantIbLb0EES1O_IbLb1EEEEDaS1K_S1L_EUlS1K_E_NS1_11comp_targetILNS1_3genE3ELNS1_11target_archE908ELNS1_3gpuE7ELNS1_3repE0EEENS1_30default_config_static_selectorELNS0_4arch9wavefront6targetE0EEEvSY_.uses_vcc, 0
	.set _ZN7rocprim17ROCPRIM_400000_NS6detail17trampoline_kernelINS0_13select_configILj256ELj13ELNS0_17block_load_methodE3ELS4_3ELS4_3ELNS0_20block_scan_algorithmE0ELj4294967295EEENS1_25partition_config_selectorILNS1_17partition_subalgoE3EjNS0_10empty_typeEbEEZZNS1_14partition_implILS8_3ELb0ES6_jNS0_17counting_iteratorIjlEEPS9_SE_NS0_5tupleIJPjSE_EEENSF_IJSE_SE_EEES9_SG_JZNS1_25segmented_radix_sort_implINS0_14default_configELb0EPKaPaPKlPlN2at6native12_GLOBAL__N_18offset_tEEE10hipError_tPvRmT1_PNSt15iterator_traitsISY_E10value_typeET2_T3_PNSZ_IS14_E10value_typeET4_jRbjT5_S1A_jjP12ihipStream_tbEUljE_EEESV_SW_SX_S14_S18_S1A_T6_T7_T9_mT8_S1C_bDpT10_ENKUlT_T0_E_clISt17integral_constantIbLb0EES1O_IbLb1EEEEDaS1K_S1L_EUlS1K_E_NS1_11comp_targetILNS1_3genE3ELNS1_11target_archE908ELNS1_3gpuE7ELNS1_3repE0EEENS1_30default_config_static_selectorELNS0_4arch9wavefront6targetE0EEEvSY_.uses_flat_scratch, 0
	.set _ZN7rocprim17ROCPRIM_400000_NS6detail17trampoline_kernelINS0_13select_configILj256ELj13ELNS0_17block_load_methodE3ELS4_3ELS4_3ELNS0_20block_scan_algorithmE0ELj4294967295EEENS1_25partition_config_selectorILNS1_17partition_subalgoE3EjNS0_10empty_typeEbEEZZNS1_14partition_implILS8_3ELb0ES6_jNS0_17counting_iteratorIjlEEPS9_SE_NS0_5tupleIJPjSE_EEENSF_IJSE_SE_EEES9_SG_JZNS1_25segmented_radix_sort_implINS0_14default_configELb0EPKaPaPKlPlN2at6native12_GLOBAL__N_18offset_tEEE10hipError_tPvRmT1_PNSt15iterator_traitsISY_E10value_typeET2_T3_PNSZ_IS14_E10value_typeET4_jRbjT5_S1A_jjP12ihipStream_tbEUljE_EEESV_SW_SX_S14_S18_S1A_T6_T7_T9_mT8_S1C_bDpT10_ENKUlT_T0_E_clISt17integral_constantIbLb0EES1O_IbLb1EEEEDaS1K_S1L_EUlS1K_E_NS1_11comp_targetILNS1_3genE3ELNS1_11target_archE908ELNS1_3gpuE7ELNS1_3repE0EEENS1_30default_config_static_selectorELNS0_4arch9wavefront6targetE0EEEvSY_.has_dyn_sized_stack, 0
	.set _ZN7rocprim17ROCPRIM_400000_NS6detail17trampoline_kernelINS0_13select_configILj256ELj13ELNS0_17block_load_methodE3ELS4_3ELS4_3ELNS0_20block_scan_algorithmE0ELj4294967295EEENS1_25partition_config_selectorILNS1_17partition_subalgoE3EjNS0_10empty_typeEbEEZZNS1_14partition_implILS8_3ELb0ES6_jNS0_17counting_iteratorIjlEEPS9_SE_NS0_5tupleIJPjSE_EEENSF_IJSE_SE_EEES9_SG_JZNS1_25segmented_radix_sort_implINS0_14default_configELb0EPKaPaPKlPlN2at6native12_GLOBAL__N_18offset_tEEE10hipError_tPvRmT1_PNSt15iterator_traitsISY_E10value_typeET2_T3_PNSZ_IS14_E10value_typeET4_jRbjT5_S1A_jjP12ihipStream_tbEUljE_EEESV_SW_SX_S14_S18_S1A_T6_T7_T9_mT8_S1C_bDpT10_ENKUlT_T0_E_clISt17integral_constantIbLb0EES1O_IbLb1EEEEDaS1K_S1L_EUlS1K_E_NS1_11comp_targetILNS1_3genE3ELNS1_11target_archE908ELNS1_3gpuE7ELNS1_3repE0EEENS1_30default_config_static_selectorELNS0_4arch9wavefront6targetE0EEEvSY_.has_recursion, 0
	.set _ZN7rocprim17ROCPRIM_400000_NS6detail17trampoline_kernelINS0_13select_configILj256ELj13ELNS0_17block_load_methodE3ELS4_3ELS4_3ELNS0_20block_scan_algorithmE0ELj4294967295EEENS1_25partition_config_selectorILNS1_17partition_subalgoE3EjNS0_10empty_typeEbEEZZNS1_14partition_implILS8_3ELb0ES6_jNS0_17counting_iteratorIjlEEPS9_SE_NS0_5tupleIJPjSE_EEENSF_IJSE_SE_EEES9_SG_JZNS1_25segmented_radix_sort_implINS0_14default_configELb0EPKaPaPKlPlN2at6native12_GLOBAL__N_18offset_tEEE10hipError_tPvRmT1_PNSt15iterator_traitsISY_E10value_typeET2_T3_PNSZ_IS14_E10value_typeET4_jRbjT5_S1A_jjP12ihipStream_tbEUljE_EEESV_SW_SX_S14_S18_S1A_T6_T7_T9_mT8_S1C_bDpT10_ENKUlT_T0_E_clISt17integral_constantIbLb0EES1O_IbLb1EEEEDaS1K_S1L_EUlS1K_E_NS1_11comp_targetILNS1_3genE3ELNS1_11target_archE908ELNS1_3gpuE7ELNS1_3repE0EEENS1_30default_config_static_selectorELNS0_4arch9wavefront6targetE0EEEvSY_.has_indirect_call, 0
	.section	.AMDGPU.csdata,"",@progbits
; Kernel info:
; codeLenInByte = 0
; TotalNumSgprs: 0
; NumVgprs: 0
; ScratchSize: 0
; MemoryBound: 0
; FloatMode: 240
; IeeeMode: 1
; LDSByteSize: 0 bytes/workgroup (compile time only)
; SGPRBlocks: 0
; VGPRBlocks: 0
; NumSGPRsForWavesPerEU: 1
; NumVGPRsForWavesPerEU: 1
; Occupancy: 16
; WaveLimiterHint : 0
; COMPUTE_PGM_RSRC2:SCRATCH_EN: 0
; COMPUTE_PGM_RSRC2:USER_SGPR: 2
; COMPUTE_PGM_RSRC2:TRAP_HANDLER: 0
; COMPUTE_PGM_RSRC2:TGID_X_EN: 1
; COMPUTE_PGM_RSRC2:TGID_Y_EN: 0
; COMPUTE_PGM_RSRC2:TGID_Z_EN: 0
; COMPUTE_PGM_RSRC2:TIDIG_COMP_CNT: 0
	.section	.text._ZN7rocprim17ROCPRIM_400000_NS6detail17trampoline_kernelINS0_13select_configILj256ELj13ELNS0_17block_load_methodE3ELS4_3ELS4_3ELNS0_20block_scan_algorithmE0ELj4294967295EEENS1_25partition_config_selectorILNS1_17partition_subalgoE3EjNS0_10empty_typeEbEEZZNS1_14partition_implILS8_3ELb0ES6_jNS0_17counting_iteratorIjlEEPS9_SE_NS0_5tupleIJPjSE_EEENSF_IJSE_SE_EEES9_SG_JZNS1_25segmented_radix_sort_implINS0_14default_configELb0EPKaPaPKlPlN2at6native12_GLOBAL__N_18offset_tEEE10hipError_tPvRmT1_PNSt15iterator_traitsISY_E10value_typeET2_T3_PNSZ_IS14_E10value_typeET4_jRbjT5_S1A_jjP12ihipStream_tbEUljE_EEESV_SW_SX_S14_S18_S1A_T6_T7_T9_mT8_S1C_bDpT10_ENKUlT_T0_E_clISt17integral_constantIbLb0EES1O_IbLb1EEEEDaS1K_S1L_EUlS1K_E_NS1_11comp_targetILNS1_3genE2ELNS1_11target_archE906ELNS1_3gpuE6ELNS1_3repE0EEENS1_30default_config_static_selectorELNS0_4arch9wavefront6targetE0EEEvSY_,"axG",@progbits,_ZN7rocprim17ROCPRIM_400000_NS6detail17trampoline_kernelINS0_13select_configILj256ELj13ELNS0_17block_load_methodE3ELS4_3ELS4_3ELNS0_20block_scan_algorithmE0ELj4294967295EEENS1_25partition_config_selectorILNS1_17partition_subalgoE3EjNS0_10empty_typeEbEEZZNS1_14partition_implILS8_3ELb0ES6_jNS0_17counting_iteratorIjlEEPS9_SE_NS0_5tupleIJPjSE_EEENSF_IJSE_SE_EEES9_SG_JZNS1_25segmented_radix_sort_implINS0_14default_configELb0EPKaPaPKlPlN2at6native12_GLOBAL__N_18offset_tEEE10hipError_tPvRmT1_PNSt15iterator_traitsISY_E10value_typeET2_T3_PNSZ_IS14_E10value_typeET4_jRbjT5_S1A_jjP12ihipStream_tbEUljE_EEESV_SW_SX_S14_S18_S1A_T6_T7_T9_mT8_S1C_bDpT10_ENKUlT_T0_E_clISt17integral_constantIbLb0EES1O_IbLb1EEEEDaS1K_S1L_EUlS1K_E_NS1_11comp_targetILNS1_3genE2ELNS1_11target_archE906ELNS1_3gpuE6ELNS1_3repE0EEENS1_30default_config_static_selectorELNS0_4arch9wavefront6targetE0EEEvSY_,comdat
	.globl	_ZN7rocprim17ROCPRIM_400000_NS6detail17trampoline_kernelINS0_13select_configILj256ELj13ELNS0_17block_load_methodE3ELS4_3ELS4_3ELNS0_20block_scan_algorithmE0ELj4294967295EEENS1_25partition_config_selectorILNS1_17partition_subalgoE3EjNS0_10empty_typeEbEEZZNS1_14partition_implILS8_3ELb0ES6_jNS0_17counting_iteratorIjlEEPS9_SE_NS0_5tupleIJPjSE_EEENSF_IJSE_SE_EEES9_SG_JZNS1_25segmented_radix_sort_implINS0_14default_configELb0EPKaPaPKlPlN2at6native12_GLOBAL__N_18offset_tEEE10hipError_tPvRmT1_PNSt15iterator_traitsISY_E10value_typeET2_T3_PNSZ_IS14_E10value_typeET4_jRbjT5_S1A_jjP12ihipStream_tbEUljE_EEESV_SW_SX_S14_S18_S1A_T6_T7_T9_mT8_S1C_bDpT10_ENKUlT_T0_E_clISt17integral_constantIbLb0EES1O_IbLb1EEEEDaS1K_S1L_EUlS1K_E_NS1_11comp_targetILNS1_3genE2ELNS1_11target_archE906ELNS1_3gpuE6ELNS1_3repE0EEENS1_30default_config_static_selectorELNS0_4arch9wavefront6targetE0EEEvSY_ ; -- Begin function _ZN7rocprim17ROCPRIM_400000_NS6detail17trampoline_kernelINS0_13select_configILj256ELj13ELNS0_17block_load_methodE3ELS4_3ELS4_3ELNS0_20block_scan_algorithmE0ELj4294967295EEENS1_25partition_config_selectorILNS1_17partition_subalgoE3EjNS0_10empty_typeEbEEZZNS1_14partition_implILS8_3ELb0ES6_jNS0_17counting_iteratorIjlEEPS9_SE_NS0_5tupleIJPjSE_EEENSF_IJSE_SE_EEES9_SG_JZNS1_25segmented_radix_sort_implINS0_14default_configELb0EPKaPaPKlPlN2at6native12_GLOBAL__N_18offset_tEEE10hipError_tPvRmT1_PNSt15iterator_traitsISY_E10value_typeET2_T3_PNSZ_IS14_E10value_typeET4_jRbjT5_S1A_jjP12ihipStream_tbEUljE_EEESV_SW_SX_S14_S18_S1A_T6_T7_T9_mT8_S1C_bDpT10_ENKUlT_T0_E_clISt17integral_constantIbLb0EES1O_IbLb1EEEEDaS1K_S1L_EUlS1K_E_NS1_11comp_targetILNS1_3genE2ELNS1_11target_archE906ELNS1_3gpuE6ELNS1_3repE0EEENS1_30default_config_static_selectorELNS0_4arch9wavefront6targetE0EEEvSY_
	.p2align	8
	.type	_ZN7rocprim17ROCPRIM_400000_NS6detail17trampoline_kernelINS0_13select_configILj256ELj13ELNS0_17block_load_methodE3ELS4_3ELS4_3ELNS0_20block_scan_algorithmE0ELj4294967295EEENS1_25partition_config_selectorILNS1_17partition_subalgoE3EjNS0_10empty_typeEbEEZZNS1_14partition_implILS8_3ELb0ES6_jNS0_17counting_iteratorIjlEEPS9_SE_NS0_5tupleIJPjSE_EEENSF_IJSE_SE_EEES9_SG_JZNS1_25segmented_radix_sort_implINS0_14default_configELb0EPKaPaPKlPlN2at6native12_GLOBAL__N_18offset_tEEE10hipError_tPvRmT1_PNSt15iterator_traitsISY_E10value_typeET2_T3_PNSZ_IS14_E10value_typeET4_jRbjT5_S1A_jjP12ihipStream_tbEUljE_EEESV_SW_SX_S14_S18_S1A_T6_T7_T9_mT8_S1C_bDpT10_ENKUlT_T0_E_clISt17integral_constantIbLb0EES1O_IbLb1EEEEDaS1K_S1L_EUlS1K_E_NS1_11comp_targetILNS1_3genE2ELNS1_11target_archE906ELNS1_3gpuE6ELNS1_3repE0EEENS1_30default_config_static_selectorELNS0_4arch9wavefront6targetE0EEEvSY_,@function
_ZN7rocprim17ROCPRIM_400000_NS6detail17trampoline_kernelINS0_13select_configILj256ELj13ELNS0_17block_load_methodE3ELS4_3ELS4_3ELNS0_20block_scan_algorithmE0ELj4294967295EEENS1_25partition_config_selectorILNS1_17partition_subalgoE3EjNS0_10empty_typeEbEEZZNS1_14partition_implILS8_3ELb0ES6_jNS0_17counting_iteratorIjlEEPS9_SE_NS0_5tupleIJPjSE_EEENSF_IJSE_SE_EEES9_SG_JZNS1_25segmented_radix_sort_implINS0_14default_configELb0EPKaPaPKlPlN2at6native12_GLOBAL__N_18offset_tEEE10hipError_tPvRmT1_PNSt15iterator_traitsISY_E10value_typeET2_T3_PNSZ_IS14_E10value_typeET4_jRbjT5_S1A_jjP12ihipStream_tbEUljE_EEESV_SW_SX_S14_S18_S1A_T6_T7_T9_mT8_S1C_bDpT10_ENKUlT_T0_E_clISt17integral_constantIbLb0EES1O_IbLb1EEEEDaS1K_S1L_EUlS1K_E_NS1_11comp_targetILNS1_3genE2ELNS1_11target_archE906ELNS1_3gpuE6ELNS1_3repE0EEENS1_30default_config_static_selectorELNS0_4arch9wavefront6targetE0EEEvSY_: ; @_ZN7rocprim17ROCPRIM_400000_NS6detail17trampoline_kernelINS0_13select_configILj256ELj13ELNS0_17block_load_methodE3ELS4_3ELS4_3ELNS0_20block_scan_algorithmE0ELj4294967295EEENS1_25partition_config_selectorILNS1_17partition_subalgoE3EjNS0_10empty_typeEbEEZZNS1_14partition_implILS8_3ELb0ES6_jNS0_17counting_iteratorIjlEEPS9_SE_NS0_5tupleIJPjSE_EEENSF_IJSE_SE_EEES9_SG_JZNS1_25segmented_radix_sort_implINS0_14default_configELb0EPKaPaPKlPlN2at6native12_GLOBAL__N_18offset_tEEE10hipError_tPvRmT1_PNSt15iterator_traitsISY_E10value_typeET2_T3_PNSZ_IS14_E10value_typeET4_jRbjT5_S1A_jjP12ihipStream_tbEUljE_EEESV_SW_SX_S14_S18_S1A_T6_T7_T9_mT8_S1C_bDpT10_ENKUlT_T0_E_clISt17integral_constantIbLb0EES1O_IbLb1EEEEDaS1K_S1L_EUlS1K_E_NS1_11comp_targetILNS1_3genE2ELNS1_11target_archE906ELNS1_3gpuE6ELNS1_3repE0EEENS1_30default_config_static_selectorELNS0_4arch9wavefront6targetE0EEEvSY_
; %bb.0:
	.section	.rodata,"a",@progbits
	.p2align	6, 0x0
	.amdhsa_kernel _ZN7rocprim17ROCPRIM_400000_NS6detail17trampoline_kernelINS0_13select_configILj256ELj13ELNS0_17block_load_methodE3ELS4_3ELS4_3ELNS0_20block_scan_algorithmE0ELj4294967295EEENS1_25partition_config_selectorILNS1_17partition_subalgoE3EjNS0_10empty_typeEbEEZZNS1_14partition_implILS8_3ELb0ES6_jNS0_17counting_iteratorIjlEEPS9_SE_NS0_5tupleIJPjSE_EEENSF_IJSE_SE_EEES9_SG_JZNS1_25segmented_radix_sort_implINS0_14default_configELb0EPKaPaPKlPlN2at6native12_GLOBAL__N_18offset_tEEE10hipError_tPvRmT1_PNSt15iterator_traitsISY_E10value_typeET2_T3_PNSZ_IS14_E10value_typeET4_jRbjT5_S1A_jjP12ihipStream_tbEUljE_EEESV_SW_SX_S14_S18_S1A_T6_T7_T9_mT8_S1C_bDpT10_ENKUlT_T0_E_clISt17integral_constantIbLb0EES1O_IbLb1EEEEDaS1K_S1L_EUlS1K_E_NS1_11comp_targetILNS1_3genE2ELNS1_11target_archE906ELNS1_3gpuE6ELNS1_3repE0EEENS1_30default_config_static_selectorELNS0_4arch9wavefront6targetE0EEEvSY_
		.amdhsa_group_segment_fixed_size 0
		.amdhsa_private_segment_fixed_size 0
		.amdhsa_kernarg_size 152
		.amdhsa_user_sgpr_count 2
		.amdhsa_user_sgpr_dispatch_ptr 0
		.amdhsa_user_sgpr_queue_ptr 0
		.amdhsa_user_sgpr_kernarg_segment_ptr 1
		.amdhsa_user_sgpr_dispatch_id 0
		.amdhsa_user_sgpr_private_segment_size 0
		.amdhsa_wavefront_size32 1
		.amdhsa_uses_dynamic_stack 0
		.amdhsa_enable_private_segment 0
		.amdhsa_system_sgpr_workgroup_id_x 1
		.amdhsa_system_sgpr_workgroup_id_y 0
		.amdhsa_system_sgpr_workgroup_id_z 0
		.amdhsa_system_sgpr_workgroup_info 0
		.amdhsa_system_vgpr_workitem_id 0
		.amdhsa_next_free_vgpr 1
		.amdhsa_next_free_sgpr 1
		.amdhsa_reserve_vcc 0
		.amdhsa_float_round_mode_32 0
		.amdhsa_float_round_mode_16_64 0
		.amdhsa_float_denorm_mode_32 3
		.amdhsa_float_denorm_mode_16_64 3
		.amdhsa_fp16_overflow 0
		.amdhsa_workgroup_processor_mode 1
		.amdhsa_memory_ordered 1
		.amdhsa_forward_progress 1
		.amdhsa_inst_pref_size 0
		.amdhsa_round_robin_scheduling 0
		.amdhsa_exception_fp_ieee_invalid_op 0
		.amdhsa_exception_fp_denorm_src 0
		.amdhsa_exception_fp_ieee_div_zero 0
		.amdhsa_exception_fp_ieee_overflow 0
		.amdhsa_exception_fp_ieee_underflow 0
		.amdhsa_exception_fp_ieee_inexact 0
		.amdhsa_exception_int_div_zero 0
	.end_amdhsa_kernel
	.section	.text._ZN7rocprim17ROCPRIM_400000_NS6detail17trampoline_kernelINS0_13select_configILj256ELj13ELNS0_17block_load_methodE3ELS4_3ELS4_3ELNS0_20block_scan_algorithmE0ELj4294967295EEENS1_25partition_config_selectorILNS1_17partition_subalgoE3EjNS0_10empty_typeEbEEZZNS1_14partition_implILS8_3ELb0ES6_jNS0_17counting_iteratorIjlEEPS9_SE_NS0_5tupleIJPjSE_EEENSF_IJSE_SE_EEES9_SG_JZNS1_25segmented_radix_sort_implINS0_14default_configELb0EPKaPaPKlPlN2at6native12_GLOBAL__N_18offset_tEEE10hipError_tPvRmT1_PNSt15iterator_traitsISY_E10value_typeET2_T3_PNSZ_IS14_E10value_typeET4_jRbjT5_S1A_jjP12ihipStream_tbEUljE_EEESV_SW_SX_S14_S18_S1A_T6_T7_T9_mT8_S1C_bDpT10_ENKUlT_T0_E_clISt17integral_constantIbLb0EES1O_IbLb1EEEEDaS1K_S1L_EUlS1K_E_NS1_11comp_targetILNS1_3genE2ELNS1_11target_archE906ELNS1_3gpuE6ELNS1_3repE0EEENS1_30default_config_static_selectorELNS0_4arch9wavefront6targetE0EEEvSY_,"axG",@progbits,_ZN7rocprim17ROCPRIM_400000_NS6detail17trampoline_kernelINS0_13select_configILj256ELj13ELNS0_17block_load_methodE3ELS4_3ELS4_3ELNS0_20block_scan_algorithmE0ELj4294967295EEENS1_25partition_config_selectorILNS1_17partition_subalgoE3EjNS0_10empty_typeEbEEZZNS1_14partition_implILS8_3ELb0ES6_jNS0_17counting_iteratorIjlEEPS9_SE_NS0_5tupleIJPjSE_EEENSF_IJSE_SE_EEES9_SG_JZNS1_25segmented_radix_sort_implINS0_14default_configELb0EPKaPaPKlPlN2at6native12_GLOBAL__N_18offset_tEEE10hipError_tPvRmT1_PNSt15iterator_traitsISY_E10value_typeET2_T3_PNSZ_IS14_E10value_typeET4_jRbjT5_S1A_jjP12ihipStream_tbEUljE_EEESV_SW_SX_S14_S18_S1A_T6_T7_T9_mT8_S1C_bDpT10_ENKUlT_T0_E_clISt17integral_constantIbLb0EES1O_IbLb1EEEEDaS1K_S1L_EUlS1K_E_NS1_11comp_targetILNS1_3genE2ELNS1_11target_archE906ELNS1_3gpuE6ELNS1_3repE0EEENS1_30default_config_static_selectorELNS0_4arch9wavefront6targetE0EEEvSY_,comdat
.Lfunc_end389:
	.size	_ZN7rocprim17ROCPRIM_400000_NS6detail17trampoline_kernelINS0_13select_configILj256ELj13ELNS0_17block_load_methodE3ELS4_3ELS4_3ELNS0_20block_scan_algorithmE0ELj4294967295EEENS1_25partition_config_selectorILNS1_17partition_subalgoE3EjNS0_10empty_typeEbEEZZNS1_14partition_implILS8_3ELb0ES6_jNS0_17counting_iteratorIjlEEPS9_SE_NS0_5tupleIJPjSE_EEENSF_IJSE_SE_EEES9_SG_JZNS1_25segmented_radix_sort_implINS0_14default_configELb0EPKaPaPKlPlN2at6native12_GLOBAL__N_18offset_tEEE10hipError_tPvRmT1_PNSt15iterator_traitsISY_E10value_typeET2_T3_PNSZ_IS14_E10value_typeET4_jRbjT5_S1A_jjP12ihipStream_tbEUljE_EEESV_SW_SX_S14_S18_S1A_T6_T7_T9_mT8_S1C_bDpT10_ENKUlT_T0_E_clISt17integral_constantIbLb0EES1O_IbLb1EEEEDaS1K_S1L_EUlS1K_E_NS1_11comp_targetILNS1_3genE2ELNS1_11target_archE906ELNS1_3gpuE6ELNS1_3repE0EEENS1_30default_config_static_selectorELNS0_4arch9wavefront6targetE0EEEvSY_, .Lfunc_end389-_ZN7rocprim17ROCPRIM_400000_NS6detail17trampoline_kernelINS0_13select_configILj256ELj13ELNS0_17block_load_methodE3ELS4_3ELS4_3ELNS0_20block_scan_algorithmE0ELj4294967295EEENS1_25partition_config_selectorILNS1_17partition_subalgoE3EjNS0_10empty_typeEbEEZZNS1_14partition_implILS8_3ELb0ES6_jNS0_17counting_iteratorIjlEEPS9_SE_NS0_5tupleIJPjSE_EEENSF_IJSE_SE_EEES9_SG_JZNS1_25segmented_radix_sort_implINS0_14default_configELb0EPKaPaPKlPlN2at6native12_GLOBAL__N_18offset_tEEE10hipError_tPvRmT1_PNSt15iterator_traitsISY_E10value_typeET2_T3_PNSZ_IS14_E10value_typeET4_jRbjT5_S1A_jjP12ihipStream_tbEUljE_EEESV_SW_SX_S14_S18_S1A_T6_T7_T9_mT8_S1C_bDpT10_ENKUlT_T0_E_clISt17integral_constantIbLb0EES1O_IbLb1EEEEDaS1K_S1L_EUlS1K_E_NS1_11comp_targetILNS1_3genE2ELNS1_11target_archE906ELNS1_3gpuE6ELNS1_3repE0EEENS1_30default_config_static_selectorELNS0_4arch9wavefront6targetE0EEEvSY_
                                        ; -- End function
	.set _ZN7rocprim17ROCPRIM_400000_NS6detail17trampoline_kernelINS0_13select_configILj256ELj13ELNS0_17block_load_methodE3ELS4_3ELS4_3ELNS0_20block_scan_algorithmE0ELj4294967295EEENS1_25partition_config_selectorILNS1_17partition_subalgoE3EjNS0_10empty_typeEbEEZZNS1_14partition_implILS8_3ELb0ES6_jNS0_17counting_iteratorIjlEEPS9_SE_NS0_5tupleIJPjSE_EEENSF_IJSE_SE_EEES9_SG_JZNS1_25segmented_radix_sort_implINS0_14default_configELb0EPKaPaPKlPlN2at6native12_GLOBAL__N_18offset_tEEE10hipError_tPvRmT1_PNSt15iterator_traitsISY_E10value_typeET2_T3_PNSZ_IS14_E10value_typeET4_jRbjT5_S1A_jjP12ihipStream_tbEUljE_EEESV_SW_SX_S14_S18_S1A_T6_T7_T9_mT8_S1C_bDpT10_ENKUlT_T0_E_clISt17integral_constantIbLb0EES1O_IbLb1EEEEDaS1K_S1L_EUlS1K_E_NS1_11comp_targetILNS1_3genE2ELNS1_11target_archE906ELNS1_3gpuE6ELNS1_3repE0EEENS1_30default_config_static_selectorELNS0_4arch9wavefront6targetE0EEEvSY_.num_vgpr, 0
	.set _ZN7rocprim17ROCPRIM_400000_NS6detail17trampoline_kernelINS0_13select_configILj256ELj13ELNS0_17block_load_methodE3ELS4_3ELS4_3ELNS0_20block_scan_algorithmE0ELj4294967295EEENS1_25partition_config_selectorILNS1_17partition_subalgoE3EjNS0_10empty_typeEbEEZZNS1_14partition_implILS8_3ELb0ES6_jNS0_17counting_iteratorIjlEEPS9_SE_NS0_5tupleIJPjSE_EEENSF_IJSE_SE_EEES9_SG_JZNS1_25segmented_radix_sort_implINS0_14default_configELb0EPKaPaPKlPlN2at6native12_GLOBAL__N_18offset_tEEE10hipError_tPvRmT1_PNSt15iterator_traitsISY_E10value_typeET2_T3_PNSZ_IS14_E10value_typeET4_jRbjT5_S1A_jjP12ihipStream_tbEUljE_EEESV_SW_SX_S14_S18_S1A_T6_T7_T9_mT8_S1C_bDpT10_ENKUlT_T0_E_clISt17integral_constantIbLb0EES1O_IbLb1EEEEDaS1K_S1L_EUlS1K_E_NS1_11comp_targetILNS1_3genE2ELNS1_11target_archE906ELNS1_3gpuE6ELNS1_3repE0EEENS1_30default_config_static_selectorELNS0_4arch9wavefront6targetE0EEEvSY_.num_agpr, 0
	.set _ZN7rocprim17ROCPRIM_400000_NS6detail17trampoline_kernelINS0_13select_configILj256ELj13ELNS0_17block_load_methodE3ELS4_3ELS4_3ELNS0_20block_scan_algorithmE0ELj4294967295EEENS1_25partition_config_selectorILNS1_17partition_subalgoE3EjNS0_10empty_typeEbEEZZNS1_14partition_implILS8_3ELb0ES6_jNS0_17counting_iteratorIjlEEPS9_SE_NS0_5tupleIJPjSE_EEENSF_IJSE_SE_EEES9_SG_JZNS1_25segmented_radix_sort_implINS0_14default_configELb0EPKaPaPKlPlN2at6native12_GLOBAL__N_18offset_tEEE10hipError_tPvRmT1_PNSt15iterator_traitsISY_E10value_typeET2_T3_PNSZ_IS14_E10value_typeET4_jRbjT5_S1A_jjP12ihipStream_tbEUljE_EEESV_SW_SX_S14_S18_S1A_T6_T7_T9_mT8_S1C_bDpT10_ENKUlT_T0_E_clISt17integral_constantIbLb0EES1O_IbLb1EEEEDaS1K_S1L_EUlS1K_E_NS1_11comp_targetILNS1_3genE2ELNS1_11target_archE906ELNS1_3gpuE6ELNS1_3repE0EEENS1_30default_config_static_selectorELNS0_4arch9wavefront6targetE0EEEvSY_.numbered_sgpr, 0
	.set _ZN7rocprim17ROCPRIM_400000_NS6detail17trampoline_kernelINS0_13select_configILj256ELj13ELNS0_17block_load_methodE3ELS4_3ELS4_3ELNS0_20block_scan_algorithmE0ELj4294967295EEENS1_25partition_config_selectorILNS1_17partition_subalgoE3EjNS0_10empty_typeEbEEZZNS1_14partition_implILS8_3ELb0ES6_jNS0_17counting_iteratorIjlEEPS9_SE_NS0_5tupleIJPjSE_EEENSF_IJSE_SE_EEES9_SG_JZNS1_25segmented_radix_sort_implINS0_14default_configELb0EPKaPaPKlPlN2at6native12_GLOBAL__N_18offset_tEEE10hipError_tPvRmT1_PNSt15iterator_traitsISY_E10value_typeET2_T3_PNSZ_IS14_E10value_typeET4_jRbjT5_S1A_jjP12ihipStream_tbEUljE_EEESV_SW_SX_S14_S18_S1A_T6_T7_T9_mT8_S1C_bDpT10_ENKUlT_T0_E_clISt17integral_constantIbLb0EES1O_IbLb1EEEEDaS1K_S1L_EUlS1K_E_NS1_11comp_targetILNS1_3genE2ELNS1_11target_archE906ELNS1_3gpuE6ELNS1_3repE0EEENS1_30default_config_static_selectorELNS0_4arch9wavefront6targetE0EEEvSY_.num_named_barrier, 0
	.set _ZN7rocprim17ROCPRIM_400000_NS6detail17trampoline_kernelINS0_13select_configILj256ELj13ELNS0_17block_load_methodE3ELS4_3ELS4_3ELNS0_20block_scan_algorithmE0ELj4294967295EEENS1_25partition_config_selectorILNS1_17partition_subalgoE3EjNS0_10empty_typeEbEEZZNS1_14partition_implILS8_3ELb0ES6_jNS0_17counting_iteratorIjlEEPS9_SE_NS0_5tupleIJPjSE_EEENSF_IJSE_SE_EEES9_SG_JZNS1_25segmented_radix_sort_implINS0_14default_configELb0EPKaPaPKlPlN2at6native12_GLOBAL__N_18offset_tEEE10hipError_tPvRmT1_PNSt15iterator_traitsISY_E10value_typeET2_T3_PNSZ_IS14_E10value_typeET4_jRbjT5_S1A_jjP12ihipStream_tbEUljE_EEESV_SW_SX_S14_S18_S1A_T6_T7_T9_mT8_S1C_bDpT10_ENKUlT_T0_E_clISt17integral_constantIbLb0EES1O_IbLb1EEEEDaS1K_S1L_EUlS1K_E_NS1_11comp_targetILNS1_3genE2ELNS1_11target_archE906ELNS1_3gpuE6ELNS1_3repE0EEENS1_30default_config_static_selectorELNS0_4arch9wavefront6targetE0EEEvSY_.private_seg_size, 0
	.set _ZN7rocprim17ROCPRIM_400000_NS6detail17trampoline_kernelINS0_13select_configILj256ELj13ELNS0_17block_load_methodE3ELS4_3ELS4_3ELNS0_20block_scan_algorithmE0ELj4294967295EEENS1_25partition_config_selectorILNS1_17partition_subalgoE3EjNS0_10empty_typeEbEEZZNS1_14partition_implILS8_3ELb0ES6_jNS0_17counting_iteratorIjlEEPS9_SE_NS0_5tupleIJPjSE_EEENSF_IJSE_SE_EEES9_SG_JZNS1_25segmented_radix_sort_implINS0_14default_configELb0EPKaPaPKlPlN2at6native12_GLOBAL__N_18offset_tEEE10hipError_tPvRmT1_PNSt15iterator_traitsISY_E10value_typeET2_T3_PNSZ_IS14_E10value_typeET4_jRbjT5_S1A_jjP12ihipStream_tbEUljE_EEESV_SW_SX_S14_S18_S1A_T6_T7_T9_mT8_S1C_bDpT10_ENKUlT_T0_E_clISt17integral_constantIbLb0EES1O_IbLb1EEEEDaS1K_S1L_EUlS1K_E_NS1_11comp_targetILNS1_3genE2ELNS1_11target_archE906ELNS1_3gpuE6ELNS1_3repE0EEENS1_30default_config_static_selectorELNS0_4arch9wavefront6targetE0EEEvSY_.uses_vcc, 0
	.set _ZN7rocprim17ROCPRIM_400000_NS6detail17trampoline_kernelINS0_13select_configILj256ELj13ELNS0_17block_load_methodE3ELS4_3ELS4_3ELNS0_20block_scan_algorithmE0ELj4294967295EEENS1_25partition_config_selectorILNS1_17partition_subalgoE3EjNS0_10empty_typeEbEEZZNS1_14partition_implILS8_3ELb0ES6_jNS0_17counting_iteratorIjlEEPS9_SE_NS0_5tupleIJPjSE_EEENSF_IJSE_SE_EEES9_SG_JZNS1_25segmented_radix_sort_implINS0_14default_configELb0EPKaPaPKlPlN2at6native12_GLOBAL__N_18offset_tEEE10hipError_tPvRmT1_PNSt15iterator_traitsISY_E10value_typeET2_T3_PNSZ_IS14_E10value_typeET4_jRbjT5_S1A_jjP12ihipStream_tbEUljE_EEESV_SW_SX_S14_S18_S1A_T6_T7_T9_mT8_S1C_bDpT10_ENKUlT_T0_E_clISt17integral_constantIbLb0EES1O_IbLb1EEEEDaS1K_S1L_EUlS1K_E_NS1_11comp_targetILNS1_3genE2ELNS1_11target_archE906ELNS1_3gpuE6ELNS1_3repE0EEENS1_30default_config_static_selectorELNS0_4arch9wavefront6targetE0EEEvSY_.uses_flat_scratch, 0
	.set _ZN7rocprim17ROCPRIM_400000_NS6detail17trampoline_kernelINS0_13select_configILj256ELj13ELNS0_17block_load_methodE3ELS4_3ELS4_3ELNS0_20block_scan_algorithmE0ELj4294967295EEENS1_25partition_config_selectorILNS1_17partition_subalgoE3EjNS0_10empty_typeEbEEZZNS1_14partition_implILS8_3ELb0ES6_jNS0_17counting_iteratorIjlEEPS9_SE_NS0_5tupleIJPjSE_EEENSF_IJSE_SE_EEES9_SG_JZNS1_25segmented_radix_sort_implINS0_14default_configELb0EPKaPaPKlPlN2at6native12_GLOBAL__N_18offset_tEEE10hipError_tPvRmT1_PNSt15iterator_traitsISY_E10value_typeET2_T3_PNSZ_IS14_E10value_typeET4_jRbjT5_S1A_jjP12ihipStream_tbEUljE_EEESV_SW_SX_S14_S18_S1A_T6_T7_T9_mT8_S1C_bDpT10_ENKUlT_T0_E_clISt17integral_constantIbLb0EES1O_IbLb1EEEEDaS1K_S1L_EUlS1K_E_NS1_11comp_targetILNS1_3genE2ELNS1_11target_archE906ELNS1_3gpuE6ELNS1_3repE0EEENS1_30default_config_static_selectorELNS0_4arch9wavefront6targetE0EEEvSY_.has_dyn_sized_stack, 0
	.set _ZN7rocprim17ROCPRIM_400000_NS6detail17trampoline_kernelINS0_13select_configILj256ELj13ELNS0_17block_load_methodE3ELS4_3ELS4_3ELNS0_20block_scan_algorithmE0ELj4294967295EEENS1_25partition_config_selectorILNS1_17partition_subalgoE3EjNS0_10empty_typeEbEEZZNS1_14partition_implILS8_3ELb0ES6_jNS0_17counting_iteratorIjlEEPS9_SE_NS0_5tupleIJPjSE_EEENSF_IJSE_SE_EEES9_SG_JZNS1_25segmented_radix_sort_implINS0_14default_configELb0EPKaPaPKlPlN2at6native12_GLOBAL__N_18offset_tEEE10hipError_tPvRmT1_PNSt15iterator_traitsISY_E10value_typeET2_T3_PNSZ_IS14_E10value_typeET4_jRbjT5_S1A_jjP12ihipStream_tbEUljE_EEESV_SW_SX_S14_S18_S1A_T6_T7_T9_mT8_S1C_bDpT10_ENKUlT_T0_E_clISt17integral_constantIbLb0EES1O_IbLb1EEEEDaS1K_S1L_EUlS1K_E_NS1_11comp_targetILNS1_3genE2ELNS1_11target_archE906ELNS1_3gpuE6ELNS1_3repE0EEENS1_30default_config_static_selectorELNS0_4arch9wavefront6targetE0EEEvSY_.has_recursion, 0
	.set _ZN7rocprim17ROCPRIM_400000_NS6detail17trampoline_kernelINS0_13select_configILj256ELj13ELNS0_17block_load_methodE3ELS4_3ELS4_3ELNS0_20block_scan_algorithmE0ELj4294967295EEENS1_25partition_config_selectorILNS1_17partition_subalgoE3EjNS0_10empty_typeEbEEZZNS1_14partition_implILS8_3ELb0ES6_jNS0_17counting_iteratorIjlEEPS9_SE_NS0_5tupleIJPjSE_EEENSF_IJSE_SE_EEES9_SG_JZNS1_25segmented_radix_sort_implINS0_14default_configELb0EPKaPaPKlPlN2at6native12_GLOBAL__N_18offset_tEEE10hipError_tPvRmT1_PNSt15iterator_traitsISY_E10value_typeET2_T3_PNSZ_IS14_E10value_typeET4_jRbjT5_S1A_jjP12ihipStream_tbEUljE_EEESV_SW_SX_S14_S18_S1A_T6_T7_T9_mT8_S1C_bDpT10_ENKUlT_T0_E_clISt17integral_constantIbLb0EES1O_IbLb1EEEEDaS1K_S1L_EUlS1K_E_NS1_11comp_targetILNS1_3genE2ELNS1_11target_archE906ELNS1_3gpuE6ELNS1_3repE0EEENS1_30default_config_static_selectorELNS0_4arch9wavefront6targetE0EEEvSY_.has_indirect_call, 0
	.section	.AMDGPU.csdata,"",@progbits
; Kernel info:
; codeLenInByte = 0
; TotalNumSgprs: 0
; NumVgprs: 0
; ScratchSize: 0
; MemoryBound: 0
; FloatMode: 240
; IeeeMode: 1
; LDSByteSize: 0 bytes/workgroup (compile time only)
; SGPRBlocks: 0
; VGPRBlocks: 0
; NumSGPRsForWavesPerEU: 1
; NumVGPRsForWavesPerEU: 1
; Occupancy: 16
; WaveLimiterHint : 0
; COMPUTE_PGM_RSRC2:SCRATCH_EN: 0
; COMPUTE_PGM_RSRC2:USER_SGPR: 2
; COMPUTE_PGM_RSRC2:TRAP_HANDLER: 0
; COMPUTE_PGM_RSRC2:TGID_X_EN: 1
; COMPUTE_PGM_RSRC2:TGID_Y_EN: 0
; COMPUTE_PGM_RSRC2:TGID_Z_EN: 0
; COMPUTE_PGM_RSRC2:TIDIG_COMP_CNT: 0
	.section	.text._ZN7rocprim17ROCPRIM_400000_NS6detail17trampoline_kernelINS0_13select_configILj256ELj13ELNS0_17block_load_methodE3ELS4_3ELS4_3ELNS0_20block_scan_algorithmE0ELj4294967295EEENS1_25partition_config_selectorILNS1_17partition_subalgoE3EjNS0_10empty_typeEbEEZZNS1_14partition_implILS8_3ELb0ES6_jNS0_17counting_iteratorIjlEEPS9_SE_NS0_5tupleIJPjSE_EEENSF_IJSE_SE_EEES9_SG_JZNS1_25segmented_radix_sort_implINS0_14default_configELb0EPKaPaPKlPlN2at6native12_GLOBAL__N_18offset_tEEE10hipError_tPvRmT1_PNSt15iterator_traitsISY_E10value_typeET2_T3_PNSZ_IS14_E10value_typeET4_jRbjT5_S1A_jjP12ihipStream_tbEUljE_EEESV_SW_SX_S14_S18_S1A_T6_T7_T9_mT8_S1C_bDpT10_ENKUlT_T0_E_clISt17integral_constantIbLb0EES1O_IbLb1EEEEDaS1K_S1L_EUlS1K_E_NS1_11comp_targetILNS1_3genE10ELNS1_11target_archE1200ELNS1_3gpuE4ELNS1_3repE0EEENS1_30default_config_static_selectorELNS0_4arch9wavefront6targetE0EEEvSY_,"axG",@progbits,_ZN7rocprim17ROCPRIM_400000_NS6detail17trampoline_kernelINS0_13select_configILj256ELj13ELNS0_17block_load_methodE3ELS4_3ELS4_3ELNS0_20block_scan_algorithmE0ELj4294967295EEENS1_25partition_config_selectorILNS1_17partition_subalgoE3EjNS0_10empty_typeEbEEZZNS1_14partition_implILS8_3ELb0ES6_jNS0_17counting_iteratorIjlEEPS9_SE_NS0_5tupleIJPjSE_EEENSF_IJSE_SE_EEES9_SG_JZNS1_25segmented_radix_sort_implINS0_14default_configELb0EPKaPaPKlPlN2at6native12_GLOBAL__N_18offset_tEEE10hipError_tPvRmT1_PNSt15iterator_traitsISY_E10value_typeET2_T3_PNSZ_IS14_E10value_typeET4_jRbjT5_S1A_jjP12ihipStream_tbEUljE_EEESV_SW_SX_S14_S18_S1A_T6_T7_T9_mT8_S1C_bDpT10_ENKUlT_T0_E_clISt17integral_constantIbLb0EES1O_IbLb1EEEEDaS1K_S1L_EUlS1K_E_NS1_11comp_targetILNS1_3genE10ELNS1_11target_archE1200ELNS1_3gpuE4ELNS1_3repE0EEENS1_30default_config_static_selectorELNS0_4arch9wavefront6targetE0EEEvSY_,comdat
	.globl	_ZN7rocprim17ROCPRIM_400000_NS6detail17trampoline_kernelINS0_13select_configILj256ELj13ELNS0_17block_load_methodE3ELS4_3ELS4_3ELNS0_20block_scan_algorithmE0ELj4294967295EEENS1_25partition_config_selectorILNS1_17partition_subalgoE3EjNS0_10empty_typeEbEEZZNS1_14partition_implILS8_3ELb0ES6_jNS0_17counting_iteratorIjlEEPS9_SE_NS0_5tupleIJPjSE_EEENSF_IJSE_SE_EEES9_SG_JZNS1_25segmented_radix_sort_implINS0_14default_configELb0EPKaPaPKlPlN2at6native12_GLOBAL__N_18offset_tEEE10hipError_tPvRmT1_PNSt15iterator_traitsISY_E10value_typeET2_T3_PNSZ_IS14_E10value_typeET4_jRbjT5_S1A_jjP12ihipStream_tbEUljE_EEESV_SW_SX_S14_S18_S1A_T6_T7_T9_mT8_S1C_bDpT10_ENKUlT_T0_E_clISt17integral_constantIbLb0EES1O_IbLb1EEEEDaS1K_S1L_EUlS1K_E_NS1_11comp_targetILNS1_3genE10ELNS1_11target_archE1200ELNS1_3gpuE4ELNS1_3repE0EEENS1_30default_config_static_selectorELNS0_4arch9wavefront6targetE0EEEvSY_ ; -- Begin function _ZN7rocprim17ROCPRIM_400000_NS6detail17trampoline_kernelINS0_13select_configILj256ELj13ELNS0_17block_load_methodE3ELS4_3ELS4_3ELNS0_20block_scan_algorithmE0ELj4294967295EEENS1_25partition_config_selectorILNS1_17partition_subalgoE3EjNS0_10empty_typeEbEEZZNS1_14partition_implILS8_3ELb0ES6_jNS0_17counting_iteratorIjlEEPS9_SE_NS0_5tupleIJPjSE_EEENSF_IJSE_SE_EEES9_SG_JZNS1_25segmented_radix_sort_implINS0_14default_configELb0EPKaPaPKlPlN2at6native12_GLOBAL__N_18offset_tEEE10hipError_tPvRmT1_PNSt15iterator_traitsISY_E10value_typeET2_T3_PNSZ_IS14_E10value_typeET4_jRbjT5_S1A_jjP12ihipStream_tbEUljE_EEESV_SW_SX_S14_S18_S1A_T6_T7_T9_mT8_S1C_bDpT10_ENKUlT_T0_E_clISt17integral_constantIbLb0EES1O_IbLb1EEEEDaS1K_S1L_EUlS1K_E_NS1_11comp_targetILNS1_3genE10ELNS1_11target_archE1200ELNS1_3gpuE4ELNS1_3repE0EEENS1_30default_config_static_selectorELNS0_4arch9wavefront6targetE0EEEvSY_
	.p2align	8
	.type	_ZN7rocprim17ROCPRIM_400000_NS6detail17trampoline_kernelINS0_13select_configILj256ELj13ELNS0_17block_load_methodE3ELS4_3ELS4_3ELNS0_20block_scan_algorithmE0ELj4294967295EEENS1_25partition_config_selectorILNS1_17partition_subalgoE3EjNS0_10empty_typeEbEEZZNS1_14partition_implILS8_3ELb0ES6_jNS0_17counting_iteratorIjlEEPS9_SE_NS0_5tupleIJPjSE_EEENSF_IJSE_SE_EEES9_SG_JZNS1_25segmented_radix_sort_implINS0_14default_configELb0EPKaPaPKlPlN2at6native12_GLOBAL__N_18offset_tEEE10hipError_tPvRmT1_PNSt15iterator_traitsISY_E10value_typeET2_T3_PNSZ_IS14_E10value_typeET4_jRbjT5_S1A_jjP12ihipStream_tbEUljE_EEESV_SW_SX_S14_S18_S1A_T6_T7_T9_mT8_S1C_bDpT10_ENKUlT_T0_E_clISt17integral_constantIbLb0EES1O_IbLb1EEEEDaS1K_S1L_EUlS1K_E_NS1_11comp_targetILNS1_3genE10ELNS1_11target_archE1200ELNS1_3gpuE4ELNS1_3repE0EEENS1_30default_config_static_selectorELNS0_4arch9wavefront6targetE0EEEvSY_,@function
_ZN7rocprim17ROCPRIM_400000_NS6detail17trampoline_kernelINS0_13select_configILj256ELj13ELNS0_17block_load_methodE3ELS4_3ELS4_3ELNS0_20block_scan_algorithmE0ELj4294967295EEENS1_25partition_config_selectorILNS1_17partition_subalgoE3EjNS0_10empty_typeEbEEZZNS1_14partition_implILS8_3ELb0ES6_jNS0_17counting_iteratorIjlEEPS9_SE_NS0_5tupleIJPjSE_EEENSF_IJSE_SE_EEES9_SG_JZNS1_25segmented_radix_sort_implINS0_14default_configELb0EPKaPaPKlPlN2at6native12_GLOBAL__N_18offset_tEEE10hipError_tPvRmT1_PNSt15iterator_traitsISY_E10value_typeET2_T3_PNSZ_IS14_E10value_typeET4_jRbjT5_S1A_jjP12ihipStream_tbEUljE_EEESV_SW_SX_S14_S18_S1A_T6_T7_T9_mT8_S1C_bDpT10_ENKUlT_T0_E_clISt17integral_constantIbLb0EES1O_IbLb1EEEEDaS1K_S1L_EUlS1K_E_NS1_11comp_targetILNS1_3genE10ELNS1_11target_archE1200ELNS1_3gpuE4ELNS1_3repE0EEENS1_30default_config_static_selectorELNS0_4arch9wavefront6targetE0EEEvSY_: ; @_ZN7rocprim17ROCPRIM_400000_NS6detail17trampoline_kernelINS0_13select_configILj256ELj13ELNS0_17block_load_methodE3ELS4_3ELS4_3ELNS0_20block_scan_algorithmE0ELj4294967295EEENS1_25partition_config_selectorILNS1_17partition_subalgoE3EjNS0_10empty_typeEbEEZZNS1_14partition_implILS8_3ELb0ES6_jNS0_17counting_iteratorIjlEEPS9_SE_NS0_5tupleIJPjSE_EEENSF_IJSE_SE_EEES9_SG_JZNS1_25segmented_radix_sort_implINS0_14default_configELb0EPKaPaPKlPlN2at6native12_GLOBAL__N_18offset_tEEE10hipError_tPvRmT1_PNSt15iterator_traitsISY_E10value_typeET2_T3_PNSZ_IS14_E10value_typeET4_jRbjT5_S1A_jjP12ihipStream_tbEUljE_EEESV_SW_SX_S14_S18_S1A_T6_T7_T9_mT8_S1C_bDpT10_ENKUlT_T0_E_clISt17integral_constantIbLb0EES1O_IbLb1EEEEDaS1K_S1L_EUlS1K_E_NS1_11comp_targetILNS1_3genE10ELNS1_11target_archE1200ELNS1_3gpuE4ELNS1_3repE0EEENS1_30default_config_static_selectorELNS0_4arch9wavefront6targetE0EEEvSY_
; %bb.0:
	s_clause 0x6
	s_load_b64 s[16:17], s[0:1], 0x10
	s_load_b64 s[10:11], s[0:1], 0x28
	;; [unrolled: 1-line block ×3, first 2 shown]
	s_load_b128 s[12:15], s[0:1], 0x48
	s_load_b32 s3, s[0:1], 0x90
	s_load_b64 s[20:21], s[0:1], 0x68
	s_load_b128 s[4:7], s[0:1], 0x80
	v_cmp_eq_u32_e64 s2, 0, v0
	s_and_saveexec_b32 s8, s2
	s_cbranch_execz .LBB390_4
; %bb.1:
	s_mov_b32 s22, exec_lo
	s_mov_b32 s9, exec_lo
	v_mbcnt_lo_u32_b32 v1, s22, 0
                                        ; implicit-def: $vgpr2
	s_delay_alu instid0(VALU_DEP_1)
	v_cmpx_eq_u32_e32 0, v1
	s_cbranch_execz .LBB390_3
; %bb.2:
	s_load_b64 s[24:25], s[0:1], 0x78
	s_bcnt1_i32_b32 s22, s22
	s_wait_alu 0xfffe
	v_dual_mov_b32 v2, 0 :: v_dual_mov_b32 v3, s22
	s_wait_kmcnt 0x0
	global_atomic_add_u32 v2, v2, v3, s[24:25] th:TH_ATOMIC_RETURN scope:SCOPE_DEV
.LBB390_3:
	s_or_b32 exec_lo, exec_lo, s9
	s_wait_loadcnt 0x0
	v_readfirstlane_b32 s9, v2
	s_delay_alu instid0(VALU_DEP_1)
	v_dual_mov_b32 v2, 0 :: v_dual_add_nc_u32 v1, s9, v1
	ds_store_b32 v2, v1
.LBB390_4:
	s_or_b32 exec_lo, exec_lo, s8
	v_mov_b32_e32 v1, 0
	s_clause 0x1
	s_load_b32 s8, s[0:1], 0x8
	s_load_b32 s0, s[0:1], 0x70
	s_wait_dscnt 0x0
	s_barrier_signal -1
	s_barrier_wait -1
	global_inv scope:SCOPE_SE
	ds_load_b32 v2, v1
	s_wait_loadcnt_dscnt 0x0
	s_barrier_signal -1
	s_barrier_wait -1
	global_inv scope:SCOPE_SE
	s_wait_kmcnt 0x0
	global_load_b64 v[17:18], v1, s[14:15]
	s_mov_b32 s1, 0
	v_lshlrev_b32_e32 v45, 2, v0
	s_mov_b32 s23, -1
	s_add_co_i32 s8, s8, s16
	s_add_co_i32 s9, s0, -1
	s_mulk_i32 s0, 0xd00
	s_delay_alu instid0(SALU_CYCLE_1)
	s_add_co_i32 s14, s0, s16
	s_add_nc_u64 s[0:1], s[16:17], s[0:1]
	v_readfirstlane_b32 s15, v2
	v_cmp_gt_u64_e64 s0, s[18:19], s[0:1]
	s_sub_co_i32 s22, s18, s14
	s_wait_alu 0xfffe
	v_cmp_ne_u32_e32 vcc_lo, s9, v2
	s_addk_co_i32 s22, 0xd00
	s_cmp_eq_u32 s15, s9
	s_mul_i32 s14, s15, 0xd00
	s_cselect_b32 s9, -1, 0
	s_or_b32 s1, s0, vcc_lo
	s_wait_alu 0xfffe
	s_and_b32 vcc_lo, exec_lo, s1
	s_cbranch_vccz .LBB390_6
; %bb.5:
	v_add3_u32 v1, s14, s8, v0
	s_mov_b32 s23, 0
	s_delay_alu instid0(VALU_DEP_1)
	v_add_nc_u32_e32 v2, 0x100, v1
	v_add_nc_u32_e32 v3, 0x200, v1
	;; [unrolled: 1-line block ×12, first 2 shown]
	ds_store_2addr_stride64_b32 v45, v1, v2 offset1:4
	ds_store_2addr_stride64_b32 v45, v3, v4 offset0:8 offset1:12
	ds_store_2addr_stride64_b32 v45, v5, v6 offset0:16 offset1:20
	;; [unrolled: 1-line block ×5, first 2 shown]
	ds_store_b32 v45, v13 offset:12288
	s_wait_loadcnt_dscnt 0x0
	s_barrier_signal -1
	s_barrier_wait -1
.LBB390_6:
	v_cmp_gt_u32_e64 s0, s22, v0
	v_or_b32_e32 v44, 0x100, v0
	v_or_b32_e32 v43, 0x200, v0
	;; [unrolled: 1-line block ×12, first 2 shown]
	s_wait_alu 0xfffe
	s_and_not1_b32 vcc_lo, exec_lo, s23
	s_cbranch_vccnz .LBB390_8
; %bb.7:
	s_add_co_i32 s8, s14, s8
	v_cmp_gt_u32_e32 vcc_lo, s22, v44
	s_wait_alu 0xfffe
	v_add_nc_u32_e32 v13, s8, v33
	v_add_nc_u32_e32 v12, s8, v34
	;; [unrolled: 1-line block ×12, first 2 shown]
	s_delay_alu instid0(VALU_DEP_1) | instskip(SKIP_1) | instid1(VALU_DEP_2)
	v_dual_cndmask_b32 v2, 0, v2 :: v_dual_add_nc_u32 v1, s8, v0
	v_cmp_gt_u32_e32 vcc_lo, s22, v43
	v_cndmask_b32_e64 v1, 0, v1, s0
	s_wait_alu 0xfffd
	v_cndmask_b32_e32 v3, 0, v3, vcc_lo
	v_cmp_gt_u32_e32 vcc_lo, s22, v42
	s_wait_alu 0xfffd
	v_cndmask_b32_e32 v4, 0, v4, vcc_lo
	v_cmp_gt_u32_e32 vcc_lo, s22, v41
	;; [unrolled: 3-line block ×10, first 2 shown]
	s_wait_alu 0xfffd
	v_cndmask_b32_e32 v13, 0, v13, vcc_lo
	ds_store_2addr_stride64_b32 v45, v1, v2 offset1:4
	ds_store_2addr_stride64_b32 v45, v3, v4 offset0:8 offset1:12
	ds_store_2addr_stride64_b32 v45, v5, v6 offset0:16 offset1:20
	;; [unrolled: 1-line block ×5, first 2 shown]
	ds_store_b32 v45, v13 offset:12288
	s_wait_loadcnt_dscnt 0x0
	s_barrier_signal -1
	s_barrier_wait -1
.LBB390_8:
	v_mul_u32_u24_e32 v48, 13, v0
	s_wait_loadcnt 0x0
	global_inv scope:SCOPE_SE
	v_cndmask_b32_e64 v46, 0, 1, s1
	s_and_not1_b32 vcc_lo, exec_lo, s1
	v_lshlrev_b32_e32 v1, 2, v48
	ds_load_2addr_b32 v[29:30], v1 offset0:2 offset1:3
	ds_load_2addr_b32 v[25:26], v1 offset0:6 offset1:7
	;; [unrolled: 1-line block ×3, first 2 shown]
	ds_load_2addr_b32 v[31:32], v1 offset1:1
	ds_load_2addr_b32 v[21:22], v1 offset0:10 offset1:11
	ds_load_b32 v47, v1 offset:48
	ds_load_2addr_b32 v[23:24], v1 offset0:8 offset1:9
	s_wait_loadcnt_dscnt 0x0
	s_barrier_signal -1
	s_barrier_wait -1
	global_inv scope:SCOPE_SE
	s_wait_alu 0xfffe
	s_cbranch_vccnz .LBB390_10
; %bb.9:
	v_add_nc_u32_e32 v1, s5, v30
	v_add_nc_u32_e32 v2, s7, v30
	;; [unrolled: 1-line block ×5, first 2 shown]
	v_mul_lo_u32 v1, v1, s4
	v_mul_lo_u32 v2, v2, s6
	v_add_nc_u32_e32 v8, s7, v29
	v_add_nc_u32_e32 v3, s5, v32
	;; [unrolled: 1-line block ×3, first 2 shown]
	v_mul_lo_u32 v5, v5, s4
	v_mul_lo_u32 v4, v4, s4
	v_add_nc_u32_e32 v9, s5, v27
	v_mul_lo_u32 v3, v3, s4
	v_sub_nc_u32_e32 v1, v1, v2
	v_mul_lo_u32 v2, v7, s6
	v_mul_lo_u32 v7, v8, s6
	;; [unrolled: 1-line block ×3, first 2 shown]
	v_add_nc_u32_e32 v8, s5, v28
	v_add_nc_u32_e32 v10, s7, v27
	v_mul_lo_u32 v9, v9, s4
	v_cmp_lt_u32_e32 vcc_lo, s3, v1
	v_add_nc_u32_e32 v14, s7, v22
	v_sub_nc_u32_e32 v2, v4, v2
	v_sub_nc_u32_e32 v4, v5, v7
	v_add_nc_u32_e32 v5, s7, v28
	v_sub_nc_u32_e32 v3, v3, v6
	v_add_nc_u32_e32 v6, s5, v26
	v_add_nc_u32_e32 v7, s7, v26
	v_mul_lo_u32 v8, v8, s4
	v_mul_lo_u32 v5, v5, s6
	;; [unrolled: 1-line block ×5, first 2 shown]
	s_wait_alu 0xfffd
	v_cndmask_b32_e64 v1, 0, 1, vcc_lo
	v_cmp_lt_u32_e32 vcc_lo, s3, v3
	v_mul_lo_u32 v14, v14, s6
	v_add_nc_u32_e32 v15, s7, v24
	v_sub_nc_u32_e32 v5, v8, v5
	v_add_nc_u32_e32 v8, s7, v25
	s_wait_alu 0xfffd
	v_cndmask_b32_e64 v3, 0, 1, vcc_lo
	v_sub_nc_u32_e32 v6, v6, v7
	v_mul_lo_u32 v15, v15, s6
	v_cmp_lt_u32_e32 vcc_lo, s3, v5
	v_mul_lo_u32 v7, v8, s6
	v_sub_nc_u32_e32 v8, v9, v10
	v_add_nc_u32_e32 v9, s5, v22
	v_add_nc_u32_e32 v10, s5, v24
	s_wait_alu 0xfffd
	v_cndmask_b32_e64 v5, 0, 1, vcc_lo
	v_cmp_lt_u32_e32 vcc_lo, s3, v6
	v_add_nc_u32_e32 v11, s5, v25
	v_mul_lo_u32 v9, v9, s4
	v_mul_lo_u32 v10, v10, s4
	v_add_nc_u32_e32 v12, s5, v23
	s_wait_alu 0xfffd
	v_cndmask_b32_e64 v6, 0, 1, vcc_lo
	v_mul_lo_u32 v11, v11, s4
	v_add_nc_u32_e32 v16, s7, v23
	v_lshlrev_b16 v3, 8, v3
	v_add_nc_u32_e32 v13, s5, v21
	v_sub_nc_u32_e32 v9, v9, v14
	v_sub_nc_u32_e32 v10, v10, v15
	v_add_nc_u32_e32 v19, s7, v21
	v_mul_lo_u32 v12, v12, s4
	v_mul_lo_u32 v16, v16, s6
	v_cmp_lt_u32_e32 vcc_lo, s3, v9
	v_sub_nc_u32_e32 v7, v11, v7
	v_lshrrev_b32_e32 v3, 8, v3
	v_mul_lo_u32 v11, v13, s4
	v_mul_lo_u32 v13, v19, s6
	s_wait_alu 0xfffd
	v_cndmask_b32_e64 v9, 0, 1, vcc_lo
	v_cmp_lt_u32_e32 vcc_lo, s3, v2
	v_sub_nc_u32_e32 v12, v12, v16
	v_lshlrev_b16 v3, 8, v3
	v_lshlrev_b16 v1, 8, v1
	;; [unrolled: 1-line block ×3, first 2 shown]
	s_wait_alu 0xfffd
	v_cndmask_b32_e64 v2, 0, 1, vcc_lo
	v_cmp_lt_u32_e32 vcc_lo, s3, v10
	v_sub_nc_u32_e32 v11, v11, v13
	v_add_nc_u32_e32 v14, s5, v47
	v_add_nc_u32_e32 v15, s7, v47
	v_or_b32_e32 v2, v2, v3
	s_wait_alu 0xfffd
	v_cndmask_b32_e64 v10, 0, 1, vcc_lo
	v_cmp_lt_u32_e32 vcc_lo, s3, v4
	v_lshlrev_b16 v3, 8, v9
	v_lshrrev_b32_e32 v5, 8, v5
	v_lshrrev_b32_e32 v1, 8, v1
	v_lshlrev_b16 v9, 8, v10
	s_wait_alu 0xfffd
	v_cndmask_b32_e64 v4, 0, 1, vcc_lo
	v_cmp_lt_u32_e32 vcc_lo, s3, v8
	v_lshrrev_b32_e32 v3, 8, v3
	v_mul_lo_u32 v14, v14, s4
	v_lshrrev_b32_e32 v9, 8, v9
	v_mul_lo_u32 v15, v15, s6
	s_wait_alu 0xfffd
	v_cndmask_b32_e64 v8, 0, 1, vcc_lo
	v_cmp_lt_u32_e32 vcc_lo, s3, v7
	v_lshlrev_b16 v6, 8, v6
	v_lshlrev_b16 v1, 8, v1
	v_lshlrev_b16 v5, 8, v5
	v_lshlrev_b16 v9, 8, v9
	s_wait_alu 0xfffd
	v_cndmask_b32_e64 v7, 0, 1, vcc_lo
	v_cmp_lt_u32_e32 vcc_lo, s3, v12
	v_lshlrev_b16 v3, 8, v3
	v_sub_nc_u32_e32 v10, v14, v15
	v_or_b32_e32 v1, v4, v1
	v_or_b32_e32 v4, v8, v5
	s_wait_alu 0xfffd
	v_cndmask_b32_e64 v12, 0, 1, vcc_lo
	v_cmp_lt_u32_e32 vcc_lo, s3, v11
	v_or_b32_e32 v5, v7, v6
	v_and_b32_e32 v2, 0xffff, v2
	v_lshlrev_b32_e32 v1, 16, v1
	v_or_b32_e32 v6, v12, v9
	s_wait_alu 0xfffd
	v_cndmask_b32_e64 v11, 0, 1, vcc_lo
	v_and_b32_e32 v4, 0xffff, v4
	v_lshlrev_b32_e32 v5, 16, v5
	v_cmp_lt_u32_e32 vcc_lo, s3, v10
	v_and_b32_e32 v6, 0xffff, v6
	v_or_b32_e32 v3, v11, v3
	v_or_b32_e32 v54, v2, v1
	;; [unrolled: 1-line block ×3, first 2 shown]
	s_wait_alu 0xfffd
	v_cndmask_b32_e64 v49, 0, 1, vcc_lo
	v_lshlrev_b32_e32 v3, 16, v3
	s_delay_alu instid0(VALU_DEP_1)
	v_or_b32_e32 v50, v6, v3
	s_cbranch_execz .LBB390_11
	s_branch .LBB390_38
.LBB390_10:
                                        ; implicit-def: $vgpr49
                                        ; implicit-def: $vgpr50
                                        ; implicit-def: $vgpr52
                                        ; implicit-def: $vgpr54
.LBB390_11:
	v_dual_mov_b32 v2, 0 :: v_dual_mov_b32 v1, 0
	s_mov_b32 s0, exec_lo
	v_cmpx_gt_u32_e64 s22, v48
	s_cbranch_execz .LBB390_13
; %bb.12:
	v_add_nc_u32_e32 v1, s5, v31
	v_add_nc_u32_e32 v3, s7, v31
	s_delay_alu instid0(VALU_DEP_2) | instskip(NEXT) | instid1(VALU_DEP_2)
	v_mul_lo_u32 v1, v1, s4
	v_mul_lo_u32 v3, v3, s6
	s_delay_alu instid0(VALU_DEP_1) | instskip(NEXT) | instid1(VALU_DEP_1)
	v_sub_nc_u32_e32 v1, v1, v3
	v_cmp_lt_u32_e32 vcc_lo, s3, v1
	s_wait_alu 0xfffd
	v_cndmask_b32_e64 v1, 0, 1, vcc_lo
.LBB390_13:
	s_wait_alu 0xfffe
	s_or_b32 exec_lo, exec_lo, s0
	v_add_nc_u32_e32 v3, 1, v48
	s_mov_b32 s0, exec_lo
	s_delay_alu instid0(VALU_DEP_1)
	v_cmpx_gt_u32_e64 s22, v3
	s_cbranch_execz .LBB390_15
; %bb.14:
	v_add_nc_u32_e32 v2, s5, v32
	v_add_nc_u32_e32 v3, s7, v32
	s_delay_alu instid0(VALU_DEP_2) | instskip(NEXT) | instid1(VALU_DEP_2)
	v_mul_lo_u32 v2, v2, s4
	v_mul_lo_u32 v3, v3, s6
	s_delay_alu instid0(VALU_DEP_1) | instskip(NEXT) | instid1(VALU_DEP_1)
	v_sub_nc_u32_e32 v2, v2, v3
	v_cmp_lt_u32_e32 vcc_lo, s3, v2
	s_wait_alu 0xfffd
	v_cndmask_b32_e64 v2, 0, 1, vcc_lo
.LBB390_15:
	s_wait_alu 0xfffe
	s_or_b32 exec_lo, exec_lo, s0
	v_dual_mov_b32 v4, 0 :: v_dual_add_nc_u32 v3, 2, v48
	s_delay_alu instid0(VALU_DEP_1)
	v_cmp_gt_u32_e32 vcc_lo, s22, v3
	v_mov_b32_e32 v3, 0
	s_and_saveexec_b32 s0, vcc_lo
	s_cbranch_execz .LBB390_17
; %bb.16:
	v_add_nc_u32_e32 v3, s5, v29
	v_add_nc_u32_e32 v5, s7, v29
	s_delay_alu instid0(VALU_DEP_2) | instskip(NEXT) | instid1(VALU_DEP_2)
	v_mul_lo_u32 v3, v3, s4
	v_mul_lo_u32 v5, v5, s6
	s_delay_alu instid0(VALU_DEP_1) | instskip(NEXT) | instid1(VALU_DEP_1)
	v_sub_nc_u32_e32 v3, v3, v5
	v_cmp_lt_u32_e32 vcc_lo, s3, v3
	s_wait_alu 0xfffd
	v_cndmask_b32_e64 v3, 0, 1, vcc_lo
.LBB390_17:
	s_wait_alu 0xfffe
	s_or_b32 exec_lo, exec_lo, s0
	v_add_nc_u32_e32 v5, 3, v48
	s_mov_b32 s0, exec_lo
	s_delay_alu instid0(VALU_DEP_1)
	v_cmpx_gt_u32_e64 s22, v5
	s_cbranch_execz .LBB390_19
; %bb.18:
	v_add_nc_u32_e32 v4, s5, v30
	v_add_nc_u32_e32 v5, s7, v30
	s_delay_alu instid0(VALU_DEP_2) | instskip(NEXT) | instid1(VALU_DEP_2)
	v_mul_lo_u32 v4, v4, s4
	v_mul_lo_u32 v5, v5, s6
	s_delay_alu instid0(VALU_DEP_1) | instskip(NEXT) | instid1(VALU_DEP_1)
	v_sub_nc_u32_e32 v4, v4, v5
	v_cmp_lt_u32_e32 vcc_lo, s3, v4
	s_wait_alu 0xfffd
	v_cndmask_b32_e64 v4, 0, 1, vcc_lo
.LBB390_19:
	s_wait_alu 0xfffe
	s_or_b32 exec_lo, exec_lo, s0
	v_dual_mov_b32 v6, 0 :: v_dual_add_nc_u32 v5, 4, v48
	s_delay_alu instid0(VALU_DEP_1)
	v_cmp_gt_u32_e32 vcc_lo, s22, v5
	v_mov_b32_e32 v5, 0
	s_and_saveexec_b32 s0, vcc_lo
	;; [unrolled: 39-line block ×5, first 2 shown]
	s_cbranch_execz .LBB390_33
; %bb.32:
	v_add_nc_u32_e32 v11, s5, v21
	v_add_nc_u32_e32 v13, s7, v21
	s_delay_alu instid0(VALU_DEP_2) | instskip(NEXT) | instid1(VALU_DEP_2)
	v_mul_lo_u32 v11, v11, s4
	v_mul_lo_u32 v13, v13, s6
	s_delay_alu instid0(VALU_DEP_1) | instskip(NEXT) | instid1(VALU_DEP_1)
	v_sub_nc_u32_e32 v11, v11, v13
	v_cmp_lt_u32_e32 vcc_lo, s3, v11
	s_wait_alu 0xfffd
	v_cndmask_b32_e64 v11, 0, 1, vcc_lo
.LBB390_33:
	s_wait_alu 0xfffe
	s_or_b32 exec_lo, exec_lo, s0
	v_add_nc_u32_e32 v13, 11, v48
	s_mov_b32 s0, exec_lo
	s_delay_alu instid0(VALU_DEP_1)
	v_cmpx_gt_u32_e64 s22, v13
	s_cbranch_execz .LBB390_35
; %bb.34:
	v_add_nc_u32_e32 v12, s5, v22
	v_add_nc_u32_e32 v13, s7, v22
	s_delay_alu instid0(VALU_DEP_2) | instskip(NEXT) | instid1(VALU_DEP_2)
	v_mul_lo_u32 v12, v12, s4
	v_mul_lo_u32 v13, v13, s6
	s_delay_alu instid0(VALU_DEP_1) | instskip(NEXT) | instid1(VALU_DEP_1)
	v_sub_nc_u32_e32 v12, v12, v13
	v_cmp_lt_u32_e32 vcc_lo, s3, v12
	s_wait_alu 0xfffd
	v_cndmask_b32_e64 v12, 0, 1, vcc_lo
.LBB390_35:
	s_wait_alu 0xfffe
	s_or_b32 exec_lo, exec_lo, s0
	v_add_nc_u32_e32 v13, 12, v48
	v_mov_b32_e32 v49, 0
	s_mov_b32 s0, exec_lo
	s_delay_alu instid0(VALU_DEP_2)
	v_cmpx_gt_u32_e64 s22, v13
	s_cbranch_execz .LBB390_37
; %bb.36:
	v_add_nc_u32_e32 v13, s5, v47
	v_add_nc_u32_e32 v14, s7, v47
	s_delay_alu instid0(VALU_DEP_2) | instskip(NEXT) | instid1(VALU_DEP_2)
	v_mul_lo_u32 v13, v13, s4
	v_mul_lo_u32 v14, v14, s6
	s_delay_alu instid0(VALU_DEP_1) | instskip(NEXT) | instid1(VALU_DEP_1)
	v_sub_nc_u32_e32 v13, v13, v14
	v_cmp_lt_u32_e32 vcc_lo, s3, v13
	s_wait_alu 0xfffd
	v_cndmask_b32_e64 v49, 0, 1, vcc_lo
.LBB390_37:
	s_wait_alu 0xfffe
	s_or_b32 exec_lo, exec_lo, s0
	v_lshlrev_b16 v2, 8, v2
	v_lshlrev_b16 v4, 8, v4
	;; [unrolled: 1-line block ×5, first 2 shown]
	v_or_b32_e32 v1, v1, v2
	v_lshlrev_b16 v2, 8, v12
	v_or_b32_e32 v3, v3, v4
	v_or_b32_e32 v4, v5, v6
	;; [unrolled: 1-line block ×5, first 2 shown]
	v_and_b32_e32 v1, 0xffff, v1
	v_lshlrev_b32_e32 v3, 16, v3
	v_and_b32_e32 v4, 0xffff, v4
	v_lshlrev_b32_e32 v5, 16, v5
	;; [unrolled: 2-line block ×3, first 2 shown]
	v_or_b32_e32 v54, v1, v3
	s_delay_alu instid0(VALU_DEP_4) | instskip(NEXT) | instid1(VALU_DEP_3)
	v_or_b32_e32 v52, v4, v5
	v_or_b32_e32 v50, v6, v2
.LBB390_38:
	s_delay_alu instid0(VALU_DEP_3)
	v_and_b32_e32 v56, 0xff, v54
	v_bfe_u32 v57, v54, 8, 8
	v_bfe_u32 v58, v54, 16, 8
	v_lshrrev_b32_e32 v55, 24, v54
	v_and_b32_e32 v59, 0xff, v52
	v_bfe_u32 v60, v52, 8, 8
	v_bfe_u32 v61, v52, 16, 8
	v_add3_u32 v1, v57, v56, v58
	v_lshrrev_b32_e32 v53, 24, v52
	v_and_b32_e32 v62, 0xff, v50
	v_bfe_u32 v63, v50, 8, 8
	v_mbcnt_lo_u32_b32 v65, -1, 0
	v_add3_u32 v1, v1, v55, v59
	v_bfe_u32 v64, v50, 16, 8
	v_lshrrev_b32_e32 v51, 24, v50
	v_and_b32_e32 v2, 0xff, v49
	v_and_b32_e32 v3, 15, v65
	v_add3_u32 v1, v1, v60, v61
	v_or_b32_e32 v4, 31, v0
	v_and_b32_e32 v5, 16, v65
	v_lshrrev_b32_e32 v66, 5, v0
	v_cmp_eq_u32_e64 s6, 0, v3
	v_add3_u32 v1, v1, v53, v62
	v_cmp_lt_u32_e64 s5, 1, v3
	v_cmp_lt_u32_e64 s4, 3, v3
	;; [unrolled: 1-line block ×3, first 2 shown]
	v_cmp_eq_u32_e64 s1, 0, v5
	v_add3_u32 v1, v1, v63, v64
	v_cmp_eq_u32_e64 s0, v0, v4
	s_cmp_lg_u32 s15, 0
	s_mov_b32 s7, -1
	v_add3_u32 v67, v1, v51, v2
	s_cbranch_scc0 .LBB390_59
; %bb.39:
	s_delay_alu instid0(VALU_DEP_1) | instskip(NEXT) | instid1(VALU_DEP_1)
	v_mov_b32_dpp v1, v67 row_shr:1 row_mask:0xf bank_mask:0xf
	v_cndmask_b32_e64 v1, v1, 0, s6
	s_delay_alu instid0(VALU_DEP_1) | instskip(NEXT) | instid1(VALU_DEP_1)
	v_add_nc_u32_e32 v1, v1, v67
	v_mov_b32_dpp v2, v1 row_shr:2 row_mask:0xf bank_mask:0xf
	s_delay_alu instid0(VALU_DEP_1) | instskip(NEXT) | instid1(VALU_DEP_1)
	v_cndmask_b32_e64 v2, 0, v2, s5
	v_add_nc_u32_e32 v1, v1, v2
	s_delay_alu instid0(VALU_DEP_1) | instskip(NEXT) | instid1(VALU_DEP_1)
	v_mov_b32_dpp v2, v1 row_shr:4 row_mask:0xf bank_mask:0xf
	v_cndmask_b32_e64 v2, 0, v2, s4
	s_delay_alu instid0(VALU_DEP_1) | instskip(NEXT) | instid1(VALU_DEP_1)
	v_add_nc_u32_e32 v1, v1, v2
	v_mov_b32_dpp v2, v1 row_shr:8 row_mask:0xf bank_mask:0xf
	s_delay_alu instid0(VALU_DEP_1) | instskip(NEXT) | instid1(VALU_DEP_1)
	v_cndmask_b32_e64 v2, 0, v2, s3
	v_add_nc_u32_e32 v1, v1, v2
	ds_swizzle_b32 v2, v1 offset:swizzle(BROADCAST,32,15)
	s_wait_dscnt 0x0
	v_cndmask_b32_e64 v2, v2, 0, s1
	s_delay_alu instid0(VALU_DEP_1)
	v_add_nc_u32_e32 v1, v1, v2
	s_and_saveexec_b32 s7, s0
; %bb.40:
	v_lshlrev_b32_e32 v2, 2, v66
	ds_store_b32 v2, v1
; %bb.41:
	s_wait_alu 0xfffe
	s_or_b32 exec_lo, exec_lo, s7
	s_delay_alu instid0(SALU_CYCLE_1)
	s_mov_b32 s7, exec_lo
	s_wait_loadcnt_dscnt 0x0
	s_barrier_signal -1
	s_barrier_wait -1
	global_inv scope:SCOPE_SE
	v_cmpx_gt_u32_e32 8, v0
	s_cbranch_execz .LBB390_43
; %bb.42:
	ds_load_b32 v2, v45
	s_wait_dscnt 0x0
	v_mov_b32_dpp v4, v2 row_shr:1 row_mask:0xf bank_mask:0xf
	v_and_b32_e32 v3, 7, v65
	s_delay_alu instid0(VALU_DEP_1) | instskip(SKIP_1) | instid1(VALU_DEP_3)
	v_cmp_ne_u32_e32 vcc_lo, 0, v3
	s_wait_alu 0xfffd
	v_cndmask_b32_e32 v4, 0, v4, vcc_lo
	v_cmp_lt_u32_e32 vcc_lo, 1, v3
	s_delay_alu instid0(VALU_DEP_2) | instskip(NEXT) | instid1(VALU_DEP_1)
	v_add_nc_u32_e32 v2, v4, v2
	v_mov_b32_dpp v4, v2 row_shr:2 row_mask:0xf bank_mask:0xf
	s_wait_alu 0xfffd
	s_delay_alu instid0(VALU_DEP_1) | instskip(SKIP_1) | instid1(VALU_DEP_2)
	v_cndmask_b32_e32 v4, 0, v4, vcc_lo
	v_cmp_lt_u32_e32 vcc_lo, 3, v3
	v_add_nc_u32_e32 v2, v2, v4
	s_delay_alu instid0(VALU_DEP_1) | instskip(SKIP_1) | instid1(VALU_DEP_1)
	v_mov_b32_dpp v4, v2 row_shr:4 row_mask:0xf bank_mask:0xf
	s_wait_alu 0xfffd
	v_cndmask_b32_e32 v3, 0, v4, vcc_lo
	s_delay_alu instid0(VALU_DEP_1)
	v_add_nc_u32_e32 v2, v2, v3
	ds_store_b32 v45, v2
.LBB390_43:
	s_wait_alu 0xfffe
	s_or_b32 exec_lo, exec_lo, s7
	s_delay_alu instid0(SALU_CYCLE_1)
	s_mov_b32 s8, exec_lo
	v_cmp_gt_u32_e32 vcc_lo, 32, v0
	s_wait_loadcnt_dscnt 0x0
	s_barrier_signal -1
	s_barrier_wait -1
	global_inv scope:SCOPE_SE
                                        ; implicit-def: $vgpr9
	v_cmpx_lt_u32_e32 31, v0
	s_cbranch_execz .LBB390_45
; %bb.44:
	v_lshl_add_u32 v2, v66, 2, -4
	ds_load_b32 v9, v2
	s_wait_dscnt 0x0
	v_add_nc_u32_e32 v1, v9, v1
.LBB390_45:
	s_wait_alu 0xfffe
	s_or_b32 exec_lo, exec_lo, s8
	v_sub_co_u32 v2, s7, v65, 1
	s_delay_alu instid0(VALU_DEP_1) | instskip(SKIP_1) | instid1(VALU_DEP_1)
	v_cmp_gt_i32_e64 s8, 0, v2
	s_wait_alu 0xf1ff
	v_cndmask_b32_e64 v2, v2, v65, s8
	s_delay_alu instid0(VALU_DEP_1)
	v_lshlrev_b32_e32 v2, 2, v2
	ds_bpermute_b32 v10, v2, v1
	s_and_saveexec_b32 s8, vcc_lo
	s_cbranch_execz .LBB390_64
; %bb.46:
	v_mov_b32_e32 v5, 0
	ds_load_b32 v1, v5 offset:28
	s_and_saveexec_b32 s23, s7
	s_cbranch_execz .LBB390_48
; %bb.47:
	s_add_co_i32 s24, s15, 32
	s_mov_b32 s25, 0
	v_mov_b32_e32 v2, 1
	s_lshl_b64 s[24:25], s[24:25], 3
	s_delay_alu instid0(SALU_CYCLE_1)
	s_add_nc_u64 s[24:25], s[20:21], s[24:25]
	s_wait_dscnt 0x0
	global_store_b64 v5, v[1:2], s[24:25] scope:SCOPE_DEV
.LBB390_48:
	s_wait_alu 0xfffe
	s_or_b32 exec_lo, exec_lo, s23
	v_xad_u32 v3, v65, -1, s15
	s_mov_b32 s24, 0
	s_mov_b32 s23, exec_lo
	s_delay_alu instid0(VALU_DEP_1) | instskip(NEXT) | instid1(VALU_DEP_1)
	v_add_nc_u32_e32 v4, 32, v3
	v_lshlrev_b64_e32 v[4:5], 3, v[4:5]
	s_delay_alu instid0(VALU_DEP_1) | instskip(SKIP_1) | instid1(VALU_DEP_2)
	v_add_co_u32 v7, vcc_lo, s20, v4
	s_wait_alu 0xfffd
	v_add_co_ci_u32_e64 v8, null, s21, v5, vcc_lo
	global_load_b64 v[5:6], v[7:8], off scope:SCOPE_DEV
	s_wait_loadcnt 0x0
	v_and_b32_e32 v2, 0xff, v6
	s_delay_alu instid0(VALU_DEP_1)
	v_cmpx_eq_u16_e32 0, v2
	s_cbranch_execz .LBB390_51
.LBB390_49:                             ; =>This Inner Loop Header: Depth=1
	global_load_b64 v[5:6], v[7:8], off scope:SCOPE_DEV
	s_wait_loadcnt 0x0
	v_and_b32_e32 v2, 0xff, v6
	s_delay_alu instid0(VALU_DEP_1) | instskip(SKIP_1) | instid1(SALU_CYCLE_1)
	v_cmp_ne_u16_e32 vcc_lo, 0, v2
	s_or_b32 s24, vcc_lo, s24
	s_and_not1_b32 exec_lo, exec_lo, s24
	s_cbranch_execnz .LBB390_49
; %bb.50:
	s_or_b32 exec_lo, exec_lo, s24
.LBB390_51:
	s_wait_alu 0xfffe
	s_or_b32 exec_lo, exec_lo, s23
	v_cmp_ne_u32_e32 vcc_lo, 31, v65
	v_lshlrev_b32_e64 v12, v65, -1
	v_add_nc_u32_e32 v14, 2, v65
	v_add_nc_u32_e32 v16, 4, v65
	;; [unrolled: 1-line block ×3, first 2 shown]
	s_wait_alu 0xfffd
	v_add_co_ci_u32_e64 v2, null, 0, v65, vcc_lo
	v_lshl_or_b32 v68, v65, 2, 64
	v_add_nc_u32_e32 v69, 16, v65
	s_delay_alu instid0(VALU_DEP_3)
	v_lshlrev_b32_e32 v11, 2, v2
	v_and_b32_e32 v2, 0xff, v6
	ds_bpermute_b32 v4, v11, v5
	v_cmp_eq_u16_e32 vcc_lo, 2, v2
	s_wait_alu 0xfffd
	v_and_or_b32 v2, vcc_lo, v12, 0x80000000
	v_cmp_gt_u32_e32 vcc_lo, 30, v65
	s_delay_alu instid0(VALU_DEP_2) | instskip(SKIP_2) | instid1(VALU_DEP_2)
	v_ctz_i32_b32_e32 v2, v2
	s_wait_alu 0xfffd
	v_cndmask_b32_e64 v7, 0, 2, vcc_lo
	v_cmp_lt_u32_e32 vcc_lo, v65, v2
	s_delay_alu instid0(VALU_DEP_2) | instskip(SKIP_4) | instid1(VALU_DEP_2)
	v_add_lshl_u32 v13, v7, v65, 2
	s_wait_dscnt 0x0
	s_wait_alu 0xfffd
	v_cndmask_b32_e32 v4, 0, v4, vcc_lo
	v_cmp_gt_u32_e32 vcc_lo, 28, v65
	v_add_nc_u32_e32 v4, v4, v5
	s_wait_alu 0xfffd
	v_cndmask_b32_e64 v7, 0, 4, vcc_lo
	v_cmp_le_u32_e32 vcc_lo, v14, v2
	ds_bpermute_b32 v5, v13, v4
	v_add_lshl_u32 v15, v7, v65, 2
	s_wait_dscnt 0x0
	s_wait_alu 0xfffd
	v_cndmask_b32_e32 v5, 0, v5, vcc_lo
	v_cmp_gt_u32_e32 vcc_lo, 24, v65
	s_delay_alu instid0(VALU_DEP_2)
	v_add_nc_u32_e32 v4, v4, v5
	s_wait_alu 0xfffd
	v_cndmask_b32_e64 v7, 0, 8, vcc_lo
	v_cmp_le_u32_e32 vcc_lo, v16, v2
	ds_bpermute_b32 v5, v15, v4
	v_add_lshl_u32 v19, v7, v65, 2
	s_wait_dscnt 0x0
	s_wait_alu 0xfffd
	v_cndmask_b32_e32 v5, 0, v5, vcc_lo
	v_cmp_le_u32_e32 vcc_lo, v20, v2
	s_delay_alu instid0(VALU_DEP_2)
	v_add_nc_u32_e32 v4, v4, v5
	ds_bpermute_b32 v5, v19, v4
	s_wait_dscnt 0x0
	s_wait_alu 0xfffd
	v_cndmask_b32_e32 v5, 0, v5, vcc_lo
	v_cmp_le_u32_e32 vcc_lo, v69, v2
	s_delay_alu instid0(VALU_DEP_2) | instskip(SKIP_4) | instid1(VALU_DEP_1)
	v_add_nc_u32_e32 v4, v4, v5
	ds_bpermute_b32 v5, v68, v4
	s_wait_dscnt 0x0
	s_wait_alu 0xfffd
	v_cndmask_b32_e32 v2, 0, v5, vcc_lo
	v_dual_mov_b32 v4, 0 :: v_dual_add_nc_u32 v5, v4, v2
	s_branch .LBB390_55
.LBB390_52:                             ;   in Loop: Header=BB390_55 Depth=1
	s_or_b32 exec_lo, exec_lo, s24
.LBB390_53:                             ;   in Loop: Header=BB390_55 Depth=1
	s_wait_alu 0xfffe
	s_or_b32 exec_lo, exec_lo, s23
	ds_bpermute_b32 v8, v11, v5
	v_and_b32_e32 v7, 0xff, v6
	v_subrev_nc_u32_e32 v3, 32, v3
	s_mov_b32 s23, 0
	s_delay_alu instid0(VALU_DEP_2) | instskip(SKIP_2) | instid1(VALU_DEP_1)
	v_cmp_eq_u16_e32 vcc_lo, 2, v7
	s_wait_alu 0xfffd
	v_and_or_b32 v7, vcc_lo, v12, 0x80000000
	v_ctz_i32_b32_e32 v7, v7
	s_delay_alu instid0(VALU_DEP_1) | instskip(SKIP_4) | instid1(VALU_DEP_2)
	v_cmp_lt_u32_e32 vcc_lo, v65, v7
	s_wait_dscnt 0x0
	s_wait_alu 0xfffd
	v_cndmask_b32_e32 v8, 0, v8, vcc_lo
	v_cmp_le_u32_e32 vcc_lo, v14, v7
	v_add_nc_u32_e32 v5, v8, v5
	ds_bpermute_b32 v8, v13, v5
	s_wait_dscnt 0x0
	s_wait_alu 0xfffd
	v_cndmask_b32_e32 v8, 0, v8, vcc_lo
	v_cmp_le_u32_e32 vcc_lo, v16, v7
	s_delay_alu instid0(VALU_DEP_2)
	v_add_nc_u32_e32 v5, v5, v8
	ds_bpermute_b32 v8, v15, v5
	s_wait_dscnt 0x0
	s_wait_alu 0xfffd
	v_cndmask_b32_e32 v8, 0, v8, vcc_lo
	v_cmp_le_u32_e32 vcc_lo, v20, v7
	s_delay_alu instid0(VALU_DEP_2)
	v_add_nc_u32_e32 v5, v5, v8
	ds_bpermute_b32 v8, v19, v5
	s_wait_dscnt 0x0
	s_wait_alu 0xfffd
	v_cndmask_b32_e32 v8, 0, v8, vcc_lo
	v_cmp_le_u32_e32 vcc_lo, v69, v7
	s_delay_alu instid0(VALU_DEP_2) | instskip(SKIP_4) | instid1(VALU_DEP_1)
	v_add_nc_u32_e32 v5, v5, v8
	ds_bpermute_b32 v8, v68, v5
	s_wait_dscnt 0x0
	s_wait_alu 0xfffd
	v_cndmask_b32_e32 v7, 0, v8, vcc_lo
	v_add3_u32 v5, v7, v2, v5
.LBB390_54:                             ;   in Loop: Header=BB390_55 Depth=1
	s_wait_alu 0xfffe
	s_and_b32 vcc_lo, exec_lo, s23
	s_wait_alu 0xfffe
	s_cbranch_vccnz .LBB390_60
.LBB390_55:                             ; =>This Loop Header: Depth=1
                                        ;     Child Loop BB390_58 Depth 2
	v_and_b32_e32 v2, 0xff, v6
	s_mov_b32 s23, -1
                                        ; implicit-def: $vgpr6
	s_delay_alu instid0(VALU_DEP_1)
	v_cmp_ne_u16_e32 vcc_lo, 2, v2
	v_mov_b32_e32 v2, v5
                                        ; implicit-def: $vgpr5
	s_cmp_lg_u32 vcc_lo, exec_lo
	s_cbranch_scc1 .LBB390_54
; %bb.56:                               ;   in Loop: Header=BB390_55 Depth=1
	v_lshlrev_b64_e32 v[5:6], 3, v[3:4]
	s_mov_b32 s23, exec_lo
	s_delay_alu instid0(VALU_DEP_1) | instskip(SKIP_1) | instid1(VALU_DEP_2)
	v_add_co_u32 v7, vcc_lo, s20, v5
	s_wait_alu 0xfffd
	v_add_co_ci_u32_e64 v8, null, s21, v6, vcc_lo
	global_load_b64 v[5:6], v[7:8], off scope:SCOPE_DEV
	s_wait_loadcnt 0x0
	v_and_b32_e32 v70, 0xff, v6
	s_delay_alu instid0(VALU_DEP_1)
	v_cmpx_eq_u16_e32 0, v70
	s_cbranch_execz .LBB390_53
; %bb.57:                               ;   in Loop: Header=BB390_55 Depth=1
	s_mov_b32 s24, 0
.LBB390_58:                             ;   Parent Loop BB390_55 Depth=1
                                        ; =>  This Inner Loop Header: Depth=2
	global_load_b64 v[5:6], v[7:8], off scope:SCOPE_DEV
	s_wait_loadcnt 0x0
	v_and_b32_e32 v70, 0xff, v6
	s_delay_alu instid0(VALU_DEP_1) | instskip(SKIP_1) | instid1(SALU_CYCLE_1)
	v_cmp_ne_u16_e32 vcc_lo, 0, v70
	s_or_b32 s24, vcc_lo, s24
	s_and_not1_b32 exec_lo, exec_lo, s24
	s_cbranch_execnz .LBB390_58
	s_branch .LBB390_52
.LBB390_59:
                                        ; implicit-def: $vgpr20
                                        ; implicit-def: $vgpr1_vgpr2_vgpr3_vgpr4_vgpr5_vgpr6_vgpr7_vgpr8_vgpr9_vgpr10_vgpr11_vgpr12_vgpr13_vgpr14_vgpr15_vgpr16
	s_wait_alu 0xfffe
	s_and_b32 vcc_lo, exec_lo, s7
	s_wait_alu 0xfffe
	s_cbranch_vccnz .LBB390_65
	s_branch .LBB390_74
.LBB390_60:
	s_and_saveexec_b32 s23, s7
	s_cbranch_execz .LBB390_62
; %bb.61:
	s_add_co_i32 s24, s15, 32
	s_mov_b32 s25, 0
	v_dual_mov_b32 v4, 2 :: v_dual_add_nc_u32 v3, v2, v1
	v_mov_b32_e32 v5, 0
	s_lshl_b64 s[24:25], s[24:25], 3
	s_delay_alu instid0(SALU_CYCLE_1)
	s_add_nc_u64 s[24:25], s[20:21], s[24:25]
	global_store_b64 v5, v[3:4], s[24:25] scope:SCOPE_DEV
	ds_store_b64 v5, v[1:2] offset:13312
.LBB390_62:
	s_wait_alu 0xfffe
	s_or_b32 exec_lo, exec_lo, s23
	s_delay_alu instid0(SALU_CYCLE_1)
	s_and_b32 exec_lo, exec_lo, s2
; %bb.63:
	v_mov_b32_e32 v1, 0
	ds_store_b32 v1, v2 offset:28
.LBB390_64:
	s_wait_alu 0xfffe
	s_or_b32 exec_lo, exec_lo, s8
	v_mov_b32_e32 v11, 0
	s_wait_storecnt 0x0
	s_wait_loadcnt_dscnt 0x0
	s_barrier_signal -1
	s_barrier_wait -1
	global_inv scope:SCOPE_SE
	ds_load_b32 v1, v11 offset:28
	v_cndmask_b32_e64 v2, v10, v9, s7
	s_wait_loadcnt_dscnt 0x0
	s_barrier_signal -1
	s_barrier_wait -1
	global_inv scope:SCOPE_SE
	v_cndmask_b32_e64 v2, v2, 0, s2
	s_delay_alu instid0(VALU_DEP_1) | instskip(NEXT) | instid1(VALU_DEP_1)
	v_add_nc_u32_e32 v1, v1, v2
	v_add_nc_u32_e32 v2, v1, v56
	ds_load_b64 v[19:20], v11 offset:13312
	v_add_nc_u32_e32 v3, v2, v57
	s_delay_alu instid0(VALU_DEP_1) | instskip(NEXT) | instid1(VALU_DEP_1)
	v_add_nc_u32_e32 v4, v3, v58
	v_add_nc_u32_e32 v5, v4, v55
	s_delay_alu instid0(VALU_DEP_1) | instskip(NEXT) | instid1(VALU_DEP_1)
	v_add_nc_u32_e32 v6, v5, v59
	;; [unrolled: 3-line block ×5, first 2 shown]
	v_add_nc_u32_e32 v13, v12, v51
	s_branch .LBB390_74
.LBB390_65:
	v_mov_b32_dpp v1, v67 row_shr:1 row_mask:0xf bank_mask:0xf
	s_delay_alu instid0(VALU_DEP_1) | instskip(NEXT) | instid1(VALU_DEP_1)
	v_cndmask_b32_e64 v1, v1, 0, s6
	v_add_nc_u32_e32 v1, v1, v67
	s_delay_alu instid0(VALU_DEP_1) | instskip(NEXT) | instid1(VALU_DEP_1)
	v_mov_b32_dpp v2, v1 row_shr:2 row_mask:0xf bank_mask:0xf
	v_cndmask_b32_e64 v2, 0, v2, s5
	s_delay_alu instid0(VALU_DEP_1) | instskip(NEXT) | instid1(VALU_DEP_1)
	v_add_nc_u32_e32 v1, v1, v2
	v_mov_b32_dpp v2, v1 row_shr:4 row_mask:0xf bank_mask:0xf
	s_delay_alu instid0(VALU_DEP_1) | instskip(NEXT) | instid1(VALU_DEP_1)
	v_cndmask_b32_e64 v2, 0, v2, s4
	v_add_nc_u32_e32 v1, v1, v2
	s_delay_alu instid0(VALU_DEP_1) | instskip(NEXT) | instid1(VALU_DEP_1)
	v_mov_b32_dpp v2, v1 row_shr:8 row_mask:0xf bank_mask:0xf
	v_cndmask_b32_e64 v2, 0, v2, s3
	s_delay_alu instid0(VALU_DEP_1) | instskip(SKIP_3) | instid1(VALU_DEP_1)
	v_add_nc_u32_e32 v1, v1, v2
	ds_swizzle_b32 v2, v1 offset:swizzle(BROADCAST,32,15)
	s_wait_dscnt 0x0
	v_cndmask_b32_e64 v2, v2, 0, s1
	v_add_nc_u32_e32 v1, v1, v2
	s_and_saveexec_b32 s1, s0
; %bb.66:
	v_lshlrev_b32_e32 v2, 2, v66
	ds_store_b32 v2, v1
; %bb.67:
	s_wait_alu 0xfffe
	s_or_b32 exec_lo, exec_lo, s1
	s_delay_alu instid0(SALU_CYCLE_1)
	s_mov_b32 s0, exec_lo
	s_wait_loadcnt_dscnt 0x0
	s_barrier_signal -1
	s_barrier_wait -1
	global_inv scope:SCOPE_SE
	v_cmpx_gt_u32_e32 8, v0
	s_cbranch_execz .LBB390_69
; %bb.68:
	ds_load_b32 v2, v45
	s_wait_dscnt 0x0
	v_mov_b32_dpp v4, v2 row_shr:1 row_mask:0xf bank_mask:0xf
	v_and_b32_e32 v3, 7, v65
	s_delay_alu instid0(VALU_DEP_1) | instskip(SKIP_1) | instid1(VALU_DEP_3)
	v_cmp_ne_u32_e32 vcc_lo, 0, v3
	s_wait_alu 0xfffd
	v_cndmask_b32_e32 v4, 0, v4, vcc_lo
	v_cmp_lt_u32_e32 vcc_lo, 1, v3
	s_delay_alu instid0(VALU_DEP_2) | instskip(NEXT) | instid1(VALU_DEP_1)
	v_add_nc_u32_e32 v2, v4, v2
	v_mov_b32_dpp v4, v2 row_shr:2 row_mask:0xf bank_mask:0xf
	s_wait_alu 0xfffd
	s_delay_alu instid0(VALU_DEP_1) | instskip(SKIP_1) | instid1(VALU_DEP_2)
	v_cndmask_b32_e32 v4, 0, v4, vcc_lo
	v_cmp_lt_u32_e32 vcc_lo, 3, v3
	v_add_nc_u32_e32 v2, v2, v4
	s_delay_alu instid0(VALU_DEP_1) | instskip(SKIP_1) | instid1(VALU_DEP_1)
	v_mov_b32_dpp v4, v2 row_shr:4 row_mask:0xf bank_mask:0xf
	s_wait_alu 0xfffd
	v_cndmask_b32_e32 v3, 0, v4, vcc_lo
	s_delay_alu instid0(VALU_DEP_1)
	v_add_nc_u32_e32 v2, v2, v3
	ds_store_b32 v45, v2
.LBB390_69:
	s_wait_alu 0xfffe
	s_or_b32 exec_lo, exec_lo, s0
	v_dual_mov_b32 v3, 0 :: v_dual_mov_b32 v2, 0
	s_mov_b32 s0, exec_lo
	s_wait_loadcnt_dscnt 0x0
	s_barrier_signal -1
	s_barrier_wait -1
	global_inv scope:SCOPE_SE
	v_cmpx_lt_u32_e32 31, v0
; %bb.70:
	v_lshl_add_u32 v2, v66, 2, -4
	ds_load_b32 v2, v2
; %bb.71:
	s_wait_alu 0xfffe
	s_or_b32 exec_lo, exec_lo, s0
	v_sub_co_u32 v4, vcc_lo, v65, 1
	s_wait_dscnt 0x0
	v_add_nc_u32_e32 v1, v2, v1
	ds_load_b32 v19, v3 offset:28
	v_cmp_gt_i32_e64 s0, 0, v4
	s_wait_alu 0xf1ff
	s_delay_alu instid0(VALU_DEP_1) | instskip(NEXT) | instid1(VALU_DEP_1)
	v_cndmask_b32_e64 v4, v4, v65, s0
	v_lshlrev_b32_e32 v4, 2, v4
	ds_bpermute_b32 v1, v4, v1
	s_and_saveexec_b32 s0, s2
	s_cbranch_execz .LBB390_73
; %bb.72:
	v_dual_mov_b32 v3, 0 :: v_dual_mov_b32 v20, 2
	s_wait_dscnt 0x1
	global_store_b64 v3, v[19:20], s[20:21] offset:256 scope:SCOPE_DEV
.LBB390_73:
	s_wait_alu 0xfffe
	s_or_b32 exec_lo, exec_lo, s0
	s_wait_dscnt 0x0
	s_wait_alu 0xfffd
	v_cndmask_b32_e32 v1, v1, v2, vcc_lo
	s_wait_loadcnt 0x0
	s_wait_storecnt 0x0
	s_barrier_signal -1
	s_barrier_wait -1
	global_inv scope:SCOPE_SE
	v_cndmask_b32_e64 v1, v1, 0, s2
	v_mov_b32_e32 v20, 0
	s_delay_alu instid0(VALU_DEP_2) | instskip(NEXT) | instid1(VALU_DEP_1)
	v_add_nc_u32_e32 v2, v1, v56
	v_add_nc_u32_e32 v3, v2, v57
	s_delay_alu instid0(VALU_DEP_1) | instskip(NEXT) | instid1(VALU_DEP_1)
	v_add_nc_u32_e32 v4, v3, v58
	v_add_nc_u32_e32 v5, v4, v55
	s_delay_alu instid0(VALU_DEP_1) | instskip(NEXT) | instid1(VALU_DEP_1)
	;; [unrolled: 3-line block ×5, first 2 shown]
	v_add_nc_u32_e32 v12, v11, v64
	v_add_nc_u32_e32 v13, v12, v51
.LBB390_74:
	s_wait_dscnt 0x0
	v_sub_nc_u32_e32 v1, v1, v20
	v_sub_nc_u32_e32 v2, v2, v20
	v_add_nc_u32_e32 v48, v19, v48
	v_lshrrev_b32_e32 v58, 8, v54
	v_lshrrev_b32_e32 v57, 16, v54
	v_sub_nc_u32_e32 v4, v4, v20
	v_sub_nc_u32_e32 v3, v3, v20
	;; [unrolled: 1-line block ×3, first 2 shown]
	v_and_b32_e32 v54, 1, v54
	v_and_b32_e32 v58, 1, v58
	v_and_b32_e32 v55, 1, v55
	v_lshrrev_b32_e32 v56, 8, v52
	v_lshrrev_b32_e32 v16, 16, v52
	v_cmp_eq_u32_e32 vcc_lo, 1, v54
	v_and_b32_e32 v54, 1, v57
	v_sub_nc_u32_e32 v57, v48, v2
	v_lshrrev_b32_e32 v15, 8, v50
	v_lshrrev_b32_e32 v14, 16, v50
	s_wait_alu 0xfffd
	v_cndmask_b32_e32 v1, v59, v1, vcc_lo
	v_cmp_eq_u32_e32 vcc_lo, 1, v58
	v_add_nc_u32_e32 v57, 1, v57
	s_delay_alu instid0(VALU_DEP_3)
	v_lshlrev_b32_e32 v1, 2, v1
	ds_store_b32 v1, v31
	s_wait_alu 0xfffd
	v_cndmask_b32_e32 v1, v57, v2, vcc_lo
	v_sub_nc_u32_e32 v59, v48, v3
	v_sub_nc_u32_e32 v60, v48, v4
	v_cmp_eq_u32_e32 vcc_lo, 1, v54
	s_delay_alu instid0(VALU_DEP_4) | instskip(NEXT) | instid1(VALU_DEP_4)
	v_lshlrev_b32_e32 v1, 2, v1
	v_add_nc_u32_e32 v59, 2, v59
	s_delay_alu instid0(VALU_DEP_4)
	v_add_nc_u32_e32 v60, 3, v60
	ds_store_b32 v1, v32
	s_wait_alu 0xfffd
	v_cndmask_b32_e32 v2, v59, v3, vcc_lo
	v_cmp_eq_u32_e32 vcc_lo, 1, v55
	s_wait_alu 0xfffd
	s_delay_alu instid0(VALU_DEP_2) | instskip(SKIP_2) | instid1(VALU_DEP_3)
	v_dual_cndmask_b32 v3, v60, v4 :: v_dual_lshlrev_b32 v2, 2, v2
	v_sub_nc_u32_e32 v4, v5, v20
	v_sub_nc_u32_e32 v5, v6, v20
	v_lshlrev_b32_e32 v3, 2, v3
	s_delay_alu instid0(VALU_DEP_3) | instskip(NEXT) | instid1(VALU_DEP_3)
	v_sub_nc_u32_e32 v1, v48, v4
	v_sub_nc_u32_e32 v6, v48, v5
	ds_store_b32 v2, v29
	ds_store_b32 v3, v30
	v_and_b32_e32 v2, 1, v52
	v_add_nc_u32_e32 v1, 4, v1
	v_add_nc_u32_e32 v3, 5, v6
	v_sub_nc_u32_e32 v6, v7, v20
	v_and_b32_e32 v7, 1, v56
	v_cmp_eq_u32_e32 vcc_lo, 1, v2
	v_sub_nc_u32_e32 v2, v8, v20
	s_wait_alu 0xfffd
	v_dual_cndmask_b32 v1, v1, v4 :: v_dual_and_b32 v8, 1, v53
	v_sub_nc_u32_e32 v4, v48, v6
	v_cmp_eq_u32_e32 vcc_lo, 1, v7
	v_and_b32_e32 v7, 1, v16
	s_delay_alu instid0(VALU_DEP_4)
	v_lshlrev_b32_e32 v1, 2, v1
	s_wait_alu 0xfffd
	v_dual_cndmask_b32 v3, v3, v5 :: v_dual_add_nc_u32 v4, 6, v4
	v_sub_nc_u32_e32 v5, v48, v2
	v_cmp_eq_u32_e32 vcc_lo, 1, v7
	v_sub_nc_u32_e32 v7, v13, v20
	s_delay_alu instid0(VALU_DEP_4)
	v_lshlrev_b32_e32 v3, 2, v3
	s_wait_alu 0xfffd
	v_dual_cndmask_b32 v4, v4, v6 :: v_dual_add_nc_u32 v5, 7, v5
	v_cmp_eq_u32_e32 vcc_lo, 1, v8
	v_sub_nc_u32_e32 v6, v9, v20
	ds_store_b32 v1, v27
	ds_store_b32 v3, v28
	s_wait_alu 0xfffd
	v_dual_cndmask_b32 v2, v5, v2 :: v_dual_lshlrev_b32 v3, 2, v4
	v_sub_nc_u32_e32 v1, v48, v6
	v_and_b32_e32 v5, 1, v50
	v_sub_nc_u32_e32 v4, v10, v20
	v_and_b32_e32 v10, 1, v51
	v_lshlrev_b32_e32 v2, 2, v2
	v_add_nc_u32_e32 v1, 8, v1
	ds_store_b32 v3, v25
	ds_store_b32 v2, v26
	v_cmp_eq_u32_e32 vcc_lo, 1, v5
	v_sub_nc_u32_e32 v3, v11, v20
	v_sub_nc_u32_e32 v2, v48, v4
	;; [unrolled: 1-line block ×3, first 2 shown]
	v_and_b32_e32 v11, 1, v49
	s_wait_alu 0xfffd
	v_dual_cndmask_b32 v1, v1, v6 :: v_dual_and_b32 v6, 1, v15
	v_sub_nc_u32_e32 v8, v48, v3
	v_add_nc_u32_e32 v2, 9, v2
	v_sub_nc_u32_e32 v9, v48, v5
	s_delay_alu instid0(VALU_DEP_4)
	v_lshlrev_b32_e32 v1, 2, v1
	v_cmp_eq_u32_e32 vcc_lo, 1, v6
	v_add_nc_u32_e32 v6, 10, v8
	v_and_b32_e32 v8, 1, v14
	v_add_nc_u32_e32 v9, 11, v9
	v_add_co_u32 v15, s0, v17, v20
	s_wait_alu 0xfffd
	v_cndmask_b32_e32 v2, v2, v4, vcc_lo
	v_cmp_eq_u32_e32 vcc_lo, 1, v8
	v_sub_nc_u32_e32 v4, v48, v7
	s_wait_alu 0xf1ff
	v_add_co_ci_u32_e64 v16, null, 0, v18, s0
	s_wait_alu 0xfffd
	v_dual_cndmask_b32 v3, v6, v3 :: v_dual_lshlrev_b32 v2, 2, v2
	v_cmp_eq_u32_e32 vcc_lo, 1, v10
	v_add_nc_u32_e32 v4, 12, v4
	s_delay_alu instid0(VALU_DEP_3) | instskip(SKIP_4) | instid1(VALU_DEP_2)
	v_lshlrev_b32_e32 v3, 2, v3
	s_wait_alu 0xfffd
	v_cndmask_b32_e32 v5, v9, v5, vcc_lo
	v_cmp_eq_u32_e32 vcc_lo, 1, v11
	s_wait_alu 0xfffd
	v_dual_cndmask_b32 v4, v4, v7 :: v_dual_lshlrev_b32 v5, 2, v5
	v_cmp_ne_u32_e32 vcc_lo, 1, v46
	s_delay_alu instid0(VALU_DEP_2)
	v_lshlrev_b32_e32 v4, 2, v4
	ds_store_b32 v1, v23
	ds_store_b32 v2, v24
	;; [unrolled: 1-line block ×5, first 2 shown]
	s_wait_loadcnt_dscnt 0x0
	s_barrier_signal -1
	s_barrier_wait -1
	global_inv scope:SCOPE_SE
	ds_load_2addr_stride64_b32 v[11:12], v45 offset1:4
	ds_load_2addr_stride64_b32 v[9:10], v45 offset0:8 offset1:12
	ds_load_2addr_stride64_b32 v[7:8], v45 offset0:16 offset1:20
	;; [unrolled: 1-line block ×5, first 2 shown]
	ds_load_b32 v21, v45 offset:12288
	s_cbranch_vccnz .LBB390_131
; %bb.75:
	s_mov_b32 s15, 0
	v_sub_co_u32 v13, vcc_lo, v15, s16
	s_wait_alu 0xfffe
	s_sub_nc_u64 s[0:1], s[18:19], s[14:15]
	s_wait_alu 0xfffd
	v_subrev_co_ci_u32_e64 v14, null, s17, v16, vcc_lo
	s_wait_alu 0xfffe
	v_add_co_u32 v17, s0, s0, v19
	s_wait_alu 0xf1ff
	v_add_co_ci_u32_e64 v18, null, s1, 0, s0
	s_mov_b32 s0, exec_lo
	v_add_co_u32 v17, vcc_lo, v17, v13
	s_wait_alu 0xfffd
	v_add_co_ci_u32_e64 v18, null, v18, v14, vcc_lo
                                        ; implicit-def: $vgpr13_vgpr14
	v_cmpx_ge_u32_e64 v0, v19
	s_wait_alu 0xfffe
	s_xor_b32 s0, exec_lo, s0
; %bb.76:
	v_not_b32_e32 v13, v0
	s_delay_alu instid0(VALU_DEP_1) | instskip(SKIP_2) | instid1(VALU_DEP_2)
	v_ashrrev_i32_e32 v14, 31, v13
	v_add_co_u32 v13, vcc_lo, v17, v13
	s_wait_alu 0xfffd
	v_add_co_ci_u32_e64 v14, null, v18, v14, vcc_lo
; %bb.77:
	s_wait_alu 0xfffe
	s_and_not1_saveexec_b32 s0, s0
; %bb.78:
	v_add_co_u32 v13, vcc_lo, v15, v0
	s_wait_alu 0xfffd
	v_add_co_ci_u32_e64 v14, null, 0, v16, vcc_lo
; %bb.79:
	s_wait_alu 0xfffe
	s_or_b32 exec_lo, exec_lo, s0
	s_delay_alu instid0(VALU_DEP_1) | instskip(SKIP_1) | instid1(VALU_DEP_1)
	v_lshlrev_b64_e32 v[13:14], 2, v[13:14]
	s_mov_b32 s0, exec_lo
	v_add_co_u32 v13, vcc_lo, s10, v13
	s_wait_alu 0xfffd
	s_delay_alu instid0(VALU_DEP_2)
	v_add_co_ci_u32_e64 v14, null, s11, v14, vcc_lo
	s_wait_dscnt 0x6
	global_store_b32 v[13:14], v11, off
                                        ; implicit-def: $vgpr13_vgpr14
	v_cmpx_ge_u32_e64 v44, v19
	s_wait_alu 0xfffe
	s_xor_b32 s0, exec_lo, s0
; %bb.80:
	v_xor_b32_e32 v13, 0xfffffeff, v0
	s_delay_alu instid0(VALU_DEP_1) | instskip(SKIP_2) | instid1(VALU_DEP_2)
	v_ashrrev_i32_e32 v14, 31, v13
	v_add_co_u32 v13, vcc_lo, v17, v13
	s_wait_alu 0xfffd
	v_add_co_ci_u32_e64 v14, null, v18, v14, vcc_lo
; %bb.81:
	s_wait_alu 0xfffe
	s_and_not1_saveexec_b32 s0, s0
; %bb.82:
	v_add_co_u32 v13, vcc_lo, v15, v44
	s_wait_alu 0xfffd
	v_add_co_ci_u32_e64 v14, null, 0, v16, vcc_lo
; %bb.83:
	s_wait_alu 0xfffe
	s_or_b32 exec_lo, exec_lo, s0
	s_delay_alu instid0(VALU_DEP_1) | instskip(SKIP_1) | instid1(VALU_DEP_1)
	v_lshlrev_b64_e32 v[13:14], 2, v[13:14]
	s_mov_b32 s0, exec_lo
	v_add_co_u32 v13, vcc_lo, s10, v13
	s_wait_alu 0xfffd
	s_delay_alu instid0(VALU_DEP_2)
	v_add_co_ci_u32_e64 v14, null, s11, v14, vcc_lo
	global_store_b32 v[13:14], v12, off
                                        ; implicit-def: $vgpr13_vgpr14
	v_cmpx_ge_u32_e64 v43, v19
	s_wait_alu 0xfffe
	s_xor_b32 s0, exec_lo, s0
; %bb.84:
	v_xor_b32_e32 v13, 0xfffffdff, v0
	s_delay_alu instid0(VALU_DEP_1) | instskip(SKIP_2) | instid1(VALU_DEP_2)
	v_ashrrev_i32_e32 v14, 31, v13
	v_add_co_u32 v13, vcc_lo, v17, v13
	s_wait_alu 0xfffd
	v_add_co_ci_u32_e64 v14, null, v18, v14, vcc_lo
; %bb.85:
	s_wait_alu 0xfffe
	s_and_not1_saveexec_b32 s0, s0
; %bb.86:
	v_add_co_u32 v13, vcc_lo, v15, v43
	s_wait_alu 0xfffd
	v_add_co_ci_u32_e64 v14, null, 0, v16, vcc_lo
; %bb.87:
	s_wait_alu 0xfffe
	s_or_b32 exec_lo, exec_lo, s0
	s_delay_alu instid0(VALU_DEP_1) | instskip(SKIP_1) | instid1(VALU_DEP_1)
	v_lshlrev_b64_e32 v[13:14], 2, v[13:14]
	s_mov_b32 s0, exec_lo
	v_add_co_u32 v13, vcc_lo, s10, v13
	s_wait_alu 0xfffd
	s_delay_alu instid0(VALU_DEP_2)
	v_add_co_ci_u32_e64 v14, null, s11, v14, vcc_lo
	s_wait_dscnt 0x5
	global_store_b32 v[13:14], v9, off
                                        ; implicit-def: $vgpr13_vgpr14
	v_cmpx_ge_u32_e64 v42, v19
	s_wait_alu 0xfffe
	s_xor_b32 s0, exec_lo, s0
; %bb.88:
	v_xor_b32_e32 v13, 0xfffffcff, v0
	s_delay_alu instid0(VALU_DEP_1) | instskip(SKIP_2) | instid1(VALU_DEP_2)
	v_ashrrev_i32_e32 v14, 31, v13
	v_add_co_u32 v13, vcc_lo, v17, v13
	s_wait_alu 0xfffd
	v_add_co_ci_u32_e64 v14, null, v18, v14, vcc_lo
; %bb.89:
	s_wait_alu 0xfffe
	s_and_not1_saveexec_b32 s0, s0
; %bb.90:
	v_add_co_u32 v13, vcc_lo, v15, v42
	s_wait_alu 0xfffd
	v_add_co_ci_u32_e64 v14, null, 0, v16, vcc_lo
; %bb.91:
	s_wait_alu 0xfffe
	s_or_b32 exec_lo, exec_lo, s0
	s_delay_alu instid0(VALU_DEP_1) | instskip(SKIP_1) | instid1(VALU_DEP_1)
	v_lshlrev_b64_e32 v[13:14], 2, v[13:14]
	s_mov_b32 s0, exec_lo
	v_add_co_u32 v13, vcc_lo, s10, v13
	s_wait_alu 0xfffd
	s_delay_alu instid0(VALU_DEP_2)
	v_add_co_ci_u32_e64 v14, null, s11, v14, vcc_lo
	global_store_b32 v[13:14], v10, off
                                        ; implicit-def: $vgpr13_vgpr14
	v_cmpx_ge_u32_e64 v41, v19
	s_wait_alu 0xfffe
	s_xor_b32 s0, exec_lo, s0
; %bb.92:
	v_xor_b32_e32 v13, 0xfffffbff, v0
	;; [unrolled: 59-line block ×6, first 2 shown]
	s_delay_alu instid0(VALU_DEP_1) | instskip(SKIP_2) | instid1(VALU_DEP_2)
	v_ashrrev_i32_e32 v14, 31, v13
	v_add_co_u32 v13, vcc_lo, v17, v13
	s_wait_alu 0xfffd
	v_add_co_ci_u32_e64 v14, null, v18, v14, vcc_lo
; %bb.125:
	s_wait_alu 0xfffe
	s_and_not1_saveexec_b32 s0, s0
; %bb.126:
	v_add_co_u32 v13, vcc_lo, v15, v33
	s_wait_alu 0xfffd
	v_add_co_ci_u32_e64 v14, null, 0, v16, vcc_lo
; %bb.127:
	s_wait_alu 0xfffe
	s_or_b32 exec_lo, exec_lo, s0
	s_mov_b32 s0, -1
.LBB390_128:
	s_wait_alu 0xfffe
	s_and_saveexec_b32 s1, s0
	s_cbranch_execz .LBB390_211
.LBB390_129:
	s_wait_dscnt 0x1
	v_lshlrev_b64_e32 v[0:1], 2, v[13:14]
	s_delay_alu instid0(VALU_DEP_1) | instskip(SKIP_1) | instid1(VALU_DEP_2)
	v_add_co_u32 v0, vcc_lo, s10, v0
	s_wait_alu 0xfffd
	v_add_co_ci_u32_e64 v1, null, s11, v1, vcc_lo
	s_wait_dscnt 0x0
	global_store_b32 v[0:1], v21, off
	s_wait_alu 0xfffe
	s_or_b32 exec_lo, exec_lo, s1
	s_and_b32 s0, s2, s9
	s_wait_alu 0xfffe
	s_and_saveexec_b32 s1, s0
	s_cbranch_execnz .LBB390_212
.LBB390_130:
	s_endpgm
.LBB390_131:
	s_mov_b32 s0, 0
                                        ; implicit-def: $vgpr13_vgpr14
	s_cbranch_execz .LBB390_128
; %bb.132:
	s_mov_b32 s15, 0
	s_wait_alu 0xfffe
	s_add_nc_u64 s[4:5], s[16:17], s[14:15]
	s_wait_alu 0xfffe
	s_sub_nc_u64 s[4:5], s[18:19], s[4:5]
	s_wait_alu 0xfffe
	v_add_co_u32 v13, s1, s4, v19
	s_wait_alu 0xf1ff
	v_add_co_ci_u32_e64 v14, null, s5, 0, s1
	s_mov_b32 s1, exec_lo
	v_add_co_u32 v17, vcc_lo, v13, v15
	s_wait_alu 0xfffd
	v_add_co_ci_u32_e64 v18, null, v14, v16, vcc_lo
	v_cmpx_gt_u32_e64 s22, v0
	s_cbranch_execz .LBB390_168
; %bb.133:
	s_mov_b32 s3, exec_lo
                                        ; implicit-def: $vgpr13_vgpr14
	v_cmpx_ge_u32_e64 v0, v19
	s_wait_alu 0xfffe
	s_xor_b32 s3, exec_lo, s3
; %bb.134:
	v_not_b32_e32 v13, v0
	s_delay_alu instid0(VALU_DEP_1) | instskip(SKIP_2) | instid1(VALU_DEP_2)
	v_ashrrev_i32_e32 v14, 31, v13
	v_add_co_u32 v13, vcc_lo, v17, v13
	s_wait_alu 0xfffd
	v_add_co_ci_u32_e64 v14, null, v18, v14, vcc_lo
; %bb.135:
	s_wait_alu 0xfffe
	s_and_not1_saveexec_b32 s3, s3
; %bb.136:
	v_add_co_u32 v13, vcc_lo, v15, v0
	s_wait_alu 0xfffd
	v_add_co_ci_u32_e64 v14, null, 0, v16, vcc_lo
; %bb.137:
	s_wait_alu 0xfffe
	s_or_b32 exec_lo, exec_lo, s3
	s_delay_alu instid0(VALU_DEP_1) | instskip(NEXT) | instid1(VALU_DEP_1)
	v_lshlrev_b64_e32 v[13:14], 2, v[13:14]
	v_add_co_u32 v13, vcc_lo, s10, v13
	s_wait_alu 0xfffd
	s_delay_alu instid0(VALU_DEP_2) | instskip(SKIP_3) | instid1(SALU_CYCLE_1)
	v_add_co_ci_u32_e64 v14, null, s11, v14, vcc_lo
	s_wait_dscnt 0x6
	global_store_b32 v[13:14], v11, off
	s_or_b32 exec_lo, exec_lo, s1
	s_mov_b32 s1, exec_lo
	v_cmpx_gt_u32_e64 s22, v44
	s_cbranch_execnz .LBB390_169
.LBB390_138:
	s_wait_alu 0xfffe
	s_or_b32 exec_lo, exec_lo, s1
	s_delay_alu instid0(SALU_CYCLE_1)
	s_mov_b32 s1, exec_lo
	v_cmpx_gt_u32_e64 s22, v43
	s_cbranch_execz .LBB390_174
.LBB390_139:
	s_mov_b32 s3, exec_lo
                                        ; implicit-def: $vgpr11_vgpr12
	v_cmpx_ge_u32_e64 v43, v19
	s_wait_alu 0xfffe
	s_xor_b32 s3, exec_lo, s3
	s_cbranch_execz .LBB390_141
; %bb.140:
	s_wait_dscnt 0x6
	v_xor_b32_e32 v11, 0xfffffdff, v0
                                        ; implicit-def: $vgpr43
	s_delay_alu instid0(VALU_DEP_1) | instskip(SKIP_2) | instid1(VALU_DEP_2)
	v_ashrrev_i32_e32 v12, 31, v11
	v_add_co_u32 v11, vcc_lo, v17, v11
	s_wait_alu 0xfffd
	v_add_co_ci_u32_e64 v12, null, v18, v12, vcc_lo
.LBB390_141:
	s_wait_alu 0xfffe
	s_and_not1_saveexec_b32 s3, s3
	s_cbranch_execz .LBB390_143
; %bb.142:
	s_wait_dscnt 0x6
	v_add_co_u32 v11, vcc_lo, v15, v43
	s_wait_alu 0xfffd
	v_add_co_ci_u32_e64 v12, null, 0, v16, vcc_lo
.LBB390_143:
	s_wait_alu 0xfffe
	s_or_b32 exec_lo, exec_lo, s3
	s_wait_dscnt 0x6
	s_delay_alu instid0(VALU_DEP_1) | instskip(NEXT) | instid1(VALU_DEP_1)
	v_lshlrev_b64_e32 v[11:12], 2, v[11:12]
	v_add_co_u32 v11, vcc_lo, s10, v11
	s_wait_alu 0xfffd
	s_delay_alu instid0(VALU_DEP_2) | instskip(SKIP_3) | instid1(SALU_CYCLE_1)
	v_add_co_ci_u32_e64 v12, null, s11, v12, vcc_lo
	s_wait_dscnt 0x5
	global_store_b32 v[11:12], v9, off
	s_or_b32 exec_lo, exec_lo, s1
	s_mov_b32 s1, exec_lo
	v_cmpx_gt_u32_e64 s22, v42
	s_cbranch_execnz .LBB390_175
.LBB390_144:
	s_wait_alu 0xfffe
	s_or_b32 exec_lo, exec_lo, s1
	s_delay_alu instid0(SALU_CYCLE_1)
	s_mov_b32 s1, exec_lo
	v_cmpx_gt_u32_e64 s22, v41
	s_cbranch_execz .LBB390_180
.LBB390_145:
	s_mov_b32 s3, exec_lo
                                        ; implicit-def: $vgpr9_vgpr10
	v_cmpx_ge_u32_e64 v41, v19
	s_wait_alu 0xfffe
	s_xor_b32 s3, exec_lo, s3
	s_cbranch_execz .LBB390_147
; %bb.146:
	s_wait_dscnt 0x5
	v_xor_b32_e32 v9, 0xfffffbff, v0
                                        ; implicit-def: $vgpr41
	s_delay_alu instid0(VALU_DEP_1) | instskip(SKIP_2) | instid1(VALU_DEP_2)
	v_ashrrev_i32_e32 v10, 31, v9
	v_add_co_u32 v9, vcc_lo, v17, v9
	s_wait_alu 0xfffd
	v_add_co_ci_u32_e64 v10, null, v18, v10, vcc_lo
.LBB390_147:
	s_wait_alu 0xfffe
	s_and_not1_saveexec_b32 s3, s3
	s_cbranch_execz .LBB390_149
; %bb.148:
	s_wait_dscnt 0x5
	v_add_co_u32 v9, vcc_lo, v15, v41
	s_wait_alu 0xfffd
	v_add_co_ci_u32_e64 v10, null, 0, v16, vcc_lo
.LBB390_149:
	s_wait_alu 0xfffe
	s_or_b32 exec_lo, exec_lo, s3
	s_wait_dscnt 0x5
	s_delay_alu instid0(VALU_DEP_1) | instskip(NEXT) | instid1(VALU_DEP_1)
	v_lshlrev_b64_e32 v[9:10], 2, v[9:10]
	v_add_co_u32 v9, vcc_lo, s10, v9
	s_wait_alu 0xfffd
	s_delay_alu instid0(VALU_DEP_2) | instskip(SKIP_3) | instid1(SALU_CYCLE_1)
	v_add_co_ci_u32_e64 v10, null, s11, v10, vcc_lo
	s_wait_dscnt 0x4
	global_store_b32 v[9:10], v7, off
	s_or_b32 exec_lo, exec_lo, s1
	s_mov_b32 s1, exec_lo
	v_cmpx_gt_u32_e64 s22, v40
	s_cbranch_execnz .LBB390_181
.LBB390_150:
	s_wait_alu 0xfffe
	s_or_b32 exec_lo, exec_lo, s1
	s_delay_alu instid0(SALU_CYCLE_1)
	s_mov_b32 s1, exec_lo
	v_cmpx_gt_u32_e64 s22, v39
	s_cbranch_execz .LBB390_186
.LBB390_151:
	s_mov_b32 s3, exec_lo
                                        ; implicit-def: $vgpr7_vgpr8
	v_cmpx_ge_u32_e64 v39, v19
	s_wait_alu 0xfffe
	s_xor_b32 s3, exec_lo, s3
	s_cbranch_execz .LBB390_153
; %bb.152:
	s_wait_dscnt 0x4
	v_xor_b32_e32 v7, 0xfffff9ff, v0
                                        ; implicit-def: $vgpr39
	s_delay_alu instid0(VALU_DEP_1) | instskip(SKIP_2) | instid1(VALU_DEP_2)
	v_ashrrev_i32_e32 v8, 31, v7
	v_add_co_u32 v7, vcc_lo, v17, v7
	s_wait_alu 0xfffd
	v_add_co_ci_u32_e64 v8, null, v18, v8, vcc_lo
.LBB390_153:
	s_wait_alu 0xfffe
	s_and_not1_saveexec_b32 s3, s3
	s_cbranch_execz .LBB390_155
; %bb.154:
	s_wait_dscnt 0x4
	v_add_co_u32 v7, vcc_lo, v15, v39
	s_wait_alu 0xfffd
	v_add_co_ci_u32_e64 v8, null, 0, v16, vcc_lo
.LBB390_155:
	s_wait_alu 0xfffe
	s_or_b32 exec_lo, exec_lo, s3
	s_wait_dscnt 0x4
	s_delay_alu instid0(VALU_DEP_1) | instskip(NEXT) | instid1(VALU_DEP_1)
	v_lshlrev_b64_e32 v[7:8], 2, v[7:8]
	v_add_co_u32 v7, vcc_lo, s10, v7
	s_wait_alu 0xfffd
	s_delay_alu instid0(VALU_DEP_2) | instskip(SKIP_3) | instid1(SALU_CYCLE_1)
	v_add_co_ci_u32_e64 v8, null, s11, v8, vcc_lo
	s_wait_dscnt 0x3
	global_store_b32 v[7:8], v5, off
	s_or_b32 exec_lo, exec_lo, s1
	s_mov_b32 s1, exec_lo
	v_cmpx_gt_u32_e64 s22, v38
	s_cbranch_execnz .LBB390_187
.LBB390_156:
	s_wait_alu 0xfffe
	s_or_b32 exec_lo, exec_lo, s1
	s_delay_alu instid0(SALU_CYCLE_1)
	s_mov_b32 s1, exec_lo
	v_cmpx_gt_u32_e64 s22, v37
	s_cbranch_execz .LBB390_192
.LBB390_157:
	s_mov_b32 s3, exec_lo
                                        ; implicit-def: $vgpr5_vgpr6
	v_cmpx_ge_u32_e64 v37, v19
	s_wait_alu 0xfffe
	s_xor_b32 s3, exec_lo, s3
	s_cbranch_execz .LBB390_159
; %bb.158:
	s_wait_dscnt 0x3
	v_xor_b32_e32 v5, 0xfffff7ff, v0
                                        ; implicit-def: $vgpr37
	s_delay_alu instid0(VALU_DEP_1) | instskip(SKIP_2) | instid1(VALU_DEP_2)
	v_ashrrev_i32_e32 v6, 31, v5
	v_add_co_u32 v5, vcc_lo, v17, v5
	s_wait_alu 0xfffd
	v_add_co_ci_u32_e64 v6, null, v18, v6, vcc_lo
.LBB390_159:
	s_wait_alu 0xfffe
	s_and_not1_saveexec_b32 s3, s3
	s_cbranch_execz .LBB390_161
; %bb.160:
	s_wait_dscnt 0x3
	v_add_co_u32 v5, vcc_lo, v15, v37
	s_wait_alu 0xfffd
	v_add_co_ci_u32_e64 v6, null, 0, v16, vcc_lo
.LBB390_161:
	s_wait_alu 0xfffe
	s_or_b32 exec_lo, exec_lo, s3
	s_wait_dscnt 0x3
	s_delay_alu instid0(VALU_DEP_1) | instskip(NEXT) | instid1(VALU_DEP_1)
	v_lshlrev_b64_e32 v[5:6], 2, v[5:6]
	v_add_co_u32 v5, vcc_lo, s10, v5
	s_wait_alu 0xfffd
	s_delay_alu instid0(VALU_DEP_2) | instskip(SKIP_3) | instid1(SALU_CYCLE_1)
	v_add_co_ci_u32_e64 v6, null, s11, v6, vcc_lo
	s_wait_dscnt 0x2
	global_store_b32 v[5:6], v3, off
	s_or_b32 exec_lo, exec_lo, s1
	s_mov_b32 s1, exec_lo
	v_cmpx_gt_u32_e64 s22, v36
	s_cbranch_execnz .LBB390_193
.LBB390_162:
	s_wait_alu 0xfffe
	s_or_b32 exec_lo, exec_lo, s1
	s_delay_alu instid0(SALU_CYCLE_1)
	s_mov_b32 s1, exec_lo
	v_cmpx_gt_u32_e64 s22, v35
	s_cbranch_execz .LBB390_198
.LBB390_163:
	s_mov_b32 s3, exec_lo
                                        ; implicit-def: $vgpr3_vgpr4
	v_cmpx_ge_u32_e64 v35, v19
	s_wait_alu 0xfffe
	s_xor_b32 s3, exec_lo, s3
	s_cbranch_execz .LBB390_165
; %bb.164:
	s_wait_dscnt 0x2
	v_xor_b32_e32 v3, 0xfffff5ff, v0
                                        ; implicit-def: $vgpr35
	s_delay_alu instid0(VALU_DEP_1) | instskip(SKIP_2) | instid1(VALU_DEP_2)
	v_ashrrev_i32_e32 v4, 31, v3
	v_add_co_u32 v3, vcc_lo, v17, v3
	s_wait_alu 0xfffd
	v_add_co_ci_u32_e64 v4, null, v18, v4, vcc_lo
.LBB390_165:
	s_wait_alu 0xfffe
	s_and_not1_saveexec_b32 s3, s3
	s_cbranch_execz .LBB390_167
; %bb.166:
	s_wait_dscnt 0x2
	v_add_co_u32 v3, vcc_lo, v15, v35
	s_wait_alu 0xfffd
	v_add_co_ci_u32_e64 v4, null, 0, v16, vcc_lo
.LBB390_167:
	s_wait_alu 0xfffe
	s_or_b32 exec_lo, exec_lo, s3
	s_wait_dscnt 0x2
	s_delay_alu instid0(VALU_DEP_1) | instskip(NEXT) | instid1(VALU_DEP_1)
	v_lshlrev_b64_e32 v[3:4], 2, v[3:4]
	v_add_co_u32 v3, vcc_lo, s10, v3
	s_wait_alu 0xfffd
	s_delay_alu instid0(VALU_DEP_2) | instskip(SKIP_3) | instid1(SALU_CYCLE_1)
	v_add_co_ci_u32_e64 v4, null, s11, v4, vcc_lo
	s_wait_dscnt 0x1
	global_store_b32 v[3:4], v1, off
	s_or_b32 exec_lo, exec_lo, s1
	s_mov_b32 s1, exec_lo
	v_cmpx_gt_u32_e64 s22, v34
	s_cbranch_execz .LBB390_204
	s_branch .LBB390_199
.LBB390_168:
	s_wait_alu 0xfffe
	s_or_b32 exec_lo, exec_lo, s1
	s_delay_alu instid0(SALU_CYCLE_1)
	s_mov_b32 s1, exec_lo
	v_cmpx_gt_u32_e64 s22, v44
	s_cbranch_execz .LBB390_138
.LBB390_169:
	s_mov_b32 s3, exec_lo
                                        ; implicit-def: $vgpr13_vgpr14
	v_cmpx_ge_u32_e64 v44, v19
	s_wait_alu 0xfffe
	s_xor_b32 s3, exec_lo, s3
	s_cbranch_execz .LBB390_171
; %bb.170:
	s_wait_dscnt 0x6
	v_xor_b32_e32 v11, 0xfffffeff, v0
                                        ; implicit-def: $vgpr44
	s_delay_alu instid0(VALU_DEP_1) | instskip(SKIP_2) | instid1(VALU_DEP_2)
	v_ashrrev_i32_e32 v14, 31, v11
	v_add_co_u32 v13, vcc_lo, v17, v11
	s_wait_alu 0xfffd
	v_add_co_ci_u32_e64 v14, null, v18, v14, vcc_lo
.LBB390_171:
	s_wait_alu 0xfffe
	s_and_not1_saveexec_b32 s3, s3
; %bb.172:
	v_add_co_u32 v13, vcc_lo, v15, v44
	s_wait_alu 0xfffd
	v_add_co_ci_u32_e64 v14, null, 0, v16, vcc_lo
; %bb.173:
	s_wait_alu 0xfffe
	s_or_b32 exec_lo, exec_lo, s3
	s_delay_alu instid0(VALU_DEP_1) | instskip(NEXT) | instid1(VALU_DEP_1)
	v_lshlrev_b64_e32 v[13:14], 2, v[13:14]
	v_add_co_u32 v13, vcc_lo, s10, v13
	s_wait_alu 0xfffd
	s_delay_alu instid0(VALU_DEP_2) | instskip(SKIP_3) | instid1(SALU_CYCLE_1)
	v_add_co_ci_u32_e64 v14, null, s11, v14, vcc_lo
	s_wait_dscnt 0x6
	global_store_b32 v[13:14], v12, off
	s_or_b32 exec_lo, exec_lo, s1
	s_mov_b32 s1, exec_lo
	v_cmpx_gt_u32_e64 s22, v43
	s_cbranch_execnz .LBB390_139
.LBB390_174:
	s_wait_alu 0xfffe
	s_or_b32 exec_lo, exec_lo, s1
	s_delay_alu instid0(SALU_CYCLE_1)
	s_mov_b32 s1, exec_lo
	v_cmpx_gt_u32_e64 s22, v42
	s_cbranch_execz .LBB390_144
.LBB390_175:
	s_mov_b32 s3, exec_lo
                                        ; implicit-def: $vgpr11_vgpr12
	v_cmpx_ge_u32_e64 v42, v19
	s_wait_alu 0xfffe
	s_xor_b32 s3, exec_lo, s3
	s_cbranch_execz .LBB390_177
; %bb.176:
	s_wait_dscnt 0x5
	v_xor_b32_e32 v9, 0xfffffcff, v0
                                        ; implicit-def: $vgpr42
	s_delay_alu instid0(VALU_DEP_1) | instskip(SKIP_2) | instid1(VALU_DEP_2)
	v_ashrrev_i32_e32 v12, 31, v9
	v_add_co_u32 v11, vcc_lo, v17, v9
	s_wait_alu 0xfffd
	v_add_co_ci_u32_e64 v12, null, v18, v12, vcc_lo
.LBB390_177:
	s_wait_alu 0xfffe
	s_and_not1_saveexec_b32 s3, s3
	s_cbranch_execz .LBB390_179
; %bb.178:
	s_wait_dscnt 0x6
	v_add_co_u32 v11, vcc_lo, v15, v42
	s_wait_alu 0xfffd
	v_add_co_ci_u32_e64 v12, null, 0, v16, vcc_lo
.LBB390_179:
	s_wait_alu 0xfffe
	s_or_b32 exec_lo, exec_lo, s3
	s_wait_dscnt 0x6
	s_delay_alu instid0(VALU_DEP_1) | instskip(NEXT) | instid1(VALU_DEP_1)
	v_lshlrev_b64_e32 v[11:12], 2, v[11:12]
	v_add_co_u32 v11, vcc_lo, s10, v11
	s_wait_alu 0xfffd
	s_delay_alu instid0(VALU_DEP_2) | instskip(SKIP_3) | instid1(SALU_CYCLE_1)
	v_add_co_ci_u32_e64 v12, null, s11, v12, vcc_lo
	s_wait_dscnt 0x5
	global_store_b32 v[11:12], v10, off
	s_or_b32 exec_lo, exec_lo, s1
	s_mov_b32 s1, exec_lo
	v_cmpx_gt_u32_e64 s22, v41
	s_cbranch_execnz .LBB390_145
.LBB390_180:
	s_wait_alu 0xfffe
	s_or_b32 exec_lo, exec_lo, s1
	s_delay_alu instid0(SALU_CYCLE_1)
	s_mov_b32 s1, exec_lo
	v_cmpx_gt_u32_e64 s22, v40
	s_cbranch_execz .LBB390_150
.LBB390_181:
	s_mov_b32 s3, exec_lo
                                        ; implicit-def: $vgpr9_vgpr10
	v_cmpx_ge_u32_e64 v40, v19
	s_wait_alu 0xfffe
	s_xor_b32 s3, exec_lo, s3
	s_cbranch_execz .LBB390_183
; %bb.182:
	s_wait_dscnt 0x4
	v_xor_b32_e32 v7, 0xfffffaff, v0
                                        ; implicit-def: $vgpr40
	s_delay_alu instid0(VALU_DEP_1) | instskip(SKIP_2) | instid1(VALU_DEP_2)
	v_ashrrev_i32_e32 v10, 31, v7
	v_add_co_u32 v9, vcc_lo, v17, v7
	s_wait_alu 0xfffd
	v_add_co_ci_u32_e64 v10, null, v18, v10, vcc_lo
.LBB390_183:
	s_wait_alu 0xfffe
	s_and_not1_saveexec_b32 s3, s3
	s_cbranch_execz .LBB390_185
; %bb.184:
	s_wait_dscnt 0x5
	v_add_co_u32 v9, vcc_lo, v15, v40
	s_wait_alu 0xfffd
	v_add_co_ci_u32_e64 v10, null, 0, v16, vcc_lo
.LBB390_185:
	s_wait_alu 0xfffe
	s_or_b32 exec_lo, exec_lo, s3
	s_wait_dscnt 0x5
	s_delay_alu instid0(VALU_DEP_1) | instskip(NEXT) | instid1(VALU_DEP_1)
	v_lshlrev_b64_e32 v[9:10], 2, v[9:10]
	v_add_co_u32 v9, vcc_lo, s10, v9
	s_wait_alu 0xfffd
	s_delay_alu instid0(VALU_DEP_2) | instskip(SKIP_3) | instid1(SALU_CYCLE_1)
	v_add_co_ci_u32_e64 v10, null, s11, v10, vcc_lo
	s_wait_dscnt 0x4
	global_store_b32 v[9:10], v8, off
	s_or_b32 exec_lo, exec_lo, s1
	s_mov_b32 s1, exec_lo
	v_cmpx_gt_u32_e64 s22, v39
	s_cbranch_execnz .LBB390_151
.LBB390_186:
	s_wait_alu 0xfffe
	s_or_b32 exec_lo, exec_lo, s1
	s_delay_alu instid0(SALU_CYCLE_1)
	s_mov_b32 s1, exec_lo
	v_cmpx_gt_u32_e64 s22, v38
	s_cbranch_execz .LBB390_156
.LBB390_187:
	s_mov_b32 s3, exec_lo
                                        ; implicit-def: $vgpr7_vgpr8
	v_cmpx_ge_u32_e64 v38, v19
	s_wait_alu 0xfffe
	s_xor_b32 s3, exec_lo, s3
	s_cbranch_execz .LBB390_189
; %bb.188:
	s_wait_dscnt 0x3
	v_xor_b32_e32 v5, 0xfffff8ff, v0
                                        ; implicit-def: $vgpr38
	s_delay_alu instid0(VALU_DEP_1) | instskip(SKIP_2) | instid1(VALU_DEP_2)
	v_ashrrev_i32_e32 v8, 31, v5
	v_add_co_u32 v7, vcc_lo, v17, v5
	s_wait_alu 0xfffd
	v_add_co_ci_u32_e64 v8, null, v18, v8, vcc_lo
.LBB390_189:
	s_wait_alu 0xfffe
	s_and_not1_saveexec_b32 s3, s3
	s_cbranch_execz .LBB390_191
; %bb.190:
	s_wait_dscnt 0x4
	v_add_co_u32 v7, vcc_lo, v15, v38
	s_wait_alu 0xfffd
	v_add_co_ci_u32_e64 v8, null, 0, v16, vcc_lo
.LBB390_191:
	s_wait_alu 0xfffe
	s_or_b32 exec_lo, exec_lo, s3
	s_wait_dscnt 0x4
	s_delay_alu instid0(VALU_DEP_1) | instskip(NEXT) | instid1(VALU_DEP_1)
	v_lshlrev_b64_e32 v[7:8], 2, v[7:8]
	v_add_co_u32 v7, vcc_lo, s10, v7
	s_wait_alu 0xfffd
	s_delay_alu instid0(VALU_DEP_2) | instskip(SKIP_3) | instid1(SALU_CYCLE_1)
	v_add_co_ci_u32_e64 v8, null, s11, v8, vcc_lo
	s_wait_dscnt 0x3
	global_store_b32 v[7:8], v6, off
	s_or_b32 exec_lo, exec_lo, s1
	s_mov_b32 s1, exec_lo
	v_cmpx_gt_u32_e64 s22, v37
	s_cbranch_execnz .LBB390_157
.LBB390_192:
	s_wait_alu 0xfffe
	s_or_b32 exec_lo, exec_lo, s1
	s_delay_alu instid0(SALU_CYCLE_1)
	s_mov_b32 s1, exec_lo
	v_cmpx_gt_u32_e64 s22, v36
	s_cbranch_execz .LBB390_162
.LBB390_193:
	s_mov_b32 s3, exec_lo
                                        ; implicit-def: $vgpr5_vgpr6
	v_cmpx_ge_u32_e64 v36, v19
	s_wait_alu 0xfffe
	s_xor_b32 s3, exec_lo, s3
	s_cbranch_execz .LBB390_195
; %bb.194:
	s_wait_dscnt 0x2
	v_xor_b32_e32 v3, 0xfffff6ff, v0
                                        ; implicit-def: $vgpr36
	s_delay_alu instid0(VALU_DEP_1) | instskip(SKIP_2) | instid1(VALU_DEP_2)
	v_ashrrev_i32_e32 v6, 31, v3
	v_add_co_u32 v5, vcc_lo, v17, v3
	s_wait_alu 0xfffd
	v_add_co_ci_u32_e64 v6, null, v18, v6, vcc_lo
.LBB390_195:
	s_wait_alu 0xfffe
	s_and_not1_saveexec_b32 s3, s3
	s_cbranch_execz .LBB390_197
; %bb.196:
	s_wait_dscnt 0x3
	v_add_co_u32 v5, vcc_lo, v15, v36
	s_wait_alu 0xfffd
	v_add_co_ci_u32_e64 v6, null, 0, v16, vcc_lo
.LBB390_197:
	s_wait_alu 0xfffe
	s_or_b32 exec_lo, exec_lo, s3
	s_wait_dscnt 0x3
	s_delay_alu instid0(VALU_DEP_1) | instskip(NEXT) | instid1(VALU_DEP_1)
	v_lshlrev_b64_e32 v[5:6], 2, v[5:6]
	v_add_co_u32 v5, vcc_lo, s10, v5
	s_wait_alu 0xfffd
	s_delay_alu instid0(VALU_DEP_2) | instskip(SKIP_3) | instid1(SALU_CYCLE_1)
	v_add_co_ci_u32_e64 v6, null, s11, v6, vcc_lo
	s_wait_dscnt 0x2
	global_store_b32 v[5:6], v4, off
	s_or_b32 exec_lo, exec_lo, s1
	s_mov_b32 s1, exec_lo
	v_cmpx_gt_u32_e64 s22, v35
	s_cbranch_execnz .LBB390_163
.LBB390_198:
	s_wait_alu 0xfffe
	s_or_b32 exec_lo, exec_lo, s1
	s_delay_alu instid0(SALU_CYCLE_1)
	s_mov_b32 s1, exec_lo
	v_cmpx_gt_u32_e64 s22, v34
	s_cbranch_execz .LBB390_204
.LBB390_199:
	s_mov_b32 s3, exec_lo
                                        ; implicit-def: $vgpr3_vgpr4
	v_cmpx_ge_u32_e64 v34, v19
	s_wait_alu 0xfffe
	s_xor_b32 s3, exec_lo, s3
	s_cbranch_execz .LBB390_201
; %bb.200:
	s_wait_dscnt 0x1
	v_xor_b32_e32 v1, 0xfffff4ff, v0
                                        ; implicit-def: $vgpr34
	s_delay_alu instid0(VALU_DEP_1) | instskip(SKIP_2) | instid1(VALU_DEP_2)
	v_ashrrev_i32_e32 v4, 31, v1
	v_add_co_u32 v3, vcc_lo, v17, v1
	s_wait_alu 0xfffd
	v_add_co_ci_u32_e64 v4, null, v18, v4, vcc_lo
.LBB390_201:
	s_wait_alu 0xfffe
	s_and_not1_saveexec_b32 s3, s3
	s_cbranch_execz .LBB390_203
; %bb.202:
	s_wait_dscnt 0x2
	v_add_co_u32 v3, vcc_lo, v15, v34
	s_wait_alu 0xfffd
	v_add_co_ci_u32_e64 v4, null, 0, v16, vcc_lo
.LBB390_203:
	s_wait_alu 0xfffe
	s_or_b32 exec_lo, exec_lo, s3
	s_wait_dscnt 0x2
	s_delay_alu instid0(VALU_DEP_1) | instskip(NEXT) | instid1(VALU_DEP_1)
	v_lshlrev_b64_e32 v[3:4], 2, v[3:4]
	v_add_co_u32 v3, vcc_lo, s10, v3
	s_wait_alu 0xfffd
	s_delay_alu instid0(VALU_DEP_2)
	v_add_co_ci_u32_e64 v4, null, s11, v4, vcc_lo
	s_wait_dscnt 0x1
	global_store_b32 v[3:4], v2, off
.LBB390_204:
	s_wait_alu 0xfffe
	s_or_b32 exec_lo, exec_lo, s1
	s_delay_alu instid0(SALU_CYCLE_1)
	s_mov_b32 s1, exec_lo
                                        ; implicit-def: $vgpr13_vgpr14
	v_cmpx_gt_u32_e64 s22, v33
	s_cbranch_execz .LBB390_210
; %bb.205:
	s_mov_b32 s3, exec_lo
                                        ; implicit-def: $vgpr13_vgpr14
	v_cmpx_ge_u32_e64 v33, v19
	s_wait_alu 0xfffe
	s_xor_b32 s3, exec_lo, s3
	s_cbranch_execz .LBB390_207
; %bb.206:
	v_xor_b32_e32 v0, 0xfffff3ff, v0
                                        ; implicit-def: $vgpr33
	s_wait_dscnt 0x1
	s_delay_alu instid0(VALU_DEP_1) | instskip(SKIP_2) | instid1(VALU_DEP_2)
	v_ashrrev_i32_e32 v1, 31, v0
	v_add_co_u32 v13, vcc_lo, v17, v0
	s_wait_alu 0xfffd
	v_add_co_ci_u32_e64 v14, null, v18, v1, vcc_lo
.LBB390_207:
	s_wait_alu 0xfffe
	s_and_not1_saveexec_b32 s3, s3
; %bb.208:
	v_add_co_u32 v13, vcc_lo, v15, v33
	s_wait_alu 0xfffd
	v_add_co_ci_u32_e64 v14, null, 0, v16, vcc_lo
; %bb.209:
	s_wait_alu 0xfffe
	s_or_b32 exec_lo, exec_lo, s3
	s_delay_alu instid0(SALU_CYCLE_1)
	s_or_b32 s0, s0, exec_lo
.LBB390_210:
	s_wait_alu 0xfffe
	s_or_b32 exec_lo, exec_lo, s1
	s_and_saveexec_b32 s1, s0
	s_cbranch_execnz .LBB390_129
.LBB390_211:
	s_wait_alu 0xfffe
	s_or_b32 exec_lo, exec_lo, s1
	s_and_b32 s0, s2, s9
	s_wait_alu 0xfffe
	s_and_saveexec_b32 s1, s0
	s_cbranch_execz .LBB390_130
.LBB390_212:
	v_add_co_u32 v0, vcc_lo, v15, v19
	s_wait_dscnt 0x1
	v_mov_b32_e32 v2, 0
	s_wait_alu 0xfffd
	v_add_co_ci_u32_e64 v1, null, 0, v16, vcc_lo
	global_store_b64 v2, v[0:1], s[12:13]
	s_endpgm
	.section	.rodata,"a",@progbits
	.p2align	6, 0x0
	.amdhsa_kernel _ZN7rocprim17ROCPRIM_400000_NS6detail17trampoline_kernelINS0_13select_configILj256ELj13ELNS0_17block_load_methodE3ELS4_3ELS4_3ELNS0_20block_scan_algorithmE0ELj4294967295EEENS1_25partition_config_selectorILNS1_17partition_subalgoE3EjNS0_10empty_typeEbEEZZNS1_14partition_implILS8_3ELb0ES6_jNS0_17counting_iteratorIjlEEPS9_SE_NS0_5tupleIJPjSE_EEENSF_IJSE_SE_EEES9_SG_JZNS1_25segmented_radix_sort_implINS0_14default_configELb0EPKaPaPKlPlN2at6native12_GLOBAL__N_18offset_tEEE10hipError_tPvRmT1_PNSt15iterator_traitsISY_E10value_typeET2_T3_PNSZ_IS14_E10value_typeET4_jRbjT5_S1A_jjP12ihipStream_tbEUljE_EEESV_SW_SX_S14_S18_S1A_T6_T7_T9_mT8_S1C_bDpT10_ENKUlT_T0_E_clISt17integral_constantIbLb0EES1O_IbLb1EEEEDaS1K_S1L_EUlS1K_E_NS1_11comp_targetILNS1_3genE10ELNS1_11target_archE1200ELNS1_3gpuE4ELNS1_3repE0EEENS1_30default_config_static_selectorELNS0_4arch9wavefront6targetE0EEEvSY_
		.amdhsa_group_segment_fixed_size 13320
		.amdhsa_private_segment_fixed_size 0
		.amdhsa_kernarg_size 152
		.amdhsa_user_sgpr_count 2
		.amdhsa_user_sgpr_dispatch_ptr 0
		.amdhsa_user_sgpr_queue_ptr 0
		.amdhsa_user_sgpr_kernarg_segment_ptr 1
		.amdhsa_user_sgpr_dispatch_id 0
		.amdhsa_user_sgpr_private_segment_size 0
		.amdhsa_wavefront_size32 1
		.amdhsa_uses_dynamic_stack 0
		.amdhsa_enable_private_segment 0
		.amdhsa_system_sgpr_workgroup_id_x 1
		.amdhsa_system_sgpr_workgroup_id_y 0
		.amdhsa_system_sgpr_workgroup_id_z 0
		.amdhsa_system_sgpr_workgroup_info 0
		.amdhsa_system_vgpr_workitem_id 0
		.amdhsa_next_free_vgpr 71
		.amdhsa_next_free_sgpr 26
		.amdhsa_reserve_vcc 1
		.amdhsa_float_round_mode_32 0
		.amdhsa_float_round_mode_16_64 0
		.amdhsa_float_denorm_mode_32 3
		.amdhsa_float_denorm_mode_16_64 3
		.amdhsa_fp16_overflow 0
		.amdhsa_workgroup_processor_mode 1
		.amdhsa_memory_ordered 1
		.amdhsa_forward_progress 1
		.amdhsa_inst_pref_size 86
		.amdhsa_round_robin_scheduling 0
		.amdhsa_exception_fp_ieee_invalid_op 0
		.amdhsa_exception_fp_denorm_src 0
		.amdhsa_exception_fp_ieee_div_zero 0
		.amdhsa_exception_fp_ieee_overflow 0
		.amdhsa_exception_fp_ieee_underflow 0
		.amdhsa_exception_fp_ieee_inexact 0
		.amdhsa_exception_int_div_zero 0
	.end_amdhsa_kernel
	.section	.text._ZN7rocprim17ROCPRIM_400000_NS6detail17trampoline_kernelINS0_13select_configILj256ELj13ELNS0_17block_load_methodE3ELS4_3ELS4_3ELNS0_20block_scan_algorithmE0ELj4294967295EEENS1_25partition_config_selectorILNS1_17partition_subalgoE3EjNS0_10empty_typeEbEEZZNS1_14partition_implILS8_3ELb0ES6_jNS0_17counting_iteratorIjlEEPS9_SE_NS0_5tupleIJPjSE_EEENSF_IJSE_SE_EEES9_SG_JZNS1_25segmented_radix_sort_implINS0_14default_configELb0EPKaPaPKlPlN2at6native12_GLOBAL__N_18offset_tEEE10hipError_tPvRmT1_PNSt15iterator_traitsISY_E10value_typeET2_T3_PNSZ_IS14_E10value_typeET4_jRbjT5_S1A_jjP12ihipStream_tbEUljE_EEESV_SW_SX_S14_S18_S1A_T6_T7_T9_mT8_S1C_bDpT10_ENKUlT_T0_E_clISt17integral_constantIbLb0EES1O_IbLb1EEEEDaS1K_S1L_EUlS1K_E_NS1_11comp_targetILNS1_3genE10ELNS1_11target_archE1200ELNS1_3gpuE4ELNS1_3repE0EEENS1_30default_config_static_selectorELNS0_4arch9wavefront6targetE0EEEvSY_,"axG",@progbits,_ZN7rocprim17ROCPRIM_400000_NS6detail17trampoline_kernelINS0_13select_configILj256ELj13ELNS0_17block_load_methodE3ELS4_3ELS4_3ELNS0_20block_scan_algorithmE0ELj4294967295EEENS1_25partition_config_selectorILNS1_17partition_subalgoE3EjNS0_10empty_typeEbEEZZNS1_14partition_implILS8_3ELb0ES6_jNS0_17counting_iteratorIjlEEPS9_SE_NS0_5tupleIJPjSE_EEENSF_IJSE_SE_EEES9_SG_JZNS1_25segmented_radix_sort_implINS0_14default_configELb0EPKaPaPKlPlN2at6native12_GLOBAL__N_18offset_tEEE10hipError_tPvRmT1_PNSt15iterator_traitsISY_E10value_typeET2_T3_PNSZ_IS14_E10value_typeET4_jRbjT5_S1A_jjP12ihipStream_tbEUljE_EEESV_SW_SX_S14_S18_S1A_T6_T7_T9_mT8_S1C_bDpT10_ENKUlT_T0_E_clISt17integral_constantIbLb0EES1O_IbLb1EEEEDaS1K_S1L_EUlS1K_E_NS1_11comp_targetILNS1_3genE10ELNS1_11target_archE1200ELNS1_3gpuE4ELNS1_3repE0EEENS1_30default_config_static_selectorELNS0_4arch9wavefront6targetE0EEEvSY_,comdat
.Lfunc_end390:
	.size	_ZN7rocprim17ROCPRIM_400000_NS6detail17trampoline_kernelINS0_13select_configILj256ELj13ELNS0_17block_load_methodE3ELS4_3ELS4_3ELNS0_20block_scan_algorithmE0ELj4294967295EEENS1_25partition_config_selectorILNS1_17partition_subalgoE3EjNS0_10empty_typeEbEEZZNS1_14partition_implILS8_3ELb0ES6_jNS0_17counting_iteratorIjlEEPS9_SE_NS0_5tupleIJPjSE_EEENSF_IJSE_SE_EEES9_SG_JZNS1_25segmented_radix_sort_implINS0_14default_configELb0EPKaPaPKlPlN2at6native12_GLOBAL__N_18offset_tEEE10hipError_tPvRmT1_PNSt15iterator_traitsISY_E10value_typeET2_T3_PNSZ_IS14_E10value_typeET4_jRbjT5_S1A_jjP12ihipStream_tbEUljE_EEESV_SW_SX_S14_S18_S1A_T6_T7_T9_mT8_S1C_bDpT10_ENKUlT_T0_E_clISt17integral_constantIbLb0EES1O_IbLb1EEEEDaS1K_S1L_EUlS1K_E_NS1_11comp_targetILNS1_3genE10ELNS1_11target_archE1200ELNS1_3gpuE4ELNS1_3repE0EEENS1_30default_config_static_selectorELNS0_4arch9wavefront6targetE0EEEvSY_, .Lfunc_end390-_ZN7rocprim17ROCPRIM_400000_NS6detail17trampoline_kernelINS0_13select_configILj256ELj13ELNS0_17block_load_methodE3ELS4_3ELS4_3ELNS0_20block_scan_algorithmE0ELj4294967295EEENS1_25partition_config_selectorILNS1_17partition_subalgoE3EjNS0_10empty_typeEbEEZZNS1_14partition_implILS8_3ELb0ES6_jNS0_17counting_iteratorIjlEEPS9_SE_NS0_5tupleIJPjSE_EEENSF_IJSE_SE_EEES9_SG_JZNS1_25segmented_radix_sort_implINS0_14default_configELb0EPKaPaPKlPlN2at6native12_GLOBAL__N_18offset_tEEE10hipError_tPvRmT1_PNSt15iterator_traitsISY_E10value_typeET2_T3_PNSZ_IS14_E10value_typeET4_jRbjT5_S1A_jjP12ihipStream_tbEUljE_EEESV_SW_SX_S14_S18_S1A_T6_T7_T9_mT8_S1C_bDpT10_ENKUlT_T0_E_clISt17integral_constantIbLb0EES1O_IbLb1EEEEDaS1K_S1L_EUlS1K_E_NS1_11comp_targetILNS1_3genE10ELNS1_11target_archE1200ELNS1_3gpuE4ELNS1_3repE0EEENS1_30default_config_static_selectorELNS0_4arch9wavefront6targetE0EEEvSY_
                                        ; -- End function
	.set _ZN7rocprim17ROCPRIM_400000_NS6detail17trampoline_kernelINS0_13select_configILj256ELj13ELNS0_17block_load_methodE3ELS4_3ELS4_3ELNS0_20block_scan_algorithmE0ELj4294967295EEENS1_25partition_config_selectorILNS1_17partition_subalgoE3EjNS0_10empty_typeEbEEZZNS1_14partition_implILS8_3ELb0ES6_jNS0_17counting_iteratorIjlEEPS9_SE_NS0_5tupleIJPjSE_EEENSF_IJSE_SE_EEES9_SG_JZNS1_25segmented_radix_sort_implINS0_14default_configELb0EPKaPaPKlPlN2at6native12_GLOBAL__N_18offset_tEEE10hipError_tPvRmT1_PNSt15iterator_traitsISY_E10value_typeET2_T3_PNSZ_IS14_E10value_typeET4_jRbjT5_S1A_jjP12ihipStream_tbEUljE_EEESV_SW_SX_S14_S18_S1A_T6_T7_T9_mT8_S1C_bDpT10_ENKUlT_T0_E_clISt17integral_constantIbLb0EES1O_IbLb1EEEEDaS1K_S1L_EUlS1K_E_NS1_11comp_targetILNS1_3genE10ELNS1_11target_archE1200ELNS1_3gpuE4ELNS1_3repE0EEENS1_30default_config_static_selectorELNS0_4arch9wavefront6targetE0EEEvSY_.num_vgpr, 71
	.set _ZN7rocprim17ROCPRIM_400000_NS6detail17trampoline_kernelINS0_13select_configILj256ELj13ELNS0_17block_load_methodE3ELS4_3ELS4_3ELNS0_20block_scan_algorithmE0ELj4294967295EEENS1_25partition_config_selectorILNS1_17partition_subalgoE3EjNS0_10empty_typeEbEEZZNS1_14partition_implILS8_3ELb0ES6_jNS0_17counting_iteratorIjlEEPS9_SE_NS0_5tupleIJPjSE_EEENSF_IJSE_SE_EEES9_SG_JZNS1_25segmented_radix_sort_implINS0_14default_configELb0EPKaPaPKlPlN2at6native12_GLOBAL__N_18offset_tEEE10hipError_tPvRmT1_PNSt15iterator_traitsISY_E10value_typeET2_T3_PNSZ_IS14_E10value_typeET4_jRbjT5_S1A_jjP12ihipStream_tbEUljE_EEESV_SW_SX_S14_S18_S1A_T6_T7_T9_mT8_S1C_bDpT10_ENKUlT_T0_E_clISt17integral_constantIbLb0EES1O_IbLb1EEEEDaS1K_S1L_EUlS1K_E_NS1_11comp_targetILNS1_3genE10ELNS1_11target_archE1200ELNS1_3gpuE4ELNS1_3repE0EEENS1_30default_config_static_selectorELNS0_4arch9wavefront6targetE0EEEvSY_.num_agpr, 0
	.set _ZN7rocprim17ROCPRIM_400000_NS6detail17trampoline_kernelINS0_13select_configILj256ELj13ELNS0_17block_load_methodE3ELS4_3ELS4_3ELNS0_20block_scan_algorithmE0ELj4294967295EEENS1_25partition_config_selectorILNS1_17partition_subalgoE3EjNS0_10empty_typeEbEEZZNS1_14partition_implILS8_3ELb0ES6_jNS0_17counting_iteratorIjlEEPS9_SE_NS0_5tupleIJPjSE_EEENSF_IJSE_SE_EEES9_SG_JZNS1_25segmented_radix_sort_implINS0_14default_configELb0EPKaPaPKlPlN2at6native12_GLOBAL__N_18offset_tEEE10hipError_tPvRmT1_PNSt15iterator_traitsISY_E10value_typeET2_T3_PNSZ_IS14_E10value_typeET4_jRbjT5_S1A_jjP12ihipStream_tbEUljE_EEESV_SW_SX_S14_S18_S1A_T6_T7_T9_mT8_S1C_bDpT10_ENKUlT_T0_E_clISt17integral_constantIbLb0EES1O_IbLb1EEEEDaS1K_S1L_EUlS1K_E_NS1_11comp_targetILNS1_3genE10ELNS1_11target_archE1200ELNS1_3gpuE4ELNS1_3repE0EEENS1_30default_config_static_selectorELNS0_4arch9wavefront6targetE0EEEvSY_.numbered_sgpr, 26
	.set _ZN7rocprim17ROCPRIM_400000_NS6detail17trampoline_kernelINS0_13select_configILj256ELj13ELNS0_17block_load_methodE3ELS4_3ELS4_3ELNS0_20block_scan_algorithmE0ELj4294967295EEENS1_25partition_config_selectorILNS1_17partition_subalgoE3EjNS0_10empty_typeEbEEZZNS1_14partition_implILS8_3ELb0ES6_jNS0_17counting_iteratorIjlEEPS9_SE_NS0_5tupleIJPjSE_EEENSF_IJSE_SE_EEES9_SG_JZNS1_25segmented_radix_sort_implINS0_14default_configELb0EPKaPaPKlPlN2at6native12_GLOBAL__N_18offset_tEEE10hipError_tPvRmT1_PNSt15iterator_traitsISY_E10value_typeET2_T3_PNSZ_IS14_E10value_typeET4_jRbjT5_S1A_jjP12ihipStream_tbEUljE_EEESV_SW_SX_S14_S18_S1A_T6_T7_T9_mT8_S1C_bDpT10_ENKUlT_T0_E_clISt17integral_constantIbLb0EES1O_IbLb1EEEEDaS1K_S1L_EUlS1K_E_NS1_11comp_targetILNS1_3genE10ELNS1_11target_archE1200ELNS1_3gpuE4ELNS1_3repE0EEENS1_30default_config_static_selectorELNS0_4arch9wavefront6targetE0EEEvSY_.num_named_barrier, 0
	.set _ZN7rocprim17ROCPRIM_400000_NS6detail17trampoline_kernelINS0_13select_configILj256ELj13ELNS0_17block_load_methodE3ELS4_3ELS4_3ELNS0_20block_scan_algorithmE0ELj4294967295EEENS1_25partition_config_selectorILNS1_17partition_subalgoE3EjNS0_10empty_typeEbEEZZNS1_14partition_implILS8_3ELb0ES6_jNS0_17counting_iteratorIjlEEPS9_SE_NS0_5tupleIJPjSE_EEENSF_IJSE_SE_EEES9_SG_JZNS1_25segmented_radix_sort_implINS0_14default_configELb0EPKaPaPKlPlN2at6native12_GLOBAL__N_18offset_tEEE10hipError_tPvRmT1_PNSt15iterator_traitsISY_E10value_typeET2_T3_PNSZ_IS14_E10value_typeET4_jRbjT5_S1A_jjP12ihipStream_tbEUljE_EEESV_SW_SX_S14_S18_S1A_T6_T7_T9_mT8_S1C_bDpT10_ENKUlT_T0_E_clISt17integral_constantIbLb0EES1O_IbLb1EEEEDaS1K_S1L_EUlS1K_E_NS1_11comp_targetILNS1_3genE10ELNS1_11target_archE1200ELNS1_3gpuE4ELNS1_3repE0EEENS1_30default_config_static_selectorELNS0_4arch9wavefront6targetE0EEEvSY_.private_seg_size, 0
	.set _ZN7rocprim17ROCPRIM_400000_NS6detail17trampoline_kernelINS0_13select_configILj256ELj13ELNS0_17block_load_methodE3ELS4_3ELS4_3ELNS0_20block_scan_algorithmE0ELj4294967295EEENS1_25partition_config_selectorILNS1_17partition_subalgoE3EjNS0_10empty_typeEbEEZZNS1_14partition_implILS8_3ELb0ES6_jNS0_17counting_iteratorIjlEEPS9_SE_NS0_5tupleIJPjSE_EEENSF_IJSE_SE_EEES9_SG_JZNS1_25segmented_radix_sort_implINS0_14default_configELb0EPKaPaPKlPlN2at6native12_GLOBAL__N_18offset_tEEE10hipError_tPvRmT1_PNSt15iterator_traitsISY_E10value_typeET2_T3_PNSZ_IS14_E10value_typeET4_jRbjT5_S1A_jjP12ihipStream_tbEUljE_EEESV_SW_SX_S14_S18_S1A_T6_T7_T9_mT8_S1C_bDpT10_ENKUlT_T0_E_clISt17integral_constantIbLb0EES1O_IbLb1EEEEDaS1K_S1L_EUlS1K_E_NS1_11comp_targetILNS1_3genE10ELNS1_11target_archE1200ELNS1_3gpuE4ELNS1_3repE0EEENS1_30default_config_static_selectorELNS0_4arch9wavefront6targetE0EEEvSY_.uses_vcc, 1
	.set _ZN7rocprim17ROCPRIM_400000_NS6detail17trampoline_kernelINS0_13select_configILj256ELj13ELNS0_17block_load_methodE3ELS4_3ELS4_3ELNS0_20block_scan_algorithmE0ELj4294967295EEENS1_25partition_config_selectorILNS1_17partition_subalgoE3EjNS0_10empty_typeEbEEZZNS1_14partition_implILS8_3ELb0ES6_jNS0_17counting_iteratorIjlEEPS9_SE_NS0_5tupleIJPjSE_EEENSF_IJSE_SE_EEES9_SG_JZNS1_25segmented_radix_sort_implINS0_14default_configELb0EPKaPaPKlPlN2at6native12_GLOBAL__N_18offset_tEEE10hipError_tPvRmT1_PNSt15iterator_traitsISY_E10value_typeET2_T3_PNSZ_IS14_E10value_typeET4_jRbjT5_S1A_jjP12ihipStream_tbEUljE_EEESV_SW_SX_S14_S18_S1A_T6_T7_T9_mT8_S1C_bDpT10_ENKUlT_T0_E_clISt17integral_constantIbLb0EES1O_IbLb1EEEEDaS1K_S1L_EUlS1K_E_NS1_11comp_targetILNS1_3genE10ELNS1_11target_archE1200ELNS1_3gpuE4ELNS1_3repE0EEENS1_30default_config_static_selectorELNS0_4arch9wavefront6targetE0EEEvSY_.uses_flat_scratch, 0
	.set _ZN7rocprim17ROCPRIM_400000_NS6detail17trampoline_kernelINS0_13select_configILj256ELj13ELNS0_17block_load_methodE3ELS4_3ELS4_3ELNS0_20block_scan_algorithmE0ELj4294967295EEENS1_25partition_config_selectorILNS1_17partition_subalgoE3EjNS0_10empty_typeEbEEZZNS1_14partition_implILS8_3ELb0ES6_jNS0_17counting_iteratorIjlEEPS9_SE_NS0_5tupleIJPjSE_EEENSF_IJSE_SE_EEES9_SG_JZNS1_25segmented_radix_sort_implINS0_14default_configELb0EPKaPaPKlPlN2at6native12_GLOBAL__N_18offset_tEEE10hipError_tPvRmT1_PNSt15iterator_traitsISY_E10value_typeET2_T3_PNSZ_IS14_E10value_typeET4_jRbjT5_S1A_jjP12ihipStream_tbEUljE_EEESV_SW_SX_S14_S18_S1A_T6_T7_T9_mT8_S1C_bDpT10_ENKUlT_T0_E_clISt17integral_constantIbLb0EES1O_IbLb1EEEEDaS1K_S1L_EUlS1K_E_NS1_11comp_targetILNS1_3genE10ELNS1_11target_archE1200ELNS1_3gpuE4ELNS1_3repE0EEENS1_30default_config_static_selectorELNS0_4arch9wavefront6targetE0EEEvSY_.has_dyn_sized_stack, 0
	.set _ZN7rocprim17ROCPRIM_400000_NS6detail17trampoline_kernelINS0_13select_configILj256ELj13ELNS0_17block_load_methodE3ELS4_3ELS4_3ELNS0_20block_scan_algorithmE0ELj4294967295EEENS1_25partition_config_selectorILNS1_17partition_subalgoE3EjNS0_10empty_typeEbEEZZNS1_14partition_implILS8_3ELb0ES6_jNS0_17counting_iteratorIjlEEPS9_SE_NS0_5tupleIJPjSE_EEENSF_IJSE_SE_EEES9_SG_JZNS1_25segmented_radix_sort_implINS0_14default_configELb0EPKaPaPKlPlN2at6native12_GLOBAL__N_18offset_tEEE10hipError_tPvRmT1_PNSt15iterator_traitsISY_E10value_typeET2_T3_PNSZ_IS14_E10value_typeET4_jRbjT5_S1A_jjP12ihipStream_tbEUljE_EEESV_SW_SX_S14_S18_S1A_T6_T7_T9_mT8_S1C_bDpT10_ENKUlT_T0_E_clISt17integral_constantIbLb0EES1O_IbLb1EEEEDaS1K_S1L_EUlS1K_E_NS1_11comp_targetILNS1_3genE10ELNS1_11target_archE1200ELNS1_3gpuE4ELNS1_3repE0EEENS1_30default_config_static_selectorELNS0_4arch9wavefront6targetE0EEEvSY_.has_recursion, 0
	.set _ZN7rocprim17ROCPRIM_400000_NS6detail17trampoline_kernelINS0_13select_configILj256ELj13ELNS0_17block_load_methodE3ELS4_3ELS4_3ELNS0_20block_scan_algorithmE0ELj4294967295EEENS1_25partition_config_selectorILNS1_17partition_subalgoE3EjNS0_10empty_typeEbEEZZNS1_14partition_implILS8_3ELb0ES6_jNS0_17counting_iteratorIjlEEPS9_SE_NS0_5tupleIJPjSE_EEENSF_IJSE_SE_EEES9_SG_JZNS1_25segmented_radix_sort_implINS0_14default_configELb0EPKaPaPKlPlN2at6native12_GLOBAL__N_18offset_tEEE10hipError_tPvRmT1_PNSt15iterator_traitsISY_E10value_typeET2_T3_PNSZ_IS14_E10value_typeET4_jRbjT5_S1A_jjP12ihipStream_tbEUljE_EEESV_SW_SX_S14_S18_S1A_T6_T7_T9_mT8_S1C_bDpT10_ENKUlT_T0_E_clISt17integral_constantIbLb0EES1O_IbLb1EEEEDaS1K_S1L_EUlS1K_E_NS1_11comp_targetILNS1_3genE10ELNS1_11target_archE1200ELNS1_3gpuE4ELNS1_3repE0EEENS1_30default_config_static_selectorELNS0_4arch9wavefront6targetE0EEEvSY_.has_indirect_call, 0
	.section	.AMDGPU.csdata,"",@progbits
; Kernel info:
; codeLenInByte = 10900
; TotalNumSgprs: 28
; NumVgprs: 71
; ScratchSize: 0
; MemoryBound: 0
; FloatMode: 240
; IeeeMode: 1
; LDSByteSize: 13320 bytes/workgroup (compile time only)
; SGPRBlocks: 0
; VGPRBlocks: 8
; NumSGPRsForWavesPerEU: 28
; NumVGPRsForWavesPerEU: 71
; Occupancy: 16
; WaveLimiterHint : 0
; COMPUTE_PGM_RSRC2:SCRATCH_EN: 0
; COMPUTE_PGM_RSRC2:USER_SGPR: 2
; COMPUTE_PGM_RSRC2:TRAP_HANDLER: 0
; COMPUTE_PGM_RSRC2:TGID_X_EN: 1
; COMPUTE_PGM_RSRC2:TGID_Y_EN: 0
; COMPUTE_PGM_RSRC2:TGID_Z_EN: 0
; COMPUTE_PGM_RSRC2:TIDIG_COMP_CNT: 0
	.section	.text._ZN7rocprim17ROCPRIM_400000_NS6detail17trampoline_kernelINS0_13select_configILj256ELj13ELNS0_17block_load_methodE3ELS4_3ELS4_3ELNS0_20block_scan_algorithmE0ELj4294967295EEENS1_25partition_config_selectorILNS1_17partition_subalgoE3EjNS0_10empty_typeEbEEZZNS1_14partition_implILS8_3ELb0ES6_jNS0_17counting_iteratorIjlEEPS9_SE_NS0_5tupleIJPjSE_EEENSF_IJSE_SE_EEES9_SG_JZNS1_25segmented_radix_sort_implINS0_14default_configELb0EPKaPaPKlPlN2at6native12_GLOBAL__N_18offset_tEEE10hipError_tPvRmT1_PNSt15iterator_traitsISY_E10value_typeET2_T3_PNSZ_IS14_E10value_typeET4_jRbjT5_S1A_jjP12ihipStream_tbEUljE_EEESV_SW_SX_S14_S18_S1A_T6_T7_T9_mT8_S1C_bDpT10_ENKUlT_T0_E_clISt17integral_constantIbLb0EES1O_IbLb1EEEEDaS1K_S1L_EUlS1K_E_NS1_11comp_targetILNS1_3genE9ELNS1_11target_archE1100ELNS1_3gpuE3ELNS1_3repE0EEENS1_30default_config_static_selectorELNS0_4arch9wavefront6targetE0EEEvSY_,"axG",@progbits,_ZN7rocprim17ROCPRIM_400000_NS6detail17trampoline_kernelINS0_13select_configILj256ELj13ELNS0_17block_load_methodE3ELS4_3ELS4_3ELNS0_20block_scan_algorithmE0ELj4294967295EEENS1_25partition_config_selectorILNS1_17partition_subalgoE3EjNS0_10empty_typeEbEEZZNS1_14partition_implILS8_3ELb0ES6_jNS0_17counting_iteratorIjlEEPS9_SE_NS0_5tupleIJPjSE_EEENSF_IJSE_SE_EEES9_SG_JZNS1_25segmented_radix_sort_implINS0_14default_configELb0EPKaPaPKlPlN2at6native12_GLOBAL__N_18offset_tEEE10hipError_tPvRmT1_PNSt15iterator_traitsISY_E10value_typeET2_T3_PNSZ_IS14_E10value_typeET4_jRbjT5_S1A_jjP12ihipStream_tbEUljE_EEESV_SW_SX_S14_S18_S1A_T6_T7_T9_mT8_S1C_bDpT10_ENKUlT_T0_E_clISt17integral_constantIbLb0EES1O_IbLb1EEEEDaS1K_S1L_EUlS1K_E_NS1_11comp_targetILNS1_3genE9ELNS1_11target_archE1100ELNS1_3gpuE3ELNS1_3repE0EEENS1_30default_config_static_selectorELNS0_4arch9wavefront6targetE0EEEvSY_,comdat
	.globl	_ZN7rocprim17ROCPRIM_400000_NS6detail17trampoline_kernelINS0_13select_configILj256ELj13ELNS0_17block_load_methodE3ELS4_3ELS4_3ELNS0_20block_scan_algorithmE0ELj4294967295EEENS1_25partition_config_selectorILNS1_17partition_subalgoE3EjNS0_10empty_typeEbEEZZNS1_14partition_implILS8_3ELb0ES6_jNS0_17counting_iteratorIjlEEPS9_SE_NS0_5tupleIJPjSE_EEENSF_IJSE_SE_EEES9_SG_JZNS1_25segmented_radix_sort_implINS0_14default_configELb0EPKaPaPKlPlN2at6native12_GLOBAL__N_18offset_tEEE10hipError_tPvRmT1_PNSt15iterator_traitsISY_E10value_typeET2_T3_PNSZ_IS14_E10value_typeET4_jRbjT5_S1A_jjP12ihipStream_tbEUljE_EEESV_SW_SX_S14_S18_S1A_T6_T7_T9_mT8_S1C_bDpT10_ENKUlT_T0_E_clISt17integral_constantIbLb0EES1O_IbLb1EEEEDaS1K_S1L_EUlS1K_E_NS1_11comp_targetILNS1_3genE9ELNS1_11target_archE1100ELNS1_3gpuE3ELNS1_3repE0EEENS1_30default_config_static_selectorELNS0_4arch9wavefront6targetE0EEEvSY_ ; -- Begin function _ZN7rocprim17ROCPRIM_400000_NS6detail17trampoline_kernelINS0_13select_configILj256ELj13ELNS0_17block_load_methodE3ELS4_3ELS4_3ELNS0_20block_scan_algorithmE0ELj4294967295EEENS1_25partition_config_selectorILNS1_17partition_subalgoE3EjNS0_10empty_typeEbEEZZNS1_14partition_implILS8_3ELb0ES6_jNS0_17counting_iteratorIjlEEPS9_SE_NS0_5tupleIJPjSE_EEENSF_IJSE_SE_EEES9_SG_JZNS1_25segmented_radix_sort_implINS0_14default_configELb0EPKaPaPKlPlN2at6native12_GLOBAL__N_18offset_tEEE10hipError_tPvRmT1_PNSt15iterator_traitsISY_E10value_typeET2_T3_PNSZ_IS14_E10value_typeET4_jRbjT5_S1A_jjP12ihipStream_tbEUljE_EEESV_SW_SX_S14_S18_S1A_T6_T7_T9_mT8_S1C_bDpT10_ENKUlT_T0_E_clISt17integral_constantIbLb0EES1O_IbLb1EEEEDaS1K_S1L_EUlS1K_E_NS1_11comp_targetILNS1_3genE9ELNS1_11target_archE1100ELNS1_3gpuE3ELNS1_3repE0EEENS1_30default_config_static_selectorELNS0_4arch9wavefront6targetE0EEEvSY_
	.p2align	8
	.type	_ZN7rocprim17ROCPRIM_400000_NS6detail17trampoline_kernelINS0_13select_configILj256ELj13ELNS0_17block_load_methodE3ELS4_3ELS4_3ELNS0_20block_scan_algorithmE0ELj4294967295EEENS1_25partition_config_selectorILNS1_17partition_subalgoE3EjNS0_10empty_typeEbEEZZNS1_14partition_implILS8_3ELb0ES6_jNS0_17counting_iteratorIjlEEPS9_SE_NS0_5tupleIJPjSE_EEENSF_IJSE_SE_EEES9_SG_JZNS1_25segmented_radix_sort_implINS0_14default_configELb0EPKaPaPKlPlN2at6native12_GLOBAL__N_18offset_tEEE10hipError_tPvRmT1_PNSt15iterator_traitsISY_E10value_typeET2_T3_PNSZ_IS14_E10value_typeET4_jRbjT5_S1A_jjP12ihipStream_tbEUljE_EEESV_SW_SX_S14_S18_S1A_T6_T7_T9_mT8_S1C_bDpT10_ENKUlT_T0_E_clISt17integral_constantIbLb0EES1O_IbLb1EEEEDaS1K_S1L_EUlS1K_E_NS1_11comp_targetILNS1_3genE9ELNS1_11target_archE1100ELNS1_3gpuE3ELNS1_3repE0EEENS1_30default_config_static_selectorELNS0_4arch9wavefront6targetE0EEEvSY_,@function
_ZN7rocprim17ROCPRIM_400000_NS6detail17trampoline_kernelINS0_13select_configILj256ELj13ELNS0_17block_load_methodE3ELS4_3ELS4_3ELNS0_20block_scan_algorithmE0ELj4294967295EEENS1_25partition_config_selectorILNS1_17partition_subalgoE3EjNS0_10empty_typeEbEEZZNS1_14partition_implILS8_3ELb0ES6_jNS0_17counting_iteratorIjlEEPS9_SE_NS0_5tupleIJPjSE_EEENSF_IJSE_SE_EEES9_SG_JZNS1_25segmented_radix_sort_implINS0_14default_configELb0EPKaPaPKlPlN2at6native12_GLOBAL__N_18offset_tEEE10hipError_tPvRmT1_PNSt15iterator_traitsISY_E10value_typeET2_T3_PNSZ_IS14_E10value_typeET4_jRbjT5_S1A_jjP12ihipStream_tbEUljE_EEESV_SW_SX_S14_S18_S1A_T6_T7_T9_mT8_S1C_bDpT10_ENKUlT_T0_E_clISt17integral_constantIbLb0EES1O_IbLb1EEEEDaS1K_S1L_EUlS1K_E_NS1_11comp_targetILNS1_3genE9ELNS1_11target_archE1100ELNS1_3gpuE3ELNS1_3repE0EEENS1_30default_config_static_selectorELNS0_4arch9wavefront6targetE0EEEvSY_: ; @_ZN7rocprim17ROCPRIM_400000_NS6detail17trampoline_kernelINS0_13select_configILj256ELj13ELNS0_17block_load_methodE3ELS4_3ELS4_3ELNS0_20block_scan_algorithmE0ELj4294967295EEENS1_25partition_config_selectorILNS1_17partition_subalgoE3EjNS0_10empty_typeEbEEZZNS1_14partition_implILS8_3ELb0ES6_jNS0_17counting_iteratorIjlEEPS9_SE_NS0_5tupleIJPjSE_EEENSF_IJSE_SE_EEES9_SG_JZNS1_25segmented_radix_sort_implINS0_14default_configELb0EPKaPaPKlPlN2at6native12_GLOBAL__N_18offset_tEEE10hipError_tPvRmT1_PNSt15iterator_traitsISY_E10value_typeET2_T3_PNSZ_IS14_E10value_typeET4_jRbjT5_S1A_jjP12ihipStream_tbEUljE_EEESV_SW_SX_S14_S18_S1A_T6_T7_T9_mT8_S1C_bDpT10_ENKUlT_T0_E_clISt17integral_constantIbLb0EES1O_IbLb1EEEEDaS1K_S1L_EUlS1K_E_NS1_11comp_targetILNS1_3genE9ELNS1_11target_archE1100ELNS1_3gpuE3ELNS1_3repE0EEENS1_30default_config_static_selectorELNS0_4arch9wavefront6targetE0EEEvSY_
; %bb.0:
	.section	.rodata,"a",@progbits
	.p2align	6, 0x0
	.amdhsa_kernel _ZN7rocprim17ROCPRIM_400000_NS6detail17trampoline_kernelINS0_13select_configILj256ELj13ELNS0_17block_load_methodE3ELS4_3ELS4_3ELNS0_20block_scan_algorithmE0ELj4294967295EEENS1_25partition_config_selectorILNS1_17partition_subalgoE3EjNS0_10empty_typeEbEEZZNS1_14partition_implILS8_3ELb0ES6_jNS0_17counting_iteratorIjlEEPS9_SE_NS0_5tupleIJPjSE_EEENSF_IJSE_SE_EEES9_SG_JZNS1_25segmented_radix_sort_implINS0_14default_configELb0EPKaPaPKlPlN2at6native12_GLOBAL__N_18offset_tEEE10hipError_tPvRmT1_PNSt15iterator_traitsISY_E10value_typeET2_T3_PNSZ_IS14_E10value_typeET4_jRbjT5_S1A_jjP12ihipStream_tbEUljE_EEESV_SW_SX_S14_S18_S1A_T6_T7_T9_mT8_S1C_bDpT10_ENKUlT_T0_E_clISt17integral_constantIbLb0EES1O_IbLb1EEEEDaS1K_S1L_EUlS1K_E_NS1_11comp_targetILNS1_3genE9ELNS1_11target_archE1100ELNS1_3gpuE3ELNS1_3repE0EEENS1_30default_config_static_selectorELNS0_4arch9wavefront6targetE0EEEvSY_
		.amdhsa_group_segment_fixed_size 0
		.amdhsa_private_segment_fixed_size 0
		.amdhsa_kernarg_size 152
		.amdhsa_user_sgpr_count 2
		.amdhsa_user_sgpr_dispatch_ptr 0
		.amdhsa_user_sgpr_queue_ptr 0
		.amdhsa_user_sgpr_kernarg_segment_ptr 1
		.amdhsa_user_sgpr_dispatch_id 0
		.amdhsa_user_sgpr_private_segment_size 0
		.amdhsa_wavefront_size32 1
		.amdhsa_uses_dynamic_stack 0
		.amdhsa_enable_private_segment 0
		.amdhsa_system_sgpr_workgroup_id_x 1
		.amdhsa_system_sgpr_workgroup_id_y 0
		.amdhsa_system_sgpr_workgroup_id_z 0
		.amdhsa_system_sgpr_workgroup_info 0
		.amdhsa_system_vgpr_workitem_id 0
		.amdhsa_next_free_vgpr 1
		.amdhsa_next_free_sgpr 1
		.amdhsa_reserve_vcc 0
		.amdhsa_float_round_mode_32 0
		.amdhsa_float_round_mode_16_64 0
		.amdhsa_float_denorm_mode_32 3
		.amdhsa_float_denorm_mode_16_64 3
		.amdhsa_fp16_overflow 0
		.amdhsa_workgroup_processor_mode 1
		.amdhsa_memory_ordered 1
		.amdhsa_forward_progress 1
		.amdhsa_inst_pref_size 0
		.amdhsa_round_robin_scheduling 0
		.amdhsa_exception_fp_ieee_invalid_op 0
		.amdhsa_exception_fp_denorm_src 0
		.amdhsa_exception_fp_ieee_div_zero 0
		.amdhsa_exception_fp_ieee_overflow 0
		.amdhsa_exception_fp_ieee_underflow 0
		.amdhsa_exception_fp_ieee_inexact 0
		.amdhsa_exception_int_div_zero 0
	.end_amdhsa_kernel
	.section	.text._ZN7rocprim17ROCPRIM_400000_NS6detail17trampoline_kernelINS0_13select_configILj256ELj13ELNS0_17block_load_methodE3ELS4_3ELS4_3ELNS0_20block_scan_algorithmE0ELj4294967295EEENS1_25partition_config_selectorILNS1_17partition_subalgoE3EjNS0_10empty_typeEbEEZZNS1_14partition_implILS8_3ELb0ES6_jNS0_17counting_iteratorIjlEEPS9_SE_NS0_5tupleIJPjSE_EEENSF_IJSE_SE_EEES9_SG_JZNS1_25segmented_radix_sort_implINS0_14default_configELb0EPKaPaPKlPlN2at6native12_GLOBAL__N_18offset_tEEE10hipError_tPvRmT1_PNSt15iterator_traitsISY_E10value_typeET2_T3_PNSZ_IS14_E10value_typeET4_jRbjT5_S1A_jjP12ihipStream_tbEUljE_EEESV_SW_SX_S14_S18_S1A_T6_T7_T9_mT8_S1C_bDpT10_ENKUlT_T0_E_clISt17integral_constantIbLb0EES1O_IbLb1EEEEDaS1K_S1L_EUlS1K_E_NS1_11comp_targetILNS1_3genE9ELNS1_11target_archE1100ELNS1_3gpuE3ELNS1_3repE0EEENS1_30default_config_static_selectorELNS0_4arch9wavefront6targetE0EEEvSY_,"axG",@progbits,_ZN7rocprim17ROCPRIM_400000_NS6detail17trampoline_kernelINS0_13select_configILj256ELj13ELNS0_17block_load_methodE3ELS4_3ELS4_3ELNS0_20block_scan_algorithmE0ELj4294967295EEENS1_25partition_config_selectorILNS1_17partition_subalgoE3EjNS0_10empty_typeEbEEZZNS1_14partition_implILS8_3ELb0ES6_jNS0_17counting_iteratorIjlEEPS9_SE_NS0_5tupleIJPjSE_EEENSF_IJSE_SE_EEES9_SG_JZNS1_25segmented_radix_sort_implINS0_14default_configELb0EPKaPaPKlPlN2at6native12_GLOBAL__N_18offset_tEEE10hipError_tPvRmT1_PNSt15iterator_traitsISY_E10value_typeET2_T3_PNSZ_IS14_E10value_typeET4_jRbjT5_S1A_jjP12ihipStream_tbEUljE_EEESV_SW_SX_S14_S18_S1A_T6_T7_T9_mT8_S1C_bDpT10_ENKUlT_T0_E_clISt17integral_constantIbLb0EES1O_IbLb1EEEEDaS1K_S1L_EUlS1K_E_NS1_11comp_targetILNS1_3genE9ELNS1_11target_archE1100ELNS1_3gpuE3ELNS1_3repE0EEENS1_30default_config_static_selectorELNS0_4arch9wavefront6targetE0EEEvSY_,comdat
.Lfunc_end391:
	.size	_ZN7rocprim17ROCPRIM_400000_NS6detail17trampoline_kernelINS0_13select_configILj256ELj13ELNS0_17block_load_methodE3ELS4_3ELS4_3ELNS0_20block_scan_algorithmE0ELj4294967295EEENS1_25partition_config_selectorILNS1_17partition_subalgoE3EjNS0_10empty_typeEbEEZZNS1_14partition_implILS8_3ELb0ES6_jNS0_17counting_iteratorIjlEEPS9_SE_NS0_5tupleIJPjSE_EEENSF_IJSE_SE_EEES9_SG_JZNS1_25segmented_radix_sort_implINS0_14default_configELb0EPKaPaPKlPlN2at6native12_GLOBAL__N_18offset_tEEE10hipError_tPvRmT1_PNSt15iterator_traitsISY_E10value_typeET2_T3_PNSZ_IS14_E10value_typeET4_jRbjT5_S1A_jjP12ihipStream_tbEUljE_EEESV_SW_SX_S14_S18_S1A_T6_T7_T9_mT8_S1C_bDpT10_ENKUlT_T0_E_clISt17integral_constantIbLb0EES1O_IbLb1EEEEDaS1K_S1L_EUlS1K_E_NS1_11comp_targetILNS1_3genE9ELNS1_11target_archE1100ELNS1_3gpuE3ELNS1_3repE0EEENS1_30default_config_static_selectorELNS0_4arch9wavefront6targetE0EEEvSY_, .Lfunc_end391-_ZN7rocprim17ROCPRIM_400000_NS6detail17trampoline_kernelINS0_13select_configILj256ELj13ELNS0_17block_load_methodE3ELS4_3ELS4_3ELNS0_20block_scan_algorithmE0ELj4294967295EEENS1_25partition_config_selectorILNS1_17partition_subalgoE3EjNS0_10empty_typeEbEEZZNS1_14partition_implILS8_3ELb0ES6_jNS0_17counting_iteratorIjlEEPS9_SE_NS0_5tupleIJPjSE_EEENSF_IJSE_SE_EEES9_SG_JZNS1_25segmented_radix_sort_implINS0_14default_configELb0EPKaPaPKlPlN2at6native12_GLOBAL__N_18offset_tEEE10hipError_tPvRmT1_PNSt15iterator_traitsISY_E10value_typeET2_T3_PNSZ_IS14_E10value_typeET4_jRbjT5_S1A_jjP12ihipStream_tbEUljE_EEESV_SW_SX_S14_S18_S1A_T6_T7_T9_mT8_S1C_bDpT10_ENKUlT_T0_E_clISt17integral_constantIbLb0EES1O_IbLb1EEEEDaS1K_S1L_EUlS1K_E_NS1_11comp_targetILNS1_3genE9ELNS1_11target_archE1100ELNS1_3gpuE3ELNS1_3repE0EEENS1_30default_config_static_selectorELNS0_4arch9wavefront6targetE0EEEvSY_
                                        ; -- End function
	.set _ZN7rocprim17ROCPRIM_400000_NS6detail17trampoline_kernelINS0_13select_configILj256ELj13ELNS0_17block_load_methodE3ELS4_3ELS4_3ELNS0_20block_scan_algorithmE0ELj4294967295EEENS1_25partition_config_selectorILNS1_17partition_subalgoE3EjNS0_10empty_typeEbEEZZNS1_14partition_implILS8_3ELb0ES6_jNS0_17counting_iteratorIjlEEPS9_SE_NS0_5tupleIJPjSE_EEENSF_IJSE_SE_EEES9_SG_JZNS1_25segmented_radix_sort_implINS0_14default_configELb0EPKaPaPKlPlN2at6native12_GLOBAL__N_18offset_tEEE10hipError_tPvRmT1_PNSt15iterator_traitsISY_E10value_typeET2_T3_PNSZ_IS14_E10value_typeET4_jRbjT5_S1A_jjP12ihipStream_tbEUljE_EEESV_SW_SX_S14_S18_S1A_T6_T7_T9_mT8_S1C_bDpT10_ENKUlT_T0_E_clISt17integral_constantIbLb0EES1O_IbLb1EEEEDaS1K_S1L_EUlS1K_E_NS1_11comp_targetILNS1_3genE9ELNS1_11target_archE1100ELNS1_3gpuE3ELNS1_3repE0EEENS1_30default_config_static_selectorELNS0_4arch9wavefront6targetE0EEEvSY_.num_vgpr, 0
	.set _ZN7rocprim17ROCPRIM_400000_NS6detail17trampoline_kernelINS0_13select_configILj256ELj13ELNS0_17block_load_methodE3ELS4_3ELS4_3ELNS0_20block_scan_algorithmE0ELj4294967295EEENS1_25partition_config_selectorILNS1_17partition_subalgoE3EjNS0_10empty_typeEbEEZZNS1_14partition_implILS8_3ELb0ES6_jNS0_17counting_iteratorIjlEEPS9_SE_NS0_5tupleIJPjSE_EEENSF_IJSE_SE_EEES9_SG_JZNS1_25segmented_radix_sort_implINS0_14default_configELb0EPKaPaPKlPlN2at6native12_GLOBAL__N_18offset_tEEE10hipError_tPvRmT1_PNSt15iterator_traitsISY_E10value_typeET2_T3_PNSZ_IS14_E10value_typeET4_jRbjT5_S1A_jjP12ihipStream_tbEUljE_EEESV_SW_SX_S14_S18_S1A_T6_T7_T9_mT8_S1C_bDpT10_ENKUlT_T0_E_clISt17integral_constantIbLb0EES1O_IbLb1EEEEDaS1K_S1L_EUlS1K_E_NS1_11comp_targetILNS1_3genE9ELNS1_11target_archE1100ELNS1_3gpuE3ELNS1_3repE0EEENS1_30default_config_static_selectorELNS0_4arch9wavefront6targetE0EEEvSY_.num_agpr, 0
	.set _ZN7rocprim17ROCPRIM_400000_NS6detail17trampoline_kernelINS0_13select_configILj256ELj13ELNS0_17block_load_methodE3ELS4_3ELS4_3ELNS0_20block_scan_algorithmE0ELj4294967295EEENS1_25partition_config_selectorILNS1_17partition_subalgoE3EjNS0_10empty_typeEbEEZZNS1_14partition_implILS8_3ELb0ES6_jNS0_17counting_iteratorIjlEEPS9_SE_NS0_5tupleIJPjSE_EEENSF_IJSE_SE_EEES9_SG_JZNS1_25segmented_radix_sort_implINS0_14default_configELb0EPKaPaPKlPlN2at6native12_GLOBAL__N_18offset_tEEE10hipError_tPvRmT1_PNSt15iterator_traitsISY_E10value_typeET2_T3_PNSZ_IS14_E10value_typeET4_jRbjT5_S1A_jjP12ihipStream_tbEUljE_EEESV_SW_SX_S14_S18_S1A_T6_T7_T9_mT8_S1C_bDpT10_ENKUlT_T0_E_clISt17integral_constantIbLb0EES1O_IbLb1EEEEDaS1K_S1L_EUlS1K_E_NS1_11comp_targetILNS1_3genE9ELNS1_11target_archE1100ELNS1_3gpuE3ELNS1_3repE0EEENS1_30default_config_static_selectorELNS0_4arch9wavefront6targetE0EEEvSY_.numbered_sgpr, 0
	.set _ZN7rocprim17ROCPRIM_400000_NS6detail17trampoline_kernelINS0_13select_configILj256ELj13ELNS0_17block_load_methodE3ELS4_3ELS4_3ELNS0_20block_scan_algorithmE0ELj4294967295EEENS1_25partition_config_selectorILNS1_17partition_subalgoE3EjNS0_10empty_typeEbEEZZNS1_14partition_implILS8_3ELb0ES6_jNS0_17counting_iteratorIjlEEPS9_SE_NS0_5tupleIJPjSE_EEENSF_IJSE_SE_EEES9_SG_JZNS1_25segmented_radix_sort_implINS0_14default_configELb0EPKaPaPKlPlN2at6native12_GLOBAL__N_18offset_tEEE10hipError_tPvRmT1_PNSt15iterator_traitsISY_E10value_typeET2_T3_PNSZ_IS14_E10value_typeET4_jRbjT5_S1A_jjP12ihipStream_tbEUljE_EEESV_SW_SX_S14_S18_S1A_T6_T7_T9_mT8_S1C_bDpT10_ENKUlT_T0_E_clISt17integral_constantIbLb0EES1O_IbLb1EEEEDaS1K_S1L_EUlS1K_E_NS1_11comp_targetILNS1_3genE9ELNS1_11target_archE1100ELNS1_3gpuE3ELNS1_3repE0EEENS1_30default_config_static_selectorELNS0_4arch9wavefront6targetE0EEEvSY_.num_named_barrier, 0
	.set _ZN7rocprim17ROCPRIM_400000_NS6detail17trampoline_kernelINS0_13select_configILj256ELj13ELNS0_17block_load_methodE3ELS4_3ELS4_3ELNS0_20block_scan_algorithmE0ELj4294967295EEENS1_25partition_config_selectorILNS1_17partition_subalgoE3EjNS0_10empty_typeEbEEZZNS1_14partition_implILS8_3ELb0ES6_jNS0_17counting_iteratorIjlEEPS9_SE_NS0_5tupleIJPjSE_EEENSF_IJSE_SE_EEES9_SG_JZNS1_25segmented_radix_sort_implINS0_14default_configELb0EPKaPaPKlPlN2at6native12_GLOBAL__N_18offset_tEEE10hipError_tPvRmT1_PNSt15iterator_traitsISY_E10value_typeET2_T3_PNSZ_IS14_E10value_typeET4_jRbjT5_S1A_jjP12ihipStream_tbEUljE_EEESV_SW_SX_S14_S18_S1A_T6_T7_T9_mT8_S1C_bDpT10_ENKUlT_T0_E_clISt17integral_constantIbLb0EES1O_IbLb1EEEEDaS1K_S1L_EUlS1K_E_NS1_11comp_targetILNS1_3genE9ELNS1_11target_archE1100ELNS1_3gpuE3ELNS1_3repE0EEENS1_30default_config_static_selectorELNS0_4arch9wavefront6targetE0EEEvSY_.private_seg_size, 0
	.set _ZN7rocprim17ROCPRIM_400000_NS6detail17trampoline_kernelINS0_13select_configILj256ELj13ELNS0_17block_load_methodE3ELS4_3ELS4_3ELNS0_20block_scan_algorithmE0ELj4294967295EEENS1_25partition_config_selectorILNS1_17partition_subalgoE3EjNS0_10empty_typeEbEEZZNS1_14partition_implILS8_3ELb0ES6_jNS0_17counting_iteratorIjlEEPS9_SE_NS0_5tupleIJPjSE_EEENSF_IJSE_SE_EEES9_SG_JZNS1_25segmented_radix_sort_implINS0_14default_configELb0EPKaPaPKlPlN2at6native12_GLOBAL__N_18offset_tEEE10hipError_tPvRmT1_PNSt15iterator_traitsISY_E10value_typeET2_T3_PNSZ_IS14_E10value_typeET4_jRbjT5_S1A_jjP12ihipStream_tbEUljE_EEESV_SW_SX_S14_S18_S1A_T6_T7_T9_mT8_S1C_bDpT10_ENKUlT_T0_E_clISt17integral_constantIbLb0EES1O_IbLb1EEEEDaS1K_S1L_EUlS1K_E_NS1_11comp_targetILNS1_3genE9ELNS1_11target_archE1100ELNS1_3gpuE3ELNS1_3repE0EEENS1_30default_config_static_selectorELNS0_4arch9wavefront6targetE0EEEvSY_.uses_vcc, 0
	.set _ZN7rocprim17ROCPRIM_400000_NS6detail17trampoline_kernelINS0_13select_configILj256ELj13ELNS0_17block_load_methodE3ELS4_3ELS4_3ELNS0_20block_scan_algorithmE0ELj4294967295EEENS1_25partition_config_selectorILNS1_17partition_subalgoE3EjNS0_10empty_typeEbEEZZNS1_14partition_implILS8_3ELb0ES6_jNS0_17counting_iteratorIjlEEPS9_SE_NS0_5tupleIJPjSE_EEENSF_IJSE_SE_EEES9_SG_JZNS1_25segmented_radix_sort_implINS0_14default_configELb0EPKaPaPKlPlN2at6native12_GLOBAL__N_18offset_tEEE10hipError_tPvRmT1_PNSt15iterator_traitsISY_E10value_typeET2_T3_PNSZ_IS14_E10value_typeET4_jRbjT5_S1A_jjP12ihipStream_tbEUljE_EEESV_SW_SX_S14_S18_S1A_T6_T7_T9_mT8_S1C_bDpT10_ENKUlT_T0_E_clISt17integral_constantIbLb0EES1O_IbLb1EEEEDaS1K_S1L_EUlS1K_E_NS1_11comp_targetILNS1_3genE9ELNS1_11target_archE1100ELNS1_3gpuE3ELNS1_3repE0EEENS1_30default_config_static_selectorELNS0_4arch9wavefront6targetE0EEEvSY_.uses_flat_scratch, 0
	.set _ZN7rocprim17ROCPRIM_400000_NS6detail17trampoline_kernelINS0_13select_configILj256ELj13ELNS0_17block_load_methodE3ELS4_3ELS4_3ELNS0_20block_scan_algorithmE0ELj4294967295EEENS1_25partition_config_selectorILNS1_17partition_subalgoE3EjNS0_10empty_typeEbEEZZNS1_14partition_implILS8_3ELb0ES6_jNS0_17counting_iteratorIjlEEPS9_SE_NS0_5tupleIJPjSE_EEENSF_IJSE_SE_EEES9_SG_JZNS1_25segmented_radix_sort_implINS0_14default_configELb0EPKaPaPKlPlN2at6native12_GLOBAL__N_18offset_tEEE10hipError_tPvRmT1_PNSt15iterator_traitsISY_E10value_typeET2_T3_PNSZ_IS14_E10value_typeET4_jRbjT5_S1A_jjP12ihipStream_tbEUljE_EEESV_SW_SX_S14_S18_S1A_T6_T7_T9_mT8_S1C_bDpT10_ENKUlT_T0_E_clISt17integral_constantIbLb0EES1O_IbLb1EEEEDaS1K_S1L_EUlS1K_E_NS1_11comp_targetILNS1_3genE9ELNS1_11target_archE1100ELNS1_3gpuE3ELNS1_3repE0EEENS1_30default_config_static_selectorELNS0_4arch9wavefront6targetE0EEEvSY_.has_dyn_sized_stack, 0
	.set _ZN7rocprim17ROCPRIM_400000_NS6detail17trampoline_kernelINS0_13select_configILj256ELj13ELNS0_17block_load_methodE3ELS4_3ELS4_3ELNS0_20block_scan_algorithmE0ELj4294967295EEENS1_25partition_config_selectorILNS1_17partition_subalgoE3EjNS0_10empty_typeEbEEZZNS1_14partition_implILS8_3ELb0ES6_jNS0_17counting_iteratorIjlEEPS9_SE_NS0_5tupleIJPjSE_EEENSF_IJSE_SE_EEES9_SG_JZNS1_25segmented_radix_sort_implINS0_14default_configELb0EPKaPaPKlPlN2at6native12_GLOBAL__N_18offset_tEEE10hipError_tPvRmT1_PNSt15iterator_traitsISY_E10value_typeET2_T3_PNSZ_IS14_E10value_typeET4_jRbjT5_S1A_jjP12ihipStream_tbEUljE_EEESV_SW_SX_S14_S18_S1A_T6_T7_T9_mT8_S1C_bDpT10_ENKUlT_T0_E_clISt17integral_constantIbLb0EES1O_IbLb1EEEEDaS1K_S1L_EUlS1K_E_NS1_11comp_targetILNS1_3genE9ELNS1_11target_archE1100ELNS1_3gpuE3ELNS1_3repE0EEENS1_30default_config_static_selectorELNS0_4arch9wavefront6targetE0EEEvSY_.has_recursion, 0
	.set _ZN7rocprim17ROCPRIM_400000_NS6detail17trampoline_kernelINS0_13select_configILj256ELj13ELNS0_17block_load_methodE3ELS4_3ELS4_3ELNS0_20block_scan_algorithmE0ELj4294967295EEENS1_25partition_config_selectorILNS1_17partition_subalgoE3EjNS0_10empty_typeEbEEZZNS1_14partition_implILS8_3ELb0ES6_jNS0_17counting_iteratorIjlEEPS9_SE_NS0_5tupleIJPjSE_EEENSF_IJSE_SE_EEES9_SG_JZNS1_25segmented_radix_sort_implINS0_14default_configELb0EPKaPaPKlPlN2at6native12_GLOBAL__N_18offset_tEEE10hipError_tPvRmT1_PNSt15iterator_traitsISY_E10value_typeET2_T3_PNSZ_IS14_E10value_typeET4_jRbjT5_S1A_jjP12ihipStream_tbEUljE_EEESV_SW_SX_S14_S18_S1A_T6_T7_T9_mT8_S1C_bDpT10_ENKUlT_T0_E_clISt17integral_constantIbLb0EES1O_IbLb1EEEEDaS1K_S1L_EUlS1K_E_NS1_11comp_targetILNS1_3genE9ELNS1_11target_archE1100ELNS1_3gpuE3ELNS1_3repE0EEENS1_30default_config_static_selectorELNS0_4arch9wavefront6targetE0EEEvSY_.has_indirect_call, 0
	.section	.AMDGPU.csdata,"",@progbits
; Kernel info:
; codeLenInByte = 0
; TotalNumSgprs: 0
; NumVgprs: 0
; ScratchSize: 0
; MemoryBound: 0
; FloatMode: 240
; IeeeMode: 1
; LDSByteSize: 0 bytes/workgroup (compile time only)
; SGPRBlocks: 0
; VGPRBlocks: 0
; NumSGPRsForWavesPerEU: 1
; NumVGPRsForWavesPerEU: 1
; Occupancy: 16
; WaveLimiterHint : 0
; COMPUTE_PGM_RSRC2:SCRATCH_EN: 0
; COMPUTE_PGM_RSRC2:USER_SGPR: 2
; COMPUTE_PGM_RSRC2:TRAP_HANDLER: 0
; COMPUTE_PGM_RSRC2:TGID_X_EN: 1
; COMPUTE_PGM_RSRC2:TGID_Y_EN: 0
; COMPUTE_PGM_RSRC2:TGID_Z_EN: 0
; COMPUTE_PGM_RSRC2:TIDIG_COMP_CNT: 0
	.section	.text._ZN7rocprim17ROCPRIM_400000_NS6detail17trampoline_kernelINS0_13select_configILj256ELj13ELNS0_17block_load_methodE3ELS4_3ELS4_3ELNS0_20block_scan_algorithmE0ELj4294967295EEENS1_25partition_config_selectorILNS1_17partition_subalgoE3EjNS0_10empty_typeEbEEZZNS1_14partition_implILS8_3ELb0ES6_jNS0_17counting_iteratorIjlEEPS9_SE_NS0_5tupleIJPjSE_EEENSF_IJSE_SE_EEES9_SG_JZNS1_25segmented_radix_sort_implINS0_14default_configELb0EPKaPaPKlPlN2at6native12_GLOBAL__N_18offset_tEEE10hipError_tPvRmT1_PNSt15iterator_traitsISY_E10value_typeET2_T3_PNSZ_IS14_E10value_typeET4_jRbjT5_S1A_jjP12ihipStream_tbEUljE_EEESV_SW_SX_S14_S18_S1A_T6_T7_T9_mT8_S1C_bDpT10_ENKUlT_T0_E_clISt17integral_constantIbLb0EES1O_IbLb1EEEEDaS1K_S1L_EUlS1K_E_NS1_11comp_targetILNS1_3genE8ELNS1_11target_archE1030ELNS1_3gpuE2ELNS1_3repE0EEENS1_30default_config_static_selectorELNS0_4arch9wavefront6targetE0EEEvSY_,"axG",@progbits,_ZN7rocprim17ROCPRIM_400000_NS6detail17trampoline_kernelINS0_13select_configILj256ELj13ELNS0_17block_load_methodE3ELS4_3ELS4_3ELNS0_20block_scan_algorithmE0ELj4294967295EEENS1_25partition_config_selectorILNS1_17partition_subalgoE3EjNS0_10empty_typeEbEEZZNS1_14partition_implILS8_3ELb0ES6_jNS0_17counting_iteratorIjlEEPS9_SE_NS0_5tupleIJPjSE_EEENSF_IJSE_SE_EEES9_SG_JZNS1_25segmented_radix_sort_implINS0_14default_configELb0EPKaPaPKlPlN2at6native12_GLOBAL__N_18offset_tEEE10hipError_tPvRmT1_PNSt15iterator_traitsISY_E10value_typeET2_T3_PNSZ_IS14_E10value_typeET4_jRbjT5_S1A_jjP12ihipStream_tbEUljE_EEESV_SW_SX_S14_S18_S1A_T6_T7_T9_mT8_S1C_bDpT10_ENKUlT_T0_E_clISt17integral_constantIbLb0EES1O_IbLb1EEEEDaS1K_S1L_EUlS1K_E_NS1_11comp_targetILNS1_3genE8ELNS1_11target_archE1030ELNS1_3gpuE2ELNS1_3repE0EEENS1_30default_config_static_selectorELNS0_4arch9wavefront6targetE0EEEvSY_,comdat
	.globl	_ZN7rocprim17ROCPRIM_400000_NS6detail17trampoline_kernelINS0_13select_configILj256ELj13ELNS0_17block_load_methodE3ELS4_3ELS4_3ELNS0_20block_scan_algorithmE0ELj4294967295EEENS1_25partition_config_selectorILNS1_17partition_subalgoE3EjNS0_10empty_typeEbEEZZNS1_14partition_implILS8_3ELb0ES6_jNS0_17counting_iteratorIjlEEPS9_SE_NS0_5tupleIJPjSE_EEENSF_IJSE_SE_EEES9_SG_JZNS1_25segmented_radix_sort_implINS0_14default_configELb0EPKaPaPKlPlN2at6native12_GLOBAL__N_18offset_tEEE10hipError_tPvRmT1_PNSt15iterator_traitsISY_E10value_typeET2_T3_PNSZ_IS14_E10value_typeET4_jRbjT5_S1A_jjP12ihipStream_tbEUljE_EEESV_SW_SX_S14_S18_S1A_T6_T7_T9_mT8_S1C_bDpT10_ENKUlT_T0_E_clISt17integral_constantIbLb0EES1O_IbLb1EEEEDaS1K_S1L_EUlS1K_E_NS1_11comp_targetILNS1_3genE8ELNS1_11target_archE1030ELNS1_3gpuE2ELNS1_3repE0EEENS1_30default_config_static_selectorELNS0_4arch9wavefront6targetE0EEEvSY_ ; -- Begin function _ZN7rocprim17ROCPRIM_400000_NS6detail17trampoline_kernelINS0_13select_configILj256ELj13ELNS0_17block_load_methodE3ELS4_3ELS4_3ELNS0_20block_scan_algorithmE0ELj4294967295EEENS1_25partition_config_selectorILNS1_17partition_subalgoE3EjNS0_10empty_typeEbEEZZNS1_14partition_implILS8_3ELb0ES6_jNS0_17counting_iteratorIjlEEPS9_SE_NS0_5tupleIJPjSE_EEENSF_IJSE_SE_EEES9_SG_JZNS1_25segmented_radix_sort_implINS0_14default_configELb0EPKaPaPKlPlN2at6native12_GLOBAL__N_18offset_tEEE10hipError_tPvRmT1_PNSt15iterator_traitsISY_E10value_typeET2_T3_PNSZ_IS14_E10value_typeET4_jRbjT5_S1A_jjP12ihipStream_tbEUljE_EEESV_SW_SX_S14_S18_S1A_T6_T7_T9_mT8_S1C_bDpT10_ENKUlT_T0_E_clISt17integral_constantIbLb0EES1O_IbLb1EEEEDaS1K_S1L_EUlS1K_E_NS1_11comp_targetILNS1_3genE8ELNS1_11target_archE1030ELNS1_3gpuE2ELNS1_3repE0EEENS1_30default_config_static_selectorELNS0_4arch9wavefront6targetE0EEEvSY_
	.p2align	8
	.type	_ZN7rocprim17ROCPRIM_400000_NS6detail17trampoline_kernelINS0_13select_configILj256ELj13ELNS0_17block_load_methodE3ELS4_3ELS4_3ELNS0_20block_scan_algorithmE0ELj4294967295EEENS1_25partition_config_selectorILNS1_17partition_subalgoE3EjNS0_10empty_typeEbEEZZNS1_14partition_implILS8_3ELb0ES6_jNS0_17counting_iteratorIjlEEPS9_SE_NS0_5tupleIJPjSE_EEENSF_IJSE_SE_EEES9_SG_JZNS1_25segmented_radix_sort_implINS0_14default_configELb0EPKaPaPKlPlN2at6native12_GLOBAL__N_18offset_tEEE10hipError_tPvRmT1_PNSt15iterator_traitsISY_E10value_typeET2_T3_PNSZ_IS14_E10value_typeET4_jRbjT5_S1A_jjP12ihipStream_tbEUljE_EEESV_SW_SX_S14_S18_S1A_T6_T7_T9_mT8_S1C_bDpT10_ENKUlT_T0_E_clISt17integral_constantIbLb0EES1O_IbLb1EEEEDaS1K_S1L_EUlS1K_E_NS1_11comp_targetILNS1_3genE8ELNS1_11target_archE1030ELNS1_3gpuE2ELNS1_3repE0EEENS1_30default_config_static_selectorELNS0_4arch9wavefront6targetE0EEEvSY_,@function
_ZN7rocprim17ROCPRIM_400000_NS6detail17trampoline_kernelINS0_13select_configILj256ELj13ELNS0_17block_load_methodE3ELS4_3ELS4_3ELNS0_20block_scan_algorithmE0ELj4294967295EEENS1_25partition_config_selectorILNS1_17partition_subalgoE3EjNS0_10empty_typeEbEEZZNS1_14partition_implILS8_3ELb0ES6_jNS0_17counting_iteratorIjlEEPS9_SE_NS0_5tupleIJPjSE_EEENSF_IJSE_SE_EEES9_SG_JZNS1_25segmented_radix_sort_implINS0_14default_configELb0EPKaPaPKlPlN2at6native12_GLOBAL__N_18offset_tEEE10hipError_tPvRmT1_PNSt15iterator_traitsISY_E10value_typeET2_T3_PNSZ_IS14_E10value_typeET4_jRbjT5_S1A_jjP12ihipStream_tbEUljE_EEESV_SW_SX_S14_S18_S1A_T6_T7_T9_mT8_S1C_bDpT10_ENKUlT_T0_E_clISt17integral_constantIbLb0EES1O_IbLb1EEEEDaS1K_S1L_EUlS1K_E_NS1_11comp_targetILNS1_3genE8ELNS1_11target_archE1030ELNS1_3gpuE2ELNS1_3repE0EEENS1_30default_config_static_selectorELNS0_4arch9wavefront6targetE0EEEvSY_: ; @_ZN7rocprim17ROCPRIM_400000_NS6detail17trampoline_kernelINS0_13select_configILj256ELj13ELNS0_17block_load_methodE3ELS4_3ELS4_3ELNS0_20block_scan_algorithmE0ELj4294967295EEENS1_25partition_config_selectorILNS1_17partition_subalgoE3EjNS0_10empty_typeEbEEZZNS1_14partition_implILS8_3ELb0ES6_jNS0_17counting_iteratorIjlEEPS9_SE_NS0_5tupleIJPjSE_EEENSF_IJSE_SE_EEES9_SG_JZNS1_25segmented_radix_sort_implINS0_14default_configELb0EPKaPaPKlPlN2at6native12_GLOBAL__N_18offset_tEEE10hipError_tPvRmT1_PNSt15iterator_traitsISY_E10value_typeET2_T3_PNSZ_IS14_E10value_typeET4_jRbjT5_S1A_jjP12ihipStream_tbEUljE_EEESV_SW_SX_S14_S18_S1A_T6_T7_T9_mT8_S1C_bDpT10_ENKUlT_T0_E_clISt17integral_constantIbLb0EES1O_IbLb1EEEEDaS1K_S1L_EUlS1K_E_NS1_11comp_targetILNS1_3genE8ELNS1_11target_archE1030ELNS1_3gpuE2ELNS1_3repE0EEENS1_30default_config_static_selectorELNS0_4arch9wavefront6targetE0EEEvSY_
; %bb.0:
	.section	.rodata,"a",@progbits
	.p2align	6, 0x0
	.amdhsa_kernel _ZN7rocprim17ROCPRIM_400000_NS6detail17trampoline_kernelINS0_13select_configILj256ELj13ELNS0_17block_load_methodE3ELS4_3ELS4_3ELNS0_20block_scan_algorithmE0ELj4294967295EEENS1_25partition_config_selectorILNS1_17partition_subalgoE3EjNS0_10empty_typeEbEEZZNS1_14partition_implILS8_3ELb0ES6_jNS0_17counting_iteratorIjlEEPS9_SE_NS0_5tupleIJPjSE_EEENSF_IJSE_SE_EEES9_SG_JZNS1_25segmented_radix_sort_implINS0_14default_configELb0EPKaPaPKlPlN2at6native12_GLOBAL__N_18offset_tEEE10hipError_tPvRmT1_PNSt15iterator_traitsISY_E10value_typeET2_T3_PNSZ_IS14_E10value_typeET4_jRbjT5_S1A_jjP12ihipStream_tbEUljE_EEESV_SW_SX_S14_S18_S1A_T6_T7_T9_mT8_S1C_bDpT10_ENKUlT_T0_E_clISt17integral_constantIbLb0EES1O_IbLb1EEEEDaS1K_S1L_EUlS1K_E_NS1_11comp_targetILNS1_3genE8ELNS1_11target_archE1030ELNS1_3gpuE2ELNS1_3repE0EEENS1_30default_config_static_selectorELNS0_4arch9wavefront6targetE0EEEvSY_
		.amdhsa_group_segment_fixed_size 0
		.amdhsa_private_segment_fixed_size 0
		.amdhsa_kernarg_size 152
		.amdhsa_user_sgpr_count 2
		.amdhsa_user_sgpr_dispatch_ptr 0
		.amdhsa_user_sgpr_queue_ptr 0
		.amdhsa_user_sgpr_kernarg_segment_ptr 1
		.amdhsa_user_sgpr_dispatch_id 0
		.amdhsa_user_sgpr_private_segment_size 0
		.amdhsa_wavefront_size32 1
		.amdhsa_uses_dynamic_stack 0
		.amdhsa_enable_private_segment 0
		.amdhsa_system_sgpr_workgroup_id_x 1
		.amdhsa_system_sgpr_workgroup_id_y 0
		.amdhsa_system_sgpr_workgroup_id_z 0
		.amdhsa_system_sgpr_workgroup_info 0
		.amdhsa_system_vgpr_workitem_id 0
		.amdhsa_next_free_vgpr 1
		.amdhsa_next_free_sgpr 1
		.amdhsa_reserve_vcc 0
		.amdhsa_float_round_mode_32 0
		.amdhsa_float_round_mode_16_64 0
		.amdhsa_float_denorm_mode_32 3
		.amdhsa_float_denorm_mode_16_64 3
		.amdhsa_fp16_overflow 0
		.amdhsa_workgroup_processor_mode 1
		.amdhsa_memory_ordered 1
		.amdhsa_forward_progress 1
		.amdhsa_inst_pref_size 0
		.amdhsa_round_robin_scheduling 0
		.amdhsa_exception_fp_ieee_invalid_op 0
		.amdhsa_exception_fp_denorm_src 0
		.amdhsa_exception_fp_ieee_div_zero 0
		.amdhsa_exception_fp_ieee_overflow 0
		.amdhsa_exception_fp_ieee_underflow 0
		.amdhsa_exception_fp_ieee_inexact 0
		.amdhsa_exception_int_div_zero 0
	.end_amdhsa_kernel
	.section	.text._ZN7rocprim17ROCPRIM_400000_NS6detail17trampoline_kernelINS0_13select_configILj256ELj13ELNS0_17block_load_methodE3ELS4_3ELS4_3ELNS0_20block_scan_algorithmE0ELj4294967295EEENS1_25partition_config_selectorILNS1_17partition_subalgoE3EjNS0_10empty_typeEbEEZZNS1_14partition_implILS8_3ELb0ES6_jNS0_17counting_iteratorIjlEEPS9_SE_NS0_5tupleIJPjSE_EEENSF_IJSE_SE_EEES9_SG_JZNS1_25segmented_radix_sort_implINS0_14default_configELb0EPKaPaPKlPlN2at6native12_GLOBAL__N_18offset_tEEE10hipError_tPvRmT1_PNSt15iterator_traitsISY_E10value_typeET2_T3_PNSZ_IS14_E10value_typeET4_jRbjT5_S1A_jjP12ihipStream_tbEUljE_EEESV_SW_SX_S14_S18_S1A_T6_T7_T9_mT8_S1C_bDpT10_ENKUlT_T0_E_clISt17integral_constantIbLb0EES1O_IbLb1EEEEDaS1K_S1L_EUlS1K_E_NS1_11comp_targetILNS1_3genE8ELNS1_11target_archE1030ELNS1_3gpuE2ELNS1_3repE0EEENS1_30default_config_static_selectorELNS0_4arch9wavefront6targetE0EEEvSY_,"axG",@progbits,_ZN7rocprim17ROCPRIM_400000_NS6detail17trampoline_kernelINS0_13select_configILj256ELj13ELNS0_17block_load_methodE3ELS4_3ELS4_3ELNS0_20block_scan_algorithmE0ELj4294967295EEENS1_25partition_config_selectorILNS1_17partition_subalgoE3EjNS0_10empty_typeEbEEZZNS1_14partition_implILS8_3ELb0ES6_jNS0_17counting_iteratorIjlEEPS9_SE_NS0_5tupleIJPjSE_EEENSF_IJSE_SE_EEES9_SG_JZNS1_25segmented_radix_sort_implINS0_14default_configELb0EPKaPaPKlPlN2at6native12_GLOBAL__N_18offset_tEEE10hipError_tPvRmT1_PNSt15iterator_traitsISY_E10value_typeET2_T3_PNSZ_IS14_E10value_typeET4_jRbjT5_S1A_jjP12ihipStream_tbEUljE_EEESV_SW_SX_S14_S18_S1A_T6_T7_T9_mT8_S1C_bDpT10_ENKUlT_T0_E_clISt17integral_constantIbLb0EES1O_IbLb1EEEEDaS1K_S1L_EUlS1K_E_NS1_11comp_targetILNS1_3genE8ELNS1_11target_archE1030ELNS1_3gpuE2ELNS1_3repE0EEENS1_30default_config_static_selectorELNS0_4arch9wavefront6targetE0EEEvSY_,comdat
.Lfunc_end392:
	.size	_ZN7rocprim17ROCPRIM_400000_NS6detail17trampoline_kernelINS0_13select_configILj256ELj13ELNS0_17block_load_methodE3ELS4_3ELS4_3ELNS0_20block_scan_algorithmE0ELj4294967295EEENS1_25partition_config_selectorILNS1_17partition_subalgoE3EjNS0_10empty_typeEbEEZZNS1_14partition_implILS8_3ELb0ES6_jNS0_17counting_iteratorIjlEEPS9_SE_NS0_5tupleIJPjSE_EEENSF_IJSE_SE_EEES9_SG_JZNS1_25segmented_radix_sort_implINS0_14default_configELb0EPKaPaPKlPlN2at6native12_GLOBAL__N_18offset_tEEE10hipError_tPvRmT1_PNSt15iterator_traitsISY_E10value_typeET2_T3_PNSZ_IS14_E10value_typeET4_jRbjT5_S1A_jjP12ihipStream_tbEUljE_EEESV_SW_SX_S14_S18_S1A_T6_T7_T9_mT8_S1C_bDpT10_ENKUlT_T0_E_clISt17integral_constantIbLb0EES1O_IbLb1EEEEDaS1K_S1L_EUlS1K_E_NS1_11comp_targetILNS1_3genE8ELNS1_11target_archE1030ELNS1_3gpuE2ELNS1_3repE0EEENS1_30default_config_static_selectorELNS0_4arch9wavefront6targetE0EEEvSY_, .Lfunc_end392-_ZN7rocprim17ROCPRIM_400000_NS6detail17trampoline_kernelINS0_13select_configILj256ELj13ELNS0_17block_load_methodE3ELS4_3ELS4_3ELNS0_20block_scan_algorithmE0ELj4294967295EEENS1_25partition_config_selectorILNS1_17partition_subalgoE3EjNS0_10empty_typeEbEEZZNS1_14partition_implILS8_3ELb0ES6_jNS0_17counting_iteratorIjlEEPS9_SE_NS0_5tupleIJPjSE_EEENSF_IJSE_SE_EEES9_SG_JZNS1_25segmented_radix_sort_implINS0_14default_configELb0EPKaPaPKlPlN2at6native12_GLOBAL__N_18offset_tEEE10hipError_tPvRmT1_PNSt15iterator_traitsISY_E10value_typeET2_T3_PNSZ_IS14_E10value_typeET4_jRbjT5_S1A_jjP12ihipStream_tbEUljE_EEESV_SW_SX_S14_S18_S1A_T6_T7_T9_mT8_S1C_bDpT10_ENKUlT_T0_E_clISt17integral_constantIbLb0EES1O_IbLb1EEEEDaS1K_S1L_EUlS1K_E_NS1_11comp_targetILNS1_3genE8ELNS1_11target_archE1030ELNS1_3gpuE2ELNS1_3repE0EEENS1_30default_config_static_selectorELNS0_4arch9wavefront6targetE0EEEvSY_
                                        ; -- End function
	.set _ZN7rocprim17ROCPRIM_400000_NS6detail17trampoline_kernelINS0_13select_configILj256ELj13ELNS0_17block_load_methodE3ELS4_3ELS4_3ELNS0_20block_scan_algorithmE0ELj4294967295EEENS1_25partition_config_selectorILNS1_17partition_subalgoE3EjNS0_10empty_typeEbEEZZNS1_14partition_implILS8_3ELb0ES6_jNS0_17counting_iteratorIjlEEPS9_SE_NS0_5tupleIJPjSE_EEENSF_IJSE_SE_EEES9_SG_JZNS1_25segmented_radix_sort_implINS0_14default_configELb0EPKaPaPKlPlN2at6native12_GLOBAL__N_18offset_tEEE10hipError_tPvRmT1_PNSt15iterator_traitsISY_E10value_typeET2_T3_PNSZ_IS14_E10value_typeET4_jRbjT5_S1A_jjP12ihipStream_tbEUljE_EEESV_SW_SX_S14_S18_S1A_T6_T7_T9_mT8_S1C_bDpT10_ENKUlT_T0_E_clISt17integral_constantIbLb0EES1O_IbLb1EEEEDaS1K_S1L_EUlS1K_E_NS1_11comp_targetILNS1_3genE8ELNS1_11target_archE1030ELNS1_3gpuE2ELNS1_3repE0EEENS1_30default_config_static_selectorELNS0_4arch9wavefront6targetE0EEEvSY_.num_vgpr, 0
	.set _ZN7rocprim17ROCPRIM_400000_NS6detail17trampoline_kernelINS0_13select_configILj256ELj13ELNS0_17block_load_methodE3ELS4_3ELS4_3ELNS0_20block_scan_algorithmE0ELj4294967295EEENS1_25partition_config_selectorILNS1_17partition_subalgoE3EjNS0_10empty_typeEbEEZZNS1_14partition_implILS8_3ELb0ES6_jNS0_17counting_iteratorIjlEEPS9_SE_NS0_5tupleIJPjSE_EEENSF_IJSE_SE_EEES9_SG_JZNS1_25segmented_radix_sort_implINS0_14default_configELb0EPKaPaPKlPlN2at6native12_GLOBAL__N_18offset_tEEE10hipError_tPvRmT1_PNSt15iterator_traitsISY_E10value_typeET2_T3_PNSZ_IS14_E10value_typeET4_jRbjT5_S1A_jjP12ihipStream_tbEUljE_EEESV_SW_SX_S14_S18_S1A_T6_T7_T9_mT8_S1C_bDpT10_ENKUlT_T0_E_clISt17integral_constantIbLb0EES1O_IbLb1EEEEDaS1K_S1L_EUlS1K_E_NS1_11comp_targetILNS1_3genE8ELNS1_11target_archE1030ELNS1_3gpuE2ELNS1_3repE0EEENS1_30default_config_static_selectorELNS0_4arch9wavefront6targetE0EEEvSY_.num_agpr, 0
	.set _ZN7rocprim17ROCPRIM_400000_NS6detail17trampoline_kernelINS0_13select_configILj256ELj13ELNS0_17block_load_methodE3ELS4_3ELS4_3ELNS0_20block_scan_algorithmE0ELj4294967295EEENS1_25partition_config_selectorILNS1_17partition_subalgoE3EjNS0_10empty_typeEbEEZZNS1_14partition_implILS8_3ELb0ES6_jNS0_17counting_iteratorIjlEEPS9_SE_NS0_5tupleIJPjSE_EEENSF_IJSE_SE_EEES9_SG_JZNS1_25segmented_radix_sort_implINS0_14default_configELb0EPKaPaPKlPlN2at6native12_GLOBAL__N_18offset_tEEE10hipError_tPvRmT1_PNSt15iterator_traitsISY_E10value_typeET2_T3_PNSZ_IS14_E10value_typeET4_jRbjT5_S1A_jjP12ihipStream_tbEUljE_EEESV_SW_SX_S14_S18_S1A_T6_T7_T9_mT8_S1C_bDpT10_ENKUlT_T0_E_clISt17integral_constantIbLb0EES1O_IbLb1EEEEDaS1K_S1L_EUlS1K_E_NS1_11comp_targetILNS1_3genE8ELNS1_11target_archE1030ELNS1_3gpuE2ELNS1_3repE0EEENS1_30default_config_static_selectorELNS0_4arch9wavefront6targetE0EEEvSY_.numbered_sgpr, 0
	.set _ZN7rocprim17ROCPRIM_400000_NS6detail17trampoline_kernelINS0_13select_configILj256ELj13ELNS0_17block_load_methodE3ELS4_3ELS4_3ELNS0_20block_scan_algorithmE0ELj4294967295EEENS1_25partition_config_selectorILNS1_17partition_subalgoE3EjNS0_10empty_typeEbEEZZNS1_14partition_implILS8_3ELb0ES6_jNS0_17counting_iteratorIjlEEPS9_SE_NS0_5tupleIJPjSE_EEENSF_IJSE_SE_EEES9_SG_JZNS1_25segmented_radix_sort_implINS0_14default_configELb0EPKaPaPKlPlN2at6native12_GLOBAL__N_18offset_tEEE10hipError_tPvRmT1_PNSt15iterator_traitsISY_E10value_typeET2_T3_PNSZ_IS14_E10value_typeET4_jRbjT5_S1A_jjP12ihipStream_tbEUljE_EEESV_SW_SX_S14_S18_S1A_T6_T7_T9_mT8_S1C_bDpT10_ENKUlT_T0_E_clISt17integral_constantIbLb0EES1O_IbLb1EEEEDaS1K_S1L_EUlS1K_E_NS1_11comp_targetILNS1_3genE8ELNS1_11target_archE1030ELNS1_3gpuE2ELNS1_3repE0EEENS1_30default_config_static_selectorELNS0_4arch9wavefront6targetE0EEEvSY_.num_named_barrier, 0
	.set _ZN7rocprim17ROCPRIM_400000_NS6detail17trampoline_kernelINS0_13select_configILj256ELj13ELNS0_17block_load_methodE3ELS4_3ELS4_3ELNS0_20block_scan_algorithmE0ELj4294967295EEENS1_25partition_config_selectorILNS1_17partition_subalgoE3EjNS0_10empty_typeEbEEZZNS1_14partition_implILS8_3ELb0ES6_jNS0_17counting_iteratorIjlEEPS9_SE_NS0_5tupleIJPjSE_EEENSF_IJSE_SE_EEES9_SG_JZNS1_25segmented_radix_sort_implINS0_14default_configELb0EPKaPaPKlPlN2at6native12_GLOBAL__N_18offset_tEEE10hipError_tPvRmT1_PNSt15iterator_traitsISY_E10value_typeET2_T3_PNSZ_IS14_E10value_typeET4_jRbjT5_S1A_jjP12ihipStream_tbEUljE_EEESV_SW_SX_S14_S18_S1A_T6_T7_T9_mT8_S1C_bDpT10_ENKUlT_T0_E_clISt17integral_constantIbLb0EES1O_IbLb1EEEEDaS1K_S1L_EUlS1K_E_NS1_11comp_targetILNS1_3genE8ELNS1_11target_archE1030ELNS1_3gpuE2ELNS1_3repE0EEENS1_30default_config_static_selectorELNS0_4arch9wavefront6targetE0EEEvSY_.private_seg_size, 0
	.set _ZN7rocprim17ROCPRIM_400000_NS6detail17trampoline_kernelINS0_13select_configILj256ELj13ELNS0_17block_load_methodE3ELS4_3ELS4_3ELNS0_20block_scan_algorithmE0ELj4294967295EEENS1_25partition_config_selectorILNS1_17partition_subalgoE3EjNS0_10empty_typeEbEEZZNS1_14partition_implILS8_3ELb0ES6_jNS0_17counting_iteratorIjlEEPS9_SE_NS0_5tupleIJPjSE_EEENSF_IJSE_SE_EEES9_SG_JZNS1_25segmented_radix_sort_implINS0_14default_configELb0EPKaPaPKlPlN2at6native12_GLOBAL__N_18offset_tEEE10hipError_tPvRmT1_PNSt15iterator_traitsISY_E10value_typeET2_T3_PNSZ_IS14_E10value_typeET4_jRbjT5_S1A_jjP12ihipStream_tbEUljE_EEESV_SW_SX_S14_S18_S1A_T6_T7_T9_mT8_S1C_bDpT10_ENKUlT_T0_E_clISt17integral_constantIbLb0EES1O_IbLb1EEEEDaS1K_S1L_EUlS1K_E_NS1_11comp_targetILNS1_3genE8ELNS1_11target_archE1030ELNS1_3gpuE2ELNS1_3repE0EEENS1_30default_config_static_selectorELNS0_4arch9wavefront6targetE0EEEvSY_.uses_vcc, 0
	.set _ZN7rocprim17ROCPRIM_400000_NS6detail17trampoline_kernelINS0_13select_configILj256ELj13ELNS0_17block_load_methodE3ELS4_3ELS4_3ELNS0_20block_scan_algorithmE0ELj4294967295EEENS1_25partition_config_selectorILNS1_17partition_subalgoE3EjNS0_10empty_typeEbEEZZNS1_14partition_implILS8_3ELb0ES6_jNS0_17counting_iteratorIjlEEPS9_SE_NS0_5tupleIJPjSE_EEENSF_IJSE_SE_EEES9_SG_JZNS1_25segmented_radix_sort_implINS0_14default_configELb0EPKaPaPKlPlN2at6native12_GLOBAL__N_18offset_tEEE10hipError_tPvRmT1_PNSt15iterator_traitsISY_E10value_typeET2_T3_PNSZ_IS14_E10value_typeET4_jRbjT5_S1A_jjP12ihipStream_tbEUljE_EEESV_SW_SX_S14_S18_S1A_T6_T7_T9_mT8_S1C_bDpT10_ENKUlT_T0_E_clISt17integral_constantIbLb0EES1O_IbLb1EEEEDaS1K_S1L_EUlS1K_E_NS1_11comp_targetILNS1_3genE8ELNS1_11target_archE1030ELNS1_3gpuE2ELNS1_3repE0EEENS1_30default_config_static_selectorELNS0_4arch9wavefront6targetE0EEEvSY_.uses_flat_scratch, 0
	.set _ZN7rocprim17ROCPRIM_400000_NS6detail17trampoline_kernelINS0_13select_configILj256ELj13ELNS0_17block_load_methodE3ELS4_3ELS4_3ELNS0_20block_scan_algorithmE0ELj4294967295EEENS1_25partition_config_selectorILNS1_17partition_subalgoE3EjNS0_10empty_typeEbEEZZNS1_14partition_implILS8_3ELb0ES6_jNS0_17counting_iteratorIjlEEPS9_SE_NS0_5tupleIJPjSE_EEENSF_IJSE_SE_EEES9_SG_JZNS1_25segmented_radix_sort_implINS0_14default_configELb0EPKaPaPKlPlN2at6native12_GLOBAL__N_18offset_tEEE10hipError_tPvRmT1_PNSt15iterator_traitsISY_E10value_typeET2_T3_PNSZ_IS14_E10value_typeET4_jRbjT5_S1A_jjP12ihipStream_tbEUljE_EEESV_SW_SX_S14_S18_S1A_T6_T7_T9_mT8_S1C_bDpT10_ENKUlT_T0_E_clISt17integral_constantIbLb0EES1O_IbLb1EEEEDaS1K_S1L_EUlS1K_E_NS1_11comp_targetILNS1_3genE8ELNS1_11target_archE1030ELNS1_3gpuE2ELNS1_3repE0EEENS1_30default_config_static_selectorELNS0_4arch9wavefront6targetE0EEEvSY_.has_dyn_sized_stack, 0
	.set _ZN7rocprim17ROCPRIM_400000_NS6detail17trampoline_kernelINS0_13select_configILj256ELj13ELNS0_17block_load_methodE3ELS4_3ELS4_3ELNS0_20block_scan_algorithmE0ELj4294967295EEENS1_25partition_config_selectorILNS1_17partition_subalgoE3EjNS0_10empty_typeEbEEZZNS1_14partition_implILS8_3ELb0ES6_jNS0_17counting_iteratorIjlEEPS9_SE_NS0_5tupleIJPjSE_EEENSF_IJSE_SE_EEES9_SG_JZNS1_25segmented_radix_sort_implINS0_14default_configELb0EPKaPaPKlPlN2at6native12_GLOBAL__N_18offset_tEEE10hipError_tPvRmT1_PNSt15iterator_traitsISY_E10value_typeET2_T3_PNSZ_IS14_E10value_typeET4_jRbjT5_S1A_jjP12ihipStream_tbEUljE_EEESV_SW_SX_S14_S18_S1A_T6_T7_T9_mT8_S1C_bDpT10_ENKUlT_T0_E_clISt17integral_constantIbLb0EES1O_IbLb1EEEEDaS1K_S1L_EUlS1K_E_NS1_11comp_targetILNS1_3genE8ELNS1_11target_archE1030ELNS1_3gpuE2ELNS1_3repE0EEENS1_30default_config_static_selectorELNS0_4arch9wavefront6targetE0EEEvSY_.has_recursion, 0
	.set _ZN7rocprim17ROCPRIM_400000_NS6detail17trampoline_kernelINS0_13select_configILj256ELj13ELNS0_17block_load_methodE3ELS4_3ELS4_3ELNS0_20block_scan_algorithmE0ELj4294967295EEENS1_25partition_config_selectorILNS1_17partition_subalgoE3EjNS0_10empty_typeEbEEZZNS1_14partition_implILS8_3ELb0ES6_jNS0_17counting_iteratorIjlEEPS9_SE_NS0_5tupleIJPjSE_EEENSF_IJSE_SE_EEES9_SG_JZNS1_25segmented_radix_sort_implINS0_14default_configELb0EPKaPaPKlPlN2at6native12_GLOBAL__N_18offset_tEEE10hipError_tPvRmT1_PNSt15iterator_traitsISY_E10value_typeET2_T3_PNSZ_IS14_E10value_typeET4_jRbjT5_S1A_jjP12ihipStream_tbEUljE_EEESV_SW_SX_S14_S18_S1A_T6_T7_T9_mT8_S1C_bDpT10_ENKUlT_T0_E_clISt17integral_constantIbLb0EES1O_IbLb1EEEEDaS1K_S1L_EUlS1K_E_NS1_11comp_targetILNS1_3genE8ELNS1_11target_archE1030ELNS1_3gpuE2ELNS1_3repE0EEENS1_30default_config_static_selectorELNS0_4arch9wavefront6targetE0EEEvSY_.has_indirect_call, 0
	.section	.AMDGPU.csdata,"",@progbits
; Kernel info:
; codeLenInByte = 0
; TotalNumSgprs: 0
; NumVgprs: 0
; ScratchSize: 0
; MemoryBound: 0
; FloatMode: 240
; IeeeMode: 1
; LDSByteSize: 0 bytes/workgroup (compile time only)
; SGPRBlocks: 0
; VGPRBlocks: 0
; NumSGPRsForWavesPerEU: 1
; NumVGPRsForWavesPerEU: 1
; Occupancy: 16
; WaveLimiterHint : 0
; COMPUTE_PGM_RSRC2:SCRATCH_EN: 0
; COMPUTE_PGM_RSRC2:USER_SGPR: 2
; COMPUTE_PGM_RSRC2:TRAP_HANDLER: 0
; COMPUTE_PGM_RSRC2:TGID_X_EN: 1
; COMPUTE_PGM_RSRC2:TGID_Y_EN: 0
; COMPUTE_PGM_RSRC2:TGID_Z_EN: 0
; COMPUTE_PGM_RSRC2:TIDIG_COMP_CNT: 0
	.section	.text._ZN7rocprim17ROCPRIM_400000_NS6detail17trampoline_kernelINS0_14default_configENS1_36segmented_radix_sort_config_selectorIalEEZNS1_25segmented_radix_sort_implIS3_Lb0EPKaPaPKlPlN2at6native12_GLOBAL__N_18offset_tEEE10hipError_tPvRmT1_PNSt15iterator_traitsISK_E10value_typeET2_T3_PNSL_ISQ_E10value_typeET4_jRbjT5_SW_jjP12ihipStream_tbEUlT_E_NS1_11comp_targetILNS1_3genE0ELNS1_11target_archE4294967295ELNS1_3gpuE0ELNS1_3repE0EEENS1_30default_config_static_selectorELNS0_4arch9wavefront6targetE0EEEvSK_,"axG",@progbits,_ZN7rocprim17ROCPRIM_400000_NS6detail17trampoline_kernelINS0_14default_configENS1_36segmented_radix_sort_config_selectorIalEEZNS1_25segmented_radix_sort_implIS3_Lb0EPKaPaPKlPlN2at6native12_GLOBAL__N_18offset_tEEE10hipError_tPvRmT1_PNSt15iterator_traitsISK_E10value_typeET2_T3_PNSL_ISQ_E10value_typeET4_jRbjT5_SW_jjP12ihipStream_tbEUlT_E_NS1_11comp_targetILNS1_3genE0ELNS1_11target_archE4294967295ELNS1_3gpuE0ELNS1_3repE0EEENS1_30default_config_static_selectorELNS0_4arch9wavefront6targetE0EEEvSK_,comdat
	.globl	_ZN7rocprim17ROCPRIM_400000_NS6detail17trampoline_kernelINS0_14default_configENS1_36segmented_radix_sort_config_selectorIalEEZNS1_25segmented_radix_sort_implIS3_Lb0EPKaPaPKlPlN2at6native12_GLOBAL__N_18offset_tEEE10hipError_tPvRmT1_PNSt15iterator_traitsISK_E10value_typeET2_T3_PNSL_ISQ_E10value_typeET4_jRbjT5_SW_jjP12ihipStream_tbEUlT_E_NS1_11comp_targetILNS1_3genE0ELNS1_11target_archE4294967295ELNS1_3gpuE0ELNS1_3repE0EEENS1_30default_config_static_selectorELNS0_4arch9wavefront6targetE0EEEvSK_ ; -- Begin function _ZN7rocprim17ROCPRIM_400000_NS6detail17trampoline_kernelINS0_14default_configENS1_36segmented_radix_sort_config_selectorIalEEZNS1_25segmented_radix_sort_implIS3_Lb0EPKaPaPKlPlN2at6native12_GLOBAL__N_18offset_tEEE10hipError_tPvRmT1_PNSt15iterator_traitsISK_E10value_typeET2_T3_PNSL_ISQ_E10value_typeET4_jRbjT5_SW_jjP12ihipStream_tbEUlT_E_NS1_11comp_targetILNS1_3genE0ELNS1_11target_archE4294967295ELNS1_3gpuE0ELNS1_3repE0EEENS1_30default_config_static_selectorELNS0_4arch9wavefront6targetE0EEEvSK_
	.p2align	8
	.type	_ZN7rocprim17ROCPRIM_400000_NS6detail17trampoline_kernelINS0_14default_configENS1_36segmented_radix_sort_config_selectorIalEEZNS1_25segmented_radix_sort_implIS3_Lb0EPKaPaPKlPlN2at6native12_GLOBAL__N_18offset_tEEE10hipError_tPvRmT1_PNSt15iterator_traitsISK_E10value_typeET2_T3_PNSL_ISQ_E10value_typeET4_jRbjT5_SW_jjP12ihipStream_tbEUlT_E_NS1_11comp_targetILNS1_3genE0ELNS1_11target_archE4294967295ELNS1_3gpuE0ELNS1_3repE0EEENS1_30default_config_static_selectorELNS0_4arch9wavefront6targetE0EEEvSK_,@function
_ZN7rocprim17ROCPRIM_400000_NS6detail17trampoline_kernelINS0_14default_configENS1_36segmented_radix_sort_config_selectorIalEEZNS1_25segmented_radix_sort_implIS3_Lb0EPKaPaPKlPlN2at6native12_GLOBAL__N_18offset_tEEE10hipError_tPvRmT1_PNSt15iterator_traitsISK_E10value_typeET2_T3_PNSL_ISQ_E10value_typeET4_jRbjT5_SW_jjP12ihipStream_tbEUlT_E_NS1_11comp_targetILNS1_3genE0ELNS1_11target_archE4294967295ELNS1_3gpuE0ELNS1_3repE0EEENS1_30default_config_static_selectorELNS0_4arch9wavefront6targetE0EEEvSK_: ; @_ZN7rocprim17ROCPRIM_400000_NS6detail17trampoline_kernelINS0_14default_configENS1_36segmented_radix_sort_config_selectorIalEEZNS1_25segmented_radix_sort_implIS3_Lb0EPKaPaPKlPlN2at6native12_GLOBAL__N_18offset_tEEE10hipError_tPvRmT1_PNSt15iterator_traitsISK_E10value_typeET2_T3_PNSL_ISQ_E10value_typeET4_jRbjT5_SW_jjP12ihipStream_tbEUlT_E_NS1_11comp_targetILNS1_3genE0ELNS1_11target_archE4294967295ELNS1_3gpuE0ELNS1_3repE0EEENS1_30default_config_static_selectorELNS0_4arch9wavefront6targetE0EEEvSK_
; %bb.0:
	.section	.rodata,"a",@progbits
	.p2align	6, 0x0
	.amdhsa_kernel _ZN7rocprim17ROCPRIM_400000_NS6detail17trampoline_kernelINS0_14default_configENS1_36segmented_radix_sort_config_selectorIalEEZNS1_25segmented_radix_sort_implIS3_Lb0EPKaPaPKlPlN2at6native12_GLOBAL__N_18offset_tEEE10hipError_tPvRmT1_PNSt15iterator_traitsISK_E10value_typeET2_T3_PNSL_ISQ_E10value_typeET4_jRbjT5_SW_jjP12ihipStream_tbEUlT_E_NS1_11comp_targetILNS1_3genE0ELNS1_11target_archE4294967295ELNS1_3gpuE0ELNS1_3repE0EEENS1_30default_config_static_selectorELNS0_4arch9wavefront6targetE0EEEvSK_
		.amdhsa_group_segment_fixed_size 0
		.amdhsa_private_segment_fixed_size 0
		.amdhsa_kernarg_size 96
		.amdhsa_user_sgpr_count 2
		.amdhsa_user_sgpr_dispatch_ptr 0
		.amdhsa_user_sgpr_queue_ptr 0
		.amdhsa_user_sgpr_kernarg_segment_ptr 1
		.amdhsa_user_sgpr_dispatch_id 0
		.amdhsa_user_sgpr_private_segment_size 0
		.amdhsa_wavefront_size32 1
		.amdhsa_uses_dynamic_stack 0
		.amdhsa_enable_private_segment 0
		.amdhsa_system_sgpr_workgroup_id_x 1
		.amdhsa_system_sgpr_workgroup_id_y 0
		.amdhsa_system_sgpr_workgroup_id_z 0
		.amdhsa_system_sgpr_workgroup_info 0
		.amdhsa_system_vgpr_workitem_id 0
		.amdhsa_next_free_vgpr 1
		.amdhsa_next_free_sgpr 1
		.amdhsa_reserve_vcc 0
		.amdhsa_float_round_mode_32 0
		.amdhsa_float_round_mode_16_64 0
		.amdhsa_float_denorm_mode_32 3
		.amdhsa_float_denorm_mode_16_64 3
		.amdhsa_fp16_overflow 0
		.amdhsa_workgroup_processor_mode 1
		.amdhsa_memory_ordered 1
		.amdhsa_forward_progress 1
		.amdhsa_inst_pref_size 0
		.amdhsa_round_robin_scheduling 0
		.amdhsa_exception_fp_ieee_invalid_op 0
		.amdhsa_exception_fp_denorm_src 0
		.amdhsa_exception_fp_ieee_div_zero 0
		.amdhsa_exception_fp_ieee_overflow 0
		.amdhsa_exception_fp_ieee_underflow 0
		.amdhsa_exception_fp_ieee_inexact 0
		.amdhsa_exception_int_div_zero 0
	.end_amdhsa_kernel
	.section	.text._ZN7rocprim17ROCPRIM_400000_NS6detail17trampoline_kernelINS0_14default_configENS1_36segmented_radix_sort_config_selectorIalEEZNS1_25segmented_radix_sort_implIS3_Lb0EPKaPaPKlPlN2at6native12_GLOBAL__N_18offset_tEEE10hipError_tPvRmT1_PNSt15iterator_traitsISK_E10value_typeET2_T3_PNSL_ISQ_E10value_typeET4_jRbjT5_SW_jjP12ihipStream_tbEUlT_E_NS1_11comp_targetILNS1_3genE0ELNS1_11target_archE4294967295ELNS1_3gpuE0ELNS1_3repE0EEENS1_30default_config_static_selectorELNS0_4arch9wavefront6targetE0EEEvSK_,"axG",@progbits,_ZN7rocprim17ROCPRIM_400000_NS6detail17trampoline_kernelINS0_14default_configENS1_36segmented_radix_sort_config_selectorIalEEZNS1_25segmented_radix_sort_implIS3_Lb0EPKaPaPKlPlN2at6native12_GLOBAL__N_18offset_tEEE10hipError_tPvRmT1_PNSt15iterator_traitsISK_E10value_typeET2_T3_PNSL_ISQ_E10value_typeET4_jRbjT5_SW_jjP12ihipStream_tbEUlT_E_NS1_11comp_targetILNS1_3genE0ELNS1_11target_archE4294967295ELNS1_3gpuE0ELNS1_3repE0EEENS1_30default_config_static_selectorELNS0_4arch9wavefront6targetE0EEEvSK_,comdat
.Lfunc_end393:
	.size	_ZN7rocprim17ROCPRIM_400000_NS6detail17trampoline_kernelINS0_14default_configENS1_36segmented_radix_sort_config_selectorIalEEZNS1_25segmented_radix_sort_implIS3_Lb0EPKaPaPKlPlN2at6native12_GLOBAL__N_18offset_tEEE10hipError_tPvRmT1_PNSt15iterator_traitsISK_E10value_typeET2_T3_PNSL_ISQ_E10value_typeET4_jRbjT5_SW_jjP12ihipStream_tbEUlT_E_NS1_11comp_targetILNS1_3genE0ELNS1_11target_archE4294967295ELNS1_3gpuE0ELNS1_3repE0EEENS1_30default_config_static_selectorELNS0_4arch9wavefront6targetE0EEEvSK_, .Lfunc_end393-_ZN7rocprim17ROCPRIM_400000_NS6detail17trampoline_kernelINS0_14default_configENS1_36segmented_radix_sort_config_selectorIalEEZNS1_25segmented_radix_sort_implIS3_Lb0EPKaPaPKlPlN2at6native12_GLOBAL__N_18offset_tEEE10hipError_tPvRmT1_PNSt15iterator_traitsISK_E10value_typeET2_T3_PNSL_ISQ_E10value_typeET4_jRbjT5_SW_jjP12ihipStream_tbEUlT_E_NS1_11comp_targetILNS1_3genE0ELNS1_11target_archE4294967295ELNS1_3gpuE0ELNS1_3repE0EEENS1_30default_config_static_selectorELNS0_4arch9wavefront6targetE0EEEvSK_
                                        ; -- End function
	.set _ZN7rocprim17ROCPRIM_400000_NS6detail17trampoline_kernelINS0_14default_configENS1_36segmented_radix_sort_config_selectorIalEEZNS1_25segmented_radix_sort_implIS3_Lb0EPKaPaPKlPlN2at6native12_GLOBAL__N_18offset_tEEE10hipError_tPvRmT1_PNSt15iterator_traitsISK_E10value_typeET2_T3_PNSL_ISQ_E10value_typeET4_jRbjT5_SW_jjP12ihipStream_tbEUlT_E_NS1_11comp_targetILNS1_3genE0ELNS1_11target_archE4294967295ELNS1_3gpuE0ELNS1_3repE0EEENS1_30default_config_static_selectorELNS0_4arch9wavefront6targetE0EEEvSK_.num_vgpr, 0
	.set _ZN7rocprim17ROCPRIM_400000_NS6detail17trampoline_kernelINS0_14default_configENS1_36segmented_radix_sort_config_selectorIalEEZNS1_25segmented_radix_sort_implIS3_Lb0EPKaPaPKlPlN2at6native12_GLOBAL__N_18offset_tEEE10hipError_tPvRmT1_PNSt15iterator_traitsISK_E10value_typeET2_T3_PNSL_ISQ_E10value_typeET4_jRbjT5_SW_jjP12ihipStream_tbEUlT_E_NS1_11comp_targetILNS1_3genE0ELNS1_11target_archE4294967295ELNS1_3gpuE0ELNS1_3repE0EEENS1_30default_config_static_selectorELNS0_4arch9wavefront6targetE0EEEvSK_.num_agpr, 0
	.set _ZN7rocprim17ROCPRIM_400000_NS6detail17trampoline_kernelINS0_14default_configENS1_36segmented_radix_sort_config_selectorIalEEZNS1_25segmented_radix_sort_implIS3_Lb0EPKaPaPKlPlN2at6native12_GLOBAL__N_18offset_tEEE10hipError_tPvRmT1_PNSt15iterator_traitsISK_E10value_typeET2_T3_PNSL_ISQ_E10value_typeET4_jRbjT5_SW_jjP12ihipStream_tbEUlT_E_NS1_11comp_targetILNS1_3genE0ELNS1_11target_archE4294967295ELNS1_3gpuE0ELNS1_3repE0EEENS1_30default_config_static_selectorELNS0_4arch9wavefront6targetE0EEEvSK_.numbered_sgpr, 0
	.set _ZN7rocprim17ROCPRIM_400000_NS6detail17trampoline_kernelINS0_14default_configENS1_36segmented_radix_sort_config_selectorIalEEZNS1_25segmented_radix_sort_implIS3_Lb0EPKaPaPKlPlN2at6native12_GLOBAL__N_18offset_tEEE10hipError_tPvRmT1_PNSt15iterator_traitsISK_E10value_typeET2_T3_PNSL_ISQ_E10value_typeET4_jRbjT5_SW_jjP12ihipStream_tbEUlT_E_NS1_11comp_targetILNS1_3genE0ELNS1_11target_archE4294967295ELNS1_3gpuE0ELNS1_3repE0EEENS1_30default_config_static_selectorELNS0_4arch9wavefront6targetE0EEEvSK_.num_named_barrier, 0
	.set _ZN7rocprim17ROCPRIM_400000_NS6detail17trampoline_kernelINS0_14default_configENS1_36segmented_radix_sort_config_selectorIalEEZNS1_25segmented_radix_sort_implIS3_Lb0EPKaPaPKlPlN2at6native12_GLOBAL__N_18offset_tEEE10hipError_tPvRmT1_PNSt15iterator_traitsISK_E10value_typeET2_T3_PNSL_ISQ_E10value_typeET4_jRbjT5_SW_jjP12ihipStream_tbEUlT_E_NS1_11comp_targetILNS1_3genE0ELNS1_11target_archE4294967295ELNS1_3gpuE0ELNS1_3repE0EEENS1_30default_config_static_selectorELNS0_4arch9wavefront6targetE0EEEvSK_.private_seg_size, 0
	.set _ZN7rocprim17ROCPRIM_400000_NS6detail17trampoline_kernelINS0_14default_configENS1_36segmented_radix_sort_config_selectorIalEEZNS1_25segmented_radix_sort_implIS3_Lb0EPKaPaPKlPlN2at6native12_GLOBAL__N_18offset_tEEE10hipError_tPvRmT1_PNSt15iterator_traitsISK_E10value_typeET2_T3_PNSL_ISQ_E10value_typeET4_jRbjT5_SW_jjP12ihipStream_tbEUlT_E_NS1_11comp_targetILNS1_3genE0ELNS1_11target_archE4294967295ELNS1_3gpuE0ELNS1_3repE0EEENS1_30default_config_static_selectorELNS0_4arch9wavefront6targetE0EEEvSK_.uses_vcc, 0
	.set _ZN7rocprim17ROCPRIM_400000_NS6detail17trampoline_kernelINS0_14default_configENS1_36segmented_radix_sort_config_selectorIalEEZNS1_25segmented_radix_sort_implIS3_Lb0EPKaPaPKlPlN2at6native12_GLOBAL__N_18offset_tEEE10hipError_tPvRmT1_PNSt15iterator_traitsISK_E10value_typeET2_T3_PNSL_ISQ_E10value_typeET4_jRbjT5_SW_jjP12ihipStream_tbEUlT_E_NS1_11comp_targetILNS1_3genE0ELNS1_11target_archE4294967295ELNS1_3gpuE0ELNS1_3repE0EEENS1_30default_config_static_selectorELNS0_4arch9wavefront6targetE0EEEvSK_.uses_flat_scratch, 0
	.set _ZN7rocprim17ROCPRIM_400000_NS6detail17trampoline_kernelINS0_14default_configENS1_36segmented_radix_sort_config_selectorIalEEZNS1_25segmented_radix_sort_implIS3_Lb0EPKaPaPKlPlN2at6native12_GLOBAL__N_18offset_tEEE10hipError_tPvRmT1_PNSt15iterator_traitsISK_E10value_typeET2_T3_PNSL_ISQ_E10value_typeET4_jRbjT5_SW_jjP12ihipStream_tbEUlT_E_NS1_11comp_targetILNS1_3genE0ELNS1_11target_archE4294967295ELNS1_3gpuE0ELNS1_3repE0EEENS1_30default_config_static_selectorELNS0_4arch9wavefront6targetE0EEEvSK_.has_dyn_sized_stack, 0
	.set _ZN7rocprim17ROCPRIM_400000_NS6detail17trampoline_kernelINS0_14default_configENS1_36segmented_radix_sort_config_selectorIalEEZNS1_25segmented_radix_sort_implIS3_Lb0EPKaPaPKlPlN2at6native12_GLOBAL__N_18offset_tEEE10hipError_tPvRmT1_PNSt15iterator_traitsISK_E10value_typeET2_T3_PNSL_ISQ_E10value_typeET4_jRbjT5_SW_jjP12ihipStream_tbEUlT_E_NS1_11comp_targetILNS1_3genE0ELNS1_11target_archE4294967295ELNS1_3gpuE0ELNS1_3repE0EEENS1_30default_config_static_selectorELNS0_4arch9wavefront6targetE0EEEvSK_.has_recursion, 0
	.set _ZN7rocprim17ROCPRIM_400000_NS6detail17trampoline_kernelINS0_14default_configENS1_36segmented_radix_sort_config_selectorIalEEZNS1_25segmented_radix_sort_implIS3_Lb0EPKaPaPKlPlN2at6native12_GLOBAL__N_18offset_tEEE10hipError_tPvRmT1_PNSt15iterator_traitsISK_E10value_typeET2_T3_PNSL_ISQ_E10value_typeET4_jRbjT5_SW_jjP12ihipStream_tbEUlT_E_NS1_11comp_targetILNS1_3genE0ELNS1_11target_archE4294967295ELNS1_3gpuE0ELNS1_3repE0EEENS1_30default_config_static_selectorELNS0_4arch9wavefront6targetE0EEEvSK_.has_indirect_call, 0
	.section	.AMDGPU.csdata,"",@progbits
; Kernel info:
; codeLenInByte = 0
; TotalNumSgprs: 0
; NumVgprs: 0
; ScratchSize: 0
; MemoryBound: 0
; FloatMode: 240
; IeeeMode: 1
; LDSByteSize: 0 bytes/workgroup (compile time only)
; SGPRBlocks: 0
; VGPRBlocks: 0
; NumSGPRsForWavesPerEU: 1
; NumVGPRsForWavesPerEU: 1
; Occupancy: 16
; WaveLimiterHint : 0
; COMPUTE_PGM_RSRC2:SCRATCH_EN: 0
; COMPUTE_PGM_RSRC2:USER_SGPR: 2
; COMPUTE_PGM_RSRC2:TRAP_HANDLER: 0
; COMPUTE_PGM_RSRC2:TGID_X_EN: 1
; COMPUTE_PGM_RSRC2:TGID_Y_EN: 0
; COMPUTE_PGM_RSRC2:TGID_Z_EN: 0
; COMPUTE_PGM_RSRC2:TIDIG_COMP_CNT: 0
	.section	.text._ZN7rocprim17ROCPRIM_400000_NS6detail17trampoline_kernelINS0_14default_configENS1_36segmented_radix_sort_config_selectorIalEEZNS1_25segmented_radix_sort_implIS3_Lb0EPKaPaPKlPlN2at6native12_GLOBAL__N_18offset_tEEE10hipError_tPvRmT1_PNSt15iterator_traitsISK_E10value_typeET2_T3_PNSL_ISQ_E10value_typeET4_jRbjT5_SW_jjP12ihipStream_tbEUlT_E_NS1_11comp_targetILNS1_3genE5ELNS1_11target_archE942ELNS1_3gpuE9ELNS1_3repE0EEENS1_30default_config_static_selectorELNS0_4arch9wavefront6targetE0EEEvSK_,"axG",@progbits,_ZN7rocprim17ROCPRIM_400000_NS6detail17trampoline_kernelINS0_14default_configENS1_36segmented_radix_sort_config_selectorIalEEZNS1_25segmented_radix_sort_implIS3_Lb0EPKaPaPKlPlN2at6native12_GLOBAL__N_18offset_tEEE10hipError_tPvRmT1_PNSt15iterator_traitsISK_E10value_typeET2_T3_PNSL_ISQ_E10value_typeET4_jRbjT5_SW_jjP12ihipStream_tbEUlT_E_NS1_11comp_targetILNS1_3genE5ELNS1_11target_archE942ELNS1_3gpuE9ELNS1_3repE0EEENS1_30default_config_static_selectorELNS0_4arch9wavefront6targetE0EEEvSK_,comdat
	.globl	_ZN7rocprim17ROCPRIM_400000_NS6detail17trampoline_kernelINS0_14default_configENS1_36segmented_radix_sort_config_selectorIalEEZNS1_25segmented_radix_sort_implIS3_Lb0EPKaPaPKlPlN2at6native12_GLOBAL__N_18offset_tEEE10hipError_tPvRmT1_PNSt15iterator_traitsISK_E10value_typeET2_T3_PNSL_ISQ_E10value_typeET4_jRbjT5_SW_jjP12ihipStream_tbEUlT_E_NS1_11comp_targetILNS1_3genE5ELNS1_11target_archE942ELNS1_3gpuE9ELNS1_3repE0EEENS1_30default_config_static_selectorELNS0_4arch9wavefront6targetE0EEEvSK_ ; -- Begin function _ZN7rocprim17ROCPRIM_400000_NS6detail17trampoline_kernelINS0_14default_configENS1_36segmented_radix_sort_config_selectorIalEEZNS1_25segmented_radix_sort_implIS3_Lb0EPKaPaPKlPlN2at6native12_GLOBAL__N_18offset_tEEE10hipError_tPvRmT1_PNSt15iterator_traitsISK_E10value_typeET2_T3_PNSL_ISQ_E10value_typeET4_jRbjT5_SW_jjP12ihipStream_tbEUlT_E_NS1_11comp_targetILNS1_3genE5ELNS1_11target_archE942ELNS1_3gpuE9ELNS1_3repE0EEENS1_30default_config_static_selectorELNS0_4arch9wavefront6targetE0EEEvSK_
	.p2align	8
	.type	_ZN7rocprim17ROCPRIM_400000_NS6detail17trampoline_kernelINS0_14default_configENS1_36segmented_radix_sort_config_selectorIalEEZNS1_25segmented_radix_sort_implIS3_Lb0EPKaPaPKlPlN2at6native12_GLOBAL__N_18offset_tEEE10hipError_tPvRmT1_PNSt15iterator_traitsISK_E10value_typeET2_T3_PNSL_ISQ_E10value_typeET4_jRbjT5_SW_jjP12ihipStream_tbEUlT_E_NS1_11comp_targetILNS1_3genE5ELNS1_11target_archE942ELNS1_3gpuE9ELNS1_3repE0EEENS1_30default_config_static_selectorELNS0_4arch9wavefront6targetE0EEEvSK_,@function
_ZN7rocprim17ROCPRIM_400000_NS6detail17trampoline_kernelINS0_14default_configENS1_36segmented_radix_sort_config_selectorIalEEZNS1_25segmented_radix_sort_implIS3_Lb0EPKaPaPKlPlN2at6native12_GLOBAL__N_18offset_tEEE10hipError_tPvRmT1_PNSt15iterator_traitsISK_E10value_typeET2_T3_PNSL_ISQ_E10value_typeET4_jRbjT5_SW_jjP12ihipStream_tbEUlT_E_NS1_11comp_targetILNS1_3genE5ELNS1_11target_archE942ELNS1_3gpuE9ELNS1_3repE0EEENS1_30default_config_static_selectorELNS0_4arch9wavefront6targetE0EEEvSK_: ; @_ZN7rocprim17ROCPRIM_400000_NS6detail17trampoline_kernelINS0_14default_configENS1_36segmented_radix_sort_config_selectorIalEEZNS1_25segmented_radix_sort_implIS3_Lb0EPKaPaPKlPlN2at6native12_GLOBAL__N_18offset_tEEE10hipError_tPvRmT1_PNSt15iterator_traitsISK_E10value_typeET2_T3_PNSL_ISQ_E10value_typeET4_jRbjT5_SW_jjP12ihipStream_tbEUlT_E_NS1_11comp_targetILNS1_3genE5ELNS1_11target_archE942ELNS1_3gpuE9ELNS1_3repE0EEENS1_30default_config_static_selectorELNS0_4arch9wavefront6targetE0EEEvSK_
; %bb.0:
	.section	.rodata,"a",@progbits
	.p2align	6, 0x0
	.amdhsa_kernel _ZN7rocprim17ROCPRIM_400000_NS6detail17trampoline_kernelINS0_14default_configENS1_36segmented_radix_sort_config_selectorIalEEZNS1_25segmented_radix_sort_implIS3_Lb0EPKaPaPKlPlN2at6native12_GLOBAL__N_18offset_tEEE10hipError_tPvRmT1_PNSt15iterator_traitsISK_E10value_typeET2_T3_PNSL_ISQ_E10value_typeET4_jRbjT5_SW_jjP12ihipStream_tbEUlT_E_NS1_11comp_targetILNS1_3genE5ELNS1_11target_archE942ELNS1_3gpuE9ELNS1_3repE0EEENS1_30default_config_static_selectorELNS0_4arch9wavefront6targetE0EEEvSK_
		.amdhsa_group_segment_fixed_size 0
		.amdhsa_private_segment_fixed_size 0
		.amdhsa_kernarg_size 96
		.amdhsa_user_sgpr_count 2
		.amdhsa_user_sgpr_dispatch_ptr 0
		.amdhsa_user_sgpr_queue_ptr 0
		.amdhsa_user_sgpr_kernarg_segment_ptr 1
		.amdhsa_user_sgpr_dispatch_id 0
		.amdhsa_user_sgpr_private_segment_size 0
		.amdhsa_wavefront_size32 1
		.amdhsa_uses_dynamic_stack 0
		.amdhsa_enable_private_segment 0
		.amdhsa_system_sgpr_workgroup_id_x 1
		.amdhsa_system_sgpr_workgroup_id_y 0
		.amdhsa_system_sgpr_workgroup_id_z 0
		.amdhsa_system_sgpr_workgroup_info 0
		.amdhsa_system_vgpr_workitem_id 0
		.amdhsa_next_free_vgpr 1
		.amdhsa_next_free_sgpr 1
		.amdhsa_reserve_vcc 0
		.amdhsa_float_round_mode_32 0
		.amdhsa_float_round_mode_16_64 0
		.amdhsa_float_denorm_mode_32 3
		.amdhsa_float_denorm_mode_16_64 3
		.amdhsa_fp16_overflow 0
		.amdhsa_workgroup_processor_mode 1
		.amdhsa_memory_ordered 1
		.amdhsa_forward_progress 1
		.amdhsa_inst_pref_size 0
		.amdhsa_round_robin_scheduling 0
		.amdhsa_exception_fp_ieee_invalid_op 0
		.amdhsa_exception_fp_denorm_src 0
		.amdhsa_exception_fp_ieee_div_zero 0
		.amdhsa_exception_fp_ieee_overflow 0
		.amdhsa_exception_fp_ieee_underflow 0
		.amdhsa_exception_fp_ieee_inexact 0
		.amdhsa_exception_int_div_zero 0
	.end_amdhsa_kernel
	.section	.text._ZN7rocprim17ROCPRIM_400000_NS6detail17trampoline_kernelINS0_14default_configENS1_36segmented_radix_sort_config_selectorIalEEZNS1_25segmented_radix_sort_implIS3_Lb0EPKaPaPKlPlN2at6native12_GLOBAL__N_18offset_tEEE10hipError_tPvRmT1_PNSt15iterator_traitsISK_E10value_typeET2_T3_PNSL_ISQ_E10value_typeET4_jRbjT5_SW_jjP12ihipStream_tbEUlT_E_NS1_11comp_targetILNS1_3genE5ELNS1_11target_archE942ELNS1_3gpuE9ELNS1_3repE0EEENS1_30default_config_static_selectorELNS0_4arch9wavefront6targetE0EEEvSK_,"axG",@progbits,_ZN7rocprim17ROCPRIM_400000_NS6detail17trampoline_kernelINS0_14default_configENS1_36segmented_radix_sort_config_selectorIalEEZNS1_25segmented_radix_sort_implIS3_Lb0EPKaPaPKlPlN2at6native12_GLOBAL__N_18offset_tEEE10hipError_tPvRmT1_PNSt15iterator_traitsISK_E10value_typeET2_T3_PNSL_ISQ_E10value_typeET4_jRbjT5_SW_jjP12ihipStream_tbEUlT_E_NS1_11comp_targetILNS1_3genE5ELNS1_11target_archE942ELNS1_3gpuE9ELNS1_3repE0EEENS1_30default_config_static_selectorELNS0_4arch9wavefront6targetE0EEEvSK_,comdat
.Lfunc_end394:
	.size	_ZN7rocprim17ROCPRIM_400000_NS6detail17trampoline_kernelINS0_14default_configENS1_36segmented_radix_sort_config_selectorIalEEZNS1_25segmented_radix_sort_implIS3_Lb0EPKaPaPKlPlN2at6native12_GLOBAL__N_18offset_tEEE10hipError_tPvRmT1_PNSt15iterator_traitsISK_E10value_typeET2_T3_PNSL_ISQ_E10value_typeET4_jRbjT5_SW_jjP12ihipStream_tbEUlT_E_NS1_11comp_targetILNS1_3genE5ELNS1_11target_archE942ELNS1_3gpuE9ELNS1_3repE0EEENS1_30default_config_static_selectorELNS0_4arch9wavefront6targetE0EEEvSK_, .Lfunc_end394-_ZN7rocprim17ROCPRIM_400000_NS6detail17trampoline_kernelINS0_14default_configENS1_36segmented_radix_sort_config_selectorIalEEZNS1_25segmented_radix_sort_implIS3_Lb0EPKaPaPKlPlN2at6native12_GLOBAL__N_18offset_tEEE10hipError_tPvRmT1_PNSt15iterator_traitsISK_E10value_typeET2_T3_PNSL_ISQ_E10value_typeET4_jRbjT5_SW_jjP12ihipStream_tbEUlT_E_NS1_11comp_targetILNS1_3genE5ELNS1_11target_archE942ELNS1_3gpuE9ELNS1_3repE0EEENS1_30default_config_static_selectorELNS0_4arch9wavefront6targetE0EEEvSK_
                                        ; -- End function
	.set _ZN7rocprim17ROCPRIM_400000_NS6detail17trampoline_kernelINS0_14default_configENS1_36segmented_radix_sort_config_selectorIalEEZNS1_25segmented_radix_sort_implIS3_Lb0EPKaPaPKlPlN2at6native12_GLOBAL__N_18offset_tEEE10hipError_tPvRmT1_PNSt15iterator_traitsISK_E10value_typeET2_T3_PNSL_ISQ_E10value_typeET4_jRbjT5_SW_jjP12ihipStream_tbEUlT_E_NS1_11comp_targetILNS1_3genE5ELNS1_11target_archE942ELNS1_3gpuE9ELNS1_3repE0EEENS1_30default_config_static_selectorELNS0_4arch9wavefront6targetE0EEEvSK_.num_vgpr, 0
	.set _ZN7rocprim17ROCPRIM_400000_NS6detail17trampoline_kernelINS0_14default_configENS1_36segmented_radix_sort_config_selectorIalEEZNS1_25segmented_radix_sort_implIS3_Lb0EPKaPaPKlPlN2at6native12_GLOBAL__N_18offset_tEEE10hipError_tPvRmT1_PNSt15iterator_traitsISK_E10value_typeET2_T3_PNSL_ISQ_E10value_typeET4_jRbjT5_SW_jjP12ihipStream_tbEUlT_E_NS1_11comp_targetILNS1_3genE5ELNS1_11target_archE942ELNS1_3gpuE9ELNS1_3repE0EEENS1_30default_config_static_selectorELNS0_4arch9wavefront6targetE0EEEvSK_.num_agpr, 0
	.set _ZN7rocprim17ROCPRIM_400000_NS6detail17trampoline_kernelINS0_14default_configENS1_36segmented_radix_sort_config_selectorIalEEZNS1_25segmented_radix_sort_implIS3_Lb0EPKaPaPKlPlN2at6native12_GLOBAL__N_18offset_tEEE10hipError_tPvRmT1_PNSt15iterator_traitsISK_E10value_typeET2_T3_PNSL_ISQ_E10value_typeET4_jRbjT5_SW_jjP12ihipStream_tbEUlT_E_NS1_11comp_targetILNS1_3genE5ELNS1_11target_archE942ELNS1_3gpuE9ELNS1_3repE0EEENS1_30default_config_static_selectorELNS0_4arch9wavefront6targetE0EEEvSK_.numbered_sgpr, 0
	.set _ZN7rocprim17ROCPRIM_400000_NS6detail17trampoline_kernelINS0_14default_configENS1_36segmented_radix_sort_config_selectorIalEEZNS1_25segmented_radix_sort_implIS3_Lb0EPKaPaPKlPlN2at6native12_GLOBAL__N_18offset_tEEE10hipError_tPvRmT1_PNSt15iterator_traitsISK_E10value_typeET2_T3_PNSL_ISQ_E10value_typeET4_jRbjT5_SW_jjP12ihipStream_tbEUlT_E_NS1_11comp_targetILNS1_3genE5ELNS1_11target_archE942ELNS1_3gpuE9ELNS1_3repE0EEENS1_30default_config_static_selectorELNS0_4arch9wavefront6targetE0EEEvSK_.num_named_barrier, 0
	.set _ZN7rocprim17ROCPRIM_400000_NS6detail17trampoline_kernelINS0_14default_configENS1_36segmented_radix_sort_config_selectorIalEEZNS1_25segmented_radix_sort_implIS3_Lb0EPKaPaPKlPlN2at6native12_GLOBAL__N_18offset_tEEE10hipError_tPvRmT1_PNSt15iterator_traitsISK_E10value_typeET2_T3_PNSL_ISQ_E10value_typeET4_jRbjT5_SW_jjP12ihipStream_tbEUlT_E_NS1_11comp_targetILNS1_3genE5ELNS1_11target_archE942ELNS1_3gpuE9ELNS1_3repE0EEENS1_30default_config_static_selectorELNS0_4arch9wavefront6targetE0EEEvSK_.private_seg_size, 0
	.set _ZN7rocprim17ROCPRIM_400000_NS6detail17trampoline_kernelINS0_14default_configENS1_36segmented_radix_sort_config_selectorIalEEZNS1_25segmented_radix_sort_implIS3_Lb0EPKaPaPKlPlN2at6native12_GLOBAL__N_18offset_tEEE10hipError_tPvRmT1_PNSt15iterator_traitsISK_E10value_typeET2_T3_PNSL_ISQ_E10value_typeET4_jRbjT5_SW_jjP12ihipStream_tbEUlT_E_NS1_11comp_targetILNS1_3genE5ELNS1_11target_archE942ELNS1_3gpuE9ELNS1_3repE0EEENS1_30default_config_static_selectorELNS0_4arch9wavefront6targetE0EEEvSK_.uses_vcc, 0
	.set _ZN7rocprim17ROCPRIM_400000_NS6detail17trampoline_kernelINS0_14default_configENS1_36segmented_radix_sort_config_selectorIalEEZNS1_25segmented_radix_sort_implIS3_Lb0EPKaPaPKlPlN2at6native12_GLOBAL__N_18offset_tEEE10hipError_tPvRmT1_PNSt15iterator_traitsISK_E10value_typeET2_T3_PNSL_ISQ_E10value_typeET4_jRbjT5_SW_jjP12ihipStream_tbEUlT_E_NS1_11comp_targetILNS1_3genE5ELNS1_11target_archE942ELNS1_3gpuE9ELNS1_3repE0EEENS1_30default_config_static_selectorELNS0_4arch9wavefront6targetE0EEEvSK_.uses_flat_scratch, 0
	.set _ZN7rocprim17ROCPRIM_400000_NS6detail17trampoline_kernelINS0_14default_configENS1_36segmented_radix_sort_config_selectorIalEEZNS1_25segmented_radix_sort_implIS3_Lb0EPKaPaPKlPlN2at6native12_GLOBAL__N_18offset_tEEE10hipError_tPvRmT1_PNSt15iterator_traitsISK_E10value_typeET2_T3_PNSL_ISQ_E10value_typeET4_jRbjT5_SW_jjP12ihipStream_tbEUlT_E_NS1_11comp_targetILNS1_3genE5ELNS1_11target_archE942ELNS1_3gpuE9ELNS1_3repE0EEENS1_30default_config_static_selectorELNS0_4arch9wavefront6targetE0EEEvSK_.has_dyn_sized_stack, 0
	.set _ZN7rocprim17ROCPRIM_400000_NS6detail17trampoline_kernelINS0_14default_configENS1_36segmented_radix_sort_config_selectorIalEEZNS1_25segmented_radix_sort_implIS3_Lb0EPKaPaPKlPlN2at6native12_GLOBAL__N_18offset_tEEE10hipError_tPvRmT1_PNSt15iterator_traitsISK_E10value_typeET2_T3_PNSL_ISQ_E10value_typeET4_jRbjT5_SW_jjP12ihipStream_tbEUlT_E_NS1_11comp_targetILNS1_3genE5ELNS1_11target_archE942ELNS1_3gpuE9ELNS1_3repE0EEENS1_30default_config_static_selectorELNS0_4arch9wavefront6targetE0EEEvSK_.has_recursion, 0
	.set _ZN7rocprim17ROCPRIM_400000_NS6detail17trampoline_kernelINS0_14default_configENS1_36segmented_radix_sort_config_selectorIalEEZNS1_25segmented_radix_sort_implIS3_Lb0EPKaPaPKlPlN2at6native12_GLOBAL__N_18offset_tEEE10hipError_tPvRmT1_PNSt15iterator_traitsISK_E10value_typeET2_T3_PNSL_ISQ_E10value_typeET4_jRbjT5_SW_jjP12ihipStream_tbEUlT_E_NS1_11comp_targetILNS1_3genE5ELNS1_11target_archE942ELNS1_3gpuE9ELNS1_3repE0EEENS1_30default_config_static_selectorELNS0_4arch9wavefront6targetE0EEEvSK_.has_indirect_call, 0
	.section	.AMDGPU.csdata,"",@progbits
; Kernel info:
; codeLenInByte = 0
; TotalNumSgprs: 0
; NumVgprs: 0
; ScratchSize: 0
; MemoryBound: 0
; FloatMode: 240
; IeeeMode: 1
; LDSByteSize: 0 bytes/workgroup (compile time only)
; SGPRBlocks: 0
; VGPRBlocks: 0
; NumSGPRsForWavesPerEU: 1
; NumVGPRsForWavesPerEU: 1
; Occupancy: 16
; WaveLimiterHint : 0
; COMPUTE_PGM_RSRC2:SCRATCH_EN: 0
; COMPUTE_PGM_RSRC2:USER_SGPR: 2
; COMPUTE_PGM_RSRC2:TRAP_HANDLER: 0
; COMPUTE_PGM_RSRC2:TGID_X_EN: 1
; COMPUTE_PGM_RSRC2:TGID_Y_EN: 0
; COMPUTE_PGM_RSRC2:TGID_Z_EN: 0
; COMPUTE_PGM_RSRC2:TIDIG_COMP_CNT: 0
	.section	.text._ZN7rocprim17ROCPRIM_400000_NS6detail17trampoline_kernelINS0_14default_configENS1_36segmented_radix_sort_config_selectorIalEEZNS1_25segmented_radix_sort_implIS3_Lb0EPKaPaPKlPlN2at6native12_GLOBAL__N_18offset_tEEE10hipError_tPvRmT1_PNSt15iterator_traitsISK_E10value_typeET2_T3_PNSL_ISQ_E10value_typeET4_jRbjT5_SW_jjP12ihipStream_tbEUlT_E_NS1_11comp_targetILNS1_3genE4ELNS1_11target_archE910ELNS1_3gpuE8ELNS1_3repE0EEENS1_30default_config_static_selectorELNS0_4arch9wavefront6targetE0EEEvSK_,"axG",@progbits,_ZN7rocprim17ROCPRIM_400000_NS6detail17trampoline_kernelINS0_14default_configENS1_36segmented_radix_sort_config_selectorIalEEZNS1_25segmented_radix_sort_implIS3_Lb0EPKaPaPKlPlN2at6native12_GLOBAL__N_18offset_tEEE10hipError_tPvRmT1_PNSt15iterator_traitsISK_E10value_typeET2_T3_PNSL_ISQ_E10value_typeET4_jRbjT5_SW_jjP12ihipStream_tbEUlT_E_NS1_11comp_targetILNS1_3genE4ELNS1_11target_archE910ELNS1_3gpuE8ELNS1_3repE0EEENS1_30default_config_static_selectorELNS0_4arch9wavefront6targetE0EEEvSK_,comdat
	.globl	_ZN7rocprim17ROCPRIM_400000_NS6detail17trampoline_kernelINS0_14default_configENS1_36segmented_radix_sort_config_selectorIalEEZNS1_25segmented_radix_sort_implIS3_Lb0EPKaPaPKlPlN2at6native12_GLOBAL__N_18offset_tEEE10hipError_tPvRmT1_PNSt15iterator_traitsISK_E10value_typeET2_T3_PNSL_ISQ_E10value_typeET4_jRbjT5_SW_jjP12ihipStream_tbEUlT_E_NS1_11comp_targetILNS1_3genE4ELNS1_11target_archE910ELNS1_3gpuE8ELNS1_3repE0EEENS1_30default_config_static_selectorELNS0_4arch9wavefront6targetE0EEEvSK_ ; -- Begin function _ZN7rocprim17ROCPRIM_400000_NS6detail17trampoline_kernelINS0_14default_configENS1_36segmented_radix_sort_config_selectorIalEEZNS1_25segmented_radix_sort_implIS3_Lb0EPKaPaPKlPlN2at6native12_GLOBAL__N_18offset_tEEE10hipError_tPvRmT1_PNSt15iterator_traitsISK_E10value_typeET2_T3_PNSL_ISQ_E10value_typeET4_jRbjT5_SW_jjP12ihipStream_tbEUlT_E_NS1_11comp_targetILNS1_3genE4ELNS1_11target_archE910ELNS1_3gpuE8ELNS1_3repE0EEENS1_30default_config_static_selectorELNS0_4arch9wavefront6targetE0EEEvSK_
	.p2align	8
	.type	_ZN7rocprim17ROCPRIM_400000_NS6detail17trampoline_kernelINS0_14default_configENS1_36segmented_radix_sort_config_selectorIalEEZNS1_25segmented_radix_sort_implIS3_Lb0EPKaPaPKlPlN2at6native12_GLOBAL__N_18offset_tEEE10hipError_tPvRmT1_PNSt15iterator_traitsISK_E10value_typeET2_T3_PNSL_ISQ_E10value_typeET4_jRbjT5_SW_jjP12ihipStream_tbEUlT_E_NS1_11comp_targetILNS1_3genE4ELNS1_11target_archE910ELNS1_3gpuE8ELNS1_3repE0EEENS1_30default_config_static_selectorELNS0_4arch9wavefront6targetE0EEEvSK_,@function
_ZN7rocprim17ROCPRIM_400000_NS6detail17trampoline_kernelINS0_14default_configENS1_36segmented_radix_sort_config_selectorIalEEZNS1_25segmented_radix_sort_implIS3_Lb0EPKaPaPKlPlN2at6native12_GLOBAL__N_18offset_tEEE10hipError_tPvRmT1_PNSt15iterator_traitsISK_E10value_typeET2_T3_PNSL_ISQ_E10value_typeET4_jRbjT5_SW_jjP12ihipStream_tbEUlT_E_NS1_11comp_targetILNS1_3genE4ELNS1_11target_archE910ELNS1_3gpuE8ELNS1_3repE0EEENS1_30default_config_static_selectorELNS0_4arch9wavefront6targetE0EEEvSK_: ; @_ZN7rocprim17ROCPRIM_400000_NS6detail17trampoline_kernelINS0_14default_configENS1_36segmented_radix_sort_config_selectorIalEEZNS1_25segmented_radix_sort_implIS3_Lb0EPKaPaPKlPlN2at6native12_GLOBAL__N_18offset_tEEE10hipError_tPvRmT1_PNSt15iterator_traitsISK_E10value_typeET2_T3_PNSL_ISQ_E10value_typeET4_jRbjT5_SW_jjP12ihipStream_tbEUlT_E_NS1_11comp_targetILNS1_3genE4ELNS1_11target_archE910ELNS1_3gpuE8ELNS1_3repE0EEENS1_30default_config_static_selectorELNS0_4arch9wavefront6targetE0EEEvSK_
; %bb.0:
	.section	.rodata,"a",@progbits
	.p2align	6, 0x0
	.amdhsa_kernel _ZN7rocprim17ROCPRIM_400000_NS6detail17trampoline_kernelINS0_14default_configENS1_36segmented_radix_sort_config_selectorIalEEZNS1_25segmented_radix_sort_implIS3_Lb0EPKaPaPKlPlN2at6native12_GLOBAL__N_18offset_tEEE10hipError_tPvRmT1_PNSt15iterator_traitsISK_E10value_typeET2_T3_PNSL_ISQ_E10value_typeET4_jRbjT5_SW_jjP12ihipStream_tbEUlT_E_NS1_11comp_targetILNS1_3genE4ELNS1_11target_archE910ELNS1_3gpuE8ELNS1_3repE0EEENS1_30default_config_static_selectorELNS0_4arch9wavefront6targetE0EEEvSK_
		.amdhsa_group_segment_fixed_size 0
		.amdhsa_private_segment_fixed_size 0
		.amdhsa_kernarg_size 96
		.amdhsa_user_sgpr_count 2
		.amdhsa_user_sgpr_dispatch_ptr 0
		.amdhsa_user_sgpr_queue_ptr 0
		.amdhsa_user_sgpr_kernarg_segment_ptr 1
		.amdhsa_user_sgpr_dispatch_id 0
		.amdhsa_user_sgpr_private_segment_size 0
		.amdhsa_wavefront_size32 1
		.amdhsa_uses_dynamic_stack 0
		.amdhsa_enable_private_segment 0
		.amdhsa_system_sgpr_workgroup_id_x 1
		.amdhsa_system_sgpr_workgroup_id_y 0
		.amdhsa_system_sgpr_workgroup_id_z 0
		.amdhsa_system_sgpr_workgroup_info 0
		.amdhsa_system_vgpr_workitem_id 0
		.amdhsa_next_free_vgpr 1
		.amdhsa_next_free_sgpr 1
		.amdhsa_reserve_vcc 0
		.amdhsa_float_round_mode_32 0
		.amdhsa_float_round_mode_16_64 0
		.amdhsa_float_denorm_mode_32 3
		.amdhsa_float_denorm_mode_16_64 3
		.amdhsa_fp16_overflow 0
		.amdhsa_workgroup_processor_mode 1
		.amdhsa_memory_ordered 1
		.amdhsa_forward_progress 1
		.amdhsa_inst_pref_size 0
		.amdhsa_round_robin_scheduling 0
		.amdhsa_exception_fp_ieee_invalid_op 0
		.amdhsa_exception_fp_denorm_src 0
		.amdhsa_exception_fp_ieee_div_zero 0
		.amdhsa_exception_fp_ieee_overflow 0
		.amdhsa_exception_fp_ieee_underflow 0
		.amdhsa_exception_fp_ieee_inexact 0
		.amdhsa_exception_int_div_zero 0
	.end_amdhsa_kernel
	.section	.text._ZN7rocprim17ROCPRIM_400000_NS6detail17trampoline_kernelINS0_14default_configENS1_36segmented_radix_sort_config_selectorIalEEZNS1_25segmented_radix_sort_implIS3_Lb0EPKaPaPKlPlN2at6native12_GLOBAL__N_18offset_tEEE10hipError_tPvRmT1_PNSt15iterator_traitsISK_E10value_typeET2_T3_PNSL_ISQ_E10value_typeET4_jRbjT5_SW_jjP12ihipStream_tbEUlT_E_NS1_11comp_targetILNS1_3genE4ELNS1_11target_archE910ELNS1_3gpuE8ELNS1_3repE0EEENS1_30default_config_static_selectorELNS0_4arch9wavefront6targetE0EEEvSK_,"axG",@progbits,_ZN7rocprim17ROCPRIM_400000_NS6detail17trampoline_kernelINS0_14default_configENS1_36segmented_radix_sort_config_selectorIalEEZNS1_25segmented_radix_sort_implIS3_Lb0EPKaPaPKlPlN2at6native12_GLOBAL__N_18offset_tEEE10hipError_tPvRmT1_PNSt15iterator_traitsISK_E10value_typeET2_T3_PNSL_ISQ_E10value_typeET4_jRbjT5_SW_jjP12ihipStream_tbEUlT_E_NS1_11comp_targetILNS1_3genE4ELNS1_11target_archE910ELNS1_3gpuE8ELNS1_3repE0EEENS1_30default_config_static_selectorELNS0_4arch9wavefront6targetE0EEEvSK_,comdat
.Lfunc_end395:
	.size	_ZN7rocprim17ROCPRIM_400000_NS6detail17trampoline_kernelINS0_14default_configENS1_36segmented_radix_sort_config_selectorIalEEZNS1_25segmented_radix_sort_implIS3_Lb0EPKaPaPKlPlN2at6native12_GLOBAL__N_18offset_tEEE10hipError_tPvRmT1_PNSt15iterator_traitsISK_E10value_typeET2_T3_PNSL_ISQ_E10value_typeET4_jRbjT5_SW_jjP12ihipStream_tbEUlT_E_NS1_11comp_targetILNS1_3genE4ELNS1_11target_archE910ELNS1_3gpuE8ELNS1_3repE0EEENS1_30default_config_static_selectorELNS0_4arch9wavefront6targetE0EEEvSK_, .Lfunc_end395-_ZN7rocprim17ROCPRIM_400000_NS6detail17trampoline_kernelINS0_14default_configENS1_36segmented_radix_sort_config_selectorIalEEZNS1_25segmented_radix_sort_implIS3_Lb0EPKaPaPKlPlN2at6native12_GLOBAL__N_18offset_tEEE10hipError_tPvRmT1_PNSt15iterator_traitsISK_E10value_typeET2_T3_PNSL_ISQ_E10value_typeET4_jRbjT5_SW_jjP12ihipStream_tbEUlT_E_NS1_11comp_targetILNS1_3genE4ELNS1_11target_archE910ELNS1_3gpuE8ELNS1_3repE0EEENS1_30default_config_static_selectorELNS0_4arch9wavefront6targetE0EEEvSK_
                                        ; -- End function
	.set _ZN7rocprim17ROCPRIM_400000_NS6detail17trampoline_kernelINS0_14default_configENS1_36segmented_radix_sort_config_selectorIalEEZNS1_25segmented_radix_sort_implIS3_Lb0EPKaPaPKlPlN2at6native12_GLOBAL__N_18offset_tEEE10hipError_tPvRmT1_PNSt15iterator_traitsISK_E10value_typeET2_T3_PNSL_ISQ_E10value_typeET4_jRbjT5_SW_jjP12ihipStream_tbEUlT_E_NS1_11comp_targetILNS1_3genE4ELNS1_11target_archE910ELNS1_3gpuE8ELNS1_3repE0EEENS1_30default_config_static_selectorELNS0_4arch9wavefront6targetE0EEEvSK_.num_vgpr, 0
	.set _ZN7rocprim17ROCPRIM_400000_NS6detail17trampoline_kernelINS0_14default_configENS1_36segmented_radix_sort_config_selectorIalEEZNS1_25segmented_radix_sort_implIS3_Lb0EPKaPaPKlPlN2at6native12_GLOBAL__N_18offset_tEEE10hipError_tPvRmT1_PNSt15iterator_traitsISK_E10value_typeET2_T3_PNSL_ISQ_E10value_typeET4_jRbjT5_SW_jjP12ihipStream_tbEUlT_E_NS1_11comp_targetILNS1_3genE4ELNS1_11target_archE910ELNS1_3gpuE8ELNS1_3repE0EEENS1_30default_config_static_selectorELNS0_4arch9wavefront6targetE0EEEvSK_.num_agpr, 0
	.set _ZN7rocprim17ROCPRIM_400000_NS6detail17trampoline_kernelINS0_14default_configENS1_36segmented_radix_sort_config_selectorIalEEZNS1_25segmented_radix_sort_implIS3_Lb0EPKaPaPKlPlN2at6native12_GLOBAL__N_18offset_tEEE10hipError_tPvRmT1_PNSt15iterator_traitsISK_E10value_typeET2_T3_PNSL_ISQ_E10value_typeET4_jRbjT5_SW_jjP12ihipStream_tbEUlT_E_NS1_11comp_targetILNS1_3genE4ELNS1_11target_archE910ELNS1_3gpuE8ELNS1_3repE0EEENS1_30default_config_static_selectorELNS0_4arch9wavefront6targetE0EEEvSK_.numbered_sgpr, 0
	.set _ZN7rocprim17ROCPRIM_400000_NS6detail17trampoline_kernelINS0_14default_configENS1_36segmented_radix_sort_config_selectorIalEEZNS1_25segmented_radix_sort_implIS3_Lb0EPKaPaPKlPlN2at6native12_GLOBAL__N_18offset_tEEE10hipError_tPvRmT1_PNSt15iterator_traitsISK_E10value_typeET2_T3_PNSL_ISQ_E10value_typeET4_jRbjT5_SW_jjP12ihipStream_tbEUlT_E_NS1_11comp_targetILNS1_3genE4ELNS1_11target_archE910ELNS1_3gpuE8ELNS1_3repE0EEENS1_30default_config_static_selectorELNS0_4arch9wavefront6targetE0EEEvSK_.num_named_barrier, 0
	.set _ZN7rocprim17ROCPRIM_400000_NS6detail17trampoline_kernelINS0_14default_configENS1_36segmented_radix_sort_config_selectorIalEEZNS1_25segmented_radix_sort_implIS3_Lb0EPKaPaPKlPlN2at6native12_GLOBAL__N_18offset_tEEE10hipError_tPvRmT1_PNSt15iterator_traitsISK_E10value_typeET2_T3_PNSL_ISQ_E10value_typeET4_jRbjT5_SW_jjP12ihipStream_tbEUlT_E_NS1_11comp_targetILNS1_3genE4ELNS1_11target_archE910ELNS1_3gpuE8ELNS1_3repE0EEENS1_30default_config_static_selectorELNS0_4arch9wavefront6targetE0EEEvSK_.private_seg_size, 0
	.set _ZN7rocprim17ROCPRIM_400000_NS6detail17trampoline_kernelINS0_14default_configENS1_36segmented_radix_sort_config_selectorIalEEZNS1_25segmented_radix_sort_implIS3_Lb0EPKaPaPKlPlN2at6native12_GLOBAL__N_18offset_tEEE10hipError_tPvRmT1_PNSt15iterator_traitsISK_E10value_typeET2_T3_PNSL_ISQ_E10value_typeET4_jRbjT5_SW_jjP12ihipStream_tbEUlT_E_NS1_11comp_targetILNS1_3genE4ELNS1_11target_archE910ELNS1_3gpuE8ELNS1_3repE0EEENS1_30default_config_static_selectorELNS0_4arch9wavefront6targetE0EEEvSK_.uses_vcc, 0
	.set _ZN7rocprim17ROCPRIM_400000_NS6detail17trampoline_kernelINS0_14default_configENS1_36segmented_radix_sort_config_selectorIalEEZNS1_25segmented_radix_sort_implIS3_Lb0EPKaPaPKlPlN2at6native12_GLOBAL__N_18offset_tEEE10hipError_tPvRmT1_PNSt15iterator_traitsISK_E10value_typeET2_T3_PNSL_ISQ_E10value_typeET4_jRbjT5_SW_jjP12ihipStream_tbEUlT_E_NS1_11comp_targetILNS1_3genE4ELNS1_11target_archE910ELNS1_3gpuE8ELNS1_3repE0EEENS1_30default_config_static_selectorELNS0_4arch9wavefront6targetE0EEEvSK_.uses_flat_scratch, 0
	.set _ZN7rocprim17ROCPRIM_400000_NS6detail17trampoline_kernelINS0_14default_configENS1_36segmented_radix_sort_config_selectorIalEEZNS1_25segmented_radix_sort_implIS3_Lb0EPKaPaPKlPlN2at6native12_GLOBAL__N_18offset_tEEE10hipError_tPvRmT1_PNSt15iterator_traitsISK_E10value_typeET2_T3_PNSL_ISQ_E10value_typeET4_jRbjT5_SW_jjP12ihipStream_tbEUlT_E_NS1_11comp_targetILNS1_3genE4ELNS1_11target_archE910ELNS1_3gpuE8ELNS1_3repE0EEENS1_30default_config_static_selectorELNS0_4arch9wavefront6targetE0EEEvSK_.has_dyn_sized_stack, 0
	.set _ZN7rocprim17ROCPRIM_400000_NS6detail17trampoline_kernelINS0_14default_configENS1_36segmented_radix_sort_config_selectorIalEEZNS1_25segmented_radix_sort_implIS3_Lb0EPKaPaPKlPlN2at6native12_GLOBAL__N_18offset_tEEE10hipError_tPvRmT1_PNSt15iterator_traitsISK_E10value_typeET2_T3_PNSL_ISQ_E10value_typeET4_jRbjT5_SW_jjP12ihipStream_tbEUlT_E_NS1_11comp_targetILNS1_3genE4ELNS1_11target_archE910ELNS1_3gpuE8ELNS1_3repE0EEENS1_30default_config_static_selectorELNS0_4arch9wavefront6targetE0EEEvSK_.has_recursion, 0
	.set _ZN7rocprim17ROCPRIM_400000_NS6detail17trampoline_kernelINS0_14default_configENS1_36segmented_radix_sort_config_selectorIalEEZNS1_25segmented_radix_sort_implIS3_Lb0EPKaPaPKlPlN2at6native12_GLOBAL__N_18offset_tEEE10hipError_tPvRmT1_PNSt15iterator_traitsISK_E10value_typeET2_T3_PNSL_ISQ_E10value_typeET4_jRbjT5_SW_jjP12ihipStream_tbEUlT_E_NS1_11comp_targetILNS1_3genE4ELNS1_11target_archE910ELNS1_3gpuE8ELNS1_3repE0EEENS1_30default_config_static_selectorELNS0_4arch9wavefront6targetE0EEEvSK_.has_indirect_call, 0
	.section	.AMDGPU.csdata,"",@progbits
; Kernel info:
; codeLenInByte = 0
; TotalNumSgprs: 0
; NumVgprs: 0
; ScratchSize: 0
; MemoryBound: 0
; FloatMode: 240
; IeeeMode: 1
; LDSByteSize: 0 bytes/workgroup (compile time only)
; SGPRBlocks: 0
; VGPRBlocks: 0
; NumSGPRsForWavesPerEU: 1
; NumVGPRsForWavesPerEU: 1
; Occupancy: 16
; WaveLimiterHint : 0
; COMPUTE_PGM_RSRC2:SCRATCH_EN: 0
; COMPUTE_PGM_RSRC2:USER_SGPR: 2
; COMPUTE_PGM_RSRC2:TRAP_HANDLER: 0
; COMPUTE_PGM_RSRC2:TGID_X_EN: 1
; COMPUTE_PGM_RSRC2:TGID_Y_EN: 0
; COMPUTE_PGM_RSRC2:TGID_Z_EN: 0
; COMPUTE_PGM_RSRC2:TIDIG_COMP_CNT: 0
	.section	.text._ZN7rocprim17ROCPRIM_400000_NS6detail17trampoline_kernelINS0_14default_configENS1_36segmented_radix_sort_config_selectorIalEEZNS1_25segmented_radix_sort_implIS3_Lb0EPKaPaPKlPlN2at6native12_GLOBAL__N_18offset_tEEE10hipError_tPvRmT1_PNSt15iterator_traitsISK_E10value_typeET2_T3_PNSL_ISQ_E10value_typeET4_jRbjT5_SW_jjP12ihipStream_tbEUlT_E_NS1_11comp_targetILNS1_3genE3ELNS1_11target_archE908ELNS1_3gpuE7ELNS1_3repE0EEENS1_30default_config_static_selectorELNS0_4arch9wavefront6targetE0EEEvSK_,"axG",@progbits,_ZN7rocprim17ROCPRIM_400000_NS6detail17trampoline_kernelINS0_14default_configENS1_36segmented_radix_sort_config_selectorIalEEZNS1_25segmented_radix_sort_implIS3_Lb0EPKaPaPKlPlN2at6native12_GLOBAL__N_18offset_tEEE10hipError_tPvRmT1_PNSt15iterator_traitsISK_E10value_typeET2_T3_PNSL_ISQ_E10value_typeET4_jRbjT5_SW_jjP12ihipStream_tbEUlT_E_NS1_11comp_targetILNS1_3genE3ELNS1_11target_archE908ELNS1_3gpuE7ELNS1_3repE0EEENS1_30default_config_static_selectorELNS0_4arch9wavefront6targetE0EEEvSK_,comdat
	.globl	_ZN7rocprim17ROCPRIM_400000_NS6detail17trampoline_kernelINS0_14default_configENS1_36segmented_radix_sort_config_selectorIalEEZNS1_25segmented_radix_sort_implIS3_Lb0EPKaPaPKlPlN2at6native12_GLOBAL__N_18offset_tEEE10hipError_tPvRmT1_PNSt15iterator_traitsISK_E10value_typeET2_T3_PNSL_ISQ_E10value_typeET4_jRbjT5_SW_jjP12ihipStream_tbEUlT_E_NS1_11comp_targetILNS1_3genE3ELNS1_11target_archE908ELNS1_3gpuE7ELNS1_3repE0EEENS1_30default_config_static_selectorELNS0_4arch9wavefront6targetE0EEEvSK_ ; -- Begin function _ZN7rocprim17ROCPRIM_400000_NS6detail17trampoline_kernelINS0_14default_configENS1_36segmented_radix_sort_config_selectorIalEEZNS1_25segmented_radix_sort_implIS3_Lb0EPKaPaPKlPlN2at6native12_GLOBAL__N_18offset_tEEE10hipError_tPvRmT1_PNSt15iterator_traitsISK_E10value_typeET2_T3_PNSL_ISQ_E10value_typeET4_jRbjT5_SW_jjP12ihipStream_tbEUlT_E_NS1_11comp_targetILNS1_3genE3ELNS1_11target_archE908ELNS1_3gpuE7ELNS1_3repE0EEENS1_30default_config_static_selectorELNS0_4arch9wavefront6targetE0EEEvSK_
	.p2align	8
	.type	_ZN7rocprim17ROCPRIM_400000_NS6detail17trampoline_kernelINS0_14default_configENS1_36segmented_radix_sort_config_selectorIalEEZNS1_25segmented_radix_sort_implIS3_Lb0EPKaPaPKlPlN2at6native12_GLOBAL__N_18offset_tEEE10hipError_tPvRmT1_PNSt15iterator_traitsISK_E10value_typeET2_T3_PNSL_ISQ_E10value_typeET4_jRbjT5_SW_jjP12ihipStream_tbEUlT_E_NS1_11comp_targetILNS1_3genE3ELNS1_11target_archE908ELNS1_3gpuE7ELNS1_3repE0EEENS1_30default_config_static_selectorELNS0_4arch9wavefront6targetE0EEEvSK_,@function
_ZN7rocprim17ROCPRIM_400000_NS6detail17trampoline_kernelINS0_14default_configENS1_36segmented_radix_sort_config_selectorIalEEZNS1_25segmented_radix_sort_implIS3_Lb0EPKaPaPKlPlN2at6native12_GLOBAL__N_18offset_tEEE10hipError_tPvRmT1_PNSt15iterator_traitsISK_E10value_typeET2_T3_PNSL_ISQ_E10value_typeET4_jRbjT5_SW_jjP12ihipStream_tbEUlT_E_NS1_11comp_targetILNS1_3genE3ELNS1_11target_archE908ELNS1_3gpuE7ELNS1_3repE0EEENS1_30default_config_static_selectorELNS0_4arch9wavefront6targetE0EEEvSK_: ; @_ZN7rocprim17ROCPRIM_400000_NS6detail17trampoline_kernelINS0_14default_configENS1_36segmented_radix_sort_config_selectorIalEEZNS1_25segmented_radix_sort_implIS3_Lb0EPKaPaPKlPlN2at6native12_GLOBAL__N_18offset_tEEE10hipError_tPvRmT1_PNSt15iterator_traitsISK_E10value_typeET2_T3_PNSL_ISQ_E10value_typeET4_jRbjT5_SW_jjP12ihipStream_tbEUlT_E_NS1_11comp_targetILNS1_3genE3ELNS1_11target_archE908ELNS1_3gpuE7ELNS1_3repE0EEENS1_30default_config_static_selectorELNS0_4arch9wavefront6targetE0EEEvSK_
; %bb.0:
	.section	.rodata,"a",@progbits
	.p2align	6, 0x0
	.amdhsa_kernel _ZN7rocprim17ROCPRIM_400000_NS6detail17trampoline_kernelINS0_14default_configENS1_36segmented_radix_sort_config_selectorIalEEZNS1_25segmented_radix_sort_implIS3_Lb0EPKaPaPKlPlN2at6native12_GLOBAL__N_18offset_tEEE10hipError_tPvRmT1_PNSt15iterator_traitsISK_E10value_typeET2_T3_PNSL_ISQ_E10value_typeET4_jRbjT5_SW_jjP12ihipStream_tbEUlT_E_NS1_11comp_targetILNS1_3genE3ELNS1_11target_archE908ELNS1_3gpuE7ELNS1_3repE0EEENS1_30default_config_static_selectorELNS0_4arch9wavefront6targetE0EEEvSK_
		.amdhsa_group_segment_fixed_size 0
		.amdhsa_private_segment_fixed_size 0
		.amdhsa_kernarg_size 96
		.amdhsa_user_sgpr_count 2
		.amdhsa_user_sgpr_dispatch_ptr 0
		.amdhsa_user_sgpr_queue_ptr 0
		.amdhsa_user_sgpr_kernarg_segment_ptr 1
		.amdhsa_user_sgpr_dispatch_id 0
		.amdhsa_user_sgpr_private_segment_size 0
		.amdhsa_wavefront_size32 1
		.amdhsa_uses_dynamic_stack 0
		.amdhsa_enable_private_segment 0
		.amdhsa_system_sgpr_workgroup_id_x 1
		.amdhsa_system_sgpr_workgroup_id_y 0
		.amdhsa_system_sgpr_workgroup_id_z 0
		.amdhsa_system_sgpr_workgroup_info 0
		.amdhsa_system_vgpr_workitem_id 0
		.amdhsa_next_free_vgpr 1
		.amdhsa_next_free_sgpr 1
		.amdhsa_reserve_vcc 0
		.amdhsa_float_round_mode_32 0
		.amdhsa_float_round_mode_16_64 0
		.amdhsa_float_denorm_mode_32 3
		.amdhsa_float_denorm_mode_16_64 3
		.amdhsa_fp16_overflow 0
		.amdhsa_workgroup_processor_mode 1
		.amdhsa_memory_ordered 1
		.amdhsa_forward_progress 1
		.amdhsa_inst_pref_size 0
		.amdhsa_round_robin_scheduling 0
		.amdhsa_exception_fp_ieee_invalid_op 0
		.amdhsa_exception_fp_denorm_src 0
		.amdhsa_exception_fp_ieee_div_zero 0
		.amdhsa_exception_fp_ieee_overflow 0
		.amdhsa_exception_fp_ieee_underflow 0
		.amdhsa_exception_fp_ieee_inexact 0
		.amdhsa_exception_int_div_zero 0
	.end_amdhsa_kernel
	.section	.text._ZN7rocprim17ROCPRIM_400000_NS6detail17trampoline_kernelINS0_14default_configENS1_36segmented_radix_sort_config_selectorIalEEZNS1_25segmented_radix_sort_implIS3_Lb0EPKaPaPKlPlN2at6native12_GLOBAL__N_18offset_tEEE10hipError_tPvRmT1_PNSt15iterator_traitsISK_E10value_typeET2_T3_PNSL_ISQ_E10value_typeET4_jRbjT5_SW_jjP12ihipStream_tbEUlT_E_NS1_11comp_targetILNS1_3genE3ELNS1_11target_archE908ELNS1_3gpuE7ELNS1_3repE0EEENS1_30default_config_static_selectorELNS0_4arch9wavefront6targetE0EEEvSK_,"axG",@progbits,_ZN7rocprim17ROCPRIM_400000_NS6detail17trampoline_kernelINS0_14default_configENS1_36segmented_radix_sort_config_selectorIalEEZNS1_25segmented_radix_sort_implIS3_Lb0EPKaPaPKlPlN2at6native12_GLOBAL__N_18offset_tEEE10hipError_tPvRmT1_PNSt15iterator_traitsISK_E10value_typeET2_T3_PNSL_ISQ_E10value_typeET4_jRbjT5_SW_jjP12ihipStream_tbEUlT_E_NS1_11comp_targetILNS1_3genE3ELNS1_11target_archE908ELNS1_3gpuE7ELNS1_3repE0EEENS1_30default_config_static_selectorELNS0_4arch9wavefront6targetE0EEEvSK_,comdat
.Lfunc_end396:
	.size	_ZN7rocprim17ROCPRIM_400000_NS6detail17trampoline_kernelINS0_14default_configENS1_36segmented_radix_sort_config_selectorIalEEZNS1_25segmented_radix_sort_implIS3_Lb0EPKaPaPKlPlN2at6native12_GLOBAL__N_18offset_tEEE10hipError_tPvRmT1_PNSt15iterator_traitsISK_E10value_typeET2_T3_PNSL_ISQ_E10value_typeET4_jRbjT5_SW_jjP12ihipStream_tbEUlT_E_NS1_11comp_targetILNS1_3genE3ELNS1_11target_archE908ELNS1_3gpuE7ELNS1_3repE0EEENS1_30default_config_static_selectorELNS0_4arch9wavefront6targetE0EEEvSK_, .Lfunc_end396-_ZN7rocprim17ROCPRIM_400000_NS6detail17trampoline_kernelINS0_14default_configENS1_36segmented_radix_sort_config_selectorIalEEZNS1_25segmented_radix_sort_implIS3_Lb0EPKaPaPKlPlN2at6native12_GLOBAL__N_18offset_tEEE10hipError_tPvRmT1_PNSt15iterator_traitsISK_E10value_typeET2_T3_PNSL_ISQ_E10value_typeET4_jRbjT5_SW_jjP12ihipStream_tbEUlT_E_NS1_11comp_targetILNS1_3genE3ELNS1_11target_archE908ELNS1_3gpuE7ELNS1_3repE0EEENS1_30default_config_static_selectorELNS0_4arch9wavefront6targetE0EEEvSK_
                                        ; -- End function
	.set _ZN7rocprim17ROCPRIM_400000_NS6detail17trampoline_kernelINS0_14default_configENS1_36segmented_radix_sort_config_selectorIalEEZNS1_25segmented_radix_sort_implIS3_Lb0EPKaPaPKlPlN2at6native12_GLOBAL__N_18offset_tEEE10hipError_tPvRmT1_PNSt15iterator_traitsISK_E10value_typeET2_T3_PNSL_ISQ_E10value_typeET4_jRbjT5_SW_jjP12ihipStream_tbEUlT_E_NS1_11comp_targetILNS1_3genE3ELNS1_11target_archE908ELNS1_3gpuE7ELNS1_3repE0EEENS1_30default_config_static_selectorELNS0_4arch9wavefront6targetE0EEEvSK_.num_vgpr, 0
	.set _ZN7rocprim17ROCPRIM_400000_NS6detail17trampoline_kernelINS0_14default_configENS1_36segmented_radix_sort_config_selectorIalEEZNS1_25segmented_radix_sort_implIS3_Lb0EPKaPaPKlPlN2at6native12_GLOBAL__N_18offset_tEEE10hipError_tPvRmT1_PNSt15iterator_traitsISK_E10value_typeET2_T3_PNSL_ISQ_E10value_typeET4_jRbjT5_SW_jjP12ihipStream_tbEUlT_E_NS1_11comp_targetILNS1_3genE3ELNS1_11target_archE908ELNS1_3gpuE7ELNS1_3repE0EEENS1_30default_config_static_selectorELNS0_4arch9wavefront6targetE0EEEvSK_.num_agpr, 0
	.set _ZN7rocprim17ROCPRIM_400000_NS6detail17trampoline_kernelINS0_14default_configENS1_36segmented_radix_sort_config_selectorIalEEZNS1_25segmented_radix_sort_implIS3_Lb0EPKaPaPKlPlN2at6native12_GLOBAL__N_18offset_tEEE10hipError_tPvRmT1_PNSt15iterator_traitsISK_E10value_typeET2_T3_PNSL_ISQ_E10value_typeET4_jRbjT5_SW_jjP12ihipStream_tbEUlT_E_NS1_11comp_targetILNS1_3genE3ELNS1_11target_archE908ELNS1_3gpuE7ELNS1_3repE0EEENS1_30default_config_static_selectorELNS0_4arch9wavefront6targetE0EEEvSK_.numbered_sgpr, 0
	.set _ZN7rocprim17ROCPRIM_400000_NS6detail17trampoline_kernelINS0_14default_configENS1_36segmented_radix_sort_config_selectorIalEEZNS1_25segmented_radix_sort_implIS3_Lb0EPKaPaPKlPlN2at6native12_GLOBAL__N_18offset_tEEE10hipError_tPvRmT1_PNSt15iterator_traitsISK_E10value_typeET2_T3_PNSL_ISQ_E10value_typeET4_jRbjT5_SW_jjP12ihipStream_tbEUlT_E_NS1_11comp_targetILNS1_3genE3ELNS1_11target_archE908ELNS1_3gpuE7ELNS1_3repE0EEENS1_30default_config_static_selectorELNS0_4arch9wavefront6targetE0EEEvSK_.num_named_barrier, 0
	.set _ZN7rocprim17ROCPRIM_400000_NS6detail17trampoline_kernelINS0_14default_configENS1_36segmented_radix_sort_config_selectorIalEEZNS1_25segmented_radix_sort_implIS3_Lb0EPKaPaPKlPlN2at6native12_GLOBAL__N_18offset_tEEE10hipError_tPvRmT1_PNSt15iterator_traitsISK_E10value_typeET2_T3_PNSL_ISQ_E10value_typeET4_jRbjT5_SW_jjP12ihipStream_tbEUlT_E_NS1_11comp_targetILNS1_3genE3ELNS1_11target_archE908ELNS1_3gpuE7ELNS1_3repE0EEENS1_30default_config_static_selectorELNS0_4arch9wavefront6targetE0EEEvSK_.private_seg_size, 0
	.set _ZN7rocprim17ROCPRIM_400000_NS6detail17trampoline_kernelINS0_14default_configENS1_36segmented_radix_sort_config_selectorIalEEZNS1_25segmented_radix_sort_implIS3_Lb0EPKaPaPKlPlN2at6native12_GLOBAL__N_18offset_tEEE10hipError_tPvRmT1_PNSt15iterator_traitsISK_E10value_typeET2_T3_PNSL_ISQ_E10value_typeET4_jRbjT5_SW_jjP12ihipStream_tbEUlT_E_NS1_11comp_targetILNS1_3genE3ELNS1_11target_archE908ELNS1_3gpuE7ELNS1_3repE0EEENS1_30default_config_static_selectorELNS0_4arch9wavefront6targetE0EEEvSK_.uses_vcc, 0
	.set _ZN7rocprim17ROCPRIM_400000_NS6detail17trampoline_kernelINS0_14default_configENS1_36segmented_radix_sort_config_selectorIalEEZNS1_25segmented_radix_sort_implIS3_Lb0EPKaPaPKlPlN2at6native12_GLOBAL__N_18offset_tEEE10hipError_tPvRmT1_PNSt15iterator_traitsISK_E10value_typeET2_T3_PNSL_ISQ_E10value_typeET4_jRbjT5_SW_jjP12ihipStream_tbEUlT_E_NS1_11comp_targetILNS1_3genE3ELNS1_11target_archE908ELNS1_3gpuE7ELNS1_3repE0EEENS1_30default_config_static_selectorELNS0_4arch9wavefront6targetE0EEEvSK_.uses_flat_scratch, 0
	.set _ZN7rocprim17ROCPRIM_400000_NS6detail17trampoline_kernelINS0_14default_configENS1_36segmented_radix_sort_config_selectorIalEEZNS1_25segmented_radix_sort_implIS3_Lb0EPKaPaPKlPlN2at6native12_GLOBAL__N_18offset_tEEE10hipError_tPvRmT1_PNSt15iterator_traitsISK_E10value_typeET2_T3_PNSL_ISQ_E10value_typeET4_jRbjT5_SW_jjP12ihipStream_tbEUlT_E_NS1_11comp_targetILNS1_3genE3ELNS1_11target_archE908ELNS1_3gpuE7ELNS1_3repE0EEENS1_30default_config_static_selectorELNS0_4arch9wavefront6targetE0EEEvSK_.has_dyn_sized_stack, 0
	.set _ZN7rocprim17ROCPRIM_400000_NS6detail17trampoline_kernelINS0_14default_configENS1_36segmented_radix_sort_config_selectorIalEEZNS1_25segmented_radix_sort_implIS3_Lb0EPKaPaPKlPlN2at6native12_GLOBAL__N_18offset_tEEE10hipError_tPvRmT1_PNSt15iterator_traitsISK_E10value_typeET2_T3_PNSL_ISQ_E10value_typeET4_jRbjT5_SW_jjP12ihipStream_tbEUlT_E_NS1_11comp_targetILNS1_3genE3ELNS1_11target_archE908ELNS1_3gpuE7ELNS1_3repE0EEENS1_30default_config_static_selectorELNS0_4arch9wavefront6targetE0EEEvSK_.has_recursion, 0
	.set _ZN7rocprim17ROCPRIM_400000_NS6detail17trampoline_kernelINS0_14default_configENS1_36segmented_radix_sort_config_selectorIalEEZNS1_25segmented_radix_sort_implIS3_Lb0EPKaPaPKlPlN2at6native12_GLOBAL__N_18offset_tEEE10hipError_tPvRmT1_PNSt15iterator_traitsISK_E10value_typeET2_T3_PNSL_ISQ_E10value_typeET4_jRbjT5_SW_jjP12ihipStream_tbEUlT_E_NS1_11comp_targetILNS1_3genE3ELNS1_11target_archE908ELNS1_3gpuE7ELNS1_3repE0EEENS1_30default_config_static_selectorELNS0_4arch9wavefront6targetE0EEEvSK_.has_indirect_call, 0
	.section	.AMDGPU.csdata,"",@progbits
; Kernel info:
; codeLenInByte = 0
; TotalNumSgprs: 0
; NumVgprs: 0
; ScratchSize: 0
; MemoryBound: 0
; FloatMode: 240
; IeeeMode: 1
; LDSByteSize: 0 bytes/workgroup (compile time only)
; SGPRBlocks: 0
; VGPRBlocks: 0
; NumSGPRsForWavesPerEU: 1
; NumVGPRsForWavesPerEU: 1
; Occupancy: 16
; WaveLimiterHint : 0
; COMPUTE_PGM_RSRC2:SCRATCH_EN: 0
; COMPUTE_PGM_RSRC2:USER_SGPR: 2
; COMPUTE_PGM_RSRC2:TRAP_HANDLER: 0
; COMPUTE_PGM_RSRC2:TGID_X_EN: 1
; COMPUTE_PGM_RSRC2:TGID_Y_EN: 0
; COMPUTE_PGM_RSRC2:TGID_Z_EN: 0
; COMPUTE_PGM_RSRC2:TIDIG_COMP_CNT: 0
	.section	.text._ZN7rocprim17ROCPRIM_400000_NS6detail17trampoline_kernelINS0_14default_configENS1_36segmented_radix_sort_config_selectorIalEEZNS1_25segmented_radix_sort_implIS3_Lb0EPKaPaPKlPlN2at6native12_GLOBAL__N_18offset_tEEE10hipError_tPvRmT1_PNSt15iterator_traitsISK_E10value_typeET2_T3_PNSL_ISQ_E10value_typeET4_jRbjT5_SW_jjP12ihipStream_tbEUlT_E_NS1_11comp_targetILNS1_3genE2ELNS1_11target_archE906ELNS1_3gpuE6ELNS1_3repE0EEENS1_30default_config_static_selectorELNS0_4arch9wavefront6targetE0EEEvSK_,"axG",@progbits,_ZN7rocprim17ROCPRIM_400000_NS6detail17trampoline_kernelINS0_14default_configENS1_36segmented_radix_sort_config_selectorIalEEZNS1_25segmented_radix_sort_implIS3_Lb0EPKaPaPKlPlN2at6native12_GLOBAL__N_18offset_tEEE10hipError_tPvRmT1_PNSt15iterator_traitsISK_E10value_typeET2_T3_PNSL_ISQ_E10value_typeET4_jRbjT5_SW_jjP12ihipStream_tbEUlT_E_NS1_11comp_targetILNS1_3genE2ELNS1_11target_archE906ELNS1_3gpuE6ELNS1_3repE0EEENS1_30default_config_static_selectorELNS0_4arch9wavefront6targetE0EEEvSK_,comdat
	.globl	_ZN7rocprim17ROCPRIM_400000_NS6detail17trampoline_kernelINS0_14default_configENS1_36segmented_radix_sort_config_selectorIalEEZNS1_25segmented_radix_sort_implIS3_Lb0EPKaPaPKlPlN2at6native12_GLOBAL__N_18offset_tEEE10hipError_tPvRmT1_PNSt15iterator_traitsISK_E10value_typeET2_T3_PNSL_ISQ_E10value_typeET4_jRbjT5_SW_jjP12ihipStream_tbEUlT_E_NS1_11comp_targetILNS1_3genE2ELNS1_11target_archE906ELNS1_3gpuE6ELNS1_3repE0EEENS1_30default_config_static_selectorELNS0_4arch9wavefront6targetE0EEEvSK_ ; -- Begin function _ZN7rocprim17ROCPRIM_400000_NS6detail17trampoline_kernelINS0_14default_configENS1_36segmented_radix_sort_config_selectorIalEEZNS1_25segmented_radix_sort_implIS3_Lb0EPKaPaPKlPlN2at6native12_GLOBAL__N_18offset_tEEE10hipError_tPvRmT1_PNSt15iterator_traitsISK_E10value_typeET2_T3_PNSL_ISQ_E10value_typeET4_jRbjT5_SW_jjP12ihipStream_tbEUlT_E_NS1_11comp_targetILNS1_3genE2ELNS1_11target_archE906ELNS1_3gpuE6ELNS1_3repE0EEENS1_30default_config_static_selectorELNS0_4arch9wavefront6targetE0EEEvSK_
	.p2align	8
	.type	_ZN7rocprim17ROCPRIM_400000_NS6detail17trampoline_kernelINS0_14default_configENS1_36segmented_radix_sort_config_selectorIalEEZNS1_25segmented_radix_sort_implIS3_Lb0EPKaPaPKlPlN2at6native12_GLOBAL__N_18offset_tEEE10hipError_tPvRmT1_PNSt15iterator_traitsISK_E10value_typeET2_T3_PNSL_ISQ_E10value_typeET4_jRbjT5_SW_jjP12ihipStream_tbEUlT_E_NS1_11comp_targetILNS1_3genE2ELNS1_11target_archE906ELNS1_3gpuE6ELNS1_3repE0EEENS1_30default_config_static_selectorELNS0_4arch9wavefront6targetE0EEEvSK_,@function
_ZN7rocprim17ROCPRIM_400000_NS6detail17trampoline_kernelINS0_14default_configENS1_36segmented_radix_sort_config_selectorIalEEZNS1_25segmented_radix_sort_implIS3_Lb0EPKaPaPKlPlN2at6native12_GLOBAL__N_18offset_tEEE10hipError_tPvRmT1_PNSt15iterator_traitsISK_E10value_typeET2_T3_PNSL_ISQ_E10value_typeET4_jRbjT5_SW_jjP12ihipStream_tbEUlT_E_NS1_11comp_targetILNS1_3genE2ELNS1_11target_archE906ELNS1_3gpuE6ELNS1_3repE0EEENS1_30default_config_static_selectorELNS0_4arch9wavefront6targetE0EEEvSK_: ; @_ZN7rocprim17ROCPRIM_400000_NS6detail17trampoline_kernelINS0_14default_configENS1_36segmented_radix_sort_config_selectorIalEEZNS1_25segmented_radix_sort_implIS3_Lb0EPKaPaPKlPlN2at6native12_GLOBAL__N_18offset_tEEE10hipError_tPvRmT1_PNSt15iterator_traitsISK_E10value_typeET2_T3_PNSL_ISQ_E10value_typeET4_jRbjT5_SW_jjP12ihipStream_tbEUlT_E_NS1_11comp_targetILNS1_3genE2ELNS1_11target_archE906ELNS1_3gpuE6ELNS1_3repE0EEENS1_30default_config_static_selectorELNS0_4arch9wavefront6targetE0EEEvSK_
; %bb.0:
	.section	.rodata,"a",@progbits
	.p2align	6, 0x0
	.amdhsa_kernel _ZN7rocprim17ROCPRIM_400000_NS6detail17trampoline_kernelINS0_14default_configENS1_36segmented_radix_sort_config_selectorIalEEZNS1_25segmented_radix_sort_implIS3_Lb0EPKaPaPKlPlN2at6native12_GLOBAL__N_18offset_tEEE10hipError_tPvRmT1_PNSt15iterator_traitsISK_E10value_typeET2_T3_PNSL_ISQ_E10value_typeET4_jRbjT5_SW_jjP12ihipStream_tbEUlT_E_NS1_11comp_targetILNS1_3genE2ELNS1_11target_archE906ELNS1_3gpuE6ELNS1_3repE0EEENS1_30default_config_static_selectorELNS0_4arch9wavefront6targetE0EEEvSK_
		.amdhsa_group_segment_fixed_size 0
		.amdhsa_private_segment_fixed_size 0
		.amdhsa_kernarg_size 96
		.amdhsa_user_sgpr_count 2
		.amdhsa_user_sgpr_dispatch_ptr 0
		.amdhsa_user_sgpr_queue_ptr 0
		.amdhsa_user_sgpr_kernarg_segment_ptr 1
		.amdhsa_user_sgpr_dispatch_id 0
		.amdhsa_user_sgpr_private_segment_size 0
		.amdhsa_wavefront_size32 1
		.amdhsa_uses_dynamic_stack 0
		.amdhsa_enable_private_segment 0
		.amdhsa_system_sgpr_workgroup_id_x 1
		.amdhsa_system_sgpr_workgroup_id_y 0
		.amdhsa_system_sgpr_workgroup_id_z 0
		.amdhsa_system_sgpr_workgroup_info 0
		.amdhsa_system_vgpr_workitem_id 0
		.amdhsa_next_free_vgpr 1
		.amdhsa_next_free_sgpr 1
		.amdhsa_reserve_vcc 0
		.amdhsa_float_round_mode_32 0
		.amdhsa_float_round_mode_16_64 0
		.amdhsa_float_denorm_mode_32 3
		.amdhsa_float_denorm_mode_16_64 3
		.amdhsa_fp16_overflow 0
		.amdhsa_workgroup_processor_mode 1
		.amdhsa_memory_ordered 1
		.amdhsa_forward_progress 1
		.amdhsa_inst_pref_size 0
		.amdhsa_round_robin_scheduling 0
		.amdhsa_exception_fp_ieee_invalid_op 0
		.amdhsa_exception_fp_denorm_src 0
		.amdhsa_exception_fp_ieee_div_zero 0
		.amdhsa_exception_fp_ieee_overflow 0
		.amdhsa_exception_fp_ieee_underflow 0
		.amdhsa_exception_fp_ieee_inexact 0
		.amdhsa_exception_int_div_zero 0
	.end_amdhsa_kernel
	.section	.text._ZN7rocprim17ROCPRIM_400000_NS6detail17trampoline_kernelINS0_14default_configENS1_36segmented_radix_sort_config_selectorIalEEZNS1_25segmented_radix_sort_implIS3_Lb0EPKaPaPKlPlN2at6native12_GLOBAL__N_18offset_tEEE10hipError_tPvRmT1_PNSt15iterator_traitsISK_E10value_typeET2_T3_PNSL_ISQ_E10value_typeET4_jRbjT5_SW_jjP12ihipStream_tbEUlT_E_NS1_11comp_targetILNS1_3genE2ELNS1_11target_archE906ELNS1_3gpuE6ELNS1_3repE0EEENS1_30default_config_static_selectorELNS0_4arch9wavefront6targetE0EEEvSK_,"axG",@progbits,_ZN7rocprim17ROCPRIM_400000_NS6detail17trampoline_kernelINS0_14default_configENS1_36segmented_radix_sort_config_selectorIalEEZNS1_25segmented_radix_sort_implIS3_Lb0EPKaPaPKlPlN2at6native12_GLOBAL__N_18offset_tEEE10hipError_tPvRmT1_PNSt15iterator_traitsISK_E10value_typeET2_T3_PNSL_ISQ_E10value_typeET4_jRbjT5_SW_jjP12ihipStream_tbEUlT_E_NS1_11comp_targetILNS1_3genE2ELNS1_11target_archE906ELNS1_3gpuE6ELNS1_3repE0EEENS1_30default_config_static_selectorELNS0_4arch9wavefront6targetE0EEEvSK_,comdat
.Lfunc_end397:
	.size	_ZN7rocprim17ROCPRIM_400000_NS6detail17trampoline_kernelINS0_14default_configENS1_36segmented_radix_sort_config_selectorIalEEZNS1_25segmented_radix_sort_implIS3_Lb0EPKaPaPKlPlN2at6native12_GLOBAL__N_18offset_tEEE10hipError_tPvRmT1_PNSt15iterator_traitsISK_E10value_typeET2_T3_PNSL_ISQ_E10value_typeET4_jRbjT5_SW_jjP12ihipStream_tbEUlT_E_NS1_11comp_targetILNS1_3genE2ELNS1_11target_archE906ELNS1_3gpuE6ELNS1_3repE0EEENS1_30default_config_static_selectorELNS0_4arch9wavefront6targetE0EEEvSK_, .Lfunc_end397-_ZN7rocprim17ROCPRIM_400000_NS6detail17trampoline_kernelINS0_14default_configENS1_36segmented_radix_sort_config_selectorIalEEZNS1_25segmented_radix_sort_implIS3_Lb0EPKaPaPKlPlN2at6native12_GLOBAL__N_18offset_tEEE10hipError_tPvRmT1_PNSt15iterator_traitsISK_E10value_typeET2_T3_PNSL_ISQ_E10value_typeET4_jRbjT5_SW_jjP12ihipStream_tbEUlT_E_NS1_11comp_targetILNS1_3genE2ELNS1_11target_archE906ELNS1_3gpuE6ELNS1_3repE0EEENS1_30default_config_static_selectorELNS0_4arch9wavefront6targetE0EEEvSK_
                                        ; -- End function
	.set _ZN7rocprim17ROCPRIM_400000_NS6detail17trampoline_kernelINS0_14default_configENS1_36segmented_radix_sort_config_selectorIalEEZNS1_25segmented_radix_sort_implIS3_Lb0EPKaPaPKlPlN2at6native12_GLOBAL__N_18offset_tEEE10hipError_tPvRmT1_PNSt15iterator_traitsISK_E10value_typeET2_T3_PNSL_ISQ_E10value_typeET4_jRbjT5_SW_jjP12ihipStream_tbEUlT_E_NS1_11comp_targetILNS1_3genE2ELNS1_11target_archE906ELNS1_3gpuE6ELNS1_3repE0EEENS1_30default_config_static_selectorELNS0_4arch9wavefront6targetE0EEEvSK_.num_vgpr, 0
	.set _ZN7rocprim17ROCPRIM_400000_NS6detail17trampoline_kernelINS0_14default_configENS1_36segmented_radix_sort_config_selectorIalEEZNS1_25segmented_radix_sort_implIS3_Lb0EPKaPaPKlPlN2at6native12_GLOBAL__N_18offset_tEEE10hipError_tPvRmT1_PNSt15iterator_traitsISK_E10value_typeET2_T3_PNSL_ISQ_E10value_typeET4_jRbjT5_SW_jjP12ihipStream_tbEUlT_E_NS1_11comp_targetILNS1_3genE2ELNS1_11target_archE906ELNS1_3gpuE6ELNS1_3repE0EEENS1_30default_config_static_selectorELNS0_4arch9wavefront6targetE0EEEvSK_.num_agpr, 0
	.set _ZN7rocprim17ROCPRIM_400000_NS6detail17trampoline_kernelINS0_14default_configENS1_36segmented_radix_sort_config_selectorIalEEZNS1_25segmented_radix_sort_implIS3_Lb0EPKaPaPKlPlN2at6native12_GLOBAL__N_18offset_tEEE10hipError_tPvRmT1_PNSt15iterator_traitsISK_E10value_typeET2_T3_PNSL_ISQ_E10value_typeET4_jRbjT5_SW_jjP12ihipStream_tbEUlT_E_NS1_11comp_targetILNS1_3genE2ELNS1_11target_archE906ELNS1_3gpuE6ELNS1_3repE0EEENS1_30default_config_static_selectorELNS0_4arch9wavefront6targetE0EEEvSK_.numbered_sgpr, 0
	.set _ZN7rocprim17ROCPRIM_400000_NS6detail17trampoline_kernelINS0_14default_configENS1_36segmented_radix_sort_config_selectorIalEEZNS1_25segmented_radix_sort_implIS3_Lb0EPKaPaPKlPlN2at6native12_GLOBAL__N_18offset_tEEE10hipError_tPvRmT1_PNSt15iterator_traitsISK_E10value_typeET2_T3_PNSL_ISQ_E10value_typeET4_jRbjT5_SW_jjP12ihipStream_tbEUlT_E_NS1_11comp_targetILNS1_3genE2ELNS1_11target_archE906ELNS1_3gpuE6ELNS1_3repE0EEENS1_30default_config_static_selectorELNS0_4arch9wavefront6targetE0EEEvSK_.num_named_barrier, 0
	.set _ZN7rocprim17ROCPRIM_400000_NS6detail17trampoline_kernelINS0_14default_configENS1_36segmented_radix_sort_config_selectorIalEEZNS1_25segmented_radix_sort_implIS3_Lb0EPKaPaPKlPlN2at6native12_GLOBAL__N_18offset_tEEE10hipError_tPvRmT1_PNSt15iterator_traitsISK_E10value_typeET2_T3_PNSL_ISQ_E10value_typeET4_jRbjT5_SW_jjP12ihipStream_tbEUlT_E_NS1_11comp_targetILNS1_3genE2ELNS1_11target_archE906ELNS1_3gpuE6ELNS1_3repE0EEENS1_30default_config_static_selectorELNS0_4arch9wavefront6targetE0EEEvSK_.private_seg_size, 0
	.set _ZN7rocprim17ROCPRIM_400000_NS6detail17trampoline_kernelINS0_14default_configENS1_36segmented_radix_sort_config_selectorIalEEZNS1_25segmented_radix_sort_implIS3_Lb0EPKaPaPKlPlN2at6native12_GLOBAL__N_18offset_tEEE10hipError_tPvRmT1_PNSt15iterator_traitsISK_E10value_typeET2_T3_PNSL_ISQ_E10value_typeET4_jRbjT5_SW_jjP12ihipStream_tbEUlT_E_NS1_11comp_targetILNS1_3genE2ELNS1_11target_archE906ELNS1_3gpuE6ELNS1_3repE0EEENS1_30default_config_static_selectorELNS0_4arch9wavefront6targetE0EEEvSK_.uses_vcc, 0
	.set _ZN7rocprim17ROCPRIM_400000_NS6detail17trampoline_kernelINS0_14default_configENS1_36segmented_radix_sort_config_selectorIalEEZNS1_25segmented_radix_sort_implIS3_Lb0EPKaPaPKlPlN2at6native12_GLOBAL__N_18offset_tEEE10hipError_tPvRmT1_PNSt15iterator_traitsISK_E10value_typeET2_T3_PNSL_ISQ_E10value_typeET4_jRbjT5_SW_jjP12ihipStream_tbEUlT_E_NS1_11comp_targetILNS1_3genE2ELNS1_11target_archE906ELNS1_3gpuE6ELNS1_3repE0EEENS1_30default_config_static_selectorELNS0_4arch9wavefront6targetE0EEEvSK_.uses_flat_scratch, 0
	.set _ZN7rocprim17ROCPRIM_400000_NS6detail17trampoline_kernelINS0_14default_configENS1_36segmented_radix_sort_config_selectorIalEEZNS1_25segmented_radix_sort_implIS3_Lb0EPKaPaPKlPlN2at6native12_GLOBAL__N_18offset_tEEE10hipError_tPvRmT1_PNSt15iterator_traitsISK_E10value_typeET2_T3_PNSL_ISQ_E10value_typeET4_jRbjT5_SW_jjP12ihipStream_tbEUlT_E_NS1_11comp_targetILNS1_3genE2ELNS1_11target_archE906ELNS1_3gpuE6ELNS1_3repE0EEENS1_30default_config_static_selectorELNS0_4arch9wavefront6targetE0EEEvSK_.has_dyn_sized_stack, 0
	.set _ZN7rocprim17ROCPRIM_400000_NS6detail17trampoline_kernelINS0_14default_configENS1_36segmented_radix_sort_config_selectorIalEEZNS1_25segmented_radix_sort_implIS3_Lb0EPKaPaPKlPlN2at6native12_GLOBAL__N_18offset_tEEE10hipError_tPvRmT1_PNSt15iterator_traitsISK_E10value_typeET2_T3_PNSL_ISQ_E10value_typeET4_jRbjT5_SW_jjP12ihipStream_tbEUlT_E_NS1_11comp_targetILNS1_3genE2ELNS1_11target_archE906ELNS1_3gpuE6ELNS1_3repE0EEENS1_30default_config_static_selectorELNS0_4arch9wavefront6targetE0EEEvSK_.has_recursion, 0
	.set _ZN7rocprim17ROCPRIM_400000_NS6detail17trampoline_kernelINS0_14default_configENS1_36segmented_radix_sort_config_selectorIalEEZNS1_25segmented_radix_sort_implIS3_Lb0EPKaPaPKlPlN2at6native12_GLOBAL__N_18offset_tEEE10hipError_tPvRmT1_PNSt15iterator_traitsISK_E10value_typeET2_T3_PNSL_ISQ_E10value_typeET4_jRbjT5_SW_jjP12ihipStream_tbEUlT_E_NS1_11comp_targetILNS1_3genE2ELNS1_11target_archE906ELNS1_3gpuE6ELNS1_3repE0EEENS1_30default_config_static_selectorELNS0_4arch9wavefront6targetE0EEEvSK_.has_indirect_call, 0
	.section	.AMDGPU.csdata,"",@progbits
; Kernel info:
; codeLenInByte = 0
; TotalNumSgprs: 0
; NumVgprs: 0
; ScratchSize: 0
; MemoryBound: 0
; FloatMode: 240
; IeeeMode: 1
; LDSByteSize: 0 bytes/workgroup (compile time only)
; SGPRBlocks: 0
; VGPRBlocks: 0
; NumSGPRsForWavesPerEU: 1
; NumVGPRsForWavesPerEU: 1
; Occupancy: 16
; WaveLimiterHint : 0
; COMPUTE_PGM_RSRC2:SCRATCH_EN: 0
; COMPUTE_PGM_RSRC2:USER_SGPR: 2
; COMPUTE_PGM_RSRC2:TRAP_HANDLER: 0
; COMPUTE_PGM_RSRC2:TGID_X_EN: 1
; COMPUTE_PGM_RSRC2:TGID_Y_EN: 0
; COMPUTE_PGM_RSRC2:TGID_Z_EN: 0
; COMPUTE_PGM_RSRC2:TIDIG_COMP_CNT: 0
	.text
	.p2align	2                               ; -- Begin function _ZN7rocprim17ROCPRIM_400000_NS6detail40segmented_radix_sort_single_block_helperIalLj256ELj8ELb0EE4sortIPKaPaPKlPlEEbT_T0_T1_T2_jjjjRNS3_12storage_typeE
	.type	_ZN7rocprim17ROCPRIM_400000_NS6detail40segmented_radix_sort_single_block_helperIalLj256ELj8ELb0EE4sortIPKaPaPKlPlEEbT_T0_T1_T2_jjjjRNS3_12storage_typeE,@function
_ZN7rocprim17ROCPRIM_400000_NS6detail40segmented_radix_sort_single_block_helperIalLj256ELj8ELb0EE4sortIPKaPaPKlPlEEbT_T0_T1_T2_jjjjRNS3_12storage_typeE: ; @_ZN7rocprim17ROCPRIM_400000_NS6detail40segmented_radix_sort_single_block_helperIalLj256ELj8ELb0EE4sortIPKaPaPKlPlEEbT_T0_T1_T2_jjjjRNS3_12storage_typeE
; %bb.0:
	s_wait_loadcnt_dscnt 0x0
	s_wait_expcnt 0x0
	s_wait_samplecnt 0x0
	s_wait_bvhcnt 0x0
	s_wait_kmcnt 0x0
	v_sub_nc_u32_e32 v98, v9, v8
	s_mov_b32 s16, exec_lo
	s_delay_alu instid0(VALU_DEP_1)
	v_cmpx_gt_u32_e32 0x801, v98
	s_cbranch_execz .LBB398_199
; %bb.1:
	v_bfe_u32 v9, v31, 10, 10
	v_bfe_u32 v15, v31, 20, 10
	v_and_b32_e32 v14, 0x3ff, v31
	v_mbcnt_lo_u32_b32 v30, -1, 0
	s_mov_b32 s0, exec_lo
	v_cmpx_lt_u32_e32 0x400, v98
	s_wait_alu 0xfffe
	s_xor_b32 s17, exec_lo, s0
	s_cbranch_execz .LBB398_79
; %bb.2:
	s_load_b64 s[0:1], s[8:9], 0x0
	s_and_b32 s2, ttmp7, 0xffff
	s_mov_b32 s3, 0
	v_add_co_u32 v0, vcc_lo, v0, v8
	s_wait_alu 0xfffd
	v_add_co_ci_u32_e64 v1, null, 0, v1, vcc_lo
	v_dual_mov_b32 v21, 0x7f :: v_dual_mov_b32 v20, 0x7f
	s_delay_alu instid0(VALU_DEP_3) | instskip(SKIP_1) | instid1(VALU_DEP_3)
	v_add_co_u32 v0, vcc_lo, v0, v30
	s_wait_alu 0xfffd
	v_add_co_ci_u32_e64 v1, null, 0, v1, vcc_lo
	v_dual_mov_b32 v17, 0x7f :: v_dual_mov_b32 v22, 0x7f
	v_dual_mov_b32 v23, 0x7f :: v_dual_mov_b32 v18, 0x7f
	v_mov_b32_e32 v24, 0x7f
	s_wait_kmcnt 0x0
	s_wait_alu 0xfffe
	s_cmp_lt_u32 s2, s1
	s_cselect_b32 s2, 14, 20
	s_cmp_lt_u32 ttmp9, s0
	s_wait_alu 0xfffe
	s_add_nc_u64 s[4:5], s[8:9], s[2:3]
	s_cselect_b32 s2, 12, 18
	s_load_u16 s4, s[4:5], 0x0
	s_add_nc_u64 s[0:1], s[8:9], s[2:3]
	s_load_u16 s0, s[0:1], 0x0
	s_wait_kmcnt 0x0
	v_mad_u32_u24 v15, v15, s4, v9
	v_mov_b32_e32 v9, 0
	v_mov_b32_e32 v19, 0x7f
	s_delay_alu instid0(VALU_DEP_3) | instskip(NEXT) | instid1(VALU_DEP_1)
	v_mad_co_u64_u32 v[25:26], null, v15, s0, v[14:15]
	v_dual_mov_b32 v16, v9 :: v_dual_lshlrev_b32 v15, 3, v25
	s_delay_alu instid0(VALU_DEP_1) | instskip(NEXT) | instid1(VALU_DEP_1)
	v_and_b32_e32 v15, 0xffffff00, v15
	v_or_b32_e32 v26, v15, v30
	v_add_co_u32 v0, vcc_lo, v0, v15
	s_wait_alu 0xfffd
	v_add_co_ci_u32_e64 v1, null, 0, v1, vcc_lo
	s_delay_alu instid0(VALU_DEP_3)
	v_cmp_lt_u32_e32 vcc_lo, v26, v98
	s_and_saveexec_b32 s0, vcc_lo
	s_cbranch_execz .LBB398_4
; %bb.3:
	flat_load_u8 v17, v[0:1]
	v_dual_mov_b32 v21, 0x7f :: v_dual_mov_b32 v18, 0x7f
	v_dual_mov_b32 v19, 0x7f :: v_dual_mov_b32 v20, 0x7f
	;; [unrolled: 1-line block ×3, first 2 shown]
	v_mov_b32_e32 v24, 0x7f
.LBB398_4:
	s_wait_alu 0xfffe
	s_or_b32 exec_lo, exec_lo, s0
	v_or_b32_e32 v27, 32, v26
	s_delay_alu instid0(VALU_DEP_1)
	v_cmp_lt_u32_e64 s0, v27, v98
	s_and_saveexec_b32 s1, s0
	s_cbranch_execz .LBB398_6
; %bb.5:
	flat_load_u8 v19, v[0:1] offset:32
.LBB398_6:
	s_wait_alu 0xfffe
	s_or_b32 exec_lo, exec_lo, s1
	v_or_b32_e32 v27, 64, v26
	s_delay_alu instid0(VALU_DEP_1)
	v_cmp_lt_u32_e64 s1, v27, v98
	s_and_saveexec_b32 s2, s1
	s_cbranch_execz .LBB398_8
; %bb.7:
	flat_load_u8 v18, v[0:1] offset:64
.LBB398_8:
	;; [unrolled: 10-line block ×7, first 2 shown]
	s_wait_alu 0xfffe
	s_or_b32 exec_lo, exec_lo, s7
	v_lshlrev_b64_e32 v[0:1], 3, v[8:9]
	v_lshlrev_b32_e32 v9, 3, v30
                                        ; implicit-def: $vgpr32_vgpr33
	s_delay_alu instid0(VALU_DEP_2) | instskip(SKIP_1) | instid1(VALU_DEP_3)
	v_add_co_u32 v26, s7, v4, v0
	s_wait_alu 0xf1ff
	v_add_co_ci_u32_e64 v27, null, v5, v1, s7
	v_lshlrev_b64_e32 v[4:5], 3, v[15:16]
	s_delay_alu instid0(VALU_DEP_3) | instskip(SKIP_1) | instid1(VALU_DEP_3)
	v_add_co_u32 v9, s7, v26, v9
	s_wait_alu 0xf1ff
	v_add_co_ci_u32_e64 v15, null, 0, v27, s7
	s_delay_alu instid0(VALU_DEP_2) | instskip(SKIP_1) | instid1(VALU_DEP_2)
	v_add_co_u32 v4, s7, v9, v4
	s_wait_alu 0xf1ff
	v_add_co_ci_u32_e64 v5, null, v15, v5, s7
	s_and_saveexec_b32 s7, vcc_lo
	s_cbranch_execnz .LBB398_112
; %bb.19:
	s_wait_alu 0xfffe
	s_or_b32 exec_lo, exec_lo, s7
                                        ; implicit-def: $vgpr36_vgpr37
	s_and_saveexec_b32 s7, s0
	s_cbranch_execnz .LBB398_113
.LBB398_20:
	s_wait_alu 0xfffe
	s_or_b32 exec_lo, exec_lo, s7
                                        ; implicit-def: $vgpr38_vgpr39
	s_and_saveexec_b32 s0, s1
	s_cbranch_execnz .LBB398_114
.LBB398_21:
	s_wait_alu 0xfffe
	s_or_b32 exec_lo, exec_lo, s0
                                        ; implicit-def: $vgpr48_vgpr49
	s_and_saveexec_b32 s0, s2
	s_cbranch_execnz .LBB398_115
.LBB398_22:
	s_wait_alu 0xfffe
	s_or_b32 exec_lo, exec_lo, s0
                                        ; implicit-def: $vgpr50_vgpr51
	s_and_saveexec_b32 s0, s3
	s_cbranch_execnz .LBB398_116
.LBB398_23:
	s_wait_alu 0xfffe
	s_or_b32 exec_lo, exec_lo, s0
                                        ; implicit-def: $vgpr52_vgpr53
	s_and_saveexec_b32 s0, s4
	s_cbranch_execnz .LBB398_117
.LBB398_24:
	s_wait_alu 0xfffe
	s_or_b32 exec_lo, exec_lo, s0
                                        ; implicit-def: $vgpr54_vgpr55
	s_and_saveexec_b32 s0, s5
	s_cbranch_execnz .LBB398_118
.LBB398_25:
	s_wait_alu 0xfffe
	s_or_b32 exec_lo, exec_lo, s0
                                        ; implicit-def: $vgpr34_vgpr35
	s_and_saveexec_b32 s0, s6
	s_cbranch_execz .LBB398_27
.LBB398_26:
	flat_load_b64 v[34:35], v[4:5] offset:1792
.LBB398_27:
	s_wait_alu 0xfffe
	s_or_b32 exec_lo, exec_lo, s0
	s_wait_loadcnt_dscnt 0x0
	v_xor_b32_e32 v4, 0x80, v21
	v_xor_b32_e32 v9, 0x80, v19
	v_lshl_add_u32 v21, v14, 5, v12
	v_xor_b32_e32 v5, 0x80, v23
	v_xor_b32_e32 v19, 0x80, v20
	v_lshlrev_b16 v4, 8, v4
	v_lshlrev_b16 v20, 8, v9
	v_add_nc_u32_e32 v9, 32, v21
	v_add_nc_u32_e32 v99, 36, v21
	;; [unrolled: 1-line block ×8, first 2 shown]
	v_and_b32_e32 v21, 0x3e0, v14
	v_lshlrev_b16 v5, 8, v5
	v_and_b32_e32 v23, 15, v30
	v_sub_co_u32 v26, s2, v30, 1
	s_delay_alu instid0(VALU_DEP_4)
	v_min_u32_e32 v21, 0xe0, v21
	s_getpc_b64 s[0:1]
	s_wait_alu 0xfffe
	s_sext_i32_i16 s1, s1
	s_add_co_u32 s0, s0, _ZN7rocprim17ROCPRIM_400000_NS16block_radix_sortIaLj256ELj8ElLj1ELj1ELj8ELNS0_26block_radix_rank_algorithmE2ELNS0_18block_padding_hintE2ELNS0_4arch9wavefront6targetE0EE19radix_bits_per_passE@rel32@lo+12
	s_wait_alu 0xfffe
	s_add_co_ci_u32 s1, s1, _ZN7rocprim17ROCPRIM_400000_NS16block_radix_sortIaLj256ELj8ElLj1ELj1ELj8ELNS0_26block_radix_rank_algorithmE2ELNS0_18block_padding_hintE2ELNS0_4arch9wavefront6targetE0EE19radix_bits_per_passE@rel32@hi+24
	v_xor_b32_e32 v15, 0x80, v24
	v_xor_b32_e32 v16, 0x80, v22
	v_lshrrev_b32_e32 v4, 8, v4
	v_lshrrev_b32_e32 v5, 8, v5
	v_xor_b32_e32 v17, 0x80, v17
	s_load_b32 s18, s[0:1], 0x0
	v_dual_mov_b32 v117, 0 :: v_dual_lshlrev_b32 v22, 3, v14
	v_cmp_eq_u32_e32 vcc_lo, 0, v23
	v_cmp_lt_u32_e64 s0, 1, v23
	v_cmp_lt_u32_e64 s1, 3, v23
	v_and_b32_e32 v24, 16, v30
	v_cmp_lt_u32_e64 s3, 7, v23
	v_or_b32_e32 v21, 31, v21
	v_lshrrev_b32_e32 v23, 3, v14
	v_cmp_gt_i32_e64 s5, 0, v26
	v_lshrrev_b32_e32 v20, 8, v20
	v_cmp_eq_u32_e64 s4, 0, v24
	v_and_or_b32 v22, 0x1f00, v22, v30
	v_and_b32_e32 v17, 0xff, v17
	s_wait_alu 0xf1ff
	v_cndmask_b32_e64 v24, v26, v30, s5
	v_cmp_eq_u32_e64 s5, v14, v21
	v_and_b32_e32 v21, 0x7c, v23
	v_lshlrev_b16 v20, 8, v20
	v_and_b32_e32 v16, 0xff, v16
	v_lshlrev_b16 v5, 8, v5
	;; [unrolled: 2-line block ×3, first 2 shown]
	v_lshlrev_b16 v19, 8, v19
	v_xor_b32_e32 v18, 0x80, v18
	v_add_nc_u32_e32 v116, v12, v21
	v_add_nc_u32_e32 v119, v12, v22
	v_mul_u32_u24_e32 v21, 7, v22
	v_or_b32_e32 v17, v17, v20
	v_or_b32_e32 v5, v16, v5
	;; [unrolled: 1-line block ×3, first 2 shown]
	v_and_b32_e32 v23, 7, v30
	v_add_nc_u32_e32 v133, v119, v21
	v_perm_b32 v15, v18, v19, 0xc0c0104
	v_and_b32_e32 v16, 0xffff, v17
	v_and_b32_e32 v5, 0xffff, v5
	v_lshlrev_b32_e32 v4, 16, v4
	v_lshrrev_b32_e32 v114, 5, v25
	v_cmp_gt_u32_e64 s6, 8, v14
	v_cmp_lt_u32_e64 s7, 31, v14
	v_lshlrev_b32_e32 v115, 2, v24
	v_cmp_eq_u32_e64 s10, 0, v14
	v_lshl_add_u32 v118, v14, 2, v12
	v_cmp_eq_u32_e64 s11, 0, v23
	v_cmp_lt_u32_e64 s12, 1, v23
	v_cmp_lt_u32_e64 s13, 3, v23
	v_add_nc_u32_e32 v128, -4, v116
	v_add_nc_u32_e32 v129, 32, v119
	v_add_nc_u32_e32 v130, 64, v119
	;; [unrolled: 1-line block ×14, first 2 shown]
	v_lshl_or_b32 v19, v15, 16, v16
	v_or_b32_e32 v97, v5, v4
	v_sub_nc_u32_e32 v160, v11, v10
	s_mov_b32 s19, 0
	s_wait_storecnt 0x0
	s_barrier_signal -1
	s_barrier_wait -1
	global_inv scope:SCOPE_SE
	s_branch .LBB398_29
.LBB398_28:                             ;   in Loop: Header=BB398_29 Depth=1
	s_wait_alu 0xfffe
	s_or_b32 exec_lo, exec_lo, s15
	s_delay_alu instid0(SALU_CYCLE_1)
	s_and_b32 s14, exec_lo, s20
	s_wait_alu 0xfffe
	s_or_b32 s19, s14, s19
	s_wait_alu 0xfffe
	s_and_not1_b32 exec_lo, exec_lo, s19
	s_cbranch_execz .LBB398_53
.LBB398_29:                             ; =>This Inner Loop Header: Depth=1
	s_wait_kmcnt 0x0
	v_min_u32_e32 v4, s18, v160
	v_dual_mov_b32 v28, v32 :: v_dual_and_b32 v5, 0xff, v19
	v_mov_b32_e32 v23, v36
	v_dual_mov_b32 v29, v33 :: v_dual_mov_b32 v24, v37
	s_delay_alu instid0(VALU_DEP_4) | instskip(NEXT) | instid1(VALU_DEP_4)
	v_lshlrev_b32_e64 v4, v4, -1
	v_lshrrev_b32_e32 v5, v10, v5
	v_dual_mov_b32 v26, v48 :: v_dual_mov_b32 v27, v49
	v_dual_mov_b32 v17, v50 :: v_dual_mov_b32 v18, v51
	s_delay_alu instid0(VALU_DEP_4) | instskip(SKIP_2) | instid1(VALU_DEP_3)
	v_not_b32_e32 v64, v4
	v_dual_mov_b32 v21, v38 :: v_dual_mov_b32 v22, v39
	v_dual_mov_b32 v15, v52 :: v_dual_mov_b32 v16, v53
	v_and_b32_e32 v20, v5, v64
	v_dual_mov_b32 v4, v54 :: v_dual_mov_b32 v5, v55
	ds_store_b32 v9, v117
	ds_store_b32 v99, v117
	;; [unrolled: 1-line block ×5, first 2 shown]
	v_and_b32_e32 v30, 1, v20
	v_lshlrev_b32_e32 v31, 30, v20
	v_lshlrev_b32_e32 v32, 29, v20
	;; [unrolled: 1-line block ×4, first 2 shown]
	v_add_co_u32 v30, s14, v30, -1
	s_wait_alu 0xf1ff
	v_cndmask_b32_e64 v36, 0, 1, s14
	v_not_b32_e32 v48, v31
	v_cmp_gt_i32_e64 s15, 0, v31
	v_not_b32_e32 v31, v32
	v_lshlrev_b32_e32 v38, 26, v20
	v_cmp_ne_u32_e64 s14, 0, v36
	v_ashrrev_i32_e32 v48, 31, v48
	v_lshlrev_b32_e32 v39, 25, v20
	v_ashrrev_i32_e32 v31, 31, v31
	v_lshlrev_b32_e32 v36, 24, v20
	s_wait_alu 0xf1ff
	v_xor_b32_e32 v30, s14, v30
	v_cmp_gt_i32_e64 s14, 0, v32
	v_not_b32_e32 v32, v33
	v_xor_b32_e32 v48, s15, v48
	v_cmp_gt_i32_e64 s15, 0, v33
	v_and_b32_e32 v30, exec_lo, v30
	v_not_b32_e32 v33, v37
	v_ashrrev_i32_e32 v32, 31, v32
	s_wait_alu 0xf1ff
	v_xor_b32_e32 v31, s14, v31
	v_cmp_gt_i32_e64 s14, 0, v37
	v_and_b32_e32 v30, v30, v48
	v_not_b32_e32 v37, v38
	v_ashrrev_i32_e32 v33, 31, v33
	v_xor_b32_e32 v32, s15, v32
	v_cmp_gt_i32_e64 s15, 0, v38
	v_and_b32_e32 v30, v30, v31
	v_not_b32_e32 v31, v39
	v_ashrrev_i32_e32 v37, 31, v37
	s_wait_alu 0xf1ff
	v_xor_b32_e32 v33, s14, v33
	v_cmp_gt_i32_e64 s14, 0, v39
	v_and_b32_e32 v30, v30, v32
	v_not_b32_e32 v32, v36
	v_ashrrev_i32_e32 v38, 31, v31
	v_xor_b32_e32 v37, s15, v37
	v_cmp_gt_i32_e64 s15, 0, v36
	v_and_b32_e32 v33, v30, v33
	v_dual_mov_b32 v30, v34 :: v_dual_mov_b32 v31, v35
	v_ashrrev_i32_e32 v32, 31, v32
	s_wait_alu 0xf1ff
	v_xor_b32_e32 v34, s14, v38
	v_and_b32_e32 v33, v33, v37
	ds_store_b32 v103, v117
	ds_store_b32 v112, v117
	;; [unrolled: 1-line block ×3, first 2 shown]
	v_xor_b32_e32 v32, s15, v32
	s_wait_loadcnt_dscnt 0x0
	v_and_b32_e32 v33, v33, v34
	v_lshlrev_b32_e32 v34, 3, v20
	s_barrier_signal -1
	s_barrier_wait -1
	global_inv scope:SCOPE_SE
	v_and_b32_e32 v20, v33, v32
	v_add_lshl_u32 v33, v34, v114, 2
	; wave barrier
	s_delay_alu instid0(VALU_DEP_2) | instskip(NEXT) | instid1(VALU_DEP_2)
	v_mbcnt_lo_u32_b32 v32, v20, 0
	v_add_co_u32 v33, null, v12, v33
	v_cmp_ne_u32_e64 s15, 0, v20
	s_delay_alu instid0(VALU_DEP_3) | instskip(NEXT) | instid1(VALU_DEP_3)
	v_cmp_eq_u32_e64 s14, 0, v32
	v_add_co_u32 v33, null, v33, 32
	s_and_b32 s15, s15, s14
	s_wait_alu 0xfffe
	s_and_saveexec_b32 s14, s15
; %bb.30:                               ;   in Loop: Header=BB398_29 Depth=1
	v_bcnt_u32_b32 v20, v20, 0
	ds_store_b32 v33, v20
; %bb.31:                               ;   in Loop: Header=BB398_29 Depth=1
	s_wait_alu 0xfffe
	s_or_b32 exec_lo, exec_lo, s14
	v_bfe_u32 v20, v19, 8, 8
	; wave barrier
	s_delay_alu instid0(VALU_DEP_1) | instskip(NEXT) | instid1(VALU_DEP_1)
	v_lshrrev_b32_e32 v20, v10, v20
	v_and_b32_e32 v20, v20, v64
	s_delay_alu instid0(VALU_DEP_1)
	v_and_b32_e32 v34, 1, v20
	v_lshlrev_b32_e32 v35, 30, v20
	v_lshlrev_b32_e32 v36, 29, v20
	v_lshlrev_b32_e32 v37, 28, v20
	v_lshlrev_b32_e32 v39, 27, v20
	v_add_co_u32 v34, s14, v34, -1
	s_wait_alu 0xf1ff
	v_cndmask_b32_e64 v38, 0, 1, s14
	v_not_b32_e32 v50, v35
	v_cmp_gt_i32_e64 s15, 0, v35
	v_not_b32_e32 v35, v36
	v_lshlrev_b32_e32 v48, 26, v20
	v_cmp_ne_u32_e64 s14, 0, v38
	v_ashrrev_i32_e32 v50, 31, v50
	v_lshlrev_b32_e32 v49, 25, v20
	v_ashrrev_i32_e32 v35, 31, v35
	v_lshlrev_b32_e32 v38, 24, v20
	s_wait_alu 0xf1ff
	v_xor_b32_e32 v34, s14, v34
	v_cmp_gt_i32_e64 s14, 0, v36
	v_not_b32_e32 v36, v37
	v_xor_b32_e32 v50, s15, v50
	v_cmp_gt_i32_e64 s15, 0, v37
	v_and_b32_e32 v34, exec_lo, v34
	v_not_b32_e32 v37, v39
	v_ashrrev_i32_e32 v36, 31, v36
	s_wait_alu 0xf1ff
	v_xor_b32_e32 v35, s14, v35
	v_cmp_gt_i32_e64 s14, 0, v39
	v_and_b32_e32 v34, v34, v50
	v_not_b32_e32 v39, v48
	v_ashrrev_i32_e32 v37, 31, v37
	v_xor_b32_e32 v36, s15, v36
	v_cmp_gt_i32_e64 s15, 0, v48
	v_and_b32_e32 v34, v34, v35
	v_not_b32_e32 v35, v49
	v_ashrrev_i32_e32 v39, 31, v39
	s_wait_alu 0xf1ff
	v_xor_b32_e32 v37, s14, v37
	v_cmp_gt_i32_e64 s14, 0, v49
	v_and_b32_e32 v34, v34, v36
	v_not_b32_e32 v36, v38
	v_ashrrev_i32_e32 v35, 31, v35
	v_xor_b32_e32 v39, s15, v39
	v_lshl_add_u32 v20, v20, 3, v114
	v_and_b32_e32 v34, v34, v37
	v_cmp_gt_i32_e64 s15, 0, v38
	v_ashrrev_i32_e32 v36, 31, v36
	s_wait_alu 0xf1ff
	v_xor_b32_e32 v35, s14, v35
	v_lshl_add_u32 v38, v20, 2, v12
	v_and_b32_e32 v34, v34, v39
	v_xor_b32_e32 v20, s15, v36
	s_delay_alu instid0(VALU_DEP_3) | instskip(NEXT) | instid1(VALU_DEP_3)
	v_add_nc_u32_e32 v36, 32, v38
	v_and_b32_e32 v35, v34, v35
	ds_load_b32 v34, v38 offset:32
	; wave barrier
	v_dual_mov_b32 v20, v97 :: v_dual_and_b32 v37, v35, v20
	s_delay_alu instid0(VALU_DEP_1) | instskip(SKIP_1) | instid1(VALU_DEP_2)
	v_mbcnt_lo_u32_b32 v35, v37, 0
	v_cmp_ne_u32_e64 s15, 0, v37
	v_cmp_eq_u32_e64 s14, 0, v35
	s_and_b32 s15, s15, s14
	s_wait_alu 0xfffe
	s_and_saveexec_b32 s14, s15
	s_cbranch_execz .LBB398_33
; %bb.32:                               ;   in Loop: Header=BB398_29 Depth=1
	s_wait_dscnt 0x0
	v_bcnt_u32_b32 v37, v37, v34
	ds_store_b32 v36, v37
.LBB398_33:                             ;   in Loop: Header=BB398_29 Depth=1
	s_wait_alu 0xfffe
	s_or_b32 exec_lo, exec_lo, s14
	v_bfe_u32 v37, v19, 16, 8
	; wave barrier
	s_delay_alu instid0(VALU_DEP_1) | instskip(NEXT) | instid1(VALU_DEP_1)
	v_lshrrev_b32_e32 v37, v10, v37
	v_and_b32_e32 v37, v37, v64
	s_delay_alu instid0(VALU_DEP_1)
	v_and_b32_e32 v38, 1, v37
	v_lshlrev_b32_e32 v39, 30, v37
	v_lshlrev_b32_e32 v48, 29, v37
	;; [unrolled: 1-line block ×4, first 2 shown]
	v_add_co_u32 v38, s14, v38, -1
	s_wait_alu 0xf1ff
	v_cndmask_b32_e64 v50, 0, 1, s14
	v_not_b32_e32 v54, v39
	v_cmp_gt_i32_e64 s15, 0, v39
	v_not_b32_e32 v39, v48
	v_lshlrev_b32_e32 v52, 26, v37
	v_cmp_ne_u32_e64 s14, 0, v50
	v_ashrrev_i32_e32 v54, 31, v54
	v_lshlrev_b32_e32 v53, 25, v37
	v_ashrrev_i32_e32 v39, 31, v39
	v_lshlrev_b32_e32 v50, 24, v37
	s_wait_alu 0xf1ff
	v_xor_b32_e32 v38, s14, v38
	v_cmp_gt_i32_e64 s14, 0, v48
	v_not_b32_e32 v48, v49
	v_xor_b32_e32 v54, s15, v54
	v_cmp_gt_i32_e64 s15, 0, v49
	v_and_b32_e32 v38, exec_lo, v38
	v_not_b32_e32 v49, v51
	v_ashrrev_i32_e32 v48, 31, v48
	s_wait_alu 0xf1ff
	v_xor_b32_e32 v39, s14, v39
	v_cmp_gt_i32_e64 s14, 0, v51
	v_and_b32_e32 v38, v38, v54
	v_not_b32_e32 v51, v52
	v_ashrrev_i32_e32 v49, 31, v49
	v_xor_b32_e32 v48, s15, v48
	v_cmp_gt_i32_e64 s15, 0, v52
	v_and_b32_e32 v38, v38, v39
	v_not_b32_e32 v39, v53
	v_ashrrev_i32_e32 v51, 31, v51
	s_wait_alu 0xf1ff
	v_xor_b32_e32 v49, s14, v49
	v_cmp_gt_i32_e64 s14, 0, v53
	v_and_b32_e32 v38, v38, v48
	v_not_b32_e32 v48, v50
	v_ashrrev_i32_e32 v39, 31, v39
	v_xor_b32_e32 v51, s15, v51
	v_lshl_add_u32 v37, v37, 3, v114
	v_and_b32_e32 v38, v38, v49
	v_cmp_gt_i32_e64 s15, 0, v50
	v_ashrrev_i32_e32 v48, 31, v48
	s_wait_alu 0xf1ff
	v_xor_b32_e32 v39, s14, v39
	v_lshl_add_u32 v49, v37, 2, v12
	v_and_b32_e32 v38, v38, v51
	v_xor_b32_e32 v48, s15, v48
	ds_load_b32 v37, v49 offset:32
	v_and_b32_e32 v38, v38, v39
	v_add_nc_u32_e32 v39, 32, v49
	; wave barrier
	s_delay_alu instid0(VALU_DEP_2) | instskip(NEXT) | instid1(VALU_DEP_1)
	v_and_b32_e32 v48, v38, v48
	v_mbcnt_lo_u32_b32 v38, v48, 0
	v_cmp_ne_u32_e64 s15, 0, v48
	s_delay_alu instid0(VALU_DEP_2)
	v_cmp_eq_u32_e64 s14, 0, v38
	s_and_b32 s15, s15, s14
	s_wait_alu 0xfffe
	s_and_saveexec_b32 s14, s15
	s_cbranch_execz .LBB398_35
; %bb.34:                               ;   in Loop: Header=BB398_29 Depth=1
	s_wait_dscnt 0x0
	v_bcnt_u32_b32 v48, v48, v37
	ds_store_b32 v39, v48
.LBB398_35:                             ;   in Loop: Header=BB398_29 Depth=1
	s_wait_alu 0xfffe
	s_or_b32 exec_lo, exec_lo, s14
	v_alignbit_b32 v48, v20, v19, 24
	; wave barrier
	s_delay_alu instid0(VALU_DEP_1) | instskip(NEXT) | instid1(VALU_DEP_1)
	v_and_b32_e32 v48, 0xff, v48
	v_lshrrev_b32_e32 v48, v10, v48
	s_delay_alu instid0(VALU_DEP_1) | instskip(NEXT) | instid1(VALU_DEP_1)
	v_and_b32_e32 v48, v48, v64
	v_and_b32_e32 v49, 1, v48
	v_lshlrev_b32_e32 v50, 30, v48
	v_lshlrev_b32_e32 v51, 29, v48
	;; [unrolled: 1-line block ×4, first 2 shown]
	v_add_co_u32 v49, s14, v49, -1
	s_wait_alu 0xf1ff
	v_cndmask_b32_e64 v53, 0, 1, s14
	v_not_b32_e32 v66, v50
	v_cmp_gt_i32_e64 s15, 0, v50
	v_not_b32_e32 v50, v51
	v_lshlrev_b32_e32 v55, 26, v48
	v_cmp_ne_u32_e64 s14, 0, v53
	v_ashrrev_i32_e32 v66, 31, v66
	v_lshlrev_b32_e32 v65, 25, v48
	v_ashrrev_i32_e32 v50, 31, v50
	v_lshlrev_b32_e32 v53, 24, v48
	s_wait_alu 0xf1ff
	v_xor_b32_e32 v49, s14, v49
	v_cmp_gt_i32_e64 s14, 0, v51
	v_not_b32_e32 v51, v52
	v_xor_b32_e32 v66, s15, v66
	v_cmp_gt_i32_e64 s15, 0, v52
	v_and_b32_e32 v49, exec_lo, v49
	v_not_b32_e32 v52, v54
	v_ashrrev_i32_e32 v51, 31, v51
	s_wait_alu 0xf1ff
	v_xor_b32_e32 v50, s14, v50
	v_cmp_gt_i32_e64 s14, 0, v54
	v_and_b32_e32 v49, v49, v66
	v_not_b32_e32 v54, v55
	v_ashrrev_i32_e32 v52, 31, v52
	v_xor_b32_e32 v51, s15, v51
	v_cmp_gt_i32_e64 s15, 0, v55
	v_and_b32_e32 v49, v49, v50
	v_not_b32_e32 v50, v65
	v_ashrrev_i32_e32 v54, 31, v54
	s_wait_alu 0xf1ff
	v_xor_b32_e32 v52, s14, v52
	v_cmp_gt_i32_e64 s14, 0, v65
	v_and_b32_e32 v49, v49, v51
	v_not_b32_e32 v51, v53
	v_ashrrev_i32_e32 v50, 31, v50
	v_xor_b32_e32 v54, s15, v54
	v_lshl_add_u32 v48, v48, 3, v114
	v_and_b32_e32 v49, v49, v52
	v_cmp_gt_i32_e64 s15, 0, v53
	v_ashrrev_i32_e32 v51, 31, v51
	s_wait_alu 0xf1ff
	v_xor_b32_e32 v50, s14, v50
	v_lshl_add_u32 v52, v48, 2, v12
	v_and_b32_e32 v49, v49, v54
	v_xor_b32_e32 v51, s15, v51
	ds_load_b32 v48, v52 offset:32
	v_and_b32_e32 v49, v49, v50
	v_add_nc_u32_e32 v50, 32, v52
	; wave barrier
	s_delay_alu instid0(VALU_DEP_2) | instskip(NEXT) | instid1(VALU_DEP_1)
	v_and_b32_e32 v51, v49, v51
	v_mbcnt_lo_u32_b32 v49, v51, 0
	v_cmp_ne_u32_e64 s15, 0, v51
	s_delay_alu instid0(VALU_DEP_2)
	v_cmp_eq_u32_e64 s14, 0, v49
	s_and_b32 s15, s15, s14
	s_wait_alu 0xfffe
	s_and_saveexec_b32 s14, s15
	s_cbranch_execz .LBB398_37
; %bb.36:                               ;   in Loop: Header=BB398_29 Depth=1
	s_wait_dscnt 0x0
	v_bcnt_u32_b32 v51, v51, v48
	ds_store_b32 v50, v51
.LBB398_37:                             ;   in Loop: Header=BB398_29 Depth=1
	s_wait_alu 0xfffe
	s_or_b32 exec_lo, exec_lo, s14
	v_and_b32_e32 v51, 0xff, v20
	; wave barrier
	s_delay_alu instid0(VALU_DEP_1) | instskip(NEXT) | instid1(VALU_DEP_1)
	v_lshrrev_b32_e32 v51, v10, v51
	v_and_b32_e32 v51, v51, v64
	s_delay_alu instid0(VALU_DEP_1)
	v_and_b32_e32 v52, 1, v51
	v_lshlrev_b32_e32 v53, 30, v51
	v_lshlrev_b32_e32 v54, 29, v51
	;; [unrolled: 1-line block ×4, first 2 shown]
	v_add_co_u32 v52, s14, v52, -1
	s_wait_alu 0xf1ff
	v_cndmask_b32_e64 v65, 0, 1, s14
	v_not_b32_e32 v69, v53
	v_cmp_gt_i32_e64 s15, 0, v53
	v_not_b32_e32 v53, v54
	v_lshlrev_b32_e32 v67, 26, v51
	v_cmp_ne_u32_e64 s14, 0, v65
	v_ashrrev_i32_e32 v69, 31, v69
	v_lshlrev_b32_e32 v68, 25, v51
	v_ashrrev_i32_e32 v53, 31, v53
	v_lshlrev_b32_e32 v65, 24, v51
	s_wait_alu 0xf1ff
	v_xor_b32_e32 v52, s14, v52
	v_cmp_gt_i32_e64 s14, 0, v54
	v_not_b32_e32 v54, v55
	v_xor_b32_e32 v69, s15, v69
	v_cmp_gt_i32_e64 s15, 0, v55
	v_and_b32_e32 v52, exec_lo, v52
	v_not_b32_e32 v55, v66
	v_ashrrev_i32_e32 v54, 31, v54
	s_wait_alu 0xf1ff
	v_xor_b32_e32 v53, s14, v53
	v_cmp_gt_i32_e64 s14, 0, v66
	v_and_b32_e32 v52, v52, v69
	v_not_b32_e32 v66, v67
	v_ashrrev_i32_e32 v55, 31, v55
	v_xor_b32_e32 v54, s15, v54
	v_cmp_gt_i32_e64 s15, 0, v67
	v_and_b32_e32 v52, v52, v53
	v_not_b32_e32 v53, v68
	v_ashrrev_i32_e32 v66, 31, v66
	s_wait_alu 0xf1ff
	v_xor_b32_e32 v55, s14, v55
	v_cmp_gt_i32_e64 s14, 0, v68
	v_and_b32_e32 v52, v52, v54
	v_not_b32_e32 v54, v65
	v_ashrrev_i32_e32 v53, 31, v53
	v_xor_b32_e32 v66, s15, v66
	v_lshl_add_u32 v51, v51, 3, v114
	v_and_b32_e32 v52, v52, v55
	v_cmp_gt_i32_e64 s15, 0, v65
	v_ashrrev_i32_e32 v54, 31, v54
	s_wait_alu 0xf1ff
	v_xor_b32_e32 v53, s14, v53
	v_lshl_add_u32 v55, v51, 2, v12
	v_and_b32_e32 v52, v52, v66
	v_xor_b32_e32 v54, s15, v54
	ds_load_b32 v51, v55 offset:32
	v_and_b32_e32 v52, v52, v53
	v_add_nc_u32_e32 v53, 32, v55
	; wave barrier
	s_delay_alu instid0(VALU_DEP_2) | instskip(NEXT) | instid1(VALU_DEP_1)
	v_and_b32_e32 v54, v52, v54
	v_mbcnt_lo_u32_b32 v52, v54, 0
	v_cmp_ne_u32_e64 s15, 0, v54
	s_delay_alu instid0(VALU_DEP_2)
	v_cmp_eq_u32_e64 s14, 0, v52
	s_and_b32 s15, s15, s14
	s_wait_alu 0xfffe
	s_and_saveexec_b32 s14, s15
	s_cbranch_execz .LBB398_39
; %bb.38:                               ;   in Loop: Header=BB398_29 Depth=1
	s_wait_dscnt 0x0
	v_bcnt_u32_b32 v54, v54, v51
	ds_store_b32 v53, v54
.LBB398_39:                             ;   in Loop: Header=BB398_29 Depth=1
	s_wait_alu 0xfffe
	s_or_b32 exec_lo, exec_lo, s14
	v_bfe_u32 v54, v20, 8, 8
	; wave barrier
	s_delay_alu instid0(VALU_DEP_1) | instskip(NEXT) | instid1(VALU_DEP_1)
	v_lshrrev_b32_e32 v54, v10, v54
	v_and_b32_e32 v54, v54, v64
	s_delay_alu instid0(VALU_DEP_1)
	v_and_b32_e32 v55, 1, v54
	v_lshlrev_b32_e32 v65, 30, v54
	v_lshlrev_b32_e32 v66, 29, v54
	;; [unrolled: 1-line block ×4, first 2 shown]
	v_add_co_u32 v55, s14, v55, -1
	s_wait_alu 0xf1ff
	v_cndmask_b32_e64 v68, 0, 1, s14
	v_not_b32_e32 v80, v65
	v_cmp_gt_i32_e64 s15, 0, v65
	v_not_b32_e32 v65, v66
	v_lshlrev_b32_e32 v70, 26, v54
	v_cmp_ne_u32_e64 s14, 0, v68
	v_ashrrev_i32_e32 v80, 31, v80
	v_lshlrev_b32_e32 v71, 25, v54
	v_ashrrev_i32_e32 v65, 31, v65
	v_lshlrev_b32_e32 v68, 24, v54
	s_wait_alu 0xf1ff
	v_xor_b32_e32 v55, s14, v55
	v_cmp_gt_i32_e64 s14, 0, v66
	v_not_b32_e32 v66, v67
	v_xor_b32_e32 v80, s15, v80
	v_cmp_gt_i32_e64 s15, 0, v67
	v_and_b32_e32 v55, exec_lo, v55
	v_not_b32_e32 v67, v69
	v_ashrrev_i32_e32 v66, 31, v66
	s_wait_alu 0xf1ff
	v_xor_b32_e32 v65, s14, v65
	v_cmp_gt_i32_e64 s14, 0, v69
	v_and_b32_e32 v55, v55, v80
	v_not_b32_e32 v69, v70
	v_ashrrev_i32_e32 v67, 31, v67
	v_xor_b32_e32 v66, s15, v66
	v_cmp_gt_i32_e64 s15, 0, v70
	v_and_b32_e32 v55, v55, v65
	v_not_b32_e32 v65, v71
	v_ashrrev_i32_e32 v69, 31, v69
	s_wait_alu 0xf1ff
	v_xor_b32_e32 v67, s14, v67
	v_cmp_gt_i32_e64 s14, 0, v71
	v_and_b32_e32 v55, v55, v66
	v_not_b32_e32 v66, v68
	v_ashrrev_i32_e32 v65, 31, v65
	v_xor_b32_e32 v69, s15, v69
	v_lshl_add_u32 v54, v54, 3, v114
	v_and_b32_e32 v55, v55, v67
	v_cmp_gt_i32_e64 s15, 0, v68
	v_ashrrev_i32_e32 v66, 31, v66
	s_wait_alu 0xf1ff
	v_xor_b32_e32 v65, s14, v65
	v_lshl_add_u32 v67, v54, 2, v12
	v_and_b32_e32 v55, v55, v69
	v_xor_b32_e32 v66, s15, v66
	ds_load_b32 v54, v67 offset:32
	v_and_b32_e32 v55, v55, v65
	v_add_nc_u32_e32 v65, 32, v67
	; wave barrier
	s_delay_alu instid0(VALU_DEP_2) | instskip(NEXT) | instid1(VALU_DEP_1)
	v_and_b32_e32 v66, v55, v66
	v_mbcnt_lo_u32_b32 v55, v66, 0
	v_cmp_ne_u32_e64 s15, 0, v66
	s_delay_alu instid0(VALU_DEP_2)
	v_cmp_eq_u32_e64 s14, 0, v55
	s_and_b32 s15, s15, s14
	s_wait_alu 0xfffe
	s_and_saveexec_b32 s14, s15
	s_cbranch_execz .LBB398_41
; %bb.40:                               ;   in Loop: Header=BB398_29 Depth=1
	s_wait_dscnt 0x0
	v_bcnt_u32_b32 v66, v66, v54
	ds_store_b32 v65, v66
.LBB398_41:                             ;   in Loop: Header=BB398_29 Depth=1
	s_wait_alu 0xfffe
	s_or_b32 exec_lo, exec_lo, s14
	v_bfe_u32 v66, v20, 16, 8
	; wave barrier
	s_delay_alu instid0(VALU_DEP_1) | instskip(NEXT) | instid1(VALU_DEP_1)
	v_lshrrev_b32_e32 v66, v10, v66
	v_and_b32_e32 v66, v66, v64
	s_delay_alu instid0(VALU_DEP_1)
	v_and_b32_e32 v67, 1, v66
	v_lshlrev_b32_e32 v68, 30, v66
	v_lshlrev_b32_e32 v69, 29, v66
	;; [unrolled: 1-line block ×4, first 2 shown]
	v_add_co_u32 v67, s14, v67, -1
	s_wait_alu 0xf1ff
	v_cndmask_b32_e64 v71, 0, 1, s14
	v_not_b32_e32 v83, v68
	v_cmp_gt_i32_e64 s15, 0, v68
	v_not_b32_e32 v68, v69
	v_lshlrev_b32_e32 v81, 26, v66
	v_cmp_ne_u32_e64 s14, 0, v71
	v_ashrrev_i32_e32 v83, 31, v83
	v_lshlrev_b32_e32 v82, 25, v66
	v_ashrrev_i32_e32 v68, 31, v68
	v_lshlrev_b32_e32 v71, 24, v66
	s_wait_alu 0xf1ff
	v_xor_b32_e32 v67, s14, v67
	v_cmp_gt_i32_e64 s14, 0, v69
	v_not_b32_e32 v69, v70
	v_xor_b32_e32 v83, s15, v83
	v_cmp_gt_i32_e64 s15, 0, v70
	v_and_b32_e32 v67, exec_lo, v67
	v_not_b32_e32 v70, v80
	v_ashrrev_i32_e32 v69, 31, v69
	s_wait_alu 0xf1ff
	v_xor_b32_e32 v68, s14, v68
	v_cmp_gt_i32_e64 s14, 0, v80
	v_and_b32_e32 v67, v67, v83
	v_not_b32_e32 v80, v81
	v_ashrrev_i32_e32 v70, 31, v70
	v_xor_b32_e32 v69, s15, v69
	v_cmp_gt_i32_e64 s15, 0, v81
	v_and_b32_e32 v67, v67, v68
	v_not_b32_e32 v68, v82
	v_ashrrev_i32_e32 v80, 31, v80
	s_wait_alu 0xf1ff
	v_xor_b32_e32 v70, s14, v70
	v_cmp_gt_i32_e64 s14, 0, v82
	v_and_b32_e32 v67, v67, v69
	v_not_b32_e32 v69, v71
	v_ashrrev_i32_e32 v68, 31, v68
	v_xor_b32_e32 v80, s15, v80
	v_lshl_add_u32 v66, v66, 3, v114
	v_and_b32_e32 v67, v67, v70
	v_cmp_gt_i32_e64 s15, 0, v71
	v_ashrrev_i32_e32 v69, 31, v69
	s_wait_alu 0xf1ff
	v_xor_b32_e32 v68, s14, v68
	v_lshl_add_u32 v70, v66, 2, v12
	v_and_b32_e32 v67, v67, v80
	v_xor_b32_e32 v69, s15, v69
	ds_load_b32 v66, v70 offset:32
	v_and_b32_e32 v67, v67, v68
	v_add_nc_u32_e32 v68, 32, v70
	; wave barrier
	s_delay_alu instid0(VALU_DEP_2) | instskip(NEXT) | instid1(VALU_DEP_1)
	v_and_b32_e32 v69, v67, v69
	v_mbcnt_lo_u32_b32 v67, v69, 0
	v_cmp_ne_u32_e64 s15, 0, v69
	s_delay_alu instid0(VALU_DEP_2)
	v_cmp_eq_u32_e64 s14, 0, v67
	s_and_b32 s15, s15, s14
	s_wait_alu 0xfffe
	s_and_saveexec_b32 s14, s15
	s_cbranch_execz .LBB398_43
; %bb.42:                               ;   in Loop: Header=BB398_29 Depth=1
	s_wait_dscnt 0x0
	v_bcnt_u32_b32 v69, v69, v66
	ds_store_b32 v68, v69
.LBB398_43:                             ;   in Loop: Header=BB398_29 Depth=1
	s_wait_alu 0xfffe
	s_or_b32 exec_lo, exec_lo, s14
	v_lshrrev_b32_e32 v161, 24, v20
	; wave barrier
	s_delay_alu instid0(VALU_DEP_1) | instskip(NEXT) | instid1(VALU_DEP_1)
	v_lshrrev_b32_e32 v69, v10, v161
	v_and_b32_e32 v64, v69, v64
	s_delay_alu instid0(VALU_DEP_1)
	v_and_b32_e32 v69, 1, v64
	v_lshlrev_b32_e32 v70, 30, v64
	v_lshlrev_b32_e32 v71, 29, v64
	;; [unrolled: 1-line block ×4, first 2 shown]
	v_add_co_u32 v69, s14, v69, -1
	s_wait_alu 0xf1ff
	v_cndmask_b32_e64 v81, 0, 1, s14
	v_not_b32_e32 v85, v70
	v_cmp_gt_i32_e64 s15, 0, v70
	v_not_b32_e32 v70, v71
	v_lshlrev_b32_e32 v83, 26, v64
	v_cmp_ne_u32_e64 s14, 0, v81
	v_ashrrev_i32_e32 v85, 31, v85
	v_lshlrev_b32_e32 v84, 25, v64
	v_ashrrev_i32_e32 v70, 31, v70
	v_lshlrev_b32_e32 v81, 24, v64
	s_wait_alu 0xf1ff
	v_xor_b32_e32 v69, s14, v69
	v_cmp_gt_i32_e64 s14, 0, v71
	v_not_b32_e32 v71, v80
	v_xor_b32_e32 v85, s15, v85
	v_cmp_gt_i32_e64 s15, 0, v80
	v_and_b32_e32 v69, exec_lo, v69
	v_not_b32_e32 v80, v82
	v_ashrrev_i32_e32 v71, 31, v71
	s_wait_alu 0xf1ff
	v_xor_b32_e32 v70, s14, v70
	v_cmp_gt_i32_e64 s14, 0, v82
	v_and_b32_e32 v69, v69, v85
	v_not_b32_e32 v82, v83
	v_ashrrev_i32_e32 v80, 31, v80
	v_xor_b32_e32 v71, s15, v71
	v_cmp_gt_i32_e64 s15, 0, v83
	v_and_b32_e32 v69, v69, v70
	v_not_b32_e32 v70, v84
	v_ashrrev_i32_e32 v82, 31, v82
	s_wait_alu 0xf1ff
	v_xor_b32_e32 v80, s14, v80
	v_cmp_gt_i32_e64 s14, 0, v84
	v_and_b32_e32 v69, v69, v71
	v_not_b32_e32 v71, v81
	v_ashrrev_i32_e32 v70, 31, v70
	v_xor_b32_e32 v82, s15, v82
	v_lshl_add_u32 v64, v64, 3, v114
	v_and_b32_e32 v69, v69, v80
	v_cmp_gt_i32_e64 s15, 0, v81
	v_ashrrev_i32_e32 v71, 31, v71
	s_wait_alu 0xf1ff
	v_xor_b32_e32 v70, s14, v70
	v_lshl_add_u32 v80, v64, 2, v12
	v_and_b32_e32 v69, v69, v82
	v_xor_b32_e32 v71, s15, v71
	ds_load_b32 v64, v80 offset:32
	v_and_b32_e32 v69, v69, v70
	v_add_nc_u32_e32 v70, 32, v80
	; wave barrier
	s_delay_alu instid0(VALU_DEP_2) | instskip(NEXT) | instid1(VALU_DEP_1)
	v_and_b32_e32 v71, v69, v71
	v_mbcnt_lo_u32_b32 v69, v71, 0
	v_cmp_ne_u32_e64 s15, 0, v71
	s_delay_alu instid0(VALU_DEP_2)
	v_cmp_eq_u32_e64 s14, 0, v69
	s_and_b32 s15, s15, s14
	s_wait_alu 0xfffe
	s_and_saveexec_b32 s14, s15
	s_cbranch_execz .LBB398_45
; %bb.44:                               ;   in Loop: Header=BB398_29 Depth=1
	s_wait_dscnt 0x0
	v_bcnt_u32_b32 v71, v71, v64
	ds_store_b32 v70, v71
.LBB398_45:                             ;   in Loop: Header=BB398_29 Depth=1
	s_wait_alu 0xfffe
	s_or_b32 exec_lo, exec_lo, s14
	; wave barrier
	s_wait_loadcnt_dscnt 0x0
	s_barrier_signal -1
	s_barrier_wait -1
	global_inv scope:SCOPE_SE
	ds_load_b32 v80, v9
	ds_load_b32 v81, v99
	;; [unrolled: 1-line block ×8, first 2 shown]
	s_wait_dscnt 0x6
	v_add_nc_u32_e32 v87, v81, v80
	s_wait_dscnt 0x4
	s_delay_alu instid0(VALU_DEP_1) | instskip(SKIP_1) | instid1(VALU_DEP_1)
	v_add3_u32 v87, v87, v82, v83
	s_wait_dscnt 0x2
	v_add3_u32 v87, v87, v84, v85
	s_wait_dscnt 0x0
	s_delay_alu instid0(VALU_DEP_1) | instskip(NEXT) | instid1(VALU_DEP_1)
	v_add3_u32 v86, v87, v71, v86
	v_mov_b32_dpp v87, v86 row_shr:1 row_mask:0xf bank_mask:0xf
	s_wait_alu 0xfffd
	s_delay_alu instid0(VALU_DEP_1) | instskip(NEXT) | instid1(VALU_DEP_1)
	v_cndmask_b32_e64 v87, v87, 0, vcc_lo
	v_add_nc_u32_e32 v86, v87, v86
	s_delay_alu instid0(VALU_DEP_1) | instskip(NEXT) | instid1(VALU_DEP_1)
	v_mov_b32_dpp v87, v86 row_shr:2 row_mask:0xf bank_mask:0xf
	v_cndmask_b32_e64 v87, 0, v87, s0
	s_delay_alu instid0(VALU_DEP_1) | instskip(NEXT) | instid1(VALU_DEP_1)
	v_add_nc_u32_e32 v86, v86, v87
	v_mov_b32_dpp v87, v86 row_shr:4 row_mask:0xf bank_mask:0xf
	s_delay_alu instid0(VALU_DEP_1) | instskip(NEXT) | instid1(VALU_DEP_1)
	v_cndmask_b32_e64 v87, 0, v87, s1
	v_add_nc_u32_e32 v86, v86, v87
	s_delay_alu instid0(VALU_DEP_1) | instskip(NEXT) | instid1(VALU_DEP_1)
	v_mov_b32_dpp v87, v86 row_shr:8 row_mask:0xf bank_mask:0xf
	v_cndmask_b32_e64 v87, 0, v87, s3
	s_delay_alu instid0(VALU_DEP_1) | instskip(SKIP_3) | instid1(VALU_DEP_1)
	v_add_nc_u32_e32 v86, v86, v87
	ds_swizzle_b32 v87, v86 offset:swizzle(BROADCAST,32,15)
	s_wait_dscnt 0x0
	v_cndmask_b32_e64 v87, v87, 0, s4
	v_add_nc_u32_e32 v86, v86, v87
	s_and_saveexec_b32 s14, s5
; %bb.46:                               ;   in Loop: Header=BB398_29 Depth=1
	ds_store_b32 v116, v86
; %bb.47:                               ;   in Loop: Header=BB398_29 Depth=1
	s_wait_alu 0xfffe
	s_or_b32 exec_lo, exec_lo, s14
	s_wait_loadcnt_dscnt 0x0
	s_barrier_signal -1
	s_barrier_wait -1
	global_inv scope:SCOPE_SE
	s_and_saveexec_b32 s14, s6
	s_cbranch_execz .LBB398_49
; %bb.48:                               ;   in Loop: Header=BB398_29 Depth=1
	ds_load_b32 v87, v118
	s_wait_dscnt 0x0
	v_mov_b32_dpp v96, v87 row_shr:1 row_mask:0xf bank_mask:0xf
	s_delay_alu instid0(VALU_DEP_1) | instskip(NEXT) | instid1(VALU_DEP_1)
	v_cndmask_b32_e64 v96, v96, 0, s11
	v_add_nc_u32_e32 v87, v96, v87
	s_delay_alu instid0(VALU_DEP_1) | instskip(NEXT) | instid1(VALU_DEP_1)
	v_mov_b32_dpp v96, v87 row_shr:2 row_mask:0xf bank_mask:0xf
	v_cndmask_b32_e64 v96, 0, v96, s12
	s_delay_alu instid0(VALU_DEP_1) | instskip(NEXT) | instid1(VALU_DEP_1)
	v_add_nc_u32_e32 v87, v87, v96
	v_mov_b32_dpp v96, v87 row_shr:4 row_mask:0xf bank_mask:0xf
	s_delay_alu instid0(VALU_DEP_1) | instskip(NEXT) | instid1(VALU_DEP_1)
	v_cndmask_b32_e64 v96, 0, v96, s13
	v_add_nc_u32_e32 v87, v87, v96
	ds_store_b32 v118, v87
.LBB398_49:                             ;   in Loop: Header=BB398_29 Depth=1
	s_wait_alu 0xfffe
	s_or_b32 exec_lo, exec_lo, s14
	v_mov_b32_e32 v87, 0
	s_wait_loadcnt_dscnt 0x0
	s_barrier_signal -1
	s_barrier_wait -1
	global_inv scope:SCOPE_SE
	s_and_saveexec_b32 s14, s7
; %bb.50:                               ;   in Loop: Header=BB398_29 Depth=1
	ds_load_b32 v87, v128
; %bb.51:                               ;   in Loop: Header=BB398_29 Depth=1
	s_wait_alu 0xfffe
	s_or_b32 exec_lo, exec_lo, s14
	s_wait_dscnt 0x0
	v_add_nc_u32_e32 v86, v87, v86
	v_add_nc_u32_e32 v10, 8, v10
	v_lshrrev_b64 v[96:97], 24, v[19:20]
	v_lshrrev_b32_e32 v179, 8, v19
	v_lshrrev_b32_e32 v182, 16, v19
	ds_bpermute_b32 v86, v115, v86
	v_lshrrev_b32_e32 v180, 8, v20
	v_lshrrev_b32_e32 v181, 16, v20
	v_cmp_lt_u32_e64 s14, v10, v11
	s_mov_b32 s20, -1
                                        ; implicit-def: $vgpr97
	v_mov_b32_e32 v178, v19
	s_wait_dscnt 0x0
	v_cndmask_b32_e64 v86, v86, v87, s2
	s_delay_alu instid0(VALU_DEP_1) | instskip(NEXT) | instid1(VALU_DEP_1)
	v_cndmask_b32_e64 v86, v86, 0, s10
	v_add_nc_u32_e32 v80, v86, v80
	s_delay_alu instid0(VALU_DEP_1) | instskip(SKIP_4) | instid1(VALU_DEP_1)
	v_add_nc_u32_e32 v81, v80, v81
	ds_store_b32 v9, v86
	ds_store_b32 v99, v80
	;; [unrolled: 1-line block ×3, first 2 shown]
	v_add_nc_u32_e32 v82, v81, v82
	v_add_nc_u32_e32 v83, v82, v83
	s_delay_alu instid0(VALU_DEP_1) | instskip(NEXT) | instid1(VALU_DEP_1)
	v_add_nc_u32_e32 v84, v83, v84
	v_add_nc_u32_e32 v85, v84, v85
	s_delay_alu instid0(VALU_DEP_1)
	v_add_nc_u32_e32 v71, v85, v71
	ds_store_b32 v101, v82
	ds_store_b32 v102, v83
	;; [unrolled: 1-line block ×5, first 2 shown]
	s_wait_loadcnt_dscnt 0x0
	s_barrier_signal -1
	s_barrier_wait -1
	global_inv scope:SCOPE_SE
	ds_load_b32 v33, v33
	ds_load_b32 v36, v36
	;; [unrolled: 1-line block ×8, first 2 shown]
	s_wait_loadcnt_dscnt 0x0
	v_add_nc_u32_e32 v177, v33, v32
	v_add3_u32 v176, v35, v34, v36
	v_add3_u32 v167, v38, v37, v39
	;; [unrolled: 1-line block ×7, first 2 shown]
	v_add_co_u32 v70, s15, v12, v177
	s_wait_alu 0xf1ff
	v_add_co_ci_u32_e64 v71, null, 0, v13, s15
	v_add_co_u32 v64, s15, v12, v176
	s_wait_alu 0xf1ff
	v_add_co_ci_u32_e64 v65, null, 0, v13, s15
	;; [unrolled: 3-line block ×8, first 2 shown]
                                        ; implicit-def: $vgpr32_vgpr33
                                        ; implicit-def: $vgpr36_vgpr37
                                        ; implicit-def: $vgpr38_vgpr39
                                        ; implicit-def: $vgpr48_vgpr49
                                        ; implicit-def: $vgpr50_vgpr51
                                        ; implicit-def: $vgpr52_vgpr53
                                        ; implicit-def: $vgpr54_vgpr55
                                        ; implicit-def: $vgpr34_vgpr35
	s_and_saveexec_b32 s15, s14
	s_cbranch_execz .LBB398_28
; %bb.52:                               ;   in Loop: Header=BB398_29 Depth=1
	v_mad_co_u64_u32 v[32:33], null, v177, 7, v[70:71]
	v_mad_co_u64_u32 v[33:34], null, v176, 7, v[64:65]
	;; [unrolled: 1-line block ×4, first 2 shown]
	s_barrier_signal -1
	s_barrier_wait -1
	global_inv scope:SCOPE_SE
	ds_store_b8 v70, v19
	ds_store_b8 v64, v179
	;; [unrolled: 1-line block ×8, first 2 shown]
	s_wait_loadcnt_dscnt 0x0
	s_barrier_signal -1
	s_barrier_wait -1
	global_inv scope:SCOPE_SE
	ds_load_u8 v19, v131
	ds_load_u8 v97, v130
	;; [unrolled: 1-line block ×8, first 2 shown]
	v_mad_co_u64_u32 v[36:37], null, v165, 7, v[80:81]
	v_mad_co_u64_u32 v[37:38], null, v164, 7, v[82:83]
	;; [unrolled: 1-line block ×4, first 2 shown]
	s_wait_loadcnt_dscnt 0x0
	s_barrier_signal -1
	s_barrier_wait -1
	global_inv scope:SCOPE_SE
	ds_store_b64 v32, v[28:29]
	ds_store_b64 v33, v[23:24]
	;; [unrolled: 1-line block ×8, first 2 shown]
	s_wait_loadcnt_dscnt 0x0
	s_barrier_signal -1
	s_barrier_wait -1
	global_inv scope:SCOPE_SE
	ds_load_b64 v[32:33], v133
	ds_load_b64 v[36:37], v145
	;; [unrolled: 1-line block ×8, first 2 shown]
	v_perm_b32 v183, v192, v183, 0xc0c0004
	v_perm_b32 v19, v97, v19, 0xc0c0004
	v_perm_b32 v97, v196, v195, 0xc0c0004
	v_perm_b32 v192, v194, v193, 0xc0c0004
	v_add_nc_u32_e32 v160, -8, v160
	s_xor_b32 s20, exec_lo, -1
	v_lshl_or_b32 v19, v19, 16, v183
	s_wait_loadcnt_dscnt 0x0
	v_lshl_or_b32 v97, v192, 16, v97
	s_barrier_signal -1
	s_barrier_wait -1
	global_inv scope:SCOPE_SE
	s_branch .LBB398_28
.LBB398_53:
	s_or_b32 exec_lo, exec_lo, s19
	v_mad_co_u64_u32 v[9:10], null, v177, 7, v[70:71]
	v_add_nc_u32_e32 v50, v12, v14
	s_barrier_signal -1
	s_barrier_wait -1
	s_wait_loadcnt 0x0
	global_inv scope:SCOPE_SE
	ds_store_b8 v70, v178
	ds_store_b8 v64, v179
	;; [unrolled: 1-line block ×8, first 2 shown]
	s_wait_loadcnt_dscnt 0x0
	s_barrier_signal -1
	s_barrier_wait -1
	global_inv scope:SCOPE_SE
	ds_load_u8 v39, v50
	ds_load_u8 v38, v50 offset:256
	ds_load_u8 v37, v50 offset:512
	ds_load_u8 v36, v50 offset:768
	ds_load_u8 v35, v50 offset:1024
	ds_load_u8 v34, v50 offset:1280
	ds_load_u8 v33, v50 offset:1536
	ds_load_u8 v32, v50 offset:1792
	s_wait_loadcnt_dscnt 0x0
	s_barrier_signal -1
	s_barrier_wait -1
	global_inv scope:SCOPE_SE
	ds_store_b64 v9, v[28:29]
	v_mad_co_u64_u32 v[9:10], null, v176, 7, v[64:65]
	v_mad_co_u64_u32 v[10:11], null, v167, 7, v[66:67]
	;; [unrolled: 1-line block ×7, first 2 shown]
	ds_store_b64 v9, v[23:24]
	ds_store_b64 v10, v[21:22]
	;; [unrolled: 1-line block ×3, first 2 shown]
	v_mul_u32_u24_e32 v9, 7, v14
	ds_store_b64 v12, v[17:18]
	ds_store_b64 v19, v[15:16]
	;; [unrolled: 1-line block ×4, first 2 shown]
	s_wait_loadcnt_dscnt 0x0
	s_barrier_signal -1
	v_add_nc_u32_e32 v4, v50, v9
	s_barrier_wait -1
	global_inv scope:SCOPE_SE
	ds_load_2addr_stride64_b64 v[21:24], v4 offset1:4
	ds_load_2addr_stride64_b64 v[17:20], v4 offset0:8 offset1:12
	ds_load_2addr_stride64_b64 v[13:16], v4 offset0:16 offset1:20
	;; [unrolled: 1-line block ×3, first 2 shown]
	v_add_co_u32 v2, vcc_lo, v2, v8
	s_wait_alu 0xfffd
	v_add_co_ci_u32_e64 v3, null, 0, v3, vcc_lo
	v_mov_b32_e32 v26, 0
	s_delay_alu instid0(VALU_DEP_3) | instskip(SKIP_1) | instid1(VALU_DEP_3)
	v_add_co_u32 v2, vcc_lo, v2, v25
	s_wait_alu 0xfffd
	v_add_co_ci_u32_e64 v3, null, 0, v3, vcc_lo
	v_cmp_lt_u32_e32 vcc_lo, v25, v98
	s_wait_loadcnt_dscnt 0x0
	s_barrier_signal -1
	s_barrier_wait -1
	global_inv scope:SCOPE_SE
	s_and_saveexec_b32 s0, vcc_lo
	s_cbranch_execz .LBB398_55
; %bb.54:
	v_xor_b32_e32 v4, 0x80, v39
	flat_store_b8 v[2:3], v4
.LBB398_55:
	s_wait_alu 0xfffe
	s_or_b32 exec_lo, exec_lo, s0
	v_add_nc_u32_e32 v4, 0x100, v25
	s_delay_alu instid0(VALU_DEP_1)
	v_cmp_lt_u32_e64 s0, v4, v98
	s_and_saveexec_b32 s1, s0
	s_cbranch_execz .LBB398_57
; %bb.56:
	v_xor_b32_e32 v4, 0x80, v38
	flat_store_b8 v[2:3], v4 offset:256
.LBB398_57:
	s_wait_alu 0xfffe
	s_or_b32 exec_lo, exec_lo, s1
	v_add_nc_u32_e32 v4, 0x200, v25
	s_delay_alu instid0(VALU_DEP_1)
	v_cmp_lt_u32_e64 s1, v4, v98
	s_and_saveexec_b32 s2, s1
	s_cbranch_execz .LBB398_59
; %bb.58:
	v_xor_b32_e32 v4, 0x80, v37
	flat_store_b8 v[2:3], v4 offset:512
.LBB398_59:
	;; [unrolled: 11-line block ×7, first 2 shown]
	s_wait_alu 0xfffe
	s_or_b32 exec_lo, exec_lo, s7
	v_lshlrev_b64_e32 v[2:3], 3, v[25:26]
	v_add_co_u32 v0, s7, v6, v0
	s_wait_alu 0xf1ff
	v_add_co_ci_u32_e64 v1, null, v7, v1, s7
	s_delay_alu instid0(VALU_DEP_2) | instskip(SKIP_1) | instid1(VALU_DEP_2)
	v_add_co_u32 v0, s7, v0, v2
	s_wait_alu 0xf1ff
	v_add_co_ci_u32_e64 v1, null, v1, v3, s7
	s_and_saveexec_b32 s7, vcc_lo
	s_cbranch_execnz .LBB398_119
; %bb.70:
	s_wait_alu 0xfffe
	s_or_b32 exec_lo, exec_lo, s7
	s_and_saveexec_b32 s7, s0
	s_cbranch_execnz .LBB398_120
.LBB398_71:
	s_wait_alu 0xfffe
	s_or_b32 exec_lo, exec_lo, s7
	s_and_saveexec_b32 s0, s1
	s_cbranch_execnz .LBB398_121
.LBB398_72:
	s_wait_alu 0xfffe
	s_or_b32 exec_lo, exec_lo, s0
	s_and_saveexec_b32 s0, s2
	s_cbranch_execnz .LBB398_122
.LBB398_73:
	s_wait_alu 0xfffe
	s_or_b32 exec_lo, exec_lo, s0
	s_and_saveexec_b32 s0, s3
	s_cbranch_execnz .LBB398_123
.LBB398_74:
	s_wait_alu 0xfffe
	s_or_b32 exec_lo, exec_lo, s0
	s_and_saveexec_b32 s0, s4
	s_cbranch_execnz .LBB398_124
.LBB398_75:
	s_wait_alu 0xfffe
	s_or_b32 exec_lo, exec_lo, s0
	s_and_saveexec_b32 s0, s5
	s_cbranch_execnz .LBB398_125
.LBB398_76:
	s_wait_alu 0xfffe
	s_or_b32 exec_lo, exec_lo, s0
	s_and_saveexec_b32 s0, s6
	s_cbranch_execz .LBB398_78
.LBB398_77:
	flat_store_b64 v[0:1], v[11:12] offset:14336
.LBB398_78:
	s_wait_alu 0xfffe
	s_or_b32 exec_lo, exec_lo, s0
                                        ; implicit-def: $vgpr98
                                        ; implicit-def: $vgpr0
                                        ; implicit-def: $vgpr1
                                        ; implicit-def: $vgpr2
                                        ; implicit-def: $vgpr3
                                        ; implicit-def: $vgpr4
                                        ; implicit-def: $vgpr5
                                        ; implicit-def: $vgpr6
                                        ; implicit-def: $vgpr7
                                        ; implicit-def: $vgpr8
                                        ; implicit-def: $vgpr10
                                        ; implicit-def: $vgpr11
                                        ; implicit-def: $vgpr12
                                        ; implicit-def: $vgpr13
                                        ; implicit-def: $vgpr9
                                        ; implicit-def: $vgpr15
                                        ; implicit-def: $vgpr14
                                        ; implicit-def: $vgpr30
.LBB398_79:
	s_wait_alu 0xfffe
	s_and_not1_saveexec_b32 s0, s17
	s_cbranch_execz .LBB398_199
; %bb.80:
	s_mov_b32 s0, exec_lo
	v_cmpx_lt_u32_e32 0x200, v98
	s_wait_alu 0xfffe
	s_xor_b32 s17, exec_lo, s0
	s_cbranch_execz .LBB398_140
; %bb.81:
	s_load_b64 s[0:1], s[8:9], 0x0
	s_and_b32 s2, ttmp7, 0xffff
	s_mov_b32 s3, 0
	v_add_co_u32 v0, vcc_lo, v0, v8
	s_wait_alu 0xfffd
	v_add_co_ci_u32_e64 v1, null, 0, v1, vcc_lo
	v_mov_b32_e32 v21, 0x7f
	s_delay_alu instid0(VALU_DEP_3) | instskip(SKIP_1) | instid1(VALU_DEP_3)
	v_add_co_u32 v0, vcc_lo, v0, v30
	s_wait_alu 0xfffd
	v_add_co_ci_u32_e64 v1, null, 0, v1, vcc_lo
	v_mov_b32_e32 v20, 0x7f
	s_wait_kmcnt 0x0
	s_wait_alu 0xfffe
	s_cmp_lt_u32 s2, s1
	s_cselect_b32 s2, 14, 20
	s_cmp_lt_u32 ttmp9, s0
	s_wait_alu 0xfffe
	s_add_nc_u64 s[4:5], s[8:9], s[2:3]
	s_cselect_b32 s2, 12, 18
	s_load_u16 s4, s[4:5], 0x0
	s_add_nc_u64 s[0:1], s[8:9], s[2:3]
	s_load_u16 s0, s[0:1], 0x0
	s_wait_kmcnt 0x0
	v_mad_u32_u24 v9, v15, s4, v9
	s_delay_alu instid0(VALU_DEP_1) | instskip(SKIP_1) | instid1(VALU_DEP_1)
	v_mad_co_u64_u32 v[17:18], null, v9, s0, v[14:15]
	v_dual_mov_b32 v9, 0 :: v_dual_mov_b32 v18, 0x7f
	v_dual_mov_b32 v19, 0x7f :: v_dual_mov_b32 v16, v9
	s_delay_alu instid0(VALU_DEP_3) | instskip(NEXT) | instid1(VALU_DEP_1)
	v_lshlrev_b32_e32 v15, 2, v17
	v_and_b32_e32 v15, 0xffffff80, v15
	s_delay_alu instid0(VALU_DEP_1) | instskip(SKIP_3) | instid1(VALU_DEP_3)
	v_or_b32_e32 v22, v15, v30
	v_add_co_u32 v0, vcc_lo, v0, v15
	s_wait_alu 0xfffd
	v_add_co_ci_u32_e64 v1, null, 0, v1, vcc_lo
	v_cmp_lt_u32_e32 vcc_lo, v22, v98
	s_and_saveexec_b32 s0, vcc_lo
	s_cbranch_execz .LBB398_83
; %bb.82:
	flat_load_u8 v19, v[0:1]
	v_dual_mov_b32 v18, 0x7f :: v_dual_mov_b32 v21, 0x7f
	v_mov_b32_e32 v20, 0x7f
.LBB398_83:
	s_wait_alu 0xfffe
	s_or_b32 exec_lo, exec_lo, s0
	v_or_b32_e32 v23, 32, v22
	s_delay_alu instid0(VALU_DEP_1)
	v_cmp_lt_u32_e64 s0, v23, v98
	s_and_saveexec_b32 s1, s0
	s_cbranch_execz .LBB398_85
; %bb.84:
	flat_load_u8 v20, v[0:1] offset:32
.LBB398_85:
	s_wait_alu 0xfffe
	s_or_b32 exec_lo, exec_lo, s1
	v_or_b32_e32 v23, 64, v22
	s_delay_alu instid0(VALU_DEP_1)
	v_cmp_lt_u32_e64 s1, v23, v98
	s_and_saveexec_b32 s2, s1
	s_cbranch_execz .LBB398_87
; %bb.86:
	flat_load_u8 v21, v[0:1] offset:64
.LBB398_87:
	;; [unrolled: 10-line block ×3, first 2 shown]
	s_wait_alu 0xfffe
	s_or_b32 exec_lo, exec_lo, s3
	v_lshlrev_b64_e32 v[0:1], 3, v[8:9]
	v_lshlrev_b32_e32 v9, 3, v30
                                        ; implicit-def: $vgpr24_vgpr25
	s_delay_alu instid0(VALU_DEP_2) | instskip(SKIP_1) | instid1(VALU_DEP_3)
	v_add_co_u32 v22, s3, v4, v0
	s_wait_alu 0xf1ff
	v_add_co_ci_u32_e64 v23, null, v5, v1, s3
	v_lshlrev_b64_e32 v[4:5], 3, v[15:16]
	s_delay_alu instid0(VALU_DEP_3) | instskip(SKIP_1) | instid1(VALU_DEP_3)
	v_add_co_u32 v9, s3, v22, v9
	s_wait_alu 0xf1ff
	v_add_co_ci_u32_e64 v15, null, 0, v23, s3
	s_delay_alu instid0(VALU_DEP_2) | instskip(SKIP_1) | instid1(VALU_DEP_2)
	v_add_co_u32 v4, s3, v9, v4
	s_wait_alu 0xf1ff
	v_add_co_ci_u32_e64 v5, null, v15, v5, s3
	s_and_saveexec_b32 s3, vcc_lo
	s_cbranch_execnz .LBB398_164
; %bb.90:
	s_wait_alu 0xfffe
	s_or_b32 exec_lo, exec_lo, s3
                                        ; implicit-def: $vgpr26_vgpr27
	s_and_saveexec_b32 s3, s0
	s_cbranch_execnz .LBB398_165
.LBB398_91:
	s_wait_alu 0xfffe
	s_or_b32 exec_lo, exec_lo, s3
                                        ; implicit-def: $vgpr28_vgpr29
	s_and_saveexec_b32 s0, s1
	s_cbranch_execnz .LBB398_166
.LBB398_92:
	s_wait_alu 0xfffe
	s_or_b32 exec_lo, exec_lo, s0
                                        ; implicit-def: $vgpr22_vgpr23
	s_and_saveexec_b32 s0, s2
	s_cbranch_execz .LBB398_94
.LBB398_93:
	flat_load_b64 v[22:23], v[4:5] offset:768
.LBB398_94:
	s_wait_alu 0xfffe
	s_or_b32 exec_lo, exec_lo, s0
	s_wait_loadcnt_dscnt 0x0
	v_xor_b32_e32 v4, 0x80, v19
	v_xor_b32_e32 v5, 0x80, v20
	v_xor_b32_e32 v9, 0x80, v21
	v_xor_b32_e32 v15, 0x80, v18
	v_sub_co_u32 v16, s2, v30, 1
	v_dual_mov_b32 v67, 0 :: v_dual_and_b32 v4, 0xff, v4
	v_lshlrev_b16 v5, 8, v5
	v_and_b32_e32 v9, 0xff, v9
	v_lshlrev_b16 v15, 8, v15
	v_cmp_gt_i32_e64 s6, 0, v16
	s_getpc_b64 s[0:1]
	s_wait_alu 0xfffe
	s_sext_i32_i16 s1, s1
	s_add_co_u32 s0, s0, _ZN7rocprim17ROCPRIM_400000_NS16block_radix_sortIaLj256ELj4ElLj1ELj1ELj8ELNS0_26block_radix_rank_algorithmE2ELNS0_18block_padding_hintE2ELNS0_4arch9wavefront6targetE0EE19radix_bits_per_passE@rel32@lo+12
	s_wait_alu 0xfffe
	s_add_co_ci_u32 s1, s1, _ZN7rocprim17ROCPRIM_400000_NS16block_radix_sortIaLj256ELj4ElLj1ELj1ELj8ELNS0_26block_radix_rank_algorithmE2ELNS0_18block_padding_hintE2ELNS0_4arch9wavefront6targetE0EE19radix_bits_per_passE@rel32@hi+24
	v_or_b32_e32 v4, v4, v5
	s_load_b32 s18, s[0:1], 0x0
	v_or_b32_e32 v5, v9, v15
	v_lshl_add_u32 v15, v14, 5, v12
	v_lshrrev_b32_e32 v55, 5, v17
	v_and_b32_e32 v4, 0xffff, v4
	v_cmp_lt_u32_e64 s7, 31, v14
	v_lshlrev_b32_e32 v5, 16, v5
	v_add_nc_u32_e32 v9, 32, v15
	v_add_nc_u32_e32 v48, 36, v15
	;; [unrolled: 1-line block ×4, first 2 shown]
	v_or_b32_e32 v64, v4, v5
	v_and_b32_e32 v4, 0x3e0, v14
	v_add_nc_u32_e32 v51, 48, v15
	v_add_nc_u32_e32 v52, 52, v15
	v_and_b32_e32 v5, 15, v30
	v_add_nc_u32_e32 v53, 56, v15
	v_add_nc_u32_e32 v54, 60, v15
	v_min_u32_e32 v4, 0xe0, v4
	v_and_b32_e32 v15, 16, v30
	v_cmp_eq_u32_e32 vcc_lo, 0, v5
	v_cmp_lt_u32_e64 s0, 1, v5
	v_cmp_lt_u32_e64 s1, 3, v5
	v_or_b32_e32 v4, 31, v4
	v_cmp_lt_u32_e64 s3, 7, v5
	v_cmp_eq_u32_e64 s4, 0, v15
	v_cndmask_b32_e64 v5, v16, v30, s6
	v_lshlrev_b32_e32 v15, 2, v14
	v_cmp_eq_u32_e64 s5, v14, v4
	v_lshrrev_b32_e32 v4, 3, v14
	v_cmp_gt_u32_e64 s6, 8, v14
	v_lshlrev_b32_e32 v65, 2, v5
	v_and_or_b32 v5, 0xf80, v15, v30
	v_cmp_eq_u32_e64 s10, 0, v14
	v_and_b32_e32 v4, 0x7c, v4
	v_add_nc_u32_e32 v69, v12, v15
	v_sub_nc_u32_e32 v86, v11, v10
	v_add_nc_u32_e32 v68, v12, v5
	v_mul_u32_u24_e32 v5, 7, v5
	v_add_nc_u32_e32 v66, v12, v4
	v_and_b32_e32 v4, 7, v30
	s_mov_b32 s19, 0
	v_add_nc_u32_e32 v80, 32, v68
	v_add_nc_u32_e32 v70, v68, v5
	v_add_nc_u32_e32 v71, -4, v66
	v_cmp_eq_u32_e64 s11, 0, v4
	v_cmp_lt_u32_e64 s12, 1, v4
	v_cmp_lt_u32_e64 s13, 3, v4
	v_add_nc_u32_e32 v81, 64, v68
	v_add_nc_u32_e32 v82, 0x60, v68
	;; [unrolled: 1-line block ×5, first 2 shown]
	s_wait_storecnt 0x0
	s_barrier_signal -1
	s_barrier_wait -1
	global_inv scope:SCOPE_SE
	s_branch .LBB398_96
.LBB398_95:                             ;   in Loop: Header=BB398_96 Depth=1
	s_wait_alu 0xfffe
	s_or_b32 exec_lo, exec_lo, s15
	s_delay_alu instid0(SALU_CYCLE_1)
	s_and_b32 s14, exec_lo, s20
	s_wait_alu 0xfffe
	s_or_b32 s19, s14, s19
	s_wait_alu 0xfffe
	s_and_not1_b32 exec_lo, exec_lo, s19
	s_cbranch_execz .LBB398_126
.LBB398_96:                             ; =>This Inner Loop Header: Depth=1
	s_wait_kmcnt 0x0
	v_min_u32_e32 v4, s18, v86
	v_dual_mov_b32 v18, v24 :: v_dual_and_b32 v5, 0xff, v64
	v_mov_b32_e32 v19, v25
	ds_store_b32 v9, v67
	ds_store_b32 v48, v67
	;; [unrolled: 1-line block ×3, first 2 shown]
	v_lshlrev_b32_e64 v4, v4, -1
	v_lshrrev_b32_e32 v5, v10, v5
	ds_store_b32 v50, v67
	ds_store_b32 v51, v67
	;; [unrolled: 1-line block ×5, first 2 shown]
	v_not_b32_e32 v30, v4
	s_wait_loadcnt_dscnt 0x0
	s_barrier_signal -1
	s_barrier_wait -1
	global_inv scope:SCOPE_SE
	v_and_b32_e32 v31, v5, v30
	v_dual_mov_b32 v15, v26 :: v_dual_mov_b32 v16, v27
	v_dual_mov_b32 v4, v28 :: v_dual_mov_b32 v5, v29
	s_delay_alu instid0(VALU_DEP_3)
	v_lshlrev_b32_e32 v24, 29, v31
	v_and_b32_e32 v20, 1, v31
	v_lshlrev_b32_e32 v21, 30, v31
	v_lshlrev_b32_e32 v25, 28, v31
	;; [unrolled: 1-line block ×4, first 2 shown]
	v_add_co_u32 v20, s14, v20, -1
	s_wait_alu 0xf1ff
	v_cndmask_b32_e64 v26, 0, 1, s14
	v_not_b32_e32 v32, v21
	v_cmp_gt_i32_e64 s15, 0, v21
	v_not_b32_e32 v21, v24
	v_lshlrev_b32_e32 v29, 25, v31
	v_cmp_ne_u32_e64 s14, 0, v26
	v_ashrrev_i32_e32 v32, 31, v32
	v_lshlrev_b32_e32 v26, 24, v31
	v_ashrrev_i32_e32 v21, 31, v21
	s_wait_alu 0xf1ff
	v_xor_b32_e32 v20, s14, v20
	v_cmp_gt_i32_e64 s14, 0, v24
	v_not_b32_e32 v24, v25
	v_xor_b32_e32 v32, s15, v32
	v_cmp_gt_i32_e64 s15, 0, v25
	v_and_b32_e32 v20, exec_lo, v20
	v_not_b32_e32 v25, v27
	v_ashrrev_i32_e32 v24, 31, v24
	s_wait_alu 0xf1ff
	v_xor_b32_e32 v21, s14, v21
	v_cmp_gt_i32_e64 s14, 0, v27
	v_and_b32_e32 v20, v20, v32
	v_not_b32_e32 v27, v28
	v_ashrrev_i32_e32 v25, 31, v25
	v_xor_b32_e32 v24, s15, v24
	v_cmp_gt_i32_e64 s15, 0, v28
	v_and_b32_e32 v20, v20, v21
	v_not_b32_e32 v21, v29
	v_ashrrev_i32_e32 v27, 31, v27
	s_wait_alu 0xf1ff
	v_xor_b32_e32 v25, s14, v25
	v_cmp_gt_i32_e64 s14, 0, v29
	v_and_b32_e32 v20, v20, v24
	v_not_b32_e32 v24, v26
	v_ashrrev_i32_e32 v28, 31, v21
	v_xor_b32_e32 v27, s15, v27
	v_cmp_gt_i32_e64 s15, 0, v26
	v_dual_mov_b32 v20, v22 :: v_dual_and_b32 v25, v20, v25
	v_mov_b32_e32 v21, v23
	v_ashrrev_i32_e32 v22, 31, v24
	s_wait_alu 0xf1ff
	v_xor_b32_e32 v23, s14, v28
	v_and_b32_e32 v24, v25, v27
	v_lshlrev_b32_e32 v25, 3, v31
	; wave barrier
	v_xor_b32_e32 v22, s15, v22
	s_delay_alu instid0(VALU_DEP_3) | instskip(NEXT) | instid1(VALU_DEP_1)
	v_and_b32_e32 v23, v24, v23
	v_and_b32_e32 v24, v23, v22
	s_delay_alu instid0(VALU_DEP_4) | instskip(NEXT) | instid1(VALU_DEP_2)
	v_add_lshl_u32 v23, v25, v55, 2
	v_mbcnt_lo_u32_b32 v22, v24, 0
	s_delay_alu instid0(VALU_DEP_2) | instskip(SKIP_1) | instid1(VALU_DEP_3)
	v_add_co_u32 v23, null, v12, v23
	v_cmp_ne_u32_e64 s15, 0, v24
	v_cmp_eq_u32_e64 s14, 0, v22
	s_delay_alu instid0(VALU_DEP_3)
	v_add_co_u32 v23, null, v23, 32
	s_and_b32 s15, s15, s14
	s_wait_alu 0xfffe
	s_and_saveexec_b32 s14, s15
; %bb.97:                               ;   in Loop: Header=BB398_96 Depth=1
	v_bcnt_u32_b32 v24, v24, 0
	ds_store_b32 v23, v24
; %bb.98:                               ;   in Loop: Header=BB398_96 Depth=1
	s_wait_alu 0xfffe
	s_or_b32 exec_lo, exec_lo, s14
	v_bfe_u32 v24, v64, 8, 8
	; wave barrier
	s_delay_alu instid0(VALU_DEP_1) | instskip(NEXT) | instid1(VALU_DEP_1)
	v_lshrrev_b32_e32 v24, v10, v24
	v_and_b32_e32 v24, v24, v30
	s_delay_alu instid0(VALU_DEP_1)
	v_and_b32_e32 v25, 1, v24
	v_lshlrev_b32_e32 v26, 30, v24
	v_lshlrev_b32_e32 v27, 29, v24
	;; [unrolled: 1-line block ×4, first 2 shown]
	v_add_co_u32 v25, s14, v25, -1
	s_wait_alu 0xf1ff
	v_cndmask_b32_e64 v29, 0, 1, s14
	v_not_b32_e32 v34, v26
	v_cmp_gt_i32_e64 s15, 0, v26
	v_not_b32_e32 v26, v27
	v_lshlrev_b32_e32 v32, 26, v24
	v_cmp_ne_u32_e64 s14, 0, v29
	v_ashrrev_i32_e32 v34, 31, v34
	v_lshlrev_b32_e32 v33, 25, v24
	v_ashrrev_i32_e32 v26, 31, v26
	v_lshlrev_b32_e32 v29, 24, v24
	s_wait_alu 0xf1ff
	v_xor_b32_e32 v25, s14, v25
	v_cmp_gt_i32_e64 s14, 0, v27
	v_not_b32_e32 v27, v28
	v_xor_b32_e32 v34, s15, v34
	v_cmp_gt_i32_e64 s15, 0, v28
	v_and_b32_e32 v25, exec_lo, v25
	v_not_b32_e32 v28, v31
	v_ashrrev_i32_e32 v27, 31, v27
	s_wait_alu 0xf1ff
	v_xor_b32_e32 v26, s14, v26
	v_cmp_gt_i32_e64 s14, 0, v31
	v_and_b32_e32 v25, v25, v34
	v_not_b32_e32 v31, v32
	v_ashrrev_i32_e32 v28, 31, v28
	v_xor_b32_e32 v27, s15, v27
	v_cmp_gt_i32_e64 s15, 0, v32
	v_and_b32_e32 v25, v25, v26
	v_not_b32_e32 v26, v33
	v_ashrrev_i32_e32 v31, 31, v31
	s_wait_alu 0xf1ff
	v_xor_b32_e32 v28, s14, v28
	v_cmp_gt_i32_e64 s14, 0, v33
	v_and_b32_e32 v25, v25, v27
	v_not_b32_e32 v27, v29
	v_ashrrev_i32_e32 v26, 31, v26
	v_xor_b32_e32 v31, s15, v31
	v_lshl_add_u32 v24, v24, 3, v55
	v_and_b32_e32 v25, v25, v28
	v_cmp_gt_i32_e64 s15, 0, v29
	v_ashrrev_i32_e32 v27, 31, v27
	s_wait_alu 0xf1ff
	v_xor_b32_e32 v26, s14, v26
	v_lshl_add_u32 v28, v24, 2, v12
	v_and_b32_e32 v25, v25, v31
	v_xor_b32_e32 v27, s15, v27
	ds_load_b32 v24, v28 offset:32
	v_and_b32_e32 v25, v25, v26
	v_add_nc_u32_e32 v26, 32, v28
	; wave barrier
	s_delay_alu instid0(VALU_DEP_2) | instskip(NEXT) | instid1(VALU_DEP_1)
	v_and_b32_e32 v27, v25, v27
	v_mbcnt_lo_u32_b32 v25, v27, 0
	v_cmp_ne_u32_e64 s15, 0, v27
	s_delay_alu instid0(VALU_DEP_2)
	v_cmp_eq_u32_e64 s14, 0, v25
	s_and_b32 s15, s15, s14
	s_wait_alu 0xfffe
	s_and_saveexec_b32 s14, s15
	s_cbranch_execz .LBB398_100
; %bb.99:                               ;   in Loop: Header=BB398_96 Depth=1
	s_wait_dscnt 0x0
	v_bcnt_u32_b32 v27, v27, v24
	ds_store_b32 v26, v27
.LBB398_100:                            ;   in Loop: Header=BB398_96 Depth=1
	s_wait_alu 0xfffe
	s_or_b32 exec_lo, exec_lo, s14
	v_bfe_u32 v27, v64, 16, 8
	; wave barrier
	s_delay_alu instid0(VALU_DEP_1) | instskip(NEXT) | instid1(VALU_DEP_1)
	v_lshrrev_b32_e32 v27, v10, v27
	v_and_b32_e32 v27, v27, v30
	s_delay_alu instid0(VALU_DEP_1)
	v_and_b32_e32 v28, 1, v27
	v_lshlrev_b32_e32 v29, 30, v27
	v_lshlrev_b32_e32 v31, 29, v27
	;; [unrolled: 1-line block ×4, first 2 shown]
	v_add_co_u32 v28, s14, v28, -1
	s_wait_alu 0xf1ff
	v_cndmask_b32_e64 v33, 0, 1, s14
	v_not_b32_e32 v37, v29
	v_cmp_gt_i32_e64 s15, 0, v29
	v_not_b32_e32 v29, v31
	v_lshlrev_b32_e32 v35, 26, v27
	v_cmp_ne_u32_e64 s14, 0, v33
	v_ashrrev_i32_e32 v37, 31, v37
	v_lshlrev_b32_e32 v36, 25, v27
	v_ashrrev_i32_e32 v29, 31, v29
	v_lshlrev_b32_e32 v33, 24, v27
	s_wait_alu 0xf1ff
	v_xor_b32_e32 v28, s14, v28
	v_cmp_gt_i32_e64 s14, 0, v31
	v_not_b32_e32 v31, v32
	v_xor_b32_e32 v37, s15, v37
	v_cmp_gt_i32_e64 s15, 0, v32
	v_and_b32_e32 v28, exec_lo, v28
	v_not_b32_e32 v32, v34
	v_ashrrev_i32_e32 v31, 31, v31
	s_wait_alu 0xf1ff
	v_xor_b32_e32 v29, s14, v29
	v_cmp_gt_i32_e64 s14, 0, v34
	v_and_b32_e32 v28, v28, v37
	v_not_b32_e32 v34, v35
	v_ashrrev_i32_e32 v32, 31, v32
	v_xor_b32_e32 v31, s15, v31
	v_cmp_gt_i32_e64 s15, 0, v35
	v_and_b32_e32 v28, v28, v29
	v_not_b32_e32 v29, v36
	v_ashrrev_i32_e32 v34, 31, v34
	s_wait_alu 0xf1ff
	v_xor_b32_e32 v32, s14, v32
	v_cmp_gt_i32_e64 s14, 0, v36
	v_and_b32_e32 v28, v28, v31
	v_not_b32_e32 v31, v33
	v_ashrrev_i32_e32 v29, 31, v29
	v_xor_b32_e32 v34, s15, v34
	v_lshl_add_u32 v27, v27, 3, v55
	v_and_b32_e32 v28, v28, v32
	v_cmp_gt_i32_e64 s15, 0, v33
	v_ashrrev_i32_e32 v31, 31, v31
	s_wait_alu 0xf1ff
	v_xor_b32_e32 v29, s14, v29
	v_lshl_add_u32 v32, v27, 2, v12
	v_and_b32_e32 v28, v28, v34
	v_xor_b32_e32 v31, s15, v31
	ds_load_b32 v27, v32 offset:32
	v_and_b32_e32 v28, v28, v29
	v_add_nc_u32_e32 v29, 32, v32
	; wave barrier
	s_delay_alu instid0(VALU_DEP_2) | instskip(NEXT) | instid1(VALU_DEP_1)
	v_and_b32_e32 v31, v28, v31
	v_mbcnt_lo_u32_b32 v28, v31, 0
	v_cmp_ne_u32_e64 s15, 0, v31
	s_delay_alu instid0(VALU_DEP_2)
	v_cmp_eq_u32_e64 s14, 0, v28
	s_and_b32 s15, s15, s14
	s_wait_alu 0xfffe
	s_and_saveexec_b32 s14, s15
	s_cbranch_execz .LBB398_102
; %bb.101:                              ;   in Loop: Header=BB398_96 Depth=1
	s_wait_dscnt 0x0
	v_bcnt_u32_b32 v31, v31, v27
	ds_store_b32 v29, v31
.LBB398_102:                            ;   in Loop: Header=BB398_96 Depth=1
	s_wait_alu 0xfffe
	s_or_b32 exec_lo, exec_lo, s14
	v_lshrrev_b32_e32 v87, 24, v64
	; wave barrier
	s_delay_alu instid0(VALU_DEP_1) | instskip(NEXT) | instid1(VALU_DEP_1)
	v_lshrrev_b32_e32 v31, v10, v87
	v_and_b32_e32 v30, v31, v30
	s_delay_alu instid0(VALU_DEP_1)
	v_and_b32_e32 v31, 1, v30
	v_lshlrev_b32_e32 v32, 30, v30
	v_lshlrev_b32_e32 v33, 29, v30
	;; [unrolled: 1-line block ×4, first 2 shown]
	v_add_co_u32 v31, s14, v31, -1
	s_wait_alu 0xf1ff
	v_cndmask_b32_e64 v35, 0, 1, s14
	v_not_b32_e32 v39, v32
	v_cmp_gt_i32_e64 s15, 0, v32
	v_not_b32_e32 v32, v33
	v_lshlrev_b32_e32 v37, 26, v30
	v_cmp_ne_u32_e64 s14, 0, v35
	v_ashrrev_i32_e32 v39, 31, v39
	v_lshlrev_b32_e32 v38, 25, v30
	v_ashrrev_i32_e32 v32, 31, v32
	v_lshlrev_b32_e32 v35, 24, v30
	s_wait_alu 0xf1ff
	v_xor_b32_e32 v31, s14, v31
	v_cmp_gt_i32_e64 s14, 0, v33
	v_not_b32_e32 v33, v34
	v_xor_b32_e32 v39, s15, v39
	v_cmp_gt_i32_e64 s15, 0, v34
	v_and_b32_e32 v31, exec_lo, v31
	v_not_b32_e32 v34, v36
	v_ashrrev_i32_e32 v33, 31, v33
	s_wait_alu 0xf1ff
	v_xor_b32_e32 v32, s14, v32
	v_cmp_gt_i32_e64 s14, 0, v36
	v_and_b32_e32 v31, v31, v39
	v_not_b32_e32 v36, v37
	v_ashrrev_i32_e32 v34, 31, v34
	v_xor_b32_e32 v33, s15, v33
	v_cmp_gt_i32_e64 s15, 0, v37
	v_and_b32_e32 v31, v31, v32
	v_not_b32_e32 v32, v38
	v_ashrrev_i32_e32 v36, 31, v36
	s_wait_alu 0xf1ff
	v_xor_b32_e32 v34, s14, v34
	v_cmp_gt_i32_e64 s14, 0, v38
	v_and_b32_e32 v31, v31, v33
	v_not_b32_e32 v33, v35
	v_ashrrev_i32_e32 v32, 31, v32
	v_xor_b32_e32 v36, s15, v36
	v_lshl_add_u32 v30, v30, 3, v55
	v_and_b32_e32 v31, v31, v34
	v_cmp_gt_i32_e64 s15, 0, v35
	v_ashrrev_i32_e32 v33, 31, v33
	s_wait_alu 0xf1ff
	v_xor_b32_e32 v32, s14, v32
	v_lshl_add_u32 v34, v30, 2, v12
	v_and_b32_e32 v31, v31, v36
	v_xor_b32_e32 v33, s15, v33
	ds_load_b32 v30, v34 offset:32
	v_and_b32_e32 v31, v31, v32
	v_add_nc_u32_e32 v32, 32, v34
	; wave barrier
	s_delay_alu instid0(VALU_DEP_2) | instskip(NEXT) | instid1(VALU_DEP_1)
	v_and_b32_e32 v33, v31, v33
	v_mbcnt_lo_u32_b32 v31, v33, 0
	v_cmp_ne_u32_e64 s15, 0, v33
	s_delay_alu instid0(VALU_DEP_2)
	v_cmp_eq_u32_e64 s14, 0, v31
	s_and_b32 s15, s15, s14
	s_wait_alu 0xfffe
	s_and_saveexec_b32 s14, s15
	s_cbranch_execz .LBB398_104
; %bb.103:                              ;   in Loop: Header=BB398_96 Depth=1
	s_wait_dscnt 0x0
	v_bcnt_u32_b32 v33, v33, v30
	ds_store_b32 v32, v33
.LBB398_104:                            ;   in Loop: Header=BB398_96 Depth=1
	s_wait_alu 0xfffe
	s_or_b32 exec_lo, exec_lo, s14
	; wave barrier
	s_wait_loadcnt_dscnt 0x0
	s_barrier_signal -1
	s_barrier_wait -1
	global_inv scope:SCOPE_SE
	ds_load_b32 v34, v9
	ds_load_b32 v35, v48
	ds_load_b32 v36, v49
	ds_load_b32 v37, v50
	ds_load_b32 v38, v51
	ds_load_b32 v39, v52
	ds_load_b32 v33, v53
	ds_load_b32 v96, v54
	s_wait_dscnt 0x6
	v_add_nc_u32_e32 v97, v35, v34
	s_wait_dscnt 0x4
	s_delay_alu instid0(VALU_DEP_1) | instskip(SKIP_1) | instid1(VALU_DEP_1)
	v_add3_u32 v97, v97, v36, v37
	s_wait_dscnt 0x2
	v_add3_u32 v97, v97, v38, v39
	s_wait_dscnt 0x0
	s_delay_alu instid0(VALU_DEP_1) | instskip(NEXT) | instid1(VALU_DEP_1)
	v_add3_u32 v96, v97, v33, v96
	v_mov_b32_dpp v97, v96 row_shr:1 row_mask:0xf bank_mask:0xf
	s_wait_alu 0xfffd
	s_delay_alu instid0(VALU_DEP_1) | instskip(NEXT) | instid1(VALU_DEP_1)
	v_cndmask_b32_e64 v97, v97, 0, vcc_lo
	v_add_nc_u32_e32 v96, v97, v96
	s_delay_alu instid0(VALU_DEP_1) | instskip(NEXT) | instid1(VALU_DEP_1)
	v_mov_b32_dpp v97, v96 row_shr:2 row_mask:0xf bank_mask:0xf
	v_cndmask_b32_e64 v97, 0, v97, s0
	s_delay_alu instid0(VALU_DEP_1) | instskip(NEXT) | instid1(VALU_DEP_1)
	v_add_nc_u32_e32 v96, v96, v97
	v_mov_b32_dpp v97, v96 row_shr:4 row_mask:0xf bank_mask:0xf
	s_delay_alu instid0(VALU_DEP_1) | instskip(NEXT) | instid1(VALU_DEP_1)
	v_cndmask_b32_e64 v97, 0, v97, s1
	v_add_nc_u32_e32 v96, v96, v97
	s_delay_alu instid0(VALU_DEP_1) | instskip(NEXT) | instid1(VALU_DEP_1)
	v_mov_b32_dpp v97, v96 row_shr:8 row_mask:0xf bank_mask:0xf
	v_cndmask_b32_e64 v97, 0, v97, s3
	s_delay_alu instid0(VALU_DEP_1) | instskip(SKIP_3) | instid1(VALU_DEP_1)
	v_add_nc_u32_e32 v96, v96, v97
	ds_swizzle_b32 v97, v96 offset:swizzle(BROADCAST,32,15)
	s_wait_dscnt 0x0
	v_cndmask_b32_e64 v97, v97, 0, s4
	v_add_nc_u32_e32 v96, v96, v97
	s_and_saveexec_b32 s14, s5
; %bb.105:                              ;   in Loop: Header=BB398_96 Depth=1
	ds_store_b32 v66, v96
; %bb.106:                              ;   in Loop: Header=BB398_96 Depth=1
	s_wait_alu 0xfffe
	s_or_b32 exec_lo, exec_lo, s14
	s_wait_loadcnt_dscnt 0x0
	s_barrier_signal -1
	s_barrier_wait -1
	global_inv scope:SCOPE_SE
	s_and_saveexec_b32 s14, s6
	s_cbranch_execz .LBB398_108
; %bb.107:                              ;   in Loop: Header=BB398_96 Depth=1
	ds_load_b32 v97, v69
	s_wait_dscnt 0x0
	v_mov_b32_dpp v99, v97 row_shr:1 row_mask:0xf bank_mask:0xf
	s_delay_alu instid0(VALU_DEP_1) | instskip(NEXT) | instid1(VALU_DEP_1)
	v_cndmask_b32_e64 v99, v99, 0, s11
	v_add_nc_u32_e32 v97, v99, v97
	s_delay_alu instid0(VALU_DEP_1) | instskip(NEXT) | instid1(VALU_DEP_1)
	v_mov_b32_dpp v99, v97 row_shr:2 row_mask:0xf bank_mask:0xf
	v_cndmask_b32_e64 v99, 0, v99, s12
	s_delay_alu instid0(VALU_DEP_1) | instskip(NEXT) | instid1(VALU_DEP_1)
	v_add_nc_u32_e32 v97, v97, v99
	v_mov_b32_dpp v99, v97 row_shr:4 row_mask:0xf bank_mask:0xf
	s_delay_alu instid0(VALU_DEP_1) | instskip(NEXT) | instid1(VALU_DEP_1)
	v_cndmask_b32_e64 v99, 0, v99, s13
	v_add_nc_u32_e32 v97, v97, v99
	ds_store_b32 v69, v97
.LBB398_108:                            ;   in Loop: Header=BB398_96 Depth=1
	s_wait_alu 0xfffe
	s_or_b32 exec_lo, exec_lo, s14
	v_mov_b32_e32 v97, 0
	s_wait_loadcnt_dscnt 0x0
	s_barrier_signal -1
	s_barrier_wait -1
	global_inv scope:SCOPE_SE
	s_and_saveexec_b32 s14, s7
; %bb.109:                              ;   in Loop: Header=BB398_96 Depth=1
	ds_load_b32 v97, v71
; %bb.110:                              ;   in Loop: Header=BB398_96 Depth=1
	s_wait_alu 0xfffe
	s_or_b32 exec_lo, exec_lo, s14
	s_wait_dscnt 0x0
	v_add_nc_u32_e32 v96, v97, v96
	v_add_nc_u32_e32 v10, 8, v10
	v_lshrrev_b32_e32 v101, 8, v64
	v_lshrrev_b32_e32 v102, 16, v64
	s_mov_b32 s20, -1
	ds_bpermute_b32 v96, v65, v96
	v_mov_b32_e32 v100, v64
	s_wait_dscnt 0x0
	v_cndmask_b32_e64 v96, v96, v97, s2
	s_delay_alu instid0(VALU_DEP_1) | instskip(NEXT) | instid1(VALU_DEP_1)
	v_cndmask_b32_e64 v96, v96, 0, s10
	v_add_nc_u32_e32 v34, v96, v34
	s_delay_alu instid0(VALU_DEP_1) | instskip(SKIP_4) | instid1(VALU_DEP_1)
	v_add_nc_u32_e32 v35, v34, v35
	ds_store_b32 v9, v96
	ds_store_b32 v48, v34
	;; [unrolled: 1-line block ×3, first 2 shown]
	v_add_nc_u32_e32 v36, v35, v36
	v_add_nc_u32_e32 v37, v36, v37
	s_delay_alu instid0(VALU_DEP_1) | instskip(NEXT) | instid1(VALU_DEP_1)
	v_add_nc_u32_e32 v38, v37, v38
	v_add_nc_u32_e32 v39, v38, v39
	s_delay_alu instid0(VALU_DEP_1)
	v_add_nc_u32_e32 v33, v39, v33
	ds_store_b32 v50, v36
	ds_store_b32 v51, v37
	;; [unrolled: 1-line block ×5, first 2 shown]
	s_wait_loadcnt_dscnt 0x0
	s_barrier_signal -1
	s_barrier_wait -1
	global_inv scope:SCOPE_SE
	ds_load_b32 v23, v23
	ds_load_b32 v26, v26
	;; [unrolled: 1-line block ×4, first 2 shown]
	s_wait_loadcnt_dscnt 0x0
	v_add_nc_u32_e32 v22, v23, v22
	v_add3_u32 v99, v25, v24, v26
	v_add3_u32 v97, v28, v27, v29
	;; [unrolled: 1-line block ×3, first 2 shown]
                                        ; implicit-def: $vgpr24_vgpr25
                                        ; implicit-def: $vgpr26_vgpr27
                                        ; implicit-def: $vgpr28_vgpr29
	s_delay_alu instid0(VALU_DEP_4)
	v_add_co_u32 v38, s15, v12, v22
	s_wait_alu 0xf1ff
	v_add_co_ci_u32_e64 v39, null, 0, v13, s15
	v_add_co_u32 v30, s15, v12, v99
	s_wait_alu 0xf1ff
	v_add_co_ci_u32_e64 v31, null, 0, v13, s15
	v_add_co_u32 v34, s15, v12, v97
	v_mad_co_u64_u32 v[32:33], null, v22, 7, v[38:39]
	s_wait_alu 0xf1ff
	v_add_co_ci_u32_e64 v35, null, 0, v13, s15
	v_add_co_u32 v36, s15, v12, v96
	s_wait_alu 0xf1ff
	v_add_co_ci_u32_e64 v37, null, 0, v13, s15
	s_mov_b32 s15, exec_lo
                                        ; implicit-def: $vgpr22_vgpr23
	v_cmpx_lt_u32_e64 v10, v11
	s_cbranch_execz .LBB398_95
; %bb.111:                              ;   in Loop: Header=BB398_96 Depth=1
	s_barrier_signal -1
	s_barrier_wait -1
	global_inv scope:SCOPE_SE
	ds_store_b8 v38, v64
	ds_store_b8 v30, v101
	;; [unrolled: 1-line block ×4, first 2 shown]
	s_wait_loadcnt_dscnt 0x0
	s_barrier_signal -1
	s_barrier_wait -1
	global_inv scope:SCOPE_SE
	ds_load_u8 v33, v80
	ds_load_u8 v39, v68
	ds_load_u8 v64, v82
	ds_load_u8 v103, v81
	v_mad_co_u64_u32 v[22:23], null, v99, 7, v[30:31]
	v_mad_co_u64_u32 v[23:24], null, v97, 7, v[34:35]
	;; [unrolled: 1-line block ×3, first 2 shown]
	s_wait_loadcnt_dscnt 0x0
	s_barrier_signal -1
	s_barrier_wait -1
	global_inv scope:SCOPE_SE
	ds_store_b64 v32, v[18:19]
	ds_store_b64 v22, v[15:16]
	;; [unrolled: 1-line block ×4, first 2 shown]
	s_wait_loadcnt_dscnt 0x0
	s_barrier_signal -1
	s_barrier_wait -1
	global_inv scope:SCOPE_SE
	ds_load_b64 v[24:25], v70
	ds_load_b64 v[26:27], v83
	;; [unrolled: 1-line block ×4, first 2 shown]
	v_add_nc_u32_e32 v86, -8, v86
	v_perm_b32 v33, v39, v33, 0xc0c0004
	s_xor_b32 s20, exec_lo, -1
	v_perm_b32 v39, v103, v64, 0xc0c0004
	s_wait_loadcnt_dscnt 0x0
	s_barrier_signal -1
	s_barrier_wait -1
	global_inv scope:SCOPE_SE
	v_lshl_or_b32 v64, v39, 16, v33
	s_branch .LBB398_95
.LBB398_112:
	flat_load_b64 v[32:33], v[4:5]
	s_wait_alu 0xfffe
	s_or_b32 exec_lo, exec_lo, s7
                                        ; implicit-def: $vgpr36_vgpr37
	s_and_saveexec_b32 s7, s0
	s_cbranch_execz .LBB398_20
.LBB398_113:
	flat_load_b64 v[36:37], v[4:5] offset:256
	s_wait_alu 0xfffe
	s_or_b32 exec_lo, exec_lo, s7
                                        ; implicit-def: $vgpr38_vgpr39
	s_and_saveexec_b32 s0, s1
	s_cbranch_execz .LBB398_21
.LBB398_114:
	flat_load_b64 v[38:39], v[4:5] offset:512
	s_wait_alu 0xfffe
	s_or_b32 exec_lo, exec_lo, s0
                                        ; implicit-def: $vgpr48_vgpr49
	s_and_saveexec_b32 s0, s2
	s_cbranch_execz .LBB398_22
.LBB398_115:
	flat_load_b64 v[48:49], v[4:5] offset:768
	s_wait_alu 0xfffe
	s_or_b32 exec_lo, exec_lo, s0
                                        ; implicit-def: $vgpr50_vgpr51
	s_and_saveexec_b32 s0, s3
	s_cbranch_execz .LBB398_23
.LBB398_116:
	flat_load_b64 v[50:51], v[4:5] offset:1024
	s_wait_alu 0xfffe
	s_or_b32 exec_lo, exec_lo, s0
                                        ; implicit-def: $vgpr52_vgpr53
	s_and_saveexec_b32 s0, s4
	s_cbranch_execz .LBB398_24
.LBB398_117:
	flat_load_b64 v[52:53], v[4:5] offset:1280
	s_wait_alu 0xfffe
	s_or_b32 exec_lo, exec_lo, s0
                                        ; implicit-def: $vgpr54_vgpr55
	s_and_saveexec_b32 s0, s5
	s_cbranch_execz .LBB398_25
.LBB398_118:
	flat_load_b64 v[54:55], v[4:5] offset:1536
	s_wait_alu 0xfffe
	s_or_b32 exec_lo, exec_lo, s0
                                        ; implicit-def: $vgpr34_vgpr35
	s_and_saveexec_b32 s0, s6
	s_cbranch_execnz .LBB398_26
	s_branch .LBB398_27
.LBB398_119:
	flat_store_b64 v[0:1], v[21:22]
	s_wait_alu 0xfffe
	s_or_b32 exec_lo, exec_lo, s7
	s_and_saveexec_b32 s7, s0
	s_cbranch_execz .LBB398_71
.LBB398_120:
	flat_store_b64 v[0:1], v[23:24] offset:2048
	s_wait_alu 0xfffe
	s_or_b32 exec_lo, exec_lo, s7
	s_and_saveexec_b32 s0, s1
	s_cbranch_execz .LBB398_72
.LBB398_121:
	flat_store_b64 v[0:1], v[17:18] offset:4096
	s_wait_alu 0xfffe
	s_or_b32 exec_lo, exec_lo, s0
	s_and_saveexec_b32 s0, s2
	s_cbranch_execz .LBB398_73
.LBB398_122:
	flat_store_b64 v[0:1], v[19:20] offset:6144
	s_wait_alu 0xfffe
	s_or_b32 exec_lo, exec_lo, s0
	s_and_saveexec_b32 s0, s3
	s_cbranch_execz .LBB398_74
.LBB398_123:
	flat_store_b64 v[0:1], v[13:14] offset:8192
	s_wait_alu 0xfffe
	s_or_b32 exec_lo, exec_lo, s0
	s_and_saveexec_b32 s0, s4
	s_cbranch_execz .LBB398_75
.LBB398_124:
	flat_store_b64 v[0:1], v[15:16] offset:10240
	s_wait_alu 0xfffe
	s_or_b32 exec_lo, exec_lo, s0
	s_and_saveexec_b32 s0, s5
	s_cbranch_execz .LBB398_76
.LBB398_125:
	flat_store_b64 v[0:1], v[9:10] offset:12288
	s_wait_alu 0xfffe
	s_or_b32 exec_lo, exec_lo, s0
	s_and_saveexec_b32 s0, s6
	s_cbranch_execnz .LBB398_77
	s_branch .LBB398_78
.LBB398_126:
	s_or_b32 exec_lo, exec_lo, s19
	v_mad_co_u64_u32 v[9:10], null, v99, 7, v[30:31]
	v_mad_co_u64_u32 v[10:11], null, v97, 7, v[34:35]
	v_add_nc_u32_e32 v13, v12, v14
	v_mad_co_u64_u32 v[11:12], null, v96, 7, v[36:37]
	v_mul_u32_u24_e32 v12, 7, v14
	s_barrier_signal -1
	s_barrier_wait -1
	s_wait_loadcnt 0x0
	global_inv scope:SCOPE_SE
	ds_store_b8 v38, v100
	ds_store_b8 v30, v101
	;; [unrolled: 1-line block ×4, first 2 shown]
	s_wait_loadcnt_dscnt 0x0
	s_barrier_signal -1
	s_barrier_wait -1
	global_inv scope:SCOPE_SE
	ds_load_u8 v25, v13
	ds_load_u8 v24, v13 offset:256
	ds_load_u8 v23, v13 offset:512
	ds_load_u8 v22, v13 offset:768
	s_wait_loadcnt_dscnt 0x0
	s_barrier_signal -1
	s_barrier_wait -1
	global_inv scope:SCOPE_SE
	ds_store_b64 v32, v[18:19]
	ds_store_b64 v9, v[15:16]
	;; [unrolled: 1-line block ×4, first 2 shown]
	v_mov_b32_e32 v18, 0
	v_add_nc_u32_e32 v4, v13, v12
	s_wait_loadcnt_dscnt 0x0
	s_barrier_signal -1
	s_barrier_wait -1
	global_inv scope:SCOPE_SE
	ds_load_2addr_stride64_b64 v[13:16], v4 offset1:4
	ds_load_2addr_stride64_b64 v[9:12], v4 offset0:8 offset1:12
	v_add_co_u32 v2, vcc_lo, v2, v8
	s_wait_alu 0xfffd
	v_add_co_ci_u32_e64 v3, null, 0, v3, vcc_lo
	s_wait_loadcnt_dscnt 0x0
	s_delay_alu instid0(VALU_DEP_2) | instskip(SKIP_1) | instid1(VALU_DEP_2)
	v_add_co_u32 v2, vcc_lo, v2, v17
	s_wait_alu 0xfffd
	v_add_co_ci_u32_e64 v3, null, 0, v3, vcc_lo
	v_cmp_lt_u32_e32 vcc_lo, v17, v98
	s_barrier_signal -1
	s_barrier_wait -1
	global_inv scope:SCOPE_SE
	s_and_saveexec_b32 s0, vcc_lo
	s_cbranch_execz .LBB398_128
; %bb.127:
	v_xor_b32_e32 v4, 0x80, v25
	flat_store_b8 v[2:3], v4
.LBB398_128:
	s_wait_alu 0xfffe
	s_or_b32 exec_lo, exec_lo, s0
	v_add_nc_u32_e32 v4, 0x100, v17
	s_delay_alu instid0(VALU_DEP_1)
	v_cmp_lt_u32_e64 s0, v4, v98
	s_and_saveexec_b32 s1, s0
	s_cbranch_execz .LBB398_130
; %bb.129:
	v_xor_b32_e32 v4, 0x80, v24
	flat_store_b8 v[2:3], v4 offset:256
.LBB398_130:
	s_wait_alu 0xfffe
	s_or_b32 exec_lo, exec_lo, s1
	v_add_nc_u32_e32 v4, 0x200, v17
	s_delay_alu instid0(VALU_DEP_1)
	v_cmp_lt_u32_e64 s1, v4, v98
	s_and_saveexec_b32 s2, s1
	s_cbranch_execz .LBB398_132
; %bb.131:
	v_xor_b32_e32 v4, 0x80, v23
	flat_store_b8 v[2:3], v4 offset:512
.LBB398_132:
	s_wait_alu 0xfffe
	s_or_b32 exec_lo, exec_lo, s2
	v_add_nc_u32_e32 v4, 0x300, v17
	s_delay_alu instid0(VALU_DEP_1)
	v_cmp_lt_u32_e64 s2, v4, v98
	s_and_saveexec_b32 s3, s2
	s_cbranch_execz .LBB398_134
; %bb.133:
	v_xor_b32_e32 v4, 0x80, v22
	flat_store_b8 v[2:3], v4 offset:768
.LBB398_134:
	s_wait_alu 0xfffe
	s_or_b32 exec_lo, exec_lo, s3
	v_lshlrev_b64_e32 v[2:3], 3, v[17:18]
	v_add_co_u32 v0, s3, v6, v0
	s_wait_alu 0xf1ff
	v_add_co_ci_u32_e64 v1, null, v7, v1, s3
	s_delay_alu instid0(VALU_DEP_2) | instskip(SKIP_1) | instid1(VALU_DEP_2)
	v_add_co_u32 v0, s3, v0, v2
	s_wait_alu 0xf1ff
	v_add_co_ci_u32_e64 v1, null, v1, v3, s3
	s_and_saveexec_b32 s3, vcc_lo
	s_cbranch_execnz .LBB398_167
; %bb.135:
	s_wait_alu 0xfffe
	s_or_b32 exec_lo, exec_lo, s3
	s_and_saveexec_b32 s3, s0
	s_cbranch_execnz .LBB398_168
.LBB398_136:
	s_wait_alu 0xfffe
	s_or_b32 exec_lo, exec_lo, s3
	s_and_saveexec_b32 s0, s1
	s_cbranch_execnz .LBB398_169
.LBB398_137:
	s_wait_alu 0xfffe
	s_or_b32 exec_lo, exec_lo, s0
	s_and_saveexec_b32 s0, s2
	s_cbranch_execz .LBB398_139
.LBB398_138:
	flat_store_b64 v[0:1], v[11:12] offset:6144
.LBB398_139:
	s_wait_alu 0xfffe
	s_or_b32 exec_lo, exec_lo, s0
                                        ; implicit-def: $vgpr98
                                        ; implicit-def: $vgpr0
                                        ; implicit-def: $vgpr1
                                        ; implicit-def: $vgpr2
                                        ; implicit-def: $vgpr3
                                        ; implicit-def: $vgpr4
                                        ; implicit-def: $vgpr5
                                        ; implicit-def: $vgpr6
                                        ; implicit-def: $vgpr7
                                        ; implicit-def: $vgpr8
                                        ; implicit-def: $vgpr10
                                        ; implicit-def: $vgpr11
                                        ; implicit-def: $vgpr12
                                        ; implicit-def: $vgpr13
                                        ; implicit-def: $vgpr9
                                        ; implicit-def: $vgpr15
                                        ; implicit-def: $vgpr14
                                        ; implicit-def: $vgpr30
.LBB398_140:
	s_wait_alu 0xfffe
	s_and_not1_saveexec_b32 s0, s17
	s_cbranch_execz .LBB398_199
; %bb.141:
	s_load_b64 s[0:1], s[8:9], 0x0
	s_and_b32 s2, ttmp7, 0xffff
	s_mov_b32 s3, 0
	s_wait_kmcnt 0x0
	s_wait_alu 0xfffe
	s_cmp_lt_u32 s2, s1
	s_cselect_b32 s2, 14, 20
	s_cmp_lt_u32 ttmp9, s0
	s_wait_alu 0xfffe
	s_add_nc_u64 s[4:5], s[8:9], s[2:3]
	s_cselect_b32 s2, 12, 18
	s_load_u16 s4, s[4:5], 0x0
	s_add_nc_u64 s[0:1], s[8:9], s[2:3]
	s_load_u16 s0, s[0:1], 0x0
	s_wait_kmcnt 0x0
	v_mad_u32_u24 v9, v15, s4, v9
	s_delay_alu instid0(VALU_DEP_1)
	v_mad_co_u64_u32 v[15:16], null, v9, s0, v[14:15]
	v_mov_b32_e32 v9, 0
	s_mov_b32 s0, exec_lo
	v_cmpx_lt_u32_e32 0x100, v98
	s_wait_alu 0xfffe
	s_xor_b32 s14, exec_lo, s0
	s_cbranch_execz .LBB398_179
; %bb.142:
	s_delay_alu instid0(VALU_DEP_3) | instskip(SKIP_3) | instid1(VALU_DEP_3)
	v_dual_mov_b32 v17, v9 :: v_dual_lshlrev_b32 v16, 1, v15
	v_add_co_u32 v0, vcc_lo, v0, v8
	s_wait_alu 0xfffd
	v_add_co_ci_u32_e64 v1, null, 0, v1, vcc_lo
	v_and_b32_e32 v16, 0xffffffc0, v16
	s_delay_alu instid0(VALU_DEP_3) | instskip(SKIP_1) | instid1(VALU_DEP_3)
	v_add_co_u32 v0, vcc_lo, v0, v30
	s_wait_alu 0xfffd
	v_add_co_ci_u32_e64 v1, null, 0, v1, vcc_lo
	s_delay_alu instid0(VALU_DEP_3) | instskip(NEXT) | instid1(VALU_DEP_3)
	v_or_b32_e32 v18, v30, v16
	v_add_co_u32 v0, vcc_lo, v0, v16
	s_wait_alu 0xfffd
	s_delay_alu instid0(VALU_DEP_3) | instskip(NEXT) | instid1(VALU_DEP_3)
	v_add_co_ci_u32_e64 v1, null, 0, v1, vcc_lo
	v_cmp_lt_u32_e32 vcc_lo, v18, v98
	v_dual_mov_b32 v22, 0x7f :: v_dual_mov_b32 v23, 0x7f
	s_and_saveexec_b32 s0, vcc_lo
	s_cbranch_execz .LBB398_144
; %bb.143:
	flat_load_u8 v23, v[0:1]
.LBB398_144:
	s_wait_alu 0xfffe
	s_or_b32 exec_lo, exec_lo, s0
	v_or_b32_e32 v18, 32, v18
	s_delay_alu instid0(VALU_DEP_1)
	v_cmp_lt_u32_e64 s0, v18, v98
	s_and_saveexec_b32 s1, s0
	s_cbranch_execz .LBB398_146
; %bb.145:
	flat_load_u8 v22, v[0:1] offset:32
.LBB398_146:
	s_wait_alu 0xfffe
	s_or_b32 exec_lo, exec_lo, s1
	v_lshlrev_b64_e32 v[0:1], 3, v[8:9]
	v_dual_mov_b32 v20, 0 :: v_dual_lshlrev_b32 v9, 3, v30
	v_lshlrev_b64_e32 v[16:17], 3, v[16:17]
	v_dual_mov_b32 v21, 0 :: v_dual_mov_b32 v18, 0
	s_delay_alu instid0(VALU_DEP_4) | instskip(SKIP_3) | instid1(VALU_DEP_3)
	v_add_co_u32 v4, s1, v4, v0
	s_wait_alu 0xf1ff
	v_add_co_ci_u32_e64 v5, null, v5, v1, s1
	v_mov_b32_e32 v19, 0
	v_add_co_u32 v4, s1, v4, v9
	s_wait_alu 0xf1ff
	s_delay_alu instid0(VALU_DEP_3) | instskip(NEXT) | instid1(VALU_DEP_2)
	v_add_co_ci_u32_e64 v5, null, 0, v5, s1
	v_add_co_u32 v4, s1, v4, v16
	s_wait_alu 0xf1ff
	s_delay_alu instid0(VALU_DEP_2)
	v_add_co_ci_u32_e64 v5, null, v5, v17, s1
	s_and_saveexec_b32 s1, vcc_lo
	s_cbranch_execz .LBB398_148
; %bb.147:
	flat_load_b64 v[18:19], v[4:5]
.LBB398_148:
	s_wait_alu 0xfffe
	s_or_b32 exec_lo, exec_lo, s1
	s_and_saveexec_b32 s1, s0
	s_cbranch_execz .LBB398_150
; %bb.149:
	flat_load_b64 v[20:21], v[4:5] offset:256
.LBB398_150:
	s_wait_alu 0xfffe
	s_or_b32 exec_lo, exec_lo, s1
	s_wait_loadcnt_dscnt 0x0
	v_xor_b32_e32 v4, 0x80, v23
	v_xor_b32_e32 v5, 0x80, v22
	v_lshl_add_u32 v16, v14, 5, v12
	v_sub_co_u32 v17, s2, v30, 1
	s_delay_alu instid0(VALU_DEP_4) | instskip(NEXT) | instid1(VALU_DEP_4)
	v_dual_mov_b32 v49, 0 :: v_dual_and_b32 v4, 0xff, v4
	v_lshlrev_b16 v5, 8, v5
	s_delay_alu instid0(VALU_DEP_4)
	v_add_nc_u32_e32 v9, 32, v16
	v_add_nc_u32_e32 v29, 36, v16
	;; [unrolled: 1-line block ×4, first 2 shown]
	v_or_b32_e32 v4, v4, v5
	v_add_nc_u32_e32 v33, 48, v16
	v_add_nc_u32_e32 v34, 52, v16
	v_and_b32_e32 v5, 15, v30
	v_add_nc_u32_e32 v35, 56, v16
	v_and_b32_e32 v38, 0xffff, v4
	v_and_b32_e32 v4, 0x3e0, v14
	v_add_nc_u32_e32 v36, 60, v16
	v_and_b32_e32 v16, 16, v30
	v_cmp_gt_i32_e64 s6, 0, v17
	s_getpc_b64 s[0:1]
	s_wait_alu 0xfffe
	s_sext_i32_i16 s1, s1
	s_add_co_u32 s0, s0, _ZN7rocprim17ROCPRIM_400000_NS16block_radix_sortIaLj256ELj2ElLj1ELj1ELj8ELNS0_26block_radix_rank_algorithmE2ELNS0_18block_padding_hintE2ELNS0_4arch9wavefront6targetE0EE19radix_bits_per_passE@rel32@lo+12
	s_wait_alu 0xfffe
	s_add_co_ci_u32 s1, s1, _ZN7rocprim17ROCPRIM_400000_NS16block_radix_sortIaLj256ELj2ElLj1ELj1ELj8ELNS0_26block_radix_rank_algorithmE2ELNS0_18block_padding_hintE2ELNS0_4arch9wavefront6targetE0EE19radix_bits_per_passE@rel32@hi+24
	v_min_u32_e32 v4, 0xe0, v4
	s_load_b32 s15, s[0:1], 0x0
	v_cmp_eq_u32_e32 vcc_lo, 0, v5
	v_cmp_lt_u32_e64 s0, 1, v5
	v_cmp_lt_u32_e64 s1, 3, v5
	v_or_b32_e32 v4, 31, v4
	v_cmp_lt_u32_e64 s3, 7, v5
	v_cmp_eq_u32_e64 s4, 0, v16
	v_cndmask_b32_e64 v5, v17, v30, s6
	v_lshrrev_b32_e32 v16, 3, v14
	v_cmp_eq_u32_e64 s5, v14, v4
	v_lshlrev_b32_e32 v4, 1, v14
	v_lshrrev_b32_e32 v37, 5, v15
	v_lshlrev_b32_e32 v39, 2, v5
	v_and_b32_e32 v5, 0x7c, v16
	v_and_b32_e32 v16, 7, v30
	v_and_or_b32 v4, 0x7c0, v4, v30
	v_cmp_gt_u32_e64 s6, 8, v14
	v_cmp_lt_u32_e64 s7, 31, v14
	v_add_nc_u32_e32 v48, v12, v5
	v_cmp_eq_u32_e64 s8, 0, v14
	v_add_nc_u32_e32 v30, v12, v4
	v_mul_u32_u24_e32 v4, 7, v4
	v_lshl_add_u32 v50, v14, 2, v12
	v_cmp_eq_u32_e64 s9, 0, v16
	v_cmp_lt_u32_e64 s10, 1, v16
	v_cmp_lt_u32_e64 s11, 3, v16
	v_add_nc_u32_e32 v51, v30, v4
	v_add_nc_u32_e32 v52, -4, v48
	v_add_nc_u32_e32 v53, 32, v30
	v_sub_nc_u32_e32 v55, v11, v10
	s_mov_b32 s17, 0
	v_add_nc_u32_e32 v54, 0x100, v51
	s_wait_storecnt 0x0
	s_barrier_signal -1
	s_barrier_wait -1
	global_inv scope:SCOPE_SE
	s_branch .LBB398_152
.LBB398_151:                            ;   in Loop: Header=BB398_152 Depth=1
	s_wait_alu 0xfffe
	s_or_b32 exec_lo, exec_lo, s13
	s_delay_alu instid0(SALU_CYCLE_1)
	s_and_b32 s12, exec_lo, s18
	s_wait_alu 0xfffe
	s_or_b32 s17, s12, s17
	s_wait_alu 0xfffe
	s_and_not1_b32 exec_lo, exec_lo, s17
	s_cbranch_execz .LBB398_170
.LBB398_152:                            ; =>This Inner Loop Header: Depth=1
	s_wait_kmcnt 0x0
	v_min_u32_e32 v4, s15, v55
	v_and_b32_e32 v5, 0xff, v38
	ds_store_b32 v9, v49
	ds_store_b32 v29, v49
	;; [unrolled: 1-line block ×6, first 2 shown]
	v_lshlrev_b32_e64 v4, v4, -1
	v_lshrrev_b32_e32 v5, v10, v5
	ds_store_b32 v35, v49
	ds_store_b32 v36, v49
	s_wait_loadcnt_dscnt 0x0
	s_barrier_signal -1
	v_not_b32_e32 v22, v4
	s_barrier_wait -1
	global_inv scope:SCOPE_SE
	; wave barrier
	v_dual_mov_b32 v4, v20 :: v_dual_and_b32 v23, v5, v22
	s_delay_alu instid0(VALU_DEP_1)
	v_dual_mov_b32 v5, v21 :: v_dual_and_b32 v16, 1, v23
	v_lshlrev_b32_e32 v17, 30, v23
	v_lshlrev_b32_e32 v20, 29, v23
	;; [unrolled: 1-line block ×4, first 2 shown]
	v_add_co_u32 v16, s12, v16, -1
	s_wait_alu 0xf1ff
	v_cndmask_b32_e64 v24, 0, 1, s12
	v_not_b32_e32 v28, v17
	v_cmp_gt_i32_e64 s13, 0, v17
	v_not_b32_e32 v17, v20
	v_lshlrev_b32_e32 v26, 26, v23
	v_cmp_ne_u32_e64 s12, 0, v24
	v_ashrrev_i32_e32 v28, 31, v28
	v_lshlrev_b32_e32 v27, 25, v23
	v_ashrrev_i32_e32 v17, 31, v17
	v_lshlrev_b32_e32 v24, 24, v23
	s_wait_alu 0xf1ff
	v_xor_b32_e32 v16, s12, v16
	v_cmp_gt_i32_e64 s12, 0, v20
	v_not_b32_e32 v20, v21
	v_xor_b32_e32 v28, s13, v28
	v_cmp_gt_i32_e64 s13, 0, v21
	v_and_b32_e32 v16, exec_lo, v16
	v_not_b32_e32 v21, v25
	v_ashrrev_i32_e32 v20, 31, v20
	s_wait_alu 0xf1ff
	v_xor_b32_e32 v17, s12, v17
	v_cmp_gt_i32_e64 s12, 0, v25
	v_and_b32_e32 v16, v16, v28
	v_not_b32_e32 v25, v26
	v_ashrrev_i32_e32 v21, 31, v21
	v_xor_b32_e32 v20, s13, v20
	v_cmp_gt_i32_e64 s13, 0, v26
	v_and_b32_e32 v16, v16, v17
	v_not_b32_e32 v17, v27
	v_ashrrev_i32_e32 v25, 31, v25
	s_wait_alu 0xf1ff
	v_xor_b32_e32 v21, s12, v21
	v_cmp_gt_i32_e64 s12, 0, v27
	v_and_b32_e32 v16, v16, v20
	v_not_b32_e32 v20, v24
	v_ashrrev_i32_e32 v26, 31, v17
	v_xor_b32_e32 v25, s13, v25
	v_cmp_gt_i32_e64 s13, 0, v24
	v_dual_mov_b32 v16, v18 :: v_dual_and_b32 v21, v16, v21
	v_mov_b32_e32 v17, v19
	v_ashrrev_i32_e32 v18, 31, v20
	s_wait_alu 0xf1ff
	v_xor_b32_e32 v19, s12, v26
	v_and_b32_e32 v20, v21, v25
	v_lshlrev_b32_e32 v21, 3, v23
	v_xor_b32_e32 v18, s13, v18
	s_delay_alu instid0(VALU_DEP_3) | instskip(NEXT) | instid1(VALU_DEP_1)
	v_and_b32_e32 v19, v20, v19
	v_and_b32_e32 v20, v19, v18
	s_delay_alu instid0(VALU_DEP_4) | instskip(NEXT) | instid1(VALU_DEP_2)
	v_add_lshl_u32 v19, v21, v37, 2
	v_mbcnt_lo_u32_b32 v18, v20, 0
	s_delay_alu instid0(VALU_DEP_2) | instskip(SKIP_1) | instid1(VALU_DEP_3)
	v_add_co_u32 v19, null, v12, v19
	v_cmp_ne_u32_e64 s13, 0, v20
	v_cmp_eq_u32_e64 s12, 0, v18
	s_delay_alu instid0(VALU_DEP_3)
	v_add_co_u32 v19, null, v19, 32
	s_and_b32 s13, s13, s12
	s_wait_alu 0xfffe
	s_and_saveexec_b32 s12, s13
; %bb.153:                              ;   in Loop: Header=BB398_152 Depth=1
	v_bcnt_u32_b32 v20, v20, 0
	ds_store_b32 v19, v20
; %bb.154:                              ;   in Loop: Header=BB398_152 Depth=1
	s_wait_alu 0xfffe
	s_or_b32 exec_lo, exec_lo, s12
	v_lshrrev_b16 v64, 8, v38
	; wave barrier
	s_delay_alu instid0(VALU_DEP_1) | instskip(NEXT) | instid1(VALU_DEP_1)
	v_and_b32_e32 v20, 0xffff, v64
	v_lshrrev_b32_e32 v20, v10, v20
	s_delay_alu instid0(VALU_DEP_1) | instskip(NEXT) | instid1(VALU_DEP_1)
	v_and_b32_e32 v20, v20, v22
	v_and_b32_e32 v21, 1, v20
	v_lshlrev_b32_e32 v22, 30, v20
	v_lshlrev_b32_e32 v23, 29, v20
	;; [unrolled: 1-line block ×4, first 2 shown]
	v_add_co_u32 v21, s12, v21, -1
	s_wait_alu 0xf1ff
	v_cndmask_b32_e64 v25, 0, 1, s12
	v_not_b32_e32 v65, v22
	v_cmp_gt_i32_e64 s13, 0, v22
	v_not_b32_e32 v22, v23
	v_lshlrev_b32_e32 v27, 26, v20
	v_cmp_ne_u32_e64 s12, 0, v25
	v_ashrrev_i32_e32 v65, 31, v65
	v_lshlrev_b32_e32 v28, 25, v20
	v_ashrrev_i32_e32 v22, 31, v22
	v_lshlrev_b32_e32 v25, 24, v20
	s_wait_alu 0xf1ff
	v_xor_b32_e32 v21, s12, v21
	v_cmp_gt_i32_e64 s12, 0, v23
	v_not_b32_e32 v23, v24
	v_xor_b32_e32 v65, s13, v65
	v_cmp_gt_i32_e64 s13, 0, v24
	v_and_b32_e32 v21, exec_lo, v21
	v_not_b32_e32 v24, v26
	v_ashrrev_i32_e32 v23, 31, v23
	s_wait_alu 0xf1ff
	v_xor_b32_e32 v22, s12, v22
	v_cmp_gt_i32_e64 s12, 0, v26
	v_and_b32_e32 v21, v21, v65
	v_not_b32_e32 v26, v27
	v_ashrrev_i32_e32 v24, 31, v24
	v_xor_b32_e32 v23, s13, v23
	v_cmp_gt_i32_e64 s13, 0, v27
	v_and_b32_e32 v21, v21, v22
	v_not_b32_e32 v22, v28
	v_ashrrev_i32_e32 v26, 31, v26
	s_wait_alu 0xf1ff
	v_xor_b32_e32 v24, s12, v24
	v_cmp_gt_i32_e64 s12, 0, v28
	v_and_b32_e32 v21, v21, v23
	v_not_b32_e32 v23, v25
	v_ashrrev_i32_e32 v22, 31, v22
	v_xor_b32_e32 v26, s13, v26
	v_lshl_add_u32 v20, v20, 3, v37
	v_and_b32_e32 v21, v21, v24
	v_cmp_gt_i32_e64 s13, 0, v25
	v_ashrrev_i32_e32 v23, 31, v23
	s_wait_alu 0xf1ff
	v_xor_b32_e32 v22, s12, v22
	v_lshl_add_u32 v24, v20, 2, v12
	v_and_b32_e32 v21, v21, v26
	v_xor_b32_e32 v23, s13, v23
	ds_load_b32 v20, v24 offset:32
	v_and_b32_e32 v21, v21, v22
	v_add_nc_u32_e32 v22, 32, v24
	; wave barrier
	s_delay_alu instid0(VALU_DEP_2) | instskip(NEXT) | instid1(VALU_DEP_1)
	v_and_b32_e32 v23, v21, v23
	v_mbcnt_lo_u32_b32 v21, v23, 0
	v_cmp_ne_u32_e64 s13, 0, v23
	s_delay_alu instid0(VALU_DEP_2)
	v_cmp_eq_u32_e64 s12, 0, v21
	s_and_b32 s13, s13, s12
	s_wait_alu 0xfffe
	s_and_saveexec_b32 s12, s13
	s_cbranch_execz .LBB398_156
; %bb.155:                              ;   in Loop: Header=BB398_152 Depth=1
	s_wait_dscnt 0x0
	v_bcnt_u32_b32 v23, v23, v20
	ds_store_b32 v22, v23
.LBB398_156:                            ;   in Loop: Header=BB398_152 Depth=1
	s_wait_alu 0xfffe
	s_or_b32 exec_lo, exec_lo, s12
	; wave barrier
	s_wait_loadcnt_dscnt 0x0
	s_barrier_signal -1
	s_barrier_wait -1
	global_inv scope:SCOPE_SE
	ds_load_b32 v24, v9
	ds_load_b32 v25, v29
	;; [unrolled: 1-line block ×8, first 2 shown]
	s_wait_dscnt 0x6
	v_add_nc_u32_e32 v67, v25, v24
	s_wait_dscnt 0x4
	s_delay_alu instid0(VALU_DEP_1) | instskip(SKIP_1) | instid1(VALU_DEP_1)
	v_add3_u32 v67, v67, v26, v27
	s_wait_dscnt 0x2
	v_add3_u32 v67, v67, v28, v65
	s_wait_dscnt 0x0
	s_delay_alu instid0(VALU_DEP_1) | instskip(NEXT) | instid1(VALU_DEP_1)
	v_add3_u32 v66, v67, v23, v66
	v_mov_b32_dpp v67, v66 row_shr:1 row_mask:0xf bank_mask:0xf
	s_wait_alu 0xfffd
	s_delay_alu instid0(VALU_DEP_1) | instskip(NEXT) | instid1(VALU_DEP_1)
	v_cndmask_b32_e64 v67, v67, 0, vcc_lo
	v_add_nc_u32_e32 v66, v67, v66
	s_delay_alu instid0(VALU_DEP_1) | instskip(NEXT) | instid1(VALU_DEP_1)
	v_mov_b32_dpp v67, v66 row_shr:2 row_mask:0xf bank_mask:0xf
	v_cndmask_b32_e64 v67, 0, v67, s0
	s_delay_alu instid0(VALU_DEP_1) | instskip(NEXT) | instid1(VALU_DEP_1)
	v_add_nc_u32_e32 v66, v66, v67
	v_mov_b32_dpp v67, v66 row_shr:4 row_mask:0xf bank_mask:0xf
	s_delay_alu instid0(VALU_DEP_1) | instskip(NEXT) | instid1(VALU_DEP_1)
	v_cndmask_b32_e64 v67, 0, v67, s1
	v_add_nc_u32_e32 v66, v66, v67
	s_delay_alu instid0(VALU_DEP_1) | instskip(NEXT) | instid1(VALU_DEP_1)
	v_mov_b32_dpp v67, v66 row_shr:8 row_mask:0xf bank_mask:0xf
	v_cndmask_b32_e64 v67, 0, v67, s3
	s_delay_alu instid0(VALU_DEP_1) | instskip(SKIP_3) | instid1(VALU_DEP_1)
	v_add_nc_u32_e32 v66, v66, v67
	ds_swizzle_b32 v67, v66 offset:swizzle(BROADCAST,32,15)
	s_wait_dscnt 0x0
	v_cndmask_b32_e64 v67, v67, 0, s4
	v_add_nc_u32_e32 v66, v66, v67
	s_and_saveexec_b32 s12, s5
; %bb.157:                              ;   in Loop: Header=BB398_152 Depth=1
	ds_store_b32 v48, v66
; %bb.158:                              ;   in Loop: Header=BB398_152 Depth=1
	s_wait_alu 0xfffe
	s_or_b32 exec_lo, exec_lo, s12
	s_wait_loadcnt_dscnt 0x0
	s_barrier_signal -1
	s_barrier_wait -1
	global_inv scope:SCOPE_SE
	s_and_saveexec_b32 s12, s6
	s_cbranch_execz .LBB398_160
; %bb.159:                              ;   in Loop: Header=BB398_152 Depth=1
	ds_load_b32 v67, v50
	s_wait_dscnt 0x0
	v_mov_b32_dpp v68, v67 row_shr:1 row_mask:0xf bank_mask:0xf
	s_delay_alu instid0(VALU_DEP_1) | instskip(NEXT) | instid1(VALU_DEP_1)
	v_cndmask_b32_e64 v68, v68, 0, s9
	v_add_nc_u32_e32 v67, v68, v67
	s_delay_alu instid0(VALU_DEP_1) | instskip(NEXT) | instid1(VALU_DEP_1)
	v_mov_b32_dpp v68, v67 row_shr:2 row_mask:0xf bank_mask:0xf
	v_cndmask_b32_e64 v68, 0, v68, s10
	s_delay_alu instid0(VALU_DEP_1) | instskip(NEXT) | instid1(VALU_DEP_1)
	v_add_nc_u32_e32 v67, v67, v68
	v_mov_b32_dpp v68, v67 row_shr:4 row_mask:0xf bank_mask:0xf
	s_delay_alu instid0(VALU_DEP_1) | instskip(NEXT) | instid1(VALU_DEP_1)
	v_cndmask_b32_e64 v68, 0, v68, s11
	v_add_nc_u32_e32 v67, v67, v68
	ds_store_b32 v50, v67
.LBB398_160:                            ;   in Loop: Header=BB398_152 Depth=1
	s_wait_alu 0xfffe
	s_or_b32 exec_lo, exec_lo, s12
	v_mov_b32_e32 v67, 0
	s_wait_loadcnt_dscnt 0x0
	s_barrier_signal -1
	s_barrier_wait -1
	global_inv scope:SCOPE_SE
	s_and_saveexec_b32 s12, s7
; %bb.161:                              ;   in Loop: Header=BB398_152 Depth=1
	ds_load_b32 v67, v52
; %bb.162:                              ;   in Loop: Header=BB398_152 Depth=1
	s_wait_alu 0xfffe
	s_or_b32 exec_lo, exec_lo, s12
	s_wait_dscnt 0x0
	v_add_nc_u32_e32 v66, v67, v66
	v_add_nc_u32_e32 v10, 8, v10
	s_mov_b32 s18, -1
	s_mov_b32 s13, exec_lo
	ds_bpermute_b32 v66, v39, v66
	s_wait_dscnt 0x0
	v_cndmask_b32_e64 v66, v66, v67, s2
	s_delay_alu instid0(VALU_DEP_1) | instskip(NEXT) | instid1(VALU_DEP_1)
	v_cndmask_b32_e64 v66, v66, 0, s8
	v_add_nc_u32_e32 v24, v66, v24
	s_delay_alu instid0(VALU_DEP_1) | instskip(SKIP_4) | instid1(VALU_DEP_1)
	v_add_nc_u32_e32 v25, v24, v25
	ds_store_b32 v9, v66
	ds_store_b32 v29, v24
	;; [unrolled: 1-line block ×3, first 2 shown]
	v_add_nc_u32_e32 v26, v25, v26
	v_add_nc_u32_e32 v27, v26, v27
	s_delay_alu instid0(VALU_DEP_1) | instskip(NEXT) | instid1(VALU_DEP_1)
	v_add_nc_u32_e32 v28, v27, v28
	v_add_nc_u32_e32 v65, v28, v65
	s_delay_alu instid0(VALU_DEP_1)
	v_add_nc_u32_e32 v23, v65, v23
	ds_store_b32 v32, v26
	ds_store_b32 v33, v27
	;; [unrolled: 1-line block ×5, first 2 shown]
	s_wait_loadcnt_dscnt 0x0
	s_barrier_signal -1
	s_barrier_wait -1
	global_inv scope:SCOPE_SE
	ds_load_b32 v19, v19
	ds_load_b32 v22, v22
	s_wait_loadcnt_dscnt 0x0
	v_add_nc_u32_e32 v18, v19, v18
	v_add3_u32 v19, v21, v20, v22
                                        ; implicit-def: $vgpr20_vgpr21
	s_delay_alu instid0(VALU_DEP_2) | instskip(SKIP_2) | instid1(VALU_DEP_3)
	v_add_co_u32 v25, s12, v12, v18
	s_wait_alu 0xf1ff
	v_add_co_ci_u32_e64 v26, null, 0, v13, s12
	v_add_co_u32 v27, s12, v12, v19
	s_wait_alu 0xf1ff
	v_add_co_ci_u32_e64 v28, null, 0, v13, s12
	s_delay_alu instid0(VALU_DEP_3) | instskip(NEXT) | instid1(VALU_DEP_2)
	v_mad_co_u64_u32 v[22:23], null, v18, 7, v[25:26]
	v_mad_co_u64_u32 v[23:24], null, v19, 7, v[27:28]
	v_mov_b32_e32 v24, v38
                                        ; implicit-def: $vgpr18_vgpr19
	v_cmpx_lt_u32_e64 v10, v11
	s_cbranch_execz .LBB398_151
; %bb.163:                              ;   in Loop: Header=BB398_152 Depth=1
	s_barrier_signal -1
	s_barrier_wait -1
	global_inv scope:SCOPE_SE
	ds_store_b8 v25, v38
	ds_store_b8 v27, v64
	s_wait_loadcnt_dscnt 0x0
	s_barrier_signal -1
	s_barrier_wait -1
	global_inv scope:SCOPE_SE
	ds_load_u8 v26, v53
	ds_load_u8 v28, v30
	s_wait_loadcnt_dscnt 0x0
	s_barrier_signal -1
	s_barrier_wait -1
	global_inv scope:SCOPE_SE
	ds_store_b64 v22, v[16:17]
	ds_store_b64 v23, v[4:5]
	s_wait_loadcnt_dscnt 0x0
	s_barrier_signal -1
	s_barrier_wait -1
	global_inv scope:SCOPE_SE
	ds_load_b64 v[18:19], v51
	ds_load_b64 v[20:21], v54
	v_add_nc_u32_e32 v55, -8, v55
	s_xor_b32 s18, exec_lo, -1
	s_wait_loadcnt_dscnt 0x0
	s_barrier_signal -1
	s_barrier_wait -1
	global_inv scope:SCOPE_SE
	v_perm_b32 v38, v28, v26, 0xc0c0004
	s_branch .LBB398_151
.LBB398_164:
	flat_load_b64 v[24:25], v[4:5]
	s_wait_alu 0xfffe
	s_or_b32 exec_lo, exec_lo, s3
                                        ; implicit-def: $vgpr26_vgpr27
	s_and_saveexec_b32 s3, s0
	s_cbranch_execz .LBB398_91
.LBB398_165:
	flat_load_b64 v[26:27], v[4:5] offset:256
	s_wait_alu 0xfffe
	s_or_b32 exec_lo, exec_lo, s3
                                        ; implicit-def: $vgpr28_vgpr29
	s_and_saveexec_b32 s0, s1
	s_cbranch_execz .LBB398_92
.LBB398_166:
	flat_load_b64 v[28:29], v[4:5] offset:512
	s_wait_alu 0xfffe
	s_or_b32 exec_lo, exec_lo, s0
                                        ; implicit-def: $vgpr22_vgpr23
	s_and_saveexec_b32 s0, s2
	s_cbranch_execnz .LBB398_93
	s_branch .LBB398_94
.LBB398_167:
	flat_store_b64 v[0:1], v[13:14]
	s_wait_alu 0xfffe
	s_or_b32 exec_lo, exec_lo, s3
	s_and_saveexec_b32 s3, s0
	s_cbranch_execz .LBB398_136
.LBB398_168:
	flat_store_b64 v[0:1], v[15:16] offset:2048
	s_wait_alu 0xfffe
	s_or_b32 exec_lo, exec_lo, s3
	s_and_saveexec_b32 s0, s1
	s_cbranch_execz .LBB398_137
.LBB398_169:
	flat_store_b64 v[0:1], v[9:10] offset:4096
	s_wait_alu 0xfffe
	s_or_b32 exec_lo, exec_lo, s0
	s_and_saveexec_b32 s0, s2
	s_cbranch_execnz .LBB398_138
	s_branch .LBB398_139
.LBB398_170:
	s_or_b32 exec_lo, exec_lo, s17
	v_add_nc_u32_e32 v9, v12, v14
	v_mul_u32_u24_e32 v10, 7, v14
	s_barrier_signal -1
	s_barrier_wait -1
	s_wait_loadcnt 0x0
	global_inv scope:SCOPE_SE
	ds_store_b8 v25, v24
	ds_store_b8 v27, v64
	s_wait_loadcnt_dscnt 0x0
	s_barrier_signal -1
	s_barrier_wait -1
	global_inv scope:SCOPE_SE
	ds_load_u8 v18, v9
	ds_load_u8 v13, v9 offset:256
	s_wait_loadcnt_dscnt 0x0
	s_barrier_signal -1
	s_barrier_wait -1
	global_inv scope:SCOPE_SE
	ds_store_b64 v22, v[16:17]
	ds_store_b64 v23, v[4:5]
	v_mov_b32_e32 v16, 0
	v_add_nc_u32_e32 v4, v9, v10
	s_wait_loadcnt_dscnt 0x0
	s_barrier_signal -1
	s_barrier_wait -1
	global_inv scope:SCOPE_SE
	ds_load_2addr_stride64_b64 v[9:12], v4 offset1:4
	v_add_co_u32 v2, vcc_lo, v2, v8
	s_wait_alu 0xfffd
	v_add_co_ci_u32_e64 v3, null, 0, v3, vcc_lo
	s_wait_loadcnt_dscnt 0x0
	s_delay_alu instid0(VALU_DEP_2) | instskip(SKIP_1) | instid1(VALU_DEP_2)
	v_add_co_u32 v2, vcc_lo, v2, v15
	s_wait_alu 0xfffd
	v_add_co_ci_u32_e64 v3, null, 0, v3, vcc_lo
	v_cmp_lt_u32_e32 vcc_lo, v15, v98
	s_barrier_signal -1
	s_barrier_wait -1
	global_inv scope:SCOPE_SE
	s_and_saveexec_b32 s0, vcc_lo
	s_cbranch_execz .LBB398_172
; %bb.171:
	v_xor_b32_e32 v4, 0x80, v18
	flat_store_b8 v[2:3], v4
.LBB398_172:
	s_wait_alu 0xfffe
	s_or_b32 exec_lo, exec_lo, s0
	v_add_nc_u32_e32 v4, 0x100, v15
	s_delay_alu instid0(VALU_DEP_1)
	v_cmp_lt_u32_e64 s0, v4, v98
	s_and_saveexec_b32 s1, s0
	s_cbranch_execz .LBB398_174
; %bb.173:
	v_xor_b32_e32 v4, 0x80, v13
	flat_store_b8 v[2:3], v4 offset:256
.LBB398_174:
	s_wait_alu 0xfffe
	s_or_b32 exec_lo, exec_lo, s1
	v_lshlrev_b64_e32 v[2:3], 3, v[15:16]
	v_add_co_u32 v0, s1, v6, v0
	s_wait_alu 0xf1ff
	v_add_co_ci_u32_e64 v1, null, v7, v1, s1
	s_delay_alu instid0(VALU_DEP_2) | instskip(SKIP_1) | instid1(VALU_DEP_2)
	v_add_co_u32 v0, s1, v0, v2
	s_wait_alu 0xf1ff
	v_add_co_ci_u32_e64 v1, null, v1, v3, s1
	s_and_saveexec_b32 s1, vcc_lo
	s_cbranch_execz .LBB398_176
; %bb.175:
	flat_store_b64 v[0:1], v[9:10]
.LBB398_176:
	s_wait_alu 0xfffe
	s_or_b32 exec_lo, exec_lo, s1
	s_and_saveexec_b32 s1, s0
	s_cbranch_execz .LBB398_178
; %bb.177:
	flat_store_b64 v[0:1], v[11:12] offset:2048
.LBB398_178:
	s_wait_alu 0xfffe
	s_or_b32 exec_lo, exec_lo, s1
                                        ; implicit-def: $vgpr15_vgpr16
                                        ; implicit-def: $vgpr8_vgpr9
                                        ; implicit-def: $vgpr98
                                        ; implicit-def: $vgpr0
                                        ; implicit-def: $vgpr1
                                        ; implicit-def: $vgpr2
                                        ; implicit-def: $vgpr3
                                        ; implicit-def: $vgpr4
                                        ; implicit-def: $vgpr5
                                        ; implicit-def: $vgpr6
                                        ; implicit-def: $vgpr7
                                        ; implicit-def: $vgpr10
                                        ; implicit-def: $vgpr11
                                        ; implicit-def: $vgpr12
                                        ; implicit-def: $vgpr13
                                        ; implicit-def: $vgpr14
                                        ; implicit-def: $vgpr30
.LBB398_179:
	s_wait_alu 0xfffe
	s_and_not1_saveexec_b32 s0, s14
	s_cbranch_execz .LBB398_199
; %bb.180:
	v_and_b32_e32 v18, 0xffffffe0, v15
	v_mov_b32_e32 v37, 0xff
	s_delay_alu instid0(VALU_DEP_2) | instskip(NEXT) | instid1(VALU_DEP_1)
	v_or_b32_e32 v16, v30, v18
	v_cmp_lt_u32_e32 vcc_lo, v16, v98
	s_and_saveexec_b32 s1, vcc_lo
	s_cbranch_execz .LBB398_182
; %bb.181:
	v_add_co_u32 v0, s0, v0, v8
	s_wait_alu 0xf1fe
	v_add_co_ci_u32_e64 v1, null, 0, v1, s0
	s_delay_alu instid0(VALU_DEP_2) | instskip(SKIP_1) | instid1(VALU_DEP_2)
	v_add_co_u32 v0, s0, v0, v30
	s_wait_alu 0xf1ff
	v_add_co_ci_u32_e64 v1, null, 0, v1, s0
	s_delay_alu instid0(VALU_DEP_2) | instskip(SKIP_1) | instid1(VALU_DEP_2)
	v_add_co_u32 v0, s0, v0, v18
	s_wait_alu 0xf1ff
	v_add_co_ci_u32_e64 v1, null, 0, v1, s0
	flat_load_u8 v0, v[0:1]
	s_wait_loadcnt_dscnt 0x0
	v_xor_b32_e32 v37, 0xffffff80, v0
.LBB398_182:
	s_wait_alu 0xfffe
	s_or_b32 exec_lo, exec_lo, s1
	v_lshlrev_b64_e32 v[0:1], 3, v[8:9]
                                        ; implicit-def: $vgpr16_vgpr17
	s_and_saveexec_b32 s0, vcc_lo
	s_cbranch_execz .LBB398_184
; %bb.183:
	v_mov_b32_e32 v19, 0
	v_lshlrev_b32_e32 v9, 3, v30
	s_delay_alu instid0(VALU_DEP_3) | instskip(SKIP_3) | instid1(VALU_DEP_3)
	v_add_co_u32 v16, vcc_lo, v4, v0
	s_wait_alu 0xfffd
	v_add_co_ci_u32_e64 v17, null, v5, v1, vcc_lo
	v_lshlrev_b64_e32 v[4:5], 3, v[18:19]
	v_add_co_u32 v9, vcc_lo, v16, v9
	s_wait_alu 0xfffd
	s_delay_alu instid0(VALU_DEP_3) | instskip(NEXT) | instid1(VALU_DEP_2)
	v_add_co_ci_u32_e64 v16, null, 0, v17, vcc_lo
	v_add_co_u32 v4, vcc_lo, v9, v4
	s_wait_alu 0xfffd
	s_delay_alu instid0(VALU_DEP_2)
	v_add_co_ci_u32_e64 v5, null, v16, v5, vcc_lo
	flat_load_b64 v[16:17], v[4:5]
.LBB398_184:
	s_wait_alu 0xfffe
	s_or_b32 exec_lo, exec_lo, s0
	v_lshl_add_u32 v4, v14, 5, v12
	v_and_b32_e32 v5, 15, v30
	v_sub_co_u32 v28, s2, v30, 1
	s_getpc_b64 s[0:1]
	s_wait_alu 0xfffe
	s_sext_i32_i16 s1, s1
	s_add_co_u32 s0, s0, _ZN7rocprim17ROCPRIM_400000_NS16block_radix_sortIaLj256ELj1ElLj1ELj1ELj8ELNS0_26block_radix_rank_algorithmE2ELNS0_18block_padding_hintE2ELNS0_4arch9wavefront6targetE0EE19radix_bits_per_passE@rel32@lo+12
	s_wait_alu 0xfffe
	s_add_co_ci_u32 s1, s1, _ZN7rocprim17ROCPRIM_400000_NS16block_radix_sortIaLj256ELj1ElLj1ELj1ELj8ELNS0_26block_radix_rank_algorithmE2ELNS0_18block_padding_hintE2ELNS0_4arch9wavefront6targetE0EE19radix_bits_per_passE@rel32@hi+24
	v_add_nc_u32_e32 v9, 32, v4
	v_add_nc_u32_e32 v20, 36, v4
	;; [unrolled: 1-line block ×8, first 2 shown]
	v_and_b32_e32 v4, 0x3e0, v14
	s_load_b32 s14, s[0:1], 0x0
	v_cmp_eq_u32_e32 vcc_lo, 0, v5
	v_cmp_lt_u32_e64 s0, 1, v5
	v_cmp_lt_u32_e64 s1, 3, v5
	v_min_u32_e32 v18, 0xe0, v4
	v_and_b32_e32 v19, 16, v30
	v_cmp_lt_u32_e64 s3, 7, v5
	v_cmp_gt_i32_e64 s5, 0, v28
	v_or_b32_e32 v4, v30, v4
	v_or_b32_e32 v5, 31, v18
	v_lshrrev_b32_e32 v18, 3, v14
	v_cmp_eq_u32_e64 s4, 0, v19
	s_wait_alu 0xf1ff
	v_cndmask_b32_e64 v19, v28, v30, s5
	v_add_nc_u32_e32 v32, v12, v4
	v_cmp_eq_u32_e64 s5, v14, v5
	v_and_b32_e32 v5, 0x7c, v18
	v_mul_u32_u24_e32 v4, 7, v4
	v_lshrrev_b32_e32 v27, 5, v15
	v_cmp_gt_u32_e64 s6, 8, v14
	v_cmp_lt_u32_e64 s7, 31, v14
	v_add_nc_u32_e32 v29, v12, v5
	v_and_b32_e32 v5, 7, v30
	v_lshlrev_b32_e32 v28, 2, v19
	v_cmp_eq_u32_e64 s8, 0, v14
	v_mov_b32_e32 v30, 0
	v_lshl_add_u32 v31, v14, 2, v12
	v_cmp_eq_u32_e64 s9, 0, v5
	v_cmp_lt_u32_e64 s10, 1, v5
	v_cmp_lt_u32_e64 s11, 3, v5
	v_add_nc_u32_e32 v33, -4, v29
	v_add_nc_u32_e32 v34, v32, v4
	v_sub_nc_u32_e32 v35, v11, v10
	s_mov_b32 s15, 0
	s_wait_storecnt 0x0
	s_wait_loadcnt_dscnt 0x0
	s_barrier_signal -1
	s_barrier_wait -1
	global_inv scope:SCOPE_SE
	s_branch .LBB398_186
.LBB398_185:                            ;   in Loop: Header=BB398_186 Depth=1
	s_wait_alu 0xfffe
	s_or_b32 exec_lo, exec_lo, s13
	s_delay_alu instid0(SALU_CYCLE_1)
	s_and_b32 s12, exec_lo, s17
	s_wait_alu 0xfffe
	s_or_b32 s15, s12, s15
	s_wait_alu 0xfffe
	s_and_not1_b32 exec_lo, exec_lo, s15
	s_cbranch_execz .LBB398_196
.LBB398_186:                            ; =>This Inner Loop Header: Depth=1
	v_mov_b32_e32 v36, v37
	s_wait_kmcnt 0x0
	v_min_u32_e32 v5, s14, v35
	ds_store_b32 v9, v30
	ds_store_b32 v20, v30
	;; [unrolled: 1-line block ×6, first 2 shown]
	v_and_b32_e32 v4, 0xff, v36
	ds_store_b32 v25, v30
	ds_store_b32 v26, v30
	s_wait_loadcnt_dscnt 0x0
	s_barrier_signal -1
	s_barrier_wait -1
	v_lshrrev_b32_e32 v4, v10, v4
	global_inv scope:SCOPE_SE
	; wave barrier
	v_bfe_u32 v18, v4, 0, v5
	s_delay_alu instid0(VALU_DEP_1)
	v_and_b32_e32 v4, 1, v18
	v_lshlrev_b32_e32 v5, 30, v18
	v_lshlrev_b32_e32 v19, 29, v18
	;; [unrolled: 1-line block ×4, first 2 shown]
	v_add_co_u32 v4, s12, v4, -1
	s_wait_alu 0xf1ff
	v_cndmask_b32_e64 v38, 0, 1, s12
	v_not_b32_e32 v50, v5
	v_cmp_gt_i32_e64 s13, 0, v5
	v_not_b32_e32 v5, v19
	v_lshlrev_b32_e32 v48, 26, v18
	v_cmp_ne_u32_e64 s12, 0, v38
	v_ashrrev_i32_e32 v50, 31, v50
	v_lshlrev_b32_e32 v49, 25, v18
	v_ashrrev_i32_e32 v5, 31, v5
	v_lshlrev_b32_e32 v38, 24, v18
	s_wait_alu 0xf1ff
	v_xor_b32_e32 v4, s12, v4
	v_cmp_gt_i32_e64 s12, 0, v19
	v_not_b32_e32 v19, v37
	v_xor_b32_e32 v50, s13, v50
	v_cmp_gt_i32_e64 s13, 0, v37
	v_and_b32_e32 v4, exec_lo, v4
	v_not_b32_e32 v37, v39
	v_ashrrev_i32_e32 v19, 31, v19
	s_wait_alu 0xf1ff
	v_xor_b32_e32 v5, s12, v5
	v_cmp_gt_i32_e64 s12, 0, v39
	v_and_b32_e32 v4, v4, v50
	v_not_b32_e32 v39, v48
	v_ashrrev_i32_e32 v37, 31, v37
	v_xor_b32_e32 v19, s13, v19
	v_cmp_gt_i32_e64 s13, 0, v48
	v_and_b32_e32 v4, v4, v5
	v_not_b32_e32 v5, v49
	v_ashrrev_i32_e32 v39, 31, v39
	s_wait_alu 0xf1ff
	v_xor_b32_e32 v37, s12, v37
	v_cmp_gt_i32_e64 s12, 0, v49
	v_and_b32_e32 v4, v4, v19
	v_not_b32_e32 v19, v38
	v_ashrrev_i32_e32 v48, 31, v5
	v_xor_b32_e32 v39, s13, v39
	v_cmp_gt_i32_e64 s13, 0, v38
	v_and_b32_e32 v37, v4, v37
	v_dual_mov_b32 v4, v16 :: v_dual_mov_b32 v5, v17
	v_ashrrev_i32_e32 v16, 31, v19
	s_wait_alu 0xf1ff
	v_xor_b32_e32 v17, s12, v48
	v_and_b32_e32 v19, v37, v39
	s_delay_alu instid0(VALU_DEP_3) | instskip(NEXT) | instid1(VALU_DEP_2)
	v_xor_b32_e32 v16, s13, v16
	v_and_b32_e32 v17, v19, v17
	v_lshlrev_b32_e32 v19, 3, v18
	s_delay_alu instid0(VALU_DEP_2) | instskip(NEXT) | instid1(VALU_DEP_2)
	v_and_b32_e32 v18, v17, v16
	v_add_lshl_u32 v17, v19, v27, 2
	s_delay_alu instid0(VALU_DEP_2) | instskip(NEXT) | instid1(VALU_DEP_2)
	v_mbcnt_lo_u32_b32 v16, v18, 0
	v_add_co_u32 v17, null, v12, v17
	v_cmp_ne_u32_e64 s13, 0, v18
	s_delay_alu instid0(VALU_DEP_3) | instskip(NEXT) | instid1(VALU_DEP_3)
	v_cmp_eq_u32_e64 s12, 0, v16
	v_add_co_u32 v17, null, v17, 32
	s_and_b32 s13, s13, s12
	s_wait_alu 0xfffe
	s_and_saveexec_b32 s12, s13
; %bb.187:                              ;   in Loop: Header=BB398_186 Depth=1
	v_bcnt_u32_b32 v18, v18, 0
	ds_store_b32 v17, v18
; %bb.188:                              ;   in Loop: Header=BB398_186 Depth=1
	s_wait_alu 0xfffe
	s_or_b32 exec_lo, exec_lo, s12
	; wave barrier
	s_wait_loadcnt_dscnt 0x0
	s_barrier_signal -1
	s_barrier_wait -1
	global_inv scope:SCOPE_SE
	ds_load_b32 v19, v9
	ds_load_b32 v37, v20
	ds_load_b32 v38, v21
	ds_load_b32 v39, v22
	ds_load_b32 v48, v23
	ds_load_b32 v49, v24
	ds_load_b32 v18, v25
	ds_load_b32 v50, v26
	s_wait_dscnt 0x6
	v_add_nc_u32_e32 v51, v37, v19
	s_wait_dscnt 0x4
	s_delay_alu instid0(VALU_DEP_1) | instskip(SKIP_1) | instid1(VALU_DEP_1)
	v_add3_u32 v51, v51, v38, v39
	s_wait_dscnt 0x2
	v_add3_u32 v51, v51, v48, v49
	s_wait_dscnt 0x0
	s_delay_alu instid0(VALU_DEP_1) | instskip(NEXT) | instid1(VALU_DEP_1)
	v_add3_u32 v50, v51, v18, v50
	v_mov_b32_dpp v51, v50 row_shr:1 row_mask:0xf bank_mask:0xf
	s_wait_alu 0xfffd
	s_delay_alu instid0(VALU_DEP_1) | instskip(NEXT) | instid1(VALU_DEP_1)
	v_cndmask_b32_e64 v51, v51, 0, vcc_lo
	v_add_nc_u32_e32 v50, v51, v50
	s_delay_alu instid0(VALU_DEP_1) | instskip(NEXT) | instid1(VALU_DEP_1)
	v_mov_b32_dpp v51, v50 row_shr:2 row_mask:0xf bank_mask:0xf
	v_cndmask_b32_e64 v51, 0, v51, s0
	s_delay_alu instid0(VALU_DEP_1) | instskip(NEXT) | instid1(VALU_DEP_1)
	v_add_nc_u32_e32 v50, v50, v51
	v_mov_b32_dpp v51, v50 row_shr:4 row_mask:0xf bank_mask:0xf
	s_delay_alu instid0(VALU_DEP_1) | instskip(NEXT) | instid1(VALU_DEP_1)
	v_cndmask_b32_e64 v51, 0, v51, s1
	v_add_nc_u32_e32 v50, v50, v51
	s_delay_alu instid0(VALU_DEP_1) | instskip(NEXT) | instid1(VALU_DEP_1)
	v_mov_b32_dpp v51, v50 row_shr:8 row_mask:0xf bank_mask:0xf
	v_cndmask_b32_e64 v51, 0, v51, s3
	s_delay_alu instid0(VALU_DEP_1) | instskip(SKIP_3) | instid1(VALU_DEP_1)
	v_add_nc_u32_e32 v50, v50, v51
	ds_swizzle_b32 v51, v50 offset:swizzle(BROADCAST,32,15)
	s_wait_dscnt 0x0
	v_cndmask_b32_e64 v51, v51, 0, s4
	v_add_nc_u32_e32 v50, v50, v51
	s_and_saveexec_b32 s12, s5
; %bb.189:                              ;   in Loop: Header=BB398_186 Depth=1
	ds_store_b32 v29, v50
; %bb.190:                              ;   in Loop: Header=BB398_186 Depth=1
	s_wait_alu 0xfffe
	s_or_b32 exec_lo, exec_lo, s12
	s_wait_loadcnt_dscnt 0x0
	s_barrier_signal -1
	s_barrier_wait -1
	global_inv scope:SCOPE_SE
	s_and_saveexec_b32 s12, s6
	s_cbranch_execz .LBB398_192
; %bb.191:                              ;   in Loop: Header=BB398_186 Depth=1
	ds_load_b32 v51, v31
	s_wait_dscnt 0x0
	v_mov_b32_dpp v52, v51 row_shr:1 row_mask:0xf bank_mask:0xf
	s_delay_alu instid0(VALU_DEP_1) | instskip(NEXT) | instid1(VALU_DEP_1)
	v_cndmask_b32_e64 v52, v52, 0, s9
	v_add_nc_u32_e32 v51, v52, v51
	s_delay_alu instid0(VALU_DEP_1) | instskip(NEXT) | instid1(VALU_DEP_1)
	v_mov_b32_dpp v52, v51 row_shr:2 row_mask:0xf bank_mask:0xf
	v_cndmask_b32_e64 v52, 0, v52, s10
	s_delay_alu instid0(VALU_DEP_1) | instskip(NEXT) | instid1(VALU_DEP_1)
	v_add_nc_u32_e32 v51, v51, v52
	v_mov_b32_dpp v52, v51 row_shr:4 row_mask:0xf bank_mask:0xf
	s_delay_alu instid0(VALU_DEP_1) | instskip(NEXT) | instid1(VALU_DEP_1)
	v_cndmask_b32_e64 v52, 0, v52, s11
	v_add_nc_u32_e32 v51, v51, v52
	ds_store_b32 v31, v51
.LBB398_192:                            ;   in Loop: Header=BB398_186 Depth=1
	s_wait_alu 0xfffe
	s_or_b32 exec_lo, exec_lo, s12
	v_mov_b32_e32 v51, 0
	s_wait_loadcnt_dscnt 0x0
	s_barrier_signal -1
	s_barrier_wait -1
	global_inv scope:SCOPE_SE
	s_and_saveexec_b32 s12, s7
; %bb.193:                              ;   in Loop: Header=BB398_186 Depth=1
	ds_load_b32 v51, v33
; %bb.194:                              ;   in Loop: Header=BB398_186 Depth=1
	s_wait_alu 0xfffe
	s_or_b32 exec_lo, exec_lo, s12
	s_wait_dscnt 0x0
	v_add_nc_u32_e32 v50, v51, v50
	v_add_nc_u32_e32 v10, 8, v10
	s_mov_b32 s17, -1
	ds_bpermute_b32 v50, v28, v50
	s_wait_dscnt 0x0
	v_cndmask_b32_e64 v50, v50, v51, s2
	s_delay_alu instid0(VALU_DEP_1) | instskip(NEXT) | instid1(VALU_DEP_1)
	v_cndmask_b32_e64 v50, v50, 0, s8
	v_add_nc_u32_e32 v19, v50, v19
	s_delay_alu instid0(VALU_DEP_1) | instskip(SKIP_4) | instid1(VALU_DEP_1)
	v_add_nc_u32_e32 v37, v19, v37
	ds_store_b32 v9, v50
	ds_store_b32 v20, v19
	;; [unrolled: 1-line block ×3, first 2 shown]
	v_add_nc_u32_e32 v38, v37, v38
                                        ; implicit-def: $vgpr37
	v_add_nc_u32_e32 v39, v38, v39
	s_delay_alu instid0(VALU_DEP_1) | instskip(NEXT) | instid1(VALU_DEP_1)
	v_add_nc_u32_e32 v48, v39, v48
	v_add_nc_u32_e32 v49, v48, v49
	s_delay_alu instid0(VALU_DEP_1)
	v_add_nc_u32_e32 v18, v49, v18
	ds_store_b32 v22, v38
	ds_store_b32 v23, v39
	;; [unrolled: 1-line block ×5, first 2 shown]
	s_wait_loadcnt_dscnt 0x0
	s_barrier_signal -1
	s_barrier_wait -1
	global_inv scope:SCOPE_SE
	ds_load_b32 v17, v17
	s_wait_loadcnt_dscnt 0x0
	v_add_nc_u32_e32 v38, v17, v16
                                        ; implicit-def: $vgpr16_vgpr17
	s_delay_alu instid0(VALU_DEP_1)
	v_add_co_u32 v18, s13, v12, v38
	s_wait_alu 0xf1ff
	v_add_co_ci_u32_e64 v19, null, 0, v13, s13
	s_mov_b32 s13, exec_lo
	v_cmpx_lt_u32_e64 v10, v11
	s_cbranch_execz .LBB398_185
; %bb.195:                              ;   in Loop: Header=BB398_186 Depth=1
	v_mad_co_u64_u32 v[16:17], null, v38, 7, v[18:19]
	s_barrier_signal -1
	s_barrier_wait -1
	global_inv scope:SCOPE_SE
	ds_store_b8 v18, v36
	s_wait_loadcnt_dscnt 0x0
	s_barrier_signal -1
	s_barrier_wait -1
	global_inv scope:SCOPE_SE
	ds_load_u8 v37, v32
	s_wait_loadcnt_dscnt 0x0
	s_barrier_signal -1
	s_barrier_wait -1
	global_inv scope:SCOPE_SE
	ds_store_b64 v16, v[4:5]
	s_wait_loadcnt_dscnt 0x0
	s_barrier_signal -1
	s_barrier_wait -1
	global_inv scope:SCOPE_SE
	ds_load_b64 v[16:17], v34
	v_add_nc_u32_e32 v35, -8, v35
	s_xor_b32 s17, exec_lo, -1
	s_wait_loadcnt_dscnt 0x0
	s_barrier_signal -1
	s_barrier_wait -1
	global_inv scope:SCOPE_SE
	s_branch .LBB398_185
.LBB398_196:
	s_or_b32 exec_lo, exec_lo, s15
	v_mad_co_u64_u32 v[10:11], null, v38, 7, v[18:19]
	v_add_nc_u32_e32 v12, v12, v14
	v_mul_u32_u24_e32 v11, 7, v14
	s_barrier_signal -1
	s_barrier_wait -1
	s_wait_loadcnt 0x0
	global_inv scope:SCOPE_SE
	ds_store_b8 v18, v36
	s_wait_loadcnt_dscnt 0x0
	s_barrier_signal -1
	s_barrier_wait -1
	global_inv scope:SCOPE_SE
	ds_load_u8 v9, v12
	s_wait_loadcnt_dscnt 0x0
	s_barrier_signal -1
	s_barrier_wait -1
	global_inv scope:SCOPE_SE
	ds_store_b64 v10, v[4:5]
	v_add_nc_u32_e32 v4, v12, v11
	s_wait_loadcnt_dscnt 0x0
	s_barrier_signal -1
	s_barrier_wait -1
	global_inv scope:SCOPE_SE
	ds_load_b64 v[4:5], v4
	s_mov_b32 s0, exec_lo
	s_wait_loadcnt_dscnt 0x0
	s_barrier_signal -1
	s_barrier_wait -1
	global_inv scope:SCOPE_SE
	v_cmpx_lt_u32_e64 v15, v98
	s_cbranch_execz .LBB398_198
; %bb.197:
	v_mov_b32_e32 v16, 0
	v_add_co_u32 v6, vcc_lo, v6, v0
	s_wait_alu 0xfffd
	v_add_co_ci_u32_e64 v7, null, v7, v1, vcc_lo
	v_add_co_u32 v2, vcc_lo, v2, v8
	v_lshlrev_b64_e32 v[0:1], 3, v[15:16]
	s_wait_alu 0xfffd
	v_add_co_ci_u32_e64 v3, null, 0, v3, vcc_lo
	s_delay_alu instid0(VALU_DEP_3) | instskip(SKIP_2) | instid1(VALU_DEP_3)
	v_add_co_u32 v2, vcc_lo, v2, v15
	v_xor_b32_e32 v8, 0x80, v9
	s_wait_alu 0xfffd
	v_add_co_ci_u32_e64 v3, null, 0, v3, vcc_lo
	v_add_co_u32 v0, vcc_lo, v6, v0
	s_wait_alu 0xfffd
	v_add_co_ci_u32_e64 v1, null, v7, v1, vcc_lo
	flat_store_b8 v[2:3], v8
	flat_store_b64 v[0:1], v[4:5]
.LBB398_198:
	s_wait_alu 0xfffe
	s_or_b32 exec_lo, exec_lo, s0
.LBB398_199:
	s_wait_alu 0xfffe
	s_or_b32 exec_lo, exec_lo, s16
	s_wait_loadcnt_dscnt 0x0
	s_setpc_b64 s[30:31]
.Lfunc_end398:
	.size	_ZN7rocprim17ROCPRIM_400000_NS6detail40segmented_radix_sort_single_block_helperIalLj256ELj8ELb0EE4sortIPKaPaPKlPlEEbT_T0_T1_T2_jjjjRNS3_12storage_typeE, .Lfunc_end398-_ZN7rocprim17ROCPRIM_400000_NS6detail40segmented_radix_sort_single_block_helperIalLj256ELj8ELb0EE4sortIPKaPaPKlPlEEbT_T0_T1_T2_jjjjRNS3_12storage_typeE
                                        ; -- End function
	.set .L_ZN7rocprim17ROCPRIM_400000_NS6detail40segmented_radix_sort_single_block_helperIalLj256ELj8ELb0EE4sortIPKaPaPKlPlEEbT_T0_T1_T2_jjjjRNS3_12storage_typeE.num_vgpr, 197
	.set .L_ZN7rocprim17ROCPRIM_400000_NS6detail40segmented_radix_sort_single_block_helperIalLj256ELj8ELb0EE4sortIPKaPaPKlPlEEbT_T0_T1_T2_jjjjRNS3_12storage_typeE.num_agpr, 0
	.set .L_ZN7rocprim17ROCPRIM_400000_NS6detail40segmented_radix_sort_single_block_helperIalLj256ELj8ELb0EE4sortIPKaPaPKlPlEEbT_T0_T1_T2_jjjjRNS3_12storage_typeE.numbered_sgpr, 32
	.set .L_ZN7rocprim17ROCPRIM_400000_NS6detail40segmented_radix_sort_single_block_helperIalLj256ELj8ELb0EE4sortIPKaPaPKlPlEEbT_T0_T1_T2_jjjjRNS3_12storage_typeE.num_named_barrier, 0
	.set .L_ZN7rocprim17ROCPRIM_400000_NS6detail40segmented_radix_sort_single_block_helperIalLj256ELj8ELb0EE4sortIPKaPaPKlPlEEbT_T0_T1_T2_jjjjRNS3_12storage_typeE.private_seg_size, 0
	.set .L_ZN7rocprim17ROCPRIM_400000_NS6detail40segmented_radix_sort_single_block_helperIalLj256ELj8ELb0EE4sortIPKaPaPKlPlEEbT_T0_T1_T2_jjjjRNS3_12storage_typeE.uses_vcc, 1
	.set .L_ZN7rocprim17ROCPRIM_400000_NS6detail40segmented_radix_sort_single_block_helperIalLj256ELj8ELb0EE4sortIPKaPaPKlPlEEbT_T0_T1_T2_jjjjRNS3_12storage_typeE.uses_flat_scratch, 0
	.set .L_ZN7rocprim17ROCPRIM_400000_NS6detail40segmented_radix_sort_single_block_helperIalLj256ELj8ELb0EE4sortIPKaPaPKlPlEEbT_T0_T1_T2_jjjjRNS3_12storage_typeE.has_dyn_sized_stack, 0
	.set .L_ZN7rocprim17ROCPRIM_400000_NS6detail40segmented_radix_sort_single_block_helperIalLj256ELj8ELb0EE4sortIPKaPaPKlPlEEbT_T0_T1_T2_jjjjRNS3_12storage_typeE.has_recursion, 0
	.set .L_ZN7rocprim17ROCPRIM_400000_NS6detail40segmented_radix_sort_single_block_helperIalLj256ELj8ELb0EE4sortIPKaPaPKlPlEEbT_T0_T1_T2_jjjjRNS3_12storage_typeE.has_indirect_call, 0
	.section	.AMDGPU.csdata,"",@progbits
; Function info:
; codeLenInByte = 18144
; TotalNumSgprs: 34
; NumVgprs: 197
; ScratchSize: 0
; MemoryBound: 1
	.section	.text._ZN7rocprim17ROCPRIM_400000_NS6detail17trampoline_kernelINS0_14default_configENS1_36segmented_radix_sort_config_selectorIalEEZNS1_25segmented_radix_sort_implIS3_Lb0EPKaPaPKlPlN2at6native12_GLOBAL__N_18offset_tEEE10hipError_tPvRmT1_PNSt15iterator_traitsISK_E10value_typeET2_T3_PNSL_ISQ_E10value_typeET4_jRbjT5_SW_jjP12ihipStream_tbEUlT_E_NS1_11comp_targetILNS1_3genE10ELNS1_11target_archE1201ELNS1_3gpuE5ELNS1_3repE0EEENS1_30default_config_static_selectorELNS0_4arch9wavefront6targetE0EEEvSK_,"axG",@progbits,_ZN7rocprim17ROCPRIM_400000_NS6detail17trampoline_kernelINS0_14default_configENS1_36segmented_radix_sort_config_selectorIalEEZNS1_25segmented_radix_sort_implIS3_Lb0EPKaPaPKlPlN2at6native12_GLOBAL__N_18offset_tEEE10hipError_tPvRmT1_PNSt15iterator_traitsISK_E10value_typeET2_T3_PNSL_ISQ_E10value_typeET4_jRbjT5_SW_jjP12ihipStream_tbEUlT_E_NS1_11comp_targetILNS1_3genE10ELNS1_11target_archE1201ELNS1_3gpuE5ELNS1_3repE0EEENS1_30default_config_static_selectorELNS0_4arch9wavefront6targetE0EEEvSK_,comdat
	.globl	_ZN7rocprim17ROCPRIM_400000_NS6detail17trampoline_kernelINS0_14default_configENS1_36segmented_radix_sort_config_selectorIalEEZNS1_25segmented_radix_sort_implIS3_Lb0EPKaPaPKlPlN2at6native12_GLOBAL__N_18offset_tEEE10hipError_tPvRmT1_PNSt15iterator_traitsISK_E10value_typeET2_T3_PNSL_ISQ_E10value_typeET4_jRbjT5_SW_jjP12ihipStream_tbEUlT_E_NS1_11comp_targetILNS1_3genE10ELNS1_11target_archE1201ELNS1_3gpuE5ELNS1_3repE0EEENS1_30default_config_static_selectorELNS0_4arch9wavefront6targetE0EEEvSK_ ; -- Begin function _ZN7rocprim17ROCPRIM_400000_NS6detail17trampoline_kernelINS0_14default_configENS1_36segmented_radix_sort_config_selectorIalEEZNS1_25segmented_radix_sort_implIS3_Lb0EPKaPaPKlPlN2at6native12_GLOBAL__N_18offset_tEEE10hipError_tPvRmT1_PNSt15iterator_traitsISK_E10value_typeET2_T3_PNSL_ISQ_E10value_typeET4_jRbjT5_SW_jjP12ihipStream_tbEUlT_E_NS1_11comp_targetILNS1_3genE10ELNS1_11target_archE1201ELNS1_3gpuE5ELNS1_3repE0EEENS1_30default_config_static_selectorELNS0_4arch9wavefront6targetE0EEEvSK_
	.p2align	8
	.type	_ZN7rocprim17ROCPRIM_400000_NS6detail17trampoline_kernelINS0_14default_configENS1_36segmented_radix_sort_config_selectorIalEEZNS1_25segmented_radix_sort_implIS3_Lb0EPKaPaPKlPlN2at6native12_GLOBAL__N_18offset_tEEE10hipError_tPvRmT1_PNSt15iterator_traitsISK_E10value_typeET2_T3_PNSL_ISQ_E10value_typeET4_jRbjT5_SW_jjP12ihipStream_tbEUlT_E_NS1_11comp_targetILNS1_3genE10ELNS1_11target_archE1201ELNS1_3gpuE5ELNS1_3repE0EEENS1_30default_config_static_selectorELNS0_4arch9wavefront6targetE0EEEvSK_,@function
_ZN7rocprim17ROCPRIM_400000_NS6detail17trampoline_kernelINS0_14default_configENS1_36segmented_radix_sort_config_selectorIalEEZNS1_25segmented_radix_sort_implIS3_Lb0EPKaPaPKlPlN2at6native12_GLOBAL__N_18offset_tEEE10hipError_tPvRmT1_PNSt15iterator_traitsISK_E10value_typeET2_T3_PNSL_ISQ_E10value_typeET4_jRbjT5_SW_jjP12ihipStream_tbEUlT_E_NS1_11comp_targetILNS1_3genE10ELNS1_11target_archE1201ELNS1_3gpuE5ELNS1_3repE0EEENS1_30default_config_static_selectorELNS0_4arch9wavefront6targetE0EEEvSK_: ; @_ZN7rocprim17ROCPRIM_400000_NS6detail17trampoline_kernelINS0_14default_configENS1_36segmented_radix_sort_config_selectorIalEEZNS1_25segmented_radix_sort_implIS3_Lb0EPKaPaPKlPlN2at6native12_GLOBAL__N_18offset_tEEE10hipError_tPvRmT1_PNSt15iterator_traitsISK_E10value_typeET2_T3_PNSL_ISQ_E10value_typeET4_jRbjT5_SW_jjP12ihipStream_tbEUlT_E_NS1_11comp_targetILNS1_3genE10ELNS1_11target_archE1201ELNS1_3gpuE5ELNS1_3repE0EEENS1_30default_config_static_selectorELNS0_4arch9wavefront6targetE0EEEvSK_
; %bb.0:
	s_clause 0x1
	s_load_b64 s[8:9], s[0:1], 0x38
	s_load_b128 s[4:7], s[0:1], 0x40
	s_mov_b32 s2, ttmp9
	s_mov_b32 s3, 0
	s_mov_b32 s32, 0
	s_lshl_b64 s[2:3], s[2:3], 2
	s_wait_kmcnt 0x0
	s_add_nc_u64 s[2:3], s[8:9], s[2:3]
	s_load_b32 s2, s[2:3], 0x0
	s_wait_kmcnt 0x0
	s_add_co_i32 s33, s2, s5
	s_add_co_i32 s34, s2, s7
	s_mul_i32 s33, s33, s4
	s_mul_i32 s34, s34, s6
	s_delay_alu instid0(SALU_CYCLE_1)
	s_cmp_le_u32 s34, s33
	s_cbranch_scc1 .LBB399_670
; %bb.1:
	s_clause 0x3
	s_load_b32 s2, s[0:1], 0x30
	s_load_b128 s[24:27], s[0:1], 0x20
	s_load_b96 s[44:46], s[0:1], 0x50
	s_load_b256 s[36:43], s[0:1], 0x0
	s_wait_kmcnt 0x0
	s_bitcmp1_b32 s2, 0
	s_mov_b32 s2, -1
	s_cselect_b32 s35, -1, 0
	s_sub_co_i32 s47, s34, s33
	s_delay_alu instid0(SALU_CYCLE_1)
	s_cmp_lt_u32 s47, 0x801
	s_cbranch_scc0 .LBB399_7
; %bb.2:
	v_cndmask_b32_e64 v1, 0, 1, s35
	s_and_b32 s2, s44, 1
	s_delay_alu instid0(VALU_DEP_1) | instid1(SALU_CYCLE_1)
	v_cmp_ne_u32_e32 vcc_lo, s2, v1
	s_mov_b32 s2, -1
	s_cbranch_vccnz .LBB399_4
; %bb.3:
	s_mov_b64 s[2:3], src_shared_base
	v_dual_mov_b32 v31, v0 :: v_dual_mov_b32 v40, v0
	v_dual_mov_b32 v0, s36 :: v_dual_mov_b32 v1, s37
	;; [unrolled: 1-line block ×7, first 2 shown]
	s_wait_alu 0xfffe
	v_dual_mov_b32 v12, 0 :: v_dual_mov_b32 v13, s3
	s_add_nc_u64 s[8:9], s[0:1], 0x60
	s_getpc_b64 s[4:5]
	s_sext_i32_i16 s5, s5
	s_add_co_u32 s4, s4, _ZN7rocprim17ROCPRIM_400000_NS6detail40segmented_radix_sort_single_block_helperIalLj256ELj8ELb0EE4sortIPKaPaPKlPlEEbT_T0_T1_T2_jjjjRNS3_12storage_typeE@rel32@lo+8
	s_add_co_ci_u32 s5, s5, _ZN7rocprim17ROCPRIM_400000_NS6detail40segmented_radix_sort_single_block_helperIalLj256ELj8ELb0EE4sortIPKaPaPKlPlEEbT_T0_T1_T2_jjjjRNS3_12storage_typeE@rel32@hi+16
	s_mov_b64 s[22:23], s[0:1]
	s_swappc_b64 s[30:31], s[4:5]
	v_mov_b32_e32 v0, v40
	s_mov_b64 s[0:1], s[22:23]
	s_mov_b32 s2, 0
.LBB399_4:
	s_wait_alu 0xfffe
	s_and_not1_b32 vcc_lo, exec_lo, s2
	s_wait_alu 0xfffe
	s_cbranch_vccnz .LBB399_6
; %bb.5:
	s_mov_b64 s[2:3], src_shared_base
	v_dual_mov_b32 v31, v0 :: v_dual_mov_b32 v40, v0
	v_dual_mov_b32 v0, s36 :: v_dual_mov_b32 v1, s37
	;; [unrolled: 1-line block ×7, first 2 shown]
	s_wait_alu 0xfffe
	v_dual_mov_b32 v12, 0 :: v_dual_mov_b32 v13, s3
	s_add_nc_u64 s[8:9], s[0:1], 0x60
	s_getpc_b64 s[4:5]
	s_wait_alu 0xfffe
	s_sext_i32_i16 s5, s5
	s_add_co_u32 s4, s4, _ZN7rocprim17ROCPRIM_400000_NS6detail40segmented_radix_sort_single_block_helperIalLj256ELj8ELb0EE4sortIPKaPaPKlPlEEbT_T0_T1_T2_jjjjRNS3_12storage_typeE@rel32@lo+12
	s_wait_alu 0xfffe
	s_add_co_ci_u32 s5, s5, _ZN7rocprim17ROCPRIM_400000_NS6detail40segmented_radix_sort_single_block_helperIalLj256ELj8ELb0EE4sortIPKaPaPKlPlEEbT_T0_T1_T2_jjjjRNS3_12storage_typeE@rel32@hi+24
	s_mov_b64 s[22:23], s[0:1]
	s_wait_alu 0xfffe
	s_swappc_b64 s[30:31], s[4:5]
	v_mov_b32_e32 v0, v40
	s_mov_b64 s[0:1], s[22:23]
.LBB399_6:
	s_mov_b32 s2, 0
.LBB399_7:
	s_wait_alu 0xfffe
	s_and_not1_b32 vcc_lo, exec_lo, s2
	s_wait_alu 0xfffe
	s_cbranch_vccnz .LBB399_670
; %bb.8:
	s_cmp_ge_u32 s45, s46
	s_cbranch_scc1 .LBB399_670
; %bb.9:
	v_and_b32_e32 v1, 0x3ff, v0
	v_dual_mov_b32 v61, 1 :: v_dual_and_b32 v2, 3, v0
	v_lshrrev_b32_e32 v4, 3, v0
	v_mbcnt_lo_u32_b32 v58, -1, 0
	s_delay_alu instid0(VALU_DEP_4) | instskip(NEXT) | instid1(VALU_DEP_4)
	v_or_b32_e32 v5, 31, v1
	v_lshlrev_b32_e32 v39, 2, v2
	v_lshlrev_b32_e32 v2, 3, v1
	v_and_b32_e32 v38, 28, v4
	v_lshlrev_b32_e32 v4, 5, v1
	v_cmp_eq_u32_e64 s3, v1, v5
	v_dual_mov_b32 v3, 0 :: v_dual_lshlrev_b32 v28, 2, v1
	v_and_b32_e32 v2, 0x700, v2
	s_delay_alu instid0(VALU_DEP_4) | instskip(SKIP_2) | instid1(VALU_DEP_4)
	v_sub_nc_u32_e32 v46, 0, v4
	v_lshlrev_b32_e32 v66, 3, v58
	v_add_co_u32 v32, s2, s40, v1
	v_lshlrev_b32_e32 v5, 3, v2
	v_mad_u32_u24 v40, v1, 12, v28
	v_or_b32_e32 v68, v58, v2
	v_or_b32_e32 v29, 0x100, v1
	;; [unrolled: 1-line block ×3, first 2 shown]
	v_add_co_u32 v4, s8, s26, v5
	s_wait_alu 0xf1ff
	v_add_co_ci_u32_e64 v6, null, s27, 0, s8
	v_add_co_u32 v7, s8, s40, v2
	s_wait_alu 0xf1ff
	v_add_co_ci_u32_e64 v8, null, s41, 0, s8
	;; [unrolled: 3-line block ×6, first 2 shown]
	v_add_co_u32 v56, s8, s42, v5
	v_add_co_u32 v69, vcc_lo, v4, v66
	s_wait_alu 0xf1ff
	v_add_co_ci_u32_e64 v57, null, s43, 0, s8
	v_add_co_u32 v59, s8, s36, v2
	s_wait_alu 0xfffd
	v_add_co_ci_u32_e64 v70, null, 0, v6, vcc_lo
	v_add_co_u32 v78, vcc_lo, v7, v58
	v_or_b32_e32 v31, 0x300, v1
	v_add_co_ci_u32_e64 v33, null, s41, 0, s2
	v_or_b32_e32 v34, 0x400, v1
	v_or_b32_e32 v35, 0x500, v1
	;; [unrolled: 1-line block ×4, first 2 shown]
	v_cmp_gt_u32_e64 s2, 0x100, v1
	v_or_b32_e32 v41, 0x4400, v38
	v_cmp_gt_u32_e64 s4, 8, v1
	v_add_nc_u32_e32 v42, 0x4400, v28
	v_cmp_lt_u32_e64 s5, 31, v1
	v_add_nc_u32_e32 v43, 0x43fc, v38
	v_bfe_u32 v44, v0, 20, 10
	v_bfe_u32 v0, v0, 10, 10
	v_mad_u32_u24 v45, v1, 20, v40
	v_cmp_eq_u32_e64 s6, 0, v1
	v_cmp_ne_u32_e64 s7, 0xff, v1
	v_mul_u32_u24_e32 v47, 7, v1
	s_wait_alu 0xf1ff
	v_add_co_ci_u32_e64 v60, null, s37, 0, s8
	v_and_b32_e32 v62, 15, v58
	v_bfe_i32 v63, v58, 4, 1
	v_and_b32_e32 v64, 16, v58
	v_and_b32_e32 v65, 7, v58
	v_sub_co_u32 v67, s8, v58, 1
	v_or_b32_e32 v71, 32, v68
	v_or_b32_e32 v72, 64, v68
	;; [unrolled: 1-line block ×7, first 2 shown]
	s_wait_alu 0xfffd
	v_add_co_ci_u32_e64 v79, null, 0, v8, vcc_lo
	s_add_nc_u64 s[28:29], s[0:1], 0x60
	s_mov_b32 s23, 0
	s_mov_b32 s30, s45
	s_branch .LBB399_12
.LBB399_10:                             ;   in Loop: Header=BB399_12 Depth=1
	s_wait_loadcnt_dscnt 0x0
	s_barrier_signal -1
	s_barrier_wait -1
.LBB399_11:                             ;   in Loop: Header=BB399_12 Depth=1
	s_add_co_i32 s30, s30, 8
	global_inv scope:SCOPE_SE
	s_wait_alu 0xfffe
	s_cmp_ge_u32 s30, s46
	s_cbranch_scc1 .LBB399_670
.LBB399_12:                             ; =>This Loop Header: Depth=1
                                        ;     Child Loop BB399_16 Depth 2
                                        ;     Child Loop BB399_64 Depth 2
	;; [unrolled: 1-line block ×8, first 2 shown]
	s_wait_alu 0xfffe
	s_sub_co_i32 s0, s46, s30
	s_xor_b32 s35, s35, -1
	s_wait_alu 0xfffe
	s_min_u32 s0, s0, 8
	ds_store_2addr_stride64_b32 v28, v3, v3 offset1:4
	s_wait_alu 0xfffe
	s_lshl_b32 s0, -1, s0
	ds_store_2addr_stride64_b32 v28, v3, v3 offset0:8 offset1:12
	s_wait_alu 0xfffe
	s_not_b32 s31, s0
	s_cmp_lg_u32 s30, s45
	s_mov_b32 s0, -1
	s_wait_storecnt_dscnt 0x0
	s_cbranch_scc0 .LBB399_342
; %bb.13:                               ;   in Loop: Header=BB399_12 Depth=1
	s_and_b32 vcc_lo, exec_lo, s35
	s_wait_alu 0xfffe
	s_cbranch_vccz .LBB399_177
; %bb.14:                               ;   in Loop: Header=BB399_12 Depth=1
	v_dual_mov_b32 v7, 0 :: v_dual_mov_b32 v10, 0
	v_dual_mov_b32 v9, 0 :: v_dual_mov_b32 v8, 0
	;; [unrolled: 1-line block ×3, first 2 shown]
	v_mov_b32_e32 v4, 0
	v_mov_b32_e32 v2, 0
	s_mov_b32 s9, s47
	s_mov_b32 s22, s33
	s_barrier_signal -1
	s_barrier_wait -1
	global_inv scope:SCOPE_SE
	s_branch .LBB399_16
.LBB399_15:                             ;   in Loop: Header=BB399_16 Depth=2
	s_wait_alu 0xfffe
	s_or_b32 exec_lo, exec_lo, s0
	s_addk_co_i32 s9, 0xf800
	s_cmp_ge_u32 s10, s34
	s_mov_b32 s22, s10
	s_cbranch_scc1 .LBB399_52
.LBB399_16:                             ;   Parent Loop BB399_12 Depth=1
                                        ; =>  This Inner Loop Header: Depth=2
	s_wait_alu 0xfffe
	s_add_co_i32 s10, s22, 0x800
	s_mov_b32 s0, -1
	s_wait_alu 0xfffe
	s_cmp_gt_u32 s10, s34
                                        ; implicit-def: $vgpr11
                                        ; implicit-def: $vgpr12
                                        ; implicit-def: $vgpr13
                                        ; implicit-def: $vgpr14
                                        ; implicit-def: $vgpr15
                                        ; implicit-def: $vgpr16
                                        ; implicit-def: $vgpr17
                                        ; implicit-def: $vgpr18
	s_cbranch_scc1 .LBB399_18
; %bb.17:                               ;   in Loop: Header=BB399_16 Depth=2
	v_add_co_u32 v19, vcc_lo, v32, s22
	s_wait_alu 0xfffd
	v_add_co_ci_u32_e64 v20, null, 0, v33, vcc_lo
	s_mov_b32 s0, 0
	s_clause 0x7
	global_load_u8 v18, v[19:20], off offset:1792
	global_load_u8 v17, v[19:20], off offset:1536
	;; [unrolled: 1-line block ×7, first 2 shown]
	global_load_u8 v11, v[19:20], off
.LBB399_18:                             ;   in Loop: Header=BB399_16 Depth=2
	s_wait_alu 0xfffe
	s_and_not1_b32 vcc_lo, exec_lo, s0
	s_movk_i32 s0, 0x800
	s_wait_alu 0xfffe
	s_cbranch_vccnz .LBB399_29
; %bb.19:                               ;   in Loop: Header=BB399_16 Depth=2
	s_add_nc_u64 s[0:1], s[40:41], s[22:23]
	s_mov_b32 s11, exec_lo
	v_cmpx_gt_u32_e64 s9, v1
	s_cbranch_execnz .LBB399_45
; %bb.20:                               ;   in Loop: Header=BB399_16 Depth=2
	s_wait_alu 0xfffe
	s_or_b32 exec_lo, exec_lo, s11
	s_delay_alu instid0(SALU_CYCLE_1)
	s_mov_b32 s11, exec_lo
	v_cmpx_gt_u32_e64 s9, v29
	s_cbranch_execnz .LBB399_46
.LBB399_21:                             ;   in Loop: Header=BB399_16 Depth=2
	s_wait_alu 0xfffe
	s_or_b32 exec_lo, exec_lo, s11
	s_delay_alu instid0(SALU_CYCLE_1)
	s_mov_b32 s11, exec_lo
	v_cmpx_gt_u32_e64 s9, v30
	s_cbranch_execnz .LBB399_47
.LBB399_22:                             ;   in Loop: Header=BB399_16 Depth=2
	s_wait_alu 0xfffe
	s_or_b32 exec_lo, exec_lo, s11
	s_delay_alu instid0(SALU_CYCLE_1)
	s_mov_b32 s11, exec_lo
	v_cmpx_gt_u32_e64 s9, v31
	s_cbranch_execnz .LBB399_48
.LBB399_23:                             ;   in Loop: Header=BB399_16 Depth=2
	s_wait_alu 0xfffe
	s_or_b32 exec_lo, exec_lo, s11
	s_delay_alu instid0(SALU_CYCLE_1)
	s_mov_b32 s11, exec_lo
	v_cmpx_gt_u32_e64 s9, v34
	s_cbranch_execnz .LBB399_49
.LBB399_24:                             ;   in Loop: Header=BB399_16 Depth=2
	s_wait_alu 0xfffe
	s_or_b32 exec_lo, exec_lo, s11
	s_delay_alu instid0(SALU_CYCLE_1)
	s_mov_b32 s11, exec_lo
	v_cmpx_gt_u32_e64 s9, v35
	s_cbranch_execnz .LBB399_50
.LBB399_25:                             ;   in Loop: Header=BB399_16 Depth=2
	s_wait_alu 0xfffe
	s_or_b32 exec_lo, exec_lo, s11
	s_delay_alu instid0(SALU_CYCLE_1)
	s_mov_b32 s11, exec_lo
	v_cmpx_gt_u32_e64 s9, v36
	s_cbranch_execnz .LBB399_51
.LBB399_26:                             ;   in Loop: Header=BB399_16 Depth=2
	s_wait_alu 0xfffe
	s_or_b32 exec_lo, exec_lo, s11
	s_delay_alu instid0(SALU_CYCLE_1)
	s_mov_b32 s11, exec_lo
	v_cmpx_gt_u32_e64 s9, v37
	s_cbranch_execz .LBB399_28
.LBB399_27:                             ;   in Loop: Header=BB399_16 Depth=2
	s_wait_loadcnt 0x0
	v_add_co_u32 v11, s0, s0, v1
	s_wait_alu 0xf1ff
	v_add_co_ci_u32_e64 v12, null, s1, 0, s0
	global_load_u8 v2, v[11:12], off offset:1792
.LBB399_28:                             ;   in Loop: Header=BB399_16 Depth=2
	s_wait_alu 0xfffe
	s_or_b32 exec_lo, exec_lo, s11
	s_wait_loadcnt 0x0
	v_dual_mov_b32 v11, v7 :: v_dual_mov_b32 v12, v10
	v_dual_mov_b32 v13, v9 :: v_dual_mov_b32 v14, v8
	;; [unrolled: 1-line block ×4, first 2 shown]
	s_mov_b32 s0, s9
.LBB399_29:                             ;   in Loop: Header=BB399_16 Depth=2
	s_wait_loadcnt 0x5
	s_delay_alu instid0(VALU_DEP_1)
	v_dual_mov_b32 v2, v18 :: v_dual_mov_b32 v5, v16
	s_wait_loadcnt 0x2
	v_dual_mov_b32 v4, v17 :: v_dual_mov_b32 v9, v13
	s_wait_loadcnt 0x0
	v_dual_mov_b32 v6, v15 :: v_dual_mov_b32 v7, v11
	v_mov_b32_e32 v8, v14
	v_mov_b32_e32 v10, v12
	s_mov_b32 s1, exec_lo
	s_wait_alu 0xfffe
	v_cmpx_gt_u32_e64 s0, v1
	s_cbranch_execnz .LBB399_37
; %bb.30:                               ;   in Loop: Header=BB399_16 Depth=2
	s_or_b32 exec_lo, exec_lo, s1
	s_delay_alu instid0(SALU_CYCLE_1)
	s_mov_b32 s1, exec_lo
	v_cmpx_gt_u32_e64 s0, v29
	s_cbranch_execnz .LBB399_38
.LBB399_31:                             ;   in Loop: Header=BB399_16 Depth=2
	s_wait_alu 0xfffe
	s_or_b32 exec_lo, exec_lo, s1
	s_delay_alu instid0(SALU_CYCLE_1)
	s_mov_b32 s1, exec_lo
	v_cmpx_gt_u32_e64 s0, v30
	s_cbranch_execnz .LBB399_39
.LBB399_32:                             ;   in Loop: Header=BB399_16 Depth=2
	s_wait_alu 0xfffe
	s_or_b32 exec_lo, exec_lo, s1
	s_delay_alu instid0(SALU_CYCLE_1)
	s_mov_b32 s1, exec_lo
	v_cmpx_gt_u32_e64 s0, v31
	s_cbranch_execnz .LBB399_40
.LBB399_33:                             ;   in Loop: Header=BB399_16 Depth=2
	s_wait_alu 0xfffe
	s_or_b32 exec_lo, exec_lo, s1
	s_delay_alu instid0(SALU_CYCLE_1)
	s_mov_b32 s1, exec_lo
	v_cmpx_gt_u32_e64 s0, v34
	s_cbranch_execnz .LBB399_41
.LBB399_34:                             ;   in Loop: Header=BB399_16 Depth=2
	s_wait_alu 0xfffe
	s_or_b32 exec_lo, exec_lo, s1
	s_delay_alu instid0(SALU_CYCLE_1)
	s_mov_b32 s1, exec_lo
	v_cmpx_gt_u32_e64 s0, v35
	s_cbranch_execnz .LBB399_42
.LBB399_35:                             ;   in Loop: Header=BB399_16 Depth=2
	s_wait_alu 0xfffe
	s_or_b32 exec_lo, exec_lo, s1
	s_delay_alu instid0(SALU_CYCLE_1)
	s_mov_b32 s1, exec_lo
	v_cmpx_gt_u32_e64 s0, v36
	s_cbranch_execnz .LBB399_43
.LBB399_36:                             ;   in Loop: Header=BB399_16 Depth=2
	s_wait_alu 0xfffe
	s_or_b32 exec_lo, exec_lo, s1
	v_cmp_gt_u32_e32 vcc_lo, s0, v37
	s_and_saveexec_b32 s0, vcc_lo
	s_cbranch_execz .LBB399_15
	s_branch .LBB399_44
.LBB399_37:                             ;   in Loop: Header=BB399_16 Depth=2
	v_xor_b32_e32 v11, 0x80, v7
	s_delay_alu instid0(VALU_DEP_1) | instskip(NEXT) | instid1(VALU_DEP_1)
	v_and_b32_e32 v11, 0xff, v11
	v_lshrrev_b32_e32 v11, s30, v11
	s_delay_alu instid0(VALU_DEP_1) | instskip(NEXT) | instid1(VALU_DEP_1)
	v_and_b32_e32 v11, s31, v11
	v_lshl_or_b32 v11, v11, 4, v39
	ds_add_u32 v11, v61
	s_or_b32 exec_lo, exec_lo, s1
	s_delay_alu instid0(SALU_CYCLE_1)
	s_mov_b32 s1, exec_lo
	v_cmpx_gt_u32_e64 s0, v29
	s_cbranch_execz .LBB399_31
.LBB399_38:                             ;   in Loop: Header=BB399_16 Depth=2
	v_xor_b32_e32 v11, 0x80, v10
	s_delay_alu instid0(VALU_DEP_1) | instskip(NEXT) | instid1(VALU_DEP_1)
	v_and_b32_e32 v11, 0xff, v11
	v_lshrrev_b32_e32 v11, s30, v11
	s_delay_alu instid0(VALU_DEP_1) | instskip(NEXT) | instid1(VALU_DEP_1)
	v_and_b32_e32 v11, s31, v11
	v_lshl_or_b32 v11, v11, 4, v39
	ds_add_u32 v11, v61
	s_wait_alu 0xfffe
	s_or_b32 exec_lo, exec_lo, s1
	s_delay_alu instid0(SALU_CYCLE_1)
	s_mov_b32 s1, exec_lo
	v_cmpx_gt_u32_e64 s0, v30
	s_cbranch_execz .LBB399_32
.LBB399_39:                             ;   in Loop: Header=BB399_16 Depth=2
	v_xor_b32_e32 v11, 0x80, v9
	s_delay_alu instid0(VALU_DEP_1) | instskip(NEXT) | instid1(VALU_DEP_1)
	v_and_b32_e32 v11, 0xff, v11
	v_lshrrev_b32_e32 v11, s30, v11
	s_delay_alu instid0(VALU_DEP_1) | instskip(NEXT) | instid1(VALU_DEP_1)
	v_and_b32_e32 v11, s31, v11
	v_lshl_or_b32 v11, v11, 4, v39
	ds_add_u32 v11, v61
	s_wait_alu 0xfffe
	s_or_b32 exec_lo, exec_lo, s1
	s_delay_alu instid0(SALU_CYCLE_1)
	s_mov_b32 s1, exec_lo
	v_cmpx_gt_u32_e64 s0, v31
	s_cbranch_execz .LBB399_33
.LBB399_40:                             ;   in Loop: Header=BB399_16 Depth=2
	v_xor_b32_e32 v11, 0x80, v8
	s_delay_alu instid0(VALU_DEP_1) | instskip(NEXT) | instid1(VALU_DEP_1)
	v_and_b32_e32 v11, 0xff, v11
	v_lshrrev_b32_e32 v11, s30, v11
	s_delay_alu instid0(VALU_DEP_1) | instskip(NEXT) | instid1(VALU_DEP_1)
	v_and_b32_e32 v11, s31, v11
	v_lshl_or_b32 v11, v11, 4, v39
	ds_add_u32 v11, v61
	s_wait_alu 0xfffe
	s_or_b32 exec_lo, exec_lo, s1
	s_delay_alu instid0(SALU_CYCLE_1)
	s_mov_b32 s1, exec_lo
	v_cmpx_gt_u32_e64 s0, v34
	s_cbranch_execz .LBB399_34
.LBB399_41:                             ;   in Loop: Header=BB399_16 Depth=2
	v_xor_b32_e32 v11, 0x80, v6
	s_delay_alu instid0(VALU_DEP_1) | instskip(NEXT) | instid1(VALU_DEP_1)
	v_and_b32_e32 v11, 0xff, v11
	v_lshrrev_b32_e32 v11, s30, v11
	s_delay_alu instid0(VALU_DEP_1) | instskip(NEXT) | instid1(VALU_DEP_1)
	v_and_b32_e32 v11, s31, v11
	v_lshl_or_b32 v11, v11, 4, v39
	ds_add_u32 v11, v61
	s_wait_alu 0xfffe
	s_or_b32 exec_lo, exec_lo, s1
	s_delay_alu instid0(SALU_CYCLE_1)
	s_mov_b32 s1, exec_lo
	v_cmpx_gt_u32_e64 s0, v35
	s_cbranch_execz .LBB399_35
.LBB399_42:                             ;   in Loop: Header=BB399_16 Depth=2
	v_xor_b32_e32 v11, 0x80, v5
	s_delay_alu instid0(VALU_DEP_1) | instskip(NEXT) | instid1(VALU_DEP_1)
	v_and_b32_e32 v11, 0xff, v11
	v_lshrrev_b32_e32 v11, s30, v11
	s_delay_alu instid0(VALU_DEP_1) | instskip(NEXT) | instid1(VALU_DEP_1)
	v_and_b32_e32 v11, s31, v11
	v_lshl_or_b32 v11, v11, 4, v39
	ds_add_u32 v11, v61
	s_wait_alu 0xfffe
	s_or_b32 exec_lo, exec_lo, s1
	s_delay_alu instid0(SALU_CYCLE_1)
	s_mov_b32 s1, exec_lo
	v_cmpx_gt_u32_e64 s0, v36
	s_cbranch_execz .LBB399_36
.LBB399_43:                             ;   in Loop: Header=BB399_16 Depth=2
	v_xor_b32_e32 v11, 0x80, v4
	s_delay_alu instid0(VALU_DEP_1) | instskip(NEXT) | instid1(VALU_DEP_1)
	v_and_b32_e32 v11, 0xff, v11
	v_lshrrev_b32_e32 v11, s30, v11
	s_delay_alu instid0(VALU_DEP_1) | instskip(NEXT) | instid1(VALU_DEP_1)
	v_and_b32_e32 v11, s31, v11
	v_lshl_or_b32 v11, v11, 4, v39
	ds_add_u32 v11, v61
	s_wait_alu 0xfffe
	s_or_b32 exec_lo, exec_lo, s1
	v_cmp_gt_u32_e32 vcc_lo, s0, v37
	s_and_saveexec_b32 s0, vcc_lo
	s_cbranch_execz .LBB399_15
.LBB399_44:                             ;   in Loop: Header=BB399_16 Depth=2
	v_xor_b32_e32 v11, 0x80, v2
	s_delay_alu instid0(VALU_DEP_1) | instskip(NEXT) | instid1(VALU_DEP_1)
	v_and_b32_e32 v11, 0xff, v11
	v_lshrrev_b32_e32 v11, s30, v11
	s_delay_alu instid0(VALU_DEP_1) | instskip(NEXT) | instid1(VALU_DEP_1)
	v_and_b32_e32 v11, s31, v11
	v_lshl_or_b32 v11, v11, 4, v39
	ds_add_u32 v11, v61
	s_branch .LBB399_15
.LBB399_45:                             ;   in Loop: Header=BB399_16 Depth=2
	s_wait_loadcnt 0x0
	s_wait_alu 0xfffe
	v_add_co_u32 v11, s12, s0, v1
	s_wait_alu 0xf1ff
	v_add_co_ci_u32_e64 v12, null, s1, 0, s12
	global_load_u8 v7, v[11:12], off
	s_or_b32 exec_lo, exec_lo, s11
	s_delay_alu instid0(SALU_CYCLE_1)
	s_mov_b32 s11, exec_lo
	v_cmpx_gt_u32_e64 s9, v29
	s_cbranch_execz .LBB399_21
.LBB399_46:                             ;   in Loop: Header=BB399_16 Depth=2
	v_add_co_u32 v10, s12, s0, v1
	s_wait_loadcnt 0x0
	s_wait_alu 0xf1ff
	v_add_co_ci_u32_e64 v11, null, s1, 0, s12
	global_load_u8 v10, v[10:11], off offset:256
	s_wait_alu 0xfffe
	s_or_b32 exec_lo, exec_lo, s11
	s_delay_alu instid0(SALU_CYCLE_1)
	s_mov_b32 s11, exec_lo
	v_cmpx_gt_u32_e64 s9, v30
	s_cbranch_execz .LBB399_22
.LBB399_47:                             ;   in Loop: Header=BB399_16 Depth=2
	s_wait_loadcnt 0x0
	v_add_co_u32 v11, s12, s0, v1
	s_wait_alu 0xf1ff
	v_add_co_ci_u32_e64 v12, null, s1, 0, s12
	global_load_u8 v9, v[11:12], off offset:512
	s_wait_alu 0xfffe
	s_or_b32 exec_lo, exec_lo, s11
	s_delay_alu instid0(SALU_CYCLE_1)
	s_mov_b32 s11, exec_lo
	v_cmpx_gt_u32_e64 s9, v31
	s_cbranch_execz .LBB399_23
.LBB399_48:                             ;   in Loop: Header=BB399_16 Depth=2
	s_wait_loadcnt 0x0
	v_add_co_u32 v11, s12, s0, v1
	s_wait_alu 0xf1ff
	v_add_co_ci_u32_e64 v12, null, s1, 0, s12
	global_load_u8 v8, v[11:12], off offset:768
	s_wait_alu 0xfffe
	s_or_b32 exec_lo, exec_lo, s11
	s_delay_alu instid0(SALU_CYCLE_1)
	s_mov_b32 s11, exec_lo
	v_cmpx_gt_u32_e64 s9, v34
	s_cbranch_execz .LBB399_24
.LBB399_49:                             ;   in Loop: Header=BB399_16 Depth=2
	s_wait_loadcnt 0x0
	v_add_co_u32 v11, s12, s0, v1
	s_wait_alu 0xf1ff
	v_add_co_ci_u32_e64 v12, null, s1, 0, s12
	global_load_u8 v6, v[11:12], off offset:1024
	s_wait_alu 0xfffe
	s_or_b32 exec_lo, exec_lo, s11
	s_delay_alu instid0(SALU_CYCLE_1)
	s_mov_b32 s11, exec_lo
	v_cmpx_gt_u32_e64 s9, v35
	s_cbranch_execz .LBB399_25
.LBB399_50:                             ;   in Loop: Header=BB399_16 Depth=2
	s_wait_loadcnt 0x0
	v_add_co_u32 v11, s12, s0, v1
	s_wait_alu 0xf1ff
	v_add_co_ci_u32_e64 v12, null, s1, 0, s12
	global_load_u8 v5, v[11:12], off offset:1280
	s_wait_alu 0xfffe
	s_or_b32 exec_lo, exec_lo, s11
	s_delay_alu instid0(SALU_CYCLE_1)
	s_mov_b32 s11, exec_lo
	v_cmpx_gt_u32_e64 s9, v36
	s_cbranch_execz .LBB399_26
.LBB399_51:                             ;   in Loop: Header=BB399_16 Depth=2
	s_wait_loadcnt 0x0
	v_add_co_u32 v11, s12, s0, v1
	s_wait_alu 0xf1ff
	v_add_co_ci_u32_e64 v12, null, s1, 0, s12
	global_load_u8 v4, v[11:12], off offset:1536
	s_wait_alu 0xfffe
	s_or_b32 exec_lo, exec_lo, s11
	s_delay_alu instid0(SALU_CYCLE_1)
	s_mov_b32 s11, exec_lo
	v_cmpx_gt_u32_e64 s9, v37
	s_cbranch_execnz .LBB399_27
	s_branch .LBB399_28
.LBB399_52:                             ;   in Loop: Header=BB399_12 Depth=1
	v_mov_b32_e32 v2, 0
	s_wait_dscnt 0x0
	s_barrier_signal -1
	s_barrier_wait -1
	global_inv scope:SCOPE_SE
	s_and_saveexec_b32 s0, s2
	s_cbranch_execz .LBB399_54
; %bb.53:                               ;   in Loop: Header=BB399_12 Depth=1
	ds_load_2addr_b64 v[4:7], v40 offset1:1
	s_wait_dscnt 0x0
	v_add_nc_u32_e32 v2, v5, v4
	s_delay_alu instid0(VALU_DEP_1)
	v_add3_u32 v2, v2, v6, v7
.LBB399_54:                             ;   in Loop: Header=BB399_12 Depth=1
	s_wait_alu 0xfffe
	s_or_b32 exec_lo, exec_lo, s0
	s_delay_alu instid0(VALU_DEP_1)
	v_mov_b32_dpp v4, v2 row_shr:1 row_mask:0xf bank_mask:0xf
	v_cmp_eq_u32_e64 s0, 0, v62
	v_cmp_lt_u32_e64 s1, 1, v62
	v_cmp_lt_u32_e64 s9, 3, v62
	;; [unrolled: 1-line block ×3, first 2 shown]
	v_cmp_eq_u32_e64 s11, 0, v64
	s_wait_alu 0xf1ff
	v_cndmask_b32_e64 v4, v4, 0, s0
	s_delay_alu instid0(VALU_DEP_1) | instskip(NEXT) | instid1(VALU_DEP_1)
	v_add_nc_u32_e32 v2, v4, v2
	v_mov_b32_dpp v4, v2 row_shr:2 row_mask:0xf bank_mask:0xf
	s_delay_alu instid0(VALU_DEP_1) | instskip(NEXT) | instid1(VALU_DEP_1)
	v_cndmask_b32_e64 v4, 0, v4, s1
	v_add_nc_u32_e32 v2, v2, v4
	s_delay_alu instid0(VALU_DEP_1) | instskip(NEXT) | instid1(VALU_DEP_1)
	v_mov_b32_dpp v4, v2 row_shr:4 row_mask:0xf bank_mask:0xf
	v_cndmask_b32_e64 v4, 0, v4, s9
	s_delay_alu instid0(VALU_DEP_1) | instskip(NEXT) | instid1(VALU_DEP_1)
	v_add_nc_u32_e32 v2, v2, v4
	v_mov_b32_dpp v4, v2 row_shr:8 row_mask:0xf bank_mask:0xf
	s_delay_alu instid0(VALU_DEP_1) | instskip(NEXT) | instid1(VALU_DEP_1)
	v_cndmask_b32_e64 v4, 0, v4, s10
	v_add_nc_u32_e32 v2, v2, v4
	ds_swizzle_b32 v4, v2 offset:swizzle(BROADCAST,32,15)
	s_wait_dscnt 0x0
	v_and_b32_e32 v4, v63, v4
	s_delay_alu instid0(VALU_DEP_1)
	v_add_nc_u32_e32 v2, v2, v4
	s_and_saveexec_b32 s12, s3
; %bb.55:                               ;   in Loop: Header=BB399_12 Depth=1
	ds_store_b32 v41, v2
; %bb.56:                               ;   in Loop: Header=BB399_12 Depth=1
	s_wait_alu 0xfffe
	s_or_b32 exec_lo, exec_lo, s12
	s_wait_loadcnt_dscnt 0x0
	s_barrier_signal -1
	s_barrier_wait -1
	global_inv scope:SCOPE_SE
	s_and_saveexec_b32 s12, s4
	s_cbranch_execz .LBB399_58
; %bb.57:                               ;   in Loop: Header=BB399_12 Depth=1
	ds_load_b32 v4, v42
	v_cmp_ne_u32_e32 vcc_lo, 0, v65
	s_wait_dscnt 0x0
	v_mov_b32_dpp v5, v4 row_shr:1 row_mask:0xf bank_mask:0xf
	s_wait_alu 0xfffd
	s_delay_alu instid0(VALU_DEP_1) | instskip(SKIP_1) | instid1(VALU_DEP_2)
	v_cndmask_b32_e32 v5, 0, v5, vcc_lo
	v_cmp_lt_u32_e32 vcc_lo, 1, v65
	v_add_nc_u32_e32 v4, v5, v4
	s_delay_alu instid0(VALU_DEP_1) | instskip(SKIP_1) | instid1(VALU_DEP_1)
	v_mov_b32_dpp v5, v4 row_shr:2 row_mask:0xf bank_mask:0xf
	s_wait_alu 0xfffd
	v_cndmask_b32_e32 v5, 0, v5, vcc_lo
	v_cmp_lt_u32_e32 vcc_lo, 3, v65
	s_delay_alu instid0(VALU_DEP_2) | instskip(NEXT) | instid1(VALU_DEP_1)
	v_add_nc_u32_e32 v4, v4, v5
	v_mov_b32_dpp v5, v4 row_shr:4 row_mask:0xf bank_mask:0xf
	s_wait_alu 0xfffd
	s_delay_alu instid0(VALU_DEP_1) | instskip(NEXT) | instid1(VALU_DEP_1)
	v_cndmask_b32_e32 v5, 0, v5, vcc_lo
	v_add_nc_u32_e32 v4, v4, v5
	ds_store_b32 v42, v4
.LBB399_58:                             ;   in Loop: Header=BB399_12 Depth=1
	s_wait_alu 0xfffe
	s_or_b32 exec_lo, exec_lo, s12
	v_mov_b32_e32 v4, 0
	s_wait_loadcnt_dscnt 0x0
	s_barrier_signal -1
	s_barrier_wait -1
	global_inv scope:SCOPE_SE
	s_and_saveexec_b32 s12, s5
; %bb.59:                               ;   in Loop: Header=BB399_12 Depth=1
	ds_load_b32 v4, v43
; %bb.60:                               ;   in Loop: Header=BB399_12 Depth=1
	s_wait_alu 0xfffe
	s_or_b32 exec_lo, exec_lo, s12
	v_cmp_gt_i32_e32 vcc_lo, 0, v67
	s_wait_dscnt 0x0
	v_add_nc_u32_e32 v2, v4, v2
	s_wait_loadcnt 0x0
	s_barrier_signal -1
	s_barrier_wait -1
	s_wait_alu 0xfffd
	v_cndmask_b32_e32 v5, v67, v58, vcc_lo
	global_inv scope:SCOPE_SE
	v_lshlrev_b32_e32 v80, 2, v5
	ds_bpermute_b32 v2, v80, v2
	s_and_saveexec_b32 s12, s2
	s_cbranch_execz .LBB399_62
; %bb.61:                               ;   in Loop: Header=BB399_12 Depth=1
	s_wait_dscnt 0x0
	v_cndmask_b32_e64 v2, v2, v4, s8
	s_delay_alu instid0(VALU_DEP_1)
	v_add_nc_u32_e32 v2, s33, v2
	ds_store_b32 v28, v2
.LBB399_62:                             ;   in Loop: Header=BB399_12 Depth=1
	s_wait_alu 0xfffe
	s_or_b32 exec_lo, exec_lo, s12
	s_clause 0x1
	s_load_b32 s12, s[28:29], 0x4
	s_load_b32 s14, s[28:29], 0xc
	s_mov_b32 s42, s47
                                        ; implicit-def: $vgpr6_vgpr7
                                        ; implicit-def: $vgpr8_vgpr9
                                        ; implicit-def: $vgpr10_vgpr11
                                        ; implicit-def: $vgpr12_vgpr13
                                        ; implicit-def: $vgpr14_vgpr15
                                        ; implicit-def: $vgpr16_vgpr17
                                        ; implicit-def: $vgpr18_vgpr19
                                        ; implicit-def: $vgpr82
                                        ; implicit-def: $vgpr83
                                        ; implicit-def: $vgpr84
                                        ; implicit-def: $vgpr85
                                        ; implicit-def: $vgpr86
                                        ; implicit-def: $vgpr87
                                        ; implicit-def: $vgpr88
                                        ; implicit-def: $vgpr89
	s_wait_kmcnt 0x0
	s_cmp_lt_u32 ttmp7, s12
	s_cselect_b32 s22, 14, 20
	s_wait_alu 0xfffe
	s_add_nc_u64 s[12:13], s[28:29], s[22:23]
	s_mov_b32 s22, s33
	s_load_u16 s12, s[12:13], 0x0
	v_cmp_lt_u32_e64 s13, 1, v65
	s_wait_dscnt 0x0
	s_wait_kmcnt 0x0
	v_mad_u32_u24 v2, v44, s12, v0
	s_and_b32 s12, s14, 0xffff
	v_cmp_lt_u32_e64 s14, 3, v65
	s_wait_alu 0xfffe
	s_delay_alu instid0(VALU_DEP_2) | instskip(SKIP_1) | instid1(VALU_DEP_2)
	v_mad_co_u64_u32 v[4:5], null, v2, s12, v[1:2]
	v_cmp_eq_u32_e64 s12, 0, v65
	v_lshrrev_b32_e32 v2, 3, v4
                                        ; implicit-def: $vgpr4_vgpr5
	s_delay_alu instid0(VALU_DEP_1)
	v_and_b32_e32 v81, 0x1ffffffc, v2
	s_branch .LBB399_64
.LBB399_63:                             ;   in Loop: Header=BB399_64 Depth=2
	s_wait_alu 0xfffe
	s_or_b32 exec_lo, exec_lo, s15
	s_addk_co_i32 s42, 0xf800
	s_cmp_lt_u32 s43, s34
	s_mov_b32 s22, s43
	s_cbranch_scc0 .LBB399_176
.LBB399_64:                             ;   Parent Loop BB399_12 Depth=1
                                        ; =>  This Inner Loop Header: Depth=2
	s_wait_alu 0xfffe
	s_add_co_i32 s43, s22, 0x800
	s_wait_alu 0xfffe
	s_cmp_gt_u32 s43, s34
	s_cbranch_scc1 .LBB399_66
; %bb.65:                               ;   in Loop: Header=BB399_64 Depth=2
	v_add_co_u32 v20, vcc_lo, v78, s22
	s_wait_alu 0xfffd
	v_add_co_ci_u32_e64 v21, null, 0, v79, vcc_lo
	s_mov_b32 s15, -1
	s_clause 0x6
	global_load_u8 v23, v[20:21], off offset:192
	global_load_u8 v24, v[20:21], off offset:160
	;; [unrolled: 1-line block ×6, first 2 shown]
	global_load_u8 v90, v[20:21], off
	s_movk_i32 s16, 0x800
                                        ; implicit-def: $vgpr22
	s_cbranch_execz .LBB399_67
	s_branch .LBB399_76
.LBB399_66:                             ;   in Loop: Header=BB399_64 Depth=2
	s_mov_b32 s15, 0
                                        ; implicit-def: $vgpr90
                                        ; implicit-def: $vgpr92
                                        ; implicit-def: $vgpr27
                                        ; implicit-def: $vgpr26
                                        ; implicit-def: $vgpr25
                                        ; implicit-def: $vgpr24
                                        ; implicit-def: $vgpr23
	s_movk_i32 s16, 0x800
                                        ; implicit-def: $vgpr22
.LBB399_67:                             ;   in Loop: Header=BB399_64 Depth=2
	v_add_co_u32 v20, vcc_lo, v78, s22
	s_wait_alu 0xfffd
	v_add_co_ci_u32_e64 v21, null, 0, v79, vcc_lo
	s_wait_loadcnt 0x2
	v_dual_mov_b32 v22, 0x7f :: v_dual_mov_b32 v27, 0x7f
	s_wait_loadcnt 0x0
	v_dual_mov_b32 v90, 0x7f :: v_dual_mov_b32 v25, 0x7f
	v_dual_mov_b32 v92, 0x7f :: v_dual_mov_b32 v23, 0x7f
	v_mov_b32_e32 v26, 0x7f
	v_mov_b32_e32 v24, 0x7f
	s_mov_b32 s15, exec_lo
	v_cmpx_gt_u32_e64 s42, v68
	s_cbranch_execnz .LBB399_170
; %bb.68:                               ;   in Loop: Header=BB399_64 Depth=2
	s_wait_alu 0xfffe
	s_or_b32 exec_lo, exec_lo, s15
	s_delay_alu instid0(SALU_CYCLE_1)
	s_mov_b32 s15, exec_lo
	v_cmpx_gt_u32_e64 s42, v71
	s_cbranch_execnz .LBB399_171
.LBB399_69:                             ;   in Loop: Header=BB399_64 Depth=2
	s_wait_alu 0xfffe
	s_or_b32 exec_lo, exec_lo, s15
	s_delay_alu instid0(SALU_CYCLE_1)
	s_mov_b32 s15, exec_lo
	v_cmpx_gt_u32_e64 s42, v72
	s_cbranch_execnz .LBB399_172
.LBB399_70:                             ;   in Loop: Header=BB399_64 Depth=2
	s_wait_alu 0xfffe
	s_or_b32 exec_lo, exec_lo, s15
	s_delay_alu instid0(SALU_CYCLE_1)
	s_mov_b32 s15, exec_lo
	v_cmpx_gt_u32_e64 s42, v73
	s_cbranch_execnz .LBB399_173
.LBB399_71:                             ;   in Loop: Header=BB399_64 Depth=2
	s_wait_alu 0xfffe
	s_or_b32 exec_lo, exec_lo, s15
	s_delay_alu instid0(SALU_CYCLE_1)
	s_mov_b32 s15, exec_lo
	v_cmpx_gt_u32_e64 s42, v74
	s_cbranch_execnz .LBB399_174
.LBB399_72:                             ;   in Loop: Header=BB399_64 Depth=2
	s_wait_alu 0xfffe
	s_or_b32 exec_lo, exec_lo, s15
	s_delay_alu instid0(SALU_CYCLE_1)
	s_mov_b32 s15, exec_lo
	v_cmpx_gt_u32_e64 s42, v75
	s_cbranch_execnz .LBB399_175
.LBB399_73:                             ;   in Loop: Header=BB399_64 Depth=2
	s_wait_alu 0xfffe
	s_or_b32 exec_lo, exec_lo, s15
	s_delay_alu instid0(SALU_CYCLE_1)
	s_mov_b32 s15, exec_lo
	v_cmpx_gt_u32_e64 s42, v76
	s_cbranch_execz .LBB399_75
.LBB399_74:                             ;   in Loop: Header=BB399_64 Depth=2
	global_load_u8 v23, v[20:21], off offset:192
.LBB399_75:                             ;   in Loop: Header=BB399_64 Depth=2
	s_wait_alu 0xfffe
	s_or_b32 exec_lo, exec_lo, s15
	v_cmp_gt_u32_e64 s15, s42, v77
	s_sub_co_i32 s16, s34, s22
.LBB399_76:                             ;   in Loop: Header=BB399_64 Depth=2
	v_mov_b32_e32 v2, s42
	s_wait_alu 0xfffe
	s_and_saveexec_b32 s17, s15
	s_cbranch_execz .LBB399_78
; %bb.77:                               ;   in Loop: Header=BB399_64 Depth=2
	v_add_co_u32 v20, vcc_lo, v78, s22
	s_wait_alu 0xfffd
	v_add_co_ci_u32_e64 v21, null, s23, v79, vcc_lo
	v_mov_b32_e32 v2, s16
	global_load_u8 v22, v[20:21], off offset:224
.LBB399_78:                             ;   in Loop: Header=BB399_64 Depth=2
	s_wait_alu 0xfffe
	s_or_b32 exec_lo, exec_lo, s17
	s_wait_loadcnt 0x0
	v_xor_b32_e32 v90, 0xffffff80, v90
	s_delay_alu instid0(VALU_DEP_1) | instskip(NEXT) | instid1(VALU_DEP_1)
	v_and_b32_e32 v20, 0xff, v90
	v_lshrrev_b32_e32 v20, s30, v20
	s_delay_alu instid0(VALU_DEP_1) | instskip(NEXT) | instid1(VALU_DEP_1)
	v_and_b32_e32 v21, s31, v20
	v_and_b32_e32 v20, 1, v21
	v_lshlrev_b32_e32 v91, 30, v21
	v_lshlrev_b32_e32 v93, 29, v21
	;; [unrolled: 1-line block ×4, first 2 shown]
	v_add_co_u32 v20, s15, v20, -1
	s_wait_alu 0xf1ff
	v_cndmask_b32_e64 v95, 0, 1, s15
	v_not_b32_e32 v99, v91
	v_cmp_gt_i32_e64 s15, 0, v91
	v_not_b32_e32 v91, v93
	v_lshlrev_b32_e32 v97, 26, v21
	v_cmp_ne_u32_e32 vcc_lo, 0, v95
	v_ashrrev_i32_e32 v99, 31, v99
	v_lshlrev_b32_e32 v98, 25, v21
	v_ashrrev_i32_e32 v91, 31, v91
	v_lshlrev_b32_e32 v95, 24, v21
	s_wait_alu 0xfffd
	v_xor_b32_e32 v20, vcc_lo, v20
	v_cmp_gt_i32_e32 vcc_lo, 0, v93
	v_not_b32_e32 v93, v94
	s_wait_alu 0xf1ff
	v_xor_b32_e32 v99, s15, v99
	v_cmp_gt_i32_e64 s15, 0, v94
	v_and_b32_e32 v20, exec_lo, v20
	v_not_b32_e32 v94, v96
	v_ashrrev_i32_e32 v93, 31, v93
	s_wait_alu 0xfffd
	v_xor_b32_e32 v91, vcc_lo, v91
	v_cmp_gt_i32_e32 vcc_lo, 0, v96
	v_and_b32_e32 v20, v20, v99
	v_not_b32_e32 v96, v97
	v_ashrrev_i32_e32 v94, 31, v94
	s_wait_alu 0xf1ff
	v_xor_b32_e32 v93, s15, v93
	v_cmp_gt_i32_e64 s15, 0, v97
	v_and_b32_e32 v20, v20, v91
	v_not_b32_e32 v91, v98
	v_ashrrev_i32_e32 v96, 31, v96
	s_wait_alu 0xfffd
	v_xor_b32_e32 v94, vcc_lo, v94
	v_cmp_gt_i32_e32 vcc_lo, 0, v98
	v_and_b32_e32 v20, v20, v93
	v_not_b32_e32 v93, v95
	v_ashrrev_i32_e32 v91, 31, v91
	s_wait_alu 0xf1ff
	v_xor_b32_e32 v96, s15, v96
	v_cmp_gt_i32_e64 s15, 0, v95
	v_and_b32_e32 v20, v20, v94
	v_ashrrev_i32_e32 v93, 31, v93
	s_wait_alu 0xfffd
	v_xor_b32_e32 v91, vcc_lo, v91
	v_mul_u32_u24_e32 v21, 36, v21
	v_add_nc_u32_e32 v95, 0x428, v45
	v_and_b32_e32 v20, v20, v96
	s_wait_alu 0xf1ff
	v_xor_b32_e32 v94, s15, v93
	v_add_nc_u32_e32 v93, 0x438, v45
	v_add_nc_u32_e32 v96, 0x430, v45
	;; [unrolled: 1-line block ×3, first 2 shown]
	v_and_b32_e32 v20, v20, v91
	ds_store_2addr_b32 v93, v3, v3 offset1:1
	v_and_b32_e32 v20, v20, v94
	v_add_nc_u32_e32 v94, 0x420, v45
	ds_store_2addr_b32 v94, v3, v3 offset1:1
	ds_store_2addr_b32 v95, v3, v3 offset1:1
	;; [unrolled: 1-line block ×3, first 2 shown]
	ds_store_b32 v45, v3 offset:1088
	v_mbcnt_lo_u32_b32 v91, v20, 0
	v_cmp_ne_u32_e64 s15, 0, v20
	s_wait_dscnt 0x0
	s_barrier_signal -1
	s_barrier_wait -1
	v_cmp_eq_u32_e32 vcc_lo, 0, v91
	global_inv scope:SCOPE_SE
	; wave barrier
	s_and_b32 s16, s15, vcc_lo
	s_wait_alu 0xfffe
	s_and_saveexec_b32 s15, s16
; %bb.79:                               ;   in Loop: Header=BB399_64 Depth=2
	v_bcnt_u32_b32 v20, v20, 0
	ds_store_b32 v97, v20 offset:1056
; %bb.80:                               ;   in Loop: Header=BB399_64 Depth=2
	s_wait_alu 0xfffe
	s_or_b32 exec_lo, exec_lo, s15
	v_xor_b32_e32 v92, 0xffffff80, v92
	; wave barrier
	s_delay_alu instid0(VALU_DEP_1) | instskip(NEXT) | instid1(VALU_DEP_1)
	v_and_b32_e32 v20, 0xff, v92
	v_lshrrev_b32_e32 v20, s30, v20
	s_delay_alu instid0(VALU_DEP_1) | instskip(NEXT) | instid1(VALU_DEP_1)
	v_and_b32_e32 v21, s31, v20
	v_and_b32_e32 v20, 1, v21
	v_lshlrev_b32_e32 v98, 30, v21
	v_lshlrev_b32_e32 v99, 29, v21
	;; [unrolled: 1-line block ×4, first 2 shown]
	v_add_co_u32 v20, s15, v20, -1
	s_wait_alu 0xf1ff
	v_cndmask_b32_e64 v101, 0, 1, s15
	v_not_b32_e32 v105, v98
	v_cmp_gt_i32_e64 s15, 0, v98
	v_not_b32_e32 v98, v99
	v_lshlrev_b32_e32 v103, 26, v21
	v_cmp_ne_u32_e32 vcc_lo, 0, v101
	v_ashrrev_i32_e32 v105, 31, v105
	v_lshlrev_b32_e32 v104, 25, v21
	v_ashrrev_i32_e32 v98, 31, v98
	v_lshlrev_b32_e32 v101, 24, v21
	s_wait_alu 0xfffd
	v_xor_b32_e32 v20, vcc_lo, v20
	v_cmp_gt_i32_e32 vcc_lo, 0, v99
	v_not_b32_e32 v99, v100
	s_wait_alu 0xf1ff
	v_xor_b32_e32 v105, s15, v105
	v_cmp_gt_i32_e64 s15, 0, v100
	v_and_b32_e32 v20, exec_lo, v20
	v_not_b32_e32 v100, v102
	v_ashrrev_i32_e32 v99, 31, v99
	s_wait_alu 0xfffd
	v_xor_b32_e32 v98, vcc_lo, v98
	v_cmp_gt_i32_e32 vcc_lo, 0, v102
	v_and_b32_e32 v20, v20, v105
	v_not_b32_e32 v102, v103
	v_ashrrev_i32_e32 v100, 31, v100
	s_wait_alu 0xf1ff
	v_xor_b32_e32 v99, s15, v99
	v_cmp_gt_i32_e64 s15, 0, v103
	v_and_b32_e32 v20, v20, v98
	v_not_b32_e32 v98, v104
	v_ashrrev_i32_e32 v102, 31, v102
	s_wait_alu 0xfffd
	v_xor_b32_e32 v100, vcc_lo, v100
	v_cmp_gt_i32_e32 vcc_lo, 0, v104
	v_and_b32_e32 v20, v20, v99
	v_not_b32_e32 v99, v101
	v_ashrrev_i32_e32 v98, 31, v98
	s_wait_alu 0xf1ff
	v_xor_b32_e32 v102, s15, v102
	v_cmp_gt_i32_e64 s15, 0, v101
	v_and_b32_e32 v20, v20, v100
	v_ashrrev_i32_e32 v99, 31, v99
	s_wait_alu 0xfffd
	v_xor_b32_e32 v98, vcc_lo, v98
	v_mad_u32_u24 v100, v21, 36, v81
	v_mul_u32_u24_e32 v21, 36, v21
	v_and_b32_e32 v20, v20, v102
	s_wait_alu 0xf1ff
	v_xor_b32_e32 v99, s15, v99
	s_delay_alu instid0(VALU_DEP_3) | instskip(NEXT) | instid1(VALU_DEP_3)
	v_add_nc_u32_e32 v101, v81, v21
	v_and_b32_e32 v20, v20, v98
	ds_load_b32 v98, v100 offset:1056
	; wave barrier
	v_and_b32_e32 v20, v20, v99
	s_delay_alu instid0(VALU_DEP_1) | instskip(SKIP_1) | instid1(VALU_DEP_2)
	v_mbcnt_lo_u32_b32 v99, v20, 0
	v_cmp_ne_u32_e64 s15, 0, v20
	v_cmp_eq_u32_e32 vcc_lo, 0, v99
	s_and_b32 s16, s15, vcc_lo
	s_wait_alu 0xfffe
	s_and_saveexec_b32 s15, s16
	s_cbranch_execz .LBB399_82
; %bb.81:                               ;   in Loop: Header=BB399_64 Depth=2
	s_wait_dscnt 0x0
	v_bcnt_u32_b32 v20, v20, v98
	ds_store_b32 v101, v20 offset:1056
.LBB399_82:                             ;   in Loop: Header=BB399_64 Depth=2
	s_wait_alu 0xfffe
	s_or_b32 exec_lo, exec_lo, s15
	v_xor_b32_e32 v100, 0xffffff80, v27
	; wave barrier
	s_delay_alu instid0(VALU_DEP_1) | instskip(NEXT) | instid1(VALU_DEP_1)
	v_and_b32_e32 v20, 0xff, v100
	v_lshrrev_b32_e32 v20, s30, v20
	s_delay_alu instid0(VALU_DEP_1) | instskip(NEXT) | instid1(VALU_DEP_1)
	v_and_b32_e32 v21, s31, v20
	v_and_b32_e32 v20, 1, v21
	v_lshlrev_b32_e32 v27, 30, v21
	v_lshlrev_b32_e32 v102, 29, v21
	;; [unrolled: 1-line block ×4, first 2 shown]
	v_add_co_u32 v20, s15, v20, -1
	s_wait_alu 0xf1ff
	v_cndmask_b32_e64 v104, 0, 1, s15
	v_not_b32_e32 v108, v27
	v_cmp_gt_i32_e64 s15, 0, v27
	v_not_b32_e32 v27, v102
	v_lshlrev_b32_e32 v106, 26, v21
	v_cmp_ne_u32_e32 vcc_lo, 0, v104
	v_ashrrev_i32_e32 v108, 31, v108
	v_lshlrev_b32_e32 v107, 25, v21
	v_ashrrev_i32_e32 v27, 31, v27
	v_lshlrev_b32_e32 v104, 24, v21
	s_wait_alu 0xfffd
	v_xor_b32_e32 v20, vcc_lo, v20
	v_cmp_gt_i32_e32 vcc_lo, 0, v102
	v_not_b32_e32 v102, v103
	s_wait_alu 0xf1ff
	v_xor_b32_e32 v108, s15, v108
	v_cmp_gt_i32_e64 s15, 0, v103
	v_and_b32_e32 v20, exec_lo, v20
	v_not_b32_e32 v103, v105
	v_ashrrev_i32_e32 v102, 31, v102
	s_wait_alu 0xfffd
	v_xor_b32_e32 v27, vcc_lo, v27
	v_cmp_gt_i32_e32 vcc_lo, 0, v105
	v_and_b32_e32 v20, v20, v108
	v_not_b32_e32 v105, v106
	v_ashrrev_i32_e32 v103, 31, v103
	s_wait_alu 0xf1ff
	v_xor_b32_e32 v102, s15, v102
	v_cmp_gt_i32_e64 s15, 0, v106
	v_and_b32_e32 v20, v20, v27
	v_not_b32_e32 v27, v107
	v_ashrrev_i32_e32 v105, 31, v105
	s_wait_alu 0xfffd
	v_xor_b32_e32 v103, vcc_lo, v103
	v_cmp_gt_i32_e32 vcc_lo, 0, v107
	v_and_b32_e32 v20, v20, v102
	v_not_b32_e32 v102, v104
	v_ashrrev_i32_e32 v27, 31, v27
	s_wait_alu 0xf1ff
	v_xor_b32_e32 v105, s15, v105
	v_cmp_gt_i32_e64 s15, 0, v104
	v_and_b32_e32 v20, v20, v103
	v_ashrrev_i32_e32 v102, 31, v102
	s_wait_alu 0xfffd
	v_xor_b32_e32 v27, vcc_lo, v27
	v_mad_u32_u24 v103, v21, 36, v81
	v_mul_u32_u24_e32 v21, 36, v21
	v_and_b32_e32 v20, v20, v105
	s_wait_alu 0xf1ff
	v_xor_b32_e32 v104, s15, v102
	ds_load_b32 v102, v103 offset:1056
	v_add_nc_u32_e32 v105, v81, v21
	v_and_b32_e32 v20, v20, v27
	; wave barrier
	s_delay_alu instid0(VALU_DEP_1) | instskip(NEXT) | instid1(VALU_DEP_1)
	v_and_b32_e32 v20, v20, v104
	v_mbcnt_lo_u32_b32 v103, v20, 0
	v_cmp_ne_u32_e64 s15, 0, v20
	s_delay_alu instid0(VALU_DEP_2)
	v_cmp_eq_u32_e32 vcc_lo, 0, v103
	s_and_b32 s16, s15, vcc_lo
	s_wait_alu 0xfffe
	s_and_saveexec_b32 s15, s16
	s_cbranch_execz .LBB399_84
; %bb.83:                               ;   in Loop: Header=BB399_64 Depth=2
	s_wait_dscnt 0x0
	v_bcnt_u32_b32 v20, v20, v102
	ds_store_b32 v105, v20 offset:1056
.LBB399_84:                             ;   in Loop: Header=BB399_64 Depth=2
	s_wait_alu 0xfffe
	s_or_b32 exec_lo, exec_lo, s15
	v_xor_b32_e32 v104, 0xffffff80, v26
	; wave barrier
	s_delay_alu instid0(VALU_DEP_1) | instskip(NEXT) | instid1(VALU_DEP_1)
	v_and_b32_e32 v20, 0xff, v104
	v_lshrrev_b32_e32 v20, s30, v20
	s_delay_alu instid0(VALU_DEP_1) | instskip(NEXT) | instid1(VALU_DEP_1)
	v_and_b32_e32 v21, s31, v20
	v_and_b32_e32 v20, 1, v21
	v_lshlrev_b32_e32 v26, 30, v21
	v_lshlrev_b32_e32 v27, 29, v21
	;; [unrolled: 1-line block ×4, first 2 shown]
	v_add_co_u32 v20, s15, v20, -1
	s_wait_alu 0xf1ff
	v_cndmask_b32_e64 v107, 0, 1, s15
	v_not_b32_e32 v111, v26
	v_cmp_gt_i32_e64 s15, 0, v26
	v_not_b32_e32 v26, v27
	v_lshlrev_b32_e32 v109, 26, v21
	v_cmp_ne_u32_e32 vcc_lo, 0, v107
	v_ashrrev_i32_e32 v111, 31, v111
	v_lshlrev_b32_e32 v110, 25, v21
	v_ashrrev_i32_e32 v26, 31, v26
	v_lshlrev_b32_e32 v107, 24, v21
	s_wait_alu 0xfffd
	v_xor_b32_e32 v20, vcc_lo, v20
	v_cmp_gt_i32_e32 vcc_lo, 0, v27
	v_not_b32_e32 v27, v106
	s_wait_alu 0xf1ff
	v_xor_b32_e32 v111, s15, v111
	v_cmp_gt_i32_e64 s15, 0, v106
	v_and_b32_e32 v20, exec_lo, v20
	v_not_b32_e32 v106, v108
	v_ashrrev_i32_e32 v27, 31, v27
	s_wait_alu 0xfffd
	v_xor_b32_e32 v26, vcc_lo, v26
	v_cmp_gt_i32_e32 vcc_lo, 0, v108
	v_and_b32_e32 v20, v20, v111
	v_not_b32_e32 v108, v109
	v_ashrrev_i32_e32 v106, 31, v106
	s_wait_alu 0xf1ff
	v_xor_b32_e32 v27, s15, v27
	v_cmp_gt_i32_e64 s15, 0, v109
	v_and_b32_e32 v20, v20, v26
	v_not_b32_e32 v26, v110
	v_ashrrev_i32_e32 v108, 31, v108
	s_wait_alu 0xfffd
	v_xor_b32_e32 v106, vcc_lo, v106
	v_cmp_gt_i32_e32 vcc_lo, 0, v110
	v_and_b32_e32 v20, v20, v27
	v_not_b32_e32 v27, v107
	v_ashrrev_i32_e32 v26, 31, v26
	s_wait_alu 0xf1ff
	v_xor_b32_e32 v108, s15, v108
	v_cmp_gt_i32_e64 s15, 0, v107
	v_and_b32_e32 v20, v20, v106
	v_ashrrev_i32_e32 v27, 31, v27
	s_wait_alu 0xfffd
	v_xor_b32_e32 v26, vcc_lo, v26
	v_mad_u32_u24 v106, v21, 36, v81
	v_mul_u32_u24_e32 v21, 36, v21
	v_and_b32_e32 v20, v20, v108
	s_wait_alu 0xf1ff
	v_xor_b32_e32 v27, s15, v27
	ds_load_b32 v106, v106 offset:1056
	v_add_nc_u32_e32 v109, v81, v21
	v_and_b32_e32 v20, v20, v26
	; wave barrier
	s_delay_alu instid0(VALU_DEP_1) | instskip(NEXT) | instid1(VALU_DEP_1)
	v_and_b32_e32 v20, v20, v27
	v_mbcnt_lo_u32_b32 v107, v20, 0
	v_cmp_ne_u32_e64 s15, 0, v20
	s_delay_alu instid0(VALU_DEP_2)
	v_cmp_eq_u32_e32 vcc_lo, 0, v107
	s_and_b32 s16, s15, vcc_lo
	s_wait_alu 0xfffe
	s_and_saveexec_b32 s15, s16
	s_cbranch_execz .LBB399_86
; %bb.85:                               ;   in Loop: Header=BB399_64 Depth=2
	s_wait_dscnt 0x0
	v_bcnt_u32_b32 v20, v20, v106
	ds_store_b32 v109, v20 offset:1056
.LBB399_86:                             ;   in Loop: Header=BB399_64 Depth=2
	s_wait_alu 0xfffe
	s_or_b32 exec_lo, exec_lo, s15
	v_xor_b32_e32 v108, 0xffffff80, v25
	; wave barrier
	s_delay_alu instid0(VALU_DEP_1) | instskip(NEXT) | instid1(VALU_DEP_1)
	v_and_b32_e32 v20, 0xff, v108
	v_lshrrev_b32_e32 v20, s30, v20
	s_delay_alu instid0(VALU_DEP_1) | instskip(NEXT) | instid1(VALU_DEP_1)
	v_and_b32_e32 v21, s31, v20
	v_and_b32_e32 v20, 1, v21
	v_lshlrev_b32_e32 v25, 30, v21
	v_lshlrev_b32_e32 v26, 29, v21
	v_lshlrev_b32_e32 v27, 28, v21
	v_lshlrev_b32_e32 v111, 27, v21
	v_add_co_u32 v20, s15, v20, -1
	s_wait_alu 0xf1ff
	v_cndmask_b32_e64 v110, 0, 1, s15
	v_not_b32_e32 v114, v25
	v_cmp_gt_i32_e64 s15, 0, v25
	v_not_b32_e32 v25, v26
	v_lshlrev_b32_e32 v112, 26, v21
	v_cmp_ne_u32_e32 vcc_lo, 0, v110
	v_ashrrev_i32_e32 v114, 31, v114
	v_lshlrev_b32_e32 v113, 25, v21
	v_ashrrev_i32_e32 v25, 31, v25
	v_lshlrev_b32_e32 v110, 24, v21
	s_wait_alu 0xfffd
	v_xor_b32_e32 v20, vcc_lo, v20
	v_cmp_gt_i32_e32 vcc_lo, 0, v26
	v_not_b32_e32 v26, v27
	s_wait_alu 0xf1ff
	v_xor_b32_e32 v114, s15, v114
	v_cmp_gt_i32_e64 s15, 0, v27
	v_and_b32_e32 v20, exec_lo, v20
	v_not_b32_e32 v27, v111
	v_ashrrev_i32_e32 v26, 31, v26
	s_wait_alu 0xfffd
	v_xor_b32_e32 v25, vcc_lo, v25
	v_cmp_gt_i32_e32 vcc_lo, 0, v111
	v_and_b32_e32 v20, v20, v114
	v_not_b32_e32 v111, v112
	v_ashrrev_i32_e32 v27, 31, v27
	s_wait_alu 0xf1ff
	v_xor_b32_e32 v26, s15, v26
	v_cmp_gt_i32_e64 s15, 0, v112
	v_and_b32_e32 v20, v20, v25
	v_not_b32_e32 v25, v113
	v_ashrrev_i32_e32 v111, 31, v111
	s_wait_alu 0xfffd
	v_xor_b32_e32 v27, vcc_lo, v27
	v_cmp_gt_i32_e32 vcc_lo, 0, v113
	v_and_b32_e32 v20, v20, v26
	v_not_b32_e32 v26, v110
	v_ashrrev_i32_e32 v25, 31, v25
	s_wait_alu 0xf1ff
	v_xor_b32_e32 v111, s15, v111
	v_cmp_gt_i32_e64 s15, 0, v110
	v_and_b32_e32 v20, v20, v27
	v_ashrrev_i32_e32 v26, 31, v26
	s_wait_alu 0xfffd
	v_xor_b32_e32 v25, vcc_lo, v25
	v_mad_u32_u24 v27, v21, 36, v81
	v_mul_u32_u24_e32 v21, 36, v21
	v_and_b32_e32 v20, v20, v111
	s_wait_alu 0xf1ff
	v_xor_b32_e32 v26, s15, v26
	ds_load_b32 v110, v27 offset:1056
	v_add_nc_u32_e32 v113, v81, v21
	v_and_b32_e32 v20, v20, v25
	; wave barrier
	s_delay_alu instid0(VALU_DEP_1) | instskip(NEXT) | instid1(VALU_DEP_1)
	v_and_b32_e32 v20, v20, v26
	v_mbcnt_lo_u32_b32 v111, v20, 0
	v_cmp_ne_u32_e64 s15, 0, v20
	s_delay_alu instid0(VALU_DEP_2)
	v_cmp_eq_u32_e32 vcc_lo, 0, v111
	s_and_b32 s16, s15, vcc_lo
	s_wait_alu 0xfffe
	s_and_saveexec_b32 s15, s16
	s_cbranch_execz .LBB399_88
; %bb.87:                               ;   in Loop: Header=BB399_64 Depth=2
	s_wait_dscnt 0x0
	v_bcnt_u32_b32 v20, v20, v110
	ds_store_b32 v113, v20 offset:1056
.LBB399_88:                             ;   in Loop: Header=BB399_64 Depth=2
	s_wait_alu 0xfffe
	s_or_b32 exec_lo, exec_lo, s15
	v_xor_b32_e32 v112, 0xffffff80, v24
	; wave barrier
	s_delay_alu instid0(VALU_DEP_1) | instskip(NEXT) | instid1(VALU_DEP_1)
	v_and_b32_e32 v20, 0xff, v112
	v_lshrrev_b32_e32 v20, s30, v20
	s_delay_alu instid0(VALU_DEP_1) | instskip(NEXT) | instid1(VALU_DEP_1)
	v_and_b32_e32 v21, s31, v20
	v_and_b32_e32 v20, 1, v21
	v_lshlrev_b32_e32 v24, 30, v21
	v_lshlrev_b32_e32 v25, 29, v21
	;; [unrolled: 1-line block ×4, first 2 shown]
	v_add_co_u32 v20, s15, v20, -1
	s_wait_alu 0xf1ff
	v_cndmask_b32_e64 v27, 0, 1, s15
	v_not_b32_e32 v117, v24
	v_cmp_gt_i32_e64 s15, 0, v24
	v_not_b32_e32 v24, v25
	v_lshlrev_b32_e32 v115, 26, v21
	v_cmp_ne_u32_e32 vcc_lo, 0, v27
	v_ashrrev_i32_e32 v117, 31, v117
	v_lshlrev_b32_e32 v116, 25, v21
	v_ashrrev_i32_e32 v24, 31, v24
	v_lshlrev_b32_e32 v27, 24, v21
	s_wait_alu 0xfffd
	v_xor_b32_e32 v20, vcc_lo, v20
	v_cmp_gt_i32_e32 vcc_lo, 0, v25
	v_not_b32_e32 v25, v26
	s_wait_alu 0xf1ff
	v_xor_b32_e32 v117, s15, v117
	v_cmp_gt_i32_e64 s15, 0, v26
	v_and_b32_e32 v20, exec_lo, v20
	v_not_b32_e32 v26, v114
	v_ashrrev_i32_e32 v25, 31, v25
	s_wait_alu 0xfffd
	v_xor_b32_e32 v24, vcc_lo, v24
	v_cmp_gt_i32_e32 vcc_lo, 0, v114
	v_and_b32_e32 v20, v20, v117
	v_not_b32_e32 v114, v115
	v_ashrrev_i32_e32 v26, 31, v26
	s_wait_alu 0xf1ff
	v_xor_b32_e32 v25, s15, v25
	v_cmp_gt_i32_e64 s15, 0, v115
	v_and_b32_e32 v20, v20, v24
	v_not_b32_e32 v24, v116
	v_ashrrev_i32_e32 v114, 31, v114
	s_wait_alu 0xfffd
	v_xor_b32_e32 v26, vcc_lo, v26
	v_cmp_gt_i32_e32 vcc_lo, 0, v116
	v_and_b32_e32 v20, v20, v25
	v_not_b32_e32 v25, v27
	v_ashrrev_i32_e32 v24, 31, v24
	s_wait_alu 0xf1ff
	v_xor_b32_e32 v114, s15, v114
	v_cmp_gt_i32_e64 s15, 0, v27
	v_and_b32_e32 v20, v20, v26
	v_ashrrev_i32_e32 v25, 31, v25
	s_wait_alu 0xfffd
	v_xor_b32_e32 v24, vcc_lo, v24
	v_mad_u32_u24 v26, v21, 36, v81
	v_mul_u32_u24_e32 v21, 36, v21
	v_and_b32_e32 v20, v20, v114
	s_wait_alu 0xf1ff
	v_xor_b32_e32 v25, s15, v25
	ds_load_b32 v114, v26 offset:1056
	v_add_nc_u32_e32 v117, v81, v21
	v_and_b32_e32 v20, v20, v24
	; wave barrier
	s_delay_alu instid0(VALU_DEP_1) | instskip(NEXT) | instid1(VALU_DEP_1)
	v_and_b32_e32 v20, v20, v25
	v_mbcnt_lo_u32_b32 v115, v20, 0
	v_cmp_ne_u32_e64 s15, 0, v20
	s_delay_alu instid0(VALU_DEP_2)
	v_cmp_eq_u32_e32 vcc_lo, 0, v115
	s_and_b32 s16, s15, vcc_lo
	s_wait_alu 0xfffe
	s_and_saveexec_b32 s15, s16
	s_cbranch_execz .LBB399_90
; %bb.89:                               ;   in Loop: Header=BB399_64 Depth=2
	s_wait_dscnt 0x0
	v_bcnt_u32_b32 v20, v20, v114
	ds_store_b32 v117, v20 offset:1056
.LBB399_90:                             ;   in Loop: Header=BB399_64 Depth=2
	s_wait_alu 0xfffe
	s_or_b32 exec_lo, exec_lo, s15
	v_xor_b32_e32 v116, 0xffffff80, v23
	; wave barrier
	s_delay_alu instid0(VALU_DEP_1) | instskip(NEXT) | instid1(VALU_DEP_1)
	v_and_b32_e32 v20, 0xff, v116
	v_lshrrev_b32_e32 v20, s30, v20
	s_delay_alu instid0(VALU_DEP_1) | instskip(NEXT) | instid1(VALU_DEP_1)
	v_and_b32_e32 v21, s31, v20
	v_and_b32_e32 v20, 1, v21
	v_lshlrev_b32_e32 v23, 30, v21
	v_lshlrev_b32_e32 v24, 29, v21
	;; [unrolled: 1-line block ×4, first 2 shown]
	v_add_co_u32 v20, s15, v20, -1
	s_wait_alu 0xf1ff
	v_cndmask_b32_e64 v26, 0, 1, s15
	v_not_b32_e32 v120, v23
	v_cmp_gt_i32_e64 s15, 0, v23
	v_not_b32_e32 v23, v24
	v_lshlrev_b32_e32 v118, 26, v21
	v_cmp_ne_u32_e32 vcc_lo, 0, v26
	v_ashrrev_i32_e32 v120, 31, v120
	v_lshlrev_b32_e32 v119, 25, v21
	v_ashrrev_i32_e32 v23, 31, v23
	v_lshlrev_b32_e32 v26, 24, v21
	s_wait_alu 0xfffd
	v_xor_b32_e32 v20, vcc_lo, v20
	v_cmp_gt_i32_e32 vcc_lo, 0, v24
	v_not_b32_e32 v24, v25
	s_wait_alu 0xf1ff
	v_xor_b32_e32 v120, s15, v120
	v_cmp_gt_i32_e64 s15, 0, v25
	v_and_b32_e32 v20, exec_lo, v20
	v_not_b32_e32 v25, v27
	v_ashrrev_i32_e32 v24, 31, v24
	s_wait_alu 0xfffd
	v_xor_b32_e32 v23, vcc_lo, v23
	v_cmp_gt_i32_e32 vcc_lo, 0, v27
	v_and_b32_e32 v20, v20, v120
	v_not_b32_e32 v27, v118
	v_ashrrev_i32_e32 v25, 31, v25
	s_wait_alu 0xf1ff
	v_xor_b32_e32 v24, s15, v24
	v_cmp_gt_i32_e64 s15, 0, v118
	v_and_b32_e32 v20, v20, v23
	v_not_b32_e32 v23, v119
	v_ashrrev_i32_e32 v27, 31, v27
	s_wait_alu 0xfffd
	v_xor_b32_e32 v25, vcc_lo, v25
	v_cmp_gt_i32_e32 vcc_lo, 0, v119
	v_and_b32_e32 v20, v20, v24
	v_not_b32_e32 v24, v26
	v_ashrrev_i32_e32 v23, 31, v23
	s_wait_alu 0xf1ff
	v_xor_b32_e32 v27, s15, v27
	v_cmp_gt_i32_e64 s15, 0, v26
	v_and_b32_e32 v20, v20, v25
	v_ashrrev_i32_e32 v24, 31, v24
	s_wait_alu 0xfffd
	v_xor_b32_e32 v23, vcc_lo, v23
	v_mad_u32_u24 v25, v21, 36, v81
	v_mul_u32_u24_e32 v21, 36, v21
	v_and_b32_e32 v20, v20, v27
	s_wait_alu 0xf1ff
	v_xor_b32_e32 v24, s15, v24
	ds_load_b32 v118, v25 offset:1056
	v_add_nc_u32_e32 v121, v81, v21
	v_and_b32_e32 v20, v20, v23
	; wave barrier
	s_delay_alu instid0(VALU_DEP_1) | instskip(NEXT) | instid1(VALU_DEP_1)
	v_and_b32_e32 v20, v20, v24
	v_mbcnt_lo_u32_b32 v119, v20, 0
	v_cmp_ne_u32_e64 s15, 0, v20
	s_delay_alu instid0(VALU_DEP_2)
	v_cmp_eq_u32_e32 vcc_lo, 0, v119
	s_and_b32 s16, s15, vcc_lo
	s_wait_alu 0xfffe
	s_and_saveexec_b32 s15, s16
	s_cbranch_execz .LBB399_92
; %bb.91:                               ;   in Loop: Header=BB399_64 Depth=2
	s_wait_dscnt 0x0
	v_bcnt_u32_b32 v20, v20, v118
	ds_store_b32 v121, v20 offset:1056
.LBB399_92:                             ;   in Loop: Header=BB399_64 Depth=2
	s_wait_alu 0xfffe
	s_or_b32 exec_lo, exec_lo, s15
	v_xor_b32_e32 v120, 0xffffff80, v22
	; wave barrier
	s_delay_alu instid0(VALU_DEP_1) | instskip(NEXT) | instid1(VALU_DEP_1)
	v_and_b32_e32 v20, 0xff, v120
	v_lshrrev_b32_e32 v20, s30, v20
	s_delay_alu instid0(VALU_DEP_1) | instskip(NEXT) | instid1(VALU_DEP_1)
	v_and_b32_e32 v21, s31, v20
	v_and_b32_e32 v20, 1, v21
	v_lshlrev_b32_e32 v22, 30, v21
	v_lshlrev_b32_e32 v23, 29, v21
	;; [unrolled: 1-line block ×4, first 2 shown]
	v_add_co_u32 v20, s15, v20, -1
	s_wait_alu 0xf1ff
	v_cndmask_b32_e64 v25, 0, 1, s15
	v_not_b32_e32 v123, v22
	v_cmp_gt_i32_e64 s15, 0, v22
	v_not_b32_e32 v22, v23
	v_lshlrev_b32_e32 v27, 26, v21
	v_cmp_ne_u32_e32 vcc_lo, 0, v25
	v_ashrrev_i32_e32 v123, 31, v123
	v_lshlrev_b32_e32 v122, 25, v21
	v_ashrrev_i32_e32 v22, 31, v22
	v_lshlrev_b32_e32 v25, 24, v21
	s_wait_alu 0xfffd
	v_xor_b32_e32 v20, vcc_lo, v20
	v_cmp_gt_i32_e32 vcc_lo, 0, v23
	v_not_b32_e32 v23, v24
	s_wait_alu 0xf1ff
	v_xor_b32_e32 v123, s15, v123
	v_cmp_gt_i32_e64 s15, 0, v24
	v_and_b32_e32 v20, exec_lo, v20
	v_not_b32_e32 v24, v26
	v_ashrrev_i32_e32 v23, 31, v23
	s_wait_alu 0xfffd
	v_xor_b32_e32 v22, vcc_lo, v22
	v_cmp_gt_i32_e32 vcc_lo, 0, v26
	v_and_b32_e32 v20, v20, v123
	v_not_b32_e32 v26, v27
	v_ashrrev_i32_e32 v24, 31, v24
	s_wait_alu 0xf1ff
	v_xor_b32_e32 v23, s15, v23
	v_cmp_gt_i32_e64 s15, 0, v27
	v_and_b32_e32 v20, v20, v22
	v_not_b32_e32 v22, v122
	v_ashrrev_i32_e32 v26, 31, v26
	s_wait_alu 0xfffd
	v_xor_b32_e32 v24, vcc_lo, v24
	v_cmp_gt_i32_e32 vcc_lo, 0, v122
	v_and_b32_e32 v20, v20, v23
	v_not_b32_e32 v23, v25
	v_ashrrev_i32_e32 v22, 31, v22
	s_wait_alu 0xf1ff
	v_xor_b32_e32 v26, s15, v26
	v_cmp_gt_i32_e64 s15, 0, v25
	v_and_b32_e32 v20, v20, v24
	v_ashrrev_i32_e32 v23, 31, v23
	s_wait_alu 0xfffd
	v_xor_b32_e32 v22, vcc_lo, v22
	v_mad_u32_u24 v24, v21, 36, v81
	v_mul_u32_u24_e32 v21, 36, v21
	v_and_b32_e32 v20, v20, v26
	s_wait_alu 0xf1ff
	v_xor_b32_e32 v23, s15, v23
	ds_load_b32 v122, v24 offset:1056
	v_add_nc_u32_e32 v124, v81, v21
	v_and_b32_e32 v20, v20, v22
	; wave barrier
	s_delay_alu instid0(VALU_DEP_1) | instskip(NEXT) | instid1(VALU_DEP_1)
	v_and_b32_e32 v20, v20, v23
	v_mbcnt_lo_u32_b32 v123, v20, 0
	v_cmp_ne_u32_e64 s15, 0, v20
	s_delay_alu instid0(VALU_DEP_2)
	v_cmp_eq_u32_e32 vcc_lo, 0, v123
	s_and_b32 s16, s15, vcc_lo
	s_wait_alu 0xfffe
	s_and_saveexec_b32 s15, s16
	s_cbranch_execz .LBB399_94
; %bb.93:                               ;   in Loop: Header=BB399_64 Depth=2
	s_wait_dscnt 0x0
	v_bcnt_u32_b32 v20, v20, v122
	ds_store_b32 v124, v20 offset:1056
.LBB399_94:                             ;   in Loop: Header=BB399_64 Depth=2
	s_wait_alu 0xfffe
	s_or_b32 exec_lo, exec_lo, s15
	; wave barrier
	s_wait_loadcnt_dscnt 0x0
	s_barrier_signal -1
	s_barrier_wait -1
	global_inv scope:SCOPE_SE
	ds_load_2addr_b32 v[26:27], v94 offset1:1
	ds_load_2addr_b32 v[24:25], v95 offset1:1
	;; [unrolled: 1-line block ×4, first 2 shown]
	ds_load_b32 v125, v45 offset:1088
	s_wait_dscnt 0x3
	v_add3_u32 v126, v27, v26, v24
	s_wait_dscnt 0x2
	s_delay_alu instid0(VALU_DEP_1) | instskip(SKIP_1) | instid1(VALU_DEP_1)
	v_add3_u32 v126, v126, v25, v22
	s_wait_dscnt 0x1
	v_add3_u32 v126, v126, v23, v20
	s_wait_dscnt 0x0
	s_delay_alu instid0(VALU_DEP_1) | instskip(NEXT) | instid1(VALU_DEP_1)
	v_add3_u32 v125, v126, v21, v125
	v_mov_b32_dpp v126, v125 row_shr:1 row_mask:0xf bank_mask:0xf
	s_delay_alu instid0(VALU_DEP_1) | instskip(NEXT) | instid1(VALU_DEP_1)
	v_cndmask_b32_e64 v126, v126, 0, s0
	v_add_nc_u32_e32 v125, v126, v125
	s_delay_alu instid0(VALU_DEP_1) | instskip(NEXT) | instid1(VALU_DEP_1)
	v_mov_b32_dpp v126, v125 row_shr:2 row_mask:0xf bank_mask:0xf
	v_cndmask_b32_e64 v126, 0, v126, s1
	s_delay_alu instid0(VALU_DEP_1) | instskip(NEXT) | instid1(VALU_DEP_1)
	v_add_nc_u32_e32 v125, v125, v126
	v_mov_b32_dpp v126, v125 row_shr:4 row_mask:0xf bank_mask:0xf
	s_delay_alu instid0(VALU_DEP_1) | instskip(NEXT) | instid1(VALU_DEP_1)
	v_cndmask_b32_e64 v126, 0, v126, s9
	v_add_nc_u32_e32 v125, v125, v126
	s_delay_alu instid0(VALU_DEP_1) | instskip(NEXT) | instid1(VALU_DEP_1)
	v_mov_b32_dpp v126, v125 row_shr:8 row_mask:0xf bank_mask:0xf
	v_cndmask_b32_e64 v126, 0, v126, s10
	s_delay_alu instid0(VALU_DEP_1) | instskip(SKIP_3) | instid1(VALU_DEP_1)
	v_add_nc_u32_e32 v125, v125, v126
	ds_swizzle_b32 v126, v125 offset:swizzle(BROADCAST,32,15)
	s_wait_dscnt 0x0
	v_cndmask_b32_e64 v126, v126, 0, s11
	v_add_nc_u32_e32 v125, v125, v126
	s_and_saveexec_b32 s15, s3
; %bb.95:                               ;   in Loop: Header=BB399_64 Depth=2
	ds_store_b32 v38, v125 offset:1024
; %bb.96:                               ;   in Loop: Header=BB399_64 Depth=2
	s_wait_alu 0xfffe
	s_or_b32 exec_lo, exec_lo, s15
	s_wait_loadcnt_dscnt 0x0
	s_barrier_signal -1
	s_barrier_wait -1
	global_inv scope:SCOPE_SE
	s_and_saveexec_b32 s15, s4
	s_cbranch_execz .LBB399_98
; %bb.97:                               ;   in Loop: Header=BB399_64 Depth=2
	v_add_nc_u32_e32 v126, v45, v46
	ds_load_b32 v127, v126 offset:1024
	s_wait_dscnt 0x0
	v_mov_b32_dpp v128, v127 row_shr:1 row_mask:0xf bank_mask:0xf
	s_delay_alu instid0(VALU_DEP_1) | instskip(NEXT) | instid1(VALU_DEP_1)
	v_cndmask_b32_e64 v128, v128, 0, s12
	v_add_nc_u32_e32 v127, v128, v127
	s_delay_alu instid0(VALU_DEP_1) | instskip(NEXT) | instid1(VALU_DEP_1)
	v_mov_b32_dpp v128, v127 row_shr:2 row_mask:0xf bank_mask:0xf
	v_cndmask_b32_e64 v128, 0, v128, s13
	s_delay_alu instid0(VALU_DEP_1) | instskip(NEXT) | instid1(VALU_DEP_1)
	v_add_nc_u32_e32 v127, v127, v128
	v_mov_b32_dpp v128, v127 row_shr:4 row_mask:0xf bank_mask:0xf
	s_delay_alu instid0(VALU_DEP_1) | instskip(NEXT) | instid1(VALU_DEP_1)
	v_cndmask_b32_e64 v128, 0, v128, s14
	v_add_nc_u32_e32 v127, v127, v128
	ds_store_b32 v126, v127 offset:1024
.LBB399_98:                             ;   in Loop: Header=BB399_64 Depth=2
	s_wait_alu 0xfffe
	s_or_b32 exec_lo, exec_lo, s15
	v_mov_b32_e32 v126, 0
	s_wait_loadcnt_dscnt 0x0
	s_barrier_signal -1
	s_barrier_wait -1
	global_inv scope:SCOPE_SE
	s_and_saveexec_b32 s15, s5
; %bb.99:                               ;   in Loop: Header=BB399_64 Depth=2
	ds_load_b32 v126, v38 offset:1020
; %bb.100:                              ;   in Loop: Header=BB399_64 Depth=2
	s_wait_alu 0xfffe
	s_or_b32 exec_lo, exec_lo, s15
	s_wait_dscnt 0x0
	v_add_nc_u32_e32 v125, v126, v125
	ds_bpermute_b32 v125, v80, v125
	s_wait_dscnt 0x0
	v_cndmask_b32_e64 v125, v125, v126, s8
	s_delay_alu instid0(VALU_DEP_1) | instskip(NEXT) | instid1(VALU_DEP_1)
	v_cndmask_b32_e64 v125, v125, 0, s6
	v_add_nc_u32_e32 v26, v125, v26
	s_delay_alu instid0(VALU_DEP_1) | instskip(NEXT) | instid1(VALU_DEP_1)
	v_add_nc_u32_e32 v27, v26, v27
	v_add_nc_u32_e32 v24, v27, v24
	s_delay_alu instid0(VALU_DEP_1) | instskip(NEXT) | instid1(VALU_DEP_1)
	v_add_nc_u32_e32 v25, v24, v25
	;; [unrolled: 3-line block ×3, first 2 shown]
	v_add_nc_u32_e32 v20, v23, v20
	s_delay_alu instid0(VALU_DEP_1)
	v_add_nc_u32_e32 v21, v20, v21
	ds_store_2addr_b32 v93, v23, v20 offset1:1
	ds_store_2addr_b32 v94, v125, v26 offset1:1
	ds_store_2addr_b32 v95, v27, v24 offset1:1
	ds_store_2addr_b32 v96, v25, v22 offset1:1
	ds_store_b32 v45, v21 offset:1088
	s_wait_loadcnt_dscnt 0x0
	s_barrier_signal -1
	s_barrier_wait -1
	global_inv scope:SCOPE_SE
	ds_load_b32 v20, v97 offset:1056
	ds_load_b32 v21, v101 offset:1056
	;; [unrolled: 1-line block ×9, first 2 shown]
	v_mov_b32_e32 v22, 0x800
	s_and_saveexec_b32 s15, s7
; %bb.101:                              ;   in Loop: Header=BB399_64 Depth=2
	ds_load_b32 v22, v45 offset:1092
; %bb.102:                              ;   in Loop: Header=BB399_64 Depth=2
	s_wait_alu 0xfffe
	s_or_b32 exec_lo, exec_lo, s15
	s_wait_loadcnt_dscnt 0x0
	s_barrier_signal -1
	s_barrier_wait -1
	global_inv scope:SCOPE_SE
	s_and_saveexec_b32 s15, s2
	s_cbranch_execz .LBB399_104
; %bb.103:                              ;   in Loop: Header=BB399_64 Depth=2
	ds_load_b32 v27, v28
	s_wait_dscnt 0x0
	v_sub_nc_u32_e32 v26, v27, v26
	ds_store_b32 v28, v26
.LBB399_104:                            ;   in Loop: Header=BB399_64 Depth=2
	s_wait_alu 0xfffe
	s_or_b32 exec_lo, exec_lo, s15
	v_add_nc_u32_e32 v94, v20, v91
	v_add3_u32 v93, v99, v98, v21
	v_add3_u32 v91, v103, v102, v23
	;; [unrolled: 1-line block ×7, first 2 shown]
	v_cmp_lt_u32_e64 s20, v1, v2
	ds_store_b8 v94, v90 offset:1024
	ds_store_b8 v93, v92 offset:1024
	;; [unrolled: 1-line block ×8, first 2 shown]
	s_wait_loadcnt_dscnt 0x0
	s_barrier_signal -1
	s_barrier_wait -1
	global_inv scope:SCOPE_SE
	s_and_saveexec_b32 s15, s20
	s_cbranch_execnz .LBB399_141
; %bb.105:                              ;   in Loop: Header=BB399_64 Depth=2
	s_wait_alu 0xfffe
	s_or_b32 exec_lo, exec_lo, s15
	v_cmp_lt_u32_e64 s21, v29, v2
	s_and_saveexec_b32 s15, s21
	s_cbranch_execnz .LBB399_142
.LBB399_106:                            ;   in Loop: Header=BB399_64 Depth=2
	s_wait_alu 0xfffe
	s_or_b32 exec_lo, exec_lo, s15
	v_cmp_lt_u32_e64 s19, v30, v2
	s_and_saveexec_b32 s15, s19
	s_cbranch_execnz .LBB399_143
.LBB399_107:                            ;   in Loop: Header=BB399_64 Depth=2
	s_wait_alu 0xfffe
	s_or_b32 exec_lo, exec_lo, s15
	v_cmp_lt_u32_e64 s18, v31, v2
	s_and_saveexec_b32 s15, s18
	s_cbranch_execnz .LBB399_144
.LBB399_108:                            ;   in Loop: Header=BB399_64 Depth=2
	s_wait_alu 0xfffe
	s_or_b32 exec_lo, exec_lo, s15
	v_cmp_lt_u32_e64 s17, v34, v2
	s_and_saveexec_b32 s15, s17
	s_cbranch_execnz .LBB399_145
.LBB399_109:                            ;   in Loop: Header=BB399_64 Depth=2
	s_wait_alu 0xfffe
	s_or_b32 exec_lo, exec_lo, s15
	v_cmp_lt_u32_e64 s16, v35, v2
	s_and_saveexec_b32 s15, s16
	s_cbranch_execnz .LBB399_146
.LBB399_110:                            ;   in Loop: Header=BB399_64 Depth=2
	s_wait_alu 0xfffe
	s_or_b32 exec_lo, exec_lo, s15
	v_cmp_lt_u32_e64 s15, v36, v2
	s_and_saveexec_b32 s44, s15
	s_cbranch_execnz .LBB399_147
.LBB399_111:                            ;   in Loop: Header=BB399_64 Depth=2
	s_wait_alu 0xfffe
	s_or_b32 exec_lo, exec_lo, s44
	v_cmp_lt_u32_e32 vcc_lo, v37, v2
	s_and_saveexec_b32 s44, vcc_lo
	s_cbranch_execz .LBB399_113
.LBB399_112:                            ;   in Loop: Header=BB399_64 Depth=2
	ds_load_u8 v20, v1 offset:2816
	s_wait_dscnt 0x0
	v_and_b32_e32 v21, 0xff, v20
	v_xor_b32_e32 v20, 0x80, v20
	s_delay_alu instid0(VALU_DEP_2) | instskip(NEXT) | instid1(VALU_DEP_1)
	v_lshrrev_b32_e32 v21, s30, v21
	v_and_b32_e32 v21, s31, v21
	s_delay_alu instid0(VALU_DEP_1)
	v_lshlrev_b32_e32 v21, 2, v21
	ds_load_b32 v21, v21
	s_wait_dscnt 0x0
	v_add_nc_u32_e32 v21, v21, v37
	global_store_b8 v21, v20, s[38:39]
.LBB399_113:                            ;   in Loop: Header=BB399_64 Depth=2
	s_wait_alu 0xfffe
	s_or_b32 exec_lo, exec_lo, s44
	s_lshl_b64 s[48:49], s[22:23], 3
	s_wait_alu 0xfffe
	v_add_co_u32 v20, s22, v69, s48
	s_wait_alu 0xf1ff
	v_add_co_ci_u32_e64 v21, null, s49, v70, s22
	v_cmp_lt_u32_e64 s22, v68, v2
	s_and_saveexec_b32 s44, s22
	s_wait_alu 0xfffe
	s_xor_b32 s22, exec_lo, s44
	s_cbranch_execnz .LBB399_148
; %bb.114:                              ;   in Loop: Header=BB399_64 Depth=2
	s_wait_alu 0xfffe
	s_or_b32 exec_lo, exec_lo, s22
	s_delay_alu instid0(SALU_CYCLE_1)
	s_mov_b32 s44, exec_lo
	v_cmpx_lt_u32_e64 v71, v2
	s_cbranch_execnz .LBB399_149
.LBB399_115:                            ;   in Loop: Header=BB399_64 Depth=2
	s_wait_alu 0xfffe
	s_or_b32 exec_lo, exec_lo, s44
	s_delay_alu instid0(SALU_CYCLE_1)
	s_mov_b32 s44, exec_lo
	v_cmpx_lt_u32_e64 v72, v2
	s_cbranch_execnz .LBB399_150
.LBB399_116:                            ;   in Loop: Header=BB399_64 Depth=2
	s_wait_alu 0xfffe
	s_or_b32 exec_lo, exec_lo, s44
	s_delay_alu instid0(SALU_CYCLE_1)
	s_mov_b32 s44, exec_lo
	v_cmpx_lt_u32_e64 v73, v2
	s_cbranch_execnz .LBB399_151
.LBB399_117:                            ;   in Loop: Header=BB399_64 Depth=2
	s_wait_alu 0xfffe
	s_or_b32 exec_lo, exec_lo, s44
	s_delay_alu instid0(SALU_CYCLE_1)
	s_mov_b32 s44, exec_lo
	v_cmpx_lt_u32_e64 v74, v2
	s_cbranch_execnz .LBB399_152
.LBB399_118:                            ;   in Loop: Header=BB399_64 Depth=2
	s_wait_alu 0xfffe
	s_or_b32 exec_lo, exec_lo, s44
	s_delay_alu instid0(SALU_CYCLE_1)
	s_mov_b32 s44, exec_lo
	v_cmpx_lt_u32_e64 v75, v2
	s_cbranch_execnz .LBB399_153
.LBB399_119:                            ;   in Loop: Header=BB399_64 Depth=2
	s_wait_alu 0xfffe
	s_or_b32 exec_lo, exec_lo, s44
	s_delay_alu instid0(SALU_CYCLE_1)
	s_mov_b32 s44, exec_lo
	v_cmpx_lt_u32_e64 v76, v2
	s_cbranch_execnz .LBB399_154
.LBB399_120:                            ;   in Loop: Header=BB399_64 Depth=2
	s_wait_alu 0xfffe
	s_or_b32 exec_lo, exec_lo, s44
	s_delay_alu instid0(SALU_CYCLE_1)
	s_mov_b32 s44, exec_lo
	v_cmpx_lt_u32_e64 v77, v2
	s_cbranch_execnz .LBB399_155
.LBB399_121:                            ;   in Loop: Header=BB399_64 Depth=2
	s_wait_alu 0xfffe
	s_or_b32 exec_lo, exec_lo, s44
	s_and_saveexec_b32 s22, s20
	s_cbranch_execnz .LBB399_156
.LBB399_122:                            ;   in Loop: Header=BB399_64 Depth=2
	s_wait_alu 0xfffe
	s_or_b32 exec_lo, exec_lo, s22
	s_and_saveexec_b32 s22, s21
	s_cbranch_execnz .LBB399_157
.LBB399_123:                            ;   in Loop: Header=BB399_64 Depth=2
	s_wait_alu 0xfffe
	s_or_b32 exec_lo, exec_lo, s22
	s_and_saveexec_b32 s22, s19
	s_cbranch_execnz .LBB399_158
.LBB399_124:                            ;   in Loop: Header=BB399_64 Depth=2
	s_wait_alu 0xfffe
	s_or_b32 exec_lo, exec_lo, s22
	s_and_saveexec_b32 s22, s18
	s_cbranch_execnz .LBB399_159
.LBB399_125:                            ;   in Loop: Header=BB399_64 Depth=2
	s_wait_alu 0xfffe
	s_or_b32 exec_lo, exec_lo, s22
	s_and_saveexec_b32 s22, s17
	s_cbranch_execnz .LBB399_160
.LBB399_126:                            ;   in Loop: Header=BB399_64 Depth=2
	s_wait_alu 0xfffe
	s_or_b32 exec_lo, exec_lo, s22
	s_and_saveexec_b32 s22, s16
	s_cbranch_execnz .LBB399_161
.LBB399_127:                            ;   in Loop: Header=BB399_64 Depth=2
	s_wait_alu 0xfffe
	s_or_b32 exec_lo, exec_lo, s22
	s_and_saveexec_b32 s22, s15
	s_cbranch_execnz .LBB399_162
.LBB399_128:                            ;   in Loop: Header=BB399_64 Depth=2
	s_wait_alu 0xfffe
	s_or_b32 exec_lo, exec_lo, s22
	s_and_saveexec_b32 s22, vcc_lo
	s_cbranch_execz .LBB399_130
.LBB399_129:                            ;   in Loop: Header=BB399_64 Depth=2
	ds_load_u8 v2, v1 offset:2816
	s_wait_dscnt 0x0
	v_lshrrev_b32_e32 v2, s30, v2
	s_delay_alu instid0(VALU_DEP_1)
	v_and_b32_e32 v82, s31, v2
.LBB399_130:                            ;   in Loop: Header=BB399_64 Depth=2
	s_wait_alu 0xfffe
	s_or_b32 exec_lo, exec_lo, s22
	v_lshlrev_b32_e32 v2, 3, v94
	v_lshlrev_b32_e32 v20, 3, v93
	;; [unrolled: 1-line block ×3, first 2 shown]
	s_wait_loadcnt 0x0
	s_wait_storecnt 0x0
	s_barrier_signal -1
	s_barrier_wait -1
	global_inv scope:SCOPE_SE
	ds_store_b64 v2, v[18:19] offset:1024
	ds_store_b64 v20, v[16:17] offset:1024
	;; [unrolled: 1-line block ×3, first 2 shown]
	v_lshlrev_b32_e32 v2, 3, v27
	v_lshlrev_b32_e32 v20, 3, v26
	;; [unrolled: 1-line block ×5, first 2 shown]
	ds_store_b64 v2, v[12:13] offset:1024
	ds_store_b64 v20, v[10:11] offset:1024
	;; [unrolled: 1-line block ×5, first 2 shown]
	s_wait_loadcnt_dscnt 0x0
	s_barrier_signal -1
	s_barrier_wait -1
	global_inv scope:SCOPE_SE
	s_and_saveexec_b32 s22, s20
	s_cbranch_execnz .LBB399_163
; %bb.131:                              ;   in Loop: Header=BB399_64 Depth=2
	s_wait_alu 0xfffe
	s_or_b32 exec_lo, exec_lo, s22
	s_and_saveexec_b32 s22, s21
	s_cbranch_execnz .LBB399_164
.LBB399_132:                            ;   in Loop: Header=BB399_64 Depth=2
	s_wait_alu 0xfffe
	s_or_b32 exec_lo, exec_lo, s22
	s_and_saveexec_b32 s20, s19
	s_cbranch_execnz .LBB399_165
.LBB399_133:                            ;   in Loop: Header=BB399_64 Depth=2
	s_wait_alu 0xfffe
	s_or_b32 exec_lo, exec_lo, s20
	s_and_saveexec_b32 s19, s18
	s_cbranch_execnz .LBB399_166
.LBB399_134:                            ;   in Loop: Header=BB399_64 Depth=2
	s_wait_alu 0xfffe
	s_or_b32 exec_lo, exec_lo, s19
	s_and_saveexec_b32 s18, s17
	s_cbranch_execnz .LBB399_167
.LBB399_135:                            ;   in Loop: Header=BB399_64 Depth=2
	s_wait_alu 0xfffe
	s_or_b32 exec_lo, exec_lo, s18
	s_and_saveexec_b32 s17, s16
	s_cbranch_execnz .LBB399_168
.LBB399_136:                            ;   in Loop: Header=BB399_64 Depth=2
	s_wait_alu 0xfffe
	s_or_b32 exec_lo, exec_lo, s17
	s_and_saveexec_b32 s16, s15
	s_cbranch_execnz .LBB399_169
.LBB399_137:                            ;   in Loop: Header=BB399_64 Depth=2
	s_wait_alu 0xfffe
	s_or_b32 exec_lo, exec_lo, s16
	s_and_saveexec_b32 s15, vcc_lo
	s_cbranch_execz .LBB399_139
.LBB399_138:                            ;   in Loop: Header=BB399_64 Depth=2
	v_lshlrev_b32_e32 v2, 2, v82
	v_add_nc_u32_e32 v20, v1, v47
	ds_load_b32 v2, v2
	ds_load_b64 v[20:21], v20 offset:15360
	s_wait_dscnt 0x1
	v_add_nc_u32_e32 v2, v2, v37
	s_delay_alu instid0(VALU_DEP_1) | instskip(NEXT) | instid1(VALU_DEP_1)
	v_lshlrev_b64_e32 v[23:24], 3, v[2:3]
	v_add_co_u32 v23, vcc_lo, s24, v23
	s_wait_alu 0xfffd
	s_delay_alu instid0(VALU_DEP_2)
	v_add_co_ci_u32_e64 v24, null, s25, v24, vcc_lo
	s_wait_dscnt 0x0
	global_store_b64 v[23:24], v[20:21], off
.LBB399_139:                            ;   in Loop: Header=BB399_64 Depth=2
	s_wait_alu 0xfffe
	s_or_b32 exec_lo, exec_lo, s15
	s_wait_loadcnt 0x0
	s_wait_storecnt 0x0
	s_barrier_signal -1
	s_barrier_wait -1
	global_inv scope:SCOPE_SE
	s_and_saveexec_b32 s15, s2
	s_cbranch_execz .LBB399_63
; %bb.140:                              ;   in Loop: Header=BB399_64 Depth=2
	ds_load_b32 v2, v28
	s_wait_dscnt 0x0
	v_add_nc_u32_e32 v2, v2, v22
	ds_store_b32 v28, v2
	s_branch .LBB399_63
.LBB399_141:                            ;   in Loop: Header=BB399_64 Depth=2
	ds_load_u8 v20, v1 offset:1024
	s_wait_dscnt 0x0
	v_and_b32_e32 v21, 0xff, v20
	v_xor_b32_e32 v20, 0x80, v20
	s_delay_alu instid0(VALU_DEP_2) | instskip(NEXT) | instid1(VALU_DEP_1)
	v_lshrrev_b32_e32 v21, s30, v21
	v_and_b32_e32 v21, s31, v21
	s_delay_alu instid0(VALU_DEP_1)
	v_lshlrev_b32_e32 v21, 2, v21
	ds_load_b32 v21, v21
	s_wait_dscnt 0x0
	v_add_nc_u32_e32 v21, v21, v1
	global_store_b8 v21, v20, s[38:39]
	s_wait_alu 0xfffe
	s_or_b32 exec_lo, exec_lo, s15
	v_cmp_lt_u32_e64 s21, v29, v2
	s_and_saveexec_b32 s15, s21
	s_cbranch_execz .LBB399_106
.LBB399_142:                            ;   in Loop: Header=BB399_64 Depth=2
	ds_load_u8 v20, v1 offset:1280
	s_wait_dscnt 0x0
	v_and_b32_e32 v21, 0xff, v20
	v_xor_b32_e32 v20, 0x80, v20
	s_delay_alu instid0(VALU_DEP_2) | instskip(NEXT) | instid1(VALU_DEP_1)
	v_lshrrev_b32_e32 v21, s30, v21
	v_and_b32_e32 v21, s31, v21
	s_delay_alu instid0(VALU_DEP_1)
	v_lshlrev_b32_e32 v21, 2, v21
	ds_load_b32 v21, v21
	s_wait_dscnt 0x0
	v_add_nc_u32_e32 v21, v21, v29
	global_store_b8 v21, v20, s[38:39]
	s_wait_alu 0xfffe
	s_or_b32 exec_lo, exec_lo, s15
	v_cmp_lt_u32_e64 s19, v30, v2
	s_and_saveexec_b32 s15, s19
	s_cbranch_execz .LBB399_107
.LBB399_143:                            ;   in Loop: Header=BB399_64 Depth=2
	ds_load_u8 v20, v1 offset:1536
	s_wait_dscnt 0x0
	v_and_b32_e32 v21, 0xff, v20
	v_xor_b32_e32 v20, 0x80, v20
	s_delay_alu instid0(VALU_DEP_2) | instskip(NEXT) | instid1(VALU_DEP_1)
	v_lshrrev_b32_e32 v21, s30, v21
	v_and_b32_e32 v21, s31, v21
	s_delay_alu instid0(VALU_DEP_1)
	v_lshlrev_b32_e32 v21, 2, v21
	ds_load_b32 v21, v21
	s_wait_dscnt 0x0
	v_add_nc_u32_e32 v21, v21, v30
	global_store_b8 v21, v20, s[38:39]
	s_wait_alu 0xfffe
	s_or_b32 exec_lo, exec_lo, s15
	v_cmp_lt_u32_e64 s18, v31, v2
	s_and_saveexec_b32 s15, s18
	s_cbranch_execz .LBB399_108
.LBB399_144:                            ;   in Loop: Header=BB399_64 Depth=2
	ds_load_u8 v20, v1 offset:1792
	s_wait_dscnt 0x0
	v_and_b32_e32 v21, 0xff, v20
	v_xor_b32_e32 v20, 0x80, v20
	s_delay_alu instid0(VALU_DEP_2) | instskip(NEXT) | instid1(VALU_DEP_1)
	v_lshrrev_b32_e32 v21, s30, v21
	v_and_b32_e32 v21, s31, v21
	s_delay_alu instid0(VALU_DEP_1)
	v_lshlrev_b32_e32 v21, 2, v21
	ds_load_b32 v21, v21
	s_wait_dscnt 0x0
	v_add_nc_u32_e32 v21, v21, v31
	global_store_b8 v21, v20, s[38:39]
	s_wait_alu 0xfffe
	s_or_b32 exec_lo, exec_lo, s15
	v_cmp_lt_u32_e64 s17, v34, v2
	s_and_saveexec_b32 s15, s17
	s_cbranch_execz .LBB399_109
.LBB399_145:                            ;   in Loop: Header=BB399_64 Depth=2
	ds_load_u8 v20, v1 offset:2048
	s_wait_dscnt 0x0
	v_and_b32_e32 v21, 0xff, v20
	v_xor_b32_e32 v20, 0x80, v20
	s_delay_alu instid0(VALU_DEP_2) | instskip(NEXT) | instid1(VALU_DEP_1)
	v_lshrrev_b32_e32 v21, s30, v21
	v_and_b32_e32 v21, s31, v21
	s_delay_alu instid0(VALU_DEP_1)
	v_lshlrev_b32_e32 v21, 2, v21
	ds_load_b32 v21, v21
	s_wait_dscnt 0x0
	v_add_nc_u32_e32 v21, v21, v34
	global_store_b8 v21, v20, s[38:39]
	s_wait_alu 0xfffe
	s_or_b32 exec_lo, exec_lo, s15
	v_cmp_lt_u32_e64 s16, v35, v2
	s_and_saveexec_b32 s15, s16
	s_cbranch_execz .LBB399_110
.LBB399_146:                            ;   in Loop: Header=BB399_64 Depth=2
	ds_load_u8 v20, v1 offset:2304
	s_wait_dscnt 0x0
	v_and_b32_e32 v21, 0xff, v20
	v_xor_b32_e32 v20, 0x80, v20
	s_delay_alu instid0(VALU_DEP_2) | instskip(NEXT) | instid1(VALU_DEP_1)
	v_lshrrev_b32_e32 v21, s30, v21
	v_and_b32_e32 v21, s31, v21
	s_delay_alu instid0(VALU_DEP_1)
	v_lshlrev_b32_e32 v21, 2, v21
	ds_load_b32 v21, v21
	s_wait_dscnt 0x0
	v_add_nc_u32_e32 v21, v21, v35
	global_store_b8 v21, v20, s[38:39]
	s_wait_alu 0xfffe
	s_or_b32 exec_lo, exec_lo, s15
	v_cmp_lt_u32_e64 s15, v36, v2
	s_and_saveexec_b32 s44, s15
	s_cbranch_execz .LBB399_111
.LBB399_147:                            ;   in Loop: Header=BB399_64 Depth=2
	ds_load_u8 v20, v1 offset:2560
	s_wait_dscnt 0x0
	v_and_b32_e32 v21, 0xff, v20
	v_xor_b32_e32 v20, 0x80, v20
	s_delay_alu instid0(VALU_DEP_2) | instskip(NEXT) | instid1(VALU_DEP_1)
	v_lshrrev_b32_e32 v21, s30, v21
	v_and_b32_e32 v21, s31, v21
	s_delay_alu instid0(VALU_DEP_1)
	v_lshlrev_b32_e32 v21, 2, v21
	ds_load_b32 v21, v21
	s_wait_dscnt 0x0
	v_add_nc_u32_e32 v21, v21, v36
	global_store_b8 v21, v20, s[38:39]
	s_wait_alu 0xfffe
	s_or_b32 exec_lo, exec_lo, s44
	v_cmp_lt_u32_e32 vcc_lo, v37, v2
	s_and_saveexec_b32 s44, vcc_lo
	s_cbranch_execnz .LBB399_112
	s_branch .LBB399_113
.LBB399_148:                            ;   in Loop: Header=BB399_64 Depth=2
	global_load_b64 v[18:19], v[20:21], off
	s_wait_alu 0xfffe
	s_or_b32 exec_lo, exec_lo, s22
	s_delay_alu instid0(SALU_CYCLE_1)
	s_mov_b32 s44, exec_lo
	v_cmpx_lt_u32_e64 v71, v2
	s_cbranch_execz .LBB399_115
.LBB399_149:                            ;   in Loop: Header=BB399_64 Depth=2
	global_load_b64 v[16:17], v[20:21], off offset:256
	s_wait_alu 0xfffe
	s_or_b32 exec_lo, exec_lo, s44
	s_delay_alu instid0(SALU_CYCLE_1)
	s_mov_b32 s44, exec_lo
	v_cmpx_lt_u32_e64 v72, v2
	s_cbranch_execz .LBB399_116
.LBB399_150:                            ;   in Loop: Header=BB399_64 Depth=2
	global_load_b64 v[14:15], v[20:21], off offset:512
	s_wait_alu 0xfffe
	s_or_b32 exec_lo, exec_lo, s44
	s_delay_alu instid0(SALU_CYCLE_1)
	s_mov_b32 s44, exec_lo
	v_cmpx_lt_u32_e64 v73, v2
	s_cbranch_execz .LBB399_117
.LBB399_151:                            ;   in Loop: Header=BB399_64 Depth=2
	global_load_b64 v[12:13], v[20:21], off offset:768
	s_wait_alu 0xfffe
	s_or_b32 exec_lo, exec_lo, s44
	s_delay_alu instid0(SALU_CYCLE_1)
	s_mov_b32 s44, exec_lo
	v_cmpx_lt_u32_e64 v74, v2
	s_cbranch_execz .LBB399_118
.LBB399_152:                            ;   in Loop: Header=BB399_64 Depth=2
	global_load_b64 v[10:11], v[20:21], off offset:1024
	s_wait_alu 0xfffe
	s_or_b32 exec_lo, exec_lo, s44
	s_delay_alu instid0(SALU_CYCLE_1)
	s_mov_b32 s44, exec_lo
	v_cmpx_lt_u32_e64 v75, v2
	s_cbranch_execz .LBB399_119
.LBB399_153:                            ;   in Loop: Header=BB399_64 Depth=2
	global_load_b64 v[8:9], v[20:21], off offset:1280
	s_wait_alu 0xfffe
	s_or_b32 exec_lo, exec_lo, s44
	s_delay_alu instid0(SALU_CYCLE_1)
	s_mov_b32 s44, exec_lo
	v_cmpx_lt_u32_e64 v76, v2
	s_cbranch_execz .LBB399_120
.LBB399_154:                            ;   in Loop: Header=BB399_64 Depth=2
	global_load_b64 v[6:7], v[20:21], off offset:1536
	s_wait_alu 0xfffe
	s_or_b32 exec_lo, exec_lo, s44
	s_delay_alu instid0(SALU_CYCLE_1)
	s_mov_b32 s44, exec_lo
	v_cmpx_lt_u32_e64 v77, v2
	s_cbranch_execz .LBB399_121
.LBB399_155:                            ;   in Loop: Header=BB399_64 Depth=2
	global_load_b64 v[4:5], v[20:21], off offset:1792
	s_wait_alu 0xfffe
	s_or_b32 exec_lo, exec_lo, s44
	s_and_saveexec_b32 s22, s20
	s_cbranch_execz .LBB399_122
.LBB399_156:                            ;   in Loop: Header=BB399_64 Depth=2
	ds_load_u8 v2, v1 offset:1024
	s_wait_dscnt 0x0
	v_lshrrev_b32_e32 v2, s30, v2
	s_delay_alu instid0(VALU_DEP_1)
	v_and_b32_e32 v89, s31, v2
	s_wait_alu 0xfffe
	s_or_b32 exec_lo, exec_lo, s22
	s_and_saveexec_b32 s22, s21
	s_cbranch_execz .LBB399_123
.LBB399_157:                            ;   in Loop: Header=BB399_64 Depth=2
	ds_load_u8 v2, v1 offset:1280
	s_wait_dscnt 0x0
	v_lshrrev_b32_e32 v2, s30, v2
	s_delay_alu instid0(VALU_DEP_1)
	v_and_b32_e32 v88, s31, v2
	s_wait_alu 0xfffe
	s_or_b32 exec_lo, exec_lo, s22
	s_and_saveexec_b32 s22, s19
	s_cbranch_execz .LBB399_124
.LBB399_158:                            ;   in Loop: Header=BB399_64 Depth=2
	ds_load_u8 v2, v1 offset:1536
	s_wait_dscnt 0x0
	v_lshrrev_b32_e32 v2, s30, v2
	s_delay_alu instid0(VALU_DEP_1)
	v_and_b32_e32 v87, s31, v2
	s_wait_alu 0xfffe
	s_or_b32 exec_lo, exec_lo, s22
	s_and_saveexec_b32 s22, s18
	s_cbranch_execz .LBB399_125
.LBB399_159:                            ;   in Loop: Header=BB399_64 Depth=2
	ds_load_u8 v2, v1 offset:1792
	s_wait_dscnt 0x0
	v_lshrrev_b32_e32 v2, s30, v2
	s_delay_alu instid0(VALU_DEP_1)
	v_and_b32_e32 v86, s31, v2
	s_wait_alu 0xfffe
	s_or_b32 exec_lo, exec_lo, s22
	s_and_saveexec_b32 s22, s17
	s_cbranch_execz .LBB399_126
.LBB399_160:                            ;   in Loop: Header=BB399_64 Depth=2
	ds_load_u8 v2, v1 offset:2048
	s_wait_dscnt 0x0
	v_lshrrev_b32_e32 v2, s30, v2
	s_delay_alu instid0(VALU_DEP_1)
	v_and_b32_e32 v85, s31, v2
	s_wait_alu 0xfffe
	s_or_b32 exec_lo, exec_lo, s22
	s_and_saveexec_b32 s22, s16
	s_cbranch_execz .LBB399_127
.LBB399_161:                            ;   in Loop: Header=BB399_64 Depth=2
	ds_load_u8 v2, v1 offset:2304
	s_wait_dscnt 0x0
	v_lshrrev_b32_e32 v2, s30, v2
	s_delay_alu instid0(VALU_DEP_1)
	v_and_b32_e32 v84, s31, v2
	s_wait_alu 0xfffe
	s_or_b32 exec_lo, exec_lo, s22
	s_and_saveexec_b32 s22, s15
	s_cbranch_execz .LBB399_128
.LBB399_162:                            ;   in Loop: Header=BB399_64 Depth=2
	ds_load_u8 v2, v1 offset:2560
	s_wait_dscnt 0x0
	v_lshrrev_b32_e32 v2, s30, v2
	s_delay_alu instid0(VALU_DEP_1)
	v_and_b32_e32 v83, s31, v2
	s_wait_alu 0xfffe
	s_or_b32 exec_lo, exec_lo, s22
	s_and_saveexec_b32 s22, vcc_lo
	s_cbranch_execnz .LBB399_129
	s_branch .LBB399_130
.LBB399_163:                            ;   in Loop: Header=BB399_64 Depth=2
	v_lshlrev_b32_e32 v2, 2, v89
	v_add_nc_u32_e32 v20, v1, v47
	ds_load_b32 v2, v2
	ds_load_b64 v[20:21], v20 offset:1024
	s_wait_dscnt 0x1
	v_add_nc_u32_e32 v2, v2, v1
	s_delay_alu instid0(VALU_DEP_1) | instskip(NEXT) | instid1(VALU_DEP_1)
	v_lshlrev_b64_e32 v[23:24], 3, v[2:3]
	v_add_co_u32 v23, s20, s24, v23
	s_wait_alu 0xf1ff
	s_delay_alu instid0(VALU_DEP_2)
	v_add_co_ci_u32_e64 v24, null, s25, v24, s20
	s_wait_dscnt 0x0
	global_store_b64 v[23:24], v[20:21], off
	s_wait_alu 0xfffe
	s_or_b32 exec_lo, exec_lo, s22
	s_and_saveexec_b32 s22, s21
	s_cbranch_execz .LBB399_132
.LBB399_164:                            ;   in Loop: Header=BB399_64 Depth=2
	v_lshlrev_b32_e32 v2, 2, v88
	v_add_nc_u32_e32 v20, v1, v47
	ds_load_b32 v2, v2
	ds_load_b64 v[20:21], v20 offset:3072
	s_wait_dscnt 0x1
	v_add_nc_u32_e32 v2, v2, v29
	s_delay_alu instid0(VALU_DEP_1) | instskip(NEXT) | instid1(VALU_DEP_1)
	v_lshlrev_b64_e32 v[23:24], 3, v[2:3]
	v_add_co_u32 v23, s20, s24, v23
	s_wait_alu 0xf1ff
	s_delay_alu instid0(VALU_DEP_2)
	v_add_co_ci_u32_e64 v24, null, s25, v24, s20
	s_wait_dscnt 0x0
	global_store_b64 v[23:24], v[20:21], off
	s_wait_alu 0xfffe
	s_or_b32 exec_lo, exec_lo, s22
	s_and_saveexec_b32 s20, s19
	s_cbranch_execz .LBB399_133
.LBB399_165:                            ;   in Loop: Header=BB399_64 Depth=2
	v_lshlrev_b32_e32 v2, 2, v87
	v_add_nc_u32_e32 v20, v1, v47
	ds_load_b32 v2, v2
	ds_load_b64 v[20:21], v20 offset:5120
	s_wait_dscnt 0x1
	v_add_nc_u32_e32 v2, v2, v30
	s_delay_alu instid0(VALU_DEP_1) | instskip(NEXT) | instid1(VALU_DEP_1)
	v_lshlrev_b64_e32 v[23:24], 3, v[2:3]
	v_add_co_u32 v23, s19, s24, v23
	s_wait_alu 0xf1ff
	s_delay_alu instid0(VALU_DEP_2)
	v_add_co_ci_u32_e64 v24, null, s25, v24, s19
	s_wait_dscnt 0x0
	global_store_b64 v[23:24], v[20:21], off
	s_wait_alu 0xfffe
	s_or_b32 exec_lo, exec_lo, s20
	s_and_saveexec_b32 s19, s18
	s_cbranch_execz .LBB399_134
.LBB399_166:                            ;   in Loop: Header=BB399_64 Depth=2
	v_lshlrev_b32_e32 v2, 2, v86
	v_add_nc_u32_e32 v20, v1, v47
	ds_load_b32 v2, v2
	ds_load_b64 v[20:21], v20 offset:7168
	s_wait_dscnt 0x1
	v_add_nc_u32_e32 v2, v2, v31
	s_delay_alu instid0(VALU_DEP_1) | instskip(NEXT) | instid1(VALU_DEP_1)
	v_lshlrev_b64_e32 v[23:24], 3, v[2:3]
	v_add_co_u32 v23, s18, s24, v23
	s_wait_alu 0xf1ff
	s_delay_alu instid0(VALU_DEP_2)
	v_add_co_ci_u32_e64 v24, null, s25, v24, s18
	s_wait_dscnt 0x0
	global_store_b64 v[23:24], v[20:21], off
	s_wait_alu 0xfffe
	s_or_b32 exec_lo, exec_lo, s19
	s_and_saveexec_b32 s18, s17
	s_cbranch_execz .LBB399_135
.LBB399_167:                            ;   in Loop: Header=BB399_64 Depth=2
	v_lshlrev_b32_e32 v2, 2, v85
	v_add_nc_u32_e32 v20, v1, v47
	ds_load_b32 v2, v2
	ds_load_b64 v[20:21], v20 offset:9216
	s_wait_dscnt 0x1
	v_add_nc_u32_e32 v2, v2, v34
	s_delay_alu instid0(VALU_DEP_1) | instskip(NEXT) | instid1(VALU_DEP_1)
	v_lshlrev_b64_e32 v[23:24], 3, v[2:3]
	v_add_co_u32 v23, s17, s24, v23
	s_wait_alu 0xf1ff
	s_delay_alu instid0(VALU_DEP_2)
	v_add_co_ci_u32_e64 v24, null, s25, v24, s17
	s_wait_dscnt 0x0
	global_store_b64 v[23:24], v[20:21], off
	s_wait_alu 0xfffe
	s_or_b32 exec_lo, exec_lo, s18
	s_and_saveexec_b32 s17, s16
	s_cbranch_execz .LBB399_136
.LBB399_168:                            ;   in Loop: Header=BB399_64 Depth=2
	v_lshlrev_b32_e32 v2, 2, v84
	v_add_nc_u32_e32 v20, v1, v47
	ds_load_b32 v2, v2
	ds_load_b64 v[20:21], v20 offset:11264
	s_wait_dscnt 0x1
	v_add_nc_u32_e32 v2, v2, v35
	s_delay_alu instid0(VALU_DEP_1) | instskip(NEXT) | instid1(VALU_DEP_1)
	v_lshlrev_b64_e32 v[23:24], 3, v[2:3]
	v_add_co_u32 v23, s16, s24, v23
	s_wait_alu 0xf1ff
	s_delay_alu instid0(VALU_DEP_2)
	v_add_co_ci_u32_e64 v24, null, s25, v24, s16
	s_wait_dscnt 0x0
	global_store_b64 v[23:24], v[20:21], off
	s_wait_alu 0xfffe
	s_or_b32 exec_lo, exec_lo, s17
	s_and_saveexec_b32 s16, s15
	s_cbranch_execz .LBB399_137
.LBB399_169:                            ;   in Loop: Header=BB399_64 Depth=2
	v_lshlrev_b32_e32 v2, 2, v83
	v_add_nc_u32_e32 v20, v1, v47
	ds_load_b32 v2, v2
	ds_load_b64 v[20:21], v20 offset:13312
	s_wait_dscnt 0x1
	v_add_nc_u32_e32 v2, v2, v36
	s_delay_alu instid0(VALU_DEP_1) | instskip(NEXT) | instid1(VALU_DEP_1)
	v_lshlrev_b64_e32 v[23:24], 3, v[2:3]
	v_add_co_u32 v23, s15, s24, v23
	s_wait_alu 0xf1ff
	s_delay_alu instid0(VALU_DEP_2)
	v_add_co_ci_u32_e64 v24, null, s25, v24, s15
	s_wait_dscnt 0x0
	global_store_b64 v[23:24], v[20:21], off
	s_wait_alu 0xfffe
	s_or_b32 exec_lo, exec_lo, s16
	s_and_saveexec_b32 s15, vcc_lo
	s_cbranch_execnz .LBB399_138
	s_branch .LBB399_139
.LBB399_170:                            ;   in Loop: Header=BB399_64 Depth=2
	global_load_u8 v90, v[20:21], off
	v_dual_mov_b32 v22, 0x7f :: v_dual_mov_b32 v27, 0x7f
	v_dual_mov_b32 v92, 0x7f :: v_dual_mov_b32 v25, 0x7f
	;; [unrolled: 1-line block ×3, first 2 shown]
	v_mov_b32_e32 v24, 0x7f
	s_wait_alu 0xfffe
	s_or_b32 exec_lo, exec_lo, s15
	s_delay_alu instid0(SALU_CYCLE_1)
	s_mov_b32 s15, exec_lo
	v_cmpx_gt_u32_e64 s42, v71
	s_cbranch_execz .LBB399_69
.LBB399_171:                            ;   in Loop: Header=BB399_64 Depth=2
	global_load_u8 v92, v[20:21], off offset:32
	s_wait_alu 0xfffe
	s_or_b32 exec_lo, exec_lo, s15
	s_delay_alu instid0(SALU_CYCLE_1)
	s_mov_b32 s15, exec_lo
	v_cmpx_gt_u32_e64 s42, v72
	s_cbranch_execz .LBB399_70
.LBB399_172:                            ;   in Loop: Header=BB399_64 Depth=2
	global_load_u8 v27, v[20:21], off offset:64
	s_wait_alu 0xfffe
	s_or_b32 exec_lo, exec_lo, s15
	s_delay_alu instid0(SALU_CYCLE_1)
	s_mov_b32 s15, exec_lo
	v_cmpx_gt_u32_e64 s42, v73
	s_cbranch_execz .LBB399_71
.LBB399_173:                            ;   in Loop: Header=BB399_64 Depth=2
	global_load_u8 v26, v[20:21], off offset:96
	s_wait_alu 0xfffe
	s_or_b32 exec_lo, exec_lo, s15
	s_delay_alu instid0(SALU_CYCLE_1)
	s_mov_b32 s15, exec_lo
	v_cmpx_gt_u32_e64 s42, v74
	s_cbranch_execz .LBB399_72
.LBB399_174:                            ;   in Loop: Header=BB399_64 Depth=2
	global_load_u8 v25, v[20:21], off offset:128
	s_wait_alu 0xfffe
	s_or_b32 exec_lo, exec_lo, s15
	s_delay_alu instid0(SALU_CYCLE_1)
	s_mov_b32 s15, exec_lo
	v_cmpx_gt_u32_e64 s42, v75
	s_cbranch_execz .LBB399_73
.LBB399_175:                            ;   in Loop: Header=BB399_64 Depth=2
	global_load_u8 v24, v[20:21], off offset:160
	s_wait_alu 0xfffe
	s_or_b32 exec_lo, exec_lo, s15
	s_delay_alu instid0(SALU_CYCLE_1)
	s_mov_b32 s15, exec_lo
	v_cmpx_gt_u32_e64 s42, v76
	s_cbranch_execnz .LBB399_74
	s_branch .LBB399_75
.LBB399_176:                            ;   in Loop: Header=BB399_12 Depth=1
	s_wait_loadcnt_dscnt 0x0
	s_barrier_signal -1
	s_mov_b32 s0, 0
	s_barrier_wait -1
.LBB399_177:                            ;   in Loop: Header=BB399_12 Depth=1
	s_wait_alu 0xfffe
	s_and_b32 vcc_lo, exec_lo, s0
	s_wait_alu 0xfffe
	s_cbranch_vccz .LBB399_341
; %bb.178:                              ;   in Loop: Header=BB399_12 Depth=1
	v_dual_mov_b32 v7, 0 :: v_dual_mov_b32 v10, 0
	v_dual_mov_b32 v9, 0 :: v_dual_mov_b32 v8, 0
	;; [unrolled: 1-line block ×3, first 2 shown]
	v_mov_b32_e32 v4, 0
	v_mov_b32_e32 v2, 0
	s_mov_b32 s9, s47
	s_mov_b32 s22, s33
	s_barrier_signal -1
	s_barrier_wait -1
	global_inv scope:SCOPE_SE
	s_branch .LBB399_180
.LBB399_179:                            ;   in Loop: Header=BB399_180 Depth=2
	s_wait_alu 0xfffe
	s_or_b32 exec_lo, exec_lo, s0
	s_addk_co_i32 s9, 0xf800
	s_cmp_ge_u32 s10, s34
	s_mov_b32 s22, s10
	s_cbranch_scc1 .LBB399_216
.LBB399_180:                            ;   Parent Loop BB399_12 Depth=1
                                        ; =>  This Inner Loop Header: Depth=2
	s_wait_alu 0xfffe
	s_add_co_i32 s10, s22, 0x800
	s_mov_b32 s0, -1
	s_wait_alu 0xfffe
	s_cmp_gt_u32 s10, s34
                                        ; implicit-def: $vgpr11
                                        ; implicit-def: $vgpr12
                                        ; implicit-def: $vgpr13
                                        ; implicit-def: $vgpr14
                                        ; implicit-def: $vgpr15
                                        ; implicit-def: $vgpr16
                                        ; implicit-def: $vgpr17
                                        ; implicit-def: $vgpr18
	s_cbranch_scc1 .LBB399_182
; %bb.181:                              ;   in Loop: Header=BB399_180 Depth=2
	v_add_co_u32 v19, vcc_lo, v48, s22
	s_wait_alu 0xfffd
	v_add_co_ci_u32_e64 v20, null, 0, v49, vcc_lo
	s_mov_b32 s0, 0
	s_clause 0x7
	global_load_u8 v18, v[19:20], off offset:1792
	global_load_u8 v17, v[19:20], off offset:1536
	global_load_u8 v16, v[19:20], off offset:1280
	global_load_u8 v15, v[19:20], off offset:1024
	global_load_u8 v14, v[19:20], off offset:768
	global_load_u8 v13, v[19:20], off offset:512
	global_load_u8 v12, v[19:20], off offset:256
	global_load_u8 v11, v[19:20], off
.LBB399_182:                            ;   in Loop: Header=BB399_180 Depth=2
	s_wait_alu 0xfffe
	s_and_not1_b32 vcc_lo, exec_lo, s0
	s_movk_i32 s0, 0x800
	s_wait_alu 0xfffe
	s_cbranch_vccnz .LBB399_193
; %bb.183:                              ;   in Loop: Header=BB399_180 Depth=2
	s_add_nc_u64 s[0:1], s[38:39], s[22:23]
	s_mov_b32 s11, exec_lo
	v_cmpx_gt_u32_e64 s9, v1
	s_cbranch_execnz .LBB399_209
; %bb.184:                              ;   in Loop: Header=BB399_180 Depth=2
	s_wait_alu 0xfffe
	s_or_b32 exec_lo, exec_lo, s11
	s_delay_alu instid0(SALU_CYCLE_1)
	s_mov_b32 s11, exec_lo
	v_cmpx_gt_u32_e64 s9, v29
	s_cbranch_execnz .LBB399_210
.LBB399_185:                            ;   in Loop: Header=BB399_180 Depth=2
	s_wait_alu 0xfffe
	s_or_b32 exec_lo, exec_lo, s11
	s_delay_alu instid0(SALU_CYCLE_1)
	s_mov_b32 s11, exec_lo
	v_cmpx_gt_u32_e64 s9, v30
	s_cbranch_execnz .LBB399_211
.LBB399_186:                            ;   in Loop: Header=BB399_180 Depth=2
	s_wait_alu 0xfffe
	s_or_b32 exec_lo, exec_lo, s11
	s_delay_alu instid0(SALU_CYCLE_1)
	s_mov_b32 s11, exec_lo
	v_cmpx_gt_u32_e64 s9, v31
	s_cbranch_execnz .LBB399_212
.LBB399_187:                            ;   in Loop: Header=BB399_180 Depth=2
	s_wait_alu 0xfffe
	s_or_b32 exec_lo, exec_lo, s11
	s_delay_alu instid0(SALU_CYCLE_1)
	s_mov_b32 s11, exec_lo
	v_cmpx_gt_u32_e64 s9, v34
	s_cbranch_execnz .LBB399_213
.LBB399_188:                            ;   in Loop: Header=BB399_180 Depth=2
	s_wait_alu 0xfffe
	s_or_b32 exec_lo, exec_lo, s11
	s_delay_alu instid0(SALU_CYCLE_1)
	s_mov_b32 s11, exec_lo
	v_cmpx_gt_u32_e64 s9, v35
	s_cbranch_execnz .LBB399_214
.LBB399_189:                            ;   in Loop: Header=BB399_180 Depth=2
	s_wait_alu 0xfffe
	s_or_b32 exec_lo, exec_lo, s11
	s_delay_alu instid0(SALU_CYCLE_1)
	s_mov_b32 s11, exec_lo
	v_cmpx_gt_u32_e64 s9, v36
	s_cbranch_execnz .LBB399_215
.LBB399_190:                            ;   in Loop: Header=BB399_180 Depth=2
	s_wait_alu 0xfffe
	s_or_b32 exec_lo, exec_lo, s11
	s_delay_alu instid0(SALU_CYCLE_1)
	s_mov_b32 s11, exec_lo
	v_cmpx_gt_u32_e64 s9, v37
	s_cbranch_execz .LBB399_192
.LBB399_191:                            ;   in Loop: Header=BB399_180 Depth=2
	s_wait_loadcnt 0x0
	v_add_co_u32 v11, s0, s0, v1
	s_wait_alu 0xf1ff
	v_add_co_ci_u32_e64 v12, null, s1, 0, s0
	global_load_u8 v2, v[11:12], off offset:1792
.LBB399_192:                            ;   in Loop: Header=BB399_180 Depth=2
	s_wait_alu 0xfffe
	s_or_b32 exec_lo, exec_lo, s11
	s_wait_loadcnt 0x0
	v_dual_mov_b32 v11, v7 :: v_dual_mov_b32 v12, v10
	v_dual_mov_b32 v13, v9 :: v_dual_mov_b32 v14, v8
	;; [unrolled: 1-line block ×4, first 2 shown]
	s_mov_b32 s0, s9
.LBB399_193:                            ;   in Loop: Header=BB399_180 Depth=2
	s_wait_loadcnt 0x5
	s_delay_alu instid0(VALU_DEP_1)
	v_dual_mov_b32 v2, v18 :: v_dual_mov_b32 v5, v16
	s_wait_loadcnt 0x2
	v_dual_mov_b32 v4, v17 :: v_dual_mov_b32 v9, v13
	s_wait_loadcnt 0x0
	v_dual_mov_b32 v6, v15 :: v_dual_mov_b32 v7, v11
	v_mov_b32_e32 v8, v14
	v_mov_b32_e32 v10, v12
	s_mov_b32 s1, exec_lo
	s_wait_alu 0xfffe
	v_cmpx_gt_u32_e64 s0, v1
	s_cbranch_execnz .LBB399_201
; %bb.194:                              ;   in Loop: Header=BB399_180 Depth=2
	s_or_b32 exec_lo, exec_lo, s1
	s_delay_alu instid0(SALU_CYCLE_1)
	s_mov_b32 s1, exec_lo
	v_cmpx_gt_u32_e64 s0, v29
	s_cbranch_execnz .LBB399_202
.LBB399_195:                            ;   in Loop: Header=BB399_180 Depth=2
	s_wait_alu 0xfffe
	s_or_b32 exec_lo, exec_lo, s1
	s_delay_alu instid0(SALU_CYCLE_1)
	s_mov_b32 s1, exec_lo
	v_cmpx_gt_u32_e64 s0, v30
	s_cbranch_execnz .LBB399_203
.LBB399_196:                            ;   in Loop: Header=BB399_180 Depth=2
	s_wait_alu 0xfffe
	s_or_b32 exec_lo, exec_lo, s1
	s_delay_alu instid0(SALU_CYCLE_1)
	s_mov_b32 s1, exec_lo
	v_cmpx_gt_u32_e64 s0, v31
	s_cbranch_execnz .LBB399_204
.LBB399_197:                            ;   in Loop: Header=BB399_180 Depth=2
	s_wait_alu 0xfffe
	s_or_b32 exec_lo, exec_lo, s1
	s_delay_alu instid0(SALU_CYCLE_1)
	s_mov_b32 s1, exec_lo
	v_cmpx_gt_u32_e64 s0, v34
	s_cbranch_execnz .LBB399_205
.LBB399_198:                            ;   in Loop: Header=BB399_180 Depth=2
	s_wait_alu 0xfffe
	s_or_b32 exec_lo, exec_lo, s1
	s_delay_alu instid0(SALU_CYCLE_1)
	s_mov_b32 s1, exec_lo
	v_cmpx_gt_u32_e64 s0, v35
	s_cbranch_execnz .LBB399_206
.LBB399_199:                            ;   in Loop: Header=BB399_180 Depth=2
	s_wait_alu 0xfffe
	s_or_b32 exec_lo, exec_lo, s1
	s_delay_alu instid0(SALU_CYCLE_1)
	s_mov_b32 s1, exec_lo
	v_cmpx_gt_u32_e64 s0, v36
	s_cbranch_execnz .LBB399_207
.LBB399_200:                            ;   in Loop: Header=BB399_180 Depth=2
	s_wait_alu 0xfffe
	s_or_b32 exec_lo, exec_lo, s1
	v_cmp_gt_u32_e32 vcc_lo, s0, v37
	s_and_saveexec_b32 s0, vcc_lo
	s_cbranch_execz .LBB399_179
	s_branch .LBB399_208
.LBB399_201:                            ;   in Loop: Header=BB399_180 Depth=2
	v_xor_b32_e32 v11, 0x80, v7
	s_delay_alu instid0(VALU_DEP_1) | instskip(NEXT) | instid1(VALU_DEP_1)
	v_and_b32_e32 v11, 0xff, v11
	v_lshrrev_b32_e32 v11, s30, v11
	s_delay_alu instid0(VALU_DEP_1) | instskip(NEXT) | instid1(VALU_DEP_1)
	v_and_b32_e32 v11, s31, v11
	v_lshl_or_b32 v11, v11, 4, v39
	ds_add_u32 v11, v61
	s_or_b32 exec_lo, exec_lo, s1
	s_delay_alu instid0(SALU_CYCLE_1)
	s_mov_b32 s1, exec_lo
	v_cmpx_gt_u32_e64 s0, v29
	s_cbranch_execz .LBB399_195
.LBB399_202:                            ;   in Loop: Header=BB399_180 Depth=2
	v_xor_b32_e32 v11, 0x80, v10
	s_delay_alu instid0(VALU_DEP_1) | instskip(NEXT) | instid1(VALU_DEP_1)
	v_and_b32_e32 v11, 0xff, v11
	v_lshrrev_b32_e32 v11, s30, v11
	s_delay_alu instid0(VALU_DEP_1) | instskip(NEXT) | instid1(VALU_DEP_1)
	v_and_b32_e32 v11, s31, v11
	v_lshl_or_b32 v11, v11, 4, v39
	ds_add_u32 v11, v61
	s_wait_alu 0xfffe
	s_or_b32 exec_lo, exec_lo, s1
	s_delay_alu instid0(SALU_CYCLE_1)
	s_mov_b32 s1, exec_lo
	v_cmpx_gt_u32_e64 s0, v30
	s_cbranch_execz .LBB399_196
.LBB399_203:                            ;   in Loop: Header=BB399_180 Depth=2
	v_xor_b32_e32 v11, 0x80, v9
	s_delay_alu instid0(VALU_DEP_1) | instskip(NEXT) | instid1(VALU_DEP_1)
	v_and_b32_e32 v11, 0xff, v11
	v_lshrrev_b32_e32 v11, s30, v11
	s_delay_alu instid0(VALU_DEP_1) | instskip(NEXT) | instid1(VALU_DEP_1)
	v_and_b32_e32 v11, s31, v11
	v_lshl_or_b32 v11, v11, 4, v39
	ds_add_u32 v11, v61
	s_wait_alu 0xfffe
	s_or_b32 exec_lo, exec_lo, s1
	s_delay_alu instid0(SALU_CYCLE_1)
	s_mov_b32 s1, exec_lo
	v_cmpx_gt_u32_e64 s0, v31
	s_cbranch_execz .LBB399_197
.LBB399_204:                            ;   in Loop: Header=BB399_180 Depth=2
	v_xor_b32_e32 v11, 0x80, v8
	s_delay_alu instid0(VALU_DEP_1) | instskip(NEXT) | instid1(VALU_DEP_1)
	v_and_b32_e32 v11, 0xff, v11
	v_lshrrev_b32_e32 v11, s30, v11
	s_delay_alu instid0(VALU_DEP_1) | instskip(NEXT) | instid1(VALU_DEP_1)
	v_and_b32_e32 v11, s31, v11
	v_lshl_or_b32 v11, v11, 4, v39
	ds_add_u32 v11, v61
	s_wait_alu 0xfffe
	s_or_b32 exec_lo, exec_lo, s1
	s_delay_alu instid0(SALU_CYCLE_1)
	s_mov_b32 s1, exec_lo
	v_cmpx_gt_u32_e64 s0, v34
	s_cbranch_execz .LBB399_198
.LBB399_205:                            ;   in Loop: Header=BB399_180 Depth=2
	v_xor_b32_e32 v11, 0x80, v6
	s_delay_alu instid0(VALU_DEP_1) | instskip(NEXT) | instid1(VALU_DEP_1)
	v_and_b32_e32 v11, 0xff, v11
	v_lshrrev_b32_e32 v11, s30, v11
	s_delay_alu instid0(VALU_DEP_1) | instskip(NEXT) | instid1(VALU_DEP_1)
	v_and_b32_e32 v11, s31, v11
	v_lshl_or_b32 v11, v11, 4, v39
	ds_add_u32 v11, v61
	s_wait_alu 0xfffe
	s_or_b32 exec_lo, exec_lo, s1
	s_delay_alu instid0(SALU_CYCLE_1)
	s_mov_b32 s1, exec_lo
	v_cmpx_gt_u32_e64 s0, v35
	s_cbranch_execz .LBB399_199
.LBB399_206:                            ;   in Loop: Header=BB399_180 Depth=2
	v_xor_b32_e32 v11, 0x80, v5
	s_delay_alu instid0(VALU_DEP_1) | instskip(NEXT) | instid1(VALU_DEP_1)
	v_and_b32_e32 v11, 0xff, v11
	v_lshrrev_b32_e32 v11, s30, v11
	s_delay_alu instid0(VALU_DEP_1) | instskip(NEXT) | instid1(VALU_DEP_1)
	v_and_b32_e32 v11, s31, v11
	v_lshl_or_b32 v11, v11, 4, v39
	ds_add_u32 v11, v61
	s_wait_alu 0xfffe
	s_or_b32 exec_lo, exec_lo, s1
	s_delay_alu instid0(SALU_CYCLE_1)
	s_mov_b32 s1, exec_lo
	v_cmpx_gt_u32_e64 s0, v36
	s_cbranch_execz .LBB399_200
.LBB399_207:                            ;   in Loop: Header=BB399_180 Depth=2
	v_xor_b32_e32 v11, 0x80, v4
	s_delay_alu instid0(VALU_DEP_1) | instskip(NEXT) | instid1(VALU_DEP_1)
	v_and_b32_e32 v11, 0xff, v11
	v_lshrrev_b32_e32 v11, s30, v11
	s_delay_alu instid0(VALU_DEP_1) | instskip(NEXT) | instid1(VALU_DEP_1)
	v_and_b32_e32 v11, s31, v11
	v_lshl_or_b32 v11, v11, 4, v39
	ds_add_u32 v11, v61
	s_wait_alu 0xfffe
	s_or_b32 exec_lo, exec_lo, s1
	v_cmp_gt_u32_e32 vcc_lo, s0, v37
	s_and_saveexec_b32 s0, vcc_lo
	s_cbranch_execz .LBB399_179
.LBB399_208:                            ;   in Loop: Header=BB399_180 Depth=2
	v_xor_b32_e32 v11, 0x80, v2
	s_delay_alu instid0(VALU_DEP_1) | instskip(NEXT) | instid1(VALU_DEP_1)
	v_and_b32_e32 v11, 0xff, v11
	v_lshrrev_b32_e32 v11, s30, v11
	s_delay_alu instid0(VALU_DEP_1) | instskip(NEXT) | instid1(VALU_DEP_1)
	v_and_b32_e32 v11, s31, v11
	v_lshl_or_b32 v11, v11, 4, v39
	ds_add_u32 v11, v61
	s_branch .LBB399_179
.LBB399_209:                            ;   in Loop: Header=BB399_180 Depth=2
	s_wait_loadcnt 0x0
	s_wait_alu 0xfffe
	v_add_co_u32 v11, s12, s0, v1
	s_wait_alu 0xf1ff
	v_add_co_ci_u32_e64 v12, null, s1, 0, s12
	global_load_u8 v7, v[11:12], off
	s_or_b32 exec_lo, exec_lo, s11
	s_delay_alu instid0(SALU_CYCLE_1)
	s_mov_b32 s11, exec_lo
	v_cmpx_gt_u32_e64 s9, v29
	s_cbranch_execz .LBB399_185
.LBB399_210:                            ;   in Loop: Header=BB399_180 Depth=2
	v_add_co_u32 v10, s12, s0, v1
	s_wait_loadcnt 0x0
	s_wait_alu 0xf1ff
	v_add_co_ci_u32_e64 v11, null, s1, 0, s12
	global_load_u8 v10, v[10:11], off offset:256
	s_wait_alu 0xfffe
	s_or_b32 exec_lo, exec_lo, s11
	s_delay_alu instid0(SALU_CYCLE_1)
	s_mov_b32 s11, exec_lo
	v_cmpx_gt_u32_e64 s9, v30
	s_cbranch_execz .LBB399_186
.LBB399_211:                            ;   in Loop: Header=BB399_180 Depth=2
	s_wait_loadcnt 0x0
	v_add_co_u32 v11, s12, s0, v1
	s_wait_alu 0xf1ff
	v_add_co_ci_u32_e64 v12, null, s1, 0, s12
	global_load_u8 v9, v[11:12], off offset:512
	s_wait_alu 0xfffe
	s_or_b32 exec_lo, exec_lo, s11
	s_delay_alu instid0(SALU_CYCLE_1)
	s_mov_b32 s11, exec_lo
	v_cmpx_gt_u32_e64 s9, v31
	s_cbranch_execz .LBB399_187
.LBB399_212:                            ;   in Loop: Header=BB399_180 Depth=2
	s_wait_loadcnt 0x0
	v_add_co_u32 v11, s12, s0, v1
	s_wait_alu 0xf1ff
	v_add_co_ci_u32_e64 v12, null, s1, 0, s12
	global_load_u8 v8, v[11:12], off offset:768
	s_wait_alu 0xfffe
	s_or_b32 exec_lo, exec_lo, s11
	s_delay_alu instid0(SALU_CYCLE_1)
	s_mov_b32 s11, exec_lo
	v_cmpx_gt_u32_e64 s9, v34
	s_cbranch_execz .LBB399_188
.LBB399_213:                            ;   in Loop: Header=BB399_180 Depth=2
	s_wait_loadcnt 0x0
	v_add_co_u32 v11, s12, s0, v1
	s_wait_alu 0xf1ff
	v_add_co_ci_u32_e64 v12, null, s1, 0, s12
	global_load_u8 v6, v[11:12], off offset:1024
	s_wait_alu 0xfffe
	s_or_b32 exec_lo, exec_lo, s11
	s_delay_alu instid0(SALU_CYCLE_1)
	s_mov_b32 s11, exec_lo
	v_cmpx_gt_u32_e64 s9, v35
	s_cbranch_execz .LBB399_189
.LBB399_214:                            ;   in Loop: Header=BB399_180 Depth=2
	s_wait_loadcnt 0x0
	v_add_co_u32 v11, s12, s0, v1
	s_wait_alu 0xf1ff
	v_add_co_ci_u32_e64 v12, null, s1, 0, s12
	global_load_u8 v5, v[11:12], off offset:1280
	s_wait_alu 0xfffe
	s_or_b32 exec_lo, exec_lo, s11
	s_delay_alu instid0(SALU_CYCLE_1)
	s_mov_b32 s11, exec_lo
	v_cmpx_gt_u32_e64 s9, v36
	s_cbranch_execz .LBB399_190
.LBB399_215:                            ;   in Loop: Header=BB399_180 Depth=2
	s_wait_loadcnt 0x0
	v_add_co_u32 v11, s12, s0, v1
	s_wait_alu 0xf1ff
	v_add_co_ci_u32_e64 v12, null, s1, 0, s12
	global_load_u8 v4, v[11:12], off offset:1536
	s_wait_alu 0xfffe
	s_or_b32 exec_lo, exec_lo, s11
	s_delay_alu instid0(SALU_CYCLE_1)
	s_mov_b32 s11, exec_lo
	v_cmpx_gt_u32_e64 s9, v37
	s_cbranch_execnz .LBB399_191
	s_branch .LBB399_192
.LBB399_216:                            ;   in Loop: Header=BB399_12 Depth=1
	v_mov_b32_e32 v2, 0
	s_wait_dscnt 0x0
	s_barrier_signal -1
	s_barrier_wait -1
	global_inv scope:SCOPE_SE
	s_and_saveexec_b32 s0, s2
	s_cbranch_execz .LBB399_218
; %bb.217:                              ;   in Loop: Header=BB399_12 Depth=1
	ds_load_2addr_b64 v[4:7], v40 offset1:1
	s_wait_dscnt 0x0
	v_add_nc_u32_e32 v2, v5, v4
	s_delay_alu instid0(VALU_DEP_1)
	v_add3_u32 v2, v2, v6, v7
.LBB399_218:                            ;   in Loop: Header=BB399_12 Depth=1
	s_wait_alu 0xfffe
	s_or_b32 exec_lo, exec_lo, s0
	s_delay_alu instid0(VALU_DEP_1)
	v_mov_b32_dpp v4, v2 row_shr:1 row_mask:0xf bank_mask:0xf
	v_cmp_eq_u32_e64 s0, 0, v62
	v_cmp_lt_u32_e64 s1, 1, v62
	v_cmp_lt_u32_e64 s9, 3, v62
	;; [unrolled: 1-line block ×3, first 2 shown]
	v_cmp_eq_u32_e64 s11, 0, v64
	s_wait_alu 0xf1ff
	v_cndmask_b32_e64 v4, v4, 0, s0
	s_delay_alu instid0(VALU_DEP_1) | instskip(NEXT) | instid1(VALU_DEP_1)
	v_add_nc_u32_e32 v2, v4, v2
	v_mov_b32_dpp v4, v2 row_shr:2 row_mask:0xf bank_mask:0xf
	s_delay_alu instid0(VALU_DEP_1) | instskip(NEXT) | instid1(VALU_DEP_1)
	v_cndmask_b32_e64 v4, 0, v4, s1
	v_add_nc_u32_e32 v2, v2, v4
	s_delay_alu instid0(VALU_DEP_1) | instskip(NEXT) | instid1(VALU_DEP_1)
	v_mov_b32_dpp v4, v2 row_shr:4 row_mask:0xf bank_mask:0xf
	v_cndmask_b32_e64 v4, 0, v4, s9
	s_delay_alu instid0(VALU_DEP_1) | instskip(NEXT) | instid1(VALU_DEP_1)
	v_add_nc_u32_e32 v2, v2, v4
	v_mov_b32_dpp v4, v2 row_shr:8 row_mask:0xf bank_mask:0xf
	s_delay_alu instid0(VALU_DEP_1) | instskip(NEXT) | instid1(VALU_DEP_1)
	v_cndmask_b32_e64 v4, 0, v4, s10
	v_add_nc_u32_e32 v2, v2, v4
	ds_swizzle_b32 v4, v2 offset:swizzle(BROADCAST,32,15)
	s_wait_dscnt 0x0
	v_and_b32_e32 v4, v63, v4
	s_delay_alu instid0(VALU_DEP_1)
	v_add_nc_u32_e32 v2, v2, v4
	s_and_saveexec_b32 s12, s3
; %bb.219:                              ;   in Loop: Header=BB399_12 Depth=1
	ds_store_b32 v41, v2
; %bb.220:                              ;   in Loop: Header=BB399_12 Depth=1
	s_wait_alu 0xfffe
	s_or_b32 exec_lo, exec_lo, s12
	s_wait_loadcnt_dscnt 0x0
	s_barrier_signal -1
	s_barrier_wait -1
	global_inv scope:SCOPE_SE
	s_and_saveexec_b32 s12, s4
	s_cbranch_execz .LBB399_222
; %bb.221:                              ;   in Loop: Header=BB399_12 Depth=1
	ds_load_b32 v4, v42
	v_cmp_ne_u32_e32 vcc_lo, 0, v65
	s_wait_dscnt 0x0
	v_mov_b32_dpp v5, v4 row_shr:1 row_mask:0xf bank_mask:0xf
	s_wait_alu 0xfffd
	s_delay_alu instid0(VALU_DEP_1) | instskip(SKIP_1) | instid1(VALU_DEP_2)
	v_cndmask_b32_e32 v5, 0, v5, vcc_lo
	v_cmp_lt_u32_e32 vcc_lo, 1, v65
	v_add_nc_u32_e32 v4, v5, v4
	s_delay_alu instid0(VALU_DEP_1) | instskip(SKIP_1) | instid1(VALU_DEP_1)
	v_mov_b32_dpp v5, v4 row_shr:2 row_mask:0xf bank_mask:0xf
	s_wait_alu 0xfffd
	v_cndmask_b32_e32 v5, 0, v5, vcc_lo
	v_cmp_lt_u32_e32 vcc_lo, 3, v65
	s_delay_alu instid0(VALU_DEP_2) | instskip(NEXT) | instid1(VALU_DEP_1)
	v_add_nc_u32_e32 v4, v4, v5
	v_mov_b32_dpp v5, v4 row_shr:4 row_mask:0xf bank_mask:0xf
	s_wait_alu 0xfffd
	s_delay_alu instid0(VALU_DEP_1) | instskip(NEXT) | instid1(VALU_DEP_1)
	v_cndmask_b32_e32 v5, 0, v5, vcc_lo
	v_add_nc_u32_e32 v4, v4, v5
	ds_store_b32 v42, v4
.LBB399_222:                            ;   in Loop: Header=BB399_12 Depth=1
	s_wait_alu 0xfffe
	s_or_b32 exec_lo, exec_lo, s12
	v_mov_b32_e32 v4, 0
	s_wait_loadcnt_dscnt 0x0
	s_barrier_signal -1
	s_barrier_wait -1
	global_inv scope:SCOPE_SE
	s_and_saveexec_b32 s12, s5
; %bb.223:                              ;   in Loop: Header=BB399_12 Depth=1
	ds_load_b32 v4, v43
; %bb.224:                              ;   in Loop: Header=BB399_12 Depth=1
	s_wait_alu 0xfffe
	s_or_b32 exec_lo, exec_lo, s12
	v_cmp_gt_i32_e32 vcc_lo, 0, v67
	s_wait_dscnt 0x0
	v_add_nc_u32_e32 v2, v4, v2
	s_wait_loadcnt 0x0
	s_barrier_signal -1
	s_barrier_wait -1
	s_wait_alu 0xfffd
	v_cndmask_b32_e32 v5, v67, v58, vcc_lo
	global_inv scope:SCOPE_SE
	v_lshlrev_b32_e32 v80, 2, v5
	ds_bpermute_b32 v2, v80, v2
	s_and_saveexec_b32 s12, s2
	s_cbranch_execz .LBB399_226
; %bb.225:                              ;   in Loop: Header=BB399_12 Depth=1
	s_wait_dscnt 0x0
	v_cndmask_b32_e64 v2, v2, v4, s8
	s_delay_alu instid0(VALU_DEP_1)
	v_add_nc_u32_e32 v2, s33, v2
	ds_store_b32 v28, v2
.LBB399_226:                            ;   in Loop: Header=BB399_12 Depth=1
	s_wait_alu 0xfffe
	s_or_b32 exec_lo, exec_lo, s12
	s_load_b64 s[12:13], s[28:29], 0x0
	v_add_co_u32 v81, vcc_lo, v50, v66
	s_wait_alu 0xfffd
	v_add_co_ci_u32_e64 v82, null, 0, v51, vcc_lo
	v_add_co_u32 v83, vcc_lo, v52, v58
	s_wait_alu 0xfffd
	v_add_co_ci_u32_e64 v84, null, 0, v53, vcc_lo
	s_mov_b32 s42, s47
                                        ; implicit-def: $vgpr6_vgpr7
                                        ; implicit-def: $vgpr8_vgpr9
                                        ; implicit-def: $vgpr10_vgpr11
                                        ; implicit-def: $vgpr12_vgpr13
                                        ; implicit-def: $vgpr14_vgpr15
                                        ; implicit-def: $vgpr16_vgpr17
                                        ; implicit-def: $vgpr18_vgpr19
                                        ; implicit-def: $vgpr86
                                        ; implicit-def: $vgpr87
                                        ; implicit-def: $vgpr88
                                        ; implicit-def: $vgpr89
                                        ; implicit-def: $vgpr90
                                        ; implicit-def: $vgpr91
                                        ; implicit-def: $vgpr92
                                        ; implicit-def: $vgpr93
	s_wait_kmcnt 0x0
	s_cmp_lt_u32 ttmp7, s13
	s_cselect_b32 s22, 14, 20
	s_cmp_lt_u32 ttmp9, s12
	s_wait_alu 0xfffe
	s_add_nc_u64 s[14:15], s[28:29], s[22:23]
	s_cselect_b32 s22, 12, 18
	s_load_u16 s14, s[14:15], 0x0
	s_add_nc_u64 s[12:13], s[28:29], s[22:23]
	s_mov_b32 s22, s33
	s_load_u16 s12, s[12:13], 0x0
	v_cmp_lt_u32_e64 s13, 1, v65
	s_wait_dscnt 0x0
	s_wait_kmcnt 0x0
	v_mad_u32_u24 v2, v44, s14, v0
	v_cmp_lt_u32_e64 s14, 3, v65
	s_delay_alu instid0(VALU_DEP_2) | instskip(SKIP_1) | instid1(VALU_DEP_2)
	v_mad_co_u64_u32 v[4:5], null, v2, s12, v[1:2]
	v_cmp_eq_u32_e64 s12, 0, v65
	v_lshrrev_b32_e32 v2, 3, v4
                                        ; implicit-def: $vgpr4_vgpr5
	s_delay_alu instid0(VALU_DEP_1)
	v_and_b32_e32 v85, 0x1ffffffc, v2
	s_branch .LBB399_228
.LBB399_227:                            ;   in Loop: Header=BB399_228 Depth=2
	s_wait_alu 0xfffe
	s_or_b32 exec_lo, exec_lo, s15
	s_addk_co_i32 s42, 0xf800
	s_cmp_lt_u32 s43, s34
	s_mov_b32 s22, s43
	s_cbranch_scc0 .LBB399_340
.LBB399_228:                            ;   Parent Loop BB399_12 Depth=1
                                        ; =>  This Inner Loop Header: Depth=2
	s_wait_alu 0xfffe
	s_add_co_i32 s43, s22, 0x800
	s_wait_alu 0xfffe
	s_cmp_gt_u32 s43, s34
	s_cbranch_scc1 .LBB399_230
; %bb.229:                              ;   in Loop: Header=BB399_228 Depth=2
	v_add_co_u32 v20, vcc_lo, v83, s22
	s_wait_alu 0xfffd
	v_add_co_ci_u32_e64 v21, null, 0, v84, vcc_lo
	s_mov_b32 s15, -1
	s_clause 0x6
	global_load_u8 v23, v[20:21], off offset:192
	global_load_u8 v24, v[20:21], off offset:160
	;; [unrolled: 1-line block ×6, first 2 shown]
	global_load_u8 v94, v[20:21], off
	s_movk_i32 s16, 0x800
                                        ; implicit-def: $vgpr22
	s_cbranch_execz .LBB399_231
	s_branch .LBB399_240
.LBB399_230:                            ;   in Loop: Header=BB399_228 Depth=2
	s_mov_b32 s15, 0
                                        ; implicit-def: $vgpr94
                                        ; implicit-def: $vgpr96
                                        ; implicit-def: $vgpr27
                                        ; implicit-def: $vgpr26
                                        ; implicit-def: $vgpr25
                                        ; implicit-def: $vgpr24
                                        ; implicit-def: $vgpr23
	s_movk_i32 s16, 0x800
                                        ; implicit-def: $vgpr22
.LBB399_231:                            ;   in Loop: Header=BB399_228 Depth=2
	v_add_co_u32 v20, vcc_lo, v83, s22
	s_wait_alu 0xfffd
	v_add_co_ci_u32_e64 v21, null, 0, v84, vcc_lo
	s_wait_loadcnt 0x2
	v_dual_mov_b32 v22, 0x7f :: v_dual_mov_b32 v27, 0x7f
	s_wait_loadcnt 0x0
	v_dual_mov_b32 v94, 0x7f :: v_dual_mov_b32 v25, 0x7f
	v_dual_mov_b32 v96, 0x7f :: v_dual_mov_b32 v23, 0x7f
	v_mov_b32_e32 v26, 0x7f
	v_mov_b32_e32 v24, 0x7f
	s_mov_b32 s15, exec_lo
	v_cmpx_gt_u32_e64 s42, v68
	s_cbranch_execnz .LBB399_334
; %bb.232:                              ;   in Loop: Header=BB399_228 Depth=2
	s_wait_alu 0xfffe
	s_or_b32 exec_lo, exec_lo, s15
	s_delay_alu instid0(SALU_CYCLE_1)
	s_mov_b32 s15, exec_lo
	v_cmpx_gt_u32_e64 s42, v71
	s_cbranch_execnz .LBB399_335
.LBB399_233:                            ;   in Loop: Header=BB399_228 Depth=2
	s_wait_alu 0xfffe
	s_or_b32 exec_lo, exec_lo, s15
	s_delay_alu instid0(SALU_CYCLE_1)
	s_mov_b32 s15, exec_lo
	v_cmpx_gt_u32_e64 s42, v72
	s_cbranch_execnz .LBB399_336
.LBB399_234:                            ;   in Loop: Header=BB399_228 Depth=2
	s_wait_alu 0xfffe
	s_or_b32 exec_lo, exec_lo, s15
	s_delay_alu instid0(SALU_CYCLE_1)
	s_mov_b32 s15, exec_lo
	v_cmpx_gt_u32_e64 s42, v73
	s_cbranch_execnz .LBB399_337
.LBB399_235:                            ;   in Loop: Header=BB399_228 Depth=2
	s_wait_alu 0xfffe
	s_or_b32 exec_lo, exec_lo, s15
	s_delay_alu instid0(SALU_CYCLE_1)
	s_mov_b32 s15, exec_lo
	v_cmpx_gt_u32_e64 s42, v74
	s_cbranch_execnz .LBB399_338
.LBB399_236:                            ;   in Loop: Header=BB399_228 Depth=2
	s_wait_alu 0xfffe
	s_or_b32 exec_lo, exec_lo, s15
	s_delay_alu instid0(SALU_CYCLE_1)
	s_mov_b32 s15, exec_lo
	v_cmpx_gt_u32_e64 s42, v75
	s_cbranch_execnz .LBB399_339
.LBB399_237:                            ;   in Loop: Header=BB399_228 Depth=2
	s_wait_alu 0xfffe
	s_or_b32 exec_lo, exec_lo, s15
	s_delay_alu instid0(SALU_CYCLE_1)
	s_mov_b32 s15, exec_lo
	v_cmpx_gt_u32_e64 s42, v76
	s_cbranch_execz .LBB399_239
.LBB399_238:                            ;   in Loop: Header=BB399_228 Depth=2
	global_load_u8 v23, v[20:21], off offset:192
.LBB399_239:                            ;   in Loop: Header=BB399_228 Depth=2
	s_wait_alu 0xfffe
	s_or_b32 exec_lo, exec_lo, s15
	v_cmp_gt_u32_e64 s15, s42, v77
	s_sub_co_i32 s16, s34, s22
.LBB399_240:                            ;   in Loop: Header=BB399_228 Depth=2
	v_mov_b32_e32 v2, s42
	s_wait_alu 0xfffe
	s_and_saveexec_b32 s17, s15
	s_cbranch_execz .LBB399_242
; %bb.241:                              ;   in Loop: Header=BB399_228 Depth=2
	v_add_co_u32 v20, vcc_lo, v83, s22
	s_wait_alu 0xfffd
	v_add_co_ci_u32_e64 v21, null, s23, v84, vcc_lo
	v_mov_b32_e32 v2, s16
	global_load_u8 v22, v[20:21], off offset:224
.LBB399_242:                            ;   in Loop: Header=BB399_228 Depth=2
	s_wait_alu 0xfffe
	s_or_b32 exec_lo, exec_lo, s17
	s_wait_loadcnt 0x0
	v_xor_b32_e32 v94, 0xffffff80, v94
	s_delay_alu instid0(VALU_DEP_1) | instskip(NEXT) | instid1(VALU_DEP_1)
	v_and_b32_e32 v20, 0xff, v94
	v_lshrrev_b32_e32 v20, s30, v20
	s_delay_alu instid0(VALU_DEP_1) | instskip(NEXT) | instid1(VALU_DEP_1)
	v_and_b32_e32 v21, s31, v20
	v_and_b32_e32 v20, 1, v21
	v_lshlrev_b32_e32 v95, 30, v21
	v_lshlrev_b32_e32 v97, 29, v21
	;; [unrolled: 1-line block ×4, first 2 shown]
	v_add_co_u32 v20, s15, v20, -1
	s_wait_alu 0xf1ff
	v_cndmask_b32_e64 v99, 0, 1, s15
	v_not_b32_e32 v103, v95
	v_cmp_gt_i32_e64 s15, 0, v95
	v_not_b32_e32 v95, v97
	v_lshlrev_b32_e32 v101, 26, v21
	v_cmp_ne_u32_e32 vcc_lo, 0, v99
	v_ashrrev_i32_e32 v103, 31, v103
	v_lshlrev_b32_e32 v102, 25, v21
	v_ashrrev_i32_e32 v95, 31, v95
	v_lshlrev_b32_e32 v99, 24, v21
	s_wait_alu 0xfffd
	v_xor_b32_e32 v20, vcc_lo, v20
	v_cmp_gt_i32_e32 vcc_lo, 0, v97
	v_not_b32_e32 v97, v98
	s_wait_alu 0xf1ff
	v_xor_b32_e32 v103, s15, v103
	v_cmp_gt_i32_e64 s15, 0, v98
	v_and_b32_e32 v20, exec_lo, v20
	v_not_b32_e32 v98, v100
	v_ashrrev_i32_e32 v97, 31, v97
	s_wait_alu 0xfffd
	v_xor_b32_e32 v95, vcc_lo, v95
	v_cmp_gt_i32_e32 vcc_lo, 0, v100
	v_and_b32_e32 v20, v20, v103
	v_not_b32_e32 v100, v101
	v_ashrrev_i32_e32 v98, 31, v98
	s_wait_alu 0xf1ff
	v_xor_b32_e32 v97, s15, v97
	v_cmp_gt_i32_e64 s15, 0, v101
	v_and_b32_e32 v20, v20, v95
	v_not_b32_e32 v95, v102
	v_ashrrev_i32_e32 v100, 31, v100
	s_wait_alu 0xfffd
	v_xor_b32_e32 v98, vcc_lo, v98
	v_cmp_gt_i32_e32 vcc_lo, 0, v102
	v_and_b32_e32 v20, v20, v97
	v_not_b32_e32 v97, v99
	v_ashrrev_i32_e32 v95, 31, v95
	s_wait_alu 0xf1ff
	v_xor_b32_e32 v100, s15, v100
	v_cmp_gt_i32_e64 s15, 0, v99
	v_and_b32_e32 v20, v20, v98
	v_ashrrev_i32_e32 v97, 31, v97
	s_wait_alu 0xfffd
	v_xor_b32_e32 v95, vcc_lo, v95
	v_mul_u32_u24_e32 v21, 36, v21
	v_add_nc_u32_e32 v99, 0x428, v45
	v_and_b32_e32 v20, v20, v100
	s_wait_alu 0xf1ff
	v_xor_b32_e32 v98, s15, v97
	v_add_nc_u32_e32 v97, 0x438, v45
	v_add_nc_u32_e32 v100, 0x430, v45
	;; [unrolled: 1-line block ×3, first 2 shown]
	v_and_b32_e32 v20, v20, v95
	ds_store_2addr_b32 v97, v3, v3 offset1:1
	v_and_b32_e32 v20, v20, v98
	v_add_nc_u32_e32 v98, 0x420, v45
	ds_store_2addr_b32 v98, v3, v3 offset1:1
	ds_store_2addr_b32 v99, v3, v3 offset1:1
	;; [unrolled: 1-line block ×3, first 2 shown]
	ds_store_b32 v45, v3 offset:1088
	v_mbcnt_lo_u32_b32 v95, v20, 0
	v_cmp_ne_u32_e64 s15, 0, v20
	s_wait_dscnt 0x0
	s_barrier_signal -1
	s_barrier_wait -1
	v_cmp_eq_u32_e32 vcc_lo, 0, v95
	global_inv scope:SCOPE_SE
	; wave barrier
	s_and_b32 s16, s15, vcc_lo
	s_wait_alu 0xfffe
	s_and_saveexec_b32 s15, s16
; %bb.243:                              ;   in Loop: Header=BB399_228 Depth=2
	v_bcnt_u32_b32 v20, v20, 0
	ds_store_b32 v101, v20 offset:1056
; %bb.244:                              ;   in Loop: Header=BB399_228 Depth=2
	s_wait_alu 0xfffe
	s_or_b32 exec_lo, exec_lo, s15
	v_xor_b32_e32 v96, 0xffffff80, v96
	; wave barrier
	s_delay_alu instid0(VALU_DEP_1) | instskip(NEXT) | instid1(VALU_DEP_1)
	v_and_b32_e32 v20, 0xff, v96
	v_lshrrev_b32_e32 v20, s30, v20
	s_delay_alu instid0(VALU_DEP_1) | instskip(NEXT) | instid1(VALU_DEP_1)
	v_and_b32_e32 v21, s31, v20
	v_and_b32_e32 v20, 1, v21
	v_lshlrev_b32_e32 v102, 30, v21
	v_lshlrev_b32_e32 v103, 29, v21
	;; [unrolled: 1-line block ×4, first 2 shown]
	v_add_co_u32 v20, s15, v20, -1
	s_wait_alu 0xf1ff
	v_cndmask_b32_e64 v105, 0, 1, s15
	v_not_b32_e32 v109, v102
	v_cmp_gt_i32_e64 s15, 0, v102
	v_not_b32_e32 v102, v103
	v_lshlrev_b32_e32 v107, 26, v21
	v_cmp_ne_u32_e32 vcc_lo, 0, v105
	v_ashrrev_i32_e32 v109, 31, v109
	v_lshlrev_b32_e32 v108, 25, v21
	v_ashrrev_i32_e32 v102, 31, v102
	v_lshlrev_b32_e32 v105, 24, v21
	s_wait_alu 0xfffd
	v_xor_b32_e32 v20, vcc_lo, v20
	v_cmp_gt_i32_e32 vcc_lo, 0, v103
	v_not_b32_e32 v103, v104
	s_wait_alu 0xf1ff
	v_xor_b32_e32 v109, s15, v109
	v_cmp_gt_i32_e64 s15, 0, v104
	v_and_b32_e32 v20, exec_lo, v20
	v_not_b32_e32 v104, v106
	v_ashrrev_i32_e32 v103, 31, v103
	s_wait_alu 0xfffd
	v_xor_b32_e32 v102, vcc_lo, v102
	v_cmp_gt_i32_e32 vcc_lo, 0, v106
	v_and_b32_e32 v20, v20, v109
	v_not_b32_e32 v106, v107
	v_ashrrev_i32_e32 v104, 31, v104
	s_wait_alu 0xf1ff
	v_xor_b32_e32 v103, s15, v103
	v_cmp_gt_i32_e64 s15, 0, v107
	v_and_b32_e32 v20, v20, v102
	v_not_b32_e32 v102, v108
	v_ashrrev_i32_e32 v106, 31, v106
	s_wait_alu 0xfffd
	v_xor_b32_e32 v104, vcc_lo, v104
	v_cmp_gt_i32_e32 vcc_lo, 0, v108
	v_and_b32_e32 v20, v20, v103
	v_not_b32_e32 v103, v105
	v_ashrrev_i32_e32 v102, 31, v102
	s_wait_alu 0xf1ff
	v_xor_b32_e32 v106, s15, v106
	v_cmp_gt_i32_e64 s15, 0, v105
	v_and_b32_e32 v20, v20, v104
	v_ashrrev_i32_e32 v103, 31, v103
	s_wait_alu 0xfffd
	v_xor_b32_e32 v102, vcc_lo, v102
	v_mad_u32_u24 v104, v21, 36, v85
	v_mul_u32_u24_e32 v21, 36, v21
	v_and_b32_e32 v20, v20, v106
	s_wait_alu 0xf1ff
	v_xor_b32_e32 v103, s15, v103
	s_delay_alu instid0(VALU_DEP_3) | instskip(NEXT) | instid1(VALU_DEP_3)
	v_add_nc_u32_e32 v105, v85, v21
	v_and_b32_e32 v20, v20, v102
	ds_load_b32 v102, v104 offset:1056
	; wave barrier
	v_and_b32_e32 v20, v20, v103
	s_delay_alu instid0(VALU_DEP_1) | instskip(SKIP_1) | instid1(VALU_DEP_2)
	v_mbcnt_lo_u32_b32 v103, v20, 0
	v_cmp_ne_u32_e64 s15, 0, v20
	v_cmp_eq_u32_e32 vcc_lo, 0, v103
	s_and_b32 s16, s15, vcc_lo
	s_wait_alu 0xfffe
	s_and_saveexec_b32 s15, s16
	s_cbranch_execz .LBB399_246
; %bb.245:                              ;   in Loop: Header=BB399_228 Depth=2
	s_wait_dscnt 0x0
	v_bcnt_u32_b32 v20, v20, v102
	ds_store_b32 v105, v20 offset:1056
.LBB399_246:                            ;   in Loop: Header=BB399_228 Depth=2
	s_wait_alu 0xfffe
	s_or_b32 exec_lo, exec_lo, s15
	v_xor_b32_e32 v104, 0xffffff80, v27
	; wave barrier
	s_delay_alu instid0(VALU_DEP_1) | instskip(NEXT) | instid1(VALU_DEP_1)
	v_and_b32_e32 v20, 0xff, v104
	v_lshrrev_b32_e32 v20, s30, v20
	s_delay_alu instid0(VALU_DEP_1) | instskip(NEXT) | instid1(VALU_DEP_1)
	v_and_b32_e32 v21, s31, v20
	v_and_b32_e32 v20, 1, v21
	v_lshlrev_b32_e32 v27, 30, v21
	v_lshlrev_b32_e32 v106, 29, v21
	;; [unrolled: 1-line block ×4, first 2 shown]
	v_add_co_u32 v20, s15, v20, -1
	s_wait_alu 0xf1ff
	v_cndmask_b32_e64 v108, 0, 1, s15
	v_not_b32_e32 v112, v27
	v_cmp_gt_i32_e64 s15, 0, v27
	v_not_b32_e32 v27, v106
	v_lshlrev_b32_e32 v110, 26, v21
	v_cmp_ne_u32_e32 vcc_lo, 0, v108
	v_ashrrev_i32_e32 v112, 31, v112
	v_lshlrev_b32_e32 v111, 25, v21
	v_ashrrev_i32_e32 v27, 31, v27
	v_lshlrev_b32_e32 v108, 24, v21
	s_wait_alu 0xfffd
	v_xor_b32_e32 v20, vcc_lo, v20
	v_cmp_gt_i32_e32 vcc_lo, 0, v106
	v_not_b32_e32 v106, v107
	s_wait_alu 0xf1ff
	v_xor_b32_e32 v112, s15, v112
	v_cmp_gt_i32_e64 s15, 0, v107
	v_and_b32_e32 v20, exec_lo, v20
	v_not_b32_e32 v107, v109
	v_ashrrev_i32_e32 v106, 31, v106
	s_wait_alu 0xfffd
	v_xor_b32_e32 v27, vcc_lo, v27
	v_cmp_gt_i32_e32 vcc_lo, 0, v109
	v_and_b32_e32 v20, v20, v112
	v_not_b32_e32 v109, v110
	v_ashrrev_i32_e32 v107, 31, v107
	s_wait_alu 0xf1ff
	v_xor_b32_e32 v106, s15, v106
	v_cmp_gt_i32_e64 s15, 0, v110
	v_and_b32_e32 v20, v20, v27
	v_not_b32_e32 v27, v111
	v_ashrrev_i32_e32 v109, 31, v109
	s_wait_alu 0xfffd
	v_xor_b32_e32 v107, vcc_lo, v107
	v_cmp_gt_i32_e32 vcc_lo, 0, v111
	v_and_b32_e32 v20, v20, v106
	v_not_b32_e32 v106, v108
	v_ashrrev_i32_e32 v27, 31, v27
	s_wait_alu 0xf1ff
	v_xor_b32_e32 v109, s15, v109
	v_cmp_gt_i32_e64 s15, 0, v108
	v_and_b32_e32 v20, v20, v107
	v_ashrrev_i32_e32 v106, 31, v106
	s_wait_alu 0xfffd
	v_xor_b32_e32 v27, vcc_lo, v27
	v_mad_u32_u24 v107, v21, 36, v85
	v_mul_u32_u24_e32 v21, 36, v21
	v_and_b32_e32 v20, v20, v109
	s_wait_alu 0xf1ff
	v_xor_b32_e32 v108, s15, v106
	ds_load_b32 v106, v107 offset:1056
	v_add_nc_u32_e32 v109, v85, v21
	v_and_b32_e32 v20, v20, v27
	; wave barrier
	s_delay_alu instid0(VALU_DEP_1) | instskip(NEXT) | instid1(VALU_DEP_1)
	v_and_b32_e32 v20, v20, v108
	v_mbcnt_lo_u32_b32 v107, v20, 0
	v_cmp_ne_u32_e64 s15, 0, v20
	s_delay_alu instid0(VALU_DEP_2)
	v_cmp_eq_u32_e32 vcc_lo, 0, v107
	s_and_b32 s16, s15, vcc_lo
	s_wait_alu 0xfffe
	s_and_saveexec_b32 s15, s16
	s_cbranch_execz .LBB399_248
; %bb.247:                              ;   in Loop: Header=BB399_228 Depth=2
	s_wait_dscnt 0x0
	v_bcnt_u32_b32 v20, v20, v106
	ds_store_b32 v109, v20 offset:1056
.LBB399_248:                            ;   in Loop: Header=BB399_228 Depth=2
	s_wait_alu 0xfffe
	s_or_b32 exec_lo, exec_lo, s15
	v_xor_b32_e32 v108, 0xffffff80, v26
	; wave barrier
	s_delay_alu instid0(VALU_DEP_1) | instskip(NEXT) | instid1(VALU_DEP_1)
	v_and_b32_e32 v20, 0xff, v108
	v_lshrrev_b32_e32 v20, s30, v20
	s_delay_alu instid0(VALU_DEP_1) | instskip(NEXT) | instid1(VALU_DEP_1)
	v_and_b32_e32 v21, s31, v20
	v_and_b32_e32 v20, 1, v21
	v_lshlrev_b32_e32 v26, 30, v21
	v_lshlrev_b32_e32 v27, 29, v21
	;; [unrolled: 1-line block ×4, first 2 shown]
	v_add_co_u32 v20, s15, v20, -1
	s_wait_alu 0xf1ff
	v_cndmask_b32_e64 v111, 0, 1, s15
	v_not_b32_e32 v115, v26
	v_cmp_gt_i32_e64 s15, 0, v26
	v_not_b32_e32 v26, v27
	v_lshlrev_b32_e32 v113, 26, v21
	v_cmp_ne_u32_e32 vcc_lo, 0, v111
	v_ashrrev_i32_e32 v115, 31, v115
	v_lshlrev_b32_e32 v114, 25, v21
	v_ashrrev_i32_e32 v26, 31, v26
	v_lshlrev_b32_e32 v111, 24, v21
	s_wait_alu 0xfffd
	v_xor_b32_e32 v20, vcc_lo, v20
	v_cmp_gt_i32_e32 vcc_lo, 0, v27
	v_not_b32_e32 v27, v110
	s_wait_alu 0xf1ff
	v_xor_b32_e32 v115, s15, v115
	v_cmp_gt_i32_e64 s15, 0, v110
	v_and_b32_e32 v20, exec_lo, v20
	v_not_b32_e32 v110, v112
	v_ashrrev_i32_e32 v27, 31, v27
	s_wait_alu 0xfffd
	v_xor_b32_e32 v26, vcc_lo, v26
	v_cmp_gt_i32_e32 vcc_lo, 0, v112
	v_and_b32_e32 v20, v20, v115
	v_not_b32_e32 v112, v113
	v_ashrrev_i32_e32 v110, 31, v110
	s_wait_alu 0xf1ff
	v_xor_b32_e32 v27, s15, v27
	v_cmp_gt_i32_e64 s15, 0, v113
	v_and_b32_e32 v20, v20, v26
	v_not_b32_e32 v26, v114
	v_ashrrev_i32_e32 v112, 31, v112
	s_wait_alu 0xfffd
	v_xor_b32_e32 v110, vcc_lo, v110
	v_cmp_gt_i32_e32 vcc_lo, 0, v114
	v_and_b32_e32 v20, v20, v27
	v_not_b32_e32 v27, v111
	v_ashrrev_i32_e32 v26, 31, v26
	s_wait_alu 0xf1ff
	v_xor_b32_e32 v112, s15, v112
	v_cmp_gt_i32_e64 s15, 0, v111
	v_and_b32_e32 v20, v20, v110
	v_ashrrev_i32_e32 v27, 31, v27
	s_wait_alu 0xfffd
	v_xor_b32_e32 v26, vcc_lo, v26
	v_mad_u32_u24 v110, v21, 36, v85
	v_mul_u32_u24_e32 v21, 36, v21
	v_and_b32_e32 v20, v20, v112
	s_wait_alu 0xf1ff
	v_xor_b32_e32 v27, s15, v27
	ds_load_b32 v110, v110 offset:1056
	v_add_nc_u32_e32 v113, v85, v21
	v_and_b32_e32 v20, v20, v26
	; wave barrier
	s_delay_alu instid0(VALU_DEP_1) | instskip(NEXT) | instid1(VALU_DEP_1)
	v_and_b32_e32 v20, v20, v27
	v_mbcnt_lo_u32_b32 v111, v20, 0
	v_cmp_ne_u32_e64 s15, 0, v20
	s_delay_alu instid0(VALU_DEP_2)
	v_cmp_eq_u32_e32 vcc_lo, 0, v111
	s_and_b32 s16, s15, vcc_lo
	s_wait_alu 0xfffe
	s_and_saveexec_b32 s15, s16
	s_cbranch_execz .LBB399_250
; %bb.249:                              ;   in Loop: Header=BB399_228 Depth=2
	s_wait_dscnt 0x0
	v_bcnt_u32_b32 v20, v20, v110
	ds_store_b32 v113, v20 offset:1056
.LBB399_250:                            ;   in Loop: Header=BB399_228 Depth=2
	s_wait_alu 0xfffe
	s_or_b32 exec_lo, exec_lo, s15
	v_xor_b32_e32 v112, 0xffffff80, v25
	; wave barrier
	s_delay_alu instid0(VALU_DEP_1) | instskip(NEXT) | instid1(VALU_DEP_1)
	v_and_b32_e32 v20, 0xff, v112
	v_lshrrev_b32_e32 v20, s30, v20
	s_delay_alu instid0(VALU_DEP_1) | instskip(NEXT) | instid1(VALU_DEP_1)
	v_and_b32_e32 v21, s31, v20
	v_and_b32_e32 v20, 1, v21
	v_lshlrev_b32_e32 v25, 30, v21
	v_lshlrev_b32_e32 v26, 29, v21
	;; [unrolled: 1-line block ×4, first 2 shown]
	v_add_co_u32 v20, s15, v20, -1
	s_wait_alu 0xf1ff
	v_cndmask_b32_e64 v114, 0, 1, s15
	v_not_b32_e32 v118, v25
	v_cmp_gt_i32_e64 s15, 0, v25
	v_not_b32_e32 v25, v26
	v_lshlrev_b32_e32 v116, 26, v21
	v_cmp_ne_u32_e32 vcc_lo, 0, v114
	v_ashrrev_i32_e32 v118, 31, v118
	v_lshlrev_b32_e32 v117, 25, v21
	v_ashrrev_i32_e32 v25, 31, v25
	v_lshlrev_b32_e32 v114, 24, v21
	s_wait_alu 0xfffd
	v_xor_b32_e32 v20, vcc_lo, v20
	v_cmp_gt_i32_e32 vcc_lo, 0, v26
	v_not_b32_e32 v26, v27
	s_wait_alu 0xf1ff
	v_xor_b32_e32 v118, s15, v118
	v_cmp_gt_i32_e64 s15, 0, v27
	v_and_b32_e32 v20, exec_lo, v20
	v_not_b32_e32 v27, v115
	v_ashrrev_i32_e32 v26, 31, v26
	s_wait_alu 0xfffd
	v_xor_b32_e32 v25, vcc_lo, v25
	v_cmp_gt_i32_e32 vcc_lo, 0, v115
	v_and_b32_e32 v20, v20, v118
	v_not_b32_e32 v115, v116
	v_ashrrev_i32_e32 v27, 31, v27
	s_wait_alu 0xf1ff
	v_xor_b32_e32 v26, s15, v26
	v_cmp_gt_i32_e64 s15, 0, v116
	v_and_b32_e32 v20, v20, v25
	v_not_b32_e32 v25, v117
	v_ashrrev_i32_e32 v115, 31, v115
	s_wait_alu 0xfffd
	v_xor_b32_e32 v27, vcc_lo, v27
	v_cmp_gt_i32_e32 vcc_lo, 0, v117
	v_and_b32_e32 v20, v20, v26
	v_not_b32_e32 v26, v114
	v_ashrrev_i32_e32 v25, 31, v25
	s_wait_alu 0xf1ff
	v_xor_b32_e32 v115, s15, v115
	v_cmp_gt_i32_e64 s15, 0, v114
	v_and_b32_e32 v20, v20, v27
	v_ashrrev_i32_e32 v26, 31, v26
	s_wait_alu 0xfffd
	v_xor_b32_e32 v25, vcc_lo, v25
	v_mad_u32_u24 v27, v21, 36, v85
	v_mul_u32_u24_e32 v21, 36, v21
	v_and_b32_e32 v20, v20, v115
	s_wait_alu 0xf1ff
	v_xor_b32_e32 v26, s15, v26
	ds_load_b32 v114, v27 offset:1056
	v_add_nc_u32_e32 v117, v85, v21
	v_and_b32_e32 v20, v20, v25
	; wave barrier
	s_delay_alu instid0(VALU_DEP_1) | instskip(NEXT) | instid1(VALU_DEP_1)
	v_and_b32_e32 v20, v20, v26
	v_mbcnt_lo_u32_b32 v115, v20, 0
	v_cmp_ne_u32_e64 s15, 0, v20
	s_delay_alu instid0(VALU_DEP_2)
	v_cmp_eq_u32_e32 vcc_lo, 0, v115
	s_and_b32 s16, s15, vcc_lo
	s_wait_alu 0xfffe
	s_and_saveexec_b32 s15, s16
	s_cbranch_execz .LBB399_252
; %bb.251:                              ;   in Loop: Header=BB399_228 Depth=2
	s_wait_dscnt 0x0
	v_bcnt_u32_b32 v20, v20, v114
	ds_store_b32 v117, v20 offset:1056
.LBB399_252:                            ;   in Loop: Header=BB399_228 Depth=2
	s_wait_alu 0xfffe
	s_or_b32 exec_lo, exec_lo, s15
	v_xor_b32_e32 v116, 0xffffff80, v24
	; wave barrier
	s_delay_alu instid0(VALU_DEP_1) | instskip(NEXT) | instid1(VALU_DEP_1)
	v_and_b32_e32 v20, 0xff, v116
	v_lshrrev_b32_e32 v20, s30, v20
	s_delay_alu instid0(VALU_DEP_1) | instskip(NEXT) | instid1(VALU_DEP_1)
	v_and_b32_e32 v21, s31, v20
	v_and_b32_e32 v20, 1, v21
	v_lshlrev_b32_e32 v24, 30, v21
	v_lshlrev_b32_e32 v25, 29, v21
	;; [unrolled: 1-line block ×4, first 2 shown]
	v_add_co_u32 v20, s15, v20, -1
	s_wait_alu 0xf1ff
	v_cndmask_b32_e64 v27, 0, 1, s15
	v_not_b32_e32 v121, v24
	v_cmp_gt_i32_e64 s15, 0, v24
	v_not_b32_e32 v24, v25
	v_lshlrev_b32_e32 v119, 26, v21
	v_cmp_ne_u32_e32 vcc_lo, 0, v27
	v_ashrrev_i32_e32 v121, 31, v121
	v_lshlrev_b32_e32 v120, 25, v21
	v_ashrrev_i32_e32 v24, 31, v24
	v_lshlrev_b32_e32 v27, 24, v21
	s_wait_alu 0xfffd
	v_xor_b32_e32 v20, vcc_lo, v20
	v_cmp_gt_i32_e32 vcc_lo, 0, v25
	v_not_b32_e32 v25, v26
	s_wait_alu 0xf1ff
	v_xor_b32_e32 v121, s15, v121
	v_cmp_gt_i32_e64 s15, 0, v26
	v_and_b32_e32 v20, exec_lo, v20
	v_not_b32_e32 v26, v118
	v_ashrrev_i32_e32 v25, 31, v25
	s_wait_alu 0xfffd
	v_xor_b32_e32 v24, vcc_lo, v24
	v_cmp_gt_i32_e32 vcc_lo, 0, v118
	v_and_b32_e32 v20, v20, v121
	v_not_b32_e32 v118, v119
	v_ashrrev_i32_e32 v26, 31, v26
	s_wait_alu 0xf1ff
	v_xor_b32_e32 v25, s15, v25
	v_cmp_gt_i32_e64 s15, 0, v119
	v_and_b32_e32 v20, v20, v24
	v_not_b32_e32 v24, v120
	v_ashrrev_i32_e32 v118, 31, v118
	s_wait_alu 0xfffd
	v_xor_b32_e32 v26, vcc_lo, v26
	v_cmp_gt_i32_e32 vcc_lo, 0, v120
	v_and_b32_e32 v20, v20, v25
	v_not_b32_e32 v25, v27
	v_ashrrev_i32_e32 v24, 31, v24
	s_wait_alu 0xf1ff
	v_xor_b32_e32 v118, s15, v118
	v_cmp_gt_i32_e64 s15, 0, v27
	v_and_b32_e32 v20, v20, v26
	v_ashrrev_i32_e32 v25, 31, v25
	s_wait_alu 0xfffd
	v_xor_b32_e32 v24, vcc_lo, v24
	v_mad_u32_u24 v26, v21, 36, v85
	v_mul_u32_u24_e32 v21, 36, v21
	v_and_b32_e32 v20, v20, v118
	s_wait_alu 0xf1ff
	v_xor_b32_e32 v25, s15, v25
	ds_load_b32 v118, v26 offset:1056
	v_add_nc_u32_e32 v121, v85, v21
	v_and_b32_e32 v20, v20, v24
	; wave barrier
	s_delay_alu instid0(VALU_DEP_1) | instskip(NEXT) | instid1(VALU_DEP_1)
	v_and_b32_e32 v20, v20, v25
	v_mbcnt_lo_u32_b32 v119, v20, 0
	v_cmp_ne_u32_e64 s15, 0, v20
	s_delay_alu instid0(VALU_DEP_2)
	v_cmp_eq_u32_e32 vcc_lo, 0, v119
	s_and_b32 s16, s15, vcc_lo
	s_wait_alu 0xfffe
	s_and_saveexec_b32 s15, s16
	s_cbranch_execz .LBB399_254
; %bb.253:                              ;   in Loop: Header=BB399_228 Depth=2
	s_wait_dscnt 0x0
	v_bcnt_u32_b32 v20, v20, v118
	ds_store_b32 v121, v20 offset:1056
.LBB399_254:                            ;   in Loop: Header=BB399_228 Depth=2
	s_wait_alu 0xfffe
	s_or_b32 exec_lo, exec_lo, s15
	v_xor_b32_e32 v120, 0xffffff80, v23
	; wave barrier
	s_delay_alu instid0(VALU_DEP_1) | instskip(NEXT) | instid1(VALU_DEP_1)
	v_and_b32_e32 v20, 0xff, v120
	v_lshrrev_b32_e32 v20, s30, v20
	s_delay_alu instid0(VALU_DEP_1) | instskip(NEXT) | instid1(VALU_DEP_1)
	v_and_b32_e32 v21, s31, v20
	v_and_b32_e32 v20, 1, v21
	v_lshlrev_b32_e32 v23, 30, v21
	v_lshlrev_b32_e32 v24, 29, v21
	;; [unrolled: 1-line block ×4, first 2 shown]
	v_add_co_u32 v20, s15, v20, -1
	s_wait_alu 0xf1ff
	v_cndmask_b32_e64 v26, 0, 1, s15
	v_not_b32_e32 v124, v23
	v_cmp_gt_i32_e64 s15, 0, v23
	v_not_b32_e32 v23, v24
	v_lshlrev_b32_e32 v122, 26, v21
	v_cmp_ne_u32_e32 vcc_lo, 0, v26
	v_ashrrev_i32_e32 v124, 31, v124
	v_lshlrev_b32_e32 v123, 25, v21
	v_ashrrev_i32_e32 v23, 31, v23
	v_lshlrev_b32_e32 v26, 24, v21
	s_wait_alu 0xfffd
	v_xor_b32_e32 v20, vcc_lo, v20
	v_cmp_gt_i32_e32 vcc_lo, 0, v24
	v_not_b32_e32 v24, v25
	s_wait_alu 0xf1ff
	v_xor_b32_e32 v124, s15, v124
	v_cmp_gt_i32_e64 s15, 0, v25
	v_and_b32_e32 v20, exec_lo, v20
	v_not_b32_e32 v25, v27
	v_ashrrev_i32_e32 v24, 31, v24
	s_wait_alu 0xfffd
	v_xor_b32_e32 v23, vcc_lo, v23
	v_cmp_gt_i32_e32 vcc_lo, 0, v27
	v_and_b32_e32 v20, v20, v124
	v_not_b32_e32 v27, v122
	v_ashrrev_i32_e32 v25, 31, v25
	s_wait_alu 0xf1ff
	v_xor_b32_e32 v24, s15, v24
	v_cmp_gt_i32_e64 s15, 0, v122
	v_and_b32_e32 v20, v20, v23
	v_not_b32_e32 v23, v123
	v_ashrrev_i32_e32 v27, 31, v27
	s_wait_alu 0xfffd
	v_xor_b32_e32 v25, vcc_lo, v25
	v_cmp_gt_i32_e32 vcc_lo, 0, v123
	v_and_b32_e32 v20, v20, v24
	v_not_b32_e32 v24, v26
	v_ashrrev_i32_e32 v23, 31, v23
	s_wait_alu 0xf1ff
	v_xor_b32_e32 v27, s15, v27
	v_cmp_gt_i32_e64 s15, 0, v26
	v_and_b32_e32 v20, v20, v25
	v_ashrrev_i32_e32 v24, 31, v24
	s_wait_alu 0xfffd
	v_xor_b32_e32 v23, vcc_lo, v23
	v_mad_u32_u24 v25, v21, 36, v85
	v_mul_u32_u24_e32 v21, 36, v21
	v_and_b32_e32 v20, v20, v27
	s_wait_alu 0xf1ff
	v_xor_b32_e32 v24, s15, v24
	ds_load_b32 v122, v25 offset:1056
	v_add_nc_u32_e32 v125, v85, v21
	v_and_b32_e32 v20, v20, v23
	; wave barrier
	s_delay_alu instid0(VALU_DEP_1) | instskip(NEXT) | instid1(VALU_DEP_1)
	v_and_b32_e32 v20, v20, v24
	v_mbcnt_lo_u32_b32 v123, v20, 0
	v_cmp_ne_u32_e64 s15, 0, v20
	s_delay_alu instid0(VALU_DEP_2)
	v_cmp_eq_u32_e32 vcc_lo, 0, v123
	s_and_b32 s16, s15, vcc_lo
	s_wait_alu 0xfffe
	s_and_saveexec_b32 s15, s16
	s_cbranch_execz .LBB399_256
; %bb.255:                              ;   in Loop: Header=BB399_228 Depth=2
	s_wait_dscnt 0x0
	v_bcnt_u32_b32 v20, v20, v122
	ds_store_b32 v125, v20 offset:1056
.LBB399_256:                            ;   in Loop: Header=BB399_228 Depth=2
	s_wait_alu 0xfffe
	s_or_b32 exec_lo, exec_lo, s15
	v_xor_b32_e32 v124, 0xffffff80, v22
	; wave barrier
	s_delay_alu instid0(VALU_DEP_1) | instskip(NEXT) | instid1(VALU_DEP_1)
	v_and_b32_e32 v20, 0xff, v124
	v_lshrrev_b32_e32 v20, s30, v20
	s_delay_alu instid0(VALU_DEP_1) | instskip(NEXT) | instid1(VALU_DEP_1)
	v_and_b32_e32 v21, s31, v20
	v_and_b32_e32 v20, 1, v21
	v_lshlrev_b32_e32 v22, 30, v21
	v_lshlrev_b32_e32 v23, 29, v21
	;; [unrolled: 1-line block ×4, first 2 shown]
	v_add_co_u32 v20, s15, v20, -1
	s_wait_alu 0xf1ff
	v_cndmask_b32_e64 v25, 0, 1, s15
	v_not_b32_e32 v127, v22
	v_cmp_gt_i32_e64 s15, 0, v22
	v_not_b32_e32 v22, v23
	v_lshlrev_b32_e32 v27, 26, v21
	v_cmp_ne_u32_e32 vcc_lo, 0, v25
	v_ashrrev_i32_e32 v127, 31, v127
	v_lshlrev_b32_e32 v126, 25, v21
	v_ashrrev_i32_e32 v22, 31, v22
	v_lshlrev_b32_e32 v25, 24, v21
	s_wait_alu 0xfffd
	v_xor_b32_e32 v20, vcc_lo, v20
	v_cmp_gt_i32_e32 vcc_lo, 0, v23
	v_not_b32_e32 v23, v24
	s_wait_alu 0xf1ff
	v_xor_b32_e32 v127, s15, v127
	v_cmp_gt_i32_e64 s15, 0, v24
	v_and_b32_e32 v20, exec_lo, v20
	v_not_b32_e32 v24, v26
	v_ashrrev_i32_e32 v23, 31, v23
	s_wait_alu 0xfffd
	v_xor_b32_e32 v22, vcc_lo, v22
	v_cmp_gt_i32_e32 vcc_lo, 0, v26
	v_and_b32_e32 v20, v20, v127
	v_not_b32_e32 v26, v27
	v_ashrrev_i32_e32 v24, 31, v24
	s_wait_alu 0xf1ff
	v_xor_b32_e32 v23, s15, v23
	v_cmp_gt_i32_e64 s15, 0, v27
	v_and_b32_e32 v20, v20, v22
	v_not_b32_e32 v22, v126
	v_ashrrev_i32_e32 v26, 31, v26
	s_wait_alu 0xfffd
	v_xor_b32_e32 v24, vcc_lo, v24
	v_cmp_gt_i32_e32 vcc_lo, 0, v126
	v_and_b32_e32 v20, v20, v23
	v_not_b32_e32 v23, v25
	v_ashrrev_i32_e32 v22, 31, v22
	s_wait_alu 0xf1ff
	v_xor_b32_e32 v26, s15, v26
	v_cmp_gt_i32_e64 s15, 0, v25
	v_and_b32_e32 v20, v20, v24
	v_ashrrev_i32_e32 v23, 31, v23
	s_wait_alu 0xfffd
	v_xor_b32_e32 v22, vcc_lo, v22
	v_mad_u32_u24 v24, v21, 36, v85
	v_mul_u32_u24_e32 v21, 36, v21
	v_and_b32_e32 v20, v20, v26
	s_wait_alu 0xf1ff
	v_xor_b32_e32 v23, s15, v23
	ds_load_b32 v126, v24 offset:1056
	v_add_nc_u32_e32 v128, v85, v21
	v_and_b32_e32 v20, v20, v22
	; wave barrier
	s_delay_alu instid0(VALU_DEP_1) | instskip(NEXT) | instid1(VALU_DEP_1)
	v_and_b32_e32 v20, v20, v23
	v_mbcnt_lo_u32_b32 v127, v20, 0
	v_cmp_ne_u32_e64 s15, 0, v20
	s_delay_alu instid0(VALU_DEP_2)
	v_cmp_eq_u32_e32 vcc_lo, 0, v127
	s_and_b32 s16, s15, vcc_lo
	s_wait_alu 0xfffe
	s_and_saveexec_b32 s15, s16
	s_cbranch_execz .LBB399_258
; %bb.257:                              ;   in Loop: Header=BB399_228 Depth=2
	s_wait_dscnt 0x0
	v_bcnt_u32_b32 v20, v20, v126
	ds_store_b32 v128, v20 offset:1056
.LBB399_258:                            ;   in Loop: Header=BB399_228 Depth=2
	s_wait_alu 0xfffe
	s_or_b32 exec_lo, exec_lo, s15
	; wave barrier
	s_wait_loadcnt_dscnt 0x0
	s_barrier_signal -1
	s_barrier_wait -1
	global_inv scope:SCOPE_SE
	ds_load_2addr_b32 v[26:27], v98 offset1:1
	ds_load_2addr_b32 v[24:25], v99 offset1:1
	;; [unrolled: 1-line block ×4, first 2 shown]
	ds_load_b32 v129, v45 offset:1088
	s_wait_dscnt 0x3
	v_add3_u32 v130, v27, v26, v24
	s_wait_dscnt 0x2
	s_delay_alu instid0(VALU_DEP_1) | instskip(SKIP_1) | instid1(VALU_DEP_1)
	v_add3_u32 v130, v130, v25, v22
	s_wait_dscnt 0x1
	v_add3_u32 v130, v130, v23, v20
	s_wait_dscnt 0x0
	s_delay_alu instid0(VALU_DEP_1) | instskip(NEXT) | instid1(VALU_DEP_1)
	v_add3_u32 v129, v130, v21, v129
	v_mov_b32_dpp v130, v129 row_shr:1 row_mask:0xf bank_mask:0xf
	s_delay_alu instid0(VALU_DEP_1) | instskip(NEXT) | instid1(VALU_DEP_1)
	v_cndmask_b32_e64 v130, v130, 0, s0
	v_add_nc_u32_e32 v129, v130, v129
	s_delay_alu instid0(VALU_DEP_1) | instskip(NEXT) | instid1(VALU_DEP_1)
	v_mov_b32_dpp v130, v129 row_shr:2 row_mask:0xf bank_mask:0xf
	v_cndmask_b32_e64 v130, 0, v130, s1
	s_delay_alu instid0(VALU_DEP_1) | instskip(NEXT) | instid1(VALU_DEP_1)
	v_add_nc_u32_e32 v129, v129, v130
	v_mov_b32_dpp v130, v129 row_shr:4 row_mask:0xf bank_mask:0xf
	s_delay_alu instid0(VALU_DEP_1) | instskip(NEXT) | instid1(VALU_DEP_1)
	v_cndmask_b32_e64 v130, 0, v130, s9
	v_add_nc_u32_e32 v129, v129, v130
	s_delay_alu instid0(VALU_DEP_1) | instskip(NEXT) | instid1(VALU_DEP_1)
	v_mov_b32_dpp v130, v129 row_shr:8 row_mask:0xf bank_mask:0xf
	v_cndmask_b32_e64 v130, 0, v130, s10
	s_delay_alu instid0(VALU_DEP_1) | instskip(SKIP_3) | instid1(VALU_DEP_1)
	v_add_nc_u32_e32 v129, v129, v130
	ds_swizzle_b32 v130, v129 offset:swizzle(BROADCAST,32,15)
	s_wait_dscnt 0x0
	v_cndmask_b32_e64 v130, v130, 0, s11
	v_add_nc_u32_e32 v129, v129, v130
	s_and_saveexec_b32 s15, s3
; %bb.259:                              ;   in Loop: Header=BB399_228 Depth=2
	ds_store_b32 v38, v129 offset:1024
; %bb.260:                              ;   in Loop: Header=BB399_228 Depth=2
	s_wait_alu 0xfffe
	s_or_b32 exec_lo, exec_lo, s15
	s_wait_loadcnt_dscnt 0x0
	s_barrier_signal -1
	s_barrier_wait -1
	global_inv scope:SCOPE_SE
	s_and_saveexec_b32 s15, s4
	s_cbranch_execz .LBB399_262
; %bb.261:                              ;   in Loop: Header=BB399_228 Depth=2
	v_add_nc_u32_e32 v130, v45, v46
	ds_load_b32 v131, v130 offset:1024
	s_wait_dscnt 0x0
	v_mov_b32_dpp v132, v131 row_shr:1 row_mask:0xf bank_mask:0xf
	s_delay_alu instid0(VALU_DEP_1) | instskip(NEXT) | instid1(VALU_DEP_1)
	v_cndmask_b32_e64 v132, v132, 0, s12
	v_add_nc_u32_e32 v131, v132, v131
	s_delay_alu instid0(VALU_DEP_1) | instskip(NEXT) | instid1(VALU_DEP_1)
	v_mov_b32_dpp v132, v131 row_shr:2 row_mask:0xf bank_mask:0xf
	v_cndmask_b32_e64 v132, 0, v132, s13
	s_delay_alu instid0(VALU_DEP_1) | instskip(NEXT) | instid1(VALU_DEP_1)
	v_add_nc_u32_e32 v131, v131, v132
	v_mov_b32_dpp v132, v131 row_shr:4 row_mask:0xf bank_mask:0xf
	s_delay_alu instid0(VALU_DEP_1) | instskip(NEXT) | instid1(VALU_DEP_1)
	v_cndmask_b32_e64 v132, 0, v132, s14
	v_add_nc_u32_e32 v131, v131, v132
	ds_store_b32 v130, v131 offset:1024
.LBB399_262:                            ;   in Loop: Header=BB399_228 Depth=2
	s_wait_alu 0xfffe
	s_or_b32 exec_lo, exec_lo, s15
	v_mov_b32_e32 v130, 0
	s_wait_loadcnt_dscnt 0x0
	s_barrier_signal -1
	s_barrier_wait -1
	global_inv scope:SCOPE_SE
	s_and_saveexec_b32 s15, s5
; %bb.263:                              ;   in Loop: Header=BB399_228 Depth=2
	ds_load_b32 v130, v38 offset:1020
; %bb.264:                              ;   in Loop: Header=BB399_228 Depth=2
	s_wait_alu 0xfffe
	s_or_b32 exec_lo, exec_lo, s15
	s_wait_dscnt 0x0
	v_add_nc_u32_e32 v129, v130, v129
	ds_bpermute_b32 v129, v80, v129
	s_wait_dscnt 0x0
	v_cndmask_b32_e64 v129, v129, v130, s8
	s_delay_alu instid0(VALU_DEP_1) | instskip(NEXT) | instid1(VALU_DEP_1)
	v_cndmask_b32_e64 v129, v129, 0, s6
	v_add_nc_u32_e32 v26, v129, v26
	s_delay_alu instid0(VALU_DEP_1) | instskip(NEXT) | instid1(VALU_DEP_1)
	v_add_nc_u32_e32 v27, v26, v27
	v_add_nc_u32_e32 v24, v27, v24
	s_delay_alu instid0(VALU_DEP_1) | instskip(NEXT) | instid1(VALU_DEP_1)
	v_add_nc_u32_e32 v25, v24, v25
	;; [unrolled: 3-line block ×3, first 2 shown]
	v_add_nc_u32_e32 v20, v23, v20
	s_delay_alu instid0(VALU_DEP_1)
	v_add_nc_u32_e32 v21, v20, v21
	ds_store_2addr_b32 v97, v23, v20 offset1:1
	ds_store_2addr_b32 v98, v129, v26 offset1:1
	;; [unrolled: 1-line block ×4, first 2 shown]
	ds_store_b32 v45, v21 offset:1088
	s_wait_loadcnt_dscnt 0x0
	s_barrier_signal -1
	s_barrier_wait -1
	global_inv scope:SCOPE_SE
	ds_load_b32 v20, v101 offset:1056
	ds_load_b32 v21, v105 offset:1056
	;; [unrolled: 1-line block ×9, first 2 shown]
	v_mov_b32_e32 v22, 0x800
	s_and_saveexec_b32 s15, s7
; %bb.265:                              ;   in Loop: Header=BB399_228 Depth=2
	ds_load_b32 v22, v45 offset:1092
; %bb.266:                              ;   in Loop: Header=BB399_228 Depth=2
	s_wait_alu 0xfffe
	s_or_b32 exec_lo, exec_lo, s15
	s_wait_loadcnt_dscnt 0x0
	s_barrier_signal -1
	s_barrier_wait -1
	global_inv scope:SCOPE_SE
	s_and_saveexec_b32 s15, s2
	s_cbranch_execz .LBB399_268
; %bb.267:                              ;   in Loop: Header=BB399_228 Depth=2
	ds_load_b32 v27, v28
	s_wait_dscnt 0x0
	v_sub_nc_u32_e32 v26, v27, v26
	ds_store_b32 v28, v26
.LBB399_268:                            ;   in Loop: Header=BB399_228 Depth=2
	s_wait_alu 0xfffe
	s_or_b32 exec_lo, exec_lo, s15
	v_add_nc_u32_e32 v98, v20, v95
	v_add3_u32 v97, v103, v102, v21
	v_add3_u32 v95, v107, v106, v23
	;; [unrolled: 1-line block ×7, first 2 shown]
	v_cmp_lt_u32_e64 s20, v1, v2
	ds_store_b8 v98, v94 offset:1024
	ds_store_b8 v97, v96 offset:1024
	;; [unrolled: 1-line block ×8, first 2 shown]
	s_wait_loadcnt_dscnt 0x0
	s_barrier_signal -1
	s_barrier_wait -1
	global_inv scope:SCOPE_SE
	s_and_saveexec_b32 s15, s20
	s_cbranch_execnz .LBB399_305
; %bb.269:                              ;   in Loop: Header=BB399_228 Depth=2
	s_wait_alu 0xfffe
	s_or_b32 exec_lo, exec_lo, s15
	v_cmp_lt_u32_e64 s21, v29, v2
	s_and_saveexec_b32 s15, s21
	s_cbranch_execnz .LBB399_306
.LBB399_270:                            ;   in Loop: Header=BB399_228 Depth=2
	s_wait_alu 0xfffe
	s_or_b32 exec_lo, exec_lo, s15
	v_cmp_lt_u32_e64 s19, v30, v2
	s_and_saveexec_b32 s15, s19
	s_cbranch_execnz .LBB399_307
.LBB399_271:                            ;   in Loop: Header=BB399_228 Depth=2
	s_wait_alu 0xfffe
	s_or_b32 exec_lo, exec_lo, s15
	v_cmp_lt_u32_e64 s18, v31, v2
	s_and_saveexec_b32 s15, s18
	s_cbranch_execnz .LBB399_308
.LBB399_272:                            ;   in Loop: Header=BB399_228 Depth=2
	s_wait_alu 0xfffe
	s_or_b32 exec_lo, exec_lo, s15
	v_cmp_lt_u32_e64 s17, v34, v2
	s_and_saveexec_b32 s15, s17
	s_cbranch_execnz .LBB399_309
.LBB399_273:                            ;   in Loop: Header=BB399_228 Depth=2
	s_wait_alu 0xfffe
	s_or_b32 exec_lo, exec_lo, s15
	v_cmp_lt_u32_e64 s16, v35, v2
	s_and_saveexec_b32 s15, s16
	s_cbranch_execnz .LBB399_310
.LBB399_274:                            ;   in Loop: Header=BB399_228 Depth=2
	s_wait_alu 0xfffe
	s_or_b32 exec_lo, exec_lo, s15
	v_cmp_lt_u32_e64 s15, v36, v2
	s_and_saveexec_b32 s44, s15
	s_cbranch_execnz .LBB399_311
.LBB399_275:                            ;   in Loop: Header=BB399_228 Depth=2
	s_wait_alu 0xfffe
	s_or_b32 exec_lo, exec_lo, s44
	v_cmp_lt_u32_e32 vcc_lo, v37, v2
	s_and_saveexec_b32 s44, vcc_lo
	s_cbranch_execz .LBB399_277
.LBB399_276:                            ;   in Loop: Header=BB399_228 Depth=2
	ds_load_u8 v20, v1 offset:2816
	s_wait_dscnt 0x0
	v_and_b32_e32 v21, 0xff, v20
	v_xor_b32_e32 v20, 0x80, v20
	s_delay_alu instid0(VALU_DEP_2) | instskip(NEXT) | instid1(VALU_DEP_1)
	v_lshrrev_b32_e32 v21, s30, v21
	v_and_b32_e32 v21, s31, v21
	s_delay_alu instid0(VALU_DEP_1)
	v_lshlrev_b32_e32 v21, 2, v21
	ds_load_b32 v21, v21
	s_wait_dscnt 0x0
	v_add_nc_u32_e32 v21, v21, v37
	global_store_b8 v21, v20, s[40:41]
.LBB399_277:                            ;   in Loop: Header=BB399_228 Depth=2
	s_wait_alu 0xfffe
	s_or_b32 exec_lo, exec_lo, s44
	s_lshl_b64 s[48:49], s[22:23], 3
	s_wait_alu 0xfffe
	v_add_co_u32 v20, s22, v81, s48
	s_wait_alu 0xf1ff
	v_add_co_ci_u32_e64 v21, null, s49, v82, s22
	v_cmp_lt_u32_e64 s22, v68, v2
	s_and_saveexec_b32 s44, s22
	s_wait_alu 0xfffe
	s_xor_b32 s22, exec_lo, s44
	s_cbranch_execnz .LBB399_312
; %bb.278:                              ;   in Loop: Header=BB399_228 Depth=2
	s_wait_alu 0xfffe
	s_or_b32 exec_lo, exec_lo, s22
	s_delay_alu instid0(SALU_CYCLE_1)
	s_mov_b32 s44, exec_lo
	v_cmpx_lt_u32_e64 v71, v2
	s_cbranch_execnz .LBB399_313
.LBB399_279:                            ;   in Loop: Header=BB399_228 Depth=2
	s_wait_alu 0xfffe
	s_or_b32 exec_lo, exec_lo, s44
	s_delay_alu instid0(SALU_CYCLE_1)
	s_mov_b32 s44, exec_lo
	v_cmpx_lt_u32_e64 v72, v2
	s_cbranch_execnz .LBB399_314
.LBB399_280:                            ;   in Loop: Header=BB399_228 Depth=2
	s_wait_alu 0xfffe
	s_or_b32 exec_lo, exec_lo, s44
	s_delay_alu instid0(SALU_CYCLE_1)
	s_mov_b32 s44, exec_lo
	v_cmpx_lt_u32_e64 v73, v2
	s_cbranch_execnz .LBB399_315
.LBB399_281:                            ;   in Loop: Header=BB399_228 Depth=2
	s_wait_alu 0xfffe
	s_or_b32 exec_lo, exec_lo, s44
	s_delay_alu instid0(SALU_CYCLE_1)
	s_mov_b32 s44, exec_lo
	v_cmpx_lt_u32_e64 v74, v2
	s_cbranch_execnz .LBB399_316
.LBB399_282:                            ;   in Loop: Header=BB399_228 Depth=2
	s_wait_alu 0xfffe
	s_or_b32 exec_lo, exec_lo, s44
	s_delay_alu instid0(SALU_CYCLE_1)
	s_mov_b32 s44, exec_lo
	v_cmpx_lt_u32_e64 v75, v2
	s_cbranch_execnz .LBB399_317
.LBB399_283:                            ;   in Loop: Header=BB399_228 Depth=2
	s_wait_alu 0xfffe
	s_or_b32 exec_lo, exec_lo, s44
	s_delay_alu instid0(SALU_CYCLE_1)
	s_mov_b32 s44, exec_lo
	v_cmpx_lt_u32_e64 v76, v2
	s_cbranch_execnz .LBB399_318
.LBB399_284:                            ;   in Loop: Header=BB399_228 Depth=2
	s_wait_alu 0xfffe
	s_or_b32 exec_lo, exec_lo, s44
	s_delay_alu instid0(SALU_CYCLE_1)
	s_mov_b32 s44, exec_lo
	v_cmpx_lt_u32_e64 v77, v2
	s_cbranch_execnz .LBB399_319
.LBB399_285:                            ;   in Loop: Header=BB399_228 Depth=2
	s_wait_alu 0xfffe
	s_or_b32 exec_lo, exec_lo, s44
	s_and_saveexec_b32 s22, s20
	s_cbranch_execnz .LBB399_320
.LBB399_286:                            ;   in Loop: Header=BB399_228 Depth=2
	s_wait_alu 0xfffe
	s_or_b32 exec_lo, exec_lo, s22
	s_and_saveexec_b32 s22, s21
	s_cbranch_execnz .LBB399_321
.LBB399_287:                            ;   in Loop: Header=BB399_228 Depth=2
	s_wait_alu 0xfffe
	s_or_b32 exec_lo, exec_lo, s22
	s_and_saveexec_b32 s22, s19
	s_cbranch_execnz .LBB399_322
.LBB399_288:                            ;   in Loop: Header=BB399_228 Depth=2
	s_wait_alu 0xfffe
	s_or_b32 exec_lo, exec_lo, s22
	s_and_saveexec_b32 s22, s18
	s_cbranch_execnz .LBB399_323
.LBB399_289:                            ;   in Loop: Header=BB399_228 Depth=2
	s_wait_alu 0xfffe
	s_or_b32 exec_lo, exec_lo, s22
	s_and_saveexec_b32 s22, s17
	s_cbranch_execnz .LBB399_324
.LBB399_290:                            ;   in Loop: Header=BB399_228 Depth=2
	s_wait_alu 0xfffe
	s_or_b32 exec_lo, exec_lo, s22
	s_and_saveexec_b32 s22, s16
	s_cbranch_execnz .LBB399_325
.LBB399_291:                            ;   in Loop: Header=BB399_228 Depth=2
	s_wait_alu 0xfffe
	s_or_b32 exec_lo, exec_lo, s22
	s_and_saveexec_b32 s22, s15
	s_cbranch_execnz .LBB399_326
.LBB399_292:                            ;   in Loop: Header=BB399_228 Depth=2
	s_wait_alu 0xfffe
	s_or_b32 exec_lo, exec_lo, s22
	s_and_saveexec_b32 s22, vcc_lo
	s_cbranch_execz .LBB399_294
.LBB399_293:                            ;   in Loop: Header=BB399_228 Depth=2
	ds_load_u8 v2, v1 offset:2816
	s_wait_dscnt 0x0
	v_lshrrev_b32_e32 v2, s30, v2
	s_delay_alu instid0(VALU_DEP_1)
	v_and_b32_e32 v86, s31, v2
.LBB399_294:                            ;   in Loop: Header=BB399_228 Depth=2
	s_wait_alu 0xfffe
	s_or_b32 exec_lo, exec_lo, s22
	v_lshlrev_b32_e32 v2, 3, v98
	v_lshlrev_b32_e32 v20, 3, v97
	;; [unrolled: 1-line block ×3, first 2 shown]
	s_wait_loadcnt 0x0
	s_wait_storecnt 0x0
	s_barrier_signal -1
	s_barrier_wait -1
	global_inv scope:SCOPE_SE
	ds_store_b64 v2, v[18:19] offset:1024
	ds_store_b64 v20, v[16:17] offset:1024
	;; [unrolled: 1-line block ×3, first 2 shown]
	v_lshlrev_b32_e32 v2, 3, v27
	v_lshlrev_b32_e32 v20, 3, v26
	;; [unrolled: 1-line block ×5, first 2 shown]
	ds_store_b64 v2, v[12:13] offset:1024
	ds_store_b64 v20, v[10:11] offset:1024
	;; [unrolled: 1-line block ×5, first 2 shown]
	s_wait_loadcnt_dscnt 0x0
	s_barrier_signal -1
	s_barrier_wait -1
	global_inv scope:SCOPE_SE
	s_and_saveexec_b32 s22, s20
	s_cbranch_execnz .LBB399_327
; %bb.295:                              ;   in Loop: Header=BB399_228 Depth=2
	s_wait_alu 0xfffe
	s_or_b32 exec_lo, exec_lo, s22
	s_and_saveexec_b32 s22, s21
	s_cbranch_execnz .LBB399_328
.LBB399_296:                            ;   in Loop: Header=BB399_228 Depth=2
	s_wait_alu 0xfffe
	s_or_b32 exec_lo, exec_lo, s22
	s_and_saveexec_b32 s20, s19
	s_cbranch_execnz .LBB399_329
.LBB399_297:                            ;   in Loop: Header=BB399_228 Depth=2
	s_wait_alu 0xfffe
	s_or_b32 exec_lo, exec_lo, s20
	s_and_saveexec_b32 s19, s18
	s_cbranch_execnz .LBB399_330
.LBB399_298:                            ;   in Loop: Header=BB399_228 Depth=2
	s_wait_alu 0xfffe
	s_or_b32 exec_lo, exec_lo, s19
	s_and_saveexec_b32 s18, s17
	s_cbranch_execnz .LBB399_331
.LBB399_299:                            ;   in Loop: Header=BB399_228 Depth=2
	s_wait_alu 0xfffe
	s_or_b32 exec_lo, exec_lo, s18
	s_and_saveexec_b32 s17, s16
	s_cbranch_execnz .LBB399_332
.LBB399_300:                            ;   in Loop: Header=BB399_228 Depth=2
	s_wait_alu 0xfffe
	s_or_b32 exec_lo, exec_lo, s17
	s_and_saveexec_b32 s16, s15
	s_cbranch_execnz .LBB399_333
.LBB399_301:                            ;   in Loop: Header=BB399_228 Depth=2
	s_wait_alu 0xfffe
	s_or_b32 exec_lo, exec_lo, s16
	s_and_saveexec_b32 s15, vcc_lo
	s_cbranch_execz .LBB399_303
.LBB399_302:                            ;   in Loop: Header=BB399_228 Depth=2
	v_lshlrev_b32_e32 v2, 2, v86
	v_add_nc_u32_e32 v20, v1, v47
	ds_load_b32 v2, v2
	ds_load_b64 v[20:21], v20 offset:15360
	s_wait_dscnt 0x1
	v_add_nc_u32_e32 v2, v2, v37
	s_delay_alu instid0(VALU_DEP_1) | instskip(NEXT) | instid1(VALU_DEP_1)
	v_lshlrev_b64_e32 v[23:24], 3, v[2:3]
	v_add_co_u32 v23, vcc_lo, s26, v23
	s_wait_alu 0xfffd
	s_delay_alu instid0(VALU_DEP_2)
	v_add_co_ci_u32_e64 v24, null, s27, v24, vcc_lo
	s_wait_dscnt 0x0
	global_store_b64 v[23:24], v[20:21], off
.LBB399_303:                            ;   in Loop: Header=BB399_228 Depth=2
	s_wait_alu 0xfffe
	s_or_b32 exec_lo, exec_lo, s15
	s_wait_loadcnt 0x0
	s_wait_storecnt 0x0
	s_barrier_signal -1
	s_barrier_wait -1
	global_inv scope:SCOPE_SE
	s_and_saveexec_b32 s15, s2
	s_cbranch_execz .LBB399_227
; %bb.304:                              ;   in Loop: Header=BB399_228 Depth=2
	ds_load_b32 v2, v28
	s_wait_dscnt 0x0
	v_add_nc_u32_e32 v2, v2, v22
	ds_store_b32 v28, v2
	s_branch .LBB399_227
.LBB399_305:                            ;   in Loop: Header=BB399_228 Depth=2
	ds_load_u8 v20, v1 offset:1024
	s_wait_dscnt 0x0
	v_and_b32_e32 v21, 0xff, v20
	v_xor_b32_e32 v20, 0x80, v20
	s_delay_alu instid0(VALU_DEP_2) | instskip(NEXT) | instid1(VALU_DEP_1)
	v_lshrrev_b32_e32 v21, s30, v21
	v_and_b32_e32 v21, s31, v21
	s_delay_alu instid0(VALU_DEP_1)
	v_lshlrev_b32_e32 v21, 2, v21
	ds_load_b32 v21, v21
	s_wait_dscnt 0x0
	v_add_nc_u32_e32 v21, v21, v1
	global_store_b8 v21, v20, s[40:41]
	s_wait_alu 0xfffe
	s_or_b32 exec_lo, exec_lo, s15
	v_cmp_lt_u32_e64 s21, v29, v2
	s_and_saveexec_b32 s15, s21
	s_cbranch_execz .LBB399_270
.LBB399_306:                            ;   in Loop: Header=BB399_228 Depth=2
	ds_load_u8 v20, v1 offset:1280
	s_wait_dscnt 0x0
	v_and_b32_e32 v21, 0xff, v20
	v_xor_b32_e32 v20, 0x80, v20
	s_delay_alu instid0(VALU_DEP_2) | instskip(NEXT) | instid1(VALU_DEP_1)
	v_lshrrev_b32_e32 v21, s30, v21
	v_and_b32_e32 v21, s31, v21
	s_delay_alu instid0(VALU_DEP_1)
	v_lshlrev_b32_e32 v21, 2, v21
	ds_load_b32 v21, v21
	s_wait_dscnt 0x0
	v_add_nc_u32_e32 v21, v21, v29
	global_store_b8 v21, v20, s[40:41]
	s_wait_alu 0xfffe
	s_or_b32 exec_lo, exec_lo, s15
	v_cmp_lt_u32_e64 s19, v30, v2
	s_and_saveexec_b32 s15, s19
	s_cbranch_execz .LBB399_271
.LBB399_307:                            ;   in Loop: Header=BB399_228 Depth=2
	ds_load_u8 v20, v1 offset:1536
	s_wait_dscnt 0x0
	v_and_b32_e32 v21, 0xff, v20
	v_xor_b32_e32 v20, 0x80, v20
	s_delay_alu instid0(VALU_DEP_2) | instskip(NEXT) | instid1(VALU_DEP_1)
	v_lshrrev_b32_e32 v21, s30, v21
	v_and_b32_e32 v21, s31, v21
	s_delay_alu instid0(VALU_DEP_1)
	v_lshlrev_b32_e32 v21, 2, v21
	ds_load_b32 v21, v21
	s_wait_dscnt 0x0
	v_add_nc_u32_e32 v21, v21, v30
	global_store_b8 v21, v20, s[40:41]
	s_wait_alu 0xfffe
	s_or_b32 exec_lo, exec_lo, s15
	v_cmp_lt_u32_e64 s18, v31, v2
	s_and_saveexec_b32 s15, s18
	s_cbranch_execz .LBB399_272
.LBB399_308:                            ;   in Loop: Header=BB399_228 Depth=2
	ds_load_u8 v20, v1 offset:1792
	s_wait_dscnt 0x0
	v_and_b32_e32 v21, 0xff, v20
	v_xor_b32_e32 v20, 0x80, v20
	s_delay_alu instid0(VALU_DEP_2) | instskip(NEXT) | instid1(VALU_DEP_1)
	v_lshrrev_b32_e32 v21, s30, v21
	v_and_b32_e32 v21, s31, v21
	s_delay_alu instid0(VALU_DEP_1)
	v_lshlrev_b32_e32 v21, 2, v21
	ds_load_b32 v21, v21
	s_wait_dscnt 0x0
	v_add_nc_u32_e32 v21, v21, v31
	global_store_b8 v21, v20, s[40:41]
	s_wait_alu 0xfffe
	s_or_b32 exec_lo, exec_lo, s15
	v_cmp_lt_u32_e64 s17, v34, v2
	s_and_saveexec_b32 s15, s17
	s_cbranch_execz .LBB399_273
.LBB399_309:                            ;   in Loop: Header=BB399_228 Depth=2
	ds_load_u8 v20, v1 offset:2048
	s_wait_dscnt 0x0
	v_and_b32_e32 v21, 0xff, v20
	v_xor_b32_e32 v20, 0x80, v20
	s_delay_alu instid0(VALU_DEP_2) | instskip(NEXT) | instid1(VALU_DEP_1)
	v_lshrrev_b32_e32 v21, s30, v21
	v_and_b32_e32 v21, s31, v21
	s_delay_alu instid0(VALU_DEP_1)
	v_lshlrev_b32_e32 v21, 2, v21
	ds_load_b32 v21, v21
	s_wait_dscnt 0x0
	v_add_nc_u32_e32 v21, v21, v34
	global_store_b8 v21, v20, s[40:41]
	s_wait_alu 0xfffe
	s_or_b32 exec_lo, exec_lo, s15
	v_cmp_lt_u32_e64 s16, v35, v2
	s_and_saveexec_b32 s15, s16
	s_cbranch_execz .LBB399_274
.LBB399_310:                            ;   in Loop: Header=BB399_228 Depth=2
	ds_load_u8 v20, v1 offset:2304
	s_wait_dscnt 0x0
	v_and_b32_e32 v21, 0xff, v20
	v_xor_b32_e32 v20, 0x80, v20
	s_delay_alu instid0(VALU_DEP_2) | instskip(NEXT) | instid1(VALU_DEP_1)
	v_lshrrev_b32_e32 v21, s30, v21
	v_and_b32_e32 v21, s31, v21
	s_delay_alu instid0(VALU_DEP_1)
	v_lshlrev_b32_e32 v21, 2, v21
	ds_load_b32 v21, v21
	s_wait_dscnt 0x0
	v_add_nc_u32_e32 v21, v21, v35
	global_store_b8 v21, v20, s[40:41]
	s_wait_alu 0xfffe
	s_or_b32 exec_lo, exec_lo, s15
	v_cmp_lt_u32_e64 s15, v36, v2
	s_and_saveexec_b32 s44, s15
	s_cbranch_execz .LBB399_275
.LBB399_311:                            ;   in Loop: Header=BB399_228 Depth=2
	ds_load_u8 v20, v1 offset:2560
	s_wait_dscnt 0x0
	v_and_b32_e32 v21, 0xff, v20
	v_xor_b32_e32 v20, 0x80, v20
	s_delay_alu instid0(VALU_DEP_2) | instskip(NEXT) | instid1(VALU_DEP_1)
	v_lshrrev_b32_e32 v21, s30, v21
	v_and_b32_e32 v21, s31, v21
	s_delay_alu instid0(VALU_DEP_1)
	v_lshlrev_b32_e32 v21, 2, v21
	ds_load_b32 v21, v21
	s_wait_dscnt 0x0
	v_add_nc_u32_e32 v21, v21, v36
	global_store_b8 v21, v20, s[40:41]
	s_wait_alu 0xfffe
	s_or_b32 exec_lo, exec_lo, s44
	v_cmp_lt_u32_e32 vcc_lo, v37, v2
	s_and_saveexec_b32 s44, vcc_lo
	s_cbranch_execnz .LBB399_276
	s_branch .LBB399_277
.LBB399_312:                            ;   in Loop: Header=BB399_228 Depth=2
	global_load_b64 v[18:19], v[20:21], off
	s_wait_alu 0xfffe
	s_or_b32 exec_lo, exec_lo, s22
	s_delay_alu instid0(SALU_CYCLE_1)
	s_mov_b32 s44, exec_lo
	v_cmpx_lt_u32_e64 v71, v2
	s_cbranch_execz .LBB399_279
.LBB399_313:                            ;   in Loop: Header=BB399_228 Depth=2
	global_load_b64 v[16:17], v[20:21], off offset:256
	s_wait_alu 0xfffe
	s_or_b32 exec_lo, exec_lo, s44
	s_delay_alu instid0(SALU_CYCLE_1)
	s_mov_b32 s44, exec_lo
	v_cmpx_lt_u32_e64 v72, v2
	s_cbranch_execz .LBB399_280
.LBB399_314:                            ;   in Loop: Header=BB399_228 Depth=2
	global_load_b64 v[14:15], v[20:21], off offset:512
	s_wait_alu 0xfffe
	s_or_b32 exec_lo, exec_lo, s44
	s_delay_alu instid0(SALU_CYCLE_1)
	s_mov_b32 s44, exec_lo
	v_cmpx_lt_u32_e64 v73, v2
	s_cbranch_execz .LBB399_281
.LBB399_315:                            ;   in Loop: Header=BB399_228 Depth=2
	global_load_b64 v[12:13], v[20:21], off offset:768
	s_wait_alu 0xfffe
	s_or_b32 exec_lo, exec_lo, s44
	s_delay_alu instid0(SALU_CYCLE_1)
	s_mov_b32 s44, exec_lo
	v_cmpx_lt_u32_e64 v74, v2
	s_cbranch_execz .LBB399_282
.LBB399_316:                            ;   in Loop: Header=BB399_228 Depth=2
	global_load_b64 v[10:11], v[20:21], off offset:1024
	s_wait_alu 0xfffe
	s_or_b32 exec_lo, exec_lo, s44
	s_delay_alu instid0(SALU_CYCLE_1)
	s_mov_b32 s44, exec_lo
	v_cmpx_lt_u32_e64 v75, v2
	s_cbranch_execz .LBB399_283
.LBB399_317:                            ;   in Loop: Header=BB399_228 Depth=2
	global_load_b64 v[8:9], v[20:21], off offset:1280
	s_wait_alu 0xfffe
	s_or_b32 exec_lo, exec_lo, s44
	s_delay_alu instid0(SALU_CYCLE_1)
	s_mov_b32 s44, exec_lo
	v_cmpx_lt_u32_e64 v76, v2
	s_cbranch_execz .LBB399_284
.LBB399_318:                            ;   in Loop: Header=BB399_228 Depth=2
	global_load_b64 v[6:7], v[20:21], off offset:1536
	s_wait_alu 0xfffe
	s_or_b32 exec_lo, exec_lo, s44
	s_delay_alu instid0(SALU_CYCLE_1)
	s_mov_b32 s44, exec_lo
	v_cmpx_lt_u32_e64 v77, v2
	s_cbranch_execz .LBB399_285
.LBB399_319:                            ;   in Loop: Header=BB399_228 Depth=2
	global_load_b64 v[4:5], v[20:21], off offset:1792
	s_wait_alu 0xfffe
	s_or_b32 exec_lo, exec_lo, s44
	s_and_saveexec_b32 s22, s20
	s_cbranch_execz .LBB399_286
.LBB399_320:                            ;   in Loop: Header=BB399_228 Depth=2
	ds_load_u8 v2, v1 offset:1024
	s_wait_dscnt 0x0
	v_lshrrev_b32_e32 v2, s30, v2
	s_delay_alu instid0(VALU_DEP_1)
	v_and_b32_e32 v93, s31, v2
	s_wait_alu 0xfffe
	s_or_b32 exec_lo, exec_lo, s22
	s_and_saveexec_b32 s22, s21
	s_cbranch_execz .LBB399_287
.LBB399_321:                            ;   in Loop: Header=BB399_228 Depth=2
	ds_load_u8 v2, v1 offset:1280
	s_wait_dscnt 0x0
	v_lshrrev_b32_e32 v2, s30, v2
	s_delay_alu instid0(VALU_DEP_1)
	v_and_b32_e32 v92, s31, v2
	s_wait_alu 0xfffe
	s_or_b32 exec_lo, exec_lo, s22
	s_and_saveexec_b32 s22, s19
	s_cbranch_execz .LBB399_288
.LBB399_322:                            ;   in Loop: Header=BB399_228 Depth=2
	ds_load_u8 v2, v1 offset:1536
	s_wait_dscnt 0x0
	v_lshrrev_b32_e32 v2, s30, v2
	s_delay_alu instid0(VALU_DEP_1)
	v_and_b32_e32 v91, s31, v2
	s_wait_alu 0xfffe
	s_or_b32 exec_lo, exec_lo, s22
	s_and_saveexec_b32 s22, s18
	s_cbranch_execz .LBB399_289
.LBB399_323:                            ;   in Loop: Header=BB399_228 Depth=2
	ds_load_u8 v2, v1 offset:1792
	s_wait_dscnt 0x0
	v_lshrrev_b32_e32 v2, s30, v2
	s_delay_alu instid0(VALU_DEP_1)
	v_and_b32_e32 v90, s31, v2
	s_wait_alu 0xfffe
	s_or_b32 exec_lo, exec_lo, s22
	s_and_saveexec_b32 s22, s17
	s_cbranch_execz .LBB399_290
.LBB399_324:                            ;   in Loop: Header=BB399_228 Depth=2
	ds_load_u8 v2, v1 offset:2048
	s_wait_dscnt 0x0
	v_lshrrev_b32_e32 v2, s30, v2
	s_delay_alu instid0(VALU_DEP_1)
	v_and_b32_e32 v89, s31, v2
	s_wait_alu 0xfffe
	s_or_b32 exec_lo, exec_lo, s22
	s_and_saveexec_b32 s22, s16
	s_cbranch_execz .LBB399_291
.LBB399_325:                            ;   in Loop: Header=BB399_228 Depth=2
	ds_load_u8 v2, v1 offset:2304
	s_wait_dscnt 0x0
	v_lshrrev_b32_e32 v2, s30, v2
	s_delay_alu instid0(VALU_DEP_1)
	v_and_b32_e32 v88, s31, v2
	s_wait_alu 0xfffe
	s_or_b32 exec_lo, exec_lo, s22
	s_and_saveexec_b32 s22, s15
	s_cbranch_execz .LBB399_292
.LBB399_326:                            ;   in Loop: Header=BB399_228 Depth=2
	ds_load_u8 v2, v1 offset:2560
	s_wait_dscnt 0x0
	v_lshrrev_b32_e32 v2, s30, v2
	s_delay_alu instid0(VALU_DEP_1)
	v_and_b32_e32 v87, s31, v2
	s_wait_alu 0xfffe
	s_or_b32 exec_lo, exec_lo, s22
	s_and_saveexec_b32 s22, vcc_lo
	s_cbranch_execnz .LBB399_293
	s_branch .LBB399_294
.LBB399_327:                            ;   in Loop: Header=BB399_228 Depth=2
	v_lshlrev_b32_e32 v2, 2, v93
	v_add_nc_u32_e32 v20, v1, v47
	ds_load_b32 v2, v2
	ds_load_b64 v[20:21], v20 offset:1024
	s_wait_dscnt 0x1
	v_add_nc_u32_e32 v2, v2, v1
	s_delay_alu instid0(VALU_DEP_1) | instskip(NEXT) | instid1(VALU_DEP_1)
	v_lshlrev_b64_e32 v[23:24], 3, v[2:3]
	v_add_co_u32 v23, s20, s26, v23
	s_wait_alu 0xf1ff
	s_delay_alu instid0(VALU_DEP_2)
	v_add_co_ci_u32_e64 v24, null, s27, v24, s20
	s_wait_dscnt 0x0
	global_store_b64 v[23:24], v[20:21], off
	s_wait_alu 0xfffe
	s_or_b32 exec_lo, exec_lo, s22
	s_and_saveexec_b32 s22, s21
	s_cbranch_execz .LBB399_296
.LBB399_328:                            ;   in Loop: Header=BB399_228 Depth=2
	v_lshlrev_b32_e32 v2, 2, v92
	v_add_nc_u32_e32 v20, v1, v47
	ds_load_b32 v2, v2
	ds_load_b64 v[20:21], v20 offset:3072
	s_wait_dscnt 0x1
	v_add_nc_u32_e32 v2, v2, v29
	s_delay_alu instid0(VALU_DEP_1) | instskip(NEXT) | instid1(VALU_DEP_1)
	v_lshlrev_b64_e32 v[23:24], 3, v[2:3]
	v_add_co_u32 v23, s20, s26, v23
	s_wait_alu 0xf1ff
	s_delay_alu instid0(VALU_DEP_2)
	v_add_co_ci_u32_e64 v24, null, s27, v24, s20
	s_wait_dscnt 0x0
	global_store_b64 v[23:24], v[20:21], off
	s_wait_alu 0xfffe
	s_or_b32 exec_lo, exec_lo, s22
	s_and_saveexec_b32 s20, s19
	s_cbranch_execz .LBB399_297
.LBB399_329:                            ;   in Loop: Header=BB399_228 Depth=2
	v_lshlrev_b32_e32 v2, 2, v91
	v_add_nc_u32_e32 v20, v1, v47
	ds_load_b32 v2, v2
	ds_load_b64 v[20:21], v20 offset:5120
	s_wait_dscnt 0x1
	v_add_nc_u32_e32 v2, v2, v30
	s_delay_alu instid0(VALU_DEP_1) | instskip(NEXT) | instid1(VALU_DEP_1)
	v_lshlrev_b64_e32 v[23:24], 3, v[2:3]
	v_add_co_u32 v23, s19, s26, v23
	s_wait_alu 0xf1ff
	s_delay_alu instid0(VALU_DEP_2)
	v_add_co_ci_u32_e64 v24, null, s27, v24, s19
	s_wait_dscnt 0x0
	global_store_b64 v[23:24], v[20:21], off
	s_wait_alu 0xfffe
	s_or_b32 exec_lo, exec_lo, s20
	s_and_saveexec_b32 s19, s18
	s_cbranch_execz .LBB399_298
.LBB399_330:                            ;   in Loop: Header=BB399_228 Depth=2
	v_lshlrev_b32_e32 v2, 2, v90
	v_add_nc_u32_e32 v20, v1, v47
	ds_load_b32 v2, v2
	ds_load_b64 v[20:21], v20 offset:7168
	s_wait_dscnt 0x1
	v_add_nc_u32_e32 v2, v2, v31
	s_delay_alu instid0(VALU_DEP_1) | instskip(NEXT) | instid1(VALU_DEP_1)
	v_lshlrev_b64_e32 v[23:24], 3, v[2:3]
	v_add_co_u32 v23, s18, s26, v23
	s_wait_alu 0xf1ff
	s_delay_alu instid0(VALU_DEP_2)
	v_add_co_ci_u32_e64 v24, null, s27, v24, s18
	s_wait_dscnt 0x0
	global_store_b64 v[23:24], v[20:21], off
	s_wait_alu 0xfffe
	s_or_b32 exec_lo, exec_lo, s19
	s_and_saveexec_b32 s18, s17
	s_cbranch_execz .LBB399_299
.LBB399_331:                            ;   in Loop: Header=BB399_228 Depth=2
	v_lshlrev_b32_e32 v2, 2, v89
	v_add_nc_u32_e32 v20, v1, v47
	ds_load_b32 v2, v2
	ds_load_b64 v[20:21], v20 offset:9216
	s_wait_dscnt 0x1
	v_add_nc_u32_e32 v2, v2, v34
	s_delay_alu instid0(VALU_DEP_1) | instskip(NEXT) | instid1(VALU_DEP_1)
	v_lshlrev_b64_e32 v[23:24], 3, v[2:3]
	v_add_co_u32 v23, s17, s26, v23
	s_wait_alu 0xf1ff
	s_delay_alu instid0(VALU_DEP_2)
	v_add_co_ci_u32_e64 v24, null, s27, v24, s17
	s_wait_dscnt 0x0
	global_store_b64 v[23:24], v[20:21], off
	s_wait_alu 0xfffe
	s_or_b32 exec_lo, exec_lo, s18
	s_and_saveexec_b32 s17, s16
	s_cbranch_execz .LBB399_300
.LBB399_332:                            ;   in Loop: Header=BB399_228 Depth=2
	v_lshlrev_b32_e32 v2, 2, v88
	v_add_nc_u32_e32 v20, v1, v47
	ds_load_b32 v2, v2
	ds_load_b64 v[20:21], v20 offset:11264
	s_wait_dscnt 0x1
	v_add_nc_u32_e32 v2, v2, v35
	s_delay_alu instid0(VALU_DEP_1) | instskip(NEXT) | instid1(VALU_DEP_1)
	v_lshlrev_b64_e32 v[23:24], 3, v[2:3]
	v_add_co_u32 v23, s16, s26, v23
	s_wait_alu 0xf1ff
	s_delay_alu instid0(VALU_DEP_2)
	v_add_co_ci_u32_e64 v24, null, s27, v24, s16
	s_wait_dscnt 0x0
	global_store_b64 v[23:24], v[20:21], off
	s_wait_alu 0xfffe
	s_or_b32 exec_lo, exec_lo, s17
	s_and_saveexec_b32 s16, s15
	s_cbranch_execz .LBB399_301
.LBB399_333:                            ;   in Loop: Header=BB399_228 Depth=2
	v_lshlrev_b32_e32 v2, 2, v87
	v_add_nc_u32_e32 v20, v1, v47
	ds_load_b32 v2, v2
	ds_load_b64 v[20:21], v20 offset:13312
	s_wait_dscnt 0x1
	v_add_nc_u32_e32 v2, v2, v36
	s_delay_alu instid0(VALU_DEP_1) | instskip(NEXT) | instid1(VALU_DEP_1)
	v_lshlrev_b64_e32 v[23:24], 3, v[2:3]
	v_add_co_u32 v23, s15, s26, v23
	s_wait_alu 0xf1ff
	s_delay_alu instid0(VALU_DEP_2)
	v_add_co_ci_u32_e64 v24, null, s27, v24, s15
	s_wait_dscnt 0x0
	global_store_b64 v[23:24], v[20:21], off
	s_wait_alu 0xfffe
	s_or_b32 exec_lo, exec_lo, s16
	s_and_saveexec_b32 s15, vcc_lo
	s_cbranch_execnz .LBB399_302
	s_branch .LBB399_303
.LBB399_334:                            ;   in Loop: Header=BB399_228 Depth=2
	global_load_u8 v94, v[20:21], off
	v_dual_mov_b32 v22, 0x7f :: v_dual_mov_b32 v27, 0x7f
	v_dual_mov_b32 v96, 0x7f :: v_dual_mov_b32 v25, 0x7f
	;; [unrolled: 1-line block ×3, first 2 shown]
	v_mov_b32_e32 v24, 0x7f
	s_wait_alu 0xfffe
	s_or_b32 exec_lo, exec_lo, s15
	s_delay_alu instid0(SALU_CYCLE_1)
	s_mov_b32 s15, exec_lo
	v_cmpx_gt_u32_e64 s42, v71
	s_cbranch_execz .LBB399_233
.LBB399_335:                            ;   in Loop: Header=BB399_228 Depth=2
	global_load_u8 v96, v[20:21], off offset:32
	s_wait_alu 0xfffe
	s_or_b32 exec_lo, exec_lo, s15
	s_delay_alu instid0(SALU_CYCLE_1)
	s_mov_b32 s15, exec_lo
	v_cmpx_gt_u32_e64 s42, v72
	s_cbranch_execz .LBB399_234
.LBB399_336:                            ;   in Loop: Header=BB399_228 Depth=2
	global_load_u8 v27, v[20:21], off offset:64
	s_wait_alu 0xfffe
	s_or_b32 exec_lo, exec_lo, s15
	s_delay_alu instid0(SALU_CYCLE_1)
	s_mov_b32 s15, exec_lo
	v_cmpx_gt_u32_e64 s42, v73
	s_cbranch_execz .LBB399_235
.LBB399_337:                            ;   in Loop: Header=BB399_228 Depth=2
	global_load_u8 v26, v[20:21], off offset:96
	s_wait_alu 0xfffe
	s_or_b32 exec_lo, exec_lo, s15
	s_delay_alu instid0(SALU_CYCLE_1)
	s_mov_b32 s15, exec_lo
	v_cmpx_gt_u32_e64 s42, v74
	s_cbranch_execz .LBB399_236
.LBB399_338:                            ;   in Loop: Header=BB399_228 Depth=2
	global_load_u8 v25, v[20:21], off offset:128
	s_wait_alu 0xfffe
	s_or_b32 exec_lo, exec_lo, s15
	s_delay_alu instid0(SALU_CYCLE_1)
	s_mov_b32 s15, exec_lo
	v_cmpx_gt_u32_e64 s42, v75
	s_cbranch_execz .LBB399_237
.LBB399_339:                            ;   in Loop: Header=BB399_228 Depth=2
	global_load_u8 v24, v[20:21], off offset:160
	s_wait_alu 0xfffe
	s_or_b32 exec_lo, exec_lo, s15
	s_delay_alu instid0(SALU_CYCLE_1)
	s_mov_b32 s15, exec_lo
	v_cmpx_gt_u32_e64 s42, v76
	s_cbranch_execnz .LBB399_238
	s_branch .LBB399_239
.LBB399_340:                            ;   in Loop: Header=BB399_12 Depth=1
	s_wait_loadcnt_dscnt 0x0
	s_barrier_signal -1
	s_barrier_wait -1
.LBB399_341:                            ;   in Loop: Header=BB399_12 Depth=1
	s_mov_b32 s0, 0
.LBB399_342:                            ;   in Loop: Header=BB399_12 Depth=1
	s_wait_alu 0xfffe
	s_and_not1_b32 vcc_lo, exec_lo, s0
	s_wait_alu 0xfffe
	s_cbranch_vccnz .LBB399_11
; %bb.343:                              ;   in Loop: Header=BB399_12 Depth=1
	s_and_b32 vcc_lo, exec_lo, s35
	s_mov_b32 s0, -1
	s_wait_alu 0xfffe
	s_cbranch_vccz .LBB399_507
; %bb.344:                              ;   in Loop: Header=BB399_12 Depth=1
	v_dual_mov_b32 v7, 0 :: v_dual_mov_b32 v10, 0
	v_dual_mov_b32 v9, 0 :: v_dual_mov_b32 v8, 0
	;; [unrolled: 1-line block ×3, first 2 shown]
	v_mov_b32_e32 v4, 0
	v_mov_b32_e32 v2, 0
	s_mov_b32 s9, s47
	s_mov_b32 s22, s33
	s_barrier_signal -1
	s_barrier_wait -1
	global_inv scope:SCOPE_SE
	s_branch .LBB399_346
.LBB399_345:                            ;   in Loop: Header=BB399_346 Depth=2
	s_wait_alu 0xfffe
	s_or_b32 exec_lo, exec_lo, s0
	s_addk_co_i32 s9, 0xf800
	s_cmp_ge_u32 s10, s34
	s_mov_b32 s22, s10
	s_cbranch_scc1 .LBB399_382
.LBB399_346:                            ;   Parent Loop BB399_12 Depth=1
                                        ; =>  This Inner Loop Header: Depth=2
	s_wait_alu 0xfffe
	s_add_co_i32 s10, s22, 0x800
	s_mov_b32 s0, -1
	s_wait_alu 0xfffe
	s_cmp_gt_u32 s10, s34
                                        ; implicit-def: $vgpr11
                                        ; implicit-def: $vgpr12
                                        ; implicit-def: $vgpr13
                                        ; implicit-def: $vgpr14
                                        ; implicit-def: $vgpr15
                                        ; implicit-def: $vgpr16
                                        ; implicit-def: $vgpr17
                                        ; implicit-def: $vgpr18
	s_cbranch_scc1 .LBB399_348
; %bb.347:                              ;   in Loop: Header=BB399_346 Depth=2
	v_add_co_u32 v19, vcc_lo, v54, s22
	s_wait_alu 0xfffd
	v_add_co_ci_u32_e64 v20, null, 0, v55, vcc_lo
	s_mov_b32 s0, 0
	s_clause 0x7
	global_load_u8 v18, v[19:20], off offset:1792
	global_load_u8 v17, v[19:20], off offset:1536
	;; [unrolled: 1-line block ×7, first 2 shown]
	global_load_u8 v11, v[19:20], off
.LBB399_348:                            ;   in Loop: Header=BB399_346 Depth=2
	s_wait_alu 0xfffe
	s_and_not1_b32 vcc_lo, exec_lo, s0
	s_movk_i32 s0, 0x800
	s_wait_alu 0xfffe
	s_cbranch_vccnz .LBB399_359
; %bb.349:                              ;   in Loop: Header=BB399_346 Depth=2
	s_add_nc_u64 s[0:1], s[36:37], s[22:23]
	s_mov_b32 s11, exec_lo
	v_cmpx_gt_u32_e64 s9, v1
	s_cbranch_execnz .LBB399_375
; %bb.350:                              ;   in Loop: Header=BB399_346 Depth=2
	s_wait_alu 0xfffe
	s_or_b32 exec_lo, exec_lo, s11
	s_delay_alu instid0(SALU_CYCLE_1)
	s_mov_b32 s11, exec_lo
	v_cmpx_gt_u32_e64 s9, v29
	s_cbranch_execnz .LBB399_376
.LBB399_351:                            ;   in Loop: Header=BB399_346 Depth=2
	s_wait_alu 0xfffe
	s_or_b32 exec_lo, exec_lo, s11
	s_delay_alu instid0(SALU_CYCLE_1)
	s_mov_b32 s11, exec_lo
	v_cmpx_gt_u32_e64 s9, v30
	s_cbranch_execnz .LBB399_377
.LBB399_352:                            ;   in Loop: Header=BB399_346 Depth=2
	s_wait_alu 0xfffe
	s_or_b32 exec_lo, exec_lo, s11
	s_delay_alu instid0(SALU_CYCLE_1)
	s_mov_b32 s11, exec_lo
	v_cmpx_gt_u32_e64 s9, v31
	s_cbranch_execnz .LBB399_378
.LBB399_353:                            ;   in Loop: Header=BB399_346 Depth=2
	s_wait_alu 0xfffe
	s_or_b32 exec_lo, exec_lo, s11
	s_delay_alu instid0(SALU_CYCLE_1)
	s_mov_b32 s11, exec_lo
	v_cmpx_gt_u32_e64 s9, v34
	s_cbranch_execnz .LBB399_379
.LBB399_354:                            ;   in Loop: Header=BB399_346 Depth=2
	s_wait_alu 0xfffe
	s_or_b32 exec_lo, exec_lo, s11
	s_delay_alu instid0(SALU_CYCLE_1)
	s_mov_b32 s11, exec_lo
	v_cmpx_gt_u32_e64 s9, v35
	s_cbranch_execnz .LBB399_380
.LBB399_355:                            ;   in Loop: Header=BB399_346 Depth=2
	s_wait_alu 0xfffe
	s_or_b32 exec_lo, exec_lo, s11
	s_delay_alu instid0(SALU_CYCLE_1)
	s_mov_b32 s11, exec_lo
	v_cmpx_gt_u32_e64 s9, v36
	s_cbranch_execnz .LBB399_381
.LBB399_356:                            ;   in Loop: Header=BB399_346 Depth=2
	s_wait_alu 0xfffe
	s_or_b32 exec_lo, exec_lo, s11
	s_delay_alu instid0(SALU_CYCLE_1)
	s_mov_b32 s11, exec_lo
	v_cmpx_gt_u32_e64 s9, v37
	s_cbranch_execz .LBB399_358
.LBB399_357:                            ;   in Loop: Header=BB399_346 Depth=2
	s_wait_loadcnt 0x0
	v_add_co_u32 v11, s0, s0, v1
	s_wait_alu 0xf1ff
	v_add_co_ci_u32_e64 v12, null, s1, 0, s0
	global_load_u8 v2, v[11:12], off offset:1792
.LBB399_358:                            ;   in Loop: Header=BB399_346 Depth=2
	s_wait_alu 0xfffe
	s_or_b32 exec_lo, exec_lo, s11
	s_wait_loadcnt 0x0
	v_dual_mov_b32 v11, v7 :: v_dual_mov_b32 v12, v10
	v_dual_mov_b32 v13, v9 :: v_dual_mov_b32 v14, v8
	v_dual_mov_b32 v15, v6 :: v_dual_mov_b32 v16, v5
	v_dual_mov_b32 v17, v4 :: v_dual_mov_b32 v18, v2
	s_mov_b32 s0, s9
.LBB399_359:                            ;   in Loop: Header=BB399_346 Depth=2
	s_wait_loadcnt 0x5
	s_delay_alu instid0(VALU_DEP_1)
	v_dual_mov_b32 v2, v18 :: v_dual_mov_b32 v5, v16
	s_wait_loadcnt 0x2
	v_dual_mov_b32 v4, v17 :: v_dual_mov_b32 v9, v13
	s_wait_loadcnt 0x0
	v_dual_mov_b32 v6, v15 :: v_dual_mov_b32 v7, v11
	v_mov_b32_e32 v8, v14
	v_mov_b32_e32 v10, v12
	s_mov_b32 s1, exec_lo
	s_wait_alu 0xfffe
	v_cmpx_gt_u32_e64 s0, v1
	s_cbranch_execnz .LBB399_367
; %bb.360:                              ;   in Loop: Header=BB399_346 Depth=2
	s_or_b32 exec_lo, exec_lo, s1
	s_delay_alu instid0(SALU_CYCLE_1)
	s_mov_b32 s1, exec_lo
	v_cmpx_gt_u32_e64 s0, v29
	s_cbranch_execnz .LBB399_368
.LBB399_361:                            ;   in Loop: Header=BB399_346 Depth=2
	s_wait_alu 0xfffe
	s_or_b32 exec_lo, exec_lo, s1
	s_delay_alu instid0(SALU_CYCLE_1)
	s_mov_b32 s1, exec_lo
	v_cmpx_gt_u32_e64 s0, v30
	s_cbranch_execnz .LBB399_369
.LBB399_362:                            ;   in Loop: Header=BB399_346 Depth=2
	s_wait_alu 0xfffe
	s_or_b32 exec_lo, exec_lo, s1
	s_delay_alu instid0(SALU_CYCLE_1)
	s_mov_b32 s1, exec_lo
	v_cmpx_gt_u32_e64 s0, v31
	s_cbranch_execnz .LBB399_370
.LBB399_363:                            ;   in Loop: Header=BB399_346 Depth=2
	s_wait_alu 0xfffe
	s_or_b32 exec_lo, exec_lo, s1
	s_delay_alu instid0(SALU_CYCLE_1)
	s_mov_b32 s1, exec_lo
	v_cmpx_gt_u32_e64 s0, v34
	s_cbranch_execnz .LBB399_371
.LBB399_364:                            ;   in Loop: Header=BB399_346 Depth=2
	s_wait_alu 0xfffe
	s_or_b32 exec_lo, exec_lo, s1
	s_delay_alu instid0(SALU_CYCLE_1)
	s_mov_b32 s1, exec_lo
	v_cmpx_gt_u32_e64 s0, v35
	s_cbranch_execnz .LBB399_372
.LBB399_365:                            ;   in Loop: Header=BB399_346 Depth=2
	s_wait_alu 0xfffe
	s_or_b32 exec_lo, exec_lo, s1
	s_delay_alu instid0(SALU_CYCLE_1)
	s_mov_b32 s1, exec_lo
	v_cmpx_gt_u32_e64 s0, v36
	s_cbranch_execnz .LBB399_373
.LBB399_366:                            ;   in Loop: Header=BB399_346 Depth=2
	s_wait_alu 0xfffe
	s_or_b32 exec_lo, exec_lo, s1
	v_cmp_gt_u32_e32 vcc_lo, s0, v37
	s_and_saveexec_b32 s0, vcc_lo
	s_cbranch_execz .LBB399_345
	s_branch .LBB399_374
.LBB399_367:                            ;   in Loop: Header=BB399_346 Depth=2
	v_xor_b32_e32 v11, 0x80, v7
	s_delay_alu instid0(VALU_DEP_1) | instskip(NEXT) | instid1(VALU_DEP_1)
	v_and_b32_e32 v11, 0xff, v11
	v_lshrrev_b32_e32 v11, s45, v11
	s_delay_alu instid0(VALU_DEP_1) | instskip(NEXT) | instid1(VALU_DEP_1)
	v_and_b32_e32 v11, s31, v11
	v_lshl_or_b32 v11, v11, 4, v39
	ds_add_u32 v11, v61
	s_or_b32 exec_lo, exec_lo, s1
	s_delay_alu instid0(SALU_CYCLE_1)
	s_mov_b32 s1, exec_lo
	v_cmpx_gt_u32_e64 s0, v29
	s_cbranch_execz .LBB399_361
.LBB399_368:                            ;   in Loop: Header=BB399_346 Depth=2
	v_xor_b32_e32 v11, 0x80, v10
	s_delay_alu instid0(VALU_DEP_1) | instskip(NEXT) | instid1(VALU_DEP_1)
	v_and_b32_e32 v11, 0xff, v11
	v_lshrrev_b32_e32 v11, s45, v11
	s_delay_alu instid0(VALU_DEP_1) | instskip(NEXT) | instid1(VALU_DEP_1)
	v_and_b32_e32 v11, s31, v11
	v_lshl_or_b32 v11, v11, 4, v39
	ds_add_u32 v11, v61
	s_wait_alu 0xfffe
	s_or_b32 exec_lo, exec_lo, s1
	s_delay_alu instid0(SALU_CYCLE_1)
	s_mov_b32 s1, exec_lo
	v_cmpx_gt_u32_e64 s0, v30
	s_cbranch_execz .LBB399_362
.LBB399_369:                            ;   in Loop: Header=BB399_346 Depth=2
	v_xor_b32_e32 v11, 0x80, v9
	s_delay_alu instid0(VALU_DEP_1) | instskip(NEXT) | instid1(VALU_DEP_1)
	v_and_b32_e32 v11, 0xff, v11
	v_lshrrev_b32_e32 v11, s45, v11
	s_delay_alu instid0(VALU_DEP_1) | instskip(NEXT) | instid1(VALU_DEP_1)
	v_and_b32_e32 v11, s31, v11
	v_lshl_or_b32 v11, v11, 4, v39
	ds_add_u32 v11, v61
	s_wait_alu 0xfffe
	s_or_b32 exec_lo, exec_lo, s1
	s_delay_alu instid0(SALU_CYCLE_1)
	s_mov_b32 s1, exec_lo
	v_cmpx_gt_u32_e64 s0, v31
	s_cbranch_execz .LBB399_363
.LBB399_370:                            ;   in Loop: Header=BB399_346 Depth=2
	v_xor_b32_e32 v11, 0x80, v8
	s_delay_alu instid0(VALU_DEP_1) | instskip(NEXT) | instid1(VALU_DEP_1)
	v_and_b32_e32 v11, 0xff, v11
	v_lshrrev_b32_e32 v11, s45, v11
	s_delay_alu instid0(VALU_DEP_1) | instskip(NEXT) | instid1(VALU_DEP_1)
	v_and_b32_e32 v11, s31, v11
	v_lshl_or_b32 v11, v11, 4, v39
	ds_add_u32 v11, v61
	s_wait_alu 0xfffe
	s_or_b32 exec_lo, exec_lo, s1
	s_delay_alu instid0(SALU_CYCLE_1)
	s_mov_b32 s1, exec_lo
	v_cmpx_gt_u32_e64 s0, v34
	s_cbranch_execz .LBB399_364
.LBB399_371:                            ;   in Loop: Header=BB399_346 Depth=2
	v_xor_b32_e32 v11, 0x80, v6
	s_delay_alu instid0(VALU_DEP_1) | instskip(NEXT) | instid1(VALU_DEP_1)
	v_and_b32_e32 v11, 0xff, v11
	v_lshrrev_b32_e32 v11, s45, v11
	s_delay_alu instid0(VALU_DEP_1) | instskip(NEXT) | instid1(VALU_DEP_1)
	v_and_b32_e32 v11, s31, v11
	v_lshl_or_b32 v11, v11, 4, v39
	ds_add_u32 v11, v61
	s_wait_alu 0xfffe
	s_or_b32 exec_lo, exec_lo, s1
	s_delay_alu instid0(SALU_CYCLE_1)
	s_mov_b32 s1, exec_lo
	v_cmpx_gt_u32_e64 s0, v35
	s_cbranch_execz .LBB399_365
.LBB399_372:                            ;   in Loop: Header=BB399_346 Depth=2
	v_xor_b32_e32 v11, 0x80, v5
	s_delay_alu instid0(VALU_DEP_1) | instskip(NEXT) | instid1(VALU_DEP_1)
	v_and_b32_e32 v11, 0xff, v11
	v_lshrrev_b32_e32 v11, s45, v11
	s_delay_alu instid0(VALU_DEP_1) | instskip(NEXT) | instid1(VALU_DEP_1)
	v_and_b32_e32 v11, s31, v11
	v_lshl_or_b32 v11, v11, 4, v39
	ds_add_u32 v11, v61
	s_wait_alu 0xfffe
	s_or_b32 exec_lo, exec_lo, s1
	s_delay_alu instid0(SALU_CYCLE_1)
	s_mov_b32 s1, exec_lo
	v_cmpx_gt_u32_e64 s0, v36
	s_cbranch_execz .LBB399_366
.LBB399_373:                            ;   in Loop: Header=BB399_346 Depth=2
	v_xor_b32_e32 v11, 0x80, v4
	s_delay_alu instid0(VALU_DEP_1) | instskip(NEXT) | instid1(VALU_DEP_1)
	v_and_b32_e32 v11, 0xff, v11
	v_lshrrev_b32_e32 v11, s45, v11
	s_delay_alu instid0(VALU_DEP_1) | instskip(NEXT) | instid1(VALU_DEP_1)
	v_and_b32_e32 v11, s31, v11
	v_lshl_or_b32 v11, v11, 4, v39
	ds_add_u32 v11, v61
	s_wait_alu 0xfffe
	s_or_b32 exec_lo, exec_lo, s1
	v_cmp_gt_u32_e32 vcc_lo, s0, v37
	s_and_saveexec_b32 s0, vcc_lo
	s_cbranch_execz .LBB399_345
.LBB399_374:                            ;   in Loop: Header=BB399_346 Depth=2
	v_xor_b32_e32 v11, 0x80, v2
	s_delay_alu instid0(VALU_DEP_1) | instskip(NEXT) | instid1(VALU_DEP_1)
	v_and_b32_e32 v11, 0xff, v11
	v_lshrrev_b32_e32 v11, s45, v11
	s_delay_alu instid0(VALU_DEP_1) | instskip(NEXT) | instid1(VALU_DEP_1)
	v_and_b32_e32 v11, s31, v11
	v_lshl_or_b32 v11, v11, 4, v39
	ds_add_u32 v11, v61
	s_branch .LBB399_345
.LBB399_375:                            ;   in Loop: Header=BB399_346 Depth=2
	s_wait_loadcnt 0x0
	s_wait_alu 0xfffe
	v_add_co_u32 v11, s12, s0, v1
	s_wait_alu 0xf1ff
	v_add_co_ci_u32_e64 v12, null, s1, 0, s12
	global_load_u8 v7, v[11:12], off
	s_or_b32 exec_lo, exec_lo, s11
	s_delay_alu instid0(SALU_CYCLE_1)
	s_mov_b32 s11, exec_lo
	v_cmpx_gt_u32_e64 s9, v29
	s_cbranch_execz .LBB399_351
.LBB399_376:                            ;   in Loop: Header=BB399_346 Depth=2
	v_add_co_u32 v10, s12, s0, v1
	s_wait_loadcnt 0x0
	s_wait_alu 0xf1ff
	v_add_co_ci_u32_e64 v11, null, s1, 0, s12
	global_load_u8 v10, v[10:11], off offset:256
	s_wait_alu 0xfffe
	s_or_b32 exec_lo, exec_lo, s11
	s_delay_alu instid0(SALU_CYCLE_1)
	s_mov_b32 s11, exec_lo
	v_cmpx_gt_u32_e64 s9, v30
	s_cbranch_execz .LBB399_352
.LBB399_377:                            ;   in Loop: Header=BB399_346 Depth=2
	s_wait_loadcnt 0x0
	v_add_co_u32 v11, s12, s0, v1
	s_wait_alu 0xf1ff
	v_add_co_ci_u32_e64 v12, null, s1, 0, s12
	global_load_u8 v9, v[11:12], off offset:512
	s_wait_alu 0xfffe
	s_or_b32 exec_lo, exec_lo, s11
	s_delay_alu instid0(SALU_CYCLE_1)
	s_mov_b32 s11, exec_lo
	v_cmpx_gt_u32_e64 s9, v31
	s_cbranch_execz .LBB399_353
.LBB399_378:                            ;   in Loop: Header=BB399_346 Depth=2
	s_wait_loadcnt 0x0
	v_add_co_u32 v11, s12, s0, v1
	s_wait_alu 0xf1ff
	v_add_co_ci_u32_e64 v12, null, s1, 0, s12
	global_load_u8 v8, v[11:12], off offset:768
	s_wait_alu 0xfffe
	s_or_b32 exec_lo, exec_lo, s11
	s_delay_alu instid0(SALU_CYCLE_1)
	s_mov_b32 s11, exec_lo
	v_cmpx_gt_u32_e64 s9, v34
	s_cbranch_execz .LBB399_354
.LBB399_379:                            ;   in Loop: Header=BB399_346 Depth=2
	s_wait_loadcnt 0x0
	v_add_co_u32 v11, s12, s0, v1
	s_wait_alu 0xf1ff
	v_add_co_ci_u32_e64 v12, null, s1, 0, s12
	global_load_u8 v6, v[11:12], off offset:1024
	s_wait_alu 0xfffe
	s_or_b32 exec_lo, exec_lo, s11
	s_delay_alu instid0(SALU_CYCLE_1)
	s_mov_b32 s11, exec_lo
	v_cmpx_gt_u32_e64 s9, v35
	s_cbranch_execz .LBB399_355
.LBB399_380:                            ;   in Loop: Header=BB399_346 Depth=2
	s_wait_loadcnt 0x0
	v_add_co_u32 v11, s12, s0, v1
	s_wait_alu 0xf1ff
	v_add_co_ci_u32_e64 v12, null, s1, 0, s12
	global_load_u8 v5, v[11:12], off offset:1280
	s_wait_alu 0xfffe
	s_or_b32 exec_lo, exec_lo, s11
	s_delay_alu instid0(SALU_CYCLE_1)
	s_mov_b32 s11, exec_lo
	v_cmpx_gt_u32_e64 s9, v36
	s_cbranch_execz .LBB399_356
.LBB399_381:                            ;   in Loop: Header=BB399_346 Depth=2
	s_wait_loadcnt 0x0
	v_add_co_u32 v11, s12, s0, v1
	s_wait_alu 0xf1ff
	v_add_co_ci_u32_e64 v12, null, s1, 0, s12
	global_load_u8 v4, v[11:12], off offset:1536
	s_wait_alu 0xfffe
	s_or_b32 exec_lo, exec_lo, s11
	s_delay_alu instid0(SALU_CYCLE_1)
	s_mov_b32 s11, exec_lo
	v_cmpx_gt_u32_e64 s9, v37
	s_cbranch_execnz .LBB399_357
	s_branch .LBB399_358
.LBB399_382:                            ;   in Loop: Header=BB399_12 Depth=1
	v_mov_b32_e32 v2, 0
	s_wait_dscnt 0x0
	s_barrier_signal -1
	s_barrier_wait -1
	global_inv scope:SCOPE_SE
	s_and_saveexec_b32 s0, s2
	s_cbranch_execz .LBB399_384
; %bb.383:                              ;   in Loop: Header=BB399_12 Depth=1
	ds_load_2addr_b64 v[4:7], v40 offset1:1
	s_wait_dscnt 0x0
	v_add_nc_u32_e32 v2, v5, v4
	s_delay_alu instid0(VALU_DEP_1)
	v_add3_u32 v2, v2, v6, v7
.LBB399_384:                            ;   in Loop: Header=BB399_12 Depth=1
	s_wait_alu 0xfffe
	s_or_b32 exec_lo, exec_lo, s0
	s_delay_alu instid0(VALU_DEP_1)
	v_mov_b32_dpp v4, v2 row_shr:1 row_mask:0xf bank_mask:0xf
	v_cmp_eq_u32_e64 s0, 0, v62
	v_cmp_lt_u32_e64 s1, 1, v62
	v_cmp_lt_u32_e64 s9, 3, v62
	;; [unrolled: 1-line block ×3, first 2 shown]
	v_cmp_eq_u32_e64 s11, 0, v64
	s_wait_alu 0xf1ff
	v_cndmask_b32_e64 v4, v4, 0, s0
	s_delay_alu instid0(VALU_DEP_1) | instskip(NEXT) | instid1(VALU_DEP_1)
	v_add_nc_u32_e32 v2, v4, v2
	v_mov_b32_dpp v4, v2 row_shr:2 row_mask:0xf bank_mask:0xf
	s_delay_alu instid0(VALU_DEP_1) | instskip(NEXT) | instid1(VALU_DEP_1)
	v_cndmask_b32_e64 v4, 0, v4, s1
	v_add_nc_u32_e32 v2, v2, v4
	s_delay_alu instid0(VALU_DEP_1) | instskip(NEXT) | instid1(VALU_DEP_1)
	v_mov_b32_dpp v4, v2 row_shr:4 row_mask:0xf bank_mask:0xf
	v_cndmask_b32_e64 v4, 0, v4, s9
	s_delay_alu instid0(VALU_DEP_1) | instskip(NEXT) | instid1(VALU_DEP_1)
	v_add_nc_u32_e32 v2, v2, v4
	v_mov_b32_dpp v4, v2 row_shr:8 row_mask:0xf bank_mask:0xf
	s_delay_alu instid0(VALU_DEP_1) | instskip(NEXT) | instid1(VALU_DEP_1)
	v_cndmask_b32_e64 v4, 0, v4, s10
	v_add_nc_u32_e32 v2, v2, v4
	ds_swizzle_b32 v4, v2 offset:swizzle(BROADCAST,32,15)
	s_wait_dscnt 0x0
	v_and_b32_e32 v4, v63, v4
	s_delay_alu instid0(VALU_DEP_1)
	v_add_nc_u32_e32 v2, v2, v4
	s_and_saveexec_b32 s12, s3
; %bb.385:                              ;   in Loop: Header=BB399_12 Depth=1
	ds_store_b32 v41, v2
; %bb.386:                              ;   in Loop: Header=BB399_12 Depth=1
	s_wait_alu 0xfffe
	s_or_b32 exec_lo, exec_lo, s12
	s_wait_loadcnt_dscnt 0x0
	s_barrier_signal -1
	s_barrier_wait -1
	global_inv scope:SCOPE_SE
	s_and_saveexec_b32 s12, s4
	s_cbranch_execz .LBB399_388
; %bb.387:                              ;   in Loop: Header=BB399_12 Depth=1
	ds_load_b32 v4, v42
	v_cmp_ne_u32_e32 vcc_lo, 0, v65
	s_wait_dscnt 0x0
	v_mov_b32_dpp v5, v4 row_shr:1 row_mask:0xf bank_mask:0xf
	s_wait_alu 0xfffd
	s_delay_alu instid0(VALU_DEP_1) | instskip(SKIP_1) | instid1(VALU_DEP_2)
	v_cndmask_b32_e32 v5, 0, v5, vcc_lo
	v_cmp_lt_u32_e32 vcc_lo, 1, v65
	v_add_nc_u32_e32 v4, v5, v4
	s_delay_alu instid0(VALU_DEP_1) | instskip(SKIP_1) | instid1(VALU_DEP_1)
	v_mov_b32_dpp v5, v4 row_shr:2 row_mask:0xf bank_mask:0xf
	s_wait_alu 0xfffd
	v_cndmask_b32_e32 v5, 0, v5, vcc_lo
	v_cmp_lt_u32_e32 vcc_lo, 3, v65
	s_delay_alu instid0(VALU_DEP_2) | instskip(NEXT) | instid1(VALU_DEP_1)
	v_add_nc_u32_e32 v4, v4, v5
	v_mov_b32_dpp v5, v4 row_shr:4 row_mask:0xf bank_mask:0xf
	s_wait_alu 0xfffd
	s_delay_alu instid0(VALU_DEP_1) | instskip(NEXT) | instid1(VALU_DEP_1)
	v_cndmask_b32_e32 v5, 0, v5, vcc_lo
	v_add_nc_u32_e32 v4, v4, v5
	ds_store_b32 v42, v4
.LBB399_388:                            ;   in Loop: Header=BB399_12 Depth=1
	s_wait_alu 0xfffe
	s_or_b32 exec_lo, exec_lo, s12
	v_mov_b32_e32 v4, 0
	s_wait_loadcnt_dscnt 0x0
	s_barrier_signal -1
	s_barrier_wait -1
	global_inv scope:SCOPE_SE
	s_and_saveexec_b32 s12, s5
; %bb.389:                              ;   in Loop: Header=BB399_12 Depth=1
	ds_load_b32 v4, v43
; %bb.390:                              ;   in Loop: Header=BB399_12 Depth=1
	s_wait_alu 0xfffe
	s_or_b32 exec_lo, exec_lo, s12
	v_cmp_gt_i32_e32 vcc_lo, 0, v67
	s_wait_dscnt 0x0
	v_add_nc_u32_e32 v2, v4, v2
	s_wait_loadcnt 0x0
	s_barrier_signal -1
	s_barrier_wait -1
	s_wait_alu 0xfffd
	v_cndmask_b32_e32 v5, v67, v58, vcc_lo
	global_inv scope:SCOPE_SE
	v_lshlrev_b32_e32 v80, 2, v5
	ds_bpermute_b32 v2, v80, v2
	s_and_saveexec_b32 s12, s2
	s_cbranch_execz .LBB399_392
; %bb.391:                              ;   in Loop: Header=BB399_12 Depth=1
	s_wait_dscnt 0x0
	v_cndmask_b32_e64 v2, v2, v4, s8
	s_delay_alu instid0(VALU_DEP_1)
	v_add_nc_u32_e32 v2, s33, v2
	ds_store_b32 v28, v2
.LBB399_392:                            ;   in Loop: Header=BB399_12 Depth=1
	s_wait_alu 0xfffe
	s_or_b32 exec_lo, exec_lo, s12
	s_load_b64 s[12:13], s[28:29], 0x0
	v_add_co_u32 v81, vcc_lo, v56, v66
	s_wait_alu 0xfffd
	v_add_co_ci_u32_e64 v82, null, 0, v57, vcc_lo
	v_add_co_u32 v83, vcc_lo, v59, v58
	s_wait_alu 0xfffd
	v_add_co_ci_u32_e64 v84, null, 0, v60, vcc_lo
	s_mov_b32 s42, s47
                                        ; implicit-def: $vgpr6_vgpr7
                                        ; implicit-def: $vgpr8_vgpr9
                                        ; implicit-def: $vgpr10_vgpr11
                                        ; implicit-def: $vgpr12_vgpr13
                                        ; implicit-def: $vgpr14_vgpr15
                                        ; implicit-def: $vgpr16_vgpr17
                                        ; implicit-def: $vgpr18_vgpr19
                                        ; implicit-def: $vgpr86
                                        ; implicit-def: $vgpr87
                                        ; implicit-def: $vgpr88
                                        ; implicit-def: $vgpr89
                                        ; implicit-def: $vgpr90
                                        ; implicit-def: $vgpr91
                                        ; implicit-def: $vgpr92
                                        ; implicit-def: $vgpr93
	s_wait_kmcnt 0x0
	s_cmp_lt_u32 ttmp7, s13
	s_cselect_b32 s22, 14, 20
	s_cmp_lt_u32 ttmp9, s12
	s_wait_alu 0xfffe
	s_add_nc_u64 s[14:15], s[28:29], s[22:23]
	s_cselect_b32 s22, 12, 18
	s_load_u16 s14, s[14:15], 0x0
	s_add_nc_u64 s[12:13], s[28:29], s[22:23]
	s_mov_b32 s22, s33
	s_load_u16 s12, s[12:13], 0x0
	v_cmp_lt_u32_e64 s13, 1, v65
	s_wait_dscnt 0x0
	s_wait_kmcnt 0x0
	v_mad_u32_u24 v2, v44, s14, v0
	v_cmp_lt_u32_e64 s14, 3, v65
	s_delay_alu instid0(VALU_DEP_2) | instskip(SKIP_1) | instid1(VALU_DEP_2)
	v_mad_co_u64_u32 v[4:5], null, v2, s12, v[1:2]
	v_cmp_eq_u32_e64 s12, 0, v65
	v_lshrrev_b32_e32 v2, 3, v4
                                        ; implicit-def: $vgpr4_vgpr5
	s_delay_alu instid0(VALU_DEP_1)
	v_and_b32_e32 v85, 0x1ffffffc, v2
	s_branch .LBB399_394
.LBB399_393:                            ;   in Loop: Header=BB399_394 Depth=2
	s_wait_alu 0xfffe
	s_or_b32 exec_lo, exec_lo, s15
	s_addk_co_i32 s42, 0xf800
	s_cmp_lt_u32 s43, s34
	s_mov_b32 s22, s43
	s_cbranch_scc0 .LBB399_506
.LBB399_394:                            ;   Parent Loop BB399_12 Depth=1
                                        ; =>  This Inner Loop Header: Depth=2
	s_wait_alu 0xfffe
	s_add_co_i32 s43, s22, 0x800
	s_wait_alu 0xfffe
	s_cmp_gt_u32 s43, s34
	s_cbranch_scc1 .LBB399_396
; %bb.395:                              ;   in Loop: Header=BB399_394 Depth=2
	v_add_co_u32 v20, vcc_lo, v83, s22
	s_wait_alu 0xfffd
	v_add_co_ci_u32_e64 v21, null, 0, v84, vcc_lo
	s_mov_b32 s15, -1
	s_clause 0x6
	global_load_u8 v23, v[20:21], off offset:192
	global_load_u8 v24, v[20:21], off offset:160
	;; [unrolled: 1-line block ×6, first 2 shown]
	global_load_u8 v94, v[20:21], off
	s_movk_i32 s16, 0x800
                                        ; implicit-def: $vgpr22
	s_cbranch_execz .LBB399_397
	s_branch .LBB399_406
.LBB399_396:                            ;   in Loop: Header=BB399_394 Depth=2
	s_mov_b32 s15, 0
                                        ; implicit-def: $vgpr94
                                        ; implicit-def: $vgpr96
                                        ; implicit-def: $vgpr27
                                        ; implicit-def: $vgpr26
                                        ; implicit-def: $vgpr25
                                        ; implicit-def: $vgpr24
                                        ; implicit-def: $vgpr23
	s_movk_i32 s16, 0x800
                                        ; implicit-def: $vgpr22
.LBB399_397:                            ;   in Loop: Header=BB399_394 Depth=2
	v_add_co_u32 v20, vcc_lo, v83, s22
	s_wait_alu 0xfffd
	v_add_co_ci_u32_e64 v21, null, 0, v84, vcc_lo
	s_wait_loadcnt 0x2
	v_dual_mov_b32 v22, 0x7f :: v_dual_mov_b32 v27, 0x7f
	s_wait_loadcnt 0x0
	v_dual_mov_b32 v94, 0x7f :: v_dual_mov_b32 v25, 0x7f
	v_dual_mov_b32 v96, 0x7f :: v_dual_mov_b32 v23, 0x7f
	v_mov_b32_e32 v26, 0x7f
	v_mov_b32_e32 v24, 0x7f
	s_mov_b32 s15, exec_lo
	v_cmpx_gt_u32_e64 s42, v68
	s_cbranch_execnz .LBB399_500
; %bb.398:                              ;   in Loop: Header=BB399_394 Depth=2
	s_wait_alu 0xfffe
	s_or_b32 exec_lo, exec_lo, s15
	s_delay_alu instid0(SALU_CYCLE_1)
	s_mov_b32 s15, exec_lo
	v_cmpx_gt_u32_e64 s42, v71
	s_cbranch_execnz .LBB399_501
.LBB399_399:                            ;   in Loop: Header=BB399_394 Depth=2
	s_wait_alu 0xfffe
	s_or_b32 exec_lo, exec_lo, s15
	s_delay_alu instid0(SALU_CYCLE_1)
	s_mov_b32 s15, exec_lo
	v_cmpx_gt_u32_e64 s42, v72
	s_cbranch_execnz .LBB399_502
.LBB399_400:                            ;   in Loop: Header=BB399_394 Depth=2
	s_wait_alu 0xfffe
	s_or_b32 exec_lo, exec_lo, s15
	s_delay_alu instid0(SALU_CYCLE_1)
	s_mov_b32 s15, exec_lo
	v_cmpx_gt_u32_e64 s42, v73
	s_cbranch_execnz .LBB399_503
.LBB399_401:                            ;   in Loop: Header=BB399_394 Depth=2
	s_wait_alu 0xfffe
	s_or_b32 exec_lo, exec_lo, s15
	s_delay_alu instid0(SALU_CYCLE_1)
	s_mov_b32 s15, exec_lo
	v_cmpx_gt_u32_e64 s42, v74
	s_cbranch_execnz .LBB399_504
.LBB399_402:                            ;   in Loop: Header=BB399_394 Depth=2
	s_wait_alu 0xfffe
	s_or_b32 exec_lo, exec_lo, s15
	s_delay_alu instid0(SALU_CYCLE_1)
	s_mov_b32 s15, exec_lo
	v_cmpx_gt_u32_e64 s42, v75
	s_cbranch_execnz .LBB399_505
.LBB399_403:                            ;   in Loop: Header=BB399_394 Depth=2
	s_wait_alu 0xfffe
	s_or_b32 exec_lo, exec_lo, s15
	s_delay_alu instid0(SALU_CYCLE_1)
	s_mov_b32 s15, exec_lo
	v_cmpx_gt_u32_e64 s42, v76
	s_cbranch_execz .LBB399_405
.LBB399_404:                            ;   in Loop: Header=BB399_394 Depth=2
	global_load_u8 v23, v[20:21], off offset:192
.LBB399_405:                            ;   in Loop: Header=BB399_394 Depth=2
	s_wait_alu 0xfffe
	s_or_b32 exec_lo, exec_lo, s15
	v_cmp_gt_u32_e64 s15, s42, v77
	s_sub_co_i32 s16, s34, s22
.LBB399_406:                            ;   in Loop: Header=BB399_394 Depth=2
	v_mov_b32_e32 v2, s42
	s_wait_alu 0xfffe
	s_and_saveexec_b32 s17, s15
	s_cbranch_execz .LBB399_408
; %bb.407:                              ;   in Loop: Header=BB399_394 Depth=2
	v_add_co_u32 v20, vcc_lo, v83, s22
	s_wait_alu 0xfffd
	v_add_co_ci_u32_e64 v21, null, s23, v84, vcc_lo
	v_mov_b32_e32 v2, s16
	global_load_u8 v22, v[20:21], off offset:224
.LBB399_408:                            ;   in Loop: Header=BB399_394 Depth=2
	s_wait_alu 0xfffe
	s_or_b32 exec_lo, exec_lo, s17
	s_wait_loadcnt 0x0
	v_xor_b32_e32 v94, 0xffffff80, v94
	s_delay_alu instid0(VALU_DEP_1) | instskip(NEXT) | instid1(VALU_DEP_1)
	v_and_b32_e32 v20, 0xff, v94
	v_lshrrev_b32_e32 v20, s45, v20
	s_delay_alu instid0(VALU_DEP_1) | instskip(NEXT) | instid1(VALU_DEP_1)
	v_and_b32_e32 v21, s31, v20
	v_and_b32_e32 v20, 1, v21
	v_lshlrev_b32_e32 v95, 30, v21
	v_lshlrev_b32_e32 v97, 29, v21
	;; [unrolled: 1-line block ×4, first 2 shown]
	v_add_co_u32 v20, s15, v20, -1
	s_wait_alu 0xf1ff
	v_cndmask_b32_e64 v99, 0, 1, s15
	v_not_b32_e32 v103, v95
	v_cmp_gt_i32_e64 s15, 0, v95
	v_not_b32_e32 v95, v97
	v_lshlrev_b32_e32 v101, 26, v21
	v_cmp_ne_u32_e32 vcc_lo, 0, v99
	v_ashrrev_i32_e32 v103, 31, v103
	v_lshlrev_b32_e32 v102, 25, v21
	v_ashrrev_i32_e32 v95, 31, v95
	v_lshlrev_b32_e32 v99, 24, v21
	s_wait_alu 0xfffd
	v_xor_b32_e32 v20, vcc_lo, v20
	v_cmp_gt_i32_e32 vcc_lo, 0, v97
	v_not_b32_e32 v97, v98
	s_wait_alu 0xf1ff
	v_xor_b32_e32 v103, s15, v103
	v_cmp_gt_i32_e64 s15, 0, v98
	v_and_b32_e32 v20, exec_lo, v20
	v_not_b32_e32 v98, v100
	v_ashrrev_i32_e32 v97, 31, v97
	s_wait_alu 0xfffd
	v_xor_b32_e32 v95, vcc_lo, v95
	v_cmp_gt_i32_e32 vcc_lo, 0, v100
	v_and_b32_e32 v20, v20, v103
	v_not_b32_e32 v100, v101
	v_ashrrev_i32_e32 v98, 31, v98
	s_wait_alu 0xf1ff
	v_xor_b32_e32 v97, s15, v97
	v_cmp_gt_i32_e64 s15, 0, v101
	v_and_b32_e32 v20, v20, v95
	v_not_b32_e32 v95, v102
	v_ashrrev_i32_e32 v100, 31, v100
	s_wait_alu 0xfffd
	v_xor_b32_e32 v98, vcc_lo, v98
	v_cmp_gt_i32_e32 vcc_lo, 0, v102
	v_and_b32_e32 v20, v20, v97
	v_not_b32_e32 v97, v99
	v_ashrrev_i32_e32 v95, 31, v95
	s_wait_alu 0xf1ff
	v_xor_b32_e32 v100, s15, v100
	v_cmp_gt_i32_e64 s15, 0, v99
	v_and_b32_e32 v20, v20, v98
	v_ashrrev_i32_e32 v97, 31, v97
	s_wait_alu 0xfffd
	v_xor_b32_e32 v95, vcc_lo, v95
	v_mul_u32_u24_e32 v21, 36, v21
	v_add_nc_u32_e32 v99, 0x428, v45
	v_and_b32_e32 v20, v20, v100
	s_wait_alu 0xf1ff
	v_xor_b32_e32 v98, s15, v97
	v_add_nc_u32_e32 v97, 0x438, v45
	v_add_nc_u32_e32 v100, 0x430, v45
	;; [unrolled: 1-line block ×3, first 2 shown]
	v_and_b32_e32 v20, v20, v95
	ds_store_2addr_b32 v97, v3, v3 offset1:1
	v_and_b32_e32 v20, v20, v98
	v_add_nc_u32_e32 v98, 0x420, v45
	ds_store_2addr_b32 v98, v3, v3 offset1:1
	ds_store_2addr_b32 v99, v3, v3 offset1:1
	;; [unrolled: 1-line block ×3, first 2 shown]
	ds_store_b32 v45, v3 offset:1088
	v_mbcnt_lo_u32_b32 v95, v20, 0
	v_cmp_ne_u32_e64 s15, 0, v20
	s_wait_dscnt 0x0
	s_barrier_signal -1
	s_barrier_wait -1
	v_cmp_eq_u32_e32 vcc_lo, 0, v95
	global_inv scope:SCOPE_SE
	; wave barrier
	s_and_b32 s16, s15, vcc_lo
	s_wait_alu 0xfffe
	s_and_saveexec_b32 s15, s16
; %bb.409:                              ;   in Loop: Header=BB399_394 Depth=2
	v_bcnt_u32_b32 v20, v20, 0
	ds_store_b32 v101, v20 offset:1056
; %bb.410:                              ;   in Loop: Header=BB399_394 Depth=2
	s_wait_alu 0xfffe
	s_or_b32 exec_lo, exec_lo, s15
	v_xor_b32_e32 v96, 0xffffff80, v96
	; wave barrier
	s_delay_alu instid0(VALU_DEP_1) | instskip(NEXT) | instid1(VALU_DEP_1)
	v_and_b32_e32 v20, 0xff, v96
	v_lshrrev_b32_e32 v20, s45, v20
	s_delay_alu instid0(VALU_DEP_1) | instskip(NEXT) | instid1(VALU_DEP_1)
	v_and_b32_e32 v21, s31, v20
	v_and_b32_e32 v20, 1, v21
	v_lshlrev_b32_e32 v102, 30, v21
	v_lshlrev_b32_e32 v103, 29, v21
	;; [unrolled: 1-line block ×4, first 2 shown]
	v_add_co_u32 v20, s15, v20, -1
	s_wait_alu 0xf1ff
	v_cndmask_b32_e64 v105, 0, 1, s15
	v_not_b32_e32 v109, v102
	v_cmp_gt_i32_e64 s15, 0, v102
	v_not_b32_e32 v102, v103
	v_lshlrev_b32_e32 v107, 26, v21
	v_cmp_ne_u32_e32 vcc_lo, 0, v105
	v_ashrrev_i32_e32 v109, 31, v109
	v_lshlrev_b32_e32 v108, 25, v21
	v_ashrrev_i32_e32 v102, 31, v102
	v_lshlrev_b32_e32 v105, 24, v21
	s_wait_alu 0xfffd
	v_xor_b32_e32 v20, vcc_lo, v20
	v_cmp_gt_i32_e32 vcc_lo, 0, v103
	v_not_b32_e32 v103, v104
	s_wait_alu 0xf1ff
	v_xor_b32_e32 v109, s15, v109
	v_cmp_gt_i32_e64 s15, 0, v104
	v_and_b32_e32 v20, exec_lo, v20
	v_not_b32_e32 v104, v106
	v_ashrrev_i32_e32 v103, 31, v103
	s_wait_alu 0xfffd
	v_xor_b32_e32 v102, vcc_lo, v102
	v_cmp_gt_i32_e32 vcc_lo, 0, v106
	v_and_b32_e32 v20, v20, v109
	v_not_b32_e32 v106, v107
	v_ashrrev_i32_e32 v104, 31, v104
	s_wait_alu 0xf1ff
	v_xor_b32_e32 v103, s15, v103
	v_cmp_gt_i32_e64 s15, 0, v107
	v_and_b32_e32 v20, v20, v102
	v_not_b32_e32 v102, v108
	v_ashrrev_i32_e32 v106, 31, v106
	s_wait_alu 0xfffd
	v_xor_b32_e32 v104, vcc_lo, v104
	v_cmp_gt_i32_e32 vcc_lo, 0, v108
	v_and_b32_e32 v20, v20, v103
	v_not_b32_e32 v103, v105
	v_ashrrev_i32_e32 v102, 31, v102
	s_wait_alu 0xf1ff
	v_xor_b32_e32 v106, s15, v106
	v_cmp_gt_i32_e64 s15, 0, v105
	v_and_b32_e32 v20, v20, v104
	v_ashrrev_i32_e32 v103, 31, v103
	s_wait_alu 0xfffd
	v_xor_b32_e32 v102, vcc_lo, v102
	v_mad_u32_u24 v104, v21, 36, v85
	v_mul_u32_u24_e32 v21, 36, v21
	v_and_b32_e32 v20, v20, v106
	s_wait_alu 0xf1ff
	v_xor_b32_e32 v103, s15, v103
	s_delay_alu instid0(VALU_DEP_3) | instskip(NEXT) | instid1(VALU_DEP_3)
	v_add_nc_u32_e32 v105, v85, v21
	v_and_b32_e32 v20, v20, v102
	ds_load_b32 v102, v104 offset:1056
	; wave barrier
	v_and_b32_e32 v20, v20, v103
	s_delay_alu instid0(VALU_DEP_1) | instskip(SKIP_1) | instid1(VALU_DEP_2)
	v_mbcnt_lo_u32_b32 v103, v20, 0
	v_cmp_ne_u32_e64 s15, 0, v20
	v_cmp_eq_u32_e32 vcc_lo, 0, v103
	s_and_b32 s16, s15, vcc_lo
	s_wait_alu 0xfffe
	s_and_saveexec_b32 s15, s16
	s_cbranch_execz .LBB399_412
; %bb.411:                              ;   in Loop: Header=BB399_394 Depth=2
	s_wait_dscnt 0x0
	v_bcnt_u32_b32 v20, v20, v102
	ds_store_b32 v105, v20 offset:1056
.LBB399_412:                            ;   in Loop: Header=BB399_394 Depth=2
	s_wait_alu 0xfffe
	s_or_b32 exec_lo, exec_lo, s15
	v_xor_b32_e32 v104, 0xffffff80, v27
	; wave barrier
	s_delay_alu instid0(VALU_DEP_1) | instskip(NEXT) | instid1(VALU_DEP_1)
	v_and_b32_e32 v20, 0xff, v104
	v_lshrrev_b32_e32 v20, s45, v20
	s_delay_alu instid0(VALU_DEP_1) | instskip(NEXT) | instid1(VALU_DEP_1)
	v_and_b32_e32 v21, s31, v20
	v_and_b32_e32 v20, 1, v21
	v_lshlrev_b32_e32 v27, 30, v21
	v_lshlrev_b32_e32 v106, 29, v21
	;; [unrolled: 1-line block ×4, first 2 shown]
	v_add_co_u32 v20, s15, v20, -1
	s_wait_alu 0xf1ff
	v_cndmask_b32_e64 v108, 0, 1, s15
	v_not_b32_e32 v112, v27
	v_cmp_gt_i32_e64 s15, 0, v27
	v_not_b32_e32 v27, v106
	v_lshlrev_b32_e32 v110, 26, v21
	v_cmp_ne_u32_e32 vcc_lo, 0, v108
	v_ashrrev_i32_e32 v112, 31, v112
	v_lshlrev_b32_e32 v111, 25, v21
	v_ashrrev_i32_e32 v27, 31, v27
	v_lshlrev_b32_e32 v108, 24, v21
	s_wait_alu 0xfffd
	v_xor_b32_e32 v20, vcc_lo, v20
	v_cmp_gt_i32_e32 vcc_lo, 0, v106
	v_not_b32_e32 v106, v107
	s_wait_alu 0xf1ff
	v_xor_b32_e32 v112, s15, v112
	v_cmp_gt_i32_e64 s15, 0, v107
	v_and_b32_e32 v20, exec_lo, v20
	v_not_b32_e32 v107, v109
	v_ashrrev_i32_e32 v106, 31, v106
	s_wait_alu 0xfffd
	v_xor_b32_e32 v27, vcc_lo, v27
	v_cmp_gt_i32_e32 vcc_lo, 0, v109
	v_and_b32_e32 v20, v20, v112
	v_not_b32_e32 v109, v110
	v_ashrrev_i32_e32 v107, 31, v107
	s_wait_alu 0xf1ff
	v_xor_b32_e32 v106, s15, v106
	v_cmp_gt_i32_e64 s15, 0, v110
	v_and_b32_e32 v20, v20, v27
	v_not_b32_e32 v27, v111
	v_ashrrev_i32_e32 v109, 31, v109
	s_wait_alu 0xfffd
	v_xor_b32_e32 v107, vcc_lo, v107
	v_cmp_gt_i32_e32 vcc_lo, 0, v111
	v_and_b32_e32 v20, v20, v106
	v_not_b32_e32 v106, v108
	v_ashrrev_i32_e32 v27, 31, v27
	s_wait_alu 0xf1ff
	v_xor_b32_e32 v109, s15, v109
	v_cmp_gt_i32_e64 s15, 0, v108
	v_and_b32_e32 v20, v20, v107
	v_ashrrev_i32_e32 v106, 31, v106
	s_wait_alu 0xfffd
	v_xor_b32_e32 v27, vcc_lo, v27
	v_mad_u32_u24 v107, v21, 36, v85
	v_mul_u32_u24_e32 v21, 36, v21
	v_and_b32_e32 v20, v20, v109
	s_wait_alu 0xf1ff
	v_xor_b32_e32 v108, s15, v106
	ds_load_b32 v106, v107 offset:1056
	v_add_nc_u32_e32 v109, v85, v21
	v_and_b32_e32 v20, v20, v27
	; wave barrier
	s_delay_alu instid0(VALU_DEP_1) | instskip(NEXT) | instid1(VALU_DEP_1)
	v_and_b32_e32 v20, v20, v108
	v_mbcnt_lo_u32_b32 v107, v20, 0
	v_cmp_ne_u32_e64 s15, 0, v20
	s_delay_alu instid0(VALU_DEP_2)
	v_cmp_eq_u32_e32 vcc_lo, 0, v107
	s_and_b32 s16, s15, vcc_lo
	s_wait_alu 0xfffe
	s_and_saveexec_b32 s15, s16
	s_cbranch_execz .LBB399_414
; %bb.413:                              ;   in Loop: Header=BB399_394 Depth=2
	s_wait_dscnt 0x0
	v_bcnt_u32_b32 v20, v20, v106
	ds_store_b32 v109, v20 offset:1056
.LBB399_414:                            ;   in Loop: Header=BB399_394 Depth=2
	s_wait_alu 0xfffe
	s_or_b32 exec_lo, exec_lo, s15
	v_xor_b32_e32 v108, 0xffffff80, v26
	; wave barrier
	s_delay_alu instid0(VALU_DEP_1) | instskip(NEXT) | instid1(VALU_DEP_1)
	v_and_b32_e32 v20, 0xff, v108
	v_lshrrev_b32_e32 v20, s45, v20
	s_delay_alu instid0(VALU_DEP_1) | instskip(NEXT) | instid1(VALU_DEP_1)
	v_and_b32_e32 v21, s31, v20
	v_and_b32_e32 v20, 1, v21
	v_lshlrev_b32_e32 v26, 30, v21
	v_lshlrev_b32_e32 v27, 29, v21
	;; [unrolled: 1-line block ×4, first 2 shown]
	v_add_co_u32 v20, s15, v20, -1
	s_wait_alu 0xf1ff
	v_cndmask_b32_e64 v111, 0, 1, s15
	v_not_b32_e32 v115, v26
	v_cmp_gt_i32_e64 s15, 0, v26
	v_not_b32_e32 v26, v27
	v_lshlrev_b32_e32 v113, 26, v21
	v_cmp_ne_u32_e32 vcc_lo, 0, v111
	v_ashrrev_i32_e32 v115, 31, v115
	v_lshlrev_b32_e32 v114, 25, v21
	v_ashrrev_i32_e32 v26, 31, v26
	v_lshlrev_b32_e32 v111, 24, v21
	s_wait_alu 0xfffd
	v_xor_b32_e32 v20, vcc_lo, v20
	v_cmp_gt_i32_e32 vcc_lo, 0, v27
	v_not_b32_e32 v27, v110
	s_wait_alu 0xf1ff
	v_xor_b32_e32 v115, s15, v115
	v_cmp_gt_i32_e64 s15, 0, v110
	v_and_b32_e32 v20, exec_lo, v20
	v_not_b32_e32 v110, v112
	v_ashrrev_i32_e32 v27, 31, v27
	s_wait_alu 0xfffd
	v_xor_b32_e32 v26, vcc_lo, v26
	v_cmp_gt_i32_e32 vcc_lo, 0, v112
	v_and_b32_e32 v20, v20, v115
	v_not_b32_e32 v112, v113
	v_ashrrev_i32_e32 v110, 31, v110
	s_wait_alu 0xf1ff
	v_xor_b32_e32 v27, s15, v27
	v_cmp_gt_i32_e64 s15, 0, v113
	v_and_b32_e32 v20, v20, v26
	v_not_b32_e32 v26, v114
	v_ashrrev_i32_e32 v112, 31, v112
	s_wait_alu 0xfffd
	v_xor_b32_e32 v110, vcc_lo, v110
	v_cmp_gt_i32_e32 vcc_lo, 0, v114
	v_and_b32_e32 v20, v20, v27
	v_not_b32_e32 v27, v111
	v_ashrrev_i32_e32 v26, 31, v26
	s_wait_alu 0xf1ff
	v_xor_b32_e32 v112, s15, v112
	v_cmp_gt_i32_e64 s15, 0, v111
	v_and_b32_e32 v20, v20, v110
	v_ashrrev_i32_e32 v27, 31, v27
	s_wait_alu 0xfffd
	v_xor_b32_e32 v26, vcc_lo, v26
	v_mad_u32_u24 v110, v21, 36, v85
	v_mul_u32_u24_e32 v21, 36, v21
	v_and_b32_e32 v20, v20, v112
	s_wait_alu 0xf1ff
	v_xor_b32_e32 v27, s15, v27
	ds_load_b32 v110, v110 offset:1056
	v_add_nc_u32_e32 v113, v85, v21
	v_and_b32_e32 v20, v20, v26
	; wave barrier
	s_delay_alu instid0(VALU_DEP_1) | instskip(NEXT) | instid1(VALU_DEP_1)
	v_and_b32_e32 v20, v20, v27
	v_mbcnt_lo_u32_b32 v111, v20, 0
	v_cmp_ne_u32_e64 s15, 0, v20
	s_delay_alu instid0(VALU_DEP_2)
	v_cmp_eq_u32_e32 vcc_lo, 0, v111
	s_and_b32 s16, s15, vcc_lo
	s_wait_alu 0xfffe
	s_and_saveexec_b32 s15, s16
	s_cbranch_execz .LBB399_416
; %bb.415:                              ;   in Loop: Header=BB399_394 Depth=2
	s_wait_dscnt 0x0
	v_bcnt_u32_b32 v20, v20, v110
	ds_store_b32 v113, v20 offset:1056
.LBB399_416:                            ;   in Loop: Header=BB399_394 Depth=2
	s_wait_alu 0xfffe
	s_or_b32 exec_lo, exec_lo, s15
	v_xor_b32_e32 v112, 0xffffff80, v25
	; wave barrier
	s_delay_alu instid0(VALU_DEP_1) | instskip(NEXT) | instid1(VALU_DEP_1)
	v_and_b32_e32 v20, 0xff, v112
	v_lshrrev_b32_e32 v20, s45, v20
	s_delay_alu instid0(VALU_DEP_1) | instskip(NEXT) | instid1(VALU_DEP_1)
	v_and_b32_e32 v21, s31, v20
	v_and_b32_e32 v20, 1, v21
	v_lshlrev_b32_e32 v25, 30, v21
	v_lshlrev_b32_e32 v26, 29, v21
	;; [unrolled: 1-line block ×4, first 2 shown]
	v_add_co_u32 v20, s15, v20, -1
	s_wait_alu 0xf1ff
	v_cndmask_b32_e64 v114, 0, 1, s15
	v_not_b32_e32 v118, v25
	v_cmp_gt_i32_e64 s15, 0, v25
	v_not_b32_e32 v25, v26
	v_lshlrev_b32_e32 v116, 26, v21
	v_cmp_ne_u32_e32 vcc_lo, 0, v114
	v_ashrrev_i32_e32 v118, 31, v118
	v_lshlrev_b32_e32 v117, 25, v21
	v_ashrrev_i32_e32 v25, 31, v25
	v_lshlrev_b32_e32 v114, 24, v21
	s_wait_alu 0xfffd
	v_xor_b32_e32 v20, vcc_lo, v20
	v_cmp_gt_i32_e32 vcc_lo, 0, v26
	v_not_b32_e32 v26, v27
	s_wait_alu 0xf1ff
	v_xor_b32_e32 v118, s15, v118
	v_cmp_gt_i32_e64 s15, 0, v27
	v_and_b32_e32 v20, exec_lo, v20
	v_not_b32_e32 v27, v115
	v_ashrrev_i32_e32 v26, 31, v26
	s_wait_alu 0xfffd
	v_xor_b32_e32 v25, vcc_lo, v25
	v_cmp_gt_i32_e32 vcc_lo, 0, v115
	v_and_b32_e32 v20, v20, v118
	v_not_b32_e32 v115, v116
	v_ashrrev_i32_e32 v27, 31, v27
	s_wait_alu 0xf1ff
	v_xor_b32_e32 v26, s15, v26
	v_cmp_gt_i32_e64 s15, 0, v116
	v_and_b32_e32 v20, v20, v25
	v_not_b32_e32 v25, v117
	v_ashrrev_i32_e32 v115, 31, v115
	s_wait_alu 0xfffd
	v_xor_b32_e32 v27, vcc_lo, v27
	v_cmp_gt_i32_e32 vcc_lo, 0, v117
	v_and_b32_e32 v20, v20, v26
	v_not_b32_e32 v26, v114
	v_ashrrev_i32_e32 v25, 31, v25
	s_wait_alu 0xf1ff
	v_xor_b32_e32 v115, s15, v115
	v_cmp_gt_i32_e64 s15, 0, v114
	v_and_b32_e32 v20, v20, v27
	v_ashrrev_i32_e32 v26, 31, v26
	s_wait_alu 0xfffd
	v_xor_b32_e32 v25, vcc_lo, v25
	v_mad_u32_u24 v27, v21, 36, v85
	v_mul_u32_u24_e32 v21, 36, v21
	v_and_b32_e32 v20, v20, v115
	s_wait_alu 0xf1ff
	v_xor_b32_e32 v26, s15, v26
	ds_load_b32 v114, v27 offset:1056
	v_add_nc_u32_e32 v117, v85, v21
	v_and_b32_e32 v20, v20, v25
	; wave barrier
	s_delay_alu instid0(VALU_DEP_1) | instskip(NEXT) | instid1(VALU_DEP_1)
	v_and_b32_e32 v20, v20, v26
	v_mbcnt_lo_u32_b32 v115, v20, 0
	v_cmp_ne_u32_e64 s15, 0, v20
	s_delay_alu instid0(VALU_DEP_2)
	v_cmp_eq_u32_e32 vcc_lo, 0, v115
	s_and_b32 s16, s15, vcc_lo
	s_wait_alu 0xfffe
	s_and_saveexec_b32 s15, s16
	s_cbranch_execz .LBB399_418
; %bb.417:                              ;   in Loop: Header=BB399_394 Depth=2
	s_wait_dscnt 0x0
	v_bcnt_u32_b32 v20, v20, v114
	ds_store_b32 v117, v20 offset:1056
.LBB399_418:                            ;   in Loop: Header=BB399_394 Depth=2
	s_wait_alu 0xfffe
	s_or_b32 exec_lo, exec_lo, s15
	v_xor_b32_e32 v116, 0xffffff80, v24
	; wave barrier
	s_delay_alu instid0(VALU_DEP_1) | instskip(NEXT) | instid1(VALU_DEP_1)
	v_and_b32_e32 v20, 0xff, v116
	v_lshrrev_b32_e32 v20, s45, v20
	s_delay_alu instid0(VALU_DEP_1) | instskip(NEXT) | instid1(VALU_DEP_1)
	v_and_b32_e32 v21, s31, v20
	v_and_b32_e32 v20, 1, v21
	v_lshlrev_b32_e32 v24, 30, v21
	v_lshlrev_b32_e32 v25, 29, v21
	;; [unrolled: 1-line block ×4, first 2 shown]
	v_add_co_u32 v20, s15, v20, -1
	s_wait_alu 0xf1ff
	v_cndmask_b32_e64 v27, 0, 1, s15
	v_not_b32_e32 v121, v24
	v_cmp_gt_i32_e64 s15, 0, v24
	v_not_b32_e32 v24, v25
	v_lshlrev_b32_e32 v119, 26, v21
	v_cmp_ne_u32_e32 vcc_lo, 0, v27
	v_ashrrev_i32_e32 v121, 31, v121
	v_lshlrev_b32_e32 v120, 25, v21
	v_ashrrev_i32_e32 v24, 31, v24
	v_lshlrev_b32_e32 v27, 24, v21
	s_wait_alu 0xfffd
	v_xor_b32_e32 v20, vcc_lo, v20
	v_cmp_gt_i32_e32 vcc_lo, 0, v25
	v_not_b32_e32 v25, v26
	s_wait_alu 0xf1ff
	v_xor_b32_e32 v121, s15, v121
	v_cmp_gt_i32_e64 s15, 0, v26
	v_and_b32_e32 v20, exec_lo, v20
	v_not_b32_e32 v26, v118
	v_ashrrev_i32_e32 v25, 31, v25
	s_wait_alu 0xfffd
	v_xor_b32_e32 v24, vcc_lo, v24
	v_cmp_gt_i32_e32 vcc_lo, 0, v118
	v_and_b32_e32 v20, v20, v121
	v_not_b32_e32 v118, v119
	v_ashrrev_i32_e32 v26, 31, v26
	s_wait_alu 0xf1ff
	v_xor_b32_e32 v25, s15, v25
	v_cmp_gt_i32_e64 s15, 0, v119
	v_and_b32_e32 v20, v20, v24
	v_not_b32_e32 v24, v120
	v_ashrrev_i32_e32 v118, 31, v118
	s_wait_alu 0xfffd
	v_xor_b32_e32 v26, vcc_lo, v26
	v_cmp_gt_i32_e32 vcc_lo, 0, v120
	v_and_b32_e32 v20, v20, v25
	v_not_b32_e32 v25, v27
	v_ashrrev_i32_e32 v24, 31, v24
	s_wait_alu 0xf1ff
	v_xor_b32_e32 v118, s15, v118
	v_cmp_gt_i32_e64 s15, 0, v27
	v_and_b32_e32 v20, v20, v26
	v_ashrrev_i32_e32 v25, 31, v25
	s_wait_alu 0xfffd
	v_xor_b32_e32 v24, vcc_lo, v24
	v_mad_u32_u24 v26, v21, 36, v85
	v_mul_u32_u24_e32 v21, 36, v21
	v_and_b32_e32 v20, v20, v118
	s_wait_alu 0xf1ff
	v_xor_b32_e32 v25, s15, v25
	ds_load_b32 v118, v26 offset:1056
	v_add_nc_u32_e32 v121, v85, v21
	v_and_b32_e32 v20, v20, v24
	; wave barrier
	s_delay_alu instid0(VALU_DEP_1) | instskip(NEXT) | instid1(VALU_DEP_1)
	v_and_b32_e32 v20, v20, v25
	v_mbcnt_lo_u32_b32 v119, v20, 0
	v_cmp_ne_u32_e64 s15, 0, v20
	s_delay_alu instid0(VALU_DEP_2)
	v_cmp_eq_u32_e32 vcc_lo, 0, v119
	s_and_b32 s16, s15, vcc_lo
	s_wait_alu 0xfffe
	s_and_saveexec_b32 s15, s16
	s_cbranch_execz .LBB399_420
; %bb.419:                              ;   in Loop: Header=BB399_394 Depth=2
	s_wait_dscnt 0x0
	v_bcnt_u32_b32 v20, v20, v118
	ds_store_b32 v121, v20 offset:1056
.LBB399_420:                            ;   in Loop: Header=BB399_394 Depth=2
	s_wait_alu 0xfffe
	s_or_b32 exec_lo, exec_lo, s15
	v_xor_b32_e32 v120, 0xffffff80, v23
	; wave barrier
	s_delay_alu instid0(VALU_DEP_1) | instskip(NEXT) | instid1(VALU_DEP_1)
	v_and_b32_e32 v20, 0xff, v120
	v_lshrrev_b32_e32 v20, s45, v20
	s_delay_alu instid0(VALU_DEP_1) | instskip(NEXT) | instid1(VALU_DEP_1)
	v_and_b32_e32 v21, s31, v20
	v_and_b32_e32 v20, 1, v21
	v_lshlrev_b32_e32 v23, 30, v21
	v_lshlrev_b32_e32 v24, 29, v21
	;; [unrolled: 1-line block ×4, first 2 shown]
	v_add_co_u32 v20, s15, v20, -1
	s_wait_alu 0xf1ff
	v_cndmask_b32_e64 v26, 0, 1, s15
	v_not_b32_e32 v124, v23
	v_cmp_gt_i32_e64 s15, 0, v23
	v_not_b32_e32 v23, v24
	v_lshlrev_b32_e32 v122, 26, v21
	v_cmp_ne_u32_e32 vcc_lo, 0, v26
	v_ashrrev_i32_e32 v124, 31, v124
	v_lshlrev_b32_e32 v123, 25, v21
	v_ashrrev_i32_e32 v23, 31, v23
	v_lshlrev_b32_e32 v26, 24, v21
	s_wait_alu 0xfffd
	v_xor_b32_e32 v20, vcc_lo, v20
	v_cmp_gt_i32_e32 vcc_lo, 0, v24
	v_not_b32_e32 v24, v25
	s_wait_alu 0xf1ff
	v_xor_b32_e32 v124, s15, v124
	v_cmp_gt_i32_e64 s15, 0, v25
	v_and_b32_e32 v20, exec_lo, v20
	v_not_b32_e32 v25, v27
	v_ashrrev_i32_e32 v24, 31, v24
	s_wait_alu 0xfffd
	v_xor_b32_e32 v23, vcc_lo, v23
	v_cmp_gt_i32_e32 vcc_lo, 0, v27
	v_and_b32_e32 v20, v20, v124
	v_not_b32_e32 v27, v122
	v_ashrrev_i32_e32 v25, 31, v25
	s_wait_alu 0xf1ff
	v_xor_b32_e32 v24, s15, v24
	v_cmp_gt_i32_e64 s15, 0, v122
	v_and_b32_e32 v20, v20, v23
	v_not_b32_e32 v23, v123
	v_ashrrev_i32_e32 v27, 31, v27
	s_wait_alu 0xfffd
	v_xor_b32_e32 v25, vcc_lo, v25
	v_cmp_gt_i32_e32 vcc_lo, 0, v123
	v_and_b32_e32 v20, v20, v24
	v_not_b32_e32 v24, v26
	v_ashrrev_i32_e32 v23, 31, v23
	s_wait_alu 0xf1ff
	v_xor_b32_e32 v27, s15, v27
	v_cmp_gt_i32_e64 s15, 0, v26
	v_and_b32_e32 v20, v20, v25
	v_ashrrev_i32_e32 v24, 31, v24
	s_wait_alu 0xfffd
	v_xor_b32_e32 v23, vcc_lo, v23
	v_mad_u32_u24 v25, v21, 36, v85
	v_mul_u32_u24_e32 v21, 36, v21
	v_and_b32_e32 v20, v20, v27
	s_wait_alu 0xf1ff
	v_xor_b32_e32 v24, s15, v24
	ds_load_b32 v122, v25 offset:1056
	v_add_nc_u32_e32 v125, v85, v21
	v_and_b32_e32 v20, v20, v23
	; wave barrier
	s_delay_alu instid0(VALU_DEP_1) | instskip(NEXT) | instid1(VALU_DEP_1)
	v_and_b32_e32 v20, v20, v24
	v_mbcnt_lo_u32_b32 v123, v20, 0
	v_cmp_ne_u32_e64 s15, 0, v20
	s_delay_alu instid0(VALU_DEP_2)
	v_cmp_eq_u32_e32 vcc_lo, 0, v123
	s_and_b32 s16, s15, vcc_lo
	s_wait_alu 0xfffe
	s_and_saveexec_b32 s15, s16
	s_cbranch_execz .LBB399_422
; %bb.421:                              ;   in Loop: Header=BB399_394 Depth=2
	s_wait_dscnt 0x0
	v_bcnt_u32_b32 v20, v20, v122
	ds_store_b32 v125, v20 offset:1056
.LBB399_422:                            ;   in Loop: Header=BB399_394 Depth=2
	s_wait_alu 0xfffe
	s_or_b32 exec_lo, exec_lo, s15
	v_xor_b32_e32 v124, 0xffffff80, v22
	; wave barrier
	s_delay_alu instid0(VALU_DEP_1) | instskip(NEXT) | instid1(VALU_DEP_1)
	v_and_b32_e32 v20, 0xff, v124
	v_lshrrev_b32_e32 v20, s45, v20
	s_delay_alu instid0(VALU_DEP_1) | instskip(NEXT) | instid1(VALU_DEP_1)
	v_and_b32_e32 v21, s31, v20
	v_and_b32_e32 v20, 1, v21
	v_lshlrev_b32_e32 v22, 30, v21
	v_lshlrev_b32_e32 v23, 29, v21
	;; [unrolled: 1-line block ×4, first 2 shown]
	v_add_co_u32 v20, s15, v20, -1
	s_wait_alu 0xf1ff
	v_cndmask_b32_e64 v25, 0, 1, s15
	v_not_b32_e32 v127, v22
	v_cmp_gt_i32_e64 s15, 0, v22
	v_not_b32_e32 v22, v23
	v_lshlrev_b32_e32 v27, 26, v21
	v_cmp_ne_u32_e32 vcc_lo, 0, v25
	v_ashrrev_i32_e32 v127, 31, v127
	v_lshlrev_b32_e32 v126, 25, v21
	v_ashrrev_i32_e32 v22, 31, v22
	v_lshlrev_b32_e32 v25, 24, v21
	s_wait_alu 0xfffd
	v_xor_b32_e32 v20, vcc_lo, v20
	v_cmp_gt_i32_e32 vcc_lo, 0, v23
	v_not_b32_e32 v23, v24
	s_wait_alu 0xf1ff
	v_xor_b32_e32 v127, s15, v127
	v_cmp_gt_i32_e64 s15, 0, v24
	v_and_b32_e32 v20, exec_lo, v20
	v_not_b32_e32 v24, v26
	v_ashrrev_i32_e32 v23, 31, v23
	s_wait_alu 0xfffd
	v_xor_b32_e32 v22, vcc_lo, v22
	v_cmp_gt_i32_e32 vcc_lo, 0, v26
	v_and_b32_e32 v20, v20, v127
	v_not_b32_e32 v26, v27
	v_ashrrev_i32_e32 v24, 31, v24
	s_wait_alu 0xf1ff
	v_xor_b32_e32 v23, s15, v23
	v_cmp_gt_i32_e64 s15, 0, v27
	v_and_b32_e32 v20, v20, v22
	v_not_b32_e32 v22, v126
	v_ashrrev_i32_e32 v26, 31, v26
	s_wait_alu 0xfffd
	v_xor_b32_e32 v24, vcc_lo, v24
	v_cmp_gt_i32_e32 vcc_lo, 0, v126
	v_and_b32_e32 v20, v20, v23
	v_not_b32_e32 v23, v25
	v_ashrrev_i32_e32 v22, 31, v22
	s_wait_alu 0xf1ff
	v_xor_b32_e32 v26, s15, v26
	v_cmp_gt_i32_e64 s15, 0, v25
	v_and_b32_e32 v20, v20, v24
	v_ashrrev_i32_e32 v23, 31, v23
	s_wait_alu 0xfffd
	v_xor_b32_e32 v22, vcc_lo, v22
	v_mad_u32_u24 v24, v21, 36, v85
	v_mul_u32_u24_e32 v21, 36, v21
	v_and_b32_e32 v20, v20, v26
	s_wait_alu 0xf1ff
	v_xor_b32_e32 v23, s15, v23
	ds_load_b32 v126, v24 offset:1056
	v_add_nc_u32_e32 v128, v85, v21
	v_and_b32_e32 v20, v20, v22
	; wave barrier
	s_delay_alu instid0(VALU_DEP_1) | instskip(NEXT) | instid1(VALU_DEP_1)
	v_and_b32_e32 v20, v20, v23
	v_mbcnt_lo_u32_b32 v127, v20, 0
	v_cmp_ne_u32_e64 s15, 0, v20
	s_delay_alu instid0(VALU_DEP_2)
	v_cmp_eq_u32_e32 vcc_lo, 0, v127
	s_and_b32 s16, s15, vcc_lo
	s_wait_alu 0xfffe
	s_and_saveexec_b32 s15, s16
	s_cbranch_execz .LBB399_424
; %bb.423:                              ;   in Loop: Header=BB399_394 Depth=2
	s_wait_dscnt 0x0
	v_bcnt_u32_b32 v20, v20, v126
	ds_store_b32 v128, v20 offset:1056
.LBB399_424:                            ;   in Loop: Header=BB399_394 Depth=2
	s_wait_alu 0xfffe
	s_or_b32 exec_lo, exec_lo, s15
	; wave barrier
	s_wait_loadcnt_dscnt 0x0
	s_barrier_signal -1
	s_barrier_wait -1
	global_inv scope:SCOPE_SE
	ds_load_2addr_b32 v[26:27], v98 offset1:1
	ds_load_2addr_b32 v[24:25], v99 offset1:1
	;; [unrolled: 1-line block ×4, first 2 shown]
	ds_load_b32 v129, v45 offset:1088
	s_wait_dscnt 0x3
	v_add3_u32 v130, v27, v26, v24
	s_wait_dscnt 0x2
	s_delay_alu instid0(VALU_DEP_1) | instskip(SKIP_1) | instid1(VALU_DEP_1)
	v_add3_u32 v130, v130, v25, v22
	s_wait_dscnt 0x1
	v_add3_u32 v130, v130, v23, v20
	s_wait_dscnt 0x0
	s_delay_alu instid0(VALU_DEP_1) | instskip(NEXT) | instid1(VALU_DEP_1)
	v_add3_u32 v129, v130, v21, v129
	v_mov_b32_dpp v130, v129 row_shr:1 row_mask:0xf bank_mask:0xf
	s_delay_alu instid0(VALU_DEP_1) | instskip(NEXT) | instid1(VALU_DEP_1)
	v_cndmask_b32_e64 v130, v130, 0, s0
	v_add_nc_u32_e32 v129, v130, v129
	s_delay_alu instid0(VALU_DEP_1) | instskip(NEXT) | instid1(VALU_DEP_1)
	v_mov_b32_dpp v130, v129 row_shr:2 row_mask:0xf bank_mask:0xf
	v_cndmask_b32_e64 v130, 0, v130, s1
	s_delay_alu instid0(VALU_DEP_1) | instskip(NEXT) | instid1(VALU_DEP_1)
	v_add_nc_u32_e32 v129, v129, v130
	v_mov_b32_dpp v130, v129 row_shr:4 row_mask:0xf bank_mask:0xf
	s_delay_alu instid0(VALU_DEP_1) | instskip(NEXT) | instid1(VALU_DEP_1)
	v_cndmask_b32_e64 v130, 0, v130, s9
	v_add_nc_u32_e32 v129, v129, v130
	s_delay_alu instid0(VALU_DEP_1) | instskip(NEXT) | instid1(VALU_DEP_1)
	v_mov_b32_dpp v130, v129 row_shr:8 row_mask:0xf bank_mask:0xf
	v_cndmask_b32_e64 v130, 0, v130, s10
	s_delay_alu instid0(VALU_DEP_1) | instskip(SKIP_3) | instid1(VALU_DEP_1)
	v_add_nc_u32_e32 v129, v129, v130
	ds_swizzle_b32 v130, v129 offset:swizzle(BROADCAST,32,15)
	s_wait_dscnt 0x0
	v_cndmask_b32_e64 v130, v130, 0, s11
	v_add_nc_u32_e32 v129, v129, v130
	s_and_saveexec_b32 s15, s3
; %bb.425:                              ;   in Loop: Header=BB399_394 Depth=2
	ds_store_b32 v38, v129 offset:1024
; %bb.426:                              ;   in Loop: Header=BB399_394 Depth=2
	s_wait_alu 0xfffe
	s_or_b32 exec_lo, exec_lo, s15
	s_wait_loadcnt_dscnt 0x0
	s_barrier_signal -1
	s_barrier_wait -1
	global_inv scope:SCOPE_SE
	s_and_saveexec_b32 s15, s4
	s_cbranch_execz .LBB399_428
; %bb.427:                              ;   in Loop: Header=BB399_394 Depth=2
	v_add_nc_u32_e32 v130, v45, v46
	ds_load_b32 v131, v130 offset:1024
	s_wait_dscnt 0x0
	v_mov_b32_dpp v132, v131 row_shr:1 row_mask:0xf bank_mask:0xf
	s_delay_alu instid0(VALU_DEP_1) | instskip(NEXT) | instid1(VALU_DEP_1)
	v_cndmask_b32_e64 v132, v132, 0, s12
	v_add_nc_u32_e32 v131, v132, v131
	s_delay_alu instid0(VALU_DEP_1) | instskip(NEXT) | instid1(VALU_DEP_1)
	v_mov_b32_dpp v132, v131 row_shr:2 row_mask:0xf bank_mask:0xf
	v_cndmask_b32_e64 v132, 0, v132, s13
	s_delay_alu instid0(VALU_DEP_1) | instskip(NEXT) | instid1(VALU_DEP_1)
	v_add_nc_u32_e32 v131, v131, v132
	v_mov_b32_dpp v132, v131 row_shr:4 row_mask:0xf bank_mask:0xf
	s_delay_alu instid0(VALU_DEP_1) | instskip(NEXT) | instid1(VALU_DEP_1)
	v_cndmask_b32_e64 v132, 0, v132, s14
	v_add_nc_u32_e32 v131, v131, v132
	ds_store_b32 v130, v131 offset:1024
.LBB399_428:                            ;   in Loop: Header=BB399_394 Depth=2
	s_wait_alu 0xfffe
	s_or_b32 exec_lo, exec_lo, s15
	v_mov_b32_e32 v130, 0
	s_wait_loadcnt_dscnt 0x0
	s_barrier_signal -1
	s_barrier_wait -1
	global_inv scope:SCOPE_SE
	s_and_saveexec_b32 s15, s5
; %bb.429:                              ;   in Loop: Header=BB399_394 Depth=2
	ds_load_b32 v130, v38 offset:1020
; %bb.430:                              ;   in Loop: Header=BB399_394 Depth=2
	s_wait_alu 0xfffe
	s_or_b32 exec_lo, exec_lo, s15
	s_wait_dscnt 0x0
	v_add_nc_u32_e32 v129, v130, v129
	ds_bpermute_b32 v129, v80, v129
	s_wait_dscnt 0x0
	v_cndmask_b32_e64 v129, v129, v130, s8
	s_delay_alu instid0(VALU_DEP_1) | instskip(NEXT) | instid1(VALU_DEP_1)
	v_cndmask_b32_e64 v129, v129, 0, s6
	v_add_nc_u32_e32 v26, v129, v26
	s_delay_alu instid0(VALU_DEP_1) | instskip(NEXT) | instid1(VALU_DEP_1)
	v_add_nc_u32_e32 v27, v26, v27
	v_add_nc_u32_e32 v24, v27, v24
	s_delay_alu instid0(VALU_DEP_1) | instskip(NEXT) | instid1(VALU_DEP_1)
	v_add_nc_u32_e32 v25, v24, v25
	v_add_nc_u32_e32 v22, v25, v22
	s_delay_alu instid0(VALU_DEP_1) | instskip(NEXT) | instid1(VALU_DEP_1)
	v_add_nc_u32_e32 v23, v22, v23
	v_add_nc_u32_e32 v20, v23, v20
	s_delay_alu instid0(VALU_DEP_1)
	v_add_nc_u32_e32 v21, v20, v21
	ds_store_2addr_b32 v97, v23, v20 offset1:1
	ds_store_2addr_b32 v98, v129, v26 offset1:1
	;; [unrolled: 1-line block ×4, first 2 shown]
	ds_store_b32 v45, v21 offset:1088
	s_wait_loadcnt_dscnt 0x0
	s_barrier_signal -1
	s_barrier_wait -1
	global_inv scope:SCOPE_SE
	ds_load_b32 v20, v101 offset:1056
	ds_load_b32 v21, v105 offset:1056
	;; [unrolled: 1-line block ×9, first 2 shown]
	v_mov_b32_e32 v22, 0x800
	s_and_saveexec_b32 s15, s7
; %bb.431:                              ;   in Loop: Header=BB399_394 Depth=2
	ds_load_b32 v22, v45 offset:1092
; %bb.432:                              ;   in Loop: Header=BB399_394 Depth=2
	s_wait_alu 0xfffe
	s_or_b32 exec_lo, exec_lo, s15
	s_wait_loadcnt_dscnt 0x0
	s_barrier_signal -1
	s_barrier_wait -1
	global_inv scope:SCOPE_SE
	s_and_saveexec_b32 s15, s2
	s_cbranch_execz .LBB399_434
; %bb.433:                              ;   in Loop: Header=BB399_394 Depth=2
	ds_load_b32 v27, v28
	s_wait_dscnt 0x0
	v_sub_nc_u32_e32 v26, v27, v26
	ds_store_b32 v28, v26
.LBB399_434:                            ;   in Loop: Header=BB399_394 Depth=2
	s_wait_alu 0xfffe
	s_or_b32 exec_lo, exec_lo, s15
	v_add_nc_u32_e32 v98, v20, v95
	v_add3_u32 v97, v103, v102, v21
	v_add3_u32 v95, v107, v106, v23
	v_add3_u32 v27, v111, v110, v24
	v_add3_u32 v26, v115, v114, v25
	v_add3_u32 v25, v119, v118, v99
	v_add3_u32 v24, v123, v122, v100
	v_add3_u32 v23, v127, v126, v101
	v_cmp_lt_u32_e64 s20, v1, v2
	ds_store_b8 v98, v94 offset:1024
	ds_store_b8 v97, v96 offset:1024
	;; [unrolled: 1-line block ×8, first 2 shown]
	s_wait_loadcnt_dscnt 0x0
	s_barrier_signal -1
	s_barrier_wait -1
	global_inv scope:SCOPE_SE
	s_and_saveexec_b32 s15, s20
	s_cbranch_execnz .LBB399_471
; %bb.435:                              ;   in Loop: Header=BB399_394 Depth=2
	s_wait_alu 0xfffe
	s_or_b32 exec_lo, exec_lo, s15
	v_cmp_lt_u32_e64 s21, v29, v2
	s_and_saveexec_b32 s15, s21
	s_cbranch_execnz .LBB399_472
.LBB399_436:                            ;   in Loop: Header=BB399_394 Depth=2
	s_wait_alu 0xfffe
	s_or_b32 exec_lo, exec_lo, s15
	v_cmp_lt_u32_e64 s19, v30, v2
	s_and_saveexec_b32 s15, s19
	s_cbranch_execnz .LBB399_473
.LBB399_437:                            ;   in Loop: Header=BB399_394 Depth=2
	s_wait_alu 0xfffe
	s_or_b32 exec_lo, exec_lo, s15
	v_cmp_lt_u32_e64 s18, v31, v2
	s_and_saveexec_b32 s15, s18
	s_cbranch_execnz .LBB399_474
.LBB399_438:                            ;   in Loop: Header=BB399_394 Depth=2
	s_wait_alu 0xfffe
	s_or_b32 exec_lo, exec_lo, s15
	v_cmp_lt_u32_e64 s17, v34, v2
	s_and_saveexec_b32 s15, s17
	s_cbranch_execnz .LBB399_475
.LBB399_439:                            ;   in Loop: Header=BB399_394 Depth=2
	s_wait_alu 0xfffe
	s_or_b32 exec_lo, exec_lo, s15
	v_cmp_lt_u32_e64 s16, v35, v2
	s_and_saveexec_b32 s15, s16
	s_cbranch_execnz .LBB399_476
.LBB399_440:                            ;   in Loop: Header=BB399_394 Depth=2
	s_wait_alu 0xfffe
	s_or_b32 exec_lo, exec_lo, s15
	v_cmp_lt_u32_e64 s15, v36, v2
	s_and_saveexec_b32 s44, s15
	s_cbranch_execnz .LBB399_477
.LBB399_441:                            ;   in Loop: Header=BB399_394 Depth=2
	s_wait_alu 0xfffe
	s_or_b32 exec_lo, exec_lo, s44
	v_cmp_lt_u32_e32 vcc_lo, v37, v2
	s_and_saveexec_b32 s44, vcc_lo
	s_cbranch_execz .LBB399_443
.LBB399_442:                            ;   in Loop: Header=BB399_394 Depth=2
	ds_load_u8 v20, v1 offset:2816
	s_wait_dscnt 0x0
	v_and_b32_e32 v21, 0xff, v20
	v_xor_b32_e32 v20, 0x80, v20
	s_delay_alu instid0(VALU_DEP_2) | instskip(NEXT) | instid1(VALU_DEP_1)
	v_lshrrev_b32_e32 v21, s45, v21
	v_and_b32_e32 v21, s31, v21
	s_delay_alu instid0(VALU_DEP_1)
	v_lshlrev_b32_e32 v21, 2, v21
	ds_load_b32 v21, v21
	s_wait_dscnt 0x0
	v_add_nc_u32_e32 v21, v21, v37
	global_store_b8 v21, v20, s[38:39]
.LBB399_443:                            ;   in Loop: Header=BB399_394 Depth=2
	s_wait_alu 0xfffe
	s_or_b32 exec_lo, exec_lo, s44
	s_lshl_b64 s[48:49], s[22:23], 3
	s_wait_alu 0xfffe
	v_add_co_u32 v20, s22, v81, s48
	s_wait_alu 0xf1ff
	v_add_co_ci_u32_e64 v21, null, s49, v82, s22
	v_cmp_lt_u32_e64 s22, v68, v2
	s_and_saveexec_b32 s44, s22
	s_wait_alu 0xfffe
	s_xor_b32 s22, exec_lo, s44
	s_cbranch_execnz .LBB399_478
; %bb.444:                              ;   in Loop: Header=BB399_394 Depth=2
	s_wait_alu 0xfffe
	s_or_b32 exec_lo, exec_lo, s22
	s_delay_alu instid0(SALU_CYCLE_1)
	s_mov_b32 s44, exec_lo
	v_cmpx_lt_u32_e64 v71, v2
	s_cbranch_execnz .LBB399_479
.LBB399_445:                            ;   in Loop: Header=BB399_394 Depth=2
	s_wait_alu 0xfffe
	s_or_b32 exec_lo, exec_lo, s44
	s_delay_alu instid0(SALU_CYCLE_1)
	s_mov_b32 s44, exec_lo
	v_cmpx_lt_u32_e64 v72, v2
	s_cbranch_execnz .LBB399_480
.LBB399_446:                            ;   in Loop: Header=BB399_394 Depth=2
	s_wait_alu 0xfffe
	s_or_b32 exec_lo, exec_lo, s44
	s_delay_alu instid0(SALU_CYCLE_1)
	s_mov_b32 s44, exec_lo
	v_cmpx_lt_u32_e64 v73, v2
	s_cbranch_execnz .LBB399_481
.LBB399_447:                            ;   in Loop: Header=BB399_394 Depth=2
	s_wait_alu 0xfffe
	s_or_b32 exec_lo, exec_lo, s44
	s_delay_alu instid0(SALU_CYCLE_1)
	s_mov_b32 s44, exec_lo
	v_cmpx_lt_u32_e64 v74, v2
	s_cbranch_execnz .LBB399_482
.LBB399_448:                            ;   in Loop: Header=BB399_394 Depth=2
	s_wait_alu 0xfffe
	s_or_b32 exec_lo, exec_lo, s44
	s_delay_alu instid0(SALU_CYCLE_1)
	s_mov_b32 s44, exec_lo
	v_cmpx_lt_u32_e64 v75, v2
	s_cbranch_execnz .LBB399_483
.LBB399_449:                            ;   in Loop: Header=BB399_394 Depth=2
	s_wait_alu 0xfffe
	s_or_b32 exec_lo, exec_lo, s44
	s_delay_alu instid0(SALU_CYCLE_1)
	s_mov_b32 s44, exec_lo
	v_cmpx_lt_u32_e64 v76, v2
	s_cbranch_execnz .LBB399_484
.LBB399_450:                            ;   in Loop: Header=BB399_394 Depth=2
	s_wait_alu 0xfffe
	s_or_b32 exec_lo, exec_lo, s44
	s_delay_alu instid0(SALU_CYCLE_1)
	s_mov_b32 s44, exec_lo
	v_cmpx_lt_u32_e64 v77, v2
	s_cbranch_execnz .LBB399_485
.LBB399_451:                            ;   in Loop: Header=BB399_394 Depth=2
	s_wait_alu 0xfffe
	s_or_b32 exec_lo, exec_lo, s44
	s_and_saveexec_b32 s22, s20
	s_cbranch_execnz .LBB399_486
.LBB399_452:                            ;   in Loop: Header=BB399_394 Depth=2
	s_wait_alu 0xfffe
	s_or_b32 exec_lo, exec_lo, s22
	s_and_saveexec_b32 s22, s21
	s_cbranch_execnz .LBB399_487
.LBB399_453:                            ;   in Loop: Header=BB399_394 Depth=2
	s_wait_alu 0xfffe
	s_or_b32 exec_lo, exec_lo, s22
	s_and_saveexec_b32 s22, s19
	s_cbranch_execnz .LBB399_488
.LBB399_454:                            ;   in Loop: Header=BB399_394 Depth=2
	s_wait_alu 0xfffe
	s_or_b32 exec_lo, exec_lo, s22
	s_and_saveexec_b32 s22, s18
	s_cbranch_execnz .LBB399_489
.LBB399_455:                            ;   in Loop: Header=BB399_394 Depth=2
	s_wait_alu 0xfffe
	s_or_b32 exec_lo, exec_lo, s22
	s_and_saveexec_b32 s22, s17
	s_cbranch_execnz .LBB399_490
.LBB399_456:                            ;   in Loop: Header=BB399_394 Depth=2
	s_wait_alu 0xfffe
	s_or_b32 exec_lo, exec_lo, s22
	s_and_saveexec_b32 s22, s16
	s_cbranch_execnz .LBB399_491
.LBB399_457:                            ;   in Loop: Header=BB399_394 Depth=2
	s_wait_alu 0xfffe
	s_or_b32 exec_lo, exec_lo, s22
	s_and_saveexec_b32 s22, s15
	s_cbranch_execnz .LBB399_492
.LBB399_458:                            ;   in Loop: Header=BB399_394 Depth=2
	s_wait_alu 0xfffe
	s_or_b32 exec_lo, exec_lo, s22
	s_and_saveexec_b32 s22, vcc_lo
	s_cbranch_execz .LBB399_460
.LBB399_459:                            ;   in Loop: Header=BB399_394 Depth=2
	ds_load_u8 v2, v1 offset:2816
	s_wait_dscnt 0x0
	v_lshrrev_b32_e32 v2, s45, v2
	s_delay_alu instid0(VALU_DEP_1)
	v_and_b32_e32 v86, s31, v2
.LBB399_460:                            ;   in Loop: Header=BB399_394 Depth=2
	s_wait_alu 0xfffe
	s_or_b32 exec_lo, exec_lo, s22
	v_lshlrev_b32_e32 v2, 3, v98
	v_lshlrev_b32_e32 v20, 3, v97
	;; [unrolled: 1-line block ×3, first 2 shown]
	s_wait_loadcnt 0x0
	s_wait_storecnt 0x0
	s_barrier_signal -1
	s_barrier_wait -1
	global_inv scope:SCOPE_SE
	ds_store_b64 v2, v[18:19] offset:1024
	ds_store_b64 v20, v[16:17] offset:1024
	;; [unrolled: 1-line block ×3, first 2 shown]
	v_lshlrev_b32_e32 v2, 3, v27
	v_lshlrev_b32_e32 v20, 3, v26
	;; [unrolled: 1-line block ×5, first 2 shown]
	ds_store_b64 v2, v[12:13] offset:1024
	ds_store_b64 v20, v[10:11] offset:1024
	;; [unrolled: 1-line block ×5, first 2 shown]
	s_wait_loadcnt_dscnt 0x0
	s_barrier_signal -1
	s_barrier_wait -1
	global_inv scope:SCOPE_SE
	s_and_saveexec_b32 s22, s20
	s_cbranch_execnz .LBB399_493
; %bb.461:                              ;   in Loop: Header=BB399_394 Depth=2
	s_wait_alu 0xfffe
	s_or_b32 exec_lo, exec_lo, s22
	s_and_saveexec_b32 s22, s21
	s_cbranch_execnz .LBB399_494
.LBB399_462:                            ;   in Loop: Header=BB399_394 Depth=2
	s_wait_alu 0xfffe
	s_or_b32 exec_lo, exec_lo, s22
	s_and_saveexec_b32 s20, s19
	s_cbranch_execnz .LBB399_495
.LBB399_463:                            ;   in Loop: Header=BB399_394 Depth=2
	s_wait_alu 0xfffe
	s_or_b32 exec_lo, exec_lo, s20
	s_and_saveexec_b32 s19, s18
	s_cbranch_execnz .LBB399_496
.LBB399_464:                            ;   in Loop: Header=BB399_394 Depth=2
	s_wait_alu 0xfffe
	s_or_b32 exec_lo, exec_lo, s19
	s_and_saveexec_b32 s18, s17
	s_cbranch_execnz .LBB399_497
.LBB399_465:                            ;   in Loop: Header=BB399_394 Depth=2
	s_wait_alu 0xfffe
	s_or_b32 exec_lo, exec_lo, s18
	s_and_saveexec_b32 s17, s16
	s_cbranch_execnz .LBB399_498
.LBB399_466:                            ;   in Loop: Header=BB399_394 Depth=2
	s_wait_alu 0xfffe
	s_or_b32 exec_lo, exec_lo, s17
	s_and_saveexec_b32 s16, s15
	s_cbranch_execnz .LBB399_499
.LBB399_467:                            ;   in Loop: Header=BB399_394 Depth=2
	s_wait_alu 0xfffe
	s_or_b32 exec_lo, exec_lo, s16
	s_and_saveexec_b32 s15, vcc_lo
	s_cbranch_execz .LBB399_469
.LBB399_468:                            ;   in Loop: Header=BB399_394 Depth=2
	v_lshlrev_b32_e32 v2, 2, v86
	v_add_nc_u32_e32 v20, v1, v47
	ds_load_b32 v2, v2
	ds_load_b64 v[20:21], v20 offset:15360
	s_wait_dscnt 0x1
	v_add_nc_u32_e32 v2, v2, v37
	s_delay_alu instid0(VALU_DEP_1) | instskip(NEXT) | instid1(VALU_DEP_1)
	v_lshlrev_b64_e32 v[23:24], 3, v[2:3]
	v_add_co_u32 v23, vcc_lo, s24, v23
	s_wait_alu 0xfffd
	s_delay_alu instid0(VALU_DEP_2)
	v_add_co_ci_u32_e64 v24, null, s25, v24, vcc_lo
	s_wait_dscnt 0x0
	global_store_b64 v[23:24], v[20:21], off
.LBB399_469:                            ;   in Loop: Header=BB399_394 Depth=2
	s_wait_alu 0xfffe
	s_or_b32 exec_lo, exec_lo, s15
	s_wait_loadcnt 0x0
	s_wait_storecnt 0x0
	s_barrier_signal -1
	s_barrier_wait -1
	global_inv scope:SCOPE_SE
	s_and_saveexec_b32 s15, s2
	s_cbranch_execz .LBB399_393
; %bb.470:                              ;   in Loop: Header=BB399_394 Depth=2
	ds_load_b32 v2, v28
	s_wait_dscnt 0x0
	v_add_nc_u32_e32 v2, v2, v22
	ds_store_b32 v28, v2
	s_branch .LBB399_393
.LBB399_471:                            ;   in Loop: Header=BB399_394 Depth=2
	ds_load_u8 v20, v1 offset:1024
	s_wait_dscnt 0x0
	v_and_b32_e32 v21, 0xff, v20
	v_xor_b32_e32 v20, 0x80, v20
	s_delay_alu instid0(VALU_DEP_2) | instskip(NEXT) | instid1(VALU_DEP_1)
	v_lshrrev_b32_e32 v21, s45, v21
	v_and_b32_e32 v21, s31, v21
	s_delay_alu instid0(VALU_DEP_1)
	v_lshlrev_b32_e32 v21, 2, v21
	ds_load_b32 v21, v21
	s_wait_dscnt 0x0
	v_add_nc_u32_e32 v21, v21, v1
	global_store_b8 v21, v20, s[38:39]
	s_wait_alu 0xfffe
	s_or_b32 exec_lo, exec_lo, s15
	v_cmp_lt_u32_e64 s21, v29, v2
	s_and_saveexec_b32 s15, s21
	s_cbranch_execz .LBB399_436
.LBB399_472:                            ;   in Loop: Header=BB399_394 Depth=2
	ds_load_u8 v20, v1 offset:1280
	s_wait_dscnt 0x0
	v_and_b32_e32 v21, 0xff, v20
	v_xor_b32_e32 v20, 0x80, v20
	s_delay_alu instid0(VALU_DEP_2) | instskip(NEXT) | instid1(VALU_DEP_1)
	v_lshrrev_b32_e32 v21, s45, v21
	v_and_b32_e32 v21, s31, v21
	s_delay_alu instid0(VALU_DEP_1)
	v_lshlrev_b32_e32 v21, 2, v21
	ds_load_b32 v21, v21
	s_wait_dscnt 0x0
	v_add_nc_u32_e32 v21, v21, v29
	global_store_b8 v21, v20, s[38:39]
	s_wait_alu 0xfffe
	s_or_b32 exec_lo, exec_lo, s15
	v_cmp_lt_u32_e64 s19, v30, v2
	s_and_saveexec_b32 s15, s19
	s_cbranch_execz .LBB399_437
.LBB399_473:                            ;   in Loop: Header=BB399_394 Depth=2
	ds_load_u8 v20, v1 offset:1536
	s_wait_dscnt 0x0
	v_and_b32_e32 v21, 0xff, v20
	v_xor_b32_e32 v20, 0x80, v20
	s_delay_alu instid0(VALU_DEP_2) | instskip(NEXT) | instid1(VALU_DEP_1)
	v_lshrrev_b32_e32 v21, s45, v21
	v_and_b32_e32 v21, s31, v21
	s_delay_alu instid0(VALU_DEP_1)
	v_lshlrev_b32_e32 v21, 2, v21
	ds_load_b32 v21, v21
	s_wait_dscnt 0x0
	v_add_nc_u32_e32 v21, v21, v30
	global_store_b8 v21, v20, s[38:39]
	s_wait_alu 0xfffe
	s_or_b32 exec_lo, exec_lo, s15
	v_cmp_lt_u32_e64 s18, v31, v2
	s_and_saveexec_b32 s15, s18
	s_cbranch_execz .LBB399_438
.LBB399_474:                            ;   in Loop: Header=BB399_394 Depth=2
	ds_load_u8 v20, v1 offset:1792
	s_wait_dscnt 0x0
	v_and_b32_e32 v21, 0xff, v20
	v_xor_b32_e32 v20, 0x80, v20
	s_delay_alu instid0(VALU_DEP_2) | instskip(NEXT) | instid1(VALU_DEP_1)
	v_lshrrev_b32_e32 v21, s45, v21
	v_and_b32_e32 v21, s31, v21
	s_delay_alu instid0(VALU_DEP_1)
	v_lshlrev_b32_e32 v21, 2, v21
	ds_load_b32 v21, v21
	s_wait_dscnt 0x0
	v_add_nc_u32_e32 v21, v21, v31
	global_store_b8 v21, v20, s[38:39]
	s_wait_alu 0xfffe
	s_or_b32 exec_lo, exec_lo, s15
	v_cmp_lt_u32_e64 s17, v34, v2
	s_and_saveexec_b32 s15, s17
	s_cbranch_execz .LBB399_439
.LBB399_475:                            ;   in Loop: Header=BB399_394 Depth=2
	ds_load_u8 v20, v1 offset:2048
	s_wait_dscnt 0x0
	v_and_b32_e32 v21, 0xff, v20
	v_xor_b32_e32 v20, 0x80, v20
	s_delay_alu instid0(VALU_DEP_2) | instskip(NEXT) | instid1(VALU_DEP_1)
	v_lshrrev_b32_e32 v21, s45, v21
	v_and_b32_e32 v21, s31, v21
	s_delay_alu instid0(VALU_DEP_1)
	v_lshlrev_b32_e32 v21, 2, v21
	ds_load_b32 v21, v21
	s_wait_dscnt 0x0
	v_add_nc_u32_e32 v21, v21, v34
	global_store_b8 v21, v20, s[38:39]
	s_wait_alu 0xfffe
	s_or_b32 exec_lo, exec_lo, s15
	v_cmp_lt_u32_e64 s16, v35, v2
	s_and_saveexec_b32 s15, s16
	s_cbranch_execz .LBB399_440
.LBB399_476:                            ;   in Loop: Header=BB399_394 Depth=2
	ds_load_u8 v20, v1 offset:2304
	s_wait_dscnt 0x0
	v_and_b32_e32 v21, 0xff, v20
	v_xor_b32_e32 v20, 0x80, v20
	s_delay_alu instid0(VALU_DEP_2) | instskip(NEXT) | instid1(VALU_DEP_1)
	v_lshrrev_b32_e32 v21, s45, v21
	v_and_b32_e32 v21, s31, v21
	s_delay_alu instid0(VALU_DEP_1)
	v_lshlrev_b32_e32 v21, 2, v21
	ds_load_b32 v21, v21
	s_wait_dscnt 0x0
	v_add_nc_u32_e32 v21, v21, v35
	global_store_b8 v21, v20, s[38:39]
	s_wait_alu 0xfffe
	s_or_b32 exec_lo, exec_lo, s15
	v_cmp_lt_u32_e64 s15, v36, v2
	s_and_saveexec_b32 s44, s15
	s_cbranch_execz .LBB399_441
.LBB399_477:                            ;   in Loop: Header=BB399_394 Depth=2
	ds_load_u8 v20, v1 offset:2560
	s_wait_dscnt 0x0
	v_and_b32_e32 v21, 0xff, v20
	v_xor_b32_e32 v20, 0x80, v20
	s_delay_alu instid0(VALU_DEP_2) | instskip(NEXT) | instid1(VALU_DEP_1)
	v_lshrrev_b32_e32 v21, s45, v21
	v_and_b32_e32 v21, s31, v21
	s_delay_alu instid0(VALU_DEP_1)
	v_lshlrev_b32_e32 v21, 2, v21
	ds_load_b32 v21, v21
	s_wait_dscnt 0x0
	v_add_nc_u32_e32 v21, v21, v36
	global_store_b8 v21, v20, s[38:39]
	s_wait_alu 0xfffe
	s_or_b32 exec_lo, exec_lo, s44
	v_cmp_lt_u32_e32 vcc_lo, v37, v2
	s_and_saveexec_b32 s44, vcc_lo
	s_cbranch_execnz .LBB399_442
	s_branch .LBB399_443
.LBB399_478:                            ;   in Loop: Header=BB399_394 Depth=2
	global_load_b64 v[18:19], v[20:21], off
	s_wait_alu 0xfffe
	s_or_b32 exec_lo, exec_lo, s22
	s_delay_alu instid0(SALU_CYCLE_1)
	s_mov_b32 s44, exec_lo
	v_cmpx_lt_u32_e64 v71, v2
	s_cbranch_execz .LBB399_445
.LBB399_479:                            ;   in Loop: Header=BB399_394 Depth=2
	global_load_b64 v[16:17], v[20:21], off offset:256
	s_wait_alu 0xfffe
	s_or_b32 exec_lo, exec_lo, s44
	s_delay_alu instid0(SALU_CYCLE_1)
	s_mov_b32 s44, exec_lo
	v_cmpx_lt_u32_e64 v72, v2
	s_cbranch_execz .LBB399_446
.LBB399_480:                            ;   in Loop: Header=BB399_394 Depth=2
	global_load_b64 v[14:15], v[20:21], off offset:512
	s_wait_alu 0xfffe
	s_or_b32 exec_lo, exec_lo, s44
	s_delay_alu instid0(SALU_CYCLE_1)
	s_mov_b32 s44, exec_lo
	v_cmpx_lt_u32_e64 v73, v2
	s_cbranch_execz .LBB399_447
.LBB399_481:                            ;   in Loop: Header=BB399_394 Depth=2
	global_load_b64 v[12:13], v[20:21], off offset:768
	s_wait_alu 0xfffe
	s_or_b32 exec_lo, exec_lo, s44
	s_delay_alu instid0(SALU_CYCLE_1)
	s_mov_b32 s44, exec_lo
	v_cmpx_lt_u32_e64 v74, v2
	s_cbranch_execz .LBB399_448
.LBB399_482:                            ;   in Loop: Header=BB399_394 Depth=2
	global_load_b64 v[10:11], v[20:21], off offset:1024
	s_wait_alu 0xfffe
	s_or_b32 exec_lo, exec_lo, s44
	s_delay_alu instid0(SALU_CYCLE_1)
	s_mov_b32 s44, exec_lo
	v_cmpx_lt_u32_e64 v75, v2
	s_cbranch_execz .LBB399_449
.LBB399_483:                            ;   in Loop: Header=BB399_394 Depth=2
	global_load_b64 v[8:9], v[20:21], off offset:1280
	s_wait_alu 0xfffe
	s_or_b32 exec_lo, exec_lo, s44
	s_delay_alu instid0(SALU_CYCLE_1)
	s_mov_b32 s44, exec_lo
	v_cmpx_lt_u32_e64 v76, v2
	s_cbranch_execz .LBB399_450
.LBB399_484:                            ;   in Loop: Header=BB399_394 Depth=2
	global_load_b64 v[6:7], v[20:21], off offset:1536
	s_wait_alu 0xfffe
	s_or_b32 exec_lo, exec_lo, s44
	s_delay_alu instid0(SALU_CYCLE_1)
	s_mov_b32 s44, exec_lo
	v_cmpx_lt_u32_e64 v77, v2
	s_cbranch_execz .LBB399_451
.LBB399_485:                            ;   in Loop: Header=BB399_394 Depth=2
	global_load_b64 v[4:5], v[20:21], off offset:1792
	s_wait_alu 0xfffe
	s_or_b32 exec_lo, exec_lo, s44
	s_and_saveexec_b32 s22, s20
	s_cbranch_execz .LBB399_452
.LBB399_486:                            ;   in Loop: Header=BB399_394 Depth=2
	ds_load_u8 v2, v1 offset:1024
	s_wait_dscnt 0x0
	v_lshrrev_b32_e32 v2, s45, v2
	s_delay_alu instid0(VALU_DEP_1)
	v_and_b32_e32 v93, s31, v2
	s_wait_alu 0xfffe
	s_or_b32 exec_lo, exec_lo, s22
	s_and_saveexec_b32 s22, s21
	s_cbranch_execz .LBB399_453
.LBB399_487:                            ;   in Loop: Header=BB399_394 Depth=2
	ds_load_u8 v2, v1 offset:1280
	s_wait_dscnt 0x0
	v_lshrrev_b32_e32 v2, s45, v2
	s_delay_alu instid0(VALU_DEP_1)
	v_and_b32_e32 v92, s31, v2
	s_wait_alu 0xfffe
	s_or_b32 exec_lo, exec_lo, s22
	s_and_saveexec_b32 s22, s19
	s_cbranch_execz .LBB399_454
.LBB399_488:                            ;   in Loop: Header=BB399_394 Depth=2
	ds_load_u8 v2, v1 offset:1536
	s_wait_dscnt 0x0
	v_lshrrev_b32_e32 v2, s45, v2
	s_delay_alu instid0(VALU_DEP_1)
	v_and_b32_e32 v91, s31, v2
	s_wait_alu 0xfffe
	s_or_b32 exec_lo, exec_lo, s22
	s_and_saveexec_b32 s22, s18
	s_cbranch_execz .LBB399_455
.LBB399_489:                            ;   in Loop: Header=BB399_394 Depth=2
	ds_load_u8 v2, v1 offset:1792
	s_wait_dscnt 0x0
	v_lshrrev_b32_e32 v2, s45, v2
	s_delay_alu instid0(VALU_DEP_1)
	v_and_b32_e32 v90, s31, v2
	s_wait_alu 0xfffe
	s_or_b32 exec_lo, exec_lo, s22
	s_and_saveexec_b32 s22, s17
	s_cbranch_execz .LBB399_456
.LBB399_490:                            ;   in Loop: Header=BB399_394 Depth=2
	ds_load_u8 v2, v1 offset:2048
	s_wait_dscnt 0x0
	v_lshrrev_b32_e32 v2, s45, v2
	s_delay_alu instid0(VALU_DEP_1)
	v_and_b32_e32 v89, s31, v2
	s_wait_alu 0xfffe
	s_or_b32 exec_lo, exec_lo, s22
	s_and_saveexec_b32 s22, s16
	s_cbranch_execz .LBB399_457
.LBB399_491:                            ;   in Loop: Header=BB399_394 Depth=2
	ds_load_u8 v2, v1 offset:2304
	s_wait_dscnt 0x0
	v_lshrrev_b32_e32 v2, s45, v2
	s_delay_alu instid0(VALU_DEP_1)
	v_and_b32_e32 v88, s31, v2
	s_wait_alu 0xfffe
	s_or_b32 exec_lo, exec_lo, s22
	s_and_saveexec_b32 s22, s15
	s_cbranch_execz .LBB399_458
.LBB399_492:                            ;   in Loop: Header=BB399_394 Depth=2
	ds_load_u8 v2, v1 offset:2560
	s_wait_dscnt 0x0
	v_lshrrev_b32_e32 v2, s45, v2
	s_delay_alu instid0(VALU_DEP_1)
	v_and_b32_e32 v87, s31, v2
	s_wait_alu 0xfffe
	s_or_b32 exec_lo, exec_lo, s22
	s_and_saveexec_b32 s22, vcc_lo
	s_cbranch_execnz .LBB399_459
	s_branch .LBB399_460
.LBB399_493:                            ;   in Loop: Header=BB399_394 Depth=2
	v_lshlrev_b32_e32 v2, 2, v93
	v_add_nc_u32_e32 v20, v1, v47
	ds_load_b32 v2, v2
	ds_load_b64 v[20:21], v20 offset:1024
	s_wait_dscnt 0x1
	v_add_nc_u32_e32 v2, v2, v1
	s_delay_alu instid0(VALU_DEP_1) | instskip(NEXT) | instid1(VALU_DEP_1)
	v_lshlrev_b64_e32 v[23:24], 3, v[2:3]
	v_add_co_u32 v23, s20, s24, v23
	s_wait_alu 0xf1ff
	s_delay_alu instid0(VALU_DEP_2)
	v_add_co_ci_u32_e64 v24, null, s25, v24, s20
	s_wait_dscnt 0x0
	global_store_b64 v[23:24], v[20:21], off
	s_wait_alu 0xfffe
	s_or_b32 exec_lo, exec_lo, s22
	s_and_saveexec_b32 s22, s21
	s_cbranch_execz .LBB399_462
.LBB399_494:                            ;   in Loop: Header=BB399_394 Depth=2
	v_lshlrev_b32_e32 v2, 2, v92
	v_add_nc_u32_e32 v20, v1, v47
	ds_load_b32 v2, v2
	ds_load_b64 v[20:21], v20 offset:3072
	s_wait_dscnt 0x1
	v_add_nc_u32_e32 v2, v2, v29
	s_delay_alu instid0(VALU_DEP_1) | instskip(NEXT) | instid1(VALU_DEP_1)
	v_lshlrev_b64_e32 v[23:24], 3, v[2:3]
	v_add_co_u32 v23, s20, s24, v23
	s_wait_alu 0xf1ff
	s_delay_alu instid0(VALU_DEP_2)
	v_add_co_ci_u32_e64 v24, null, s25, v24, s20
	s_wait_dscnt 0x0
	global_store_b64 v[23:24], v[20:21], off
	s_wait_alu 0xfffe
	s_or_b32 exec_lo, exec_lo, s22
	s_and_saveexec_b32 s20, s19
	s_cbranch_execz .LBB399_463
.LBB399_495:                            ;   in Loop: Header=BB399_394 Depth=2
	v_lshlrev_b32_e32 v2, 2, v91
	v_add_nc_u32_e32 v20, v1, v47
	ds_load_b32 v2, v2
	ds_load_b64 v[20:21], v20 offset:5120
	s_wait_dscnt 0x1
	v_add_nc_u32_e32 v2, v2, v30
	s_delay_alu instid0(VALU_DEP_1) | instskip(NEXT) | instid1(VALU_DEP_1)
	v_lshlrev_b64_e32 v[23:24], 3, v[2:3]
	v_add_co_u32 v23, s19, s24, v23
	s_wait_alu 0xf1ff
	s_delay_alu instid0(VALU_DEP_2)
	v_add_co_ci_u32_e64 v24, null, s25, v24, s19
	s_wait_dscnt 0x0
	global_store_b64 v[23:24], v[20:21], off
	s_wait_alu 0xfffe
	s_or_b32 exec_lo, exec_lo, s20
	s_and_saveexec_b32 s19, s18
	s_cbranch_execz .LBB399_464
.LBB399_496:                            ;   in Loop: Header=BB399_394 Depth=2
	v_lshlrev_b32_e32 v2, 2, v90
	v_add_nc_u32_e32 v20, v1, v47
	ds_load_b32 v2, v2
	ds_load_b64 v[20:21], v20 offset:7168
	s_wait_dscnt 0x1
	v_add_nc_u32_e32 v2, v2, v31
	s_delay_alu instid0(VALU_DEP_1) | instskip(NEXT) | instid1(VALU_DEP_1)
	v_lshlrev_b64_e32 v[23:24], 3, v[2:3]
	v_add_co_u32 v23, s18, s24, v23
	s_wait_alu 0xf1ff
	s_delay_alu instid0(VALU_DEP_2)
	v_add_co_ci_u32_e64 v24, null, s25, v24, s18
	s_wait_dscnt 0x0
	global_store_b64 v[23:24], v[20:21], off
	s_wait_alu 0xfffe
	s_or_b32 exec_lo, exec_lo, s19
	s_and_saveexec_b32 s18, s17
	s_cbranch_execz .LBB399_465
.LBB399_497:                            ;   in Loop: Header=BB399_394 Depth=2
	v_lshlrev_b32_e32 v2, 2, v89
	v_add_nc_u32_e32 v20, v1, v47
	ds_load_b32 v2, v2
	ds_load_b64 v[20:21], v20 offset:9216
	s_wait_dscnt 0x1
	v_add_nc_u32_e32 v2, v2, v34
	s_delay_alu instid0(VALU_DEP_1) | instskip(NEXT) | instid1(VALU_DEP_1)
	v_lshlrev_b64_e32 v[23:24], 3, v[2:3]
	v_add_co_u32 v23, s17, s24, v23
	s_wait_alu 0xf1ff
	s_delay_alu instid0(VALU_DEP_2)
	v_add_co_ci_u32_e64 v24, null, s25, v24, s17
	s_wait_dscnt 0x0
	global_store_b64 v[23:24], v[20:21], off
	s_wait_alu 0xfffe
	s_or_b32 exec_lo, exec_lo, s18
	s_and_saveexec_b32 s17, s16
	s_cbranch_execz .LBB399_466
.LBB399_498:                            ;   in Loop: Header=BB399_394 Depth=2
	v_lshlrev_b32_e32 v2, 2, v88
	v_add_nc_u32_e32 v20, v1, v47
	ds_load_b32 v2, v2
	ds_load_b64 v[20:21], v20 offset:11264
	s_wait_dscnt 0x1
	v_add_nc_u32_e32 v2, v2, v35
	s_delay_alu instid0(VALU_DEP_1) | instskip(NEXT) | instid1(VALU_DEP_1)
	v_lshlrev_b64_e32 v[23:24], 3, v[2:3]
	v_add_co_u32 v23, s16, s24, v23
	s_wait_alu 0xf1ff
	s_delay_alu instid0(VALU_DEP_2)
	v_add_co_ci_u32_e64 v24, null, s25, v24, s16
	s_wait_dscnt 0x0
	global_store_b64 v[23:24], v[20:21], off
	s_wait_alu 0xfffe
	s_or_b32 exec_lo, exec_lo, s17
	s_and_saveexec_b32 s16, s15
	s_cbranch_execz .LBB399_467
.LBB399_499:                            ;   in Loop: Header=BB399_394 Depth=2
	v_lshlrev_b32_e32 v2, 2, v87
	v_add_nc_u32_e32 v20, v1, v47
	ds_load_b32 v2, v2
	ds_load_b64 v[20:21], v20 offset:13312
	s_wait_dscnt 0x1
	v_add_nc_u32_e32 v2, v2, v36
	s_delay_alu instid0(VALU_DEP_1) | instskip(NEXT) | instid1(VALU_DEP_1)
	v_lshlrev_b64_e32 v[23:24], 3, v[2:3]
	v_add_co_u32 v23, s15, s24, v23
	s_wait_alu 0xf1ff
	s_delay_alu instid0(VALU_DEP_2)
	v_add_co_ci_u32_e64 v24, null, s25, v24, s15
	s_wait_dscnt 0x0
	global_store_b64 v[23:24], v[20:21], off
	s_wait_alu 0xfffe
	s_or_b32 exec_lo, exec_lo, s16
	s_and_saveexec_b32 s15, vcc_lo
	s_cbranch_execnz .LBB399_468
	s_branch .LBB399_469
.LBB399_500:                            ;   in Loop: Header=BB399_394 Depth=2
	global_load_u8 v94, v[20:21], off
	v_dual_mov_b32 v22, 0x7f :: v_dual_mov_b32 v27, 0x7f
	v_dual_mov_b32 v96, 0x7f :: v_dual_mov_b32 v25, 0x7f
	;; [unrolled: 1-line block ×3, first 2 shown]
	v_mov_b32_e32 v24, 0x7f
	s_wait_alu 0xfffe
	s_or_b32 exec_lo, exec_lo, s15
	s_delay_alu instid0(SALU_CYCLE_1)
	s_mov_b32 s15, exec_lo
	v_cmpx_gt_u32_e64 s42, v71
	s_cbranch_execz .LBB399_399
.LBB399_501:                            ;   in Loop: Header=BB399_394 Depth=2
	global_load_u8 v96, v[20:21], off offset:32
	s_wait_alu 0xfffe
	s_or_b32 exec_lo, exec_lo, s15
	s_delay_alu instid0(SALU_CYCLE_1)
	s_mov_b32 s15, exec_lo
	v_cmpx_gt_u32_e64 s42, v72
	s_cbranch_execz .LBB399_400
.LBB399_502:                            ;   in Loop: Header=BB399_394 Depth=2
	global_load_u8 v27, v[20:21], off offset:64
	s_wait_alu 0xfffe
	s_or_b32 exec_lo, exec_lo, s15
	s_delay_alu instid0(SALU_CYCLE_1)
	s_mov_b32 s15, exec_lo
	v_cmpx_gt_u32_e64 s42, v73
	s_cbranch_execz .LBB399_401
.LBB399_503:                            ;   in Loop: Header=BB399_394 Depth=2
	global_load_u8 v26, v[20:21], off offset:96
	s_wait_alu 0xfffe
	s_or_b32 exec_lo, exec_lo, s15
	s_delay_alu instid0(SALU_CYCLE_1)
	s_mov_b32 s15, exec_lo
	v_cmpx_gt_u32_e64 s42, v74
	s_cbranch_execz .LBB399_402
.LBB399_504:                            ;   in Loop: Header=BB399_394 Depth=2
	global_load_u8 v25, v[20:21], off offset:128
	s_wait_alu 0xfffe
	s_or_b32 exec_lo, exec_lo, s15
	s_delay_alu instid0(SALU_CYCLE_1)
	s_mov_b32 s15, exec_lo
	v_cmpx_gt_u32_e64 s42, v75
	s_cbranch_execz .LBB399_403
.LBB399_505:                            ;   in Loop: Header=BB399_394 Depth=2
	global_load_u8 v24, v[20:21], off offset:160
	s_wait_alu 0xfffe
	s_or_b32 exec_lo, exec_lo, s15
	s_delay_alu instid0(SALU_CYCLE_1)
	s_mov_b32 s15, exec_lo
	v_cmpx_gt_u32_e64 s42, v76
	s_cbranch_execnz .LBB399_404
	s_branch .LBB399_405
.LBB399_506:                            ;   in Loop: Header=BB399_12 Depth=1
	s_wait_loadcnt_dscnt 0x0
	s_barrier_signal -1
	s_mov_b32 s0, 0
	s_barrier_wait -1
.LBB399_507:                            ;   in Loop: Header=BB399_12 Depth=1
	s_wait_alu 0xfffe
	s_and_b32 vcc_lo, exec_lo, s0
	s_wait_alu 0xfffe
	s_cbranch_vccz .LBB399_11
; %bb.508:                              ;   in Loop: Header=BB399_12 Depth=1
	v_dual_mov_b32 v7, 0 :: v_dual_mov_b32 v10, 0
	v_dual_mov_b32 v9, 0 :: v_dual_mov_b32 v8, 0
	;; [unrolled: 1-line block ×3, first 2 shown]
	v_mov_b32_e32 v4, 0
	v_mov_b32_e32 v2, 0
	s_mov_b32 s9, s47
	s_mov_b32 s22, s33
	s_barrier_signal -1
	s_barrier_wait -1
	global_inv scope:SCOPE_SE
	s_branch .LBB399_510
.LBB399_509:                            ;   in Loop: Header=BB399_510 Depth=2
	s_wait_alu 0xfffe
	s_or_b32 exec_lo, exec_lo, s0
	s_addk_co_i32 s9, 0xf800
	s_cmp_ge_u32 s10, s34
	s_mov_b32 s22, s10
	s_cbranch_scc1 .LBB399_546
.LBB399_510:                            ;   Parent Loop BB399_12 Depth=1
                                        ; =>  This Inner Loop Header: Depth=2
	s_wait_alu 0xfffe
	s_add_co_i32 s10, s22, 0x800
	s_mov_b32 s0, -1
	s_wait_alu 0xfffe
	s_cmp_gt_u32 s10, s34
                                        ; implicit-def: $vgpr11
                                        ; implicit-def: $vgpr12
                                        ; implicit-def: $vgpr13
                                        ; implicit-def: $vgpr14
                                        ; implicit-def: $vgpr15
                                        ; implicit-def: $vgpr16
                                        ; implicit-def: $vgpr17
                                        ; implicit-def: $vgpr18
	s_cbranch_scc1 .LBB399_512
; %bb.511:                              ;   in Loop: Header=BB399_510 Depth=2
	v_add_co_u32 v19, vcc_lo, v54, s22
	s_wait_alu 0xfffd
	v_add_co_ci_u32_e64 v20, null, 0, v55, vcc_lo
	s_mov_b32 s0, 0
	s_clause 0x7
	global_load_u8 v18, v[19:20], off offset:1792
	global_load_u8 v17, v[19:20], off offset:1536
	;; [unrolled: 1-line block ×7, first 2 shown]
	global_load_u8 v11, v[19:20], off
.LBB399_512:                            ;   in Loop: Header=BB399_510 Depth=2
	s_wait_alu 0xfffe
	s_and_not1_b32 vcc_lo, exec_lo, s0
	s_movk_i32 s0, 0x800
	s_wait_alu 0xfffe
	s_cbranch_vccnz .LBB399_523
; %bb.513:                              ;   in Loop: Header=BB399_510 Depth=2
	s_add_nc_u64 s[0:1], s[36:37], s[22:23]
	s_mov_b32 s11, exec_lo
	v_cmpx_gt_u32_e64 s9, v1
	s_cbranch_execnz .LBB399_539
; %bb.514:                              ;   in Loop: Header=BB399_510 Depth=2
	s_wait_alu 0xfffe
	s_or_b32 exec_lo, exec_lo, s11
	s_delay_alu instid0(SALU_CYCLE_1)
	s_mov_b32 s11, exec_lo
	v_cmpx_gt_u32_e64 s9, v29
	s_cbranch_execnz .LBB399_540
.LBB399_515:                            ;   in Loop: Header=BB399_510 Depth=2
	s_wait_alu 0xfffe
	s_or_b32 exec_lo, exec_lo, s11
	s_delay_alu instid0(SALU_CYCLE_1)
	s_mov_b32 s11, exec_lo
	v_cmpx_gt_u32_e64 s9, v30
	s_cbranch_execnz .LBB399_541
.LBB399_516:                            ;   in Loop: Header=BB399_510 Depth=2
	s_wait_alu 0xfffe
	s_or_b32 exec_lo, exec_lo, s11
	s_delay_alu instid0(SALU_CYCLE_1)
	s_mov_b32 s11, exec_lo
	v_cmpx_gt_u32_e64 s9, v31
	s_cbranch_execnz .LBB399_542
.LBB399_517:                            ;   in Loop: Header=BB399_510 Depth=2
	s_wait_alu 0xfffe
	s_or_b32 exec_lo, exec_lo, s11
	s_delay_alu instid0(SALU_CYCLE_1)
	s_mov_b32 s11, exec_lo
	v_cmpx_gt_u32_e64 s9, v34
	s_cbranch_execnz .LBB399_543
.LBB399_518:                            ;   in Loop: Header=BB399_510 Depth=2
	s_wait_alu 0xfffe
	s_or_b32 exec_lo, exec_lo, s11
	s_delay_alu instid0(SALU_CYCLE_1)
	s_mov_b32 s11, exec_lo
	v_cmpx_gt_u32_e64 s9, v35
	s_cbranch_execnz .LBB399_544
.LBB399_519:                            ;   in Loop: Header=BB399_510 Depth=2
	s_wait_alu 0xfffe
	s_or_b32 exec_lo, exec_lo, s11
	s_delay_alu instid0(SALU_CYCLE_1)
	s_mov_b32 s11, exec_lo
	v_cmpx_gt_u32_e64 s9, v36
	s_cbranch_execnz .LBB399_545
.LBB399_520:                            ;   in Loop: Header=BB399_510 Depth=2
	s_wait_alu 0xfffe
	s_or_b32 exec_lo, exec_lo, s11
	s_delay_alu instid0(SALU_CYCLE_1)
	s_mov_b32 s11, exec_lo
	v_cmpx_gt_u32_e64 s9, v37
	s_cbranch_execz .LBB399_522
.LBB399_521:                            ;   in Loop: Header=BB399_510 Depth=2
	s_wait_loadcnt 0x0
	v_add_co_u32 v11, s0, s0, v1
	s_wait_alu 0xf1ff
	v_add_co_ci_u32_e64 v12, null, s1, 0, s0
	global_load_u8 v2, v[11:12], off offset:1792
.LBB399_522:                            ;   in Loop: Header=BB399_510 Depth=2
	s_wait_alu 0xfffe
	s_or_b32 exec_lo, exec_lo, s11
	s_wait_loadcnt 0x0
	v_dual_mov_b32 v11, v7 :: v_dual_mov_b32 v12, v10
	v_dual_mov_b32 v13, v9 :: v_dual_mov_b32 v14, v8
	;; [unrolled: 1-line block ×4, first 2 shown]
	s_mov_b32 s0, s9
.LBB399_523:                            ;   in Loop: Header=BB399_510 Depth=2
	s_wait_loadcnt 0x5
	s_delay_alu instid0(VALU_DEP_1)
	v_dual_mov_b32 v2, v18 :: v_dual_mov_b32 v5, v16
	s_wait_loadcnt 0x2
	v_dual_mov_b32 v4, v17 :: v_dual_mov_b32 v9, v13
	s_wait_loadcnt 0x0
	v_dual_mov_b32 v6, v15 :: v_dual_mov_b32 v7, v11
	v_mov_b32_e32 v8, v14
	v_mov_b32_e32 v10, v12
	s_mov_b32 s1, exec_lo
	s_wait_alu 0xfffe
	v_cmpx_gt_u32_e64 s0, v1
	s_cbranch_execnz .LBB399_531
; %bb.524:                              ;   in Loop: Header=BB399_510 Depth=2
	s_or_b32 exec_lo, exec_lo, s1
	s_delay_alu instid0(SALU_CYCLE_1)
	s_mov_b32 s1, exec_lo
	v_cmpx_gt_u32_e64 s0, v29
	s_cbranch_execnz .LBB399_532
.LBB399_525:                            ;   in Loop: Header=BB399_510 Depth=2
	s_wait_alu 0xfffe
	s_or_b32 exec_lo, exec_lo, s1
	s_delay_alu instid0(SALU_CYCLE_1)
	s_mov_b32 s1, exec_lo
	v_cmpx_gt_u32_e64 s0, v30
	s_cbranch_execnz .LBB399_533
.LBB399_526:                            ;   in Loop: Header=BB399_510 Depth=2
	s_wait_alu 0xfffe
	s_or_b32 exec_lo, exec_lo, s1
	s_delay_alu instid0(SALU_CYCLE_1)
	s_mov_b32 s1, exec_lo
	v_cmpx_gt_u32_e64 s0, v31
	s_cbranch_execnz .LBB399_534
.LBB399_527:                            ;   in Loop: Header=BB399_510 Depth=2
	s_wait_alu 0xfffe
	s_or_b32 exec_lo, exec_lo, s1
	s_delay_alu instid0(SALU_CYCLE_1)
	s_mov_b32 s1, exec_lo
	v_cmpx_gt_u32_e64 s0, v34
	s_cbranch_execnz .LBB399_535
.LBB399_528:                            ;   in Loop: Header=BB399_510 Depth=2
	s_wait_alu 0xfffe
	s_or_b32 exec_lo, exec_lo, s1
	s_delay_alu instid0(SALU_CYCLE_1)
	s_mov_b32 s1, exec_lo
	v_cmpx_gt_u32_e64 s0, v35
	s_cbranch_execnz .LBB399_536
.LBB399_529:                            ;   in Loop: Header=BB399_510 Depth=2
	s_wait_alu 0xfffe
	s_or_b32 exec_lo, exec_lo, s1
	s_delay_alu instid0(SALU_CYCLE_1)
	s_mov_b32 s1, exec_lo
	v_cmpx_gt_u32_e64 s0, v36
	s_cbranch_execnz .LBB399_537
.LBB399_530:                            ;   in Loop: Header=BB399_510 Depth=2
	s_wait_alu 0xfffe
	s_or_b32 exec_lo, exec_lo, s1
	v_cmp_gt_u32_e32 vcc_lo, s0, v37
	s_and_saveexec_b32 s0, vcc_lo
	s_cbranch_execz .LBB399_509
	s_branch .LBB399_538
.LBB399_531:                            ;   in Loop: Header=BB399_510 Depth=2
	v_xor_b32_e32 v11, 0x80, v7
	s_delay_alu instid0(VALU_DEP_1) | instskip(NEXT) | instid1(VALU_DEP_1)
	v_and_b32_e32 v11, 0xff, v11
	v_lshrrev_b32_e32 v11, s45, v11
	s_delay_alu instid0(VALU_DEP_1) | instskip(NEXT) | instid1(VALU_DEP_1)
	v_and_b32_e32 v11, s31, v11
	v_lshl_or_b32 v11, v11, 4, v39
	ds_add_u32 v11, v61
	s_or_b32 exec_lo, exec_lo, s1
	s_delay_alu instid0(SALU_CYCLE_1)
	s_mov_b32 s1, exec_lo
	v_cmpx_gt_u32_e64 s0, v29
	s_cbranch_execz .LBB399_525
.LBB399_532:                            ;   in Loop: Header=BB399_510 Depth=2
	v_xor_b32_e32 v11, 0x80, v10
	s_delay_alu instid0(VALU_DEP_1) | instskip(NEXT) | instid1(VALU_DEP_1)
	v_and_b32_e32 v11, 0xff, v11
	v_lshrrev_b32_e32 v11, s45, v11
	s_delay_alu instid0(VALU_DEP_1) | instskip(NEXT) | instid1(VALU_DEP_1)
	v_and_b32_e32 v11, s31, v11
	v_lshl_or_b32 v11, v11, 4, v39
	ds_add_u32 v11, v61
	s_wait_alu 0xfffe
	s_or_b32 exec_lo, exec_lo, s1
	s_delay_alu instid0(SALU_CYCLE_1)
	s_mov_b32 s1, exec_lo
	v_cmpx_gt_u32_e64 s0, v30
	s_cbranch_execz .LBB399_526
.LBB399_533:                            ;   in Loop: Header=BB399_510 Depth=2
	v_xor_b32_e32 v11, 0x80, v9
	s_delay_alu instid0(VALU_DEP_1) | instskip(NEXT) | instid1(VALU_DEP_1)
	v_and_b32_e32 v11, 0xff, v11
	v_lshrrev_b32_e32 v11, s45, v11
	s_delay_alu instid0(VALU_DEP_1) | instskip(NEXT) | instid1(VALU_DEP_1)
	v_and_b32_e32 v11, s31, v11
	v_lshl_or_b32 v11, v11, 4, v39
	ds_add_u32 v11, v61
	s_wait_alu 0xfffe
	s_or_b32 exec_lo, exec_lo, s1
	s_delay_alu instid0(SALU_CYCLE_1)
	s_mov_b32 s1, exec_lo
	v_cmpx_gt_u32_e64 s0, v31
	s_cbranch_execz .LBB399_527
.LBB399_534:                            ;   in Loop: Header=BB399_510 Depth=2
	v_xor_b32_e32 v11, 0x80, v8
	s_delay_alu instid0(VALU_DEP_1) | instskip(NEXT) | instid1(VALU_DEP_1)
	v_and_b32_e32 v11, 0xff, v11
	v_lshrrev_b32_e32 v11, s45, v11
	s_delay_alu instid0(VALU_DEP_1) | instskip(NEXT) | instid1(VALU_DEP_1)
	v_and_b32_e32 v11, s31, v11
	v_lshl_or_b32 v11, v11, 4, v39
	ds_add_u32 v11, v61
	s_wait_alu 0xfffe
	s_or_b32 exec_lo, exec_lo, s1
	s_delay_alu instid0(SALU_CYCLE_1)
	s_mov_b32 s1, exec_lo
	v_cmpx_gt_u32_e64 s0, v34
	s_cbranch_execz .LBB399_528
.LBB399_535:                            ;   in Loop: Header=BB399_510 Depth=2
	v_xor_b32_e32 v11, 0x80, v6
	s_delay_alu instid0(VALU_DEP_1) | instskip(NEXT) | instid1(VALU_DEP_1)
	v_and_b32_e32 v11, 0xff, v11
	v_lshrrev_b32_e32 v11, s45, v11
	s_delay_alu instid0(VALU_DEP_1) | instskip(NEXT) | instid1(VALU_DEP_1)
	v_and_b32_e32 v11, s31, v11
	v_lshl_or_b32 v11, v11, 4, v39
	ds_add_u32 v11, v61
	s_wait_alu 0xfffe
	s_or_b32 exec_lo, exec_lo, s1
	s_delay_alu instid0(SALU_CYCLE_1)
	s_mov_b32 s1, exec_lo
	v_cmpx_gt_u32_e64 s0, v35
	s_cbranch_execz .LBB399_529
.LBB399_536:                            ;   in Loop: Header=BB399_510 Depth=2
	v_xor_b32_e32 v11, 0x80, v5
	s_delay_alu instid0(VALU_DEP_1) | instskip(NEXT) | instid1(VALU_DEP_1)
	v_and_b32_e32 v11, 0xff, v11
	v_lshrrev_b32_e32 v11, s45, v11
	s_delay_alu instid0(VALU_DEP_1) | instskip(NEXT) | instid1(VALU_DEP_1)
	v_and_b32_e32 v11, s31, v11
	v_lshl_or_b32 v11, v11, 4, v39
	ds_add_u32 v11, v61
	s_wait_alu 0xfffe
	s_or_b32 exec_lo, exec_lo, s1
	s_delay_alu instid0(SALU_CYCLE_1)
	s_mov_b32 s1, exec_lo
	v_cmpx_gt_u32_e64 s0, v36
	s_cbranch_execz .LBB399_530
.LBB399_537:                            ;   in Loop: Header=BB399_510 Depth=2
	v_xor_b32_e32 v11, 0x80, v4
	s_delay_alu instid0(VALU_DEP_1) | instskip(NEXT) | instid1(VALU_DEP_1)
	v_and_b32_e32 v11, 0xff, v11
	v_lshrrev_b32_e32 v11, s45, v11
	s_delay_alu instid0(VALU_DEP_1) | instskip(NEXT) | instid1(VALU_DEP_1)
	v_and_b32_e32 v11, s31, v11
	v_lshl_or_b32 v11, v11, 4, v39
	ds_add_u32 v11, v61
	s_wait_alu 0xfffe
	s_or_b32 exec_lo, exec_lo, s1
	v_cmp_gt_u32_e32 vcc_lo, s0, v37
	s_and_saveexec_b32 s0, vcc_lo
	s_cbranch_execz .LBB399_509
.LBB399_538:                            ;   in Loop: Header=BB399_510 Depth=2
	v_xor_b32_e32 v11, 0x80, v2
	s_delay_alu instid0(VALU_DEP_1) | instskip(NEXT) | instid1(VALU_DEP_1)
	v_and_b32_e32 v11, 0xff, v11
	v_lshrrev_b32_e32 v11, s45, v11
	s_delay_alu instid0(VALU_DEP_1) | instskip(NEXT) | instid1(VALU_DEP_1)
	v_and_b32_e32 v11, s31, v11
	v_lshl_or_b32 v11, v11, 4, v39
	ds_add_u32 v11, v61
	s_branch .LBB399_509
.LBB399_539:                            ;   in Loop: Header=BB399_510 Depth=2
	s_wait_loadcnt 0x0
	s_wait_alu 0xfffe
	v_add_co_u32 v11, s12, s0, v1
	s_wait_alu 0xf1ff
	v_add_co_ci_u32_e64 v12, null, s1, 0, s12
	global_load_u8 v7, v[11:12], off
	s_or_b32 exec_lo, exec_lo, s11
	s_delay_alu instid0(SALU_CYCLE_1)
	s_mov_b32 s11, exec_lo
	v_cmpx_gt_u32_e64 s9, v29
	s_cbranch_execz .LBB399_515
.LBB399_540:                            ;   in Loop: Header=BB399_510 Depth=2
	v_add_co_u32 v10, s12, s0, v1
	s_wait_loadcnt 0x0
	s_wait_alu 0xf1ff
	v_add_co_ci_u32_e64 v11, null, s1, 0, s12
	global_load_u8 v10, v[10:11], off offset:256
	s_wait_alu 0xfffe
	s_or_b32 exec_lo, exec_lo, s11
	s_delay_alu instid0(SALU_CYCLE_1)
	s_mov_b32 s11, exec_lo
	v_cmpx_gt_u32_e64 s9, v30
	s_cbranch_execz .LBB399_516
.LBB399_541:                            ;   in Loop: Header=BB399_510 Depth=2
	s_wait_loadcnt 0x0
	v_add_co_u32 v11, s12, s0, v1
	s_wait_alu 0xf1ff
	v_add_co_ci_u32_e64 v12, null, s1, 0, s12
	global_load_u8 v9, v[11:12], off offset:512
	s_wait_alu 0xfffe
	s_or_b32 exec_lo, exec_lo, s11
	s_delay_alu instid0(SALU_CYCLE_1)
	s_mov_b32 s11, exec_lo
	v_cmpx_gt_u32_e64 s9, v31
	s_cbranch_execz .LBB399_517
.LBB399_542:                            ;   in Loop: Header=BB399_510 Depth=2
	s_wait_loadcnt 0x0
	v_add_co_u32 v11, s12, s0, v1
	s_wait_alu 0xf1ff
	v_add_co_ci_u32_e64 v12, null, s1, 0, s12
	global_load_u8 v8, v[11:12], off offset:768
	s_wait_alu 0xfffe
	s_or_b32 exec_lo, exec_lo, s11
	s_delay_alu instid0(SALU_CYCLE_1)
	s_mov_b32 s11, exec_lo
	v_cmpx_gt_u32_e64 s9, v34
	s_cbranch_execz .LBB399_518
.LBB399_543:                            ;   in Loop: Header=BB399_510 Depth=2
	s_wait_loadcnt 0x0
	v_add_co_u32 v11, s12, s0, v1
	s_wait_alu 0xf1ff
	v_add_co_ci_u32_e64 v12, null, s1, 0, s12
	global_load_u8 v6, v[11:12], off offset:1024
	s_wait_alu 0xfffe
	s_or_b32 exec_lo, exec_lo, s11
	s_delay_alu instid0(SALU_CYCLE_1)
	s_mov_b32 s11, exec_lo
	v_cmpx_gt_u32_e64 s9, v35
	s_cbranch_execz .LBB399_519
.LBB399_544:                            ;   in Loop: Header=BB399_510 Depth=2
	s_wait_loadcnt 0x0
	v_add_co_u32 v11, s12, s0, v1
	s_wait_alu 0xf1ff
	v_add_co_ci_u32_e64 v12, null, s1, 0, s12
	global_load_u8 v5, v[11:12], off offset:1280
	s_wait_alu 0xfffe
	s_or_b32 exec_lo, exec_lo, s11
	s_delay_alu instid0(SALU_CYCLE_1)
	s_mov_b32 s11, exec_lo
	v_cmpx_gt_u32_e64 s9, v36
	s_cbranch_execz .LBB399_520
.LBB399_545:                            ;   in Loop: Header=BB399_510 Depth=2
	s_wait_loadcnt 0x0
	v_add_co_u32 v11, s12, s0, v1
	s_wait_alu 0xf1ff
	v_add_co_ci_u32_e64 v12, null, s1, 0, s12
	global_load_u8 v4, v[11:12], off offset:1536
	s_wait_alu 0xfffe
	s_or_b32 exec_lo, exec_lo, s11
	s_delay_alu instid0(SALU_CYCLE_1)
	s_mov_b32 s11, exec_lo
	v_cmpx_gt_u32_e64 s9, v37
	s_cbranch_execnz .LBB399_521
	s_branch .LBB399_522
.LBB399_546:                            ;   in Loop: Header=BB399_12 Depth=1
	v_mov_b32_e32 v2, 0
	s_wait_dscnt 0x0
	s_barrier_signal -1
	s_barrier_wait -1
	global_inv scope:SCOPE_SE
	s_and_saveexec_b32 s0, s2
	s_cbranch_execz .LBB399_548
; %bb.547:                              ;   in Loop: Header=BB399_12 Depth=1
	ds_load_2addr_b64 v[4:7], v40 offset1:1
	s_wait_dscnt 0x0
	v_add_nc_u32_e32 v2, v5, v4
	s_delay_alu instid0(VALU_DEP_1)
	v_add3_u32 v2, v2, v6, v7
.LBB399_548:                            ;   in Loop: Header=BB399_12 Depth=1
	s_wait_alu 0xfffe
	s_or_b32 exec_lo, exec_lo, s0
	s_delay_alu instid0(VALU_DEP_1)
	v_mov_b32_dpp v4, v2 row_shr:1 row_mask:0xf bank_mask:0xf
	v_cmp_eq_u32_e64 s0, 0, v62
	v_cmp_lt_u32_e64 s1, 1, v62
	v_cmp_lt_u32_e64 s9, 3, v62
	;; [unrolled: 1-line block ×3, first 2 shown]
	v_cmp_eq_u32_e64 s11, 0, v64
	s_wait_alu 0xf1ff
	v_cndmask_b32_e64 v4, v4, 0, s0
	s_delay_alu instid0(VALU_DEP_1) | instskip(NEXT) | instid1(VALU_DEP_1)
	v_add_nc_u32_e32 v2, v4, v2
	v_mov_b32_dpp v4, v2 row_shr:2 row_mask:0xf bank_mask:0xf
	s_delay_alu instid0(VALU_DEP_1) | instskip(NEXT) | instid1(VALU_DEP_1)
	v_cndmask_b32_e64 v4, 0, v4, s1
	v_add_nc_u32_e32 v2, v2, v4
	s_delay_alu instid0(VALU_DEP_1) | instskip(NEXT) | instid1(VALU_DEP_1)
	v_mov_b32_dpp v4, v2 row_shr:4 row_mask:0xf bank_mask:0xf
	v_cndmask_b32_e64 v4, 0, v4, s9
	s_delay_alu instid0(VALU_DEP_1) | instskip(NEXT) | instid1(VALU_DEP_1)
	v_add_nc_u32_e32 v2, v2, v4
	v_mov_b32_dpp v4, v2 row_shr:8 row_mask:0xf bank_mask:0xf
	s_delay_alu instid0(VALU_DEP_1) | instskip(NEXT) | instid1(VALU_DEP_1)
	v_cndmask_b32_e64 v4, 0, v4, s10
	v_add_nc_u32_e32 v2, v2, v4
	ds_swizzle_b32 v4, v2 offset:swizzle(BROADCAST,32,15)
	s_wait_dscnt 0x0
	v_and_b32_e32 v4, v63, v4
	s_delay_alu instid0(VALU_DEP_1)
	v_add_nc_u32_e32 v2, v2, v4
	s_and_saveexec_b32 s12, s3
; %bb.549:                              ;   in Loop: Header=BB399_12 Depth=1
	ds_store_b32 v41, v2
; %bb.550:                              ;   in Loop: Header=BB399_12 Depth=1
	s_wait_alu 0xfffe
	s_or_b32 exec_lo, exec_lo, s12
	s_wait_loadcnt_dscnt 0x0
	s_barrier_signal -1
	s_barrier_wait -1
	global_inv scope:SCOPE_SE
	s_and_saveexec_b32 s12, s4
	s_cbranch_execz .LBB399_552
; %bb.551:                              ;   in Loop: Header=BB399_12 Depth=1
	ds_load_b32 v4, v42
	v_cmp_ne_u32_e32 vcc_lo, 0, v65
	s_wait_dscnt 0x0
	v_mov_b32_dpp v5, v4 row_shr:1 row_mask:0xf bank_mask:0xf
	s_wait_alu 0xfffd
	s_delay_alu instid0(VALU_DEP_1) | instskip(SKIP_1) | instid1(VALU_DEP_2)
	v_cndmask_b32_e32 v5, 0, v5, vcc_lo
	v_cmp_lt_u32_e32 vcc_lo, 1, v65
	v_add_nc_u32_e32 v4, v5, v4
	s_delay_alu instid0(VALU_DEP_1) | instskip(SKIP_1) | instid1(VALU_DEP_1)
	v_mov_b32_dpp v5, v4 row_shr:2 row_mask:0xf bank_mask:0xf
	s_wait_alu 0xfffd
	v_cndmask_b32_e32 v5, 0, v5, vcc_lo
	v_cmp_lt_u32_e32 vcc_lo, 3, v65
	s_delay_alu instid0(VALU_DEP_2) | instskip(NEXT) | instid1(VALU_DEP_1)
	v_add_nc_u32_e32 v4, v4, v5
	v_mov_b32_dpp v5, v4 row_shr:4 row_mask:0xf bank_mask:0xf
	s_wait_alu 0xfffd
	s_delay_alu instid0(VALU_DEP_1) | instskip(NEXT) | instid1(VALU_DEP_1)
	v_cndmask_b32_e32 v5, 0, v5, vcc_lo
	v_add_nc_u32_e32 v4, v4, v5
	ds_store_b32 v42, v4
.LBB399_552:                            ;   in Loop: Header=BB399_12 Depth=1
	s_wait_alu 0xfffe
	s_or_b32 exec_lo, exec_lo, s12
	v_mov_b32_e32 v4, 0
	s_wait_loadcnt_dscnt 0x0
	s_barrier_signal -1
	s_barrier_wait -1
	global_inv scope:SCOPE_SE
	s_and_saveexec_b32 s12, s5
; %bb.553:                              ;   in Loop: Header=BB399_12 Depth=1
	ds_load_b32 v4, v43
; %bb.554:                              ;   in Loop: Header=BB399_12 Depth=1
	s_wait_alu 0xfffe
	s_or_b32 exec_lo, exec_lo, s12
	v_cmp_gt_i32_e32 vcc_lo, 0, v67
	s_wait_dscnt 0x0
	v_add_nc_u32_e32 v2, v4, v2
	s_wait_loadcnt 0x0
	s_barrier_signal -1
	s_barrier_wait -1
	s_wait_alu 0xfffd
	v_cndmask_b32_e32 v5, v67, v58, vcc_lo
	global_inv scope:SCOPE_SE
	v_lshlrev_b32_e32 v80, 2, v5
	ds_bpermute_b32 v2, v80, v2
	s_and_saveexec_b32 s12, s2
	s_cbranch_execz .LBB399_556
; %bb.555:                              ;   in Loop: Header=BB399_12 Depth=1
	s_wait_dscnt 0x0
	v_cndmask_b32_e64 v2, v2, v4, s8
	s_delay_alu instid0(VALU_DEP_1)
	v_add_nc_u32_e32 v2, s33, v2
	ds_store_b32 v28, v2
.LBB399_556:                            ;   in Loop: Header=BB399_12 Depth=1
	s_wait_alu 0xfffe
	s_or_b32 exec_lo, exec_lo, s12
	s_load_b64 s[12:13], s[28:29], 0x0
	v_add_co_u32 v81, vcc_lo, v56, v66
	s_wait_alu 0xfffd
	v_add_co_ci_u32_e64 v82, null, 0, v57, vcc_lo
	v_add_co_u32 v83, vcc_lo, v59, v58
	s_wait_alu 0xfffd
	v_add_co_ci_u32_e64 v84, null, 0, v60, vcc_lo
	s_mov_b32 s42, s47
                                        ; implicit-def: $vgpr6_vgpr7
                                        ; implicit-def: $vgpr8_vgpr9
                                        ; implicit-def: $vgpr10_vgpr11
                                        ; implicit-def: $vgpr12_vgpr13
                                        ; implicit-def: $vgpr14_vgpr15
                                        ; implicit-def: $vgpr16_vgpr17
                                        ; implicit-def: $vgpr18_vgpr19
                                        ; implicit-def: $vgpr86
                                        ; implicit-def: $vgpr87
                                        ; implicit-def: $vgpr88
                                        ; implicit-def: $vgpr89
                                        ; implicit-def: $vgpr90
                                        ; implicit-def: $vgpr91
                                        ; implicit-def: $vgpr92
                                        ; implicit-def: $vgpr93
	s_wait_kmcnt 0x0
	s_cmp_lt_u32 ttmp7, s13
	s_cselect_b32 s22, 14, 20
	s_cmp_lt_u32 ttmp9, s12
	s_wait_alu 0xfffe
	s_add_nc_u64 s[14:15], s[28:29], s[22:23]
	s_cselect_b32 s22, 12, 18
	s_load_u16 s14, s[14:15], 0x0
	s_add_nc_u64 s[12:13], s[28:29], s[22:23]
	s_mov_b32 s22, s33
	s_load_u16 s12, s[12:13], 0x0
	v_cmp_lt_u32_e64 s13, 1, v65
	s_wait_dscnt 0x0
	s_wait_kmcnt 0x0
	v_mad_u32_u24 v2, v44, s14, v0
	v_cmp_lt_u32_e64 s14, 3, v65
	s_delay_alu instid0(VALU_DEP_2) | instskip(SKIP_1) | instid1(VALU_DEP_2)
	v_mad_co_u64_u32 v[4:5], null, v2, s12, v[1:2]
	v_cmp_eq_u32_e64 s12, 0, v65
	v_lshrrev_b32_e32 v2, 3, v4
                                        ; implicit-def: $vgpr4_vgpr5
	s_delay_alu instid0(VALU_DEP_1)
	v_and_b32_e32 v85, 0x1ffffffc, v2
	s_branch .LBB399_558
.LBB399_557:                            ;   in Loop: Header=BB399_558 Depth=2
	s_wait_alu 0xfffe
	s_or_b32 exec_lo, exec_lo, s15
	s_addk_co_i32 s42, 0xf800
	s_cmp_lt_u32 s43, s34
	s_mov_b32 s22, s43
	s_cbranch_scc0 .LBB399_10
.LBB399_558:                            ;   Parent Loop BB399_12 Depth=1
                                        ; =>  This Inner Loop Header: Depth=2
	s_wait_alu 0xfffe
	s_add_co_i32 s43, s22, 0x800
	s_wait_alu 0xfffe
	s_cmp_gt_u32 s43, s34
	s_cbranch_scc1 .LBB399_560
; %bb.559:                              ;   in Loop: Header=BB399_558 Depth=2
	v_add_co_u32 v20, vcc_lo, v83, s22
	s_wait_alu 0xfffd
	v_add_co_ci_u32_e64 v21, null, 0, v84, vcc_lo
	s_mov_b32 s15, -1
	s_clause 0x6
	global_load_u8 v23, v[20:21], off offset:192
	global_load_u8 v24, v[20:21], off offset:160
	;; [unrolled: 1-line block ×6, first 2 shown]
	global_load_u8 v94, v[20:21], off
	s_movk_i32 s16, 0x800
                                        ; implicit-def: $vgpr22
	s_cbranch_execz .LBB399_561
	s_branch .LBB399_570
.LBB399_560:                            ;   in Loop: Header=BB399_558 Depth=2
	s_mov_b32 s15, 0
                                        ; implicit-def: $vgpr94
                                        ; implicit-def: $vgpr96
                                        ; implicit-def: $vgpr27
                                        ; implicit-def: $vgpr26
                                        ; implicit-def: $vgpr25
                                        ; implicit-def: $vgpr24
                                        ; implicit-def: $vgpr23
	s_movk_i32 s16, 0x800
                                        ; implicit-def: $vgpr22
.LBB399_561:                            ;   in Loop: Header=BB399_558 Depth=2
	v_add_co_u32 v20, vcc_lo, v83, s22
	s_wait_alu 0xfffd
	v_add_co_ci_u32_e64 v21, null, 0, v84, vcc_lo
	s_wait_loadcnt 0x2
	v_dual_mov_b32 v22, 0x7f :: v_dual_mov_b32 v27, 0x7f
	s_wait_loadcnt 0x0
	v_dual_mov_b32 v94, 0x7f :: v_dual_mov_b32 v25, 0x7f
	v_dual_mov_b32 v96, 0x7f :: v_dual_mov_b32 v23, 0x7f
	v_mov_b32_e32 v26, 0x7f
	v_mov_b32_e32 v24, 0x7f
	s_mov_b32 s15, exec_lo
	v_cmpx_gt_u32_e64 s42, v68
	s_cbranch_execnz .LBB399_664
; %bb.562:                              ;   in Loop: Header=BB399_558 Depth=2
	s_wait_alu 0xfffe
	s_or_b32 exec_lo, exec_lo, s15
	s_delay_alu instid0(SALU_CYCLE_1)
	s_mov_b32 s15, exec_lo
	v_cmpx_gt_u32_e64 s42, v71
	s_cbranch_execnz .LBB399_665
.LBB399_563:                            ;   in Loop: Header=BB399_558 Depth=2
	s_wait_alu 0xfffe
	s_or_b32 exec_lo, exec_lo, s15
	s_delay_alu instid0(SALU_CYCLE_1)
	s_mov_b32 s15, exec_lo
	v_cmpx_gt_u32_e64 s42, v72
	s_cbranch_execnz .LBB399_666
.LBB399_564:                            ;   in Loop: Header=BB399_558 Depth=2
	s_wait_alu 0xfffe
	s_or_b32 exec_lo, exec_lo, s15
	s_delay_alu instid0(SALU_CYCLE_1)
	s_mov_b32 s15, exec_lo
	v_cmpx_gt_u32_e64 s42, v73
	s_cbranch_execnz .LBB399_667
.LBB399_565:                            ;   in Loop: Header=BB399_558 Depth=2
	s_wait_alu 0xfffe
	s_or_b32 exec_lo, exec_lo, s15
	s_delay_alu instid0(SALU_CYCLE_1)
	s_mov_b32 s15, exec_lo
	v_cmpx_gt_u32_e64 s42, v74
	s_cbranch_execnz .LBB399_668
.LBB399_566:                            ;   in Loop: Header=BB399_558 Depth=2
	s_wait_alu 0xfffe
	s_or_b32 exec_lo, exec_lo, s15
	s_delay_alu instid0(SALU_CYCLE_1)
	s_mov_b32 s15, exec_lo
	v_cmpx_gt_u32_e64 s42, v75
	s_cbranch_execnz .LBB399_669
.LBB399_567:                            ;   in Loop: Header=BB399_558 Depth=2
	s_wait_alu 0xfffe
	s_or_b32 exec_lo, exec_lo, s15
	s_delay_alu instid0(SALU_CYCLE_1)
	s_mov_b32 s15, exec_lo
	v_cmpx_gt_u32_e64 s42, v76
	s_cbranch_execz .LBB399_569
.LBB399_568:                            ;   in Loop: Header=BB399_558 Depth=2
	global_load_u8 v23, v[20:21], off offset:192
.LBB399_569:                            ;   in Loop: Header=BB399_558 Depth=2
	s_wait_alu 0xfffe
	s_or_b32 exec_lo, exec_lo, s15
	v_cmp_gt_u32_e64 s15, s42, v77
	s_sub_co_i32 s16, s34, s22
.LBB399_570:                            ;   in Loop: Header=BB399_558 Depth=2
	v_mov_b32_e32 v2, s42
	s_wait_alu 0xfffe
	s_and_saveexec_b32 s17, s15
	s_cbranch_execz .LBB399_572
; %bb.571:                              ;   in Loop: Header=BB399_558 Depth=2
	v_add_co_u32 v20, vcc_lo, v83, s22
	s_wait_alu 0xfffd
	v_add_co_ci_u32_e64 v21, null, s23, v84, vcc_lo
	v_mov_b32_e32 v2, s16
	global_load_u8 v22, v[20:21], off offset:224
.LBB399_572:                            ;   in Loop: Header=BB399_558 Depth=2
	s_wait_alu 0xfffe
	s_or_b32 exec_lo, exec_lo, s17
	s_wait_loadcnt 0x0
	v_xor_b32_e32 v94, 0xffffff80, v94
	s_delay_alu instid0(VALU_DEP_1) | instskip(NEXT) | instid1(VALU_DEP_1)
	v_and_b32_e32 v20, 0xff, v94
	v_lshrrev_b32_e32 v20, s45, v20
	s_delay_alu instid0(VALU_DEP_1) | instskip(NEXT) | instid1(VALU_DEP_1)
	v_and_b32_e32 v21, s31, v20
	v_and_b32_e32 v20, 1, v21
	v_lshlrev_b32_e32 v95, 30, v21
	v_lshlrev_b32_e32 v97, 29, v21
	;; [unrolled: 1-line block ×4, first 2 shown]
	v_add_co_u32 v20, s15, v20, -1
	s_wait_alu 0xf1ff
	v_cndmask_b32_e64 v99, 0, 1, s15
	v_not_b32_e32 v103, v95
	v_cmp_gt_i32_e64 s15, 0, v95
	v_not_b32_e32 v95, v97
	v_lshlrev_b32_e32 v101, 26, v21
	v_cmp_ne_u32_e32 vcc_lo, 0, v99
	v_ashrrev_i32_e32 v103, 31, v103
	v_lshlrev_b32_e32 v102, 25, v21
	v_ashrrev_i32_e32 v95, 31, v95
	v_lshlrev_b32_e32 v99, 24, v21
	s_wait_alu 0xfffd
	v_xor_b32_e32 v20, vcc_lo, v20
	v_cmp_gt_i32_e32 vcc_lo, 0, v97
	v_not_b32_e32 v97, v98
	s_wait_alu 0xf1ff
	v_xor_b32_e32 v103, s15, v103
	v_cmp_gt_i32_e64 s15, 0, v98
	v_and_b32_e32 v20, exec_lo, v20
	v_not_b32_e32 v98, v100
	v_ashrrev_i32_e32 v97, 31, v97
	s_wait_alu 0xfffd
	v_xor_b32_e32 v95, vcc_lo, v95
	v_cmp_gt_i32_e32 vcc_lo, 0, v100
	v_and_b32_e32 v20, v20, v103
	v_not_b32_e32 v100, v101
	v_ashrrev_i32_e32 v98, 31, v98
	s_wait_alu 0xf1ff
	v_xor_b32_e32 v97, s15, v97
	v_cmp_gt_i32_e64 s15, 0, v101
	v_and_b32_e32 v20, v20, v95
	v_not_b32_e32 v95, v102
	v_ashrrev_i32_e32 v100, 31, v100
	s_wait_alu 0xfffd
	v_xor_b32_e32 v98, vcc_lo, v98
	v_cmp_gt_i32_e32 vcc_lo, 0, v102
	v_and_b32_e32 v20, v20, v97
	v_not_b32_e32 v97, v99
	v_ashrrev_i32_e32 v95, 31, v95
	s_wait_alu 0xf1ff
	v_xor_b32_e32 v100, s15, v100
	v_cmp_gt_i32_e64 s15, 0, v99
	v_and_b32_e32 v20, v20, v98
	v_ashrrev_i32_e32 v97, 31, v97
	s_wait_alu 0xfffd
	v_xor_b32_e32 v95, vcc_lo, v95
	v_mul_u32_u24_e32 v21, 36, v21
	v_add_nc_u32_e32 v99, 0x428, v45
	v_and_b32_e32 v20, v20, v100
	s_wait_alu 0xf1ff
	v_xor_b32_e32 v98, s15, v97
	v_add_nc_u32_e32 v97, 0x438, v45
	v_add_nc_u32_e32 v100, 0x430, v45
	;; [unrolled: 1-line block ×3, first 2 shown]
	v_and_b32_e32 v20, v20, v95
	ds_store_2addr_b32 v97, v3, v3 offset1:1
	v_and_b32_e32 v20, v20, v98
	v_add_nc_u32_e32 v98, 0x420, v45
	ds_store_2addr_b32 v98, v3, v3 offset1:1
	ds_store_2addr_b32 v99, v3, v3 offset1:1
	;; [unrolled: 1-line block ×3, first 2 shown]
	ds_store_b32 v45, v3 offset:1088
	v_mbcnt_lo_u32_b32 v95, v20, 0
	v_cmp_ne_u32_e64 s15, 0, v20
	s_wait_dscnt 0x0
	s_barrier_signal -1
	s_barrier_wait -1
	v_cmp_eq_u32_e32 vcc_lo, 0, v95
	global_inv scope:SCOPE_SE
	; wave barrier
	s_and_b32 s16, s15, vcc_lo
	s_wait_alu 0xfffe
	s_and_saveexec_b32 s15, s16
; %bb.573:                              ;   in Loop: Header=BB399_558 Depth=2
	v_bcnt_u32_b32 v20, v20, 0
	ds_store_b32 v101, v20 offset:1056
; %bb.574:                              ;   in Loop: Header=BB399_558 Depth=2
	s_wait_alu 0xfffe
	s_or_b32 exec_lo, exec_lo, s15
	v_xor_b32_e32 v96, 0xffffff80, v96
	; wave barrier
	s_delay_alu instid0(VALU_DEP_1) | instskip(NEXT) | instid1(VALU_DEP_1)
	v_and_b32_e32 v20, 0xff, v96
	v_lshrrev_b32_e32 v20, s45, v20
	s_delay_alu instid0(VALU_DEP_1) | instskip(NEXT) | instid1(VALU_DEP_1)
	v_and_b32_e32 v21, s31, v20
	v_and_b32_e32 v20, 1, v21
	v_lshlrev_b32_e32 v102, 30, v21
	v_lshlrev_b32_e32 v103, 29, v21
	;; [unrolled: 1-line block ×4, first 2 shown]
	v_add_co_u32 v20, s15, v20, -1
	s_wait_alu 0xf1ff
	v_cndmask_b32_e64 v105, 0, 1, s15
	v_not_b32_e32 v109, v102
	v_cmp_gt_i32_e64 s15, 0, v102
	v_not_b32_e32 v102, v103
	v_lshlrev_b32_e32 v107, 26, v21
	v_cmp_ne_u32_e32 vcc_lo, 0, v105
	v_ashrrev_i32_e32 v109, 31, v109
	v_lshlrev_b32_e32 v108, 25, v21
	v_ashrrev_i32_e32 v102, 31, v102
	v_lshlrev_b32_e32 v105, 24, v21
	s_wait_alu 0xfffd
	v_xor_b32_e32 v20, vcc_lo, v20
	v_cmp_gt_i32_e32 vcc_lo, 0, v103
	v_not_b32_e32 v103, v104
	s_wait_alu 0xf1ff
	v_xor_b32_e32 v109, s15, v109
	v_cmp_gt_i32_e64 s15, 0, v104
	v_and_b32_e32 v20, exec_lo, v20
	v_not_b32_e32 v104, v106
	v_ashrrev_i32_e32 v103, 31, v103
	s_wait_alu 0xfffd
	v_xor_b32_e32 v102, vcc_lo, v102
	v_cmp_gt_i32_e32 vcc_lo, 0, v106
	v_and_b32_e32 v20, v20, v109
	v_not_b32_e32 v106, v107
	v_ashrrev_i32_e32 v104, 31, v104
	s_wait_alu 0xf1ff
	v_xor_b32_e32 v103, s15, v103
	v_cmp_gt_i32_e64 s15, 0, v107
	v_and_b32_e32 v20, v20, v102
	v_not_b32_e32 v102, v108
	v_ashrrev_i32_e32 v106, 31, v106
	s_wait_alu 0xfffd
	v_xor_b32_e32 v104, vcc_lo, v104
	v_cmp_gt_i32_e32 vcc_lo, 0, v108
	v_and_b32_e32 v20, v20, v103
	v_not_b32_e32 v103, v105
	v_ashrrev_i32_e32 v102, 31, v102
	s_wait_alu 0xf1ff
	v_xor_b32_e32 v106, s15, v106
	v_cmp_gt_i32_e64 s15, 0, v105
	v_and_b32_e32 v20, v20, v104
	v_ashrrev_i32_e32 v103, 31, v103
	s_wait_alu 0xfffd
	v_xor_b32_e32 v102, vcc_lo, v102
	v_mad_u32_u24 v104, v21, 36, v85
	v_mul_u32_u24_e32 v21, 36, v21
	v_and_b32_e32 v20, v20, v106
	s_wait_alu 0xf1ff
	v_xor_b32_e32 v103, s15, v103
	s_delay_alu instid0(VALU_DEP_3) | instskip(NEXT) | instid1(VALU_DEP_3)
	v_add_nc_u32_e32 v105, v85, v21
	v_and_b32_e32 v20, v20, v102
	ds_load_b32 v102, v104 offset:1056
	; wave barrier
	v_and_b32_e32 v20, v20, v103
	s_delay_alu instid0(VALU_DEP_1) | instskip(SKIP_1) | instid1(VALU_DEP_2)
	v_mbcnt_lo_u32_b32 v103, v20, 0
	v_cmp_ne_u32_e64 s15, 0, v20
	v_cmp_eq_u32_e32 vcc_lo, 0, v103
	s_and_b32 s16, s15, vcc_lo
	s_wait_alu 0xfffe
	s_and_saveexec_b32 s15, s16
	s_cbranch_execz .LBB399_576
; %bb.575:                              ;   in Loop: Header=BB399_558 Depth=2
	s_wait_dscnt 0x0
	v_bcnt_u32_b32 v20, v20, v102
	ds_store_b32 v105, v20 offset:1056
.LBB399_576:                            ;   in Loop: Header=BB399_558 Depth=2
	s_wait_alu 0xfffe
	s_or_b32 exec_lo, exec_lo, s15
	v_xor_b32_e32 v104, 0xffffff80, v27
	; wave barrier
	s_delay_alu instid0(VALU_DEP_1) | instskip(NEXT) | instid1(VALU_DEP_1)
	v_and_b32_e32 v20, 0xff, v104
	v_lshrrev_b32_e32 v20, s45, v20
	s_delay_alu instid0(VALU_DEP_1) | instskip(NEXT) | instid1(VALU_DEP_1)
	v_and_b32_e32 v21, s31, v20
	v_and_b32_e32 v20, 1, v21
	v_lshlrev_b32_e32 v27, 30, v21
	v_lshlrev_b32_e32 v106, 29, v21
	;; [unrolled: 1-line block ×4, first 2 shown]
	v_add_co_u32 v20, s15, v20, -1
	s_wait_alu 0xf1ff
	v_cndmask_b32_e64 v108, 0, 1, s15
	v_not_b32_e32 v112, v27
	v_cmp_gt_i32_e64 s15, 0, v27
	v_not_b32_e32 v27, v106
	v_lshlrev_b32_e32 v110, 26, v21
	v_cmp_ne_u32_e32 vcc_lo, 0, v108
	v_ashrrev_i32_e32 v112, 31, v112
	v_lshlrev_b32_e32 v111, 25, v21
	v_ashrrev_i32_e32 v27, 31, v27
	v_lshlrev_b32_e32 v108, 24, v21
	s_wait_alu 0xfffd
	v_xor_b32_e32 v20, vcc_lo, v20
	v_cmp_gt_i32_e32 vcc_lo, 0, v106
	v_not_b32_e32 v106, v107
	s_wait_alu 0xf1ff
	v_xor_b32_e32 v112, s15, v112
	v_cmp_gt_i32_e64 s15, 0, v107
	v_and_b32_e32 v20, exec_lo, v20
	v_not_b32_e32 v107, v109
	v_ashrrev_i32_e32 v106, 31, v106
	s_wait_alu 0xfffd
	v_xor_b32_e32 v27, vcc_lo, v27
	v_cmp_gt_i32_e32 vcc_lo, 0, v109
	v_and_b32_e32 v20, v20, v112
	v_not_b32_e32 v109, v110
	v_ashrrev_i32_e32 v107, 31, v107
	s_wait_alu 0xf1ff
	v_xor_b32_e32 v106, s15, v106
	v_cmp_gt_i32_e64 s15, 0, v110
	v_and_b32_e32 v20, v20, v27
	v_not_b32_e32 v27, v111
	v_ashrrev_i32_e32 v109, 31, v109
	s_wait_alu 0xfffd
	v_xor_b32_e32 v107, vcc_lo, v107
	v_cmp_gt_i32_e32 vcc_lo, 0, v111
	v_and_b32_e32 v20, v20, v106
	v_not_b32_e32 v106, v108
	v_ashrrev_i32_e32 v27, 31, v27
	s_wait_alu 0xf1ff
	v_xor_b32_e32 v109, s15, v109
	v_cmp_gt_i32_e64 s15, 0, v108
	v_and_b32_e32 v20, v20, v107
	v_ashrrev_i32_e32 v106, 31, v106
	s_wait_alu 0xfffd
	v_xor_b32_e32 v27, vcc_lo, v27
	v_mad_u32_u24 v107, v21, 36, v85
	v_mul_u32_u24_e32 v21, 36, v21
	v_and_b32_e32 v20, v20, v109
	s_wait_alu 0xf1ff
	v_xor_b32_e32 v108, s15, v106
	ds_load_b32 v106, v107 offset:1056
	v_add_nc_u32_e32 v109, v85, v21
	v_and_b32_e32 v20, v20, v27
	; wave barrier
	s_delay_alu instid0(VALU_DEP_1) | instskip(NEXT) | instid1(VALU_DEP_1)
	v_and_b32_e32 v20, v20, v108
	v_mbcnt_lo_u32_b32 v107, v20, 0
	v_cmp_ne_u32_e64 s15, 0, v20
	s_delay_alu instid0(VALU_DEP_2)
	v_cmp_eq_u32_e32 vcc_lo, 0, v107
	s_and_b32 s16, s15, vcc_lo
	s_wait_alu 0xfffe
	s_and_saveexec_b32 s15, s16
	s_cbranch_execz .LBB399_578
; %bb.577:                              ;   in Loop: Header=BB399_558 Depth=2
	s_wait_dscnt 0x0
	v_bcnt_u32_b32 v20, v20, v106
	ds_store_b32 v109, v20 offset:1056
.LBB399_578:                            ;   in Loop: Header=BB399_558 Depth=2
	s_wait_alu 0xfffe
	s_or_b32 exec_lo, exec_lo, s15
	v_xor_b32_e32 v108, 0xffffff80, v26
	; wave barrier
	s_delay_alu instid0(VALU_DEP_1) | instskip(NEXT) | instid1(VALU_DEP_1)
	v_and_b32_e32 v20, 0xff, v108
	v_lshrrev_b32_e32 v20, s45, v20
	s_delay_alu instid0(VALU_DEP_1) | instskip(NEXT) | instid1(VALU_DEP_1)
	v_and_b32_e32 v21, s31, v20
	v_and_b32_e32 v20, 1, v21
	v_lshlrev_b32_e32 v26, 30, v21
	v_lshlrev_b32_e32 v27, 29, v21
	;; [unrolled: 1-line block ×4, first 2 shown]
	v_add_co_u32 v20, s15, v20, -1
	s_wait_alu 0xf1ff
	v_cndmask_b32_e64 v111, 0, 1, s15
	v_not_b32_e32 v115, v26
	v_cmp_gt_i32_e64 s15, 0, v26
	v_not_b32_e32 v26, v27
	v_lshlrev_b32_e32 v113, 26, v21
	v_cmp_ne_u32_e32 vcc_lo, 0, v111
	v_ashrrev_i32_e32 v115, 31, v115
	v_lshlrev_b32_e32 v114, 25, v21
	v_ashrrev_i32_e32 v26, 31, v26
	v_lshlrev_b32_e32 v111, 24, v21
	s_wait_alu 0xfffd
	v_xor_b32_e32 v20, vcc_lo, v20
	v_cmp_gt_i32_e32 vcc_lo, 0, v27
	v_not_b32_e32 v27, v110
	s_wait_alu 0xf1ff
	v_xor_b32_e32 v115, s15, v115
	v_cmp_gt_i32_e64 s15, 0, v110
	v_and_b32_e32 v20, exec_lo, v20
	v_not_b32_e32 v110, v112
	v_ashrrev_i32_e32 v27, 31, v27
	s_wait_alu 0xfffd
	v_xor_b32_e32 v26, vcc_lo, v26
	v_cmp_gt_i32_e32 vcc_lo, 0, v112
	v_and_b32_e32 v20, v20, v115
	v_not_b32_e32 v112, v113
	v_ashrrev_i32_e32 v110, 31, v110
	s_wait_alu 0xf1ff
	v_xor_b32_e32 v27, s15, v27
	v_cmp_gt_i32_e64 s15, 0, v113
	v_and_b32_e32 v20, v20, v26
	v_not_b32_e32 v26, v114
	v_ashrrev_i32_e32 v112, 31, v112
	s_wait_alu 0xfffd
	v_xor_b32_e32 v110, vcc_lo, v110
	v_cmp_gt_i32_e32 vcc_lo, 0, v114
	v_and_b32_e32 v20, v20, v27
	v_not_b32_e32 v27, v111
	v_ashrrev_i32_e32 v26, 31, v26
	s_wait_alu 0xf1ff
	v_xor_b32_e32 v112, s15, v112
	v_cmp_gt_i32_e64 s15, 0, v111
	v_and_b32_e32 v20, v20, v110
	v_ashrrev_i32_e32 v27, 31, v27
	s_wait_alu 0xfffd
	v_xor_b32_e32 v26, vcc_lo, v26
	v_mad_u32_u24 v110, v21, 36, v85
	v_mul_u32_u24_e32 v21, 36, v21
	v_and_b32_e32 v20, v20, v112
	s_wait_alu 0xf1ff
	v_xor_b32_e32 v27, s15, v27
	ds_load_b32 v110, v110 offset:1056
	v_add_nc_u32_e32 v113, v85, v21
	v_and_b32_e32 v20, v20, v26
	; wave barrier
	s_delay_alu instid0(VALU_DEP_1) | instskip(NEXT) | instid1(VALU_DEP_1)
	v_and_b32_e32 v20, v20, v27
	v_mbcnt_lo_u32_b32 v111, v20, 0
	v_cmp_ne_u32_e64 s15, 0, v20
	s_delay_alu instid0(VALU_DEP_2)
	v_cmp_eq_u32_e32 vcc_lo, 0, v111
	s_and_b32 s16, s15, vcc_lo
	s_wait_alu 0xfffe
	s_and_saveexec_b32 s15, s16
	s_cbranch_execz .LBB399_580
; %bb.579:                              ;   in Loop: Header=BB399_558 Depth=2
	s_wait_dscnt 0x0
	v_bcnt_u32_b32 v20, v20, v110
	ds_store_b32 v113, v20 offset:1056
.LBB399_580:                            ;   in Loop: Header=BB399_558 Depth=2
	s_wait_alu 0xfffe
	s_or_b32 exec_lo, exec_lo, s15
	v_xor_b32_e32 v112, 0xffffff80, v25
	; wave barrier
	s_delay_alu instid0(VALU_DEP_1) | instskip(NEXT) | instid1(VALU_DEP_1)
	v_and_b32_e32 v20, 0xff, v112
	v_lshrrev_b32_e32 v20, s45, v20
	s_delay_alu instid0(VALU_DEP_1) | instskip(NEXT) | instid1(VALU_DEP_1)
	v_and_b32_e32 v21, s31, v20
	v_and_b32_e32 v20, 1, v21
	v_lshlrev_b32_e32 v25, 30, v21
	v_lshlrev_b32_e32 v26, 29, v21
	v_lshlrev_b32_e32 v27, 28, v21
	v_lshlrev_b32_e32 v115, 27, v21
	v_add_co_u32 v20, s15, v20, -1
	s_wait_alu 0xf1ff
	v_cndmask_b32_e64 v114, 0, 1, s15
	v_not_b32_e32 v118, v25
	v_cmp_gt_i32_e64 s15, 0, v25
	v_not_b32_e32 v25, v26
	v_lshlrev_b32_e32 v116, 26, v21
	v_cmp_ne_u32_e32 vcc_lo, 0, v114
	v_ashrrev_i32_e32 v118, 31, v118
	v_lshlrev_b32_e32 v117, 25, v21
	v_ashrrev_i32_e32 v25, 31, v25
	v_lshlrev_b32_e32 v114, 24, v21
	s_wait_alu 0xfffd
	v_xor_b32_e32 v20, vcc_lo, v20
	v_cmp_gt_i32_e32 vcc_lo, 0, v26
	v_not_b32_e32 v26, v27
	s_wait_alu 0xf1ff
	v_xor_b32_e32 v118, s15, v118
	v_cmp_gt_i32_e64 s15, 0, v27
	v_and_b32_e32 v20, exec_lo, v20
	v_not_b32_e32 v27, v115
	v_ashrrev_i32_e32 v26, 31, v26
	s_wait_alu 0xfffd
	v_xor_b32_e32 v25, vcc_lo, v25
	v_cmp_gt_i32_e32 vcc_lo, 0, v115
	v_and_b32_e32 v20, v20, v118
	v_not_b32_e32 v115, v116
	v_ashrrev_i32_e32 v27, 31, v27
	s_wait_alu 0xf1ff
	v_xor_b32_e32 v26, s15, v26
	v_cmp_gt_i32_e64 s15, 0, v116
	v_and_b32_e32 v20, v20, v25
	v_not_b32_e32 v25, v117
	v_ashrrev_i32_e32 v115, 31, v115
	s_wait_alu 0xfffd
	v_xor_b32_e32 v27, vcc_lo, v27
	v_cmp_gt_i32_e32 vcc_lo, 0, v117
	v_and_b32_e32 v20, v20, v26
	v_not_b32_e32 v26, v114
	v_ashrrev_i32_e32 v25, 31, v25
	s_wait_alu 0xf1ff
	v_xor_b32_e32 v115, s15, v115
	v_cmp_gt_i32_e64 s15, 0, v114
	v_and_b32_e32 v20, v20, v27
	v_ashrrev_i32_e32 v26, 31, v26
	s_wait_alu 0xfffd
	v_xor_b32_e32 v25, vcc_lo, v25
	v_mad_u32_u24 v27, v21, 36, v85
	v_mul_u32_u24_e32 v21, 36, v21
	v_and_b32_e32 v20, v20, v115
	s_wait_alu 0xf1ff
	v_xor_b32_e32 v26, s15, v26
	ds_load_b32 v114, v27 offset:1056
	v_add_nc_u32_e32 v117, v85, v21
	v_and_b32_e32 v20, v20, v25
	; wave barrier
	s_delay_alu instid0(VALU_DEP_1) | instskip(NEXT) | instid1(VALU_DEP_1)
	v_and_b32_e32 v20, v20, v26
	v_mbcnt_lo_u32_b32 v115, v20, 0
	v_cmp_ne_u32_e64 s15, 0, v20
	s_delay_alu instid0(VALU_DEP_2)
	v_cmp_eq_u32_e32 vcc_lo, 0, v115
	s_and_b32 s16, s15, vcc_lo
	s_wait_alu 0xfffe
	s_and_saveexec_b32 s15, s16
	s_cbranch_execz .LBB399_582
; %bb.581:                              ;   in Loop: Header=BB399_558 Depth=2
	s_wait_dscnt 0x0
	v_bcnt_u32_b32 v20, v20, v114
	ds_store_b32 v117, v20 offset:1056
.LBB399_582:                            ;   in Loop: Header=BB399_558 Depth=2
	s_wait_alu 0xfffe
	s_or_b32 exec_lo, exec_lo, s15
	v_xor_b32_e32 v116, 0xffffff80, v24
	; wave barrier
	s_delay_alu instid0(VALU_DEP_1) | instskip(NEXT) | instid1(VALU_DEP_1)
	v_and_b32_e32 v20, 0xff, v116
	v_lshrrev_b32_e32 v20, s45, v20
	s_delay_alu instid0(VALU_DEP_1) | instskip(NEXT) | instid1(VALU_DEP_1)
	v_and_b32_e32 v21, s31, v20
	v_and_b32_e32 v20, 1, v21
	v_lshlrev_b32_e32 v24, 30, v21
	v_lshlrev_b32_e32 v25, 29, v21
	;; [unrolled: 1-line block ×4, first 2 shown]
	v_add_co_u32 v20, s15, v20, -1
	s_wait_alu 0xf1ff
	v_cndmask_b32_e64 v27, 0, 1, s15
	v_not_b32_e32 v121, v24
	v_cmp_gt_i32_e64 s15, 0, v24
	v_not_b32_e32 v24, v25
	v_lshlrev_b32_e32 v119, 26, v21
	v_cmp_ne_u32_e32 vcc_lo, 0, v27
	v_ashrrev_i32_e32 v121, 31, v121
	v_lshlrev_b32_e32 v120, 25, v21
	v_ashrrev_i32_e32 v24, 31, v24
	v_lshlrev_b32_e32 v27, 24, v21
	s_wait_alu 0xfffd
	v_xor_b32_e32 v20, vcc_lo, v20
	v_cmp_gt_i32_e32 vcc_lo, 0, v25
	v_not_b32_e32 v25, v26
	s_wait_alu 0xf1ff
	v_xor_b32_e32 v121, s15, v121
	v_cmp_gt_i32_e64 s15, 0, v26
	v_and_b32_e32 v20, exec_lo, v20
	v_not_b32_e32 v26, v118
	v_ashrrev_i32_e32 v25, 31, v25
	s_wait_alu 0xfffd
	v_xor_b32_e32 v24, vcc_lo, v24
	v_cmp_gt_i32_e32 vcc_lo, 0, v118
	v_and_b32_e32 v20, v20, v121
	v_not_b32_e32 v118, v119
	v_ashrrev_i32_e32 v26, 31, v26
	s_wait_alu 0xf1ff
	v_xor_b32_e32 v25, s15, v25
	v_cmp_gt_i32_e64 s15, 0, v119
	v_and_b32_e32 v20, v20, v24
	v_not_b32_e32 v24, v120
	v_ashrrev_i32_e32 v118, 31, v118
	s_wait_alu 0xfffd
	v_xor_b32_e32 v26, vcc_lo, v26
	v_cmp_gt_i32_e32 vcc_lo, 0, v120
	v_and_b32_e32 v20, v20, v25
	v_not_b32_e32 v25, v27
	v_ashrrev_i32_e32 v24, 31, v24
	s_wait_alu 0xf1ff
	v_xor_b32_e32 v118, s15, v118
	v_cmp_gt_i32_e64 s15, 0, v27
	v_and_b32_e32 v20, v20, v26
	v_ashrrev_i32_e32 v25, 31, v25
	s_wait_alu 0xfffd
	v_xor_b32_e32 v24, vcc_lo, v24
	v_mad_u32_u24 v26, v21, 36, v85
	v_mul_u32_u24_e32 v21, 36, v21
	v_and_b32_e32 v20, v20, v118
	s_wait_alu 0xf1ff
	v_xor_b32_e32 v25, s15, v25
	ds_load_b32 v118, v26 offset:1056
	v_add_nc_u32_e32 v121, v85, v21
	v_and_b32_e32 v20, v20, v24
	; wave barrier
	s_delay_alu instid0(VALU_DEP_1) | instskip(NEXT) | instid1(VALU_DEP_1)
	v_and_b32_e32 v20, v20, v25
	v_mbcnt_lo_u32_b32 v119, v20, 0
	v_cmp_ne_u32_e64 s15, 0, v20
	s_delay_alu instid0(VALU_DEP_2)
	v_cmp_eq_u32_e32 vcc_lo, 0, v119
	s_and_b32 s16, s15, vcc_lo
	s_wait_alu 0xfffe
	s_and_saveexec_b32 s15, s16
	s_cbranch_execz .LBB399_584
; %bb.583:                              ;   in Loop: Header=BB399_558 Depth=2
	s_wait_dscnt 0x0
	v_bcnt_u32_b32 v20, v20, v118
	ds_store_b32 v121, v20 offset:1056
.LBB399_584:                            ;   in Loop: Header=BB399_558 Depth=2
	s_wait_alu 0xfffe
	s_or_b32 exec_lo, exec_lo, s15
	v_xor_b32_e32 v120, 0xffffff80, v23
	; wave barrier
	s_delay_alu instid0(VALU_DEP_1) | instskip(NEXT) | instid1(VALU_DEP_1)
	v_and_b32_e32 v20, 0xff, v120
	v_lshrrev_b32_e32 v20, s45, v20
	s_delay_alu instid0(VALU_DEP_1) | instskip(NEXT) | instid1(VALU_DEP_1)
	v_and_b32_e32 v21, s31, v20
	v_and_b32_e32 v20, 1, v21
	v_lshlrev_b32_e32 v23, 30, v21
	v_lshlrev_b32_e32 v24, 29, v21
	;; [unrolled: 1-line block ×4, first 2 shown]
	v_add_co_u32 v20, s15, v20, -1
	s_wait_alu 0xf1ff
	v_cndmask_b32_e64 v26, 0, 1, s15
	v_not_b32_e32 v124, v23
	v_cmp_gt_i32_e64 s15, 0, v23
	v_not_b32_e32 v23, v24
	v_lshlrev_b32_e32 v122, 26, v21
	v_cmp_ne_u32_e32 vcc_lo, 0, v26
	v_ashrrev_i32_e32 v124, 31, v124
	v_lshlrev_b32_e32 v123, 25, v21
	v_ashrrev_i32_e32 v23, 31, v23
	v_lshlrev_b32_e32 v26, 24, v21
	s_wait_alu 0xfffd
	v_xor_b32_e32 v20, vcc_lo, v20
	v_cmp_gt_i32_e32 vcc_lo, 0, v24
	v_not_b32_e32 v24, v25
	s_wait_alu 0xf1ff
	v_xor_b32_e32 v124, s15, v124
	v_cmp_gt_i32_e64 s15, 0, v25
	v_and_b32_e32 v20, exec_lo, v20
	v_not_b32_e32 v25, v27
	v_ashrrev_i32_e32 v24, 31, v24
	s_wait_alu 0xfffd
	v_xor_b32_e32 v23, vcc_lo, v23
	v_cmp_gt_i32_e32 vcc_lo, 0, v27
	v_and_b32_e32 v20, v20, v124
	v_not_b32_e32 v27, v122
	v_ashrrev_i32_e32 v25, 31, v25
	s_wait_alu 0xf1ff
	v_xor_b32_e32 v24, s15, v24
	v_cmp_gt_i32_e64 s15, 0, v122
	v_and_b32_e32 v20, v20, v23
	v_not_b32_e32 v23, v123
	v_ashrrev_i32_e32 v27, 31, v27
	s_wait_alu 0xfffd
	v_xor_b32_e32 v25, vcc_lo, v25
	v_cmp_gt_i32_e32 vcc_lo, 0, v123
	v_and_b32_e32 v20, v20, v24
	v_not_b32_e32 v24, v26
	v_ashrrev_i32_e32 v23, 31, v23
	s_wait_alu 0xf1ff
	v_xor_b32_e32 v27, s15, v27
	v_cmp_gt_i32_e64 s15, 0, v26
	v_and_b32_e32 v20, v20, v25
	v_ashrrev_i32_e32 v24, 31, v24
	s_wait_alu 0xfffd
	v_xor_b32_e32 v23, vcc_lo, v23
	v_mad_u32_u24 v25, v21, 36, v85
	v_mul_u32_u24_e32 v21, 36, v21
	v_and_b32_e32 v20, v20, v27
	s_wait_alu 0xf1ff
	v_xor_b32_e32 v24, s15, v24
	ds_load_b32 v122, v25 offset:1056
	v_add_nc_u32_e32 v125, v85, v21
	v_and_b32_e32 v20, v20, v23
	; wave barrier
	s_delay_alu instid0(VALU_DEP_1) | instskip(NEXT) | instid1(VALU_DEP_1)
	v_and_b32_e32 v20, v20, v24
	v_mbcnt_lo_u32_b32 v123, v20, 0
	v_cmp_ne_u32_e64 s15, 0, v20
	s_delay_alu instid0(VALU_DEP_2)
	v_cmp_eq_u32_e32 vcc_lo, 0, v123
	s_and_b32 s16, s15, vcc_lo
	s_wait_alu 0xfffe
	s_and_saveexec_b32 s15, s16
	s_cbranch_execz .LBB399_586
; %bb.585:                              ;   in Loop: Header=BB399_558 Depth=2
	s_wait_dscnt 0x0
	v_bcnt_u32_b32 v20, v20, v122
	ds_store_b32 v125, v20 offset:1056
.LBB399_586:                            ;   in Loop: Header=BB399_558 Depth=2
	s_wait_alu 0xfffe
	s_or_b32 exec_lo, exec_lo, s15
	v_xor_b32_e32 v124, 0xffffff80, v22
	; wave barrier
	s_delay_alu instid0(VALU_DEP_1) | instskip(NEXT) | instid1(VALU_DEP_1)
	v_and_b32_e32 v20, 0xff, v124
	v_lshrrev_b32_e32 v20, s45, v20
	s_delay_alu instid0(VALU_DEP_1) | instskip(NEXT) | instid1(VALU_DEP_1)
	v_and_b32_e32 v21, s31, v20
	v_and_b32_e32 v20, 1, v21
	v_lshlrev_b32_e32 v22, 30, v21
	v_lshlrev_b32_e32 v23, 29, v21
	;; [unrolled: 1-line block ×4, first 2 shown]
	v_add_co_u32 v20, s15, v20, -1
	s_wait_alu 0xf1ff
	v_cndmask_b32_e64 v25, 0, 1, s15
	v_not_b32_e32 v127, v22
	v_cmp_gt_i32_e64 s15, 0, v22
	v_not_b32_e32 v22, v23
	v_lshlrev_b32_e32 v27, 26, v21
	v_cmp_ne_u32_e32 vcc_lo, 0, v25
	v_ashrrev_i32_e32 v127, 31, v127
	v_lshlrev_b32_e32 v126, 25, v21
	v_ashrrev_i32_e32 v22, 31, v22
	v_lshlrev_b32_e32 v25, 24, v21
	s_wait_alu 0xfffd
	v_xor_b32_e32 v20, vcc_lo, v20
	v_cmp_gt_i32_e32 vcc_lo, 0, v23
	v_not_b32_e32 v23, v24
	s_wait_alu 0xf1ff
	v_xor_b32_e32 v127, s15, v127
	v_cmp_gt_i32_e64 s15, 0, v24
	v_and_b32_e32 v20, exec_lo, v20
	v_not_b32_e32 v24, v26
	v_ashrrev_i32_e32 v23, 31, v23
	s_wait_alu 0xfffd
	v_xor_b32_e32 v22, vcc_lo, v22
	v_cmp_gt_i32_e32 vcc_lo, 0, v26
	v_and_b32_e32 v20, v20, v127
	v_not_b32_e32 v26, v27
	v_ashrrev_i32_e32 v24, 31, v24
	s_wait_alu 0xf1ff
	v_xor_b32_e32 v23, s15, v23
	v_cmp_gt_i32_e64 s15, 0, v27
	v_and_b32_e32 v20, v20, v22
	v_not_b32_e32 v22, v126
	v_ashrrev_i32_e32 v26, 31, v26
	s_wait_alu 0xfffd
	v_xor_b32_e32 v24, vcc_lo, v24
	v_cmp_gt_i32_e32 vcc_lo, 0, v126
	v_and_b32_e32 v20, v20, v23
	v_not_b32_e32 v23, v25
	v_ashrrev_i32_e32 v22, 31, v22
	s_wait_alu 0xf1ff
	v_xor_b32_e32 v26, s15, v26
	v_cmp_gt_i32_e64 s15, 0, v25
	v_and_b32_e32 v20, v20, v24
	v_ashrrev_i32_e32 v23, 31, v23
	s_wait_alu 0xfffd
	v_xor_b32_e32 v22, vcc_lo, v22
	v_mad_u32_u24 v24, v21, 36, v85
	v_mul_u32_u24_e32 v21, 36, v21
	v_and_b32_e32 v20, v20, v26
	s_wait_alu 0xf1ff
	v_xor_b32_e32 v23, s15, v23
	ds_load_b32 v126, v24 offset:1056
	v_add_nc_u32_e32 v128, v85, v21
	v_and_b32_e32 v20, v20, v22
	; wave barrier
	s_delay_alu instid0(VALU_DEP_1) | instskip(NEXT) | instid1(VALU_DEP_1)
	v_and_b32_e32 v20, v20, v23
	v_mbcnt_lo_u32_b32 v127, v20, 0
	v_cmp_ne_u32_e64 s15, 0, v20
	s_delay_alu instid0(VALU_DEP_2)
	v_cmp_eq_u32_e32 vcc_lo, 0, v127
	s_and_b32 s16, s15, vcc_lo
	s_wait_alu 0xfffe
	s_and_saveexec_b32 s15, s16
	s_cbranch_execz .LBB399_588
; %bb.587:                              ;   in Loop: Header=BB399_558 Depth=2
	s_wait_dscnt 0x0
	v_bcnt_u32_b32 v20, v20, v126
	ds_store_b32 v128, v20 offset:1056
.LBB399_588:                            ;   in Loop: Header=BB399_558 Depth=2
	s_wait_alu 0xfffe
	s_or_b32 exec_lo, exec_lo, s15
	; wave barrier
	s_wait_loadcnt_dscnt 0x0
	s_barrier_signal -1
	s_barrier_wait -1
	global_inv scope:SCOPE_SE
	ds_load_2addr_b32 v[26:27], v98 offset1:1
	ds_load_2addr_b32 v[24:25], v99 offset1:1
	;; [unrolled: 1-line block ×4, first 2 shown]
	ds_load_b32 v129, v45 offset:1088
	s_wait_dscnt 0x3
	v_add3_u32 v130, v27, v26, v24
	s_wait_dscnt 0x2
	s_delay_alu instid0(VALU_DEP_1) | instskip(SKIP_1) | instid1(VALU_DEP_1)
	v_add3_u32 v130, v130, v25, v22
	s_wait_dscnt 0x1
	v_add3_u32 v130, v130, v23, v20
	s_wait_dscnt 0x0
	s_delay_alu instid0(VALU_DEP_1) | instskip(NEXT) | instid1(VALU_DEP_1)
	v_add3_u32 v129, v130, v21, v129
	v_mov_b32_dpp v130, v129 row_shr:1 row_mask:0xf bank_mask:0xf
	s_delay_alu instid0(VALU_DEP_1) | instskip(NEXT) | instid1(VALU_DEP_1)
	v_cndmask_b32_e64 v130, v130, 0, s0
	v_add_nc_u32_e32 v129, v130, v129
	s_delay_alu instid0(VALU_DEP_1) | instskip(NEXT) | instid1(VALU_DEP_1)
	v_mov_b32_dpp v130, v129 row_shr:2 row_mask:0xf bank_mask:0xf
	v_cndmask_b32_e64 v130, 0, v130, s1
	s_delay_alu instid0(VALU_DEP_1) | instskip(NEXT) | instid1(VALU_DEP_1)
	v_add_nc_u32_e32 v129, v129, v130
	v_mov_b32_dpp v130, v129 row_shr:4 row_mask:0xf bank_mask:0xf
	s_delay_alu instid0(VALU_DEP_1) | instskip(NEXT) | instid1(VALU_DEP_1)
	v_cndmask_b32_e64 v130, 0, v130, s9
	v_add_nc_u32_e32 v129, v129, v130
	s_delay_alu instid0(VALU_DEP_1) | instskip(NEXT) | instid1(VALU_DEP_1)
	v_mov_b32_dpp v130, v129 row_shr:8 row_mask:0xf bank_mask:0xf
	v_cndmask_b32_e64 v130, 0, v130, s10
	s_delay_alu instid0(VALU_DEP_1) | instskip(SKIP_3) | instid1(VALU_DEP_1)
	v_add_nc_u32_e32 v129, v129, v130
	ds_swizzle_b32 v130, v129 offset:swizzle(BROADCAST,32,15)
	s_wait_dscnt 0x0
	v_cndmask_b32_e64 v130, v130, 0, s11
	v_add_nc_u32_e32 v129, v129, v130
	s_and_saveexec_b32 s15, s3
; %bb.589:                              ;   in Loop: Header=BB399_558 Depth=2
	ds_store_b32 v38, v129 offset:1024
; %bb.590:                              ;   in Loop: Header=BB399_558 Depth=2
	s_wait_alu 0xfffe
	s_or_b32 exec_lo, exec_lo, s15
	s_wait_loadcnt_dscnt 0x0
	s_barrier_signal -1
	s_barrier_wait -1
	global_inv scope:SCOPE_SE
	s_and_saveexec_b32 s15, s4
	s_cbranch_execz .LBB399_592
; %bb.591:                              ;   in Loop: Header=BB399_558 Depth=2
	v_add_nc_u32_e32 v130, v45, v46
	ds_load_b32 v131, v130 offset:1024
	s_wait_dscnt 0x0
	v_mov_b32_dpp v132, v131 row_shr:1 row_mask:0xf bank_mask:0xf
	s_delay_alu instid0(VALU_DEP_1) | instskip(NEXT) | instid1(VALU_DEP_1)
	v_cndmask_b32_e64 v132, v132, 0, s12
	v_add_nc_u32_e32 v131, v132, v131
	s_delay_alu instid0(VALU_DEP_1) | instskip(NEXT) | instid1(VALU_DEP_1)
	v_mov_b32_dpp v132, v131 row_shr:2 row_mask:0xf bank_mask:0xf
	v_cndmask_b32_e64 v132, 0, v132, s13
	s_delay_alu instid0(VALU_DEP_1) | instskip(NEXT) | instid1(VALU_DEP_1)
	v_add_nc_u32_e32 v131, v131, v132
	v_mov_b32_dpp v132, v131 row_shr:4 row_mask:0xf bank_mask:0xf
	s_delay_alu instid0(VALU_DEP_1) | instskip(NEXT) | instid1(VALU_DEP_1)
	v_cndmask_b32_e64 v132, 0, v132, s14
	v_add_nc_u32_e32 v131, v131, v132
	ds_store_b32 v130, v131 offset:1024
.LBB399_592:                            ;   in Loop: Header=BB399_558 Depth=2
	s_wait_alu 0xfffe
	s_or_b32 exec_lo, exec_lo, s15
	v_mov_b32_e32 v130, 0
	s_wait_loadcnt_dscnt 0x0
	s_barrier_signal -1
	s_barrier_wait -1
	global_inv scope:SCOPE_SE
	s_and_saveexec_b32 s15, s5
; %bb.593:                              ;   in Loop: Header=BB399_558 Depth=2
	ds_load_b32 v130, v38 offset:1020
; %bb.594:                              ;   in Loop: Header=BB399_558 Depth=2
	s_wait_alu 0xfffe
	s_or_b32 exec_lo, exec_lo, s15
	s_wait_dscnt 0x0
	v_add_nc_u32_e32 v129, v130, v129
	ds_bpermute_b32 v129, v80, v129
	s_wait_dscnt 0x0
	v_cndmask_b32_e64 v129, v129, v130, s8
	s_delay_alu instid0(VALU_DEP_1) | instskip(NEXT) | instid1(VALU_DEP_1)
	v_cndmask_b32_e64 v129, v129, 0, s6
	v_add_nc_u32_e32 v26, v129, v26
	s_delay_alu instid0(VALU_DEP_1) | instskip(NEXT) | instid1(VALU_DEP_1)
	v_add_nc_u32_e32 v27, v26, v27
	v_add_nc_u32_e32 v24, v27, v24
	s_delay_alu instid0(VALU_DEP_1) | instskip(NEXT) | instid1(VALU_DEP_1)
	v_add_nc_u32_e32 v25, v24, v25
	;; [unrolled: 3-line block ×3, first 2 shown]
	v_add_nc_u32_e32 v20, v23, v20
	s_delay_alu instid0(VALU_DEP_1)
	v_add_nc_u32_e32 v21, v20, v21
	ds_store_2addr_b32 v97, v23, v20 offset1:1
	ds_store_2addr_b32 v98, v129, v26 offset1:1
	;; [unrolled: 1-line block ×4, first 2 shown]
	ds_store_b32 v45, v21 offset:1088
	s_wait_loadcnt_dscnt 0x0
	s_barrier_signal -1
	s_barrier_wait -1
	global_inv scope:SCOPE_SE
	ds_load_b32 v20, v101 offset:1056
	ds_load_b32 v21, v105 offset:1056
	;; [unrolled: 1-line block ×9, first 2 shown]
	v_mov_b32_e32 v22, 0x800
	s_and_saveexec_b32 s15, s7
; %bb.595:                              ;   in Loop: Header=BB399_558 Depth=2
	ds_load_b32 v22, v45 offset:1092
; %bb.596:                              ;   in Loop: Header=BB399_558 Depth=2
	s_wait_alu 0xfffe
	s_or_b32 exec_lo, exec_lo, s15
	s_wait_loadcnt_dscnt 0x0
	s_barrier_signal -1
	s_barrier_wait -1
	global_inv scope:SCOPE_SE
	s_and_saveexec_b32 s15, s2
	s_cbranch_execz .LBB399_598
; %bb.597:                              ;   in Loop: Header=BB399_558 Depth=2
	ds_load_b32 v27, v28
	s_wait_dscnt 0x0
	v_sub_nc_u32_e32 v26, v27, v26
	ds_store_b32 v28, v26
.LBB399_598:                            ;   in Loop: Header=BB399_558 Depth=2
	s_wait_alu 0xfffe
	s_or_b32 exec_lo, exec_lo, s15
	v_add_nc_u32_e32 v98, v20, v95
	v_add3_u32 v97, v103, v102, v21
	v_add3_u32 v95, v107, v106, v23
	;; [unrolled: 1-line block ×7, first 2 shown]
	v_cmp_lt_u32_e64 s19, v1, v2
	ds_store_b8 v98, v94 offset:1024
	ds_store_b8 v97, v96 offset:1024
	;; [unrolled: 1-line block ×8, first 2 shown]
	s_wait_loadcnt_dscnt 0x0
	s_barrier_signal -1
	s_barrier_wait -1
	global_inv scope:SCOPE_SE
	s_and_saveexec_b32 s15, s19
	s_cbranch_execnz .LBB399_635
; %bb.599:                              ;   in Loop: Header=BB399_558 Depth=2
	s_wait_alu 0xfffe
	s_or_b32 exec_lo, exec_lo, s15
	v_cmp_lt_u32_e64 s21, v29, v2
	s_and_saveexec_b32 s15, s21
	s_cbranch_execnz .LBB399_636
.LBB399_600:                            ;   in Loop: Header=BB399_558 Depth=2
	s_wait_alu 0xfffe
	s_or_b32 exec_lo, exec_lo, s15
	v_cmp_lt_u32_e64 s20, v30, v2
	s_and_saveexec_b32 s15, s20
	s_cbranch_execnz .LBB399_637
.LBB399_601:                            ;   in Loop: Header=BB399_558 Depth=2
	s_wait_alu 0xfffe
	s_or_b32 exec_lo, exec_lo, s15
	v_cmp_lt_u32_e64 s18, v31, v2
	s_and_saveexec_b32 s15, s18
	s_cbranch_execnz .LBB399_638
.LBB399_602:                            ;   in Loop: Header=BB399_558 Depth=2
	s_wait_alu 0xfffe
	s_or_b32 exec_lo, exec_lo, s15
	v_cmp_lt_u32_e64 s17, v34, v2
	s_and_saveexec_b32 s15, s17
	s_cbranch_execnz .LBB399_639
.LBB399_603:                            ;   in Loop: Header=BB399_558 Depth=2
	s_wait_alu 0xfffe
	s_or_b32 exec_lo, exec_lo, s15
	v_cmp_lt_u32_e64 s16, v35, v2
	s_and_saveexec_b32 s15, s16
	s_cbranch_execnz .LBB399_640
.LBB399_604:                            ;   in Loop: Header=BB399_558 Depth=2
	s_wait_alu 0xfffe
	s_or_b32 exec_lo, exec_lo, s15
	v_cmp_lt_u32_e64 s15, v36, v2
	s_and_saveexec_b32 s44, s15
	s_cbranch_execnz .LBB399_641
.LBB399_605:                            ;   in Loop: Header=BB399_558 Depth=2
	s_wait_alu 0xfffe
	s_or_b32 exec_lo, exec_lo, s44
	v_cmp_lt_u32_e32 vcc_lo, v37, v2
	s_and_saveexec_b32 s44, vcc_lo
	s_cbranch_execz .LBB399_607
.LBB399_606:                            ;   in Loop: Header=BB399_558 Depth=2
	ds_load_u8 v20, v1 offset:2816
	s_wait_dscnt 0x0
	v_and_b32_e32 v21, 0xff, v20
	v_xor_b32_e32 v20, 0x80, v20
	s_delay_alu instid0(VALU_DEP_2) | instskip(NEXT) | instid1(VALU_DEP_1)
	v_lshrrev_b32_e32 v21, s45, v21
	v_and_b32_e32 v21, s31, v21
	s_delay_alu instid0(VALU_DEP_1)
	v_lshlrev_b32_e32 v21, 2, v21
	ds_load_b32 v21, v21
	s_wait_dscnt 0x0
	v_add_nc_u32_e32 v21, v21, v37
	global_store_b8 v21, v20, s[40:41]
.LBB399_607:                            ;   in Loop: Header=BB399_558 Depth=2
	s_wait_alu 0xfffe
	s_or_b32 exec_lo, exec_lo, s44
	s_lshl_b64 s[48:49], s[22:23], 3
	s_wait_alu 0xfffe
	v_add_co_u32 v20, s22, v81, s48
	s_wait_alu 0xf1ff
	v_add_co_ci_u32_e64 v21, null, s49, v82, s22
	v_cmp_lt_u32_e64 s22, v68, v2
	s_and_saveexec_b32 s44, s22
	s_wait_alu 0xfffe
	s_xor_b32 s22, exec_lo, s44
	s_cbranch_execnz .LBB399_642
; %bb.608:                              ;   in Loop: Header=BB399_558 Depth=2
	s_wait_alu 0xfffe
	s_or_b32 exec_lo, exec_lo, s22
	s_delay_alu instid0(SALU_CYCLE_1)
	s_mov_b32 s44, exec_lo
	v_cmpx_lt_u32_e64 v71, v2
	s_cbranch_execnz .LBB399_643
.LBB399_609:                            ;   in Loop: Header=BB399_558 Depth=2
	s_wait_alu 0xfffe
	s_or_b32 exec_lo, exec_lo, s44
	s_delay_alu instid0(SALU_CYCLE_1)
	s_mov_b32 s44, exec_lo
	v_cmpx_lt_u32_e64 v72, v2
	s_cbranch_execnz .LBB399_644
.LBB399_610:                            ;   in Loop: Header=BB399_558 Depth=2
	s_wait_alu 0xfffe
	s_or_b32 exec_lo, exec_lo, s44
	s_delay_alu instid0(SALU_CYCLE_1)
	s_mov_b32 s44, exec_lo
	v_cmpx_lt_u32_e64 v73, v2
	s_cbranch_execnz .LBB399_645
.LBB399_611:                            ;   in Loop: Header=BB399_558 Depth=2
	s_wait_alu 0xfffe
	s_or_b32 exec_lo, exec_lo, s44
	s_delay_alu instid0(SALU_CYCLE_1)
	s_mov_b32 s44, exec_lo
	v_cmpx_lt_u32_e64 v74, v2
	s_cbranch_execnz .LBB399_646
.LBB399_612:                            ;   in Loop: Header=BB399_558 Depth=2
	s_wait_alu 0xfffe
	s_or_b32 exec_lo, exec_lo, s44
	s_delay_alu instid0(SALU_CYCLE_1)
	s_mov_b32 s44, exec_lo
	v_cmpx_lt_u32_e64 v75, v2
	s_cbranch_execnz .LBB399_647
.LBB399_613:                            ;   in Loop: Header=BB399_558 Depth=2
	s_wait_alu 0xfffe
	s_or_b32 exec_lo, exec_lo, s44
	s_delay_alu instid0(SALU_CYCLE_1)
	s_mov_b32 s44, exec_lo
	v_cmpx_lt_u32_e64 v76, v2
	s_cbranch_execnz .LBB399_648
.LBB399_614:                            ;   in Loop: Header=BB399_558 Depth=2
	s_wait_alu 0xfffe
	s_or_b32 exec_lo, exec_lo, s44
	s_delay_alu instid0(SALU_CYCLE_1)
	s_mov_b32 s44, exec_lo
	v_cmpx_lt_u32_e64 v77, v2
	s_cbranch_execnz .LBB399_649
.LBB399_615:                            ;   in Loop: Header=BB399_558 Depth=2
	s_wait_alu 0xfffe
	s_or_b32 exec_lo, exec_lo, s44
	s_and_saveexec_b32 s22, s19
	s_cbranch_execnz .LBB399_650
.LBB399_616:                            ;   in Loop: Header=BB399_558 Depth=2
	s_wait_alu 0xfffe
	s_or_b32 exec_lo, exec_lo, s22
	s_and_saveexec_b32 s22, s21
	s_cbranch_execnz .LBB399_651
.LBB399_617:                            ;   in Loop: Header=BB399_558 Depth=2
	s_wait_alu 0xfffe
	s_or_b32 exec_lo, exec_lo, s22
	s_and_saveexec_b32 s22, s20
	s_cbranch_execnz .LBB399_652
.LBB399_618:                            ;   in Loop: Header=BB399_558 Depth=2
	s_wait_alu 0xfffe
	s_or_b32 exec_lo, exec_lo, s22
	s_and_saveexec_b32 s22, s18
	s_cbranch_execnz .LBB399_653
.LBB399_619:                            ;   in Loop: Header=BB399_558 Depth=2
	s_wait_alu 0xfffe
	s_or_b32 exec_lo, exec_lo, s22
	s_and_saveexec_b32 s22, s17
	s_cbranch_execnz .LBB399_654
.LBB399_620:                            ;   in Loop: Header=BB399_558 Depth=2
	s_wait_alu 0xfffe
	s_or_b32 exec_lo, exec_lo, s22
	s_and_saveexec_b32 s22, s16
	s_cbranch_execnz .LBB399_655
.LBB399_621:                            ;   in Loop: Header=BB399_558 Depth=2
	s_wait_alu 0xfffe
	s_or_b32 exec_lo, exec_lo, s22
	s_and_saveexec_b32 s22, s15
	s_cbranch_execnz .LBB399_656
.LBB399_622:                            ;   in Loop: Header=BB399_558 Depth=2
	s_wait_alu 0xfffe
	s_or_b32 exec_lo, exec_lo, s22
	s_and_saveexec_b32 s22, vcc_lo
	s_cbranch_execz .LBB399_624
.LBB399_623:                            ;   in Loop: Header=BB399_558 Depth=2
	ds_load_u8 v2, v1 offset:2816
	s_wait_dscnt 0x0
	v_lshrrev_b32_e32 v2, s45, v2
	s_delay_alu instid0(VALU_DEP_1)
	v_and_b32_e32 v86, s31, v2
.LBB399_624:                            ;   in Loop: Header=BB399_558 Depth=2
	s_wait_alu 0xfffe
	s_or_b32 exec_lo, exec_lo, s22
	v_lshlrev_b32_e32 v2, 3, v98
	v_lshlrev_b32_e32 v20, 3, v97
	;; [unrolled: 1-line block ×3, first 2 shown]
	s_wait_loadcnt 0x0
	s_wait_storecnt 0x0
	s_barrier_signal -1
	s_barrier_wait -1
	global_inv scope:SCOPE_SE
	ds_store_b64 v2, v[18:19] offset:1024
	ds_store_b64 v20, v[16:17] offset:1024
	ds_store_b64 v21, v[14:15] offset:1024
	v_lshlrev_b32_e32 v2, 3, v27
	v_lshlrev_b32_e32 v20, 3, v26
	;; [unrolled: 1-line block ×5, first 2 shown]
	ds_store_b64 v2, v[12:13] offset:1024
	ds_store_b64 v20, v[10:11] offset:1024
	;; [unrolled: 1-line block ×5, first 2 shown]
	v_add_nc_u32_e32 v20, v1, v47
	s_wait_loadcnt_dscnt 0x0
	s_barrier_signal -1
	s_barrier_wait -1
	global_inv scope:SCOPE_SE
	s_and_saveexec_b32 s22, s19
	s_cbranch_execnz .LBB399_657
; %bb.625:                              ;   in Loop: Header=BB399_558 Depth=2
	s_wait_alu 0xfffe
	s_or_b32 exec_lo, exec_lo, s22
	s_and_saveexec_b32 s22, s21
	s_cbranch_execnz .LBB399_658
.LBB399_626:                            ;   in Loop: Header=BB399_558 Depth=2
	s_wait_alu 0xfffe
	s_or_b32 exec_lo, exec_lo, s22
	s_and_saveexec_b32 s21, s20
	s_cbranch_execnz .LBB399_659
.LBB399_627:                            ;   in Loop: Header=BB399_558 Depth=2
	s_wait_alu 0xfffe
	s_or_b32 exec_lo, exec_lo, s21
	s_and_saveexec_b32 s19, s18
	s_cbranch_execnz .LBB399_660
.LBB399_628:                            ;   in Loop: Header=BB399_558 Depth=2
	s_wait_alu 0xfffe
	s_or_b32 exec_lo, exec_lo, s19
	s_and_saveexec_b32 s18, s17
	s_cbranch_execnz .LBB399_661
.LBB399_629:                            ;   in Loop: Header=BB399_558 Depth=2
	s_wait_alu 0xfffe
	s_or_b32 exec_lo, exec_lo, s18
	s_and_saveexec_b32 s17, s16
	s_cbranch_execnz .LBB399_662
.LBB399_630:                            ;   in Loop: Header=BB399_558 Depth=2
	s_wait_alu 0xfffe
	s_or_b32 exec_lo, exec_lo, s17
	s_and_saveexec_b32 s16, s15
	s_cbranch_execnz .LBB399_663
.LBB399_631:                            ;   in Loop: Header=BB399_558 Depth=2
	s_wait_alu 0xfffe
	s_or_b32 exec_lo, exec_lo, s16
	s_and_saveexec_b32 s15, vcc_lo
	s_cbranch_execz .LBB399_633
.LBB399_632:                            ;   in Loop: Header=BB399_558 Depth=2
	v_lshlrev_b32_e32 v2, 2, v86
	ds_load_b32 v2, v2
	ds_load_b64 v[20:21], v20 offset:15360
	s_wait_dscnt 0x1
	v_add_nc_u32_e32 v2, v2, v37
	s_delay_alu instid0(VALU_DEP_1) | instskip(NEXT) | instid1(VALU_DEP_1)
	v_lshlrev_b64_e32 v[23:24], 3, v[2:3]
	v_add_co_u32 v23, vcc_lo, s26, v23
	s_wait_alu 0xfffd
	s_delay_alu instid0(VALU_DEP_2)
	v_add_co_ci_u32_e64 v24, null, s27, v24, vcc_lo
	s_wait_dscnt 0x0
	global_store_b64 v[23:24], v[20:21], off
.LBB399_633:                            ;   in Loop: Header=BB399_558 Depth=2
	s_wait_alu 0xfffe
	s_or_b32 exec_lo, exec_lo, s15
	s_wait_loadcnt 0x0
	s_wait_storecnt 0x0
	s_barrier_signal -1
	s_barrier_wait -1
	global_inv scope:SCOPE_SE
	s_and_saveexec_b32 s15, s2
	s_cbranch_execz .LBB399_557
; %bb.634:                              ;   in Loop: Header=BB399_558 Depth=2
	ds_load_b32 v2, v28
	s_wait_dscnt 0x0
	v_add_nc_u32_e32 v2, v2, v22
	ds_store_b32 v28, v2
	s_branch .LBB399_557
.LBB399_635:                            ;   in Loop: Header=BB399_558 Depth=2
	ds_load_u8 v20, v1 offset:1024
	s_wait_dscnt 0x0
	v_and_b32_e32 v21, 0xff, v20
	v_xor_b32_e32 v20, 0x80, v20
	s_delay_alu instid0(VALU_DEP_2) | instskip(NEXT) | instid1(VALU_DEP_1)
	v_lshrrev_b32_e32 v21, s45, v21
	v_and_b32_e32 v21, s31, v21
	s_delay_alu instid0(VALU_DEP_1)
	v_lshlrev_b32_e32 v21, 2, v21
	ds_load_b32 v21, v21
	s_wait_dscnt 0x0
	v_add_nc_u32_e32 v21, v21, v1
	global_store_b8 v21, v20, s[40:41]
	s_wait_alu 0xfffe
	s_or_b32 exec_lo, exec_lo, s15
	v_cmp_lt_u32_e64 s21, v29, v2
	s_and_saveexec_b32 s15, s21
	s_cbranch_execz .LBB399_600
.LBB399_636:                            ;   in Loop: Header=BB399_558 Depth=2
	ds_load_u8 v20, v1 offset:1280
	s_wait_dscnt 0x0
	v_and_b32_e32 v21, 0xff, v20
	v_xor_b32_e32 v20, 0x80, v20
	s_delay_alu instid0(VALU_DEP_2) | instskip(NEXT) | instid1(VALU_DEP_1)
	v_lshrrev_b32_e32 v21, s45, v21
	v_and_b32_e32 v21, s31, v21
	s_delay_alu instid0(VALU_DEP_1)
	v_lshlrev_b32_e32 v21, 2, v21
	ds_load_b32 v21, v21
	s_wait_dscnt 0x0
	v_add_nc_u32_e32 v21, v21, v29
	global_store_b8 v21, v20, s[40:41]
	s_wait_alu 0xfffe
	s_or_b32 exec_lo, exec_lo, s15
	v_cmp_lt_u32_e64 s20, v30, v2
	s_and_saveexec_b32 s15, s20
	s_cbranch_execz .LBB399_601
.LBB399_637:                            ;   in Loop: Header=BB399_558 Depth=2
	ds_load_u8 v20, v1 offset:1536
	s_wait_dscnt 0x0
	v_and_b32_e32 v21, 0xff, v20
	v_xor_b32_e32 v20, 0x80, v20
	s_delay_alu instid0(VALU_DEP_2) | instskip(NEXT) | instid1(VALU_DEP_1)
	v_lshrrev_b32_e32 v21, s45, v21
	v_and_b32_e32 v21, s31, v21
	s_delay_alu instid0(VALU_DEP_1)
	v_lshlrev_b32_e32 v21, 2, v21
	ds_load_b32 v21, v21
	s_wait_dscnt 0x0
	v_add_nc_u32_e32 v21, v21, v30
	global_store_b8 v21, v20, s[40:41]
	s_wait_alu 0xfffe
	s_or_b32 exec_lo, exec_lo, s15
	v_cmp_lt_u32_e64 s18, v31, v2
	s_and_saveexec_b32 s15, s18
	s_cbranch_execz .LBB399_602
.LBB399_638:                            ;   in Loop: Header=BB399_558 Depth=2
	ds_load_u8 v20, v1 offset:1792
	s_wait_dscnt 0x0
	v_and_b32_e32 v21, 0xff, v20
	v_xor_b32_e32 v20, 0x80, v20
	s_delay_alu instid0(VALU_DEP_2) | instskip(NEXT) | instid1(VALU_DEP_1)
	v_lshrrev_b32_e32 v21, s45, v21
	v_and_b32_e32 v21, s31, v21
	s_delay_alu instid0(VALU_DEP_1)
	v_lshlrev_b32_e32 v21, 2, v21
	ds_load_b32 v21, v21
	s_wait_dscnt 0x0
	v_add_nc_u32_e32 v21, v21, v31
	global_store_b8 v21, v20, s[40:41]
	s_wait_alu 0xfffe
	s_or_b32 exec_lo, exec_lo, s15
	v_cmp_lt_u32_e64 s17, v34, v2
	s_and_saveexec_b32 s15, s17
	s_cbranch_execz .LBB399_603
.LBB399_639:                            ;   in Loop: Header=BB399_558 Depth=2
	ds_load_u8 v20, v1 offset:2048
	s_wait_dscnt 0x0
	v_and_b32_e32 v21, 0xff, v20
	v_xor_b32_e32 v20, 0x80, v20
	s_delay_alu instid0(VALU_DEP_2) | instskip(NEXT) | instid1(VALU_DEP_1)
	v_lshrrev_b32_e32 v21, s45, v21
	v_and_b32_e32 v21, s31, v21
	s_delay_alu instid0(VALU_DEP_1)
	v_lshlrev_b32_e32 v21, 2, v21
	ds_load_b32 v21, v21
	s_wait_dscnt 0x0
	v_add_nc_u32_e32 v21, v21, v34
	global_store_b8 v21, v20, s[40:41]
	s_wait_alu 0xfffe
	s_or_b32 exec_lo, exec_lo, s15
	v_cmp_lt_u32_e64 s16, v35, v2
	s_and_saveexec_b32 s15, s16
	s_cbranch_execz .LBB399_604
.LBB399_640:                            ;   in Loop: Header=BB399_558 Depth=2
	ds_load_u8 v20, v1 offset:2304
	s_wait_dscnt 0x0
	v_and_b32_e32 v21, 0xff, v20
	v_xor_b32_e32 v20, 0x80, v20
	s_delay_alu instid0(VALU_DEP_2) | instskip(NEXT) | instid1(VALU_DEP_1)
	v_lshrrev_b32_e32 v21, s45, v21
	v_and_b32_e32 v21, s31, v21
	s_delay_alu instid0(VALU_DEP_1)
	v_lshlrev_b32_e32 v21, 2, v21
	ds_load_b32 v21, v21
	s_wait_dscnt 0x0
	v_add_nc_u32_e32 v21, v21, v35
	global_store_b8 v21, v20, s[40:41]
	s_wait_alu 0xfffe
	s_or_b32 exec_lo, exec_lo, s15
	v_cmp_lt_u32_e64 s15, v36, v2
	s_and_saveexec_b32 s44, s15
	s_cbranch_execz .LBB399_605
.LBB399_641:                            ;   in Loop: Header=BB399_558 Depth=2
	ds_load_u8 v20, v1 offset:2560
	s_wait_dscnt 0x0
	v_and_b32_e32 v21, 0xff, v20
	v_xor_b32_e32 v20, 0x80, v20
	s_delay_alu instid0(VALU_DEP_2) | instskip(NEXT) | instid1(VALU_DEP_1)
	v_lshrrev_b32_e32 v21, s45, v21
	v_and_b32_e32 v21, s31, v21
	s_delay_alu instid0(VALU_DEP_1)
	v_lshlrev_b32_e32 v21, 2, v21
	ds_load_b32 v21, v21
	s_wait_dscnt 0x0
	v_add_nc_u32_e32 v21, v21, v36
	global_store_b8 v21, v20, s[40:41]
	s_wait_alu 0xfffe
	s_or_b32 exec_lo, exec_lo, s44
	v_cmp_lt_u32_e32 vcc_lo, v37, v2
	s_and_saveexec_b32 s44, vcc_lo
	s_cbranch_execnz .LBB399_606
	s_branch .LBB399_607
.LBB399_642:                            ;   in Loop: Header=BB399_558 Depth=2
	global_load_b64 v[18:19], v[20:21], off
	s_wait_alu 0xfffe
	s_or_b32 exec_lo, exec_lo, s22
	s_delay_alu instid0(SALU_CYCLE_1)
	s_mov_b32 s44, exec_lo
	v_cmpx_lt_u32_e64 v71, v2
	s_cbranch_execz .LBB399_609
.LBB399_643:                            ;   in Loop: Header=BB399_558 Depth=2
	global_load_b64 v[16:17], v[20:21], off offset:256
	s_wait_alu 0xfffe
	s_or_b32 exec_lo, exec_lo, s44
	s_delay_alu instid0(SALU_CYCLE_1)
	s_mov_b32 s44, exec_lo
	v_cmpx_lt_u32_e64 v72, v2
	s_cbranch_execz .LBB399_610
.LBB399_644:                            ;   in Loop: Header=BB399_558 Depth=2
	global_load_b64 v[14:15], v[20:21], off offset:512
	s_wait_alu 0xfffe
	s_or_b32 exec_lo, exec_lo, s44
	s_delay_alu instid0(SALU_CYCLE_1)
	s_mov_b32 s44, exec_lo
	v_cmpx_lt_u32_e64 v73, v2
	s_cbranch_execz .LBB399_611
.LBB399_645:                            ;   in Loop: Header=BB399_558 Depth=2
	global_load_b64 v[12:13], v[20:21], off offset:768
	s_wait_alu 0xfffe
	s_or_b32 exec_lo, exec_lo, s44
	s_delay_alu instid0(SALU_CYCLE_1)
	s_mov_b32 s44, exec_lo
	v_cmpx_lt_u32_e64 v74, v2
	s_cbranch_execz .LBB399_612
.LBB399_646:                            ;   in Loop: Header=BB399_558 Depth=2
	global_load_b64 v[10:11], v[20:21], off offset:1024
	s_wait_alu 0xfffe
	s_or_b32 exec_lo, exec_lo, s44
	s_delay_alu instid0(SALU_CYCLE_1)
	s_mov_b32 s44, exec_lo
	v_cmpx_lt_u32_e64 v75, v2
	s_cbranch_execz .LBB399_613
.LBB399_647:                            ;   in Loop: Header=BB399_558 Depth=2
	global_load_b64 v[8:9], v[20:21], off offset:1280
	s_wait_alu 0xfffe
	s_or_b32 exec_lo, exec_lo, s44
	s_delay_alu instid0(SALU_CYCLE_1)
	s_mov_b32 s44, exec_lo
	v_cmpx_lt_u32_e64 v76, v2
	s_cbranch_execz .LBB399_614
.LBB399_648:                            ;   in Loop: Header=BB399_558 Depth=2
	global_load_b64 v[6:7], v[20:21], off offset:1536
	s_wait_alu 0xfffe
	s_or_b32 exec_lo, exec_lo, s44
	s_delay_alu instid0(SALU_CYCLE_1)
	s_mov_b32 s44, exec_lo
	v_cmpx_lt_u32_e64 v77, v2
	s_cbranch_execz .LBB399_615
.LBB399_649:                            ;   in Loop: Header=BB399_558 Depth=2
	global_load_b64 v[4:5], v[20:21], off offset:1792
	s_wait_alu 0xfffe
	s_or_b32 exec_lo, exec_lo, s44
	s_and_saveexec_b32 s22, s19
	s_cbranch_execz .LBB399_616
.LBB399_650:                            ;   in Loop: Header=BB399_558 Depth=2
	ds_load_u8 v2, v1 offset:1024
	s_wait_dscnt 0x0
	v_lshrrev_b32_e32 v2, s45, v2
	s_delay_alu instid0(VALU_DEP_1)
	v_and_b32_e32 v93, s31, v2
	s_wait_alu 0xfffe
	s_or_b32 exec_lo, exec_lo, s22
	s_and_saveexec_b32 s22, s21
	s_cbranch_execz .LBB399_617
.LBB399_651:                            ;   in Loop: Header=BB399_558 Depth=2
	ds_load_u8 v2, v1 offset:1280
	s_wait_dscnt 0x0
	v_lshrrev_b32_e32 v2, s45, v2
	s_delay_alu instid0(VALU_DEP_1)
	v_and_b32_e32 v92, s31, v2
	s_wait_alu 0xfffe
	s_or_b32 exec_lo, exec_lo, s22
	s_and_saveexec_b32 s22, s20
	s_cbranch_execz .LBB399_618
.LBB399_652:                            ;   in Loop: Header=BB399_558 Depth=2
	ds_load_u8 v2, v1 offset:1536
	s_wait_dscnt 0x0
	v_lshrrev_b32_e32 v2, s45, v2
	s_delay_alu instid0(VALU_DEP_1)
	v_and_b32_e32 v91, s31, v2
	s_wait_alu 0xfffe
	s_or_b32 exec_lo, exec_lo, s22
	s_and_saveexec_b32 s22, s18
	s_cbranch_execz .LBB399_619
.LBB399_653:                            ;   in Loop: Header=BB399_558 Depth=2
	ds_load_u8 v2, v1 offset:1792
	s_wait_dscnt 0x0
	v_lshrrev_b32_e32 v2, s45, v2
	s_delay_alu instid0(VALU_DEP_1)
	v_and_b32_e32 v90, s31, v2
	s_wait_alu 0xfffe
	s_or_b32 exec_lo, exec_lo, s22
	s_and_saveexec_b32 s22, s17
	s_cbranch_execz .LBB399_620
.LBB399_654:                            ;   in Loop: Header=BB399_558 Depth=2
	ds_load_u8 v2, v1 offset:2048
	s_wait_dscnt 0x0
	v_lshrrev_b32_e32 v2, s45, v2
	s_delay_alu instid0(VALU_DEP_1)
	v_and_b32_e32 v89, s31, v2
	s_wait_alu 0xfffe
	s_or_b32 exec_lo, exec_lo, s22
	s_and_saveexec_b32 s22, s16
	s_cbranch_execz .LBB399_621
.LBB399_655:                            ;   in Loop: Header=BB399_558 Depth=2
	ds_load_u8 v2, v1 offset:2304
	s_wait_dscnt 0x0
	v_lshrrev_b32_e32 v2, s45, v2
	s_delay_alu instid0(VALU_DEP_1)
	v_and_b32_e32 v88, s31, v2
	s_wait_alu 0xfffe
	s_or_b32 exec_lo, exec_lo, s22
	s_and_saveexec_b32 s22, s15
	s_cbranch_execz .LBB399_622
.LBB399_656:                            ;   in Loop: Header=BB399_558 Depth=2
	ds_load_u8 v2, v1 offset:2560
	s_wait_dscnt 0x0
	v_lshrrev_b32_e32 v2, s45, v2
	s_delay_alu instid0(VALU_DEP_1)
	v_and_b32_e32 v87, s31, v2
	s_wait_alu 0xfffe
	s_or_b32 exec_lo, exec_lo, s22
	s_and_saveexec_b32 s22, vcc_lo
	s_cbranch_execnz .LBB399_623
	s_branch .LBB399_624
.LBB399_657:                            ;   in Loop: Header=BB399_558 Depth=2
	v_lshlrev_b32_e32 v2, 2, v93
	ds_load_b32 v2, v2
	ds_load_b64 v[23:24], v20 offset:1024
	s_wait_dscnt 0x1
	v_add_nc_u32_e32 v2, v2, v1
	s_delay_alu instid0(VALU_DEP_1) | instskip(NEXT) | instid1(VALU_DEP_1)
	v_lshlrev_b64_e32 v[25:26], 3, v[2:3]
	v_add_co_u32 v25, s19, s26, v25
	s_wait_alu 0xf1ff
	s_delay_alu instid0(VALU_DEP_2)
	v_add_co_ci_u32_e64 v26, null, s27, v26, s19
	s_wait_dscnt 0x0
	global_store_b64 v[25:26], v[23:24], off
	s_wait_alu 0xfffe
	s_or_b32 exec_lo, exec_lo, s22
	s_and_saveexec_b32 s22, s21
	s_cbranch_execz .LBB399_626
.LBB399_658:                            ;   in Loop: Header=BB399_558 Depth=2
	v_lshlrev_b32_e32 v2, 2, v92
	ds_load_b32 v2, v2
	ds_load_b64 v[23:24], v20 offset:3072
	s_wait_dscnt 0x1
	v_add_nc_u32_e32 v2, v2, v29
	s_delay_alu instid0(VALU_DEP_1) | instskip(NEXT) | instid1(VALU_DEP_1)
	v_lshlrev_b64_e32 v[25:26], 3, v[2:3]
	v_add_co_u32 v25, s19, s26, v25
	s_wait_alu 0xf1ff
	s_delay_alu instid0(VALU_DEP_2)
	v_add_co_ci_u32_e64 v26, null, s27, v26, s19
	s_wait_dscnt 0x0
	global_store_b64 v[25:26], v[23:24], off
	s_wait_alu 0xfffe
	s_or_b32 exec_lo, exec_lo, s22
	s_and_saveexec_b32 s21, s20
	s_cbranch_execz .LBB399_627
.LBB399_659:                            ;   in Loop: Header=BB399_558 Depth=2
	v_lshlrev_b32_e32 v2, 2, v91
	ds_load_b32 v2, v2
	ds_load_b64 v[23:24], v20 offset:5120
	s_wait_dscnt 0x1
	v_add_nc_u32_e32 v2, v2, v30
	s_delay_alu instid0(VALU_DEP_1) | instskip(NEXT) | instid1(VALU_DEP_1)
	v_lshlrev_b64_e32 v[25:26], 3, v[2:3]
	v_add_co_u32 v25, s19, s26, v25
	s_wait_alu 0xf1ff
	s_delay_alu instid0(VALU_DEP_2)
	v_add_co_ci_u32_e64 v26, null, s27, v26, s19
	s_wait_dscnt 0x0
	global_store_b64 v[25:26], v[23:24], off
	s_wait_alu 0xfffe
	s_or_b32 exec_lo, exec_lo, s21
	s_and_saveexec_b32 s19, s18
	s_cbranch_execz .LBB399_628
.LBB399_660:                            ;   in Loop: Header=BB399_558 Depth=2
	v_lshlrev_b32_e32 v2, 2, v90
	ds_load_b32 v2, v2
	ds_load_b64 v[23:24], v20 offset:7168
	s_wait_dscnt 0x1
	v_add_nc_u32_e32 v2, v2, v31
	s_delay_alu instid0(VALU_DEP_1) | instskip(NEXT) | instid1(VALU_DEP_1)
	v_lshlrev_b64_e32 v[25:26], 3, v[2:3]
	v_add_co_u32 v25, s18, s26, v25
	s_wait_alu 0xf1ff
	s_delay_alu instid0(VALU_DEP_2)
	v_add_co_ci_u32_e64 v26, null, s27, v26, s18
	s_wait_dscnt 0x0
	global_store_b64 v[25:26], v[23:24], off
	s_wait_alu 0xfffe
	s_or_b32 exec_lo, exec_lo, s19
	s_and_saveexec_b32 s18, s17
	s_cbranch_execz .LBB399_629
.LBB399_661:                            ;   in Loop: Header=BB399_558 Depth=2
	v_lshlrev_b32_e32 v2, 2, v89
	ds_load_b32 v2, v2
	ds_load_b64 v[23:24], v20 offset:9216
	s_wait_dscnt 0x1
	v_add_nc_u32_e32 v2, v2, v34
	s_delay_alu instid0(VALU_DEP_1) | instskip(NEXT) | instid1(VALU_DEP_1)
	v_lshlrev_b64_e32 v[25:26], 3, v[2:3]
	v_add_co_u32 v25, s17, s26, v25
	s_wait_alu 0xf1ff
	s_delay_alu instid0(VALU_DEP_2)
	v_add_co_ci_u32_e64 v26, null, s27, v26, s17
	s_wait_dscnt 0x0
	global_store_b64 v[25:26], v[23:24], off
	s_wait_alu 0xfffe
	s_or_b32 exec_lo, exec_lo, s18
	s_and_saveexec_b32 s17, s16
	s_cbranch_execz .LBB399_630
.LBB399_662:                            ;   in Loop: Header=BB399_558 Depth=2
	v_lshlrev_b32_e32 v2, 2, v88
	ds_load_b32 v2, v2
	ds_load_b64 v[23:24], v20 offset:11264
	s_wait_dscnt 0x1
	v_add_nc_u32_e32 v2, v2, v35
	s_delay_alu instid0(VALU_DEP_1) | instskip(NEXT) | instid1(VALU_DEP_1)
	v_lshlrev_b64_e32 v[25:26], 3, v[2:3]
	v_add_co_u32 v25, s16, s26, v25
	s_wait_alu 0xf1ff
	s_delay_alu instid0(VALU_DEP_2)
	v_add_co_ci_u32_e64 v26, null, s27, v26, s16
	s_wait_dscnt 0x0
	global_store_b64 v[25:26], v[23:24], off
	s_wait_alu 0xfffe
	s_or_b32 exec_lo, exec_lo, s17
	s_and_saveexec_b32 s16, s15
	s_cbranch_execz .LBB399_631
.LBB399_663:                            ;   in Loop: Header=BB399_558 Depth=2
	v_lshlrev_b32_e32 v2, 2, v87
	ds_load_b32 v2, v2
	ds_load_b64 v[23:24], v20 offset:13312
	s_wait_dscnt 0x1
	v_add_nc_u32_e32 v2, v2, v36
	s_delay_alu instid0(VALU_DEP_1) | instskip(NEXT) | instid1(VALU_DEP_1)
	v_lshlrev_b64_e32 v[25:26], 3, v[2:3]
	v_add_co_u32 v25, s15, s26, v25
	s_wait_alu 0xf1ff
	s_delay_alu instid0(VALU_DEP_2)
	v_add_co_ci_u32_e64 v26, null, s27, v26, s15
	s_wait_dscnt 0x0
	global_store_b64 v[25:26], v[23:24], off
	s_wait_alu 0xfffe
	s_or_b32 exec_lo, exec_lo, s16
	s_and_saveexec_b32 s15, vcc_lo
	s_cbranch_execnz .LBB399_632
	s_branch .LBB399_633
.LBB399_664:                            ;   in Loop: Header=BB399_558 Depth=2
	global_load_u8 v94, v[20:21], off
	v_dual_mov_b32 v22, 0x7f :: v_dual_mov_b32 v27, 0x7f
	v_dual_mov_b32 v96, 0x7f :: v_dual_mov_b32 v25, 0x7f
	;; [unrolled: 1-line block ×3, first 2 shown]
	v_mov_b32_e32 v24, 0x7f
	s_wait_alu 0xfffe
	s_or_b32 exec_lo, exec_lo, s15
	s_delay_alu instid0(SALU_CYCLE_1)
	s_mov_b32 s15, exec_lo
	v_cmpx_gt_u32_e64 s42, v71
	s_cbranch_execz .LBB399_563
.LBB399_665:                            ;   in Loop: Header=BB399_558 Depth=2
	global_load_u8 v96, v[20:21], off offset:32
	s_wait_alu 0xfffe
	s_or_b32 exec_lo, exec_lo, s15
	s_delay_alu instid0(SALU_CYCLE_1)
	s_mov_b32 s15, exec_lo
	v_cmpx_gt_u32_e64 s42, v72
	s_cbranch_execz .LBB399_564
.LBB399_666:                            ;   in Loop: Header=BB399_558 Depth=2
	global_load_u8 v27, v[20:21], off offset:64
	s_wait_alu 0xfffe
	s_or_b32 exec_lo, exec_lo, s15
	s_delay_alu instid0(SALU_CYCLE_1)
	s_mov_b32 s15, exec_lo
	v_cmpx_gt_u32_e64 s42, v73
	s_cbranch_execz .LBB399_565
.LBB399_667:                            ;   in Loop: Header=BB399_558 Depth=2
	global_load_u8 v26, v[20:21], off offset:96
	s_wait_alu 0xfffe
	s_or_b32 exec_lo, exec_lo, s15
	s_delay_alu instid0(SALU_CYCLE_1)
	s_mov_b32 s15, exec_lo
	v_cmpx_gt_u32_e64 s42, v74
	s_cbranch_execz .LBB399_566
.LBB399_668:                            ;   in Loop: Header=BB399_558 Depth=2
	global_load_u8 v25, v[20:21], off offset:128
	s_wait_alu 0xfffe
	s_or_b32 exec_lo, exec_lo, s15
	s_delay_alu instid0(SALU_CYCLE_1)
	s_mov_b32 s15, exec_lo
	v_cmpx_gt_u32_e64 s42, v75
	s_cbranch_execz .LBB399_567
.LBB399_669:                            ;   in Loop: Header=BB399_558 Depth=2
	global_load_u8 v24, v[20:21], off offset:160
	s_wait_alu 0xfffe
	s_or_b32 exec_lo, exec_lo, s15
	s_delay_alu instid0(SALU_CYCLE_1)
	s_mov_b32 s15, exec_lo
	v_cmpx_gt_u32_e64 s42, v76
	s_cbranch_execnz .LBB399_568
	s_branch .LBB399_569
.LBB399_670:
	s_endpgm
	.section	.rodata,"a",@progbits
	.p2align	6, 0x0
	.amdhsa_kernel _ZN7rocprim17ROCPRIM_400000_NS6detail17trampoline_kernelINS0_14default_configENS1_36segmented_radix_sort_config_selectorIalEEZNS1_25segmented_radix_sort_implIS3_Lb0EPKaPaPKlPlN2at6native12_GLOBAL__N_18offset_tEEE10hipError_tPvRmT1_PNSt15iterator_traitsISK_E10value_typeET2_T3_PNSL_ISQ_E10value_typeET4_jRbjT5_SW_jjP12ihipStream_tbEUlT_E_NS1_11comp_targetILNS1_3genE10ELNS1_11target_archE1201ELNS1_3gpuE5ELNS1_3repE0EEENS1_30default_config_static_selectorELNS0_4arch9wavefront6targetE0EEEvSK_
		.amdhsa_group_segment_fixed_size 17440
		.amdhsa_private_segment_fixed_size 0
		.amdhsa_kernarg_size 352
		.amdhsa_user_sgpr_count 2
		.amdhsa_user_sgpr_dispatch_ptr 0
		.amdhsa_user_sgpr_queue_ptr 0
		.amdhsa_user_sgpr_kernarg_segment_ptr 1
		.amdhsa_user_sgpr_dispatch_id 0
		.amdhsa_user_sgpr_private_segment_size 0
		.amdhsa_wavefront_size32 1
		.amdhsa_uses_dynamic_stack 0
		.amdhsa_enable_private_segment 0
		.amdhsa_system_sgpr_workgroup_id_x 1
		.amdhsa_system_sgpr_workgroup_id_y 1
		.amdhsa_system_sgpr_workgroup_id_z 0
		.amdhsa_system_sgpr_workgroup_info 0
		.amdhsa_system_vgpr_workitem_id 2
		.amdhsa_next_free_vgpr 197
		.amdhsa_next_free_sgpr 50
		.amdhsa_reserve_vcc 1
		.amdhsa_float_round_mode_32 0
		.amdhsa_float_round_mode_16_64 0
		.amdhsa_float_denorm_mode_32 3
		.amdhsa_float_denorm_mode_16_64 3
		.amdhsa_fp16_overflow 0
		.amdhsa_workgroup_processor_mode 1
		.amdhsa_memory_ordered 1
		.amdhsa_forward_progress 1
		.amdhsa_inst_pref_size 255
		.amdhsa_round_robin_scheduling 0
		.amdhsa_exception_fp_ieee_invalid_op 0
		.amdhsa_exception_fp_denorm_src 0
		.amdhsa_exception_fp_ieee_div_zero 0
		.amdhsa_exception_fp_ieee_overflow 0
		.amdhsa_exception_fp_ieee_underflow 0
		.amdhsa_exception_fp_ieee_inexact 0
		.amdhsa_exception_int_div_zero 0
	.end_amdhsa_kernel
	.section	.text._ZN7rocprim17ROCPRIM_400000_NS6detail17trampoline_kernelINS0_14default_configENS1_36segmented_radix_sort_config_selectorIalEEZNS1_25segmented_radix_sort_implIS3_Lb0EPKaPaPKlPlN2at6native12_GLOBAL__N_18offset_tEEE10hipError_tPvRmT1_PNSt15iterator_traitsISK_E10value_typeET2_T3_PNSL_ISQ_E10value_typeET4_jRbjT5_SW_jjP12ihipStream_tbEUlT_E_NS1_11comp_targetILNS1_3genE10ELNS1_11target_archE1201ELNS1_3gpuE5ELNS1_3repE0EEENS1_30default_config_static_selectorELNS0_4arch9wavefront6targetE0EEEvSK_,"axG",@progbits,_ZN7rocprim17ROCPRIM_400000_NS6detail17trampoline_kernelINS0_14default_configENS1_36segmented_radix_sort_config_selectorIalEEZNS1_25segmented_radix_sort_implIS3_Lb0EPKaPaPKlPlN2at6native12_GLOBAL__N_18offset_tEEE10hipError_tPvRmT1_PNSt15iterator_traitsISK_E10value_typeET2_T3_PNSL_ISQ_E10value_typeET4_jRbjT5_SW_jjP12ihipStream_tbEUlT_E_NS1_11comp_targetILNS1_3genE10ELNS1_11target_archE1201ELNS1_3gpuE5ELNS1_3repE0EEENS1_30default_config_static_selectorELNS0_4arch9wavefront6targetE0EEEvSK_,comdat
.Lfunc_end399:
	.size	_ZN7rocprim17ROCPRIM_400000_NS6detail17trampoline_kernelINS0_14default_configENS1_36segmented_radix_sort_config_selectorIalEEZNS1_25segmented_radix_sort_implIS3_Lb0EPKaPaPKlPlN2at6native12_GLOBAL__N_18offset_tEEE10hipError_tPvRmT1_PNSt15iterator_traitsISK_E10value_typeET2_T3_PNSL_ISQ_E10value_typeET4_jRbjT5_SW_jjP12ihipStream_tbEUlT_E_NS1_11comp_targetILNS1_3genE10ELNS1_11target_archE1201ELNS1_3gpuE5ELNS1_3repE0EEENS1_30default_config_static_selectorELNS0_4arch9wavefront6targetE0EEEvSK_, .Lfunc_end399-_ZN7rocprim17ROCPRIM_400000_NS6detail17trampoline_kernelINS0_14default_configENS1_36segmented_radix_sort_config_selectorIalEEZNS1_25segmented_radix_sort_implIS3_Lb0EPKaPaPKlPlN2at6native12_GLOBAL__N_18offset_tEEE10hipError_tPvRmT1_PNSt15iterator_traitsISK_E10value_typeET2_T3_PNSL_ISQ_E10value_typeET4_jRbjT5_SW_jjP12ihipStream_tbEUlT_E_NS1_11comp_targetILNS1_3genE10ELNS1_11target_archE1201ELNS1_3gpuE5ELNS1_3repE0EEENS1_30default_config_static_selectorELNS0_4arch9wavefront6targetE0EEEvSK_
                                        ; -- End function
	.set _ZN7rocprim17ROCPRIM_400000_NS6detail17trampoline_kernelINS0_14default_configENS1_36segmented_radix_sort_config_selectorIalEEZNS1_25segmented_radix_sort_implIS3_Lb0EPKaPaPKlPlN2at6native12_GLOBAL__N_18offset_tEEE10hipError_tPvRmT1_PNSt15iterator_traitsISK_E10value_typeET2_T3_PNSL_ISQ_E10value_typeET4_jRbjT5_SW_jjP12ihipStream_tbEUlT_E_NS1_11comp_targetILNS1_3genE10ELNS1_11target_archE1201ELNS1_3gpuE5ELNS1_3repE0EEENS1_30default_config_static_selectorELNS0_4arch9wavefront6targetE0EEEvSK_.num_vgpr, max(133, .L_ZN7rocprim17ROCPRIM_400000_NS6detail40segmented_radix_sort_single_block_helperIalLj256ELj8ELb0EE4sortIPKaPaPKlPlEEbT_T0_T1_T2_jjjjRNS3_12storage_typeE.num_vgpr)
	.set _ZN7rocprim17ROCPRIM_400000_NS6detail17trampoline_kernelINS0_14default_configENS1_36segmented_radix_sort_config_selectorIalEEZNS1_25segmented_radix_sort_implIS3_Lb0EPKaPaPKlPlN2at6native12_GLOBAL__N_18offset_tEEE10hipError_tPvRmT1_PNSt15iterator_traitsISK_E10value_typeET2_T3_PNSL_ISQ_E10value_typeET4_jRbjT5_SW_jjP12ihipStream_tbEUlT_E_NS1_11comp_targetILNS1_3genE10ELNS1_11target_archE1201ELNS1_3gpuE5ELNS1_3repE0EEENS1_30default_config_static_selectorELNS0_4arch9wavefront6targetE0EEEvSK_.num_agpr, max(0, .L_ZN7rocprim17ROCPRIM_400000_NS6detail40segmented_radix_sort_single_block_helperIalLj256ELj8ELb0EE4sortIPKaPaPKlPlEEbT_T0_T1_T2_jjjjRNS3_12storage_typeE.num_agpr)
	.set _ZN7rocprim17ROCPRIM_400000_NS6detail17trampoline_kernelINS0_14default_configENS1_36segmented_radix_sort_config_selectorIalEEZNS1_25segmented_radix_sort_implIS3_Lb0EPKaPaPKlPlN2at6native12_GLOBAL__N_18offset_tEEE10hipError_tPvRmT1_PNSt15iterator_traitsISK_E10value_typeET2_T3_PNSL_ISQ_E10value_typeET4_jRbjT5_SW_jjP12ihipStream_tbEUlT_E_NS1_11comp_targetILNS1_3genE10ELNS1_11target_archE1201ELNS1_3gpuE5ELNS1_3repE0EEENS1_30default_config_static_selectorELNS0_4arch9wavefront6targetE0EEEvSK_.numbered_sgpr, max(50, .L_ZN7rocprim17ROCPRIM_400000_NS6detail40segmented_radix_sort_single_block_helperIalLj256ELj8ELb0EE4sortIPKaPaPKlPlEEbT_T0_T1_T2_jjjjRNS3_12storage_typeE.numbered_sgpr)
	.set _ZN7rocprim17ROCPRIM_400000_NS6detail17trampoline_kernelINS0_14default_configENS1_36segmented_radix_sort_config_selectorIalEEZNS1_25segmented_radix_sort_implIS3_Lb0EPKaPaPKlPlN2at6native12_GLOBAL__N_18offset_tEEE10hipError_tPvRmT1_PNSt15iterator_traitsISK_E10value_typeET2_T3_PNSL_ISQ_E10value_typeET4_jRbjT5_SW_jjP12ihipStream_tbEUlT_E_NS1_11comp_targetILNS1_3genE10ELNS1_11target_archE1201ELNS1_3gpuE5ELNS1_3repE0EEENS1_30default_config_static_selectorELNS0_4arch9wavefront6targetE0EEEvSK_.num_named_barrier, max(0, .L_ZN7rocprim17ROCPRIM_400000_NS6detail40segmented_radix_sort_single_block_helperIalLj256ELj8ELb0EE4sortIPKaPaPKlPlEEbT_T0_T1_T2_jjjjRNS3_12storage_typeE.num_named_barrier)
	.set _ZN7rocprim17ROCPRIM_400000_NS6detail17trampoline_kernelINS0_14default_configENS1_36segmented_radix_sort_config_selectorIalEEZNS1_25segmented_radix_sort_implIS3_Lb0EPKaPaPKlPlN2at6native12_GLOBAL__N_18offset_tEEE10hipError_tPvRmT1_PNSt15iterator_traitsISK_E10value_typeET2_T3_PNSL_ISQ_E10value_typeET4_jRbjT5_SW_jjP12ihipStream_tbEUlT_E_NS1_11comp_targetILNS1_3genE10ELNS1_11target_archE1201ELNS1_3gpuE5ELNS1_3repE0EEENS1_30default_config_static_selectorELNS0_4arch9wavefront6targetE0EEEvSK_.private_seg_size, 0+max(.L_ZN7rocprim17ROCPRIM_400000_NS6detail40segmented_radix_sort_single_block_helperIalLj256ELj8ELb0EE4sortIPKaPaPKlPlEEbT_T0_T1_T2_jjjjRNS3_12storage_typeE.private_seg_size)
	.set _ZN7rocprim17ROCPRIM_400000_NS6detail17trampoline_kernelINS0_14default_configENS1_36segmented_radix_sort_config_selectorIalEEZNS1_25segmented_radix_sort_implIS3_Lb0EPKaPaPKlPlN2at6native12_GLOBAL__N_18offset_tEEE10hipError_tPvRmT1_PNSt15iterator_traitsISK_E10value_typeET2_T3_PNSL_ISQ_E10value_typeET4_jRbjT5_SW_jjP12ihipStream_tbEUlT_E_NS1_11comp_targetILNS1_3genE10ELNS1_11target_archE1201ELNS1_3gpuE5ELNS1_3repE0EEENS1_30default_config_static_selectorELNS0_4arch9wavefront6targetE0EEEvSK_.uses_vcc, or(1, .L_ZN7rocprim17ROCPRIM_400000_NS6detail40segmented_radix_sort_single_block_helperIalLj256ELj8ELb0EE4sortIPKaPaPKlPlEEbT_T0_T1_T2_jjjjRNS3_12storage_typeE.uses_vcc)
	.set _ZN7rocprim17ROCPRIM_400000_NS6detail17trampoline_kernelINS0_14default_configENS1_36segmented_radix_sort_config_selectorIalEEZNS1_25segmented_radix_sort_implIS3_Lb0EPKaPaPKlPlN2at6native12_GLOBAL__N_18offset_tEEE10hipError_tPvRmT1_PNSt15iterator_traitsISK_E10value_typeET2_T3_PNSL_ISQ_E10value_typeET4_jRbjT5_SW_jjP12ihipStream_tbEUlT_E_NS1_11comp_targetILNS1_3genE10ELNS1_11target_archE1201ELNS1_3gpuE5ELNS1_3repE0EEENS1_30default_config_static_selectorELNS0_4arch9wavefront6targetE0EEEvSK_.uses_flat_scratch, or(0, .L_ZN7rocprim17ROCPRIM_400000_NS6detail40segmented_radix_sort_single_block_helperIalLj256ELj8ELb0EE4sortIPKaPaPKlPlEEbT_T0_T1_T2_jjjjRNS3_12storage_typeE.uses_flat_scratch)
	.set _ZN7rocprim17ROCPRIM_400000_NS6detail17trampoline_kernelINS0_14default_configENS1_36segmented_radix_sort_config_selectorIalEEZNS1_25segmented_radix_sort_implIS3_Lb0EPKaPaPKlPlN2at6native12_GLOBAL__N_18offset_tEEE10hipError_tPvRmT1_PNSt15iterator_traitsISK_E10value_typeET2_T3_PNSL_ISQ_E10value_typeET4_jRbjT5_SW_jjP12ihipStream_tbEUlT_E_NS1_11comp_targetILNS1_3genE10ELNS1_11target_archE1201ELNS1_3gpuE5ELNS1_3repE0EEENS1_30default_config_static_selectorELNS0_4arch9wavefront6targetE0EEEvSK_.has_dyn_sized_stack, or(0, .L_ZN7rocprim17ROCPRIM_400000_NS6detail40segmented_radix_sort_single_block_helperIalLj256ELj8ELb0EE4sortIPKaPaPKlPlEEbT_T0_T1_T2_jjjjRNS3_12storage_typeE.has_dyn_sized_stack)
	.set _ZN7rocprim17ROCPRIM_400000_NS6detail17trampoline_kernelINS0_14default_configENS1_36segmented_radix_sort_config_selectorIalEEZNS1_25segmented_radix_sort_implIS3_Lb0EPKaPaPKlPlN2at6native12_GLOBAL__N_18offset_tEEE10hipError_tPvRmT1_PNSt15iterator_traitsISK_E10value_typeET2_T3_PNSL_ISQ_E10value_typeET4_jRbjT5_SW_jjP12ihipStream_tbEUlT_E_NS1_11comp_targetILNS1_3genE10ELNS1_11target_archE1201ELNS1_3gpuE5ELNS1_3repE0EEENS1_30default_config_static_selectorELNS0_4arch9wavefront6targetE0EEEvSK_.has_recursion, or(0, .L_ZN7rocprim17ROCPRIM_400000_NS6detail40segmented_radix_sort_single_block_helperIalLj256ELj8ELb0EE4sortIPKaPaPKlPlEEbT_T0_T1_T2_jjjjRNS3_12storage_typeE.has_recursion)
	.set _ZN7rocprim17ROCPRIM_400000_NS6detail17trampoline_kernelINS0_14default_configENS1_36segmented_radix_sort_config_selectorIalEEZNS1_25segmented_radix_sort_implIS3_Lb0EPKaPaPKlPlN2at6native12_GLOBAL__N_18offset_tEEE10hipError_tPvRmT1_PNSt15iterator_traitsISK_E10value_typeET2_T3_PNSL_ISQ_E10value_typeET4_jRbjT5_SW_jjP12ihipStream_tbEUlT_E_NS1_11comp_targetILNS1_3genE10ELNS1_11target_archE1201ELNS1_3gpuE5ELNS1_3repE0EEENS1_30default_config_static_selectorELNS0_4arch9wavefront6targetE0EEEvSK_.has_indirect_call, or(0, .L_ZN7rocprim17ROCPRIM_400000_NS6detail40segmented_radix_sort_single_block_helperIalLj256ELj8ELb0EE4sortIPKaPaPKlPlEEbT_T0_T1_T2_jjjjRNS3_12storage_typeE.has_indirect_call)
	.section	.AMDGPU.csdata,"",@progbits
; Kernel info:
; codeLenInByte = 43180
; TotalNumSgprs: 52
; NumVgprs: 197
; ScratchSize: 0
; MemoryBound: 0
; FloatMode: 240
; IeeeMode: 1
; LDSByteSize: 17440 bytes/workgroup (compile time only)
; SGPRBlocks: 0
; VGPRBlocks: 24
; NumSGPRsForWavesPerEU: 52
; NumVGPRsForWavesPerEU: 197
; Occupancy: 7
; WaveLimiterHint : 1
; COMPUTE_PGM_RSRC2:SCRATCH_EN: 0
; COMPUTE_PGM_RSRC2:USER_SGPR: 2
; COMPUTE_PGM_RSRC2:TRAP_HANDLER: 0
; COMPUTE_PGM_RSRC2:TGID_X_EN: 1
; COMPUTE_PGM_RSRC2:TGID_Y_EN: 1
; COMPUTE_PGM_RSRC2:TGID_Z_EN: 0
; COMPUTE_PGM_RSRC2:TIDIG_COMP_CNT: 2
	.section	.text._ZN7rocprim17ROCPRIM_400000_NS6detail17trampoline_kernelINS0_14default_configENS1_36segmented_radix_sort_config_selectorIalEEZNS1_25segmented_radix_sort_implIS3_Lb0EPKaPaPKlPlN2at6native12_GLOBAL__N_18offset_tEEE10hipError_tPvRmT1_PNSt15iterator_traitsISK_E10value_typeET2_T3_PNSL_ISQ_E10value_typeET4_jRbjT5_SW_jjP12ihipStream_tbEUlT_E_NS1_11comp_targetILNS1_3genE10ELNS1_11target_archE1200ELNS1_3gpuE4ELNS1_3repE0EEENS1_30default_config_static_selectorELNS0_4arch9wavefront6targetE0EEEvSK_,"axG",@progbits,_ZN7rocprim17ROCPRIM_400000_NS6detail17trampoline_kernelINS0_14default_configENS1_36segmented_radix_sort_config_selectorIalEEZNS1_25segmented_radix_sort_implIS3_Lb0EPKaPaPKlPlN2at6native12_GLOBAL__N_18offset_tEEE10hipError_tPvRmT1_PNSt15iterator_traitsISK_E10value_typeET2_T3_PNSL_ISQ_E10value_typeET4_jRbjT5_SW_jjP12ihipStream_tbEUlT_E_NS1_11comp_targetILNS1_3genE10ELNS1_11target_archE1200ELNS1_3gpuE4ELNS1_3repE0EEENS1_30default_config_static_selectorELNS0_4arch9wavefront6targetE0EEEvSK_,comdat
	.globl	_ZN7rocprim17ROCPRIM_400000_NS6detail17trampoline_kernelINS0_14default_configENS1_36segmented_radix_sort_config_selectorIalEEZNS1_25segmented_radix_sort_implIS3_Lb0EPKaPaPKlPlN2at6native12_GLOBAL__N_18offset_tEEE10hipError_tPvRmT1_PNSt15iterator_traitsISK_E10value_typeET2_T3_PNSL_ISQ_E10value_typeET4_jRbjT5_SW_jjP12ihipStream_tbEUlT_E_NS1_11comp_targetILNS1_3genE10ELNS1_11target_archE1200ELNS1_3gpuE4ELNS1_3repE0EEENS1_30default_config_static_selectorELNS0_4arch9wavefront6targetE0EEEvSK_ ; -- Begin function _ZN7rocprim17ROCPRIM_400000_NS6detail17trampoline_kernelINS0_14default_configENS1_36segmented_radix_sort_config_selectorIalEEZNS1_25segmented_radix_sort_implIS3_Lb0EPKaPaPKlPlN2at6native12_GLOBAL__N_18offset_tEEE10hipError_tPvRmT1_PNSt15iterator_traitsISK_E10value_typeET2_T3_PNSL_ISQ_E10value_typeET4_jRbjT5_SW_jjP12ihipStream_tbEUlT_E_NS1_11comp_targetILNS1_3genE10ELNS1_11target_archE1200ELNS1_3gpuE4ELNS1_3repE0EEENS1_30default_config_static_selectorELNS0_4arch9wavefront6targetE0EEEvSK_
	.p2align	8
	.type	_ZN7rocprim17ROCPRIM_400000_NS6detail17trampoline_kernelINS0_14default_configENS1_36segmented_radix_sort_config_selectorIalEEZNS1_25segmented_radix_sort_implIS3_Lb0EPKaPaPKlPlN2at6native12_GLOBAL__N_18offset_tEEE10hipError_tPvRmT1_PNSt15iterator_traitsISK_E10value_typeET2_T3_PNSL_ISQ_E10value_typeET4_jRbjT5_SW_jjP12ihipStream_tbEUlT_E_NS1_11comp_targetILNS1_3genE10ELNS1_11target_archE1200ELNS1_3gpuE4ELNS1_3repE0EEENS1_30default_config_static_selectorELNS0_4arch9wavefront6targetE0EEEvSK_,@function
_ZN7rocprim17ROCPRIM_400000_NS6detail17trampoline_kernelINS0_14default_configENS1_36segmented_radix_sort_config_selectorIalEEZNS1_25segmented_radix_sort_implIS3_Lb0EPKaPaPKlPlN2at6native12_GLOBAL__N_18offset_tEEE10hipError_tPvRmT1_PNSt15iterator_traitsISK_E10value_typeET2_T3_PNSL_ISQ_E10value_typeET4_jRbjT5_SW_jjP12ihipStream_tbEUlT_E_NS1_11comp_targetILNS1_3genE10ELNS1_11target_archE1200ELNS1_3gpuE4ELNS1_3repE0EEENS1_30default_config_static_selectorELNS0_4arch9wavefront6targetE0EEEvSK_: ; @_ZN7rocprim17ROCPRIM_400000_NS6detail17trampoline_kernelINS0_14default_configENS1_36segmented_radix_sort_config_selectorIalEEZNS1_25segmented_radix_sort_implIS3_Lb0EPKaPaPKlPlN2at6native12_GLOBAL__N_18offset_tEEE10hipError_tPvRmT1_PNSt15iterator_traitsISK_E10value_typeET2_T3_PNSL_ISQ_E10value_typeET4_jRbjT5_SW_jjP12ihipStream_tbEUlT_E_NS1_11comp_targetILNS1_3genE10ELNS1_11target_archE1200ELNS1_3gpuE4ELNS1_3repE0EEENS1_30default_config_static_selectorELNS0_4arch9wavefront6targetE0EEEvSK_
; %bb.0:
	.section	.rodata,"a",@progbits
	.p2align	6, 0x0
	.amdhsa_kernel _ZN7rocprim17ROCPRIM_400000_NS6detail17trampoline_kernelINS0_14default_configENS1_36segmented_radix_sort_config_selectorIalEEZNS1_25segmented_radix_sort_implIS3_Lb0EPKaPaPKlPlN2at6native12_GLOBAL__N_18offset_tEEE10hipError_tPvRmT1_PNSt15iterator_traitsISK_E10value_typeET2_T3_PNSL_ISQ_E10value_typeET4_jRbjT5_SW_jjP12ihipStream_tbEUlT_E_NS1_11comp_targetILNS1_3genE10ELNS1_11target_archE1200ELNS1_3gpuE4ELNS1_3repE0EEENS1_30default_config_static_selectorELNS0_4arch9wavefront6targetE0EEEvSK_
		.amdhsa_group_segment_fixed_size 0
		.amdhsa_private_segment_fixed_size 0
		.amdhsa_kernarg_size 96
		.amdhsa_user_sgpr_count 2
		.amdhsa_user_sgpr_dispatch_ptr 0
		.amdhsa_user_sgpr_queue_ptr 0
		.amdhsa_user_sgpr_kernarg_segment_ptr 1
		.amdhsa_user_sgpr_dispatch_id 0
		.amdhsa_user_sgpr_private_segment_size 0
		.amdhsa_wavefront_size32 1
		.amdhsa_uses_dynamic_stack 0
		.amdhsa_enable_private_segment 0
		.amdhsa_system_sgpr_workgroup_id_x 1
		.amdhsa_system_sgpr_workgroup_id_y 0
		.amdhsa_system_sgpr_workgroup_id_z 0
		.amdhsa_system_sgpr_workgroup_info 0
		.amdhsa_system_vgpr_workitem_id 0
		.amdhsa_next_free_vgpr 1
		.amdhsa_next_free_sgpr 1
		.amdhsa_reserve_vcc 0
		.amdhsa_float_round_mode_32 0
		.amdhsa_float_round_mode_16_64 0
		.amdhsa_float_denorm_mode_32 3
		.amdhsa_float_denorm_mode_16_64 3
		.amdhsa_fp16_overflow 0
		.amdhsa_workgroup_processor_mode 1
		.amdhsa_memory_ordered 1
		.amdhsa_forward_progress 1
		.amdhsa_inst_pref_size 0
		.amdhsa_round_robin_scheduling 0
		.amdhsa_exception_fp_ieee_invalid_op 0
		.amdhsa_exception_fp_denorm_src 0
		.amdhsa_exception_fp_ieee_div_zero 0
		.amdhsa_exception_fp_ieee_overflow 0
		.amdhsa_exception_fp_ieee_underflow 0
		.amdhsa_exception_fp_ieee_inexact 0
		.amdhsa_exception_int_div_zero 0
	.end_amdhsa_kernel
	.section	.text._ZN7rocprim17ROCPRIM_400000_NS6detail17trampoline_kernelINS0_14default_configENS1_36segmented_radix_sort_config_selectorIalEEZNS1_25segmented_radix_sort_implIS3_Lb0EPKaPaPKlPlN2at6native12_GLOBAL__N_18offset_tEEE10hipError_tPvRmT1_PNSt15iterator_traitsISK_E10value_typeET2_T3_PNSL_ISQ_E10value_typeET4_jRbjT5_SW_jjP12ihipStream_tbEUlT_E_NS1_11comp_targetILNS1_3genE10ELNS1_11target_archE1200ELNS1_3gpuE4ELNS1_3repE0EEENS1_30default_config_static_selectorELNS0_4arch9wavefront6targetE0EEEvSK_,"axG",@progbits,_ZN7rocprim17ROCPRIM_400000_NS6detail17trampoline_kernelINS0_14default_configENS1_36segmented_radix_sort_config_selectorIalEEZNS1_25segmented_radix_sort_implIS3_Lb0EPKaPaPKlPlN2at6native12_GLOBAL__N_18offset_tEEE10hipError_tPvRmT1_PNSt15iterator_traitsISK_E10value_typeET2_T3_PNSL_ISQ_E10value_typeET4_jRbjT5_SW_jjP12ihipStream_tbEUlT_E_NS1_11comp_targetILNS1_3genE10ELNS1_11target_archE1200ELNS1_3gpuE4ELNS1_3repE0EEENS1_30default_config_static_selectorELNS0_4arch9wavefront6targetE0EEEvSK_,comdat
.Lfunc_end400:
	.size	_ZN7rocprim17ROCPRIM_400000_NS6detail17trampoline_kernelINS0_14default_configENS1_36segmented_radix_sort_config_selectorIalEEZNS1_25segmented_radix_sort_implIS3_Lb0EPKaPaPKlPlN2at6native12_GLOBAL__N_18offset_tEEE10hipError_tPvRmT1_PNSt15iterator_traitsISK_E10value_typeET2_T3_PNSL_ISQ_E10value_typeET4_jRbjT5_SW_jjP12ihipStream_tbEUlT_E_NS1_11comp_targetILNS1_3genE10ELNS1_11target_archE1200ELNS1_3gpuE4ELNS1_3repE0EEENS1_30default_config_static_selectorELNS0_4arch9wavefront6targetE0EEEvSK_, .Lfunc_end400-_ZN7rocprim17ROCPRIM_400000_NS6detail17trampoline_kernelINS0_14default_configENS1_36segmented_radix_sort_config_selectorIalEEZNS1_25segmented_radix_sort_implIS3_Lb0EPKaPaPKlPlN2at6native12_GLOBAL__N_18offset_tEEE10hipError_tPvRmT1_PNSt15iterator_traitsISK_E10value_typeET2_T3_PNSL_ISQ_E10value_typeET4_jRbjT5_SW_jjP12ihipStream_tbEUlT_E_NS1_11comp_targetILNS1_3genE10ELNS1_11target_archE1200ELNS1_3gpuE4ELNS1_3repE0EEENS1_30default_config_static_selectorELNS0_4arch9wavefront6targetE0EEEvSK_
                                        ; -- End function
	.set _ZN7rocprim17ROCPRIM_400000_NS6detail17trampoline_kernelINS0_14default_configENS1_36segmented_radix_sort_config_selectorIalEEZNS1_25segmented_radix_sort_implIS3_Lb0EPKaPaPKlPlN2at6native12_GLOBAL__N_18offset_tEEE10hipError_tPvRmT1_PNSt15iterator_traitsISK_E10value_typeET2_T3_PNSL_ISQ_E10value_typeET4_jRbjT5_SW_jjP12ihipStream_tbEUlT_E_NS1_11comp_targetILNS1_3genE10ELNS1_11target_archE1200ELNS1_3gpuE4ELNS1_3repE0EEENS1_30default_config_static_selectorELNS0_4arch9wavefront6targetE0EEEvSK_.num_vgpr, 0
	.set _ZN7rocprim17ROCPRIM_400000_NS6detail17trampoline_kernelINS0_14default_configENS1_36segmented_radix_sort_config_selectorIalEEZNS1_25segmented_radix_sort_implIS3_Lb0EPKaPaPKlPlN2at6native12_GLOBAL__N_18offset_tEEE10hipError_tPvRmT1_PNSt15iterator_traitsISK_E10value_typeET2_T3_PNSL_ISQ_E10value_typeET4_jRbjT5_SW_jjP12ihipStream_tbEUlT_E_NS1_11comp_targetILNS1_3genE10ELNS1_11target_archE1200ELNS1_3gpuE4ELNS1_3repE0EEENS1_30default_config_static_selectorELNS0_4arch9wavefront6targetE0EEEvSK_.num_agpr, 0
	.set _ZN7rocprim17ROCPRIM_400000_NS6detail17trampoline_kernelINS0_14default_configENS1_36segmented_radix_sort_config_selectorIalEEZNS1_25segmented_radix_sort_implIS3_Lb0EPKaPaPKlPlN2at6native12_GLOBAL__N_18offset_tEEE10hipError_tPvRmT1_PNSt15iterator_traitsISK_E10value_typeET2_T3_PNSL_ISQ_E10value_typeET4_jRbjT5_SW_jjP12ihipStream_tbEUlT_E_NS1_11comp_targetILNS1_3genE10ELNS1_11target_archE1200ELNS1_3gpuE4ELNS1_3repE0EEENS1_30default_config_static_selectorELNS0_4arch9wavefront6targetE0EEEvSK_.numbered_sgpr, 0
	.set _ZN7rocprim17ROCPRIM_400000_NS6detail17trampoline_kernelINS0_14default_configENS1_36segmented_radix_sort_config_selectorIalEEZNS1_25segmented_radix_sort_implIS3_Lb0EPKaPaPKlPlN2at6native12_GLOBAL__N_18offset_tEEE10hipError_tPvRmT1_PNSt15iterator_traitsISK_E10value_typeET2_T3_PNSL_ISQ_E10value_typeET4_jRbjT5_SW_jjP12ihipStream_tbEUlT_E_NS1_11comp_targetILNS1_3genE10ELNS1_11target_archE1200ELNS1_3gpuE4ELNS1_3repE0EEENS1_30default_config_static_selectorELNS0_4arch9wavefront6targetE0EEEvSK_.num_named_barrier, 0
	.set _ZN7rocprim17ROCPRIM_400000_NS6detail17trampoline_kernelINS0_14default_configENS1_36segmented_radix_sort_config_selectorIalEEZNS1_25segmented_radix_sort_implIS3_Lb0EPKaPaPKlPlN2at6native12_GLOBAL__N_18offset_tEEE10hipError_tPvRmT1_PNSt15iterator_traitsISK_E10value_typeET2_T3_PNSL_ISQ_E10value_typeET4_jRbjT5_SW_jjP12ihipStream_tbEUlT_E_NS1_11comp_targetILNS1_3genE10ELNS1_11target_archE1200ELNS1_3gpuE4ELNS1_3repE0EEENS1_30default_config_static_selectorELNS0_4arch9wavefront6targetE0EEEvSK_.private_seg_size, 0
	.set _ZN7rocprim17ROCPRIM_400000_NS6detail17trampoline_kernelINS0_14default_configENS1_36segmented_radix_sort_config_selectorIalEEZNS1_25segmented_radix_sort_implIS3_Lb0EPKaPaPKlPlN2at6native12_GLOBAL__N_18offset_tEEE10hipError_tPvRmT1_PNSt15iterator_traitsISK_E10value_typeET2_T3_PNSL_ISQ_E10value_typeET4_jRbjT5_SW_jjP12ihipStream_tbEUlT_E_NS1_11comp_targetILNS1_3genE10ELNS1_11target_archE1200ELNS1_3gpuE4ELNS1_3repE0EEENS1_30default_config_static_selectorELNS0_4arch9wavefront6targetE0EEEvSK_.uses_vcc, 0
	.set _ZN7rocprim17ROCPRIM_400000_NS6detail17trampoline_kernelINS0_14default_configENS1_36segmented_radix_sort_config_selectorIalEEZNS1_25segmented_radix_sort_implIS3_Lb0EPKaPaPKlPlN2at6native12_GLOBAL__N_18offset_tEEE10hipError_tPvRmT1_PNSt15iterator_traitsISK_E10value_typeET2_T3_PNSL_ISQ_E10value_typeET4_jRbjT5_SW_jjP12ihipStream_tbEUlT_E_NS1_11comp_targetILNS1_3genE10ELNS1_11target_archE1200ELNS1_3gpuE4ELNS1_3repE0EEENS1_30default_config_static_selectorELNS0_4arch9wavefront6targetE0EEEvSK_.uses_flat_scratch, 0
	.set _ZN7rocprim17ROCPRIM_400000_NS6detail17trampoline_kernelINS0_14default_configENS1_36segmented_radix_sort_config_selectorIalEEZNS1_25segmented_radix_sort_implIS3_Lb0EPKaPaPKlPlN2at6native12_GLOBAL__N_18offset_tEEE10hipError_tPvRmT1_PNSt15iterator_traitsISK_E10value_typeET2_T3_PNSL_ISQ_E10value_typeET4_jRbjT5_SW_jjP12ihipStream_tbEUlT_E_NS1_11comp_targetILNS1_3genE10ELNS1_11target_archE1200ELNS1_3gpuE4ELNS1_3repE0EEENS1_30default_config_static_selectorELNS0_4arch9wavefront6targetE0EEEvSK_.has_dyn_sized_stack, 0
	.set _ZN7rocprim17ROCPRIM_400000_NS6detail17trampoline_kernelINS0_14default_configENS1_36segmented_radix_sort_config_selectorIalEEZNS1_25segmented_radix_sort_implIS3_Lb0EPKaPaPKlPlN2at6native12_GLOBAL__N_18offset_tEEE10hipError_tPvRmT1_PNSt15iterator_traitsISK_E10value_typeET2_T3_PNSL_ISQ_E10value_typeET4_jRbjT5_SW_jjP12ihipStream_tbEUlT_E_NS1_11comp_targetILNS1_3genE10ELNS1_11target_archE1200ELNS1_3gpuE4ELNS1_3repE0EEENS1_30default_config_static_selectorELNS0_4arch9wavefront6targetE0EEEvSK_.has_recursion, 0
	.set _ZN7rocprim17ROCPRIM_400000_NS6detail17trampoline_kernelINS0_14default_configENS1_36segmented_radix_sort_config_selectorIalEEZNS1_25segmented_radix_sort_implIS3_Lb0EPKaPaPKlPlN2at6native12_GLOBAL__N_18offset_tEEE10hipError_tPvRmT1_PNSt15iterator_traitsISK_E10value_typeET2_T3_PNSL_ISQ_E10value_typeET4_jRbjT5_SW_jjP12ihipStream_tbEUlT_E_NS1_11comp_targetILNS1_3genE10ELNS1_11target_archE1200ELNS1_3gpuE4ELNS1_3repE0EEENS1_30default_config_static_selectorELNS0_4arch9wavefront6targetE0EEEvSK_.has_indirect_call, 0
	.section	.AMDGPU.csdata,"",@progbits
; Kernel info:
; codeLenInByte = 0
; TotalNumSgprs: 0
; NumVgprs: 0
; ScratchSize: 0
; MemoryBound: 0
; FloatMode: 240
; IeeeMode: 1
; LDSByteSize: 0 bytes/workgroup (compile time only)
; SGPRBlocks: 0
; VGPRBlocks: 0
; NumSGPRsForWavesPerEU: 1
; NumVGPRsForWavesPerEU: 1
; Occupancy: 16
; WaveLimiterHint : 0
; COMPUTE_PGM_RSRC2:SCRATCH_EN: 0
; COMPUTE_PGM_RSRC2:USER_SGPR: 2
; COMPUTE_PGM_RSRC2:TRAP_HANDLER: 0
; COMPUTE_PGM_RSRC2:TGID_X_EN: 1
; COMPUTE_PGM_RSRC2:TGID_Y_EN: 0
; COMPUTE_PGM_RSRC2:TGID_Z_EN: 0
; COMPUTE_PGM_RSRC2:TIDIG_COMP_CNT: 0
	.section	.text._ZN7rocprim17ROCPRIM_400000_NS6detail17trampoline_kernelINS0_14default_configENS1_36segmented_radix_sort_config_selectorIalEEZNS1_25segmented_radix_sort_implIS3_Lb0EPKaPaPKlPlN2at6native12_GLOBAL__N_18offset_tEEE10hipError_tPvRmT1_PNSt15iterator_traitsISK_E10value_typeET2_T3_PNSL_ISQ_E10value_typeET4_jRbjT5_SW_jjP12ihipStream_tbEUlT_E_NS1_11comp_targetILNS1_3genE9ELNS1_11target_archE1100ELNS1_3gpuE3ELNS1_3repE0EEENS1_30default_config_static_selectorELNS0_4arch9wavefront6targetE0EEEvSK_,"axG",@progbits,_ZN7rocprim17ROCPRIM_400000_NS6detail17trampoline_kernelINS0_14default_configENS1_36segmented_radix_sort_config_selectorIalEEZNS1_25segmented_radix_sort_implIS3_Lb0EPKaPaPKlPlN2at6native12_GLOBAL__N_18offset_tEEE10hipError_tPvRmT1_PNSt15iterator_traitsISK_E10value_typeET2_T3_PNSL_ISQ_E10value_typeET4_jRbjT5_SW_jjP12ihipStream_tbEUlT_E_NS1_11comp_targetILNS1_3genE9ELNS1_11target_archE1100ELNS1_3gpuE3ELNS1_3repE0EEENS1_30default_config_static_selectorELNS0_4arch9wavefront6targetE0EEEvSK_,comdat
	.globl	_ZN7rocprim17ROCPRIM_400000_NS6detail17trampoline_kernelINS0_14default_configENS1_36segmented_radix_sort_config_selectorIalEEZNS1_25segmented_radix_sort_implIS3_Lb0EPKaPaPKlPlN2at6native12_GLOBAL__N_18offset_tEEE10hipError_tPvRmT1_PNSt15iterator_traitsISK_E10value_typeET2_T3_PNSL_ISQ_E10value_typeET4_jRbjT5_SW_jjP12ihipStream_tbEUlT_E_NS1_11comp_targetILNS1_3genE9ELNS1_11target_archE1100ELNS1_3gpuE3ELNS1_3repE0EEENS1_30default_config_static_selectorELNS0_4arch9wavefront6targetE0EEEvSK_ ; -- Begin function _ZN7rocprim17ROCPRIM_400000_NS6detail17trampoline_kernelINS0_14default_configENS1_36segmented_radix_sort_config_selectorIalEEZNS1_25segmented_radix_sort_implIS3_Lb0EPKaPaPKlPlN2at6native12_GLOBAL__N_18offset_tEEE10hipError_tPvRmT1_PNSt15iterator_traitsISK_E10value_typeET2_T3_PNSL_ISQ_E10value_typeET4_jRbjT5_SW_jjP12ihipStream_tbEUlT_E_NS1_11comp_targetILNS1_3genE9ELNS1_11target_archE1100ELNS1_3gpuE3ELNS1_3repE0EEENS1_30default_config_static_selectorELNS0_4arch9wavefront6targetE0EEEvSK_
	.p2align	8
	.type	_ZN7rocprim17ROCPRIM_400000_NS6detail17trampoline_kernelINS0_14default_configENS1_36segmented_radix_sort_config_selectorIalEEZNS1_25segmented_radix_sort_implIS3_Lb0EPKaPaPKlPlN2at6native12_GLOBAL__N_18offset_tEEE10hipError_tPvRmT1_PNSt15iterator_traitsISK_E10value_typeET2_T3_PNSL_ISQ_E10value_typeET4_jRbjT5_SW_jjP12ihipStream_tbEUlT_E_NS1_11comp_targetILNS1_3genE9ELNS1_11target_archE1100ELNS1_3gpuE3ELNS1_3repE0EEENS1_30default_config_static_selectorELNS0_4arch9wavefront6targetE0EEEvSK_,@function
_ZN7rocprim17ROCPRIM_400000_NS6detail17trampoline_kernelINS0_14default_configENS1_36segmented_radix_sort_config_selectorIalEEZNS1_25segmented_radix_sort_implIS3_Lb0EPKaPaPKlPlN2at6native12_GLOBAL__N_18offset_tEEE10hipError_tPvRmT1_PNSt15iterator_traitsISK_E10value_typeET2_T3_PNSL_ISQ_E10value_typeET4_jRbjT5_SW_jjP12ihipStream_tbEUlT_E_NS1_11comp_targetILNS1_3genE9ELNS1_11target_archE1100ELNS1_3gpuE3ELNS1_3repE0EEENS1_30default_config_static_selectorELNS0_4arch9wavefront6targetE0EEEvSK_: ; @_ZN7rocprim17ROCPRIM_400000_NS6detail17trampoline_kernelINS0_14default_configENS1_36segmented_radix_sort_config_selectorIalEEZNS1_25segmented_radix_sort_implIS3_Lb0EPKaPaPKlPlN2at6native12_GLOBAL__N_18offset_tEEE10hipError_tPvRmT1_PNSt15iterator_traitsISK_E10value_typeET2_T3_PNSL_ISQ_E10value_typeET4_jRbjT5_SW_jjP12ihipStream_tbEUlT_E_NS1_11comp_targetILNS1_3genE9ELNS1_11target_archE1100ELNS1_3gpuE3ELNS1_3repE0EEENS1_30default_config_static_selectorELNS0_4arch9wavefront6targetE0EEEvSK_
; %bb.0:
	.section	.rodata,"a",@progbits
	.p2align	6, 0x0
	.amdhsa_kernel _ZN7rocprim17ROCPRIM_400000_NS6detail17trampoline_kernelINS0_14default_configENS1_36segmented_radix_sort_config_selectorIalEEZNS1_25segmented_radix_sort_implIS3_Lb0EPKaPaPKlPlN2at6native12_GLOBAL__N_18offset_tEEE10hipError_tPvRmT1_PNSt15iterator_traitsISK_E10value_typeET2_T3_PNSL_ISQ_E10value_typeET4_jRbjT5_SW_jjP12ihipStream_tbEUlT_E_NS1_11comp_targetILNS1_3genE9ELNS1_11target_archE1100ELNS1_3gpuE3ELNS1_3repE0EEENS1_30default_config_static_selectorELNS0_4arch9wavefront6targetE0EEEvSK_
		.amdhsa_group_segment_fixed_size 0
		.amdhsa_private_segment_fixed_size 0
		.amdhsa_kernarg_size 96
		.amdhsa_user_sgpr_count 2
		.amdhsa_user_sgpr_dispatch_ptr 0
		.amdhsa_user_sgpr_queue_ptr 0
		.amdhsa_user_sgpr_kernarg_segment_ptr 1
		.amdhsa_user_sgpr_dispatch_id 0
		.amdhsa_user_sgpr_private_segment_size 0
		.amdhsa_wavefront_size32 1
		.amdhsa_uses_dynamic_stack 0
		.amdhsa_enable_private_segment 0
		.amdhsa_system_sgpr_workgroup_id_x 1
		.amdhsa_system_sgpr_workgroup_id_y 0
		.amdhsa_system_sgpr_workgroup_id_z 0
		.amdhsa_system_sgpr_workgroup_info 0
		.amdhsa_system_vgpr_workitem_id 0
		.amdhsa_next_free_vgpr 1
		.amdhsa_next_free_sgpr 1
		.amdhsa_reserve_vcc 0
		.amdhsa_float_round_mode_32 0
		.amdhsa_float_round_mode_16_64 0
		.amdhsa_float_denorm_mode_32 3
		.amdhsa_float_denorm_mode_16_64 3
		.amdhsa_fp16_overflow 0
		.amdhsa_workgroup_processor_mode 1
		.amdhsa_memory_ordered 1
		.amdhsa_forward_progress 1
		.amdhsa_inst_pref_size 0
		.amdhsa_round_robin_scheduling 0
		.amdhsa_exception_fp_ieee_invalid_op 0
		.amdhsa_exception_fp_denorm_src 0
		.amdhsa_exception_fp_ieee_div_zero 0
		.amdhsa_exception_fp_ieee_overflow 0
		.amdhsa_exception_fp_ieee_underflow 0
		.amdhsa_exception_fp_ieee_inexact 0
		.amdhsa_exception_int_div_zero 0
	.end_amdhsa_kernel
	.section	.text._ZN7rocprim17ROCPRIM_400000_NS6detail17trampoline_kernelINS0_14default_configENS1_36segmented_radix_sort_config_selectorIalEEZNS1_25segmented_radix_sort_implIS3_Lb0EPKaPaPKlPlN2at6native12_GLOBAL__N_18offset_tEEE10hipError_tPvRmT1_PNSt15iterator_traitsISK_E10value_typeET2_T3_PNSL_ISQ_E10value_typeET4_jRbjT5_SW_jjP12ihipStream_tbEUlT_E_NS1_11comp_targetILNS1_3genE9ELNS1_11target_archE1100ELNS1_3gpuE3ELNS1_3repE0EEENS1_30default_config_static_selectorELNS0_4arch9wavefront6targetE0EEEvSK_,"axG",@progbits,_ZN7rocprim17ROCPRIM_400000_NS6detail17trampoline_kernelINS0_14default_configENS1_36segmented_radix_sort_config_selectorIalEEZNS1_25segmented_radix_sort_implIS3_Lb0EPKaPaPKlPlN2at6native12_GLOBAL__N_18offset_tEEE10hipError_tPvRmT1_PNSt15iterator_traitsISK_E10value_typeET2_T3_PNSL_ISQ_E10value_typeET4_jRbjT5_SW_jjP12ihipStream_tbEUlT_E_NS1_11comp_targetILNS1_3genE9ELNS1_11target_archE1100ELNS1_3gpuE3ELNS1_3repE0EEENS1_30default_config_static_selectorELNS0_4arch9wavefront6targetE0EEEvSK_,comdat
.Lfunc_end401:
	.size	_ZN7rocprim17ROCPRIM_400000_NS6detail17trampoline_kernelINS0_14default_configENS1_36segmented_radix_sort_config_selectorIalEEZNS1_25segmented_radix_sort_implIS3_Lb0EPKaPaPKlPlN2at6native12_GLOBAL__N_18offset_tEEE10hipError_tPvRmT1_PNSt15iterator_traitsISK_E10value_typeET2_T3_PNSL_ISQ_E10value_typeET4_jRbjT5_SW_jjP12ihipStream_tbEUlT_E_NS1_11comp_targetILNS1_3genE9ELNS1_11target_archE1100ELNS1_3gpuE3ELNS1_3repE0EEENS1_30default_config_static_selectorELNS0_4arch9wavefront6targetE0EEEvSK_, .Lfunc_end401-_ZN7rocprim17ROCPRIM_400000_NS6detail17trampoline_kernelINS0_14default_configENS1_36segmented_radix_sort_config_selectorIalEEZNS1_25segmented_radix_sort_implIS3_Lb0EPKaPaPKlPlN2at6native12_GLOBAL__N_18offset_tEEE10hipError_tPvRmT1_PNSt15iterator_traitsISK_E10value_typeET2_T3_PNSL_ISQ_E10value_typeET4_jRbjT5_SW_jjP12ihipStream_tbEUlT_E_NS1_11comp_targetILNS1_3genE9ELNS1_11target_archE1100ELNS1_3gpuE3ELNS1_3repE0EEENS1_30default_config_static_selectorELNS0_4arch9wavefront6targetE0EEEvSK_
                                        ; -- End function
	.set _ZN7rocprim17ROCPRIM_400000_NS6detail17trampoline_kernelINS0_14default_configENS1_36segmented_radix_sort_config_selectorIalEEZNS1_25segmented_radix_sort_implIS3_Lb0EPKaPaPKlPlN2at6native12_GLOBAL__N_18offset_tEEE10hipError_tPvRmT1_PNSt15iterator_traitsISK_E10value_typeET2_T3_PNSL_ISQ_E10value_typeET4_jRbjT5_SW_jjP12ihipStream_tbEUlT_E_NS1_11comp_targetILNS1_3genE9ELNS1_11target_archE1100ELNS1_3gpuE3ELNS1_3repE0EEENS1_30default_config_static_selectorELNS0_4arch9wavefront6targetE0EEEvSK_.num_vgpr, 0
	.set _ZN7rocprim17ROCPRIM_400000_NS6detail17trampoline_kernelINS0_14default_configENS1_36segmented_radix_sort_config_selectorIalEEZNS1_25segmented_radix_sort_implIS3_Lb0EPKaPaPKlPlN2at6native12_GLOBAL__N_18offset_tEEE10hipError_tPvRmT1_PNSt15iterator_traitsISK_E10value_typeET2_T3_PNSL_ISQ_E10value_typeET4_jRbjT5_SW_jjP12ihipStream_tbEUlT_E_NS1_11comp_targetILNS1_3genE9ELNS1_11target_archE1100ELNS1_3gpuE3ELNS1_3repE0EEENS1_30default_config_static_selectorELNS0_4arch9wavefront6targetE0EEEvSK_.num_agpr, 0
	.set _ZN7rocprim17ROCPRIM_400000_NS6detail17trampoline_kernelINS0_14default_configENS1_36segmented_radix_sort_config_selectorIalEEZNS1_25segmented_radix_sort_implIS3_Lb0EPKaPaPKlPlN2at6native12_GLOBAL__N_18offset_tEEE10hipError_tPvRmT1_PNSt15iterator_traitsISK_E10value_typeET2_T3_PNSL_ISQ_E10value_typeET4_jRbjT5_SW_jjP12ihipStream_tbEUlT_E_NS1_11comp_targetILNS1_3genE9ELNS1_11target_archE1100ELNS1_3gpuE3ELNS1_3repE0EEENS1_30default_config_static_selectorELNS0_4arch9wavefront6targetE0EEEvSK_.numbered_sgpr, 0
	.set _ZN7rocprim17ROCPRIM_400000_NS6detail17trampoline_kernelINS0_14default_configENS1_36segmented_radix_sort_config_selectorIalEEZNS1_25segmented_radix_sort_implIS3_Lb0EPKaPaPKlPlN2at6native12_GLOBAL__N_18offset_tEEE10hipError_tPvRmT1_PNSt15iterator_traitsISK_E10value_typeET2_T3_PNSL_ISQ_E10value_typeET4_jRbjT5_SW_jjP12ihipStream_tbEUlT_E_NS1_11comp_targetILNS1_3genE9ELNS1_11target_archE1100ELNS1_3gpuE3ELNS1_3repE0EEENS1_30default_config_static_selectorELNS0_4arch9wavefront6targetE0EEEvSK_.num_named_barrier, 0
	.set _ZN7rocprim17ROCPRIM_400000_NS6detail17trampoline_kernelINS0_14default_configENS1_36segmented_radix_sort_config_selectorIalEEZNS1_25segmented_radix_sort_implIS3_Lb0EPKaPaPKlPlN2at6native12_GLOBAL__N_18offset_tEEE10hipError_tPvRmT1_PNSt15iterator_traitsISK_E10value_typeET2_T3_PNSL_ISQ_E10value_typeET4_jRbjT5_SW_jjP12ihipStream_tbEUlT_E_NS1_11comp_targetILNS1_3genE9ELNS1_11target_archE1100ELNS1_3gpuE3ELNS1_3repE0EEENS1_30default_config_static_selectorELNS0_4arch9wavefront6targetE0EEEvSK_.private_seg_size, 0
	.set _ZN7rocprim17ROCPRIM_400000_NS6detail17trampoline_kernelINS0_14default_configENS1_36segmented_radix_sort_config_selectorIalEEZNS1_25segmented_radix_sort_implIS3_Lb0EPKaPaPKlPlN2at6native12_GLOBAL__N_18offset_tEEE10hipError_tPvRmT1_PNSt15iterator_traitsISK_E10value_typeET2_T3_PNSL_ISQ_E10value_typeET4_jRbjT5_SW_jjP12ihipStream_tbEUlT_E_NS1_11comp_targetILNS1_3genE9ELNS1_11target_archE1100ELNS1_3gpuE3ELNS1_3repE0EEENS1_30default_config_static_selectorELNS0_4arch9wavefront6targetE0EEEvSK_.uses_vcc, 0
	.set _ZN7rocprim17ROCPRIM_400000_NS6detail17trampoline_kernelINS0_14default_configENS1_36segmented_radix_sort_config_selectorIalEEZNS1_25segmented_radix_sort_implIS3_Lb0EPKaPaPKlPlN2at6native12_GLOBAL__N_18offset_tEEE10hipError_tPvRmT1_PNSt15iterator_traitsISK_E10value_typeET2_T3_PNSL_ISQ_E10value_typeET4_jRbjT5_SW_jjP12ihipStream_tbEUlT_E_NS1_11comp_targetILNS1_3genE9ELNS1_11target_archE1100ELNS1_3gpuE3ELNS1_3repE0EEENS1_30default_config_static_selectorELNS0_4arch9wavefront6targetE0EEEvSK_.uses_flat_scratch, 0
	.set _ZN7rocprim17ROCPRIM_400000_NS6detail17trampoline_kernelINS0_14default_configENS1_36segmented_radix_sort_config_selectorIalEEZNS1_25segmented_radix_sort_implIS3_Lb0EPKaPaPKlPlN2at6native12_GLOBAL__N_18offset_tEEE10hipError_tPvRmT1_PNSt15iterator_traitsISK_E10value_typeET2_T3_PNSL_ISQ_E10value_typeET4_jRbjT5_SW_jjP12ihipStream_tbEUlT_E_NS1_11comp_targetILNS1_3genE9ELNS1_11target_archE1100ELNS1_3gpuE3ELNS1_3repE0EEENS1_30default_config_static_selectorELNS0_4arch9wavefront6targetE0EEEvSK_.has_dyn_sized_stack, 0
	.set _ZN7rocprim17ROCPRIM_400000_NS6detail17trampoline_kernelINS0_14default_configENS1_36segmented_radix_sort_config_selectorIalEEZNS1_25segmented_radix_sort_implIS3_Lb0EPKaPaPKlPlN2at6native12_GLOBAL__N_18offset_tEEE10hipError_tPvRmT1_PNSt15iterator_traitsISK_E10value_typeET2_T3_PNSL_ISQ_E10value_typeET4_jRbjT5_SW_jjP12ihipStream_tbEUlT_E_NS1_11comp_targetILNS1_3genE9ELNS1_11target_archE1100ELNS1_3gpuE3ELNS1_3repE0EEENS1_30default_config_static_selectorELNS0_4arch9wavefront6targetE0EEEvSK_.has_recursion, 0
	.set _ZN7rocprim17ROCPRIM_400000_NS6detail17trampoline_kernelINS0_14default_configENS1_36segmented_radix_sort_config_selectorIalEEZNS1_25segmented_radix_sort_implIS3_Lb0EPKaPaPKlPlN2at6native12_GLOBAL__N_18offset_tEEE10hipError_tPvRmT1_PNSt15iterator_traitsISK_E10value_typeET2_T3_PNSL_ISQ_E10value_typeET4_jRbjT5_SW_jjP12ihipStream_tbEUlT_E_NS1_11comp_targetILNS1_3genE9ELNS1_11target_archE1100ELNS1_3gpuE3ELNS1_3repE0EEENS1_30default_config_static_selectorELNS0_4arch9wavefront6targetE0EEEvSK_.has_indirect_call, 0
	.section	.AMDGPU.csdata,"",@progbits
; Kernel info:
; codeLenInByte = 0
; TotalNumSgprs: 0
; NumVgprs: 0
; ScratchSize: 0
; MemoryBound: 0
; FloatMode: 240
; IeeeMode: 1
; LDSByteSize: 0 bytes/workgroup (compile time only)
; SGPRBlocks: 0
; VGPRBlocks: 0
; NumSGPRsForWavesPerEU: 1
; NumVGPRsForWavesPerEU: 1
; Occupancy: 16
; WaveLimiterHint : 0
; COMPUTE_PGM_RSRC2:SCRATCH_EN: 0
; COMPUTE_PGM_RSRC2:USER_SGPR: 2
; COMPUTE_PGM_RSRC2:TRAP_HANDLER: 0
; COMPUTE_PGM_RSRC2:TGID_X_EN: 1
; COMPUTE_PGM_RSRC2:TGID_Y_EN: 0
; COMPUTE_PGM_RSRC2:TGID_Z_EN: 0
; COMPUTE_PGM_RSRC2:TIDIG_COMP_CNT: 0
	.section	.text._ZN7rocprim17ROCPRIM_400000_NS6detail17trampoline_kernelINS0_14default_configENS1_36segmented_radix_sort_config_selectorIalEEZNS1_25segmented_radix_sort_implIS3_Lb0EPKaPaPKlPlN2at6native12_GLOBAL__N_18offset_tEEE10hipError_tPvRmT1_PNSt15iterator_traitsISK_E10value_typeET2_T3_PNSL_ISQ_E10value_typeET4_jRbjT5_SW_jjP12ihipStream_tbEUlT_E_NS1_11comp_targetILNS1_3genE8ELNS1_11target_archE1030ELNS1_3gpuE2ELNS1_3repE0EEENS1_30default_config_static_selectorELNS0_4arch9wavefront6targetE0EEEvSK_,"axG",@progbits,_ZN7rocprim17ROCPRIM_400000_NS6detail17trampoline_kernelINS0_14default_configENS1_36segmented_radix_sort_config_selectorIalEEZNS1_25segmented_radix_sort_implIS3_Lb0EPKaPaPKlPlN2at6native12_GLOBAL__N_18offset_tEEE10hipError_tPvRmT1_PNSt15iterator_traitsISK_E10value_typeET2_T3_PNSL_ISQ_E10value_typeET4_jRbjT5_SW_jjP12ihipStream_tbEUlT_E_NS1_11comp_targetILNS1_3genE8ELNS1_11target_archE1030ELNS1_3gpuE2ELNS1_3repE0EEENS1_30default_config_static_selectorELNS0_4arch9wavefront6targetE0EEEvSK_,comdat
	.globl	_ZN7rocprim17ROCPRIM_400000_NS6detail17trampoline_kernelINS0_14default_configENS1_36segmented_radix_sort_config_selectorIalEEZNS1_25segmented_radix_sort_implIS3_Lb0EPKaPaPKlPlN2at6native12_GLOBAL__N_18offset_tEEE10hipError_tPvRmT1_PNSt15iterator_traitsISK_E10value_typeET2_T3_PNSL_ISQ_E10value_typeET4_jRbjT5_SW_jjP12ihipStream_tbEUlT_E_NS1_11comp_targetILNS1_3genE8ELNS1_11target_archE1030ELNS1_3gpuE2ELNS1_3repE0EEENS1_30default_config_static_selectorELNS0_4arch9wavefront6targetE0EEEvSK_ ; -- Begin function _ZN7rocprim17ROCPRIM_400000_NS6detail17trampoline_kernelINS0_14default_configENS1_36segmented_radix_sort_config_selectorIalEEZNS1_25segmented_radix_sort_implIS3_Lb0EPKaPaPKlPlN2at6native12_GLOBAL__N_18offset_tEEE10hipError_tPvRmT1_PNSt15iterator_traitsISK_E10value_typeET2_T3_PNSL_ISQ_E10value_typeET4_jRbjT5_SW_jjP12ihipStream_tbEUlT_E_NS1_11comp_targetILNS1_3genE8ELNS1_11target_archE1030ELNS1_3gpuE2ELNS1_3repE0EEENS1_30default_config_static_selectorELNS0_4arch9wavefront6targetE0EEEvSK_
	.p2align	8
	.type	_ZN7rocprim17ROCPRIM_400000_NS6detail17trampoline_kernelINS0_14default_configENS1_36segmented_radix_sort_config_selectorIalEEZNS1_25segmented_radix_sort_implIS3_Lb0EPKaPaPKlPlN2at6native12_GLOBAL__N_18offset_tEEE10hipError_tPvRmT1_PNSt15iterator_traitsISK_E10value_typeET2_T3_PNSL_ISQ_E10value_typeET4_jRbjT5_SW_jjP12ihipStream_tbEUlT_E_NS1_11comp_targetILNS1_3genE8ELNS1_11target_archE1030ELNS1_3gpuE2ELNS1_3repE0EEENS1_30default_config_static_selectorELNS0_4arch9wavefront6targetE0EEEvSK_,@function
_ZN7rocprim17ROCPRIM_400000_NS6detail17trampoline_kernelINS0_14default_configENS1_36segmented_radix_sort_config_selectorIalEEZNS1_25segmented_radix_sort_implIS3_Lb0EPKaPaPKlPlN2at6native12_GLOBAL__N_18offset_tEEE10hipError_tPvRmT1_PNSt15iterator_traitsISK_E10value_typeET2_T3_PNSL_ISQ_E10value_typeET4_jRbjT5_SW_jjP12ihipStream_tbEUlT_E_NS1_11comp_targetILNS1_3genE8ELNS1_11target_archE1030ELNS1_3gpuE2ELNS1_3repE0EEENS1_30default_config_static_selectorELNS0_4arch9wavefront6targetE0EEEvSK_: ; @_ZN7rocprim17ROCPRIM_400000_NS6detail17trampoline_kernelINS0_14default_configENS1_36segmented_radix_sort_config_selectorIalEEZNS1_25segmented_radix_sort_implIS3_Lb0EPKaPaPKlPlN2at6native12_GLOBAL__N_18offset_tEEE10hipError_tPvRmT1_PNSt15iterator_traitsISK_E10value_typeET2_T3_PNSL_ISQ_E10value_typeET4_jRbjT5_SW_jjP12ihipStream_tbEUlT_E_NS1_11comp_targetILNS1_3genE8ELNS1_11target_archE1030ELNS1_3gpuE2ELNS1_3repE0EEENS1_30default_config_static_selectorELNS0_4arch9wavefront6targetE0EEEvSK_
; %bb.0:
	.section	.rodata,"a",@progbits
	.p2align	6, 0x0
	.amdhsa_kernel _ZN7rocprim17ROCPRIM_400000_NS6detail17trampoline_kernelINS0_14default_configENS1_36segmented_radix_sort_config_selectorIalEEZNS1_25segmented_radix_sort_implIS3_Lb0EPKaPaPKlPlN2at6native12_GLOBAL__N_18offset_tEEE10hipError_tPvRmT1_PNSt15iterator_traitsISK_E10value_typeET2_T3_PNSL_ISQ_E10value_typeET4_jRbjT5_SW_jjP12ihipStream_tbEUlT_E_NS1_11comp_targetILNS1_3genE8ELNS1_11target_archE1030ELNS1_3gpuE2ELNS1_3repE0EEENS1_30default_config_static_selectorELNS0_4arch9wavefront6targetE0EEEvSK_
		.amdhsa_group_segment_fixed_size 0
		.amdhsa_private_segment_fixed_size 0
		.amdhsa_kernarg_size 96
		.amdhsa_user_sgpr_count 2
		.amdhsa_user_sgpr_dispatch_ptr 0
		.amdhsa_user_sgpr_queue_ptr 0
		.amdhsa_user_sgpr_kernarg_segment_ptr 1
		.amdhsa_user_sgpr_dispatch_id 0
		.amdhsa_user_sgpr_private_segment_size 0
		.amdhsa_wavefront_size32 1
		.amdhsa_uses_dynamic_stack 0
		.amdhsa_enable_private_segment 0
		.amdhsa_system_sgpr_workgroup_id_x 1
		.amdhsa_system_sgpr_workgroup_id_y 0
		.amdhsa_system_sgpr_workgroup_id_z 0
		.amdhsa_system_sgpr_workgroup_info 0
		.amdhsa_system_vgpr_workitem_id 0
		.amdhsa_next_free_vgpr 1
		.amdhsa_next_free_sgpr 1
		.amdhsa_reserve_vcc 0
		.amdhsa_float_round_mode_32 0
		.amdhsa_float_round_mode_16_64 0
		.amdhsa_float_denorm_mode_32 3
		.amdhsa_float_denorm_mode_16_64 3
		.amdhsa_fp16_overflow 0
		.amdhsa_workgroup_processor_mode 1
		.amdhsa_memory_ordered 1
		.amdhsa_forward_progress 1
		.amdhsa_inst_pref_size 0
		.amdhsa_round_robin_scheduling 0
		.amdhsa_exception_fp_ieee_invalid_op 0
		.amdhsa_exception_fp_denorm_src 0
		.amdhsa_exception_fp_ieee_div_zero 0
		.amdhsa_exception_fp_ieee_overflow 0
		.amdhsa_exception_fp_ieee_underflow 0
		.amdhsa_exception_fp_ieee_inexact 0
		.amdhsa_exception_int_div_zero 0
	.end_amdhsa_kernel
	.section	.text._ZN7rocprim17ROCPRIM_400000_NS6detail17trampoline_kernelINS0_14default_configENS1_36segmented_radix_sort_config_selectorIalEEZNS1_25segmented_radix_sort_implIS3_Lb0EPKaPaPKlPlN2at6native12_GLOBAL__N_18offset_tEEE10hipError_tPvRmT1_PNSt15iterator_traitsISK_E10value_typeET2_T3_PNSL_ISQ_E10value_typeET4_jRbjT5_SW_jjP12ihipStream_tbEUlT_E_NS1_11comp_targetILNS1_3genE8ELNS1_11target_archE1030ELNS1_3gpuE2ELNS1_3repE0EEENS1_30default_config_static_selectorELNS0_4arch9wavefront6targetE0EEEvSK_,"axG",@progbits,_ZN7rocprim17ROCPRIM_400000_NS6detail17trampoline_kernelINS0_14default_configENS1_36segmented_radix_sort_config_selectorIalEEZNS1_25segmented_radix_sort_implIS3_Lb0EPKaPaPKlPlN2at6native12_GLOBAL__N_18offset_tEEE10hipError_tPvRmT1_PNSt15iterator_traitsISK_E10value_typeET2_T3_PNSL_ISQ_E10value_typeET4_jRbjT5_SW_jjP12ihipStream_tbEUlT_E_NS1_11comp_targetILNS1_3genE8ELNS1_11target_archE1030ELNS1_3gpuE2ELNS1_3repE0EEENS1_30default_config_static_selectorELNS0_4arch9wavefront6targetE0EEEvSK_,comdat
.Lfunc_end402:
	.size	_ZN7rocprim17ROCPRIM_400000_NS6detail17trampoline_kernelINS0_14default_configENS1_36segmented_radix_sort_config_selectorIalEEZNS1_25segmented_radix_sort_implIS3_Lb0EPKaPaPKlPlN2at6native12_GLOBAL__N_18offset_tEEE10hipError_tPvRmT1_PNSt15iterator_traitsISK_E10value_typeET2_T3_PNSL_ISQ_E10value_typeET4_jRbjT5_SW_jjP12ihipStream_tbEUlT_E_NS1_11comp_targetILNS1_3genE8ELNS1_11target_archE1030ELNS1_3gpuE2ELNS1_3repE0EEENS1_30default_config_static_selectorELNS0_4arch9wavefront6targetE0EEEvSK_, .Lfunc_end402-_ZN7rocprim17ROCPRIM_400000_NS6detail17trampoline_kernelINS0_14default_configENS1_36segmented_radix_sort_config_selectorIalEEZNS1_25segmented_radix_sort_implIS3_Lb0EPKaPaPKlPlN2at6native12_GLOBAL__N_18offset_tEEE10hipError_tPvRmT1_PNSt15iterator_traitsISK_E10value_typeET2_T3_PNSL_ISQ_E10value_typeET4_jRbjT5_SW_jjP12ihipStream_tbEUlT_E_NS1_11comp_targetILNS1_3genE8ELNS1_11target_archE1030ELNS1_3gpuE2ELNS1_3repE0EEENS1_30default_config_static_selectorELNS0_4arch9wavefront6targetE0EEEvSK_
                                        ; -- End function
	.set _ZN7rocprim17ROCPRIM_400000_NS6detail17trampoline_kernelINS0_14default_configENS1_36segmented_radix_sort_config_selectorIalEEZNS1_25segmented_radix_sort_implIS3_Lb0EPKaPaPKlPlN2at6native12_GLOBAL__N_18offset_tEEE10hipError_tPvRmT1_PNSt15iterator_traitsISK_E10value_typeET2_T3_PNSL_ISQ_E10value_typeET4_jRbjT5_SW_jjP12ihipStream_tbEUlT_E_NS1_11comp_targetILNS1_3genE8ELNS1_11target_archE1030ELNS1_3gpuE2ELNS1_3repE0EEENS1_30default_config_static_selectorELNS0_4arch9wavefront6targetE0EEEvSK_.num_vgpr, 0
	.set _ZN7rocprim17ROCPRIM_400000_NS6detail17trampoline_kernelINS0_14default_configENS1_36segmented_radix_sort_config_selectorIalEEZNS1_25segmented_radix_sort_implIS3_Lb0EPKaPaPKlPlN2at6native12_GLOBAL__N_18offset_tEEE10hipError_tPvRmT1_PNSt15iterator_traitsISK_E10value_typeET2_T3_PNSL_ISQ_E10value_typeET4_jRbjT5_SW_jjP12ihipStream_tbEUlT_E_NS1_11comp_targetILNS1_3genE8ELNS1_11target_archE1030ELNS1_3gpuE2ELNS1_3repE0EEENS1_30default_config_static_selectorELNS0_4arch9wavefront6targetE0EEEvSK_.num_agpr, 0
	.set _ZN7rocprim17ROCPRIM_400000_NS6detail17trampoline_kernelINS0_14default_configENS1_36segmented_radix_sort_config_selectorIalEEZNS1_25segmented_radix_sort_implIS3_Lb0EPKaPaPKlPlN2at6native12_GLOBAL__N_18offset_tEEE10hipError_tPvRmT1_PNSt15iterator_traitsISK_E10value_typeET2_T3_PNSL_ISQ_E10value_typeET4_jRbjT5_SW_jjP12ihipStream_tbEUlT_E_NS1_11comp_targetILNS1_3genE8ELNS1_11target_archE1030ELNS1_3gpuE2ELNS1_3repE0EEENS1_30default_config_static_selectorELNS0_4arch9wavefront6targetE0EEEvSK_.numbered_sgpr, 0
	.set _ZN7rocprim17ROCPRIM_400000_NS6detail17trampoline_kernelINS0_14default_configENS1_36segmented_radix_sort_config_selectorIalEEZNS1_25segmented_radix_sort_implIS3_Lb0EPKaPaPKlPlN2at6native12_GLOBAL__N_18offset_tEEE10hipError_tPvRmT1_PNSt15iterator_traitsISK_E10value_typeET2_T3_PNSL_ISQ_E10value_typeET4_jRbjT5_SW_jjP12ihipStream_tbEUlT_E_NS1_11comp_targetILNS1_3genE8ELNS1_11target_archE1030ELNS1_3gpuE2ELNS1_3repE0EEENS1_30default_config_static_selectorELNS0_4arch9wavefront6targetE0EEEvSK_.num_named_barrier, 0
	.set _ZN7rocprim17ROCPRIM_400000_NS6detail17trampoline_kernelINS0_14default_configENS1_36segmented_radix_sort_config_selectorIalEEZNS1_25segmented_radix_sort_implIS3_Lb0EPKaPaPKlPlN2at6native12_GLOBAL__N_18offset_tEEE10hipError_tPvRmT1_PNSt15iterator_traitsISK_E10value_typeET2_T3_PNSL_ISQ_E10value_typeET4_jRbjT5_SW_jjP12ihipStream_tbEUlT_E_NS1_11comp_targetILNS1_3genE8ELNS1_11target_archE1030ELNS1_3gpuE2ELNS1_3repE0EEENS1_30default_config_static_selectorELNS0_4arch9wavefront6targetE0EEEvSK_.private_seg_size, 0
	.set _ZN7rocprim17ROCPRIM_400000_NS6detail17trampoline_kernelINS0_14default_configENS1_36segmented_radix_sort_config_selectorIalEEZNS1_25segmented_radix_sort_implIS3_Lb0EPKaPaPKlPlN2at6native12_GLOBAL__N_18offset_tEEE10hipError_tPvRmT1_PNSt15iterator_traitsISK_E10value_typeET2_T3_PNSL_ISQ_E10value_typeET4_jRbjT5_SW_jjP12ihipStream_tbEUlT_E_NS1_11comp_targetILNS1_3genE8ELNS1_11target_archE1030ELNS1_3gpuE2ELNS1_3repE0EEENS1_30default_config_static_selectorELNS0_4arch9wavefront6targetE0EEEvSK_.uses_vcc, 0
	.set _ZN7rocprim17ROCPRIM_400000_NS6detail17trampoline_kernelINS0_14default_configENS1_36segmented_radix_sort_config_selectorIalEEZNS1_25segmented_radix_sort_implIS3_Lb0EPKaPaPKlPlN2at6native12_GLOBAL__N_18offset_tEEE10hipError_tPvRmT1_PNSt15iterator_traitsISK_E10value_typeET2_T3_PNSL_ISQ_E10value_typeET4_jRbjT5_SW_jjP12ihipStream_tbEUlT_E_NS1_11comp_targetILNS1_3genE8ELNS1_11target_archE1030ELNS1_3gpuE2ELNS1_3repE0EEENS1_30default_config_static_selectorELNS0_4arch9wavefront6targetE0EEEvSK_.uses_flat_scratch, 0
	.set _ZN7rocprim17ROCPRIM_400000_NS6detail17trampoline_kernelINS0_14default_configENS1_36segmented_radix_sort_config_selectorIalEEZNS1_25segmented_radix_sort_implIS3_Lb0EPKaPaPKlPlN2at6native12_GLOBAL__N_18offset_tEEE10hipError_tPvRmT1_PNSt15iterator_traitsISK_E10value_typeET2_T3_PNSL_ISQ_E10value_typeET4_jRbjT5_SW_jjP12ihipStream_tbEUlT_E_NS1_11comp_targetILNS1_3genE8ELNS1_11target_archE1030ELNS1_3gpuE2ELNS1_3repE0EEENS1_30default_config_static_selectorELNS0_4arch9wavefront6targetE0EEEvSK_.has_dyn_sized_stack, 0
	.set _ZN7rocprim17ROCPRIM_400000_NS6detail17trampoline_kernelINS0_14default_configENS1_36segmented_radix_sort_config_selectorIalEEZNS1_25segmented_radix_sort_implIS3_Lb0EPKaPaPKlPlN2at6native12_GLOBAL__N_18offset_tEEE10hipError_tPvRmT1_PNSt15iterator_traitsISK_E10value_typeET2_T3_PNSL_ISQ_E10value_typeET4_jRbjT5_SW_jjP12ihipStream_tbEUlT_E_NS1_11comp_targetILNS1_3genE8ELNS1_11target_archE1030ELNS1_3gpuE2ELNS1_3repE0EEENS1_30default_config_static_selectorELNS0_4arch9wavefront6targetE0EEEvSK_.has_recursion, 0
	.set _ZN7rocprim17ROCPRIM_400000_NS6detail17trampoline_kernelINS0_14default_configENS1_36segmented_radix_sort_config_selectorIalEEZNS1_25segmented_radix_sort_implIS3_Lb0EPKaPaPKlPlN2at6native12_GLOBAL__N_18offset_tEEE10hipError_tPvRmT1_PNSt15iterator_traitsISK_E10value_typeET2_T3_PNSL_ISQ_E10value_typeET4_jRbjT5_SW_jjP12ihipStream_tbEUlT_E_NS1_11comp_targetILNS1_3genE8ELNS1_11target_archE1030ELNS1_3gpuE2ELNS1_3repE0EEENS1_30default_config_static_selectorELNS0_4arch9wavefront6targetE0EEEvSK_.has_indirect_call, 0
	.section	.AMDGPU.csdata,"",@progbits
; Kernel info:
; codeLenInByte = 0
; TotalNumSgprs: 0
; NumVgprs: 0
; ScratchSize: 0
; MemoryBound: 0
; FloatMode: 240
; IeeeMode: 1
; LDSByteSize: 0 bytes/workgroup (compile time only)
; SGPRBlocks: 0
; VGPRBlocks: 0
; NumSGPRsForWavesPerEU: 1
; NumVGPRsForWavesPerEU: 1
; Occupancy: 16
; WaveLimiterHint : 0
; COMPUTE_PGM_RSRC2:SCRATCH_EN: 0
; COMPUTE_PGM_RSRC2:USER_SGPR: 2
; COMPUTE_PGM_RSRC2:TRAP_HANDLER: 0
; COMPUTE_PGM_RSRC2:TGID_X_EN: 1
; COMPUTE_PGM_RSRC2:TGID_Y_EN: 0
; COMPUTE_PGM_RSRC2:TGID_Z_EN: 0
; COMPUTE_PGM_RSRC2:TIDIG_COMP_CNT: 0
	.section	.text._ZN7rocprim17ROCPRIM_400000_NS6detail17trampoline_kernelINS0_14default_configENS1_36segmented_radix_sort_config_selectorIalEEZNS1_25segmented_radix_sort_implIS3_Lb0EPKaPaPKlPlN2at6native12_GLOBAL__N_18offset_tEEE10hipError_tPvRmT1_PNSt15iterator_traitsISK_E10value_typeET2_T3_PNSL_ISQ_E10value_typeET4_jRbjT5_SW_jjP12ihipStream_tbEUlT_E0_NS1_11comp_targetILNS1_3genE0ELNS1_11target_archE4294967295ELNS1_3gpuE0ELNS1_3repE0EEENS1_60segmented_radix_sort_warp_sort_medium_config_static_selectorELNS0_4arch9wavefront6targetE0EEEvSK_,"axG",@progbits,_ZN7rocprim17ROCPRIM_400000_NS6detail17trampoline_kernelINS0_14default_configENS1_36segmented_radix_sort_config_selectorIalEEZNS1_25segmented_radix_sort_implIS3_Lb0EPKaPaPKlPlN2at6native12_GLOBAL__N_18offset_tEEE10hipError_tPvRmT1_PNSt15iterator_traitsISK_E10value_typeET2_T3_PNSL_ISQ_E10value_typeET4_jRbjT5_SW_jjP12ihipStream_tbEUlT_E0_NS1_11comp_targetILNS1_3genE0ELNS1_11target_archE4294967295ELNS1_3gpuE0ELNS1_3repE0EEENS1_60segmented_radix_sort_warp_sort_medium_config_static_selectorELNS0_4arch9wavefront6targetE0EEEvSK_,comdat
	.globl	_ZN7rocprim17ROCPRIM_400000_NS6detail17trampoline_kernelINS0_14default_configENS1_36segmented_radix_sort_config_selectorIalEEZNS1_25segmented_radix_sort_implIS3_Lb0EPKaPaPKlPlN2at6native12_GLOBAL__N_18offset_tEEE10hipError_tPvRmT1_PNSt15iterator_traitsISK_E10value_typeET2_T3_PNSL_ISQ_E10value_typeET4_jRbjT5_SW_jjP12ihipStream_tbEUlT_E0_NS1_11comp_targetILNS1_3genE0ELNS1_11target_archE4294967295ELNS1_3gpuE0ELNS1_3repE0EEENS1_60segmented_radix_sort_warp_sort_medium_config_static_selectorELNS0_4arch9wavefront6targetE0EEEvSK_ ; -- Begin function _ZN7rocprim17ROCPRIM_400000_NS6detail17trampoline_kernelINS0_14default_configENS1_36segmented_radix_sort_config_selectorIalEEZNS1_25segmented_radix_sort_implIS3_Lb0EPKaPaPKlPlN2at6native12_GLOBAL__N_18offset_tEEE10hipError_tPvRmT1_PNSt15iterator_traitsISK_E10value_typeET2_T3_PNSL_ISQ_E10value_typeET4_jRbjT5_SW_jjP12ihipStream_tbEUlT_E0_NS1_11comp_targetILNS1_3genE0ELNS1_11target_archE4294967295ELNS1_3gpuE0ELNS1_3repE0EEENS1_60segmented_radix_sort_warp_sort_medium_config_static_selectorELNS0_4arch9wavefront6targetE0EEEvSK_
	.p2align	8
	.type	_ZN7rocprim17ROCPRIM_400000_NS6detail17trampoline_kernelINS0_14default_configENS1_36segmented_radix_sort_config_selectorIalEEZNS1_25segmented_radix_sort_implIS3_Lb0EPKaPaPKlPlN2at6native12_GLOBAL__N_18offset_tEEE10hipError_tPvRmT1_PNSt15iterator_traitsISK_E10value_typeET2_T3_PNSL_ISQ_E10value_typeET4_jRbjT5_SW_jjP12ihipStream_tbEUlT_E0_NS1_11comp_targetILNS1_3genE0ELNS1_11target_archE4294967295ELNS1_3gpuE0ELNS1_3repE0EEENS1_60segmented_radix_sort_warp_sort_medium_config_static_selectorELNS0_4arch9wavefront6targetE0EEEvSK_,@function
_ZN7rocprim17ROCPRIM_400000_NS6detail17trampoline_kernelINS0_14default_configENS1_36segmented_radix_sort_config_selectorIalEEZNS1_25segmented_radix_sort_implIS3_Lb0EPKaPaPKlPlN2at6native12_GLOBAL__N_18offset_tEEE10hipError_tPvRmT1_PNSt15iterator_traitsISK_E10value_typeET2_T3_PNSL_ISQ_E10value_typeET4_jRbjT5_SW_jjP12ihipStream_tbEUlT_E0_NS1_11comp_targetILNS1_3genE0ELNS1_11target_archE4294967295ELNS1_3gpuE0ELNS1_3repE0EEENS1_60segmented_radix_sort_warp_sort_medium_config_static_selectorELNS0_4arch9wavefront6targetE0EEEvSK_: ; @_ZN7rocprim17ROCPRIM_400000_NS6detail17trampoline_kernelINS0_14default_configENS1_36segmented_radix_sort_config_selectorIalEEZNS1_25segmented_radix_sort_implIS3_Lb0EPKaPaPKlPlN2at6native12_GLOBAL__N_18offset_tEEE10hipError_tPvRmT1_PNSt15iterator_traitsISK_E10value_typeET2_T3_PNSL_ISQ_E10value_typeET4_jRbjT5_SW_jjP12ihipStream_tbEUlT_E0_NS1_11comp_targetILNS1_3genE0ELNS1_11target_archE4294967295ELNS1_3gpuE0ELNS1_3repE0EEENS1_60segmented_radix_sort_warp_sort_medium_config_static_selectorELNS0_4arch9wavefront6targetE0EEEvSK_
; %bb.0:
	.section	.rodata,"a",@progbits
	.p2align	6, 0x0
	.amdhsa_kernel _ZN7rocprim17ROCPRIM_400000_NS6detail17trampoline_kernelINS0_14default_configENS1_36segmented_radix_sort_config_selectorIalEEZNS1_25segmented_radix_sort_implIS3_Lb0EPKaPaPKlPlN2at6native12_GLOBAL__N_18offset_tEEE10hipError_tPvRmT1_PNSt15iterator_traitsISK_E10value_typeET2_T3_PNSL_ISQ_E10value_typeET4_jRbjT5_SW_jjP12ihipStream_tbEUlT_E0_NS1_11comp_targetILNS1_3genE0ELNS1_11target_archE4294967295ELNS1_3gpuE0ELNS1_3repE0EEENS1_60segmented_radix_sort_warp_sort_medium_config_static_selectorELNS0_4arch9wavefront6targetE0EEEvSK_
		.amdhsa_group_segment_fixed_size 0
		.amdhsa_private_segment_fixed_size 0
		.amdhsa_kernarg_size 88
		.amdhsa_user_sgpr_count 2
		.amdhsa_user_sgpr_dispatch_ptr 0
		.amdhsa_user_sgpr_queue_ptr 0
		.amdhsa_user_sgpr_kernarg_segment_ptr 1
		.amdhsa_user_sgpr_dispatch_id 0
		.amdhsa_user_sgpr_private_segment_size 0
		.amdhsa_wavefront_size32 1
		.amdhsa_uses_dynamic_stack 0
		.amdhsa_enable_private_segment 0
		.amdhsa_system_sgpr_workgroup_id_x 1
		.amdhsa_system_sgpr_workgroup_id_y 0
		.amdhsa_system_sgpr_workgroup_id_z 0
		.amdhsa_system_sgpr_workgroup_info 0
		.amdhsa_system_vgpr_workitem_id 0
		.amdhsa_next_free_vgpr 1
		.amdhsa_next_free_sgpr 1
		.amdhsa_reserve_vcc 0
		.amdhsa_float_round_mode_32 0
		.amdhsa_float_round_mode_16_64 0
		.amdhsa_float_denorm_mode_32 3
		.amdhsa_float_denorm_mode_16_64 3
		.amdhsa_fp16_overflow 0
		.amdhsa_workgroup_processor_mode 1
		.amdhsa_memory_ordered 1
		.amdhsa_forward_progress 1
		.amdhsa_inst_pref_size 0
		.amdhsa_round_robin_scheduling 0
		.amdhsa_exception_fp_ieee_invalid_op 0
		.amdhsa_exception_fp_denorm_src 0
		.amdhsa_exception_fp_ieee_div_zero 0
		.amdhsa_exception_fp_ieee_overflow 0
		.amdhsa_exception_fp_ieee_underflow 0
		.amdhsa_exception_fp_ieee_inexact 0
		.amdhsa_exception_int_div_zero 0
	.end_amdhsa_kernel
	.section	.text._ZN7rocprim17ROCPRIM_400000_NS6detail17trampoline_kernelINS0_14default_configENS1_36segmented_radix_sort_config_selectorIalEEZNS1_25segmented_radix_sort_implIS3_Lb0EPKaPaPKlPlN2at6native12_GLOBAL__N_18offset_tEEE10hipError_tPvRmT1_PNSt15iterator_traitsISK_E10value_typeET2_T3_PNSL_ISQ_E10value_typeET4_jRbjT5_SW_jjP12ihipStream_tbEUlT_E0_NS1_11comp_targetILNS1_3genE0ELNS1_11target_archE4294967295ELNS1_3gpuE0ELNS1_3repE0EEENS1_60segmented_radix_sort_warp_sort_medium_config_static_selectorELNS0_4arch9wavefront6targetE0EEEvSK_,"axG",@progbits,_ZN7rocprim17ROCPRIM_400000_NS6detail17trampoline_kernelINS0_14default_configENS1_36segmented_radix_sort_config_selectorIalEEZNS1_25segmented_radix_sort_implIS3_Lb0EPKaPaPKlPlN2at6native12_GLOBAL__N_18offset_tEEE10hipError_tPvRmT1_PNSt15iterator_traitsISK_E10value_typeET2_T3_PNSL_ISQ_E10value_typeET4_jRbjT5_SW_jjP12ihipStream_tbEUlT_E0_NS1_11comp_targetILNS1_3genE0ELNS1_11target_archE4294967295ELNS1_3gpuE0ELNS1_3repE0EEENS1_60segmented_radix_sort_warp_sort_medium_config_static_selectorELNS0_4arch9wavefront6targetE0EEEvSK_,comdat
.Lfunc_end403:
	.size	_ZN7rocprim17ROCPRIM_400000_NS6detail17trampoline_kernelINS0_14default_configENS1_36segmented_radix_sort_config_selectorIalEEZNS1_25segmented_radix_sort_implIS3_Lb0EPKaPaPKlPlN2at6native12_GLOBAL__N_18offset_tEEE10hipError_tPvRmT1_PNSt15iterator_traitsISK_E10value_typeET2_T3_PNSL_ISQ_E10value_typeET4_jRbjT5_SW_jjP12ihipStream_tbEUlT_E0_NS1_11comp_targetILNS1_3genE0ELNS1_11target_archE4294967295ELNS1_3gpuE0ELNS1_3repE0EEENS1_60segmented_radix_sort_warp_sort_medium_config_static_selectorELNS0_4arch9wavefront6targetE0EEEvSK_, .Lfunc_end403-_ZN7rocprim17ROCPRIM_400000_NS6detail17trampoline_kernelINS0_14default_configENS1_36segmented_radix_sort_config_selectorIalEEZNS1_25segmented_radix_sort_implIS3_Lb0EPKaPaPKlPlN2at6native12_GLOBAL__N_18offset_tEEE10hipError_tPvRmT1_PNSt15iterator_traitsISK_E10value_typeET2_T3_PNSL_ISQ_E10value_typeET4_jRbjT5_SW_jjP12ihipStream_tbEUlT_E0_NS1_11comp_targetILNS1_3genE0ELNS1_11target_archE4294967295ELNS1_3gpuE0ELNS1_3repE0EEENS1_60segmented_radix_sort_warp_sort_medium_config_static_selectorELNS0_4arch9wavefront6targetE0EEEvSK_
                                        ; -- End function
	.set _ZN7rocprim17ROCPRIM_400000_NS6detail17trampoline_kernelINS0_14default_configENS1_36segmented_radix_sort_config_selectorIalEEZNS1_25segmented_radix_sort_implIS3_Lb0EPKaPaPKlPlN2at6native12_GLOBAL__N_18offset_tEEE10hipError_tPvRmT1_PNSt15iterator_traitsISK_E10value_typeET2_T3_PNSL_ISQ_E10value_typeET4_jRbjT5_SW_jjP12ihipStream_tbEUlT_E0_NS1_11comp_targetILNS1_3genE0ELNS1_11target_archE4294967295ELNS1_3gpuE0ELNS1_3repE0EEENS1_60segmented_radix_sort_warp_sort_medium_config_static_selectorELNS0_4arch9wavefront6targetE0EEEvSK_.num_vgpr, 0
	.set _ZN7rocprim17ROCPRIM_400000_NS6detail17trampoline_kernelINS0_14default_configENS1_36segmented_radix_sort_config_selectorIalEEZNS1_25segmented_radix_sort_implIS3_Lb0EPKaPaPKlPlN2at6native12_GLOBAL__N_18offset_tEEE10hipError_tPvRmT1_PNSt15iterator_traitsISK_E10value_typeET2_T3_PNSL_ISQ_E10value_typeET4_jRbjT5_SW_jjP12ihipStream_tbEUlT_E0_NS1_11comp_targetILNS1_3genE0ELNS1_11target_archE4294967295ELNS1_3gpuE0ELNS1_3repE0EEENS1_60segmented_radix_sort_warp_sort_medium_config_static_selectorELNS0_4arch9wavefront6targetE0EEEvSK_.num_agpr, 0
	.set _ZN7rocprim17ROCPRIM_400000_NS6detail17trampoline_kernelINS0_14default_configENS1_36segmented_radix_sort_config_selectorIalEEZNS1_25segmented_radix_sort_implIS3_Lb0EPKaPaPKlPlN2at6native12_GLOBAL__N_18offset_tEEE10hipError_tPvRmT1_PNSt15iterator_traitsISK_E10value_typeET2_T3_PNSL_ISQ_E10value_typeET4_jRbjT5_SW_jjP12ihipStream_tbEUlT_E0_NS1_11comp_targetILNS1_3genE0ELNS1_11target_archE4294967295ELNS1_3gpuE0ELNS1_3repE0EEENS1_60segmented_radix_sort_warp_sort_medium_config_static_selectorELNS0_4arch9wavefront6targetE0EEEvSK_.numbered_sgpr, 0
	.set _ZN7rocprim17ROCPRIM_400000_NS6detail17trampoline_kernelINS0_14default_configENS1_36segmented_radix_sort_config_selectorIalEEZNS1_25segmented_radix_sort_implIS3_Lb0EPKaPaPKlPlN2at6native12_GLOBAL__N_18offset_tEEE10hipError_tPvRmT1_PNSt15iterator_traitsISK_E10value_typeET2_T3_PNSL_ISQ_E10value_typeET4_jRbjT5_SW_jjP12ihipStream_tbEUlT_E0_NS1_11comp_targetILNS1_3genE0ELNS1_11target_archE4294967295ELNS1_3gpuE0ELNS1_3repE0EEENS1_60segmented_radix_sort_warp_sort_medium_config_static_selectorELNS0_4arch9wavefront6targetE0EEEvSK_.num_named_barrier, 0
	.set _ZN7rocprim17ROCPRIM_400000_NS6detail17trampoline_kernelINS0_14default_configENS1_36segmented_radix_sort_config_selectorIalEEZNS1_25segmented_radix_sort_implIS3_Lb0EPKaPaPKlPlN2at6native12_GLOBAL__N_18offset_tEEE10hipError_tPvRmT1_PNSt15iterator_traitsISK_E10value_typeET2_T3_PNSL_ISQ_E10value_typeET4_jRbjT5_SW_jjP12ihipStream_tbEUlT_E0_NS1_11comp_targetILNS1_3genE0ELNS1_11target_archE4294967295ELNS1_3gpuE0ELNS1_3repE0EEENS1_60segmented_radix_sort_warp_sort_medium_config_static_selectorELNS0_4arch9wavefront6targetE0EEEvSK_.private_seg_size, 0
	.set _ZN7rocprim17ROCPRIM_400000_NS6detail17trampoline_kernelINS0_14default_configENS1_36segmented_radix_sort_config_selectorIalEEZNS1_25segmented_radix_sort_implIS3_Lb0EPKaPaPKlPlN2at6native12_GLOBAL__N_18offset_tEEE10hipError_tPvRmT1_PNSt15iterator_traitsISK_E10value_typeET2_T3_PNSL_ISQ_E10value_typeET4_jRbjT5_SW_jjP12ihipStream_tbEUlT_E0_NS1_11comp_targetILNS1_3genE0ELNS1_11target_archE4294967295ELNS1_3gpuE0ELNS1_3repE0EEENS1_60segmented_radix_sort_warp_sort_medium_config_static_selectorELNS0_4arch9wavefront6targetE0EEEvSK_.uses_vcc, 0
	.set _ZN7rocprim17ROCPRIM_400000_NS6detail17trampoline_kernelINS0_14default_configENS1_36segmented_radix_sort_config_selectorIalEEZNS1_25segmented_radix_sort_implIS3_Lb0EPKaPaPKlPlN2at6native12_GLOBAL__N_18offset_tEEE10hipError_tPvRmT1_PNSt15iterator_traitsISK_E10value_typeET2_T3_PNSL_ISQ_E10value_typeET4_jRbjT5_SW_jjP12ihipStream_tbEUlT_E0_NS1_11comp_targetILNS1_3genE0ELNS1_11target_archE4294967295ELNS1_3gpuE0ELNS1_3repE0EEENS1_60segmented_radix_sort_warp_sort_medium_config_static_selectorELNS0_4arch9wavefront6targetE0EEEvSK_.uses_flat_scratch, 0
	.set _ZN7rocprim17ROCPRIM_400000_NS6detail17trampoline_kernelINS0_14default_configENS1_36segmented_radix_sort_config_selectorIalEEZNS1_25segmented_radix_sort_implIS3_Lb0EPKaPaPKlPlN2at6native12_GLOBAL__N_18offset_tEEE10hipError_tPvRmT1_PNSt15iterator_traitsISK_E10value_typeET2_T3_PNSL_ISQ_E10value_typeET4_jRbjT5_SW_jjP12ihipStream_tbEUlT_E0_NS1_11comp_targetILNS1_3genE0ELNS1_11target_archE4294967295ELNS1_3gpuE0ELNS1_3repE0EEENS1_60segmented_radix_sort_warp_sort_medium_config_static_selectorELNS0_4arch9wavefront6targetE0EEEvSK_.has_dyn_sized_stack, 0
	.set _ZN7rocprim17ROCPRIM_400000_NS6detail17trampoline_kernelINS0_14default_configENS1_36segmented_radix_sort_config_selectorIalEEZNS1_25segmented_radix_sort_implIS3_Lb0EPKaPaPKlPlN2at6native12_GLOBAL__N_18offset_tEEE10hipError_tPvRmT1_PNSt15iterator_traitsISK_E10value_typeET2_T3_PNSL_ISQ_E10value_typeET4_jRbjT5_SW_jjP12ihipStream_tbEUlT_E0_NS1_11comp_targetILNS1_3genE0ELNS1_11target_archE4294967295ELNS1_3gpuE0ELNS1_3repE0EEENS1_60segmented_radix_sort_warp_sort_medium_config_static_selectorELNS0_4arch9wavefront6targetE0EEEvSK_.has_recursion, 0
	.set _ZN7rocprim17ROCPRIM_400000_NS6detail17trampoline_kernelINS0_14default_configENS1_36segmented_radix_sort_config_selectorIalEEZNS1_25segmented_radix_sort_implIS3_Lb0EPKaPaPKlPlN2at6native12_GLOBAL__N_18offset_tEEE10hipError_tPvRmT1_PNSt15iterator_traitsISK_E10value_typeET2_T3_PNSL_ISQ_E10value_typeET4_jRbjT5_SW_jjP12ihipStream_tbEUlT_E0_NS1_11comp_targetILNS1_3genE0ELNS1_11target_archE4294967295ELNS1_3gpuE0ELNS1_3repE0EEENS1_60segmented_radix_sort_warp_sort_medium_config_static_selectorELNS0_4arch9wavefront6targetE0EEEvSK_.has_indirect_call, 0
	.section	.AMDGPU.csdata,"",@progbits
; Kernel info:
; codeLenInByte = 0
; TotalNumSgprs: 0
; NumVgprs: 0
; ScratchSize: 0
; MemoryBound: 0
; FloatMode: 240
; IeeeMode: 1
; LDSByteSize: 0 bytes/workgroup (compile time only)
; SGPRBlocks: 0
; VGPRBlocks: 0
; NumSGPRsForWavesPerEU: 1
; NumVGPRsForWavesPerEU: 1
; Occupancy: 16
; WaveLimiterHint : 0
; COMPUTE_PGM_RSRC2:SCRATCH_EN: 0
; COMPUTE_PGM_RSRC2:USER_SGPR: 2
; COMPUTE_PGM_RSRC2:TRAP_HANDLER: 0
; COMPUTE_PGM_RSRC2:TGID_X_EN: 1
; COMPUTE_PGM_RSRC2:TGID_Y_EN: 0
; COMPUTE_PGM_RSRC2:TGID_Z_EN: 0
; COMPUTE_PGM_RSRC2:TIDIG_COMP_CNT: 0
	.section	.text._ZN7rocprim17ROCPRIM_400000_NS6detail17trampoline_kernelINS0_14default_configENS1_36segmented_radix_sort_config_selectorIalEEZNS1_25segmented_radix_sort_implIS3_Lb0EPKaPaPKlPlN2at6native12_GLOBAL__N_18offset_tEEE10hipError_tPvRmT1_PNSt15iterator_traitsISK_E10value_typeET2_T3_PNSL_ISQ_E10value_typeET4_jRbjT5_SW_jjP12ihipStream_tbEUlT_E0_NS1_11comp_targetILNS1_3genE5ELNS1_11target_archE942ELNS1_3gpuE9ELNS1_3repE0EEENS1_60segmented_radix_sort_warp_sort_medium_config_static_selectorELNS0_4arch9wavefront6targetE0EEEvSK_,"axG",@progbits,_ZN7rocprim17ROCPRIM_400000_NS6detail17trampoline_kernelINS0_14default_configENS1_36segmented_radix_sort_config_selectorIalEEZNS1_25segmented_radix_sort_implIS3_Lb0EPKaPaPKlPlN2at6native12_GLOBAL__N_18offset_tEEE10hipError_tPvRmT1_PNSt15iterator_traitsISK_E10value_typeET2_T3_PNSL_ISQ_E10value_typeET4_jRbjT5_SW_jjP12ihipStream_tbEUlT_E0_NS1_11comp_targetILNS1_3genE5ELNS1_11target_archE942ELNS1_3gpuE9ELNS1_3repE0EEENS1_60segmented_radix_sort_warp_sort_medium_config_static_selectorELNS0_4arch9wavefront6targetE0EEEvSK_,comdat
	.globl	_ZN7rocprim17ROCPRIM_400000_NS6detail17trampoline_kernelINS0_14default_configENS1_36segmented_radix_sort_config_selectorIalEEZNS1_25segmented_radix_sort_implIS3_Lb0EPKaPaPKlPlN2at6native12_GLOBAL__N_18offset_tEEE10hipError_tPvRmT1_PNSt15iterator_traitsISK_E10value_typeET2_T3_PNSL_ISQ_E10value_typeET4_jRbjT5_SW_jjP12ihipStream_tbEUlT_E0_NS1_11comp_targetILNS1_3genE5ELNS1_11target_archE942ELNS1_3gpuE9ELNS1_3repE0EEENS1_60segmented_radix_sort_warp_sort_medium_config_static_selectorELNS0_4arch9wavefront6targetE0EEEvSK_ ; -- Begin function _ZN7rocprim17ROCPRIM_400000_NS6detail17trampoline_kernelINS0_14default_configENS1_36segmented_radix_sort_config_selectorIalEEZNS1_25segmented_radix_sort_implIS3_Lb0EPKaPaPKlPlN2at6native12_GLOBAL__N_18offset_tEEE10hipError_tPvRmT1_PNSt15iterator_traitsISK_E10value_typeET2_T3_PNSL_ISQ_E10value_typeET4_jRbjT5_SW_jjP12ihipStream_tbEUlT_E0_NS1_11comp_targetILNS1_3genE5ELNS1_11target_archE942ELNS1_3gpuE9ELNS1_3repE0EEENS1_60segmented_radix_sort_warp_sort_medium_config_static_selectorELNS0_4arch9wavefront6targetE0EEEvSK_
	.p2align	8
	.type	_ZN7rocprim17ROCPRIM_400000_NS6detail17trampoline_kernelINS0_14default_configENS1_36segmented_radix_sort_config_selectorIalEEZNS1_25segmented_radix_sort_implIS3_Lb0EPKaPaPKlPlN2at6native12_GLOBAL__N_18offset_tEEE10hipError_tPvRmT1_PNSt15iterator_traitsISK_E10value_typeET2_T3_PNSL_ISQ_E10value_typeET4_jRbjT5_SW_jjP12ihipStream_tbEUlT_E0_NS1_11comp_targetILNS1_3genE5ELNS1_11target_archE942ELNS1_3gpuE9ELNS1_3repE0EEENS1_60segmented_radix_sort_warp_sort_medium_config_static_selectorELNS0_4arch9wavefront6targetE0EEEvSK_,@function
_ZN7rocprim17ROCPRIM_400000_NS6detail17trampoline_kernelINS0_14default_configENS1_36segmented_radix_sort_config_selectorIalEEZNS1_25segmented_radix_sort_implIS3_Lb0EPKaPaPKlPlN2at6native12_GLOBAL__N_18offset_tEEE10hipError_tPvRmT1_PNSt15iterator_traitsISK_E10value_typeET2_T3_PNSL_ISQ_E10value_typeET4_jRbjT5_SW_jjP12ihipStream_tbEUlT_E0_NS1_11comp_targetILNS1_3genE5ELNS1_11target_archE942ELNS1_3gpuE9ELNS1_3repE0EEENS1_60segmented_radix_sort_warp_sort_medium_config_static_selectorELNS0_4arch9wavefront6targetE0EEEvSK_: ; @_ZN7rocprim17ROCPRIM_400000_NS6detail17trampoline_kernelINS0_14default_configENS1_36segmented_radix_sort_config_selectorIalEEZNS1_25segmented_radix_sort_implIS3_Lb0EPKaPaPKlPlN2at6native12_GLOBAL__N_18offset_tEEE10hipError_tPvRmT1_PNSt15iterator_traitsISK_E10value_typeET2_T3_PNSL_ISQ_E10value_typeET4_jRbjT5_SW_jjP12ihipStream_tbEUlT_E0_NS1_11comp_targetILNS1_3genE5ELNS1_11target_archE942ELNS1_3gpuE9ELNS1_3repE0EEENS1_60segmented_radix_sort_warp_sort_medium_config_static_selectorELNS0_4arch9wavefront6targetE0EEEvSK_
; %bb.0:
	.section	.rodata,"a",@progbits
	.p2align	6, 0x0
	.amdhsa_kernel _ZN7rocprim17ROCPRIM_400000_NS6detail17trampoline_kernelINS0_14default_configENS1_36segmented_radix_sort_config_selectorIalEEZNS1_25segmented_radix_sort_implIS3_Lb0EPKaPaPKlPlN2at6native12_GLOBAL__N_18offset_tEEE10hipError_tPvRmT1_PNSt15iterator_traitsISK_E10value_typeET2_T3_PNSL_ISQ_E10value_typeET4_jRbjT5_SW_jjP12ihipStream_tbEUlT_E0_NS1_11comp_targetILNS1_3genE5ELNS1_11target_archE942ELNS1_3gpuE9ELNS1_3repE0EEENS1_60segmented_radix_sort_warp_sort_medium_config_static_selectorELNS0_4arch9wavefront6targetE0EEEvSK_
		.amdhsa_group_segment_fixed_size 0
		.amdhsa_private_segment_fixed_size 0
		.amdhsa_kernarg_size 88
		.amdhsa_user_sgpr_count 2
		.amdhsa_user_sgpr_dispatch_ptr 0
		.amdhsa_user_sgpr_queue_ptr 0
		.amdhsa_user_sgpr_kernarg_segment_ptr 1
		.amdhsa_user_sgpr_dispatch_id 0
		.amdhsa_user_sgpr_private_segment_size 0
		.amdhsa_wavefront_size32 1
		.amdhsa_uses_dynamic_stack 0
		.amdhsa_enable_private_segment 0
		.amdhsa_system_sgpr_workgroup_id_x 1
		.amdhsa_system_sgpr_workgroup_id_y 0
		.amdhsa_system_sgpr_workgroup_id_z 0
		.amdhsa_system_sgpr_workgroup_info 0
		.amdhsa_system_vgpr_workitem_id 0
		.amdhsa_next_free_vgpr 1
		.amdhsa_next_free_sgpr 1
		.amdhsa_reserve_vcc 0
		.amdhsa_float_round_mode_32 0
		.amdhsa_float_round_mode_16_64 0
		.amdhsa_float_denorm_mode_32 3
		.amdhsa_float_denorm_mode_16_64 3
		.amdhsa_fp16_overflow 0
		.amdhsa_workgroup_processor_mode 1
		.amdhsa_memory_ordered 1
		.amdhsa_forward_progress 1
		.amdhsa_inst_pref_size 0
		.amdhsa_round_robin_scheduling 0
		.amdhsa_exception_fp_ieee_invalid_op 0
		.amdhsa_exception_fp_denorm_src 0
		.amdhsa_exception_fp_ieee_div_zero 0
		.amdhsa_exception_fp_ieee_overflow 0
		.amdhsa_exception_fp_ieee_underflow 0
		.amdhsa_exception_fp_ieee_inexact 0
		.amdhsa_exception_int_div_zero 0
	.end_amdhsa_kernel
	.section	.text._ZN7rocprim17ROCPRIM_400000_NS6detail17trampoline_kernelINS0_14default_configENS1_36segmented_radix_sort_config_selectorIalEEZNS1_25segmented_radix_sort_implIS3_Lb0EPKaPaPKlPlN2at6native12_GLOBAL__N_18offset_tEEE10hipError_tPvRmT1_PNSt15iterator_traitsISK_E10value_typeET2_T3_PNSL_ISQ_E10value_typeET4_jRbjT5_SW_jjP12ihipStream_tbEUlT_E0_NS1_11comp_targetILNS1_3genE5ELNS1_11target_archE942ELNS1_3gpuE9ELNS1_3repE0EEENS1_60segmented_radix_sort_warp_sort_medium_config_static_selectorELNS0_4arch9wavefront6targetE0EEEvSK_,"axG",@progbits,_ZN7rocprim17ROCPRIM_400000_NS6detail17trampoline_kernelINS0_14default_configENS1_36segmented_radix_sort_config_selectorIalEEZNS1_25segmented_radix_sort_implIS3_Lb0EPKaPaPKlPlN2at6native12_GLOBAL__N_18offset_tEEE10hipError_tPvRmT1_PNSt15iterator_traitsISK_E10value_typeET2_T3_PNSL_ISQ_E10value_typeET4_jRbjT5_SW_jjP12ihipStream_tbEUlT_E0_NS1_11comp_targetILNS1_3genE5ELNS1_11target_archE942ELNS1_3gpuE9ELNS1_3repE0EEENS1_60segmented_radix_sort_warp_sort_medium_config_static_selectorELNS0_4arch9wavefront6targetE0EEEvSK_,comdat
.Lfunc_end404:
	.size	_ZN7rocprim17ROCPRIM_400000_NS6detail17trampoline_kernelINS0_14default_configENS1_36segmented_radix_sort_config_selectorIalEEZNS1_25segmented_radix_sort_implIS3_Lb0EPKaPaPKlPlN2at6native12_GLOBAL__N_18offset_tEEE10hipError_tPvRmT1_PNSt15iterator_traitsISK_E10value_typeET2_T3_PNSL_ISQ_E10value_typeET4_jRbjT5_SW_jjP12ihipStream_tbEUlT_E0_NS1_11comp_targetILNS1_3genE5ELNS1_11target_archE942ELNS1_3gpuE9ELNS1_3repE0EEENS1_60segmented_radix_sort_warp_sort_medium_config_static_selectorELNS0_4arch9wavefront6targetE0EEEvSK_, .Lfunc_end404-_ZN7rocprim17ROCPRIM_400000_NS6detail17trampoline_kernelINS0_14default_configENS1_36segmented_radix_sort_config_selectorIalEEZNS1_25segmented_radix_sort_implIS3_Lb0EPKaPaPKlPlN2at6native12_GLOBAL__N_18offset_tEEE10hipError_tPvRmT1_PNSt15iterator_traitsISK_E10value_typeET2_T3_PNSL_ISQ_E10value_typeET4_jRbjT5_SW_jjP12ihipStream_tbEUlT_E0_NS1_11comp_targetILNS1_3genE5ELNS1_11target_archE942ELNS1_3gpuE9ELNS1_3repE0EEENS1_60segmented_radix_sort_warp_sort_medium_config_static_selectorELNS0_4arch9wavefront6targetE0EEEvSK_
                                        ; -- End function
	.set _ZN7rocprim17ROCPRIM_400000_NS6detail17trampoline_kernelINS0_14default_configENS1_36segmented_radix_sort_config_selectorIalEEZNS1_25segmented_radix_sort_implIS3_Lb0EPKaPaPKlPlN2at6native12_GLOBAL__N_18offset_tEEE10hipError_tPvRmT1_PNSt15iterator_traitsISK_E10value_typeET2_T3_PNSL_ISQ_E10value_typeET4_jRbjT5_SW_jjP12ihipStream_tbEUlT_E0_NS1_11comp_targetILNS1_3genE5ELNS1_11target_archE942ELNS1_3gpuE9ELNS1_3repE0EEENS1_60segmented_radix_sort_warp_sort_medium_config_static_selectorELNS0_4arch9wavefront6targetE0EEEvSK_.num_vgpr, 0
	.set _ZN7rocprim17ROCPRIM_400000_NS6detail17trampoline_kernelINS0_14default_configENS1_36segmented_radix_sort_config_selectorIalEEZNS1_25segmented_radix_sort_implIS3_Lb0EPKaPaPKlPlN2at6native12_GLOBAL__N_18offset_tEEE10hipError_tPvRmT1_PNSt15iterator_traitsISK_E10value_typeET2_T3_PNSL_ISQ_E10value_typeET4_jRbjT5_SW_jjP12ihipStream_tbEUlT_E0_NS1_11comp_targetILNS1_3genE5ELNS1_11target_archE942ELNS1_3gpuE9ELNS1_3repE0EEENS1_60segmented_radix_sort_warp_sort_medium_config_static_selectorELNS0_4arch9wavefront6targetE0EEEvSK_.num_agpr, 0
	.set _ZN7rocprim17ROCPRIM_400000_NS6detail17trampoline_kernelINS0_14default_configENS1_36segmented_radix_sort_config_selectorIalEEZNS1_25segmented_radix_sort_implIS3_Lb0EPKaPaPKlPlN2at6native12_GLOBAL__N_18offset_tEEE10hipError_tPvRmT1_PNSt15iterator_traitsISK_E10value_typeET2_T3_PNSL_ISQ_E10value_typeET4_jRbjT5_SW_jjP12ihipStream_tbEUlT_E0_NS1_11comp_targetILNS1_3genE5ELNS1_11target_archE942ELNS1_3gpuE9ELNS1_3repE0EEENS1_60segmented_radix_sort_warp_sort_medium_config_static_selectorELNS0_4arch9wavefront6targetE0EEEvSK_.numbered_sgpr, 0
	.set _ZN7rocprim17ROCPRIM_400000_NS6detail17trampoline_kernelINS0_14default_configENS1_36segmented_radix_sort_config_selectorIalEEZNS1_25segmented_radix_sort_implIS3_Lb0EPKaPaPKlPlN2at6native12_GLOBAL__N_18offset_tEEE10hipError_tPvRmT1_PNSt15iterator_traitsISK_E10value_typeET2_T3_PNSL_ISQ_E10value_typeET4_jRbjT5_SW_jjP12ihipStream_tbEUlT_E0_NS1_11comp_targetILNS1_3genE5ELNS1_11target_archE942ELNS1_3gpuE9ELNS1_3repE0EEENS1_60segmented_radix_sort_warp_sort_medium_config_static_selectorELNS0_4arch9wavefront6targetE0EEEvSK_.num_named_barrier, 0
	.set _ZN7rocprim17ROCPRIM_400000_NS6detail17trampoline_kernelINS0_14default_configENS1_36segmented_radix_sort_config_selectorIalEEZNS1_25segmented_radix_sort_implIS3_Lb0EPKaPaPKlPlN2at6native12_GLOBAL__N_18offset_tEEE10hipError_tPvRmT1_PNSt15iterator_traitsISK_E10value_typeET2_T3_PNSL_ISQ_E10value_typeET4_jRbjT5_SW_jjP12ihipStream_tbEUlT_E0_NS1_11comp_targetILNS1_3genE5ELNS1_11target_archE942ELNS1_3gpuE9ELNS1_3repE0EEENS1_60segmented_radix_sort_warp_sort_medium_config_static_selectorELNS0_4arch9wavefront6targetE0EEEvSK_.private_seg_size, 0
	.set _ZN7rocprim17ROCPRIM_400000_NS6detail17trampoline_kernelINS0_14default_configENS1_36segmented_radix_sort_config_selectorIalEEZNS1_25segmented_radix_sort_implIS3_Lb0EPKaPaPKlPlN2at6native12_GLOBAL__N_18offset_tEEE10hipError_tPvRmT1_PNSt15iterator_traitsISK_E10value_typeET2_T3_PNSL_ISQ_E10value_typeET4_jRbjT5_SW_jjP12ihipStream_tbEUlT_E0_NS1_11comp_targetILNS1_3genE5ELNS1_11target_archE942ELNS1_3gpuE9ELNS1_3repE0EEENS1_60segmented_radix_sort_warp_sort_medium_config_static_selectorELNS0_4arch9wavefront6targetE0EEEvSK_.uses_vcc, 0
	.set _ZN7rocprim17ROCPRIM_400000_NS6detail17trampoline_kernelINS0_14default_configENS1_36segmented_radix_sort_config_selectorIalEEZNS1_25segmented_radix_sort_implIS3_Lb0EPKaPaPKlPlN2at6native12_GLOBAL__N_18offset_tEEE10hipError_tPvRmT1_PNSt15iterator_traitsISK_E10value_typeET2_T3_PNSL_ISQ_E10value_typeET4_jRbjT5_SW_jjP12ihipStream_tbEUlT_E0_NS1_11comp_targetILNS1_3genE5ELNS1_11target_archE942ELNS1_3gpuE9ELNS1_3repE0EEENS1_60segmented_radix_sort_warp_sort_medium_config_static_selectorELNS0_4arch9wavefront6targetE0EEEvSK_.uses_flat_scratch, 0
	.set _ZN7rocprim17ROCPRIM_400000_NS6detail17trampoline_kernelINS0_14default_configENS1_36segmented_radix_sort_config_selectorIalEEZNS1_25segmented_radix_sort_implIS3_Lb0EPKaPaPKlPlN2at6native12_GLOBAL__N_18offset_tEEE10hipError_tPvRmT1_PNSt15iterator_traitsISK_E10value_typeET2_T3_PNSL_ISQ_E10value_typeET4_jRbjT5_SW_jjP12ihipStream_tbEUlT_E0_NS1_11comp_targetILNS1_3genE5ELNS1_11target_archE942ELNS1_3gpuE9ELNS1_3repE0EEENS1_60segmented_radix_sort_warp_sort_medium_config_static_selectorELNS0_4arch9wavefront6targetE0EEEvSK_.has_dyn_sized_stack, 0
	.set _ZN7rocprim17ROCPRIM_400000_NS6detail17trampoline_kernelINS0_14default_configENS1_36segmented_radix_sort_config_selectorIalEEZNS1_25segmented_radix_sort_implIS3_Lb0EPKaPaPKlPlN2at6native12_GLOBAL__N_18offset_tEEE10hipError_tPvRmT1_PNSt15iterator_traitsISK_E10value_typeET2_T3_PNSL_ISQ_E10value_typeET4_jRbjT5_SW_jjP12ihipStream_tbEUlT_E0_NS1_11comp_targetILNS1_3genE5ELNS1_11target_archE942ELNS1_3gpuE9ELNS1_3repE0EEENS1_60segmented_radix_sort_warp_sort_medium_config_static_selectorELNS0_4arch9wavefront6targetE0EEEvSK_.has_recursion, 0
	.set _ZN7rocprim17ROCPRIM_400000_NS6detail17trampoline_kernelINS0_14default_configENS1_36segmented_radix_sort_config_selectorIalEEZNS1_25segmented_radix_sort_implIS3_Lb0EPKaPaPKlPlN2at6native12_GLOBAL__N_18offset_tEEE10hipError_tPvRmT1_PNSt15iterator_traitsISK_E10value_typeET2_T3_PNSL_ISQ_E10value_typeET4_jRbjT5_SW_jjP12ihipStream_tbEUlT_E0_NS1_11comp_targetILNS1_3genE5ELNS1_11target_archE942ELNS1_3gpuE9ELNS1_3repE0EEENS1_60segmented_radix_sort_warp_sort_medium_config_static_selectorELNS0_4arch9wavefront6targetE0EEEvSK_.has_indirect_call, 0
	.section	.AMDGPU.csdata,"",@progbits
; Kernel info:
; codeLenInByte = 0
; TotalNumSgprs: 0
; NumVgprs: 0
; ScratchSize: 0
; MemoryBound: 0
; FloatMode: 240
; IeeeMode: 1
; LDSByteSize: 0 bytes/workgroup (compile time only)
; SGPRBlocks: 0
; VGPRBlocks: 0
; NumSGPRsForWavesPerEU: 1
; NumVGPRsForWavesPerEU: 1
; Occupancy: 16
; WaveLimiterHint : 0
; COMPUTE_PGM_RSRC2:SCRATCH_EN: 0
; COMPUTE_PGM_RSRC2:USER_SGPR: 2
; COMPUTE_PGM_RSRC2:TRAP_HANDLER: 0
; COMPUTE_PGM_RSRC2:TGID_X_EN: 1
; COMPUTE_PGM_RSRC2:TGID_Y_EN: 0
; COMPUTE_PGM_RSRC2:TGID_Z_EN: 0
; COMPUTE_PGM_RSRC2:TIDIG_COMP_CNT: 0
	.section	.text._ZN7rocprim17ROCPRIM_400000_NS6detail17trampoline_kernelINS0_14default_configENS1_36segmented_radix_sort_config_selectorIalEEZNS1_25segmented_radix_sort_implIS3_Lb0EPKaPaPKlPlN2at6native12_GLOBAL__N_18offset_tEEE10hipError_tPvRmT1_PNSt15iterator_traitsISK_E10value_typeET2_T3_PNSL_ISQ_E10value_typeET4_jRbjT5_SW_jjP12ihipStream_tbEUlT_E0_NS1_11comp_targetILNS1_3genE4ELNS1_11target_archE910ELNS1_3gpuE8ELNS1_3repE0EEENS1_60segmented_radix_sort_warp_sort_medium_config_static_selectorELNS0_4arch9wavefront6targetE0EEEvSK_,"axG",@progbits,_ZN7rocprim17ROCPRIM_400000_NS6detail17trampoline_kernelINS0_14default_configENS1_36segmented_radix_sort_config_selectorIalEEZNS1_25segmented_radix_sort_implIS3_Lb0EPKaPaPKlPlN2at6native12_GLOBAL__N_18offset_tEEE10hipError_tPvRmT1_PNSt15iterator_traitsISK_E10value_typeET2_T3_PNSL_ISQ_E10value_typeET4_jRbjT5_SW_jjP12ihipStream_tbEUlT_E0_NS1_11comp_targetILNS1_3genE4ELNS1_11target_archE910ELNS1_3gpuE8ELNS1_3repE0EEENS1_60segmented_radix_sort_warp_sort_medium_config_static_selectorELNS0_4arch9wavefront6targetE0EEEvSK_,comdat
	.globl	_ZN7rocprim17ROCPRIM_400000_NS6detail17trampoline_kernelINS0_14default_configENS1_36segmented_radix_sort_config_selectorIalEEZNS1_25segmented_radix_sort_implIS3_Lb0EPKaPaPKlPlN2at6native12_GLOBAL__N_18offset_tEEE10hipError_tPvRmT1_PNSt15iterator_traitsISK_E10value_typeET2_T3_PNSL_ISQ_E10value_typeET4_jRbjT5_SW_jjP12ihipStream_tbEUlT_E0_NS1_11comp_targetILNS1_3genE4ELNS1_11target_archE910ELNS1_3gpuE8ELNS1_3repE0EEENS1_60segmented_radix_sort_warp_sort_medium_config_static_selectorELNS0_4arch9wavefront6targetE0EEEvSK_ ; -- Begin function _ZN7rocprim17ROCPRIM_400000_NS6detail17trampoline_kernelINS0_14default_configENS1_36segmented_radix_sort_config_selectorIalEEZNS1_25segmented_radix_sort_implIS3_Lb0EPKaPaPKlPlN2at6native12_GLOBAL__N_18offset_tEEE10hipError_tPvRmT1_PNSt15iterator_traitsISK_E10value_typeET2_T3_PNSL_ISQ_E10value_typeET4_jRbjT5_SW_jjP12ihipStream_tbEUlT_E0_NS1_11comp_targetILNS1_3genE4ELNS1_11target_archE910ELNS1_3gpuE8ELNS1_3repE0EEENS1_60segmented_radix_sort_warp_sort_medium_config_static_selectorELNS0_4arch9wavefront6targetE0EEEvSK_
	.p2align	8
	.type	_ZN7rocprim17ROCPRIM_400000_NS6detail17trampoline_kernelINS0_14default_configENS1_36segmented_radix_sort_config_selectorIalEEZNS1_25segmented_radix_sort_implIS3_Lb0EPKaPaPKlPlN2at6native12_GLOBAL__N_18offset_tEEE10hipError_tPvRmT1_PNSt15iterator_traitsISK_E10value_typeET2_T3_PNSL_ISQ_E10value_typeET4_jRbjT5_SW_jjP12ihipStream_tbEUlT_E0_NS1_11comp_targetILNS1_3genE4ELNS1_11target_archE910ELNS1_3gpuE8ELNS1_3repE0EEENS1_60segmented_radix_sort_warp_sort_medium_config_static_selectorELNS0_4arch9wavefront6targetE0EEEvSK_,@function
_ZN7rocprim17ROCPRIM_400000_NS6detail17trampoline_kernelINS0_14default_configENS1_36segmented_radix_sort_config_selectorIalEEZNS1_25segmented_radix_sort_implIS3_Lb0EPKaPaPKlPlN2at6native12_GLOBAL__N_18offset_tEEE10hipError_tPvRmT1_PNSt15iterator_traitsISK_E10value_typeET2_T3_PNSL_ISQ_E10value_typeET4_jRbjT5_SW_jjP12ihipStream_tbEUlT_E0_NS1_11comp_targetILNS1_3genE4ELNS1_11target_archE910ELNS1_3gpuE8ELNS1_3repE0EEENS1_60segmented_radix_sort_warp_sort_medium_config_static_selectorELNS0_4arch9wavefront6targetE0EEEvSK_: ; @_ZN7rocprim17ROCPRIM_400000_NS6detail17trampoline_kernelINS0_14default_configENS1_36segmented_radix_sort_config_selectorIalEEZNS1_25segmented_radix_sort_implIS3_Lb0EPKaPaPKlPlN2at6native12_GLOBAL__N_18offset_tEEE10hipError_tPvRmT1_PNSt15iterator_traitsISK_E10value_typeET2_T3_PNSL_ISQ_E10value_typeET4_jRbjT5_SW_jjP12ihipStream_tbEUlT_E0_NS1_11comp_targetILNS1_3genE4ELNS1_11target_archE910ELNS1_3gpuE8ELNS1_3repE0EEENS1_60segmented_radix_sort_warp_sort_medium_config_static_selectorELNS0_4arch9wavefront6targetE0EEEvSK_
; %bb.0:
	.section	.rodata,"a",@progbits
	.p2align	6, 0x0
	.amdhsa_kernel _ZN7rocprim17ROCPRIM_400000_NS6detail17trampoline_kernelINS0_14default_configENS1_36segmented_radix_sort_config_selectorIalEEZNS1_25segmented_radix_sort_implIS3_Lb0EPKaPaPKlPlN2at6native12_GLOBAL__N_18offset_tEEE10hipError_tPvRmT1_PNSt15iterator_traitsISK_E10value_typeET2_T3_PNSL_ISQ_E10value_typeET4_jRbjT5_SW_jjP12ihipStream_tbEUlT_E0_NS1_11comp_targetILNS1_3genE4ELNS1_11target_archE910ELNS1_3gpuE8ELNS1_3repE0EEENS1_60segmented_radix_sort_warp_sort_medium_config_static_selectorELNS0_4arch9wavefront6targetE0EEEvSK_
		.amdhsa_group_segment_fixed_size 0
		.amdhsa_private_segment_fixed_size 0
		.amdhsa_kernarg_size 88
		.amdhsa_user_sgpr_count 2
		.amdhsa_user_sgpr_dispatch_ptr 0
		.amdhsa_user_sgpr_queue_ptr 0
		.amdhsa_user_sgpr_kernarg_segment_ptr 1
		.amdhsa_user_sgpr_dispatch_id 0
		.amdhsa_user_sgpr_private_segment_size 0
		.amdhsa_wavefront_size32 1
		.amdhsa_uses_dynamic_stack 0
		.amdhsa_enable_private_segment 0
		.amdhsa_system_sgpr_workgroup_id_x 1
		.amdhsa_system_sgpr_workgroup_id_y 0
		.amdhsa_system_sgpr_workgroup_id_z 0
		.amdhsa_system_sgpr_workgroup_info 0
		.amdhsa_system_vgpr_workitem_id 0
		.amdhsa_next_free_vgpr 1
		.amdhsa_next_free_sgpr 1
		.amdhsa_reserve_vcc 0
		.amdhsa_float_round_mode_32 0
		.amdhsa_float_round_mode_16_64 0
		.amdhsa_float_denorm_mode_32 3
		.amdhsa_float_denorm_mode_16_64 3
		.amdhsa_fp16_overflow 0
		.amdhsa_workgroup_processor_mode 1
		.amdhsa_memory_ordered 1
		.amdhsa_forward_progress 1
		.amdhsa_inst_pref_size 0
		.amdhsa_round_robin_scheduling 0
		.amdhsa_exception_fp_ieee_invalid_op 0
		.amdhsa_exception_fp_denorm_src 0
		.amdhsa_exception_fp_ieee_div_zero 0
		.amdhsa_exception_fp_ieee_overflow 0
		.amdhsa_exception_fp_ieee_underflow 0
		.amdhsa_exception_fp_ieee_inexact 0
		.amdhsa_exception_int_div_zero 0
	.end_amdhsa_kernel
	.section	.text._ZN7rocprim17ROCPRIM_400000_NS6detail17trampoline_kernelINS0_14default_configENS1_36segmented_radix_sort_config_selectorIalEEZNS1_25segmented_radix_sort_implIS3_Lb0EPKaPaPKlPlN2at6native12_GLOBAL__N_18offset_tEEE10hipError_tPvRmT1_PNSt15iterator_traitsISK_E10value_typeET2_T3_PNSL_ISQ_E10value_typeET4_jRbjT5_SW_jjP12ihipStream_tbEUlT_E0_NS1_11comp_targetILNS1_3genE4ELNS1_11target_archE910ELNS1_3gpuE8ELNS1_3repE0EEENS1_60segmented_radix_sort_warp_sort_medium_config_static_selectorELNS0_4arch9wavefront6targetE0EEEvSK_,"axG",@progbits,_ZN7rocprim17ROCPRIM_400000_NS6detail17trampoline_kernelINS0_14default_configENS1_36segmented_radix_sort_config_selectorIalEEZNS1_25segmented_radix_sort_implIS3_Lb0EPKaPaPKlPlN2at6native12_GLOBAL__N_18offset_tEEE10hipError_tPvRmT1_PNSt15iterator_traitsISK_E10value_typeET2_T3_PNSL_ISQ_E10value_typeET4_jRbjT5_SW_jjP12ihipStream_tbEUlT_E0_NS1_11comp_targetILNS1_3genE4ELNS1_11target_archE910ELNS1_3gpuE8ELNS1_3repE0EEENS1_60segmented_radix_sort_warp_sort_medium_config_static_selectorELNS0_4arch9wavefront6targetE0EEEvSK_,comdat
.Lfunc_end405:
	.size	_ZN7rocprim17ROCPRIM_400000_NS6detail17trampoline_kernelINS0_14default_configENS1_36segmented_radix_sort_config_selectorIalEEZNS1_25segmented_radix_sort_implIS3_Lb0EPKaPaPKlPlN2at6native12_GLOBAL__N_18offset_tEEE10hipError_tPvRmT1_PNSt15iterator_traitsISK_E10value_typeET2_T3_PNSL_ISQ_E10value_typeET4_jRbjT5_SW_jjP12ihipStream_tbEUlT_E0_NS1_11comp_targetILNS1_3genE4ELNS1_11target_archE910ELNS1_3gpuE8ELNS1_3repE0EEENS1_60segmented_radix_sort_warp_sort_medium_config_static_selectorELNS0_4arch9wavefront6targetE0EEEvSK_, .Lfunc_end405-_ZN7rocprim17ROCPRIM_400000_NS6detail17trampoline_kernelINS0_14default_configENS1_36segmented_radix_sort_config_selectorIalEEZNS1_25segmented_radix_sort_implIS3_Lb0EPKaPaPKlPlN2at6native12_GLOBAL__N_18offset_tEEE10hipError_tPvRmT1_PNSt15iterator_traitsISK_E10value_typeET2_T3_PNSL_ISQ_E10value_typeET4_jRbjT5_SW_jjP12ihipStream_tbEUlT_E0_NS1_11comp_targetILNS1_3genE4ELNS1_11target_archE910ELNS1_3gpuE8ELNS1_3repE0EEENS1_60segmented_radix_sort_warp_sort_medium_config_static_selectorELNS0_4arch9wavefront6targetE0EEEvSK_
                                        ; -- End function
	.set _ZN7rocprim17ROCPRIM_400000_NS6detail17trampoline_kernelINS0_14default_configENS1_36segmented_radix_sort_config_selectorIalEEZNS1_25segmented_radix_sort_implIS3_Lb0EPKaPaPKlPlN2at6native12_GLOBAL__N_18offset_tEEE10hipError_tPvRmT1_PNSt15iterator_traitsISK_E10value_typeET2_T3_PNSL_ISQ_E10value_typeET4_jRbjT5_SW_jjP12ihipStream_tbEUlT_E0_NS1_11comp_targetILNS1_3genE4ELNS1_11target_archE910ELNS1_3gpuE8ELNS1_3repE0EEENS1_60segmented_radix_sort_warp_sort_medium_config_static_selectorELNS0_4arch9wavefront6targetE0EEEvSK_.num_vgpr, 0
	.set _ZN7rocprim17ROCPRIM_400000_NS6detail17trampoline_kernelINS0_14default_configENS1_36segmented_radix_sort_config_selectorIalEEZNS1_25segmented_radix_sort_implIS3_Lb0EPKaPaPKlPlN2at6native12_GLOBAL__N_18offset_tEEE10hipError_tPvRmT1_PNSt15iterator_traitsISK_E10value_typeET2_T3_PNSL_ISQ_E10value_typeET4_jRbjT5_SW_jjP12ihipStream_tbEUlT_E0_NS1_11comp_targetILNS1_3genE4ELNS1_11target_archE910ELNS1_3gpuE8ELNS1_3repE0EEENS1_60segmented_radix_sort_warp_sort_medium_config_static_selectorELNS0_4arch9wavefront6targetE0EEEvSK_.num_agpr, 0
	.set _ZN7rocprim17ROCPRIM_400000_NS6detail17trampoline_kernelINS0_14default_configENS1_36segmented_radix_sort_config_selectorIalEEZNS1_25segmented_radix_sort_implIS3_Lb0EPKaPaPKlPlN2at6native12_GLOBAL__N_18offset_tEEE10hipError_tPvRmT1_PNSt15iterator_traitsISK_E10value_typeET2_T3_PNSL_ISQ_E10value_typeET4_jRbjT5_SW_jjP12ihipStream_tbEUlT_E0_NS1_11comp_targetILNS1_3genE4ELNS1_11target_archE910ELNS1_3gpuE8ELNS1_3repE0EEENS1_60segmented_radix_sort_warp_sort_medium_config_static_selectorELNS0_4arch9wavefront6targetE0EEEvSK_.numbered_sgpr, 0
	.set _ZN7rocprim17ROCPRIM_400000_NS6detail17trampoline_kernelINS0_14default_configENS1_36segmented_radix_sort_config_selectorIalEEZNS1_25segmented_radix_sort_implIS3_Lb0EPKaPaPKlPlN2at6native12_GLOBAL__N_18offset_tEEE10hipError_tPvRmT1_PNSt15iterator_traitsISK_E10value_typeET2_T3_PNSL_ISQ_E10value_typeET4_jRbjT5_SW_jjP12ihipStream_tbEUlT_E0_NS1_11comp_targetILNS1_3genE4ELNS1_11target_archE910ELNS1_3gpuE8ELNS1_3repE0EEENS1_60segmented_radix_sort_warp_sort_medium_config_static_selectorELNS0_4arch9wavefront6targetE0EEEvSK_.num_named_barrier, 0
	.set _ZN7rocprim17ROCPRIM_400000_NS6detail17trampoline_kernelINS0_14default_configENS1_36segmented_radix_sort_config_selectorIalEEZNS1_25segmented_radix_sort_implIS3_Lb0EPKaPaPKlPlN2at6native12_GLOBAL__N_18offset_tEEE10hipError_tPvRmT1_PNSt15iterator_traitsISK_E10value_typeET2_T3_PNSL_ISQ_E10value_typeET4_jRbjT5_SW_jjP12ihipStream_tbEUlT_E0_NS1_11comp_targetILNS1_3genE4ELNS1_11target_archE910ELNS1_3gpuE8ELNS1_3repE0EEENS1_60segmented_radix_sort_warp_sort_medium_config_static_selectorELNS0_4arch9wavefront6targetE0EEEvSK_.private_seg_size, 0
	.set _ZN7rocprim17ROCPRIM_400000_NS6detail17trampoline_kernelINS0_14default_configENS1_36segmented_radix_sort_config_selectorIalEEZNS1_25segmented_radix_sort_implIS3_Lb0EPKaPaPKlPlN2at6native12_GLOBAL__N_18offset_tEEE10hipError_tPvRmT1_PNSt15iterator_traitsISK_E10value_typeET2_T3_PNSL_ISQ_E10value_typeET4_jRbjT5_SW_jjP12ihipStream_tbEUlT_E0_NS1_11comp_targetILNS1_3genE4ELNS1_11target_archE910ELNS1_3gpuE8ELNS1_3repE0EEENS1_60segmented_radix_sort_warp_sort_medium_config_static_selectorELNS0_4arch9wavefront6targetE0EEEvSK_.uses_vcc, 0
	.set _ZN7rocprim17ROCPRIM_400000_NS6detail17trampoline_kernelINS0_14default_configENS1_36segmented_radix_sort_config_selectorIalEEZNS1_25segmented_radix_sort_implIS3_Lb0EPKaPaPKlPlN2at6native12_GLOBAL__N_18offset_tEEE10hipError_tPvRmT1_PNSt15iterator_traitsISK_E10value_typeET2_T3_PNSL_ISQ_E10value_typeET4_jRbjT5_SW_jjP12ihipStream_tbEUlT_E0_NS1_11comp_targetILNS1_3genE4ELNS1_11target_archE910ELNS1_3gpuE8ELNS1_3repE0EEENS1_60segmented_radix_sort_warp_sort_medium_config_static_selectorELNS0_4arch9wavefront6targetE0EEEvSK_.uses_flat_scratch, 0
	.set _ZN7rocprim17ROCPRIM_400000_NS6detail17trampoline_kernelINS0_14default_configENS1_36segmented_radix_sort_config_selectorIalEEZNS1_25segmented_radix_sort_implIS3_Lb0EPKaPaPKlPlN2at6native12_GLOBAL__N_18offset_tEEE10hipError_tPvRmT1_PNSt15iterator_traitsISK_E10value_typeET2_T3_PNSL_ISQ_E10value_typeET4_jRbjT5_SW_jjP12ihipStream_tbEUlT_E0_NS1_11comp_targetILNS1_3genE4ELNS1_11target_archE910ELNS1_3gpuE8ELNS1_3repE0EEENS1_60segmented_radix_sort_warp_sort_medium_config_static_selectorELNS0_4arch9wavefront6targetE0EEEvSK_.has_dyn_sized_stack, 0
	.set _ZN7rocprim17ROCPRIM_400000_NS6detail17trampoline_kernelINS0_14default_configENS1_36segmented_radix_sort_config_selectorIalEEZNS1_25segmented_radix_sort_implIS3_Lb0EPKaPaPKlPlN2at6native12_GLOBAL__N_18offset_tEEE10hipError_tPvRmT1_PNSt15iterator_traitsISK_E10value_typeET2_T3_PNSL_ISQ_E10value_typeET4_jRbjT5_SW_jjP12ihipStream_tbEUlT_E0_NS1_11comp_targetILNS1_3genE4ELNS1_11target_archE910ELNS1_3gpuE8ELNS1_3repE0EEENS1_60segmented_radix_sort_warp_sort_medium_config_static_selectorELNS0_4arch9wavefront6targetE0EEEvSK_.has_recursion, 0
	.set _ZN7rocprim17ROCPRIM_400000_NS6detail17trampoline_kernelINS0_14default_configENS1_36segmented_radix_sort_config_selectorIalEEZNS1_25segmented_radix_sort_implIS3_Lb0EPKaPaPKlPlN2at6native12_GLOBAL__N_18offset_tEEE10hipError_tPvRmT1_PNSt15iterator_traitsISK_E10value_typeET2_T3_PNSL_ISQ_E10value_typeET4_jRbjT5_SW_jjP12ihipStream_tbEUlT_E0_NS1_11comp_targetILNS1_3genE4ELNS1_11target_archE910ELNS1_3gpuE8ELNS1_3repE0EEENS1_60segmented_radix_sort_warp_sort_medium_config_static_selectorELNS0_4arch9wavefront6targetE0EEEvSK_.has_indirect_call, 0
	.section	.AMDGPU.csdata,"",@progbits
; Kernel info:
; codeLenInByte = 0
; TotalNumSgprs: 0
; NumVgprs: 0
; ScratchSize: 0
; MemoryBound: 0
; FloatMode: 240
; IeeeMode: 1
; LDSByteSize: 0 bytes/workgroup (compile time only)
; SGPRBlocks: 0
; VGPRBlocks: 0
; NumSGPRsForWavesPerEU: 1
; NumVGPRsForWavesPerEU: 1
; Occupancy: 16
; WaveLimiterHint : 0
; COMPUTE_PGM_RSRC2:SCRATCH_EN: 0
; COMPUTE_PGM_RSRC2:USER_SGPR: 2
; COMPUTE_PGM_RSRC2:TRAP_HANDLER: 0
; COMPUTE_PGM_RSRC2:TGID_X_EN: 1
; COMPUTE_PGM_RSRC2:TGID_Y_EN: 0
; COMPUTE_PGM_RSRC2:TGID_Z_EN: 0
; COMPUTE_PGM_RSRC2:TIDIG_COMP_CNT: 0
	.section	.text._ZN7rocprim17ROCPRIM_400000_NS6detail17trampoline_kernelINS0_14default_configENS1_36segmented_radix_sort_config_selectorIalEEZNS1_25segmented_radix_sort_implIS3_Lb0EPKaPaPKlPlN2at6native12_GLOBAL__N_18offset_tEEE10hipError_tPvRmT1_PNSt15iterator_traitsISK_E10value_typeET2_T3_PNSL_ISQ_E10value_typeET4_jRbjT5_SW_jjP12ihipStream_tbEUlT_E0_NS1_11comp_targetILNS1_3genE3ELNS1_11target_archE908ELNS1_3gpuE7ELNS1_3repE0EEENS1_60segmented_radix_sort_warp_sort_medium_config_static_selectorELNS0_4arch9wavefront6targetE0EEEvSK_,"axG",@progbits,_ZN7rocprim17ROCPRIM_400000_NS6detail17trampoline_kernelINS0_14default_configENS1_36segmented_radix_sort_config_selectorIalEEZNS1_25segmented_radix_sort_implIS3_Lb0EPKaPaPKlPlN2at6native12_GLOBAL__N_18offset_tEEE10hipError_tPvRmT1_PNSt15iterator_traitsISK_E10value_typeET2_T3_PNSL_ISQ_E10value_typeET4_jRbjT5_SW_jjP12ihipStream_tbEUlT_E0_NS1_11comp_targetILNS1_3genE3ELNS1_11target_archE908ELNS1_3gpuE7ELNS1_3repE0EEENS1_60segmented_radix_sort_warp_sort_medium_config_static_selectorELNS0_4arch9wavefront6targetE0EEEvSK_,comdat
	.globl	_ZN7rocprim17ROCPRIM_400000_NS6detail17trampoline_kernelINS0_14default_configENS1_36segmented_radix_sort_config_selectorIalEEZNS1_25segmented_radix_sort_implIS3_Lb0EPKaPaPKlPlN2at6native12_GLOBAL__N_18offset_tEEE10hipError_tPvRmT1_PNSt15iterator_traitsISK_E10value_typeET2_T3_PNSL_ISQ_E10value_typeET4_jRbjT5_SW_jjP12ihipStream_tbEUlT_E0_NS1_11comp_targetILNS1_3genE3ELNS1_11target_archE908ELNS1_3gpuE7ELNS1_3repE0EEENS1_60segmented_radix_sort_warp_sort_medium_config_static_selectorELNS0_4arch9wavefront6targetE0EEEvSK_ ; -- Begin function _ZN7rocprim17ROCPRIM_400000_NS6detail17trampoline_kernelINS0_14default_configENS1_36segmented_radix_sort_config_selectorIalEEZNS1_25segmented_radix_sort_implIS3_Lb0EPKaPaPKlPlN2at6native12_GLOBAL__N_18offset_tEEE10hipError_tPvRmT1_PNSt15iterator_traitsISK_E10value_typeET2_T3_PNSL_ISQ_E10value_typeET4_jRbjT5_SW_jjP12ihipStream_tbEUlT_E0_NS1_11comp_targetILNS1_3genE3ELNS1_11target_archE908ELNS1_3gpuE7ELNS1_3repE0EEENS1_60segmented_radix_sort_warp_sort_medium_config_static_selectorELNS0_4arch9wavefront6targetE0EEEvSK_
	.p2align	8
	.type	_ZN7rocprim17ROCPRIM_400000_NS6detail17trampoline_kernelINS0_14default_configENS1_36segmented_radix_sort_config_selectorIalEEZNS1_25segmented_radix_sort_implIS3_Lb0EPKaPaPKlPlN2at6native12_GLOBAL__N_18offset_tEEE10hipError_tPvRmT1_PNSt15iterator_traitsISK_E10value_typeET2_T3_PNSL_ISQ_E10value_typeET4_jRbjT5_SW_jjP12ihipStream_tbEUlT_E0_NS1_11comp_targetILNS1_3genE3ELNS1_11target_archE908ELNS1_3gpuE7ELNS1_3repE0EEENS1_60segmented_radix_sort_warp_sort_medium_config_static_selectorELNS0_4arch9wavefront6targetE0EEEvSK_,@function
_ZN7rocprim17ROCPRIM_400000_NS6detail17trampoline_kernelINS0_14default_configENS1_36segmented_radix_sort_config_selectorIalEEZNS1_25segmented_radix_sort_implIS3_Lb0EPKaPaPKlPlN2at6native12_GLOBAL__N_18offset_tEEE10hipError_tPvRmT1_PNSt15iterator_traitsISK_E10value_typeET2_T3_PNSL_ISQ_E10value_typeET4_jRbjT5_SW_jjP12ihipStream_tbEUlT_E0_NS1_11comp_targetILNS1_3genE3ELNS1_11target_archE908ELNS1_3gpuE7ELNS1_3repE0EEENS1_60segmented_radix_sort_warp_sort_medium_config_static_selectorELNS0_4arch9wavefront6targetE0EEEvSK_: ; @_ZN7rocprim17ROCPRIM_400000_NS6detail17trampoline_kernelINS0_14default_configENS1_36segmented_radix_sort_config_selectorIalEEZNS1_25segmented_radix_sort_implIS3_Lb0EPKaPaPKlPlN2at6native12_GLOBAL__N_18offset_tEEE10hipError_tPvRmT1_PNSt15iterator_traitsISK_E10value_typeET2_T3_PNSL_ISQ_E10value_typeET4_jRbjT5_SW_jjP12ihipStream_tbEUlT_E0_NS1_11comp_targetILNS1_3genE3ELNS1_11target_archE908ELNS1_3gpuE7ELNS1_3repE0EEENS1_60segmented_radix_sort_warp_sort_medium_config_static_selectorELNS0_4arch9wavefront6targetE0EEEvSK_
; %bb.0:
	.section	.rodata,"a",@progbits
	.p2align	6, 0x0
	.amdhsa_kernel _ZN7rocprim17ROCPRIM_400000_NS6detail17trampoline_kernelINS0_14default_configENS1_36segmented_radix_sort_config_selectorIalEEZNS1_25segmented_radix_sort_implIS3_Lb0EPKaPaPKlPlN2at6native12_GLOBAL__N_18offset_tEEE10hipError_tPvRmT1_PNSt15iterator_traitsISK_E10value_typeET2_T3_PNSL_ISQ_E10value_typeET4_jRbjT5_SW_jjP12ihipStream_tbEUlT_E0_NS1_11comp_targetILNS1_3genE3ELNS1_11target_archE908ELNS1_3gpuE7ELNS1_3repE0EEENS1_60segmented_radix_sort_warp_sort_medium_config_static_selectorELNS0_4arch9wavefront6targetE0EEEvSK_
		.amdhsa_group_segment_fixed_size 0
		.amdhsa_private_segment_fixed_size 0
		.amdhsa_kernarg_size 88
		.amdhsa_user_sgpr_count 2
		.amdhsa_user_sgpr_dispatch_ptr 0
		.amdhsa_user_sgpr_queue_ptr 0
		.amdhsa_user_sgpr_kernarg_segment_ptr 1
		.amdhsa_user_sgpr_dispatch_id 0
		.amdhsa_user_sgpr_private_segment_size 0
		.amdhsa_wavefront_size32 1
		.amdhsa_uses_dynamic_stack 0
		.amdhsa_enable_private_segment 0
		.amdhsa_system_sgpr_workgroup_id_x 1
		.amdhsa_system_sgpr_workgroup_id_y 0
		.amdhsa_system_sgpr_workgroup_id_z 0
		.amdhsa_system_sgpr_workgroup_info 0
		.amdhsa_system_vgpr_workitem_id 0
		.amdhsa_next_free_vgpr 1
		.amdhsa_next_free_sgpr 1
		.amdhsa_reserve_vcc 0
		.amdhsa_float_round_mode_32 0
		.amdhsa_float_round_mode_16_64 0
		.amdhsa_float_denorm_mode_32 3
		.amdhsa_float_denorm_mode_16_64 3
		.amdhsa_fp16_overflow 0
		.amdhsa_workgroup_processor_mode 1
		.amdhsa_memory_ordered 1
		.amdhsa_forward_progress 1
		.amdhsa_inst_pref_size 0
		.amdhsa_round_robin_scheduling 0
		.amdhsa_exception_fp_ieee_invalid_op 0
		.amdhsa_exception_fp_denorm_src 0
		.amdhsa_exception_fp_ieee_div_zero 0
		.amdhsa_exception_fp_ieee_overflow 0
		.amdhsa_exception_fp_ieee_underflow 0
		.amdhsa_exception_fp_ieee_inexact 0
		.amdhsa_exception_int_div_zero 0
	.end_amdhsa_kernel
	.section	.text._ZN7rocprim17ROCPRIM_400000_NS6detail17trampoline_kernelINS0_14default_configENS1_36segmented_radix_sort_config_selectorIalEEZNS1_25segmented_radix_sort_implIS3_Lb0EPKaPaPKlPlN2at6native12_GLOBAL__N_18offset_tEEE10hipError_tPvRmT1_PNSt15iterator_traitsISK_E10value_typeET2_T3_PNSL_ISQ_E10value_typeET4_jRbjT5_SW_jjP12ihipStream_tbEUlT_E0_NS1_11comp_targetILNS1_3genE3ELNS1_11target_archE908ELNS1_3gpuE7ELNS1_3repE0EEENS1_60segmented_radix_sort_warp_sort_medium_config_static_selectorELNS0_4arch9wavefront6targetE0EEEvSK_,"axG",@progbits,_ZN7rocprim17ROCPRIM_400000_NS6detail17trampoline_kernelINS0_14default_configENS1_36segmented_radix_sort_config_selectorIalEEZNS1_25segmented_radix_sort_implIS3_Lb0EPKaPaPKlPlN2at6native12_GLOBAL__N_18offset_tEEE10hipError_tPvRmT1_PNSt15iterator_traitsISK_E10value_typeET2_T3_PNSL_ISQ_E10value_typeET4_jRbjT5_SW_jjP12ihipStream_tbEUlT_E0_NS1_11comp_targetILNS1_3genE3ELNS1_11target_archE908ELNS1_3gpuE7ELNS1_3repE0EEENS1_60segmented_radix_sort_warp_sort_medium_config_static_selectorELNS0_4arch9wavefront6targetE0EEEvSK_,comdat
.Lfunc_end406:
	.size	_ZN7rocprim17ROCPRIM_400000_NS6detail17trampoline_kernelINS0_14default_configENS1_36segmented_radix_sort_config_selectorIalEEZNS1_25segmented_radix_sort_implIS3_Lb0EPKaPaPKlPlN2at6native12_GLOBAL__N_18offset_tEEE10hipError_tPvRmT1_PNSt15iterator_traitsISK_E10value_typeET2_T3_PNSL_ISQ_E10value_typeET4_jRbjT5_SW_jjP12ihipStream_tbEUlT_E0_NS1_11comp_targetILNS1_3genE3ELNS1_11target_archE908ELNS1_3gpuE7ELNS1_3repE0EEENS1_60segmented_radix_sort_warp_sort_medium_config_static_selectorELNS0_4arch9wavefront6targetE0EEEvSK_, .Lfunc_end406-_ZN7rocprim17ROCPRIM_400000_NS6detail17trampoline_kernelINS0_14default_configENS1_36segmented_radix_sort_config_selectorIalEEZNS1_25segmented_radix_sort_implIS3_Lb0EPKaPaPKlPlN2at6native12_GLOBAL__N_18offset_tEEE10hipError_tPvRmT1_PNSt15iterator_traitsISK_E10value_typeET2_T3_PNSL_ISQ_E10value_typeET4_jRbjT5_SW_jjP12ihipStream_tbEUlT_E0_NS1_11comp_targetILNS1_3genE3ELNS1_11target_archE908ELNS1_3gpuE7ELNS1_3repE0EEENS1_60segmented_radix_sort_warp_sort_medium_config_static_selectorELNS0_4arch9wavefront6targetE0EEEvSK_
                                        ; -- End function
	.set _ZN7rocprim17ROCPRIM_400000_NS6detail17trampoline_kernelINS0_14default_configENS1_36segmented_radix_sort_config_selectorIalEEZNS1_25segmented_radix_sort_implIS3_Lb0EPKaPaPKlPlN2at6native12_GLOBAL__N_18offset_tEEE10hipError_tPvRmT1_PNSt15iterator_traitsISK_E10value_typeET2_T3_PNSL_ISQ_E10value_typeET4_jRbjT5_SW_jjP12ihipStream_tbEUlT_E0_NS1_11comp_targetILNS1_3genE3ELNS1_11target_archE908ELNS1_3gpuE7ELNS1_3repE0EEENS1_60segmented_radix_sort_warp_sort_medium_config_static_selectorELNS0_4arch9wavefront6targetE0EEEvSK_.num_vgpr, 0
	.set _ZN7rocprim17ROCPRIM_400000_NS6detail17trampoline_kernelINS0_14default_configENS1_36segmented_radix_sort_config_selectorIalEEZNS1_25segmented_radix_sort_implIS3_Lb0EPKaPaPKlPlN2at6native12_GLOBAL__N_18offset_tEEE10hipError_tPvRmT1_PNSt15iterator_traitsISK_E10value_typeET2_T3_PNSL_ISQ_E10value_typeET4_jRbjT5_SW_jjP12ihipStream_tbEUlT_E0_NS1_11comp_targetILNS1_3genE3ELNS1_11target_archE908ELNS1_3gpuE7ELNS1_3repE0EEENS1_60segmented_radix_sort_warp_sort_medium_config_static_selectorELNS0_4arch9wavefront6targetE0EEEvSK_.num_agpr, 0
	.set _ZN7rocprim17ROCPRIM_400000_NS6detail17trampoline_kernelINS0_14default_configENS1_36segmented_radix_sort_config_selectorIalEEZNS1_25segmented_radix_sort_implIS3_Lb0EPKaPaPKlPlN2at6native12_GLOBAL__N_18offset_tEEE10hipError_tPvRmT1_PNSt15iterator_traitsISK_E10value_typeET2_T3_PNSL_ISQ_E10value_typeET4_jRbjT5_SW_jjP12ihipStream_tbEUlT_E0_NS1_11comp_targetILNS1_3genE3ELNS1_11target_archE908ELNS1_3gpuE7ELNS1_3repE0EEENS1_60segmented_radix_sort_warp_sort_medium_config_static_selectorELNS0_4arch9wavefront6targetE0EEEvSK_.numbered_sgpr, 0
	.set _ZN7rocprim17ROCPRIM_400000_NS6detail17trampoline_kernelINS0_14default_configENS1_36segmented_radix_sort_config_selectorIalEEZNS1_25segmented_radix_sort_implIS3_Lb0EPKaPaPKlPlN2at6native12_GLOBAL__N_18offset_tEEE10hipError_tPvRmT1_PNSt15iterator_traitsISK_E10value_typeET2_T3_PNSL_ISQ_E10value_typeET4_jRbjT5_SW_jjP12ihipStream_tbEUlT_E0_NS1_11comp_targetILNS1_3genE3ELNS1_11target_archE908ELNS1_3gpuE7ELNS1_3repE0EEENS1_60segmented_radix_sort_warp_sort_medium_config_static_selectorELNS0_4arch9wavefront6targetE0EEEvSK_.num_named_barrier, 0
	.set _ZN7rocprim17ROCPRIM_400000_NS6detail17trampoline_kernelINS0_14default_configENS1_36segmented_radix_sort_config_selectorIalEEZNS1_25segmented_radix_sort_implIS3_Lb0EPKaPaPKlPlN2at6native12_GLOBAL__N_18offset_tEEE10hipError_tPvRmT1_PNSt15iterator_traitsISK_E10value_typeET2_T3_PNSL_ISQ_E10value_typeET4_jRbjT5_SW_jjP12ihipStream_tbEUlT_E0_NS1_11comp_targetILNS1_3genE3ELNS1_11target_archE908ELNS1_3gpuE7ELNS1_3repE0EEENS1_60segmented_radix_sort_warp_sort_medium_config_static_selectorELNS0_4arch9wavefront6targetE0EEEvSK_.private_seg_size, 0
	.set _ZN7rocprim17ROCPRIM_400000_NS6detail17trampoline_kernelINS0_14default_configENS1_36segmented_radix_sort_config_selectorIalEEZNS1_25segmented_radix_sort_implIS3_Lb0EPKaPaPKlPlN2at6native12_GLOBAL__N_18offset_tEEE10hipError_tPvRmT1_PNSt15iterator_traitsISK_E10value_typeET2_T3_PNSL_ISQ_E10value_typeET4_jRbjT5_SW_jjP12ihipStream_tbEUlT_E0_NS1_11comp_targetILNS1_3genE3ELNS1_11target_archE908ELNS1_3gpuE7ELNS1_3repE0EEENS1_60segmented_radix_sort_warp_sort_medium_config_static_selectorELNS0_4arch9wavefront6targetE0EEEvSK_.uses_vcc, 0
	.set _ZN7rocprim17ROCPRIM_400000_NS6detail17trampoline_kernelINS0_14default_configENS1_36segmented_radix_sort_config_selectorIalEEZNS1_25segmented_radix_sort_implIS3_Lb0EPKaPaPKlPlN2at6native12_GLOBAL__N_18offset_tEEE10hipError_tPvRmT1_PNSt15iterator_traitsISK_E10value_typeET2_T3_PNSL_ISQ_E10value_typeET4_jRbjT5_SW_jjP12ihipStream_tbEUlT_E0_NS1_11comp_targetILNS1_3genE3ELNS1_11target_archE908ELNS1_3gpuE7ELNS1_3repE0EEENS1_60segmented_radix_sort_warp_sort_medium_config_static_selectorELNS0_4arch9wavefront6targetE0EEEvSK_.uses_flat_scratch, 0
	.set _ZN7rocprim17ROCPRIM_400000_NS6detail17trampoline_kernelINS0_14default_configENS1_36segmented_radix_sort_config_selectorIalEEZNS1_25segmented_radix_sort_implIS3_Lb0EPKaPaPKlPlN2at6native12_GLOBAL__N_18offset_tEEE10hipError_tPvRmT1_PNSt15iterator_traitsISK_E10value_typeET2_T3_PNSL_ISQ_E10value_typeET4_jRbjT5_SW_jjP12ihipStream_tbEUlT_E0_NS1_11comp_targetILNS1_3genE3ELNS1_11target_archE908ELNS1_3gpuE7ELNS1_3repE0EEENS1_60segmented_radix_sort_warp_sort_medium_config_static_selectorELNS0_4arch9wavefront6targetE0EEEvSK_.has_dyn_sized_stack, 0
	.set _ZN7rocprim17ROCPRIM_400000_NS6detail17trampoline_kernelINS0_14default_configENS1_36segmented_radix_sort_config_selectorIalEEZNS1_25segmented_radix_sort_implIS3_Lb0EPKaPaPKlPlN2at6native12_GLOBAL__N_18offset_tEEE10hipError_tPvRmT1_PNSt15iterator_traitsISK_E10value_typeET2_T3_PNSL_ISQ_E10value_typeET4_jRbjT5_SW_jjP12ihipStream_tbEUlT_E0_NS1_11comp_targetILNS1_3genE3ELNS1_11target_archE908ELNS1_3gpuE7ELNS1_3repE0EEENS1_60segmented_radix_sort_warp_sort_medium_config_static_selectorELNS0_4arch9wavefront6targetE0EEEvSK_.has_recursion, 0
	.set _ZN7rocprim17ROCPRIM_400000_NS6detail17trampoline_kernelINS0_14default_configENS1_36segmented_radix_sort_config_selectorIalEEZNS1_25segmented_radix_sort_implIS3_Lb0EPKaPaPKlPlN2at6native12_GLOBAL__N_18offset_tEEE10hipError_tPvRmT1_PNSt15iterator_traitsISK_E10value_typeET2_T3_PNSL_ISQ_E10value_typeET4_jRbjT5_SW_jjP12ihipStream_tbEUlT_E0_NS1_11comp_targetILNS1_3genE3ELNS1_11target_archE908ELNS1_3gpuE7ELNS1_3repE0EEENS1_60segmented_radix_sort_warp_sort_medium_config_static_selectorELNS0_4arch9wavefront6targetE0EEEvSK_.has_indirect_call, 0
	.section	.AMDGPU.csdata,"",@progbits
; Kernel info:
; codeLenInByte = 0
; TotalNumSgprs: 0
; NumVgprs: 0
; ScratchSize: 0
; MemoryBound: 0
; FloatMode: 240
; IeeeMode: 1
; LDSByteSize: 0 bytes/workgroup (compile time only)
; SGPRBlocks: 0
; VGPRBlocks: 0
; NumSGPRsForWavesPerEU: 1
; NumVGPRsForWavesPerEU: 1
; Occupancy: 16
; WaveLimiterHint : 0
; COMPUTE_PGM_RSRC2:SCRATCH_EN: 0
; COMPUTE_PGM_RSRC2:USER_SGPR: 2
; COMPUTE_PGM_RSRC2:TRAP_HANDLER: 0
; COMPUTE_PGM_RSRC2:TGID_X_EN: 1
; COMPUTE_PGM_RSRC2:TGID_Y_EN: 0
; COMPUTE_PGM_RSRC2:TGID_Z_EN: 0
; COMPUTE_PGM_RSRC2:TIDIG_COMP_CNT: 0
	.section	.text._ZN7rocprim17ROCPRIM_400000_NS6detail17trampoline_kernelINS0_14default_configENS1_36segmented_radix_sort_config_selectorIalEEZNS1_25segmented_radix_sort_implIS3_Lb0EPKaPaPKlPlN2at6native12_GLOBAL__N_18offset_tEEE10hipError_tPvRmT1_PNSt15iterator_traitsISK_E10value_typeET2_T3_PNSL_ISQ_E10value_typeET4_jRbjT5_SW_jjP12ihipStream_tbEUlT_E0_NS1_11comp_targetILNS1_3genE2ELNS1_11target_archE906ELNS1_3gpuE6ELNS1_3repE0EEENS1_60segmented_radix_sort_warp_sort_medium_config_static_selectorELNS0_4arch9wavefront6targetE0EEEvSK_,"axG",@progbits,_ZN7rocprim17ROCPRIM_400000_NS6detail17trampoline_kernelINS0_14default_configENS1_36segmented_radix_sort_config_selectorIalEEZNS1_25segmented_radix_sort_implIS3_Lb0EPKaPaPKlPlN2at6native12_GLOBAL__N_18offset_tEEE10hipError_tPvRmT1_PNSt15iterator_traitsISK_E10value_typeET2_T3_PNSL_ISQ_E10value_typeET4_jRbjT5_SW_jjP12ihipStream_tbEUlT_E0_NS1_11comp_targetILNS1_3genE2ELNS1_11target_archE906ELNS1_3gpuE6ELNS1_3repE0EEENS1_60segmented_radix_sort_warp_sort_medium_config_static_selectorELNS0_4arch9wavefront6targetE0EEEvSK_,comdat
	.globl	_ZN7rocprim17ROCPRIM_400000_NS6detail17trampoline_kernelINS0_14default_configENS1_36segmented_radix_sort_config_selectorIalEEZNS1_25segmented_radix_sort_implIS3_Lb0EPKaPaPKlPlN2at6native12_GLOBAL__N_18offset_tEEE10hipError_tPvRmT1_PNSt15iterator_traitsISK_E10value_typeET2_T3_PNSL_ISQ_E10value_typeET4_jRbjT5_SW_jjP12ihipStream_tbEUlT_E0_NS1_11comp_targetILNS1_3genE2ELNS1_11target_archE906ELNS1_3gpuE6ELNS1_3repE0EEENS1_60segmented_radix_sort_warp_sort_medium_config_static_selectorELNS0_4arch9wavefront6targetE0EEEvSK_ ; -- Begin function _ZN7rocprim17ROCPRIM_400000_NS6detail17trampoline_kernelINS0_14default_configENS1_36segmented_radix_sort_config_selectorIalEEZNS1_25segmented_radix_sort_implIS3_Lb0EPKaPaPKlPlN2at6native12_GLOBAL__N_18offset_tEEE10hipError_tPvRmT1_PNSt15iterator_traitsISK_E10value_typeET2_T3_PNSL_ISQ_E10value_typeET4_jRbjT5_SW_jjP12ihipStream_tbEUlT_E0_NS1_11comp_targetILNS1_3genE2ELNS1_11target_archE906ELNS1_3gpuE6ELNS1_3repE0EEENS1_60segmented_radix_sort_warp_sort_medium_config_static_selectorELNS0_4arch9wavefront6targetE0EEEvSK_
	.p2align	8
	.type	_ZN7rocprim17ROCPRIM_400000_NS6detail17trampoline_kernelINS0_14default_configENS1_36segmented_radix_sort_config_selectorIalEEZNS1_25segmented_radix_sort_implIS3_Lb0EPKaPaPKlPlN2at6native12_GLOBAL__N_18offset_tEEE10hipError_tPvRmT1_PNSt15iterator_traitsISK_E10value_typeET2_T3_PNSL_ISQ_E10value_typeET4_jRbjT5_SW_jjP12ihipStream_tbEUlT_E0_NS1_11comp_targetILNS1_3genE2ELNS1_11target_archE906ELNS1_3gpuE6ELNS1_3repE0EEENS1_60segmented_radix_sort_warp_sort_medium_config_static_selectorELNS0_4arch9wavefront6targetE0EEEvSK_,@function
_ZN7rocprim17ROCPRIM_400000_NS6detail17trampoline_kernelINS0_14default_configENS1_36segmented_radix_sort_config_selectorIalEEZNS1_25segmented_radix_sort_implIS3_Lb0EPKaPaPKlPlN2at6native12_GLOBAL__N_18offset_tEEE10hipError_tPvRmT1_PNSt15iterator_traitsISK_E10value_typeET2_T3_PNSL_ISQ_E10value_typeET4_jRbjT5_SW_jjP12ihipStream_tbEUlT_E0_NS1_11comp_targetILNS1_3genE2ELNS1_11target_archE906ELNS1_3gpuE6ELNS1_3repE0EEENS1_60segmented_radix_sort_warp_sort_medium_config_static_selectorELNS0_4arch9wavefront6targetE0EEEvSK_: ; @_ZN7rocprim17ROCPRIM_400000_NS6detail17trampoline_kernelINS0_14default_configENS1_36segmented_radix_sort_config_selectorIalEEZNS1_25segmented_radix_sort_implIS3_Lb0EPKaPaPKlPlN2at6native12_GLOBAL__N_18offset_tEEE10hipError_tPvRmT1_PNSt15iterator_traitsISK_E10value_typeET2_T3_PNSL_ISQ_E10value_typeET4_jRbjT5_SW_jjP12ihipStream_tbEUlT_E0_NS1_11comp_targetILNS1_3genE2ELNS1_11target_archE906ELNS1_3gpuE6ELNS1_3repE0EEENS1_60segmented_radix_sort_warp_sort_medium_config_static_selectorELNS0_4arch9wavefront6targetE0EEEvSK_
; %bb.0:
	.section	.rodata,"a",@progbits
	.p2align	6, 0x0
	.amdhsa_kernel _ZN7rocprim17ROCPRIM_400000_NS6detail17trampoline_kernelINS0_14default_configENS1_36segmented_radix_sort_config_selectorIalEEZNS1_25segmented_radix_sort_implIS3_Lb0EPKaPaPKlPlN2at6native12_GLOBAL__N_18offset_tEEE10hipError_tPvRmT1_PNSt15iterator_traitsISK_E10value_typeET2_T3_PNSL_ISQ_E10value_typeET4_jRbjT5_SW_jjP12ihipStream_tbEUlT_E0_NS1_11comp_targetILNS1_3genE2ELNS1_11target_archE906ELNS1_3gpuE6ELNS1_3repE0EEENS1_60segmented_radix_sort_warp_sort_medium_config_static_selectorELNS0_4arch9wavefront6targetE0EEEvSK_
		.amdhsa_group_segment_fixed_size 0
		.amdhsa_private_segment_fixed_size 0
		.amdhsa_kernarg_size 88
		.amdhsa_user_sgpr_count 2
		.amdhsa_user_sgpr_dispatch_ptr 0
		.amdhsa_user_sgpr_queue_ptr 0
		.amdhsa_user_sgpr_kernarg_segment_ptr 1
		.amdhsa_user_sgpr_dispatch_id 0
		.amdhsa_user_sgpr_private_segment_size 0
		.amdhsa_wavefront_size32 1
		.amdhsa_uses_dynamic_stack 0
		.amdhsa_enable_private_segment 0
		.amdhsa_system_sgpr_workgroup_id_x 1
		.amdhsa_system_sgpr_workgroup_id_y 0
		.amdhsa_system_sgpr_workgroup_id_z 0
		.amdhsa_system_sgpr_workgroup_info 0
		.amdhsa_system_vgpr_workitem_id 0
		.amdhsa_next_free_vgpr 1
		.amdhsa_next_free_sgpr 1
		.amdhsa_reserve_vcc 0
		.amdhsa_float_round_mode_32 0
		.amdhsa_float_round_mode_16_64 0
		.amdhsa_float_denorm_mode_32 3
		.amdhsa_float_denorm_mode_16_64 3
		.amdhsa_fp16_overflow 0
		.amdhsa_workgroup_processor_mode 1
		.amdhsa_memory_ordered 1
		.amdhsa_forward_progress 1
		.amdhsa_inst_pref_size 0
		.amdhsa_round_robin_scheduling 0
		.amdhsa_exception_fp_ieee_invalid_op 0
		.amdhsa_exception_fp_denorm_src 0
		.amdhsa_exception_fp_ieee_div_zero 0
		.amdhsa_exception_fp_ieee_overflow 0
		.amdhsa_exception_fp_ieee_underflow 0
		.amdhsa_exception_fp_ieee_inexact 0
		.amdhsa_exception_int_div_zero 0
	.end_amdhsa_kernel
	.section	.text._ZN7rocprim17ROCPRIM_400000_NS6detail17trampoline_kernelINS0_14default_configENS1_36segmented_radix_sort_config_selectorIalEEZNS1_25segmented_radix_sort_implIS3_Lb0EPKaPaPKlPlN2at6native12_GLOBAL__N_18offset_tEEE10hipError_tPvRmT1_PNSt15iterator_traitsISK_E10value_typeET2_T3_PNSL_ISQ_E10value_typeET4_jRbjT5_SW_jjP12ihipStream_tbEUlT_E0_NS1_11comp_targetILNS1_3genE2ELNS1_11target_archE906ELNS1_3gpuE6ELNS1_3repE0EEENS1_60segmented_radix_sort_warp_sort_medium_config_static_selectorELNS0_4arch9wavefront6targetE0EEEvSK_,"axG",@progbits,_ZN7rocprim17ROCPRIM_400000_NS6detail17trampoline_kernelINS0_14default_configENS1_36segmented_radix_sort_config_selectorIalEEZNS1_25segmented_radix_sort_implIS3_Lb0EPKaPaPKlPlN2at6native12_GLOBAL__N_18offset_tEEE10hipError_tPvRmT1_PNSt15iterator_traitsISK_E10value_typeET2_T3_PNSL_ISQ_E10value_typeET4_jRbjT5_SW_jjP12ihipStream_tbEUlT_E0_NS1_11comp_targetILNS1_3genE2ELNS1_11target_archE906ELNS1_3gpuE6ELNS1_3repE0EEENS1_60segmented_radix_sort_warp_sort_medium_config_static_selectorELNS0_4arch9wavefront6targetE0EEEvSK_,comdat
.Lfunc_end407:
	.size	_ZN7rocprim17ROCPRIM_400000_NS6detail17trampoline_kernelINS0_14default_configENS1_36segmented_radix_sort_config_selectorIalEEZNS1_25segmented_radix_sort_implIS3_Lb0EPKaPaPKlPlN2at6native12_GLOBAL__N_18offset_tEEE10hipError_tPvRmT1_PNSt15iterator_traitsISK_E10value_typeET2_T3_PNSL_ISQ_E10value_typeET4_jRbjT5_SW_jjP12ihipStream_tbEUlT_E0_NS1_11comp_targetILNS1_3genE2ELNS1_11target_archE906ELNS1_3gpuE6ELNS1_3repE0EEENS1_60segmented_radix_sort_warp_sort_medium_config_static_selectorELNS0_4arch9wavefront6targetE0EEEvSK_, .Lfunc_end407-_ZN7rocprim17ROCPRIM_400000_NS6detail17trampoline_kernelINS0_14default_configENS1_36segmented_radix_sort_config_selectorIalEEZNS1_25segmented_radix_sort_implIS3_Lb0EPKaPaPKlPlN2at6native12_GLOBAL__N_18offset_tEEE10hipError_tPvRmT1_PNSt15iterator_traitsISK_E10value_typeET2_T3_PNSL_ISQ_E10value_typeET4_jRbjT5_SW_jjP12ihipStream_tbEUlT_E0_NS1_11comp_targetILNS1_3genE2ELNS1_11target_archE906ELNS1_3gpuE6ELNS1_3repE0EEENS1_60segmented_radix_sort_warp_sort_medium_config_static_selectorELNS0_4arch9wavefront6targetE0EEEvSK_
                                        ; -- End function
	.set _ZN7rocprim17ROCPRIM_400000_NS6detail17trampoline_kernelINS0_14default_configENS1_36segmented_radix_sort_config_selectorIalEEZNS1_25segmented_radix_sort_implIS3_Lb0EPKaPaPKlPlN2at6native12_GLOBAL__N_18offset_tEEE10hipError_tPvRmT1_PNSt15iterator_traitsISK_E10value_typeET2_T3_PNSL_ISQ_E10value_typeET4_jRbjT5_SW_jjP12ihipStream_tbEUlT_E0_NS1_11comp_targetILNS1_3genE2ELNS1_11target_archE906ELNS1_3gpuE6ELNS1_3repE0EEENS1_60segmented_radix_sort_warp_sort_medium_config_static_selectorELNS0_4arch9wavefront6targetE0EEEvSK_.num_vgpr, 0
	.set _ZN7rocprim17ROCPRIM_400000_NS6detail17trampoline_kernelINS0_14default_configENS1_36segmented_radix_sort_config_selectorIalEEZNS1_25segmented_radix_sort_implIS3_Lb0EPKaPaPKlPlN2at6native12_GLOBAL__N_18offset_tEEE10hipError_tPvRmT1_PNSt15iterator_traitsISK_E10value_typeET2_T3_PNSL_ISQ_E10value_typeET4_jRbjT5_SW_jjP12ihipStream_tbEUlT_E0_NS1_11comp_targetILNS1_3genE2ELNS1_11target_archE906ELNS1_3gpuE6ELNS1_3repE0EEENS1_60segmented_radix_sort_warp_sort_medium_config_static_selectorELNS0_4arch9wavefront6targetE0EEEvSK_.num_agpr, 0
	.set _ZN7rocprim17ROCPRIM_400000_NS6detail17trampoline_kernelINS0_14default_configENS1_36segmented_radix_sort_config_selectorIalEEZNS1_25segmented_radix_sort_implIS3_Lb0EPKaPaPKlPlN2at6native12_GLOBAL__N_18offset_tEEE10hipError_tPvRmT1_PNSt15iterator_traitsISK_E10value_typeET2_T3_PNSL_ISQ_E10value_typeET4_jRbjT5_SW_jjP12ihipStream_tbEUlT_E0_NS1_11comp_targetILNS1_3genE2ELNS1_11target_archE906ELNS1_3gpuE6ELNS1_3repE0EEENS1_60segmented_radix_sort_warp_sort_medium_config_static_selectorELNS0_4arch9wavefront6targetE0EEEvSK_.numbered_sgpr, 0
	.set _ZN7rocprim17ROCPRIM_400000_NS6detail17trampoline_kernelINS0_14default_configENS1_36segmented_radix_sort_config_selectorIalEEZNS1_25segmented_radix_sort_implIS3_Lb0EPKaPaPKlPlN2at6native12_GLOBAL__N_18offset_tEEE10hipError_tPvRmT1_PNSt15iterator_traitsISK_E10value_typeET2_T3_PNSL_ISQ_E10value_typeET4_jRbjT5_SW_jjP12ihipStream_tbEUlT_E0_NS1_11comp_targetILNS1_3genE2ELNS1_11target_archE906ELNS1_3gpuE6ELNS1_3repE0EEENS1_60segmented_radix_sort_warp_sort_medium_config_static_selectorELNS0_4arch9wavefront6targetE0EEEvSK_.num_named_barrier, 0
	.set _ZN7rocprim17ROCPRIM_400000_NS6detail17trampoline_kernelINS0_14default_configENS1_36segmented_radix_sort_config_selectorIalEEZNS1_25segmented_radix_sort_implIS3_Lb0EPKaPaPKlPlN2at6native12_GLOBAL__N_18offset_tEEE10hipError_tPvRmT1_PNSt15iterator_traitsISK_E10value_typeET2_T3_PNSL_ISQ_E10value_typeET4_jRbjT5_SW_jjP12ihipStream_tbEUlT_E0_NS1_11comp_targetILNS1_3genE2ELNS1_11target_archE906ELNS1_3gpuE6ELNS1_3repE0EEENS1_60segmented_radix_sort_warp_sort_medium_config_static_selectorELNS0_4arch9wavefront6targetE0EEEvSK_.private_seg_size, 0
	.set _ZN7rocprim17ROCPRIM_400000_NS6detail17trampoline_kernelINS0_14default_configENS1_36segmented_radix_sort_config_selectorIalEEZNS1_25segmented_radix_sort_implIS3_Lb0EPKaPaPKlPlN2at6native12_GLOBAL__N_18offset_tEEE10hipError_tPvRmT1_PNSt15iterator_traitsISK_E10value_typeET2_T3_PNSL_ISQ_E10value_typeET4_jRbjT5_SW_jjP12ihipStream_tbEUlT_E0_NS1_11comp_targetILNS1_3genE2ELNS1_11target_archE906ELNS1_3gpuE6ELNS1_3repE0EEENS1_60segmented_radix_sort_warp_sort_medium_config_static_selectorELNS0_4arch9wavefront6targetE0EEEvSK_.uses_vcc, 0
	.set _ZN7rocprim17ROCPRIM_400000_NS6detail17trampoline_kernelINS0_14default_configENS1_36segmented_radix_sort_config_selectorIalEEZNS1_25segmented_radix_sort_implIS3_Lb0EPKaPaPKlPlN2at6native12_GLOBAL__N_18offset_tEEE10hipError_tPvRmT1_PNSt15iterator_traitsISK_E10value_typeET2_T3_PNSL_ISQ_E10value_typeET4_jRbjT5_SW_jjP12ihipStream_tbEUlT_E0_NS1_11comp_targetILNS1_3genE2ELNS1_11target_archE906ELNS1_3gpuE6ELNS1_3repE0EEENS1_60segmented_radix_sort_warp_sort_medium_config_static_selectorELNS0_4arch9wavefront6targetE0EEEvSK_.uses_flat_scratch, 0
	.set _ZN7rocprim17ROCPRIM_400000_NS6detail17trampoline_kernelINS0_14default_configENS1_36segmented_radix_sort_config_selectorIalEEZNS1_25segmented_radix_sort_implIS3_Lb0EPKaPaPKlPlN2at6native12_GLOBAL__N_18offset_tEEE10hipError_tPvRmT1_PNSt15iterator_traitsISK_E10value_typeET2_T3_PNSL_ISQ_E10value_typeET4_jRbjT5_SW_jjP12ihipStream_tbEUlT_E0_NS1_11comp_targetILNS1_3genE2ELNS1_11target_archE906ELNS1_3gpuE6ELNS1_3repE0EEENS1_60segmented_radix_sort_warp_sort_medium_config_static_selectorELNS0_4arch9wavefront6targetE0EEEvSK_.has_dyn_sized_stack, 0
	.set _ZN7rocprim17ROCPRIM_400000_NS6detail17trampoline_kernelINS0_14default_configENS1_36segmented_radix_sort_config_selectorIalEEZNS1_25segmented_radix_sort_implIS3_Lb0EPKaPaPKlPlN2at6native12_GLOBAL__N_18offset_tEEE10hipError_tPvRmT1_PNSt15iterator_traitsISK_E10value_typeET2_T3_PNSL_ISQ_E10value_typeET4_jRbjT5_SW_jjP12ihipStream_tbEUlT_E0_NS1_11comp_targetILNS1_3genE2ELNS1_11target_archE906ELNS1_3gpuE6ELNS1_3repE0EEENS1_60segmented_radix_sort_warp_sort_medium_config_static_selectorELNS0_4arch9wavefront6targetE0EEEvSK_.has_recursion, 0
	.set _ZN7rocprim17ROCPRIM_400000_NS6detail17trampoline_kernelINS0_14default_configENS1_36segmented_radix_sort_config_selectorIalEEZNS1_25segmented_radix_sort_implIS3_Lb0EPKaPaPKlPlN2at6native12_GLOBAL__N_18offset_tEEE10hipError_tPvRmT1_PNSt15iterator_traitsISK_E10value_typeET2_T3_PNSL_ISQ_E10value_typeET4_jRbjT5_SW_jjP12ihipStream_tbEUlT_E0_NS1_11comp_targetILNS1_3genE2ELNS1_11target_archE906ELNS1_3gpuE6ELNS1_3repE0EEENS1_60segmented_radix_sort_warp_sort_medium_config_static_selectorELNS0_4arch9wavefront6targetE0EEEvSK_.has_indirect_call, 0
	.section	.AMDGPU.csdata,"",@progbits
; Kernel info:
; codeLenInByte = 0
; TotalNumSgprs: 0
; NumVgprs: 0
; ScratchSize: 0
; MemoryBound: 0
; FloatMode: 240
; IeeeMode: 1
; LDSByteSize: 0 bytes/workgroup (compile time only)
; SGPRBlocks: 0
; VGPRBlocks: 0
; NumSGPRsForWavesPerEU: 1
; NumVGPRsForWavesPerEU: 1
; Occupancy: 16
; WaveLimiterHint : 0
; COMPUTE_PGM_RSRC2:SCRATCH_EN: 0
; COMPUTE_PGM_RSRC2:USER_SGPR: 2
; COMPUTE_PGM_RSRC2:TRAP_HANDLER: 0
; COMPUTE_PGM_RSRC2:TGID_X_EN: 1
; COMPUTE_PGM_RSRC2:TGID_Y_EN: 0
; COMPUTE_PGM_RSRC2:TGID_Z_EN: 0
; COMPUTE_PGM_RSRC2:TIDIG_COMP_CNT: 0
	.text
	.p2align	2                               ; -- Begin function _ZN7rocprim17ROCPRIM_400000_NS6detail26segmented_warp_sort_helperINS1_20WarpSortHelperConfigILj16ELj8ELj256EEEalLi256ELb0EvE4sortIPKaPaPKlPlEEvT_T0_T1_T2_jjjjRNS5_12storage_typeE
	.type	_ZN7rocprim17ROCPRIM_400000_NS6detail26segmented_warp_sort_helperINS1_20WarpSortHelperConfigILj16ELj8ELj256EEEalLi256ELb0EvE4sortIPKaPaPKlPlEEvT_T0_T1_T2_jjjjRNS5_12storage_typeE,@function
_ZN7rocprim17ROCPRIM_400000_NS6detail26segmented_warp_sort_helperINS1_20WarpSortHelperConfigILj16ELj8ELj256EEEalLi256ELb0EvE4sortIPKaPaPKlPlEEvT_T0_T1_T2_jjjjRNS5_12storage_typeE: ; @_ZN7rocprim17ROCPRIM_400000_NS6detail26segmented_warp_sort_helperINS1_20WarpSortHelperConfigILj16ELj8ELj256EEEalLi256ELb0EvE4sortIPKaPaPKlPlEEvT_T0_T1_T2_jjjjRNS5_12storage_typeE
; %bb.0:
	s_wait_loadcnt_dscnt 0x0
	s_wait_expcnt 0x0
	s_wait_samplecnt 0x0
	s_wait_bvhcnt 0x0
	s_wait_kmcnt 0x0
	v_mbcnt_lo_u32_b32 v12, -1, 0
	v_add_co_u32 v0, vcc_lo, v0, v8
	v_dual_mov_b32 v22, 0x7f :: v_dual_mov_b32 v39, 0x7f
	s_delay_alu instid0(VALU_DEP_3)
	v_lshlrev_b32_e32 v34, 3, v12
	v_sub_nc_u32_e32 v12, v9, v8
	v_mov_b32_e32 v9, 0
	s_wait_alu 0xfffd
	v_add_co_ci_u32_e64 v1, null, 0, v1, vcc_lo
	v_dual_mov_b32 v23, v22 :: v_dual_and_b32 v32, 0x78, v34
	v_dual_mov_b32 v36, 0x7f :: v_dual_mov_b32 v37, v22
	v_dual_mov_b32 v38, 0x7f :: v_dual_mov_b32 v35, v22
	s_delay_alu instid0(VALU_DEP_3)
	v_add_co_u32 v0, vcc_lo, v0, v32
	s_wait_alu 0xfffd
	v_add_co_ci_u32_e64 v1, null, 0, v1, vcc_lo
	v_cmp_lt_u32_e32 vcc_lo, v32, v12
	v_mov_b32_e32 v28, 0x7f
	s_and_saveexec_b32 s0, vcc_lo
	s_cbranch_execz .LBB408_2
; %bb.1:
	flat_load_u8 v22, v[0:1]
	v_dual_mov_b32 v38, 0x7f :: v_dual_mov_b32 v39, 0x7f
	v_mov_b32_e32 v36, 0x7f
	v_dual_mov_b32 v28, 0x7f :: v_dual_mov_b32 v37, 0x7f
	s_delay_alu instid0(VALU_DEP_3)
	v_mov_b32_e32 v23, v38
	v_mov_b32_e32 v35, 0x7f
.LBB408_2:
	s_wait_alu 0xfffe
	s_or_b32 exec_lo, exec_lo, s0
	v_or_b32_e32 v13, 1, v32
	s_delay_alu instid0(VALU_DEP_1)
	v_cmp_lt_u32_e64 s0, v13, v12
	s_and_saveexec_b32 s1, s0
	s_cbranch_execz .LBB408_4
; %bb.3:
	flat_load_u8 v38, v[0:1] offset:1
.LBB408_4:
	s_wait_alu 0xfffe
	s_or_b32 exec_lo, exec_lo, s1
	v_or_b32_e32 v13, 2, v32
	s_delay_alu instid0(VALU_DEP_1)
	v_cmp_lt_u32_e64 s1, v13, v12
	s_and_saveexec_b32 s2, s1
	s_cbranch_execz .LBB408_6
; %bb.5:
	flat_load_u8 v39, v[0:1] offset:2
.LBB408_6:
	;; [unrolled: 10-line block ×7, first 2 shown]
	s_wait_alu 0xfffe
	s_or_b32 exec_lo, exec_lo, s7
	v_lshlrev_b64_e32 v[0:1], 3, v[8:9]
	v_lshlrev_b32_e32 v33, 3, v32
	; wave barrier
	s_delay_alu instid0(VALU_DEP_2) | instskip(SKIP_1) | instid1(VALU_DEP_3)
	v_add_co_u32 v4, s7, v4, v0
	s_wait_alu 0xf1ff
	v_add_co_ci_u32_e64 v5, null, v5, v1, s7
	s_delay_alu instid0(VALU_DEP_2) | instskip(SKIP_1) | instid1(VALU_DEP_2)
	v_add_co_u32 v29, s7, v4, v33
	s_wait_alu 0xf1ff
	v_add_co_ci_u32_e64 v30, null, 0, v5, s7
                                        ; implicit-def: $vgpr4_vgpr5
	s_and_saveexec_b32 s7, vcc_lo
	s_cbranch_execnz .LBB408_135
; %bb.17:
	s_wait_alu 0xfffe
	s_or_b32 exec_lo, exec_lo, s7
                                        ; implicit-def: $vgpr14_vgpr15
	s_and_saveexec_b32 s7, s0
	s_cbranch_execnz .LBB408_136
.LBB408_18:
	s_wait_alu 0xfffe
	s_or_b32 exec_lo, exec_lo, s7
                                        ; implicit-def: $vgpr16_vgpr17
	s_and_saveexec_b32 s7, s1
	s_cbranch_execnz .LBB408_137
.LBB408_19:
	s_wait_alu 0xfffe
	s_or_b32 exec_lo, exec_lo, s7
                                        ; implicit-def: $vgpr24_vgpr25
	s_and_saveexec_b32 s7, s2
	s_cbranch_execnz .LBB408_138
.LBB408_20:
	s_wait_alu 0xfffe
	s_or_b32 exec_lo, exec_lo, s7
                                        ; implicit-def: $vgpr26_vgpr27
	s_and_saveexec_b32 s7, s3
	s_cbranch_execnz .LBB408_139
.LBB408_21:
	s_wait_alu 0xfffe
	s_or_b32 exec_lo, exec_lo, s7
                                        ; implicit-def: $vgpr20_vgpr21
	s_and_saveexec_b32 s7, s4
	s_cbranch_execnz .LBB408_140
.LBB408_22:
	s_wait_alu 0xfffe
	s_or_b32 exec_lo, exec_lo, s7
                                        ; implicit-def: $vgpr18_vgpr19
	s_and_saveexec_b32 s7, s5
	s_cbranch_execnz .LBB408_141
.LBB408_23:
	s_wait_alu 0xfffe
	s_or_b32 exec_lo, exec_lo, s7
                                        ; implicit-def: $vgpr12_vgpr13
	s_and_saveexec_b32 s7, s6
	s_cbranch_execz .LBB408_25
.LBB408_24:
	flat_load_b64 v[12:13], v[29:30] offset:56
.LBB408_25:
	s_wait_alu 0xfffe
	s_or_b32 exec_lo, exec_lo, s7
	v_cmp_ne_u32_e64 s7, 0, v10
	v_cmp_ne_u32_e64 s10, 8, v11
	v_bfe_u32 v29, v31, 10, 10
	v_bfe_u32 v30, v31, 20, 10
	v_and_b32_e32 v9, 0x3ff, v31
	s_mov_b32 s11, 0
	s_or_b32 s7, s7, s10
	; wave barrier
	s_wait_alu 0xfffe
	s_and_saveexec_b32 s10, s7
	s_wait_alu 0xfffe
	s_xor_b32 s19, exec_lo, s10
	s_cbranch_execz .LBB408_71
; %bb.26:
	s_load_b64 s[12:13], s[8:9], 0x0
	s_and_b32 s7, ttmp7, 0xffff
	v_lshlrev_b32_e64 v11, v11, -1
	v_lshlrev_b32_e64 v10, v10, -1
	s_mov_b32 s17, exec_lo
	s_delay_alu instid0(VALU_DEP_1)
	v_xor_b32_e32 v11, v11, v10
	s_wait_kmcnt 0x0
	s_wait_alu 0xfffe
	s_cmp_lt_u32 s7, s13
	s_cselect_b32 s10, 14, 20
	s_cmp_lt_u32 ttmp9, s12
	s_wait_alu 0xfffe
	s_add_nc_u64 s[14:15], s[8:9], s[10:11]
	s_cselect_b32 s10, 12, 18
	s_load_u16 s7, s[14:15], 0x0
	s_add_nc_u64 s[10:11], s[8:9], s[10:11]
	s_load_u16 s10, s[10:11], 0x0
	s_wait_kmcnt 0x0
	v_mad_u32_u24 v29, v30, s7, v29
	s_delay_alu instid0(VALU_DEP_1) | instskip(NEXT) | instid1(VALU_DEP_1)
	v_mul_lo_u32 v29, v29, s10
	v_add_lshl_u32 v30, v29, v9, 3
	s_delay_alu instid0(VALU_DEP_1)
	v_cmpx_gt_u32_e32 0x800, v30
	s_cbranch_execz .LBB408_30
; %bb.27:
	s_wait_loadcnt_dscnt 0x0
	v_and_b32_e32 v9, v38, v11
	v_and_b32_e32 v10, v22, v11
	v_perm_b32 v28, v39, v28, 0xc0c0004
	v_perm_b32 v29, v38, v22, 0xc0c0004
	;; [unrolled: 1-line block ×3, first 2 shown]
	v_bfe_i32 v9, v9, 0, 8
	v_bfe_i32 v10, v10, 0, 8
	v_lshlrev_b32_e32 v28, 16, v28
	s_delay_alu instid0(VALU_DEP_2) | instskip(NEXT) | instid1(VALU_DEP_2)
	v_cmp_gt_i16_e64 s10, v10, v9
	v_or_b32_e32 v9, v29, v28
	v_or_b32_e32 v10, v22, v28
	v_perm_b32 v22, v23, v37, 0xc0c0004
	v_perm_b32 v23, v35, v36, 0xc0c0004
	s_wait_alu 0xf1ff
	v_cndmask_b32_e64 v28, v14, v4, s10
	v_cndmask_b32_e64 v4, v4, v14, s10
	;; [unrolled: 1-line block ×4, first 2 shown]
	v_lshl_or_b32 v10, v23, 16, v22
	v_cndmask_b32_e64 v5, v5, v15, s10
	s_delay_alu instid0(VALU_DEP_4) | instskip(SKIP_1) | instid1(VALU_DEP_4)
	v_lshrrev_b32_e32 v22, 24, v9
	v_lshrrev_b32_e32 v23, 16, v9
	;; [unrolled: 1-line block ×3, first 2 shown]
	v_and_b32_e32 v35, v10, v11
	s_delay_alu instid0(VALU_DEP_4) | instskip(NEXT) | instid1(VALU_DEP_4)
	v_and_b32_e32 v22, v22, v11
	v_and_b32_e32 v31, v23, v11
	v_perm_b32 v23, 0, v23, 0xc0c0001
	v_and_b32_e32 v29, v29, v11
	v_bfe_i32 v35, v35, 0, 8
	v_bfe_i32 v22, v22, 0, 8
	;; [unrolled: 1-line block ×3, first 2 shown]
	v_lshlrev_b32_e32 v23, 16, v23
	v_bfe_i32 v29, v29, 0, 8
	s_delay_alu instid0(VALU_DEP_3) | instskip(NEXT) | instid1(VALU_DEP_3)
	v_cmp_gt_i16_e64 s7, v31, v22
	v_and_or_b32 v22, 0xffff, v9, v23
	v_perm_b32 v23, v10, v10, 0x7060405
	s_delay_alu instid0(VALU_DEP_4)
	v_cmp_gt_i16_e64 s11, v35, v29
	s_wait_alu 0xf1ff
	v_cndmask_b32_e64 v38, v17, v25, s7
	v_cndmask_b32_e64 v9, v9, v22, s7
	;; [unrolled: 1-line block ×6, first 2 shown]
	v_lshrrev_b32_e32 v23, 16, v9
	v_lshrrev_b32_e32 v31, 8, v9
	;; [unrolled: 1-line block ×4, first 2 shown]
	v_perm_b32 v39, v9, v9, 0x7050604
	v_and_b32_e32 v23, v23, v11
	v_and_b32_e32 v31, v31, v11
	;; [unrolled: 1-line block ×4, first 2 shown]
	v_cndmask_b32_e64 v16, v16, v24, s7
	v_bfe_i32 v23, v23, 0, 8
	v_bfe_i32 v31, v31, 0, 8
	;; [unrolled: 1-line block ×4, first 2 shown]
	v_cndmask_b32_e64 v22, v26, v20, s11
	v_cndmask_b32_e64 v20, v20, v26, s11
	v_cmp_gt_i16_e64 s12, v31, v23
	v_perm_b32 v23, v10, v10, 0x6070504
	v_cmp_gt_i16_e64 s13, v36, v35
	s_wait_alu 0xf1ff
	s_delay_alu instid0(VALU_DEP_3) | instskip(SKIP_1) | instid1(VALU_DEP_3)
	v_cndmask_b32_e64 v9, v9, v39, s12
	v_cndmask_b32_e64 v31, v38, v37, s12
	;; [unrolled: 1-line block ×5, first 2 shown]
	v_lshrrev_b32_e32 v23, 16, v9
	v_lshrrev_b32_e32 v39, 24, v9
	v_lshlrev_b16 v36, 8, v10
	v_and_b32_e32 v48, v10, v11
	v_perm_b32 v25, v9, v10, 0x3020107
	v_and_b32_e32 v23, 0xff, v23
	v_and_b32_e32 v39, v39, v11
	s_delay_alu instid0(VALU_DEP_2) | instskip(SKIP_1) | instid1(VALU_DEP_3)
	v_or_b32_e32 v23, v23, v36
	v_bfe_i32 v36, v48, 0, 8
	v_bfe_i32 v39, v39, 0, 8
	v_cndmask_b32_e64 v48, v27, v21, s11
	s_delay_alu instid0(VALU_DEP_4) | instskip(NEXT) | instid1(VALU_DEP_3)
	v_lshlrev_b32_e32 v23, 16, v23
	v_cmp_gt_i16_e64 s14, v39, v36
	v_cndmask_b32_e64 v39, v28, v16, s12
	v_cndmask_b32_e64 v16, v16, v28, s12
	s_delay_alu instid0(VALU_DEP_4)
	v_and_or_b32 v23, 0xffff, v9, v23
	s_wait_alu 0xf1ff
	v_cndmask_b32_e64 v10, v10, v25, s14
	v_cndmask_b32_e64 v36, v17, v48, s14
	;; [unrolled: 1-line block ×4, first 2 shown]
	s_delay_alu instid0(VALU_DEP_4) | instskip(SKIP_1) | instid1(VALU_DEP_3)
	v_lshrrev_b32_e32 v23, 16, v10
	v_lshrrev_b32_e32 v25, 8, v10
	;; [unrolled: 1-line block ×3, first 2 shown]
	v_and_b32_e32 v24, v9, v11
	s_delay_alu instid0(VALU_DEP_4) | instskip(NEXT) | instid1(VALU_DEP_4)
	v_and_b32_e32 v23, v23, v11
	v_and_b32_e32 v25, v25, v11
	v_perm_b32 v27, 0, v9, 0xc0c0001
	v_and_b32_e32 v21, v21, v11
	v_bfe_i32 v24, v24, 0, 8
	v_bfe_i32 v23, v23, 0, 8
	;; [unrolled: 1-line block ×3, first 2 shown]
	v_and_or_b32 v27, 0xffff0000, v9, v27
	v_bfe_i32 v21, v21, 0, 8
	s_delay_alu instid0(VALU_DEP_3) | instskip(NEXT) | instid1(VALU_DEP_2)
	v_cmp_gt_i16_e64 s15, v25, v23
	v_cmp_gt_i16_e64 s7, v24, v21
	v_perm_b32 v24, v10, v10, 0x7050604
	v_cndmask_b32_e64 v21, v19, v13, s13
	v_cndmask_b32_e64 v13, v13, v19, s13
	s_wait_alu 0xf1ff
	v_cndmask_b32_e64 v9, v9, v27, s7
	v_cndmask_b32_e64 v10, v10, v24, s15
	;; [unrolled: 1-line block ×5, first 2 shown]
	v_lshrrev_b32_e32 v24, 24, v9
	v_lshrrev_b32_e32 v26, 16, v9
	;; [unrolled: 1-line block ×3, first 2 shown]
	v_and_b32_e32 v50, v10, v11
	v_cndmask_b32_e64 v14, v21, v14, s15
	v_and_b32_e32 v24, v24, v11
	v_and_b32_e32 v49, v26, v11
	v_perm_b32 v26, 0, v26, 0xc0c0001
	v_and_b32_e32 v28, v28, v11
	v_bfe_i32 v29, v50, 0, 8
	v_bfe_i32 v24, v24, 0, 8
	v_bfe_i32 v49, v49, 0, 8
	v_lshlrev_b32_e32 v26, 16, v26
	v_bfe_i32 v28, v28, 0, 8
	v_cndmask_b32_e64 v23, v39, v4, s7
	v_cndmask_b32_e64 v4, v4, v39, s7
	v_cmp_gt_i16_e64 s11, v49, v24
	v_and_or_b32 v24, 0xffff, v9, v26
	v_perm_b32 v49, v10, v10, 0x7060405
	v_cmp_gt_i16_e64 s16, v29, v28
	v_cndmask_b32_e64 v29, v37, v38, s12
	v_cndmask_b32_e64 v26, v20, v35, s15
	s_wait_alu 0xf1ff
	v_cndmask_b32_e64 v9, v9, v24, s11
	v_cndmask_b32_e64 v50, v31, v36, s11
	;; [unrolled: 1-line block ×5, first 2 shown]
	v_lshrrev_b32_e32 v18, 16, v9
	v_lshrrev_b32_e32 v24, 8, v9
	;; [unrolled: 1-line block ×4, first 2 shown]
	v_perm_b32 v51, v9, v9, 0x7050604
	v_and_b32_e32 v18, v18, v11
	v_and_b32_e32 v24, v24, v11
	;; [unrolled: 1-line block ×4, first 2 shown]
	v_cndmask_b32_e64 v48, v17, v25, s16
	v_bfe_i32 v18, v18, 0, 8
	v_bfe_i32 v24, v24, 0, 8
	v_bfe_i32 v37, v37, 0, 8
	v_bfe_i32 v38, v38, 0, 8
	v_cndmask_b32_e64 v17, v25, v17, s16
	v_cndmask_b32_e64 v16, v16, v27, s11
	v_cmp_gt_i16_e64 s10, v24, v18
	v_cndmask_b32_e64 v18, v35, v20, s15
	v_perm_b32 v20, v10, v10, 0x6070504
	v_cmp_gt_i16_e64 s12, v38, v37
	v_cndmask_b32_e64 v15, v22, v26, s16
	s_wait_alu 0xf1ff
	v_cndmask_b32_e64 v9, v9, v51, s10
	v_cndmask_b32_e64 v22, v26, v22, s16
	;; [unrolled: 1-line block ×5, first 2 shown]
	v_lshrrev_b32_e32 v20, 16, v9
	v_lshrrev_b32_e32 v38, 24, v9
	v_cndmask_b32_e64 v5, v5, v29, s7
	v_lshlrev_b16 v37, 8, v10
	v_and_b32_e32 v51, v10, v11
	v_and_b32_e32 v20, 0xff, v20
	;; [unrolled: 1-line block ×3, first 2 shown]
	v_perm_b32 v36, v9, v10, 0x3020107
	v_cndmask_b32_e64 v12, v12, v18, s12
	v_cndmask_b32_e64 v24, v50, v49, s10
	v_or_b32_e32 v20, v20, v37
	v_bfe_i32 v37, v51, 0, 8
	v_bfe_i32 v38, v38, 0, 8
	s_delay_alu instid0(VALU_DEP_3) | instskip(NEXT) | instid1(VALU_DEP_2)
	v_lshlrev_b32_e32 v20, 16, v20
	v_cmp_gt_i16_e64 s14, v38, v37
	v_cndmask_b32_e64 v37, v23, v16, s10
	v_cndmask_b32_e64 v16, v16, v23, s10
	s_delay_alu instid0(VALU_DEP_4)
	v_and_or_b32 v20, 0xffff, v9, v20
	s_wait_alu 0xf1ff
	v_cndmask_b32_e64 v10, v10, v36, s14
	v_cndmask_b32_e64 v23, v28, v15, s14
	;; [unrolled: 1-line block ×5, first 2 shown]
	v_lshrrev_b32_e32 v21, 16, v10
	v_lshrrev_b32_e32 v25, 8, v10
	v_cndmask_b32_e64 v31, v48, v31, s14
	v_lshrrev_b32_e32 v20, 8, v9
	v_and_b32_e32 v27, v9, v11
	v_and_b32_e32 v21, v21, v11
	;; [unrolled: 1-line block ×3, first 2 shown]
	v_perm_b32 v36, 0, v9, 0xc0c0001
	v_and_b32_e32 v20, v20, v11
	v_bfe_i32 v27, v27, 0, 8
	v_bfe_i32 v21, v21, 0, 8
	;; [unrolled: 1-line block ×3, first 2 shown]
	v_and_or_b32 v36, 0xffff0000, v9, v36
	v_bfe_i32 v20, v20, 0, 8
	s_delay_alu instid0(VALU_DEP_3) | instskip(NEXT) | instid1(VALU_DEP_2)
	v_cmp_gt_i16_e64 s13, v25, v21
	v_cmp_gt_i16_e64 s11, v27, v20
	v_perm_b32 v27, v10, v10, 0x7050604
	v_cndmask_b32_e64 v20, v14, v13, s12
	v_cndmask_b32_e64 v13, v13, v14, s12
	s_wait_alu 0xf1ff
	v_cndmask_b32_e64 v9, v9, v36, s11
	v_cndmask_b32_e64 v10, v10, v27, s13
	;; [unrolled: 1-line block ×5, first 2 shown]
	v_lshrrev_b32_e32 v26, 24, v9
	v_lshrrev_b32_e32 v27, 16, v9
	v_lshrrev_b32_e32 v36, 8, v10
	v_and_b32_e32 v39, v10, v11
	v_cndmask_b32_e64 v4, v4, v37, s11
	v_and_b32_e32 v26, v26, v11
	v_and_b32_e32 v38, v27, v11
	v_perm_b32 v27, 0, v27, 0xc0c0001
	v_and_b32_e32 v36, v36, v11
	v_bfe_i32 v28, v39, 0, 8
	v_bfe_i32 v26, v26, 0, 8
	v_bfe_i32 v38, v38, 0, 8
	v_lshlrev_b32_e32 v27, 16, v27
	v_bfe_i32 v36, v36, 0, 8
	s_delay_alu instid0(VALU_DEP_3) | instskip(NEXT) | instid1(VALU_DEP_3)
	v_cmp_gt_i16_e64 s15, v38, v26
	v_and_or_b32 v26, 0xffff, v9, v27
	v_perm_b32 v38, v10, v10, 0x7060405
	s_delay_alu instid0(VALU_DEP_4)
	v_cmp_gt_i16_e64 s16, v28, v36
	v_cndmask_b32_e64 v27, v22, v35, s13
	v_cndmask_b32_e64 v36, v49, v50, s10
	s_wait_alu 0xf1ff
	v_cndmask_b32_e64 v9, v9, v26, s15
	v_cndmask_b32_e64 v50, v24, v19, s15
	;; [unrolled: 1-line block ×5, first 2 shown]
	v_lshrrev_b32_e32 v18, 16, v9
	v_lshrrev_b32_e32 v29, 8, v9
	;; [unrolled: 1-line block ×4, first 2 shown]
	v_perm_b32 v51, v9, v9, 0x7050604
	v_and_b32_e32 v18, v18, v11
	v_and_b32_e32 v29, v29, v11
	;; [unrolled: 1-line block ×4, first 2 shown]
	v_cndmask_b32_e64 v16, v16, v23, s15
	v_bfe_i32 v18, v18, 0, 8
	v_bfe_i32 v29, v29, 0, 8
	;; [unrolled: 1-line block ×4, first 2 shown]
	v_cndmask_b32_e64 v48, v31, v25, s16
	v_cndmask_b32_e64 v17, v25, v31, s16
	v_cmp_gt_i16_e64 s7, v29, v18
	v_cndmask_b32_e64 v18, v35, v22, s13
	v_perm_b32 v22, v10, v10, 0x6070504
	v_cmp_gt_i16_e64 s10, v39, v38
	v_cndmask_b32_e64 v49, v36, v5, s11
	s_wait_alu 0xf1ff
	v_cndmask_b32_e64 v9, v9, v51, s7
	v_cndmask_b32_e64 v5, v5, v36, s11
	;; [unrolled: 1-line block ×5, first 2 shown]
	v_lshrrev_b32_e32 v22, 16, v9
	v_lshrrev_b32_e32 v39, 24, v9
	v_cndmask_b32_e64 v15, v27, v15, s16
	v_lshlrev_b16 v38, 8, v10
	v_and_b32_e32 v51, v10, v11
	v_and_b32_e32 v22, 0xff, v22
	;; [unrolled: 1-line block ×3, first 2 shown]
	v_perm_b32 v24, v9, v10, 0x3020107
	v_cndmask_b32_e64 v16, v16, v21, s7
	v_cndmask_b32_e64 v29, v50, v49, s7
	v_or_b32_e32 v22, v22, v38
	v_bfe_i32 v38, v51, 0, 8
	v_bfe_i32 v39, v39, 0, 8
	v_cndmask_b32_e64 v35, v18, v12, s10
	v_cndmask_b32_e64 v12, v12, v18, s10
	v_lshlrev_b32_e32 v22, 16, v22
	s_delay_alu instid0(VALU_DEP_4) | instskip(NEXT) | instid1(VALU_DEP_2)
	v_cmp_gt_i16_e64 s14, v39, v38
	v_and_or_b32 v22, 0xffff, v9, v22
	s_wait_alu 0xf1ff
	s_delay_alu instid0(VALU_DEP_2) | instskip(SKIP_3) | instid1(VALU_DEP_4)
	v_cndmask_b32_e64 v10, v10, v24, s14
	v_cndmask_b32_e64 v38, v19, v48, s14
	;; [unrolled: 1-line block ×4, first 2 shown]
	v_lshrrev_b32_e32 v22, 16, v10
	v_lshrrev_b32_e32 v24, 8, v10
	s_delay_alu instid0(VALU_DEP_3) | instskip(SKIP_1) | instid1(VALU_DEP_4)
	v_lshrrev_b32_e32 v20, 8, v9
	v_and_b32_e32 v23, v9, v11
	v_and_b32_e32 v22, v22, v11
	s_delay_alu instid0(VALU_DEP_4)
	v_and_b32_e32 v24, v24, v11
	v_perm_b32 v25, 0, v9, 0xc0c0001
	v_and_b32_e32 v20, v20, v11
	v_bfe_i32 v23, v23, 0, 8
	v_bfe_i32 v22, v22, 0, 8
	;; [unrolled: 1-line block ×3, first 2 shown]
	v_and_or_b32 v25, 0xffff0000, v9, v25
	v_bfe_i32 v20, v20, 0, 8
	s_delay_alu instid0(VALU_DEP_3) | instskip(NEXT) | instid1(VALU_DEP_2)
	v_cmp_gt_i16_e64 s12, v24, v22
	v_cmp_gt_i16_e64 s11, v23, v20
	v_perm_b32 v23, v10, v10, 0x7050604
	v_cndmask_b32_e64 v20, v14, v13, s10
	v_cndmask_b32_e64 v13, v13, v14, s10
	s_wait_alu 0xf1ff
	v_cndmask_b32_e64 v9, v9, v25, s11
	v_cndmask_b32_e64 v10, v10, v23, s12
	;; [unrolled: 1-line block ×5, first 2 shown]
	v_lshrrev_b32_e32 v23, 24, v9
	v_lshrrev_b32_e32 v24, 16, v9
	;; [unrolled: 1-line block ×3, first 2 shown]
	v_and_b32_e32 v36, v10, v11
	v_cndmask_b32_e64 v22, v31, v4, s11
	v_and_b32_e32 v23, v23, v11
	v_and_b32_e32 v27, v24, v11
	v_perm_b32 v24, 0, v24, 0xc0c0001
	v_and_b32_e32 v21, v21, v11
	v_bfe_i32 v28, v36, 0, 8
	v_bfe_i32 v23, v23, 0, 8
	v_bfe_i32 v27, v27, 0, 8
	v_lshlrev_b32_e32 v24, 16, v24
	v_bfe_i32 v21, v21, 0, 8
	v_cndmask_b32_e64 v4, v4, v31, s11
	s_delay_alu instid0(VALU_DEP_4) | instskip(NEXT) | instid1(VALU_DEP_4)
	v_cmp_gt_i16_e64 s13, v27, v23
	v_and_or_b32 v23, 0xffff, v9, v24
	v_perm_b32 v27, v10, v10, 0x7060405
	v_cmp_gt_i16_e64 s15, v28, v21
	v_cndmask_b32_e64 v24, v15, v35, s12
	s_wait_alu 0xf1ff
	v_cndmask_b32_e64 v28, v25, v16, s13
	v_cndmask_b32_e64 v9, v9, v23, s13
	;; [unrolled: 1-line block ×6, first 2 shown]
	v_lshrrev_b32_e32 v21, 16, v9
	v_lshrrev_b32_e32 v23, 8, v9
	;; [unrolled: 1-line block ×4, first 2 shown]
	v_perm_b32 v49, v9, v9, 0x7050604
	v_and_b32_e32 v21, v21, v11
	v_and_b32_e32 v23, v23, v11
	v_and_b32_e32 v27, v27, v11
	v_and_b32_e32 v37, v37, v11
	v_cndmask_b32_e64 v39, v10, v5, s11
	v_bfe_i32 v21, v21, 0, 8
	v_bfe_i32 v23, v23, 0, 8
	;; [unrolled: 1-line block ×4, first 2 shown]
	v_cndmask_b32_e64 v5, v5, v10, s11
	v_cndmask_b32_e64 v15, v35, v15, s12
	v_cmp_gt_i16_e64 s7, v23, v21
	v_cndmask_b32_e64 v23, v20, v17, s12
	v_perm_b32 v20, v14, v14, 0x6070504
	v_cmp_gt_i16_e64 s10, v37, v27
	v_cndmask_b32_e64 v27, v19, v18, s15
	s_wait_alu 0xf1ff
	v_cndmask_b32_e64 v49, v9, v49, s7
	v_cndmask_b32_e64 v21, v18, v19, s15
	;; [unrolled: 1-line block ×5, first 2 shown]
	v_lshrrev_b32_e32 v9, 24, v49
	v_lshrrev_b32_e32 v24, 16, v49
	v_cndmask_b32_e64 v26, v16, v25, s13
	v_and_b32_e32 v18, v14, v11
	v_lshlrev_b16 v16, 8, v14
	v_and_b32_e32 v9, v9, v11
	v_and_b32_e32 v24, 0xff, v24
	v_perm_b32 v29, v49, v14, 0x3020107
	v_bfe_i32 v18, v18, 0, 8
	v_cndmask_b32_e64 v10, v23, v13, s10
	v_bfe_i32 v9, v9, 0, 8
	v_cndmask_b32_e64 v13, v13, v23, s10
	v_cndmask_b32_e64 v17, v48, v39, s7
	s_delay_alu instid0(VALU_DEP_3)
	v_cmp_gt_i16_e64 s11, v9, v18
	v_or_b32_e32 v18, v24, v16
	v_cndmask_b32_e64 v16, v26, v22, s7
	v_cndmask_b32_e64 v9, v15, v12, s10
	v_cndmask_b32_e64 v12, v12, v15, s10
	s_wait_alu 0xf1ff
	v_cndmask_b32_e64 v23, v14, v29, s11
	v_lshlrev_b32_e32 v18, 16, v18
	v_cndmask_b32_e64 v25, v19, v27, s11
	v_cndmask_b32_e64 v14, v22, v26, s7
	;; [unrolled: 1-line block ×3, first 2 shown]
	v_lshrrev_b32_e32 v35, 16, v23
	v_lshrrev_b32_e32 v37, 8, v23
	v_and_or_b32 v18, 0xffff, v49, v18
	v_cndmask_b32_e64 v15, v39, v48, s7
	v_cndmask_b32_e64 v24, v28, v36, s11
	v_and_b32_e32 v29, v35, v11
	v_and_b32_e32 v31, v37, v11
	v_cndmask_b32_e64 v22, v49, v18, s11
	v_cndmask_b32_e64 v26, v36, v28, s11
	v_lshrrev_b32_e32 v36, 24, v23
	v_bfe_i32 v18, v29, 0, 8
	v_bfe_i32 v19, v31, 0, 8
	v_lshrrev_b64 v[28:29], 24, v[22:23]
	v_lshrrev_b32_e32 v39, 16, v22
	v_lshrrev_b32_e32 v38, 8, v22
	s_delay_alu instid0(VALU_DEP_4)
	v_cmp_gt_i16_e64 s7, v19, v18
	v_dual_mov_b32 v19, v10 :: v_dual_mov_b32 v18, v9
	s_and_saveexec_b32 s10, s7
; %bb.28:
	v_dual_mov_b32 v29, v37 :: v_dual_mov_b32 v18, v20
	v_swap_b32 v37, v35
	v_mov_b32_e32 v19, v21
	v_dual_mov_b32 v21, v10 :: v_dual_mov_b32 v20, v9
; %bb.29:
	s_wait_alu 0xfffe
	s_or_b32 exec_lo, exec_lo, s10
.LBB408_30:
	s_delay_alu instid0(SALU_CYCLE_1)
	s_or_b32 exec_lo, exec_lo, s17
	v_and_b32_e32 v10, 0xffffff00, v30
	v_or_b32_e32 v29, 8, v34
	v_and_b32_e32 v48, 8, v34
	v_and_b32_e32 v49, 0xf0, v34
	s_mov_b32 s10, exec_lo
	v_sub_nc_u32_e64 v30, 0x800, v10 clamp
	v_lshlrev_b32_e32 v9, 3, v10
	v_or_b32_e32 v53, v10, v34
	s_delay_alu instid0(VALU_DEP_3) | instskip(SKIP_1) | instid1(VALU_DEP_4)
	v_min_u32_e32 v31, v30, v29
	v_min_u32_e32 v50, v30, v48
	v_lshl_or_b32 v29, v34, 3, v9
	s_wait_loadcnt_dscnt 0x0
	ds_store_b8 v53, v22
	ds_store_b64 v29, v[4:5] offset:2048
	ds_store_b8 v53, v38 offset:1
	v_add_nc_u32_e32 v51, 8, v31
	v_sub_nc_u32_e32 v52, v31, v49
	ds_store_b64 v29, v[14:15] offset:2056
	ds_store_b8 v53, v39 offset:2
	ds_store_b64 v29, v[16:17] offset:2064
	ds_store_b8 v53, v28 offset:3
	;; [unrolled: 2-line block ×6, first 2 shown]
	ds_store_b64 v29, v[12:13] offset:2104
	v_min_u32_e32 v48, v30, v51
	v_min_u32_e32 v52, v50, v52
	; wave barrier
	s_delay_alu instid0(VALU_DEP_2) | instskip(NEXT) | instid1(VALU_DEP_1)
	v_sub_nc_u32_e32 v51, v48, v31
	v_sub_nc_u32_e64 v51, v50, v51 clamp
	s_delay_alu instid0(VALU_DEP_1)
	v_cmpx_lt_u32_e64 v51, v52
	s_cbranch_execz .LBB408_34
; %bb.31:
	v_add_nc_u32_e32 v53, v10, v49
	v_add3_u32 v54, v10, v31, v50
	s_mov_b32 s11, 0
.LBB408_32:                             ; =>This Inner Loop Header: Depth=1
	v_add_nc_u32_e32 v55, v52, v51
	s_delay_alu instid0(VALU_DEP_1) | instskip(NEXT) | instid1(VALU_DEP_1)
	v_lshrrev_b32_e32 v55, 1, v55
	v_xad_u32 v64, v55, -1, v54
	v_add_nc_u32_e32 v65, v53, v55
	v_add_nc_u32_e32 v66, 1, v55
	ds_load_u8 v64, v64
	ds_load_u8 v65, v65
	s_wait_dscnt 0x1
	v_and_b32_e32 v64, v64, v11
	s_wait_dscnt 0x0
	v_and_b32_e32 v65, v65, v11
	s_delay_alu instid0(VALU_DEP_2) | instskip(NEXT) | instid1(VALU_DEP_2)
	v_bfe_i32 v64, v64, 0, 8
	v_bfe_i32 v65, v65, 0, 8
	s_delay_alu instid0(VALU_DEP_1) | instskip(SKIP_1) | instid1(VALU_DEP_1)
	v_cmp_gt_i16_e64 s7, v65, v64
	s_wait_alu 0xf1ff
	v_cndmask_b32_e64 v52, v52, v55, s7
	v_cndmask_b32_e64 v51, v66, v51, s7
	s_delay_alu instid0(VALU_DEP_1)
	v_cmp_ge_u32_e64 s7, v51, v52
	s_wait_alu 0xfffe
	s_or_b32 s11, s7, s11
	s_wait_alu 0xfffe
	s_and_not1_b32 exec_lo, exec_lo, s11
	s_cbranch_execnz .LBB408_32
; %bb.33:
	s_or_b32 exec_lo, exec_lo, s11
.LBB408_34:
	s_wait_alu 0xfffe
	s_or_b32 exec_lo, exec_lo, s10
	v_add_nc_u32_e32 v52, v31, v50
	v_add_nc_u32_e32 v50, v51, v49
	s_delay_alu instid0(VALU_DEP_2) | instskip(NEXT) | instid1(VALU_DEP_2)
	v_sub_nc_u32_e32 v49, v52, v51
	v_cmp_le_u32_e64 s7, v50, v31
	s_delay_alu instid0(VALU_DEP_2)
	v_cmp_le_u32_e64 s10, v49, v48
	s_or_b32 s7, s7, s10
	s_wait_alu 0xfffe
	s_and_saveexec_b32 s20, s7
	s_cbranch_execz .LBB408_40
; %bb.35:
	v_cmp_lt_u32_e64 s7, v50, v31
                                        ; implicit-def: $vgpr22
	s_and_saveexec_b32 s10, s7
; %bb.36:
	v_add_nc_u32_e32 v4, v10, v50
	ds_load_u8 v22, v4
; %bb.37:
	s_wait_alu 0xfffe
	s_or_b32 exec_lo, exec_lo, s10
	v_cmp_ge_u32_e64 s10, v49, v48
	s_mov_b32 s12, exec_lo
                                        ; implicit-def: $vgpr23
	v_cmpx_lt_u32_e64 v49, v48
; %bb.38:
	v_add_nc_u32_e32 v4, v10, v49
	ds_load_u8 v23, v4
; %bb.39:
	s_wait_alu 0xfffe
	s_or_b32 exec_lo, exec_lo, s12
	s_wait_dscnt 0x0
	v_and_b32_e32 v4, v23, v11
	v_and_b32_e32 v5, v22, v11
	s_delay_alu instid0(VALU_DEP_2) | instskip(NEXT) | instid1(VALU_DEP_2)
	v_bfe_i32 v4, v4, 0, 8
	v_bfe_i32 v5, v5, 0, 8
	s_delay_alu instid0(VALU_DEP_1)
	v_cmp_le_i16_e64 s11, v5, v4
	s_and_b32 s7, s7, s11
	s_wait_alu 0xfffe
	s_or_b32 s7, s10, s7
	s_wait_alu 0xfffe
	v_cndmask_b32_e64 v4, v49, v50, s7
	v_cndmask_b32_e64 v5, v48, v31, s7
	s_delay_alu instid0(VALU_DEP_2) | instskip(NEXT) | instid1(VALU_DEP_2)
	v_add_nc_u32_e32 v12, 1, v4
	v_add_nc_u32_e32 v5, -1, v5
	v_lshl_add_u32 v4, v4, 3, v9
	s_delay_alu instid0(VALU_DEP_3) | instskip(NEXT) | instid1(VALU_DEP_3)
	v_cndmask_b32_e64 v14, v50, v12, s7
	v_min_u32_e32 v5, v12, v5
	v_cndmask_b32_e64 v12, v12, v49, s7
	s_delay_alu instid0(VALU_DEP_3) | instskip(NEXT) | instid1(VALU_DEP_3)
	v_cmp_lt_u32_e64 s10, v14, v31
	v_add_nc_u32_e32 v5, v10, v5
	s_delay_alu instid0(VALU_DEP_3)
	v_cmp_ge_u32_e64 s12, v12, v48
	ds_load_u8 v5, v5
	s_wait_dscnt 0x0
	v_cndmask_b32_e64 v28, v5, v23, s7
	v_cndmask_b32_e64 v35, v22, v5, s7
	;; [unrolled: 1-line block ×3, first 2 shown]
	s_delay_alu instid0(VALU_DEP_3) | instskip(NEXT) | instid1(VALU_DEP_3)
	v_and_b32_e32 v5, v28, v11
	v_and_b32_e32 v13, v35, v11
	s_delay_alu instid0(VALU_DEP_2) | instskip(NEXT) | instid1(VALU_DEP_2)
	v_bfe_i32 v5, v5, 0, 8
	v_bfe_i32 v13, v13, 0, 8
	s_delay_alu instid0(VALU_DEP_1)
	v_cmp_le_i16_e64 s11, v13, v5
	s_and_b32 s10, s10, s11
	s_wait_alu 0xfffe
	s_or_b32 s10, s12, s10
	s_wait_alu 0xfffe
	v_cndmask_b32_e64 v5, v12, v14, s10
	v_cndmask_b32_e64 v13, v48, v31, s10
	;; [unrolled: 1-line block ×3, first 2 shown]
	s_delay_alu instid0(VALU_DEP_3) | instskip(NEXT) | instid1(VALU_DEP_3)
	v_add_nc_u32_e32 v15, 1, v5
	v_add_nc_u32_e32 v13, -1, v13
	s_delay_alu instid0(VALU_DEP_2) | instskip(NEXT) | instid1(VALU_DEP_2)
	v_cndmask_b32_e64 v14, v14, v15, s10
	v_min_u32_e32 v13, v15, v13
	v_cndmask_b32_e64 v12, v15, v12, s10
	s_delay_alu instid0(VALU_DEP_3) | instskip(NEXT) | instid1(VALU_DEP_3)
	v_cmp_lt_u32_e64 s11, v14, v31
	v_add_nc_u32_e32 v13, v10, v13
	s_delay_alu instid0(VALU_DEP_3) | instskip(SKIP_4) | instid1(VALU_DEP_2)
	v_cmp_ge_u32_e64 s13, v12, v48
	ds_load_u8 v13, v13
	s_wait_dscnt 0x0
	v_cndmask_b32_e64 v36, v13, v28, s10
	v_cndmask_b32_e64 v37, v35, v13, s10
	v_and_b32_e32 v13, v36, v11
	s_delay_alu instid0(VALU_DEP_2) | instskip(NEXT) | instid1(VALU_DEP_2)
	v_and_b32_e32 v16, v37, v11
	v_bfe_i32 v13, v13, 0, 8
	s_delay_alu instid0(VALU_DEP_2) | instskip(NEXT) | instid1(VALU_DEP_1)
	v_bfe_i32 v16, v16, 0, 8
	v_cmp_le_i16_e64 s12, v16, v13
	s_and_b32 s11, s11, s12
	s_wait_alu 0xfffe
	s_or_b32 s11, s13, s11
	s_wait_alu 0xfffe
	v_cndmask_b32_e64 v13, v12, v14, s11
	v_cndmask_b32_e64 v15, v48, v31, s11
	;; [unrolled: 1-line block ×3, first 2 shown]
	s_delay_alu instid0(VALU_DEP_3) | instskip(NEXT) | instid1(VALU_DEP_3)
	v_add_nc_u32_e32 v16, 1, v13
	v_add_nc_u32_e32 v15, -1, v15
	v_lshl_add_u32 v13, v13, 3, v9
	s_delay_alu instid0(VALU_DEP_3) | instskip(NEXT) | instid1(VALU_DEP_3)
	v_cndmask_b32_e64 v14, v14, v16, s11
	v_min_u32_e32 v15, v16, v15
	v_cndmask_b32_e64 v12, v16, v12, s11
	s_delay_alu instid0(VALU_DEP_3) | instskip(NEXT) | instid1(VALU_DEP_3)
	v_cmp_lt_u32_e64 s12, v14, v31
	v_add_nc_u32_e32 v15, v10, v15
	s_delay_alu instid0(VALU_DEP_3) | instskip(SKIP_4) | instid1(VALU_DEP_2)
	v_cmp_ge_u32_e64 s14, v12, v48
	ds_load_u8 v15, v15
	s_wait_dscnt 0x0
	v_cndmask_b32_e64 v49, v15, v36, s11
	v_cndmask_b32_e64 v50, v37, v15, s11
	v_and_b32_e32 v15, v49, v11
	s_delay_alu instid0(VALU_DEP_2) | instskip(NEXT) | instid1(VALU_DEP_2)
	v_and_b32_e32 v17, v50, v11
	v_bfe_i32 v15, v15, 0, 8
	s_delay_alu instid0(VALU_DEP_2) | instskip(NEXT) | instid1(VALU_DEP_1)
	v_bfe_i32 v17, v17, 0, 8
	v_cmp_le_i16_e64 s13, v17, v15
	s_and_b32 s12, s12, s13
	s_wait_alu 0xfffe
	s_or_b32 s12, s14, s12
	s_wait_alu 0xfffe
	v_cndmask_b32_e64 v18, v12, v14, s12
	v_cndmask_b32_e64 v15, v48, v31, s12
	v_cndmask_b32_e64 v28, v49, v50, s12
	s_delay_alu instid0(VALU_DEP_3) | instskip(NEXT) | instid1(VALU_DEP_3)
	v_add_nc_u32_e32 v16, 1, v18
	v_add_nc_u32_e32 v15, -1, v15
	s_delay_alu instid0(VALU_DEP_2) | instskip(NEXT) | instid1(VALU_DEP_2)
	v_cndmask_b32_e64 v14, v14, v16, s12
	v_min_u32_e32 v15, v16, v15
	v_cndmask_b32_e64 v12, v16, v12, s12
	s_delay_alu instid0(VALU_DEP_3) | instskip(NEXT) | instid1(VALU_DEP_3)
	v_cmp_lt_u32_e64 s13, v14, v31
	v_add_nc_u32_e32 v15, v10, v15
	s_delay_alu instid0(VALU_DEP_3) | instskip(SKIP_4) | instid1(VALU_DEP_2)
	v_cmp_ge_u32_e64 s15, v12, v48
	ds_load_u8 v15, v15
	s_wait_dscnt 0x0
	v_cndmask_b32_e64 v51, v15, v49, s12
	v_cndmask_b32_e64 v52, v50, v15, s12
	v_and_b32_e32 v15, v51, v11
	s_delay_alu instid0(VALU_DEP_2) | instskip(NEXT) | instid1(VALU_DEP_2)
	v_and_b32_e32 v17, v52, v11
	v_bfe_i32 v15, v15, 0, 8
	s_delay_alu instid0(VALU_DEP_2) | instskip(NEXT) | instid1(VALU_DEP_1)
	v_bfe_i32 v17, v17, 0, 8
	v_cmp_le_i16_e64 s14, v17, v15
	s_and_b32 s13, s13, s14
	s_wait_alu 0xfffe
	s_or_b32 s13, s15, s13
	s_wait_alu 0xfffe
	v_cndmask_b32_e64 v19, v12, v14, s13
	v_cndmask_b32_e64 v15, v48, v31, s13
	v_cndmask_b32_e64 v23, v51, v52, s13
	s_delay_alu instid0(VALU_DEP_3) | instskip(NEXT) | instid1(VALU_DEP_3)
	v_add_nc_u32_e32 v16, 1, v19
	v_add_nc_u32_e32 v15, -1, v15
	s_delay_alu instid0(VALU_DEP_2) | instskip(NEXT) | instid1(VALU_DEP_2)
	;; [unrolled: 30-line block ×4, first 2 shown]
	v_cndmask_b32_e64 v24, v14, v16, s15
	v_min_u32_e32 v15, v16, v15
	v_cndmask_b32_e64 v12, v16, v12, s15
	v_lshl_add_u32 v16, v5, 3, v9
	s_delay_alu instid0(VALU_DEP_4) | instskip(NEXT) | instid1(VALU_DEP_4)
	v_cmp_lt_u32_e64 s16, v24, v31
	v_add_nc_u32_e32 v15, v10, v15
	s_delay_alu instid0(VALU_DEP_4)
	v_cmp_ge_u32_e64 s18, v12, v48
	v_lshl_add_u32 v31, v21, 3, v9
	ds_load_u8 v15, v15
	s_wait_dscnt 0x0
	v_cndmask_b32_e64 v65, v15, v55, s15
	v_cndmask_b32_e64 v66, v64, v15, s15
	s_delay_alu instid0(VALU_DEP_2) | instskip(NEXT) | instid1(VALU_DEP_2)
	v_and_b32_e32 v15, v65, v11
	v_and_b32_e32 v17, v66, v11
	s_delay_alu instid0(VALU_DEP_2) | instskip(NEXT) | instid1(VALU_DEP_2)
	v_bfe_i32 v14, v15, 0, 8
	v_bfe_i32 v15, v17, 0, 8
	s_delay_alu instid0(VALU_DEP_1)
	v_cmp_le_i16_e64 s17, v15, v14
	ds_load_b64 v[4:5], v4 offset:2048
	ds_load_b64 v[14:15], v16 offset:2048
	;; [unrolled: 1-line block ×3, first 2 shown]
	v_lshl_add_u32 v13, v18, 3, v9
	v_lshl_add_u32 v18, v19, 3, v9
	s_and_b32 s16, s16, s17
	v_lshl_add_u32 v19, v20, 3, v9
	s_wait_alu 0xfffe
	s_or_b32 s16, s18, s16
	s_wait_alu 0xfffe
	v_cndmask_b32_e64 v12, v12, v24, s16
	v_cndmask_b32_e64 v36, v65, v66, s16
	s_delay_alu instid0(VALU_DEP_2)
	v_lshl_add_u32 v12, v12, 3, v9
	ds_load_b64 v[24:25], v13 offset:2048
	ds_load_b64 v[26:27], v18 offset:2048
	;; [unrolled: 1-line block ×5, first 2 shown]
.LBB408_40:
	s_wait_alu 0xfffe
	s_or_b32 exec_lo, exec_lo, s20
	v_and_b32_e32 v50, 0xe0, v34
	v_and_b32_e32 v51, 24, v34
	s_mov_b32 s10, exec_lo
	; wave barrier
	s_delay_alu instid0(VALU_DEP_2) | instskip(NEXT) | instid1(VALU_DEP_2)
	v_or_b32_e32 v31, 16, v50
	v_min_u32_e32 v51, v30, v51
	s_delay_alu instid0(VALU_DEP_2)
	v_min_u32_e32 v48, v30, v31
	v_add_nc_u32_e32 v31, v10, v34
	ds_store_b8 v31, v22
	s_wait_dscnt 0x8
	ds_store_b64 v29, v[4:5] offset:2048
	ds_store_b8 v31, v38 offset:1
	s_wait_dscnt 0x9
	ds_store_b64 v29, v[14:15] offset:2056
	v_add_nc_u32_e32 v49, 16, v48
	v_sub_nc_u32_e32 v53, v48, v50
	ds_store_b8 v31, v39 offset:2
	s_wait_dscnt 0xa
	ds_store_b64 v29, v[16:17] offset:2064
	ds_store_b8 v31, v28 offset:3
	s_wait_dscnt 0xb
	ds_store_b64 v29, v[24:25] offset:2072
	;; [unrolled: 3-line block ×6, first 2 shown]
	v_min_u32_e32 v49, v30, v49
	v_min_u32_e32 v53, v51, v53
	; wave barrier
	s_delay_alu instid0(VALU_DEP_2) | instskip(NEXT) | instid1(VALU_DEP_1)
	v_sub_nc_u32_e32 v52, v49, v48
	v_sub_nc_u32_e64 v52, v51, v52 clamp
	s_delay_alu instid0(VALU_DEP_1)
	v_cmpx_lt_u32_e64 v52, v53
	s_cbranch_execz .LBB408_44
; %bb.41:
	v_add_nc_u32_e32 v54, v10, v50
	v_add3_u32 v55, v10, v48, v51
	s_mov_b32 s11, 0
.LBB408_42:                             ; =>This Inner Loop Header: Depth=1
	v_add_nc_u32_e32 v64, v53, v52
	s_delay_alu instid0(VALU_DEP_1) | instskip(NEXT) | instid1(VALU_DEP_1)
	v_lshrrev_b32_e32 v64, 1, v64
	v_xad_u32 v65, v64, -1, v55
	v_add_nc_u32_e32 v66, v54, v64
	v_add_nc_u32_e32 v67, 1, v64
	ds_load_u8 v65, v65
	ds_load_u8 v66, v66
	s_wait_dscnt 0x1
	v_and_b32_e32 v65, v65, v11
	s_wait_dscnt 0x0
	v_and_b32_e32 v66, v66, v11
	s_delay_alu instid0(VALU_DEP_2) | instskip(NEXT) | instid1(VALU_DEP_2)
	v_bfe_i32 v65, v65, 0, 8
	v_bfe_i32 v66, v66, 0, 8
	s_delay_alu instid0(VALU_DEP_1) | instskip(SKIP_1) | instid1(VALU_DEP_1)
	v_cmp_gt_i16_e64 s7, v66, v65
	s_wait_alu 0xf1ff
	v_cndmask_b32_e64 v53, v53, v64, s7
	v_cndmask_b32_e64 v52, v67, v52, s7
	s_delay_alu instid0(VALU_DEP_1)
	v_cmp_ge_u32_e64 s7, v52, v53
	s_wait_alu 0xfffe
	s_or_b32 s11, s7, s11
	s_wait_alu 0xfffe
	s_and_not1_b32 exec_lo, exec_lo, s11
	s_cbranch_execnz .LBB408_42
; %bb.43:
	s_or_b32 exec_lo, exec_lo, s11
.LBB408_44:
	s_wait_alu 0xfffe
	s_or_b32 exec_lo, exec_lo, s10
	v_add_nc_u32_e32 v53, v48, v51
	v_add_nc_u32_e32 v51, v52, v50
	s_delay_alu instid0(VALU_DEP_2) | instskip(NEXT) | instid1(VALU_DEP_2)
	v_sub_nc_u32_e32 v50, v53, v52
	v_cmp_le_u32_e64 s7, v51, v48
	s_delay_alu instid0(VALU_DEP_2)
	v_cmp_le_u32_e64 s10, v50, v49
	s_or_b32 s7, s7, s10
	s_wait_alu 0xfffe
	s_and_saveexec_b32 s20, s7
	s_cbranch_execz .LBB408_50
; %bb.45:
	v_cmp_lt_u32_e64 s7, v51, v48
                                        ; implicit-def: $vgpr22
	s_and_saveexec_b32 s10, s7
; %bb.46:
	v_add_nc_u32_e32 v4, v10, v51
	ds_load_u8 v22, v4
; %bb.47:
	s_wait_alu 0xfffe
	s_or_b32 exec_lo, exec_lo, s10
	v_cmp_ge_u32_e64 s10, v50, v49
	s_mov_b32 s12, exec_lo
                                        ; implicit-def: $vgpr23
	v_cmpx_lt_u32_e64 v50, v49
; %bb.48:
	v_add_nc_u32_e32 v4, v10, v50
	ds_load_u8 v23, v4
; %bb.49:
	s_wait_alu 0xfffe
	s_or_b32 exec_lo, exec_lo, s12
	s_wait_dscnt 0x0
	v_and_b32_e32 v4, v23, v11
	v_and_b32_e32 v5, v22, v11
	s_delay_alu instid0(VALU_DEP_2) | instskip(NEXT) | instid1(VALU_DEP_2)
	v_bfe_i32 v4, v4, 0, 8
	v_bfe_i32 v5, v5, 0, 8
	s_delay_alu instid0(VALU_DEP_1)
	v_cmp_le_i16_e64 s11, v5, v4
	s_and_b32 s7, s7, s11
	s_wait_alu 0xfffe
	s_or_b32 s7, s10, s7
	s_wait_alu 0xfffe
	v_cndmask_b32_e64 v4, v50, v51, s7
	v_cndmask_b32_e64 v5, v49, v48, s7
	s_delay_alu instid0(VALU_DEP_2) | instskip(NEXT) | instid1(VALU_DEP_2)
	v_add_nc_u32_e32 v12, 1, v4
	v_add_nc_u32_e32 v5, -1, v5
	v_lshl_add_u32 v4, v4, 3, v9
	s_delay_alu instid0(VALU_DEP_3) | instskip(NEXT) | instid1(VALU_DEP_3)
	v_cndmask_b32_e64 v14, v51, v12, s7
	v_min_u32_e32 v5, v12, v5
	v_cndmask_b32_e64 v12, v12, v50, s7
	s_delay_alu instid0(VALU_DEP_3) | instskip(NEXT) | instid1(VALU_DEP_3)
	v_cmp_lt_u32_e64 s10, v14, v48
	v_add_nc_u32_e32 v5, v10, v5
	s_delay_alu instid0(VALU_DEP_3)
	v_cmp_ge_u32_e64 s12, v12, v49
	ds_load_u8 v5, v5
	s_wait_dscnt 0x0
	v_cndmask_b32_e64 v28, v5, v23, s7
	v_cndmask_b32_e64 v35, v22, v5, s7
	;; [unrolled: 1-line block ×3, first 2 shown]
	s_delay_alu instid0(VALU_DEP_3) | instskip(NEXT) | instid1(VALU_DEP_3)
	v_and_b32_e32 v5, v28, v11
	v_and_b32_e32 v13, v35, v11
	s_delay_alu instid0(VALU_DEP_2) | instskip(NEXT) | instid1(VALU_DEP_2)
	v_bfe_i32 v5, v5, 0, 8
	v_bfe_i32 v13, v13, 0, 8
	s_delay_alu instid0(VALU_DEP_1)
	v_cmp_le_i16_e64 s11, v13, v5
	s_and_b32 s10, s10, s11
	s_wait_alu 0xfffe
	s_or_b32 s10, s12, s10
	s_wait_alu 0xfffe
	v_cndmask_b32_e64 v5, v12, v14, s10
	v_cndmask_b32_e64 v13, v49, v48, s10
	s_delay_alu instid0(VALU_DEP_2) | instskip(NEXT) | instid1(VALU_DEP_2)
	v_add_nc_u32_e32 v15, 1, v5
	v_add_nc_u32_e32 v13, -1, v13
	s_delay_alu instid0(VALU_DEP_2) | instskip(NEXT) | instid1(VALU_DEP_2)
	v_cndmask_b32_e64 v14, v14, v15, s10
	v_min_u32_e32 v13, v15, v13
	v_cndmask_b32_e64 v12, v15, v12, s10
	s_delay_alu instid0(VALU_DEP_3) | instskip(NEXT) | instid1(VALU_DEP_3)
	v_cmp_lt_u32_e64 s11, v14, v48
	v_add_nc_u32_e32 v13, v10, v13
	s_delay_alu instid0(VALU_DEP_3) | instskip(SKIP_4) | instid1(VALU_DEP_2)
	v_cmp_ge_u32_e64 s13, v12, v49
	ds_load_u8 v13, v13
	s_wait_dscnt 0x0
	v_cndmask_b32_e64 v36, v13, v28, s10
	v_cndmask_b32_e64 v37, v35, v13, s10
	v_and_b32_e32 v13, v36, v11
	s_delay_alu instid0(VALU_DEP_2) | instskip(NEXT) | instid1(VALU_DEP_2)
	v_and_b32_e32 v16, v37, v11
	v_bfe_i32 v13, v13, 0, 8
	s_delay_alu instid0(VALU_DEP_2) | instskip(NEXT) | instid1(VALU_DEP_1)
	v_bfe_i32 v16, v16, 0, 8
	v_cmp_le_i16_e64 s12, v16, v13
	s_and_b32 s11, s11, s12
	s_wait_alu 0xfffe
	s_or_b32 s11, s13, s11
	s_wait_alu 0xfffe
	v_cndmask_b32_e64 v13, v12, v14, s11
	v_cndmask_b32_e64 v15, v49, v48, s11
	;; [unrolled: 1-line block ×3, first 2 shown]
	s_delay_alu instid0(VALU_DEP_3) | instskip(NEXT) | instid1(VALU_DEP_3)
	v_add_nc_u32_e32 v16, 1, v13
	v_add_nc_u32_e32 v15, -1, v15
	v_lshl_add_u32 v13, v13, 3, v9
	s_delay_alu instid0(VALU_DEP_3) | instskip(NEXT) | instid1(VALU_DEP_3)
	v_cndmask_b32_e64 v14, v14, v16, s11
	v_min_u32_e32 v15, v16, v15
	v_cndmask_b32_e64 v12, v16, v12, s11
	s_delay_alu instid0(VALU_DEP_3) | instskip(NEXT) | instid1(VALU_DEP_3)
	v_cmp_lt_u32_e64 s12, v14, v48
	v_add_nc_u32_e32 v15, v10, v15
	s_delay_alu instid0(VALU_DEP_3) | instskip(SKIP_4) | instid1(VALU_DEP_2)
	v_cmp_ge_u32_e64 s14, v12, v49
	ds_load_u8 v15, v15
	s_wait_dscnt 0x0
	v_cndmask_b32_e64 v50, v15, v36, s11
	v_cndmask_b32_e64 v51, v37, v15, s11
	v_and_b32_e32 v15, v50, v11
	s_delay_alu instid0(VALU_DEP_2) | instskip(NEXT) | instid1(VALU_DEP_2)
	v_and_b32_e32 v17, v51, v11
	v_bfe_i32 v15, v15, 0, 8
	s_delay_alu instid0(VALU_DEP_2) | instskip(NEXT) | instid1(VALU_DEP_1)
	v_bfe_i32 v17, v17, 0, 8
	v_cmp_le_i16_e64 s13, v17, v15
	s_and_b32 s12, s12, s13
	s_wait_alu 0xfffe
	s_or_b32 s12, s14, s12
	s_wait_alu 0xfffe
	v_cndmask_b32_e64 v18, v12, v14, s12
	v_cndmask_b32_e64 v15, v49, v48, s12
	s_delay_alu instid0(VALU_DEP_2) | instskip(NEXT) | instid1(VALU_DEP_2)
	v_add_nc_u32_e32 v16, 1, v18
	v_add_nc_u32_e32 v15, -1, v15
	s_delay_alu instid0(VALU_DEP_2) | instskip(NEXT) | instid1(VALU_DEP_2)
	v_cndmask_b32_e64 v14, v14, v16, s12
	v_min_u32_e32 v15, v16, v15
	v_cndmask_b32_e64 v12, v16, v12, s12
	s_delay_alu instid0(VALU_DEP_3) | instskip(NEXT) | instid1(VALU_DEP_3)
	v_cmp_lt_u32_e64 s13, v14, v48
	v_add_nc_u32_e32 v15, v10, v15
	s_delay_alu instid0(VALU_DEP_3) | instskip(SKIP_4) | instid1(VALU_DEP_2)
	v_cmp_ge_u32_e64 s15, v12, v49
	ds_load_u8 v15, v15
	s_wait_dscnt 0x0
	v_cndmask_b32_e64 v52, v15, v50, s12
	v_cndmask_b32_e64 v53, v51, v15, s12
	v_and_b32_e32 v15, v52, v11
	s_delay_alu instid0(VALU_DEP_2) | instskip(NEXT) | instid1(VALU_DEP_2)
	v_and_b32_e32 v17, v53, v11
	v_bfe_i32 v15, v15, 0, 8
	s_delay_alu instid0(VALU_DEP_2) | instskip(NEXT) | instid1(VALU_DEP_1)
	v_bfe_i32 v17, v17, 0, 8
	v_cmp_le_i16_e64 s14, v17, v15
	s_and_b32 s13, s13, s14
	s_wait_alu 0xfffe
	s_or_b32 s13, s15, s13
	s_wait_alu 0xfffe
	v_cndmask_b32_e64 v19, v12, v14, s13
	v_cndmask_b32_e64 v15, v49, v48, s13
	v_cndmask_b32_e64 v23, v52, v53, s13
	s_delay_alu instid0(VALU_DEP_3) | instskip(NEXT) | instid1(VALU_DEP_3)
	v_add_nc_u32_e32 v16, 1, v19
	v_add_nc_u32_e32 v15, -1, v15
	s_delay_alu instid0(VALU_DEP_2) | instskip(NEXT) | instid1(VALU_DEP_2)
	v_cndmask_b32_e64 v14, v14, v16, s13
	v_min_u32_e32 v15, v16, v15
	v_cndmask_b32_e64 v12, v16, v12, s13
	s_delay_alu instid0(VALU_DEP_3) | instskip(NEXT) | instid1(VALU_DEP_3)
	v_cmp_lt_u32_e64 s14, v14, v48
	v_add_nc_u32_e32 v15, v10, v15
	s_delay_alu instid0(VALU_DEP_3) | instskip(SKIP_4) | instid1(VALU_DEP_2)
	v_cmp_ge_u32_e64 s16, v12, v49
	ds_load_u8 v15, v15
	s_wait_dscnt 0x0
	v_cndmask_b32_e64 v54, v15, v52, s13
	v_cndmask_b32_e64 v55, v53, v15, s13
	v_and_b32_e32 v15, v54, v11
	s_delay_alu instid0(VALU_DEP_2) | instskip(NEXT) | instid1(VALU_DEP_2)
	v_and_b32_e32 v17, v55, v11
	v_bfe_i32 v15, v15, 0, 8
	s_delay_alu instid0(VALU_DEP_2) | instskip(NEXT) | instid1(VALU_DEP_1)
	v_bfe_i32 v17, v17, 0, 8
	v_cmp_le_i16_e64 s15, v17, v15
	s_and_b32 s14, s14, s15
	s_wait_alu 0xfffe
	s_or_b32 s14, s16, s14
	s_wait_alu 0xfffe
	v_cndmask_b32_e64 v20, v12, v14, s14
	v_cndmask_b32_e64 v15, v49, v48, s14
	;; [unrolled: 1-line block ×3, first 2 shown]
	s_delay_alu instid0(VALU_DEP_3) | instskip(NEXT) | instid1(VALU_DEP_3)
	v_add_nc_u32_e32 v16, 1, v20
	v_add_nc_u32_e32 v15, -1, v15
	s_delay_alu instid0(VALU_DEP_2) | instskip(NEXT) | instid1(VALU_DEP_2)
	v_cndmask_b32_e64 v14, v14, v16, s14
	v_min_u32_e32 v15, v16, v15
	v_cndmask_b32_e64 v12, v16, v12, s14
	s_delay_alu instid0(VALU_DEP_3) | instskip(NEXT) | instid1(VALU_DEP_3)
	v_cmp_lt_u32_e64 s15, v14, v48
	v_add_nc_u32_e32 v15, v10, v15
	s_delay_alu instid0(VALU_DEP_3) | instskip(SKIP_4) | instid1(VALU_DEP_2)
	v_cmp_ge_u32_e64 s17, v12, v49
	ds_load_u8 v15, v15
	s_wait_dscnt 0x0
	v_cndmask_b32_e64 v64, v15, v54, s14
	v_cndmask_b32_e64 v65, v55, v15, s14
	v_and_b32_e32 v15, v64, v11
	s_delay_alu instid0(VALU_DEP_2) | instskip(NEXT) | instid1(VALU_DEP_2)
	v_and_b32_e32 v17, v65, v11
	v_bfe_i32 v15, v15, 0, 8
	s_delay_alu instid0(VALU_DEP_2) | instskip(NEXT) | instid1(VALU_DEP_1)
	v_bfe_i32 v17, v17, 0, 8
	v_cmp_le_i16_e64 s16, v17, v15
	s_and_b32 s15, s15, s16
	s_wait_alu 0xfffe
	s_or_b32 s15, s17, s15
	s_wait_alu 0xfffe
	v_cndmask_b32_e64 v21, v12, v14, s15
	v_cndmask_b32_e64 v15, v49, v48, s15
	s_delay_alu instid0(VALU_DEP_2) | instskip(NEXT) | instid1(VALU_DEP_2)
	v_add_nc_u32_e32 v16, 1, v21
	v_add_nc_u32_e32 v15, -1, v15
	v_lshl_add_u32 v38, v21, 3, v9
	s_delay_alu instid0(VALU_DEP_3) | instskip(NEXT) | instid1(VALU_DEP_3)
	v_cndmask_b32_e64 v24, v14, v16, s15
	v_min_u32_e32 v15, v16, v15
	v_cndmask_b32_e64 v12, v16, v12, s15
	v_lshl_add_u32 v16, v5, 3, v9
	s_delay_alu instid0(VALU_DEP_4) | instskip(NEXT) | instid1(VALU_DEP_4)
	v_cmp_lt_u32_e64 s16, v24, v48
	v_add_nc_u32_e32 v15, v10, v15
	s_delay_alu instid0(VALU_DEP_4) | instskip(SKIP_4) | instid1(VALU_DEP_2)
	v_cmp_ge_u32_e64 s18, v12, v49
	ds_load_u8 v15, v15
	s_wait_dscnt 0x0
	v_cndmask_b32_e64 v66, v15, v64, s15
	v_cndmask_b32_e64 v67, v65, v15, s15
	v_and_b32_e32 v15, v66, v11
	s_delay_alu instid0(VALU_DEP_2) | instskip(NEXT) | instid1(VALU_DEP_2)
	v_and_b32_e32 v17, v67, v11
	v_bfe_i32 v14, v15, 0, 8
	s_delay_alu instid0(VALU_DEP_2) | instskip(NEXT) | instid1(VALU_DEP_1)
	v_bfe_i32 v15, v17, 0, 8
	v_cmp_le_i16_e64 s17, v15, v14
	ds_load_b64 v[4:5], v4 offset:2048
	ds_load_b64 v[14:15], v16 offset:2048
	;; [unrolled: 1-line block ×3, first 2 shown]
	v_lshl_add_u32 v13, v18, 3, v9
	v_lshl_add_u32 v18, v19, 3, v9
	s_and_b32 s16, s16, s17
	v_lshl_add_u32 v19, v20, 3, v9
	s_wait_alu 0xfffe
	s_or_b32 s16, s18, s16
	s_wait_alu 0xfffe
	v_cndmask_b32_e64 v12, v12, v24, s16
	v_cndmask_b32_e64 v36, v66, v67, s16
	s_delay_alu instid0(VALU_DEP_2)
	v_lshl_add_u32 v12, v12, 3, v9
	ds_load_b64 v[24:25], v13 offset:2048
	ds_load_b64 v[26:27], v18 offset:2048
	;; [unrolled: 1-line block ×5, first 2 shown]
	v_cndmask_b32_e64 v38, v28, v35, s10
	v_cndmask_b32_e64 v28, v50, v51, s12
	v_cndmask_b32_e64 v35, v64, v65, s15
.LBB408_50:
	s_wait_alu 0xfffe
	s_or_b32 exec_lo, exec_lo, s20
	v_and_b32_e32 v50, 0xc0, v34
	v_and_b32_e32 v51, 56, v34
	s_mov_b32 s10, exec_lo
	; wave barrier
	s_delay_alu instid0(VALU_DEP_2) | instskip(NEXT) | instid1(VALU_DEP_2)
	v_or_b32_e32 v48, 32, v50
	v_min_u32_e32 v51, v30, v51
	ds_store_b8 v31, v22
	s_wait_dscnt 0x8
	ds_store_b64 v29, v[4:5] offset:2048
	ds_store_b8 v31, v38 offset:1
	s_wait_dscnt 0x9
	ds_store_b64 v29, v[14:15] offset:2056
	ds_store_b8 v31, v39 offset:2
	s_wait_dscnt 0xa
	ds_store_b64 v29, v[16:17] offset:2064
	ds_store_b8 v31, v28 offset:3
	v_min_u32_e32 v48, v30, v48
	s_wait_dscnt 0xb
	ds_store_b64 v29, v[24:25] offset:2072
	ds_store_b8 v31, v23 offset:4
	s_wait_dscnt 0xc
	ds_store_b64 v29, v[26:27] offset:2080
	ds_store_b8 v31, v37 offset:5
	;; [unrolled: 3-line block ×4, first 2 shown]
	s_wait_dscnt 0xf
	ds_store_b64 v29, v[12:13] offset:2104
	; wave barrier
	v_add_nc_u32_e32 v49, 32, v48
	v_sub_nc_u32_e32 v53, v48, v50
	s_delay_alu instid0(VALU_DEP_2) | instskip(NEXT) | instid1(VALU_DEP_2)
	v_min_u32_e32 v49, v30, v49
	v_min_u32_e32 v53, v51, v53
	s_delay_alu instid0(VALU_DEP_2) | instskip(NEXT) | instid1(VALU_DEP_1)
	v_sub_nc_u32_e32 v52, v49, v48
	v_sub_nc_u32_e64 v52, v51, v52 clamp
	s_delay_alu instid0(VALU_DEP_1)
	v_cmpx_lt_u32_e64 v52, v53
	s_cbranch_execz .LBB408_54
; %bb.51:
	v_add_nc_u32_e32 v54, v10, v50
	v_add3_u32 v55, v10, v48, v51
	s_mov_b32 s11, 0
.LBB408_52:                             ; =>This Inner Loop Header: Depth=1
	v_add_nc_u32_e32 v64, v53, v52
	s_delay_alu instid0(VALU_DEP_1) | instskip(NEXT) | instid1(VALU_DEP_1)
	v_lshrrev_b32_e32 v64, 1, v64
	v_xad_u32 v65, v64, -1, v55
	v_add_nc_u32_e32 v66, v54, v64
	v_add_nc_u32_e32 v67, 1, v64
	ds_load_u8 v65, v65
	ds_load_u8 v66, v66
	s_wait_dscnt 0x1
	v_and_b32_e32 v65, v65, v11
	s_wait_dscnt 0x0
	v_and_b32_e32 v66, v66, v11
	s_delay_alu instid0(VALU_DEP_2) | instskip(NEXT) | instid1(VALU_DEP_2)
	v_bfe_i32 v65, v65, 0, 8
	v_bfe_i32 v66, v66, 0, 8
	s_delay_alu instid0(VALU_DEP_1) | instskip(SKIP_1) | instid1(VALU_DEP_1)
	v_cmp_gt_i16_e64 s7, v66, v65
	s_wait_alu 0xf1ff
	v_cndmask_b32_e64 v53, v53, v64, s7
	v_cndmask_b32_e64 v52, v67, v52, s7
	s_delay_alu instid0(VALU_DEP_1)
	v_cmp_ge_u32_e64 s7, v52, v53
	s_wait_alu 0xfffe
	s_or_b32 s11, s7, s11
	s_wait_alu 0xfffe
	s_and_not1_b32 exec_lo, exec_lo, s11
	s_cbranch_execnz .LBB408_52
; %bb.53:
	s_or_b32 exec_lo, exec_lo, s11
.LBB408_54:
	s_wait_alu 0xfffe
	s_or_b32 exec_lo, exec_lo, s10
	v_add_nc_u32_e32 v53, v48, v51
	v_add_nc_u32_e32 v51, v52, v50
	s_delay_alu instid0(VALU_DEP_2) | instskip(NEXT) | instid1(VALU_DEP_2)
	v_sub_nc_u32_e32 v50, v53, v52
	v_cmp_le_u32_e64 s7, v51, v48
	s_delay_alu instid0(VALU_DEP_2)
	v_cmp_le_u32_e64 s10, v50, v49
	s_or_b32 s7, s7, s10
	s_wait_alu 0xfffe
	s_and_saveexec_b32 s20, s7
	s_cbranch_execz .LBB408_60
; %bb.55:
	v_cmp_lt_u32_e64 s7, v51, v48
                                        ; implicit-def: $vgpr22
	s_and_saveexec_b32 s10, s7
; %bb.56:
	v_add_nc_u32_e32 v4, v10, v51
	ds_load_u8 v22, v4
; %bb.57:
	s_wait_alu 0xfffe
	s_or_b32 exec_lo, exec_lo, s10
	v_cmp_ge_u32_e64 s10, v50, v49
	s_mov_b32 s12, exec_lo
                                        ; implicit-def: $vgpr23
	v_cmpx_lt_u32_e64 v50, v49
; %bb.58:
	v_add_nc_u32_e32 v4, v10, v50
	ds_load_u8 v23, v4
; %bb.59:
	s_wait_alu 0xfffe
	s_or_b32 exec_lo, exec_lo, s12
	s_wait_dscnt 0x0
	v_and_b32_e32 v4, v23, v11
	v_and_b32_e32 v5, v22, v11
	s_delay_alu instid0(VALU_DEP_2) | instskip(NEXT) | instid1(VALU_DEP_2)
	v_bfe_i32 v4, v4, 0, 8
	v_bfe_i32 v5, v5, 0, 8
	s_delay_alu instid0(VALU_DEP_1)
	v_cmp_le_i16_e64 s11, v5, v4
	s_and_b32 s7, s7, s11
	s_wait_alu 0xfffe
	s_or_b32 s7, s10, s7
	s_wait_alu 0xfffe
	v_cndmask_b32_e64 v4, v50, v51, s7
	v_cndmask_b32_e64 v5, v49, v48, s7
	s_delay_alu instid0(VALU_DEP_2) | instskip(NEXT) | instid1(VALU_DEP_2)
	v_add_nc_u32_e32 v12, 1, v4
	v_add_nc_u32_e32 v5, -1, v5
	v_lshl_add_u32 v4, v4, 3, v9
	s_delay_alu instid0(VALU_DEP_3) | instskip(NEXT) | instid1(VALU_DEP_3)
	v_cndmask_b32_e64 v14, v51, v12, s7
	v_min_u32_e32 v5, v12, v5
	v_cndmask_b32_e64 v12, v12, v50, s7
	s_delay_alu instid0(VALU_DEP_3) | instskip(NEXT) | instid1(VALU_DEP_3)
	v_cmp_lt_u32_e64 s10, v14, v48
	v_add_nc_u32_e32 v5, v10, v5
	s_delay_alu instid0(VALU_DEP_3)
	v_cmp_ge_u32_e64 s12, v12, v49
	ds_load_u8 v5, v5
	s_wait_dscnt 0x0
	v_cndmask_b32_e64 v28, v5, v23, s7
	v_cndmask_b32_e64 v35, v22, v5, s7
	;; [unrolled: 1-line block ×3, first 2 shown]
	s_delay_alu instid0(VALU_DEP_3) | instskip(NEXT) | instid1(VALU_DEP_3)
	v_and_b32_e32 v5, v28, v11
	v_and_b32_e32 v13, v35, v11
	s_delay_alu instid0(VALU_DEP_2) | instskip(NEXT) | instid1(VALU_DEP_2)
	v_bfe_i32 v5, v5, 0, 8
	v_bfe_i32 v13, v13, 0, 8
	s_delay_alu instid0(VALU_DEP_1)
	v_cmp_le_i16_e64 s11, v13, v5
	s_and_b32 s10, s10, s11
	s_wait_alu 0xfffe
	s_or_b32 s10, s12, s10
	s_wait_alu 0xfffe
	v_cndmask_b32_e64 v5, v12, v14, s10
	v_cndmask_b32_e64 v13, v49, v48, s10
	s_delay_alu instid0(VALU_DEP_2) | instskip(NEXT) | instid1(VALU_DEP_2)
	v_add_nc_u32_e32 v15, 1, v5
	v_add_nc_u32_e32 v13, -1, v13
	s_delay_alu instid0(VALU_DEP_2) | instskip(NEXT) | instid1(VALU_DEP_2)
	v_cndmask_b32_e64 v14, v14, v15, s10
	v_min_u32_e32 v13, v15, v13
	v_cndmask_b32_e64 v12, v15, v12, s10
	s_delay_alu instid0(VALU_DEP_3) | instskip(NEXT) | instid1(VALU_DEP_3)
	v_cmp_lt_u32_e64 s11, v14, v48
	v_add_nc_u32_e32 v13, v10, v13
	s_delay_alu instid0(VALU_DEP_3) | instskip(SKIP_4) | instid1(VALU_DEP_2)
	v_cmp_ge_u32_e64 s13, v12, v49
	ds_load_u8 v13, v13
	s_wait_dscnt 0x0
	v_cndmask_b32_e64 v36, v13, v28, s10
	v_cndmask_b32_e64 v37, v35, v13, s10
	v_and_b32_e32 v13, v36, v11
	s_delay_alu instid0(VALU_DEP_2) | instskip(NEXT) | instid1(VALU_DEP_2)
	v_and_b32_e32 v16, v37, v11
	v_bfe_i32 v13, v13, 0, 8
	s_delay_alu instid0(VALU_DEP_2) | instskip(NEXT) | instid1(VALU_DEP_1)
	v_bfe_i32 v16, v16, 0, 8
	v_cmp_le_i16_e64 s12, v16, v13
	s_and_b32 s11, s11, s12
	s_wait_alu 0xfffe
	s_or_b32 s11, s13, s11
	s_wait_alu 0xfffe
	v_cndmask_b32_e64 v13, v12, v14, s11
	v_cndmask_b32_e64 v15, v49, v48, s11
	;; [unrolled: 1-line block ×3, first 2 shown]
	s_delay_alu instid0(VALU_DEP_3) | instskip(NEXT) | instid1(VALU_DEP_3)
	v_add_nc_u32_e32 v16, 1, v13
	v_add_nc_u32_e32 v15, -1, v15
	v_lshl_add_u32 v13, v13, 3, v9
	s_delay_alu instid0(VALU_DEP_3) | instskip(NEXT) | instid1(VALU_DEP_3)
	v_cndmask_b32_e64 v14, v14, v16, s11
	v_min_u32_e32 v15, v16, v15
	v_cndmask_b32_e64 v12, v16, v12, s11
	s_delay_alu instid0(VALU_DEP_3) | instskip(NEXT) | instid1(VALU_DEP_3)
	v_cmp_lt_u32_e64 s12, v14, v48
	v_add_nc_u32_e32 v15, v10, v15
	s_delay_alu instid0(VALU_DEP_3) | instskip(SKIP_4) | instid1(VALU_DEP_2)
	v_cmp_ge_u32_e64 s14, v12, v49
	ds_load_u8 v15, v15
	s_wait_dscnt 0x0
	v_cndmask_b32_e64 v50, v15, v36, s11
	v_cndmask_b32_e64 v51, v37, v15, s11
	v_and_b32_e32 v15, v50, v11
	s_delay_alu instid0(VALU_DEP_2) | instskip(NEXT) | instid1(VALU_DEP_2)
	v_and_b32_e32 v17, v51, v11
	v_bfe_i32 v15, v15, 0, 8
	s_delay_alu instid0(VALU_DEP_2) | instskip(NEXT) | instid1(VALU_DEP_1)
	v_bfe_i32 v17, v17, 0, 8
	v_cmp_le_i16_e64 s13, v17, v15
	s_and_b32 s12, s12, s13
	s_wait_alu 0xfffe
	s_or_b32 s12, s14, s12
	s_wait_alu 0xfffe
	v_cndmask_b32_e64 v18, v12, v14, s12
	v_cndmask_b32_e64 v15, v49, v48, s12
	s_delay_alu instid0(VALU_DEP_2) | instskip(NEXT) | instid1(VALU_DEP_2)
	v_add_nc_u32_e32 v16, 1, v18
	v_add_nc_u32_e32 v15, -1, v15
	s_delay_alu instid0(VALU_DEP_2) | instskip(NEXT) | instid1(VALU_DEP_2)
	v_cndmask_b32_e64 v14, v14, v16, s12
	v_min_u32_e32 v15, v16, v15
	v_cndmask_b32_e64 v12, v16, v12, s12
	s_delay_alu instid0(VALU_DEP_3) | instskip(NEXT) | instid1(VALU_DEP_3)
	v_cmp_lt_u32_e64 s13, v14, v48
	v_add_nc_u32_e32 v15, v10, v15
	s_delay_alu instid0(VALU_DEP_3) | instskip(SKIP_4) | instid1(VALU_DEP_2)
	v_cmp_ge_u32_e64 s15, v12, v49
	ds_load_u8 v15, v15
	s_wait_dscnt 0x0
	v_cndmask_b32_e64 v52, v15, v50, s12
	v_cndmask_b32_e64 v53, v51, v15, s12
	v_and_b32_e32 v15, v52, v11
	s_delay_alu instid0(VALU_DEP_2) | instskip(NEXT) | instid1(VALU_DEP_2)
	v_and_b32_e32 v17, v53, v11
	v_bfe_i32 v15, v15, 0, 8
	s_delay_alu instid0(VALU_DEP_2) | instskip(NEXT) | instid1(VALU_DEP_1)
	v_bfe_i32 v17, v17, 0, 8
	v_cmp_le_i16_e64 s14, v17, v15
	s_and_b32 s13, s13, s14
	s_wait_alu 0xfffe
	s_or_b32 s13, s15, s13
	s_wait_alu 0xfffe
	v_cndmask_b32_e64 v19, v12, v14, s13
	v_cndmask_b32_e64 v15, v49, v48, s13
	;; [unrolled: 1-line block ×3, first 2 shown]
	s_delay_alu instid0(VALU_DEP_3) | instskip(NEXT) | instid1(VALU_DEP_3)
	v_add_nc_u32_e32 v16, 1, v19
	v_add_nc_u32_e32 v15, -1, v15
	s_delay_alu instid0(VALU_DEP_2) | instskip(NEXT) | instid1(VALU_DEP_2)
	v_cndmask_b32_e64 v14, v14, v16, s13
	v_min_u32_e32 v15, v16, v15
	v_cndmask_b32_e64 v12, v16, v12, s13
	s_delay_alu instid0(VALU_DEP_3) | instskip(NEXT) | instid1(VALU_DEP_3)
	v_cmp_lt_u32_e64 s14, v14, v48
	v_add_nc_u32_e32 v15, v10, v15
	s_delay_alu instid0(VALU_DEP_3) | instskip(SKIP_4) | instid1(VALU_DEP_2)
	v_cmp_ge_u32_e64 s16, v12, v49
	ds_load_u8 v15, v15
	s_wait_dscnt 0x0
	v_cndmask_b32_e64 v54, v15, v52, s13
	v_cndmask_b32_e64 v55, v53, v15, s13
	v_and_b32_e32 v15, v54, v11
	s_delay_alu instid0(VALU_DEP_2) | instskip(NEXT) | instid1(VALU_DEP_2)
	v_and_b32_e32 v17, v55, v11
	v_bfe_i32 v15, v15, 0, 8
	s_delay_alu instid0(VALU_DEP_2) | instskip(NEXT) | instid1(VALU_DEP_1)
	v_bfe_i32 v17, v17, 0, 8
	v_cmp_le_i16_e64 s15, v17, v15
	s_and_b32 s14, s14, s15
	s_wait_alu 0xfffe
	s_or_b32 s14, s16, s14
	s_wait_alu 0xfffe
	v_cndmask_b32_e64 v20, v12, v14, s14
	v_cndmask_b32_e64 v15, v49, v48, s14
	;; [unrolled: 1-line block ×3, first 2 shown]
	s_delay_alu instid0(VALU_DEP_3) | instskip(NEXT) | instid1(VALU_DEP_3)
	v_add_nc_u32_e32 v16, 1, v20
	v_add_nc_u32_e32 v15, -1, v15
	s_delay_alu instid0(VALU_DEP_2) | instskip(NEXT) | instid1(VALU_DEP_2)
	v_cndmask_b32_e64 v14, v14, v16, s14
	v_min_u32_e32 v15, v16, v15
	v_cndmask_b32_e64 v12, v16, v12, s14
	s_delay_alu instid0(VALU_DEP_3) | instskip(NEXT) | instid1(VALU_DEP_3)
	v_cmp_lt_u32_e64 s15, v14, v48
	v_add_nc_u32_e32 v15, v10, v15
	s_delay_alu instid0(VALU_DEP_3) | instskip(SKIP_4) | instid1(VALU_DEP_2)
	v_cmp_ge_u32_e64 s17, v12, v49
	ds_load_u8 v15, v15
	s_wait_dscnt 0x0
	v_cndmask_b32_e64 v64, v15, v54, s14
	v_cndmask_b32_e64 v65, v55, v15, s14
	v_and_b32_e32 v15, v64, v11
	s_delay_alu instid0(VALU_DEP_2) | instskip(NEXT) | instid1(VALU_DEP_2)
	v_and_b32_e32 v17, v65, v11
	v_bfe_i32 v15, v15, 0, 8
	s_delay_alu instid0(VALU_DEP_2) | instskip(NEXT) | instid1(VALU_DEP_1)
	v_bfe_i32 v17, v17, 0, 8
	v_cmp_le_i16_e64 s16, v17, v15
	s_and_b32 s15, s15, s16
	s_wait_alu 0xfffe
	s_or_b32 s15, s17, s15
	s_wait_alu 0xfffe
	v_cndmask_b32_e64 v21, v12, v14, s15
	v_cndmask_b32_e64 v15, v49, v48, s15
	s_delay_alu instid0(VALU_DEP_2) | instskip(NEXT) | instid1(VALU_DEP_2)
	v_add_nc_u32_e32 v16, 1, v21
	v_add_nc_u32_e32 v15, -1, v15
	v_lshl_add_u32 v38, v21, 3, v9
	s_delay_alu instid0(VALU_DEP_3) | instskip(NEXT) | instid1(VALU_DEP_3)
	v_cndmask_b32_e64 v24, v14, v16, s15
	v_min_u32_e32 v15, v16, v15
	v_cndmask_b32_e64 v12, v16, v12, s15
	v_lshl_add_u32 v16, v5, 3, v9
	s_delay_alu instid0(VALU_DEP_4) | instskip(NEXT) | instid1(VALU_DEP_4)
	v_cmp_lt_u32_e64 s16, v24, v48
	v_add_nc_u32_e32 v15, v10, v15
	s_delay_alu instid0(VALU_DEP_4) | instskip(SKIP_4) | instid1(VALU_DEP_2)
	v_cmp_ge_u32_e64 s18, v12, v49
	ds_load_u8 v15, v15
	s_wait_dscnt 0x0
	v_cndmask_b32_e64 v66, v15, v64, s15
	v_cndmask_b32_e64 v67, v65, v15, s15
	v_and_b32_e32 v15, v66, v11
	s_delay_alu instid0(VALU_DEP_2) | instskip(NEXT) | instid1(VALU_DEP_2)
	v_and_b32_e32 v17, v67, v11
	v_bfe_i32 v14, v15, 0, 8
	s_delay_alu instid0(VALU_DEP_2) | instskip(NEXT) | instid1(VALU_DEP_1)
	v_bfe_i32 v15, v17, 0, 8
	v_cmp_le_i16_e64 s17, v15, v14
	ds_load_b64 v[4:5], v4 offset:2048
	ds_load_b64 v[14:15], v16 offset:2048
	;; [unrolled: 1-line block ×3, first 2 shown]
	v_lshl_add_u32 v13, v18, 3, v9
	v_lshl_add_u32 v18, v19, 3, v9
	s_and_b32 s16, s16, s17
	v_lshl_add_u32 v19, v20, 3, v9
	s_wait_alu 0xfffe
	s_or_b32 s16, s18, s16
	s_wait_alu 0xfffe
	v_cndmask_b32_e64 v12, v12, v24, s16
	v_cndmask_b32_e64 v36, v66, v67, s16
	s_delay_alu instid0(VALU_DEP_2)
	v_lshl_add_u32 v12, v12, 3, v9
	ds_load_b64 v[24:25], v13 offset:2048
	ds_load_b64 v[26:27], v18 offset:2048
	;; [unrolled: 1-line block ×5, first 2 shown]
	v_cndmask_b32_e64 v38, v28, v35, s10
	v_cndmask_b32_e64 v28, v50, v51, s12
	;; [unrolled: 1-line block ×3, first 2 shown]
.LBB408_60:
	s_wait_alu 0xfffe
	s_or_b32 exec_lo, exec_lo, s20
	v_and_b32_e32 v49, 0x80, v34
	s_mov_b32 s10, exec_lo
	; wave barrier
	ds_store_b8 v31, v22
	s_wait_dscnt 0x8
	ds_store_b64 v29, v[4:5] offset:2048
	ds_store_b8 v31, v38 offset:1
	s_wait_dscnt 0x9
	ds_store_b64 v29, v[14:15] offset:2056
	v_or_b32_e32 v34, 64, v49
	ds_store_b8 v31, v39 offset:2
	s_wait_dscnt 0xa
	ds_store_b64 v29, v[16:17] offset:2064
	ds_store_b8 v31, v28 offset:3
	s_wait_dscnt 0xb
	ds_store_b64 v29, v[24:25] offset:2072
	;; [unrolled: 3-line block ×6, first 2 shown]
	v_min_u32_e32 v34, v30, v34
	; wave barrier
	s_delay_alu instid0(VALU_DEP_1) | instskip(SKIP_1) | instid1(VALU_DEP_2)
	v_add_nc_u32_e32 v48, 64, v34
	v_sub_nc_u32_e32 v51, v34, v49
	v_min_u32_e32 v48, v30, v48
	v_min_u32_e32 v30, v30, v32
	s_delay_alu instid0(VALU_DEP_2) | instskip(NEXT) | instid1(VALU_DEP_2)
	v_sub_nc_u32_e32 v50, v48, v34
	v_min_u32_e32 v51, v30, v51
	s_delay_alu instid0(VALU_DEP_2) | instskip(NEXT) | instid1(VALU_DEP_1)
	v_sub_nc_u32_e64 v50, v30, v50 clamp
	v_cmpx_lt_u32_e64 v50, v51
	s_cbranch_execz .LBB408_64
; %bb.61:
	v_add_nc_u32_e32 v29, v10, v49
	v_add3_u32 v31, v10, v34, v30
	s_mov_b32 s11, 0
.LBB408_62:                             ; =>This Inner Loop Header: Depth=1
	v_add_nc_u32_e32 v52, v51, v50
	s_delay_alu instid0(VALU_DEP_1) | instskip(NEXT) | instid1(VALU_DEP_1)
	v_lshrrev_b32_e32 v52, 1, v52
	v_xad_u32 v53, v52, -1, v31
	v_add_nc_u32_e32 v54, v29, v52
	v_add_nc_u32_e32 v55, 1, v52
	ds_load_u8 v53, v53
	ds_load_u8 v54, v54
	s_wait_dscnt 0x1
	v_and_b32_e32 v53, v53, v11
	s_wait_dscnt 0x0
	v_and_b32_e32 v54, v54, v11
	s_delay_alu instid0(VALU_DEP_2) | instskip(NEXT) | instid1(VALU_DEP_2)
	v_bfe_i32 v53, v53, 0, 8
	v_bfe_i32 v54, v54, 0, 8
	s_delay_alu instid0(VALU_DEP_1) | instskip(SKIP_1) | instid1(VALU_DEP_1)
	v_cmp_gt_i16_e64 s7, v54, v53
	s_wait_alu 0xf1ff
	v_cndmask_b32_e64 v51, v51, v52, s7
	v_cndmask_b32_e64 v50, v55, v50, s7
	s_delay_alu instid0(VALU_DEP_1)
	v_cmp_ge_u32_e64 s7, v50, v51
	s_wait_alu 0xfffe
	s_or_b32 s11, s7, s11
	s_wait_alu 0xfffe
	s_and_not1_b32 exec_lo, exec_lo, s11
	s_cbranch_execnz .LBB408_62
; %bb.63:
	s_or_b32 exec_lo, exec_lo, s11
.LBB408_64:
	s_wait_alu 0xfffe
	s_or_b32 exec_lo, exec_lo, s10
	v_add_nc_u32_e32 v29, v34, v30
	v_add_nc_u32_e32 v30, v50, v49
	s_delay_alu instid0(VALU_DEP_2) | instskip(NEXT) | instid1(VALU_DEP_2)
	v_sub_nc_u32_e32 v29, v29, v50
	v_cmp_le_u32_e64 s7, v30, v34
	s_delay_alu instid0(VALU_DEP_2)
	v_cmp_le_u32_e64 s10, v29, v48
	s_or_b32 s7, s7, s10
	s_wait_alu 0xfffe
	s_and_saveexec_b32 s20, s7
	s_cbranch_execz .LBB408_70
; %bb.65:
	v_cmp_lt_u32_e64 s7, v30, v34
                                        ; implicit-def: $vgpr22
	s_and_saveexec_b32 s10, s7
; %bb.66:
	v_add_nc_u32_e32 v4, v10, v30
	ds_load_u8 v22, v4
; %bb.67:
	s_wait_alu 0xfffe
	s_or_b32 exec_lo, exec_lo, s10
	v_cmp_ge_u32_e64 s10, v29, v48
	s_mov_b32 s12, exec_lo
                                        ; implicit-def: $vgpr23
	v_cmpx_lt_u32_e64 v29, v48
; %bb.68:
	v_add_nc_u32_e32 v4, v10, v29
	ds_load_u8 v23, v4
; %bb.69:
	s_wait_alu 0xfffe
	s_or_b32 exec_lo, exec_lo, s12
	s_wait_dscnt 0x0
	v_and_b32_e32 v4, v23, v11
	v_and_b32_e32 v5, v22, v11
	s_delay_alu instid0(VALU_DEP_2) | instskip(NEXT) | instid1(VALU_DEP_2)
	v_bfe_i32 v4, v4, 0, 8
	v_bfe_i32 v5, v5, 0, 8
	s_delay_alu instid0(VALU_DEP_1)
	v_cmp_le_i16_e64 s11, v5, v4
	s_and_b32 s7, s7, s11
	s_wait_alu 0xfffe
	s_or_b32 s7, s10, s7
	s_wait_alu 0xfffe
	v_cndmask_b32_e64 v4, v29, v30, s7
	v_cndmask_b32_e64 v5, v48, v34, s7
	s_delay_alu instid0(VALU_DEP_2) | instskip(NEXT) | instid1(VALU_DEP_2)
	v_add_nc_u32_e32 v12, 1, v4
	v_add_nc_u32_e32 v5, -1, v5
	v_lshl_add_u32 v4, v4, 3, v9
	s_delay_alu instid0(VALU_DEP_3) | instskip(NEXT) | instid1(VALU_DEP_3)
	v_cndmask_b32_e64 v14, v30, v12, s7
	v_min_u32_e32 v5, v12, v5
	v_cndmask_b32_e64 v12, v12, v29, s7
	s_delay_alu instid0(VALU_DEP_3) | instskip(NEXT) | instid1(VALU_DEP_3)
	v_cmp_lt_u32_e64 s10, v14, v34
	v_add_nc_u32_e32 v5, v10, v5
	s_delay_alu instid0(VALU_DEP_3)
	v_cmp_ge_u32_e64 s12, v12, v48
	ds_load_u8 v5, v5
	s_wait_dscnt 0x0
	v_cndmask_b32_e64 v28, v5, v23, s7
	v_cndmask_b32_e64 v31, v22, v5, s7
	;; [unrolled: 1-line block ×3, first 2 shown]
	s_delay_alu instid0(VALU_DEP_3) | instskip(NEXT) | instid1(VALU_DEP_3)
	v_and_b32_e32 v5, v28, v11
	v_and_b32_e32 v13, v31, v11
	s_delay_alu instid0(VALU_DEP_2) | instskip(NEXT) | instid1(VALU_DEP_2)
	v_bfe_i32 v5, v5, 0, 8
	v_bfe_i32 v13, v13, 0, 8
	s_delay_alu instid0(VALU_DEP_1)
	v_cmp_le_i16_e64 s11, v13, v5
	s_and_b32 s10, s10, s11
	s_wait_alu 0xfffe
	s_or_b32 s10, s12, s10
	s_wait_alu 0xfffe
	v_cndmask_b32_e64 v5, v12, v14, s10
	v_cndmask_b32_e64 v13, v48, v34, s10
	v_cndmask_b32_e64 v38, v28, v31, s10
	s_delay_alu instid0(VALU_DEP_3) | instskip(NEXT) | instid1(VALU_DEP_3)
	v_add_nc_u32_e32 v15, 1, v5
	v_add_nc_u32_e32 v13, -1, v13
	s_delay_alu instid0(VALU_DEP_2) | instskip(NEXT) | instid1(VALU_DEP_2)
	v_cndmask_b32_e64 v14, v14, v15, s10
	v_min_u32_e32 v13, v15, v13
	v_cndmask_b32_e64 v12, v15, v12, s10
	s_delay_alu instid0(VALU_DEP_3) | instskip(NEXT) | instid1(VALU_DEP_3)
	v_cmp_lt_u32_e64 s11, v14, v34
	v_add_nc_u32_e32 v13, v10, v13
	s_delay_alu instid0(VALU_DEP_3) | instskip(SKIP_4) | instid1(VALU_DEP_2)
	v_cmp_ge_u32_e64 s13, v12, v48
	ds_load_u8 v13, v13
	s_wait_dscnt 0x0
	v_cndmask_b32_e64 v29, v13, v28, s10
	v_cndmask_b32_e64 v30, v31, v13, s10
	v_and_b32_e32 v13, v29, v11
	s_delay_alu instid0(VALU_DEP_2) | instskip(NEXT) | instid1(VALU_DEP_2)
	v_and_b32_e32 v16, v30, v11
	v_bfe_i32 v13, v13, 0, 8
	s_delay_alu instid0(VALU_DEP_2) | instskip(NEXT) | instid1(VALU_DEP_1)
	v_bfe_i32 v16, v16, 0, 8
	v_cmp_le_i16_e64 s12, v16, v13
	s_and_b32 s11, s11, s12
	s_wait_alu 0xfffe
	s_or_b32 s11, s13, s11
	s_wait_alu 0xfffe
	v_cndmask_b32_e64 v13, v12, v14, s11
	v_cndmask_b32_e64 v15, v48, v34, s11
	v_cndmask_b32_e64 v39, v29, v30, s11
	s_delay_alu instid0(VALU_DEP_3) | instskip(NEXT) | instid1(VALU_DEP_3)
	v_add_nc_u32_e32 v16, 1, v13
	v_add_nc_u32_e32 v15, -1, v15
	s_delay_alu instid0(VALU_DEP_2) | instskip(NEXT) | instid1(VALU_DEP_2)
	v_cndmask_b32_e64 v14, v14, v16, s11
	v_min_u32_e32 v15, v16, v15
	v_cndmask_b32_e64 v12, v16, v12, s11
	s_delay_alu instid0(VALU_DEP_3) | instskip(NEXT) | instid1(VALU_DEP_3)
	v_cmp_lt_u32_e64 s12, v14, v34
	v_add_nc_u32_e32 v15, v10, v15
	s_delay_alu instid0(VALU_DEP_3) | instskip(SKIP_4) | instid1(VALU_DEP_2)
	v_cmp_ge_u32_e64 s14, v12, v48
	ds_load_u8 v15, v15
	s_wait_dscnt 0x0
	v_cndmask_b32_e64 v35, v15, v29, s11
	v_cndmask_b32_e64 v36, v30, v15, s11
	v_and_b32_e32 v15, v35, v11
	s_delay_alu instid0(VALU_DEP_2) | instskip(NEXT) | instid1(VALU_DEP_2)
	v_and_b32_e32 v17, v36, v11
	v_bfe_i32 v15, v15, 0, 8
	s_delay_alu instid0(VALU_DEP_2) | instskip(NEXT) | instid1(VALU_DEP_1)
	v_bfe_i32 v17, v17, 0, 8
	;; [unrolled: 30-line block ×5, first 2 shown]
	v_cmp_le_i16_e64 s16, v17, v15
	s_and_b32 s15, s15, s16
	s_wait_alu 0xfffe
	s_or_b32 s15, s17, s15
	s_wait_alu 0xfffe
	v_cndmask_b32_e64 v21, v12, v14, s15
	v_cndmask_b32_e64 v15, v48, v34, s15
	;; [unrolled: 1-line block ×3, first 2 shown]
	s_delay_alu instid0(VALU_DEP_3) | instskip(NEXT) | instid1(VALU_DEP_3)
	v_add_nc_u32_e32 v16, 1, v21
	v_add_nc_u32_e32 v15, -1, v15
	s_delay_alu instid0(VALU_DEP_2) | instskip(NEXT) | instid1(VALU_DEP_2)
	v_cndmask_b32_e64 v24, v14, v16, s15
	v_min_u32_e32 v15, v16, v15
	v_cndmask_b32_e64 v12, v16, v12, s15
	s_delay_alu instid0(VALU_DEP_3) | instskip(NEXT) | instid1(VALU_DEP_3)
	v_cmp_lt_u32_e64 s16, v24, v34
	v_add_nc_u32_e32 v10, v10, v15
	s_delay_alu instid0(VALU_DEP_3) | instskip(SKIP_4) | instid1(VALU_DEP_2)
	v_cmp_ge_u32_e64 s18, v12, v48
	ds_load_u8 v10, v10
	s_wait_dscnt 0x0
	v_cndmask_b32_e64 v54, v10, v52, s15
	v_cndmask_b32_e64 v10, v53, v10, s15
	v_and_b32_e32 v15, v54, v11
	s_delay_alu instid0(VALU_DEP_2) | instskip(NEXT) | instid1(VALU_DEP_2)
	v_and_b32_e32 v11, v10, v11
	v_bfe_i32 v14, v15, 0, 8
	s_delay_alu instid0(VALU_DEP_2) | instskip(SKIP_1) | instid1(VALU_DEP_2)
	v_bfe_i32 v11, v11, 0, 8
	v_lshl_add_u32 v15, v5, 3, v9
	v_cmp_le_i16_e64 s17, v11, v14
	v_lshl_add_u32 v11, v13, 3, v9
	ds_load_b64 v[4:5], v4 offset:2048
	ds_load_b64 v[14:15], v15 offset:2048
	v_lshl_add_u32 v13, v19, 3, v9
	v_lshl_add_u32 v19, v21, 3, v9
	s_and_b32 s16, s16, s17
	ds_load_b64 v[16:17], v11 offset:2048
	s_wait_alu 0xfffe
	s_or_b32 s16, s18, s16
	s_wait_alu 0xfffe
	v_cndmask_b32_e64 v11, v12, v24, s16
	v_lshl_add_u32 v12, v18, 3, v9
	v_lshl_add_u32 v18, v20, 3, v9
	v_cndmask_b32_e64 v36, v54, v10, s16
	s_delay_alu instid0(VALU_DEP_4)
	v_lshl_add_u32 v9, v11, 3, v9
	ds_load_b64 v[24:25], v12 offset:2048
	ds_load_b64 v[26:27], v13 offset:2048
	;; [unrolled: 1-line block ×5, first 2 shown]
.LBB408_70:
	s_wait_alu 0xfffe
	s_or_b32 exec_lo, exec_lo, s20
	; wave barrier
	s_wait_storecnt_dscnt 0x0
	s_barrier_signal -1
	s_barrier_wait -1
                                        ; implicit-def: $vgpr34
                                        ; implicit-def: $vgpr29
                                        ; implicit-def: $vgpr30
                                        ; implicit-def: $vgpr9
.LBB408_71:
	s_wait_alu 0xfffe
	s_and_not1_saveexec_b32 s17, s19
	s_cbranch_execz .LBB408_117
; %bb.72:
	s_load_b64 s[10:11], s[8:9], 0x0
	s_and_b32 s7, ttmp7, 0xffff
	s_mov_b32 s13, 0
	s_wait_kmcnt 0x0
	s_wait_alu 0xfffe
	s_cmp_lt_u32 s7, s11
	s_cselect_b32 s12, 14, 20
	s_cmp_lt_u32 ttmp9, s10
	s_wait_alu 0xfffe
	s_add_nc_u64 s[14:15], s[8:9], s[12:13]
	s_cselect_b32 s12, 12, 18
	s_load_u16 s7, s[14:15], 0x0
	s_add_nc_u64 s[8:9], s[8:9], s[12:13]
	s_load_u16 s8, s[8:9], 0x0
	s_mov_b32 s15, exec_lo
	s_wait_kmcnt 0x0
	v_mad_u32_u24 v10, v30, s7, v29
	s_delay_alu instid0(VALU_DEP_1) | instskip(NEXT) | instid1(VALU_DEP_1)
	v_mul_lo_u32 v10, v10, s8
	v_add_lshl_u32 v11, v10, v9, 3
	s_delay_alu instid0(VALU_DEP_1)
	v_cmpx_gt_u32_e32 0x800, v11
	s_cbranch_execz .LBB408_76
; %bb.73:
	s_wait_loadcnt_dscnt 0x0
	v_perm_b32 v9, v39, v28, 0xc0c0004
	v_perm_b32 v10, v22, v38, 0xc0c0004
	;; [unrolled: 1-line block ×3, first 2 shown]
	v_bfe_i32 v22, v22, 0, 8
	v_bfe_i32 v29, v38, 0, 8
	v_lshlrev_b32_e32 v9, 16, v9
	s_delay_alu instid0(VALU_DEP_2) | instskip(NEXT) | instid1(VALU_DEP_2)
	v_cmp_gt_i16_e64 s7, v22, v29
	v_or_b32_e32 v28, v28, v9
	v_or_b32_e32 v9, v10, v9
	v_perm_b32 v22, v23, v37, 0xc0c0004
	v_perm_b32 v23, v35, v36, 0xc0c0004
	s_wait_alu 0xf1ff
	v_cndmask_b32_e64 v10, v14, v4, s7
	v_cndmask_b32_e64 v4, v4, v14, s7
	;; [unrolled: 1-line block ×3, first 2 shown]
	v_lshl_or_b32 v22, v23, 16, v22
	s_delay_alu instid0(VALU_DEP_2) | instskip(SKIP_1) | instid1(VALU_DEP_3)
	v_lshrrev_b32_e32 v28, 16, v9
	v_lshrrev_b32_e32 v23, 24, v9
	;; [unrolled: 1-line block ×3, first 2 shown]
	v_bfe_i32 v31, v22, 0, 8
	s_delay_alu instid0(VALU_DEP_4) | instskip(NEXT) | instid1(VALU_DEP_4)
	v_perm_b32 v29, 0, v28, 0xc0c0001
	v_bfe_i32 v23, v23, 0, 8
	v_bfe_i32 v28, v28, 0, 8
	v_bfe_i32 v30, v30, 0, 8
	s_delay_alu instid0(VALU_DEP_4) | instskip(NEXT) | instid1(VALU_DEP_3)
	v_lshlrev_b32_e32 v29, 16, v29
	v_cmp_gt_i16_e64 s8, v28, v23
	v_perm_b32 v28, v22, v22, 0x7060405
	s_delay_alu instid0(VALU_DEP_4) | instskip(NEXT) | instid1(VALU_DEP_4)
	v_cmp_gt_i16_e64 s9, v31, v30
	v_and_or_b32 v23, 0xffff, v9, v29
	v_cndmask_b32_e64 v31, v15, v5, s7
	s_wait_alu 0xf1ff
	v_cndmask_b32_e64 v37, v17, v25, s8
	v_cndmask_b32_e64 v17, v25, v17, s8
	;; [unrolled: 1-line block ×7, first 2 shown]
	v_lshrrev_b32_e32 v35, 24, v22
	v_lshrrev_b32_e32 v28, 16, v9
	v_lshrrev_b32_e32 v30, 8, v9
	v_lshrrev_b32_e32 v36, 16, v22
	v_perm_b32 v38, v9, v9, 0x7050604
	v_bfe_i32 v35, v35, 0, 8
	v_bfe_i32 v28, v28, 0, 8
	v_bfe_i32 v30, v30, 0, 8
	v_bfe_i32 v36, v36, 0, 8
	v_cndmask_b32_e64 v16, v16, v24, s8
	v_cndmask_b32_e64 v23, v26, v20, s9
	;; [unrolled: 1-line block ×3, first 2 shown]
	v_cmp_gt_i16_e64 s10, v30, v28
	v_perm_b32 v28, v22, v22, 0x6070504
	v_cmp_gt_i16_e64 s11, v36, v35
	v_cndmask_b32_e64 v15, v20, v26, s9
	s_wait_alu 0xf1ff
	v_cndmask_b32_e64 v9, v9, v38, s10
	v_cndmask_b32_e64 v30, v37, v31, s10
	v_cndmask_b32_e64 v22, v22, v28, s11
	v_cndmask_b32_e64 v35, v18, v12, s11
	v_cndmask_b32_e64 v12, v12, v18, s11
	v_lshrrev_b32_e32 v28, 16, v9
	s_delay_alu instid0(VALU_DEP_4) | instskip(SKIP_1) | instid1(VALU_DEP_3)
	v_lshlrev_b16 v36, 8, v22
	v_bfe_i32 v38, v22, 0, 8
	v_and_b32_e32 v28, 0xff, v28
	s_delay_alu instid0(VALU_DEP_1) | instskip(SKIP_1) | instid1(VALU_DEP_2)
	v_or_b32_e32 v28, v28, v36
	v_lshrrev_b32_e32 v36, 24, v9
	v_lshlrev_b32_e32 v28, 16, v28
	s_delay_alu instid0(VALU_DEP_2) | instskip(NEXT) | instid1(VALU_DEP_2)
	v_bfe_i32 v36, v36, 0, 8
	v_and_or_b32 v25, 0xffff, v9, v28
	s_delay_alu instid0(VALU_DEP_2) | instskip(SKIP_3) | instid1(VALU_DEP_3)
	v_cmp_gt_i16_e64 s12, v36, v38
	v_cndmask_b32_e64 v38, v10, v16, s10
	v_cndmask_b32_e64 v10, v16, v10, s10
	s_wait_alu 0xf1ff
	v_cndmask_b32_e64 v25, v9, v25, s12
	v_perm_b32 v9, v9, v22, 0x3020107
	v_cndmask_b32_e64 v28, v17, v39, s12
	v_cndmask_b32_e64 v17, v39, v17, s12
	s_delay_alu instid0(VALU_DEP_4) | instskip(NEXT) | instid1(VALU_DEP_4)
	v_lshrrev_b32_e32 v21, 8, v25
	v_cndmask_b32_e64 v9, v22, v9, s12
	v_perm_b32 v22, 0, v25, 0xc0c0001
	v_bfe_i32 v24, v25, 0, 8
	s_delay_alu instid0(VALU_DEP_4) | instskip(NEXT) | instid1(VALU_DEP_4)
	v_bfe_i32 v21, v21, 0, 8
	v_lshrrev_b32_e32 v27, 16, v9
	v_lshrrev_b32_e32 v36, 8, v9
	v_and_or_b32 v22, 0xffff0000, v25, v22
	s_delay_alu instid0(VALU_DEP_4) | instskip(NEXT) | instid1(VALU_DEP_4)
	v_cmp_gt_i16_e64 s8, v24, v21
	v_bfe_i32 v21, v27, 0, 8
	s_delay_alu instid0(VALU_DEP_4)
	v_bfe_i32 v24, v36, 0, 8
	v_cndmask_b32_e64 v27, v19, v13, s11
	v_cndmask_b32_e64 v13, v13, v19, s11
	s_wait_alu 0xf1ff
	v_cndmask_b32_e64 v22, v25, v22, s8
	v_perm_b32 v25, v9, v9, 0x7050604
	v_cmp_gt_i16_e64 s13, v24, v21
	v_cndmask_b32_e64 v36, v38, v4, s8
	v_cndmask_b32_e64 v4, v4, v38, s8
	v_lshrrev_b32_e32 v20, 16, v22
	v_lshrrev_b32_e32 v24, 24, v22
	s_wait_alu 0xf1ff
	v_cndmask_b32_e64 v9, v9, v25, s13
	v_cndmask_b32_e64 v25, v29, v23, s12
	;; [unrolled: 1-line block ×3, first 2 shown]
	v_perm_b32 v16, 0, v20, 0xc0c0001
	v_bfe_i32 v24, v24, 0, 8
	v_lshrrev_b32_e32 v26, 8, v9
	v_bfe_i32 v20, v20, 0, 8
	v_bfe_i32 v29, v9, 0, 8
	v_lshlrev_b32_e32 v16, 16, v16
	v_cndmask_b32_e64 v21, v14, v27, s13
	v_bfe_i32 v26, v26, 0, 8
	v_cmp_gt_i16_e64 s7, v20, v24
	v_perm_b32 v24, v9, v9, 0x7060405
	v_and_or_b32 v16, 0xffff, v22, v16
	v_cndmask_b32_e64 v14, v27, v14, s13
	v_cmp_gt_i16_e64 s9, v29, v26
	s_wait_alu 0xf1ff
	v_cndmask_b32_e64 v26, v25, v10, s7
	v_cndmask_b32_e64 v10, v10, v25, s7
	;; [unrolled: 1-line block ×7, first 2 shown]
	v_lshrrev_b32_e32 v18, 16, v16
	v_lshrrev_b32_e32 v24, 8, v16
	;; [unrolled: 1-line block ×4, first 2 shown]
	v_perm_b32 v50, v16, v16, 0x7050604
	v_bfe_i32 v18, v18, 0, 8
	v_bfe_i32 v24, v24, 0, 8
	;; [unrolled: 1-line block ×4, first 2 shown]
	v_cndmask_b32_e64 v20, v15, v35, s13
	v_cndmask_b32_e64 v31, v22, v5, s8
	v_cmp_gt_i16_e64 s10, v24, v18
	v_perm_b32 v18, v9, v9, 0x6070504
	v_cmp_gt_i16_e64 s14, v48, v37
	v_cndmask_b32_e64 v29, v23, v20, s9
	v_cndmask_b32_e64 v20, v20, v23, s9
	s_wait_alu 0xf1ff
	v_cndmask_b32_e64 v16, v16, v50, s10
	v_cndmask_b32_e64 v5, v5, v22, s8
	;; [unrolled: 1-line block ×5, first 2 shown]
	v_lshrrev_b32_e32 v18, 16, v16
	v_lshrrev_b32_e32 v48, 24, v16
	v_lshlrev_b16 v37, 8, v9
	v_cndmask_b32_e64 v35, v15, v12, s14
	v_cndmask_b32_e64 v12, v12, v15, s14
	v_and_b32_e32 v18, 0xff, v18
	v_bfe_i32 v39, v48, 0, 8
	v_cndmask_b32_e64 v48, v17, v21, s9
	v_cndmask_b32_e64 v17, v21, v17, s9
	s_delay_alu instid0(VALU_DEP_4) | instskip(SKIP_1) | instid1(VALU_DEP_2)
	v_or_b32_e32 v18, v18, v37
	v_bfe_i32 v37, v9, 0, 8
	v_lshlrev_b32_e32 v18, 16, v18
	s_delay_alu instid0(VALU_DEP_2) | instskip(SKIP_2) | instid1(VALU_DEP_4)
	v_cmp_gt_i16_e64 s12, v39, v37
	v_cndmask_b32_e64 v37, v36, v10, s10
	v_cndmask_b32_e64 v10, v10, v36, s10
	v_and_or_b32 v18, 0xffff, v16, v18
	s_wait_alu 0xf1ff
	v_cndmask_b32_e64 v19, v28, v48, s12
	s_delay_alu instid0(VALU_DEP_2) | instskip(SKIP_1) | instid1(VALU_DEP_2)
	v_cndmask_b32_e64 v18, v16, v18, s12
	v_perm_b32 v16, v16, v9, 0x3020107
	v_lshrrev_b32_e32 v21, 8, v18
	s_delay_alu instid0(VALU_DEP_2) | instskip(SKIP_2) | instid1(VALU_DEP_4)
	v_cndmask_b32_e64 v9, v9, v16, s12
	v_perm_b32 v16, 0, v18, 0xc0c0001
	v_bfe_i32 v25, v18, 0, 8
	v_bfe_i32 v21, v21, 0, 8
	s_delay_alu instid0(VALU_DEP_4) | instskip(SKIP_2) | instid1(VALU_DEP_4)
	v_lshrrev_b32_e32 v27, 16, v9
	v_lshrrev_b32_e32 v30, 8, v9
	v_and_or_b32 v16, 0xffff0000, v18, v16
	v_cmp_gt_i16_e64 s7, v25, v21
	s_delay_alu instid0(VALU_DEP_4) | instskip(NEXT) | instid1(VALU_DEP_4)
	v_bfe_i32 v21, v27, 0, 8
	v_bfe_i32 v25, v30, 0, 8
	v_cndmask_b32_e64 v27, v14, v13, s14
	v_cndmask_b32_e64 v13, v13, v14, s14
	s_wait_alu 0xf1ff
	v_cndmask_b32_e64 v16, v18, v16, s7
	v_perm_b32 v18, v9, v9, 0x7050604
	v_cmp_gt_i16_e64 s11, v25, v21
	v_cndmask_b32_e64 v25, v26, v29, s12
	v_cndmask_b32_e64 v26, v29, v26, s12
	v_lshrrev_b32_e32 v21, 16, v16
	v_cndmask_b32_e64 v14, v48, v28, s12
	s_wait_alu 0xf1ff
	v_cndmask_b32_e64 v9, v9, v18, s11
	v_lshrrev_b32_e32 v18, 24, v16
	v_cndmask_b32_e64 v22, v17, v27, s11
	v_perm_b32 v23, 0, v21, 0xc0c0001
	v_bfe_i32 v21, v21, 0, 8
	v_lshrrev_b32_e32 v36, 8, v9
	v_bfe_i32 v18, v18, 0, 8
	v_bfe_i32 v29, v9, 0, 8
	v_lshlrev_b32_e32 v23, 16, v23
	v_cndmask_b32_e64 v17, v27, v17, s11
	v_bfe_i32 v36, v36, 0, 8
	v_cmp_gt_i16_e64 s8, v21, v18
	v_cndmask_b32_e64 v21, v20, v35, s11
	v_and_or_b32 v18, 0xffff, v16, v23
	v_perm_b32 v23, v9, v9, 0x7060405
	v_cmp_gt_i16_e64 s9, v29, v36
	v_cndmask_b32_e64 v30, v37, v4, s7
	v_cndmask_b32_e64 v4, v4, v37, s7
	s_wait_alu 0xf1ff
	v_cndmask_b32_e64 v16, v16, v18, s8
	v_cndmask_b32_e64 v18, v31, v49, s10
	;; [unrolled: 1-line block ×5, first 2 shown]
	v_lshrrev_b32_e32 v15, 16, v16
	v_lshrrev_b32_e32 v23, 8, v16
	;; [unrolled: 1-line block ×4, first 2 shown]
	v_perm_b32 v50, v16, v16, 0x7050604
	v_bfe_i32 v15, v15, 0, 8
	v_bfe_i32 v23, v23, 0, 8
	v_bfe_i32 v38, v38, 0, 8
	v_bfe_i32 v39, v39, 0, 8
	v_cndmask_b32_e64 v36, v18, v5, s7
	v_cndmask_b32_e64 v5, v5, v18, s7
	v_cmp_gt_i16_e64 s10, v23, v15
	v_cndmask_b32_e64 v15, v35, v20, s11
	v_perm_b32 v20, v9, v9, 0x6070504
	v_cmp_gt_i16_e64 s13, v39, v38
	v_cndmask_b32_e64 v19, v19, v24, s8
	s_wait_alu 0xf1ff
	v_cndmask_b32_e64 v16, v16, v50, s10
	v_cndmask_b32_e64 v29, v25, v10, s8
	;; [unrolled: 1-line block ×5, first 2 shown]
	v_lshrrev_b32_e32 v20, 16, v16
	v_lshrrev_b32_e32 v28, 24, v16
	v_cndmask_b32_e64 v12, v12, v15, s13
	v_lshlrev_b16 v38, 8, v9
	v_bfe_i32 v18, v9, 0, 8
	v_and_b32_e32 v20, 0xff, v20
	v_bfe_i32 v27, v28, 0, 8
	v_cndmask_b32_e64 v28, v14, v22, s9
	v_cndmask_b32_e64 v14, v22, v14, s9
	;; [unrolled: 1-line block ×3, first 2 shown]
	v_or_b32_e32 v20, v20, v38
	v_cmp_gt_i16_e64 s7, v27, v18
	s_delay_alu instid0(VALU_DEP_2) | instskip(SKIP_1) | instid1(VALU_DEP_2)
	v_lshlrev_b32_e32 v20, 16, v20
	s_wait_alu 0xf1ff
	v_cndmask_b32_e64 v22, v19, v28, s7
	v_cndmask_b32_e64 v19, v28, v19, s7
	;; [unrolled: 1-line block ×3, first 2 shown]
	v_and_or_b32 v18, 0xffff, v16, v20
	v_cndmask_b32_e64 v20, v21, v26, s9
	v_cndmask_b32_e64 v21, v17, v13, s13
	;; [unrolled: 1-line block ×3, first 2 shown]
	s_delay_alu instid0(VALU_DEP_4) | instskip(SKIP_1) | instid1(VALU_DEP_2)
	v_cndmask_b32_e64 v18, v16, v18, s7
	v_perm_b32 v16, v16, v9, 0x3020107
	v_lshrrev_b32_e32 v15, 8, v18
	s_delay_alu instid0(VALU_DEP_2)
	v_cndmask_b32_e64 v9, v9, v16, s7
	v_perm_b32 v17, 0, v18, 0xc0c0001
	v_bfe_i32 v24, v18, 0, 8
	v_cndmask_b32_e64 v16, v10, v30, s10
	v_bfe_i32 v15, v15, 0, 8
	v_lshrrev_b32_e32 v25, 16, v9
	v_lshrrev_b32_e32 v26, 8, v9
	v_and_or_b32 v17, 0xffff0000, v18, v17
	v_cndmask_b32_e64 v10, v30, v10, s10
	v_cmp_gt_i16_e64 s8, v24, v15
	v_bfe_i32 v15, v25, 0, 8
	v_bfe_i32 v24, v26, 0, 8
	v_cndmask_b32_e64 v25, v36, v49, s10
	s_wait_alu 0xf1ff
	v_cndmask_b32_e64 v17, v18, v17, s8
	v_perm_b32 v18, v9, v9, 0x7050604
	v_cmp_gt_i16_e64 s9, v24, v15
	v_cndmask_b32_e64 v15, v29, v31, s7
	v_cndmask_b32_e64 v26, v10, v4, s8
	v_lshrrev_b32_e32 v24, 16, v17
	v_cndmask_b32_e64 v4, v4, v10, s8
	s_wait_alu 0xf1ff
	v_cndmask_b32_e64 v9, v9, v18, s9
	v_lshrrev_b32_e32 v18, 24, v17
	v_cndmask_b32_e64 v30, v20, v35, s9
	v_perm_b32 v29, 0, v24, 0xc0c0001
	v_bfe_i32 v24, v24, 0, 8
	v_lshrrev_b32_e32 v31, 8, v9
	v_bfe_i32 v18, v18, 0, 8
	v_cndmask_b32_e64 v35, v35, v20, s9
	v_lshlrev_b32_e32 v29, 16, v29
	v_bfe_i32 v20, v9, 0, 8
	v_bfe_i32 v31, v31, 0, 8
	v_cmp_gt_i16_e64 s7, v24, v18
	v_cndmask_b32_e64 v27, v14, v21, s9
	v_and_or_b32 v18, 0xffff, v17, v29
	v_cndmask_b32_e64 v14, v21, v14, s9
	v_perm_b32 v21, v9, v9, 0x7060405
	v_cmp_gt_i16_e64 s9, v20, v31
	v_cndmask_b32_e64 v24, v25, v5, s8
	s_wait_alu 0xf1ff
	v_cndmask_b32_e64 v18, v17, v18, s7
	v_cndmask_b32_e64 v5, v5, v25, s8
	;; [unrolled: 1-line block ×5, first 2 shown]
	v_lshrrev_b32_e32 v17, 16, v18
	v_lshrrev_b32_e32 v20, 8, v18
	v_perm_b32 v25, v18, v18, 0x7050604
	v_lshrrev_b32_e32 v10, 24, v9
	v_lshrrev_b32_e32 v21, 16, v9
	v_bfe_i32 v17, v17, 0, 8
	v_bfe_i32 v20, v20, 0, 8
	v_perm_b32 v37, v9, v9, 0x6070504
	v_bfe_i32 v10, v10, 0, 8
	v_bfe_i32 v21, v21, 0, 8
	v_cndmask_b32_e64 v22, v22, v23, s7
	v_cmp_gt_i16_e64 s8, v20, v17
	v_cndmask_b32_e64 v29, v15, v16, s7
	v_cndmask_b32_e64 v31, v28, v30, s9
	v_cmp_gt_i16_e64 s10, v21, v10
	v_cndmask_b32_e64 v21, v27, v19, s9
	s_wait_alu 0xf1ff
	v_cndmask_b32_e64 v18, v18, v25, s8
	v_cndmask_b32_e64 v27, v16, v15, s7
	;; [unrolled: 1-line block ×5, first 2 shown]
	v_lshrrev_b32_e32 v9, 16, v18
	v_lshrrev_b32_e32 v23, 24, v18
	v_cndmask_b32_e64 v13, v13, v14, s10
	v_lshlrev_b16 v15, 8, v19
	v_bfe_i32 v25, v19, 0, 8
	v_and_b32_e32 v16, 0xff, v9
	v_bfe_i32 v23, v23, 0, 8
	v_cndmask_b32_e64 v9, v35, v12, s10
	v_cndmask_b32_e64 v12, v12, v35, s10
	;; [unrolled: 1-line block ×3, first 2 shown]
	v_or_b32_e32 v14, v16, v15
	v_perm_b32 v15, v18, v19, 0x3020107
	v_cmp_gt_i16_e64 s7, v23, v25
	v_cndmask_b32_e64 v16, v27, v26, s8
	s_delay_alu instid0(VALU_DEP_4)
	v_lshlrev_b32_e32 v28, 16, v14
	v_cndmask_b32_e64 v14, v26, v27, s8
	s_wait_alu 0xf1ff
	v_cndmask_b32_e64 v23, v19, v15, s7
	v_cndmask_b32_e64 v25, v22, v38, s7
	;; [unrolled: 1-line block ×3, first 2 shown]
	v_and_or_b32 v19, 0xffff, v18, v28
	v_cndmask_b32_e64 v15, v24, v36, s8
	v_lshrrev_b32_e32 v35, 16, v23
	v_lshrrev_b32_e32 v37, 8, v23
	v_cndmask_b32_e64 v24, v29, v31, s7
	v_cndmask_b32_e64 v22, v18, v19, s7
	;; [unrolled: 1-line block ×3, first 2 shown]
	v_bfe_i32 v18, v35, 0, 8
	v_bfe_i32 v19, v37, 0, 8
	v_lshrrev_b32_e32 v36, 24, v23
	v_lshrrev_b64 v[28:29], 24, v[22:23]
	v_lshrrev_b32_e32 v39, 16, v22
	v_lshrrev_b32_e32 v38, 8, v22
	v_cmp_gt_i16_e64 s7, v19, v18
	v_dual_mov_b32 v19, v10 :: v_dual_mov_b32 v18, v9
	s_and_saveexec_b32 s8, s7
; %bb.74:
	v_dual_mov_b32 v29, v37 :: v_dual_mov_b32 v18, v20
	v_swap_b32 v37, v35
	v_mov_b32_e32 v19, v21
	v_dual_mov_b32 v21, v10 :: v_dual_mov_b32 v20, v9
; %bb.75:
	s_wait_alu 0xfffe
	s_or_b32 exec_lo, exec_lo, s8
.LBB408_76:
	s_wait_alu 0xfffe
	s_or_b32 exec_lo, exec_lo, s15
	v_and_b32_e32 v10, 0xffffff00, v11
	v_or_b32_e32 v11, 8, v34
	v_and_b32_e32 v31, 8, v34
	v_and_b32_e32 v48, 0xf0, v34
	s_mov_b32 s8, exec_lo
	v_sub_nc_u32_e64 v29, 0x800, v10 clamp
	v_lshlrev_b32_e32 v9, 3, v10
	v_or_b32_e32 v52, v10, v34
	s_delay_alu instid0(VALU_DEP_3) | instskip(SKIP_1) | instid1(VALU_DEP_4)
	v_min_u32_e32 v30, v29, v11
	v_min_u32_e32 v49, v29, v31
	v_lshl_or_b32 v11, v34, 3, v9
	s_wait_loadcnt_dscnt 0x0
	ds_store_b8 v52, v22
	ds_store_b64 v11, v[4:5] offset:2048
	ds_store_b8 v52, v38 offset:1
	v_add_nc_u32_e32 v50, 8, v30
	v_sub_nc_u32_e32 v51, v30, v48
	ds_store_b64 v11, v[14:15] offset:2056
	ds_store_b8 v52, v39 offset:2
	ds_store_b64 v11, v[16:17] offset:2064
	ds_store_b8 v52, v28 offset:3
	;; [unrolled: 2-line block ×6, first 2 shown]
	ds_store_b64 v11, v[12:13] offset:2104
	v_min_u32_e32 v31, v29, v50
	v_min_u32_e32 v51, v49, v51
	; wave barrier
	s_delay_alu instid0(VALU_DEP_2) | instskip(NEXT) | instid1(VALU_DEP_1)
	v_sub_nc_u32_e32 v50, v31, v30
	v_sub_nc_u32_e64 v50, v49, v50 clamp
	s_delay_alu instid0(VALU_DEP_1)
	v_cmpx_lt_u32_e64 v50, v51
	s_cbranch_execz .LBB408_80
; %bb.77:
	v_add_nc_u32_e32 v52, v10, v48
	v_add3_u32 v53, v10, v30, v49
	s_mov_b32 s9, 0
.LBB408_78:                             ; =>This Inner Loop Header: Depth=1
	v_add_nc_u32_e32 v54, v51, v50
	s_delay_alu instid0(VALU_DEP_1) | instskip(NEXT) | instid1(VALU_DEP_1)
	v_lshrrev_b32_e32 v54, 1, v54
	v_add_nc_u32_e32 v55, v52, v54
	v_xad_u32 v64, v54, -1, v53
	v_add_nc_u32_e32 v65, 1, v54
	ds_load_i8 v55, v55
	ds_load_i8 v64, v64
	s_wait_dscnt 0x0
	v_cmp_gt_i16_e64 s7, v55, v64
	s_wait_alu 0xf1ff
	s_delay_alu instid0(VALU_DEP_1) | instskip(SKIP_1) | instid1(VALU_DEP_1)
	v_cndmask_b32_e64 v51, v51, v54, s7
	v_cndmask_b32_e64 v50, v65, v50, s7
	v_cmp_ge_u32_e64 s7, v50, v51
	s_wait_alu 0xfffe
	s_or_b32 s9, s7, s9
	s_wait_alu 0xfffe
	s_and_not1_b32 exec_lo, exec_lo, s9
	s_cbranch_execnz .LBB408_78
; %bb.79:
	s_or_b32 exec_lo, exec_lo, s9
.LBB408_80:
	s_wait_alu 0xfffe
	s_or_b32 exec_lo, exec_lo, s8
	v_add_nc_u32_e32 v51, v30, v49
	v_add_nc_u32_e32 v49, v50, v48
	s_delay_alu instid0(VALU_DEP_2) | instskip(NEXT) | instid1(VALU_DEP_2)
	v_sub_nc_u32_e32 v48, v51, v50
	v_cmp_le_u32_e64 s7, v49, v30
	s_delay_alu instid0(VALU_DEP_2)
	v_cmp_le_u32_e64 s8, v48, v31
	s_or_b32 s7, s7, s8
	s_wait_alu 0xfffe
	s_and_saveexec_b32 s18, s7
	s_cbranch_execz .LBB408_86
; %bb.81:
	v_cmp_lt_u32_e64 s7, v49, v30
                                        ; implicit-def: $vgpr22
	s_and_saveexec_b32 s8, s7
; %bb.82:
	v_add_nc_u32_e32 v4, v10, v49
	ds_load_u8 v22, v4
; %bb.83:
	s_wait_alu 0xfffe
	s_or_b32 exec_lo, exec_lo, s8
	v_cmp_ge_u32_e64 s8, v48, v31
	s_mov_b32 s10, exec_lo
                                        ; implicit-def: $vgpr23
	v_cmpx_lt_u32_e64 v48, v31
; %bb.84:
	v_add_nc_u32_e32 v4, v10, v48
	ds_load_u8 v23, v4
; %bb.85:
	s_wait_alu 0xfffe
	s_or_b32 exec_lo, exec_lo, s10
	s_wait_dscnt 0x0
	v_bfe_i32 v4, v23, 0, 8
	v_bfe_i32 v5, v22, 0, 8
	s_delay_alu instid0(VALU_DEP_1)
	v_cmp_le_i16_e64 s9, v5, v4
	s_and_b32 s7, s7, s9
	s_wait_alu 0xfffe
	s_or_b32 s7, s8, s7
	s_wait_alu 0xfffe
	v_cndmask_b32_e64 v4, v48, v49, s7
	v_cndmask_b32_e64 v5, v31, v30, s7
	s_delay_alu instid0(VALU_DEP_2) | instskip(NEXT) | instid1(VALU_DEP_2)
	v_add_nc_u32_e32 v12, 1, v4
	v_add_nc_u32_e32 v5, -1, v5
	v_lshl_add_u32 v4, v4, 3, v9
	s_delay_alu instid0(VALU_DEP_2) | instskip(NEXT) | instid1(VALU_DEP_1)
	v_min_u32_e32 v5, v12, v5
	v_add_nc_u32_e32 v5, v10, v5
	ds_load_u8 v5, v5
	s_wait_dscnt 0x0
	v_cndmask_b32_e64 v28, v5, v23, s7
	v_cndmask_b32_e64 v35, v22, v5, s7
	v_cndmask_b32_e64 v5, v49, v12, s7
	v_cndmask_b32_e64 v12, v12, v48, s7
	v_cndmask_b32_e64 v22, v23, v22, s7
	v_bfe_i32 v13, v28, 0, 8
	v_bfe_i32 v14, v35, 0, 8
	v_cmp_lt_u32_e64 s8, v5, v30
	v_cmp_ge_u32_e64 s10, v12, v31
	s_delay_alu instid0(VALU_DEP_3)
	v_cmp_le_i16_e64 s9, v14, v13
	s_and_b32 s8, s8, s9
	s_wait_alu 0xfffe
	s_or_b32 s8, s10, s8
	s_wait_alu 0xfffe
	v_cndmask_b32_e64 v13, v12, v5, s8
	v_cndmask_b32_e64 v14, v31, v30, s8
	v_cndmask_b32_e64 v38, v28, v35, s8
	s_delay_alu instid0(VALU_DEP_3) | instskip(NEXT) | instid1(VALU_DEP_3)
	v_add_nc_u32_e32 v15, 1, v13
	v_add_nc_u32_e32 v14, -1, v14
	v_lshl_add_u32 v13, v13, 3, v9
	s_delay_alu instid0(VALU_DEP_3) | instskip(NEXT) | instid1(VALU_DEP_3)
	v_cndmask_b32_e64 v5, v5, v15, s8
	v_min_u32_e32 v14, v15, v14
	v_cndmask_b32_e64 v12, v15, v12, s8
	s_delay_alu instid0(VALU_DEP_3) | instskip(NEXT) | instid1(VALU_DEP_3)
	v_cmp_lt_u32_e64 s9, v5, v30
	v_add_nc_u32_e32 v14, v10, v14
	s_delay_alu instid0(VALU_DEP_3) | instskip(SKIP_4) | instid1(VALU_DEP_2)
	v_cmp_ge_u32_e64 s11, v12, v31
	ds_load_u8 v14, v14
	s_wait_dscnt 0x0
	v_cndmask_b32_e64 v36, v14, v28, s8
	v_cndmask_b32_e64 v37, v35, v14, s8
	v_bfe_i32 v14, v36, 0, 8
	s_delay_alu instid0(VALU_DEP_2) | instskip(NEXT) | instid1(VALU_DEP_1)
	v_bfe_i32 v16, v37, 0, 8
	v_cmp_le_i16_e64 s10, v16, v14
	s_and_b32 s9, s9, s10
	s_wait_alu 0xfffe
	s_or_b32 s9, s11, s9
	s_wait_alu 0xfffe
	v_cndmask_b32_e64 v14, v12, v5, s9
	v_cndmask_b32_e64 v15, v31, v30, s9
	v_cndmask_b32_e64 v39, v36, v37, s9
	s_delay_alu instid0(VALU_DEP_3) | instskip(NEXT) | instid1(VALU_DEP_3)
	v_add_nc_u32_e32 v16, 1, v14
	v_add_nc_u32_e32 v15, -1, v15
	s_delay_alu instid0(VALU_DEP_2) | instskip(NEXT) | instid1(VALU_DEP_2)
	v_cndmask_b32_e64 v5, v5, v16, s9
	v_min_u32_e32 v15, v16, v15
	v_cndmask_b32_e64 v12, v16, v12, s9
	s_delay_alu instid0(VALU_DEP_3) | instskip(NEXT) | instid1(VALU_DEP_3)
	v_cmp_lt_u32_e64 s10, v5, v30
	v_add_nc_u32_e32 v15, v10, v15
	s_delay_alu instid0(VALU_DEP_3) | instskip(SKIP_4) | instid1(VALU_DEP_2)
	v_cmp_ge_u32_e64 s12, v12, v31
	ds_load_u8 v15, v15
	s_wait_dscnt 0x0
	v_cndmask_b32_e64 v48, v15, v36, s9
	v_cndmask_b32_e64 v49, v37, v15, s9
	v_bfe_i32 v15, v48, 0, 8
	s_delay_alu instid0(VALU_DEP_2) | instskip(NEXT) | instid1(VALU_DEP_1)
	v_bfe_i32 v17, v49, 0, 8
	v_cmp_le_i16_e64 s11, v17, v15
	s_and_b32 s10, s10, s11
	s_wait_alu 0xfffe
	s_or_b32 s10, s12, s10
	s_wait_alu 0xfffe
	v_cndmask_b32_e64 v18, v12, v5, s10
	v_cndmask_b32_e64 v15, v31, v30, s10
	v_cndmask_b32_e64 v28, v48, v49, s10
	s_delay_alu instid0(VALU_DEP_3) | instskip(NEXT) | instid1(VALU_DEP_3)
	v_add_nc_u32_e32 v16, 1, v18
	v_add_nc_u32_e32 v15, -1, v15
	s_delay_alu instid0(VALU_DEP_2) | instskip(NEXT) | instid1(VALU_DEP_2)
	;; [unrolled: 27-line block ×5, first 2 shown]
	v_cndmask_b32_e64 v24, v5, v16, s13
	v_min_u32_e32 v15, v16, v15
	v_cndmask_b32_e64 v12, v16, v12, s13
	v_lshl_add_u32 v16, v14, 3, v9
	s_delay_alu instid0(VALU_DEP_4) | instskip(NEXT) | instid1(VALU_DEP_4)
	v_cmp_lt_u32_e64 s14, v24, v30
	v_add_nc_u32_e32 v15, v10, v15
	s_delay_alu instid0(VALU_DEP_4)
	v_cmp_ge_u32_e64 s16, v12, v31
	v_lshl_add_u32 v30, v21, 3, v9
	ds_load_u8 v15, v15
	s_wait_dscnt 0x0
	v_cndmask_b32_e64 v64, v15, v54, s13
	v_cndmask_b32_e64 v65, v55, v15, s13
	s_delay_alu instid0(VALU_DEP_2) | instskip(NEXT) | instid1(VALU_DEP_2)
	v_bfe_i32 v5, v64, 0, 8
	v_bfe_i32 v15, v65, 0, 8
	s_delay_alu instid0(VALU_DEP_1)
	v_cmp_le_i16_e64 s15, v15, v5
	ds_load_b64 v[4:5], v4 offset:2048
	ds_load_b64 v[14:15], v13 offset:2048
	v_lshl_add_u32 v13, v18, 3, v9
	v_lshl_add_u32 v18, v19, 3, v9
	v_lshl_add_u32 v19, v20, 3, v9
	s_and_b32 s14, s14, s15
	ds_load_b64 v[16:17], v16 offset:2048
	s_wait_alu 0xfffe
	s_or_b32 s14, s16, s14
	s_wait_alu 0xfffe
	v_cndmask_b32_e64 v12, v12, v24, s14
	v_cndmask_b32_e64 v36, v64, v65, s14
	s_delay_alu instid0(VALU_DEP_2)
	v_lshl_add_u32 v12, v12, 3, v9
	ds_load_b64 v[24:25], v13 offset:2048
	ds_load_b64 v[26:27], v18 offset:2048
	ds_load_b64 v[20:21], v19 offset:2048
	ds_load_b64 v[18:19], v30 offset:2048
	ds_load_b64 v[12:13], v12 offset:2048
.LBB408_86:
	s_wait_alu 0xfffe
	s_or_b32 exec_lo, exec_lo, s18
	v_and_b32_e32 v49, 0xe0, v34
	v_and_b32_e32 v50, 24, v34
	s_mov_b32 s8, exec_lo
	; wave barrier
	s_delay_alu instid0(VALU_DEP_2) | instskip(NEXT) | instid1(VALU_DEP_2)
	v_or_b32_e32 v30, 16, v49
	v_min_u32_e32 v50, v29, v50
	s_delay_alu instid0(VALU_DEP_2)
	v_min_u32_e32 v31, v29, v30
	v_add_nc_u32_e32 v30, v10, v34
	ds_store_b8 v30, v22
	s_wait_dscnt 0x8
	ds_store_b64 v11, v[4:5] offset:2048
	ds_store_b8 v30, v38 offset:1
	s_wait_dscnt 0x9
	ds_store_b64 v11, v[14:15] offset:2056
	v_add_nc_u32_e32 v48, 16, v31
	v_sub_nc_u32_e32 v52, v31, v49
	ds_store_b8 v30, v39 offset:2
	s_wait_dscnt 0xa
	ds_store_b64 v11, v[16:17] offset:2064
	ds_store_b8 v30, v28 offset:3
	s_wait_dscnt 0xb
	ds_store_b64 v11, v[24:25] offset:2072
	;; [unrolled: 3-line block ×6, first 2 shown]
	v_min_u32_e32 v48, v29, v48
	v_min_u32_e32 v52, v50, v52
	; wave barrier
	s_delay_alu instid0(VALU_DEP_2) | instskip(NEXT) | instid1(VALU_DEP_1)
	v_sub_nc_u32_e32 v51, v48, v31
	v_sub_nc_u32_e64 v51, v50, v51 clamp
	s_delay_alu instid0(VALU_DEP_1)
	v_cmpx_lt_u32_e64 v51, v52
	s_cbranch_execz .LBB408_90
; %bb.87:
	v_add_nc_u32_e32 v53, v10, v49
	v_add3_u32 v54, v10, v31, v50
	s_mov_b32 s9, 0
.LBB408_88:                             ; =>This Inner Loop Header: Depth=1
	v_add_nc_u32_e32 v55, v52, v51
	s_delay_alu instid0(VALU_DEP_1) | instskip(NEXT) | instid1(VALU_DEP_1)
	v_lshrrev_b32_e32 v55, 1, v55
	v_add_nc_u32_e32 v64, v53, v55
	v_xad_u32 v65, v55, -1, v54
	v_add_nc_u32_e32 v66, 1, v55
	ds_load_i8 v64, v64
	ds_load_i8 v65, v65
	s_wait_dscnt 0x0
	v_cmp_gt_i16_e64 s7, v64, v65
	s_wait_alu 0xf1ff
	s_delay_alu instid0(VALU_DEP_1) | instskip(SKIP_1) | instid1(VALU_DEP_1)
	v_cndmask_b32_e64 v52, v52, v55, s7
	v_cndmask_b32_e64 v51, v66, v51, s7
	v_cmp_ge_u32_e64 s7, v51, v52
	s_wait_alu 0xfffe
	s_or_b32 s9, s7, s9
	s_wait_alu 0xfffe
	s_and_not1_b32 exec_lo, exec_lo, s9
	s_cbranch_execnz .LBB408_88
; %bb.89:
	s_or_b32 exec_lo, exec_lo, s9
.LBB408_90:
	s_wait_alu 0xfffe
	s_or_b32 exec_lo, exec_lo, s8
	v_add_nc_u32_e32 v52, v31, v50
	v_add_nc_u32_e32 v50, v51, v49
	s_delay_alu instid0(VALU_DEP_2) | instskip(NEXT) | instid1(VALU_DEP_2)
	v_sub_nc_u32_e32 v49, v52, v51
	v_cmp_le_u32_e64 s7, v50, v31
	s_delay_alu instid0(VALU_DEP_2)
	v_cmp_le_u32_e64 s8, v49, v48
	s_or_b32 s7, s7, s8
	s_wait_alu 0xfffe
	s_and_saveexec_b32 s18, s7
	s_cbranch_execz .LBB408_96
; %bb.91:
	v_cmp_lt_u32_e64 s7, v50, v31
                                        ; implicit-def: $vgpr22
	s_and_saveexec_b32 s8, s7
; %bb.92:
	v_add_nc_u32_e32 v4, v10, v50
	ds_load_u8 v22, v4
; %bb.93:
	s_wait_alu 0xfffe
	s_or_b32 exec_lo, exec_lo, s8
	v_cmp_ge_u32_e64 s8, v49, v48
	s_mov_b32 s10, exec_lo
                                        ; implicit-def: $vgpr23
	v_cmpx_lt_u32_e64 v49, v48
; %bb.94:
	v_add_nc_u32_e32 v4, v10, v49
	ds_load_u8 v23, v4
; %bb.95:
	s_wait_alu 0xfffe
	s_or_b32 exec_lo, exec_lo, s10
	s_wait_dscnt 0x0
	v_bfe_i32 v4, v23, 0, 8
	v_bfe_i32 v5, v22, 0, 8
	s_delay_alu instid0(VALU_DEP_1)
	v_cmp_le_i16_e64 s9, v5, v4
	s_and_b32 s7, s7, s9
	s_wait_alu 0xfffe
	s_or_b32 s7, s8, s7
	s_wait_alu 0xfffe
	v_cndmask_b32_e64 v4, v49, v50, s7
	v_cndmask_b32_e64 v5, v48, v31, s7
	s_delay_alu instid0(VALU_DEP_2) | instskip(NEXT) | instid1(VALU_DEP_2)
	v_add_nc_u32_e32 v12, 1, v4
	v_add_nc_u32_e32 v5, -1, v5
	v_lshl_add_u32 v4, v4, 3, v9
	s_delay_alu instid0(VALU_DEP_2) | instskip(NEXT) | instid1(VALU_DEP_1)
	v_min_u32_e32 v5, v12, v5
	v_add_nc_u32_e32 v5, v10, v5
	ds_load_u8 v5, v5
	s_wait_dscnt 0x0
	v_cndmask_b32_e64 v28, v5, v23, s7
	v_cndmask_b32_e64 v35, v22, v5, s7
	;; [unrolled: 1-line block ×5, first 2 shown]
	v_bfe_i32 v13, v28, 0, 8
	v_bfe_i32 v14, v35, 0, 8
	v_cmp_lt_u32_e64 s8, v5, v31
	v_cmp_ge_u32_e64 s10, v12, v48
	s_delay_alu instid0(VALU_DEP_3)
	v_cmp_le_i16_e64 s9, v14, v13
	s_and_b32 s8, s8, s9
	s_wait_alu 0xfffe
	s_or_b32 s8, s10, s8
	s_wait_alu 0xfffe
	v_cndmask_b32_e64 v13, v12, v5, s8
	v_cndmask_b32_e64 v14, v48, v31, s8
	;; [unrolled: 1-line block ×3, first 2 shown]
	s_delay_alu instid0(VALU_DEP_3) | instskip(NEXT) | instid1(VALU_DEP_3)
	v_add_nc_u32_e32 v15, 1, v13
	v_add_nc_u32_e32 v14, -1, v14
	v_lshl_add_u32 v13, v13, 3, v9
	s_delay_alu instid0(VALU_DEP_3) | instskip(NEXT) | instid1(VALU_DEP_3)
	v_cndmask_b32_e64 v5, v5, v15, s8
	v_min_u32_e32 v14, v15, v14
	v_cndmask_b32_e64 v12, v15, v12, s8
	s_delay_alu instid0(VALU_DEP_3) | instskip(NEXT) | instid1(VALU_DEP_3)
	v_cmp_lt_u32_e64 s9, v5, v31
	v_add_nc_u32_e32 v14, v10, v14
	s_delay_alu instid0(VALU_DEP_3) | instskip(SKIP_4) | instid1(VALU_DEP_2)
	v_cmp_ge_u32_e64 s11, v12, v48
	ds_load_u8 v14, v14
	s_wait_dscnt 0x0
	v_cndmask_b32_e64 v36, v14, v28, s8
	v_cndmask_b32_e64 v37, v35, v14, s8
	v_bfe_i32 v14, v36, 0, 8
	s_delay_alu instid0(VALU_DEP_2) | instskip(NEXT) | instid1(VALU_DEP_1)
	v_bfe_i32 v16, v37, 0, 8
	v_cmp_le_i16_e64 s10, v16, v14
	s_and_b32 s9, s9, s10
	s_wait_alu 0xfffe
	s_or_b32 s9, s11, s9
	s_wait_alu 0xfffe
	v_cndmask_b32_e64 v14, v12, v5, s9
	v_cndmask_b32_e64 v15, v48, v31, s9
	v_cndmask_b32_e64 v39, v36, v37, s9
	s_delay_alu instid0(VALU_DEP_3) | instskip(NEXT) | instid1(VALU_DEP_3)
	v_add_nc_u32_e32 v16, 1, v14
	v_add_nc_u32_e32 v15, -1, v15
	s_delay_alu instid0(VALU_DEP_2) | instskip(NEXT) | instid1(VALU_DEP_2)
	v_cndmask_b32_e64 v5, v5, v16, s9
	v_min_u32_e32 v15, v16, v15
	v_cndmask_b32_e64 v12, v16, v12, s9
	s_delay_alu instid0(VALU_DEP_3) | instskip(NEXT) | instid1(VALU_DEP_3)
	v_cmp_lt_u32_e64 s10, v5, v31
	v_add_nc_u32_e32 v15, v10, v15
	s_delay_alu instid0(VALU_DEP_3) | instskip(SKIP_4) | instid1(VALU_DEP_2)
	v_cmp_ge_u32_e64 s12, v12, v48
	ds_load_u8 v15, v15
	s_wait_dscnt 0x0
	v_cndmask_b32_e64 v49, v15, v36, s9
	v_cndmask_b32_e64 v50, v37, v15, s9
	v_bfe_i32 v15, v49, 0, 8
	s_delay_alu instid0(VALU_DEP_2) | instskip(NEXT) | instid1(VALU_DEP_1)
	v_bfe_i32 v17, v50, 0, 8
	v_cmp_le_i16_e64 s11, v17, v15
	s_and_b32 s10, s10, s11
	s_wait_alu 0xfffe
	s_or_b32 s10, s12, s10
	s_wait_alu 0xfffe
	v_cndmask_b32_e64 v18, v12, v5, s10
	v_cndmask_b32_e64 v15, v48, v31, s10
	v_cndmask_b32_e64 v28, v49, v50, s10
	s_delay_alu instid0(VALU_DEP_3) | instskip(NEXT) | instid1(VALU_DEP_3)
	v_add_nc_u32_e32 v16, 1, v18
	v_add_nc_u32_e32 v15, -1, v15
	s_delay_alu instid0(VALU_DEP_2) | instskip(NEXT) | instid1(VALU_DEP_2)
	;; [unrolled: 27-line block ×5, first 2 shown]
	v_cndmask_b32_e64 v24, v5, v16, s13
	v_min_u32_e32 v15, v16, v15
	v_cndmask_b32_e64 v12, v16, v12, s13
	v_lshl_add_u32 v16, v14, 3, v9
	s_delay_alu instid0(VALU_DEP_4) | instskip(NEXT) | instid1(VALU_DEP_4)
	v_cmp_lt_u32_e64 s14, v24, v31
	v_add_nc_u32_e32 v15, v10, v15
	s_delay_alu instid0(VALU_DEP_4)
	v_cmp_ge_u32_e64 s16, v12, v48
	v_lshl_add_u32 v31, v21, 3, v9
	ds_load_u8 v15, v15
	s_wait_dscnt 0x0
	v_cndmask_b32_e64 v65, v15, v55, s13
	v_cndmask_b32_e64 v66, v64, v15, s13
	s_delay_alu instid0(VALU_DEP_2) | instskip(NEXT) | instid1(VALU_DEP_2)
	v_bfe_i32 v5, v65, 0, 8
	v_bfe_i32 v15, v66, 0, 8
	s_delay_alu instid0(VALU_DEP_1)
	v_cmp_le_i16_e64 s15, v15, v5
	ds_load_b64 v[4:5], v4 offset:2048
	ds_load_b64 v[14:15], v13 offset:2048
	v_lshl_add_u32 v13, v18, 3, v9
	v_lshl_add_u32 v18, v19, 3, v9
	;; [unrolled: 1-line block ×3, first 2 shown]
	s_and_b32 s14, s14, s15
	ds_load_b64 v[16:17], v16 offset:2048
	s_wait_alu 0xfffe
	s_or_b32 s14, s16, s14
	s_wait_alu 0xfffe
	v_cndmask_b32_e64 v12, v12, v24, s14
	v_cndmask_b32_e64 v36, v65, v66, s14
	s_delay_alu instid0(VALU_DEP_2)
	v_lshl_add_u32 v12, v12, 3, v9
	ds_load_b64 v[24:25], v13 offset:2048
	ds_load_b64 v[26:27], v18 offset:2048
	;; [unrolled: 1-line block ×5, first 2 shown]
.LBB408_96:
	s_wait_alu 0xfffe
	s_or_b32 exec_lo, exec_lo, s18
	v_and_b32_e32 v49, 0xc0, v34
	v_and_b32_e32 v50, 56, v34
	s_mov_b32 s8, exec_lo
	; wave barrier
	s_delay_alu instid0(VALU_DEP_2) | instskip(NEXT) | instid1(VALU_DEP_2)
	v_or_b32_e32 v31, 32, v49
	v_min_u32_e32 v50, v29, v50
	ds_store_b8 v30, v22
	s_wait_dscnt 0x8
	ds_store_b64 v11, v[4:5] offset:2048
	ds_store_b8 v30, v38 offset:1
	s_wait_dscnt 0x9
	ds_store_b64 v11, v[14:15] offset:2056
	ds_store_b8 v30, v39 offset:2
	;; [unrolled: 3-line block ×3, first 2 shown]
	v_min_u32_e32 v31, v29, v31
	s_wait_dscnt 0xb
	ds_store_b64 v11, v[24:25] offset:2072
	ds_store_b8 v30, v23 offset:4
	s_wait_dscnt 0xc
	ds_store_b64 v11, v[26:27] offset:2080
	ds_store_b8 v30, v37 offset:5
	;; [unrolled: 3-line block ×4, first 2 shown]
	s_wait_dscnt 0xf
	ds_store_b64 v11, v[12:13] offset:2104
	; wave barrier
	v_add_nc_u32_e32 v48, 32, v31
	v_sub_nc_u32_e32 v52, v31, v49
	s_delay_alu instid0(VALU_DEP_2) | instskip(NEXT) | instid1(VALU_DEP_2)
	v_min_u32_e32 v48, v29, v48
	v_min_u32_e32 v52, v50, v52
	s_delay_alu instid0(VALU_DEP_2) | instskip(NEXT) | instid1(VALU_DEP_1)
	v_sub_nc_u32_e32 v51, v48, v31
	v_sub_nc_u32_e64 v51, v50, v51 clamp
	s_delay_alu instid0(VALU_DEP_1)
	v_cmpx_lt_u32_e64 v51, v52
	s_cbranch_execz .LBB408_100
; %bb.97:
	v_add_nc_u32_e32 v53, v10, v49
	v_add3_u32 v54, v10, v31, v50
	s_mov_b32 s9, 0
.LBB408_98:                             ; =>This Inner Loop Header: Depth=1
	v_add_nc_u32_e32 v55, v52, v51
	s_delay_alu instid0(VALU_DEP_1) | instskip(NEXT) | instid1(VALU_DEP_1)
	v_lshrrev_b32_e32 v55, 1, v55
	v_add_nc_u32_e32 v64, v53, v55
	v_xad_u32 v65, v55, -1, v54
	v_add_nc_u32_e32 v66, 1, v55
	ds_load_i8 v64, v64
	ds_load_i8 v65, v65
	s_wait_dscnt 0x0
	v_cmp_gt_i16_e64 s7, v64, v65
	s_wait_alu 0xf1ff
	s_delay_alu instid0(VALU_DEP_1) | instskip(SKIP_1) | instid1(VALU_DEP_1)
	v_cndmask_b32_e64 v52, v52, v55, s7
	v_cndmask_b32_e64 v51, v66, v51, s7
	v_cmp_ge_u32_e64 s7, v51, v52
	s_wait_alu 0xfffe
	s_or_b32 s9, s7, s9
	s_wait_alu 0xfffe
	s_and_not1_b32 exec_lo, exec_lo, s9
	s_cbranch_execnz .LBB408_98
; %bb.99:
	s_or_b32 exec_lo, exec_lo, s9
.LBB408_100:
	s_wait_alu 0xfffe
	s_or_b32 exec_lo, exec_lo, s8
	v_add_nc_u32_e32 v52, v31, v50
	v_add_nc_u32_e32 v50, v51, v49
	s_delay_alu instid0(VALU_DEP_2) | instskip(NEXT) | instid1(VALU_DEP_2)
	v_sub_nc_u32_e32 v49, v52, v51
	v_cmp_le_u32_e64 s7, v50, v31
	s_delay_alu instid0(VALU_DEP_2)
	v_cmp_le_u32_e64 s8, v49, v48
	s_or_b32 s7, s7, s8
	s_wait_alu 0xfffe
	s_and_saveexec_b32 s18, s7
	s_cbranch_execz .LBB408_106
; %bb.101:
	v_cmp_lt_u32_e64 s7, v50, v31
                                        ; implicit-def: $vgpr22
	s_and_saveexec_b32 s8, s7
; %bb.102:
	v_add_nc_u32_e32 v4, v10, v50
	ds_load_u8 v22, v4
; %bb.103:
	s_wait_alu 0xfffe
	s_or_b32 exec_lo, exec_lo, s8
	v_cmp_ge_u32_e64 s8, v49, v48
	s_mov_b32 s10, exec_lo
                                        ; implicit-def: $vgpr23
	v_cmpx_lt_u32_e64 v49, v48
; %bb.104:
	v_add_nc_u32_e32 v4, v10, v49
	ds_load_u8 v23, v4
; %bb.105:
	s_wait_alu 0xfffe
	s_or_b32 exec_lo, exec_lo, s10
	s_wait_dscnt 0x0
	v_bfe_i32 v4, v23, 0, 8
	v_bfe_i32 v5, v22, 0, 8
	s_delay_alu instid0(VALU_DEP_1)
	v_cmp_le_i16_e64 s9, v5, v4
	s_and_b32 s7, s7, s9
	s_wait_alu 0xfffe
	s_or_b32 s7, s8, s7
	s_wait_alu 0xfffe
	v_cndmask_b32_e64 v4, v49, v50, s7
	v_cndmask_b32_e64 v5, v48, v31, s7
	s_delay_alu instid0(VALU_DEP_2) | instskip(NEXT) | instid1(VALU_DEP_2)
	v_add_nc_u32_e32 v12, 1, v4
	v_add_nc_u32_e32 v5, -1, v5
	v_lshl_add_u32 v4, v4, 3, v9
	s_delay_alu instid0(VALU_DEP_2) | instskip(NEXT) | instid1(VALU_DEP_1)
	v_min_u32_e32 v5, v12, v5
	v_add_nc_u32_e32 v5, v10, v5
	ds_load_u8 v5, v5
	s_wait_dscnt 0x0
	v_cndmask_b32_e64 v28, v5, v23, s7
	v_cndmask_b32_e64 v35, v22, v5, s7
	;; [unrolled: 1-line block ×5, first 2 shown]
	v_bfe_i32 v13, v28, 0, 8
	v_bfe_i32 v14, v35, 0, 8
	v_cmp_lt_u32_e64 s8, v5, v31
	v_cmp_ge_u32_e64 s10, v12, v48
	s_delay_alu instid0(VALU_DEP_3)
	v_cmp_le_i16_e64 s9, v14, v13
	s_and_b32 s8, s8, s9
	s_wait_alu 0xfffe
	s_or_b32 s8, s10, s8
	s_wait_alu 0xfffe
	v_cndmask_b32_e64 v13, v12, v5, s8
	v_cndmask_b32_e64 v14, v48, v31, s8
	;; [unrolled: 1-line block ×3, first 2 shown]
	s_delay_alu instid0(VALU_DEP_3) | instskip(NEXT) | instid1(VALU_DEP_3)
	v_add_nc_u32_e32 v15, 1, v13
	v_add_nc_u32_e32 v14, -1, v14
	v_lshl_add_u32 v13, v13, 3, v9
	s_delay_alu instid0(VALU_DEP_3) | instskip(NEXT) | instid1(VALU_DEP_3)
	v_cndmask_b32_e64 v5, v5, v15, s8
	v_min_u32_e32 v14, v15, v14
	v_cndmask_b32_e64 v12, v15, v12, s8
	s_delay_alu instid0(VALU_DEP_3) | instskip(NEXT) | instid1(VALU_DEP_3)
	v_cmp_lt_u32_e64 s9, v5, v31
	v_add_nc_u32_e32 v14, v10, v14
	s_delay_alu instid0(VALU_DEP_3) | instskip(SKIP_4) | instid1(VALU_DEP_2)
	v_cmp_ge_u32_e64 s11, v12, v48
	ds_load_u8 v14, v14
	s_wait_dscnt 0x0
	v_cndmask_b32_e64 v36, v14, v28, s8
	v_cndmask_b32_e64 v37, v35, v14, s8
	v_bfe_i32 v14, v36, 0, 8
	s_delay_alu instid0(VALU_DEP_2) | instskip(NEXT) | instid1(VALU_DEP_1)
	v_bfe_i32 v16, v37, 0, 8
	v_cmp_le_i16_e64 s10, v16, v14
	s_and_b32 s9, s9, s10
	s_wait_alu 0xfffe
	s_or_b32 s9, s11, s9
	s_wait_alu 0xfffe
	v_cndmask_b32_e64 v14, v12, v5, s9
	v_cndmask_b32_e64 v15, v48, v31, s9
	v_cndmask_b32_e64 v39, v36, v37, s9
	s_delay_alu instid0(VALU_DEP_3) | instskip(NEXT) | instid1(VALU_DEP_3)
	v_add_nc_u32_e32 v16, 1, v14
	v_add_nc_u32_e32 v15, -1, v15
	s_delay_alu instid0(VALU_DEP_2) | instskip(NEXT) | instid1(VALU_DEP_2)
	v_cndmask_b32_e64 v5, v5, v16, s9
	v_min_u32_e32 v15, v16, v15
	v_cndmask_b32_e64 v12, v16, v12, s9
	s_delay_alu instid0(VALU_DEP_3) | instskip(NEXT) | instid1(VALU_DEP_3)
	v_cmp_lt_u32_e64 s10, v5, v31
	v_add_nc_u32_e32 v15, v10, v15
	s_delay_alu instid0(VALU_DEP_3) | instskip(SKIP_4) | instid1(VALU_DEP_2)
	v_cmp_ge_u32_e64 s12, v12, v48
	ds_load_u8 v15, v15
	s_wait_dscnt 0x0
	v_cndmask_b32_e64 v49, v15, v36, s9
	v_cndmask_b32_e64 v50, v37, v15, s9
	v_bfe_i32 v15, v49, 0, 8
	s_delay_alu instid0(VALU_DEP_2) | instskip(NEXT) | instid1(VALU_DEP_1)
	v_bfe_i32 v17, v50, 0, 8
	v_cmp_le_i16_e64 s11, v17, v15
	s_and_b32 s10, s10, s11
	s_wait_alu 0xfffe
	s_or_b32 s10, s12, s10
	s_wait_alu 0xfffe
	v_cndmask_b32_e64 v18, v12, v5, s10
	v_cndmask_b32_e64 v15, v48, v31, s10
	v_cndmask_b32_e64 v28, v49, v50, s10
	s_delay_alu instid0(VALU_DEP_3) | instskip(NEXT) | instid1(VALU_DEP_3)
	v_add_nc_u32_e32 v16, 1, v18
	v_add_nc_u32_e32 v15, -1, v15
	s_delay_alu instid0(VALU_DEP_2) | instskip(NEXT) | instid1(VALU_DEP_2)
	;; [unrolled: 27-line block ×5, first 2 shown]
	v_cndmask_b32_e64 v24, v5, v16, s13
	v_min_u32_e32 v15, v16, v15
	v_cndmask_b32_e64 v12, v16, v12, s13
	v_lshl_add_u32 v16, v14, 3, v9
	s_delay_alu instid0(VALU_DEP_4) | instskip(NEXT) | instid1(VALU_DEP_4)
	v_cmp_lt_u32_e64 s14, v24, v31
	v_add_nc_u32_e32 v15, v10, v15
	s_delay_alu instid0(VALU_DEP_4)
	v_cmp_ge_u32_e64 s16, v12, v48
	v_lshl_add_u32 v31, v21, 3, v9
	ds_load_u8 v15, v15
	s_wait_dscnt 0x0
	v_cndmask_b32_e64 v65, v15, v55, s13
	v_cndmask_b32_e64 v66, v64, v15, s13
	s_delay_alu instid0(VALU_DEP_2) | instskip(NEXT) | instid1(VALU_DEP_2)
	v_bfe_i32 v5, v65, 0, 8
	v_bfe_i32 v15, v66, 0, 8
	s_delay_alu instid0(VALU_DEP_1)
	v_cmp_le_i16_e64 s15, v15, v5
	ds_load_b64 v[4:5], v4 offset:2048
	ds_load_b64 v[14:15], v13 offset:2048
	v_lshl_add_u32 v13, v18, 3, v9
	v_lshl_add_u32 v18, v19, 3, v9
	;; [unrolled: 1-line block ×3, first 2 shown]
	s_and_b32 s14, s14, s15
	ds_load_b64 v[16:17], v16 offset:2048
	s_wait_alu 0xfffe
	s_or_b32 s14, s16, s14
	s_wait_alu 0xfffe
	v_cndmask_b32_e64 v12, v12, v24, s14
	v_cndmask_b32_e64 v36, v65, v66, s14
	s_delay_alu instid0(VALU_DEP_2)
	v_lshl_add_u32 v12, v12, 3, v9
	ds_load_b64 v[24:25], v13 offset:2048
	ds_load_b64 v[26:27], v18 offset:2048
	;; [unrolled: 1-line block ×5, first 2 shown]
.LBB408_106:
	s_wait_alu 0xfffe
	s_or_b32 exec_lo, exec_lo, s18
	v_and_b32_e32 v48, 0x80, v34
	s_mov_b32 s8, exec_lo
	; wave barrier
	ds_store_b8 v30, v22
	s_wait_dscnt 0x8
	ds_store_b64 v11, v[4:5] offset:2048
	ds_store_b8 v30, v38 offset:1
	s_wait_dscnt 0x9
	ds_store_b64 v11, v[14:15] offset:2056
	v_or_b32_e32 v31, 64, v48
	ds_store_b8 v30, v39 offset:2
	s_wait_dscnt 0xa
	ds_store_b64 v11, v[16:17] offset:2064
	ds_store_b8 v30, v28 offset:3
	s_wait_dscnt 0xb
	ds_store_b64 v11, v[24:25] offset:2072
	;; [unrolled: 3-line block ×6, first 2 shown]
	v_min_u32_e32 v31, v29, v31
	; wave barrier
	s_delay_alu instid0(VALU_DEP_1) | instskip(SKIP_1) | instid1(VALU_DEP_2)
	v_add_nc_u32_e32 v34, 64, v31
	v_sub_nc_u32_e32 v50, v31, v48
	v_min_u32_e32 v34, v29, v34
	v_min_u32_e32 v29, v29, v32
	s_delay_alu instid0(VALU_DEP_2) | instskip(NEXT) | instid1(VALU_DEP_2)
	v_sub_nc_u32_e32 v49, v34, v31
	v_min_u32_e32 v50, v29, v50
	s_delay_alu instid0(VALU_DEP_2) | instskip(NEXT) | instid1(VALU_DEP_1)
	v_sub_nc_u32_e64 v49, v29, v49 clamp
	v_cmpx_lt_u32_e64 v49, v50
	s_cbranch_execz .LBB408_110
; %bb.107:
	v_add_nc_u32_e32 v11, v10, v48
	v_add3_u32 v30, v10, v31, v29
	s_mov_b32 s9, 0
.LBB408_108:                            ; =>This Inner Loop Header: Depth=1
	v_add_nc_u32_e32 v51, v50, v49
	s_delay_alu instid0(VALU_DEP_1) | instskip(NEXT) | instid1(VALU_DEP_1)
	v_lshrrev_b32_e32 v51, 1, v51
	v_add_nc_u32_e32 v52, v11, v51
	v_xad_u32 v53, v51, -1, v30
	v_add_nc_u32_e32 v54, 1, v51
	ds_load_i8 v52, v52
	ds_load_i8 v53, v53
	s_wait_dscnt 0x0
	v_cmp_gt_i16_e64 s7, v52, v53
	s_wait_alu 0xf1ff
	s_delay_alu instid0(VALU_DEP_1) | instskip(SKIP_1) | instid1(VALU_DEP_1)
	v_cndmask_b32_e64 v50, v50, v51, s7
	v_cndmask_b32_e64 v49, v54, v49, s7
	v_cmp_ge_u32_e64 s7, v49, v50
	s_wait_alu 0xfffe
	s_or_b32 s9, s7, s9
	s_wait_alu 0xfffe
	s_and_not1_b32 exec_lo, exec_lo, s9
	s_cbranch_execnz .LBB408_108
; %bb.109:
	s_or_b32 exec_lo, exec_lo, s9
.LBB408_110:
	s_wait_alu 0xfffe
	s_or_b32 exec_lo, exec_lo, s8
	v_add_nc_u32_e32 v11, v31, v29
	v_add_nc_u32_e32 v30, v49, v48
	s_delay_alu instid0(VALU_DEP_2) | instskip(NEXT) | instid1(VALU_DEP_2)
	v_sub_nc_u32_e32 v29, v11, v49
	v_cmp_le_u32_e64 s7, v30, v31
	s_delay_alu instid0(VALU_DEP_2)
	v_cmp_le_u32_e64 s8, v29, v34
	s_or_b32 s7, s7, s8
	s_wait_alu 0xfffe
	s_and_saveexec_b32 s18, s7
	s_cbranch_execz .LBB408_116
; %bb.111:
	v_cmp_lt_u32_e64 s7, v30, v31
                                        ; implicit-def: $vgpr11
	s_and_saveexec_b32 s8, s7
; %bb.112:
	v_add_nc_u32_e32 v4, v10, v30
	ds_load_u8 v11, v4
; %bb.113:
	s_wait_alu 0xfffe
	s_or_b32 exec_lo, exec_lo, s8
	v_cmp_ge_u32_e64 s8, v29, v34
	s_mov_b32 s10, exec_lo
                                        ; implicit-def: $vgpr22
	v_cmpx_lt_u32_e64 v29, v34
; %bb.114:
	v_add_nc_u32_e32 v4, v10, v29
	ds_load_u8 v22, v4
; %bb.115:
	s_wait_alu 0xfffe
	s_or_b32 exec_lo, exec_lo, s10
	s_wait_dscnt 0x0
	v_bfe_i32 v4, v22, 0, 8
	v_bfe_i32 v5, v11, 0, 8
	s_delay_alu instid0(VALU_DEP_1)
	v_cmp_le_i16_e64 s9, v5, v4
	s_and_b32 s7, s7, s9
	s_wait_alu 0xfffe
	s_or_b32 s7, s8, s7
	s_wait_alu 0xfffe
	v_cndmask_b32_e64 v4, v29, v30, s7
	v_cndmask_b32_e64 v5, v34, v31, s7
	s_delay_alu instid0(VALU_DEP_2) | instskip(NEXT) | instid1(VALU_DEP_2)
	v_add_nc_u32_e32 v12, 1, v4
	v_add_nc_u32_e32 v5, -1, v5
	v_lshl_add_u32 v4, v4, 3, v9
	s_delay_alu instid0(VALU_DEP_2) | instskip(NEXT) | instid1(VALU_DEP_1)
	v_min_u32_e32 v5, v12, v5
	v_add_nc_u32_e32 v5, v10, v5
	ds_load_u8 v5, v5
	s_wait_dscnt 0x0
	v_cndmask_b32_e64 v23, v5, v22, s7
	v_cndmask_b32_e64 v28, v11, v5, s7
	;; [unrolled: 1-line block ×5, first 2 shown]
	v_bfe_i32 v13, v23, 0, 8
	v_bfe_i32 v14, v28, 0, 8
	v_cmp_lt_u32_e64 s8, v5, v31
	v_cmp_ge_u32_e64 s10, v12, v34
	s_delay_alu instid0(VALU_DEP_3)
	v_cmp_le_i16_e64 s9, v14, v13
	s_and_b32 s8, s8, s9
	s_wait_alu 0xfffe
	s_or_b32 s8, s10, s8
	s_wait_alu 0xfffe
	v_cndmask_b32_e64 v13, v12, v5, s8
	v_cndmask_b32_e64 v14, v34, v31, s8
	;; [unrolled: 1-line block ×3, first 2 shown]
	s_delay_alu instid0(VALU_DEP_3) | instskip(NEXT) | instid1(VALU_DEP_3)
	v_add_nc_u32_e32 v15, 1, v13
	v_add_nc_u32_e32 v14, -1, v14
	v_lshl_add_u32 v13, v13, 3, v9
	s_delay_alu instid0(VALU_DEP_3) | instskip(NEXT) | instid1(VALU_DEP_3)
	v_cndmask_b32_e64 v5, v5, v15, s8
	v_min_u32_e32 v14, v15, v14
	v_cndmask_b32_e64 v12, v15, v12, s8
	s_delay_alu instid0(VALU_DEP_3) | instskip(NEXT) | instid1(VALU_DEP_3)
	v_cmp_lt_u32_e64 s9, v5, v31
	v_add_nc_u32_e32 v14, v10, v14
	s_delay_alu instid0(VALU_DEP_3) | instskip(SKIP_4) | instid1(VALU_DEP_2)
	v_cmp_ge_u32_e64 s11, v12, v34
	ds_load_u8 v14, v14
	s_wait_dscnt 0x0
	v_cndmask_b32_e64 v29, v14, v23, s8
	v_cndmask_b32_e64 v30, v28, v14, s8
	v_bfe_i32 v14, v29, 0, 8
	s_delay_alu instid0(VALU_DEP_2) | instskip(NEXT) | instid1(VALU_DEP_1)
	v_bfe_i32 v16, v30, 0, 8
	v_cmp_le_i16_e64 s10, v16, v14
	s_and_b32 s9, s9, s10
	s_wait_alu 0xfffe
	s_or_b32 s9, s11, s9
	s_wait_alu 0xfffe
	v_cndmask_b32_e64 v14, v12, v5, s9
	v_cndmask_b32_e64 v15, v34, v31, s9
	v_cndmask_b32_e64 v39, v29, v30, s9
	s_delay_alu instid0(VALU_DEP_3) | instskip(NEXT) | instid1(VALU_DEP_3)
	v_add_nc_u32_e32 v16, 1, v14
	v_add_nc_u32_e32 v15, -1, v15
	s_delay_alu instid0(VALU_DEP_2) | instskip(NEXT) | instid1(VALU_DEP_2)
	v_cndmask_b32_e64 v5, v5, v16, s9
	v_min_u32_e32 v15, v16, v15
	v_cndmask_b32_e64 v12, v16, v12, s9
	s_delay_alu instid0(VALU_DEP_3) | instskip(NEXT) | instid1(VALU_DEP_3)
	v_cmp_lt_u32_e64 s10, v5, v31
	v_add_nc_u32_e32 v15, v10, v15
	s_delay_alu instid0(VALU_DEP_3) | instskip(SKIP_4) | instid1(VALU_DEP_2)
	v_cmp_ge_u32_e64 s12, v12, v34
	ds_load_u8 v15, v15
	s_wait_dscnt 0x0
	v_cndmask_b32_e64 v35, v15, v29, s9
	v_cndmask_b32_e64 v36, v30, v15, s9
	v_bfe_i32 v15, v35, 0, 8
	s_delay_alu instid0(VALU_DEP_2) | instskip(NEXT) | instid1(VALU_DEP_1)
	v_bfe_i32 v17, v36, 0, 8
	v_cmp_le_i16_e64 s11, v17, v15
	s_and_b32 s10, s10, s11
	s_wait_alu 0xfffe
	s_or_b32 s10, s12, s10
	s_wait_alu 0xfffe
	v_cndmask_b32_e64 v18, v12, v5, s10
	v_cndmask_b32_e64 v15, v34, v31, s10
	v_cndmask_b32_e64 v28, v35, v36, s10
	s_delay_alu instid0(VALU_DEP_3) | instskip(NEXT) | instid1(VALU_DEP_3)
	v_add_nc_u32_e32 v16, 1, v18
	v_add_nc_u32_e32 v15, -1, v15
	s_delay_alu instid0(VALU_DEP_2) | instskip(NEXT) | instid1(VALU_DEP_2)
	v_cndmask_b32_e64 v5, v5, v16, s10
	v_min_u32_e32 v15, v16, v15
	v_cndmask_b32_e64 v12, v16, v12, s10
	s_delay_alu instid0(VALU_DEP_3) | instskip(NEXT) | instid1(VALU_DEP_3)
	v_cmp_lt_u32_e64 s11, v5, v31
	v_add_nc_u32_e32 v15, v10, v15
	s_delay_alu instid0(VALU_DEP_3) | instskip(SKIP_4) | instid1(VALU_DEP_2)
	v_cmp_ge_u32_e64 s13, v12, v34
	ds_load_u8 v15, v15
	s_wait_dscnt 0x0
	v_cndmask_b32_e64 v37, v15, v35, s10
	v_cndmask_b32_e64 v48, v36, v15, s10
	v_bfe_i32 v15, v37, 0, 8
	s_delay_alu instid0(VALU_DEP_2) | instskip(NEXT) | instid1(VALU_DEP_1)
	v_bfe_i32 v17, v48, 0, 8
	v_cmp_le_i16_e64 s12, v17, v15
	s_and_b32 s11, s11, s12
	s_wait_alu 0xfffe
	s_or_b32 s11, s13, s11
	s_wait_alu 0xfffe
	v_cndmask_b32_e64 v19, v12, v5, s11
	v_cndmask_b32_e64 v15, v34, v31, s11
	v_cndmask_b32_e64 v23, v37, v48, s11
	s_delay_alu instid0(VALU_DEP_3) | instskip(NEXT) | instid1(VALU_DEP_3)
	v_add_nc_u32_e32 v16, 1, v19
	v_add_nc_u32_e32 v15, -1, v15
	s_delay_alu instid0(VALU_DEP_2) | instskip(NEXT) | instid1(VALU_DEP_2)
	v_cndmask_b32_e64 v5, v5, v16, s11
	v_min_u32_e32 v15, v16, v15
	v_cndmask_b32_e64 v12, v16, v12, s11
	s_delay_alu instid0(VALU_DEP_3) | instskip(NEXT) | instid1(VALU_DEP_3)
	v_cmp_lt_u32_e64 s12, v5, v31
	v_add_nc_u32_e32 v15, v10, v15
	s_delay_alu instid0(VALU_DEP_3) | instskip(SKIP_4) | instid1(VALU_DEP_2)
	v_cmp_ge_u32_e64 s14, v12, v34
	ds_load_u8 v15, v15
	s_wait_dscnt 0x0
	v_cndmask_b32_e64 v49, v15, v37, s11
	v_cndmask_b32_e64 v50, v48, v15, s11
	v_bfe_i32 v15, v49, 0, 8
	s_delay_alu instid0(VALU_DEP_2) | instskip(NEXT) | instid1(VALU_DEP_1)
	v_bfe_i32 v17, v50, 0, 8
	v_cmp_le_i16_e64 s13, v17, v15
	s_and_b32 s12, s12, s13
	s_wait_alu 0xfffe
	s_or_b32 s12, s14, s12
	s_wait_alu 0xfffe
	v_cndmask_b32_e64 v20, v12, v5, s12
	v_cndmask_b32_e64 v15, v34, v31, s12
	v_cndmask_b32_e64 v37, v49, v50, s12
	s_delay_alu instid0(VALU_DEP_3) | instskip(NEXT) | instid1(VALU_DEP_3)
	v_add_nc_u32_e32 v16, 1, v20
	v_add_nc_u32_e32 v15, -1, v15
	s_delay_alu instid0(VALU_DEP_2) | instskip(NEXT) | instid1(VALU_DEP_2)
	v_cndmask_b32_e64 v5, v5, v16, s12
	v_min_u32_e32 v15, v16, v15
	v_cndmask_b32_e64 v12, v16, v12, s12
	s_delay_alu instid0(VALU_DEP_3) | instskip(NEXT) | instid1(VALU_DEP_3)
	v_cmp_lt_u32_e64 s13, v5, v31
	v_add_nc_u32_e32 v15, v10, v15
	s_delay_alu instid0(VALU_DEP_3) | instskip(SKIP_4) | instid1(VALU_DEP_2)
	v_cmp_ge_u32_e64 s15, v12, v34
	ds_load_u8 v15, v15
	s_wait_dscnt 0x0
	v_cndmask_b32_e64 v51, v15, v49, s12
	v_cndmask_b32_e64 v52, v50, v15, s12
	v_bfe_i32 v15, v51, 0, 8
	s_delay_alu instid0(VALU_DEP_2) | instskip(NEXT) | instid1(VALU_DEP_1)
	v_bfe_i32 v17, v52, 0, 8
	v_cmp_le_i16_e64 s14, v17, v15
	s_and_b32 s13, s13, s14
	s_wait_alu 0xfffe
	s_or_b32 s13, s15, s13
	s_wait_alu 0xfffe
	v_cndmask_b32_e64 v21, v12, v5, s13
	v_cndmask_b32_e64 v15, v34, v31, s13
	v_cndmask_b32_e64 v35, v51, v52, s13
	s_delay_alu instid0(VALU_DEP_3) | instskip(NEXT) | instid1(VALU_DEP_3)
	v_add_nc_u32_e32 v16, 1, v21
	v_add_nc_u32_e32 v15, -1, v15
	s_delay_alu instid0(VALU_DEP_2) | instskip(NEXT) | instid1(VALU_DEP_2)
	v_cndmask_b32_e64 v24, v5, v16, s13
	v_min_u32_e32 v15, v16, v15
	v_cndmask_b32_e64 v12, v16, v12, s13
	v_lshl_add_u32 v16, v14, 3, v9
	s_delay_alu instid0(VALU_DEP_4) | instskip(NEXT) | instid1(VALU_DEP_4)
	v_cmp_lt_u32_e64 s14, v24, v31
	v_add_nc_u32_e32 v10, v10, v15
	s_delay_alu instid0(VALU_DEP_4)
	v_cmp_ge_u32_e64 s16, v12, v34
	v_lshl_add_u32 v31, v21, 3, v9
	ds_load_u8 v10, v10
	s_wait_dscnt 0x0
	v_cndmask_b32_e64 v53, v10, v51, s13
	v_cndmask_b32_e64 v10, v52, v10, s13
	s_delay_alu instid0(VALU_DEP_2) | instskip(NEXT) | instid1(VALU_DEP_2)
	v_bfe_i32 v5, v53, 0, 8
	v_bfe_i32 v15, v10, 0, 8
	s_delay_alu instid0(VALU_DEP_1)
	v_cmp_le_i16_e64 s15, v15, v5
	ds_load_b64 v[4:5], v4 offset:2048
	ds_load_b64 v[14:15], v13 offset:2048
	v_lshl_add_u32 v13, v18, 3, v9
	v_lshl_add_u32 v18, v19, 3, v9
	;; [unrolled: 1-line block ×3, first 2 shown]
	s_and_b32 s14, s14, s15
	ds_load_b64 v[16:17], v16 offset:2048
	s_wait_alu 0xfffe
	s_or_b32 s14, s16, s14
	s_wait_alu 0xfffe
	v_cndmask_b32_e64 v12, v12, v24, s14
	v_cndmask_b32_e64 v36, v53, v10, s14
	s_delay_alu instid0(VALU_DEP_2)
	v_lshl_add_u32 v9, v12, 3, v9
	ds_load_b64 v[24:25], v13 offset:2048
	ds_load_b64 v[26:27], v18 offset:2048
	;; [unrolled: 1-line block ×5, first 2 shown]
.LBB408_116:
	s_wait_alu 0xfffe
	s_or_b32 exec_lo, exec_lo, s18
	; wave barrier
	s_wait_storecnt_dscnt 0x0
	s_barrier_signal -1
	s_barrier_wait -1
.LBB408_117:
	s_wait_alu 0xfffe
	s_or_b32 exec_lo, exec_lo, s17
	v_add_co_u32 v2, s7, v2, v8
	s_wait_alu 0xf1ff
	v_add_co_ci_u32_e64 v3, null, 0, v3, s7
	s_wait_storecnt 0x0
	s_wait_loadcnt_dscnt 0x0
	global_inv scope:SCOPE_SE
	v_add_co_u32 v2, s7, v2, v32
	s_wait_alu 0xf1ff
	v_add_co_ci_u32_e64 v3, null, 0, v3, s7
	; wave barrier
	s_and_saveexec_b32 s7, vcc_lo
	s_cbranch_execnz .LBB408_142
; %bb.118:
	s_wait_alu 0xfffe
	s_or_b32 exec_lo, exec_lo, s7
	s_and_saveexec_b32 s7, s0
	s_cbranch_execnz .LBB408_143
.LBB408_119:
	s_wait_alu 0xfffe
	s_or_b32 exec_lo, exec_lo, s7
	s_and_saveexec_b32 s7, s1
	s_cbranch_execnz .LBB408_144
.LBB408_120:
	s_wait_alu 0xfffe
	s_or_b32 exec_lo, exec_lo, s7
	s_and_saveexec_b32 s7, s2
	s_cbranch_execnz .LBB408_145
.LBB408_121:
	s_wait_alu 0xfffe
	s_or_b32 exec_lo, exec_lo, s7
	s_and_saveexec_b32 s7, s3
	s_cbranch_execnz .LBB408_146
.LBB408_122:
	s_wait_alu 0xfffe
	s_or_b32 exec_lo, exec_lo, s7
	s_and_saveexec_b32 s7, s4
	s_cbranch_execnz .LBB408_147
.LBB408_123:
	s_wait_alu 0xfffe
	s_or_b32 exec_lo, exec_lo, s7
	s_and_saveexec_b32 s7, s5
	s_cbranch_execnz .LBB408_148
.LBB408_124:
	s_wait_alu 0xfffe
	s_or_b32 exec_lo, exec_lo, s7
	s_and_saveexec_b32 s7, s6
	s_cbranch_execz .LBB408_126
.LBB408_125:
	flat_store_b8 v[2:3], v36 offset:7
.LBB408_126:
	s_wait_alu 0xfffe
	s_or_b32 exec_lo, exec_lo, s7
	v_add_co_u32 v0, s7, v6, v0
	s_wait_alu 0xf1ff
	v_add_co_ci_u32_e64 v1, null, v7, v1, s7
	s_delay_alu instid0(VALU_DEP_2) | instskip(SKIP_1) | instid1(VALU_DEP_2)
	v_add_co_u32 v0, s7, v0, v33
	s_wait_alu 0xf1ff
	v_add_co_ci_u32_e64 v1, null, 0, v1, s7
	; wave barrier
	s_and_saveexec_b32 s7, vcc_lo
	s_cbranch_execnz .LBB408_149
; %bb.127:
	s_wait_alu 0xfffe
	s_or_b32 exec_lo, exec_lo, s7
	s_and_saveexec_b32 s7, s0
	s_cbranch_execnz .LBB408_150
.LBB408_128:
	s_wait_alu 0xfffe
	s_or_b32 exec_lo, exec_lo, s7
	s_and_saveexec_b32 s0, s1
	s_cbranch_execnz .LBB408_151
.LBB408_129:
	s_wait_alu 0xfffe
	s_or_b32 exec_lo, exec_lo, s0
	s_and_saveexec_b32 s0, s2
	s_cbranch_execnz .LBB408_152
.LBB408_130:
	s_wait_alu 0xfffe
	s_or_b32 exec_lo, exec_lo, s0
	s_and_saveexec_b32 s0, s3
	s_cbranch_execnz .LBB408_153
.LBB408_131:
	s_wait_alu 0xfffe
	s_or_b32 exec_lo, exec_lo, s0
	s_and_saveexec_b32 s0, s4
	s_cbranch_execnz .LBB408_154
.LBB408_132:
	s_wait_alu 0xfffe
	s_or_b32 exec_lo, exec_lo, s0
	s_and_saveexec_b32 s0, s5
	s_cbranch_execnz .LBB408_155
.LBB408_133:
	s_wait_alu 0xfffe
	s_or_b32 exec_lo, exec_lo, s0
	s_and_saveexec_b32 s0, s6
	s_cbranch_execnz .LBB408_156
.LBB408_134:
	s_wait_alu 0xfffe
	s_or_b32 exec_lo, exec_lo, s0
	s_wait_loadcnt_dscnt 0x0
	s_setpc_b64 s[30:31]
.LBB408_135:
	flat_load_b64 v[4:5], v[29:30]
	s_wait_alu 0xfffe
	s_or_b32 exec_lo, exec_lo, s7
                                        ; implicit-def: $vgpr14_vgpr15
	s_and_saveexec_b32 s7, s0
	s_cbranch_execz .LBB408_18
.LBB408_136:
	flat_load_b64 v[14:15], v[29:30] offset:8
	s_wait_alu 0xfffe
	s_or_b32 exec_lo, exec_lo, s7
                                        ; implicit-def: $vgpr16_vgpr17
	s_and_saveexec_b32 s7, s1
	s_cbranch_execz .LBB408_19
.LBB408_137:
	flat_load_b64 v[16:17], v[29:30] offset:16
	s_wait_alu 0xfffe
	s_or_b32 exec_lo, exec_lo, s7
                                        ; implicit-def: $vgpr24_vgpr25
	s_and_saveexec_b32 s7, s2
	s_cbranch_execz .LBB408_20
.LBB408_138:
	flat_load_b64 v[24:25], v[29:30] offset:24
	s_wait_alu 0xfffe
	s_or_b32 exec_lo, exec_lo, s7
                                        ; implicit-def: $vgpr26_vgpr27
	s_and_saveexec_b32 s7, s3
	s_cbranch_execz .LBB408_21
.LBB408_139:
	flat_load_b64 v[26:27], v[29:30] offset:32
	s_wait_alu 0xfffe
	s_or_b32 exec_lo, exec_lo, s7
                                        ; implicit-def: $vgpr20_vgpr21
	s_and_saveexec_b32 s7, s4
	s_cbranch_execz .LBB408_22
.LBB408_140:
	flat_load_b64 v[20:21], v[29:30] offset:40
	s_wait_alu 0xfffe
	s_or_b32 exec_lo, exec_lo, s7
                                        ; implicit-def: $vgpr18_vgpr19
	s_and_saveexec_b32 s7, s5
	s_cbranch_execz .LBB408_23
.LBB408_141:
	flat_load_b64 v[18:19], v[29:30] offset:48
	s_wait_alu 0xfffe
	s_or_b32 exec_lo, exec_lo, s7
                                        ; implicit-def: $vgpr12_vgpr13
	s_and_saveexec_b32 s7, s6
	s_cbranch_execnz .LBB408_24
	s_branch .LBB408_25
.LBB408_142:
	flat_store_b8 v[2:3], v22
	s_wait_alu 0xfffe
	s_or_b32 exec_lo, exec_lo, s7
	s_and_saveexec_b32 s7, s0
	s_cbranch_execz .LBB408_119
.LBB408_143:
	flat_store_b8 v[2:3], v38 offset:1
	s_wait_alu 0xfffe
	s_or_b32 exec_lo, exec_lo, s7
	s_and_saveexec_b32 s7, s1
	s_cbranch_execz .LBB408_120
.LBB408_144:
	flat_store_b8 v[2:3], v39 offset:2
	s_wait_alu 0xfffe
	s_or_b32 exec_lo, exec_lo, s7
	s_and_saveexec_b32 s7, s2
	s_cbranch_execz .LBB408_121
.LBB408_145:
	flat_store_b8 v[2:3], v28 offset:3
	s_wait_alu 0xfffe
	s_or_b32 exec_lo, exec_lo, s7
	s_and_saveexec_b32 s7, s3
	s_cbranch_execz .LBB408_122
.LBB408_146:
	flat_store_b8 v[2:3], v23 offset:4
	s_wait_alu 0xfffe
	s_or_b32 exec_lo, exec_lo, s7
	s_and_saveexec_b32 s7, s4
	s_cbranch_execz .LBB408_123
.LBB408_147:
	flat_store_b8 v[2:3], v37 offset:5
	s_wait_alu 0xfffe
	s_or_b32 exec_lo, exec_lo, s7
	s_and_saveexec_b32 s7, s5
	s_cbranch_execz .LBB408_124
.LBB408_148:
	flat_store_b8 v[2:3], v35 offset:6
	s_wait_alu 0xfffe
	s_or_b32 exec_lo, exec_lo, s7
	s_and_saveexec_b32 s7, s6
	s_cbranch_execnz .LBB408_125
	s_branch .LBB408_126
.LBB408_149:
	flat_store_b64 v[0:1], v[4:5]
	s_wait_alu 0xfffe
	s_or_b32 exec_lo, exec_lo, s7
	s_and_saveexec_b32 s7, s0
	s_cbranch_execz .LBB408_128
.LBB408_150:
	flat_store_b64 v[0:1], v[14:15] offset:8
	s_wait_alu 0xfffe
	s_or_b32 exec_lo, exec_lo, s7
	s_and_saveexec_b32 s0, s1
	s_cbranch_execz .LBB408_129
.LBB408_151:
	flat_store_b64 v[0:1], v[16:17] offset:16
	s_wait_alu 0xfffe
	s_or_b32 exec_lo, exec_lo, s0
	s_and_saveexec_b32 s0, s2
	s_cbranch_execz .LBB408_130
.LBB408_152:
	flat_store_b64 v[0:1], v[24:25] offset:24
	s_wait_alu 0xfffe
	s_or_b32 exec_lo, exec_lo, s0
	s_and_saveexec_b32 s0, s3
	s_cbranch_execz .LBB408_131
.LBB408_153:
	flat_store_b64 v[0:1], v[26:27] offset:32
	s_wait_alu 0xfffe
	s_or_b32 exec_lo, exec_lo, s0
	s_and_saveexec_b32 s0, s4
	s_cbranch_execz .LBB408_132
.LBB408_154:
	flat_store_b64 v[0:1], v[20:21] offset:40
	s_wait_alu 0xfffe
	s_or_b32 exec_lo, exec_lo, s0
	s_and_saveexec_b32 s0, s5
	s_cbranch_execz .LBB408_133
.LBB408_155:
	flat_store_b64 v[0:1], v[18:19] offset:48
	s_wait_alu 0xfffe
	s_or_b32 exec_lo, exec_lo, s0
	s_and_saveexec_b32 s0, s6
	s_cbranch_execz .LBB408_134
.LBB408_156:
	flat_store_b64 v[0:1], v[12:13] offset:56
	s_wait_alu 0xfffe
	s_or_b32 exec_lo, exec_lo, s0
	s_wait_loadcnt_dscnt 0x0
	s_setpc_b64 s[30:31]
.Lfunc_end408:
	.size	_ZN7rocprim17ROCPRIM_400000_NS6detail26segmented_warp_sort_helperINS1_20WarpSortHelperConfigILj16ELj8ELj256EEEalLi256ELb0EvE4sortIPKaPaPKlPlEEvT_T0_T1_T2_jjjjRNS5_12storage_typeE, .Lfunc_end408-_ZN7rocprim17ROCPRIM_400000_NS6detail26segmented_warp_sort_helperINS1_20WarpSortHelperConfigILj16ELj8ELj256EEEalLi256ELb0EvE4sortIPKaPaPKlPlEEvT_T0_T1_T2_jjjjRNS5_12storage_typeE
                                        ; -- End function
	.set .L_ZN7rocprim17ROCPRIM_400000_NS6detail26segmented_warp_sort_helperINS1_20WarpSortHelperConfigILj16ELj8ELj256EEEalLi256ELb0EvE4sortIPKaPaPKlPlEEvT_T0_T1_T2_jjjjRNS5_12storage_typeE.num_vgpr, 68
	.set .L_ZN7rocprim17ROCPRIM_400000_NS6detail26segmented_warp_sort_helperINS1_20WarpSortHelperConfigILj16ELj8ELj256EEEalLi256ELb0EvE4sortIPKaPaPKlPlEEvT_T0_T1_T2_jjjjRNS5_12storage_typeE.num_agpr, 0
	.set .L_ZN7rocprim17ROCPRIM_400000_NS6detail26segmented_warp_sort_helperINS1_20WarpSortHelperConfigILj16ELj8ELj256EEEalLi256ELb0EvE4sortIPKaPaPKlPlEEvT_T0_T1_T2_jjjjRNS5_12storage_typeE.numbered_sgpr, 32
	.set .L_ZN7rocprim17ROCPRIM_400000_NS6detail26segmented_warp_sort_helperINS1_20WarpSortHelperConfigILj16ELj8ELj256EEEalLi256ELb0EvE4sortIPKaPaPKlPlEEvT_T0_T1_T2_jjjjRNS5_12storage_typeE.num_named_barrier, 0
	.set .L_ZN7rocprim17ROCPRIM_400000_NS6detail26segmented_warp_sort_helperINS1_20WarpSortHelperConfigILj16ELj8ELj256EEEalLi256ELb0EvE4sortIPKaPaPKlPlEEvT_T0_T1_T2_jjjjRNS5_12storage_typeE.private_seg_size, 0
	.set .L_ZN7rocprim17ROCPRIM_400000_NS6detail26segmented_warp_sort_helperINS1_20WarpSortHelperConfigILj16ELj8ELj256EEEalLi256ELb0EvE4sortIPKaPaPKlPlEEvT_T0_T1_T2_jjjjRNS5_12storage_typeE.uses_vcc, 1
	.set .L_ZN7rocprim17ROCPRIM_400000_NS6detail26segmented_warp_sort_helperINS1_20WarpSortHelperConfigILj16ELj8ELj256EEEalLi256ELb0EvE4sortIPKaPaPKlPlEEvT_T0_T1_T2_jjjjRNS5_12storage_typeE.uses_flat_scratch, 0
	.set .L_ZN7rocprim17ROCPRIM_400000_NS6detail26segmented_warp_sort_helperINS1_20WarpSortHelperConfigILj16ELj8ELj256EEEalLi256ELb0EvE4sortIPKaPaPKlPlEEvT_T0_T1_T2_jjjjRNS5_12storage_typeE.has_dyn_sized_stack, 0
	.set .L_ZN7rocprim17ROCPRIM_400000_NS6detail26segmented_warp_sort_helperINS1_20WarpSortHelperConfigILj16ELj8ELj256EEEalLi256ELb0EvE4sortIPKaPaPKlPlEEvT_T0_T1_T2_jjjjRNS5_12storage_typeE.has_recursion, 0
	.set .L_ZN7rocprim17ROCPRIM_400000_NS6detail26segmented_warp_sort_helperINS1_20WarpSortHelperConfigILj16ELj8ELj256EEEalLi256ELb0EvE4sortIPKaPaPKlPlEEvT_T0_T1_T2_jjjjRNS5_12storage_typeE.has_indirect_call, 0
	.section	.AMDGPU.csdata,"",@progbits
; Function info:
; codeLenInByte = 23192
; TotalNumSgprs: 34
; NumVgprs: 68
; ScratchSize: 0
; MemoryBound: 0
	.section	.text._ZN7rocprim17ROCPRIM_400000_NS6detail17trampoline_kernelINS0_14default_configENS1_36segmented_radix_sort_config_selectorIalEEZNS1_25segmented_radix_sort_implIS3_Lb0EPKaPaPKlPlN2at6native12_GLOBAL__N_18offset_tEEE10hipError_tPvRmT1_PNSt15iterator_traitsISK_E10value_typeET2_T3_PNSL_ISQ_E10value_typeET4_jRbjT5_SW_jjP12ihipStream_tbEUlT_E0_NS1_11comp_targetILNS1_3genE10ELNS1_11target_archE1201ELNS1_3gpuE5ELNS1_3repE0EEENS1_60segmented_radix_sort_warp_sort_medium_config_static_selectorELNS0_4arch9wavefront6targetE0EEEvSK_,"axG",@progbits,_ZN7rocprim17ROCPRIM_400000_NS6detail17trampoline_kernelINS0_14default_configENS1_36segmented_radix_sort_config_selectorIalEEZNS1_25segmented_radix_sort_implIS3_Lb0EPKaPaPKlPlN2at6native12_GLOBAL__N_18offset_tEEE10hipError_tPvRmT1_PNSt15iterator_traitsISK_E10value_typeET2_T3_PNSL_ISQ_E10value_typeET4_jRbjT5_SW_jjP12ihipStream_tbEUlT_E0_NS1_11comp_targetILNS1_3genE10ELNS1_11target_archE1201ELNS1_3gpuE5ELNS1_3repE0EEENS1_60segmented_radix_sort_warp_sort_medium_config_static_selectorELNS0_4arch9wavefront6targetE0EEEvSK_,comdat
	.globl	_ZN7rocprim17ROCPRIM_400000_NS6detail17trampoline_kernelINS0_14default_configENS1_36segmented_radix_sort_config_selectorIalEEZNS1_25segmented_radix_sort_implIS3_Lb0EPKaPaPKlPlN2at6native12_GLOBAL__N_18offset_tEEE10hipError_tPvRmT1_PNSt15iterator_traitsISK_E10value_typeET2_T3_PNSL_ISQ_E10value_typeET4_jRbjT5_SW_jjP12ihipStream_tbEUlT_E0_NS1_11comp_targetILNS1_3genE10ELNS1_11target_archE1201ELNS1_3gpuE5ELNS1_3repE0EEENS1_60segmented_radix_sort_warp_sort_medium_config_static_selectorELNS0_4arch9wavefront6targetE0EEEvSK_ ; -- Begin function _ZN7rocprim17ROCPRIM_400000_NS6detail17trampoline_kernelINS0_14default_configENS1_36segmented_radix_sort_config_selectorIalEEZNS1_25segmented_radix_sort_implIS3_Lb0EPKaPaPKlPlN2at6native12_GLOBAL__N_18offset_tEEE10hipError_tPvRmT1_PNSt15iterator_traitsISK_E10value_typeET2_T3_PNSL_ISQ_E10value_typeET4_jRbjT5_SW_jjP12ihipStream_tbEUlT_E0_NS1_11comp_targetILNS1_3genE10ELNS1_11target_archE1201ELNS1_3gpuE5ELNS1_3repE0EEENS1_60segmented_radix_sort_warp_sort_medium_config_static_selectorELNS0_4arch9wavefront6targetE0EEEvSK_
	.p2align	8
	.type	_ZN7rocprim17ROCPRIM_400000_NS6detail17trampoline_kernelINS0_14default_configENS1_36segmented_radix_sort_config_selectorIalEEZNS1_25segmented_radix_sort_implIS3_Lb0EPKaPaPKlPlN2at6native12_GLOBAL__N_18offset_tEEE10hipError_tPvRmT1_PNSt15iterator_traitsISK_E10value_typeET2_T3_PNSL_ISQ_E10value_typeET4_jRbjT5_SW_jjP12ihipStream_tbEUlT_E0_NS1_11comp_targetILNS1_3genE10ELNS1_11target_archE1201ELNS1_3gpuE5ELNS1_3repE0EEENS1_60segmented_radix_sort_warp_sort_medium_config_static_selectorELNS0_4arch9wavefront6targetE0EEEvSK_,@function
_ZN7rocprim17ROCPRIM_400000_NS6detail17trampoline_kernelINS0_14default_configENS1_36segmented_radix_sort_config_selectorIalEEZNS1_25segmented_radix_sort_implIS3_Lb0EPKaPaPKlPlN2at6native12_GLOBAL__N_18offset_tEEE10hipError_tPvRmT1_PNSt15iterator_traitsISK_E10value_typeET2_T3_PNSL_ISQ_E10value_typeET4_jRbjT5_SW_jjP12ihipStream_tbEUlT_E0_NS1_11comp_targetILNS1_3genE10ELNS1_11target_archE1201ELNS1_3gpuE5ELNS1_3repE0EEENS1_60segmented_radix_sort_warp_sort_medium_config_static_selectorELNS0_4arch9wavefront6targetE0EEEvSK_: ; @_ZN7rocprim17ROCPRIM_400000_NS6detail17trampoline_kernelINS0_14default_configENS1_36segmented_radix_sort_config_selectorIalEEZNS1_25segmented_radix_sort_implIS3_Lb0EPKaPaPKlPlN2at6native12_GLOBAL__N_18offset_tEEE10hipError_tPvRmT1_PNSt15iterator_traitsISK_E10value_typeET2_T3_PNSL_ISQ_E10value_typeET4_jRbjT5_SW_jjP12ihipStream_tbEUlT_E0_NS1_11comp_targetILNS1_3genE10ELNS1_11target_archE1201ELNS1_3gpuE5ELNS1_3repE0EEENS1_60segmented_radix_sort_warp_sort_medium_config_static_selectorELNS0_4arch9wavefront6targetE0EEEvSK_
; %bb.0:
	s_load_b32 s2, s[0:1], 0x64
	v_bfe_u32 v1, v0, 10, 10
	v_bfe_u32 v2, v0, 20, 10
	s_mov_b32 s32, 0
	s_wait_kmcnt 0x0
	s_lshr_b32 s3, s2, 16
	s_and_b32 s2, s2, 0xffff
	v_mad_u32_u24 v2, v2, s3, v1
	v_and_b32_e32 v1, 0x3ff, v0
	s_load_b32 s3, s[0:1], 0x34
	s_delay_alu instid0(VALU_DEP_1) | instskip(SKIP_2) | instid1(VALU_DEP_1)
	v_mad_co_u64_u32 v[1:2], null, v2, s2, v[1:2]
	s_mov_b32 s2, exec_lo
	v_lshrrev_b32_e32 v1, 4, v1
	v_lshl_add_u32 v1, ttmp9, 4, v1
	s_wait_kmcnt 0x0
	s_delay_alu instid0(VALU_DEP_1)
	v_cmpx_gt_u32_e64 s3, v1
	s_cbranch_execz .LBB409_6
; %bb.1:
	s_clause 0x1
	s_load_b64 s[2:3], s[0:1], 0x38
	s_load_b128 s[4:7], s[0:1], 0x40
	v_mov_b32_e32 v2, 0
	s_delay_alu instid0(VALU_DEP_1) | instskip(SKIP_1) | instid1(VALU_DEP_1)
	v_lshlrev_b64_e32 v[1:2], 2, v[1:2]
	s_wait_kmcnt 0x0
	v_add_co_u32 v1, vcc_lo, s2, v1
	s_delay_alu instid0(VALU_DEP_1) | instskip(SKIP_4) | instid1(VALU_DEP_2)
	v_add_co_ci_u32_e64 v2, null, s3, v2, vcc_lo
	global_load_b32 v1, v[1:2], off
	s_wait_loadcnt 0x0
	v_add_nc_u32_e32 v2, s5, v1
	v_add_nc_u32_e32 v1, s7, v1
	v_mul_lo_u32 v8, v2, s4
	s_delay_alu instid0(VALU_DEP_2) | instskip(NEXT) | instid1(VALU_DEP_1)
	v_mul_lo_u32 v40, v1, s6
	v_cmp_gt_u32_e32 vcc_lo, v40, v8
	s_and_b32 exec_lo, exec_lo, vcc_lo
	s_cbranch_execz .LBB409_6
; %bb.2:
	s_clause 0x3
	s_load_b32 s2, s[0:1], 0x30
	s_load_b128 s[24:27], s[0:1], 0x20
	s_load_b256 s[36:43], s[0:1], 0x0
	s_load_b64 s[28:29], s[0:1], 0x50
	s_add_nc_u64 s[22:23], s[0:1], 0x58
	s_wait_kmcnt 0x0
	s_bitcmp0_b32 s2, 0
	s_mov_b32 s2, -1
	s_cbranch_scc0 .LBB409_4
; %bb.3:
	v_mov_b32_e32 v31, v0
	v_dual_mov_b32 v41, v0 :: v_dual_mov_b32 v2, s38
	v_dual_mov_b32 v0, s36 :: v_dual_mov_b32 v1, s37
	;; [unrolled: 1-line block ×5, first 2 shown]
	v_mov_b32_e32 v9, v40
	v_mov_b32_e32 v11, s29
	s_getpc_b64 s[0:1]
	s_wait_alu 0xfffe
	s_sext_i32_i16 s1, s1
	s_add_co_u32 s0, s0, _ZN7rocprim17ROCPRIM_400000_NS6detail26segmented_warp_sort_helperINS1_20WarpSortHelperConfigILj16ELj8ELj256EEEalLi256ELb0EvE4sortIPKaPaPKlPlEEvT_T0_T1_T2_jjjjRNS5_12storage_typeE@rel32@lo+12
	s_wait_alu 0xfffe
	s_add_co_ci_u32 s1, s1, _ZN7rocprim17ROCPRIM_400000_NS6detail26segmented_warp_sort_helperINS1_20WarpSortHelperConfigILj16ELj8ELj256EEEalLi256ELb0EvE4sortIPKaPaPKlPlEEvT_T0_T1_T2_jjjjRNS5_12storage_typeE@rel32@hi+24
	s_mov_b64 s[8:9], s[22:23]
	s_wait_alu 0xfffe
	s_swappc_b64 s[30:31], s[0:1]
	v_mov_b32_e32 v0, v41
	s_mov_b32 s2, 0
.LBB409_4:
	s_wait_alu 0xfffe
	s_and_not1_b32 vcc_lo, exec_lo, s2
	s_wait_alu 0xfffe
	s_cbranch_vccnz .LBB409_6
; %bb.5:
	v_dual_mov_b32 v31, v0 :: v_dual_mov_b32 v0, s36
	v_dual_mov_b32 v1, s37 :: v_dual_mov_b32 v2, s40
	;; [unrolled: 1-line block ×5, first 2 shown]
	v_mov_b32_e32 v9, v40
	v_mov_b32_e32 v11, s29
	s_getpc_b64 s[0:1]
	s_wait_alu 0xfffe
	s_sext_i32_i16 s1, s1
	s_add_co_u32 s0, s0, _ZN7rocprim17ROCPRIM_400000_NS6detail26segmented_warp_sort_helperINS1_20WarpSortHelperConfigILj16ELj8ELj256EEEalLi256ELb0EvE4sortIPKaPaPKlPlEEvT_T0_T1_T2_jjjjRNS5_12storage_typeE@rel32@lo+12
	s_wait_alu 0xfffe
	s_add_co_ci_u32 s1, s1, _ZN7rocprim17ROCPRIM_400000_NS6detail26segmented_warp_sort_helperINS1_20WarpSortHelperConfigILj16ELj8ELj256EEEalLi256ELb0EvE4sortIPKaPaPKlPlEEvT_T0_T1_T2_jjjjRNS5_12storage_typeE@rel32@hi+24
	s_mov_b64 s[8:9], s[22:23]
	s_wait_alu 0xfffe
	s_swappc_b64 s[30:31], s[0:1]
.LBB409_6:
	s_endpgm
	.section	.rodata,"a",@progbits
	.p2align	6, 0x0
	.amdhsa_kernel _ZN7rocprim17ROCPRIM_400000_NS6detail17trampoline_kernelINS0_14default_configENS1_36segmented_radix_sort_config_selectorIalEEZNS1_25segmented_radix_sort_implIS3_Lb0EPKaPaPKlPlN2at6native12_GLOBAL__N_18offset_tEEE10hipError_tPvRmT1_PNSt15iterator_traitsISK_E10value_typeET2_T3_PNSL_ISQ_E10value_typeET4_jRbjT5_SW_jjP12ihipStream_tbEUlT_E0_NS1_11comp_targetILNS1_3genE10ELNS1_11target_archE1201ELNS1_3gpuE5ELNS1_3repE0EEENS1_60segmented_radix_sort_warp_sort_medium_config_static_selectorELNS0_4arch9wavefront6targetE0EEEvSK_
		.amdhsa_group_segment_fixed_size 18432
		.amdhsa_private_segment_fixed_size 0
		.amdhsa_kernarg_size 344
		.amdhsa_user_sgpr_count 2
		.amdhsa_user_sgpr_dispatch_ptr 0
		.amdhsa_user_sgpr_queue_ptr 0
		.amdhsa_user_sgpr_kernarg_segment_ptr 1
		.amdhsa_user_sgpr_dispatch_id 0
		.amdhsa_user_sgpr_private_segment_size 0
		.amdhsa_wavefront_size32 1
		.amdhsa_uses_dynamic_stack 0
		.amdhsa_enable_private_segment 0
		.amdhsa_system_sgpr_workgroup_id_x 1
		.amdhsa_system_sgpr_workgroup_id_y 1
		.amdhsa_system_sgpr_workgroup_id_z 0
		.amdhsa_system_sgpr_workgroup_info 0
		.amdhsa_system_vgpr_workitem_id 2
		.amdhsa_next_free_vgpr 68
		.amdhsa_next_free_sgpr 44
		.amdhsa_reserve_vcc 1
		.amdhsa_float_round_mode_32 0
		.amdhsa_float_round_mode_16_64 0
		.amdhsa_float_denorm_mode_32 3
		.amdhsa_float_denorm_mode_16_64 3
		.amdhsa_fp16_overflow 0
		.amdhsa_workgroup_processor_mode 1
		.amdhsa_memory_ordered 1
		.amdhsa_forward_progress 1
		.amdhsa_inst_pref_size 4
		.amdhsa_round_robin_scheduling 0
		.amdhsa_exception_fp_ieee_invalid_op 0
		.amdhsa_exception_fp_denorm_src 0
		.amdhsa_exception_fp_ieee_div_zero 0
		.amdhsa_exception_fp_ieee_overflow 0
		.amdhsa_exception_fp_ieee_underflow 0
		.amdhsa_exception_fp_ieee_inexact 0
		.amdhsa_exception_int_div_zero 0
	.end_amdhsa_kernel
	.section	.text._ZN7rocprim17ROCPRIM_400000_NS6detail17trampoline_kernelINS0_14default_configENS1_36segmented_radix_sort_config_selectorIalEEZNS1_25segmented_radix_sort_implIS3_Lb0EPKaPaPKlPlN2at6native12_GLOBAL__N_18offset_tEEE10hipError_tPvRmT1_PNSt15iterator_traitsISK_E10value_typeET2_T3_PNSL_ISQ_E10value_typeET4_jRbjT5_SW_jjP12ihipStream_tbEUlT_E0_NS1_11comp_targetILNS1_3genE10ELNS1_11target_archE1201ELNS1_3gpuE5ELNS1_3repE0EEENS1_60segmented_radix_sort_warp_sort_medium_config_static_selectorELNS0_4arch9wavefront6targetE0EEEvSK_,"axG",@progbits,_ZN7rocprim17ROCPRIM_400000_NS6detail17trampoline_kernelINS0_14default_configENS1_36segmented_radix_sort_config_selectorIalEEZNS1_25segmented_radix_sort_implIS3_Lb0EPKaPaPKlPlN2at6native12_GLOBAL__N_18offset_tEEE10hipError_tPvRmT1_PNSt15iterator_traitsISK_E10value_typeET2_T3_PNSL_ISQ_E10value_typeET4_jRbjT5_SW_jjP12ihipStream_tbEUlT_E0_NS1_11comp_targetILNS1_3genE10ELNS1_11target_archE1201ELNS1_3gpuE5ELNS1_3repE0EEENS1_60segmented_radix_sort_warp_sort_medium_config_static_selectorELNS0_4arch9wavefront6targetE0EEEvSK_,comdat
.Lfunc_end409:
	.size	_ZN7rocprim17ROCPRIM_400000_NS6detail17trampoline_kernelINS0_14default_configENS1_36segmented_radix_sort_config_selectorIalEEZNS1_25segmented_radix_sort_implIS3_Lb0EPKaPaPKlPlN2at6native12_GLOBAL__N_18offset_tEEE10hipError_tPvRmT1_PNSt15iterator_traitsISK_E10value_typeET2_T3_PNSL_ISQ_E10value_typeET4_jRbjT5_SW_jjP12ihipStream_tbEUlT_E0_NS1_11comp_targetILNS1_3genE10ELNS1_11target_archE1201ELNS1_3gpuE5ELNS1_3repE0EEENS1_60segmented_radix_sort_warp_sort_medium_config_static_selectorELNS0_4arch9wavefront6targetE0EEEvSK_, .Lfunc_end409-_ZN7rocprim17ROCPRIM_400000_NS6detail17trampoline_kernelINS0_14default_configENS1_36segmented_radix_sort_config_selectorIalEEZNS1_25segmented_radix_sort_implIS3_Lb0EPKaPaPKlPlN2at6native12_GLOBAL__N_18offset_tEEE10hipError_tPvRmT1_PNSt15iterator_traitsISK_E10value_typeET2_T3_PNSL_ISQ_E10value_typeET4_jRbjT5_SW_jjP12ihipStream_tbEUlT_E0_NS1_11comp_targetILNS1_3genE10ELNS1_11target_archE1201ELNS1_3gpuE5ELNS1_3repE0EEENS1_60segmented_radix_sort_warp_sort_medium_config_static_selectorELNS0_4arch9wavefront6targetE0EEEvSK_
                                        ; -- End function
	.set _ZN7rocprim17ROCPRIM_400000_NS6detail17trampoline_kernelINS0_14default_configENS1_36segmented_radix_sort_config_selectorIalEEZNS1_25segmented_radix_sort_implIS3_Lb0EPKaPaPKlPlN2at6native12_GLOBAL__N_18offset_tEEE10hipError_tPvRmT1_PNSt15iterator_traitsISK_E10value_typeET2_T3_PNSL_ISQ_E10value_typeET4_jRbjT5_SW_jjP12ihipStream_tbEUlT_E0_NS1_11comp_targetILNS1_3genE10ELNS1_11target_archE1201ELNS1_3gpuE5ELNS1_3repE0EEENS1_60segmented_radix_sort_warp_sort_medium_config_static_selectorELNS0_4arch9wavefront6targetE0EEEvSK_.num_vgpr, max(42, .L_ZN7rocprim17ROCPRIM_400000_NS6detail26segmented_warp_sort_helperINS1_20WarpSortHelperConfigILj16ELj8ELj256EEEalLi256ELb0EvE4sortIPKaPaPKlPlEEvT_T0_T1_T2_jjjjRNS5_12storage_typeE.num_vgpr)
	.set _ZN7rocprim17ROCPRIM_400000_NS6detail17trampoline_kernelINS0_14default_configENS1_36segmented_radix_sort_config_selectorIalEEZNS1_25segmented_radix_sort_implIS3_Lb0EPKaPaPKlPlN2at6native12_GLOBAL__N_18offset_tEEE10hipError_tPvRmT1_PNSt15iterator_traitsISK_E10value_typeET2_T3_PNSL_ISQ_E10value_typeET4_jRbjT5_SW_jjP12ihipStream_tbEUlT_E0_NS1_11comp_targetILNS1_3genE10ELNS1_11target_archE1201ELNS1_3gpuE5ELNS1_3repE0EEENS1_60segmented_radix_sort_warp_sort_medium_config_static_selectorELNS0_4arch9wavefront6targetE0EEEvSK_.num_agpr, max(0, .L_ZN7rocprim17ROCPRIM_400000_NS6detail26segmented_warp_sort_helperINS1_20WarpSortHelperConfigILj16ELj8ELj256EEEalLi256ELb0EvE4sortIPKaPaPKlPlEEvT_T0_T1_T2_jjjjRNS5_12storage_typeE.num_agpr)
	.set _ZN7rocprim17ROCPRIM_400000_NS6detail17trampoline_kernelINS0_14default_configENS1_36segmented_radix_sort_config_selectorIalEEZNS1_25segmented_radix_sort_implIS3_Lb0EPKaPaPKlPlN2at6native12_GLOBAL__N_18offset_tEEE10hipError_tPvRmT1_PNSt15iterator_traitsISK_E10value_typeET2_T3_PNSL_ISQ_E10value_typeET4_jRbjT5_SW_jjP12ihipStream_tbEUlT_E0_NS1_11comp_targetILNS1_3genE10ELNS1_11target_archE1201ELNS1_3gpuE5ELNS1_3repE0EEENS1_60segmented_radix_sort_warp_sort_medium_config_static_selectorELNS0_4arch9wavefront6targetE0EEEvSK_.numbered_sgpr, max(44, .L_ZN7rocprim17ROCPRIM_400000_NS6detail26segmented_warp_sort_helperINS1_20WarpSortHelperConfigILj16ELj8ELj256EEEalLi256ELb0EvE4sortIPKaPaPKlPlEEvT_T0_T1_T2_jjjjRNS5_12storage_typeE.numbered_sgpr)
	.set _ZN7rocprim17ROCPRIM_400000_NS6detail17trampoline_kernelINS0_14default_configENS1_36segmented_radix_sort_config_selectorIalEEZNS1_25segmented_radix_sort_implIS3_Lb0EPKaPaPKlPlN2at6native12_GLOBAL__N_18offset_tEEE10hipError_tPvRmT1_PNSt15iterator_traitsISK_E10value_typeET2_T3_PNSL_ISQ_E10value_typeET4_jRbjT5_SW_jjP12ihipStream_tbEUlT_E0_NS1_11comp_targetILNS1_3genE10ELNS1_11target_archE1201ELNS1_3gpuE5ELNS1_3repE0EEENS1_60segmented_radix_sort_warp_sort_medium_config_static_selectorELNS0_4arch9wavefront6targetE0EEEvSK_.num_named_barrier, max(0, .L_ZN7rocprim17ROCPRIM_400000_NS6detail26segmented_warp_sort_helperINS1_20WarpSortHelperConfigILj16ELj8ELj256EEEalLi256ELb0EvE4sortIPKaPaPKlPlEEvT_T0_T1_T2_jjjjRNS5_12storage_typeE.num_named_barrier)
	.set _ZN7rocprim17ROCPRIM_400000_NS6detail17trampoline_kernelINS0_14default_configENS1_36segmented_radix_sort_config_selectorIalEEZNS1_25segmented_radix_sort_implIS3_Lb0EPKaPaPKlPlN2at6native12_GLOBAL__N_18offset_tEEE10hipError_tPvRmT1_PNSt15iterator_traitsISK_E10value_typeET2_T3_PNSL_ISQ_E10value_typeET4_jRbjT5_SW_jjP12ihipStream_tbEUlT_E0_NS1_11comp_targetILNS1_3genE10ELNS1_11target_archE1201ELNS1_3gpuE5ELNS1_3repE0EEENS1_60segmented_radix_sort_warp_sort_medium_config_static_selectorELNS0_4arch9wavefront6targetE0EEEvSK_.private_seg_size, 0+max(.L_ZN7rocprim17ROCPRIM_400000_NS6detail26segmented_warp_sort_helperINS1_20WarpSortHelperConfigILj16ELj8ELj256EEEalLi256ELb0EvE4sortIPKaPaPKlPlEEvT_T0_T1_T2_jjjjRNS5_12storage_typeE.private_seg_size)
	.set _ZN7rocprim17ROCPRIM_400000_NS6detail17trampoline_kernelINS0_14default_configENS1_36segmented_radix_sort_config_selectorIalEEZNS1_25segmented_radix_sort_implIS3_Lb0EPKaPaPKlPlN2at6native12_GLOBAL__N_18offset_tEEE10hipError_tPvRmT1_PNSt15iterator_traitsISK_E10value_typeET2_T3_PNSL_ISQ_E10value_typeET4_jRbjT5_SW_jjP12ihipStream_tbEUlT_E0_NS1_11comp_targetILNS1_3genE10ELNS1_11target_archE1201ELNS1_3gpuE5ELNS1_3repE0EEENS1_60segmented_radix_sort_warp_sort_medium_config_static_selectorELNS0_4arch9wavefront6targetE0EEEvSK_.uses_vcc, or(1, .L_ZN7rocprim17ROCPRIM_400000_NS6detail26segmented_warp_sort_helperINS1_20WarpSortHelperConfigILj16ELj8ELj256EEEalLi256ELb0EvE4sortIPKaPaPKlPlEEvT_T0_T1_T2_jjjjRNS5_12storage_typeE.uses_vcc)
	.set _ZN7rocprim17ROCPRIM_400000_NS6detail17trampoline_kernelINS0_14default_configENS1_36segmented_radix_sort_config_selectorIalEEZNS1_25segmented_radix_sort_implIS3_Lb0EPKaPaPKlPlN2at6native12_GLOBAL__N_18offset_tEEE10hipError_tPvRmT1_PNSt15iterator_traitsISK_E10value_typeET2_T3_PNSL_ISQ_E10value_typeET4_jRbjT5_SW_jjP12ihipStream_tbEUlT_E0_NS1_11comp_targetILNS1_3genE10ELNS1_11target_archE1201ELNS1_3gpuE5ELNS1_3repE0EEENS1_60segmented_radix_sort_warp_sort_medium_config_static_selectorELNS0_4arch9wavefront6targetE0EEEvSK_.uses_flat_scratch, or(0, .L_ZN7rocprim17ROCPRIM_400000_NS6detail26segmented_warp_sort_helperINS1_20WarpSortHelperConfigILj16ELj8ELj256EEEalLi256ELb0EvE4sortIPKaPaPKlPlEEvT_T0_T1_T2_jjjjRNS5_12storage_typeE.uses_flat_scratch)
	.set _ZN7rocprim17ROCPRIM_400000_NS6detail17trampoline_kernelINS0_14default_configENS1_36segmented_radix_sort_config_selectorIalEEZNS1_25segmented_radix_sort_implIS3_Lb0EPKaPaPKlPlN2at6native12_GLOBAL__N_18offset_tEEE10hipError_tPvRmT1_PNSt15iterator_traitsISK_E10value_typeET2_T3_PNSL_ISQ_E10value_typeET4_jRbjT5_SW_jjP12ihipStream_tbEUlT_E0_NS1_11comp_targetILNS1_3genE10ELNS1_11target_archE1201ELNS1_3gpuE5ELNS1_3repE0EEENS1_60segmented_radix_sort_warp_sort_medium_config_static_selectorELNS0_4arch9wavefront6targetE0EEEvSK_.has_dyn_sized_stack, or(0, .L_ZN7rocprim17ROCPRIM_400000_NS6detail26segmented_warp_sort_helperINS1_20WarpSortHelperConfigILj16ELj8ELj256EEEalLi256ELb0EvE4sortIPKaPaPKlPlEEvT_T0_T1_T2_jjjjRNS5_12storage_typeE.has_dyn_sized_stack)
	.set _ZN7rocprim17ROCPRIM_400000_NS6detail17trampoline_kernelINS0_14default_configENS1_36segmented_radix_sort_config_selectorIalEEZNS1_25segmented_radix_sort_implIS3_Lb0EPKaPaPKlPlN2at6native12_GLOBAL__N_18offset_tEEE10hipError_tPvRmT1_PNSt15iterator_traitsISK_E10value_typeET2_T3_PNSL_ISQ_E10value_typeET4_jRbjT5_SW_jjP12ihipStream_tbEUlT_E0_NS1_11comp_targetILNS1_3genE10ELNS1_11target_archE1201ELNS1_3gpuE5ELNS1_3repE0EEENS1_60segmented_radix_sort_warp_sort_medium_config_static_selectorELNS0_4arch9wavefront6targetE0EEEvSK_.has_recursion, or(0, .L_ZN7rocprim17ROCPRIM_400000_NS6detail26segmented_warp_sort_helperINS1_20WarpSortHelperConfigILj16ELj8ELj256EEEalLi256ELb0EvE4sortIPKaPaPKlPlEEvT_T0_T1_T2_jjjjRNS5_12storage_typeE.has_recursion)
	.set _ZN7rocprim17ROCPRIM_400000_NS6detail17trampoline_kernelINS0_14default_configENS1_36segmented_radix_sort_config_selectorIalEEZNS1_25segmented_radix_sort_implIS3_Lb0EPKaPaPKlPlN2at6native12_GLOBAL__N_18offset_tEEE10hipError_tPvRmT1_PNSt15iterator_traitsISK_E10value_typeET2_T3_PNSL_ISQ_E10value_typeET4_jRbjT5_SW_jjP12ihipStream_tbEUlT_E0_NS1_11comp_targetILNS1_3genE10ELNS1_11target_archE1201ELNS1_3gpuE5ELNS1_3repE0EEENS1_60segmented_radix_sort_warp_sort_medium_config_static_selectorELNS0_4arch9wavefront6targetE0EEEvSK_.has_indirect_call, or(0, .L_ZN7rocprim17ROCPRIM_400000_NS6detail26segmented_warp_sort_helperINS1_20WarpSortHelperConfigILj16ELj8ELj256EEEalLi256ELb0EvE4sortIPKaPaPKlPlEEvT_T0_T1_T2_jjjjRNS5_12storage_typeE.has_indirect_call)
	.section	.AMDGPU.csdata,"",@progbits
; Kernel info:
; codeLenInByte = 504
; TotalNumSgprs: 46
; NumVgprs: 68
; ScratchSize: 0
; MemoryBound: 0
; FloatMode: 240
; IeeeMode: 1
; LDSByteSize: 18432 bytes/workgroup (compile time only)
; SGPRBlocks: 0
; VGPRBlocks: 8
; NumSGPRsForWavesPerEU: 46
; NumVGPRsForWavesPerEU: 68
; Occupancy: 14
; WaveLimiterHint : 0
; COMPUTE_PGM_RSRC2:SCRATCH_EN: 0
; COMPUTE_PGM_RSRC2:USER_SGPR: 2
; COMPUTE_PGM_RSRC2:TRAP_HANDLER: 0
; COMPUTE_PGM_RSRC2:TGID_X_EN: 1
; COMPUTE_PGM_RSRC2:TGID_Y_EN: 1
; COMPUTE_PGM_RSRC2:TGID_Z_EN: 0
; COMPUTE_PGM_RSRC2:TIDIG_COMP_CNT: 2
	.section	.text._ZN7rocprim17ROCPRIM_400000_NS6detail17trampoline_kernelINS0_14default_configENS1_36segmented_radix_sort_config_selectorIalEEZNS1_25segmented_radix_sort_implIS3_Lb0EPKaPaPKlPlN2at6native12_GLOBAL__N_18offset_tEEE10hipError_tPvRmT1_PNSt15iterator_traitsISK_E10value_typeET2_T3_PNSL_ISQ_E10value_typeET4_jRbjT5_SW_jjP12ihipStream_tbEUlT_E0_NS1_11comp_targetILNS1_3genE10ELNS1_11target_archE1200ELNS1_3gpuE4ELNS1_3repE0EEENS1_60segmented_radix_sort_warp_sort_medium_config_static_selectorELNS0_4arch9wavefront6targetE0EEEvSK_,"axG",@progbits,_ZN7rocprim17ROCPRIM_400000_NS6detail17trampoline_kernelINS0_14default_configENS1_36segmented_radix_sort_config_selectorIalEEZNS1_25segmented_radix_sort_implIS3_Lb0EPKaPaPKlPlN2at6native12_GLOBAL__N_18offset_tEEE10hipError_tPvRmT1_PNSt15iterator_traitsISK_E10value_typeET2_T3_PNSL_ISQ_E10value_typeET4_jRbjT5_SW_jjP12ihipStream_tbEUlT_E0_NS1_11comp_targetILNS1_3genE10ELNS1_11target_archE1200ELNS1_3gpuE4ELNS1_3repE0EEENS1_60segmented_radix_sort_warp_sort_medium_config_static_selectorELNS0_4arch9wavefront6targetE0EEEvSK_,comdat
	.globl	_ZN7rocprim17ROCPRIM_400000_NS6detail17trampoline_kernelINS0_14default_configENS1_36segmented_radix_sort_config_selectorIalEEZNS1_25segmented_radix_sort_implIS3_Lb0EPKaPaPKlPlN2at6native12_GLOBAL__N_18offset_tEEE10hipError_tPvRmT1_PNSt15iterator_traitsISK_E10value_typeET2_T3_PNSL_ISQ_E10value_typeET4_jRbjT5_SW_jjP12ihipStream_tbEUlT_E0_NS1_11comp_targetILNS1_3genE10ELNS1_11target_archE1200ELNS1_3gpuE4ELNS1_3repE0EEENS1_60segmented_radix_sort_warp_sort_medium_config_static_selectorELNS0_4arch9wavefront6targetE0EEEvSK_ ; -- Begin function _ZN7rocprim17ROCPRIM_400000_NS6detail17trampoline_kernelINS0_14default_configENS1_36segmented_radix_sort_config_selectorIalEEZNS1_25segmented_radix_sort_implIS3_Lb0EPKaPaPKlPlN2at6native12_GLOBAL__N_18offset_tEEE10hipError_tPvRmT1_PNSt15iterator_traitsISK_E10value_typeET2_T3_PNSL_ISQ_E10value_typeET4_jRbjT5_SW_jjP12ihipStream_tbEUlT_E0_NS1_11comp_targetILNS1_3genE10ELNS1_11target_archE1200ELNS1_3gpuE4ELNS1_3repE0EEENS1_60segmented_radix_sort_warp_sort_medium_config_static_selectorELNS0_4arch9wavefront6targetE0EEEvSK_
	.p2align	8
	.type	_ZN7rocprim17ROCPRIM_400000_NS6detail17trampoline_kernelINS0_14default_configENS1_36segmented_radix_sort_config_selectorIalEEZNS1_25segmented_radix_sort_implIS3_Lb0EPKaPaPKlPlN2at6native12_GLOBAL__N_18offset_tEEE10hipError_tPvRmT1_PNSt15iterator_traitsISK_E10value_typeET2_T3_PNSL_ISQ_E10value_typeET4_jRbjT5_SW_jjP12ihipStream_tbEUlT_E0_NS1_11comp_targetILNS1_3genE10ELNS1_11target_archE1200ELNS1_3gpuE4ELNS1_3repE0EEENS1_60segmented_radix_sort_warp_sort_medium_config_static_selectorELNS0_4arch9wavefront6targetE0EEEvSK_,@function
_ZN7rocprim17ROCPRIM_400000_NS6detail17trampoline_kernelINS0_14default_configENS1_36segmented_radix_sort_config_selectorIalEEZNS1_25segmented_radix_sort_implIS3_Lb0EPKaPaPKlPlN2at6native12_GLOBAL__N_18offset_tEEE10hipError_tPvRmT1_PNSt15iterator_traitsISK_E10value_typeET2_T3_PNSL_ISQ_E10value_typeET4_jRbjT5_SW_jjP12ihipStream_tbEUlT_E0_NS1_11comp_targetILNS1_3genE10ELNS1_11target_archE1200ELNS1_3gpuE4ELNS1_3repE0EEENS1_60segmented_radix_sort_warp_sort_medium_config_static_selectorELNS0_4arch9wavefront6targetE0EEEvSK_: ; @_ZN7rocprim17ROCPRIM_400000_NS6detail17trampoline_kernelINS0_14default_configENS1_36segmented_radix_sort_config_selectorIalEEZNS1_25segmented_radix_sort_implIS3_Lb0EPKaPaPKlPlN2at6native12_GLOBAL__N_18offset_tEEE10hipError_tPvRmT1_PNSt15iterator_traitsISK_E10value_typeET2_T3_PNSL_ISQ_E10value_typeET4_jRbjT5_SW_jjP12ihipStream_tbEUlT_E0_NS1_11comp_targetILNS1_3genE10ELNS1_11target_archE1200ELNS1_3gpuE4ELNS1_3repE0EEENS1_60segmented_radix_sort_warp_sort_medium_config_static_selectorELNS0_4arch9wavefront6targetE0EEEvSK_
; %bb.0:
	.section	.rodata,"a",@progbits
	.p2align	6, 0x0
	.amdhsa_kernel _ZN7rocprim17ROCPRIM_400000_NS6detail17trampoline_kernelINS0_14default_configENS1_36segmented_radix_sort_config_selectorIalEEZNS1_25segmented_radix_sort_implIS3_Lb0EPKaPaPKlPlN2at6native12_GLOBAL__N_18offset_tEEE10hipError_tPvRmT1_PNSt15iterator_traitsISK_E10value_typeET2_T3_PNSL_ISQ_E10value_typeET4_jRbjT5_SW_jjP12ihipStream_tbEUlT_E0_NS1_11comp_targetILNS1_3genE10ELNS1_11target_archE1200ELNS1_3gpuE4ELNS1_3repE0EEENS1_60segmented_radix_sort_warp_sort_medium_config_static_selectorELNS0_4arch9wavefront6targetE0EEEvSK_
		.amdhsa_group_segment_fixed_size 0
		.amdhsa_private_segment_fixed_size 0
		.amdhsa_kernarg_size 88
		.amdhsa_user_sgpr_count 2
		.amdhsa_user_sgpr_dispatch_ptr 0
		.amdhsa_user_sgpr_queue_ptr 0
		.amdhsa_user_sgpr_kernarg_segment_ptr 1
		.amdhsa_user_sgpr_dispatch_id 0
		.amdhsa_user_sgpr_private_segment_size 0
		.amdhsa_wavefront_size32 1
		.amdhsa_uses_dynamic_stack 0
		.amdhsa_enable_private_segment 0
		.amdhsa_system_sgpr_workgroup_id_x 1
		.amdhsa_system_sgpr_workgroup_id_y 0
		.amdhsa_system_sgpr_workgroup_id_z 0
		.amdhsa_system_sgpr_workgroup_info 0
		.amdhsa_system_vgpr_workitem_id 0
		.amdhsa_next_free_vgpr 1
		.amdhsa_next_free_sgpr 1
		.amdhsa_reserve_vcc 0
		.amdhsa_float_round_mode_32 0
		.amdhsa_float_round_mode_16_64 0
		.amdhsa_float_denorm_mode_32 3
		.amdhsa_float_denorm_mode_16_64 3
		.amdhsa_fp16_overflow 0
		.amdhsa_workgroup_processor_mode 1
		.amdhsa_memory_ordered 1
		.amdhsa_forward_progress 1
		.amdhsa_inst_pref_size 0
		.amdhsa_round_robin_scheduling 0
		.amdhsa_exception_fp_ieee_invalid_op 0
		.amdhsa_exception_fp_denorm_src 0
		.amdhsa_exception_fp_ieee_div_zero 0
		.amdhsa_exception_fp_ieee_overflow 0
		.amdhsa_exception_fp_ieee_underflow 0
		.amdhsa_exception_fp_ieee_inexact 0
		.amdhsa_exception_int_div_zero 0
	.end_amdhsa_kernel
	.section	.text._ZN7rocprim17ROCPRIM_400000_NS6detail17trampoline_kernelINS0_14default_configENS1_36segmented_radix_sort_config_selectorIalEEZNS1_25segmented_radix_sort_implIS3_Lb0EPKaPaPKlPlN2at6native12_GLOBAL__N_18offset_tEEE10hipError_tPvRmT1_PNSt15iterator_traitsISK_E10value_typeET2_T3_PNSL_ISQ_E10value_typeET4_jRbjT5_SW_jjP12ihipStream_tbEUlT_E0_NS1_11comp_targetILNS1_3genE10ELNS1_11target_archE1200ELNS1_3gpuE4ELNS1_3repE0EEENS1_60segmented_radix_sort_warp_sort_medium_config_static_selectorELNS0_4arch9wavefront6targetE0EEEvSK_,"axG",@progbits,_ZN7rocprim17ROCPRIM_400000_NS6detail17trampoline_kernelINS0_14default_configENS1_36segmented_radix_sort_config_selectorIalEEZNS1_25segmented_radix_sort_implIS3_Lb0EPKaPaPKlPlN2at6native12_GLOBAL__N_18offset_tEEE10hipError_tPvRmT1_PNSt15iterator_traitsISK_E10value_typeET2_T3_PNSL_ISQ_E10value_typeET4_jRbjT5_SW_jjP12ihipStream_tbEUlT_E0_NS1_11comp_targetILNS1_3genE10ELNS1_11target_archE1200ELNS1_3gpuE4ELNS1_3repE0EEENS1_60segmented_radix_sort_warp_sort_medium_config_static_selectorELNS0_4arch9wavefront6targetE0EEEvSK_,comdat
.Lfunc_end410:
	.size	_ZN7rocprim17ROCPRIM_400000_NS6detail17trampoline_kernelINS0_14default_configENS1_36segmented_radix_sort_config_selectorIalEEZNS1_25segmented_radix_sort_implIS3_Lb0EPKaPaPKlPlN2at6native12_GLOBAL__N_18offset_tEEE10hipError_tPvRmT1_PNSt15iterator_traitsISK_E10value_typeET2_T3_PNSL_ISQ_E10value_typeET4_jRbjT5_SW_jjP12ihipStream_tbEUlT_E0_NS1_11comp_targetILNS1_3genE10ELNS1_11target_archE1200ELNS1_3gpuE4ELNS1_3repE0EEENS1_60segmented_radix_sort_warp_sort_medium_config_static_selectorELNS0_4arch9wavefront6targetE0EEEvSK_, .Lfunc_end410-_ZN7rocprim17ROCPRIM_400000_NS6detail17trampoline_kernelINS0_14default_configENS1_36segmented_radix_sort_config_selectorIalEEZNS1_25segmented_radix_sort_implIS3_Lb0EPKaPaPKlPlN2at6native12_GLOBAL__N_18offset_tEEE10hipError_tPvRmT1_PNSt15iterator_traitsISK_E10value_typeET2_T3_PNSL_ISQ_E10value_typeET4_jRbjT5_SW_jjP12ihipStream_tbEUlT_E0_NS1_11comp_targetILNS1_3genE10ELNS1_11target_archE1200ELNS1_3gpuE4ELNS1_3repE0EEENS1_60segmented_radix_sort_warp_sort_medium_config_static_selectorELNS0_4arch9wavefront6targetE0EEEvSK_
                                        ; -- End function
	.set _ZN7rocprim17ROCPRIM_400000_NS6detail17trampoline_kernelINS0_14default_configENS1_36segmented_radix_sort_config_selectorIalEEZNS1_25segmented_radix_sort_implIS3_Lb0EPKaPaPKlPlN2at6native12_GLOBAL__N_18offset_tEEE10hipError_tPvRmT1_PNSt15iterator_traitsISK_E10value_typeET2_T3_PNSL_ISQ_E10value_typeET4_jRbjT5_SW_jjP12ihipStream_tbEUlT_E0_NS1_11comp_targetILNS1_3genE10ELNS1_11target_archE1200ELNS1_3gpuE4ELNS1_3repE0EEENS1_60segmented_radix_sort_warp_sort_medium_config_static_selectorELNS0_4arch9wavefront6targetE0EEEvSK_.num_vgpr, 0
	.set _ZN7rocprim17ROCPRIM_400000_NS6detail17trampoline_kernelINS0_14default_configENS1_36segmented_radix_sort_config_selectorIalEEZNS1_25segmented_radix_sort_implIS3_Lb0EPKaPaPKlPlN2at6native12_GLOBAL__N_18offset_tEEE10hipError_tPvRmT1_PNSt15iterator_traitsISK_E10value_typeET2_T3_PNSL_ISQ_E10value_typeET4_jRbjT5_SW_jjP12ihipStream_tbEUlT_E0_NS1_11comp_targetILNS1_3genE10ELNS1_11target_archE1200ELNS1_3gpuE4ELNS1_3repE0EEENS1_60segmented_radix_sort_warp_sort_medium_config_static_selectorELNS0_4arch9wavefront6targetE0EEEvSK_.num_agpr, 0
	.set _ZN7rocprim17ROCPRIM_400000_NS6detail17trampoline_kernelINS0_14default_configENS1_36segmented_radix_sort_config_selectorIalEEZNS1_25segmented_radix_sort_implIS3_Lb0EPKaPaPKlPlN2at6native12_GLOBAL__N_18offset_tEEE10hipError_tPvRmT1_PNSt15iterator_traitsISK_E10value_typeET2_T3_PNSL_ISQ_E10value_typeET4_jRbjT5_SW_jjP12ihipStream_tbEUlT_E0_NS1_11comp_targetILNS1_3genE10ELNS1_11target_archE1200ELNS1_3gpuE4ELNS1_3repE0EEENS1_60segmented_radix_sort_warp_sort_medium_config_static_selectorELNS0_4arch9wavefront6targetE0EEEvSK_.numbered_sgpr, 0
	.set _ZN7rocprim17ROCPRIM_400000_NS6detail17trampoline_kernelINS0_14default_configENS1_36segmented_radix_sort_config_selectorIalEEZNS1_25segmented_radix_sort_implIS3_Lb0EPKaPaPKlPlN2at6native12_GLOBAL__N_18offset_tEEE10hipError_tPvRmT1_PNSt15iterator_traitsISK_E10value_typeET2_T3_PNSL_ISQ_E10value_typeET4_jRbjT5_SW_jjP12ihipStream_tbEUlT_E0_NS1_11comp_targetILNS1_3genE10ELNS1_11target_archE1200ELNS1_3gpuE4ELNS1_3repE0EEENS1_60segmented_radix_sort_warp_sort_medium_config_static_selectorELNS0_4arch9wavefront6targetE0EEEvSK_.num_named_barrier, 0
	.set _ZN7rocprim17ROCPRIM_400000_NS6detail17trampoline_kernelINS0_14default_configENS1_36segmented_radix_sort_config_selectorIalEEZNS1_25segmented_radix_sort_implIS3_Lb0EPKaPaPKlPlN2at6native12_GLOBAL__N_18offset_tEEE10hipError_tPvRmT1_PNSt15iterator_traitsISK_E10value_typeET2_T3_PNSL_ISQ_E10value_typeET4_jRbjT5_SW_jjP12ihipStream_tbEUlT_E0_NS1_11comp_targetILNS1_3genE10ELNS1_11target_archE1200ELNS1_3gpuE4ELNS1_3repE0EEENS1_60segmented_radix_sort_warp_sort_medium_config_static_selectorELNS0_4arch9wavefront6targetE0EEEvSK_.private_seg_size, 0
	.set _ZN7rocprim17ROCPRIM_400000_NS6detail17trampoline_kernelINS0_14default_configENS1_36segmented_radix_sort_config_selectorIalEEZNS1_25segmented_radix_sort_implIS3_Lb0EPKaPaPKlPlN2at6native12_GLOBAL__N_18offset_tEEE10hipError_tPvRmT1_PNSt15iterator_traitsISK_E10value_typeET2_T3_PNSL_ISQ_E10value_typeET4_jRbjT5_SW_jjP12ihipStream_tbEUlT_E0_NS1_11comp_targetILNS1_3genE10ELNS1_11target_archE1200ELNS1_3gpuE4ELNS1_3repE0EEENS1_60segmented_radix_sort_warp_sort_medium_config_static_selectorELNS0_4arch9wavefront6targetE0EEEvSK_.uses_vcc, 0
	.set _ZN7rocprim17ROCPRIM_400000_NS6detail17trampoline_kernelINS0_14default_configENS1_36segmented_radix_sort_config_selectorIalEEZNS1_25segmented_radix_sort_implIS3_Lb0EPKaPaPKlPlN2at6native12_GLOBAL__N_18offset_tEEE10hipError_tPvRmT1_PNSt15iterator_traitsISK_E10value_typeET2_T3_PNSL_ISQ_E10value_typeET4_jRbjT5_SW_jjP12ihipStream_tbEUlT_E0_NS1_11comp_targetILNS1_3genE10ELNS1_11target_archE1200ELNS1_3gpuE4ELNS1_3repE0EEENS1_60segmented_radix_sort_warp_sort_medium_config_static_selectorELNS0_4arch9wavefront6targetE0EEEvSK_.uses_flat_scratch, 0
	.set _ZN7rocprim17ROCPRIM_400000_NS6detail17trampoline_kernelINS0_14default_configENS1_36segmented_radix_sort_config_selectorIalEEZNS1_25segmented_radix_sort_implIS3_Lb0EPKaPaPKlPlN2at6native12_GLOBAL__N_18offset_tEEE10hipError_tPvRmT1_PNSt15iterator_traitsISK_E10value_typeET2_T3_PNSL_ISQ_E10value_typeET4_jRbjT5_SW_jjP12ihipStream_tbEUlT_E0_NS1_11comp_targetILNS1_3genE10ELNS1_11target_archE1200ELNS1_3gpuE4ELNS1_3repE0EEENS1_60segmented_radix_sort_warp_sort_medium_config_static_selectorELNS0_4arch9wavefront6targetE0EEEvSK_.has_dyn_sized_stack, 0
	.set _ZN7rocprim17ROCPRIM_400000_NS6detail17trampoline_kernelINS0_14default_configENS1_36segmented_radix_sort_config_selectorIalEEZNS1_25segmented_radix_sort_implIS3_Lb0EPKaPaPKlPlN2at6native12_GLOBAL__N_18offset_tEEE10hipError_tPvRmT1_PNSt15iterator_traitsISK_E10value_typeET2_T3_PNSL_ISQ_E10value_typeET4_jRbjT5_SW_jjP12ihipStream_tbEUlT_E0_NS1_11comp_targetILNS1_3genE10ELNS1_11target_archE1200ELNS1_3gpuE4ELNS1_3repE0EEENS1_60segmented_radix_sort_warp_sort_medium_config_static_selectorELNS0_4arch9wavefront6targetE0EEEvSK_.has_recursion, 0
	.set _ZN7rocprim17ROCPRIM_400000_NS6detail17trampoline_kernelINS0_14default_configENS1_36segmented_radix_sort_config_selectorIalEEZNS1_25segmented_radix_sort_implIS3_Lb0EPKaPaPKlPlN2at6native12_GLOBAL__N_18offset_tEEE10hipError_tPvRmT1_PNSt15iterator_traitsISK_E10value_typeET2_T3_PNSL_ISQ_E10value_typeET4_jRbjT5_SW_jjP12ihipStream_tbEUlT_E0_NS1_11comp_targetILNS1_3genE10ELNS1_11target_archE1200ELNS1_3gpuE4ELNS1_3repE0EEENS1_60segmented_radix_sort_warp_sort_medium_config_static_selectorELNS0_4arch9wavefront6targetE0EEEvSK_.has_indirect_call, 0
	.section	.AMDGPU.csdata,"",@progbits
; Kernel info:
; codeLenInByte = 0
; TotalNumSgprs: 0
; NumVgprs: 0
; ScratchSize: 0
; MemoryBound: 0
; FloatMode: 240
; IeeeMode: 1
; LDSByteSize: 0 bytes/workgroup (compile time only)
; SGPRBlocks: 0
; VGPRBlocks: 0
; NumSGPRsForWavesPerEU: 1
; NumVGPRsForWavesPerEU: 1
; Occupancy: 16
; WaveLimiterHint : 0
; COMPUTE_PGM_RSRC2:SCRATCH_EN: 0
; COMPUTE_PGM_RSRC2:USER_SGPR: 2
; COMPUTE_PGM_RSRC2:TRAP_HANDLER: 0
; COMPUTE_PGM_RSRC2:TGID_X_EN: 1
; COMPUTE_PGM_RSRC2:TGID_Y_EN: 0
; COMPUTE_PGM_RSRC2:TGID_Z_EN: 0
; COMPUTE_PGM_RSRC2:TIDIG_COMP_CNT: 0
	.section	.text._ZN7rocprim17ROCPRIM_400000_NS6detail17trampoline_kernelINS0_14default_configENS1_36segmented_radix_sort_config_selectorIalEEZNS1_25segmented_radix_sort_implIS3_Lb0EPKaPaPKlPlN2at6native12_GLOBAL__N_18offset_tEEE10hipError_tPvRmT1_PNSt15iterator_traitsISK_E10value_typeET2_T3_PNSL_ISQ_E10value_typeET4_jRbjT5_SW_jjP12ihipStream_tbEUlT_E0_NS1_11comp_targetILNS1_3genE9ELNS1_11target_archE1100ELNS1_3gpuE3ELNS1_3repE0EEENS1_60segmented_radix_sort_warp_sort_medium_config_static_selectorELNS0_4arch9wavefront6targetE0EEEvSK_,"axG",@progbits,_ZN7rocprim17ROCPRIM_400000_NS6detail17trampoline_kernelINS0_14default_configENS1_36segmented_radix_sort_config_selectorIalEEZNS1_25segmented_radix_sort_implIS3_Lb0EPKaPaPKlPlN2at6native12_GLOBAL__N_18offset_tEEE10hipError_tPvRmT1_PNSt15iterator_traitsISK_E10value_typeET2_T3_PNSL_ISQ_E10value_typeET4_jRbjT5_SW_jjP12ihipStream_tbEUlT_E0_NS1_11comp_targetILNS1_3genE9ELNS1_11target_archE1100ELNS1_3gpuE3ELNS1_3repE0EEENS1_60segmented_radix_sort_warp_sort_medium_config_static_selectorELNS0_4arch9wavefront6targetE0EEEvSK_,comdat
	.globl	_ZN7rocprim17ROCPRIM_400000_NS6detail17trampoline_kernelINS0_14default_configENS1_36segmented_radix_sort_config_selectorIalEEZNS1_25segmented_radix_sort_implIS3_Lb0EPKaPaPKlPlN2at6native12_GLOBAL__N_18offset_tEEE10hipError_tPvRmT1_PNSt15iterator_traitsISK_E10value_typeET2_T3_PNSL_ISQ_E10value_typeET4_jRbjT5_SW_jjP12ihipStream_tbEUlT_E0_NS1_11comp_targetILNS1_3genE9ELNS1_11target_archE1100ELNS1_3gpuE3ELNS1_3repE0EEENS1_60segmented_radix_sort_warp_sort_medium_config_static_selectorELNS0_4arch9wavefront6targetE0EEEvSK_ ; -- Begin function _ZN7rocprim17ROCPRIM_400000_NS6detail17trampoline_kernelINS0_14default_configENS1_36segmented_radix_sort_config_selectorIalEEZNS1_25segmented_radix_sort_implIS3_Lb0EPKaPaPKlPlN2at6native12_GLOBAL__N_18offset_tEEE10hipError_tPvRmT1_PNSt15iterator_traitsISK_E10value_typeET2_T3_PNSL_ISQ_E10value_typeET4_jRbjT5_SW_jjP12ihipStream_tbEUlT_E0_NS1_11comp_targetILNS1_3genE9ELNS1_11target_archE1100ELNS1_3gpuE3ELNS1_3repE0EEENS1_60segmented_radix_sort_warp_sort_medium_config_static_selectorELNS0_4arch9wavefront6targetE0EEEvSK_
	.p2align	8
	.type	_ZN7rocprim17ROCPRIM_400000_NS6detail17trampoline_kernelINS0_14default_configENS1_36segmented_radix_sort_config_selectorIalEEZNS1_25segmented_radix_sort_implIS3_Lb0EPKaPaPKlPlN2at6native12_GLOBAL__N_18offset_tEEE10hipError_tPvRmT1_PNSt15iterator_traitsISK_E10value_typeET2_T3_PNSL_ISQ_E10value_typeET4_jRbjT5_SW_jjP12ihipStream_tbEUlT_E0_NS1_11comp_targetILNS1_3genE9ELNS1_11target_archE1100ELNS1_3gpuE3ELNS1_3repE0EEENS1_60segmented_radix_sort_warp_sort_medium_config_static_selectorELNS0_4arch9wavefront6targetE0EEEvSK_,@function
_ZN7rocprim17ROCPRIM_400000_NS6detail17trampoline_kernelINS0_14default_configENS1_36segmented_radix_sort_config_selectorIalEEZNS1_25segmented_radix_sort_implIS3_Lb0EPKaPaPKlPlN2at6native12_GLOBAL__N_18offset_tEEE10hipError_tPvRmT1_PNSt15iterator_traitsISK_E10value_typeET2_T3_PNSL_ISQ_E10value_typeET4_jRbjT5_SW_jjP12ihipStream_tbEUlT_E0_NS1_11comp_targetILNS1_3genE9ELNS1_11target_archE1100ELNS1_3gpuE3ELNS1_3repE0EEENS1_60segmented_radix_sort_warp_sort_medium_config_static_selectorELNS0_4arch9wavefront6targetE0EEEvSK_: ; @_ZN7rocprim17ROCPRIM_400000_NS6detail17trampoline_kernelINS0_14default_configENS1_36segmented_radix_sort_config_selectorIalEEZNS1_25segmented_radix_sort_implIS3_Lb0EPKaPaPKlPlN2at6native12_GLOBAL__N_18offset_tEEE10hipError_tPvRmT1_PNSt15iterator_traitsISK_E10value_typeET2_T3_PNSL_ISQ_E10value_typeET4_jRbjT5_SW_jjP12ihipStream_tbEUlT_E0_NS1_11comp_targetILNS1_3genE9ELNS1_11target_archE1100ELNS1_3gpuE3ELNS1_3repE0EEENS1_60segmented_radix_sort_warp_sort_medium_config_static_selectorELNS0_4arch9wavefront6targetE0EEEvSK_
; %bb.0:
	.section	.rodata,"a",@progbits
	.p2align	6, 0x0
	.amdhsa_kernel _ZN7rocprim17ROCPRIM_400000_NS6detail17trampoline_kernelINS0_14default_configENS1_36segmented_radix_sort_config_selectorIalEEZNS1_25segmented_radix_sort_implIS3_Lb0EPKaPaPKlPlN2at6native12_GLOBAL__N_18offset_tEEE10hipError_tPvRmT1_PNSt15iterator_traitsISK_E10value_typeET2_T3_PNSL_ISQ_E10value_typeET4_jRbjT5_SW_jjP12ihipStream_tbEUlT_E0_NS1_11comp_targetILNS1_3genE9ELNS1_11target_archE1100ELNS1_3gpuE3ELNS1_3repE0EEENS1_60segmented_radix_sort_warp_sort_medium_config_static_selectorELNS0_4arch9wavefront6targetE0EEEvSK_
		.amdhsa_group_segment_fixed_size 0
		.amdhsa_private_segment_fixed_size 0
		.amdhsa_kernarg_size 88
		.amdhsa_user_sgpr_count 2
		.amdhsa_user_sgpr_dispatch_ptr 0
		.amdhsa_user_sgpr_queue_ptr 0
		.amdhsa_user_sgpr_kernarg_segment_ptr 1
		.amdhsa_user_sgpr_dispatch_id 0
		.amdhsa_user_sgpr_private_segment_size 0
		.amdhsa_wavefront_size32 1
		.amdhsa_uses_dynamic_stack 0
		.amdhsa_enable_private_segment 0
		.amdhsa_system_sgpr_workgroup_id_x 1
		.amdhsa_system_sgpr_workgroup_id_y 0
		.amdhsa_system_sgpr_workgroup_id_z 0
		.amdhsa_system_sgpr_workgroup_info 0
		.amdhsa_system_vgpr_workitem_id 0
		.amdhsa_next_free_vgpr 1
		.amdhsa_next_free_sgpr 1
		.amdhsa_reserve_vcc 0
		.amdhsa_float_round_mode_32 0
		.amdhsa_float_round_mode_16_64 0
		.amdhsa_float_denorm_mode_32 3
		.amdhsa_float_denorm_mode_16_64 3
		.amdhsa_fp16_overflow 0
		.amdhsa_workgroup_processor_mode 1
		.amdhsa_memory_ordered 1
		.amdhsa_forward_progress 1
		.amdhsa_inst_pref_size 0
		.amdhsa_round_robin_scheduling 0
		.amdhsa_exception_fp_ieee_invalid_op 0
		.amdhsa_exception_fp_denorm_src 0
		.amdhsa_exception_fp_ieee_div_zero 0
		.amdhsa_exception_fp_ieee_overflow 0
		.amdhsa_exception_fp_ieee_underflow 0
		.amdhsa_exception_fp_ieee_inexact 0
		.amdhsa_exception_int_div_zero 0
	.end_amdhsa_kernel
	.section	.text._ZN7rocprim17ROCPRIM_400000_NS6detail17trampoline_kernelINS0_14default_configENS1_36segmented_radix_sort_config_selectorIalEEZNS1_25segmented_radix_sort_implIS3_Lb0EPKaPaPKlPlN2at6native12_GLOBAL__N_18offset_tEEE10hipError_tPvRmT1_PNSt15iterator_traitsISK_E10value_typeET2_T3_PNSL_ISQ_E10value_typeET4_jRbjT5_SW_jjP12ihipStream_tbEUlT_E0_NS1_11comp_targetILNS1_3genE9ELNS1_11target_archE1100ELNS1_3gpuE3ELNS1_3repE0EEENS1_60segmented_radix_sort_warp_sort_medium_config_static_selectorELNS0_4arch9wavefront6targetE0EEEvSK_,"axG",@progbits,_ZN7rocprim17ROCPRIM_400000_NS6detail17trampoline_kernelINS0_14default_configENS1_36segmented_radix_sort_config_selectorIalEEZNS1_25segmented_radix_sort_implIS3_Lb0EPKaPaPKlPlN2at6native12_GLOBAL__N_18offset_tEEE10hipError_tPvRmT1_PNSt15iterator_traitsISK_E10value_typeET2_T3_PNSL_ISQ_E10value_typeET4_jRbjT5_SW_jjP12ihipStream_tbEUlT_E0_NS1_11comp_targetILNS1_3genE9ELNS1_11target_archE1100ELNS1_3gpuE3ELNS1_3repE0EEENS1_60segmented_radix_sort_warp_sort_medium_config_static_selectorELNS0_4arch9wavefront6targetE0EEEvSK_,comdat
.Lfunc_end411:
	.size	_ZN7rocprim17ROCPRIM_400000_NS6detail17trampoline_kernelINS0_14default_configENS1_36segmented_radix_sort_config_selectorIalEEZNS1_25segmented_radix_sort_implIS3_Lb0EPKaPaPKlPlN2at6native12_GLOBAL__N_18offset_tEEE10hipError_tPvRmT1_PNSt15iterator_traitsISK_E10value_typeET2_T3_PNSL_ISQ_E10value_typeET4_jRbjT5_SW_jjP12ihipStream_tbEUlT_E0_NS1_11comp_targetILNS1_3genE9ELNS1_11target_archE1100ELNS1_3gpuE3ELNS1_3repE0EEENS1_60segmented_radix_sort_warp_sort_medium_config_static_selectorELNS0_4arch9wavefront6targetE0EEEvSK_, .Lfunc_end411-_ZN7rocprim17ROCPRIM_400000_NS6detail17trampoline_kernelINS0_14default_configENS1_36segmented_radix_sort_config_selectorIalEEZNS1_25segmented_radix_sort_implIS3_Lb0EPKaPaPKlPlN2at6native12_GLOBAL__N_18offset_tEEE10hipError_tPvRmT1_PNSt15iterator_traitsISK_E10value_typeET2_T3_PNSL_ISQ_E10value_typeET4_jRbjT5_SW_jjP12ihipStream_tbEUlT_E0_NS1_11comp_targetILNS1_3genE9ELNS1_11target_archE1100ELNS1_3gpuE3ELNS1_3repE0EEENS1_60segmented_radix_sort_warp_sort_medium_config_static_selectorELNS0_4arch9wavefront6targetE0EEEvSK_
                                        ; -- End function
	.set _ZN7rocprim17ROCPRIM_400000_NS6detail17trampoline_kernelINS0_14default_configENS1_36segmented_radix_sort_config_selectorIalEEZNS1_25segmented_radix_sort_implIS3_Lb0EPKaPaPKlPlN2at6native12_GLOBAL__N_18offset_tEEE10hipError_tPvRmT1_PNSt15iterator_traitsISK_E10value_typeET2_T3_PNSL_ISQ_E10value_typeET4_jRbjT5_SW_jjP12ihipStream_tbEUlT_E0_NS1_11comp_targetILNS1_3genE9ELNS1_11target_archE1100ELNS1_3gpuE3ELNS1_3repE0EEENS1_60segmented_radix_sort_warp_sort_medium_config_static_selectorELNS0_4arch9wavefront6targetE0EEEvSK_.num_vgpr, 0
	.set _ZN7rocprim17ROCPRIM_400000_NS6detail17trampoline_kernelINS0_14default_configENS1_36segmented_radix_sort_config_selectorIalEEZNS1_25segmented_radix_sort_implIS3_Lb0EPKaPaPKlPlN2at6native12_GLOBAL__N_18offset_tEEE10hipError_tPvRmT1_PNSt15iterator_traitsISK_E10value_typeET2_T3_PNSL_ISQ_E10value_typeET4_jRbjT5_SW_jjP12ihipStream_tbEUlT_E0_NS1_11comp_targetILNS1_3genE9ELNS1_11target_archE1100ELNS1_3gpuE3ELNS1_3repE0EEENS1_60segmented_radix_sort_warp_sort_medium_config_static_selectorELNS0_4arch9wavefront6targetE0EEEvSK_.num_agpr, 0
	.set _ZN7rocprim17ROCPRIM_400000_NS6detail17trampoline_kernelINS0_14default_configENS1_36segmented_radix_sort_config_selectorIalEEZNS1_25segmented_radix_sort_implIS3_Lb0EPKaPaPKlPlN2at6native12_GLOBAL__N_18offset_tEEE10hipError_tPvRmT1_PNSt15iterator_traitsISK_E10value_typeET2_T3_PNSL_ISQ_E10value_typeET4_jRbjT5_SW_jjP12ihipStream_tbEUlT_E0_NS1_11comp_targetILNS1_3genE9ELNS1_11target_archE1100ELNS1_3gpuE3ELNS1_3repE0EEENS1_60segmented_radix_sort_warp_sort_medium_config_static_selectorELNS0_4arch9wavefront6targetE0EEEvSK_.numbered_sgpr, 0
	.set _ZN7rocprim17ROCPRIM_400000_NS6detail17trampoline_kernelINS0_14default_configENS1_36segmented_radix_sort_config_selectorIalEEZNS1_25segmented_radix_sort_implIS3_Lb0EPKaPaPKlPlN2at6native12_GLOBAL__N_18offset_tEEE10hipError_tPvRmT1_PNSt15iterator_traitsISK_E10value_typeET2_T3_PNSL_ISQ_E10value_typeET4_jRbjT5_SW_jjP12ihipStream_tbEUlT_E0_NS1_11comp_targetILNS1_3genE9ELNS1_11target_archE1100ELNS1_3gpuE3ELNS1_3repE0EEENS1_60segmented_radix_sort_warp_sort_medium_config_static_selectorELNS0_4arch9wavefront6targetE0EEEvSK_.num_named_barrier, 0
	.set _ZN7rocprim17ROCPRIM_400000_NS6detail17trampoline_kernelINS0_14default_configENS1_36segmented_radix_sort_config_selectorIalEEZNS1_25segmented_radix_sort_implIS3_Lb0EPKaPaPKlPlN2at6native12_GLOBAL__N_18offset_tEEE10hipError_tPvRmT1_PNSt15iterator_traitsISK_E10value_typeET2_T3_PNSL_ISQ_E10value_typeET4_jRbjT5_SW_jjP12ihipStream_tbEUlT_E0_NS1_11comp_targetILNS1_3genE9ELNS1_11target_archE1100ELNS1_3gpuE3ELNS1_3repE0EEENS1_60segmented_radix_sort_warp_sort_medium_config_static_selectorELNS0_4arch9wavefront6targetE0EEEvSK_.private_seg_size, 0
	.set _ZN7rocprim17ROCPRIM_400000_NS6detail17trampoline_kernelINS0_14default_configENS1_36segmented_radix_sort_config_selectorIalEEZNS1_25segmented_radix_sort_implIS3_Lb0EPKaPaPKlPlN2at6native12_GLOBAL__N_18offset_tEEE10hipError_tPvRmT1_PNSt15iterator_traitsISK_E10value_typeET2_T3_PNSL_ISQ_E10value_typeET4_jRbjT5_SW_jjP12ihipStream_tbEUlT_E0_NS1_11comp_targetILNS1_3genE9ELNS1_11target_archE1100ELNS1_3gpuE3ELNS1_3repE0EEENS1_60segmented_radix_sort_warp_sort_medium_config_static_selectorELNS0_4arch9wavefront6targetE0EEEvSK_.uses_vcc, 0
	.set _ZN7rocprim17ROCPRIM_400000_NS6detail17trampoline_kernelINS0_14default_configENS1_36segmented_radix_sort_config_selectorIalEEZNS1_25segmented_radix_sort_implIS3_Lb0EPKaPaPKlPlN2at6native12_GLOBAL__N_18offset_tEEE10hipError_tPvRmT1_PNSt15iterator_traitsISK_E10value_typeET2_T3_PNSL_ISQ_E10value_typeET4_jRbjT5_SW_jjP12ihipStream_tbEUlT_E0_NS1_11comp_targetILNS1_3genE9ELNS1_11target_archE1100ELNS1_3gpuE3ELNS1_3repE0EEENS1_60segmented_radix_sort_warp_sort_medium_config_static_selectorELNS0_4arch9wavefront6targetE0EEEvSK_.uses_flat_scratch, 0
	.set _ZN7rocprim17ROCPRIM_400000_NS6detail17trampoline_kernelINS0_14default_configENS1_36segmented_radix_sort_config_selectorIalEEZNS1_25segmented_radix_sort_implIS3_Lb0EPKaPaPKlPlN2at6native12_GLOBAL__N_18offset_tEEE10hipError_tPvRmT1_PNSt15iterator_traitsISK_E10value_typeET2_T3_PNSL_ISQ_E10value_typeET4_jRbjT5_SW_jjP12ihipStream_tbEUlT_E0_NS1_11comp_targetILNS1_3genE9ELNS1_11target_archE1100ELNS1_3gpuE3ELNS1_3repE0EEENS1_60segmented_radix_sort_warp_sort_medium_config_static_selectorELNS0_4arch9wavefront6targetE0EEEvSK_.has_dyn_sized_stack, 0
	.set _ZN7rocprim17ROCPRIM_400000_NS6detail17trampoline_kernelINS0_14default_configENS1_36segmented_radix_sort_config_selectorIalEEZNS1_25segmented_radix_sort_implIS3_Lb0EPKaPaPKlPlN2at6native12_GLOBAL__N_18offset_tEEE10hipError_tPvRmT1_PNSt15iterator_traitsISK_E10value_typeET2_T3_PNSL_ISQ_E10value_typeET4_jRbjT5_SW_jjP12ihipStream_tbEUlT_E0_NS1_11comp_targetILNS1_3genE9ELNS1_11target_archE1100ELNS1_3gpuE3ELNS1_3repE0EEENS1_60segmented_radix_sort_warp_sort_medium_config_static_selectorELNS0_4arch9wavefront6targetE0EEEvSK_.has_recursion, 0
	.set _ZN7rocprim17ROCPRIM_400000_NS6detail17trampoline_kernelINS0_14default_configENS1_36segmented_radix_sort_config_selectorIalEEZNS1_25segmented_radix_sort_implIS3_Lb0EPKaPaPKlPlN2at6native12_GLOBAL__N_18offset_tEEE10hipError_tPvRmT1_PNSt15iterator_traitsISK_E10value_typeET2_T3_PNSL_ISQ_E10value_typeET4_jRbjT5_SW_jjP12ihipStream_tbEUlT_E0_NS1_11comp_targetILNS1_3genE9ELNS1_11target_archE1100ELNS1_3gpuE3ELNS1_3repE0EEENS1_60segmented_radix_sort_warp_sort_medium_config_static_selectorELNS0_4arch9wavefront6targetE0EEEvSK_.has_indirect_call, 0
	.section	.AMDGPU.csdata,"",@progbits
; Kernel info:
; codeLenInByte = 0
; TotalNumSgprs: 0
; NumVgprs: 0
; ScratchSize: 0
; MemoryBound: 0
; FloatMode: 240
; IeeeMode: 1
; LDSByteSize: 0 bytes/workgroup (compile time only)
; SGPRBlocks: 0
; VGPRBlocks: 0
; NumSGPRsForWavesPerEU: 1
; NumVGPRsForWavesPerEU: 1
; Occupancy: 16
; WaveLimiterHint : 0
; COMPUTE_PGM_RSRC2:SCRATCH_EN: 0
; COMPUTE_PGM_RSRC2:USER_SGPR: 2
; COMPUTE_PGM_RSRC2:TRAP_HANDLER: 0
; COMPUTE_PGM_RSRC2:TGID_X_EN: 1
; COMPUTE_PGM_RSRC2:TGID_Y_EN: 0
; COMPUTE_PGM_RSRC2:TGID_Z_EN: 0
; COMPUTE_PGM_RSRC2:TIDIG_COMP_CNT: 0
	.section	.text._ZN7rocprim17ROCPRIM_400000_NS6detail17trampoline_kernelINS0_14default_configENS1_36segmented_radix_sort_config_selectorIalEEZNS1_25segmented_radix_sort_implIS3_Lb0EPKaPaPKlPlN2at6native12_GLOBAL__N_18offset_tEEE10hipError_tPvRmT1_PNSt15iterator_traitsISK_E10value_typeET2_T3_PNSL_ISQ_E10value_typeET4_jRbjT5_SW_jjP12ihipStream_tbEUlT_E0_NS1_11comp_targetILNS1_3genE8ELNS1_11target_archE1030ELNS1_3gpuE2ELNS1_3repE0EEENS1_60segmented_radix_sort_warp_sort_medium_config_static_selectorELNS0_4arch9wavefront6targetE0EEEvSK_,"axG",@progbits,_ZN7rocprim17ROCPRIM_400000_NS6detail17trampoline_kernelINS0_14default_configENS1_36segmented_radix_sort_config_selectorIalEEZNS1_25segmented_radix_sort_implIS3_Lb0EPKaPaPKlPlN2at6native12_GLOBAL__N_18offset_tEEE10hipError_tPvRmT1_PNSt15iterator_traitsISK_E10value_typeET2_T3_PNSL_ISQ_E10value_typeET4_jRbjT5_SW_jjP12ihipStream_tbEUlT_E0_NS1_11comp_targetILNS1_3genE8ELNS1_11target_archE1030ELNS1_3gpuE2ELNS1_3repE0EEENS1_60segmented_radix_sort_warp_sort_medium_config_static_selectorELNS0_4arch9wavefront6targetE0EEEvSK_,comdat
	.globl	_ZN7rocprim17ROCPRIM_400000_NS6detail17trampoline_kernelINS0_14default_configENS1_36segmented_radix_sort_config_selectorIalEEZNS1_25segmented_radix_sort_implIS3_Lb0EPKaPaPKlPlN2at6native12_GLOBAL__N_18offset_tEEE10hipError_tPvRmT1_PNSt15iterator_traitsISK_E10value_typeET2_T3_PNSL_ISQ_E10value_typeET4_jRbjT5_SW_jjP12ihipStream_tbEUlT_E0_NS1_11comp_targetILNS1_3genE8ELNS1_11target_archE1030ELNS1_3gpuE2ELNS1_3repE0EEENS1_60segmented_radix_sort_warp_sort_medium_config_static_selectorELNS0_4arch9wavefront6targetE0EEEvSK_ ; -- Begin function _ZN7rocprim17ROCPRIM_400000_NS6detail17trampoline_kernelINS0_14default_configENS1_36segmented_radix_sort_config_selectorIalEEZNS1_25segmented_radix_sort_implIS3_Lb0EPKaPaPKlPlN2at6native12_GLOBAL__N_18offset_tEEE10hipError_tPvRmT1_PNSt15iterator_traitsISK_E10value_typeET2_T3_PNSL_ISQ_E10value_typeET4_jRbjT5_SW_jjP12ihipStream_tbEUlT_E0_NS1_11comp_targetILNS1_3genE8ELNS1_11target_archE1030ELNS1_3gpuE2ELNS1_3repE0EEENS1_60segmented_radix_sort_warp_sort_medium_config_static_selectorELNS0_4arch9wavefront6targetE0EEEvSK_
	.p2align	8
	.type	_ZN7rocprim17ROCPRIM_400000_NS6detail17trampoline_kernelINS0_14default_configENS1_36segmented_radix_sort_config_selectorIalEEZNS1_25segmented_radix_sort_implIS3_Lb0EPKaPaPKlPlN2at6native12_GLOBAL__N_18offset_tEEE10hipError_tPvRmT1_PNSt15iterator_traitsISK_E10value_typeET2_T3_PNSL_ISQ_E10value_typeET4_jRbjT5_SW_jjP12ihipStream_tbEUlT_E0_NS1_11comp_targetILNS1_3genE8ELNS1_11target_archE1030ELNS1_3gpuE2ELNS1_3repE0EEENS1_60segmented_radix_sort_warp_sort_medium_config_static_selectorELNS0_4arch9wavefront6targetE0EEEvSK_,@function
_ZN7rocprim17ROCPRIM_400000_NS6detail17trampoline_kernelINS0_14default_configENS1_36segmented_radix_sort_config_selectorIalEEZNS1_25segmented_radix_sort_implIS3_Lb0EPKaPaPKlPlN2at6native12_GLOBAL__N_18offset_tEEE10hipError_tPvRmT1_PNSt15iterator_traitsISK_E10value_typeET2_T3_PNSL_ISQ_E10value_typeET4_jRbjT5_SW_jjP12ihipStream_tbEUlT_E0_NS1_11comp_targetILNS1_3genE8ELNS1_11target_archE1030ELNS1_3gpuE2ELNS1_3repE0EEENS1_60segmented_radix_sort_warp_sort_medium_config_static_selectorELNS0_4arch9wavefront6targetE0EEEvSK_: ; @_ZN7rocprim17ROCPRIM_400000_NS6detail17trampoline_kernelINS0_14default_configENS1_36segmented_radix_sort_config_selectorIalEEZNS1_25segmented_radix_sort_implIS3_Lb0EPKaPaPKlPlN2at6native12_GLOBAL__N_18offset_tEEE10hipError_tPvRmT1_PNSt15iterator_traitsISK_E10value_typeET2_T3_PNSL_ISQ_E10value_typeET4_jRbjT5_SW_jjP12ihipStream_tbEUlT_E0_NS1_11comp_targetILNS1_3genE8ELNS1_11target_archE1030ELNS1_3gpuE2ELNS1_3repE0EEENS1_60segmented_radix_sort_warp_sort_medium_config_static_selectorELNS0_4arch9wavefront6targetE0EEEvSK_
; %bb.0:
	.section	.rodata,"a",@progbits
	.p2align	6, 0x0
	.amdhsa_kernel _ZN7rocprim17ROCPRIM_400000_NS6detail17trampoline_kernelINS0_14default_configENS1_36segmented_radix_sort_config_selectorIalEEZNS1_25segmented_radix_sort_implIS3_Lb0EPKaPaPKlPlN2at6native12_GLOBAL__N_18offset_tEEE10hipError_tPvRmT1_PNSt15iterator_traitsISK_E10value_typeET2_T3_PNSL_ISQ_E10value_typeET4_jRbjT5_SW_jjP12ihipStream_tbEUlT_E0_NS1_11comp_targetILNS1_3genE8ELNS1_11target_archE1030ELNS1_3gpuE2ELNS1_3repE0EEENS1_60segmented_radix_sort_warp_sort_medium_config_static_selectorELNS0_4arch9wavefront6targetE0EEEvSK_
		.amdhsa_group_segment_fixed_size 0
		.amdhsa_private_segment_fixed_size 0
		.amdhsa_kernarg_size 88
		.amdhsa_user_sgpr_count 2
		.amdhsa_user_sgpr_dispatch_ptr 0
		.amdhsa_user_sgpr_queue_ptr 0
		.amdhsa_user_sgpr_kernarg_segment_ptr 1
		.amdhsa_user_sgpr_dispatch_id 0
		.amdhsa_user_sgpr_private_segment_size 0
		.amdhsa_wavefront_size32 1
		.amdhsa_uses_dynamic_stack 0
		.amdhsa_enable_private_segment 0
		.amdhsa_system_sgpr_workgroup_id_x 1
		.amdhsa_system_sgpr_workgroup_id_y 0
		.amdhsa_system_sgpr_workgroup_id_z 0
		.amdhsa_system_sgpr_workgroup_info 0
		.amdhsa_system_vgpr_workitem_id 0
		.amdhsa_next_free_vgpr 1
		.amdhsa_next_free_sgpr 1
		.amdhsa_reserve_vcc 0
		.amdhsa_float_round_mode_32 0
		.amdhsa_float_round_mode_16_64 0
		.amdhsa_float_denorm_mode_32 3
		.amdhsa_float_denorm_mode_16_64 3
		.amdhsa_fp16_overflow 0
		.amdhsa_workgroup_processor_mode 1
		.amdhsa_memory_ordered 1
		.amdhsa_forward_progress 1
		.amdhsa_inst_pref_size 0
		.amdhsa_round_robin_scheduling 0
		.amdhsa_exception_fp_ieee_invalid_op 0
		.amdhsa_exception_fp_denorm_src 0
		.amdhsa_exception_fp_ieee_div_zero 0
		.amdhsa_exception_fp_ieee_overflow 0
		.amdhsa_exception_fp_ieee_underflow 0
		.amdhsa_exception_fp_ieee_inexact 0
		.amdhsa_exception_int_div_zero 0
	.end_amdhsa_kernel
	.section	.text._ZN7rocprim17ROCPRIM_400000_NS6detail17trampoline_kernelINS0_14default_configENS1_36segmented_radix_sort_config_selectorIalEEZNS1_25segmented_radix_sort_implIS3_Lb0EPKaPaPKlPlN2at6native12_GLOBAL__N_18offset_tEEE10hipError_tPvRmT1_PNSt15iterator_traitsISK_E10value_typeET2_T3_PNSL_ISQ_E10value_typeET4_jRbjT5_SW_jjP12ihipStream_tbEUlT_E0_NS1_11comp_targetILNS1_3genE8ELNS1_11target_archE1030ELNS1_3gpuE2ELNS1_3repE0EEENS1_60segmented_radix_sort_warp_sort_medium_config_static_selectorELNS0_4arch9wavefront6targetE0EEEvSK_,"axG",@progbits,_ZN7rocprim17ROCPRIM_400000_NS6detail17trampoline_kernelINS0_14default_configENS1_36segmented_radix_sort_config_selectorIalEEZNS1_25segmented_radix_sort_implIS3_Lb0EPKaPaPKlPlN2at6native12_GLOBAL__N_18offset_tEEE10hipError_tPvRmT1_PNSt15iterator_traitsISK_E10value_typeET2_T3_PNSL_ISQ_E10value_typeET4_jRbjT5_SW_jjP12ihipStream_tbEUlT_E0_NS1_11comp_targetILNS1_3genE8ELNS1_11target_archE1030ELNS1_3gpuE2ELNS1_3repE0EEENS1_60segmented_radix_sort_warp_sort_medium_config_static_selectorELNS0_4arch9wavefront6targetE0EEEvSK_,comdat
.Lfunc_end412:
	.size	_ZN7rocprim17ROCPRIM_400000_NS6detail17trampoline_kernelINS0_14default_configENS1_36segmented_radix_sort_config_selectorIalEEZNS1_25segmented_radix_sort_implIS3_Lb0EPKaPaPKlPlN2at6native12_GLOBAL__N_18offset_tEEE10hipError_tPvRmT1_PNSt15iterator_traitsISK_E10value_typeET2_T3_PNSL_ISQ_E10value_typeET4_jRbjT5_SW_jjP12ihipStream_tbEUlT_E0_NS1_11comp_targetILNS1_3genE8ELNS1_11target_archE1030ELNS1_3gpuE2ELNS1_3repE0EEENS1_60segmented_radix_sort_warp_sort_medium_config_static_selectorELNS0_4arch9wavefront6targetE0EEEvSK_, .Lfunc_end412-_ZN7rocprim17ROCPRIM_400000_NS6detail17trampoline_kernelINS0_14default_configENS1_36segmented_radix_sort_config_selectorIalEEZNS1_25segmented_radix_sort_implIS3_Lb0EPKaPaPKlPlN2at6native12_GLOBAL__N_18offset_tEEE10hipError_tPvRmT1_PNSt15iterator_traitsISK_E10value_typeET2_T3_PNSL_ISQ_E10value_typeET4_jRbjT5_SW_jjP12ihipStream_tbEUlT_E0_NS1_11comp_targetILNS1_3genE8ELNS1_11target_archE1030ELNS1_3gpuE2ELNS1_3repE0EEENS1_60segmented_radix_sort_warp_sort_medium_config_static_selectorELNS0_4arch9wavefront6targetE0EEEvSK_
                                        ; -- End function
	.set _ZN7rocprim17ROCPRIM_400000_NS6detail17trampoline_kernelINS0_14default_configENS1_36segmented_radix_sort_config_selectorIalEEZNS1_25segmented_radix_sort_implIS3_Lb0EPKaPaPKlPlN2at6native12_GLOBAL__N_18offset_tEEE10hipError_tPvRmT1_PNSt15iterator_traitsISK_E10value_typeET2_T3_PNSL_ISQ_E10value_typeET4_jRbjT5_SW_jjP12ihipStream_tbEUlT_E0_NS1_11comp_targetILNS1_3genE8ELNS1_11target_archE1030ELNS1_3gpuE2ELNS1_3repE0EEENS1_60segmented_radix_sort_warp_sort_medium_config_static_selectorELNS0_4arch9wavefront6targetE0EEEvSK_.num_vgpr, 0
	.set _ZN7rocprim17ROCPRIM_400000_NS6detail17trampoline_kernelINS0_14default_configENS1_36segmented_radix_sort_config_selectorIalEEZNS1_25segmented_radix_sort_implIS3_Lb0EPKaPaPKlPlN2at6native12_GLOBAL__N_18offset_tEEE10hipError_tPvRmT1_PNSt15iterator_traitsISK_E10value_typeET2_T3_PNSL_ISQ_E10value_typeET4_jRbjT5_SW_jjP12ihipStream_tbEUlT_E0_NS1_11comp_targetILNS1_3genE8ELNS1_11target_archE1030ELNS1_3gpuE2ELNS1_3repE0EEENS1_60segmented_radix_sort_warp_sort_medium_config_static_selectorELNS0_4arch9wavefront6targetE0EEEvSK_.num_agpr, 0
	.set _ZN7rocprim17ROCPRIM_400000_NS6detail17trampoline_kernelINS0_14default_configENS1_36segmented_radix_sort_config_selectorIalEEZNS1_25segmented_radix_sort_implIS3_Lb0EPKaPaPKlPlN2at6native12_GLOBAL__N_18offset_tEEE10hipError_tPvRmT1_PNSt15iterator_traitsISK_E10value_typeET2_T3_PNSL_ISQ_E10value_typeET4_jRbjT5_SW_jjP12ihipStream_tbEUlT_E0_NS1_11comp_targetILNS1_3genE8ELNS1_11target_archE1030ELNS1_3gpuE2ELNS1_3repE0EEENS1_60segmented_radix_sort_warp_sort_medium_config_static_selectorELNS0_4arch9wavefront6targetE0EEEvSK_.numbered_sgpr, 0
	.set _ZN7rocprim17ROCPRIM_400000_NS6detail17trampoline_kernelINS0_14default_configENS1_36segmented_radix_sort_config_selectorIalEEZNS1_25segmented_radix_sort_implIS3_Lb0EPKaPaPKlPlN2at6native12_GLOBAL__N_18offset_tEEE10hipError_tPvRmT1_PNSt15iterator_traitsISK_E10value_typeET2_T3_PNSL_ISQ_E10value_typeET4_jRbjT5_SW_jjP12ihipStream_tbEUlT_E0_NS1_11comp_targetILNS1_3genE8ELNS1_11target_archE1030ELNS1_3gpuE2ELNS1_3repE0EEENS1_60segmented_radix_sort_warp_sort_medium_config_static_selectorELNS0_4arch9wavefront6targetE0EEEvSK_.num_named_barrier, 0
	.set _ZN7rocprim17ROCPRIM_400000_NS6detail17trampoline_kernelINS0_14default_configENS1_36segmented_radix_sort_config_selectorIalEEZNS1_25segmented_radix_sort_implIS3_Lb0EPKaPaPKlPlN2at6native12_GLOBAL__N_18offset_tEEE10hipError_tPvRmT1_PNSt15iterator_traitsISK_E10value_typeET2_T3_PNSL_ISQ_E10value_typeET4_jRbjT5_SW_jjP12ihipStream_tbEUlT_E0_NS1_11comp_targetILNS1_3genE8ELNS1_11target_archE1030ELNS1_3gpuE2ELNS1_3repE0EEENS1_60segmented_radix_sort_warp_sort_medium_config_static_selectorELNS0_4arch9wavefront6targetE0EEEvSK_.private_seg_size, 0
	.set _ZN7rocprim17ROCPRIM_400000_NS6detail17trampoline_kernelINS0_14default_configENS1_36segmented_radix_sort_config_selectorIalEEZNS1_25segmented_radix_sort_implIS3_Lb0EPKaPaPKlPlN2at6native12_GLOBAL__N_18offset_tEEE10hipError_tPvRmT1_PNSt15iterator_traitsISK_E10value_typeET2_T3_PNSL_ISQ_E10value_typeET4_jRbjT5_SW_jjP12ihipStream_tbEUlT_E0_NS1_11comp_targetILNS1_3genE8ELNS1_11target_archE1030ELNS1_3gpuE2ELNS1_3repE0EEENS1_60segmented_radix_sort_warp_sort_medium_config_static_selectorELNS0_4arch9wavefront6targetE0EEEvSK_.uses_vcc, 0
	.set _ZN7rocprim17ROCPRIM_400000_NS6detail17trampoline_kernelINS0_14default_configENS1_36segmented_radix_sort_config_selectorIalEEZNS1_25segmented_radix_sort_implIS3_Lb0EPKaPaPKlPlN2at6native12_GLOBAL__N_18offset_tEEE10hipError_tPvRmT1_PNSt15iterator_traitsISK_E10value_typeET2_T3_PNSL_ISQ_E10value_typeET4_jRbjT5_SW_jjP12ihipStream_tbEUlT_E0_NS1_11comp_targetILNS1_3genE8ELNS1_11target_archE1030ELNS1_3gpuE2ELNS1_3repE0EEENS1_60segmented_radix_sort_warp_sort_medium_config_static_selectorELNS0_4arch9wavefront6targetE0EEEvSK_.uses_flat_scratch, 0
	.set _ZN7rocprim17ROCPRIM_400000_NS6detail17trampoline_kernelINS0_14default_configENS1_36segmented_radix_sort_config_selectorIalEEZNS1_25segmented_radix_sort_implIS3_Lb0EPKaPaPKlPlN2at6native12_GLOBAL__N_18offset_tEEE10hipError_tPvRmT1_PNSt15iterator_traitsISK_E10value_typeET2_T3_PNSL_ISQ_E10value_typeET4_jRbjT5_SW_jjP12ihipStream_tbEUlT_E0_NS1_11comp_targetILNS1_3genE8ELNS1_11target_archE1030ELNS1_3gpuE2ELNS1_3repE0EEENS1_60segmented_radix_sort_warp_sort_medium_config_static_selectorELNS0_4arch9wavefront6targetE0EEEvSK_.has_dyn_sized_stack, 0
	.set _ZN7rocprim17ROCPRIM_400000_NS6detail17trampoline_kernelINS0_14default_configENS1_36segmented_radix_sort_config_selectorIalEEZNS1_25segmented_radix_sort_implIS3_Lb0EPKaPaPKlPlN2at6native12_GLOBAL__N_18offset_tEEE10hipError_tPvRmT1_PNSt15iterator_traitsISK_E10value_typeET2_T3_PNSL_ISQ_E10value_typeET4_jRbjT5_SW_jjP12ihipStream_tbEUlT_E0_NS1_11comp_targetILNS1_3genE8ELNS1_11target_archE1030ELNS1_3gpuE2ELNS1_3repE0EEENS1_60segmented_radix_sort_warp_sort_medium_config_static_selectorELNS0_4arch9wavefront6targetE0EEEvSK_.has_recursion, 0
	.set _ZN7rocprim17ROCPRIM_400000_NS6detail17trampoline_kernelINS0_14default_configENS1_36segmented_radix_sort_config_selectorIalEEZNS1_25segmented_radix_sort_implIS3_Lb0EPKaPaPKlPlN2at6native12_GLOBAL__N_18offset_tEEE10hipError_tPvRmT1_PNSt15iterator_traitsISK_E10value_typeET2_T3_PNSL_ISQ_E10value_typeET4_jRbjT5_SW_jjP12ihipStream_tbEUlT_E0_NS1_11comp_targetILNS1_3genE8ELNS1_11target_archE1030ELNS1_3gpuE2ELNS1_3repE0EEENS1_60segmented_radix_sort_warp_sort_medium_config_static_selectorELNS0_4arch9wavefront6targetE0EEEvSK_.has_indirect_call, 0
	.section	.AMDGPU.csdata,"",@progbits
; Kernel info:
; codeLenInByte = 0
; TotalNumSgprs: 0
; NumVgprs: 0
; ScratchSize: 0
; MemoryBound: 0
; FloatMode: 240
; IeeeMode: 1
; LDSByteSize: 0 bytes/workgroup (compile time only)
; SGPRBlocks: 0
; VGPRBlocks: 0
; NumSGPRsForWavesPerEU: 1
; NumVGPRsForWavesPerEU: 1
; Occupancy: 16
; WaveLimiterHint : 0
; COMPUTE_PGM_RSRC2:SCRATCH_EN: 0
; COMPUTE_PGM_RSRC2:USER_SGPR: 2
; COMPUTE_PGM_RSRC2:TRAP_HANDLER: 0
; COMPUTE_PGM_RSRC2:TGID_X_EN: 1
; COMPUTE_PGM_RSRC2:TGID_Y_EN: 0
; COMPUTE_PGM_RSRC2:TGID_Z_EN: 0
; COMPUTE_PGM_RSRC2:TIDIG_COMP_CNT: 0
	.section	.text._ZN7rocprim17ROCPRIM_400000_NS6detail17trampoline_kernelINS0_14default_configENS1_36segmented_radix_sort_config_selectorIalEEZNS1_25segmented_radix_sort_implIS3_Lb0EPKaPaPKlPlN2at6native12_GLOBAL__N_18offset_tEEE10hipError_tPvRmT1_PNSt15iterator_traitsISK_E10value_typeET2_T3_PNSL_ISQ_E10value_typeET4_jRbjT5_SW_jjP12ihipStream_tbEUlT_E1_NS1_11comp_targetILNS1_3genE0ELNS1_11target_archE4294967295ELNS1_3gpuE0ELNS1_3repE0EEENS1_59segmented_radix_sort_warp_sort_small_config_static_selectorELNS0_4arch9wavefront6targetE0EEEvSK_,"axG",@progbits,_ZN7rocprim17ROCPRIM_400000_NS6detail17trampoline_kernelINS0_14default_configENS1_36segmented_radix_sort_config_selectorIalEEZNS1_25segmented_radix_sort_implIS3_Lb0EPKaPaPKlPlN2at6native12_GLOBAL__N_18offset_tEEE10hipError_tPvRmT1_PNSt15iterator_traitsISK_E10value_typeET2_T3_PNSL_ISQ_E10value_typeET4_jRbjT5_SW_jjP12ihipStream_tbEUlT_E1_NS1_11comp_targetILNS1_3genE0ELNS1_11target_archE4294967295ELNS1_3gpuE0ELNS1_3repE0EEENS1_59segmented_radix_sort_warp_sort_small_config_static_selectorELNS0_4arch9wavefront6targetE0EEEvSK_,comdat
	.globl	_ZN7rocprim17ROCPRIM_400000_NS6detail17trampoline_kernelINS0_14default_configENS1_36segmented_radix_sort_config_selectorIalEEZNS1_25segmented_radix_sort_implIS3_Lb0EPKaPaPKlPlN2at6native12_GLOBAL__N_18offset_tEEE10hipError_tPvRmT1_PNSt15iterator_traitsISK_E10value_typeET2_T3_PNSL_ISQ_E10value_typeET4_jRbjT5_SW_jjP12ihipStream_tbEUlT_E1_NS1_11comp_targetILNS1_3genE0ELNS1_11target_archE4294967295ELNS1_3gpuE0ELNS1_3repE0EEENS1_59segmented_radix_sort_warp_sort_small_config_static_selectorELNS0_4arch9wavefront6targetE0EEEvSK_ ; -- Begin function _ZN7rocprim17ROCPRIM_400000_NS6detail17trampoline_kernelINS0_14default_configENS1_36segmented_radix_sort_config_selectorIalEEZNS1_25segmented_radix_sort_implIS3_Lb0EPKaPaPKlPlN2at6native12_GLOBAL__N_18offset_tEEE10hipError_tPvRmT1_PNSt15iterator_traitsISK_E10value_typeET2_T3_PNSL_ISQ_E10value_typeET4_jRbjT5_SW_jjP12ihipStream_tbEUlT_E1_NS1_11comp_targetILNS1_3genE0ELNS1_11target_archE4294967295ELNS1_3gpuE0ELNS1_3repE0EEENS1_59segmented_radix_sort_warp_sort_small_config_static_selectorELNS0_4arch9wavefront6targetE0EEEvSK_
	.p2align	8
	.type	_ZN7rocprim17ROCPRIM_400000_NS6detail17trampoline_kernelINS0_14default_configENS1_36segmented_radix_sort_config_selectorIalEEZNS1_25segmented_radix_sort_implIS3_Lb0EPKaPaPKlPlN2at6native12_GLOBAL__N_18offset_tEEE10hipError_tPvRmT1_PNSt15iterator_traitsISK_E10value_typeET2_T3_PNSL_ISQ_E10value_typeET4_jRbjT5_SW_jjP12ihipStream_tbEUlT_E1_NS1_11comp_targetILNS1_3genE0ELNS1_11target_archE4294967295ELNS1_3gpuE0ELNS1_3repE0EEENS1_59segmented_radix_sort_warp_sort_small_config_static_selectorELNS0_4arch9wavefront6targetE0EEEvSK_,@function
_ZN7rocprim17ROCPRIM_400000_NS6detail17trampoline_kernelINS0_14default_configENS1_36segmented_radix_sort_config_selectorIalEEZNS1_25segmented_radix_sort_implIS3_Lb0EPKaPaPKlPlN2at6native12_GLOBAL__N_18offset_tEEE10hipError_tPvRmT1_PNSt15iterator_traitsISK_E10value_typeET2_T3_PNSL_ISQ_E10value_typeET4_jRbjT5_SW_jjP12ihipStream_tbEUlT_E1_NS1_11comp_targetILNS1_3genE0ELNS1_11target_archE4294967295ELNS1_3gpuE0ELNS1_3repE0EEENS1_59segmented_radix_sort_warp_sort_small_config_static_selectorELNS0_4arch9wavefront6targetE0EEEvSK_: ; @_ZN7rocprim17ROCPRIM_400000_NS6detail17trampoline_kernelINS0_14default_configENS1_36segmented_radix_sort_config_selectorIalEEZNS1_25segmented_radix_sort_implIS3_Lb0EPKaPaPKlPlN2at6native12_GLOBAL__N_18offset_tEEE10hipError_tPvRmT1_PNSt15iterator_traitsISK_E10value_typeET2_T3_PNSL_ISQ_E10value_typeET4_jRbjT5_SW_jjP12ihipStream_tbEUlT_E1_NS1_11comp_targetILNS1_3genE0ELNS1_11target_archE4294967295ELNS1_3gpuE0ELNS1_3repE0EEENS1_59segmented_radix_sort_warp_sort_small_config_static_selectorELNS0_4arch9wavefront6targetE0EEEvSK_
; %bb.0:
	.section	.rodata,"a",@progbits
	.p2align	6, 0x0
	.amdhsa_kernel _ZN7rocprim17ROCPRIM_400000_NS6detail17trampoline_kernelINS0_14default_configENS1_36segmented_radix_sort_config_selectorIalEEZNS1_25segmented_radix_sort_implIS3_Lb0EPKaPaPKlPlN2at6native12_GLOBAL__N_18offset_tEEE10hipError_tPvRmT1_PNSt15iterator_traitsISK_E10value_typeET2_T3_PNSL_ISQ_E10value_typeET4_jRbjT5_SW_jjP12ihipStream_tbEUlT_E1_NS1_11comp_targetILNS1_3genE0ELNS1_11target_archE4294967295ELNS1_3gpuE0ELNS1_3repE0EEENS1_59segmented_radix_sort_warp_sort_small_config_static_selectorELNS0_4arch9wavefront6targetE0EEEvSK_
		.amdhsa_group_segment_fixed_size 0
		.amdhsa_private_segment_fixed_size 0
		.amdhsa_kernarg_size 88
		.amdhsa_user_sgpr_count 2
		.amdhsa_user_sgpr_dispatch_ptr 0
		.amdhsa_user_sgpr_queue_ptr 0
		.amdhsa_user_sgpr_kernarg_segment_ptr 1
		.amdhsa_user_sgpr_dispatch_id 0
		.amdhsa_user_sgpr_private_segment_size 0
		.amdhsa_wavefront_size32 1
		.amdhsa_uses_dynamic_stack 0
		.amdhsa_enable_private_segment 0
		.amdhsa_system_sgpr_workgroup_id_x 1
		.amdhsa_system_sgpr_workgroup_id_y 0
		.amdhsa_system_sgpr_workgroup_id_z 0
		.amdhsa_system_sgpr_workgroup_info 0
		.amdhsa_system_vgpr_workitem_id 0
		.amdhsa_next_free_vgpr 1
		.amdhsa_next_free_sgpr 1
		.amdhsa_reserve_vcc 0
		.amdhsa_float_round_mode_32 0
		.amdhsa_float_round_mode_16_64 0
		.amdhsa_float_denorm_mode_32 3
		.amdhsa_float_denorm_mode_16_64 3
		.amdhsa_fp16_overflow 0
		.amdhsa_workgroup_processor_mode 1
		.amdhsa_memory_ordered 1
		.amdhsa_forward_progress 1
		.amdhsa_inst_pref_size 0
		.amdhsa_round_robin_scheduling 0
		.amdhsa_exception_fp_ieee_invalid_op 0
		.amdhsa_exception_fp_denorm_src 0
		.amdhsa_exception_fp_ieee_div_zero 0
		.amdhsa_exception_fp_ieee_overflow 0
		.amdhsa_exception_fp_ieee_underflow 0
		.amdhsa_exception_fp_ieee_inexact 0
		.amdhsa_exception_int_div_zero 0
	.end_amdhsa_kernel
	.section	.text._ZN7rocprim17ROCPRIM_400000_NS6detail17trampoline_kernelINS0_14default_configENS1_36segmented_radix_sort_config_selectorIalEEZNS1_25segmented_radix_sort_implIS3_Lb0EPKaPaPKlPlN2at6native12_GLOBAL__N_18offset_tEEE10hipError_tPvRmT1_PNSt15iterator_traitsISK_E10value_typeET2_T3_PNSL_ISQ_E10value_typeET4_jRbjT5_SW_jjP12ihipStream_tbEUlT_E1_NS1_11comp_targetILNS1_3genE0ELNS1_11target_archE4294967295ELNS1_3gpuE0ELNS1_3repE0EEENS1_59segmented_radix_sort_warp_sort_small_config_static_selectorELNS0_4arch9wavefront6targetE0EEEvSK_,"axG",@progbits,_ZN7rocprim17ROCPRIM_400000_NS6detail17trampoline_kernelINS0_14default_configENS1_36segmented_radix_sort_config_selectorIalEEZNS1_25segmented_radix_sort_implIS3_Lb0EPKaPaPKlPlN2at6native12_GLOBAL__N_18offset_tEEE10hipError_tPvRmT1_PNSt15iterator_traitsISK_E10value_typeET2_T3_PNSL_ISQ_E10value_typeET4_jRbjT5_SW_jjP12ihipStream_tbEUlT_E1_NS1_11comp_targetILNS1_3genE0ELNS1_11target_archE4294967295ELNS1_3gpuE0ELNS1_3repE0EEENS1_59segmented_radix_sort_warp_sort_small_config_static_selectorELNS0_4arch9wavefront6targetE0EEEvSK_,comdat
.Lfunc_end413:
	.size	_ZN7rocprim17ROCPRIM_400000_NS6detail17trampoline_kernelINS0_14default_configENS1_36segmented_radix_sort_config_selectorIalEEZNS1_25segmented_radix_sort_implIS3_Lb0EPKaPaPKlPlN2at6native12_GLOBAL__N_18offset_tEEE10hipError_tPvRmT1_PNSt15iterator_traitsISK_E10value_typeET2_T3_PNSL_ISQ_E10value_typeET4_jRbjT5_SW_jjP12ihipStream_tbEUlT_E1_NS1_11comp_targetILNS1_3genE0ELNS1_11target_archE4294967295ELNS1_3gpuE0ELNS1_3repE0EEENS1_59segmented_radix_sort_warp_sort_small_config_static_selectorELNS0_4arch9wavefront6targetE0EEEvSK_, .Lfunc_end413-_ZN7rocprim17ROCPRIM_400000_NS6detail17trampoline_kernelINS0_14default_configENS1_36segmented_radix_sort_config_selectorIalEEZNS1_25segmented_radix_sort_implIS3_Lb0EPKaPaPKlPlN2at6native12_GLOBAL__N_18offset_tEEE10hipError_tPvRmT1_PNSt15iterator_traitsISK_E10value_typeET2_T3_PNSL_ISQ_E10value_typeET4_jRbjT5_SW_jjP12ihipStream_tbEUlT_E1_NS1_11comp_targetILNS1_3genE0ELNS1_11target_archE4294967295ELNS1_3gpuE0ELNS1_3repE0EEENS1_59segmented_radix_sort_warp_sort_small_config_static_selectorELNS0_4arch9wavefront6targetE0EEEvSK_
                                        ; -- End function
	.set _ZN7rocprim17ROCPRIM_400000_NS6detail17trampoline_kernelINS0_14default_configENS1_36segmented_radix_sort_config_selectorIalEEZNS1_25segmented_radix_sort_implIS3_Lb0EPKaPaPKlPlN2at6native12_GLOBAL__N_18offset_tEEE10hipError_tPvRmT1_PNSt15iterator_traitsISK_E10value_typeET2_T3_PNSL_ISQ_E10value_typeET4_jRbjT5_SW_jjP12ihipStream_tbEUlT_E1_NS1_11comp_targetILNS1_3genE0ELNS1_11target_archE4294967295ELNS1_3gpuE0ELNS1_3repE0EEENS1_59segmented_radix_sort_warp_sort_small_config_static_selectorELNS0_4arch9wavefront6targetE0EEEvSK_.num_vgpr, 0
	.set _ZN7rocprim17ROCPRIM_400000_NS6detail17trampoline_kernelINS0_14default_configENS1_36segmented_radix_sort_config_selectorIalEEZNS1_25segmented_radix_sort_implIS3_Lb0EPKaPaPKlPlN2at6native12_GLOBAL__N_18offset_tEEE10hipError_tPvRmT1_PNSt15iterator_traitsISK_E10value_typeET2_T3_PNSL_ISQ_E10value_typeET4_jRbjT5_SW_jjP12ihipStream_tbEUlT_E1_NS1_11comp_targetILNS1_3genE0ELNS1_11target_archE4294967295ELNS1_3gpuE0ELNS1_3repE0EEENS1_59segmented_radix_sort_warp_sort_small_config_static_selectorELNS0_4arch9wavefront6targetE0EEEvSK_.num_agpr, 0
	.set _ZN7rocprim17ROCPRIM_400000_NS6detail17trampoline_kernelINS0_14default_configENS1_36segmented_radix_sort_config_selectorIalEEZNS1_25segmented_radix_sort_implIS3_Lb0EPKaPaPKlPlN2at6native12_GLOBAL__N_18offset_tEEE10hipError_tPvRmT1_PNSt15iterator_traitsISK_E10value_typeET2_T3_PNSL_ISQ_E10value_typeET4_jRbjT5_SW_jjP12ihipStream_tbEUlT_E1_NS1_11comp_targetILNS1_3genE0ELNS1_11target_archE4294967295ELNS1_3gpuE0ELNS1_3repE0EEENS1_59segmented_radix_sort_warp_sort_small_config_static_selectorELNS0_4arch9wavefront6targetE0EEEvSK_.numbered_sgpr, 0
	.set _ZN7rocprim17ROCPRIM_400000_NS6detail17trampoline_kernelINS0_14default_configENS1_36segmented_radix_sort_config_selectorIalEEZNS1_25segmented_radix_sort_implIS3_Lb0EPKaPaPKlPlN2at6native12_GLOBAL__N_18offset_tEEE10hipError_tPvRmT1_PNSt15iterator_traitsISK_E10value_typeET2_T3_PNSL_ISQ_E10value_typeET4_jRbjT5_SW_jjP12ihipStream_tbEUlT_E1_NS1_11comp_targetILNS1_3genE0ELNS1_11target_archE4294967295ELNS1_3gpuE0ELNS1_3repE0EEENS1_59segmented_radix_sort_warp_sort_small_config_static_selectorELNS0_4arch9wavefront6targetE0EEEvSK_.num_named_barrier, 0
	.set _ZN7rocprim17ROCPRIM_400000_NS6detail17trampoline_kernelINS0_14default_configENS1_36segmented_radix_sort_config_selectorIalEEZNS1_25segmented_radix_sort_implIS3_Lb0EPKaPaPKlPlN2at6native12_GLOBAL__N_18offset_tEEE10hipError_tPvRmT1_PNSt15iterator_traitsISK_E10value_typeET2_T3_PNSL_ISQ_E10value_typeET4_jRbjT5_SW_jjP12ihipStream_tbEUlT_E1_NS1_11comp_targetILNS1_3genE0ELNS1_11target_archE4294967295ELNS1_3gpuE0ELNS1_3repE0EEENS1_59segmented_radix_sort_warp_sort_small_config_static_selectorELNS0_4arch9wavefront6targetE0EEEvSK_.private_seg_size, 0
	.set _ZN7rocprim17ROCPRIM_400000_NS6detail17trampoline_kernelINS0_14default_configENS1_36segmented_radix_sort_config_selectorIalEEZNS1_25segmented_radix_sort_implIS3_Lb0EPKaPaPKlPlN2at6native12_GLOBAL__N_18offset_tEEE10hipError_tPvRmT1_PNSt15iterator_traitsISK_E10value_typeET2_T3_PNSL_ISQ_E10value_typeET4_jRbjT5_SW_jjP12ihipStream_tbEUlT_E1_NS1_11comp_targetILNS1_3genE0ELNS1_11target_archE4294967295ELNS1_3gpuE0ELNS1_3repE0EEENS1_59segmented_radix_sort_warp_sort_small_config_static_selectorELNS0_4arch9wavefront6targetE0EEEvSK_.uses_vcc, 0
	.set _ZN7rocprim17ROCPRIM_400000_NS6detail17trampoline_kernelINS0_14default_configENS1_36segmented_radix_sort_config_selectorIalEEZNS1_25segmented_radix_sort_implIS3_Lb0EPKaPaPKlPlN2at6native12_GLOBAL__N_18offset_tEEE10hipError_tPvRmT1_PNSt15iterator_traitsISK_E10value_typeET2_T3_PNSL_ISQ_E10value_typeET4_jRbjT5_SW_jjP12ihipStream_tbEUlT_E1_NS1_11comp_targetILNS1_3genE0ELNS1_11target_archE4294967295ELNS1_3gpuE0ELNS1_3repE0EEENS1_59segmented_radix_sort_warp_sort_small_config_static_selectorELNS0_4arch9wavefront6targetE0EEEvSK_.uses_flat_scratch, 0
	.set _ZN7rocprim17ROCPRIM_400000_NS6detail17trampoline_kernelINS0_14default_configENS1_36segmented_radix_sort_config_selectorIalEEZNS1_25segmented_radix_sort_implIS3_Lb0EPKaPaPKlPlN2at6native12_GLOBAL__N_18offset_tEEE10hipError_tPvRmT1_PNSt15iterator_traitsISK_E10value_typeET2_T3_PNSL_ISQ_E10value_typeET4_jRbjT5_SW_jjP12ihipStream_tbEUlT_E1_NS1_11comp_targetILNS1_3genE0ELNS1_11target_archE4294967295ELNS1_3gpuE0ELNS1_3repE0EEENS1_59segmented_radix_sort_warp_sort_small_config_static_selectorELNS0_4arch9wavefront6targetE0EEEvSK_.has_dyn_sized_stack, 0
	.set _ZN7rocprim17ROCPRIM_400000_NS6detail17trampoline_kernelINS0_14default_configENS1_36segmented_radix_sort_config_selectorIalEEZNS1_25segmented_radix_sort_implIS3_Lb0EPKaPaPKlPlN2at6native12_GLOBAL__N_18offset_tEEE10hipError_tPvRmT1_PNSt15iterator_traitsISK_E10value_typeET2_T3_PNSL_ISQ_E10value_typeET4_jRbjT5_SW_jjP12ihipStream_tbEUlT_E1_NS1_11comp_targetILNS1_3genE0ELNS1_11target_archE4294967295ELNS1_3gpuE0ELNS1_3repE0EEENS1_59segmented_radix_sort_warp_sort_small_config_static_selectorELNS0_4arch9wavefront6targetE0EEEvSK_.has_recursion, 0
	.set _ZN7rocprim17ROCPRIM_400000_NS6detail17trampoline_kernelINS0_14default_configENS1_36segmented_radix_sort_config_selectorIalEEZNS1_25segmented_radix_sort_implIS3_Lb0EPKaPaPKlPlN2at6native12_GLOBAL__N_18offset_tEEE10hipError_tPvRmT1_PNSt15iterator_traitsISK_E10value_typeET2_T3_PNSL_ISQ_E10value_typeET4_jRbjT5_SW_jjP12ihipStream_tbEUlT_E1_NS1_11comp_targetILNS1_3genE0ELNS1_11target_archE4294967295ELNS1_3gpuE0ELNS1_3repE0EEENS1_59segmented_radix_sort_warp_sort_small_config_static_selectorELNS0_4arch9wavefront6targetE0EEEvSK_.has_indirect_call, 0
	.section	.AMDGPU.csdata,"",@progbits
; Kernel info:
; codeLenInByte = 0
; TotalNumSgprs: 0
; NumVgprs: 0
; ScratchSize: 0
; MemoryBound: 0
; FloatMode: 240
; IeeeMode: 1
; LDSByteSize: 0 bytes/workgroup (compile time only)
; SGPRBlocks: 0
; VGPRBlocks: 0
; NumSGPRsForWavesPerEU: 1
; NumVGPRsForWavesPerEU: 1
; Occupancy: 16
; WaveLimiterHint : 0
; COMPUTE_PGM_RSRC2:SCRATCH_EN: 0
; COMPUTE_PGM_RSRC2:USER_SGPR: 2
; COMPUTE_PGM_RSRC2:TRAP_HANDLER: 0
; COMPUTE_PGM_RSRC2:TGID_X_EN: 1
; COMPUTE_PGM_RSRC2:TGID_Y_EN: 0
; COMPUTE_PGM_RSRC2:TGID_Z_EN: 0
; COMPUTE_PGM_RSRC2:TIDIG_COMP_CNT: 0
	.section	.text._ZN7rocprim17ROCPRIM_400000_NS6detail17trampoline_kernelINS0_14default_configENS1_36segmented_radix_sort_config_selectorIalEEZNS1_25segmented_radix_sort_implIS3_Lb0EPKaPaPKlPlN2at6native12_GLOBAL__N_18offset_tEEE10hipError_tPvRmT1_PNSt15iterator_traitsISK_E10value_typeET2_T3_PNSL_ISQ_E10value_typeET4_jRbjT5_SW_jjP12ihipStream_tbEUlT_E1_NS1_11comp_targetILNS1_3genE5ELNS1_11target_archE942ELNS1_3gpuE9ELNS1_3repE0EEENS1_59segmented_radix_sort_warp_sort_small_config_static_selectorELNS0_4arch9wavefront6targetE0EEEvSK_,"axG",@progbits,_ZN7rocprim17ROCPRIM_400000_NS6detail17trampoline_kernelINS0_14default_configENS1_36segmented_radix_sort_config_selectorIalEEZNS1_25segmented_radix_sort_implIS3_Lb0EPKaPaPKlPlN2at6native12_GLOBAL__N_18offset_tEEE10hipError_tPvRmT1_PNSt15iterator_traitsISK_E10value_typeET2_T3_PNSL_ISQ_E10value_typeET4_jRbjT5_SW_jjP12ihipStream_tbEUlT_E1_NS1_11comp_targetILNS1_3genE5ELNS1_11target_archE942ELNS1_3gpuE9ELNS1_3repE0EEENS1_59segmented_radix_sort_warp_sort_small_config_static_selectorELNS0_4arch9wavefront6targetE0EEEvSK_,comdat
	.globl	_ZN7rocprim17ROCPRIM_400000_NS6detail17trampoline_kernelINS0_14default_configENS1_36segmented_radix_sort_config_selectorIalEEZNS1_25segmented_radix_sort_implIS3_Lb0EPKaPaPKlPlN2at6native12_GLOBAL__N_18offset_tEEE10hipError_tPvRmT1_PNSt15iterator_traitsISK_E10value_typeET2_T3_PNSL_ISQ_E10value_typeET4_jRbjT5_SW_jjP12ihipStream_tbEUlT_E1_NS1_11comp_targetILNS1_3genE5ELNS1_11target_archE942ELNS1_3gpuE9ELNS1_3repE0EEENS1_59segmented_radix_sort_warp_sort_small_config_static_selectorELNS0_4arch9wavefront6targetE0EEEvSK_ ; -- Begin function _ZN7rocprim17ROCPRIM_400000_NS6detail17trampoline_kernelINS0_14default_configENS1_36segmented_radix_sort_config_selectorIalEEZNS1_25segmented_radix_sort_implIS3_Lb0EPKaPaPKlPlN2at6native12_GLOBAL__N_18offset_tEEE10hipError_tPvRmT1_PNSt15iterator_traitsISK_E10value_typeET2_T3_PNSL_ISQ_E10value_typeET4_jRbjT5_SW_jjP12ihipStream_tbEUlT_E1_NS1_11comp_targetILNS1_3genE5ELNS1_11target_archE942ELNS1_3gpuE9ELNS1_3repE0EEENS1_59segmented_radix_sort_warp_sort_small_config_static_selectorELNS0_4arch9wavefront6targetE0EEEvSK_
	.p2align	8
	.type	_ZN7rocprim17ROCPRIM_400000_NS6detail17trampoline_kernelINS0_14default_configENS1_36segmented_radix_sort_config_selectorIalEEZNS1_25segmented_radix_sort_implIS3_Lb0EPKaPaPKlPlN2at6native12_GLOBAL__N_18offset_tEEE10hipError_tPvRmT1_PNSt15iterator_traitsISK_E10value_typeET2_T3_PNSL_ISQ_E10value_typeET4_jRbjT5_SW_jjP12ihipStream_tbEUlT_E1_NS1_11comp_targetILNS1_3genE5ELNS1_11target_archE942ELNS1_3gpuE9ELNS1_3repE0EEENS1_59segmented_radix_sort_warp_sort_small_config_static_selectorELNS0_4arch9wavefront6targetE0EEEvSK_,@function
_ZN7rocprim17ROCPRIM_400000_NS6detail17trampoline_kernelINS0_14default_configENS1_36segmented_radix_sort_config_selectorIalEEZNS1_25segmented_radix_sort_implIS3_Lb0EPKaPaPKlPlN2at6native12_GLOBAL__N_18offset_tEEE10hipError_tPvRmT1_PNSt15iterator_traitsISK_E10value_typeET2_T3_PNSL_ISQ_E10value_typeET4_jRbjT5_SW_jjP12ihipStream_tbEUlT_E1_NS1_11comp_targetILNS1_3genE5ELNS1_11target_archE942ELNS1_3gpuE9ELNS1_3repE0EEENS1_59segmented_radix_sort_warp_sort_small_config_static_selectorELNS0_4arch9wavefront6targetE0EEEvSK_: ; @_ZN7rocprim17ROCPRIM_400000_NS6detail17trampoline_kernelINS0_14default_configENS1_36segmented_radix_sort_config_selectorIalEEZNS1_25segmented_radix_sort_implIS3_Lb0EPKaPaPKlPlN2at6native12_GLOBAL__N_18offset_tEEE10hipError_tPvRmT1_PNSt15iterator_traitsISK_E10value_typeET2_T3_PNSL_ISQ_E10value_typeET4_jRbjT5_SW_jjP12ihipStream_tbEUlT_E1_NS1_11comp_targetILNS1_3genE5ELNS1_11target_archE942ELNS1_3gpuE9ELNS1_3repE0EEENS1_59segmented_radix_sort_warp_sort_small_config_static_selectorELNS0_4arch9wavefront6targetE0EEEvSK_
; %bb.0:
	.section	.rodata,"a",@progbits
	.p2align	6, 0x0
	.amdhsa_kernel _ZN7rocprim17ROCPRIM_400000_NS6detail17trampoline_kernelINS0_14default_configENS1_36segmented_radix_sort_config_selectorIalEEZNS1_25segmented_radix_sort_implIS3_Lb0EPKaPaPKlPlN2at6native12_GLOBAL__N_18offset_tEEE10hipError_tPvRmT1_PNSt15iterator_traitsISK_E10value_typeET2_T3_PNSL_ISQ_E10value_typeET4_jRbjT5_SW_jjP12ihipStream_tbEUlT_E1_NS1_11comp_targetILNS1_3genE5ELNS1_11target_archE942ELNS1_3gpuE9ELNS1_3repE0EEENS1_59segmented_radix_sort_warp_sort_small_config_static_selectorELNS0_4arch9wavefront6targetE0EEEvSK_
		.amdhsa_group_segment_fixed_size 0
		.amdhsa_private_segment_fixed_size 0
		.amdhsa_kernarg_size 88
		.amdhsa_user_sgpr_count 2
		.amdhsa_user_sgpr_dispatch_ptr 0
		.amdhsa_user_sgpr_queue_ptr 0
		.amdhsa_user_sgpr_kernarg_segment_ptr 1
		.amdhsa_user_sgpr_dispatch_id 0
		.amdhsa_user_sgpr_private_segment_size 0
		.amdhsa_wavefront_size32 1
		.amdhsa_uses_dynamic_stack 0
		.amdhsa_enable_private_segment 0
		.amdhsa_system_sgpr_workgroup_id_x 1
		.amdhsa_system_sgpr_workgroup_id_y 0
		.amdhsa_system_sgpr_workgroup_id_z 0
		.amdhsa_system_sgpr_workgroup_info 0
		.amdhsa_system_vgpr_workitem_id 0
		.amdhsa_next_free_vgpr 1
		.amdhsa_next_free_sgpr 1
		.amdhsa_reserve_vcc 0
		.amdhsa_float_round_mode_32 0
		.amdhsa_float_round_mode_16_64 0
		.amdhsa_float_denorm_mode_32 3
		.amdhsa_float_denorm_mode_16_64 3
		.amdhsa_fp16_overflow 0
		.amdhsa_workgroup_processor_mode 1
		.amdhsa_memory_ordered 1
		.amdhsa_forward_progress 1
		.amdhsa_inst_pref_size 0
		.amdhsa_round_robin_scheduling 0
		.amdhsa_exception_fp_ieee_invalid_op 0
		.amdhsa_exception_fp_denorm_src 0
		.amdhsa_exception_fp_ieee_div_zero 0
		.amdhsa_exception_fp_ieee_overflow 0
		.amdhsa_exception_fp_ieee_underflow 0
		.amdhsa_exception_fp_ieee_inexact 0
		.amdhsa_exception_int_div_zero 0
	.end_amdhsa_kernel
	.section	.text._ZN7rocprim17ROCPRIM_400000_NS6detail17trampoline_kernelINS0_14default_configENS1_36segmented_radix_sort_config_selectorIalEEZNS1_25segmented_radix_sort_implIS3_Lb0EPKaPaPKlPlN2at6native12_GLOBAL__N_18offset_tEEE10hipError_tPvRmT1_PNSt15iterator_traitsISK_E10value_typeET2_T3_PNSL_ISQ_E10value_typeET4_jRbjT5_SW_jjP12ihipStream_tbEUlT_E1_NS1_11comp_targetILNS1_3genE5ELNS1_11target_archE942ELNS1_3gpuE9ELNS1_3repE0EEENS1_59segmented_radix_sort_warp_sort_small_config_static_selectorELNS0_4arch9wavefront6targetE0EEEvSK_,"axG",@progbits,_ZN7rocprim17ROCPRIM_400000_NS6detail17trampoline_kernelINS0_14default_configENS1_36segmented_radix_sort_config_selectorIalEEZNS1_25segmented_radix_sort_implIS3_Lb0EPKaPaPKlPlN2at6native12_GLOBAL__N_18offset_tEEE10hipError_tPvRmT1_PNSt15iterator_traitsISK_E10value_typeET2_T3_PNSL_ISQ_E10value_typeET4_jRbjT5_SW_jjP12ihipStream_tbEUlT_E1_NS1_11comp_targetILNS1_3genE5ELNS1_11target_archE942ELNS1_3gpuE9ELNS1_3repE0EEENS1_59segmented_radix_sort_warp_sort_small_config_static_selectorELNS0_4arch9wavefront6targetE0EEEvSK_,comdat
.Lfunc_end414:
	.size	_ZN7rocprim17ROCPRIM_400000_NS6detail17trampoline_kernelINS0_14default_configENS1_36segmented_radix_sort_config_selectorIalEEZNS1_25segmented_radix_sort_implIS3_Lb0EPKaPaPKlPlN2at6native12_GLOBAL__N_18offset_tEEE10hipError_tPvRmT1_PNSt15iterator_traitsISK_E10value_typeET2_T3_PNSL_ISQ_E10value_typeET4_jRbjT5_SW_jjP12ihipStream_tbEUlT_E1_NS1_11comp_targetILNS1_3genE5ELNS1_11target_archE942ELNS1_3gpuE9ELNS1_3repE0EEENS1_59segmented_radix_sort_warp_sort_small_config_static_selectorELNS0_4arch9wavefront6targetE0EEEvSK_, .Lfunc_end414-_ZN7rocprim17ROCPRIM_400000_NS6detail17trampoline_kernelINS0_14default_configENS1_36segmented_radix_sort_config_selectorIalEEZNS1_25segmented_radix_sort_implIS3_Lb0EPKaPaPKlPlN2at6native12_GLOBAL__N_18offset_tEEE10hipError_tPvRmT1_PNSt15iterator_traitsISK_E10value_typeET2_T3_PNSL_ISQ_E10value_typeET4_jRbjT5_SW_jjP12ihipStream_tbEUlT_E1_NS1_11comp_targetILNS1_3genE5ELNS1_11target_archE942ELNS1_3gpuE9ELNS1_3repE0EEENS1_59segmented_radix_sort_warp_sort_small_config_static_selectorELNS0_4arch9wavefront6targetE0EEEvSK_
                                        ; -- End function
	.set _ZN7rocprim17ROCPRIM_400000_NS6detail17trampoline_kernelINS0_14default_configENS1_36segmented_radix_sort_config_selectorIalEEZNS1_25segmented_radix_sort_implIS3_Lb0EPKaPaPKlPlN2at6native12_GLOBAL__N_18offset_tEEE10hipError_tPvRmT1_PNSt15iterator_traitsISK_E10value_typeET2_T3_PNSL_ISQ_E10value_typeET4_jRbjT5_SW_jjP12ihipStream_tbEUlT_E1_NS1_11comp_targetILNS1_3genE5ELNS1_11target_archE942ELNS1_3gpuE9ELNS1_3repE0EEENS1_59segmented_radix_sort_warp_sort_small_config_static_selectorELNS0_4arch9wavefront6targetE0EEEvSK_.num_vgpr, 0
	.set _ZN7rocprim17ROCPRIM_400000_NS6detail17trampoline_kernelINS0_14default_configENS1_36segmented_radix_sort_config_selectorIalEEZNS1_25segmented_radix_sort_implIS3_Lb0EPKaPaPKlPlN2at6native12_GLOBAL__N_18offset_tEEE10hipError_tPvRmT1_PNSt15iterator_traitsISK_E10value_typeET2_T3_PNSL_ISQ_E10value_typeET4_jRbjT5_SW_jjP12ihipStream_tbEUlT_E1_NS1_11comp_targetILNS1_3genE5ELNS1_11target_archE942ELNS1_3gpuE9ELNS1_3repE0EEENS1_59segmented_radix_sort_warp_sort_small_config_static_selectorELNS0_4arch9wavefront6targetE0EEEvSK_.num_agpr, 0
	.set _ZN7rocprim17ROCPRIM_400000_NS6detail17trampoline_kernelINS0_14default_configENS1_36segmented_radix_sort_config_selectorIalEEZNS1_25segmented_radix_sort_implIS3_Lb0EPKaPaPKlPlN2at6native12_GLOBAL__N_18offset_tEEE10hipError_tPvRmT1_PNSt15iterator_traitsISK_E10value_typeET2_T3_PNSL_ISQ_E10value_typeET4_jRbjT5_SW_jjP12ihipStream_tbEUlT_E1_NS1_11comp_targetILNS1_3genE5ELNS1_11target_archE942ELNS1_3gpuE9ELNS1_3repE0EEENS1_59segmented_radix_sort_warp_sort_small_config_static_selectorELNS0_4arch9wavefront6targetE0EEEvSK_.numbered_sgpr, 0
	.set _ZN7rocprim17ROCPRIM_400000_NS6detail17trampoline_kernelINS0_14default_configENS1_36segmented_radix_sort_config_selectorIalEEZNS1_25segmented_radix_sort_implIS3_Lb0EPKaPaPKlPlN2at6native12_GLOBAL__N_18offset_tEEE10hipError_tPvRmT1_PNSt15iterator_traitsISK_E10value_typeET2_T3_PNSL_ISQ_E10value_typeET4_jRbjT5_SW_jjP12ihipStream_tbEUlT_E1_NS1_11comp_targetILNS1_3genE5ELNS1_11target_archE942ELNS1_3gpuE9ELNS1_3repE0EEENS1_59segmented_radix_sort_warp_sort_small_config_static_selectorELNS0_4arch9wavefront6targetE0EEEvSK_.num_named_barrier, 0
	.set _ZN7rocprim17ROCPRIM_400000_NS6detail17trampoline_kernelINS0_14default_configENS1_36segmented_radix_sort_config_selectorIalEEZNS1_25segmented_radix_sort_implIS3_Lb0EPKaPaPKlPlN2at6native12_GLOBAL__N_18offset_tEEE10hipError_tPvRmT1_PNSt15iterator_traitsISK_E10value_typeET2_T3_PNSL_ISQ_E10value_typeET4_jRbjT5_SW_jjP12ihipStream_tbEUlT_E1_NS1_11comp_targetILNS1_3genE5ELNS1_11target_archE942ELNS1_3gpuE9ELNS1_3repE0EEENS1_59segmented_radix_sort_warp_sort_small_config_static_selectorELNS0_4arch9wavefront6targetE0EEEvSK_.private_seg_size, 0
	.set _ZN7rocprim17ROCPRIM_400000_NS6detail17trampoline_kernelINS0_14default_configENS1_36segmented_radix_sort_config_selectorIalEEZNS1_25segmented_radix_sort_implIS3_Lb0EPKaPaPKlPlN2at6native12_GLOBAL__N_18offset_tEEE10hipError_tPvRmT1_PNSt15iterator_traitsISK_E10value_typeET2_T3_PNSL_ISQ_E10value_typeET4_jRbjT5_SW_jjP12ihipStream_tbEUlT_E1_NS1_11comp_targetILNS1_3genE5ELNS1_11target_archE942ELNS1_3gpuE9ELNS1_3repE0EEENS1_59segmented_radix_sort_warp_sort_small_config_static_selectorELNS0_4arch9wavefront6targetE0EEEvSK_.uses_vcc, 0
	.set _ZN7rocprim17ROCPRIM_400000_NS6detail17trampoline_kernelINS0_14default_configENS1_36segmented_radix_sort_config_selectorIalEEZNS1_25segmented_radix_sort_implIS3_Lb0EPKaPaPKlPlN2at6native12_GLOBAL__N_18offset_tEEE10hipError_tPvRmT1_PNSt15iterator_traitsISK_E10value_typeET2_T3_PNSL_ISQ_E10value_typeET4_jRbjT5_SW_jjP12ihipStream_tbEUlT_E1_NS1_11comp_targetILNS1_3genE5ELNS1_11target_archE942ELNS1_3gpuE9ELNS1_3repE0EEENS1_59segmented_radix_sort_warp_sort_small_config_static_selectorELNS0_4arch9wavefront6targetE0EEEvSK_.uses_flat_scratch, 0
	.set _ZN7rocprim17ROCPRIM_400000_NS6detail17trampoline_kernelINS0_14default_configENS1_36segmented_radix_sort_config_selectorIalEEZNS1_25segmented_radix_sort_implIS3_Lb0EPKaPaPKlPlN2at6native12_GLOBAL__N_18offset_tEEE10hipError_tPvRmT1_PNSt15iterator_traitsISK_E10value_typeET2_T3_PNSL_ISQ_E10value_typeET4_jRbjT5_SW_jjP12ihipStream_tbEUlT_E1_NS1_11comp_targetILNS1_3genE5ELNS1_11target_archE942ELNS1_3gpuE9ELNS1_3repE0EEENS1_59segmented_radix_sort_warp_sort_small_config_static_selectorELNS0_4arch9wavefront6targetE0EEEvSK_.has_dyn_sized_stack, 0
	.set _ZN7rocprim17ROCPRIM_400000_NS6detail17trampoline_kernelINS0_14default_configENS1_36segmented_radix_sort_config_selectorIalEEZNS1_25segmented_radix_sort_implIS3_Lb0EPKaPaPKlPlN2at6native12_GLOBAL__N_18offset_tEEE10hipError_tPvRmT1_PNSt15iterator_traitsISK_E10value_typeET2_T3_PNSL_ISQ_E10value_typeET4_jRbjT5_SW_jjP12ihipStream_tbEUlT_E1_NS1_11comp_targetILNS1_3genE5ELNS1_11target_archE942ELNS1_3gpuE9ELNS1_3repE0EEENS1_59segmented_radix_sort_warp_sort_small_config_static_selectorELNS0_4arch9wavefront6targetE0EEEvSK_.has_recursion, 0
	.set _ZN7rocprim17ROCPRIM_400000_NS6detail17trampoline_kernelINS0_14default_configENS1_36segmented_radix_sort_config_selectorIalEEZNS1_25segmented_radix_sort_implIS3_Lb0EPKaPaPKlPlN2at6native12_GLOBAL__N_18offset_tEEE10hipError_tPvRmT1_PNSt15iterator_traitsISK_E10value_typeET2_T3_PNSL_ISQ_E10value_typeET4_jRbjT5_SW_jjP12ihipStream_tbEUlT_E1_NS1_11comp_targetILNS1_3genE5ELNS1_11target_archE942ELNS1_3gpuE9ELNS1_3repE0EEENS1_59segmented_radix_sort_warp_sort_small_config_static_selectorELNS0_4arch9wavefront6targetE0EEEvSK_.has_indirect_call, 0
	.section	.AMDGPU.csdata,"",@progbits
; Kernel info:
; codeLenInByte = 0
; TotalNumSgprs: 0
; NumVgprs: 0
; ScratchSize: 0
; MemoryBound: 0
; FloatMode: 240
; IeeeMode: 1
; LDSByteSize: 0 bytes/workgroup (compile time only)
; SGPRBlocks: 0
; VGPRBlocks: 0
; NumSGPRsForWavesPerEU: 1
; NumVGPRsForWavesPerEU: 1
; Occupancy: 16
; WaveLimiterHint : 0
; COMPUTE_PGM_RSRC2:SCRATCH_EN: 0
; COMPUTE_PGM_RSRC2:USER_SGPR: 2
; COMPUTE_PGM_RSRC2:TRAP_HANDLER: 0
; COMPUTE_PGM_RSRC2:TGID_X_EN: 1
; COMPUTE_PGM_RSRC2:TGID_Y_EN: 0
; COMPUTE_PGM_RSRC2:TGID_Z_EN: 0
; COMPUTE_PGM_RSRC2:TIDIG_COMP_CNT: 0
	.section	.text._ZN7rocprim17ROCPRIM_400000_NS6detail17trampoline_kernelINS0_14default_configENS1_36segmented_radix_sort_config_selectorIalEEZNS1_25segmented_radix_sort_implIS3_Lb0EPKaPaPKlPlN2at6native12_GLOBAL__N_18offset_tEEE10hipError_tPvRmT1_PNSt15iterator_traitsISK_E10value_typeET2_T3_PNSL_ISQ_E10value_typeET4_jRbjT5_SW_jjP12ihipStream_tbEUlT_E1_NS1_11comp_targetILNS1_3genE4ELNS1_11target_archE910ELNS1_3gpuE8ELNS1_3repE0EEENS1_59segmented_radix_sort_warp_sort_small_config_static_selectorELNS0_4arch9wavefront6targetE0EEEvSK_,"axG",@progbits,_ZN7rocprim17ROCPRIM_400000_NS6detail17trampoline_kernelINS0_14default_configENS1_36segmented_radix_sort_config_selectorIalEEZNS1_25segmented_radix_sort_implIS3_Lb0EPKaPaPKlPlN2at6native12_GLOBAL__N_18offset_tEEE10hipError_tPvRmT1_PNSt15iterator_traitsISK_E10value_typeET2_T3_PNSL_ISQ_E10value_typeET4_jRbjT5_SW_jjP12ihipStream_tbEUlT_E1_NS1_11comp_targetILNS1_3genE4ELNS1_11target_archE910ELNS1_3gpuE8ELNS1_3repE0EEENS1_59segmented_radix_sort_warp_sort_small_config_static_selectorELNS0_4arch9wavefront6targetE0EEEvSK_,comdat
	.globl	_ZN7rocprim17ROCPRIM_400000_NS6detail17trampoline_kernelINS0_14default_configENS1_36segmented_radix_sort_config_selectorIalEEZNS1_25segmented_radix_sort_implIS3_Lb0EPKaPaPKlPlN2at6native12_GLOBAL__N_18offset_tEEE10hipError_tPvRmT1_PNSt15iterator_traitsISK_E10value_typeET2_T3_PNSL_ISQ_E10value_typeET4_jRbjT5_SW_jjP12ihipStream_tbEUlT_E1_NS1_11comp_targetILNS1_3genE4ELNS1_11target_archE910ELNS1_3gpuE8ELNS1_3repE0EEENS1_59segmented_radix_sort_warp_sort_small_config_static_selectorELNS0_4arch9wavefront6targetE0EEEvSK_ ; -- Begin function _ZN7rocprim17ROCPRIM_400000_NS6detail17trampoline_kernelINS0_14default_configENS1_36segmented_radix_sort_config_selectorIalEEZNS1_25segmented_radix_sort_implIS3_Lb0EPKaPaPKlPlN2at6native12_GLOBAL__N_18offset_tEEE10hipError_tPvRmT1_PNSt15iterator_traitsISK_E10value_typeET2_T3_PNSL_ISQ_E10value_typeET4_jRbjT5_SW_jjP12ihipStream_tbEUlT_E1_NS1_11comp_targetILNS1_3genE4ELNS1_11target_archE910ELNS1_3gpuE8ELNS1_3repE0EEENS1_59segmented_radix_sort_warp_sort_small_config_static_selectorELNS0_4arch9wavefront6targetE0EEEvSK_
	.p2align	8
	.type	_ZN7rocprim17ROCPRIM_400000_NS6detail17trampoline_kernelINS0_14default_configENS1_36segmented_radix_sort_config_selectorIalEEZNS1_25segmented_radix_sort_implIS3_Lb0EPKaPaPKlPlN2at6native12_GLOBAL__N_18offset_tEEE10hipError_tPvRmT1_PNSt15iterator_traitsISK_E10value_typeET2_T3_PNSL_ISQ_E10value_typeET4_jRbjT5_SW_jjP12ihipStream_tbEUlT_E1_NS1_11comp_targetILNS1_3genE4ELNS1_11target_archE910ELNS1_3gpuE8ELNS1_3repE0EEENS1_59segmented_radix_sort_warp_sort_small_config_static_selectorELNS0_4arch9wavefront6targetE0EEEvSK_,@function
_ZN7rocprim17ROCPRIM_400000_NS6detail17trampoline_kernelINS0_14default_configENS1_36segmented_radix_sort_config_selectorIalEEZNS1_25segmented_radix_sort_implIS3_Lb0EPKaPaPKlPlN2at6native12_GLOBAL__N_18offset_tEEE10hipError_tPvRmT1_PNSt15iterator_traitsISK_E10value_typeET2_T3_PNSL_ISQ_E10value_typeET4_jRbjT5_SW_jjP12ihipStream_tbEUlT_E1_NS1_11comp_targetILNS1_3genE4ELNS1_11target_archE910ELNS1_3gpuE8ELNS1_3repE0EEENS1_59segmented_radix_sort_warp_sort_small_config_static_selectorELNS0_4arch9wavefront6targetE0EEEvSK_: ; @_ZN7rocprim17ROCPRIM_400000_NS6detail17trampoline_kernelINS0_14default_configENS1_36segmented_radix_sort_config_selectorIalEEZNS1_25segmented_radix_sort_implIS3_Lb0EPKaPaPKlPlN2at6native12_GLOBAL__N_18offset_tEEE10hipError_tPvRmT1_PNSt15iterator_traitsISK_E10value_typeET2_T3_PNSL_ISQ_E10value_typeET4_jRbjT5_SW_jjP12ihipStream_tbEUlT_E1_NS1_11comp_targetILNS1_3genE4ELNS1_11target_archE910ELNS1_3gpuE8ELNS1_3repE0EEENS1_59segmented_radix_sort_warp_sort_small_config_static_selectorELNS0_4arch9wavefront6targetE0EEEvSK_
; %bb.0:
	.section	.rodata,"a",@progbits
	.p2align	6, 0x0
	.amdhsa_kernel _ZN7rocprim17ROCPRIM_400000_NS6detail17trampoline_kernelINS0_14default_configENS1_36segmented_radix_sort_config_selectorIalEEZNS1_25segmented_radix_sort_implIS3_Lb0EPKaPaPKlPlN2at6native12_GLOBAL__N_18offset_tEEE10hipError_tPvRmT1_PNSt15iterator_traitsISK_E10value_typeET2_T3_PNSL_ISQ_E10value_typeET4_jRbjT5_SW_jjP12ihipStream_tbEUlT_E1_NS1_11comp_targetILNS1_3genE4ELNS1_11target_archE910ELNS1_3gpuE8ELNS1_3repE0EEENS1_59segmented_radix_sort_warp_sort_small_config_static_selectorELNS0_4arch9wavefront6targetE0EEEvSK_
		.amdhsa_group_segment_fixed_size 0
		.amdhsa_private_segment_fixed_size 0
		.amdhsa_kernarg_size 88
		.amdhsa_user_sgpr_count 2
		.amdhsa_user_sgpr_dispatch_ptr 0
		.amdhsa_user_sgpr_queue_ptr 0
		.amdhsa_user_sgpr_kernarg_segment_ptr 1
		.amdhsa_user_sgpr_dispatch_id 0
		.amdhsa_user_sgpr_private_segment_size 0
		.amdhsa_wavefront_size32 1
		.amdhsa_uses_dynamic_stack 0
		.amdhsa_enable_private_segment 0
		.amdhsa_system_sgpr_workgroup_id_x 1
		.amdhsa_system_sgpr_workgroup_id_y 0
		.amdhsa_system_sgpr_workgroup_id_z 0
		.amdhsa_system_sgpr_workgroup_info 0
		.amdhsa_system_vgpr_workitem_id 0
		.amdhsa_next_free_vgpr 1
		.amdhsa_next_free_sgpr 1
		.amdhsa_reserve_vcc 0
		.amdhsa_float_round_mode_32 0
		.amdhsa_float_round_mode_16_64 0
		.amdhsa_float_denorm_mode_32 3
		.amdhsa_float_denorm_mode_16_64 3
		.amdhsa_fp16_overflow 0
		.amdhsa_workgroup_processor_mode 1
		.amdhsa_memory_ordered 1
		.amdhsa_forward_progress 1
		.amdhsa_inst_pref_size 0
		.amdhsa_round_robin_scheduling 0
		.amdhsa_exception_fp_ieee_invalid_op 0
		.amdhsa_exception_fp_denorm_src 0
		.amdhsa_exception_fp_ieee_div_zero 0
		.amdhsa_exception_fp_ieee_overflow 0
		.amdhsa_exception_fp_ieee_underflow 0
		.amdhsa_exception_fp_ieee_inexact 0
		.amdhsa_exception_int_div_zero 0
	.end_amdhsa_kernel
	.section	.text._ZN7rocprim17ROCPRIM_400000_NS6detail17trampoline_kernelINS0_14default_configENS1_36segmented_radix_sort_config_selectorIalEEZNS1_25segmented_radix_sort_implIS3_Lb0EPKaPaPKlPlN2at6native12_GLOBAL__N_18offset_tEEE10hipError_tPvRmT1_PNSt15iterator_traitsISK_E10value_typeET2_T3_PNSL_ISQ_E10value_typeET4_jRbjT5_SW_jjP12ihipStream_tbEUlT_E1_NS1_11comp_targetILNS1_3genE4ELNS1_11target_archE910ELNS1_3gpuE8ELNS1_3repE0EEENS1_59segmented_radix_sort_warp_sort_small_config_static_selectorELNS0_4arch9wavefront6targetE0EEEvSK_,"axG",@progbits,_ZN7rocprim17ROCPRIM_400000_NS6detail17trampoline_kernelINS0_14default_configENS1_36segmented_radix_sort_config_selectorIalEEZNS1_25segmented_radix_sort_implIS3_Lb0EPKaPaPKlPlN2at6native12_GLOBAL__N_18offset_tEEE10hipError_tPvRmT1_PNSt15iterator_traitsISK_E10value_typeET2_T3_PNSL_ISQ_E10value_typeET4_jRbjT5_SW_jjP12ihipStream_tbEUlT_E1_NS1_11comp_targetILNS1_3genE4ELNS1_11target_archE910ELNS1_3gpuE8ELNS1_3repE0EEENS1_59segmented_radix_sort_warp_sort_small_config_static_selectorELNS0_4arch9wavefront6targetE0EEEvSK_,comdat
.Lfunc_end415:
	.size	_ZN7rocprim17ROCPRIM_400000_NS6detail17trampoline_kernelINS0_14default_configENS1_36segmented_radix_sort_config_selectorIalEEZNS1_25segmented_radix_sort_implIS3_Lb0EPKaPaPKlPlN2at6native12_GLOBAL__N_18offset_tEEE10hipError_tPvRmT1_PNSt15iterator_traitsISK_E10value_typeET2_T3_PNSL_ISQ_E10value_typeET4_jRbjT5_SW_jjP12ihipStream_tbEUlT_E1_NS1_11comp_targetILNS1_3genE4ELNS1_11target_archE910ELNS1_3gpuE8ELNS1_3repE0EEENS1_59segmented_radix_sort_warp_sort_small_config_static_selectorELNS0_4arch9wavefront6targetE0EEEvSK_, .Lfunc_end415-_ZN7rocprim17ROCPRIM_400000_NS6detail17trampoline_kernelINS0_14default_configENS1_36segmented_radix_sort_config_selectorIalEEZNS1_25segmented_radix_sort_implIS3_Lb0EPKaPaPKlPlN2at6native12_GLOBAL__N_18offset_tEEE10hipError_tPvRmT1_PNSt15iterator_traitsISK_E10value_typeET2_T3_PNSL_ISQ_E10value_typeET4_jRbjT5_SW_jjP12ihipStream_tbEUlT_E1_NS1_11comp_targetILNS1_3genE4ELNS1_11target_archE910ELNS1_3gpuE8ELNS1_3repE0EEENS1_59segmented_radix_sort_warp_sort_small_config_static_selectorELNS0_4arch9wavefront6targetE0EEEvSK_
                                        ; -- End function
	.set _ZN7rocprim17ROCPRIM_400000_NS6detail17trampoline_kernelINS0_14default_configENS1_36segmented_radix_sort_config_selectorIalEEZNS1_25segmented_radix_sort_implIS3_Lb0EPKaPaPKlPlN2at6native12_GLOBAL__N_18offset_tEEE10hipError_tPvRmT1_PNSt15iterator_traitsISK_E10value_typeET2_T3_PNSL_ISQ_E10value_typeET4_jRbjT5_SW_jjP12ihipStream_tbEUlT_E1_NS1_11comp_targetILNS1_3genE4ELNS1_11target_archE910ELNS1_3gpuE8ELNS1_3repE0EEENS1_59segmented_radix_sort_warp_sort_small_config_static_selectorELNS0_4arch9wavefront6targetE0EEEvSK_.num_vgpr, 0
	.set _ZN7rocprim17ROCPRIM_400000_NS6detail17trampoline_kernelINS0_14default_configENS1_36segmented_radix_sort_config_selectorIalEEZNS1_25segmented_radix_sort_implIS3_Lb0EPKaPaPKlPlN2at6native12_GLOBAL__N_18offset_tEEE10hipError_tPvRmT1_PNSt15iterator_traitsISK_E10value_typeET2_T3_PNSL_ISQ_E10value_typeET4_jRbjT5_SW_jjP12ihipStream_tbEUlT_E1_NS1_11comp_targetILNS1_3genE4ELNS1_11target_archE910ELNS1_3gpuE8ELNS1_3repE0EEENS1_59segmented_radix_sort_warp_sort_small_config_static_selectorELNS0_4arch9wavefront6targetE0EEEvSK_.num_agpr, 0
	.set _ZN7rocprim17ROCPRIM_400000_NS6detail17trampoline_kernelINS0_14default_configENS1_36segmented_radix_sort_config_selectorIalEEZNS1_25segmented_radix_sort_implIS3_Lb0EPKaPaPKlPlN2at6native12_GLOBAL__N_18offset_tEEE10hipError_tPvRmT1_PNSt15iterator_traitsISK_E10value_typeET2_T3_PNSL_ISQ_E10value_typeET4_jRbjT5_SW_jjP12ihipStream_tbEUlT_E1_NS1_11comp_targetILNS1_3genE4ELNS1_11target_archE910ELNS1_3gpuE8ELNS1_3repE0EEENS1_59segmented_radix_sort_warp_sort_small_config_static_selectorELNS0_4arch9wavefront6targetE0EEEvSK_.numbered_sgpr, 0
	.set _ZN7rocprim17ROCPRIM_400000_NS6detail17trampoline_kernelINS0_14default_configENS1_36segmented_radix_sort_config_selectorIalEEZNS1_25segmented_radix_sort_implIS3_Lb0EPKaPaPKlPlN2at6native12_GLOBAL__N_18offset_tEEE10hipError_tPvRmT1_PNSt15iterator_traitsISK_E10value_typeET2_T3_PNSL_ISQ_E10value_typeET4_jRbjT5_SW_jjP12ihipStream_tbEUlT_E1_NS1_11comp_targetILNS1_3genE4ELNS1_11target_archE910ELNS1_3gpuE8ELNS1_3repE0EEENS1_59segmented_radix_sort_warp_sort_small_config_static_selectorELNS0_4arch9wavefront6targetE0EEEvSK_.num_named_barrier, 0
	.set _ZN7rocprim17ROCPRIM_400000_NS6detail17trampoline_kernelINS0_14default_configENS1_36segmented_radix_sort_config_selectorIalEEZNS1_25segmented_radix_sort_implIS3_Lb0EPKaPaPKlPlN2at6native12_GLOBAL__N_18offset_tEEE10hipError_tPvRmT1_PNSt15iterator_traitsISK_E10value_typeET2_T3_PNSL_ISQ_E10value_typeET4_jRbjT5_SW_jjP12ihipStream_tbEUlT_E1_NS1_11comp_targetILNS1_3genE4ELNS1_11target_archE910ELNS1_3gpuE8ELNS1_3repE0EEENS1_59segmented_radix_sort_warp_sort_small_config_static_selectorELNS0_4arch9wavefront6targetE0EEEvSK_.private_seg_size, 0
	.set _ZN7rocprim17ROCPRIM_400000_NS6detail17trampoline_kernelINS0_14default_configENS1_36segmented_radix_sort_config_selectorIalEEZNS1_25segmented_radix_sort_implIS3_Lb0EPKaPaPKlPlN2at6native12_GLOBAL__N_18offset_tEEE10hipError_tPvRmT1_PNSt15iterator_traitsISK_E10value_typeET2_T3_PNSL_ISQ_E10value_typeET4_jRbjT5_SW_jjP12ihipStream_tbEUlT_E1_NS1_11comp_targetILNS1_3genE4ELNS1_11target_archE910ELNS1_3gpuE8ELNS1_3repE0EEENS1_59segmented_radix_sort_warp_sort_small_config_static_selectorELNS0_4arch9wavefront6targetE0EEEvSK_.uses_vcc, 0
	.set _ZN7rocprim17ROCPRIM_400000_NS6detail17trampoline_kernelINS0_14default_configENS1_36segmented_radix_sort_config_selectorIalEEZNS1_25segmented_radix_sort_implIS3_Lb0EPKaPaPKlPlN2at6native12_GLOBAL__N_18offset_tEEE10hipError_tPvRmT1_PNSt15iterator_traitsISK_E10value_typeET2_T3_PNSL_ISQ_E10value_typeET4_jRbjT5_SW_jjP12ihipStream_tbEUlT_E1_NS1_11comp_targetILNS1_3genE4ELNS1_11target_archE910ELNS1_3gpuE8ELNS1_3repE0EEENS1_59segmented_radix_sort_warp_sort_small_config_static_selectorELNS0_4arch9wavefront6targetE0EEEvSK_.uses_flat_scratch, 0
	.set _ZN7rocprim17ROCPRIM_400000_NS6detail17trampoline_kernelINS0_14default_configENS1_36segmented_radix_sort_config_selectorIalEEZNS1_25segmented_radix_sort_implIS3_Lb0EPKaPaPKlPlN2at6native12_GLOBAL__N_18offset_tEEE10hipError_tPvRmT1_PNSt15iterator_traitsISK_E10value_typeET2_T3_PNSL_ISQ_E10value_typeET4_jRbjT5_SW_jjP12ihipStream_tbEUlT_E1_NS1_11comp_targetILNS1_3genE4ELNS1_11target_archE910ELNS1_3gpuE8ELNS1_3repE0EEENS1_59segmented_radix_sort_warp_sort_small_config_static_selectorELNS0_4arch9wavefront6targetE0EEEvSK_.has_dyn_sized_stack, 0
	.set _ZN7rocprim17ROCPRIM_400000_NS6detail17trampoline_kernelINS0_14default_configENS1_36segmented_radix_sort_config_selectorIalEEZNS1_25segmented_radix_sort_implIS3_Lb0EPKaPaPKlPlN2at6native12_GLOBAL__N_18offset_tEEE10hipError_tPvRmT1_PNSt15iterator_traitsISK_E10value_typeET2_T3_PNSL_ISQ_E10value_typeET4_jRbjT5_SW_jjP12ihipStream_tbEUlT_E1_NS1_11comp_targetILNS1_3genE4ELNS1_11target_archE910ELNS1_3gpuE8ELNS1_3repE0EEENS1_59segmented_radix_sort_warp_sort_small_config_static_selectorELNS0_4arch9wavefront6targetE0EEEvSK_.has_recursion, 0
	.set _ZN7rocprim17ROCPRIM_400000_NS6detail17trampoline_kernelINS0_14default_configENS1_36segmented_radix_sort_config_selectorIalEEZNS1_25segmented_radix_sort_implIS3_Lb0EPKaPaPKlPlN2at6native12_GLOBAL__N_18offset_tEEE10hipError_tPvRmT1_PNSt15iterator_traitsISK_E10value_typeET2_T3_PNSL_ISQ_E10value_typeET4_jRbjT5_SW_jjP12ihipStream_tbEUlT_E1_NS1_11comp_targetILNS1_3genE4ELNS1_11target_archE910ELNS1_3gpuE8ELNS1_3repE0EEENS1_59segmented_radix_sort_warp_sort_small_config_static_selectorELNS0_4arch9wavefront6targetE0EEEvSK_.has_indirect_call, 0
	.section	.AMDGPU.csdata,"",@progbits
; Kernel info:
; codeLenInByte = 0
; TotalNumSgprs: 0
; NumVgprs: 0
; ScratchSize: 0
; MemoryBound: 0
; FloatMode: 240
; IeeeMode: 1
; LDSByteSize: 0 bytes/workgroup (compile time only)
; SGPRBlocks: 0
; VGPRBlocks: 0
; NumSGPRsForWavesPerEU: 1
; NumVGPRsForWavesPerEU: 1
; Occupancy: 16
; WaveLimiterHint : 0
; COMPUTE_PGM_RSRC2:SCRATCH_EN: 0
; COMPUTE_PGM_RSRC2:USER_SGPR: 2
; COMPUTE_PGM_RSRC2:TRAP_HANDLER: 0
; COMPUTE_PGM_RSRC2:TGID_X_EN: 1
; COMPUTE_PGM_RSRC2:TGID_Y_EN: 0
; COMPUTE_PGM_RSRC2:TGID_Z_EN: 0
; COMPUTE_PGM_RSRC2:TIDIG_COMP_CNT: 0
	.section	.text._ZN7rocprim17ROCPRIM_400000_NS6detail17trampoline_kernelINS0_14default_configENS1_36segmented_radix_sort_config_selectorIalEEZNS1_25segmented_radix_sort_implIS3_Lb0EPKaPaPKlPlN2at6native12_GLOBAL__N_18offset_tEEE10hipError_tPvRmT1_PNSt15iterator_traitsISK_E10value_typeET2_T3_PNSL_ISQ_E10value_typeET4_jRbjT5_SW_jjP12ihipStream_tbEUlT_E1_NS1_11comp_targetILNS1_3genE3ELNS1_11target_archE908ELNS1_3gpuE7ELNS1_3repE0EEENS1_59segmented_radix_sort_warp_sort_small_config_static_selectorELNS0_4arch9wavefront6targetE0EEEvSK_,"axG",@progbits,_ZN7rocprim17ROCPRIM_400000_NS6detail17trampoline_kernelINS0_14default_configENS1_36segmented_radix_sort_config_selectorIalEEZNS1_25segmented_radix_sort_implIS3_Lb0EPKaPaPKlPlN2at6native12_GLOBAL__N_18offset_tEEE10hipError_tPvRmT1_PNSt15iterator_traitsISK_E10value_typeET2_T3_PNSL_ISQ_E10value_typeET4_jRbjT5_SW_jjP12ihipStream_tbEUlT_E1_NS1_11comp_targetILNS1_3genE3ELNS1_11target_archE908ELNS1_3gpuE7ELNS1_3repE0EEENS1_59segmented_radix_sort_warp_sort_small_config_static_selectorELNS0_4arch9wavefront6targetE0EEEvSK_,comdat
	.globl	_ZN7rocprim17ROCPRIM_400000_NS6detail17trampoline_kernelINS0_14default_configENS1_36segmented_radix_sort_config_selectorIalEEZNS1_25segmented_radix_sort_implIS3_Lb0EPKaPaPKlPlN2at6native12_GLOBAL__N_18offset_tEEE10hipError_tPvRmT1_PNSt15iterator_traitsISK_E10value_typeET2_T3_PNSL_ISQ_E10value_typeET4_jRbjT5_SW_jjP12ihipStream_tbEUlT_E1_NS1_11comp_targetILNS1_3genE3ELNS1_11target_archE908ELNS1_3gpuE7ELNS1_3repE0EEENS1_59segmented_radix_sort_warp_sort_small_config_static_selectorELNS0_4arch9wavefront6targetE0EEEvSK_ ; -- Begin function _ZN7rocprim17ROCPRIM_400000_NS6detail17trampoline_kernelINS0_14default_configENS1_36segmented_radix_sort_config_selectorIalEEZNS1_25segmented_radix_sort_implIS3_Lb0EPKaPaPKlPlN2at6native12_GLOBAL__N_18offset_tEEE10hipError_tPvRmT1_PNSt15iterator_traitsISK_E10value_typeET2_T3_PNSL_ISQ_E10value_typeET4_jRbjT5_SW_jjP12ihipStream_tbEUlT_E1_NS1_11comp_targetILNS1_3genE3ELNS1_11target_archE908ELNS1_3gpuE7ELNS1_3repE0EEENS1_59segmented_radix_sort_warp_sort_small_config_static_selectorELNS0_4arch9wavefront6targetE0EEEvSK_
	.p2align	8
	.type	_ZN7rocprim17ROCPRIM_400000_NS6detail17trampoline_kernelINS0_14default_configENS1_36segmented_radix_sort_config_selectorIalEEZNS1_25segmented_radix_sort_implIS3_Lb0EPKaPaPKlPlN2at6native12_GLOBAL__N_18offset_tEEE10hipError_tPvRmT1_PNSt15iterator_traitsISK_E10value_typeET2_T3_PNSL_ISQ_E10value_typeET4_jRbjT5_SW_jjP12ihipStream_tbEUlT_E1_NS1_11comp_targetILNS1_3genE3ELNS1_11target_archE908ELNS1_3gpuE7ELNS1_3repE0EEENS1_59segmented_radix_sort_warp_sort_small_config_static_selectorELNS0_4arch9wavefront6targetE0EEEvSK_,@function
_ZN7rocprim17ROCPRIM_400000_NS6detail17trampoline_kernelINS0_14default_configENS1_36segmented_radix_sort_config_selectorIalEEZNS1_25segmented_radix_sort_implIS3_Lb0EPKaPaPKlPlN2at6native12_GLOBAL__N_18offset_tEEE10hipError_tPvRmT1_PNSt15iterator_traitsISK_E10value_typeET2_T3_PNSL_ISQ_E10value_typeET4_jRbjT5_SW_jjP12ihipStream_tbEUlT_E1_NS1_11comp_targetILNS1_3genE3ELNS1_11target_archE908ELNS1_3gpuE7ELNS1_3repE0EEENS1_59segmented_radix_sort_warp_sort_small_config_static_selectorELNS0_4arch9wavefront6targetE0EEEvSK_: ; @_ZN7rocprim17ROCPRIM_400000_NS6detail17trampoline_kernelINS0_14default_configENS1_36segmented_radix_sort_config_selectorIalEEZNS1_25segmented_radix_sort_implIS3_Lb0EPKaPaPKlPlN2at6native12_GLOBAL__N_18offset_tEEE10hipError_tPvRmT1_PNSt15iterator_traitsISK_E10value_typeET2_T3_PNSL_ISQ_E10value_typeET4_jRbjT5_SW_jjP12ihipStream_tbEUlT_E1_NS1_11comp_targetILNS1_3genE3ELNS1_11target_archE908ELNS1_3gpuE7ELNS1_3repE0EEENS1_59segmented_radix_sort_warp_sort_small_config_static_selectorELNS0_4arch9wavefront6targetE0EEEvSK_
; %bb.0:
	.section	.rodata,"a",@progbits
	.p2align	6, 0x0
	.amdhsa_kernel _ZN7rocprim17ROCPRIM_400000_NS6detail17trampoline_kernelINS0_14default_configENS1_36segmented_radix_sort_config_selectorIalEEZNS1_25segmented_radix_sort_implIS3_Lb0EPKaPaPKlPlN2at6native12_GLOBAL__N_18offset_tEEE10hipError_tPvRmT1_PNSt15iterator_traitsISK_E10value_typeET2_T3_PNSL_ISQ_E10value_typeET4_jRbjT5_SW_jjP12ihipStream_tbEUlT_E1_NS1_11comp_targetILNS1_3genE3ELNS1_11target_archE908ELNS1_3gpuE7ELNS1_3repE0EEENS1_59segmented_radix_sort_warp_sort_small_config_static_selectorELNS0_4arch9wavefront6targetE0EEEvSK_
		.amdhsa_group_segment_fixed_size 0
		.amdhsa_private_segment_fixed_size 0
		.amdhsa_kernarg_size 88
		.amdhsa_user_sgpr_count 2
		.amdhsa_user_sgpr_dispatch_ptr 0
		.amdhsa_user_sgpr_queue_ptr 0
		.amdhsa_user_sgpr_kernarg_segment_ptr 1
		.amdhsa_user_sgpr_dispatch_id 0
		.amdhsa_user_sgpr_private_segment_size 0
		.amdhsa_wavefront_size32 1
		.amdhsa_uses_dynamic_stack 0
		.amdhsa_enable_private_segment 0
		.amdhsa_system_sgpr_workgroup_id_x 1
		.amdhsa_system_sgpr_workgroup_id_y 0
		.amdhsa_system_sgpr_workgroup_id_z 0
		.amdhsa_system_sgpr_workgroup_info 0
		.amdhsa_system_vgpr_workitem_id 0
		.amdhsa_next_free_vgpr 1
		.amdhsa_next_free_sgpr 1
		.amdhsa_reserve_vcc 0
		.amdhsa_float_round_mode_32 0
		.amdhsa_float_round_mode_16_64 0
		.amdhsa_float_denorm_mode_32 3
		.amdhsa_float_denorm_mode_16_64 3
		.amdhsa_fp16_overflow 0
		.amdhsa_workgroup_processor_mode 1
		.amdhsa_memory_ordered 1
		.amdhsa_forward_progress 1
		.amdhsa_inst_pref_size 0
		.amdhsa_round_robin_scheduling 0
		.amdhsa_exception_fp_ieee_invalid_op 0
		.amdhsa_exception_fp_denorm_src 0
		.amdhsa_exception_fp_ieee_div_zero 0
		.amdhsa_exception_fp_ieee_overflow 0
		.amdhsa_exception_fp_ieee_underflow 0
		.amdhsa_exception_fp_ieee_inexact 0
		.amdhsa_exception_int_div_zero 0
	.end_amdhsa_kernel
	.section	.text._ZN7rocprim17ROCPRIM_400000_NS6detail17trampoline_kernelINS0_14default_configENS1_36segmented_radix_sort_config_selectorIalEEZNS1_25segmented_radix_sort_implIS3_Lb0EPKaPaPKlPlN2at6native12_GLOBAL__N_18offset_tEEE10hipError_tPvRmT1_PNSt15iterator_traitsISK_E10value_typeET2_T3_PNSL_ISQ_E10value_typeET4_jRbjT5_SW_jjP12ihipStream_tbEUlT_E1_NS1_11comp_targetILNS1_3genE3ELNS1_11target_archE908ELNS1_3gpuE7ELNS1_3repE0EEENS1_59segmented_radix_sort_warp_sort_small_config_static_selectorELNS0_4arch9wavefront6targetE0EEEvSK_,"axG",@progbits,_ZN7rocprim17ROCPRIM_400000_NS6detail17trampoline_kernelINS0_14default_configENS1_36segmented_radix_sort_config_selectorIalEEZNS1_25segmented_radix_sort_implIS3_Lb0EPKaPaPKlPlN2at6native12_GLOBAL__N_18offset_tEEE10hipError_tPvRmT1_PNSt15iterator_traitsISK_E10value_typeET2_T3_PNSL_ISQ_E10value_typeET4_jRbjT5_SW_jjP12ihipStream_tbEUlT_E1_NS1_11comp_targetILNS1_3genE3ELNS1_11target_archE908ELNS1_3gpuE7ELNS1_3repE0EEENS1_59segmented_radix_sort_warp_sort_small_config_static_selectorELNS0_4arch9wavefront6targetE0EEEvSK_,comdat
.Lfunc_end416:
	.size	_ZN7rocprim17ROCPRIM_400000_NS6detail17trampoline_kernelINS0_14default_configENS1_36segmented_radix_sort_config_selectorIalEEZNS1_25segmented_radix_sort_implIS3_Lb0EPKaPaPKlPlN2at6native12_GLOBAL__N_18offset_tEEE10hipError_tPvRmT1_PNSt15iterator_traitsISK_E10value_typeET2_T3_PNSL_ISQ_E10value_typeET4_jRbjT5_SW_jjP12ihipStream_tbEUlT_E1_NS1_11comp_targetILNS1_3genE3ELNS1_11target_archE908ELNS1_3gpuE7ELNS1_3repE0EEENS1_59segmented_radix_sort_warp_sort_small_config_static_selectorELNS0_4arch9wavefront6targetE0EEEvSK_, .Lfunc_end416-_ZN7rocprim17ROCPRIM_400000_NS6detail17trampoline_kernelINS0_14default_configENS1_36segmented_radix_sort_config_selectorIalEEZNS1_25segmented_radix_sort_implIS3_Lb0EPKaPaPKlPlN2at6native12_GLOBAL__N_18offset_tEEE10hipError_tPvRmT1_PNSt15iterator_traitsISK_E10value_typeET2_T3_PNSL_ISQ_E10value_typeET4_jRbjT5_SW_jjP12ihipStream_tbEUlT_E1_NS1_11comp_targetILNS1_3genE3ELNS1_11target_archE908ELNS1_3gpuE7ELNS1_3repE0EEENS1_59segmented_radix_sort_warp_sort_small_config_static_selectorELNS0_4arch9wavefront6targetE0EEEvSK_
                                        ; -- End function
	.set _ZN7rocprim17ROCPRIM_400000_NS6detail17trampoline_kernelINS0_14default_configENS1_36segmented_radix_sort_config_selectorIalEEZNS1_25segmented_radix_sort_implIS3_Lb0EPKaPaPKlPlN2at6native12_GLOBAL__N_18offset_tEEE10hipError_tPvRmT1_PNSt15iterator_traitsISK_E10value_typeET2_T3_PNSL_ISQ_E10value_typeET4_jRbjT5_SW_jjP12ihipStream_tbEUlT_E1_NS1_11comp_targetILNS1_3genE3ELNS1_11target_archE908ELNS1_3gpuE7ELNS1_3repE0EEENS1_59segmented_radix_sort_warp_sort_small_config_static_selectorELNS0_4arch9wavefront6targetE0EEEvSK_.num_vgpr, 0
	.set _ZN7rocprim17ROCPRIM_400000_NS6detail17trampoline_kernelINS0_14default_configENS1_36segmented_radix_sort_config_selectorIalEEZNS1_25segmented_radix_sort_implIS3_Lb0EPKaPaPKlPlN2at6native12_GLOBAL__N_18offset_tEEE10hipError_tPvRmT1_PNSt15iterator_traitsISK_E10value_typeET2_T3_PNSL_ISQ_E10value_typeET4_jRbjT5_SW_jjP12ihipStream_tbEUlT_E1_NS1_11comp_targetILNS1_3genE3ELNS1_11target_archE908ELNS1_3gpuE7ELNS1_3repE0EEENS1_59segmented_radix_sort_warp_sort_small_config_static_selectorELNS0_4arch9wavefront6targetE0EEEvSK_.num_agpr, 0
	.set _ZN7rocprim17ROCPRIM_400000_NS6detail17trampoline_kernelINS0_14default_configENS1_36segmented_radix_sort_config_selectorIalEEZNS1_25segmented_radix_sort_implIS3_Lb0EPKaPaPKlPlN2at6native12_GLOBAL__N_18offset_tEEE10hipError_tPvRmT1_PNSt15iterator_traitsISK_E10value_typeET2_T3_PNSL_ISQ_E10value_typeET4_jRbjT5_SW_jjP12ihipStream_tbEUlT_E1_NS1_11comp_targetILNS1_3genE3ELNS1_11target_archE908ELNS1_3gpuE7ELNS1_3repE0EEENS1_59segmented_radix_sort_warp_sort_small_config_static_selectorELNS0_4arch9wavefront6targetE0EEEvSK_.numbered_sgpr, 0
	.set _ZN7rocprim17ROCPRIM_400000_NS6detail17trampoline_kernelINS0_14default_configENS1_36segmented_radix_sort_config_selectorIalEEZNS1_25segmented_radix_sort_implIS3_Lb0EPKaPaPKlPlN2at6native12_GLOBAL__N_18offset_tEEE10hipError_tPvRmT1_PNSt15iterator_traitsISK_E10value_typeET2_T3_PNSL_ISQ_E10value_typeET4_jRbjT5_SW_jjP12ihipStream_tbEUlT_E1_NS1_11comp_targetILNS1_3genE3ELNS1_11target_archE908ELNS1_3gpuE7ELNS1_3repE0EEENS1_59segmented_radix_sort_warp_sort_small_config_static_selectorELNS0_4arch9wavefront6targetE0EEEvSK_.num_named_barrier, 0
	.set _ZN7rocprim17ROCPRIM_400000_NS6detail17trampoline_kernelINS0_14default_configENS1_36segmented_radix_sort_config_selectorIalEEZNS1_25segmented_radix_sort_implIS3_Lb0EPKaPaPKlPlN2at6native12_GLOBAL__N_18offset_tEEE10hipError_tPvRmT1_PNSt15iterator_traitsISK_E10value_typeET2_T3_PNSL_ISQ_E10value_typeET4_jRbjT5_SW_jjP12ihipStream_tbEUlT_E1_NS1_11comp_targetILNS1_3genE3ELNS1_11target_archE908ELNS1_3gpuE7ELNS1_3repE0EEENS1_59segmented_radix_sort_warp_sort_small_config_static_selectorELNS0_4arch9wavefront6targetE0EEEvSK_.private_seg_size, 0
	.set _ZN7rocprim17ROCPRIM_400000_NS6detail17trampoline_kernelINS0_14default_configENS1_36segmented_radix_sort_config_selectorIalEEZNS1_25segmented_radix_sort_implIS3_Lb0EPKaPaPKlPlN2at6native12_GLOBAL__N_18offset_tEEE10hipError_tPvRmT1_PNSt15iterator_traitsISK_E10value_typeET2_T3_PNSL_ISQ_E10value_typeET4_jRbjT5_SW_jjP12ihipStream_tbEUlT_E1_NS1_11comp_targetILNS1_3genE3ELNS1_11target_archE908ELNS1_3gpuE7ELNS1_3repE0EEENS1_59segmented_radix_sort_warp_sort_small_config_static_selectorELNS0_4arch9wavefront6targetE0EEEvSK_.uses_vcc, 0
	.set _ZN7rocprim17ROCPRIM_400000_NS6detail17trampoline_kernelINS0_14default_configENS1_36segmented_radix_sort_config_selectorIalEEZNS1_25segmented_radix_sort_implIS3_Lb0EPKaPaPKlPlN2at6native12_GLOBAL__N_18offset_tEEE10hipError_tPvRmT1_PNSt15iterator_traitsISK_E10value_typeET2_T3_PNSL_ISQ_E10value_typeET4_jRbjT5_SW_jjP12ihipStream_tbEUlT_E1_NS1_11comp_targetILNS1_3genE3ELNS1_11target_archE908ELNS1_3gpuE7ELNS1_3repE0EEENS1_59segmented_radix_sort_warp_sort_small_config_static_selectorELNS0_4arch9wavefront6targetE0EEEvSK_.uses_flat_scratch, 0
	.set _ZN7rocprim17ROCPRIM_400000_NS6detail17trampoline_kernelINS0_14default_configENS1_36segmented_radix_sort_config_selectorIalEEZNS1_25segmented_radix_sort_implIS3_Lb0EPKaPaPKlPlN2at6native12_GLOBAL__N_18offset_tEEE10hipError_tPvRmT1_PNSt15iterator_traitsISK_E10value_typeET2_T3_PNSL_ISQ_E10value_typeET4_jRbjT5_SW_jjP12ihipStream_tbEUlT_E1_NS1_11comp_targetILNS1_3genE3ELNS1_11target_archE908ELNS1_3gpuE7ELNS1_3repE0EEENS1_59segmented_radix_sort_warp_sort_small_config_static_selectorELNS0_4arch9wavefront6targetE0EEEvSK_.has_dyn_sized_stack, 0
	.set _ZN7rocprim17ROCPRIM_400000_NS6detail17trampoline_kernelINS0_14default_configENS1_36segmented_radix_sort_config_selectorIalEEZNS1_25segmented_radix_sort_implIS3_Lb0EPKaPaPKlPlN2at6native12_GLOBAL__N_18offset_tEEE10hipError_tPvRmT1_PNSt15iterator_traitsISK_E10value_typeET2_T3_PNSL_ISQ_E10value_typeET4_jRbjT5_SW_jjP12ihipStream_tbEUlT_E1_NS1_11comp_targetILNS1_3genE3ELNS1_11target_archE908ELNS1_3gpuE7ELNS1_3repE0EEENS1_59segmented_radix_sort_warp_sort_small_config_static_selectorELNS0_4arch9wavefront6targetE0EEEvSK_.has_recursion, 0
	.set _ZN7rocprim17ROCPRIM_400000_NS6detail17trampoline_kernelINS0_14default_configENS1_36segmented_radix_sort_config_selectorIalEEZNS1_25segmented_radix_sort_implIS3_Lb0EPKaPaPKlPlN2at6native12_GLOBAL__N_18offset_tEEE10hipError_tPvRmT1_PNSt15iterator_traitsISK_E10value_typeET2_T3_PNSL_ISQ_E10value_typeET4_jRbjT5_SW_jjP12ihipStream_tbEUlT_E1_NS1_11comp_targetILNS1_3genE3ELNS1_11target_archE908ELNS1_3gpuE7ELNS1_3repE0EEENS1_59segmented_radix_sort_warp_sort_small_config_static_selectorELNS0_4arch9wavefront6targetE0EEEvSK_.has_indirect_call, 0
	.section	.AMDGPU.csdata,"",@progbits
; Kernel info:
; codeLenInByte = 0
; TotalNumSgprs: 0
; NumVgprs: 0
; ScratchSize: 0
; MemoryBound: 0
; FloatMode: 240
; IeeeMode: 1
; LDSByteSize: 0 bytes/workgroup (compile time only)
; SGPRBlocks: 0
; VGPRBlocks: 0
; NumSGPRsForWavesPerEU: 1
; NumVGPRsForWavesPerEU: 1
; Occupancy: 16
; WaveLimiterHint : 0
; COMPUTE_PGM_RSRC2:SCRATCH_EN: 0
; COMPUTE_PGM_RSRC2:USER_SGPR: 2
; COMPUTE_PGM_RSRC2:TRAP_HANDLER: 0
; COMPUTE_PGM_RSRC2:TGID_X_EN: 1
; COMPUTE_PGM_RSRC2:TGID_Y_EN: 0
; COMPUTE_PGM_RSRC2:TGID_Z_EN: 0
; COMPUTE_PGM_RSRC2:TIDIG_COMP_CNT: 0
	.section	.text._ZN7rocprim17ROCPRIM_400000_NS6detail17trampoline_kernelINS0_14default_configENS1_36segmented_radix_sort_config_selectorIalEEZNS1_25segmented_radix_sort_implIS3_Lb0EPKaPaPKlPlN2at6native12_GLOBAL__N_18offset_tEEE10hipError_tPvRmT1_PNSt15iterator_traitsISK_E10value_typeET2_T3_PNSL_ISQ_E10value_typeET4_jRbjT5_SW_jjP12ihipStream_tbEUlT_E1_NS1_11comp_targetILNS1_3genE2ELNS1_11target_archE906ELNS1_3gpuE6ELNS1_3repE0EEENS1_59segmented_radix_sort_warp_sort_small_config_static_selectorELNS0_4arch9wavefront6targetE0EEEvSK_,"axG",@progbits,_ZN7rocprim17ROCPRIM_400000_NS6detail17trampoline_kernelINS0_14default_configENS1_36segmented_radix_sort_config_selectorIalEEZNS1_25segmented_radix_sort_implIS3_Lb0EPKaPaPKlPlN2at6native12_GLOBAL__N_18offset_tEEE10hipError_tPvRmT1_PNSt15iterator_traitsISK_E10value_typeET2_T3_PNSL_ISQ_E10value_typeET4_jRbjT5_SW_jjP12ihipStream_tbEUlT_E1_NS1_11comp_targetILNS1_3genE2ELNS1_11target_archE906ELNS1_3gpuE6ELNS1_3repE0EEENS1_59segmented_radix_sort_warp_sort_small_config_static_selectorELNS0_4arch9wavefront6targetE0EEEvSK_,comdat
	.globl	_ZN7rocprim17ROCPRIM_400000_NS6detail17trampoline_kernelINS0_14default_configENS1_36segmented_radix_sort_config_selectorIalEEZNS1_25segmented_radix_sort_implIS3_Lb0EPKaPaPKlPlN2at6native12_GLOBAL__N_18offset_tEEE10hipError_tPvRmT1_PNSt15iterator_traitsISK_E10value_typeET2_T3_PNSL_ISQ_E10value_typeET4_jRbjT5_SW_jjP12ihipStream_tbEUlT_E1_NS1_11comp_targetILNS1_3genE2ELNS1_11target_archE906ELNS1_3gpuE6ELNS1_3repE0EEENS1_59segmented_radix_sort_warp_sort_small_config_static_selectorELNS0_4arch9wavefront6targetE0EEEvSK_ ; -- Begin function _ZN7rocprim17ROCPRIM_400000_NS6detail17trampoline_kernelINS0_14default_configENS1_36segmented_radix_sort_config_selectorIalEEZNS1_25segmented_radix_sort_implIS3_Lb0EPKaPaPKlPlN2at6native12_GLOBAL__N_18offset_tEEE10hipError_tPvRmT1_PNSt15iterator_traitsISK_E10value_typeET2_T3_PNSL_ISQ_E10value_typeET4_jRbjT5_SW_jjP12ihipStream_tbEUlT_E1_NS1_11comp_targetILNS1_3genE2ELNS1_11target_archE906ELNS1_3gpuE6ELNS1_3repE0EEENS1_59segmented_radix_sort_warp_sort_small_config_static_selectorELNS0_4arch9wavefront6targetE0EEEvSK_
	.p2align	8
	.type	_ZN7rocprim17ROCPRIM_400000_NS6detail17trampoline_kernelINS0_14default_configENS1_36segmented_radix_sort_config_selectorIalEEZNS1_25segmented_radix_sort_implIS3_Lb0EPKaPaPKlPlN2at6native12_GLOBAL__N_18offset_tEEE10hipError_tPvRmT1_PNSt15iterator_traitsISK_E10value_typeET2_T3_PNSL_ISQ_E10value_typeET4_jRbjT5_SW_jjP12ihipStream_tbEUlT_E1_NS1_11comp_targetILNS1_3genE2ELNS1_11target_archE906ELNS1_3gpuE6ELNS1_3repE0EEENS1_59segmented_radix_sort_warp_sort_small_config_static_selectorELNS0_4arch9wavefront6targetE0EEEvSK_,@function
_ZN7rocprim17ROCPRIM_400000_NS6detail17trampoline_kernelINS0_14default_configENS1_36segmented_radix_sort_config_selectorIalEEZNS1_25segmented_radix_sort_implIS3_Lb0EPKaPaPKlPlN2at6native12_GLOBAL__N_18offset_tEEE10hipError_tPvRmT1_PNSt15iterator_traitsISK_E10value_typeET2_T3_PNSL_ISQ_E10value_typeET4_jRbjT5_SW_jjP12ihipStream_tbEUlT_E1_NS1_11comp_targetILNS1_3genE2ELNS1_11target_archE906ELNS1_3gpuE6ELNS1_3repE0EEENS1_59segmented_radix_sort_warp_sort_small_config_static_selectorELNS0_4arch9wavefront6targetE0EEEvSK_: ; @_ZN7rocprim17ROCPRIM_400000_NS6detail17trampoline_kernelINS0_14default_configENS1_36segmented_radix_sort_config_selectorIalEEZNS1_25segmented_radix_sort_implIS3_Lb0EPKaPaPKlPlN2at6native12_GLOBAL__N_18offset_tEEE10hipError_tPvRmT1_PNSt15iterator_traitsISK_E10value_typeET2_T3_PNSL_ISQ_E10value_typeET4_jRbjT5_SW_jjP12ihipStream_tbEUlT_E1_NS1_11comp_targetILNS1_3genE2ELNS1_11target_archE906ELNS1_3gpuE6ELNS1_3repE0EEENS1_59segmented_radix_sort_warp_sort_small_config_static_selectorELNS0_4arch9wavefront6targetE0EEEvSK_
; %bb.0:
	.section	.rodata,"a",@progbits
	.p2align	6, 0x0
	.amdhsa_kernel _ZN7rocprim17ROCPRIM_400000_NS6detail17trampoline_kernelINS0_14default_configENS1_36segmented_radix_sort_config_selectorIalEEZNS1_25segmented_radix_sort_implIS3_Lb0EPKaPaPKlPlN2at6native12_GLOBAL__N_18offset_tEEE10hipError_tPvRmT1_PNSt15iterator_traitsISK_E10value_typeET2_T3_PNSL_ISQ_E10value_typeET4_jRbjT5_SW_jjP12ihipStream_tbEUlT_E1_NS1_11comp_targetILNS1_3genE2ELNS1_11target_archE906ELNS1_3gpuE6ELNS1_3repE0EEENS1_59segmented_radix_sort_warp_sort_small_config_static_selectorELNS0_4arch9wavefront6targetE0EEEvSK_
		.amdhsa_group_segment_fixed_size 0
		.amdhsa_private_segment_fixed_size 0
		.amdhsa_kernarg_size 88
		.amdhsa_user_sgpr_count 2
		.amdhsa_user_sgpr_dispatch_ptr 0
		.amdhsa_user_sgpr_queue_ptr 0
		.amdhsa_user_sgpr_kernarg_segment_ptr 1
		.amdhsa_user_sgpr_dispatch_id 0
		.amdhsa_user_sgpr_private_segment_size 0
		.amdhsa_wavefront_size32 1
		.amdhsa_uses_dynamic_stack 0
		.amdhsa_enable_private_segment 0
		.amdhsa_system_sgpr_workgroup_id_x 1
		.amdhsa_system_sgpr_workgroup_id_y 0
		.amdhsa_system_sgpr_workgroup_id_z 0
		.amdhsa_system_sgpr_workgroup_info 0
		.amdhsa_system_vgpr_workitem_id 0
		.amdhsa_next_free_vgpr 1
		.amdhsa_next_free_sgpr 1
		.amdhsa_reserve_vcc 0
		.amdhsa_float_round_mode_32 0
		.amdhsa_float_round_mode_16_64 0
		.amdhsa_float_denorm_mode_32 3
		.amdhsa_float_denorm_mode_16_64 3
		.amdhsa_fp16_overflow 0
		.amdhsa_workgroup_processor_mode 1
		.amdhsa_memory_ordered 1
		.amdhsa_forward_progress 1
		.amdhsa_inst_pref_size 0
		.amdhsa_round_robin_scheduling 0
		.amdhsa_exception_fp_ieee_invalid_op 0
		.amdhsa_exception_fp_denorm_src 0
		.amdhsa_exception_fp_ieee_div_zero 0
		.amdhsa_exception_fp_ieee_overflow 0
		.amdhsa_exception_fp_ieee_underflow 0
		.amdhsa_exception_fp_ieee_inexact 0
		.amdhsa_exception_int_div_zero 0
	.end_amdhsa_kernel
	.section	.text._ZN7rocprim17ROCPRIM_400000_NS6detail17trampoline_kernelINS0_14default_configENS1_36segmented_radix_sort_config_selectorIalEEZNS1_25segmented_radix_sort_implIS3_Lb0EPKaPaPKlPlN2at6native12_GLOBAL__N_18offset_tEEE10hipError_tPvRmT1_PNSt15iterator_traitsISK_E10value_typeET2_T3_PNSL_ISQ_E10value_typeET4_jRbjT5_SW_jjP12ihipStream_tbEUlT_E1_NS1_11comp_targetILNS1_3genE2ELNS1_11target_archE906ELNS1_3gpuE6ELNS1_3repE0EEENS1_59segmented_radix_sort_warp_sort_small_config_static_selectorELNS0_4arch9wavefront6targetE0EEEvSK_,"axG",@progbits,_ZN7rocprim17ROCPRIM_400000_NS6detail17trampoline_kernelINS0_14default_configENS1_36segmented_radix_sort_config_selectorIalEEZNS1_25segmented_radix_sort_implIS3_Lb0EPKaPaPKlPlN2at6native12_GLOBAL__N_18offset_tEEE10hipError_tPvRmT1_PNSt15iterator_traitsISK_E10value_typeET2_T3_PNSL_ISQ_E10value_typeET4_jRbjT5_SW_jjP12ihipStream_tbEUlT_E1_NS1_11comp_targetILNS1_3genE2ELNS1_11target_archE906ELNS1_3gpuE6ELNS1_3repE0EEENS1_59segmented_radix_sort_warp_sort_small_config_static_selectorELNS0_4arch9wavefront6targetE0EEEvSK_,comdat
.Lfunc_end417:
	.size	_ZN7rocprim17ROCPRIM_400000_NS6detail17trampoline_kernelINS0_14default_configENS1_36segmented_radix_sort_config_selectorIalEEZNS1_25segmented_radix_sort_implIS3_Lb0EPKaPaPKlPlN2at6native12_GLOBAL__N_18offset_tEEE10hipError_tPvRmT1_PNSt15iterator_traitsISK_E10value_typeET2_T3_PNSL_ISQ_E10value_typeET4_jRbjT5_SW_jjP12ihipStream_tbEUlT_E1_NS1_11comp_targetILNS1_3genE2ELNS1_11target_archE906ELNS1_3gpuE6ELNS1_3repE0EEENS1_59segmented_radix_sort_warp_sort_small_config_static_selectorELNS0_4arch9wavefront6targetE0EEEvSK_, .Lfunc_end417-_ZN7rocprim17ROCPRIM_400000_NS6detail17trampoline_kernelINS0_14default_configENS1_36segmented_radix_sort_config_selectorIalEEZNS1_25segmented_radix_sort_implIS3_Lb0EPKaPaPKlPlN2at6native12_GLOBAL__N_18offset_tEEE10hipError_tPvRmT1_PNSt15iterator_traitsISK_E10value_typeET2_T3_PNSL_ISQ_E10value_typeET4_jRbjT5_SW_jjP12ihipStream_tbEUlT_E1_NS1_11comp_targetILNS1_3genE2ELNS1_11target_archE906ELNS1_3gpuE6ELNS1_3repE0EEENS1_59segmented_radix_sort_warp_sort_small_config_static_selectorELNS0_4arch9wavefront6targetE0EEEvSK_
                                        ; -- End function
	.set _ZN7rocprim17ROCPRIM_400000_NS6detail17trampoline_kernelINS0_14default_configENS1_36segmented_radix_sort_config_selectorIalEEZNS1_25segmented_radix_sort_implIS3_Lb0EPKaPaPKlPlN2at6native12_GLOBAL__N_18offset_tEEE10hipError_tPvRmT1_PNSt15iterator_traitsISK_E10value_typeET2_T3_PNSL_ISQ_E10value_typeET4_jRbjT5_SW_jjP12ihipStream_tbEUlT_E1_NS1_11comp_targetILNS1_3genE2ELNS1_11target_archE906ELNS1_3gpuE6ELNS1_3repE0EEENS1_59segmented_radix_sort_warp_sort_small_config_static_selectorELNS0_4arch9wavefront6targetE0EEEvSK_.num_vgpr, 0
	.set _ZN7rocprim17ROCPRIM_400000_NS6detail17trampoline_kernelINS0_14default_configENS1_36segmented_radix_sort_config_selectorIalEEZNS1_25segmented_radix_sort_implIS3_Lb0EPKaPaPKlPlN2at6native12_GLOBAL__N_18offset_tEEE10hipError_tPvRmT1_PNSt15iterator_traitsISK_E10value_typeET2_T3_PNSL_ISQ_E10value_typeET4_jRbjT5_SW_jjP12ihipStream_tbEUlT_E1_NS1_11comp_targetILNS1_3genE2ELNS1_11target_archE906ELNS1_3gpuE6ELNS1_3repE0EEENS1_59segmented_radix_sort_warp_sort_small_config_static_selectorELNS0_4arch9wavefront6targetE0EEEvSK_.num_agpr, 0
	.set _ZN7rocprim17ROCPRIM_400000_NS6detail17trampoline_kernelINS0_14default_configENS1_36segmented_radix_sort_config_selectorIalEEZNS1_25segmented_radix_sort_implIS3_Lb0EPKaPaPKlPlN2at6native12_GLOBAL__N_18offset_tEEE10hipError_tPvRmT1_PNSt15iterator_traitsISK_E10value_typeET2_T3_PNSL_ISQ_E10value_typeET4_jRbjT5_SW_jjP12ihipStream_tbEUlT_E1_NS1_11comp_targetILNS1_3genE2ELNS1_11target_archE906ELNS1_3gpuE6ELNS1_3repE0EEENS1_59segmented_radix_sort_warp_sort_small_config_static_selectorELNS0_4arch9wavefront6targetE0EEEvSK_.numbered_sgpr, 0
	.set _ZN7rocprim17ROCPRIM_400000_NS6detail17trampoline_kernelINS0_14default_configENS1_36segmented_radix_sort_config_selectorIalEEZNS1_25segmented_radix_sort_implIS3_Lb0EPKaPaPKlPlN2at6native12_GLOBAL__N_18offset_tEEE10hipError_tPvRmT1_PNSt15iterator_traitsISK_E10value_typeET2_T3_PNSL_ISQ_E10value_typeET4_jRbjT5_SW_jjP12ihipStream_tbEUlT_E1_NS1_11comp_targetILNS1_3genE2ELNS1_11target_archE906ELNS1_3gpuE6ELNS1_3repE0EEENS1_59segmented_radix_sort_warp_sort_small_config_static_selectorELNS0_4arch9wavefront6targetE0EEEvSK_.num_named_barrier, 0
	.set _ZN7rocprim17ROCPRIM_400000_NS6detail17trampoline_kernelINS0_14default_configENS1_36segmented_radix_sort_config_selectorIalEEZNS1_25segmented_radix_sort_implIS3_Lb0EPKaPaPKlPlN2at6native12_GLOBAL__N_18offset_tEEE10hipError_tPvRmT1_PNSt15iterator_traitsISK_E10value_typeET2_T3_PNSL_ISQ_E10value_typeET4_jRbjT5_SW_jjP12ihipStream_tbEUlT_E1_NS1_11comp_targetILNS1_3genE2ELNS1_11target_archE906ELNS1_3gpuE6ELNS1_3repE0EEENS1_59segmented_radix_sort_warp_sort_small_config_static_selectorELNS0_4arch9wavefront6targetE0EEEvSK_.private_seg_size, 0
	.set _ZN7rocprim17ROCPRIM_400000_NS6detail17trampoline_kernelINS0_14default_configENS1_36segmented_radix_sort_config_selectorIalEEZNS1_25segmented_radix_sort_implIS3_Lb0EPKaPaPKlPlN2at6native12_GLOBAL__N_18offset_tEEE10hipError_tPvRmT1_PNSt15iterator_traitsISK_E10value_typeET2_T3_PNSL_ISQ_E10value_typeET4_jRbjT5_SW_jjP12ihipStream_tbEUlT_E1_NS1_11comp_targetILNS1_3genE2ELNS1_11target_archE906ELNS1_3gpuE6ELNS1_3repE0EEENS1_59segmented_radix_sort_warp_sort_small_config_static_selectorELNS0_4arch9wavefront6targetE0EEEvSK_.uses_vcc, 0
	.set _ZN7rocprim17ROCPRIM_400000_NS6detail17trampoline_kernelINS0_14default_configENS1_36segmented_radix_sort_config_selectorIalEEZNS1_25segmented_radix_sort_implIS3_Lb0EPKaPaPKlPlN2at6native12_GLOBAL__N_18offset_tEEE10hipError_tPvRmT1_PNSt15iterator_traitsISK_E10value_typeET2_T3_PNSL_ISQ_E10value_typeET4_jRbjT5_SW_jjP12ihipStream_tbEUlT_E1_NS1_11comp_targetILNS1_3genE2ELNS1_11target_archE906ELNS1_3gpuE6ELNS1_3repE0EEENS1_59segmented_radix_sort_warp_sort_small_config_static_selectorELNS0_4arch9wavefront6targetE0EEEvSK_.uses_flat_scratch, 0
	.set _ZN7rocprim17ROCPRIM_400000_NS6detail17trampoline_kernelINS0_14default_configENS1_36segmented_radix_sort_config_selectorIalEEZNS1_25segmented_radix_sort_implIS3_Lb0EPKaPaPKlPlN2at6native12_GLOBAL__N_18offset_tEEE10hipError_tPvRmT1_PNSt15iterator_traitsISK_E10value_typeET2_T3_PNSL_ISQ_E10value_typeET4_jRbjT5_SW_jjP12ihipStream_tbEUlT_E1_NS1_11comp_targetILNS1_3genE2ELNS1_11target_archE906ELNS1_3gpuE6ELNS1_3repE0EEENS1_59segmented_radix_sort_warp_sort_small_config_static_selectorELNS0_4arch9wavefront6targetE0EEEvSK_.has_dyn_sized_stack, 0
	.set _ZN7rocprim17ROCPRIM_400000_NS6detail17trampoline_kernelINS0_14default_configENS1_36segmented_radix_sort_config_selectorIalEEZNS1_25segmented_radix_sort_implIS3_Lb0EPKaPaPKlPlN2at6native12_GLOBAL__N_18offset_tEEE10hipError_tPvRmT1_PNSt15iterator_traitsISK_E10value_typeET2_T3_PNSL_ISQ_E10value_typeET4_jRbjT5_SW_jjP12ihipStream_tbEUlT_E1_NS1_11comp_targetILNS1_3genE2ELNS1_11target_archE906ELNS1_3gpuE6ELNS1_3repE0EEENS1_59segmented_radix_sort_warp_sort_small_config_static_selectorELNS0_4arch9wavefront6targetE0EEEvSK_.has_recursion, 0
	.set _ZN7rocprim17ROCPRIM_400000_NS6detail17trampoline_kernelINS0_14default_configENS1_36segmented_radix_sort_config_selectorIalEEZNS1_25segmented_radix_sort_implIS3_Lb0EPKaPaPKlPlN2at6native12_GLOBAL__N_18offset_tEEE10hipError_tPvRmT1_PNSt15iterator_traitsISK_E10value_typeET2_T3_PNSL_ISQ_E10value_typeET4_jRbjT5_SW_jjP12ihipStream_tbEUlT_E1_NS1_11comp_targetILNS1_3genE2ELNS1_11target_archE906ELNS1_3gpuE6ELNS1_3repE0EEENS1_59segmented_radix_sort_warp_sort_small_config_static_selectorELNS0_4arch9wavefront6targetE0EEEvSK_.has_indirect_call, 0
	.section	.AMDGPU.csdata,"",@progbits
; Kernel info:
; codeLenInByte = 0
; TotalNumSgprs: 0
; NumVgprs: 0
; ScratchSize: 0
; MemoryBound: 0
; FloatMode: 240
; IeeeMode: 1
; LDSByteSize: 0 bytes/workgroup (compile time only)
; SGPRBlocks: 0
; VGPRBlocks: 0
; NumSGPRsForWavesPerEU: 1
; NumVGPRsForWavesPerEU: 1
; Occupancy: 16
; WaveLimiterHint : 0
; COMPUTE_PGM_RSRC2:SCRATCH_EN: 0
; COMPUTE_PGM_RSRC2:USER_SGPR: 2
; COMPUTE_PGM_RSRC2:TRAP_HANDLER: 0
; COMPUTE_PGM_RSRC2:TGID_X_EN: 1
; COMPUTE_PGM_RSRC2:TGID_Y_EN: 0
; COMPUTE_PGM_RSRC2:TGID_Z_EN: 0
; COMPUTE_PGM_RSRC2:TIDIG_COMP_CNT: 0
	.text
	.p2align	2                               ; -- Begin function _ZN7rocprim17ROCPRIM_400000_NS6detail26segmented_warp_sort_helperINS1_20WarpSortHelperConfigILj8ELj4ELj256EEEalLi256ELb0EvE4sortIPKaPaPKlPlEEvT_T0_T1_T2_jjjjRNS5_12storage_typeE
	.type	_ZN7rocprim17ROCPRIM_400000_NS6detail26segmented_warp_sort_helperINS1_20WarpSortHelperConfigILj8ELj4ELj256EEEalLi256ELb0EvE4sortIPKaPaPKlPlEEvT_T0_T1_T2_jjjjRNS5_12storage_typeE,@function
_ZN7rocprim17ROCPRIM_400000_NS6detail26segmented_warp_sort_helperINS1_20WarpSortHelperConfigILj8ELj4ELj256EEEalLi256ELb0EvE4sortIPKaPaPKlPlEEvT_T0_T1_T2_jjjjRNS5_12storage_typeE: ; @_ZN7rocprim17ROCPRIM_400000_NS6detail26segmented_warp_sort_helperINS1_20WarpSortHelperConfigILj8ELj4ELj256EEEalLi256ELb0EvE4sortIPKaPaPKlPlEEvT_T0_T1_T2_jjjjRNS5_12storage_typeE
; %bb.0:
	s_wait_loadcnt_dscnt 0x0
	s_wait_expcnt 0x0
	s_wait_samplecnt 0x0
	s_wait_bvhcnt 0x0
	s_wait_kmcnt 0x0
	v_mbcnt_lo_u32_b32 v14, -1, 0
	v_add_co_u32 v0, vcc_lo, v0, v8
	s_wait_alu 0xfffd
	v_add_co_ci_u32_e64 v1, null, 0, v1, vcc_lo
	s_delay_alu instid0(VALU_DEP_3) | instskip(SKIP_3) | instid1(VALU_DEP_4)
	v_lshlrev_b32_e32 v24, 2, v14
	v_sub_nc_u32_e32 v14, v9, v8
	v_mov_b32_e32 v9, 0
	v_dual_mov_b32 v25, 0x7f :: v_dual_mov_b32 v26, 0x7f
	v_dual_mov_b32 v27, 0x7f :: v_dual_and_b32 v22, 28, v24
	v_mov_b32_e32 v28, 0x7f
	s_delay_alu instid0(VALU_DEP_2)
	v_add_co_u32 v0, vcc_lo, v0, v22
	s_wait_alu 0xfffd
	v_add_co_ci_u32_e64 v1, null, 0, v1, vcc_lo
	v_cmp_lt_u32_e32 vcc_lo, v22, v14
	s_and_saveexec_b32 s0, vcc_lo
	s_cbranch_execz .LBB418_2
; %bb.1:
	flat_load_u8 v25, v[0:1]
	v_dual_mov_b32 v27, 0x7f :: v_dual_mov_b32 v26, 0x7f
	v_mov_b32_e32 v28, 0x7f
.LBB418_2:
	s_wait_alu 0xfffe
	s_or_b32 exec_lo, exec_lo, s0
	v_or_b32_e32 v15, 1, v22
	s_delay_alu instid0(VALU_DEP_1)
	v_cmp_lt_u32_e64 s0, v15, v14
	s_and_saveexec_b32 s1, s0
	s_cbranch_execz .LBB418_4
; %bb.3:
	flat_load_u8 v26, v[0:1] offset:1
.LBB418_4:
	s_wait_alu 0xfffe
	s_or_b32 exec_lo, exec_lo, s1
	v_or_b32_e32 v15, 2, v22
	s_delay_alu instid0(VALU_DEP_1)
	v_cmp_lt_u32_e64 s1, v15, v14
	s_and_saveexec_b32 s2, s1
	s_cbranch_execz .LBB418_6
; %bb.5:
	flat_load_u8 v28, v[0:1] offset:2
.LBB418_6:
	;; [unrolled: 10-line block ×3, first 2 shown]
	s_wait_alu 0xfffe
	s_or_b32 exec_lo, exec_lo, s3
	v_lshlrev_b64_e32 v[0:1], 3, v[8:9]
	v_lshlrev_b32_e32 v23, 3, v22
	; wave barrier
	s_delay_alu instid0(VALU_DEP_2) | instskip(SKIP_1) | instid1(VALU_DEP_3)
	v_add_co_u32 v4, s3, v4, v0
	s_wait_alu 0xf1ff
	v_add_co_ci_u32_e64 v5, null, v5, v1, s3
	s_delay_alu instid0(VALU_DEP_2) | instskip(SKIP_1) | instid1(VALU_DEP_2)
	v_add_co_u32 v20, s3, v4, v23
	s_wait_alu 0xf1ff
	v_add_co_ci_u32_e64 v21, null, 0, v5, s3
                                        ; implicit-def: $vgpr4_vgpr5
	s_and_saveexec_b32 s3, vcc_lo
	s_cbranch_execnz .LBB418_107
; %bb.9:
	s_wait_alu 0xfffe
	s_or_b32 exec_lo, exec_lo, s3
                                        ; implicit-def: $vgpr14_vgpr15
	s_and_saveexec_b32 s3, s0
	s_cbranch_execnz .LBB418_108
.LBB418_10:
	s_wait_alu 0xfffe
	s_or_b32 exec_lo, exec_lo, s3
                                        ; implicit-def: $vgpr18_vgpr19
	s_and_saveexec_b32 s3, s1
	s_cbranch_execnz .LBB418_109
.LBB418_11:
	s_wait_alu 0xfffe
	s_or_b32 exec_lo, exec_lo, s3
                                        ; implicit-def: $vgpr16_vgpr17
	s_and_saveexec_b32 s3, s2
	s_cbranch_execz .LBB418_13
.LBB418_12:
	flat_load_b64 v[16:17], v[20:21] offset:24
.LBB418_13:
	s_wait_alu 0xfffe
	s_or_b32 exec_lo, exec_lo, s3
	v_cmp_ne_u32_e64 s3, 0, v10
	v_cmp_ne_u32_e64 s4, 8, v11
	v_bfe_u32 v20, v31, 10, 10
	v_bfe_u32 v21, v31, 20, 10
	v_and_b32_e32 v9, 0x3ff, v31
	s_mov_b32 s5, 0
	s_or_b32 s3, s3, s4
	; wave barrier
	s_wait_alu 0xfffe
	s_and_saveexec_b32 s4, s3
	s_wait_alu 0xfffe
	s_xor_b32 s11, exec_lo, s4
	s_cbranch_execz .LBB418_55
; %bb.14:
	s_load_b64 s[6:7], s[8:9], 0x0
	s_and_b32 s3, ttmp7, 0xffff
	v_lshlrev_b32_e64 v10, v10, -1
	s_wait_kmcnt 0x0
	s_wait_alu 0xfffe
	s_cmp_lt_u32 s3, s7
	s_cselect_b32 s4, 14, 20
	s_cmp_lt_u32 ttmp9, s6
	s_wait_alu 0xfffe
	s_add_nc_u64 s[12:13], s[8:9], s[4:5]
	s_cselect_b32 s4, 12, 18
	s_load_u16 s3, s[12:13], 0x0
	s_add_nc_u64 s[4:5], s[8:9], s[4:5]
	s_mov_b32 s6, exec_lo
	s_load_u16 s4, s[4:5], 0x0
	s_wait_kmcnt 0x0
	v_mad_u32_u24 v20, v21, s3, v20
	v_lshlrev_b32_e64 v21, v11, -1
	s_delay_alu instid0(VALU_DEP_2) | instskip(NEXT) | instid1(VALU_DEP_2)
	v_mul_lo_u32 v20, v20, s4
	v_xor_b32_e32 v29, v21, v10
	s_delay_alu instid0(VALU_DEP_2) | instskip(NEXT) | instid1(VALU_DEP_1)
	v_add_lshl_u32 v11, v20, v9, 2
	v_cmpx_gt_u32_e32 0x400, v11
	s_cbranch_execz .LBB418_24
; %bb.15:
	s_wait_loadcnt_dscnt 0x0
	v_perm_b32 v9, v28, v27, 0xc0c0004
	v_and_b32_e32 v20, v26, v29
	v_and_b32_e32 v21, v25, v29
	v_perm_b32 v10, v26, v25, 0xc0c0004
	v_perm_b32 v25, v25, v26, 0xc0c0004
	v_lshlrev_b32_e32 v9, 16, v9
	v_bfe_i32 v20, v20, 0, 8
	v_bfe_i32 v21, v21, 0, 8
	s_mov_b32 s5, exec_lo
	s_delay_alu instid0(VALU_DEP_3) | instskip(SKIP_1) | instid1(VALU_DEP_3)
	v_or_b32_e32 v10, v10, v9
	v_or_b32_e32 v9, v25, v9
	v_cmp_gt_i16_e64 s3, v21, v20
	s_wait_alu 0xf1ff
	s_delay_alu instid0(VALU_DEP_1) | instskip(NEXT) | instid1(VALU_DEP_1)
	v_cndmask_b32_e64 v25, v9, v10, s3
	v_lshrrev_b32_e32 v20, 24, v25
	v_lshrrev_b32_e32 v26, 16, v25
	;; [unrolled: 1-line block ×3, first 2 shown]
	s_delay_alu instid0(VALU_DEP_3) | instskip(NEXT) | instid1(VALU_DEP_3)
	v_and_b32_e32 v9, v20, v29
	v_and_b32_e32 v10, v26, v29
	v_mov_b32_e32 v28, v20
	s_delay_alu instid0(VALU_DEP_3) | instskip(NEXT) | instid1(VALU_DEP_3)
	v_bfe_i32 v21, v9, 0, 8
	v_bfe_i32 v31, v10, 0, 8
	v_dual_mov_b32 v9, v18 :: v_dual_mov_b32 v10, v19
	s_delay_alu instid0(VALU_DEP_2)
	v_cmpx_gt_i16_e64 v31, v21
; %bb.16:
	v_dual_mov_b32 v28, v26 :: v_dual_mov_b32 v9, v16
	v_mov_b32_e32 v10, v17
	v_dual_mov_b32 v16, v18 :: v_dual_mov_b32 v31, v21
	v_dual_mov_b32 v17, v19 :: v_dual_mov_b32 v26, v20
; %bb.17:
	s_wait_alu 0xfffe
	s_or_b32 exec_lo, exec_lo, s5
	v_cndmask_b32_e64 v21, v15, v5, s3
	v_cndmask_b32_e64 v20, v14, v4, s3
	v_and_b32_e32 v18, v27, v29
	s_delay_alu instid0(VALU_DEP_1) | instskip(NEXT) | instid1(VALU_DEP_3)
	v_bfe_i32 v30, v18, 0, 8
	v_dual_mov_b32 v18, v20 :: v_dual_mov_b32 v19, v21
	s_delay_alu instid0(VALU_DEP_2)
	v_cmp_gt_i16_e64 s4, v30, v31
	s_and_saveexec_b32 s5, s4
	s_wait_alu 0xfffe
	s_xor_b32 s4, exec_lo, s5
; %bb.18:
	v_dual_mov_b32 v31, v27 :: v_dual_and_b32 v30, v26, v29
	v_dual_mov_b32 v19, v10 :: v_dual_mov_b32 v18, v9
	v_dual_mov_b32 v9, v20 :: v_dual_mov_b32 v10, v21
	s_delay_alu instid0(VALU_DEP_3)
	v_dual_mov_b32 v27, v26 :: v_dual_mov_b32 v26, v31
; %bb.19:
	s_wait_alu 0xfffe
	s_or_b32 exec_lo, exec_lo, s4
	s_delay_alu instid0(VALU_DEP_1)
	v_perm_b32 v20, v26, v28, 0xc0c0004
	v_and_b32_e32 v26, v25, v29
	v_perm_b32 v21, v27, v25, 0xc0c0004
	v_perm_b32 v25, v25, v27, 0xc0c0004
	v_bfe_i32 v27, v30, 0, 8
	v_lshlrev_b32_e32 v20, 16, v20
	v_bfe_i32 v26, v26, 0, 8
	s_mov_b32 s7, exec_lo
	s_delay_alu instid0(VALU_DEP_2) | instskip(SKIP_1) | instid1(VALU_DEP_3)
	v_or_b32_e32 v21, v21, v20
	v_or_b32_e32 v20, v25, v20
	v_cmp_gt_i16_e64 s4, v26, v27
	s_wait_alu 0xf1ff
	s_delay_alu instid0(VALU_DEP_1) | instskip(NEXT) | instid1(VALU_DEP_1)
	v_cndmask_b32_e64 v25, v20, v21, s4
	v_lshrrev_b32_e32 v31, 24, v25
	v_lshrrev_b32_e32 v28, 16, v25
	;; [unrolled: 1-line block ×3, first 2 shown]
	s_delay_alu instid0(VALU_DEP_3) | instskip(NEXT) | instid1(VALU_DEP_3)
	v_and_b32_e32 v20, v31, v29
	v_and_b32_e32 v21, v28, v29
	v_mov_b32_e32 v27, v31
	s_delay_alu instid0(VALU_DEP_3) | instskip(NEXT) | instid1(VALU_DEP_3)
	v_bfe_i32 v32, v20, 0, 8
	v_bfe_i32 v30, v21, 0, 8
	v_dual_mov_b32 v21, v10 :: v_dual_mov_b32 v20, v9
	s_delay_alu instid0(VALU_DEP_2)
	v_cmpx_gt_i16_e64 v30, v32
; %bb.20:
	v_mov_b32_e32 v21, v17
	v_dual_mov_b32 v27, v28 :: v_dual_mov_b32 v20, v16
	v_dual_mov_b32 v17, v10 :: v_dual_mov_b32 v28, v31
	v_mov_b32_e32 v16, v9
	v_mov_b32_e32 v30, v32
; %bb.21:
	s_wait_alu 0xfffe
	s_or_b32 exec_lo, exec_lo, s7
	v_cndmask_b32_e64 v10, v5, v15, s3
	v_cndmask_b32_e64 v14, v4, v14, s3
	v_and_b32_e32 v9, v26, v29
	s_delay_alu instid0(VALU_DEP_3) | instskip(NEXT) | instid1(VALU_DEP_3)
	v_cndmask_b32_e64 v5, v10, v19, s4
	v_cndmask_b32_e64 v4, v14, v18, s4
	;; [unrolled: 1-line block ×4, first 2 shown]
	v_mov_b32_e32 v18, v20
	v_bfe_i32 v9, v9, 0, 8
	v_mov_b32_e32 v19, v21
	s_mov_b32 s4, exec_lo
	s_delay_alu instid0(VALU_DEP_2)
	v_cmpx_gt_i16_e64 v9, v30
; %bb.22:
	v_mov_b32_e32 v19, v15
	v_dual_mov_b32 v9, v26 :: v_dual_mov_b32 v18, v14
	v_swap_b32 v26, v28
	v_dual_mov_b32 v14, v20 :: v_dual_mov_b32 v15, v21
; %bb.23:
	s_wait_alu 0xfffe
	s_or_b32 exec_lo, exec_lo, s4
.LBB418_24:
	s_delay_alu instid0(SALU_CYCLE_1)
	s_or_b32 exec_lo, exec_lo, s6
	v_and_b32_e32 v9, 0xffffff80, v11
	v_or_b32_e32 v10, 4, v24
	v_and_b32_e32 v33, 0x78, v24
	s_wait_loadcnt_dscnt 0x0
	v_perm_b32 v21, v25, v26, 0xc0c0004
	v_perm_b32 v30, v28, v27, 0xc0c0004
	v_sub_nc_u32_e64 v20, 0x400, v9 clamp
	v_add_co_u32 v11, s3, v12, v9
	s_wait_alu 0xf1ff
	v_add_co_ci_u32_e64 v12, null, 0, v13, s3
	s_delay_alu instid0(VALU_DEP_3) | instskip(SKIP_3) | instid1(VALU_DEP_3)
	v_min_u32_e32 v31, v20, v10
	v_and_b32_e32 v13, 4, v24
	v_lshl_or_b32 v21, v30, 16, v21
	s_mov_b32 s4, exec_lo
	v_add_nc_u32_e32 v10, 4, v31
	s_delay_alu instid0(VALU_DEP_3) | instskip(SKIP_1) | instid1(VALU_DEP_3)
	v_min_u32_e32 v34, v20, v13
	v_sub_nc_u32_e32 v36, v31, v33
	v_min_u32_e32 v32, v20, v10
	v_mad_co_u64_u32 v[9:10], null, v9, 7, v[11:12]
	v_add_co_u32 v10, null, v11, v24
	s_delay_alu instid0(VALU_DEP_3) | instskip(NEXT) | instid1(VALU_DEP_3)
	v_sub_nc_u32_e32 v13, v32, v31
	v_lshl_add_u32 v12, v24, 3, v9
	s_delay_alu instid0(VALU_DEP_2)
	v_sub_nc_u32_e64 v35, v34, v13 clamp
	v_min_u32_e32 v13, v34, v36
	ds_store_2addr_b64 v12, v[4:5], v[14:15] offset0:128 offset1:129
	ds_store_b64 v12, v[18:19] offset:1040
	ds_store_b32 v10, v21
	ds_store_b64 v12, v[16:17] offset:1048
	; wave barrier
	v_cmpx_lt_u32_e64 v35, v13
	s_cbranch_execz .LBB418_28
; %bb.25:
	v_add_co_u32 v21, null, v11, v33
	v_add_co_u32 v30, null, v11, v31
	s_mov_b32 s5, 0
.LBB418_26:                             ; =>This Inner Loop Header: Depth=1
	v_add_nc_u32_e32 v36, v13, v35
	s_delay_alu instid0(VALU_DEP_1) | instskip(NEXT) | instid1(VALU_DEP_1)
	v_lshrrev_b32_e32 v36, 1, v36
	v_not_b32_e32 v37, v36
	v_add_nc_u32_e32 v38, v21, v36
	v_add_nc_u32_e32 v39, 1, v36
	s_delay_alu instid0(VALU_DEP_3)
	v_add3_u32 v37, v34, v37, v30
	ds_load_u8 v38, v38
	ds_load_u8 v37, v37
	s_wait_dscnt 0x1
	v_and_b32_e32 v38, v38, v29
	s_wait_dscnt 0x0
	v_and_b32_e32 v37, v37, v29
	s_delay_alu instid0(VALU_DEP_2) | instskip(NEXT) | instid1(VALU_DEP_2)
	v_bfe_i32 v38, v38, 0, 8
	v_bfe_i32 v37, v37, 0, 8
	s_delay_alu instid0(VALU_DEP_1) | instskip(SKIP_1) | instid1(VALU_DEP_1)
	v_cmp_gt_i16_e64 s3, v38, v37
	s_wait_alu 0xf1ff
	v_cndmask_b32_e64 v13, v13, v36, s3
	v_cndmask_b32_e64 v35, v39, v35, s3
	s_delay_alu instid0(VALU_DEP_1)
	v_cmp_ge_u32_e64 s3, v35, v13
	s_wait_alu 0xfffe
	s_or_b32 s5, s3, s5
	s_wait_alu 0xfffe
	s_and_not1_b32 exec_lo, exec_lo, s5
	s_cbranch_execnz .LBB418_26
; %bb.27:
	s_or_b32 exec_lo, exec_lo, s5
.LBB418_28:
	s_wait_alu 0xfffe
	s_or_b32 exec_lo, exec_lo, s4
	v_add_nc_u32_e32 v36, v31, v34
	v_add_nc_u32_e32 v34, v35, v33
	;; [unrolled: 1-line block ×5, first 2 shown]
	v_sub_nc_u32_e32 v33, v36, v35
	v_cmp_le_u32_e64 s3, v34, v31
	v_add_nc_u32_e32 v12, 0x418, v12
	s_delay_alu instid0(VALU_DEP_3)
	v_cmp_le_u32_e64 s4, v33, v32
	s_or_b32 s3, s3, s4
	s_wait_alu 0xfffe
	s_and_saveexec_b32 s12, s3
	s_cbranch_execz .LBB418_34
; %bb.29:
	v_cmp_lt_u32_e64 s3, v34, v31
                                        ; implicit-def: $vgpr25
	s_and_saveexec_b32 s4, s3
; %bb.30:
	v_add_nc_u32_e32 v4, v11, v34
	ds_load_u8 v25, v4
; %bb.31:
	s_wait_alu 0xfffe
	s_or_b32 exec_lo, exec_lo, s4
	v_cmp_ge_u32_e64 s4, v33, v32
	s_mov_b32 s6, exec_lo
                                        ; implicit-def: $vgpr26
	v_cmpx_lt_u32_e64 v33, v32
; %bb.32:
	v_add_nc_u32_e32 v4, v11, v33
	ds_load_u8 v26, v4
; %bb.33:
	s_wait_alu 0xfffe
	s_or_b32 exec_lo, exec_lo, s6
	s_wait_dscnt 0x0
	v_and_b32_e32 v4, v26, v29
	v_and_b32_e32 v5, v25, v29
	s_delay_alu instid0(VALU_DEP_2) | instskip(NEXT) | instid1(VALU_DEP_2)
	v_bfe_i32 v4, v4, 0, 8
	v_bfe_i32 v5, v5, 0, 8
	s_delay_alu instid0(VALU_DEP_1)
	v_cmp_le_i16_e64 s5, v5, v4
	s_and_b32 s3, s3, s5
	s_wait_alu 0xfffe
	s_or_b32 s3, s4, s3
	s_wait_alu 0xfffe
	v_cndmask_b32_e64 v4, v33, v34, s3
	v_cndmask_b32_e64 v5, v32, v31, s3
	s_delay_alu instid0(VALU_DEP_2) | instskip(NEXT) | instid1(VALU_DEP_2)
	v_add_nc_u32_e32 v14, 1, v4
	v_add_nc_u32_e32 v5, -1, v5
	v_lshl_add_u32 v4, v4, 3, v9
	s_delay_alu instid0(VALU_DEP_3) | instskip(NEXT) | instid1(VALU_DEP_3)
	v_cndmask_b32_e64 v16, v34, v14, s3
	v_min_u32_e32 v5, v14, v5
	v_cndmask_b32_e64 v14, v14, v33, s3
	s_delay_alu instid0(VALU_DEP_3) | instskip(NEXT) | instid1(VALU_DEP_3)
	v_cmp_lt_u32_e64 s4, v16, v31
	v_add_nc_u32_e32 v5, v11, v5
	s_delay_alu instid0(VALU_DEP_3)
	v_cmp_ge_u32_e64 s6, v14, v32
	ds_load_u8 v5, v5
	s_wait_dscnt 0x0
	v_cndmask_b32_e64 v27, v5, v26, s3
	v_cndmask_b32_e64 v28, v25, v5, s3
	;; [unrolled: 1-line block ×3, first 2 shown]
	s_delay_alu instid0(VALU_DEP_3) | instskip(NEXT) | instid1(VALU_DEP_3)
	v_and_b32_e32 v5, v27, v29
	v_and_b32_e32 v15, v28, v29
	s_delay_alu instid0(VALU_DEP_2) | instskip(NEXT) | instid1(VALU_DEP_2)
	v_bfe_i32 v5, v5, 0, 8
	v_bfe_i32 v15, v15, 0, 8
	s_delay_alu instid0(VALU_DEP_1)
	v_cmp_le_i16_e64 s5, v15, v5
	s_and_b32 s4, s4, s5
	s_wait_alu 0xfffe
	s_or_b32 s4, s6, s4
	s_wait_alu 0xfffe
	v_cndmask_b32_e64 v5, v14, v16, s4
	v_cndmask_b32_e64 v15, v32, v31, s4
	;; [unrolled: 1-line block ×3, first 2 shown]
	s_delay_alu instid0(VALU_DEP_3) | instskip(NEXT) | instid1(VALU_DEP_3)
	v_add_nc_u32_e32 v17, 1, v5
	v_add_nc_u32_e32 v15, -1, v15
	s_delay_alu instid0(VALU_DEP_2) | instskip(NEXT) | instid1(VALU_DEP_2)
	v_cndmask_b32_e64 v16, v16, v17, s4
	v_min_u32_e32 v15, v17, v15
	v_cndmask_b32_e64 v14, v17, v14, s4
	s_delay_alu instid0(VALU_DEP_3) | instskip(NEXT) | instid1(VALU_DEP_3)
	v_cmp_lt_u32_e64 s5, v16, v31
	v_add_nc_u32_e32 v15, v11, v15
	s_delay_alu instid0(VALU_DEP_3) | instskip(SKIP_4) | instid1(VALU_DEP_2)
	v_cmp_ge_u32_e64 s7, v14, v32
	ds_load_u8 v15, v15
	s_wait_dscnt 0x0
	v_cndmask_b32_e64 v33, v15, v27, s4
	v_cndmask_b32_e64 v34, v28, v15, s4
	v_and_b32_e32 v15, v33, v29
	s_delay_alu instid0(VALU_DEP_2) | instskip(NEXT) | instid1(VALU_DEP_2)
	v_and_b32_e32 v18, v34, v29
	v_bfe_i32 v15, v15, 0, 8
	s_delay_alu instid0(VALU_DEP_2) | instskip(NEXT) | instid1(VALU_DEP_1)
	v_bfe_i32 v18, v18, 0, 8
	v_cmp_le_i16_e64 s6, v18, v15
	s_and_b32 s5, s5, s6
	s_wait_alu 0xfffe
	s_or_b32 s5, s7, s5
	s_wait_alu 0xfffe
	v_cndmask_b32_e64 v15, v14, v16, s5
	v_cndmask_b32_e64 v17, v32, v31, s5
	;; [unrolled: 1-line block ×3, first 2 shown]
	s_delay_alu instid0(VALU_DEP_3) | instskip(NEXT) | instid1(VALU_DEP_3)
	v_add_nc_u32_e32 v18, 1, v15
	v_add_nc_u32_e32 v17, -1, v17
	s_delay_alu instid0(VALU_DEP_2) | instskip(NEXT) | instid1(VALU_DEP_2)
	v_cndmask_b32_e64 v16, v16, v18, s5
	v_min_u32_e32 v17, v18, v17
	v_cndmask_b32_e64 v14, v18, v14, s5
	s_delay_alu instid0(VALU_DEP_3) | instskip(NEXT) | instid1(VALU_DEP_3)
	v_cmp_lt_u32_e64 s6, v16, v31
	v_add_nc_u32_e32 v17, v11, v17
	s_delay_alu instid0(VALU_DEP_3) | instskip(SKIP_4) | instid1(VALU_DEP_2)
	v_cmp_ge_u32_e64 s10, v14, v32
	ds_load_u8 v17, v17
	s_wait_dscnt 0x0
	v_cndmask_b32_e64 v35, v17, v33, s5
	v_cndmask_b32_e64 v36, v34, v17, s5
	v_and_b32_e32 v17, v35, v29
	s_delay_alu instid0(VALU_DEP_2) | instskip(NEXT) | instid1(VALU_DEP_2)
	v_and_b32_e32 v19, v36, v29
	v_bfe_i32 v17, v17, 0, 8
	s_delay_alu instid0(VALU_DEP_2) | instskip(NEXT) | instid1(VALU_DEP_1)
	v_bfe_i32 v19, v19, 0, 8
	v_cmp_le_i16_e64 s7, v19, v17
	v_lshl_add_u32 v17, v15, 3, v9
	s_and_b32 s6, s6, s7
	s_wait_alu 0xfffe
	s_or_b32 s6, s10, s6
	s_wait_alu 0xfffe
	v_cndmask_b32_e64 v14, v14, v16, s6
	v_lshl_add_u32 v16, v5, 3, v9
	v_cndmask_b32_e64 v27, v35, v36, s6
	s_delay_alu instid0(VALU_DEP_3)
	v_lshl_add_u32 v31, v14, 3, v9
	ds_load_b64 v[4:5], v4 offset:1024
	ds_load_b64 v[14:15], v16 offset:1024
	;; [unrolled: 1-line block ×4, first 2 shown]
.LBB418_34:
	s_wait_alu 0xfffe
	s_or_b32 exec_lo, exec_lo, s12
	v_and_b32_e32 v36, 0x70, v24
	v_and_b32_e32 v32, 12, v24
	s_mov_b32 s4, exec_lo
	; wave barrier
	s_delay_alu instid0(VALU_DEP_2) | instskip(NEXT) | instid1(VALU_DEP_2)
	v_or_b32_e32 v31, 8, v36
	v_min_u32_e32 v37, v20, v32
	ds_store_b8 v10, v25
	s_wait_dscnt 0x4
	ds_store_b64 v30, v[4:5]
	ds_store_b8 v10, v26 offset:1
	s_wait_dscnt 0x5
	ds_store_b64 v21, v[14:15]
	ds_store_b8 v10, v28 offset:2
	;; [unrolled: 3-line block ×3, first 2 shown]
	s_wait_dscnt 0x7
	ds_store_b64 v12, v[16:17]
	v_min_u32_e32 v34, v20, v31
	; wave barrier
	s_delay_alu instid0(VALU_DEP_1) | instskip(SKIP_1) | instid1(VALU_DEP_2)
	v_add_nc_u32_e32 v31, 8, v34
	v_sub_nc_u32_e32 v32, v34, v36
	v_min_u32_e32 v35, v20, v31
	s_delay_alu instid0(VALU_DEP_1) | instskip(NEXT) | instid1(VALU_DEP_1)
	v_sub_nc_u32_e32 v31, v35, v34
	v_sub_nc_u32_e64 v38, v37, v31 clamp
	s_delay_alu instid0(VALU_DEP_4) | instskip(NEXT) | instid1(VALU_DEP_1)
	v_min_u32_e32 v31, v37, v32
	v_cmpx_lt_u32_e64 v38, v31
	s_cbranch_execz .LBB418_38
; %bb.35:
	v_add_co_u32 v32, null, v11, v36
	v_add_co_u32 v33, null, v11, v34
	s_mov_b32 s5, 0
.LBB418_36:                             ; =>This Inner Loop Header: Depth=1
	v_add_nc_u32_e32 v39, v31, v38
	s_delay_alu instid0(VALU_DEP_1) | instskip(NEXT) | instid1(VALU_DEP_1)
	v_lshrrev_b32_e32 v39, 1, v39
	v_not_b32_e32 v48, v39
	v_add_nc_u32_e32 v49, v32, v39
	v_add_nc_u32_e32 v50, 1, v39
	s_delay_alu instid0(VALU_DEP_3)
	v_add3_u32 v48, v37, v48, v33
	ds_load_u8 v49, v49
	ds_load_u8 v48, v48
	s_wait_dscnt 0x1
	v_and_b32_e32 v49, v49, v29
	s_wait_dscnt 0x0
	v_and_b32_e32 v48, v48, v29
	s_delay_alu instid0(VALU_DEP_2) | instskip(NEXT) | instid1(VALU_DEP_2)
	v_bfe_i32 v49, v49, 0, 8
	v_bfe_i32 v48, v48, 0, 8
	s_delay_alu instid0(VALU_DEP_1) | instskip(SKIP_1) | instid1(VALU_DEP_1)
	v_cmp_gt_i16_e64 s3, v49, v48
	s_wait_alu 0xf1ff
	v_cndmask_b32_e64 v31, v31, v39, s3
	v_cndmask_b32_e64 v38, v50, v38, s3
	s_delay_alu instid0(VALU_DEP_1)
	v_cmp_ge_u32_e64 s3, v38, v31
	s_wait_alu 0xfffe
	s_or_b32 s5, s3, s5
	s_wait_alu 0xfffe
	s_and_not1_b32 exec_lo, exec_lo, s5
	s_cbranch_execnz .LBB418_36
; %bb.37:
	s_or_b32 exec_lo, exec_lo, s5
.LBB418_38:
	s_wait_alu 0xfffe
	s_or_b32 exec_lo, exec_lo, s4
	v_add_nc_u32_e32 v39, v34, v37
	v_add_nc_u32_e32 v37, v38, v36
	;; [unrolled: 1-line block ×5, first 2 shown]
	v_sub_nc_u32_e32 v36, v39, v38
	v_cmp_le_u32_e64 s3, v37, v34
	s_delay_alu instid0(VALU_DEP_2)
	v_cmp_le_u32_e64 s4, v36, v35
	s_or_b32 s3, s3, s4
	s_wait_alu 0xfffe
	s_and_saveexec_b32 s12, s3
	s_cbranch_execz .LBB418_44
; %bb.39:
	v_cmp_lt_u32_e64 s3, v37, v34
                                        ; implicit-def: $vgpr25
	s_and_saveexec_b32 s4, s3
; %bb.40:
	v_add_nc_u32_e32 v4, v11, v37
	ds_load_u8 v25, v4
; %bb.41:
	s_wait_alu 0xfffe
	s_or_b32 exec_lo, exec_lo, s4
	v_cmp_ge_u32_e64 s4, v36, v35
	s_mov_b32 s6, exec_lo
                                        ; implicit-def: $vgpr26
	v_cmpx_lt_u32_e64 v36, v35
; %bb.42:
	v_add_nc_u32_e32 v4, v11, v36
	ds_load_u8 v26, v4
; %bb.43:
	s_wait_alu 0xfffe
	s_or_b32 exec_lo, exec_lo, s6
	s_wait_dscnt 0x0
	v_and_b32_e32 v4, v26, v29
	v_and_b32_e32 v5, v25, v29
	s_delay_alu instid0(VALU_DEP_2) | instskip(NEXT) | instid1(VALU_DEP_2)
	v_bfe_i32 v4, v4, 0, 8
	v_bfe_i32 v5, v5, 0, 8
	s_delay_alu instid0(VALU_DEP_1)
	v_cmp_le_i16_e64 s5, v5, v4
	s_and_b32 s3, s3, s5
	s_wait_alu 0xfffe
	s_or_b32 s3, s4, s3
	s_wait_alu 0xfffe
	v_cndmask_b32_e64 v4, v36, v37, s3
	v_cndmask_b32_e64 v5, v35, v34, s3
	s_delay_alu instid0(VALU_DEP_2) | instskip(NEXT) | instid1(VALU_DEP_2)
	v_add_nc_u32_e32 v14, 1, v4
	v_add_nc_u32_e32 v5, -1, v5
	v_lshl_add_u32 v4, v4, 3, v9
	s_delay_alu instid0(VALU_DEP_3) | instskip(NEXT) | instid1(VALU_DEP_3)
	v_cndmask_b32_e64 v16, v37, v14, s3
	v_min_u32_e32 v5, v14, v5
	v_cndmask_b32_e64 v14, v14, v36, s3
	s_delay_alu instid0(VALU_DEP_3) | instskip(NEXT) | instid1(VALU_DEP_3)
	v_cmp_lt_u32_e64 s4, v16, v34
	v_add_nc_u32_e32 v5, v11, v5
	s_delay_alu instid0(VALU_DEP_3)
	v_cmp_ge_u32_e64 s6, v14, v35
	ds_load_u8 v5, v5
	s_wait_dscnt 0x0
	v_cndmask_b32_e64 v27, v5, v26, s3
	v_cndmask_b32_e64 v28, v25, v5, s3
	;; [unrolled: 1-line block ×3, first 2 shown]
	s_delay_alu instid0(VALU_DEP_3) | instskip(NEXT) | instid1(VALU_DEP_3)
	v_and_b32_e32 v5, v27, v29
	v_and_b32_e32 v15, v28, v29
	s_delay_alu instid0(VALU_DEP_2) | instskip(NEXT) | instid1(VALU_DEP_2)
	v_bfe_i32 v5, v5, 0, 8
	v_bfe_i32 v15, v15, 0, 8
	s_delay_alu instid0(VALU_DEP_1)
	v_cmp_le_i16_e64 s5, v15, v5
	s_and_b32 s4, s4, s5
	s_wait_alu 0xfffe
	s_or_b32 s4, s6, s4
	s_wait_alu 0xfffe
	v_cndmask_b32_e64 v5, v14, v16, s4
	v_cndmask_b32_e64 v15, v35, v34, s4
	v_cndmask_b32_e64 v26, v27, v28, s4
	s_delay_alu instid0(VALU_DEP_3) | instskip(NEXT) | instid1(VALU_DEP_3)
	v_add_nc_u32_e32 v17, 1, v5
	v_add_nc_u32_e32 v15, -1, v15
	s_delay_alu instid0(VALU_DEP_2) | instskip(NEXT) | instid1(VALU_DEP_2)
	v_cndmask_b32_e64 v16, v16, v17, s4
	v_min_u32_e32 v15, v17, v15
	v_cndmask_b32_e64 v14, v17, v14, s4
	s_delay_alu instid0(VALU_DEP_3) | instskip(NEXT) | instid1(VALU_DEP_3)
	v_cmp_lt_u32_e64 s5, v16, v34
	v_add_nc_u32_e32 v15, v11, v15
	s_delay_alu instid0(VALU_DEP_3) | instskip(SKIP_4) | instid1(VALU_DEP_2)
	v_cmp_ge_u32_e64 s7, v14, v35
	ds_load_u8 v15, v15
	s_wait_dscnt 0x0
	v_cndmask_b32_e64 v36, v15, v27, s4
	v_cndmask_b32_e64 v37, v28, v15, s4
	v_and_b32_e32 v15, v36, v29
	s_delay_alu instid0(VALU_DEP_2) | instskip(NEXT) | instid1(VALU_DEP_2)
	v_and_b32_e32 v18, v37, v29
	v_bfe_i32 v15, v15, 0, 8
	s_delay_alu instid0(VALU_DEP_2) | instskip(NEXT) | instid1(VALU_DEP_1)
	v_bfe_i32 v18, v18, 0, 8
	v_cmp_le_i16_e64 s6, v18, v15
	s_and_b32 s5, s5, s6
	s_wait_alu 0xfffe
	s_or_b32 s5, s7, s5
	s_wait_alu 0xfffe
	v_cndmask_b32_e64 v15, v14, v16, s5
	v_cndmask_b32_e64 v17, v35, v34, s5
	;; [unrolled: 1-line block ×3, first 2 shown]
	s_delay_alu instid0(VALU_DEP_3) | instskip(NEXT) | instid1(VALU_DEP_3)
	v_add_nc_u32_e32 v18, 1, v15
	v_add_nc_u32_e32 v17, -1, v17
	s_delay_alu instid0(VALU_DEP_2) | instskip(NEXT) | instid1(VALU_DEP_2)
	v_cndmask_b32_e64 v16, v16, v18, s5
	v_min_u32_e32 v17, v18, v17
	v_cndmask_b32_e64 v14, v18, v14, s5
	s_delay_alu instid0(VALU_DEP_3) | instskip(NEXT) | instid1(VALU_DEP_3)
	v_cmp_lt_u32_e64 s6, v16, v34
	v_add_nc_u32_e32 v17, v11, v17
	s_delay_alu instid0(VALU_DEP_3) | instskip(SKIP_4) | instid1(VALU_DEP_2)
	v_cmp_ge_u32_e64 s10, v14, v35
	ds_load_u8 v17, v17
	s_wait_dscnt 0x0
	v_cndmask_b32_e64 v38, v17, v36, s5
	v_cndmask_b32_e64 v39, v37, v17, s5
	v_and_b32_e32 v17, v38, v29
	s_delay_alu instid0(VALU_DEP_2) | instskip(NEXT) | instid1(VALU_DEP_2)
	v_and_b32_e32 v19, v39, v29
	v_bfe_i32 v17, v17, 0, 8
	s_delay_alu instid0(VALU_DEP_2) | instskip(NEXT) | instid1(VALU_DEP_1)
	v_bfe_i32 v19, v19, 0, 8
	v_cmp_le_i16_e64 s7, v19, v17
	v_lshl_add_u32 v17, v15, 3, v9
	s_and_b32 s6, s6, s7
	s_wait_alu 0xfffe
	s_or_b32 s6, s10, s6
	s_wait_alu 0xfffe
	v_cndmask_b32_e64 v14, v14, v16, s6
	v_lshl_add_u32 v16, v5, 3, v9
	v_cndmask_b32_e64 v27, v38, v39, s6
	s_delay_alu instid0(VALU_DEP_3)
	v_lshl_add_u32 v34, v14, 3, v9
	ds_load_b64 v[4:5], v4 offset:1024
	ds_load_b64 v[14:15], v16 offset:1024
	ds_load_b64 v[18:19], v17 offset:1024
	ds_load_b64 v[16:17], v34 offset:1024
.LBB418_44:
	s_wait_alu 0xfffe
	s_or_b32 exec_lo, exec_lo, s12
	v_and_b32_e32 v35, 0x60, v24
	; wave barrier
	ds_store_b8 v10, v25
	s_wait_dscnt 0x4
	ds_store_b64 v30, v[4:5]
	s_mov_b32 s4, exec_lo
	v_or_b32_e32 v24, 16, v35
	ds_store_b8 v33, v26
	s_wait_dscnt 0x5
	ds_store_b64 v21, v[14:15]
	ds_store_b8 v32, v28
	s_wait_dscnt 0x6
	ds_store_b64 v13, v[18:19]
	;; [unrolled: 3-line block ×3, first 2 shown]
	; wave barrier
	v_min_u32_e32 v24, v20, v24
	s_delay_alu instid0(VALU_DEP_1) | instskip(SKIP_1) | instid1(VALU_DEP_2)
	v_add_nc_u32_e32 v34, 16, v24
	v_sub_nc_u32_e32 v37, v24, v35
	v_min_u32_e32 v34, v20, v34
	v_min_u32_e32 v20, v20, v22
	s_delay_alu instid0(VALU_DEP_2) | instskip(NEXT) | instid1(VALU_DEP_2)
	v_sub_nc_u32_e32 v36, v34, v24
	v_min_u32_e32 v30, v20, v37
	s_delay_alu instid0(VALU_DEP_2) | instskip(NEXT) | instid1(VALU_DEP_1)
	v_sub_nc_u32_e64 v10, v20, v36 clamp
	v_cmpx_lt_u32_e64 v10, v30
	s_cbranch_execz .LBB418_48
; %bb.45:
	v_add_co_u32 v12, null, v11, v35
	v_add_co_u32 v13, null, v11, v24
	s_mov_b32 s5, 0
.LBB418_46:                             ; =>This Inner Loop Header: Depth=1
	v_add_nc_u32_e32 v21, v30, v10
	s_delay_alu instid0(VALU_DEP_1) | instskip(NEXT) | instid1(VALU_DEP_1)
	v_lshrrev_b32_e32 v21, 1, v21
	v_not_b32_e32 v31, v21
	v_add_nc_u32_e32 v32, v12, v21
	v_add_nc_u32_e32 v33, 1, v21
	s_delay_alu instid0(VALU_DEP_3)
	v_add3_u32 v31, v20, v31, v13
	ds_load_u8 v32, v32
	ds_load_u8 v31, v31
	s_wait_dscnt 0x1
	v_and_b32_e32 v32, v32, v29
	s_wait_dscnt 0x0
	v_and_b32_e32 v31, v31, v29
	s_delay_alu instid0(VALU_DEP_2) | instskip(NEXT) | instid1(VALU_DEP_2)
	v_bfe_i32 v32, v32, 0, 8
	v_bfe_i32 v31, v31, 0, 8
	s_delay_alu instid0(VALU_DEP_1) | instskip(SKIP_1) | instid1(VALU_DEP_1)
	v_cmp_gt_i16_e64 s3, v32, v31
	s_wait_alu 0xf1ff
	v_cndmask_b32_e64 v30, v30, v21, s3
	v_cndmask_b32_e64 v10, v33, v10, s3
	s_delay_alu instid0(VALU_DEP_1)
	v_cmp_ge_u32_e64 s3, v10, v30
	s_wait_alu 0xfffe
	s_or_b32 s5, s3, s5
	s_wait_alu 0xfffe
	s_and_not1_b32 exec_lo, exec_lo, s5
	s_cbranch_execnz .LBB418_46
; %bb.47:
	s_or_b32 exec_lo, exec_lo, s5
.LBB418_48:
	s_wait_alu 0xfffe
	s_or_b32 exec_lo, exec_lo, s4
	v_add_nc_u32_e32 v12, v24, v20
	v_add_nc_u32_e32 v20, v10, v35
	s_delay_alu instid0(VALU_DEP_2) | instskip(NEXT) | instid1(VALU_DEP_2)
	v_sub_nc_u32_e32 v13, v12, v10
	v_cmp_le_u32_e64 s3, v20, v24
	s_delay_alu instid0(VALU_DEP_2)
	v_cmp_le_u32_e64 s4, v13, v34
	s_or_b32 s3, s3, s4
	s_wait_alu 0xfffe
	s_and_saveexec_b32 s12, s3
	s_cbranch_execz .LBB418_54
; %bb.49:
	v_cmp_lt_u32_e64 s3, v20, v24
                                        ; implicit-def: $vgpr10
	s_and_saveexec_b32 s4, s3
; %bb.50:
	v_add_nc_u32_e32 v4, v11, v20
	ds_load_u8 v10, v4
; %bb.51:
	s_wait_alu 0xfffe
	s_or_b32 exec_lo, exec_lo, s4
	v_cmp_ge_u32_e64 s4, v13, v34
	s_mov_b32 s6, exec_lo
                                        ; implicit-def: $vgpr12
	v_cmpx_lt_u32_e64 v13, v34
; %bb.52:
	v_add_nc_u32_e32 v4, v11, v13
	ds_load_u8 v12, v4
; %bb.53:
	s_wait_alu 0xfffe
	s_or_b32 exec_lo, exec_lo, s6
	s_wait_dscnt 0x0
	v_and_b32_e32 v4, v12, v29
	v_and_b32_e32 v5, v10, v29
	s_delay_alu instid0(VALU_DEP_2) | instskip(NEXT) | instid1(VALU_DEP_2)
	v_bfe_i32 v4, v4, 0, 8
	v_bfe_i32 v5, v5, 0, 8
	s_delay_alu instid0(VALU_DEP_1)
	v_cmp_le_i16_e64 s5, v5, v4
	s_and_b32 s3, s3, s5
	s_wait_alu 0xfffe
	s_or_b32 s3, s4, s3
	s_wait_alu 0xfffe
	v_cndmask_b32_e64 v4, v13, v20, s3
	v_cndmask_b32_e64 v5, v34, v24, s3
	;; [unrolled: 1-line block ×3, first 2 shown]
	s_delay_alu instid0(VALU_DEP_3) | instskip(NEXT) | instid1(VALU_DEP_3)
	v_add_nc_u32_e32 v14, 1, v4
	v_add_nc_u32_e32 v5, -1, v5
	v_lshl_add_u32 v4, v4, 3, v9
	s_delay_alu instid0(VALU_DEP_3) | instskip(NEXT) | instid1(VALU_DEP_3)
	v_cndmask_b32_e64 v16, v20, v14, s3
	v_min_u32_e32 v5, v14, v5
	v_cndmask_b32_e64 v13, v14, v13, s3
	s_delay_alu instid0(VALU_DEP_3) | instskip(NEXT) | instid1(VALU_DEP_3)
	v_cmp_lt_u32_e64 s4, v16, v24
	v_add_nc_u32_e32 v5, v11, v5
	s_delay_alu instid0(VALU_DEP_3) | instskip(SKIP_4) | instid1(VALU_DEP_2)
	v_cmp_ge_u32_e64 s6, v13, v34
	ds_load_u8 v5, v5
	s_wait_dscnt 0x0
	v_cndmask_b32_e64 v21, v5, v12, s3
	v_cndmask_b32_e64 v26, v10, v5, s3
	v_and_b32_e32 v5, v21, v29
	s_delay_alu instid0(VALU_DEP_2) | instskip(NEXT) | instid1(VALU_DEP_2)
	v_and_b32_e32 v15, v26, v29
	v_bfe_i32 v5, v5, 0, 8
	s_delay_alu instid0(VALU_DEP_2) | instskip(NEXT) | instid1(VALU_DEP_1)
	v_bfe_i32 v15, v15, 0, 8
	v_cmp_le_i16_e64 s5, v15, v5
	s_and_b32 s4, s4, s5
	s_wait_alu 0xfffe
	s_or_b32 s4, s6, s4
	s_wait_alu 0xfffe
	v_cndmask_b32_e64 v5, v13, v16, s4
	v_cndmask_b32_e64 v14, v34, v24, s4
	s_delay_alu instid0(VALU_DEP_2) | instskip(NEXT) | instid1(VALU_DEP_2)
	v_add_nc_u32_e32 v15, 1, v5
	v_add_nc_u32_e32 v14, -1, v14
	s_delay_alu instid0(VALU_DEP_2) | instskip(NEXT) | instid1(VALU_DEP_2)
	v_cndmask_b32_e64 v16, v16, v15, s4
	v_min_u32_e32 v14, v15, v14
	v_cndmask_b32_e64 v13, v15, v13, s4
	s_delay_alu instid0(VALU_DEP_3) | instskip(NEXT) | instid1(VALU_DEP_3)
	v_cmp_lt_u32_e64 s5, v16, v24
	v_add_nc_u32_e32 v14, v11, v14
	s_delay_alu instid0(VALU_DEP_3)
	v_cmp_ge_u32_e64 s7, v13, v34
	ds_load_u8 v14, v14
	s_wait_dscnt 0x0
	v_cndmask_b32_e64 v20, v14, v21, s4
	v_cndmask_b32_e64 v27, v26, v14, s4
	;; [unrolled: 1-line block ×3, first 2 shown]
	s_delay_alu instid0(VALU_DEP_3) | instskip(NEXT) | instid1(VALU_DEP_3)
	v_and_b32_e32 v14, v20, v29
	v_and_b32_e32 v17, v27, v29
	s_delay_alu instid0(VALU_DEP_2) | instskip(NEXT) | instid1(VALU_DEP_2)
	v_bfe_i32 v14, v14, 0, 8
	v_bfe_i32 v17, v17, 0, 8
	s_delay_alu instid0(VALU_DEP_1)
	v_cmp_le_i16_e64 s6, v17, v14
	s_and_b32 s5, s5, s6
	s_wait_alu 0xfffe
	s_or_b32 s5, s7, s5
	s_wait_alu 0xfffe
	v_cndmask_b32_e64 v14, v13, v16, s5
	v_cndmask_b32_e64 v15, v34, v24, s5
	;; [unrolled: 1-line block ×3, first 2 shown]
	s_delay_alu instid0(VALU_DEP_3) | instskip(NEXT) | instid1(VALU_DEP_3)
	v_add_nc_u32_e32 v17, 1, v14
	v_add_nc_u32_e32 v15, -1, v15
	s_delay_alu instid0(VALU_DEP_2) | instskip(NEXT) | instid1(VALU_DEP_2)
	v_cndmask_b32_e64 v16, v16, v17, s5
	v_min_u32_e32 v15, v17, v15
	v_cndmask_b32_e64 v13, v17, v13, s5
	s_delay_alu instid0(VALU_DEP_3) | instskip(NEXT) | instid1(VALU_DEP_3)
	v_cmp_lt_u32_e64 s6, v16, v24
	v_add_nc_u32_e32 v11, v11, v15
	s_delay_alu instid0(VALU_DEP_3) | instskip(SKIP_4) | instid1(VALU_DEP_2)
	v_cmp_ge_u32_e64 s10, v13, v34
	ds_load_u8 v11, v11
	s_wait_dscnt 0x0
	v_cndmask_b32_e64 v30, v11, v20, s5
	v_cndmask_b32_e64 v11, v27, v11, s5
	v_and_b32_e32 v15, v30, v29
	s_delay_alu instid0(VALU_DEP_2) | instskip(NEXT) | instid1(VALU_DEP_2)
	v_and_b32_e32 v18, v11, v29
	v_bfe_i32 v15, v15, 0, 8
	s_delay_alu instid0(VALU_DEP_2) | instskip(NEXT) | instid1(VALU_DEP_1)
	v_bfe_i32 v18, v18, 0, 8
	v_cmp_le_i16_e64 s7, v18, v15
	v_lshl_add_u32 v15, v5, 3, v9
	s_and_b32 s6, s6, s7
	s_wait_alu 0xfffe
	s_or_b32 s6, s10, s6
	s_wait_alu 0xfffe
	v_cndmask_b32_e64 v13, v13, v16, s6
	v_lshl_add_u32 v16, v14, 3, v9
	v_cndmask_b32_e64 v27, v30, v11, s6
	s_delay_alu instid0(VALU_DEP_3)
	v_lshl_add_u32 v9, v13, 3, v9
	ds_load_b64 v[4:5], v4 offset:1024
	ds_load_b64 v[14:15], v15 offset:1024
	;; [unrolled: 1-line block ×4, first 2 shown]
.LBB418_54:
	s_wait_alu 0xfffe
	s_or_b32 exec_lo, exec_lo, s12
	; wave barrier
	s_wait_storecnt_dscnt 0x0
	s_barrier_signal -1
	s_barrier_wait -1
                                        ; implicit-def: $vgpr24
                                        ; implicit-def: $vgpr12
                                        ; implicit-def: $vgpr13
                                        ; implicit-def: $vgpr20
                                        ; implicit-def: $vgpr21
                                        ; implicit-def: $vgpr9
.LBB418_55:
	s_wait_alu 0xfffe
	s_and_not1_saveexec_b32 s10, s11
	s_cbranch_execz .LBB418_97
; %bb.56:
	s_load_b64 s[4:5], s[8:9], 0x0
	s_and_b32 s3, ttmp7, 0xffff
	s_mov_b32 s7, 0
	s_wait_kmcnt 0x0
	s_wait_alu 0xfffe
	s_cmp_lt_u32 s3, s5
	s_cselect_b32 s6, 14, 20
	s_cmp_lt_u32 ttmp9, s4
	s_wait_alu 0xfffe
	s_add_nc_u64 s[12:13], s[8:9], s[6:7]
	s_cselect_b32 s6, 12, 18
	s_load_u16 s3, s[12:13], 0x0
	s_add_nc_u64 s[4:5], s[8:9], s[6:7]
	s_mov_b32 s6, exec_lo
	s_load_u16 s4, s[4:5], 0x0
	s_wait_kmcnt 0x0
	v_mad_u32_u24 v10, v21, s3, v20
	s_delay_alu instid0(VALU_DEP_1) | instskip(NEXT) | instid1(VALU_DEP_1)
	v_mul_lo_u32 v10, v10, s4
	v_add_lshl_u32 v11, v10, v9, 2
	s_delay_alu instid0(VALU_DEP_1)
	v_cmpx_gt_u32_e32 0x400, v11
	s_cbranch_execz .LBB418_66
; %bb.57:
	s_wait_loadcnt_dscnt 0x0
	v_perm_b32 v9, v28, v27, 0xc0c0004
	v_perm_b32 v10, v26, v25, 0xc0c0004
	;; [unrolled: 1-line block ×3, first 2 shown]
	v_bfe_i32 v21, v25, 0, 8
	v_bfe_i32 v25, v26, 0, 8
	v_lshlrev_b32_e32 v9, 16, v9
	s_mov_b32 s5, exec_lo
	s_delay_alu instid0(VALU_DEP_2) | instskip(NEXT) | instid1(VALU_DEP_2)
	v_cmp_gt_i16_e64 s3, v21, v25
	v_or_b32_e32 v10, v10, v9
	v_or_b32_e32 v9, v20, v9
	s_wait_alu 0xf1ff
	s_delay_alu instid0(VALU_DEP_1) | instskip(SKIP_1) | instid1(VALU_DEP_2)
	v_cndmask_b32_e64 v25, v9, v10, s3
	v_dual_mov_b32 v9, v18 :: v_dual_mov_b32 v10, v19
	v_lshrrev_b32_e32 v26, 24, v25
	v_lshrrev_b32_e32 v28, 16, v25
	;; [unrolled: 1-line block ×3, first 2 shown]
	s_delay_alu instid0(VALU_DEP_3) | instskip(NEXT) | instid1(VALU_DEP_3)
	v_bfe_i32 v20, v26, 0, 8
	v_bfe_i32 v29, v28, 0, 8
	s_delay_alu instid0(VALU_DEP_1)
	v_cmpx_gt_i16_e64 v29, v20
; %bb.58:
	v_mov_b32_e32 v9, v16
	v_dual_mov_b32 v21, v28 :: v_dual_mov_b32 v10, v17
	v_mov_b32_e32 v16, v18
	v_swap_b32 v28, v26
	v_mov_b32_e32 v17, v19
	v_mov_b32_e32 v29, v20
; %bb.59:
	s_wait_alu 0xfffe
	s_or_b32 exec_lo, exec_lo, s5
	v_cndmask_b32_e64 v21, v15, v5, s3
	v_bfe_i32 v30, v27, 0, 8
	v_cndmask_b32_e64 v20, v14, v4, s3
	s_delay_alu instid0(VALU_DEP_2) | instskip(NEXT) | instid1(VALU_DEP_2)
	v_cmp_gt_i16_e64 s4, v30, v29
	v_dual_mov_b32 v18, v20 :: v_dual_mov_b32 v19, v21
	s_and_saveexec_b32 s5, s4
	s_wait_alu 0xfffe
	s_xor_b32 s4, exec_lo, s5
; %bb.60:
	v_dual_mov_b32 v28, v27 :: v_dual_mov_b32 v19, v10
	v_dual_mov_b32 v18, v9 :: v_dual_mov_b32 v9, v20
	;; [unrolled: 1-line block ×3, first 2 shown]
	v_mov_b32_e32 v30, v29
; %bb.61:
	s_wait_alu 0xfffe
	s_or_b32 exec_lo, exec_lo, s4
	v_perm_b32 v20, v28, v26, 0xc0c0004
	s_delay_alu instid0(VALU_DEP_2) | instskip(SKIP_4) | instid1(VALU_DEP_2)
	v_perm_b32 v21, v30, v25, 0xc0c0004
	v_perm_b32 v26, v25, v27, 0xc0c0004
	v_bfe_i32 v25, v25, 0, 8
	s_mov_b32 s7, exec_lo
	v_lshlrev_b32_e32 v20, 16, v20
	v_cmp_gt_i16_e64 s4, v25, v30
	s_delay_alu instid0(VALU_DEP_2) | instskip(SKIP_2) | instid1(VALU_DEP_1)
	v_or_b32_e32 v21, v21, v20
	v_or_b32_e32 v20, v26, v20
	s_wait_alu 0xf1ff
	v_cndmask_b32_e64 v25, v20, v21, s4
	v_dual_mov_b32 v21, v10 :: v_dual_mov_b32 v20, v9
	s_delay_alu instid0(VALU_DEP_2) | instskip(SKIP_2) | instid1(VALU_DEP_3)
	v_lshrrev_b32_e32 v27, 24, v25
	v_lshrrev_b32_e32 v28, 16, v25
	;; [unrolled: 1-line block ×3, first 2 shown]
	v_bfe_i32 v30, v27, 0, 8
	s_delay_alu instid0(VALU_DEP_3) | instskip(NEXT) | instid1(VALU_DEP_1)
	v_bfe_i32 v29, v28, 0, 8
	v_cmpx_gt_i16_e64 v29, v30
; %bb.62:
	v_mov_b32_e32 v21, v17
	v_dual_mov_b32 v29, v28 :: v_dual_mov_b32 v20, v16
	v_mov_b32_e32 v17, v10
	v_swap_b32 v28, v27
	v_dual_mov_b32 v16, v9 :: v_dual_mov_b32 v29, v30
; %bb.63:
	s_wait_alu 0xfffe
	s_or_b32 exec_lo, exec_lo, s7
	v_cndmask_b32_e64 v9, v5, v15, s3
	v_cndmask_b32_e64 v10, v4, v14, s3
	v_bfe_i32 v30, v26, 0, 8
	s_delay_alu instid0(VALU_DEP_3) | instskip(NEXT) | instid1(VALU_DEP_3)
	v_cndmask_b32_e64 v5, v9, v19, s4
	v_cndmask_b32_e64 v4, v10, v18, s4
	;; [unrolled: 1-line block ×4, first 2 shown]
	v_dual_mov_b32 v18, v20 :: v_dual_mov_b32 v19, v21
	s_mov_b32 s4, exec_lo
	v_cmpx_gt_i16_e64 v30, v29
; %bb.64:
	v_dual_mov_b32 v28, v26 :: v_dual_mov_b32 v19, v15
	v_mov_b32_e32 v18, v14
	v_mov_b32_e32 v14, v20
	v_dual_mov_b32 v26, v29 :: v_dual_mov_b32 v15, v21
; %bb.65:
	s_wait_alu 0xfffe
	s_or_b32 exec_lo, exec_lo, s4
.LBB418_66:
	s_delay_alu instid0(SALU_CYCLE_1)
	s_or_b32 exec_lo, exec_lo, s6
	v_and_b32_e32 v9, 0xffffff80, v11
	v_or_b32_e32 v10, 4, v24
	v_and_b32_e32 v32, 0x78, v24
	s_wait_loadcnt_dscnt 0x0
	v_perm_b32 v21, v25, v26, 0xc0c0004
	v_perm_b32 v29, v28, v27, 0xc0c0004
	v_sub_nc_u32_e64 v20, 0x400, v9 clamp
	v_add_co_u32 v11, s3, v12, v9
	s_wait_alu 0xf1ff
	v_add_co_ci_u32_e64 v12, null, 0, v13, s3
	s_delay_alu instid0(VALU_DEP_3) | instskip(SKIP_3) | instid1(VALU_DEP_3)
	v_min_u32_e32 v30, v20, v10
	v_and_b32_e32 v13, 4, v24
	v_lshl_or_b32 v21, v29, 16, v21
	s_mov_b32 s4, exec_lo
	v_add_nc_u32_e32 v10, 4, v30
	s_delay_alu instid0(VALU_DEP_3) | instskip(SKIP_1) | instid1(VALU_DEP_3)
	v_min_u32_e32 v33, v20, v13
	v_sub_nc_u32_e32 v35, v30, v32
	v_min_u32_e32 v31, v20, v10
	v_mad_co_u64_u32 v[9:10], null, v9, 7, v[11:12]
	v_add_co_u32 v10, null, v11, v24
	s_delay_alu instid0(VALU_DEP_3) | instskip(NEXT) | instid1(VALU_DEP_3)
	v_sub_nc_u32_e32 v13, v31, v30
	v_lshl_add_u32 v12, v24, 3, v9
	s_delay_alu instid0(VALU_DEP_2)
	v_sub_nc_u32_e64 v34, v33, v13 clamp
	v_min_u32_e32 v13, v33, v35
	ds_store_2addr_b64 v12, v[4:5], v[14:15] offset0:128 offset1:129
	ds_store_b64 v12, v[18:19] offset:1040
	ds_store_b32 v10, v21
	ds_store_b64 v12, v[16:17] offset:1048
	; wave barrier
	v_cmpx_lt_u32_e64 v34, v13
	s_cbranch_execz .LBB418_70
; %bb.67:
	v_add_co_u32 v21, null, v11, v32
	v_add_co_u32 v29, null, v11, v30
	s_mov_b32 s5, 0
.LBB418_68:                             ; =>This Inner Loop Header: Depth=1
	v_add_nc_u32_e32 v35, v13, v34
	s_delay_alu instid0(VALU_DEP_1) | instskip(NEXT) | instid1(VALU_DEP_1)
	v_lshrrev_b32_e32 v35, 1, v35
	v_not_b32_e32 v36, v35
	v_add_nc_u32_e32 v37, v21, v35
	v_add_nc_u32_e32 v38, 1, v35
	s_delay_alu instid0(VALU_DEP_3)
	v_add3_u32 v36, v33, v36, v29
	ds_load_i8 v37, v37
	ds_load_i8 v36, v36
	s_wait_dscnt 0x0
	v_cmp_gt_i16_e64 s3, v37, v36
	s_wait_alu 0xf1ff
	s_delay_alu instid0(VALU_DEP_1) | instskip(SKIP_1) | instid1(VALU_DEP_1)
	v_cndmask_b32_e64 v13, v13, v35, s3
	v_cndmask_b32_e64 v34, v38, v34, s3
	v_cmp_ge_u32_e64 s3, v34, v13
	s_wait_alu 0xfffe
	s_or_b32 s5, s3, s5
	s_wait_alu 0xfffe
	s_and_not1_b32 exec_lo, exec_lo, s5
	s_cbranch_execnz .LBB418_68
; %bb.69:
	s_or_b32 exec_lo, exec_lo, s5
.LBB418_70:
	s_wait_alu 0xfffe
	s_or_b32 exec_lo, exec_lo, s4
	v_add_nc_u32_e32 v35, v30, v33
	v_add_nc_u32_e32 v33, v34, v32
	;; [unrolled: 1-line block ×5, first 2 shown]
	v_sub_nc_u32_e32 v32, v35, v34
	v_cmp_le_u32_e64 s3, v33, v30
	v_add_nc_u32_e32 v12, 0x418, v12
	s_delay_alu instid0(VALU_DEP_3)
	v_cmp_le_u32_e64 s4, v32, v31
	s_or_b32 s3, s3, s4
	s_wait_alu 0xfffe
	s_and_saveexec_b32 s9, s3
	s_cbranch_execz .LBB418_76
; %bb.71:
	v_cmp_lt_u32_e64 s3, v33, v30
                                        ; implicit-def: $vgpr25
	s_and_saveexec_b32 s4, s3
; %bb.72:
	v_add_nc_u32_e32 v4, v11, v33
	ds_load_u8 v25, v4
; %bb.73:
	s_wait_alu 0xfffe
	s_or_b32 exec_lo, exec_lo, s4
	v_cmp_ge_u32_e64 s4, v32, v31
	s_mov_b32 s6, exec_lo
                                        ; implicit-def: $vgpr26
	v_cmpx_lt_u32_e64 v32, v31
; %bb.74:
	v_add_nc_u32_e32 v4, v11, v32
	ds_load_u8 v26, v4
; %bb.75:
	s_wait_alu 0xfffe
	s_or_b32 exec_lo, exec_lo, s6
	s_wait_dscnt 0x0
	v_bfe_i32 v4, v26, 0, 8
	v_bfe_i32 v5, v25, 0, 8
	s_delay_alu instid0(VALU_DEP_1)
	v_cmp_le_i16_e64 s5, v5, v4
	s_and_b32 s3, s3, s5
	s_wait_alu 0xfffe
	s_or_b32 s3, s4, s3
	s_wait_alu 0xfffe
	v_cndmask_b32_e64 v4, v32, v33, s3
	v_cndmask_b32_e64 v5, v31, v30, s3
	s_delay_alu instid0(VALU_DEP_2) | instskip(NEXT) | instid1(VALU_DEP_2)
	v_add_nc_u32_e32 v14, 1, v4
	v_add_nc_u32_e32 v5, -1, v5
	v_lshl_add_u32 v4, v4, 3, v9
	s_delay_alu instid0(VALU_DEP_2) | instskip(NEXT) | instid1(VALU_DEP_1)
	v_min_u32_e32 v5, v14, v5
	v_add_nc_u32_e32 v5, v11, v5
	ds_load_u8 v5, v5
	s_wait_dscnt 0x0
	v_cndmask_b32_e64 v27, v5, v26, s3
	v_cndmask_b32_e64 v28, v25, v5, s3
	;; [unrolled: 1-line block ×5, first 2 shown]
	v_bfe_i32 v15, v27, 0, 8
	v_bfe_i32 v16, v28, 0, 8
	v_cmp_lt_u32_e64 s4, v5, v30
	v_cmp_ge_u32_e64 s6, v14, v31
	s_delay_alu instid0(VALU_DEP_3)
	v_cmp_le_i16_e64 s5, v16, v15
	s_and_b32 s4, s4, s5
	s_wait_alu 0xfffe
	s_or_b32 s4, s6, s4
	s_wait_alu 0xfffe
	v_cndmask_b32_e64 v15, v14, v5, s4
	v_cndmask_b32_e64 v16, v31, v30, s4
	;; [unrolled: 1-line block ×3, first 2 shown]
	s_delay_alu instid0(VALU_DEP_3) | instskip(NEXT) | instid1(VALU_DEP_3)
	v_add_nc_u32_e32 v17, 1, v15
	v_add_nc_u32_e32 v16, -1, v16
	s_delay_alu instid0(VALU_DEP_2) | instskip(NEXT) | instid1(VALU_DEP_2)
	v_cndmask_b32_e64 v5, v5, v17, s4
	v_min_u32_e32 v16, v17, v16
	v_cndmask_b32_e64 v14, v17, v14, s4
	s_delay_alu instid0(VALU_DEP_3) | instskip(NEXT) | instid1(VALU_DEP_3)
	v_cmp_lt_u32_e64 s5, v5, v30
	v_add_nc_u32_e32 v16, v11, v16
	s_delay_alu instid0(VALU_DEP_3) | instskip(SKIP_4) | instid1(VALU_DEP_2)
	v_cmp_ge_u32_e64 s7, v14, v31
	ds_load_u8 v16, v16
	s_wait_dscnt 0x0
	v_cndmask_b32_e64 v32, v16, v27, s4
	v_cndmask_b32_e64 v33, v28, v16, s4
	v_bfe_i32 v16, v32, 0, 8
	s_delay_alu instid0(VALU_DEP_2) | instskip(NEXT) | instid1(VALU_DEP_1)
	v_bfe_i32 v18, v33, 0, 8
	v_cmp_le_i16_e64 s6, v18, v16
	s_and_b32 s5, s5, s6
	s_wait_alu 0xfffe
	s_or_b32 s5, s7, s5
	s_wait_alu 0xfffe
	v_cndmask_b32_e64 v16, v14, v5, s5
	v_cndmask_b32_e64 v17, v31, v30, s5
	;; [unrolled: 1-line block ×3, first 2 shown]
	s_delay_alu instid0(VALU_DEP_3) | instskip(NEXT) | instid1(VALU_DEP_3)
	v_add_nc_u32_e32 v18, 1, v16
	v_add_nc_u32_e32 v17, -1, v17
	v_lshl_add_u32 v16, v16, 3, v9
	s_delay_alu instid0(VALU_DEP_3) | instskip(NEXT) | instid1(VALU_DEP_3)
	v_cndmask_b32_e64 v5, v5, v18, s5
	v_min_u32_e32 v17, v18, v17
	v_cndmask_b32_e64 v14, v18, v14, s5
	s_delay_alu instid0(VALU_DEP_3) | instskip(NEXT) | instid1(VALU_DEP_3)
	v_cmp_lt_u32_e64 s6, v5, v30
	v_add_nc_u32_e32 v17, v11, v17
	s_delay_alu instid0(VALU_DEP_3) | instskip(SKIP_4) | instid1(VALU_DEP_2)
	v_cmp_ge_u32_e64 s8, v14, v31
	ds_load_u8 v17, v17
	s_wait_dscnt 0x0
	v_cndmask_b32_e64 v34, v17, v32, s5
	v_cndmask_b32_e64 v35, v33, v17, s5
	v_bfe_i32 v17, v34, 0, 8
	s_delay_alu instid0(VALU_DEP_2) | instskip(NEXT) | instid1(VALU_DEP_1)
	v_bfe_i32 v19, v35, 0, 8
	v_cmp_le_i16_e64 s7, v19, v17
	s_and_b32 s6, s6, s7
	s_wait_alu 0xfffe
	s_or_b32 s6, s8, s6
	s_wait_alu 0xfffe
	v_cndmask_b32_e64 v5, v14, v5, s6
	v_lshl_add_u32 v14, v15, 3, v9
	v_cndmask_b32_e64 v27, v34, v35, s6
	s_delay_alu instid0(VALU_DEP_3)
	v_lshl_add_u32 v17, v5, 3, v9
	ds_load_b64 v[4:5], v4 offset:1024
	ds_load_b64 v[14:15], v14 offset:1024
	;; [unrolled: 1-line block ×4, first 2 shown]
.LBB418_76:
	s_wait_alu 0xfffe
	s_or_b32 exec_lo, exec_lo, s9
	v_and_b32_e32 v35, 0x70, v24
	v_and_b32_e32 v31, 12, v24
	s_mov_b32 s4, exec_lo
	; wave barrier
	s_delay_alu instid0(VALU_DEP_2) | instskip(NEXT) | instid1(VALU_DEP_2)
	v_or_b32_e32 v30, 8, v35
	v_min_u32_e32 v36, v20, v31
	ds_store_b8 v10, v25
	s_wait_dscnt 0x4
	ds_store_b64 v29, v[4:5]
	ds_store_b8 v10, v26 offset:1
	s_wait_dscnt 0x5
	ds_store_b64 v21, v[14:15]
	ds_store_b8 v10, v28 offset:2
	;; [unrolled: 3-line block ×3, first 2 shown]
	s_wait_dscnt 0x7
	ds_store_b64 v12, v[16:17]
	v_min_u32_e32 v33, v20, v30
	; wave barrier
	s_delay_alu instid0(VALU_DEP_1) | instskip(SKIP_1) | instid1(VALU_DEP_2)
	v_add_nc_u32_e32 v30, 8, v33
	v_sub_nc_u32_e32 v31, v33, v35
	v_min_u32_e32 v34, v20, v30
	s_delay_alu instid0(VALU_DEP_1) | instskip(NEXT) | instid1(VALU_DEP_1)
	v_sub_nc_u32_e32 v30, v34, v33
	v_sub_nc_u32_e64 v37, v36, v30 clamp
	s_delay_alu instid0(VALU_DEP_4) | instskip(NEXT) | instid1(VALU_DEP_1)
	v_min_u32_e32 v30, v36, v31
	v_cmpx_lt_u32_e64 v37, v30
	s_cbranch_execz .LBB418_80
; %bb.77:
	v_add_co_u32 v31, null, v11, v35
	v_add_co_u32 v32, null, v11, v33
	s_mov_b32 s5, 0
.LBB418_78:                             ; =>This Inner Loop Header: Depth=1
	v_add_nc_u32_e32 v38, v30, v37
	s_delay_alu instid0(VALU_DEP_1) | instskip(NEXT) | instid1(VALU_DEP_1)
	v_lshrrev_b32_e32 v38, 1, v38
	v_not_b32_e32 v39, v38
	v_add_nc_u32_e32 v48, v31, v38
	v_add_nc_u32_e32 v49, 1, v38
	s_delay_alu instid0(VALU_DEP_3)
	v_add3_u32 v39, v36, v39, v32
	ds_load_i8 v48, v48
	ds_load_i8 v39, v39
	s_wait_dscnt 0x0
	v_cmp_gt_i16_e64 s3, v48, v39
	s_wait_alu 0xf1ff
	s_delay_alu instid0(VALU_DEP_1) | instskip(SKIP_1) | instid1(VALU_DEP_1)
	v_cndmask_b32_e64 v30, v30, v38, s3
	v_cndmask_b32_e64 v37, v49, v37, s3
	v_cmp_ge_u32_e64 s3, v37, v30
	s_wait_alu 0xfffe
	s_or_b32 s5, s3, s5
	s_wait_alu 0xfffe
	s_and_not1_b32 exec_lo, exec_lo, s5
	s_cbranch_execnz .LBB418_78
; %bb.79:
	s_or_b32 exec_lo, exec_lo, s5
.LBB418_80:
	s_wait_alu 0xfffe
	s_or_b32 exec_lo, exec_lo, s4
	v_add_nc_u32_e32 v38, v33, v36
	v_add_nc_u32_e32 v36, v37, v35
	;; [unrolled: 1-line block ×5, first 2 shown]
	v_sub_nc_u32_e32 v35, v38, v37
	v_cmp_le_u32_e64 s3, v36, v33
	s_delay_alu instid0(VALU_DEP_2)
	v_cmp_le_u32_e64 s4, v35, v34
	s_or_b32 s3, s3, s4
	s_wait_alu 0xfffe
	s_and_saveexec_b32 s9, s3
	s_cbranch_execz .LBB418_86
; %bb.81:
	v_cmp_lt_u32_e64 s3, v36, v33
                                        ; implicit-def: $vgpr25
	s_and_saveexec_b32 s4, s3
; %bb.82:
	v_add_nc_u32_e32 v4, v11, v36
	ds_load_u8 v25, v4
; %bb.83:
	s_wait_alu 0xfffe
	s_or_b32 exec_lo, exec_lo, s4
	v_cmp_ge_u32_e64 s4, v35, v34
	s_mov_b32 s6, exec_lo
                                        ; implicit-def: $vgpr26
	v_cmpx_lt_u32_e64 v35, v34
; %bb.84:
	v_add_nc_u32_e32 v4, v11, v35
	ds_load_u8 v26, v4
; %bb.85:
	s_wait_alu 0xfffe
	s_or_b32 exec_lo, exec_lo, s6
	s_wait_dscnt 0x0
	v_bfe_i32 v4, v26, 0, 8
	v_bfe_i32 v5, v25, 0, 8
	s_delay_alu instid0(VALU_DEP_1)
	v_cmp_le_i16_e64 s5, v5, v4
	s_and_b32 s3, s3, s5
	s_wait_alu 0xfffe
	s_or_b32 s3, s4, s3
	s_wait_alu 0xfffe
	v_cndmask_b32_e64 v4, v35, v36, s3
	v_cndmask_b32_e64 v5, v34, v33, s3
	s_delay_alu instid0(VALU_DEP_2) | instskip(NEXT) | instid1(VALU_DEP_2)
	v_add_nc_u32_e32 v14, 1, v4
	v_add_nc_u32_e32 v5, -1, v5
	v_lshl_add_u32 v4, v4, 3, v9
	s_delay_alu instid0(VALU_DEP_2) | instskip(NEXT) | instid1(VALU_DEP_1)
	v_min_u32_e32 v5, v14, v5
	v_add_nc_u32_e32 v5, v11, v5
	ds_load_u8 v5, v5
	s_wait_dscnt 0x0
	v_cndmask_b32_e64 v27, v5, v26, s3
	v_cndmask_b32_e64 v28, v25, v5, s3
	;; [unrolled: 1-line block ×5, first 2 shown]
	v_bfe_i32 v15, v27, 0, 8
	v_bfe_i32 v16, v28, 0, 8
	v_cmp_lt_u32_e64 s4, v5, v33
	v_cmp_ge_u32_e64 s6, v14, v34
	s_delay_alu instid0(VALU_DEP_3)
	v_cmp_le_i16_e64 s5, v16, v15
	s_and_b32 s4, s4, s5
	s_wait_alu 0xfffe
	s_or_b32 s4, s6, s4
	s_wait_alu 0xfffe
	v_cndmask_b32_e64 v15, v14, v5, s4
	v_cndmask_b32_e64 v16, v34, v33, s4
	;; [unrolled: 1-line block ×3, first 2 shown]
	s_delay_alu instid0(VALU_DEP_3) | instskip(NEXT) | instid1(VALU_DEP_3)
	v_add_nc_u32_e32 v17, 1, v15
	v_add_nc_u32_e32 v16, -1, v16
	s_delay_alu instid0(VALU_DEP_2) | instskip(NEXT) | instid1(VALU_DEP_2)
	v_cndmask_b32_e64 v5, v5, v17, s4
	v_min_u32_e32 v16, v17, v16
	v_cndmask_b32_e64 v14, v17, v14, s4
	s_delay_alu instid0(VALU_DEP_3) | instskip(NEXT) | instid1(VALU_DEP_3)
	v_cmp_lt_u32_e64 s5, v5, v33
	v_add_nc_u32_e32 v16, v11, v16
	s_delay_alu instid0(VALU_DEP_3) | instskip(SKIP_4) | instid1(VALU_DEP_2)
	v_cmp_ge_u32_e64 s7, v14, v34
	ds_load_u8 v16, v16
	s_wait_dscnt 0x0
	v_cndmask_b32_e64 v35, v16, v27, s4
	v_cndmask_b32_e64 v36, v28, v16, s4
	v_bfe_i32 v16, v35, 0, 8
	s_delay_alu instid0(VALU_DEP_2) | instskip(NEXT) | instid1(VALU_DEP_1)
	v_bfe_i32 v18, v36, 0, 8
	v_cmp_le_i16_e64 s6, v18, v16
	s_and_b32 s5, s5, s6
	s_wait_alu 0xfffe
	s_or_b32 s5, s7, s5
	s_wait_alu 0xfffe
	v_cndmask_b32_e64 v16, v14, v5, s5
	v_cndmask_b32_e64 v17, v34, v33, s5
	v_cndmask_b32_e64 v28, v35, v36, s5
	s_delay_alu instid0(VALU_DEP_3) | instskip(NEXT) | instid1(VALU_DEP_3)
	v_add_nc_u32_e32 v18, 1, v16
	v_add_nc_u32_e32 v17, -1, v17
	v_lshl_add_u32 v16, v16, 3, v9
	s_delay_alu instid0(VALU_DEP_3) | instskip(NEXT) | instid1(VALU_DEP_3)
	v_cndmask_b32_e64 v5, v5, v18, s5
	v_min_u32_e32 v17, v18, v17
	v_cndmask_b32_e64 v14, v18, v14, s5
	s_delay_alu instid0(VALU_DEP_3) | instskip(NEXT) | instid1(VALU_DEP_3)
	v_cmp_lt_u32_e64 s6, v5, v33
	v_add_nc_u32_e32 v17, v11, v17
	s_delay_alu instid0(VALU_DEP_3) | instskip(SKIP_4) | instid1(VALU_DEP_2)
	v_cmp_ge_u32_e64 s8, v14, v34
	ds_load_u8 v17, v17
	s_wait_dscnt 0x0
	v_cndmask_b32_e64 v37, v17, v35, s5
	v_cndmask_b32_e64 v38, v36, v17, s5
	v_bfe_i32 v17, v37, 0, 8
	s_delay_alu instid0(VALU_DEP_2) | instskip(NEXT) | instid1(VALU_DEP_1)
	v_bfe_i32 v19, v38, 0, 8
	v_cmp_le_i16_e64 s7, v19, v17
	s_and_b32 s6, s6, s7
	s_wait_alu 0xfffe
	s_or_b32 s6, s8, s6
	s_wait_alu 0xfffe
	v_cndmask_b32_e64 v5, v14, v5, s6
	v_lshl_add_u32 v14, v15, 3, v9
	v_cndmask_b32_e64 v27, v37, v38, s6
	s_delay_alu instid0(VALU_DEP_3)
	v_lshl_add_u32 v17, v5, 3, v9
	ds_load_b64 v[4:5], v4 offset:1024
	ds_load_b64 v[14:15], v14 offset:1024
	;; [unrolled: 1-line block ×4, first 2 shown]
.LBB418_86:
	s_wait_alu 0xfffe
	s_or_b32 exec_lo, exec_lo, s9
	v_and_b32_e32 v34, 0x60, v24
	; wave barrier
	ds_store_b8 v10, v25
	s_wait_dscnt 0x4
	ds_store_b64 v29, v[4:5]
	s_mov_b32 s4, exec_lo
	v_or_b32_e32 v24, 16, v34
	ds_store_b8 v32, v26
	s_wait_dscnt 0x5
	ds_store_b64 v21, v[14:15]
	ds_store_b8 v31, v28
	s_wait_dscnt 0x6
	ds_store_b64 v13, v[18:19]
	;; [unrolled: 3-line block ×3, first 2 shown]
	; wave barrier
	v_min_u32_e32 v24, v20, v24
	s_delay_alu instid0(VALU_DEP_1) | instskip(SKIP_1) | instid1(VALU_DEP_2)
	v_add_nc_u32_e32 v33, 16, v24
	v_sub_nc_u32_e32 v36, v24, v34
	v_min_u32_e32 v33, v20, v33
	v_min_u32_e32 v20, v20, v22
	s_delay_alu instid0(VALU_DEP_2) | instskip(NEXT) | instid1(VALU_DEP_2)
	v_sub_nc_u32_e32 v35, v33, v24
	v_min_u32_e32 v29, v20, v36
	s_delay_alu instid0(VALU_DEP_2) | instskip(NEXT) | instid1(VALU_DEP_1)
	v_sub_nc_u32_e64 v10, v20, v35 clamp
	v_cmpx_lt_u32_e64 v10, v29
	s_cbranch_execz .LBB418_90
; %bb.87:
	v_add_co_u32 v12, null, v11, v34
	v_add_co_u32 v13, null, v11, v24
	s_mov_b32 s5, 0
.LBB418_88:                             ; =>This Inner Loop Header: Depth=1
	v_add_nc_u32_e32 v21, v29, v10
	s_delay_alu instid0(VALU_DEP_1) | instskip(NEXT) | instid1(VALU_DEP_1)
	v_lshrrev_b32_e32 v21, 1, v21
	v_not_b32_e32 v30, v21
	v_add_nc_u32_e32 v31, v12, v21
	v_add_nc_u32_e32 v32, 1, v21
	s_delay_alu instid0(VALU_DEP_3)
	v_add3_u32 v30, v20, v30, v13
	ds_load_i8 v31, v31
	ds_load_i8 v30, v30
	s_wait_dscnt 0x0
	v_cmp_gt_i16_e64 s3, v31, v30
	s_wait_alu 0xf1ff
	s_delay_alu instid0(VALU_DEP_1) | instskip(SKIP_1) | instid1(VALU_DEP_1)
	v_cndmask_b32_e64 v29, v29, v21, s3
	v_cndmask_b32_e64 v10, v32, v10, s3
	v_cmp_ge_u32_e64 s3, v10, v29
	s_wait_alu 0xfffe
	s_or_b32 s5, s3, s5
	s_wait_alu 0xfffe
	s_and_not1_b32 exec_lo, exec_lo, s5
	s_cbranch_execnz .LBB418_88
; %bb.89:
	s_or_b32 exec_lo, exec_lo, s5
.LBB418_90:
	s_wait_alu 0xfffe
	s_or_b32 exec_lo, exec_lo, s4
	v_add_nc_u32_e32 v12, v24, v20
	v_add_nc_u32_e32 v20, v10, v34
	s_delay_alu instid0(VALU_DEP_2) | instskip(NEXT) | instid1(VALU_DEP_2)
	v_sub_nc_u32_e32 v13, v12, v10
	v_cmp_le_u32_e64 s3, v20, v24
	s_delay_alu instid0(VALU_DEP_2)
	v_cmp_le_u32_e64 s4, v13, v33
	s_or_b32 s3, s3, s4
	s_wait_alu 0xfffe
	s_and_saveexec_b32 s9, s3
	s_cbranch_execz .LBB418_96
; %bb.91:
	v_cmp_lt_u32_e64 s3, v20, v24
                                        ; implicit-def: $vgpr10
	s_and_saveexec_b32 s4, s3
; %bb.92:
	v_add_nc_u32_e32 v4, v11, v20
	ds_load_u8 v10, v4
; %bb.93:
	s_wait_alu 0xfffe
	s_or_b32 exec_lo, exec_lo, s4
	v_cmp_ge_u32_e64 s4, v13, v33
	s_mov_b32 s6, exec_lo
                                        ; implicit-def: $vgpr12
	v_cmpx_lt_u32_e64 v13, v33
; %bb.94:
	v_add_nc_u32_e32 v4, v11, v13
	ds_load_u8 v12, v4
; %bb.95:
	s_wait_alu 0xfffe
	s_or_b32 exec_lo, exec_lo, s6
	s_wait_dscnt 0x0
	v_bfe_i32 v4, v12, 0, 8
	v_bfe_i32 v5, v10, 0, 8
	s_delay_alu instid0(VALU_DEP_1)
	v_cmp_le_i16_e64 s5, v5, v4
	s_and_b32 s3, s3, s5
	s_wait_alu 0xfffe
	s_or_b32 s3, s4, s3
	s_wait_alu 0xfffe
	v_cndmask_b32_e64 v4, v13, v20, s3
	v_cndmask_b32_e64 v5, v33, v24, s3
	;; [unrolled: 1-line block ×3, first 2 shown]
	s_delay_alu instid0(VALU_DEP_3) | instskip(NEXT) | instid1(VALU_DEP_3)
	v_add_nc_u32_e32 v14, 1, v4
	v_add_nc_u32_e32 v5, -1, v5
	v_lshl_add_u32 v4, v4, 3, v9
	s_delay_alu instid0(VALU_DEP_3) | instskip(NEXT) | instid1(VALU_DEP_3)
	v_cndmask_b32_e64 v13, v14, v13, s3
	v_min_u32_e32 v5, v14, v5
	s_delay_alu instid0(VALU_DEP_2) | instskip(NEXT) | instid1(VALU_DEP_2)
	v_cmp_ge_u32_e64 s6, v13, v33
	v_add_nc_u32_e32 v5, v11, v5
	ds_load_u8 v5, v5
	s_wait_dscnt 0x0
	v_cndmask_b32_e64 v21, v5, v12, s3
	v_cndmask_b32_e64 v26, v10, v5, s3
	;; [unrolled: 1-line block ×3, first 2 shown]
	s_delay_alu instid0(VALU_DEP_3) | instskip(NEXT) | instid1(VALU_DEP_3)
	v_bfe_i32 v15, v21, 0, 8
	v_bfe_i32 v16, v26, 0, 8
	s_delay_alu instid0(VALU_DEP_3) | instskip(NEXT) | instid1(VALU_DEP_2)
	v_cmp_lt_u32_e64 s4, v5, v24
	v_cmp_le_i16_e64 s5, v16, v15
	s_and_b32 s4, s4, s5
	s_wait_alu 0xfffe
	s_or_b32 s4, s6, s4
	s_wait_alu 0xfffe
	v_cndmask_b32_e64 v14, v13, v5, s4
	v_cndmask_b32_e64 v15, v33, v24, s4
	s_delay_alu instid0(VALU_DEP_2) | instskip(NEXT) | instid1(VALU_DEP_2)
	v_add_nc_u32_e32 v16, 1, v14
	v_add_nc_u32_e32 v15, -1, v15
	s_delay_alu instid0(VALU_DEP_2) | instskip(NEXT) | instid1(VALU_DEP_2)
	v_cndmask_b32_e64 v5, v5, v16, s4
	v_min_u32_e32 v15, v16, v15
	v_cndmask_b32_e64 v13, v16, v13, s4
	s_delay_alu instid0(VALU_DEP_3) | instskip(NEXT) | instid1(VALU_DEP_3)
	v_cmp_lt_u32_e64 s5, v5, v24
	v_add_nc_u32_e32 v15, v11, v15
	s_delay_alu instid0(VALU_DEP_3)
	v_cmp_ge_u32_e64 s7, v13, v33
	ds_load_u8 v15, v15
	s_wait_dscnt 0x0
	v_cndmask_b32_e64 v20, v15, v21, s4
	v_cndmask_b32_e64 v27, v26, v15, s4
	;; [unrolled: 1-line block ×3, first 2 shown]
	s_delay_alu instid0(VALU_DEP_3) | instskip(NEXT) | instid1(VALU_DEP_3)
	v_bfe_i32 v15, v20, 0, 8
	v_bfe_i32 v17, v27, 0, 8
	s_delay_alu instid0(VALU_DEP_1)
	v_cmp_le_i16_e64 s6, v17, v15
	s_and_b32 s5, s5, s6
	s_wait_alu 0xfffe
	s_or_b32 s5, s7, s5
	s_wait_alu 0xfffe
	v_cndmask_b32_e64 v15, v13, v5, s5
	v_cndmask_b32_e64 v16, v33, v24, s5
	;; [unrolled: 1-line block ×3, first 2 shown]
	s_delay_alu instid0(VALU_DEP_3) | instskip(NEXT) | instid1(VALU_DEP_3)
	v_add_nc_u32_e32 v17, 1, v15
	v_add_nc_u32_e32 v16, -1, v16
	s_delay_alu instid0(VALU_DEP_2) | instskip(NEXT) | instid1(VALU_DEP_2)
	v_cndmask_b32_e64 v5, v5, v17, s5
	v_min_u32_e32 v16, v17, v16
	v_cndmask_b32_e64 v13, v17, v13, s5
	s_delay_alu instid0(VALU_DEP_3) | instskip(NEXT) | instid1(VALU_DEP_3)
	v_cmp_lt_u32_e64 s6, v5, v24
	v_add_nc_u32_e32 v11, v11, v16
	s_delay_alu instid0(VALU_DEP_3) | instskip(SKIP_4) | instid1(VALU_DEP_2)
	v_cmp_ge_u32_e64 s8, v13, v33
	ds_load_u8 v11, v11
	s_wait_dscnt 0x0
	v_cndmask_b32_e64 v29, v11, v20, s5
	v_cndmask_b32_e64 v11, v27, v11, s5
	v_bfe_i32 v16, v29, 0, 8
	s_delay_alu instid0(VALU_DEP_2) | instskip(NEXT) | instid1(VALU_DEP_1)
	v_bfe_i32 v18, v11, 0, 8
	v_cmp_le_i16_e64 s7, v18, v16
	v_lshl_add_u32 v16, v15, 3, v9
	s_and_b32 s6, s6, s7
	s_wait_alu 0xfffe
	s_or_b32 s6, s8, s6
	s_wait_alu 0xfffe
	v_cndmask_b32_e64 v5, v13, v5, s6
	v_lshl_add_u32 v13, v14, 3, v9
	v_cndmask_b32_e64 v27, v29, v11, s6
	s_delay_alu instid0(VALU_DEP_3)
	v_lshl_add_u32 v9, v5, 3, v9
	ds_load_b64 v[4:5], v4 offset:1024
	ds_load_b64 v[14:15], v13 offset:1024
	;; [unrolled: 1-line block ×4, first 2 shown]
.LBB418_96:
	s_wait_alu 0xfffe
	s_or_b32 exec_lo, exec_lo, s9
	; wave barrier
	s_wait_storecnt_dscnt 0x0
	s_barrier_signal -1
	s_barrier_wait -1
.LBB418_97:
	s_wait_alu 0xfffe
	s_or_b32 exec_lo, exec_lo, s10
	v_add_co_u32 v2, s3, v2, v8
	s_wait_alu 0xf1ff
	v_add_co_ci_u32_e64 v3, null, 0, v3, s3
	s_wait_storecnt 0x0
	s_wait_loadcnt_dscnt 0x0
	global_inv scope:SCOPE_SE
	v_add_co_u32 v2, s3, v2, v22
	s_wait_alu 0xf1ff
	v_add_co_ci_u32_e64 v3, null, 0, v3, s3
	; wave barrier
	s_and_saveexec_b32 s3, vcc_lo
	s_cbranch_execnz .LBB418_110
; %bb.98:
	s_wait_alu 0xfffe
	s_or_b32 exec_lo, exec_lo, s3
	s_and_saveexec_b32 s3, s0
	s_cbranch_execnz .LBB418_111
.LBB418_99:
	s_wait_alu 0xfffe
	s_or_b32 exec_lo, exec_lo, s3
	s_and_saveexec_b32 s3, s1
	s_cbranch_execnz .LBB418_112
.LBB418_100:
	s_wait_alu 0xfffe
	s_or_b32 exec_lo, exec_lo, s3
	s_and_saveexec_b32 s3, s2
	s_cbranch_execz .LBB418_102
.LBB418_101:
	flat_store_b8 v[2:3], v27 offset:3
.LBB418_102:
	s_wait_alu 0xfffe
	s_or_b32 exec_lo, exec_lo, s3
	v_add_co_u32 v0, s3, v6, v0
	s_wait_alu 0xf1ff
	v_add_co_ci_u32_e64 v1, null, v7, v1, s3
	s_delay_alu instid0(VALU_DEP_2) | instskip(SKIP_1) | instid1(VALU_DEP_2)
	v_add_co_u32 v0, s3, v0, v23
	s_wait_alu 0xf1ff
	v_add_co_ci_u32_e64 v1, null, 0, v1, s3
	; wave barrier
	s_and_saveexec_b32 s3, vcc_lo
	s_cbranch_execnz .LBB418_113
; %bb.103:
	s_wait_alu 0xfffe
	s_or_b32 exec_lo, exec_lo, s3
	s_and_saveexec_b32 s3, s0
	s_cbranch_execnz .LBB418_114
.LBB418_104:
	s_wait_alu 0xfffe
	s_or_b32 exec_lo, exec_lo, s3
	s_and_saveexec_b32 s0, s1
	s_cbranch_execnz .LBB418_115
.LBB418_105:
	s_wait_alu 0xfffe
	s_or_b32 exec_lo, exec_lo, s0
	s_and_saveexec_b32 s0, s2
	s_cbranch_execnz .LBB418_116
.LBB418_106:
	s_wait_alu 0xfffe
	s_or_b32 exec_lo, exec_lo, s0
	s_wait_loadcnt_dscnt 0x0
	s_setpc_b64 s[30:31]
.LBB418_107:
	flat_load_b64 v[4:5], v[20:21]
	s_wait_alu 0xfffe
	s_or_b32 exec_lo, exec_lo, s3
                                        ; implicit-def: $vgpr14_vgpr15
	s_and_saveexec_b32 s3, s0
	s_cbranch_execz .LBB418_10
.LBB418_108:
	flat_load_b64 v[14:15], v[20:21] offset:8
	s_wait_alu 0xfffe
	s_or_b32 exec_lo, exec_lo, s3
                                        ; implicit-def: $vgpr18_vgpr19
	s_and_saveexec_b32 s3, s1
	s_cbranch_execz .LBB418_11
.LBB418_109:
	flat_load_b64 v[18:19], v[20:21] offset:16
	s_wait_alu 0xfffe
	s_or_b32 exec_lo, exec_lo, s3
                                        ; implicit-def: $vgpr16_vgpr17
	s_and_saveexec_b32 s3, s2
	s_cbranch_execnz .LBB418_12
	s_branch .LBB418_13
.LBB418_110:
	flat_store_b8 v[2:3], v25
	s_wait_alu 0xfffe
	s_or_b32 exec_lo, exec_lo, s3
	s_and_saveexec_b32 s3, s0
	s_cbranch_execz .LBB418_99
.LBB418_111:
	flat_store_b8 v[2:3], v26 offset:1
	s_wait_alu 0xfffe
	s_or_b32 exec_lo, exec_lo, s3
	s_and_saveexec_b32 s3, s1
	s_cbranch_execz .LBB418_100
.LBB418_112:
	flat_store_b8 v[2:3], v28 offset:2
	s_wait_alu 0xfffe
	s_or_b32 exec_lo, exec_lo, s3
	s_and_saveexec_b32 s3, s2
	s_cbranch_execnz .LBB418_101
	s_branch .LBB418_102
.LBB418_113:
	flat_store_b64 v[0:1], v[4:5]
	s_wait_alu 0xfffe
	s_or_b32 exec_lo, exec_lo, s3
	s_and_saveexec_b32 s3, s0
	s_cbranch_execz .LBB418_104
.LBB418_114:
	flat_store_b64 v[0:1], v[14:15] offset:8
	s_wait_alu 0xfffe
	s_or_b32 exec_lo, exec_lo, s3
	s_and_saveexec_b32 s0, s1
	s_cbranch_execz .LBB418_105
.LBB418_115:
	flat_store_b64 v[0:1], v[18:19] offset:16
	s_wait_alu 0xfffe
	s_or_b32 exec_lo, exec_lo, s0
	s_and_saveexec_b32 s0, s2
	s_cbranch_execz .LBB418_106
.LBB418_116:
	flat_store_b64 v[0:1], v[16:17] offset:24
	s_wait_alu 0xfffe
	s_or_b32 exec_lo, exec_lo, s0
	s_wait_loadcnt_dscnt 0x0
	s_setpc_b64 s[30:31]
.Lfunc_end418:
	.size	_ZN7rocprim17ROCPRIM_400000_NS6detail26segmented_warp_sort_helperINS1_20WarpSortHelperConfigILj8ELj4ELj256EEEalLi256ELb0EvE4sortIPKaPaPKlPlEEvT_T0_T1_T2_jjjjRNS5_12storage_typeE, .Lfunc_end418-_ZN7rocprim17ROCPRIM_400000_NS6detail26segmented_warp_sort_helperINS1_20WarpSortHelperConfigILj8ELj4ELj256EEEalLi256ELb0EvE4sortIPKaPaPKlPlEEvT_T0_T1_T2_jjjjRNS5_12storage_typeE
                                        ; -- End function
	.set .L_ZN7rocprim17ROCPRIM_400000_NS6detail26segmented_warp_sort_helperINS1_20WarpSortHelperConfigILj8ELj4ELj256EEEalLi256ELb0EvE4sortIPKaPaPKlPlEEvT_T0_T1_T2_jjjjRNS5_12storage_typeE.num_vgpr, 51
	.set .L_ZN7rocprim17ROCPRIM_400000_NS6detail26segmented_warp_sort_helperINS1_20WarpSortHelperConfigILj8ELj4ELj256EEEalLi256ELb0EvE4sortIPKaPaPKlPlEEvT_T0_T1_T2_jjjjRNS5_12storage_typeE.num_agpr, 0
	.set .L_ZN7rocprim17ROCPRIM_400000_NS6detail26segmented_warp_sort_helperINS1_20WarpSortHelperConfigILj8ELj4ELj256EEEalLi256ELb0EvE4sortIPKaPaPKlPlEEvT_T0_T1_T2_jjjjRNS5_12storage_typeE.numbered_sgpr, 32
	.set .L_ZN7rocprim17ROCPRIM_400000_NS6detail26segmented_warp_sort_helperINS1_20WarpSortHelperConfigILj8ELj4ELj256EEEalLi256ELb0EvE4sortIPKaPaPKlPlEEvT_T0_T1_T2_jjjjRNS5_12storage_typeE.num_named_barrier, 0
	.set .L_ZN7rocprim17ROCPRIM_400000_NS6detail26segmented_warp_sort_helperINS1_20WarpSortHelperConfigILj8ELj4ELj256EEEalLi256ELb0EvE4sortIPKaPaPKlPlEEvT_T0_T1_T2_jjjjRNS5_12storage_typeE.private_seg_size, 0
	.set .L_ZN7rocprim17ROCPRIM_400000_NS6detail26segmented_warp_sort_helperINS1_20WarpSortHelperConfigILj8ELj4ELj256EEEalLi256ELb0EvE4sortIPKaPaPKlPlEEvT_T0_T1_T2_jjjjRNS5_12storage_typeE.uses_vcc, 1
	.set .L_ZN7rocprim17ROCPRIM_400000_NS6detail26segmented_warp_sort_helperINS1_20WarpSortHelperConfigILj8ELj4ELj256EEEalLi256ELb0EvE4sortIPKaPaPKlPlEEvT_T0_T1_T2_jjjjRNS5_12storage_typeE.uses_flat_scratch, 0
	.set .L_ZN7rocprim17ROCPRIM_400000_NS6detail26segmented_warp_sort_helperINS1_20WarpSortHelperConfigILj8ELj4ELj256EEEalLi256ELb0EvE4sortIPKaPaPKlPlEEvT_T0_T1_T2_jjjjRNS5_12storage_typeE.has_dyn_sized_stack, 0
	.set .L_ZN7rocprim17ROCPRIM_400000_NS6detail26segmented_warp_sort_helperINS1_20WarpSortHelperConfigILj8ELj4ELj256EEEalLi256ELb0EvE4sortIPKaPaPKlPlEEvT_T0_T1_T2_jjjjRNS5_12storage_typeE.has_recursion, 0
	.set .L_ZN7rocprim17ROCPRIM_400000_NS6detail26segmented_warp_sort_helperINS1_20WarpSortHelperConfigILj8ELj4ELj256EEEalLi256ELb0EvE4sortIPKaPaPKlPlEEvT_T0_T1_T2_jjjjRNS5_12storage_typeE.has_indirect_call, 0
	.section	.AMDGPU.csdata,"",@progbits
; Function info:
; codeLenInByte = 9332
; TotalNumSgprs: 34
; NumVgprs: 51
; ScratchSize: 0
; MemoryBound: 0
	.section	.text._ZN7rocprim17ROCPRIM_400000_NS6detail17trampoline_kernelINS0_14default_configENS1_36segmented_radix_sort_config_selectorIalEEZNS1_25segmented_radix_sort_implIS3_Lb0EPKaPaPKlPlN2at6native12_GLOBAL__N_18offset_tEEE10hipError_tPvRmT1_PNSt15iterator_traitsISK_E10value_typeET2_T3_PNSL_ISQ_E10value_typeET4_jRbjT5_SW_jjP12ihipStream_tbEUlT_E1_NS1_11comp_targetILNS1_3genE10ELNS1_11target_archE1201ELNS1_3gpuE5ELNS1_3repE0EEENS1_59segmented_radix_sort_warp_sort_small_config_static_selectorELNS0_4arch9wavefront6targetE0EEEvSK_,"axG",@progbits,_ZN7rocprim17ROCPRIM_400000_NS6detail17trampoline_kernelINS0_14default_configENS1_36segmented_radix_sort_config_selectorIalEEZNS1_25segmented_radix_sort_implIS3_Lb0EPKaPaPKlPlN2at6native12_GLOBAL__N_18offset_tEEE10hipError_tPvRmT1_PNSt15iterator_traitsISK_E10value_typeET2_T3_PNSL_ISQ_E10value_typeET4_jRbjT5_SW_jjP12ihipStream_tbEUlT_E1_NS1_11comp_targetILNS1_3genE10ELNS1_11target_archE1201ELNS1_3gpuE5ELNS1_3repE0EEENS1_59segmented_radix_sort_warp_sort_small_config_static_selectorELNS0_4arch9wavefront6targetE0EEEvSK_,comdat
	.globl	_ZN7rocprim17ROCPRIM_400000_NS6detail17trampoline_kernelINS0_14default_configENS1_36segmented_radix_sort_config_selectorIalEEZNS1_25segmented_radix_sort_implIS3_Lb0EPKaPaPKlPlN2at6native12_GLOBAL__N_18offset_tEEE10hipError_tPvRmT1_PNSt15iterator_traitsISK_E10value_typeET2_T3_PNSL_ISQ_E10value_typeET4_jRbjT5_SW_jjP12ihipStream_tbEUlT_E1_NS1_11comp_targetILNS1_3genE10ELNS1_11target_archE1201ELNS1_3gpuE5ELNS1_3repE0EEENS1_59segmented_radix_sort_warp_sort_small_config_static_selectorELNS0_4arch9wavefront6targetE0EEEvSK_ ; -- Begin function _ZN7rocprim17ROCPRIM_400000_NS6detail17trampoline_kernelINS0_14default_configENS1_36segmented_radix_sort_config_selectorIalEEZNS1_25segmented_radix_sort_implIS3_Lb0EPKaPaPKlPlN2at6native12_GLOBAL__N_18offset_tEEE10hipError_tPvRmT1_PNSt15iterator_traitsISK_E10value_typeET2_T3_PNSL_ISQ_E10value_typeET4_jRbjT5_SW_jjP12ihipStream_tbEUlT_E1_NS1_11comp_targetILNS1_3genE10ELNS1_11target_archE1201ELNS1_3gpuE5ELNS1_3repE0EEENS1_59segmented_radix_sort_warp_sort_small_config_static_selectorELNS0_4arch9wavefront6targetE0EEEvSK_
	.p2align	8
	.type	_ZN7rocprim17ROCPRIM_400000_NS6detail17trampoline_kernelINS0_14default_configENS1_36segmented_radix_sort_config_selectorIalEEZNS1_25segmented_radix_sort_implIS3_Lb0EPKaPaPKlPlN2at6native12_GLOBAL__N_18offset_tEEE10hipError_tPvRmT1_PNSt15iterator_traitsISK_E10value_typeET2_T3_PNSL_ISQ_E10value_typeET4_jRbjT5_SW_jjP12ihipStream_tbEUlT_E1_NS1_11comp_targetILNS1_3genE10ELNS1_11target_archE1201ELNS1_3gpuE5ELNS1_3repE0EEENS1_59segmented_radix_sort_warp_sort_small_config_static_selectorELNS0_4arch9wavefront6targetE0EEEvSK_,@function
_ZN7rocprim17ROCPRIM_400000_NS6detail17trampoline_kernelINS0_14default_configENS1_36segmented_radix_sort_config_selectorIalEEZNS1_25segmented_radix_sort_implIS3_Lb0EPKaPaPKlPlN2at6native12_GLOBAL__N_18offset_tEEE10hipError_tPvRmT1_PNSt15iterator_traitsISK_E10value_typeET2_T3_PNSL_ISQ_E10value_typeET4_jRbjT5_SW_jjP12ihipStream_tbEUlT_E1_NS1_11comp_targetILNS1_3genE10ELNS1_11target_archE1201ELNS1_3gpuE5ELNS1_3repE0EEENS1_59segmented_radix_sort_warp_sort_small_config_static_selectorELNS0_4arch9wavefront6targetE0EEEvSK_: ; @_ZN7rocprim17ROCPRIM_400000_NS6detail17trampoline_kernelINS0_14default_configENS1_36segmented_radix_sort_config_selectorIalEEZNS1_25segmented_radix_sort_implIS3_Lb0EPKaPaPKlPlN2at6native12_GLOBAL__N_18offset_tEEE10hipError_tPvRmT1_PNSt15iterator_traitsISK_E10value_typeET2_T3_PNSL_ISQ_E10value_typeET4_jRbjT5_SW_jjP12ihipStream_tbEUlT_E1_NS1_11comp_targetILNS1_3genE10ELNS1_11target_archE1201ELNS1_3gpuE5ELNS1_3repE0EEENS1_59segmented_radix_sort_warp_sort_small_config_static_selectorELNS0_4arch9wavefront6targetE0EEEvSK_
; %bb.0:
	s_load_b32 s2, s[0:1], 0x64
	v_bfe_u32 v1, v0, 10, 10
	v_bfe_u32 v2, v0, 20, 10
	s_mov_b32 s32, 0
	s_wait_kmcnt 0x0
	s_lshr_b32 s3, s2, 16
	s_and_b32 s2, s2, 0xffff
	v_mad_u32_u24 v2, v2, s3, v1
	v_and_b32_e32 v1, 0x3ff, v0
	s_load_b32 s3, s[0:1], 0x34
	s_delay_alu instid0(VALU_DEP_1) | instskip(SKIP_2) | instid1(VALU_DEP_1)
	v_mad_co_u64_u32 v[1:2], null, v2, s2, v[1:2]
	s_mov_b32 s2, exec_lo
	v_lshrrev_b32_e32 v1, 3, v1
	v_lshl_add_u32 v1, ttmp9, 5, v1
	s_wait_kmcnt 0x0
	s_delay_alu instid0(VALU_DEP_1)
	v_cmpx_gt_u32_e64 s3, v1
	s_cbranch_execz .LBB419_6
; %bb.1:
	s_clause 0x1
	s_load_b64 s[2:3], s[0:1], 0x38
	s_load_b128 s[4:7], s[0:1], 0x40
	v_mov_b32_e32 v2, 0
	s_delay_alu instid0(VALU_DEP_1) | instskip(SKIP_1) | instid1(VALU_DEP_1)
	v_lshlrev_b64_e32 v[1:2], 2, v[1:2]
	s_wait_kmcnt 0x0
	v_sub_co_u32 v1, vcc_lo, s2, v1
	s_delay_alu instid0(VALU_DEP_1) | instskip(SKIP_4) | instid1(VALU_DEP_2)
	v_sub_co_ci_u32_e64 v2, null, s3, v2, vcc_lo
	global_load_b32 v1, v[1:2], off offset:-4
	s_wait_loadcnt 0x0
	v_add_nc_u32_e32 v2, s5, v1
	v_add_nc_u32_e32 v1, s7, v1
	v_mul_lo_u32 v8, v2, s4
	s_delay_alu instid0(VALU_DEP_2) | instskip(NEXT) | instid1(VALU_DEP_1)
	v_mul_lo_u32 v40, v1, s6
	v_cmp_gt_u32_e32 vcc_lo, v40, v8
	s_and_b32 exec_lo, exec_lo, vcc_lo
	s_cbranch_execz .LBB419_6
; %bb.2:
	s_clause 0x3
	s_load_b32 s2, s[0:1], 0x30
	s_load_b128 s[24:27], s[0:1], 0x20
	s_load_b256 s[16:23], s[0:1], 0x0
	s_load_b64 s[28:29], s[0:1], 0x50
	s_add_nc_u64 s[14:15], s[0:1], 0x58
	s_wait_kmcnt 0x0
	s_bitcmp0_b32 s2, 0
	s_mov_b32 s2, -1
	s_cbranch_scc0 .LBB419_4
; %bb.3:
	s_mov_b64 s[0:1], src_shared_base
	v_mov_b32_e32 v31, v0
	v_dual_mov_b32 v41, v0 :: v_dual_mov_b32 v2, s18
	v_dual_mov_b32 v0, s16 :: v_dual_mov_b32 v1, s17
	v_dual_mov_b32 v4, s22 :: v_dual_mov_b32 v3, s19
	v_dual_mov_b32 v6, s24 :: v_dual_mov_b32 v5, s23
	v_dual_mov_b32 v10, s28 :: v_dual_mov_b32 v7, s25
	v_dual_mov_b32 v12, 0 :: v_dual_mov_b32 v9, v40
	v_mov_b32_e32 v11, s29
	s_wait_alu 0xfffe
	v_mov_b32_e32 v13, s1
	s_getpc_b64 s[2:3]
	s_wait_alu 0xfffe
	s_sext_i32_i16 s3, s3
	s_add_co_u32 s2, s2, _ZN7rocprim17ROCPRIM_400000_NS6detail26segmented_warp_sort_helperINS1_20WarpSortHelperConfigILj8ELj4ELj256EEEalLi256ELb0EvE4sortIPKaPaPKlPlEEvT_T0_T1_T2_jjjjRNS5_12storage_typeE@rel32@lo+12
	s_wait_alu 0xfffe
	s_add_co_ci_u32 s3, s3, _ZN7rocprim17ROCPRIM_400000_NS6detail26segmented_warp_sort_helperINS1_20WarpSortHelperConfigILj8ELj4ELj256EEEalLi256ELb0EvE4sortIPKaPaPKlPlEEvT_T0_T1_T2_jjjjRNS5_12storage_typeE@rel32@hi+24
	s_mov_b64 s[8:9], s[14:15]
	s_wait_alu 0xfffe
	s_swappc_b64 s[30:31], s[2:3]
	v_mov_b32_e32 v0, v41
	s_mov_b32 s2, 0
.LBB419_4:
	s_wait_alu 0xfffe
	s_and_not1_b32 vcc_lo, exec_lo, s2
	s_wait_alu 0xfffe
	s_cbranch_vccnz .LBB419_6
; %bb.5:
	s_mov_b64 s[0:1], src_shared_base
	v_dual_mov_b32 v31, v0 :: v_dual_mov_b32 v0, s16
	v_dual_mov_b32 v1, s17 :: v_dual_mov_b32 v2, s20
	;; [unrolled: 1-line block ×6, first 2 shown]
	v_mov_b32_e32 v11, s29
	s_wait_alu 0xfffe
	v_mov_b32_e32 v13, s1
	s_getpc_b64 s[2:3]
	s_wait_alu 0xfffe
	s_sext_i32_i16 s3, s3
	s_add_co_u32 s2, s2, _ZN7rocprim17ROCPRIM_400000_NS6detail26segmented_warp_sort_helperINS1_20WarpSortHelperConfigILj8ELj4ELj256EEEalLi256ELb0EvE4sortIPKaPaPKlPlEEvT_T0_T1_T2_jjjjRNS5_12storage_typeE@rel32@lo+12
	s_wait_alu 0xfffe
	s_add_co_ci_u32 s3, s3, _ZN7rocprim17ROCPRIM_400000_NS6detail26segmented_warp_sort_helperINS1_20WarpSortHelperConfigILj8ELj4ELj256EEEalLi256ELb0EvE4sortIPKaPaPKlPlEEvT_T0_T1_T2_jjjjRNS5_12storage_typeE@rel32@hi+24
	s_mov_b64 s[8:9], s[14:15]
	s_wait_alu 0xfffe
	s_swappc_b64 s[30:31], s[2:3]
.LBB419_6:
	s_endpgm
	.section	.rodata,"a",@progbits
	.p2align	6, 0x0
	.amdhsa_kernel _ZN7rocprim17ROCPRIM_400000_NS6detail17trampoline_kernelINS0_14default_configENS1_36segmented_radix_sort_config_selectorIalEEZNS1_25segmented_radix_sort_implIS3_Lb0EPKaPaPKlPlN2at6native12_GLOBAL__N_18offset_tEEE10hipError_tPvRmT1_PNSt15iterator_traitsISK_E10value_typeET2_T3_PNSL_ISQ_E10value_typeET4_jRbjT5_SW_jjP12ihipStream_tbEUlT_E1_NS1_11comp_targetILNS1_3genE10ELNS1_11target_archE1201ELNS1_3gpuE5ELNS1_3repE0EEENS1_59segmented_radix_sort_warp_sort_small_config_static_selectorELNS0_4arch9wavefront6targetE0EEEvSK_
		.amdhsa_group_segment_fixed_size 9216
		.amdhsa_private_segment_fixed_size 0
		.amdhsa_kernarg_size 344
		.amdhsa_user_sgpr_count 2
		.amdhsa_user_sgpr_dispatch_ptr 0
		.amdhsa_user_sgpr_queue_ptr 0
		.amdhsa_user_sgpr_kernarg_segment_ptr 1
		.amdhsa_user_sgpr_dispatch_id 0
		.amdhsa_user_sgpr_private_segment_size 0
		.amdhsa_wavefront_size32 1
		.amdhsa_uses_dynamic_stack 0
		.amdhsa_enable_private_segment 0
		.amdhsa_system_sgpr_workgroup_id_x 1
		.amdhsa_system_sgpr_workgroup_id_y 1
		.amdhsa_system_sgpr_workgroup_id_z 0
		.amdhsa_system_sgpr_workgroup_info 0
		.amdhsa_system_vgpr_workitem_id 2
		.amdhsa_next_free_vgpr 51
		.amdhsa_next_free_sgpr 33
		.amdhsa_reserve_vcc 1
		.amdhsa_float_round_mode_32 0
		.amdhsa_float_round_mode_16_64 0
		.amdhsa_float_denorm_mode_32 3
		.amdhsa_float_denorm_mode_16_64 3
		.amdhsa_fp16_overflow 0
		.amdhsa_workgroup_processor_mode 1
		.amdhsa_memory_ordered 1
		.amdhsa_forward_progress 1
		.amdhsa_inst_pref_size 5
		.amdhsa_round_robin_scheduling 0
		.amdhsa_exception_fp_ieee_invalid_op 0
		.amdhsa_exception_fp_denorm_src 0
		.amdhsa_exception_fp_ieee_div_zero 0
		.amdhsa_exception_fp_ieee_overflow 0
		.amdhsa_exception_fp_ieee_underflow 0
		.amdhsa_exception_fp_ieee_inexact 0
		.amdhsa_exception_int_div_zero 0
	.end_amdhsa_kernel
	.section	.text._ZN7rocprim17ROCPRIM_400000_NS6detail17trampoline_kernelINS0_14default_configENS1_36segmented_radix_sort_config_selectorIalEEZNS1_25segmented_radix_sort_implIS3_Lb0EPKaPaPKlPlN2at6native12_GLOBAL__N_18offset_tEEE10hipError_tPvRmT1_PNSt15iterator_traitsISK_E10value_typeET2_T3_PNSL_ISQ_E10value_typeET4_jRbjT5_SW_jjP12ihipStream_tbEUlT_E1_NS1_11comp_targetILNS1_3genE10ELNS1_11target_archE1201ELNS1_3gpuE5ELNS1_3repE0EEENS1_59segmented_radix_sort_warp_sort_small_config_static_selectorELNS0_4arch9wavefront6targetE0EEEvSK_,"axG",@progbits,_ZN7rocprim17ROCPRIM_400000_NS6detail17trampoline_kernelINS0_14default_configENS1_36segmented_radix_sort_config_selectorIalEEZNS1_25segmented_radix_sort_implIS3_Lb0EPKaPaPKlPlN2at6native12_GLOBAL__N_18offset_tEEE10hipError_tPvRmT1_PNSt15iterator_traitsISK_E10value_typeET2_T3_PNSL_ISQ_E10value_typeET4_jRbjT5_SW_jjP12ihipStream_tbEUlT_E1_NS1_11comp_targetILNS1_3genE10ELNS1_11target_archE1201ELNS1_3gpuE5ELNS1_3repE0EEENS1_59segmented_radix_sort_warp_sort_small_config_static_selectorELNS0_4arch9wavefront6targetE0EEEvSK_,comdat
.Lfunc_end419:
	.size	_ZN7rocprim17ROCPRIM_400000_NS6detail17trampoline_kernelINS0_14default_configENS1_36segmented_radix_sort_config_selectorIalEEZNS1_25segmented_radix_sort_implIS3_Lb0EPKaPaPKlPlN2at6native12_GLOBAL__N_18offset_tEEE10hipError_tPvRmT1_PNSt15iterator_traitsISK_E10value_typeET2_T3_PNSL_ISQ_E10value_typeET4_jRbjT5_SW_jjP12ihipStream_tbEUlT_E1_NS1_11comp_targetILNS1_3genE10ELNS1_11target_archE1201ELNS1_3gpuE5ELNS1_3repE0EEENS1_59segmented_radix_sort_warp_sort_small_config_static_selectorELNS0_4arch9wavefront6targetE0EEEvSK_, .Lfunc_end419-_ZN7rocprim17ROCPRIM_400000_NS6detail17trampoline_kernelINS0_14default_configENS1_36segmented_radix_sort_config_selectorIalEEZNS1_25segmented_radix_sort_implIS3_Lb0EPKaPaPKlPlN2at6native12_GLOBAL__N_18offset_tEEE10hipError_tPvRmT1_PNSt15iterator_traitsISK_E10value_typeET2_T3_PNSL_ISQ_E10value_typeET4_jRbjT5_SW_jjP12ihipStream_tbEUlT_E1_NS1_11comp_targetILNS1_3genE10ELNS1_11target_archE1201ELNS1_3gpuE5ELNS1_3repE0EEENS1_59segmented_radix_sort_warp_sort_small_config_static_selectorELNS0_4arch9wavefront6targetE0EEEvSK_
                                        ; -- End function
	.set _ZN7rocprim17ROCPRIM_400000_NS6detail17trampoline_kernelINS0_14default_configENS1_36segmented_radix_sort_config_selectorIalEEZNS1_25segmented_radix_sort_implIS3_Lb0EPKaPaPKlPlN2at6native12_GLOBAL__N_18offset_tEEE10hipError_tPvRmT1_PNSt15iterator_traitsISK_E10value_typeET2_T3_PNSL_ISQ_E10value_typeET4_jRbjT5_SW_jjP12ihipStream_tbEUlT_E1_NS1_11comp_targetILNS1_3genE10ELNS1_11target_archE1201ELNS1_3gpuE5ELNS1_3repE0EEENS1_59segmented_radix_sort_warp_sort_small_config_static_selectorELNS0_4arch9wavefront6targetE0EEEvSK_.num_vgpr, max(42, .L_ZN7rocprim17ROCPRIM_400000_NS6detail26segmented_warp_sort_helperINS1_20WarpSortHelperConfigILj8ELj4ELj256EEEalLi256ELb0EvE4sortIPKaPaPKlPlEEvT_T0_T1_T2_jjjjRNS5_12storage_typeE.num_vgpr)
	.set _ZN7rocprim17ROCPRIM_400000_NS6detail17trampoline_kernelINS0_14default_configENS1_36segmented_radix_sort_config_selectorIalEEZNS1_25segmented_radix_sort_implIS3_Lb0EPKaPaPKlPlN2at6native12_GLOBAL__N_18offset_tEEE10hipError_tPvRmT1_PNSt15iterator_traitsISK_E10value_typeET2_T3_PNSL_ISQ_E10value_typeET4_jRbjT5_SW_jjP12ihipStream_tbEUlT_E1_NS1_11comp_targetILNS1_3genE10ELNS1_11target_archE1201ELNS1_3gpuE5ELNS1_3repE0EEENS1_59segmented_radix_sort_warp_sort_small_config_static_selectorELNS0_4arch9wavefront6targetE0EEEvSK_.num_agpr, max(0, .L_ZN7rocprim17ROCPRIM_400000_NS6detail26segmented_warp_sort_helperINS1_20WarpSortHelperConfigILj8ELj4ELj256EEEalLi256ELb0EvE4sortIPKaPaPKlPlEEvT_T0_T1_T2_jjjjRNS5_12storage_typeE.num_agpr)
	.set _ZN7rocprim17ROCPRIM_400000_NS6detail17trampoline_kernelINS0_14default_configENS1_36segmented_radix_sort_config_selectorIalEEZNS1_25segmented_radix_sort_implIS3_Lb0EPKaPaPKlPlN2at6native12_GLOBAL__N_18offset_tEEE10hipError_tPvRmT1_PNSt15iterator_traitsISK_E10value_typeET2_T3_PNSL_ISQ_E10value_typeET4_jRbjT5_SW_jjP12ihipStream_tbEUlT_E1_NS1_11comp_targetILNS1_3genE10ELNS1_11target_archE1201ELNS1_3gpuE5ELNS1_3repE0EEENS1_59segmented_radix_sort_warp_sort_small_config_static_selectorELNS0_4arch9wavefront6targetE0EEEvSK_.numbered_sgpr, max(33, .L_ZN7rocprim17ROCPRIM_400000_NS6detail26segmented_warp_sort_helperINS1_20WarpSortHelperConfigILj8ELj4ELj256EEEalLi256ELb0EvE4sortIPKaPaPKlPlEEvT_T0_T1_T2_jjjjRNS5_12storage_typeE.numbered_sgpr)
	.set _ZN7rocprim17ROCPRIM_400000_NS6detail17trampoline_kernelINS0_14default_configENS1_36segmented_radix_sort_config_selectorIalEEZNS1_25segmented_radix_sort_implIS3_Lb0EPKaPaPKlPlN2at6native12_GLOBAL__N_18offset_tEEE10hipError_tPvRmT1_PNSt15iterator_traitsISK_E10value_typeET2_T3_PNSL_ISQ_E10value_typeET4_jRbjT5_SW_jjP12ihipStream_tbEUlT_E1_NS1_11comp_targetILNS1_3genE10ELNS1_11target_archE1201ELNS1_3gpuE5ELNS1_3repE0EEENS1_59segmented_radix_sort_warp_sort_small_config_static_selectorELNS0_4arch9wavefront6targetE0EEEvSK_.num_named_barrier, max(0, .L_ZN7rocprim17ROCPRIM_400000_NS6detail26segmented_warp_sort_helperINS1_20WarpSortHelperConfigILj8ELj4ELj256EEEalLi256ELb0EvE4sortIPKaPaPKlPlEEvT_T0_T1_T2_jjjjRNS5_12storage_typeE.num_named_barrier)
	.set _ZN7rocprim17ROCPRIM_400000_NS6detail17trampoline_kernelINS0_14default_configENS1_36segmented_radix_sort_config_selectorIalEEZNS1_25segmented_radix_sort_implIS3_Lb0EPKaPaPKlPlN2at6native12_GLOBAL__N_18offset_tEEE10hipError_tPvRmT1_PNSt15iterator_traitsISK_E10value_typeET2_T3_PNSL_ISQ_E10value_typeET4_jRbjT5_SW_jjP12ihipStream_tbEUlT_E1_NS1_11comp_targetILNS1_3genE10ELNS1_11target_archE1201ELNS1_3gpuE5ELNS1_3repE0EEENS1_59segmented_radix_sort_warp_sort_small_config_static_selectorELNS0_4arch9wavefront6targetE0EEEvSK_.private_seg_size, 0+max(.L_ZN7rocprim17ROCPRIM_400000_NS6detail26segmented_warp_sort_helperINS1_20WarpSortHelperConfigILj8ELj4ELj256EEEalLi256ELb0EvE4sortIPKaPaPKlPlEEvT_T0_T1_T2_jjjjRNS5_12storage_typeE.private_seg_size)
	.set _ZN7rocprim17ROCPRIM_400000_NS6detail17trampoline_kernelINS0_14default_configENS1_36segmented_radix_sort_config_selectorIalEEZNS1_25segmented_radix_sort_implIS3_Lb0EPKaPaPKlPlN2at6native12_GLOBAL__N_18offset_tEEE10hipError_tPvRmT1_PNSt15iterator_traitsISK_E10value_typeET2_T3_PNSL_ISQ_E10value_typeET4_jRbjT5_SW_jjP12ihipStream_tbEUlT_E1_NS1_11comp_targetILNS1_3genE10ELNS1_11target_archE1201ELNS1_3gpuE5ELNS1_3repE0EEENS1_59segmented_radix_sort_warp_sort_small_config_static_selectorELNS0_4arch9wavefront6targetE0EEEvSK_.uses_vcc, or(1, .L_ZN7rocprim17ROCPRIM_400000_NS6detail26segmented_warp_sort_helperINS1_20WarpSortHelperConfigILj8ELj4ELj256EEEalLi256ELb0EvE4sortIPKaPaPKlPlEEvT_T0_T1_T2_jjjjRNS5_12storage_typeE.uses_vcc)
	.set _ZN7rocprim17ROCPRIM_400000_NS6detail17trampoline_kernelINS0_14default_configENS1_36segmented_radix_sort_config_selectorIalEEZNS1_25segmented_radix_sort_implIS3_Lb0EPKaPaPKlPlN2at6native12_GLOBAL__N_18offset_tEEE10hipError_tPvRmT1_PNSt15iterator_traitsISK_E10value_typeET2_T3_PNSL_ISQ_E10value_typeET4_jRbjT5_SW_jjP12ihipStream_tbEUlT_E1_NS1_11comp_targetILNS1_3genE10ELNS1_11target_archE1201ELNS1_3gpuE5ELNS1_3repE0EEENS1_59segmented_radix_sort_warp_sort_small_config_static_selectorELNS0_4arch9wavefront6targetE0EEEvSK_.uses_flat_scratch, or(0, .L_ZN7rocprim17ROCPRIM_400000_NS6detail26segmented_warp_sort_helperINS1_20WarpSortHelperConfigILj8ELj4ELj256EEEalLi256ELb0EvE4sortIPKaPaPKlPlEEvT_T0_T1_T2_jjjjRNS5_12storage_typeE.uses_flat_scratch)
	.set _ZN7rocprim17ROCPRIM_400000_NS6detail17trampoline_kernelINS0_14default_configENS1_36segmented_radix_sort_config_selectorIalEEZNS1_25segmented_radix_sort_implIS3_Lb0EPKaPaPKlPlN2at6native12_GLOBAL__N_18offset_tEEE10hipError_tPvRmT1_PNSt15iterator_traitsISK_E10value_typeET2_T3_PNSL_ISQ_E10value_typeET4_jRbjT5_SW_jjP12ihipStream_tbEUlT_E1_NS1_11comp_targetILNS1_3genE10ELNS1_11target_archE1201ELNS1_3gpuE5ELNS1_3repE0EEENS1_59segmented_radix_sort_warp_sort_small_config_static_selectorELNS0_4arch9wavefront6targetE0EEEvSK_.has_dyn_sized_stack, or(0, .L_ZN7rocprim17ROCPRIM_400000_NS6detail26segmented_warp_sort_helperINS1_20WarpSortHelperConfigILj8ELj4ELj256EEEalLi256ELb0EvE4sortIPKaPaPKlPlEEvT_T0_T1_T2_jjjjRNS5_12storage_typeE.has_dyn_sized_stack)
	.set _ZN7rocprim17ROCPRIM_400000_NS6detail17trampoline_kernelINS0_14default_configENS1_36segmented_radix_sort_config_selectorIalEEZNS1_25segmented_radix_sort_implIS3_Lb0EPKaPaPKlPlN2at6native12_GLOBAL__N_18offset_tEEE10hipError_tPvRmT1_PNSt15iterator_traitsISK_E10value_typeET2_T3_PNSL_ISQ_E10value_typeET4_jRbjT5_SW_jjP12ihipStream_tbEUlT_E1_NS1_11comp_targetILNS1_3genE10ELNS1_11target_archE1201ELNS1_3gpuE5ELNS1_3repE0EEENS1_59segmented_radix_sort_warp_sort_small_config_static_selectorELNS0_4arch9wavefront6targetE0EEEvSK_.has_recursion, or(0, .L_ZN7rocprim17ROCPRIM_400000_NS6detail26segmented_warp_sort_helperINS1_20WarpSortHelperConfigILj8ELj4ELj256EEEalLi256ELb0EvE4sortIPKaPaPKlPlEEvT_T0_T1_T2_jjjjRNS5_12storage_typeE.has_recursion)
	.set _ZN7rocprim17ROCPRIM_400000_NS6detail17trampoline_kernelINS0_14default_configENS1_36segmented_radix_sort_config_selectorIalEEZNS1_25segmented_radix_sort_implIS3_Lb0EPKaPaPKlPlN2at6native12_GLOBAL__N_18offset_tEEE10hipError_tPvRmT1_PNSt15iterator_traitsISK_E10value_typeET2_T3_PNSL_ISQ_E10value_typeET4_jRbjT5_SW_jjP12ihipStream_tbEUlT_E1_NS1_11comp_targetILNS1_3genE10ELNS1_11target_archE1201ELNS1_3gpuE5ELNS1_3repE0EEENS1_59segmented_radix_sort_warp_sort_small_config_static_selectorELNS0_4arch9wavefront6targetE0EEEvSK_.has_indirect_call, or(0, .L_ZN7rocprim17ROCPRIM_400000_NS6detail26segmented_warp_sort_helperINS1_20WarpSortHelperConfigILj8ELj4ELj256EEEalLi256ELb0EvE4sortIPKaPaPKlPlEEvT_T0_T1_T2_jjjjRNS5_12storage_typeE.has_indirect_call)
	.section	.AMDGPU.csdata,"",@progbits
; Kernel info:
; codeLenInByte = 536
; TotalNumSgprs: 35
; NumVgprs: 51
; ScratchSize: 0
; MemoryBound: 0
; FloatMode: 240
; IeeeMode: 1
; LDSByteSize: 9216 bytes/workgroup (compile time only)
; SGPRBlocks: 0
; VGPRBlocks: 6
; NumSGPRsForWavesPerEU: 35
; NumVGPRsForWavesPerEU: 51
; Occupancy: 16
; WaveLimiterHint : 0
; COMPUTE_PGM_RSRC2:SCRATCH_EN: 0
; COMPUTE_PGM_RSRC2:USER_SGPR: 2
; COMPUTE_PGM_RSRC2:TRAP_HANDLER: 0
; COMPUTE_PGM_RSRC2:TGID_X_EN: 1
; COMPUTE_PGM_RSRC2:TGID_Y_EN: 1
; COMPUTE_PGM_RSRC2:TGID_Z_EN: 0
; COMPUTE_PGM_RSRC2:TIDIG_COMP_CNT: 2
	.section	.text._ZN7rocprim17ROCPRIM_400000_NS6detail17trampoline_kernelINS0_14default_configENS1_36segmented_radix_sort_config_selectorIalEEZNS1_25segmented_radix_sort_implIS3_Lb0EPKaPaPKlPlN2at6native12_GLOBAL__N_18offset_tEEE10hipError_tPvRmT1_PNSt15iterator_traitsISK_E10value_typeET2_T3_PNSL_ISQ_E10value_typeET4_jRbjT5_SW_jjP12ihipStream_tbEUlT_E1_NS1_11comp_targetILNS1_3genE10ELNS1_11target_archE1200ELNS1_3gpuE4ELNS1_3repE0EEENS1_59segmented_radix_sort_warp_sort_small_config_static_selectorELNS0_4arch9wavefront6targetE0EEEvSK_,"axG",@progbits,_ZN7rocprim17ROCPRIM_400000_NS6detail17trampoline_kernelINS0_14default_configENS1_36segmented_radix_sort_config_selectorIalEEZNS1_25segmented_radix_sort_implIS3_Lb0EPKaPaPKlPlN2at6native12_GLOBAL__N_18offset_tEEE10hipError_tPvRmT1_PNSt15iterator_traitsISK_E10value_typeET2_T3_PNSL_ISQ_E10value_typeET4_jRbjT5_SW_jjP12ihipStream_tbEUlT_E1_NS1_11comp_targetILNS1_3genE10ELNS1_11target_archE1200ELNS1_3gpuE4ELNS1_3repE0EEENS1_59segmented_radix_sort_warp_sort_small_config_static_selectorELNS0_4arch9wavefront6targetE0EEEvSK_,comdat
	.globl	_ZN7rocprim17ROCPRIM_400000_NS6detail17trampoline_kernelINS0_14default_configENS1_36segmented_radix_sort_config_selectorIalEEZNS1_25segmented_radix_sort_implIS3_Lb0EPKaPaPKlPlN2at6native12_GLOBAL__N_18offset_tEEE10hipError_tPvRmT1_PNSt15iterator_traitsISK_E10value_typeET2_T3_PNSL_ISQ_E10value_typeET4_jRbjT5_SW_jjP12ihipStream_tbEUlT_E1_NS1_11comp_targetILNS1_3genE10ELNS1_11target_archE1200ELNS1_3gpuE4ELNS1_3repE0EEENS1_59segmented_radix_sort_warp_sort_small_config_static_selectorELNS0_4arch9wavefront6targetE0EEEvSK_ ; -- Begin function _ZN7rocprim17ROCPRIM_400000_NS6detail17trampoline_kernelINS0_14default_configENS1_36segmented_radix_sort_config_selectorIalEEZNS1_25segmented_radix_sort_implIS3_Lb0EPKaPaPKlPlN2at6native12_GLOBAL__N_18offset_tEEE10hipError_tPvRmT1_PNSt15iterator_traitsISK_E10value_typeET2_T3_PNSL_ISQ_E10value_typeET4_jRbjT5_SW_jjP12ihipStream_tbEUlT_E1_NS1_11comp_targetILNS1_3genE10ELNS1_11target_archE1200ELNS1_3gpuE4ELNS1_3repE0EEENS1_59segmented_radix_sort_warp_sort_small_config_static_selectorELNS0_4arch9wavefront6targetE0EEEvSK_
	.p2align	8
	.type	_ZN7rocprim17ROCPRIM_400000_NS6detail17trampoline_kernelINS0_14default_configENS1_36segmented_radix_sort_config_selectorIalEEZNS1_25segmented_radix_sort_implIS3_Lb0EPKaPaPKlPlN2at6native12_GLOBAL__N_18offset_tEEE10hipError_tPvRmT1_PNSt15iterator_traitsISK_E10value_typeET2_T3_PNSL_ISQ_E10value_typeET4_jRbjT5_SW_jjP12ihipStream_tbEUlT_E1_NS1_11comp_targetILNS1_3genE10ELNS1_11target_archE1200ELNS1_3gpuE4ELNS1_3repE0EEENS1_59segmented_radix_sort_warp_sort_small_config_static_selectorELNS0_4arch9wavefront6targetE0EEEvSK_,@function
_ZN7rocprim17ROCPRIM_400000_NS6detail17trampoline_kernelINS0_14default_configENS1_36segmented_radix_sort_config_selectorIalEEZNS1_25segmented_radix_sort_implIS3_Lb0EPKaPaPKlPlN2at6native12_GLOBAL__N_18offset_tEEE10hipError_tPvRmT1_PNSt15iterator_traitsISK_E10value_typeET2_T3_PNSL_ISQ_E10value_typeET4_jRbjT5_SW_jjP12ihipStream_tbEUlT_E1_NS1_11comp_targetILNS1_3genE10ELNS1_11target_archE1200ELNS1_3gpuE4ELNS1_3repE0EEENS1_59segmented_radix_sort_warp_sort_small_config_static_selectorELNS0_4arch9wavefront6targetE0EEEvSK_: ; @_ZN7rocprim17ROCPRIM_400000_NS6detail17trampoline_kernelINS0_14default_configENS1_36segmented_radix_sort_config_selectorIalEEZNS1_25segmented_radix_sort_implIS3_Lb0EPKaPaPKlPlN2at6native12_GLOBAL__N_18offset_tEEE10hipError_tPvRmT1_PNSt15iterator_traitsISK_E10value_typeET2_T3_PNSL_ISQ_E10value_typeET4_jRbjT5_SW_jjP12ihipStream_tbEUlT_E1_NS1_11comp_targetILNS1_3genE10ELNS1_11target_archE1200ELNS1_3gpuE4ELNS1_3repE0EEENS1_59segmented_radix_sort_warp_sort_small_config_static_selectorELNS0_4arch9wavefront6targetE0EEEvSK_
; %bb.0:
	.section	.rodata,"a",@progbits
	.p2align	6, 0x0
	.amdhsa_kernel _ZN7rocprim17ROCPRIM_400000_NS6detail17trampoline_kernelINS0_14default_configENS1_36segmented_radix_sort_config_selectorIalEEZNS1_25segmented_radix_sort_implIS3_Lb0EPKaPaPKlPlN2at6native12_GLOBAL__N_18offset_tEEE10hipError_tPvRmT1_PNSt15iterator_traitsISK_E10value_typeET2_T3_PNSL_ISQ_E10value_typeET4_jRbjT5_SW_jjP12ihipStream_tbEUlT_E1_NS1_11comp_targetILNS1_3genE10ELNS1_11target_archE1200ELNS1_3gpuE4ELNS1_3repE0EEENS1_59segmented_radix_sort_warp_sort_small_config_static_selectorELNS0_4arch9wavefront6targetE0EEEvSK_
		.amdhsa_group_segment_fixed_size 0
		.amdhsa_private_segment_fixed_size 0
		.amdhsa_kernarg_size 88
		.amdhsa_user_sgpr_count 2
		.amdhsa_user_sgpr_dispatch_ptr 0
		.amdhsa_user_sgpr_queue_ptr 0
		.amdhsa_user_sgpr_kernarg_segment_ptr 1
		.amdhsa_user_sgpr_dispatch_id 0
		.amdhsa_user_sgpr_private_segment_size 0
		.amdhsa_wavefront_size32 1
		.amdhsa_uses_dynamic_stack 0
		.amdhsa_enable_private_segment 0
		.amdhsa_system_sgpr_workgroup_id_x 1
		.amdhsa_system_sgpr_workgroup_id_y 0
		.amdhsa_system_sgpr_workgroup_id_z 0
		.amdhsa_system_sgpr_workgroup_info 0
		.amdhsa_system_vgpr_workitem_id 0
		.amdhsa_next_free_vgpr 1
		.amdhsa_next_free_sgpr 1
		.amdhsa_reserve_vcc 0
		.amdhsa_float_round_mode_32 0
		.amdhsa_float_round_mode_16_64 0
		.amdhsa_float_denorm_mode_32 3
		.amdhsa_float_denorm_mode_16_64 3
		.amdhsa_fp16_overflow 0
		.amdhsa_workgroup_processor_mode 1
		.amdhsa_memory_ordered 1
		.amdhsa_forward_progress 1
		.amdhsa_inst_pref_size 0
		.amdhsa_round_robin_scheduling 0
		.amdhsa_exception_fp_ieee_invalid_op 0
		.amdhsa_exception_fp_denorm_src 0
		.amdhsa_exception_fp_ieee_div_zero 0
		.amdhsa_exception_fp_ieee_overflow 0
		.amdhsa_exception_fp_ieee_underflow 0
		.amdhsa_exception_fp_ieee_inexact 0
		.amdhsa_exception_int_div_zero 0
	.end_amdhsa_kernel
	.section	.text._ZN7rocprim17ROCPRIM_400000_NS6detail17trampoline_kernelINS0_14default_configENS1_36segmented_radix_sort_config_selectorIalEEZNS1_25segmented_radix_sort_implIS3_Lb0EPKaPaPKlPlN2at6native12_GLOBAL__N_18offset_tEEE10hipError_tPvRmT1_PNSt15iterator_traitsISK_E10value_typeET2_T3_PNSL_ISQ_E10value_typeET4_jRbjT5_SW_jjP12ihipStream_tbEUlT_E1_NS1_11comp_targetILNS1_3genE10ELNS1_11target_archE1200ELNS1_3gpuE4ELNS1_3repE0EEENS1_59segmented_radix_sort_warp_sort_small_config_static_selectorELNS0_4arch9wavefront6targetE0EEEvSK_,"axG",@progbits,_ZN7rocprim17ROCPRIM_400000_NS6detail17trampoline_kernelINS0_14default_configENS1_36segmented_radix_sort_config_selectorIalEEZNS1_25segmented_radix_sort_implIS3_Lb0EPKaPaPKlPlN2at6native12_GLOBAL__N_18offset_tEEE10hipError_tPvRmT1_PNSt15iterator_traitsISK_E10value_typeET2_T3_PNSL_ISQ_E10value_typeET4_jRbjT5_SW_jjP12ihipStream_tbEUlT_E1_NS1_11comp_targetILNS1_3genE10ELNS1_11target_archE1200ELNS1_3gpuE4ELNS1_3repE0EEENS1_59segmented_radix_sort_warp_sort_small_config_static_selectorELNS0_4arch9wavefront6targetE0EEEvSK_,comdat
.Lfunc_end420:
	.size	_ZN7rocprim17ROCPRIM_400000_NS6detail17trampoline_kernelINS0_14default_configENS1_36segmented_radix_sort_config_selectorIalEEZNS1_25segmented_radix_sort_implIS3_Lb0EPKaPaPKlPlN2at6native12_GLOBAL__N_18offset_tEEE10hipError_tPvRmT1_PNSt15iterator_traitsISK_E10value_typeET2_T3_PNSL_ISQ_E10value_typeET4_jRbjT5_SW_jjP12ihipStream_tbEUlT_E1_NS1_11comp_targetILNS1_3genE10ELNS1_11target_archE1200ELNS1_3gpuE4ELNS1_3repE0EEENS1_59segmented_radix_sort_warp_sort_small_config_static_selectorELNS0_4arch9wavefront6targetE0EEEvSK_, .Lfunc_end420-_ZN7rocprim17ROCPRIM_400000_NS6detail17trampoline_kernelINS0_14default_configENS1_36segmented_radix_sort_config_selectorIalEEZNS1_25segmented_radix_sort_implIS3_Lb0EPKaPaPKlPlN2at6native12_GLOBAL__N_18offset_tEEE10hipError_tPvRmT1_PNSt15iterator_traitsISK_E10value_typeET2_T3_PNSL_ISQ_E10value_typeET4_jRbjT5_SW_jjP12ihipStream_tbEUlT_E1_NS1_11comp_targetILNS1_3genE10ELNS1_11target_archE1200ELNS1_3gpuE4ELNS1_3repE0EEENS1_59segmented_radix_sort_warp_sort_small_config_static_selectorELNS0_4arch9wavefront6targetE0EEEvSK_
                                        ; -- End function
	.set _ZN7rocprim17ROCPRIM_400000_NS6detail17trampoline_kernelINS0_14default_configENS1_36segmented_radix_sort_config_selectorIalEEZNS1_25segmented_radix_sort_implIS3_Lb0EPKaPaPKlPlN2at6native12_GLOBAL__N_18offset_tEEE10hipError_tPvRmT1_PNSt15iterator_traitsISK_E10value_typeET2_T3_PNSL_ISQ_E10value_typeET4_jRbjT5_SW_jjP12ihipStream_tbEUlT_E1_NS1_11comp_targetILNS1_3genE10ELNS1_11target_archE1200ELNS1_3gpuE4ELNS1_3repE0EEENS1_59segmented_radix_sort_warp_sort_small_config_static_selectorELNS0_4arch9wavefront6targetE0EEEvSK_.num_vgpr, 0
	.set _ZN7rocprim17ROCPRIM_400000_NS6detail17trampoline_kernelINS0_14default_configENS1_36segmented_radix_sort_config_selectorIalEEZNS1_25segmented_radix_sort_implIS3_Lb0EPKaPaPKlPlN2at6native12_GLOBAL__N_18offset_tEEE10hipError_tPvRmT1_PNSt15iterator_traitsISK_E10value_typeET2_T3_PNSL_ISQ_E10value_typeET4_jRbjT5_SW_jjP12ihipStream_tbEUlT_E1_NS1_11comp_targetILNS1_3genE10ELNS1_11target_archE1200ELNS1_3gpuE4ELNS1_3repE0EEENS1_59segmented_radix_sort_warp_sort_small_config_static_selectorELNS0_4arch9wavefront6targetE0EEEvSK_.num_agpr, 0
	.set _ZN7rocprim17ROCPRIM_400000_NS6detail17trampoline_kernelINS0_14default_configENS1_36segmented_radix_sort_config_selectorIalEEZNS1_25segmented_radix_sort_implIS3_Lb0EPKaPaPKlPlN2at6native12_GLOBAL__N_18offset_tEEE10hipError_tPvRmT1_PNSt15iterator_traitsISK_E10value_typeET2_T3_PNSL_ISQ_E10value_typeET4_jRbjT5_SW_jjP12ihipStream_tbEUlT_E1_NS1_11comp_targetILNS1_3genE10ELNS1_11target_archE1200ELNS1_3gpuE4ELNS1_3repE0EEENS1_59segmented_radix_sort_warp_sort_small_config_static_selectorELNS0_4arch9wavefront6targetE0EEEvSK_.numbered_sgpr, 0
	.set _ZN7rocprim17ROCPRIM_400000_NS6detail17trampoline_kernelINS0_14default_configENS1_36segmented_radix_sort_config_selectorIalEEZNS1_25segmented_radix_sort_implIS3_Lb0EPKaPaPKlPlN2at6native12_GLOBAL__N_18offset_tEEE10hipError_tPvRmT1_PNSt15iterator_traitsISK_E10value_typeET2_T3_PNSL_ISQ_E10value_typeET4_jRbjT5_SW_jjP12ihipStream_tbEUlT_E1_NS1_11comp_targetILNS1_3genE10ELNS1_11target_archE1200ELNS1_3gpuE4ELNS1_3repE0EEENS1_59segmented_radix_sort_warp_sort_small_config_static_selectorELNS0_4arch9wavefront6targetE0EEEvSK_.num_named_barrier, 0
	.set _ZN7rocprim17ROCPRIM_400000_NS6detail17trampoline_kernelINS0_14default_configENS1_36segmented_radix_sort_config_selectorIalEEZNS1_25segmented_radix_sort_implIS3_Lb0EPKaPaPKlPlN2at6native12_GLOBAL__N_18offset_tEEE10hipError_tPvRmT1_PNSt15iterator_traitsISK_E10value_typeET2_T3_PNSL_ISQ_E10value_typeET4_jRbjT5_SW_jjP12ihipStream_tbEUlT_E1_NS1_11comp_targetILNS1_3genE10ELNS1_11target_archE1200ELNS1_3gpuE4ELNS1_3repE0EEENS1_59segmented_radix_sort_warp_sort_small_config_static_selectorELNS0_4arch9wavefront6targetE0EEEvSK_.private_seg_size, 0
	.set _ZN7rocprim17ROCPRIM_400000_NS6detail17trampoline_kernelINS0_14default_configENS1_36segmented_radix_sort_config_selectorIalEEZNS1_25segmented_radix_sort_implIS3_Lb0EPKaPaPKlPlN2at6native12_GLOBAL__N_18offset_tEEE10hipError_tPvRmT1_PNSt15iterator_traitsISK_E10value_typeET2_T3_PNSL_ISQ_E10value_typeET4_jRbjT5_SW_jjP12ihipStream_tbEUlT_E1_NS1_11comp_targetILNS1_3genE10ELNS1_11target_archE1200ELNS1_3gpuE4ELNS1_3repE0EEENS1_59segmented_radix_sort_warp_sort_small_config_static_selectorELNS0_4arch9wavefront6targetE0EEEvSK_.uses_vcc, 0
	.set _ZN7rocprim17ROCPRIM_400000_NS6detail17trampoline_kernelINS0_14default_configENS1_36segmented_radix_sort_config_selectorIalEEZNS1_25segmented_radix_sort_implIS3_Lb0EPKaPaPKlPlN2at6native12_GLOBAL__N_18offset_tEEE10hipError_tPvRmT1_PNSt15iterator_traitsISK_E10value_typeET2_T3_PNSL_ISQ_E10value_typeET4_jRbjT5_SW_jjP12ihipStream_tbEUlT_E1_NS1_11comp_targetILNS1_3genE10ELNS1_11target_archE1200ELNS1_3gpuE4ELNS1_3repE0EEENS1_59segmented_radix_sort_warp_sort_small_config_static_selectorELNS0_4arch9wavefront6targetE0EEEvSK_.uses_flat_scratch, 0
	.set _ZN7rocprim17ROCPRIM_400000_NS6detail17trampoline_kernelINS0_14default_configENS1_36segmented_radix_sort_config_selectorIalEEZNS1_25segmented_radix_sort_implIS3_Lb0EPKaPaPKlPlN2at6native12_GLOBAL__N_18offset_tEEE10hipError_tPvRmT1_PNSt15iterator_traitsISK_E10value_typeET2_T3_PNSL_ISQ_E10value_typeET4_jRbjT5_SW_jjP12ihipStream_tbEUlT_E1_NS1_11comp_targetILNS1_3genE10ELNS1_11target_archE1200ELNS1_3gpuE4ELNS1_3repE0EEENS1_59segmented_radix_sort_warp_sort_small_config_static_selectorELNS0_4arch9wavefront6targetE0EEEvSK_.has_dyn_sized_stack, 0
	.set _ZN7rocprim17ROCPRIM_400000_NS6detail17trampoline_kernelINS0_14default_configENS1_36segmented_radix_sort_config_selectorIalEEZNS1_25segmented_radix_sort_implIS3_Lb0EPKaPaPKlPlN2at6native12_GLOBAL__N_18offset_tEEE10hipError_tPvRmT1_PNSt15iterator_traitsISK_E10value_typeET2_T3_PNSL_ISQ_E10value_typeET4_jRbjT5_SW_jjP12ihipStream_tbEUlT_E1_NS1_11comp_targetILNS1_3genE10ELNS1_11target_archE1200ELNS1_3gpuE4ELNS1_3repE0EEENS1_59segmented_radix_sort_warp_sort_small_config_static_selectorELNS0_4arch9wavefront6targetE0EEEvSK_.has_recursion, 0
	.set _ZN7rocprim17ROCPRIM_400000_NS6detail17trampoline_kernelINS0_14default_configENS1_36segmented_radix_sort_config_selectorIalEEZNS1_25segmented_radix_sort_implIS3_Lb0EPKaPaPKlPlN2at6native12_GLOBAL__N_18offset_tEEE10hipError_tPvRmT1_PNSt15iterator_traitsISK_E10value_typeET2_T3_PNSL_ISQ_E10value_typeET4_jRbjT5_SW_jjP12ihipStream_tbEUlT_E1_NS1_11comp_targetILNS1_3genE10ELNS1_11target_archE1200ELNS1_3gpuE4ELNS1_3repE0EEENS1_59segmented_radix_sort_warp_sort_small_config_static_selectorELNS0_4arch9wavefront6targetE0EEEvSK_.has_indirect_call, 0
	.section	.AMDGPU.csdata,"",@progbits
; Kernel info:
; codeLenInByte = 0
; TotalNumSgprs: 0
; NumVgprs: 0
; ScratchSize: 0
; MemoryBound: 0
; FloatMode: 240
; IeeeMode: 1
; LDSByteSize: 0 bytes/workgroup (compile time only)
; SGPRBlocks: 0
; VGPRBlocks: 0
; NumSGPRsForWavesPerEU: 1
; NumVGPRsForWavesPerEU: 1
; Occupancy: 16
; WaveLimiterHint : 0
; COMPUTE_PGM_RSRC2:SCRATCH_EN: 0
; COMPUTE_PGM_RSRC2:USER_SGPR: 2
; COMPUTE_PGM_RSRC2:TRAP_HANDLER: 0
; COMPUTE_PGM_RSRC2:TGID_X_EN: 1
; COMPUTE_PGM_RSRC2:TGID_Y_EN: 0
; COMPUTE_PGM_RSRC2:TGID_Z_EN: 0
; COMPUTE_PGM_RSRC2:TIDIG_COMP_CNT: 0
	.section	.text._ZN7rocprim17ROCPRIM_400000_NS6detail17trampoline_kernelINS0_14default_configENS1_36segmented_radix_sort_config_selectorIalEEZNS1_25segmented_radix_sort_implIS3_Lb0EPKaPaPKlPlN2at6native12_GLOBAL__N_18offset_tEEE10hipError_tPvRmT1_PNSt15iterator_traitsISK_E10value_typeET2_T3_PNSL_ISQ_E10value_typeET4_jRbjT5_SW_jjP12ihipStream_tbEUlT_E1_NS1_11comp_targetILNS1_3genE9ELNS1_11target_archE1100ELNS1_3gpuE3ELNS1_3repE0EEENS1_59segmented_radix_sort_warp_sort_small_config_static_selectorELNS0_4arch9wavefront6targetE0EEEvSK_,"axG",@progbits,_ZN7rocprim17ROCPRIM_400000_NS6detail17trampoline_kernelINS0_14default_configENS1_36segmented_radix_sort_config_selectorIalEEZNS1_25segmented_radix_sort_implIS3_Lb0EPKaPaPKlPlN2at6native12_GLOBAL__N_18offset_tEEE10hipError_tPvRmT1_PNSt15iterator_traitsISK_E10value_typeET2_T3_PNSL_ISQ_E10value_typeET4_jRbjT5_SW_jjP12ihipStream_tbEUlT_E1_NS1_11comp_targetILNS1_3genE9ELNS1_11target_archE1100ELNS1_3gpuE3ELNS1_3repE0EEENS1_59segmented_radix_sort_warp_sort_small_config_static_selectorELNS0_4arch9wavefront6targetE0EEEvSK_,comdat
	.globl	_ZN7rocprim17ROCPRIM_400000_NS6detail17trampoline_kernelINS0_14default_configENS1_36segmented_radix_sort_config_selectorIalEEZNS1_25segmented_radix_sort_implIS3_Lb0EPKaPaPKlPlN2at6native12_GLOBAL__N_18offset_tEEE10hipError_tPvRmT1_PNSt15iterator_traitsISK_E10value_typeET2_T3_PNSL_ISQ_E10value_typeET4_jRbjT5_SW_jjP12ihipStream_tbEUlT_E1_NS1_11comp_targetILNS1_3genE9ELNS1_11target_archE1100ELNS1_3gpuE3ELNS1_3repE0EEENS1_59segmented_radix_sort_warp_sort_small_config_static_selectorELNS0_4arch9wavefront6targetE0EEEvSK_ ; -- Begin function _ZN7rocprim17ROCPRIM_400000_NS6detail17trampoline_kernelINS0_14default_configENS1_36segmented_radix_sort_config_selectorIalEEZNS1_25segmented_radix_sort_implIS3_Lb0EPKaPaPKlPlN2at6native12_GLOBAL__N_18offset_tEEE10hipError_tPvRmT1_PNSt15iterator_traitsISK_E10value_typeET2_T3_PNSL_ISQ_E10value_typeET4_jRbjT5_SW_jjP12ihipStream_tbEUlT_E1_NS1_11comp_targetILNS1_3genE9ELNS1_11target_archE1100ELNS1_3gpuE3ELNS1_3repE0EEENS1_59segmented_radix_sort_warp_sort_small_config_static_selectorELNS0_4arch9wavefront6targetE0EEEvSK_
	.p2align	8
	.type	_ZN7rocprim17ROCPRIM_400000_NS6detail17trampoline_kernelINS0_14default_configENS1_36segmented_radix_sort_config_selectorIalEEZNS1_25segmented_radix_sort_implIS3_Lb0EPKaPaPKlPlN2at6native12_GLOBAL__N_18offset_tEEE10hipError_tPvRmT1_PNSt15iterator_traitsISK_E10value_typeET2_T3_PNSL_ISQ_E10value_typeET4_jRbjT5_SW_jjP12ihipStream_tbEUlT_E1_NS1_11comp_targetILNS1_3genE9ELNS1_11target_archE1100ELNS1_3gpuE3ELNS1_3repE0EEENS1_59segmented_radix_sort_warp_sort_small_config_static_selectorELNS0_4arch9wavefront6targetE0EEEvSK_,@function
_ZN7rocprim17ROCPRIM_400000_NS6detail17trampoline_kernelINS0_14default_configENS1_36segmented_radix_sort_config_selectorIalEEZNS1_25segmented_radix_sort_implIS3_Lb0EPKaPaPKlPlN2at6native12_GLOBAL__N_18offset_tEEE10hipError_tPvRmT1_PNSt15iterator_traitsISK_E10value_typeET2_T3_PNSL_ISQ_E10value_typeET4_jRbjT5_SW_jjP12ihipStream_tbEUlT_E1_NS1_11comp_targetILNS1_3genE9ELNS1_11target_archE1100ELNS1_3gpuE3ELNS1_3repE0EEENS1_59segmented_radix_sort_warp_sort_small_config_static_selectorELNS0_4arch9wavefront6targetE0EEEvSK_: ; @_ZN7rocprim17ROCPRIM_400000_NS6detail17trampoline_kernelINS0_14default_configENS1_36segmented_radix_sort_config_selectorIalEEZNS1_25segmented_radix_sort_implIS3_Lb0EPKaPaPKlPlN2at6native12_GLOBAL__N_18offset_tEEE10hipError_tPvRmT1_PNSt15iterator_traitsISK_E10value_typeET2_T3_PNSL_ISQ_E10value_typeET4_jRbjT5_SW_jjP12ihipStream_tbEUlT_E1_NS1_11comp_targetILNS1_3genE9ELNS1_11target_archE1100ELNS1_3gpuE3ELNS1_3repE0EEENS1_59segmented_radix_sort_warp_sort_small_config_static_selectorELNS0_4arch9wavefront6targetE0EEEvSK_
; %bb.0:
	.section	.rodata,"a",@progbits
	.p2align	6, 0x0
	.amdhsa_kernel _ZN7rocprim17ROCPRIM_400000_NS6detail17trampoline_kernelINS0_14default_configENS1_36segmented_radix_sort_config_selectorIalEEZNS1_25segmented_radix_sort_implIS3_Lb0EPKaPaPKlPlN2at6native12_GLOBAL__N_18offset_tEEE10hipError_tPvRmT1_PNSt15iterator_traitsISK_E10value_typeET2_T3_PNSL_ISQ_E10value_typeET4_jRbjT5_SW_jjP12ihipStream_tbEUlT_E1_NS1_11comp_targetILNS1_3genE9ELNS1_11target_archE1100ELNS1_3gpuE3ELNS1_3repE0EEENS1_59segmented_radix_sort_warp_sort_small_config_static_selectorELNS0_4arch9wavefront6targetE0EEEvSK_
		.amdhsa_group_segment_fixed_size 0
		.amdhsa_private_segment_fixed_size 0
		.amdhsa_kernarg_size 88
		.amdhsa_user_sgpr_count 2
		.amdhsa_user_sgpr_dispatch_ptr 0
		.amdhsa_user_sgpr_queue_ptr 0
		.amdhsa_user_sgpr_kernarg_segment_ptr 1
		.amdhsa_user_sgpr_dispatch_id 0
		.amdhsa_user_sgpr_private_segment_size 0
		.amdhsa_wavefront_size32 1
		.amdhsa_uses_dynamic_stack 0
		.amdhsa_enable_private_segment 0
		.amdhsa_system_sgpr_workgroup_id_x 1
		.amdhsa_system_sgpr_workgroup_id_y 0
		.amdhsa_system_sgpr_workgroup_id_z 0
		.amdhsa_system_sgpr_workgroup_info 0
		.amdhsa_system_vgpr_workitem_id 0
		.amdhsa_next_free_vgpr 1
		.amdhsa_next_free_sgpr 1
		.amdhsa_reserve_vcc 0
		.amdhsa_float_round_mode_32 0
		.amdhsa_float_round_mode_16_64 0
		.amdhsa_float_denorm_mode_32 3
		.amdhsa_float_denorm_mode_16_64 3
		.amdhsa_fp16_overflow 0
		.amdhsa_workgroup_processor_mode 1
		.amdhsa_memory_ordered 1
		.amdhsa_forward_progress 1
		.amdhsa_inst_pref_size 0
		.amdhsa_round_robin_scheduling 0
		.amdhsa_exception_fp_ieee_invalid_op 0
		.amdhsa_exception_fp_denorm_src 0
		.amdhsa_exception_fp_ieee_div_zero 0
		.amdhsa_exception_fp_ieee_overflow 0
		.amdhsa_exception_fp_ieee_underflow 0
		.amdhsa_exception_fp_ieee_inexact 0
		.amdhsa_exception_int_div_zero 0
	.end_amdhsa_kernel
	.section	.text._ZN7rocprim17ROCPRIM_400000_NS6detail17trampoline_kernelINS0_14default_configENS1_36segmented_radix_sort_config_selectorIalEEZNS1_25segmented_radix_sort_implIS3_Lb0EPKaPaPKlPlN2at6native12_GLOBAL__N_18offset_tEEE10hipError_tPvRmT1_PNSt15iterator_traitsISK_E10value_typeET2_T3_PNSL_ISQ_E10value_typeET4_jRbjT5_SW_jjP12ihipStream_tbEUlT_E1_NS1_11comp_targetILNS1_3genE9ELNS1_11target_archE1100ELNS1_3gpuE3ELNS1_3repE0EEENS1_59segmented_radix_sort_warp_sort_small_config_static_selectorELNS0_4arch9wavefront6targetE0EEEvSK_,"axG",@progbits,_ZN7rocprim17ROCPRIM_400000_NS6detail17trampoline_kernelINS0_14default_configENS1_36segmented_radix_sort_config_selectorIalEEZNS1_25segmented_radix_sort_implIS3_Lb0EPKaPaPKlPlN2at6native12_GLOBAL__N_18offset_tEEE10hipError_tPvRmT1_PNSt15iterator_traitsISK_E10value_typeET2_T3_PNSL_ISQ_E10value_typeET4_jRbjT5_SW_jjP12ihipStream_tbEUlT_E1_NS1_11comp_targetILNS1_3genE9ELNS1_11target_archE1100ELNS1_3gpuE3ELNS1_3repE0EEENS1_59segmented_radix_sort_warp_sort_small_config_static_selectorELNS0_4arch9wavefront6targetE0EEEvSK_,comdat
.Lfunc_end421:
	.size	_ZN7rocprim17ROCPRIM_400000_NS6detail17trampoline_kernelINS0_14default_configENS1_36segmented_radix_sort_config_selectorIalEEZNS1_25segmented_radix_sort_implIS3_Lb0EPKaPaPKlPlN2at6native12_GLOBAL__N_18offset_tEEE10hipError_tPvRmT1_PNSt15iterator_traitsISK_E10value_typeET2_T3_PNSL_ISQ_E10value_typeET4_jRbjT5_SW_jjP12ihipStream_tbEUlT_E1_NS1_11comp_targetILNS1_3genE9ELNS1_11target_archE1100ELNS1_3gpuE3ELNS1_3repE0EEENS1_59segmented_radix_sort_warp_sort_small_config_static_selectorELNS0_4arch9wavefront6targetE0EEEvSK_, .Lfunc_end421-_ZN7rocprim17ROCPRIM_400000_NS6detail17trampoline_kernelINS0_14default_configENS1_36segmented_radix_sort_config_selectorIalEEZNS1_25segmented_radix_sort_implIS3_Lb0EPKaPaPKlPlN2at6native12_GLOBAL__N_18offset_tEEE10hipError_tPvRmT1_PNSt15iterator_traitsISK_E10value_typeET2_T3_PNSL_ISQ_E10value_typeET4_jRbjT5_SW_jjP12ihipStream_tbEUlT_E1_NS1_11comp_targetILNS1_3genE9ELNS1_11target_archE1100ELNS1_3gpuE3ELNS1_3repE0EEENS1_59segmented_radix_sort_warp_sort_small_config_static_selectorELNS0_4arch9wavefront6targetE0EEEvSK_
                                        ; -- End function
	.set _ZN7rocprim17ROCPRIM_400000_NS6detail17trampoline_kernelINS0_14default_configENS1_36segmented_radix_sort_config_selectorIalEEZNS1_25segmented_radix_sort_implIS3_Lb0EPKaPaPKlPlN2at6native12_GLOBAL__N_18offset_tEEE10hipError_tPvRmT1_PNSt15iterator_traitsISK_E10value_typeET2_T3_PNSL_ISQ_E10value_typeET4_jRbjT5_SW_jjP12ihipStream_tbEUlT_E1_NS1_11comp_targetILNS1_3genE9ELNS1_11target_archE1100ELNS1_3gpuE3ELNS1_3repE0EEENS1_59segmented_radix_sort_warp_sort_small_config_static_selectorELNS0_4arch9wavefront6targetE0EEEvSK_.num_vgpr, 0
	.set _ZN7rocprim17ROCPRIM_400000_NS6detail17trampoline_kernelINS0_14default_configENS1_36segmented_radix_sort_config_selectorIalEEZNS1_25segmented_radix_sort_implIS3_Lb0EPKaPaPKlPlN2at6native12_GLOBAL__N_18offset_tEEE10hipError_tPvRmT1_PNSt15iterator_traitsISK_E10value_typeET2_T3_PNSL_ISQ_E10value_typeET4_jRbjT5_SW_jjP12ihipStream_tbEUlT_E1_NS1_11comp_targetILNS1_3genE9ELNS1_11target_archE1100ELNS1_3gpuE3ELNS1_3repE0EEENS1_59segmented_radix_sort_warp_sort_small_config_static_selectorELNS0_4arch9wavefront6targetE0EEEvSK_.num_agpr, 0
	.set _ZN7rocprim17ROCPRIM_400000_NS6detail17trampoline_kernelINS0_14default_configENS1_36segmented_radix_sort_config_selectorIalEEZNS1_25segmented_radix_sort_implIS3_Lb0EPKaPaPKlPlN2at6native12_GLOBAL__N_18offset_tEEE10hipError_tPvRmT1_PNSt15iterator_traitsISK_E10value_typeET2_T3_PNSL_ISQ_E10value_typeET4_jRbjT5_SW_jjP12ihipStream_tbEUlT_E1_NS1_11comp_targetILNS1_3genE9ELNS1_11target_archE1100ELNS1_3gpuE3ELNS1_3repE0EEENS1_59segmented_radix_sort_warp_sort_small_config_static_selectorELNS0_4arch9wavefront6targetE0EEEvSK_.numbered_sgpr, 0
	.set _ZN7rocprim17ROCPRIM_400000_NS6detail17trampoline_kernelINS0_14default_configENS1_36segmented_radix_sort_config_selectorIalEEZNS1_25segmented_radix_sort_implIS3_Lb0EPKaPaPKlPlN2at6native12_GLOBAL__N_18offset_tEEE10hipError_tPvRmT1_PNSt15iterator_traitsISK_E10value_typeET2_T3_PNSL_ISQ_E10value_typeET4_jRbjT5_SW_jjP12ihipStream_tbEUlT_E1_NS1_11comp_targetILNS1_3genE9ELNS1_11target_archE1100ELNS1_3gpuE3ELNS1_3repE0EEENS1_59segmented_radix_sort_warp_sort_small_config_static_selectorELNS0_4arch9wavefront6targetE0EEEvSK_.num_named_barrier, 0
	.set _ZN7rocprim17ROCPRIM_400000_NS6detail17trampoline_kernelINS0_14default_configENS1_36segmented_radix_sort_config_selectorIalEEZNS1_25segmented_radix_sort_implIS3_Lb0EPKaPaPKlPlN2at6native12_GLOBAL__N_18offset_tEEE10hipError_tPvRmT1_PNSt15iterator_traitsISK_E10value_typeET2_T3_PNSL_ISQ_E10value_typeET4_jRbjT5_SW_jjP12ihipStream_tbEUlT_E1_NS1_11comp_targetILNS1_3genE9ELNS1_11target_archE1100ELNS1_3gpuE3ELNS1_3repE0EEENS1_59segmented_radix_sort_warp_sort_small_config_static_selectorELNS0_4arch9wavefront6targetE0EEEvSK_.private_seg_size, 0
	.set _ZN7rocprim17ROCPRIM_400000_NS6detail17trampoline_kernelINS0_14default_configENS1_36segmented_radix_sort_config_selectorIalEEZNS1_25segmented_radix_sort_implIS3_Lb0EPKaPaPKlPlN2at6native12_GLOBAL__N_18offset_tEEE10hipError_tPvRmT1_PNSt15iterator_traitsISK_E10value_typeET2_T3_PNSL_ISQ_E10value_typeET4_jRbjT5_SW_jjP12ihipStream_tbEUlT_E1_NS1_11comp_targetILNS1_3genE9ELNS1_11target_archE1100ELNS1_3gpuE3ELNS1_3repE0EEENS1_59segmented_radix_sort_warp_sort_small_config_static_selectorELNS0_4arch9wavefront6targetE0EEEvSK_.uses_vcc, 0
	.set _ZN7rocprim17ROCPRIM_400000_NS6detail17trampoline_kernelINS0_14default_configENS1_36segmented_radix_sort_config_selectorIalEEZNS1_25segmented_radix_sort_implIS3_Lb0EPKaPaPKlPlN2at6native12_GLOBAL__N_18offset_tEEE10hipError_tPvRmT1_PNSt15iterator_traitsISK_E10value_typeET2_T3_PNSL_ISQ_E10value_typeET4_jRbjT5_SW_jjP12ihipStream_tbEUlT_E1_NS1_11comp_targetILNS1_3genE9ELNS1_11target_archE1100ELNS1_3gpuE3ELNS1_3repE0EEENS1_59segmented_radix_sort_warp_sort_small_config_static_selectorELNS0_4arch9wavefront6targetE0EEEvSK_.uses_flat_scratch, 0
	.set _ZN7rocprim17ROCPRIM_400000_NS6detail17trampoline_kernelINS0_14default_configENS1_36segmented_radix_sort_config_selectorIalEEZNS1_25segmented_radix_sort_implIS3_Lb0EPKaPaPKlPlN2at6native12_GLOBAL__N_18offset_tEEE10hipError_tPvRmT1_PNSt15iterator_traitsISK_E10value_typeET2_T3_PNSL_ISQ_E10value_typeET4_jRbjT5_SW_jjP12ihipStream_tbEUlT_E1_NS1_11comp_targetILNS1_3genE9ELNS1_11target_archE1100ELNS1_3gpuE3ELNS1_3repE0EEENS1_59segmented_radix_sort_warp_sort_small_config_static_selectorELNS0_4arch9wavefront6targetE0EEEvSK_.has_dyn_sized_stack, 0
	.set _ZN7rocprim17ROCPRIM_400000_NS6detail17trampoline_kernelINS0_14default_configENS1_36segmented_radix_sort_config_selectorIalEEZNS1_25segmented_radix_sort_implIS3_Lb0EPKaPaPKlPlN2at6native12_GLOBAL__N_18offset_tEEE10hipError_tPvRmT1_PNSt15iterator_traitsISK_E10value_typeET2_T3_PNSL_ISQ_E10value_typeET4_jRbjT5_SW_jjP12ihipStream_tbEUlT_E1_NS1_11comp_targetILNS1_3genE9ELNS1_11target_archE1100ELNS1_3gpuE3ELNS1_3repE0EEENS1_59segmented_radix_sort_warp_sort_small_config_static_selectorELNS0_4arch9wavefront6targetE0EEEvSK_.has_recursion, 0
	.set _ZN7rocprim17ROCPRIM_400000_NS6detail17trampoline_kernelINS0_14default_configENS1_36segmented_radix_sort_config_selectorIalEEZNS1_25segmented_radix_sort_implIS3_Lb0EPKaPaPKlPlN2at6native12_GLOBAL__N_18offset_tEEE10hipError_tPvRmT1_PNSt15iterator_traitsISK_E10value_typeET2_T3_PNSL_ISQ_E10value_typeET4_jRbjT5_SW_jjP12ihipStream_tbEUlT_E1_NS1_11comp_targetILNS1_3genE9ELNS1_11target_archE1100ELNS1_3gpuE3ELNS1_3repE0EEENS1_59segmented_radix_sort_warp_sort_small_config_static_selectorELNS0_4arch9wavefront6targetE0EEEvSK_.has_indirect_call, 0
	.section	.AMDGPU.csdata,"",@progbits
; Kernel info:
; codeLenInByte = 0
; TotalNumSgprs: 0
; NumVgprs: 0
; ScratchSize: 0
; MemoryBound: 0
; FloatMode: 240
; IeeeMode: 1
; LDSByteSize: 0 bytes/workgroup (compile time only)
; SGPRBlocks: 0
; VGPRBlocks: 0
; NumSGPRsForWavesPerEU: 1
; NumVGPRsForWavesPerEU: 1
; Occupancy: 16
; WaveLimiterHint : 0
; COMPUTE_PGM_RSRC2:SCRATCH_EN: 0
; COMPUTE_PGM_RSRC2:USER_SGPR: 2
; COMPUTE_PGM_RSRC2:TRAP_HANDLER: 0
; COMPUTE_PGM_RSRC2:TGID_X_EN: 1
; COMPUTE_PGM_RSRC2:TGID_Y_EN: 0
; COMPUTE_PGM_RSRC2:TGID_Z_EN: 0
; COMPUTE_PGM_RSRC2:TIDIG_COMP_CNT: 0
	.section	.text._ZN7rocprim17ROCPRIM_400000_NS6detail17trampoline_kernelINS0_14default_configENS1_36segmented_radix_sort_config_selectorIalEEZNS1_25segmented_radix_sort_implIS3_Lb0EPKaPaPKlPlN2at6native12_GLOBAL__N_18offset_tEEE10hipError_tPvRmT1_PNSt15iterator_traitsISK_E10value_typeET2_T3_PNSL_ISQ_E10value_typeET4_jRbjT5_SW_jjP12ihipStream_tbEUlT_E1_NS1_11comp_targetILNS1_3genE8ELNS1_11target_archE1030ELNS1_3gpuE2ELNS1_3repE0EEENS1_59segmented_radix_sort_warp_sort_small_config_static_selectorELNS0_4arch9wavefront6targetE0EEEvSK_,"axG",@progbits,_ZN7rocprim17ROCPRIM_400000_NS6detail17trampoline_kernelINS0_14default_configENS1_36segmented_radix_sort_config_selectorIalEEZNS1_25segmented_radix_sort_implIS3_Lb0EPKaPaPKlPlN2at6native12_GLOBAL__N_18offset_tEEE10hipError_tPvRmT1_PNSt15iterator_traitsISK_E10value_typeET2_T3_PNSL_ISQ_E10value_typeET4_jRbjT5_SW_jjP12ihipStream_tbEUlT_E1_NS1_11comp_targetILNS1_3genE8ELNS1_11target_archE1030ELNS1_3gpuE2ELNS1_3repE0EEENS1_59segmented_radix_sort_warp_sort_small_config_static_selectorELNS0_4arch9wavefront6targetE0EEEvSK_,comdat
	.globl	_ZN7rocprim17ROCPRIM_400000_NS6detail17trampoline_kernelINS0_14default_configENS1_36segmented_radix_sort_config_selectorIalEEZNS1_25segmented_radix_sort_implIS3_Lb0EPKaPaPKlPlN2at6native12_GLOBAL__N_18offset_tEEE10hipError_tPvRmT1_PNSt15iterator_traitsISK_E10value_typeET2_T3_PNSL_ISQ_E10value_typeET4_jRbjT5_SW_jjP12ihipStream_tbEUlT_E1_NS1_11comp_targetILNS1_3genE8ELNS1_11target_archE1030ELNS1_3gpuE2ELNS1_3repE0EEENS1_59segmented_radix_sort_warp_sort_small_config_static_selectorELNS0_4arch9wavefront6targetE0EEEvSK_ ; -- Begin function _ZN7rocprim17ROCPRIM_400000_NS6detail17trampoline_kernelINS0_14default_configENS1_36segmented_radix_sort_config_selectorIalEEZNS1_25segmented_radix_sort_implIS3_Lb0EPKaPaPKlPlN2at6native12_GLOBAL__N_18offset_tEEE10hipError_tPvRmT1_PNSt15iterator_traitsISK_E10value_typeET2_T3_PNSL_ISQ_E10value_typeET4_jRbjT5_SW_jjP12ihipStream_tbEUlT_E1_NS1_11comp_targetILNS1_3genE8ELNS1_11target_archE1030ELNS1_3gpuE2ELNS1_3repE0EEENS1_59segmented_radix_sort_warp_sort_small_config_static_selectorELNS0_4arch9wavefront6targetE0EEEvSK_
	.p2align	8
	.type	_ZN7rocprim17ROCPRIM_400000_NS6detail17trampoline_kernelINS0_14default_configENS1_36segmented_radix_sort_config_selectorIalEEZNS1_25segmented_radix_sort_implIS3_Lb0EPKaPaPKlPlN2at6native12_GLOBAL__N_18offset_tEEE10hipError_tPvRmT1_PNSt15iterator_traitsISK_E10value_typeET2_T3_PNSL_ISQ_E10value_typeET4_jRbjT5_SW_jjP12ihipStream_tbEUlT_E1_NS1_11comp_targetILNS1_3genE8ELNS1_11target_archE1030ELNS1_3gpuE2ELNS1_3repE0EEENS1_59segmented_radix_sort_warp_sort_small_config_static_selectorELNS0_4arch9wavefront6targetE0EEEvSK_,@function
_ZN7rocprim17ROCPRIM_400000_NS6detail17trampoline_kernelINS0_14default_configENS1_36segmented_radix_sort_config_selectorIalEEZNS1_25segmented_radix_sort_implIS3_Lb0EPKaPaPKlPlN2at6native12_GLOBAL__N_18offset_tEEE10hipError_tPvRmT1_PNSt15iterator_traitsISK_E10value_typeET2_T3_PNSL_ISQ_E10value_typeET4_jRbjT5_SW_jjP12ihipStream_tbEUlT_E1_NS1_11comp_targetILNS1_3genE8ELNS1_11target_archE1030ELNS1_3gpuE2ELNS1_3repE0EEENS1_59segmented_radix_sort_warp_sort_small_config_static_selectorELNS0_4arch9wavefront6targetE0EEEvSK_: ; @_ZN7rocprim17ROCPRIM_400000_NS6detail17trampoline_kernelINS0_14default_configENS1_36segmented_radix_sort_config_selectorIalEEZNS1_25segmented_radix_sort_implIS3_Lb0EPKaPaPKlPlN2at6native12_GLOBAL__N_18offset_tEEE10hipError_tPvRmT1_PNSt15iterator_traitsISK_E10value_typeET2_T3_PNSL_ISQ_E10value_typeET4_jRbjT5_SW_jjP12ihipStream_tbEUlT_E1_NS1_11comp_targetILNS1_3genE8ELNS1_11target_archE1030ELNS1_3gpuE2ELNS1_3repE0EEENS1_59segmented_radix_sort_warp_sort_small_config_static_selectorELNS0_4arch9wavefront6targetE0EEEvSK_
; %bb.0:
	.section	.rodata,"a",@progbits
	.p2align	6, 0x0
	.amdhsa_kernel _ZN7rocprim17ROCPRIM_400000_NS6detail17trampoline_kernelINS0_14default_configENS1_36segmented_radix_sort_config_selectorIalEEZNS1_25segmented_radix_sort_implIS3_Lb0EPKaPaPKlPlN2at6native12_GLOBAL__N_18offset_tEEE10hipError_tPvRmT1_PNSt15iterator_traitsISK_E10value_typeET2_T3_PNSL_ISQ_E10value_typeET4_jRbjT5_SW_jjP12ihipStream_tbEUlT_E1_NS1_11comp_targetILNS1_3genE8ELNS1_11target_archE1030ELNS1_3gpuE2ELNS1_3repE0EEENS1_59segmented_radix_sort_warp_sort_small_config_static_selectorELNS0_4arch9wavefront6targetE0EEEvSK_
		.amdhsa_group_segment_fixed_size 0
		.amdhsa_private_segment_fixed_size 0
		.amdhsa_kernarg_size 88
		.amdhsa_user_sgpr_count 2
		.amdhsa_user_sgpr_dispatch_ptr 0
		.amdhsa_user_sgpr_queue_ptr 0
		.amdhsa_user_sgpr_kernarg_segment_ptr 1
		.amdhsa_user_sgpr_dispatch_id 0
		.amdhsa_user_sgpr_private_segment_size 0
		.amdhsa_wavefront_size32 1
		.amdhsa_uses_dynamic_stack 0
		.amdhsa_enable_private_segment 0
		.amdhsa_system_sgpr_workgroup_id_x 1
		.amdhsa_system_sgpr_workgroup_id_y 0
		.amdhsa_system_sgpr_workgroup_id_z 0
		.amdhsa_system_sgpr_workgroup_info 0
		.amdhsa_system_vgpr_workitem_id 0
		.amdhsa_next_free_vgpr 1
		.amdhsa_next_free_sgpr 1
		.amdhsa_reserve_vcc 0
		.amdhsa_float_round_mode_32 0
		.amdhsa_float_round_mode_16_64 0
		.amdhsa_float_denorm_mode_32 3
		.amdhsa_float_denorm_mode_16_64 3
		.amdhsa_fp16_overflow 0
		.amdhsa_workgroup_processor_mode 1
		.amdhsa_memory_ordered 1
		.amdhsa_forward_progress 1
		.amdhsa_inst_pref_size 0
		.amdhsa_round_robin_scheduling 0
		.amdhsa_exception_fp_ieee_invalid_op 0
		.amdhsa_exception_fp_denorm_src 0
		.amdhsa_exception_fp_ieee_div_zero 0
		.amdhsa_exception_fp_ieee_overflow 0
		.amdhsa_exception_fp_ieee_underflow 0
		.amdhsa_exception_fp_ieee_inexact 0
		.amdhsa_exception_int_div_zero 0
	.end_amdhsa_kernel
	.section	.text._ZN7rocprim17ROCPRIM_400000_NS6detail17trampoline_kernelINS0_14default_configENS1_36segmented_radix_sort_config_selectorIalEEZNS1_25segmented_radix_sort_implIS3_Lb0EPKaPaPKlPlN2at6native12_GLOBAL__N_18offset_tEEE10hipError_tPvRmT1_PNSt15iterator_traitsISK_E10value_typeET2_T3_PNSL_ISQ_E10value_typeET4_jRbjT5_SW_jjP12ihipStream_tbEUlT_E1_NS1_11comp_targetILNS1_3genE8ELNS1_11target_archE1030ELNS1_3gpuE2ELNS1_3repE0EEENS1_59segmented_radix_sort_warp_sort_small_config_static_selectorELNS0_4arch9wavefront6targetE0EEEvSK_,"axG",@progbits,_ZN7rocprim17ROCPRIM_400000_NS6detail17trampoline_kernelINS0_14default_configENS1_36segmented_radix_sort_config_selectorIalEEZNS1_25segmented_radix_sort_implIS3_Lb0EPKaPaPKlPlN2at6native12_GLOBAL__N_18offset_tEEE10hipError_tPvRmT1_PNSt15iterator_traitsISK_E10value_typeET2_T3_PNSL_ISQ_E10value_typeET4_jRbjT5_SW_jjP12ihipStream_tbEUlT_E1_NS1_11comp_targetILNS1_3genE8ELNS1_11target_archE1030ELNS1_3gpuE2ELNS1_3repE0EEENS1_59segmented_radix_sort_warp_sort_small_config_static_selectorELNS0_4arch9wavefront6targetE0EEEvSK_,comdat
.Lfunc_end422:
	.size	_ZN7rocprim17ROCPRIM_400000_NS6detail17trampoline_kernelINS0_14default_configENS1_36segmented_radix_sort_config_selectorIalEEZNS1_25segmented_radix_sort_implIS3_Lb0EPKaPaPKlPlN2at6native12_GLOBAL__N_18offset_tEEE10hipError_tPvRmT1_PNSt15iterator_traitsISK_E10value_typeET2_T3_PNSL_ISQ_E10value_typeET4_jRbjT5_SW_jjP12ihipStream_tbEUlT_E1_NS1_11comp_targetILNS1_3genE8ELNS1_11target_archE1030ELNS1_3gpuE2ELNS1_3repE0EEENS1_59segmented_radix_sort_warp_sort_small_config_static_selectorELNS0_4arch9wavefront6targetE0EEEvSK_, .Lfunc_end422-_ZN7rocprim17ROCPRIM_400000_NS6detail17trampoline_kernelINS0_14default_configENS1_36segmented_radix_sort_config_selectorIalEEZNS1_25segmented_radix_sort_implIS3_Lb0EPKaPaPKlPlN2at6native12_GLOBAL__N_18offset_tEEE10hipError_tPvRmT1_PNSt15iterator_traitsISK_E10value_typeET2_T3_PNSL_ISQ_E10value_typeET4_jRbjT5_SW_jjP12ihipStream_tbEUlT_E1_NS1_11comp_targetILNS1_3genE8ELNS1_11target_archE1030ELNS1_3gpuE2ELNS1_3repE0EEENS1_59segmented_radix_sort_warp_sort_small_config_static_selectorELNS0_4arch9wavefront6targetE0EEEvSK_
                                        ; -- End function
	.set _ZN7rocprim17ROCPRIM_400000_NS6detail17trampoline_kernelINS0_14default_configENS1_36segmented_radix_sort_config_selectorIalEEZNS1_25segmented_radix_sort_implIS3_Lb0EPKaPaPKlPlN2at6native12_GLOBAL__N_18offset_tEEE10hipError_tPvRmT1_PNSt15iterator_traitsISK_E10value_typeET2_T3_PNSL_ISQ_E10value_typeET4_jRbjT5_SW_jjP12ihipStream_tbEUlT_E1_NS1_11comp_targetILNS1_3genE8ELNS1_11target_archE1030ELNS1_3gpuE2ELNS1_3repE0EEENS1_59segmented_radix_sort_warp_sort_small_config_static_selectorELNS0_4arch9wavefront6targetE0EEEvSK_.num_vgpr, 0
	.set _ZN7rocprim17ROCPRIM_400000_NS6detail17trampoline_kernelINS0_14default_configENS1_36segmented_radix_sort_config_selectorIalEEZNS1_25segmented_radix_sort_implIS3_Lb0EPKaPaPKlPlN2at6native12_GLOBAL__N_18offset_tEEE10hipError_tPvRmT1_PNSt15iterator_traitsISK_E10value_typeET2_T3_PNSL_ISQ_E10value_typeET4_jRbjT5_SW_jjP12ihipStream_tbEUlT_E1_NS1_11comp_targetILNS1_3genE8ELNS1_11target_archE1030ELNS1_3gpuE2ELNS1_3repE0EEENS1_59segmented_radix_sort_warp_sort_small_config_static_selectorELNS0_4arch9wavefront6targetE0EEEvSK_.num_agpr, 0
	.set _ZN7rocprim17ROCPRIM_400000_NS6detail17trampoline_kernelINS0_14default_configENS1_36segmented_radix_sort_config_selectorIalEEZNS1_25segmented_radix_sort_implIS3_Lb0EPKaPaPKlPlN2at6native12_GLOBAL__N_18offset_tEEE10hipError_tPvRmT1_PNSt15iterator_traitsISK_E10value_typeET2_T3_PNSL_ISQ_E10value_typeET4_jRbjT5_SW_jjP12ihipStream_tbEUlT_E1_NS1_11comp_targetILNS1_3genE8ELNS1_11target_archE1030ELNS1_3gpuE2ELNS1_3repE0EEENS1_59segmented_radix_sort_warp_sort_small_config_static_selectorELNS0_4arch9wavefront6targetE0EEEvSK_.numbered_sgpr, 0
	.set _ZN7rocprim17ROCPRIM_400000_NS6detail17trampoline_kernelINS0_14default_configENS1_36segmented_radix_sort_config_selectorIalEEZNS1_25segmented_radix_sort_implIS3_Lb0EPKaPaPKlPlN2at6native12_GLOBAL__N_18offset_tEEE10hipError_tPvRmT1_PNSt15iterator_traitsISK_E10value_typeET2_T3_PNSL_ISQ_E10value_typeET4_jRbjT5_SW_jjP12ihipStream_tbEUlT_E1_NS1_11comp_targetILNS1_3genE8ELNS1_11target_archE1030ELNS1_3gpuE2ELNS1_3repE0EEENS1_59segmented_radix_sort_warp_sort_small_config_static_selectorELNS0_4arch9wavefront6targetE0EEEvSK_.num_named_barrier, 0
	.set _ZN7rocprim17ROCPRIM_400000_NS6detail17trampoline_kernelINS0_14default_configENS1_36segmented_radix_sort_config_selectorIalEEZNS1_25segmented_radix_sort_implIS3_Lb0EPKaPaPKlPlN2at6native12_GLOBAL__N_18offset_tEEE10hipError_tPvRmT1_PNSt15iterator_traitsISK_E10value_typeET2_T3_PNSL_ISQ_E10value_typeET4_jRbjT5_SW_jjP12ihipStream_tbEUlT_E1_NS1_11comp_targetILNS1_3genE8ELNS1_11target_archE1030ELNS1_3gpuE2ELNS1_3repE0EEENS1_59segmented_radix_sort_warp_sort_small_config_static_selectorELNS0_4arch9wavefront6targetE0EEEvSK_.private_seg_size, 0
	.set _ZN7rocprim17ROCPRIM_400000_NS6detail17trampoline_kernelINS0_14default_configENS1_36segmented_radix_sort_config_selectorIalEEZNS1_25segmented_radix_sort_implIS3_Lb0EPKaPaPKlPlN2at6native12_GLOBAL__N_18offset_tEEE10hipError_tPvRmT1_PNSt15iterator_traitsISK_E10value_typeET2_T3_PNSL_ISQ_E10value_typeET4_jRbjT5_SW_jjP12ihipStream_tbEUlT_E1_NS1_11comp_targetILNS1_3genE8ELNS1_11target_archE1030ELNS1_3gpuE2ELNS1_3repE0EEENS1_59segmented_radix_sort_warp_sort_small_config_static_selectorELNS0_4arch9wavefront6targetE0EEEvSK_.uses_vcc, 0
	.set _ZN7rocprim17ROCPRIM_400000_NS6detail17trampoline_kernelINS0_14default_configENS1_36segmented_radix_sort_config_selectorIalEEZNS1_25segmented_radix_sort_implIS3_Lb0EPKaPaPKlPlN2at6native12_GLOBAL__N_18offset_tEEE10hipError_tPvRmT1_PNSt15iterator_traitsISK_E10value_typeET2_T3_PNSL_ISQ_E10value_typeET4_jRbjT5_SW_jjP12ihipStream_tbEUlT_E1_NS1_11comp_targetILNS1_3genE8ELNS1_11target_archE1030ELNS1_3gpuE2ELNS1_3repE0EEENS1_59segmented_radix_sort_warp_sort_small_config_static_selectorELNS0_4arch9wavefront6targetE0EEEvSK_.uses_flat_scratch, 0
	.set _ZN7rocprim17ROCPRIM_400000_NS6detail17trampoline_kernelINS0_14default_configENS1_36segmented_radix_sort_config_selectorIalEEZNS1_25segmented_radix_sort_implIS3_Lb0EPKaPaPKlPlN2at6native12_GLOBAL__N_18offset_tEEE10hipError_tPvRmT1_PNSt15iterator_traitsISK_E10value_typeET2_T3_PNSL_ISQ_E10value_typeET4_jRbjT5_SW_jjP12ihipStream_tbEUlT_E1_NS1_11comp_targetILNS1_3genE8ELNS1_11target_archE1030ELNS1_3gpuE2ELNS1_3repE0EEENS1_59segmented_radix_sort_warp_sort_small_config_static_selectorELNS0_4arch9wavefront6targetE0EEEvSK_.has_dyn_sized_stack, 0
	.set _ZN7rocprim17ROCPRIM_400000_NS6detail17trampoline_kernelINS0_14default_configENS1_36segmented_radix_sort_config_selectorIalEEZNS1_25segmented_radix_sort_implIS3_Lb0EPKaPaPKlPlN2at6native12_GLOBAL__N_18offset_tEEE10hipError_tPvRmT1_PNSt15iterator_traitsISK_E10value_typeET2_T3_PNSL_ISQ_E10value_typeET4_jRbjT5_SW_jjP12ihipStream_tbEUlT_E1_NS1_11comp_targetILNS1_3genE8ELNS1_11target_archE1030ELNS1_3gpuE2ELNS1_3repE0EEENS1_59segmented_radix_sort_warp_sort_small_config_static_selectorELNS0_4arch9wavefront6targetE0EEEvSK_.has_recursion, 0
	.set _ZN7rocprim17ROCPRIM_400000_NS6detail17trampoline_kernelINS0_14default_configENS1_36segmented_radix_sort_config_selectorIalEEZNS1_25segmented_radix_sort_implIS3_Lb0EPKaPaPKlPlN2at6native12_GLOBAL__N_18offset_tEEE10hipError_tPvRmT1_PNSt15iterator_traitsISK_E10value_typeET2_T3_PNSL_ISQ_E10value_typeET4_jRbjT5_SW_jjP12ihipStream_tbEUlT_E1_NS1_11comp_targetILNS1_3genE8ELNS1_11target_archE1030ELNS1_3gpuE2ELNS1_3repE0EEENS1_59segmented_radix_sort_warp_sort_small_config_static_selectorELNS0_4arch9wavefront6targetE0EEEvSK_.has_indirect_call, 0
	.section	.AMDGPU.csdata,"",@progbits
; Kernel info:
; codeLenInByte = 0
; TotalNumSgprs: 0
; NumVgprs: 0
; ScratchSize: 0
; MemoryBound: 0
; FloatMode: 240
; IeeeMode: 1
; LDSByteSize: 0 bytes/workgroup (compile time only)
; SGPRBlocks: 0
; VGPRBlocks: 0
; NumSGPRsForWavesPerEU: 1
; NumVGPRsForWavesPerEU: 1
; Occupancy: 16
; WaveLimiterHint : 0
; COMPUTE_PGM_RSRC2:SCRATCH_EN: 0
; COMPUTE_PGM_RSRC2:USER_SGPR: 2
; COMPUTE_PGM_RSRC2:TRAP_HANDLER: 0
; COMPUTE_PGM_RSRC2:TGID_X_EN: 1
; COMPUTE_PGM_RSRC2:TGID_Y_EN: 0
; COMPUTE_PGM_RSRC2:TGID_Z_EN: 0
; COMPUTE_PGM_RSRC2:TIDIG_COMP_CNT: 0
	.section	.text._ZN7rocprim17ROCPRIM_400000_NS6detail17trampoline_kernelINS0_14default_configENS1_36segmented_radix_sort_config_selectorIalEEZNS1_25segmented_radix_sort_implIS3_Lb0EPKaPaPKlPlN2at6native12_GLOBAL__N_18offset_tEEE10hipError_tPvRmT1_PNSt15iterator_traitsISK_E10value_typeET2_T3_PNSL_ISQ_E10value_typeET4_jRbjT5_SW_jjP12ihipStream_tbEUlT_E2_NS1_11comp_targetILNS1_3genE0ELNS1_11target_archE4294967295ELNS1_3gpuE0ELNS1_3repE0EEENS1_30default_config_static_selectorELNS0_4arch9wavefront6targetE0EEEvSK_,"axG",@progbits,_ZN7rocprim17ROCPRIM_400000_NS6detail17trampoline_kernelINS0_14default_configENS1_36segmented_radix_sort_config_selectorIalEEZNS1_25segmented_radix_sort_implIS3_Lb0EPKaPaPKlPlN2at6native12_GLOBAL__N_18offset_tEEE10hipError_tPvRmT1_PNSt15iterator_traitsISK_E10value_typeET2_T3_PNSL_ISQ_E10value_typeET4_jRbjT5_SW_jjP12ihipStream_tbEUlT_E2_NS1_11comp_targetILNS1_3genE0ELNS1_11target_archE4294967295ELNS1_3gpuE0ELNS1_3repE0EEENS1_30default_config_static_selectorELNS0_4arch9wavefront6targetE0EEEvSK_,comdat
	.globl	_ZN7rocprim17ROCPRIM_400000_NS6detail17trampoline_kernelINS0_14default_configENS1_36segmented_radix_sort_config_selectorIalEEZNS1_25segmented_radix_sort_implIS3_Lb0EPKaPaPKlPlN2at6native12_GLOBAL__N_18offset_tEEE10hipError_tPvRmT1_PNSt15iterator_traitsISK_E10value_typeET2_T3_PNSL_ISQ_E10value_typeET4_jRbjT5_SW_jjP12ihipStream_tbEUlT_E2_NS1_11comp_targetILNS1_3genE0ELNS1_11target_archE4294967295ELNS1_3gpuE0ELNS1_3repE0EEENS1_30default_config_static_selectorELNS0_4arch9wavefront6targetE0EEEvSK_ ; -- Begin function _ZN7rocprim17ROCPRIM_400000_NS6detail17trampoline_kernelINS0_14default_configENS1_36segmented_radix_sort_config_selectorIalEEZNS1_25segmented_radix_sort_implIS3_Lb0EPKaPaPKlPlN2at6native12_GLOBAL__N_18offset_tEEE10hipError_tPvRmT1_PNSt15iterator_traitsISK_E10value_typeET2_T3_PNSL_ISQ_E10value_typeET4_jRbjT5_SW_jjP12ihipStream_tbEUlT_E2_NS1_11comp_targetILNS1_3genE0ELNS1_11target_archE4294967295ELNS1_3gpuE0ELNS1_3repE0EEENS1_30default_config_static_selectorELNS0_4arch9wavefront6targetE0EEEvSK_
	.p2align	8
	.type	_ZN7rocprim17ROCPRIM_400000_NS6detail17trampoline_kernelINS0_14default_configENS1_36segmented_radix_sort_config_selectorIalEEZNS1_25segmented_radix_sort_implIS3_Lb0EPKaPaPKlPlN2at6native12_GLOBAL__N_18offset_tEEE10hipError_tPvRmT1_PNSt15iterator_traitsISK_E10value_typeET2_T3_PNSL_ISQ_E10value_typeET4_jRbjT5_SW_jjP12ihipStream_tbEUlT_E2_NS1_11comp_targetILNS1_3genE0ELNS1_11target_archE4294967295ELNS1_3gpuE0ELNS1_3repE0EEENS1_30default_config_static_selectorELNS0_4arch9wavefront6targetE0EEEvSK_,@function
_ZN7rocprim17ROCPRIM_400000_NS6detail17trampoline_kernelINS0_14default_configENS1_36segmented_radix_sort_config_selectorIalEEZNS1_25segmented_radix_sort_implIS3_Lb0EPKaPaPKlPlN2at6native12_GLOBAL__N_18offset_tEEE10hipError_tPvRmT1_PNSt15iterator_traitsISK_E10value_typeET2_T3_PNSL_ISQ_E10value_typeET4_jRbjT5_SW_jjP12ihipStream_tbEUlT_E2_NS1_11comp_targetILNS1_3genE0ELNS1_11target_archE4294967295ELNS1_3gpuE0ELNS1_3repE0EEENS1_30default_config_static_selectorELNS0_4arch9wavefront6targetE0EEEvSK_: ; @_ZN7rocprim17ROCPRIM_400000_NS6detail17trampoline_kernelINS0_14default_configENS1_36segmented_radix_sort_config_selectorIalEEZNS1_25segmented_radix_sort_implIS3_Lb0EPKaPaPKlPlN2at6native12_GLOBAL__N_18offset_tEEE10hipError_tPvRmT1_PNSt15iterator_traitsISK_E10value_typeET2_T3_PNSL_ISQ_E10value_typeET4_jRbjT5_SW_jjP12ihipStream_tbEUlT_E2_NS1_11comp_targetILNS1_3genE0ELNS1_11target_archE4294967295ELNS1_3gpuE0ELNS1_3repE0EEENS1_30default_config_static_selectorELNS0_4arch9wavefront6targetE0EEEvSK_
; %bb.0:
	.section	.rodata,"a",@progbits
	.p2align	6, 0x0
	.amdhsa_kernel _ZN7rocprim17ROCPRIM_400000_NS6detail17trampoline_kernelINS0_14default_configENS1_36segmented_radix_sort_config_selectorIalEEZNS1_25segmented_radix_sort_implIS3_Lb0EPKaPaPKlPlN2at6native12_GLOBAL__N_18offset_tEEE10hipError_tPvRmT1_PNSt15iterator_traitsISK_E10value_typeET2_T3_PNSL_ISQ_E10value_typeET4_jRbjT5_SW_jjP12ihipStream_tbEUlT_E2_NS1_11comp_targetILNS1_3genE0ELNS1_11target_archE4294967295ELNS1_3gpuE0ELNS1_3repE0EEENS1_30default_config_static_selectorELNS0_4arch9wavefront6targetE0EEEvSK_
		.amdhsa_group_segment_fixed_size 0
		.amdhsa_private_segment_fixed_size 0
		.amdhsa_kernarg_size 80
		.amdhsa_user_sgpr_count 2
		.amdhsa_user_sgpr_dispatch_ptr 0
		.amdhsa_user_sgpr_queue_ptr 0
		.amdhsa_user_sgpr_kernarg_segment_ptr 1
		.amdhsa_user_sgpr_dispatch_id 0
		.amdhsa_user_sgpr_private_segment_size 0
		.amdhsa_wavefront_size32 1
		.amdhsa_uses_dynamic_stack 0
		.amdhsa_enable_private_segment 0
		.amdhsa_system_sgpr_workgroup_id_x 1
		.amdhsa_system_sgpr_workgroup_id_y 0
		.amdhsa_system_sgpr_workgroup_id_z 0
		.amdhsa_system_sgpr_workgroup_info 0
		.amdhsa_system_vgpr_workitem_id 0
		.amdhsa_next_free_vgpr 1
		.amdhsa_next_free_sgpr 1
		.amdhsa_reserve_vcc 0
		.amdhsa_float_round_mode_32 0
		.amdhsa_float_round_mode_16_64 0
		.amdhsa_float_denorm_mode_32 3
		.amdhsa_float_denorm_mode_16_64 3
		.amdhsa_fp16_overflow 0
		.amdhsa_workgroup_processor_mode 1
		.amdhsa_memory_ordered 1
		.amdhsa_forward_progress 1
		.amdhsa_inst_pref_size 0
		.amdhsa_round_robin_scheduling 0
		.amdhsa_exception_fp_ieee_invalid_op 0
		.amdhsa_exception_fp_denorm_src 0
		.amdhsa_exception_fp_ieee_div_zero 0
		.amdhsa_exception_fp_ieee_overflow 0
		.amdhsa_exception_fp_ieee_underflow 0
		.amdhsa_exception_fp_ieee_inexact 0
		.amdhsa_exception_int_div_zero 0
	.end_amdhsa_kernel
	.section	.text._ZN7rocprim17ROCPRIM_400000_NS6detail17trampoline_kernelINS0_14default_configENS1_36segmented_radix_sort_config_selectorIalEEZNS1_25segmented_radix_sort_implIS3_Lb0EPKaPaPKlPlN2at6native12_GLOBAL__N_18offset_tEEE10hipError_tPvRmT1_PNSt15iterator_traitsISK_E10value_typeET2_T3_PNSL_ISQ_E10value_typeET4_jRbjT5_SW_jjP12ihipStream_tbEUlT_E2_NS1_11comp_targetILNS1_3genE0ELNS1_11target_archE4294967295ELNS1_3gpuE0ELNS1_3repE0EEENS1_30default_config_static_selectorELNS0_4arch9wavefront6targetE0EEEvSK_,"axG",@progbits,_ZN7rocprim17ROCPRIM_400000_NS6detail17trampoline_kernelINS0_14default_configENS1_36segmented_radix_sort_config_selectorIalEEZNS1_25segmented_radix_sort_implIS3_Lb0EPKaPaPKlPlN2at6native12_GLOBAL__N_18offset_tEEE10hipError_tPvRmT1_PNSt15iterator_traitsISK_E10value_typeET2_T3_PNSL_ISQ_E10value_typeET4_jRbjT5_SW_jjP12ihipStream_tbEUlT_E2_NS1_11comp_targetILNS1_3genE0ELNS1_11target_archE4294967295ELNS1_3gpuE0ELNS1_3repE0EEENS1_30default_config_static_selectorELNS0_4arch9wavefront6targetE0EEEvSK_,comdat
.Lfunc_end423:
	.size	_ZN7rocprim17ROCPRIM_400000_NS6detail17trampoline_kernelINS0_14default_configENS1_36segmented_radix_sort_config_selectorIalEEZNS1_25segmented_radix_sort_implIS3_Lb0EPKaPaPKlPlN2at6native12_GLOBAL__N_18offset_tEEE10hipError_tPvRmT1_PNSt15iterator_traitsISK_E10value_typeET2_T3_PNSL_ISQ_E10value_typeET4_jRbjT5_SW_jjP12ihipStream_tbEUlT_E2_NS1_11comp_targetILNS1_3genE0ELNS1_11target_archE4294967295ELNS1_3gpuE0ELNS1_3repE0EEENS1_30default_config_static_selectorELNS0_4arch9wavefront6targetE0EEEvSK_, .Lfunc_end423-_ZN7rocprim17ROCPRIM_400000_NS6detail17trampoline_kernelINS0_14default_configENS1_36segmented_radix_sort_config_selectorIalEEZNS1_25segmented_radix_sort_implIS3_Lb0EPKaPaPKlPlN2at6native12_GLOBAL__N_18offset_tEEE10hipError_tPvRmT1_PNSt15iterator_traitsISK_E10value_typeET2_T3_PNSL_ISQ_E10value_typeET4_jRbjT5_SW_jjP12ihipStream_tbEUlT_E2_NS1_11comp_targetILNS1_3genE0ELNS1_11target_archE4294967295ELNS1_3gpuE0ELNS1_3repE0EEENS1_30default_config_static_selectorELNS0_4arch9wavefront6targetE0EEEvSK_
                                        ; -- End function
	.set _ZN7rocprim17ROCPRIM_400000_NS6detail17trampoline_kernelINS0_14default_configENS1_36segmented_radix_sort_config_selectorIalEEZNS1_25segmented_radix_sort_implIS3_Lb0EPKaPaPKlPlN2at6native12_GLOBAL__N_18offset_tEEE10hipError_tPvRmT1_PNSt15iterator_traitsISK_E10value_typeET2_T3_PNSL_ISQ_E10value_typeET4_jRbjT5_SW_jjP12ihipStream_tbEUlT_E2_NS1_11comp_targetILNS1_3genE0ELNS1_11target_archE4294967295ELNS1_3gpuE0ELNS1_3repE0EEENS1_30default_config_static_selectorELNS0_4arch9wavefront6targetE0EEEvSK_.num_vgpr, 0
	.set _ZN7rocprim17ROCPRIM_400000_NS6detail17trampoline_kernelINS0_14default_configENS1_36segmented_radix_sort_config_selectorIalEEZNS1_25segmented_radix_sort_implIS3_Lb0EPKaPaPKlPlN2at6native12_GLOBAL__N_18offset_tEEE10hipError_tPvRmT1_PNSt15iterator_traitsISK_E10value_typeET2_T3_PNSL_ISQ_E10value_typeET4_jRbjT5_SW_jjP12ihipStream_tbEUlT_E2_NS1_11comp_targetILNS1_3genE0ELNS1_11target_archE4294967295ELNS1_3gpuE0ELNS1_3repE0EEENS1_30default_config_static_selectorELNS0_4arch9wavefront6targetE0EEEvSK_.num_agpr, 0
	.set _ZN7rocprim17ROCPRIM_400000_NS6detail17trampoline_kernelINS0_14default_configENS1_36segmented_radix_sort_config_selectorIalEEZNS1_25segmented_radix_sort_implIS3_Lb0EPKaPaPKlPlN2at6native12_GLOBAL__N_18offset_tEEE10hipError_tPvRmT1_PNSt15iterator_traitsISK_E10value_typeET2_T3_PNSL_ISQ_E10value_typeET4_jRbjT5_SW_jjP12ihipStream_tbEUlT_E2_NS1_11comp_targetILNS1_3genE0ELNS1_11target_archE4294967295ELNS1_3gpuE0ELNS1_3repE0EEENS1_30default_config_static_selectorELNS0_4arch9wavefront6targetE0EEEvSK_.numbered_sgpr, 0
	.set _ZN7rocprim17ROCPRIM_400000_NS6detail17trampoline_kernelINS0_14default_configENS1_36segmented_radix_sort_config_selectorIalEEZNS1_25segmented_radix_sort_implIS3_Lb0EPKaPaPKlPlN2at6native12_GLOBAL__N_18offset_tEEE10hipError_tPvRmT1_PNSt15iterator_traitsISK_E10value_typeET2_T3_PNSL_ISQ_E10value_typeET4_jRbjT5_SW_jjP12ihipStream_tbEUlT_E2_NS1_11comp_targetILNS1_3genE0ELNS1_11target_archE4294967295ELNS1_3gpuE0ELNS1_3repE0EEENS1_30default_config_static_selectorELNS0_4arch9wavefront6targetE0EEEvSK_.num_named_barrier, 0
	.set _ZN7rocprim17ROCPRIM_400000_NS6detail17trampoline_kernelINS0_14default_configENS1_36segmented_radix_sort_config_selectorIalEEZNS1_25segmented_radix_sort_implIS3_Lb0EPKaPaPKlPlN2at6native12_GLOBAL__N_18offset_tEEE10hipError_tPvRmT1_PNSt15iterator_traitsISK_E10value_typeET2_T3_PNSL_ISQ_E10value_typeET4_jRbjT5_SW_jjP12ihipStream_tbEUlT_E2_NS1_11comp_targetILNS1_3genE0ELNS1_11target_archE4294967295ELNS1_3gpuE0ELNS1_3repE0EEENS1_30default_config_static_selectorELNS0_4arch9wavefront6targetE0EEEvSK_.private_seg_size, 0
	.set _ZN7rocprim17ROCPRIM_400000_NS6detail17trampoline_kernelINS0_14default_configENS1_36segmented_radix_sort_config_selectorIalEEZNS1_25segmented_radix_sort_implIS3_Lb0EPKaPaPKlPlN2at6native12_GLOBAL__N_18offset_tEEE10hipError_tPvRmT1_PNSt15iterator_traitsISK_E10value_typeET2_T3_PNSL_ISQ_E10value_typeET4_jRbjT5_SW_jjP12ihipStream_tbEUlT_E2_NS1_11comp_targetILNS1_3genE0ELNS1_11target_archE4294967295ELNS1_3gpuE0ELNS1_3repE0EEENS1_30default_config_static_selectorELNS0_4arch9wavefront6targetE0EEEvSK_.uses_vcc, 0
	.set _ZN7rocprim17ROCPRIM_400000_NS6detail17trampoline_kernelINS0_14default_configENS1_36segmented_radix_sort_config_selectorIalEEZNS1_25segmented_radix_sort_implIS3_Lb0EPKaPaPKlPlN2at6native12_GLOBAL__N_18offset_tEEE10hipError_tPvRmT1_PNSt15iterator_traitsISK_E10value_typeET2_T3_PNSL_ISQ_E10value_typeET4_jRbjT5_SW_jjP12ihipStream_tbEUlT_E2_NS1_11comp_targetILNS1_3genE0ELNS1_11target_archE4294967295ELNS1_3gpuE0ELNS1_3repE0EEENS1_30default_config_static_selectorELNS0_4arch9wavefront6targetE0EEEvSK_.uses_flat_scratch, 0
	.set _ZN7rocprim17ROCPRIM_400000_NS6detail17trampoline_kernelINS0_14default_configENS1_36segmented_radix_sort_config_selectorIalEEZNS1_25segmented_radix_sort_implIS3_Lb0EPKaPaPKlPlN2at6native12_GLOBAL__N_18offset_tEEE10hipError_tPvRmT1_PNSt15iterator_traitsISK_E10value_typeET2_T3_PNSL_ISQ_E10value_typeET4_jRbjT5_SW_jjP12ihipStream_tbEUlT_E2_NS1_11comp_targetILNS1_3genE0ELNS1_11target_archE4294967295ELNS1_3gpuE0ELNS1_3repE0EEENS1_30default_config_static_selectorELNS0_4arch9wavefront6targetE0EEEvSK_.has_dyn_sized_stack, 0
	.set _ZN7rocprim17ROCPRIM_400000_NS6detail17trampoline_kernelINS0_14default_configENS1_36segmented_radix_sort_config_selectorIalEEZNS1_25segmented_radix_sort_implIS3_Lb0EPKaPaPKlPlN2at6native12_GLOBAL__N_18offset_tEEE10hipError_tPvRmT1_PNSt15iterator_traitsISK_E10value_typeET2_T3_PNSL_ISQ_E10value_typeET4_jRbjT5_SW_jjP12ihipStream_tbEUlT_E2_NS1_11comp_targetILNS1_3genE0ELNS1_11target_archE4294967295ELNS1_3gpuE0ELNS1_3repE0EEENS1_30default_config_static_selectorELNS0_4arch9wavefront6targetE0EEEvSK_.has_recursion, 0
	.set _ZN7rocprim17ROCPRIM_400000_NS6detail17trampoline_kernelINS0_14default_configENS1_36segmented_radix_sort_config_selectorIalEEZNS1_25segmented_radix_sort_implIS3_Lb0EPKaPaPKlPlN2at6native12_GLOBAL__N_18offset_tEEE10hipError_tPvRmT1_PNSt15iterator_traitsISK_E10value_typeET2_T3_PNSL_ISQ_E10value_typeET4_jRbjT5_SW_jjP12ihipStream_tbEUlT_E2_NS1_11comp_targetILNS1_3genE0ELNS1_11target_archE4294967295ELNS1_3gpuE0ELNS1_3repE0EEENS1_30default_config_static_selectorELNS0_4arch9wavefront6targetE0EEEvSK_.has_indirect_call, 0
	.section	.AMDGPU.csdata,"",@progbits
; Kernel info:
; codeLenInByte = 0
; TotalNumSgprs: 0
; NumVgprs: 0
; ScratchSize: 0
; MemoryBound: 0
; FloatMode: 240
; IeeeMode: 1
; LDSByteSize: 0 bytes/workgroup (compile time only)
; SGPRBlocks: 0
; VGPRBlocks: 0
; NumSGPRsForWavesPerEU: 1
; NumVGPRsForWavesPerEU: 1
; Occupancy: 16
; WaveLimiterHint : 0
; COMPUTE_PGM_RSRC2:SCRATCH_EN: 0
; COMPUTE_PGM_RSRC2:USER_SGPR: 2
; COMPUTE_PGM_RSRC2:TRAP_HANDLER: 0
; COMPUTE_PGM_RSRC2:TGID_X_EN: 1
; COMPUTE_PGM_RSRC2:TGID_Y_EN: 0
; COMPUTE_PGM_RSRC2:TGID_Z_EN: 0
; COMPUTE_PGM_RSRC2:TIDIG_COMP_CNT: 0
	.section	.text._ZN7rocprim17ROCPRIM_400000_NS6detail17trampoline_kernelINS0_14default_configENS1_36segmented_radix_sort_config_selectorIalEEZNS1_25segmented_radix_sort_implIS3_Lb0EPKaPaPKlPlN2at6native12_GLOBAL__N_18offset_tEEE10hipError_tPvRmT1_PNSt15iterator_traitsISK_E10value_typeET2_T3_PNSL_ISQ_E10value_typeET4_jRbjT5_SW_jjP12ihipStream_tbEUlT_E2_NS1_11comp_targetILNS1_3genE5ELNS1_11target_archE942ELNS1_3gpuE9ELNS1_3repE0EEENS1_30default_config_static_selectorELNS0_4arch9wavefront6targetE0EEEvSK_,"axG",@progbits,_ZN7rocprim17ROCPRIM_400000_NS6detail17trampoline_kernelINS0_14default_configENS1_36segmented_radix_sort_config_selectorIalEEZNS1_25segmented_radix_sort_implIS3_Lb0EPKaPaPKlPlN2at6native12_GLOBAL__N_18offset_tEEE10hipError_tPvRmT1_PNSt15iterator_traitsISK_E10value_typeET2_T3_PNSL_ISQ_E10value_typeET4_jRbjT5_SW_jjP12ihipStream_tbEUlT_E2_NS1_11comp_targetILNS1_3genE5ELNS1_11target_archE942ELNS1_3gpuE9ELNS1_3repE0EEENS1_30default_config_static_selectorELNS0_4arch9wavefront6targetE0EEEvSK_,comdat
	.globl	_ZN7rocprim17ROCPRIM_400000_NS6detail17trampoline_kernelINS0_14default_configENS1_36segmented_radix_sort_config_selectorIalEEZNS1_25segmented_radix_sort_implIS3_Lb0EPKaPaPKlPlN2at6native12_GLOBAL__N_18offset_tEEE10hipError_tPvRmT1_PNSt15iterator_traitsISK_E10value_typeET2_T3_PNSL_ISQ_E10value_typeET4_jRbjT5_SW_jjP12ihipStream_tbEUlT_E2_NS1_11comp_targetILNS1_3genE5ELNS1_11target_archE942ELNS1_3gpuE9ELNS1_3repE0EEENS1_30default_config_static_selectorELNS0_4arch9wavefront6targetE0EEEvSK_ ; -- Begin function _ZN7rocprim17ROCPRIM_400000_NS6detail17trampoline_kernelINS0_14default_configENS1_36segmented_radix_sort_config_selectorIalEEZNS1_25segmented_radix_sort_implIS3_Lb0EPKaPaPKlPlN2at6native12_GLOBAL__N_18offset_tEEE10hipError_tPvRmT1_PNSt15iterator_traitsISK_E10value_typeET2_T3_PNSL_ISQ_E10value_typeET4_jRbjT5_SW_jjP12ihipStream_tbEUlT_E2_NS1_11comp_targetILNS1_3genE5ELNS1_11target_archE942ELNS1_3gpuE9ELNS1_3repE0EEENS1_30default_config_static_selectorELNS0_4arch9wavefront6targetE0EEEvSK_
	.p2align	8
	.type	_ZN7rocprim17ROCPRIM_400000_NS6detail17trampoline_kernelINS0_14default_configENS1_36segmented_radix_sort_config_selectorIalEEZNS1_25segmented_radix_sort_implIS3_Lb0EPKaPaPKlPlN2at6native12_GLOBAL__N_18offset_tEEE10hipError_tPvRmT1_PNSt15iterator_traitsISK_E10value_typeET2_T3_PNSL_ISQ_E10value_typeET4_jRbjT5_SW_jjP12ihipStream_tbEUlT_E2_NS1_11comp_targetILNS1_3genE5ELNS1_11target_archE942ELNS1_3gpuE9ELNS1_3repE0EEENS1_30default_config_static_selectorELNS0_4arch9wavefront6targetE0EEEvSK_,@function
_ZN7rocprim17ROCPRIM_400000_NS6detail17trampoline_kernelINS0_14default_configENS1_36segmented_radix_sort_config_selectorIalEEZNS1_25segmented_radix_sort_implIS3_Lb0EPKaPaPKlPlN2at6native12_GLOBAL__N_18offset_tEEE10hipError_tPvRmT1_PNSt15iterator_traitsISK_E10value_typeET2_T3_PNSL_ISQ_E10value_typeET4_jRbjT5_SW_jjP12ihipStream_tbEUlT_E2_NS1_11comp_targetILNS1_3genE5ELNS1_11target_archE942ELNS1_3gpuE9ELNS1_3repE0EEENS1_30default_config_static_selectorELNS0_4arch9wavefront6targetE0EEEvSK_: ; @_ZN7rocprim17ROCPRIM_400000_NS6detail17trampoline_kernelINS0_14default_configENS1_36segmented_radix_sort_config_selectorIalEEZNS1_25segmented_radix_sort_implIS3_Lb0EPKaPaPKlPlN2at6native12_GLOBAL__N_18offset_tEEE10hipError_tPvRmT1_PNSt15iterator_traitsISK_E10value_typeET2_T3_PNSL_ISQ_E10value_typeET4_jRbjT5_SW_jjP12ihipStream_tbEUlT_E2_NS1_11comp_targetILNS1_3genE5ELNS1_11target_archE942ELNS1_3gpuE9ELNS1_3repE0EEENS1_30default_config_static_selectorELNS0_4arch9wavefront6targetE0EEEvSK_
; %bb.0:
	.section	.rodata,"a",@progbits
	.p2align	6, 0x0
	.amdhsa_kernel _ZN7rocprim17ROCPRIM_400000_NS6detail17trampoline_kernelINS0_14default_configENS1_36segmented_radix_sort_config_selectorIalEEZNS1_25segmented_radix_sort_implIS3_Lb0EPKaPaPKlPlN2at6native12_GLOBAL__N_18offset_tEEE10hipError_tPvRmT1_PNSt15iterator_traitsISK_E10value_typeET2_T3_PNSL_ISQ_E10value_typeET4_jRbjT5_SW_jjP12ihipStream_tbEUlT_E2_NS1_11comp_targetILNS1_3genE5ELNS1_11target_archE942ELNS1_3gpuE9ELNS1_3repE0EEENS1_30default_config_static_selectorELNS0_4arch9wavefront6targetE0EEEvSK_
		.amdhsa_group_segment_fixed_size 0
		.amdhsa_private_segment_fixed_size 0
		.amdhsa_kernarg_size 80
		.amdhsa_user_sgpr_count 2
		.amdhsa_user_sgpr_dispatch_ptr 0
		.amdhsa_user_sgpr_queue_ptr 0
		.amdhsa_user_sgpr_kernarg_segment_ptr 1
		.amdhsa_user_sgpr_dispatch_id 0
		.amdhsa_user_sgpr_private_segment_size 0
		.amdhsa_wavefront_size32 1
		.amdhsa_uses_dynamic_stack 0
		.amdhsa_enable_private_segment 0
		.amdhsa_system_sgpr_workgroup_id_x 1
		.amdhsa_system_sgpr_workgroup_id_y 0
		.amdhsa_system_sgpr_workgroup_id_z 0
		.amdhsa_system_sgpr_workgroup_info 0
		.amdhsa_system_vgpr_workitem_id 0
		.amdhsa_next_free_vgpr 1
		.amdhsa_next_free_sgpr 1
		.amdhsa_reserve_vcc 0
		.amdhsa_float_round_mode_32 0
		.amdhsa_float_round_mode_16_64 0
		.amdhsa_float_denorm_mode_32 3
		.amdhsa_float_denorm_mode_16_64 3
		.amdhsa_fp16_overflow 0
		.amdhsa_workgroup_processor_mode 1
		.amdhsa_memory_ordered 1
		.amdhsa_forward_progress 1
		.amdhsa_inst_pref_size 0
		.amdhsa_round_robin_scheduling 0
		.amdhsa_exception_fp_ieee_invalid_op 0
		.amdhsa_exception_fp_denorm_src 0
		.amdhsa_exception_fp_ieee_div_zero 0
		.amdhsa_exception_fp_ieee_overflow 0
		.amdhsa_exception_fp_ieee_underflow 0
		.amdhsa_exception_fp_ieee_inexact 0
		.amdhsa_exception_int_div_zero 0
	.end_amdhsa_kernel
	.section	.text._ZN7rocprim17ROCPRIM_400000_NS6detail17trampoline_kernelINS0_14default_configENS1_36segmented_radix_sort_config_selectorIalEEZNS1_25segmented_radix_sort_implIS3_Lb0EPKaPaPKlPlN2at6native12_GLOBAL__N_18offset_tEEE10hipError_tPvRmT1_PNSt15iterator_traitsISK_E10value_typeET2_T3_PNSL_ISQ_E10value_typeET4_jRbjT5_SW_jjP12ihipStream_tbEUlT_E2_NS1_11comp_targetILNS1_3genE5ELNS1_11target_archE942ELNS1_3gpuE9ELNS1_3repE0EEENS1_30default_config_static_selectorELNS0_4arch9wavefront6targetE0EEEvSK_,"axG",@progbits,_ZN7rocprim17ROCPRIM_400000_NS6detail17trampoline_kernelINS0_14default_configENS1_36segmented_radix_sort_config_selectorIalEEZNS1_25segmented_radix_sort_implIS3_Lb0EPKaPaPKlPlN2at6native12_GLOBAL__N_18offset_tEEE10hipError_tPvRmT1_PNSt15iterator_traitsISK_E10value_typeET2_T3_PNSL_ISQ_E10value_typeET4_jRbjT5_SW_jjP12ihipStream_tbEUlT_E2_NS1_11comp_targetILNS1_3genE5ELNS1_11target_archE942ELNS1_3gpuE9ELNS1_3repE0EEENS1_30default_config_static_selectorELNS0_4arch9wavefront6targetE0EEEvSK_,comdat
.Lfunc_end424:
	.size	_ZN7rocprim17ROCPRIM_400000_NS6detail17trampoline_kernelINS0_14default_configENS1_36segmented_radix_sort_config_selectorIalEEZNS1_25segmented_radix_sort_implIS3_Lb0EPKaPaPKlPlN2at6native12_GLOBAL__N_18offset_tEEE10hipError_tPvRmT1_PNSt15iterator_traitsISK_E10value_typeET2_T3_PNSL_ISQ_E10value_typeET4_jRbjT5_SW_jjP12ihipStream_tbEUlT_E2_NS1_11comp_targetILNS1_3genE5ELNS1_11target_archE942ELNS1_3gpuE9ELNS1_3repE0EEENS1_30default_config_static_selectorELNS0_4arch9wavefront6targetE0EEEvSK_, .Lfunc_end424-_ZN7rocprim17ROCPRIM_400000_NS6detail17trampoline_kernelINS0_14default_configENS1_36segmented_radix_sort_config_selectorIalEEZNS1_25segmented_radix_sort_implIS3_Lb0EPKaPaPKlPlN2at6native12_GLOBAL__N_18offset_tEEE10hipError_tPvRmT1_PNSt15iterator_traitsISK_E10value_typeET2_T3_PNSL_ISQ_E10value_typeET4_jRbjT5_SW_jjP12ihipStream_tbEUlT_E2_NS1_11comp_targetILNS1_3genE5ELNS1_11target_archE942ELNS1_3gpuE9ELNS1_3repE0EEENS1_30default_config_static_selectorELNS0_4arch9wavefront6targetE0EEEvSK_
                                        ; -- End function
	.set _ZN7rocprim17ROCPRIM_400000_NS6detail17trampoline_kernelINS0_14default_configENS1_36segmented_radix_sort_config_selectorIalEEZNS1_25segmented_radix_sort_implIS3_Lb0EPKaPaPKlPlN2at6native12_GLOBAL__N_18offset_tEEE10hipError_tPvRmT1_PNSt15iterator_traitsISK_E10value_typeET2_T3_PNSL_ISQ_E10value_typeET4_jRbjT5_SW_jjP12ihipStream_tbEUlT_E2_NS1_11comp_targetILNS1_3genE5ELNS1_11target_archE942ELNS1_3gpuE9ELNS1_3repE0EEENS1_30default_config_static_selectorELNS0_4arch9wavefront6targetE0EEEvSK_.num_vgpr, 0
	.set _ZN7rocprim17ROCPRIM_400000_NS6detail17trampoline_kernelINS0_14default_configENS1_36segmented_radix_sort_config_selectorIalEEZNS1_25segmented_radix_sort_implIS3_Lb0EPKaPaPKlPlN2at6native12_GLOBAL__N_18offset_tEEE10hipError_tPvRmT1_PNSt15iterator_traitsISK_E10value_typeET2_T3_PNSL_ISQ_E10value_typeET4_jRbjT5_SW_jjP12ihipStream_tbEUlT_E2_NS1_11comp_targetILNS1_3genE5ELNS1_11target_archE942ELNS1_3gpuE9ELNS1_3repE0EEENS1_30default_config_static_selectorELNS0_4arch9wavefront6targetE0EEEvSK_.num_agpr, 0
	.set _ZN7rocprim17ROCPRIM_400000_NS6detail17trampoline_kernelINS0_14default_configENS1_36segmented_radix_sort_config_selectorIalEEZNS1_25segmented_radix_sort_implIS3_Lb0EPKaPaPKlPlN2at6native12_GLOBAL__N_18offset_tEEE10hipError_tPvRmT1_PNSt15iterator_traitsISK_E10value_typeET2_T3_PNSL_ISQ_E10value_typeET4_jRbjT5_SW_jjP12ihipStream_tbEUlT_E2_NS1_11comp_targetILNS1_3genE5ELNS1_11target_archE942ELNS1_3gpuE9ELNS1_3repE0EEENS1_30default_config_static_selectorELNS0_4arch9wavefront6targetE0EEEvSK_.numbered_sgpr, 0
	.set _ZN7rocprim17ROCPRIM_400000_NS6detail17trampoline_kernelINS0_14default_configENS1_36segmented_radix_sort_config_selectorIalEEZNS1_25segmented_radix_sort_implIS3_Lb0EPKaPaPKlPlN2at6native12_GLOBAL__N_18offset_tEEE10hipError_tPvRmT1_PNSt15iterator_traitsISK_E10value_typeET2_T3_PNSL_ISQ_E10value_typeET4_jRbjT5_SW_jjP12ihipStream_tbEUlT_E2_NS1_11comp_targetILNS1_3genE5ELNS1_11target_archE942ELNS1_3gpuE9ELNS1_3repE0EEENS1_30default_config_static_selectorELNS0_4arch9wavefront6targetE0EEEvSK_.num_named_barrier, 0
	.set _ZN7rocprim17ROCPRIM_400000_NS6detail17trampoline_kernelINS0_14default_configENS1_36segmented_radix_sort_config_selectorIalEEZNS1_25segmented_radix_sort_implIS3_Lb0EPKaPaPKlPlN2at6native12_GLOBAL__N_18offset_tEEE10hipError_tPvRmT1_PNSt15iterator_traitsISK_E10value_typeET2_T3_PNSL_ISQ_E10value_typeET4_jRbjT5_SW_jjP12ihipStream_tbEUlT_E2_NS1_11comp_targetILNS1_3genE5ELNS1_11target_archE942ELNS1_3gpuE9ELNS1_3repE0EEENS1_30default_config_static_selectorELNS0_4arch9wavefront6targetE0EEEvSK_.private_seg_size, 0
	.set _ZN7rocprim17ROCPRIM_400000_NS6detail17trampoline_kernelINS0_14default_configENS1_36segmented_radix_sort_config_selectorIalEEZNS1_25segmented_radix_sort_implIS3_Lb0EPKaPaPKlPlN2at6native12_GLOBAL__N_18offset_tEEE10hipError_tPvRmT1_PNSt15iterator_traitsISK_E10value_typeET2_T3_PNSL_ISQ_E10value_typeET4_jRbjT5_SW_jjP12ihipStream_tbEUlT_E2_NS1_11comp_targetILNS1_3genE5ELNS1_11target_archE942ELNS1_3gpuE9ELNS1_3repE0EEENS1_30default_config_static_selectorELNS0_4arch9wavefront6targetE0EEEvSK_.uses_vcc, 0
	.set _ZN7rocprim17ROCPRIM_400000_NS6detail17trampoline_kernelINS0_14default_configENS1_36segmented_radix_sort_config_selectorIalEEZNS1_25segmented_radix_sort_implIS3_Lb0EPKaPaPKlPlN2at6native12_GLOBAL__N_18offset_tEEE10hipError_tPvRmT1_PNSt15iterator_traitsISK_E10value_typeET2_T3_PNSL_ISQ_E10value_typeET4_jRbjT5_SW_jjP12ihipStream_tbEUlT_E2_NS1_11comp_targetILNS1_3genE5ELNS1_11target_archE942ELNS1_3gpuE9ELNS1_3repE0EEENS1_30default_config_static_selectorELNS0_4arch9wavefront6targetE0EEEvSK_.uses_flat_scratch, 0
	.set _ZN7rocprim17ROCPRIM_400000_NS6detail17trampoline_kernelINS0_14default_configENS1_36segmented_radix_sort_config_selectorIalEEZNS1_25segmented_radix_sort_implIS3_Lb0EPKaPaPKlPlN2at6native12_GLOBAL__N_18offset_tEEE10hipError_tPvRmT1_PNSt15iterator_traitsISK_E10value_typeET2_T3_PNSL_ISQ_E10value_typeET4_jRbjT5_SW_jjP12ihipStream_tbEUlT_E2_NS1_11comp_targetILNS1_3genE5ELNS1_11target_archE942ELNS1_3gpuE9ELNS1_3repE0EEENS1_30default_config_static_selectorELNS0_4arch9wavefront6targetE0EEEvSK_.has_dyn_sized_stack, 0
	.set _ZN7rocprim17ROCPRIM_400000_NS6detail17trampoline_kernelINS0_14default_configENS1_36segmented_radix_sort_config_selectorIalEEZNS1_25segmented_radix_sort_implIS3_Lb0EPKaPaPKlPlN2at6native12_GLOBAL__N_18offset_tEEE10hipError_tPvRmT1_PNSt15iterator_traitsISK_E10value_typeET2_T3_PNSL_ISQ_E10value_typeET4_jRbjT5_SW_jjP12ihipStream_tbEUlT_E2_NS1_11comp_targetILNS1_3genE5ELNS1_11target_archE942ELNS1_3gpuE9ELNS1_3repE0EEENS1_30default_config_static_selectorELNS0_4arch9wavefront6targetE0EEEvSK_.has_recursion, 0
	.set _ZN7rocprim17ROCPRIM_400000_NS6detail17trampoline_kernelINS0_14default_configENS1_36segmented_radix_sort_config_selectorIalEEZNS1_25segmented_radix_sort_implIS3_Lb0EPKaPaPKlPlN2at6native12_GLOBAL__N_18offset_tEEE10hipError_tPvRmT1_PNSt15iterator_traitsISK_E10value_typeET2_T3_PNSL_ISQ_E10value_typeET4_jRbjT5_SW_jjP12ihipStream_tbEUlT_E2_NS1_11comp_targetILNS1_3genE5ELNS1_11target_archE942ELNS1_3gpuE9ELNS1_3repE0EEENS1_30default_config_static_selectorELNS0_4arch9wavefront6targetE0EEEvSK_.has_indirect_call, 0
	.section	.AMDGPU.csdata,"",@progbits
; Kernel info:
; codeLenInByte = 0
; TotalNumSgprs: 0
; NumVgprs: 0
; ScratchSize: 0
; MemoryBound: 0
; FloatMode: 240
; IeeeMode: 1
; LDSByteSize: 0 bytes/workgroup (compile time only)
; SGPRBlocks: 0
; VGPRBlocks: 0
; NumSGPRsForWavesPerEU: 1
; NumVGPRsForWavesPerEU: 1
; Occupancy: 16
; WaveLimiterHint : 0
; COMPUTE_PGM_RSRC2:SCRATCH_EN: 0
; COMPUTE_PGM_RSRC2:USER_SGPR: 2
; COMPUTE_PGM_RSRC2:TRAP_HANDLER: 0
; COMPUTE_PGM_RSRC2:TGID_X_EN: 1
; COMPUTE_PGM_RSRC2:TGID_Y_EN: 0
; COMPUTE_PGM_RSRC2:TGID_Z_EN: 0
; COMPUTE_PGM_RSRC2:TIDIG_COMP_CNT: 0
	.section	.text._ZN7rocprim17ROCPRIM_400000_NS6detail17trampoline_kernelINS0_14default_configENS1_36segmented_radix_sort_config_selectorIalEEZNS1_25segmented_radix_sort_implIS3_Lb0EPKaPaPKlPlN2at6native12_GLOBAL__N_18offset_tEEE10hipError_tPvRmT1_PNSt15iterator_traitsISK_E10value_typeET2_T3_PNSL_ISQ_E10value_typeET4_jRbjT5_SW_jjP12ihipStream_tbEUlT_E2_NS1_11comp_targetILNS1_3genE4ELNS1_11target_archE910ELNS1_3gpuE8ELNS1_3repE0EEENS1_30default_config_static_selectorELNS0_4arch9wavefront6targetE0EEEvSK_,"axG",@progbits,_ZN7rocprim17ROCPRIM_400000_NS6detail17trampoline_kernelINS0_14default_configENS1_36segmented_radix_sort_config_selectorIalEEZNS1_25segmented_radix_sort_implIS3_Lb0EPKaPaPKlPlN2at6native12_GLOBAL__N_18offset_tEEE10hipError_tPvRmT1_PNSt15iterator_traitsISK_E10value_typeET2_T3_PNSL_ISQ_E10value_typeET4_jRbjT5_SW_jjP12ihipStream_tbEUlT_E2_NS1_11comp_targetILNS1_3genE4ELNS1_11target_archE910ELNS1_3gpuE8ELNS1_3repE0EEENS1_30default_config_static_selectorELNS0_4arch9wavefront6targetE0EEEvSK_,comdat
	.globl	_ZN7rocprim17ROCPRIM_400000_NS6detail17trampoline_kernelINS0_14default_configENS1_36segmented_radix_sort_config_selectorIalEEZNS1_25segmented_radix_sort_implIS3_Lb0EPKaPaPKlPlN2at6native12_GLOBAL__N_18offset_tEEE10hipError_tPvRmT1_PNSt15iterator_traitsISK_E10value_typeET2_T3_PNSL_ISQ_E10value_typeET4_jRbjT5_SW_jjP12ihipStream_tbEUlT_E2_NS1_11comp_targetILNS1_3genE4ELNS1_11target_archE910ELNS1_3gpuE8ELNS1_3repE0EEENS1_30default_config_static_selectorELNS0_4arch9wavefront6targetE0EEEvSK_ ; -- Begin function _ZN7rocprim17ROCPRIM_400000_NS6detail17trampoline_kernelINS0_14default_configENS1_36segmented_radix_sort_config_selectorIalEEZNS1_25segmented_radix_sort_implIS3_Lb0EPKaPaPKlPlN2at6native12_GLOBAL__N_18offset_tEEE10hipError_tPvRmT1_PNSt15iterator_traitsISK_E10value_typeET2_T3_PNSL_ISQ_E10value_typeET4_jRbjT5_SW_jjP12ihipStream_tbEUlT_E2_NS1_11comp_targetILNS1_3genE4ELNS1_11target_archE910ELNS1_3gpuE8ELNS1_3repE0EEENS1_30default_config_static_selectorELNS0_4arch9wavefront6targetE0EEEvSK_
	.p2align	8
	.type	_ZN7rocprim17ROCPRIM_400000_NS6detail17trampoline_kernelINS0_14default_configENS1_36segmented_radix_sort_config_selectorIalEEZNS1_25segmented_radix_sort_implIS3_Lb0EPKaPaPKlPlN2at6native12_GLOBAL__N_18offset_tEEE10hipError_tPvRmT1_PNSt15iterator_traitsISK_E10value_typeET2_T3_PNSL_ISQ_E10value_typeET4_jRbjT5_SW_jjP12ihipStream_tbEUlT_E2_NS1_11comp_targetILNS1_3genE4ELNS1_11target_archE910ELNS1_3gpuE8ELNS1_3repE0EEENS1_30default_config_static_selectorELNS0_4arch9wavefront6targetE0EEEvSK_,@function
_ZN7rocprim17ROCPRIM_400000_NS6detail17trampoline_kernelINS0_14default_configENS1_36segmented_radix_sort_config_selectorIalEEZNS1_25segmented_radix_sort_implIS3_Lb0EPKaPaPKlPlN2at6native12_GLOBAL__N_18offset_tEEE10hipError_tPvRmT1_PNSt15iterator_traitsISK_E10value_typeET2_T3_PNSL_ISQ_E10value_typeET4_jRbjT5_SW_jjP12ihipStream_tbEUlT_E2_NS1_11comp_targetILNS1_3genE4ELNS1_11target_archE910ELNS1_3gpuE8ELNS1_3repE0EEENS1_30default_config_static_selectorELNS0_4arch9wavefront6targetE0EEEvSK_: ; @_ZN7rocprim17ROCPRIM_400000_NS6detail17trampoline_kernelINS0_14default_configENS1_36segmented_radix_sort_config_selectorIalEEZNS1_25segmented_radix_sort_implIS3_Lb0EPKaPaPKlPlN2at6native12_GLOBAL__N_18offset_tEEE10hipError_tPvRmT1_PNSt15iterator_traitsISK_E10value_typeET2_T3_PNSL_ISQ_E10value_typeET4_jRbjT5_SW_jjP12ihipStream_tbEUlT_E2_NS1_11comp_targetILNS1_3genE4ELNS1_11target_archE910ELNS1_3gpuE8ELNS1_3repE0EEENS1_30default_config_static_selectorELNS0_4arch9wavefront6targetE0EEEvSK_
; %bb.0:
	.section	.rodata,"a",@progbits
	.p2align	6, 0x0
	.amdhsa_kernel _ZN7rocprim17ROCPRIM_400000_NS6detail17trampoline_kernelINS0_14default_configENS1_36segmented_radix_sort_config_selectorIalEEZNS1_25segmented_radix_sort_implIS3_Lb0EPKaPaPKlPlN2at6native12_GLOBAL__N_18offset_tEEE10hipError_tPvRmT1_PNSt15iterator_traitsISK_E10value_typeET2_T3_PNSL_ISQ_E10value_typeET4_jRbjT5_SW_jjP12ihipStream_tbEUlT_E2_NS1_11comp_targetILNS1_3genE4ELNS1_11target_archE910ELNS1_3gpuE8ELNS1_3repE0EEENS1_30default_config_static_selectorELNS0_4arch9wavefront6targetE0EEEvSK_
		.amdhsa_group_segment_fixed_size 0
		.amdhsa_private_segment_fixed_size 0
		.amdhsa_kernarg_size 80
		.amdhsa_user_sgpr_count 2
		.amdhsa_user_sgpr_dispatch_ptr 0
		.amdhsa_user_sgpr_queue_ptr 0
		.amdhsa_user_sgpr_kernarg_segment_ptr 1
		.amdhsa_user_sgpr_dispatch_id 0
		.amdhsa_user_sgpr_private_segment_size 0
		.amdhsa_wavefront_size32 1
		.amdhsa_uses_dynamic_stack 0
		.amdhsa_enable_private_segment 0
		.amdhsa_system_sgpr_workgroup_id_x 1
		.amdhsa_system_sgpr_workgroup_id_y 0
		.amdhsa_system_sgpr_workgroup_id_z 0
		.amdhsa_system_sgpr_workgroup_info 0
		.amdhsa_system_vgpr_workitem_id 0
		.amdhsa_next_free_vgpr 1
		.amdhsa_next_free_sgpr 1
		.amdhsa_reserve_vcc 0
		.amdhsa_float_round_mode_32 0
		.amdhsa_float_round_mode_16_64 0
		.amdhsa_float_denorm_mode_32 3
		.amdhsa_float_denorm_mode_16_64 3
		.amdhsa_fp16_overflow 0
		.amdhsa_workgroup_processor_mode 1
		.amdhsa_memory_ordered 1
		.amdhsa_forward_progress 1
		.amdhsa_inst_pref_size 0
		.amdhsa_round_robin_scheduling 0
		.amdhsa_exception_fp_ieee_invalid_op 0
		.amdhsa_exception_fp_denorm_src 0
		.amdhsa_exception_fp_ieee_div_zero 0
		.amdhsa_exception_fp_ieee_overflow 0
		.amdhsa_exception_fp_ieee_underflow 0
		.amdhsa_exception_fp_ieee_inexact 0
		.amdhsa_exception_int_div_zero 0
	.end_amdhsa_kernel
	.section	.text._ZN7rocprim17ROCPRIM_400000_NS6detail17trampoline_kernelINS0_14default_configENS1_36segmented_radix_sort_config_selectorIalEEZNS1_25segmented_radix_sort_implIS3_Lb0EPKaPaPKlPlN2at6native12_GLOBAL__N_18offset_tEEE10hipError_tPvRmT1_PNSt15iterator_traitsISK_E10value_typeET2_T3_PNSL_ISQ_E10value_typeET4_jRbjT5_SW_jjP12ihipStream_tbEUlT_E2_NS1_11comp_targetILNS1_3genE4ELNS1_11target_archE910ELNS1_3gpuE8ELNS1_3repE0EEENS1_30default_config_static_selectorELNS0_4arch9wavefront6targetE0EEEvSK_,"axG",@progbits,_ZN7rocprim17ROCPRIM_400000_NS6detail17trampoline_kernelINS0_14default_configENS1_36segmented_radix_sort_config_selectorIalEEZNS1_25segmented_radix_sort_implIS3_Lb0EPKaPaPKlPlN2at6native12_GLOBAL__N_18offset_tEEE10hipError_tPvRmT1_PNSt15iterator_traitsISK_E10value_typeET2_T3_PNSL_ISQ_E10value_typeET4_jRbjT5_SW_jjP12ihipStream_tbEUlT_E2_NS1_11comp_targetILNS1_3genE4ELNS1_11target_archE910ELNS1_3gpuE8ELNS1_3repE0EEENS1_30default_config_static_selectorELNS0_4arch9wavefront6targetE0EEEvSK_,comdat
.Lfunc_end425:
	.size	_ZN7rocprim17ROCPRIM_400000_NS6detail17trampoline_kernelINS0_14default_configENS1_36segmented_radix_sort_config_selectorIalEEZNS1_25segmented_radix_sort_implIS3_Lb0EPKaPaPKlPlN2at6native12_GLOBAL__N_18offset_tEEE10hipError_tPvRmT1_PNSt15iterator_traitsISK_E10value_typeET2_T3_PNSL_ISQ_E10value_typeET4_jRbjT5_SW_jjP12ihipStream_tbEUlT_E2_NS1_11comp_targetILNS1_3genE4ELNS1_11target_archE910ELNS1_3gpuE8ELNS1_3repE0EEENS1_30default_config_static_selectorELNS0_4arch9wavefront6targetE0EEEvSK_, .Lfunc_end425-_ZN7rocprim17ROCPRIM_400000_NS6detail17trampoline_kernelINS0_14default_configENS1_36segmented_radix_sort_config_selectorIalEEZNS1_25segmented_radix_sort_implIS3_Lb0EPKaPaPKlPlN2at6native12_GLOBAL__N_18offset_tEEE10hipError_tPvRmT1_PNSt15iterator_traitsISK_E10value_typeET2_T3_PNSL_ISQ_E10value_typeET4_jRbjT5_SW_jjP12ihipStream_tbEUlT_E2_NS1_11comp_targetILNS1_3genE4ELNS1_11target_archE910ELNS1_3gpuE8ELNS1_3repE0EEENS1_30default_config_static_selectorELNS0_4arch9wavefront6targetE0EEEvSK_
                                        ; -- End function
	.set _ZN7rocprim17ROCPRIM_400000_NS6detail17trampoline_kernelINS0_14default_configENS1_36segmented_radix_sort_config_selectorIalEEZNS1_25segmented_radix_sort_implIS3_Lb0EPKaPaPKlPlN2at6native12_GLOBAL__N_18offset_tEEE10hipError_tPvRmT1_PNSt15iterator_traitsISK_E10value_typeET2_T3_PNSL_ISQ_E10value_typeET4_jRbjT5_SW_jjP12ihipStream_tbEUlT_E2_NS1_11comp_targetILNS1_3genE4ELNS1_11target_archE910ELNS1_3gpuE8ELNS1_3repE0EEENS1_30default_config_static_selectorELNS0_4arch9wavefront6targetE0EEEvSK_.num_vgpr, 0
	.set _ZN7rocprim17ROCPRIM_400000_NS6detail17trampoline_kernelINS0_14default_configENS1_36segmented_radix_sort_config_selectorIalEEZNS1_25segmented_radix_sort_implIS3_Lb0EPKaPaPKlPlN2at6native12_GLOBAL__N_18offset_tEEE10hipError_tPvRmT1_PNSt15iterator_traitsISK_E10value_typeET2_T3_PNSL_ISQ_E10value_typeET4_jRbjT5_SW_jjP12ihipStream_tbEUlT_E2_NS1_11comp_targetILNS1_3genE4ELNS1_11target_archE910ELNS1_3gpuE8ELNS1_3repE0EEENS1_30default_config_static_selectorELNS0_4arch9wavefront6targetE0EEEvSK_.num_agpr, 0
	.set _ZN7rocprim17ROCPRIM_400000_NS6detail17trampoline_kernelINS0_14default_configENS1_36segmented_radix_sort_config_selectorIalEEZNS1_25segmented_radix_sort_implIS3_Lb0EPKaPaPKlPlN2at6native12_GLOBAL__N_18offset_tEEE10hipError_tPvRmT1_PNSt15iterator_traitsISK_E10value_typeET2_T3_PNSL_ISQ_E10value_typeET4_jRbjT5_SW_jjP12ihipStream_tbEUlT_E2_NS1_11comp_targetILNS1_3genE4ELNS1_11target_archE910ELNS1_3gpuE8ELNS1_3repE0EEENS1_30default_config_static_selectorELNS0_4arch9wavefront6targetE0EEEvSK_.numbered_sgpr, 0
	.set _ZN7rocprim17ROCPRIM_400000_NS6detail17trampoline_kernelINS0_14default_configENS1_36segmented_radix_sort_config_selectorIalEEZNS1_25segmented_radix_sort_implIS3_Lb0EPKaPaPKlPlN2at6native12_GLOBAL__N_18offset_tEEE10hipError_tPvRmT1_PNSt15iterator_traitsISK_E10value_typeET2_T3_PNSL_ISQ_E10value_typeET4_jRbjT5_SW_jjP12ihipStream_tbEUlT_E2_NS1_11comp_targetILNS1_3genE4ELNS1_11target_archE910ELNS1_3gpuE8ELNS1_3repE0EEENS1_30default_config_static_selectorELNS0_4arch9wavefront6targetE0EEEvSK_.num_named_barrier, 0
	.set _ZN7rocprim17ROCPRIM_400000_NS6detail17trampoline_kernelINS0_14default_configENS1_36segmented_radix_sort_config_selectorIalEEZNS1_25segmented_radix_sort_implIS3_Lb0EPKaPaPKlPlN2at6native12_GLOBAL__N_18offset_tEEE10hipError_tPvRmT1_PNSt15iterator_traitsISK_E10value_typeET2_T3_PNSL_ISQ_E10value_typeET4_jRbjT5_SW_jjP12ihipStream_tbEUlT_E2_NS1_11comp_targetILNS1_3genE4ELNS1_11target_archE910ELNS1_3gpuE8ELNS1_3repE0EEENS1_30default_config_static_selectorELNS0_4arch9wavefront6targetE0EEEvSK_.private_seg_size, 0
	.set _ZN7rocprim17ROCPRIM_400000_NS6detail17trampoline_kernelINS0_14default_configENS1_36segmented_radix_sort_config_selectorIalEEZNS1_25segmented_radix_sort_implIS3_Lb0EPKaPaPKlPlN2at6native12_GLOBAL__N_18offset_tEEE10hipError_tPvRmT1_PNSt15iterator_traitsISK_E10value_typeET2_T3_PNSL_ISQ_E10value_typeET4_jRbjT5_SW_jjP12ihipStream_tbEUlT_E2_NS1_11comp_targetILNS1_3genE4ELNS1_11target_archE910ELNS1_3gpuE8ELNS1_3repE0EEENS1_30default_config_static_selectorELNS0_4arch9wavefront6targetE0EEEvSK_.uses_vcc, 0
	.set _ZN7rocprim17ROCPRIM_400000_NS6detail17trampoline_kernelINS0_14default_configENS1_36segmented_radix_sort_config_selectorIalEEZNS1_25segmented_radix_sort_implIS3_Lb0EPKaPaPKlPlN2at6native12_GLOBAL__N_18offset_tEEE10hipError_tPvRmT1_PNSt15iterator_traitsISK_E10value_typeET2_T3_PNSL_ISQ_E10value_typeET4_jRbjT5_SW_jjP12ihipStream_tbEUlT_E2_NS1_11comp_targetILNS1_3genE4ELNS1_11target_archE910ELNS1_3gpuE8ELNS1_3repE0EEENS1_30default_config_static_selectorELNS0_4arch9wavefront6targetE0EEEvSK_.uses_flat_scratch, 0
	.set _ZN7rocprim17ROCPRIM_400000_NS6detail17trampoline_kernelINS0_14default_configENS1_36segmented_radix_sort_config_selectorIalEEZNS1_25segmented_radix_sort_implIS3_Lb0EPKaPaPKlPlN2at6native12_GLOBAL__N_18offset_tEEE10hipError_tPvRmT1_PNSt15iterator_traitsISK_E10value_typeET2_T3_PNSL_ISQ_E10value_typeET4_jRbjT5_SW_jjP12ihipStream_tbEUlT_E2_NS1_11comp_targetILNS1_3genE4ELNS1_11target_archE910ELNS1_3gpuE8ELNS1_3repE0EEENS1_30default_config_static_selectorELNS0_4arch9wavefront6targetE0EEEvSK_.has_dyn_sized_stack, 0
	.set _ZN7rocprim17ROCPRIM_400000_NS6detail17trampoline_kernelINS0_14default_configENS1_36segmented_radix_sort_config_selectorIalEEZNS1_25segmented_radix_sort_implIS3_Lb0EPKaPaPKlPlN2at6native12_GLOBAL__N_18offset_tEEE10hipError_tPvRmT1_PNSt15iterator_traitsISK_E10value_typeET2_T3_PNSL_ISQ_E10value_typeET4_jRbjT5_SW_jjP12ihipStream_tbEUlT_E2_NS1_11comp_targetILNS1_3genE4ELNS1_11target_archE910ELNS1_3gpuE8ELNS1_3repE0EEENS1_30default_config_static_selectorELNS0_4arch9wavefront6targetE0EEEvSK_.has_recursion, 0
	.set _ZN7rocprim17ROCPRIM_400000_NS6detail17trampoline_kernelINS0_14default_configENS1_36segmented_radix_sort_config_selectorIalEEZNS1_25segmented_radix_sort_implIS3_Lb0EPKaPaPKlPlN2at6native12_GLOBAL__N_18offset_tEEE10hipError_tPvRmT1_PNSt15iterator_traitsISK_E10value_typeET2_T3_PNSL_ISQ_E10value_typeET4_jRbjT5_SW_jjP12ihipStream_tbEUlT_E2_NS1_11comp_targetILNS1_3genE4ELNS1_11target_archE910ELNS1_3gpuE8ELNS1_3repE0EEENS1_30default_config_static_selectorELNS0_4arch9wavefront6targetE0EEEvSK_.has_indirect_call, 0
	.section	.AMDGPU.csdata,"",@progbits
; Kernel info:
; codeLenInByte = 0
; TotalNumSgprs: 0
; NumVgprs: 0
; ScratchSize: 0
; MemoryBound: 0
; FloatMode: 240
; IeeeMode: 1
; LDSByteSize: 0 bytes/workgroup (compile time only)
; SGPRBlocks: 0
; VGPRBlocks: 0
; NumSGPRsForWavesPerEU: 1
; NumVGPRsForWavesPerEU: 1
; Occupancy: 16
; WaveLimiterHint : 0
; COMPUTE_PGM_RSRC2:SCRATCH_EN: 0
; COMPUTE_PGM_RSRC2:USER_SGPR: 2
; COMPUTE_PGM_RSRC2:TRAP_HANDLER: 0
; COMPUTE_PGM_RSRC2:TGID_X_EN: 1
; COMPUTE_PGM_RSRC2:TGID_Y_EN: 0
; COMPUTE_PGM_RSRC2:TGID_Z_EN: 0
; COMPUTE_PGM_RSRC2:TIDIG_COMP_CNT: 0
	.section	.text._ZN7rocprim17ROCPRIM_400000_NS6detail17trampoline_kernelINS0_14default_configENS1_36segmented_radix_sort_config_selectorIalEEZNS1_25segmented_radix_sort_implIS3_Lb0EPKaPaPKlPlN2at6native12_GLOBAL__N_18offset_tEEE10hipError_tPvRmT1_PNSt15iterator_traitsISK_E10value_typeET2_T3_PNSL_ISQ_E10value_typeET4_jRbjT5_SW_jjP12ihipStream_tbEUlT_E2_NS1_11comp_targetILNS1_3genE3ELNS1_11target_archE908ELNS1_3gpuE7ELNS1_3repE0EEENS1_30default_config_static_selectorELNS0_4arch9wavefront6targetE0EEEvSK_,"axG",@progbits,_ZN7rocprim17ROCPRIM_400000_NS6detail17trampoline_kernelINS0_14default_configENS1_36segmented_radix_sort_config_selectorIalEEZNS1_25segmented_radix_sort_implIS3_Lb0EPKaPaPKlPlN2at6native12_GLOBAL__N_18offset_tEEE10hipError_tPvRmT1_PNSt15iterator_traitsISK_E10value_typeET2_T3_PNSL_ISQ_E10value_typeET4_jRbjT5_SW_jjP12ihipStream_tbEUlT_E2_NS1_11comp_targetILNS1_3genE3ELNS1_11target_archE908ELNS1_3gpuE7ELNS1_3repE0EEENS1_30default_config_static_selectorELNS0_4arch9wavefront6targetE0EEEvSK_,comdat
	.globl	_ZN7rocprim17ROCPRIM_400000_NS6detail17trampoline_kernelINS0_14default_configENS1_36segmented_radix_sort_config_selectorIalEEZNS1_25segmented_radix_sort_implIS3_Lb0EPKaPaPKlPlN2at6native12_GLOBAL__N_18offset_tEEE10hipError_tPvRmT1_PNSt15iterator_traitsISK_E10value_typeET2_T3_PNSL_ISQ_E10value_typeET4_jRbjT5_SW_jjP12ihipStream_tbEUlT_E2_NS1_11comp_targetILNS1_3genE3ELNS1_11target_archE908ELNS1_3gpuE7ELNS1_3repE0EEENS1_30default_config_static_selectorELNS0_4arch9wavefront6targetE0EEEvSK_ ; -- Begin function _ZN7rocprim17ROCPRIM_400000_NS6detail17trampoline_kernelINS0_14default_configENS1_36segmented_radix_sort_config_selectorIalEEZNS1_25segmented_radix_sort_implIS3_Lb0EPKaPaPKlPlN2at6native12_GLOBAL__N_18offset_tEEE10hipError_tPvRmT1_PNSt15iterator_traitsISK_E10value_typeET2_T3_PNSL_ISQ_E10value_typeET4_jRbjT5_SW_jjP12ihipStream_tbEUlT_E2_NS1_11comp_targetILNS1_3genE3ELNS1_11target_archE908ELNS1_3gpuE7ELNS1_3repE0EEENS1_30default_config_static_selectorELNS0_4arch9wavefront6targetE0EEEvSK_
	.p2align	8
	.type	_ZN7rocprim17ROCPRIM_400000_NS6detail17trampoline_kernelINS0_14default_configENS1_36segmented_radix_sort_config_selectorIalEEZNS1_25segmented_radix_sort_implIS3_Lb0EPKaPaPKlPlN2at6native12_GLOBAL__N_18offset_tEEE10hipError_tPvRmT1_PNSt15iterator_traitsISK_E10value_typeET2_T3_PNSL_ISQ_E10value_typeET4_jRbjT5_SW_jjP12ihipStream_tbEUlT_E2_NS1_11comp_targetILNS1_3genE3ELNS1_11target_archE908ELNS1_3gpuE7ELNS1_3repE0EEENS1_30default_config_static_selectorELNS0_4arch9wavefront6targetE0EEEvSK_,@function
_ZN7rocprim17ROCPRIM_400000_NS6detail17trampoline_kernelINS0_14default_configENS1_36segmented_radix_sort_config_selectorIalEEZNS1_25segmented_radix_sort_implIS3_Lb0EPKaPaPKlPlN2at6native12_GLOBAL__N_18offset_tEEE10hipError_tPvRmT1_PNSt15iterator_traitsISK_E10value_typeET2_T3_PNSL_ISQ_E10value_typeET4_jRbjT5_SW_jjP12ihipStream_tbEUlT_E2_NS1_11comp_targetILNS1_3genE3ELNS1_11target_archE908ELNS1_3gpuE7ELNS1_3repE0EEENS1_30default_config_static_selectorELNS0_4arch9wavefront6targetE0EEEvSK_: ; @_ZN7rocprim17ROCPRIM_400000_NS6detail17trampoline_kernelINS0_14default_configENS1_36segmented_radix_sort_config_selectorIalEEZNS1_25segmented_radix_sort_implIS3_Lb0EPKaPaPKlPlN2at6native12_GLOBAL__N_18offset_tEEE10hipError_tPvRmT1_PNSt15iterator_traitsISK_E10value_typeET2_T3_PNSL_ISQ_E10value_typeET4_jRbjT5_SW_jjP12ihipStream_tbEUlT_E2_NS1_11comp_targetILNS1_3genE3ELNS1_11target_archE908ELNS1_3gpuE7ELNS1_3repE0EEENS1_30default_config_static_selectorELNS0_4arch9wavefront6targetE0EEEvSK_
; %bb.0:
	.section	.rodata,"a",@progbits
	.p2align	6, 0x0
	.amdhsa_kernel _ZN7rocprim17ROCPRIM_400000_NS6detail17trampoline_kernelINS0_14default_configENS1_36segmented_radix_sort_config_selectorIalEEZNS1_25segmented_radix_sort_implIS3_Lb0EPKaPaPKlPlN2at6native12_GLOBAL__N_18offset_tEEE10hipError_tPvRmT1_PNSt15iterator_traitsISK_E10value_typeET2_T3_PNSL_ISQ_E10value_typeET4_jRbjT5_SW_jjP12ihipStream_tbEUlT_E2_NS1_11comp_targetILNS1_3genE3ELNS1_11target_archE908ELNS1_3gpuE7ELNS1_3repE0EEENS1_30default_config_static_selectorELNS0_4arch9wavefront6targetE0EEEvSK_
		.amdhsa_group_segment_fixed_size 0
		.amdhsa_private_segment_fixed_size 0
		.amdhsa_kernarg_size 80
		.amdhsa_user_sgpr_count 2
		.amdhsa_user_sgpr_dispatch_ptr 0
		.amdhsa_user_sgpr_queue_ptr 0
		.amdhsa_user_sgpr_kernarg_segment_ptr 1
		.amdhsa_user_sgpr_dispatch_id 0
		.amdhsa_user_sgpr_private_segment_size 0
		.amdhsa_wavefront_size32 1
		.amdhsa_uses_dynamic_stack 0
		.amdhsa_enable_private_segment 0
		.amdhsa_system_sgpr_workgroup_id_x 1
		.amdhsa_system_sgpr_workgroup_id_y 0
		.amdhsa_system_sgpr_workgroup_id_z 0
		.amdhsa_system_sgpr_workgroup_info 0
		.amdhsa_system_vgpr_workitem_id 0
		.amdhsa_next_free_vgpr 1
		.amdhsa_next_free_sgpr 1
		.amdhsa_reserve_vcc 0
		.amdhsa_float_round_mode_32 0
		.amdhsa_float_round_mode_16_64 0
		.amdhsa_float_denorm_mode_32 3
		.amdhsa_float_denorm_mode_16_64 3
		.amdhsa_fp16_overflow 0
		.amdhsa_workgroup_processor_mode 1
		.amdhsa_memory_ordered 1
		.amdhsa_forward_progress 1
		.amdhsa_inst_pref_size 0
		.amdhsa_round_robin_scheduling 0
		.amdhsa_exception_fp_ieee_invalid_op 0
		.amdhsa_exception_fp_denorm_src 0
		.amdhsa_exception_fp_ieee_div_zero 0
		.amdhsa_exception_fp_ieee_overflow 0
		.amdhsa_exception_fp_ieee_underflow 0
		.amdhsa_exception_fp_ieee_inexact 0
		.amdhsa_exception_int_div_zero 0
	.end_amdhsa_kernel
	.section	.text._ZN7rocprim17ROCPRIM_400000_NS6detail17trampoline_kernelINS0_14default_configENS1_36segmented_radix_sort_config_selectorIalEEZNS1_25segmented_radix_sort_implIS3_Lb0EPKaPaPKlPlN2at6native12_GLOBAL__N_18offset_tEEE10hipError_tPvRmT1_PNSt15iterator_traitsISK_E10value_typeET2_T3_PNSL_ISQ_E10value_typeET4_jRbjT5_SW_jjP12ihipStream_tbEUlT_E2_NS1_11comp_targetILNS1_3genE3ELNS1_11target_archE908ELNS1_3gpuE7ELNS1_3repE0EEENS1_30default_config_static_selectorELNS0_4arch9wavefront6targetE0EEEvSK_,"axG",@progbits,_ZN7rocprim17ROCPRIM_400000_NS6detail17trampoline_kernelINS0_14default_configENS1_36segmented_radix_sort_config_selectorIalEEZNS1_25segmented_radix_sort_implIS3_Lb0EPKaPaPKlPlN2at6native12_GLOBAL__N_18offset_tEEE10hipError_tPvRmT1_PNSt15iterator_traitsISK_E10value_typeET2_T3_PNSL_ISQ_E10value_typeET4_jRbjT5_SW_jjP12ihipStream_tbEUlT_E2_NS1_11comp_targetILNS1_3genE3ELNS1_11target_archE908ELNS1_3gpuE7ELNS1_3repE0EEENS1_30default_config_static_selectorELNS0_4arch9wavefront6targetE0EEEvSK_,comdat
.Lfunc_end426:
	.size	_ZN7rocprim17ROCPRIM_400000_NS6detail17trampoline_kernelINS0_14default_configENS1_36segmented_radix_sort_config_selectorIalEEZNS1_25segmented_radix_sort_implIS3_Lb0EPKaPaPKlPlN2at6native12_GLOBAL__N_18offset_tEEE10hipError_tPvRmT1_PNSt15iterator_traitsISK_E10value_typeET2_T3_PNSL_ISQ_E10value_typeET4_jRbjT5_SW_jjP12ihipStream_tbEUlT_E2_NS1_11comp_targetILNS1_3genE3ELNS1_11target_archE908ELNS1_3gpuE7ELNS1_3repE0EEENS1_30default_config_static_selectorELNS0_4arch9wavefront6targetE0EEEvSK_, .Lfunc_end426-_ZN7rocprim17ROCPRIM_400000_NS6detail17trampoline_kernelINS0_14default_configENS1_36segmented_radix_sort_config_selectorIalEEZNS1_25segmented_radix_sort_implIS3_Lb0EPKaPaPKlPlN2at6native12_GLOBAL__N_18offset_tEEE10hipError_tPvRmT1_PNSt15iterator_traitsISK_E10value_typeET2_T3_PNSL_ISQ_E10value_typeET4_jRbjT5_SW_jjP12ihipStream_tbEUlT_E2_NS1_11comp_targetILNS1_3genE3ELNS1_11target_archE908ELNS1_3gpuE7ELNS1_3repE0EEENS1_30default_config_static_selectorELNS0_4arch9wavefront6targetE0EEEvSK_
                                        ; -- End function
	.set _ZN7rocprim17ROCPRIM_400000_NS6detail17trampoline_kernelINS0_14default_configENS1_36segmented_radix_sort_config_selectorIalEEZNS1_25segmented_radix_sort_implIS3_Lb0EPKaPaPKlPlN2at6native12_GLOBAL__N_18offset_tEEE10hipError_tPvRmT1_PNSt15iterator_traitsISK_E10value_typeET2_T3_PNSL_ISQ_E10value_typeET4_jRbjT5_SW_jjP12ihipStream_tbEUlT_E2_NS1_11comp_targetILNS1_3genE3ELNS1_11target_archE908ELNS1_3gpuE7ELNS1_3repE0EEENS1_30default_config_static_selectorELNS0_4arch9wavefront6targetE0EEEvSK_.num_vgpr, 0
	.set _ZN7rocprim17ROCPRIM_400000_NS6detail17trampoline_kernelINS0_14default_configENS1_36segmented_radix_sort_config_selectorIalEEZNS1_25segmented_radix_sort_implIS3_Lb0EPKaPaPKlPlN2at6native12_GLOBAL__N_18offset_tEEE10hipError_tPvRmT1_PNSt15iterator_traitsISK_E10value_typeET2_T3_PNSL_ISQ_E10value_typeET4_jRbjT5_SW_jjP12ihipStream_tbEUlT_E2_NS1_11comp_targetILNS1_3genE3ELNS1_11target_archE908ELNS1_3gpuE7ELNS1_3repE0EEENS1_30default_config_static_selectorELNS0_4arch9wavefront6targetE0EEEvSK_.num_agpr, 0
	.set _ZN7rocprim17ROCPRIM_400000_NS6detail17trampoline_kernelINS0_14default_configENS1_36segmented_radix_sort_config_selectorIalEEZNS1_25segmented_radix_sort_implIS3_Lb0EPKaPaPKlPlN2at6native12_GLOBAL__N_18offset_tEEE10hipError_tPvRmT1_PNSt15iterator_traitsISK_E10value_typeET2_T3_PNSL_ISQ_E10value_typeET4_jRbjT5_SW_jjP12ihipStream_tbEUlT_E2_NS1_11comp_targetILNS1_3genE3ELNS1_11target_archE908ELNS1_3gpuE7ELNS1_3repE0EEENS1_30default_config_static_selectorELNS0_4arch9wavefront6targetE0EEEvSK_.numbered_sgpr, 0
	.set _ZN7rocprim17ROCPRIM_400000_NS6detail17trampoline_kernelINS0_14default_configENS1_36segmented_radix_sort_config_selectorIalEEZNS1_25segmented_radix_sort_implIS3_Lb0EPKaPaPKlPlN2at6native12_GLOBAL__N_18offset_tEEE10hipError_tPvRmT1_PNSt15iterator_traitsISK_E10value_typeET2_T3_PNSL_ISQ_E10value_typeET4_jRbjT5_SW_jjP12ihipStream_tbEUlT_E2_NS1_11comp_targetILNS1_3genE3ELNS1_11target_archE908ELNS1_3gpuE7ELNS1_3repE0EEENS1_30default_config_static_selectorELNS0_4arch9wavefront6targetE0EEEvSK_.num_named_barrier, 0
	.set _ZN7rocprim17ROCPRIM_400000_NS6detail17trampoline_kernelINS0_14default_configENS1_36segmented_radix_sort_config_selectorIalEEZNS1_25segmented_radix_sort_implIS3_Lb0EPKaPaPKlPlN2at6native12_GLOBAL__N_18offset_tEEE10hipError_tPvRmT1_PNSt15iterator_traitsISK_E10value_typeET2_T3_PNSL_ISQ_E10value_typeET4_jRbjT5_SW_jjP12ihipStream_tbEUlT_E2_NS1_11comp_targetILNS1_3genE3ELNS1_11target_archE908ELNS1_3gpuE7ELNS1_3repE0EEENS1_30default_config_static_selectorELNS0_4arch9wavefront6targetE0EEEvSK_.private_seg_size, 0
	.set _ZN7rocprim17ROCPRIM_400000_NS6detail17trampoline_kernelINS0_14default_configENS1_36segmented_radix_sort_config_selectorIalEEZNS1_25segmented_radix_sort_implIS3_Lb0EPKaPaPKlPlN2at6native12_GLOBAL__N_18offset_tEEE10hipError_tPvRmT1_PNSt15iterator_traitsISK_E10value_typeET2_T3_PNSL_ISQ_E10value_typeET4_jRbjT5_SW_jjP12ihipStream_tbEUlT_E2_NS1_11comp_targetILNS1_3genE3ELNS1_11target_archE908ELNS1_3gpuE7ELNS1_3repE0EEENS1_30default_config_static_selectorELNS0_4arch9wavefront6targetE0EEEvSK_.uses_vcc, 0
	.set _ZN7rocprim17ROCPRIM_400000_NS6detail17trampoline_kernelINS0_14default_configENS1_36segmented_radix_sort_config_selectorIalEEZNS1_25segmented_radix_sort_implIS3_Lb0EPKaPaPKlPlN2at6native12_GLOBAL__N_18offset_tEEE10hipError_tPvRmT1_PNSt15iterator_traitsISK_E10value_typeET2_T3_PNSL_ISQ_E10value_typeET4_jRbjT5_SW_jjP12ihipStream_tbEUlT_E2_NS1_11comp_targetILNS1_3genE3ELNS1_11target_archE908ELNS1_3gpuE7ELNS1_3repE0EEENS1_30default_config_static_selectorELNS0_4arch9wavefront6targetE0EEEvSK_.uses_flat_scratch, 0
	.set _ZN7rocprim17ROCPRIM_400000_NS6detail17trampoline_kernelINS0_14default_configENS1_36segmented_radix_sort_config_selectorIalEEZNS1_25segmented_radix_sort_implIS3_Lb0EPKaPaPKlPlN2at6native12_GLOBAL__N_18offset_tEEE10hipError_tPvRmT1_PNSt15iterator_traitsISK_E10value_typeET2_T3_PNSL_ISQ_E10value_typeET4_jRbjT5_SW_jjP12ihipStream_tbEUlT_E2_NS1_11comp_targetILNS1_3genE3ELNS1_11target_archE908ELNS1_3gpuE7ELNS1_3repE0EEENS1_30default_config_static_selectorELNS0_4arch9wavefront6targetE0EEEvSK_.has_dyn_sized_stack, 0
	.set _ZN7rocprim17ROCPRIM_400000_NS6detail17trampoline_kernelINS0_14default_configENS1_36segmented_radix_sort_config_selectorIalEEZNS1_25segmented_radix_sort_implIS3_Lb0EPKaPaPKlPlN2at6native12_GLOBAL__N_18offset_tEEE10hipError_tPvRmT1_PNSt15iterator_traitsISK_E10value_typeET2_T3_PNSL_ISQ_E10value_typeET4_jRbjT5_SW_jjP12ihipStream_tbEUlT_E2_NS1_11comp_targetILNS1_3genE3ELNS1_11target_archE908ELNS1_3gpuE7ELNS1_3repE0EEENS1_30default_config_static_selectorELNS0_4arch9wavefront6targetE0EEEvSK_.has_recursion, 0
	.set _ZN7rocprim17ROCPRIM_400000_NS6detail17trampoline_kernelINS0_14default_configENS1_36segmented_radix_sort_config_selectorIalEEZNS1_25segmented_radix_sort_implIS3_Lb0EPKaPaPKlPlN2at6native12_GLOBAL__N_18offset_tEEE10hipError_tPvRmT1_PNSt15iterator_traitsISK_E10value_typeET2_T3_PNSL_ISQ_E10value_typeET4_jRbjT5_SW_jjP12ihipStream_tbEUlT_E2_NS1_11comp_targetILNS1_3genE3ELNS1_11target_archE908ELNS1_3gpuE7ELNS1_3repE0EEENS1_30default_config_static_selectorELNS0_4arch9wavefront6targetE0EEEvSK_.has_indirect_call, 0
	.section	.AMDGPU.csdata,"",@progbits
; Kernel info:
; codeLenInByte = 0
; TotalNumSgprs: 0
; NumVgprs: 0
; ScratchSize: 0
; MemoryBound: 0
; FloatMode: 240
; IeeeMode: 1
; LDSByteSize: 0 bytes/workgroup (compile time only)
; SGPRBlocks: 0
; VGPRBlocks: 0
; NumSGPRsForWavesPerEU: 1
; NumVGPRsForWavesPerEU: 1
; Occupancy: 16
; WaveLimiterHint : 0
; COMPUTE_PGM_RSRC2:SCRATCH_EN: 0
; COMPUTE_PGM_RSRC2:USER_SGPR: 2
; COMPUTE_PGM_RSRC2:TRAP_HANDLER: 0
; COMPUTE_PGM_RSRC2:TGID_X_EN: 1
; COMPUTE_PGM_RSRC2:TGID_Y_EN: 0
; COMPUTE_PGM_RSRC2:TGID_Z_EN: 0
; COMPUTE_PGM_RSRC2:TIDIG_COMP_CNT: 0
	.section	.text._ZN7rocprim17ROCPRIM_400000_NS6detail17trampoline_kernelINS0_14default_configENS1_36segmented_radix_sort_config_selectorIalEEZNS1_25segmented_radix_sort_implIS3_Lb0EPKaPaPKlPlN2at6native12_GLOBAL__N_18offset_tEEE10hipError_tPvRmT1_PNSt15iterator_traitsISK_E10value_typeET2_T3_PNSL_ISQ_E10value_typeET4_jRbjT5_SW_jjP12ihipStream_tbEUlT_E2_NS1_11comp_targetILNS1_3genE2ELNS1_11target_archE906ELNS1_3gpuE6ELNS1_3repE0EEENS1_30default_config_static_selectorELNS0_4arch9wavefront6targetE0EEEvSK_,"axG",@progbits,_ZN7rocprim17ROCPRIM_400000_NS6detail17trampoline_kernelINS0_14default_configENS1_36segmented_radix_sort_config_selectorIalEEZNS1_25segmented_radix_sort_implIS3_Lb0EPKaPaPKlPlN2at6native12_GLOBAL__N_18offset_tEEE10hipError_tPvRmT1_PNSt15iterator_traitsISK_E10value_typeET2_T3_PNSL_ISQ_E10value_typeET4_jRbjT5_SW_jjP12ihipStream_tbEUlT_E2_NS1_11comp_targetILNS1_3genE2ELNS1_11target_archE906ELNS1_3gpuE6ELNS1_3repE0EEENS1_30default_config_static_selectorELNS0_4arch9wavefront6targetE0EEEvSK_,comdat
	.globl	_ZN7rocprim17ROCPRIM_400000_NS6detail17trampoline_kernelINS0_14default_configENS1_36segmented_radix_sort_config_selectorIalEEZNS1_25segmented_radix_sort_implIS3_Lb0EPKaPaPKlPlN2at6native12_GLOBAL__N_18offset_tEEE10hipError_tPvRmT1_PNSt15iterator_traitsISK_E10value_typeET2_T3_PNSL_ISQ_E10value_typeET4_jRbjT5_SW_jjP12ihipStream_tbEUlT_E2_NS1_11comp_targetILNS1_3genE2ELNS1_11target_archE906ELNS1_3gpuE6ELNS1_3repE0EEENS1_30default_config_static_selectorELNS0_4arch9wavefront6targetE0EEEvSK_ ; -- Begin function _ZN7rocprim17ROCPRIM_400000_NS6detail17trampoline_kernelINS0_14default_configENS1_36segmented_radix_sort_config_selectorIalEEZNS1_25segmented_radix_sort_implIS3_Lb0EPKaPaPKlPlN2at6native12_GLOBAL__N_18offset_tEEE10hipError_tPvRmT1_PNSt15iterator_traitsISK_E10value_typeET2_T3_PNSL_ISQ_E10value_typeET4_jRbjT5_SW_jjP12ihipStream_tbEUlT_E2_NS1_11comp_targetILNS1_3genE2ELNS1_11target_archE906ELNS1_3gpuE6ELNS1_3repE0EEENS1_30default_config_static_selectorELNS0_4arch9wavefront6targetE0EEEvSK_
	.p2align	8
	.type	_ZN7rocprim17ROCPRIM_400000_NS6detail17trampoline_kernelINS0_14default_configENS1_36segmented_radix_sort_config_selectorIalEEZNS1_25segmented_radix_sort_implIS3_Lb0EPKaPaPKlPlN2at6native12_GLOBAL__N_18offset_tEEE10hipError_tPvRmT1_PNSt15iterator_traitsISK_E10value_typeET2_T3_PNSL_ISQ_E10value_typeET4_jRbjT5_SW_jjP12ihipStream_tbEUlT_E2_NS1_11comp_targetILNS1_3genE2ELNS1_11target_archE906ELNS1_3gpuE6ELNS1_3repE0EEENS1_30default_config_static_selectorELNS0_4arch9wavefront6targetE0EEEvSK_,@function
_ZN7rocprim17ROCPRIM_400000_NS6detail17trampoline_kernelINS0_14default_configENS1_36segmented_radix_sort_config_selectorIalEEZNS1_25segmented_radix_sort_implIS3_Lb0EPKaPaPKlPlN2at6native12_GLOBAL__N_18offset_tEEE10hipError_tPvRmT1_PNSt15iterator_traitsISK_E10value_typeET2_T3_PNSL_ISQ_E10value_typeET4_jRbjT5_SW_jjP12ihipStream_tbEUlT_E2_NS1_11comp_targetILNS1_3genE2ELNS1_11target_archE906ELNS1_3gpuE6ELNS1_3repE0EEENS1_30default_config_static_selectorELNS0_4arch9wavefront6targetE0EEEvSK_: ; @_ZN7rocprim17ROCPRIM_400000_NS6detail17trampoline_kernelINS0_14default_configENS1_36segmented_radix_sort_config_selectorIalEEZNS1_25segmented_radix_sort_implIS3_Lb0EPKaPaPKlPlN2at6native12_GLOBAL__N_18offset_tEEE10hipError_tPvRmT1_PNSt15iterator_traitsISK_E10value_typeET2_T3_PNSL_ISQ_E10value_typeET4_jRbjT5_SW_jjP12ihipStream_tbEUlT_E2_NS1_11comp_targetILNS1_3genE2ELNS1_11target_archE906ELNS1_3gpuE6ELNS1_3repE0EEENS1_30default_config_static_selectorELNS0_4arch9wavefront6targetE0EEEvSK_
; %bb.0:
	.section	.rodata,"a",@progbits
	.p2align	6, 0x0
	.amdhsa_kernel _ZN7rocprim17ROCPRIM_400000_NS6detail17trampoline_kernelINS0_14default_configENS1_36segmented_radix_sort_config_selectorIalEEZNS1_25segmented_radix_sort_implIS3_Lb0EPKaPaPKlPlN2at6native12_GLOBAL__N_18offset_tEEE10hipError_tPvRmT1_PNSt15iterator_traitsISK_E10value_typeET2_T3_PNSL_ISQ_E10value_typeET4_jRbjT5_SW_jjP12ihipStream_tbEUlT_E2_NS1_11comp_targetILNS1_3genE2ELNS1_11target_archE906ELNS1_3gpuE6ELNS1_3repE0EEENS1_30default_config_static_selectorELNS0_4arch9wavefront6targetE0EEEvSK_
		.amdhsa_group_segment_fixed_size 0
		.amdhsa_private_segment_fixed_size 0
		.amdhsa_kernarg_size 80
		.amdhsa_user_sgpr_count 2
		.amdhsa_user_sgpr_dispatch_ptr 0
		.amdhsa_user_sgpr_queue_ptr 0
		.amdhsa_user_sgpr_kernarg_segment_ptr 1
		.amdhsa_user_sgpr_dispatch_id 0
		.amdhsa_user_sgpr_private_segment_size 0
		.amdhsa_wavefront_size32 1
		.amdhsa_uses_dynamic_stack 0
		.amdhsa_enable_private_segment 0
		.amdhsa_system_sgpr_workgroup_id_x 1
		.amdhsa_system_sgpr_workgroup_id_y 0
		.amdhsa_system_sgpr_workgroup_id_z 0
		.amdhsa_system_sgpr_workgroup_info 0
		.amdhsa_system_vgpr_workitem_id 0
		.amdhsa_next_free_vgpr 1
		.amdhsa_next_free_sgpr 1
		.amdhsa_reserve_vcc 0
		.amdhsa_float_round_mode_32 0
		.amdhsa_float_round_mode_16_64 0
		.amdhsa_float_denorm_mode_32 3
		.amdhsa_float_denorm_mode_16_64 3
		.amdhsa_fp16_overflow 0
		.amdhsa_workgroup_processor_mode 1
		.amdhsa_memory_ordered 1
		.amdhsa_forward_progress 1
		.amdhsa_inst_pref_size 0
		.amdhsa_round_robin_scheduling 0
		.amdhsa_exception_fp_ieee_invalid_op 0
		.amdhsa_exception_fp_denorm_src 0
		.amdhsa_exception_fp_ieee_div_zero 0
		.amdhsa_exception_fp_ieee_overflow 0
		.amdhsa_exception_fp_ieee_underflow 0
		.amdhsa_exception_fp_ieee_inexact 0
		.amdhsa_exception_int_div_zero 0
	.end_amdhsa_kernel
	.section	.text._ZN7rocprim17ROCPRIM_400000_NS6detail17trampoline_kernelINS0_14default_configENS1_36segmented_radix_sort_config_selectorIalEEZNS1_25segmented_radix_sort_implIS3_Lb0EPKaPaPKlPlN2at6native12_GLOBAL__N_18offset_tEEE10hipError_tPvRmT1_PNSt15iterator_traitsISK_E10value_typeET2_T3_PNSL_ISQ_E10value_typeET4_jRbjT5_SW_jjP12ihipStream_tbEUlT_E2_NS1_11comp_targetILNS1_3genE2ELNS1_11target_archE906ELNS1_3gpuE6ELNS1_3repE0EEENS1_30default_config_static_selectorELNS0_4arch9wavefront6targetE0EEEvSK_,"axG",@progbits,_ZN7rocprim17ROCPRIM_400000_NS6detail17trampoline_kernelINS0_14default_configENS1_36segmented_radix_sort_config_selectorIalEEZNS1_25segmented_radix_sort_implIS3_Lb0EPKaPaPKlPlN2at6native12_GLOBAL__N_18offset_tEEE10hipError_tPvRmT1_PNSt15iterator_traitsISK_E10value_typeET2_T3_PNSL_ISQ_E10value_typeET4_jRbjT5_SW_jjP12ihipStream_tbEUlT_E2_NS1_11comp_targetILNS1_3genE2ELNS1_11target_archE906ELNS1_3gpuE6ELNS1_3repE0EEENS1_30default_config_static_selectorELNS0_4arch9wavefront6targetE0EEEvSK_,comdat
.Lfunc_end427:
	.size	_ZN7rocprim17ROCPRIM_400000_NS6detail17trampoline_kernelINS0_14default_configENS1_36segmented_radix_sort_config_selectorIalEEZNS1_25segmented_radix_sort_implIS3_Lb0EPKaPaPKlPlN2at6native12_GLOBAL__N_18offset_tEEE10hipError_tPvRmT1_PNSt15iterator_traitsISK_E10value_typeET2_T3_PNSL_ISQ_E10value_typeET4_jRbjT5_SW_jjP12ihipStream_tbEUlT_E2_NS1_11comp_targetILNS1_3genE2ELNS1_11target_archE906ELNS1_3gpuE6ELNS1_3repE0EEENS1_30default_config_static_selectorELNS0_4arch9wavefront6targetE0EEEvSK_, .Lfunc_end427-_ZN7rocprim17ROCPRIM_400000_NS6detail17trampoline_kernelINS0_14default_configENS1_36segmented_radix_sort_config_selectorIalEEZNS1_25segmented_radix_sort_implIS3_Lb0EPKaPaPKlPlN2at6native12_GLOBAL__N_18offset_tEEE10hipError_tPvRmT1_PNSt15iterator_traitsISK_E10value_typeET2_T3_PNSL_ISQ_E10value_typeET4_jRbjT5_SW_jjP12ihipStream_tbEUlT_E2_NS1_11comp_targetILNS1_3genE2ELNS1_11target_archE906ELNS1_3gpuE6ELNS1_3repE0EEENS1_30default_config_static_selectorELNS0_4arch9wavefront6targetE0EEEvSK_
                                        ; -- End function
	.set _ZN7rocprim17ROCPRIM_400000_NS6detail17trampoline_kernelINS0_14default_configENS1_36segmented_radix_sort_config_selectorIalEEZNS1_25segmented_radix_sort_implIS3_Lb0EPKaPaPKlPlN2at6native12_GLOBAL__N_18offset_tEEE10hipError_tPvRmT1_PNSt15iterator_traitsISK_E10value_typeET2_T3_PNSL_ISQ_E10value_typeET4_jRbjT5_SW_jjP12ihipStream_tbEUlT_E2_NS1_11comp_targetILNS1_3genE2ELNS1_11target_archE906ELNS1_3gpuE6ELNS1_3repE0EEENS1_30default_config_static_selectorELNS0_4arch9wavefront6targetE0EEEvSK_.num_vgpr, 0
	.set _ZN7rocprim17ROCPRIM_400000_NS6detail17trampoline_kernelINS0_14default_configENS1_36segmented_radix_sort_config_selectorIalEEZNS1_25segmented_radix_sort_implIS3_Lb0EPKaPaPKlPlN2at6native12_GLOBAL__N_18offset_tEEE10hipError_tPvRmT1_PNSt15iterator_traitsISK_E10value_typeET2_T3_PNSL_ISQ_E10value_typeET4_jRbjT5_SW_jjP12ihipStream_tbEUlT_E2_NS1_11comp_targetILNS1_3genE2ELNS1_11target_archE906ELNS1_3gpuE6ELNS1_3repE0EEENS1_30default_config_static_selectorELNS0_4arch9wavefront6targetE0EEEvSK_.num_agpr, 0
	.set _ZN7rocprim17ROCPRIM_400000_NS6detail17trampoline_kernelINS0_14default_configENS1_36segmented_radix_sort_config_selectorIalEEZNS1_25segmented_radix_sort_implIS3_Lb0EPKaPaPKlPlN2at6native12_GLOBAL__N_18offset_tEEE10hipError_tPvRmT1_PNSt15iterator_traitsISK_E10value_typeET2_T3_PNSL_ISQ_E10value_typeET4_jRbjT5_SW_jjP12ihipStream_tbEUlT_E2_NS1_11comp_targetILNS1_3genE2ELNS1_11target_archE906ELNS1_3gpuE6ELNS1_3repE0EEENS1_30default_config_static_selectorELNS0_4arch9wavefront6targetE0EEEvSK_.numbered_sgpr, 0
	.set _ZN7rocprim17ROCPRIM_400000_NS6detail17trampoline_kernelINS0_14default_configENS1_36segmented_radix_sort_config_selectorIalEEZNS1_25segmented_radix_sort_implIS3_Lb0EPKaPaPKlPlN2at6native12_GLOBAL__N_18offset_tEEE10hipError_tPvRmT1_PNSt15iterator_traitsISK_E10value_typeET2_T3_PNSL_ISQ_E10value_typeET4_jRbjT5_SW_jjP12ihipStream_tbEUlT_E2_NS1_11comp_targetILNS1_3genE2ELNS1_11target_archE906ELNS1_3gpuE6ELNS1_3repE0EEENS1_30default_config_static_selectorELNS0_4arch9wavefront6targetE0EEEvSK_.num_named_barrier, 0
	.set _ZN7rocprim17ROCPRIM_400000_NS6detail17trampoline_kernelINS0_14default_configENS1_36segmented_radix_sort_config_selectorIalEEZNS1_25segmented_radix_sort_implIS3_Lb0EPKaPaPKlPlN2at6native12_GLOBAL__N_18offset_tEEE10hipError_tPvRmT1_PNSt15iterator_traitsISK_E10value_typeET2_T3_PNSL_ISQ_E10value_typeET4_jRbjT5_SW_jjP12ihipStream_tbEUlT_E2_NS1_11comp_targetILNS1_3genE2ELNS1_11target_archE906ELNS1_3gpuE6ELNS1_3repE0EEENS1_30default_config_static_selectorELNS0_4arch9wavefront6targetE0EEEvSK_.private_seg_size, 0
	.set _ZN7rocprim17ROCPRIM_400000_NS6detail17trampoline_kernelINS0_14default_configENS1_36segmented_radix_sort_config_selectorIalEEZNS1_25segmented_radix_sort_implIS3_Lb0EPKaPaPKlPlN2at6native12_GLOBAL__N_18offset_tEEE10hipError_tPvRmT1_PNSt15iterator_traitsISK_E10value_typeET2_T3_PNSL_ISQ_E10value_typeET4_jRbjT5_SW_jjP12ihipStream_tbEUlT_E2_NS1_11comp_targetILNS1_3genE2ELNS1_11target_archE906ELNS1_3gpuE6ELNS1_3repE0EEENS1_30default_config_static_selectorELNS0_4arch9wavefront6targetE0EEEvSK_.uses_vcc, 0
	.set _ZN7rocprim17ROCPRIM_400000_NS6detail17trampoline_kernelINS0_14default_configENS1_36segmented_radix_sort_config_selectorIalEEZNS1_25segmented_radix_sort_implIS3_Lb0EPKaPaPKlPlN2at6native12_GLOBAL__N_18offset_tEEE10hipError_tPvRmT1_PNSt15iterator_traitsISK_E10value_typeET2_T3_PNSL_ISQ_E10value_typeET4_jRbjT5_SW_jjP12ihipStream_tbEUlT_E2_NS1_11comp_targetILNS1_3genE2ELNS1_11target_archE906ELNS1_3gpuE6ELNS1_3repE0EEENS1_30default_config_static_selectorELNS0_4arch9wavefront6targetE0EEEvSK_.uses_flat_scratch, 0
	.set _ZN7rocprim17ROCPRIM_400000_NS6detail17trampoline_kernelINS0_14default_configENS1_36segmented_radix_sort_config_selectorIalEEZNS1_25segmented_radix_sort_implIS3_Lb0EPKaPaPKlPlN2at6native12_GLOBAL__N_18offset_tEEE10hipError_tPvRmT1_PNSt15iterator_traitsISK_E10value_typeET2_T3_PNSL_ISQ_E10value_typeET4_jRbjT5_SW_jjP12ihipStream_tbEUlT_E2_NS1_11comp_targetILNS1_3genE2ELNS1_11target_archE906ELNS1_3gpuE6ELNS1_3repE0EEENS1_30default_config_static_selectorELNS0_4arch9wavefront6targetE0EEEvSK_.has_dyn_sized_stack, 0
	.set _ZN7rocprim17ROCPRIM_400000_NS6detail17trampoline_kernelINS0_14default_configENS1_36segmented_radix_sort_config_selectorIalEEZNS1_25segmented_radix_sort_implIS3_Lb0EPKaPaPKlPlN2at6native12_GLOBAL__N_18offset_tEEE10hipError_tPvRmT1_PNSt15iterator_traitsISK_E10value_typeET2_T3_PNSL_ISQ_E10value_typeET4_jRbjT5_SW_jjP12ihipStream_tbEUlT_E2_NS1_11comp_targetILNS1_3genE2ELNS1_11target_archE906ELNS1_3gpuE6ELNS1_3repE0EEENS1_30default_config_static_selectorELNS0_4arch9wavefront6targetE0EEEvSK_.has_recursion, 0
	.set _ZN7rocprim17ROCPRIM_400000_NS6detail17trampoline_kernelINS0_14default_configENS1_36segmented_radix_sort_config_selectorIalEEZNS1_25segmented_radix_sort_implIS3_Lb0EPKaPaPKlPlN2at6native12_GLOBAL__N_18offset_tEEE10hipError_tPvRmT1_PNSt15iterator_traitsISK_E10value_typeET2_T3_PNSL_ISQ_E10value_typeET4_jRbjT5_SW_jjP12ihipStream_tbEUlT_E2_NS1_11comp_targetILNS1_3genE2ELNS1_11target_archE906ELNS1_3gpuE6ELNS1_3repE0EEENS1_30default_config_static_selectorELNS0_4arch9wavefront6targetE0EEEvSK_.has_indirect_call, 0
	.section	.AMDGPU.csdata,"",@progbits
; Kernel info:
; codeLenInByte = 0
; TotalNumSgprs: 0
; NumVgprs: 0
; ScratchSize: 0
; MemoryBound: 0
; FloatMode: 240
; IeeeMode: 1
; LDSByteSize: 0 bytes/workgroup (compile time only)
; SGPRBlocks: 0
; VGPRBlocks: 0
; NumSGPRsForWavesPerEU: 1
; NumVGPRsForWavesPerEU: 1
; Occupancy: 16
; WaveLimiterHint : 0
; COMPUTE_PGM_RSRC2:SCRATCH_EN: 0
; COMPUTE_PGM_RSRC2:USER_SGPR: 2
; COMPUTE_PGM_RSRC2:TRAP_HANDLER: 0
; COMPUTE_PGM_RSRC2:TGID_X_EN: 1
; COMPUTE_PGM_RSRC2:TGID_Y_EN: 0
; COMPUTE_PGM_RSRC2:TGID_Z_EN: 0
; COMPUTE_PGM_RSRC2:TIDIG_COMP_CNT: 0
	.section	.text._ZN7rocprim17ROCPRIM_400000_NS6detail17trampoline_kernelINS0_14default_configENS1_36segmented_radix_sort_config_selectorIalEEZNS1_25segmented_radix_sort_implIS3_Lb0EPKaPaPKlPlN2at6native12_GLOBAL__N_18offset_tEEE10hipError_tPvRmT1_PNSt15iterator_traitsISK_E10value_typeET2_T3_PNSL_ISQ_E10value_typeET4_jRbjT5_SW_jjP12ihipStream_tbEUlT_E2_NS1_11comp_targetILNS1_3genE10ELNS1_11target_archE1201ELNS1_3gpuE5ELNS1_3repE0EEENS1_30default_config_static_selectorELNS0_4arch9wavefront6targetE0EEEvSK_,"axG",@progbits,_ZN7rocprim17ROCPRIM_400000_NS6detail17trampoline_kernelINS0_14default_configENS1_36segmented_radix_sort_config_selectorIalEEZNS1_25segmented_radix_sort_implIS3_Lb0EPKaPaPKlPlN2at6native12_GLOBAL__N_18offset_tEEE10hipError_tPvRmT1_PNSt15iterator_traitsISK_E10value_typeET2_T3_PNSL_ISQ_E10value_typeET4_jRbjT5_SW_jjP12ihipStream_tbEUlT_E2_NS1_11comp_targetILNS1_3genE10ELNS1_11target_archE1201ELNS1_3gpuE5ELNS1_3repE0EEENS1_30default_config_static_selectorELNS0_4arch9wavefront6targetE0EEEvSK_,comdat
	.globl	_ZN7rocprim17ROCPRIM_400000_NS6detail17trampoline_kernelINS0_14default_configENS1_36segmented_radix_sort_config_selectorIalEEZNS1_25segmented_radix_sort_implIS3_Lb0EPKaPaPKlPlN2at6native12_GLOBAL__N_18offset_tEEE10hipError_tPvRmT1_PNSt15iterator_traitsISK_E10value_typeET2_T3_PNSL_ISQ_E10value_typeET4_jRbjT5_SW_jjP12ihipStream_tbEUlT_E2_NS1_11comp_targetILNS1_3genE10ELNS1_11target_archE1201ELNS1_3gpuE5ELNS1_3repE0EEENS1_30default_config_static_selectorELNS0_4arch9wavefront6targetE0EEEvSK_ ; -- Begin function _ZN7rocprim17ROCPRIM_400000_NS6detail17trampoline_kernelINS0_14default_configENS1_36segmented_radix_sort_config_selectorIalEEZNS1_25segmented_radix_sort_implIS3_Lb0EPKaPaPKlPlN2at6native12_GLOBAL__N_18offset_tEEE10hipError_tPvRmT1_PNSt15iterator_traitsISK_E10value_typeET2_T3_PNSL_ISQ_E10value_typeET4_jRbjT5_SW_jjP12ihipStream_tbEUlT_E2_NS1_11comp_targetILNS1_3genE10ELNS1_11target_archE1201ELNS1_3gpuE5ELNS1_3repE0EEENS1_30default_config_static_selectorELNS0_4arch9wavefront6targetE0EEEvSK_
	.p2align	8
	.type	_ZN7rocprim17ROCPRIM_400000_NS6detail17trampoline_kernelINS0_14default_configENS1_36segmented_radix_sort_config_selectorIalEEZNS1_25segmented_radix_sort_implIS3_Lb0EPKaPaPKlPlN2at6native12_GLOBAL__N_18offset_tEEE10hipError_tPvRmT1_PNSt15iterator_traitsISK_E10value_typeET2_T3_PNSL_ISQ_E10value_typeET4_jRbjT5_SW_jjP12ihipStream_tbEUlT_E2_NS1_11comp_targetILNS1_3genE10ELNS1_11target_archE1201ELNS1_3gpuE5ELNS1_3repE0EEENS1_30default_config_static_selectorELNS0_4arch9wavefront6targetE0EEEvSK_,@function
_ZN7rocprim17ROCPRIM_400000_NS6detail17trampoline_kernelINS0_14default_configENS1_36segmented_radix_sort_config_selectorIalEEZNS1_25segmented_radix_sort_implIS3_Lb0EPKaPaPKlPlN2at6native12_GLOBAL__N_18offset_tEEE10hipError_tPvRmT1_PNSt15iterator_traitsISK_E10value_typeET2_T3_PNSL_ISQ_E10value_typeET4_jRbjT5_SW_jjP12ihipStream_tbEUlT_E2_NS1_11comp_targetILNS1_3genE10ELNS1_11target_archE1201ELNS1_3gpuE5ELNS1_3repE0EEENS1_30default_config_static_selectorELNS0_4arch9wavefront6targetE0EEEvSK_: ; @_ZN7rocprim17ROCPRIM_400000_NS6detail17trampoline_kernelINS0_14default_configENS1_36segmented_radix_sort_config_selectorIalEEZNS1_25segmented_radix_sort_implIS3_Lb0EPKaPaPKlPlN2at6native12_GLOBAL__N_18offset_tEEE10hipError_tPvRmT1_PNSt15iterator_traitsISK_E10value_typeET2_T3_PNSL_ISQ_E10value_typeET4_jRbjT5_SW_jjP12ihipStream_tbEUlT_E2_NS1_11comp_targetILNS1_3genE10ELNS1_11target_archE1201ELNS1_3gpuE5ELNS1_3repE0EEENS1_30default_config_static_selectorELNS0_4arch9wavefront6targetE0EEEvSK_
; %bb.0:
	s_load_b128 s[4:7], s[0:1], 0x34
	s_mov_b32 s32, 0
	s_wait_kmcnt 0x0
	s_add_co_i32 s33, s5, ttmp9
	s_add_co_i32 s34, s7, ttmp9
	s_mul_i32 s33, s33, s4
	s_mul_i32 s34, s34, s6
	s_delay_alu instid0(SALU_CYCLE_1)
	s_cmp_le_u32 s34, s33
	s_cbranch_scc1 .LBB428_678
; %bb.1:
	s_clause 0x3
	s_load_b32 s2, s[0:1], 0x30
	s_load_b128 s[24:27], s[0:1], 0x20
	s_load_b96 s[44:46], s[0:1], 0x44
	s_load_b256 s[36:43], s[0:1], 0x0
	s_wait_kmcnt 0x0
	s_bitcmp1_b32 s2, 0
	s_mov_b32 s2, -1
	s_cselect_b32 s35, -1, 0
	s_sub_co_i32 s47, s34, s33
	s_delay_alu instid0(SALU_CYCLE_1)
	s_cmp_lt_u32 s47, 0x801
	s_cbranch_scc0 .LBB428_15
; %bb.2:
	s_cmp_lt_u32 s47, 33
	s_cbranch_scc0 .LBB428_9
; %bb.3:
	s_load_b32 s2, s[0:1], 0x5c
	v_bfe_u32 v1, v0, 10, 10
	v_bfe_u32 v2, v0, 20, 10
	s_mov_b32 s16, exec_lo
	s_wait_kmcnt 0x0
	s_lshr_b32 s3, s2, 16
	s_and_b32 s2, s2, 0xffff
	v_mad_u32_u24 v2, v2, s3, v1
	v_and_b32_e32 v1, 0x3ff, v0
	s_delay_alu instid0(VALU_DEP_1) | instskip(NEXT) | instid1(VALU_DEP_1)
	v_mad_co_u64_u32 v[1:2], null, v2, s2, v[1:2]
	v_cmpx_gt_u32_e32 8, v1
	s_cbranch_execz .LBB428_8
; %bb.4:
	v_cndmask_b32_e64 v1, 0, 1, s35
	s_and_b32 s2, s44, 1
	s_wait_alu 0xfffe
	s_delay_alu instid0(VALU_DEP_1)
	v_cmp_ne_u32_e32 vcc_lo, s2, v1
	s_mov_b32 s2, -1
	s_cbranch_vccnz .LBB428_6
; %bb.5:
	s_mov_b64 s[2:3], src_shared_base
	v_dual_mov_b32 v31, v0 :: v_dual_mov_b32 v40, v0
	v_dual_mov_b32 v0, s36 :: v_dual_mov_b32 v1, s37
	;; [unrolled: 1-line block ×7, first 2 shown]
	s_wait_alu 0xfffe
	v_dual_mov_b32 v12, 0 :: v_dual_mov_b32 v13, s3
	s_add_nc_u64 s[8:9], s[0:1], 0x50
	s_getpc_b64 s[4:5]
	s_sext_i32_i16 s5, s5
	s_add_co_u32 s4, s4, _ZN7rocprim17ROCPRIM_400000_NS6detail26segmented_warp_sort_helperINS1_20WarpSortHelperConfigILj8ELj4ELj256EEEalLi256ELb0EvE4sortIPKaPaPKlPlEEvT_T0_T1_T2_jjjjRNS5_12storage_typeE@rel32@lo+8
	s_add_co_ci_u32 s5, s5, _ZN7rocprim17ROCPRIM_400000_NS6detail26segmented_warp_sort_helperINS1_20WarpSortHelperConfigILj8ELj4ELj256EEEalLi256ELb0EvE4sortIPKaPaPKlPlEEvT_T0_T1_T2_jjjjRNS5_12storage_typeE@rel32@hi+16
	s_mov_b64 s[14:15], s[0:1]
	s_swappc_b64 s[30:31], s[4:5]
	v_mov_b32_e32 v0, v40
	s_mov_b64 s[0:1], s[14:15]
	s_mov_b32 s2, 0
.LBB428_6:
	s_wait_alu 0xfffe
	s_and_not1_b32 vcc_lo, exec_lo, s2
	s_wait_alu 0xfffe
	s_cbranch_vccnz .LBB428_8
; %bb.7:
	s_mov_b64 s[2:3], src_shared_base
	v_dual_mov_b32 v31, v0 :: v_dual_mov_b32 v40, v0
	v_dual_mov_b32 v0, s36 :: v_dual_mov_b32 v1, s37
	v_dual_mov_b32 v2, s38 :: v_dual_mov_b32 v3, s39
	v_dual_mov_b32 v4, s42 :: v_dual_mov_b32 v5, s43
	v_dual_mov_b32 v6, s24 :: v_dual_mov_b32 v7, s25
	v_dual_mov_b32 v8, s33 :: v_dual_mov_b32 v9, s34
	v_dual_mov_b32 v10, s45 :: v_dual_mov_b32 v11, s46
	s_wait_alu 0xfffe
	v_dual_mov_b32 v12, 0 :: v_dual_mov_b32 v13, s3
	s_add_nc_u64 s[8:9], s[0:1], 0x50
	s_getpc_b64 s[4:5]
	s_wait_alu 0xfffe
	s_sext_i32_i16 s5, s5
	s_add_co_u32 s4, s4, _ZN7rocprim17ROCPRIM_400000_NS6detail26segmented_warp_sort_helperINS1_20WarpSortHelperConfigILj8ELj4ELj256EEEalLi256ELb0EvE4sortIPKaPaPKlPlEEvT_T0_T1_T2_jjjjRNS5_12storage_typeE@rel32@lo+12
	s_wait_alu 0xfffe
	s_add_co_ci_u32 s5, s5, _ZN7rocprim17ROCPRIM_400000_NS6detail26segmented_warp_sort_helperINS1_20WarpSortHelperConfigILj8ELj4ELj256EEEalLi256ELb0EvE4sortIPKaPaPKlPlEEvT_T0_T1_T2_jjjjRNS5_12storage_typeE@rel32@hi+24
	s_mov_b64 s[14:15], s[0:1]
	s_wait_alu 0xfffe
	s_swappc_b64 s[30:31], s[4:5]
	v_mov_b32_e32 v0, v40
	s_mov_b64 s[0:1], s[14:15]
.LBB428_8:
	s_or_b32 exec_lo, exec_lo, s16
	s_mov_b32 s2, 0
.LBB428_9:
	s_wait_alu 0xfffe
	s_and_not1_b32 vcc_lo, exec_lo, s2
	s_wait_alu 0xfffe
	s_cbranch_vccnz .LBB428_14
; %bb.10:
	v_cndmask_b32_e64 v1, 0, 1, s35
	s_and_b32 s2, s44, 1
	s_wait_alu 0xfffe
	s_delay_alu instid0(VALU_DEP_1)
	v_cmp_ne_u32_e32 vcc_lo, s2, v1
	s_mov_b32 s2, -1
	s_cbranch_vccnz .LBB428_12
; %bb.11:
	s_mov_b64 s[2:3], src_shared_base
	v_dual_mov_b32 v31, v0 :: v_dual_mov_b32 v40, v0
	v_dual_mov_b32 v0, s36 :: v_dual_mov_b32 v1, s37
	v_dual_mov_b32 v2, s40 :: v_dual_mov_b32 v3, s41
	v_dual_mov_b32 v4, s42 :: v_dual_mov_b32 v5, s43
	v_dual_mov_b32 v6, s26 :: v_dual_mov_b32 v7, s27
	v_dual_mov_b32 v8, s33 :: v_dual_mov_b32 v9, s34
	v_dual_mov_b32 v10, s45 :: v_dual_mov_b32 v11, s46
	s_wait_alu 0xfffe
	v_dual_mov_b32 v12, 0 :: v_dual_mov_b32 v13, s3
	s_add_nc_u64 s[8:9], s[0:1], 0x50
	s_getpc_b64 s[4:5]
	s_wait_alu 0xfffe
	s_sext_i32_i16 s5, s5
	s_add_co_u32 s4, s4, _ZN7rocprim17ROCPRIM_400000_NS6detail40segmented_radix_sort_single_block_helperIalLj256ELj8ELb0EE4sortIPKaPaPKlPlEEbT_T0_T1_T2_jjjjRNS3_12storage_typeE@rel32@lo+12
	s_wait_alu 0xfffe
	s_add_co_ci_u32 s5, s5, _ZN7rocprim17ROCPRIM_400000_NS6detail40segmented_radix_sort_single_block_helperIalLj256ELj8ELb0EE4sortIPKaPaPKlPlEEbT_T0_T1_T2_jjjjRNS3_12storage_typeE@rel32@hi+24
	s_mov_b64 s[22:23], s[0:1]
	s_wait_alu 0xfffe
	s_swappc_b64 s[30:31], s[4:5]
	v_mov_b32_e32 v0, v40
	s_mov_b64 s[0:1], s[22:23]
	s_mov_b32 s2, 0
.LBB428_12:
	s_wait_alu 0xfffe
	s_and_not1_b32 vcc_lo, exec_lo, s2
	s_wait_alu 0xfffe
	s_cbranch_vccnz .LBB428_14
; %bb.13:
	s_mov_b64 s[2:3], src_shared_base
	v_dual_mov_b32 v31, v0 :: v_dual_mov_b32 v40, v0
	v_dual_mov_b32 v0, s36 :: v_dual_mov_b32 v1, s37
	;; [unrolled: 1-line block ×7, first 2 shown]
	s_wait_alu 0xfffe
	v_dual_mov_b32 v12, 0 :: v_dual_mov_b32 v13, s3
	s_add_nc_u64 s[8:9], s[0:1], 0x50
	s_getpc_b64 s[4:5]
	s_wait_alu 0xfffe
	s_sext_i32_i16 s5, s5
	s_add_co_u32 s4, s4, _ZN7rocprim17ROCPRIM_400000_NS6detail40segmented_radix_sort_single_block_helperIalLj256ELj8ELb0EE4sortIPKaPaPKlPlEEbT_T0_T1_T2_jjjjRNS3_12storage_typeE@rel32@lo+12
	s_wait_alu 0xfffe
	s_add_co_ci_u32 s5, s5, _ZN7rocprim17ROCPRIM_400000_NS6detail40segmented_radix_sort_single_block_helperIalLj256ELj8ELb0EE4sortIPKaPaPKlPlEEbT_T0_T1_T2_jjjjRNS3_12storage_typeE@rel32@hi+24
	s_mov_b64 s[22:23], s[0:1]
	s_wait_alu 0xfffe
	s_swappc_b64 s[30:31], s[4:5]
	v_mov_b32_e32 v0, v40
	s_mov_b64 s[0:1], s[22:23]
.LBB428_14:
	s_mov_b32 s2, 0
.LBB428_15:
	s_wait_alu 0xfffe
	s_and_not1_b32 vcc_lo, exec_lo, s2
	s_wait_alu 0xfffe
	s_cbranch_vccnz .LBB428_678
; %bb.16:
	s_cmp_ge_u32 s45, s46
	s_cbranch_scc1 .LBB428_678
; %bb.17:
	v_and_b32_e32 v1, 0x3ff, v0
	v_dual_mov_b32 v61, 1 :: v_dual_and_b32 v2, 3, v0
	v_lshrrev_b32_e32 v4, 3, v0
	v_mbcnt_lo_u32_b32 v58, -1, 0
	s_delay_alu instid0(VALU_DEP_4) | instskip(NEXT) | instid1(VALU_DEP_4)
	v_or_b32_e32 v5, 31, v1
	v_lshlrev_b32_e32 v39, 2, v2
	v_lshlrev_b32_e32 v2, 3, v1
	v_and_b32_e32 v38, 28, v4
	v_lshlrev_b32_e32 v4, 5, v1
	v_cmp_eq_u32_e64 s3, v1, v5
	v_dual_mov_b32 v3, 0 :: v_dual_lshlrev_b32 v28, 2, v1
	v_and_b32_e32 v2, 0x700, v2
	s_delay_alu instid0(VALU_DEP_4) | instskip(SKIP_2) | instid1(VALU_DEP_4)
	v_sub_nc_u32_e32 v46, 0, v4
	v_lshlrev_b32_e32 v66, 3, v58
	v_add_co_u32 v32, s2, s40, v1
	v_lshlrev_b32_e32 v5, 3, v2
	v_mad_u32_u24 v40, v1, 12, v28
	v_or_b32_e32 v68, v58, v2
	v_or_b32_e32 v29, 0x100, v1
	;; [unrolled: 1-line block ×3, first 2 shown]
	v_add_co_u32 v4, s8, s26, v5
	s_wait_alu 0xf1ff
	v_add_co_ci_u32_e64 v6, null, s27, 0, s8
	v_add_co_u32 v7, s8, s40, v2
	s_wait_alu 0xf1ff
	v_add_co_ci_u32_e64 v8, null, s41, 0, s8
	v_add_co_u32 v48, s8, s38, v1
	s_wait_alu 0xf1ff
	v_add_co_ci_u32_e64 v49, null, s39, 0, s8
	v_add_co_u32 v50, s8, s24, v5
	s_wait_alu 0xf1ff
	v_add_co_ci_u32_e64 v51, null, s25, 0, s8
	v_add_co_u32 v52, s8, s38, v2
	s_wait_alu 0xf1ff
	v_add_co_ci_u32_e64 v53, null, s39, 0, s8
	v_add_co_u32 v54, s8, s36, v1
	s_wait_alu 0xf1ff
	v_add_co_ci_u32_e64 v55, null, s37, 0, s8
	v_add_co_u32 v56, s8, s42, v5
	v_add_co_u32 v69, vcc_lo, v4, v66
	s_wait_alu 0xf1ff
	v_add_co_ci_u32_e64 v57, null, s43, 0, s8
	v_add_co_u32 v59, s8, s36, v2
	s_wait_alu 0xfffd
	v_add_co_ci_u32_e64 v70, null, 0, v6, vcc_lo
	v_add_co_u32 v78, vcc_lo, v7, v58
	v_or_b32_e32 v31, 0x300, v1
	v_add_co_ci_u32_e64 v33, null, s41, 0, s2
	v_or_b32_e32 v34, 0x400, v1
	v_or_b32_e32 v35, 0x500, v1
	v_or_b32_e32 v36, 0x600, v1
	v_or_b32_e32 v37, 0x700, v1
	v_cmp_gt_u32_e64 s2, 0x100, v1
	v_or_b32_e32 v41, 0x4400, v38
	v_cmp_gt_u32_e64 s4, 8, v1
	v_add_nc_u32_e32 v42, 0x4400, v28
	v_cmp_lt_u32_e64 s5, 31, v1
	v_add_nc_u32_e32 v43, 0x43fc, v38
	v_bfe_u32 v44, v0, 20, 10
	v_bfe_u32 v0, v0, 10, 10
	v_mad_u32_u24 v45, v1, 20, v40
	v_cmp_eq_u32_e64 s6, 0, v1
	v_cmp_ne_u32_e64 s7, 0xff, v1
	v_mul_u32_u24_e32 v47, 7, v1
	s_wait_alu 0xf1ff
	v_add_co_ci_u32_e64 v60, null, s37, 0, s8
	v_and_b32_e32 v62, 15, v58
	v_bfe_i32 v63, v58, 4, 1
	v_and_b32_e32 v64, 16, v58
	v_and_b32_e32 v65, 7, v58
	v_sub_co_u32 v67, s8, v58, 1
	v_or_b32_e32 v71, 32, v68
	v_or_b32_e32 v72, 64, v68
	v_or_b32_e32 v73, 0x60, v68
	v_or_b32_e32 v74, 0x80, v68
	v_or_b32_e32 v75, 0xa0, v68
	v_or_b32_e32 v76, 0xc0, v68
	v_or_b32_e32 v77, 0xe0, v68
	s_wait_alu 0xfffd
	v_add_co_ci_u32_e64 v79, null, 0, v8, vcc_lo
	s_add_nc_u64 s[28:29], s[0:1], 0x50
	s_mov_b32 s23, 0
	s_mov_b32 s30, s45
	s_branch .LBB428_20
.LBB428_18:                             ;   in Loop: Header=BB428_20 Depth=1
	s_wait_loadcnt_dscnt 0x0
	s_barrier_signal -1
	s_barrier_wait -1
.LBB428_19:                             ;   in Loop: Header=BB428_20 Depth=1
	s_add_co_i32 s30, s30, 8
	global_inv scope:SCOPE_SE
	s_wait_alu 0xfffe
	s_cmp_ge_u32 s30, s46
	s_cbranch_scc1 .LBB428_678
.LBB428_20:                             ; =>This Loop Header: Depth=1
                                        ;     Child Loop BB428_24 Depth 2
                                        ;     Child Loop BB428_72 Depth 2
	;; [unrolled: 1-line block ×8, first 2 shown]
	s_wait_alu 0xfffe
	s_sub_co_i32 s0, s46, s30
	s_xor_b32 s35, s35, -1
	s_wait_alu 0xfffe
	s_min_u32 s0, s0, 8
	ds_store_2addr_stride64_b32 v28, v3, v3 offset1:4
	s_wait_alu 0xfffe
	s_lshl_b32 s0, -1, s0
	ds_store_2addr_stride64_b32 v28, v3, v3 offset0:8 offset1:12
	s_wait_alu 0xfffe
	s_not_b32 s31, s0
	s_cmp_lg_u32 s30, s45
	s_mov_b32 s0, -1
	s_wait_storecnt_dscnt 0x0
	s_cbranch_scc0 .LBB428_350
; %bb.21:                               ;   in Loop: Header=BB428_20 Depth=1
	s_and_b32 vcc_lo, exec_lo, s35
	s_wait_alu 0xfffe
	s_cbranch_vccz .LBB428_185
; %bb.22:                               ;   in Loop: Header=BB428_20 Depth=1
	v_dual_mov_b32 v7, 0 :: v_dual_mov_b32 v10, 0
	v_dual_mov_b32 v9, 0 :: v_dual_mov_b32 v8, 0
	;; [unrolled: 1-line block ×3, first 2 shown]
	v_mov_b32_e32 v4, 0
	v_mov_b32_e32 v2, 0
	s_mov_b32 s9, s47
	s_mov_b32 s22, s33
	s_barrier_signal -1
	s_barrier_wait -1
	global_inv scope:SCOPE_SE
	s_branch .LBB428_24
.LBB428_23:                             ;   in Loop: Header=BB428_24 Depth=2
	s_wait_alu 0xfffe
	s_or_b32 exec_lo, exec_lo, s0
	s_addk_co_i32 s9, 0xf800
	s_cmp_ge_u32 s10, s34
	s_mov_b32 s22, s10
	s_cbranch_scc1 .LBB428_60
.LBB428_24:                             ;   Parent Loop BB428_20 Depth=1
                                        ; =>  This Inner Loop Header: Depth=2
	s_wait_alu 0xfffe
	s_add_co_i32 s10, s22, 0x800
	s_mov_b32 s0, -1
	s_wait_alu 0xfffe
	s_cmp_gt_u32 s10, s34
                                        ; implicit-def: $vgpr11
                                        ; implicit-def: $vgpr12
                                        ; implicit-def: $vgpr13
                                        ; implicit-def: $vgpr14
                                        ; implicit-def: $vgpr15
                                        ; implicit-def: $vgpr16
                                        ; implicit-def: $vgpr17
                                        ; implicit-def: $vgpr18
	s_cbranch_scc1 .LBB428_26
; %bb.25:                               ;   in Loop: Header=BB428_24 Depth=2
	v_add_co_u32 v19, vcc_lo, v32, s22
	s_wait_alu 0xfffd
	v_add_co_ci_u32_e64 v20, null, 0, v33, vcc_lo
	s_mov_b32 s0, 0
	s_clause 0x7
	global_load_u8 v18, v[19:20], off offset:1792
	global_load_u8 v17, v[19:20], off offset:1536
	;; [unrolled: 1-line block ×7, first 2 shown]
	global_load_u8 v11, v[19:20], off
.LBB428_26:                             ;   in Loop: Header=BB428_24 Depth=2
	s_wait_alu 0xfffe
	s_and_not1_b32 vcc_lo, exec_lo, s0
	s_movk_i32 s0, 0x800
	s_wait_alu 0xfffe
	s_cbranch_vccnz .LBB428_37
; %bb.27:                               ;   in Loop: Header=BB428_24 Depth=2
	s_add_nc_u64 s[0:1], s[40:41], s[22:23]
	s_mov_b32 s11, exec_lo
	v_cmpx_gt_u32_e64 s9, v1
	s_cbranch_execnz .LBB428_53
; %bb.28:                               ;   in Loop: Header=BB428_24 Depth=2
	s_wait_alu 0xfffe
	s_or_b32 exec_lo, exec_lo, s11
	s_delay_alu instid0(SALU_CYCLE_1)
	s_mov_b32 s11, exec_lo
	v_cmpx_gt_u32_e64 s9, v29
	s_cbranch_execnz .LBB428_54
.LBB428_29:                             ;   in Loop: Header=BB428_24 Depth=2
	s_wait_alu 0xfffe
	s_or_b32 exec_lo, exec_lo, s11
	s_delay_alu instid0(SALU_CYCLE_1)
	s_mov_b32 s11, exec_lo
	v_cmpx_gt_u32_e64 s9, v30
	s_cbranch_execnz .LBB428_55
.LBB428_30:                             ;   in Loop: Header=BB428_24 Depth=2
	s_wait_alu 0xfffe
	s_or_b32 exec_lo, exec_lo, s11
	s_delay_alu instid0(SALU_CYCLE_1)
	s_mov_b32 s11, exec_lo
	v_cmpx_gt_u32_e64 s9, v31
	s_cbranch_execnz .LBB428_56
.LBB428_31:                             ;   in Loop: Header=BB428_24 Depth=2
	s_wait_alu 0xfffe
	s_or_b32 exec_lo, exec_lo, s11
	s_delay_alu instid0(SALU_CYCLE_1)
	s_mov_b32 s11, exec_lo
	v_cmpx_gt_u32_e64 s9, v34
	s_cbranch_execnz .LBB428_57
.LBB428_32:                             ;   in Loop: Header=BB428_24 Depth=2
	s_wait_alu 0xfffe
	s_or_b32 exec_lo, exec_lo, s11
	s_delay_alu instid0(SALU_CYCLE_1)
	s_mov_b32 s11, exec_lo
	v_cmpx_gt_u32_e64 s9, v35
	s_cbranch_execnz .LBB428_58
.LBB428_33:                             ;   in Loop: Header=BB428_24 Depth=2
	s_wait_alu 0xfffe
	s_or_b32 exec_lo, exec_lo, s11
	s_delay_alu instid0(SALU_CYCLE_1)
	s_mov_b32 s11, exec_lo
	v_cmpx_gt_u32_e64 s9, v36
	s_cbranch_execnz .LBB428_59
.LBB428_34:                             ;   in Loop: Header=BB428_24 Depth=2
	s_wait_alu 0xfffe
	s_or_b32 exec_lo, exec_lo, s11
	s_delay_alu instid0(SALU_CYCLE_1)
	s_mov_b32 s11, exec_lo
	v_cmpx_gt_u32_e64 s9, v37
	s_cbranch_execz .LBB428_36
.LBB428_35:                             ;   in Loop: Header=BB428_24 Depth=2
	s_wait_loadcnt 0x0
	v_add_co_u32 v11, s0, s0, v1
	s_wait_alu 0xf1ff
	v_add_co_ci_u32_e64 v12, null, s1, 0, s0
	global_load_u8 v2, v[11:12], off offset:1792
.LBB428_36:                             ;   in Loop: Header=BB428_24 Depth=2
	s_wait_alu 0xfffe
	s_or_b32 exec_lo, exec_lo, s11
	s_wait_loadcnt 0x0
	v_dual_mov_b32 v11, v7 :: v_dual_mov_b32 v12, v10
	v_dual_mov_b32 v13, v9 :: v_dual_mov_b32 v14, v8
	v_dual_mov_b32 v15, v6 :: v_dual_mov_b32 v16, v5
	v_dual_mov_b32 v17, v4 :: v_dual_mov_b32 v18, v2
	s_mov_b32 s0, s9
.LBB428_37:                             ;   in Loop: Header=BB428_24 Depth=2
	s_wait_loadcnt 0x5
	s_delay_alu instid0(VALU_DEP_1)
	v_dual_mov_b32 v2, v18 :: v_dual_mov_b32 v5, v16
	s_wait_loadcnt 0x2
	v_dual_mov_b32 v4, v17 :: v_dual_mov_b32 v9, v13
	s_wait_loadcnt 0x0
	v_dual_mov_b32 v6, v15 :: v_dual_mov_b32 v7, v11
	v_mov_b32_e32 v8, v14
	v_mov_b32_e32 v10, v12
	s_mov_b32 s1, exec_lo
	s_wait_alu 0xfffe
	v_cmpx_gt_u32_e64 s0, v1
	s_cbranch_execnz .LBB428_45
; %bb.38:                               ;   in Loop: Header=BB428_24 Depth=2
	s_or_b32 exec_lo, exec_lo, s1
	s_delay_alu instid0(SALU_CYCLE_1)
	s_mov_b32 s1, exec_lo
	v_cmpx_gt_u32_e64 s0, v29
	s_cbranch_execnz .LBB428_46
.LBB428_39:                             ;   in Loop: Header=BB428_24 Depth=2
	s_wait_alu 0xfffe
	s_or_b32 exec_lo, exec_lo, s1
	s_delay_alu instid0(SALU_CYCLE_1)
	s_mov_b32 s1, exec_lo
	v_cmpx_gt_u32_e64 s0, v30
	s_cbranch_execnz .LBB428_47
.LBB428_40:                             ;   in Loop: Header=BB428_24 Depth=2
	s_wait_alu 0xfffe
	s_or_b32 exec_lo, exec_lo, s1
	s_delay_alu instid0(SALU_CYCLE_1)
	s_mov_b32 s1, exec_lo
	v_cmpx_gt_u32_e64 s0, v31
	s_cbranch_execnz .LBB428_48
.LBB428_41:                             ;   in Loop: Header=BB428_24 Depth=2
	s_wait_alu 0xfffe
	s_or_b32 exec_lo, exec_lo, s1
	s_delay_alu instid0(SALU_CYCLE_1)
	s_mov_b32 s1, exec_lo
	v_cmpx_gt_u32_e64 s0, v34
	s_cbranch_execnz .LBB428_49
.LBB428_42:                             ;   in Loop: Header=BB428_24 Depth=2
	s_wait_alu 0xfffe
	s_or_b32 exec_lo, exec_lo, s1
	s_delay_alu instid0(SALU_CYCLE_1)
	s_mov_b32 s1, exec_lo
	v_cmpx_gt_u32_e64 s0, v35
	s_cbranch_execnz .LBB428_50
.LBB428_43:                             ;   in Loop: Header=BB428_24 Depth=2
	s_wait_alu 0xfffe
	s_or_b32 exec_lo, exec_lo, s1
	s_delay_alu instid0(SALU_CYCLE_1)
	s_mov_b32 s1, exec_lo
	v_cmpx_gt_u32_e64 s0, v36
	s_cbranch_execnz .LBB428_51
.LBB428_44:                             ;   in Loop: Header=BB428_24 Depth=2
	s_wait_alu 0xfffe
	s_or_b32 exec_lo, exec_lo, s1
	v_cmp_gt_u32_e32 vcc_lo, s0, v37
	s_and_saveexec_b32 s0, vcc_lo
	s_cbranch_execz .LBB428_23
	s_branch .LBB428_52
.LBB428_45:                             ;   in Loop: Header=BB428_24 Depth=2
	v_xor_b32_e32 v11, 0x80, v7
	s_delay_alu instid0(VALU_DEP_1) | instskip(NEXT) | instid1(VALU_DEP_1)
	v_and_b32_e32 v11, 0xff, v11
	v_lshrrev_b32_e32 v11, s30, v11
	s_delay_alu instid0(VALU_DEP_1) | instskip(NEXT) | instid1(VALU_DEP_1)
	v_and_b32_e32 v11, s31, v11
	v_lshl_or_b32 v11, v11, 4, v39
	ds_add_u32 v11, v61
	s_or_b32 exec_lo, exec_lo, s1
	s_delay_alu instid0(SALU_CYCLE_1)
	s_mov_b32 s1, exec_lo
	v_cmpx_gt_u32_e64 s0, v29
	s_cbranch_execz .LBB428_39
.LBB428_46:                             ;   in Loop: Header=BB428_24 Depth=2
	v_xor_b32_e32 v11, 0x80, v10
	s_delay_alu instid0(VALU_DEP_1) | instskip(NEXT) | instid1(VALU_DEP_1)
	v_and_b32_e32 v11, 0xff, v11
	v_lshrrev_b32_e32 v11, s30, v11
	s_delay_alu instid0(VALU_DEP_1) | instskip(NEXT) | instid1(VALU_DEP_1)
	v_and_b32_e32 v11, s31, v11
	v_lshl_or_b32 v11, v11, 4, v39
	ds_add_u32 v11, v61
	s_wait_alu 0xfffe
	s_or_b32 exec_lo, exec_lo, s1
	s_delay_alu instid0(SALU_CYCLE_1)
	s_mov_b32 s1, exec_lo
	v_cmpx_gt_u32_e64 s0, v30
	s_cbranch_execz .LBB428_40
.LBB428_47:                             ;   in Loop: Header=BB428_24 Depth=2
	v_xor_b32_e32 v11, 0x80, v9
	s_delay_alu instid0(VALU_DEP_1) | instskip(NEXT) | instid1(VALU_DEP_1)
	v_and_b32_e32 v11, 0xff, v11
	v_lshrrev_b32_e32 v11, s30, v11
	s_delay_alu instid0(VALU_DEP_1) | instskip(NEXT) | instid1(VALU_DEP_1)
	v_and_b32_e32 v11, s31, v11
	v_lshl_or_b32 v11, v11, 4, v39
	ds_add_u32 v11, v61
	s_wait_alu 0xfffe
	s_or_b32 exec_lo, exec_lo, s1
	s_delay_alu instid0(SALU_CYCLE_1)
	s_mov_b32 s1, exec_lo
	v_cmpx_gt_u32_e64 s0, v31
	s_cbranch_execz .LBB428_41
.LBB428_48:                             ;   in Loop: Header=BB428_24 Depth=2
	v_xor_b32_e32 v11, 0x80, v8
	s_delay_alu instid0(VALU_DEP_1) | instskip(NEXT) | instid1(VALU_DEP_1)
	v_and_b32_e32 v11, 0xff, v11
	v_lshrrev_b32_e32 v11, s30, v11
	s_delay_alu instid0(VALU_DEP_1) | instskip(NEXT) | instid1(VALU_DEP_1)
	v_and_b32_e32 v11, s31, v11
	v_lshl_or_b32 v11, v11, 4, v39
	ds_add_u32 v11, v61
	s_wait_alu 0xfffe
	s_or_b32 exec_lo, exec_lo, s1
	s_delay_alu instid0(SALU_CYCLE_1)
	s_mov_b32 s1, exec_lo
	v_cmpx_gt_u32_e64 s0, v34
	s_cbranch_execz .LBB428_42
.LBB428_49:                             ;   in Loop: Header=BB428_24 Depth=2
	v_xor_b32_e32 v11, 0x80, v6
	s_delay_alu instid0(VALU_DEP_1) | instskip(NEXT) | instid1(VALU_DEP_1)
	v_and_b32_e32 v11, 0xff, v11
	v_lshrrev_b32_e32 v11, s30, v11
	s_delay_alu instid0(VALU_DEP_1) | instskip(NEXT) | instid1(VALU_DEP_1)
	v_and_b32_e32 v11, s31, v11
	v_lshl_or_b32 v11, v11, 4, v39
	ds_add_u32 v11, v61
	s_wait_alu 0xfffe
	s_or_b32 exec_lo, exec_lo, s1
	s_delay_alu instid0(SALU_CYCLE_1)
	s_mov_b32 s1, exec_lo
	v_cmpx_gt_u32_e64 s0, v35
	s_cbranch_execz .LBB428_43
.LBB428_50:                             ;   in Loop: Header=BB428_24 Depth=2
	v_xor_b32_e32 v11, 0x80, v5
	s_delay_alu instid0(VALU_DEP_1) | instskip(NEXT) | instid1(VALU_DEP_1)
	v_and_b32_e32 v11, 0xff, v11
	v_lshrrev_b32_e32 v11, s30, v11
	s_delay_alu instid0(VALU_DEP_1) | instskip(NEXT) | instid1(VALU_DEP_1)
	v_and_b32_e32 v11, s31, v11
	v_lshl_or_b32 v11, v11, 4, v39
	ds_add_u32 v11, v61
	s_wait_alu 0xfffe
	s_or_b32 exec_lo, exec_lo, s1
	s_delay_alu instid0(SALU_CYCLE_1)
	s_mov_b32 s1, exec_lo
	v_cmpx_gt_u32_e64 s0, v36
	s_cbranch_execz .LBB428_44
.LBB428_51:                             ;   in Loop: Header=BB428_24 Depth=2
	v_xor_b32_e32 v11, 0x80, v4
	s_delay_alu instid0(VALU_DEP_1) | instskip(NEXT) | instid1(VALU_DEP_1)
	v_and_b32_e32 v11, 0xff, v11
	v_lshrrev_b32_e32 v11, s30, v11
	s_delay_alu instid0(VALU_DEP_1) | instskip(NEXT) | instid1(VALU_DEP_1)
	v_and_b32_e32 v11, s31, v11
	v_lshl_or_b32 v11, v11, 4, v39
	ds_add_u32 v11, v61
	s_wait_alu 0xfffe
	s_or_b32 exec_lo, exec_lo, s1
	v_cmp_gt_u32_e32 vcc_lo, s0, v37
	s_and_saveexec_b32 s0, vcc_lo
	s_cbranch_execz .LBB428_23
.LBB428_52:                             ;   in Loop: Header=BB428_24 Depth=2
	v_xor_b32_e32 v11, 0x80, v2
	s_delay_alu instid0(VALU_DEP_1) | instskip(NEXT) | instid1(VALU_DEP_1)
	v_and_b32_e32 v11, 0xff, v11
	v_lshrrev_b32_e32 v11, s30, v11
	s_delay_alu instid0(VALU_DEP_1) | instskip(NEXT) | instid1(VALU_DEP_1)
	v_and_b32_e32 v11, s31, v11
	v_lshl_or_b32 v11, v11, 4, v39
	ds_add_u32 v11, v61
	s_branch .LBB428_23
.LBB428_53:                             ;   in Loop: Header=BB428_24 Depth=2
	s_wait_loadcnt 0x0
	s_wait_alu 0xfffe
	v_add_co_u32 v11, s12, s0, v1
	s_wait_alu 0xf1ff
	v_add_co_ci_u32_e64 v12, null, s1, 0, s12
	global_load_u8 v7, v[11:12], off
	s_or_b32 exec_lo, exec_lo, s11
	s_delay_alu instid0(SALU_CYCLE_1)
	s_mov_b32 s11, exec_lo
	v_cmpx_gt_u32_e64 s9, v29
	s_cbranch_execz .LBB428_29
.LBB428_54:                             ;   in Loop: Header=BB428_24 Depth=2
	v_add_co_u32 v10, s12, s0, v1
	s_wait_loadcnt 0x0
	s_wait_alu 0xf1ff
	v_add_co_ci_u32_e64 v11, null, s1, 0, s12
	global_load_u8 v10, v[10:11], off offset:256
	s_wait_alu 0xfffe
	s_or_b32 exec_lo, exec_lo, s11
	s_delay_alu instid0(SALU_CYCLE_1)
	s_mov_b32 s11, exec_lo
	v_cmpx_gt_u32_e64 s9, v30
	s_cbranch_execz .LBB428_30
.LBB428_55:                             ;   in Loop: Header=BB428_24 Depth=2
	s_wait_loadcnt 0x0
	v_add_co_u32 v11, s12, s0, v1
	s_wait_alu 0xf1ff
	v_add_co_ci_u32_e64 v12, null, s1, 0, s12
	global_load_u8 v9, v[11:12], off offset:512
	s_wait_alu 0xfffe
	s_or_b32 exec_lo, exec_lo, s11
	s_delay_alu instid0(SALU_CYCLE_1)
	s_mov_b32 s11, exec_lo
	v_cmpx_gt_u32_e64 s9, v31
	s_cbranch_execz .LBB428_31
.LBB428_56:                             ;   in Loop: Header=BB428_24 Depth=2
	s_wait_loadcnt 0x0
	v_add_co_u32 v11, s12, s0, v1
	s_wait_alu 0xf1ff
	v_add_co_ci_u32_e64 v12, null, s1, 0, s12
	global_load_u8 v8, v[11:12], off offset:768
	s_wait_alu 0xfffe
	s_or_b32 exec_lo, exec_lo, s11
	s_delay_alu instid0(SALU_CYCLE_1)
	s_mov_b32 s11, exec_lo
	v_cmpx_gt_u32_e64 s9, v34
	s_cbranch_execz .LBB428_32
.LBB428_57:                             ;   in Loop: Header=BB428_24 Depth=2
	s_wait_loadcnt 0x0
	v_add_co_u32 v11, s12, s0, v1
	s_wait_alu 0xf1ff
	v_add_co_ci_u32_e64 v12, null, s1, 0, s12
	global_load_u8 v6, v[11:12], off offset:1024
	s_wait_alu 0xfffe
	s_or_b32 exec_lo, exec_lo, s11
	s_delay_alu instid0(SALU_CYCLE_1)
	s_mov_b32 s11, exec_lo
	v_cmpx_gt_u32_e64 s9, v35
	s_cbranch_execz .LBB428_33
.LBB428_58:                             ;   in Loop: Header=BB428_24 Depth=2
	s_wait_loadcnt 0x0
	v_add_co_u32 v11, s12, s0, v1
	s_wait_alu 0xf1ff
	v_add_co_ci_u32_e64 v12, null, s1, 0, s12
	global_load_u8 v5, v[11:12], off offset:1280
	s_wait_alu 0xfffe
	s_or_b32 exec_lo, exec_lo, s11
	s_delay_alu instid0(SALU_CYCLE_1)
	s_mov_b32 s11, exec_lo
	v_cmpx_gt_u32_e64 s9, v36
	s_cbranch_execz .LBB428_34
.LBB428_59:                             ;   in Loop: Header=BB428_24 Depth=2
	s_wait_loadcnt 0x0
	v_add_co_u32 v11, s12, s0, v1
	s_wait_alu 0xf1ff
	v_add_co_ci_u32_e64 v12, null, s1, 0, s12
	global_load_u8 v4, v[11:12], off offset:1536
	s_wait_alu 0xfffe
	s_or_b32 exec_lo, exec_lo, s11
	s_delay_alu instid0(SALU_CYCLE_1)
	s_mov_b32 s11, exec_lo
	v_cmpx_gt_u32_e64 s9, v37
	s_cbranch_execnz .LBB428_35
	s_branch .LBB428_36
.LBB428_60:                             ;   in Loop: Header=BB428_20 Depth=1
	v_mov_b32_e32 v2, 0
	s_wait_dscnt 0x0
	s_barrier_signal -1
	s_barrier_wait -1
	global_inv scope:SCOPE_SE
	s_and_saveexec_b32 s0, s2
	s_cbranch_execz .LBB428_62
; %bb.61:                               ;   in Loop: Header=BB428_20 Depth=1
	ds_load_2addr_b64 v[4:7], v40 offset1:1
	s_wait_dscnt 0x0
	v_add_nc_u32_e32 v2, v5, v4
	s_delay_alu instid0(VALU_DEP_1)
	v_add3_u32 v2, v2, v6, v7
.LBB428_62:                             ;   in Loop: Header=BB428_20 Depth=1
	s_wait_alu 0xfffe
	s_or_b32 exec_lo, exec_lo, s0
	s_delay_alu instid0(VALU_DEP_1)
	v_mov_b32_dpp v4, v2 row_shr:1 row_mask:0xf bank_mask:0xf
	v_cmp_eq_u32_e64 s0, 0, v62
	v_cmp_lt_u32_e64 s1, 1, v62
	v_cmp_lt_u32_e64 s9, 3, v62
	;; [unrolled: 1-line block ×3, first 2 shown]
	v_cmp_eq_u32_e64 s11, 0, v64
	s_wait_alu 0xf1ff
	v_cndmask_b32_e64 v4, v4, 0, s0
	s_delay_alu instid0(VALU_DEP_1) | instskip(NEXT) | instid1(VALU_DEP_1)
	v_add_nc_u32_e32 v2, v4, v2
	v_mov_b32_dpp v4, v2 row_shr:2 row_mask:0xf bank_mask:0xf
	s_delay_alu instid0(VALU_DEP_1) | instskip(NEXT) | instid1(VALU_DEP_1)
	v_cndmask_b32_e64 v4, 0, v4, s1
	v_add_nc_u32_e32 v2, v2, v4
	s_delay_alu instid0(VALU_DEP_1) | instskip(NEXT) | instid1(VALU_DEP_1)
	v_mov_b32_dpp v4, v2 row_shr:4 row_mask:0xf bank_mask:0xf
	v_cndmask_b32_e64 v4, 0, v4, s9
	s_delay_alu instid0(VALU_DEP_1) | instskip(NEXT) | instid1(VALU_DEP_1)
	v_add_nc_u32_e32 v2, v2, v4
	v_mov_b32_dpp v4, v2 row_shr:8 row_mask:0xf bank_mask:0xf
	s_delay_alu instid0(VALU_DEP_1) | instskip(NEXT) | instid1(VALU_DEP_1)
	v_cndmask_b32_e64 v4, 0, v4, s10
	v_add_nc_u32_e32 v2, v2, v4
	ds_swizzle_b32 v4, v2 offset:swizzle(BROADCAST,32,15)
	s_wait_dscnt 0x0
	v_and_b32_e32 v4, v63, v4
	s_delay_alu instid0(VALU_DEP_1)
	v_add_nc_u32_e32 v2, v2, v4
	s_and_saveexec_b32 s12, s3
; %bb.63:                               ;   in Loop: Header=BB428_20 Depth=1
	ds_store_b32 v41, v2
; %bb.64:                               ;   in Loop: Header=BB428_20 Depth=1
	s_wait_alu 0xfffe
	s_or_b32 exec_lo, exec_lo, s12
	s_wait_loadcnt_dscnt 0x0
	s_barrier_signal -1
	s_barrier_wait -1
	global_inv scope:SCOPE_SE
	s_and_saveexec_b32 s12, s4
	s_cbranch_execz .LBB428_66
; %bb.65:                               ;   in Loop: Header=BB428_20 Depth=1
	ds_load_b32 v4, v42
	v_cmp_ne_u32_e32 vcc_lo, 0, v65
	s_wait_dscnt 0x0
	v_mov_b32_dpp v5, v4 row_shr:1 row_mask:0xf bank_mask:0xf
	s_wait_alu 0xfffd
	s_delay_alu instid0(VALU_DEP_1) | instskip(SKIP_1) | instid1(VALU_DEP_2)
	v_cndmask_b32_e32 v5, 0, v5, vcc_lo
	v_cmp_lt_u32_e32 vcc_lo, 1, v65
	v_add_nc_u32_e32 v4, v5, v4
	s_delay_alu instid0(VALU_DEP_1) | instskip(SKIP_1) | instid1(VALU_DEP_1)
	v_mov_b32_dpp v5, v4 row_shr:2 row_mask:0xf bank_mask:0xf
	s_wait_alu 0xfffd
	v_cndmask_b32_e32 v5, 0, v5, vcc_lo
	v_cmp_lt_u32_e32 vcc_lo, 3, v65
	s_delay_alu instid0(VALU_DEP_2) | instskip(NEXT) | instid1(VALU_DEP_1)
	v_add_nc_u32_e32 v4, v4, v5
	v_mov_b32_dpp v5, v4 row_shr:4 row_mask:0xf bank_mask:0xf
	s_wait_alu 0xfffd
	s_delay_alu instid0(VALU_DEP_1) | instskip(NEXT) | instid1(VALU_DEP_1)
	v_cndmask_b32_e32 v5, 0, v5, vcc_lo
	v_add_nc_u32_e32 v4, v4, v5
	ds_store_b32 v42, v4
.LBB428_66:                             ;   in Loop: Header=BB428_20 Depth=1
	s_wait_alu 0xfffe
	s_or_b32 exec_lo, exec_lo, s12
	v_mov_b32_e32 v4, 0
	s_wait_loadcnt_dscnt 0x0
	s_barrier_signal -1
	s_barrier_wait -1
	global_inv scope:SCOPE_SE
	s_and_saveexec_b32 s12, s5
; %bb.67:                               ;   in Loop: Header=BB428_20 Depth=1
	ds_load_b32 v4, v43
; %bb.68:                               ;   in Loop: Header=BB428_20 Depth=1
	s_wait_alu 0xfffe
	s_or_b32 exec_lo, exec_lo, s12
	v_cmp_gt_i32_e32 vcc_lo, 0, v67
	s_wait_dscnt 0x0
	v_add_nc_u32_e32 v2, v4, v2
	s_wait_loadcnt 0x0
	s_barrier_signal -1
	s_barrier_wait -1
	s_wait_alu 0xfffd
	v_cndmask_b32_e32 v5, v67, v58, vcc_lo
	global_inv scope:SCOPE_SE
	v_lshlrev_b32_e32 v80, 2, v5
	ds_bpermute_b32 v2, v80, v2
	s_and_saveexec_b32 s12, s2
	s_cbranch_execz .LBB428_70
; %bb.69:                               ;   in Loop: Header=BB428_20 Depth=1
	s_wait_dscnt 0x0
	v_cndmask_b32_e64 v2, v2, v4, s8
	s_delay_alu instid0(VALU_DEP_1)
	v_add_nc_u32_e32 v2, s33, v2
	ds_store_b32 v28, v2
.LBB428_70:                             ;   in Loop: Header=BB428_20 Depth=1
	s_wait_alu 0xfffe
	s_or_b32 exec_lo, exec_lo, s12
	s_clause 0x1
	s_load_b32 s12, s[28:29], 0x4
	s_load_b32 s14, s[28:29], 0xc
	s_mov_b32 s42, s47
                                        ; implicit-def: $vgpr6_vgpr7
                                        ; implicit-def: $vgpr8_vgpr9
                                        ; implicit-def: $vgpr10_vgpr11
                                        ; implicit-def: $vgpr12_vgpr13
                                        ; implicit-def: $vgpr14_vgpr15
                                        ; implicit-def: $vgpr16_vgpr17
                                        ; implicit-def: $vgpr18_vgpr19
                                        ; implicit-def: $vgpr82
                                        ; implicit-def: $vgpr83
                                        ; implicit-def: $vgpr84
                                        ; implicit-def: $vgpr85
                                        ; implicit-def: $vgpr86
                                        ; implicit-def: $vgpr87
                                        ; implicit-def: $vgpr88
                                        ; implicit-def: $vgpr89
	s_wait_kmcnt 0x0
	s_cmp_lt_u32 ttmp7, s12
	s_cselect_b32 s22, 14, 20
	s_wait_alu 0xfffe
	s_add_nc_u64 s[12:13], s[28:29], s[22:23]
	s_mov_b32 s22, s33
	s_load_u16 s12, s[12:13], 0x0
	v_cmp_lt_u32_e64 s13, 1, v65
	s_wait_dscnt 0x0
	s_wait_kmcnt 0x0
	v_mad_u32_u24 v2, v44, s12, v0
	s_and_b32 s12, s14, 0xffff
	v_cmp_lt_u32_e64 s14, 3, v65
	s_wait_alu 0xfffe
	s_delay_alu instid0(VALU_DEP_2) | instskip(SKIP_1) | instid1(VALU_DEP_2)
	v_mad_co_u64_u32 v[4:5], null, v2, s12, v[1:2]
	v_cmp_eq_u32_e64 s12, 0, v65
	v_lshrrev_b32_e32 v2, 3, v4
                                        ; implicit-def: $vgpr4_vgpr5
	s_delay_alu instid0(VALU_DEP_1)
	v_and_b32_e32 v81, 0x1ffffffc, v2
	s_branch .LBB428_72
.LBB428_71:                             ;   in Loop: Header=BB428_72 Depth=2
	s_wait_alu 0xfffe
	s_or_b32 exec_lo, exec_lo, s15
	s_addk_co_i32 s42, 0xf800
	s_cmp_lt_u32 s43, s34
	s_mov_b32 s22, s43
	s_cbranch_scc0 .LBB428_184
.LBB428_72:                             ;   Parent Loop BB428_20 Depth=1
                                        ; =>  This Inner Loop Header: Depth=2
	s_wait_alu 0xfffe
	s_add_co_i32 s43, s22, 0x800
	s_wait_alu 0xfffe
	s_cmp_gt_u32 s43, s34
	s_cbranch_scc1 .LBB428_74
; %bb.73:                               ;   in Loop: Header=BB428_72 Depth=2
	v_add_co_u32 v20, vcc_lo, v78, s22
	s_wait_alu 0xfffd
	v_add_co_ci_u32_e64 v21, null, 0, v79, vcc_lo
	s_mov_b32 s15, -1
	s_clause 0x6
	global_load_u8 v23, v[20:21], off offset:192
	global_load_u8 v24, v[20:21], off offset:160
	;; [unrolled: 1-line block ×6, first 2 shown]
	global_load_u8 v90, v[20:21], off
	s_movk_i32 s16, 0x800
                                        ; implicit-def: $vgpr22
	s_cbranch_execz .LBB428_75
	s_branch .LBB428_84
.LBB428_74:                             ;   in Loop: Header=BB428_72 Depth=2
	s_mov_b32 s15, 0
                                        ; implicit-def: $vgpr90
                                        ; implicit-def: $vgpr92
                                        ; implicit-def: $vgpr27
                                        ; implicit-def: $vgpr26
                                        ; implicit-def: $vgpr25
                                        ; implicit-def: $vgpr24
                                        ; implicit-def: $vgpr23
	s_movk_i32 s16, 0x800
                                        ; implicit-def: $vgpr22
.LBB428_75:                             ;   in Loop: Header=BB428_72 Depth=2
	v_add_co_u32 v20, vcc_lo, v78, s22
	s_wait_alu 0xfffd
	v_add_co_ci_u32_e64 v21, null, 0, v79, vcc_lo
	s_wait_loadcnt 0x2
	v_dual_mov_b32 v22, 0x7f :: v_dual_mov_b32 v27, 0x7f
	s_wait_loadcnt 0x0
	v_dual_mov_b32 v90, 0x7f :: v_dual_mov_b32 v25, 0x7f
	v_dual_mov_b32 v92, 0x7f :: v_dual_mov_b32 v23, 0x7f
	v_mov_b32_e32 v26, 0x7f
	v_mov_b32_e32 v24, 0x7f
	s_mov_b32 s15, exec_lo
	v_cmpx_gt_u32_e64 s42, v68
	s_cbranch_execnz .LBB428_178
; %bb.76:                               ;   in Loop: Header=BB428_72 Depth=2
	s_wait_alu 0xfffe
	s_or_b32 exec_lo, exec_lo, s15
	s_delay_alu instid0(SALU_CYCLE_1)
	s_mov_b32 s15, exec_lo
	v_cmpx_gt_u32_e64 s42, v71
	s_cbranch_execnz .LBB428_179
.LBB428_77:                             ;   in Loop: Header=BB428_72 Depth=2
	s_wait_alu 0xfffe
	s_or_b32 exec_lo, exec_lo, s15
	s_delay_alu instid0(SALU_CYCLE_1)
	s_mov_b32 s15, exec_lo
	v_cmpx_gt_u32_e64 s42, v72
	s_cbranch_execnz .LBB428_180
.LBB428_78:                             ;   in Loop: Header=BB428_72 Depth=2
	s_wait_alu 0xfffe
	s_or_b32 exec_lo, exec_lo, s15
	s_delay_alu instid0(SALU_CYCLE_1)
	s_mov_b32 s15, exec_lo
	v_cmpx_gt_u32_e64 s42, v73
	s_cbranch_execnz .LBB428_181
.LBB428_79:                             ;   in Loop: Header=BB428_72 Depth=2
	s_wait_alu 0xfffe
	s_or_b32 exec_lo, exec_lo, s15
	s_delay_alu instid0(SALU_CYCLE_1)
	s_mov_b32 s15, exec_lo
	v_cmpx_gt_u32_e64 s42, v74
	s_cbranch_execnz .LBB428_182
.LBB428_80:                             ;   in Loop: Header=BB428_72 Depth=2
	s_wait_alu 0xfffe
	s_or_b32 exec_lo, exec_lo, s15
	s_delay_alu instid0(SALU_CYCLE_1)
	s_mov_b32 s15, exec_lo
	v_cmpx_gt_u32_e64 s42, v75
	s_cbranch_execnz .LBB428_183
.LBB428_81:                             ;   in Loop: Header=BB428_72 Depth=2
	s_wait_alu 0xfffe
	s_or_b32 exec_lo, exec_lo, s15
	s_delay_alu instid0(SALU_CYCLE_1)
	s_mov_b32 s15, exec_lo
	v_cmpx_gt_u32_e64 s42, v76
	s_cbranch_execz .LBB428_83
.LBB428_82:                             ;   in Loop: Header=BB428_72 Depth=2
	global_load_u8 v23, v[20:21], off offset:192
.LBB428_83:                             ;   in Loop: Header=BB428_72 Depth=2
	s_wait_alu 0xfffe
	s_or_b32 exec_lo, exec_lo, s15
	v_cmp_gt_u32_e64 s15, s42, v77
	s_sub_co_i32 s16, s34, s22
.LBB428_84:                             ;   in Loop: Header=BB428_72 Depth=2
	v_mov_b32_e32 v2, s42
	s_wait_alu 0xfffe
	s_and_saveexec_b32 s17, s15
	s_cbranch_execz .LBB428_86
; %bb.85:                               ;   in Loop: Header=BB428_72 Depth=2
	v_add_co_u32 v20, vcc_lo, v78, s22
	s_wait_alu 0xfffd
	v_add_co_ci_u32_e64 v21, null, s23, v79, vcc_lo
	v_mov_b32_e32 v2, s16
	global_load_u8 v22, v[20:21], off offset:224
.LBB428_86:                             ;   in Loop: Header=BB428_72 Depth=2
	s_wait_alu 0xfffe
	s_or_b32 exec_lo, exec_lo, s17
	s_wait_loadcnt 0x0
	v_xor_b32_e32 v90, 0xffffff80, v90
	s_delay_alu instid0(VALU_DEP_1) | instskip(NEXT) | instid1(VALU_DEP_1)
	v_and_b32_e32 v20, 0xff, v90
	v_lshrrev_b32_e32 v20, s30, v20
	s_delay_alu instid0(VALU_DEP_1) | instskip(NEXT) | instid1(VALU_DEP_1)
	v_and_b32_e32 v21, s31, v20
	v_and_b32_e32 v20, 1, v21
	v_lshlrev_b32_e32 v91, 30, v21
	v_lshlrev_b32_e32 v93, 29, v21
	;; [unrolled: 1-line block ×4, first 2 shown]
	v_add_co_u32 v20, s15, v20, -1
	s_wait_alu 0xf1ff
	v_cndmask_b32_e64 v95, 0, 1, s15
	v_not_b32_e32 v99, v91
	v_cmp_gt_i32_e64 s15, 0, v91
	v_not_b32_e32 v91, v93
	v_lshlrev_b32_e32 v97, 26, v21
	v_cmp_ne_u32_e32 vcc_lo, 0, v95
	v_ashrrev_i32_e32 v99, 31, v99
	v_lshlrev_b32_e32 v98, 25, v21
	v_ashrrev_i32_e32 v91, 31, v91
	v_lshlrev_b32_e32 v95, 24, v21
	s_wait_alu 0xfffd
	v_xor_b32_e32 v20, vcc_lo, v20
	v_cmp_gt_i32_e32 vcc_lo, 0, v93
	v_not_b32_e32 v93, v94
	s_wait_alu 0xf1ff
	v_xor_b32_e32 v99, s15, v99
	v_cmp_gt_i32_e64 s15, 0, v94
	v_and_b32_e32 v20, exec_lo, v20
	v_not_b32_e32 v94, v96
	v_ashrrev_i32_e32 v93, 31, v93
	s_wait_alu 0xfffd
	v_xor_b32_e32 v91, vcc_lo, v91
	v_cmp_gt_i32_e32 vcc_lo, 0, v96
	v_and_b32_e32 v20, v20, v99
	v_not_b32_e32 v96, v97
	v_ashrrev_i32_e32 v94, 31, v94
	s_wait_alu 0xf1ff
	v_xor_b32_e32 v93, s15, v93
	v_cmp_gt_i32_e64 s15, 0, v97
	v_and_b32_e32 v20, v20, v91
	v_not_b32_e32 v91, v98
	v_ashrrev_i32_e32 v96, 31, v96
	s_wait_alu 0xfffd
	v_xor_b32_e32 v94, vcc_lo, v94
	v_cmp_gt_i32_e32 vcc_lo, 0, v98
	v_and_b32_e32 v20, v20, v93
	v_not_b32_e32 v93, v95
	v_ashrrev_i32_e32 v91, 31, v91
	s_wait_alu 0xf1ff
	v_xor_b32_e32 v96, s15, v96
	v_cmp_gt_i32_e64 s15, 0, v95
	v_and_b32_e32 v20, v20, v94
	v_ashrrev_i32_e32 v93, 31, v93
	s_wait_alu 0xfffd
	v_xor_b32_e32 v91, vcc_lo, v91
	v_mul_u32_u24_e32 v21, 36, v21
	v_add_nc_u32_e32 v95, 0x428, v45
	v_and_b32_e32 v20, v20, v96
	s_wait_alu 0xf1ff
	v_xor_b32_e32 v94, s15, v93
	v_add_nc_u32_e32 v93, 0x438, v45
	v_add_nc_u32_e32 v96, 0x430, v45
	v_add_nc_u32_e32 v97, v81, v21
	v_and_b32_e32 v20, v20, v91
	ds_store_2addr_b32 v93, v3, v3 offset1:1
	v_and_b32_e32 v20, v20, v94
	v_add_nc_u32_e32 v94, 0x420, v45
	ds_store_2addr_b32 v94, v3, v3 offset1:1
	ds_store_2addr_b32 v95, v3, v3 offset1:1
	;; [unrolled: 1-line block ×3, first 2 shown]
	ds_store_b32 v45, v3 offset:1088
	v_mbcnt_lo_u32_b32 v91, v20, 0
	v_cmp_ne_u32_e64 s15, 0, v20
	s_wait_dscnt 0x0
	s_barrier_signal -1
	s_barrier_wait -1
	v_cmp_eq_u32_e32 vcc_lo, 0, v91
	global_inv scope:SCOPE_SE
	; wave barrier
	s_and_b32 s16, s15, vcc_lo
	s_wait_alu 0xfffe
	s_and_saveexec_b32 s15, s16
; %bb.87:                               ;   in Loop: Header=BB428_72 Depth=2
	v_bcnt_u32_b32 v20, v20, 0
	ds_store_b32 v97, v20 offset:1056
; %bb.88:                               ;   in Loop: Header=BB428_72 Depth=2
	s_wait_alu 0xfffe
	s_or_b32 exec_lo, exec_lo, s15
	v_xor_b32_e32 v92, 0xffffff80, v92
	; wave barrier
	s_delay_alu instid0(VALU_DEP_1) | instskip(NEXT) | instid1(VALU_DEP_1)
	v_and_b32_e32 v20, 0xff, v92
	v_lshrrev_b32_e32 v20, s30, v20
	s_delay_alu instid0(VALU_DEP_1) | instskip(NEXT) | instid1(VALU_DEP_1)
	v_and_b32_e32 v21, s31, v20
	v_and_b32_e32 v20, 1, v21
	v_lshlrev_b32_e32 v98, 30, v21
	v_lshlrev_b32_e32 v99, 29, v21
	;; [unrolled: 1-line block ×4, first 2 shown]
	v_add_co_u32 v20, s15, v20, -1
	s_wait_alu 0xf1ff
	v_cndmask_b32_e64 v101, 0, 1, s15
	v_not_b32_e32 v105, v98
	v_cmp_gt_i32_e64 s15, 0, v98
	v_not_b32_e32 v98, v99
	v_lshlrev_b32_e32 v103, 26, v21
	v_cmp_ne_u32_e32 vcc_lo, 0, v101
	v_ashrrev_i32_e32 v105, 31, v105
	v_lshlrev_b32_e32 v104, 25, v21
	v_ashrrev_i32_e32 v98, 31, v98
	v_lshlrev_b32_e32 v101, 24, v21
	s_wait_alu 0xfffd
	v_xor_b32_e32 v20, vcc_lo, v20
	v_cmp_gt_i32_e32 vcc_lo, 0, v99
	v_not_b32_e32 v99, v100
	s_wait_alu 0xf1ff
	v_xor_b32_e32 v105, s15, v105
	v_cmp_gt_i32_e64 s15, 0, v100
	v_and_b32_e32 v20, exec_lo, v20
	v_not_b32_e32 v100, v102
	v_ashrrev_i32_e32 v99, 31, v99
	s_wait_alu 0xfffd
	v_xor_b32_e32 v98, vcc_lo, v98
	v_cmp_gt_i32_e32 vcc_lo, 0, v102
	v_and_b32_e32 v20, v20, v105
	v_not_b32_e32 v102, v103
	v_ashrrev_i32_e32 v100, 31, v100
	s_wait_alu 0xf1ff
	v_xor_b32_e32 v99, s15, v99
	v_cmp_gt_i32_e64 s15, 0, v103
	v_and_b32_e32 v20, v20, v98
	v_not_b32_e32 v98, v104
	v_ashrrev_i32_e32 v102, 31, v102
	s_wait_alu 0xfffd
	v_xor_b32_e32 v100, vcc_lo, v100
	v_cmp_gt_i32_e32 vcc_lo, 0, v104
	v_and_b32_e32 v20, v20, v99
	v_not_b32_e32 v99, v101
	v_ashrrev_i32_e32 v98, 31, v98
	s_wait_alu 0xf1ff
	v_xor_b32_e32 v102, s15, v102
	v_cmp_gt_i32_e64 s15, 0, v101
	v_and_b32_e32 v20, v20, v100
	v_ashrrev_i32_e32 v99, 31, v99
	s_wait_alu 0xfffd
	v_xor_b32_e32 v98, vcc_lo, v98
	v_mad_u32_u24 v100, v21, 36, v81
	v_mul_u32_u24_e32 v21, 36, v21
	v_and_b32_e32 v20, v20, v102
	s_wait_alu 0xf1ff
	v_xor_b32_e32 v99, s15, v99
	s_delay_alu instid0(VALU_DEP_3) | instskip(NEXT) | instid1(VALU_DEP_3)
	v_add_nc_u32_e32 v101, v81, v21
	v_and_b32_e32 v20, v20, v98
	ds_load_b32 v98, v100 offset:1056
	; wave barrier
	v_and_b32_e32 v20, v20, v99
	s_delay_alu instid0(VALU_DEP_1) | instskip(SKIP_1) | instid1(VALU_DEP_2)
	v_mbcnt_lo_u32_b32 v99, v20, 0
	v_cmp_ne_u32_e64 s15, 0, v20
	v_cmp_eq_u32_e32 vcc_lo, 0, v99
	s_and_b32 s16, s15, vcc_lo
	s_wait_alu 0xfffe
	s_and_saveexec_b32 s15, s16
	s_cbranch_execz .LBB428_90
; %bb.89:                               ;   in Loop: Header=BB428_72 Depth=2
	s_wait_dscnt 0x0
	v_bcnt_u32_b32 v20, v20, v98
	ds_store_b32 v101, v20 offset:1056
.LBB428_90:                             ;   in Loop: Header=BB428_72 Depth=2
	s_wait_alu 0xfffe
	s_or_b32 exec_lo, exec_lo, s15
	v_xor_b32_e32 v100, 0xffffff80, v27
	; wave barrier
	s_delay_alu instid0(VALU_DEP_1) | instskip(NEXT) | instid1(VALU_DEP_1)
	v_and_b32_e32 v20, 0xff, v100
	v_lshrrev_b32_e32 v20, s30, v20
	s_delay_alu instid0(VALU_DEP_1) | instskip(NEXT) | instid1(VALU_DEP_1)
	v_and_b32_e32 v21, s31, v20
	v_and_b32_e32 v20, 1, v21
	v_lshlrev_b32_e32 v27, 30, v21
	v_lshlrev_b32_e32 v102, 29, v21
	;; [unrolled: 1-line block ×4, first 2 shown]
	v_add_co_u32 v20, s15, v20, -1
	s_wait_alu 0xf1ff
	v_cndmask_b32_e64 v104, 0, 1, s15
	v_not_b32_e32 v108, v27
	v_cmp_gt_i32_e64 s15, 0, v27
	v_not_b32_e32 v27, v102
	v_lshlrev_b32_e32 v106, 26, v21
	v_cmp_ne_u32_e32 vcc_lo, 0, v104
	v_ashrrev_i32_e32 v108, 31, v108
	v_lshlrev_b32_e32 v107, 25, v21
	v_ashrrev_i32_e32 v27, 31, v27
	v_lshlrev_b32_e32 v104, 24, v21
	s_wait_alu 0xfffd
	v_xor_b32_e32 v20, vcc_lo, v20
	v_cmp_gt_i32_e32 vcc_lo, 0, v102
	v_not_b32_e32 v102, v103
	s_wait_alu 0xf1ff
	v_xor_b32_e32 v108, s15, v108
	v_cmp_gt_i32_e64 s15, 0, v103
	v_and_b32_e32 v20, exec_lo, v20
	v_not_b32_e32 v103, v105
	v_ashrrev_i32_e32 v102, 31, v102
	s_wait_alu 0xfffd
	v_xor_b32_e32 v27, vcc_lo, v27
	v_cmp_gt_i32_e32 vcc_lo, 0, v105
	v_and_b32_e32 v20, v20, v108
	v_not_b32_e32 v105, v106
	v_ashrrev_i32_e32 v103, 31, v103
	s_wait_alu 0xf1ff
	v_xor_b32_e32 v102, s15, v102
	v_cmp_gt_i32_e64 s15, 0, v106
	v_and_b32_e32 v20, v20, v27
	v_not_b32_e32 v27, v107
	v_ashrrev_i32_e32 v105, 31, v105
	s_wait_alu 0xfffd
	v_xor_b32_e32 v103, vcc_lo, v103
	v_cmp_gt_i32_e32 vcc_lo, 0, v107
	v_and_b32_e32 v20, v20, v102
	v_not_b32_e32 v102, v104
	v_ashrrev_i32_e32 v27, 31, v27
	s_wait_alu 0xf1ff
	v_xor_b32_e32 v105, s15, v105
	v_cmp_gt_i32_e64 s15, 0, v104
	v_and_b32_e32 v20, v20, v103
	v_ashrrev_i32_e32 v102, 31, v102
	s_wait_alu 0xfffd
	v_xor_b32_e32 v27, vcc_lo, v27
	v_mad_u32_u24 v103, v21, 36, v81
	v_mul_u32_u24_e32 v21, 36, v21
	v_and_b32_e32 v20, v20, v105
	s_wait_alu 0xf1ff
	v_xor_b32_e32 v104, s15, v102
	ds_load_b32 v102, v103 offset:1056
	v_add_nc_u32_e32 v105, v81, v21
	v_and_b32_e32 v20, v20, v27
	; wave barrier
	s_delay_alu instid0(VALU_DEP_1) | instskip(NEXT) | instid1(VALU_DEP_1)
	v_and_b32_e32 v20, v20, v104
	v_mbcnt_lo_u32_b32 v103, v20, 0
	v_cmp_ne_u32_e64 s15, 0, v20
	s_delay_alu instid0(VALU_DEP_2)
	v_cmp_eq_u32_e32 vcc_lo, 0, v103
	s_and_b32 s16, s15, vcc_lo
	s_wait_alu 0xfffe
	s_and_saveexec_b32 s15, s16
	s_cbranch_execz .LBB428_92
; %bb.91:                               ;   in Loop: Header=BB428_72 Depth=2
	s_wait_dscnt 0x0
	v_bcnt_u32_b32 v20, v20, v102
	ds_store_b32 v105, v20 offset:1056
.LBB428_92:                             ;   in Loop: Header=BB428_72 Depth=2
	s_wait_alu 0xfffe
	s_or_b32 exec_lo, exec_lo, s15
	v_xor_b32_e32 v104, 0xffffff80, v26
	; wave barrier
	s_delay_alu instid0(VALU_DEP_1) | instskip(NEXT) | instid1(VALU_DEP_1)
	v_and_b32_e32 v20, 0xff, v104
	v_lshrrev_b32_e32 v20, s30, v20
	s_delay_alu instid0(VALU_DEP_1) | instskip(NEXT) | instid1(VALU_DEP_1)
	v_and_b32_e32 v21, s31, v20
	v_and_b32_e32 v20, 1, v21
	v_lshlrev_b32_e32 v26, 30, v21
	v_lshlrev_b32_e32 v27, 29, v21
	;; [unrolled: 1-line block ×4, first 2 shown]
	v_add_co_u32 v20, s15, v20, -1
	s_wait_alu 0xf1ff
	v_cndmask_b32_e64 v107, 0, 1, s15
	v_not_b32_e32 v111, v26
	v_cmp_gt_i32_e64 s15, 0, v26
	v_not_b32_e32 v26, v27
	v_lshlrev_b32_e32 v109, 26, v21
	v_cmp_ne_u32_e32 vcc_lo, 0, v107
	v_ashrrev_i32_e32 v111, 31, v111
	v_lshlrev_b32_e32 v110, 25, v21
	v_ashrrev_i32_e32 v26, 31, v26
	v_lshlrev_b32_e32 v107, 24, v21
	s_wait_alu 0xfffd
	v_xor_b32_e32 v20, vcc_lo, v20
	v_cmp_gt_i32_e32 vcc_lo, 0, v27
	v_not_b32_e32 v27, v106
	s_wait_alu 0xf1ff
	v_xor_b32_e32 v111, s15, v111
	v_cmp_gt_i32_e64 s15, 0, v106
	v_and_b32_e32 v20, exec_lo, v20
	v_not_b32_e32 v106, v108
	v_ashrrev_i32_e32 v27, 31, v27
	s_wait_alu 0xfffd
	v_xor_b32_e32 v26, vcc_lo, v26
	v_cmp_gt_i32_e32 vcc_lo, 0, v108
	v_and_b32_e32 v20, v20, v111
	v_not_b32_e32 v108, v109
	v_ashrrev_i32_e32 v106, 31, v106
	s_wait_alu 0xf1ff
	v_xor_b32_e32 v27, s15, v27
	v_cmp_gt_i32_e64 s15, 0, v109
	v_and_b32_e32 v20, v20, v26
	v_not_b32_e32 v26, v110
	v_ashrrev_i32_e32 v108, 31, v108
	s_wait_alu 0xfffd
	v_xor_b32_e32 v106, vcc_lo, v106
	v_cmp_gt_i32_e32 vcc_lo, 0, v110
	v_and_b32_e32 v20, v20, v27
	v_not_b32_e32 v27, v107
	v_ashrrev_i32_e32 v26, 31, v26
	s_wait_alu 0xf1ff
	v_xor_b32_e32 v108, s15, v108
	v_cmp_gt_i32_e64 s15, 0, v107
	v_and_b32_e32 v20, v20, v106
	v_ashrrev_i32_e32 v27, 31, v27
	s_wait_alu 0xfffd
	v_xor_b32_e32 v26, vcc_lo, v26
	v_mad_u32_u24 v106, v21, 36, v81
	v_mul_u32_u24_e32 v21, 36, v21
	v_and_b32_e32 v20, v20, v108
	s_wait_alu 0xf1ff
	v_xor_b32_e32 v27, s15, v27
	ds_load_b32 v106, v106 offset:1056
	v_add_nc_u32_e32 v109, v81, v21
	v_and_b32_e32 v20, v20, v26
	; wave barrier
	s_delay_alu instid0(VALU_DEP_1) | instskip(NEXT) | instid1(VALU_DEP_1)
	v_and_b32_e32 v20, v20, v27
	v_mbcnt_lo_u32_b32 v107, v20, 0
	v_cmp_ne_u32_e64 s15, 0, v20
	s_delay_alu instid0(VALU_DEP_2)
	v_cmp_eq_u32_e32 vcc_lo, 0, v107
	s_and_b32 s16, s15, vcc_lo
	s_wait_alu 0xfffe
	s_and_saveexec_b32 s15, s16
	s_cbranch_execz .LBB428_94
; %bb.93:                               ;   in Loop: Header=BB428_72 Depth=2
	s_wait_dscnt 0x0
	v_bcnt_u32_b32 v20, v20, v106
	ds_store_b32 v109, v20 offset:1056
.LBB428_94:                             ;   in Loop: Header=BB428_72 Depth=2
	s_wait_alu 0xfffe
	s_or_b32 exec_lo, exec_lo, s15
	v_xor_b32_e32 v108, 0xffffff80, v25
	; wave barrier
	s_delay_alu instid0(VALU_DEP_1) | instskip(NEXT) | instid1(VALU_DEP_1)
	v_and_b32_e32 v20, 0xff, v108
	v_lshrrev_b32_e32 v20, s30, v20
	s_delay_alu instid0(VALU_DEP_1) | instskip(NEXT) | instid1(VALU_DEP_1)
	v_and_b32_e32 v21, s31, v20
	v_and_b32_e32 v20, 1, v21
	v_lshlrev_b32_e32 v25, 30, v21
	v_lshlrev_b32_e32 v26, 29, v21
	;; [unrolled: 1-line block ×4, first 2 shown]
	v_add_co_u32 v20, s15, v20, -1
	s_wait_alu 0xf1ff
	v_cndmask_b32_e64 v110, 0, 1, s15
	v_not_b32_e32 v114, v25
	v_cmp_gt_i32_e64 s15, 0, v25
	v_not_b32_e32 v25, v26
	v_lshlrev_b32_e32 v112, 26, v21
	v_cmp_ne_u32_e32 vcc_lo, 0, v110
	v_ashrrev_i32_e32 v114, 31, v114
	v_lshlrev_b32_e32 v113, 25, v21
	v_ashrrev_i32_e32 v25, 31, v25
	v_lshlrev_b32_e32 v110, 24, v21
	s_wait_alu 0xfffd
	v_xor_b32_e32 v20, vcc_lo, v20
	v_cmp_gt_i32_e32 vcc_lo, 0, v26
	v_not_b32_e32 v26, v27
	s_wait_alu 0xf1ff
	v_xor_b32_e32 v114, s15, v114
	v_cmp_gt_i32_e64 s15, 0, v27
	v_and_b32_e32 v20, exec_lo, v20
	v_not_b32_e32 v27, v111
	v_ashrrev_i32_e32 v26, 31, v26
	s_wait_alu 0xfffd
	v_xor_b32_e32 v25, vcc_lo, v25
	v_cmp_gt_i32_e32 vcc_lo, 0, v111
	v_and_b32_e32 v20, v20, v114
	v_not_b32_e32 v111, v112
	v_ashrrev_i32_e32 v27, 31, v27
	s_wait_alu 0xf1ff
	v_xor_b32_e32 v26, s15, v26
	v_cmp_gt_i32_e64 s15, 0, v112
	v_and_b32_e32 v20, v20, v25
	v_not_b32_e32 v25, v113
	v_ashrrev_i32_e32 v111, 31, v111
	s_wait_alu 0xfffd
	v_xor_b32_e32 v27, vcc_lo, v27
	v_cmp_gt_i32_e32 vcc_lo, 0, v113
	v_and_b32_e32 v20, v20, v26
	v_not_b32_e32 v26, v110
	v_ashrrev_i32_e32 v25, 31, v25
	s_wait_alu 0xf1ff
	v_xor_b32_e32 v111, s15, v111
	v_cmp_gt_i32_e64 s15, 0, v110
	v_and_b32_e32 v20, v20, v27
	v_ashrrev_i32_e32 v26, 31, v26
	s_wait_alu 0xfffd
	v_xor_b32_e32 v25, vcc_lo, v25
	v_mad_u32_u24 v27, v21, 36, v81
	v_mul_u32_u24_e32 v21, 36, v21
	v_and_b32_e32 v20, v20, v111
	s_wait_alu 0xf1ff
	v_xor_b32_e32 v26, s15, v26
	ds_load_b32 v110, v27 offset:1056
	v_add_nc_u32_e32 v113, v81, v21
	v_and_b32_e32 v20, v20, v25
	; wave barrier
	s_delay_alu instid0(VALU_DEP_1) | instskip(NEXT) | instid1(VALU_DEP_1)
	v_and_b32_e32 v20, v20, v26
	v_mbcnt_lo_u32_b32 v111, v20, 0
	v_cmp_ne_u32_e64 s15, 0, v20
	s_delay_alu instid0(VALU_DEP_2)
	v_cmp_eq_u32_e32 vcc_lo, 0, v111
	s_and_b32 s16, s15, vcc_lo
	s_wait_alu 0xfffe
	s_and_saveexec_b32 s15, s16
	s_cbranch_execz .LBB428_96
; %bb.95:                               ;   in Loop: Header=BB428_72 Depth=2
	s_wait_dscnt 0x0
	v_bcnt_u32_b32 v20, v20, v110
	ds_store_b32 v113, v20 offset:1056
.LBB428_96:                             ;   in Loop: Header=BB428_72 Depth=2
	s_wait_alu 0xfffe
	s_or_b32 exec_lo, exec_lo, s15
	v_xor_b32_e32 v112, 0xffffff80, v24
	; wave barrier
	s_delay_alu instid0(VALU_DEP_1) | instskip(NEXT) | instid1(VALU_DEP_1)
	v_and_b32_e32 v20, 0xff, v112
	v_lshrrev_b32_e32 v20, s30, v20
	s_delay_alu instid0(VALU_DEP_1) | instskip(NEXT) | instid1(VALU_DEP_1)
	v_and_b32_e32 v21, s31, v20
	v_and_b32_e32 v20, 1, v21
	v_lshlrev_b32_e32 v24, 30, v21
	v_lshlrev_b32_e32 v25, 29, v21
	;; [unrolled: 1-line block ×4, first 2 shown]
	v_add_co_u32 v20, s15, v20, -1
	s_wait_alu 0xf1ff
	v_cndmask_b32_e64 v27, 0, 1, s15
	v_not_b32_e32 v117, v24
	v_cmp_gt_i32_e64 s15, 0, v24
	v_not_b32_e32 v24, v25
	v_lshlrev_b32_e32 v115, 26, v21
	v_cmp_ne_u32_e32 vcc_lo, 0, v27
	v_ashrrev_i32_e32 v117, 31, v117
	v_lshlrev_b32_e32 v116, 25, v21
	v_ashrrev_i32_e32 v24, 31, v24
	v_lshlrev_b32_e32 v27, 24, v21
	s_wait_alu 0xfffd
	v_xor_b32_e32 v20, vcc_lo, v20
	v_cmp_gt_i32_e32 vcc_lo, 0, v25
	v_not_b32_e32 v25, v26
	s_wait_alu 0xf1ff
	v_xor_b32_e32 v117, s15, v117
	v_cmp_gt_i32_e64 s15, 0, v26
	v_and_b32_e32 v20, exec_lo, v20
	v_not_b32_e32 v26, v114
	v_ashrrev_i32_e32 v25, 31, v25
	s_wait_alu 0xfffd
	v_xor_b32_e32 v24, vcc_lo, v24
	v_cmp_gt_i32_e32 vcc_lo, 0, v114
	v_and_b32_e32 v20, v20, v117
	v_not_b32_e32 v114, v115
	v_ashrrev_i32_e32 v26, 31, v26
	s_wait_alu 0xf1ff
	v_xor_b32_e32 v25, s15, v25
	v_cmp_gt_i32_e64 s15, 0, v115
	v_and_b32_e32 v20, v20, v24
	v_not_b32_e32 v24, v116
	v_ashrrev_i32_e32 v114, 31, v114
	s_wait_alu 0xfffd
	v_xor_b32_e32 v26, vcc_lo, v26
	v_cmp_gt_i32_e32 vcc_lo, 0, v116
	v_and_b32_e32 v20, v20, v25
	v_not_b32_e32 v25, v27
	v_ashrrev_i32_e32 v24, 31, v24
	s_wait_alu 0xf1ff
	v_xor_b32_e32 v114, s15, v114
	v_cmp_gt_i32_e64 s15, 0, v27
	v_and_b32_e32 v20, v20, v26
	v_ashrrev_i32_e32 v25, 31, v25
	s_wait_alu 0xfffd
	v_xor_b32_e32 v24, vcc_lo, v24
	v_mad_u32_u24 v26, v21, 36, v81
	v_mul_u32_u24_e32 v21, 36, v21
	v_and_b32_e32 v20, v20, v114
	s_wait_alu 0xf1ff
	v_xor_b32_e32 v25, s15, v25
	ds_load_b32 v114, v26 offset:1056
	v_add_nc_u32_e32 v117, v81, v21
	v_and_b32_e32 v20, v20, v24
	; wave barrier
	s_delay_alu instid0(VALU_DEP_1) | instskip(NEXT) | instid1(VALU_DEP_1)
	v_and_b32_e32 v20, v20, v25
	v_mbcnt_lo_u32_b32 v115, v20, 0
	v_cmp_ne_u32_e64 s15, 0, v20
	s_delay_alu instid0(VALU_DEP_2)
	v_cmp_eq_u32_e32 vcc_lo, 0, v115
	s_and_b32 s16, s15, vcc_lo
	s_wait_alu 0xfffe
	s_and_saveexec_b32 s15, s16
	s_cbranch_execz .LBB428_98
; %bb.97:                               ;   in Loop: Header=BB428_72 Depth=2
	s_wait_dscnt 0x0
	v_bcnt_u32_b32 v20, v20, v114
	ds_store_b32 v117, v20 offset:1056
.LBB428_98:                             ;   in Loop: Header=BB428_72 Depth=2
	s_wait_alu 0xfffe
	s_or_b32 exec_lo, exec_lo, s15
	v_xor_b32_e32 v116, 0xffffff80, v23
	; wave barrier
	s_delay_alu instid0(VALU_DEP_1) | instskip(NEXT) | instid1(VALU_DEP_1)
	v_and_b32_e32 v20, 0xff, v116
	v_lshrrev_b32_e32 v20, s30, v20
	s_delay_alu instid0(VALU_DEP_1) | instskip(NEXT) | instid1(VALU_DEP_1)
	v_and_b32_e32 v21, s31, v20
	v_and_b32_e32 v20, 1, v21
	v_lshlrev_b32_e32 v23, 30, v21
	v_lshlrev_b32_e32 v24, 29, v21
	;; [unrolled: 1-line block ×4, first 2 shown]
	v_add_co_u32 v20, s15, v20, -1
	s_wait_alu 0xf1ff
	v_cndmask_b32_e64 v26, 0, 1, s15
	v_not_b32_e32 v120, v23
	v_cmp_gt_i32_e64 s15, 0, v23
	v_not_b32_e32 v23, v24
	v_lshlrev_b32_e32 v118, 26, v21
	v_cmp_ne_u32_e32 vcc_lo, 0, v26
	v_ashrrev_i32_e32 v120, 31, v120
	v_lshlrev_b32_e32 v119, 25, v21
	v_ashrrev_i32_e32 v23, 31, v23
	v_lshlrev_b32_e32 v26, 24, v21
	s_wait_alu 0xfffd
	v_xor_b32_e32 v20, vcc_lo, v20
	v_cmp_gt_i32_e32 vcc_lo, 0, v24
	v_not_b32_e32 v24, v25
	s_wait_alu 0xf1ff
	v_xor_b32_e32 v120, s15, v120
	v_cmp_gt_i32_e64 s15, 0, v25
	v_and_b32_e32 v20, exec_lo, v20
	v_not_b32_e32 v25, v27
	v_ashrrev_i32_e32 v24, 31, v24
	s_wait_alu 0xfffd
	v_xor_b32_e32 v23, vcc_lo, v23
	v_cmp_gt_i32_e32 vcc_lo, 0, v27
	v_and_b32_e32 v20, v20, v120
	v_not_b32_e32 v27, v118
	v_ashrrev_i32_e32 v25, 31, v25
	s_wait_alu 0xf1ff
	v_xor_b32_e32 v24, s15, v24
	v_cmp_gt_i32_e64 s15, 0, v118
	v_and_b32_e32 v20, v20, v23
	v_not_b32_e32 v23, v119
	v_ashrrev_i32_e32 v27, 31, v27
	s_wait_alu 0xfffd
	v_xor_b32_e32 v25, vcc_lo, v25
	v_cmp_gt_i32_e32 vcc_lo, 0, v119
	v_and_b32_e32 v20, v20, v24
	v_not_b32_e32 v24, v26
	v_ashrrev_i32_e32 v23, 31, v23
	s_wait_alu 0xf1ff
	v_xor_b32_e32 v27, s15, v27
	v_cmp_gt_i32_e64 s15, 0, v26
	v_and_b32_e32 v20, v20, v25
	v_ashrrev_i32_e32 v24, 31, v24
	s_wait_alu 0xfffd
	v_xor_b32_e32 v23, vcc_lo, v23
	v_mad_u32_u24 v25, v21, 36, v81
	v_mul_u32_u24_e32 v21, 36, v21
	v_and_b32_e32 v20, v20, v27
	s_wait_alu 0xf1ff
	v_xor_b32_e32 v24, s15, v24
	ds_load_b32 v118, v25 offset:1056
	v_add_nc_u32_e32 v121, v81, v21
	v_and_b32_e32 v20, v20, v23
	; wave barrier
	s_delay_alu instid0(VALU_DEP_1) | instskip(NEXT) | instid1(VALU_DEP_1)
	v_and_b32_e32 v20, v20, v24
	v_mbcnt_lo_u32_b32 v119, v20, 0
	v_cmp_ne_u32_e64 s15, 0, v20
	s_delay_alu instid0(VALU_DEP_2)
	v_cmp_eq_u32_e32 vcc_lo, 0, v119
	s_and_b32 s16, s15, vcc_lo
	s_wait_alu 0xfffe
	s_and_saveexec_b32 s15, s16
	s_cbranch_execz .LBB428_100
; %bb.99:                               ;   in Loop: Header=BB428_72 Depth=2
	s_wait_dscnt 0x0
	v_bcnt_u32_b32 v20, v20, v118
	ds_store_b32 v121, v20 offset:1056
.LBB428_100:                            ;   in Loop: Header=BB428_72 Depth=2
	s_wait_alu 0xfffe
	s_or_b32 exec_lo, exec_lo, s15
	v_xor_b32_e32 v120, 0xffffff80, v22
	; wave barrier
	s_delay_alu instid0(VALU_DEP_1) | instskip(NEXT) | instid1(VALU_DEP_1)
	v_and_b32_e32 v20, 0xff, v120
	v_lshrrev_b32_e32 v20, s30, v20
	s_delay_alu instid0(VALU_DEP_1) | instskip(NEXT) | instid1(VALU_DEP_1)
	v_and_b32_e32 v21, s31, v20
	v_and_b32_e32 v20, 1, v21
	v_lshlrev_b32_e32 v22, 30, v21
	v_lshlrev_b32_e32 v23, 29, v21
	;; [unrolled: 1-line block ×4, first 2 shown]
	v_add_co_u32 v20, s15, v20, -1
	s_wait_alu 0xf1ff
	v_cndmask_b32_e64 v25, 0, 1, s15
	v_not_b32_e32 v123, v22
	v_cmp_gt_i32_e64 s15, 0, v22
	v_not_b32_e32 v22, v23
	v_lshlrev_b32_e32 v27, 26, v21
	v_cmp_ne_u32_e32 vcc_lo, 0, v25
	v_ashrrev_i32_e32 v123, 31, v123
	v_lshlrev_b32_e32 v122, 25, v21
	v_ashrrev_i32_e32 v22, 31, v22
	v_lshlrev_b32_e32 v25, 24, v21
	s_wait_alu 0xfffd
	v_xor_b32_e32 v20, vcc_lo, v20
	v_cmp_gt_i32_e32 vcc_lo, 0, v23
	v_not_b32_e32 v23, v24
	s_wait_alu 0xf1ff
	v_xor_b32_e32 v123, s15, v123
	v_cmp_gt_i32_e64 s15, 0, v24
	v_and_b32_e32 v20, exec_lo, v20
	v_not_b32_e32 v24, v26
	v_ashrrev_i32_e32 v23, 31, v23
	s_wait_alu 0xfffd
	v_xor_b32_e32 v22, vcc_lo, v22
	v_cmp_gt_i32_e32 vcc_lo, 0, v26
	v_and_b32_e32 v20, v20, v123
	v_not_b32_e32 v26, v27
	v_ashrrev_i32_e32 v24, 31, v24
	s_wait_alu 0xf1ff
	v_xor_b32_e32 v23, s15, v23
	v_cmp_gt_i32_e64 s15, 0, v27
	v_and_b32_e32 v20, v20, v22
	v_not_b32_e32 v22, v122
	v_ashrrev_i32_e32 v26, 31, v26
	s_wait_alu 0xfffd
	v_xor_b32_e32 v24, vcc_lo, v24
	v_cmp_gt_i32_e32 vcc_lo, 0, v122
	v_and_b32_e32 v20, v20, v23
	v_not_b32_e32 v23, v25
	v_ashrrev_i32_e32 v22, 31, v22
	s_wait_alu 0xf1ff
	v_xor_b32_e32 v26, s15, v26
	v_cmp_gt_i32_e64 s15, 0, v25
	v_and_b32_e32 v20, v20, v24
	v_ashrrev_i32_e32 v23, 31, v23
	s_wait_alu 0xfffd
	v_xor_b32_e32 v22, vcc_lo, v22
	v_mad_u32_u24 v24, v21, 36, v81
	v_mul_u32_u24_e32 v21, 36, v21
	v_and_b32_e32 v20, v20, v26
	s_wait_alu 0xf1ff
	v_xor_b32_e32 v23, s15, v23
	ds_load_b32 v122, v24 offset:1056
	v_add_nc_u32_e32 v124, v81, v21
	v_and_b32_e32 v20, v20, v22
	; wave barrier
	s_delay_alu instid0(VALU_DEP_1) | instskip(NEXT) | instid1(VALU_DEP_1)
	v_and_b32_e32 v20, v20, v23
	v_mbcnt_lo_u32_b32 v123, v20, 0
	v_cmp_ne_u32_e64 s15, 0, v20
	s_delay_alu instid0(VALU_DEP_2)
	v_cmp_eq_u32_e32 vcc_lo, 0, v123
	s_and_b32 s16, s15, vcc_lo
	s_wait_alu 0xfffe
	s_and_saveexec_b32 s15, s16
	s_cbranch_execz .LBB428_102
; %bb.101:                              ;   in Loop: Header=BB428_72 Depth=2
	s_wait_dscnt 0x0
	v_bcnt_u32_b32 v20, v20, v122
	ds_store_b32 v124, v20 offset:1056
.LBB428_102:                            ;   in Loop: Header=BB428_72 Depth=2
	s_wait_alu 0xfffe
	s_or_b32 exec_lo, exec_lo, s15
	; wave barrier
	s_wait_loadcnt_dscnt 0x0
	s_barrier_signal -1
	s_barrier_wait -1
	global_inv scope:SCOPE_SE
	ds_load_2addr_b32 v[26:27], v94 offset1:1
	ds_load_2addr_b32 v[24:25], v95 offset1:1
	;; [unrolled: 1-line block ×4, first 2 shown]
	ds_load_b32 v125, v45 offset:1088
	s_wait_dscnt 0x3
	v_add3_u32 v126, v27, v26, v24
	s_wait_dscnt 0x2
	s_delay_alu instid0(VALU_DEP_1) | instskip(SKIP_1) | instid1(VALU_DEP_1)
	v_add3_u32 v126, v126, v25, v22
	s_wait_dscnt 0x1
	v_add3_u32 v126, v126, v23, v20
	s_wait_dscnt 0x0
	s_delay_alu instid0(VALU_DEP_1) | instskip(NEXT) | instid1(VALU_DEP_1)
	v_add3_u32 v125, v126, v21, v125
	v_mov_b32_dpp v126, v125 row_shr:1 row_mask:0xf bank_mask:0xf
	s_delay_alu instid0(VALU_DEP_1) | instskip(NEXT) | instid1(VALU_DEP_1)
	v_cndmask_b32_e64 v126, v126, 0, s0
	v_add_nc_u32_e32 v125, v126, v125
	s_delay_alu instid0(VALU_DEP_1) | instskip(NEXT) | instid1(VALU_DEP_1)
	v_mov_b32_dpp v126, v125 row_shr:2 row_mask:0xf bank_mask:0xf
	v_cndmask_b32_e64 v126, 0, v126, s1
	s_delay_alu instid0(VALU_DEP_1) | instskip(NEXT) | instid1(VALU_DEP_1)
	v_add_nc_u32_e32 v125, v125, v126
	v_mov_b32_dpp v126, v125 row_shr:4 row_mask:0xf bank_mask:0xf
	s_delay_alu instid0(VALU_DEP_1) | instskip(NEXT) | instid1(VALU_DEP_1)
	v_cndmask_b32_e64 v126, 0, v126, s9
	v_add_nc_u32_e32 v125, v125, v126
	s_delay_alu instid0(VALU_DEP_1) | instskip(NEXT) | instid1(VALU_DEP_1)
	v_mov_b32_dpp v126, v125 row_shr:8 row_mask:0xf bank_mask:0xf
	v_cndmask_b32_e64 v126, 0, v126, s10
	s_delay_alu instid0(VALU_DEP_1) | instskip(SKIP_3) | instid1(VALU_DEP_1)
	v_add_nc_u32_e32 v125, v125, v126
	ds_swizzle_b32 v126, v125 offset:swizzle(BROADCAST,32,15)
	s_wait_dscnt 0x0
	v_cndmask_b32_e64 v126, v126, 0, s11
	v_add_nc_u32_e32 v125, v125, v126
	s_and_saveexec_b32 s15, s3
; %bb.103:                              ;   in Loop: Header=BB428_72 Depth=2
	ds_store_b32 v38, v125 offset:1024
; %bb.104:                              ;   in Loop: Header=BB428_72 Depth=2
	s_wait_alu 0xfffe
	s_or_b32 exec_lo, exec_lo, s15
	s_wait_loadcnt_dscnt 0x0
	s_barrier_signal -1
	s_barrier_wait -1
	global_inv scope:SCOPE_SE
	s_and_saveexec_b32 s15, s4
	s_cbranch_execz .LBB428_106
; %bb.105:                              ;   in Loop: Header=BB428_72 Depth=2
	v_add_nc_u32_e32 v126, v45, v46
	ds_load_b32 v127, v126 offset:1024
	s_wait_dscnt 0x0
	v_mov_b32_dpp v128, v127 row_shr:1 row_mask:0xf bank_mask:0xf
	s_delay_alu instid0(VALU_DEP_1) | instskip(NEXT) | instid1(VALU_DEP_1)
	v_cndmask_b32_e64 v128, v128, 0, s12
	v_add_nc_u32_e32 v127, v128, v127
	s_delay_alu instid0(VALU_DEP_1) | instskip(NEXT) | instid1(VALU_DEP_1)
	v_mov_b32_dpp v128, v127 row_shr:2 row_mask:0xf bank_mask:0xf
	v_cndmask_b32_e64 v128, 0, v128, s13
	s_delay_alu instid0(VALU_DEP_1) | instskip(NEXT) | instid1(VALU_DEP_1)
	v_add_nc_u32_e32 v127, v127, v128
	v_mov_b32_dpp v128, v127 row_shr:4 row_mask:0xf bank_mask:0xf
	s_delay_alu instid0(VALU_DEP_1) | instskip(NEXT) | instid1(VALU_DEP_1)
	v_cndmask_b32_e64 v128, 0, v128, s14
	v_add_nc_u32_e32 v127, v127, v128
	ds_store_b32 v126, v127 offset:1024
.LBB428_106:                            ;   in Loop: Header=BB428_72 Depth=2
	s_wait_alu 0xfffe
	s_or_b32 exec_lo, exec_lo, s15
	v_mov_b32_e32 v126, 0
	s_wait_loadcnt_dscnt 0x0
	s_barrier_signal -1
	s_barrier_wait -1
	global_inv scope:SCOPE_SE
	s_and_saveexec_b32 s15, s5
; %bb.107:                              ;   in Loop: Header=BB428_72 Depth=2
	ds_load_b32 v126, v38 offset:1020
; %bb.108:                              ;   in Loop: Header=BB428_72 Depth=2
	s_wait_alu 0xfffe
	s_or_b32 exec_lo, exec_lo, s15
	s_wait_dscnt 0x0
	v_add_nc_u32_e32 v125, v126, v125
	ds_bpermute_b32 v125, v80, v125
	s_wait_dscnt 0x0
	v_cndmask_b32_e64 v125, v125, v126, s8
	s_delay_alu instid0(VALU_DEP_1) | instskip(NEXT) | instid1(VALU_DEP_1)
	v_cndmask_b32_e64 v125, v125, 0, s6
	v_add_nc_u32_e32 v26, v125, v26
	s_delay_alu instid0(VALU_DEP_1) | instskip(NEXT) | instid1(VALU_DEP_1)
	v_add_nc_u32_e32 v27, v26, v27
	v_add_nc_u32_e32 v24, v27, v24
	s_delay_alu instid0(VALU_DEP_1) | instskip(NEXT) | instid1(VALU_DEP_1)
	v_add_nc_u32_e32 v25, v24, v25
	v_add_nc_u32_e32 v22, v25, v22
	s_delay_alu instid0(VALU_DEP_1) | instskip(NEXT) | instid1(VALU_DEP_1)
	v_add_nc_u32_e32 v23, v22, v23
	v_add_nc_u32_e32 v20, v23, v20
	s_delay_alu instid0(VALU_DEP_1)
	v_add_nc_u32_e32 v21, v20, v21
	ds_store_2addr_b32 v93, v23, v20 offset1:1
	ds_store_2addr_b32 v94, v125, v26 offset1:1
	;; [unrolled: 1-line block ×4, first 2 shown]
	ds_store_b32 v45, v21 offset:1088
	s_wait_loadcnt_dscnt 0x0
	s_barrier_signal -1
	s_barrier_wait -1
	global_inv scope:SCOPE_SE
	ds_load_b32 v20, v97 offset:1056
	ds_load_b32 v21, v101 offset:1056
	;; [unrolled: 1-line block ×9, first 2 shown]
	v_mov_b32_e32 v22, 0x800
	s_and_saveexec_b32 s15, s7
; %bb.109:                              ;   in Loop: Header=BB428_72 Depth=2
	ds_load_b32 v22, v45 offset:1092
; %bb.110:                              ;   in Loop: Header=BB428_72 Depth=2
	s_wait_alu 0xfffe
	s_or_b32 exec_lo, exec_lo, s15
	s_wait_loadcnt_dscnt 0x0
	s_barrier_signal -1
	s_barrier_wait -1
	global_inv scope:SCOPE_SE
	s_and_saveexec_b32 s15, s2
	s_cbranch_execz .LBB428_112
; %bb.111:                              ;   in Loop: Header=BB428_72 Depth=2
	ds_load_b32 v27, v28
	s_wait_dscnt 0x0
	v_sub_nc_u32_e32 v26, v27, v26
	ds_store_b32 v28, v26
.LBB428_112:                            ;   in Loop: Header=BB428_72 Depth=2
	s_wait_alu 0xfffe
	s_or_b32 exec_lo, exec_lo, s15
	v_add_nc_u32_e32 v94, v20, v91
	v_add3_u32 v93, v99, v98, v21
	v_add3_u32 v91, v103, v102, v23
	;; [unrolled: 1-line block ×7, first 2 shown]
	v_cmp_lt_u32_e64 s20, v1, v2
	ds_store_b8 v94, v90 offset:1024
	ds_store_b8 v93, v92 offset:1024
	;; [unrolled: 1-line block ×8, first 2 shown]
	s_wait_loadcnt_dscnt 0x0
	s_barrier_signal -1
	s_barrier_wait -1
	global_inv scope:SCOPE_SE
	s_and_saveexec_b32 s15, s20
	s_cbranch_execnz .LBB428_149
; %bb.113:                              ;   in Loop: Header=BB428_72 Depth=2
	s_wait_alu 0xfffe
	s_or_b32 exec_lo, exec_lo, s15
	v_cmp_lt_u32_e64 s21, v29, v2
	s_and_saveexec_b32 s15, s21
	s_cbranch_execnz .LBB428_150
.LBB428_114:                            ;   in Loop: Header=BB428_72 Depth=2
	s_wait_alu 0xfffe
	s_or_b32 exec_lo, exec_lo, s15
	v_cmp_lt_u32_e64 s19, v30, v2
	s_and_saveexec_b32 s15, s19
	s_cbranch_execnz .LBB428_151
.LBB428_115:                            ;   in Loop: Header=BB428_72 Depth=2
	s_wait_alu 0xfffe
	s_or_b32 exec_lo, exec_lo, s15
	v_cmp_lt_u32_e64 s18, v31, v2
	s_and_saveexec_b32 s15, s18
	s_cbranch_execnz .LBB428_152
.LBB428_116:                            ;   in Loop: Header=BB428_72 Depth=2
	s_wait_alu 0xfffe
	s_or_b32 exec_lo, exec_lo, s15
	v_cmp_lt_u32_e64 s17, v34, v2
	s_and_saveexec_b32 s15, s17
	s_cbranch_execnz .LBB428_153
.LBB428_117:                            ;   in Loop: Header=BB428_72 Depth=2
	s_wait_alu 0xfffe
	s_or_b32 exec_lo, exec_lo, s15
	v_cmp_lt_u32_e64 s16, v35, v2
	s_and_saveexec_b32 s15, s16
	s_cbranch_execnz .LBB428_154
.LBB428_118:                            ;   in Loop: Header=BB428_72 Depth=2
	s_wait_alu 0xfffe
	s_or_b32 exec_lo, exec_lo, s15
	v_cmp_lt_u32_e64 s15, v36, v2
	s_and_saveexec_b32 s44, s15
	s_cbranch_execnz .LBB428_155
.LBB428_119:                            ;   in Loop: Header=BB428_72 Depth=2
	s_wait_alu 0xfffe
	s_or_b32 exec_lo, exec_lo, s44
	v_cmp_lt_u32_e32 vcc_lo, v37, v2
	s_and_saveexec_b32 s44, vcc_lo
	s_cbranch_execz .LBB428_121
.LBB428_120:                            ;   in Loop: Header=BB428_72 Depth=2
	ds_load_u8 v20, v1 offset:2816
	s_wait_dscnt 0x0
	v_and_b32_e32 v21, 0xff, v20
	v_xor_b32_e32 v20, 0x80, v20
	s_delay_alu instid0(VALU_DEP_2) | instskip(NEXT) | instid1(VALU_DEP_1)
	v_lshrrev_b32_e32 v21, s30, v21
	v_and_b32_e32 v21, s31, v21
	s_delay_alu instid0(VALU_DEP_1)
	v_lshlrev_b32_e32 v21, 2, v21
	ds_load_b32 v21, v21
	s_wait_dscnt 0x0
	v_add_nc_u32_e32 v21, v21, v37
	global_store_b8 v21, v20, s[38:39]
.LBB428_121:                            ;   in Loop: Header=BB428_72 Depth=2
	s_wait_alu 0xfffe
	s_or_b32 exec_lo, exec_lo, s44
	s_lshl_b64 s[48:49], s[22:23], 3
	s_wait_alu 0xfffe
	v_add_co_u32 v20, s22, v69, s48
	s_wait_alu 0xf1ff
	v_add_co_ci_u32_e64 v21, null, s49, v70, s22
	v_cmp_lt_u32_e64 s22, v68, v2
	s_and_saveexec_b32 s44, s22
	s_wait_alu 0xfffe
	s_xor_b32 s22, exec_lo, s44
	s_cbranch_execnz .LBB428_156
; %bb.122:                              ;   in Loop: Header=BB428_72 Depth=2
	s_wait_alu 0xfffe
	s_or_b32 exec_lo, exec_lo, s22
	s_delay_alu instid0(SALU_CYCLE_1)
	s_mov_b32 s44, exec_lo
	v_cmpx_lt_u32_e64 v71, v2
	s_cbranch_execnz .LBB428_157
.LBB428_123:                            ;   in Loop: Header=BB428_72 Depth=2
	s_wait_alu 0xfffe
	s_or_b32 exec_lo, exec_lo, s44
	s_delay_alu instid0(SALU_CYCLE_1)
	s_mov_b32 s44, exec_lo
	v_cmpx_lt_u32_e64 v72, v2
	s_cbranch_execnz .LBB428_158
.LBB428_124:                            ;   in Loop: Header=BB428_72 Depth=2
	s_wait_alu 0xfffe
	s_or_b32 exec_lo, exec_lo, s44
	s_delay_alu instid0(SALU_CYCLE_1)
	s_mov_b32 s44, exec_lo
	v_cmpx_lt_u32_e64 v73, v2
	s_cbranch_execnz .LBB428_159
.LBB428_125:                            ;   in Loop: Header=BB428_72 Depth=2
	s_wait_alu 0xfffe
	s_or_b32 exec_lo, exec_lo, s44
	s_delay_alu instid0(SALU_CYCLE_1)
	s_mov_b32 s44, exec_lo
	v_cmpx_lt_u32_e64 v74, v2
	s_cbranch_execnz .LBB428_160
.LBB428_126:                            ;   in Loop: Header=BB428_72 Depth=2
	s_wait_alu 0xfffe
	s_or_b32 exec_lo, exec_lo, s44
	s_delay_alu instid0(SALU_CYCLE_1)
	s_mov_b32 s44, exec_lo
	v_cmpx_lt_u32_e64 v75, v2
	s_cbranch_execnz .LBB428_161
.LBB428_127:                            ;   in Loop: Header=BB428_72 Depth=2
	s_wait_alu 0xfffe
	s_or_b32 exec_lo, exec_lo, s44
	s_delay_alu instid0(SALU_CYCLE_1)
	s_mov_b32 s44, exec_lo
	v_cmpx_lt_u32_e64 v76, v2
	s_cbranch_execnz .LBB428_162
.LBB428_128:                            ;   in Loop: Header=BB428_72 Depth=2
	s_wait_alu 0xfffe
	s_or_b32 exec_lo, exec_lo, s44
	s_delay_alu instid0(SALU_CYCLE_1)
	s_mov_b32 s44, exec_lo
	v_cmpx_lt_u32_e64 v77, v2
	s_cbranch_execnz .LBB428_163
.LBB428_129:                            ;   in Loop: Header=BB428_72 Depth=2
	s_wait_alu 0xfffe
	s_or_b32 exec_lo, exec_lo, s44
	s_and_saveexec_b32 s22, s20
	s_cbranch_execnz .LBB428_164
.LBB428_130:                            ;   in Loop: Header=BB428_72 Depth=2
	s_wait_alu 0xfffe
	s_or_b32 exec_lo, exec_lo, s22
	s_and_saveexec_b32 s22, s21
	s_cbranch_execnz .LBB428_165
.LBB428_131:                            ;   in Loop: Header=BB428_72 Depth=2
	s_wait_alu 0xfffe
	s_or_b32 exec_lo, exec_lo, s22
	s_and_saveexec_b32 s22, s19
	s_cbranch_execnz .LBB428_166
.LBB428_132:                            ;   in Loop: Header=BB428_72 Depth=2
	s_wait_alu 0xfffe
	s_or_b32 exec_lo, exec_lo, s22
	s_and_saveexec_b32 s22, s18
	s_cbranch_execnz .LBB428_167
.LBB428_133:                            ;   in Loop: Header=BB428_72 Depth=2
	s_wait_alu 0xfffe
	s_or_b32 exec_lo, exec_lo, s22
	s_and_saveexec_b32 s22, s17
	s_cbranch_execnz .LBB428_168
.LBB428_134:                            ;   in Loop: Header=BB428_72 Depth=2
	s_wait_alu 0xfffe
	s_or_b32 exec_lo, exec_lo, s22
	s_and_saveexec_b32 s22, s16
	s_cbranch_execnz .LBB428_169
.LBB428_135:                            ;   in Loop: Header=BB428_72 Depth=2
	s_wait_alu 0xfffe
	s_or_b32 exec_lo, exec_lo, s22
	s_and_saveexec_b32 s22, s15
	s_cbranch_execnz .LBB428_170
.LBB428_136:                            ;   in Loop: Header=BB428_72 Depth=2
	s_wait_alu 0xfffe
	s_or_b32 exec_lo, exec_lo, s22
	s_and_saveexec_b32 s22, vcc_lo
	s_cbranch_execz .LBB428_138
.LBB428_137:                            ;   in Loop: Header=BB428_72 Depth=2
	ds_load_u8 v2, v1 offset:2816
	s_wait_dscnt 0x0
	v_lshrrev_b32_e32 v2, s30, v2
	s_delay_alu instid0(VALU_DEP_1)
	v_and_b32_e32 v82, s31, v2
.LBB428_138:                            ;   in Loop: Header=BB428_72 Depth=2
	s_wait_alu 0xfffe
	s_or_b32 exec_lo, exec_lo, s22
	v_lshlrev_b32_e32 v2, 3, v94
	v_lshlrev_b32_e32 v20, 3, v93
	;; [unrolled: 1-line block ×3, first 2 shown]
	s_wait_loadcnt 0x0
	s_wait_storecnt 0x0
	s_barrier_signal -1
	s_barrier_wait -1
	global_inv scope:SCOPE_SE
	ds_store_b64 v2, v[18:19] offset:1024
	ds_store_b64 v20, v[16:17] offset:1024
	ds_store_b64 v21, v[14:15] offset:1024
	v_lshlrev_b32_e32 v2, 3, v27
	v_lshlrev_b32_e32 v20, 3, v26
	;; [unrolled: 1-line block ×5, first 2 shown]
	ds_store_b64 v2, v[12:13] offset:1024
	ds_store_b64 v20, v[10:11] offset:1024
	;; [unrolled: 1-line block ×5, first 2 shown]
	s_wait_loadcnt_dscnt 0x0
	s_barrier_signal -1
	s_barrier_wait -1
	global_inv scope:SCOPE_SE
	s_and_saveexec_b32 s22, s20
	s_cbranch_execnz .LBB428_171
; %bb.139:                              ;   in Loop: Header=BB428_72 Depth=2
	s_wait_alu 0xfffe
	s_or_b32 exec_lo, exec_lo, s22
	s_and_saveexec_b32 s22, s21
	s_cbranch_execnz .LBB428_172
.LBB428_140:                            ;   in Loop: Header=BB428_72 Depth=2
	s_wait_alu 0xfffe
	s_or_b32 exec_lo, exec_lo, s22
	s_and_saveexec_b32 s20, s19
	s_cbranch_execnz .LBB428_173
.LBB428_141:                            ;   in Loop: Header=BB428_72 Depth=2
	s_wait_alu 0xfffe
	s_or_b32 exec_lo, exec_lo, s20
	s_and_saveexec_b32 s19, s18
	s_cbranch_execnz .LBB428_174
.LBB428_142:                            ;   in Loop: Header=BB428_72 Depth=2
	s_wait_alu 0xfffe
	s_or_b32 exec_lo, exec_lo, s19
	s_and_saveexec_b32 s18, s17
	s_cbranch_execnz .LBB428_175
.LBB428_143:                            ;   in Loop: Header=BB428_72 Depth=2
	s_wait_alu 0xfffe
	s_or_b32 exec_lo, exec_lo, s18
	s_and_saveexec_b32 s17, s16
	s_cbranch_execnz .LBB428_176
.LBB428_144:                            ;   in Loop: Header=BB428_72 Depth=2
	s_wait_alu 0xfffe
	s_or_b32 exec_lo, exec_lo, s17
	s_and_saveexec_b32 s16, s15
	s_cbranch_execnz .LBB428_177
.LBB428_145:                            ;   in Loop: Header=BB428_72 Depth=2
	s_wait_alu 0xfffe
	s_or_b32 exec_lo, exec_lo, s16
	s_and_saveexec_b32 s15, vcc_lo
	s_cbranch_execz .LBB428_147
.LBB428_146:                            ;   in Loop: Header=BB428_72 Depth=2
	v_lshlrev_b32_e32 v2, 2, v82
	v_add_nc_u32_e32 v20, v1, v47
	ds_load_b32 v2, v2
	ds_load_b64 v[20:21], v20 offset:15360
	s_wait_dscnt 0x1
	v_add_nc_u32_e32 v2, v2, v37
	s_delay_alu instid0(VALU_DEP_1) | instskip(NEXT) | instid1(VALU_DEP_1)
	v_lshlrev_b64_e32 v[23:24], 3, v[2:3]
	v_add_co_u32 v23, vcc_lo, s24, v23
	s_wait_alu 0xfffd
	s_delay_alu instid0(VALU_DEP_2)
	v_add_co_ci_u32_e64 v24, null, s25, v24, vcc_lo
	s_wait_dscnt 0x0
	global_store_b64 v[23:24], v[20:21], off
.LBB428_147:                            ;   in Loop: Header=BB428_72 Depth=2
	s_wait_alu 0xfffe
	s_or_b32 exec_lo, exec_lo, s15
	s_wait_loadcnt 0x0
	s_wait_storecnt 0x0
	s_barrier_signal -1
	s_barrier_wait -1
	global_inv scope:SCOPE_SE
	s_and_saveexec_b32 s15, s2
	s_cbranch_execz .LBB428_71
; %bb.148:                              ;   in Loop: Header=BB428_72 Depth=2
	ds_load_b32 v2, v28
	s_wait_dscnt 0x0
	v_add_nc_u32_e32 v2, v2, v22
	ds_store_b32 v28, v2
	s_branch .LBB428_71
.LBB428_149:                            ;   in Loop: Header=BB428_72 Depth=2
	ds_load_u8 v20, v1 offset:1024
	s_wait_dscnt 0x0
	v_and_b32_e32 v21, 0xff, v20
	v_xor_b32_e32 v20, 0x80, v20
	s_delay_alu instid0(VALU_DEP_2) | instskip(NEXT) | instid1(VALU_DEP_1)
	v_lshrrev_b32_e32 v21, s30, v21
	v_and_b32_e32 v21, s31, v21
	s_delay_alu instid0(VALU_DEP_1)
	v_lshlrev_b32_e32 v21, 2, v21
	ds_load_b32 v21, v21
	s_wait_dscnt 0x0
	v_add_nc_u32_e32 v21, v21, v1
	global_store_b8 v21, v20, s[38:39]
	s_wait_alu 0xfffe
	s_or_b32 exec_lo, exec_lo, s15
	v_cmp_lt_u32_e64 s21, v29, v2
	s_and_saveexec_b32 s15, s21
	s_cbranch_execz .LBB428_114
.LBB428_150:                            ;   in Loop: Header=BB428_72 Depth=2
	ds_load_u8 v20, v1 offset:1280
	s_wait_dscnt 0x0
	v_and_b32_e32 v21, 0xff, v20
	v_xor_b32_e32 v20, 0x80, v20
	s_delay_alu instid0(VALU_DEP_2) | instskip(NEXT) | instid1(VALU_DEP_1)
	v_lshrrev_b32_e32 v21, s30, v21
	v_and_b32_e32 v21, s31, v21
	s_delay_alu instid0(VALU_DEP_1)
	v_lshlrev_b32_e32 v21, 2, v21
	ds_load_b32 v21, v21
	s_wait_dscnt 0x0
	v_add_nc_u32_e32 v21, v21, v29
	global_store_b8 v21, v20, s[38:39]
	s_wait_alu 0xfffe
	s_or_b32 exec_lo, exec_lo, s15
	v_cmp_lt_u32_e64 s19, v30, v2
	s_and_saveexec_b32 s15, s19
	s_cbranch_execz .LBB428_115
.LBB428_151:                            ;   in Loop: Header=BB428_72 Depth=2
	ds_load_u8 v20, v1 offset:1536
	s_wait_dscnt 0x0
	v_and_b32_e32 v21, 0xff, v20
	v_xor_b32_e32 v20, 0x80, v20
	s_delay_alu instid0(VALU_DEP_2) | instskip(NEXT) | instid1(VALU_DEP_1)
	v_lshrrev_b32_e32 v21, s30, v21
	v_and_b32_e32 v21, s31, v21
	s_delay_alu instid0(VALU_DEP_1)
	v_lshlrev_b32_e32 v21, 2, v21
	ds_load_b32 v21, v21
	s_wait_dscnt 0x0
	v_add_nc_u32_e32 v21, v21, v30
	global_store_b8 v21, v20, s[38:39]
	s_wait_alu 0xfffe
	s_or_b32 exec_lo, exec_lo, s15
	v_cmp_lt_u32_e64 s18, v31, v2
	s_and_saveexec_b32 s15, s18
	s_cbranch_execz .LBB428_116
.LBB428_152:                            ;   in Loop: Header=BB428_72 Depth=2
	ds_load_u8 v20, v1 offset:1792
	s_wait_dscnt 0x0
	v_and_b32_e32 v21, 0xff, v20
	v_xor_b32_e32 v20, 0x80, v20
	s_delay_alu instid0(VALU_DEP_2) | instskip(NEXT) | instid1(VALU_DEP_1)
	v_lshrrev_b32_e32 v21, s30, v21
	v_and_b32_e32 v21, s31, v21
	s_delay_alu instid0(VALU_DEP_1)
	v_lshlrev_b32_e32 v21, 2, v21
	ds_load_b32 v21, v21
	s_wait_dscnt 0x0
	v_add_nc_u32_e32 v21, v21, v31
	global_store_b8 v21, v20, s[38:39]
	s_wait_alu 0xfffe
	s_or_b32 exec_lo, exec_lo, s15
	v_cmp_lt_u32_e64 s17, v34, v2
	s_and_saveexec_b32 s15, s17
	s_cbranch_execz .LBB428_117
.LBB428_153:                            ;   in Loop: Header=BB428_72 Depth=2
	ds_load_u8 v20, v1 offset:2048
	s_wait_dscnt 0x0
	v_and_b32_e32 v21, 0xff, v20
	v_xor_b32_e32 v20, 0x80, v20
	s_delay_alu instid0(VALU_DEP_2) | instskip(NEXT) | instid1(VALU_DEP_1)
	v_lshrrev_b32_e32 v21, s30, v21
	v_and_b32_e32 v21, s31, v21
	s_delay_alu instid0(VALU_DEP_1)
	v_lshlrev_b32_e32 v21, 2, v21
	ds_load_b32 v21, v21
	s_wait_dscnt 0x0
	v_add_nc_u32_e32 v21, v21, v34
	global_store_b8 v21, v20, s[38:39]
	s_wait_alu 0xfffe
	s_or_b32 exec_lo, exec_lo, s15
	v_cmp_lt_u32_e64 s16, v35, v2
	s_and_saveexec_b32 s15, s16
	s_cbranch_execz .LBB428_118
.LBB428_154:                            ;   in Loop: Header=BB428_72 Depth=2
	ds_load_u8 v20, v1 offset:2304
	s_wait_dscnt 0x0
	v_and_b32_e32 v21, 0xff, v20
	v_xor_b32_e32 v20, 0x80, v20
	s_delay_alu instid0(VALU_DEP_2) | instskip(NEXT) | instid1(VALU_DEP_1)
	v_lshrrev_b32_e32 v21, s30, v21
	v_and_b32_e32 v21, s31, v21
	s_delay_alu instid0(VALU_DEP_1)
	v_lshlrev_b32_e32 v21, 2, v21
	ds_load_b32 v21, v21
	s_wait_dscnt 0x0
	v_add_nc_u32_e32 v21, v21, v35
	global_store_b8 v21, v20, s[38:39]
	s_wait_alu 0xfffe
	s_or_b32 exec_lo, exec_lo, s15
	v_cmp_lt_u32_e64 s15, v36, v2
	s_and_saveexec_b32 s44, s15
	s_cbranch_execz .LBB428_119
.LBB428_155:                            ;   in Loop: Header=BB428_72 Depth=2
	ds_load_u8 v20, v1 offset:2560
	s_wait_dscnt 0x0
	v_and_b32_e32 v21, 0xff, v20
	v_xor_b32_e32 v20, 0x80, v20
	s_delay_alu instid0(VALU_DEP_2) | instskip(NEXT) | instid1(VALU_DEP_1)
	v_lshrrev_b32_e32 v21, s30, v21
	v_and_b32_e32 v21, s31, v21
	s_delay_alu instid0(VALU_DEP_1)
	v_lshlrev_b32_e32 v21, 2, v21
	ds_load_b32 v21, v21
	s_wait_dscnt 0x0
	v_add_nc_u32_e32 v21, v21, v36
	global_store_b8 v21, v20, s[38:39]
	s_wait_alu 0xfffe
	s_or_b32 exec_lo, exec_lo, s44
	v_cmp_lt_u32_e32 vcc_lo, v37, v2
	s_and_saveexec_b32 s44, vcc_lo
	s_cbranch_execnz .LBB428_120
	s_branch .LBB428_121
.LBB428_156:                            ;   in Loop: Header=BB428_72 Depth=2
	global_load_b64 v[18:19], v[20:21], off
	s_wait_alu 0xfffe
	s_or_b32 exec_lo, exec_lo, s22
	s_delay_alu instid0(SALU_CYCLE_1)
	s_mov_b32 s44, exec_lo
	v_cmpx_lt_u32_e64 v71, v2
	s_cbranch_execz .LBB428_123
.LBB428_157:                            ;   in Loop: Header=BB428_72 Depth=2
	global_load_b64 v[16:17], v[20:21], off offset:256
	s_wait_alu 0xfffe
	s_or_b32 exec_lo, exec_lo, s44
	s_delay_alu instid0(SALU_CYCLE_1)
	s_mov_b32 s44, exec_lo
	v_cmpx_lt_u32_e64 v72, v2
	s_cbranch_execz .LBB428_124
.LBB428_158:                            ;   in Loop: Header=BB428_72 Depth=2
	global_load_b64 v[14:15], v[20:21], off offset:512
	s_wait_alu 0xfffe
	s_or_b32 exec_lo, exec_lo, s44
	s_delay_alu instid0(SALU_CYCLE_1)
	s_mov_b32 s44, exec_lo
	v_cmpx_lt_u32_e64 v73, v2
	s_cbranch_execz .LBB428_125
.LBB428_159:                            ;   in Loop: Header=BB428_72 Depth=2
	global_load_b64 v[12:13], v[20:21], off offset:768
	s_wait_alu 0xfffe
	s_or_b32 exec_lo, exec_lo, s44
	s_delay_alu instid0(SALU_CYCLE_1)
	s_mov_b32 s44, exec_lo
	v_cmpx_lt_u32_e64 v74, v2
	s_cbranch_execz .LBB428_126
.LBB428_160:                            ;   in Loop: Header=BB428_72 Depth=2
	global_load_b64 v[10:11], v[20:21], off offset:1024
	s_wait_alu 0xfffe
	s_or_b32 exec_lo, exec_lo, s44
	s_delay_alu instid0(SALU_CYCLE_1)
	s_mov_b32 s44, exec_lo
	v_cmpx_lt_u32_e64 v75, v2
	s_cbranch_execz .LBB428_127
.LBB428_161:                            ;   in Loop: Header=BB428_72 Depth=2
	global_load_b64 v[8:9], v[20:21], off offset:1280
	s_wait_alu 0xfffe
	s_or_b32 exec_lo, exec_lo, s44
	s_delay_alu instid0(SALU_CYCLE_1)
	s_mov_b32 s44, exec_lo
	v_cmpx_lt_u32_e64 v76, v2
	s_cbranch_execz .LBB428_128
.LBB428_162:                            ;   in Loop: Header=BB428_72 Depth=2
	global_load_b64 v[6:7], v[20:21], off offset:1536
	s_wait_alu 0xfffe
	s_or_b32 exec_lo, exec_lo, s44
	s_delay_alu instid0(SALU_CYCLE_1)
	s_mov_b32 s44, exec_lo
	v_cmpx_lt_u32_e64 v77, v2
	s_cbranch_execz .LBB428_129
.LBB428_163:                            ;   in Loop: Header=BB428_72 Depth=2
	global_load_b64 v[4:5], v[20:21], off offset:1792
	s_wait_alu 0xfffe
	s_or_b32 exec_lo, exec_lo, s44
	s_and_saveexec_b32 s22, s20
	s_cbranch_execz .LBB428_130
.LBB428_164:                            ;   in Loop: Header=BB428_72 Depth=2
	ds_load_u8 v2, v1 offset:1024
	s_wait_dscnt 0x0
	v_lshrrev_b32_e32 v2, s30, v2
	s_delay_alu instid0(VALU_DEP_1)
	v_and_b32_e32 v89, s31, v2
	s_wait_alu 0xfffe
	s_or_b32 exec_lo, exec_lo, s22
	s_and_saveexec_b32 s22, s21
	s_cbranch_execz .LBB428_131
.LBB428_165:                            ;   in Loop: Header=BB428_72 Depth=2
	ds_load_u8 v2, v1 offset:1280
	s_wait_dscnt 0x0
	v_lshrrev_b32_e32 v2, s30, v2
	s_delay_alu instid0(VALU_DEP_1)
	v_and_b32_e32 v88, s31, v2
	s_wait_alu 0xfffe
	s_or_b32 exec_lo, exec_lo, s22
	s_and_saveexec_b32 s22, s19
	s_cbranch_execz .LBB428_132
.LBB428_166:                            ;   in Loop: Header=BB428_72 Depth=2
	ds_load_u8 v2, v1 offset:1536
	s_wait_dscnt 0x0
	v_lshrrev_b32_e32 v2, s30, v2
	s_delay_alu instid0(VALU_DEP_1)
	v_and_b32_e32 v87, s31, v2
	s_wait_alu 0xfffe
	s_or_b32 exec_lo, exec_lo, s22
	s_and_saveexec_b32 s22, s18
	s_cbranch_execz .LBB428_133
.LBB428_167:                            ;   in Loop: Header=BB428_72 Depth=2
	ds_load_u8 v2, v1 offset:1792
	s_wait_dscnt 0x0
	v_lshrrev_b32_e32 v2, s30, v2
	s_delay_alu instid0(VALU_DEP_1)
	v_and_b32_e32 v86, s31, v2
	s_wait_alu 0xfffe
	s_or_b32 exec_lo, exec_lo, s22
	s_and_saveexec_b32 s22, s17
	s_cbranch_execz .LBB428_134
.LBB428_168:                            ;   in Loop: Header=BB428_72 Depth=2
	ds_load_u8 v2, v1 offset:2048
	s_wait_dscnt 0x0
	v_lshrrev_b32_e32 v2, s30, v2
	s_delay_alu instid0(VALU_DEP_1)
	v_and_b32_e32 v85, s31, v2
	s_wait_alu 0xfffe
	s_or_b32 exec_lo, exec_lo, s22
	s_and_saveexec_b32 s22, s16
	s_cbranch_execz .LBB428_135
.LBB428_169:                            ;   in Loop: Header=BB428_72 Depth=2
	ds_load_u8 v2, v1 offset:2304
	s_wait_dscnt 0x0
	v_lshrrev_b32_e32 v2, s30, v2
	s_delay_alu instid0(VALU_DEP_1)
	v_and_b32_e32 v84, s31, v2
	s_wait_alu 0xfffe
	s_or_b32 exec_lo, exec_lo, s22
	s_and_saveexec_b32 s22, s15
	s_cbranch_execz .LBB428_136
.LBB428_170:                            ;   in Loop: Header=BB428_72 Depth=2
	ds_load_u8 v2, v1 offset:2560
	s_wait_dscnt 0x0
	v_lshrrev_b32_e32 v2, s30, v2
	s_delay_alu instid0(VALU_DEP_1)
	v_and_b32_e32 v83, s31, v2
	s_wait_alu 0xfffe
	s_or_b32 exec_lo, exec_lo, s22
	s_and_saveexec_b32 s22, vcc_lo
	s_cbranch_execnz .LBB428_137
	s_branch .LBB428_138
.LBB428_171:                            ;   in Loop: Header=BB428_72 Depth=2
	v_lshlrev_b32_e32 v2, 2, v89
	v_add_nc_u32_e32 v20, v1, v47
	ds_load_b32 v2, v2
	ds_load_b64 v[20:21], v20 offset:1024
	s_wait_dscnt 0x1
	v_add_nc_u32_e32 v2, v2, v1
	s_delay_alu instid0(VALU_DEP_1) | instskip(NEXT) | instid1(VALU_DEP_1)
	v_lshlrev_b64_e32 v[23:24], 3, v[2:3]
	v_add_co_u32 v23, s20, s24, v23
	s_wait_alu 0xf1ff
	s_delay_alu instid0(VALU_DEP_2)
	v_add_co_ci_u32_e64 v24, null, s25, v24, s20
	s_wait_dscnt 0x0
	global_store_b64 v[23:24], v[20:21], off
	s_wait_alu 0xfffe
	s_or_b32 exec_lo, exec_lo, s22
	s_and_saveexec_b32 s22, s21
	s_cbranch_execz .LBB428_140
.LBB428_172:                            ;   in Loop: Header=BB428_72 Depth=2
	v_lshlrev_b32_e32 v2, 2, v88
	v_add_nc_u32_e32 v20, v1, v47
	ds_load_b32 v2, v2
	ds_load_b64 v[20:21], v20 offset:3072
	s_wait_dscnt 0x1
	v_add_nc_u32_e32 v2, v2, v29
	s_delay_alu instid0(VALU_DEP_1) | instskip(NEXT) | instid1(VALU_DEP_1)
	v_lshlrev_b64_e32 v[23:24], 3, v[2:3]
	v_add_co_u32 v23, s20, s24, v23
	s_wait_alu 0xf1ff
	s_delay_alu instid0(VALU_DEP_2)
	v_add_co_ci_u32_e64 v24, null, s25, v24, s20
	s_wait_dscnt 0x0
	global_store_b64 v[23:24], v[20:21], off
	s_wait_alu 0xfffe
	s_or_b32 exec_lo, exec_lo, s22
	s_and_saveexec_b32 s20, s19
	s_cbranch_execz .LBB428_141
.LBB428_173:                            ;   in Loop: Header=BB428_72 Depth=2
	v_lshlrev_b32_e32 v2, 2, v87
	v_add_nc_u32_e32 v20, v1, v47
	ds_load_b32 v2, v2
	ds_load_b64 v[20:21], v20 offset:5120
	s_wait_dscnt 0x1
	v_add_nc_u32_e32 v2, v2, v30
	s_delay_alu instid0(VALU_DEP_1) | instskip(NEXT) | instid1(VALU_DEP_1)
	v_lshlrev_b64_e32 v[23:24], 3, v[2:3]
	v_add_co_u32 v23, s19, s24, v23
	s_wait_alu 0xf1ff
	s_delay_alu instid0(VALU_DEP_2)
	v_add_co_ci_u32_e64 v24, null, s25, v24, s19
	s_wait_dscnt 0x0
	global_store_b64 v[23:24], v[20:21], off
	s_wait_alu 0xfffe
	s_or_b32 exec_lo, exec_lo, s20
	s_and_saveexec_b32 s19, s18
	s_cbranch_execz .LBB428_142
.LBB428_174:                            ;   in Loop: Header=BB428_72 Depth=2
	v_lshlrev_b32_e32 v2, 2, v86
	v_add_nc_u32_e32 v20, v1, v47
	ds_load_b32 v2, v2
	ds_load_b64 v[20:21], v20 offset:7168
	s_wait_dscnt 0x1
	v_add_nc_u32_e32 v2, v2, v31
	s_delay_alu instid0(VALU_DEP_1) | instskip(NEXT) | instid1(VALU_DEP_1)
	v_lshlrev_b64_e32 v[23:24], 3, v[2:3]
	v_add_co_u32 v23, s18, s24, v23
	s_wait_alu 0xf1ff
	s_delay_alu instid0(VALU_DEP_2)
	v_add_co_ci_u32_e64 v24, null, s25, v24, s18
	s_wait_dscnt 0x0
	global_store_b64 v[23:24], v[20:21], off
	s_wait_alu 0xfffe
	s_or_b32 exec_lo, exec_lo, s19
	s_and_saveexec_b32 s18, s17
	s_cbranch_execz .LBB428_143
.LBB428_175:                            ;   in Loop: Header=BB428_72 Depth=2
	v_lshlrev_b32_e32 v2, 2, v85
	v_add_nc_u32_e32 v20, v1, v47
	ds_load_b32 v2, v2
	ds_load_b64 v[20:21], v20 offset:9216
	s_wait_dscnt 0x1
	v_add_nc_u32_e32 v2, v2, v34
	s_delay_alu instid0(VALU_DEP_1) | instskip(NEXT) | instid1(VALU_DEP_1)
	v_lshlrev_b64_e32 v[23:24], 3, v[2:3]
	v_add_co_u32 v23, s17, s24, v23
	s_wait_alu 0xf1ff
	s_delay_alu instid0(VALU_DEP_2)
	v_add_co_ci_u32_e64 v24, null, s25, v24, s17
	s_wait_dscnt 0x0
	global_store_b64 v[23:24], v[20:21], off
	s_wait_alu 0xfffe
	s_or_b32 exec_lo, exec_lo, s18
	s_and_saveexec_b32 s17, s16
	s_cbranch_execz .LBB428_144
.LBB428_176:                            ;   in Loop: Header=BB428_72 Depth=2
	v_lshlrev_b32_e32 v2, 2, v84
	v_add_nc_u32_e32 v20, v1, v47
	ds_load_b32 v2, v2
	ds_load_b64 v[20:21], v20 offset:11264
	s_wait_dscnt 0x1
	v_add_nc_u32_e32 v2, v2, v35
	s_delay_alu instid0(VALU_DEP_1) | instskip(NEXT) | instid1(VALU_DEP_1)
	v_lshlrev_b64_e32 v[23:24], 3, v[2:3]
	v_add_co_u32 v23, s16, s24, v23
	s_wait_alu 0xf1ff
	s_delay_alu instid0(VALU_DEP_2)
	v_add_co_ci_u32_e64 v24, null, s25, v24, s16
	s_wait_dscnt 0x0
	global_store_b64 v[23:24], v[20:21], off
	s_wait_alu 0xfffe
	s_or_b32 exec_lo, exec_lo, s17
	s_and_saveexec_b32 s16, s15
	s_cbranch_execz .LBB428_145
.LBB428_177:                            ;   in Loop: Header=BB428_72 Depth=2
	v_lshlrev_b32_e32 v2, 2, v83
	v_add_nc_u32_e32 v20, v1, v47
	ds_load_b32 v2, v2
	ds_load_b64 v[20:21], v20 offset:13312
	s_wait_dscnt 0x1
	v_add_nc_u32_e32 v2, v2, v36
	s_delay_alu instid0(VALU_DEP_1) | instskip(NEXT) | instid1(VALU_DEP_1)
	v_lshlrev_b64_e32 v[23:24], 3, v[2:3]
	v_add_co_u32 v23, s15, s24, v23
	s_wait_alu 0xf1ff
	s_delay_alu instid0(VALU_DEP_2)
	v_add_co_ci_u32_e64 v24, null, s25, v24, s15
	s_wait_dscnt 0x0
	global_store_b64 v[23:24], v[20:21], off
	s_wait_alu 0xfffe
	s_or_b32 exec_lo, exec_lo, s16
	s_and_saveexec_b32 s15, vcc_lo
	s_cbranch_execnz .LBB428_146
	s_branch .LBB428_147
.LBB428_178:                            ;   in Loop: Header=BB428_72 Depth=2
	global_load_u8 v90, v[20:21], off
	v_dual_mov_b32 v22, 0x7f :: v_dual_mov_b32 v27, 0x7f
	v_dual_mov_b32 v92, 0x7f :: v_dual_mov_b32 v25, 0x7f
	;; [unrolled: 1-line block ×3, first 2 shown]
	v_mov_b32_e32 v24, 0x7f
	s_wait_alu 0xfffe
	s_or_b32 exec_lo, exec_lo, s15
	s_delay_alu instid0(SALU_CYCLE_1)
	s_mov_b32 s15, exec_lo
	v_cmpx_gt_u32_e64 s42, v71
	s_cbranch_execz .LBB428_77
.LBB428_179:                            ;   in Loop: Header=BB428_72 Depth=2
	global_load_u8 v92, v[20:21], off offset:32
	s_wait_alu 0xfffe
	s_or_b32 exec_lo, exec_lo, s15
	s_delay_alu instid0(SALU_CYCLE_1)
	s_mov_b32 s15, exec_lo
	v_cmpx_gt_u32_e64 s42, v72
	s_cbranch_execz .LBB428_78
.LBB428_180:                            ;   in Loop: Header=BB428_72 Depth=2
	global_load_u8 v27, v[20:21], off offset:64
	s_wait_alu 0xfffe
	s_or_b32 exec_lo, exec_lo, s15
	s_delay_alu instid0(SALU_CYCLE_1)
	s_mov_b32 s15, exec_lo
	v_cmpx_gt_u32_e64 s42, v73
	s_cbranch_execz .LBB428_79
.LBB428_181:                            ;   in Loop: Header=BB428_72 Depth=2
	global_load_u8 v26, v[20:21], off offset:96
	s_wait_alu 0xfffe
	s_or_b32 exec_lo, exec_lo, s15
	s_delay_alu instid0(SALU_CYCLE_1)
	s_mov_b32 s15, exec_lo
	v_cmpx_gt_u32_e64 s42, v74
	s_cbranch_execz .LBB428_80
.LBB428_182:                            ;   in Loop: Header=BB428_72 Depth=2
	global_load_u8 v25, v[20:21], off offset:128
	s_wait_alu 0xfffe
	s_or_b32 exec_lo, exec_lo, s15
	s_delay_alu instid0(SALU_CYCLE_1)
	s_mov_b32 s15, exec_lo
	v_cmpx_gt_u32_e64 s42, v75
	s_cbranch_execz .LBB428_81
.LBB428_183:                            ;   in Loop: Header=BB428_72 Depth=2
	global_load_u8 v24, v[20:21], off offset:160
	s_wait_alu 0xfffe
	s_or_b32 exec_lo, exec_lo, s15
	s_delay_alu instid0(SALU_CYCLE_1)
	s_mov_b32 s15, exec_lo
	v_cmpx_gt_u32_e64 s42, v76
	s_cbranch_execnz .LBB428_82
	s_branch .LBB428_83
.LBB428_184:                            ;   in Loop: Header=BB428_20 Depth=1
	s_wait_loadcnt_dscnt 0x0
	s_barrier_signal -1
	s_mov_b32 s0, 0
	s_barrier_wait -1
.LBB428_185:                            ;   in Loop: Header=BB428_20 Depth=1
	s_wait_alu 0xfffe
	s_and_b32 vcc_lo, exec_lo, s0
	s_wait_alu 0xfffe
	s_cbranch_vccz .LBB428_349
; %bb.186:                              ;   in Loop: Header=BB428_20 Depth=1
	v_dual_mov_b32 v7, 0 :: v_dual_mov_b32 v10, 0
	v_dual_mov_b32 v9, 0 :: v_dual_mov_b32 v8, 0
	;; [unrolled: 1-line block ×3, first 2 shown]
	v_mov_b32_e32 v4, 0
	v_mov_b32_e32 v2, 0
	s_mov_b32 s9, s47
	s_mov_b32 s22, s33
	s_barrier_signal -1
	s_barrier_wait -1
	global_inv scope:SCOPE_SE
	s_branch .LBB428_188
.LBB428_187:                            ;   in Loop: Header=BB428_188 Depth=2
	s_wait_alu 0xfffe
	s_or_b32 exec_lo, exec_lo, s0
	s_addk_co_i32 s9, 0xf800
	s_cmp_ge_u32 s10, s34
	s_mov_b32 s22, s10
	s_cbranch_scc1 .LBB428_224
.LBB428_188:                            ;   Parent Loop BB428_20 Depth=1
                                        ; =>  This Inner Loop Header: Depth=2
	s_wait_alu 0xfffe
	s_add_co_i32 s10, s22, 0x800
	s_mov_b32 s0, -1
	s_wait_alu 0xfffe
	s_cmp_gt_u32 s10, s34
                                        ; implicit-def: $vgpr11
                                        ; implicit-def: $vgpr12
                                        ; implicit-def: $vgpr13
                                        ; implicit-def: $vgpr14
                                        ; implicit-def: $vgpr15
                                        ; implicit-def: $vgpr16
                                        ; implicit-def: $vgpr17
                                        ; implicit-def: $vgpr18
	s_cbranch_scc1 .LBB428_190
; %bb.189:                              ;   in Loop: Header=BB428_188 Depth=2
	v_add_co_u32 v19, vcc_lo, v48, s22
	s_wait_alu 0xfffd
	v_add_co_ci_u32_e64 v20, null, 0, v49, vcc_lo
	s_mov_b32 s0, 0
	s_clause 0x7
	global_load_u8 v18, v[19:20], off offset:1792
	global_load_u8 v17, v[19:20], off offset:1536
	;; [unrolled: 1-line block ×7, first 2 shown]
	global_load_u8 v11, v[19:20], off
.LBB428_190:                            ;   in Loop: Header=BB428_188 Depth=2
	s_wait_alu 0xfffe
	s_and_not1_b32 vcc_lo, exec_lo, s0
	s_movk_i32 s0, 0x800
	s_wait_alu 0xfffe
	s_cbranch_vccnz .LBB428_201
; %bb.191:                              ;   in Loop: Header=BB428_188 Depth=2
	s_add_nc_u64 s[0:1], s[38:39], s[22:23]
	s_mov_b32 s11, exec_lo
	v_cmpx_gt_u32_e64 s9, v1
	s_cbranch_execnz .LBB428_217
; %bb.192:                              ;   in Loop: Header=BB428_188 Depth=2
	s_wait_alu 0xfffe
	s_or_b32 exec_lo, exec_lo, s11
	s_delay_alu instid0(SALU_CYCLE_1)
	s_mov_b32 s11, exec_lo
	v_cmpx_gt_u32_e64 s9, v29
	s_cbranch_execnz .LBB428_218
.LBB428_193:                            ;   in Loop: Header=BB428_188 Depth=2
	s_wait_alu 0xfffe
	s_or_b32 exec_lo, exec_lo, s11
	s_delay_alu instid0(SALU_CYCLE_1)
	s_mov_b32 s11, exec_lo
	v_cmpx_gt_u32_e64 s9, v30
	s_cbranch_execnz .LBB428_219
.LBB428_194:                            ;   in Loop: Header=BB428_188 Depth=2
	s_wait_alu 0xfffe
	s_or_b32 exec_lo, exec_lo, s11
	s_delay_alu instid0(SALU_CYCLE_1)
	s_mov_b32 s11, exec_lo
	v_cmpx_gt_u32_e64 s9, v31
	s_cbranch_execnz .LBB428_220
.LBB428_195:                            ;   in Loop: Header=BB428_188 Depth=2
	s_wait_alu 0xfffe
	s_or_b32 exec_lo, exec_lo, s11
	s_delay_alu instid0(SALU_CYCLE_1)
	s_mov_b32 s11, exec_lo
	v_cmpx_gt_u32_e64 s9, v34
	s_cbranch_execnz .LBB428_221
.LBB428_196:                            ;   in Loop: Header=BB428_188 Depth=2
	s_wait_alu 0xfffe
	s_or_b32 exec_lo, exec_lo, s11
	s_delay_alu instid0(SALU_CYCLE_1)
	s_mov_b32 s11, exec_lo
	v_cmpx_gt_u32_e64 s9, v35
	s_cbranch_execnz .LBB428_222
.LBB428_197:                            ;   in Loop: Header=BB428_188 Depth=2
	s_wait_alu 0xfffe
	s_or_b32 exec_lo, exec_lo, s11
	s_delay_alu instid0(SALU_CYCLE_1)
	s_mov_b32 s11, exec_lo
	v_cmpx_gt_u32_e64 s9, v36
	s_cbranch_execnz .LBB428_223
.LBB428_198:                            ;   in Loop: Header=BB428_188 Depth=2
	s_wait_alu 0xfffe
	s_or_b32 exec_lo, exec_lo, s11
	s_delay_alu instid0(SALU_CYCLE_1)
	s_mov_b32 s11, exec_lo
	v_cmpx_gt_u32_e64 s9, v37
	s_cbranch_execz .LBB428_200
.LBB428_199:                            ;   in Loop: Header=BB428_188 Depth=2
	s_wait_loadcnt 0x0
	v_add_co_u32 v11, s0, s0, v1
	s_wait_alu 0xf1ff
	v_add_co_ci_u32_e64 v12, null, s1, 0, s0
	global_load_u8 v2, v[11:12], off offset:1792
.LBB428_200:                            ;   in Loop: Header=BB428_188 Depth=2
	s_wait_alu 0xfffe
	s_or_b32 exec_lo, exec_lo, s11
	s_wait_loadcnt 0x0
	v_dual_mov_b32 v11, v7 :: v_dual_mov_b32 v12, v10
	v_dual_mov_b32 v13, v9 :: v_dual_mov_b32 v14, v8
	;; [unrolled: 1-line block ×4, first 2 shown]
	s_mov_b32 s0, s9
.LBB428_201:                            ;   in Loop: Header=BB428_188 Depth=2
	s_wait_loadcnt 0x5
	s_delay_alu instid0(VALU_DEP_1)
	v_dual_mov_b32 v2, v18 :: v_dual_mov_b32 v5, v16
	s_wait_loadcnt 0x2
	v_dual_mov_b32 v4, v17 :: v_dual_mov_b32 v9, v13
	s_wait_loadcnt 0x0
	v_dual_mov_b32 v6, v15 :: v_dual_mov_b32 v7, v11
	v_mov_b32_e32 v8, v14
	v_mov_b32_e32 v10, v12
	s_mov_b32 s1, exec_lo
	s_wait_alu 0xfffe
	v_cmpx_gt_u32_e64 s0, v1
	s_cbranch_execnz .LBB428_209
; %bb.202:                              ;   in Loop: Header=BB428_188 Depth=2
	s_or_b32 exec_lo, exec_lo, s1
	s_delay_alu instid0(SALU_CYCLE_1)
	s_mov_b32 s1, exec_lo
	v_cmpx_gt_u32_e64 s0, v29
	s_cbranch_execnz .LBB428_210
.LBB428_203:                            ;   in Loop: Header=BB428_188 Depth=2
	s_wait_alu 0xfffe
	s_or_b32 exec_lo, exec_lo, s1
	s_delay_alu instid0(SALU_CYCLE_1)
	s_mov_b32 s1, exec_lo
	v_cmpx_gt_u32_e64 s0, v30
	s_cbranch_execnz .LBB428_211
.LBB428_204:                            ;   in Loop: Header=BB428_188 Depth=2
	s_wait_alu 0xfffe
	s_or_b32 exec_lo, exec_lo, s1
	s_delay_alu instid0(SALU_CYCLE_1)
	s_mov_b32 s1, exec_lo
	v_cmpx_gt_u32_e64 s0, v31
	s_cbranch_execnz .LBB428_212
.LBB428_205:                            ;   in Loop: Header=BB428_188 Depth=2
	s_wait_alu 0xfffe
	s_or_b32 exec_lo, exec_lo, s1
	s_delay_alu instid0(SALU_CYCLE_1)
	s_mov_b32 s1, exec_lo
	v_cmpx_gt_u32_e64 s0, v34
	s_cbranch_execnz .LBB428_213
.LBB428_206:                            ;   in Loop: Header=BB428_188 Depth=2
	s_wait_alu 0xfffe
	s_or_b32 exec_lo, exec_lo, s1
	s_delay_alu instid0(SALU_CYCLE_1)
	s_mov_b32 s1, exec_lo
	v_cmpx_gt_u32_e64 s0, v35
	s_cbranch_execnz .LBB428_214
.LBB428_207:                            ;   in Loop: Header=BB428_188 Depth=2
	s_wait_alu 0xfffe
	s_or_b32 exec_lo, exec_lo, s1
	s_delay_alu instid0(SALU_CYCLE_1)
	s_mov_b32 s1, exec_lo
	v_cmpx_gt_u32_e64 s0, v36
	s_cbranch_execnz .LBB428_215
.LBB428_208:                            ;   in Loop: Header=BB428_188 Depth=2
	s_wait_alu 0xfffe
	s_or_b32 exec_lo, exec_lo, s1
	v_cmp_gt_u32_e32 vcc_lo, s0, v37
	s_and_saveexec_b32 s0, vcc_lo
	s_cbranch_execz .LBB428_187
	s_branch .LBB428_216
.LBB428_209:                            ;   in Loop: Header=BB428_188 Depth=2
	v_xor_b32_e32 v11, 0x80, v7
	s_delay_alu instid0(VALU_DEP_1) | instskip(NEXT) | instid1(VALU_DEP_1)
	v_and_b32_e32 v11, 0xff, v11
	v_lshrrev_b32_e32 v11, s30, v11
	s_delay_alu instid0(VALU_DEP_1) | instskip(NEXT) | instid1(VALU_DEP_1)
	v_and_b32_e32 v11, s31, v11
	v_lshl_or_b32 v11, v11, 4, v39
	ds_add_u32 v11, v61
	s_or_b32 exec_lo, exec_lo, s1
	s_delay_alu instid0(SALU_CYCLE_1)
	s_mov_b32 s1, exec_lo
	v_cmpx_gt_u32_e64 s0, v29
	s_cbranch_execz .LBB428_203
.LBB428_210:                            ;   in Loop: Header=BB428_188 Depth=2
	v_xor_b32_e32 v11, 0x80, v10
	s_delay_alu instid0(VALU_DEP_1) | instskip(NEXT) | instid1(VALU_DEP_1)
	v_and_b32_e32 v11, 0xff, v11
	v_lshrrev_b32_e32 v11, s30, v11
	s_delay_alu instid0(VALU_DEP_1) | instskip(NEXT) | instid1(VALU_DEP_1)
	v_and_b32_e32 v11, s31, v11
	v_lshl_or_b32 v11, v11, 4, v39
	ds_add_u32 v11, v61
	s_wait_alu 0xfffe
	s_or_b32 exec_lo, exec_lo, s1
	s_delay_alu instid0(SALU_CYCLE_1)
	s_mov_b32 s1, exec_lo
	v_cmpx_gt_u32_e64 s0, v30
	s_cbranch_execz .LBB428_204
.LBB428_211:                            ;   in Loop: Header=BB428_188 Depth=2
	v_xor_b32_e32 v11, 0x80, v9
	s_delay_alu instid0(VALU_DEP_1) | instskip(NEXT) | instid1(VALU_DEP_1)
	v_and_b32_e32 v11, 0xff, v11
	v_lshrrev_b32_e32 v11, s30, v11
	s_delay_alu instid0(VALU_DEP_1) | instskip(NEXT) | instid1(VALU_DEP_1)
	v_and_b32_e32 v11, s31, v11
	v_lshl_or_b32 v11, v11, 4, v39
	ds_add_u32 v11, v61
	s_wait_alu 0xfffe
	s_or_b32 exec_lo, exec_lo, s1
	s_delay_alu instid0(SALU_CYCLE_1)
	s_mov_b32 s1, exec_lo
	v_cmpx_gt_u32_e64 s0, v31
	s_cbranch_execz .LBB428_205
.LBB428_212:                            ;   in Loop: Header=BB428_188 Depth=2
	v_xor_b32_e32 v11, 0x80, v8
	s_delay_alu instid0(VALU_DEP_1) | instskip(NEXT) | instid1(VALU_DEP_1)
	v_and_b32_e32 v11, 0xff, v11
	v_lshrrev_b32_e32 v11, s30, v11
	s_delay_alu instid0(VALU_DEP_1) | instskip(NEXT) | instid1(VALU_DEP_1)
	v_and_b32_e32 v11, s31, v11
	v_lshl_or_b32 v11, v11, 4, v39
	ds_add_u32 v11, v61
	s_wait_alu 0xfffe
	s_or_b32 exec_lo, exec_lo, s1
	s_delay_alu instid0(SALU_CYCLE_1)
	s_mov_b32 s1, exec_lo
	v_cmpx_gt_u32_e64 s0, v34
	s_cbranch_execz .LBB428_206
.LBB428_213:                            ;   in Loop: Header=BB428_188 Depth=2
	v_xor_b32_e32 v11, 0x80, v6
	s_delay_alu instid0(VALU_DEP_1) | instskip(NEXT) | instid1(VALU_DEP_1)
	v_and_b32_e32 v11, 0xff, v11
	v_lshrrev_b32_e32 v11, s30, v11
	s_delay_alu instid0(VALU_DEP_1) | instskip(NEXT) | instid1(VALU_DEP_1)
	v_and_b32_e32 v11, s31, v11
	v_lshl_or_b32 v11, v11, 4, v39
	ds_add_u32 v11, v61
	s_wait_alu 0xfffe
	s_or_b32 exec_lo, exec_lo, s1
	s_delay_alu instid0(SALU_CYCLE_1)
	s_mov_b32 s1, exec_lo
	v_cmpx_gt_u32_e64 s0, v35
	s_cbranch_execz .LBB428_207
.LBB428_214:                            ;   in Loop: Header=BB428_188 Depth=2
	v_xor_b32_e32 v11, 0x80, v5
	s_delay_alu instid0(VALU_DEP_1) | instskip(NEXT) | instid1(VALU_DEP_1)
	v_and_b32_e32 v11, 0xff, v11
	v_lshrrev_b32_e32 v11, s30, v11
	s_delay_alu instid0(VALU_DEP_1) | instskip(NEXT) | instid1(VALU_DEP_1)
	v_and_b32_e32 v11, s31, v11
	v_lshl_or_b32 v11, v11, 4, v39
	ds_add_u32 v11, v61
	s_wait_alu 0xfffe
	s_or_b32 exec_lo, exec_lo, s1
	s_delay_alu instid0(SALU_CYCLE_1)
	s_mov_b32 s1, exec_lo
	v_cmpx_gt_u32_e64 s0, v36
	s_cbranch_execz .LBB428_208
.LBB428_215:                            ;   in Loop: Header=BB428_188 Depth=2
	v_xor_b32_e32 v11, 0x80, v4
	s_delay_alu instid0(VALU_DEP_1) | instskip(NEXT) | instid1(VALU_DEP_1)
	v_and_b32_e32 v11, 0xff, v11
	v_lshrrev_b32_e32 v11, s30, v11
	s_delay_alu instid0(VALU_DEP_1) | instskip(NEXT) | instid1(VALU_DEP_1)
	v_and_b32_e32 v11, s31, v11
	v_lshl_or_b32 v11, v11, 4, v39
	ds_add_u32 v11, v61
	s_wait_alu 0xfffe
	s_or_b32 exec_lo, exec_lo, s1
	v_cmp_gt_u32_e32 vcc_lo, s0, v37
	s_and_saveexec_b32 s0, vcc_lo
	s_cbranch_execz .LBB428_187
.LBB428_216:                            ;   in Loop: Header=BB428_188 Depth=2
	v_xor_b32_e32 v11, 0x80, v2
	s_delay_alu instid0(VALU_DEP_1) | instskip(NEXT) | instid1(VALU_DEP_1)
	v_and_b32_e32 v11, 0xff, v11
	v_lshrrev_b32_e32 v11, s30, v11
	s_delay_alu instid0(VALU_DEP_1) | instskip(NEXT) | instid1(VALU_DEP_1)
	v_and_b32_e32 v11, s31, v11
	v_lshl_or_b32 v11, v11, 4, v39
	ds_add_u32 v11, v61
	s_branch .LBB428_187
.LBB428_217:                            ;   in Loop: Header=BB428_188 Depth=2
	s_wait_loadcnt 0x0
	s_wait_alu 0xfffe
	v_add_co_u32 v11, s12, s0, v1
	s_wait_alu 0xf1ff
	v_add_co_ci_u32_e64 v12, null, s1, 0, s12
	global_load_u8 v7, v[11:12], off
	s_or_b32 exec_lo, exec_lo, s11
	s_delay_alu instid0(SALU_CYCLE_1)
	s_mov_b32 s11, exec_lo
	v_cmpx_gt_u32_e64 s9, v29
	s_cbranch_execz .LBB428_193
.LBB428_218:                            ;   in Loop: Header=BB428_188 Depth=2
	v_add_co_u32 v10, s12, s0, v1
	s_wait_loadcnt 0x0
	s_wait_alu 0xf1ff
	v_add_co_ci_u32_e64 v11, null, s1, 0, s12
	global_load_u8 v10, v[10:11], off offset:256
	s_wait_alu 0xfffe
	s_or_b32 exec_lo, exec_lo, s11
	s_delay_alu instid0(SALU_CYCLE_1)
	s_mov_b32 s11, exec_lo
	v_cmpx_gt_u32_e64 s9, v30
	s_cbranch_execz .LBB428_194
.LBB428_219:                            ;   in Loop: Header=BB428_188 Depth=2
	s_wait_loadcnt 0x0
	v_add_co_u32 v11, s12, s0, v1
	s_wait_alu 0xf1ff
	v_add_co_ci_u32_e64 v12, null, s1, 0, s12
	global_load_u8 v9, v[11:12], off offset:512
	s_wait_alu 0xfffe
	s_or_b32 exec_lo, exec_lo, s11
	s_delay_alu instid0(SALU_CYCLE_1)
	s_mov_b32 s11, exec_lo
	v_cmpx_gt_u32_e64 s9, v31
	s_cbranch_execz .LBB428_195
.LBB428_220:                            ;   in Loop: Header=BB428_188 Depth=2
	s_wait_loadcnt 0x0
	v_add_co_u32 v11, s12, s0, v1
	s_wait_alu 0xf1ff
	v_add_co_ci_u32_e64 v12, null, s1, 0, s12
	global_load_u8 v8, v[11:12], off offset:768
	s_wait_alu 0xfffe
	s_or_b32 exec_lo, exec_lo, s11
	s_delay_alu instid0(SALU_CYCLE_1)
	s_mov_b32 s11, exec_lo
	v_cmpx_gt_u32_e64 s9, v34
	s_cbranch_execz .LBB428_196
.LBB428_221:                            ;   in Loop: Header=BB428_188 Depth=2
	s_wait_loadcnt 0x0
	v_add_co_u32 v11, s12, s0, v1
	s_wait_alu 0xf1ff
	v_add_co_ci_u32_e64 v12, null, s1, 0, s12
	global_load_u8 v6, v[11:12], off offset:1024
	s_wait_alu 0xfffe
	s_or_b32 exec_lo, exec_lo, s11
	s_delay_alu instid0(SALU_CYCLE_1)
	s_mov_b32 s11, exec_lo
	v_cmpx_gt_u32_e64 s9, v35
	s_cbranch_execz .LBB428_197
.LBB428_222:                            ;   in Loop: Header=BB428_188 Depth=2
	s_wait_loadcnt 0x0
	v_add_co_u32 v11, s12, s0, v1
	s_wait_alu 0xf1ff
	v_add_co_ci_u32_e64 v12, null, s1, 0, s12
	global_load_u8 v5, v[11:12], off offset:1280
	s_wait_alu 0xfffe
	s_or_b32 exec_lo, exec_lo, s11
	s_delay_alu instid0(SALU_CYCLE_1)
	s_mov_b32 s11, exec_lo
	v_cmpx_gt_u32_e64 s9, v36
	s_cbranch_execz .LBB428_198
.LBB428_223:                            ;   in Loop: Header=BB428_188 Depth=2
	s_wait_loadcnt 0x0
	v_add_co_u32 v11, s12, s0, v1
	s_wait_alu 0xf1ff
	v_add_co_ci_u32_e64 v12, null, s1, 0, s12
	global_load_u8 v4, v[11:12], off offset:1536
	s_wait_alu 0xfffe
	s_or_b32 exec_lo, exec_lo, s11
	s_delay_alu instid0(SALU_CYCLE_1)
	s_mov_b32 s11, exec_lo
	v_cmpx_gt_u32_e64 s9, v37
	s_cbranch_execnz .LBB428_199
	s_branch .LBB428_200
.LBB428_224:                            ;   in Loop: Header=BB428_20 Depth=1
	v_mov_b32_e32 v2, 0
	s_wait_dscnt 0x0
	s_barrier_signal -1
	s_barrier_wait -1
	global_inv scope:SCOPE_SE
	s_and_saveexec_b32 s0, s2
	s_cbranch_execz .LBB428_226
; %bb.225:                              ;   in Loop: Header=BB428_20 Depth=1
	ds_load_2addr_b64 v[4:7], v40 offset1:1
	s_wait_dscnt 0x0
	v_add_nc_u32_e32 v2, v5, v4
	s_delay_alu instid0(VALU_DEP_1)
	v_add3_u32 v2, v2, v6, v7
.LBB428_226:                            ;   in Loop: Header=BB428_20 Depth=1
	s_wait_alu 0xfffe
	s_or_b32 exec_lo, exec_lo, s0
	s_delay_alu instid0(VALU_DEP_1)
	v_mov_b32_dpp v4, v2 row_shr:1 row_mask:0xf bank_mask:0xf
	v_cmp_eq_u32_e64 s0, 0, v62
	v_cmp_lt_u32_e64 s1, 1, v62
	v_cmp_lt_u32_e64 s9, 3, v62
	;; [unrolled: 1-line block ×3, first 2 shown]
	v_cmp_eq_u32_e64 s11, 0, v64
	s_wait_alu 0xf1ff
	v_cndmask_b32_e64 v4, v4, 0, s0
	s_delay_alu instid0(VALU_DEP_1) | instskip(NEXT) | instid1(VALU_DEP_1)
	v_add_nc_u32_e32 v2, v4, v2
	v_mov_b32_dpp v4, v2 row_shr:2 row_mask:0xf bank_mask:0xf
	s_delay_alu instid0(VALU_DEP_1) | instskip(NEXT) | instid1(VALU_DEP_1)
	v_cndmask_b32_e64 v4, 0, v4, s1
	v_add_nc_u32_e32 v2, v2, v4
	s_delay_alu instid0(VALU_DEP_1) | instskip(NEXT) | instid1(VALU_DEP_1)
	v_mov_b32_dpp v4, v2 row_shr:4 row_mask:0xf bank_mask:0xf
	v_cndmask_b32_e64 v4, 0, v4, s9
	s_delay_alu instid0(VALU_DEP_1) | instskip(NEXT) | instid1(VALU_DEP_1)
	v_add_nc_u32_e32 v2, v2, v4
	v_mov_b32_dpp v4, v2 row_shr:8 row_mask:0xf bank_mask:0xf
	s_delay_alu instid0(VALU_DEP_1) | instskip(NEXT) | instid1(VALU_DEP_1)
	v_cndmask_b32_e64 v4, 0, v4, s10
	v_add_nc_u32_e32 v2, v2, v4
	ds_swizzle_b32 v4, v2 offset:swizzle(BROADCAST,32,15)
	s_wait_dscnt 0x0
	v_and_b32_e32 v4, v63, v4
	s_delay_alu instid0(VALU_DEP_1)
	v_add_nc_u32_e32 v2, v2, v4
	s_and_saveexec_b32 s12, s3
; %bb.227:                              ;   in Loop: Header=BB428_20 Depth=1
	ds_store_b32 v41, v2
; %bb.228:                              ;   in Loop: Header=BB428_20 Depth=1
	s_wait_alu 0xfffe
	s_or_b32 exec_lo, exec_lo, s12
	s_wait_loadcnt_dscnt 0x0
	s_barrier_signal -1
	s_barrier_wait -1
	global_inv scope:SCOPE_SE
	s_and_saveexec_b32 s12, s4
	s_cbranch_execz .LBB428_230
; %bb.229:                              ;   in Loop: Header=BB428_20 Depth=1
	ds_load_b32 v4, v42
	v_cmp_ne_u32_e32 vcc_lo, 0, v65
	s_wait_dscnt 0x0
	v_mov_b32_dpp v5, v4 row_shr:1 row_mask:0xf bank_mask:0xf
	s_wait_alu 0xfffd
	s_delay_alu instid0(VALU_DEP_1) | instskip(SKIP_1) | instid1(VALU_DEP_2)
	v_cndmask_b32_e32 v5, 0, v5, vcc_lo
	v_cmp_lt_u32_e32 vcc_lo, 1, v65
	v_add_nc_u32_e32 v4, v5, v4
	s_delay_alu instid0(VALU_DEP_1) | instskip(SKIP_1) | instid1(VALU_DEP_1)
	v_mov_b32_dpp v5, v4 row_shr:2 row_mask:0xf bank_mask:0xf
	s_wait_alu 0xfffd
	v_cndmask_b32_e32 v5, 0, v5, vcc_lo
	v_cmp_lt_u32_e32 vcc_lo, 3, v65
	s_delay_alu instid0(VALU_DEP_2) | instskip(NEXT) | instid1(VALU_DEP_1)
	v_add_nc_u32_e32 v4, v4, v5
	v_mov_b32_dpp v5, v4 row_shr:4 row_mask:0xf bank_mask:0xf
	s_wait_alu 0xfffd
	s_delay_alu instid0(VALU_DEP_1) | instskip(NEXT) | instid1(VALU_DEP_1)
	v_cndmask_b32_e32 v5, 0, v5, vcc_lo
	v_add_nc_u32_e32 v4, v4, v5
	ds_store_b32 v42, v4
.LBB428_230:                            ;   in Loop: Header=BB428_20 Depth=1
	s_wait_alu 0xfffe
	s_or_b32 exec_lo, exec_lo, s12
	v_mov_b32_e32 v4, 0
	s_wait_loadcnt_dscnt 0x0
	s_barrier_signal -1
	s_barrier_wait -1
	global_inv scope:SCOPE_SE
	s_and_saveexec_b32 s12, s5
; %bb.231:                              ;   in Loop: Header=BB428_20 Depth=1
	ds_load_b32 v4, v43
; %bb.232:                              ;   in Loop: Header=BB428_20 Depth=1
	s_wait_alu 0xfffe
	s_or_b32 exec_lo, exec_lo, s12
	v_cmp_gt_i32_e32 vcc_lo, 0, v67
	s_wait_dscnt 0x0
	v_add_nc_u32_e32 v2, v4, v2
	s_wait_loadcnt 0x0
	s_barrier_signal -1
	s_barrier_wait -1
	s_wait_alu 0xfffd
	v_cndmask_b32_e32 v5, v67, v58, vcc_lo
	global_inv scope:SCOPE_SE
	v_lshlrev_b32_e32 v80, 2, v5
	ds_bpermute_b32 v2, v80, v2
	s_and_saveexec_b32 s12, s2
	s_cbranch_execz .LBB428_234
; %bb.233:                              ;   in Loop: Header=BB428_20 Depth=1
	s_wait_dscnt 0x0
	v_cndmask_b32_e64 v2, v2, v4, s8
	s_delay_alu instid0(VALU_DEP_1)
	v_add_nc_u32_e32 v2, s33, v2
	ds_store_b32 v28, v2
.LBB428_234:                            ;   in Loop: Header=BB428_20 Depth=1
	s_wait_alu 0xfffe
	s_or_b32 exec_lo, exec_lo, s12
	s_load_b64 s[12:13], s[28:29], 0x0
	v_add_co_u32 v81, vcc_lo, v50, v66
	s_wait_alu 0xfffd
	v_add_co_ci_u32_e64 v82, null, 0, v51, vcc_lo
	v_add_co_u32 v83, vcc_lo, v52, v58
	s_wait_alu 0xfffd
	v_add_co_ci_u32_e64 v84, null, 0, v53, vcc_lo
	s_mov_b32 s42, s47
                                        ; implicit-def: $vgpr6_vgpr7
                                        ; implicit-def: $vgpr8_vgpr9
                                        ; implicit-def: $vgpr10_vgpr11
                                        ; implicit-def: $vgpr12_vgpr13
                                        ; implicit-def: $vgpr14_vgpr15
                                        ; implicit-def: $vgpr16_vgpr17
                                        ; implicit-def: $vgpr18_vgpr19
                                        ; implicit-def: $vgpr86
                                        ; implicit-def: $vgpr87
                                        ; implicit-def: $vgpr88
                                        ; implicit-def: $vgpr89
                                        ; implicit-def: $vgpr90
                                        ; implicit-def: $vgpr91
                                        ; implicit-def: $vgpr92
                                        ; implicit-def: $vgpr93
	s_wait_kmcnt 0x0
	s_cmp_lt_u32 ttmp7, s13
	s_cselect_b32 s22, 14, 20
	s_cmp_lt_u32 ttmp9, s12
	s_wait_alu 0xfffe
	s_add_nc_u64 s[14:15], s[28:29], s[22:23]
	s_cselect_b32 s22, 12, 18
	s_load_u16 s14, s[14:15], 0x0
	s_add_nc_u64 s[12:13], s[28:29], s[22:23]
	s_mov_b32 s22, s33
	s_load_u16 s12, s[12:13], 0x0
	v_cmp_lt_u32_e64 s13, 1, v65
	s_wait_dscnt 0x0
	s_wait_kmcnt 0x0
	v_mad_u32_u24 v2, v44, s14, v0
	v_cmp_lt_u32_e64 s14, 3, v65
	s_delay_alu instid0(VALU_DEP_2) | instskip(SKIP_1) | instid1(VALU_DEP_2)
	v_mad_co_u64_u32 v[4:5], null, v2, s12, v[1:2]
	v_cmp_eq_u32_e64 s12, 0, v65
	v_lshrrev_b32_e32 v2, 3, v4
                                        ; implicit-def: $vgpr4_vgpr5
	s_delay_alu instid0(VALU_DEP_1)
	v_and_b32_e32 v85, 0x1ffffffc, v2
	s_branch .LBB428_236
.LBB428_235:                            ;   in Loop: Header=BB428_236 Depth=2
	s_wait_alu 0xfffe
	s_or_b32 exec_lo, exec_lo, s15
	s_addk_co_i32 s42, 0xf800
	s_cmp_lt_u32 s43, s34
	s_mov_b32 s22, s43
	s_cbranch_scc0 .LBB428_348
.LBB428_236:                            ;   Parent Loop BB428_20 Depth=1
                                        ; =>  This Inner Loop Header: Depth=2
	s_wait_alu 0xfffe
	s_add_co_i32 s43, s22, 0x800
	s_wait_alu 0xfffe
	s_cmp_gt_u32 s43, s34
	s_cbranch_scc1 .LBB428_238
; %bb.237:                              ;   in Loop: Header=BB428_236 Depth=2
	v_add_co_u32 v20, vcc_lo, v83, s22
	s_wait_alu 0xfffd
	v_add_co_ci_u32_e64 v21, null, 0, v84, vcc_lo
	s_mov_b32 s15, -1
	s_clause 0x6
	global_load_u8 v23, v[20:21], off offset:192
	global_load_u8 v24, v[20:21], off offset:160
	global_load_u8 v25, v[20:21], off offset:128
	global_load_u8 v26, v[20:21], off offset:96
	global_load_u8 v27, v[20:21], off offset:64
	global_load_u8 v96, v[20:21], off offset:32
	global_load_u8 v94, v[20:21], off
	s_movk_i32 s16, 0x800
                                        ; implicit-def: $vgpr22
	s_cbranch_execz .LBB428_239
	s_branch .LBB428_248
.LBB428_238:                            ;   in Loop: Header=BB428_236 Depth=2
	s_mov_b32 s15, 0
                                        ; implicit-def: $vgpr94
                                        ; implicit-def: $vgpr96
                                        ; implicit-def: $vgpr27
                                        ; implicit-def: $vgpr26
                                        ; implicit-def: $vgpr25
                                        ; implicit-def: $vgpr24
                                        ; implicit-def: $vgpr23
	s_movk_i32 s16, 0x800
                                        ; implicit-def: $vgpr22
.LBB428_239:                            ;   in Loop: Header=BB428_236 Depth=2
	v_add_co_u32 v20, vcc_lo, v83, s22
	s_wait_alu 0xfffd
	v_add_co_ci_u32_e64 v21, null, 0, v84, vcc_lo
	s_wait_loadcnt 0x2
	v_dual_mov_b32 v22, 0x7f :: v_dual_mov_b32 v27, 0x7f
	s_wait_loadcnt 0x0
	v_dual_mov_b32 v94, 0x7f :: v_dual_mov_b32 v25, 0x7f
	v_dual_mov_b32 v96, 0x7f :: v_dual_mov_b32 v23, 0x7f
	v_mov_b32_e32 v26, 0x7f
	v_mov_b32_e32 v24, 0x7f
	s_mov_b32 s15, exec_lo
	v_cmpx_gt_u32_e64 s42, v68
	s_cbranch_execnz .LBB428_342
; %bb.240:                              ;   in Loop: Header=BB428_236 Depth=2
	s_wait_alu 0xfffe
	s_or_b32 exec_lo, exec_lo, s15
	s_delay_alu instid0(SALU_CYCLE_1)
	s_mov_b32 s15, exec_lo
	v_cmpx_gt_u32_e64 s42, v71
	s_cbranch_execnz .LBB428_343
.LBB428_241:                            ;   in Loop: Header=BB428_236 Depth=2
	s_wait_alu 0xfffe
	s_or_b32 exec_lo, exec_lo, s15
	s_delay_alu instid0(SALU_CYCLE_1)
	s_mov_b32 s15, exec_lo
	v_cmpx_gt_u32_e64 s42, v72
	s_cbranch_execnz .LBB428_344
.LBB428_242:                            ;   in Loop: Header=BB428_236 Depth=2
	s_wait_alu 0xfffe
	s_or_b32 exec_lo, exec_lo, s15
	s_delay_alu instid0(SALU_CYCLE_1)
	s_mov_b32 s15, exec_lo
	v_cmpx_gt_u32_e64 s42, v73
	s_cbranch_execnz .LBB428_345
.LBB428_243:                            ;   in Loop: Header=BB428_236 Depth=2
	s_wait_alu 0xfffe
	s_or_b32 exec_lo, exec_lo, s15
	s_delay_alu instid0(SALU_CYCLE_1)
	s_mov_b32 s15, exec_lo
	v_cmpx_gt_u32_e64 s42, v74
	s_cbranch_execnz .LBB428_346
.LBB428_244:                            ;   in Loop: Header=BB428_236 Depth=2
	s_wait_alu 0xfffe
	s_or_b32 exec_lo, exec_lo, s15
	s_delay_alu instid0(SALU_CYCLE_1)
	s_mov_b32 s15, exec_lo
	v_cmpx_gt_u32_e64 s42, v75
	s_cbranch_execnz .LBB428_347
.LBB428_245:                            ;   in Loop: Header=BB428_236 Depth=2
	s_wait_alu 0xfffe
	s_or_b32 exec_lo, exec_lo, s15
	s_delay_alu instid0(SALU_CYCLE_1)
	s_mov_b32 s15, exec_lo
	v_cmpx_gt_u32_e64 s42, v76
	s_cbranch_execz .LBB428_247
.LBB428_246:                            ;   in Loop: Header=BB428_236 Depth=2
	global_load_u8 v23, v[20:21], off offset:192
.LBB428_247:                            ;   in Loop: Header=BB428_236 Depth=2
	s_wait_alu 0xfffe
	s_or_b32 exec_lo, exec_lo, s15
	v_cmp_gt_u32_e64 s15, s42, v77
	s_sub_co_i32 s16, s34, s22
.LBB428_248:                            ;   in Loop: Header=BB428_236 Depth=2
	v_mov_b32_e32 v2, s42
	s_wait_alu 0xfffe
	s_and_saveexec_b32 s17, s15
	s_cbranch_execz .LBB428_250
; %bb.249:                              ;   in Loop: Header=BB428_236 Depth=2
	v_add_co_u32 v20, vcc_lo, v83, s22
	s_wait_alu 0xfffd
	v_add_co_ci_u32_e64 v21, null, s23, v84, vcc_lo
	v_mov_b32_e32 v2, s16
	global_load_u8 v22, v[20:21], off offset:224
.LBB428_250:                            ;   in Loop: Header=BB428_236 Depth=2
	s_wait_alu 0xfffe
	s_or_b32 exec_lo, exec_lo, s17
	s_wait_loadcnt 0x0
	v_xor_b32_e32 v94, 0xffffff80, v94
	s_delay_alu instid0(VALU_DEP_1) | instskip(NEXT) | instid1(VALU_DEP_1)
	v_and_b32_e32 v20, 0xff, v94
	v_lshrrev_b32_e32 v20, s30, v20
	s_delay_alu instid0(VALU_DEP_1) | instskip(NEXT) | instid1(VALU_DEP_1)
	v_and_b32_e32 v21, s31, v20
	v_and_b32_e32 v20, 1, v21
	v_lshlrev_b32_e32 v95, 30, v21
	v_lshlrev_b32_e32 v97, 29, v21
	;; [unrolled: 1-line block ×4, first 2 shown]
	v_add_co_u32 v20, s15, v20, -1
	s_wait_alu 0xf1ff
	v_cndmask_b32_e64 v99, 0, 1, s15
	v_not_b32_e32 v103, v95
	v_cmp_gt_i32_e64 s15, 0, v95
	v_not_b32_e32 v95, v97
	v_lshlrev_b32_e32 v101, 26, v21
	v_cmp_ne_u32_e32 vcc_lo, 0, v99
	v_ashrrev_i32_e32 v103, 31, v103
	v_lshlrev_b32_e32 v102, 25, v21
	v_ashrrev_i32_e32 v95, 31, v95
	v_lshlrev_b32_e32 v99, 24, v21
	s_wait_alu 0xfffd
	v_xor_b32_e32 v20, vcc_lo, v20
	v_cmp_gt_i32_e32 vcc_lo, 0, v97
	v_not_b32_e32 v97, v98
	s_wait_alu 0xf1ff
	v_xor_b32_e32 v103, s15, v103
	v_cmp_gt_i32_e64 s15, 0, v98
	v_and_b32_e32 v20, exec_lo, v20
	v_not_b32_e32 v98, v100
	v_ashrrev_i32_e32 v97, 31, v97
	s_wait_alu 0xfffd
	v_xor_b32_e32 v95, vcc_lo, v95
	v_cmp_gt_i32_e32 vcc_lo, 0, v100
	v_and_b32_e32 v20, v20, v103
	v_not_b32_e32 v100, v101
	v_ashrrev_i32_e32 v98, 31, v98
	s_wait_alu 0xf1ff
	v_xor_b32_e32 v97, s15, v97
	v_cmp_gt_i32_e64 s15, 0, v101
	v_and_b32_e32 v20, v20, v95
	v_not_b32_e32 v95, v102
	v_ashrrev_i32_e32 v100, 31, v100
	s_wait_alu 0xfffd
	v_xor_b32_e32 v98, vcc_lo, v98
	v_cmp_gt_i32_e32 vcc_lo, 0, v102
	v_and_b32_e32 v20, v20, v97
	v_not_b32_e32 v97, v99
	v_ashrrev_i32_e32 v95, 31, v95
	s_wait_alu 0xf1ff
	v_xor_b32_e32 v100, s15, v100
	v_cmp_gt_i32_e64 s15, 0, v99
	v_and_b32_e32 v20, v20, v98
	v_ashrrev_i32_e32 v97, 31, v97
	s_wait_alu 0xfffd
	v_xor_b32_e32 v95, vcc_lo, v95
	v_mul_u32_u24_e32 v21, 36, v21
	v_add_nc_u32_e32 v99, 0x428, v45
	v_and_b32_e32 v20, v20, v100
	s_wait_alu 0xf1ff
	v_xor_b32_e32 v98, s15, v97
	v_add_nc_u32_e32 v97, 0x438, v45
	v_add_nc_u32_e32 v100, 0x430, v45
	;; [unrolled: 1-line block ×3, first 2 shown]
	v_and_b32_e32 v20, v20, v95
	ds_store_2addr_b32 v97, v3, v3 offset1:1
	v_and_b32_e32 v20, v20, v98
	v_add_nc_u32_e32 v98, 0x420, v45
	ds_store_2addr_b32 v98, v3, v3 offset1:1
	ds_store_2addr_b32 v99, v3, v3 offset1:1
	;; [unrolled: 1-line block ×3, first 2 shown]
	ds_store_b32 v45, v3 offset:1088
	v_mbcnt_lo_u32_b32 v95, v20, 0
	v_cmp_ne_u32_e64 s15, 0, v20
	s_wait_dscnt 0x0
	s_barrier_signal -1
	s_barrier_wait -1
	v_cmp_eq_u32_e32 vcc_lo, 0, v95
	global_inv scope:SCOPE_SE
	; wave barrier
	s_and_b32 s16, s15, vcc_lo
	s_wait_alu 0xfffe
	s_and_saveexec_b32 s15, s16
; %bb.251:                              ;   in Loop: Header=BB428_236 Depth=2
	v_bcnt_u32_b32 v20, v20, 0
	ds_store_b32 v101, v20 offset:1056
; %bb.252:                              ;   in Loop: Header=BB428_236 Depth=2
	s_wait_alu 0xfffe
	s_or_b32 exec_lo, exec_lo, s15
	v_xor_b32_e32 v96, 0xffffff80, v96
	; wave barrier
	s_delay_alu instid0(VALU_DEP_1) | instskip(NEXT) | instid1(VALU_DEP_1)
	v_and_b32_e32 v20, 0xff, v96
	v_lshrrev_b32_e32 v20, s30, v20
	s_delay_alu instid0(VALU_DEP_1) | instskip(NEXT) | instid1(VALU_DEP_1)
	v_and_b32_e32 v21, s31, v20
	v_and_b32_e32 v20, 1, v21
	v_lshlrev_b32_e32 v102, 30, v21
	v_lshlrev_b32_e32 v103, 29, v21
	;; [unrolled: 1-line block ×4, first 2 shown]
	v_add_co_u32 v20, s15, v20, -1
	s_wait_alu 0xf1ff
	v_cndmask_b32_e64 v105, 0, 1, s15
	v_not_b32_e32 v109, v102
	v_cmp_gt_i32_e64 s15, 0, v102
	v_not_b32_e32 v102, v103
	v_lshlrev_b32_e32 v107, 26, v21
	v_cmp_ne_u32_e32 vcc_lo, 0, v105
	v_ashrrev_i32_e32 v109, 31, v109
	v_lshlrev_b32_e32 v108, 25, v21
	v_ashrrev_i32_e32 v102, 31, v102
	v_lshlrev_b32_e32 v105, 24, v21
	s_wait_alu 0xfffd
	v_xor_b32_e32 v20, vcc_lo, v20
	v_cmp_gt_i32_e32 vcc_lo, 0, v103
	v_not_b32_e32 v103, v104
	s_wait_alu 0xf1ff
	v_xor_b32_e32 v109, s15, v109
	v_cmp_gt_i32_e64 s15, 0, v104
	v_and_b32_e32 v20, exec_lo, v20
	v_not_b32_e32 v104, v106
	v_ashrrev_i32_e32 v103, 31, v103
	s_wait_alu 0xfffd
	v_xor_b32_e32 v102, vcc_lo, v102
	v_cmp_gt_i32_e32 vcc_lo, 0, v106
	v_and_b32_e32 v20, v20, v109
	v_not_b32_e32 v106, v107
	v_ashrrev_i32_e32 v104, 31, v104
	s_wait_alu 0xf1ff
	v_xor_b32_e32 v103, s15, v103
	v_cmp_gt_i32_e64 s15, 0, v107
	v_and_b32_e32 v20, v20, v102
	v_not_b32_e32 v102, v108
	v_ashrrev_i32_e32 v106, 31, v106
	s_wait_alu 0xfffd
	v_xor_b32_e32 v104, vcc_lo, v104
	v_cmp_gt_i32_e32 vcc_lo, 0, v108
	v_and_b32_e32 v20, v20, v103
	v_not_b32_e32 v103, v105
	v_ashrrev_i32_e32 v102, 31, v102
	s_wait_alu 0xf1ff
	v_xor_b32_e32 v106, s15, v106
	v_cmp_gt_i32_e64 s15, 0, v105
	v_and_b32_e32 v20, v20, v104
	v_ashrrev_i32_e32 v103, 31, v103
	s_wait_alu 0xfffd
	v_xor_b32_e32 v102, vcc_lo, v102
	v_mad_u32_u24 v104, v21, 36, v85
	v_mul_u32_u24_e32 v21, 36, v21
	v_and_b32_e32 v20, v20, v106
	s_wait_alu 0xf1ff
	v_xor_b32_e32 v103, s15, v103
	s_delay_alu instid0(VALU_DEP_3) | instskip(NEXT) | instid1(VALU_DEP_3)
	v_add_nc_u32_e32 v105, v85, v21
	v_and_b32_e32 v20, v20, v102
	ds_load_b32 v102, v104 offset:1056
	; wave barrier
	v_and_b32_e32 v20, v20, v103
	s_delay_alu instid0(VALU_DEP_1) | instskip(SKIP_1) | instid1(VALU_DEP_2)
	v_mbcnt_lo_u32_b32 v103, v20, 0
	v_cmp_ne_u32_e64 s15, 0, v20
	v_cmp_eq_u32_e32 vcc_lo, 0, v103
	s_and_b32 s16, s15, vcc_lo
	s_wait_alu 0xfffe
	s_and_saveexec_b32 s15, s16
	s_cbranch_execz .LBB428_254
; %bb.253:                              ;   in Loop: Header=BB428_236 Depth=2
	s_wait_dscnt 0x0
	v_bcnt_u32_b32 v20, v20, v102
	ds_store_b32 v105, v20 offset:1056
.LBB428_254:                            ;   in Loop: Header=BB428_236 Depth=2
	s_wait_alu 0xfffe
	s_or_b32 exec_lo, exec_lo, s15
	v_xor_b32_e32 v104, 0xffffff80, v27
	; wave barrier
	s_delay_alu instid0(VALU_DEP_1) | instskip(NEXT) | instid1(VALU_DEP_1)
	v_and_b32_e32 v20, 0xff, v104
	v_lshrrev_b32_e32 v20, s30, v20
	s_delay_alu instid0(VALU_DEP_1) | instskip(NEXT) | instid1(VALU_DEP_1)
	v_and_b32_e32 v21, s31, v20
	v_and_b32_e32 v20, 1, v21
	v_lshlrev_b32_e32 v27, 30, v21
	v_lshlrev_b32_e32 v106, 29, v21
	;; [unrolled: 1-line block ×4, first 2 shown]
	v_add_co_u32 v20, s15, v20, -1
	s_wait_alu 0xf1ff
	v_cndmask_b32_e64 v108, 0, 1, s15
	v_not_b32_e32 v112, v27
	v_cmp_gt_i32_e64 s15, 0, v27
	v_not_b32_e32 v27, v106
	v_lshlrev_b32_e32 v110, 26, v21
	v_cmp_ne_u32_e32 vcc_lo, 0, v108
	v_ashrrev_i32_e32 v112, 31, v112
	v_lshlrev_b32_e32 v111, 25, v21
	v_ashrrev_i32_e32 v27, 31, v27
	v_lshlrev_b32_e32 v108, 24, v21
	s_wait_alu 0xfffd
	v_xor_b32_e32 v20, vcc_lo, v20
	v_cmp_gt_i32_e32 vcc_lo, 0, v106
	v_not_b32_e32 v106, v107
	s_wait_alu 0xf1ff
	v_xor_b32_e32 v112, s15, v112
	v_cmp_gt_i32_e64 s15, 0, v107
	v_and_b32_e32 v20, exec_lo, v20
	v_not_b32_e32 v107, v109
	v_ashrrev_i32_e32 v106, 31, v106
	s_wait_alu 0xfffd
	v_xor_b32_e32 v27, vcc_lo, v27
	v_cmp_gt_i32_e32 vcc_lo, 0, v109
	v_and_b32_e32 v20, v20, v112
	v_not_b32_e32 v109, v110
	v_ashrrev_i32_e32 v107, 31, v107
	s_wait_alu 0xf1ff
	v_xor_b32_e32 v106, s15, v106
	v_cmp_gt_i32_e64 s15, 0, v110
	v_and_b32_e32 v20, v20, v27
	v_not_b32_e32 v27, v111
	v_ashrrev_i32_e32 v109, 31, v109
	s_wait_alu 0xfffd
	v_xor_b32_e32 v107, vcc_lo, v107
	v_cmp_gt_i32_e32 vcc_lo, 0, v111
	v_and_b32_e32 v20, v20, v106
	v_not_b32_e32 v106, v108
	v_ashrrev_i32_e32 v27, 31, v27
	s_wait_alu 0xf1ff
	v_xor_b32_e32 v109, s15, v109
	v_cmp_gt_i32_e64 s15, 0, v108
	v_and_b32_e32 v20, v20, v107
	v_ashrrev_i32_e32 v106, 31, v106
	s_wait_alu 0xfffd
	v_xor_b32_e32 v27, vcc_lo, v27
	v_mad_u32_u24 v107, v21, 36, v85
	v_mul_u32_u24_e32 v21, 36, v21
	v_and_b32_e32 v20, v20, v109
	s_wait_alu 0xf1ff
	v_xor_b32_e32 v108, s15, v106
	ds_load_b32 v106, v107 offset:1056
	v_add_nc_u32_e32 v109, v85, v21
	v_and_b32_e32 v20, v20, v27
	; wave barrier
	s_delay_alu instid0(VALU_DEP_1) | instskip(NEXT) | instid1(VALU_DEP_1)
	v_and_b32_e32 v20, v20, v108
	v_mbcnt_lo_u32_b32 v107, v20, 0
	v_cmp_ne_u32_e64 s15, 0, v20
	s_delay_alu instid0(VALU_DEP_2)
	v_cmp_eq_u32_e32 vcc_lo, 0, v107
	s_and_b32 s16, s15, vcc_lo
	s_wait_alu 0xfffe
	s_and_saveexec_b32 s15, s16
	s_cbranch_execz .LBB428_256
; %bb.255:                              ;   in Loop: Header=BB428_236 Depth=2
	s_wait_dscnt 0x0
	v_bcnt_u32_b32 v20, v20, v106
	ds_store_b32 v109, v20 offset:1056
.LBB428_256:                            ;   in Loop: Header=BB428_236 Depth=2
	s_wait_alu 0xfffe
	s_or_b32 exec_lo, exec_lo, s15
	v_xor_b32_e32 v108, 0xffffff80, v26
	; wave barrier
	s_delay_alu instid0(VALU_DEP_1) | instskip(NEXT) | instid1(VALU_DEP_1)
	v_and_b32_e32 v20, 0xff, v108
	v_lshrrev_b32_e32 v20, s30, v20
	s_delay_alu instid0(VALU_DEP_1) | instskip(NEXT) | instid1(VALU_DEP_1)
	v_and_b32_e32 v21, s31, v20
	v_and_b32_e32 v20, 1, v21
	v_lshlrev_b32_e32 v26, 30, v21
	v_lshlrev_b32_e32 v27, 29, v21
	;; [unrolled: 1-line block ×4, first 2 shown]
	v_add_co_u32 v20, s15, v20, -1
	s_wait_alu 0xf1ff
	v_cndmask_b32_e64 v111, 0, 1, s15
	v_not_b32_e32 v115, v26
	v_cmp_gt_i32_e64 s15, 0, v26
	v_not_b32_e32 v26, v27
	v_lshlrev_b32_e32 v113, 26, v21
	v_cmp_ne_u32_e32 vcc_lo, 0, v111
	v_ashrrev_i32_e32 v115, 31, v115
	v_lshlrev_b32_e32 v114, 25, v21
	v_ashrrev_i32_e32 v26, 31, v26
	v_lshlrev_b32_e32 v111, 24, v21
	s_wait_alu 0xfffd
	v_xor_b32_e32 v20, vcc_lo, v20
	v_cmp_gt_i32_e32 vcc_lo, 0, v27
	v_not_b32_e32 v27, v110
	s_wait_alu 0xf1ff
	v_xor_b32_e32 v115, s15, v115
	v_cmp_gt_i32_e64 s15, 0, v110
	v_and_b32_e32 v20, exec_lo, v20
	v_not_b32_e32 v110, v112
	v_ashrrev_i32_e32 v27, 31, v27
	s_wait_alu 0xfffd
	v_xor_b32_e32 v26, vcc_lo, v26
	v_cmp_gt_i32_e32 vcc_lo, 0, v112
	v_and_b32_e32 v20, v20, v115
	v_not_b32_e32 v112, v113
	v_ashrrev_i32_e32 v110, 31, v110
	s_wait_alu 0xf1ff
	v_xor_b32_e32 v27, s15, v27
	v_cmp_gt_i32_e64 s15, 0, v113
	v_and_b32_e32 v20, v20, v26
	v_not_b32_e32 v26, v114
	v_ashrrev_i32_e32 v112, 31, v112
	s_wait_alu 0xfffd
	v_xor_b32_e32 v110, vcc_lo, v110
	v_cmp_gt_i32_e32 vcc_lo, 0, v114
	v_and_b32_e32 v20, v20, v27
	v_not_b32_e32 v27, v111
	v_ashrrev_i32_e32 v26, 31, v26
	s_wait_alu 0xf1ff
	v_xor_b32_e32 v112, s15, v112
	v_cmp_gt_i32_e64 s15, 0, v111
	v_and_b32_e32 v20, v20, v110
	v_ashrrev_i32_e32 v27, 31, v27
	s_wait_alu 0xfffd
	v_xor_b32_e32 v26, vcc_lo, v26
	v_mad_u32_u24 v110, v21, 36, v85
	v_mul_u32_u24_e32 v21, 36, v21
	v_and_b32_e32 v20, v20, v112
	s_wait_alu 0xf1ff
	v_xor_b32_e32 v27, s15, v27
	ds_load_b32 v110, v110 offset:1056
	v_add_nc_u32_e32 v113, v85, v21
	v_and_b32_e32 v20, v20, v26
	; wave barrier
	s_delay_alu instid0(VALU_DEP_1) | instskip(NEXT) | instid1(VALU_DEP_1)
	v_and_b32_e32 v20, v20, v27
	v_mbcnt_lo_u32_b32 v111, v20, 0
	v_cmp_ne_u32_e64 s15, 0, v20
	s_delay_alu instid0(VALU_DEP_2)
	v_cmp_eq_u32_e32 vcc_lo, 0, v111
	s_and_b32 s16, s15, vcc_lo
	s_wait_alu 0xfffe
	s_and_saveexec_b32 s15, s16
	s_cbranch_execz .LBB428_258
; %bb.257:                              ;   in Loop: Header=BB428_236 Depth=2
	s_wait_dscnt 0x0
	v_bcnt_u32_b32 v20, v20, v110
	ds_store_b32 v113, v20 offset:1056
.LBB428_258:                            ;   in Loop: Header=BB428_236 Depth=2
	s_wait_alu 0xfffe
	s_or_b32 exec_lo, exec_lo, s15
	v_xor_b32_e32 v112, 0xffffff80, v25
	; wave barrier
	s_delay_alu instid0(VALU_DEP_1) | instskip(NEXT) | instid1(VALU_DEP_1)
	v_and_b32_e32 v20, 0xff, v112
	v_lshrrev_b32_e32 v20, s30, v20
	s_delay_alu instid0(VALU_DEP_1) | instskip(NEXT) | instid1(VALU_DEP_1)
	v_and_b32_e32 v21, s31, v20
	v_and_b32_e32 v20, 1, v21
	v_lshlrev_b32_e32 v25, 30, v21
	v_lshlrev_b32_e32 v26, 29, v21
	;; [unrolled: 1-line block ×4, first 2 shown]
	v_add_co_u32 v20, s15, v20, -1
	s_wait_alu 0xf1ff
	v_cndmask_b32_e64 v114, 0, 1, s15
	v_not_b32_e32 v118, v25
	v_cmp_gt_i32_e64 s15, 0, v25
	v_not_b32_e32 v25, v26
	v_lshlrev_b32_e32 v116, 26, v21
	v_cmp_ne_u32_e32 vcc_lo, 0, v114
	v_ashrrev_i32_e32 v118, 31, v118
	v_lshlrev_b32_e32 v117, 25, v21
	v_ashrrev_i32_e32 v25, 31, v25
	v_lshlrev_b32_e32 v114, 24, v21
	s_wait_alu 0xfffd
	v_xor_b32_e32 v20, vcc_lo, v20
	v_cmp_gt_i32_e32 vcc_lo, 0, v26
	v_not_b32_e32 v26, v27
	s_wait_alu 0xf1ff
	v_xor_b32_e32 v118, s15, v118
	v_cmp_gt_i32_e64 s15, 0, v27
	v_and_b32_e32 v20, exec_lo, v20
	v_not_b32_e32 v27, v115
	v_ashrrev_i32_e32 v26, 31, v26
	s_wait_alu 0xfffd
	v_xor_b32_e32 v25, vcc_lo, v25
	v_cmp_gt_i32_e32 vcc_lo, 0, v115
	v_and_b32_e32 v20, v20, v118
	v_not_b32_e32 v115, v116
	v_ashrrev_i32_e32 v27, 31, v27
	s_wait_alu 0xf1ff
	v_xor_b32_e32 v26, s15, v26
	v_cmp_gt_i32_e64 s15, 0, v116
	v_and_b32_e32 v20, v20, v25
	v_not_b32_e32 v25, v117
	v_ashrrev_i32_e32 v115, 31, v115
	s_wait_alu 0xfffd
	v_xor_b32_e32 v27, vcc_lo, v27
	v_cmp_gt_i32_e32 vcc_lo, 0, v117
	v_and_b32_e32 v20, v20, v26
	v_not_b32_e32 v26, v114
	v_ashrrev_i32_e32 v25, 31, v25
	s_wait_alu 0xf1ff
	v_xor_b32_e32 v115, s15, v115
	v_cmp_gt_i32_e64 s15, 0, v114
	v_and_b32_e32 v20, v20, v27
	v_ashrrev_i32_e32 v26, 31, v26
	s_wait_alu 0xfffd
	v_xor_b32_e32 v25, vcc_lo, v25
	v_mad_u32_u24 v27, v21, 36, v85
	v_mul_u32_u24_e32 v21, 36, v21
	v_and_b32_e32 v20, v20, v115
	s_wait_alu 0xf1ff
	v_xor_b32_e32 v26, s15, v26
	ds_load_b32 v114, v27 offset:1056
	v_add_nc_u32_e32 v117, v85, v21
	v_and_b32_e32 v20, v20, v25
	; wave barrier
	s_delay_alu instid0(VALU_DEP_1) | instskip(NEXT) | instid1(VALU_DEP_1)
	v_and_b32_e32 v20, v20, v26
	v_mbcnt_lo_u32_b32 v115, v20, 0
	v_cmp_ne_u32_e64 s15, 0, v20
	s_delay_alu instid0(VALU_DEP_2)
	v_cmp_eq_u32_e32 vcc_lo, 0, v115
	s_and_b32 s16, s15, vcc_lo
	s_wait_alu 0xfffe
	s_and_saveexec_b32 s15, s16
	s_cbranch_execz .LBB428_260
; %bb.259:                              ;   in Loop: Header=BB428_236 Depth=2
	s_wait_dscnt 0x0
	v_bcnt_u32_b32 v20, v20, v114
	ds_store_b32 v117, v20 offset:1056
.LBB428_260:                            ;   in Loop: Header=BB428_236 Depth=2
	s_wait_alu 0xfffe
	s_or_b32 exec_lo, exec_lo, s15
	v_xor_b32_e32 v116, 0xffffff80, v24
	; wave barrier
	s_delay_alu instid0(VALU_DEP_1) | instskip(NEXT) | instid1(VALU_DEP_1)
	v_and_b32_e32 v20, 0xff, v116
	v_lshrrev_b32_e32 v20, s30, v20
	s_delay_alu instid0(VALU_DEP_1) | instskip(NEXT) | instid1(VALU_DEP_1)
	v_and_b32_e32 v21, s31, v20
	v_and_b32_e32 v20, 1, v21
	v_lshlrev_b32_e32 v24, 30, v21
	v_lshlrev_b32_e32 v25, 29, v21
	;; [unrolled: 1-line block ×4, first 2 shown]
	v_add_co_u32 v20, s15, v20, -1
	s_wait_alu 0xf1ff
	v_cndmask_b32_e64 v27, 0, 1, s15
	v_not_b32_e32 v121, v24
	v_cmp_gt_i32_e64 s15, 0, v24
	v_not_b32_e32 v24, v25
	v_lshlrev_b32_e32 v119, 26, v21
	v_cmp_ne_u32_e32 vcc_lo, 0, v27
	v_ashrrev_i32_e32 v121, 31, v121
	v_lshlrev_b32_e32 v120, 25, v21
	v_ashrrev_i32_e32 v24, 31, v24
	v_lshlrev_b32_e32 v27, 24, v21
	s_wait_alu 0xfffd
	v_xor_b32_e32 v20, vcc_lo, v20
	v_cmp_gt_i32_e32 vcc_lo, 0, v25
	v_not_b32_e32 v25, v26
	s_wait_alu 0xf1ff
	v_xor_b32_e32 v121, s15, v121
	v_cmp_gt_i32_e64 s15, 0, v26
	v_and_b32_e32 v20, exec_lo, v20
	v_not_b32_e32 v26, v118
	v_ashrrev_i32_e32 v25, 31, v25
	s_wait_alu 0xfffd
	v_xor_b32_e32 v24, vcc_lo, v24
	v_cmp_gt_i32_e32 vcc_lo, 0, v118
	v_and_b32_e32 v20, v20, v121
	v_not_b32_e32 v118, v119
	v_ashrrev_i32_e32 v26, 31, v26
	s_wait_alu 0xf1ff
	v_xor_b32_e32 v25, s15, v25
	v_cmp_gt_i32_e64 s15, 0, v119
	v_and_b32_e32 v20, v20, v24
	v_not_b32_e32 v24, v120
	v_ashrrev_i32_e32 v118, 31, v118
	s_wait_alu 0xfffd
	v_xor_b32_e32 v26, vcc_lo, v26
	v_cmp_gt_i32_e32 vcc_lo, 0, v120
	v_and_b32_e32 v20, v20, v25
	v_not_b32_e32 v25, v27
	v_ashrrev_i32_e32 v24, 31, v24
	s_wait_alu 0xf1ff
	v_xor_b32_e32 v118, s15, v118
	v_cmp_gt_i32_e64 s15, 0, v27
	v_and_b32_e32 v20, v20, v26
	v_ashrrev_i32_e32 v25, 31, v25
	s_wait_alu 0xfffd
	v_xor_b32_e32 v24, vcc_lo, v24
	v_mad_u32_u24 v26, v21, 36, v85
	v_mul_u32_u24_e32 v21, 36, v21
	v_and_b32_e32 v20, v20, v118
	s_wait_alu 0xf1ff
	v_xor_b32_e32 v25, s15, v25
	ds_load_b32 v118, v26 offset:1056
	v_add_nc_u32_e32 v121, v85, v21
	v_and_b32_e32 v20, v20, v24
	; wave barrier
	s_delay_alu instid0(VALU_DEP_1) | instskip(NEXT) | instid1(VALU_DEP_1)
	v_and_b32_e32 v20, v20, v25
	v_mbcnt_lo_u32_b32 v119, v20, 0
	v_cmp_ne_u32_e64 s15, 0, v20
	s_delay_alu instid0(VALU_DEP_2)
	v_cmp_eq_u32_e32 vcc_lo, 0, v119
	s_and_b32 s16, s15, vcc_lo
	s_wait_alu 0xfffe
	s_and_saveexec_b32 s15, s16
	s_cbranch_execz .LBB428_262
; %bb.261:                              ;   in Loop: Header=BB428_236 Depth=2
	s_wait_dscnt 0x0
	v_bcnt_u32_b32 v20, v20, v118
	ds_store_b32 v121, v20 offset:1056
.LBB428_262:                            ;   in Loop: Header=BB428_236 Depth=2
	s_wait_alu 0xfffe
	s_or_b32 exec_lo, exec_lo, s15
	v_xor_b32_e32 v120, 0xffffff80, v23
	; wave barrier
	s_delay_alu instid0(VALU_DEP_1) | instskip(NEXT) | instid1(VALU_DEP_1)
	v_and_b32_e32 v20, 0xff, v120
	v_lshrrev_b32_e32 v20, s30, v20
	s_delay_alu instid0(VALU_DEP_1) | instskip(NEXT) | instid1(VALU_DEP_1)
	v_and_b32_e32 v21, s31, v20
	v_and_b32_e32 v20, 1, v21
	v_lshlrev_b32_e32 v23, 30, v21
	v_lshlrev_b32_e32 v24, 29, v21
	;; [unrolled: 1-line block ×4, first 2 shown]
	v_add_co_u32 v20, s15, v20, -1
	s_wait_alu 0xf1ff
	v_cndmask_b32_e64 v26, 0, 1, s15
	v_not_b32_e32 v124, v23
	v_cmp_gt_i32_e64 s15, 0, v23
	v_not_b32_e32 v23, v24
	v_lshlrev_b32_e32 v122, 26, v21
	v_cmp_ne_u32_e32 vcc_lo, 0, v26
	v_ashrrev_i32_e32 v124, 31, v124
	v_lshlrev_b32_e32 v123, 25, v21
	v_ashrrev_i32_e32 v23, 31, v23
	v_lshlrev_b32_e32 v26, 24, v21
	s_wait_alu 0xfffd
	v_xor_b32_e32 v20, vcc_lo, v20
	v_cmp_gt_i32_e32 vcc_lo, 0, v24
	v_not_b32_e32 v24, v25
	s_wait_alu 0xf1ff
	v_xor_b32_e32 v124, s15, v124
	v_cmp_gt_i32_e64 s15, 0, v25
	v_and_b32_e32 v20, exec_lo, v20
	v_not_b32_e32 v25, v27
	v_ashrrev_i32_e32 v24, 31, v24
	s_wait_alu 0xfffd
	v_xor_b32_e32 v23, vcc_lo, v23
	v_cmp_gt_i32_e32 vcc_lo, 0, v27
	v_and_b32_e32 v20, v20, v124
	v_not_b32_e32 v27, v122
	v_ashrrev_i32_e32 v25, 31, v25
	s_wait_alu 0xf1ff
	v_xor_b32_e32 v24, s15, v24
	v_cmp_gt_i32_e64 s15, 0, v122
	v_and_b32_e32 v20, v20, v23
	v_not_b32_e32 v23, v123
	v_ashrrev_i32_e32 v27, 31, v27
	s_wait_alu 0xfffd
	v_xor_b32_e32 v25, vcc_lo, v25
	v_cmp_gt_i32_e32 vcc_lo, 0, v123
	v_and_b32_e32 v20, v20, v24
	v_not_b32_e32 v24, v26
	v_ashrrev_i32_e32 v23, 31, v23
	s_wait_alu 0xf1ff
	v_xor_b32_e32 v27, s15, v27
	v_cmp_gt_i32_e64 s15, 0, v26
	v_and_b32_e32 v20, v20, v25
	v_ashrrev_i32_e32 v24, 31, v24
	s_wait_alu 0xfffd
	v_xor_b32_e32 v23, vcc_lo, v23
	v_mad_u32_u24 v25, v21, 36, v85
	v_mul_u32_u24_e32 v21, 36, v21
	v_and_b32_e32 v20, v20, v27
	s_wait_alu 0xf1ff
	v_xor_b32_e32 v24, s15, v24
	ds_load_b32 v122, v25 offset:1056
	v_add_nc_u32_e32 v125, v85, v21
	v_and_b32_e32 v20, v20, v23
	; wave barrier
	s_delay_alu instid0(VALU_DEP_1) | instskip(NEXT) | instid1(VALU_DEP_1)
	v_and_b32_e32 v20, v20, v24
	v_mbcnt_lo_u32_b32 v123, v20, 0
	v_cmp_ne_u32_e64 s15, 0, v20
	s_delay_alu instid0(VALU_DEP_2)
	v_cmp_eq_u32_e32 vcc_lo, 0, v123
	s_and_b32 s16, s15, vcc_lo
	s_wait_alu 0xfffe
	s_and_saveexec_b32 s15, s16
	s_cbranch_execz .LBB428_264
; %bb.263:                              ;   in Loop: Header=BB428_236 Depth=2
	s_wait_dscnt 0x0
	v_bcnt_u32_b32 v20, v20, v122
	ds_store_b32 v125, v20 offset:1056
.LBB428_264:                            ;   in Loop: Header=BB428_236 Depth=2
	s_wait_alu 0xfffe
	s_or_b32 exec_lo, exec_lo, s15
	v_xor_b32_e32 v124, 0xffffff80, v22
	; wave barrier
	s_delay_alu instid0(VALU_DEP_1) | instskip(NEXT) | instid1(VALU_DEP_1)
	v_and_b32_e32 v20, 0xff, v124
	v_lshrrev_b32_e32 v20, s30, v20
	s_delay_alu instid0(VALU_DEP_1) | instskip(NEXT) | instid1(VALU_DEP_1)
	v_and_b32_e32 v21, s31, v20
	v_and_b32_e32 v20, 1, v21
	v_lshlrev_b32_e32 v22, 30, v21
	v_lshlrev_b32_e32 v23, 29, v21
	;; [unrolled: 1-line block ×4, first 2 shown]
	v_add_co_u32 v20, s15, v20, -1
	s_wait_alu 0xf1ff
	v_cndmask_b32_e64 v25, 0, 1, s15
	v_not_b32_e32 v127, v22
	v_cmp_gt_i32_e64 s15, 0, v22
	v_not_b32_e32 v22, v23
	v_lshlrev_b32_e32 v27, 26, v21
	v_cmp_ne_u32_e32 vcc_lo, 0, v25
	v_ashrrev_i32_e32 v127, 31, v127
	v_lshlrev_b32_e32 v126, 25, v21
	v_ashrrev_i32_e32 v22, 31, v22
	v_lshlrev_b32_e32 v25, 24, v21
	s_wait_alu 0xfffd
	v_xor_b32_e32 v20, vcc_lo, v20
	v_cmp_gt_i32_e32 vcc_lo, 0, v23
	v_not_b32_e32 v23, v24
	s_wait_alu 0xf1ff
	v_xor_b32_e32 v127, s15, v127
	v_cmp_gt_i32_e64 s15, 0, v24
	v_and_b32_e32 v20, exec_lo, v20
	v_not_b32_e32 v24, v26
	v_ashrrev_i32_e32 v23, 31, v23
	s_wait_alu 0xfffd
	v_xor_b32_e32 v22, vcc_lo, v22
	v_cmp_gt_i32_e32 vcc_lo, 0, v26
	v_and_b32_e32 v20, v20, v127
	v_not_b32_e32 v26, v27
	v_ashrrev_i32_e32 v24, 31, v24
	s_wait_alu 0xf1ff
	v_xor_b32_e32 v23, s15, v23
	v_cmp_gt_i32_e64 s15, 0, v27
	v_and_b32_e32 v20, v20, v22
	v_not_b32_e32 v22, v126
	v_ashrrev_i32_e32 v26, 31, v26
	s_wait_alu 0xfffd
	v_xor_b32_e32 v24, vcc_lo, v24
	v_cmp_gt_i32_e32 vcc_lo, 0, v126
	v_and_b32_e32 v20, v20, v23
	v_not_b32_e32 v23, v25
	v_ashrrev_i32_e32 v22, 31, v22
	s_wait_alu 0xf1ff
	v_xor_b32_e32 v26, s15, v26
	v_cmp_gt_i32_e64 s15, 0, v25
	v_and_b32_e32 v20, v20, v24
	v_ashrrev_i32_e32 v23, 31, v23
	s_wait_alu 0xfffd
	v_xor_b32_e32 v22, vcc_lo, v22
	v_mad_u32_u24 v24, v21, 36, v85
	v_mul_u32_u24_e32 v21, 36, v21
	v_and_b32_e32 v20, v20, v26
	s_wait_alu 0xf1ff
	v_xor_b32_e32 v23, s15, v23
	ds_load_b32 v126, v24 offset:1056
	v_add_nc_u32_e32 v128, v85, v21
	v_and_b32_e32 v20, v20, v22
	; wave barrier
	s_delay_alu instid0(VALU_DEP_1) | instskip(NEXT) | instid1(VALU_DEP_1)
	v_and_b32_e32 v20, v20, v23
	v_mbcnt_lo_u32_b32 v127, v20, 0
	v_cmp_ne_u32_e64 s15, 0, v20
	s_delay_alu instid0(VALU_DEP_2)
	v_cmp_eq_u32_e32 vcc_lo, 0, v127
	s_and_b32 s16, s15, vcc_lo
	s_wait_alu 0xfffe
	s_and_saveexec_b32 s15, s16
	s_cbranch_execz .LBB428_266
; %bb.265:                              ;   in Loop: Header=BB428_236 Depth=2
	s_wait_dscnt 0x0
	v_bcnt_u32_b32 v20, v20, v126
	ds_store_b32 v128, v20 offset:1056
.LBB428_266:                            ;   in Loop: Header=BB428_236 Depth=2
	s_wait_alu 0xfffe
	s_or_b32 exec_lo, exec_lo, s15
	; wave barrier
	s_wait_loadcnt_dscnt 0x0
	s_barrier_signal -1
	s_barrier_wait -1
	global_inv scope:SCOPE_SE
	ds_load_2addr_b32 v[26:27], v98 offset1:1
	ds_load_2addr_b32 v[24:25], v99 offset1:1
	;; [unrolled: 1-line block ×4, first 2 shown]
	ds_load_b32 v129, v45 offset:1088
	s_wait_dscnt 0x3
	v_add3_u32 v130, v27, v26, v24
	s_wait_dscnt 0x2
	s_delay_alu instid0(VALU_DEP_1) | instskip(SKIP_1) | instid1(VALU_DEP_1)
	v_add3_u32 v130, v130, v25, v22
	s_wait_dscnt 0x1
	v_add3_u32 v130, v130, v23, v20
	s_wait_dscnt 0x0
	s_delay_alu instid0(VALU_DEP_1) | instskip(NEXT) | instid1(VALU_DEP_1)
	v_add3_u32 v129, v130, v21, v129
	v_mov_b32_dpp v130, v129 row_shr:1 row_mask:0xf bank_mask:0xf
	s_delay_alu instid0(VALU_DEP_1) | instskip(NEXT) | instid1(VALU_DEP_1)
	v_cndmask_b32_e64 v130, v130, 0, s0
	v_add_nc_u32_e32 v129, v130, v129
	s_delay_alu instid0(VALU_DEP_1) | instskip(NEXT) | instid1(VALU_DEP_1)
	v_mov_b32_dpp v130, v129 row_shr:2 row_mask:0xf bank_mask:0xf
	v_cndmask_b32_e64 v130, 0, v130, s1
	s_delay_alu instid0(VALU_DEP_1) | instskip(NEXT) | instid1(VALU_DEP_1)
	v_add_nc_u32_e32 v129, v129, v130
	v_mov_b32_dpp v130, v129 row_shr:4 row_mask:0xf bank_mask:0xf
	s_delay_alu instid0(VALU_DEP_1) | instskip(NEXT) | instid1(VALU_DEP_1)
	v_cndmask_b32_e64 v130, 0, v130, s9
	v_add_nc_u32_e32 v129, v129, v130
	s_delay_alu instid0(VALU_DEP_1) | instskip(NEXT) | instid1(VALU_DEP_1)
	v_mov_b32_dpp v130, v129 row_shr:8 row_mask:0xf bank_mask:0xf
	v_cndmask_b32_e64 v130, 0, v130, s10
	s_delay_alu instid0(VALU_DEP_1) | instskip(SKIP_3) | instid1(VALU_DEP_1)
	v_add_nc_u32_e32 v129, v129, v130
	ds_swizzle_b32 v130, v129 offset:swizzle(BROADCAST,32,15)
	s_wait_dscnt 0x0
	v_cndmask_b32_e64 v130, v130, 0, s11
	v_add_nc_u32_e32 v129, v129, v130
	s_and_saveexec_b32 s15, s3
; %bb.267:                              ;   in Loop: Header=BB428_236 Depth=2
	ds_store_b32 v38, v129 offset:1024
; %bb.268:                              ;   in Loop: Header=BB428_236 Depth=2
	s_wait_alu 0xfffe
	s_or_b32 exec_lo, exec_lo, s15
	s_wait_loadcnt_dscnt 0x0
	s_barrier_signal -1
	s_barrier_wait -1
	global_inv scope:SCOPE_SE
	s_and_saveexec_b32 s15, s4
	s_cbranch_execz .LBB428_270
; %bb.269:                              ;   in Loop: Header=BB428_236 Depth=2
	v_add_nc_u32_e32 v130, v45, v46
	ds_load_b32 v131, v130 offset:1024
	s_wait_dscnt 0x0
	v_mov_b32_dpp v132, v131 row_shr:1 row_mask:0xf bank_mask:0xf
	s_delay_alu instid0(VALU_DEP_1) | instskip(NEXT) | instid1(VALU_DEP_1)
	v_cndmask_b32_e64 v132, v132, 0, s12
	v_add_nc_u32_e32 v131, v132, v131
	s_delay_alu instid0(VALU_DEP_1) | instskip(NEXT) | instid1(VALU_DEP_1)
	v_mov_b32_dpp v132, v131 row_shr:2 row_mask:0xf bank_mask:0xf
	v_cndmask_b32_e64 v132, 0, v132, s13
	s_delay_alu instid0(VALU_DEP_1) | instskip(NEXT) | instid1(VALU_DEP_1)
	v_add_nc_u32_e32 v131, v131, v132
	v_mov_b32_dpp v132, v131 row_shr:4 row_mask:0xf bank_mask:0xf
	s_delay_alu instid0(VALU_DEP_1) | instskip(NEXT) | instid1(VALU_DEP_1)
	v_cndmask_b32_e64 v132, 0, v132, s14
	v_add_nc_u32_e32 v131, v131, v132
	ds_store_b32 v130, v131 offset:1024
.LBB428_270:                            ;   in Loop: Header=BB428_236 Depth=2
	s_wait_alu 0xfffe
	s_or_b32 exec_lo, exec_lo, s15
	v_mov_b32_e32 v130, 0
	s_wait_loadcnt_dscnt 0x0
	s_barrier_signal -1
	s_barrier_wait -1
	global_inv scope:SCOPE_SE
	s_and_saveexec_b32 s15, s5
; %bb.271:                              ;   in Loop: Header=BB428_236 Depth=2
	ds_load_b32 v130, v38 offset:1020
; %bb.272:                              ;   in Loop: Header=BB428_236 Depth=2
	s_wait_alu 0xfffe
	s_or_b32 exec_lo, exec_lo, s15
	s_wait_dscnt 0x0
	v_add_nc_u32_e32 v129, v130, v129
	ds_bpermute_b32 v129, v80, v129
	s_wait_dscnt 0x0
	v_cndmask_b32_e64 v129, v129, v130, s8
	s_delay_alu instid0(VALU_DEP_1) | instskip(NEXT) | instid1(VALU_DEP_1)
	v_cndmask_b32_e64 v129, v129, 0, s6
	v_add_nc_u32_e32 v26, v129, v26
	s_delay_alu instid0(VALU_DEP_1) | instskip(NEXT) | instid1(VALU_DEP_1)
	v_add_nc_u32_e32 v27, v26, v27
	v_add_nc_u32_e32 v24, v27, v24
	s_delay_alu instid0(VALU_DEP_1) | instskip(NEXT) | instid1(VALU_DEP_1)
	v_add_nc_u32_e32 v25, v24, v25
	;; [unrolled: 3-line block ×3, first 2 shown]
	v_add_nc_u32_e32 v20, v23, v20
	s_delay_alu instid0(VALU_DEP_1)
	v_add_nc_u32_e32 v21, v20, v21
	ds_store_2addr_b32 v97, v23, v20 offset1:1
	ds_store_2addr_b32 v98, v129, v26 offset1:1
	;; [unrolled: 1-line block ×4, first 2 shown]
	ds_store_b32 v45, v21 offset:1088
	s_wait_loadcnt_dscnt 0x0
	s_barrier_signal -1
	s_barrier_wait -1
	global_inv scope:SCOPE_SE
	ds_load_b32 v20, v101 offset:1056
	ds_load_b32 v21, v105 offset:1056
	;; [unrolled: 1-line block ×9, first 2 shown]
	v_mov_b32_e32 v22, 0x800
	s_and_saveexec_b32 s15, s7
; %bb.273:                              ;   in Loop: Header=BB428_236 Depth=2
	ds_load_b32 v22, v45 offset:1092
; %bb.274:                              ;   in Loop: Header=BB428_236 Depth=2
	s_wait_alu 0xfffe
	s_or_b32 exec_lo, exec_lo, s15
	s_wait_loadcnt_dscnt 0x0
	s_barrier_signal -1
	s_barrier_wait -1
	global_inv scope:SCOPE_SE
	s_and_saveexec_b32 s15, s2
	s_cbranch_execz .LBB428_276
; %bb.275:                              ;   in Loop: Header=BB428_236 Depth=2
	ds_load_b32 v27, v28
	s_wait_dscnt 0x0
	v_sub_nc_u32_e32 v26, v27, v26
	ds_store_b32 v28, v26
.LBB428_276:                            ;   in Loop: Header=BB428_236 Depth=2
	s_wait_alu 0xfffe
	s_or_b32 exec_lo, exec_lo, s15
	v_add_nc_u32_e32 v98, v20, v95
	v_add3_u32 v97, v103, v102, v21
	v_add3_u32 v95, v107, v106, v23
	;; [unrolled: 1-line block ×7, first 2 shown]
	v_cmp_lt_u32_e64 s20, v1, v2
	ds_store_b8 v98, v94 offset:1024
	ds_store_b8 v97, v96 offset:1024
	;; [unrolled: 1-line block ×8, first 2 shown]
	s_wait_loadcnt_dscnt 0x0
	s_barrier_signal -1
	s_barrier_wait -1
	global_inv scope:SCOPE_SE
	s_and_saveexec_b32 s15, s20
	s_cbranch_execnz .LBB428_313
; %bb.277:                              ;   in Loop: Header=BB428_236 Depth=2
	s_wait_alu 0xfffe
	s_or_b32 exec_lo, exec_lo, s15
	v_cmp_lt_u32_e64 s21, v29, v2
	s_and_saveexec_b32 s15, s21
	s_cbranch_execnz .LBB428_314
.LBB428_278:                            ;   in Loop: Header=BB428_236 Depth=2
	s_wait_alu 0xfffe
	s_or_b32 exec_lo, exec_lo, s15
	v_cmp_lt_u32_e64 s19, v30, v2
	s_and_saveexec_b32 s15, s19
	s_cbranch_execnz .LBB428_315
.LBB428_279:                            ;   in Loop: Header=BB428_236 Depth=2
	s_wait_alu 0xfffe
	s_or_b32 exec_lo, exec_lo, s15
	v_cmp_lt_u32_e64 s18, v31, v2
	s_and_saveexec_b32 s15, s18
	s_cbranch_execnz .LBB428_316
.LBB428_280:                            ;   in Loop: Header=BB428_236 Depth=2
	s_wait_alu 0xfffe
	s_or_b32 exec_lo, exec_lo, s15
	v_cmp_lt_u32_e64 s17, v34, v2
	s_and_saveexec_b32 s15, s17
	s_cbranch_execnz .LBB428_317
.LBB428_281:                            ;   in Loop: Header=BB428_236 Depth=2
	s_wait_alu 0xfffe
	s_or_b32 exec_lo, exec_lo, s15
	v_cmp_lt_u32_e64 s16, v35, v2
	s_and_saveexec_b32 s15, s16
	s_cbranch_execnz .LBB428_318
.LBB428_282:                            ;   in Loop: Header=BB428_236 Depth=2
	s_wait_alu 0xfffe
	s_or_b32 exec_lo, exec_lo, s15
	v_cmp_lt_u32_e64 s15, v36, v2
	s_and_saveexec_b32 s44, s15
	s_cbranch_execnz .LBB428_319
.LBB428_283:                            ;   in Loop: Header=BB428_236 Depth=2
	s_wait_alu 0xfffe
	s_or_b32 exec_lo, exec_lo, s44
	v_cmp_lt_u32_e32 vcc_lo, v37, v2
	s_and_saveexec_b32 s44, vcc_lo
	s_cbranch_execz .LBB428_285
.LBB428_284:                            ;   in Loop: Header=BB428_236 Depth=2
	ds_load_u8 v20, v1 offset:2816
	s_wait_dscnt 0x0
	v_and_b32_e32 v21, 0xff, v20
	v_xor_b32_e32 v20, 0x80, v20
	s_delay_alu instid0(VALU_DEP_2) | instskip(NEXT) | instid1(VALU_DEP_1)
	v_lshrrev_b32_e32 v21, s30, v21
	v_and_b32_e32 v21, s31, v21
	s_delay_alu instid0(VALU_DEP_1)
	v_lshlrev_b32_e32 v21, 2, v21
	ds_load_b32 v21, v21
	s_wait_dscnt 0x0
	v_add_nc_u32_e32 v21, v21, v37
	global_store_b8 v21, v20, s[40:41]
.LBB428_285:                            ;   in Loop: Header=BB428_236 Depth=2
	s_wait_alu 0xfffe
	s_or_b32 exec_lo, exec_lo, s44
	s_lshl_b64 s[48:49], s[22:23], 3
	s_wait_alu 0xfffe
	v_add_co_u32 v20, s22, v81, s48
	s_wait_alu 0xf1ff
	v_add_co_ci_u32_e64 v21, null, s49, v82, s22
	v_cmp_lt_u32_e64 s22, v68, v2
	s_and_saveexec_b32 s44, s22
	s_wait_alu 0xfffe
	s_xor_b32 s22, exec_lo, s44
	s_cbranch_execnz .LBB428_320
; %bb.286:                              ;   in Loop: Header=BB428_236 Depth=2
	s_wait_alu 0xfffe
	s_or_b32 exec_lo, exec_lo, s22
	s_delay_alu instid0(SALU_CYCLE_1)
	s_mov_b32 s44, exec_lo
	v_cmpx_lt_u32_e64 v71, v2
	s_cbranch_execnz .LBB428_321
.LBB428_287:                            ;   in Loop: Header=BB428_236 Depth=2
	s_wait_alu 0xfffe
	s_or_b32 exec_lo, exec_lo, s44
	s_delay_alu instid0(SALU_CYCLE_1)
	s_mov_b32 s44, exec_lo
	v_cmpx_lt_u32_e64 v72, v2
	s_cbranch_execnz .LBB428_322
.LBB428_288:                            ;   in Loop: Header=BB428_236 Depth=2
	s_wait_alu 0xfffe
	s_or_b32 exec_lo, exec_lo, s44
	s_delay_alu instid0(SALU_CYCLE_1)
	s_mov_b32 s44, exec_lo
	v_cmpx_lt_u32_e64 v73, v2
	s_cbranch_execnz .LBB428_323
.LBB428_289:                            ;   in Loop: Header=BB428_236 Depth=2
	s_wait_alu 0xfffe
	s_or_b32 exec_lo, exec_lo, s44
	s_delay_alu instid0(SALU_CYCLE_1)
	s_mov_b32 s44, exec_lo
	v_cmpx_lt_u32_e64 v74, v2
	s_cbranch_execnz .LBB428_324
.LBB428_290:                            ;   in Loop: Header=BB428_236 Depth=2
	s_wait_alu 0xfffe
	s_or_b32 exec_lo, exec_lo, s44
	s_delay_alu instid0(SALU_CYCLE_1)
	s_mov_b32 s44, exec_lo
	v_cmpx_lt_u32_e64 v75, v2
	s_cbranch_execnz .LBB428_325
.LBB428_291:                            ;   in Loop: Header=BB428_236 Depth=2
	s_wait_alu 0xfffe
	s_or_b32 exec_lo, exec_lo, s44
	s_delay_alu instid0(SALU_CYCLE_1)
	s_mov_b32 s44, exec_lo
	v_cmpx_lt_u32_e64 v76, v2
	s_cbranch_execnz .LBB428_326
.LBB428_292:                            ;   in Loop: Header=BB428_236 Depth=2
	s_wait_alu 0xfffe
	s_or_b32 exec_lo, exec_lo, s44
	s_delay_alu instid0(SALU_CYCLE_1)
	s_mov_b32 s44, exec_lo
	v_cmpx_lt_u32_e64 v77, v2
	s_cbranch_execnz .LBB428_327
.LBB428_293:                            ;   in Loop: Header=BB428_236 Depth=2
	s_wait_alu 0xfffe
	s_or_b32 exec_lo, exec_lo, s44
	s_and_saveexec_b32 s22, s20
	s_cbranch_execnz .LBB428_328
.LBB428_294:                            ;   in Loop: Header=BB428_236 Depth=2
	s_wait_alu 0xfffe
	s_or_b32 exec_lo, exec_lo, s22
	s_and_saveexec_b32 s22, s21
	s_cbranch_execnz .LBB428_329
.LBB428_295:                            ;   in Loop: Header=BB428_236 Depth=2
	s_wait_alu 0xfffe
	s_or_b32 exec_lo, exec_lo, s22
	s_and_saveexec_b32 s22, s19
	s_cbranch_execnz .LBB428_330
.LBB428_296:                            ;   in Loop: Header=BB428_236 Depth=2
	s_wait_alu 0xfffe
	s_or_b32 exec_lo, exec_lo, s22
	s_and_saveexec_b32 s22, s18
	s_cbranch_execnz .LBB428_331
.LBB428_297:                            ;   in Loop: Header=BB428_236 Depth=2
	s_wait_alu 0xfffe
	s_or_b32 exec_lo, exec_lo, s22
	s_and_saveexec_b32 s22, s17
	s_cbranch_execnz .LBB428_332
.LBB428_298:                            ;   in Loop: Header=BB428_236 Depth=2
	s_wait_alu 0xfffe
	s_or_b32 exec_lo, exec_lo, s22
	s_and_saveexec_b32 s22, s16
	s_cbranch_execnz .LBB428_333
.LBB428_299:                            ;   in Loop: Header=BB428_236 Depth=2
	s_wait_alu 0xfffe
	s_or_b32 exec_lo, exec_lo, s22
	s_and_saveexec_b32 s22, s15
	s_cbranch_execnz .LBB428_334
.LBB428_300:                            ;   in Loop: Header=BB428_236 Depth=2
	s_wait_alu 0xfffe
	s_or_b32 exec_lo, exec_lo, s22
	s_and_saveexec_b32 s22, vcc_lo
	s_cbranch_execz .LBB428_302
.LBB428_301:                            ;   in Loop: Header=BB428_236 Depth=2
	ds_load_u8 v2, v1 offset:2816
	s_wait_dscnt 0x0
	v_lshrrev_b32_e32 v2, s30, v2
	s_delay_alu instid0(VALU_DEP_1)
	v_and_b32_e32 v86, s31, v2
.LBB428_302:                            ;   in Loop: Header=BB428_236 Depth=2
	s_wait_alu 0xfffe
	s_or_b32 exec_lo, exec_lo, s22
	v_lshlrev_b32_e32 v2, 3, v98
	v_lshlrev_b32_e32 v20, 3, v97
	;; [unrolled: 1-line block ×3, first 2 shown]
	s_wait_loadcnt 0x0
	s_wait_storecnt 0x0
	s_barrier_signal -1
	s_barrier_wait -1
	global_inv scope:SCOPE_SE
	ds_store_b64 v2, v[18:19] offset:1024
	ds_store_b64 v20, v[16:17] offset:1024
	;; [unrolled: 1-line block ×3, first 2 shown]
	v_lshlrev_b32_e32 v2, 3, v27
	v_lshlrev_b32_e32 v20, 3, v26
	v_lshlrev_b32_e32 v21, 3, v25
	v_lshlrev_b32_e32 v24, 3, v24
	v_lshlrev_b32_e32 v23, 3, v23
	ds_store_b64 v2, v[12:13] offset:1024
	ds_store_b64 v20, v[10:11] offset:1024
	;; [unrolled: 1-line block ×5, first 2 shown]
	s_wait_loadcnt_dscnt 0x0
	s_barrier_signal -1
	s_barrier_wait -1
	global_inv scope:SCOPE_SE
	s_and_saveexec_b32 s22, s20
	s_cbranch_execnz .LBB428_335
; %bb.303:                              ;   in Loop: Header=BB428_236 Depth=2
	s_wait_alu 0xfffe
	s_or_b32 exec_lo, exec_lo, s22
	s_and_saveexec_b32 s22, s21
	s_cbranch_execnz .LBB428_336
.LBB428_304:                            ;   in Loop: Header=BB428_236 Depth=2
	s_wait_alu 0xfffe
	s_or_b32 exec_lo, exec_lo, s22
	s_and_saveexec_b32 s20, s19
	s_cbranch_execnz .LBB428_337
.LBB428_305:                            ;   in Loop: Header=BB428_236 Depth=2
	s_wait_alu 0xfffe
	s_or_b32 exec_lo, exec_lo, s20
	s_and_saveexec_b32 s19, s18
	s_cbranch_execnz .LBB428_338
.LBB428_306:                            ;   in Loop: Header=BB428_236 Depth=2
	s_wait_alu 0xfffe
	s_or_b32 exec_lo, exec_lo, s19
	s_and_saveexec_b32 s18, s17
	s_cbranch_execnz .LBB428_339
.LBB428_307:                            ;   in Loop: Header=BB428_236 Depth=2
	s_wait_alu 0xfffe
	s_or_b32 exec_lo, exec_lo, s18
	s_and_saveexec_b32 s17, s16
	s_cbranch_execnz .LBB428_340
.LBB428_308:                            ;   in Loop: Header=BB428_236 Depth=2
	s_wait_alu 0xfffe
	s_or_b32 exec_lo, exec_lo, s17
	s_and_saveexec_b32 s16, s15
	s_cbranch_execnz .LBB428_341
.LBB428_309:                            ;   in Loop: Header=BB428_236 Depth=2
	s_wait_alu 0xfffe
	s_or_b32 exec_lo, exec_lo, s16
	s_and_saveexec_b32 s15, vcc_lo
	s_cbranch_execz .LBB428_311
.LBB428_310:                            ;   in Loop: Header=BB428_236 Depth=2
	v_lshlrev_b32_e32 v2, 2, v86
	v_add_nc_u32_e32 v20, v1, v47
	ds_load_b32 v2, v2
	ds_load_b64 v[20:21], v20 offset:15360
	s_wait_dscnt 0x1
	v_add_nc_u32_e32 v2, v2, v37
	s_delay_alu instid0(VALU_DEP_1) | instskip(NEXT) | instid1(VALU_DEP_1)
	v_lshlrev_b64_e32 v[23:24], 3, v[2:3]
	v_add_co_u32 v23, vcc_lo, s26, v23
	s_wait_alu 0xfffd
	s_delay_alu instid0(VALU_DEP_2)
	v_add_co_ci_u32_e64 v24, null, s27, v24, vcc_lo
	s_wait_dscnt 0x0
	global_store_b64 v[23:24], v[20:21], off
.LBB428_311:                            ;   in Loop: Header=BB428_236 Depth=2
	s_wait_alu 0xfffe
	s_or_b32 exec_lo, exec_lo, s15
	s_wait_loadcnt 0x0
	s_wait_storecnt 0x0
	s_barrier_signal -1
	s_barrier_wait -1
	global_inv scope:SCOPE_SE
	s_and_saveexec_b32 s15, s2
	s_cbranch_execz .LBB428_235
; %bb.312:                              ;   in Loop: Header=BB428_236 Depth=2
	ds_load_b32 v2, v28
	s_wait_dscnt 0x0
	v_add_nc_u32_e32 v2, v2, v22
	ds_store_b32 v28, v2
	s_branch .LBB428_235
.LBB428_313:                            ;   in Loop: Header=BB428_236 Depth=2
	ds_load_u8 v20, v1 offset:1024
	s_wait_dscnt 0x0
	v_and_b32_e32 v21, 0xff, v20
	v_xor_b32_e32 v20, 0x80, v20
	s_delay_alu instid0(VALU_DEP_2) | instskip(NEXT) | instid1(VALU_DEP_1)
	v_lshrrev_b32_e32 v21, s30, v21
	v_and_b32_e32 v21, s31, v21
	s_delay_alu instid0(VALU_DEP_1)
	v_lshlrev_b32_e32 v21, 2, v21
	ds_load_b32 v21, v21
	s_wait_dscnt 0x0
	v_add_nc_u32_e32 v21, v21, v1
	global_store_b8 v21, v20, s[40:41]
	s_wait_alu 0xfffe
	s_or_b32 exec_lo, exec_lo, s15
	v_cmp_lt_u32_e64 s21, v29, v2
	s_and_saveexec_b32 s15, s21
	s_cbranch_execz .LBB428_278
.LBB428_314:                            ;   in Loop: Header=BB428_236 Depth=2
	ds_load_u8 v20, v1 offset:1280
	s_wait_dscnt 0x0
	v_and_b32_e32 v21, 0xff, v20
	v_xor_b32_e32 v20, 0x80, v20
	s_delay_alu instid0(VALU_DEP_2) | instskip(NEXT) | instid1(VALU_DEP_1)
	v_lshrrev_b32_e32 v21, s30, v21
	v_and_b32_e32 v21, s31, v21
	s_delay_alu instid0(VALU_DEP_1)
	v_lshlrev_b32_e32 v21, 2, v21
	ds_load_b32 v21, v21
	s_wait_dscnt 0x0
	v_add_nc_u32_e32 v21, v21, v29
	global_store_b8 v21, v20, s[40:41]
	s_wait_alu 0xfffe
	s_or_b32 exec_lo, exec_lo, s15
	v_cmp_lt_u32_e64 s19, v30, v2
	s_and_saveexec_b32 s15, s19
	s_cbranch_execz .LBB428_279
.LBB428_315:                            ;   in Loop: Header=BB428_236 Depth=2
	ds_load_u8 v20, v1 offset:1536
	s_wait_dscnt 0x0
	v_and_b32_e32 v21, 0xff, v20
	v_xor_b32_e32 v20, 0x80, v20
	s_delay_alu instid0(VALU_DEP_2) | instskip(NEXT) | instid1(VALU_DEP_1)
	v_lshrrev_b32_e32 v21, s30, v21
	v_and_b32_e32 v21, s31, v21
	s_delay_alu instid0(VALU_DEP_1)
	v_lshlrev_b32_e32 v21, 2, v21
	ds_load_b32 v21, v21
	s_wait_dscnt 0x0
	v_add_nc_u32_e32 v21, v21, v30
	global_store_b8 v21, v20, s[40:41]
	s_wait_alu 0xfffe
	s_or_b32 exec_lo, exec_lo, s15
	v_cmp_lt_u32_e64 s18, v31, v2
	s_and_saveexec_b32 s15, s18
	s_cbranch_execz .LBB428_280
.LBB428_316:                            ;   in Loop: Header=BB428_236 Depth=2
	ds_load_u8 v20, v1 offset:1792
	s_wait_dscnt 0x0
	v_and_b32_e32 v21, 0xff, v20
	v_xor_b32_e32 v20, 0x80, v20
	s_delay_alu instid0(VALU_DEP_2) | instskip(NEXT) | instid1(VALU_DEP_1)
	v_lshrrev_b32_e32 v21, s30, v21
	v_and_b32_e32 v21, s31, v21
	s_delay_alu instid0(VALU_DEP_1)
	v_lshlrev_b32_e32 v21, 2, v21
	ds_load_b32 v21, v21
	s_wait_dscnt 0x0
	v_add_nc_u32_e32 v21, v21, v31
	global_store_b8 v21, v20, s[40:41]
	s_wait_alu 0xfffe
	s_or_b32 exec_lo, exec_lo, s15
	v_cmp_lt_u32_e64 s17, v34, v2
	s_and_saveexec_b32 s15, s17
	s_cbranch_execz .LBB428_281
.LBB428_317:                            ;   in Loop: Header=BB428_236 Depth=2
	ds_load_u8 v20, v1 offset:2048
	s_wait_dscnt 0x0
	v_and_b32_e32 v21, 0xff, v20
	v_xor_b32_e32 v20, 0x80, v20
	s_delay_alu instid0(VALU_DEP_2) | instskip(NEXT) | instid1(VALU_DEP_1)
	v_lshrrev_b32_e32 v21, s30, v21
	v_and_b32_e32 v21, s31, v21
	s_delay_alu instid0(VALU_DEP_1)
	v_lshlrev_b32_e32 v21, 2, v21
	ds_load_b32 v21, v21
	s_wait_dscnt 0x0
	v_add_nc_u32_e32 v21, v21, v34
	global_store_b8 v21, v20, s[40:41]
	s_wait_alu 0xfffe
	s_or_b32 exec_lo, exec_lo, s15
	v_cmp_lt_u32_e64 s16, v35, v2
	s_and_saveexec_b32 s15, s16
	s_cbranch_execz .LBB428_282
.LBB428_318:                            ;   in Loop: Header=BB428_236 Depth=2
	ds_load_u8 v20, v1 offset:2304
	s_wait_dscnt 0x0
	v_and_b32_e32 v21, 0xff, v20
	v_xor_b32_e32 v20, 0x80, v20
	s_delay_alu instid0(VALU_DEP_2) | instskip(NEXT) | instid1(VALU_DEP_1)
	v_lshrrev_b32_e32 v21, s30, v21
	v_and_b32_e32 v21, s31, v21
	s_delay_alu instid0(VALU_DEP_1)
	v_lshlrev_b32_e32 v21, 2, v21
	ds_load_b32 v21, v21
	s_wait_dscnt 0x0
	v_add_nc_u32_e32 v21, v21, v35
	global_store_b8 v21, v20, s[40:41]
	s_wait_alu 0xfffe
	s_or_b32 exec_lo, exec_lo, s15
	v_cmp_lt_u32_e64 s15, v36, v2
	s_and_saveexec_b32 s44, s15
	s_cbranch_execz .LBB428_283
.LBB428_319:                            ;   in Loop: Header=BB428_236 Depth=2
	ds_load_u8 v20, v1 offset:2560
	s_wait_dscnt 0x0
	v_and_b32_e32 v21, 0xff, v20
	v_xor_b32_e32 v20, 0x80, v20
	s_delay_alu instid0(VALU_DEP_2) | instskip(NEXT) | instid1(VALU_DEP_1)
	v_lshrrev_b32_e32 v21, s30, v21
	v_and_b32_e32 v21, s31, v21
	s_delay_alu instid0(VALU_DEP_1)
	v_lshlrev_b32_e32 v21, 2, v21
	ds_load_b32 v21, v21
	s_wait_dscnt 0x0
	v_add_nc_u32_e32 v21, v21, v36
	global_store_b8 v21, v20, s[40:41]
	s_wait_alu 0xfffe
	s_or_b32 exec_lo, exec_lo, s44
	v_cmp_lt_u32_e32 vcc_lo, v37, v2
	s_and_saveexec_b32 s44, vcc_lo
	s_cbranch_execnz .LBB428_284
	s_branch .LBB428_285
.LBB428_320:                            ;   in Loop: Header=BB428_236 Depth=2
	global_load_b64 v[18:19], v[20:21], off
	s_wait_alu 0xfffe
	s_or_b32 exec_lo, exec_lo, s22
	s_delay_alu instid0(SALU_CYCLE_1)
	s_mov_b32 s44, exec_lo
	v_cmpx_lt_u32_e64 v71, v2
	s_cbranch_execz .LBB428_287
.LBB428_321:                            ;   in Loop: Header=BB428_236 Depth=2
	global_load_b64 v[16:17], v[20:21], off offset:256
	s_wait_alu 0xfffe
	s_or_b32 exec_lo, exec_lo, s44
	s_delay_alu instid0(SALU_CYCLE_1)
	s_mov_b32 s44, exec_lo
	v_cmpx_lt_u32_e64 v72, v2
	s_cbranch_execz .LBB428_288
.LBB428_322:                            ;   in Loop: Header=BB428_236 Depth=2
	global_load_b64 v[14:15], v[20:21], off offset:512
	s_wait_alu 0xfffe
	s_or_b32 exec_lo, exec_lo, s44
	s_delay_alu instid0(SALU_CYCLE_1)
	s_mov_b32 s44, exec_lo
	v_cmpx_lt_u32_e64 v73, v2
	s_cbranch_execz .LBB428_289
.LBB428_323:                            ;   in Loop: Header=BB428_236 Depth=2
	global_load_b64 v[12:13], v[20:21], off offset:768
	s_wait_alu 0xfffe
	s_or_b32 exec_lo, exec_lo, s44
	s_delay_alu instid0(SALU_CYCLE_1)
	s_mov_b32 s44, exec_lo
	v_cmpx_lt_u32_e64 v74, v2
	s_cbranch_execz .LBB428_290
.LBB428_324:                            ;   in Loop: Header=BB428_236 Depth=2
	global_load_b64 v[10:11], v[20:21], off offset:1024
	s_wait_alu 0xfffe
	s_or_b32 exec_lo, exec_lo, s44
	s_delay_alu instid0(SALU_CYCLE_1)
	s_mov_b32 s44, exec_lo
	v_cmpx_lt_u32_e64 v75, v2
	s_cbranch_execz .LBB428_291
.LBB428_325:                            ;   in Loop: Header=BB428_236 Depth=2
	global_load_b64 v[8:9], v[20:21], off offset:1280
	s_wait_alu 0xfffe
	s_or_b32 exec_lo, exec_lo, s44
	s_delay_alu instid0(SALU_CYCLE_1)
	s_mov_b32 s44, exec_lo
	v_cmpx_lt_u32_e64 v76, v2
	s_cbranch_execz .LBB428_292
.LBB428_326:                            ;   in Loop: Header=BB428_236 Depth=2
	global_load_b64 v[6:7], v[20:21], off offset:1536
	s_wait_alu 0xfffe
	s_or_b32 exec_lo, exec_lo, s44
	s_delay_alu instid0(SALU_CYCLE_1)
	s_mov_b32 s44, exec_lo
	v_cmpx_lt_u32_e64 v77, v2
	s_cbranch_execz .LBB428_293
.LBB428_327:                            ;   in Loop: Header=BB428_236 Depth=2
	global_load_b64 v[4:5], v[20:21], off offset:1792
	s_wait_alu 0xfffe
	s_or_b32 exec_lo, exec_lo, s44
	s_and_saveexec_b32 s22, s20
	s_cbranch_execz .LBB428_294
.LBB428_328:                            ;   in Loop: Header=BB428_236 Depth=2
	ds_load_u8 v2, v1 offset:1024
	s_wait_dscnt 0x0
	v_lshrrev_b32_e32 v2, s30, v2
	s_delay_alu instid0(VALU_DEP_1)
	v_and_b32_e32 v93, s31, v2
	s_wait_alu 0xfffe
	s_or_b32 exec_lo, exec_lo, s22
	s_and_saveexec_b32 s22, s21
	s_cbranch_execz .LBB428_295
.LBB428_329:                            ;   in Loop: Header=BB428_236 Depth=2
	ds_load_u8 v2, v1 offset:1280
	s_wait_dscnt 0x0
	v_lshrrev_b32_e32 v2, s30, v2
	s_delay_alu instid0(VALU_DEP_1)
	v_and_b32_e32 v92, s31, v2
	s_wait_alu 0xfffe
	s_or_b32 exec_lo, exec_lo, s22
	s_and_saveexec_b32 s22, s19
	s_cbranch_execz .LBB428_296
.LBB428_330:                            ;   in Loop: Header=BB428_236 Depth=2
	ds_load_u8 v2, v1 offset:1536
	s_wait_dscnt 0x0
	v_lshrrev_b32_e32 v2, s30, v2
	s_delay_alu instid0(VALU_DEP_1)
	v_and_b32_e32 v91, s31, v2
	s_wait_alu 0xfffe
	s_or_b32 exec_lo, exec_lo, s22
	s_and_saveexec_b32 s22, s18
	s_cbranch_execz .LBB428_297
.LBB428_331:                            ;   in Loop: Header=BB428_236 Depth=2
	ds_load_u8 v2, v1 offset:1792
	s_wait_dscnt 0x0
	v_lshrrev_b32_e32 v2, s30, v2
	s_delay_alu instid0(VALU_DEP_1)
	v_and_b32_e32 v90, s31, v2
	s_wait_alu 0xfffe
	s_or_b32 exec_lo, exec_lo, s22
	s_and_saveexec_b32 s22, s17
	s_cbranch_execz .LBB428_298
.LBB428_332:                            ;   in Loop: Header=BB428_236 Depth=2
	ds_load_u8 v2, v1 offset:2048
	s_wait_dscnt 0x0
	v_lshrrev_b32_e32 v2, s30, v2
	s_delay_alu instid0(VALU_DEP_1)
	v_and_b32_e32 v89, s31, v2
	s_wait_alu 0xfffe
	s_or_b32 exec_lo, exec_lo, s22
	s_and_saveexec_b32 s22, s16
	s_cbranch_execz .LBB428_299
.LBB428_333:                            ;   in Loop: Header=BB428_236 Depth=2
	ds_load_u8 v2, v1 offset:2304
	s_wait_dscnt 0x0
	v_lshrrev_b32_e32 v2, s30, v2
	s_delay_alu instid0(VALU_DEP_1)
	v_and_b32_e32 v88, s31, v2
	s_wait_alu 0xfffe
	s_or_b32 exec_lo, exec_lo, s22
	s_and_saveexec_b32 s22, s15
	s_cbranch_execz .LBB428_300
.LBB428_334:                            ;   in Loop: Header=BB428_236 Depth=2
	ds_load_u8 v2, v1 offset:2560
	s_wait_dscnt 0x0
	v_lshrrev_b32_e32 v2, s30, v2
	s_delay_alu instid0(VALU_DEP_1)
	v_and_b32_e32 v87, s31, v2
	s_wait_alu 0xfffe
	s_or_b32 exec_lo, exec_lo, s22
	s_and_saveexec_b32 s22, vcc_lo
	s_cbranch_execnz .LBB428_301
	s_branch .LBB428_302
.LBB428_335:                            ;   in Loop: Header=BB428_236 Depth=2
	v_lshlrev_b32_e32 v2, 2, v93
	v_add_nc_u32_e32 v20, v1, v47
	ds_load_b32 v2, v2
	ds_load_b64 v[20:21], v20 offset:1024
	s_wait_dscnt 0x1
	v_add_nc_u32_e32 v2, v2, v1
	s_delay_alu instid0(VALU_DEP_1) | instskip(NEXT) | instid1(VALU_DEP_1)
	v_lshlrev_b64_e32 v[23:24], 3, v[2:3]
	v_add_co_u32 v23, s20, s26, v23
	s_wait_alu 0xf1ff
	s_delay_alu instid0(VALU_DEP_2)
	v_add_co_ci_u32_e64 v24, null, s27, v24, s20
	s_wait_dscnt 0x0
	global_store_b64 v[23:24], v[20:21], off
	s_wait_alu 0xfffe
	s_or_b32 exec_lo, exec_lo, s22
	s_and_saveexec_b32 s22, s21
	s_cbranch_execz .LBB428_304
.LBB428_336:                            ;   in Loop: Header=BB428_236 Depth=2
	v_lshlrev_b32_e32 v2, 2, v92
	v_add_nc_u32_e32 v20, v1, v47
	ds_load_b32 v2, v2
	ds_load_b64 v[20:21], v20 offset:3072
	s_wait_dscnt 0x1
	v_add_nc_u32_e32 v2, v2, v29
	s_delay_alu instid0(VALU_DEP_1) | instskip(NEXT) | instid1(VALU_DEP_1)
	v_lshlrev_b64_e32 v[23:24], 3, v[2:3]
	v_add_co_u32 v23, s20, s26, v23
	s_wait_alu 0xf1ff
	s_delay_alu instid0(VALU_DEP_2)
	v_add_co_ci_u32_e64 v24, null, s27, v24, s20
	s_wait_dscnt 0x0
	global_store_b64 v[23:24], v[20:21], off
	s_wait_alu 0xfffe
	s_or_b32 exec_lo, exec_lo, s22
	s_and_saveexec_b32 s20, s19
	s_cbranch_execz .LBB428_305
.LBB428_337:                            ;   in Loop: Header=BB428_236 Depth=2
	v_lshlrev_b32_e32 v2, 2, v91
	v_add_nc_u32_e32 v20, v1, v47
	ds_load_b32 v2, v2
	ds_load_b64 v[20:21], v20 offset:5120
	s_wait_dscnt 0x1
	v_add_nc_u32_e32 v2, v2, v30
	s_delay_alu instid0(VALU_DEP_1) | instskip(NEXT) | instid1(VALU_DEP_1)
	v_lshlrev_b64_e32 v[23:24], 3, v[2:3]
	v_add_co_u32 v23, s19, s26, v23
	s_wait_alu 0xf1ff
	s_delay_alu instid0(VALU_DEP_2)
	v_add_co_ci_u32_e64 v24, null, s27, v24, s19
	s_wait_dscnt 0x0
	global_store_b64 v[23:24], v[20:21], off
	s_wait_alu 0xfffe
	s_or_b32 exec_lo, exec_lo, s20
	s_and_saveexec_b32 s19, s18
	s_cbranch_execz .LBB428_306
.LBB428_338:                            ;   in Loop: Header=BB428_236 Depth=2
	v_lshlrev_b32_e32 v2, 2, v90
	v_add_nc_u32_e32 v20, v1, v47
	ds_load_b32 v2, v2
	ds_load_b64 v[20:21], v20 offset:7168
	s_wait_dscnt 0x1
	v_add_nc_u32_e32 v2, v2, v31
	s_delay_alu instid0(VALU_DEP_1) | instskip(NEXT) | instid1(VALU_DEP_1)
	v_lshlrev_b64_e32 v[23:24], 3, v[2:3]
	v_add_co_u32 v23, s18, s26, v23
	s_wait_alu 0xf1ff
	s_delay_alu instid0(VALU_DEP_2)
	v_add_co_ci_u32_e64 v24, null, s27, v24, s18
	s_wait_dscnt 0x0
	global_store_b64 v[23:24], v[20:21], off
	s_wait_alu 0xfffe
	s_or_b32 exec_lo, exec_lo, s19
	s_and_saveexec_b32 s18, s17
	s_cbranch_execz .LBB428_307
.LBB428_339:                            ;   in Loop: Header=BB428_236 Depth=2
	v_lshlrev_b32_e32 v2, 2, v89
	v_add_nc_u32_e32 v20, v1, v47
	ds_load_b32 v2, v2
	ds_load_b64 v[20:21], v20 offset:9216
	s_wait_dscnt 0x1
	v_add_nc_u32_e32 v2, v2, v34
	s_delay_alu instid0(VALU_DEP_1) | instskip(NEXT) | instid1(VALU_DEP_1)
	v_lshlrev_b64_e32 v[23:24], 3, v[2:3]
	v_add_co_u32 v23, s17, s26, v23
	s_wait_alu 0xf1ff
	s_delay_alu instid0(VALU_DEP_2)
	v_add_co_ci_u32_e64 v24, null, s27, v24, s17
	s_wait_dscnt 0x0
	global_store_b64 v[23:24], v[20:21], off
	s_wait_alu 0xfffe
	s_or_b32 exec_lo, exec_lo, s18
	s_and_saveexec_b32 s17, s16
	s_cbranch_execz .LBB428_308
.LBB428_340:                            ;   in Loop: Header=BB428_236 Depth=2
	v_lshlrev_b32_e32 v2, 2, v88
	v_add_nc_u32_e32 v20, v1, v47
	ds_load_b32 v2, v2
	ds_load_b64 v[20:21], v20 offset:11264
	s_wait_dscnt 0x1
	v_add_nc_u32_e32 v2, v2, v35
	s_delay_alu instid0(VALU_DEP_1) | instskip(NEXT) | instid1(VALU_DEP_1)
	v_lshlrev_b64_e32 v[23:24], 3, v[2:3]
	v_add_co_u32 v23, s16, s26, v23
	s_wait_alu 0xf1ff
	s_delay_alu instid0(VALU_DEP_2)
	v_add_co_ci_u32_e64 v24, null, s27, v24, s16
	s_wait_dscnt 0x0
	global_store_b64 v[23:24], v[20:21], off
	s_wait_alu 0xfffe
	s_or_b32 exec_lo, exec_lo, s17
	s_and_saveexec_b32 s16, s15
	s_cbranch_execz .LBB428_309
.LBB428_341:                            ;   in Loop: Header=BB428_236 Depth=2
	v_lshlrev_b32_e32 v2, 2, v87
	v_add_nc_u32_e32 v20, v1, v47
	ds_load_b32 v2, v2
	ds_load_b64 v[20:21], v20 offset:13312
	s_wait_dscnt 0x1
	v_add_nc_u32_e32 v2, v2, v36
	s_delay_alu instid0(VALU_DEP_1) | instskip(NEXT) | instid1(VALU_DEP_1)
	v_lshlrev_b64_e32 v[23:24], 3, v[2:3]
	v_add_co_u32 v23, s15, s26, v23
	s_wait_alu 0xf1ff
	s_delay_alu instid0(VALU_DEP_2)
	v_add_co_ci_u32_e64 v24, null, s27, v24, s15
	s_wait_dscnt 0x0
	global_store_b64 v[23:24], v[20:21], off
	s_wait_alu 0xfffe
	s_or_b32 exec_lo, exec_lo, s16
	s_and_saveexec_b32 s15, vcc_lo
	s_cbranch_execnz .LBB428_310
	s_branch .LBB428_311
.LBB428_342:                            ;   in Loop: Header=BB428_236 Depth=2
	global_load_u8 v94, v[20:21], off
	v_dual_mov_b32 v22, 0x7f :: v_dual_mov_b32 v27, 0x7f
	v_dual_mov_b32 v96, 0x7f :: v_dual_mov_b32 v25, 0x7f
	;; [unrolled: 1-line block ×3, first 2 shown]
	v_mov_b32_e32 v24, 0x7f
	s_wait_alu 0xfffe
	s_or_b32 exec_lo, exec_lo, s15
	s_delay_alu instid0(SALU_CYCLE_1)
	s_mov_b32 s15, exec_lo
	v_cmpx_gt_u32_e64 s42, v71
	s_cbranch_execz .LBB428_241
.LBB428_343:                            ;   in Loop: Header=BB428_236 Depth=2
	global_load_u8 v96, v[20:21], off offset:32
	s_wait_alu 0xfffe
	s_or_b32 exec_lo, exec_lo, s15
	s_delay_alu instid0(SALU_CYCLE_1)
	s_mov_b32 s15, exec_lo
	v_cmpx_gt_u32_e64 s42, v72
	s_cbranch_execz .LBB428_242
.LBB428_344:                            ;   in Loop: Header=BB428_236 Depth=2
	global_load_u8 v27, v[20:21], off offset:64
	s_wait_alu 0xfffe
	s_or_b32 exec_lo, exec_lo, s15
	s_delay_alu instid0(SALU_CYCLE_1)
	s_mov_b32 s15, exec_lo
	v_cmpx_gt_u32_e64 s42, v73
	s_cbranch_execz .LBB428_243
.LBB428_345:                            ;   in Loop: Header=BB428_236 Depth=2
	global_load_u8 v26, v[20:21], off offset:96
	s_wait_alu 0xfffe
	s_or_b32 exec_lo, exec_lo, s15
	s_delay_alu instid0(SALU_CYCLE_1)
	s_mov_b32 s15, exec_lo
	v_cmpx_gt_u32_e64 s42, v74
	s_cbranch_execz .LBB428_244
.LBB428_346:                            ;   in Loop: Header=BB428_236 Depth=2
	global_load_u8 v25, v[20:21], off offset:128
	s_wait_alu 0xfffe
	s_or_b32 exec_lo, exec_lo, s15
	s_delay_alu instid0(SALU_CYCLE_1)
	s_mov_b32 s15, exec_lo
	v_cmpx_gt_u32_e64 s42, v75
	s_cbranch_execz .LBB428_245
.LBB428_347:                            ;   in Loop: Header=BB428_236 Depth=2
	global_load_u8 v24, v[20:21], off offset:160
	s_wait_alu 0xfffe
	s_or_b32 exec_lo, exec_lo, s15
	s_delay_alu instid0(SALU_CYCLE_1)
	s_mov_b32 s15, exec_lo
	v_cmpx_gt_u32_e64 s42, v76
	s_cbranch_execnz .LBB428_246
	s_branch .LBB428_247
.LBB428_348:                            ;   in Loop: Header=BB428_20 Depth=1
	s_wait_loadcnt_dscnt 0x0
	s_barrier_signal -1
	s_barrier_wait -1
.LBB428_349:                            ;   in Loop: Header=BB428_20 Depth=1
	s_mov_b32 s0, 0
.LBB428_350:                            ;   in Loop: Header=BB428_20 Depth=1
	s_wait_alu 0xfffe
	s_and_not1_b32 vcc_lo, exec_lo, s0
	s_wait_alu 0xfffe
	s_cbranch_vccnz .LBB428_19
; %bb.351:                              ;   in Loop: Header=BB428_20 Depth=1
	s_and_b32 vcc_lo, exec_lo, s35
	s_mov_b32 s0, -1
	s_wait_alu 0xfffe
	s_cbranch_vccz .LBB428_515
; %bb.352:                              ;   in Loop: Header=BB428_20 Depth=1
	v_dual_mov_b32 v7, 0 :: v_dual_mov_b32 v10, 0
	v_dual_mov_b32 v9, 0 :: v_dual_mov_b32 v8, 0
	;; [unrolled: 1-line block ×3, first 2 shown]
	v_mov_b32_e32 v4, 0
	v_mov_b32_e32 v2, 0
	s_mov_b32 s9, s47
	s_mov_b32 s22, s33
	s_barrier_signal -1
	s_barrier_wait -1
	global_inv scope:SCOPE_SE
	s_branch .LBB428_354
.LBB428_353:                            ;   in Loop: Header=BB428_354 Depth=2
	s_wait_alu 0xfffe
	s_or_b32 exec_lo, exec_lo, s0
	s_addk_co_i32 s9, 0xf800
	s_cmp_ge_u32 s10, s34
	s_mov_b32 s22, s10
	s_cbranch_scc1 .LBB428_390
.LBB428_354:                            ;   Parent Loop BB428_20 Depth=1
                                        ; =>  This Inner Loop Header: Depth=2
	s_wait_alu 0xfffe
	s_add_co_i32 s10, s22, 0x800
	s_mov_b32 s0, -1
	s_wait_alu 0xfffe
	s_cmp_gt_u32 s10, s34
                                        ; implicit-def: $vgpr11
                                        ; implicit-def: $vgpr12
                                        ; implicit-def: $vgpr13
                                        ; implicit-def: $vgpr14
                                        ; implicit-def: $vgpr15
                                        ; implicit-def: $vgpr16
                                        ; implicit-def: $vgpr17
                                        ; implicit-def: $vgpr18
	s_cbranch_scc1 .LBB428_356
; %bb.355:                              ;   in Loop: Header=BB428_354 Depth=2
	v_add_co_u32 v19, vcc_lo, v54, s22
	s_wait_alu 0xfffd
	v_add_co_ci_u32_e64 v20, null, 0, v55, vcc_lo
	s_mov_b32 s0, 0
	s_clause 0x7
	global_load_u8 v18, v[19:20], off offset:1792
	global_load_u8 v17, v[19:20], off offset:1536
	;; [unrolled: 1-line block ×7, first 2 shown]
	global_load_u8 v11, v[19:20], off
.LBB428_356:                            ;   in Loop: Header=BB428_354 Depth=2
	s_wait_alu 0xfffe
	s_and_not1_b32 vcc_lo, exec_lo, s0
	s_movk_i32 s0, 0x800
	s_wait_alu 0xfffe
	s_cbranch_vccnz .LBB428_367
; %bb.357:                              ;   in Loop: Header=BB428_354 Depth=2
	s_add_nc_u64 s[0:1], s[36:37], s[22:23]
	s_mov_b32 s11, exec_lo
	v_cmpx_gt_u32_e64 s9, v1
	s_cbranch_execnz .LBB428_383
; %bb.358:                              ;   in Loop: Header=BB428_354 Depth=2
	s_wait_alu 0xfffe
	s_or_b32 exec_lo, exec_lo, s11
	s_delay_alu instid0(SALU_CYCLE_1)
	s_mov_b32 s11, exec_lo
	v_cmpx_gt_u32_e64 s9, v29
	s_cbranch_execnz .LBB428_384
.LBB428_359:                            ;   in Loop: Header=BB428_354 Depth=2
	s_wait_alu 0xfffe
	s_or_b32 exec_lo, exec_lo, s11
	s_delay_alu instid0(SALU_CYCLE_1)
	s_mov_b32 s11, exec_lo
	v_cmpx_gt_u32_e64 s9, v30
	s_cbranch_execnz .LBB428_385
.LBB428_360:                            ;   in Loop: Header=BB428_354 Depth=2
	s_wait_alu 0xfffe
	s_or_b32 exec_lo, exec_lo, s11
	s_delay_alu instid0(SALU_CYCLE_1)
	s_mov_b32 s11, exec_lo
	v_cmpx_gt_u32_e64 s9, v31
	s_cbranch_execnz .LBB428_386
.LBB428_361:                            ;   in Loop: Header=BB428_354 Depth=2
	s_wait_alu 0xfffe
	s_or_b32 exec_lo, exec_lo, s11
	s_delay_alu instid0(SALU_CYCLE_1)
	s_mov_b32 s11, exec_lo
	v_cmpx_gt_u32_e64 s9, v34
	s_cbranch_execnz .LBB428_387
.LBB428_362:                            ;   in Loop: Header=BB428_354 Depth=2
	s_wait_alu 0xfffe
	s_or_b32 exec_lo, exec_lo, s11
	s_delay_alu instid0(SALU_CYCLE_1)
	s_mov_b32 s11, exec_lo
	v_cmpx_gt_u32_e64 s9, v35
	s_cbranch_execnz .LBB428_388
.LBB428_363:                            ;   in Loop: Header=BB428_354 Depth=2
	s_wait_alu 0xfffe
	s_or_b32 exec_lo, exec_lo, s11
	s_delay_alu instid0(SALU_CYCLE_1)
	s_mov_b32 s11, exec_lo
	v_cmpx_gt_u32_e64 s9, v36
	s_cbranch_execnz .LBB428_389
.LBB428_364:                            ;   in Loop: Header=BB428_354 Depth=2
	s_wait_alu 0xfffe
	s_or_b32 exec_lo, exec_lo, s11
	s_delay_alu instid0(SALU_CYCLE_1)
	s_mov_b32 s11, exec_lo
	v_cmpx_gt_u32_e64 s9, v37
	s_cbranch_execz .LBB428_366
.LBB428_365:                            ;   in Loop: Header=BB428_354 Depth=2
	s_wait_loadcnt 0x0
	v_add_co_u32 v11, s0, s0, v1
	s_wait_alu 0xf1ff
	v_add_co_ci_u32_e64 v12, null, s1, 0, s0
	global_load_u8 v2, v[11:12], off offset:1792
.LBB428_366:                            ;   in Loop: Header=BB428_354 Depth=2
	s_wait_alu 0xfffe
	s_or_b32 exec_lo, exec_lo, s11
	s_wait_loadcnt 0x0
	v_dual_mov_b32 v11, v7 :: v_dual_mov_b32 v12, v10
	v_dual_mov_b32 v13, v9 :: v_dual_mov_b32 v14, v8
	v_dual_mov_b32 v15, v6 :: v_dual_mov_b32 v16, v5
	v_dual_mov_b32 v17, v4 :: v_dual_mov_b32 v18, v2
	s_mov_b32 s0, s9
.LBB428_367:                            ;   in Loop: Header=BB428_354 Depth=2
	s_wait_loadcnt 0x5
	s_delay_alu instid0(VALU_DEP_1)
	v_dual_mov_b32 v2, v18 :: v_dual_mov_b32 v5, v16
	s_wait_loadcnt 0x2
	v_dual_mov_b32 v4, v17 :: v_dual_mov_b32 v9, v13
	s_wait_loadcnt 0x0
	v_dual_mov_b32 v6, v15 :: v_dual_mov_b32 v7, v11
	v_mov_b32_e32 v8, v14
	v_mov_b32_e32 v10, v12
	s_mov_b32 s1, exec_lo
	s_wait_alu 0xfffe
	v_cmpx_gt_u32_e64 s0, v1
	s_cbranch_execnz .LBB428_375
; %bb.368:                              ;   in Loop: Header=BB428_354 Depth=2
	s_or_b32 exec_lo, exec_lo, s1
	s_delay_alu instid0(SALU_CYCLE_1)
	s_mov_b32 s1, exec_lo
	v_cmpx_gt_u32_e64 s0, v29
	s_cbranch_execnz .LBB428_376
.LBB428_369:                            ;   in Loop: Header=BB428_354 Depth=2
	s_wait_alu 0xfffe
	s_or_b32 exec_lo, exec_lo, s1
	s_delay_alu instid0(SALU_CYCLE_1)
	s_mov_b32 s1, exec_lo
	v_cmpx_gt_u32_e64 s0, v30
	s_cbranch_execnz .LBB428_377
.LBB428_370:                            ;   in Loop: Header=BB428_354 Depth=2
	s_wait_alu 0xfffe
	s_or_b32 exec_lo, exec_lo, s1
	s_delay_alu instid0(SALU_CYCLE_1)
	s_mov_b32 s1, exec_lo
	v_cmpx_gt_u32_e64 s0, v31
	s_cbranch_execnz .LBB428_378
.LBB428_371:                            ;   in Loop: Header=BB428_354 Depth=2
	s_wait_alu 0xfffe
	s_or_b32 exec_lo, exec_lo, s1
	s_delay_alu instid0(SALU_CYCLE_1)
	s_mov_b32 s1, exec_lo
	v_cmpx_gt_u32_e64 s0, v34
	s_cbranch_execnz .LBB428_379
.LBB428_372:                            ;   in Loop: Header=BB428_354 Depth=2
	s_wait_alu 0xfffe
	s_or_b32 exec_lo, exec_lo, s1
	s_delay_alu instid0(SALU_CYCLE_1)
	s_mov_b32 s1, exec_lo
	v_cmpx_gt_u32_e64 s0, v35
	s_cbranch_execnz .LBB428_380
.LBB428_373:                            ;   in Loop: Header=BB428_354 Depth=2
	s_wait_alu 0xfffe
	s_or_b32 exec_lo, exec_lo, s1
	s_delay_alu instid0(SALU_CYCLE_1)
	s_mov_b32 s1, exec_lo
	v_cmpx_gt_u32_e64 s0, v36
	s_cbranch_execnz .LBB428_381
.LBB428_374:                            ;   in Loop: Header=BB428_354 Depth=2
	s_wait_alu 0xfffe
	s_or_b32 exec_lo, exec_lo, s1
	v_cmp_gt_u32_e32 vcc_lo, s0, v37
	s_and_saveexec_b32 s0, vcc_lo
	s_cbranch_execz .LBB428_353
	s_branch .LBB428_382
.LBB428_375:                            ;   in Loop: Header=BB428_354 Depth=2
	v_xor_b32_e32 v11, 0x80, v7
	s_delay_alu instid0(VALU_DEP_1) | instskip(NEXT) | instid1(VALU_DEP_1)
	v_and_b32_e32 v11, 0xff, v11
	v_lshrrev_b32_e32 v11, s45, v11
	s_delay_alu instid0(VALU_DEP_1) | instskip(NEXT) | instid1(VALU_DEP_1)
	v_and_b32_e32 v11, s31, v11
	v_lshl_or_b32 v11, v11, 4, v39
	ds_add_u32 v11, v61
	s_or_b32 exec_lo, exec_lo, s1
	s_delay_alu instid0(SALU_CYCLE_1)
	s_mov_b32 s1, exec_lo
	v_cmpx_gt_u32_e64 s0, v29
	s_cbranch_execz .LBB428_369
.LBB428_376:                            ;   in Loop: Header=BB428_354 Depth=2
	v_xor_b32_e32 v11, 0x80, v10
	s_delay_alu instid0(VALU_DEP_1) | instskip(NEXT) | instid1(VALU_DEP_1)
	v_and_b32_e32 v11, 0xff, v11
	v_lshrrev_b32_e32 v11, s45, v11
	s_delay_alu instid0(VALU_DEP_1) | instskip(NEXT) | instid1(VALU_DEP_1)
	v_and_b32_e32 v11, s31, v11
	v_lshl_or_b32 v11, v11, 4, v39
	ds_add_u32 v11, v61
	s_wait_alu 0xfffe
	s_or_b32 exec_lo, exec_lo, s1
	s_delay_alu instid0(SALU_CYCLE_1)
	s_mov_b32 s1, exec_lo
	v_cmpx_gt_u32_e64 s0, v30
	s_cbranch_execz .LBB428_370
.LBB428_377:                            ;   in Loop: Header=BB428_354 Depth=2
	v_xor_b32_e32 v11, 0x80, v9
	s_delay_alu instid0(VALU_DEP_1) | instskip(NEXT) | instid1(VALU_DEP_1)
	v_and_b32_e32 v11, 0xff, v11
	v_lshrrev_b32_e32 v11, s45, v11
	s_delay_alu instid0(VALU_DEP_1) | instskip(NEXT) | instid1(VALU_DEP_1)
	v_and_b32_e32 v11, s31, v11
	v_lshl_or_b32 v11, v11, 4, v39
	ds_add_u32 v11, v61
	s_wait_alu 0xfffe
	s_or_b32 exec_lo, exec_lo, s1
	s_delay_alu instid0(SALU_CYCLE_1)
	s_mov_b32 s1, exec_lo
	v_cmpx_gt_u32_e64 s0, v31
	s_cbranch_execz .LBB428_371
.LBB428_378:                            ;   in Loop: Header=BB428_354 Depth=2
	v_xor_b32_e32 v11, 0x80, v8
	s_delay_alu instid0(VALU_DEP_1) | instskip(NEXT) | instid1(VALU_DEP_1)
	v_and_b32_e32 v11, 0xff, v11
	v_lshrrev_b32_e32 v11, s45, v11
	s_delay_alu instid0(VALU_DEP_1) | instskip(NEXT) | instid1(VALU_DEP_1)
	v_and_b32_e32 v11, s31, v11
	v_lshl_or_b32 v11, v11, 4, v39
	ds_add_u32 v11, v61
	s_wait_alu 0xfffe
	s_or_b32 exec_lo, exec_lo, s1
	s_delay_alu instid0(SALU_CYCLE_1)
	s_mov_b32 s1, exec_lo
	v_cmpx_gt_u32_e64 s0, v34
	s_cbranch_execz .LBB428_372
.LBB428_379:                            ;   in Loop: Header=BB428_354 Depth=2
	v_xor_b32_e32 v11, 0x80, v6
	s_delay_alu instid0(VALU_DEP_1) | instskip(NEXT) | instid1(VALU_DEP_1)
	v_and_b32_e32 v11, 0xff, v11
	v_lshrrev_b32_e32 v11, s45, v11
	s_delay_alu instid0(VALU_DEP_1) | instskip(NEXT) | instid1(VALU_DEP_1)
	v_and_b32_e32 v11, s31, v11
	v_lshl_or_b32 v11, v11, 4, v39
	ds_add_u32 v11, v61
	s_wait_alu 0xfffe
	s_or_b32 exec_lo, exec_lo, s1
	s_delay_alu instid0(SALU_CYCLE_1)
	s_mov_b32 s1, exec_lo
	v_cmpx_gt_u32_e64 s0, v35
	s_cbranch_execz .LBB428_373
.LBB428_380:                            ;   in Loop: Header=BB428_354 Depth=2
	v_xor_b32_e32 v11, 0x80, v5
	s_delay_alu instid0(VALU_DEP_1) | instskip(NEXT) | instid1(VALU_DEP_1)
	v_and_b32_e32 v11, 0xff, v11
	v_lshrrev_b32_e32 v11, s45, v11
	s_delay_alu instid0(VALU_DEP_1) | instskip(NEXT) | instid1(VALU_DEP_1)
	v_and_b32_e32 v11, s31, v11
	v_lshl_or_b32 v11, v11, 4, v39
	ds_add_u32 v11, v61
	s_wait_alu 0xfffe
	s_or_b32 exec_lo, exec_lo, s1
	s_delay_alu instid0(SALU_CYCLE_1)
	s_mov_b32 s1, exec_lo
	v_cmpx_gt_u32_e64 s0, v36
	s_cbranch_execz .LBB428_374
.LBB428_381:                            ;   in Loop: Header=BB428_354 Depth=2
	v_xor_b32_e32 v11, 0x80, v4
	s_delay_alu instid0(VALU_DEP_1) | instskip(NEXT) | instid1(VALU_DEP_1)
	v_and_b32_e32 v11, 0xff, v11
	v_lshrrev_b32_e32 v11, s45, v11
	s_delay_alu instid0(VALU_DEP_1) | instskip(NEXT) | instid1(VALU_DEP_1)
	v_and_b32_e32 v11, s31, v11
	v_lshl_or_b32 v11, v11, 4, v39
	ds_add_u32 v11, v61
	s_wait_alu 0xfffe
	s_or_b32 exec_lo, exec_lo, s1
	v_cmp_gt_u32_e32 vcc_lo, s0, v37
	s_and_saveexec_b32 s0, vcc_lo
	s_cbranch_execz .LBB428_353
.LBB428_382:                            ;   in Loop: Header=BB428_354 Depth=2
	v_xor_b32_e32 v11, 0x80, v2
	s_delay_alu instid0(VALU_DEP_1) | instskip(NEXT) | instid1(VALU_DEP_1)
	v_and_b32_e32 v11, 0xff, v11
	v_lshrrev_b32_e32 v11, s45, v11
	s_delay_alu instid0(VALU_DEP_1) | instskip(NEXT) | instid1(VALU_DEP_1)
	v_and_b32_e32 v11, s31, v11
	v_lshl_or_b32 v11, v11, 4, v39
	ds_add_u32 v11, v61
	s_branch .LBB428_353
.LBB428_383:                            ;   in Loop: Header=BB428_354 Depth=2
	s_wait_loadcnt 0x0
	s_wait_alu 0xfffe
	v_add_co_u32 v11, s12, s0, v1
	s_wait_alu 0xf1ff
	v_add_co_ci_u32_e64 v12, null, s1, 0, s12
	global_load_u8 v7, v[11:12], off
	s_or_b32 exec_lo, exec_lo, s11
	s_delay_alu instid0(SALU_CYCLE_1)
	s_mov_b32 s11, exec_lo
	v_cmpx_gt_u32_e64 s9, v29
	s_cbranch_execz .LBB428_359
.LBB428_384:                            ;   in Loop: Header=BB428_354 Depth=2
	v_add_co_u32 v10, s12, s0, v1
	s_wait_loadcnt 0x0
	s_wait_alu 0xf1ff
	v_add_co_ci_u32_e64 v11, null, s1, 0, s12
	global_load_u8 v10, v[10:11], off offset:256
	s_wait_alu 0xfffe
	s_or_b32 exec_lo, exec_lo, s11
	s_delay_alu instid0(SALU_CYCLE_1)
	s_mov_b32 s11, exec_lo
	v_cmpx_gt_u32_e64 s9, v30
	s_cbranch_execz .LBB428_360
.LBB428_385:                            ;   in Loop: Header=BB428_354 Depth=2
	s_wait_loadcnt 0x0
	v_add_co_u32 v11, s12, s0, v1
	s_wait_alu 0xf1ff
	v_add_co_ci_u32_e64 v12, null, s1, 0, s12
	global_load_u8 v9, v[11:12], off offset:512
	s_wait_alu 0xfffe
	s_or_b32 exec_lo, exec_lo, s11
	s_delay_alu instid0(SALU_CYCLE_1)
	s_mov_b32 s11, exec_lo
	v_cmpx_gt_u32_e64 s9, v31
	s_cbranch_execz .LBB428_361
.LBB428_386:                            ;   in Loop: Header=BB428_354 Depth=2
	s_wait_loadcnt 0x0
	v_add_co_u32 v11, s12, s0, v1
	s_wait_alu 0xf1ff
	v_add_co_ci_u32_e64 v12, null, s1, 0, s12
	global_load_u8 v8, v[11:12], off offset:768
	s_wait_alu 0xfffe
	s_or_b32 exec_lo, exec_lo, s11
	s_delay_alu instid0(SALU_CYCLE_1)
	s_mov_b32 s11, exec_lo
	v_cmpx_gt_u32_e64 s9, v34
	s_cbranch_execz .LBB428_362
.LBB428_387:                            ;   in Loop: Header=BB428_354 Depth=2
	s_wait_loadcnt 0x0
	v_add_co_u32 v11, s12, s0, v1
	s_wait_alu 0xf1ff
	v_add_co_ci_u32_e64 v12, null, s1, 0, s12
	global_load_u8 v6, v[11:12], off offset:1024
	s_wait_alu 0xfffe
	s_or_b32 exec_lo, exec_lo, s11
	s_delay_alu instid0(SALU_CYCLE_1)
	s_mov_b32 s11, exec_lo
	v_cmpx_gt_u32_e64 s9, v35
	s_cbranch_execz .LBB428_363
.LBB428_388:                            ;   in Loop: Header=BB428_354 Depth=2
	s_wait_loadcnt 0x0
	v_add_co_u32 v11, s12, s0, v1
	s_wait_alu 0xf1ff
	v_add_co_ci_u32_e64 v12, null, s1, 0, s12
	global_load_u8 v5, v[11:12], off offset:1280
	s_wait_alu 0xfffe
	s_or_b32 exec_lo, exec_lo, s11
	s_delay_alu instid0(SALU_CYCLE_1)
	s_mov_b32 s11, exec_lo
	v_cmpx_gt_u32_e64 s9, v36
	s_cbranch_execz .LBB428_364
.LBB428_389:                            ;   in Loop: Header=BB428_354 Depth=2
	s_wait_loadcnt 0x0
	v_add_co_u32 v11, s12, s0, v1
	s_wait_alu 0xf1ff
	v_add_co_ci_u32_e64 v12, null, s1, 0, s12
	global_load_u8 v4, v[11:12], off offset:1536
	s_wait_alu 0xfffe
	s_or_b32 exec_lo, exec_lo, s11
	s_delay_alu instid0(SALU_CYCLE_1)
	s_mov_b32 s11, exec_lo
	v_cmpx_gt_u32_e64 s9, v37
	s_cbranch_execnz .LBB428_365
	s_branch .LBB428_366
.LBB428_390:                            ;   in Loop: Header=BB428_20 Depth=1
	v_mov_b32_e32 v2, 0
	s_wait_dscnt 0x0
	s_barrier_signal -1
	s_barrier_wait -1
	global_inv scope:SCOPE_SE
	s_and_saveexec_b32 s0, s2
	s_cbranch_execz .LBB428_392
; %bb.391:                              ;   in Loop: Header=BB428_20 Depth=1
	ds_load_2addr_b64 v[4:7], v40 offset1:1
	s_wait_dscnt 0x0
	v_add_nc_u32_e32 v2, v5, v4
	s_delay_alu instid0(VALU_DEP_1)
	v_add3_u32 v2, v2, v6, v7
.LBB428_392:                            ;   in Loop: Header=BB428_20 Depth=1
	s_wait_alu 0xfffe
	s_or_b32 exec_lo, exec_lo, s0
	s_delay_alu instid0(VALU_DEP_1)
	v_mov_b32_dpp v4, v2 row_shr:1 row_mask:0xf bank_mask:0xf
	v_cmp_eq_u32_e64 s0, 0, v62
	v_cmp_lt_u32_e64 s1, 1, v62
	v_cmp_lt_u32_e64 s9, 3, v62
	;; [unrolled: 1-line block ×3, first 2 shown]
	v_cmp_eq_u32_e64 s11, 0, v64
	s_wait_alu 0xf1ff
	v_cndmask_b32_e64 v4, v4, 0, s0
	s_delay_alu instid0(VALU_DEP_1) | instskip(NEXT) | instid1(VALU_DEP_1)
	v_add_nc_u32_e32 v2, v4, v2
	v_mov_b32_dpp v4, v2 row_shr:2 row_mask:0xf bank_mask:0xf
	s_delay_alu instid0(VALU_DEP_1) | instskip(NEXT) | instid1(VALU_DEP_1)
	v_cndmask_b32_e64 v4, 0, v4, s1
	v_add_nc_u32_e32 v2, v2, v4
	s_delay_alu instid0(VALU_DEP_1) | instskip(NEXT) | instid1(VALU_DEP_1)
	v_mov_b32_dpp v4, v2 row_shr:4 row_mask:0xf bank_mask:0xf
	v_cndmask_b32_e64 v4, 0, v4, s9
	s_delay_alu instid0(VALU_DEP_1) | instskip(NEXT) | instid1(VALU_DEP_1)
	v_add_nc_u32_e32 v2, v2, v4
	v_mov_b32_dpp v4, v2 row_shr:8 row_mask:0xf bank_mask:0xf
	s_delay_alu instid0(VALU_DEP_1) | instskip(NEXT) | instid1(VALU_DEP_1)
	v_cndmask_b32_e64 v4, 0, v4, s10
	v_add_nc_u32_e32 v2, v2, v4
	ds_swizzle_b32 v4, v2 offset:swizzle(BROADCAST,32,15)
	s_wait_dscnt 0x0
	v_and_b32_e32 v4, v63, v4
	s_delay_alu instid0(VALU_DEP_1)
	v_add_nc_u32_e32 v2, v2, v4
	s_and_saveexec_b32 s12, s3
; %bb.393:                              ;   in Loop: Header=BB428_20 Depth=1
	ds_store_b32 v41, v2
; %bb.394:                              ;   in Loop: Header=BB428_20 Depth=1
	s_wait_alu 0xfffe
	s_or_b32 exec_lo, exec_lo, s12
	s_wait_loadcnt_dscnt 0x0
	s_barrier_signal -1
	s_barrier_wait -1
	global_inv scope:SCOPE_SE
	s_and_saveexec_b32 s12, s4
	s_cbranch_execz .LBB428_396
; %bb.395:                              ;   in Loop: Header=BB428_20 Depth=1
	ds_load_b32 v4, v42
	v_cmp_ne_u32_e32 vcc_lo, 0, v65
	s_wait_dscnt 0x0
	v_mov_b32_dpp v5, v4 row_shr:1 row_mask:0xf bank_mask:0xf
	s_wait_alu 0xfffd
	s_delay_alu instid0(VALU_DEP_1) | instskip(SKIP_1) | instid1(VALU_DEP_2)
	v_cndmask_b32_e32 v5, 0, v5, vcc_lo
	v_cmp_lt_u32_e32 vcc_lo, 1, v65
	v_add_nc_u32_e32 v4, v5, v4
	s_delay_alu instid0(VALU_DEP_1) | instskip(SKIP_1) | instid1(VALU_DEP_1)
	v_mov_b32_dpp v5, v4 row_shr:2 row_mask:0xf bank_mask:0xf
	s_wait_alu 0xfffd
	v_cndmask_b32_e32 v5, 0, v5, vcc_lo
	v_cmp_lt_u32_e32 vcc_lo, 3, v65
	s_delay_alu instid0(VALU_DEP_2) | instskip(NEXT) | instid1(VALU_DEP_1)
	v_add_nc_u32_e32 v4, v4, v5
	v_mov_b32_dpp v5, v4 row_shr:4 row_mask:0xf bank_mask:0xf
	s_wait_alu 0xfffd
	s_delay_alu instid0(VALU_DEP_1) | instskip(NEXT) | instid1(VALU_DEP_1)
	v_cndmask_b32_e32 v5, 0, v5, vcc_lo
	v_add_nc_u32_e32 v4, v4, v5
	ds_store_b32 v42, v4
.LBB428_396:                            ;   in Loop: Header=BB428_20 Depth=1
	s_wait_alu 0xfffe
	s_or_b32 exec_lo, exec_lo, s12
	v_mov_b32_e32 v4, 0
	s_wait_loadcnt_dscnt 0x0
	s_barrier_signal -1
	s_barrier_wait -1
	global_inv scope:SCOPE_SE
	s_and_saveexec_b32 s12, s5
; %bb.397:                              ;   in Loop: Header=BB428_20 Depth=1
	ds_load_b32 v4, v43
; %bb.398:                              ;   in Loop: Header=BB428_20 Depth=1
	s_wait_alu 0xfffe
	s_or_b32 exec_lo, exec_lo, s12
	v_cmp_gt_i32_e32 vcc_lo, 0, v67
	s_wait_dscnt 0x0
	v_add_nc_u32_e32 v2, v4, v2
	s_wait_loadcnt 0x0
	s_barrier_signal -1
	s_barrier_wait -1
	s_wait_alu 0xfffd
	v_cndmask_b32_e32 v5, v67, v58, vcc_lo
	global_inv scope:SCOPE_SE
	v_lshlrev_b32_e32 v80, 2, v5
	ds_bpermute_b32 v2, v80, v2
	s_and_saveexec_b32 s12, s2
	s_cbranch_execz .LBB428_400
; %bb.399:                              ;   in Loop: Header=BB428_20 Depth=1
	s_wait_dscnt 0x0
	v_cndmask_b32_e64 v2, v2, v4, s8
	s_delay_alu instid0(VALU_DEP_1)
	v_add_nc_u32_e32 v2, s33, v2
	ds_store_b32 v28, v2
.LBB428_400:                            ;   in Loop: Header=BB428_20 Depth=1
	s_wait_alu 0xfffe
	s_or_b32 exec_lo, exec_lo, s12
	s_load_b64 s[12:13], s[28:29], 0x0
	v_add_co_u32 v81, vcc_lo, v56, v66
	s_wait_alu 0xfffd
	v_add_co_ci_u32_e64 v82, null, 0, v57, vcc_lo
	v_add_co_u32 v83, vcc_lo, v59, v58
	s_wait_alu 0xfffd
	v_add_co_ci_u32_e64 v84, null, 0, v60, vcc_lo
	s_mov_b32 s42, s47
                                        ; implicit-def: $vgpr6_vgpr7
                                        ; implicit-def: $vgpr8_vgpr9
                                        ; implicit-def: $vgpr10_vgpr11
                                        ; implicit-def: $vgpr12_vgpr13
                                        ; implicit-def: $vgpr14_vgpr15
                                        ; implicit-def: $vgpr16_vgpr17
                                        ; implicit-def: $vgpr18_vgpr19
                                        ; implicit-def: $vgpr86
                                        ; implicit-def: $vgpr87
                                        ; implicit-def: $vgpr88
                                        ; implicit-def: $vgpr89
                                        ; implicit-def: $vgpr90
                                        ; implicit-def: $vgpr91
                                        ; implicit-def: $vgpr92
                                        ; implicit-def: $vgpr93
	s_wait_kmcnt 0x0
	s_cmp_lt_u32 ttmp7, s13
	s_cselect_b32 s22, 14, 20
	s_cmp_lt_u32 ttmp9, s12
	s_wait_alu 0xfffe
	s_add_nc_u64 s[14:15], s[28:29], s[22:23]
	s_cselect_b32 s22, 12, 18
	s_load_u16 s14, s[14:15], 0x0
	s_add_nc_u64 s[12:13], s[28:29], s[22:23]
	s_mov_b32 s22, s33
	s_load_u16 s12, s[12:13], 0x0
	v_cmp_lt_u32_e64 s13, 1, v65
	s_wait_dscnt 0x0
	s_wait_kmcnt 0x0
	v_mad_u32_u24 v2, v44, s14, v0
	v_cmp_lt_u32_e64 s14, 3, v65
	s_delay_alu instid0(VALU_DEP_2) | instskip(SKIP_1) | instid1(VALU_DEP_2)
	v_mad_co_u64_u32 v[4:5], null, v2, s12, v[1:2]
	v_cmp_eq_u32_e64 s12, 0, v65
	v_lshrrev_b32_e32 v2, 3, v4
                                        ; implicit-def: $vgpr4_vgpr5
	s_delay_alu instid0(VALU_DEP_1)
	v_and_b32_e32 v85, 0x1ffffffc, v2
	s_branch .LBB428_402
.LBB428_401:                            ;   in Loop: Header=BB428_402 Depth=2
	s_wait_alu 0xfffe
	s_or_b32 exec_lo, exec_lo, s15
	s_addk_co_i32 s42, 0xf800
	s_cmp_lt_u32 s43, s34
	s_mov_b32 s22, s43
	s_cbranch_scc0 .LBB428_514
.LBB428_402:                            ;   Parent Loop BB428_20 Depth=1
                                        ; =>  This Inner Loop Header: Depth=2
	s_wait_alu 0xfffe
	s_add_co_i32 s43, s22, 0x800
	s_wait_alu 0xfffe
	s_cmp_gt_u32 s43, s34
	s_cbranch_scc1 .LBB428_404
; %bb.403:                              ;   in Loop: Header=BB428_402 Depth=2
	v_add_co_u32 v20, vcc_lo, v83, s22
	s_wait_alu 0xfffd
	v_add_co_ci_u32_e64 v21, null, 0, v84, vcc_lo
	s_mov_b32 s15, -1
	s_clause 0x6
	global_load_u8 v23, v[20:21], off offset:192
	global_load_u8 v24, v[20:21], off offset:160
	;; [unrolled: 1-line block ×6, first 2 shown]
	global_load_u8 v94, v[20:21], off
	s_movk_i32 s16, 0x800
                                        ; implicit-def: $vgpr22
	s_cbranch_execz .LBB428_405
	s_branch .LBB428_414
.LBB428_404:                            ;   in Loop: Header=BB428_402 Depth=2
	s_mov_b32 s15, 0
                                        ; implicit-def: $vgpr94
                                        ; implicit-def: $vgpr96
                                        ; implicit-def: $vgpr27
                                        ; implicit-def: $vgpr26
                                        ; implicit-def: $vgpr25
                                        ; implicit-def: $vgpr24
                                        ; implicit-def: $vgpr23
	s_movk_i32 s16, 0x800
                                        ; implicit-def: $vgpr22
.LBB428_405:                            ;   in Loop: Header=BB428_402 Depth=2
	v_add_co_u32 v20, vcc_lo, v83, s22
	s_wait_alu 0xfffd
	v_add_co_ci_u32_e64 v21, null, 0, v84, vcc_lo
	s_wait_loadcnt 0x2
	v_dual_mov_b32 v22, 0x7f :: v_dual_mov_b32 v27, 0x7f
	s_wait_loadcnt 0x0
	v_dual_mov_b32 v94, 0x7f :: v_dual_mov_b32 v25, 0x7f
	v_dual_mov_b32 v96, 0x7f :: v_dual_mov_b32 v23, 0x7f
	v_mov_b32_e32 v26, 0x7f
	v_mov_b32_e32 v24, 0x7f
	s_mov_b32 s15, exec_lo
	v_cmpx_gt_u32_e64 s42, v68
	s_cbranch_execnz .LBB428_508
; %bb.406:                              ;   in Loop: Header=BB428_402 Depth=2
	s_wait_alu 0xfffe
	s_or_b32 exec_lo, exec_lo, s15
	s_delay_alu instid0(SALU_CYCLE_1)
	s_mov_b32 s15, exec_lo
	v_cmpx_gt_u32_e64 s42, v71
	s_cbranch_execnz .LBB428_509
.LBB428_407:                            ;   in Loop: Header=BB428_402 Depth=2
	s_wait_alu 0xfffe
	s_or_b32 exec_lo, exec_lo, s15
	s_delay_alu instid0(SALU_CYCLE_1)
	s_mov_b32 s15, exec_lo
	v_cmpx_gt_u32_e64 s42, v72
	s_cbranch_execnz .LBB428_510
.LBB428_408:                            ;   in Loop: Header=BB428_402 Depth=2
	s_wait_alu 0xfffe
	s_or_b32 exec_lo, exec_lo, s15
	s_delay_alu instid0(SALU_CYCLE_1)
	s_mov_b32 s15, exec_lo
	v_cmpx_gt_u32_e64 s42, v73
	s_cbranch_execnz .LBB428_511
.LBB428_409:                            ;   in Loop: Header=BB428_402 Depth=2
	s_wait_alu 0xfffe
	s_or_b32 exec_lo, exec_lo, s15
	s_delay_alu instid0(SALU_CYCLE_1)
	s_mov_b32 s15, exec_lo
	v_cmpx_gt_u32_e64 s42, v74
	s_cbranch_execnz .LBB428_512
.LBB428_410:                            ;   in Loop: Header=BB428_402 Depth=2
	s_wait_alu 0xfffe
	s_or_b32 exec_lo, exec_lo, s15
	s_delay_alu instid0(SALU_CYCLE_1)
	s_mov_b32 s15, exec_lo
	v_cmpx_gt_u32_e64 s42, v75
	s_cbranch_execnz .LBB428_513
.LBB428_411:                            ;   in Loop: Header=BB428_402 Depth=2
	s_wait_alu 0xfffe
	s_or_b32 exec_lo, exec_lo, s15
	s_delay_alu instid0(SALU_CYCLE_1)
	s_mov_b32 s15, exec_lo
	v_cmpx_gt_u32_e64 s42, v76
	s_cbranch_execz .LBB428_413
.LBB428_412:                            ;   in Loop: Header=BB428_402 Depth=2
	global_load_u8 v23, v[20:21], off offset:192
.LBB428_413:                            ;   in Loop: Header=BB428_402 Depth=2
	s_wait_alu 0xfffe
	s_or_b32 exec_lo, exec_lo, s15
	v_cmp_gt_u32_e64 s15, s42, v77
	s_sub_co_i32 s16, s34, s22
.LBB428_414:                            ;   in Loop: Header=BB428_402 Depth=2
	v_mov_b32_e32 v2, s42
	s_wait_alu 0xfffe
	s_and_saveexec_b32 s17, s15
	s_cbranch_execz .LBB428_416
; %bb.415:                              ;   in Loop: Header=BB428_402 Depth=2
	v_add_co_u32 v20, vcc_lo, v83, s22
	s_wait_alu 0xfffd
	v_add_co_ci_u32_e64 v21, null, s23, v84, vcc_lo
	v_mov_b32_e32 v2, s16
	global_load_u8 v22, v[20:21], off offset:224
.LBB428_416:                            ;   in Loop: Header=BB428_402 Depth=2
	s_wait_alu 0xfffe
	s_or_b32 exec_lo, exec_lo, s17
	s_wait_loadcnt 0x0
	v_xor_b32_e32 v94, 0xffffff80, v94
	s_delay_alu instid0(VALU_DEP_1) | instskip(NEXT) | instid1(VALU_DEP_1)
	v_and_b32_e32 v20, 0xff, v94
	v_lshrrev_b32_e32 v20, s45, v20
	s_delay_alu instid0(VALU_DEP_1) | instskip(NEXT) | instid1(VALU_DEP_1)
	v_and_b32_e32 v21, s31, v20
	v_and_b32_e32 v20, 1, v21
	v_lshlrev_b32_e32 v95, 30, v21
	v_lshlrev_b32_e32 v97, 29, v21
	;; [unrolled: 1-line block ×4, first 2 shown]
	v_add_co_u32 v20, s15, v20, -1
	s_wait_alu 0xf1ff
	v_cndmask_b32_e64 v99, 0, 1, s15
	v_not_b32_e32 v103, v95
	v_cmp_gt_i32_e64 s15, 0, v95
	v_not_b32_e32 v95, v97
	v_lshlrev_b32_e32 v101, 26, v21
	v_cmp_ne_u32_e32 vcc_lo, 0, v99
	v_ashrrev_i32_e32 v103, 31, v103
	v_lshlrev_b32_e32 v102, 25, v21
	v_ashrrev_i32_e32 v95, 31, v95
	v_lshlrev_b32_e32 v99, 24, v21
	s_wait_alu 0xfffd
	v_xor_b32_e32 v20, vcc_lo, v20
	v_cmp_gt_i32_e32 vcc_lo, 0, v97
	v_not_b32_e32 v97, v98
	s_wait_alu 0xf1ff
	v_xor_b32_e32 v103, s15, v103
	v_cmp_gt_i32_e64 s15, 0, v98
	v_and_b32_e32 v20, exec_lo, v20
	v_not_b32_e32 v98, v100
	v_ashrrev_i32_e32 v97, 31, v97
	s_wait_alu 0xfffd
	v_xor_b32_e32 v95, vcc_lo, v95
	v_cmp_gt_i32_e32 vcc_lo, 0, v100
	v_and_b32_e32 v20, v20, v103
	v_not_b32_e32 v100, v101
	v_ashrrev_i32_e32 v98, 31, v98
	s_wait_alu 0xf1ff
	v_xor_b32_e32 v97, s15, v97
	v_cmp_gt_i32_e64 s15, 0, v101
	v_and_b32_e32 v20, v20, v95
	v_not_b32_e32 v95, v102
	v_ashrrev_i32_e32 v100, 31, v100
	s_wait_alu 0xfffd
	v_xor_b32_e32 v98, vcc_lo, v98
	v_cmp_gt_i32_e32 vcc_lo, 0, v102
	v_and_b32_e32 v20, v20, v97
	v_not_b32_e32 v97, v99
	v_ashrrev_i32_e32 v95, 31, v95
	s_wait_alu 0xf1ff
	v_xor_b32_e32 v100, s15, v100
	v_cmp_gt_i32_e64 s15, 0, v99
	v_and_b32_e32 v20, v20, v98
	v_ashrrev_i32_e32 v97, 31, v97
	s_wait_alu 0xfffd
	v_xor_b32_e32 v95, vcc_lo, v95
	v_mul_u32_u24_e32 v21, 36, v21
	v_add_nc_u32_e32 v99, 0x428, v45
	v_and_b32_e32 v20, v20, v100
	s_wait_alu 0xf1ff
	v_xor_b32_e32 v98, s15, v97
	v_add_nc_u32_e32 v97, 0x438, v45
	v_add_nc_u32_e32 v100, 0x430, v45
	;; [unrolled: 1-line block ×3, first 2 shown]
	v_and_b32_e32 v20, v20, v95
	ds_store_2addr_b32 v97, v3, v3 offset1:1
	v_and_b32_e32 v20, v20, v98
	v_add_nc_u32_e32 v98, 0x420, v45
	ds_store_2addr_b32 v98, v3, v3 offset1:1
	ds_store_2addr_b32 v99, v3, v3 offset1:1
	;; [unrolled: 1-line block ×3, first 2 shown]
	ds_store_b32 v45, v3 offset:1088
	v_mbcnt_lo_u32_b32 v95, v20, 0
	v_cmp_ne_u32_e64 s15, 0, v20
	s_wait_dscnt 0x0
	s_barrier_signal -1
	s_barrier_wait -1
	v_cmp_eq_u32_e32 vcc_lo, 0, v95
	global_inv scope:SCOPE_SE
	; wave barrier
	s_and_b32 s16, s15, vcc_lo
	s_wait_alu 0xfffe
	s_and_saveexec_b32 s15, s16
; %bb.417:                              ;   in Loop: Header=BB428_402 Depth=2
	v_bcnt_u32_b32 v20, v20, 0
	ds_store_b32 v101, v20 offset:1056
; %bb.418:                              ;   in Loop: Header=BB428_402 Depth=2
	s_wait_alu 0xfffe
	s_or_b32 exec_lo, exec_lo, s15
	v_xor_b32_e32 v96, 0xffffff80, v96
	; wave barrier
	s_delay_alu instid0(VALU_DEP_1) | instskip(NEXT) | instid1(VALU_DEP_1)
	v_and_b32_e32 v20, 0xff, v96
	v_lshrrev_b32_e32 v20, s45, v20
	s_delay_alu instid0(VALU_DEP_1) | instskip(NEXT) | instid1(VALU_DEP_1)
	v_and_b32_e32 v21, s31, v20
	v_and_b32_e32 v20, 1, v21
	v_lshlrev_b32_e32 v102, 30, v21
	v_lshlrev_b32_e32 v103, 29, v21
	;; [unrolled: 1-line block ×4, first 2 shown]
	v_add_co_u32 v20, s15, v20, -1
	s_wait_alu 0xf1ff
	v_cndmask_b32_e64 v105, 0, 1, s15
	v_not_b32_e32 v109, v102
	v_cmp_gt_i32_e64 s15, 0, v102
	v_not_b32_e32 v102, v103
	v_lshlrev_b32_e32 v107, 26, v21
	v_cmp_ne_u32_e32 vcc_lo, 0, v105
	v_ashrrev_i32_e32 v109, 31, v109
	v_lshlrev_b32_e32 v108, 25, v21
	v_ashrrev_i32_e32 v102, 31, v102
	v_lshlrev_b32_e32 v105, 24, v21
	s_wait_alu 0xfffd
	v_xor_b32_e32 v20, vcc_lo, v20
	v_cmp_gt_i32_e32 vcc_lo, 0, v103
	v_not_b32_e32 v103, v104
	s_wait_alu 0xf1ff
	v_xor_b32_e32 v109, s15, v109
	v_cmp_gt_i32_e64 s15, 0, v104
	v_and_b32_e32 v20, exec_lo, v20
	v_not_b32_e32 v104, v106
	v_ashrrev_i32_e32 v103, 31, v103
	s_wait_alu 0xfffd
	v_xor_b32_e32 v102, vcc_lo, v102
	v_cmp_gt_i32_e32 vcc_lo, 0, v106
	v_and_b32_e32 v20, v20, v109
	v_not_b32_e32 v106, v107
	v_ashrrev_i32_e32 v104, 31, v104
	s_wait_alu 0xf1ff
	v_xor_b32_e32 v103, s15, v103
	v_cmp_gt_i32_e64 s15, 0, v107
	v_and_b32_e32 v20, v20, v102
	v_not_b32_e32 v102, v108
	v_ashrrev_i32_e32 v106, 31, v106
	s_wait_alu 0xfffd
	v_xor_b32_e32 v104, vcc_lo, v104
	v_cmp_gt_i32_e32 vcc_lo, 0, v108
	v_and_b32_e32 v20, v20, v103
	v_not_b32_e32 v103, v105
	v_ashrrev_i32_e32 v102, 31, v102
	s_wait_alu 0xf1ff
	v_xor_b32_e32 v106, s15, v106
	v_cmp_gt_i32_e64 s15, 0, v105
	v_and_b32_e32 v20, v20, v104
	v_ashrrev_i32_e32 v103, 31, v103
	s_wait_alu 0xfffd
	v_xor_b32_e32 v102, vcc_lo, v102
	v_mad_u32_u24 v104, v21, 36, v85
	v_mul_u32_u24_e32 v21, 36, v21
	v_and_b32_e32 v20, v20, v106
	s_wait_alu 0xf1ff
	v_xor_b32_e32 v103, s15, v103
	s_delay_alu instid0(VALU_DEP_3) | instskip(NEXT) | instid1(VALU_DEP_3)
	v_add_nc_u32_e32 v105, v85, v21
	v_and_b32_e32 v20, v20, v102
	ds_load_b32 v102, v104 offset:1056
	; wave barrier
	v_and_b32_e32 v20, v20, v103
	s_delay_alu instid0(VALU_DEP_1) | instskip(SKIP_1) | instid1(VALU_DEP_2)
	v_mbcnt_lo_u32_b32 v103, v20, 0
	v_cmp_ne_u32_e64 s15, 0, v20
	v_cmp_eq_u32_e32 vcc_lo, 0, v103
	s_and_b32 s16, s15, vcc_lo
	s_wait_alu 0xfffe
	s_and_saveexec_b32 s15, s16
	s_cbranch_execz .LBB428_420
; %bb.419:                              ;   in Loop: Header=BB428_402 Depth=2
	s_wait_dscnt 0x0
	v_bcnt_u32_b32 v20, v20, v102
	ds_store_b32 v105, v20 offset:1056
.LBB428_420:                            ;   in Loop: Header=BB428_402 Depth=2
	s_wait_alu 0xfffe
	s_or_b32 exec_lo, exec_lo, s15
	v_xor_b32_e32 v104, 0xffffff80, v27
	; wave barrier
	s_delay_alu instid0(VALU_DEP_1) | instskip(NEXT) | instid1(VALU_DEP_1)
	v_and_b32_e32 v20, 0xff, v104
	v_lshrrev_b32_e32 v20, s45, v20
	s_delay_alu instid0(VALU_DEP_1) | instskip(NEXT) | instid1(VALU_DEP_1)
	v_and_b32_e32 v21, s31, v20
	v_and_b32_e32 v20, 1, v21
	v_lshlrev_b32_e32 v27, 30, v21
	v_lshlrev_b32_e32 v106, 29, v21
	v_lshlrev_b32_e32 v107, 28, v21
	v_lshlrev_b32_e32 v109, 27, v21
	v_add_co_u32 v20, s15, v20, -1
	s_wait_alu 0xf1ff
	v_cndmask_b32_e64 v108, 0, 1, s15
	v_not_b32_e32 v112, v27
	v_cmp_gt_i32_e64 s15, 0, v27
	v_not_b32_e32 v27, v106
	v_lshlrev_b32_e32 v110, 26, v21
	v_cmp_ne_u32_e32 vcc_lo, 0, v108
	v_ashrrev_i32_e32 v112, 31, v112
	v_lshlrev_b32_e32 v111, 25, v21
	v_ashrrev_i32_e32 v27, 31, v27
	v_lshlrev_b32_e32 v108, 24, v21
	s_wait_alu 0xfffd
	v_xor_b32_e32 v20, vcc_lo, v20
	v_cmp_gt_i32_e32 vcc_lo, 0, v106
	v_not_b32_e32 v106, v107
	s_wait_alu 0xf1ff
	v_xor_b32_e32 v112, s15, v112
	v_cmp_gt_i32_e64 s15, 0, v107
	v_and_b32_e32 v20, exec_lo, v20
	v_not_b32_e32 v107, v109
	v_ashrrev_i32_e32 v106, 31, v106
	s_wait_alu 0xfffd
	v_xor_b32_e32 v27, vcc_lo, v27
	v_cmp_gt_i32_e32 vcc_lo, 0, v109
	v_and_b32_e32 v20, v20, v112
	v_not_b32_e32 v109, v110
	v_ashrrev_i32_e32 v107, 31, v107
	s_wait_alu 0xf1ff
	v_xor_b32_e32 v106, s15, v106
	v_cmp_gt_i32_e64 s15, 0, v110
	v_and_b32_e32 v20, v20, v27
	v_not_b32_e32 v27, v111
	v_ashrrev_i32_e32 v109, 31, v109
	s_wait_alu 0xfffd
	v_xor_b32_e32 v107, vcc_lo, v107
	v_cmp_gt_i32_e32 vcc_lo, 0, v111
	v_and_b32_e32 v20, v20, v106
	v_not_b32_e32 v106, v108
	v_ashrrev_i32_e32 v27, 31, v27
	s_wait_alu 0xf1ff
	v_xor_b32_e32 v109, s15, v109
	v_cmp_gt_i32_e64 s15, 0, v108
	v_and_b32_e32 v20, v20, v107
	v_ashrrev_i32_e32 v106, 31, v106
	s_wait_alu 0xfffd
	v_xor_b32_e32 v27, vcc_lo, v27
	v_mad_u32_u24 v107, v21, 36, v85
	v_mul_u32_u24_e32 v21, 36, v21
	v_and_b32_e32 v20, v20, v109
	s_wait_alu 0xf1ff
	v_xor_b32_e32 v108, s15, v106
	ds_load_b32 v106, v107 offset:1056
	v_add_nc_u32_e32 v109, v85, v21
	v_and_b32_e32 v20, v20, v27
	; wave barrier
	s_delay_alu instid0(VALU_DEP_1) | instskip(NEXT) | instid1(VALU_DEP_1)
	v_and_b32_e32 v20, v20, v108
	v_mbcnt_lo_u32_b32 v107, v20, 0
	v_cmp_ne_u32_e64 s15, 0, v20
	s_delay_alu instid0(VALU_DEP_2)
	v_cmp_eq_u32_e32 vcc_lo, 0, v107
	s_and_b32 s16, s15, vcc_lo
	s_wait_alu 0xfffe
	s_and_saveexec_b32 s15, s16
	s_cbranch_execz .LBB428_422
; %bb.421:                              ;   in Loop: Header=BB428_402 Depth=2
	s_wait_dscnt 0x0
	v_bcnt_u32_b32 v20, v20, v106
	ds_store_b32 v109, v20 offset:1056
.LBB428_422:                            ;   in Loop: Header=BB428_402 Depth=2
	s_wait_alu 0xfffe
	s_or_b32 exec_lo, exec_lo, s15
	v_xor_b32_e32 v108, 0xffffff80, v26
	; wave barrier
	s_delay_alu instid0(VALU_DEP_1) | instskip(NEXT) | instid1(VALU_DEP_1)
	v_and_b32_e32 v20, 0xff, v108
	v_lshrrev_b32_e32 v20, s45, v20
	s_delay_alu instid0(VALU_DEP_1) | instskip(NEXT) | instid1(VALU_DEP_1)
	v_and_b32_e32 v21, s31, v20
	v_and_b32_e32 v20, 1, v21
	v_lshlrev_b32_e32 v26, 30, v21
	v_lshlrev_b32_e32 v27, 29, v21
	;; [unrolled: 1-line block ×4, first 2 shown]
	v_add_co_u32 v20, s15, v20, -1
	s_wait_alu 0xf1ff
	v_cndmask_b32_e64 v111, 0, 1, s15
	v_not_b32_e32 v115, v26
	v_cmp_gt_i32_e64 s15, 0, v26
	v_not_b32_e32 v26, v27
	v_lshlrev_b32_e32 v113, 26, v21
	v_cmp_ne_u32_e32 vcc_lo, 0, v111
	v_ashrrev_i32_e32 v115, 31, v115
	v_lshlrev_b32_e32 v114, 25, v21
	v_ashrrev_i32_e32 v26, 31, v26
	v_lshlrev_b32_e32 v111, 24, v21
	s_wait_alu 0xfffd
	v_xor_b32_e32 v20, vcc_lo, v20
	v_cmp_gt_i32_e32 vcc_lo, 0, v27
	v_not_b32_e32 v27, v110
	s_wait_alu 0xf1ff
	v_xor_b32_e32 v115, s15, v115
	v_cmp_gt_i32_e64 s15, 0, v110
	v_and_b32_e32 v20, exec_lo, v20
	v_not_b32_e32 v110, v112
	v_ashrrev_i32_e32 v27, 31, v27
	s_wait_alu 0xfffd
	v_xor_b32_e32 v26, vcc_lo, v26
	v_cmp_gt_i32_e32 vcc_lo, 0, v112
	v_and_b32_e32 v20, v20, v115
	v_not_b32_e32 v112, v113
	v_ashrrev_i32_e32 v110, 31, v110
	s_wait_alu 0xf1ff
	v_xor_b32_e32 v27, s15, v27
	v_cmp_gt_i32_e64 s15, 0, v113
	v_and_b32_e32 v20, v20, v26
	v_not_b32_e32 v26, v114
	v_ashrrev_i32_e32 v112, 31, v112
	s_wait_alu 0xfffd
	v_xor_b32_e32 v110, vcc_lo, v110
	v_cmp_gt_i32_e32 vcc_lo, 0, v114
	v_and_b32_e32 v20, v20, v27
	v_not_b32_e32 v27, v111
	v_ashrrev_i32_e32 v26, 31, v26
	s_wait_alu 0xf1ff
	v_xor_b32_e32 v112, s15, v112
	v_cmp_gt_i32_e64 s15, 0, v111
	v_and_b32_e32 v20, v20, v110
	v_ashrrev_i32_e32 v27, 31, v27
	s_wait_alu 0xfffd
	v_xor_b32_e32 v26, vcc_lo, v26
	v_mad_u32_u24 v110, v21, 36, v85
	v_mul_u32_u24_e32 v21, 36, v21
	v_and_b32_e32 v20, v20, v112
	s_wait_alu 0xf1ff
	v_xor_b32_e32 v27, s15, v27
	ds_load_b32 v110, v110 offset:1056
	v_add_nc_u32_e32 v113, v85, v21
	v_and_b32_e32 v20, v20, v26
	; wave barrier
	s_delay_alu instid0(VALU_DEP_1) | instskip(NEXT) | instid1(VALU_DEP_1)
	v_and_b32_e32 v20, v20, v27
	v_mbcnt_lo_u32_b32 v111, v20, 0
	v_cmp_ne_u32_e64 s15, 0, v20
	s_delay_alu instid0(VALU_DEP_2)
	v_cmp_eq_u32_e32 vcc_lo, 0, v111
	s_and_b32 s16, s15, vcc_lo
	s_wait_alu 0xfffe
	s_and_saveexec_b32 s15, s16
	s_cbranch_execz .LBB428_424
; %bb.423:                              ;   in Loop: Header=BB428_402 Depth=2
	s_wait_dscnt 0x0
	v_bcnt_u32_b32 v20, v20, v110
	ds_store_b32 v113, v20 offset:1056
.LBB428_424:                            ;   in Loop: Header=BB428_402 Depth=2
	s_wait_alu 0xfffe
	s_or_b32 exec_lo, exec_lo, s15
	v_xor_b32_e32 v112, 0xffffff80, v25
	; wave barrier
	s_delay_alu instid0(VALU_DEP_1) | instskip(NEXT) | instid1(VALU_DEP_1)
	v_and_b32_e32 v20, 0xff, v112
	v_lshrrev_b32_e32 v20, s45, v20
	s_delay_alu instid0(VALU_DEP_1) | instskip(NEXT) | instid1(VALU_DEP_1)
	v_and_b32_e32 v21, s31, v20
	v_and_b32_e32 v20, 1, v21
	v_lshlrev_b32_e32 v25, 30, v21
	v_lshlrev_b32_e32 v26, 29, v21
	;; [unrolled: 1-line block ×4, first 2 shown]
	v_add_co_u32 v20, s15, v20, -1
	s_wait_alu 0xf1ff
	v_cndmask_b32_e64 v114, 0, 1, s15
	v_not_b32_e32 v118, v25
	v_cmp_gt_i32_e64 s15, 0, v25
	v_not_b32_e32 v25, v26
	v_lshlrev_b32_e32 v116, 26, v21
	v_cmp_ne_u32_e32 vcc_lo, 0, v114
	v_ashrrev_i32_e32 v118, 31, v118
	v_lshlrev_b32_e32 v117, 25, v21
	v_ashrrev_i32_e32 v25, 31, v25
	v_lshlrev_b32_e32 v114, 24, v21
	s_wait_alu 0xfffd
	v_xor_b32_e32 v20, vcc_lo, v20
	v_cmp_gt_i32_e32 vcc_lo, 0, v26
	v_not_b32_e32 v26, v27
	s_wait_alu 0xf1ff
	v_xor_b32_e32 v118, s15, v118
	v_cmp_gt_i32_e64 s15, 0, v27
	v_and_b32_e32 v20, exec_lo, v20
	v_not_b32_e32 v27, v115
	v_ashrrev_i32_e32 v26, 31, v26
	s_wait_alu 0xfffd
	v_xor_b32_e32 v25, vcc_lo, v25
	v_cmp_gt_i32_e32 vcc_lo, 0, v115
	v_and_b32_e32 v20, v20, v118
	v_not_b32_e32 v115, v116
	v_ashrrev_i32_e32 v27, 31, v27
	s_wait_alu 0xf1ff
	v_xor_b32_e32 v26, s15, v26
	v_cmp_gt_i32_e64 s15, 0, v116
	v_and_b32_e32 v20, v20, v25
	v_not_b32_e32 v25, v117
	v_ashrrev_i32_e32 v115, 31, v115
	s_wait_alu 0xfffd
	v_xor_b32_e32 v27, vcc_lo, v27
	v_cmp_gt_i32_e32 vcc_lo, 0, v117
	v_and_b32_e32 v20, v20, v26
	v_not_b32_e32 v26, v114
	v_ashrrev_i32_e32 v25, 31, v25
	s_wait_alu 0xf1ff
	v_xor_b32_e32 v115, s15, v115
	v_cmp_gt_i32_e64 s15, 0, v114
	v_and_b32_e32 v20, v20, v27
	v_ashrrev_i32_e32 v26, 31, v26
	s_wait_alu 0xfffd
	v_xor_b32_e32 v25, vcc_lo, v25
	v_mad_u32_u24 v27, v21, 36, v85
	v_mul_u32_u24_e32 v21, 36, v21
	v_and_b32_e32 v20, v20, v115
	s_wait_alu 0xf1ff
	v_xor_b32_e32 v26, s15, v26
	ds_load_b32 v114, v27 offset:1056
	v_add_nc_u32_e32 v117, v85, v21
	v_and_b32_e32 v20, v20, v25
	; wave barrier
	s_delay_alu instid0(VALU_DEP_1) | instskip(NEXT) | instid1(VALU_DEP_1)
	v_and_b32_e32 v20, v20, v26
	v_mbcnt_lo_u32_b32 v115, v20, 0
	v_cmp_ne_u32_e64 s15, 0, v20
	s_delay_alu instid0(VALU_DEP_2)
	v_cmp_eq_u32_e32 vcc_lo, 0, v115
	s_and_b32 s16, s15, vcc_lo
	s_wait_alu 0xfffe
	s_and_saveexec_b32 s15, s16
	s_cbranch_execz .LBB428_426
; %bb.425:                              ;   in Loop: Header=BB428_402 Depth=2
	s_wait_dscnt 0x0
	v_bcnt_u32_b32 v20, v20, v114
	ds_store_b32 v117, v20 offset:1056
.LBB428_426:                            ;   in Loop: Header=BB428_402 Depth=2
	s_wait_alu 0xfffe
	s_or_b32 exec_lo, exec_lo, s15
	v_xor_b32_e32 v116, 0xffffff80, v24
	; wave barrier
	s_delay_alu instid0(VALU_DEP_1) | instskip(NEXT) | instid1(VALU_DEP_1)
	v_and_b32_e32 v20, 0xff, v116
	v_lshrrev_b32_e32 v20, s45, v20
	s_delay_alu instid0(VALU_DEP_1) | instskip(NEXT) | instid1(VALU_DEP_1)
	v_and_b32_e32 v21, s31, v20
	v_and_b32_e32 v20, 1, v21
	v_lshlrev_b32_e32 v24, 30, v21
	v_lshlrev_b32_e32 v25, 29, v21
	;; [unrolled: 1-line block ×4, first 2 shown]
	v_add_co_u32 v20, s15, v20, -1
	s_wait_alu 0xf1ff
	v_cndmask_b32_e64 v27, 0, 1, s15
	v_not_b32_e32 v121, v24
	v_cmp_gt_i32_e64 s15, 0, v24
	v_not_b32_e32 v24, v25
	v_lshlrev_b32_e32 v119, 26, v21
	v_cmp_ne_u32_e32 vcc_lo, 0, v27
	v_ashrrev_i32_e32 v121, 31, v121
	v_lshlrev_b32_e32 v120, 25, v21
	v_ashrrev_i32_e32 v24, 31, v24
	v_lshlrev_b32_e32 v27, 24, v21
	s_wait_alu 0xfffd
	v_xor_b32_e32 v20, vcc_lo, v20
	v_cmp_gt_i32_e32 vcc_lo, 0, v25
	v_not_b32_e32 v25, v26
	s_wait_alu 0xf1ff
	v_xor_b32_e32 v121, s15, v121
	v_cmp_gt_i32_e64 s15, 0, v26
	v_and_b32_e32 v20, exec_lo, v20
	v_not_b32_e32 v26, v118
	v_ashrrev_i32_e32 v25, 31, v25
	s_wait_alu 0xfffd
	v_xor_b32_e32 v24, vcc_lo, v24
	v_cmp_gt_i32_e32 vcc_lo, 0, v118
	v_and_b32_e32 v20, v20, v121
	v_not_b32_e32 v118, v119
	v_ashrrev_i32_e32 v26, 31, v26
	s_wait_alu 0xf1ff
	v_xor_b32_e32 v25, s15, v25
	v_cmp_gt_i32_e64 s15, 0, v119
	v_and_b32_e32 v20, v20, v24
	v_not_b32_e32 v24, v120
	v_ashrrev_i32_e32 v118, 31, v118
	s_wait_alu 0xfffd
	v_xor_b32_e32 v26, vcc_lo, v26
	v_cmp_gt_i32_e32 vcc_lo, 0, v120
	v_and_b32_e32 v20, v20, v25
	v_not_b32_e32 v25, v27
	v_ashrrev_i32_e32 v24, 31, v24
	s_wait_alu 0xf1ff
	v_xor_b32_e32 v118, s15, v118
	v_cmp_gt_i32_e64 s15, 0, v27
	v_and_b32_e32 v20, v20, v26
	v_ashrrev_i32_e32 v25, 31, v25
	s_wait_alu 0xfffd
	v_xor_b32_e32 v24, vcc_lo, v24
	v_mad_u32_u24 v26, v21, 36, v85
	v_mul_u32_u24_e32 v21, 36, v21
	v_and_b32_e32 v20, v20, v118
	s_wait_alu 0xf1ff
	v_xor_b32_e32 v25, s15, v25
	ds_load_b32 v118, v26 offset:1056
	v_add_nc_u32_e32 v121, v85, v21
	v_and_b32_e32 v20, v20, v24
	; wave barrier
	s_delay_alu instid0(VALU_DEP_1) | instskip(NEXT) | instid1(VALU_DEP_1)
	v_and_b32_e32 v20, v20, v25
	v_mbcnt_lo_u32_b32 v119, v20, 0
	v_cmp_ne_u32_e64 s15, 0, v20
	s_delay_alu instid0(VALU_DEP_2)
	v_cmp_eq_u32_e32 vcc_lo, 0, v119
	s_and_b32 s16, s15, vcc_lo
	s_wait_alu 0xfffe
	s_and_saveexec_b32 s15, s16
	s_cbranch_execz .LBB428_428
; %bb.427:                              ;   in Loop: Header=BB428_402 Depth=2
	s_wait_dscnt 0x0
	v_bcnt_u32_b32 v20, v20, v118
	ds_store_b32 v121, v20 offset:1056
.LBB428_428:                            ;   in Loop: Header=BB428_402 Depth=2
	s_wait_alu 0xfffe
	s_or_b32 exec_lo, exec_lo, s15
	v_xor_b32_e32 v120, 0xffffff80, v23
	; wave barrier
	s_delay_alu instid0(VALU_DEP_1) | instskip(NEXT) | instid1(VALU_DEP_1)
	v_and_b32_e32 v20, 0xff, v120
	v_lshrrev_b32_e32 v20, s45, v20
	s_delay_alu instid0(VALU_DEP_1) | instskip(NEXT) | instid1(VALU_DEP_1)
	v_and_b32_e32 v21, s31, v20
	v_and_b32_e32 v20, 1, v21
	v_lshlrev_b32_e32 v23, 30, v21
	v_lshlrev_b32_e32 v24, 29, v21
	;; [unrolled: 1-line block ×4, first 2 shown]
	v_add_co_u32 v20, s15, v20, -1
	s_wait_alu 0xf1ff
	v_cndmask_b32_e64 v26, 0, 1, s15
	v_not_b32_e32 v124, v23
	v_cmp_gt_i32_e64 s15, 0, v23
	v_not_b32_e32 v23, v24
	v_lshlrev_b32_e32 v122, 26, v21
	v_cmp_ne_u32_e32 vcc_lo, 0, v26
	v_ashrrev_i32_e32 v124, 31, v124
	v_lshlrev_b32_e32 v123, 25, v21
	v_ashrrev_i32_e32 v23, 31, v23
	v_lshlrev_b32_e32 v26, 24, v21
	s_wait_alu 0xfffd
	v_xor_b32_e32 v20, vcc_lo, v20
	v_cmp_gt_i32_e32 vcc_lo, 0, v24
	v_not_b32_e32 v24, v25
	s_wait_alu 0xf1ff
	v_xor_b32_e32 v124, s15, v124
	v_cmp_gt_i32_e64 s15, 0, v25
	v_and_b32_e32 v20, exec_lo, v20
	v_not_b32_e32 v25, v27
	v_ashrrev_i32_e32 v24, 31, v24
	s_wait_alu 0xfffd
	v_xor_b32_e32 v23, vcc_lo, v23
	v_cmp_gt_i32_e32 vcc_lo, 0, v27
	v_and_b32_e32 v20, v20, v124
	v_not_b32_e32 v27, v122
	v_ashrrev_i32_e32 v25, 31, v25
	s_wait_alu 0xf1ff
	v_xor_b32_e32 v24, s15, v24
	v_cmp_gt_i32_e64 s15, 0, v122
	v_and_b32_e32 v20, v20, v23
	v_not_b32_e32 v23, v123
	v_ashrrev_i32_e32 v27, 31, v27
	s_wait_alu 0xfffd
	v_xor_b32_e32 v25, vcc_lo, v25
	v_cmp_gt_i32_e32 vcc_lo, 0, v123
	v_and_b32_e32 v20, v20, v24
	v_not_b32_e32 v24, v26
	v_ashrrev_i32_e32 v23, 31, v23
	s_wait_alu 0xf1ff
	v_xor_b32_e32 v27, s15, v27
	v_cmp_gt_i32_e64 s15, 0, v26
	v_and_b32_e32 v20, v20, v25
	v_ashrrev_i32_e32 v24, 31, v24
	s_wait_alu 0xfffd
	v_xor_b32_e32 v23, vcc_lo, v23
	v_mad_u32_u24 v25, v21, 36, v85
	v_mul_u32_u24_e32 v21, 36, v21
	v_and_b32_e32 v20, v20, v27
	s_wait_alu 0xf1ff
	v_xor_b32_e32 v24, s15, v24
	ds_load_b32 v122, v25 offset:1056
	v_add_nc_u32_e32 v125, v85, v21
	v_and_b32_e32 v20, v20, v23
	; wave barrier
	s_delay_alu instid0(VALU_DEP_1) | instskip(NEXT) | instid1(VALU_DEP_1)
	v_and_b32_e32 v20, v20, v24
	v_mbcnt_lo_u32_b32 v123, v20, 0
	v_cmp_ne_u32_e64 s15, 0, v20
	s_delay_alu instid0(VALU_DEP_2)
	v_cmp_eq_u32_e32 vcc_lo, 0, v123
	s_and_b32 s16, s15, vcc_lo
	s_wait_alu 0xfffe
	s_and_saveexec_b32 s15, s16
	s_cbranch_execz .LBB428_430
; %bb.429:                              ;   in Loop: Header=BB428_402 Depth=2
	s_wait_dscnt 0x0
	v_bcnt_u32_b32 v20, v20, v122
	ds_store_b32 v125, v20 offset:1056
.LBB428_430:                            ;   in Loop: Header=BB428_402 Depth=2
	s_wait_alu 0xfffe
	s_or_b32 exec_lo, exec_lo, s15
	v_xor_b32_e32 v124, 0xffffff80, v22
	; wave barrier
	s_delay_alu instid0(VALU_DEP_1) | instskip(NEXT) | instid1(VALU_DEP_1)
	v_and_b32_e32 v20, 0xff, v124
	v_lshrrev_b32_e32 v20, s45, v20
	s_delay_alu instid0(VALU_DEP_1) | instskip(NEXT) | instid1(VALU_DEP_1)
	v_and_b32_e32 v21, s31, v20
	v_and_b32_e32 v20, 1, v21
	v_lshlrev_b32_e32 v22, 30, v21
	v_lshlrev_b32_e32 v23, 29, v21
	;; [unrolled: 1-line block ×4, first 2 shown]
	v_add_co_u32 v20, s15, v20, -1
	s_wait_alu 0xf1ff
	v_cndmask_b32_e64 v25, 0, 1, s15
	v_not_b32_e32 v127, v22
	v_cmp_gt_i32_e64 s15, 0, v22
	v_not_b32_e32 v22, v23
	v_lshlrev_b32_e32 v27, 26, v21
	v_cmp_ne_u32_e32 vcc_lo, 0, v25
	v_ashrrev_i32_e32 v127, 31, v127
	v_lshlrev_b32_e32 v126, 25, v21
	v_ashrrev_i32_e32 v22, 31, v22
	v_lshlrev_b32_e32 v25, 24, v21
	s_wait_alu 0xfffd
	v_xor_b32_e32 v20, vcc_lo, v20
	v_cmp_gt_i32_e32 vcc_lo, 0, v23
	v_not_b32_e32 v23, v24
	s_wait_alu 0xf1ff
	v_xor_b32_e32 v127, s15, v127
	v_cmp_gt_i32_e64 s15, 0, v24
	v_and_b32_e32 v20, exec_lo, v20
	v_not_b32_e32 v24, v26
	v_ashrrev_i32_e32 v23, 31, v23
	s_wait_alu 0xfffd
	v_xor_b32_e32 v22, vcc_lo, v22
	v_cmp_gt_i32_e32 vcc_lo, 0, v26
	v_and_b32_e32 v20, v20, v127
	v_not_b32_e32 v26, v27
	v_ashrrev_i32_e32 v24, 31, v24
	s_wait_alu 0xf1ff
	v_xor_b32_e32 v23, s15, v23
	v_cmp_gt_i32_e64 s15, 0, v27
	v_and_b32_e32 v20, v20, v22
	v_not_b32_e32 v22, v126
	v_ashrrev_i32_e32 v26, 31, v26
	s_wait_alu 0xfffd
	v_xor_b32_e32 v24, vcc_lo, v24
	v_cmp_gt_i32_e32 vcc_lo, 0, v126
	v_and_b32_e32 v20, v20, v23
	v_not_b32_e32 v23, v25
	v_ashrrev_i32_e32 v22, 31, v22
	s_wait_alu 0xf1ff
	v_xor_b32_e32 v26, s15, v26
	v_cmp_gt_i32_e64 s15, 0, v25
	v_and_b32_e32 v20, v20, v24
	v_ashrrev_i32_e32 v23, 31, v23
	s_wait_alu 0xfffd
	v_xor_b32_e32 v22, vcc_lo, v22
	v_mad_u32_u24 v24, v21, 36, v85
	v_mul_u32_u24_e32 v21, 36, v21
	v_and_b32_e32 v20, v20, v26
	s_wait_alu 0xf1ff
	v_xor_b32_e32 v23, s15, v23
	ds_load_b32 v126, v24 offset:1056
	v_add_nc_u32_e32 v128, v85, v21
	v_and_b32_e32 v20, v20, v22
	; wave barrier
	s_delay_alu instid0(VALU_DEP_1) | instskip(NEXT) | instid1(VALU_DEP_1)
	v_and_b32_e32 v20, v20, v23
	v_mbcnt_lo_u32_b32 v127, v20, 0
	v_cmp_ne_u32_e64 s15, 0, v20
	s_delay_alu instid0(VALU_DEP_2)
	v_cmp_eq_u32_e32 vcc_lo, 0, v127
	s_and_b32 s16, s15, vcc_lo
	s_wait_alu 0xfffe
	s_and_saveexec_b32 s15, s16
	s_cbranch_execz .LBB428_432
; %bb.431:                              ;   in Loop: Header=BB428_402 Depth=2
	s_wait_dscnt 0x0
	v_bcnt_u32_b32 v20, v20, v126
	ds_store_b32 v128, v20 offset:1056
.LBB428_432:                            ;   in Loop: Header=BB428_402 Depth=2
	s_wait_alu 0xfffe
	s_or_b32 exec_lo, exec_lo, s15
	; wave barrier
	s_wait_loadcnt_dscnt 0x0
	s_barrier_signal -1
	s_barrier_wait -1
	global_inv scope:SCOPE_SE
	ds_load_2addr_b32 v[26:27], v98 offset1:1
	ds_load_2addr_b32 v[24:25], v99 offset1:1
	;; [unrolled: 1-line block ×4, first 2 shown]
	ds_load_b32 v129, v45 offset:1088
	s_wait_dscnt 0x3
	v_add3_u32 v130, v27, v26, v24
	s_wait_dscnt 0x2
	s_delay_alu instid0(VALU_DEP_1) | instskip(SKIP_1) | instid1(VALU_DEP_1)
	v_add3_u32 v130, v130, v25, v22
	s_wait_dscnt 0x1
	v_add3_u32 v130, v130, v23, v20
	s_wait_dscnt 0x0
	s_delay_alu instid0(VALU_DEP_1) | instskip(NEXT) | instid1(VALU_DEP_1)
	v_add3_u32 v129, v130, v21, v129
	v_mov_b32_dpp v130, v129 row_shr:1 row_mask:0xf bank_mask:0xf
	s_delay_alu instid0(VALU_DEP_1) | instskip(NEXT) | instid1(VALU_DEP_1)
	v_cndmask_b32_e64 v130, v130, 0, s0
	v_add_nc_u32_e32 v129, v130, v129
	s_delay_alu instid0(VALU_DEP_1) | instskip(NEXT) | instid1(VALU_DEP_1)
	v_mov_b32_dpp v130, v129 row_shr:2 row_mask:0xf bank_mask:0xf
	v_cndmask_b32_e64 v130, 0, v130, s1
	s_delay_alu instid0(VALU_DEP_1) | instskip(NEXT) | instid1(VALU_DEP_1)
	v_add_nc_u32_e32 v129, v129, v130
	v_mov_b32_dpp v130, v129 row_shr:4 row_mask:0xf bank_mask:0xf
	s_delay_alu instid0(VALU_DEP_1) | instskip(NEXT) | instid1(VALU_DEP_1)
	v_cndmask_b32_e64 v130, 0, v130, s9
	v_add_nc_u32_e32 v129, v129, v130
	s_delay_alu instid0(VALU_DEP_1) | instskip(NEXT) | instid1(VALU_DEP_1)
	v_mov_b32_dpp v130, v129 row_shr:8 row_mask:0xf bank_mask:0xf
	v_cndmask_b32_e64 v130, 0, v130, s10
	s_delay_alu instid0(VALU_DEP_1) | instskip(SKIP_3) | instid1(VALU_DEP_1)
	v_add_nc_u32_e32 v129, v129, v130
	ds_swizzle_b32 v130, v129 offset:swizzle(BROADCAST,32,15)
	s_wait_dscnt 0x0
	v_cndmask_b32_e64 v130, v130, 0, s11
	v_add_nc_u32_e32 v129, v129, v130
	s_and_saveexec_b32 s15, s3
; %bb.433:                              ;   in Loop: Header=BB428_402 Depth=2
	ds_store_b32 v38, v129 offset:1024
; %bb.434:                              ;   in Loop: Header=BB428_402 Depth=2
	s_wait_alu 0xfffe
	s_or_b32 exec_lo, exec_lo, s15
	s_wait_loadcnt_dscnt 0x0
	s_barrier_signal -1
	s_barrier_wait -1
	global_inv scope:SCOPE_SE
	s_and_saveexec_b32 s15, s4
	s_cbranch_execz .LBB428_436
; %bb.435:                              ;   in Loop: Header=BB428_402 Depth=2
	v_add_nc_u32_e32 v130, v45, v46
	ds_load_b32 v131, v130 offset:1024
	s_wait_dscnt 0x0
	v_mov_b32_dpp v132, v131 row_shr:1 row_mask:0xf bank_mask:0xf
	s_delay_alu instid0(VALU_DEP_1) | instskip(NEXT) | instid1(VALU_DEP_1)
	v_cndmask_b32_e64 v132, v132, 0, s12
	v_add_nc_u32_e32 v131, v132, v131
	s_delay_alu instid0(VALU_DEP_1) | instskip(NEXT) | instid1(VALU_DEP_1)
	v_mov_b32_dpp v132, v131 row_shr:2 row_mask:0xf bank_mask:0xf
	v_cndmask_b32_e64 v132, 0, v132, s13
	s_delay_alu instid0(VALU_DEP_1) | instskip(NEXT) | instid1(VALU_DEP_1)
	v_add_nc_u32_e32 v131, v131, v132
	v_mov_b32_dpp v132, v131 row_shr:4 row_mask:0xf bank_mask:0xf
	s_delay_alu instid0(VALU_DEP_1) | instskip(NEXT) | instid1(VALU_DEP_1)
	v_cndmask_b32_e64 v132, 0, v132, s14
	v_add_nc_u32_e32 v131, v131, v132
	ds_store_b32 v130, v131 offset:1024
.LBB428_436:                            ;   in Loop: Header=BB428_402 Depth=2
	s_wait_alu 0xfffe
	s_or_b32 exec_lo, exec_lo, s15
	v_mov_b32_e32 v130, 0
	s_wait_loadcnt_dscnt 0x0
	s_barrier_signal -1
	s_barrier_wait -1
	global_inv scope:SCOPE_SE
	s_and_saveexec_b32 s15, s5
; %bb.437:                              ;   in Loop: Header=BB428_402 Depth=2
	ds_load_b32 v130, v38 offset:1020
; %bb.438:                              ;   in Loop: Header=BB428_402 Depth=2
	s_wait_alu 0xfffe
	s_or_b32 exec_lo, exec_lo, s15
	s_wait_dscnt 0x0
	v_add_nc_u32_e32 v129, v130, v129
	ds_bpermute_b32 v129, v80, v129
	s_wait_dscnt 0x0
	v_cndmask_b32_e64 v129, v129, v130, s8
	s_delay_alu instid0(VALU_DEP_1) | instskip(NEXT) | instid1(VALU_DEP_1)
	v_cndmask_b32_e64 v129, v129, 0, s6
	v_add_nc_u32_e32 v26, v129, v26
	s_delay_alu instid0(VALU_DEP_1) | instskip(NEXT) | instid1(VALU_DEP_1)
	v_add_nc_u32_e32 v27, v26, v27
	v_add_nc_u32_e32 v24, v27, v24
	s_delay_alu instid0(VALU_DEP_1) | instskip(NEXT) | instid1(VALU_DEP_1)
	v_add_nc_u32_e32 v25, v24, v25
	;; [unrolled: 3-line block ×3, first 2 shown]
	v_add_nc_u32_e32 v20, v23, v20
	s_delay_alu instid0(VALU_DEP_1)
	v_add_nc_u32_e32 v21, v20, v21
	ds_store_2addr_b32 v97, v23, v20 offset1:1
	ds_store_2addr_b32 v98, v129, v26 offset1:1
	;; [unrolled: 1-line block ×4, first 2 shown]
	ds_store_b32 v45, v21 offset:1088
	s_wait_loadcnt_dscnt 0x0
	s_barrier_signal -1
	s_barrier_wait -1
	global_inv scope:SCOPE_SE
	ds_load_b32 v20, v101 offset:1056
	ds_load_b32 v21, v105 offset:1056
	ds_load_b32 v23, v109 offset:1056
	ds_load_b32 v24, v113 offset:1056
	ds_load_b32 v25, v117 offset:1056
	ds_load_b32 v99, v121 offset:1056
	ds_load_b32 v100, v125 offset:1056
	ds_load_b32 v101, v128 offset:1056
	ds_load_b32 v26, v45 offset:1056
	v_mov_b32_e32 v22, 0x800
	s_and_saveexec_b32 s15, s7
; %bb.439:                              ;   in Loop: Header=BB428_402 Depth=2
	ds_load_b32 v22, v45 offset:1092
; %bb.440:                              ;   in Loop: Header=BB428_402 Depth=2
	s_wait_alu 0xfffe
	s_or_b32 exec_lo, exec_lo, s15
	s_wait_loadcnt_dscnt 0x0
	s_barrier_signal -1
	s_barrier_wait -1
	global_inv scope:SCOPE_SE
	s_and_saveexec_b32 s15, s2
	s_cbranch_execz .LBB428_442
; %bb.441:                              ;   in Loop: Header=BB428_402 Depth=2
	ds_load_b32 v27, v28
	s_wait_dscnt 0x0
	v_sub_nc_u32_e32 v26, v27, v26
	ds_store_b32 v28, v26
.LBB428_442:                            ;   in Loop: Header=BB428_402 Depth=2
	s_wait_alu 0xfffe
	s_or_b32 exec_lo, exec_lo, s15
	v_add_nc_u32_e32 v98, v20, v95
	v_add3_u32 v97, v103, v102, v21
	v_add3_u32 v95, v107, v106, v23
	;; [unrolled: 1-line block ×7, first 2 shown]
	v_cmp_lt_u32_e64 s20, v1, v2
	ds_store_b8 v98, v94 offset:1024
	ds_store_b8 v97, v96 offset:1024
	;; [unrolled: 1-line block ×8, first 2 shown]
	s_wait_loadcnt_dscnt 0x0
	s_barrier_signal -1
	s_barrier_wait -1
	global_inv scope:SCOPE_SE
	s_and_saveexec_b32 s15, s20
	s_cbranch_execnz .LBB428_479
; %bb.443:                              ;   in Loop: Header=BB428_402 Depth=2
	s_wait_alu 0xfffe
	s_or_b32 exec_lo, exec_lo, s15
	v_cmp_lt_u32_e64 s21, v29, v2
	s_and_saveexec_b32 s15, s21
	s_cbranch_execnz .LBB428_480
.LBB428_444:                            ;   in Loop: Header=BB428_402 Depth=2
	s_wait_alu 0xfffe
	s_or_b32 exec_lo, exec_lo, s15
	v_cmp_lt_u32_e64 s19, v30, v2
	s_and_saveexec_b32 s15, s19
	s_cbranch_execnz .LBB428_481
.LBB428_445:                            ;   in Loop: Header=BB428_402 Depth=2
	s_wait_alu 0xfffe
	s_or_b32 exec_lo, exec_lo, s15
	v_cmp_lt_u32_e64 s18, v31, v2
	s_and_saveexec_b32 s15, s18
	s_cbranch_execnz .LBB428_482
.LBB428_446:                            ;   in Loop: Header=BB428_402 Depth=2
	s_wait_alu 0xfffe
	s_or_b32 exec_lo, exec_lo, s15
	v_cmp_lt_u32_e64 s17, v34, v2
	s_and_saveexec_b32 s15, s17
	s_cbranch_execnz .LBB428_483
.LBB428_447:                            ;   in Loop: Header=BB428_402 Depth=2
	s_wait_alu 0xfffe
	s_or_b32 exec_lo, exec_lo, s15
	v_cmp_lt_u32_e64 s16, v35, v2
	s_and_saveexec_b32 s15, s16
	s_cbranch_execnz .LBB428_484
.LBB428_448:                            ;   in Loop: Header=BB428_402 Depth=2
	s_wait_alu 0xfffe
	s_or_b32 exec_lo, exec_lo, s15
	v_cmp_lt_u32_e64 s15, v36, v2
	s_and_saveexec_b32 s44, s15
	s_cbranch_execnz .LBB428_485
.LBB428_449:                            ;   in Loop: Header=BB428_402 Depth=2
	s_wait_alu 0xfffe
	s_or_b32 exec_lo, exec_lo, s44
	v_cmp_lt_u32_e32 vcc_lo, v37, v2
	s_and_saveexec_b32 s44, vcc_lo
	s_cbranch_execz .LBB428_451
.LBB428_450:                            ;   in Loop: Header=BB428_402 Depth=2
	ds_load_u8 v20, v1 offset:2816
	s_wait_dscnt 0x0
	v_and_b32_e32 v21, 0xff, v20
	v_xor_b32_e32 v20, 0x80, v20
	s_delay_alu instid0(VALU_DEP_2) | instskip(NEXT) | instid1(VALU_DEP_1)
	v_lshrrev_b32_e32 v21, s45, v21
	v_and_b32_e32 v21, s31, v21
	s_delay_alu instid0(VALU_DEP_1)
	v_lshlrev_b32_e32 v21, 2, v21
	ds_load_b32 v21, v21
	s_wait_dscnt 0x0
	v_add_nc_u32_e32 v21, v21, v37
	global_store_b8 v21, v20, s[38:39]
.LBB428_451:                            ;   in Loop: Header=BB428_402 Depth=2
	s_wait_alu 0xfffe
	s_or_b32 exec_lo, exec_lo, s44
	s_lshl_b64 s[48:49], s[22:23], 3
	s_wait_alu 0xfffe
	v_add_co_u32 v20, s22, v81, s48
	s_wait_alu 0xf1ff
	v_add_co_ci_u32_e64 v21, null, s49, v82, s22
	v_cmp_lt_u32_e64 s22, v68, v2
	s_and_saveexec_b32 s44, s22
	s_wait_alu 0xfffe
	s_xor_b32 s22, exec_lo, s44
	s_cbranch_execnz .LBB428_486
; %bb.452:                              ;   in Loop: Header=BB428_402 Depth=2
	s_wait_alu 0xfffe
	s_or_b32 exec_lo, exec_lo, s22
	s_delay_alu instid0(SALU_CYCLE_1)
	s_mov_b32 s44, exec_lo
	v_cmpx_lt_u32_e64 v71, v2
	s_cbranch_execnz .LBB428_487
.LBB428_453:                            ;   in Loop: Header=BB428_402 Depth=2
	s_wait_alu 0xfffe
	s_or_b32 exec_lo, exec_lo, s44
	s_delay_alu instid0(SALU_CYCLE_1)
	s_mov_b32 s44, exec_lo
	v_cmpx_lt_u32_e64 v72, v2
	s_cbranch_execnz .LBB428_488
.LBB428_454:                            ;   in Loop: Header=BB428_402 Depth=2
	s_wait_alu 0xfffe
	s_or_b32 exec_lo, exec_lo, s44
	s_delay_alu instid0(SALU_CYCLE_1)
	s_mov_b32 s44, exec_lo
	v_cmpx_lt_u32_e64 v73, v2
	s_cbranch_execnz .LBB428_489
.LBB428_455:                            ;   in Loop: Header=BB428_402 Depth=2
	s_wait_alu 0xfffe
	s_or_b32 exec_lo, exec_lo, s44
	s_delay_alu instid0(SALU_CYCLE_1)
	s_mov_b32 s44, exec_lo
	v_cmpx_lt_u32_e64 v74, v2
	s_cbranch_execnz .LBB428_490
.LBB428_456:                            ;   in Loop: Header=BB428_402 Depth=2
	s_wait_alu 0xfffe
	s_or_b32 exec_lo, exec_lo, s44
	s_delay_alu instid0(SALU_CYCLE_1)
	s_mov_b32 s44, exec_lo
	v_cmpx_lt_u32_e64 v75, v2
	s_cbranch_execnz .LBB428_491
.LBB428_457:                            ;   in Loop: Header=BB428_402 Depth=2
	s_wait_alu 0xfffe
	s_or_b32 exec_lo, exec_lo, s44
	s_delay_alu instid0(SALU_CYCLE_1)
	s_mov_b32 s44, exec_lo
	v_cmpx_lt_u32_e64 v76, v2
	s_cbranch_execnz .LBB428_492
.LBB428_458:                            ;   in Loop: Header=BB428_402 Depth=2
	s_wait_alu 0xfffe
	s_or_b32 exec_lo, exec_lo, s44
	s_delay_alu instid0(SALU_CYCLE_1)
	s_mov_b32 s44, exec_lo
	v_cmpx_lt_u32_e64 v77, v2
	s_cbranch_execnz .LBB428_493
.LBB428_459:                            ;   in Loop: Header=BB428_402 Depth=2
	s_wait_alu 0xfffe
	s_or_b32 exec_lo, exec_lo, s44
	s_and_saveexec_b32 s22, s20
	s_cbranch_execnz .LBB428_494
.LBB428_460:                            ;   in Loop: Header=BB428_402 Depth=2
	s_wait_alu 0xfffe
	s_or_b32 exec_lo, exec_lo, s22
	s_and_saveexec_b32 s22, s21
	s_cbranch_execnz .LBB428_495
.LBB428_461:                            ;   in Loop: Header=BB428_402 Depth=2
	s_wait_alu 0xfffe
	s_or_b32 exec_lo, exec_lo, s22
	s_and_saveexec_b32 s22, s19
	s_cbranch_execnz .LBB428_496
.LBB428_462:                            ;   in Loop: Header=BB428_402 Depth=2
	s_wait_alu 0xfffe
	s_or_b32 exec_lo, exec_lo, s22
	s_and_saveexec_b32 s22, s18
	s_cbranch_execnz .LBB428_497
.LBB428_463:                            ;   in Loop: Header=BB428_402 Depth=2
	s_wait_alu 0xfffe
	s_or_b32 exec_lo, exec_lo, s22
	s_and_saveexec_b32 s22, s17
	s_cbranch_execnz .LBB428_498
.LBB428_464:                            ;   in Loop: Header=BB428_402 Depth=2
	s_wait_alu 0xfffe
	s_or_b32 exec_lo, exec_lo, s22
	s_and_saveexec_b32 s22, s16
	s_cbranch_execnz .LBB428_499
.LBB428_465:                            ;   in Loop: Header=BB428_402 Depth=2
	s_wait_alu 0xfffe
	s_or_b32 exec_lo, exec_lo, s22
	s_and_saveexec_b32 s22, s15
	s_cbranch_execnz .LBB428_500
.LBB428_466:                            ;   in Loop: Header=BB428_402 Depth=2
	s_wait_alu 0xfffe
	s_or_b32 exec_lo, exec_lo, s22
	s_and_saveexec_b32 s22, vcc_lo
	s_cbranch_execz .LBB428_468
.LBB428_467:                            ;   in Loop: Header=BB428_402 Depth=2
	ds_load_u8 v2, v1 offset:2816
	s_wait_dscnt 0x0
	v_lshrrev_b32_e32 v2, s45, v2
	s_delay_alu instid0(VALU_DEP_1)
	v_and_b32_e32 v86, s31, v2
.LBB428_468:                            ;   in Loop: Header=BB428_402 Depth=2
	s_wait_alu 0xfffe
	s_or_b32 exec_lo, exec_lo, s22
	v_lshlrev_b32_e32 v2, 3, v98
	v_lshlrev_b32_e32 v20, 3, v97
	;; [unrolled: 1-line block ×3, first 2 shown]
	s_wait_loadcnt 0x0
	s_wait_storecnt 0x0
	s_barrier_signal -1
	s_barrier_wait -1
	global_inv scope:SCOPE_SE
	ds_store_b64 v2, v[18:19] offset:1024
	ds_store_b64 v20, v[16:17] offset:1024
	;; [unrolled: 1-line block ×3, first 2 shown]
	v_lshlrev_b32_e32 v2, 3, v27
	v_lshlrev_b32_e32 v20, 3, v26
	;; [unrolled: 1-line block ×5, first 2 shown]
	ds_store_b64 v2, v[12:13] offset:1024
	ds_store_b64 v20, v[10:11] offset:1024
	;; [unrolled: 1-line block ×5, first 2 shown]
	s_wait_loadcnt_dscnt 0x0
	s_barrier_signal -1
	s_barrier_wait -1
	global_inv scope:SCOPE_SE
	s_and_saveexec_b32 s22, s20
	s_cbranch_execnz .LBB428_501
; %bb.469:                              ;   in Loop: Header=BB428_402 Depth=2
	s_wait_alu 0xfffe
	s_or_b32 exec_lo, exec_lo, s22
	s_and_saveexec_b32 s22, s21
	s_cbranch_execnz .LBB428_502
.LBB428_470:                            ;   in Loop: Header=BB428_402 Depth=2
	s_wait_alu 0xfffe
	s_or_b32 exec_lo, exec_lo, s22
	s_and_saveexec_b32 s20, s19
	s_cbranch_execnz .LBB428_503
.LBB428_471:                            ;   in Loop: Header=BB428_402 Depth=2
	s_wait_alu 0xfffe
	s_or_b32 exec_lo, exec_lo, s20
	s_and_saveexec_b32 s19, s18
	s_cbranch_execnz .LBB428_504
.LBB428_472:                            ;   in Loop: Header=BB428_402 Depth=2
	s_wait_alu 0xfffe
	s_or_b32 exec_lo, exec_lo, s19
	s_and_saveexec_b32 s18, s17
	s_cbranch_execnz .LBB428_505
.LBB428_473:                            ;   in Loop: Header=BB428_402 Depth=2
	s_wait_alu 0xfffe
	s_or_b32 exec_lo, exec_lo, s18
	s_and_saveexec_b32 s17, s16
	s_cbranch_execnz .LBB428_506
.LBB428_474:                            ;   in Loop: Header=BB428_402 Depth=2
	s_wait_alu 0xfffe
	s_or_b32 exec_lo, exec_lo, s17
	s_and_saveexec_b32 s16, s15
	s_cbranch_execnz .LBB428_507
.LBB428_475:                            ;   in Loop: Header=BB428_402 Depth=2
	s_wait_alu 0xfffe
	s_or_b32 exec_lo, exec_lo, s16
	s_and_saveexec_b32 s15, vcc_lo
	s_cbranch_execz .LBB428_477
.LBB428_476:                            ;   in Loop: Header=BB428_402 Depth=2
	v_lshlrev_b32_e32 v2, 2, v86
	v_add_nc_u32_e32 v20, v1, v47
	ds_load_b32 v2, v2
	ds_load_b64 v[20:21], v20 offset:15360
	s_wait_dscnt 0x1
	v_add_nc_u32_e32 v2, v2, v37
	s_delay_alu instid0(VALU_DEP_1) | instskip(NEXT) | instid1(VALU_DEP_1)
	v_lshlrev_b64_e32 v[23:24], 3, v[2:3]
	v_add_co_u32 v23, vcc_lo, s24, v23
	s_wait_alu 0xfffd
	s_delay_alu instid0(VALU_DEP_2)
	v_add_co_ci_u32_e64 v24, null, s25, v24, vcc_lo
	s_wait_dscnt 0x0
	global_store_b64 v[23:24], v[20:21], off
.LBB428_477:                            ;   in Loop: Header=BB428_402 Depth=2
	s_wait_alu 0xfffe
	s_or_b32 exec_lo, exec_lo, s15
	s_wait_loadcnt 0x0
	s_wait_storecnt 0x0
	s_barrier_signal -1
	s_barrier_wait -1
	global_inv scope:SCOPE_SE
	s_and_saveexec_b32 s15, s2
	s_cbranch_execz .LBB428_401
; %bb.478:                              ;   in Loop: Header=BB428_402 Depth=2
	ds_load_b32 v2, v28
	s_wait_dscnt 0x0
	v_add_nc_u32_e32 v2, v2, v22
	ds_store_b32 v28, v2
	s_branch .LBB428_401
.LBB428_479:                            ;   in Loop: Header=BB428_402 Depth=2
	ds_load_u8 v20, v1 offset:1024
	s_wait_dscnt 0x0
	v_and_b32_e32 v21, 0xff, v20
	v_xor_b32_e32 v20, 0x80, v20
	s_delay_alu instid0(VALU_DEP_2) | instskip(NEXT) | instid1(VALU_DEP_1)
	v_lshrrev_b32_e32 v21, s45, v21
	v_and_b32_e32 v21, s31, v21
	s_delay_alu instid0(VALU_DEP_1)
	v_lshlrev_b32_e32 v21, 2, v21
	ds_load_b32 v21, v21
	s_wait_dscnt 0x0
	v_add_nc_u32_e32 v21, v21, v1
	global_store_b8 v21, v20, s[38:39]
	s_wait_alu 0xfffe
	s_or_b32 exec_lo, exec_lo, s15
	v_cmp_lt_u32_e64 s21, v29, v2
	s_and_saveexec_b32 s15, s21
	s_cbranch_execz .LBB428_444
.LBB428_480:                            ;   in Loop: Header=BB428_402 Depth=2
	ds_load_u8 v20, v1 offset:1280
	s_wait_dscnt 0x0
	v_and_b32_e32 v21, 0xff, v20
	v_xor_b32_e32 v20, 0x80, v20
	s_delay_alu instid0(VALU_DEP_2) | instskip(NEXT) | instid1(VALU_DEP_1)
	v_lshrrev_b32_e32 v21, s45, v21
	v_and_b32_e32 v21, s31, v21
	s_delay_alu instid0(VALU_DEP_1)
	v_lshlrev_b32_e32 v21, 2, v21
	ds_load_b32 v21, v21
	s_wait_dscnt 0x0
	v_add_nc_u32_e32 v21, v21, v29
	global_store_b8 v21, v20, s[38:39]
	s_wait_alu 0xfffe
	s_or_b32 exec_lo, exec_lo, s15
	v_cmp_lt_u32_e64 s19, v30, v2
	s_and_saveexec_b32 s15, s19
	s_cbranch_execz .LBB428_445
.LBB428_481:                            ;   in Loop: Header=BB428_402 Depth=2
	ds_load_u8 v20, v1 offset:1536
	s_wait_dscnt 0x0
	v_and_b32_e32 v21, 0xff, v20
	v_xor_b32_e32 v20, 0x80, v20
	s_delay_alu instid0(VALU_DEP_2) | instskip(NEXT) | instid1(VALU_DEP_1)
	v_lshrrev_b32_e32 v21, s45, v21
	v_and_b32_e32 v21, s31, v21
	s_delay_alu instid0(VALU_DEP_1)
	v_lshlrev_b32_e32 v21, 2, v21
	ds_load_b32 v21, v21
	s_wait_dscnt 0x0
	v_add_nc_u32_e32 v21, v21, v30
	global_store_b8 v21, v20, s[38:39]
	s_wait_alu 0xfffe
	s_or_b32 exec_lo, exec_lo, s15
	v_cmp_lt_u32_e64 s18, v31, v2
	s_and_saveexec_b32 s15, s18
	s_cbranch_execz .LBB428_446
.LBB428_482:                            ;   in Loop: Header=BB428_402 Depth=2
	ds_load_u8 v20, v1 offset:1792
	s_wait_dscnt 0x0
	v_and_b32_e32 v21, 0xff, v20
	v_xor_b32_e32 v20, 0x80, v20
	s_delay_alu instid0(VALU_DEP_2) | instskip(NEXT) | instid1(VALU_DEP_1)
	v_lshrrev_b32_e32 v21, s45, v21
	v_and_b32_e32 v21, s31, v21
	s_delay_alu instid0(VALU_DEP_1)
	v_lshlrev_b32_e32 v21, 2, v21
	ds_load_b32 v21, v21
	s_wait_dscnt 0x0
	v_add_nc_u32_e32 v21, v21, v31
	global_store_b8 v21, v20, s[38:39]
	s_wait_alu 0xfffe
	s_or_b32 exec_lo, exec_lo, s15
	v_cmp_lt_u32_e64 s17, v34, v2
	s_and_saveexec_b32 s15, s17
	s_cbranch_execz .LBB428_447
.LBB428_483:                            ;   in Loop: Header=BB428_402 Depth=2
	ds_load_u8 v20, v1 offset:2048
	s_wait_dscnt 0x0
	v_and_b32_e32 v21, 0xff, v20
	v_xor_b32_e32 v20, 0x80, v20
	s_delay_alu instid0(VALU_DEP_2) | instskip(NEXT) | instid1(VALU_DEP_1)
	v_lshrrev_b32_e32 v21, s45, v21
	v_and_b32_e32 v21, s31, v21
	s_delay_alu instid0(VALU_DEP_1)
	v_lshlrev_b32_e32 v21, 2, v21
	ds_load_b32 v21, v21
	s_wait_dscnt 0x0
	v_add_nc_u32_e32 v21, v21, v34
	global_store_b8 v21, v20, s[38:39]
	s_wait_alu 0xfffe
	s_or_b32 exec_lo, exec_lo, s15
	v_cmp_lt_u32_e64 s16, v35, v2
	s_and_saveexec_b32 s15, s16
	s_cbranch_execz .LBB428_448
.LBB428_484:                            ;   in Loop: Header=BB428_402 Depth=2
	ds_load_u8 v20, v1 offset:2304
	s_wait_dscnt 0x0
	v_and_b32_e32 v21, 0xff, v20
	v_xor_b32_e32 v20, 0x80, v20
	s_delay_alu instid0(VALU_DEP_2) | instskip(NEXT) | instid1(VALU_DEP_1)
	v_lshrrev_b32_e32 v21, s45, v21
	v_and_b32_e32 v21, s31, v21
	s_delay_alu instid0(VALU_DEP_1)
	v_lshlrev_b32_e32 v21, 2, v21
	ds_load_b32 v21, v21
	s_wait_dscnt 0x0
	v_add_nc_u32_e32 v21, v21, v35
	global_store_b8 v21, v20, s[38:39]
	s_wait_alu 0xfffe
	s_or_b32 exec_lo, exec_lo, s15
	v_cmp_lt_u32_e64 s15, v36, v2
	s_and_saveexec_b32 s44, s15
	s_cbranch_execz .LBB428_449
.LBB428_485:                            ;   in Loop: Header=BB428_402 Depth=2
	ds_load_u8 v20, v1 offset:2560
	s_wait_dscnt 0x0
	v_and_b32_e32 v21, 0xff, v20
	v_xor_b32_e32 v20, 0x80, v20
	s_delay_alu instid0(VALU_DEP_2) | instskip(NEXT) | instid1(VALU_DEP_1)
	v_lshrrev_b32_e32 v21, s45, v21
	v_and_b32_e32 v21, s31, v21
	s_delay_alu instid0(VALU_DEP_1)
	v_lshlrev_b32_e32 v21, 2, v21
	ds_load_b32 v21, v21
	s_wait_dscnt 0x0
	v_add_nc_u32_e32 v21, v21, v36
	global_store_b8 v21, v20, s[38:39]
	s_wait_alu 0xfffe
	s_or_b32 exec_lo, exec_lo, s44
	v_cmp_lt_u32_e32 vcc_lo, v37, v2
	s_and_saveexec_b32 s44, vcc_lo
	s_cbranch_execnz .LBB428_450
	s_branch .LBB428_451
.LBB428_486:                            ;   in Loop: Header=BB428_402 Depth=2
	global_load_b64 v[18:19], v[20:21], off
	s_wait_alu 0xfffe
	s_or_b32 exec_lo, exec_lo, s22
	s_delay_alu instid0(SALU_CYCLE_1)
	s_mov_b32 s44, exec_lo
	v_cmpx_lt_u32_e64 v71, v2
	s_cbranch_execz .LBB428_453
.LBB428_487:                            ;   in Loop: Header=BB428_402 Depth=2
	global_load_b64 v[16:17], v[20:21], off offset:256
	s_wait_alu 0xfffe
	s_or_b32 exec_lo, exec_lo, s44
	s_delay_alu instid0(SALU_CYCLE_1)
	s_mov_b32 s44, exec_lo
	v_cmpx_lt_u32_e64 v72, v2
	s_cbranch_execz .LBB428_454
.LBB428_488:                            ;   in Loop: Header=BB428_402 Depth=2
	global_load_b64 v[14:15], v[20:21], off offset:512
	s_wait_alu 0xfffe
	s_or_b32 exec_lo, exec_lo, s44
	s_delay_alu instid0(SALU_CYCLE_1)
	s_mov_b32 s44, exec_lo
	v_cmpx_lt_u32_e64 v73, v2
	s_cbranch_execz .LBB428_455
.LBB428_489:                            ;   in Loop: Header=BB428_402 Depth=2
	global_load_b64 v[12:13], v[20:21], off offset:768
	s_wait_alu 0xfffe
	s_or_b32 exec_lo, exec_lo, s44
	s_delay_alu instid0(SALU_CYCLE_1)
	s_mov_b32 s44, exec_lo
	v_cmpx_lt_u32_e64 v74, v2
	s_cbranch_execz .LBB428_456
.LBB428_490:                            ;   in Loop: Header=BB428_402 Depth=2
	global_load_b64 v[10:11], v[20:21], off offset:1024
	s_wait_alu 0xfffe
	s_or_b32 exec_lo, exec_lo, s44
	s_delay_alu instid0(SALU_CYCLE_1)
	s_mov_b32 s44, exec_lo
	v_cmpx_lt_u32_e64 v75, v2
	s_cbranch_execz .LBB428_457
.LBB428_491:                            ;   in Loop: Header=BB428_402 Depth=2
	global_load_b64 v[8:9], v[20:21], off offset:1280
	s_wait_alu 0xfffe
	s_or_b32 exec_lo, exec_lo, s44
	s_delay_alu instid0(SALU_CYCLE_1)
	s_mov_b32 s44, exec_lo
	v_cmpx_lt_u32_e64 v76, v2
	s_cbranch_execz .LBB428_458
.LBB428_492:                            ;   in Loop: Header=BB428_402 Depth=2
	global_load_b64 v[6:7], v[20:21], off offset:1536
	s_wait_alu 0xfffe
	s_or_b32 exec_lo, exec_lo, s44
	s_delay_alu instid0(SALU_CYCLE_1)
	s_mov_b32 s44, exec_lo
	v_cmpx_lt_u32_e64 v77, v2
	s_cbranch_execz .LBB428_459
.LBB428_493:                            ;   in Loop: Header=BB428_402 Depth=2
	global_load_b64 v[4:5], v[20:21], off offset:1792
	s_wait_alu 0xfffe
	s_or_b32 exec_lo, exec_lo, s44
	s_and_saveexec_b32 s22, s20
	s_cbranch_execz .LBB428_460
.LBB428_494:                            ;   in Loop: Header=BB428_402 Depth=2
	ds_load_u8 v2, v1 offset:1024
	s_wait_dscnt 0x0
	v_lshrrev_b32_e32 v2, s45, v2
	s_delay_alu instid0(VALU_DEP_1)
	v_and_b32_e32 v93, s31, v2
	s_wait_alu 0xfffe
	s_or_b32 exec_lo, exec_lo, s22
	s_and_saveexec_b32 s22, s21
	s_cbranch_execz .LBB428_461
.LBB428_495:                            ;   in Loop: Header=BB428_402 Depth=2
	ds_load_u8 v2, v1 offset:1280
	s_wait_dscnt 0x0
	v_lshrrev_b32_e32 v2, s45, v2
	s_delay_alu instid0(VALU_DEP_1)
	v_and_b32_e32 v92, s31, v2
	s_wait_alu 0xfffe
	s_or_b32 exec_lo, exec_lo, s22
	s_and_saveexec_b32 s22, s19
	s_cbranch_execz .LBB428_462
.LBB428_496:                            ;   in Loop: Header=BB428_402 Depth=2
	ds_load_u8 v2, v1 offset:1536
	s_wait_dscnt 0x0
	v_lshrrev_b32_e32 v2, s45, v2
	s_delay_alu instid0(VALU_DEP_1)
	v_and_b32_e32 v91, s31, v2
	s_wait_alu 0xfffe
	s_or_b32 exec_lo, exec_lo, s22
	s_and_saveexec_b32 s22, s18
	s_cbranch_execz .LBB428_463
.LBB428_497:                            ;   in Loop: Header=BB428_402 Depth=2
	ds_load_u8 v2, v1 offset:1792
	s_wait_dscnt 0x0
	v_lshrrev_b32_e32 v2, s45, v2
	s_delay_alu instid0(VALU_DEP_1)
	v_and_b32_e32 v90, s31, v2
	s_wait_alu 0xfffe
	s_or_b32 exec_lo, exec_lo, s22
	s_and_saveexec_b32 s22, s17
	s_cbranch_execz .LBB428_464
.LBB428_498:                            ;   in Loop: Header=BB428_402 Depth=2
	ds_load_u8 v2, v1 offset:2048
	s_wait_dscnt 0x0
	v_lshrrev_b32_e32 v2, s45, v2
	s_delay_alu instid0(VALU_DEP_1)
	v_and_b32_e32 v89, s31, v2
	s_wait_alu 0xfffe
	s_or_b32 exec_lo, exec_lo, s22
	s_and_saveexec_b32 s22, s16
	s_cbranch_execz .LBB428_465
.LBB428_499:                            ;   in Loop: Header=BB428_402 Depth=2
	ds_load_u8 v2, v1 offset:2304
	s_wait_dscnt 0x0
	v_lshrrev_b32_e32 v2, s45, v2
	s_delay_alu instid0(VALU_DEP_1)
	v_and_b32_e32 v88, s31, v2
	s_wait_alu 0xfffe
	s_or_b32 exec_lo, exec_lo, s22
	s_and_saveexec_b32 s22, s15
	s_cbranch_execz .LBB428_466
.LBB428_500:                            ;   in Loop: Header=BB428_402 Depth=2
	ds_load_u8 v2, v1 offset:2560
	s_wait_dscnt 0x0
	v_lshrrev_b32_e32 v2, s45, v2
	s_delay_alu instid0(VALU_DEP_1)
	v_and_b32_e32 v87, s31, v2
	s_wait_alu 0xfffe
	s_or_b32 exec_lo, exec_lo, s22
	s_and_saveexec_b32 s22, vcc_lo
	s_cbranch_execnz .LBB428_467
	s_branch .LBB428_468
.LBB428_501:                            ;   in Loop: Header=BB428_402 Depth=2
	v_lshlrev_b32_e32 v2, 2, v93
	v_add_nc_u32_e32 v20, v1, v47
	ds_load_b32 v2, v2
	ds_load_b64 v[20:21], v20 offset:1024
	s_wait_dscnt 0x1
	v_add_nc_u32_e32 v2, v2, v1
	s_delay_alu instid0(VALU_DEP_1) | instskip(NEXT) | instid1(VALU_DEP_1)
	v_lshlrev_b64_e32 v[23:24], 3, v[2:3]
	v_add_co_u32 v23, s20, s24, v23
	s_wait_alu 0xf1ff
	s_delay_alu instid0(VALU_DEP_2)
	v_add_co_ci_u32_e64 v24, null, s25, v24, s20
	s_wait_dscnt 0x0
	global_store_b64 v[23:24], v[20:21], off
	s_wait_alu 0xfffe
	s_or_b32 exec_lo, exec_lo, s22
	s_and_saveexec_b32 s22, s21
	s_cbranch_execz .LBB428_470
.LBB428_502:                            ;   in Loop: Header=BB428_402 Depth=2
	v_lshlrev_b32_e32 v2, 2, v92
	v_add_nc_u32_e32 v20, v1, v47
	ds_load_b32 v2, v2
	ds_load_b64 v[20:21], v20 offset:3072
	s_wait_dscnt 0x1
	v_add_nc_u32_e32 v2, v2, v29
	s_delay_alu instid0(VALU_DEP_1) | instskip(NEXT) | instid1(VALU_DEP_1)
	v_lshlrev_b64_e32 v[23:24], 3, v[2:3]
	v_add_co_u32 v23, s20, s24, v23
	s_wait_alu 0xf1ff
	s_delay_alu instid0(VALU_DEP_2)
	v_add_co_ci_u32_e64 v24, null, s25, v24, s20
	s_wait_dscnt 0x0
	global_store_b64 v[23:24], v[20:21], off
	s_wait_alu 0xfffe
	s_or_b32 exec_lo, exec_lo, s22
	s_and_saveexec_b32 s20, s19
	s_cbranch_execz .LBB428_471
.LBB428_503:                            ;   in Loop: Header=BB428_402 Depth=2
	v_lshlrev_b32_e32 v2, 2, v91
	v_add_nc_u32_e32 v20, v1, v47
	ds_load_b32 v2, v2
	ds_load_b64 v[20:21], v20 offset:5120
	s_wait_dscnt 0x1
	v_add_nc_u32_e32 v2, v2, v30
	s_delay_alu instid0(VALU_DEP_1) | instskip(NEXT) | instid1(VALU_DEP_1)
	v_lshlrev_b64_e32 v[23:24], 3, v[2:3]
	v_add_co_u32 v23, s19, s24, v23
	s_wait_alu 0xf1ff
	s_delay_alu instid0(VALU_DEP_2)
	v_add_co_ci_u32_e64 v24, null, s25, v24, s19
	s_wait_dscnt 0x0
	global_store_b64 v[23:24], v[20:21], off
	s_wait_alu 0xfffe
	s_or_b32 exec_lo, exec_lo, s20
	s_and_saveexec_b32 s19, s18
	s_cbranch_execz .LBB428_472
.LBB428_504:                            ;   in Loop: Header=BB428_402 Depth=2
	v_lshlrev_b32_e32 v2, 2, v90
	v_add_nc_u32_e32 v20, v1, v47
	ds_load_b32 v2, v2
	ds_load_b64 v[20:21], v20 offset:7168
	s_wait_dscnt 0x1
	v_add_nc_u32_e32 v2, v2, v31
	s_delay_alu instid0(VALU_DEP_1) | instskip(NEXT) | instid1(VALU_DEP_1)
	v_lshlrev_b64_e32 v[23:24], 3, v[2:3]
	v_add_co_u32 v23, s18, s24, v23
	s_wait_alu 0xf1ff
	s_delay_alu instid0(VALU_DEP_2)
	v_add_co_ci_u32_e64 v24, null, s25, v24, s18
	s_wait_dscnt 0x0
	global_store_b64 v[23:24], v[20:21], off
	s_wait_alu 0xfffe
	s_or_b32 exec_lo, exec_lo, s19
	s_and_saveexec_b32 s18, s17
	s_cbranch_execz .LBB428_473
.LBB428_505:                            ;   in Loop: Header=BB428_402 Depth=2
	v_lshlrev_b32_e32 v2, 2, v89
	v_add_nc_u32_e32 v20, v1, v47
	ds_load_b32 v2, v2
	ds_load_b64 v[20:21], v20 offset:9216
	s_wait_dscnt 0x1
	v_add_nc_u32_e32 v2, v2, v34
	s_delay_alu instid0(VALU_DEP_1) | instskip(NEXT) | instid1(VALU_DEP_1)
	v_lshlrev_b64_e32 v[23:24], 3, v[2:3]
	v_add_co_u32 v23, s17, s24, v23
	s_wait_alu 0xf1ff
	s_delay_alu instid0(VALU_DEP_2)
	v_add_co_ci_u32_e64 v24, null, s25, v24, s17
	s_wait_dscnt 0x0
	global_store_b64 v[23:24], v[20:21], off
	s_wait_alu 0xfffe
	s_or_b32 exec_lo, exec_lo, s18
	s_and_saveexec_b32 s17, s16
	s_cbranch_execz .LBB428_474
.LBB428_506:                            ;   in Loop: Header=BB428_402 Depth=2
	v_lshlrev_b32_e32 v2, 2, v88
	v_add_nc_u32_e32 v20, v1, v47
	ds_load_b32 v2, v2
	ds_load_b64 v[20:21], v20 offset:11264
	s_wait_dscnt 0x1
	v_add_nc_u32_e32 v2, v2, v35
	s_delay_alu instid0(VALU_DEP_1) | instskip(NEXT) | instid1(VALU_DEP_1)
	v_lshlrev_b64_e32 v[23:24], 3, v[2:3]
	v_add_co_u32 v23, s16, s24, v23
	s_wait_alu 0xf1ff
	s_delay_alu instid0(VALU_DEP_2)
	v_add_co_ci_u32_e64 v24, null, s25, v24, s16
	s_wait_dscnt 0x0
	global_store_b64 v[23:24], v[20:21], off
	s_wait_alu 0xfffe
	s_or_b32 exec_lo, exec_lo, s17
	s_and_saveexec_b32 s16, s15
	s_cbranch_execz .LBB428_475
.LBB428_507:                            ;   in Loop: Header=BB428_402 Depth=2
	v_lshlrev_b32_e32 v2, 2, v87
	v_add_nc_u32_e32 v20, v1, v47
	ds_load_b32 v2, v2
	ds_load_b64 v[20:21], v20 offset:13312
	s_wait_dscnt 0x1
	v_add_nc_u32_e32 v2, v2, v36
	s_delay_alu instid0(VALU_DEP_1) | instskip(NEXT) | instid1(VALU_DEP_1)
	v_lshlrev_b64_e32 v[23:24], 3, v[2:3]
	v_add_co_u32 v23, s15, s24, v23
	s_wait_alu 0xf1ff
	s_delay_alu instid0(VALU_DEP_2)
	v_add_co_ci_u32_e64 v24, null, s25, v24, s15
	s_wait_dscnt 0x0
	global_store_b64 v[23:24], v[20:21], off
	s_wait_alu 0xfffe
	s_or_b32 exec_lo, exec_lo, s16
	s_and_saveexec_b32 s15, vcc_lo
	s_cbranch_execnz .LBB428_476
	s_branch .LBB428_477
.LBB428_508:                            ;   in Loop: Header=BB428_402 Depth=2
	global_load_u8 v94, v[20:21], off
	v_dual_mov_b32 v22, 0x7f :: v_dual_mov_b32 v27, 0x7f
	v_dual_mov_b32 v96, 0x7f :: v_dual_mov_b32 v25, 0x7f
	;; [unrolled: 1-line block ×3, first 2 shown]
	v_mov_b32_e32 v24, 0x7f
	s_wait_alu 0xfffe
	s_or_b32 exec_lo, exec_lo, s15
	s_delay_alu instid0(SALU_CYCLE_1)
	s_mov_b32 s15, exec_lo
	v_cmpx_gt_u32_e64 s42, v71
	s_cbranch_execz .LBB428_407
.LBB428_509:                            ;   in Loop: Header=BB428_402 Depth=2
	global_load_u8 v96, v[20:21], off offset:32
	s_wait_alu 0xfffe
	s_or_b32 exec_lo, exec_lo, s15
	s_delay_alu instid0(SALU_CYCLE_1)
	s_mov_b32 s15, exec_lo
	v_cmpx_gt_u32_e64 s42, v72
	s_cbranch_execz .LBB428_408
.LBB428_510:                            ;   in Loop: Header=BB428_402 Depth=2
	global_load_u8 v27, v[20:21], off offset:64
	s_wait_alu 0xfffe
	s_or_b32 exec_lo, exec_lo, s15
	s_delay_alu instid0(SALU_CYCLE_1)
	s_mov_b32 s15, exec_lo
	v_cmpx_gt_u32_e64 s42, v73
	s_cbranch_execz .LBB428_409
.LBB428_511:                            ;   in Loop: Header=BB428_402 Depth=2
	global_load_u8 v26, v[20:21], off offset:96
	s_wait_alu 0xfffe
	s_or_b32 exec_lo, exec_lo, s15
	s_delay_alu instid0(SALU_CYCLE_1)
	s_mov_b32 s15, exec_lo
	v_cmpx_gt_u32_e64 s42, v74
	s_cbranch_execz .LBB428_410
.LBB428_512:                            ;   in Loop: Header=BB428_402 Depth=2
	global_load_u8 v25, v[20:21], off offset:128
	s_wait_alu 0xfffe
	s_or_b32 exec_lo, exec_lo, s15
	s_delay_alu instid0(SALU_CYCLE_1)
	s_mov_b32 s15, exec_lo
	v_cmpx_gt_u32_e64 s42, v75
	s_cbranch_execz .LBB428_411
.LBB428_513:                            ;   in Loop: Header=BB428_402 Depth=2
	global_load_u8 v24, v[20:21], off offset:160
	s_wait_alu 0xfffe
	s_or_b32 exec_lo, exec_lo, s15
	s_delay_alu instid0(SALU_CYCLE_1)
	s_mov_b32 s15, exec_lo
	v_cmpx_gt_u32_e64 s42, v76
	s_cbranch_execnz .LBB428_412
	s_branch .LBB428_413
.LBB428_514:                            ;   in Loop: Header=BB428_20 Depth=1
	s_wait_loadcnt_dscnt 0x0
	s_barrier_signal -1
	s_mov_b32 s0, 0
	s_barrier_wait -1
.LBB428_515:                            ;   in Loop: Header=BB428_20 Depth=1
	s_wait_alu 0xfffe
	s_and_b32 vcc_lo, exec_lo, s0
	s_wait_alu 0xfffe
	s_cbranch_vccz .LBB428_19
; %bb.516:                              ;   in Loop: Header=BB428_20 Depth=1
	v_dual_mov_b32 v7, 0 :: v_dual_mov_b32 v10, 0
	v_dual_mov_b32 v9, 0 :: v_dual_mov_b32 v8, 0
	;; [unrolled: 1-line block ×3, first 2 shown]
	v_mov_b32_e32 v4, 0
	v_mov_b32_e32 v2, 0
	s_mov_b32 s9, s47
	s_mov_b32 s22, s33
	s_barrier_signal -1
	s_barrier_wait -1
	global_inv scope:SCOPE_SE
	s_branch .LBB428_518
.LBB428_517:                            ;   in Loop: Header=BB428_518 Depth=2
	s_wait_alu 0xfffe
	s_or_b32 exec_lo, exec_lo, s0
	s_addk_co_i32 s9, 0xf800
	s_cmp_ge_u32 s10, s34
	s_mov_b32 s22, s10
	s_cbranch_scc1 .LBB428_554
.LBB428_518:                            ;   Parent Loop BB428_20 Depth=1
                                        ; =>  This Inner Loop Header: Depth=2
	s_wait_alu 0xfffe
	s_add_co_i32 s10, s22, 0x800
	s_mov_b32 s0, -1
	s_wait_alu 0xfffe
	s_cmp_gt_u32 s10, s34
                                        ; implicit-def: $vgpr11
                                        ; implicit-def: $vgpr12
                                        ; implicit-def: $vgpr13
                                        ; implicit-def: $vgpr14
                                        ; implicit-def: $vgpr15
                                        ; implicit-def: $vgpr16
                                        ; implicit-def: $vgpr17
                                        ; implicit-def: $vgpr18
	s_cbranch_scc1 .LBB428_520
; %bb.519:                              ;   in Loop: Header=BB428_518 Depth=2
	v_add_co_u32 v19, vcc_lo, v54, s22
	s_wait_alu 0xfffd
	v_add_co_ci_u32_e64 v20, null, 0, v55, vcc_lo
	s_mov_b32 s0, 0
	s_clause 0x7
	global_load_u8 v18, v[19:20], off offset:1792
	global_load_u8 v17, v[19:20], off offset:1536
	global_load_u8 v16, v[19:20], off offset:1280
	global_load_u8 v15, v[19:20], off offset:1024
	global_load_u8 v14, v[19:20], off offset:768
	global_load_u8 v13, v[19:20], off offset:512
	global_load_u8 v12, v[19:20], off offset:256
	global_load_u8 v11, v[19:20], off
.LBB428_520:                            ;   in Loop: Header=BB428_518 Depth=2
	s_wait_alu 0xfffe
	s_and_not1_b32 vcc_lo, exec_lo, s0
	s_movk_i32 s0, 0x800
	s_wait_alu 0xfffe
	s_cbranch_vccnz .LBB428_531
; %bb.521:                              ;   in Loop: Header=BB428_518 Depth=2
	s_add_nc_u64 s[0:1], s[36:37], s[22:23]
	s_mov_b32 s11, exec_lo
	v_cmpx_gt_u32_e64 s9, v1
	s_cbranch_execnz .LBB428_547
; %bb.522:                              ;   in Loop: Header=BB428_518 Depth=2
	s_wait_alu 0xfffe
	s_or_b32 exec_lo, exec_lo, s11
	s_delay_alu instid0(SALU_CYCLE_1)
	s_mov_b32 s11, exec_lo
	v_cmpx_gt_u32_e64 s9, v29
	s_cbranch_execnz .LBB428_548
.LBB428_523:                            ;   in Loop: Header=BB428_518 Depth=2
	s_wait_alu 0xfffe
	s_or_b32 exec_lo, exec_lo, s11
	s_delay_alu instid0(SALU_CYCLE_1)
	s_mov_b32 s11, exec_lo
	v_cmpx_gt_u32_e64 s9, v30
	s_cbranch_execnz .LBB428_549
.LBB428_524:                            ;   in Loop: Header=BB428_518 Depth=2
	s_wait_alu 0xfffe
	s_or_b32 exec_lo, exec_lo, s11
	s_delay_alu instid0(SALU_CYCLE_1)
	s_mov_b32 s11, exec_lo
	v_cmpx_gt_u32_e64 s9, v31
	s_cbranch_execnz .LBB428_550
.LBB428_525:                            ;   in Loop: Header=BB428_518 Depth=2
	s_wait_alu 0xfffe
	s_or_b32 exec_lo, exec_lo, s11
	s_delay_alu instid0(SALU_CYCLE_1)
	s_mov_b32 s11, exec_lo
	v_cmpx_gt_u32_e64 s9, v34
	s_cbranch_execnz .LBB428_551
.LBB428_526:                            ;   in Loop: Header=BB428_518 Depth=2
	s_wait_alu 0xfffe
	s_or_b32 exec_lo, exec_lo, s11
	s_delay_alu instid0(SALU_CYCLE_1)
	s_mov_b32 s11, exec_lo
	v_cmpx_gt_u32_e64 s9, v35
	s_cbranch_execnz .LBB428_552
.LBB428_527:                            ;   in Loop: Header=BB428_518 Depth=2
	s_wait_alu 0xfffe
	s_or_b32 exec_lo, exec_lo, s11
	s_delay_alu instid0(SALU_CYCLE_1)
	s_mov_b32 s11, exec_lo
	v_cmpx_gt_u32_e64 s9, v36
	s_cbranch_execnz .LBB428_553
.LBB428_528:                            ;   in Loop: Header=BB428_518 Depth=2
	s_wait_alu 0xfffe
	s_or_b32 exec_lo, exec_lo, s11
	s_delay_alu instid0(SALU_CYCLE_1)
	s_mov_b32 s11, exec_lo
	v_cmpx_gt_u32_e64 s9, v37
	s_cbranch_execz .LBB428_530
.LBB428_529:                            ;   in Loop: Header=BB428_518 Depth=2
	s_wait_loadcnt 0x0
	v_add_co_u32 v11, s0, s0, v1
	s_wait_alu 0xf1ff
	v_add_co_ci_u32_e64 v12, null, s1, 0, s0
	global_load_u8 v2, v[11:12], off offset:1792
.LBB428_530:                            ;   in Loop: Header=BB428_518 Depth=2
	s_wait_alu 0xfffe
	s_or_b32 exec_lo, exec_lo, s11
	s_wait_loadcnt 0x0
	v_dual_mov_b32 v11, v7 :: v_dual_mov_b32 v12, v10
	v_dual_mov_b32 v13, v9 :: v_dual_mov_b32 v14, v8
	;; [unrolled: 1-line block ×4, first 2 shown]
	s_mov_b32 s0, s9
.LBB428_531:                            ;   in Loop: Header=BB428_518 Depth=2
	s_wait_loadcnt 0x5
	s_delay_alu instid0(VALU_DEP_1)
	v_dual_mov_b32 v2, v18 :: v_dual_mov_b32 v5, v16
	s_wait_loadcnt 0x2
	v_dual_mov_b32 v4, v17 :: v_dual_mov_b32 v9, v13
	s_wait_loadcnt 0x0
	v_dual_mov_b32 v6, v15 :: v_dual_mov_b32 v7, v11
	v_mov_b32_e32 v8, v14
	v_mov_b32_e32 v10, v12
	s_mov_b32 s1, exec_lo
	s_wait_alu 0xfffe
	v_cmpx_gt_u32_e64 s0, v1
	s_cbranch_execnz .LBB428_539
; %bb.532:                              ;   in Loop: Header=BB428_518 Depth=2
	s_or_b32 exec_lo, exec_lo, s1
	s_delay_alu instid0(SALU_CYCLE_1)
	s_mov_b32 s1, exec_lo
	v_cmpx_gt_u32_e64 s0, v29
	s_cbranch_execnz .LBB428_540
.LBB428_533:                            ;   in Loop: Header=BB428_518 Depth=2
	s_wait_alu 0xfffe
	s_or_b32 exec_lo, exec_lo, s1
	s_delay_alu instid0(SALU_CYCLE_1)
	s_mov_b32 s1, exec_lo
	v_cmpx_gt_u32_e64 s0, v30
	s_cbranch_execnz .LBB428_541
.LBB428_534:                            ;   in Loop: Header=BB428_518 Depth=2
	s_wait_alu 0xfffe
	s_or_b32 exec_lo, exec_lo, s1
	s_delay_alu instid0(SALU_CYCLE_1)
	s_mov_b32 s1, exec_lo
	v_cmpx_gt_u32_e64 s0, v31
	s_cbranch_execnz .LBB428_542
.LBB428_535:                            ;   in Loop: Header=BB428_518 Depth=2
	s_wait_alu 0xfffe
	s_or_b32 exec_lo, exec_lo, s1
	s_delay_alu instid0(SALU_CYCLE_1)
	s_mov_b32 s1, exec_lo
	v_cmpx_gt_u32_e64 s0, v34
	s_cbranch_execnz .LBB428_543
.LBB428_536:                            ;   in Loop: Header=BB428_518 Depth=2
	s_wait_alu 0xfffe
	s_or_b32 exec_lo, exec_lo, s1
	s_delay_alu instid0(SALU_CYCLE_1)
	s_mov_b32 s1, exec_lo
	v_cmpx_gt_u32_e64 s0, v35
	s_cbranch_execnz .LBB428_544
.LBB428_537:                            ;   in Loop: Header=BB428_518 Depth=2
	s_wait_alu 0xfffe
	s_or_b32 exec_lo, exec_lo, s1
	s_delay_alu instid0(SALU_CYCLE_1)
	s_mov_b32 s1, exec_lo
	v_cmpx_gt_u32_e64 s0, v36
	s_cbranch_execnz .LBB428_545
.LBB428_538:                            ;   in Loop: Header=BB428_518 Depth=2
	s_wait_alu 0xfffe
	s_or_b32 exec_lo, exec_lo, s1
	v_cmp_gt_u32_e32 vcc_lo, s0, v37
	s_and_saveexec_b32 s0, vcc_lo
	s_cbranch_execz .LBB428_517
	s_branch .LBB428_546
.LBB428_539:                            ;   in Loop: Header=BB428_518 Depth=2
	v_xor_b32_e32 v11, 0x80, v7
	s_delay_alu instid0(VALU_DEP_1) | instskip(NEXT) | instid1(VALU_DEP_1)
	v_and_b32_e32 v11, 0xff, v11
	v_lshrrev_b32_e32 v11, s45, v11
	s_delay_alu instid0(VALU_DEP_1) | instskip(NEXT) | instid1(VALU_DEP_1)
	v_and_b32_e32 v11, s31, v11
	v_lshl_or_b32 v11, v11, 4, v39
	ds_add_u32 v11, v61
	s_or_b32 exec_lo, exec_lo, s1
	s_delay_alu instid0(SALU_CYCLE_1)
	s_mov_b32 s1, exec_lo
	v_cmpx_gt_u32_e64 s0, v29
	s_cbranch_execz .LBB428_533
.LBB428_540:                            ;   in Loop: Header=BB428_518 Depth=2
	v_xor_b32_e32 v11, 0x80, v10
	s_delay_alu instid0(VALU_DEP_1) | instskip(NEXT) | instid1(VALU_DEP_1)
	v_and_b32_e32 v11, 0xff, v11
	v_lshrrev_b32_e32 v11, s45, v11
	s_delay_alu instid0(VALU_DEP_1) | instskip(NEXT) | instid1(VALU_DEP_1)
	v_and_b32_e32 v11, s31, v11
	v_lshl_or_b32 v11, v11, 4, v39
	ds_add_u32 v11, v61
	s_wait_alu 0xfffe
	s_or_b32 exec_lo, exec_lo, s1
	s_delay_alu instid0(SALU_CYCLE_1)
	s_mov_b32 s1, exec_lo
	v_cmpx_gt_u32_e64 s0, v30
	s_cbranch_execz .LBB428_534
.LBB428_541:                            ;   in Loop: Header=BB428_518 Depth=2
	v_xor_b32_e32 v11, 0x80, v9
	s_delay_alu instid0(VALU_DEP_1) | instskip(NEXT) | instid1(VALU_DEP_1)
	v_and_b32_e32 v11, 0xff, v11
	v_lshrrev_b32_e32 v11, s45, v11
	s_delay_alu instid0(VALU_DEP_1) | instskip(NEXT) | instid1(VALU_DEP_1)
	v_and_b32_e32 v11, s31, v11
	v_lshl_or_b32 v11, v11, 4, v39
	ds_add_u32 v11, v61
	s_wait_alu 0xfffe
	s_or_b32 exec_lo, exec_lo, s1
	s_delay_alu instid0(SALU_CYCLE_1)
	s_mov_b32 s1, exec_lo
	v_cmpx_gt_u32_e64 s0, v31
	s_cbranch_execz .LBB428_535
.LBB428_542:                            ;   in Loop: Header=BB428_518 Depth=2
	v_xor_b32_e32 v11, 0x80, v8
	s_delay_alu instid0(VALU_DEP_1) | instskip(NEXT) | instid1(VALU_DEP_1)
	v_and_b32_e32 v11, 0xff, v11
	v_lshrrev_b32_e32 v11, s45, v11
	s_delay_alu instid0(VALU_DEP_1) | instskip(NEXT) | instid1(VALU_DEP_1)
	v_and_b32_e32 v11, s31, v11
	v_lshl_or_b32 v11, v11, 4, v39
	ds_add_u32 v11, v61
	s_wait_alu 0xfffe
	s_or_b32 exec_lo, exec_lo, s1
	s_delay_alu instid0(SALU_CYCLE_1)
	s_mov_b32 s1, exec_lo
	v_cmpx_gt_u32_e64 s0, v34
	s_cbranch_execz .LBB428_536
.LBB428_543:                            ;   in Loop: Header=BB428_518 Depth=2
	v_xor_b32_e32 v11, 0x80, v6
	s_delay_alu instid0(VALU_DEP_1) | instskip(NEXT) | instid1(VALU_DEP_1)
	v_and_b32_e32 v11, 0xff, v11
	v_lshrrev_b32_e32 v11, s45, v11
	s_delay_alu instid0(VALU_DEP_1) | instskip(NEXT) | instid1(VALU_DEP_1)
	v_and_b32_e32 v11, s31, v11
	v_lshl_or_b32 v11, v11, 4, v39
	ds_add_u32 v11, v61
	s_wait_alu 0xfffe
	s_or_b32 exec_lo, exec_lo, s1
	s_delay_alu instid0(SALU_CYCLE_1)
	s_mov_b32 s1, exec_lo
	v_cmpx_gt_u32_e64 s0, v35
	s_cbranch_execz .LBB428_537
.LBB428_544:                            ;   in Loop: Header=BB428_518 Depth=2
	v_xor_b32_e32 v11, 0x80, v5
	s_delay_alu instid0(VALU_DEP_1) | instskip(NEXT) | instid1(VALU_DEP_1)
	v_and_b32_e32 v11, 0xff, v11
	v_lshrrev_b32_e32 v11, s45, v11
	s_delay_alu instid0(VALU_DEP_1) | instskip(NEXT) | instid1(VALU_DEP_1)
	v_and_b32_e32 v11, s31, v11
	v_lshl_or_b32 v11, v11, 4, v39
	ds_add_u32 v11, v61
	s_wait_alu 0xfffe
	s_or_b32 exec_lo, exec_lo, s1
	s_delay_alu instid0(SALU_CYCLE_1)
	s_mov_b32 s1, exec_lo
	v_cmpx_gt_u32_e64 s0, v36
	s_cbranch_execz .LBB428_538
.LBB428_545:                            ;   in Loop: Header=BB428_518 Depth=2
	v_xor_b32_e32 v11, 0x80, v4
	s_delay_alu instid0(VALU_DEP_1) | instskip(NEXT) | instid1(VALU_DEP_1)
	v_and_b32_e32 v11, 0xff, v11
	v_lshrrev_b32_e32 v11, s45, v11
	s_delay_alu instid0(VALU_DEP_1) | instskip(NEXT) | instid1(VALU_DEP_1)
	v_and_b32_e32 v11, s31, v11
	v_lshl_or_b32 v11, v11, 4, v39
	ds_add_u32 v11, v61
	s_wait_alu 0xfffe
	s_or_b32 exec_lo, exec_lo, s1
	v_cmp_gt_u32_e32 vcc_lo, s0, v37
	s_and_saveexec_b32 s0, vcc_lo
	s_cbranch_execz .LBB428_517
.LBB428_546:                            ;   in Loop: Header=BB428_518 Depth=2
	v_xor_b32_e32 v11, 0x80, v2
	s_delay_alu instid0(VALU_DEP_1) | instskip(NEXT) | instid1(VALU_DEP_1)
	v_and_b32_e32 v11, 0xff, v11
	v_lshrrev_b32_e32 v11, s45, v11
	s_delay_alu instid0(VALU_DEP_1) | instskip(NEXT) | instid1(VALU_DEP_1)
	v_and_b32_e32 v11, s31, v11
	v_lshl_or_b32 v11, v11, 4, v39
	ds_add_u32 v11, v61
	s_branch .LBB428_517
.LBB428_547:                            ;   in Loop: Header=BB428_518 Depth=2
	s_wait_loadcnt 0x0
	s_wait_alu 0xfffe
	v_add_co_u32 v11, s12, s0, v1
	s_wait_alu 0xf1ff
	v_add_co_ci_u32_e64 v12, null, s1, 0, s12
	global_load_u8 v7, v[11:12], off
	s_or_b32 exec_lo, exec_lo, s11
	s_delay_alu instid0(SALU_CYCLE_1)
	s_mov_b32 s11, exec_lo
	v_cmpx_gt_u32_e64 s9, v29
	s_cbranch_execz .LBB428_523
.LBB428_548:                            ;   in Loop: Header=BB428_518 Depth=2
	v_add_co_u32 v10, s12, s0, v1
	s_wait_loadcnt 0x0
	s_wait_alu 0xf1ff
	v_add_co_ci_u32_e64 v11, null, s1, 0, s12
	global_load_u8 v10, v[10:11], off offset:256
	s_wait_alu 0xfffe
	s_or_b32 exec_lo, exec_lo, s11
	s_delay_alu instid0(SALU_CYCLE_1)
	s_mov_b32 s11, exec_lo
	v_cmpx_gt_u32_e64 s9, v30
	s_cbranch_execz .LBB428_524
.LBB428_549:                            ;   in Loop: Header=BB428_518 Depth=2
	s_wait_loadcnt 0x0
	v_add_co_u32 v11, s12, s0, v1
	s_wait_alu 0xf1ff
	v_add_co_ci_u32_e64 v12, null, s1, 0, s12
	global_load_u8 v9, v[11:12], off offset:512
	s_wait_alu 0xfffe
	s_or_b32 exec_lo, exec_lo, s11
	s_delay_alu instid0(SALU_CYCLE_1)
	s_mov_b32 s11, exec_lo
	v_cmpx_gt_u32_e64 s9, v31
	s_cbranch_execz .LBB428_525
.LBB428_550:                            ;   in Loop: Header=BB428_518 Depth=2
	s_wait_loadcnt 0x0
	v_add_co_u32 v11, s12, s0, v1
	s_wait_alu 0xf1ff
	v_add_co_ci_u32_e64 v12, null, s1, 0, s12
	global_load_u8 v8, v[11:12], off offset:768
	s_wait_alu 0xfffe
	s_or_b32 exec_lo, exec_lo, s11
	s_delay_alu instid0(SALU_CYCLE_1)
	s_mov_b32 s11, exec_lo
	v_cmpx_gt_u32_e64 s9, v34
	s_cbranch_execz .LBB428_526
.LBB428_551:                            ;   in Loop: Header=BB428_518 Depth=2
	s_wait_loadcnt 0x0
	v_add_co_u32 v11, s12, s0, v1
	s_wait_alu 0xf1ff
	v_add_co_ci_u32_e64 v12, null, s1, 0, s12
	global_load_u8 v6, v[11:12], off offset:1024
	s_wait_alu 0xfffe
	s_or_b32 exec_lo, exec_lo, s11
	s_delay_alu instid0(SALU_CYCLE_1)
	s_mov_b32 s11, exec_lo
	v_cmpx_gt_u32_e64 s9, v35
	s_cbranch_execz .LBB428_527
.LBB428_552:                            ;   in Loop: Header=BB428_518 Depth=2
	s_wait_loadcnt 0x0
	v_add_co_u32 v11, s12, s0, v1
	s_wait_alu 0xf1ff
	v_add_co_ci_u32_e64 v12, null, s1, 0, s12
	global_load_u8 v5, v[11:12], off offset:1280
	s_wait_alu 0xfffe
	s_or_b32 exec_lo, exec_lo, s11
	s_delay_alu instid0(SALU_CYCLE_1)
	s_mov_b32 s11, exec_lo
	v_cmpx_gt_u32_e64 s9, v36
	s_cbranch_execz .LBB428_528
.LBB428_553:                            ;   in Loop: Header=BB428_518 Depth=2
	s_wait_loadcnt 0x0
	v_add_co_u32 v11, s12, s0, v1
	s_wait_alu 0xf1ff
	v_add_co_ci_u32_e64 v12, null, s1, 0, s12
	global_load_u8 v4, v[11:12], off offset:1536
	s_wait_alu 0xfffe
	s_or_b32 exec_lo, exec_lo, s11
	s_delay_alu instid0(SALU_CYCLE_1)
	s_mov_b32 s11, exec_lo
	v_cmpx_gt_u32_e64 s9, v37
	s_cbranch_execnz .LBB428_529
	s_branch .LBB428_530
.LBB428_554:                            ;   in Loop: Header=BB428_20 Depth=1
	v_mov_b32_e32 v2, 0
	s_wait_dscnt 0x0
	s_barrier_signal -1
	s_barrier_wait -1
	global_inv scope:SCOPE_SE
	s_and_saveexec_b32 s0, s2
	s_cbranch_execz .LBB428_556
; %bb.555:                              ;   in Loop: Header=BB428_20 Depth=1
	ds_load_2addr_b64 v[4:7], v40 offset1:1
	s_wait_dscnt 0x0
	v_add_nc_u32_e32 v2, v5, v4
	s_delay_alu instid0(VALU_DEP_1)
	v_add3_u32 v2, v2, v6, v7
.LBB428_556:                            ;   in Loop: Header=BB428_20 Depth=1
	s_wait_alu 0xfffe
	s_or_b32 exec_lo, exec_lo, s0
	s_delay_alu instid0(VALU_DEP_1)
	v_mov_b32_dpp v4, v2 row_shr:1 row_mask:0xf bank_mask:0xf
	v_cmp_eq_u32_e64 s0, 0, v62
	v_cmp_lt_u32_e64 s1, 1, v62
	v_cmp_lt_u32_e64 s9, 3, v62
	v_cmp_lt_u32_e64 s10, 7, v62
	v_cmp_eq_u32_e64 s11, 0, v64
	s_wait_alu 0xf1ff
	v_cndmask_b32_e64 v4, v4, 0, s0
	s_delay_alu instid0(VALU_DEP_1) | instskip(NEXT) | instid1(VALU_DEP_1)
	v_add_nc_u32_e32 v2, v4, v2
	v_mov_b32_dpp v4, v2 row_shr:2 row_mask:0xf bank_mask:0xf
	s_delay_alu instid0(VALU_DEP_1) | instskip(NEXT) | instid1(VALU_DEP_1)
	v_cndmask_b32_e64 v4, 0, v4, s1
	v_add_nc_u32_e32 v2, v2, v4
	s_delay_alu instid0(VALU_DEP_1) | instskip(NEXT) | instid1(VALU_DEP_1)
	v_mov_b32_dpp v4, v2 row_shr:4 row_mask:0xf bank_mask:0xf
	v_cndmask_b32_e64 v4, 0, v4, s9
	s_delay_alu instid0(VALU_DEP_1) | instskip(NEXT) | instid1(VALU_DEP_1)
	v_add_nc_u32_e32 v2, v2, v4
	v_mov_b32_dpp v4, v2 row_shr:8 row_mask:0xf bank_mask:0xf
	s_delay_alu instid0(VALU_DEP_1) | instskip(NEXT) | instid1(VALU_DEP_1)
	v_cndmask_b32_e64 v4, 0, v4, s10
	v_add_nc_u32_e32 v2, v2, v4
	ds_swizzle_b32 v4, v2 offset:swizzle(BROADCAST,32,15)
	s_wait_dscnt 0x0
	v_and_b32_e32 v4, v63, v4
	s_delay_alu instid0(VALU_DEP_1)
	v_add_nc_u32_e32 v2, v2, v4
	s_and_saveexec_b32 s12, s3
; %bb.557:                              ;   in Loop: Header=BB428_20 Depth=1
	ds_store_b32 v41, v2
; %bb.558:                              ;   in Loop: Header=BB428_20 Depth=1
	s_wait_alu 0xfffe
	s_or_b32 exec_lo, exec_lo, s12
	s_wait_loadcnt_dscnt 0x0
	s_barrier_signal -1
	s_barrier_wait -1
	global_inv scope:SCOPE_SE
	s_and_saveexec_b32 s12, s4
	s_cbranch_execz .LBB428_560
; %bb.559:                              ;   in Loop: Header=BB428_20 Depth=1
	ds_load_b32 v4, v42
	v_cmp_ne_u32_e32 vcc_lo, 0, v65
	s_wait_dscnt 0x0
	v_mov_b32_dpp v5, v4 row_shr:1 row_mask:0xf bank_mask:0xf
	s_wait_alu 0xfffd
	s_delay_alu instid0(VALU_DEP_1) | instskip(SKIP_1) | instid1(VALU_DEP_2)
	v_cndmask_b32_e32 v5, 0, v5, vcc_lo
	v_cmp_lt_u32_e32 vcc_lo, 1, v65
	v_add_nc_u32_e32 v4, v5, v4
	s_delay_alu instid0(VALU_DEP_1) | instskip(SKIP_1) | instid1(VALU_DEP_1)
	v_mov_b32_dpp v5, v4 row_shr:2 row_mask:0xf bank_mask:0xf
	s_wait_alu 0xfffd
	v_cndmask_b32_e32 v5, 0, v5, vcc_lo
	v_cmp_lt_u32_e32 vcc_lo, 3, v65
	s_delay_alu instid0(VALU_DEP_2) | instskip(NEXT) | instid1(VALU_DEP_1)
	v_add_nc_u32_e32 v4, v4, v5
	v_mov_b32_dpp v5, v4 row_shr:4 row_mask:0xf bank_mask:0xf
	s_wait_alu 0xfffd
	s_delay_alu instid0(VALU_DEP_1) | instskip(NEXT) | instid1(VALU_DEP_1)
	v_cndmask_b32_e32 v5, 0, v5, vcc_lo
	v_add_nc_u32_e32 v4, v4, v5
	ds_store_b32 v42, v4
.LBB428_560:                            ;   in Loop: Header=BB428_20 Depth=1
	s_wait_alu 0xfffe
	s_or_b32 exec_lo, exec_lo, s12
	v_mov_b32_e32 v4, 0
	s_wait_loadcnt_dscnt 0x0
	s_barrier_signal -1
	s_barrier_wait -1
	global_inv scope:SCOPE_SE
	s_and_saveexec_b32 s12, s5
; %bb.561:                              ;   in Loop: Header=BB428_20 Depth=1
	ds_load_b32 v4, v43
; %bb.562:                              ;   in Loop: Header=BB428_20 Depth=1
	s_wait_alu 0xfffe
	s_or_b32 exec_lo, exec_lo, s12
	v_cmp_gt_i32_e32 vcc_lo, 0, v67
	s_wait_dscnt 0x0
	v_add_nc_u32_e32 v2, v4, v2
	s_wait_loadcnt 0x0
	s_barrier_signal -1
	s_barrier_wait -1
	s_wait_alu 0xfffd
	v_cndmask_b32_e32 v5, v67, v58, vcc_lo
	global_inv scope:SCOPE_SE
	v_lshlrev_b32_e32 v80, 2, v5
	ds_bpermute_b32 v2, v80, v2
	s_and_saveexec_b32 s12, s2
	s_cbranch_execz .LBB428_564
; %bb.563:                              ;   in Loop: Header=BB428_20 Depth=1
	s_wait_dscnt 0x0
	v_cndmask_b32_e64 v2, v2, v4, s8
	s_delay_alu instid0(VALU_DEP_1)
	v_add_nc_u32_e32 v2, s33, v2
	ds_store_b32 v28, v2
.LBB428_564:                            ;   in Loop: Header=BB428_20 Depth=1
	s_wait_alu 0xfffe
	s_or_b32 exec_lo, exec_lo, s12
	s_load_b64 s[12:13], s[28:29], 0x0
	v_add_co_u32 v81, vcc_lo, v56, v66
	s_wait_alu 0xfffd
	v_add_co_ci_u32_e64 v82, null, 0, v57, vcc_lo
	v_add_co_u32 v83, vcc_lo, v59, v58
	s_wait_alu 0xfffd
	v_add_co_ci_u32_e64 v84, null, 0, v60, vcc_lo
	s_mov_b32 s42, s47
                                        ; implicit-def: $vgpr6_vgpr7
                                        ; implicit-def: $vgpr8_vgpr9
                                        ; implicit-def: $vgpr10_vgpr11
                                        ; implicit-def: $vgpr12_vgpr13
                                        ; implicit-def: $vgpr14_vgpr15
                                        ; implicit-def: $vgpr16_vgpr17
                                        ; implicit-def: $vgpr18_vgpr19
                                        ; implicit-def: $vgpr86
                                        ; implicit-def: $vgpr87
                                        ; implicit-def: $vgpr88
                                        ; implicit-def: $vgpr89
                                        ; implicit-def: $vgpr90
                                        ; implicit-def: $vgpr91
                                        ; implicit-def: $vgpr92
                                        ; implicit-def: $vgpr93
	s_wait_kmcnt 0x0
	s_cmp_lt_u32 ttmp7, s13
	s_cselect_b32 s22, 14, 20
	s_cmp_lt_u32 ttmp9, s12
	s_wait_alu 0xfffe
	s_add_nc_u64 s[14:15], s[28:29], s[22:23]
	s_cselect_b32 s22, 12, 18
	s_load_u16 s14, s[14:15], 0x0
	s_add_nc_u64 s[12:13], s[28:29], s[22:23]
	s_mov_b32 s22, s33
	s_load_u16 s12, s[12:13], 0x0
	v_cmp_lt_u32_e64 s13, 1, v65
	s_wait_dscnt 0x0
	s_wait_kmcnt 0x0
	v_mad_u32_u24 v2, v44, s14, v0
	v_cmp_lt_u32_e64 s14, 3, v65
	s_delay_alu instid0(VALU_DEP_2) | instskip(SKIP_1) | instid1(VALU_DEP_2)
	v_mad_co_u64_u32 v[4:5], null, v2, s12, v[1:2]
	v_cmp_eq_u32_e64 s12, 0, v65
	v_lshrrev_b32_e32 v2, 3, v4
                                        ; implicit-def: $vgpr4_vgpr5
	s_delay_alu instid0(VALU_DEP_1)
	v_and_b32_e32 v85, 0x1ffffffc, v2
	s_branch .LBB428_566
.LBB428_565:                            ;   in Loop: Header=BB428_566 Depth=2
	s_wait_alu 0xfffe
	s_or_b32 exec_lo, exec_lo, s15
	s_addk_co_i32 s42, 0xf800
	s_cmp_lt_u32 s43, s34
	s_mov_b32 s22, s43
	s_cbranch_scc0 .LBB428_18
.LBB428_566:                            ;   Parent Loop BB428_20 Depth=1
                                        ; =>  This Inner Loop Header: Depth=2
	s_wait_alu 0xfffe
	s_add_co_i32 s43, s22, 0x800
	s_wait_alu 0xfffe
	s_cmp_gt_u32 s43, s34
	s_cbranch_scc1 .LBB428_568
; %bb.567:                              ;   in Loop: Header=BB428_566 Depth=2
	v_add_co_u32 v20, vcc_lo, v83, s22
	s_wait_alu 0xfffd
	v_add_co_ci_u32_e64 v21, null, 0, v84, vcc_lo
	s_mov_b32 s15, -1
	s_clause 0x6
	global_load_u8 v23, v[20:21], off offset:192
	global_load_u8 v24, v[20:21], off offset:160
	;; [unrolled: 1-line block ×6, first 2 shown]
	global_load_u8 v94, v[20:21], off
	s_movk_i32 s16, 0x800
                                        ; implicit-def: $vgpr22
	s_cbranch_execz .LBB428_569
	s_branch .LBB428_578
.LBB428_568:                            ;   in Loop: Header=BB428_566 Depth=2
	s_mov_b32 s15, 0
                                        ; implicit-def: $vgpr94
                                        ; implicit-def: $vgpr96
                                        ; implicit-def: $vgpr27
                                        ; implicit-def: $vgpr26
                                        ; implicit-def: $vgpr25
                                        ; implicit-def: $vgpr24
                                        ; implicit-def: $vgpr23
	s_movk_i32 s16, 0x800
                                        ; implicit-def: $vgpr22
.LBB428_569:                            ;   in Loop: Header=BB428_566 Depth=2
	v_add_co_u32 v20, vcc_lo, v83, s22
	s_wait_alu 0xfffd
	v_add_co_ci_u32_e64 v21, null, 0, v84, vcc_lo
	s_wait_loadcnt 0x2
	v_dual_mov_b32 v22, 0x7f :: v_dual_mov_b32 v27, 0x7f
	s_wait_loadcnt 0x0
	v_dual_mov_b32 v94, 0x7f :: v_dual_mov_b32 v25, 0x7f
	v_dual_mov_b32 v96, 0x7f :: v_dual_mov_b32 v23, 0x7f
	v_mov_b32_e32 v26, 0x7f
	v_mov_b32_e32 v24, 0x7f
	s_mov_b32 s15, exec_lo
	v_cmpx_gt_u32_e64 s42, v68
	s_cbranch_execnz .LBB428_672
; %bb.570:                              ;   in Loop: Header=BB428_566 Depth=2
	s_wait_alu 0xfffe
	s_or_b32 exec_lo, exec_lo, s15
	s_delay_alu instid0(SALU_CYCLE_1)
	s_mov_b32 s15, exec_lo
	v_cmpx_gt_u32_e64 s42, v71
	s_cbranch_execnz .LBB428_673
.LBB428_571:                            ;   in Loop: Header=BB428_566 Depth=2
	s_wait_alu 0xfffe
	s_or_b32 exec_lo, exec_lo, s15
	s_delay_alu instid0(SALU_CYCLE_1)
	s_mov_b32 s15, exec_lo
	v_cmpx_gt_u32_e64 s42, v72
	s_cbranch_execnz .LBB428_674
.LBB428_572:                            ;   in Loop: Header=BB428_566 Depth=2
	s_wait_alu 0xfffe
	s_or_b32 exec_lo, exec_lo, s15
	s_delay_alu instid0(SALU_CYCLE_1)
	s_mov_b32 s15, exec_lo
	v_cmpx_gt_u32_e64 s42, v73
	s_cbranch_execnz .LBB428_675
.LBB428_573:                            ;   in Loop: Header=BB428_566 Depth=2
	s_wait_alu 0xfffe
	s_or_b32 exec_lo, exec_lo, s15
	s_delay_alu instid0(SALU_CYCLE_1)
	s_mov_b32 s15, exec_lo
	v_cmpx_gt_u32_e64 s42, v74
	s_cbranch_execnz .LBB428_676
.LBB428_574:                            ;   in Loop: Header=BB428_566 Depth=2
	s_wait_alu 0xfffe
	s_or_b32 exec_lo, exec_lo, s15
	s_delay_alu instid0(SALU_CYCLE_1)
	s_mov_b32 s15, exec_lo
	v_cmpx_gt_u32_e64 s42, v75
	s_cbranch_execnz .LBB428_677
.LBB428_575:                            ;   in Loop: Header=BB428_566 Depth=2
	s_wait_alu 0xfffe
	s_or_b32 exec_lo, exec_lo, s15
	s_delay_alu instid0(SALU_CYCLE_1)
	s_mov_b32 s15, exec_lo
	v_cmpx_gt_u32_e64 s42, v76
	s_cbranch_execz .LBB428_577
.LBB428_576:                            ;   in Loop: Header=BB428_566 Depth=2
	global_load_u8 v23, v[20:21], off offset:192
.LBB428_577:                            ;   in Loop: Header=BB428_566 Depth=2
	s_wait_alu 0xfffe
	s_or_b32 exec_lo, exec_lo, s15
	v_cmp_gt_u32_e64 s15, s42, v77
	s_sub_co_i32 s16, s34, s22
.LBB428_578:                            ;   in Loop: Header=BB428_566 Depth=2
	v_mov_b32_e32 v2, s42
	s_wait_alu 0xfffe
	s_and_saveexec_b32 s17, s15
	s_cbranch_execz .LBB428_580
; %bb.579:                              ;   in Loop: Header=BB428_566 Depth=2
	v_add_co_u32 v20, vcc_lo, v83, s22
	s_wait_alu 0xfffd
	v_add_co_ci_u32_e64 v21, null, s23, v84, vcc_lo
	v_mov_b32_e32 v2, s16
	global_load_u8 v22, v[20:21], off offset:224
.LBB428_580:                            ;   in Loop: Header=BB428_566 Depth=2
	s_wait_alu 0xfffe
	s_or_b32 exec_lo, exec_lo, s17
	s_wait_loadcnt 0x0
	v_xor_b32_e32 v94, 0xffffff80, v94
	s_delay_alu instid0(VALU_DEP_1) | instskip(NEXT) | instid1(VALU_DEP_1)
	v_and_b32_e32 v20, 0xff, v94
	v_lshrrev_b32_e32 v20, s45, v20
	s_delay_alu instid0(VALU_DEP_1) | instskip(NEXT) | instid1(VALU_DEP_1)
	v_and_b32_e32 v21, s31, v20
	v_and_b32_e32 v20, 1, v21
	v_lshlrev_b32_e32 v95, 30, v21
	v_lshlrev_b32_e32 v97, 29, v21
	;; [unrolled: 1-line block ×4, first 2 shown]
	v_add_co_u32 v20, s15, v20, -1
	s_wait_alu 0xf1ff
	v_cndmask_b32_e64 v99, 0, 1, s15
	v_not_b32_e32 v103, v95
	v_cmp_gt_i32_e64 s15, 0, v95
	v_not_b32_e32 v95, v97
	v_lshlrev_b32_e32 v101, 26, v21
	v_cmp_ne_u32_e32 vcc_lo, 0, v99
	v_ashrrev_i32_e32 v103, 31, v103
	v_lshlrev_b32_e32 v102, 25, v21
	v_ashrrev_i32_e32 v95, 31, v95
	v_lshlrev_b32_e32 v99, 24, v21
	s_wait_alu 0xfffd
	v_xor_b32_e32 v20, vcc_lo, v20
	v_cmp_gt_i32_e32 vcc_lo, 0, v97
	v_not_b32_e32 v97, v98
	s_wait_alu 0xf1ff
	v_xor_b32_e32 v103, s15, v103
	v_cmp_gt_i32_e64 s15, 0, v98
	v_and_b32_e32 v20, exec_lo, v20
	v_not_b32_e32 v98, v100
	v_ashrrev_i32_e32 v97, 31, v97
	s_wait_alu 0xfffd
	v_xor_b32_e32 v95, vcc_lo, v95
	v_cmp_gt_i32_e32 vcc_lo, 0, v100
	v_and_b32_e32 v20, v20, v103
	v_not_b32_e32 v100, v101
	v_ashrrev_i32_e32 v98, 31, v98
	s_wait_alu 0xf1ff
	v_xor_b32_e32 v97, s15, v97
	v_cmp_gt_i32_e64 s15, 0, v101
	v_and_b32_e32 v20, v20, v95
	v_not_b32_e32 v95, v102
	v_ashrrev_i32_e32 v100, 31, v100
	s_wait_alu 0xfffd
	v_xor_b32_e32 v98, vcc_lo, v98
	v_cmp_gt_i32_e32 vcc_lo, 0, v102
	v_and_b32_e32 v20, v20, v97
	v_not_b32_e32 v97, v99
	v_ashrrev_i32_e32 v95, 31, v95
	s_wait_alu 0xf1ff
	v_xor_b32_e32 v100, s15, v100
	v_cmp_gt_i32_e64 s15, 0, v99
	v_and_b32_e32 v20, v20, v98
	v_ashrrev_i32_e32 v97, 31, v97
	s_wait_alu 0xfffd
	v_xor_b32_e32 v95, vcc_lo, v95
	v_mul_u32_u24_e32 v21, 36, v21
	v_add_nc_u32_e32 v99, 0x428, v45
	v_and_b32_e32 v20, v20, v100
	s_wait_alu 0xf1ff
	v_xor_b32_e32 v98, s15, v97
	v_add_nc_u32_e32 v97, 0x438, v45
	v_add_nc_u32_e32 v100, 0x430, v45
	;; [unrolled: 1-line block ×3, first 2 shown]
	v_and_b32_e32 v20, v20, v95
	ds_store_2addr_b32 v97, v3, v3 offset1:1
	v_and_b32_e32 v20, v20, v98
	v_add_nc_u32_e32 v98, 0x420, v45
	ds_store_2addr_b32 v98, v3, v3 offset1:1
	ds_store_2addr_b32 v99, v3, v3 offset1:1
	;; [unrolled: 1-line block ×3, first 2 shown]
	ds_store_b32 v45, v3 offset:1088
	v_mbcnt_lo_u32_b32 v95, v20, 0
	v_cmp_ne_u32_e64 s15, 0, v20
	s_wait_dscnt 0x0
	s_barrier_signal -1
	s_barrier_wait -1
	v_cmp_eq_u32_e32 vcc_lo, 0, v95
	global_inv scope:SCOPE_SE
	; wave barrier
	s_and_b32 s16, s15, vcc_lo
	s_wait_alu 0xfffe
	s_and_saveexec_b32 s15, s16
; %bb.581:                              ;   in Loop: Header=BB428_566 Depth=2
	v_bcnt_u32_b32 v20, v20, 0
	ds_store_b32 v101, v20 offset:1056
; %bb.582:                              ;   in Loop: Header=BB428_566 Depth=2
	s_wait_alu 0xfffe
	s_or_b32 exec_lo, exec_lo, s15
	v_xor_b32_e32 v96, 0xffffff80, v96
	; wave barrier
	s_delay_alu instid0(VALU_DEP_1) | instskip(NEXT) | instid1(VALU_DEP_1)
	v_and_b32_e32 v20, 0xff, v96
	v_lshrrev_b32_e32 v20, s45, v20
	s_delay_alu instid0(VALU_DEP_1) | instskip(NEXT) | instid1(VALU_DEP_1)
	v_and_b32_e32 v21, s31, v20
	v_and_b32_e32 v20, 1, v21
	v_lshlrev_b32_e32 v102, 30, v21
	v_lshlrev_b32_e32 v103, 29, v21
	;; [unrolled: 1-line block ×4, first 2 shown]
	v_add_co_u32 v20, s15, v20, -1
	s_wait_alu 0xf1ff
	v_cndmask_b32_e64 v105, 0, 1, s15
	v_not_b32_e32 v109, v102
	v_cmp_gt_i32_e64 s15, 0, v102
	v_not_b32_e32 v102, v103
	v_lshlrev_b32_e32 v107, 26, v21
	v_cmp_ne_u32_e32 vcc_lo, 0, v105
	v_ashrrev_i32_e32 v109, 31, v109
	v_lshlrev_b32_e32 v108, 25, v21
	v_ashrrev_i32_e32 v102, 31, v102
	v_lshlrev_b32_e32 v105, 24, v21
	s_wait_alu 0xfffd
	v_xor_b32_e32 v20, vcc_lo, v20
	v_cmp_gt_i32_e32 vcc_lo, 0, v103
	v_not_b32_e32 v103, v104
	s_wait_alu 0xf1ff
	v_xor_b32_e32 v109, s15, v109
	v_cmp_gt_i32_e64 s15, 0, v104
	v_and_b32_e32 v20, exec_lo, v20
	v_not_b32_e32 v104, v106
	v_ashrrev_i32_e32 v103, 31, v103
	s_wait_alu 0xfffd
	v_xor_b32_e32 v102, vcc_lo, v102
	v_cmp_gt_i32_e32 vcc_lo, 0, v106
	v_and_b32_e32 v20, v20, v109
	v_not_b32_e32 v106, v107
	v_ashrrev_i32_e32 v104, 31, v104
	s_wait_alu 0xf1ff
	v_xor_b32_e32 v103, s15, v103
	v_cmp_gt_i32_e64 s15, 0, v107
	v_and_b32_e32 v20, v20, v102
	v_not_b32_e32 v102, v108
	v_ashrrev_i32_e32 v106, 31, v106
	s_wait_alu 0xfffd
	v_xor_b32_e32 v104, vcc_lo, v104
	v_cmp_gt_i32_e32 vcc_lo, 0, v108
	v_and_b32_e32 v20, v20, v103
	v_not_b32_e32 v103, v105
	v_ashrrev_i32_e32 v102, 31, v102
	s_wait_alu 0xf1ff
	v_xor_b32_e32 v106, s15, v106
	v_cmp_gt_i32_e64 s15, 0, v105
	v_and_b32_e32 v20, v20, v104
	v_ashrrev_i32_e32 v103, 31, v103
	s_wait_alu 0xfffd
	v_xor_b32_e32 v102, vcc_lo, v102
	v_mad_u32_u24 v104, v21, 36, v85
	v_mul_u32_u24_e32 v21, 36, v21
	v_and_b32_e32 v20, v20, v106
	s_wait_alu 0xf1ff
	v_xor_b32_e32 v103, s15, v103
	s_delay_alu instid0(VALU_DEP_3) | instskip(NEXT) | instid1(VALU_DEP_3)
	v_add_nc_u32_e32 v105, v85, v21
	v_and_b32_e32 v20, v20, v102
	ds_load_b32 v102, v104 offset:1056
	; wave barrier
	v_and_b32_e32 v20, v20, v103
	s_delay_alu instid0(VALU_DEP_1) | instskip(SKIP_1) | instid1(VALU_DEP_2)
	v_mbcnt_lo_u32_b32 v103, v20, 0
	v_cmp_ne_u32_e64 s15, 0, v20
	v_cmp_eq_u32_e32 vcc_lo, 0, v103
	s_and_b32 s16, s15, vcc_lo
	s_wait_alu 0xfffe
	s_and_saveexec_b32 s15, s16
	s_cbranch_execz .LBB428_584
; %bb.583:                              ;   in Loop: Header=BB428_566 Depth=2
	s_wait_dscnt 0x0
	v_bcnt_u32_b32 v20, v20, v102
	ds_store_b32 v105, v20 offset:1056
.LBB428_584:                            ;   in Loop: Header=BB428_566 Depth=2
	s_wait_alu 0xfffe
	s_or_b32 exec_lo, exec_lo, s15
	v_xor_b32_e32 v104, 0xffffff80, v27
	; wave barrier
	s_delay_alu instid0(VALU_DEP_1) | instskip(NEXT) | instid1(VALU_DEP_1)
	v_and_b32_e32 v20, 0xff, v104
	v_lshrrev_b32_e32 v20, s45, v20
	s_delay_alu instid0(VALU_DEP_1) | instskip(NEXT) | instid1(VALU_DEP_1)
	v_and_b32_e32 v21, s31, v20
	v_and_b32_e32 v20, 1, v21
	v_lshlrev_b32_e32 v27, 30, v21
	v_lshlrev_b32_e32 v106, 29, v21
	;; [unrolled: 1-line block ×4, first 2 shown]
	v_add_co_u32 v20, s15, v20, -1
	s_wait_alu 0xf1ff
	v_cndmask_b32_e64 v108, 0, 1, s15
	v_not_b32_e32 v112, v27
	v_cmp_gt_i32_e64 s15, 0, v27
	v_not_b32_e32 v27, v106
	v_lshlrev_b32_e32 v110, 26, v21
	v_cmp_ne_u32_e32 vcc_lo, 0, v108
	v_ashrrev_i32_e32 v112, 31, v112
	v_lshlrev_b32_e32 v111, 25, v21
	v_ashrrev_i32_e32 v27, 31, v27
	v_lshlrev_b32_e32 v108, 24, v21
	s_wait_alu 0xfffd
	v_xor_b32_e32 v20, vcc_lo, v20
	v_cmp_gt_i32_e32 vcc_lo, 0, v106
	v_not_b32_e32 v106, v107
	s_wait_alu 0xf1ff
	v_xor_b32_e32 v112, s15, v112
	v_cmp_gt_i32_e64 s15, 0, v107
	v_and_b32_e32 v20, exec_lo, v20
	v_not_b32_e32 v107, v109
	v_ashrrev_i32_e32 v106, 31, v106
	s_wait_alu 0xfffd
	v_xor_b32_e32 v27, vcc_lo, v27
	v_cmp_gt_i32_e32 vcc_lo, 0, v109
	v_and_b32_e32 v20, v20, v112
	v_not_b32_e32 v109, v110
	v_ashrrev_i32_e32 v107, 31, v107
	s_wait_alu 0xf1ff
	v_xor_b32_e32 v106, s15, v106
	v_cmp_gt_i32_e64 s15, 0, v110
	v_and_b32_e32 v20, v20, v27
	v_not_b32_e32 v27, v111
	v_ashrrev_i32_e32 v109, 31, v109
	s_wait_alu 0xfffd
	v_xor_b32_e32 v107, vcc_lo, v107
	v_cmp_gt_i32_e32 vcc_lo, 0, v111
	v_and_b32_e32 v20, v20, v106
	v_not_b32_e32 v106, v108
	v_ashrrev_i32_e32 v27, 31, v27
	s_wait_alu 0xf1ff
	v_xor_b32_e32 v109, s15, v109
	v_cmp_gt_i32_e64 s15, 0, v108
	v_and_b32_e32 v20, v20, v107
	v_ashrrev_i32_e32 v106, 31, v106
	s_wait_alu 0xfffd
	v_xor_b32_e32 v27, vcc_lo, v27
	v_mad_u32_u24 v107, v21, 36, v85
	v_mul_u32_u24_e32 v21, 36, v21
	v_and_b32_e32 v20, v20, v109
	s_wait_alu 0xf1ff
	v_xor_b32_e32 v108, s15, v106
	ds_load_b32 v106, v107 offset:1056
	v_add_nc_u32_e32 v109, v85, v21
	v_and_b32_e32 v20, v20, v27
	; wave barrier
	s_delay_alu instid0(VALU_DEP_1) | instskip(NEXT) | instid1(VALU_DEP_1)
	v_and_b32_e32 v20, v20, v108
	v_mbcnt_lo_u32_b32 v107, v20, 0
	v_cmp_ne_u32_e64 s15, 0, v20
	s_delay_alu instid0(VALU_DEP_2)
	v_cmp_eq_u32_e32 vcc_lo, 0, v107
	s_and_b32 s16, s15, vcc_lo
	s_wait_alu 0xfffe
	s_and_saveexec_b32 s15, s16
	s_cbranch_execz .LBB428_586
; %bb.585:                              ;   in Loop: Header=BB428_566 Depth=2
	s_wait_dscnt 0x0
	v_bcnt_u32_b32 v20, v20, v106
	ds_store_b32 v109, v20 offset:1056
.LBB428_586:                            ;   in Loop: Header=BB428_566 Depth=2
	s_wait_alu 0xfffe
	s_or_b32 exec_lo, exec_lo, s15
	v_xor_b32_e32 v108, 0xffffff80, v26
	; wave barrier
	s_delay_alu instid0(VALU_DEP_1) | instskip(NEXT) | instid1(VALU_DEP_1)
	v_and_b32_e32 v20, 0xff, v108
	v_lshrrev_b32_e32 v20, s45, v20
	s_delay_alu instid0(VALU_DEP_1) | instskip(NEXT) | instid1(VALU_DEP_1)
	v_and_b32_e32 v21, s31, v20
	v_and_b32_e32 v20, 1, v21
	v_lshlrev_b32_e32 v26, 30, v21
	v_lshlrev_b32_e32 v27, 29, v21
	;; [unrolled: 1-line block ×4, first 2 shown]
	v_add_co_u32 v20, s15, v20, -1
	s_wait_alu 0xf1ff
	v_cndmask_b32_e64 v111, 0, 1, s15
	v_not_b32_e32 v115, v26
	v_cmp_gt_i32_e64 s15, 0, v26
	v_not_b32_e32 v26, v27
	v_lshlrev_b32_e32 v113, 26, v21
	v_cmp_ne_u32_e32 vcc_lo, 0, v111
	v_ashrrev_i32_e32 v115, 31, v115
	v_lshlrev_b32_e32 v114, 25, v21
	v_ashrrev_i32_e32 v26, 31, v26
	v_lshlrev_b32_e32 v111, 24, v21
	s_wait_alu 0xfffd
	v_xor_b32_e32 v20, vcc_lo, v20
	v_cmp_gt_i32_e32 vcc_lo, 0, v27
	v_not_b32_e32 v27, v110
	s_wait_alu 0xf1ff
	v_xor_b32_e32 v115, s15, v115
	v_cmp_gt_i32_e64 s15, 0, v110
	v_and_b32_e32 v20, exec_lo, v20
	v_not_b32_e32 v110, v112
	v_ashrrev_i32_e32 v27, 31, v27
	s_wait_alu 0xfffd
	v_xor_b32_e32 v26, vcc_lo, v26
	v_cmp_gt_i32_e32 vcc_lo, 0, v112
	v_and_b32_e32 v20, v20, v115
	v_not_b32_e32 v112, v113
	v_ashrrev_i32_e32 v110, 31, v110
	s_wait_alu 0xf1ff
	v_xor_b32_e32 v27, s15, v27
	v_cmp_gt_i32_e64 s15, 0, v113
	v_and_b32_e32 v20, v20, v26
	v_not_b32_e32 v26, v114
	v_ashrrev_i32_e32 v112, 31, v112
	s_wait_alu 0xfffd
	v_xor_b32_e32 v110, vcc_lo, v110
	v_cmp_gt_i32_e32 vcc_lo, 0, v114
	v_and_b32_e32 v20, v20, v27
	v_not_b32_e32 v27, v111
	v_ashrrev_i32_e32 v26, 31, v26
	s_wait_alu 0xf1ff
	v_xor_b32_e32 v112, s15, v112
	v_cmp_gt_i32_e64 s15, 0, v111
	v_and_b32_e32 v20, v20, v110
	v_ashrrev_i32_e32 v27, 31, v27
	s_wait_alu 0xfffd
	v_xor_b32_e32 v26, vcc_lo, v26
	v_mad_u32_u24 v110, v21, 36, v85
	v_mul_u32_u24_e32 v21, 36, v21
	v_and_b32_e32 v20, v20, v112
	s_wait_alu 0xf1ff
	v_xor_b32_e32 v27, s15, v27
	ds_load_b32 v110, v110 offset:1056
	v_add_nc_u32_e32 v113, v85, v21
	v_and_b32_e32 v20, v20, v26
	; wave barrier
	s_delay_alu instid0(VALU_DEP_1) | instskip(NEXT) | instid1(VALU_DEP_1)
	v_and_b32_e32 v20, v20, v27
	v_mbcnt_lo_u32_b32 v111, v20, 0
	v_cmp_ne_u32_e64 s15, 0, v20
	s_delay_alu instid0(VALU_DEP_2)
	v_cmp_eq_u32_e32 vcc_lo, 0, v111
	s_and_b32 s16, s15, vcc_lo
	s_wait_alu 0xfffe
	s_and_saveexec_b32 s15, s16
	s_cbranch_execz .LBB428_588
; %bb.587:                              ;   in Loop: Header=BB428_566 Depth=2
	s_wait_dscnt 0x0
	v_bcnt_u32_b32 v20, v20, v110
	ds_store_b32 v113, v20 offset:1056
.LBB428_588:                            ;   in Loop: Header=BB428_566 Depth=2
	s_wait_alu 0xfffe
	s_or_b32 exec_lo, exec_lo, s15
	v_xor_b32_e32 v112, 0xffffff80, v25
	; wave barrier
	s_delay_alu instid0(VALU_DEP_1) | instskip(NEXT) | instid1(VALU_DEP_1)
	v_and_b32_e32 v20, 0xff, v112
	v_lshrrev_b32_e32 v20, s45, v20
	s_delay_alu instid0(VALU_DEP_1) | instskip(NEXT) | instid1(VALU_DEP_1)
	v_and_b32_e32 v21, s31, v20
	v_and_b32_e32 v20, 1, v21
	v_lshlrev_b32_e32 v25, 30, v21
	v_lshlrev_b32_e32 v26, 29, v21
	v_lshlrev_b32_e32 v27, 28, v21
	v_lshlrev_b32_e32 v115, 27, v21
	v_add_co_u32 v20, s15, v20, -1
	s_wait_alu 0xf1ff
	v_cndmask_b32_e64 v114, 0, 1, s15
	v_not_b32_e32 v118, v25
	v_cmp_gt_i32_e64 s15, 0, v25
	v_not_b32_e32 v25, v26
	v_lshlrev_b32_e32 v116, 26, v21
	v_cmp_ne_u32_e32 vcc_lo, 0, v114
	v_ashrrev_i32_e32 v118, 31, v118
	v_lshlrev_b32_e32 v117, 25, v21
	v_ashrrev_i32_e32 v25, 31, v25
	v_lshlrev_b32_e32 v114, 24, v21
	s_wait_alu 0xfffd
	v_xor_b32_e32 v20, vcc_lo, v20
	v_cmp_gt_i32_e32 vcc_lo, 0, v26
	v_not_b32_e32 v26, v27
	s_wait_alu 0xf1ff
	v_xor_b32_e32 v118, s15, v118
	v_cmp_gt_i32_e64 s15, 0, v27
	v_and_b32_e32 v20, exec_lo, v20
	v_not_b32_e32 v27, v115
	v_ashrrev_i32_e32 v26, 31, v26
	s_wait_alu 0xfffd
	v_xor_b32_e32 v25, vcc_lo, v25
	v_cmp_gt_i32_e32 vcc_lo, 0, v115
	v_and_b32_e32 v20, v20, v118
	v_not_b32_e32 v115, v116
	v_ashrrev_i32_e32 v27, 31, v27
	s_wait_alu 0xf1ff
	v_xor_b32_e32 v26, s15, v26
	v_cmp_gt_i32_e64 s15, 0, v116
	v_and_b32_e32 v20, v20, v25
	v_not_b32_e32 v25, v117
	v_ashrrev_i32_e32 v115, 31, v115
	s_wait_alu 0xfffd
	v_xor_b32_e32 v27, vcc_lo, v27
	v_cmp_gt_i32_e32 vcc_lo, 0, v117
	v_and_b32_e32 v20, v20, v26
	v_not_b32_e32 v26, v114
	v_ashrrev_i32_e32 v25, 31, v25
	s_wait_alu 0xf1ff
	v_xor_b32_e32 v115, s15, v115
	v_cmp_gt_i32_e64 s15, 0, v114
	v_and_b32_e32 v20, v20, v27
	v_ashrrev_i32_e32 v26, 31, v26
	s_wait_alu 0xfffd
	v_xor_b32_e32 v25, vcc_lo, v25
	v_mad_u32_u24 v27, v21, 36, v85
	v_mul_u32_u24_e32 v21, 36, v21
	v_and_b32_e32 v20, v20, v115
	s_wait_alu 0xf1ff
	v_xor_b32_e32 v26, s15, v26
	ds_load_b32 v114, v27 offset:1056
	v_add_nc_u32_e32 v117, v85, v21
	v_and_b32_e32 v20, v20, v25
	; wave barrier
	s_delay_alu instid0(VALU_DEP_1) | instskip(NEXT) | instid1(VALU_DEP_1)
	v_and_b32_e32 v20, v20, v26
	v_mbcnt_lo_u32_b32 v115, v20, 0
	v_cmp_ne_u32_e64 s15, 0, v20
	s_delay_alu instid0(VALU_DEP_2)
	v_cmp_eq_u32_e32 vcc_lo, 0, v115
	s_and_b32 s16, s15, vcc_lo
	s_wait_alu 0xfffe
	s_and_saveexec_b32 s15, s16
	s_cbranch_execz .LBB428_590
; %bb.589:                              ;   in Loop: Header=BB428_566 Depth=2
	s_wait_dscnt 0x0
	v_bcnt_u32_b32 v20, v20, v114
	ds_store_b32 v117, v20 offset:1056
.LBB428_590:                            ;   in Loop: Header=BB428_566 Depth=2
	s_wait_alu 0xfffe
	s_or_b32 exec_lo, exec_lo, s15
	v_xor_b32_e32 v116, 0xffffff80, v24
	; wave barrier
	s_delay_alu instid0(VALU_DEP_1) | instskip(NEXT) | instid1(VALU_DEP_1)
	v_and_b32_e32 v20, 0xff, v116
	v_lshrrev_b32_e32 v20, s45, v20
	s_delay_alu instid0(VALU_DEP_1) | instskip(NEXT) | instid1(VALU_DEP_1)
	v_and_b32_e32 v21, s31, v20
	v_and_b32_e32 v20, 1, v21
	v_lshlrev_b32_e32 v24, 30, v21
	v_lshlrev_b32_e32 v25, 29, v21
	;; [unrolled: 1-line block ×4, first 2 shown]
	v_add_co_u32 v20, s15, v20, -1
	s_wait_alu 0xf1ff
	v_cndmask_b32_e64 v27, 0, 1, s15
	v_not_b32_e32 v121, v24
	v_cmp_gt_i32_e64 s15, 0, v24
	v_not_b32_e32 v24, v25
	v_lshlrev_b32_e32 v119, 26, v21
	v_cmp_ne_u32_e32 vcc_lo, 0, v27
	v_ashrrev_i32_e32 v121, 31, v121
	v_lshlrev_b32_e32 v120, 25, v21
	v_ashrrev_i32_e32 v24, 31, v24
	v_lshlrev_b32_e32 v27, 24, v21
	s_wait_alu 0xfffd
	v_xor_b32_e32 v20, vcc_lo, v20
	v_cmp_gt_i32_e32 vcc_lo, 0, v25
	v_not_b32_e32 v25, v26
	s_wait_alu 0xf1ff
	v_xor_b32_e32 v121, s15, v121
	v_cmp_gt_i32_e64 s15, 0, v26
	v_and_b32_e32 v20, exec_lo, v20
	v_not_b32_e32 v26, v118
	v_ashrrev_i32_e32 v25, 31, v25
	s_wait_alu 0xfffd
	v_xor_b32_e32 v24, vcc_lo, v24
	v_cmp_gt_i32_e32 vcc_lo, 0, v118
	v_and_b32_e32 v20, v20, v121
	v_not_b32_e32 v118, v119
	v_ashrrev_i32_e32 v26, 31, v26
	s_wait_alu 0xf1ff
	v_xor_b32_e32 v25, s15, v25
	v_cmp_gt_i32_e64 s15, 0, v119
	v_and_b32_e32 v20, v20, v24
	v_not_b32_e32 v24, v120
	v_ashrrev_i32_e32 v118, 31, v118
	s_wait_alu 0xfffd
	v_xor_b32_e32 v26, vcc_lo, v26
	v_cmp_gt_i32_e32 vcc_lo, 0, v120
	v_and_b32_e32 v20, v20, v25
	v_not_b32_e32 v25, v27
	v_ashrrev_i32_e32 v24, 31, v24
	s_wait_alu 0xf1ff
	v_xor_b32_e32 v118, s15, v118
	v_cmp_gt_i32_e64 s15, 0, v27
	v_and_b32_e32 v20, v20, v26
	v_ashrrev_i32_e32 v25, 31, v25
	s_wait_alu 0xfffd
	v_xor_b32_e32 v24, vcc_lo, v24
	v_mad_u32_u24 v26, v21, 36, v85
	v_mul_u32_u24_e32 v21, 36, v21
	v_and_b32_e32 v20, v20, v118
	s_wait_alu 0xf1ff
	v_xor_b32_e32 v25, s15, v25
	ds_load_b32 v118, v26 offset:1056
	v_add_nc_u32_e32 v121, v85, v21
	v_and_b32_e32 v20, v20, v24
	; wave barrier
	s_delay_alu instid0(VALU_DEP_1) | instskip(NEXT) | instid1(VALU_DEP_1)
	v_and_b32_e32 v20, v20, v25
	v_mbcnt_lo_u32_b32 v119, v20, 0
	v_cmp_ne_u32_e64 s15, 0, v20
	s_delay_alu instid0(VALU_DEP_2)
	v_cmp_eq_u32_e32 vcc_lo, 0, v119
	s_and_b32 s16, s15, vcc_lo
	s_wait_alu 0xfffe
	s_and_saveexec_b32 s15, s16
	s_cbranch_execz .LBB428_592
; %bb.591:                              ;   in Loop: Header=BB428_566 Depth=2
	s_wait_dscnt 0x0
	v_bcnt_u32_b32 v20, v20, v118
	ds_store_b32 v121, v20 offset:1056
.LBB428_592:                            ;   in Loop: Header=BB428_566 Depth=2
	s_wait_alu 0xfffe
	s_or_b32 exec_lo, exec_lo, s15
	v_xor_b32_e32 v120, 0xffffff80, v23
	; wave barrier
	s_delay_alu instid0(VALU_DEP_1) | instskip(NEXT) | instid1(VALU_DEP_1)
	v_and_b32_e32 v20, 0xff, v120
	v_lshrrev_b32_e32 v20, s45, v20
	s_delay_alu instid0(VALU_DEP_1) | instskip(NEXT) | instid1(VALU_DEP_1)
	v_and_b32_e32 v21, s31, v20
	v_and_b32_e32 v20, 1, v21
	v_lshlrev_b32_e32 v23, 30, v21
	v_lshlrev_b32_e32 v24, 29, v21
	;; [unrolled: 1-line block ×4, first 2 shown]
	v_add_co_u32 v20, s15, v20, -1
	s_wait_alu 0xf1ff
	v_cndmask_b32_e64 v26, 0, 1, s15
	v_not_b32_e32 v124, v23
	v_cmp_gt_i32_e64 s15, 0, v23
	v_not_b32_e32 v23, v24
	v_lshlrev_b32_e32 v122, 26, v21
	v_cmp_ne_u32_e32 vcc_lo, 0, v26
	v_ashrrev_i32_e32 v124, 31, v124
	v_lshlrev_b32_e32 v123, 25, v21
	v_ashrrev_i32_e32 v23, 31, v23
	v_lshlrev_b32_e32 v26, 24, v21
	s_wait_alu 0xfffd
	v_xor_b32_e32 v20, vcc_lo, v20
	v_cmp_gt_i32_e32 vcc_lo, 0, v24
	v_not_b32_e32 v24, v25
	s_wait_alu 0xf1ff
	v_xor_b32_e32 v124, s15, v124
	v_cmp_gt_i32_e64 s15, 0, v25
	v_and_b32_e32 v20, exec_lo, v20
	v_not_b32_e32 v25, v27
	v_ashrrev_i32_e32 v24, 31, v24
	s_wait_alu 0xfffd
	v_xor_b32_e32 v23, vcc_lo, v23
	v_cmp_gt_i32_e32 vcc_lo, 0, v27
	v_and_b32_e32 v20, v20, v124
	v_not_b32_e32 v27, v122
	v_ashrrev_i32_e32 v25, 31, v25
	s_wait_alu 0xf1ff
	v_xor_b32_e32 v24, s15, v24
	v_cmp_gt_i32_e64 s15, 0, v122
	v_and_b32_e32 v20, v20, v23
	v_not_b32_e32 v23, v123
	v_ashrrev_i32_e32 v27, 31, v27
	s_wait_alu 0xfffd
	v_xor_b32_e32 v25, vcc_lo, v25
	v_cmp_gt_i32_e32 vcc_lo, 0, v123
	v_and_b32_e32 v20, v20, v24
	v_not_b32_e32 v24, v26
	v_ashrrev_i32_e32 v23, 31, v23
	s_wait_alu 0xf1ff
	v_xor_b32_e32 v27, s15, v27
	v_cmp_gt_i32_e64 s15, 0, v26
	v_and_b32_e32 v20, v20, v25
	v_ashrrev_i32_e32 v24, 31, v24
	s_wait_alu 0xfffd
	v_xor_b32_e32 v23, vcc_lo, v23
	v_mad_u32_u24 v25, v21, 36, v85
	v_mul_u32_u24_e32 v21, 36, v21
	v_and_b32_e32 v20, v20, v27
	s_wait_alu 0xf1ff
	v_xor_b32_e32 v24, s15, v24
	ds_load_b32 v122, v25 offset:1056
	v_add_nc_u32_e32 v125, v85, v21
	v_and_b32_e32 v20, v20, v23
	; wave barrier
	s_delay_alu instid0(VALU_DEP_1) | instskip(NEXT) | instid1(VALU_DEP_1)
	v_and_b32_e32 v20, v20, v24
	v_mbcnt_lo_u32_b32 v123, v20, 0
	v_cmp_ne_u32_e64 s15, 0, v20
	s_delay_alu instid0(VALU_DEP_2)
	v_cmp_eq_u32_e32 vcc_lo, 0, v123
	s_and_b32 s16, s15, vcc_lo
	s_wait_alu 0xfffe
	s_and_saveexec_b32 s15, s16
	s_cbranch_execz .LBB428_594
; %bb.593:                              ;   in Loop: Header=BB428_566 Depth=2
	s_wait_dscnt 0x0
	v_bcnt_u32_b32 v20, v20, v122
	ds_store_b32 v125, v20 offset:1056
.LBB428_594:                            ;   in Loop: Header=BB428_566 Depth=2
	s_wait_alu 0xfffe
	s_or_b32 exec_lo, exec_lo, s15
	v_xor_b32_e32 v124, 0xffffff80, v22
	; wave barrier
	s_delay_alu instid0(VALU_DEP_1) | instskip(NEXT) | instid1(VALU_DEP_1)
	v_and_b32_e32 v20, 0xff, v124
	v_lshrrev_b32_e32 v20, s45, v20
	s_delay_alu instid0(VALU_DEP_1) | instskip(NEXT) | instid1(VALU_DEP_1)
	v_and_b32_e32 v21, s31, v20
	v_and_b32_e32 v20, 1, v21
	v_lshlrev_b32_e32 v22, 30, v21
	v_lshlrev_b32_e32 v23, 29, v21
	;; [unrolled: 1-line block ×4, first 2 shown]
	v_add_co_u32 v20, s15, v20, -1
	s_wait_alu 0xf1ff
	v_cndmask_b32_e64 v25, 0, 1, s15
	v_not_b32_e32 v127, v22
	v_cmp_gt_i32_e64 s15, 0, v22
	v_not_b32_e32 v22, v23
	v_lshlrev_b32_e32 v27, 26, v21
	v_cmp_ne_u32_e32 vcc_lo, 0, v25
	v_ashrrev_i32_e32 v127, 31, v127
	v_lshlrev_b32_e32 v126, 25, v21
	v_ashrrev_i32_e32 v22, 31, v22
	v_lshlrev_b32_e32 v25, 24, v21
	s_wait_alu 0xfffd
	v_xor_b32_e32 v20, vcc_lo, v20
	v_cmp_gt_i32_e32 vcc_lo, 0, v23
	v_not_b32_e32 v23, v24
	s_wait_alu 0xf1ff
	v_xor_b32_e32 v127, s15, v127
	v_cmp_gt_i32_e64 s15, 0, v24
	v_and_b32_e32 v20, exec_lo, v20
	v_not_b32_e32 v24, v26
	v_ashrrev_i32_e32 v23, 31, v23
	s_wait_alu 0xfffd
	v_xor_b32_e32 v22, vcc_lo, v22
	v_cmp_gt_i32_e32 vcc_lo, 0, v26
	v_and_b32_e32 v20, v20, v127
	v_not_b32_e32 v26, v27
	v_ashrrev_i32_e32 v24, 31, v24
	s_wait_alu 0xf1ff
	v_xor_b32_e32 v23, s15, v23
	v_cmp_gt_i32_e64 s15, 0, v27
	v_and_b32_e32 v20, v20, v22
	v_not_b32_e32 v22, v126
	v_ashrrev_i32_e32 v26, 31, v26
	s_wait_alu 0xfffd
	v_xor_b32_e32 v24, vcc_lo, v24
	v_cmp_gt_i32_e32 vcc_lo, 0, v126
	v_and_b32_e32 v20, v20, v23
	v_not_b32_e32 v23, v25
	v_ashrrev_i32_e32 v22, 31, v22
	s_wait_alu 0xf1ff
	v_xor_b32_e32 v26, s15, v26
	v_cmp_gt_i32_e64 s15, 0, v25
	v_and_b32_e32 v20, v20, v24
	v_ashrrev_i32_e32 v23, 31, v23
	s_wait_alu 0xfffd
	v_xor_b32_e32 v22, vcc_lo, v22
	v_mad_u32_u24 v24, v21, 36, v85
	v_mul_u32_u24_e32 v21, 36, v21
	v_and_b32_e32 v20, v20, v26
	s_wait_alu 0xf1ff
	v_xor_b32_e32 v23, s15, v23
	ds_load_b32 v126, v24 offset:1056
	v_add_nc_u32_e32 v128, v85, v21
	v_and_b32_e32 v20, v20, v22
	; wave barrier
	s_delay_alu instid0(VALU_DEP_1) | instskip(NEXT) | instid1(VALU_DEP_1)
	v_and_b32_e32 v20, v20, v23
	v_mbcnt_lo_u32_b32 v127, v20, 0
	v_cmp_ne_u32_e64 s15, 0, v20
	s_delay_alu instid0(VALU_DEP_2)
	v_cmp_eq_u32_e32 vcc_lo, 0, v127
	s_and_b32 s16, s15, vcc_lo
	s_wait_alu 0xfffe
	s_and_saveexec_b32 s15, s16
	s_cbranch_execz .LBB428_596
; %bb.595:                              ;   in Loop: Header=BB428_566 Depth=2
	s_wait_dscnt 0x0
	v_bcnt_u32_b32 v20, v20, v126
	ds_store_b32 v128, v20 offset:1056
.LBB428_596:                            ;   in Loop: Header=BB428_566 Depth=2
	s_wait_alu 0xfffe
	s_or_b32 exec_lo, exec_lo, s15
	; wave barrier
	s_wait_loadcnt_dscnt 0x0
	s_barrier_signal -1
	s_barrier_wait -1
	global_inv scope:SCOPE_SE
	ds_load_2addr_b32 v[26:27], v98 offset1:1
	ds_load_2addr_b32 v[24:25], v99 offset1:1
	;; [unrolled: 1-line block ×4, first 2 shown]
	ds_load_b32 v129, v45 offset:1088
	s_wait_dscnt 0x3
	v_add3_u32 v130, v27, v26, v24
	s_wait_dscnt 0x2
	s_delay_alu instid0(VALU_DEP_1) | instskip(SKIP_1) | instid1(VALU_DEP_1)
	v_add3_u32 v130, v130, v25, v22
	s_wait_dscnt 0x1
	v_add3_u32 v130, v130, v23, v20
	s_wait_dscnt 0x0
	s_delay_alu instid0(VALU_DEP_1) | instskip(NEXT) | instid1(VALU_DEP_1)
	v_add3_u32 v129, v130, v21, v129
	v_mov_b32_dpp v130, v129 row_shr:1 row_mask:0xf bank_mask:0xf
	s_delay_alu instid0(VALU_DEP_1) | instskip(NEXT) | instid1(VALU_DEP_1)
	v_cndmask_b32_e64 v130, v130, 0, s0
	v_add_nc_u32_e32 v129, v130, v129
	s_delay_alu instid0(VALU_DEP_1) | instskip(NEXT) | instid1(VALU_DEP_1)
	v_mov_b32_dpp v130, v129 row_shr:2 row_mask:0xf bank_mask:0xf
	v_cndmask_b32_e64 v130, 0, v130, s1
	s_delay_alu instid0(VALU_DEP_1) | instskip(NEXT) | instid1(VALU_DEP_1)
	v_add_nc_u32_e32 v129, v129, v130
	v_mov_b32_dpp v130, v129 row_shr:4 row_mask:0xf bank_mask:0xf
	s_delay_alu instid0(VALU_DEP_1) | instskip(NEXT) | instid1(VALU_DEP_1)
	v_cndmask_b32_e64 v130, 0, v130, s9
	v_add_nc_u32_e32 v129, v129, v130
	s_delay_alu instid0(VALU_DEP_1) | instskip(NEXT) | instid1(VALU_DEP_1)
	v_mov_b32_dpp v130, v129 row_shr:8 row_mask:0xf bank_mask:0xf
	v_cndmask_b32_e64 v130, 0, v130, s10
	s_delay_alu instid0(VALU_DEP_1) | instskip(SKIP_3) | instid1(VALU_DEP_1)
	v_add_nc_u32_e32 v129, v129, v130
	ds_swizzle_b32 v130, v129 offset:swizzle(BROADCAST,32,15)
	s_wait_dscnt 0x0
	v_cndmask_b32_e64 v130, v130, 0, s11
	v_add_nc_u32_e32 v129, v129, v130
	s_and_saveexec_b32 s15, s3
; %bb.597:                              ;   in Loop: Header=BB428_566 Depth=2
	ds_store_b32 v38, v129 offset:1024
; %bb.598:                              ;   in Loop: Header=BB428_566 Depth=2
	s_wait_alu 0xfffe
	s_or_b32 exec_lo, exec_lo, s15
	s_wait_loadcnt_dscnt 0x0
	s_barrier_signal -1
	s_barrier_wait -1
	global_inv scope:SCOPE_SE
	s_and_saveexec_b32 s15, s4
	s_cbranch_execz .LBB428_600
; %bb.599:                              ;   in Loop: Header=BB428_566 Depth=2
	v_add_nc_u32_e32 v130, v45, v46
	ds_load_b32 v131, v130 offset:1024
	s_wait_dscnt 0x0
	v_mov_b32_dpp v132, v131 row_shr:1 row_mask:0xf bank_mask:0xf
	s_delay_alu instid0(VALU_DEP_1) | instskip(NEXT) | instid1(VALU_DEP_1)
	v_cndmask_b32_e64 v132, v132, 0, s12
	v_add_nc_u32_e32 v131, v132, v131
	s_delay_alu instid0(VALU_DEP_1) | instskip(NEXT) | instid1(VALU_DEP_1)
	v_mov_b32_dpp v132, v131 row_shr:2 row_mask:0xf bank_mask:0xf
	v_cndmask_b32_e64 v132, 0, v132, s13
	s_delay_alu instid0(VALU_DEP_1) | instskip(NEXT) | instid1(VALU_DEP_1)
	v_add_nc_u32_e32 v131, v131, v132
	v_mov_b32_dpp v132, v131 row_shr:4 row_mask:0xf bank_mask:0xf
	s_delay_alu instid0(VALU_DEP_1) | instskip(NEXT) | instid1(VALU_DEP_1)
	v_cndmask_b32_e64 v132, 0, v132, s14
	v_add_nc_u32_e32 v131, v131, v132
	ds_store_b32 v130, v131 offset:1024
.LBB428_600:                            ;   in Loop: Header=BB428_566 Depth=2
	s_wait_alu 0xfffe
	s_or_b32 exec_lo, exec_lo, s15
	v_mov_b32_e32 v130, 0
	s_wait_loadcnt_dscnt 0x0
	s_barrier_signal -1
	s_barrier_wait -1
	global_inv scope:SCOPE_SE
	s_and_saveexec_b32 s15, s5
; %bb.601:                              ;   in Loop: Header=BB428_566 Depth=2
	ds_load_b32 v130, v38 offset:1020
; %bb.602:                              ;   in Loop: Header=BB428_566 Depth=2
	s_wait_alu 0xfffe
	s_or_b32 exec_lo, exec_lo, s15
	s_wait_dscnt 0x0
	v_add_nc_u32_e32 v129, v130, v129
	ds_bpermute_b32 v129, v80, v129
	s_wait_dscnt 0x0
	v_cndmask_b32_e64 v129, v129, v130, s8
	s_delay_alu instid0(VALU_DEP_1) | instskip(NEXT) | instid1(VALU_DEP_1)
	v_cndmask_b32_e64 v129, v129, 0, s6
	v_add_nc_u32_e32 v26, v129, v26
	s_delay_alu instid0(VALU_DEP_1) | instskip(NEXT) | instid1(VALU_DEP_1)
	v_add_nc_u32_e32 v27, v26, v27
	v_add_nc_u32_e32 v24, v27, v24
	s_delay_alu instid0(VALU_DEP_1) | instskip(NEXT) | instid1(VALU_DEP_1)
	v_add_nc_u32_e32 v25, v24, v25
	;; [unrolled: 3-line block ×3, first 2 shown]
	v_add_nc_u32_e32 v20, v23, v20
	s_delay_alu instid0(VALU_DEP_1)
	v_add_nc_u32_e32 v21, v20, v21
	ds_store_2addr_b32 v97, v23, v20 offset1:1
	ds_store_2addr_b32 v98, v129, v26 offset1:1
	;; [unrolled: 1-line block ×4, first 2 shown]
	ds_store_b32 v45, v21 offset:1088
	s_wait_loadcnt_dscnt 0x0
	s_barrier_signal -1
	s_barrier_wait -1
	global_inv scope:SCOPE_SE
	ds_load_b32 v20, v101 offset:1056
	ds_load_b32 v21, v105 offset:1056
	;; [unrolled: 1-line block ×9, first 2 shown]
	v_mov_b32_e32 v22, 0x800
	s_and_saveexec_b32 s15, s7
; %bb.603:                              ;   in Loop: Header=BB428_566 Depth=2
	ds_load_b32 v22, v45 offset:1092
; %bb.604:                              ;   in Loop: Header=BB428_566 Depth=2
	s_wait_alu 0xfffe
	s_or_b32 exec_lo, exec_lo, s15
	s_wait_loadcnt_dscnt 0x0
	s_barrier_signal -1
	s_barrier_wait -1
	global_inv scope:SCOPE_SE
	s_and_saveexec_b32 s15, s2
	s_cbranch_execz .LBB428_606
; %bb.605:                              ;   in Loop: Header=BB428_566 Depth=2
	ds_load_b32 v27, v28
	s_wait_dscnt 0x0
	v_sub_nc_u32_e32 v26, v27, v26
	ds_store_b32 v28, v26
.LBB428_606:                            ;   in Loop: Header=BB428_566 Depth=2
	s_wait_alu 0xfffe
	s_or_b32 exec_lo, exec_lo, s15
	v_add_nc_u32_e32 v98, v20, v95
	v_add3_u32 v97, v103, v102, v21
	v_add3_u32 v95, v107, v106, v23
	v_add3_u32 v27, v111, v110, v24
	v_add3_u32 v26, v115, v114, v25
	v_add3_u32 v25, v119, v118, v99
	v_add3_u32 v24, v123, v122, v100
	v_add3_u32 v23, v127, v126, v101
	v_cmp_lt_u32_e64 s19, v1, v2
	ds_store_b8 v98, v94 offset:1024
	ds_store_b8 v97, v96 offset:1024
	;; [unrolled: 1-line block ×8, first 2 shown]
	s_wait_loadcnt_dscnt 0x0
	s_barrier_signal -1
	s_barrier_wait -1
	global_inv scope:SCOPE_SE
	s_and_saveexec_b32 s15, s19
	s_cbranch_execnz .LBB428_643
; %bb.607:                              ;   in Loop: Header=BB428_566 Depth=2
	s_wait_alu 0xfffe
	s_or_b32 exec_lo, exec_lo, s15
	v_cmp_lt_u32_e64 s21, v29, v2
	s_and_saveexec_b32 s15, s21
	s_cbranch_execnz .LBB428_644
.LBB428_608:                            ;   in Loop: Header=BB428_566 Depth=2
	s_wait_alu 0xfffe
	s_or_b32 exec_lo, exec_lo, s15
	v_cmp_lt_u32_e64 s20, v30, v2
	s_and_saveexec_b32 s15, s20
	s_cbranch_execnz .LBB428_645
.LBB428_609:                            ;   in Loop: Header=BB428_566 Depth=2
	s_wait_alu 0xfffe
	s_or_b32 exec_lo, exec_lo, s15
	v_cmp_lt_u32_e64 s18, v31, v2
	s_and_saveexec_b32 s15, s18
	s_cbranch_execnz .LBB428_646
.LBB428_610:                            ;   in Loop: Header=BB428_566 Depth=2
	s_wait_alu 0xfffe
	s_or_b32 exec_lo, exec_lo, s15
	v_cmp_lt_u32_e64 s17, v34, v2
	s_and_saveexec_b32 s15, s17
	s_cbranch_execnz .LBB428_647
.LBB428_611:                            ;   in Loop: Header=BB428_566 Depth=2
	s_wait_alu 0xfffe
	s_or_b32 exec_lo, exec_lo, s15
	v_cmp_lt_u32_e64 s16, v35, v2
	s_and_saveexec_b32 s15, s16
	s_cbranch_execnz .LBB428_648
.LBB428_612:                            ;   in Loop: Header=BB428_566 Depth=2
	s_wait_alu 0xfffe
	s_or_b32 exec_lo, exec_lo, s15
	v_cmp_lt_u32_e64 s15, v36, v2
	s_and_saveexec_b32 s44, s15
	s_cbranch_execnz .LBB428_649
.LBB428_613:                            ;   in Loop: Header=BB428_566 Depth=2
	s_wait_alu 0xfffe
	s_or_b32 exec_lo, exec_lo, s44
	v_cmp_lt_u32_e32 vcc_lo, v37, v2
	s_and_saveexec_b32 s44, vcc_lo
	s_cbranch_execz .LBB428_615
.LBB428_614:                            ;   in Loop: Header=BB428_566 Depth=2
	ds_load_u8 v20, v1 offset:2816
	s_wait_dscnt 0x0
	v_and_b32_e32 v21, 0xff, v20
	v_xor_b32_e32 v20, 0x80, v20
	s_delay_alu instid0(VALU_DEP_2) | instskip(NEXT) | instid1(VALU_DEP_1)
	v_lshrrev_b32_e32 v21, s45, v21
	v_and_b32_e32 v21, s31, v21
	s_delay_alu instid0(VALU_DEP_1)
	v_lshlrev_b32_e32 v21, 2, v21
	ds_load_b32 v21, v21
	s_wait_dscnt 0x0
	v_add_nc_u32_e32 v21, v21, v37
	global_store_b8 v21, v20, s[40:41]
.LBB428_615:                            ;   in Loop: Header=BB428_566 Depth=2
	s_wait_alu 0xfffe
	s_or_b32 exec_lo, exec_lo, s44
	s_lshl_b64 s[48:49], s[22:23], 3
	s_wait_alu 0xfffe
	v_add_co_u32 v20, s22, v81, s48
	s_wait_alu 0xf1ff
	v_add_co_ci_u32_e64 v21, null, s49, v82, s22
	v_cmp_lt_u32_e64 s22, v68, v2
	s_and_saveexec_b32 s44, s22
	s_wait_alu 0xfffe
	s_xor_b32 s22, exec_lo, s44
	s_cbranch_execnz .LBB428_650
; %bb.616:                              ;   in Loop: Header=BB428_566 Depth=2
	s_wait_alu 0xfffe
	s_or_b32 exec_lo, exec_lo, s22
	s_delay_alu instid0(SALU_CYCLE_1)
	s_mov_b32 s44, exec_lo
	v_cmpx_lt_u32_e64 v71, v2
	s_cbranch_execnz .LBB428_651
.LBB428_617:                            ;   in Loop: Header=BB428_566 Depth=2
	s_wait_alu 0xfffe
	s_or_b32 exec_lo, exec_lo, s44
	s_delay_alu instid0(SALU_CYCLE_1)
	s_mov_b32 s44, exec_lo
	v_cmpx_lt_u32_e64 v72, v2
	s_cbranch_execnz .LBB428_652
.LBB428_618:                            ;   in Loop: Header=BB428_566 Depth=2
	s_wait_alu 0xfffe
	s_or_b32 exec_lo, exec_lo, s44
	s_delay_alu instid0(SALU_CYCLE_1)
	s_mov_b32 s44, exec_lo
	v_cmpx_lt_u32_e64 v73, v2
	s_cbranch_execnz .LBB428_653
.LBB428_619:                            ;   in Loop: Header=BB428_566 Depth=2
	s_wait_alu 0xfffe
	s_or_b32 exec_lo, exec_lo, s44
	s_delay_alu instid0(SALU_CYCLE_1)
	s_mov_b32 s44, exec_lo
	v_cmpx_lt_u32_e64 v74, v2
	s_cbranch_execnz .LBB428_654
.LBB428_620:                            ;   in Loop: Header=BB428_566 Depth=2
	s_wait_alu 0xfffe
	s_or_b32 exec_lo, exec_lo, s44
	s_delay_alu instid0(SALU_CYCLE_1)
	s_mov_b32 s44, exec_lo
	v_cmpx_lt_u32_e64 v75, v2
	s_cbranch_execnz .LBB428_655
.LBB428_621:                            ;   in Loop: Header=BB428_566 Depth=2
	s_wait_alu 0xfffe
	s_or_b32 exec_lo, exec_lo, s44
	s_delay_alu instid0(SALU_CYCLE_1)
	s_mov_b32 s44, exec_lo
	v_cmpx_lt_u32_e64 v76, v2
	s_cbranch_execnz .LBB428_656
.LBB428_622:                            ;   in Loop: Header=BB428_566 Depth=2
	s_wait_alu 0xfffe
	s_or_b32 exec_lo, exec_lo, s44
	s_delay_alu instid0(SALU_CYCLE_1)
	s_mov_b32 s44, exec_lo
	v_cmpx_lt_u32_e64 v77, v2
	s_cbranch_execnz .LBB428_657
.LBB428_623:                            ;   in Loop: Header=BB428_566 Depth=2
	s_wait_alu 0xfffe
	s_or_b32 exec_lo, exec_lo, s44
	s_and_saveexec_b32 s22, s19
	s_cbranch_execnz .LBB428_658
.LBB428_624:                            ;   in Loop: Header=BB428_566 Depth=2
	s_wait_alu 0xfffe
	s_or_b32 exec_lo, exec_lo, s22
	s_and_saveexec_b32 s22, s21
	s_cbranch_execnz .LBB428_659
.LBB428_625:                            ;   in Loop: Header=BB428_566 Depth=2
	s_wait_alu 0xfffe
	s_or_b32 exec_lo, exec_lo, s22
	s_and_saveexec_b32 s22, s20
	s_cbranch_execnz .LBB428_660
.LBB428_626:                            ;   in Loop: Header=BB428_566 Depth=2
	s_wait_alu 0xfffe
	s_or_b32 exec_lo, exec_lo, s22
	s_and_saveexec_b32 s22, s18
	s_cbranch_execnz .LBB428_661
.LBB428_627:                            ;   in Loop: Header=BB428_566 Depth=2
	s_wait_alu 0xfffe
	s_or_b32 exec_lo, exec_lo, s22
	s_and_saveexec_b32 s22, s17
	s_cbranch_execnz .LBB428_662
.LBB428_628:                            ;   in Loop: Header=BB428_566 Depth=2
	s_wait_alu 0xfffe
	s_or_b32 exec_lo, exec_lo, s22
	s_and_saveexec_b32 s22, s16
	s_cbranch_execnz .LBB428_663
.LBB428_629:                            ;   in Loop: Header=BB428_566 Depth=2
	s_wait_alu 0xfffe
	s_or_b32 exec_lo, exec_lo, s22
	s_and_saveexec_b32 s22, s15
	s_cbranch_execnz .LBB428_664
.LBB428_630:                            ;   in Loop: Header=BB428_566 Depth=2
	s_wait_alu 0xfffe
	s_or_b32 exec_lo, exec_lo, s22
	s_and_saveexec_b32 s22, vcc_lo
	s_cbranch_execz .LBB428_632
.LBB428_631:                            ;   in Loop: Header=BB428_566 Depth=2
	ds_load_u8 v2, v1 offset:2816
	s_wait_dscnt 0x0
	v_lshrrev_b32_e32 v2, s45, v2
	s_delay_alu instid0(VALU_DEP_1)
	v_and_b32_e32 v86, s31, v2
.LBB428_632:                            ;   in Loop: Header=BB428_566 Depth=2
	s_wait_alu 0xfffe
	s_or_b32 exec_lo, exec_lo, s22
	v_lshlrev_b32_e32 v2, 3, v98
	v_lshlrev_b32_e32 v20, 3, v97
	;; [unrolled: 1-line block ×3, first 2 shown]
	s_wait_loadcnt 0x0
	s_wait_storecnt 0x0
	s_barrier_signal -1
	s_barrier_wait -1
	global_inv scope:SCOPE_SE
	ds_store_b64 v2, v[18:19] offset:1024
	ds_store_b64 v20, v[16:17] offset:1024
	ds_store_b64 v21, v[14:15] offset:1024
	v_lshlrev_b32_e32 v2, 3, v27
	v_lshlrev_b32_e32 v20, 3, v26
	;; [unrolled: 1-line block ×5, first 2 shown]
	ds_store_b64 v2, v[12:13] offset:1024
	ds_store_b64 v20, v[10:11] offset:1024
	;; [unrolled: 1-line block ×5, first 2 shown]
	v_add_nc_u32_e32 v20, v1, v47
	s_wait_loadcnt_dscnt 0x0
	s_barrier_signal -1
	s_barrier_wait -1
	global_inv scope:SCOPE_SE
	s_and_saveexec_b32 s22, s19
	s_cbranch_execnz .LBB428_665
; %bb.633:                              ;   in Loop: Header=BB428_566 Depth=2
	s_wait_alu 0xfffe
	s_or_b32 exec_lo, exec_lo, s22
	s_and_saveexec_b32 s22, s21
	s_cbranch_execnz .LBB428_666
.LBB428_634:                            ;   in Loop: Header=BB428_566 Depth=2
	s_wait_alu 0xfffe
	s_or_b32 exec_lo, exec_lo, s22
	s_and_saveexec_b32 s21, s20
	s_cbranch_execnz .LBB428_667
.LBB428_635:                            ;   in Loop: Header=BB428_566 Depth=2
	s_wait_alu 0xfffe
	s_or_b32 exec_lo, exec_lo, s21
	s_and_saveexec_b32 s19, s18
	s_cbranch_execnz .LBB428_668
.LBB428_636:                            ;   in Loop: Header=BB428_566 Depth=2
	s_wait_alu 0xfffe
	s_or_b32 exec_lo, exec_lo, s19
	s_and_saveexec_b32 s18, s17
	s_cbranch_execnz .LBB428_669
.LBB428_637:                            ;   in Loop: Header=BB428_566 Depth=2
	s_wait_alu 0xfffe
	s_or_b32 exec_lo, exec_lo, s18
	s_and_saveexec_b32 s17, s16
	s_cbranch_execnz .LBB428_670
.LBB428_638:                            ;   in Loop: Header=BB428_566 Depth=2
	s_wait_alu 0xfffe
	s_or_b32 exec_lo, exec_lo, s17
	s_and_saveexec_b32 s16, s15
	s_cbranch_execnz .LBB428_671
.LBB428_639:                            ;   in Loop: Header=BB428_566 Depth=2
	s_wait_alu 0xfffe
	s_or_b32 exec_lo, exec_lo, s16
	s_and_saveexec_b32 s15, vcc_lo
	s_cbranch_execz .LBB428_641
.LBB428_640:                            ;   in Loop: Header=BB428_566 Depth=2
	v_lshlrev_b32_e32 v2, 2, v86
	ds_load_b32 v2, v2
	ds_load_b64 v[20:21], v20 offset:15360
	s_wait_dscnt 0x1
	v_add_nc_u32_e32 v2, v2, v37
	s_delay_alu instid0(VALU_DEP_1) | instskip(NEXT) | instid1(VALU_DEP_1)
	v_lshlrev_b64_e32 v[23:24], 3, v[2:3]
	v_add_co_u32 v23, vcc_lo, s26, v23
	s_wait_alu 0xfffd
	s_delay_alu instid0(VALU_DEP_2)
	v_add_co_ci_u32_e64 v24, null, s27, v24, vcc_lo
	s_wait_dscnt 0x0
	global_store_b64 v[23:24], v[20:21], off
.LBB428_641:                            ;   in Loop: Header=BB428_566 Depth=2
	s_wait_alu 0xfffe
	s_or_b32 exec_lo, exec_lo, s15
	s_wait_loadcnt 0x0
	s_wait_storecnt 0x0
	s_barrier_signal -1
	s_barrier_wait -1
	global_inv scope:SCOPE_SE
	s_and_saveexec_b32 s15, s2
	s_cbranch_execz .LBB428_565
; %bb.642:                              ;   in Loop: Header=BB428_566 Depth=2
	ds_load_b32 v2, v28
	s_wait_dscnt 0x0
	v_add_nc_u32_e32 v2, v2, v22
	ds_store_b32 v28, v2
	s_branch .LBB428_565
.LBB428_643:                            ;   in Loop: Header=BB428_566 Depth=2
	ds_load_u8 v20, v1 offset:1024
	s_wait_dscnt 0x0
	v_and_b32_e32 v21, 0xff, v20
	v_xor_b32_e32 v20, 0x80, v20
	s_delay_alu instid0(VALU_DEP_2) | instskip(NEXT) | instid1(VALU_DEP_1)
	v_lshrrev_b32_e32 v21, s45, v21
	v_and_b32_e32 v21, s31, v21
	s_delay_alu instid0(VALU_DEP_1)
	v_lshlrev_b32_e32 v21, 2, v21
	ds_load_b32 v21, v21
	s_wait_dscnt 0x0
	v_add_nc_u32_e32 v21, v21, v1
	global_store_b8 v21, v20, s[40:41]
	s_wait_alu 0xfffe
	s_or_b32 exec_lo, exec_lo, s15
	v_cmp_lt_u32_e64 s21, v29, v2
	s_and_saveexec_b32 s15, s21
	s_cbranch_execz .LBB428_608
.LBB428_644:                            ;   in Loop: Header=BB428_566 Depth=2
	ds_load_u8 v20, v1 offset:1280
	s_wait_dscnt 0x0
	v_and_b32_e32 v21, 0xff, v20
	v_xor_b32_e32 v20, 0x80, v20
	s_delay_alu instid0(VALU_DEP_2) | instskip(NEXT) | instid1(VALU_DEP_1)
	v_lshrrev_b32_e32 v21, s45, v21
	v_and_b32_e32 v21, s31, v21
	s_delay_alu instid0(VALU_DEP_1)
	v_lshlrev_b32_e32 v21, 2, v21
	ds_load_b32 v21, v21
	s_wait_dscnt 0x0
	v_add_nc_u32_e32 v21, v21, v29
	global_store_b8 v21, v20, s[40:41]
	s_wait_alu 0xfffe
	s_or_b32 exec_lo, exec_lo, s15
	v_cmp_lt_u32_e64 s20, v30, v2
	s_and_saveexec_b32 s15, s20
	s_cbranch_execz .LBB428_609
.LBB428_645:                            ;   in Loop: Header=BB428_566 Depth=2
	ds_load_u8 v20, v1 offset:1536
	s_wait_dscnt 0x0
	v_and_b32_e32 v21, 0xff, v20
	v_xor_b32_e32 v20, 0x80, v20
	s_delay_alu instid0(VALU_DEP_2) | instskip(NEXT) | instid1(VALU_DEP_1)
	v_lshrrev_b32_e32 v21, s45, v21
	v_and_b32_e32 v21, s31, v21
	s_delay_alu instid0(VALU_DEP_1)
	v_lshlrev_b32_e32 v21, 2, v21
	ds_load_b32 v21, v21
	s_wait_dscnt 0x0
	v_add_nc_u32_e32 v21, v21, v30
	global_store_b8 v21, v20, s[40:41]
	s_wait_alu 0xfffe
	s_or_b32 exec_lo, exec_lo, s15
	v_cmp_lt_u32_e64 s18, v31, v2
	s_and_saveexec_b32 s15, s18
	s_cbranch_execz .LBB428_610
.LBB428_646:                            ;   in Loop: Header=BB428_566 Depth=2
	ds_load_u8 v20, v1 offset:1792
	s_wait_dscnt 0x0
	v_and_b32_e32 v21, 0xff, v20
	v_xor_b32_e32 v20, 0x80, v20
	s_delay_alu instid0(VALU_DEP_2) | instskip(NEXT) | instid1(VALU_DEP_1)
	v_lshrrev_b32_e32 v21, s45, v21
	v_and_b32_e32 v21, s31, v21
	s_delay_alu instid0(VALU_DEP_1)
	v_lshlrev_b32_e32 v21, 2, v21
	ds_load_b32 v21, v21
	s_wait_dscnt 0x0
	v_add_nc_u32_e32 v21, v21, v31
	global_store_b8 v21, v20, s[40:41]
	s_wait_alu 0xfffe
	s_or_b32 exec_lo, exec_lo, s15
	v_cmp_lt_u32_e64 s17, v34, v2
	s_and_saveexec_b32 s15, s17
	s_cbranch_execz .LBB428_611
.LBB428_647:                            ;   in Loop: Header=BB428_566 Depth=2
	ds_load_u8 v20, v1 offset:2048
	s_wait_dscnt 0x0
	v_and_b32_e32 v21, 0xff, v20
	v_xor_b32_e32 v20, 0x80, v20
	s_delay_alu instid0(VALU_DEP_2) | instskip(NEXT) | instid1(VALU_DEP_1)
	v_lshrrev_b32_e32 v21, s45, v21
	v_and_b32_e32 v21, s31, v21
	s_delay_alu instid0(VALU_DEP_1)
	v_lshlrev_b32_e32 v21, 2, v21
	ds_load_b32 v21, v21
	s_wait_dscnt 0x0
	v_add_nc_u32_e32 v21, v21, v34
	global_store_b8 v21, v20, s[40:41]
	s_wait_alu 0xfffe
	s_or_b32 exec_lo, exec_lo, s15
	v_cmp_lt_u32_e64 s16, v35, v2
	s_and_saveexec_b32 s15, s16
	s_cbranch_execz .LBB428_612
.LBB428_648:                            ;   in Loop: Header=BB428_566 Depth=2
	ds_load_u8 v20, v1 offset:2304
	s_wait_dscnt 0x0
	v_and_b32_e32 v21, 0xff, v20
	v_xor_b32_e32 v20, 0x80, v20
	s_delay_alu instid0(VALU_DEP_2) | instskip(NEXT) | instid1(VALU_DEP_1)
	v_lshrrev_b32_e32 v21, s45, v21
	v_and_b32_e32 v21, s31, v21
	s_delay_alu instid0(VALU_DEP_1)
	v_lshlrev_b32_e32 v21, 2, v21
	ds_load_b32 v21, v21
	s_wait_dscnt 0x0
	v_add_nc_u32_e32 v21, v21, v35
	global_store_b8 v21, v20, s[40:41]
	s_wait_alu 0xfffe
	s_or_b32 exec_lo, exec_lo, s15
	v_cmp_lt_u32_e64 s15, v36, v2
	s_and_saveexec_b32 s44, s15
	s_cbranch_execz .LBB428_613
.LBB428_649:                            ;   in Loop: Header=BB428_566 Depth=2
	ds_load_u8 v20, v1 offset:2560
	s_wait_dscnt 0x0
	v_and_b32_e32 v21, 0xff, v20
	v_xor_b32_e32 v20, 0x80, v20
	s_delay_alu instid0(VALU_DEP_2) | instskip(NEXT) | instid1(VALU_DEP_1)
	v_lshrrev_b32_e32 v21, s45, v21
	v_and_b32_e32 v21, s31, v21
	s_delay_alu instid0(VALU_DEP_1)
	v_lshlrev_b32_e32 v21, 2, v21
	ds_load_b32 v21, v21
	s_wait_dscnt 0x0
	v_add_nc_u32_e32 v21, v21, v36
	global_store_b8 v21, v20, s[40:41]
	s_wait_alu 0xfffe
	s_or_b32 exec_lo, exec_lo, s44
	v_cmp_lt_u32_e32 vcc_lo, v37, v2
	s_and_saveexec_b32 s44, vcc_lo
	s_cbranch_execnz .LBB428_614
	s_branch .LBB428_615
.LBB428_650:                            ;   in Loop: Header=BB428_566 Depth=2
	global_load_b64 v[18:19], v[20:21], off
	s_wait_alu 0xfffe
	s_or_b32 exec_lo, exec_lo, s22
	s_delay_alu instid0(SALU_CYCLE_1)
	s_mov_b32 s44, exec_lo
	v_cmpx_lt_u32_e64 v71, v2
	s_cbranch_execz .LBB428_617
.LBB428_651:                            ;   in Loop: Header=BB428_566 Depth=2
	global_load_b64 v[16:17], v[20:21], off offset:256
	s_wait_alu 0xfffe
	s_or_b32 exec_lo, exec_lo, s44
	s_delay_alu instid0(SALU_CYCLE_1)
	s_mov_b32 s44, exec_lo
	v_cmpx_lt_u32_e64 v72, v2
	s_cbranch_execz .LBB428_618
.LBB428_652:                            ;   in Loop: Header=BB428_566 Depth=2
	global_load_b64 v[14:15], v[20:21], off offset:512
	s_wait_alu 0xfffe
	s_or_b32 exec_lo, exec_lo, s44
	s_delay_alu instid0(SALU_CYCLE_1)
	s_mov_b32 s44, exec_lo
	v_cmpx_lt_u32_e64 v73, v2
	s_cbranch_execz .LBB428_619
.LBB428_653:                            ;   in Loop: Header=BB428_566 Depth=2
	global_load_b64 v[12:13], v[20:21], off offset:768
	s_wait_alu 0xfffe
	s_or_b32 exec_lo, exec_lo, s44
	s_delay_alu instid0(SALU_CYCLE_1)
	s_mov_b32 s44, exec_lo
	v_cmpx_lt_u32_e64 v74, v2
	s_cbranch_execz .LBB428_620
.LBB428_654:                            ;   in Loop: Header=BB428_566 Depth=2
	global_load_b64 v[10:11], v[20:21], off offset:1024
	s_wait_alu 0xfffe
	s_or_b32 exec_lo, exec_lo, s44
	s_delay_alu instid0(SALU_CYCLE_1)
	s_mov_b32 s44, exec_lo
	v_cmpx_lt_u32_e64 v75, v2
	s_cbranch_execz .LBB428_621
.LBB428_655:                            ;   in Loop: Header=BB428_566 Depth=2
	global_load_b64 v[8:9], v[20:21], off offset:1280
	s_wait_alu 0xfffe
	s_or_b32 exec_lo, exec_lo, s44
	s_delay_alu instid0(SALU_CYCLE_1)
	s_mov_b32 s44, exec_lo
	v_cmpx_lt_u32_e64 v76, v2
	s_cbranch_execz .LBB428_622
.LBB428_656:                            ;   in Loop: Header=BB428_566 Depth=2
	global_load_b64 v[6:7], v[20:21], off offset:1536
	s_wait_alu 0xfffe
	s_or_b32 exec_lo, exec_lo, s44
	s_delay_alu instid0(SALU_CYCLE_1)
	s_mov_b32 s44, exec_lo
	v_cmpx_lt_u32_e64 v77, v2
	s_cbranch_execz .LBB428_623
.LBB428_657:                            ;   in Loop: Header=BB428_566 Depth=2
	global_load_b64 v[4:5], v[20:21], off offset:1792
	s_wait_alu 0xfffe
	s_or_b32 exec_lo, exec_lo, s44
	s_and_saveexec_b32 s22, s19
	s_cbranch_execz .LBB428_624
.LBB428_658:                            ;   in Loop: Header=BB428_566 Depth=2
	ds_load_u8 v2, v1 offset:1024
	s_wait_dscnt 0x0
	v_lshrrev_b32_e32 v2, s45, v2
	s_delay_alu instid0(VALU_DEP_1)
	v_and_b32_e32 v93, s31, v2
	s_wait_alu 0xfffe
	s_or_b32 exec_lo, exec_lo, s22
	s_and_saveexec_b32 s22, s21
	s_cbranch_execz .LBB428_625
.LBB428_659:                            ;   in Loop: Header=BB428_566 Depth=2
	ds_load_u8 v2, v1 offset:1280
	s_wait_dscnt 0x0
	v_lshrrev_b32_e32 v2, s45, v2
	s_delay_alu instid0(VALU_DEP_1)
	v_and_b32_e32 v92, s31, v2
	s_wait_alu 0xfffe
	s_or_b32 exec_lo, exec_lo, s22
	s_and_saveexec_b32 s22, s20
	s_cbranch_execz .LBB428_626
.LBB428_660:                            ;   in Loop: Header=BB428_566 Depth=2
	ds_load_u8 v2, v1 offset:1536
	s_wait_dscnt 0x0
	v_lshrrev_b32_e32 v2, s45, v2
	s_delay_alu instid0(VALU_DEP_1)
	v_and_b32_e32 v91, s31, v2
	s_wait_alu 0xfffe
	s_or_b32 exec_lo, exec_lo, s22
	s_and_saveexec_b32 s22, s18
	s_cbranch_execz .LBB428_627
.LBB428_661:                            ;   in Loop: Header=BB428_566 Depth=2
	ds_load_u8 v2, v1 offset:1792
	s_wait_dscnt 0x0
	v_lshrrev_b32_e32 v2, s45, v2
	s_delay_alu instid0(VALU_DEP_1)
	v_and_b32_e32 v90, s31, v2
	s_wait_alu 0xfffe
	s_or_b32 exec_lo, exec_lo, s22
	s_and_saveexec_b32 s22, s17
	s_cbranch_execz .LBB428_628
.LBB428_662:                            ;   in Loop: Header=BB428_566 Depth=2
	ds_load_u8 v2, v1 offset:2048
	s_wait_dscnt 0x0
	v_lshrrev_b32_e32 v2, s45, v2
	s_delay_alu instid0(VALU_DEP_1)
	v_and_b32_e32 v89, s31, v2
	s_wait_alu 0xfffe
	s_or_b32 exec_lo, exec_lo, s22
	s_and_saveexec_b32 s22, s16
	s_cbranch_execz .LBB428_629
.LBB428_663:                            ;   in Loop: Header=BB428_566 Depth=2
	ds_load_u8 v2, v1 offset:2304
	s_wait_dscnt 0x0
	v_lshrrev_b32_e32 v2, s45, v2
	s_delay_alu instid0(VALU_DEP_1)
	v_and_b32_e32 v88, s31, v2
	s_wait_alu 0xfffe
	s_or_b32 exec_lo, exec_lo, s22
	s_and_saveexec_b32 s22, s15
	s_cbranch_execz .LBB428_630
.LBB428_664:                            ;   in Loop: Header=BB428_566 Depth=2
	ds_load_u8 v2, v1 offset:2560
	s_wait_dscnt 0x0
	v_lshrrev_b32_e32 v2, s45, v2
	s_delay_alu instid0(VALU_DEP_1)
	v_and_b32_e32 v87, s31, v2
	s_wait_alu 0xfffe
	s_or_b32 exec_lo, exec_lo, s22
	s_and_saveexec_b32 s22, vcc_lo
	s_cbranch_execnz .LBB428_631
	s_branch .LBB428_632
.LBB428_665:                            ;   in Loop: Header=BB428_566 Depth=2
	v_lshlrev_b32_e32 v2, 2, v93
	ds_load_b32 v2, v2
	ds_load_b64 v[23:24], v20 offset:1024
	s_wait_dscnt 0x1
	v_add_nc_u32_e32 v2, v2, v1
	s_delay_alu instid0(VALU_DEP_1) | instskip(NEXT) | instid1(VALU_DEP_1)
	v_lshlrev_b64_e32 v[25:26], 3, v[2:3]
	v_add_co_u32 v25, s19, s26, v25
	s_wait_alu 0xf1ff
	s_delay_alu instid0(VALU_DEP_2)
	v_add_co_ci_u32_e64 v26, null, s27, v26, s19
	s_wait_dscnt 0x0
	global_store_b64 v[25:26], v[23:24], off
	s_wait_alu 0xfffe
	s_or_b32 exec_lo, exec_lo, s22
	s_and_saveexec_b32 s22, s21
	s_cbranch_execz .LBB428_634
.LBB428_666:                            ;   in Loop: Header=BB428_566 Depth=2
	v_lshlrev_b32_e32 v2, 2, v92
	ds_load_b32 v2, v2
	ds_load_b64 v[23:24], v20 offset:3072
	s_wait_dscnt 0x1
	v_add_nc_u32_e32 v2, v2, v29
	s_delay_alu instid0(VALU_DEP_1) | instskip(NEXT) | instid1(VALU_DEP_1)
	v_lshlrev_b64_e32 v[25:26], 3, v[2:3]
	v_add_co_u32 v25, s19, s26, v25
	s_wait_alu 0xf1ff
	s_delay_alu instid0(VALU_DEP_2)
	v_add_co_ci_u32_e64 v26, null, s27, v26, s19
	s_wait_dscnt 0x0
	global_store_b64 v[25:26], v[23:24], off
	s_wait_alu 0xfffe
	s_or_b32 exec_lo, exec_lo, s22
	s_and_saveexec_b32 s21, s20
	s_cbranch_execz .LBB428_635
.LBB428_667:                            ;   in Loop: Header=BB428_566 Depth=2
	v_lshlrev_b32_e32 v2, 2, v91
	ds_load_b32 v2, v2
	ds_load_b64 v[23:24], v20 offset:5120
	s_wait_dscnt 0x1
	v_add_nc_u32_e32 v2, v2, v30
	s_delay_alu instid0(VALU_DEP_1) | instskip(NEXT) | instid1(VALU_DEP_1)
	v_lshlrev_b64_e32 v[25:26], 3, v[2:3]
	v_add_co_u32 v25, s19, s26, v25
	s_wait_alu 0xf1ff
	s_delay_alu instid0(VALU_DEP_2)
	v_add_co_ci_u32_e64 v26, null, s27, v26, s19
	s_wait_dscnt 0x0
	global_store_b64 v[25:26], v[23:24], off
	s_wait_alu 0xfffe
	s_or_b32 exec_lo, exec_lo, s21
	s_and_saveexec_b32 s19, s18
	s_cbranch_execz .LBB428_636
.LBB428_668:                            ;   in Loop: Header=BB428_566 Depth=2
	v_lshlrev_b32_e32 v2, 2, v90
	ds_load_b32 v2, v2
	ds_load_b64 v[23:24], v20 offset:7168
	s_wait_dscnt 0x1
	v_add_nc_u32_e32 v2, v2, v31
	s_delay_alu instid0(VALU_DEP_1) | instskip(NEXT) | instid1(VALU_DEP_1)
	v_lshlrev_b64_e32 v[25:26], 3, v[2:3]
	v_add_co_u32 v25, s18, s26, v25
	s_wait_alu 0xf1ff
	s_delay_alu instid0(VALU_DEP_2)
	v_add_co_ci_u32_e64 v26, null, s27, v26, s18
	s_wait_dscnt 0x0
	global_store_b64 v[25:26], v[23:24], off
	s_wait_alu 0xfffe
	s_or_b32 exec_lo, exec_lo, s19
	s_and_saveexec_b32 s18, s17
	s_cbranch_execz .LBB428_637
.LBB428_669:                            ;   in Loop: Header=BB428_566 Depth=2
	v_lshlrev_b32_e32 v2, 2, v89
	ds_load_b32 v2, v2
	ds_load_b64 v[23:24], v20 offset:9216
	s_wait_dscnt 0x1
	v_add_nc_u32_e32 v2, v2, v34
	s_delay_alu instid0(VALU_DEP_1) | instskip(NEXT) | instid1(VALU_DEP_1)
	v_lshlrev_b64_e32 v[25:26], 3, v[2:3]
	v_add_co_u32 v25, s17, s26, v25
	s_wait_alu 0xf1ff
	s_delay_alu instid0(VALU_DEP_2)
	v_add_co_ci_u32_e64 v26, null, s27, v26, s17
	s_wait_dscnt 0x0
	global_store_b64 v[25:26], v[23:24], off
	s_wait_alu 0xfffe
	s_or_b32 exec_lo, exec_lo, s18
	s_and_saveexec_b32 s17, s16
	s_cbranch_execz .LBB428_638
.LBB428_670:                            ;   in Loop: Header=BB428_566 Depth=2
	v_lshlrev_b32_e32 v2, 2, v88
	ds_load_b32 v2, v2
	ds_load_b64 v[23:24], v20 offset:11264
	s_wait_dscnt 0x1
	v_add_nc_u32_e32 v2, v2, v35
	s_delay_alu instid0(VALU_DEP_1) | instskip(NEXT) | instid1(VALU_DEP_1)
	v_lshlrev_b64_e32 v[25:26], 3, v[2:3]
	v_add_co_u32 v25, s16, s26, v25
	s_wait_alu 0xf1ff
	s_delay_alu instid0(VALU_DEP_2)
	v_add_co_ci_u32_e64 v26, null, s27, v26, s16
	s_wait_dscnt 0x0
	global_store_b64 v[25:26], v[23:24], off
	s_wait_alu 0xfffe
	s_or_b32 exec_lo, exec_lo, s17
	s_and_saveexec_b32 s16, s15
	s_cbranch_execz .LBB428_639
.LBB428_671:                            ;   in Loop: Header=BB428_566 Depth=2
	v_lshlrev_b32_e32 v2, 2, v87
	ds_load_b32 v2, v2
	ds_load_b64 v[23:24], v20 offset:13312
	s_wait_dscnt 0x1
	v_add_nc_u32_e32 v2, v2, v36
	s_delay_alu instid0(VALU_DEP_1) | instskip(NEXT) | instid1(VALU_DEP_1)
	v_lshlrev_b64_e32 v[25:26], 3, v[2:3]
	v_add_co_u32 v25, s15, s26, v25
	s_wait_alu 0xf1ff
	s_delay_alu instid0(VALU_DEP_2)
	v_add_co_ci_u32_e64 v26, null, s27, v26, s15
	s_wait_dscnt 0x0
	global_store_b64 v[25:26], v[23:24], off
	s_wait_alu 0xfffe
	s_or_b32 exec_lo, exec_lo, s16
	s_and_saveexec_b32 s15, vcc_lo
	s_cbranch_execnz .LBB428_640
	s_branch .LBB428_641
.LBB428_672:                            ;   in Loop: Header=BB428_566 Depth=2
	global_load_u8 v94, v[20:21], off
	v_dual_mov_b32 v22, 0x7f :: v_dual_mov_b32 v27, 0x7f
	v_dual_mov_b32 v96, 0x7f :: v_dual_mov_b32 v25, 0x7f
	;; [unrolled: 1-line block ×3, first 2 shown]
	v_mov_b32_e32 v24, 0x7f
	s_wait_alu 0xfffe
	s_or_b32 exec_lo, exec_lo, s15
	s_delay_alu instid0(SALU_CYCLE_1)
	s_mov_b32 s15, exec_lo
	v_cmpx_gt_u32_e64 s42, v71
	s_cbranch_execz .LBB428_571
.LBB428_673:                            ;   in Loop: Header=BB428_566 Depth=2
	global_load_u8 v96, v[20:21], off offset:32
	s_wait_alu 0xfffe
	s_or_b32 exec_lo, exec_lo, s15
	s_delay_alu instid0(SALU_CYCLE_1)
	s_mov_b32 s15, exec_lo
	v_cmpx_gt_u32_e64 s42, v72
	s_cbranch_execz .LBB428_572
.LBB428_674:                            ;   in Loop: Header=BB428_566 Depth=2
	global_load_u8 v27, v[20:21], off offset:64
	s_wait_alu 0xfffe
	s_or_b32 exec_lo, exec_lo, s15
	s_delay_alu instid0(SALU_CYCLE_1)
	s_mov_b32 s15, exec_lo
	v_cmpx_gt_u32_e64 s42, v73
	s_cbranch_execz .LBB428_573
.LBB428_675:                            ;   in Loop: Header=BB428_566 Depth=2
	global_load_u8 v26, v[20:21], off offset:96
	s_wait_alu 0xfffe
	s_or_b32 exec_lo, exec_lo, s15
	s_delay_alu instid0(SALU_CYCLE_1)
	s_mov_b32 s15, exec_lo
	v_cmpx_gt_u32_e64 s42, v74
	s_cbranch_execz .LBB428_574
.LBB428_676:                            ;   in Loop: Header=BB428_566 Depth=2
	global_load_u8 v25, v[20:21], off offset:128
	s_wait_alu 0xfffe
	s_or_b32 exec_lo, exec_lo, s15
	s_delay_alu instid0(SALU_CYCLE_1)
	s_mov_b32 s15, exec_lo
	v_cmpx_gt_u32_e64 s42, v75
	s_cbranch_execz .LBB428_575
.LBB428_677:                            ;   in Loop: Header=BB428_566 Depth=2
	global_load_u8 v24, v[20:21], off offset:160
	s_wait_alu 0xfffe
	s_or_b32 exec_lo, exec_lo, s15
	s_delay_alu instid0(SALU_CYCLE_1)
	s_mov_b32 s15, exec_lo
	v_cmpx_gt_u32_e64 s42, v76
	s_cbranch_execnz .LBB428_576
	s_branch .LBB428_577
.LBB428_678:
	s_endpgm
	.section	.rodata,"a",@progbits
	.p2align	6, 0x0
	.amdhsa_kernel _ZN7rocprim17ROCPRIM_400000_NS6detail17trampoline_kernelINS0_14default_configENS1_36segmented_radix_sort_config_selectorIalEEZNS1_25segmented_radix_sort_implIS3_Lb0EPKaPaPKlPlN2at6native12_GLOBAL__N_18offset_tEEE10hipError_tPvRmT1_PNSt15iterator_traitsISK_E10value_typeET2_T3_PNSL_ISQ_E10value_typeET4_jRbjT5_SW_jjP12ihipStream_tbEUlT_E2_NS1_11comp_targetILNS1_3genE10ELNS1_11target_archE1201ELNS1_3gpuE5ELNS1_3repE0EEENS1_30default_config_static_selectorELNS0_4arch9wavefront6targetE0EEEvSK_
		.amdhsa_group_segment_fixed_size 17440
		.amdhsa_private_segment_fixed_size 0
		.amdhsa_kernarg_size 336
		.amdhsa_user_sgpr_count 2
		.amdhsa_user_sgpr_dispatch_ptr 0
		.amdhsa_user_sgpr_queue_ptr 0
		.amdhsa_user_sgpr_kernarg_segment_ptr 1
		.amdhsa_user_sgpr_dispatch_id 0
		.amdhsa_user_sgpr_private_segment_size 0
		.amdhsa_wavefront_size32 1
		.amdhsa_uses_dynamic_stack 0
		.amdhsa_enable_private_segment 0
		.amdhsa_system_sgpr_workgroup_id_x 1
		.amdhsa_system_sgpr_workgroup_id_y 1
		.amdhsa_system_sgpr_workgroup_id_z 0
		.amdhsa_system_sgpr_workgroup_info 0
		.amdhsa_system_vgpr_workitem_id 2
		.amdhsa_next_free_vgpr 197
		.amdhsa_next_free_sgpr 50
		.amdhsa_reserve_vcc 1
		.amdhsa_float_round_mode_32 0
		.amdhsa_float_round_mode_16_64 0
		.amdhsa_float_denorm_mode_32 3
		.amdhsa_float_denorm_mode_16_64 3
		.amdhsa_fp16_overflow 0
		.amdhsa_workgroup_processor_mode 1
		.amdhsa_memory_ordered 1
		.amdhsa_forward_progress 1
		.amdhsa_inst_pref_size 255
		.amdhsa_round_robin_scheduling 0
		.amdhsa_exception_fp_ieee_invalid_op 0
		.amdhsa_exception_fp_denorm_src 0
		.amdhsa_exception_fp_ieee_div_zero 0
		.amdhsa_exception_fp_ieee_overflow 0
		.amdhsa_exception_fp_ieee_underflow 0
		.amdhsa_exception_fp_ieee_inexact 0
		.amdhsa_exception_int_div_zero 0
	.end_amdhsa_kernel
	.section	.text._ZN7rocprim17ROCPRIM_400000_NS6detail17trampoline_kernelINS0_14default_configENS1_36segmented_radix_sort_config_selectorIalEEZNS1_25segmented_radix_sort_implIS3_Lb0EPKaPaPKlPlN2at6native12_GLOBAL__N_18offset_tEEE10hipError_tPvRmT1_PNSt15iterator_traitsISK_E10value_typeET2_T3_PNSL_ISQ_E10value_typeET4_jRbjT5_SW_jjP12ihipStream_tbEUlT_E2_NS1_11comp_targetILNS1_3genE10ELNS1_11target_archE1201ELNS1_3gpuE5ELNS1_3repE0EEENS1_30default_config_static_selectorELNS0_4arch9wavefront6targetE0EEEvSK_,"axG",@progbits,_ZN7rocprim17ROCPRIM_400000_NS6detail17trampoline_kernelINS0_14default_configENS1_36segmented_radix_sort_config_selectorIalEEZNS1_25segmented_radix_sort_implIS3_Lb0EPKaPaPKlPlN2at6native12_GLOBAL__N_18offset_tEEE10hipError_tPvRmT1_PNSt15iterator_traitsISK_E10value_typeET2_T3_PNSL_ISQ_E10value_typeET4_jRbjT5_SW_jjP12ihipStream_tbEUlT_E2_NS1_11comp_targetILNS1_3genE10ELNS1_11target_archE1201ELNS1_3gpuE5ELNS1_3repE0EEENS1_30default_config_static_selectorELNS0_4arch9wavefront6targetE0EEEvSK_,comdat
.Lfunc_end428:
	.size	_ZN7rocprim17ROCPRIM_400000_NS6detail17trampoline_kernelINS0_14default_configENS1_36segmented_radix_sort_config_selectorIalEEZNS1_25segmented_radix_sort_implIS3_Lb0EPKaPaPKlPlN2at6native12_GLOBAL__N_18offset_tEEE10hipError_tPvRmT1_PNSt15iterator_traitsISK_E10value_typeET2_T3_PNSL_ISQ_E10value_typeET4_jRbjT5_SW_jjP12ihipStream_tbEUlT_E2_NS1_11comp_targetILNS1_3genE10ELNS1_11target_archE1201ELNS1_3gpuE5ELNS1_3repE0EEENS1_30default_config_static_selectorELNS0_4arch9wavefront6targetE0EEEvSK_, .Lfunc_end428-_ZN7rocprim17ROCPRIM_400000_NS6detail17trampoline_kernelINS0_14default_configENS1_36segmented_radix_sort_config_selectorIalEEZNS1_25segmented_radix_sort_implIS3_Lb0EPKaPaPKlPlN2at6native12_GLOBAL__N_18offset_tEEE10hipError_tPvRmT1_PNSt15iterator_traitsISK_E10value_typeET2_T3_PNSL_ISQ_E10value_typeET4_jRbjT5_SW_jjP12ihipStream_tbEUlT_E2_NS1_11comp_targetILNS1_3genE10ELNS1_11target_archE1201ELNS1_3gpuE5ELNS1_3repE0EEENS1_30default_config_static_selectorELNS0_4arch9wavefront6targetE0EEEvSK_
                                        ; -- End function
	.set _ZN7rocprim17ROCPRIM_400000_NS6detail17trampoline_kernelINS0_14default_configENS1_36segmented_radix_sort_config_selectorIalEEZNS1_25segmented_radix_sort_implIS3_Lb0EPKaPaPKlPlN2at6native12_GLOBAL__N_18offset_tEEE10hipError_tPvRmT1_PNSt15iterator_traitsISK_E10value_typeET2_T3_PNSL_ISQ_E10value_typeET4_jRbjT5_SW_jjP12ihipStream_tbEUlT_E2_NS1_11comp_targetILNS1_3genE10ELNS1_11target_archE1201ELNS1_3gpuE5ELNS1_3repE0EEENS1_30default_config_static_selectorELNS0_4arch9wavefront6targetE0EEEvSK_.num_vgpr, max(133, .L_ZN7rocprim17ROCPRIM_400000_NS6detail26segmented_warp_sort_helperINS1_20WarpSortHelperConfigILj8ELj4ELj256EEEalLi256ELb0EvE4sortIPKaPaPKlPlEEvT_T0_T1_T2_jjjjRNS5_12storage_typeE.num_vgpr, .L_ZN7rocprim17ROCPRIM_400000_NS6detail40segmented_radix_sort_single_block_helperIalLj256ELj8ELb0EE4sortIPKaPaPKlPlEEbT_T0_T1_T2_jjjjRNS3_12storage_typeE.num_vgpr)
	.set _ZN7rocprim17ROCPRIM_400000_NS6detail17trampoline_kernelINS0_14default_configENS1_36segmented_radix_sort_config_selectorIalEEZNS1_25segmented_radix_sort_implIS3_Lb0EPKaPaPKlPlN2at6native12_GLOBAL__N_18offset_tEEE10hipError_tPvRmT1_PNSt15iterator_traitsISK_E10value_typeET2_T3_PNSL_ISQ_E10value_typeET4_jRbjT5_SW_jjP12ihipStream_tbEUlT_E2_NS1_11comp_targetILNS1_3genE10ELNS1_11target_archE1201ELNS1_3gpuE5ELNS1_3repE0EEENS1_30default_config_static_selectorELNS0_4arch9wavefront6targetE0EEEvSK_.num_agpr, max(0, .L_ZN7rocprim17ROCPRIM_400000_NS6detail26segmented_warp_sort_helperINS1_20WarpSortHelperConfigILj8ELj4ELj256EEEalLi256ELb0EvE4sortIPKaPaPKlPlEEvT_T0_T1_T2_jjjjRNS5_12storage_typeE.num_agpr, .L_ZN7rocprim17ROCPRIM_400000_NS6detail40segmented_radix_sort_single_block_helperIalLj256ELj8ELb0EE4sortIPKaPaPKlPlEEbT_T0_T1_T2_jjjjRNS3_12storage_typeE.num_agpr)
	.set _ZN7rocprim17ROCPRIM_400000_NS6detail17trampoline_kernelINS0_14default_configENS1_36segmented_radix_sort_config_selectorIalEEZNS1_25segmented_radix_sort_implIS3_Lb0EPKaPaPKlPlN2at6native12_GLOBAL__N_18offset_tEEE10hipError_tPvRmT1_PNSt15iterator_traitsISK_E10value_typeET2_T3_PNSL_ISQ_E10value_typeET4_jRbjT5_SW_jjP12ihipStream_tbEUlT_E2_NS1_11comp_targetILNS1_3genE10ELNS1_11target_archE1201ELNS1_3gpuE5ELNS1_3repE0EEENS1_30default_config_static_selectorELNS0_4arch9wavefront6targetE0EEEvSK_.numbered_sgpr, max(50, .L_ZN7rocprim17ROCPRIM_400000_NS6detail26segmented_warp_sort_helperINS1_20WarpSortHelperConfigILj8ELj4ELj256EEEalLi256ELb0EvE4sortIPKaPaPKlPlEEvT_T0_T1_T2_jjjjRNS5_12storage_typeE.numbered_sgpr, .L_ZN7rocprim17ROCPRIM_400000_NS6detail40segmented_radix_sort_single_block_helperIalLj256ELj8ELb0EE4sortIPKaPaPKlPlEEbT_T0_T1_T2_jjjjRNS3_12storage_typeE.numbered_sgpr)
	.set _ZN7rocprim17ROCPRIM_400000_NS6detail17trampoline_kernelINS0_14default_configENS1_36segmented_radix_sort_config_selectorIalEEZNS1_25segmented_radix_sort_implIS3_Lb0EPKaPaPKlPlN2at6native12_GLOBAL__N_18offset_tEEE10hipError_tPvRmT1_PNSt15iterator_traitsISK_E10value_typeET2_T3_PNSL_ISQ_E10value_typeET4_jRbjT5_SW_jjP12ihipStream_tbEUlT_E2_NS1_11comp_targetILNS1_3genE10ELNS1_11target_archE1201ELNS1_3gpuE5ELNS1_3repE0EEENS1_30default_config_static_selectorELNS0_4arch9wavefront6targetE0EEEvSK_.num_named_barrier, max(0, .L_ZN7rocprim17ROCPRIM_400000_NS6detail26segmented_warp_sort_helperINS1_20WarpSortHelperConfigILj8ELj4ELj256EEEalLi256ELb0EvE4sortIPKaPaPKlPlEEvT_T0_T1_T2_jjjjRNS5_12storage_typeE.num_named_barrier, .L_ZN7rocprim17ROCPRIM_400000_NS6detail40segmented_radix_sort_single_block_helperIalLj256ELj8ELb0EE4sortIPKaPaPKlPlEEbT_T0_T1_T2_jjjjRNS3_12storage_typeE.num_named_barrier)
	.set _ZN7rocprim17ROCPRIM_400000_NS6detail17trampoline_kernelINS0_14default_configENS1_36segmented_radix_sort_config_selectorIalEEZNS1_25segmented_radix_sort_implIS3_Lb0EPKaPaPKlPlN2at6native12_GLOBAL__N_18offset_tEEE10hipError_tPvRmT1_PNSt15iterator_traitsISK_E10value_typeET2_T3_PNSL_ISQ_E10value_typeET4_jRbjT5_SW_jjP12ihipStream_tbEUlT_E2_NS1_11comp_targetILNS1_3genE10ELNS1_11target_archE1201ELNS1_3gpuE5ELNS1_3repE0EEENS1_30default_config_static_selectorELNS0_4arch9wavefront6targetE0EEEvSK_.private_seg_size, 0+max(.L_ZN7rocprim17ROCPRIM_400000_NS6detail26segmented_warp_sort_helperINS1_20WarpSortHelperConfigILj8ELj4ELj256EEEalLi256ELb0EvE4sortIPKaPaPKlPlEEvT_T0_T1_T2_jjjjRNS5_12storage_typeE.private_seg_size, .L_ZN7rocprim17ROCPRIM_400000_NS6detail40segmented_radix_sort_single_block_helperIalLj256ELj8ELb0EE4sortIPKaPaPKlPlEEbT_T0_T1_T2_jjjjRNS3_12storage_typeE.private_seg_size)
	.set _ZN7rocprim17ROCPRIM_400000_NS6detail17trampoline_kernelINS0_14default_configENS1_36segmented_radix_sort_config_selectorIalEEZNS1_25segmented_radix_sort_implIS3_Lb0EPKaPaPKlPlN2at6native12_GLOBAL__N_18offset_tEEE10hipError_tPvRmT1_PNSt15iterator_traitsISK_E10value_typeET2_T3_PNSL_ISQ_E10value_typeET4_jRbjT5_SW_jjP12ihipStream_tbEUlT_E2_NS1_11comp_targetILNS1_3genE10ELNS1_11target_archE1201ELNS1_3gpuE5ELNS1_3repE0EEENS1_30default_config_static_selectorELNS0_4arch9wavefront6targetE0EEEvSK_.uses_vcc, or(1, .L_ZN7rocprim17ROCPRIM_400000_NS6detail26segmented_warp_sort_helperINS1_20WarpSortHelperConfigILj8ELj4ELj256EEEalLi256ELb0EvE4sortIPKaPaPKlPlEEvT_T0_T1_T2_jjjjRNS5_12storage_typeE.uses_vcc, .L_ZN7rocprim17ROCPRIM_400000_NS6detail40segmented_radix_sort_single_block_helperIalLj256ELj8ELb0EE4sortIPKaPaPKlPlEEbT_T0_T1_T2_jjjjRNS3_12storage_typeE.uses_vcc)
	.set _ZN7rocprim17ROCPRIM_400000_NS6detail17trampoline_kernelINS0_14default_configENS1_36segmented_radix_sort_config_selectorIalEEZNS1_25segmented_radix_sort_implIS3_Lb0EPKaPaPKlPlN2at6native12_GLOBAL__N_18offset_tEEE10hipError_tPvRmT1_PNSt15iterator_traitsISK_E10value_typeET2_T3_PNSL_ISQ_E10value_typeET4_jRbjT5_SW_jjP12ihipStream_tbEUlT_E2_NS1_11comp_targetILNS1_3genE10ELNS1_11target_archE1201ELNS1_3gpuE5ELNS1_3repE0EEENS1_30default_config_static_selectorELNS0_4arch9wavefront6targetE0EEEvSK_.uses_flat_scratch, or(0, .L_ZN7rocprim17ROCPRIM_400000_NS6detail26segmented_warp_sort_helperINS1_20WarpSortHelperConfigILj8ELj4ELj256EEEalLi256ELb0EvE4sortIPKaPaPKlPlEEvT_T0_T1_T2_jjjjRNS5_12storage_typeE.uses_flat_scratch, .L_ZN7rocprim17ROCPRIM_400000_NS6detail40segmented_radix_sort_single_block_helperIalLj256ELj8ELb0EE4sortIPKaPaPKlPlEEbT_T0_T1_T2_jjjjRNS3_12storage_typeE.uses_flat_scratch)
	.set _ZN7rocprim17ROCPRIM_400000_NS6detail17trampoline_kernelINS0_14default_configENS1_36segmented_radix_sort_config_selectorIalEEZNS1_25segmented_radix_sort_implIS3_Lb0EPKaPaPKlPlN2at6native12_GLOBAL__N_18offset_tEEE10hipError_tPvRmT1_PNSt15iterator_traitsISK_E10value_typeET2_T3_PNSL_ISQ_E10value_typeET4_jRbjT5_SW_jjP12ihipStream_tbEUlT_E2_NS1_11comp_targetILNS1_3genE10ELNS1_11target_archE1201ELNS1_3gpuE5ELNS1_3repE0EEENS1_30default_config_static_selectorELNS0_4arch9wavefront6targetE0EEEvSK_.has_dyn_sized_stack, or(0, .L_ZN7rocprim17ROCPRIM_400000_NS6detail26segmented_warp_sort_helperINS1_20WarpSortHelperConfigILj8ELj4ELj256EEEalLi256ELb0EvE4sortIPKaPaPKlPlEEvT_T0_T1_T2_jjjjRNS5_12storage_typeE.has_dyn_sized_stack, .L_ZN7rocprim17ROCPRIM_400000_NS6detail40segmented_radix_sort_single_block_helperIalLj256ELj8ELb0EE4sortIPKaPaPKlPlEEbT_T0_T1_T2_jjjjRNS3_12storage_typeE.has_dyn_sized_stack)
	.set _ZN7rocprim17ROCPRIM_400000_NS6detail17trampoline_kernelINS0_14default_configENS1_36segmented_radix_sort_config_selectorIalEEZNS1_25segmented_radix_sort_implIS3_Lb0EPKaPaPKlPlN2at6native12_GLOBAL__N_18offset_tEEE10hipError_tPvRmT1_PNSt15iterator_traitsISK_E10value_typeET2_T3_PNSL_ISQ_E10value_typeET4_jRbjT5_SW_jjP12ihipStream_tbEUlT_E2_NS1_11comp_targetILNS1_3genE10ELNS1_11target_archE1201ELNS1_3gpuE5ELNS1_3repE0EEENS1_30default_config_static_selectorELNS0_4arch9wavefront6targetE0EEEvSK_.has_recursion, or(0, .L_ZN7rocprim17ROCPRIM_400000_NS6detail26segmented_warp_sort_helperINS1_20WarpSortHelperConfigILj8ELj4ELj256EEEalLi256ELb0EvE4sortIPKaPaPKlPlEEvT_T0_T1_T2_jjjjRNS5_12storage_typeE.has_recursion, .L_ZN7rocprim17ROCPRIM_400000_NS6detail40segmented_radix_sort_single_block_helperIalLj256ELj8ELb0EE4sortIPKaPaPKlPlEEbT_T0_T1_T2_jjjjRNS3_12storage_typeE.has_recursion)
	.set _ZN7rocprim17ROCPRIM_400000_NS6detail17trampoline_kernelINS0_14default_configENS1_36segmented_radix_sort_config_selectorIalEEZNS1_25segmented_radix_sort_implIS3_Lb0EPKaPaPKlPlN2at6native12_GLOBAL__N_18offset_tEEE10hipError_tPvRmT1_PNSt15iterator_traitsISK_E10value_typeET2_T3_PNSL_ISQ_E10value_typeET4_jRbjT5_SW_jjP12ihipStream_tbEUlT_E2_NS1_11comp_targetILNS1_3genE10ELNS1_11target_archE1201ELNS1_3gpuE5ELNS1_3repE0EEENS1_30default_config_static_selectorELNS0_4arch9wavefront6targetE0EEEvSK_.has_indirect_call, or(0, .L_ZN7rocprim17ROCPRIM_400000_NS6detail26segmented_warp_sort_helperINS1_20WarpSortHelperConfigILj8ELj4ELj256EEEalLi256ELb0EvE4sortIPKaPaPKlPlEEvT_T0_T1_T2_jjjjRNS5_12storage_typeE.has_indirect_call, .L_ZN7rocprim17ROCPRIM_400000_NS6detail40segmented_radix_sort_single_block_helperIalLj256ELj8ELb0EE4sortIPKaPaPKlPlEEbT_T0_T1_T2_jjjjRNS3_12storage_typeE.has_indirect_call)
	.section	.AMDGPU.csdata,"",@progbits
; Kernel info:
; codeLenInByte = 43572
; TotalNumSgprs: 52
; NumVgprs: 197
; ScratchSize: 0
; MemoryBound: 0
; FloatMode: 240
; IeeeMode: 1
; LDSByteSize: 17440 bytes/workgroup (compile time only)
; SGPRBlocks: 0
; VGPRBlocks: 24
; NumSGPRsForWavesPerEU: 52
; NumVGPRsForWavesPerEU: 197
; Occupancy: 7
; WaveLimiterHint : 1
; COMPUTE_PGM_RSRC2:SCRATCH_EN: 0
; COMPUTE_PGM_RSRC2:USER_SGPR: 2
; COMPUTE_PGM_RSRC2:TRAP_HANDLER: 0
; COMPUTE_PGM_RSRC2:TGID_X_EN: 1
; COMPUTE_PGM_RSRC2:TGID_Y_EN: 1
; COMPUTE_PGM_RSRC2:TGID_Z_EN: 0
; COMPUTE_PGM_RSRC2:TIDIG_COMP_CNT: 2
	.section	.text._ZN7rocprim17ROCPRIM_400000_NS6detail17trampoline_kernelINS0_14default_configENS1_36segmented_radix_sort_config_selectorIalEEZNS1_25segmented_radix_sort_implIS3_Lb0EPKaPaPKlPlN2at6native12_GLOBAL__N_18offset_tEEE10hipError_tPvRmT1_PNSt15iterator_traitsISK_E10value_typeET2_T3_PNSL_ISQ_E10value_typeET4_jRbjT5_SW_jjP12ihipStream_tbEUlT_E2_NS1_11comp_targetILNS1_3genE10ELNS1_11target_archE1200ELNS1_3gpuE4ELNS1_3repE0EEENS1_30default_config_static_selectorELNS0_4arch9wavefront6targetE0EEEvSK_,"axG",@progbits,_ZN7rocprim17ROCPRIM_400000_NS6detail17trampoline_kernelINS0_14default_configENS1_36segmented_radix_sort_config_selectorIalEEZNS1_25segmented_radix_sort_implIS3_Lb0EPKaPaPKlPlN2at6native12_GLOBAL__N_18offset_tEEE10hipError_tPvRmT1_PNSt15iterator_traitsISK_E10value_typeET2_T3_PNSL_ISQ_E10value_typeET4_jRbjT5_SW_jjP12ihipStream_tbEUlT_E2_NS1_11comp_targetILNS1_3genE10ELNS1_11target_archE1200ELNS1_3gpuE4ELNS1_3repE0EEENS1_30default_config_static_selectorELNS0_4arch9wavefront6targetE0EEEvSK_,comdat
	.globl	_ZN7rocprim17ROCPRIM_400000_NS6detail17trampoline_kernelINS0_14default_configENS1_36segmented_radix_sort_config_selectorIalEEZNS1_25segmented_radix_sort_implIS3_Lb0EPKaPaPKlPlN2at6native12_GLOBAL__N_18offset_tEEE10hipError_tPvRmT1_PNSt15iterator_traitsISK_E10value_typeET2_T3_PNSL_ISQ_E10value_typeET4_jRbjT5_SW_jjP12ihipStream_tbEUlT_E2_NS1_11comp_targetILNS1_3genE10ELNS1_11target_archE1200ELNS1_3gpuE4ELNS1_3repE0EEENS1_30default_config_static_selectorELNS0_4arch9wavefront6targetE0EEEvSK_ ; -- Begin function _ZN7rocprim17ROCPRIM_400000_NS6detail17trampoline_kernelINS0_14default_configENS1_36segmented_radix_sort_config_selectorIalEEZNS1_25segmented_radix_sort_implIS3_Lb0EPKaPaPKlPlN2at6native12_GLOBAL__N_18offset_tEEE10hipError_tPvRmT1_PNSt15iterator_traitsISK_E10value_typeET2_T3_PNSL_ISQ_E10value_typeET4_jRbjT5_SW_jjP12ihipStream_tbEUlT_E2_NS1_11comp_targetILNS1_3genE10ELNS1_11target_archE1200ELNS1_3gpuE4ELNS1_3repE0EEENS1_30default_config_static_selectorELNS0_4arch9wavefront6targetE0EEEvSK_
	.p2align	8
	.type	_ZN7rocprim17ROCPRIM_400000_NS6detail17trampoline_kernelINS0_14default_configENS1_36segmented_radix_sort_config_selectorIalEEZNS1_25segmented_radix_sort_implIS3_Lb0EPKaPaPKlPlN2at6native12_GLOBAL__N_18offset_tEEE10hipError_tPvRmT1_PNSt15iterator_traitsISK_E10value_typeET2_T3_PNSL_ISQ_E10value_typeET4_jRbjT5_SW_jjP12ihipStream_tbEUlT_E2_NS1_11comp_targetILNS1_3genE10ELNS1_11target_archE1200ELNS1_3gpuE4ELNS1_3repE0EEENS1_30default_config_static_selectorELNS0_4arch9wavefront6targetE0EEEvSK_,@function
_ZN7rocprim17ROCPRIM_400000_NS6detail17trampoline_kernelINS0_14default_configENS1_36segmented_radix_sort_config_selectorIalEEZNS1_25segmented_radix_sort_implIS3_Lb0EPKaPaPKlPlN2at6native12_GLOBAL__N_18offset_tEEE10hipError_tPvRmT1_PNSt15iterator_traitsISK_E10value_typeET2_T3_PNSL_ISQ_E10value_typeET4_jRbjT5_SW_jjP12ihipStream_tbEUlT_E2_NS1_11comp_targetILNS1_3genE10ELNS1_11target_archE1200ELNS1_3gpuE4ELNS1_3repE0EEENS1_30default_config_static_selectorELNS0_4arch9wavefront6targetE0EEEvSK_: ; @_ZN7rocprim17ROCPRIM_400000_NS6detail17trampoline_kernelINS0_14default_configENS1_36segmented_radix_sort_config_selectorIalEEZNS1_25segmented_radix_sort_implIS3_Lb0EPKaPaPKlPlN2at6native12_GLOBAL__N_18offset_tEEE10hipError_tPvRmT1_PNSt15iterator_traitsISK_E10value_typeET2_T3_PNSL_ISQ_E10value_typeET4_jRbjT5_SW_jjP12ihipStream_tbEUlT_E2_NS1_11comp_targetILNS1_3genE10ELNS1_11target_archE1200ELNS1_3gpuE4ELNS1_3repE0EEENS1_30default_config_static_selectorELNS0_4arch9wavefront6targetE0EEEvSK_
; %bb.0:
	.section	.rodata,"a",@progbits
	.p2align	6, 0x0
	.amdhsa_kernel _ZN7rocprim17ROCPRIM_400000_NS6detail17trampoline_kernelINS0_14default_configENS1_36segmented_radix_sort_config_selectorIalEEZNS1_25segmented_radix_sort_implIS3_Lb0EPKaPaPKlPlN2at6native12_GLOBAL__N_18offset_tEEE10hipError_tPvRmT1_PNSt15iterator_traitsISK_E10value_typeET2_T3_PNSL_ISQ_E10value_typeET4_jRbjT5_SW_jjP12ihipStream_tbEUlT_E2_NS1_11comp_targetILNS1_3genE10ELNS1_11target_archE1200ELNS1_3gpuE4ELNS1_3repE0EEENS1_30default_config_static_selectorELNS0_4arch9wavefront6targetE0EEEvSK_
		.amdhsa_group_segment_fixed_size 0
		.amdhsa_private_segment_fixed_size 0
		.amdhsa_kernarg_size 80
		.amdhsa_user_sgpr_count 2
		.amdhsa_user_sgpr_dispatch_ptr 0
		.amdhsa_user_sgpr_queue_ptr 0
		.amdhsa_user_sgpr_kernarg_segment_ptr 1
		.amdhsa_user_sgpr_dispatch_id 0
		.amdhsa_user_sgpr_private_segment_size 0
		.amdhsa_wavefront_size32 1
		.amdhsa_uses_dynamic_stack 0
		.amdhsa_enable_private_segment 0
		.amdhsa_system_sgpr_workgroup_id_x 1
		.amdhsa_system_sgpr_workgroup_id_y 0
		.amdhsa_system_sgpr_workgroup_id_z 0
		.amdhsa_system_sgpr_workgroup_info 0
		.amdhsa_system_vgpr_workitem_id 0
		.amdhsa_next_free_vgpr 1
		.amdhsa_next_free_sgpr 1
		.amdhsa_reserve_vcc 0
		.amdhsa_float_round_mode_32 0
		.amdhsa_float_round_mode_16_64 0
		.amdhsa_float_denorm_mode_32 3
		.amdhsa_float_denorm_mode_16_64 3
		.amdhsa_fp16_overflow 0
		.amdhsa_workgroup_processor_mode 1
		.amdhsa_memory_ordered 1
		.amdhsa_forward_progress 1
		.amdhsa_inst_pref_size 0
		.amdhsa_round_robin_scheduling 0
		.amdhsa_exception_fp_ieee_invalid_op 0
		.amdhsa_exception_fp_denorm_src 0
		.amdhsa_exception_fp_ieee_div_zero 0
		.amdhsa_exception_fp_ieee_overflow 0
		.amdhsa_exception_fp_ieee_underflow 0
		.amdhsa_exception_fp_ieee_inexact 0
		.amdhsa_exception_int_div_zero 0
	.end_amdhsa_kernel
	.section	.text._ZN7rocprim17ROCPRIM_400000_NS6detail17trampoline_kernelINS0_14default_configENS1_36segmented_radix_sort_config_selectorIalEEZNS1_25segmented_radix_sort_implIS3_Lb0EPKaPaPKlPlN2at6native12_GLOBAL__N_18offset_tEEE10hipError_tPvRmT1_PNSt15iterator_traitsISK_E10value_typeET2_T3_PNSL_ISQ_E10value_typeET4_jRbjT5_SW_jjP12ihipStream_tbEUlT_E2_NS1_11comp_targetILNS1_3genE10ELNS1_11target_archE1200ELNS1_3gpuE4ELNS1_3repE0EEENS1_30default_config_static_selectorELNS0_4arch9wavefront6targetE0EEEvSK_,"axG",@progbits,_ZN7rocprim17ROCPRIM_400000_NS6detail17trampoline_kernelINS0_14default_configENS1_36segmented_radix_sort_config_selectorIalEEZNS1_25segmented_radix_sort_implIS3_Lb0EPKaPaPKlPlN2at6native12_GLOBAL__N_18offset_tEEE10hipError_tPvRmT1_PNSt15iterator_traitsISK_E10value_typeET2_T3_PNSL_ISQ_E10value_typeET4_jRbjT5_SW_jjP12ihipStream_tbEUlT_E2_NS1_11comp_targetILNS1_3genE10ELNS1_11target_archE1200ELNS1_3gpuE4ELNS1_3repE0EEENS1_30default_config_static_selectorELNS0_4arch9wavefront6targetE0EEEvSK_,comdat
.Lfunc_end429:
	.size	_ZN7rocprim17ROCPRIM_400000_NS6detail17trampoline_kernelINS0_14default_configENS1_36segmented_radix_sort_config_selectorIalEEZNS1_25segmented_radix_sort_implIS3_Lb0EPKaPaPKlPlN2at6native12_GLOBAL__N_18offset_tEEE10hipError_tPvRmT1_PNSt15iterator_traitsISK_E10value_typeET2_T3_PNSL_ISQ_E10value_typeET4_jRbjT5_SW_jjP12ihipStream_tbEUlT_E2_NS1_11comp_targetILNS1_3genE10ELNS1_11target_archE1200ELNS1_3gpuE4ELNS1_3repE0EEENS1_30default_config_static_selectorELNS0_4arch9wavefront6targetE0EEEvSK_, .Lfunc_end429-_ZN7rocprim17ROCPRIM_400000_NS6detail17trampoline_kernelINS0_14default_configENS1_36segmented_radix_sort_config_selectorIalEEZNS1_25segmented_radix_sort_implIS3_Lb0EPKaPaPKlPlN2at6native12_GLOBAL__N_18offset_tEEE10hipError_tPvRmT1_PNSt15iterator_traitsISK_E10value_typeET2_T3_PNSL_ISQ_E10value_typeET4_jRbjT5_SW_jjP12ihipStream_tbEUlT_E2_NS1_11comp_targetILNS1_3genE10ELNS1_11target_archE1200ELNS1_3gpuE4ELNS1_3repE0EEENS1_30default_config_static_selectorELNS0_4arch9wavefront6targetE0EEEvSK_
                                        ; -- End function
	.set _ZN7rocprim17ROCPRIM_400000_NS6detail17trampoline_kernelINS0_14default_configENS1_36segmented_radix_sort_config_selectorIalEEZNS1_25segmented_radix_sort_implIS3_Lb0EPKaPaPKlPlN2at6native12_GLOBAL__N_18offset_tEEE10hipError_tPvRmT1_PNSt15iterator_traitsISK_E10value_typeET2_T3_PNSL_ISQ_E10value_typeET4_jRbjT5_SW_jjP12ihipStream_tbEUlT_E2_NS1_11comp_targetILNS1_3genE10ELNS1_11target_archE1200ELNS1_3gpuE4ELNS1_3repE0EEENS1_30default_config_static_selectorELNS0_4arch9wavefront6targetE0EEEvSK_.num_vgpr, 0
	.set _ZN7rocprim17ROCPRIM_400000_NS6detail17trampoline_kernelINS0_14default_configENS1_36segmented_radix_sort_config_selectorIalEEZNS1_25segmented_radix_sort_implIS3_Lb0EPKaPaPKlPlN2at6native12_GLOBAL__N_18offset_tEEE10hipError_tPvRmT1_PNSt15iterator_traitsISK_E10value_typeET2_T3_PNSL_ISQ_E10value_typeET4_jRbjT5_SW_jjP12ihipStream_tbEUlT_E2_NS1_11comp_targetILNS1_3genE10ELNS1_11target_archE1200ELNS1_3gpuE4ELNS1_3repE0EEENS1_30default_config_static_selectorELNS0_4arch9wavefront6targetE0EEEvSK_.num_agpr, 0
	.set _ZN7rocprim17ROCPRIM_400000_NS6detail17trampoline_kernelINS0_14default_configENS1_36segmented_radix_sort_config_selectorIalEEZNS1_25segmented_radix_sort_implIS3_Lb0EPKaPaPKlPlN2at6native12_GLOBAL__N_18offset_tEEE10hipError_tPvRmT1_PNSt15iterator_traitsISK_E10value_typeET2_T3_PNSL_ISQ_E10value_typeET4_jRbjT5_SW_jjP12ihipStream_tbEUlT_E2_NS1_11comp_targetILNS1_3genE10ELNS1_11target_archE1200ELNS1_3gpuE4ELNS1_3repE0EEENS1_30default_config_static_selectorELNS0_4arch9wavefront6targetE0EEEvSK_.numbered_sgpr, 0
	.set _ZN7rocprim17ROCPRIM_400000_NS6detail17trampoline_kernelINS0_14default_configENS1_36segmented_radix_sort_config_selectorIalEEZNS1_25segmented_radix_sort_implIS3_Lb0EPKaPaPKlPlN2at6native12_GLOBAL__N_18offset_tEEE10hipError_tPvRmT1_PNSt15iterator_traitsISK_E10value_typeET2_T3_PNSL_ISQ_E10value_typeET4_jRbjT5_SW_jjP12ihipStream_tbEUlT_E2_NS1_11comp_targetILNS1_3genE10ELNS1_11target_archE1200ELNS1_3gpuE4ELNS1_3repE0EEENS1_30default_config_static_selectorELNS0_4arch9wavefront6targetE0EEEvSK_.num_named_barrier, 0
	.set _ZN7rocprim17ROCPRIM_400000_NS6detail17trampoline_kernelINS0_14default_configENS1_36segmented_radix_sort_config_selectorIalEEZNS1_25segmented_radix_sort_implIS3_Lb0EPKaPaPKlPlN2at6native12_GLOBAL__N_18offset_tEEE10hipError_tPvRmT1_PNSt15iterator_traitsISK_E10value_typeET2_T3_PNSL_ISQ_E10value_typeET4_jRbjT5_SW_jjP12ihipStream_tbEUlT_E2_NS1_11comp_targetILNS1_3genE10ELNS1_11target_archE1200ELNS1_3gpuE4ELNS1_3repE0EEENS1_30default_config_static_selectorELNS0_4arch9wavefront6targetE0EEEvSK_.private_seg_size, 0
	.set _ZN7rocprim17ROCPRIM_400000_NS6detail17trampoline_kernelINS0_14default_configENS1_36segmented_radix_sort_config_selectorIalEEZNS1_25segmented_radix_sort_implIS3_Lb0EPKaPaPKlPlN2at6native12_GLOBAL__N_18offset_tEEE10hipError_tPvRmT1_PNSt15iterator_traitsISK_E10value_typeET2_T3_PNSL_ISQ_E10value_typeET4_jRbjT5_SW_jjP12ihipStream_tbEUlT_E2_NS1_11comp_targetILNS1_3genE10ELNS1_11target_archE1200ELNS1_3gpuE4ELNS1_3repE0EEENS1_30default_config_static_selectorELNS0_4arch9wavefront6targetE0EEEvSK_.uses_vcc, 0
	.set _ZN7rocprim17ROCPRIM_400000_NS6detail17trampoline_kernelINS0_14default_configENS1_36segmented_radix_sort_config_selectorIalEEZNS1_25segmented_radix_sort_implIS3_Lb0EPKaPaPKlPlN2at6native12_GLOBAL__N_18offset_tEEE10hipError_tPvRmT1_PNSt15iterator_traitsISK_E10value_typeET2_T3_PNSL_ISQ_E10value_typeET4_jRbjT5_SW_jjP12ihipStream_tbEUlT_E2_NS1_11comp_targetILNS1_3genE10ELNS1_11target_archE1200ELNS1_3gpuE4ELNS1_3repE0EEENS1_30default_config_static_selectorELNS0_4arch9wavefront6targetE0EEEvSK_.uses_flat_scratch, 0
	.set _ZN7rocprim17ROCPRIM_400000_NS6detail17trampoline_kernelINS0_14default_configENS1_36segmented_radix_sort_config_selectorIalEEZNS1_25segmented_radix_sort_implIS3_Lb0EPKaPaPKlPlN2at6native12_GLOBAL__N_18offset_tEEE10hipError_tPvRmT1_PNSt15iterator_traitsISK_E10value_typeET2_T3_PNSL_ISQ_E10value_typeET4_jRbjT5_SW_jjP12ihipStream_tbEUlT_E2_NS1_11comp_targetILNS1_3genE10ELNS1_11target_archE1200ELNS1_3gpuE4ELNS1_3repE0EEENS1_30default_config_static_selectorELNS0_4arch9wavefront6targetE0EEEvSK_.has_dyn_sized_stack, 0
	.set _ZN7rocprim17ROCPRIM_400000_NS6detail17trampoline_kernelINS0_14default_configENS1_36segmented_radix_sort_config_selectorIalEEZNS1_25segmented_radix_sort_implIS3_Lb0EPKaPaPKlPlN2at6native12_GLOBAL__N_18offset_tEEE10hipError_tPvRmT1_PNSt15iterator_traitsISK_E10value_typeET2_T3_PNSL_ISQ_E10value_typeET4_jRbjT5_SW_jjP12ihipStream_tbEUlT_E2_NS1_11comp_targetILNS1_3genE10ELNS1_11target_archE1200ELNS1_3gpuE4ELNS1_3repE0EEENS1_30default_config_static_selectorELNS0_4arch9wavefront6targetE0EEEvSK_.has_recursion, 0
	.set _ZN7rocprim17ROCPRIM_400000_NS6detail17trampoline_kernelINS0_14default_configENS1_36segmented_radix_sort_config_selectorIalEEZNS1_25segmented_radix_sort_implIS3_Lb0EPKaPaPKlPlN2at6native12_GLOBAL__N_18offset_tEEE10hipError_tPvRmT1_PNSt15iterator_traitsISK_E10value_typeET2_T3_PNSL_ISQ_E10value_typeET4_jRbjT5_SW_jjP12ihipStream_tbEUlT_E2_NS1_11comp_targetILNS1_3genE10ELNS1_11target_archE1200ELNS1_3gpuE4ELNS1_3repE0EEENS1_30default_config_static_selectorELNS0_4arch9wavefront6targetE0EEEvSK_.has_indirect_call, 0
	.section	.AMDGPU.csdata,"",@progbits
; Kernel info:
; codeLenInByte = 0
; TotalNumSgprs: 0
; NumVgprs: 0
; ScratchSize: 0
; MemoryBound: 0
; FloatMode: 240
; IeeeMode: 1
; LDSByteSize: 0 bytes/workgroup (compile time only)
; SGPRBlocks: 0
; VGPRBlocks: 0
; NumSGPRsForWavesPerEU: 1
; NumVGPRsForWavesPerEU: 1
; Occupancy: 16
; WaveLimiterHint : 0
; COMPUTE_PGM_RSRC2:SCRATCH_EN: 0
; COMPUTE_PGM_RSRC2:USER_SGPR: 2
; COMPUTE_PGM_RSRC2:TRAP_HANDLER: 0
; COMPUTE_PGM_RSRC2:TGID_X_EN: 1
; COMPUTE_PGM_RSRC2:TGID_Y_EN: 0
; COMPUTE_PGM_RSRC2:TGID_Z_EN: 0
; COMPUTE_PGM_RSRC2:TIDIG_COMP_CNT: 0
	.section	.text._ZN7rocprim17ROCPRIM_400000_NS6detail17trampoline_kernelINS0_14default_configENS1_36segmented_radix_sort_config_selectorIalEEZNS1_25segmented_radix_sort_implIS3_Lb0EPKaPaPKlPlN2at6native12_GLOBAL__N_18offset_tEEE10hipError_tPvRmT1_PNSt15iterator_traitsISK_E10value_typeET2_T3_PNSL_ISQ_E10value_typeET4_jRbjT5_SW_jjP12ihipStream_tbEUlT_E2_NS1_11comp_targetILNS1_3genE9ELNS1_11target_archE1100ELNS1_3gpuE3ELNS1_3repE0EEENS1_30default_config_static_selectorELNS0_4arch9wavefront6targetE0EEEvSK_,"axG",@progbits,_ZN7rocprim17ROCPRIM_400000_NS6detail17trampoline_kernelINS0_14default_configENS1_36segmented_radix_sort_config_selectorIalEEZNS1_25segmented_radix_sort_implIS3_Lb0EPKaPaPKlPlN2at6native12_GLOBAL__N_18offset_tEEE10hipError_tPvRmT1_PNSt15iterator_traitsISK_E10value_typeET2_T3_PNSL_ISQ_E10value_typeET4_jRbjT5_SW_jjP12ihipStream_tbEUlT_E2_NS1_11comp_targetILNS1_3genE9ELNS1_11target_archE1100ELNS1_3gpuE3ELNS1_3repE0EEENS1_30default_config_static_selectorELNS0_4arch9wavefront6targetE0EEEvSK_,comdat
	.globl	_ZN7rocprim17ROCPRIM_400000_NS6detail17trampoline_kernelINS0_14default_configENS1_36segmented_radix_sort_config_selectorIalEEZNS1_25segmented_radix_sort_implIS3_Lb0EPKaPaPKlPlN2at6native12_GLOBAL__N_18offset_tEEE10hipError_tPvRmT1_PNSt15iterator_traitsISK_E10value_typeET2_T3_PNSL_ISQ_E10value_typeET4_jRbjT5_SW_jjP12ihipStream_tbEUlT_E2_NS1_11comp_targetILNS1_3genE9ELNS1_11target_archE1100ELNS1_3gpuE3ELNS1_3repE0EEENS1_30default_config_static_selectorELNS0_4arch9wavefront6targetE0EEEvSK_ ; -- Begin function _ZN7rocprim17ROCPRIM_400000_NS6detail17trampoline_kernelINS0_14default_configENS1_36segmented_radix_sort_config_selectorIalEEZNS1_25segmented_radix_sort_implIS3_Lb0EPKaPaPKlPlN2at6native12_GLOBAL__N_18offset_tEEE10hipError_tPvRmT1_PNSt15iterator_traitsISK_E10value_typeET2_T3_PNSL_ISQ_E10value_typeET4_jRbjT5_SW_jjP12ihipStream_tbEUlT_E2_NS1_11comp_targetILNS1_3genE9ELNS1_11target_archE1100ELNS1_3gpuE3ELNS1_3repE0EEENS1_30default_config_static_selectorELNS0_4arch9wavefront6targetE0EEEvSK_
	.p2align	8
	.type	_ZN7rocprim17ROCPRIM_400000_NS6detail17trampoline_kernelINS0_14default_configENS1_36segmented_radix_sort_config_selectorIalEEZNS1_25segmented_radix_sort_implIS3_Lb0EPKaPaPKlPlN2at6native12_GLOBAL__N_18offset_tEEE10hipError_tPvRmT1_PNSt15iterator_traitsISK_E10value_typeET2_T3_PNSL_ISQ_E10value_typeET4_jRbjT5_SW_jjP12ihipStream_tbEUlT_E2_NS1_11comp_targetILNS1_3genE9ELNS1_11target_archE1100ELNS1_3gpuE3ELNS1_3repE0EEENS1_30default_config_static_selectorELNS0_4arch9wavefront6targetE0EEEvSK_,@function
_ZN7rocprim17ROCPRIM_400000_NS6detail17trampoline_kernelINS0_14default_configENS1_36segmented_radix_sort_config_selectorIalEEZNS1_25segmented_radix_sort_implIS3_Lb0EPKaPaPKlPlN2at6native12_GLOBAL__N_18offset_tEEE10hipError_tPvRmT1_PNSt15iterator_traitsISK_E10value_typeET2_T3_PNSL_ISQ_E10value_typeET4_jRbjT5_SW_jjP12ihipStream_tbEUlT_E2_NS1_11comp_targetILNS1_3genE9ELNS1_11target_archE1100ELNS1_3gpuE3ELNS1_3repE0EEENS1_30default_config_static_selectorELNS0_4arch9wavefront6targetE0EEEvSK_: ; @_ZN7rocprim17ROCPRIM_400000_NS6detail17trampoline_kernelINS0_14default_configENS1_36segmented_radix_sort_config_selectorIalEEZNS1_25segmented_radix_sort_implIS3_Lb0EPKaPaPKlPlN2at6native12_GLOBAL__N_18offset_tEEE10hipError_tPvRmT1_PNSt15iterator_traitsISK_E10value_typeET2_T3_PNSL_ISQ_E10value_typeET4_jRbjT5_SW_jjP12ihipStream_tbEUlT_E2_NS1_11comp_targetILNS1_3genE9ELNS1_11target_archE1100ELNS1_3gpuE3ELNS1_3repE0EEENS1_30default_config_static_selectorELNS0_4arch9wavefront6targetE0EEEvSK_
; %bb.0:
	.section	.rodata,"a",@progbits
	.p2align	6, 0x0
	.amdhsa_kernel _ZN7rocprim17ROCPRIM_400000_NS6detail17trampoline_kernelINS0_14default_configENS1_36segmented_radix_sort_config_selectorIalEEZNS1_25segmented_radix_sort_implIS3_Lb0EPKaPaPKlPlN2at6native12_GLOBAL__N_18offset_tEEE10hipError_tPvRmT1_PNSt15iterator_traitsISK_E10value_typeET2_T3_PNSL_ISQ_E10value_typeET4_jRbjT5_SW_jjP12ihipStream_tbEUlT_E2_NS1_11comp_targetILNS1_3genE9ELNS1_11target_archE1100ELNS1_3gpuE3ELNS1_3repE0EEENS1_30default_config_static_selectorELNS0_4arch9wavefront6targetE0EEEvSK_
		.amdhsa_group_segment_fixed_size 0
		.amdhsa_private_segment_fixed_size 0
		.amdhsa_kernarg_size 80
		.amdhsa_user_sgpr_count 2
		.amdhsa_user_sgpr_dispatch_ptr 0
		.amdhsa_user_sgpr_queue_ptr 0
		.amdhsa_user_sgpr_kernarg_segment_ptr 1
		.amdhsa_user_sgpr_dispatch_id 0
		.amdhsa_user_sgpr_private_segment_size 0
		.amdhsa_wavefront_size32 1
		.amdhsa_uses_dynamic_stack 0
		.amdhsa_enable_private_segment 0
		.amdhsa_system_sgpr_workgroup_id_x 1
		.amdhsa_system_sgpr_workgroup_id_y 0
		.amdhsa_system_sgpr_workgroup_id_z 0
		.amdhsa_system_sgpr_workgroup_info 0
		.amdhsa_system_vgpr_workitem_id 0
		.amdhsa_next_free_vgpr 1
		.amdhsa_next_free_sgpr 1
		.amdhsa_reserve_vcc 0
		.amdhsa_float_round_mode_32 0
		.amdhsa_float_round_mode_16_64 0
		.amdhsa_float_denorm_mode_32 3
		.amdhsa_float_denorm_mode_16_64 3
		.amdhsa_fp16_overflow 0
		.amdhsa_workgroup_processor_mode 1
		.amdhsa_memory_ordered 1
		.amdhsa_forward_progress 1
		.amdhsa_inst_pref_size 0
		.amdhsa_round_robin_scheduling 0
		.amdhsa_exception_fp_ieee_invalid_op 0
		.amdhsa_exception_fp_denorm_src 0
		.amdhsa_exception_fp_ieee_div_zero 0
		.amdhsa_exception_fp_ieee_overflow 0
		.amdhsa_exception_fp_ieee_underflow 0
		.amdhsa_exception_fp_ieee_inexact 0
		.amdhsa_exception_int_div_zero 0
	.end_amdhsa_kernel
	.section	.text._ZN7rocprim17ROCPRIM_400000_NS6detail17trampoline_kernelINS0_14default_configENS1_36segmented_radix_sort_config_selectorIalEEZNS1_25segmented_radix_sort_implIS3_Lb0EPKaPaPKlPlN2at6native12_GLOBAL__N_18offset_tEEE10hipError_tPvRmT1_PNSt15iterator_traitsISK_E10value_typeET2_T3_PNSL_ISQ_E10value_typeET4_jRbjT5_SW_jjP12ihipStream_tbEUlT_E2_NS1_11comp_targetILNS1_3genE9ELNS1_11target_archE1100ELNS1_3gpuE3ELNS1_3repE0EEENS1_30default_config_static_selectorELNS0_4arch9wavefront6targetE0EEEvSK_,"axG",@progbits,_ZN7rocprim17ROCPRIM_400000_NS6detail17trampoline_kernelINS0_14default_configENS1_36segmented_radix_sort_config_selectorIalEEZNS1_25segmented_radix_sort_implIS3_Lb0EPKaPaPKlPlN2at6native12_GLOBAL__N_18offset_tEEE10hipError_tPvRmT1_PNSt15iterator_traitsISK_E10value_typeET2_T3_PNSL_ISQ_E10value_typeET4_jRbjT5_SW_jjP12ihipStream_tbEUlT_E2_NS1_11comp_targetILNS1_3genE9ELNS1_11target_archE1100ELNS1_3gpuE3ELNS1_3repE0EEENS1_30default_config_static_selectorELNS0_4arch9wavefront6targetE0EEEvSK_,comdat
.Lfunc_end430:
	.size	_ZN7rocprim17ROCPRIM_400000_NS6detail17trampoline_kernelINS0_14default_configENS1_36segmented_radix_sort_config_selectorIalEEZNS1_25segmented_radix_sort_implIS3_Lb0EPKaPaPKlPlN2at6native12_GLOBAL__N_18offset_tEEE10hipError_tPvRmT1_PNSt15iterator_traitsISK_E10value_typeET2_T3_PNSL_ISQ_E10value_typeET4_jRbjT5_SW_jjP12ihipStream_tbEUlT_E2_NS1_11comp_targetILNS1_3genE9ELNS1_11target_archE1100ELNS1_3gpuE3ELNS1_3repE0EEENS1_30default_config_static_selectorELNS0_4arch9wavefront6targetE0EEEvSK_, .Lfunc_end430-_ZN7rocprim17ROCPRIM_400000_NS6detail17trampoline_kernelINS0_14default_configENS1_36segmented_radix_sort_config_selectorIalEEZNS1_25segmented_radix_sort_implIS3_Lb0EPKaPaPKlPlN2at6native12_GLOBAL__N_18offset_tEEE10hipError_tPvRmT1_PNSt15iterator_traitsISK_E10value_typeET2_T3_PNSL_ISQ_E10value_typeET4_jRbjT5_SW_jjP12ihipStream_tbEUlT_E2_NS1_11comp_targetILNS1_3genE9ELNS1_11target_archE1100ELNS1_3gpuE3ELNS1_3repE0EEENS1_30default_config_static_selectorELNS0_4arch9wavefront6targetE0EEEvSK_
                                        ; -- End function
	.set _ZN7rocprim17ROCPRIM_400000_NS6detail17trampoline_kernelINS0_14default_configENS1_36segmented_radix_sort_config_selectorIalEEZNS1_25segmented_radix_sort_implIS3_Lb0EPKaPaPKlPlN2at6native12_GLOBAL__N_18offset_tEEE10hipError_tPvRmT1_PNSt15iterator_traitsISK_E10value_typeET2_T3_PNSL_ISQ_E10value_typeET4_jRbjT5_SW_jjP12ihipStream_tbEUlT_E2_NS1_11comp_targetILNS1_3genE9ELNS1_11target_archE1100ELNS1_3gpuE3ELNS1_3repE0EEENS1_30default_config_static_selectorELNS0_4arch9wavefront6targetE0EEEvSK_.num_vgpr, 0
	.set _ZN7rocprim17ROCPRIM_400000_NS6detail17trampoline_kernelINS0_14default_configENS1_36segmented_radix_sort_config_selectorIalEEZNS1_25segmented_radix_sort_implIS3_Lb0EPKaPaPKlPlN2at6native12_GLOBAL__N_18offset_tEEE10hipError_tPvRmT1_PNSt15iterator_traitsISK_E10value_typeET2_T3_PNSL_ISQ_E10value_typeET4_jRbjT5_SW_jjP12ihipStream_tbEUlT_E2_NS1_11comp_targetILNS1_3genE9ELNS1_11target_archE1100ELNS1_3gpuE3ELNS1_3repE0EEENS1_30default_config_static_selectorELNS0_4arch9wavefront6targetE0EEEvSK_.num_agpr, 0
	.set _ZN7rocprim17ROCPRIM_400000_NS6detail17trampoline_kernelINS0_14default_configENS1_36segmented_radix_sort_config_selectorIalEEZNS1_25segmented_radix_sort_implIS3_Lb0EPKaPaPKlPlN2at6native12_GLOBAL__N_18offset_tEEE10hipError_tPvRmT1_PNSt15iterator_traitsISK_E10value_typeET2_T3_PNSL_ISQ_E10value_typeET4_jRbjT5_SW_jjP12ihipStream_tbEUlT_E2_NS1_11comp_targetILNS1_3genE9ELNS1_11target_archE1100ELNS1_3gpuE3ELNS1_3repE0EEENS1_30default_config_static_selectorELNS0_4arch9wavefront6targetE0EEEvSK_.numbered_sgpr, 0
	.set _ZN7rocprim17ROCPRIM_400000_NS6detail17trampoline_kernelINS0_14default_configENS1_36segmented_radix_sort_config_selectorIalEEZNS1_25segmented_radix_sort_implIS3_Lb0EPKaPaPKlPlN2at6native12_GLOBAL__N_18offset_tEEE10hipError_tPvRmT1_PNSt15iterator_traitsISK_E10value_typeET2_T3_PNSL_ISQ_E10value_typeET4_jRbjT5_SW_jjP12ihipStream_tbEUlT_E2_NS1_11comp_targetILNS1_3genE9ELNS1_11target_archE1100ELNS1_3gpuE3ELNS1_3repE0EEENS1_30default_config_static_selectorELNS0_4arch9wavefront6targetE0EEEvSK_.num_named_barrier, 0
	.set _ZN7rocprim17ROCPRIM_400000_NS6detail17trampoline_kernelINS0_14default_configENS1_36segmented_radix_sort_config_selectorIalEEZNS1_25segmented_radix_sort_implIS3_Lb0EPKaPaPKlPlN2at6native12_GLOBAL__N_18offset_tEEE10hipError_tPvRmT1_PNSt15iterator_traitsISK_E10value_typeET2_T3_PNSL_ISQ_E10value_typeET4_jRbjT5_SW_jjP12ihipStream_tbEUlT_E2_NS1_11comp_targetILNS1_3genE9ELNS1_11target_archE1100ELNS1_3gpuE3ELNS1_3repE0EEENS1_30default_config_static_selectorELNS0_4arch9wavefront6targetE0EEEvSK_.private_seg_size, 0
	.set _ZN7rocprim17ROCPRIM_400000_NS6detail17trampoline_kernelINS0_14default_configENS1_36segmented_radix_sort_config_selectorIalEEZNS1_25segmented_radix_sort_implIS3_Lb0EPKaPaPKlPlN2at6native12_GLOBAL__N_18offset_tEEE10hipError_tPvRmT1_PNSt15iterator_traitsISK_E10value_typeET2_T3_PNSL_ISQ_E10value_typeET4_jRbjT5_SW_jjP12ihipStream_tbEUlT_E2_NS1_11comp_targetILNS1_3genE9ELNS1_11target_archE1100ELNS1_3gpuE3ELNS1_3repE0EEENS1_30default_config_static_selectorELNS0_4arch9wavefront6targetE0EEEvSK_.uses_vcc, 0
	.set _ZN7rocprim17ROCPRIM_400000_NS6detail17trampoline_kernelINS0_14default_configENS1_36segmented_radix_sort_config_selectorIalEEZNS1_25segmented_radix_sort_implIS3_Lb0EPKaPaPKlPlN2at6native12_GLOBAL__N_18offset_tEEE10hipError_tPvRmT1_PNSt15iterator_traitsISK_E10value_typeET2_T3_PNSL_ISQ_E10value_typeET4_jRbjT5_SW_jjP12ihipStream_tbEUlT_E2_NS1_11comp_targetILNS1_3genE9ELNS1_11target_archE1100ELNS1_3gpuE3ELNS1_3repE0EEENS1_30default_config_static_selectorELNS0_4arch9wavefront6targetE0EEEvSK_.uses_flat_scratch, 0
	.set _ZN7rocprim17ROCPRIM_400000_NS6detail17trampoline_kernelINS0_14default_configENS1_36segmented_radix_sort_config_selectorIalEEZNS1_25segmented_radix_sort_implIS3_Lb0EPKaPaPKlPlN2at6native12_GLOBAL__N_18offset_tEEE10hipError_tPvRmT1_PNSt15iterator_traitsISK_E10value_typeET2_T3_PNSL_ISQ_E10value_typeET4_jRbjT5_SW_jjP12ihipStream_tbEUlT_E2_NS1_11comp_targetILNS1_3genE9ELNS1_11target_archE1100ELNS1_3gpuE3ELNS1_3repE0EEENS1_30default_config_static_selectorELNS0_4arch9wavefront6targetE0EEEvSK_.has_dyn_sized_stack, 0
	.set _ZN7rocprim17ROCPRIM_400000_NS6detail17trampoline_kernelINS0_14default_configENS1_36segmented_radix_sort_config_selectorIalEEZNS1_25segmented_radix_sort_implIS3_Lb0EPKaPaPKlPlN2at6native12_GLOBAL__N_18offset_tEEE10hipError_tPvRmT1_PNSt15iterator_traitsISK_E10value_typeET2_T3_PNSL_ISQ_E10value_typeET4_jRbjT5_SW_jjP12ihipStream_tbEUlT_E2_NS1_11comp_targetILNS1_3genE9ELNS1_11target_archE1100ELNS1_3gpuE3ELNS1_3repE0EEENS1_30default_config_static_selectorELNS0_4arch9wavefront6targetE0EEEvSK_.has_recursion, 0
	.set _ZN7rocprim17ROCPRIM_400000_NS6detail17trampoline_kernelINS0_14default_configENS1_36segmented_radix_sort_config_selectorIalEEZNS1_25segmented_radix_sort_implIS3_Lb0EPKaPaPKlPlN2at6native12_GLOBAL__N_18offset_tEEE10hipError_tPvRmT1_PNSt15iterator_traitsISK_E10value_typeET2_T3_PNSL_ISQ_E10value_typeET4_jRbjT5_SW_jjP12ihipStream_tbEUlT_E2_NS1_11comp_targetILNS1_3genE9ELNS1_11target_archE1100ELNS1_3gpuE3ELNS1_3repE0EEENS1_30default_config_static_selectorELNS0_4arch9wavefront6targetE0EEEvSK_.has_indirect_call, 0
	.section	.AMDGPU.csdata,"",@progbits
; Kernel info:
; codeLenInByte = 0
; TotalNumSgprs: 0
; NumVgprs: 0
; ScratchSize: 0
; MemoryBound: 0
; FloatMode: 240
; IeeeMode: 1
; LDSByteSize: 0 bytes/workgroup (compile time only)
; SGPRBlocks: 0
; VGPRBlocks: 0
; NumSGPRsForWavesPerEU: 1
; NumVGPRsForWavesPerEU: 1
; Occupancy: 16
; WaveLimiterHint : 0
; COMPUTE_PGM_RSRC2:SCRATCH_EN: 0
; COMPUTE_PGM_RSRC2:USER_SGPR: 2
; COMPUTE_PGM_RSRC2:TRAP_HANDLER: 0
; COMPUTE_PGM_RSRC2:TGID_X_EN: 1
; COMPUTE_PGM_RSRC2:TGID_Y_EN: 0
; COMPUTE_PGM_RSRC2:TGID_Z_EN: 0
; COMPUTE_PGM_RSRC2:TIDIG_COMP_CNT: 0
	.section	.text._ZN7rocprim17ROCPRIM_400000_NS6detail17trampoline_kernelINS0_14default_configENS1_36segmented_radix_sort_config_selectorIalEEZNS1_25segmented_radix_sort_implIS3_Lb0EPKaPaPKlPlN2at6native12_GLOBAL__N_18offset_tEEE10hipError_tPvRmT1_PNSt15iterator_traitsISK_E10value_typeET2_T3_PNSL_ISQ_E10value_typeET4_jRbjT5_SW_jjP12ihipStream_tbEUlT_E2_NS1_11comp_targetILNS1_3genE8ELNS1_11target_archE1030ELNS1_3gpuE2ELNS1_3repE0EEENS1_30default_config_static_selectorELNS0_4arch9wavefront6targetE0EEEvSK_,"axG",@progbits,_ZN7rocprim17ROCPRIM_400000_NS6detail17trampoline_kernelINS0_14default_configENS1_36segmented_radix_sort_config_selectorIalEEZNS1_25segmented_radix_sort_implIS3_Lb0EPKaPaPKlPlN2at6native12_GLOBAL__N_18offset_tEEE10hipError_tPvRmT1_PNSt15iterator_traitsISK_E10value_typeET2_T3_PNSL_ISQ_E10value_typeET4_jRbjT5_SW_jjP12ihipStream_tbEUlT_E2_NS1_11comp_targetILNS1_3genE8ELNS1_11target_archE1030ELNS1_3gpuE2ELNS1_3repE0EEENS1_30default_config_static_selectorELNS0_4arch9wavefront6targetE0EEEvSK_,comdat
	.globl	_ZN7rocprim17ROCPRIM_400000_NS6detail17trampoline_kernelINS0_14default_configENS1_36segmented_radix_sort_config_selectorIalEEZNS1_25segmented_radix_sort_implIS3_Lb0EPKaPaPKlPlN2at6native12_GLOBAL__N_18offset_tEEE10hipError_tPvRmT1_PNSt15iterator_traitsISK_E10value_typeET2_T3_PNSL_ISQ_E10value_typeET4_jRbjT5_SW_jjP12ihipStream_tbEUlT_E2_NS1_11comp_targetILNS1_3genE8ELNS1_11target_archE1030ELNS1_3gpuE2ELNS1_3repE0EEENS1_30default_config_static_selectorELNS0_4arch9wavefront6targetE0EEEvSK_ ; -- Begin function _ZN7rocprim17ROCPRIM_400000_NS6detail17trampoline_kernelINS0_14default_configENS1_36segmented_radix_sort_config_selectorIalEEZNS1_25segmented_radix_sort_implIS3_Lb0EPKaPaPKlPlN2at6native12_GLOBAL__N_18offset_tEEE10hipError_tPvRmT1_PNSt15iterator_traitsISK_E10value_typeET2_T3_PNSL_ISQ_E10value_typeET4_jRbjT5_SW_jjP12ihipStream_tbEUlT_E2_NS1_11comp_targetILNS1_3genE8ELNS1_11target_archE1030ELNS1_3gpuE2ELNS1_3repE0EEENS1_30default_config_static_selectorELNS0_4arch9wavefront6targetE0EEEvSK_
	.p2align	8
	.type	_ZN7rocprim17ROCPRIM_400000_NS6detail17trampoline_kernelINS0_14default_configENS1_36segmented_radix_sort_config_selectorIalEEZNS1_25segmented_radix_sort_implIS3_Lb0EPKaPaPKlPlN2at6native12_GLOBAL__N_18offset_tEEE10hipError_tPvRmT1_PNSt15iterator_traitsISK_E10value_typeET2_T3_PNSL_ISQ_E10value_typeET4_jRbjT5_SW_jjP12ihipStream_tbEUlT_E2_NS1_11comp_targetILNS1_3genE8ELNS1_11target_archE1030ELNS1_3gpuE2ELNS1_3repE0EEENS1_30default_config_static_selectorELNS0_4arch9wavefront6targetE0EEEvSK_,@function
_ZN7rocprim17ROCPRIM_400000_NS6detail17trampoline_kernelINS0_14default_configENS1_36segmented_radix_sort_config_selectorIalEEZNS1_25segmented_radix_sort_implIS3_Lb0EPKaPaPKlPlN2at6native12_GLOBAL__N_18offset_tEEE10hipError_tPvRmT1_PNSt15iterator_traitsISK_E10value_typeET2_T3_PNSL_ISQ_E10value_typeET4_jRbjT5_SW_jjP12ihipStream_tbEUlT_E2_NS1_11comp_targetILNS1_3genE8ELNS1_11target_archE1030ELNS1_3gpuE2ELNS1_3repE0EEENS1_30default_config_static_selectorELNS0_4arch9wavefront6targetE0EEEvSK_: ; @_ZN7rocprim17ROCPRIM_400000_NS6detail17trampoline_kernelINS0_14default_configENS1_36segmented_radix_sort_config_selectorIalEEZNS1_25segmented_radix_sort_implIS3_Lb0EPKaPaPKlPlN2at6native12_GLOBAL__N_18offset_tEEE10hipError_tPvRmT1_PNSt15iterator_traitsISK_E10value_typeET2_T3_PNSL_ISQ_E10value_typeET4_jRbjT5_SW_jjP12ihipStream_tbEUlT_E2_NS1_11comp_targetILNS1_3genE8ELNS1_11target_archE1030ELNS1_3gpuE2ELNS1_3repE0EEENS1_30default_config_static_selectorELNS0_4arch9wavefront6targetE0EEEvSK_
; %bb.0:
	.section	.rodata,"a",@progbits
	.p2align	6, 0x0
	.amdhsa_kernel _ZN7rocprim17ROCPRIM_400000_NS6detail17trampoline_kernelINS0_14default_configENS1_36segmented_radix_sort_config_selectorIalEEZNS1_25segmented_radix_sort_implIS3_Lb0EPKaPaPKlPlN2at6native12_GLOBAL__N_18offset_tEEE10hipError_tPvRmT1_PNSt15iterator_traitsISK_E10value_typeET2_T3_PNSL_ISQ_E10value_typeET4_jRbjT5_SW_jjP12ihipStream_tbEUlT_E2_NS1_11comp_targetILNS1_3genE8ELNS1_11target_archE1030ELNS1_3gpuE2ELNS1_3repE0EEENS1_30default_config_static_selectorELNS0_4arch9wavefront6targetE0EEEvSK_
		.amdhsa_group_segment_fixed_size 0
		.amdhsa_private_segment_fixed_size 0
		.amdhsa_kernarg_size 80
		.amdhsa_user_sgpr_count 2
		.amdhsa_user_sgpr_dispatch_ptr 0
		.amdhsa_user_sgpr_queue_ptr 0
		.amdhsa_user_sgpr_kernarg_segment_ptr 1
		.amdhsa_user_sgpr_dispatch_id 0
		.amdhsa_user_sgpr_private_segment_size 0
		.amdhsa_wavefront_size32 1
		.amdhsa_uses_dynamic_stack 0
		.amdhsa_enable_private_segment 0
		.amdhsa_system_sgpr_workgroup_id_x 1
		.amdhsa_system_sgpr_workgroup_id_y 0
		.amdhsa_system_sgpr_workgroup_id_z 0
		.amdhsa_system_sgpr_workgroup_info 0
		.amdhsa_system_vgpr_workitem_id 0
		.amdhsa_next_free_vgpr 1
		.amdhsa_next_free_sgpr 1
		.amdhsa_reserve_vcc 0
		.amdhsa_float_round_mode_32 0
		.amdhsa_float_round_mode_16_64 0
		.amdhsa_float_denorm_mode_32 3
		.amdhsa_float_denorm_mode_16_64 3
		.amdhsa_fp16_overflow 0
		.amdhsa_workgroup_processor_mode 1
		.amdhsa_memory_ordered 1
		.amdhsa_forward_progress 1
		.amdhsa_inst_pref_size 0
		.amdhsa_round_robin_scheduling 0
		.amdhsa_exception_fp_ieee_invalid_op 0
		.amdhsa_exception_fp_denorm_src 0
		.amdhsa_exception_fp_ieee_div_zero 0
		.amdhsa_exception_fp_ieee_overflow 0
		.amdhsa_exception_fp_ieee_underflow 0
		.amdhsa_exception_fp_ieee_inexact 0
		.amdhsa_exception_int_div_zero 0
	.end_amdhsa_kernel
	.section	.text._ZN7rocprim17ROCPRIM_400000_NS6detail17trampoline_kernelINS0_14default_configENS1_36segmented_radix_sort_config_selectorIalEEZNS1_25segmented_radix_sort_implIS3_Lb0EPKaPaPKlPlN2at6native12_GLOBAL__N_18offset_tEEE10hipError_tPvRmT1_PNSt15iterator_traitsISK_E10value_typeET2_T3_PNSL_ISQ_E10value_typeET4_jRbjT5_SW_jjP12ihipStream_tbEUlT_E2_NS1_11comp_targetILNS1_3genE8ELNS1_11target_archE1030ELNS1_3gpuE2ELNS1_3repE0EEENS1_30default_config_static_selectorELNS0_4arch9wavefront6targetE0EEEvSK_,"axG",@progbits,_ZN7rocprim17ROCPRIM_400000_NS6detail17trampoline_kernelINS0_14default_configENS1_36segmented_radix_sort_config_selectorIalEEZNS1_25segmented_radix_sort_implIS3_Lb0EPKaPaPKlPlN2at6native12_GLOBAL__N_18offset_tEEE10hipError_tPvRmT1_PNSt15iterator_traitsISK_E10value_typeET2_T3_PNSL_ISQ_E10value_typeET4_jRbjT5_SW_jjP12ihipStream_tbEUlT_E2_NS1_11comp_targetILNS1_3genE8ELNS1_11target_archE1030ELNS1_3gpuE2ELNS1_3repE0EEENS1_30default_config_static_selectorELNS0_4arch9wavefront6targetE0EEEvSK_,comdat
.Lfunc_end431:
	.size	_ZN7rocprim17ROCPRIM_400000_NS6detail17trampoline_kernelINS0_14default_configENS1_36segmented_radix_sort_config_selectorIalEEZNS1_25segmented_radix_sort_implIS3_Lb0EPKaPaPKlPlN2at6native12_GLOBAL__N_18offset_tEEE10hipError_tPvRmT1_PNSt15iterator_traitsISK_E10value_typeET2_T3_PNSL_ISQ_E10value_typeET4_jRbjT5_SW_jjP12ihipStream_tbEUlT_E2_NS1_11comp_targetILNS1_3genE8ELNS1_11target_archE1030ELNS1_3gpuE2ELNS1_3repE0EEENS1_30default_config_static_selectorELNS0_4arch9wavefront6targetE0EEEvSK_, .Lfunc_end431-_ZN7rocprim17ROCPRIM_400000_NS6detail17trampoline_kernelINS0_14default_configENS1_36segmented_radix_sort_config_selectorIalEEZNS1_25segmented_radix_sort_implIS3_Lb0EPKaPaPKlPlN2at6native12_GLOBAL__N_18offset_tEEE10hipError_tPvRmT1_PNSt15iterator_traitsISK_E10value_typeET2_T3_PNSL_ISQ_E10value_typeET4_jRbjT5_SW_jjP12ihipStream_tbEUlT_E2_NS1_11comp_targetILNS1_3genE8ELNS1_11target_archE1030ELNS1_3gpuE2ELNS1_3repE0EEENS1_30default_config_static_selectorELNS0_4arch9wavefront6targetE0EEEvSK_
                                        ; -- End function
	.set _ZN7rocprim17ROCPRIM_400000_NS6detail17trampoline_kernelINS0_14default_configENS1_36segmented_radix_sort_config_selectorIalEEZNS1_25segmented_radix_sort_implIS3_Lb0EPKaPaPKlPlN2at6native12_GLOBAL__N_18offset_tEEE10hipError_tPvRmT1_PNSt15iterator_traitsISK_E10value_typeET2_T3_PNSL_ISQ_E10value_typeET4_jRbjT5_SW_jjP12ihipStream_tbEUlT_E2_NS1_11comp_targetILNS1_3genE8ELNS1_11target_archE1030ELNS1_3gpuE2ELNS1_3repE0EEENS1_30default_config_static_selectorELNS0_4arch9wavefront6targetE0EEEvSK_.num_vgpr, 0
	.set _ZN7rocprim17ROCPRIM_400000_NS6detail17trampoline_kernelINS0_14default_configENS1_36segmented_radix_sort_config_selectorIalEEZNS1_25segmented_radix_sort_implIS3_Lb0EPKaPaPKlPlN2at6native12_GLOBAL__N_18offset_tEEE10hipError_tPvRmT1_PNSt15iterator_traitsISK_E10value_typeET2_T3_PNSL_ISQ_E10value_typeET4_jRbjT5_SW_jjP12ihipStream_tbEUlT_E2_NS1_11comp_targetILNS1_3genE8ELNS1_11target_archE1030ELNS1_3gpuE2ELNS1_3repE0EEENS1_30default_config_static_selectorELNS0_4arch9wavefront6targetE0EEEvSK_.num_agpr, 0
	.set _ZN7rocprim17ROCPRIM_400000_NS6detail17trampoline_kernelINS0_14default_configENS1_36segmented_radix_sort_config_selectorIalEEZNS1_25segmented_radix_sort_implIS3_Lb0EPKaPaPKlPlN2at6native12_GLOBAL__N_18offset_tEEE10hipError_tPvRmT1_PNSt15iterator_traitsISK_E10value_typeET2_T3_PNSL_ISQ_E10value_typeET4_jRbjT5_SW_jjP12ihipStream_tbEUlT_E2_NS1_11comp_targetILNS1_3genE8ELNS1_11target_archE1030ELNS1_3gpuE2ELNS1_3repE0EEENS1_30default_config_static_selectorELNS0_4arch9wavefront6targetE0EEEvSK_.numbered_sgpr, 0
	.set _ZN7rocprim17ROCPRIM_400000_NS6detail17trampoline_kernelINS0_14default_configENS1_36segmented_radix_sort_config_selectorIalEEZNS1_25segmented_radix_sort_implIS3_Lb0EPKaPaPKlPlN2at6native12_GLOBAL__N_18offset_tEEE10hipError_tPvRmT1_PNSt15iterator_traitsISK_E10value_typeET2_T3_PNSL_ISQ_E10value_typeET4_jRbjT5_SW_jjP12ihipStream_tbEUlT_E2_NS1_11comp_targetILNS1_3genE8ELNS1_11target_archE1030ELNS1_3gpuE2ELNS1_3repE0EEENS1_30default_config_static_selectorELNS0_4arch9wavefront6targetE0EEEvSK_.num_named_barrier, 0
	.set _ZN7rocprim17ROCPRIM_400000_NS6detail17trampoline_kernelINS0_14default_configENS1_36segmented_radix_sort_config_selectorIalEEZNS1_25segmented_radix_sort_implIS3_Lb0EPKaPaPKlPlN2at6native12_GLOBAL__N_18offset_tEEE10hipError_tPvRmT1_PNSt15iterator_traitsISK_E10value_typeET2_T3_PNSL_ISQ_E10value_typeET4_jRbjT5_SW_jjP12ihipStream_tbEUlT_E2_NS1_11comp_targetILNS1_3genE8ELNS1_11target_archE1030ELNS1_3gpuE2ELNS1_3repE0EEENS1_30default_config_static_selectorELNS0_4arch9wavefront6targetE0EEEvSK_.private_seg_size, 0
	.set _ZN7rocprim17ROCPRIM_400000_NS6detail17trampoline_kernelINS0_14default_configENS1_36segmented_radix_sort_config_selectorIalEEZNS1_25segmented_radix_sort_implIS3_Lb0EPKaPaPKlPlN2at6native12_GLOBAL__N_18offset_tEEE10hipError_tPvRmT1_PNSt15iterator_traitsISK_E10value_typeET2_T3_PNSL_ISQ_E10value_typeET4_jRbjT5_SW_jjP12ihipStream_tbEUlT_E2_NS1_11comp_targetILNS1_3genE8ELNS1_11target_archE1030ELNS1_3gpuE2ELNS1_3repE0EEENS1_30default_config_static_selectorELNS0_4arch9wavefront6targetE0EEEvSK_.uses_vcc, 0
	.set _ZN7rocprim17ROCPRIM_400000_NS6detail17trampoline_kernelINS0_14default_configENS1_36segmented_radix_sort_config_selectorIalEEZNS1_25segmented_radix_sort_implIS3_Lb0EPKaPaPKlPlN2at6native12_GLOBAL__N_18offset_tEEE10hipError_tPvRmT1_PNSt15iterator_traitsISK_E10value_typeET2_T3_PNSL_ISQ_E10value_typeET4_jRbjT5_SW_jjP12ihipStream_tbEUlT_E2_NS1_11comp_targetILNS1_3genE8ELNS1_11target_archE1030ELNS1_3gpuE2ELNS1_3repE0EEENS1_30default_config_static_selectorELNS0_4arch9wavefront6targetE0EEEvSK_.uses_flat_scratch, 0
	.set _ZN7rocprim17ROCPRIM_400000_NS6detail17trampoline_kernelINS0_14default_configENS1_36segmented_radix_sort_config_selectorIalEEZNS1_25segmented_radix_sort_implIS3_Lb0EPKaPaPKlPlN2at6native12_GLOBAL__N_18offset_tEEE10hipError_tPvRmT1_PNSt15iterator_traitsISK_E10value_typeET2_T3_PNSL_ISQ_E10value_typeET4_jRbjT5_SW_jjP12ihipStream_tbEUlT_E2_NS1_11comp_targetILNS1_3genE8ELNS1_11target_archE1030ELNS1_3gpuE2ELNS1_3repE0EEENS1_30default_config_static_selectorELNS0_4arch9wavefront6targetE0EEEvSK_.has_dyn_sized_stack, 0
	.set _ZN7rocprim17ROCPRIM_400000_NS6detail17trampoline_kernelINS0_14default_configENS1_36segmented_radix_sort_config_selectorIalEEZNS1_25segmented_radix_sort_implIS3_Lb0EPKaPaPKlPlN2at6native12_GLOBAL__N_18offset_tEEE10hipError_tPvRmT1_PNSt15iterator_traitsISK_E10value_typeET2_T3_PNSL_ISQ_E10value_typeET4_jRbjT5_SW_jjP12ihipStream_tbEUlT_E2_NS1_11comp_targetILNS1_3genE8ELNS1_11target_archE1030ELNS1_3gpuE2ELNS1_3repE0EEENS1_30default_config_static_selectorELNS0_4arch9wavefront6targetE0EEEvSK_.has_recursion, 0
	.set _ZN7rocprim17ROCPRIM_400000_NS6detail17trampoline_kernelINS0_14default_configENS1_36segmented_radix_sort_config_selectorIalEEZNS1_25segmented_radix_sort_implIS3_Lb0EPKaPaPKlPlN2at6native12_GLOBAL__N_18offset_tEEE10hipError_tPvRmT1_PNSt15iterator_traitsISK_E10value_typeET2_T3_PNSL_ISQ_E10value_typeET4_jRbjT5_SW_jjP12ihipStream_tbEUlT_E2_NS1_11comp_targetILNS1_3genE8ELNS1_11target_archE1030ELNS1_3gpuE2ELNS1_3repE0EEENS1_30default_config_static_selectorELNS0_4arch9wavefront6targetE0EEEvSK_.has_indirect_call, 0
	.section	.AMDGPU.csdata,"",@progbits
; Kernel info:
; codeLenInByte = 0
; TotalNumSgprs: 0
; NumVgprs: 0
; ScratchSize: 0
; MemoryBound: 0
; FloatMode: 240
; IeeeMode: 1
; LDSByteSize: 0 bytes/workgroup (compile time only)
; SGPRBlocks: 0
; VGPRBlocks: 0
; NumSGPRsForWavesPerEU: 1
; NumVGPRsForWavesPerEU: 1
; Occupancy: 16
; WaveLimiterHint : 0
; COMPUTE_PGM_RSRC2:SCRATCH_EN: 0
; COMPUTE_PGM_RSRC2:USER_SGPR: 2
; COMPUTE_PGM_RSRC2:TRAP_HANDLER: 0
; COMPUTE_PGM_RSRC2:TGID_X_EN: 1
; COMPUTE_PGM_RSRC2:TGID_Y_EN: 0
; COMPUTE_PGM_RSRC2:TGID_Z_EN: 0
; COMPUTE_PGM_RSRC2:TIDIG_COMP_CNT: 0
	.section	.text._ZN2at6native12_GLOBAL__N_123sort_postprocess_kernelIiEEvPKT_PS3_PlPK15HIP_vector_typeIiLj2EEii,"axG",@progbits,_ZN2at6native12_GLOBAL__N_123sort_postprocess_kernelIiEEvPKT_PS3_PlPK15HIP_vector_typeIiLj2EEii,comdat
	.globl	_ZN2at6native12_GLOBAL__N_123sort_postprocess_kernelIiEEvPKT_PS3_PlPK15HIP_vector_typeIiLj2EEii ; -- Begin function _ZN2at6native12_GLOBAL__N_123sort_postprocess_kernelIiEEvPKT_PS3_PlPK15HIP_vector_typeIiLj2EEii
	.p2align	8
	.type	_ZN2at6native12_GLOBAL__N_123sort_postprocess_kernelIiEEvPKT_PS3_PlPK15HIP_vector_typeIiLj2EEii,@function
_ZN2at6native12_GLOBAL__N_123sort_postprocess_kernelIiEEvPKT_PS3_PlPK15HIP_vector_typeIiLj2EEii: ; @_ZN2at6native12_GLOBAL__N_123sort_postprocess_kernelIiEEvPKT_PS3_PlPK15HIP_vector_typeIiLj2EEii
; %bb.0:
	s_clause 0x1
	s_load_b32 s6, s[0:1], 0x34
	s_load_b64 s[4:5], s[0:1], 0x20
	s_mov_b32 s3, 0
	s_mov_b32 s2, ttmp9
	s_mov_b32 s17, s3
	s_wait_kmcnt 0x0
	s_and_b32 s16, s6, 0xffff
	s_mul_i32 s14, s5, s4
	s_mul_u64 s[12:13], s[16:17], s[2:3]
	s_ashr_i32 s15, s14, 31
	v_add_co_u32 v1, s2, s12, v0
	s_delay_alu instid0(VALU_DEP_1) | instskip(NEXT) | instid1(VALU_DEP_1)
	v_add_co_ci_u32_e64 v2, null, s13, 0, s2
	v_cmp_gt_i64_e32 vcc_lo, s[14:15], v[1:2]
	v_mov_b32_e32 v1, 0
	s_and_saveexec_b32 s2, vcc_lo
	s_cbranch_execz .LBB432_3
; %bb.1:
	s_abs_i32 s2, s5
	s_wait_alu 0xfffe
	s_cvt_f32_u32 s4, s2
	s_delay_alu instid0(SALU_CYCLE_3) | instskip(SKIP_4) | instid1(TRANS32_DEP_1)
	v_rcp_iflag_f32_e32 v2, s4
	s_add_nc_u64 s[4:5], s[0:1], 40
	s_load_b32 s17, s[4:5], 0x0
	s_load_b256 s[4:11], s[0:1], 0x0
	s_sub_co_i32 s1, 0, s2
	v_readfirstlane_b32 s0, v2
	s_mul_f32 s0, s0, 0x4f7ffffe
	s_delay_alu instid0(SALU_CYCLE_3) | instskip(NEXT) | instid1(SALU_CYCLE_3)
	s_cvt_u32_f32 s0, s0
	s_mul_i32 s1, s1, s0
	s_delay_alu instid0(SALU_CYCLE_1)
	s_mul_hi_u32 s18, s0, s1
	s_wait_kmcnt 0x0
	s_mul_i32 s1, s17, s16
	s_add_co_i32 s17, s0, s18
	s_mul_i32 s16, ttmp9, s16
.LBB432_2:                              ; =>This Inner Loop Header: Depth=1
	s_delay_alu instid0(SALU_CYCLE_1) | instskip(NEXT) | instid1(VALU_DEP_1)
	v_add_nc_u32_e32 v2, s16, v0
	v_sub_nc_u32_e32 v3, 0, v2
	v_ashrrev_i32_e32 v5, 31, v2
	s_delay_alu instid0(VALU_DEP_2) | instskip(NEXT) | instid1(VALU_DEP_1)
	v_max_i32_e32 v3, v2, v3
	v_mul_hi_u32 v4, v3, s17
	s_delay_alu instid0(VALU_DEP_1) | instskip(NEXT) | instid1(VALU_DEP_1)
	v_mul_lo_u32 v4, v4, s2
	v_sub_nc_u32_e32 v3, v3, v4
	s_delay_alu instid0(VALU_DEP_1) | instskip(SKIP_2) | instid1(VALU_DEP_2)
	v_subrev_nc_u32_e32 v4, s2, v3
	v_cmp_le_u32_e32 vcc_lo, s2, v3
	s_wait_alu 0xfffd
	v_dual_cndmask_b32 v3, v3, v4 :: v_dual_add_nc_u32 v2, v2, v5
	s_delay_alu instid0(VALU_DEP_1) | instskip(SKIP_2) | instid1(VALU_DEP_2)
	v_subrev_nc_u32_e32 v4, s2, v3
	v_cmp_le_u32_e32 vcc_lo, s2, v3
	s_wait_alu 0xfffd
	v_cndmask_b32_e32 v3, v3, v4, vcc_lo
	s_delay_alu instid0(VALU_DEP_1) | instskip(NEXT) | instid1(VALU_DEP_1)
	v_xor_b32_e32 v3, v3, v5
	v_sub_nc_u32_e32 v2, v2, v3
	v_sub_nc_u32_e32 v4, v3, v5
	s_delay_alu instid0(VALU_DEP_2) | instskip(NEXT) | instid1(VALU_DEP_2)
	v_ashrrev_i32_e32 v3, 31, v2
	v_ashrrev_i32_e32 v5, 31, v4
	s_delay_alu instid0(VALU_DEP_2) | instskip(NEXT) | instid1(VALU_DEP_2)
	v_lshlrev_b64_e32 v[6:7], 3, v[2:3]
	v_lshlrev_b64_e32 v[8:9], 3, v[4:5]
	v_lshlrev_b64_e32 v[2:3], 2, v[2:3]
	v_lshlrev_b64_e32 v[4:5], 2, v[4:5]
	s_delay_alu instid0(VALU_DEP_4) | instskip(SKIP_3) | instid1(VALU_DEP_3)
	v_add_co_u32 v10, vcc_lo, s10, v6
	s_wait_alu 0xfffd
	v_add_co_ci_u32_e64 v11, null, s11, v7, vcc_lo
	v_add_co_u32 v6, s0, s8, v6
	v_add_co_u32 v10, vcc_lo, v10, v8
	s_wait_alu 0xfffd
	s_delay_alu instid0(VALU_DEP_3)
	v_add_co_ci_u32_e64 v11, null, v11, v9, vcc_lo
	v_add_co_u32 v14, vcc_lo, s4, v2
	s_wait_alu 0xfffd
	v_add_co_ci_u32_e64 v15, null, s5, v3, vcc_lo
	global_load_b32 v10, v[10:11], off offset:4
	s_wait_alu 0xf1ff
	v_add_co_ci_u32_e64 v7, null, s9, v7, s0
	s_wait_loadcnt 0x0
	v_ashrrev_i32_e32 v11, 31, v10
	s_delay_alu instid0(VALU_DEP_1) | instskip(NEXT) | instid1(VALU_DEP_1)
	v_lshlrev_b64_e32 v[12:13], 2, v[10:11]
	v_add_co_u32 v12, vcc_lo, v14, v12
	s_wait_alu 0xfffd
	s_delay_alu instid0(VALU_DEP_2)
	v_add_co_ci_u32_e64 v13, null, v15, v13, vcc_lo
	v_add_co_u32 v0, vcc_lo, v0, s1
	s_wait_alu 0xfffd
	v_add_co_ci_u32_e64 v1, null, 0, v1, vcc_lo
	global_load_b32 v14, v[12:13], off
	v_add_co_u32 v12, vcc_lo, s12, v0
	s_wait_alu 0xfffd
	v_add_co_ci_u32_e64 v13, null, s13, v1, vcc_lo
	s_delay_alu instid0(VALU_DEP_1)
	v_cmp_le_i64_e32 vcc_lo, s[14:15], v[12:13]
	v_add_co_u32 v12, s0, s6, v2
	s_wait_alu 0xf1ff
	v_add_co_ci_u32_e64 v13, null, s7, v3, s0
	v_add_co_u32 v2, s0, v6, v8
	s_wait_alu 0xf1ff
	v_add_co_ci_u32_e64 v3, null, v7, v9, s0
	;; [unrolled: 3-line block ×3, first 2 shown]
	s_or_b32 s3, vcc_lo, s3
	global_store_b64 v[2:3], v[10:11], off
	s_wait_loadcnt 0x0
	global_store_b32 v[4:5], v14, off
	s_wait_alu 0xfffe
	s_and_not1_b32 exec_lo, exec_lo, s3
	s_cbranch_execnz .LBB432_2
.LBB432_3:
	s_endpgm
	.section	.rodata,"a",@progbits
	.p2align	6, 0x0
	.amdhsa_kernel _ZN2at6native12_GLOBAL__N_123sort_postprocess_kernelIiEEvPKT_PS3_PlPK15HIP_vector_typeIiLj2EEii
		.amdhsa_group_segment_fixed_size 0
		.amdhsa_private_segment_fixed_size 0
		.amdhsa_kernarg_size 296
		.amdhsa_user_sgpr_count 2
		.amdhsa_user_sgpr_dispatch_ptr 0
		.amdhsa_user_sgpr_queue_ptr 0
		.amdhsa_user_sgpr_kernarg_segment_ptr 1
		.amdhsa_user_sgpr_dispatch_id 0
		.amdhsa_user_sgpr_private_segment_size 0
		.amdhsa_wavefront_size32 1
		.amdhsa_uses_dynamic_stack 0
		.amdhsa_enable_private_segment 0
		.amdhsa_system_sgpr_workgroup_id_x 1
		.amdhsa_system_sgpr_workgroup_id_y 0
		.amdhsa_system_sgpr_workgroup_id_z 0
		.amdhsa_system_sgpr_workgroup_info 0
		.amdhsa_system_vgpr_workitem_id 0
		.amdhsa_next_free_vgpr 16
		.amdhsa_next_free_sgpr 19
		.amdhsa_reserve_vcc 1
		.amdhsa_float_round_mode_32 0
		.amdhsa_float_round_mode_16_64 0
		.amdhsa_float_denorm_mode_32 3
		.amdhsa_float_denorm_mode_16_64 3
		.amdhsa_fp16_overflow 0
		.amdhsa_workgroup_processor_mode 1
		.amdhsa_memory_ordered 1
		.amdhsa_forward_progress 1
		.amdhsa_inst_pref_size 5
		.amdhsa_round_robin_scheduling 0
		.amdhsa_exception_fp_ieee_invalid_op 0
		.amdhsa_exception_fp_denorm_src 0
		.amdhsa_exception_fp_ieee_div_zero 0
		.amdhsa_exception_fp_ieee_overflow 0
		.amdhsa_exception_fp_ieee_underflow 0
		.amdhsa_exception_fp_ieee_inexact 0
		.amdhsa_exception_int_div_zero 0
	.end_amdhsa_kernel
	.section	.text._ZN2at6native12_GLOBAL__N_123sort_postprocess_kernelIiEEvPKT_PS3_PlPK15HIP_vector_typeIiLj2EEii,"axG",@progbits,_ZN2at6native12_GLOBAL__N_123sort_postprocess_kernelIiEEvPKT_PS3_PlPK15HIP_vector_typeIiLj2EEii,comdat
.Lfunc_end432:
	.size	_ZN2at6native12_GLOBAL__N_123sort_postprocess_kernelIiEEvPKT_PS3_PlPK15HIP_vector_typeIiLj2EEii, .Lfunc_end432-_ZN2at6native12_GLOBAL__N_123sort_postprocess_kernelIiEEvPKT_PS3_PlPK15HIP_vector_typeIiLj2EEii
                                        ; -- End function
	.set _ZN2at6native12_GLOBAL__N_123sort_postprocess_kernelIiEEvPKT_PS3_PlPK15HIP_vector_typeIiLj2EEii.num_vgpr, 16
	.set _ZN2at6native12_GLOBAL__N_123sort_postprocess_kernelIiEEvPKT_PS3_PlPK15HIP_vector_typeIiLj2EEii.num_agpr, 0
	.set _ZN2at6native12_GLOBAL__N_123sort_postprocess_kernelIiEEvPKT_PS3_PlPK15HIP_vector_typeIiLj2EEii.numbered_sgpr, 19
	.set _ZN2at6native12_GLOBAL__N_123sort_postprocess_kernelIiEEvPKT_PS3_PlPK15HIP_vector_typeIiLj2EEii.num_named_barrier, 0
	.set _ZN2at6native12_GLOBAL__N_123sort_postprocess_kernelIiEEvPKT_PS3_PlPK15HIP_vector_typeIiLj2EEii.private_seg_size, 0
	.set _ZN2at6native12_GLOBAL__N_123sort_postprocess_kernelIiEEvPKT_PS3_PlPK15HIP_vector_typeIiLj2EEii.uses_vcc, 1
	.set _ZN2at6native12_GLOBAL__N_123sort_postprocess_kernelIiEEvPKT_PS3_PlPK15HIP_vector_typeIiLj2EEii.uses_flat_scratch, 0
	.set _ZN2at6native12_GLOBAL__N_123sort_postprocess_kernelIiEEvPKT_PS3_PlPK15HIP_vector_typeIiLj2EEii.has_dyn_sized_stack, 0
	.set _ZN2at6native12_GLOBAL__N_123sort_postprocess_kernelIiEEvPKT_PS3_PlPK15HIP_vector_typeIiLj2EEii.has_recursion, 0
	.set _ZN2at6native12_GLOBAL__N_123sort_postprocess_kernelIiEEvPKT_PS3_PlPK15HIP_vector_typeIiLj2EEii.has_indirect_call, 0
	.section	.AMDGPU.csdata,"",@progbits
; Kernel info:
; codeLenInByte = 632
; TotalNumSgprs: 21
; NumVgprs: 16
; ScratchSize: 0
; MemoryBound: 0
; FloatMode: 240
; IeeeMode: 1
; LDSByteSize: 0 bytes/workgroup (compile time only)
; SGPRBlocks: 0
; VGPRBlocks: 1
; NumSGPRsForWavesPerEU: 21
; NumVGPRsForWavesPerEU: 16
; Occupancy: 16
; WaveLimiterHint : 1
; COMPUTE_PGM_RSRC2:SCRATCH_EN: 0
; COMPUTE_PGM_RSRC2:USER_SGPR: 2
; COMPUTE_PGM_RSRC2:TRAP_HANDLER: 0
; COMPUTE_PGM_RSRC2:TGID_X_EN: 1
; COMPUTE_PGM_RSRC2:TGID_Y_EN: 0
; COMPUTE_PGM_RSRC2:TGID_Z_EN: 0
; COMPUTE_PGM_RSRC2:TIDIG_COMP_CNT: 0
	.section	.text._ZN7rocprim17ROCPRIM_400000_NS6detail17trampoline_kernelINS0_13select_configILj256ELj13ELNS0_17block_load_methodE3ELS4_3ELS4_3ELNS0_20block_scan_algorithmE0ELj4294967295EEENS1_25partition_config_selectorILNS1_17partition_subalgoE4EjNS0_10empty_typeEbEEZZNS1_14partition_implILS8_4ELb0ES6_15HIP_vector_typeIjLj2EENS0_17counting_iteratorIjlEEPS9_SG_NS0_5tupleIJPjSI_NS0_16reverse_iteratorISI_EEEEENSH_IJSG_SG_SG_EEES9_SI_JZNS1_25segmented_radix_sort_implINS0_14default_configELb1EPKiPiPKlPlN2at6native12_GLOBAL__N_18offset_tEEE10hipError_tPvRmT1_PNSt15iterator_traitsIS12_E10value_typeET2_T3_PNS13_IS18_E10value_typeET4_jRbjT5_S1E_jjP12ihipStream_tbEUljE_ZNSN_ISO_Lb1ESQ_SR_ST_SU_SY_EESZ_S10_S11_S12_S16_S17_S18_S1B_S1C_jS1D_jS1E_S1E_jjS1G_bEUljE0_EEESZ_S10_S11_S18_S1C_S1E_T6_T7_T9_mT8_S1G_bDpT10_ENKUlT_T0_E_clISt17integral_constantIbLb0EES1U_EEDaS1P_S1Q_EUlS1P_E_NS1_11comp_targetILNS1_3genE0ELNS1_11target_archE4294967295ELNS1_3gpuE0ELNS1_3repE0EEENS1_30default_config_static_selectorELNS0_4arch9wavefront6targetE0EEEvS12_,"axG",@progbits,_ZN7rocprim17ROCPRIM_400000_NS6detail17trampoline_kernelINS0_13select_configILj256ELj13ELNS0_17block_load_methodE3ELS4_3ELS4_3ELNS0_20block_scan_algorithmE0ELj4294967295EEENS1_25partition_config_selectorILNS1_17partition_subalgoE4EjNS0_10empty_typeEbEEZZNS1_14partition_implILS8_4ELb0ES6_15HIP_vector_typeIjLj2EENS0_17counting_iteratorIjlEEPS9_SG_NS0_5tupleIJPjSI_NS0_16reverse_iteratorISI_EEEEENSH_IJSG_SG_SG_EEES9_SI_JZNS1_25segmented_radix_sort_implINS0_14default_configELb1EPKiPiPKlPlN2at6native12_GLOBAL__N_18offset_tEEE10hipError_tPvRmT1_PNSt15iterator_traitsIS12_E10value_typeET2_T3_PNS13_IS18_E10value_typeET4_jRbjT5_S1E_jjP12ihipStream_tbEUljE_ZNSN_ISO_Lb1ESQ_SR_ST_SU_SY_EESZ_S10_S11_S12_S16_S17_S18_S1B_S1C_jS1D_jS1E_S1E_jjS1G_bEUljE0_EEESZ_S10_S11_S18_S1C_S1E_T6_T7_T9_mT8_S1G_bDpT10_ENKUlT_T0_E_clISt17integral_constantIbLb0EES1U_EEDaS1P_S1Q_EUlS1P_E_NS1_11comp_targetILNS1_3genE0ELNS1_11target_archE4294967295ELNS1_3gpuE0ELNS1_3repE0EEENS1_30default_config_static_selectorELNS0_4arch9wavefront6targetE0EEEvS12_,comdat
	.globl	_ZN7rocprim17ROCPRIM_400000_NS6detail17trampoline_kernelINS0_13select_configILj256ELj13ELNS0_17block_load_methodE3ELS4_3ELS4_3ELNS0_20block_scan_algorithmE0ELj4294967295EEENS1_25partition_config_selectorILNS1_17partition_subalgoE4EjNS0_10empty_typeEbEEZZNS1_14partition_implILS8_4ELb0ES6_15HIP_vector_typeIjLj2EENS0_17counting_iteratorIjlEEPS9_SG_NS0_5tupleIJPjSI_NS0_16reverse_iteratorISI_EEEEENSH_IJSG_SG_SG_EEES9_SI_JZNS1_25segmented_radix_sort_implINS0_14default_configELb1EPKiPiPKlPlN2at6native12_GLOBAL__N_18offset_tEEE10hipError_tPvRmT1_PNSt15iterator_traitsIS12_E10value_typeET2_T3_PNS13_IS18_E10value_typeET4_jRbjT5_S1E_jjP12ihipStream_tbEUljE_ZNSN_ISO_Lb1ESQ_SR_ST_SU_SY_EESZ_S10_S11_S12_S16_S17_S18_S1B_S1C_jS1D_jS1E_S1E_jjS1G_bEUljE0_EEESZ_S10_S11_S18_S1C_S1E_T6_T7_T9_mT8_S1G_bDpT10_ENKUlT_T0_E_clISt17integral_constantIbLb0EES1U_EEDaS1P_S1Q_EUlS1P_E_NS1_11comp_targetILNS1_3genE0ELNS1_11target_archE4294967295ELNS1_3gpuE0ELNS1_3repE0EEENS1_30default_config_static_selectorELNS0_4arch9wavefront6targetE0EEEvS12_ ; -- Begin function _ZN7rocprim17ROCPRIM_400000_NS6detail17trampoline_kernelINS0_13select_configILj256ELj13ELNS0_17block_load_methodE3ELS4_3ELS4_3ELNS0_20block_scan_algorithmE0ELj4294967295EEENS1_25partition_config_selectorILNS1_17partition_subalgoE4EjNS0_10empty_typeEbEEZZNS1_14partition_implILS8_4ELb0ES6_15HIP_vector_typeIjLj2EENS0_17counting_iteratorIjlEEPS9_SG_NS0_5tupleIJPjSI_NS0_16reverse_iteratorISI_EEEEENSH_IJSG_SG_SG_EEES9_SI_JZNS1_25segmented_radix_sort_implINS0_14default_configELb1EPKiPiPKlPlN2at6native12_GLOBAL__N_18offset_tEEE10hipError_tPvRmT1_PNSt15iterator_traitsIS12_E10value_typeET2_T3_PNS13_IS18_E10value_typeET4_jRbjT5_S1E_jjP12ihipStream_tbEUljE_ZNSN_ISO_Lb1ESQ_SR_ST_SU_SY_EESZ_S10_S11_S12_S16_S17_S18_S1B_S1C_jS1D_jS1E_S1E_jjS1G_bEUljE0_EEESZ_S10_S11_S18_S1C_S1E_T6_T7_T9_mT8_S1G_bDpT10_ENKUlT_T0_E_clISt17integral_constantIbLb0EES1U_EEDaS1P_S1Q_EUlS1P_E_NS1_11comp_targetILNS1_3genE0ELNS1_11target_archE4294967295ELNS1_3gpuE0ELNS1_3repE0EEENS1_30default_config_static_selectorELNS0_4arch9wavefront6targetE0EEEvS12_
	.p2align	8
	.type	_ZN7rocprim17ROCPRIM_400000_NS6detail17trampoline_kernelINS0_13select_configILj256ELj13ELNS0_17block_load_methodE3ELS4_3ELS4_3ELNS0_20block_scan_algorithmE0ELj4294967295EEENS1_25partition_config_selectorILNS1_17partition_subalgoE4EjNS0_10empty_typeEbEEZZNS1_14partition_implILS8_4ELb0ES6_15HIP_vector_typeIjLj2EENS0_17counting_iteratorIjlEEPS9_SG_NS0_5tupleIJPjSI_NS0_16reverse_iteratorISI_EEEEENSH_IJSG_SG_SG_EEES9_SI_JZNS1_25segmented_radix_sort_implINS0_14default_configELb1EPKiPiPKlPlN2at6native12_GLOBAL__N_18offset_tEEE10hipError_tPvRmT1_PNSt15iterator_traitsIS12_E10value_typeET2_T3_PNS13_IS18_E10value_typeET4_jRbjT5_S1E_jjP12ihipStream_tbEUljE_ZNSN_ISO_Lb1ESQ_SR_ST_SU_SY_EESZ_S10_S11_S12_S16_S17_S18_S1B_S1C_jS1D_jS1E_S1E_jjS1G_bEUljE0_EEESZ_S10_S11_S18_S1C_S1E_T6_T7_T9_mT8_S1G_bDpT10_ENKUlT_T0_E_clISt17integral_constantIbLb0EES1U_EEDaS1P_S1Q_EUlS1P_E_NS1_11comp_targetILNS1_3genE0ELNS1_11target_archE4294967295ELNS1_3gpuE0ELNS1_3repE0EEENS1_30default_config_static_selectorELNS0_4arch9wavefront6targetE0EEEvS12_,@function
_ZN7rocprim17ROCPRIM_400000_NS6detail17trampoline_kernelINS0_13select_configILj256ELj13ELNS0_17block_load_methodE3ELS4_3ELS4_3ELNS0_20block_scan_algorithmE0ELj4294967295EEENS1_25partition_config_selectorILNS1_17partition_subalgoE4EjNS0_10empty_typeEbEEZZNS1_14partition_implILS8_4ELb0ES6_15HIP_vector_typeIjLj2EENS0_17counting_iteratorIjlEEPS9_SG_NS0_5tupleIJPjSI_NS0_16reverse_iteratorISI_EEEEENSH_IJSG_SG_SG_EEES9_SI_JZNS1_25segmented_radix_sort_implINS0_14default_configELb1EPKiPiPKlPlN2at6native12_GLOBAL__N_18offset_tEEE10hipError_tPvRmT1_PNSt15iterator_traitsIS12_E10value_typeET2_T3_PNS13_IS18_E10value_typeET4_jRbjT5_S1E_jjP12ihipStream_tbEUljE_ZNSN_ISO_Lb1ESQ_SR_ST_SU_SY_EESZ_S10_S11_S12_S16_S17_S18_S1B_S1C_jS1D_jS1E_S1E_jjS1G_bEUljE0_EEESZ_S10_S11_S18_S1C_S1E_T6_T7_T9_mT8_S1G_bDpT10_ENKUlT_T0_E_clISt17integral_constantIbLb0EES1U_EEDaS1P_S1Q_EUlS1P_E_NS1_11comp_targetILNS1_3genE0ELNS1_11target_archE4294967295ELNS1_3gpuE0ELNS1_3repE0EEENS1_30default_config_static_selectorELNS0_4arch9wavefront6targetE0EEEvS12_: ; @_ZN7rocprim17ROCPRIM_400000_NS6detail17trampoline_kernelINS0_13select_configILj256ELj13ELNS0_17block_load_methodE3ELS4_3ELS4_3ELNS0_20block_scan_algorithmE0ELj4294967295EEENS1_25partition_config_selectorILNS1_17partition_subalgoE4EjNS0_10empty_typeEbEEZZNS1_14partition_implILS8_4ELb0ES6_15HIP_vector_typeIjLj2EENS0_17counting_iteratorIjlEEPS9_SG_NS0_5tupleIJPjSI_NS0_16reverse_iteratorISI_EEEEENSH_IJSG_SG_SG_EEES9_SI_JZNS1_25segmented_radix_sort_implINS0_14default_configELb1EPKiPiPKlPlN2at6native12_GLOBAL__N_18offset_tEEE10hipError_tPvRmT1_PNSt15iterator_traitsIS12_E10value_typeET2_T3_PNS13_IS18_E10value_typeET4_jRbjT5_S1E_jjP12ihipStream_tbEUljE_ZNSN_ISO_Lb1ESQ_SR_ST_SU_SY_EESZ_S10_S11_S12_S16_S17_S18_S1B_S1C_jS1D_jS1E_S1E_jjS1G_bEUljE0_EEESZ_S10_S11_S18_S1C_S1E_T6_T7_T9_mT8_S1G_bDpT10_ENKUlT_T0_E_clISt17integral_constantIbLb0EES1U_EEDaS1P_S1Q_EUlS1P_E_NS1_11comp_targetILNS1_3genE0ELNS1_11target_archE4294967295ELNS1_3gpuE0ELNS1_3repE0EEENS1_30default_config_static_selectorELNS0_4arch9wavefront6targetE0EEEvS12_
; %bb.0:
	.section	.rodata,"a",@progbits
	.p2align	6, 0x0
	.amdhsa_kernel _ZN7rocprim17ROCPRIM_400000_NS6detail17trampoline_kernelINS0_13select_configILj256ELj13ELNS0_17block_load_methodE3ELS4_3ELS4_3ELNS0_20block_scan_algorithmE0ELj4294967295EEENS1_25partition_config_selectorILNS1_17partition_subalgoE4EjNS0_10empty_typeEbEEZZNS1_14partition_implILS8_4ELb0ES6_15HIP_vector_typeIjLj2EENS0_17counting_iteratorIjlEEPS9_SG_NS0_5tupleIJPjSI_NS0_16reverse_iteratorISI_EEEEENSH_IJSG_SG_SG_EEES9_SI_JZNS1_25segmented_radix_sort_implINS0_14default_configELb1EPKiPiPKlPlN2at6native12_GLOBAL__N_18offset_tEEE10hipError_tPvRmT1_PNSt15iterator_traitsIS12_E10value_typeET2_T3_PNS13_IS18_E10value_typeET4_jRbjT5_S1E_jjP12ihipStream_tbEUljE_ZNSN_ISO_Lb1ESQ_SR_ST_SU_SY_EESZ_S10_S11_S12_S16_S17_S18_S1B_S1C_jS1D_jS1E_S1E_jjS1G_bEUljE0_EEESZ_S10_S11_S18_S1C_S1E_T6_T7_T9_mT8_S1G_bDpT10_ENKUlT_T0_E_clISt17integral_constantIbLb0EES1U_EEDaS1P_S1Q_EUlS1P_E_NS1_11comp_targetILNS1_3genE0ELNS1_11target_archE4294967295ELNS1_3gpuE0ELNS1_3repE0EEENS1_30default_config_static_selectorELNS0_4arch9wavefront6targetE0EEEvS12_
		.amdhsa_group_segment_fixed_size 0
		.amdhsa_private_segment_fixed_size 0
		.amdhsa_kernarg_size 176
		.amdhsa_user_sgpr_count 2
		.amdhsa_user_sgpr_dispatch_ptr 0
		.amdhsa_user_sgpr_queue_ptr 0
		.amdhsa_user_sgpr_kernarg_segment_ptr 1
		.amdhsa_user_sgpr_dispatch_id 0
		.amdhsa_user_sgpr_private_segment_size 0
		.amdhsa_wavefront_size32 1
		.amdhsa_uses_dynamic_stack 0
		.amdhsa_enable_private_segment 0
		.amdhsa_system_sgpr_workgroup_id_x 1
		.amdhsa_system_sgpr_workgroup_id_y 0
		.amdhsa_system_sgpr_workgroup_id_z 0
		.amdhsa_system_sgpr_workgroup_info 0
		.amdhsa_system_vgpr_workitem_id 0
		.amdhsa_next_free_vgpr 1
		.amdhsa_next_free_sgpr 1
		.amdhsa_reserve_vcc 0
		.amdhsa_float_round_mode_32 0
		.amdhsa_float_round_mode_16_64 0
		.amdhsa_float_denorm_mode_32 3
		.amdhsa_float_denorm_mode_16_64 3
		.amdhsa_fp16_overflow 0
		.amdhsa_workgroup_processor_mode 1
		.amdhsa_memory_ordered 1
		.amdhsa_forward_progress 1
		.amdhsa_inst_pref_size 0
		.amdhsa_round_robin_scheduling 0
		.amdhsa_exception_fp_ieee_invalid_op 0
		.amdhsa_exception_fp_denorm_src 0
		.amdhsa_exception_fp_ieee_div_zero 0
		.amdhsa_exception_fp_ieee_overflow 0
		.amdhsa_exception_fp_ieee_underflow 0
		.amdhsa_exception_fp_ieee_inexact 0
		.amdhsa_exception_int_div_zero 0
	.end_amdhsa_kernel
	.section	.text._ZN7rocprim17ROCPRIM_400000_NS6detail17trampoline_kernelINS0_13select_configILj256ELj13ELNS0_17block_load_methodE3ELS4_3ELS4_3ELNS0_20block_scan_algorithmE0ELj4294967295EEENS1_25partition_config_selectorILNS1_17partition_subalgoE4EjNS0_10empty_typeEbEEZZNS1_14partition_implILS8_4ELb0ES6_15HIP_vector_typeIjLj2EENS0_17counting_iteratorIjlEEPS9_SG_NS0_5tupleIJPjSI_NS0_16reverse_iteratorISI_EEEEENSH_IJSG_SG_SG_EEES9_SI_JZNS1_25segmented_radix_sort_implINS0_14default_configELb1EPKiPiPKlPlN2at6native12_GLOBAL__N_18offset_tEEE10hipError_tPvRmT1_PNSt15iterator_traitsIS12_E10value_typeET2_T3_PNS13_IS18_E10value_typeET4_jRbjT5_S1E_jjP12ihipStream_tbEUljE_ZNSN_ISO_Lb1ESQ_SR_ST_SU_SY_EESZ_S10_S11_S12_S16_S17_S18_S1B_S1C_jS1D_jS1E_S1E_jjS1G_bEUljE0_EEESZ_S10_S11_S18_S1C_S1E_T6_T7_T9_mT8_S1G_bDpT10_ENKUlT_T0_E_clISt17integral_constantIbLb0EES1U_EEDaS1P_S1Q_EUlS1P_E_NS1_11comp_targetILNS1_3genE0ELNS1_11target_archE4294967295ELNS1_3gpuE0ELNS1_3repE0EEENS1_30default_config_static_selectorELNS0_4arch9wavefront6targetE0EEEvS12_,"axG",@progbits,_ZN7rocprim17ROCPRIM_400000_NS6detail17trampoline_kernelINS0_13select_configILj256ELj13ELNS0_17block_load_methodE3ELS4_3ELS4_3ELNS0_20block_scan_algorithmE0ELj4294967295EEENS1_25partition_config_selectorILNS1_17partition_subalgoE4EjNS0_10empty_typeEbEEZZNS1_14partition_implILS8_4ELb0ES6_15HIP_vector_typeIjLj2EENS0_17counting_iteratorIjlEEPS9_SG_NS0_5tupleIJPjSI_NS0_16reverse_iteratorISI_EEEEENSH_IJSG_SG_SG_EEES9_SI_JZNS1_25segmented_radix_sort_implINS0_14default_configELb1EPKiPiPKlPlN2at6native12_GLOBAL__N_18offset_tEEE10hipError_tPvRmT1_PNSt15iterator_traitsIS12_E10value_typeET2_T3_PNS13_IS18_E10value_typeET4_jRbjT5_S1E_jjP12ihipStream_tbEUljE_ZNSN_ISO_Lb1ESQ_SR_ST_SU_SY_EESZ_S10_S11_S12_S16_S17_S18_S1B_S1C_jS1D_jS1E_S1E_jjS1G_bEUljE0_EEESZ_S10_S11_S18_S1C_S1E_T6_T7_T9_mT8_S1G_bDpT10_ENKUlT_T0_E_clISt17integral_constantIbLb0EES1U_EEDaS1P_S1Q_EUlS1P_E_NS1_11comp_targetILNS1_3genE0ELNS1_11target_archE4294967295ELNS1_3gpuE0ELNS1_3repE0EEENS1_30default_config_static_selectorELNS0_4arch9wavefront6targetE0EEEvS12_,comdat
.Lfunc_end433:
	.size	_ZN7rocprim17ROCPRIM_400000_NS6detail17trampoline_kernelINS0_13select_configILj256ELj13ELNS0_17block_load_methodE3ELS4_3ELS4_3ELNS0_20block_scan_algorithmE0ELj4294967295EEENS1_25partition_config_selectorILNS1_17partition_subalgoE4EjNS0_10empty_typeEbEEZZNS1_14partition_implILS8_4ELb0ES6_15HIP_vector_typeIjLj2EENS0_17counting_iteratorIjlEEPS9_SG_NS0_5tupleIJPjSI_NS0_16reverse_iteratorISI_EEEEENSH_IJSG_SG_SG_EEES9_SI_JZNS1_25segmented_radix_sort_implINS0_14default_configELb1EPKiPiPKlPlN2at6native12_GLOBAL__N_18offset_tEEE10hipError_tPvRmT1_PNSt15iterator_traitsIS12_E10value_typeET2_T3_PNS13_IS18_E10value_typeET4_jRbjT5_S1E_jjP12ihipStream_tbEUljE_ZNSN_ISO_Lb1ESQ_SR_ST_SU_SY_EESZ_S10_S11_S12_S16_S17_S18_S1B_S1C_jS1D_jS1E_S1E_jjS1G_bEUljE0_EEESZ_S10_S11_S18_S1C_S1E_T6_T7_T9_mT8_S1G_bDpT10_ENKUlT_T0_E_clISt17integral_constantIbLb0EES1U_EEDaS1P_S1Q_EUlS1P_E_NS1_11comp_targetILNS1_3genE0ELNS1_11target_archE4294967295ELNS1_3gpuE0ELNS1_3repE0EEENS1_30default_config_static_selectorELNS0_4arch9wavefront6targetE0EEEvS12_, .Lfunc_end433-_ZN7rocprim17ROCPRIM_400000_NS6detail17trampoline_kernelINS0_13select_configILj256ELj13ELNS0_17block_load_methodE3ELS4_3ELS4_3ELNS0_20block_scan_algorithmE0ELj4294967295EEENS1_25partition_config_selectorILNS1_17partition_subalgoE4EjNS0_10empty_typeEbEEZZNS1_14partition_implILS8_4ELb0ES6_15HIP_vector_typeIjLj2EENS0_17counting_iteratorIjlEEPS9_SG_NS0_5tupleIJPjSI_NS0_16reverse_iteratorISI_EEEEENSH_IJSG_SG_SG_EEES9_SI_JZNS1_25segmented_radix_sort_implINS0_14default_configELb1EPKiPiPKlPlN2at6native12_GLOBAL__N_18offset_tEEE10hipError_tPvRmT1_PNSt15iterator_traitsIS12_E10value_typeET2_T3_PNS13_IS18_E10value_typeET4_jRbjT5_S1E_jjP12ihipStream_tbEUljE_ZNSN_ISO_Lb1ESQ_SR_ST_SU_SY_EESZ_S10_S11_S12_S16_S17_S18_S1B_S1C_jS1D_jS1E_S1E_jjS1G_bEUljE0_EEESZ_S10_S11_S18_S1C_S1E_T6_T7_T9_mT8_S1G_bDpT10_ENKUlT_T0_E_clISt17integral_constantIbLb0EES1U_EEDaS1P_S1Q_EUlS1P_E_NS1_11comp_targetILNS1_3genE0ELNS1_11target_archE4294967295ELNS1_3gpuE0ELNS1_3repE0EEENS1_30default_config_static_selectorELNS0_4arch9wavefront6targetE0EEEvS12_
                                        ; -- End function
	.set _ZN7rocprim17ROCPRIM_400000_NS6detail17trampoline_kernelINS0_13select_configILj256ELj13ELNS0_17block_load_methodE3ELS4_3ELS4_3ELNS0_20block_scan_algorithmE0ELj4294967295EEENS1_25partition_config_selectorILNS1_17partition_subalgoE4EjNS0_10empty_typeEbEEZZNS1_14partition_implILS8_4ELb0ES6_15HIP_vector_typeIjLj2EENS0_17counting_iteratorIjlEEPS9_SG_NS0_5tupleIJPjSI_NS0_16reverse_iteratorISI_EEEEENSH_IJSG_SG_SG_EEES9_SI_JZNS1_25segmented_radix_sort_implINS0_14default_configELb1EPKiPiPKlPlN2at6native12_GLOBAL__N_18offset_tEEE10hipError_tPvRmT1_PNSt15iterator_traitsIS12_E10value_typeET2_T3_PNS13_IS18_E10value_typeET4_jRbjT5_S1E_jjP12ihipStream_tbEUljE_ZNSN_ISO_Lb1ESQ_SR_ST_SU_SY_EESZ_S10_S11_S12_S16_S17_S18_S1B_S1C_jS1D_jS1E_S1E_jjS1G_bEUljE0_EEESZ_S10_S11_S18_S1C_S1E_T6_T7_T9_mT8_S1G_bDpT10_ENKUlT_T0_E_clISt17integral_constantIbLb0EES1U_EEDaS1P_S1Q_EUlS1P_E_NS1_11comp_targetILNS1_3genE0ELNS1_11target_archE4294967295ELNS1_3gpuE0ELNS1_3repE0EEENS1_30default_config_static_selectorELNS0_4arch9wavefront6targetE0EEEvS12_.num_vgpr, 0
	.set _ZN7rocprim17ROCPRIM_400000_NS6detail17trampoline_kernelINS0_13select_configILj256ELj13ELNS0_17block_load_methodE3ELS4_3ELS4_3ELNS0_20block_scan_algorithmE0ELj4294967295EEENS1_25partition_config_selectorILNS1_17partition_subalgoE4EjNS0_10empty_typeEbEEZZNS1_14partition_implILS8_4ELb0ES6_15HIP_vector_typeIjLj2EENS0_17counting_iteratorIjlEEPS9_SG_NS0_5tupleIJPjSI_NS0_16reverse_iteratorISI_EEEEENSH_IJSG_SG_SG_EEES9_SI_JZNS1_25segmented_radix_sort_implINS0_14default_configELb1EPKiPiPKlPlN2at6native12_GLOBAL__N_18offset_tEEE10hipError_tPvRmT1_PNSt15iterator_traitsIS12_E10value_typeET2_T3_PNS13_IS18_E10value_typeET4_jRbjT5_S1E_jjP12ihipStream_tbEUljE_ZNSN_ISO_Lb1ESQ_SR_ST_SU_SY_EESZ_S10_S11_S12_S16_S17_S18_S1B_S1C_jS1D_jS1E_S1E_jjS1G_bEUljE0_EEESZ_S10_S11_S18_S1C_S1E_T6_T7_T9_mT8_S1G_bDpT10_ENKUlT_T0_E_clISt17integral_constantIbLb0EES1U_EEDaS1P_S1Q_EUlS1P_E_NS1_11comp_targetILNS1_3genE0ELNS1_11target_archE4294967295ELNS1_3gpuE0ELNS1_3repE0EEENS1_30default_config_static_selectorELNS0_4arch9wavefront6targetE0EEEvS12_.num_agpr, 0
	.set _ZN7rocprim17ROCPRIM_400000_NS6detail17trampoline_kernelINS0_13select_configILj256ELj13ELNS0_17block_load_methodE3ELS4_3ELS4_3ELNS0_20block_scan_algorithmE0ELj4294967295EEENS1_25partition_config_selectorILNS1_17partition_subalgoE4EjNS0_10empty_typeEbEEZZNS1_14partition_implILS8_4ELb0ES6_15HIP_vector_typeIjLj2EENS0_17counting_iteratorIjlEEPS9_SG_NS0_5tupleIJPjSI_NS0_16reverse_iteratorISI_EEEEENSH_IJSG_SG_SG_EEES9_SI_JZNS1_25segmented_radix_sort_implINS0_14default_configELb1EPKiPiPKlPlN2at6native12_GLOBAL__N_18offset_tEEE10hipError_tPvRmT1_PNSt15iterator_traitsIS12_E10value_typeET2_T3_PNS13_IS18_E10value_typeET4_jRbjT5_S1E_jjP12ihipStream_tbEUljE_ZNSN_ISO_Lb1ESQ_SR_ST_SU_SY_EESZ_S10_S11_S12_S16_S17_S18_S1B_S1C_jS1D_jS1E_S1E_jjS1G_bEUljE0_EEESZ_S10_S11_S18_S1C_S1E_T6_T7_T9_mT8_S1G_bDpT10_ENKUlT_T0_E_clISt17integral_constantIbLb0EES1U_EEDaS1P_S1Q_EUlS1P_E_NS1_11comp_targetILNS1_3genE0ELNS1_11target_archE4294967295ELNS1_3gpuE0ELNS1_3repE0EEENS1_30default_config_static_selectorELNS0_4arch9wavefront6targetE0EEEvS12_.numbered_sgpr, 0
	.set _ZN7rocprim17ROCPRIM_400000_NS6detail17trampoline_kernelINS0_13select_configILj256ELj13ELNS0_17block_load_methodE3ELS4_3ELS4_3ELNS0_20block_scan_algorithmE0ELj4294967295EEENS1_25partition_config_selectorILNS1_17partition_subalgoE4EjNS0_10empty_typeEbEEZZNS1_14partition_implILS8_4ELb0ES6_15HIP_vector_typeIjLj2EENS0_17counting_iteratorIjlEEPS9_SG_NS0_5tupleIJPjSI_NS0_16reverse_iteratorISI_EEEEENSH_IJSG_SG_SG_EEES9_SI_JZNS1_25segmented_radix_sort_implINS0_14default_configELb1EPKiPiPKlPlN2at6native12_GLOBAL__N_18offset_tEEE10hipError_tPvRmT1_PNSt15iterator_traitsIS12_E10value_typeET2_T3_PNS13_IS18_E10value_typeET4_jRbjT5_S1E_jjP12ihipStream_tbEUljE_ZNSN_ISO_Lb1ESQ_SR_ST_SU_SY_EESZ_S10_S11_S12_S16_S17_S18_S1B_S1C_jS1D_jS1E_S1E_jjS1G_bEUljE0_EEESZ_S10_S11_S18_S1C_S1E_T6_T7_T9_mT8_S1G_bDpT10_ENKUlT_T0_E_clISt17integral_constantIbLb0EES1U_EEDaS1P_S1Q_EUlS1P_E_NS1_11comp_targetILNS1_3genE0ELNS1_11target_archE4294967295ELNS1_3gpuE0ELNS1_3repE0EEENS1_30default_config_static_selectorELNS0_4arch9wavefront6targetE0EEEvS12_.num_named_barrier, 0
	.set _ZN7rocprim17ROCPRIM_400000_NS6detail17trampoline_kernelINS0_13select_configILj256ELj13ELNS0_17block_load_methodE3ELS4_3ELS4_3ELNS0_20block_scan_algorithmE0ELj4294967295EEENS1_25partition_config_selectorILNS1_17partition_subalgoE4EjNS0_10empty_typeEbEEZZNS1_14partition_implILS8_4ELb0ES6_15HIP_vector_typeIjLj2EENS0_17counting_iteratorIjlEEPS9_SG_NS0_5tupleIJPjSI_NS0_16reverse_iteratorISI_EEEEENSH_IJSG_SG_SG_EEES9_SI_JZNS1_25segmented_radix_sort_implINS0_14default_configELb1EPKiPiPKlPlN2at6native12_GLOBAL__N_18offset_tEEE10hipError_tPvRmT1_PNSt15iterator_traitsIS12_E10value_typeET2_T3_PNS13_IS18_E10value_typeET4_jRbjT5_S1E_jjP12ihipStream_tbEUljE_ZNSN_ISO_Lb1ESQ_SR_ST_SU_SY_EESZ_S10_S11_S12_S16_S17_S18_S1B_S1C_jS1D_jS1E_S1E_jjS1G_bEUljE0_EEESZ_S10_S11_S18_S1C_S1E_T6_T7_T9_mT8_S1G_bDpT10_ENKUlT_T0_E_clISt17integral_constantIbLb0EES1U_EEDaS1P_S1Q_EUlS1P_E_NS1_11comp_targetILNS1_3genE0ELNS1_11target_archE4294967295ELNS1_3gpuE0ELNS1_3repE0EEENS1_30default_config_static_selectorELNS0_4arch9wavefront6targetE0EEEvS12_.private_seg_size, 0
	.set _ZN7rocprim17ROCPRIM_400000_NS6detail17trampoline_kernelINS0_13select_configILj256ELj13ELNS0_17block_load_methodE3ELS4_3ELS4_3ELNS0_20block_scan_algorithmE0ELj4294967295EEENS1_25partition_config_selectorILNS1_17partition_subalgoE4EjNS0_10empty_typeEbEEZZNS1_14partition_implILS8_4ELb0ES6_15HIP_vector_typeIjLj2EENS0_17counting_iteratorIjlEEPS9_SG_NS0_5tupleIJPjSI_NS0_16reverse_iteratorISI_EEEEENSH_IJSG_SG_SG_EEES9_SI_JZNS1_25segmented_radix_sort_implINS0_14default_configELb1EPKiPiPKlPlN2at6native12_GLOBAL__N_18offset_tEEE10hipError_tPvRmT1_PNSt15iterator_traitsIS12_E10value_typeET2_T3_PNS13_IS18_E10value_typeET4_jRbjT5_S1E_jjP12ihipStream_tbEUljE_ZNSN_ISO_Lb1ESQ_SR_ST_SU_SY_EESZ_S10_S11_S12_S16_S17_S18_S1B_S1C_jS1D_jS1E_S1E_jjS1G_bEUljE0_EEESZ_S10_S11_S18_S1C_S1E_T6_T7_T9_mT8_S1G_bDpT10_ENKUlT_T0_E_clISt17integral_constantIbLb0EES1U_EEDaS1P_S1Q_EUlS1P_E_NS1_11comp_targetILNS1_3genE0ELNS1_11target_archE4294967295ELNS1_3gpuE0ELNS1_3repE0EEENS1_30default_config_static_selectorELNS0_4arch9wavefront6targetE0EEEvS12_.uses_vcc, 0
	.set _ZN7rocprim17ROCPRIM_400000_NS6detail17trampoline_kernelINS0_13select_configILj256ELj13ELNS0_17block_load_methodE3ELS4_3ELS4_3ELNS0_20block_scan_algorithmE0ELj4294967295EEENS1_25partition_config_selectorILNS1_17partition_subalgoE4EjNS0_10empty_typeEbEEZZNS1_14partition_implILS8_4ELb0ES6_15HIP_vector_typeIjLj2EENS0_17counting_iteratorIjlEEPS9_SG_NS0_5tupleIJPjSI_NS0_16reverse_iteratorISI_EEEEENSH_IJSG_SG_SG_EEES9_SI_JZNS1_25segmented_radix_sort_implINS0_14default_configELb1EPKiPiPKlPlN2at6native12_GLOBAL__N_18offset_tEEE10hipError_tPvRmT1_PNSt15iterator_traitsIS12_E10value_typeET2_T3_PNS13_IS18_E10value_typeET4_jRbjT5_S1E_jjP12ihipStream_tbEUljE_ZNSN_ISO_Lb1ESQ_SR_ST_SU_SY_EESZ_S10_S11_S12_S16_S17_S18_S1B_S1C_jS1D_jS1E_S1E_jjS1G_bEUljE0_EEESZ_S10_S11_S18_S1C_S1E_T6_T7_T9_mT8_S1G_bDpT10_ENKUlT_T0_E_clISt17integral_constantIbLb0EES1U_EEDaS1P_S1Q_EUlS1P_E_NS1_11comp_targetILNS1_3genE0ELNS1_11target_archE4294967295ELNS1_3gpuE0ELNS1_3repE0EEENS1_30default_config_static_selectorELNS0_4arch9wavefront6targetE0EEEvS12_.uses_flat_scratch, 0
	.set _ZN7rocprim17ROCPRIM_400000_NS6detail17trampoline_kernelINS0_13select_configILj256ELj13ELNS0_17block_load_methodE3ELS4_3ELS4_3ELNS0_20block_scan_algorithmE0ELj4294967295EEENS1_25partition_config_selectorILNS1_17partition_subalgoE4EjNS0_10empty_typeEbEEZZNS1_14partition_implILS8_4ELb0ES6_15HIP_vector_typeIjLj2EENS0_17counting_iteratorIjlEEPS9_SG_NS0_5tupleIJPjSI_NS0_16reverse_iteratorISI_EEEEENSH_IJSG_SG_SG_EEES9_SI_JZNS1_25segmented_radix_sort_implINS0_14default_configELb1EPKiPiPKlPlN2at6native12_GLOBAL__N_18offset_tEEE10hipError_tPvRmT1_PNSt15iterator_traitsIS12_E10value_typeET2_T3_PNS13_IS18_E10value_typeET4_jRbjT5_S1E_jjP12ihipStream_tbEUljE_ZNSN_ISO_Lb1ESQ_SR_ST_SU_SY_EESZ_S10_S11_S12_S16_S17_S18_S1B_S1C_jS1D_jS1E_S1E_jjS1G_bEUljE0_EEESZ_S10_S11_S18_S1C_S1E_T6_T7_T9_mT8_S1G_bDpT10_ENKUlT_T0_E_clISt17integral_constantIbLb0EES1U_EEDaS1P_S1Q_EUlS1P_E_NS1_11comp_targetILNS1_3genE0ELNS1_11target_archE4294967295ELNS1_3gpuE0ELNS1_3repE0EEENS1_30default_config_static_selectorELNS0_4arch9wavefront6targetE0EEEvS12_.has_dyn_sized_stack, 0
	.set _ZN7rocprim17ROCPRIM_400000_NS6detail17trampoline_kernelINS0_13select_configILj256ELj13ELNS0_17block_load_methodE3ELS4_3ELS4_3ELNS0_20block_scan_algorithmE0ELj4294967295EEENS1_25partition_config_selectorILNS1_17partition_subalgoE4EjNS0_10empty_typeEbEEZZNS1_14partition_implILS8_4ELb0ES6_15HIP_vector_typeIjLj2EENS0_17counting_iteratorIjlEEPS9_SG_NS0_5tupleIJPjSI_NS0_16reverse_iteratorISI_EEEEENSH_IJSG_SG_SG_EEES9_SI_JZNS1_25segmented_radix_sort_implINS0_14default_configELb1EPKiPiPKlPlN2at6native12_GLOBAL__N_18offset_tEEE10hipError_tPvRmT1_PNSt15iterator_traitsIS12_E10value_typeET2_T3_PNS13_IS18_E10value_typeET4_jRbjT5_S1E_jjP12ihipStream_tbEUljE_ZNSN_ISO_Lb1ESQ_SR_ST_SU_SY_EESZ_S10_S11_S12_S16_S17_S18_S1B_S1C_jS1D_jS1E_S1E_jjS1G_bEUljE0_EEESZ_S10_S11_S18_S1C_S1E_T6_T7_T9_mT8_S1G_bDpT10_ENKUlT_T0_E_clISt17integral_constantIbLb0EES1U_EEDaS1P_S1Q_EUlS1P_E_NS1_11comp_targetILNS1_3genE0ELNS1_11target_archE4294967295ELNS1_3gpuE0ELNS1_3repE0EEENS1_30default_config_static_selectorELNS0_4arch9wavefront6targetE0EEEvS12_.has_recursion, 0
	.set _ZN7rocprim17ROCPRIM_400000_NS6detail17trampoline_kernelINS0_13select_configILj256ELj13ELNS0_17block_load_methodE3ELS4_3ELS4_3ELNS0_20block_scan_algorithmE0ELj4294967295EEENS1_25partition_config_selectorILNS1_17partition_subalgoE4EjNS0_10empty_typeEbEEZZNS1_14partition_implILS8_4ELb0ES6_15HIP_vector_typeIjLj2EENS0_17counting_iteratorIjlEEPS9_SG_NS0_5tupleIJPjSI_NS0_16reverse_iteratorISI_EEEEENSH_IJSG_SG_SG_EEES9_SI_JZNS1_25segmented_radix_sort_implINS0_14default_configELb1EPKiPiPKlPlN2at6native12_GLOBAL__N_18offset_tEEE10hipError_tPvRmT1_PNSt15iterator_traitsIS12_E10value_typeET2_T3_PNS13_IS18_E10value_typeET4_jRbjT5_S1E_jjP12ihipStream_tbEUljE_ZNSN_ISO_Lb1ESQ_SR_ST_SU_SY_EESZ_S10_S11_S12_S16_S17_S18_S1B_S1C_jS1D_jS1E_S1E_jjS1G_bEUljE0_EEESZ_S10_S11_S18_S1C_S1E_T6_T7_T9_mT8_S1G_bDpT10_ENKUlT_T0_E_clISt17integral_constantIbLb0EES1U_EEDaS1P_S1Q_EUlS1P_E_NS1_11comp_targetILNS1_3genE0ELNS1_11target_archE4294967295ELNS1_3gpuE0ELNS1_3repE0EEENS1_30default_config_static_selectorELNS0_4arch9wavefront6targetE0EEEvS12_.has_indirect_call, 0
	.section	.AMDGPU.csdata,"",@progbits
; Kernel info:
; codeLenInByte = 0
; TotalNumSgprs: 0
; NumVgprs: 0
; ScratchSize: 0
; MemoryBound: 0
; FloatMode: 240
; IeeeMode: 1
; LDSByteSize: 0 bytes/workgroup (compile time only)
; SGPRBlocks: 0
; VGPRBlocks: 0
; NumSGPRsForWavesPerEU: 1
; NumVGPRsForWavesPerEU: 1
; Occupancy: 16
; WaveLimiterHint : 0
; COMPUTE_PGM_RSRC2:SCRATCH_EN: 0
; COMPUTE_PGM_RSRC2:USER_SGPR: 2
; COMPUTE_PGM_RSRC2:TRAP_HANDLER: 0
; COMPUTE_PGM_RSRC2:TGID_X_EN: 1
; COMPUTE_PGM_RSRC2:TGID_Y_EN: 0
; COMPUTE_PGM_RSRC2:TGID_Z_EN: 0
; COMPUTE_PGM_RSRC2:TIDIG_COMP_CNT: 0
	.section	.text._ZN7rocprim17ROCPRIM_400000_NS6detail17trampoline_kernelINS0_13select_configILj256ELj13ELNS0_17block_load_methodE3ELS4_3ELS4_3ELNS0_20block_scan_algorithmE0ELj4294967295EEENS1_25partition_config_selectorILNS1_17partition_subalgoE4EjNS0_10empty_typeEbEEZZNS1_14partition_implILS8_4ELb0ES6_15HIP_vector_typeIjLj2EENS0_17counting_iteratorIjlEEPS9_SG_NS0_5tupleIJPjSI_NS0_16reverse_iteratorISI_EEEEENSH_IJSG_SG_SG_EEES9_SI_JZNS1_25segmented_radix_sort_implINS0_14default_configELb1EPKiPiPKlPlN2at6native12_GLOBAL__N_18offset_tEEE10hipError_tPvRmT1_PNSt15iterator_traitsIS12_E10value_typeET2_T3_PNS13_IS18_E10value_typeET4_jRbjT5_S1E_jjP12ihipStream_tbEUljE_ZNSN_ISO_Lb1ESQ_SR_ST_SU_SY_EESZ_S10_S11_S12_S16_S17_S18_S1B_S1C_jS1D_jS1E_S1E_jjS1G_bEUljE0_EEESZ_S10_S11_S18_S1C_S1E_T6_T7_T9_mT8_S1G_bDpT10_ENKUlT_T0_E_clISt17integral_constantIbLb0EES1U_EEDaS1P_S1Q_EUlS1P_E_NS1_11comp_targetILNS1_3genE5ELNS1_11target_archE942ELNS1_3gpuE9ELNS1_3repE0EEENS1_30default_config_static_selectorELNS0_4arch9wavefront6targetE0EEEvS12_,"axG",@progbits,_ZN7rocprim17ROCPRIM_400000_NS6detail17trampoline_kernelINS0_13select_configILj256ELj13ELNS0_17block_load_methodE3ELS4_3ELS4_3ELNS0_20block_scan_algorithmE0ELj4294967295EEENS1_25partition_config_selectorILNS1_17partition_subalgoE4EjNS0_10empty_typeEbEEZZNS1_14partition_implILS8_4ELb0ES6_15HIP_vector_typeIjLj2EENS0_17counting_iteratorIjlEEPS9_SG_NS0_5tupleIJPjSI_NS0_16reverse_iteratorISI_EEEEENSH_IJSG_SG_SG_EEES9_SI_JZNS1_25segmented_radix_sort_implINS0_14default_configELb1EPKiPiPKlPlN2at6native12_GLOBAL__N_18offset_tEEE10hipError_tPvRmT1_PNSt15iterator_traitsIS12_E10value_typeET2_T3_PNS13_IS18_E10value_typeET4_jRbjT5_S1E_jjP12ihipStream_tbEUljE_ZNSN_ISO_Lb1ESQ_SR_ST_SU_SY_EESZ_S10_S11_S12_S16_S17_S18_S1B_S1C_jS1D_jS1E_S1E_jjS1G_bEUljE0_EEESZ_S10_S11_S18_S1C_S1E_T6_T7_T9_mT8_S1G_bDpT10_ENKUlT_T0_E_clISt17integral_constantIbLb0EES1U_EEDaS1P_S1Q_EUlS1P_E_NS1_11comp_targetILNS1_3genE5ELNS1_11target_archE942ELNS1_3gpuE9ELNS1_3repE0EEENS1_30default_config_static_selectorELNS0_4arch9wavefront6targetE0EEEvS12_,comdat
	.globl	_ZN7rocprim17ROCPRIM_400000_NS6detail17trampoline_kernelINS0_13select_configILj256ELj13ELNS0_17block_load_methodE3ELS4_3ELS4_3ELNS0_20block_scan_algorithmE0ELj4294967295EEENS1_25partition_config_selectorILNS1_17partition_subalgoE4EjNS0_10empty_typeEbEEZZNS1_14partition_implILS8_4ELb0ES6_15HIP_vector_typeIjLj2EENS0_17counting_iteratorIjlEEPS9_SG_NS0_5tupleIJPjSI_NS0_16reverse_iteratorISI_EEEEENSH_IJSG_SG_SG_EEES9_SI_JZNS1_25segmented_radix_sort_implINS0_14default_configELb1EPKiPiPKlPlN2at6native12_GLOBAL__N_18offset_tEEE10hipError_tPvRmT1_PNSt15iterator_traitsIS12_E10value_typeET2_T3_PNS13_IS18_E10value_typeET4_jRbjT5_S1E_jjP12ihipStream_tbEUljE_ZNSN_ISO_Lb1ESQ_SR_ST_SU_SY_EESZ_S10_S11_S12_S16_S17_S18_S1B_S1C_jS1D_jS1E_S1E_jjS1G_bEUljE0_EEESZ_S10_S11_S18_S1C_S1E_T6_T7_T9_mT8_S1G_bDpT10_ENKUlT_T0_E_clISt17integral_constantIbLb0EES1U_EEDaS1P_S1Q_EUlS1P_E_NS1_11comp_targetILNS1_3genE5ELNS1_11target_archE942ELNS1_3gpuE9ELNS1_3repE0EEENS1_30default_config_static_selectorELNS0_4arch9wavefront6targetE0EEEvS12_ ; -- Begin function _ZN7rocprim17ROCPRIM_400000_NS6detail17trampoline_kernelINS0_13select_configILj256ELj13ELNS0_17block_load_methodE3ELS4_3ELS4_3ELNS0_20block_scan_algorithmE0ELj4294967295EEENS1_25partition_config_selectorILNS1_17partition_subalgoE4EjNS0_10empty_typeEbEEZZNS1_14partition_implILS8_4ELb0ES6_15HIP_vector_typeIjLj2EENS0_17counting_iteratorIjlEEPS9_SG_NS0_5tupleIJPjSI_NS0_16reverse_iteratorISI_EEEEENSH_IJSG_SG_SG_EEES9_SI_JZNS1_25segmented_radix_sort_implINS0_14default_configELb1EPKiPiPKlPlN2at6native12_GLOBAL__N_18offset_tEEE10hipError_tPvRmT1_PNSt15iterator_traitsIS12_E10value_typeET2_T3_PNS13_IS18_E10value_typeET4_jRbjT5_S1E_jjP12ihipStream_tbEUljE_ZNSN_ISO_Lb1ESQ_SR_ST_SU_SY_EESZ_S10_S11_S12_S16_S17_S18_S1B_S1C_jS1D_jS1E_S1E_jjS1G_bEUljE0_EEESZ_S10_S11_S18_S1C_S1E_T6_T7_T9_mT8_S1G_bDpT10_ENKUlT_T0_E_clISt17integral_constantIbLb0EES1U_EEDaS1P_S1Q_EUlS1P_E_NS1_11comp_targetILNS1_3genE5ELNS1_11target_archE942ELNS1_3gpuE9ELNS1_3repE0EEENS1_30default_config_static_selectorELNS0_4arch9wavefront6targetE0EEEvS12_
	.p2align	8
	.type	_ZN7rocprim17ROCPRIM_400000_NS6detail17trampoline_kernelINS0_13select_configILj256ELj13ELNS0_17block_load_methodE3ELS4_3ELS4_3ELNS0_20block_scan_algorithmE0ELj4294967295EEENS1_25partition_config_selectorILNS1_17partition_subalgoE4EjNS0_10empty_typeEbEEZZNS1_14partition_implILS8_4ELb0ES6_15HIP_vector_typeIjLj2EENS0_17counting_iteratorIjlEEPS9_SG_NS0_5tupleIJPjSI_NS0_16reverse_iteratorISI_EEEEENSH_IJSG_SG_SG_EEES9_SI_JZNS1_25segmented_radix_sort_implINS0_14default_configELb1EPKiPiPKlPlN2at6native12_GLOBAL__N_18offset_tEEE10hipError_tPvRmT1_PNSt15iterator_traitsIS12_E10value_typeET2_T3_PNS13_IS18_E10value_typeET4_jRbjT5_S1E_jjP12ihipStream_tbEUljE_ZNSN_ISO_Lb1ESQ_SR_ST_SU_SY_EESZ_S10_S11_S12_S16_S17_S18_S1B_S1C_jS1D_jS1E_S1E_jjS1G_bEUljE0_EEESZ_S10_S11_S18_S1C_S1E_T6_T7_T9_mT8_S1G_bDpT10_ENKUlT_T0_E_clISt17integral_constantIbLb0EES1U_EEDaS1P_S1Q_EUlS1P_E_NS1_11comp_targetILNS1_3genE5ELNS1_11target_archE942ELNS1_3gpuE9ELNS1_3repE0EEENS1_30default_config_static_selectorELNS0_4arch9wavefront6targetE0EEEvS12_,@function
_ZN7rocprim17ROCPRIM_400000_NS6detail17trampoline_kernelINS0_13select_configILj256ELj13ELNS0_17block_load_methodE3ELS4_3ELS4_3ELNS0_20block_scan_algorithmE0ELj4294967295EEENS1_25partition_config_selectorILNS1_17partition_subalgoE4EjNS0_10empty_typeEbEEZZNS1_14partition_implILS8_4ELb0ES6_15HIP_vector_typeIjLj2EENS0_17counting_iteratorIjlEEPS9_SG_NS0_5tupleIJPjSI_NS0_16reverse_iteratorISI_EEEEENSH_IJSG_SG_SG_EEES9_SI_JZNS1_25segmented_radix_sort_implINS0_14default_configELb1EPKiPiPKlPlN2at6native12_GLOBAL__N_18offset_tEEE10hipError_tPvRmT1_PNSt15iterator_traitsIS12_E10value_typeET2_T3_PNS13_IS18_E10value_typeET4_jRbjT5_S1E_jjP12ihipStream_tbEUljE_ZNSN_ISO_Lb1ESQ_SR_ST_SU_SY_EESZ_S10_S11_S12_S16_S17_S18_S1B_S1C_jS1D_jS1E_S1E_jjS1G_bEUljE0_EEESZ_S10_S11_S18_S1C_S1E_T6_T7_T9_mT8_S1G_bDpT10_ENKUlT_T0_E_clISt17integral_constantIbLb0EES1U_EEDaS1P_S1Q_EUlS1P_E_NS1_11comp_targetILNS1_3genE5ELNS1_11target_archE942ELNS1_3gpuE9ELNS1_3repE0EEENS1_30default_config_static_selectorELNS0_4arch9wavefront6targetE0EEEvS12_: ; @_ZN7rocprim17ROCPRIM_400000_NS6detail17trampoline_kernelINS0_13select_configILj256ELj13ELNS0_17block_load_methodE3ELS4_3ELS4_3ELNS0_20block_scan_algorithmE0ELj4294967295EEENS1_25partition_config_selectorILNS1_17partition_subalgoE4EjNS0_10empty_typeEbEEZZNS1_14partition_implILS8_4ELb0ES6_15HIP_vector_typeIjLj2EENS0_17counting_iteratorIjlEEPS9_SG_NS0_5tupleIJPjSI_NS0_16reverse_iteratorISI_EEEEENSH_IJSG_SG_SG_EEES9_SI_JZNS1_25segmented_radix_sort_implINS0_14default_configELb1EPKiPiPKlPlN2at6native12_GLOBAL__N_18offset_tEEE10hipError_tPvRmT1_PNSt15iterator_traitsIS12_E10value_typeET2_T3_PNS13_IS18_E10value_typeET4_jRbjT5_S1E_jjP12ihipStream_tbEUljE_ZNSN_ISO_Lb1ESQ_SR_ST_SU_SY_EESZ_S10_S11_S12_S16_S17_S18_S1B_S1C_jS1D_jS1E_S1E_jjS1G_bEUljE0_EEESZ_S10_S11_S18_S1C_S1E_T6_T7_T9_mT8_S1G_bDpT10_ENKUlT_T0_E_clISt17integral_constantIbLb0EES1U_EEDaS1P_S1Q_EUlS1P_E_NS1_11comp_targetILNS1_3genE5ELNS1_11target_archE942ELNS1_3gpuE9ELNS1_3repE0EEENS1_30default_config_static_selectorELNS0_4arch9wavefront6targetE0EEEvS12_
; %bb.0:
	.section	.rodata,"a",@progbits
	.p2align	6, 0x0
	.amdhsa_kernel _ZN7rocprim17ROCPRIM_400000_NS6detail17trampoline_kernelINS0_13select_configILj256ELj13ELNS0_17block_load_methodE3ELS4_3ELS4_3ELNS0_20block_scan_algorithmE0ELj4294967295EEENS1_25partition_config_selectorILNS1_17partition_subalgoE4EjNS0_10empty_typeEbEEZZNS1_14partition_implILS8_4ELb0ES6_15HIP_vector_typeIjLj2EENS0_17counting_iteratorIjlEEPS9_SG_NS0_5tupleIJPjSI_NS0_16reverse_iteratorISI_EEEEENSH_IJSG_SG_SG_EEES9_SI_JZNS1_25segmented_radix_sort_implINS0_14default_configELb1EPKiPiPKlPlN2at6native12_GLOBAL__N_18offset_tEEE10hipError_tPvRmT1_PNSt15iterator_traitsIS12_E10value_typeET2_T3_PNS13_IS18_E10value_typeET4_jRbjT5_S1E_jjP12ihipStream_tbEUljE_ZNSN_ISO_Lb1ESQ_SR_ST_SU_SY_EESZ_S10_S11_S12_S16_S17_S18_S1B_S1C_jS1D_jS1E_S1E_jjS1G_bEUljE0_EEESZ_S10_S11_S18_S1C_S1E_T6_T7_T9_mT8_S1G_bDpT10_ENKUlT_T0_E_clISt17integral_constantIbLb0EES1U_EEDaS1P_S1Q_EUlS1P_E_NS1_11comp_targetILNS1_3genE5ELNS1_11target_archE942ELNS1_3gpuE9ELNS1_3repE0EEENS1_30default_config_static_selectorELNS0_4arch9wavefront6targetE0EEEvS12_
		.amdhsa_group_segment_fixed_size 0
		.amdhsa_private_segment_fixed_size 0
		.amdhsa_kernarg_size 176
		.amdhsa_user_sgpr_count 2
		.amdhsa_user_sgpr_dispatch_ptr 0
		.amdhsa_user_sgpr_queue_ptr 0
		.amdhsa_user_sgpr_kernarg_segment_ptr 1
		.amdhsa_user_sgpr_dispatch_id 0
		.amdhsa_user_sgpr_private_segment_size 0
		.amdhsa_wavefront_size32 1
		.amdhsa_uses_dynamic_stack 0
		.amdhsa_enable_private_segment 0
		.amdhsa_system_sgpr_workgroup_id_x 1
		.amdhsa_system_sgpr_workgroup_id_y 0
		.amdhsa_system_sgpr_workgroup_id_z 0
		.amdhsa_system_sgpr_workgroup_info 0
		.amdhsa_system_vgpr_workitem_id 0
		.amdhsa_next_free_vgpr 1
		.amdhsa_next_free_sgpr 1
		.amdhsa_reserve_vcc 0
		.amdhsa_float_round_mode_32 0
		.amdhsa_float_round_mode_16_64 0
		.amdhsa_float_denorm_mode_32 3
		.amdhsa_float_denorm_mode_16_64 3
		.amdhsa_fp16_overflow 0
		.amdhsa_workgroup_processor_mode 1
		.amdhsa_memory_ordered 1
		.amdhsa_forward_progress 1
		.amdhsa_inst_pref_size 0
		.amdhsa_round_robin_scheduling 0
		.amdhsa_exception_fp_ieee_invalid_op 0
		.amdhsa_exception_fp_denorm_src 0
		.amdhsa_exception_fp_ieee_div_zero 0
		.amdhsa_exception_fp_ieee_overflow 0
		.amdhsa_exception_fp_ieee_underflow 0
		.amdhsa_exception_fp_ieee_inexact 0
		.amdhsa_exception_int_div_zero 0
	.end_amdhsa_kernel
	.section	.text._ZN7rocprim17ROCPRIM_400000_NS6detail17trampoline_kernelINS0_13select_configILj256ELj13ELNS0_17block_load_methodE3ELS4_3ELS4_3ELNS0_20block_scan_algorithmE0ELj4294967295EEENS1_25partition_config_selectorILNS1_17partition_subalgoE4EjNS0_10empty_typeEbEEZZNS1_14partition_implILS8_4ELb0ES6_15HIP_vector_typeIjLj2EENS0_17counting_iteratorIjlEEPS9_SG_NS0_5tupleIJPjSI_NS0_16reverse_iteratorISI_EEEEENSH_IJSG_SG_SG_EEES9_SI_JZNS1_25segmented_radix_sort_implINS0_14default_configELb1EPKiPiPKlPlN2at6native12_GLOBAL__N_18offset_tEEE10hipError_tPvRmT1_PNSt15iterator_traitsIS12_E10value_typeET2_T3_PNS13_IS18_E10value_typeET4_jRbjT5_S1E_jjP12ihipStream_tbEUljE_ZNSN_ISO_Lb1ESQ_SR_ST_SU_SY_EESZ_S10_S11_S12_S16_S17_S18_S1B_S1C_jS1D_jS1E_S1E_jjS1G_bEUljE0_EEESZ_S10_S11_S18_S1C_S1E_T6_T7_T9_mT8_S1G_bDpT10_ENKUlT_T0_E_clISt17integral_constantIbLb0EES1U_EEDaS1P_S1Q_EUlS1P_E_NS1_11comp_targetILNS1_3genE5ELNS1_11target_archE942ELNS1_3gpuE9ELNS1_3repE0EEENS1_30default_config_static_selectorELNS0_4arch9wavefront6targetE0EEEvS12_,"axG",@progbits,_ZN7rocprim17ROCPRIM_400000_NS6detail17trampoline_kernelINS0_13select_configILj256ELj13ELNS0_17block_load_methodE3ELS4_3ELS4_3ELNS0_20block_scan_algorithmE0ELj4294967295EEENS1_25partition_config_selectorILNS1_17partition_subalgoE4EjNS0_10empty_typeEbEEZZNS1_14partition_implILS8_4ELb0ES6_15HIP_vector_typeIjLj2EENS0_17counting_iteratorIjlEEPS9_SG_NS0_5tupleIJPjSI_NS0_16reverse_iteratorISI_EEEEENSH_IJSG_SG_SG_EEES9_SI_JZNS1_25segmented_radix_sort_implINS0_14default_configELb1EPKiPiPKlPlN2at6native12_GLOBAL__N_18offset_tEEE10hipError_tPvRmT1_PNSt15iterator_traitsIS12_E10value_typeET2_T3_PNS13_IS18_E10value_typeET4_jRbjT5_S1E_jjP12ihipStream_tbEUljE_ZNSN_ISO_Lb1ESQ_SR_ST_SU_SY_EESZ_S10_S11_S12_S16_S17_S18_S1B_S1C_jS1D_jS1E_S1E_jjS1G_bEUljE0_EEESZ_S10_S11_S18_S1C_S1E_T6_T7_T9_mT8_S1G_bDpT10_ENKUlT_T0_E_clISt17integral_constantIbLb0EES1U_EEDaS1P_S1Q_EUlS1P_E_NS1_11comp_targetILNS1_3genE5ELNS1_11target_archE942ELNS1_3gpuE9ELNS1_3repE0EEENS1_30default_config_static_selectorELNS0_4arch9wavefront6targetE0EEEvS12_,comdat
.Lfunc_end434:
	.size	_ZN7rocprim17ROCPRIM_400000_NS6detail17trampoline_kernelINS0_13select_configILj256ELj13ELNS0_17block_load_methodE3ELS4_3ELS4_3ELNS0_20block_scan_algorithmE0ELj4294967295EEENS1_25partition_config_selectorILNS1_17partition_subalgoE4EjNS0_10empty_typeEbEEZZNS1_14partition_implILS8_4ELb0ES6_15HIP_vector_typeIjLj2EENS0_17counting_iteratorIjlEEPS9_SG_NS0_5tupleIJPjSI_NS0_16reverse_iteratorISI_EEEEENSH_IJSG_SG_SG_EEES9_SI_JZNS1_25segmented_radix_sort_implINS0_14default_configELb1EPKiPiPKlPlN2at6native12_GLOBAL__N_18offset_tEEE10hipError_tPvRmT1_PNSt15iterator_traitsIS12_E10value_typeET2_T3_PNS13_IS18_E10value_typeET4_jRbjT5_S1E_jjP12ihipStream_tbEUljE_ZNSN_ISO_Lb1ESQ_SR_ST_SU_SY_EESZ_S10_S11_S12_S16_S17_S18_S1B_S1C_jS1D_jS1E_S1E_jjS1G_bEUljE0_EEESZ_S10_S11_S18_S1C_S1E_T6_T7_T9_mT8_S1G_bDpT10_ENKUlT_T0_E_clISt17integral_constantIbLb0EES1U_EEDaS1P_S1Q_EUlS1P_E_NS1_11comp_targetILNS1_3genE5ELNS1_11target_archE942ELNS1_3gpuE9ELNS1_3repE0EEENS1_30default_config_static_selectorELNS0_4arch9wavefront6targetE0EEEvS12_, .Lfunc_end434-_ZN7rocprim17ROCPRIM_400000_NS6detail17trampoline_kernelINS0_13select_configILj256ELj13ELNS0_17block_load_methodE3ELS4_3ELS4_3ELNS0_20block_scan_algorithmE0ELj4294967295EEENS1_25partition_config_selectorILNS1_17partition_subalgoE4EjNS0_10empty_typeEbEEZZNS1_14partition_implILS8_4ELb0ES6_15HIP_vector_typeIjLj2EENS0_17counting_iteratorIjlEEPS9_SG_NS0_5tupleIJPjSI_NS0_16reverse_iteratorISI_EEEEENSH_IJSG_SG_SG_EEES9_SI_JZNS1_25segmented_radix_sort_implINS0_14default_configELb1EPKiPiPKlPlN2at6native12_GLOBAL__N_18offset_tEEE10hipError_tPvRmT1_PNSt15iterator_traitsIS12_E10value_typeET2_T3_PNS13_IS18_E10value_typeET4_jRbjT5_S1E_jjP12ihipStream_tbEUljE_ZNSN_ISO_Lb1ESQ_SR_ST_SU_SY_EESZ_S10_S11_S12_S16_S17_S18_S1B_S1C_jS1D_jS1E_S1E_jjS1G_bEUljE0_EEESZ_S10_S11_S18_S1C_S1E_T6_T7_T9_mT8_S1G_bDpT10_ENKUlT_T0_E_clISt17integral_constantIbLb0EES1U_EEDaS1P_S1Q_EUlS1P_E_NS1_11comp_targetILNS1_3genE5ELNS1_11target_archE942ELNS1_3gpuE9ELNS1_3repE0EEENS1_30default_config_static_selectorELNS0_4arch9wavefront6targetE0EEEvS12_
                                        ; -- End function
	.set _ZN7rocprim17ROCPRIM_400000_NS6detail17trampoline_kernelINS0_13select_configILj256ELj13ELNS0_17block_load_methodE3ELS4_3ELS4_3ELNS0_20block_scan_algorithmE0ELj4294967295EEENS1_25partition_config_selectorILNS1_17partition_subalgoE4EjNS0_10empty_typeEbEEZZNS1_14partition_implILS8_4ELb0ES6_15HIP_vector_typeIjLj2EENS0_17counting_iteratorIjlEEPS9_SG_NS0_5tupleIJPjSI_NS0_16reverse_iteratorISI_EEEEENSH_IJSG_SG_SG_EEES9_SI_JZNS1_25segmented_radix_sort_implINS0_14default_configELb1EPKiPiPKlPlN2at6native12_GLOBAL__N_18offset_tEEE10hipError_tPvRmT1_PNSt15iterator_traitsIS12_E10value_typeET2_T3_PNS13_IS18_E10value_typeET4_jRbjT5_S1E_jjP12ihipStream_tbEUljE_ZNSN_ISO_Lb1ESQ_SR_ST_SU_SY_EESZ_S10_S11_S12_S16_S17_S18_S1B_S1C_jS1D_jS1E_S1E_jjS1G_bEUljE0_EEESZ_S10_S11_S18_S1C_S1E_T6_T7_T9_mT8_S1G_bDpT10_ENKUlT_T0_E_clISt17integral_constantIbLb0EES1U_EEDaS1P_S1Q_EUlS1P_E_NS1_11comp_targetILNS1_3genE5ELNS1_11target_archE942ELNS1_3gpuE9ELNS1_3repE0EEENS1_30default_config_static_selectorELNS0_4arch9wavefront6targetE0EEEvS12_.num_vgpr, 0
	.set _ZN7rocprim17ROCPRIM_400000_NS6detail17trampoline_kernelINS0_13select_configILj256ELj13ELNS0_17block_load_methodE3ELS4_3ELS4_3ELNS0_20block_scan_algorithmE0ELj4294967295EEENS1_25partition_config_selectorILNS1_17partition_subalgoE4EjNS0_10empty_typeEbEEZZNS1_14partition_implILS8_4ELb0ES6_15HIP_vector_typeIjLj2EENS0_17counting_iteratorIjlEEPS9_SG_NS0_5tupleIJPjSI_NS0_16reverse_iteratorISI_EEEEENSH_IJSG_SG_SG_EEES9_SI_JZNS1_25segmented_radix_sort_implINS0_14default_configELb1EPKiPiPKlPlN2at6native12_GLOBAL__N_18offset_tEEE10hipError_tPvRmT1_PNSt15iterator_traitsIS12_E10value_typeET2_T3_PNS13_IS18_E10value_typeET4_jRbjT5_S1E_jjP12ihipStream_tbEUljE_ZNSN_ISO_Lb1ESQ_SR_ST_SU_SY_EESZ_S10_S11_S12_S16_S17_S18_S1B_S1C_jS1D_jS1E_S1E_jjS1G_bEUljE0_EEESZ_S10_S11_S18_S1C_S1E_T6_T7_T9_mT8_S1G_bDpT10_ENKUlT_T0_E_clISt17integral_constantIbLb0EES1U_EEDaS1P_S1Q_EUlS1P_E_NS1_11comp_targetILNS1_3genE5ELNS1_11target_archE942ELNS1_3gpuE9ELNS1_3repE0EEENS1_30default_config_static_selectorELNS0_4arch9wavefront6targetE0EEEvS12_.num_agpr, 0
	.set _ZN7rocprim17ROCPRIM_400000_NS6detail17trampoline_kernelINS0_13select_configILj256ELj13ELNS0_17block_load_methodE3ELS4_3ELS4_3ELNS0_20block_scan_algorithmE0ELj4294967295EEENS1_25partition_config_selectorILNS1_17partition_subalgoE4EjNS0_10empty_typeEbEEZZNS1_14partition_implILS8_4ELb0ES6_15HIP_vector_typeIjLj2EENS0_17counting_iteratorIjlEEPS9_SG_NS0_5tupleIJPjSI_NS0_16reverse_iteratorISI_EEEEENSH_IJSG_SG_SG_EEES9_SI_JZNS1_25segmented_radix_sort_implINS0_14default_configELb1EPKiPiPKlPlN2at6native12_GLOBAL__N_18offset_tEEE10hipError_tPvRmT1_PNSt15iterator_traitsIS12_E10value_typeET2_T3_PNS13_IS18_E10value_typeET4_jRbjT5_S1E_jjP12ihipStream_tbEUljE_ZNSN_ISO_Lb1ESQ_SR_ST_SU_SY_EESZ_S10_S11_S12_S16_S17_S18_S1B_S1C_jS1D_jS1E_S1E_jjS1G_bEUljE0_EEESZ_S10_S11_S18_S1C_S1E_T6_T7_T9_mT8_S1G_bDpT10_ENKUlT_T0_E_clISt17integral_constantIbLb0EES1U_EEDaS1P_S1Q_EUlS1P_E_NS1_11comp_targetILNS1_3genE5ELNS1_11target_archE942ELNS1_3gpuE9ELNS1_3repE0EEENS1_30default_config_static_selectorELNS0_4arch9wavefront6targetE0EEEvS12_.numbered_sgpr, 0
	.set _ZN7rocprim17ROCPRIM_400000_NS6detail17trampoline_kernelINS0_13select_configILj256ELj13ELNS0_17block_load_methodE3ELS4_3ELS4_3ELNS0_20block_scan_algorithmE0ELj4294967295EEENS1_25partition_config_selectorILNS1_17partition_subalgoE4EjNS0_10empty_typeEbEEZZNS1_14partition_implILS8_4ELb0ES6_15HIP_vector_typeIjLj2EENS0_17counting_iteratorIjlEEPS9_SG_NS0_5tupleIJPjSI_NS0_16reverse_iteratorISI_EEEEENSH_IJSG_SG_SG_EEES9_SI_JZNS1_25segmented_radix_sort_implINS0_14default_configELb1EPKiPiPKlPlN2at6native12_GLOBAL__N_18offset_tEEE10hipError_tPvRmT1_PNSt15iterator_traitsIS12_E10value_typeET2_T3_PNS13_IS18_E10value_typeET4_jRbjT5_S1E_jjP12ihipStream_tbEUljE_ZNSN_ISO_Lb1ESQ_SR_ST_SU_SY_EESZ_S10_S11_S12_S16_S17_S18_S1B_S1C_jS1D_jS1E_S1E_jjS1G_bEUljE0_EEESZ_S10_S11_S18_S1C_S1E_T6_T7_T9_mT8_S1G_bDpT10_ENKUlT_T0_E_clISt17integral_constantIbLb0EES1U_EEDaS1P_S1Q_EUlS1P_E_NS1_11comp_targetILNS1_3genE5ELNS1_11target_archE942ELNS1_3gpuE9ELNS1_3repE0EEENS1_30default_config_static_selectorELNS0_4arch9wavefront6targetE0EEEvS12_.num_named_barrier, 0
	.set _ZN7rocprim17ROCPRIM_400000_NS6detail17trampoline_kernelINS0_13select_configILj256ELj13ELNS0_17block_load_methodE3ELS4_3ELS4_3ELNS0_20block_scan_algorithmE0ELj4294967295EEENS1_25partition_config_selectorILNS1_17partition_subalgoE4EjNS0_10empty_typeEbEEZZNS1_14partition_implILS8_4ELb0ES6_15HIP_vector_typeIjLj2EENS0_17counting_iteratorIjlEEPS9_SG_NS0_5tupleIJPjSI_NS0_16reverse_iteratorISI_EEEEENSH_IJSG_SG_SG_EEES9_SI_JZNS1_25segmented_radix_sort_implINS0_14default_configELb1EPKiPiPKlPlN2at6native12_GLOBAL__N_18offset_tEEE10hipError_tPvRmT1_PNSt15iterator_traitsIS12_E10value_typeET2_T3_PNS13_IS18_E10value_typeET4_jRbjT5_S1E_jjP12ihipStream_tbEUljE_ZNSN_ISO_Lb1ESQ_SR_ST_SU_SY_EESZ_S10_S11_S12_S16_S17_S18_S1B_S1C_jS1D_jS1E_S1E_jjS1G_bEUljE0_EEESZ_S10_S11_S18_S1C_S1E_T6_T7_T9_mT8_S1G_bDpT10_ENKUlT_T0_E_clISt17integral_constantIbLb0EES1U_EEDaS1P_S1Q_EUlS1P_E_NS1_11comp_targetILNS1_3genE5ELNS1_11target_archE942ELNS1_3gpuE9ELNS1_3repE0EEENS1_30default_config_static_selectorELNS0_4arch9wavefront6targetE0EEEvS12_.private_seg_size, 0
	.set _ZN7rocprim17ROCPRIM_400000_NS6detail17trampoline_kernelINS0_13select_configILj256ELj13ELNS0_17block_load_methodE3ELS4_3ELS4_3ELNS0_20block_scan_algorithmE0ELj4294967295EEENS1_25partition_config_selectorILNS1_17partition_subalgoE4EjNS0_10empty_typeEbEEZZNS1_14partition_implILS8_4ELb0ES6_15HIP_vector_typeIjLj2EENS0_17counting_iteratorIjlEEPS9_SG_NS0_5tupleIJPjSI_NS0_16reverse_iteratorISI_EEEEENSH_IJSG_SG_SG_EEES9_SI_JZNS1_25segmented_radix_sort_implINS0_14default_configELb1EPKiPiPKlPlN2at6native12_GLOBAL__N_18offset_tEEE10hipError_tPvRmT1_PNSt15iterator_traitsIS12_E10value_typeET2_T3_PNS13_IS18_E10value_typeET4_jRbjT5_S1E_jjP12ihipStream_tbEUljE_ZNSN_ISO_Lb1ESQ_SR_ST_SU_SY_EESZ_S10_S11_S12_S16_S17_S18_S1B_S1C_jS1D_jS1E_S1E_jjS1G_bEUljE0_EEESZ_S10_S11_S18_S1C_S1E_T6_T7_T9_mT8_S1G_bDpT10_ENKUlT_T0_E_clISt17integral_constantIbLb0EES1U_EEDaS1P_S1Q_EUlS1P_E_NS1_11comp_targetILNS1_3genE5ELNS1_11target_archE942ELNS1_3gpuE9ELNS1_3repE0EEENS1_30default_config_static_selectorELNS0_4arch9wavefront6targetE0EEEvS12_.uses_vcc, 0
	.set _ZN7rocprim17ROCPRIM_400000_NS6detail17trampoline_kernelINS0_13select_configILj256ELj13ELNS0_17block_load_methodE3ELS4_3ELS4_3ELNS0_20block_scan_algorithmE0ELj4294967295EEENS1_25partition_config_selectorILNS1_17partition_subalgoE4EjNS0_10empty_typeEbEEZZNS1_14partition_implILS8_4ELb0ES6_15HIP_vector_typeIjLj2EENS0_17counting_iteratorIjlEEPS9_SG_NS0_5tupleIJPjSI_NS0_16reverse_iteratorISI_EEEEENSH_IJSG_SG_SG_EEES9_SI_JZNS1_25segmented_radix_sort_implINS0_14default_configELb1EPKiPiPKlPlN2at6native12_GLOBAL__N_18offset_tEEE10hipError_tPvRmT1_PNSt15iterator_traitsIS12_E10value_typeET2_T3_PNS13_IS18_E10value_typeET4_jRbjT5_S1E_jjP12ihipStream_tbEUljE_ZNSN_ISO_Lb1ESQ_SR_ST_SU_SY_EESZ_S10_S11_S12_S16_S17_S18_S1B_S1C_jS1D_jS1E_S1E_jjS1G_bEUljE0_EEESZ_S10_S11_S18_S1C_S1E_T6_T7_T9_mT8_S1G_bDpT10_ENKUlT_T0_E_clISt17integral_constantIbLb0EES1U_EEDaS1P_S1Q_EUlS1P_E_NS1_11comp_targetILNS1_3genE5ELNS1_11target_archE942ELNS1_3gpuE9ELNS1_3repE0EEENS1_30default_config_static_selectorELNS0_4arch9wavefront6targetE0EEEvS12_.uses_flat_scratch, 0
	.set _ZN7rocprim17ROCPRIM_400000_NS6detail17trampoline_kernelINS0_13select_configILj256ELj13ELNS0_17block_load_methodE3ELS4_3ELS4_3ELNS0_20block_scan_algorithmE0ELj4294967295EEENS1_25partition_config_selectorILNS1_17partition_subalgoE4EjNS0_10empty_typeEbEEZZNS1_14partition_implILS8_4ELb0ES6_15HIP_vector_typeIjLj2EENS0_17counting_iteratorIjlEEPS9_SG_NS0_5tupleIJPjSI_NS0_16reverse_iteratorISI_EEEEENSH_IJSG_SG_SG_EEES9_SI_JZNS1_25segmented_radix_sort_implINS0_14default_configELb1EPKiPiPKlPlN2at6native12_GLOBAL__N_18offset_tEEE10hipError_tPvRmT1_PNSt15iterator_traitsIS12_E10value_typeET2_T3_PNS13_IS18_E10value_typeET4_jRbjT5_S1E_jjP12ihipStream_tbEUljE_ZNSN_ISO_Lb1ESQ_SR_ST_SU_SY_EESZ_S10_S11_S12_S16_S17_S18_S1B_S1C_jS1D_jS1E_S1E_jjS1G_bEUljE0_EEESZ_S10_S11_S18_S1C_S1E_T6_T7_T9_mT8_S1G_bDpT10_ENKUlT_T0_E_clISt17integral_constantIbLb0EES1U_EEDaS1P_S1Q_EUlS1P_E_NS1_11comp_targetILNS1_3genE5ELNS1_11target_archE942ELNS1_3gpuE9ELNS1_3repE0EEENS1_30default_config_static_selectorELNS0_4arch9wavefront6targetE0EEEvS12_.has_dyn_sized_stack, 0
	.set _ZN7rocprim17ROCPRIM_400000_NS6detail17trampoline_kernelINS0_13select_configILj256ELj13ELNS0_17block_load_methodE3ELS4_3ELS4_3ELNS0_20block_scan_algorithmE0ELj4294967295EEENS1_25partition_config_selectorILNS1_17partition_subalgoE4EjNS0_10empty_typeEbEEZZNS1_14partition_implILS8_4ELb0ES6_15HIP_vector_typeIjLj2EENS0_17counting_iteratorIjlEEPS9_SG_NS0_5tupleIJPjSI_NS0_16reverse_iteratorISI_EEEEENSH_IJSG_SG_SG_EEES9_SI_JZNS1_25segmented_radix_sort_implINS0_14default_configELb1EPKiPiPKlPlN2at6native12_GLOBAL__N_18offset_tEEE10hipError_tPvRmT1_PNSt15iterator_traitsIS12_E10value_typeET2_T3_PNS13_IS18_E10value_typeET4_jRbjT5_S1E_jjP12ihipStream_tbEUljE_ZNSN_ISO_Lb1ESQ_SR_ST_SU_SY_EESZ_S10_S11_S12_S16_S17_S18_S1B_S1C_jS1D_jS1E_S1E_jjS1G_bEUljE0_EEESZ_S10_S11_S18_S1C_S1E_T6_T7_T9_mT8_S1G_bDpT10_ENKUlT_T0_E_clISt17integral_constantIbLb0EES1U_EEDaS1P_S1Q_EUlS1P_E_NS1_11comp_targetILNS1_3genE5ELNS1_11target_archE942ELNS1_3gpuE9ELNS1_3repE0EEENS1_30default_config_static_selectorELNS0_4arch9wavefront6targetE0EEEvS12_.has_recursion, 0
	.set _ZN7rocprim17ROCPRIM_400000_NS6detail17trampoline_kernelINS0_13select_configILj256ELj13ELNS0_17block_load_methodE3ELS4_3ELS4_3ELNS0_20block_scan_algorithmE0ELj4294967295EEENS1_25partition_config_selectorILNS1_17partition_subalgoE4EjNS0_10empty_typeEbEEZZNS1_14partition_implILS8_4ELb0ES6_15HIP_vector_typeIjLj2EENS0_17counting_iteratorIjlEEPS9_SG_NS0_5tupleIJPjSI_NS0_16reverse_iteratorISI_EEEEENSH_IJSG_SG_SG_EEES9_SI_JZNS1_25segmented_radix_sort_implINS0_14default_configELb1EPKiPiPKlPlN2at6native12_GLOBAL__N_18offset_tEEE10hipError_tPvRmT1_PNSt15iterator_traitsIS12_E10value_typeET2_T3_PNS13_IS18_E10value_typeET4_jRbjT5_S1E_jjP12ihipStream_tbEUljE_ZNSN_ISO_Lb1ESQ_SR_ST_SU_SY_EESZ_S10_S11_S12_S16_S17_S18_S1B_S1C_jS1D_jS1E_S1E_jjS1G_bEUljE0_EEESZ_S10_S11_S18_S1C_S1E_T6_T7_T9_mT8_S1G_bDpT10_ENKUlT_T0_E_clISt17integral_constantIbLb0EES1U_EEDaS1P_S1Q_EUlS1P_E_NS1_11comp_targetILNS1_3genE5ELNS1_11target_archE942ELNS1_3gpuE9ELNS1_3repE0EEENS1_30default_config_static_selectorELNS0_4arch9wavefront6targetE0EEEvS12_.has_indirect_call, 0
	.section	.AMDGPU.csdata,"",@progbits
; Kernel info:
; codeLenInByte = 0
; TotalNumSgprs: 0
; NumVgprs: 0
; ScratchSize: 0
; MemoryBound: 0
; FloatMode: 240
; IeeeMode: 1
; LDSByteSize: 0 bytes/workgroup (compile time only)
; SGPRBlocks: 0
; VGPRBlocks: 0
; NumSGPRsForWavesPerEU: 1
; NumVGPRsForWavesPerEU: 1
; Occupancy: 16
; WaveLimiterHint : 0
; COMPUTE_PGM_RSRC2:SCRATCH_EN: 0
; COMPUTE_PGM_RSRC2:USER_SGPR: 2
; COMPUTE_PGM_RSRC2:TRAP_HANDLER: 0
; COMPUTE_PGM_RSRC2:TGID_X_EN: 1
; COMPUTE_PGM_RSRC2:TGID_Y_EN: 0
; COMPUTE_PGM_RSRC2:TGID_Z_EN: 0
; COMPUTE_PGM_RSRC2:TIDIG_COMP_CNT: 0
	.section	.text._ZN7rocprim17ROCPRIM_400000_NS6detail17trampoline_kernelINS0_13select_configILj256ELj13ELNS0_17block_load_methodE3ELS4_3ELS4_3ELNS0_20block_scan_algorithmE0ELj4294967295EEENS1_25partition_config_selectorILNS1_17partition_subalgoE4EjNS0_10empty_typeEbEEZZNS1_14partition_implILS8_4ELb0ES6_15HIP_vector_typeIjLj2EENS0_17counting_iteratorIjlEEPS9_SG_NS0_5tupleIJPjSI_NS0_16reverse_iteratorISI_EEEEENSH_IJSG_SG_SG_EEES9_SI_JZNS1_25segmented_radix_sort_implINS0_14default_configELb1EPKiPiPKlPlN2at6native12_GLOBAL__N_18offset_tEEE10hipError_tPvRmT1_PNSt15iterator_traitsIS12_E10value_typeET2_T3_PNS13_IS18_E10value_typeET4_jRbjT5_S1E_jjP12ihipStream_tbEUljE_ZNSN_ISO_Lb1ESQ_SR_ST_SU_SY_EESZ_S10_S11_S12_S16_S17_S18_S1B_S1C_jS1D_jS1E_S1E_jjS1G_bEUljE0_EEESZ_S10_S11_S18_S1C_S1E_T6_T7_T9_mT8_S1G_bDpT10_ENKUlT_T0_E_clISt17integral_constantIbLb0EES1U_EEDaS1P_S1Q_EUlS1P_E_NS1_11comp_targetILNS1_3genE4ELNS1_11target_archE910ELNS1_3gpuE8ELNS1_3repE0EEENS1_30default_config_static_selectorELNS0_4arch9wavefront6targetE0EEEvS12_,"axG",@progbits,_ZN7rocprim17ROCPRIM_400000_NS6detail17trampoline_kernelINS0_13select_configILj256ELj13ELNS0_17block_load_methodE3ELS4_3ELS4_3ELNS0_20block_scan_algorithmE0ELj4294967295EEENS1_25partition_config_selectorILNS1_17partition_subalgoE4EjNS0_10empty_typeEbEEZZNS1_14partition_implILS8_4ELb0ES6_15HIP_vector_typeIjLj2EENS0_17counting_iteratorIjlEEPS9_SG_NS0_5tupleIJPjSI_NS0_16reverse_iteratorISI_EEEEENSH_IJSG_SG_SG_EEES9_SI_JZNS1_25segmented_radix_sort_implINS0_14default_configELb1EPKiPiPKlPlN2at6native12_GLOBAL__N_18offset_tEEE10hipError_tPvRmT1_PNSt15iterator_traitsIS12_E10value_typeET2_T3_PNS13_IS18_E10value_typeET4_jRbjT5_S1E_jjP12ihipStream_tbEUljE_ZNSN_ISO_Lb1ESQ_SR_ST_SU_SY_EESZ_S10_S11_S12_S16_S17_S18_S1B_S1C_jS1D_jS1E_S1E_jjS1G_bEUljE0_EEESZ_S10_S11_S18_S1C_S1E_T6_T7_T9_mT8_S1G_bDpT10_ENKUlT_T0_E_clISt17integral_constantIbLb0EES1U_EEDaS1P_S1Q_EUlS1P_E_NS1_11comp_targetILNS1_3genE4ELNS1_11target_archE910ELNS1_3gpuE8ELNS1_3repE0EEENS1_30default_config_static_selectorELNS0_4arch9wavefront6targetE0EEEvS12_,comdat
	.globl	_ZN7rocprim17ROCPRIM_400000_NS6detail17trampoline_kernelINS0_13select_configILj256ELj13ELNS0_17block_load_methodE3ELS4_3ELS4_3ELNS0_20block_scan_algorithmE0ELj4294967295EEENS1_25partition_config_selectorILNS1_17partition_subalgoE4EjNS0_10empty_typeEbEEZZNS1_14partition_implILS8_4ELb0ES6_15HIP_vector_typeIjLj2EENS0_17counting_iteratorIjlEEPS9_SG_NS0_5tupleIJPjSI_NS0_16reverse_iteratorISI_EEEEENSH_IJSG_SG_SG_EEES9_SI_JZNS1_25segmented_radix_sort_implINS0_14default_configELb1EPKiPiPKlPlN2at6native12_GLOBAL__N_18offset_tEEE10hipError_tPvRmT1_PNSt15iterator_traitsIS12_E10value_typeET2_T3_PNS13_IS18_E10value_typeET4_jRbjT5_S1E_jjP12ihipStream_tbEUljE_ZNSN_ISO_Lb1ESQ_SR_ST_SU_SY_EESZ_S10_S11_S12_S16_S17_S18_S1B_S1C_jS1D_jS1E_S1E_jjS1G_bEUljE0_EEESZ_S10_S11_S18_S1C_S1E_T6_T7_T9_mT8_S1G_bDpT10_ENKUlT_T0_E_clISt17integral_constantIbLb0EES1U_EEDaS1P_S1Q_EUlS1P_E_NS1_11comp_targetILNS1_3genE4ELNS1_11target_archE910ELNS1_3gpuE8ELNS1_3repE0EEENS1_30default_config_static_selectorELNS0_4arch9wavefront6targetE0EEEvS12_ ; -- Begin function _ZN7rocprim17ROCPRIM_400000_NS6detail17trampoline_kernelINS0_13select_configILj256ELj13ELNS0_17block_load_methodE3ELS4_3ELS4_3ELNS0_20block_scan_algorithmE0ELj4294967295EEENS1_25partition_config_selectorILNS1_17partition_subalgoE4EjNS0_10empty_typeEbEEZZNS1_14partition_implILS8_4ELb0ES6_15HIP_vector_typeIjLj2EENS0_17counting_iteratorIjlEEPS9_SG_NS0_5tupleIJPjSI_NS0_16reverse_iteratorISI_EEEEENSH_IJSG_SG_SG_EEES9_SI_JZNS1_25segmented_radix_sort_implINS0_14default_configELb1EPKiPiPKlPlN2at6native12_GLOBAL__N_18offset_tEEE10hipError_tPvRmT1_PNSt15iterator_traitsIS12_E10value_typeET2_T3_PNS13_IS18_E10value_typeET4_jRbjT5_S1E_jjP12ihipStream_tbEUljE_ZNSN_ISO_Lb1ESQ_SR_ST_SU_SY_EESZ_S10_S11_S12_S16_S17_S18_S1B_S1C_jS1D_jS1E_S1E_jjS1G_bEUljE0_EEESZ_S10_S11_S18_S1C_S1E_T6_T7_T9_mT8_S1G_bDpT10_ENKUlT_T0_E_clISt17integral_constantIbLb0EES1U_EEDaS1P_S1Q_EUlS1P_E_NS1_11comp_targetILNS1_3genE4ELNS1_11target_archE910ELNS1_3gpuE8ELNS1_3repE0EEENS1_30default_config_static_selectorELNS0_4arch9wavefront6targetE0EEEvS12_
	.p2align	8
	.type	_ZN7rocprim17ROCPRIM_400000_NS6detail17trampoline_kernelINS0_13select_configILj256ELj13ELNS0_17block_load_methodE3ELS4_3ELS4_3ELNS0_20block_scan_algorithmE0ELj4294967295EEENS1_25partition_config_selectorILNS1_17partition_subalgoE4EjNS0_10empty_typeEbEEZZNS1_14partition_implILS8_4ELb0ES6_15HIP_vector_typeIjLj2EENS0_17counting_iteratorIjlEEPS9_SG_NS0_5tupleIJPjSI_NS0_16reverse_iteratorISI_EEEEENSH_IJSG_SG_SG_EEES9_SI_JZNS1_25segmented_radix_sort_implINS0_14default_configELb1EPKiPiPKlPlN2at6native12_GLOBAL__N_18offset_tEEE10hipError_tPvRmT1_PNSt15iterator_traitsIS12_E10value_typeET2_T3_PNS13_IS18_E10value_typeET4_jRbjT5_S1E_jjP12ihipStream_tbEUljE_ZNSN_ISO_Lb1ESQ_SR_ST_SU_SY_EESZ_S10_S11_S12_S16_S17_S18_S1B_S1C_jS1D_jS1E_S1E_jjS1G_bEUljE0_EEESZ_S10_S11_S18_S1C_S1E_T6_T7_T9_mT8_S1G_bDpT10_ENKUlT_T0_E_clISt17integral_constantIbLb0EES1U_EEDaS1P_S1Q_EUlS1P_E_NS1_11comp_targetILNS1_3genE4ELNS1_11target_archE910ELNS1_3gpuE8ELNS1_3repE0EEENS1_30default_config_static_selectorELNS0_4arch9wavefront6targetE0EEEvS12_,@function
_ZN7rocprim17ROCPRIM_400000_NS6detail17trampoline_kernelINS0_13select_configILj256ELj13ELNS0_17block_load_methodE3ELS4_3ELS4_3ELNS0_20block_scan_algorithmE0ELj4294967295EEENS1_25partition_config_selectorILNS1_17partition_subalgoE4EjNS0_10empty_typeEbEEZZNS1_14partition_implILS8_4ELb0ES6_15HIP_vector_typeIjLj2EENS0_17counting_iteratorIjlEEPS9_SG_NS0_5tupleIJPjSI_NS0_16reverse_iteratorISI_EEEEENSH_IJSG_SG_SG_EEES9_SI_JZNS1_25segmented_radix_sort_implINS0_14default_configELb1EPKiPiPKlPlN2at6native12_GLOBAL__N_18offset_tEEE10hipError_tPvRmT1_PNSt15iterator_traitsIS12_E10value_typeET2_T3_PNS13_IS18_E10value_typeET4_jRbjT5_S1E_jjP12ihipStream_tbEUljE_ZNSN_ISO_Lb1ESQ_SR_ST_SU_SY_EESZ_S10_S11_S12_S16_S17_S18_S1B_S1C_jS1D_jS1E_S1E_jjS1G_bEUljE0_EEESZ_S10_S11_S18_S1C_S1E_T6_T7_T9_mT8_S1G_bDpT10_ENKUlT_T0_E_clISt17integral_constantIbLb0EES1U_EEDaS1P_S1Q_EUlS1P_E_NS1_11comp_targetILNS1_3genE4ELNS1_11target_archE910ELNS1_3gpuE8ELNS1_3repE0EEENS1_30default_config_static_selectorELNS0_4arch9wavefront6targetE0EEEvS12_: ; @_ZN7rocprim17ROCPRIM_400000_NS6detail17trampoline_kernelINS0_13select_configILj256ELj13ELNS0_17block_load_methodE3ELS4_3ELS4_3ELNS0_20block_scan_algorithmE0ELj4294967295EEENS1_25partition_config_selectorILNS1_17partition_subalgoE4EjNS0_10empty_typeEbEEZZNS1_14partition_implILS8_4ELb0ES6_15HIP_vector_typeIjLj2EENS0_17counting_iteratorIjlEEPS9_SG_NS0_5tupleIJPjSI_NS0_16reverse_iteratorISI_EEEEENSH_IJSG_SG_SG_EEES9_SI_JZNS1_25segmented_radix_sort_implINS0_14default_configELb1EPKiPiPKlPlN2at6native12_GLOBAL__N_18offset_tEEE10hipError_tPvRmT1_PNSt15iterator_traitsIS12_E10value_typeET2_T3_PNS13_IS18_E10value_typeET4_jRbjT5_S1E_jjP12ihipStream_tbEUljE_ZNSN_ISO_Lb1ESQ_SR_ST_SU_SY_EESZ_S10_S11_S12_S16_S17_S18_S1B_S1C_jS1D_jS1E_S1E_jjS1G_bEUljE0_EEESZ_S10_S11_S18_S1C_S1E_T6_T7_T9_mT8_S1G_bDpT10_ENKUlT_T0_E_clISt17integral_constantIbLb0EES1U_EEDaS1P_S1Q_EUlS1P_E_NS1_11comp_targetILNS1_3genE4ELNS1_11target_archE910ELNS1_3gpuE8ELNS1_3repE0EEENS1_30default_config_static_selectorELNS0_4arch9wavefront6targetE0EEEvS12_
; %bb.0:
	.section	.rodata,"a",@progbits
	.p2align	6, 0x0
	.amdhsa_kernel _ZN7rocprim17ROCPRIM_400000_NS6detail17trampoline_kernelINS0_13select_configILj256ELj13ELNS0_17block_load_methodE3ELS4_3ELS4_3ELNS0_20block_scan_algorithmE0ELj4294967295EEENS1_25partition_config_selectorILNS1_17partition_subalgoE4EjNS0_10empty_typeEbEEZZNS1_14partition_implILS8_4ELb0ES6_15HIP_vector_typeIjLj2EENS0_17counting_iteratorIjlEEPS9_SG_NS0_5tupleIJPjSI_NS0_16reverse_iteratorISI_EEEEENSH_IJSG_SG_SG_EEES9_SI_JZNS1_25segmented_radix_sort_implINS0_14default_configELb1EPKiPiPKlPlN2at6native12_GLOBAL__N_18offset_tEEE10hipError_tPvRmT1_PNSt15iterator_traitsIS12_E10value_typeET2_T3_PNS13_IS18_E10value_typeET4_jRbjT5_S1E_jjP12ihipStream_tbEUljE_ZNSN_ISO_Lb1ESQ_SR_ST_SU_SY_EESZ_S10_S11_S12_S16_S17_S18_S1B_S1C_jS1D_jS1E_S1E_jjS1G_bEUljE0_EEESZ_S10_S11_S18_S1C_S1E_T6_T7_T9_mT8_S1G_bDpT10_ENKUlT_T0_E_clISt17integral_constantIbLb0EES1U_EEDaS1P_S1Q_EUlS1P_E_NS1_11comp_targetILNS1_3genE4ELNS1_11target_archE910ELNS1_3gpuE8ELNS1_3repE0EEENS1_30default_config_static_selectorELNS0_4arch9wavefront6targetE0EEEvS12_
		.amdhsa_group_segment_fixed_size 0
		.amdhsa_private_segment_fixed_size 0
		.amdhsa_kernarg_size 176
		.amdhsa_user_sgpr_count 2
		.amdhsa_user_sgpr_dispatch_ptr 0
		.amdhsa_user_sgpr_queue_ptr 0
		.amdhsa_user_sgpr_kernarg_segment_ptr 1
		.amdhsa_user_sgpr_dispatch_id 0
		.amdhsa_user_sgpr_private_segment_size 0
		.amdhsa_wavefront_size32 1
		.amdhsa_uses_dynamic_stack 0
		.amdhsa_enable_private_segment 0
		.amdhsa_system_sgpr_workgroup_id_x 1
		.amdhsa_system_sgpr_workgroup_id_y 0
		.amdhsa_system_sgpr_workgroup_id_z 0
		.amdhsa_system_sgpr_workgroup_info 0
		.amdhsa_system_vgpr_workitem_id 0
		.amdhsa_next_free_vgpr 1
		.amdhsa_next_free_sgpr 1
		.amdhsa_reserve_vcc 0
		.amdhsa_float_round_mode_32 0
		.amdhsa_float_round_mode_16_64 0
		.amdhsa_float_denorm_mode_32 3
		.amdhsa_float_denorm_mode_16_64 3
		.amdhsa_fp16_overflow 0
		.amdhsa_workgroup_processor_mode 1
		.amdhsa_memory_ordered 1
		.amdhsa_forward_progress 1
		.amdhsa_inst_pref_size 0
		.amdhsa_round_robin_scheduling 0
		.amdhsa_exception_fp_ieee_invalid_op 0
		.amdhsa_exception_fp_denorm_src 0
		.amdhsa_exception_fp_ieee_div_zero 0
		.amdhsa_exception_fp_ieee_overflow 0
		.amdhsa_exception_fp_ieee_underflow 0
		.amdhsa_exception_fp_ieee_inexact 0
		.amdhsa_exception_int_div_zero 0
	.end_amdhsa_kernel
	.section	.text._ZN7rocprim17ROCPRIM_400000_NS6detail17trampoline_kernelINS0_13select_configILj256ELj13ELNS0_17block_load_methodE3ELS4_3ELS4_3ELNS0_20block_scan_algorithmE0ELj4294967295EEENS1_25partition_config_selectorILNS1_17partition_subalgoE4EjNS0_10empty_typeEbEEZZNS1_14partition_implILS8_4ELb0ES6_15HIP_vector_typeIjLj2EENS0_17counting_iteratorIjlEEPS9_SG_NS0_5tupleIJPjSI_NS0_16reverse_iteratorISI_EEEEENSH_IJSG_SG_SG_EEES9_SI_JZNS1_25segmented_radix_sort_implINS0_14default_configELb1EPKiPiPKlPlN2at6native12_GLOBAL__N_18offset_tEEE10hipError_tPvRmT1_PNSt15iterator_traitsIS12_E10value_typeET2_T3_PNS13_IS18_E10value_typeET4_jRbjT5_S1E_jjP12ihipStream_tbEUljE_ZNSN_ISO_Lb1ESQ_SR_ST_SU_SY_EESZ_S10_S11_S12_S16_S17_S18_S1B_S1C_jS1D_jS1E_S1E_jjS1G_bEUljE0_EEESZ_S10_S11_S18_S1C_S1E_T6_T7_T9_mT8_S1G_bDpT10_ENKUlT_T0_E_clISt17integral_constantIbLb0EES1U_EEDaS1P_S1Q_EUlS1P_E_NS1_11comp_targetILNS1_3genE4ELNS1_11target_archE910ELNS1_3gpuE8ELNS1_3repE0EEENS1_30default_config_static_selectorELNS0_4arch9wavefront6targetE0EEEvS12_,"axG",@progbits,_ZN7rocprim17ROCPRIM_400000_NS6detail17trampoline_kernelINS0_13select_configILj256ELj13ELNS0_17block_load_methodE3ELS4_3ELS4_3ELNS0_20block_scan_algorithmE0ELj4294967295EEENS1_25partition_config_selectorILNS1_17partition_subalgoE4EjNS0_10empty_typeEbEEZZNS1_14partition_implILS8_4ELb0ES6_15HIP_vector_typeIjLj2EENS0_17counting_iteratorIjlEEPS9_SG_NS0_5tupleIJPjSI_NS0_16reverse_iteratorISI_EEEEENSH_IJSG_SG_SG_EEES9_SI_JZNS1_25segmented_radix_sort_implINS0_14default_configELb1EPKiPiPKlPlN2at6native12_GLOBAL__N_18offset_tEEE10hipError_tPvRmT1_PNSt15iterator_traitsIS12_E10value_typeET2_T3_PNS13_IS18_E10value_typeET4_jRbjT5_S1E_jjP12ihipStream_tbEUljE_ZNSN_ISO_Lb1ESQ_SR_ST_SU_SY_EESZ_S10_S11_S12_S16_S17_S18_S1B_S1C_jS1D_jS1E_S1E_jjS1G_bEUljE0_EEESZ_S10_S11_S18_S1C_S1E_T6_T7_T9_mT8_S1G_bDpT10_ENKUlT_T0_E_clISt17integral_constantIbLb0EES1U_EEDaS1P_S1Q_EUlS1P_E_NS1_11comp_targetILNS1_3genE4ELNS1_11target_archE910ELNS1_3gpuE8ELNS1_3repE0EEENS1_30default_config_static_selectorELNS0_4arch9wavefront6targetE0EEEvS12_,comdat
.Lfunc_end435:
	.size	_ZN7rocprim17ROCPRIM_400000_NS6detail17trampoline_kernelINS0_13select_configILj256ELj13ELNS0_17block_load_methodE3ELS4_3ELS4_3ELNS0_20block_scan_algorithmE0ELj4294967295EEENS1_25partition_config_selectorILNS1_17partition_subalgoE4EjNS0_10empty_typeEbEEZZNS1_14partition_implILS8_4ELb0ES6_15HIP_vector_typeIjLj2EENS0_17counting_iteratorIjlEEPS9_SG_NS0_5tupleIJPjSI_NS0_16reverse_iteratorISI_EEEEENSH_IJSG_SG_SG_EEES9_SI_JZNS1_25segmented_radix_sort_implINS0_14default_configELb1EPKiPiPKlPlN2at6native12_GLOBAL__N_18offset_tEEE10hipError_tPvRmT1_PNSt15iterator_traitsIS12_E10value_typeET2_T3_PNS13_IS18_E10value_typeET4_jRbjT5_S1E_jjP12ihipStream_tbEUljE_ZNSN_ISO_Lb1ESQ_SR_ST_SU_SY_EESZ_S10_S11_S12_S16_S17_S18_S1B_S1C_jS1D_jS1E_S1E_jjS1G_bEUljE0_EEESZ_S10_S11_S18_S1C_S1E_T6_T7_T9_mT8_S1G_bDpT10_ENKUlT_T0_E_clISt17integral_constantIbLb0EES1U_EEDaS1P_S1Q_EUlS1P_E_NS1_11comp_targetILNS1_3genE4ELNS1_11target_archE910ELNS1_3gpuE8ELNS1_3repE0EEENS1_30default_config_static_selectorELNS0_4arch9wavefront6targetE0EEEvS12_, .Lfunc_end435-_ZN7rocprim17ROCPRIM_400000_NS6detail17trampoline_kernelINS0_13select_configILj256ELj13ELNS0_17block_load_methodE3ELS4_3ELS4_3ELNS0_20block_scan_algorithmE0ELj4294967295EEENS1_25partition_config_selectorILNS1_17partition_subalgoE4EjNS0_10empty_typeEbEEZZNS1_14partition_implILS8_4ELb0ES6_15HIP_vector_typeIjLj2EENS0_17counting_iteratorIjlEEPS9_SG_NS0_5tupleIJPjSI_NS0_16reverse_iteratorISI_EEEEENSH_IJSG_SG_SG_EEES9_SI_JZNS1_25segmented_radix_sort_implINS0_14default_configELb1EPKiPiPKlPlN2at6native12_GLOBAL__N_18offset_tEEE10hipError_tPvRmT1_PNSt15iterator_traitsIS12_E10value_typeET2_T3_PNS13_IS18_E10value_typeET4_jRbjT5_S1E_jjP12ihipStream_tbEUljE_ZNSN_ISO_Lb1ESQ_SR_ST_SU_SY_EESZ_S10_S11_S12_S16_S17_S18_S1B_S1C_jS1D_jS1E_S1E_jjS1G_bEUljE0_EEESZ_S10_S11_S18_S1C_S1E_T6_T7_T9_mT8_S1G_bDpT10_ENKUlT_T0_E_clISt17integral_constantIbLb0EES1U_EEDaS1P_S1Q_EUlS1P_E_NS1_11comp_targetILNS1_3genE4ELNS1_11target_archE910ELNS1_3gpuE8ELNS1_3repE0EEENS1_30default_config_static_selectorELNS0_4arch9wavefront6targetE0EEEvS12_
                                        ; -- End function
	.set _ZN7rocprim17ROCPRIM_400000_NS6detail17trampoline_kernelINS0_13select_configILj256ELj13ELNS0_17block_load_methodE3ELS4_3ELS4_3ELNS0_20block_scan_algorithmE0ELj4294967295EEENS1_25partition_config_selectorILNS1_17partition_subalgoE4EjNS0_10empty_typeEbEEZZNS1_14partition_implILS8_4ELb0ES6_15HIP_vector_typeIjLj2EENS0_17counting_iteratorIjlEEPS9_SG_NS0_5tupleIJPjSI_NS0_16reverse_iteratorISI_EEEEENSH_IJSG_SG_SG_EEES9_SI_JZNS1_25segmented_radix_sort_implINS0_14default_configELb1EPKiPiPKlPlN2at6native12_GLOBAL__N_18offset_tEEE10hipError_tPvRmT1_PNSt15iterator_traitsIS12_E10value_typeET2_T3_PNS13_IS18_E10value_typeET4_jRbjT5_S1E_jjP12ihipStream_tbEUljE_ZNSN_ISO_Lb1ESQ_SR_ST_SU_SY_EESZ_S10_S11_S12_S16_S17_S18_S1B_S1C_jS1D_jS1E_S1E_jjS1G_bEUljE0_EEESZ_S10_S11_S18_S1C_S1E_T6_T7_T9_mT8_S1G_bDpT10_ENKUlT_T0_E_clISt17integral_constantIbLb0EES1U_EEDaS1P_S1Q_EUlS1P_E_NS1_11comp_targetILNS1_3genE4ELNS1_11target_archE910ELNS1_3gpuE8ELNS1_3repE0EEENS1_30default_config_static_selectorELNS0_4arch9wavefront6targetE0EEEvS12_.num_vgpr, 0
	.set _ZN7rocprim17ROCPRIM_400000_NS6detail17trampoline_kernelINS0_13select_configILj256ELj13ELNS0_17block_load_methodE3ELS4_3ELS4_3ELNS0_20block_scan_algorithmE0ELj4294967295EEENS1_25partition_config_selectorILNS1_17partition_subalgoE4EjNS0_10empty_typeEbEEZZNS1_14partition_implILS8_4ELb0ES6_15HIP_vector_typeIjLj2EENS0_17counting_iteratorIjlEEPS9_SG_NS0_5tupleIJPjSI_NS0_16reverse_iteratorISI_EEEEENSH_IJSG_SG_SG_EEES9_SI_JZNS1_25segmented_radix_sort_implINS0_14default_configELb1EPKiPiPKlPlN2at6native12_GLOBAL__N_18offset_tEEE10hipError_tPvRmT1_PNSt15iterator_traitsIS12_E10value_typeET2_T3_PNS13_IS18_E10value_typeET4_jRbjT5_S1E_jjP12ihipStream_tbEUljE_ZNSN_ISO_Lb1ESQ_SR_ST_SU_SY_EESZ_S10_S11_S12_S16_S17_S18_S1B_S1C_jS1D_jS1E_S1E_jjS1G_bEUljE0_EEESZ_S10_S11_S18_S1C_S1E_T6_T7_T9_mT8_S1G_bDpT10_ENKUlT_T0_E_clISt17integral_constantIbLb0EES1U_EEDaS1P_S1Q_EUlS1P_E_NS1_11comp_targetILNS1_3genE4ELNS1_11target_archE910ELNS1_3gpuE8ELNS1_3repE0EEENS1_30default_config_static_selectorELNS0_4arch9wavefront6targetE0EEEvS12_.num_agpr, 0
	.set _ZN7rocprim17ROCPRIM_400000_NS6detail17trampoline_kernelINS0_13select_configILj256ELj13ELNS0_17block_load_methodE3ELS4_3ELS4_3ELNS0_20block_scan_algorithmE0ELj4294967295EEENS1_25partition_config_selectorILNS1_17partition_subalgoE4EjNS0_10empty_typeEbEEZZNS1_14partition_implILS8_4ELb0ES6_15HIP_vector_typeIjLj2EENS0_17counting_iteratorIjlEEPS9_SG_NS0_5tupleIJPjSI_NS0_16reverse_iteratorISI_EEEEENSH_IJSG_SG_SG_EEES9_SI_JZNS1_25segmented_radix_sort_implINS0_14default_configELb1EPKiPiPKlPlN2at6native12_GLOBAL__N_18offset_tEEE10hipError_tPvRmT1_PNSt15iterator_traitsIS12_E10value_typeET2_T3_PNS13_IS18_E10value_typeET4_jRbjT5_S1E_jjP12ihipStream_tbEUljE_ZNSN_ISO_Lb1ESQ_SR_ST_SU_SY_EESZ_S10_S11_S12_S16_S17_S18_S1B_S1C_jS1D_jS1E_S1E_jjS1G_bEUljE0_EEESZ_S10_S11_S18_S1C_S1E_T6_T7_T9_mT8_S1G_bDpT10_ENKUlT_T0_E_clISt17integral_constantIbLb0EES1U_EEDaS1P_S1Q_EUlS1P_E_NS1_11comp_targetILNS1_3genE4ELNS1_11target_archE910ELNS1_3gpuE8ELNS1_3repE0EEENS1_30default_config_static_selectorELNS0_4arch9wavefront6targetE0EEEvS12_.numbered_sgpr, 0
	.set _ZN7rocprim17ROCPRIM_400000_NS6detail17trampoline_kernelINS0_13select_configILj256ELj13ELNS0_17block_load_methodE3ELS4_3ELS4_3ELNS0_20block_scan_algorithmE0ELj4294967295EEENS1_25partition_config_selectorILNS1_17partition_subalgoE4EjNS0_10empty_typeEbEEZZNS1_14partition_implILS8_4ELb0ES6_15HIP_vector_typeIjLj2EENS0_17counting_iteratorIjlEEPS9_SG_NS0_5tupleIJPjSI_NS0_16reverse_iteratorISI_EEEEENSH_IJSG_SG_SG_EEES9_SI_JZNS1_25segmented_radix_sort_implINS0_14default_configELb1EPKiPiPKlPlN2at6native12_GLOBAL__N_18offset_tEEE10hipError_tPvRmT1_PNSt15iterator_traitsIS12_E10value_typeET2_T3_PNS13_IS18_E10value_typeET4_jRbjT5_S1E_jjP12ihipStream_tbEUljE_ZNSN_ISO_Lb1ESQ_SR_ST_SU_SY_EESZ_S10_S11_S12_S16_S17_S18_S1B_S1C_jS1D_jS1E_S1E_jjS1G_bEUljE0_EEESZ_S10_S11_S18_S1C_S1E_T6_T7_T9_mT8_S1G_bDpT10_ENKUlT_T0_E_clISt17integral_constantIbLb0EES1U_EEDaS1P_S1Q_EUlS1P_E_NS1_11comp_targetILNS1_3genE4ELNS1_11target_archE910ELNS1_3gpuE8ELNS1_3repE0EEENS1_30default_config_static_selectorELNS0_4arch9wavefront6targetE0EEEvS12_.num_named_barrier, 0
	.set _ZN7rocprim17ROCPRIM_400000_NS6detail17trampoline_kernelINS0_13select_configILj256ELj13ELNS0_17block_load_methodE3ELS4_3ELS4_3ELNS0_20block_scan_algorithmE0ELj4294967295EEENS1_25partition_config_selectorILNS1_17partition_subalgoE4EjNS0_10empty_typeEbEEZZNS1_14partition_implILS8_4ELb0ES6_15HIP_vector_typeIjLj2EENS0_17counting_iteratorIjlEEPS9_SG_NS0_5tupleIJPjSI_NS0_16reverse_iteratorISI_EEEEENSH_IJSG_SG_SG_EEES9_SI_JZNS1_25segmented_radix_sort_implINS0_14default_configELb1EPKiPiPKlPlN2at6native12_GLOBAL__N_18offset_tEEE10hipError_tPvRmT1_PNSt15iterator_traitsIS12_E10value_typeET2_T3_PNS13_IS18_E10value_typeET4_jRbjT5_S1E_jjP12ihipStream_tbEUljE_ZNSN_ISO_Lb1ESQ_SR_ST_SU_SY_EESZ_S10_S11_S12_S16_S17_S18_S1B_S1C_jS1D_jS1E_S1E_jjS1G_bEUljE0_EEESZ_S10_S11_S18_S1C_S1E_T6_T7_T9_mT8_S1G_bDpT10_ENKUlT_T0_E_clISt17integral_constantIbLb0EES1U_EEDaS1P_S1Q_EUlS1P_E_NS1_11comp_targetILNS1_3genE4ELNS1_11target_archE910ELNS1_3gpuE8ELNS1_3repE0EEENS1_30default_config_static_selectorELNS0_4arch9wavefront6targetE0EEEvS12_.private_seg_size, 0
	.set _ZN7rocprim17ROCPRIM_400000_NS6detail17trampoline_kernelINS0_13select_configILj256ELj13ELNS0_17block_load_methodE3ELS4_3ELS4_3ELNS0_20block_scan_algorithmE0ELj4294967295EEENS1_25partition_config_selectorILNS1_17partition_subalgoE4EjNS0_10empty_typeEbEEZZNS1_14partition_implILS8_4ELb0ES6_15HIP_vector_typeIjLj2EENS0_17counting_iteratorIjlEEPS9_SG_NS0_5tupleIJPjSI_NS0_16reverse_iteratorISI_EEEEENSH_IJSG_SG_SG_EEES9_SI_JZNS1_25segmented_radix_sort_implINS0_14default_configELb1EPKiPiPKlPlN2at6native12_GLOBAL__N_18offset_tEEE10hipError_tPvRmT1_PNSt15iterator_traitsIS12_E10value_typeET2_T3_PNS13_IS18_E10value_typeET4_jRbjT5_S1E_jjP12ihipStream_tbEUljE_ZNSN_ISO_Lb1ESQ_SR_ST_SU_SY_EESZ_S10_S11_S12_S16_S17_S18_S1B_S1C_jS1D_jS1E_S1E_jjS1G_bEUljE0_EEESZ_S10_S11_S18_S1C_S1E_T6_T7_T9_mT8_S1G_bDpT10_ENKUlT_T0_E_clISt17integral_constantIbLb0EES1U_EEDaS1P_S1Q_EUlS1P_E_NS1_11comp_targetILNS1_3genE4ELNS1_11target_archE910ELNS1_3gpuE8ELNS1_3repE0EEENS1_30default_config_static_selectorELNS0_4arch9wavefront6targetE0EEEvS12_.uses_vcc, 0
	.set _ZN7rocprim17ROCPRIM_400000_NS6detail17trampoline_kernelINS0_13select_configILj256ELj13ELNS0_17block_load_methodE3ELS4_3ELS4_3ELNS0_20block_scan_algorithmE0ELj4294967295EEENS1_25partition_config_selectorILNS1_17partition_subalgoE4EjNS0_10empty_typeEbEEZZNS1_14partition_implILS8_4ELb0ES6_15HIP_vector_typeIjLj2EENS0_17counting_iteratorIjlEEPS9_SG_NS0_5tupleIJPjSI_NS0_16reverse_iteratorISI_EEEEENSH_IJSG_SG_SG_EEES9_SI_JZNS1_25segmented_radix_sort_implINS0_14default_configELb1EPKiPiPKlPlN2at6native12_GLOBAL__N_18offset_tEEE10hipError_tPvRmT1_PNSt15iterator_traitsIS12_E10value_typeET2_T3_PNS13_IS18_E10value_typeET4_jRbjT5_S1E_jjP12ihipStream_tbEUljE_ZNSN_ISO_Lb1ESQ_SR_ST_SU_SY_EESZ_S10_S11_S12_S16_S17_S18_S1B_S1C_jS1D_jS1E_S1E_jjS1G_bEUljE0_EEESZ_S10_S11_S18_S1C_S1E_T6_T7_T9_mT8_S1G_bDpT10_ENKUlT_T0_E_clISt17integral_constantIbLb0EES1U_EEDaS1P_S1Q_EUlS1P_E_NS1_11comp_targetILNS1_3genE4ELNS1_11target_archE910ELNS1_3gpuE8ELNS1_3repE0EEENS1_30default_config_static_selectorELNS0_4arch9wavefront6targetE0EEEvS12_.uses_flat_scratch, 0
	.set _ZN7rocprim17ROCPRIM_400000_NS6detail17trampoline_kernelINS0_13select_configILj256ELj13ELNS0_17block_load_methodE3ELS4_3ELS4_3ELNS0_20block_scan_algorithmE0ELj4294967295EEENS1_25partition_config_selectorILNS1_17partition_subalgoE4EjNS0_10empty_typeEbEEZZNS1_14partition_implILS8_4ELb0ES6_15HIP_vector_typeIjLj2EENS0_17counting_iteratorIjlEEPS9_SG_NS0_5tupleIJPjSI_NS0_16reverse_iteratorISI_EEEEENSH_IJSG_SG_SG_EEES9_SI_JZNS1_25segmented_radix_sort_implINS0_14default_configELb1EPKiPiPKlPlN2at6native12_GLOBAL__N_18offset_tEEE10hipError_tPvRmT1_PNSt15iterator_traitsIS12_E10value_typeET2_T3_PNS13_IS18_E10value_typeET4_jRbjT5_S1E_jjP12ihipStream_tbEUljE_ZNSN_ISO_Lb1ESQ_SR_ST_SU_SY_EESZ_S10_S11_S12_S16_S17_S18_S1B_S1C_jS1D_jS1E_S1E_jjS1G_bEUljE0_EEESZ_S10_S11_S18_S1C_S1E_T6_T7_T9_mT8_S1G_bDpT10_ENKUlT_T0_E_clISt17integral_constantIbLb0EES1U_EEDaS1P_S1Q_EUlS1P_E_NS1_11comp_targetILNS1_3genE4ELNS1_11target_archE910ELNS1_3gpuE8ELNS1_3repE0EEENS1_30default_config_static_selectorELNS0_4arch9wavefront6targetE0EEEvS12_.has_dyn_sized_stack, 0
	.set _ZN7rocprim17ROCPRIM_400000_NS6detail17trampoline_kernelINS0_13select_configILj256ELj13ELNS0_17block_load_methodE3ELS4_3ELS4_3ELNS0_20block_scan_algorithmE0ELj4294967295EEENS1_25partition_config_selectorILNS1_17partition_subalgoE4EjNS0_10empty_typeEbEEZZNS1_14partition_implILS8_4ELb0ES6_15HIP_vector_typeIjLj2EENS0_17counting_iteratorIjlEEPS9_SG_NS0_5tupleIJPjSI_NS0_16reverse_iteratorISI_EEEEENSH_IJSG_SG_SG_EEES9_SI_JZNS1_25segmented_radix_sort_implINS0_14default_configELb1EPKiPiPKlPlN2at6native12_GLOBAL__N_18offset_tEEE10hipError_tPvRmT1_PNSt15iterator_traitsIS12_E10value_typeET2_T3_PNS13_IS18_E10value_typeET4_jRbjT5_S1E_jjP12ihipStream_tbEUljE_ZNSN_ISO_Lb1ESQ_SR_ST_SU_SY_EESZ_S10_S11_S12_S16_S17_S18_S1B_S1C_jS1D_jS1E_S1E_jjS1G_bEUljE0_EEESZ_S10_S11_S18_S1C_S1E_T6_T7_T9_mT8_S1G_bDpT10_ENKUlT_T0_E_clISt17integral_constantIbLb0EES1U_EEDaS1P_S1Q_EUlS1P_E_NS1_11comp_targetILNS1_3genE4ELNS1_11target_archE910ELNS1_3gpuE8ELNS1_3repE0EEENS1_30default_config_static_selectorELNS0_4arch9wavefront6targetE0EEEvS12_.has_recursion, 0
	.set _ZN7rocprim17ROCPRIM_400000_NS6detail17trampoline_kernelINS0_13select_configILj256ELj13ELNS0_17block_load_methodE3ELS4_3ELS4_3ELNS0_20block_scan_algorithmE0ELj4294967295EEENS1_25partition_config_selectorILNS1_17partition_subalgoE4EjNS0_10empty_typeEbEEZZNS1_14partition_implILS8_4ELb0ES6_15HIP_vector_typeIjLj2EENS0_17counting_iteratorIjlEEPS9_SG_NS0_5tupleIJPjSI_NS0_16reverse_iteratorISI_EEEEENSH_IJSG_SG_SG_EEES9_SI_JZNS1_25segmented_radix_sort_implINS0_14default_configELb1EPKiPiPKlPlN2at6native12_GLOBAL__N_18offset_tEEE10hipError_tPvRmT1_PNSt15iterator_traitsIS12_E10value_typeET2_T3_PNS13_IS18_E10value_typeET4_jRbjT5_S1E_jjP12ihipStream_tbEUljE_ZNSN_ISO_Lb1ESQ_SR_ST_SU_SY_EESZ_S10_S11_S12_S16_S17_S18_S1B_S1C_jS1D_jS1E_S1E_jjS1G_bEUljE0_EEESZ_S10_S11_S18_S1C_S1E_T6_T7_T9_mT8_S1G_bDpT10_ENKUlT_T0_E_clISt17integral_constantIbLb0EES1U_EEDaS1P_S1Q_EUlS1P_E_NS1_11comp_targetILNS1_3genE4ELNS1_11target_archE910ELNS1_3gpuE8ELNS1_3repE0EEENS1_30default_config_static_selectorELNS0_4arch9wavefront6targetE0EEEvS12_.has_indirect_call, 0
	.section	.AMDGPU.csdata,"",@progbits
; Kernel info:
; codeLenInByte = 0
; TotalNumSgprs: 0
; NumVgprs: 0
; ScratchSize: 0
; MemoryBound: 0
; FloatMode: 240
; IeeeMode: 1
; LDSByteSize: 0 bytes/workgroup (compile time only)
; SGPRBlocks: 0
; VGPRBlocks: 0
; NumSGPRsForWavesPerEU: 1
; NumVGPRsForWavesPerEU: 1
; Occupancy: 16
; WaveLimiterHint : 0
; COMPUTE_PGM_RSRC2:SCRATCH_EN: 0
; COMPUTE_PGM_RSRC2:USER_SGPR: 2
; COMPUTE_PGM_RSRC2:TRAP_HANDLER: 0
; COMPUTE_PGM_RSRC2:TGID_X_EN: 1
; COMPUTE_PGM_RSRC2:TGID_Y_EN: 0
; COMPUTE_PGM_RSRC2:TGID_Z_EN: 0
; COMPUTE_PGM_RSRC2:TIDIG_COMP_CNT: 0
	.section	.text._ZN7rocprim17ROCPRIM_400000_NS6detail17trampoline_kernelINS0_13select_configILj256ELj13ELNS0_17block_load_methodE3ELS4_3ELS4_3ELNS0_20block_scan_algorithmE0ELj4294967295EEENS1_25partition_config_selectorILNS1_17partition_subalgoE4EjNS0_10empty_typeEbEEZZNS1_14partition_implILS8_4ELb0ES6_15HIP_vector_typeIjLj2EENS0_17counting_iteratorIjlEEPS9_SG_NS0_5tupleIJPjSI_NS0_16reverse_iteratorISI_EEEEENSH_IJSG_SG_SG_EEES9_SI_JZNS1_25segmented_radix_sort_implINS0_14default_configELb1EPKiPiPKlPlN2at6native12_GLOBAL__N_18offset_tEEE10hipError_tPvRmT1_PNSt15iterator_traitsIS12_E10value_typeET2_T3_PNS13_IS18_E10value_typeET4_jRbjT5_S1E_jjP12ihipStream_tbEUljE_ZNSN_ISO_Lb1ESQ_SR_ST_SU_SY_EESZ_S10_S11_S12_S16_S17_S18_S1B_S1C_jS1D_jS1E_S1E_jjS1G_bEUljE0_EEESZ_S10_S11_S18_S1C_S1E_T6_T7_T9_mT8_S1G_bDpT10_ENKUlT_T0_E_clISt17integral_constantIbLb0EES1U_EEDaS1P_S1Q_EUlS1P_E_NS1_11comp_targetILNS1_3genE3ELNS1_11target_archE908ELNS1_3gpuE7ELNS1_3repE0EEENS1_30default_config_static_selectorELNS0_4arch9wavefront6targetE0EEEvS12_,"axG",@progbits,_ZN7rocprim17ROCPRIM_400000_NS6detail17trampoline_kernelINS0_13select_configILj256ELj13ELNS0_17block_load_methodE3ELS4_3ELS4_3ELNS0_20block_scan_algorithmE0ELj4294967295EEENS1_25partition_config_selectorILNS1_17partition_subalgoE4EjNS0_10empty_typeEbEEZZNS1_14partition_implILS8_4ELb0ES6_15HIP_vector_typeIjLj2EENS0_17counting_iteratorIjlEEPS9_SG_NS0_5tupleIJPjSI_NS0_16reverse_iteratorISI_EEEEENSH_IJSG_SG_SG_EEES9_SI_JZNS1_25segmented_radix_sort_implINS0_14default_configELb1EPKiPiPKlPlN2at6native12_GLOBAL__N_18offset_tEEE10hipError_tPvRmT1_PNSt15iterator_traitsIS12_E10value_typeET2_T3_PNS13_IS18_E10value_typeET4_jRbjT5_S1E_jjP12ihipStream_tbEUljE_ZNSN_ISO_Lb1ESQ_SR_ST_SU_SY_EESZ_S10_S11_S12_S16_S17_S18_S1B_S1C_jS1D_jS1E_S1E_jjS1G_bEUljE0_EEESZ_S10_S11_S18_S1C_S1E_T6_T7_T9_mT8_S1G_bDpT10_ENKUlT_T0_E_clISt17integral_constantIbLb0EES1U_EEDaS1P_S1Q_EUlS1P_E_NS1_11comp_targetILNS1_3genE3ELNS1_11target_archE908ELNS1_3gpuE7ELNS1_3repE0EEENS1_30default_config_static_selectorELNS0_4arch9wavefront6targetE0EEEvS12_,comdat
	.globl	_ZN7rocprim17ROCPRIM_400000_NS6detail17trampoline_kernelINS0_13select_configILj256ELj13ELNS0_17block_load_methodE3ELS4_3ELS4_3ELNS0_20block_scan_algorithmE0ELj4294967295EEENS1_25partition_config_selectorILNS1_17partition_subalgoE4EjNS0_10empty_typeEbEEZZNS1_14partition_implILS8_4ELb0ES6_15HIP_vector_typeIjLj2EENS0_17counting_iteratorIjlEEPS9_SG_NS0_5tupleIJPjSI_NS0_16reverse_iteratorISI_EEEEENSH_IJSG_SG_SG_EEES9_SI_JZNS1_25segmented_radix_sort_implINS0_14default_configELb1EPKiPiPKlPlN2at6native12_GLOBAL__N_18offset_tEEE10hipError_tPvRmT1_PNSt15iterator_traitsIS12_E10value_typeET2_T3_PNS13_IS18_E10value_typeET4_jRbjT5_S1E_jjP12ihipStream_tbEUljE_ZNSN_ISO_Lb1ESQ_SR_ST_SU_SY_EESZ_S10_S11_S12_S16_S17_S18_S1B_S1C_jS1D_jS1E_S1E_jjS1G_bEUljE0_EEESZ_S10_S11_S18_S1C_S1E_T6_T7_T9_mT8_S1G_bDpT10_ENKUlT_T0_E_clISt17integral_constantIbLb0EES1U_EEDaS1P_S1Q_EUlS1P_E_NS1_11comp_targetILNS1_3genE3ELNS1_11target_archE908ELNS1_3gpuE7ELNS1_3repE0EEENS1_30default_config_static_selectorELNS0_4arch9wavefront6targetE0EEEvS12_ ; -- Begin function _ZN7rocprim17ROCPRIM_400000_NS6detail17trampoline_kernelINS0_13select_configILj256ELj13ELNS0_17block_load_methodE3ELS4_3ELS4_3ELNS0_20block_scan_algorithmE0ELj4294967295EEENS1_25partition_config_selectorILNS1_17partition_subalgoE4EjNS0_10empty_typeEbEEZZNS1_14partition_implILS8_4ELb0ES6_15HIP_vector_typeIjLj2EENS0_17counting_iteratorIjlEEPS9_SG_NS0_5tupleIJPjSI_NS0_16reverse_iteratorISI_EEEEENSH_IJSG_SG_SG_EEES9_SI_JZNS1_25segmented_radix_sort_implINS0_14default_configELb1EPKiPiPKlPlN2at6native12_GLOBAL__N_18offset_tEEE10hipError_tPvRmT1_PNSt15iterator_traitsIS12_E10value_typeET2_T3_PNS13_IS18_E10value_typeET4_jRbjT5_S1E_jjP12ihipStream_tbEUljE_ZNSN_ISO_Lb1ESQ_SR_ST_SU_SY_EESZ_S10_S11_S12_S16_S17_S18_S1B_S1C_jS1D_jS1E_S1E_jjS1G_bEUljE0_EEESZ_S10_S11_S18_S1C_S1E_T6_T7_T9_mT8_S1G_bDpT10_ENKUlT_T0_E_clISt17integral_constantIbLb0EES1U_EEDaS1P_S1Q_EUlS1P_E_NS1_11comp_targetILNS1_3genE3ELNS1_11target_archE908ELNS1_3gpuE7ELNS1_3repE0EEENS1_30default_config_static_selectorELNS0_4arch9wavefront6targetE0EEEvS12_
	.p2align	8
	.type	_ZN7rocprim17ROCPRIM_400000_NS6detail17trampoline_kernelINS0_13select_configILj256ELj13ELNS0_17block_load_methodE3ELS4_3ELS4_3ELNS0_20block_scan_algorithmE0ELj4294967295EEENS1_25partition_config_selectorILNS1_17partition_subalgoE4EjNS0_10empty_typeEbEEZZNS1_14partition_implILS8_4ELb0ES6_15HIP_vector_typeIjLj2EENS0_17counting_iteratorIjlEEPS9_SG_NS0_5tupleIJPjSI_NS0_16reverse_iteratorISI_EEEEENSH_IJSG_SG_SG_EEES9_SI_JZNS1_25segmented_radix_sort_implINS0_14default_configELb1EPKiPiPKlPlN2at6native12_GLOBAL__N_18offset_tEEE10hipError_tPvRmT1_PNSt15iterator_traitsIS12_E10value_typeET2_T3_PNS13_IS18_E10value_typeET4_jRbjT5_S1E_jjP12ihipStream_tbEUljE_ZNSN_ISO_Lb1ESQ_SR_ST_SU_SY_EESZ_S10_S11_S12_S16_S17_S18_S1B_S1C_jS1D_jS1E_S1E_jjS1G_bEUljE0_EEESZ_S10_S11_S18_S1C_S1E_T6_T7_T9_mT8_S1G_bDpT10_ENKUlT_T0_E_clISt17integral_constantIbLb0EES1U_EEDaS1P_S1Q_EUlS1P_E_NS1_11comp_targetILNS1_3genE3ELNS1_11target_archE908ELNS1_3gpuE7ELNS1_3repE0EEENS1_30default_config_static_selectorELNS0_4arch9wavefront6targetE0EEEvS12_,@function
_ZN7rocprim17ROCPRIM_400000_NS6detail17trampoline_kernelINS0_13select_configILj256ELj13ELNS0_17block_load_methodE3ELS4_3ELS4_3ELNS0_20block_scan_algorithmE0ELj4294967295EEENS1_25partition_config_selectorILNS1_17partition_subalgoE4EjNS0_10empty_typeEbEEZZNS1_14partition_implILS8_4ELb0ES6_15HIP_vector_typeIjLj2EENS0_17counting_iteratorIjlEEPS9_SG_NS0_5tupleIJPjSI_NS0_16reverse_iteratorISI_EEEEENSH_IJSG_SG_SG_EEES9_SI_JZNS1_25segmented_radix_sort_implINS0_14default_configELb1EPKiPiPKlPlN2at6native12_GLOBAL__N_18offset_tEEE10hipError_tPvRmT1_PNSt15iterator_traitsIS12_E10value_typeET2_T3_PNS13_IS18_E10value_typeET4_jRbjT5_S1E_jjP12ihipStream_tbEUljE_ZNSN_ISO_Lb1ESQ_SR_ST_SU_SY_EESZ_S10_S11_S12_S16_S17_S18_S1B_S1C_jS1D_jS1E_S1E_jjS1G_bEUljE0_EEESZ_S10_S11_S18_S1C_S1E_T6_T7_T9_mT8_S1G_bDpT10_ENKUlT_T0_E_clISt17integral_constantIbLb0EES1U_EEDaS1P_S1Q_EUlS1P_E_NS1_11comp_targetILNS1_3genE3ELNS1_11target_archE908ELNS1_3gpuE7ELNS1_3repE0EEENS1_30default_config_static_selectorELNS0_4arch9wavefront6targetE0EEEvS12_: ; @_ZN7rocprim17ROCPRIM_400000_NS6detail17trampoline_kernelINS0_13select_configILj256ELj13ELNS0_17block_load_methodE3ELS4_3ELS4_3ELNS0_20block_scan_algorithmE0ELj4294967295EEENS1_25partition_config_selectorILNS1_17partition_subalgoE4EjNS0_10empty_typeEbEEZZNS1_14partition_implILS8_4ELb0ES6_15HIP_vector_typeIjLj2EENS0_17counting_iteratorIjlEEPS9_SG_NS0_5tupleIJPjSI_NS0_16reverse_iteratorISI_EEEEENSH_IJSG_SG_SG_EEES9_SI_JZNS1_25segmented_radix_sort_implINS0_14default_configELb1EPKiPiPKlPlN2at6native12_GLOBAL__N_18offset_tEEE10hipError_tPvRmT1_PNSt15iterator_traitsIS12_E10value_typeET2_T3_PNS13_IS18_E10value_typeET4_jRbjT5_S1E_jjP12ihipStream_tbEUljE_ZNSN_ISO_Lb1ESQ_SR_ST_SU_SY_EESZ_S10_S11_S12_S16_S17_S18_S1B_S1C_jS1D_jS1E_S1E_jjS1G_bEUljE0_EEESZ_S10_S11_S18_S1C_S1E_T6_T7_T9_mT8_S1G_bDpT10_ENKUlT_T0_E_clISt17integral_constantIbLb0EES1U_EEDaS1P_S1Q_EUlS1P_E_NS1_11comp_targetILNS1_3genE3ELNS1_11target_archE908ELNS1_3gpuE7ELNS1_3repE0EEENS1_30default_config_static_selectorELNS0_4arch9wavefront6targetE0EEEvS12_
; %bb.0:
	.section	.rodata,"a",@progbits
	.p2align	6, 0x0
	.amdhsa_kernel _ZN7rocprim17ROCPRIM_400000_NS6detail17trampoline_kernelINS0_13select_configILj256ELj13ELNS0_17block_load_methodE3ELS4_3ELS4_3ELNS0_20block_scan_algorithmE0ELj4294967295EEENS1_25partition_config_selectorILNS1_17partition_subalgoE4EjNS0_10empty_typeEbEEZZNS1_14partition_implILS8_4ELb0ES6_15HIP_vector_typeIjLj2EENS0_17counting_iteratorIjlEEPS9_SG_NS0_5tupleIJPjSI_NS0_16reverse_iteratorISI_EEEEENSH_IJSG_SG_SG_EEES9_SI_JZNS1_25segmented_radix_sort_implINS0_14default_configELb1EPKiPiPKlPlN2at6native12_GLOBAL__N_18offset_tEEE10hipError_tPvRmT1_PNSt15iterator_traitsIS12_E10value_typeET2_T3_PNS13_IS18_E10value_typeET4_jRbjT5_S1E_jjP12ihipStream_tbEUljE_ZNSN_ISO_Lb1ESQ_SR_ST_SU_SY_EESZ_S10_S11_S12_S16_S17_S18_S1B_S1C_jS1D_jS1E_S1E_jjS1G_bEUljE0_EEESZ_S10_S11_S18_S1C_S1E_T6_T7_T9_mT8_S1G_bDpT10_ENKUlT_T0_E_clISt17integral_constantIbLb0EES1U_EEDaS1P_S1Q_EUlS1P_E_NS1_11comp_targetILNS1_3genE3ELNS1_11target_archE908ELNS1_3gpuE7ELNS1_3repE0EEENS1_30default_config_static_selectorELNS0_4arch9wavefront6targetE0EEEvS12_
		.amdhsa_group_segment_fixed_size 0
		.amdhsa_private_segment_fixed_size 0
		.amdhsa_kernarg_size 176
		.amdhsa_user_sgpr_count 2
		.amdhsa_user_sgpr_dispatch_ptr 0
		.amdhsa_user_sgpr_queue_ptr 0
		.amdhsa_user_sgpr_kernarg_segment_ptr 1
		.amdhsa_user_sgpr_dispatch_id 0
		.amdhsa_user_sgpr_private_segment_size 0
		.amdhsa_wavefront_size32 1
		.amdhsa_uses_dynamic_stack 0
		.amdhsa_enable_private_segment 0
		.amdhsa_system_sgpr_workgroup_id_x 1
		.amdhsa_system_sgpr_workgroup_id_y 0
		.amdhsa_system_sgpr_workgroup_id_z 0
		.amdhsa_system_sgpr_workgroup_info 0
		.amdhsa_system_vgpr_workitem_id 0
		.amdhsa_next_free_vgpr 1
		.amdhsa_next_free_sgpr 1
		.amdhsa_reserve_vcc 0
		.amdhsa_float_round_mode_32 0
		.amdhsa_float_round_mode_16_64 0
		.amdhsa_float_denorm_mode_32 3
		.amdhsa_float_denorm_mode_16_64 3
		.amdhsa_fp16_overflow 0
		.amdhsa_workgroup_processor_mode 1
		.amdhsa_memory_ordered 1
		.amdhsa_forward_progress 1
		.amdhsa_inst_pref_size 0
		.amdhsa_round_robin_scheduling 0
		.amdhsa_exception_fp_ieee_invalid_op 0
		.amdhsa_exception_fp_denorm_src 0
		.amdhsa_exception_fp_ieee_div_zero 0
		.amdhsa_exception_fp_ieee_overflow 0
		.amdhsa_exception_fp_ieee_underflow 0
		.amdhsa_exception_fp_ieee_inexact 0
		.amdhsa_exception_int_div_zero 0
	.end_amdhsa_kernel
	.section	.text._ZN7rocprim17ROCPRIM_400000_NS6detail17trampoline_kernelINS0_13select_configILj256ELj13ELNS0_17block_load_methodE3ELS4_3ELS4_3ELNS0_20block_scan_algorithmE0ELj4294967295EEENS1_25partition_config_selectorILNS1_17partition_subalgoE4EjNS0_10empty_typeEbEEZZNS1_14partition_implILS8_4ELb0ES6_15HIP_vector_typeIjLj2EENS0_17counting_iteratorIjlEEPS9_SG_NS0_5tupleIJPjSI_NS0_16reverse_iteratorISI_EEEEENSH_IJSG_SG_SG_EEES9_SI_JZNS1_25segmented_radix_sort_implINS0_14default_configELb1EPKiPiPKlPlN2at6native12_GLOBAL__N_18offset_tEEE10hipError_tPvRmT1_PNSt15iterator_traitsIS12_E10value_typeET2_T3_PNS13_IS18_E10value_typeET4_jRbjT5_S1E_jjP12ihipStream_tbEUljE_ZNSN_ISO_Lb1ESQ_SR_ST_SU_SY_EESZ_S10_S11_S12_S16_S17_S18_S1B_S1C_jS1D_jS1E_S1E_jjS1G_bEUljE0_EEESZ_S10_S11_S18_S1C_S1E_T6_T7_T9_mT8_S1G_bDpT10_ENKUlT_T0_E_clISt17integral_constantIbLb0EES1U_EEDaS1P_S1Q_EUlS1P_E_NS1_11comp_targetILNS1_3genE3ELNS1_11target_archE908ELNS1_3gpuE7ELNS1_3repE0EEENS1_30default_config_static_selectorELNS0_4arch9wavefront6targetE0EEEvS12_,"axG",@progbits,_ZN7rocprim17ROCPRIM_400000_NS6detail17trampoline_kernelINS0_13select_configILj256ELj13ELNS0_17block_load_methodE3ELS4_3ELS4_3ELNS0_20block_scan_algorithmE0ELj4294967295EEENS1_25partition_config_selectorILNS1_17partition_subalgoE4EjNS0_10empty_typeEbEEZZNS1_14partition_implILS8_4ELb0ES6_15HIP_vector_typeIjLj2EENS0_17counting_iteratorIjlEEPS9_SG_NS0_5tupleIJPjSI_NS0_16reverse_iteratorISI_EEEEENSH_IJSG_SG_SG_EEES9_SI_JZNS1_25segmented_radix_sort_implINS0_14default_configELb1EPKiPiPKlPlN2at6native12_GLOBAL__N_18offset_tEEE10hipError_tPvRmT1_PNSt15iterator_traitsIS12_E10value_typeET2_T3_PNS13_IS18_E10value_typeET4_jRbjT5_S1E_jjP12ihipStream_tbEUljE_ZNSN_ISO_Lb1ESQ_SR_ST_SU_SY_EESZ_S10_S11_S12_S16_S17_S18_S1B_S1C_jS1D_jS1E_S1E_jjS1G_bEUljE0_EEESZ_S10_S11_S18_S1C_S1E_T6_T7_T9_mT8_S1G_bDpT10_ENKUlT_T0_E_clISt17integral_constantIbLb0EES1U_EEDaS1P_S1Q_EUlS1P_E_NS1_11comp_targetILNS1_3genE3ELNS1_11target_archE908ELNS1_3gpuE7ELNS1_3repE0EEENS1_30default_config_static_selectorELNS0_4arch9wavefront6targetE0EEEvS12_,comdat
.Lfunc_end436:
	.size	_ZN7rocprim17ROCPRIM_400000_NS6detail17trampoline_kernelINS0_13select_configILj256ELj13ELNS0_17block_load_methodE3ELS4_3ELS4_3ELNS0_20block_scan_algorithmE0ELj4294967295EEENS1_25partition_config_selectorILNS1_17partition_subalgoE4EjNS0_10empty_typeEbEEZZNS1_14partition_implILS8_4ELb0ES6_15HIP_vector_typeIjLj2EENS0_17counting_iteratorIjlEEPS9_SG_NS0_5tupleIJPjSI_NS0_16reverse_iteratorISI_EEEEENSH_IJSG_SG_SG_EEES9_SI_JZNS1_25segmented_radix_sort_implINS0_14default_configELb1EPKiPiPKlPlN2at6native12_GLOBAL__N_18offset_tEEE10hipError_tPvRmT1_PNSt15iterator_traitsIS12_E10value_typeET2_T3_PNS13_IS18_E10value_typeET4_jRbjT5_S1E_jjP12ihipStream_tbEUljE_ZNSN_ISO_Lb1ESQ_SR_ST_SU_SY_EESZ_S10_S11_S12_S16_S17_S18_S1B_S1C_jS1D_jS1E_S1E_jjS1G_bEUljE0_EEESZ_S10_S11_S18_S1C_S1E_T6_T7_T9_mT8_S1G_bDpT10_ENKUlT_T0_E_clISt17integral_constantIbLb0EES1U_EEDaS1P_S1Q_EUlS1P_E_NS1_11comp_targetILNS1_3genE3ELNS1_11target_archE908ELNS1_3gpuE7ELNS1_3repE0EEENS1_30default_config_static_selectorELNS0_4arch9wavefront6targetE0EEEvS12_, .Lfunc_end436-_ZN7rocprim17ROCPRIM_400000_NS6detail17trampoline_kernelINS0_13select_configILj256ELj13ELNS0_17block_load_methodE3ELS4_3ELS4_3ELNS0_20block_scan_algorithmE0ELj4294967295EEENS1_25partition_config_selectorILNS1_17partition_subalgoE4EjNS0_10empty_typeEbEEZZNS1_14partition_implILS8_4ELb0ES6_15HIP_vector_typeIjLj2EENS0_17counting_iteratorIjlEEPS9_SG_NS0_5tupleIJPjSI_NS0_16reverse_iteratorISI_EEEEENSH_IJSG_SG_SG_EEES9_SI_JZNS1_25segmented_radix_sort_implINS0_14default_configELb1EPKiPiPKlPlN2at6native12_GLOBAL__N_18offset_tEEE10hipError_tPvRmT1_PNSt15iterator_traitsIS12_E10value_typeET2_T3_PNS13_IS18_E10value_typeET4_jRbjT5_S1E_jjP12ihipStream_tbEUljE_ZNSN_ISO_Lb1ESQ_SR_ST_SU_SY_EESZ_S10_S11_S12_S16_S17_S18_S1B_S1C_jS1D_jS1E_S1E_jjS1G_bEUljE0_EEESZ_S10_S11_S18_S1C_S1E_T6_T7_T9_mT8_S1G_bDpT10_ENKUlT_T0_E_clISt17integral_constantIbLb0EES1U_EEDaS1P_S1Q_EUlS1P_E_NS1_11comp_targetILNS1_3genE3ELNS1_11target_archE908ELNS1_3gpuE7ELNS1_3repE0EEENS1_30default_config_static_selectorELNS0_4arch9wavefront6targetE0EEEvS12_
                                        ; -- End function
	.set _ZN7rocprim17ROCPRIM_400000_NS6detail17trampoline_kernelINS0_13select_configILj256ELj13ELNS0_17block_load_methodE3ELS4_3ELS4_3ELNS0_20block_scan_algorithmE0ELj4294967295EEENS1_25partition_config_selectorILNS1_17partition_subalgoE4EjNS0_10empty_typeEbEEZZNS1_14partition_implILS8_4ELb0ES6_15HIP_vector_typeIjLj2EENS0_17counting_iteratorIjlEEPS9_SG_NS0_5tupleIJPjSI_NS0_16reverse_iteratorISI_EEEEENSH_IJSG_SG_SG_EEES9_SI_JZNS1_25segmented_radix_sort_implINS0_14default_configELb1EPKiPiPKlPlN2at6native12_GLOBAL__N_18offset_tEEE10hipError_tPvRmT1_PNSt15iterator_traitsIS12_E10value_typeET2_T3_PNS13_IS18_E10value_typeET4_jRbjT5_S1E_jjP12ihipStream_tbEUljE_ZNSN_ISO_Lb1ESQ_SR_ST_SU_SY_EESZ_S10_S11_S12_S16_S17_S18_S1B_S1C_jS1D_jS1E_S1E_jjS1G_bEUljE0_EEESZ_S10_S11_S18_S1C_S1E_T6_T7_T9_mT8_S1G_bDpT10_ENKUlT_T0_E_clISt17integral_constantIbLb0EES1U_EEDaS1P_S1Q_EUlS1P_E_NS1_11comp_targetILNS1_3genE3ELNS1_11target_archE908ELNS1_3gpuE7ELNS1_3repE0EEENS1_30default_config_static_selectorELNS0_4arch9wavefront6targetE0EEEvS12_.num_vgpr, 0
	.set _ZN7rocprim17ROCPRIM_400000_NS6detail17trampoline_kernelINS0_13select_configILj256ELj13ELNS0_17block_load_methodE3ELS4_3ELS4_3ELNS0_20block_scan_algorithmE0ELj4294967295EEENS1_25partition_config_selectorILNS1_17partition_subalgoE4EjNS0_10empty_typeEbEEZZNS1_14partition_implILS8_4ELb0ES6_15HIP_vector_typeIjLj2EENS0_17counting_iteratorIjlEEPS9_SG_NS0_5tupleIJPjSI_NS0_16reverse_iteratorISI_EEEEENSH_IJSG_SG_SG_EEES9_SI_JZNS1_25segmented_radix_sort_implINS0_14default_configELb1EPKiPiPKlPlN2at6native12_GLOBAL__N_18offset_tEEE10hipError_tPvRmT1_PNSt15iterator_traitsIS12_E10value_typeET2_T3_PNS13_IS18_E10value_typeET4_jRbjT5_S1E_jjP12ihipStream_tbEUljE_ZNSN_ISO_Lb1ESQ_SR_ST_SU_SY_EESZ_S10_S11_S12_S16_S17_S18_S1B_S1C_jS1D_jS1E_S1E_jjS1G_bEUljE0_EEESZ_S10_S11_S18_S1C_S1E_T6_T7_T9_mT8_S1G_bDpT10_ENKUlT_T0_E_clISt17integral_constantIbLb0EES1U_EEDaS1P_S1Q_EUlS1P_E_NS1_11comp_targetILNS1_3genE3ELNS1_11target_archE908ELNS1_3gpuE7ELNS1_3repE0EEENS1_30default_config_static_selectorELNS0_4arch9wavefront6targetE0EEEvS12_.num_agpr, 0
	.set _ZN7rocprim17ROCPRIM_400000_NS6detail17trampoline_kernelINS0_13select_configILj256ELj13ELNS0_17block_load_methodE3ELS4_3ELS4_3ELNS0_20block_scan_algorithmE0ELj4294967295EEENS1_25partition_config_selectorILNS1_17partition_subalgoE4EjNS0_10empty_typeEbEEZZNS1_14partition_implILS8_4ELb0ES6_15HIP_vector_typeIjLj2EENS0_17counting_iteratorIjlEEPS9_SG_NS0_5tupleIJPjSI_NS0_16reverse_iteratorISI_EEEEENSH_IJSG_SG_SG_EEES9_SI_JZNS1_25segmented_radix_sort_implINS0_14default_configELb1EPKiPiPKlPlN2at6native12_GLOBAL__N_18offset_tEEE10hipError_tPvRmT1_PNSt15iterator_traitsIS12_E10value_typeET2_T3_PNS13_IS18_E10value_typeET4_jRbjT5_S1E_jjP12ihipStream_tbEUljE_ZNSN_ISO_Lb1ESQ_SR_ST_SU_SY_EESZ_S10_S11_S12_S16_S17_S18_S1B_S1C_jS1D_jS1E_S1E_jjS1G_bEUljE0_EEESZ_S10_S11_S18_S1C_S1E_T6_T7_T9_mT8_S1G_bDpT10_ENKUlT_T0_E_clISt17integral_constantIbLb0EES1U_EEDaS1P_S1Q_EUlS1P_E_NS1_11comp_targetILNS1_3genE3ELNS1_11target_archE908ELNS1_3gpuE7ELNS1_3repE0EEENS1_30default_config_static_selectorELNS0_4arch9wavefront6targetE0EEEvS12_.numbered_sgpr, 0
	.set _ZN7rocprim17ROCPRIM_400000_NS6detail17trampoline_kernelINS0_13select_configILj256ELj13ELNS0_17block_load_methodE3ELS4_3ELS4_3ELNS0_20block_scan_algorithmE0ELj4294967295EEENS1_25partition_config_selectorILNS1_17partition_subalgoE4EjNS0_10empty_typeEbEEZZNS1_14partition_implILS8_4ELb0ES6_15HIP_vector_typeIjLj2EENS0_17counting_iteratorIjlEEPS9_SG_NS0_5tupleIJPjSI_NS0_16reverse_iteratorISI_EEEEENSH_IJSG_SG_SG_EEES9_SI_JZNS1_25segmented_radix_sort_implINS0_14default_configELb1EPKiPiPKlPlN2at6native12_GLOBAL__N_18offset_tEEE10hipError_tPvRmT1_PNSt15iterator_traitsIS12_E10value_typeET2_T3_PNS13_IS18_E10value_typeET4_jRbjT5_S1E_jjP12ihipStream_tbEUljE_ZNSN_ISO_Lb1ESQ_SR_ST_SU_SY_EESZ_S10_S11_S12_S16_S17_S18_S1B_S1C_jS1D_jS1E_S1E_jjS1G_bEUljE0_EEESZ_S10_S11_S18_S1C_S1E_T6_T7_T9_mT8_S1G_bDpT10_ENKUlT_T0_E_clISt17integral_constantIbLb0EES1U_EEDaS1P_S1Q_EUlS1P_E_NS1_11comp_targetILNS1_3genE3ELNS1_11target_archE908ELNS1_3gpuE7ELNS1_3repE0EEENS1_30default_config_static_selectorELNS0_4arch9wavefront6targetE0EEEvS12_.num_named_barrier, 0
	.set _ZN7rocprim17ROCPRIM_400000_NS6detail17trampoline_kernelINS0_13select_configILj256ELj13ELNS0_17block_load_methodE3ELS4_3ELS4_3ELNS0_20block_scan_algorithmE0ELj4294967295EEENS1_25partition_config_selectorILNS1_17partition_subalgoE4EjNS0_10empty_typeEbEEZZNS1_14partition_implILS8_4ELb0ES6_15HIP_vector_typeIjLj2EENS0_17counting_iteratorIjlEEPS9_SG_NS0_5tupleIJPjSI_NS0_16reverse_iteratorISI_EEEEENSH_IJSG_SG_SG_EEES9_SI_JZNS1_25segmented_radix_sort_implINS0_14default_configELb1EPKiPiPKlPlN2at6native12_GLOBAL__N_18offset_tEEE10hipError_tPvRmT1_PNSt15iterator_traitsIS12_E10value_typeET2_T3_PNS13_IS18_E10value_typeET4_jRbjT5_S1E_jjP12ihipStream_tbEUljE_ZNSN_ISO_Lb1ESQ_SR_ST_SU_SY_EESZ_S10_S11_S12_S16_S17_S18_S1B_S1C_jS1D_jS1E_S1E_jjS1G_bEUljE0_EEESZ_S10_S11_S18_S1C_S1E_T6_T7_T9_mT8_S1G_bDpT10_ENKUlT_T0_E_clISt17integral_constantIbLb0EES1U_EEDaS1P_S1Q_EUlS1P_E_NS1_11comp_targetILNS1_3genE3ELNS1_11target_archE908ELNS1_3gpuE7ELNS1_3repE0EEENS1_30default_config_static_selectorELNS0_4arch9wavefront6targetE0EEEvS12_.private_seg_size, 0
	.set _ZN7rocprim17ROCPRIM_400000_NS6detail17trampoline_kernelINS0_13select_configILj256ELj13ELNS0_17block_load_methodE3ELS4_3ELS4_3ELNS0_20block_scan_algorithmE0ELj4294967295EEENS1_25partition_config_selectorILNS1_17partition_subalgoE4EjNS0_10empty_typeEbEEZZNS1_14partition_implILS8_4ELb0ES6_15HIP_vector_typeIjLj2EENS0_17counting_iteratorIjlEEPS9_SG_NS0_5tupleIJPjSI_NS0_16reverse_iteratorISI_EEEEENSH_IJSG_SG_SG_EEES9_SI_JZNS1_25segmented_radix_sort_implINS0_14default_configELb1EPKiPiPKlPlN2at6native12_GLOBAL__N_18offset_tEEE10hipError_tPvRmT1_PNSt15iterator_traitsIS12_E10value_typeET2_T3_PNS13_IS18_E10value_typeET4_jRbjT5_S1E_jjP12ihipStream_tbEUljE_ZNSN_ISO_Lb1ESQ_SR_ST_SU_SY_EESZ_S10_S11_S12_S16_S17_S18_S1B_S1C_jS1D_jS1E_S1E_jjS1G_bEUljE0_EEESZ_S10_S11_S18_S1C_S1E_T6_T7_T9_mT8_S1G_bDpT10_ENKUlT_T0_E_clISt17integral_constantIbLb0EES1U_EEDaS1P_S1Q_EUlS1P_E_NS1_11comp_targetILNS1_3genE3ELNS1_11target_archE908ELNS1_3gpuE7ELNS1_3repE0EEENS1_30default_config_static_selectorELNS0_4arch9wavefront6targetE0EEEvS12_.uses_vcc, 0
	.set _ZN7rocprim17ROCPRIM_400000_NS6detail17trampoline_kernelINS0_13select_configILj256ELj13ELNS0_17block_load_methodE3ELS4_3ELS4_3ELNS0_20block_scan_algorithmE0ELj4294967295EEENS1_25partition_config_selectorILNS1_17partition_subalgoE4EjNS0_10empty_typeEbEEZZNS1_14partition_implILS8_4ELb0ES6_15HIP_vector_typeIjLj2EENS0_17counting_iteratorIjlEEPS9_SG_NS0_5tupleIJPjSI_NS0_16reverse_iteratorISI_EEEEENSH_IJSG_SG_SG_EEES9_SI_JZNS1_25segmented_radix_sort_implINS0_14default_configELb1EPKiPiPKlPlN2at6native12_GLOBAL__N_18offset_tEEE10hipError_tPvRmT1_PNSt15iterator_traitsIS12_E10value_typeET2_T3_PNS13_IS18_E10value_typeET4_jRbjT5_S1E_jjP12ihipStream_tbEUljE_ZNSN_ISO_Lb1ESQ_SR_ST_SU_SY_EESZ_S10_S11_S12_S16_S17_S18_S1B_S1C_jS1D_jS1E_S1E_jjS1G_bEUljE0_EEESZ_S10_S11_S18_S1C_S1E_T6_T7_T9_mT8_S1G_bDpT10_ENKUlT_T0_E_clISt17integral_constantIbLb0EES1U_EEDaS1P_S1Q_EUlS1P_E_NS1_11comp_targetILNS1_3genE3ELNS1_11target_archE908ELNS1_3gpuE7ELNS1_3repE0EEENS1_30default_config_static_selectorELNS0_4arch9wavefront6targetE0EEEvS12_.uses_flat_scratch, 0
	.set _ZN7rocprim17ROCPRIM_400000_NS6detail17trampoline_kernelINS0_13select_configILj256ELj13ELNS0_17block_load_methodE3ELS4_3ELS4_3ELNS0_20block_scan_algorithmE0ELj4294967295EEENS1_25partition_config_selectorILNS1_17partition_subalgoE4EjNS0_10empty_typeEbEEZZNS1_14partition_implILS8_4ELb0ES6_15HIP_vector_typeIjLj2EENS0_17counting_iteratorIjlEEPS9_SG_NS0_5tupleIJPjSI_NS0_16reverse_iteratorISI_EEEEENSH_IJSG_SG_SG_EEES9_SI_JZNS1_25segmented_radix_sort_implINS0_14default_configELb1EPKiPiPKlPlN2at6native12_GLOBAL__N_18offset_tEEE10hipError_tPvRmT1_PNSt15iterator_traitsIS12_E10value_typeET2_T3_PNS13_IS18_E10value_typeET4_jRbjT5_S1E_jjP12ihipStream_tbEUljE_ZNSN_ISO_Lb1ESQ_SR_ST_SU_SY_EESZ_S10_S11_S12_S16_S17_S18_S1B_S1C_jS1D_jS1E_S1E_jjS1G_bEUljE0_EEESZ_S10_S11_S18_S1C_S1E_T6_T7_T9_mT8_S1G_bDpT10_ENKUlT_T0_E_clISt17integral_constantIbLb0EES1U_EEDaS1P_S1Q_EUlS1P_E_NS1_11comp_targetILNS1_3genE3ELNS1_11target_archE908ELNS1_3gpuE7ELNS1_3repE0EEENS1_30default_config_static_selectorELNS0_4arch9wavefront6targetE0EEEvS12_.has_dyn_sized_stack, 0
	.set _ZN7rocprim17ROCPRIM_400000_NS6detail17trampoline_kernelINS0_13select_configILj256ELj13ELNS0_17block_load_methodE3ELS4_3ELS4_3ELNS0_20block_scan_algorithmE0ELj4294967295EEENS1_25partition_config_selectorILNS1_17partition_subalgoE4EjNS0_10empty_typeEbEEZZNS1_14partition_implILS8_4ELb0ES6_15HIP_vector_typeIjLj2EENS0_17counting_iteratorIjlEEPS9_SG_NS0_5tupleIJPjSI_NS0_16reverse_iteratorISI_EEEEENSH_IJSG_SG_SG_EEES9_SI_JZNS1_25segmented_radix_sort_implINS0_14default_configELb1EPKiPiPKlPlN2at6native12_GLOBAL__N_18offset_tEEE10hipError_tPvRmT1_PNSt15iterator_traitsIS12_E10value_typeET2_T3_PNS13_IS18_E10value_typeET4_jRbjT5_S1E_jjP12ihipStream_tbEUljE_ZNSN_ISO_Lb1ESQ_SR_ST_SU_SY_EESZ_S10_S11_S12_S16_S17_S18_S1B_S1C_jS1D_jS1E_S1E_jjS1G_bEUljE0_EEESZ_S10_S11_S18_S1C_S1E_T6_T7_T9_mT8_S1G_bDpT10_ENKUlT_T0_E_clISt17integral_constantIbLb0EES1U_EEDaS1P_S1Q_EUlS1P_E_NS1_11comp_targetILNS1_3genE3ELNS1_11target_archE908ELNS1_3gpuE7ELNS1_3repE0EEENS1_30default_config_static_selectorELNS0_4arch9wavefront6targetE0EEEvS12_.has_recursion, 0
	.set _ZN7rocprim17ROCPRIM_400000_NS6detail17trampoline_kernelINS0_13select_configILj256ELj13ELNS0_17block_load_methodE3ELS4_3ELS4_3ELNS0_20block_scan_algorithmE0ELj4294967295EEENS1_25partition_config_selectorILNS1_17partition_subalgoE4EjNS0_10empty_typeEbEEZZNS1_14partition_implILS8_4ELb0ES6_15HIP_vector_typeIjLj2EENS0_17counting_iteratorIjlEEPS9_SG_NS0_5tupleIJPjSI_NS0_16reverse_iteratorISI_EEEEENSH_IJSG_SG_SG_EEES9_SI_JZNS1_25segmented_radix_sort_implINS0_14default_configELb1EPKiPiPKlPlN2at6native12_GLOBAL__N_18offset_tEEE10hipError_tPvRmT1_PNSt15iterator_traitsIS12_E10value_typeET2_T3_PNS13_IS18_E10value_typeET4_jRbjT5_S1E_jjP12ihipStream_tbEUljE_ZNSN_ISO_Lb1ESQ_SR_ST_SU_SY_EESZ_S10_S11_S12_S16_S17_S18_S1B_S1C_jS1D_jS1E_S1E_jjS1G_bEUljE0_EEESZ_S10_S11_S18_S1C_S1E_T6_T7_T9_mT8_S1G_bDpT10_ENKUlT_T0_E_clISt17integral_constantIbLb0EES1U_EEDaS1P_S1Q_EUlS1P_E_NS1_11comp_targetILNS1_3genE3ELNS1_11target_archE908ELNS1_3gpuE7ELNS1_3repE0EEENS1_30default_config_static_selectorELNS0_4arch9wavefront6targetE0EEEvS12_.has_indirect_call, 0
	.section	.AMDGPU.csdata,"",@progbits
; Kernel info:
; codeLenInByte = 0
; TotalNumSgprs: 0
; NumVgprs: 0
; ScratchSize: 0
; MemoryBound: 0
; FloatMode: 240
; IeeeMode: 1
; LDSByteSize: 0 bytes/workgroup (compile time only)
; SGPRBlocks: 0
; VGPRBlocks: 0
; NumSGPRsForWavesPerEU: 1
; NumVGPRsForWavesPerEU: 1
; Occupancy: 16
; WaveLimiterHint : 0
; COMPUTE_PGM_RSRC2:SCRATCH_EN: 0
; COMPUTE_PGM_RSRC2:USER_SGPR: 2
; COMPUTE_PGM_RSRC2:TRAP_HANDLER: 0
; COMPUTE_PGM_RSRC2:TGID_X_EN: 1
; COMPUTE_PGM_RSRC2:TGID_Y_EN: 0
; COMPUTE_PGM_RSRC2:TGID_Z_EN: 0
; COMPUTE_PGM_RSRC2:TIDIG_COMP_CNT: 0
	.section	.text._ZN7rocprim17ROCPRIM_400000_NS6detail17trampoline_kernelINS0_13select_configILj256ELj13ELNS0_17block_load_methodE3ELS4_3ELS4_3ELNS0_20block_scan_algorithmE0ELj4294967295EEENS1_25partition_config_selectorILNS1_17partition_subalgoE4EjNS0_10empty_typeEbEEZZNS1_14partition_implILS8_4ELb0ES6_15HIP_vector_typeIjLj2EENS0_17counting_iteratorIjlEEPS9_SG_NS0_5tupleIJPjSI_NS0_16reverse_iteratorISI_EEEEENSH_IJSG_SG_SG_EEES9_SI_JZNS1_25segmented_radix_sort_implINS0_14default_configELb1EPKiPiPKlPlN2at6native12_GLOBAL__N_18offset_tEEE10hipError_tPvRmT1_PNSt15iterator_traitsIS12_E10value_typeET2_T3_PNS13_IS18_E10value_typeET4_jRbjT5_S1E_jjP12ihipStream_tbEUljE_ZNSN_ISO_Lb1ESQ_SR_ST_SU_SY_EESZ_S10_S11_S12_S16_S17_S18_S1B_S1C_jS1D_jS1E_S1E_jjS1G_bEUljE0_EEESZ_S10_S11_S18_S1C_S1E_T6_T7_T9_mT8_S1G_bDpT10_ENKUlT_T0_E_clISt17integral_constantIbLb0EES1U_EEDaS1P_S1Q_EUlS1P_E_NS1_11comp_targetILNS1_3genE2ELNS1_11target_archE906ELNS1_3gpuE6ELNS1_3repE0EEENS1_30default_config_static_selectorELNS0_4arch9wavefront6targetE0EEEvS12_,"axG",@progbits,_ZN7rocprim17ROCPRIM_400000_NS6detail17trampoline_kernelINS0_13select_configILj256ELj13ELNS0_17block_load_methodE3ELS4_3ELS4_3ELNS0_20block_scan_algorithmE0ELj4294967295EEENS1_25partition_config_selectorILNS1_17partition_subalgoE4EjNS0_10empty_typeEbEEZZNS1_14partition_implILS8_4ELb0ES6_15HIP_vector_typeIjLj2EENS0_17counting_iteratorIjlEEPS9_SG_NS0_5tupleIJPjSI_NS0_16reverse_iteratorISI_EEEEENSH_IJSG_SG_SG_EEES9_SI_JZNS1_25segmented_radix_sort_implINS0_14default_configELb1EPKiPiPKlPlN2at6native12_GLOBAL__N_18offset_tEEE10hipError_tPvRmT1_PNSt15iterator_traitsIS12_E10value_typeET2_T3_PNS13_IS18_E10value_typeET4_jRbjT5_S1E_jjP12ihipStream_tbEUljE_ZNSN_ISO_Lb1ESQ_SR_ST_SU_SY_EESZ_S10_S11_S12_S16_S17_S18_S1B_S1C_jS1D_jS1E_S1E_jjS1G_bEUljE0_EEESZ_S10_S11_S18_S1C_S1E_T6_T7_T9_mT8_S1G_bDpT10_ENKUlT_T0_E_clISt17integral_constantIbLb0EES1U_EEDaS1P_S1Q_EUlS1P_E_NS1_11comp_targetILNS1_3genE2ELNS1_11target_archE906ELNS1_3gpuE6ELNS1_3repE0EEENS1_30default_config_static_selectorELNS0_4arch9wavefront6targetE0EEEvS12_,comdat
	.globl	_ZN7rocprim17ROCPRIM_400000_NS6detail17trampoline_kernelINS0_13select_configILj256ELj13ELNS0_17block_load_methodE3ELS4_3ELS4_3ELNS0_20block_scan_algorithmE0ELj4294967295EEENS1_25partition_config_selectorILNS1_17partition_subalgoE4EjNS0_10empty_typeEbEEZZNS1_14partition_implILS8_4ELb0ES6_15HIP_vector_typeIjLj2EENS0_17counting_iteratorIjlEEPS9_SG_NS0_5tupleIJPjSI_NS0_16reverse_iteratorISI_EEEEENSH_IJSG_SG_SG_EEES9_SI_JZNS1_25segmented_radix_sort_implINS0_14default_configELb1EPKiPiPKlPlN2at6native12_GLOBAL__N_18offset_tEEE10hipError_tPvRmT1_PNSt15iterator_traitsIS12_E10value_typeET2_T3_PNS13_IS18_E10value_typeET4_jRbjT5_S1E_jjP12ihipStream_tbEUljE_ZNSN_ISO_Lb1ESQ_SR_ST_SU_SY_EESZ_S10_S11_S12_S16_S17_S18_S1B_S1C_jS1D_jS1E_S1E_jjS1G_bEUljE0_EEESZ_S10_S11_S18_S1C_S1E_T6_T7_T9_mT8_S1G_bDpT10_ENKUlT_T0_E_clISt17integral_constantIbLb0EES1U_EEDaS1P_S1Q_EUlS1P_E_NS1_11comp_targetILNS1_3genE2ELNS1_11target_archE906ELNS1_3gpuE6ELNS1_3repE0EEENS1_30default_config_static_selectorELNS0_4arch9wavefront6targetE0EEEvS12_ ; -- Begin function _ZN7rocprim17ROCPRIM_400000_NS6detail17trampoline_kernelINS0_13select_configILj256ELj13ELNS0_17block_load_methodE3ELS4_3ELS4_3ELNS0_20block_scan_algorithmE0ELj4294967295EEENS1_25partition_config_selectorILNS1_17partition_subalgoE4EjNS0_10empty_typeEbEEZZNS1_14partition_implILS8_4ELb0ES6_15HIP_vector_typeIjLj2EENS0_17counting_iteratorIjlEEPS9_SG_NS0_5tupleIJPjSI_NS0_16reverse_iteratorISI_EEEEENSH_IJSG_SG_SG_EEES9_SI_JZNS1_25segmented_radix_sort_implINS0_14default_configELb1EPKiPiPKlPlN2at6native12_GLOBAL__N_18offset_tEEE10hipError_tPvRmT1_PNSt15iterator_traitsIS12_E10value_typeET2_T3_PNS13_IS18_E10value_typeET4_jRbjT5_S1E_jjP12ihipStream_tbEUljE_ZNSN_ISO_Lb1ESQ_SR_ST_SU_SY_EESZ_S10_S11_S12_S16_S17_S18_S1B_S1C_jS1D_jS1E_S1E_jjS1G_bEUljE0_EEESZ_S10_S11_S18_S1C_S1E_T6_T7_T9_mT8_S1G_bDpT10_ENKUlT_T0_E_clISt17integral_constantIbLb0EES1U_EEDaS1P_S1Q_EUlS1P_E_NS1_11comp_targetILNS1_3genE2ELNS1_11target_archE906ELNS1_3gpuE6ELNS1_3repE0EEENS1_30default_config_static_selectorELNS0_4arch9wavefront6targetE0EEEvS12_
	.p2align	8
	.type	_ZN7rocprim17ROCPRIM_400000_NS6detail17trampoline_kernelINS0_13select_configILj256ELj13ELNS0_17block_load_methodE3ELS4_3ELS4_3ELNS0_20block_scan_algorithmE0ELj4294967295EEENS1_25partition_config_selectorILNS1_17partition_subalgoE4EjNS0_10empty_typeEbEEZZNS1_14partition_implILS8_4ELb0ES6_15HIP_vector_typeIjLj2EENS0_17counting_iteratorIjlEEPS9_SG_NS0_5tupleIJPjSI_NS0_16reverse_iteratorISI_EEEEENSH_IJSG_SG_SG_EEES9_SI_JZNS1_25segmented_radix_sort_implINS0_14default_configELb1EPKiPiPKlPlN2at6native12_GLOBAL__N_18offset_tEEE10hipError_tPvRmT1_PNSt15iterator_traitsIS12_E10value_typeET2_T3_PNS13_IS18_E10value_typeET4_jRbjT5_S1E_jjP12ihipStream_tbEUljE_ZNSN_ISO_Lb1ESQ_SR_ST_SU_SY_EESZ_S10_S11_S12_S16_S17_S18_S1B_S1C_jS1D_jS1E_S1E_jjS1G_bEUljE0_EEESZ_S10_S11_S18_S1C_S1E_T6_T7_T9_mT8_S1G_bDpT10_ENKUlT_T0_E_clISt17integral_constantIbLb0EES1U_EEDaS1P_S1Q_EUlS1P_E_NS1_11comp_targetILNS1_3genE2ELNS1_11target_archE906ELNS1_3gpuE6ELNS1_3repE0EEENS1_30default_config_static_selectorELNS0_4arch9wavefront6targetE0EEEvS12_,@function
_ZN7rocprim17ROCPRIM_400000_NS6detail17trampoline_kernelINS0_13select_configILj256ELj13ELNS0_17block_load_methodE3ELS4_3ELS4_3ELNS0_20block_scan_algorithmE0ELj4294967295EEENS1_25partition_config_selectorILNS1_17partition_subalgoE4EjNS0_10empty_typeEbEEZZNS1_14partition_implILS8_4ELb0ES6_15HIP_vector_typeIjLj2EENS0_17counting_iteratorIjlEEPS9_SG_NS0_5tupleIJPjSI_NS0_16reverse_iteratorISI_EEEEENSH_IJSG_SG_SG_EEES9_SI_JZNS1_25segmented_radix_sort_implINS0_14default_configELb1EPKiPiPKlPlN2at6native12_GLOBAL__N_18offset_tEEE10hipError_tPvRmT1_PNSt15iterator_traitsIS12_E10value_typeET2_T3_PNS13_IS18_E10value_typeET4_jRbjT5_S1E_jjP12ihipStream_tbEUljE_ZNSN_ISO_Lb1ESQ_SR_ST_SU_SY_EESZ_S10_S11_S12_S16_S17_S18_S1B_S1C_jS1D_jS1E_S1E_jjS1G_bEUljE0_EEESZ_S10_S11_S18_S1C_S1E_T6_T7_T9_mT8_S1G_bDpT10_ENKUlT_T0_E_clISt17integral_constantIbLb0EES1U_EEDaS1P_S1Q_EUlS1P_E_NS1_11comp_targetILNS1_3genE2ELNS1_11target_archE906ELNS1_3gpuE6ELNS1_3repE0EEENS1_30default_config_static_selectorELNS0_4arch9wavefront6targetE0EEEvS12_: ; @_ZN7rocprim17ROCPRIM_400000_NS6detail17trampoline_kernelINS0_13select_configILj256ELj13ELNS0_17block_load_methodE3ELS4_3ELS4_3ELNS0_20block_scan_algorithmE0ELj4294967295EEENS1_25partition_config_selectorILNS1_17partition_subalgoE4EjNS0_10empty_typeEbEEZZNS1_14partition_implILS8_4ELb0ES6_15HIP_vector_typeIjLj2EENS0_17counting_iteratorIjlEEPS9_SG_NS0_5tupleIJPjSI_NS0_16reverse_iteratorISI_EEEEENSH_IJSG_SG_SG_EEES9_SI_JZNS1_25segmented_radix_sort_implINS0_14default_configELb1EPKiPiPKlPlN2at6native12_GLOBAL__N_18offset_tEEE10hipError_tPvRmT1_PNSt15iterator_traitsIS12_E10value_typeET2_T3_PNS13_IS18_E10value_typeET4_jRbjT5_S1E_jjP12ihipStream_tbEUljE_ZNSN_ISO_Lb1ESQ_SR_ST_SU_SY_EESZ_S10_S11_S12_S16_S17_S18_S1B_S1C_jS1D_jS1E_S1E_jjS1G_bEUljE0_EEESZ_S10_S11_S18_S1C_S1E_T6_T7_T9_mT8_S1G_bDpT10_ENKUlT_T0_E_clISt17integral_constantIbLb0EES1U_EEDaS1P_S1Q_EUlS1P_E_NS1_11comp_targetILNS1_3genE2ELNS1_11target_archE906ELNS1_3gpuE6ELNS1_3repE0EEENS1_30default_config_static_selectorELNS0_4arch9wavefront6targetE0EEEvS12_
; %bb.0:
	.section	.rodata,"a",@progbits
	.p2align	6, 0x0
	.amdhsa_kernel _ZN7rocprim17ROCPRIM_400000_NS6detail17trampoline_kernelINS0_13select_configILj256ELj13ELNS0_17block_load_methodE3ELS4_3ELS4_3ELNS0_20block_scan_algorithmE0ELj4294967295EEENS1_25partition_config_selectorILNS1_17partition_subalgoE4EjNS0_10empty_typeEbEEZZNS1_14partition_implILS8_4ELb0ES6_15HIP_vector_typeIjLj2EENS0_17counting_iteratorIjlEEPS9_SG_NS0_5tupleIJPjSI_NS0_16reverse_iteratorISI_EEEEENSH_IJSG_SG_SG_EEES9_SI_JZNS1_25segmented_radix_sort_implINS0_14default_configELb1EPKiPiPKlPlN2at6native12_GLOBAL__N_18offset_tEEE10hipError_tPvRmT1_PNSt15iterator_traitsIS12_E10value_typeET2_T3_PNS13_IS18_E10value_typeET4_jRbjT5_S1E_jjP12ihipStream_tbEUljE_ZNSN_ISO_Lb1ESQ_SR_ST_SU_SY_EESZ_S10_S11_S12_S16_S17_S18_S1B_S1C_jS1D_jS1E_S1E_jjS1G_bEUljE0_EEESZ_S10_S11_S18_S1C_S1E_T6_T7_T9_mT8_S1G_bDpT10_ENKUlT_T0_E_clISt17integral_constantIbLb0EES1U_EEDaS1P_S1Q_EUlS1P_E_NS1_11comp_targetILNS1_3genE2ELNS1_11target_archE906ELNS1_3gpuE6ELNS1_3repE0EEENS1_30default_config_static_selectorELNS0_4arch9wavefront6targetE0EEEvS12_
		.amdhsa_group_segment_fixed_size 0
		.amdhsa_private_segment_fixed_size 0
		.amdhsa_kernarg_size 176
		.amdhsa_user_sgpr_count 2
		.amdhsa_user_sgpr_dispatch_ptr 0
		.amdhsa_user_sgpr_queue_ptr 0
		.amdhsa_user_sgpr_kernarg_segment_ptr 1
		.amdhsa_user_sgpr_dispatch_id 0
		.amdhsa_user_sgpr_private_segment_size 0
		.amdhsa_wavefront_size32 1
		.amdhsa_uses_dynamic_stack 0
		.amdhsa_enable_private_segment 0
		.amdhsa_system_sgpr_workgroup_id_x 1
		.amdhsa_system_sgpr_workgroup_id_y 0
		.amdhsa_system_sgpr_workgroup_id_z 0
		.amdhsa_system_sgpr_workgroup_info 0
		.amdhsa_system_vgpr_workitem_id 0
		.amdhsa_next_free_vgpr 1
		.amdhsa_next_free_sgpr 1
		.amdhsa_reserve_vcc 0
		.amdhsa_float_round_mode_32 0
		.amdhsa_float_round_mode_16_64 0
		.amdhsa_float_denorm_mode_32 3
		.amdhsa_float_denorm_mode_16_64 3
		.amdhsa_fp16_overflow 0
		.amdhsa_workgroup_processor_mode 1
		.amdhsa_memory_ordered 1
		.amdhsa_forward_progress 1
		.amdhsa_inst_pref_size 0
		.amdhsa_round_robin_scheduling 0
		.amdhsa_exception_fp_ieee_invalid_op 0
		.amdhsa_exception_fp_denorm_src 0
		.amdhsa_exception_fp_ieee_div_zero 0
		.amdhsa_exception_fp_ieee_overflow 0
		.amdhsa_exception_fp_ieee_underflow 0
		.amdhsa_exception_fp_ieee_inexact 0
		.amdhsa_exception_int_div_zero 0
	.end_amdhsa_kernel
	.section	.text._ZN7rocprim17ROCPRIM_400000_NS6detail17trampoline_kernelINS0_13select_configILj256ELj13ELNS0_17block_load_methodE3ELS4_3ELS4_3ELNS0_20block_scan_algorithmE0ELj4294967295EEENS1_25partition_config_selectorILNS1_17partition_subalgoE4EjNS0_10empty_typeEbEEZZNS1_14partition_implILS8_4ELb0ES6_15HIP_vector_typeIjLj2EENS0_17counting_iteratorIjlEEPS9_SG_NS0_5tupleIJPjSI_NS0_16reverse_iteratorISI_EEEEENSH_IJSG_SG_SG_EEES9_SI_JZNS1_25segmented_radix_sort_implINS0_14default_configELb1EPKiPiPKlPlN2at6native12_GLOBAL__N_18offset_tEEE10hipError_tPvRmT1_PNSt15iterator_traitsIS12_E10value_typeET2_T3_PNS13_IS18_E10value_typeET4_jRbjT5_S1E_jjP12ihipStream_tbEUljE_ZNSN_ISO_Lb1ESQ_SR_ST_SU_SY_EESZ_S10_S11_S12_S16_S17_S18_S1B_S1C_jS1D_jS1E_S1E_jjS1G_bEUljE0_EEESZ_S10_S11_S18_S1C_S1E_T6_T7_T9_mT8_S1G_bDpT10_ENKUlT_T0_E_clISt17integral_constantIbLb0EES1U_EEDaS1P_S1Q_EUlS1P_E_NS1_11comp_targetILNS1_3genE2ELNS1_11target_archE906ELNS1_3gpuE6ELNS1_3repE0EEENS1_30default_config_static_selectorELNS0_4arch9wavefront6targetE0EEEvS12_,"axG",@progbits,_ZN7rocprim17ROCPRIM_400000_NS6detail17trampoline_kernelINS0_13select_configILj256ELj13ELNS0_17block_load_methodE3ELS4_3ELS4_3ELNS0_20block_scan_algorithmE0ELj4294967295EEENS1_25partition_config_selectorILNS1_17partition_subalgoE4EjNS0_10empty_typeEbEEZZNS1_14partition_implILS8_4ELb0ES6_15HIP_vector_typeIjLj2EENS0_17counting_iteratorIjlEEPS9_SG_NS0_5tupleIJPjSI_NS0_16reverse_iteratorISI_EEEEENSH_IJSG_SG_SG_EEES9_SI_JZNS1_25segmented_radix_sort_implINS0_14default_configELb1EPKiPiPKlPlN2at6native12_GLOBAL__N_18offset_tEEE10hipError_tPvRmT1_PNSt15iterator_traitsIS12_E10value_typeET2_T3_PNS13_IS18_E10value_typeET4_jRbjT5_S1E_jjP12ihipStream_tbEUljE_ZNSN_ISO_Lb1ESQ_SR_ST_SU_SY_EESZ_S10_S11_S12_S16_S17_S18_S1B_S1C_jS1D_jS1E_S1E_jjS1G_bEUljE0_EEESZ_S10_S11_S18_S1C_S1E_T6_T7_T9_mT8_S1G_bDpT10_ENKUlT_T0_E_clISt17integral_constantIbLb0EES1U_EEDaS1P_S1Q_EUlS1P_E_NS1_11comp_targetILNS1_3genE2ELNS1_11target_archE906ELNS1_3gpuE6ELNS1_3repE0EEENS1_30default_config_static_selectorELNS0_4arch9wavefront6targetE0EEEvS12_,comdat
.Lfunc_end437:
	.size	_ZN7rocprim17ROCPRIM_400000_NS6detail17trampoline_kernelINS0_13select_configILj256ELj13ELNS0_17block_load_methodE3ELS4_3ELS4_3ELNS0_20block_scan_algorithmE0ELj4294967295EEENS1_25partition_config_selectorILNS1_17partition_subalgoE4EjNS0_10empty_typeEbEEZZNS1_14partition_implILS8_4ELb0ES6_15HIP_vector_typeIjLj2EENS0_17counting_iteratorIjlEEPS9_SG_NS0_5tupleIJPjSI_NS0_16reverse_iteratorISI_EEEEENSH_IJSG_SG_SG_EEES9_SI_JZNS1_25segmented_radix_sort_implINS0_14default_configELb1EPKiPiPKlPlN2at6native12_GLOBAL__N_18offset_tEEE10hipError_tPvRmT1_PNSt15iterator_traitsIS12_E10value_typeET2_T3_PNS13_IS18_E10value_typeET4_jRbjT5_S1E_jjP12ihipStream_tbEUljE_ZNSN_ISO_Lb1ESQ_SR_ST_SU_SY_EESZ_S10_S11_S12_S16_S17_S18_S1B_S1C_jS1D_jS1E_S1E_jjS1G_bEUljE0_EEESZ_S10_S11_S18_S1C_S1E_T6_T7_T9_mT8_S1G_bDpT10_ENKUlT_T0_E_clISt17integral_constantIbLb0EES1U_EEDaS1P_S1Q_EUlS1P_E_NS1_11comp_targetILNS1_3genE2ELNS1_11target_archE906ELNS1_3gpuE6ELNS1_3repE0EEENS1_30default_config_static_selectorELNS0_4arch9wavefront6targetE0EEEvS12_, .Lfunc_end437-_ZN7rocprim17ROCPRIM_400000_NS6detail17trampoline_kernelINS0_13select_configILj256ELj13ELNS0_17block_load_methodE3ELS4_3ELS4_3ELNS0_20block_scan_algorithmE0ELj4294967295EEENS1_25partition_config_selectorILNS1_17partition_subalgoE4EjNS0_10empty_typeEbEEZZNS1_14partition_implILS8_4ELb0ES6_15HIP_vector_typeIjLj2EENS0_17counting_iteratorIjlEEPS9_SG_NS0_5tupleIJPjSI_NS0_16reverse_iteratorISI_EEEEENSH_IJSG_SG_SG_EEES9_SI_JZNS1_25segmented_radix_sort_implINS0_14default_configELb1EPKiPiPKlPlN2at6native12_GLOBAL__N_18offset_tEEE10hipError_tPvRmT1_PNSt15iterator_traitsIS12_E10value_typeET2_T3_PNS13_IS18_E10value_typeET4_jRbjT5_S1E_jjP12ihipStream_tbEUljE_ZNSN_ISO_Lb1ESQ_SR_ST_SU_SY_EESZ_S10_S11_S12_S16_S17_S18_S1B_S1C_jS1D_jS1E_S1E_jjS1G_bEUljE0_EEESZ_S10_S11_S18_S1C_S1E_T6_T7_T9_mT8_S1G_bDpT10_ENKUlT_T0_E_clISt17integral_constantIbLb0EES1U_EEDaS1P_S1Q_EUlS1P_E_NS1_11comp_targetILNS1_3genE2ELNS1_11target_archE906ELNS1_3gpuE6ELNS1_3repE0EEENS1_30default_config_static_selectorELNS0_4arch9wavefront6targetE0EEEvS12_
                                        ; -- End function
	.set _ZN7rocprim17ROCPRIM_400000_NS6detail17trampoline_kernelINS0_13select_configILj256ELj13ELNS0_17block_load_methodE3ELS4_3ELS4_3ELNS0_20block_scan_algorithmE0ELj4294967295EEENS1_25partition_config_selectorILNS1_17partition_subalgoE4EjNS0_10empty_typeEbEEZZNS1_14partition_implILS8_4ELb0ES6_15HIP_vector_typeIjLj2EENS0_17counting_iteratorIjlEEPS9_SG_NS0_5tupleIJPjSI_NS0_16reverse_iteratorISI_EEEEENSH_IJSG_SG_SG_EEES9_SI_JZNS1_25segmented_radix_sort_implINS0_14default_configELb1EPKiPiPKlPlN2at6native12_GLOBAL__N_18offset_tEEE10hipError_tPvRmT1_PNSt15iterator_traitsIS12_E10value_typeET2_T3_PNS13_IS18_E10value_typeET4_jRbjT5_S1E_jjP12ihipStream_tbEUljE_ZNSN_ISO_Lb1ESQ_SR_ST_SU_SY_EESZ_S10_S11_S12_S16_S17_S18_S1B_S1C_jS1D_jS1E_S1E_jjS1G_bEUljE0_EEESZ_S10_S11_S18_S1C_S1E_T6_T7_T9_mT8_S1G_bDpT10_ENKUlT_T0_E_clISt17integral_constantIbLb0EES1U_EEDaS1P_S1Q_EUlS1P_E_NS1_11comp_targetILNS1_3genE2ELNS1_11target_archE906ELNS1_3gpuE6ELNS1_3repE0EEENS1_30default_config_static_selectorELNS0_4arch9wavefront6targetE0EEEvS12_.num_vgpr, 0
	.set _ZN7rocprim17ROCPRIM_400000_NS6detail17trampoline_kernelINS0_13select_configILj256ELj13ELNS0_17block_load_methodE3ELS4_3ELS4_3ELNS0_20block_scan_algorithmE0ELj4294967295EEENS1_25partition_config_selectorILNS1_17partition_subalgoE4EjNS0_10empty_typeEbEEZZNS1_14partition_implILS8_4ELb0ES6_15HIP_vector_typeIjLj2EENS0_17counting_iteratorIjlEEPS9_SG_NS0_5tupleIJPjSI_NS0_16reverse_iteratorISI_EEEEENSH_IJSG_SG_SG_EEES9_SI_JZNS1_25segmented_radix_sort_implINS0_14default_configELb1EPKiPiPKlPlN2at6native12_GLOBAL__N_18offset_tEEE10hipError_tPvRmT1_PNSt15iterator_traitsIS12_E10value_typeET2_T3_PNS13_IS18_E10value_typeET4_jRbjT5_S1E_jjP12ihipStream_tbEUljE_ZNSN_ISO_Lb1ESQ_SR_ST_SU_SY_EESZ_S10_S11_S12_S16_S17_S18_S1B_S1C_jS1D_jS1E_S1E_jjS1G_bEUljE0_EEESZ_S10_S11_S18_S1C_S1E_T6_T7_T9_mT8_S1G_bDpT10_ENKUlT_T0_E_clISt17integral_constantIbLb0EES1U_EEDaS1P_S1Q_EUlS1P_E_NS1_11comp_targetILNS1_3genE2ELNS1_11target_archE906ELNS1_3gpuE6ELNS1_3repE0EEENS1_30default_config_static_selectorELNS0_4arch9wavefront6targetE0EEEvS12_.num_agpr, 0
	.set _ZN7rocprim17ROCPRIM_400000_NS6detail17trampoline_kernelINS0_13select_configILj256ELj13ELNS0_17block_load_methodE3ELS4_3ELS4_3ELNS0_20block_scan_algorithmE0ELj4294967295EEENS1_25partition_config_selectorILNS1_17partition_subalgoE4EjNS0_10empty_typeEbEEZZNS1_14partition_implILS8_4ELb0ES6_15HIP_vector_typeIjLj2EENS0_17counting_iteratorIjlEEPS9_SG_NS0_5tupleIJPjSI_NS0_16reverse_iteratorISI_EEEEENSH_IJSG_SG_SG_EEES9_SI_JZNS1_25segmented_radix_sort_implINS0_14default_configELb1EPKiPiPKlPlN2at6native12_GLOBAL__N_18offset_tEEE10hipError_tPvRmT1_PNSt15iterator_traitsIS12_E10value_typeET2_T3_PNS13_IS18_E10value_typeET4_jRbjT5_S1E_jjP12ihipStream_tbEUljE_ZNSN_ISO_Lb1ESQ_SR_ST_SU_SY_EESZ_S10_S11_S12_S16_S17_S18_S1B_S1C_jS1D_jS1E_S1E_jjS1G_bEUljE0_EEESZ_S10_S11_S18_S1C_S1E_T6_T7_T9_mT8_S1G_bDpT10_ENKUlT_T0_E_clISt17integral_constantIbLb0EES1U_EEDaS1P_S1Q_EUlS1P_E_NS1_11comp_targetILNS1_3genE2ELNS1_11target_archE906ELNS1_3gpuE6ELNS1_3repE0EEENS1_30default_config_static_selectorELNS0_4arch9wavefront6targetE0EEEvS12_.numbered_sgpr, 0
	.set _ZN7rocprim17ROCPRIM_400000_NS6detail17trampoline_kernelINS0_13select_configILj256ELj13ELNS0_17block_load_methodE3ELS4_3ELS4_3ELNS0_20block_scan_algorithmE0ELj4294967295EEENS1_25partition_config_selectorILNS1_17partition_subalgoE4EjNS0_10empty_typeEbEEZZNS1_14partition_implILS8_4ELb0ES6_15HIP_vector_typeIjLj2EENS0_17counting_iteratorIjlEEPS9_SG_NS0_5tupleIJPjSI_NS0_16reverse_iteratorISI_EEEEENSH_IJSG_SG_SG_EEES9_SI_JZNS1_25segmented_radix_sort_implINS0_14default_configELb1EPKiPiPKlPlN2at6native12_GLOBAL__N_18offset_tEEE10hipError_tPvRmT1_PNSt15iterator_traitsIS12_E10value_typeET2_T3_PNS13_IS18_E10value_typeET4_jRbjT5_S1E_jjP12ihipStream_tbEUljE_ZNSN_ISO_Lb1ESQ_SR_ST_SU_SY_EESZ_S10_S11_S12_S16_S17_S18_S1B_S1C_jS1D_jS1E_S1E_jjS1G_bEUljE0_EEESZ_S10_S11_S18_S1C_S1E_T6_T7_T9_mT8_S1G_bDpT10_ENKUlT_T0_E_clISt17integral_constantIbLb0EES1U_EEDaS1P_S1Q_EUlS1P_E_NS1_11comp_targetILNS1_3genE2ELNS1_11target_archE906ELNS1_3gpuE6ELNS1_3repE0EEENS1_30default_config_static_selectorELNS0_4arch9wavefront6targetE0EEEvS12_.num_named_barrier, 0
	.set _ZN7rocprim17ROCPRIM_400000_NS6detail17trampoline_kernelINS0_13select_configILj256ELj13ELNS0_17block_load_methodE3ELS4_3ELS4_3ELNS0_20block_scan_algorithmE0ELj4294967295EEENS1_25partition_config_selectorILNS1_17partition_subalgoE4EjNS0_10empty_typeEbEEZZNS1_14partition_implILS8_4ELb0ES6_15HIP_vector_typeIjLj2EENS0_17counting_iteratorIjlEEPS9_SG_NS0_5tupleIJPjSI_NS0_16reverse_iteratorISI_EEEEENSH_IJSG_SG_SG_EEES9_SI_JZNS1_25segmented_radix_sort_implINS0_14default_configELb1EPKiPiPKlPlN2at6native12_GLOBAL__N_18offset_tEEE10hipError_tPvRmT1_PNSt15iterator_traitsIS12_E10value_typeET2_T3_PNS13_IS18_E10value_typeET4_jRbjT5_S1E_jjP12ihipStream_tbEUljE_ZNSN_ISO_Lb1ESQ_SR_ST_SU_SY_EESZ_S10_S11_S12_S16_S17_S18_S1B_S1C_jS1D_jS1E_S1E_jjS1G_bEUljE0_EEESZ_S10_S11_S18_S1C_S1E_T6_T7_T9_mT8_S1G_bDpT10_ENKUlT_T0_E_clISt17integral_constantIbLb0EES1U_EEDaS1P_S1Q_EUlS1P_E_NS1_11comp_targetILNS1_3genE2ELNS1_11target_archE906ELNS1_3gpuE6ELNS1_3repE0EEENS1_30default_config_static_selectorELNS0_4arch9wavefront6targetE0EEEvS12_.private_seg_size, 0
	.set _ZN7rocprim17ROCPRIM_400000_NS6detail17trampoline_kernelINS0_13select_configILj256ELj13ELNS0_17block_load_methodE3ELS4_3ELS4_3ELNS0_20block_scan_algorithmE0ELj4294967295EEENS1_25partition_config_selectorILNS1_17partition_subalgoE4EjNS0_10empty_typeEbEEZZNS1_14partition_implILS8_4ELb0ES6_15HIP_vector_typeIjLj2EENS0_17counting_iteratorIjlEEPS9_SG_NS0_5tupleIJPjSI_NS0_16reverse_iteratorISI_EEEEENSH_IJSG_SG_SG_EEES9_SI_JZNS1_25segmented_radix_sort_implINS0_14default_configELb1EPKiPiPKlPlN2at6native12_GLOBAL__N_18offset_tEEE10hipError_tPvRmT1_PNSt15iterator_traitsIS12_E10value_typeET2_T3_PNS13_IS18_E10value_typeET4_jRbjT5_S1E_jjP12ihipStream_tbEUljE_ZNSN_ISO_Lb1ESQ_SR_ST_SU_SY_EESZ_S10_S11_S12_S16_S17_S18_S1B_S1C_jS1D_jS1E_S1E_jjS1G_bEUljE0_EEESZ_S10_S11_S18_S1C_S1E_T6_T7_T9_mT8_S1G_bDpT10_ENKUlT_T0_E_clISt17integral_constantIbLb0EES1U_EEDaS1P_S1Q_EUlS1P_E_NS1_11comp_targetILNS1_3genE2ELNS1_11target_archE906ELNS1_3gpuE6ELNS1_3repE0EEENS1_30default_config_static_selectorELNS0_4arch9wavefront6targetE0EEEvS12_.uses_vcc, 0
	.set _ZN7rocprim17ROCPRIM_400000_NS6detail17trampoline_kernelINS0_13select_configILj256ELj13ELNS0_17block_load_methodE3ELS4_3ELS4_3ELNS0_20block_scan_algorithmE0ELj4294967295EEENS1_25partition_config_selectorILNS1_17partition_subalgoE4EjNS0_10empty_typeEbEEZZNS1_14partition_implILS8_4ELb0ES6_15HIP_vector_typeIjLj2EENS0_17counting_iteratorIjlEEPS9_SG_NS0_5tupleIJPjSI_NS0_16reverse_iteratorISI_EEEEENSH_IJSG_SG_SG_EEES9_SI_JZNS1_25segmented_radix_sort_implINS0_14default_configELb1EPKiPiPKlPlN2at6native12_GLOBAL__N_18offset_tEEE10hipError_tPvRmT1_PNSt15iterator_traitsIS12_E10value_typeET2_T3_PNS13_IS18_E10value_typeET4_jRbjT5_S1E_jjP12ihipStream_tbEUljE_ZNSN_ISO_Lb1ESQ_SR_ST_SU_SY_EESZ_S10_S11_S12_S16_S17_S18_S1B_S1C_jS1D_jS1E_S1E_jjS1G_bEUljE0_EEESZ_S10_S11_S18_S1C_S1E_T6_T7_T9_mT8_S1G_bDpT10_ENKUlT_T0_E_clISt17integral_constantIbLb0EES1U_EEDaS1P_S1Q_EUlS1P_E_NS1_11comp_targetILNS1_3genE2ELNS1_11target_archE906ELNS1_3gpuE6ELNS1_3repE0EEENS1_30default_config_static_selectorELNS0_4arch9wavefront6targetE0EEEvS12_.uses_flat_scratch, 0
	.set _ZN7rocprim17ROCPRIM_400000_NS6detail17trampoline_kernelINS0_13select_configILj256ELj13ELNS0_17block_load_methodE3ELS4_3ELS4_3ELNS0_20block_scan_algorithmE0ELj4294967295EEENS1_25partition_config_selectorILNS1_17partition_subalgoE4EjNS0_10empty_typeEbEEZZNS1_14partition_implILS8_4ELb0ES6_15HIP_vector_typeIjLj2EENS0_17counting_iteratorIjlEEPS9_SG_NS0_5tupleIJPjSI_NS0_16reverse_iteratorISI_EEEEENSH_IJSG_SG_SG_EEES9_SI_JZNS1_25segmented_radix_sort_implINS0_14default_configELb1EPKiPiPKlPlN2at6native12_GLOBAL__N_18offset_tEEE10hipError_tPvRmT1_PNSt15iterator_traitsIS12_E10value_typeET2_T3_PNS13_IS18_E10value_typeET4_jRbjT5_S1E_jjP12ihipStream_tbEUljE_ZNSN_ISO_Lb1ESQ_SR_ST_SU_SY_EESZ_S10_S11_S12_S16_S17_S18_S1B_S1C_jS1D_jS1E_S1E_jjS1G_bEUljE0_EEESZ_S10_S11_S18_S1C_S1E_T6_T7_T9_mT8_S1G_bDpT10_ENKUlT_T0_E_clISt17integral_constantIbLb0EES1U_EEDaS1P_S1Q_EUlS1P_E_NS1_11comp_targetILNS1_3genE2ELNS1_11target_archE906ELNS1_3gpuE6ELNS1_3repE0EEENS1_30default_config_static_selectorELNS0_4arch9wavefront6targetE0EEEvS12_.has_dyn_sized_stack, 0
	.set _ZN7rocprim17ROCPRIM_400000_NS6detail17trampoline_kernelINS0_13select_configILj256ELj13ELNS0_17block_load_methodE3ELS4_3ELS4_3ELNS0_20block_scan_algorithmE0ELj4294967295EEENS1_25partition_config_selectorILNS1_17partition_subalgoE4EjNS0_10empty_typeEbEEZZNS1_14partition_implILS8_4ELb0ES6_15HIP_vector_typeIjLj2EENS0_17counting_iteratorIjlEEPS9_SG_NS0_5tupleIJPjSI_NS0_16reverse_iteratorISI_EEEEENSH_IJSG_SG_SG_EEES9_SI_JZNS1_25segmented_radix_sort_implINS0_14default_configELb1EPKiPiPKlPlN2at6native12_GLOBAL__N_18offset_tEEE10hipError_tPvRmT1_PNSt15iterator_traitsIS12_E10value_typeET2_T3_PNS13_IS18_E10value_typeET4_jRbjT5_S1E_jjP12ihipStream_tbEUljE_ZNSN_ISO_Lb1ESQ_SR_ST_SU_SY_EESZ_S10_S11_S12_S16_S17_S18_S1B_S1C_jS1D_jS1E_S1E_jjS1G_bEUljE0_EEESZ_S10_S11_S18_S1C_S1E_T6_T7_T9_mT8_S1G_bDpT10_ENKUlT_T0_E_clISt17integral_constantIbLb0EES1U_EEDaS1P_S1Q_EUlS1P_E_NS1_11comp_targetILNS1_3genE2ELNS1_11target_archE906ELNS1_3gpuE6ELNS1_3repE0EEENS1_30default_config_static_selectorELNS0_4arch9wavefront6targetE0EEEvS12_.has_recursion, 0
	.set _ZN7rocprim17ROCPRIM_400000_NS6detail17trampoline_kernelINS0_13select_configILj256ELj13ELNS0_17block_load_methodE3ELS4_3ELS4_3ELNS0_20block_scan_algorithmE0ELj4294967295EEENS1_25partition_config_selectorILNS1_17partition_subalgoE4EjNS0_10empty_typeEbEEZZNS1_14partition_implILS8_4ELb0ES6_15HIP_vector_typeIjLj2EENS0_17counting_iteratorIjlEEPS9_SG_NS0_5tupleIJPjSI_NS0_16reverse_iteratorISI_EEEEENSH_IJSG_SG_SG_EEES9_SI_JZNS1_25segmented_radix_sort_implINS0_14default_configELb1EPKiPiPKlPlN2at6native12_GLOBAL__N_18offset_tEEE10hipError_tPvRmT1_PNSt15iterator_traitsIS12_E10value_typeET2_T3_PNS13_IS18_E10value_typeET4_jRbjT5_S1E_jjP12ihipStream_tbEUljE_ZNSN_ISO_Lb1ESQ_SR_ST_SU_SY_EESZ_S10_S11_S12_S16_S17_S18_S1B_S1C_jS1D_jS1E_S1E_jjS1G_bEUljE0_EEESZ_S10_S11_S18_S1C_S1E_T6_T7_T9_mT8_S1G_bDpT10_ENKUlT_T0_E_clISt17integral_constantIbLb0EES1U_EEDaS1P_S1Q_EUlS1P_E_NS1_11comp_targetILNS1_3genE2ELNS1_11target_archE906ELNS1_3gpuE6ELNS1_3repE0EEENS1_30default_config_static_selectorELNS0_4arch9wavefront6targetE0EEEvS12_.has_indirect_call, 0
	.section	.AMDGPU.csdata,"",@progbits
; Kernel info:
; codeLenInByte = 0
; TotalNumSgprs: 0
; NumVgprs: 0
; ScratchSize: 0
; MemoryBound: 0
; FloatMode: 240
; IeeeMode: 1
; LDSByteSize: 0 bytes/workgroup (compile time only)
; SGPRBlocks: 0
; VGPRBlocks: 0
; NumSGPRsForWavesPerEU: 1
; NumVGPRsForWavesPerEU: 1
; Occupancy: 16
; WaveLimiterHint : 0
; COMPUTE_PGM_RSRC2:SCRATCH_EN: 0
; COMPUTE_PGM_RSRC2:USER_SGPR: 2
; COMPUTE_PGM_RSRC2:TRAP_HANDLER: 0
; COMPUTE_PGM_RSRC2:TGID_X_EN: 1
; COMPUTE_PGM_RSRC2:TGID_Y_EN: 0
; COMPUTE_PGM_RSRC2:TGID_Z_EN: 0
; COMPUTE_PGM_RSRC2:TIDIG_COMP_CNT: 0
	.section	.text._ZN7rocprim17ROCPRIM_400000_NS6detail17trampoline_kernelINS0_13select_configILj256ELj13ELNS0_17block_load_methodE3ELS4_3ELS4_3ELNS0_20block_scan_algorithmE0ELj4294967295EEENS1_25partition_config_selectorILNS1_17partition_subalgoE4EjNS0_10empty_typeEbEEZZNS1_14partition_implILS8_4ELb0ES6_15HIP_vector_typeIjLj2EENS0_17counting_iteratorIjlEEPS9_SG_NS0_5tupleIJPjSI_NS0_16reverse_iteratorISI_EEEEENSH_IJSG_SG_SG_EEES9_SI_JZNS1_25segmented_radix_sort_implINS0_14default_configELb1EPKiPiPKlPlN2at6native12_GLOBAL__N_18offset_tEEE10hipError_tPvRmT1_PNSt15iterator_traitsIS12_E10value_typeET2_T3_PNS13_IS18_E10value_typeET4_jRbjT5_S1E_jjP12ihipStream_tbEUljE_ZNSN_ISO_Lb1ESQ_SR_ST_SU_SY_EESZ_S10_S11_S12_S16_S17_S18_S1B_S1C_jS1D_jS1E_S1E_jjS1G_bEUljE0_EEESZ_S10_S11_S18_S1C_S1E_T6_T7_T9_mT8_S1G_bDpT10_ENKUlT_T0_E_clISt17integral_constantIbLb0EES1U_EEDaS1P_S1Q_EUlS1P_E_NS1_11comp_targetILNS1_3genE10ELNS1_11target_archE1200ELNS1_3gpuE4ELNS1_3repE0EEENS1_30default_config_static_selectorELNS0_4arch9wavefront6targetE0EEEvS12_,"axG",@progbits,_ZN7rocprim17ROCPRIM_400000_NS6detail17trampoline_kernelINS0_13select_configILj256ELj13ELNS0_17block_load_methodE3ELS4_3ELS4_3ELNS0_20block_scan_algorithmE0ELj4294967295EEENS1_25partition_config_selectorILNS1_17partition_subalgoE4EjNS0_10empty_typeEbEEZZNS1_14partition_implILS8_4ELb0ES6_15HIP_vector_typeIjLj2EENS0_17counting_iteratorIjlEEPS9_SG_NS0_5tupleIJPjSI_NS0_16reverse_iteratorISI_EEEEENSH_IJSG_SG_SG_EEES9_SI_JZNS1_25segmented_radix_sort_implINS0_14default_configELb1EPKiPiPKlPlN2at6native12_GLOBAL__N_18offset_tEEE10hipError_tPvRmT1_PNSt15iterator_traitsIS12_E10value_typeET2_T3_PNS13_IS18_E10value_typeET4_jRbjT5_S1E_jjP12ihipStream_tbEUljE_ZNSN_ISO_Lb1ESQ_SR_ST_SU_SY_EESZ_S10_S11_S12_S16_S17_S18_S1B_S1C_jS1D_jS1E_S1E_jjS1G_bEUljE0_EEESZ_S10_S11_S18_S1C_S1E_T6_T7_T9_mT8_S1G_bDpT10_ENKUlT_T0_E_clISt17integral_constantIbLb0EES1U_EEDaS1P_S1Q_EUlS1P_E_NS1_11comp_targetILNS1_3genE10ELNS1_11target_archE1200ELNS1_3gpuE4ELNS1_3repE0EEENS1_30default_config_static_selectorELNS0_4arch9wavefront6targetE0EEEvS12_,comdat
	.globl	_ZN7rocprim17ROCPRIM_400000_NS6detail17trampoline_kernelINS0_13select_configILj256ELj13ELNS0_17block_load_methodE3ELS4_3ELS4_3ELNS0_20block_scan_algorithmE0ELj4294967295EEENS1_25partition_config_selectorILNS1_17partition_subalgoE4EjNS0_10empty_typeEbEEZZNS1_14partition_implILS8_4ELb0ES6_15HIP_vector_typeIjLj2EENS0_17counting_iteratorIjlEEPS9_SG_NS0_5tupleIJPjSI_NS0_16reverse_iteratorISI_EEEEENSH_IJSG_SG_SG_EEES9_SI_JZNS1_25segmented_radix_sort_implINS0_14default_configELb1EPKiPiPKlPlN2at6native12_GLOBAL__N_18offset_tEEE10hipError_tPvRmT1_PNSt15iterator_traitsIS12_E10value_typeET2_T3_PNS13_IS18_E10value_typeET4_jRbjT5_S1E_jjP12ihipStream_tbEUljE_ZNSN_ISO_Lb1ESQ_SR_ST_SU_SY_EESZ_S10_S11_S12_S16_S17_S18_S1B_S1C_jS1D_jS1E_S1E_jjS1G_bEUljE0_EEESZ_S10_S11_S18_S1C_S1E_T6_T7_T9_mT8_S1G_bDpT10_ENKUlT_T0_E_clISt17integral_constantIbLb0EES1U_EEDaS1P_S1Q_EUlS1P_E_NS1_11comp_targetILNS1_3genE10ELNS1_11target_archE1200ELNS1_3gpuE4ELNS1_3repE0EEENS1_30default_config_static_selectorELNS0_4arch9wavefront6targetE0EEEvS12_ ; -- Begin function _ZN7rocprim17ROCPRIM_400000_NS6detail17trampoline_kernelINS0_13select_configILj256ELj13ELNS0_17block_load_methodE3ELS4_3ELS4_3ELNS0_20block_scan_algorithmE0ELj4294967295EEENS1_25partition_config_selectorILNS1_17partition_subalgoE4EjNS0_10empty_typeEbEEZZNS1_14partition_implILS8_4ELb0ES6_15HIP_vector_typeIjLj2EENS0_17counting_iteratorIjlEEPS9_SG_NS0_5tupleIJPjSI_NS0_16reverse_iteratorISI_EEEEENSH_IJSG_SG_SG_EEES9_SI_JZNS1_25segmented_radix_sort_implINS0_14default_configELb1EPKiPiPKlPlN2at6native12_GLOBAL__N_18offset_tEEE10hipError_tPvRmT1_PNSt15iterator_traitsIS12_E10value_typeET2_T3_PNS13_IS18_E10value_typeET4_jRbjT5_S1E_jjP12ihipStream_tbEUljE_ZNSN_ISO_Lb1ESQ_SR_ST_SU_SY_EESZ_S10_S11_S12_S16_S17_S18_S1B_S1C_jS1D_jS1E_S1E_jjS1G_bEUljE0_EEESZ_S10_S11_S18_S1C_S1E_T6_T7_T9_mT8_S1G_bDpT10_ENKUlT_T0_E_clISt17integral_constantIbLb0EES1U_EEDaS1P_S1Q_EUlS1P_E_NS1_11comp_targetILNS1_3genE10ELNS1_11target_archE1200ELNS1_3gpuE4ELNS1_3repE0EEENS1_30default_config_static_selectorELNS0_4arch9wavefront6targetE0EEEvS12_
	.p2align	8
	.type	_ZN7rocprim17ROCPRIM_400000_NS6detail17trampoline_kernelINS0_13select_configILj256ELj13ELNS0_17block_load_methodE3ELS4_3ELS4_3ELNS0_20block_scan_algorithmE0ELj4294967295EEENS1_25partition_config_selectorILNS1_17partition_subalgoE4EjNS0_10empty_typeEbEEZZNS1_14partition_implILS8_4ELb0ES6_15HIP_vector_typeIjLj2EENS0_17counting_iteratorIjlEEPS9_SG_NS0_5tupleIJPjSI_NS0_16reverse_iteratorISI_EEEEENSH_IJSG_SG_SG_EEES9_SI_JZNS1_25segmented_radix_sort_implINS0_14default_configELb1EPKiPiPKlPlN2at6native12_GLOBAL__N_18offset_tEEE10hipError_tPvRmT1_PNSt15iterator_traitsIS12_E10value_typeET2_T3_PNS13_IS18_E10value_typeET4_jRbjT5_S1E_jjP12ihipStream_tbEUljE_ZNSN_ISO_Lb1ESQ_SR_ST_SU_SY_EESZ_S10_S11_S12_S16_S17_S18_S1B_S1C_jS1D_jS1E_S1E_jjS1G_bEUljE0_EEESZ_S10_S11_S18_S1C_S1E_T6_T7_T9_mT8_S1G_bDpT10_ENKUlT_T0_E_clISt17integral_constantIbLb0EES1U_EEDaS1P_S1Q_EUlS1P_E_NS1_11comp_targetILNS1_3genE10ELNS1_11target_archE1200ELNS1_3gpuE4ELNS1_3repE0EEENS1_30default_config_static_selectorELNS0_4arch9wavefront6targetE0EEEvS12_,@function
_ZN7rocprim17ROCPRIM_400000_NS6detail17trampoline_kernelINS0_13select_configILj256ELj13ELNS0_17block_load_methodE3ELS4_3ELS4_3ELNS0_20block_scan_algorithmE0ELj4294967295EEENS1_25partition_config_selectorILNS1_17partition_subalgoE4EjNS0_10empty_typeEbEEZZNS1_14partition_implILS8_4ELb0ES6_15HIP_vector_typeIjLj2EENS0_17counting_iteratorIjlEEPS9_SG_NS0_5tupleIJPjSI_NS0_16reverse_iteratorISI_EEEEENSH_IJSG_SG_SG_EEES9_SI_JZNS1_25segmented_radix_sort_implINS0_14default_configELb1EPKiPiPKlPlN2at6native12_GLOBAL__N_18offset_tEEE10hipError_tPvRmT1_PNSt15iterator_traitsIS12_E10value_typeET2_T3_PNS13_IS18_E10value_typeET4_jRbjT5_S1E_jjP12ihipStream_tbEUljE_ZNSN_ISO_Lb1ESQ_SR_ST_SU_SY_EESZ_S10_S11_S12_S16_S17_S18_S1B_S1C_jS1D_jS1E_S1E_jjS1G_bEUljE0_EEESZ_S10_S11_S18_S1C_S1E_T6_T7_T9_mT8_S1G_bDpT10_ENKUlT_T0_E_clISt17integral_constantIbLb0EES1U_EEDaS1P_S1Q_EUlS1P_E_NS1_11comp_targetILNS1_3genE10ELNS1_11target_archE1200ELNS1_3gpuE4ELNS1_3repE0EEENS1_30default_config_static_selectorELNS0_4arch9wavefront6targetE0EEEvS12_: ; @_ZN7rocprim17ROCPRIM_400000_NS6detail17trampoline_kernelINS0_13select_configILj256ELj13ELNS0_17block_load_methodE3ELS4_3ELS4_3ELNS0_20block_scan_algorithmE0ELj4294967295EEENS1_25partition_config_selectorILNS1_17partition_subalgoE4EjNS0_10empty_typeEbEEZZNS1_14partition_implILS8_4ELb0ES6_15HIP_vector_typeIjLj2EENS0_17counting_iteratorIjlEEPS9_SG_NS0_5tupleIJPjSI_NS0_16reverse_iteratorISI_EEEEENSH_IJSG_SG_SG_EEES9_SI_JZNS1_25segmented_radix_sort_implINS0_14default_configELb1EPKiPiPKlPlN2at6native12_GLOBAL__N_18offset_tEEE10hipError_tPvRmT1_PNSt15iterator_traitsIS12_E10value_typeET2_T3_PNS13_IS18_E10value_typeET4_jRbjT5_S1E_jjP12ihipStream_tbEUljE_ZNSN_ISO_Lb1ESQ_SR_ST_SU_SY_EESZ_S10_S11_S12_S16_S17_S18_S1B_S1C_jS1D_jS1E_S1E_jjS1G_bEUljE0_EEESZ_S10_S11_S18_S1C_S1E_T6_T7_T9_mT8_S1G_bDpT10_ENKUlT_T0_E_clISt17integral_constantIbLb0EES1U_EEDaS1P_S1Q_EUlS1P_E_NS1_11comp_targetILNS1_3genE10ELNS1_11target_archE1200ELNS1_3gpuE4ELNS1_3repE0EEENS1_30default_config_static_selectorELNS0_4arch9wavefront6targetE0EEEvS12_
; %bb.0:
	s_clause 0x6
	s_load_b32 s6, s[0:1], 0x80
	s_load_b128 s[24:27], s[0:1], 0x58
	s_load_b64 s[34:35], s[0:1], 0x10
	s_load_b64 s[2:3], s[0:1], 0x68
	s_load_b32 s7, s[0:1], 0x8
	s_load_b64 s[42:43], s[0:1], 0xa8
	s_load_b256 s[16:23], s[0:1], 0x88
	s_mov_b32 s5, 0
	s_mul_i32 s40, ttmp9, 0xd00
	s_wait_kmcnt 0x0
	s_mul_i32 s4, s6, 0xd00
	s_load_b128 s[28:31], s[26:27], 0x0
	s_add_co_i32 s8, s4, s34
	s_add_co_i32 s6, s6, -1
	s_sub_co_i32 s33, s2, s8
	s_add_nc_u64 s[4:5], s[34:35], s[4:5]
	s_addk_co_i32 s33, 0xd00
	s_cmp_eq_u32 ttmp9, s6
	v_cmp_gt_u64_e64 s2, s[2:3], s[4:5]
	s_cselect_b32 s15, -1, 0
	s_cmp_lg_u32 ttmp9, s6
	s_mov_b32 s5, -1
	s_cselect_b32 s3, -1, 0
	s_add_co_i32 s4, s7, s40
	s_wait_alu 0xfffe
	s_or_b32 s3, s3, s2
	s_add_co_i32 s4, s4, s34
	s_wait_alu 0xfffe
	s_and_b32 vcc_lo, exec_lo, s3
	v_add_nc_u32_e32 v1, s4, v0
	s_cbranch_vccz .LBB438_2
; %bb.1:
	s_delay_alu instid0(VALU_DEP_1)
	v_add_nc_u32_e32 v2, 0x100, v1
	v_lshlrev_b32_e32 v10, 2, v0
	v_add_nc_u32_e32 v3, 0x200, v1
	v_add_nc_u32_e32 v4, 0x300, v1
	;; [unrolled: 1-line block ×11, first 2 shown]
	ds_store_2addr_stride64_b32 v10, v1, v2 offset1:4
	ds_store_2addr_stride64_b32 v10, v3, v4 offset0:8 offset1:12
	ds_store_2addr_stride64_b32 v10, v5, v6 offset0:16 offset1:20
	;; [unrolled: 1-line block ×5, first 2 shown]
	ds_store_b32 v10, v14 offset:12288
	s_wait_dscnt 0x0
	s_barrier_signal -1
	s_mov_b32 s5, 0
	s_barrier_wait -1
.LBB438_2:
	v_cmp_gt_u32_e64 s2, s33, v0
	v_or_b32_e32 v38, 0x100, v0
	v_or_b32_e32 v37, 0x200, v0
	v_or_b32_e32 v36, 0x300, v0
	v_or_b32_e32 v35, 0x400, v0
	v_or_b32_e32 v34, 0x500, v0
	v_or_b32_e32 v33, 0x600, v0
	v_or_b32_e32 v32, 0x700, v0
	v_or_b32_e32 v31, 0x800, v0
	v_or_b32_e32 v30, 0x900, v0
	v_or_b32_e32 v29, 0xa00, v0
	v_or_b32_e32 v28, 0xb00, v0
	v_or_b32_e32 v27, 0xc00, v0
	s_wait_alu 0xfffe
	s_and_not1_b32 vcc_lo, exec_lo, s5
	s_cbranch_vccnz .LBB438_4
; %bb.3:
	v_cmp_gt_u32_e32 vcc_lo, s33, v38
	v_add_nc_u32_e32 v3, s4, v37
	v_add_nc_u32_e32 v2, s4, v38
	v_cndmask_b32_e64 v1, 0, v1, s2
	v_lshlrev_b32_e32 v14, 2, v0
	s_delay_alu instid0(VALU_DEP_3)
	v_cndmask_b32_e32 v2, 0, v2, vcc_lo
	v_cmp_gt_u32_e32 vcc_lo, s33, v37
	s_wait_alu 0xfffd
	v_cndmask_b32_e32 v3, 0, v3, vcc_lo
	v_cmp_gt_u32_e32 vcc_lo, s33, v36
	v_add_nc_u32_e32 v5, s4, v35
	v_add_nc_u32_e32 v4, s4, v36
	s_wait_alu 0xfffd
	s_delay_alu instid0(VALU_DEP_1)
	v_cndmask_b32_e32 v4, 0, v4, vcc_lo
	v_cmp_gt_u32_e32 vcc_lo, s33, v35
	s_wait_alu 0xfffd
	v_cndmask_b32_e32 v5, 0, v5, vcc_lo
	v_cmp_gt_u32_e32 vcc_lo, s33, v34
	v_add_nc_u32_e32 v7, s4, v33
	v_add_nc_u32_e32 v6, s4, v34
	s_wait_alu 0xfffd
	s_delay_alu instid0(VALU_DEP_1)
	v_cndmask_b32_e32 v6, 0, v6, vcc_lo
	v_cmp_gt_u32_e32 vcc_lo, s33, v33
	s_wait_alu 0xfffd
	v_cndmask_b32_e32 v7, 0, v7, vcc_lo
	v_cmp_gt_u32_e32 vcc_lo, s33, v32
	v_add_nc_u32_e32 v9, s4, v31
	v_add_nc_u32_e32 v8, s4, v32
	s_wait_alu 0xfffd
	s_delay_alu instid0(VALU_DEP_1)
	v_cndmask_b32_e32 v8, 0, v8, vcc_lo
	v_cmp_gt_u32_e32 vcc_lo, s33, v31
	s_wait_alu 0xfffd
	v_cndmask_b32_e32 v9, 0, v9, vcc_lo
	v_cmp_gt_u32_e32 vcc_lo, s33, v30
	v_add_nc_u32_e32 v11, s4, v29
	v_add_nc_u32_e32 v10, s4, v30
	s_wait_alu 0xfffd
	s_delay_alu instid0(VALU_DEP_1)
	v_cndmask_b32_e32 v10, 0, v10, vcc_lo
	v_cmp_gt_u32_e32 vcc_lo, s33, v29
	s_wait_alu 0xfffd
	v_cndmask_b32_e32 v11, 0, v11, vcc_lo
	v_cmp_gt_u32_e32 vcc_lo, s33, v28
	v_add_nc_u32_e32 v13, s4, v27
	v_add_nc_u32_e32 v12, s4, v28
	s_wait_alu 0xfffd
	s_delay_alu instid0(VALU_DEP_1)
	v_cndmask_b32_e32 v12, 0, v12, vcc_lo
	v_cmp_gt_u32_e32 vcc_lo, s33, v27
	s_wait_alu 0xfffd
	v_cndmask_b32_e32 v13, 0, v13, vcc_lo
	ds_store_2addr_stride64_b32 v14, v1, v2 offset1:4
	ds_store_2addr_stride64_b32 v14, v3, v4 offset0:8 offset1:12
	ds_store_2addr_stride64_b32 v14, v5, v6 offset0:16 offset1:20
	;; [unrolled: 1-line block ×5, first 2 shown]
	ds_store_b32 v14, v13 offset:12288
	s_wait_dscnt 0x0
	s_barrier_signal -1
	s_barrier_wait -1
.LBB438_4:
	v_mul_u32_u24_e32 v41, 13, v0
	s_clause 0x1
	s_load_b128 s[36:39], s[0:1], 0x28
	s_load_b64 s[26:27], s[0:1], 0x38
	global_inv scope:SCOPE_SE
	v_cndmask_b32_e64 v39, 0, 1, s3
	s_and_not1_b32 vcc_lo, exec_lo, s3
	v_lshlrev_b32_e32 v1, 2, v41
	ds_load_2addr_b32 v[19:20], v1 offset1:1
	ds_load_2addr_b32 v[17:18], v1 offset0:2 offset1:3
	ds_load_2addr_b32 v[15:16], v1 offset0:4 offset1:5
	;; [unrolled: 1-line block ×5, first 2 shown]
	ds_load_b32 v40, v1 offset:48
	s_wait_loadcnt_dscnt 0x0
	s_barrier_signal -1
	s_barrier_wait -1
	global_inv scope:SCOPE_SE
	s_wait_alu 0xfffe
	s_cbranch_vccnz .LBB438_32
; %bb.5:
	v_add_nc_u32_e32 v1, s17, v19
	v_add_nc_u32_e32 v2, s19, v19
	s_mov_b32 s44, 0
	s_mov_b32 s41, 0
	s_mov_b32 s3, exec_lo
	v_mul_lo_u32 v1, v1, s16
	v_mul_lo_u32 v2, v2, s18
	s_delay_alu instid0(VALU_DEP_1) | instskip(NEXT) | instid1(VALU_DEP_1)
	v_sub_nc_u32_e32 v1, v1, v2
	v_cmp_lt_u32_e32 vcc_lo, s20, v1
	v_cmpx_ge_u32_e64 s20, v1
	s_cbranch_execz .LBB438_7
; %bb.6:
	v_add_nc_u32_e32 v1, s22, v19
	v_add_nc_u32_e32 v2, s42, v19
	s_delay_alu instid0(VALU_DEP_2) | instskip(NEXT) | instid1(VALU_DEP_2)
	v_mul_lo_u32 v1, v1, s21
	v_mul_lo_u32 v2, v2, s23
	s_delay_alu instid0(VALU_DEP_1) | instskip(NEXT) | instid1(VALU_DEP_1)
	v_sub_nc_u32_e32 v1, v1, v2
	v_cmp_lt_u32_e64 s2, s43, v1
	s_and_b32 s41, s2, exec_lo
.LBB438_7:
	s_wait_alu 0xfffe
	s_or_b32 exec_lo, exec_lo, s3
	v_add_nc_u32_e32 v1, s17, v20
	v_add_nc_u32_e32 v2, s19, v20
	s_mov_b32 s4, exec_lo
	s_delay_alu instid0(VALU_DEP_2) | instskip(NEXT) | instid1(VALU_DEP_2)
	v_mul_lo_u32 v1, v1, s16
	v_mul_lo_u32 v2, v2, s18
	s_delay_alu instid0(VALU_DEP_1) | instskip(NEXT) | instid1(VALU_DEP_1)
	v_sub_nc_u32_e32 v1, v1, v2
	v_cmp_lt_u32_e64 s2, s20, v1
	v_cmpx_ge_u32_e64 s20, v1
	s_cbranch_execz .LBB438_9
; %bb.8:
	v_add_nc_u32_e32 v1, s22, v20
	v_add_nc_u32_e32 v2, s42, v20
	s_delay_alu instid0(VALU_DEP_2) | instskip(NEXT) | instid1(VALU_DEP_2)
	v_mul_lo_u32 v1, v1, s21
	v_mul_lo_u32 v2, v2, s23
	s_delay_alu instid0(VALU_DEP_1) | instskip(NEXT) | instid1(VALU_DEP_1)
	v_sub_nc_u32_e32 v1, v1, v2
	v_cmp_lt_u32_e64 s3, s43, v1
	s_and_b32 s44, s3, exec_lo
.LBB438_9:
	s_wait_alu 0xfffe
	s_or_b32 exec_lo, exec_lo, s4
	v_add_nc_u32_e32 v1, s17, v17
	v_add_nc_u32_e32 v2, s19, v17
	s_mov_b32 s46, 0
	s_mov_b32 s45, 0
	s_mov_b32 s5, exec_lo
	v_mul_lo_u32 v1, v1, s16
	v_mul_lo_u32 v2, v2, s18
	s_delay_alu instid0(VALU_DEP_1) | instskip(NEXT) | instid1(VALU_DEP_1)
	v_sub_nc_u32_e32 v1, v1, v2
	v_cmp_lt_u32_e64 s3, s20, v1
	v_cmpx_ge_u32_e64 s20, v1
	s_cbranch_execz .LBB438_11
; %bb.10:
	v_add_nc_u32_e32 v1, s22, v17
	v_add_nc_u32_e32 v2, s42, v17
	s_delay_alu instid0(VALU_DEP_2) | instskip(NEXT) | instid1(VALU_DEP_2)
	v_mul_lo_u32 v1, v1, s21
	v_mul_lo_u32 v2, v2, s23
	s_delay_alu instid0(VALU_DEP_1) | instskip(NEXT) | instid1(VALU_DEP_1)
	v_sub_nc_u32_e32 v1, v1, v2
	v_cmp_lt_u32_e64 s4, s43, v1
	s_and_b32 s45, s4, exec_lo
.LBB438_11:
	s_wait_alu 0xfffe
	s_or_b32 exec_lo, exec_lo, s5
	v_add_nc_u32_e32 v1, s17, v18
	v_add_nc_u32_e32 v2, s19, v18
	s_mov_b32 s6, exec_lo
	s_delay_alu instid0(VALU_DEP_2) | instskip(NEXT) | instid1(VALU_DEP_2)
	v_mul_lo_u32 v1, v1, s16
	v_mul_lo_u32 v2, v2, s18
	s_delay_alu instid0(VALU_DEP_1) | instskip(NEXT) | instid1(VALU_DEP_1)
	v_sub_nc_u32_e32 v1, v1, v2
	v_cmp_lt_u32_e64 s4, s20, v1
	v_cmpx_ge_u32_e64 s20, v1
	s_cbranch_execz .LBB438_13
; %bb.12:
	v_add_nc_u32_e32 v1, s22, v18
	v_add_nc_u32_e32 v2, s42, v18
	s_delay_alu instid0(VALU_DEP_2) | instskip(NEXT) | instid1(VALU_DEP_2)
	v_mul_lo_u32 v1, v1, s21
	v_mul_lo_u32 v2, v2, s23
	s_delay_alu instid0(VALU_DEP_1) | instskip(NEXT) | instid1(VALU_DEP_1)
	v_sub_nc_u32_e32 v1, v1, v2
	v_cmp_lt_u32_e64 s5, s43, v1
	s_and_b32 s46, s5, exec_lo
.LBB438_13:
	s_or_b32 exec_lo, exec_lo, s6
	v_add_nc_u32_e32 v1, s17, v15
	v_add_nc_u32_e32 v2, s19, v15
	s_mov_b32 s48, 0
	s_mov_b32 s47, 0
	s_mov_b32 s7, exec_lo
	v_mul_lo_u32 v1, v1, s16
	v_mul_lo_u32 v2, v2, s18
	s_delay_alu instid0(VALU_DEP_1) | instskip(NEXT) | instid1(VALU_DEP_1)
	v_sub_nc_u32_e32 v1, v1, v2
	v_cmp_lt_u32_e64 s5, s20, v1
	v_cmpx_ge_u32_e64 s20, v1
	s_cbranch_execz .LBB438_15
; %bb.14:
	v_add_nc_u32_e32 v1, s22, v15
	v_add_nc_u32_e32 v2, s42, v15
	s_delay_alu instid0(VALU_DEP_2) | instskip(NEXT) | instid1(VALU_DEP_2)
	v_mul_lo_u32 v1, v1, s21
	v_mul_lo_u32 v2, v2, s23
	s_delay_alu instid0(VALU_DEP_1) | instskip(NEXT) | instid1(VALU_DEP_1)
	v_sub_nc_u32_e32 v1, v1, v2
	v_cmp_lt_u32_e64 s6, s43, v1
	s_and_b32 s47, s6, exec_lo
.LBB438_15:
	s_or_b32 exec_lo, exec_lo, s7
	v_add_nc_u32_e32 v1, s17, v16
	v_add_nc_u32_e32 v2, s19, v16
	s_mov_b32 s8, exec_lo
	s_delay_alu instid0(VALU_DEP_2) | instskip(NEXT) | instid1(VALU_DEP_2)
	v_mul_lo_u32 v1, v1, s16
	v_mul_lo_u32 v2, v2, s18
	s_delay_alu instid0(VALU_DEP_1) | instskip(NEXT) | instid1(VALU_DEP_1)
	v_sub_nc_u32_e32 v1, v1, v2
	v_cmp_lt_u32_e64 s6, s20, v1
	v_cmpx_ge_u32_e64 s20, v1
	s_cbranch_execz .LBB438_17
; %bb.16:
	v_add_nc_u32_e32 v1, s22, v16
	v_add_nc_u32_e32 v2, s42, v16
	s_delay_alu instid0(VALU_DEP_2) | instskip(NEXT) | instid1(VALU_DEP_2)
	v_mul_lo_u32 v1, v1, s21
	v_mul_lo_u32 v2, v2, s23
	s_delay_alu instid0(VALU_DEP_1) | instskip(NEXT) | instid1(VALU_DEP_1)
	v_sub_nc_u32_e32 v1, v1, v2
	v_cmp_lt_u32_e64 s7, s43, v1
	s_and_b32 s48, s7, exec_lo
.LBB438_17:
	s_or_b32 exec_lo, exec_lo, s8
	v_add_nc_u32_e32 v1, s17, v13
	v_add_nc_u32_e32 v2, s19, v13
	s_mov_b32 s50, 0
	s_mov_b32 s49, 0
	s_mov_b32 s9, exec_lo
	v_mul_lo_u32 v1, v1, s16
	v_mul_lo_u32 v2, v2, s18
	s_delay_alu instid0(VALU_DEP_1) | instskip(NEXT) | instid1(VALU_DEP_1)
	v_sub_nc_u32_e32 v1, v1, v2
	v_cmp_lt_u32_e64 s7, s20, v1
	v_cmpx_ge_u32_e64 s20, v1
	s_cbranch_execz .LBB438_19
; %bb.18:
	v_add_nc_u32_e32 v1, s22, v13
	v_add_nc_u32_e32 v2, s42, v13
	s_delay_alu instid0(VALU_DEP_2) | instskip(NEXT) | instid1(VALU_DEP_2)
	v_mul_lo_u32 v1, v1, s21
	v_mul_lo_u32 v2, v2, s23
	s_delay_alu instid0(VALU_DEP_1) | instskip(NEXT) | instid1(VALU_DEP_1)
	v_sub_nc_u32_e32 v1, v1, v2
	v_cmp_lt_u32_e64 s8, s43, v1
	s_and_b32 s49, s8, exec_lo
.LBB438_19:
	;; [unrolled: 47-line block ×5, first 2 shown]
	s_or_b32 exec_lo, exec_lo, s57
	v_cndmask_b32_e64 v2, 0, 1, s2
	s_wait_alu 0xf1ff
	v_cndmask_b32_e64 v4, 0, 1, s4
	s_wait_alu 0xfffd
	v_cndmask_b32_e64 v1, 0, 1, vcc_lo
	v_cndmask_b32_e64 v3, 0, 1, s3
	v_cndmask_b32_e64 v6, 0, 1, s6
	v_lshlrev_b16 v2, 8, v2
	v_lshlrev_b16 v4, 8, v4
	v_cndmask_b32_e64 v8, 0, 1, s8
	v_cndmask_b32_e64 v22, 0, 1, s10
	;; [unrolled: 1-line block ×3, first 2 shown]
	v_or_b32_e32 v1, v1, v2
	v_or_b32_e32 v2, v3, v4
	v_cndmask_b32_e64 v51, 0, 1, s41
	v_cndmask_b32_e64 v5, 0, 1, s5
	;; [unrolled: 1-line block ×3, first 2 shown]
	v_and_b32_e32 v1, 0xffff, v1
	v_lshlrev_b32_e32 v2, 16, v2
	v_cndmask_b32_e64 v21, 0, 1, s9
	v_cndmask_b32_e64 v23, 0, 1, s11
	;; [unrolled: 1-line block ×8, first 2 shown]
	v_or_b32_e32 v42, v1, v2
	v_lshlrev_b16 v1, 8, v6
	v_lshlrev_b16 v2, 8, v8
	;; [unrolled: 1-line block ×5, first 2 shown]
	v_cndmask_b32_e64 v26, 0, 1, s53
	v_cndmask_b32_e64 v44, 0, 1, s50
	;; [unrolled: 1-line block ×5, first 2 shown]
	v_or_b32_e32 v1, v5, v1
	v_or_b32_e32 v2, v7, v2
	;; [unrolled: 1-line block ×5, first 2 shown]
	v_lshlrev_b16 v4, 8, v4
	v_lshlrev_b16 v8, 8, v49
	;; [unrolled: 1-line block ×5, first 2 shown]
	v_or_b32_e32 v4, v50, v4
	v_or_b32_e32 v3, v3, v8
	;; [unrolled: 1-line block ×5, first 2 shown]
	v_and_b32_e32 v1, 0xffff, v1
	v_lshlrev_b32_e32 v2, 16, v2
	v_and_b32_e32 v5, 0xffff, v5
	v_lshlrev_b32_e32 v6, 16, v6
	;; [unrolled: 2-line block ×5, first 2 shown]
	v_cndmask_b32_e64 v45, 0, 1, s54
	v_cndmask_b32_e64 v48, 0, 1, s56
	v_or_b32_e32 v44, v1, v2
	v_or_b32_e32 v47, v5, v6
	;; [unrolled: 1-line block ×5, first 2 shown]
	s_load_b64 s[4:5], s[0:1], 0x78
	s_and_b32 vcc_lo, exec_lo, s51
	s_wait_alu 0xfffe
	s_cbranch_vccnz .LBB438_33
	s_branch .LBB438_110
.LBB438_32:
                                        ; implicit-def: $vgpr48
                                        ; implicit-def: $vgpr45
                                        ; implicit-def: $vgpr46
                                        ; implicit-def: $vgpr43
                                        ; implicit-def: $vgpr49
                                        ; implicit-def: $vgpr47
                                        ; implicit-def: $vgpr44
                                        ; implicit-def: $vgpr42
	s_load_b64 s[4:5], s[0:1], 0x78
	s_cbranch_execz .LBB438_110
.LBB438_33:
	v_dual_mov_b32 v2, 0 :: v_dual_mov_b32 v1, 0
	s_mov_b32 s1, exec_lo
	v_cmpx_gt_u32_e64 s33, v41
	s_cbranch_execz .LBB438_37
; %bb.34:
	v_add_nc_u32_e32 v1, s17, v19
	v_add_nc_u32_e32 v2, s19, v19
	s_mov_b32 s3, 0
	s_mov_b32 s2, exec_lo
	s_delay_alu instid0(VALU_DEP_2) | instskip(NEXT) | instid1(VALU_DEP_2)
	v_mul_lo_u32 v1, v1, s16
	v_mul_lo_u32 v2, v2, s18
	s_delay_alu instid0(VALU_DEP_1) | instskip(NEXT) | instid1(VALU_DEP_1)
	v_sub_nc_u32_e32 v1, v1, v2
	v_cmp_lt_u32_e32 vcc_lo, s20, v1
	v_cmpx_ge_u32_e64 s20, v1
	s_cbranch_execz .LBB438_36
; %bb.35:
	v_add_nc_u32_e32 v1, s22, v19
	v_add_nc_u32_e32 v2, s42, v19
	s_delay_alu instid0(VALU_DEP_2) | instskip(NEXT) | instid1(VALU_DEP_2)
	v_mul_lo_u32 v1, v1, s21
	v_mul_lo_u32 v2, v2, s23
	s_delay_alu instid0(VALU_DEP_1) | instskip(NEXT) | instid1(VALU_DEP_1)
	v_sub_nc_u32_e32 v1, v1, v2
	v_cmp_lt_u32_e64 s0, s43, v1
	s_and_b32 s3, s0, exec_lo
.LBB438_36:
	s_wait_alu 0xfffe
	s_or_b32 exec_lo, exec_lo, s2
	v_cndmask_b32_e64 v2, 0, 1, s3
	s_wait_alu 0xfffd
	v_cndmask_b32_e64 v1, 0, 1, vcc_lo
.LBB438_37:
	s_or_b32 exec_lo, exec_lo, s1
	s_delay_alu instid0(VALU_DEP_2) | instskip(SKIP_1) | instid1(VALU_DEP_3)
	v_lshlrev_b16 v2, 8, v2
	v_add_nc_u32_e32 v3, 1, v41
	v_and_b32_e32 v6, 0xff, v1
	v_lshlrev_b16 v1, 8, 0
                                        ; implicit-def: $vgpr5
                                        ; implicit-def: $vgpr8
                                        ; implicit-def: $vgpr4
	s_delay_alu instid0(VALU_DEP_4) | instskip(NEXT) | instid1(VALU_DEP_4)
	v_and_b32_e32 v2, 0xffff, v2
	v_cmp_le_u32_e32 vcc_lo, s33, v3
                                        ; implicit-def: $vgpr3
	s_delay_alu instid0(VALU_DEP_2) | instskip(SKIP_2) | instid1(SALU_CYCLE_1)
	v_lshrrev_b32_e32 v21, 8, v2
	v_and_b32_e32 v7, 0xff, v2
                                        ; implicit-def: $vgpr2
	s_and_saveexec_b32 s0, vcc_lo
	s_xor_b32 s0, exec_lo, s0
	s_cbranch_execz .LBB438_39
; %bb.38:
	v_lshlrev_b16 v2, 8, v21
	v_and_b32_e32 v4, 0xffff, v1
                                        ; implicit-def: $vgpr21
	v_mov_b32_e32 v5, 0
	s_delay_alu instid0(VALU_DEP_3) | instskip(SKIP_1) | instid1(VALU_DEP_2)
	v_or_b32_e32 v3, v7, v2
	v_mov_b32_e32 v2, 0
                                        ; implicit-def: $vgpr7
	v_and_b32_e32 v8, 0xffff, v3
	v_and_b32_e32 v3, 0xffff, v1
                                        ; implicit-def: $vgpr1
.LBB438_39:
	s_and_not1_saveexec_b32 s1, s0
	s_cbranch_execz .LBB438_43
; %bb.40:
	v_add_nc_u32_e32 v2, s17, v20
	v_add_nc_u32_e32 v3, s19, v20
	s_mov_b32 s2, 0
	s_mov_b32 s3, exec_lo
	s_delay_alu instid0(VALU_DEP_2) | instskip(NEXT) | instid1(VALU_DEP_2)
	v_mul_lo_u32 v2, v2, s16
	v_mul_lo_u32 v3, v3, s18
	s_delay_alu instid0(VALU_DEP_1) | instskip(NEXT) | instid1(VALU_DEP_1)
	v_sub_nc_u32_e32 v2, v2, v3
	v_cmp_lt_u32_e32 vcc_lo, s20, v2
	v_cmpx_ge_u32_e64 s20, v2
	s_cbranch_execz .LBB438_42
; %bb.41:
	v_add_nc_u32_e32 v2, s22, v20
	v_add_nc_u32_e32 v3, s42, v20
	s_delay_alu instid0(VALU_DEP_2) | instskip(NEXT) | instid1(VALU_DEP_2)
	v_mul_lo_u32 v2, v2, s21
	v_mul_lo_u32 v3, v3, s23
	s_delay_alu instid0(VALU_DEP_1) | instskip(NEXT) | instid1(VALU_DEP_1)
	v_sub_nc_u32_e32 v2, v2, v3
	v_cmp_lt_u32_e64 s0, s43, v2
	s_and_b32 s2, s0, exec_lo
.LBB438_42:
	s_wait_alu 0xfffe
	s_or_b32 exec_lo, exec_lo, s3
	s_wait_alu 0xfffd
	v_cndmask_b32_e64 v2, 0, 1, vcc_lo
	v_lshlrev_b16 v3, 8, v21
	v_dual_mov_b32 v5, 0 :: v_dual_and_b32 v4, 0xffff, v1
	s_delay_alu instid0(VALU_DEP_3) | instskip(NEXT) | instid1(VALU_DEP_3)
	v_lshlrev_b16 v2, 8, v2
	v_or_b32_e32 v3, v7, v3
	v_cndmask_b32_e64 v7, 0, 1, s2
	s_delay_alu instid0(VALU_DEP_3) | instskip(NEXT) | instid1(VALU_DEP_3)
	v_or_b32_e32 v6, v6, v2
	v_dual_mov_b32 v2, 0 :: v_dual_and_b32 v3, 0xffff, v3
	s_delay_alu instid0(VALU_DEP_2) | instskip(NEXT) | instid1(VALU_DEP_2)
	v_and_b32_e32 v6, 0xffff, v6
	v_lshl_or_b32 v8, v7, 16, v3
	v_and_b32_e32 v3, 0xffff, v1
.LBB438_43:
	s_or_b32 exec_lo, exec_lo, s1
	v_add_nc_u32_e32 v1, 2, v41
	v_and_b32_e32 v21, 0xff, v6
	v_lshrrev_b32_e32 v22, 8, v6
                                        ; implicit-def: $vgpr7
	s_delay_alu instid0(VALU_DEP_3) | instskip(SKIP_1) | instid1(SALU_CYCLE_1)
	v_cmp_le_u32_e32 vcc_lo, s33, v1
                                        ; implicit-def: $vgpr1
	s_and_saveexec_b32 s0, vcc_lo
	s_xor_b32 s0, exec_lo, s0
	s_cbranch_execz .LBB438_45
; %bb.44:
	v_lshlrev_b16 v1, 8, v22
	v_perm_b32 v4, v4, v4, 0x3060504
                                        ; implicit-def: $vgpr22
	s_delay_alu instid0(VALU_DEP_2) | instskip(SKIP_1) | instid1(VALU_DEP_2)
	v_or_b32_e32 v1, v21, v1
	v_and_b32_e32 v21, 0xff0000, v8
	v_and_b32_e32 v1, 0xffff, v1
	s_delay_alu instid0(VALU_DEP_1) | instskip(NEXT) | instid1(VALU_DEP_3)
	v_and_or_b32 v7, 0xff000000, v6, v1
	v_perm_b32 v1, v8, v21, 0x3020504
                                        ; implicit-def: $vgpr21
                                        ; implicit-def: $vgpr6
                                        ; implicit-def: $vgpr8
.LBB438_45:
	s_and_not1_saveexec_b32 s1, s0
	s_cbranch_execz .LBB438_49
; %bb.46:
	v_add_nc_u32_e32 v1, s17, v17
	v_add_nc_u32_e32 v7, s19, v17
	s_mov_b32 s2, 0
	s_mov_b32 s3, exec_lo
	s_delay_alu instid0(VALU_DEP_2) | instskip(NEXT) | instid1(VALU_DEP_2)
	v_mul_lo_u32 v1, v1, s16
	v_mul_lo_u32 v7, v7, s18
	s_delay_alu instid0(VALU_DEP_1) | instskip(NEXT) | instid1(VALU_DEP_1)
	v_sub_nc_u32_e32 v1, v1, v7
	v_cmp_lt_u32_e32 vcc_lo, s20, v1
	v_cmpx_ge_u32_e64 s20, v1
	s_cbranch_execz .LBB438_48
; %bb.47:
	v_add_nc_u32_e32 v1, s22, v17
	v_add_nc_u32_e32 v7, s42, v17
	s_delay_alu instid0(VALU_DEP_2) | instskip(NEXT) | instid1(VALU_DEP_2)
	v_mul_lo_u32 v1, v1, s21
	v_mul_lo_u32 v7, v7, s23
	s_delay_alu instid0(VALU_DEP_1) | instskip(NEXT) | instid1(VALU_DEP_1)
	v_sub_nc_u32_e32 v1, v1, v7
	v_cmp_lt_u32_e64 s0, s43, v1
	s_and_b32 s2, s0, exec_lo
.LBB438_48:
	s_wait_alu 0xfffe
	s_or_b32 exec_lo, exec_lo, s3
	v_lshrrev_b32_e32 v6, 24, v6
	v_cndmask_b32_e64 v7, 0, 1, s2
	v_lshrrev_b32_e32 v23, 8, v8
	v_lshrrev_b32_e32 v24, 16, v8
	s_wait_alu 0xfffd
	v_cndmask_b32_e64 v1, 0, 1, vcc_lo
	v_lshlrev_b16 v22, 8, v22
	v_lshlrev_b16 v6, 8, v6
	v_and_b32_e32 v8, 0xff, v8
	v_lshlrev_b16 v23, 8, v23
	v_lshlrev_b16 v7, 8, v7
	v_and_b32_e32 v24, 0xff, v24
	v_or_b32_e32 v21, v21, v22
	v_or_b32_e32 v1, v1, v6
	;; [unrolled: 1-line block ×3, first 2 shown]
	s_delay_alu instid0(VALU_DEP_4) | instskip(NEXT) | instid1(VALU_DEP_4)
	v_or_b32_e32 v7, v24, v7
	v_and_b32_e32 v8, 0xffff, v21
	s_delay_alu instid0(VALU_DEP_4) | instskip(NEXT) | instid1(VALU_DEP_4)
	v_lshlrev_b32_e32 v1, 16, v1
	v_and_b32_e32 v6, 0xffff, v6
	s_delay_alu instid0(VALU_DEP_4) | instskip(NEXT) | instid1(VALU_DEP_3)
	v_lshlrev_b32_e32 v21, 16, v7
	v_or_b32_e32 v7, v8, v1
	s_delay_alu instid0(VALU_DEP_2)
	v_or_b32_e32 v1, v6, v21
.LBB438_49:
	s_or_b32 exec_lo, exec_lo, s1
	v_add_nc_u32_e32 v6, 3, v41
	v_lshrrev_b32_e32 v8, 24, v5
	v_lshrrev_b32_e32 v21, 16, v5
	;; [unrolled: 1-line block ×3, first 2 shown]
                                        ; implicit-def: $vgpr42
	s_delay_alu instid0(VALU_DEP_4) | instskip(SKIP_1) | instid1(SALU_CYCLE_1)
	v_cmp_le_u32_e32 vcc_lo, s33, v6
                                        ; implicit-def: $vgpr6
	s_and_saveexec_b32 s0, vcc_lo
	s_xor_b32 s0, exec_lo, s0
	s_cbranch_execz .LBB438_51
; %bb.50:
	v_lshlrev_b16 v6, 8, v8
	v_and_b32_e32 v8, 0xff, v21
	v_lshlrev_b16 v5, 8, v5
	v_perm_b32 v4, v4, v4, 0x3060504
	v_perm_b32 v3, v3, v3, 0x3060504
                                        ; implicit-def: $vgpr21
	s_delay_alu instid0(VALU_DEP_4) | instskip(SKIP_2) | instid1(VALU_DEP_3)
	v_or_b32_e32 v6, v8, v6
	v_and_b32_e32 v8, 0xff0000, v7
	v_and_b32_e32 v5, 0xffff, v5
	v_lshlrev_b32_e32 v6, 16, v6
	s_delay_alu instid0(VALU_DEP_3) | instskip(NEXT) | instid1(VALU_DEP_2)
	v_perm_b32 v42, v7, v8, 0x3020504
                                        ; implicit-def: $vgpr7
                                        ; implicit-def: $vgpr8
	v_or_b32_e32 v6, v5, v6
                                        ; implicit-def: $vgpr5
.LBB438_51:
	s_and_not1_saveexec_b32 s1, s0
	s_cbranch_execz .LBB438_55
; %bb.52:
	v_add_nc_u32_e32 v6, s17, v18
	v_add_nc_u32_e32 v22, s19, v18
	s_mov_b32 s2, 0
	s_mov_b32 s3, exec_lo
	s_delay_alu instid0(VALU_DEP_2) | instskip(NEXT) | instid1(VALU_DEP_2)
	v_mul_lo_u32 v6, v6, s16
	v_mul_lo_u32 v22, v22, s18
	s_delay_alu instid0(VALU_DEP_1) | instskip(NEXT) | instid1(VALU_DEP_1)
	v_sub_nc_u32_e32 v6, v6, v22
	v_cmp_lt_u32_e32 vcc_lo, s20, v6
	v_cmpx_ge_u32_e64 s20, v6
	s_cbranch_execz .LBB438_54
; %bb.53:
	v_add_nc_u32_e32 v6, s22, v18
	v_add_nc_u32_e32 v22, s42, v18
	s_delay_alu instid0(VALU_DEP_2) | instskip(NEXT) | instid1(VALU_DEP_2)
	v_mul_lo_u32 v6, v6, s21
	v_mul_lo_u32 v22, v22, s23
	s_delay_alu instid0(VALU_DEP_1) | instskip(NEXT) | instid1(VALU_DEP_1)
	v_sub_nc_u32_e32 v6, v6, v22
	v_cmp_lt_u32_e64 s0, s43, v6
	s_and_b32 s2, s0, exec_lo
.LBB438_54:
	s_wait_alu 0xfffe
	s_or_b32 exec_lo, exec_lo, s3
	v_lshrrev_b32_e32 v6, 8, v7
	s_wait_alu 0xfffd
	v_cndmask_b32_e64 v22, 0, 1, vcc_lo
	v_lshrrev_b32_e32 v23, 16, v7
	v_cndmask_b32_e64 v24, 0, 1, s2
	v_and_b32_e32 v7, 0xff, v7
	v_lshlrev_b16 v6, 8, v6
	v_lshlrev_b16 v22, 8, v22
	v_and_b32_e32 v23, 0xff, v23
	v_lshlrev_b16 v8, 8, v8
	v_and_b32_e32 v21, 0xff, v21
	v_lshlrev_b16 v5, 8, v5
	v_or_b32_e32 v6, v7, v6
	v_or_b32_e32 v7, v23, v22
	s_delay_alu instid0(VALU_DEP_4) | instskip(NEXT) | instid1(VALU_DEP_4)
	v_or_b32_e32 v8, v21, v8
	v_or_b32_e32 v5, v24, v5
	s_delay_alu instid0(VALU_DEP_4) | instskip(NEXT) | instid1(VALU_DEP_4)
	v_and_b32_e32 v6, 0xffff, v6
	v_lshlrev_b32_e32 v7, 16, v7
	s_delay_alu instid0(VALU_DEP_4) | instskip(NEXT) | instid1(VALU_DEP_4)
	v_lshlrev_b32_e32 v8, 16, v8
	v_and_b32_e32 v5, 0xffff, v5
	s_delay_alu instid0(VALU_DEP_3) | instskip(NEXT) | instid1(VALU_DEP_2)
	v_or_b32_e32 v42, v6, v7
	v_or_b32_e32 v6, v5, v8
.LBB438_55:
	s_or_b32 exec_lo, exec_lo, s1
	v_add_nc_u32_e32 v5, 4, v41
	v_lshrrev_b32_e32 v21, 8, v4
	v_lshrrev_b32_e32 v22, 16, v4
	;; [unrolled: 1-line block ×4, first 2 shown]
	v_cmp_le_u32_e32 vcc_lo, s33, v5
	v_lshrrev_b32_e32 v8, 16, v6
                                        ; implicit-def: $vgpr4
                                        ; implicit-def: $vgpr5
	s_and_saveexec_b32 s0, vcc_lo
	s_delay_alu instid0(SALU_CYCLE_1)
	s_xor_b32 s0, exec_lo, s0
	s_cbranch_execz .LBB438_57
; %bb.56:
	v_lshlrev_b16 v4, 8, v23
	v_and_b32_e32 v5, 0xff, v22
	v_lshlrev_b16 v21, 8, v21
	v_lshlrev_b16 v7, 8, v7
	v_and_b32_e32 v8, 0xff, v8
	v_perm_b32 v3, v3, v3, 0x3060504
	v_or_b32_e32 v4, v5, v4
	v_and_b32_e32 v5, 0xffff, v21
                                        ; implicit-def: $vgpr21
                                        ; implicit-def: $vgpr22
                                        ; implicit-def: $vgpr23
	s_delay_alu instid0(VALU_DEP_4) | instskip(NEXT) | instid1(VALU_DEP_3)
	v_or_b32_e32 v7, v8, v7
	v_lshlrev_b32_e32 v8, 16, v4
	s_delay_alu instid0(VALU_DEP_2) | instskip(NEXT) | instid1(VALU_DEP_2)
	v_perm_b32 v4, v7, v6, 0x5040c00
                                        ; implicit-def: $vgpr6
                                        ; implicit-def: $vgpr7
	v_or_b32_e32 v5, v5, v8
                                        ; implicit-def: $vgpr8
.LBB438_57:
	s_and_not1_saveexec_b32 s1, s0
	s_cbranch_execz .LBB438_61
; %bb.58:
	v_add_nc_u32_e32 v4, s17, v15
	v_add_nc_u32_e32 v5, s19, v15
	s_mov_b32 s2, 0
	s_mov_b32 s3, exec_lo
	s_delay_alu instid0(VALU_DEP_2) | instskip(NEXT) | instid1(VALU_DEP_2)
	v_mul_lo_u32 v4, v4, s16
	v_mul_lo_u32 v5, v5, s18
	s_delay_alu instid0(VALU_DEP_1) | instskip(NEXT) | instid1(VALU_DEP_1)
	v_sub_nc_u32_e32 v4, v4, v5
	v_cmp_lt_u32_e32 vcc_lo, s20, v4
	v_cmpx_ge_u32_e64 s20, v4
	s_cbranch_execz .LBB438_60
; %bb.59:
	v_add_nc_u32_e32 v4, s22, v15
	v_add_nc_u32_e32 v5, s42, v15
	s_delay_alu instid0(VALU_DEP_2) | instskip(NEXT) | instid1(VALU_DEP_2)
	v_mul_lo_u32 v4, v4, s21
	v_mul_lo_u32 v5, v5, s23
	s_delay_alu instid0(VALU_DEP_1) | instskip(NEXT) | instid1(VALU_DEP_1)
	v_sub_nc_u32_e32 v4, v4, v5
	v_cmp_lt_u32_e64 s0, s43, v4
	s_and_b32 s2, s0, exec_lo
.LBB438_60:
	s_wait_alu 0xfffe
	s_or_b32 exec_lo, exec_lo, s3
	v_cndmask_b32_e64 v4, 0, 1, s2
	s_wait_alu 0xfffd
	v_cndmask_b32_e64 v5, 0, 1, vcc_lo
	v_lshlrev_b16 v23, 8, v23
	v_and_b32_e32 v22, 0xff, v22
	v_lshlrev_b16 v21, 8, v21
	v_lshlrev_b16 v4, 8, v4
	v_and_b32_e32 v6, 0xff, v6
	v_lshlrev_b16 v7, 8, v7
	v_and_b32_e32 v8, 0xff, v8
	v_or_b32_e32 v22, v22, v23
	v_or_b32_e32 v5, v5, v21
	v_or_b32_e32 v4, v6, v4
	s_delay_alu instid0(VALU_DEP_4) | instskip(NEXT) | instid1(VALU_DEP_4)
	v_or_b32_e32 v6, v8, v7
	v_lshlrev_b32_e32 v7, 16, v22
	s_delay_alu instid0(VALU_DEP_4) | instskip(NEXT) | instid1(VALU_DEP_4)
	v_and_b32_e32 v5, 0xffff, v5
	v_and_b32_e32 v4, 0xffff, v4
	s_delay_alu instid0(VALU_DEP_4) | instskip(NEXT) | instid1(VALU_DEP_3)
	v_lshlrev_b32_e32 v6, 16, v6
	v_or_b32_e32 v5, v5, v7
	s_delay_alu instid0(VALU_DEP_2)
	v_or_b32_e32 v4, v4, v6
.LBB438_61:
	s_or_b32 exec_lo, exec_lo, s1
	v_add_nc_u32_e32 v6, 5, v41
	s_delay_alu instid0(VALU_DEP_2)
	v_lshrrev_b32_e32 v21, 16, v5
	v_lshrrev_b32_e32 v23, 24, v5
	v_and_b32_e32 v8, 0xff, v4
	v_lshrrev_b32_e32 v22, 8, v4
	v_cmp_le_u32_e32 vcc_lo, s33, v6
                                        ; implicit-def: $vgpr6
                                        ; implicit-def: $vgpr7
	s_and_saveexec_b32 s0, vcc_lo
	s_delay_alu instid0(SALU_CYCLE_1)
	s_xor_b32 s0, exec_lo, s0
	s_cbranch_execz .LBB438_63
; %bb.62:
	v_lshlrev_b16 v6, 8, v22
	v_lshlrev_b16 v7, 8, v23
	v_and_b32_e32 v21, 0xff, v21
	v_perm_b32 v3, v3, v3, 0x3060504
                                        ; implicit-def: $vgpr23
                                        ; implicit-def: $vgpr22
	s_delay_alu instid0(VALU_DEP_4) | instskip(NEXT) | instid1(VALU_DEP_3)
	v_or_b32_e32 v6, v8, v6
                                        ; implicit-def: $vgpr8
	v_or_b32_e32 v7, v21, v7
                                        ; implicit-def: $vgpr21
	s_delay_alu instid0(VALU_DEP_2) | instskip(NEXT) | instid1(VALU_DEP_2)
	v_and_b32_e32 v6, 0xffff, v6
	v_perm_b32 v7, v7, v5, 0x5040c00
                                        ; implicit-def: $vgpr5
	s_delay_alu instid0(VALU_DEP_2)
	v_and_or_b32 v6, 0xff000000, v4, v6
                                        ; implicit-def: $vgpr4
.LBB438_63:
	s_and_not1_saveexec_b32 s1, s0
	s_cbranch_execz .LBB438_67
; %bb.64:
	v_add_nc_u32_e32 v6, s17, v16
	v_add_nc_u32_e32 v7, s19, v16
	s_mov_b32 s2, 0
	s_mov_b32 s3, exec_lo
	s_delay_alu instid0(VALU_DEP_2) | instskip(NEXT) | instid1(VALU_DEP_2)
	v_mul_lo_u32 v6, v6, s16
	v_mul_lo_u32 v7, v7, s18
	s_delay_alu instid0(VALU_DEP_1) | instskip(NEXT) | instid1(VALU_DEP_1)
	v_sub_nc_u32_e32 v6, v6, v7
	v_cmp_lt_u32_e32 vcc_lo, s20, v6
	v_cmpx_ge_u32_e64 s20, v6
	s_cbranch_execz .LBB438_66
; %bb.65:
	v_add_nc_u32_e32 v6, s22, v16
	v_add_nc_u32_e32 v7, s42, v16
	s_delay_alu instid0(VALU_DEP_2) | instskip(NEXT) | instid1(VALU_DEP_2)
	v_mul_lo_u32 v6, v6, s21
	v_mul_lo_u32 v7, v7, s23
	s_delay_alu instid0(VALU_DEP_1) | instskip(NEXT) | instid1(VALU_DEP_1)
	v_sub_nc_u32_e32 v6, v6, v7
	v_cmp_lt_u32_e64 s0, s43, v6
	s_and_b32 s2, s0, exec_lo
.LBB438_66:
	s_wait_alu 0xfffe
	s_or_b32 exec_lo, exec_lo, s3
	s_wait_alu 0xfffd
	v_cndmask_b32_e64 v6, 0, 1, vcc_lo
	v_lshrrev_b32_e32 v4, 24, v4
	v_cndmask_b32_e64 v7, 0, 1, s2
	v_lshlrev_b16 v23, 8, v23
	v_and_b32_e32 v21, 0xff, v21
	v_lshlrev_b16 v6, 8, v6
	v_lshlrev_b16 v22, 8, v22
	v_and_b32_e32 v5, 0xff, v5
	v_lshlrev_b16 v4, 8, v4
	v_or_b32_e32 v21, v21, v23
	s_delay_alu instid0(VALU_DEP_4) | instskip(NEXT) | instid1(VALU_DEP_4)
	v_or_b32_e32 v8, v8, v22
	v_or_b32_e32 v5, v5, v6
	s_delay_alu instid0(VALU_DEP_4) | instskip(NEXT) | instid1(VALU_DEP_4)
	v_or_b32_e32 v4, v7, v4
	v_lshlrev_b32_e32 v6, 16, v21
	s_delay_alu instid0(VALU_DEP_4) | instskip(NEXT) | instid1(VALU_DEP_4)
	v_and_b32_e32 v8, 0xffff, v8
	v_and_b32_e32 v5, 0xffff, v5
	s_delay_alu instid0(VALU_DEP_4) | instskip(NEXT) | instid1(VALU_DEP_2)
	v_lshlrev_b32_e32 v4, 16, v4
	v_or_b32_e32 v7, v5, v6
	s_delay_alu instid0(VALU_DEP_2)
	v_or_b32_e32 v6, v8, v4
.LBB438_67:
	s_or_b32 exec_lo, exec_lo, s1
	v_add_nc_u32_e32 v4, 6, v41
	s_delay_alu instid0(VALU_DEP_3) | instskip(NEXT) | instid1(VALU_DEP_2)
	v_lshrrev_b32_e32 v8, 8, v7
                                        ; implicit-def: $vgpr43
                                        ; implicit-def: $vgpr5
	v_cmp_le_u32_e32 vcc_lo, s33, v4
	v_and_b32_e32 v4, 0xff, v7
	s_and_saveexec_b32 s0, vcc_lo
	s_delay_alu instid0(SALU_CYCLE_1)
	s_xor_b32 s0, exec_lo, s0
	s_cbranch_execz .LBB438_69
; %bb.68:
	v_lshlrev_b16 v5, 8, v8
	v_perm_b32 v3, v3, v3, 0x3060504
                                        ; implicit-def: $vgpr8
	s_delay_alu instid0(VALU_DEP_2) | instskip(SKIP_1) | instid1(VALU_DEP_2)
	v_or_b32_e32 v4, v4, v5
	v_and_b32_e32 v5, 0xff0000, v6
	v_and_b32_e32 v4, 0xffff, v4
	s_delay_alu instid0(VALU_DEP_2) | instskip(NEXT) | instid1(VALU_DEP_2)
	v_perm_b32 v43, v6, v5, 0x3020504
                                        ; implicit-def: $vgpr6
	v_and_or_b32 v5, 0xff000000, v7, v4
                                        ; implicit-def: $vgpr4
                                        ; implicit-def: $vgpr7
.LBB438_69:
	s_and_not1_saveexec_b32 s1, s0
	s_cbranch_execz .LBB438_73
; %bb.70:
	v_add_nc_u32_e32 v5, s17, v13
	v_add_nc_u32_e32 v21, s19, v13
	s_mov_b32 s2, 0
	s_mov_b32 s3, exec_lo
	s_delay_alu instid0(VALU_DEP_2) | instskip(NEXT) | instid1(VALU_DEP_2)
	v_mul_lo_u32 v5, v5, s16
	v_mul_lo_u32 v21, v21, s18
	s_delay_alu instid0(VALU_DEP_1) | instskip(NEXT) | instid1(VALU_DEP_1)
	v_sub_nc_u32_e32 v5, v5, v21
	v_cmp_lt_u32_e32 vcc_lo, s20, v5
	v_cmpx_ge_u32_e64 s20, v5
	s_cbranch_execz .LBB438_72
; %bb.71:
	v_add_nc_u32_e32 v5, s22, v13
	v_add_nc_u32_e32 v21, s42, v13
	s_delay_alu instid0(VALU_DEP_2) | instskip(NEXT) | instid1(VALU_DEP_2)
	v_mul_lo_u32 v5, v5, s21
	v_mul_lo_u32 v21, v21, s23
	s_delay_alu instid0(VALU_DEP_1) | instskip(NEXT) | instid1(VALU_DEP_1)
	v_sub_nc_u32_e32 v5, v5, v21
	v_cmp_lt_u32_e64 s0, s43, v5
	s_and_b32 s2, s0, exec_lo
.LBB438_72:
	s_wait_alu 0xfffe
	s_or_b32 exec_lo, exec_lo, s3
	v_lshrrev_b32_e32 v7, 24, v7
	v_cndmask_b32_e64 v21, 0, 1, s2
	v_lshrrev_b32_e32 v22, 8, v6
	v_lshrrev_b32_e32 v23, 16, v6
	s_wait_alu 0xfffd
	v_cndmask_b32_e64 v5, 0, 1, vcc_lo
	v_lshlrev_b16 v8, 8, v8
	v_lshlrev_b16 v7, 8, v7
	v_and_b32_e32 v6, 0xff, v6
	v_lshlrev_b16 v22, 8, v22
	v_lshlrev_b16 v21, 8, v21
	v_and_b32_e32 v23, 0xff, v23
	v_or_b32_e32 v4, v4, v8
	v_or_b32_e32 v5, v5, v7
	;; [unrolled: 1-line block ×3, first 2 shown]
	s_delay_alu instid0(VALU_DEP_4) | instskip(NEXT) | instid1(VALU_DEP_4)
	v_or_b32_e32 v7, v23, v21
	v_and_b32_e32 v4, 0xffff, v4
	s_delay_alu instid0(VALU_DEP_4) | instskip(NEXT) | instid1(VALU_DEP_4)
	v_lshlrev_b32_e32 v5, 16, v5
	v_and_b32_e32 v6, 0xffff, v6
	s_delay_alu instid0(VALU_DEP_4) | instskip(NEXT) | instid1(VALU_DEP_3)
	v_lshlrev_b32_e32 v7, 16, v7
	v_or_b32_e32 v5, v4, v5
	s_delay_alu instid0(VALU_DEP_2)
	v_or_b32_e32 v43, v6, v7
.LBB438_73:
	s_or_b32 exec_lo, exec_lo, s1
	v_add_nc_u32_e32 v4, 7, v41
	v_lshrrev_b32_e32 v6, 8, v3
	v_lshrrev_b32_e32 v7, 16, v3
	;; [unrolled: 1-line block ×3, first 2 shown]
                                        ; implicit-def: $vgpr44
	s_delay_alu instid0(VALU_DEP_4) | instskip(SKIP_1) | instid1(SALU_CYCLE_1)
	v_cmp_le_u32_e32 vcc_lo, s33, v4
                                        ; implicit-def: $vgpr4
	s_and_saveexec_b32 s0, vcc_lo
	s_xor_b32 s0, exec_lo, s0
	s_cbranch_execz .LBB438_75
; %bb.74:
	v_lshlrev_b16 v3, 8, v3
	v_and_b32_e32 v4, 0xff, v7
                                        ; implicit-def: $vgpr7
	s_delay_alu instid0(VALU_DEP_1) | instskip(SKIP_2) | instid1(VALU_DEP_3)
	v_or_b32_e32 v3, v4, v3
	v_lshlrev_b16 v4, 8, v6
	v_and_b32_e32 v6, 0xff0000, v5
	v_lshlrev_b32_e32 v3, 16, v3
	s_delay_alu instid0(VALU_DEP_3) | instskip(NEXT) | instid1(VALU_DEP_3)
	v_and_b32_e32 v4, 0xffff, v4
	v_perm_b32 v44, v5, v6, 0x3020504
                                        ; implicit-def: $vgpr5
                                        ; implicit-def: $vgpr6
	s_delay_alu instid0(VALU_DEP_2)
	v_or_b32_e32 v4, v4, v3
                                        ; implicit-def: $vgpr3
.LBB438_75:
	s_and_not1_saveexec_b32 s1, s0
	s_cbranch_execz .LBB438_79
; %bb.76:
	v_add_nc_u32_e32 v4, s17, v14
	v_add_nc_u32_e32 v8, s19, v14
	s_mov_b32 s2, 0
	s_mov_b32 s3, exec_lo
	s_delay_alu instid0(VALU_DEP_2) | instskip(NEXT) | instid1(VALU_DEP_2)
	v_mul_lo_u32 v4, v4, s16
	v_mul_lo_u32 v8, v8, s18
	s_delay_alu instid0(VALU_DEP_1) | instskip(NEXT) | instid1(VALU_DEP_1)
	v_sub_nc_u32_e32 v4, v4, v8
	v_cmp_lt_u32_e32 vcc_lo, s20, v4
	v_cmpx_ge_u32_e64 s20, v4
	s_cbranch_execz .LBB438_78
; %bb.77:
	v_add_nc_u32_e32 v4, s22, v14
	v_add_nc_u32_e32 v8, s42, v14
	s_delay_alu instid0(VALU_DEP_2) | instskip(NEXT) | instid1(VALU_DEP_2)
	v_mul_lo_u32 v4, v4, s21
	v_mul_lo_u32 v8, v8, s23
	s_delay_alu instid0(VALU_DEP_1) | instskip(NEXT) | instid1(VALU_DEP_1)
	v_sub_nc_u32_e32 v4, v4, v8
	v_cmp_lt_u32_e64 s0, s43, v4
	s_and_b32 s2, s0, exec_lo
.LBB438_78:
	s_wait_alu 0xfffe
	s_or_b32 exec_lo, exec_lo, s3
	v_lshrrev_b32_e32 v4, 8, v5
	s_wait_alu 0xfffd
	v_cndmask_b32_e64 v8, 0, 1, vcc_lo
	v_lshrrev_b32_e32 v21, 16, v5
	v_cndmask_b32_e64 v22, 0, 1, s2
	v_and_b32_e32 v5, 0xff, v5
	v_lshlrev_b16 v4, 8, v4
	v_lshlrev_b16 v8, 8, v8
	v_and_b32_e32 v21, 0xff, v21
	v_lshlrev_b16 v3, 8, v3
	v_and_b32_e32 v7, 0xff, v7
	v_lshlrev_b16 v6, 8, v6
	v_or_b32_e32 v4, v5, v4
	v_or_b32_e32 v5, v21, v8
	s_delay_alu instid0(VALU_DEP_4) | instskip(NEXT) | instid1(VALU_DEP_4)
	v_or_b32_e32 v3, v7, v3
	v_or_b32_e32 v6, v22, v6
	s_delay_alu instid0(VALU_DEP_4) | instskip(NEXT) | instid1(VALU_DEP_4)
	v_and_b32_e32 v4, 0xffff, v4
	v_lshlrev_b32_e32 v5, 16, v5
	s_delay_alu instid0(VALU_DEP_4) | instskip(NEXT) | instid1(VALU_DEP_4)
	v_lshlrev_b32_e32 v3, 16, v3
	v_and_b32_e32 v6, 0xffff, v6
	s_delay_alu instid0(VALU_DEP_3) | instskip(NEXT) | instid1(VALU_DEP_2)
	v_or_b32_e32 v44, v4, v5
	v_or_b32_e32 v4, v6, v3
.LBB438_79:
	s_or_b32 exec_lo, exec_lo, s1
	v_add_nc_u32_e32 v3, 8, v41
	s_delay_alu instid0(VALU_DEP_2)
	v_lshrrev_b32_e32 v5, 16, v4
	v_lshrrev_b32_e32 v6, 24, v4
	v_lshrrev_b32_e32 v8, 24, v2
	v_lshrrev_b32_e32 v21, 16, v2
	v_cmp_le_u32_e32 vcc_lo, s33, v3
	v_lshrrev_b32_e32 v7, 8, v2
                                        ; implicit-def: $vgpr2
                                        ; implicit-def: $vgpr3
	s_and_saveexec_b32 s0, vcc_lo
	s_delay_alu instid0(SALU_CYCLE_1)
	s_xor_b32 s0, exec_lo, s0
	s_cbranch_execz .LBB438_81
; %bb.80:
	v_lshlrev_b16 v2, 8, v8
	v_and_b32_e32 v3, 0xff, v21
	v_lshlrev_b16 v7, 8, v7
	v_lshlrev_b16 v6, 8, v6
	v_perm_b32 v1, v1, v1, 0x3060504
                                        ; implicit-def: $vgpr8
                                        ; implicit-def: $vgpr21
	s_delay_alu instid0(VALU_DEP_4) | instskip(SKIP_2) | instid1(VALU_DEP_3)
	v_or_b32_e32 v2, v3, v2
	v_and_b32_e32 v3, 0xff, v5
	v_and_b32_e32 v5, 0xffff, v7
                                        ; implicit-def: $vgpr7
	v_lshlrev_b32_e32 v2, 16, v2
	s_delay_alu instid0(VALU_DEP_3) | instskip(NEXT) | instid1(VALU_DEP_2)
	v_or_b32_e32 v6, v3, v6
	v_or_b32_e32 v3, v5, v2
	s_delay_alu instid0(VALU_DEP_2)
	v_perm_b32 v2, v6, v4, 0x5040c00
                                        ; implicit-def: $vgpr4
                                        ; implicit-def: $vgpr5
                                        ; implicit-def: $vgpr6
.LBB438_81:
	s_and_not1_saveexec_b32 s1, s0
	s_cbranch_execz .LBB438_85
; %bb.82:
	v_add_nc_u32_e32 v2, s17, v11
	v_add_nc_u32_e32 v3, s19, v11
	s_mov_b32 s2, 0
	s_mov_b32 s3, exec_lo
	s_delay_alu instid0(VALU_DEP_2) | instskip(NEXT) | instid1(VALU_DEP_2)
	v_mul_lo_u32 v2, v2, s16
	v_mul_lo_u32 v3, v3, s18
	s_delay_alu instid0(VALU_DEP_1) | instskip(NEXT) | instid1(VALU_DEP_1)
	v_sub_nc_u32_e32 v2, v2, v3
	v_cmp_lt_u32_e32 vcc_lo, s20, v2
	v_cmpx_ge_u32_e64 s20, v2
	s_cbranch_execz .LBB438_84
; %bb.83:
	v_add_nc_u32_e32 v2, s22, v11
	v_add_nc_u32_e32 v3, s42, v11
	s_delay_alu instid0(VALU_DEP_2) | instskip(NEXT) | instid1(VALU_DEP_2)
	v_mul_lo_u32 v2, v2, s21
	v_mul_lo_u32 v3, v3, s23
	s_delay_alu instid0(VALU_DEP_1) | instskip(NEXT) | instid1(VALU_DEP_1)
	v_sub_nc_u32_e32 v2, v2, v3
	v_cmp_lt_u32_e64 s0, s43, v2
	s_and_b32 s2, s0, exec_lo
.LBB438_84:
	s_wait_alu 0xfffe
	s_or_b32 exec_lo, exec_lo, s3
	v_cndmask_b32_e64 v2, 0, 1, s2
	s_wait_alu 0xfffd
	v_cndmask_b32_e64 v3, 0, 1, vcc_lo
	v_lshlrev_b16 v8, 8, v8
	v_and_b32_e32 v21, 0xff, v21
	v_lshlrev_b16 v7, 8, v7
	v_lshlrev_b16 v2, 8, v2
	v_and_b32_e32 v4, 0xff, v4
	v_lshlrev_b16 v6, 8, v6
	v_and_b32_e32 v5, 0xff, v5
	v_or_b32_e32 v8, v21, v8
	v_or_b32_e32 v3, v3, v7
	;; [unrolled: 1-line block ×3, first 2 shown]
	s_delay_alu instid0(VALU_DEP_4) | instskip(NEXT) | instid1(VALU_DEP_4)
	v_or_b32_e32 v4, v5, v6
	v_lshlrev_b32_e32 v5, 16, v8
	s_delay_alu instid0(VALU_DEP_4) | instskip(NEXT) | instid1(VALU_DEP_4)
	v_and_b32_e32 v3, 0xffff, v3
	v_and_b32_e32 v2, 0xffff, v2
	s_delay_alu instid0(VALU_DEP_4) | instskip(NEXT) | instid1(VALU_DEP_3)
	v_lshlrev_b32_e32 v4, 16, v4
	v_or_b32_e32 v3, v3, v5
	s_delay_alu instid0(VALU_DEP_2)
	v_or_b32_e32 v2, v2, v4
.LBB438_85:
	s_or_b32 exec_lo, exec_lo, s1
	v_add_nc_u32_e32 v4, 9, v41
	s_delay_alu instid0(VALU_DEP_2)
	v_lshrrev_b32_e32 v6, 8, v2
	v_lshrrev_b32_e32 v21, 24, v3
	;; [unrolled: 1-line block ×3, first 2 shown]
	v_and_b32_e32 v7, 0xff, v2
	v_cmp_le_u32_e32 vcc_lo, s33, v4
                                        ; implicit-def: $vgpr4
                                        ; implicit-def: $vgpr5
	s_and_saveexec_b32 s0, vcc_lo
	s_delay_alu instid0(SALU_CYCLE_1)
	s_xor_b32 s0, exec_lo, s0
	s_cbranch_execz .LBB438_87
; %bb.86:
	v_lshlrev_b16 v4, 8, v6
	v_lshlrev_b16 v5, 8, v21
	v_and_b32_e32 v6, 0xff, v8
	v_perm_b32 v1, v1, v1, 0x3060504
                                        ; implicit-def: $vgpr21
                                        ; implicit-def: $vgpr8
	s_delay_alu instid0(VALU_DEP_4) | instskip(NEXT) | instid1(VALU_DEP_3)
	v_or_b32_e32 v4, v7, v4
                                        ; implicit-def: $vgpr7
	v_or_b32_e32 v5, v6, v5
                                        ; implicit-def: $vgpr6
	s_delay_alu instid0(VALU_DEP_2) | instskip(NEXT) | instid1(VALU_DEP_2)
	v_and_b32_e32 v4, 0xffff, v4
	v_perm_b32 v5, v5, v3, 0x5040c00
                                        ; implicit-def: $vgpr3
	s_delay_alu instid0(VALU_DEP_2)
	v_and_or_b32 v4, 0xff000000, v2, v4
                                        ; implicit-def: $vgpr2
.LBB438_87:
	s_and_not1_saveexec_b32 s1, s0
	s_cbranch_execz .LBB438_91
; %bb.88:
	v_add_nc_u32_e32 v4, s17, v12
	v_add_nc_u32_e32 v5, s19, v12
	s_mov_b32 s2, 0
	s_mov_b32 s3, exec_lo
	s_delay_alu instid0(VALU_DEP_2) | instskip(NEXT) | instid1(VALU_DEP_2)
	v_mul_lo_u32 v4, v4, s16
	v_mul_lo_u32 v5, v5, s18
	s_delay_alu instid0(VALU_DEP_1) | instskip(NEXT) | instid1(VALU_DEP_1)
	v_sub_nc_u32_e32 v4, v4, v5
	v_cmp_lt_u32_e32 vcc_lo, s20, v4
	v_cmpx_ge_u32_e64 s20, v4
	s_cbranch_execz .LBB438_90
; %bb.89:
	v_add_nc_u32_e32 v4, s22, v12
	v_add_nc_u32_e32 v5, s42, v12
	s_delay_alu instid0(VALU_DEP_2) | instskip(NEXT) | instid1(VALU_DEP_2)
	v_mul_lo_u32 v4, v4, s21
	v_mul_lo_u32 v5, v5, s23
	s_delay_alu instid0(VALU_DEP_1) | instskip(NEXT) | instid1(VALU_DEP_1)
	v_sub_nc_u32_e32 v4, v4, v5
	v_cmp_lt_u32_e64 s0, s43, v4
	s_and_b32 s2, s0, exec_lo
.LBB438_90:
	s_wait_alu 0xfffe
	s_or_b32 exec_lo, exec_lo, s3
	s_wait_alu 0xfffd
	v_cndmask_b32_e64 v4, 0, 1, vcc_lo
	v_lshrrev_b32_e32 v2, 24, v2
	v_cndmask_b32_e64 v5, 0, 1, s2
	v_lshlrev_b16 v21, 8, v21
	v_and_b32_e32 v8, 0xff, v8
	v_lshlrev_b16 v4, 8, v4
	v_lshlrev_b16 v6, 8, v6
	v_and_b32_e32 v3, 0xff, v3
	v_lshlrev_b16 v2, 8, v2
	v_or_b32_e32 v8, v8, v21
	s_delay_alu instid0(VALU_DEP_4) | instskip(NEXT) | instid1(VALU_DEP_4)
	v_or_b32_e32 v6, v7, v6
	v_or_b32_e32 v3, v3, v4
	s_delay_alu instid0(VALU_DEP_4) | instskip(NEXT) | instid1(VALU_DEP_4)
	v_or_b32_e32 v2, v5, v2
	v_lshlrev_b32_e32 v4, 16, v8
	s_delay_alu instid0(VALU_DEP_4) | instskip(NEXT) | instid1(VALU_DEP_4)
	v_and_b32_e32 v6, 0xffff, v6
	v_and_b32_e32 v3, 0xffff, v3
	s_delay_alu instid0(VALU_DEP_4) | instskip(NEXT) | instid1(VALU_DEP_2)
	v_lshlrev_b32_e32 v2, 16, v2
	v_or_b32_e32 v5, v3, v4
	s_delay_alu instid0(VALU_DEP_2)
	v_or_b32_e32 v4, v6, v2
.LBB438_91:
	s_or_b32 exec_lo, exec_lo, s1
	v_add_nc_u32_e32 v2, 10, v41
	s_delay_alu instid0(VALU_DEP_3) | instskip(SKIP_1) | instid1(VALU_DEP_3)
	v_and_b32_e32 v3, 0xff, v5
	v_lshrrev_b32_e32 v6, 8, v5
                                        ; implicit-def: $vgpr46
	v_cmp_le_u32_e32 vcc_lo, s33, v2
                                        ; implicit-def: $vgpr2
	s_and_saveexec_b32 s0, vcc_lo
	s_delay_alu instid0(SALU_CYCLE_1)
	s_xor_b32 s0, exec_lo, s0
	s_cbranch_execz .LBB438_93
; %bb.92:
	v_lshlrev_b16 v2, 8, v6
	v_perm_b32 v1, v1, v1, 0x3060504
                                        ; implicit-def: $vgpr6
	s_delay_alu instid0(VALU_DEP_2) | instskip(SKIP_1) | instid1(VALU_DEP_2)
	v_or_b32_e32 v2, v3, v2
	v_and_b32_e32 v3, 0xff0000, v4
	v_and_b32_e32 v2, 0xffff, v2
	s_delay_alu instid0(VALU_DEP_2) | instskip(NEXT) | instid1(VALU_DEP_2)
	v_perm_b32 v46, v4, v3, 0x3020504
                                        ; implicit-def: $vgpr3
                                        ; implicit-def: $vgpr4
	v_and_or_b32 v2, 0xff000000, v5, v2
                                        ; implicit-def: $vgpr5
.LBB438_93:
	s_and_not1_saveexec_b32 s1, s0
	s_cbranch_execz .LBB438_97
; %bb.94:
	v_add_nc_u32_e32 v2, s17, v9
	v_add_nc_u32_e32 v7, s19, v9
	s_mov_b32 s2, 0
	s_mov_b32 s3, exec_lo
	s_delay_alu instid0(VALU_DEP_2) | instskip(NEXT) | instid1(VALU_DEP_2)
	v_mul_lo_u32 v2, v2, s16
	v_mul_lo_u32 v7, v7, s18
	s_delay_alu instid0(VALU_DEP_1) | instskip(NEXT) | instid1(VALU_DEP_1)
	v_sub_nc_u32_e32 v2, v2, v7
	v_cmp_lt_u32_e32 vcc_lo, s20, v2
	v_cmpx_ge_u32_e64 s20, v2
	s_cbranch_execz .LBB438_96
; %bb.95:
	v_add_nc_u32_e32 v2, s22, v9
	v_add_nc_u32_e32 v7, s42, v9
	s_delay_alu instid0(VALU_DEP_2) | instskip(NEXT) | instid1(VALU_DEP_2)
	v_mul_lo_u32 v2, v2, s21
	v_mul_lo_u32 v7, v7, s23
	s_delay_alu instid0(VALU_DEP_1) | instskip(NEXT) | instid1(VALU_DEP_1)
	v_sub_nc_u32_e32 v2, v2, v7
	v_cmp_lt_u32_e64 s0, s43, v2
	s_and_b32 s2, s0, exec_lo
.LBB438_96:
	s_wait_alu 0xfffe
	s_or_b32 exec_lo, exec_lo, s3
	v_lshrrev_b32_e32 v5, 24, v5
	v_cndmask_b32_e64 v7, 0, 1, s2
	v_lshrrev_b32_e32 v8, 8, v4
	v_lshrrev_b32_e32 v21, 16, v4
	s_wait_alu 0xfffd
	v_cndmask_b32_e64 v2, 0, 1, vcc_lo
	v_lshlrev_b16 v6, 8, v6
	v_lshlrev_b16 v5, 8, v5
	v_and_b32_e32 v4, 0xff, v4
	v_lshlrev_b16 v8, 8, v8
	v_lshlrev_b16 v7, 8, v7
	v_and_b32_e32 v21, 0xff, v21
	v_or_b32_e32 v3, v3, v6
	v_or_b32_e32 v2, v2, v5
	;; [unrolled: 1-line block ×3, first 2 shown]
	s_delay_alu instid0(VALU_DEP_4) | instskip(NEXT) | instid1(VALU_DEP_4)
	v_or_b32_e32 v5, v21, v7
	v_and_b32_e32 v3, 0xffff, v3
	s_delay_alu instid0(VALU_DEP_4) | instskip(NEXT) | instid1(VALU_DEP_4)
	v_lshlrev_b32_e32 v2, 16, v2
	v_and_b32_e32 v4, 0xffff, v4
	s_delay_alu instid0(VALU_DEP_4) | instskip(NEXT) | instid1(VALU_DEP_3)
	v_lshlrev_b32_e32 v5, 16, v5
	v_or_b32_e32 v2, v3, v2
	s_delay_alu instid0(VALU_DEP_2)
	v_or_b32_e32 v46, v4, v5
.LBB438_97:
	s_or_b32 exec_lo, exec_lo, s1
	v_add_nc_u32_e32 v3, 11, v41
	v_mov_b32_e32 v45, 0
	s_mov_b32 s0, exec_lo
                                        ; implicit-def: $vgpr47
	s_delay_alu instid0(VALU_DEP_2)
	v_cmpx_le_u32_e64 s33, v3
	s_xor_b32 s0, exec_lo, s0
; %bb.98:
	v_and_b32_e32 v3, 0xff0000, v2
	v_perm_b32 v1, v1, v1, 0x3060504
	s_delay_alu instid0(VALU_DEP_2)
	v_perm_b32 v47, v2, v3, 0x3020504
                                        ; implicit-def: $vgpr2
; %bb.99:
	s_and_not1_saveexec_b32 s1, s0
	s_cbranch_execz .LBB438_103
; %bb.100:
	v_add_nc_u32_e32 v3, s17, v10
	v_add_nc_u32_e32 v4, s19, v10
	s_mov_b32 s2, 0
	s_mov_b32 s3, exec_lo
	s_delay_alu instid0(VALU_DEP_2) | instskip(NEXT) | instid1(VALU_DEP_2)
	v_mul_lo_u32 v3, v3, s16
	v_mul_lo_u32 v4, v4, s18
	s_delay_alu instid0(VALU_DEP_1) | instskip(NEXT) | instid1(VALU_DEP_1)
	v_sub_nc_u32_e32 v3, v3, v4
	v_cmp_lt_u32_e32 vcc_lo, s20, v3
	v_cmpx_ge_u32_e64 s20, v3
	s_cbranch_execz .LBB438_102
; %bb.101:
	v_add_nc_u32_e32 v3, s22, v10
	v_add_nc_u32_e32 v4, s42, v10
	s_delay_alu instid0(VALU_DEP_2) | instskip(NEXT) | instid1(VALU_DEP_2)
	v_mul_lo_u32 v3, v3, s21
	v_mul_lo_u32 v4, v4, s23
	s_delay_alu instid0(VALU_DEP_1) | instskip(NEXT) | instid1(VALU_DEP_1)
	v_sub_nc_u32_e32 v3, v3, v4
	v_cmp_lt_u32_e64 s0, s43, v3
	s_and_b32 s2, s0, exec_lo
.LBB438_102:
	s_wait_alu 0xfffe
	s_or_b32 exec_lo, exec_lo, s3
	v_lshrrev_b32_e32 v3, 8, v2
	s_wait_alu 0xfffd
	v_cndmask_b32_e64 v4, 0, 1, vcc_lo
	v_lshrrev_b32_e32 v5, 16, v2
	v_and_b32_e32 v2, 0xff, v2
	v_cndmask_b32_e64 v45, 0, 1, s2
	v_lshlrev_b16 v3, 8, v3
	v_lshlrev_b16 v4, 8, v4
	v_and_b32_e32 v5, 0xff, v5
	s_delay_alu instid0(VALU_DEP_3) | instskip(NEXT) | instid1(VALU_DEP_2)
	v_or_b32_e32 v2, v2, v3
	v_or_b32_e32 v3, v5, v4
	s_delay_alu instid0(VALU_DEP_2) | instskip(NEXT) | instid1(VALU_DEP_2)
	v_and_b32_e32 v2, 0xffff, v2
	v_lshlrev_b32_e32 v3, 16, v3
	s_delay_alu instid0(VALU_DEP_1)
	v_or_b32_e32 v47, v2, v3
.LBB438_103:
	s_or_b32 exec_lo, exec_lo, s1
	v_add_nc_u32_e32 v4, 12, v41
	v_lshrrev_b32_e32 v2, 8, v1
	v_lshrrev_b32_e32 v3, 16, v1
	;; [unrolled: 1-line block ×3, first 2 shown]
	s_mov_b32 s0, exec_lo
                                        ; implicit-def: $vgpr49
	v_cmpx_le_u32_e64 s33, v4
	s_xor_b32 s0, exec_lo, s0
	s_cbranch_execz .LBB438_105
; %bb.104:
	v_lshlrev_b16 v1, 8, v1
	v_and_b32_e32 v3, 0xff, v3
	v_lshlrev_b16 v2, 8, v2
	s_delay_alu instid0(VALU_DEP_2) | instskip(NEXT) | instid1(VALU_DEP_2)
	v_or_b32_e32 v1, v3, v1
	v_and_b32_e32 v2, 0xffff, v2
                                        ; implicit-def: $vgpr3
	s_delay_alu instid0(VALU_DEP_2) | instskip(NEXT) | instid1(VALU_DEP_1)
	v_lshlrev_b32_e32 v1, 16, v1
	v_or_b32_e32 v49, v2, v1
                                        ; implicit-def: $vgpr1
                                        ; implicit-def: $vgpr2
.LBB438_105:
	s_or_saveexec_b32 s1, s0
	v_mov_b32_e32 v48, 0
	s_xor_b32 exec_lo, exec_lo, s1
	s_cbranch_execz .LBB438_109
; %bb.106:
	v_add_nc_u32_e32 v4, s17, v40
	v_add_nc_u32_e32 v5, s19, v40
	s_mov_b32 s2, 0
	s_mov_b32 s3, exec_lo
	s_delay_alu instid0(VALU_DEP_2) | instskip(NEXT) | instid1(VALU_DEP_2)
	v_mul_lo_u32 v4, v4, s16
	v_mul_lo_u32 v5, v5, s18
	s_delay_alu instid0(VALU_DEP_1) | instskip(NEXT) | instid1(VALU_DEP_1)
	v_sub_nc_u32_e32 v4, v4, v5
	v_cmp_lt_u32_e32 vcc_lo, s20, v4
	v_cmpx_ge_u32_e64 s20, v4
	s_cbranch_execz .LBB438_108
; %bb.107:
	v_add_nc_u32_e32 v4, s22, v40
	v_add_nc_u32_e32 v5, s42, v40
	s_delay_alu instid0(VALU_DEP_2) | instskip(NEXT) | instid1(VALU_DEP_2)
	v_mul_lo_u32 v4, v4, s21
	v_mul_lo_u32 v5, v5, s23
	s_delay_alu instid0(VALU_DEP_1) | instskip(NEXT) | instid1(VALU_DEP_1)
	v_sub_nc_u32_e32 v4, v4, v5
	v_cmp_lt_u32_e64 s0, s43, v4
	s_and_b32 s2, s0, exec_lo
.LBB438_108:
	s_wait_alu 0xfffe
	s_or_b32 exec_lo, exec_lo, s3
	s_wait_alu 0xfffd
	v_cndmask_b32_e64 v4, 0, 1, vcc_lo
	v_lshlrev_b16 v1, 8, v1
	v_and_b32_e32 v3, 0xff, v3
	v_lshlrev_b16 v2, 8, v2
	v_cndmask_b32_e64 v48, 0, 1, s2
	s_delay_alu instid0(VALU_DEP_3) | instskip(NEXT) | instid1(VALU_DEP_3)
	v_or_b32_e32 v1, v3, v1
	v_or_b32_e32 v2, v4, v2
	s_delay_alu instid0(VALU_DEP_2) | instskip(NEXT) | instid1(VALU_DEP_2)
	v_lshlrev_b32_e32 v1, 16, v1
	v_and_b32_e32 v2, 0xffff, v2
	s_delay_alu instid0(VALU_DEP_1)
	v_or_b32_e32 v49, v2, v1
.LBB438_109:
	s_or_b32 exec_lo, exec_lo, s1
.LBB438_110:
	v_and_b32_e32 v72, 0xff, v42
	s_delay_alu instid0(VALU_DEP_2)
	v_bfe_u32 v73, v49, 8, 8
	v_bfe_u32 v70, v42, 8, 8
	;; [unrolled: 1-line block ×4, first 2 shown]
	v_lshrrev_b32_e32 v55, 24, v49
	v_lshrrev_b32_e32 v54, 24, v42
	v_and_b32_e32 v68, 0xff, v43
	v_and_b32_e32 v66, 0xff, v44
	v_bfe_u32 v67, v43, 8, 8
	v_add3_u32 v1, v70, v72, v69
	v_add3_u32 v2, v71, v73, v55
	v_bfe_u32 v64, v44, 8, 8
	v_bfe_u32 v65, v43, 16, 8
	;; [unrolled: 1-line block ×3, first 2 shown]
	v_lshrrev_b32_e32 v53, 24, v43
	v_add3_u32 v1, v1, v54, v66
	v_add3_u32 v2, v2, v68, v67
	v_lshrrev_b32_e32 v52, 24, v44
	v_and_b32_e32 v63, 0xff, v46
	v_and_b32_e32 v61, 0xff, v47
	v_bfe_u32 v62, v46, 8, 8
	v_add3_u32 v1, v1, v64, v59
	v_add3_u32 v2, v2, v65, v53
	v_bfe_u32 v58, v47, 8, 8
	v_bfe_u32 v60, v46, 16, 8
	v_bfe_u32 v56, v47, 16, 8
	v_lshrrev_b32_e32 v51, 24, v46
	v_add3_u32 v1, v1, v52, v61
	v_add3_u32 v2, v2, v63, v62
	v_mbcnt_lo_u32_b32 v74, -1, 0
	v_lshrrev_b32_e32 v50, 24, v47
	v_and_b32_e32 v57, 0xff, v45
	v_and_b32_e32 v3, 0xff, v49
	;; [unrolled: 1-line block ×3, first 2 shown]
	v_add3_u32 v1, v1, v58, v56
	v_add3_u32 v2, v2, v60, v51
	v_and_b32_e32 v76, 15, v74
	v_and_b32_e32 v78, 16, v74
	v_lshrrev_b32_e32 v75, 5, v0
	v_add3_u32 v79, v1, v50, v3
	v_add3_u32 v80, v2, v57, v4
	v_cmp_eq_u32_e64 s1, 0, v76
	v_cmp_lt_u32_e64 s0, 1, v76
	v_cmp_lt_u32_e64 s2, 3, v76
	v_or_b32_e32 v77, 31, v0
	s_cmp_lg_u32 ttmp9, 0
	s_mov_b32 s3, -1
	v_cmp_lt_u32_e32 vcc_lo, 7, v76
	s_cbranch_scc0 .LBB438_131
; %bb.111:
	v_mov_b32_dpp v2, v79 row_shr:1 row_mask:0xf bank_mask:0xf
	v_mov_b32_dpp v1, v80 row_shr:1 row_mask:0xf bank_mask:0xf
	s_mov_b32 s3, exec_lo
	s_delay_alu instid0(VALU_DEP_2) | instskip(NEXT) | instid1(VALU_DEP_2)
	v_add_nc_u32_e32 v2, v2, v79
	v_add_nc_u32_e32 v1, v1, v80
	s_delay_alu instid0(VALU_DEP_2) | instskip(NEXT) | instid1(VALU_DEP_2)
	v_cndmask_b32_e64 v2, v2, v79, s1
	v_cndmask_b32_e64 v1, v1, v80, s1
	s_delay_alu instid0(VALU_DEP_2) | instskip(NEXT) | instid1(VALU_DEP_2)
	v_mov_b32_dpp v4, v2 row_shr:2 row_mask:0xf bank_mask:0xf
	v_mov_b32_dpp v3, v1 row_shr:2 row_mask:0xf bank_mask:0xf
	s_delay_alu instid0(VALU_DEP_2) | instskip(NEXT) | instid1(VALU_DEP_1)
	v_add_nc_u32_e32 v4, v2, v4
	v_cndmask_b32_e64 v2, v2, v4, s0
	s_delay_alu instid0(VALU_DEP_1) | instskip(NEXT) | instid1(VALU_DEP_1)
	v_mov_b32_dpp v4, v2 row_shr:4 row_mask:0xf bank_mask:0xf
	v_add_nc_u32_e32 v4, v2, v4
	s_wait_alu 0xf1ff
	s_delay_alu instid0(VALU_DEP_1) | instskip(NEXT) | instid1(VALU_DEP_1)
	v_cndmask_b32_e64 v2, v2, v4, s2
	v_mov_b32_dpp v4, v2 row_shr:8 row_mask:0xf bank_mask:0xf
	s_delay_alu instid0(VALU_DEP_1) | instskip(SKIP_1) | instid1(VALU_DEP_1)
	v_add_nc_u32_e32 v4, v2, v4
	s_wait_alu 0xfffd
	v_dual_cndmask_b32 v2, v2, v4 :: v_dual_add_nc_u32 v3, v1, v3
	s_delay_alu instid0(VALU_DEP_1) | instskip(SKIP_2) | instid1(VALU_DEP_1)
	v_cndmask_b32_e64 v1, v1, v3, s0
	ds_swizzle_b32 v4, v2 offset:swizzle(BROADCAST,32,15)
	v_mov_b32_dpp v3, v1 row_shr:4 row_mask:0xf bank_mask:0xf
	v_add_nc_u32_e32 v3, v1, v3
	s_delay_alu instid0(VALU_DEP_1) | instskip(NEXT) | instid1(VALU_DEP_1)
	v_cndmask_b32_e64 v1, v1, v3, s2
	v_mov_b32_dpp v3, v1 row_shr:8 row_mask:0xf bank_mask:0xf
	s_wait_dscnt 0x0
	v_add_nc_u32_e32 v4, v2, v4
	s_delay_alu instid0(VALU_DEP_2) | instskip(NEXT) | instid1(VALU_DEP_1)
	v_add_nc_u32_e32 v3, v1, v3
	v_cndmask_b32_e32 v1, v1, v3, vcc_lo
	v_cmp_eq_u32_e32 vcc_lo, 0, v78
	ds_swizzle_b32 v3, v1 offset:swizzle(BROADCAST,32,15)
	s_wait_dscnt 0x0
	v_add_nc_u32_e32 v3, v1, v3
	v_cmpx_eq_u32_e64 v0, v77
; %bb.112:
	s_wait_alu 0xfffd
	s_delay_alu instid0(VALU_DEP_2)
	v_dual_cndmask_b32 v6, v3, v1 :: v_dual_lshlrev_b32 v7, 3, v75
	v_cndmask_b32_e32 v5, v4, v2, vcc_lo
	ds_store_b64 v7, v[5:6]
; %bb.113:
	s_wait_alu 0xfffe
	s_or_b32 exec_lo, exec_lo, s3
	s_delay_alu instid0(SALU_CYCLE_1)
	s_mov_b32 s3, exec_lo
	s_wait_loadcnt_dscnt 0x0
	s_barrier_signal -1
	s_barrier_wait -1
	global_inv scope:SCOPE_SE
	v_cmpx_gt_u32_e32 8, v0
	s_cbranch_execz .LBB438_115
; %bb.114:
	v_lshlrev_b32_e32 v7, 3, v0
	v_and_b32_e32 v22, 7, v74
	ds_load_b64 v[5:6], v7
	v_cmp_eq_u32_e64 s2, 0, v22
	s_wait_dscnt 0x0
	v_mov_b32_dpp v8, v5 row_shr:1 row_mask:0xf bank_mask:0xf
	v_mov_b32_dpp v21, v6 row_shr:1 row_mask:0xf bank_mask:0xf
	s_delay_alu instid0(VALU_DEP_2) | instskip(NEXT) | instid1(VALU_DEP_2)
	v_add_nc_u32_e32 v8, v8, v5
	v_add_nc_u32_e32 v21, v21, v6
	s_wait_alu 0xf1ff
	s_delay_alu instid0(VALU_DEP_2) | instskip(NEXT) | instid1(VALU_DEP_2)
	v_cndmask_b32_e64 v5, v8, v5, s2
	v_cndmask_b32_e64 v6, v21, v6, s2
	v_cmp_lt_u32_e64 s2, 1, v22
	s_delay_alu instid0(VALU_DEP_3) | instskip(NEXT) | instid1(VALU_DEP_3)
	v_mov_b32_dpp v8, v5 row_shr:2 row_mask:0xf bank_mask:0xf
	v_mov_b32_dpp v21, v6 row_shr:2 row_mask:0xf bank_mask:0xf
	s_delay_alu instid0(VALU_DEP_2) | instskip(NEXT) | instid1(VALU_DEP_2)
	v_add_nc_u32_e32 v8, v5, v8
	v_add_nc_u32_e32 v21, v6, v21
	s_wait_alu 0xf1ff
	s_delay_alu instid0(VALU_DEP_2) | instskip(NEXT) | instid1(VALU_DEP_2)
	v_cndmask_b32_e64 v5, v5, v8, s2
	v_cndmask_b32_e64 v6, v6, v21, s2
	v_cmp_lt_u32_e64 s2, 3, v22
	s_delay_alu instid0(VALU_DEP_3) | instskip(NEXT) | instid1(VALU_DEP_3)
	v_mov_b32_dpp v8, v5 row_shr:4 row_mask:0xf bank_mask:0xf
	v_mov_b32_dpp v21, v6 row_shr:4 row_mask:0xf bank_mask:0xf
	s_wait_alu 0xf1ff
	s_delay_alu instid0(VALU_DEP_2) | instskip(NEXT) | instid1(VALU_DEP_2)
	v_cndmask_b32_e64 v8, 0, v8, s2
	v_cndmask_b32_e64 v21, 0, v21, s2
	s_delay_alu instid0(VALU_DEP_2) | instskip(NEXT) | instid1(VALU_DEP_2)
	v_add_nc_u32_e32 v5, v8, v5
	v_add_nc_u32_e32 v6, v21, v6
	ds_store_b64 v7, v[5:6]
.LBB438_115:
	s_wait_alu 0xfffe
	s_or_b32 exec_lo, exec_lo, s3
	v_dual_cndmask_b32 v1, v3, v1 :: v_dual_cndmask_b32 v2, v4, v2
	s_mov_b32 s3, exec_lo
	v_cmp_gt_u32_e32 vcc_lo, 32, v0
	s_wait_loadcnt_dscnt 0x0
	s_barrier_signal -1
	s_barrier_wait -1
	global_inv scope:SCOPE_SE
                                        ; implicit-def: $vgpr21
	v_cmpx_lt_u32_e32 31, v0
	s_cbranch_execz .LBB438_117
; %bb.116:
	v_lshl_add_u32 v3, v75, 3, -8
	ds_load_b64 v[21:22], v3
	s_wait_dscnt 0x0
	v_add_nc_u32_e32 v1, v22, v1
	v_add_nc_u32_e32 v2, v21, v2
.LBB438_117:
	s_wait_alu 0xfffe
	s_or_b32 exec_lo, exec_lo, s3
	v_sub_co_u32 v3, s2, v74, 1
	s_delay_alu instid0(VALU_DEP_1) | instskip(SKIP_1) | instid1(VALU_DEP_1)
	v_cmp_gt_i32_e64 s3, 0, v3
	s_wait_alu 0xf1ff
	v_cndmask_b32_e64 v3, v3, v74, s3
	s_delay_alu instid0(VALU_DEP_1)
	v_lshlrev_b32_e32 v3, 2, v3
	ds_bpermute_b32 v81, v3, v2
	ds_bpermute_b32 v82, v3, v1
	s_and_saveexec_b32 s3, vcc_lo
	s_cbranch_execz .LBB438_136
; %bb.118:
	v_mov_b32_e32 v4, 0
	ds_load_b64 v[1:2], v4 offset:56
	s_and_saveexec_b32 s6, s2
	s_cbranch_execz .LBB438_120
; %bb.119:
	s_add_co_i32 s8, ttmp9, 32
	s_mov_b32 s9, 0
	s_wait_alu 0xfffe
	s_lshl_b64 s[8:9], s[8:9], 4
	s_wait_kmcnt 0x0
	s_wait_alu 0xfffe
	s_add_nc_u64 s[8:9], s[4:5], s[8:9]
	v_mov_b32_e32 v3, 1
	s_wait_alu 0xfffe
	v_dual_mov_b32 v5, s8 :: v_dual_mov_b32 v6, s9
	s_wait_dscnt 0x0
	;;#ASMSTART
	global_store_b128 v[5:6], v[1:4] off scope:SCOPE_DEV	
s_wait_storecnt 0x0
	;;#ASMEND
.LBB438_120:
	s_wait_alu 0xfffe
	s_or_b32 exec_lo, exec_lo, s6
	v_xad_u32 v23, v74, -1, ttmp9
	s_mov_b32 s7, 0
	s_mov_b32 s6, exec_lo
	s_delay_alu instid0(VALU_DEP_1) | instskip(NEXT) | instid1(VALU_DEP_1)
	v_add_nc_u32_e32 v3, 32, v23
	v_lshlrev_b64_e32 v[3:4], 4, v[3:4]
	s_wait_kmcnt 0x0
	s_delay_alu instid0(VALU_DEP_1) | instskip(SKIP_1) | instid1(VALU_DEP_2)
	v_add_co_u32 v3, vcc_lo, s4, v3
	s_wait_alu 0xfffd
	v_add_co_ci_u32_e64 v4, null, s5, v4, vcc_lo
	;;#ASMSTART
	global_load_b128 v[5:8], v[3:4] off scope:SCOPE_DEV	
s_wait_loadcnt 0x0
	;;#ASMEND
	v_and_b32_e32 v8, 0xff, v7
	s_delay_alu instid0(VALU_DEP_1)
	v_cmpx_eq_u16_e32 0, v8
	s_cbranch_execz .LBB438_123
.LBB438_121:                            ; =>This Inner Loop Header: Depth=1
	;;#ASMSTART
	global_load_b128 v[5:8], v[3:4] off scope:SCOPE_DEV	
s_wait_loadcnt 0x0
	;;#ASMEND
	v_and_b32_e32 v8, 0xff, v7
	s_delay_alu instid0(VALU_DEP_1)
	v_cmp_ne_u16_e32 vcc_lo, 0, v8
	s_wait_alu 0xfffe
	s_or_b32 s7, vcc_lo, s7
	s_wait_alu 0xfffe
	s_and_not1_b32 exec_lo, exec_lo, s7
	s_cbranch_execnz .LBB438_121
; %bb.122:
	s_or_b32 exec_lo, exec_lo, s7
.LBB438_123:
	s_wait_alu 0xfffe
	s_or_b32 exec_lo, exec_lo, s6
	v_cmp_ne_u32_e32 vcc_lo, 31, v74
	v_lshlrev_b32_e64 v84, v74, -1
	v_add_nc_u32_e32 v86, 2, v74
	v_add_nc_u32_e32 v88, 4, v74
	;; [unrolled: 1-line block ×3, first 2 shown]
	s_wait_alu 0xfffd
	v_add_co_ci_u32_e64 v3, null, 0, v74, vcc_lo
	v_lshl_or_b32 v91, v74, 2, 64
	v_add_nc_u32_e32 v92, 16, v74
	s_delay_alu instid0(VALU_DEP_3)
	v_lshlrev_b32_e32 v83, 2, v3
	v_and_b32_e32 v3, 0xff, v7
	ds_bpermute_b32 v4, v83, v6
	v_cmp_eq_u16_e32 vcc_lo, 2, v3
	s_wait_alu 0xfffd
	v_and_b32_e32 v8, vcc_lo, v84
	v_cmp_gt_u32_e32 vcc_lo, 30, v74
	s_delay_alu instid0(VALU_DEP_2) | instskip(SKIP_2) | instid1(VALU_DEP_2)
	v_or_b32_e32 v8, 0x80000000, v8
	s_wait_alu 0xfffd
	v_cndmask_b32_e64 v24, 0, 2, vcc_lo
	v_ctz_i32_b32_e32 v8, v8
	s_delay_alu instid0(VALU_DEP_2) | instskip(SKIP_2) | instid1(VALU_DEP_3)
	v_add_lshl_u32 v85, v24, v74, 2
	s_wait_dscnt 0x0
	v_add_nc_u32_e32 v4, v4, v6
	v_cmp_lt_u32_e32 vcc_lo, v74, v8
	s_wait_alu 0xfffd
	s_delay_alu instid0(VALU_DEP_2) | instskip(SKIP_3) | instid1(VALU_DEP_1)
	v_cndmask_b32_e32 v4, v6, v4, vcc_lo
	ds_bpermute_b32 v3, v83, v5
	s_wait_dscnt 0x0
	v_add_nc_u32_e32 v3, v3, v5
	v_cndmask_b32_e32 v3, v5, v3, vcc_lo
	ds_bpermute_b32 v5, v85, v4
	v_cmp_gt_u32_e32 vcc_lo, 28, v74
	ds_bpermute_b32 v6, v85, v3
	s_wait_alu 0xfffd
	v_cndmask_b32_e64 v24, 0, 4, vcc_lo
	v_cmp_gt_u32_e32 vcc_lo, v86, v8
	s_delay_alu instid0(VALU_DEP_2)
	v_add_lshl_u32 v87, v24, v74, 2
	s_wait_dscnt 0x1
	v_add_nc_u32_e32 v5, v4, v5
	s_wait_dscnt 0x0
	v_add_nc_u32_e32 v6, v3, v6
	s_wait_alu 0xfffd
	s_delay_alu instid0(VALU_DEP_1)
	v_dual_cndmask_b32 v4, v5, v4 :: v_dual_cndmask_b32 v3, v6, v3
	ds_bpermute_b32 v5, v87, v4
	v_cmp_gt_u32_e32 vcc_lo, 24, v74
	ds_bpermute_b32 v6, v87, v3
	s_wait_alu 0xfffd
	v_cndmask_b32_e64 v24, 0, 8, vcc_lo
	v_cmp_gt_u32_e32 vcc_lo, v88, v8
	s_delay_alu instid0(VALU_DEP_2)
	v_add_lshl_u32 v89, v24, v74, 2
	s_wait_dscnt 0x1
	v_dual_mov_b32 v24, 0 :: v_dual_add_nc_u32 v5, v4, v5
	s_wait_dscnt 0x0
	v_add_nc_u32_e32 v6, v3, v6
	s_wait_alu 0xfffd
	s_delay_alu instid0(VALU_DEP_1)
	v_dual_cndmask_b32 v4, v5, v4 :: v_dual_cndmask_b32 v3, v6, v3
	ds_bpermute_b32 v5, v89, v4
	v_cmp_gt_u32_e32 vcc_lo, v90, v8
	ds_bpermute_b32 v6, v89, v3
	s_wait_dscnt 0x1
	v_add_nc_u32_e32 v5, v4, v5
	s_wait_dscnt 0x0
	v_add_nc_u32_e32 v6, v3, v6
	s_wait_alu 0xfffd
	s_delay_alu instid0(VALU_DEP_1)
	v_dual_cndmask_b32 v4, v5, v4 :: v_dual_cndmask_b32 v3, v6, v3
	ds_bpermute_b32 v6, v91, v4
	v_cmp_le_u32_e32 vcc_lo, v92, v8
	ds_bpermute_b32 v5, v91, v3
	s_wait_dscnt 0x0
	s_wait_alu 0xfffd
	v_dual_cndmask_b32 v6, 0, v6 :: v_dual_cndmask_b32 v5, 0, v5
	s_delay_alu instid0(VALU_DEP_1) | instskip(NEXT) | instid1(VALU_DEP_2)
	v_add_nc_u32_e32 v6, v6, v4
	v_add_nc_u32_e32 v5, v5, v3
	s_branch .LBB438_127
.LBB438_124:                            ;   in Loop: Header=BB438_127 Depth=1
	s_or_b32 exec_lo, exec_lo, s7
.LBB438_125:                            ;   in Loop: Header=BB438_127 Depth=1
	s_wait_alu 0xfffe
	s_or_b32 exec_lo, exec_lo, s6
	ds_bpermute_b32 v8, v83, v5
	ds_bpermute_b32 v25, v83, v6
	v_subrev_nc_u32_e32 v23, 32, v23
	s_mov_b32 s6, 0
	s_wait_dscnt 0x1
	v_add_nc_u32_e32 v8, v8, v5
	v_and_b32_e32 v26, 0xff, v7
	s_wait_dscnt 0x0
	v_add_nc_u32_e32 v25, v25, v6
	s_delay_alu instid0(VALU_DEP_2) | instskip(SKIP_2) | instid1(VALU_DEP_1)
	v_cmp_eq_u16_e32 vcc_lo, 2, v26
	s_wait_alu 0xfffd
	v_and_or_b32 v26, vcc_lo, v84, 0x80000000
	v_ctz_i32_b32_e32 v26, v26
	s_delay_alu instid0(VALU_DEP_1)
	v_cmp_lt_u32_e32 vcc_lo, v74, v26
	s_wait_alu 0xfffd
	v_dual_cndmask_b32 v6, v6, v25 :: v_dual_cndmask_b32 v5, v5, v8
	v_cmp_gt_u32_e32 vcc_lo, v86, v26
	ds_bpermute_b32 v25, v85, v6
	ds_bpermute_b32 v8, v85, v5
	s_wait_dscnt 0x1
	v_add_nc_u32_e32 v25, v6, v25
	s_wait_dscnt 0x0
	v_add_nc_u32_e32 v8, v5, v8
	s_wait_alu 0xfffd
	s_delay_alu instid0(VALU_DEP_1)
	v_dual_cndmask_b32 v6, v25, v6 :: v_dual_cndmask_b32 v5, v8, v5
	v_cmp_gt_u32_e32 vcc_lo, v88, v26
	ds_bpermute_b32 v25, v87, v6
	ds_bpermute_b32 v8, v87, v5
	s_wait_dscnt 0x1
	v_add_nc_u32_e32 v25, v6, v25
	s_wait_dscnt 0x0
	v_add_nc_u32_e32 v8, v5, v8
	s_wait_alu 0xfffd
	s_delay_alu instid0(VALU_DEP_1)
	v_dual_cndmask_b32 v6, v25, v6 :: v_dual_cndmask_b32 v5, v8, v5
	v_cmp_gt_u32_e32 vcc_lo, v90, v26
	ds_bpermute_b32 v25, v89, v6
	ds_bpermute_b32 v8, v89, v5
	s_wait_dscnt 0x1
	v_add_nc_u32_e32 v25, v6, v25
	s_wait_dscnt 0x0
	v_add_nc_u32_e32 v8, v5, v8
	s_wait_alu 0xfffd
	s_delay_alu instid0(VALU_DEP_1)
	v_dual_cndmask_b32 v6, v25, v6 :: v_dual_cndmask_b32 v5, v8, v5
	v_cmp_le_u32_e32 vcc_lo, v92, v26
	ds_bpermute_b32 v25, v91, v6
	ds_bpermute_b32 v8, v91, v5
	s_wait_dscnt 0x0
	s_wait_alu 0xfffd
	v_dual_cndmask_b32 v25, 0, v25 :: v_dual_cndmask_b32 v8, 0, v8
	s_delay_alu instid0(VALU_DEP_1) | instskip(NEXT) | instid1(VALU_DEP_2)
	v_add3_u32 v6, v6, v4, v25
	v_add3_u32 v5, v5, v3, v8
.LBB438_126:                            ;   in Loop: Header=BB438_127 Depth=1
	s_wait_alu 0xfffe
	s_and_b32 vcc_lo, exec_lo, s6
	s_wait_alu 0xfffe
	s_cbranch_vccnz .LBB438_132
.LBB438_127:                            ; =>This Loop Header: Depth=1
                                        ;     Child Loop BB438_130 Depth 2
	v_and_b32_e32 v3, 0xff, v7
	s_mov_b32 s6, -1
                                        ; implicit-def: $vgpr7
	s_delay_alu instid0(VALU_DEP_1)
	v_cmp_ne_u16_e32 vcc_lo, 2, v3
	v_dual_mov_b32 v3, v5 :: v_dual_mov_b32 v4, v6
                                        ; implicit-def: $vgpr5_vgpr6
	s_cmp_lg_u32 vcc_lo, exec_lo
	s_cbranch_scc1 .LBB438_126
; %bb.128:                              ;   in Loop: Header=BB438_127 Depth=1
	v_lshlrev_b64_e32 v[5:6], 4, v[23:24]
	s_mov_b32 s6, exec_lo
	s_delay_alu instid0(VALU_DEP_1) | instskip(SKIP_1) | instid1(VALU_DEP_2)
	v_add_co_u32 v25, vcc_lo, s4, v5
	s_wait_alu 0xfffd
	v_add_co_ci_u32_e64 v26, null, s5, v6, vcc_lo
	;;#ASMSTART
	global_load_b128 v[5:8], v[25:26] off scope:SCOPE_DEV	
s_wait_loadcnt 0x0
	;;#ASMEND
	v_and_b32_e32 v8, 0xff, v7
	s_delay_alu instid0(VALU_DEP_1)
	v_cmpx_eq_u16_e32 0, v8
	s_cbranch_execz .LBB438_125
; %bb.129:                              ;   in Loop: Header=BB438_127 Depth=1
	s_mov_b32 s7, 0
.LBB438_130:                            ;   Parent Loop BB438_127 Depth=1
                                        ; =>  This Inner Loop Header: Depth=2
	;;#ASMSTART
	global_load_b128 v[5:8], v[25:26] off scope:SCOPE_DEV	
s_wait_loadcnt 0x0
	;;#ASMEND
	v_and_b32_e32 v8, 0xff, v7
	s_delay_alu instid0(VALU_DEP_1)
	v_cmp_ne_u16_e32 vcc_lo, 0, v8
	s_wait_alu 0xfffe
	s_or_b32 s7, vcc_lo, s7
	s_wait_alu 0xfffe
	s_and_not1_b32 exec_lo, exec_lo, s7
	s_cbranch_execnz .LBB438_130
	s_branch .LBB438_124
.LBB438_131:
                                        ; implicit-def: $vgpr81
                                        ; implicit-def: $vgpr3
                                        ; implicit-def: $vgpr82
	s_wait_alu 0xfffe
	s_and_b32 vcc_lo, exec_lo, s3
	s_wait_alu 0xfffe
	s_cbranch_vccnz .LBB438_137
	s_branch .LBB438_146
.LBB438_132:
	s_and_saveexec_b32 s6, s2
	s_cbranch_execnz .LBB438_374
; %bb.133:
	s_wait_alu 0xfffe
	s_or_b32 exec_lo, exec_lo, s6
	s_and_saveexec_b32 s6, s2
	s_cbranch_execnz .LBB438_375
.LBB438_134:
	s_wait_alu 0xfffe
	s_or_b32 exec_lo, exec_lo, s6
	v_cmp_eq_u32_e32 vcc_lo, 0, v0
	s_and_b32 exec_lo, exec_lo, vcc_lo
.LBB438_135:
	v_mov_b32_e32 v1, 0
	ds_store_b64 v1, v[3:4] offset:56
.LBB438_136:
	s_wait_alu 0xfffe
	s_or_b32 exec_lo, exec_lo, s3
	s_wait_dscnt 0x0
	v_cndmask_b32_e64 v8, v82, v22, s2
	v_mov_b32_e32 v1, 0
	s_wait_loadcnt 0x0
	s_barrier_signal -1
	s_barrier_wait -1
	global_inv scope:SCOPE_SE
	ds_load_b64 v[5:6], v1 offset:56
	s_wait_loadcnt_dscnt 0x0
	s_barrier_signal -1
	s_barrier_wait -1
	global_inv scope:SCOPE_SE
	v_cndmask_b32_e64 v7, v81, v21, s2
	v_cmp_eq_u32_e32 vcc_lo, 0, v0
	v_add_nc_u32_e32 v8, v6, v8
	ds_load_b128 v[1:4], v1 offset:13312
	v_add_nc_u32_e32 v7, v5, v7
	s_wait_alu 0xfffd
	s_delay_alu instid0(VALU_DEP_1)
	v_dual_cndmask_b32 v81, v8, v6 :: v_dual_cndmask_b32 v82, v7, v5
	s_branch .LBB438_146
.LBB438_137:
	s_wait_dscnt 0x0
	v_mov_b32_dpp v2, v80 row_shr:1 row_mask:0xf bank_mask:0xf
	v_cmp_lt_u32_e32 vcc_lo, 3, v76
	v_mov_b32_dpp v1, v79 row_shr:1 row_mask:0xf bank_mask:0xf
	s_delay_alu instid0(VALU_DEP_3) | instskip(NEXT) | instid1(VALU_DEP_1)
	v_add_nc_u32_e32 v2, v2, v80
	v_cndmask_b32_e64 v2, v2, v80, s1
	s_delay_alu instid0(VALU_DEP_1) | instskip(NEXT) | instid1(VALU_DEP_1)
	v_mov_b32_dpp v4, v2 row_shr:2 row_mask:0xf bank_mask:0xf
	v_add_nc_u32_e32 v4, v2, v4
	s_delay_alu instid0(VALU_DEP_1) | instskip(NEXT) | instid1(VALU_DEP_1)
	v_cndmask_b32_e64 v2, v2, v4, s0
	v_mov_b32_dpp v4, v2 row_shr:4 row_mask:0xf bank_mask:0xf
	s_delay_alu instid0(VALU_DEP_1) | instskip(SKIP_1) | instid1(VALU_DEP_1)
	v_add_nc_u32_e32 v4, v2, v4
	s_wait_alu 0xfffd
	v_dual_cndmask_b32 v2, v2, v4 :: v_dual_add_nc_u32 v1, v1, v79
	s_delay_alu instid0(VALU_DEP_1) | instskip(SKIP_1) | instid1(VALU_DEP_2)
	v_cndmask_b32_e64 v1, v1, v79, s1
	s_mov_b32 s1, exec_lo
	v_mov_b32_dpp v4, v2 row_shr:8 row_mask:0xf bank_mask:0xf
	s_delay_alu instid0(VALU_DEP_2) | instskip(NEXT) | instid1(VALU_DEP_1)
	v_mov_b32_dpp v3, v1 row_shr:2 row_mask:0xf bank_mask:0xf
	v_add_nc_u32_e32 v3, v1, v3
	s_delay_alu instid0(VALU_DEP_1) | instskip(NEXT) | instid1(VALU_DEP_1)
	v_cndmask_b32_e64 v1, v1, v3, s0
	v_mov_b32_dpp v3, v1 row_shr:4 row_mask:0xf bank_mask:0xf
	s_delay_alu instid0(VALU_DEP_1) | instskip(NEXT) | instid1(VALU_DEP_1)
	v_add_nc_u32_e32 v3, v1, v3
	v_cndmask_b32_e32 v3, v1, v3, vcc_lo
	v_cmp_lt_u32_e32 vcc_lo, 7, v76
	s_delay_alu instid0(VALU_DEP_2) | instskip(NEXT) | instid1(VALU_DEP_1)
	v_mov_b32_dpp v1, v3 row_shr:8 row_mask:0xf bank_mask:0xf
	v_add_nc_u32_e32 v5, v3, v1
	v_add_nc_u32_e32 v1, v2, v4
	s_wait_alu 0xfffd
	s_delay_alu instid0(VALU_DEP_1) | instskip(NEXT) | instid1(VALU_DEP_3)
	v_cndmask_b32_e32 v1, v2, v1, vcc_lo
	v_cndmask_b32_e32 v2, v3, v5, vcc_lo
	v_cmp_eq_u32_e32 vcc_lo, 0, v78
	ds_swizzle_b32 v3, v1 offset:swizzle(BROADCAST,32,15)
	ds_swizzle_b32 v4, v2 offset:swizzle(BROADCAST,32,15)
	s_wait_dscnt 0x1
	v_add_nc_u32_e32 v3, v1, v3
	s_wait_dscnt 0x0
	v_add_nc_u32_e32 v4, v2, v4
	v_cmpx_eq_u32_e64 v0, v77
; %bb.138:
	s_wait_alu 0xfffd
	s_delay_alu instid0(VALU_DEP_2)
	v_dual_cndmask_b32 v5, v4, v2 :: v_dual_cndmask_b32 v6, v3, v1
	v_lshlrev_b32_e32 v7, 3, v75
	ds_store_b64 v7, v[5:6]
; %bb.139:
	s_wait_alu 0xfffe
	s_or_b32 exec_lo, exec_lo, s1
	s_delay_alu instid0(SALU_CYCLE_1)
	s_mov_b32 s1, exec_lo
	s_wait_loadcnt_dscnt 0x0
	s_barrier_signal -1
	s_barrier_wait -1
	global_inv scope:SCOPE_SE
	v_cmpx_gt_u32_e32 8, v0
	s_cbranch_execz .LBB438_141
; %bb.140:
	v_lshlrev_b32_e32 v7, 3, v0
	v_and_b32_e32 v22, 7, v74
	ds_load_b64 v[5:6], v7
	v_cmp_eq_u32_e64 s0, 0, v22
	s_wait_dscnt 0x0
	v_mov_b32_dpp v8, v5 row_shr:1 row_mask:0xf bank_mask:0xf
	v_mov_b32_dpp v21, v6 row_shr:1 row_mask:0xf bank_mask:0xf
	s_delay_alu instid0(VALU_DEP_2) | instskip(NEXT) | instid1(VALU_DEP_2)
	v_add_nc_u32_e32 v8, v8, v5
	v_add_nc_u32_e32 v21, v21, v6
	s_wait_alu 0xf1ff
	s_delay_alu instid0(VALU_DEP_2) | instskip(NEXT) | instid1(VALU_DEP_2)
	v_cndmask_b32_e64 v5, v8, v5, s0
	v_cndmask_b32_e64 v6, v21, v6, s0
	v_cmp_lt_u32_e64 s0, 1, v22
	s_delay_alu instid0(VALU_DEP_3) | instskip(NEXT) | instid1(VALU_DEP_3)
	v_mov_b32_dpp v8, v5 row_shr:2 row_mask:0xf bank_mask:0xf
	v_mov_b32_dpp v21, v6 row_shr:2 row_mask:0xf bank_mask:0xf
	s_delay_alu instid0(VALU_DEP_2) | instskip(NEXT) | instid1(VALU_DEP_2)
	v_add_nc_u32_e32 v8, v5, v8
	v_add_nc_u32_e32 v21, v6, v21
	s_wait_alu 0xf1ff
	s_delay_alu instid0(VALU_DEP_2) | instskip(NEXT) | instid1(VALU_DEP_2)
	v_cndmask_b32_e64 v5, v5, v8, s0
	v_cndmask_b32_e64 v6, v6, v21, s0
	v_cmp_lt_u32_e64 s0, 3, v22
	s_delay_alu instid0(VALU_DEP_3) | instskip(NEXT) | instid1(VALU_DEP_3)
	v_mov_b32_dpp v8, v5 row_shr:4 row_mask:0xf bank_mask:0xf
	v_mov_b32_dpp v21, v6 row_shr:4 row_mask:0xf bank_mask:0xf
	s_wait_alu 0xf1ff
	s_delay_alu instid0(VALU_DEP_2) | instskip(NEXT) | instid1(VALU_DEP_2)
	v_cndmask_b32_e64 v8, 0, v8, s0
	v_cndmask_b32_e64 v21, 0, v21, s0
	s_delay_alu instid0(VALU_DEP_2) | instskip(NEXT) | instid1(VALU_DEP_2)
	v_add_nc_u32_e32 v5, v8, v5
	v_add_nc_u32_e32 v6, v21, v6
	ds_store_b64 v7, v[5:6]
.LBB438_141:
	s_wait_alu 0xfffe
	s_or_b32 exec_lo, exec_lo, s1
	v_dual_mov_b32 v7, 0 :: v_dual_mov_b32 v6, 0
	v_mov_b32_e32 v5, 0
	s_mov_b32 s1, exec_lo
	s_wait_loadcnt_dscnt 0x0
	s_barrier_signal -1
	s_barrier_wait -1
	global_inv scope:SCOPE_SE
	v_cmpx_lt_u32_e32 31, v0
; %bb.142:
	v_lshl_add_u32 v5, v75, 3, -8
	ds_load_b64 v[5:6], v5
; %bb.143:
	s_wait_alu 0xfffe
	s_or_b32 exec_lo, exec_lo, s1
	v_sub_co_u32 v8, s0, v74, 1
	v_dual_cndmask_b32 v2, v4, v2 :: v_dual_cndmask_b32 v1, v3, v1
	v_cmp_eq_u32_e32 vcc_lo, 0, v0
	s_delay_alu instid0(VALU_DEP_3) | instskip(SKIP_1) | instid1(VALU_DEP_3)
	v_cmp_gt_i32_e64 s1, 0, v8
	s_wait_dscnt 0x0
	v_add_nc_u32_e32 v2, v5, v2
	v_add_nc_u32_e32 v1, v6, v1
	s_wait_alu 0xf1ff
	v_cndmask_b32_e64 v4, v8, v74, s1
	s_delay_alu instid0(VALU_DEP_1)
	v_lshlrev_b32_e32 v3, 2, v4
	ds_bpermute_b32 v8, v3, v2
	ds_bpermute_b32 v21, v3, v1
	ds_load_b64 v[1:2], v7 offset:56
	s_and_saveexec_b32 s1, vcc_lo
	s_cbranch_execz .LBB438_145
; %bb.144:
	s_wait_kmcnt 0x0
	s_add_nc_u64 s[2:3], s[4:5], 0x200
	v_dual_mov_b32 v3, 2 :: v_dual_mov_b32 v4, 0
	s_wait_alu 0xfffe
	v_dual_mov_b32 v23, s3 :: v_dual_mov_b32 v22, s2
	s_wait_dscnt 0x0
	;;#ASMSTART
	global_store_b128 v[22:23], v[1:4] off scope:SCOPE_DEV	
s_wait_storecnt 0x0
	;;#ASMEND
.LBB438_145:
	s_wait_alu 0xfffe
	s_or_b32 exec_lo, exec_lo, s1
	s_wait_dscnt 0x1
	v_cndmask_b32_e64 v3, v21, v6, s0
	v_cndmask_b32_e64 v5, v8, v5, s0
	v_mov_b32_e32 v4, 0
	s_wait_loadcnt_dscnt 0x0
	s_barrier_signal -1
	v_cndmask_b32_e64 v81, v3, 0, vcc_lo
	v_cndmask_b32_e64 v82, v5, 0, vcc_lo
	v_mov_b32_e32 v3, 0
	s_barrier_wait -1
	global_inv scope:SCOPE_SE
.LBB438_146:
	v_lshrrev_b32_e32 v77, 8, v49
	s_delay_alu instid0(VALU_DEP_2)
	v_add_nc_u32_e32 v73, v81, v73
	s_wait_dscnt 0x0
	v_sub_nc_u32_e32 v81, v81, v4
	v_lshlrev_b32_e32 v84, 1, v1
	v_lshrrev_b32_e32 v75, 16, v49
	v_and_b32_e32 v77, 1, v77
	v_add_nc_u32_e32 v71, v73, v71
	v_add_nc_u32_e32 v81, v81, v1
	v_add3_u32 v87, v84, v2, v41
	v_and_b32_e32 v75, 1, v75
	v_cmp_eq_u32_e32 vcc_lo, 1, v77
	v_add_nc_u32_e32 v72, v82, v72
	v_sub_nc_u32_e32 v82, v82, v3
	v_sub_nc_u32_e32 v73, v73, v4
	v_lshrrev_b32_e32 v76, 8, v42
	v_lshrrev_b32_e32 v74, 16, v42
	v_and_b32_e32 v42, 1, v42
	v_add_nc_u32_e32 v41, v82, v81
	v_add_nc_u32_e32 v73, v73, v1
	v_and_b32_e32 v76, 1, v76
	s_wait_kmcnt 0x0
	v_add_co_u32 v5, s0, s28, v3
	v_sub_nc_u32_e32 v41, v87, v41
	s_wait_alu 0xf1ff
	v_add_co_ci_u32_e64 v6, null, s29, 0, s0
	v_sub_co_u32 v80, s0, s30, v1
	s_wait_alu 0xfffd
	v_cndmask_b32_e32 v41, v41, v81, vcc_lo
	v_cmp_eq_u32_e32 vcc_lo, 1, v75
	v_add_nc_u32_e32 v78, v71, v55
	v_sub_nc_u32_e32 v71, v71, v4
	s_wait_alu 0xf1ff
	v_sub_co_ci_u32_e64 v83, null, s31, 0, s0
	v_and_b32_e32 v55, 1, v55
	v_and_b32_e32 v74, 1, v74
	v_add_nc_u32_e32 v71, v71, v1
	v_add_nc_u32_e32 v70, v72, v70
	v_sub_nc_u32_e32 v72, v72, v3
	v_lshrrev_b32_e32 v26, 8, v43
	v_lshrrev_b32_e32 v25, 16, v43
	v_and_b32_e32 v43, 1, v43
	v_lshrrev_b32_e32 v23, 16, v44
	v_add_nc_u32_e32 v88, v73, v72
	v_and_b32_e32 v26, 1, v26
	v_lshrrev_b32_e32 v24, 8, v44
	v_and_b32_e32 v44, 1, v44
	v_lshrrev_b32_e32 v8, 16, v46
	v_sub_nc_u32_e32 v88, v87, v88
	v_lshrrev_b32_e32 v22, 8, v46
	v_and_b32_e32 v24, 1, v24
	v_lshrrev_b32_e32 v21, 8, v47
	v_and_b32_e32 v8, 1, v8
	v_add_nc_u32_e32 v88, 1, v88
	v_and_b32_e32 v22, 1, v22
	v_lshrrev_b32_e32 v7, 16, v47
	s_mov_b32 s41, 0
	s_wait_alu 0xfffd
	v_cndmask_b32_e32 v73, v88, v73, vcc_lo
	v_cmp_eq_u32_e32 vcc_lo, 1, v42
	v_add_nc_u32_e32 v68, v78, v68
	v_and_b32_e32 v7, 1, v7
	s_wait_alu 0xfffd
	v_cndmask_b32_e32 v81, v41, v82, vcc_lo
	v_cmp_eq_u32_e32 vcc_lo, 1, v76
	v_add_nc_u32_e32 v69, v70, v69
	v_sub_nc_u32_e32 v70, v70, v3
	v_sub_nc_u32_e32 v76, v78, v4
	s_wait_alu 0xfffd
	v_dual_cndmask_b32 v72, v73, v72 :: v_dual_add_nc_u32 v67, v68, v67
	v_add_co_u32 v41, vcc_lo, v80, v4
	v_add_nc_u32_e32 v75, v71, v70
	s_wait_alu 0xfffd
	v_add_co_ci_u32_e64 v42, null, 0, v83, vcc_lo
	v_cmp_eq_u32_e32 vcc_lo, 1, v55
	v_add_nc_u32_e32 v79, v69, v54
	v_sub_nc_u32_e32 v73, v87, v75
	v_sub_nc_u32_e32 v69, v69, v3
	v_sub_nc_u32_e32 v68, v68, v4
	v_lshlrev_b32_e32 v75, 2, v81
	v_lshlrev_b32_e32 v72, 2, v72
	v_add_nc_u32_e32 v73, 2, v73
	ds_store_b32 v75, v19
	ds_store_b32 v72, v20
	s_wait_alu 0xfffd
	v_dual_cndmask_b32 v55, v73, v71 :: v_dual_add_nc_u32 v68, v68, v1
	v_add_nc_u32_e32 v71, v76, v1
	v_cmp_eq_u32_e32 vcc_lo, 1, v74
	v_and_b32_e32 v54, 1, v54
	s_delay_alu instid0(VALU_DEP_3) | instskip(SKIP_4) | instid1(VALU_DEP_3)
	v_add_nc_u32_e32 v73, v69, v71
	s_wait_alu 0xfffd
	v_cndmask_b32_e32 v55, v55, v70, vcc_lo
	v_sub_nc_u32_e32 v70, v79, v3
	v_cmp_eq_u32_e32 vcc_lo, 1, v43
	v_lshlrev_b32_e32 v19, 2, v55
	s_delay_alu instid0(VALU_DEP_3)
	v_add_nc_u32_e32 v20, v70, v68
	v_sub_nc_u32_e32 v55, v87, v73
	ds_store_b32 v19, v17
	v_sub_nc_u32_e32 v20, v87, v20
	v_add_nc_u32_e32 v55, 3, v55
	v_and_b32_e32 v19, 1, v25
	s_wait_alu 0xfffd
	s_delay_alu instid0(VALU_DEP_2) | instskip(SKIP_2) | instid1(VALU_DEP_2)
	v_dual_cndmask_b32 v43, v55, v71 :: v_dual_add_nc_u32 v20, 4, v20
	v_cmp_eq_u32_e32 vcc_lo, 1, v26
	s_wait_alu 0xfffd
	v_cndmask_b32_e32 v20, v20, v68, vcc_lo
	v_cmp_eq_u32_e32 vcc_lo, 1, v54
	s_wait_alu 0xfffd
	v_cndmask_b32_e32 v26, v43, v69, vcc_lo
	v_cmp_eq_u32_e32 vcc_lo, 1, v44
	v_add_nc_u32_e32 v65, v67, v65
	v_sub_nc_u32_e32 v67, v67, v4
	s_delay_alu instid0(VALU_DEP_4)
	v_lshlrev_b32_e32 v17, 2, v26
	s_wait_alu 0xfffd
	v_cndmask_b32_e32 v20, v20, v70, vcc_lo
	v_cmp_eq_u32_e32 vcc_lo, 1, v19
	v_add_nc_u32_e32 v67, v67, v1
	v_add_nc_u32_e32 v66, v79, v66
	;; [unrolled: 1-line block ×3, first 2 shown]
	v_sub_nc_u32_e32 v26, v65, v4
	v_lshlrev_b32_e32 v20, 2, v20
	ds_store_b32 v17, v18
	ds_store_b32 v20, v15
	v_add_nc_u32_e32 v64, v66, v64
	v_sub_nc_u32_e32 v66, v66, v3
	v_add_nc_u32_e32 v26, v26, v1
	v_add_nc_u32_e32 v63, v85, v63
	v_and_b32_e32 v20, 1, v53
	s_delay_alu instid0(VALU_DEP_4) | instskip(NEXT) | instid1(VALU_DEP_1)
	v_add_nc_u32_e32 v55, v66, v67
	v_sub_nc_u32_e32 v43, v87, v55
	s_delay_alu instid0(VALU_DEP_1) | instskip(SKIP_2) | instid1(VALU_DEP_2)
	v_add_nc_u32_e32 v25, 5, v43
	v_sub_nc_u32_e32 v43, v85, v4
	s_wait_alu 0xfffd
	v_cndmask_b32_e32 v19, v25, v67, vcc_lo
	v_cmp_eq_u32_e32 vcc_lo, 1, v24
	s_delay_alu instid0(VALU_DEP_3) | instskip(SKIP_1) | instid1(VALU_DEP_3)
	v_add_nc_u32_e32 v43, v43, v1
	s_wait_alu 0xfffd
	v_cndmask_b32_e32 v19, v19, v66, vcc_lo
	v_add_nc_u32_e32 v59, v64, v59
	v_sub_nc_u32_e32 v25, v64, v3
	v_cmp_eq_u32_e32 vcc_lo, 1, v20
	v_and_b32_e32 v20, 1, v52
	v_lshlrev_b32_e32 v15, 2, v19
	v_sub_nc_u32_e32 v24, v59, v3
	v_add_nc_u32_e32 v44, v25, v26
	v_add_nc_u32_e32 v86, v59, v52
	v_and_b32_e32 v19, 1, v23
	v_sub_nc_u32_e32 v23, v63, v4
	v_add_nc_u32_e32 v17, v24, v43
	v_sub_nc_u32_e32 v18, v87, v44
	v_and_b32_e32 v44, 1, v46
	v_sub_nc_u32_e32 v46, v86, v3
	v_add_nc_u32_e32 v23, v23, v1
	v_sub_nc_u32_e32 v17, v87, v17
	v_add_nc_u32_e32 v18, 6, v18
	v_add_nc_u32_e32 v61, v86, v61
	s_wait_alu 0xfffd
	s_delay_alu instid0(VALU_DEP_2)
	v_dual_cndmask_b32 v18, v18, v26 :: v_dual_add_nc_u32 v17, 7, v17
	v_cmp_eq_u32_e32 vcc_lo, 1, v44
	v_add_nc_u32_e32 v26, v46, v23
	v_add_nc_u32_e32 v58, v61, v58
	s_wait_alu 0xfffd
	v_cndmask_b32_e32 v17, v17, v43, vcc_lo
	v_cmp_eq_u32_e32 vcc_lo, 1, v19
	v_sub_nc_u32_e32 v19, v87, v26
	s_wait_alu 0xfffd
	v_cndmask_b32_e32 v18, v18, v25, vcc_lo
	v_cmp_eq_u32_e32 vcc_lo, 1, v20
	v_add_nc_u32_e32 v62, v63, v62
	v_add_nc_u32_e32 v19, 8, v19
	v_sub_nc_u32_e32 v25, v61, v3
	s_wait_alu 0xfffd
	v_dual_cndmask_b32 v17, v17, v24 :: v_dual_lshlrev_b32 v18, 2, v18
	v_sub_nc_u32_e32 v20, v62, v4
	v_and_b32_e32 v24, 1, v47
	v_cmp_eq_u32_e32 vcc_lo, 1, v22
	s_delay_alu instid0(VALU_DEP_4) | instskip(NEXT) | instid1(VALU_DEP_4)
	v_lshlrev_b32_e32 v17, 2, v17
	v_add_nc_u32_e32 v20, v20, v1
	ds_store_b32 v15, v16
	ds_store_b32 v18, v13
	;; [unrolled: 1-line block ×3, first 2 shown]
	s_wait_alu 0xfffd
	v_cndmask_b32_e32 v19, v19, v23, vcc_lo
	v_cmp_eq_u32_e32 vcc_lo, 1, v24
	v_add_nc_u32_e32 v60, v62, v60
	v_add_nc_u32_e32 v22, v25, v20
	v_sub_nc_u32_e32 v17, v58, v3
	v_and_b32_e32 v15, 1, v21
	s_wait_alu 0xfffd
	v_cndmask_b32_e32 v19, v19, v46, vcc_lo
	v_sub_nc_u32_e32 v16, v60, v4
	v_sub_nc_u32_e32 v13, v87, v22
	v_cmp_eq_u32_e32 vcc_lo, 1, v8
	v_add_nc_u32_e32 v89, v60, v51
	v_lshlrev_b32_e32 v14, 2, v19
	v_add_nc_u32_e32 v16, v16, v1
	v_add_nc_u32_e32 v13, 9, v13
	s_delay_alu instid0(VALU_DEP_4)
	v_sub_nc_u32_e32 v18, v89, v4
	ds_store_b32 v14, v11
	v_add_nc_u32_e32 v19, v17, v16
	s_wait_alu 0xfffd
	v_cndmask_b32_e32 v8, v13, v20, vcc_lo
	v_cmp_eq_u32_e32 vcc_lo, 1, v15
	v_and_b32_e32 v15, 1, v51
	v_and_b32_e32 v20, 1, v45
	v_sub_nc_u32_e32 v14, v87, v19
	v_add_nc_u32_e32 v18, v18, v1
	s_wait_alu 0xfffd
	v_cndmask_b32_e32 v8, v8, v25, vcc_lo
	v_cmp_eq_u32_e32 vcc_lo, 1, v15
	v_add_nc_u32_e32 v57, v89, v57
	v_add_nc_u32_e32 v14, 10, v14
	v_and_b32_e32 v15, 1, v50
	v_lshlrev_b32_e32 v8, 2, v8
	s_delay_alu instid0(VALU_DEP_4)
	v_sub_nc_u32_e32 v19, v57, v4
	s_wait_alu 0xfffd
	v_cndmask_b32_e32 v14, v14, v16, vcc_lo
	v_cmp_eq_u32_e32 vcc_lo, 1, v20
	v_add_nc_u32_e32 v56, v58, v56
	v_add_nc_u32_e32 v19, v19, v1
	s_delay_alu instid0(VALU_DEP_2) | instskip(NEXT) | instid1(VALU_DEP_1)
	v_sub_nc_u32_e32 v13, v56, v3
	v_add_nc_u32_e32 v11, v13, v18
	s_delay_alu instid0(VALU_DEP_1) | instskip(NEXT) | instid1(VALU_DEP_1)
	v_sub_nc_u32_e32 v11, v87, v11
	v_add_nc_u32_e32 v11, 11, v11
	s_wait_alu 0xfffd
	s_delay_alu instid0(VALU_DEP_1) | instskip(SKIP_2) | instid1(VALU_DEP_2)
	v_cndmask_b32_e32 v11, v11, v18, vcc_lo
	v_add_nc_u32_e32 v77, v56, v50
	v_cmp_eq_u32_e32 vcc_lo, 1, v7
	v_sub_nc_u32_e32 v3, v77, v3
	s_wait_alu 0xfffd
	v_cndmask_b32_e32 v7, v14, v17, vcc_lo
	v_cmp_eq_u32_e32 vcc_lo, 1, v15
	v_and_b32_e32 v15, 1, v49
	v_add_nc_u32_e32 v16, v3, v19
	s_delay_alu instid0(VALU_DEP_4) | instskip(SKIP_4) | instid1(VALU_DEP_3)
	v_lshlrev_b32_e32 v7, 2, v7
	s_wait_alu 0xfffd
	v_cndmask_b32_e32 v11, v11, v13, vcc_lo
	v_and_b32_e32 v13, 1, v48
	v_sub_nc_u32_e32 v14, v87, v16
	v_lshlrev_b32_e32 v11, 2, v11
	s_delay_alu instid0(VALU_DEP_3)
	v_cmp_eq_u32_e32 vcc_lo, 1, v13
	ds_store_b32 v8, v12
	ds_store_b32 v7, v9
	;; [unrolled: 1-line block ×3, first 2 shown]
	v_add_nc_u32_e32 v14, 12, v14
	v_add_co_u32 v7, s0, v2, v84
	s_wait_alu 0xf1ff
	v_add_co_ci_u32_e64 v8, null, 0, 0, s0
	s_wait_alu 0xfffd
	v_cndmask_b32_e32 v13, v14, v19, vcc_lo
	v_cmp_eq_u32_e32 vcc_lo, 1, v15
	s_wait_alu 0xfffe
	s_add_nc_u64 s[0:1], s[34:35], s[40:41]
	v_lshlrev_b64_e32 v[9:10], 2, v[5:6]
	v_add_nc_u32_e32 v12, v1, v2
	s_wait_alu 0xfffd
	v_cndmask_b32_e32 v3, v13, v3, vcc_lo
	v_add_co_u32 v7, vcc_lo, v7, v41
	s_wait_alu 0xfffd
	v_add_co_ci_u32_e64 v8, null, v8, v42, vcc_lo
	s_delay_alu instid0(VALU_DEP_3)
	v_lshlrev_b32_e32 v3, 2, v3
	ds_store_b32 v3, v40
	v_add_co_u32 v3, vcc_lo, v7, v5
	s_wait_alu 0xfffd
	v_add_co_ci_u32_e64 v7, null, v8, v6, vcc_lo
	s_wait_loadcnt_dscnt 0x0
	s_wait_alu 0xfffe
	v_sub_co_u32 v3, vcc_lo, s0, v3
	s_wait_alu 0xfffd
	v_sub_co_ci_u32_e64 v11, null, s1, v7, vcc_lo
	v_lshlrev_b64_e32 v[7:8], 2, v[41:42]
	v_add_co_u32 v9, s0, s36, v9
	s_wait_alu 0xf1ff
	v_add_co_ci_u32_e64 v10, null, s37, v10, s0
	s_mov_b32 s0, -1
	v_add_co_u32 v7, vcc_lo, s38, v7
	s_wait_alu 0xfffd
	v_add_co_ci_u32_e64 v8, null, s39, v8, vcc_lo
	v_cmp_ne_u32_e32 vcc_lo, 1, v39
	s_barrier_signal -1
	s_barrier_wait -1
	global_inv scope:SCOPE_SE
	s_cbranch_vccz .LBB438_150
; %bb.147:
	s_wait_alu 0xfffe
	s_and_b32 vcc_lo, exec_lo, s0
	s_wait_alu 0xfffe
	s_cbranch_vccnz .LBB438_255
.LBB438_148:
	v_cmp_eq_u32_e32 vcc_lo, 0, v0
	s_and_b32 s0, vcc_lo, s15
	s_wait_alu 0xfffe
	s_and_saveexec_b32 s1, s0
	s_cbranch_execnz .LBB438_373
.LBB438_149:
	s_endpgm
.LBB438_150:
	s_mov_b32 s0, exec_lo
	v_cmpx_ge_u32_e64 v0, v1
	s_wait_alu 0xfffe
	s_xor_b32 s0, exec_lo, s0
	s_cbranch_execz .LBB438_156
; %bb.151:
	s_mov_b32 s1, exec_lo
	v_cmpx_ge_u32_e64 v0, v12
	s_wait_alu 0xfffe
	s_xor_b32 s1, exec_lo, s1
	s_cbranch_execz .LBB438_153
; %bb.152:
	v_lshlrev_b32_e32 v13, 2, v0
	ds_load_b32 v15, v13
	v_add_co_u32 v13, vcc_lo, v3, v0
	s_wait_alu 0xfffd
	v_add_co_ci_u32_e64 v14, null, 0, v11, vcc_lo
	s_delay_alu instid0(VALU_DEP_1) | instskip(NEXT) | instid1(VALU_DEP_1)
	v_lshlrev_b64_e32 v[13:14], 2, v[13:14]
	v_sub_co_u32 v13, vcc_lo, s26, v13
	s_wait_alu 0xfffd
	s_delay_alu instid0(VALU_DEP_2)
	v_sub_co_ci_u32_e64 v14, null, s27, v14, vcc_lo
	s_wait_dscnt 0x0
	global_store_b32 v[13:14], v15, off offset:-4
.LBB438_153:
	s_wait_alu 0xfffe
	s_and_not1_saveexec_b32 s1, s1
	s_cbranch_execz .LBB438_155
; %bb.154:
	v_lshlrev_b32_e32 v13, 2, v0
	v_readfirstlane_b32 s2, v7
	v_readfirstlane_b32 s3, v8
	ds_load_b32 v14, v13
	s_wait_dscnt 0x0
	global_store_b32 v13, v14, s[2:3]
.LBB438_155:
	s_wait_alu 0xfffe
	s_or_b32 exec_lo, exec_lo, s1
.LBB438_156:
	s_wait_alu 0xfffe
	s_and_not1_saveexec_b32 s0, s0
	s_cbranch_execz .LBB438_158
; %bb.157:
	v_lshlrev_b32_e32 v13, 2, v0
	v_readfirstlane_b32 s2, v9
	v_readfirstlane_b32 s3, v10
	ds_load_b32 v14, v13
	s_wait_dscnt 0x0
	global_store_b32 v13, v14, s[2:3]
.LBB438_158:
	s_wait_alu 0xfffe
	s_or_b32 exec_lo, exec_lo, s0
	s_delay_alu instid0(SALU_CYCLE_1)
	s_mov_b32 s0, exec_lo
	v_cmpx_ge_u32_e64 v38, v1
	s_wait_alu 0xfffe
	s_xor_b32 s0, exec_lo, s0
	s_cbranch_execz .LBB438_164
; %bb.159:
	s_mov_b32 s1, exec_lo
	v_cmpx_ge_u32_e64 v38, v12
	s_wait_alu 0xfffe
	s_xor_b32 s1, exec_lo, s1
	s_cbranch_execz .LBB438_161
; %bb.160:
	v_lshlrev_b32_e32 v13, 2, v0
	ds_load_b32 v15, v13 offset:1024
	v_add_co_u32 v13, vcc_lo, v3, v0
	s_wait_alu 0xfffd
	v_add_co_ci_u32_e64 v14, null, 0, v11, vcc_lo
	s_delay_alu instid0(VALU_DEP_1) | instskip(NEXT) | instid1(VALU_DEP_1)
	v_lshlrev_b64_e32 v[13:14], 2, v[13:14]
	v_sub_co_u32 v13, vcc_lo, s26, v13
	s_wait_alu 0xfffd
	s_delay_alu instid0(VALU_DEP_2)
	v_sub_co_ci_u32_e64 v14, null, s27, v14, vcc_lo
	s_wait_dscnt 0x0
	global_store_b32 v[13:14], v15, off offset:-1028
.LBB438_161:
	s_wait_alu 0xfffe
	s_and_not1_saveexec_b32 s1, s1
	s_cbranch_execz .LBB438_163
; %bb.162:
	v_lshlrev_b32_e32 v13, 2, v0
	v_readfirstlane_b32 s2, v7
	v_readfirstlane_b32 s3, v8
	ds_load_b32 v14, v13 offset:1024
	s_wait_dscnt 0x0
	global_store_b32 v13, v14, s[2:3] offset:1024
.LBB438_163:
	s_wait_alu 0xfffe
	s_or_b32 exec_lo, exec_lo, s1
.LBB438_164:
	s_wait_alu 0xfffe
	s_and_not1_saveexec_b32 s0, s0
	s_cbranch_execz .LBB438_166
; %bb.165:
	v_lshlrev_b32_e32 v13, 2, v0
	v_readfirstlane_b32 s2, v9
	v_readfirstlane_b32 s3, v10
	ds_load_b32 v14, v13 offset:1024
	s_wait_dscnt 0x0
	global_store_b32 v13, v14, s[2:3] offset:1024
.LBB438_166:
	s_wait_alu 0xfffe
	s_or_b32 exec_lo, exec_lo, s0
	s_delay_alu instid0(SALU_CYCLE_1)
	s_mov_b32 s0, exec_lo
	v_cmpx_ge_u32_e64 v37, v1
	s_wait_alu 0xfffe
	s_xor_b32 s0, exec_lo, s0
	s_cbranch_execz .LBB438_172
; %bb.167:
	s_mov_b32 s1, exec_lo
	v_cmpx_ge_u32_e64 v37, v12
	s_wait_alu 0xfffe
	s_xor_b32 s1, exec_lo, s1
	s_cbranch_execz .LBB438_169
; %bb.168:
	v_lshlrev_b32_e32 v13, 2, v0
	ds_load_b32 v15, v13 offset:2048
	v_add_co_u32 v13, vcc_lo, v3, v0
	s_wait_alu 0xfffd
	v_add_co_ci_u32_e64 v14, null, 0, v11, vcc_lo
	s_delay_alu instid0(VALU_DEP_1) | instskip(NEXT) | instid1(VALU_DEP_1)
	v_lshlrev_b64_e32 v[13:14], 2, v[13:14]
	v_sub_co_u32 v13, vcc_lo, s26, v13
	s_wait_alu 0xfffd
	s_delay_alu instid0(VALU_DEP_2)
	v_sub_co_ci_u32_e64 v14, null, s27, v14, vcc_lo
	s_wait_dscnt 0x0
	global_store_b32 v[13:14], v15, off offset:-2052
.LBB438_169:
	s_wait_alu 0xfffe
	s_and_not1_saveexec_b32 s1, s1
	s_cbranch_execz .LBB438_171
; %bb.170:
	v_lshlrev_b32_e32 v13, 2, v0
	v_readfirstlane_b32 s2, v7
	v_readfirstlane_b32 s3, v8
	ds_load_b32 v14, v13 offset:2048
	s_wait_dscnt 0x0
	global_store_b32 v13, v14, s[2:3] offset:2048
.LBB438_171:
	s_wait_alu 0xfffe
	s_or_b32 exec_lo, exec_lo, s1
.LBB438_172:
	s_wait_alu 0xfffe
	s_and_not1_saveexec_b32 s0, s0
	s_cbranch_execz .LBB438_174
; %bb.173:
	v_lshlrev_b32_e32 v13, 2, v0
	v_readfirstlane_b32 s2, v9
	v_readfirstlane_b32 s3, v10
	ds_load_b32 v14, v13 offset:2048
	s_wait_dscnt 0x0
	global_store_b32 v13, v14, s[2:3] offset:2048
.LBB438_174:
	;; [unrolled: 54-line block ×12, first 2 shown]
	s_wait_alu 0xfffe
	s_or_b32 exec_lo, exec_lo, s0
	s_branch .LBB438_148
.LBB438_255:
	s_mov_b32 s0, exec_lo
	v_cmpx_gt_u32_e64 s33, v0
	s_cbranch_execz .LBB438_264
; %bb.256:
	s_mov_b32 s1, exec_lo
	v_cmpx_ge_u32_e64 v0, v1
	s_wait_alu 0xfffe
	s_xor_b32 s1, exec_lo, s1
	s_cbranch_execz .LBB438_262
; %bb.257:
	s_mov_b32 s2, exec_lo
	v_cmpx_ge_u32_e64 v0, v12
	s_wait_alu 0xfffe
	s_xor_b32 s2, exec_lo, s2
	s_cbranch_execz .LBB438_259
; %bb.258:
	v_lshlrev_b32_e32 v13, 2, v0
	ds_load_b32 v15, v13
	v_add_co_u32 v13, vcc_lo, v3, v0
	s_wait_alu 0xfffd
	v_add_co_ci_u32_e64 v14, null, 0, v11, vcc_lo
	s_delay_alu instid0(VALU_DEP_1) | instskip(NEXT) | instid1(VALU_DEP_1)
	v_lshlrev_b64_e32 v[13:14], 2, v[13:14]
	v_sub_co_u32 v13, vcc_lo, s26, v13
	s_wait_alu 0xfffd
	s_delay_alu instid0(VALU_DEP_2)
	v_sub_co_ci_u32_e64 v14, null, s27, v14, vcc_lo
	s_wait_dscnt 0x0
	global_store_b32 v[13:14], v15, off offset:-4
.LBB438_259:
	s_wait_alu 0xfffe
	s_and_not1_saveexec_b32 s2, s2
	s_cbranch_execz .LBB438_261
; %bb.260:
	v_lshlrev_b32_e32 v13, 2, v0
	v_readfirstlane_b32 s4, v7
	v_readfirstlane_b32 s5, v8
	ds_load_b32 v14, v13
	s_wait_dscnt 0x0
	global_store_b32 v13, v14, s[4:5]
.LBB438_261:
	s_wait_alu 0xfffe
	s_or_b32 exec_lo, exec_lo, s2
.LBB438_262:
	s_wait_alu 0xfffe
	s_and_not1_saveexec_b32 s1, s1
	s_cbranch_execz .LBB438_264
; %bb.263:
	v_lshlrev_b32_e32 v13, 2, v0
	v_readfirstlane_b32 s2, v9
	v_readfirstlane_b32 s3, v10
	ds_load_b32 v14, v13
	s_wait_dscnt 0x0
	global_store_b32 v13, v14, s[2:3]
.LBB438_264:
	s_wait_alu 0xfffe
	s_or_b32 exec_lo, exec_lo, s0
	s_delay_alu instid0(SALU_CYCLE_1)
	s_mov_b32 s0, exec_lo
	v_cmpx_gt_u32_e64 s33, v38
	s_cbranch_execz .LBB438_273
; %bb.265:
	s_mov_b32 s1, exec_lo
	v_cmpx_ge_u32_e64 v38, v1
	s_wait_alu 0xfffe
	s_xor_b32 s1, exec_lo, s1
	s_cbranch_execz .LBB438_271
; %bb.266:
	s_mov_b32 s2, exec_lo
	v_cmpx_ge_u32_e64 v38, v12
	s_wait_alu 0xfffe
	s_xor_b32 s2, exec_lo, s2
	s_cbranch_execz .LBB438_268
; %bb.267:
	v_lshlrev_b32_e32 v13, 2, v0
	ds_load_b32 v15, v13 offset:1024
	v_add_co_u32 v13, vcc_lo, v3, v0
	s_wait_alu 0xfffd
	v_add_co_ci_u32_e64 v14, null, 0, v11, vcc_lo
	s_delay_alu instid0(VALU_DEP_1) | instskip(NEXT) | instid1(VALU_DEP_1)
	v_lshlrev_b64_e32 v[13:14], 2, v[13:14]
	v_sub_co_u32 v13, vcc_lo, s26, v13
	s_wait_alu 0xfffd
	s_delay_alu instid0(VALU_DEP_2)
	v_sub_co_ci_u32_e64 v14, null, s27, v14, vcc_lo
	s_wait_dscnt 0x0
	global_store_b32 v[13:14], v15, off offset:-1028
.LBB438_268:
	s_wait_alu 0xfffe
	s_and_not1_saveexec_b32 s2, s2
	s_cbranch_execz .LBB438_270
; %bb.269:
	v_lshlrev_b32_e32 v13, 2, v0
	v_readfirstlane_b32 s4, v7
	v_readfirstlane_b32 s5, v8
	ds_load_b32 v14, v13 offset:1024
	s_wait_dscnt 0x0
	global_store_b32 v13, v14, s[4:5] offset:1024
.LBB438_270:
	s_wait_alu 0xfffe
	s_or_b32 exec_lo, exec_lo, s2
.LBB438_271:
	s_wait_alu 0xfffe
	s_and_not1_saveexec_b32 s1, s1
	s_cbranch_execz .LBB438_273
; %bb.272:
	v_lshlrev_b32_e32 v13, 2, v0
	v_readfirstlane_b32 s2, v9
	v_readfirstlane_b32 s3, v10
	ds_load_b32 v14, v13 offset:1024
	s_wait_dscnt 0x0
	global_store_b32 v13, v14, s[2:3] offset:1024
.LBB438_273:
	s_wait_alu 0xfffe
	s_or_b32 exec_lo, exec_lo, s0
	s_delay_alu instid0(SALU_CYCLE_1)
	s_mov_b32 s0, exec_lo
	v_cmpx_gt_u32_e64 s33, v37
	s_cbranch_execz .LBB438_282
; %bb.274:
	s_mov_b32 s1, exec_lo
	v_cmpx_ge_u32_e64 v37, v1
	s_wait_alu 0xfffe
	s_xor_b32 s1, exec_lo, s1
	s_cbranch_execz .LBB438_280
; %bb.275:
	s_mov_b32 s2, exec_lo
	v_cmpx_ge_u32_e64 v37, v12
	s_wait_alu 0xfffe
	s_xor_b32 s2, exec_lo, s2
	s_cbranch_execz .LBB438_277
; %bb.276:
	v_lshlrev_b32_e32 v13, 2, v0
	ds_load_b32 v15, v13 offset:2048
	v_add_co_u32 v13, vcc_lo, v3, v0
	s_wait_alu 0xfffd
	v_add_co_ci_u32_e64 v14, null, 0, v11, vcc_lo
	s_delay_alu instid0(VALU_DEP_1) | instskip(NEXT) | instid1(VALU_DEP_1)
	v_lshlrev_b64_e32 v[13:14], 2, v[13:14]
	v_sub_co_u32 v13, vcc_lo, s26, v13
	s_wait_alu 0xfffd
	s_delay_alu instid0(VALU_DEP_2)
	v_sub_co_ci_u32_e64 v14, null, s27, v14, vcc_lo
	s_wait_dscnt 0x0
	global_store_b32 v[13:14], v15, off offset:-2052
.LBB438_277:
	s_wait_alu 0xfffe
	s_and_not1_saveexec_b32 s2, s2
	s_cbranch_execz .LBB438_279
; %bb.278:
	v_lshlrev_b32_e32 v13, 2, v0
	v_readfirstlane_b32 s4, v7
	v_readfirstlane_b32 s5, v8
	ds_load_b32 v14, v13 offset:2048
	s_wait_dscnt 0x0
	global_store_b32 v13, v14, s[4:5] offset:2048
.LBB438_279:
	s_wait_alu 0xfffe
	s_or_b32 exec_lo, exec_lo, s2
.LBB438_280:
	s_wait_alu 0xfffe
	s_and_not1_saveexec_b32 s1, s1
	s_cbranch_execz .LBB438_282
; %bb.281:
	v_lshlrev_b32_e32 v13, 2, v0
	v_readfirstlane_b32 s2, v9
	v_readfirstlane_b32 s3, v10
	ds_load_b32 v14, v13 offset:2048
	s_wait_dscnt 0x0
	global_store_b32 v13, v14, s[2:3] offset:2048
.LBB438_282:
	;; [unrolled: 58-line block ×11, first 2 shown]
	s_wait_alu 0xfffe
	s_or_b32 exec_lo, exec_lo, s0
	s_delay_alu instid0(SALU_CYCLE_1)
	s_mov_b32 s0, exec_lo
	v_cmpx_gt_u32_e64 s33, v27
	s_cbranch_execz .LBB438_372
; %bb.364:
	s_mov_b32 s1, exec_lo
	v_cmpx_ge_u32_e64 v27, v1
	s_wait_alu 0xfffe
	s_xor_b32 s1, exec_lo, s1
	s_cbranch_execz .LBB438_370
; %bb.365:
	s_mov_b32 s2, exec_lo
	v_cmpx_ge_u32_e64 v27, v12
	s_wait_alu 0xfffe
	s_xor_b32 s2, exec_lo, s2
	s_cbranch_execz .LBB438_367
; %bb.366:
	v_lshlrev_b32_e32 v7, 2, v0
	ds_load_b32 v9, v7 offset:12288
	v_add_co_u32 v7, vcc_lo, v3, v0
	s_wait_alu 0xfffd
	v_add_co_ci_u32_e64 v8, null, 0, v11, vcc_lo
	s_delay_alu instid0(VALU_DEP_1) | instskip(NEXT) | instid1(VALU_DEP_1)
	v_lshlrev_b64_e32 v[7:8], 2, v[7:8]
	v_sub_co_u32 v7, vcc_lo, s26, v7
	s_wait_alu 0xfffd
	s_delay_alu instid0(VALU_DEP_2)
	v_sub_co_ci_u32_e64 v8, null, s27, v8, vcc_lo
	s_wait_dscnt 0x0
	global_store_b32 v[7:8], v9, off offset:-12292
                                        ; implicit-def: $vgpr7_vgpr8
.LBB438_367:
	s_wait_alu 0xfffe
	s_and_not1_saveexec_b32 s2, s2
	s_cbranch_execz .LBB438_369
; %bb.368:
	v_lshlrev_b32_e32 v3, 2, v0
	v_readfirstlane_b32 s4, v7
	v_readfirstlane_b32 s5, v8
	ds_load_b32 v9, v3 offset:12288
	s_wait_dscnt 0x0
	global_store_b32 v3, v9, s[4:5] offset:12288
.LBB438_369:
	s_wait_alu 0xfffe
	s_or_b32 exec_lo, exec_lo, s2
                                        ; implicit-def: $vgpr9_vgpr10
.LBB438_370:
	s_wait_alu 0xfffe
	s_and_not1_saveexec_b32 s1, s1
	s_cbranch_execz .LBB438_372
; %bb.371:
	v_lshlrev_b32_e32 v3, 2, v0
	v_readfirstlane_b32 s2, v9
	v_readfirstlane_b32 s3, v10
	ds_load_b32 v7, v3 offset:12288
	s_wait_dscnt 0x0
	global_store_b32 v3, v7, s[2:3] offset:12288
.LBB438_372:
	s_wait_alu 0xfffe
	s_or_b32 exec_lo, exec_lo, s0
	v_cmp_eq_u32_e32 vcc_lo, 0, v0
	s_and_b32 s0, vcc_lo, s15
	s_wait_alu 0xfffe
	s_and_saveexec_b32 s1, s0
	s_cbranch_execz .LBB438_149
.LBB438_373:
	v_add_co_u32 v0, s0, s30, v2
	s_wait_alu 0xf1ff
	v_add_co_ci_u32_e64 v3, null, s31, 0, s0
	v_mov_b32_e32 v7, 0
	s_delay_alu instid0(VALU_DEP_3) | instskip(SKIP_1) | instid1(VALU_DEP_3)
	v_add_co_u32 v2, vcc_lo, v0, v4
	s_wait_alu 0xfffd
	v_add_co_ci_u32_e64 v3, null, 0, v3, vcc_lo
	v_add_co_u32 v0, vcc_lo, v5, v1
	s_wait_alu 0xfffd
	v_add_co_ci_u32_e64 v1, null, 0, v6, vcc_lo
	global_store_b128 v7, v[0:3], s[24:25]
	s_endpgm
.LBB438_374:
	s_add_co_i32 s8, ttmp9, 32
	s_mov_b32 s9, 0
	v_dual_mov_b32 v7, 2 :: v_dual_add_nc_u32 v6, v4, v2
	s_wait_alu 0xfffe
	s_lshl_b64 s[8:9], s[8:9], 4
	v_dual_mov_b32 v8, 0 :: v_dual_add_nc_u32 v5, v3, v1
	s_wait_alu 0xfffe
	s_add_nc_u64 s[8:9], s[4:5], s[8:9]
	s_wait_alu 0xfffe
	v_dual_mov_b32 v24, s9 :: v_dual_mov_b32 v23, s8
	;;#ASMSTART
	global_store_b128 v[23:24], v[5:8] off scope:SCOPE_DEV	
s_wait_storecnt 0x0
	;;#ASMEND
	s_or_b32 exec_lo, exec_lo, s6
	s_and_saveexec_b32 s6, s2
	s_cbranch_execz .LBB438_134
.LBB438_375:
	v_mov_b32_e32 v5, 0
	ds_store_b128 v5, v[1:4] offset:13312
	s_wait_alu 0xfffe
	s_or_b32 exec_lo, exec_lo, s6
	v_cmp_eq_u32_e32 vcc_lo, 0, v0
	s_and_b32 exec_lo, exec_lo, vcc_lo
	s_cbranch_execnz .LBB438_135
	s_branch .LBB438_136
	.section	.rodata,"a",@progbits
	.p2align	6, 0x0
	.amdhsa_kernel _ZN7rocprim17ROCPRIM_400000_NS6detail17trampoline_kernelINS0_13select_configILj256ELj13ELNS0_17block_load_methodE3ELS4_3ELS4_3ELNS0_20block_scan_algorithmE0ELj4294967295EEENS1_25partition_config_selectorILNS1_17partition_subalgoE4EjNS0_10empty_typeEbEEZZNS1_14partition_implILS8_4ELb0ES6_15HIP_vector_typeIjLj2EENS0_17counting_iteratorIjlEEPS9_SG_NS0_5tupleIJPjSI_NS0_16reverse_iteratorISI_EEEEENSH_IJSG_SG_SG_EEES9_SI_JZNS1_25segmented_radix_sort_implINS0_14default_configELb1EPKiPiPKlPlN2at6native12_GLOBAL__N_18offset_tEEE10hipError_tPvRmT1_PNSt15iterator_traitsIS12_E10value_typeET2_T3_PNS13_IS18_E10value_typeET4_jRbjT5_S1E_jjP12ihipStream_tbEUljE_ZNSN_ISO_Lb1ESQ_SR_ST_SU_SY_EESZ_S10_S11_S12_S16_S17_S18_S1B_S1C_jS1D_jS1E_S1E_jjS1G_bEUljE0_EEESZ_S10_S11_S18_S1C_S1E_T6_T7_T9_mT8_S1G_bDpT10_ENKUlT_T0_E_clISt17integral_constantIbLb0EES1U_EEDaS1P_S1Q_EUlS1P_E_NS1_11comp_targetILNS1_3genE10ELNS1_11target_archE1200ELNS1_3gpuE4ELNS1_3repE0EEENS1_30default_config_static_selectorELNS0_4arch9wavefront6targetE0EEEvS12_
		.amdhsa_group_segment_fixed_size 13328
		.amdhsa_private_segment_fixed_size 0
		.amdhsa_kernarg_size 176
		.amdhsa_user_sgpr_count 2
		.amdhsa_user_sgpr_dispatch_ptr 0
		.amdhsa_user_sgpr_queue_ptr 0
		.amdhsa_user_sgpr_kernarg_segment_ptr 1
		.amdhsa_user_sgpr_dispatch_id 0
		.amdhsa_user_sgpr_private_segment_size 0
		.amdhsa_wavefront_size32 1
		.amdhsa_uses_dynamic_stack 0
		.amdhsa_enable_private_segment 0
		.amdhsa_system_sgpr_workgroup_id_x 1
		.amdhsa_system_sgpr_workgroup_id_y 0
		.amdhsa_system_sgpr_workgroup_id_z 0
		.amdhsa_system_sgpr_workgroup_info 0
		.amdhsa_system_vgpr_workitem_id 0
		.amdhsa_next_free_vgpr 93
		.amdhsa_next_free_sgpr 58
		.amdhsa_reserve_vcc 1
		.amdhsa_float_round_mode_32 0
		.amdhsa_float_round_mode_16_64 0
		.amdhsa_float_denorm_mode_32 3
		.amdhsa_float_denorm_mode_16_64 3
		.amdhsa_fp16_overflow 0
		.amdhsa_workgroup_processor_mode 1
		.amdhsa_memory_ordered 1
		.amdhsa_forward_progress 1
		.amdhsa_inst_pref_size 148
		.amdhsa_round_robin_scheduling 0
		.amdhsa_exception_fp_ieee_invalid_op 0
		.amdhsa_exception_fp_denorm_src 0
		.amdhsa_exception_fp_ieee_div_zero 0
		.amdhsa_exception_fp_ieee_overflow 0
		.amdhsa_exception_fp_ieee_underflow 0
		.amdhsa_exception_fp_ieee_inexact 0
		.amdhsa_exception_int_div_zero 0
	.end_amdhsa_kernel
	.section	.text._ZN7rocprim17ROCPRIM_400000_NS6detail17trampoline_kernelINS0_13select_configILj256ELj13ELNS0_17block_load_methodE3ELS4_3ELS4_3ELNS0_20block_scan_algorithmE0ELj4294967295EEENS1_25partition_config_selectorILNS1_17partition_subalgoE4EjNS0_10empty_typeEbEEZZNS1_14partition_implILS8_4ELb0ES6_15HIP_vector_typeIjLj2EENS0_17counting_iteratorIjlEEPS9_SG_NS0_5tupleIJPjSI_NS0_16reverse_iteratorISI_EEEEENSH_IJSG_SG_SG_EEES9_SI_JZNS1_25segmented_radix_sort_implINS0_14default_configELb1EPKiPiPKlPlN2at6native12_GLOBAL__N_18offset_tEEE10hipError_tPvRmT1_PNSt15iterator_traitsIS12_E10value_typeET2_T3_PNS13_IS18_E10value_typeET4_jRbjT5_S1E_jjP12ihipStream_tbEUljE_ZNSN_ISO_Lb1ESQ_SR_ST_SU_SY_EESZ_S10_S11_S12_S16_S17_S18_S1B_S1C_jS1D_jS1E_S1E_jjS1G_bEUljE0_EEESZ_S10_S11_S18_S1C_S1E_T6_T7_T9_mT8_S1G_bDpT10_ENKUlT_T0_E_clISt17integral_constantIbLb0EES1U_EEDaS1P_S1Q_EUlS1P_E_NS1_11comp_targetILNS1_3genE10ELNS1_11target_archE1200ELNS1_3gpuE4ELNS1_3repE0EEENS1_30default_config_static_selectorELNS0_4arch9wavefront6targetE0EEEvS12_,"axG",@progbits,_ZN7rocprim17ROCPRIM_400000_NS6detail17trampoline_kernelINS0_13select_configILj256ELj13ELNS0_17block_load_methodE3ELS4_3ELS4_3ELNS0_20block_scan_algorithmE0ELj4294967295EEENS1_25partition_config_selectorILNS1_17partition_subalgoE4EjNS0_10empty_typeEbEEZZNS1_14partition_implILS8_4ELb0ES6_15HIP_vector_typeIjLj2EENS0_17counting_iteratorIjlEEPS9_SG_NS0_5tupleIJPjSI_NS0_16reverse_iteratorISI_EEEEENSH_IJSG_SG_SG_EEES9_SI_JZNS1_25segmented_radix_sort_implINS0_14default_configELb1EPKiPiPKlPlN2at6native12_GLOBAL__N_18offset_tEEE10hipError_tPvRmT1_PNSt15iterator_traitsIS12_E10value_typeET2_T3_PNS13_IS18_E10value_typeET4_jRbjT5_S1E_jjP12ihipStream_tbEUljE_ZNSN_ISO_Lb1ESQ_SR_ST_SU_SY_EESZ_S10_S11_S12_S16_S17_S18_S1B_S1C_jS1D_jS1E_S1E_jjS1G_bEUljE0_EEESZ_S10_S11_S18_S1C_S1E_T6_T7_T9_mT8_S1G_bDpT10_ENKUlT_T0_E_clISt17integral_constantIbLb0EES1U_EEDaS1P_S1Q_EUlS1P_E_NS1_11comp_targetILNS1_3genE10ELNS1_11target_archE1200ELNS1_3gpuE4ELNS1_3repE0EEENS1_30default_config_static_selectorELNS0_4arch9wavefront6targetE0EEEvS12_,comdat
.Lfunc_end438:
	.size	_ZN7rocprim17ROCPRIM_400000_NS6detail17trampoline_kernelINS0_13select_configILj256ELj13ELNS0_17block_load_methodE3ELS4_3ELS4_3ELNS0_20block_scan_algorithmE0ELj4294967295EEENS1_25partition_config_selectorILNS1_17partition_subalgoE4EjNS0_10empty_typeEbEEZZNS1_14partition_implILS8_4ELb0ES6_15HIP_vector_typeIjLj2EENS0_17counting_iteratorIjlEEPS9_SG_NS0_5tupleIJPjSI_NS0_16reverse_iteratorISI_EEEEENSH_IJSG_SG_SG_EEES9_SI_JZNS1_25segmented_radix_sort_implINS0_14default_configELb1EPKiPiPKlPlN2at6native12_GLOBAL__N_18offset_tEEE10hipError_tPvRmT1_PNSt15iterator_traitsIS12_E10value_typeET2_T3_PNS13_IS18_E10value_typeET4_jRbjT5_S1E_jjP12ihipStream_tbEUljE_ZNSN_ISO_Lb1ESQ_SR_ST_SU_SY_EESZ_S10_S11_S12_S16_S17_S18_S1B_S1C_jS1D_jS1E_S1E_jjS1G_bEUljE0_EEESZ_S10_S11_S18_S1C_S1E_T6_T7_T9_mT8_S1G_bDpT10_ENKUlT_T0_E_clISt17integral_constantIbLb0EES1U_EEDaS1P_S1Q_EUlS1P_E_NS1_11comp_targetILNS1_3genE10ELNS1_11target_archE1200ELNS1_3gpuE4ELNS1_3repE0EEENS1_30default_config_static_selectorELNS0_4arch9wavefront6targetE0EEEvS12_, .Lfunc_end438-_ZN7rocprim17ROCPRIM_400000_NS6detail17trampoline_kernelINS0_13select_configILj256ELj13ELNS0_17block_load_methodE3ELS4_3ELS4_3ELNS0_20block_scan_algorithmE0ELj4294967295EEENS1_25partition_config_selectorILNS1_17partition_subalgoE4EjNS0_10empty_typeEbEEZZNS1_14partition_implILS8_4ELb0ES6_15HIP_vector_typeIjLj2EENS0_17counting_iteratorIjlEEPS9_SG_NS0_5tupleIJPjSI_NS0_16reverse_iteratorISI_EEEEENSH_IJSG_SG_SG_EEES9_SI_JZNS1_25segmented_radix_sort_implINS0_14default_configELb1EPKiPiPKlPlN2at6native12_GLOBAL__N_18offset_tEEE10hipError_tPvRmT1_PNSt15iterator_traitsIS12_E10value_typeET2_T3_PNS13_IS18_E10value_typeET4_jRbjT5_S1E_jjP12ihipStream_tbEUljE_ZNSN_ISO_Lb1ESQ_SR_ST_SU_SY_EESZ_S10_S11_S12_S16_S17_S18_S1B_S1C_jS1D_jS1E_S1E_jjS1G_bEUljE0_EEESZ_S10_S11_S18_S1C_S1E_T6_T7_T9_mT8_S1G_bDpT10_ENKUlT_T0_E_clISt17integral_constantIbLb0EES1U_EEDaS1P_S1Q_EUlS1P_E_NS1_11comp_targetILNS1_3genE10ELNS1_11target_archE1200ELNS1_3gpuE4ELNS1_3repE0EEENS1_30default_config_static_selectorELNS0_4arch9wavefront6targetE0EEEvS12_
                                        ; -- End function
	.set _ZN7rocprim17ROCPRIM_400000_NS6detail17trampoline_kernelINS0_13select_configILj256ELj13ELNS0_17block_load_methodE3ELS4_3ELS4_3ELNS0_20block_scan_algorithmE0ELj4294967295EEENS1_25partition_config_selectorILNS1_17partition_subalgoE4EjNS0_10empty_typeEbEEZZNS1_14partition_implILS8_4ELb0ES6_15HIP_vector_typeIjLj2EENS0_17counting_iteratorIjlEEPS9_SG_NS0_5tupleIJPjSI_NS0_16reverse_iteratorISI_EEEEENSH_IJSG_SG_SG_EEES9_SI_JZNS1_25segmented_radix_sort_implINS0_14default_configELb1EPKiPiPKlPlN2at6native12_GLOBAL__N_18offset_tEEE10hipError_tPvRmT1_PNSt15iterator_traitsIS12_E10value_typeET2_T3_PNS13_IS18_E10value_typeET4_jRbjT5_S1E_jjP12ihipStream_tbEUljE_ZNSN_ISO_Lb1ESQ_SR_ST_SU_SY_EESZ_S10_S11_S12_S16_S17_S18_S1B_S1C_jS1D_jS1E_S1E_jjS1G_bEUljE0_EEESZ_S10_S11_S18_S1C_S1E_T6_T7_T9_mT8_S1G_bDpT10_ENKUlT_T0_E_clISt17integral_constantIbLb0EES1U_EEDaS1P_S1Q_EUlS1P_E_NS1_11comp_targetILNS1_3genE10ELNS1_11target_archE1200ELNS1_3gpuE4ELNS1_3repE0EEENS1_30default_config_static_selectorELNS0_4arch9wavefront6targetE0EEEvS12_.num_vgpr, 93
	.set _ZN7rocprim17ROCPRIM_400000_NS6detail17trampoline_kernelINS0_13select_configILj256ELj13ELNS0_17block_load_methodE3ELS4_3ELS4_3ELNS0_20block_scan_algorithmE0ELj4294967295EEENS1_25partition_config_selectorILNS1_17partition_subalgoE4EjNS0_10empty_typeEbEEZZNS1_14partition_implILS8_4ELb0ES6_15HIP_vector_typeIjLj2EENS0_17counting_iteratorIjlEEPS9_SG_NS0_5tupleIJPjSI_NS0_16reverse_iteratorISI_EEEEENSH_IJSG_SG_SG_EEES9_SI_JZNS1_25segmented_radix_sort_implINS0_14default_configELb1EPKiPiPKlPlN2at6native12_GLOBAL__N_18offset_tEEE10hipError_tPvRmT1_PNSt15iterator_traitsIS12_E10value_typeET2_T3_PNS13_IS18_E10value_typeET4_jRbjT5_S1E_jjP12ihipStream_tbEUljE_ZNSN_ISO_Lb1ESQ_SR_ST_SU_SY_EESZ_S10_S11_S12_S16_S17_S18_S1B_S1C_jS1D_jS1E_S1E_jjS1G_bEUljE0_EEESZ_S10_S11_S18_S1C_S1E_T6_T7_T9_mT8_S1G_bDpT10_ENKUlT_T0_E_clISt17integral_constantIbLb0EES1U_EEDaS1P_S1Q_EUlS1P_E_NS1_11comp_targetILNS1_3genE10ELNS1_11target_archE1200ELNS1_3gpuE4ELNS1_3repE0EEENS1_30default_config_static_selectorELNS0_4arch9wavefront6targetE0EEEvS12_.num_agpr, 0
	.set _ZN7rocprim17ROCPRIM_400000_NS6detail17trampoline_kernelINS0_13select_configILj256ELj13ELNS0_17block_load_methodE3ELS4_3ELS4_3ELNS0_20block_scan_algorithmE0ELj4294967295EEENS1_25partition_config_selectorILNS1_17partition_subalgoE4EjNS0_10empty_typeEbEEZZNS1_14partition_implILS8_4ELb0ES6_15HIP_vector_typeIjLj2EENS0_17counting_iteratorIjlEEPS9_SG_NS0_5tupleIJPjSI_NS0_16reverse_iteratorISI_EEEEENSH_IJSG_SG_SG_EEES9_SI_JZNS1_25segmented_radix_sort_implINS0_14default_configELb1EPKiPiPKlPlN2at6native12_GLOBAL__N_18offset_tEEE10hipError_tPvRmT1_PNSt15iterator_traitsIS12_E10value_typeET2_T3_PNS13_IS18_E10value_typeET4_jRbjT5_S1E_jjP12ihipStream_tbEUljE_ZNSN_ISO_Lb1ESQ_SR_ST_SU_SY_EESZ_S10_S11_S12_S16_S17_S18_S1B_S1C_jS1D_jS1E_S1E_jjS1G_bEUljE0_EEESZ_S10_S11_S18_S1C_S1E_T6_T7_T9_mT8_S1G_bDpT10_ENKUlT_T0_E_clISt17integral_constantIbLb0EES1U_EEDaS1P_S1Q_EUlS1P_E_NS1_11comp_targetILNS1_3genE10ELNS1_11target_archE1200ELNS1_3gpuE4ELNS1_3repE0EEENS1_30default_config_static_selectorELNS0_4arch9wavefront6targetE0EEEvS12_.numbered_sgpr, 58
	.set _ZN7rocprim17ROCPRIM_400000_NS6detail17trampoline_kernelINS0_13select_configILj256ELj13ELNS0_17block_load_methodE3ELS4_3ELS4_3ELNS0_20block_scan_algorithmE0ELj4294967295EEENS1_25partition_config_selectorILNS1_17partition_subalgoE4EjNS0_10empty_typeEbEEZZNS1_14partition_implILS8_4ELb0ES6_15HIP_vector_typeIjLj2EENS0_17counting_iteratorIjlEEPS9_SG_NS0_5tupleIJPjSI_NS0_16reverse_iteratorISI_EEEEENSH_IJSG_SG_SG_EEES9_SI_JZNS1_25segmented_radix_sort_implINS0_14default_configELb1EPKiPiPKlPlN2at6native12_GLOBAL__N_18offset_tEEE10hipError_tPvRmT1_PNSt15iterator_traitsIS12_E10value_typeET2_T3_PNS13_IS18_E10value_typeET4_jRbjT5_S1E_jjP12ihipStream_tbEUljE_ZNSN_ISO_Lb1ESQ_SR_ST_SU_SY_EESZ_S10_S11_S12_S16_S17_S18_S1B_S1C_jS1D_jS1E_S1E_jjS1G_bEUljE0_EEESZ_S10_S11_S18_S1C_S1E_T6_T7_T9_mT8_S1G_bDpT10_ENKUlT_T0_E_clISt17integral_constantIbLb0EES1U_EEDaS1P_S1Q_EUlS1P_E_NS1_11comp_targetILNS1_3genE10ELNS1_11target_archE1200ELNS1_3gpuE4ELNS1_3repE0EEENS1_30default_config_static_selectorELNS0_4arch9wavefront6targetE0EEEvS12_.num_named_barrier, 0
	.set _ZN7rocprim17ROCPRIM_400000_NS6detail17trampoline_kernelINS0_13select_configILj256ELj13ELNS0_17block_load_methodE3ELS4_3ELS4_3ELNS0_20block_scan_algorithmE0ELj4294967295EEENS1_25partition_config_selectorILNS1_17partition_subalgoE4EjNS0_10empty_typeEbEEZZNS1_14partition_implILS8_4ELb0ES6_15HIP_vector_typeIjLj2EENS0_17counting_iteratorIjlEEPS9_SG_NS0_5tupleIJPjSI_NS0_16reverse_iteratorISI_EEEEENSH_IJSG_SG_SG_EEES9_SI_JZNS1_25segmented_radix_sort_implINS0_14default_configELb1EPKiPiPKlPlN2at6native12_GLOBAL__N_18offset_tEEE10hipError_tPvRmT1_PNSt15iterator_traitsIS12_E10value_typeET2_T3_PNS13_IS18_E10value_typeET4_jRbjT5_S1E_jjP12ihipStream_tbEUljE_ZNSN_ISO_Lb1ESQ_SR_ST_SU_SY_EESZ_S10_S11_S12_S16_S17_S18_S1B_S1C_jS1D_jS1E_S1E_jjS1G_bEUljE0_EEESZ_S10_S11_S18_S1C_S1E_T6_T7_T9_mT8_S1G_bDpT10_ENKUlT_T0_E_clISt17integral_constantIbLb0EES1U_EEDaS1P_S1Q_EUlS1P_E_NS1_11comp_targetILNS1_3genE10ELNS1_11target_archE1200ELNS1_3gpuE4ELNS1_3repE0EEENS1_30default_config_static_selectorELNS0_4arch9wavefront6targetE0EEEvS12_.private_seg_size, 0
	.set _ZN7rocprim17ROCPRIM_400000_NS6detail17trampoline_kernelINS0_13select_configILj256ELj13ELNS0_17block_load_methodE3ELS4_3ELS4_3ELNS0_20block_scan_algorithmE0ELj4294967295EEENS1_25partition_config_selectorILNS1_17partition_subalgoE4EjNS0_10empty_typeEbEEZZNS1_14partition_implILS8_4ELb0ES6_15HIP_vector_typeIjLj2EENS0_17counting_iteratorIjlEEPS9_SG_NS0_5tupleIJPjSI_NS0_16reverse_iteratorISI_EEEEENSH_IJSG_SG_SG_EEES9_SI_JZNS1_25segmented_radix_sort_implINS0_14default_configELb1EPKiPiPKlPlN2at6native12_GLOBAL__N_18offset_tEEE10hipError_tPvRmT1_PNSt15iterator_traitsIS12_E10value_typeET2_T3_PNS13_IS18_E10value_typeET4_jRbjT5_S1E_jjP12ihipStream_tbEUljE_ZNSN_ISO_Lb1ESQ_SR_ST_SU_SY_EESZ_S10_S11_S12_S16_S17_S18_S1B_S1C_jS1D_jS1E_S1E_jjS1G_bEUljE0_EEESZ_S10_S11_S18_S1C_S1E_T6_T7_T9_mT8_S1G_bDpT10_ENKUlT_T0_E_clISt17integral_constantIbLb0EES1U_EEDaS1P_S1Q_EUlS1P_E_NS1_11comp_targetILNS1_3genE10ELNS1_11target_archE1200ELNS1_3gpuE4ELNS1_3repE0EEENS1_30default_config_static_selectorELNS0_4arch9wavefront6targetE0EEEvS12_.uses_vcc, 1
	.set _ZN7rocprim17ROCPRIM_400000_NS6detail17trampoline_kernelINS0_13select_configILj256ELj13ELNS0_17block_load_methodE3ELS4_3ELS4_3ELNS0_20block_scan_algorithmE0ELj4294967295EEENS1_25partition_config_selectorILNS1_17partition_subalgoE4EjNS0_10empty_typeEbEEZZNS1_14partition_implILS8_4ELb0ES6_15HIP_vector_typeIjLj2EENS0_17counting_iteratorIjlEEPS9_SG_NS0_5tupleIJPjSI_NS0_16reverse_iteratorISI_EEEEENSH_IJSG_SG_SG_EEES9_SI_JZNS1_25segmented_radix_sort_implINS0_14default_configELb1EPKiPiPKlPlN2at6native12_GLOBAL__N_18offset_tEEE10hipError_tPvRmT1_PNSt15iterator_traitsIS12_E10value_typeET2_T3_PNS13_IS18_E10value_typeET4_jRbjT5_S1E_jjP12ihipStream_tbEUljE_ZNSN_ISO_Lb1ESQ_SR_ST_SU_SY_EESZ_S10_S11_S12_S16_S17_S18_S1B_S1C_jS1D_jS1E_S1E_jjS1G_bEUljE0_EEESZ_S10_S11_S18_S1C_S1E_T6_T7_T9_mT8_S1G_bDpT10_ENKUlT_T0_E_clISt17integral_constantIbLb0EES1U_EEDaS1P_S1Q_EUlS1P_E_NS1_11comp_targetILNS1_3genE10ELNS1_11target_archE1200ELNS1_3gpuE4ELNS1_3repE0EEENS1_30default_config_static_selectorELNS0_4arch9wavefront6targetE0EEEvS12_.uses_flat_scratch, 0
	.set _ZN7rocprim17ROCPRIM_400000_NS6detail17trampoline_kernelINS0_13select_configILj256ELj13ELNS0_17block_load_methodE3ELS4_3ELS4_3ELNS0_20block_scan_algorithmE0ELj4294967295EEENS1_25partition_config_selectorILNS1_17partition_subalgoE4EjNS0_10empty_typeEbEEZZNS1_14partition_implILS8_4ELb0ES6_15HIP_vector_typeIjLj2EENS0_17counting_iteratorIjlEEPS9_SG_NS0_5tupleIJPjSI_NS0_16reverse_iteratorISI_EEEEENSH_IJSG_SG_SG_EEES9_SI_JZNS1_25segmented_radix_sort_implINS0_14default_configELb1EPKiPiPKlPlN2at6native12_GLOBAL__N_18offset_tEEE10hipError_tPvRmT1_PNSt15iterator_traitsIS12_E10value_typeET2_T3_PNS13_IS18_E10value_typeET4_jRbjT5_S1E_jjP12ihipStream_tbEUljE_ZNSN_ISO_Lb1ESQ_SR_ST_SU_SY_EESZ_S10_S11_S12_S16_S17_S18_S1B_S1C_jS1D_jS1E_S1E_jjS1G_bEUljE0_EEESZ_S10_S11_S18_S1C_S1E_T6_T7_T9_mT8_S1G_bDpT10_ENKUlT_T0_E_clISt17integral_constantIbLb0EES1U_EEDaS1P_S1Q_EUlS1P_E_NS1_11comp_targetILNS1_3genE10ELNS1_11target_archE1200ELNS1_3gpuE4ELNS1_3repE0EEENS1_30default_config_static_selectorELNS0_4arch9wavefront6targetE0EEEvS12_.has_dyn_sized_stack, 0
	.set _ZN7rocprim17ROCPRIM_400000_NS6detail17trampoline_kernelINS0_13select_configILj256ELj13ELNS0_17block_load_methodE3ELS4_3ELS4_3ELNS0_20block_scan_algorithmE0ELj4294967295EEENS1_25partition_config_selectorILNS1_17partition_subalgoE4EjNS0_10empty_typeEbEEZZNS1_14partition_implILS8_4ELb0ES6_15HIP_vector_typeIjLj2EENS0_17counting_iteratorIjlEEPS9_SG_NS0_5tupleIJPjSI_NS0_16reverse_iteratorISI_EEEEENSH_IJSG_SG_SG_EEES9_SI_JZNS1_25segmented_radix_sort_implINS0_14default_configELb1EPKiPiPKlPlN2at6native12_GLOBAL__N_18offset_tEEE10hipError_tPvRmT1_PNSt15iterator_traitsIS12_E10value_typeET2_T3_PNS13_IS18_E10value_typeET4_jRbjT5_S1E_jjP12ihipStream_tbEUljE_ZNSN_ISO_Lb1ESQ_SR_ST_SU_SY_EESZ_S10_S11_S12_S16_S17_S18_S1B_S1C_jS1D_jS1E_S1E_jjS1G_bEUljE0_EEESZ_S10_S11_S18_S1C_S1E_T6_T7_T9_mT8_S1G_bDpT10_ENKUlT_T0_E_clISt17integral_constantIbLb0EES1U_EEDaS1P_S1Q_EUlS1P_E_NS1_11comp_targetILNS1_3genE10ELNS1_11target_archE1200ELNS1_3gpuE4ELNS1_3repE0EEENS1_30default_config_static_selectorELNS0_4arch9wavefront6targetE0EEEvS12_.has_recursion, 0
	.set _ZN7rocprim17ROCPRIM_400000_NS6detail17trampoline_kernelINS0_13select_configILj256ELj13ELNS0_17block_load_methodE3ELS4_3ELS4_3ELNS0_20block_scan_algorithmE0ELj4294967295EEENS1_25partition_config_selectorILNS1_17partition_subalgoE4EjNS0_10empty_typeEbEEZZNS1_14partition_implILS8_4ELb0ES6_15HIP_vector_typeIjLj2EENS0_17counting_iteratorIjlEEPS9_SG_NS0_5tupleIJPjSI_NS0_16reverse_iteratorISI_EEEEENSH_IJSG_SG_SG_EEES9_SI_JZNS1_25segmented_radix_sort_implINS0_14default_configELb1EPKiPiPKlPlN2at6native12_GLOBAL__N_18offset_tEEE10hipError_tPvRmT1_PNSt15iterator_traitsIS12_E10value_typeET2_T3_PNS13_IS18_E10value_typeET4_jRbjT5_S1E_jjP12ihipStream_tbEUljE_ZNSN_ISO_Lb1ESQ_SR_ST_SU_SY_EESZ_S10_S11_S12_S16_S17_S18_S1B_S1C_jS1D_jS1E_S1E_jjS1G_bEUljE0_EEESZ_S10_S11_S18_S1C_S1E_T6_T7_T9_mT8_S1G_bDpT10_ENKUlT_T0_E_clISt17integral_constantIbLb0EES1U_EEDaS1P_S1Q_EUlS1P_E_NS1_11comp_targetILNS1_3genE10ELNS1_11target_archE1200ELNS1_3gpuE4ELNS1_3repE0EEENS1_30default_config_static_selectorELNS0_4arch9wavefront6targetE0EEEvS12_.has_indirect_call, 0
	.section	.AMDGPU.csdata,"",@progbits
; Kernel info:
; codeLenInByte = 18900
; TotalNumSgprs: 60
; NumVgprs: 93
; ScratchSize: 0
; MemoryBound: 0
; FloatMode: 240
; IeeeMode: 1
; LDSByteSize: 13328 bytes/workgroup (compile time only)
; SGPRBlocks: 0
; VGPRBlocks: 11
; NumSGPRsForWavesPerEU: 60
; NumVGPRsForWavesPerEU: 93
; Occupancy: 16
; WaveLimiterHint : 1
; COMPUTE_PGM_RSRC2:SCRATCH_EN: 0
; COMPUTE_PGM_RSRC2:USER_SGPR: 2
; COMPUTE_PGM_RSRC2:TRAP_HANDLER: 0
; COMPUTE_PGM_RSRC2:TGID_X_EN: 1
; COMPUTE_PGM_RSRC2:TGID_Y_EN: 0
; COMPUTE_PGM_RSRC2:TGID_Z_EN: 0
; COMPUTE_PGM_RSRC2:TIDIG_COMP_CNT: 0
	.section	.text._ZN7rocprim17ROCPRIM_400000_NS6detail17trampoline_kernelINS0_13select_configILj256ELj13ELNS0_17block_load_methodE3ELS4_3ELS4_3ELNS0_20block_scan_algorithmE0ELj4294967295EEENS1_25partition_config_selectorILNS1_17partition_subalgoE4EjNS0_10empty_typeEbEEZZNS1_14partition_implILS8_4ELb0ES6_15HIP_vector_typeIjLj2EENS0_17counting_iteratorIjlEEPS9_SG_NS0_5tupleIJPjSI_NS0_16reverse_iteratorISI_EEEEENSH_IJSG_SG_SG_EEES9_SI_JZNS1_25segmented_radix_sort_implINS0_14default_configELb1EPKiPiPKlPlN2at6native12_GLOBAL__N_18offset_tEEE10hipError_tPvRmT1_PNSt15iterator_traitsIS12_E10value_typeET2_T3_PNS13_IS18_E10value_typeET4_jRbjT5_S1E_jjP12ihipStream_tbEUljE_ZNSN_ISO_Lb1ESQ_SR_ST_SU_SY_EESZ_S10_S11_S12_S16_S17_S18_S1B_S1C_jS1D_jS1E_S1E_jjS1G_bEUljE0_EEESZ_S10_S11_S18_S1C_S1E_T6_T7_T9_mT8_S1G_bDpT10_ENKUlT_T0_E_clISt17integral_constantIbLb0EES1U_EEDaS1P_S1Q_EUlS1P_E_NS1_11comp_targetILNS1_3genE9ELNS1_11target_archE1100ELNS1_3gpuE3ELNS1_3repE0EEENS1_30default_config_static_selectorELNS0_4arch9wavefront6targetE0EEEvS12_,"axG",@progbits,_ZN7rocprim17ROCPRIM_400000_NS6detail17trampoline_kernelINS0_13select_configILj256ELj13ELNS0_17block_load_methodE3ELS4_3ELS4_3ELNS0_20block_scan_algorithmE0ELj4294967295EEENS1_25partition_config_selectorILNS1_17partition_subalgoE4EjNS0_10empty_typeEbEEZZNS1_14partition_implILS8_4ELb0ES6_15HIP_vector_typeIjLj2EENS0_17counting_iteratorIjlEEPS9_SG_NS0_5tupleIJPjSI_NS0_16reverse_iteratorISI_EEEEENSH_IJSG_SG_SG_EEES9_SI_JZNS1_25segmented_radix_sort_implINS0_14default_configELb1EPKiPiPKlPlN2at6native12_GLOBAL__N_18offset_tEEE10hipError_tPvRmT1_PNSt15iterator_traitsIS12_E10value_typeET2_T3_PNS13_IS18_E10value_typeET4_jRbjT5_S1E_jjP12ihipStream_tbEUljE_ZNSN_ISO_Lb1ESQ_SR_ST_SU_SY_EESZ_S10_S11_S12_S16_S17_S18_S1B_S1C_jS1D_jS1E_S1E_jjS1G_bEUljE0_EEESZ_S10_S11_S18_S1C_S1E_T6_T7_T9_mT8_S1G_bDpT10_ENKUlT_T0_E_clISt17integral_constantIbLb0EES1U_EEDaS1P_S1Q_EUlS1P_E_NS1_11comp_targetILNS1_3genE9ELNS1_11target_archE1100ELNS1_3gpuE3ELNS1_3repE0EEENS1_30default_config_static_selectorELNS0_4arch9wavefront6targetE0EEEvS12_,comdat
	.globl	_ZN7rocprim17ROCPRIM_400000_NS6detail17trampoline_kernelINS0_13select_configILj256ELj13ELNS0_17block_load_methodE3ELS4_3ELS4_3ELNS0_20block_scan_algorithmE0ELj4294967295EEENS1_25partition_config_selectorILNS1_17partition_subalgoE4EjNS0_10empty_typeEbEEZZNS1_14partition_implILS8_4ELb0ES6_15HIP_vector_typeIjLj2EENS0_17counting_iteratorIjlEEPS9_SG_NS0_5tupleIJPjSI_NS0_16reverse_iteratorISI_EEEEENSH_IJSG_SG_SG_EEES9_SI_JZNS1_25segmented_radix_sort_implINS0_14default_configELb1EPKiPiPKlPlN2at6native12_GLOBAL__N_18offset_tEEE10hipError_tPvRmT1_PNSt15iterator_traitsIS12_E10value_typeET2_T3_PNS13_IS18_E10value_typeET4_jRbjT5_S1E_jjP12ihipStream_tbEUljE_ZNSN_ISO_Lb1ESQ_SR_ST_SU_SY_EESZ_S10_S11_S12_S16_S17_S18_S1B_S1C_jS1D_jS1E_S1E_jjS1G_bEUljE0_EEESZ_S10_S11_S18_S1C_S1E_T6_T7_T9_mT8_S1G_bDpT10_ENKUlT_T0_E_clISt17integral_constantIbLb0EES1U_EEDaS1P_S1Q_EUlS1P_E_NS1_11comp_targetILNS1_3genE9ELNS1_11target_archE1100ELNS1_3gpuE3ELNS1_3repE0EEENS1_30default_config_static_selectorELNS0_4arch9wavefront6targetE0EEEvS12_ ; -- Begin function _ZN7rocprim17ROCPRIM_400000_NS6detail17trampoline_kernelINS0_13select_configILj256ELj13ELNS0_17block_load_methodE3ELS4_3ELS4_3ELNS0_20block_scan_algorithmE0ELj4294967295EEENS1_25partition_config_selectorILNS1_17partition_subalgoE4EjNS0_10empty_typeEbEEZZNS1_14partition_implILS8_4ELb0ES6_15HIP_vector_typeIjLj2EENS0_17counting_iteratorIjlEEPS9_SG_NS0_5tupleIJPjSI_NS0_16reverse_iteratorISI_EEEEENSH_IJSG_SG_SG_EEES9_SI_JZNS1_25segmented_radix_sort_implINS0_14default_configELb1EPKiPiPKlPlN2at6native12_GLOBAL__N_18offset_tEEE10hipError_tPvRmT1_PNSt15iterator_traitsIS12_E10value_typeET2_T3_PNS13_IS18_E10value_typeET4_jRbjT5_S1E_jjP12ihipStream_tbEUljE_ZNSN_ISO_Lb1ESQ_SR_ST_SU_SY_EESZ_S10_S11_S12_S16_S17_S18_S1B_S1C_jS1D_jS1E_S1E_jjS1G_bEUljE0_EEESZ_S10_S11_S18_S1C_S1E_T6_T7_T9_mT8_S1G_bDpT10_ENKUlT_T0_E_clISt17integral_constantIbLb0EES1U_EEDaS1P_S1Q_EUlS1P_E_NS1_11comp_targetILNS1_3genE9ELNS1_11target_archE1100ELNS1_3gpuE3ELNS1_3repE0EEENS1_30default_config_static_selectorELNS0_4arch9wavefront6targetE0EEEvS12_
	.p2align	8
	.type	_ZN7rocprim17ROCPRIM_400000_NS6detail17trampoline_kernelINS0_13select_configILj256ELj13ELNS0_17block_load_methodE3ELS4_3ELS4_3ELNS0_20block_scan_algorithmE0ELj4294967295EEENS1_25partition_config_selectorILNS1_17partition_subalgoE4EjNS0_10empty_typeEbEEZZNS1_14partition_implILS8_4ELb0ES6_15HIP_vector_typeIjLj2EENS0_17counting_iteratorIjlEEPS9_SG_NS0_5tupleIJPjSI_NS0_16reverse_iteratorISI_EEEEENSH_IJSG_SG_SG_EEES9_SI_JZNS1_25segmented_radix_sort_implINS0_14default_configELb1EPKiPiPKlPlN2at6native12_GLOBAL__N_18offset_tEEE10hipError_tPvRmT1_PNSt15iterator_traitsIS12_E10value_typeET2_T3_PNS13_IS18_E10value_typeET4_jRbjT5_S1E_jjP12ihipStream_tbEUljE_ZNSN_ISO_Lb1ESQ_SR_ST_SU_SY_EESZ_S10_S11_S12_S16_S17_S18_S1B_S1C_jS1D_jS1E_S1E_jjS1G_bEUljE0_EEESZ_S10_S11_S18_S1C_S1E_T6_T7_T9_mT8_S1G_bDpT10_ENKUlT_T0_E_clISt17integral_constantIbLb0EES1U_EEDaS1P_S1Q_EUlS1P_E_NS1_11comp_targetILNS1_3genE9ELNS1_11target_archE1100ELNS1_3gpuE3ELNS1_3repE0EEENS1_30default_config_static_selectorELNS0_4arch9wavefront6targetE0EEEvS12_,@function
_ZN7rocprim17ROCPRIM_400000_NS6detail17trampoline_kernelINS0_13select_configILj256ELj13ELNS0_17block_load_methodE3ELS4_3ELS4_3ELNS0_20block_scan_algorithmE0ELj4294967295EEENS1_25partition_config_selectorILNS1_17partition_subalgoE4EjNS0_10empty_typeEbEEZZNS1_14partition_implILS8_4ELb0ES6_15HIP_vector_typeIjLj2EENS0_17counting_iteratorIjlEEPS9_SG_NS0_5tupleIJPjSI_NS0_16reverse_iteratorISI_EEEEENSH_IJSG_SG_SG_EEES9_SI_JZNS1_25segmented_radix_sort_implINS0_14default_configELb1EPKiPiPKlPlN2at6native12_GLOBAL__N_18offset_tEEE10hipError_tPvRmT1_PNSt15iterator_traitsIS12_E10value_typeET2_T3_PNS13_IS18_E10value_typeET4_jRbjT5_S1E_jjP12ihipStream_tbEUljE_ZNSN_ISO_Lb1ESQ_SR_ST_SU_SY_EESZ_S10_S11_S12_S16_S17_S18_S1B_S1C_jS1D_jS1E_S1E_jjS1G_bEUljE0_EEESZ_S10_S11_S18_S1C_S1E_T6_T7_T9_mT8_S1G_bDpT10_ENKUlT_T0_E_clISt17integral_constantIbLb0EES1U_EEDaS1P_S1Q_EUlS1P_E_NS1_11comp_targetILNS1_3genE9ELNS1_11target_archE1100ELNS1_3gpuE3ELNS1_3repE0EEENS1_30default_config_static_selectorELNS0_4arch9wavefront6targetE0EEEvS12_: ; @_ZN7rocprim17ROCPRIM_400000_NS6detail17trampoline_kernelINS0_13select_configILj256ELj13ELNS0_17block_load_methodE3ELS4_3ELS4_3ELNS0_20block_scan_algorithmE0ELj4294967295EEENS1_25partition_config_selectorILNS1_17partition_subalgoE4EjNS0_10empty_typeEbEEZZNS1_14partition_implILS8_4ELb0ES6_15HIP_vector_typeIjLj2EENS0_17counting_iteratorIjlEEPS9_SG_NS0_5tupleIJPjSI_NS0_16reverse_iteratorISI_EEEEENSH_IJSG_SG_SG_EEES9_SI_JZNS1_25segmented_radix_sort_implINS0_14default_configELb1EPKiPiPKlPlN2at6native12_GLOBAL__N_18offset_tEEE10hipError_tPvRmT1_PNSt15iterator_traitsIS12_E10value_typeET2_T3_PNS13_IS18_E10value_typeET4_jRbjT5_S1E_jjP12ihipStream_tbEUljE_ZNSN_ISO_Lb1ESQ_SR_ST_SU_SY_EESZ_S10_S11_S12_S16_S17_S18_S1B_S1C_jS1D_jS1E_S1E_jjS1G_bEUljE0_EEESZ_S10_S11_S18_S1C_S1E_T6_T7_T9_mT8_S1G_bDpT10_ENKUlT_T0_E_clISt17integral_constantIbLb0EES1U_EEDaS1P_S1Q_EUlS1P_E_NS1_11comp_targetILNS1_3genE9ELNS1_11target_archE1100ELNS1_3gpuE3ELNS1_3repE0EEENS1_30default_config_static_selectorELNS0_4arch9wavefront6targetE0EEEvS12_
; %bb.0:
	.section	.rodata,"a",@progbits
	.p2align	6, 0x0
	.amdhsa_kernel _ZN7rocprim17ROCPRIM_400000_NS6detail17trampoline_kernelINS0_13select_configILj256ELj13ELNS0_17block_load_methodE3ELS4_3ELS4_3ELNS0_20block_scan_algorithmE0ELj4294967295EEENS1_25partition_config_selectorILNS1_17partition_subalgoE4EjNS0_10empty_typeEbEEZZNS1_14partition_implILS8_4ELb0ES6_15HIP_vector_typeIjLj2EENS0_17counting_iteratorIjlEEPS9_SG_NS0_5tupleIJPjSI_NS0_16reverse_iteratorISI_EEEEENSH_IJSG_SG_SG_EEES9_SI_JZNS1_25segmented_radix_sort_implINS0_14default_configELb1EPKiPiPKlPlN2at6native12_GLOBAL__N_18offset_tEEE10hipError_tPvRmT1_PNSt15iterator_traitsIS12_E10value_typeET2_T3_PNS13_IS18_E10value_typeET4_jRbjT5_S1E_jjP12ihipStream_tbEUljE_ZNSN_ISO_Lb1ESQ_SR_ST_SU_SY_EESZ_S10_S11_S12_S16_S17_S18_S1B_S1C_jS1D_jS1E_S1E_jjS1G_bEUljE0_EEESZ_S10_S11_S18_S1C_S1E_T6_T7_T9_mT8_S1G_bDpT10_ENKUlT_T0_E_clISt17integral_constantIbLb0EES1U_EEDaS1P_S1Q_EUlS1P_E_NS1_11comp_targetILNS1_3genE9ELNS1_11target_archE1100ELNS1_3gpuE3ELNS1_3repE0EEENS1_30default_config_static_selectorELNS0_4arch9wavefront6targetE0EEEvS12_
		.amdhsa_group_segment_fixed_size 0
		.amdhsa_private_segment_fixed_size 0
		.amdhsa_kernarg_size 176
		.amdhsa_user_sgpr_count 2
		.amdhsa_user_sgpr_dispatch_ptr 0
		.amdhsa_user_sgpr_queue_ptr 0
		.amdhsa_user_sgpr_kernarg_segment_ptr 1
		.amdhsa_user_sgpr_dispatch_id 0
		.amdhsa_user_sgpr_private_segment_size 0
		.amdhsa_wavefront_size32 1
		.amdhsa_uses_dynamic_stack 0
		.amdhsa_enable_private_segment 0
		.amdhsa_system_sgpr_workgroup_id_x 1
		.amdhsa_system_sgpr_workgroup_id_y 0
		.amdhsa_system_sgpr_workgroup_id_z 0
		.amdhsa_system_sgpr_workgroup_info 0
		.amdhsa_system_vgpr_workitem_id 0
		.amdhsa_next_free_vgpr 1
		.amdhsa_next_free_sgpr 1
		.amdhsa_reserve_vcc 0
		.amdhsa_float_round_mode_32 0
		.amdhsa_float_round_mode_16_64 0
		.amdhsa_float_denorm_mode_32 3
		.amdhsa_float_denorm_mode_16_64 3
		.amdhsa_fp16_overflow 0
		.amdhsa_workgroup_processor_mode 1
		.amdhsa_memory_ordered 1
		.amdhsa_forward_progress 1
		.amdhsa_inst_pref_size 0
		.amdhsa_round_robin_scheduling 0
		.amdhsa_exception_fp_ieee_invalid_op 0
		.amdhsa_exception_fp_denorm_src 0
		.amdhsa_exception_fp_ieee_div_zero 0
		.amdhsa_exception_fp_ieee_overflow 0
		.amdhsa_exception_fp_ieee_underflow 0
		.amdhsa_exception_fp_ieee_inexact 0
		.amdhsa_exception_int_div_zero 0
	.end_amdhsa_kernel
	.section	.text._ZN7rocprim17ROCPRIM_400000_NS6detail17trampoline_kernelINS0_13select_configILj256ELj13ELNS0_17block_load_methodE3ELS4_3ELS4_3ELNS0_20block_scan_algorithmE0ELj4294967295EEENS1_25partition_config_selectorILNS1_17partition_subalgoE4EjNS0_10empty_typeEbEEZZNS1_14partition_implILS8_4ELb0ES6_15HIP_vector_typeIjLj2EENS0_17counting_iteratorIjlEEPS9_SG_NS0_5tupleIJPjSI_NS0_16reverse_iteratorISI_EEEEENSH_IJSG_SG_SG_EEES9_SI_JZNS1_25segmented_radix_sort_implINS0_14default_configELb1EPKiPiPKlPlN2at6native12_GLOBAL__N_18offset_tEEE10hipError_tPvRmT1_PNSt15iterator_traitsIS12_E10value_typeET2_T3_PNS13_IS18_E10value_typeET4_jRbjT5_S1E_jjP12ihipStream_tbEUljE_ZNSN_ISO_Lb1ESQ_SR_ST_SU_SY_EESZ_S10_S11_S12_S16_S17_S18_S1B_S1C_jS1D_jS1E_S1E_jjS1G_bEUljE0_EEESZ_S10_S11_S18_S1C_S1E_T6_T7_T9_mT8_S1G_bDpT10_ENKUlT_T0_E_clISt17integral_constantIbLb0EES1U_EEDaS1P_S1Q_EUlS1P_E_NS1_11comp_targetILNS1_3genE9ELNS1_11target_archE1100ELNS1_3gpuE3ELNS1_3repE0EEENS1_30default_config_static_selectorELNS0_4arch9wavefront6targetE0EEEvS12_,"axG",@progbits,_ZN7rocprim17ROCPRIM_400000_NS6detail17trampoline_kernelINS0_13select_configILj256ELj13ELNS0_17block_load_methodE3ELS4_3ELS4_3ELNS0_20block_scan_algorithmE0ELj4294967295EEENS1_25partition_config_selectorILNS1_17partition_subalgoE4EjNS0_10empty_typeEbEEZZNS1_14partition_implILS8_4ELb0ES6_15HIP_vector_typeIjLj2EENS0_17counting_iteratorIjlEEPS9_SG_NS0_5tupleIJPjSI_NS0_16reverse_iteratorISI_EEEEENSH_IJSG_SG_SG_EEES9_SI_JZNS1_25segmented_radix_sort_implINS0_14default_configELb1EPKiPiPKlPlN2at6native12_GLOBAL__N_18offset_tEEE10hipError_tPvRmT1_PNSt15iterator_traitsIS12_E10value_typeET2_T3_PNS13_IS18_E10value_typeET4_jRbjT5_S1E_jjP12ihipStream_tbEUljE_ZNSN_ISO_Lb1ESQ_SR_ST_SU_SY_EESZ_S10_S11_S12_S16_S17_S18_S1B_S1C_jS1D_jS1E_S1E_jjS1G_bEUljE0_EEESZ_S10_S11_S18_S1C_S1E_T6_T7_T9_mT8_S1G_bDpT10_ENKUlT_T0_E_clISt17integral_constantIbLb0EES1U_EEDaS1P_S1Q_EUlS1P_E_NS1_11comp_targetILNS1_3genE9ELNS1_11target_archE1100ELNS1_3gpuE3ELNS1_3repE0EEENS1_30default_config_static_selectorELNS0_4arch9wavefront6targetE0EEEvS12_,comdat
.Lfunc_end439:
	.size	_ZN7rocprim17ROCPRIM_400000_NS6detail17trampoline_kernelINS0_13select_configILj256ELj13ELNS0_17block_load_methodE3ELS4_3ELS4_3ELNS0_20block_scan_algorithmE0ELj4294967295EEENS1_25partition_config_selectorILNS1_17partition_subalgoE4EjNS0_10empty_typeEbEEZZNS1_14partition_implILS8_4ELb0ES6_15HIP_vector_typeIjLj2EENS0_17counting_iteratorIjlEEPS9_SG_NS0_5tupleIJPjSI_NS0_16reverse_iteratorISI_EEEEENSH_IJSG_SG_SG_EEES9_SI_JZNS1_25segmented_radix_sort_implINS0_14default_configELb1EPKiPiPKlPlN2at6native12_GLOBAL__N_18offset_tEEE10hipError_tPvRmT1_PNSt15iterator_traitsIS12_E10value_typeET2_T3_PNS13_IS18_E10value_typeET4_jRbjT5_S1E_jjP12ihipStream_tbEUljE_ZNSN_ISO_Lb1ESQ_SR_ST_SU_SY_EESZ_S10_S11_S12_S16_S17_S18_S1B_S1C_jS1D_jS1E_S1E_jjS1G_bEUljE0_EEESZ_S10_S11_S18_S1C_S1E_T6_T7_T9_mT8_S1G_bDpT10_ENKUlT_T0_E_clISt17integral_constantIbLb0EES1U_EEDaS1P_S1Q_EUlS1P_E_NS1_11comp_targetILNS1_3genE9ELNS1_11target_archE1100ELNS1_3gpuE3ELNS1_3repE0EEENS1_30default_config_static_selectorELNS0_4arch9wavefront6targetE0EEEvS12_, .Lfunc_end439-_ZN7rocprim17ROCPRIM_400000_NS6detail17trampoline_kernelINS0_13select_configILj256ELj13ELNS0_17block_load_methodE3ELS4_3ELS4_3ELNS0_20block_scan_algorithmE0ELj4294967295EEENS1_25partition_config_selectorILNS1_17partition_subalgoE4EjNS0_10empty_typeEbEEZZNS1_14partition_implILS8_4ELb0ES6_15HIP_vector_typeIjLj2EENS0_17counting_iteratorIjlEEPS9_SG_NS0_5tupleIJPjSI_NS0_16reverse_iteratorISI_EEEEENSH_IJSG_SG_SG_EEES9_SI_JZNS1_25segmented_radix_sort_implINS0_14default_configELb1EPKiPiPKlPlN2at6native12_GLOBAL__N_18offset_tEEE10hipError_tPvRmT1_PNSt15iterator_traitsIS12_E10value_typeET2_T3_PNS13_IS18_E10value_typeET4_jRbjT5_S1E_jjP12ihipStream_tbEUljE_ZNSN_ISO_Lb1ESQ_SR_ST_SU_SY_EESZ_S10_S11_S12_S16_S17_S18_S1B_S1C_jS1D_jS1E_S1E_jjS1G_bEUljE0_EEESZ_S10_S11_S18_S1C_S1E_T6_T7_T9_mT8_S1G_bDpT10_ENKUlT_T0_E_clISt17integral_constantIbLb0EES1U_EEDaS1P_S1Q_EUlS1P_E_NS1_11comp_targetILNS1_3genE9ELNS1_11target_archE1100ELNS1_3gpuE3ELNS1_3repE0EEENS1_30default_config_static_selectorELNS0_4arch9wavefront6targetE0EEEvS12_
                                        ; -- End function
	.set _ZN7rocprim17ROCPRIM_400000_NS6detail17trampoline_kernelINS0_13select_configILj256ELj13ELNS0_17block_load_methodE3ELS4_3ELS4_3ELNS0_20block_scan_algorithmE0ELj4294967295EEENS1_25partition_config_selectorILNS1_17partition_subalgoE4EjNS0_10empty_typeEbEEZZNS1_14partition_implILS8_4ELb0ES6_15HIP_vector_typeIjLj2EENS0_17counting_iteratorIjlEEPS9_SG_NS0_5tupleIJPjSI_NS0_16reverse_iteratorISI_EEEEENSH_IJSG_SG_SG_EEES9_SI_JZNS1_25segmented_radix_sort_implINS0_14default_configELb1EPKiPiPKlPlN2at6native12_GLOBAL__N_18offset_tEEE10hipError_tPvRmT1_PNSt15iterator_traitsIS12_E10value_typeET2_T3_PNS13_IS18_E10value_typeET4_jRbjT5_S1E_jjP12ihipStream_tbEUljE_ZNSN_ISO_Lb1ESQ_SR_ST_SU_SY_EESZ_S10_S11_S12_S16_S17_S18_S1B_S1C_jS1D_jS1E_S1E_jjS1G_bEUljE0_EEESZ_S10_S11_S18_S1C_S1E_T6_T7_T9_mT8_S1G_bDpT10_ENKUlT_T0_E_clISt17integral_constantIbLb0EES1U_EEDaS1P_S1Q_EUlS1P_E_NS1_11comp_targetILNS1_3genE9ELNS1_11target_archE1100ELNS1_3gpuE3ELNS1_3repE0EEENS1_30default_config_static_selectorELNS0_4arch9wavefront6targetE0EEEvS12_.num_vgpr, 0
	.set _ZN7rocprim17ROCPRIM_400000_NS6detail17trampoline_kernelINS0_13select_configILj256ELj13ELNS0_17block_load_methodE3ELS4_3ELS4_3ELNS0_20block_scan_algorithmE0ELj4294967295EEENS1_25partition_config_selectorILNS1_17partition_subalgoE4EjNS0_10empty_typeEbEEZZNS1_14partition_implILS8_4ELb0ES6_15HIP_vector_typeIjLj2EENS0_17counting_iteratorIjlEEPS9_SG_NS0_5tupleIJPjSI_NS0_16reverse_iteratorISI_EEEEENSH_IJSG_SG_SG_EEES9_SI_JZNS1_25segmented_radix_sort_implINS0_14default_configELb1EPKiPiPKlPlN2at6native12_GLOBAL__N_18offset_tEEE10hipError_tPvRmT1_PNSt15iterator_traitsIS12_E10value_typeET2_T3_PNS13_IS18_E10value_typeET4_jRbjT5_S1E_jjP12ihipStream_tbEUljE_ZNSN_ISO_Lb1ESQ_SR_ST_SU_SY_EESZ_S10_S11_S12_S16_S17_S18_S1B_S1C_jS1D_jS1E_S1E_jjS1G_bEUljE0_EEESZ_S10_S11_S18_S1C_S1E_T6_T7_T9_mT8_S1G_bDpT10_ENKUlT_T0_E_clISt17integral_constantIbLb0EES1U_EEDaS1P_S1Q_EUlS1P_E_NS1_11comp_targetILNS1_3genE9ELNS1_11target_archE1100ELNS1_3gpuE3ELNS1_3repE0EEENS1_30default_config_static_selectorELNS0_4arch9wavefront6targetE0EEEvS12_.num_agpr, 0
	.set _ZN7rocprim17ROCPRIM_400000_NS6detail17trampoline_kernelINS0_13select_configILj256ELj13ELNS0_17block_load_methodE3ELS4_3ELS4_3ELNS0_20block_scan_algorithmE0ELj4294967295EEENS1_25partition_config_selectorILNS1_17partition_subalgoE4EjNS0_10empty_typeEbEEZZNS1_14partition_implILS8_4ELb0ES6_15HIP_vector_typeIjLj2EENS0_17counting_iteratorIjlEEPS9_SG_NS0_5tupleIJPjSI_NS0_16reverse_iteratorISI_EEEEENSH_IJSG_SG_SG_EEES9_SI_JZNS1_25segmented_radix_sort_implINS0_14default_configELb1EPKiPiPKlPlN2at6native12_GLOBAL__N_18offset_tEEE10hipError_tPvRmT1_PNSt15iterator_traitsIS12_E10value_typeET2_T3_PNS13_IS18_E10value_typeET4_jRbjT5_S1E_jjP12ihipStream_tbEUljE_ZNSN_ISO_Lb1ESQ_SR_ST_SU_SY_EESZ_S10_S11_S12_S16_S17_S18_S1B_S1C_jS1D_jS1E_S1E_jjS1G_bEUljE0_EEESZ_S10_S11_S18_S1C_S1E_T6_T7_T9_mT8_S1G_bDpT10_ENKUlT_T0_E_clISt17integral_constantIbLb0EES1U_EEDaS1P_S1Q_EUlS1P_E_NS1_11comp_targetILNS1_3genE9ELNS1_11target_archE1100ELNS1_3gpuE3ELNS1_3repE0EEENS1_30default_config_static_selectorELNS0_4arch9wavefront6targetE0EEEvS12_.numbered_sgpr, 0
	.set _ZN7rocprim17ROCPRIM_400000_NS6detail17trampoline_kernelINS0_13select_configILj256ELj13ELNS0_17block_load_methodE3ELS4_3ELS4_3ELNS0_20block_scan_algorithmE0ELj4294967295EEENS1_25partition_config_selectorILNS1_17partition_subalgoE4EjNS0_10empty_typeEbEEZZNS1_14partition_implILS8_4ELb0ES6_15HIP_vector_typeIjLj2EENS0_17counting_iteratorIjlEEPS9_SG_NS0_5tupleIJPjSI_NS0_16reverse_iteratorISI_EEEEENSH_IJSG_SG_SG_EEES9_SI_JZNS1_25segmented_radix_sort_implINS0_14default_configELb1EPKiPiPKlPlN2at6native12_GLOBAL__N_18offset_tEEE10hipError_tPvRmT1_PNSt15iterator_traitsIS12_E10value_typeET2_T3_PNS13_IS18_E10value_typeET4_jRbjT5_S1E_jjP12ihipStream_tbEUljE_ZNSN_ISO_Lb1ESQ_SR_ST_SU_SY_EESZ_S10_S11_S12_S16_S17_S18_S1B_S1C_jS1D_jS1E_S1E_jjS1G_bEUljE0_EEESZ_S10_S11_S18_S1C_S1E_T6_T7_T9_mT8_S1G_bDpT10_ENKUlT_T0_E_clISt17integral_constantIbLb0EES1U_EEDaS1P_S1Q_EUlS1P_E_NS1_11comp_targetILNS1_3genE9ELNS1_11target_archE1100ELNS1_3gpuE3ELNS1_3repE0EEENS1_30default_config_static_selectorELNS0_4arch9wavefront6targetE0EEEvS12_.num_named_barrier, 0
	.set _ZN7rocprim17ROCPRIM_400000_NS6detail17trampoline_kernelINS0_13select_configILj256ELj13ELNS0_17block_load_methodE3ELS4_3ELS4_3ELNS0_20block_scan_algorithmE0ELj4294967295EEENS1_25partition_config_selectorILNS1_17partition_subalgoE4EjNS0_10empty_typeEbEEZZNS1_14partition_implILS8_4ELb0ES6_15HIP_vector_typeIjLj2EENS0_17counting_iteratorIjlEEPS9_SG_NS0_5tupleIJPjSI_NS0_16reverse_iteratorISI_EEEEENSH_IJSG_SG_SG_EEES9_SI_JZNS1_25segmented_radix_sort_implINS0_14default_configELb1EPKiPiPKlPlN2at6native12_GLOBAL__N_18offset_tEEE10hipError_tPvRmT1_PNSt15iterator_traitsIS12_E10value_typeET2_T3_PNS13_IS18_E10value_typeET4_jRbjT5_S1E_jjP12ihipStream_tbEUljE_ZNSN_ISO_Lb1ESQ_SR_ST_SU_SY_EESZ_S10_S11_S12_S16_S17_S18_S1B_S1C_jS1D_jS1E_S1E_jjS1G_bEUljE0_EEESZ_S10_S11_S18_S1C_S1E_T6_T7_T9_mT8_S1G_bDpT10_ENKUlT_T0_E_clISt17integral_constantIbLb0EES1U_EEDaS1P_S1Q_EUlS1P_E_NS1_11comp_targetILNS1_3genE9ELNS1_11target_archE1100ELNS1_3gpuE3ELNS1_3repE0EEENS1_30default_config_static_selectorELNS0_4arch9wavefront6targetE0EEEvS12_.private_seg_size, 0
	.set _ZN7rocprim17ROCPRIM_400000_NS6detail17trampoline_kernelINS0_13select_configILj256ELj13ELNS0_17block_load_methodE3ELS4_3ELS4_3ELNS0_20block_scan_algorithmE0ELj4294967295EEENS1_25partition_config_selectorILNS1_17partition_subalgoE4EjNS0_10empty_typeEbEEZZNS1_14partition_implILS8_4ELb0ES6_15HIP_vector_typeIjLj2EENS0_17counting_iteratorIjlEEPS9_SG_NS0_5tupleIJPjSI_NS0_16reverse_iteratorISI_EEEEENSH_IJSG_SG_SG_EEES9_SI_JZNS1_25segmented_radix_sort_implINS0_14default_configELb1EPKiPiPKlPlN2at6native12_GLOBAL__N_18offset_tEEE10hipError_tPvRmT1_PNSt15iterator_traitsIS12_E10value_typeET2_T3_PNS13_IS18_E10value_typeET4_jRbjT5_S1E_jjP12ihipStream_tbEUljE_ZNSN_ISO_Lb1ESQ_SR_ST_SU_SY_EESZ_S10_S11_S12_S16_S17_S18_S1B_S1C_jS1D_jS1E_S1E_jjS1G_bEUljE0_EEESZ_S10_S11_S18_S1C_S1E_T6_T7_T9_mT8_S1G_bDpT10_ENKUlT_T0_E_clISt17integral_constantIbLb0EES1U_EEDaS1P_S1Q_EUlS1P_E_NS1_11comp_targetILNS1_3genE9ELNS1_11target_archE1100ELNS1_3gpuE3ELNS1_3repE0EEENS1_30default_config_static_selectorELNS0_4arch9wavefront6targetE0EEEvS12_.uses_vcc, 0
	.set _ZN7rocprim17ROCPRIM_400000_NS6detail17trampoline_kernelINS0_13select_configILj256ELj13ELNS0_17block_load_methodE3ELS4_3ELS4_3ELNS0_20block_scan_algorithmE0ELj4294967295EEENS1_25partition_config_selectorILNS1_17partition_subalgoE4EjNS0_10empty_typeEbEEZZNS1_14partition_implILS8_4ELb0ES6_15HIP_vector_typeIjLj2EENS0_17counting_iteratorIjlEEPS9_SG_NS0_5tupleIJPjSI_NS0_16reverse_iteratorISI_EEEEENSH_IJSG_SG_SG_EEES9_SI_JZNS1_25segmented_radix_sort_implINS0_14default_configELb1EPKiPiPKlPlN2at6native12_GLOBAL__N_18offset_tEEE10hipError_tPvRmT1_PNSt15iterator_traitsIS12_E10value_typeET2_T3_PNS13_IS18_E10value_typeET4_jRbjT5_S1E_jjP12ihipStream_tbEUljE_ZNSN_ISO_Lb1ESQ_SR_ST_SU_SY_EESZ_S10_S11_S12_S16_S17_S18_S1B_S1C_jS1D_jS1E_S1E_jjS1G_bEUljE0_EEESZ_S10_S11_S18_S1C_S1E_T6_T7_T9_mT8_S1G_bDpT10_ENKUlT_T0_E_clISt17integral_constantIbLb0EES1U_EEDaS1P_S1Q_EUlS1P_E_NS1_11comp_targetILNS1_3genE9ELNS1_11target_archE1100ELNS1_3gpuE3ELNS1_3repE0EEENS1_30default_config_static_selectorELNS0_4arch9wavefront6targetE0EEEvS12_.uses_flat_scratch, 0
	.set _ZN7rocprim17ROCPRIM_400000_NS6detail17trampoline_kernelINS0_13select_configILj256ELj13ELNS0_17block_load_methodE3ELS4_3ELS4_3ELNS0_20block_scan_algorithmE0ELj4294967295EEENS1_25partition_config_selectorILNS1_17partition_subalgoE4EjNS0_10empty_typeEbEEZZNS1_14partition_implILS8_4ELb0ES6_15HIP_vector_typeIjLj2EENS0_17counting_iteratorIjlEEPS9_SG_NS0_5tupleIJPjSI_NS0_16reverse_iteratorISI_EEEEENSH_IJSG_SG_SG_EEES9_SI_JZNS1_25segmented_radix_sort_implINS0_14default_configELb1EPKiPiPKlPlN2at6native12_GLOBAL__N_18offset_tEEE10hipError_tPvRmT1_PNSt15iterator_traitsIS12_E10value_typeET2_T3_PNS13_IS18_E10value_typeET4_jRbjT5_S1E_jjP12ihipStream_tbEUljE_ZNSN_ISO_Lb1ESQ_SR_ST_SU_SY_EESZ_S10_S11_S12_S16_S17_S18_S1B_S1C_jS1D_jS1E_S1E_jjS1G_bEUljE0_EEESZ_S10_S11_S18_S1C_S1E_T6_T7_T9_mT8_S1G_bDpT10_ENKUlT_T0_E_clISt17integral_constantIbLb0EES1U_EEDaS1P_S1Q_EUlS1P_E_NS1_11comp_targetILNS1_3genE9ELNS1_11target_archE1100ELNS1_3gpuE3ELNS1_3repE0EEENS1_30default_config_static_selectorELNS0_4arch9wavefront6targetE0EEEvS12_.has_dyn_sized_stack, 0
	.set _ZN7rocprim17ROCPRIM_400000_NS6detail17trampoline_kernelINS0_13select_configILj256ELj13ELNS0_17block_load_methodE3ELS4_3ELS4_3ELNS0_20block_scan_algorithmE0ELj4294967295EEENS1_25partition_config_selectorILNS1_17partition_subalgoE4EjNS0_10empty_typeEbEEZZNS1_14partition_implILS8_4ELb0ES6_15HIP_vector_typeIjLj2EENS0_17counting_iteratorIjlEEPS9_SG_NS0_5tupleIJPjSI_NS0_16reverse_iteratorISI_EEEEENSH_IJSG_SG_SG_EEES9_SI_JZNS1_25segmented_radix_sort_implINS0_14default_configELb1EPKiPiPKlPlN2at6native12_GLOBAL__N_18offset_tEEE10hipError_tPvRmT1_PNSt15iterator_traitsIS12_E10value_typeET2_T3_PNS13_IS18_E10value_typeET4_jRbjT5_S1E_jjP12ihipStream_tbEUljE_ZNSN_ISO_Lb1ESQ_SR_ST_SU_SY_EESZ_S10_S11_S12_S16_S17_S18_S1B_S1C_jS1D_jS1E_S1E_jjS1G_bEUljE0_EEESZ_S10_S11_S18_S1C_S1E_T6_T7_T9_mT8_S1G_bDpT10_ENKUlT_T0_E_clISt17integral_constantIbLb0EES1U_EEDaS1P_S1Q_EUlS1P_E_NS1_11comp_targetILNS1_3genE9ELNS1_11target_archE1100ELNS1_3gpuE3ELNS1_3repE0EEENS1_30default_config_static_selectorELNS0_4arch9wavefront6targetE0EEEvS12_.has_recursion, 0
	.set _ZN7rocprim17ROCPRIM_400000_NS6detail17trampoline_kernelINS0_13select_configILj256ELj13ELNS0_17block_load_methodE3ELS4_3ELS4_3ELNS0_20block_scan_algorithmE0ELj4294967295EEENS1_25partition_config_selectorILNS1_17partition_subalgoE4EjNS0_10empty_typeEbEEZZNS1_14partition_implILS8_4ELb0ES6_15HIP_vector_typeIjLj2EENS0_17counting_iteratorIjlEEPS9_SG_NS0_5tupleIJPjSI_NS0_16reverse_iteratorISI_EEEEENSH_IJSG_SG_SG_EEES9_SI_JZNS1_25segmented_radix_sort_implINS0_14default_configELb1EPKiPiPKlPlN2at6native12_GLOBAL__N_18offset_tEEE10hipError_tPvRmT1_PNSt15iterator_traitsIS12_E10value_typeET2_T3_PNS13_IS18_E10value_typeET4_jRbjT5_S1E_jjP12ihipStream_tbEUljE_ZNSN_ISO_Lb1ESQ_SR_ST_SU_SY_EESZ_S10_S11_S12_S16_S17_S18_S1B_S1C_jS1D_jS1E_S1E_jjS1G_bEUljE0_EEESZ_S10_S11_S18_S1C_S1E_T6_T7_T9_mT8_S1G_bDpT10_ENKUlT_T0_E_clISt17integral_constantIbLb0EES1U_EEDaS1P_S1Q_EUlS1P_E_NS1_11comp_targetILNS1_3genE9ELNS1_11target_archE1100ELNS1_3gpuE3ELNS1_3repE0EEENS1_30default_config_static_selectorELNS0_4arch9wavefront6targetE0EEEvS12_.has_indirect_call, 0
	.section	.AMDGPU.csdata,"",@progbits
; Kernel info:
; codeLenInByte = 0
; TotalNumSgprs: 0
; NumVgprs: 0
; ScratchSize: 0
; MemoryBound: 0
; FloatMode: 240
; IeeeMode: 1
; LDSByteSize: 0 bytes/workgroup (compile time only)
; SGPRBlocks: 0
; VGPRBlocks: 0
; NumSGPRsForWavesPerEU: 1
; NumVGPRsForWavesPerEU: 1
; Occupancy: 16
; WaveLimiterHint : 0
; COMPUTE_PGM_RSRC2:SCRATCH_EN: 0
; COMPUTE_PGM_RSRC2:USER_SGPR: 2
; COMPUTE_PGM_RSRC2:TRAP_HANDLER: 0
; COMPUTE_PGM_RSRC2:TGID_X_EN: 1
; COMPUTE_PGM_RSRC2:TGID_Y_EN: 0
; COMPUTE_PGM_RSRC2:TGID_Z_EN: 0
; COMPUTE_PGM_RSRC2:TIDIG_COMP_CNT: 0
	.section	.text._ZN7rocprim17ROCPRIM_400000_NS6detail17trampoline_kernelINS0_13select_configILj256ELj13ELNS0_17block_load_methodE3ELS4_3ELS4_3ELNS0_20block_scan_algorithmE0ELj4294967295EEENS1_25partition_config_selectorILNS1_17partition_subalgoE4EjNS0_10empty_typeEbEEZZNS1_14partition_implILS8_4ELb0ES6_15HIP_vector_typeIjLj2EENS0_17counting_iteratorIjlEEPS9_SG_NS0_5tupleIJPjSI_NS0_16reverse_iteratorISI_EEEEENSH_IJSG_SG_SG_EEES9_SI_JZNS1_25segmented_radix_sort_implINS0_14default_configELb1EPKiPiPKlPlN2at6native12_GLOBAL__N_18offset_tEEE10hipError_tPvRmT1_PNSt15iterator_traitsIS12_E10value_typeET2_T3_PNS13_IS18_E10value_typeET4_jRbjT5_S1E_jjP12ihipStream_tbEUljE_ZNSN_ISO_Lb1ESQ_SR_ST_SU_SY_EESZ_S10_S11_S12_S16_S17_S18_S1B_S1C_jS1D_jS1E_S1E_jjS1G_bEUljE0_EEESZ_S10_S11_S18_S1C_S1E_T6_T7_T9_mT8_S1G_bDpT10_ENKUlT_T0_E_clISt17integral_constantIbLb0EES1U_EEDaS1P_S1Q_EUlS1P_E_NS1_11comp_targetILNS1_3genE8ELNS1_11target_archE1030ELNS1_3gpuE2ELNS1_3repE0EEENS1_30default_config_static_selectorELNS0_4arch9wavefront6targetE0EEEvS12_,"axG",@progbits,_ZN7rocprim17ROCPRIM_400000_NS6detail17trampoline_kernelINS0_13select_configILj256ELj13ELNS0_17block_load_methodE3ELS4_3ELS4_3ELNS0_20block_scan_algorithmE0ELj4294967295EEENS1_25partition_config_selectorILNS1_17partition_subalgoE4EjNS0_10empty_typeEbEEZZNS1_14partition_implILS8_4ELb0ES6_15HIP_vector_typeIjLj2EENS0_17counting_iteratorIjlEEPS9_SG_NS0_5tupleIJPjSI_NS0_16reverse_iteratorISI_EEEEENSH_IJSG_SG_SG_EEES9_SI_JZNS1_25segmented_radix_sort_implINS0_14default_configELb1EPKiPiPKlPlN2at6native12_GLOBAL__N_18offset_tEEE10hipError_tPvRmT1_PNSt15iterator_traitsIS12_E10value_typeET2_T3_PNS13_IS18_E10value_typeET4_jRbjT5_S1E_jjP12ihipStream_tbEUljE_ZNSN_ISO_Lb1ESQ_SR_ST_SU_SY_EESZ_S10_S11_S12_S16_S17_S18_S1B_S1C_jS1D_jS1E_S1E_jjS1G_bEUljE0_EEESZ_S10_S11_S18_S1C_S1E_T6_T7_T9_mT8_S1G_bDpT10_ENKUlT_T0_E_clISt17integral_constantIbLb0EES1U_EEDaS1P_S1Q_EUlS1P_E_NS1_11comp_targetILNS1_3genE8ELNS1_11target_archE1030ELNS1_3gpuE2ELNS1_3repE0EEENS1_30default_config_static_selectorELNS0_4arch9wavefront6targetE0EEEvS12_,comdat
	.globl	_ZN7rocprim17ROCPRIM_400000_NS6detail17trampoline_kernelINS0_13select_configILj256ELj13ELNS0_17block_load_methodE3ELS4_3ELS4_3ELNS0_20block_scan_algorithmE0ELj4294967295EEENS1_25partition_config_selectorILNS1_17partition_subalgoE4EjNS0_10empty_typeEbEEZZNS1_14partition_implILS8_4ELb0ES6_15HIP_vector_typeIjLj2EENS0_17counting_iteratorIjlEEPS9_SG_NS0_5tupleIJPjSI_NS0_16reverse_iteratorISI_EEEEENSH_IJSG_SG_SG_EEES9_SI_JZNS1_25segmented_radix_sort_implINS0_14default_configELb1EPKiPiPKlPlN2at6native12_GLOBAL__N_18offset_tEEE10hipError_tPvRmT1_PNSt15iterator_traitsIS12_E10value_typeET2_T3_PNS13_IS18_E10value_typeET4_jRbjT5_S1E_jjP12ihipStream_tbEUljE_ZNSN_ISO_Lb1ESQ_SR_ST_SU_SY_EESZ_S10_S11_S12_S16_S17_S18_S1B_S1C_jS1D_jS1E_S1E_jjS1G_bEUljE0_EEESZ_S10_S11_S18_S1C_S1E_T6_T7_T9_mT8_S1G_bDpT10_ENKUlT_T0_E_clISt17integral_constantIbLb0EES1U_EEDaS1P_S1Q_EUlS1P_E_NS1_11comp_targetILNS1_3genE8ELNS1_11target_archE1030ELNS1_3gpuE2ELNS1_3repE0EEENS1_30default_config_static_selectorELNS0_4arch9wavefront6targetE0EEEvS12_ ; -- Begin function _ZN7rocprim17ROCPRIM_400000_NS6detail17trampoline_kernelINS0_13select_configILj256ELj13ELNS0_17block_load_methodE3ELS4_3ELS4_3ELNS0_20block_scan_algorithmE0ELj4294967295EEENS1_25partition_config_selectorILNS1_17partition_subalgoE4EjNS0_10empty_typeEbEEZZNS1_14partition_implILS8_4ELb0ES6_15HIP_vector_typeIjLj2EENS0_17counting_iteratorIjlEEPS9_SG_NS0_5tupleIJPjSI_NS0_16reverse_iteratorISI_EEEEENSH_IJSG_SG_SG_EEES9_SI_JZNS1_25segmented_radix_sort_implINS0_14default_configELb1EPKiPiPKlPlN2at6native12_GLOBAL__N_18offset_tEEE10hipError_tPvRmT1_PNSt15iterator_traitsIS12_E10value_typeET2_T3_PNS13_IS18_E10value_typeET4_jRbjT5_S1E_jjP12ihipStream_tbEUljE_ZNSN_ISO_Lb1ESQ_SR_ST_SU_SY_EESZ_S10_S11_S12_S16_S17_S18_S1B_S1C_jS1D_jS1E_S1E_jjS1G_bEUljE0_EEESZ_S10_S11_S18_S1C_S1E_T6_T7_T9_mT8_S1G_bDpT10_ENKUlT_T0_E_clISt17integral_constantIbLb0EES1U_EEDaS1P_S1Q_EUlS1P_E_NS1_11comp_targetILNS1_3genE8ELNS1_11target_archE1030ELNS1_3gpuE2ELNS1_3repE0EEENS1_30default_config_static_selectorELNS0_4arch9wavefront6targetE0EEEvS12_
	.p2align	8
	.type	_ZN7rocprim17ROCPRIM_400000_NS6detail17trampoline_kernelINS0_13select_configILj256ELj13ELNS0_17block_load_methodE3ELS4_3ELS4_3ELNS0_20block_scan_algorithmE0ELj4294967295EEENS1_25partition_config_selectorILNS1_17partition_subalgoE4EjNS0_10empty_typeEbEEZZNS1_14partition_implILS8_4ELb0ES6_15HIP_vector_typeIjLj2EENS0_17counting_iteratorIjlEEPS9_SG_NS0_5tupleIJPjSI_NS0_16reverse_iteratorISI_EEEEENSH_IJSG_SG_SG_EEES9_SI_JZNS1_25segmented_radix_sort_implINS0_14default_configELb1EPKiPiPKlPlN2at6native12_GLOBAL__N_18offset_tEEE10hipError_tPvRmT1_PNSt15iterator_traitsIS12_E10value_typeET2_T3_PNS13_IS18_E10value_typeET4_jRbjT5_S1E_jjP12ihipStream_tbEUljE_ZNSN_ISO_Lb1ESQ_SR_ST_SU_SY_EESZ_S10_S11_S12_S16_S17_S18_S1B_S1C_jS1D_jS1E_S1E_jjS1G_bEUljE0_EEESZ_S10_S11_S18_S1C_S1E_T6_T7_T9_mT8_S1G_bDpT10_ENKUlT_T0_E_clISt17integral_constantIbLb0EES1U_EEDaS1P_S1Q_EUlS1P_E_NS1_11comp_targetILNS1_3genE8ELNS1_11target_archE1030ELNS1_3gpuE2ELNS1_3repE0EEENS1_30default_config_static_selectorELNS0_4arch9wavefront6targetE0EEEvS12_,@function
_ZN7rocprim17ROCPRIM_400000_NS6detail17trampoline_kernelINS0_13select_configILj256ELj13ELNS0_17block_load_methodE3ELS4_3ELS4_3ELNS0_20block_scan_algorithmE0ELj4294967295EEENS1_25partition_config_selectorILNS1_17partition_subalgoE4EjNS0_10empty_typeEbEEZZNS1_14partition_implILS8_4ELb0ES6_15HIP_vector_typeIjLj2EENS0_17counting_iteratorIjlEEPS9_SG_NS0_5tupleIJPjSI_NS0_16reverse_iteratorISI_EEEEENSH_IJSG_SG_SG_EEES9_SI_JZNS1_25segmented_radix_sort_implINS0_14default_configELb1EPKiPiPKlPlN2at6native12_GLOBAL__N_18offset_tEEE10hipError_tPvRmT1_PNSt15iterator_traitsIS12_E10value_typeET2_T3_PNS13_IS18_E10value_typeET4_jRbjT5_S1E_jjP12ihipStream_tbEUljE_ZNSN_ISO_Lb1ESQ_SR_ST_SU_SY_EESZ_S10_S11_S12_S16_S17_S18_S1B_S1C_jS1D_jS1E_S1E_jjS1G_bEUljE0_EEESZ_S10_S11_S18_S1C_S1E_T6_T7_T9_mT8_S1G_bDpT10_ENKUlT_T0_E_clISt17integral_constantIbLb0EES1U_EEDaS1P_S1Q_EUlS1P_E_NS1_11comp_targetILNS1_3genE8ELNS1_11target_archE1030ELNS1_3gpuE2ELNS1_3repE0EEENS1_30default_config_static_selectorELNS0_4arch9wavefront6targetE0EEEvS12_: ; @_ZN7rocprim17ROCPRIM_400000_NS6detail17trampoline_kernelINS0_13select_configILj256ELj13ELNS0_17block_load_methodE3ELS4_3ELS4_3ELNS0_20block_scan_algorithmE0ELj4294967295EEENS1_25partition_config_selectorILNS1_17partition_subalgoE4EjNS0_10empty_typeEbEEZZNS1_14partition_implILS8_4ELb0ES6_15HIP_vector_typeIjLj2EENS0_17counting_iteratorIjlEEPS9_SG_NS0_5tupleIJPjSI_NS0_16reverse_iteratorISI_EEEEENSH_IJSG_SG_SG_EEES9_SI_JZNS1_25segmented_radix_sort_implINS0_14default_configELb1EPKiPiPKlPlN2at6native12_GLOBAL__N_18offset_tEEE10hipError_tPvRmT1_PNSt15iterator_traitsIS12_E10value_typeET2_T3_PNS13_IS18_E10value_typeET4_jRbjT5_S1E_jjP12ihipStream_tbEUljE_ZNSN_ISO_Lb1ESQ_SR_ST_SU_SY_EESZ_S10_S11_S12_S16_S17_S18_S1B_S1C_jS1D_jS1E_S1E_jjS1G_bEUljE0_EEESZ_S10_S11_S18_S1C_S1E_T6_T7_T9_mT8_S1G_bDpT10_ENKUlT_T0_E_clISt17integral_constantIbLb0EES1U_EEDaS1P_S1Q_EUlS1P_E_NS1_11comp_targetILNS1_3genE8ELNS1_11target_archE1030ELNS1_3gpuE2ELNS1_3repE0EEENS1_30default_config_static_selectorELNS0_4arch9wavefront6targetE0EEEvS12_
; %bb.0:
	.section	.rodata,"a",@progbits
	.p2align	6, 0x0
	.amdhsa_kernel _ZN7rocprim17ROCPRIM_400000_NS6detail17trampoline_kernelINS0_13select_configILj256ELj13ELNS0_17block_load_methodE3ELS4_3ELS4_3ELNS0_20block_scan_algorithmE0ELj4294967295EEENS1_25partition_config_selectorILNS1_17partition_subalgoE4EjNS0_10empty_typeEbEEZZNS1_14partition_implILS8_4ELb0ES6_15HIP_vector_typeIjLj2EENS0_17counting_iteratorIjlEEPS9_SG_NS0_5tupleIJPjSI_NS0_16reverse_iteratorISI_EEEEENSH_IJSG_SG_SG_EEES9_SI_JZNS1_25segmented_radix_sort_implINS0_14default_configELb1EPKiPiPKlPlN2at6native12_GLOBAL__N_18offset_tEEE10hipError_tPvRmT1_PNSt15iterator_traitsIS12_E10value_typeET2_T3_PNS13_IS18_E10value_typeET4_jRbjT5_S1E_jjP12ihipStream_tbEUljE_ZNSN_ISO_Lb1ESQ_SR_ST_SU_SY_EESZ_S10_S11_S12_S16_S17_S18_S1B_S1C_jS1D_jS1E_S1E_jjS1G_bEUljE0_EEESZ_S10_S11_S18_S1C_S1E_T6_T7_T9_mT8_S1G_bDpT10_ENKUlT_T0_E_clISt17integral_constantIbLb0EES1U_EEDaS1P_S1Q_EUlS1P_E_NS1_11comp_targetILNS1_3genE8ELNS1_11target_archE1030ELNS1_3gpuE2ELNS1_3repE0EEENS1_30default_config_static_selectorELNS0_4arch9wavefront6targetE0EEEvS12_
		.amdhsa_group_segment_fixed_size 0
		.amdhsa_private_segment_fixed_size 0
		.amdhsa_kernarg_size 176
		.amdhsa_user_sgpr_count 2
		.amdhsa_user_sgpr_dispatch_ptr 0
		.amdhsa_user_sgpr_queue_ptr 0
		.amdhsa_user_sgpr_kernarg_segment_ptr 1
		.amdhsa_user_sgpr_dispatch_id 0
		.amdhsa_user_sgpr_private_segment_size 0
		.amdhsa_wavefront_size32 1
		.amdhsa_uses_dynamic_stack 0
		.amdhsa_enable_private_segment 0
		.amdhsa_system_sgpr_workgroup_id_x 1
		.amdhsa_system_sgpr_workgroup_id_y 0
		.amdhsa_system_sgpr_workgroup_id_z 0
		.amdhsa_system_sgpr_workgroup_info 0
		.amdhsa_system_vgpr_workitem_id 0
		.amdhsa_next_free_vgpr 1
		.amdhsa_next_free_sgpr 1
		.amdhsa_reserve_vcc 0
		.amdhsa_float_round_mode_32 0
		.amdhsa_float_round_mode_16_64 0
		.amdhsa_float_denorm_mode_32 3
		.amdhsa_float_denorm_mode_16_64 3
		.amdhsa_fp16_overflow 0
		.amdhsa_workgroup_processor_mode 1
		.amdhsa_memory_ordered 1
		.amdhsa_forward_progress 1
		.amdhsa_inst_pref_size 0
		.amdhsa_round_robin_scheduling 0
		.amdhsa_exception_fp_ieee_invalid_op 0
		.amdhsa_exception_fp_denorm_src 0
		.amdhsa_exception_fp_ieee_div_zero 0
		.amdhsa_exception_fp_ieee_overflow 0
		.amdhsa_exception_fp_ieee_underflow 0
		.amdhsa_exception_fp_ieee_inexact 0
		.amdhsa_exception_int_div_zero 0
	.end_amdhsa_kernel
	.section	.text._ZN7rocprim17ROCPRIM_400000_NS6detail17trampoline_kernelINS0_13select_configILj256ELj13ELNS0_17block_load_methodE3ELS4_3ELS4_3ELNS0_20block_scan_algorithmE0ELj4294967295EEENS1_25partition_config_selectorILNS1_17partition_subalgoE4EjNS0_10empty_typeEbEEZZNS1_14partition_implILS8_4ELb0ES6_15HIP_vector_typeIjLj2EENS0_17counting_iteratorIjlEEPS9_SG_NS0_5tupleIJPjSI_NS0_16reverse_iteratorISI_EEEEENSH_IJSG_SG_SG_EEES9_SI_JZNS1_25segmented_radix_sort_implINS0_14default_configELb1EPKiPiPKlPlN2at6native12_GLOBAL__N_18offset_tEEE10hipError_tPvRmT1_PNSt15iterator_traitsIS12_E10value_typeET2_T3_PNS13_IS18_E10value_typeET4_jRbjT5_S1E_jjP12ihipStream_tbEUljE_ZNSN_ISO_Lb1ESQ_SR_ST_SU_SY_EESZ_S10_S11_S12_S16_S17_S18_S1B_S1C_jS1D_jS1E_S1E_jjS1G_bEUljE0_EEESZ_S10_S11_S18_S1C_S1E_T6_T7_T9_mT8_S1G_bDpT10_ENKUlT_T0_E_clISt17integral_constantIbLb0EES1U_EEDaS1P_S1Q_EUlS1P_E_NS1_11comp_targetILNS1_3genE8ELNS1_11target_archE1030ELNS1_3gpuE2ELNS1_3repE0EEENS1_30default_config_static_selectorELNS0_4arch9wavefront6targetE0EEEvS12_,"axG",@progbits,_ZN7rocprim17ROCPRIM_400000_NS6detail17trampoline_kernelINS0_13select_configILj256ELj13ELNS0_17block_load_methodE3ELS4_3ELS4_3ELNS0_20block_scan_algorithmE0ELj4294967295EEENS1_25partition_config_selectorILNS1_17partition_subalgoE4EjNS0_10empty_typeEbEEZZNS1_14partition_implILS8_4ELb0ES6_15HIP_vector_typeIjLj2EENS0_17counting_iteratorIjlEEPS9_SG_NS0_5tupleIJPjSI_NS0_16reverse_iteratorISI_EEEEENSH_IJSG_SG_SG_EEES9_SI_JZNS1_25segmented_radix_sort_implINS0_14default_configELb1EPKiPiPKlPlN2at6native12_GLOBAL__N_18offset_tEEE10hipError_tPvRmT1_PNSt15iterator_traitsIS12_E10value_typeET2_T3_PNS13_IS18_E10value_typeET4_jRbjT5_S1E_jjP12ihipStream_tbEUljE_ZNSN_ISO_Lb1ESQ_SR_ST_SU_SY_EESZ_S10_S11_S12_S16_S17_S18_S1B_S1C_jS1D_jS1E_S1E_jjS1G_bEUljE0_EEESZ_S10_S11_S18_S1C_S1E_T6_T7_T9_mT8_S1G_bDpT10_ENKUlT_T0_E_clISt17integral_constantIbLb0EES1U_EEDaS1P_S1Q_EUlS1P_E_NS1_11comp_targetILNS1_3genE8ELNS1_11target_archE1030ELNS1_3gpuE2ELNS1_3repE0EEENS1_30default_config_static_selectorELNS0_4arch9wavefront6targetE0EEEvS12_,comdat
.Lfunc_end440:
	.size	_ZN7rocprim17ROCPRIM_400000_NS6detail17trampoline_kernelINS0_13select_configILj256ELj13ELNS0_17block_load_methodE3ELS4_3ELS4_3ELNS0_20block_scan_algorithmE0ELj4294967295EEENS1_25partition_config_selectorILNS1_17partition_subalgoE4EjNS0_10empty_typeEbEEZZNS1_14partition_implILS8_4ELb0ES6_15HIP_vector_typeIjLj2EENS0_17counting_iteratorIjlEEPS9_SG_NS0_5tupleIJPjSI_NS0_16reverse_iteratorISI_EEEEENSH_IJSG_SG_SG_EEES9_SI_JZNS1_25segmented_radix_sort_implINS0_14default_configELb1EPKiPiPKlPlN2at6native12_GLOBAL__N_18offset_tEEE10hipError_tPvRmT1_PNSt15iterator_traitsIS12_E10value_typeET2_T3_PNS13_IS18_E10value_typeET4_jRbjT5_S1E_jjP12ihipStream_tbEUljE_ZNSN_ISO_Lb1ESQ_SR_ST_SU_SY_EESZ_S10_S11_S12_S16_S17_S18_S1B_S1C_jS1D_jS1E_S1E_jjS1G_bEUljE0_EEESZ_S10_S11_S18_S1C_S1E_T6_T7_T9_mT8_S1G_bDpT10_ENKUlT_T0_E_clISt17integral_constantIbLb0EES1U_EEDaS1P_S1Q_EUlS1P_E_NS1_11comp_targetILNS1_3genE8ELNS1_11target_archE1030ELNS1_3gpuE2ELNS1_3repE0EEENS1_30default_config_static_selectorELNS0_4arch9wavefront6targetE0EEEvS12_, .Lfunc_end440-_ZN7rocprim17ROCPRIM_400000_NS6detail17trampoline_kernelINS0_13select_configILj256ELj13ELNS0_17block_load_methodE3ELS4_3ELS4_3ELNS0_20block_scan_algorithmE0ELj4294967295EEENS1_25partition_config_selectorILNS1_17partition_subalgoE4EjNS0_10empty_typeEbEEZZNS1_14partition_implILS8_4ELb0ES6_15HIP_vector_typeIjLj2EENS0_17counting_iteratorIjlEEPS9_SG_NS0_5tupleIJPjSI_NS0_16reverse_iteratorISI_EEEEENSH_IJSG_SG_SG_EEES9_SI_JZNS1_25segmented_radix_sort_implINS0_14default_configELb1EPKiPiPKlPlN2at6native12_GLOBAL__N_18offset_tEEE10hipError_tPvRmT1_PNSt15iterator_traitsIS12_E10value_typeET2_T3_PNS13_IS18_E10value_typeET4_jRbjT5_S1E_jjP12ihipStream_tbEUljE_ZNSN_ISO_Lb1ESQ_SR_ST_SU_SY_EESZ_S10_S11_S12_S16_S17_S18_S1B_S1C_jS1D_jS1E_S1E_jjS1G_bEUljE0_EEESZ_S10_S11_S18_S1C_S1E_T6_T7_T9_mT8_S1G_bDpT10_ENKUlT_T0_E_clISt17integral_constantIbLb0EES1U_EEDaS1P_S1Q_EUlS1P_E_NS1_11comp_targetILNS1_3genE8ELNS1_11target_archE1030ELNS1_3gpuE2ELNS1_3repE0EEENS1_30default_config_static_selectorELNS0_4arch9wavefront6targetE0EEEvS12_
                                        ; -- End function
	.set _ZN7rocprim17ROCPRIM_400000_NS6detail17trampoline_kernelINS0_13select_configILj256ELj13ELNS0_17block_load_methodE3ELS4_3ELS4_3ELNS0_20block_scan_algorithmE0ELj4294967295EEENS1_25partition_config_selectorILNS1_17partition_subalgoE4EjNS0_10empty_typeEbEEZZNS1_14partition_implILS8_4ELb0ES6_15HIP_vector_typeIjLj2EENS0_17counting_iteratorIjlEEPS9_SG_NS0_5tupleIJPjSI_NS0_16reverse_iteratorISI_EEEEENSH_IJSG_SG_SG_EEES9_SI_JZNS1_25segmented_radix_sort_implINS0_14default_configELb1EPKiPiPKlPlN2at6native12_GLOBAL__N_18offset_tEEE10hipError_tPvRmT1_PNSt15iterator_traitsIS12_E10value_typeET2_T3_PNS13_IS18_E10value_typeET4_jRbjT5_S1E_jjP12ihipStream_tbEUljE_ZNSN_ISO_Lb1ESQ_SR_ST_SU_SY_EESZ_S10_S11_S12_S16_S17_S18_S1B_S1C_jS1D_jS1E_S1E_jjS1G_bEUljE0_EEESZ_S10_S11_S18_S1C_S1E_T6_T7_T9_mT8_S1G_bDpT10_ENKUlT_T0_E_clISt17integral_constantIbLb0EES1U_EEDaS1P_S1Q_EUlS1P_E_NS1_11comp_targetILNS1_3genE8ELNS1_11target_archE1030ELNS1_3gpuE2ELNS1_3repE0EEENS1_30default_config_static_selectorELNS0_4arch9wavefront6targetE0EEEvS12_.num_vgpr, 0
	.set _ZN7rocprim17ROCPRIM_400000_NS6detail17trampoline_kernelINS0_13select_configILj256ELj13ELNS0_17block_load_methodE3ELS4_3ELS4_3ELNS0_20block_scan_algorithmE0ELj4294967295EEENS1_25partition_config_selectorILNS1_17partition_subalgoE4EjNS0_10empty_typeEbEEZZNS1_14partition_implILS8_4ELb0ES6_15HIP_vector_typeIjLj2EENS0_17counting_iteratorIjlEEPS9_SG_NS0_5tupleIJPjSI_NS0_16reverse_iteratorISI_EEEEENSH_IJSG_SG_SG_EEES9_SI_JZNS1_25segmented_radix_sort_implINS0_14default_configELb1EPKiPiPKlPlN2at6native12_GLOBAL__N_18offset_tEEE10hipError_tPvRmT1_PNSt15iterator_traitsIS12_E10value_typeET2_T3_PNS13_IS18_E10value_typeET4_jRbjT5_S1E_jjP12ihipStream_tbEUljE_ZNSN_ISO_Lb1ESQ_SR_ST_SU_SY_EESZ_S10_S11_S12_S16_S17_S18_S1B_S1C_jS1D_jS1E_S1E_jjS1G_bEUljE0_EEESZ_S10_S11_S18_S1C_S1E_T6_T7_T9_mT8_S1G_bDpT10_ENKUlT_T0_E_clISt17integral_constantIbLb0EES1U_EEDaS1P_S1Q_EUlS1P_E_NS1_11comp_targetILNS1_3genE8ELNS1_11target_archE1030ELNS1_3gpuE2ELNS1_3repE0EEENS1_30default_config_static_selectorELNS0_4arch9wavefront6targetE0EEEvS12_.num_agpr, 0
	.set _ZN7rocprim17ROCPRIM_400000_NS6detail17trampoline_kernelINS0_13select_configILj256ELj13ELNS0_17block_load_methodE3ELS4_3ELS4_3ELNS0_20block_scan_algorithmE0ELj4294967295EEENS1_25partition_config_selectorILNS1_17partition_subalgoE4EjNS0_10empty_typeEbEEZZNS1_14partition_implILS8_4ELb0ES6_15HIP_vector_typeIjLj2EENS0_17counting_iteratorIjlEEPS9_SG_NS0_5tupleIJPjSI_NS0_16reverse_iteratorISI_EEEEENSH_IJSG_SG_SG_EEES9_SI_JZNS1_25segmented_radix_sort_implINS0_14default_configELb1EPKiPiPKlPlN2at6native12_GLOBAL__N_18offset_tEEE10hipError_tPvRmT1_PNSt15iterator_traitsIS12_E10value_typeET2_T3_PNS13_IS18_E10value_typeET4_jRbjT5_S1E_jjP12ihipStream_tbEUljE_ZNSN_ISO_Lb1ESQ_SR_ST_SU_SY_EESZ_S10_S11_S12_S16_S17_S18_S1B_S1C_jS1D_jS1E_S1E_jjS1G_bEUljE0_EEESZ_S10_S11_S18_S1C_S1E_T6_T7_T9_mT8_S1G_bDpT10_ENKUlT_T0_E_clISt17integral_constantIbLb0EES1U_EEDaS1P_S1Q_EUlS1P_E_NS1_11comp_targetILNS1_3genE8ELNS1_11target_archE1030ELNS1_3gpuE2ELNS1_3repE0EEENS1_30default_config_static_selectorELNS0_4arch9wavefront6targetE0EEEvS12_.numbered_sgpr, 0
	.set _ZN7rocprim17ROCPRIM_400000_NS6detail17trampoline_kernelINS0_13select_configILj256ELj13ELNS0_17block_load_methodE3ELS4_3ELS4_3ELNS0_20block_scan_algorithmE0ELj4294967295EEENS1_25partition_config_selectorILNS1_17partition_subalgoE4EjNS0_10empty_typeEbEEZZNS1_14partition_implILS8_4ELb0ES6_15HIP_vector_typeIjLj2EENS0_17counting_iteratorIjlEEPS9_SG_NS0_5tupleIJPjSI_NS0_16reverse_iteratorISI_EEEEENSH_IJSG_SG_SG_EEES9_SI_JZNS1_25segmented_radix_sort_implINS0_14default_configELb1EPKiPiPKlPlN2at6native12_GLOBAL__N_18offset_tEEE10hipError_tPvRmT1_PNSt15iterator_traitsIS12_E10value_typeET2_T3_PNS13_IS18_E10value_typeET4_jRbjT5_S1E_jjP12ihipStream_tbEUljE_ZNSN_ISO_Lb1ESQ_SR_ST_SU_SY_EESZ_S10_S11_S12_S16_S17_S18_S1B_S1C_jS1D_jS1E_S1E_jjS1G_bEUljE0_EEESZ_S10_S11_S18_S1C_S1E_T6_T7_T9_mT8_S1G_bDpT10_ENKUlT_T0_E_clISt17integral_constantIbLb0EES1U_EEDaS1P_S1Q_EUlS1P_E_NS1_11comp_targetILNS1_3genE8ELNS1_11target_archE1030ELNS1_3gpuE2ELNS1_3repE0EEENS1_30default_config_static_selectorELNS0_4arch9wavefront6targetE0EEEvS12_.num_named_barrier, 0
	.set _ZN7rocprim17ROCPRIM_400000_NS6detail17trampoline_kernelINS0_13select_configILj256ELj13ELNS0_17block_load_methodE3ELS4_3ELS4_3ELNS0_20block_scan_algorithmE0ELj4294967295EEENS1_25partition_config_selectorILNS1_17partition_subalgoE4EjNS0_10empty_typeEbEEZZNS1_14partition_implILS8_4ELb0ES6_15HIP_vector_typeIjLj2EENS0_17counting_iteratorIjlEEPS9_SG_NS0_5tupleIJPjSI_NS0_16reverse_iteratorISI_EEEEENSH_IJSG_SG_SG_EEES9_SI_JZNS1_25segmented_radix_sort_implINS0_14default_configELb1EPKiPiPKlPlN2at6native12_GLOBAL__N_18offset_tEEE10hipError_tPvRmT1_PNSt15iterator_traitsIS12_E10value_typeET2_T3_PNS13_IS18_E10value_typeET4_jRbjT5_S1E_jjP12ihipStream_tbEUljE_ZNSN_ISO_Lb1ESQ_SR_ST_SU_SY_EESZ_S10_S11_S12_S16_S17_S18_S1B_S1C_jS1D_jS1E_S1E_jjS1G_bEUljE0_EEESZ_S10_S11_S18_S1C_S1E_T6_T7_T9_mT8_S1G_bDpT10_ENKUlT_T0_E_clISt17integral_constantIbLb0EES1U_EEDaS1P_S1Q_EUlS1P_E_NS1_11comp_targetILNS1_3genE8ELNS1_11target_archE1030ELNS1_3gpuE2ELNS1_3repE0EEENS1_30default_config_static_selectorELNS0_4arch9wavefront6targetE0EEEvS12_.private_seg_size, 0
	.set _ZN7rocprim17ROCPRIM_400000_NS6detail17trampoline_kernelINS0_13select_configILj256ELj13ELNS0_17block_load_methodE3ELS4_3ELS4_3ELNS0_20block_scan_algorithmE0ELj4294967295EEENS1_25partition_config_selectorILNS1_17partition_subalgoE4EjNS0_10empty_typeEbEEZZNS1_14partition_implILS8_4ELb0ES6_15HIP_vector_typeIjLj2EENS0_17counting_iteratorIjlEEPS9_SG_NS0_5tupleIJPjSI_NS0_16reverse_iteratorISI_EEEEENSH_IJSG_SG_SG_EEES9_SI_JZNS1_25segmented_radix_sort_implINS0_14default_configELb1EPKiPiPKlPlN2at6native12_GLOBAL__N_18offset_tEEE10hipError_tPvRmT1_PNSt15iterator_traitsIS12_E10value_typeET2_T3_PNS13_IS18_E10value_typeET4_jRbjT5_S1E_jjP12ihipStream_tbEUljE_ZNSN_ISO_Lb1ESQ_SR_ST_SU_SY_EESZ_S10_S11_S12_S16_S17_S18_S1B_S1C_jS1D_jS1E_S1E_jjS1G_bEUljE0_EEESZ_S10_S11_S18_S1C_S1E_T6_T7_T9_mT8_S1G_bDpT10_ENKUlT_T0_E_clISt17integral_constantIbLb0EES1U_EEDaS1P_S1Q_EUlS1P_E_NS1_11comp_targetILNS1_3genE8ELNS1_11target_archE1030ELNS1_3gpuE2ELNS1_3repE0EEENS1_30default_config_static_selectorELNS0_4arch9wavefront6targetE0EEEvS12_.uses_vcc, 0
	.set _ZN7rocprim17ROCPRIM_400000_NS6detail17trampoline_kernelINS0_13select_configILj256ELj13ELNS0_17block_load_methodE3ELS4_3ELS4_3ELNS0_20block_scan_algorithmE0ELj4294967295EEENS1_25partition_config_selectorILNS1_17partition_subalgoE4EjNS0_10empty_typeEbEEZZNS1_14partition_implILS8_4ELb0ES6_15HIP_vector_typeIjLj2EENS0_17counting_iteratorIjlEEPS9_SG_NS0_5tupleIJPjSI_NS0_16reverse_iteratorISI_EEEEENSH_IJSG_SG_SG_EEES9_SI_JZNS1_25segmented_radix_sort_implINS0_14default_configELb1EPKiPiPKlPlN2at6native12_GLOBAL__N_18offset_tEEE10hipError_tPvRmT1_PNSt15iterator_traitsIS12_E10value_typeET2_T3_PNS13_IS18_E10value_typeET4_jRbjT5_S1E_jjP12ihipStream_tbEUljE_ZNSN_ISO_Lb1ESQ_SR_ST_SU_SY_EESZ_S10_S11_S12_S16_S17_S18_S1B_S1C_jS1D_jS1E_S1E_jjS1G_bEUljE0_EEESZ_S10_S11_S18_S1C_S1E_T6_T7_T9_mT8_S1G_bDpT10_ENKUlT_T0_E_clISt17integral_constantIbLb0EES1U_EEDaS1P_S1Q_EUlS1P_E_NS1_11comp_targetILNS1_3genE8ELNS1_11target_archE1030ELNS1_3gpuE2ELNS1_3repE0EEENS1_30default_config_static_selectorELNS0_4arch9wavefront6targetE0EEEvS12_.uses_flat_scratch, 0
	.set _ZN7rocprim17ROCPRIM_400000_NS6detail17trampoline_kernelINS0_13select_configILj256ELj13ELNS0_17block_load_methodE3ELS4_3ELS4_3ELNS0_20block_scan_algorithmE0ELj4294967295EEENS1_25partition_config_selectorILNS1_17partition_subalgoE4EjNS0_10empty_typeEbEEZZNS1_14partition_implILS8_4ELb0ES6_15HIP_vector_typeIjLj2EENS0_17counting_iteratorIjlEEPS9_SG_NS0_5tupleIJPjSI_NS0_16reverse_iteratorISI_EEEEENSH_IJSG_SG_SG_EEES9_SI_JZNS1_25segmented_radix_sort_implINS0_14default_configELb1EPKiPiPKlPlN2at6native12_GLOBAL__N_18offset_tEEE10hipError_tPvRmT1_PNSt15iterator_traitsIS12_E10value_typeET2_T3_PNS13_IS18_E10value_typeET4_jRbjT5_S1E_jjP12ihipStream_tbEUljE_ZNSN_ISO_Lb1ESQ_SR_ST_SU_SY_EESZ_S10_S11_S12_S16_S17_S18_S1B_S1C_jS1D_jS1E_S1E_jjS1G_bEUljE0_EEESZ_S10_S11_S18_S1C_S1E_T6_T7_T9_mT8_S1G_bDpT10_ENKUlT_T0_E_clISt17integral_constantIbLb0EES1U_EEDaS1P_S1Q_EUlS1P_E_NS1_11comp_targetILNS1_3genE8ELNS1_11target_archE1030ELNS1_3gpuE2ELNS1_3repE0EEENS1_30default_config_static_selectorELNS0_4arch9wavefront6targetE0EEEvS12_.has_dyn_sized_stack, 0
	.set _ZN7rocprim17ROCPRIM_400000_NS6detail17trampoline_kernelINS0_13select_configILj256ELj13ELNS0_17block_load_methodE3ELS4_3ELS4_3ELNS0_20block_scan_algorithmE0ELj4294967295EEENS1_25partition_config_selectorILNS1_17partition_subalgoE4EjNS0_10empty_typeEbEEZZNS1_14partition_implILS8_4ELb0ES6_15HIP_vector_typeIjLj2EENS0_17counting_iteratorIjlEEPS9_SG_NS0_5tupleIJPjSI_NS0_16reverse_iteratorISI_EEEEENSH_IJSG_SG_SG_EEES9_SI_JZNS1_25segmented_radix_sort_implINS0_14default_configELb1EPKiPiPKlPlN2at6native12_GLOBAL__N_18offset_tEEE10hipError_tPvRmT1_PNSt15iterator_traitsIS12_E10value_typeET2_T3_PNS13_IS18_E10value_typeET4_jRbjT5_S1E_jjP12ihipStream_tbEUljE_ZNSN_ISO_Lb1ESQ_SR_ST_SU_SY_EESZ_S10_S11_S12_S16_S17_S18_S1B_S1C_jS1D_jS1E_S1E_jjS1G_bEUljE0_EEESZ_S10_S11_S18_S1C_S1E_T6_T7_T9_mT8_S1G_bDpT10_ENKUlT_T0_E_clISt17integral_constantIbLb0EES1U_EEDaS1P_S1Q_EUlS1P_E_NS1_11comp_targetILNS1_3genE8ELNS1_11target_archE1030ELNS1_3gpuE2ELNS1_3repE0EEENS1_30default_config_static_selectorELNS0_4arch9wavefront6targetE0EEEvS12_.has_recursion, 0
	.set _ZN7rocprim17ROCPRIM_400000_NS6detail17trampoline_kernelINS0_13select_configILj256ELj13ELNS0_17block_load_methodE3ELS4_3ELS4_3ELNS0_20block_scan_algorithmE0ELj4294967295EEENS1_25partition_config_selectorILNS1_17partition_subalgoE4EjNS0_10empty_typeEbEEZZNS1_14partition_implILS8_4ELb0ES6_15HIP_vector_typeIjLj2EENS0_17counting_iteratorIjlEEPS9_SG_NS0_5tupleIJPjSI_NS0_16reverse_iteratorISI_EEEEENSH_IJSG_SG_SG_EEES9_SI_JZNS1_25segmented_radix_sort_implINS0_14default_configELb1EPKiPiPKlPlN2at6native12_GLOBAL__N_18offset_tEEE10hipError_tPvRmT1_PNSt15iterator_traitsIS12_E10value_typeET2_T3_PNS13_IS18_E10value_typeET4_jRbjT5_S1E_jjP12ihipStream_tbEUljE_ZNSN_ISO_Lb1ESQ_SR_ST_SU_SY_EESZ_S10_S11_S12_S16_S17_S18_S1B_S1C_jS1D_jS1E_S1E_jjS1G_bEUljE0_EEESZ_S10_S11_S18_S1C_S1E_T6_T7_T9_mT8_S1G_bDpT10_ENKUlT_T0_E_clISt17integral_constantIbLb0EES1U_EEDaS1P_S1Q_EUlS1P_E_NS1_11comp_targetILNS1_3genE8ELNS1_11target_archE1030ELNS1_3gpuE2ELNS1_3repE0EEENS1_30default_config_static_selectorELNS0_4arch9wavefront6targetE0EEEvS12_.has_indirect_call, 0
	.section	.AMDGPU.csdata,"",@progbits
; Kernel info:
; codeLenInByte = 0
; TotalNumSgprs: 0
; NumVgprs: 0
; ScratchSize: 0
; MemoryBound: 0
; FloatMode: 240
; IeeeMode: 1
; LDSByteSize: 0 bytes/workgroup (compile time only)
; SGPRBlocks: 0
; VGPRBlocks: 0
; NumSGPRsForWavesPerEU: 1
; NumVGPRsForWavesPerEU: 1
; Occupancy: 16
; WaveLimiterHint : 0
; COMPUTE_PGM_RSRC2:SCRATCH_EN: 0
; COMPUTE_PGM_RSRC2:USER_SGPR: 2
; COMPUTE_PGM_RSRC2:TRAP_HANDLER: 0
; COMPUTE_PGM_RSRC2:TGID_X_EN: 1
; COMPUTE_PGM_RSRC2:TGID_Y_EN: 0
; COMPUTE_PGM_RSRC2:TGID_Z_EN: 0
; COMPUTE_PGM_RSRC2:TIDIG_COMP_CNT: 0
	.section	.text._ZN7rocprim17ROCPRIM_400000_NS6detail17trampoline_kernelINS0_13select_configILj256ELj13ELNS0_17block_load_methodE3ELS4_3ELS4_3ELNS0_20block_scan_algorithmE0ELj4294967295EEENS1_25partition_config_selectorILNS1_17partition_subalgoE4EjNS0_10empty_typeEbEEZZNS1_14partition_implILS8_4ELb0ES6_15HIP_vector_typeIjLj2EENS0_17counting_iteratorIjlEEPS9_SG_NS0_5tupleIJPjSI_NS0_16reverse_iteratorISI_EEEEENSH_IJSG_SG_SG_EEES9_SI_JZNS1_25segmented_radix_sort_implINS0_14default_configELb1EPKiPiPKlPlN2at6native12_GLOBAL__N_18offset_tEEE10hipError_tPvRmT1_PNSt15iterator_traitsIS12_E10value_typeET2_T3_PNS13_IS18_E10value_typeET4_jRbjT5_S1E_jjP12ihipStream_tbEUljE_ZNSN_ISO_Lb1ESQ_SR_ST_SU_SY_EESZ_S10_S11_S12_S16_S17_S18_S1B_S1C_jS1D_jS1E_S1E_jjS1G_bEUljE0_EEESZ_S10_S11_S18_S1C_S1E_T6_T7_T9_mT8_S1G_bDpT10_ENKUlT_T0_E_clISt17integral_constantIbLb1EES1U_EEDaS1P_S1Q_EUlS1P_E_NS1_11comp_targetILNS1_3genE0ELNS1_11target_archE4294967295ELNS1_3gpuE0ELNS1_3repE0EEENS1_30default_config_static_selectorELNS0_4arch9wavefront6targetE0EEEvS12_,"axG",@progbits,_ZN7rocprim17ROCPRIM_400000_NS6detail17trampoline_kernelINS0_13select_configILj256ELj13ELNS0_17block_load_methodE3ELS4_3ELS4_3ELNS0_20block_scan_algorithmE0ELj4294967295EEENS1_25partition_config_selectorILNS1_17partition_subalgoE4EjNS0_10empty_typeEbEEZZNS1_14partition_implILS8_4ELb0ES6_15HIP_vector_typeIjLj2EENS0_17counting_iteratorIjlEEPS9_SG_NS0_5tupleIJPjSI_NS0_16reverse_iteratorISI_EEEEENSH_IJSG_SG_SG_EEES9_SI_JZNS1_25segmented_radix_sort_implINS0_14default_configELb1EPKiPiPKlPlN2at6native12_GLOBAL__N_18offset_tEEE10hipError_tPvRmT1_PNSt15iterator_traitsIS12_E10value_typeET2_T3_PNS13_IS18_E10value_typeET4_jRbjT5_S1E_jjP12ihipStream_tbEUljE_ZNSN_ISO_Lb1ESQ_SR_ST_SU_SY_EESZ_S10_S11_S12_S16_S17_S18_S1B_S1C_jS1D_jS1E_S1E_jjS1G_bEUljE0_EEESZ_S10_S11_S18_S1C_S1E_T6_T7_T9_mT8_S1G_bDpT10_ENKUlT_T0_E_clISt17integral_constantIbLb1EES1U_EEDaS1P_S1Q_EUlS1P_E_NS1_11comp_targetILNS1_3genE0ELNS1_11target_archE4294967295ELNS1_3gpuE0ELNS1_3repE0EEENS1_30default_config_static_selectorELNS0_4arch9wavefront6targetE0EEEvS12_,comdat
	.globl	_ZN7rocprim17ROCPRIM_400000_NS6detail17trampoline_kernelINS0_13select_configILj256ELj13ELNS0_17block_load_methodE3ELS4_3ELS4_3ELNS0_20block_scan_algorithmE0ELj4294967295EEENS1_25partition_config_selectorILNS1_17partition_subalgoE4EjNS0_10empty_typeEbEEZZNS1_14partition_implILS8_4ELb0ES6_15HIP_vector_typeIjLj2EENS0_17counting_iteratorIjlEEPS9_SG_NS0_5tupleIJPjSI_NS0_16reverse_iteratorISI_EEEEENSH_IJSG_SG_SG_EEES9_SI_JZNS1_25segmented_radix_sort_implINS0_14default_configELb1EPKiPiPKlPlN2at6native12_GLOBAL__N_18offset_tEEE10hipError_tPvRmT1_PNSt15iterator_traitsIS12_E10value_typeET2_T3_PNS13_IS18_E10value_typeET4_jRbjT5_S1E_jjP12ihipStream_tbEUljE_ZNSN_ISO_Lb1ESQ_SR_ST_SU_SY_EESZ_S10_S11_S12_S16_S17_S18_S1B_S1C_jS1D_jS1E_S1E_jjS1G_bEUljE0_EEESZ_S10_S11_S18_S1C_S1E_T6_T7_T9_mT8_S1G_bDpT10_ENKUlT_T0_E_clISt17integral_constantIbLb1EES1U_EEDaS1P_S1Q_EUlS1P_E_NS1_11comp_targetILNS1_3genE0ELNS1_11target_archE4294967295ELNS1_3gpuE0ELNS1_3repE0EEENS1_30default_config_static_selectorELNS0_4arch9wavefront6targetE0EEEvS12_ ; -- Begin function _ZN7rocprim17ROCPRIM_400000_NS6detail17trampoline_kernelINS0_13select_configILj256ELj13ELNS0_17block_load_methodE3ELS4_3ELS4_3ELNS0_20block_scan_algorithmE0ELj4294967295EEENS1_25partition_config_selectorILNS1_17partition_subalgoE4EjNS0_10empty_typeEbEEZZNS1_14partition_implILS8_4ELb0ES6_15HIP_vector_typeIjLj2EENS0_17counting_iteratorIjlEEPS9_SG_NS0_5tupleIJPjSI_NS0_16reverse_iteratorISI_EEEEENSH_IJSG_SG_SG_EEES9_SI_JZNS1_25segmented_radix_sort_implINS0_14default_configELb1EPKiPiPKlPlN2at6native12_GLOBAL__N_18offset_tEEE10hipError_tPvRmT1_PNSt15iterator_traitsIS12_E10value_typeET2_T3_PNS13_IS18_E10value_typeET4_jRbjT5_S1E_jjP12ihipStream_tbEUljE_ZNSN_ISO_Lb1ESQ_SR_ST_SU_SY_EESZ_S10_S11_S12_S16_S17_S18_S1B_S1C_jS1D_jS1E_S1E_jjS1G_bEUljE0_EEESZ_S10_S11_S18_S1C_S1E_T6_T7_T9_mT8_S1G_bDpT10_ENKUlT_T0_E_clISt17integral_constantIbLb1EES1U_EEDaS1P_S1Q_EUlS1P_E_NS1_11comp_targetILNS1_3genE0ELNS1_11target_archE4294967295ELNS1_3gpuE0ELNS1_3repE0EEENS1_30default_config_static_selectorELNS0_4arch9wavefront6targetE0EEEvS12_
	.p2align	8
	.type	_ZN7rocprim17ROCPRIM_400000_NS6detail17trampoline_kernelINS0_13select_configILj256ELj13ELNS0_17block_load_methodE3ELS4_3ELS4_3ELNS0_20block_scan_algorithmE0ELj4294967295EEENS1_25partition_config_selectorILNS1_17partition_subalgoE4EjNS0_10empty_typeEbEEZZNS1_14partition_implILS8_4ELb0ES6_15HIP_vector_typeIjLj2EENS0_17counting_iteratorIjlEEPS9_SG_NS0_5tupleIJPjSI_NS0_16reverse_iteratorISI_EEEEENSH_IJSG_SG_SG_EEES9_SI_JZNS1_25segmented_radix_sort_implINS0_14default_configELb1EPKiPiPKlPlN2at6native12_GLOBAL__N_18offset_tEEE10hipError_tPvRmT1_PNSt15iterator_traitsIS12_E10value_typeET2_T3_PNS13_IS18_E10value_typeET4_jRbjT5_S1E_jjP12ihipStream_tbEUljE_ZNSN_ISO_Lb1ESQ_SR_ST_SU_SY_EESZ_S10_S11_S12_S16_S17_S18_S1B_S1C_jS1D_jS1E_S1E_jjS1G_bEUljE0_EEESZ_S10_S11_S18_S1C_S1E_T6_T7_T9_mT8_S1G_bDpT10_ENKUlT_T0_E_clISt17integral_constantIbLb1EES1U_EEDaS1P_S1Q_EUlS1P_E_NS1_11comp_targetILNS1_3genE0ELNS1_11target_archE4294967295ELNS1_3gpuE0ELNS1_3repE0EEENS1_30default_config_static_selectorELNS0_4arch9wavefront6targetE0EEEvS12_,@function
_ZN7rocprim17ROCPRIM_400000_NS6detail17trampoline_kernelINS0_13select_configILj256ELj13ELNS0_17block_load_methodE3ELS4_3ELS4_3ELNS0_20block_scan_algorithmE0ELj4294967295EEENS1_25partition_config_selectorILNS1_17partition_subalgoE4EjNS0_10empty_typeEbEEZZNS1_14partition_implILS8_4ELb0ES6_15HIP_vector_typeIjLj2EENS0_17counting_iteratorIjlEEPS9_SG_NS0_5tupleIJPjSI_NS0_16reverse_iteratorISI_EEEEENSH_IJSG_SG_SG_EEES9_SI_JZNS1_25segmented_radix_sort_implINS0_14default_configELb1EPKiPiPKlPlN2at6native12_GLOBAL__N_18offset_tEEE10hipError_tPvRmT1_PNSt15iterator_traitsIS12_E10value_typeET2_T3_PNS13_IS18_E10value_typeET4_jRbjT5_S1E_jjP12ihipStream_tbEUljE_ZNSN_ISO_Lb1ESQ_SR_ST_SU_SY_EESZ_S10_S11_S12_S16_S17_S18_S1B_S1C_jS1D_jS1E_S1E_jjS1G_bEUljE0_EEESZ_S10_S11_S18_S1C_S1E_T6_T7_T9_mT8_S1G_bDpT10_ENKUlT_T0_E_clISt17integral_constantIbLb1EES1U_EEDaS1P_S1Q_EUlS1P_E_NS1_11comp_targetILNS1_3genE0ELNS1_11target_archE4294967295ELNS1_3gpuE0ELNS1_3repE0EEENS1_30default_config_static_selectorELNS0_4arch9wavefront6targetE0EEEvS12_: ; @_ZN7rocprim17ROCPRIM_400000_NS6detail17trampoline_kernelINS0_13select_configILj256ELj13ELNS0_17block_load_methodE3ELS4_3ELS4_3ELNS0_20block_scan_algorithmE0ELj4294967295EEENS1_25partition_config_selectorILNS1_17partition_subalgoE4EjNS0_10empty_typeEbEEZZNS1_14partition_implILS8_4ELb0ES6_15HIP_vector_typeIjLj2EENS0_17counting_iteratorIjlEEPS9_SG_NS0_5tupleIJPjSI_NS0_16reverse_iteratorISI_EEEEENSH_IJSG_SG_SG_EEES9_SI_JZNS1_25segmented_radix_sort_implINS0_14default_configELb1EPKiPiPKlPlN2at6native12_GLOBAL__N_18offset_tEEE10hipError_tPvRmT1_PNSt15iterator_traitsIS12_E10value_typeET2_T3_PNS13_IS18_E10value_typeET4_jRbjT5_S1E_jjP12ihipStream_tbEUljE_ZNSN_ISO_Lb1ESQ_SR_ST_SU_SY_EESZ_S10_S11_S12_S16_S17_S18_S1B_S1C_jS1D_jS1E_S1E_jjS1G_bEUljE0_EEESZ_S10_S11_S18_S1C_S1E_T6_T7_T9_mT8_S1G_bDpT10_ENKUlT_T0_E_clISt17integral_constantIbLb1EES1U_EEDaS1P_S1Q_EUlS1P_E_NS1_11comp_targetILNS1_3genE0ELNS1_11target_archE4294967295ELNS1_3gpuE0ELNS1_3repE0EEENS1_30default_config_static_selectorELNS0_4arch9wavefront6targetE0EEEvS12_
; %bb.0:
	.section	.rodata,"a",@progbits
	.p2align	6, 0x0
	.amdhsa_kernel _ZN7rocprim17ROCPRIM_400000_NS6detail17trampoline_kernelINS0_13select_configILj256ELj13ELNS0_17block_load_methodE3ELS4_3ELS4_3ELNS0_20block_scan_algorithmE0ELj4294967295EEENS1_25partition_config_selectorILNS1_17partition_subalgoE4EjNS0_10empty_typeEbEEZZNS1_14partition_implILS8_4ELb0ES6_15HIP_vector_typeIjLj2EENS0_17counting_iteratorIjlEEPS9_SG_NS0_5tupleIJPjSI_NS0_16reverse_iteratorISI_EEEEENSH_IJSG_SG_SG_EEES9_SI_JZNS1_25segmented_radix_sort_implINS0_14default_configELb1EPKiPiPKlPlN2at6native12_GLOBAL__N_18offset_tEEE10hipError_tPvRmT1_PNSt15iterator_traitsIS12_E10value_typeET2_T3_PNS13_IS18_E10value_typeET4_jRbjT5_S1E_jjP12ihipStream_tbEUljE_ZNSN_ISO_Lb1ESQ_SR_ST_SU_SY_EESZ_S10_S11_S12_S16_S17_S18_S1B_S1C_jS1D_jS1E_S1E_jjS1G_bEUljE0_EEESZ_S10_S11_S18_S1C_S1E_T6_T7_T9_mT8_S1G_bDpT10_ENKUlT_T0_E_clISt17integral_constantIbLb1EES1U_EEDaS1P_S1Q_EUlS1P_E_NS1_11comp_targetILNS1_3genE0ELNS1_11target_archE4294967295ELNS1_3gpuE0ELNS1_3repE0EEENS1_30default_config_static_selectorELNS0_4arch9wavefront6targetE0EEEvS12_
		.amdhsa_group_segment_fixed_size 0
		.amdhsa_private_segment_fixed_size 0
		.amdhsa_kernarg_size 184
		.amdhsa_user_sgpr_count 2
		.amdhsa_user_sgpr_dispatch_ptr 0
		.amdhsa_user_sgpr_queue_ptr 0
		.amdhsa_user_sgpr_kernarg_segment_ptr 1
		.amdhsa_user_sgpr_dispatch_id 0
		.amdhsa_user_sgpr_private_segment_size 0
		.amdhsa_wavefront_size32 1
		.amdhsa_uses_dynamic_stack 0
		.amdhsa_enable_private_segment 0
		.amdhsa_system_sgpr_workgroup_id_x 1
		.amdhsa_system_sgpr_workgroup_id_y 0
		.amdhsa_system_sgpr_workgroup_id_z 0
		.amdhsa_system_sgpr_workgroup_info 0
		.amdhsa_system_vgpr_workitem_id 0
		.amdhsa_next_free_vgpr 1
		.amdhsa_next_free_sgpr 1
		.amdhsa_reserve_vcc 0
		.amdhsa_float_round_mode_32 0
		.amdhsa_float_round_mode_16_64 0
		.amdhsa_float_denorm_mode_32 3
		.amdhsa_float_denorm_mode_16_64 3
		.amdhsa_fp16_overflow 0
		.amdhsa_workgroup_processor_mode 1
		.amdhsa_memory_ordered 1
		.amdhsa_forward_progress 1
		.amdhsa_inst_pref_size 0
		.amdhsa_round_robin_scheduling 0
		.amdhsa_exception_fp_ieee_invalid_op 0
		.amdhsa_exception_fp_denorm_src 0
		.amdhsa_exception_fp_ieee_div_zero 0
		.amdhsa_exception_fp_ieee_overflow 0
		.amdhsa_exception_fp_ieee_underflow 0
		.amdhsa_exception_fp_ieee_inexact 0
		.amdhsa_exception_int_div_zero 0
	.end_amdhsa_kernel
	.section	.text._ZN7rocprim17ROCPRIM_400000_NS6detail17trampoline_kernelINS0_13select_configILj256ELj13ELNS0_17block_load_methodE3ELS4_3ELS4_3ELNS0_20block_scan_algorithmE0ELj4294967295EEENS1_25partition_config_selectorILNS1_17partition_subalgoE4EjNS0_10empty_typeEbEEZZNS1_14partition_implILS8_4ELb0ES6_15HIP_vector_typeIjLj2EENS0_17counting_iteratorIjlEEPS9_SG_NS0_5tupleIJPjSI_NS0_16reverse_iteratorISI_EEEEENSH_IJSG_SG_SG_EEES9_SI_JZNS1_25segmented_radix_sort_implINS0_14default_configELb1EPKiPiPKlPlN2at6native12_GLOBAL__N_18offset_tEEE10hipError_tPvRmT1_PNSt15iterator_traitsIS12_E10value_typeET2_T3_PNS13_IS18_E10value_typeET4_jRbjT5_S1E_jjP12ihipStream_tbEUljE_ZNSN_ISO_Lb1ESQ_SR_ST_SU_SY_EESZ_S10_S11_S12_S16_S17_S18_S1B_S1C_jS1D_jS1E_S1E_jjS1G_bEUljE0_EEESZ_S10_S11_S18_S1C_S1E_T6_T7_T9_mT8_S1G_bDpT10_ENKUlT_T0_E_clISt17integral_constantIbLb1EES1U_EEDaS1P_S1Q_EUlS1P_E_NS1_11comp_targetILNS1_3genE0ELNS1_11target_archE4294967295ELNS1_3gpuE0ELNS1_3repE0EEENS1_30default_config_static_selectorELNS0_4arch9wavefront6targetE0EEEvS12_,"axG",@progbits,_ZN7rocprim17ROCPRIM_400000_NS6detail17trampoline_kernelINS0_13select_configILj256ELj13ELNS0_17block_load_methodE3ELS4_3ELS4_3ELNS0_20block_scan_algorithmE0ELj4294967295EEENS1_25partition_config_selectorILNS1_17partition_subalgoE4EjNS0_10empty_typeEbEEZZNS1_14partition_implILS8_4ELb0ES6_15HIP_vector_typeIjLj2EENS0_17counting_iteratorIjlEEPS9_SG_NS0_5tupleIJPjSI_NS0_16reverse_iteratorISI_EEEEENSH_IJSG_SG_SG_EEES9_SI_JZNS1_25segmented_radix_sort_implINS0_14default_configELb1EPKiPiPKlPlN2at6native12_GLOBAL__N_18offset_tEEE10hipError_tPvRmT1_PNSt15iterator_traitsIS12_E10value_typeET2_T3_PNS13_IS18_E10value_typeET4_jRbjT5_S1E_jjP12ihipStream_tbEUljE_ZNSN_ISO_Lb1ESQ_SR_ST_SU_SY_EESZ_S10_S11_S12_S16_S17_S18_S1B_S1C_jS1D_jS1E_S1E_jjS1G_bEUljE0_EEESZ_S10_S11_S18_S1C_S1E_T6_T7_T9_mT8_S1G_bDpT10_ENKUlT_T0_E_clISt17integral_constantIbLb1EES1U_EEDaS1P_S1Q_EUlS1P_E_NS1_11comp_targetILNS1_3genE0ELNS1_11target_archE4294967295ELNS1_3gpuE0ELNS1_3repE0EEENS1_30default_config_static_selectorELNS0_4arch9wavefront6targetE0EEEvS12_,comdat
.Lfunc_end441:
	.size	_ZN7rocprim17ROCPRIM_400000_NS6detail17trampoline_kernelINS0_13select_configILj256ELj13ELNS0_17block_load_methodE3ELS4_3ELS4_3ELNS0_20block_scan_algorithmE0ELj4294967295EEENS1_25partition_config_selectorILNS1_17partition_subalgoE4EjNS0_10empty_typeEbEEZZNS1_14partition_implILS8_4ELb0ES6_15HIP_vector_typeIjLj2EENS0_17counting_iteratorIjlEEPS9_SG_NS0_5tupleIJPjSI_NS0_16reverse_iteratorISI_EEEEENSH_IJSG_SG_SG_EEES9_SI_JZNS1_25segmented_radix_sort_implINS0_14default_configELb1EPKiPiPKlPlN2at6native12_GLOBAL__N_18offset_tEEE10hipError_tPvRmT1_PNSt15iterator_traitsIS12_E10value_typeET2_T3_PNS13_IS18_E10value_typeET4_jRbjT5_S1E_jjP12ihipStream_tbEUljE_ZNSN_ISO_Lb1ESQ_SR_ST_SU_SY_EESZ_S10_S11_S12_S16_S17_S18_S1B_S1C_jS1D_jS1E_S1E_jjS1G_bEUljE0_EEESZ_S10_S11_S18_S1C_S1E_T6_T7_T9_mT8_S1G_bDpT10_ENKUlT_T0_E_clISt17integral_constantIbLb1EES1U_EEDaS1P_S1Q_EUlS1P_E_NS1_11comp_targetILNS1_3genE0ELNS1_11target_archE4294967295ELNS1_3gpuE0ELNS1_3repE0EEENS1_30default_config_static_selectorELNS0_4arch9wavefront6targetE0EEEvS12_, .Lfunc_end441-_ZN7rocprim17ROCPRIM_400000_NS6detail17trampoline_kernelINS0_13select_configILj256ELj13ELNS0_17block_load_methodE3ELS4_3ELS4_3ELNS0_20block_scan_algorithmE0ELj4294967295EEENS1_25partition_config_selectorILNS1_17partition_subalgoE4EjNS0_10empty_typeEbEEZZNS1_14partition_implILS8_4ELb0ES6_15HIP_vector_typeIjLj2EENS0_17counting_iteratorIjlEEPS9_SG_NS0_5tupleIJPjSI_NS0_16reverse_iteratorISI_EEEEENSH_IJSG_SG_SG_EEES9_SI_JZNS1_25segmented_radix_sort_implINS0_14default_configELb1EPKiPiPKlPlN2at6native12_GLOBAL__N_18offset_tEEE10hipError_tPvRmT1_PNSt15iterator_traitsIS12_E10value_typeET2_T3_PNS13_IS18_E10value_typeET4_jRbjT5_S1E_jjP12ihipStream_tbEUljE_ZNSN_ISO_Lb1ESQ_SR_ST_SU_SY_EESZ_S10_S11_S12_S16_S17_S18_S1B_S1C_jS1D_jS1E_S1E_jjS1G_bEUljE0_EEESZ_S10_S11_S18_S1C_S1E_T6_T7_T9_mT8_S1G_bDpT10_ENKUlT_T0_E_clISt17integral_constantIbLb1EES1U_EEDaS1P_S1Q_EUlS1P_E_NS1_11comp_targetILNS1_3genE0ELNS1_11target_archE4294967295ELNS1_3gpuE0ELNS1_3repE0EEENS1_30default_config_static_selectorELNS0_4arch9wavefront6targetE0EEEvS12_
                                        ; -- End function
	.set _ZN7rocprim17ROCPRIM_400000_NS6detail17trampoline_kernelINS0_13select_configILj256ELj13ELNS0_17block_load_methodE3ELS4_3ELS4_3ELNS0_20block_scan_algorithmE0ELj4294967295EEENS1_25partition_config_selectorILNS1_17partition_subalgoE4EjNS0_10empty_typeEbEEZZNS1_14partition_implILS8_4ELb0ES6_15HIP_vector_typeIjLj2EENS0_17counting_iteratorIjlEEPS9_SG_NS0_5tupleIJPjSI_NS0_16reverse_iteratorISI_EEEEENSH_IJSG_SG_SG_EEES9_SI_JZNS1_25segmented_radix_sort_implINS0_14default_configELb1EPKiPiPKlPlN2at6native12_GLOBAL__N_18offset_tEEE10hipError_tPvRmT1_PNSt15iterator_traitsIS12_E10value_typeET2_T3_PNS13_IS18_E10value_typeET4_jRbjT5_S1E_jjP12ihipStream_tbEUljE_ZNSN_ISO_Lb1ESQ_SR_ST_SU_SY_EESZ_S10_S11_S12_S16_S17_S18_S1B_S1C_jS1D_jS1E_S1E_jjS1G_bEUljE0_EEESZ_S10_S11_S18_S1C_S1E_T6_T7_T9_mT8_S1G_bDpT10_ENKUlT_T0_E_clISt17integral_constantIbLb1EES1U_EEDaS1P_S1Q_EUlS1P_E_NS1_11comp_targetILNS1_3genE0ELNS1_11target_archE4294967295ELNS1_3gpuE0ELNS1_3repE0EEENS1_30default_config_static_selectorELNS0_4arch9wavefront6targetE0EEEvS12_.num_vgpr, 0
	.set _ZN7rocprim17ROCPRIM_400000_NS6detail17trampoline_kernelINS0_13select_configILj256ELj13ELNS0_17block_load_methodE3ELS4_3ELS4_3ELNS0_20block_scan_algorithmE0ELj4294967295EEENS1_25partition_config_selectorILNS1_17partition_subalgoE4EjNS0_10empty_typeEbEEZZNS1_14partition_implILS8_4ELb0ES6_15HIP_vector_typeIjLj2EENS0_17counting_iteratorIjlEEPS9_SG_NS0_5tupleIJPjSI_NS0_16reverse_iteratorISI_EEEEENSH_IJSG_SG_SG_EEES9_SI_JZNS1_25segmented_radix_sort_implINS0_14default_configELb1EPKiPiPKlPlN2at6native12_GLOBAL__N_18offset_tEEE10hipError_tPvRmT1_PNSt15iterator_traitsIS12_E10value_typeET2_T3_PNS13_IS18_E10value_typeET4_jRbjT5_S1E_jjP12ihipStream_tbEUljE_ZNSN_ISO_Lb1ESQ_SR_ST_SU_SY_EESZ_S10_S11_S12_S16_S17_S18_S1B_S1C_jS1D_jS1E_S1E_jjS1G_bEUljE0_EEESZ_S10_S11_S18_S1C_S1E_T6_T7_T9_mT8_S1G_bDpT10_ENKUlT_T0_E_clISt17integral_constantIbLb1EES1U_EEDaS1P_S1Q_EUlS1P_E_NS1_11comp_targetILNS1_3genE0ELNS1_11target_archE4294967295ELNS1_3gpuE0ELNS1_3repE0EEENS1_30default_config_static_selectorELNS0_4arch9wavefront6targetE0EEEvS12_.num_agpr, 0
	.set _ZN7rocprim17ROCPRIM_400000_NS6detail17trampoline_kernelINS0_13select_configILj256ELj13ELNS0_17block_load_methodE3ELS4_3ELS4_3ELNS0_20block_scan_algorithmE0ELj4294967295EEENS1_25partition_config_selectorILNS1_17partition_subalgoE4EjNS0_10empty_typeEbEEZZNS1_14partition_implILS8_4ELb0ES6_15HIP_vector_typeIjLj2EENS0_17counting_iteratorIjlEEPS9_SG_NS0_5tupleIJPjSI_NS0_16reverse_iteratorISI_EEEEENSH_IJSG_SG_SG_EEES9_SI_JZNS1_25segmented_radix_sort_implINS0_14default_configELb1EPKiPiPKlPlN2at6native12_GLOBAL__N_18offset_tEEE10hipError_tPvRmT1_PNSt15iterator_traitsIS12_E10value_typeET2_T3_PNS13_IS18_E10value_typeET4_jRbjT5_S1E_jjP12ihipStream_tbEUljE_ZNSN_ISO_Lb1ESQ_SR_ST_SU_SY_EESZ_S10_S11_S12_S16_S17_S18_S1B_S1C_jS1D_jS1E_S1E_jjS1G_bEUljE0_EEESZ_S10_S11_S18_S1C_S1E_T6_T7_T9_mT8_S1G_bDpT10_ENKUlT_T0_E_clISt17integral_constantIbLb1EES1U_EEDaS1P_S1Q_EUlS1P_E_NS1_11comp_targetILNS1_3genE0ELNS1_11target_archE4294967295ELNS1_3gpuE0ELNS1_3repE0EEENS1_30default_config_static_selectorELNS0_4arch9wavefront6targetE0EEEvS12_.numbered_sgpr, 0
	.set _ZN7rocprim17ROCPRIM_400000_NS6detail17trampoline_kernelINS0_13select_configILj256ELj13ELNS0_17block_load_methodE3ELS4_3ELS4_3ELNS0_20block_scan_algorithmE0ELj4294967295EEENS1_25partition_config_selectorILNS1_17partition_subalgoE4EjNS0_10empty_typeEbEEZZNS1_14partition_implILS8_4ELb0ES6_15HIP_vector_typeIjLj2EENS0_17counting_iteratorIjlEEPS9_SG_NS0_5tupleIJPjSI_NS0_16reverse_iteratorISI_EEEEENSH_IJSG_SG_SG_EEES9_SI_JZNS1_25segmented_radix_sort_implINS0_14default_configELb1EPKiPiPKlPlN2at6native12_GLOBAL__N_18offset_tEEE10hipError_tPvRmT1_PNSt15iterator_traitsIS12_E10value_typeET2_T3_PNS13_IS18_E10value_typeET4_jRbjT5_S1E_jjP12ihipStream_tbEUljE_ZNSN_ISO_Lb1ESQ_SR_ST_SU_SY_EESZ_S10_S11_S12_S16_S17_S18_S1B_S1C_jS1D_jS1E_S1E_jjS1G_bEUljE0_EEESZ_S10_S11_S18_S1C_S1E_T6_T7_T9_mT8_S1G_bDpT10_ENKUlT_T0_E_clISt17integral_constantIbLb1EES1U_EEDaS1P_S1Q_EUlS1P_E_NS1_11comp_targetILNS1_3genE0ELNS1_11target_archE4294967295ELNS1_3gpuE0ELNS1_3repE0EEENS1_30default_config_static_selectorELNS0_4arch9wavefront6targetE0EEEvS12_.num_named_barrier, 0
	.set _ZN7rocprim17ROCPRIM_400000_NS6detail17trampoline_kernelINS0_13select_configILj256ELj13ELNS0_17block_load_methodE3ELS4_3ELS4_3ELNS0_20block_scan_algorithmE0ELj4294967295EEENS1_25partition_config_selectorILNS1_17partition_subalgoE4EjNS0_10empty_typeEbEEZZNS1_14partition_implILS8_4ELb0ES6_15HIP_vector_typeIjLj2EENS0_17counting_iteratorIjlEEPS9_SG_NS0_5tupleIJPjSI_NS0_16reverse_iteratorISI_EEEEENSH_IJSG_SG_SG_EEES9_SI_JZNS1_25segmented_radix_sort_implINS0_14default_configELb1EPKiPiPKlPlN2at6native12_GLOBAL__N_18offset_tEEE10hipError_tPvRmT1_PNSt15iterator_traitsIS12_E10value_typeET2_T3_PNS13_IS18_E10value_typeET4_jRbjT5_S1E_jjP12ihipStream_tbEUljE_ZNSN_ISO_Lb1ESQ_SR_ST_SU_SY_EESZ_S10_S11_S12_S16_S17_S18_S1B_S1C_jS1D_jS1E_S1E_jjS1G_bEUljE0_EEESZ_S10_S11_S18_S1C_S1E_T6_T7_T9_mT8_S1G_bDpT10_ENKUlT_T0_E_clISt17integral_constantIbLb1EES1U_EEDaS1P_S1Q_EUlS1P_E_NS1_11comp_targetILNS1_3genE0ELNS1_11target_archE4294967295ELNS1_3gpuE0ELNS1_3repE0EEENS1_30default_config_static_selectorELNS0_4arch9wavefront6targetE0EEEvS12_.private_seg_size, 0
	.set _ZN7rocprim17ROCPRIM_400000_NS6detail17trampoline_kernelINS0_13select_configILj256ELj13ELNS0_17block_load_methodE3ELS4_3ELS4_3ELNS0_20block_scan_algorithmE0ELj4294967295EEENS1_25partition_config_selectorILNS1_17partition_subalgoE4EjNS0_10empty_typeEbEEZZNS1_14partition_implILS8_4ELb0ES6_15HIP_vector_typeIjLj2EENS0_17counting_iteratorIjlEEPS9_SG_NS0_5tupleIJPjSI_NS0_16reverse_iteratorISI_EEEEENSH_IJSG_SG_SG_EEES9_SI_JZNS1_25segmented_radix_sort_implINS0_14default_configELb1EPKiPiPKlPlN2at6native12_GLOBAL__N_18offset_tEEE10hipError_tPvRmT1_PNSt15iterator_traitsIS12_E10value_typeET2_T3_PNS13_IS18_E10value_typeET4_jRbjT5_S1E_jjP12ihipStream_tbEUljE_ZNSN_ISO_Lb1ESQ_SR_ST_SU_SY_EESZ_S10_S11_S12_S16_S17_S18_S1B_S1C_jS1D_jS1E_S1E_jjS1G_bEUljE0_EEESZ_S10_S11_S18_S1C_S1E_T6_T7_T9_mT8_S1G_bDpT10_ENKUlT_T0_E_clISt17integral_constantIbLb1EES1U_EEDaS1P_S1Q_EUlS1P_E_NS1_11comp_targetILNS1_3genE0ELNS1_11target_archE4294967295ELNS1_3gpuE0ELNS1_3repE0EEENS1_30default_config_static_selectorELNS0_4arch9wavefront6targetE0EEEvS12_.uses_vcc, 0
	.set _ZN7rocprim17ROCPRIM_400000_NS6detail17trampoline_kernelINS0_13select_configILj256ELj13ELNS0_17block_load_methodE3ELS4_3ELS4_3ELNS0_20block_scan_algorithmE0ELj4294967295EEENS1_25partition_config_selectorILNS1_17partition_subalgoE4EjNS0_10empty_typeEbEEZZNS1_14partition_implILS8_4ELb0ES6_15HIP_vector_typeIjLj2EENS0_17counting_iteratorIjlEEPS9_SG_NS0_5tupleIJPjSI_NS0_16reverse_iteratorISI_EEEEENSH_IJSG_SG_SG_EEES9_SI_JZNS1_25segmented_radix_sort_implINS0_14default_configELb1EPKiPiPKlPlN2at6native12_GLOBAL__N_18offset_tEEE10hipError_tPvRmT1_PNSt15iterator_traitsIS12_E10value_typeET2_T3_PNS13_IS18_E10value_typeET4_jRbjT5_S1E_jjP12ihipStream_tbEUljE_ZNSN_ISO_Lb1ESQ_SR_ST_SU_SY_EESZ_S10_S11_S12_S16_S17_S18_S1B_S1C_jS1D_jS1E_S1E_jjS1G_bEUljE0_EEESZ_S10_S11_S18_S1C_S1E_T6_T7_T9_mT8_S1G_bDpT10_ENKUlT_T0_E_clISt17integral_constantIbLb1EES1U_EEDaS1P_S1Q_EUlS1P_E_NS1_11comp_targetILNS1_3genE0ELNS1_11target_archE4294967295ELNS1_3gpuE0ELNS1_3repE0EEENS1_30default_config_static_selectorELNS0_4arch9wavefront6targetE0EEEvS12_.uses_flat_scratch, 0
	.set _ZN7rocprim17ROCPRIM_400000_NS6detail17trampoline_kernelINS0_13select_configILj256ELj13ELNS0_17block_load_methodE3ELS4_3ELS4_3ELNS0_20block_scan_algorithmE0ELj4294967295EEENS1_25partition_config_selectorILNS1_17partition_subalgoE4EjNS0_10empty_typeEbEEZZNS1_14partition_implILS8_4ELb0ES6_15HIP_vector_typeIjLj2EENS0_17counting_iteratorIjlEEPS9_SG_NS0_5tupleIJPjSI_NS0_16reverse_iteratorISI_EEEEENSH_IJSG_SG_SG_EEES9_SI_JZNS1_25segmented_radix_sort_implINS0_14default_configELb1EPKiPiPKlPlN2at6native12_GLOBAL__N_18offset_tEEE10hipError_tPvRmT1_PNSt15iterator_traitsIS12_E10value_typeET2_T3_PNS13_IS18_E10value_typeET4_jRbjT5_S1E_jjP12ihipStream_tbEUljE_ZNSN_ISO_Lb1ESQ_SR_ST_SU_SY_EESZ_S10_S11_S12_S16_S17_S18_S1B_S1C_jS1D_jS1E_S1E_jjS1G_bEUljE0_EEESZ_S10_S11_S18_S1C_S1E_T6_T7_T9_mT8_S1G_bDpT10_ENKUlT_T0_E_clISt17integral_constantIbLb1EES1U_EEDaS1P_S1Q_EUlS1P_E_NS1_11comp_targetILNS1_3genE0ELNS1_11target_archE4294967295ELNS1_3gpuE0ELNS1_3repE0EEENS1_30default_config_static_selectorELNS0_4arch9wavefront6targetE0EEEvS12_.has_dyn_sized_stack, 0
	.set _ZN7rocprim17ROCPRIM_400000_NS6detail17trampoline_kernelINS0_13select_configILj256ELj13ELNS0_17block_load_methodE3ELS4_3ELS4_3ELNS0_20block_scan_algorithmE0ELj4294967295EEENS1_25partition_config_selectorILNS1_17partition_subalgoE4EjNS0_10empty_typeEbEEZZNS1_14partition_implILS8_4ELb0ES6_15HIP_vector_typeIjLj2EENS0_17counting_iteratorIjlEEPS9_SG_NS0_5tupleIJPjSI_NS0_16reverse_iteratorISI_EEEEENSH_IJSG_SG_SG_EEES9_SI_JZNS1_25segmented_radix_sort_implINS0_14default_configELb1EPKiPiPKlPlN2at6native12_GLOBAL__N_18offset_tEEE10hipError_tPvRmT1_PNSt15iterator_traitsIS12_E10value_typeET2_T3_PNS13_IS18_E10value_typeET4_jRbjT5_S1E_jjP12ihipStream_tbEUljE_ZNSN_ISO_Lb1ESQ_SR_ST_SU_SY_EESZ_S10_S11_S12_S16_S17_S18_S1B_S1C_jS1D_jS1E_S1E_jjS1G_bEUljE0_EEESZ_S10_S11_S18_S1C_S1E_T6_T7_T9_mT8_S1G_bDpT10_ENKUlT_T0_E_clISt17integral_constantIbLb1EES1U_EEDaS1P_S1Q_EUlS1P_E_NS1_11comp_targetILNS1_3genE0ELNS1_11target_archE4294967295ELNS1_3gpuE0ELNS1_3repE0EEENS1_30default_config_static_selectorELNS0_4arch9wavefront6targetE0EEEvS12_.has_recursion, 0
	.set _ZN7rocprim17ROCPRIM_400000_NS6detail17trampoline_kernelINS0_13select_configILj256ELj13ELNS0_17block_load_methodE3ELS4_3ELS4_3ELNS0_20block_scan_algorithmE0ELj4294967295EEENS1_25partition_config_selectorILNS1_17partition_subalgoE4EjNS0_10empty_typeEbEEZZNS1_14partition_implILS8_4ELb0ES6_15HIP_vector_typeIjLj2EENS0_17counting_iteratorIjlEEPS9_SG_NS0_5tupleIJPjSI_NS0_16reverse_iteratorISI_EEEEENSH_IJSG_SG_SG_EEES9_SI_JZNS1_25segmented_radix_sort_implINS0_14default_configELb1EPKiPiPKlPlN2at6native12_GLOBAL__N_18offset_tEEE10hipError_tPvRmT1_PNSt15iterator_traitsIS12_E10value_typeET2_T3_PNS13_IS18_E10value_typeET4_jRbjT5_S1E_jjP12ihipStream_tbEUljE_ZNSN_ISO_Lb1ESQ_SR_ST_SU_SY_EESZ_S10_S11_S12_S16_S17_S18_S1B_S1C_jS1D_jS1E_S1E_jjS1G_bEUljE0_EEESZ_S10_S11_S18_S1C_S1E_T6_T7_T9_mT8_S1G_bDpT10_ENKUlT_T0_E_clISt17integral_constantIbLb1EES1U_EEDaS1P_S1Q_EUlS1P_E_NS1_11comp_targetILNS1_3genE0ELNS1_11target_archE4294967295ELNS1_3gpuE0ELNS1_3repE0EEENS1_30default_config_static_selectorELNS0_4arch9wavefront6targetE0EEEvS12_.has_indirect_call, 0
	.section	.AMDGPU.csdata,"",@progbits
; Kernel info:
; codeLenInByte = 0
; TotalNumSgprs: 0
; NumVgprs: 0
; ScratchSize: 0
; MemoryBound: 0
; FloatMode: 240
; IeeeMode: 1
; LDSByteSize: 0 bytes/workgroup (compile time only)
; SGPRBlocks: 0
; VGPRBlocks: 0
; NumSGPRsForWavesPerEU: 1
; NumVGPRsForWavesPerEU: 1
; Occupancy: 16
; WaveLimiterHint : 0
; COMPUTE_PGM_RSRC2:SCRATCH_EN: 0
; COMPUTE_PGM_RSRC2:USER_SGPR: 2
; COMPUTE_PGM_RSRC2:TRAP_HANDLER: 0
; COMPUTE_PGM_RSRC2:TGID_X_EN: 1
; COMPUTE_PGM_RSRC2:TGID_Y_EN: 0
; COMPUTE_PGM_RSRC2:TGID_Z_EN: 0
; COMPUTE_PGM_RSRC2:TIDIG_COMP_CNT: 0
	.section	.text._ZN7rocprim17ROCPRIM_400000_NS6detail17trampoline_kernelINS0_13select_configILj256ELj13ELNS0_17block_load_methodE3ELS4_3ELS4_3ELNS0_20block_scan_algorithmE0ELj4294967295EEENS1_25partition_config_selectorILNS1_17partition_subalgoE4EjNS0_10empty_typeEbEEZZNS1_14partition_implILS8_4ELb0ES6_15HIP_vector_typeIjLj2EENS0_17counting_iteratorIjlEEPS9_SG_NS0_5tupleIJPjSI_NS0_16reverse_iteratorISI_EEEEENSH_IJSG_SG_SG_EEES9_SI_JZNS1_25segmented_radix_sort_implINS0_14default_configELb1EPKiPiPKlPlN2at6native12_GLOBAL__N_18offset_tEEE10hipError_tPvRmT1_PNSt15iterator_traitsIS12_E10value_typeET2_T3_PNS13_IS18_E10value_typeET4_jRbjT5_S1E_jjP12ihipStream_tbEUljE_ZNSN_ISO_Lb1ESQ_SR_ST_SU_SY_EESZ_S10_S11_S12_S16_S17_S18_S1B_S1C_jS1D_jS1E_S1E_jjS1G_bEUljE0_EEESZ_S10_S11_S18_S1C_S1E_T6_T7_T9_mT8_S1G_bDpT10_ENKUlT_T0_E_clISt17integral_constantIbLb1EES1U_EEDaS1P_S1Q_EUlS1P_E_NS1_11comp_targetILNS1_3genE5ELNS1_11target_archE942ELNS1_3gpuE9ELNS1_3repE0EEENS1_30default_config_static_selectorELNS0_4arch9wavefront6targetE0EEEvS12_,"axG",@progbits,_ZN7rocprim17ROCPRIM_400000_NS6detail17trampoline_kernelINS0_13select_configILj256ELj13ELNS0_17block_load_methodE3ELS4_3ELS4_3ELNS0_20block_scan_algorithmE0ELj4294967295EEENS1_25partition_config_selectorILNS1_17partition_subalgoE4EjNS0_10empty_typeEbEEZZNS1_14partition_implILS8_4ELb0ES6_15HIP_vector_typeIjLj2EENS0_17counting_iteratorIjlEEPS9_SG_NS0_5tupleIJPjSI_NS0_16reverse_iteratorISI_EEEEENSH_IJSG_SG_SG_EEES9_SI_JZNS1_25segmented_radix_sort_implINS0_14default_configELb1EPKiPiPKlPlN2at6native12_GLOBAL__N_18offset_tEEE10hipError_tPvRmT1_PNSt15iterator_traitsIS12_E10value_typeET2_T3_PNS13_IS18_E10value_typeET4_jRbjT5_S1E_jjP12ihipStream_tbEUljE_ZNSN_ISO_Lb1ESQ_SR_ST_SU_SY_EESZ_S10_S11_S12_S16_S17_S18_S1B_S1C_jS1D_jS1E_S1E_jjS1G_bEUljE0_EEESZ_S10_S11_S18_S1C_S1E_T6_T7_T9_mT8_S1G_bDpT10_ENKUlT_T0_E_clISt17integral_constantIbLb1EES1U_EEDaS1P_S1Q_EUlS1P_E_NS1_11comp_targetILNS1_3genE5ELNS1_11target_archE942ELNS1_3gpuE9ELNS1_3repE0EEENS1_30default_config_static_selectorELNS0_4arch9wavefront6targetE0EEEvS12_,comdat
	.globl	_ZN7rocprim17ROCPRIM_400000_NS6detail17trampoline_kernelINS0_13select_configILj256ELj13ELNS0_17block_load_methodE3ELS4_3ELS4_3ELNS0_20block_scan_algorithmE0ELj4294967295EEENS1_25partition_config_selectorILNS1_17partition_subalgoE4EjNS0_10empty_typeEbEEZZNS1_14partition_implILS8_4ELb0ES6_15HIP_vector_typeIjLj2EENS0_17counting_iteratorIjlEEPS9_SG_NS0_5tupleIJPjSI_NS0_16reverse_iteratorISI_EEEEENSH_IJSG_SG_SG_EEES9_SI_JZNS1_25segmented_radix_sort_implINS0_14default_configELb1EPKiPiPKlPlN2at6native12_GLOBAL__N_18offset_tEEE10hipError_tPvRmT1_PNSt15iterator_traitsIS12_E10value_typeET2_T3_PNS13_IS18_E10value_typeET4_jRbjT5_S1E_jjP12ihipStream_tbEUljE_ZNSN_ISO_Lb1ESQ_SR_ST_SU_SY_EESZ_S10_S11_S12_S16_S17_S18_S1B_S1C_jS1D_jS1E_S1E_jjS1G_bEUljE0_EEESZ_S10_S11_S18_S1C_S1E_T6_T7_T9_mT8_S1G_bDpT10_ENKUlT_T0_E_clISt17integral_constantIbLb1EES1U_EEDaS1P_S1Q_EUlS1P_E_NS1_11comp_targetILNS1_3genE5ELNS1_11target_archE942ELNS1_3gpuE9ELNS1_3repE0EEENS1_30default_config_static_selectorELNS0_4arch9wavefront6targetE0EEEvS12_ ; -- Begin function _ZN7rocprim17ROCPRIM_400000_NS6detail17trampoline_kernelINS0_13select_configILj256ELj13ELNS0_17block_load_methodE3ELS4_3ELS4_3ELNS0_20block_scan_algorithmE0ELj4294967295EEENS1_25partition_config_selectorILNS1_17partition_subalgoE4EjNS0_10empty_typeEbEEZZNS1_14partition_implILS8_4ELb0ES6_15HIP_vector_typeIjLj2EENS0_17counting_iteratorIjlEEPS9_SG_NS0_5tupleIJPjSI_NS0_16reverse_iteratorISI_EEEEENSH_IJSG_SG_SG_EEES9_SI_JZNS1_25segmented_radix_sort_implINS0_14default_configELb1EPKiPiPKlPlN2at6native12_GLOBAL__N_18offset_tEEE10hipError_tPvRmT1_PNSt15iterator_traitsIS12_E10value_typeET2_T3_PNS13_IS18_E10value_typeET4_jRbjT5_S1E_jjP12ihipStream_tbEUljE_ZNSN_ISO_Lb1ESQ_SR_ST_SU_SY_EESZ_S10_S11_S12_S16_S17_S18_S1B_S1C_jS1D_jS1E_S1E_jjS1G_bEUljE0_EEESZ_S10_S11_S18_S1C_S1E_T6_T7_T9_mT8_S1G_bDpT10_ENKUlT_T0_E_clISt17integral_constantIbLb1EES1U_EEDaS1P_S1Q_EUlS1P_E_NS1_11comp_targetILNS1_3genE5ELNS1_11target_archE942ELNS1_3gpuE9ELNS1_3repE0EEENS1_30default_config_static_selectorELNS0_4arch9wavefront6targetE0EEEvS12_
	.p2align	8
	.type	_ZN7rocprim17ROCPRIM_400000_NS6detail17trampoline_kernelINS0_13select_configILj256ELj13ELNS0_17block_load_methodE3ELS4_3ELS4_3ELNS0_20block_scan_algorithmE0ELj4294967295EEENS1_25partition_config_selectorILNS1_17partition_subalgoE4EjNS0_10empty_typeEbEEZZNS1_14partition_implILS8_4ELb0ES6_15HIP_vector_typeIjLj2EENS0_17counting_iteratorIjlEEPS9_SG_NS0_5tupleIJPjSI_NS0_16reverse_iteratorISI_EEEEENSH_IJSG_SG_SG_EEES9_SI_JZNS1_25segmented_radix_sort_implINS0_14default_configELb1EPKiPiPKlPlN2at6native12_GLOBAL__N_18offset_tEEE10hipError_tPvRmT1_PNSt15iterator_traitsIS12_E10value_typeET2_T3_PNS13_IS18_E10value_typeET4_jRbjT5_S1E_jjP12ihipStream_tbEUljE_ZNSN_ISO_Lb1ESQ_SR_ST_SU_SY_EESZ_S10_S11_S12_S16_S17_S18_S1B_S1C_jS1D_jS1E_S1E_jjS1G_bEUljE0_EEESZ_S10_S11_S18_S1C_S1E_T6_T7_T9_mT8_S1G_bDpT10_ENKUlT_T0_E_clISt17integral_constantIbLb1EES1U_EEDaS1P_S1Q_EUlS1P_E_NS1_11comp_targetILNS1_3genE5ELNS1_11target_archE942ELNS1_3gpuE9ELNS1_3repE0EEENS1_30default_config_static_selectorELNS0_4arch9wavefront6targetE0EEEvS12_,@function
_ZN7rocprim17ROCPRIM_400000_NS6detail17trampoline_kernelINS0_13select_configILj256ELj13ELNS0_17block_load_methodE3ELS4_3ELS4_3ELNS0_20block_scan_algorithmE0ELj4294967295EEENS1_25partition_config_selectorILNS1_17partition_subalgoE4EjNS0_10empty_typeEbEEZZNS1_14partition_implILS8_4ELb0ES6_15HIP_vector_typeIjLj2EENS0_17counting_iteratorIjlEEPS9_SG_NS0_5tupleIJPjSI_NS0_16reverse_iteratorISI_EEEEENSH_IJSG_SG_SG_EEES9_SI_JZNS1_25segmented_radix_sort_implINS0_14default_configELb1EPKiPiPKlPlN2at6native12_GLOBAL__N_18offset_tEEE10hipError_tPvRmT1_PNSt15iterator_traitsIS12_E10value_typeET2_T3_PNS13_IS18_E10value_typeET4_jRbjT5_S1E_jjP12ihipStream_tbEUljE_ZNSN_ISO_Lb1ESQ_SR_ST_SU_SY_EESZ_S10_S11_S12_S16_S17_S18_S1B_S1C_jS1D_jS1E_S1E_jjS1G_bEUljE0_EEESZ_S10_S11_S18_S1C_S1E_T6_T7_T9_mT8_S1G_bDpT10_ENKUlT_T0_E_clISt17integral_constantIbLb1EES1U_EEDaS1P_S1Q_EUlS1P_E_NS1_11comp_targetILNS1_3genE5ELNS1_11target_archE942ELNS1_3gpuE9ELNS1_3repE0EEENS1_30default_config_static_selectorELNS0_4arch9wavefront6targetE0EEEvS12_: ; @_ZN7rocprim17ROCPRIM_400000_NS6detail17trampoline_kernelINS0_13select_configILj256ELj13ELNS0_17block_load_methodE3ELS4_3ELS4_3ELNS0_20block_scan_algorithmE0ELj4294967295EEENS1_25partition_config_selectorILNS1_17partition_subalgoE4EjNS0_10empty_typeEbEEZZNS1_14partition_implILS8_4ELb0ES6_15HIP_vector_typeIjLj2EENS0_17counting_iteratorIjlEEPS9_SG_NS0_5tupleIJPjSI_NS0_16reverse_iteratorISI_EEEEENSH_IJSG_SG_SG_EEES9_SI_JZNS1_25segmented_radix_sort_implINS0_14default_configELb1EPKiPiPKlPlN2at6native12_GLOBAL__N_18offset_tEEE10hipError_tPvRmT1_PNSt15iterator_traitsIS12_E10value_typeET2_T3_PNS13_IS18_E10value_typeET4_jRbjT5_S1E_jjP12ihipStream_tbEUljE_ZNSN_ISO_Lb1ESQ_SR_ST_SU_SY_EESZ_S10_S11_S12_S16_S17_S18_S1B_S1C_jS1D_jS1E_S1E_jjS1G_bEUljE0_EEESZ_S10_S11_S18_S1C_S1E_T6_T7_T9_mT8_S1G_bDpT10_ENKUlT_T0_E_clISt17integral_constantIbLb1EES1U_EEDaS1P_S1Q_EUlS1P_E_NS1_11comp_targetILNS1_3genE5ELNS1_11target_archE942ELNS1_3gpuE9ELNS1_3repE0EEENS1_30default_config_static_selectorELNS0_4arch9wavefront6targetE0EEEvS12_
; %bb.0:
	.section	.rodata,"a",@progbits
	.p2align	6, 0x0
	.amdhsa_kernel _ZN7rocprim17ROCPRIM_400000_NS6detail17trampoline_kernelINS0_13select_configILj256ELj13ELNS0_17block_load_methodE3ELS4_3ELS4_3ELNS0_20block_scan_algorithmE0ELj4294967295EEENS1_25partition_config_selectorILNS1_17partition_subalgoE4EjNS0_10empty_typeEbEEZZNS1_14partition_implILS8_4ELb0ES6_15HIP_vector_typeIjLj2EENS0_17counting_iteratorIjlEEPS9_SG_NS0_5tupleIJPjSI_NS0_16reverse_iteratorISI_EEEEENSH_IJSG_SG_SG_EEES9_SI_JZNS1_25segmented_radix_sort_implINS0_14default_configELb1EPKiPiPKlPlN2at6native12_GLOBAL__N_18offset_tEEE10hipError_tPvRmT1_PNSt15iterator_traitsIS12_E10value_typeET2_T3_PNS13_IS18_E10value_typeET4_jRbjT5_S1E_jjP12ihipStream_tbEUljE_ZNSN_ISO_Lb1ESQ_SR_ST_SU_SY_EESZ_S10_S11_S12_S16_S17_S18_S1B_S1C_jS1D_jS1E_S1E_jjS1G_bEUljE0_EEESZ_S10_S11_S18_S1C_S1E_T6_T7_T9_mT8_S1G_bDpT10_ENKUlT_T0_E_clISt17integral_constantIbLb1EES1U_EEDaS1P_S1Q_EUlS1P_E_NS1_11comp_targetILNS1_3genE5ELNS1_11target_archE942ELNS1_3gpuE9ELNS1_3repE0EEENS1_30default_config_static_selectorELNS0_4arch9wavefront6targetE0EEEvS12_
		.amdhsa_group_segment_fixed_size 0
		.amdhsa_private_segment_fixed_size 0
		.amdhsa_kernarg_size 184
		.amdhsa_user_sgpr_count 2
		.amdhsa_user_sgpr_dispatch_ptr 0
		.amdhsa_user_sgpr_queue_ptr 0
		.amdhsa_user_sgpr_kernarg_segment_ptr 1
		.amdhsa_user_sgpr_dispatch_id 0
		.amdhsa_user_sgpr_private_segment_size 0
		.amdhsa_wavefront_size32 1
		.amdhsa_uses_dynamic_stack 0
		.amdhsa_enable_private_segment 0
		.amdhsa_system_sgpr_workgroup_id_x 1
		.amdhsa_system_sgpr_workgroup_id_y 0
		.amdhsa_system_sgpr_workgroup_id_z 0
		.amdhsa_system_sgpr_workgroup_info 0
		.amdhsa_system_vgpr_workitem_id 0
		.amdhsa_next_free_vgpr 1
		.amdhsa_next_free_sgpr 1
		.amdhsa_reserve_vcc 0
		.amdhsa_float_round_mode_32 0
		.amdhsa_float_round_mode_16_64 0
		.amdhsa_float_denorm_mode_32 3
		.amdhsa_float_denorm_mode_16_64 3
		.amdhsa_fp16_overflow 0
		.amdhsa_workgroup_processor_mode 1
		.amdhsa_memory_ordered 1
		.amdhsa_forward_progress 1
		.amdhsa_inst_pref_size 0
		.amdhsa_round_robin_scheduling 0
		.amdhsa_exception_fp_ieee_invalid_op 0
		.amdhsa_exception_fp_denorm_src 0
		.amdhsa_exception_fp_ieee_div_zero 0
		.amdhsa_exception_fp_ieee_overflow 0
		.amdhsa_exception_fp_ieee_underflow 0
		.amdhsa_exception_fp_ieee_inexact 0
		.amdhsa_exception_int_div_zero 0
	.end_amdhsa_kernel
	.section	.text._ZN7rocprim17ROCPRIM_400000_NS6detail17trampoline_kernelINS0_13select_configILj256ELj13ELNS0_17block_load_methodE3ELS4_3ELS4_3ELNS0_20block_scan_algorithmE0ELj4294967295EEENS1_25partition_config_selectorILNS1_17partition_subalgoE4EjNS0_10empty_typeEbEEZZNS1_14partition_implILS8_4ELb0ES6_15HIP_vector_typeIjLj2EENS0_17counting_iteratorIjlEEPS9_SG_NS0_5tupleIJPjSI_NS0_16reverse_iteratorISI_EEEEENSH_IJSG_SG_SG_EEES9_SI_JZNS1_25segmented_radix_sort_implINS0_14default_configELb1EPKiPiPKlPlN2at6native12_GLOBAL__N_18offset_tEEE10hipError_tPvRmT1_PNSt15iterator_traitsIS12_E10value_typeET2_T3_PNS13_IS18_E10value_typeET4_jRbjT5_S1E_jjP12ihipStream_tbEUljE_ZNSN_ISO_Lb1ESQ_SR_ST_SU_SY_EESZ_S10_S11_S12_S16_S17_S18_S1B_S1C_jS1D_jS1E_S1E_jjS1G_bEUljE0_EEESZ_S10_S11_S18_S1C_S1E_T6_T7_T9_mT8_S1G_bDpT10_ENKUlT_T0_E_clISt17integral_constantIbLb1EES1U_EEDaS1P_S1Q_EUlS1P_E_NS1_11comp_targetILNS1_3genE5ELNS1_11target_archE942ELNS1_3gpuE9ELNS1_3repE0EEENS1_30default_config_static_selectorELNS0_4arch9wavefront6targetE0EEEvS12_,"axG",@progbits,_ZN7rocprim17ROCPRIM_400000_NS6detail17trampoline_kernelINS0_13select_configILj256ELj13ELNS0_17block_load_methodE3ELS4_3ELS4_3ELNS0_20block_scan_algorithmE0ELj4294967295EEENS1_25partition_config_selectorILNS1_17partition_subalgoE4EjNS0_10empty_typeEbEEZZNS1_14partition_implILS8_4ELb0ES6_15HIP_vector_typeIjLj2EENS0_17counting_iteratorIjlEEPS9_SG_NS0_5tupleIJPjSI_NS0_16reverse_iteratorISI_EEEEENSH_IJSG_SG_SG_EEES9_SI_JZNS1_25segmented_radix_sort_implINS0_14default_configELb1EPKiPiPKlPlN2at6native12_GLOBAL__N_18offset_tEEE10hipError_tPvRmT1_PNSt15iterator_traitsIS12_E10value_typeET2_T3_PNS13_IS18_E10value_typeET4_jRbjT5_S1E_jjP12ihipStream_tbEUljE_ZNSN_ISO_Lb1ESQ_SR_ST_SU_SY_EESZ_S10_S11_S12_S16_S17_S18_S1B_S1C_jS1D_jS1E_S1E_jjS1G_bEUljE0_EEESZ_S10_S11_S18_S1C_S1E_T6_T7_T9_mT8_S1G_bDpT10_ENKUlT_T0_E_clISt17integral_constantIbLb1EES1U_EEDaS1P_S1Q_EUlS1P_E_NS1_11comp_targetILNS1_3genE5ELNS1_11target_archE942ELNS1_3gpuE9ELNS1_3repE0EEENS1_30default_config_static_selectorELNS0_4arch9wavefront6targetE0EEEvS12_,comdat
.Lfunc_end442:
	.size	_ZN7rocprim17ROCPRIM_400000_NS6detail17trampoline_kernelINS0_13select_configILj256ELj13ELNS0_17block_load_methodE3ELS4_3ELS4_3ELNS0_20block_scan_algorithmE0ELj4294967295EEENS1_25partition_config_selectorILNS1_17partition_subalgoE4EjNS0_10empty_typeEbEEZZNS1_14partition_implILS8_4ELb0ES6_15HIP_vector_typeIjLj2EENS0_17counting_iteratorIjlEEPS9_SG_NS0_5tupleIJPjSI_NS0_16reverse_iteratorISI_EEEEENSH_IJSG_SG_SG_EEES9_SI_JZNS1_25segmented_radix_sort_implINS0_14default_configELb1EPKiPiPKlPlN2at6native12_GLOBAL__N_18offset_tEEE10hipError_tPvRmT1_PNSt15iterator_traitsIS12_E10value_typeET2_T3_PNS13_IS18_E10value_typeET4_jRbjT5_S1E_jjP12ihipStream_tbEUljE_ZNSN_ISO_Lb1ESQ_SR_ST_SU_SY_EESZ_S10_S11_S12_S16_S17_S18_S1B_S1C_jS1D_jS1E_S1E_jjS1G_bEUljE0_EEESZ_S10_S11_S18_S1C_S1E_T6_T7_T9_mT8_S1G_bDpT10_ENKUlT_T0_E_clISt17integral_constantIbLb1EES1U_EEDaS1P_S1Q_EUlS1P_E_NS1_11comp_targetILNS1_3genE5ELNS1_11target_archE942ELNS1_3gpuE9ELNS1_3repE0EEENS1_30default_config_static_selectorELNS0_4arch9wavefront6targetE0EEEvS12_, .Lfunc_end442-_ZN7rocprim17ROCPRIM_400000_NS6detail17trampoline_kernelINS0_13select_configILj256ELj13ELNS0_17block_load_methodE3ELS4_3ELS4_3ELNS0_20block_scan_algorithmE0ELj4294967295EEENS1_25partition_config_selectorILNS1_17partition_subalgoE4EjNS0_10empty_typeEbEEZZNS1_14partition_implILS8_4ELb0ES6_15HIP_vector_typeIjLj2EENS0_17counting_iteratorIjlEEPS9_SG_NS0_5tupleIJPjSI_NS0_16reverse_iteratorISI_EEEEENSH_IJSG_SG_SG_EEES9_SI_JZNS1_25segmented_radix_sort_implINS0_14default_configELb1EPKiPiPKlPlN2at6native12_GLOBAL__N_18offset_tEEE10hipError_tPvRmT1_PNSt15iterator_traitsIS12_E10value_typeET2_T3_PNS13_IS18_E10value_typeET4_jRbjT5_S1E_jjP12ihipStream_tbEUljE_ZNSN_ISO_Lb1ESQ_SR_ST_SU_SY_EESZ_S10_S11_S12_S16_S17_S18_S1B_S1C_jS1D_jS1E_S1E_jjS1G_bEUljE0_EEESZ_S10_S11_S18_S1C_S1E_T6_T7_T9_mT8_S1G_bDpT10_ENKUlT_T0_E_clISt17integral_constantIbLb1EES1U_EEDaS1P_S1Q_EUlS1P_E_NS1_11comp_targetILNS1_3genE5ELNS1_11target_archE942ELNS1_3gpuE9ELNS1_3repE0EEENS1_30default_config_static_selectorELNS0_4arch9wavefront6targetE0EEEvS12_
                                        ; -- End function
	.set _ZN7rocprim17ROCPRIM_400000_NS6detail17trampoline_kernelINS0_13select_configILj256ELj13ELNS0_17block_load_methodE3ELS4_3ELS4_3ELNS0_20block_scan_algorithmE0ELj4294967295EEENS1_25partition_config_selectorILNS1_17partition_subalgoE4EjNS0_10empty_typeEbEEZZNS1_14partition_implILS8_4ELb0ES6_15HIP_vector_typeIjLj2EENS0_17counting_iteratorIjlEEPS9_SG_NS0_5tupleIJPjSI_NS0_16reverse_iteratorISI_EEEEENSH_IJSG_SG_SG_EEES9_SI_JZNS1_25segmented_radix_sort_implINS0_14default_configELb1EPKiPiPKlPlN2at6native12_GLOBAL__N_18offset_tEEE10hipError_tPvRmT1_PNSt15iterator_traitsIS12_E10value_typeET2_T3_PNS13_IS18_E10value_typeET4_jRbjT5_S1E_jjP12ihipStream_tbEUljE_ZNSN_ISO_Lb1ESQ_SR_ST_SU_SY_EESZ_S10_S11_S12_S16_S17_S18_S1B_S1C_jS1D_jS1E_S1E_jjS1G_bEUljE0_EEESZ_S10_S11_S18_S1C_S1E_T6_T7_T9_mT8_S1G_bDpT10_ENKUlT_T0_E_clISt17integral_constantIbLb1EES1U_EEDaS1P_S1Q_EUlS1P_E_NS1_11comp_targetILNS1_3genE5ELNS1_11target_archE942ELNS1_3gpuE9ELNS1_3repE0EEENS1_30default_config_static_selectorELNS0_4arch9wavefront6targetE0EEEvS12_.num_vgpr, 0
	.set _ZN7rocprim17ROCPRIM_400000_NS6detail17trampoline_kernelINS0_13select_configILj256ELj13ELNS0_17block_load_methodE3ELS4_3ELS4_3ELNS0_20block_scan_algorithmE0ELj4294967295EEENS1_25partition_config_selectorILNS1_17partition_subalgoE4EjNS0_10empty_typeEbEEZZNS1_14partition_implILS8_4ELb0ES6_15HIP_vector_typeIjLj2EENS0_17counting_iteratorIjlEEPS9_SG_NS0_5tupleIJPjSI_NS0_16reverse_iteratorISI_EEEEENSH_IJSG_SG_SG_EEES9_SI_JZNS1_25segmented_radix_sort_implINS0_14default_configELb1EPKiPiPKlPlN2at6native12_GLOBAL__N_18offset_tEEE10hipError_tPvRmT1_PNSt15iterator_traitsIS12_E10value_typeET2_T3_PNS13_IS18_E10value_typeET4_jRbjT5_S1E_jjP12ihipStream_tbEUljE_ZNSN_ISO_Lb1ESQ_SR_ST_SU_SY_EESZ_S10_S11_S12_S16_S17_S18_S1B_S1C_jS1D_jS1E_S1E_jjS1G_bEUljE0_EEESZ_S10_S11_S18_S1C_S1E_T6_T7_T9_mT8_S1G_bDpT10_ENKUlT_T0_E_clISt17integral_constantIbLb1EES1U_EEDaS1P_S1Q_EUlS1P_E_NS1_11comp_targetILNS1_3genE5ELNS1_11target_archE942ELNS1_3gpuE9ELNS1_3repE0EEENS1_30default_config_static_selectorELNS0_4arch9wavefront6targetE0EEEvS12_.num_agpr, 0
	.set _ZN7rocprim17ROCPRIM_400000_NS6detail17trampoline_kernelINS0_13select_configILj256ELj13ELNS0_17block_load_methodE3ELS4_3ELS4_3ELNS0_20block_scan_algorithmE0ELj4294967295EEENS1_25partition_config_selectorILNS1_17partition_subalgoE4EjNS0_10empty_typeEbEEZZNS1_14partition_implILS8_4ELb0ES6_15HIP_vector_typeIjLj2EENS0_17counting_iteratorIjlEEPS9_SG_NS0_5tupleIJPjSI_NS0_16reverse_iteratorISI_EEEEENSH_IJSG_SG_SG_EEES9_SI_JZNS1_25segmented_radix_sort_implINS0_14default_configELb1EPKiPiPKlPlN2at6native12_GLOBAL__N_18offset_tEEE10hipError_tPvRmT1_PNSt15iterator_traitsIS12_E10value_typeET2_T3_PNS13_IS18_E10value_typeET4_jRbjT5_S1E_jjP12ihipStream_tbEUljE_ZNSN_ISO_Lb1ESQ_SR_ST_SU_SY_EESZ_S10_S11_S12_S16_S17_S18_S1B_S1C_jS1D_jS1E_S1E_jjS1G_bEUljE0_EEESZ_S10_S11_S18_S1C_S1E_T6_T7_T9_mT8_S1G_bDpT10_ENKUlT_T0_E_clISt17integral_constantIbLb1EES1U_EEDaS1P_S1Q_EUlS1P_E_NS1_11comp_targetILNS1_3genE5ELNS1_11target_archE942ELNS1_3gpuE9ELNS1_3repE0EEENS1_30default_config_static_selectorELNS0_4arch9wavefront6targetE0EEEvS12_.numbered_sgpr, 0
	.set _ZN7rocprim17ROCPRIM_400000_NS6detail17trampoline_kernelINS0_13select_configILj256ELj13ELNS0_17block_load_methodE3ELS4_3ELS4_3ELNS0_20block_scan_algorithmE0ELj4294967295EEENS1_25partition_config_selectorILNS1_17partition_subalgoE4EjNS0_10empty_typeEbEEZZNS1_14partition_implILS8_4ELb0ES6_15HIP_vector_typeIjLj2EENS0_17counting_iteratorIjlEEPS9_SG_NS0_5tupleIJPjSI_NS0_16reverse_iteratorISI_EEEEENSH_IJSG_SG_SG_EEES9_SI_JZNS1_25segmented_radix_sort_implINS0_14default_configELb1EPKiPiPKlPlN2at6native12_GLOBAL__N_18offset_tEEE10hipError_tPvRmT1_PNSt15iterator_traitsIS12_E10value_typeET2_T3_PNS13_IS18_E10value_typeET4_jRbjT5_S1E_jjP12ihipStream_tbEUljE_ZNSN_ISO_Lb1ESQ_SR_ST_SU_SY_EESZ_S10_S11_S12_S16_S17_S18_S1B_S1C_jS1D_jS1E_S1E_jjS1G_bEUljE0_EEESZ_S10_S11_S18_S1C_S1E_T6_T7_T9_mT8_S1G_bDpT10_ENKUlT_T0_E_clISt17integral_constantIbLb1EES1U_EEDaS1P_S1Q_EUlS1P_E_NS1_11comp_targetILNS1_3genE5ELNS1_11target_archE942ELNS1_3gpuE9ELNS1_3repE0EEENS1_30default_config_static_selectorELNS0_4arch9wavefront6targetE0EEEvS12_.num_named_barrier, 0
	.set _ZN7rocprim17ROCPRIM_400000_NS6detail17trampoline_kernelINS0_13select_configILj256ELj13ELNS0_17block_load_methodE3ELS4_3ELS4_3ELNS0_20block_scan_algorithmE0ELj4294967295EEENS1_25partition_config_selectorILNS1_17partition_subalgoE4EjNS0_10empty_typeEbEEZZNS1_14partition_implILS8_4ELb0ES6_15HIP_vector_typeIjLj2EENS0_17counting_iteratorIjlEEPS9_SG_NS0_5tupleIJPjSI_NS0_16reverse_iteratorISI_EEEEENSH_IJSG_SG_SG_EEES9_SI_JZNS1_25segmented_radix_sort_implINS0_14default_configELb1EPKiPiPKlPlN2at6native12_GLOBAL__N_18offset_tEEE10hipError_tPvRmT1_PNSt15iterator_traitsIS12_E10value_typeET2_T3_PNS13_IS18_E10value_typeET4_jRbjT5_S1E_jjP12ihipStream_tbEUljE_ZNSN_ISO_Lb1ESQ_SR_ST_SU_SY_EESZ_S10_S11_S12_S16_S17_S18_S1B_S1C_jS1D_jS1E_S1E_jjS1G_bEUljE0_EEESZ_S10_S11_S18_S1C_S1E_T6_T7_T9_mT8_S1G_bDpT10_ENKUlT_T0_E_clISt17integral_constantIbLb1EES1U_EEDaS1P_S1Q_EUlS1P_E_NS1_11comp_targetILNS1_3genE5ELNS1_11target_archE942ELNS1_3gpuE9ELNS1_3repE0EEENS1_30default_config_static_selectorELNS0_4arch9wavefront6targetE0EEEvS12_.private_seg_size, 0
	.set _ZN7rocprim17ROCPRIM_400000_NS6detail17trampoline_kernelINS0_13select_configILj256ELj13ELNS0_17block_load_methodE3ELS4_3ELS4_3ELNS0_20block_scan_algorithmE0ELj4294967295EEENS1_25partition_config_selectorILNS1_17partition_subalgoE4EjNS0_10empty_typeEbEEZZNS1_14partition_implILS8_4ELb0ES6_15HIP_vector_typeIjLj2EENS0_17counting_iteratorIjlEEPS9_SG_NS0_5tupleIJPjSI_NS0_16reverse_iteratorISI_EEEEENSH_IJSG_SG_SG_EEES9_SI_JZNS1_25segmented_radix_sort_implINS0_14default_configELb1EPKiPiPKlPlN2at6native12_GLOBAL__N_18offset_tEEE10hipError_tPvRmT1_PNSt15iterator_traitsIS12_E10value_typeET2_T3_PNS13_IS18_E10value_typeET4_jRbjT5_S1E_jjP12ihipStream_tbEUljE_ZNSN_ISO_Lb1ESQ_SR_ST_SU_SY_EESZ_S10_S11_S12_S16_S17_S18_S1B_S1C_jS1D_jS1E_S1E_jjS1G_bEUljE0_EEESZ_S10_S11_S18_S1C_S1E_T6_T7_T9_mT8_S1G_bDpT10_ENKUlT_T0_E_clISt17integral_constantIbLb1EES1U_EEDaS1P_S1Q_EUlS1P_E_NS1_11comp_targetILNS1_3genE5ELNS1_11target_archE942ELNS1_3gpuE9ELNS1_3repE0EEENS1_30default_config_static_selectorELNS0_4arch9wavefront6targetE0EEEvS12_.uses_vcc, 0
	.set _ZN7rocprim17ROCPRIM_400000_NS6detail17trampoline_kernelINS0_13select_configILj256ELj13ELNS0_17block_load_methodE3ELS4_3ELS4_3ELNS0_20block_scan_algorithmE0ELj4294967295EEENS1_25partition_config_selectorILNS1_17partition_subalgoE4EjNS0_10empty_typeEbEEZZNS1_14partition_implILS8_4ELb0ES6_15HIP_vector_typeIjLj2EENS0_17counting_iteratorIjlEEPS9_SG_NS0_5tupleIJPjSI_NS0_16reverse_iteratorISI_EEEEENSH_IJSG_SG_SG_EEES9_SI_JZNS1_25segmented_radix_sort_implINS0_14default_configELb1EPKiPiPKlPlN2at6native12_GLOBAL__N_18offset_tEEE10hipError_tPvRmT1_PNSt15iterator_traitsIS12_E10value_typeET2_T3_PNS13_IS18_E10value_typeET4_jRbjT5_S1E_jjP12ihipStream_tbEUljE_ZNSN_ISO_Lb1ESQ_SR_ST_SU_SY_EESZ_S10_S11_S12_S16_S17_S18_S1B_S1C_jS1D_jS1E_S1E_jjS1G_bEUljE0_EEESZ_S10_S11_S18_S1C_S1E_T6_T7_T9_mT8_S1G_bDpT10_ENKUlT_T0_E_clISt17integral_constantIbLb1EES1U_EEDaS1P_S1Q_EUlS1P_E_NS1_11comp_targetILNS1_3genE5ELNS1_11target_archE942ELNS1_3gpuE9ELNS1_3repE0EEENS1_30default_config_static_selectorELNS0_4arch9wavefront6targetE0EEEvS12_.uses_flat_scratch, 0
	.set _ZN7rocprim17ROCPRIM_400000_NS6detail17trampoline_kernelINS0_13select_configILj256ELj13ELNS0_17block_load_methodE3ELS4_3ELS4_3ELNS0_20block_scan_algorithmE0ELj4294967295EEENS1_25partition_config_selectorILNS1_17partition_subalgoE4EjNS0_10empty_typeEbEEZZNS1_14partition_implILS8_4ELb0ES6_15HIP_vector_typeIjLj2EENS0_17counting_iteratorIjlEEPS9_SG_NS0_5tupleIJPjSI_NS0_16reverse_iteratorISI_EEEEENSH_IJSG_SG_SG_EEES9_SI_JZNS1_25segmented_radix_sort_implINS0_14default_configELb1EPKiPiPKlPlN2at6native12_GLOBAL__N_18offset_tEEE10hipError_tPvRmT1_PNSt15iterator_traitsIS12_E10value_typeET2_T3_PNS13_IS18_E10value_typeET4_jRbjT5_S1E_jjP12ihipStream_tbEUljE_ZNSN_ISO_Lb1ESQ_SR_ST_SU_SY_EESZ_S10_S11_S12_S16_S17_S18_S1B_S1C_jS1D_jS1E_S1E_jjS1G_bEUljE0_EEESZ_S10_S11_S18_S1C_S1E_T6_T7_T9_mT8_S1G_bDpT10_ENKUlT_T0_E_clISt17integral_constantIbLb1EES1U_EEDaS1P_S1Q_EUlS1P_E_NS1_11comp_targetILNS1_3genE5ELNS1_11target_archE942ELNS1_3gpuE9ELNS1_3repE0EEENS1_30default_config_static_selectorELNS0_4arch9wavefront6targetE0EEEvS12_.has_dyn_sized_stack, 0
	.set _ZN7rocprim17ROCPRIM_400000_NS6detail17trampoline_kernelINS0_13select_configILj256ELj13ELNS0_17block_load_methodE3ELS4_3ELS4_3ELNS0_20block_scan_algorithmE0ELj4294967295EEENS1_25partition_config_selectorILNS1_17partition_subalgoE4EjNS0_10empty_typeEbEEZZNS1_14partition_implILS8_4ELb0ES6_15HIP_vector_typeIjLj2EENS0_17counting_iteratorIjlEEPS9_SG_NS0_5tupleIJPjSI_NS0_16reverse_iteratorISI_EEEEENSH_IJSG_SG_SG_EEES9_SI_JZNS1_25segmented_radix_sort_implINS0_14default_configELb1EPKiPiPKlPlN2at6native12_GLOBAL__N_18offset_tEEE10hipError_tPvRmT1_PNSt15iterator_traitsIS12_E10value_typeET2_T3_PNS13_IS18_E10value_typeET4_jRbjT5_S1E_jjP12ihipStream_tbEUljE_ZNSN_ISO_Lb1ESQ_SR_ST_SU_SY_EESZ_S10_S11_S12_S16_S17_S18_S1B_S1C_jS1D_jS1E_S1E_jjS1G_bEUljE0_EEESZ_S10_S11_S18_S1C_S1E_T6_T7_T9_mT8_S1G_bDpT10_ENKUlT_T0_E_clISt17integral_constantIbLb1EES1U_EEDaS1P_S1Q_EUlS1P_E_NS1_11comp_targetILNS1_3genE5ELNS1_11target_archE942ELNS1_3gpuE9ELNS1_3repE0EEENS1_30default_config_static_selectorELNS0_4arch9wavefront6targetE0EEEvS12_.has_recursion, 0
	.set _ZN7rocprim17ROCPRIM_400000_NS6detail17trampoline_kernelINS0_13select_configILj256ELj13ELNS0_17block_load_methodE3ELS4_3ELS4_3ELNS0_20block_scan_algorithmE0ELj4294967295EEENS1_25partition_config_selectorILNS1_17partition_subalgoE4EjNS0_10empty_typeEbEEZZNS1_14partition_implILS8_4ELb0ES6_15HIP_vector_typeIjLj2EENS0_17counting_iteratorIjlEEPS9_SG_NS0_5tupleIJPjSI_NS0_16reverse_iteratorISI_EEEEENSH_IJSG_SG_SG_EEES9_SI_JZNS1_25segmented_radix_sort_implINS0_14default_configELb1EPKiPiPKlPlN2at6native12_GLOBAL__N_18offset_tEEE10hipError_tPvRmT1_PNSt15iterator_traitsIS12_E10value_typeET2_T3_PNS13_IS18_E10value_typeET4_jRbjT5_S1E_jjP12ihipStream_tbEUljE_ZNSN_ISO_Lb1ESQ_SR_ST_SU_SY_EESZ_S10_S11_S12_S16_S17_S18_S1B_S1C_jS1D_jS1E_S1E_jjS1G_bEUljE0_EEESZ_S10_S11_S18_S1C_S1E_T6_T7_T9_mT8_S1G_bDpT10_ENKUlT_T0_E_clISt17integral_constantIbLb1EES1U_EEDaS1P_S1Q_EUlS1P_E_NS1_11comp_targetILNS1_3genE5ELNS1_11target_archE942ELNS1_3gpuE9ELNS1_3repE0EEENS1_30default_config_static_selectorELNS0_4arch9wavefront6targetE0EEEvS12_.has_indirect_call, 0
	.section	.AMDGPU.csdata,"",@progbits
; Kernel info:
; codeLenInByte = 0
; TotalNumSgprs: 0
; NumVgprs: 0
; ScratchSize: 0
; MemoryBound: 0
; FloatMode: 240
; IeeeMode: 1
; LDSByteSize: 0 bytes/workgroup (compile time only)
; SGPRBlocks: 0
; VGPRBlocks: 0
; NumSGPRsForWavesPerEU: 1
; NumVGPRsForWavesPerEU: 1
; Occupancy: 16
; WaveLimiterHint : 0
; COMPUTE_PGM_RSRC2:SCRATCH_EN: 0
; COMPUTE_PGM_RSRC2:USER_SGPR: 2
; COMPUTE_PGM_RSRC2:TRAP_HANDLER: 0
; COMPUTE_PGM_RSRC2:TGID_X_EN: 1
; COMPUTE_PGM_RSRC2:TGID_Y_EN: 0
; COMPUTE_PGM_RSRC2:TGID_Z_EN: 0
; COMPUTE_PGM_RSRC2:TIDIG_COMP_CNT: 0
	.section	.text._ZN7rocprim17ROCPRIM_400000_NS6detail17trampoline_kernelINS0_13select_configILj256ELj13ELNS0_17block_load_methodE3ELS4_3ELS4_3ELNS0_20block_scan_algorithmE0ELj4294967295EEENS1_25partition_config_selectorILNS1_17partition_subalgoE4EjNS0_10empty_typeEbEEZZNS1_14partition_implILS8_4ELb0ES6_15HIP_vector_typeIjLj2EENS0_17counting_iteratorIjlEEPS9_SG_NS0_5tupleIJPjSI_NS0_16reverse_iteratorISI_EEEEENSH_IJSG_SG_SG_EEES9_SI_JZNS1_25segmented_radix_sort_implINS0_14default_configELb1EPKiPiPKlPlN2at6native12_GLOBAL__N_18offset_tEEE10hipError_tPvRmT1_PNSt15iterator_traitsIS12_E10value_typeET2_T3_PNS13_IS18_E10value_typeET4_jRbjT5_S1E_jjP12ihipStream_tbEUljE_ZNSN_ISO_Lb1ESQ_SR_ST_SU_SY_EESZ_S10_S11_S12_S16_S17_S18_S1B_S1C_jS1D_jS1E_S1E_jjS1G_bEUljE0_EEESZ_S10_S11_S18_S1C_S1E_T6_T7_T9_mT8_S1G_bDpT10_ENKUlT_T0_E_clISt17integral_constantIbLb1EES1U_EEDaS1P_S1Q_EUlS1P_E_NS1_11comp_targetILNS1_3genE4ELNS1_11target_archE910ELNS1_3gpuE8ELNS1_3repE0EEENS1_30default_config_static_selectorELNS0_4arch9wavefront6targetE0EEEvS12_,"axG",@progbits,_ZN7rocprim17ROCPRIM_400000_NS6detail17trampoline_kernelINS0_13select_configILj256ELj13ELNS0_17block_load_methodE3ELS4_3ELS4_3ELNS0_20block_scan_algorithmE0ELj4294967295EEENS1_25partition_config_selectorILNS1_17partition_subalgoE4EjNS0_10empty_typeEbEEZZNS1_14partition_implILS8_4ELb0ES6_15HIP_vector_typeIjLj2EENS0_17counting_iteratorIjlEEPS9_SG_NS0_5tupleIJPjSI_NS0_16reverse_iteratorISI_EEEEENSH_IJSG_SG_SG_EEES9_SI_JZNS1_25segmented_radix_sort_implINS0_14default_configELb1EPKiPiPKlPlN2at6native12_GLOBAL__N_18offset_tEEE10hipError_tPvRmT1_PNSt15iterator_traitsIS12_E10value_typeET2_T3_PNS13_IS18_E10value_typeET4_jRbjT5_S1E_jjP12ihipStream_tbEUljE_ZNSN_ISO_Lb1ESQ_SR_ST_SU_SY_EESZ_S10_S11_S12_S16_S17_S18_S1B_S1C_jS1D_jS1E_S1E_jjS1G_bEUljE0_EEESZ_S10_S11_S18_S1C_S1E_T6_T7_T9_mT8_S1G_bDpT10_ENKUlT_T0_E_clISt17integral_constantIbLb1EES1U_EEDaS1P_S1Q_EUlS1P_E_NS1_11comp_targetILNS1_3genE4ELNS1_11target_archE910ELNS1_3gpuE8ELNS1_3repE0EEENS1_30default_config_static_selectorELNS0_4arch9wavefront6targetE0EEEvS12_,comdat
	.globl	_ZN7rocprim17ROCPRIM_400000_NS6detail17trampoline_kernelINS0_13select_configILj256ELj13ELNS0_17block_load_methodE3ELS4_3ELS4_3ELNS0_20block_scan_algorithmE0ELj4294967295EEENS1_25partition_config_selectorILNS1_17partition_subalgoE4EjNS0_10empty_typeEbEEZZNS1_14partition_implILS8_4ELb0ES6_15HIP_vector_typeIjLj2EENS0_17counting_iteratorIjlEEPS9_SG_NS0_5tupleIJPjSI_NS0_16reverse_iteratorISI_EEEEENSH_IJSG_SG_SG_EEES9_SI_JZNS1_25segmented_radix_sort_implINS0_14default_configELb1EPKiPiPKlPlN2at6native12_GLOBAL__N_18offset_tEEE10hipError_tPvRmT1_PNSt15iterator_traitsIS12_E10value_typeET2_T3_PNS13_IS18_E10value_typeET4_jRbjT5_S1E_jjP12ihipStream_tbEUljE_ZNSN_ISO_Lb1ESQ_SR_ST_SU_SY_EESZ_S10_S11_S12_S16_S17_S18_S1B_S1C_jS1D_jS1E_S1E_jjS1G_bEUljE0_EEESZ_S10_S11_S18_S1C_S1E_T6_T7_T9_mT8_S1G_bDpT10_ENKUlT_T0_E_clISt17integral_constantIbLb1EES1U_EEDaS1P_S1Q_EUlS1P_E_NS1_11comp_targetILNS1_3genE4ELNS1_11target_archE910ELNS1_3gpuE8ELNS1_3repE0EEENS1_30default_config_static_selectorELNS0_4arch9wavefront6targetE0EEEvS12_ ; -- Begin function _ZN7rocprim17ROCPRIM_400000_NS6detail17trampoline_kernelINS0_13select_configILj256ELj13ELNS0_17block_load_methodE3ELS4_3ELS4_3ELNS0_20block_scan_algorithmE0ELj4294967295EEENS1_25partition_config_selectorILNS1_17partition_subalgoE4EjNS0_10empty_typeEbEEZZNS1_14partition_implILS8_4ELb0ES6_15HIP_vector_typeIjLj2EENS0_17counting_iteratorIjlEEPS9_SG_NS0_5tupleIJPjSI_NS0_16reverse_iteratorISI_EEEEENSH_IJSG_SG_SG_EEES9_SI_JZNS1_25segmented_radix_sort_implINS0_14default_configELb1EPKiPiPKlPlN2at6native12_GLOBAL__N_18offset_tEEE10hipError_tPvRmT1_PNSt15iterator_traitsIS12_E10value_typeET2_T3_PNS13_IS18_E10value_typeET4_jRbjT5_S1E_jjP12ihipStream_tbEUljE_ZNSN_ISO_Lb1ESQ_SR_ST_SU_SY_EESZ_S10_S11_S12_S16_S17_S18_S1B_S1C_jS1D_jS1E_S1E_jjS1G_bEUljE0_EEESZ_S10_S11_S18_S1C_S1E_T6_T7_T9_mT8_S1G_bDpT10_ENKUlT_T0_E_clISt17integral_constantIbLb1EES1U_EEDaS1P_S1Q_EUlS1P_E_NS1_11comp_targetILNS1_3genE4ELNS1_11target_archE910ELNS1_3gpuE8ELNS1_3repE0EEENS1_30default_config_static_selectorELNS0_4arch9wavefront6targetE0EEEvS12_
	.p2align	8
	.type	_ZN7rocprim17ROCPRIM_400000_NS6detail17trampoline_kernelINS0_13select_configILj256ELj13ELNS0_17block_load_methodE3ELS4_3ELS4_3ELNS0_20block_scan_algorithmE0ELj4294967295EEENS1_25partition_config_selectorILNS1_17partition_subalgoE4EjNS0_10empty_typeEbEEZZNS1_14partition_implILS8_4ELb0ES6_15HIP_vector_typeIjLj2EENS0_17counting_iteratorIjlEEPS9_SG_NS0_5tupleIJPjSI_NS0_16reverse_iteratorISI_EEEEENSH_IJSG_SG_SG_EEES9_SI_JZNS1_25segmented_radix_sort_implINS0_14default_configELb1EPKiPiPKlPlN2at6native12_GLOBAL__N_18offset_tEEE10hipError_tPvRmT1_PNSt15iterator_traitsIS12_E10value_typeET2_T3_PNS13_IS18_E10value_typeET4_jRbjT5_S1E_jjP12ihipStream_tbEUljE_ZNSN_ISO_Lb1ESQ_SR_ST_SU_SY_EESZ_S10_S11_S12_S16_S17_S18_S1B_S1C_jS1D_jS1E_S1E_jjS1G_bEUljE0_EEESZ_S10_S11_S18_S1C_S1E_T6_T7_T9_mT8_S1G_bDpT10_ENKUlT_T0_E_clISt17integral_constantIbLb1EES1U_EEDaS1P_S1Q_EUlS1P_E_NS1_11comp_targetILNS1_3genE4ELNS1_11target_archE910ELNS1_3gpuE8ELNS1_3repE0EEENS1_30default_config_static_selectorELNS0_4arch9wavefront6targetE0EEEvS12_,@function
_ZN7rocprim17ROCPRIM_400000_NS6detail17trampoline_kernelINS0_13select_configILj256ELj13ELNS0_17block_load_methodE3ELS4_3ELS4_3ELNS0_20block_scan_algorithmE0ELj4294967295EEENS1_25partition_config_selectorILNS1_17partition_subalgoE4EjNS0_10empty_typeEbEEZZNS1_14partition_implILS8_4ELb0ES6_15HIP_vector_typeIjLj2EENS0_17counting_iteratorIjlEEPS9_SG_NS0_5tupleIJPjSI_NS0_16reverse_iteratorISI_EEEEENSH_IJSG_SG_SG_EEES9_SI_JZNS1_25segmented_radix_sort_implINS0_14default_configELb1EPKiPiPKlPlN2at6native12_GLOBAL__N_18offset_tEEE10hipError_tPvRmT1_PNSt15iterator_traitsIS12_E10value_typeET2_T3_PNS13_IS18_E10value_typeET4_jRbjT5_S1E_jjP12ihipStream_tbEUljE_ZNSN_ISO_Lb1ESQ_SR_ST_SU_SY_EESZ_S10_S11_S12_S16_S17_S18_S1B_S1C_jS1D_jS1E_S1E_jjS1G_bEUljE0_EEESZ_S10_S11_S18_S1C_S1E_T6_T7_T9_mT8_S1G_bDpT10_ENKUlT_T0_E_clISt17integral_constantIbLb1EES1U_EEDaS1P_S1Q_EUlS1P_E_NS1_11comp_targetILNS1_3genE4ELNS1_11target_archE910ELNS1_3gpuE8ELNS1_3repE0EEENS1_30default_config_static_selectorELNS0_4arch9wavefront6targetE0EEEvS12_: ; @_ZN7rocprim17ROCPRIM_400000_NS6detail17trampoline_kernelINS0_13select_configILj256ELj13ELNS0_17block_load_methodE3ELS4_3ELS4_3ELNS0_20block_scan_algorithmE0ELj4294967295EEENS1_25partition_config_selectorILNS1_17partition_subalgoE4EjNS0_10empty_typeEbEEZZNS1_14partition_implILS8_4ELb0ES6_15HIP_vector_typeIjLj2EENS0_17counting_iteratorIjlEEPS9_SG_NS0_5tupleIJPjSI_NS0_16reverse_iteratorISI_EEEEENSH_IJSG_SG_SG_EEES9_SI_JZNS1_25segmented_radix_sort_implINS0_14default_configELb1EPKiPiPKlPlN2at6native12_GLOBAL__N_18offset_tEEE10hipError_tPvRmT1_PNSt15iterator_traitsIS12_E10value_typeET2_T3_PNS13_IS18_E10value_typeET4_jRbjT5_S1E_jjP12ihipStream_tbEUljE_ZNSN_ISO_Lb1ESQ_SR_ST_SU_SY_EESZ_S10_S11_S12_S16_S17_S18_S1B_S1C_jS1D_jS1E_S1E_jjS1G_bEUljE0_EEESZ_S10_S11_S18_S1C_S1E_T6_T7_T9_mT8_S1G_bDpT10_ENKUlT_T0_E_clISt17integral_constantIbLb1EES1U_EEDaS1P_S1Q_EUlS1P_E_NS1_11comp_targetILNS1_3genE4ELNS1_11target_archE910ELNS1_3gpuE8ELNS1_3repE0EEENS1_30default_config_static_selectorELNS0_4arch9wavefront6targetE0EEEvS12_
; %bb.0:
	.section	.rodata,"a",@progbits
	.p2align	6, 0x0
	.amdhsa_kernel _ZN7rocprim17ROCPRIM_400000_NS6detail17trampoline_kernelINS0_13select_configILj256ELj13ELNS0_17block_load_methodE3ELS4_3ELS4_3ELNS0_20block_scan_algorithmE0ELj4294967295EEENS1_25partition_config_selectorILNS1_17partition_subalgoE4EjNS0_10empty_typeEbEEZZNS1_14partition_implILS8_4ELb0ES6_15HIP_vector_typeIjLj2EENS0_17counting_iteratorIjlEEPS9_SG_NS0_5tupleIJPjSI_NS0_16reverse_iteratorISI_EEEEENSH_IJSG_SG_SG_EEES9_SI_JZNS1_25segmented_radix_sort_implINS0_14default_configELb1EPKiPiPKlPlN2at6native12_GLOBAL__N_18offset_tEEE10hipError_tPvRmT1_PNSt15iterator_traitsIS12_E10value_typeET2_T3_PNS13_IS18_E10value_typeET4_jRbjT5_S1E_jjP12ihipStream_tbEUljE_ZNSN_ISO_Lb1ESQ_SR_ST_SU_SY_EESZ_S10_S11_S12_S16_S17_S18_S1B_S1C_jS1D_jS1E_S1E_jjS1G_bEUljE0_EEESZ_S10_S11_S18_S1C_S1E_T6_T7_T9_mT8_S1G_bDpT10_ENKUlT_T0_E_clISt17integral_constantIbLb1EES1U_EEDaS1P_S1Q_EUlS1P_E_NS1_11comp_targetILNS1_3genE4ELNS1_11target_archE910ELNS1_3gpuE8ELNS1_3repE0EEENS1_30default_config_static_selectorELNS0_4arch9wavefront6targetE0EEEvS12_
		.amdhsa_group_segment_fixed_size 0
		.amdhsa_private_segment_fixed_size 0
		.amdhsa_kernarg_size 184
		.amdhsa_user_sgpr_count 2
		.amdhsa_user_sgpr_dispatch_ptr 0
		.amdhsa_user_sgpr_queue_ptr 0
		.amdhsa_user_sgpr_kernarg_segment_ptr 1
		.amdhsa_user_sgpr_dispatch_id 0
		.amdhsa_user_sgpr_private_segment_size 0
		.amdhsa_wavefront_size32 1
		.amdhsa_uses_dynamic_stack 0
		.amdhsa_enable_private_segment 0
		.amdhsa_system_sgpr_workgroup_id_x 1
		.amdhsa_system_sgpr_workgroup_id_y 0
		.amdhsa_system_sgpr_workgroup_id_z 0
		.amdhsa_system_sgpr_workgroup_info 0
		.amdhsa_system_vgpr_workitem_id 0
		.amdhsa_next_free_vgpr 1
		.amdhsa_next_free_sgpr 1
		.amdhsa_reserve_vcc 0
		.amdhsa_float_round_mode_32 0
		.amdhsa_float_round_mode_16_64 0
		.amdhsa_float_denorm_mode_32 3
		.amdhsa_float_denorm_mode_16_64 3
		.amdhsa_fp16_overflow 0
		.amdhsa_workgroup_processor_mode 1
		.amdhsa_memory_ordered 1
		.amdhsa_forward_progress 1
		.amdhsa_inst_pref_size 0
		.amdhsa_round_robin_scheduling 0
		.amdhsa_exception_fp_ieee_invalid_op 0
		.amdhsa_exception_fp_denorm_src 0
		.amdhsa_exception_fp_ieee_div_zero 0
		.amdhsa_exception_fp_ieee_overflow 0
		.amdhsa_exception_fp_ieee_underflow 0
		.amdhsa_exception_fp_ieee_inexact 0
		.amdhsa_exception_int_div_zero 0
	.end_amdhsa_kernel
	.section	.text._ZN7rocprim17ROCPRIM_400000_NS6detail17trampoline_kernelINS0_13select_configILj256ELj13ELNS0_17block_load_methodE3ELS4_3ELS4_3ELNS0_20block_scan_algorithmE0ELj4294967295EEENS1_25partition_config_selectorILNS1_17partition_subalgoE4EjNS0_10empty_typeEbEEZZNS1_14partition_implILS8_4ELb0ES6_15HIP_vector_typeIjLj2EENS0_17counting_iteratorIjlEEPS9_SG_NS0_5tupleIJPjSI_NS0_16reverse_iteratorISI_EEEEENSH_IJSG_SG_SG_EEES9_SI_JZNS1_25segmented_radix_sort_implINS0_14default_configELb1EPKiPiPKlPlN2at6native12_GLOBAL__N_18offset_tEEE10hipError_tPvRmT1_PNSt15iterator_traitsIS12_E10value_typeET2_T3_PNS13_IS18_E10value_typeET4_jRbjT5_S1E_jjP12ihipStream_tbEUljE_ZNSN_ISO_Lb1ESQ_SR_ST_SU_SY_EESZ_S10_S11_S12_S16_S17_S18_S1B_S1C_jS1D_jS1E_S1E_jjS1G_bEUljE0_EEESZ_S10_S11_S18_S1C_S1E_T6_T7_T9_mT8_S1G_bDpT10_ENKUlT_T0_E_clISt17integral_constantIbLb1EES1U_EEDaS1P_S1Q_EUlS1P_E_NS1_11comp_targetILNS1_3genE4ELNS1_11target_archE910ELNS1_3gpuE8ELNS1_3repE0EEENS1_30default_config_static_selectorELNS0_4arch9wavefront6targetE0EEEvS12_,"axG",@progbits,_ZN7rocprim17ROCPRIM_400000_NS6detail17trampoline_kernelINS0_13select_configILj256ELj13ELNS0_17block_load_methodE3ELS4_3ELS4_3ELNS0_20block_scan_algorithmE0ELj4294967295EEENS1_25partition_config_selectorILNS1_17partition_subalgoE4EjNS0_10empty_typeEbEEZZNS1_14partition_implILS8_4ELb0ES6_15HIP_vector_typeIjLj2EENS0_17counting_iteratorIjlEEPS9_SG_NS0_5tupleIJPjSI_NS0_16reverse_iteratorISI_EEEEENSH_IJSG_SG_SG_EEES9_SI_JZNS1_25segmented_radix_sort_implINS0_14default_configELb1EPKiPiPKlPlN2at6native12_GLOBAL__N_18offset_tEEE10hipError_tPvRmT1_PNSt15iterator_traitsIS12_E10value_typeET2_T3_PNS13_IS18_E10value_typeET4_jRbjT5_S1E_jjP12ihipStream_tbEUljE_ZNSN_ISO_Lb1ESQ_SR_ST_SU_SY_EESZ_S10_S11_S12_S16_S17_S18_S1B_S1C_jS1D_jS1E_S1E_jjS1G_bEUljE0_EEESZ_S10_S11_S18_S1C_S1E_T6_T7_T9_mT8_S1G_bDpT10_ENKUlT_T0_E_clISt17integral_constantIbLb1EES1U_EEDaS1P_S1Q_EUlS1P_E_NS1_11comp_targetILNS1_3genE4ELNS1_11target_archE910ELNS1_3gpuE8ELNS1_3repE0EEENS1_30default_config_static_selectorELNS0_4arch9wavefront6targetE0EEEvS12_,comdat
.Lfunc_end443:
	.size	_ZN7rocprim17ROCPRIM_400000_NS6detail17trampoline_kernelINS0_13select_configILj256ELj13ELNS0_17block_load_methodE3ELS4_3ELS4_3ELNS0_20block_scan_algorithmE0ELj4294967295EEENS1_25partition_config_selectorILNS1_17partition_subalgoE4EjNS0_10empty_typeEbEEZZNS1_14partition_implILS8_4ELb0ES6_15HIP_vector_typeIjLj2EENS0_17counting_iteratorIjlEEPS9_SG_NS0_5tupleIJPjSI_NS0_16reverse_iteratorISI_EEEEENSH_IJSG_SG_SG_EEES9_SI_JZNS1_25segmented_radix_sort_implINS0_14default_configELb1EPKiPiPKlPlN2at6native12_GLOBAL__N_18offset_tEEE10hipError_tPvRmT1_PNSt15iterator_traitsIS12_E10value_typeET2_T3_PNS13_IS18_E10value_typeET4_jRbjT5_S1E_jjP12ihipStream_tbEUljE_ZNSN_ISO_Lb1ESQ_SR_ST_SU_SY_EESZ_S10_S11_S12_S16_S17_S18_S1B_S1C_jS1D_jS1E_S1E_jjS1G_bEUljE0_EEESZ_S10_S11_S18_S1C_S1E_T6_T7_T9_mT8_S1G_bDpT10_ENKUlT_T0_E_clISt17integral_constantIbLb1EES1U_EEDaS1P_S1Q_EUlS1P_E_NS1_11comp_targetILNS1_3genE4ELNS1_11target_archE910ELNS1_3gpuE8ELNS1_3repE0EEENS1_30default_config_static_selectorELNS0_4arch9wavefront6targetE0EEEvS12_, .Lfunc_end443-_ZN7rocprim17ROCPRIM_400000_NS6detail17trampoline_kernelINS0_13select_configILj256ELj13ELNS0_17block_load_methodE3ELS4_3ELS4_3ELNS0_20block_scan_algorithmE0ELj4294967295EEENS1_25partition_config_selectorILNS1_17partition_subalgoE4EjNS0_10empty_typeEbEEZZNS1_14partition_implILS8_4ELb0ES6_15HIP_vector_typeIjLj2EENS0_17counting_iteratorIjlEEPS9_SG_NS0_5tupleIJPjSI_NS0_16reverse_iteratorISI_EEEEENSH_IJSG_SG_SG_EEES9_SI_JZNS1_25segmented_radix_sort_implINS0_14default_configELb1EPKiPiPKlPlN2at6native12_GLOBAL__N_18offset_tEEE10hipError_tPvRmT1_PNSt15iterator_traitsIS12_E10value_typeET2_T3_PNS13_IS18_E10value_typeET4_jRbjT5_S1E_jjP12ihipStream_tbEUljE_ZNSN_ISO_Lb1ESQ_SR_ST_SU_SY_EESZ_S10_S11_S12_S16_S17_S18_S1B_S1C_jS1D_jS1E_S1E_jjS1G_bEUljE0_EEESZ_S10_S11_S18_S1C_S1E_T6_T7_T9_mT8_S1G_bDpT10_ENKUlT_T0_E_clISt17integral_constantIbLb1EES1U_EEDaS1P_S1Q_EUlS1P_E_NS1_11comp_targetILNS1_3genE4ELNS1_11target_archE910ELNS1_3gpuE8ELNS1_3repE0EEENS1_30default_config_static_selectorELNS0_4arch9wavefront6targetE0EEEvS12_
                                        ; -- End function
	.set _ZN7rocprim17ROCPRIM_400000_NS6detail17trampoline_kernelINS0_13select_configILj256ELj13ELNS0_17block_load_methodE3ELS4_3ELS4_3ELNS0_20block_scan_algorithmE0ELj4294967295EEENS1_25partition_config_selectorILNS1_17partition_subalgoE4EjNS0_10empty_typeEbEEZZNS1_14partition_implILS8_4ELb0ES6_15HIP_vector_typeIjLj2EENS0_17counting_iteratorIjlEEPS9_SG_NS0_5tupleIJPjSI_NS0_16reverse_iteratorISI_EEEEENSH_IJSG_SG_SG_EEES9_SI_JZNS1_25segmented_radix_sort_implINS0_14default_configELb1EPKiPiPKlPlN2at6native12_GLOBAL__N_18offset_tEEE10hipError_tPvRmT1_PNSt15iterator_traitsIS12_E10value_typeET2_T3_PNS13_IS18_E10value_typeET4_jRbjT5_S1E_jjP12ihipStream_tbEUljE_ZNSN_ISO_Lb1ESQ_SR_ST_SU_SY_EESZ_S10_S11_S12_S16_S17_S18_S1B_S1C_jS1D_jS1E_S1E_jjS1G_bEUljE0_EEESZ_S10_S11_S18_S1C_S1E_T6_T7_T9_mT8_S1G_bDpT10_ENKUlT_T0_E_clISt17integral_constantIbLb1EES1U_EEDaS1P_S1Q_EUlS1P_E_NS1_11comp_targetILNS1_3genE4ELNS1_11target_archE910ELNS1_3gpuE8ELNS1_3repE0EEENS1_30default_config_static_selectorELNS0_4arch9wavefront6targetE0EEEvS12_.num_vgpr, 0
	.set _ZN7rocprim17ROCPRIM_400000_NS6detail17trampoline_kernelINS0_13select_configILj256ELj13ELNS0_17block_load_methodE3ELS4_3ELS4_3ELNS0_20block_scan_algorithmE0ELj4294967295EEENS1_25partition_config_selectorILNS1_17partition_subalgoE4EjNS0_10empty_typeEbEEZZNS1_14partition_implILS8_4ELb0ES6_15HIP_vector_typeIjLj2EENS0_17counting_iteratorIjlEEPS9_SG_NS0_5tupleIJPjSI_NS0_16reverse_iteratorISI_EEEEENSH_IJSG_SG_SG_EEES9_SI_JZNS1_25segmented_radix_sort_implINS0_14default_configELb1EPKiPiPKlPlN2at6native12_GLOBAL__N_18offset_tEEE10hipError_tPvRmT1_PNSt15iterator_traitsIS12_E10value_typeET2_T3_PNS13_IS18_E10value_typeET4_jRbjT5_S1E_jjP12ihipStream_tbEUljE_ZNSN_ISO_Lb1ESQ_SR_ST_SU_SY_EESZ_S10_S11_S12_S16_S17_S18_S1B_S1C_jS1D_jS1E_S1E_jjS1G_bEUljE0_EEESZ_S10_S11_S18_S1C_S1E_T6_T7_T9_mT8_S1G_bDpT10_ENKUlT_T0_E_clISt17integral_constantIbLb1EES1U_EEDaS1P_S1Q_EUlS1P_E_NS1_11comp_targetILNS1_3genE4ELNS1_11target_archE910ELNS1_3gpuE8ELNS1_3repE0EEENS1_30default_config_static_selectorELNS0_4arch9wavefront6targetE0EEEvS12_.num_agpr, 0
	.set _ZN7rocprim17ROCPRIM_400000_NS6detail17trampoline_kernelINS0_13select_configILj256ELj13ELNS0_17block_load_methodE3ELS4_3ELS4_3ELNS0_20block_scan_algorithmE0ELj4294967295EEENS1_25partition_config_selectorILNS1_17partition_subalgoE4EjNS0_10empty_typeEbEEZZNS1_14partition_implILS8_4ELb0ES6_15HIP_vector_typeIjLj2EENS0_17counting_iteratorIjlEEPS9_SG_NS0_5tupleIJPjSI_NS0_16reverse_iteratorISI_EEEEENSH_IJSG_SG_SG_EEES9_SI_JZNS1_25segmented_radix_sort_implINS0_14default_configELb1EPKiPiPKlPlN2at6native12_GLOBAL__N_18offset_tEEE10hipError_tPvRmT1_PNSt15iterator_traitsIS12_E10value_typeET2_T3_PNS13_IS18_E10value_typeET4_jRbjT5_S1E_jjP12ihipStream_tbEUljE_ZNSN_ISO_Lb1ESQ_SR_ST_SU_SY_EESZ_S10_S11_S12_S16_S17_S18_S1B_S1C_jS1D_jS1E_S1E_jjS1G_bEUljE0_EEESZ_S10_S11_S18_S1C_S1E_T6_T7_T9_mT8_S1G_bDpT10_ENKUlT_T0_E_clISt17integral_constantIbLb1EES1U_EEDaS1P_S1Q_EUlS1P_E_NS1_11comp_targetILNS1_3genE4ELNS1_11target_archE910ELNS1_3gpuE8ELNS1_3repE0EEENS1_30default_config_static_selectorELNS0_4arch9wavefront6targetE0EEEvS12_.numbered_sgpr, 0
	.set _ZN7rocprim17ROCPRIM_400000_NS6detail17trampoline_kernelINS0_13select_configILj256ELj13ELNS0_17block_load_methodE3ELS4_3ELS4_3ELNS0_20block_scan_algorithmE0ELj4294967295EEENS1_25partition_config_selectorILNS1_17partition_subalgoE4EjNS0_10empty_typeEbEEZZNS1_14partition_implILS8_4ELb0ES6_15HIP_vector_typeIjLj2EENS0_17counting_iteratorIjlEEPS9_SG_NS0_5tupleIJPjSI_NS0_16reverse_iteratorISI_EEEEENSH_IJSG_SG_SG_EEES9_SI_JZNS1_25segmented_radix_sort_implINS0_14default_configELb1EPKiPiPKlPlN2at6native12_GLOBAL__N_18offset_tEEE10hipError_tPvRmT1_PNSt15iterator_traitsIS12_E10value_typeET2_T3_PNS13_IS18_E10value_typeET4_jRbjT5_S1E_jjP12ihipStream_tbEUljE_ZNSN_ISO_Lb1ESQ_SR_ST_SU_SY_EESZ_S10_S11_S12_S16_S17_S18_S1B_S1C_jS1D_jS1E_S1E_jjS1G_bEUljE0_EEESZ_S10_S11_S18_S1C_S1E_T6_T7_T9_mT8_S1G_bDpT10_ENKUlT_T0_E_clISt17integral_constantIbLb1EES1U_EEDaS1P_S1Q_EUlS1P_E_NS1_11comp_targetILNS1_3genE4ELNS1_11target_archE910ELNS1_3gpuE8ELNS1_3repE0EEENS1_30default_config_static_selectorELNS0_4arch9wavefront6targetE0EEEvS12_.num_named_barrier, 0
	.set _ZN7rocprim17ROCPRIM_400000_NS6detail17trampoline_kernelINS0_13select_configILj256ELj13ELNS0_17block_load_methodE3ELS4_3ELS4_3ELNS0_20block_scan_algorithmE0ELj4294967295EEENS1_25partition_config_selectorILNS1_17partition_subalgoE4EjNS0_10empty_typeEbEEZZNS1_14partition_implILS8_4ELb0ES6_15HIP_vector_typeIjLj2EENS0_17counting_iteratorIjlEEPS9_SG_NS0_5tupleIJPjSI_NS0_16reverse_iteratorISI_EEEEENSH_IJSG_SG_SG_EEES9_SI_JZNS1_25segmented_radix_sort_implINS0_14default_configELb1EPKiPiPKlPlN2at6native12_GLOBAL__N_18offset_tEEE10hipError_tPvRmT1_PNSt15iterator_traitsIS12_E10value_typeET2_T3_PNS13_IS18_E10value_typeET4_jRbjT5_S1E_jjP12ihipStream_tbEUljE_ZNSN_ISO_Lb1ESQ_SR_ST_SU_SY_EESZ_S10_S11_S12_S16_S17_S18_S1B_S1C_jS1D_jS1E_S1E_jjS1G_bEUljE0_EEESZ_S10_S11_S18_S1C_S1E_T6_T7_T9_mT8_S1G_bDpT10_ENKUlT_T0_E_clISt17integral_constantIbLb1EES1U_EEDaS1P_S1Q_EUlS1P_E_NS1_11comp_targetILNS1_3genE4ELNS1_11target_archE910ELNS1_3gpuE8ELNS1_3repE0EEENS1_30default_config_static_selectorELNS0_4arch9wavefront6targetE0EEEvS12_.private_seg_size, 0
	.set _ZN7rocprim17ROCPRIM_400000_NS6detail17trampoline_kernelINS0_13select_configILj256ELj13ELNS0_17block_load_methodE3ELS4_3ELS4_3ELNS0_20block_scan_algorithmE0ELj4294967295EEENS1_25partition_config_selectorILNS1_17partition_subalgoE4EjNS0_10empty_typeEbEEZZNS1_14partition_implILS8_4ELb0ES6_15HIP_vector_typeIjLj2EENS0_17counting_iteratorIjlEEPS9_SG_NS0_5tupleIJPjSI_NS0_16reverse_iteratorISI_EEEEENSH_IJSG_SG_SG_EEES9_SI_JZNS1_25segmented_radix_sort_implINS0_14default_configELb1EPKiPiPKlPlN2at6native12_GLOBAL__N_18offset_tEEE10hipError_tPvRmT1_PNSt15iterator_traitsIS12_E10value_typeET2_T3_PNS13_IS18_E10value_typeET4_jRbjT5_S1E_jjP12ihipStream_tbEUljE_ZNSN_ISO_Lb1ESQ_SR_ST_SU_SY_EESZ_S10_S11_S12_S16_S17_S18_S1B_S1C_jS1D_jS1E_S1E_jjS1G_bEUljE0_EEESZ_S10_S11_S18_S1C_S1E_T6_T7_T9_mT8_S1G_bDpT10_ENKUlT_T0_E_clISt17integral_constantIbLb1EES1U_EEDaS1P_S1Q_EUlS1P_E_NS1_11comp_targetILNS1_3genE4ELNS1_11target_archE910ELNS1_3gpuE8ELNS1_3repE0EEENS1_30default_config_static_selectorELNS0_4arch9wavefront6targetE0EEEvS12_.uses_vcc, 0
	.set _ZN7rocprim17ROCPRIM_400000_NS6detail17trampoline_kernelINS0_13select_configILj256ELj13ELNS0_17block_load_methodE3ELS4_3ELS4_3ELNS0_20block_scan_algorithmE0ELj4294967295EEENS1_25partition_config_selectorILNS1_17partition_subalgoE4EjNS0_10empty_typeEbEEZZNS1_14partition_implILS8_4ELb0ES6_15HIP_vector_typeIjLj2EENS0_17counting_iteratorIjlEEPS9_SG_NS0_5tupleIJPjSI_NS0_16reverse_iteratorISI_EEEEENSH_IJSG_SG_SG_EEES9_SI_JZNS1_25segmented_radix_sort_implINS0_14default_configELb1EPKiPiPKlPlN2at6native12_GLOBAL__N_18offset_tEEE10hipError_tPvRmT1_PNSt15iterator_traitsIS12_E10value_typeET2_T3_PNS13_IS18_E10value_typeET4_jRbjT5_S1E_jjP12ihipStream_tbEUljE_ZNSN_ISO_Lb1ESQ_SR_ST_SU_SY_EESZ_S10_S11_S12_S16_S17_S18_S1B_S1C_jS1D_jS1E_S1E_jjS1G_bEUljE0_EEESZ_S10_S11_S18_S1C_S1E_T6_T7_T9_mT8_S1G_bDpT10_ENKUlT_T0_E_clISt17integral_constantIbLb1EES1U_EEDaS1P_S1Q_EUlS1P_E_NS1_11comp_targetILNS1_3genE4ELNS1_11target_archE910ELNS1_3gpuE8ELNS1_3repE0EEENS1_30default_config_static_selectorELNS0_4arch9wavefront6targetE0EEEvS12_.uses_flat_scratch, 0
	.set _ZN7rocprim17ROCPRIM_400000_NS6detail17trampoline_kernelINS0_13select_configILj256ELj13ELNS0_17block_load_methodE3ELS4_3ELS4_3ELNS0_20block_scan_algorithmE0ELj4294967295EEENS1_25partition_config_selectorILNS1_17partition_subalgoE4EjNS0_10empty_typeEbEEZZNS1_14partition_implILS8_4ELb0ES6_15HIP_vector_typeIjLj2EENS0_17counting_iteratorIjlEEPS9_SG_NS0_5tupleIJPjSI_NS0_16reverse_iteratorISI_EEEEENSH_IJSG_SG_SG_EEES9_SI_JZNS1_25segmented_radix_sort_implINS0_14default_configELb1EPKiPiPKlPlN2at6native12_GLOBAL__N_18offset_tEEE10hipError_tPvRmT1_PNSt15iterator_traitsIS12_E10value_typeET2_T3_PNS13_IS18_E10value_typeET4_jRbjT5_S1E_jjP12ihipStream_tbEUljE_ZNSN_ISO_Lb1ESQ_SR_ST_SU_SY_EESZ_S10_S11_S12_S16_S17_S18_S1B_S1C_jS1D_jS1E_S1E_jjS1G_bEUljE0_EEESZ_S10_S11_S18_S1C_S1E_T6_T7_T9_mT8_S1G_bDpT10_ENKUlT_T0_E_clISt17integral_constantIbLb1EES1U_EEDaS1P_S1Q_EUlS1P_E_NS1_11comp_targetILNS1_3genE4ELNS1_11target_archE910ELNS1_3gpuE8ELNS1_3repE0EEENS1_30default_config_static_selectorELNS0_4arch9wavefront6targetE0EEEvS12_.has_dyn_sized_stack, 0
	.set _ZN7rocprim17ROCPRIM_400000_NS6detail17trampoline_kernelINS0_13select_configILj256ELj13ELNS0_17block_load_methodE3ELS4_3ELS4_3ELNS0_20block_scan_algorithmE0ELj4294967295EEENS1_25partition_config_selectorILNS1_17partition_subalgoE4EjNS0_10empty_typeEbEEZZNS1_14partition_implILS8_4ELb0ES6_15HIP_vector_typeIjLj2EENS0_17counting_iteratorIjlEEPS9_SG_NS0_5tupleIJPjSI_NS0_16reverse_iteratorISI_EEEEENSH_IJSG_SG_SG_EEES9_SI_JZNS1_25segmented_radix_sort_implINS0_14default_configELb1EPKiPiPKlPlN2at6native12_GLOBAL__N_18offset_tEEE10hipError_tPvRmT1_PNSt15iterator_traitsIS12_E10value_typeET2_T3_PNS13_IS18_E10value_typeET4_jRbjT5_S1E_jjP12ihipStream_tbEUljE_ZNSN_ISO_Lb1ESQ_SR_ST_SU_SY_EESZ_S10_S11_S12_S16_S17_S18_S1B_S1C_jS1D_jS1E_S1E_jjS1G_bEUljE0_EEESZ_S10_S11_S18_S1C_S1E_T6_T7_T9_mT8_S1G_bDpT10_ENKUlT_T0_E_clISt17integral_constantIbLb1EES1U_EEDaS1P_S1Q_EUlS1P_E_NS1_11comp_targetILNS1_3genE4ELNS1_11target_archE910ELNS1_3gpuE8ELNS1_3repE0EEENS1_30default_config_static_selectorELNS0_4arch9wavefront6targetE0EEEvS12_.has_recursion, 0
	.set _ZN7rocprim17ROCPRIM_400000_NS6detail17trampoline_kernelINS0_13select_configILj256ELj13ELNS0_17block_load_methodE3ELS4_3ELS4_3ELNS0_20block_scan_algorithmE0ELj4294967295EEENS1_25partition_config_selectorILNS1_17partition_subalgoE4EjNS0_10empty_typeEbEEZZNS1_14partition_implILS8_4ELb0ES6_15HIP_vector_typeIjLj2EENS0_17counting_iteratorIjlEEPS9_SG_NS0_5tupleIJPjSI_NS0_16reverse_iteratorISI_EEEEENSH_IJSG_SG_SG_EEES9_SI_JZNS1_25segmented_radix_sort_implINS0_14default_configELb1EPKiPiPKlPlN2at6native12_GLOBAL__N_18offset_tEEE10hipError_tPvRmT1_PNSt15iterator_traitsIS12_E10value_typeET2_T3_PNS13_IS18_E10value_typeET4_jRbjT5_S1E_jjP12ihipStream_tbEUljE_ZNSN_ISO_Lb1ESQ_SR_ST_SU_SY_EESZ_S10_S11_S12_S16_S17_S18_S1B_S1C_jS1D_jS1E_S1E_jjS1G_bEUljE0_EEESZ_S10_S11_S18_S1C_S1E_T6_T7_T9_mT8_S1G_bDpT10_ENKUlT_T0_E_clISt17integral_constantIbLb1EES1U_EEDaS1P_S1Q_EUlS1P_E_NS1_11comp_targetILNS1_3genE4ELNS1_11target_archE910ELNS1_3gpuE8ELNS1_3repE0EEENS1_30default_config_static_selectorELNS0_4arch9wavefront6targetE0EEEvS12_.has_indirect_call, 0
	.section	.AMDGPU.csdata,"",@progbits
; Kernel info:
; codeLenInByte = 0
; TotalNumSgprs: 0
; NumVgprs: 0
; ScratchSize: 0
; MemoryBound: 0
; FloatMode: 240
; IeeeMode: 1
; LDSByteSize: 0 bytes/workgroup (compile time only)
; SGPRBlocks: 0
; VGPRBlocks: 0
; NumSGPRsForWavesPerEU: 1
; NumVGPRsForWavesPerEU: 1
; Occupancy: 16
; WaveLimiterHint : 0
; COMPUTE_PGM_RSRC2:SCRATCH_EN: 0
; COMPUTE_PGM_RSRC2:USER_SGPR: 2
; COMPUTE_PGM_RSRC2:TRAP_HANDLER: 0
; COMPUTE_PGM_RSRC2:TGID_X_EN: 1
; COMPUTE_PGM_RSRC2:TGID_Y_EN: 0
; COMPUTE_PGM_RSRC2:TGID_Z_EN: 0
; COMPUTE_PGM_RSRC2:TIDIG_COMP_CNT: 0
	.section	.text._ZN7rocprim17ROCPRIM_400000_NS6detail17trampoline_kernelINS0_13select_configILj256ELj13ELNS0_17block_load_methodE3ELS4_3ELS4_3ELNS0_20block_scan_algorithmE0ELj4294967295EEENS1_25partition_config_selectorILNS1_17partition_subalgoE4EjNS0_10empty_typeEbEEZZNS1_14partition_implILS8_4ELb0ES6_15HIP_vector_typeIjLj2EENS0_17counting_iteratorIjlEEPS9_SG_NS0_5tupleIJPjSI_NS0_16reverse_iteratorISI_EEEEENSH_IJSG_SG_SG_EEES9_SI_JZNS1_25segmented_radix_sort_implINS0_14default_configELb1EPKiPiPKlPlN2at6native12_GLOBAL__N_18offset_tEEE10hipError_tPvRmT1_PNSt15iterator_traitsIS12_E10value_typeET2_T3_PNS13_IS18_E10value_typeET4_jRbjT5_S1E_jjP12ihipStream_tbEUljE_ZNSN_ISO_Lb1ESQ_SR_ST_SU_SY_EESZ_S10_S11_S12_S16_S17_S18_S1B_S1C_jS1D_jS1E_S1E_jjS1G_bEUljE0_EEESZ_S10_S11_S18_S1C_S1E_T6_T7_T9_mT8_S1G_bDpT10_ENKUlT_T0_E_clISt17integral_constantIbLb1EES1U_EEDaS1P_S1Q_EUlS1P_E_NS1_11comp_targetILNS1_3genE3ELNS1_11target_archE908ELNS1_3gpuE7ELNS1_3repE0EEENS1_30default_config_static_selectorELNS0_4arch9wavefront6targetE0EEEvS12_,"axG",@progbits,_ZN7rocprim17ROCPRIM_400000_NS6detail17trampoline_kernelINS0_13select_configILj256ELj13ELNS0_17block_load_methodE3ELS4_3ELS4_3ELNS0_20block_scan_algorithmE0ELj4294967295EEENS1_25partition_config_selectorILNS1_17partition_subalgoE4EjNS0_10empty_typeEbEEZZNS1_14partition_implILS8_4ELb0ES6_15HIP_vector_typeIjLj2EENS0_17counting_iteratorIjlEEPS9_SG_NS0_5tupleIJPjSI_NS0_16reverse_iteratorISI_EEEEENSH_IJSG_SG_SG_EEES9_SI_JZNS1_25segmented_radix_sort_implINS0_14default_configELb1EPKiPiPKlPlN2at6native12_GLOBAL__N_18offset_tEEE10hipError_tPvRmT1_PNSt15iterator_traitsIS12_E10value_typeET2_T3_PNS13_IS18_E10value_typeET4_jRbjT5_S1E_jjP12ihipStream_tbEUljE_ZNSN_ISO_Lb1ESQ_SR_ST_SU_SY_EESZ_S10_S11_S12_S16_S17_S18_S1B_S1C_jS1D_jS1E_S1E_jjS1G_bEUljE0_EEESZ_S10_S11_S18_S1C_S1E_T6_T7_T9_mT8_S1G_bDpT10_ENKUlT_T0_E_clISt17integral_constantIbLb1EES1U_EEDaS1P_S1Q_EUlS1P_E_NS1_11comp_targetILNS1_3genE3ELNS1_11target_archE908ELNS1_3gpuE7ELNS1_3repE0EEENS1_30default_config_static_selectorELNS0_4arch9wavefront6targetE0EEEvS12_,comdat
	.globl	_ZN7rocprim17ROCPRIM_400000_NS6detail17trampoline_kernelINS0_13select_configILj256ELj13ELNS0_17block_load_methodE3ELS4_3ELS4_3ELNS0_20block_scan_algorithmE0ELj4294967295EEENS1_25partition_config_selectorILNS1_17partition_subalgoE4EjNS0_10empty_typeEbEEZZNS1_14partition_implILS8_4ELb0ES6_15HIP_vector_typeIjLj2EENS0_17counting_iteratorIjlEEPS9_SG_NS0_5tupleIJPjSI_NS0_16reverse_iteratorISI_EEEEENSH_IJSG_SG_SG_EEES9_SI_JZNS1_25segmented_radix_sort_implINS0_14default_configELb1EPKiPiPKlPlN2at6native12_GLOBAL__N_18offset_tEEE10hipError_tPvRmT1_PNSt15iterator_traitsIS12_E10value_typeET2_T3_PNS13_IS18_E10value_typeET4_jRbjT5_S1E_jjP12ihipStream_tbEUljE_ZNSN_ISO_Lb1ESQ_SR_ST_SU_SY_EESZ_S10_S11_S12_S16_S17_S18_S1B_S1C_jS1D_jS1E_S1E_jjS1G_bEUljE0_EEESZ_S10_S11_S18_S1C_S1E_T6_T7_T9_mT8_S1G_bDpT10_ENKUlT_T0_E_clISt17integral_constantIbLb1EES1U_EEDaS1P_S1Q_EUlS1P_E_NS1_11comp_targetILNS1_3genE3ELNS1_11target_archE908ELNS1_3gpuE7ELNS1_3repE0EEENS1_30default_config_static_selectorELNS0_4arch9wavefront6targetE0EEEvS12_ ; -- Begin function _ZN7rocprim17ROCPRIM_400000_NS6detail17trampoline_kernelINS0_13select_configILj256ELj13ELNS0_17block_load_methodE3ELS4_3ELS4_3ELNS0_20block_scan_algorithmE0ELj4294967295EEENS1_25partition_config_selectorILNS1_17partition_subalgoE4EjNS0_10empty_typeEbEEZZNS1_14partition_implILS8_4ELb0ES6_15HIP_vector_typeIjLj2EENS0_17counting_iteratorIjlEEPS9_SG_NS0_5tupleIJPjSI_NS0_16reverse_iteratorISI_EEEEENSH_IJSG_SG_SG_EEES9_SI_JZNS1_25segmented_radix_sort_implINS0_14default_configELb1EPKiPiPKlPlN2at6native12_GLOBAL__N_18offset_tEEE10hipError_tPvRmT1_PNSt15iterator_traitsIS12_E10value_typeET2_T3_PNS13_IS18_E10value_typeET4_jRbjT5_S1E_jjP12ihipStream_tbEUljE_ZNSN_ISO_Lb1ESQ_SR_ST_SU_SY_EESZ_S10_S11_S12_S16_S17_S18_S1B_S1C_jS1D_jS1E_S1E_jjS1G_bEUljE0_EEESZ_S10_S11_S18_S1C_S1E_T6_T7_T9_mT8_S1G_bDpT10_ENKUlT_T0_E_clISt17integral_constantIbLb1EES1U_EEDaS1P_S1Q_EUlS1P_E_NS1_11comp_targetILNS1_3genE3ELNS1_11target_archE908ELNS1_3gpuE7ELNS1_3repE0EEENS1_30default_config_static_selectorELNS0_4arch9wavefront6targetE0EEEvS12_
	.p2align	8
	.type	_ZN7rocprim17ROCPRIM_400000_NS6detail17trampoline_kernelINS0_13select_configILj256ELj13ELNS0_17block_load_methodE3ELS4_3ELS4_3ELNS0_20block_scan_algorithmE0ELj4294967295EEENS1_25partition_config_selectorILNS1_17partition_subalgoE4EjNS0_10empty_typeEbEEZZNS1_14partition_implILS8_4ELb0ES6_15HIP_vector_typeIjLj2EENS0_17counting_iteratorIjlEEPS9_SG_NS0_5tupleIJPjSI_NS0_16reverse_iteratorISI_EEEEENSH_IJSG_SG_SG_EEES9_SI_JZNS1_25segmented_radix_sort_implINS0_14default_configELb1EPKiPiPKlPlN2at6native12_GLOBAL__N_18offset_tEEE10hipError_tPvRmT1_PNSt15iterator_traitsIS12_E10value_typeET2_T3_PNS13_IS18_E10value_typeET4_jRbjT5_S1E_jjP12ihipStream_tbEUljE_ZNSN_ISO_Lb1ESQ_SR_ST_SU_SY_EESZ_S10_S11_S12_S16_S17_S18_S1B_S1C_jS1D_jS1E_S1E_jjS1G_bEUljE0_EEESZ_S10_S11_S18_S1C_S1E_T6_T7_T9_mT8_S1G_bDpT10_ENKUlT_T0_E_clISt17integral_constantIbLb1EES1U_EEDaS1P_S1Q_EUlS1P_E_NS1_11comp_targetILNS1_3genE3ELNS1_11target_archE908ELNS1_3gpuE7ELNS1_3repE0EEENS1_30default_config_static_selectorELNS0_4arch9wavefront6targetE0EEEvS12_,@function
_ZN7rocprim17ROCPRIM_400000_NS6detail17trampoline_kernelINS0_13select_configILj256ELj13ELNS0_17block_load_methodE3ELS4_3ELS4_3ELNS0_20block_scan_algorithmE0ELj4294967295EEENS1_25partition_config_selectorILNS1_17partition_subalgoE4EjNS0_10empty_typeEbEEZZNS1_14partition_implILS8_4ELb0ES6_15HIP_vector_typeIjLj2EENS0_17counting_iteratorIjlEEPS9_SG_NS0_5tupleIJPjSI_NS0_16reverse_iteratorISI_EEEEENSH_IJSG_SG_SG_EEES9_SI_JZNS1_25segmented_radix_sort_implINS0_14default_configELb1EPKiPiPKlPlN2at6native12_GLOBAL__N_18offset_tEEE10hipError_tPvRmT1_PNSt15iterator_traitsIS12_E10value_typeET2_T3_PNS13_IS18_E10value_typeET4_jRbjT5_S1E_jjP12ihipStream_tbEUljE_ZNSN_ISO_Lb1ESQ_SR_ST_SU_SY_EESZ_S10_S11_S12_S16_S17_S18_S1B_S1C_jS1D_jS1E_S1E_jjS1G_bEUljE0_EEESZ_S10_S11_S18_S1C_S1E_T6_T7_T9_mT8_S1G_bDpT10_ENKUlT_T0_E_clISt17integral_constantIbLb1EES1U_EEDaS1P_S1Q_EUlS1P_E_NS1_11comp_targetILNS1_3genE3ELNS1_11target_archE908ELNS1_3gpuE7ELNS1_3repE0EEENS1_30default_config_static_selectorELNS0_4arch9wavefront6targetE0EEEvS12_: ; @_ZN7rocprim17ROCPRIM_400000_NS6detail17trampoline_kernelINS0_13select_configILj256ELj13ELNS0_17block_load_methodE3ELS4_3ELS4_3ELNS0_20block_scan_algorithmE0ELj4294967295EEENS1_25partition_config_selectorILNS1_17partition_subalgoE4EjNS0_10empty_typeEbEEZZNS1_14partition_implILS8_4ELb0ES6_15HIP_vector_typeIjLj2EENS0_17counting_iteratorIjlEEPS9_SG_NS0_5tupleIJPjSI_NS0_16reverse_iteratorISI_EEEEENSH_IJSG_SG_SG_EEES9_SI_JZNS1_25segmented_radix_sort_implINS0_14default_configELb1EPKiPiPKlPlN2at6native12_GLOBAL__N_18offset_tEEE10hipError_tPvRmT1_PNSt15iterator_traitsIS12_E10value_typeET2_T3_PNS13_IS18_E10value_typeET4_jRbjT5_S1E_jjP12ihipStream_tbEUljE_ZNSN_ISO_Lb1ESQ_SR_ST_SU_SY_EESZ_S10_S11_S12_S16_S17_S18_S1B_S1C_jS1D_jS1E_S1E_jjS1G_bEUljE0_EEESZ_S10_S11_S18_S1C_S1E_T6_T7_T9_mT8_S1G_bDpT10_ENKUlT_T0_E_clISt17integral_constantIbLb1EES1U_EEDaS1P_S1Q_EUlS1P_E_NS1_11comp_targetILNS1_3genE3ELNS1_11target_archE908ELNS1_3gpuE7ELNS1_3repE0EEENS1_30default_config_static_selectorELNS0_4arch9wavefront6targetE0EEEvS12_
; %bb.0:
	.section	.rodata,"a",@progbits
	.p2align	6, 0x0
	.amdhsa_kernel _ZN7rocprim17ROCPRIM_400000_NS6detail17trampoline_kernelINS0_13select_configILj256ELj13ELNS0_17block_load_methodE3ELS4_3ELS4_3ELNS0_20block_scan_algorithmE0ELj4294967295EEENS1_25partition_config_selectorILNS1_17partition_subalgoE4EjNS0_10empty_typeEbEEZZNS1_14partition_implILS8_4ELb0ES6_15HIP_vector_typeIjLj2EENS0_17counting_iteratorIjlEEPS9_SG_NS0_5tupleIJPjSI_NS0_16reverse_iteratorISI_EEEEENSH_IJSG_SG_SG_EEES9_SI_JZNS1_25segmented_radix_sort_implINS0_14default_configELb1EPKiPiPKlPlN2at6native12_GLOBAL__N_18offset_tEEE10hipError_tPvRmT1_PNSt15iterator_traitsIS12_E10value_typeET2_T3_PNS13_IS18_E10value_typeET4_jRbjT5_S1E_jjP12ihipStream_tbEUljE_ZNSN_ISO_Lb1ESQ_SR_ST_SU_SY_EESZ_S10_S11_S12_S16_S17_S18_S1B_S1C_jS1D_jS1E_S1E_jjS1G_bEUljE0_EEESZ_S10_S11_S18_S1C_S1E_T6_T7_T9_mT8_S1G_bDpT10_ENKUlT_T0_E_clISt17integral_constantIbLb1EES1U_EEDaS1P_S1Q_EUlS1P_E_NS1_11comp_targetILNS1_3genE3ELNS1_11target_archE908ELNS1_3gpuE7ELNS1_3repE0EEENS1_30default_config_static_selectorELNS0_4arch9wavefront6targetE0EEEvS12_
		.amdhsa_group_segment_fixed_size 0
		.amdhsa_private_segment_fixed_size 0
		.amdhsa_kernarg_size 184
		.amdhsa_user_sgpr_count 2
		.amdhsa_user_sgpr_dispatch_ptr 0
		.amdhsa_user_sgpr_queue_ptr 0
		.amdhsa_user_sgpr_kernarg_segment_ptr 1
		.amdhsa_user_sgpr_dispatch_id 0
		.amdhsa_user_sgpr_private_segment_size 0
		.amdhsa_wavefront_size32 1
		.amdhsa_uses_dynamic_stack 0
		.amdhsa_enable_private_segment 0
		.amdhsa_system_sgpr_workgroup_id_x 1
		.amdhsa_system_sgpr_workgroup_id_y 0
		.amdhsa_system_sgpr_workgroup_id_z 0
		.amdhsa_system_sgpr_workgroup_info 0
		.amdhsa_system_vgpr_workitem_id 0
		.amdhsa_next_free_vgpr 1
		.amdhsa_next_free_sgpr 1
		.amdhsa_reserve_vcc 0
		.amdhsa_float_round_mode_32 0
		.amdhsa_float_round_mode_16_64 0
		.amdhsa_float_denorm_mode_32 3
		.amdhsa_float_denorm_mode_16_64 3
		.amdhsa_fp16_overflow 0
		.amdhsa_workgroup_processor_mode 1
		.amdhsa_memory_ordered 1
		.amdhsa_forward_progress 1
		.amdhsa_inst_pref_size 0
		.amdhsa_round_robin_scheduling 0
		.amdhsa_exception_fp_ieee_invalid_op 0
		.amdhsa_exception_fp_denorm_src 0
		.amdhsa_exception_fp_ieee_div_zero 0
		.amdhsa_exception_fp_ieee_overflow 0
		.amdhsa_exception_fp_ieee_underflow 0
		.amdhsa_exception_fp_ieee_inexact 0
		.amdhsa_exception_int_div_zero 0
	.end_amdhsa_kernel
	.section	.text._ZN7rocprim17ROCPRIM_400000_NS6detail17trampoline_kernelINS0_13select_configILj256ELj13ELNS0_17block_load_methodE3ELS4_3ELS4_3ELNS0_20block_scan_algorithmE0ELj4294967295EEENS1_25partition_config_selectorILNS1_17partition_subalgoE4EjNS0_10empty_typeEbEEZZNS1_14partition_implILS8_4ELb0ES6_15HIP_vector_typeIjLj2EENS0_17counting_iteratorIjlEEPS9_SG_NS0_5tupleIJPjSI_NS0_16reverse_iteratorISI_EEEEENSH_IJSG_SG_SG_EEES9_SI_JZNS1_25segmented_radix_sort_implINS0_14default_configELb1EPKiPiPKlPlN2at6native12_GLOBAL__N_18offset_tEEE10hipError_tPvRmT1_PNSt15iterator_traitsIS12_E10value_typeET2_T3_PNS13_IS18_E10value_typeET4_jRbjT5_S1E_jjP12ihipStream_tbEUljE_ZNSN_ISO_Lb1ESQ_SR_ST_SU_SY_EESZ_S10_S11_S12_S16_S17_S18_S1B_S1C_jS1D_jS1E_S1E_jjS1G_bEUljE0_EEESZ_S10_S11_S18_S1C_S1E_T6_T7_T9_mT8_S1G_bDpT10_ENKUlT_T0_E_clISt17integral_constantIbLb1EES1U_EEDaS1P_S1Q_EUlS1P_E_NS1_11comp_targetILNS1_3genE3ELNS1_11target_archE908ELNS1_3gpuE7ELNS1_3repE0EEENS1_30default_config_static_selectorELNS0_4arch9wavefront6targetE0EEEvS12_,"axG",@progbits,_ZN7rocprim17ROCPRIM_400000_NS6detail17trampoline_kernelINS0_13select_configILj256ELj13ELNS0_17block_load_methodE3ELS4_3ELS4_3ELNS0_20block_scan_algorithmE0ELj4294967295EEENS1_25partition_config_selectorILNS1_17partition_subalgoE4EjNS0_10empty_typeEbEEZZNS1_14partition_implILS8_4ELb0ES6_15HIP_vector_typeIjLj2EENS0_17counting_iteratorIjlEEPS9_SG_NS0_5tupleIJPjSI_NS0_16reverse_iteratorISI_EEEEENSH_IJSG_SG_SG_EEES9_SI_JZNS1_25segmented_radix_sort_implINS0_14default_configELb1EPKiPiPKlPlN2at6native12_GLOBAL__N_18offset_tEEE10hipError_tPvRmT1_PNSt15iterator_traitsIS12_E10value_typeET2_T3_PNS13_IS18_E10value_typeET4_jRbjT5_S1E_jjP12ihipStream_tbEUljE_ZNSN_ISO_Lb1ESQ_SR_ST_SU_SY_EESZ_S10_S11_S12_S16_S17_S18_S1B_S1C_jS1D_jS1E_S1E_jjS1G_bEUljE0_EEESZ_S10_S11_S18_S1C_S1E_T6_T7_T9_mT8_S1G_bDpT10_ENKUlT_T0_E_clISt17integral_constantIbLb1EES1U_EEDaS1P_S1Q_EUlS1P_E_NS1_11comp_targetILNS1_3genE3ELNS1_11target_archE908ELNS1_3gpuE7ELNS1_3repE0EEENS1_30default_config_static_selectorELNS0_4arch9wavefront6targetE0EEEvS12_,comdat
.Lfunc_end444:
	.size	_ZN7rocprim17ROCPRIM_400000_NS6detail17trampoline_kernelINS0_13select_configILj256ELj13ELNS0_17block_load_methodE3ELS4_3ELS4_3ELNS0_20block_scan_algorithmE0ELj4294967295EEENS1_25partition_config_selectorILNS1_17partition_subalgoE4EjNS0_10empty_typeEbEEZZNS1_14partition_implILS8_4ELb0ES6_15HIP_vector_typeIjLj2EENS0_17counting_iteratorIjlEEPS9_SG_NS0_5tupleIJPjSI_NS0_16reverse_iteratorISI_EEEEENSH_IJSG_SG_SG_EEES9_SI_JZNS1_25segmented_radix_sort_implINS0_14default_configELb1EPKiPiPKlPlN2at6native12_GLOBAL__N_18offset_tEEE10hipError_tPvRmT1_PNSt15iterator_traitsIS12_E10value_typeET2_T3_PNS13_IS18_E10value_typeET4_jRbjT5_S1E_jjP12ihipStream_tbEUljE_ZNSN_ISO_Lb1ESQ_SR_ST_SU_SY_EESZ_S10_S11_S12_S16_S17_S18_S1B_S1C_jS1D_jS1E_S1E_jjS1G_bEUljE0_EEESZ_S10_S11_S18_S1C_S1E_T6_T7_T9_mT8_S1G_bDpT10_ENKUlT_T0_E_clISt17integral_constantIbLb1EES1U_EEDaS1P_S1Q_EUlS1P_E_NS1_11comp_targetILNS1_3genE3ELNS1_11target_archE908ELNS1_3gpuE7ELNS1_3repE0EEENS1_30default_config_static_selectorELNS0_4arch9wavefront6targetE0EEEvS12_, .Lfunc_end444-_ZN7rocprim17ROCPRIM_400000_NS6detail17trampoline_kernelINS0_13select_configILj256ELj13ELNS0_17block_load_methodE3ELS4_3ELS4_3ELNS0_20block_scan_algorithmE0ELj4294967295EEENS1_25partition_config_selectorILNS1_17partition_subalgoE4EjNS0_10empty_typeEbEEZZNS1_14partition_implILS8_4ELb0ES6_15HIP_vector_typeIjLj2EENS0_17counting_iteratorIjlEEPS9_SG_NS0_5tupleIJPjSI_NS0_16reverse_iteratorISI_EEEEENSH_IJSG_SG_SG_EEES9_SI_JZNS1_25segmented_radix_sort_implINS0_14default_configELb1EPKiPiPKlPlN2at6native12_GLOBAL__N_18offset_tEEE10hipError_tPvRmT1_PNSt15iterator_traitsIS12_E10value_typeET2_T3_PNS13_IS18_E10value_typeET4_jRbjT5_S1E_jjP12ihipStream_tbEUljE_ZNSN_ISO_Lb1ESQ_SR_ST_SU_SY_EESZ_S10_S11_S12_S16_S17_S18_S1B_S1C_jS1D_jS1E_S1E_jjS1G_bEUljE0_EEESZ_S10_S11_S18_S1C_S1E_T6_T7_T9_mT8_S1G_bDpT10_ENKUlT_T0_E_clISt17integral_constantIbLb1EES1U_EEDaS1P_S1Q_EUlS1P_E_NS1_11comp_targetILNS1_3genE3ELNS1_11target_archE908ELNS1_3gpuE7ELNS1_3repE0EEENS1_30default_config_static_selectorELNS0_4arch9wavefront6targetE0EEEvS12_
                                        ; -- End function
	.set _ZN7rocprim17ROCPRIM_400000_NS6detail17trampoline_kernelINS0_13select_configILj256ELj13ELNS0_17block_load_methodE3ELS4_3ELS4_3ELNS0_20block_scan_algorithmE0ELj4294967295EEENS1_25partition_config_selectorILNS1_17partition_subalgoE4EjNS0_10empty_typeEbEEZZNS1_14partition_implILS8_4ELb0ES6_15HIP_vector_typeIjLj2EENS0_17counting_iteratorIjlEEPS9_SG_NS0_5tupleIJPjSI_NS0_16reverse_iteratorISI_EEEEENSH_IJSG_SG_SG_EEES9_SI_JZNS1_25segmented_radix_sort_implINS0_14default_configELb1EPKiPiPKlPlN2at6native12_GLOBAL__N_18offset_tEEE10hipError_tPvRmT1_PNSt15iterator_traitsIS12_E10value_typeET2_T3_PNS13_IS18_E10value_typeET4_jRbjT5_S1E_jjP12ihipStream_tbEUljE_ZNSN_ISO_Lb1ESQ_SR_ST_SU_SY_EESZ_S10_S11_S12_S16_S17_S18_S1B_S1C_jS1D_jS1E_S1E_jjS1G_bEUljE0_EEESZ_S10_S11_S18_S1C_S1E_T6_T7_T9_mT8_S1G_bDpT10_ENKUlT_T0_E_clISt17integral_constantIbLb1EES1U_EEDaS1P_S1Q_EUlS1P_E_NS1_11comp_targetILNS1_3genE3ELNS1_11target_archE908ELNS1_3gpuE7ELNS1_3repE0EEENS1_30default_config_static_selectorELNS0_4arch9wavefront6targetE0EEEvS12_.num_vgpr, 0
	.set _ZN7rocprim17ROCPRIM_400000_NS6detail17trampoline_kernelINS0_13select_configILj256ELj13ELNS0_17block_load_methodE3ELS4_3ELS4_3ELNS0_20block_scan_algorithmE0ELj4294967295EEENS1_25partition_config_selectorILNS1_17partition_subalgoE4EjNS0_10empty_typeEbEEZZNS1_14partition_implILS8_4ELb0ES6_15HIP_vector_typeIjLj2EENS0_17counting_iteratorIjlEEPS9_SG_NS0_5tupleIJPjSI_NS0_16reverse_iteratorISI_EEEEENSH_IJSG_SG_SG_EEES9_SI_JZNS1_25segmented_radix_sort_implINS0_14default_configELb1EPKiPiPKlPlN2at6native12_GLOBAL__N_18offset_tEEE10hipError_tPvRmT1_PNSt15iterator_traitsIS12_E10value_typeET2_T3_PNS13_IS18_E10value_typeET4_jRbjT5_S1E_jjP12ihipStream_tbEUljE_ZNSN_ISO_Lb1ESQ_SR_ST_SU_SY_EESZ_S10_S11_S12_S16_S17_S18_S1B_S1C_jS1D_jS1E_S1E_jjS1G_bEUljE0_EEESZ_S10_S11_S18_S1C_S1E_T6_T7_T9_mT8_S1G_bDpT10_ENKUlT_T0_E_clISt17integral_constantIbLb1EES1U_EEDaS1P_S1Q_EUlS1P_E_NS1_11comp_targetILNS1_3genE3ELNS1_11target_archE908ELNS1_3gpuE7ELNS1_3repE0EEENS1_30default_config_static_selectorELNS0_4arch9wavefront6targetE0EEEvS12_.num_agpr, 0
	.set _ZN7rocprim17ROCPRIM_400000_NS6detail17trampoline_kernelINS0_13select_configILj256ELj13ELNS0_17block_load_methodE3ELS4_3ELS4_3ELNS0_20block_scan_algorithmE0ELj4294967295EEENS1_25partition_config_selectorILNS1_17partition_subalgoE4EjNS0_10empty_typeEbEEZZNS1_14partition_implILS8_4ELb0ES6_15HIP_vector_typeIjLj2EENS0_17counting_iteratorIjlEEPS9_SG_NS0_5tupleIJPjSI_NS0_16reverse_iteratorISI_EEEEENSH_IJSG_SG_SG_EEES9_SI_JZNS1_25segmented_radix_sort_implINS0_14default_configELb1EPKiPiPKlPlN2at6native12_GLOBAL__N_18offset_tEEE10hipError_tPvRmT1_PNSt15iterator_traitsIS12_E10value_typeET2_T3_PNS13_IS18_E10value_typeET4_jRbjT5_S1E_jjP12ihipStream_tbEUljE_ZNSN_ISO_Lb1ESQ_SR_ST_SU_SY_EESZ_S10_S11_S12_S16_S17_S18_S1B_S1C_jS1D_jS1E_S1E_jjS1G_bEUljE0_EEESZ_S10_S11_S18_S1C_S1E_T6_T7_T9_mT8_S1G_bDpT10_ENKUlT_T0_E_clISt17integral_constantIbLb1EES1U_EEDaS1P_S1Q_EUlS1P_E_NS1_11comp_targetILNS1_3genE3ELNS1_11target_archE908ELNS1_3gpuE7ELNS1_3repE0EEENS1_30default_config_static_selectorELNS0_4arch9wavefront6targetE0EEEvS12_.numbered_sgpr, 0
	.set _ZN7rocprim17ROCPRIM_400000_NS6detail17trampoline_kernelINS0_13select_configILj256ELj13ELNS0_17block_load_methodE3ELS4_3ELS4_3ELNS0_20block_scan_algorithmE0ELj4294967295EEENS1_25partition_config_selectorILNS1_17partition_subalgoE4EjNS0_10empty_typeEbEEZZNS1_14partition_implILS8_4ELb0ES6_15HIP_vector_typeIjLj2EENS0_17counting_iteratorIjlEEPS9_SG_NS0_5tupleIJPjSI_NS0_16reverse_iteratorISI_EEEEENSH_IJSG_SG_SG_EEES9_SI_JZNS1_25segmented_radix_sort_implINS0_14default_configELb1EPKiPiPKlPlN2at6native12_GLOBAL__N_18offset_tEEE10hipError_tPvRmT1_PNSt15iterator_traitsIS12_E10value_typeET2_T3_PNS13_IS18_E10value_typeET4_jRbjT5_S1E_jjP12ihipStream_tbEUljE_ZNSN_ISO_Lb1ESQ_SR_ST_SU_SY_EESZ_S10_S11_S12_S16_S17_S18_S1B_S1C_jS1D_jS1E_S1E_jjS1G_bEUljE0_EEESZ_S10_S11_S18_S1C_S1E_T6_T7_T9_mT8_S1G_bDpT10_ENKUlT_T0_E_clISt17integral_constantIbLb1EES1U_EEDaS1P_S1Q_EUlS1P_E_NS1_11comp_targetILNS1_3genE3ELNS1_11target_archE908ELNS1_3gpuE7ELNS1_3repE0EEENS1_30default_config_static_selectorELNS0_4arch9wavefront6targetE0EEEvS12_.num_named_barrier, 0
	.set _ZN7rocprim17ROCPRIM_400000_NS6detail17trampoline_kernelINS0_13select_configILj256ELj13ELNS0_17block_load_methodE3ELS4_3ELS4_3ELNS0_20block_scan_algorithmE0ELj4294967295EEENS1_25partition_config_selectorILNS1_17partition_subalgoE4EjNS0_10empty_typeEbEEZZNS1_14partition_implILS8_4ELb0ES6_15HIP_vector_typeIjLj2EENS0_17counting_iteratorIjlEEPS9_SG_NS0_5tupleIJPjSI_NS0_16reverse_iteratorISI_EEEEENSH_IJSG_SG_SG_EEES9_SI_JZNS1_25segmented_radix_sort_implINS0_14default_configELb1EPKiPiPKlPlN2at6native12_GLOBAL__N_18offset_tEEE10hipError_tPvRmT1_PNSt15iterator_traitsIS12_E10value_typeET2_T3_PNS13_IS18_E10value_typeET4_jRbjT5_S1E_jjP12ihipStream_tbEUljE_ZNSN_ISO_Lb1ESQ_SR_ST_SU_SY_EESZ_S10_S11_S12_S16_S17_S18_S1B_S1C_jS1D_jS1E_S1E_jjS1G_bEUljE0_EEESZ_S10_S11_S18_S1C_S1E_T6_T7_T9_mT8_S1G_bDpT10_ENKUlT_T0_E_clISt17integral_constantIbLb1EES1U_EEDaS1P_S1Q_EUlS1P_E_NS1_11comp_targetILNS1_3genE3ELNS1_11target_archE908ELNS1_3gpuE7ELNS1_3repE0EEENS1_30default_config_static_selectorELNS0_4arch9wavefront6targetE0EEEvS12_.private_seg_size, 0
	.set _ZN7rocprim17ROCPRIM_400000_NS6detail17trampoline_kernelINS0_13select_configILj256ELj13ELNS0_17block_load_methodE3ELS4_3ELS4_3ELNS0_20block_scan_algorithmE0ELj4294967295EEENS1_25partition_config_selectorILNS1_17partition_subalgoE4EjNS0_10empty_typeEbEEZZNS1_14partition_implILS8_4ELb0ES6_15HIP_vector_typeIjLj2EENS0_17counting_iteratorIjlEEPS9_SG_NS0_5tupleIJPjSI_NS0_16reverse_iteratorISI_EEEEENSH_IJSG_SG_SG_EEES9_SI_JZNS1_25segmented_radix_sort_implINS0_14default_configELb1EPKiPiPKlPlN2at6native12_GLOBAL__N_18offset_tEEE10hipError_tPvRmT1_PNSt15iterator_traitsIS12_E10value_typeET2_T3_PNS13_IS18_E10value_typeET4_jRbjT5_S1E_jjP12ihipStream_tbEUljE_ZNSN_ISO_Lb1ESQ_SR_ST_SU_SY_EESZ_S10_S11_S12_S16_S17_S18_S1B_S1C_jS1D_jS1E_S1E_jjS1G_bEUljE0_EEESZ_S10_S11_S18_S1C_S1E_T6_T7_T9_mT8_S1G_bDpT10_ENKUlT_T0_E_clISt17integral_constantIbLb1EES1U_EEDaS1P_S1Q_EUlS1P_E_NS1_11comp_targetILNS1_3genE3ELNS1_11target_archE908ELNS1_3gpuE7ELNS1_3repE0EEENS1_30default_config_static_selectorELNS0_4arch9wavefront6targetE0EEEvS12_.uses_vcc, 0
	.set _ZN7rocprim17ROCPRIM_400000_NS6detail17trampoline_kernelINS0_13select_configILj256ELj13ELNS0_17block_load_methodE3ELS4_3ELS4_3ELNS0_20block_scan_algorithmE0ELj4294967295EEENS1_25partition_config_selectorILNS1_17partition_subalgoE4EjNS0_10empty_typeEbEEZZNS1_14partition_implILS8_4ELb0ES6_15HIP_vector_typeIjLj2EENS0_17counting_iteratorIjlEEPS9_SG_NS0_5tupleIJPjSI_NS0_16reverse_iteratorISI_EEEEENSH_IJSG_SG_SG_EEES9_SI_JZNS1_25segmented_radix_sort_implINS0_14default_configELb1EPKiPiPKlPlN2at6native12_GLOBAL__N_18offset_tEEE10hipError_tPvRmT1_PNSt15iterator_traitsIS12_E10value_typeET2_T3_PNS13_IS18_E10value_typeET4_jRbjT5_S1E_jjP12ihipStream_tbEUljE_ZNSN_ISO_Lb1ESQ_SR_ST_SU_SY_EESZ_S10_S11_S12_S16_S17_S18_S1B_S1C_jS1D_jS1E_S1E_jjS1G_bEUljE0_EEESZ_S10_S11_S18_S1C_S1E_T6_T7_T9_mT8_S1G_bDpT10_ENKUlT_T0_E_clISt17integral_constantIbLb1EES1U_EEDaS1P_S1Q_EUlS1P_E_NS1_11comp_targetILNS1_3genE3ELNS1_11target_archE908ELNS1_3gpuE7ELNS1_3repE0EEENS1_30default_config_static_selectorELNS0_4arch9wavefront6targetE0EEEvS12_.uses_flat_scratch, 0
	.set _ZN7rocprim17ROCPRIM_400000_NS6detail17trampoline_kernelINS0_13select_configILj256ELj13ELNS0_17block_load_methodE3ELS4_3ELS4_3ELNS0_20block_scan_algorithmE0ELj4294967295EEENS1_25partition_config_selectorILNS1_17partition_subalgoE4EjNS0_10empty_typeEbEEZZNS1_14partition_implILS8_4ELb0ES6_15HIP_vector_typeIjLj2EENS0_17counting_iteratorIjlEEPS9_SG_NS0_5tupleIJPjSI_NS0_16reverse_iteratorISI_EEEEENSH_IJSG_SG_SG_EEES9_SI_JZNS1_25segmented_radix_sort_implINS0_14default_configELb1EPKiPiPKlPlN2at6native12_GLOBAL__N_18offset_tEEE10hipError_tPvRmT1_PNSt15iterator_traitsIS12_E10value_typeET2_T3_PNS13_IS18_E10value_typeET4_jRbjT5_S1E_jjP12ihipStream_tbEUljE_ZNSN_ISO_Lb1ESQ_SR_ST_SU_SY_EESZ_S10_S11_S12_S16_S17_S18_S1B_S1C_jS1D_jS1E_S1E_jjS1G_bEUljE0_EEESZ_S10_S11_S18_S1C_S1E_T6_T7_T9_mT8_S1G_bDpT10_ENKUlT_T0_E_clISt17integral_constantIbLb1EES1U_EEDaS1P_S1Q_EUlS1P_E_NS1_11comp_targetILNS1_3genE3ELNS1_11target_archE908ELNS1_3gpuE7ELNS1_3repE0EEENS1_30default_config_static_selectorELNS0_4arch9wavefront6targetE0EEEvS12_.has_dyn_sized_stack, 0
	.set _ZN7rocprim17ROCPRIM_400000_NS6detail17trampoline_kernelINS0_13select_configILj256ELj13ELNS0_17block_load_methodE3ELS4_3ELS4_3ELNS0_20block_scan_algorithmE0ELj4294967295EEENS1_25partition_config_selectorILNS1_17partition_subalgoE4EjNS0_10empty_typeEbEEZZNS1_14partition_implILS8_4ELb0ES6_15HIP_vector_typeIjLj2EENS0_17counting_iteratorIjlEEPS9_SG_NS0_5tupleIJPjSI_NS0_16reverse_iteratorISI_EEEEENSH_IJSG_SG_SG_EEES9_SI_JZNS1_25segmented_radix_sort_implINS0_14default_configELb1EPKiPiPKlPlN2at6native12_GLOBAL__N_18offset_tEEE10hipError_tPvRmT1_PNSt15iterator_traitsIS12_E10value_typeET2_T3_PNS13_IS18_E10value_typeET4_jRbjT5_S1E_jjP12ihipStream_tbEUljE_ZNSN_ISO_Lb1ESQ_SR_ST_SU_SY_EESZ_S10_S11_S12_S16_S17_S18_S1B_S1C_jS1D_jS1E_S1E_jjS1G_bEUljE0_EEESZ_S10_S11_S18_S1C_S1E_T6_T7_T9_mT8_S1G_bDpT10_ENKUlT_T0_E_clISt17integral_constantIbLb1EES1U_EEDaS1P_S1Q_EUlS1P_E_NS1_11comp_targetILNS1_3genE3ELNS1_11target_archE908ELNS1_3gpuE7ELNS1_3repE0EEENS1_30default_config_static_selectorELNS0_4arch9wavefront6targetE0EEEvS12_.has_recursion, 0
	.set _ZN7rocprim17ROCPRIM_400000_NS6detail17trampoline_kernelINS0_13select_configILj256ELj13ELNS0_17block_load_methodE3ELS4_3ELS4_3ELNS0_20block_scan_algorithmE0ELj4294967295EEENS1_25partition_config_selectorILNS1_17partition_subalgoE4EjNS0_10empty_typeEbEEZZNS1_14partition_implILS8_4ELb0ES6_15HIP_vector_typeIjLj2EENS0_17counting_iteratorIjlEEPS9_SG_NS0_5tupleIJPjSI_NS0_16reverse_iteratorISI_EEEEENSH_IJSG_SG_SG_EEES9_SI_JZNS1_25segmented_radix_sort_implINS0_14default_configELb1EPKiPiPKlPlN2at6native12_GLOBAL__N_18offset_tEEE10hipError_tPvRmT1_PNSt15iterator_traitsIS12_E10value_typeET2_T3_PNS13_IS18_E10value_typeET4_jRbjT5_S1E_jjP12ihipStream_tbEUljE_ZNSN_ISO_Lb1ESQ_SR_ST_SU_SY_EESZ_S10_S11_S12_S16_S17_S18_S1B_S1C_jS1D_jS1E_S1E_jjS1G_bEUljE0_EEESZ_S10_S11_S18_S1C_S1E_T6_T7_T9_mT8_S1G_bDpT10_ENKUlT_T0_E_clISt17integral_constantIbLb1EES1U_EEDaS1P_S1Q_EUlS1P_E_NS1_11comp_targetILNS1_3genE3ELNS1_11target_archE908ELNS1_3gpuE7ELNS1_3repE0EEENS1_30default_config_static_selectorELNS0_4arch9wavefront6targetE0EEEvS12_.has_indirect_call, 0
	.section	.AMDGPU.csdata,"",@progbits
; Kernel info:
; codeLenInByte = 0
; TotalNumSgprs: 0
; NumVgprs: 0
; ScratchSize: 0
; MemoryBound: 0
; FloatMode: 240
; IeeeMode: 1
; LDSByteSize: 0 bytes/workgroup (compile time only)
; SGPRBlocks: 0
; VGPRBlocks: 0
; NumSGPRsForWavesPerEU: 1
; NumVGPRsForWavesPerEU: 1
; Occupancy: 16
; WaveLimiterHint : 0
; COMPUTE_PGM_RSRC2:SCRATCH_EN: 0
; COMPUTE_PGM_RSRC2:USER_SGPR: 2
; COMPUTE_PGM_RSRC2:TRAP_HANDLER: 0
; COMPUTE_PGM_RSRC2:TGID_X_EN: 1
; COMPUTE_PGM_RSRC2:TGID_Y_EN: 0
; COMPUTE_PGM_RSRC2:TGID_Z_EN: 0
; COMPUTE_PGM_RSRC2:TIDIG_COMP_CNT: 0
	.section	.text._ZN7rocprim17ROCPRIM_400000_NS6detail17trampoline_kernelINS0_13select_configILj256ELj13ELNS0_17block_load_methodE3ELS4_3ELS4_3ELNS0_20block_scan_algorithmE0ELj4294967295EEENS1_25partition_config_selectorILNS1_17partition_subalgoE4EjNS0_10empty_typeEbEEZZNS1_14partition_implILS8_4ELb0ES6_15HIP_vector_typeIjLj2EENS0_17counting_iteratorIjlEEPS9_SG_NS0_5tupleIJPjSI_NS0_16reverse_iteratorISI_EEEEENSH_IJSG_SG_SG_EEES9_SI_JZNS1_25segmented_radix_sort_implINS0_14default_configELb1EPKiPiPKlPlN2at6native12_GLOBAL__N_18offset_tEEE10hipError_tPvRmT1_PNSt15iterator_traitsIS12_E10value_typeET2_T3_PNS13_IS18_E10value_typeET4_jRbjT5_S1E_jjP12ihipStream_tbEUljE_ZNSN_ISO_Lb1ESQ_SR_ST_SU_SY_EESZ_S10_S11_S12_S16_S17_S18_S1B_S1C_jS1D_jS1E_S1E_jjS1G_bEUljE0_EEESZ_S10_S11_S18_S1C_S1E_T6_T7_T9_mT8_S1G_bDpT10_ENKUlT_T0_E_clISt17integral_constantIbLb1EES1U_EEDaS1P_S1Q_EUlS1P_E_NS1_11comp_targetILNS1_3genE2ELNS1_11target_archE906ELNS1_3gpuE6ELNS1_3repE0EEENS1_30default_config_static_selectorELNS0_4arch9wavefront6targetE0EEEvS12_,"axG",@progbits,_ZN7rocprim17ROCPRIM_400000_NS6detail17trampoline_kernelINS0_13select_configILj256ELj13ELNS0_17block_load_methodE3ELS4_3ELS4_3ELNS0_20block_scan_algorithmE0ELj4294967295EEENS1_25partition_config_selectorILNS1_17partition_subalgoE4EjNS0_10empty_typeEbEEZZNS1_14partition_implILS8_4ELb0ES6_15HIP_vector_typeIjLj2EENS0_17counting_iteratorIjlEEPS9_SG_NS0_5tupleIJPjSI_NS0_16reverse_iteratorISI_EEEEENSH_IJSG_SG_SG_EEES9_SI_JZNS1_25segmented_radix_sort_implINS0_14default_configELb1EPKiPiPKlPlN2at6native12_GLOBAL__N_18offset_tEEE10hipError_tPvRmT1_PNSt15iterator_traitsIS12_E10value_typeET2_T3_PNS13_IS18_E10value_typeET4_jRbjT5_S1E_jjP12ihipStream_tbEUljE_ZNSN_ISO_Lb1ESQ_SR_ST_SU_SY_EESZ_S10_S11_S12_S16_S17_S18_S1B_S1C_jS1D_jS1E_S1E_jjS1G_bEUljE0_EEESZ_S10_S11_S18_S1C_S1E_T6_T7_T9_mT8_S1G_bDpT10_ENKUlT_T0_E_clISt17integral_constantIbLb1EES1U_EEDaS1P_S1Q_EUlS1P_E_NS1_11comp_targetILNS1_3genE2ELNS1_11target_archE906ELNS1_3gpuE6ELNS1_3repE0EEENS1_30default_config_static_selectorELNS0_4arch9wavefront6targetE0EEEvS12_,comdat
	.globl	_ZN7rocprim17ROCPRIM_400000_NS6detail17trampoline_kernelINS0_13select_configILj256ELj13ELNS0_17block_load_methodE3ELS4_3ELS4_3ELNS0_20block_scan_algorithmE0ELj4294967295EEENS1_25partition_config_selectorILNS1_17partition_subalgoE4EjNS0_10empty_typeEbEEZZNS1_14partition_implILS8_4ELb0ES6_15HIP_vector_typeIjLj2EENS0_17counting_iteratorIjlEEPS9_SG_NS0_5tupleIJPjSI_NS0_16reverse_iteratorISI_EEEEENSH_IJSG_SG_SG_EEES9_SI_JZNS1_25segmented_radix_sort_implINS0_14default_configELb1EPKiPiPKlPlN2at6native12_GLOBAL__N_18offset_tEEE10hipError_tPvRmT1_PNSt15iterator_traitsIS12_E10value_typeET2_T3_PNS13_IS18_E10value_typeET4_jRbjT5_S1E_jjP12ihipStream_tbEUljE_ZNSN_ISO_Lb1ESQ_SR_ST_SU_SY_EESZ_S10_S11_S12_S16_S17_S18_S1B_S1C_jS1D_jS1E_S1E_jjS1G_bEUljE0_EEESZ_S10_S11_S18_S1C_S1E_T6_T7_T9_mT8_S1G_bDpT10_ENKUlT_T0_E_clISt17integral_constantIbLb1EES1U_EEDaS1P_S1Q_EUlS1P_E_NS1_11comp_targetILNS1_3genE2ELNS1_11target_archE906ELNS1_3gpuE6ELNS1_3repE0EEENS1_30default_config_static_selectorELNS0_4arch9wavefront6targetE0EEEvS12_ ; -- Begin function _ZN7rocprim17ROCPRIM_400000_NS6detail17trampoline_kernelINS0_13select_configILj256ELj13ELNS0_17block_load_methodE3ELS4_3ELS4_3ELNS0_20block_scan_algorithmE0ELj4294967295EEENS1_25partition_config_selectorILNS1_17partition_subalgoE4EjNS0_10empty_typeEbEEZZNS1_14partition_implILS8_4ELb0ES6_15HIP_vector_typeIjLj2EENS0_17counting_iteratorIjlEEPS9_SG_NS0_5tupleIJPjSI_NS0_16reverse_iteratorISI_EEEEENSH_IJSG_SG_SG_EEES9_SI_JZNS1_25segmented_radix_sort_implINS0_14default_configELb1EPKiPiPKlPlN2at6native12_GLOBAL__N_18offset_tEEE10hipError_tPvRmT1_PNSt15iterator_traitsIS12_E10value_typeET2_T3_PNS13_IS18_E10value_typeET4_jRbjT5_S1E_jjP12ihipStream_tbEUljE_ZNSN_ISO_Lb1ESQ_SR_ST_SU_SY_EESZ_S10_S11_S12_S16_S17_S18_S1B_S1C_jS1D_jS1E_S1E_jjS1G_bEUljE0_EEESZ_S10_S11_S18_S1C_S1E_T6_T7_T9_mT8_S1G_bDpT10_ENKUlT_T0_E_clISt17integral_constantIbLb1EES1U_EEDaS1P_S1Q_EUlS1P_E_NS1_11comp_targetILNS1_3genE2ELNS1_11target_archE906ELNS1_3gpuE6ELNS1_3repE0EEENS1_30default_config_static_selectorELNS0_4arch9wavefront6targetE0EEEvS12_
	.p2align	8
	.type	_ZN7rocprim17ROCPRIM_400000_NS6detail17trampoline_kernelINS0_13select_configILj256ELj13ELNS0_17block_load_methodE3ELS4_3ELS4_3ELNS0_20block_scan_algorithmE0ELj4294967295EEENS1_25partition_config_selectorILNS1_17partition_subalgoE4EjNS0_10empty_typeEbEEZZNS1_14partition_implILS8_4ELb0ES6_15HIP_vector_typeIjLj2EENS0_17counting_iteratorIjlEEPS9_SG_NS0_5tupleIJPjSI_NS0_16reverse_iteratorISI_EEEEENSH_IJSG_SG_SG_EEES9_SI_JZNS1_25segmented_radix_sort_implINS0_14default_configELb1EPKiPiPKlPlN2at6native12_GLOBAL__N_18offset_tEEE10hipError_tPvRmT1_PNSt15iterator_traitsIS12_E10value_typeET2_T3_PNS13_IS18_E10value_typeET4_jRbjT5_S1E_jjP12ihipStream_tbEUljE_ZNSN_ISO_Lb1ESQ_SR_ST_SU_SY_EESZ_S10_S11_S12_S16_S17_S18_S1B_S1C_jS1D_jS1E_S1E_jjS1G_bEUljE0_EEESZ_S10_S11_S18_S1C_S1E_T6_T7_T9_mT8_S1G_bDpT10_ENKUlT_T0_E_clISt17integral_constantIbLb1EES1U_EEDaS1P_S1Q_EUlS1P_E_NS1_11comp_targetILNS1_3genE2ELNS1_11target_archE906ELNS1_3gpuE6ELNS1_3repE0EEENS1_30default_config_static_selectorELNS0_4arch9wavefront6targetE0EEEvS12_,@function
_ZN7rocprim17ROCPRIM_400000_NS6detail17trampoline_kernelINS0_13select_configILj256ELj13ELNS0_17block_load_methodE3ELS4_3ELS4_3ELNS0_20block_scan_algorithmE0ELj4294967295EEENS1_25partition_config_selectorILNS1_17partition_subalgoE4EjNS0_10empty_typeEbEEZZNS1_14partition_implILS8_4ELb0ES6_15HIP_vector_typeIjLj2EENS0_17counting_iteratorIjlEEPS9_SG_NS0_5tupleIJPjSI_NS0_16reverse_iteratorISI_EEEEENSH_IJSG_SG_SG_EEES9_SI_JZNS1_25segmented_radix_sort_implINS0_14default_configELb1EPKiPiPKlPlN2at6native12_GLOBAL__N_18offset_tEEE10hipError_tPvRmT1_PNSt15iterator_traitsIS12_E10value_typeET2_T3_PNS13_IS18_E10value_typeET4_jRbjT5_S1E_jjP12ihipStream_tbEUljE_ZNSN_ISO_Lb1ESQ_SR_ST_SU_SY_EESZ_S10_S11_S12_S16_S17_S18_S1B_S1C_jS1D_jS1E_S1E_jjS1G_bEUljE0_EEESZ_S10_S11_S18_S1C_S1E_T6_T7_T9_mT8_S1G_bDpT10_ENKUlT_T0_E_clISt17integral_constantIbLb1EES1U_EEDaS1P_S1Q_EUlS1P_E_NS1_11comp_targetILNS1_3genE2ELNS1_11target_archE906ELNS1_3gpuE6ELNS1_3repE0EEENS1_30default_config_static_selectorELNS0_4arch9wavefront6targetE0EEEvS12_: ; @_ZN7rocprim17ROCPRIM_400000_NS6detail17trampoline_kernelINS0_13select_configILj256ELj13ELNS0_17block_load_methodE3ELS4_3ELS4_3ELNS0_20block_scan_algorithmE0ELj4294967295EEENS1_25partition_config_selectorILNS1_17partition_subalgoE4EjNS0_10empty_typeEbEEZZNS1_14partition_implILS8_4ELb0ES6_15HIP_vector_typeIjLj2EENS0_17counting_iteratorIjlEEPS9_SG_NS0_5tupleIJPjSI_NS0_16reverse_iteratorISI_EEEEENSH_IJSG_SG_SG_EEES9_SI_JZNS1_25segmented_radix_sort_implINS0_14default_configELb1EPKiPiPKlPlN2at6native12_GLOBAL__N_18offset_tEEE10hipError_tPvRmT1_PNSt15iterator_traitsIS12_E10value_typeET2_T3_PNS13_IS18_E10value_typeET4_jRbjT5_S1E_jjP12ihipStream_tbEUljE_ZNSN_ISO_Lb1ESQ_SR_ST_SU_SY_EESZ_S10_S11_S12_S16_S17_S18_S1B_S1C_jS1D_jS1E_S1E_jjS1G_bEUljE0_EEESZ_S10_S11_S18_S1C_S1E_T6_T7_T9_mT8_S1G_bDpT10_ENKUlT_T0_E_clISt17integral_constantIbLb1EES1U_EEDaS1P_S1Q_EUlS1P_E_NS1_11comp_targetILNS1_3genE2ELNS1_11target_archE906ELNS1_3gpuE6ELNS1_3repE0EEENS1_30default_config_static_selectorELNS0_4arch9wavefront6targetE0EEEvS12_
; %bb.0:
	.section	.rodata,"a",@progbits
	.p2align	6, 0x0
	.amdhsa_kernel _ZN7rocprim17ROCPRIM_400000_NS6detail17trampoline_kernelINS0_13select_configILj256ELj13ELNS0_17block_load_methodE3ELS4_3ELS4_3ELNS0_20block_scan_algorithmE0ELj4294967295EEENS1_25partition_config_selectorILNS1_17partition_subalgoE4EjNS0_10empty_typeEbEEZZNS1_14partition_implILS8_4ELb0ES6_15HIP_vector_typeIjLj2EENS0_17counting_iteratorIjlEEPS9_SG_NS0_5tupleIJPjSI_NS0_16reverse_iteratorISI_EEEEENSH_IJSG_SG_SG_EEES9_SI_JZNS1_25segmented_radix_sort_implINS0_14default_configELb1EPKiPiPKlPlN2at6native12_GLOBAL__N_18offset_tEEE10hipError_tPvRmT1_PNSt15iterator_traitsIS12_E10value_typeET2_T3_PNS13_IS18_E10value_typeET4_jRbjT5_S1E_jjP12ihipStream_tbEUljE_ZNSN_ISO_Lb1ESQ_SR_ST_SU_SY_EESZ_S10_S11_S12_S16_S17_S18_S1B_S1C_jS1D_jS1E_S1E_jjS1G_bEUljE0_EEESZ_S10_S11_S18_S1C_S1E_T6_T7_T9_mT8_S1G_bDpT10_ENKUlT_T0_E_clISt17integral_constantIbLb1EES1U_EEDaS1P_S1Q_EUlS1P_E_NS1_11comp_targetILNS1_3genE2ELNS1_11target_archE906ELNS1_3gpuE6ELNS1_3repE0EEENS1_30default_config_static_selectorELNS0_4arch9wavefront6targetE0EEEvS12_
		.amdhsa_group_segment_fixed_size 0
		.amdhsa_private_segment_fixed_size 0
		.amdhsa_kernarg_size 184
		.amdhsa_user_sgpr_count 2
		.amdhsa_user_sgpr_dispatch_ptr 0
		.amdhsa_user_sgpr_queue_ptr 0
		.amdhsa_user_sgpr_kernarg_segment_ptr 1
		.amdhsa_user_sgpr_dispatch_id 0
		.amdhsa_user_sgpr_private_segment_size 0
		.amdhsa_wavefront_size32 1
		.amdhsa_uses_dynamic_stack 0
		.amdhsa_enable_private_segment 0
		.amdhsa_system_sgpr_workgroup_id_x 1
		.amdhsa_system_sgpr_workgroup_id_y 0
		.amdhsa_system_sgpr_workgroup_id_z 0
		.amdhsa_system_sgpr_workgroup_info 0
		.amdhsa_system_vgpr_workitem_id 0
		.amdhsa_next_free_vgpr 1
		.amdhsa_next_free_sgpr 1
		.amdhsa_reserve_vcc 0
		.amdhsa_float_round_mode_32 0
		.amdhsa_float_round_mode_16_64 0
		.amdhsa_float_denorm_mode_32 3
		.amdhsa_float_denorm_mode_16_64 3
		.amdhsa_fp16_overflow 0
		.amdhsa_workgroup_processor_mode 1
		.amdhsa_memory_ordered 1
		.amdhsa_forward_progress 1
		.amdhsa_inst_pref_size 0
		.amdhsa_round_robin_scheduling 0
		.amdhsa_exception_fp_ieee_invalid_op 0
		.amdhsa_exception_fp_denorm_src 0
		.amdhsa_exception_fp_ieee_div_zero 0
		.amdhsa_exception_fp_ieee_overflow 0
		.amdhsa_exception_fp_ieee_underflow 0
		.amdhsa_exception_fp_ieee_inexact 0
		.amdhsa_exception_int_div_zero 0
	.end_amdhsa_kernel
	.section	.text._ZN7rocprim17ROCPRIM_400000_NS6detail17trampoline_kernelINS0_13select_configILj256ELj13ELNS0_17block_load_methodE3ELS4_3ELS4_3ELNS0_20block_scan_algorithmE0ELj4294967295EEENS1_25partition_config_selectorILNS1_17partition_subalgoE4EjNS0_10empty_typeEbEEZZNS1_14partition_implILS8_4ELb0ES6_15HIP_vector_typeIjLj2EENS0_17counting_iteratorIjlEEPS9_SG_NS0_5tupleIJPjSI_NS0_16reverse_iteratorISI_EEEEENSH_IJSG_SG_SG_EEES9_SI_JZNS1_25segmented_radix_sort_implINS0_14default_configELb1EPKiPiPKlPlN2at6native12_GLOBAL__N_18offset_tEEE10hipError_tPvRmT1_PNSt15iterator_traitsIS12_E10value_typeET2_T3_PNS13_IS18_E10value_typeET4_jRbjT5_S1E_jjP12ihipStream_tbEUljE_ZNSN_ISO_Lb1ESQ_SR_ST_SU_SY_EESZ_S10_S11_S12_S16_S17_S18_S1B_S1C_jS1D_jS1E_S1E_jjS1G_bEUljE0_EEESZ_S10_S11_S18_S1C_S1E_T6_T7_T9_mT8_S1G_bDpT10_ENKUlT_T0_E_clISt17integral_constantIbLb1EES1U_EEDaS1P_S1Q_EUlS1P_E_NS1_11comp_targetILNS1_3genE2ELNS1_11target_archE906ELNS1_3gpuE6ELNS1_3repE0EEENS1_30default_config_static_selectorELNS0_4arch9wavefront6targetE0EEEvS12_,"axG",@progbits,_ZN7rocprim17ROCPRIM_400000_NS6detail17trampoline_kernelINS0_13select_configILj256ELj13ELNS0_17block_load_methodE3ELS4_3ELS4_3ELNS0_20block_scan_algorithmE0ELj4294967295EEENS1_25partition_config_selectorILNS1_17partition_subalgoE4EjNS0_10empty_typeEbEEZZNS1_14partition_implILS8_4ELb0ES6_15HIP_vector_typeIjLj2EENS0_17counting_iteratorIjlEEPS9_SG_NS0_5tupleIJPjSI_NS0_16reverse_iteratorISI_EEEEENSH_IJSG_SG_SG_EEES9_SI_JZNS1_25segmented_radix_sort_implINS0_14default_configELb1EPKiPiPKlPlN2at6native12_GLOBAL__N_18offset_tEEE10hipError_tPvRmT1_PNSt15iterator_traitsIS12_E10value_typeET2_T3_PNS13_IS18_E10value_typeET4_jRbjT5_S1E_jjP12ihipStream_tbEUljE_ZNSN_ISO_Lb1ESQ_SR_ST_SU_SY_EESZ_S10_S11_S12_S16_S17_S18_S1B_S1C_jS1D_jS1E_S1E_jjS1G_bEUljE0_EEESZ_S10_S11_S18_S1C_S1E_T6_T7_T9_mT8_S1G_bDpT10_ENKUlT_T0_E_clISt17integral_constantIbLb1EES1U_EEDaS1P_S1Q_EUlS1P_E_NS1_11comp_targetILNS1_3genE2ELNS1_11target_archE906ELNS1_3gpuE6ELNS1_3repE0EEENS1_30default_config_static_selectorELNS0_4arch9wavefront6targetE0EEEvS12_,comdat
.Lfunc_end445:
	.size	_ZN7rocprim17ROCPRIM_400000_NS6detail17trampoline_kernelINS0_13select_configILj256ELj13ELNS0_17block_load_methodE3ELS4_3ELS4_3ELNS0_20block_scan_algorithmE0ELj4294967295EEENS1_25partition_config_selectorILNS1_17partition_subalgoE4EjNS0_10empty_typeEbEEZZNS1_14partition_implILS8_4ELb0ES6_15HIP_vector_typeIjLj2EENS0_17counting_iteratorIjlEEPS9_SG_NS0_5tupleIJPjSI_NS0_16reverse_iteratorISI_EEEEENSH_IJSG_SG_SG_EEES9_SI_JZNS1_25segmented_radix_sort_implINS0_14default_configELb1EPKiPiPKlPlN2at6native12_GLOBAL__N_18offset_tEEE10hipError_tPvRmT1_PNSt15iterator_traitsIS12_E10value_typeET2_T3_PNS13_IS18_E10value_typeET4_jRbjT5_S1E_jjP12ihipStream_tbEUljE_ZNSN_ISO_Lb1ESQ_SR_ST_SU_SY_EESZ_S10_S11_S12_S16_S17_S18_S1B_S1C_jS1D_jS1E_S1E_jjS1G_bEUljE0_EEESZ_S10_S11_S18_S1C_S1E_T6_T7_T9_mT8_S1G_bDpT10_ENKUlT_T0_E_clISt17integral_constantIbLb1EES1U_EEDaS1P_S1Q_EUlS1P_E_NS1_11comp_targetILNS1_3genE2ELNS1_11target_archE906ELNS1_3gpuE6ELNS1_3repE0EEENS1_30default_config_static_selectorELNS0_4arch9wavefront6targetE0EEEvS12_, .Lfunc_end445-_ZN7rocprim17ROCPRIM_400000_NS6detail17trampoline_kernelINS0_13select_configILj256ELj13ELNS0_17block_load_methodE3ELS4_3ELS4_3ELNS0_20block_scan_algorithmE0ELj4294967295EEENS1_25partition_config_selectorILNS1_17partition_subalgoE4EjNS0_10empty_typeEbEEZZNS1_14partition_implILS8_4ELb0ES6_15HIP_vector_typeIjLj2EENS0_17counting_iteratorIjlEEPS9_SG_NS0_5tupleIJPjSI_NS0_16reverse_iteratorISI_EEEEENSH_IJSG_SG_SG_EEES9_SI_JZNS1_25segmented_radix_sort_implINS0_14default_configELb1EPKiPiPKlPlN2at6native12_GLOBAL__N_18offset_tEEE10hipError_tPvRmT1_PNSt15iterator_traitsIS12_E10value_typeET2_T3_PNS13_IS18_E10value_typeET4_jRbjT5_S1E_jjP12ihipStream_tbEUljE_ZNSN_ISO_Lb1ESQ_SR_ST_SU_SY_EESZ_S10_S11_S12_S16_S17_S18_S1B_S1C_jS1D_jS1E_S1E_jjS1G_bEUljE0_EEESZ_S10_S11_S18_S1C_S1E_T6_T7_T9_mT8_S1G_bDpT10_ENKUlT_T0_E_clISt17integral_constantIbLb1EES1U_EEDaS1P_S1Q_EUlS1P_E_NS1_11comp_targetILNS1_3genE2ELNS1_11target_archE906ELNS1_3gpuE6ELNS1_3repE0EEENS1_30default_config_static_selectorELNS0_4arch9wavefront6targetE0EEEvS12_
                                        ; -- End function
	.set _ZN7rocprim17ROCPRIM_400000_NS6detail17trampoline_kernelINS0_13select_configILj256ELj13ELNS0_17block_load_methodE3ELS4_3ELS4_3ELNS0_20block_scan_algorithmE0ELj4294967295EEENS1_25partition_config_selectorILNS1_17partition_subalgoE4EjNS0_10empty_typeEbEEZZNS1_14partition_implILS8_4ELb0ES6_15HIP_vector_typeIjLj2EENS0_17counting_iteratorIjlEEPS9_SG_NS0_5tupleIJPjSI_NS0_16reverse_iteratorISI_EEEEENSH_IJSG_SG_SG_EEES9_SI_JZNS1_25segmented_radix_sort_implINS0_14default_configELb1EPKiPiPKlPlN2at6native12_GLOBAL__N_18offset_tEEE10hipError_tPvRmT1_PNSt15iterator_traitsIS12_E10value_typeET2_T3_PNS13_IS18_E10value_typeET4_jRbjT5_S1E_jjP12ihipStream_tbEUljE_ZNSN_ISO_Lb1ESQ_SR_ST_SU_SY_EESZ_S10_S11_S12_S16_S17_S18_S1B_S1C_jS1D_jS1E_S1E_jjS1G_bEUljE0_EEESZ_S10_S11_S18_S1C_S1E_T6_T7_T9_mT8_S1G_bDpT10_ENKUlT_T0_E_clISt17integral_constantIbLb1EES1U_EEDaS1P_S1Q_EUlS1P_E_NS1_11comp_targetILNS1_3genE2ELNS1_11target_archE906ELNS1_3gpuE6ELNS1_3repE0EEENS1_30default_config_static_selectorELNS0_4arch9wavefront6targetE0EEEvS12_.num_vgpr, 0
	.set _ZN7rocprim17ROCPRIM_400000_NS6detail17trampoline_kernelINS0_13select_configILj256ELj13ELNS0_17block_load_methodE3ELS4_3ELS4_3ELNS0_20block_scan_algorithmE0ELj4294967295EEENS1_25partition_config_selectorILNS1_17partition_subalgoE4EjNS0_10empty_typeEbEEZZNS1_14partition_implILS8_4ELb0ES6_15HIP_vector_typeIjLj2EENS0_17counting_iteratorIjlEEPS9_SG_NS0_5tupleIJPjSI_NS0_16reverse_iteratorISI_EEEEENSH_IJSG_SG_SG_EEES9_SI_JZNS1_25segmented_radix_sort_implINS0_14default_configELb1EPKiPiPKlPlN2at6native12_GLOBAL__N_18offset_tEEE10hipError_tPvRmT1_PNSt15iterator_traitsIS12_E10value_typeET2_T3_PNS13_IS18_E10value_typeET4_jRbjT5_S1E_jjP12ihipStream_tbEUljE_ZNSN_ISO_Lb1ESQ_SR_ST_SU_SY_EESZ_S10_S11_S12_S16_S17_S18_S1B_S1C_jS1D_jS1E_S1E_jjS1G_bEUljE0_EEESZ_S10_S11_S18_S1C_S1E_T6_T7_T9_mT8_S1G_bDpT10_ENKUlT_T0_E_clISt17integral_constantIbLb1EES1U_EEDaS1P_S1Q_EUlS1P_E_NS1_11comp_targetILNS1_3genE2ELNS1_11target_archE906ELNS1_3gpuE6ELNS1_3repE0EEENS1_30default_config_static_selectorELNS0_4arch9wavefront6targetE0EEEvS12_.num_agpr, 0
	.set _ZN7rocprim17ROCPRIM_400000_NS6detail17trampoline_kernelINS0_13select_configILj256ELj13ELNS0_17block_load_methodE3ELS4_3ELS4_3ELNS0_20block_scan_algorithmE0ELj4294967295EEENS1_25partition_config_selectorILNS1_17partition_subalgoE4EjNS0_10empty_typeEbEEZZNS1_14partition_implILS8_4ELb0ES6_15HIP_vector_typeIjLj2EENS0_17counting_iteratorIjlEEPS9_SG_NS0_5tupleIJPjSI_NS0_16reverse_iteratorISI_EEEEENSH_IJSG_SG_SG_EEES9_SI_JZNS1_25segmented_radix_sort_implINS0_14default_configELb1EPKiPiPKlPlN2at6native12_GLOBAL__N_18offset_tEEE10hipError_tPvRmT1_PNSt15iterator_traitsIS12_E10value_typeET2_T3_PNS13_IS18_E10value_typeET4_jRbjT5_S1E_jjP12ihipStream_tbEUljE_ZNSN_ISO_Lb1ESQ_SR_ST_SU_SY_EESZ_S10_S11_S12_S16_S17_S18_S1B_S1C_jS1D_jS1E_S1E_jjS1G_bEUljE0_EEESZ_S10_S11_S18_S1C_S1E_T6_T7_T9_mT8_S1G_bDpT10_ENKUlT_T0_E_clISt17integral_constantIbLb1EES1U_EEDaS1P_S1Q_EUlS1P_E_NS1_11comp_targetILNS1_3genE2ELNS1_11target_archE906ELNS1_3gpuE6ELNS1_3repE0EEENS1_30default_config_static_selectorELNS0_4arch9wavefront6targetE0EEEvS12_.numbered_sgpr, 0
	.set _ZN7rocprim17ROCPRIM_400000_NS6detail17trampoline_kernelINS0_13select_configILj256ELj13ELNS0_17block_load_methodE3ELS4_3ELS4_3ELNS0_20block_scan_algorithmE0ELj4294967295EEENS1_25partition_config_selectorILNS1_17partition_subalgoE4EjNS0_10empty_typeEbEEZZNS1_14partition_implILS8_4ELb0ES6_15HIP_vector_typeIjLj2EENS0_17counting_iteratorIjlEEPS9_SG_NS0_5tupleIJPjSI_NS0_16reverse_iteratorISI_EEEEENSH_IJSG_SG_SG_EEES9_SI_JZNS1_25segmented_radix_sort_implINS0_14default_configELb1EPKiPiPKlPlN2at6native12_GLOBAL__N_18offset_tEEE10hipError_tPvRmT1_PNSt15iterator_traitsIS12_E10value_typeET2_T3_PNS13_IS18_E10value_typeET4_jRbjT5_S1E_jjP12ihipStream_tbEUljE_ZNSN_ISO_Lb1ESQ_SR_ST_SU_SY_EESZ_S10_S11_S12_S16_S17_S18_S1B_S1C_jS1D_jS1E_S1E_jjS1G_bEUljE0_EEESZ_S10_S11_S18_S1C_S1E_T6_T7_T9_mT8_S1G_bDpT10_ENKUlT_T0_E_clISt17integral_constantIbLb1EES1U_EEDaS1P_S1Q_EUlS1P_E_NS1_11comp_targetILNS1_3genE2ELNS1_11target_archE906ELNS1_3gpuE6ELNS1_3repE0EEENS1_30default_config_static_selectorELNS0_4arch9wavefront6targetE0EEEvS12_.num_named_barrier, 0
	.set _ZN7rocprim17ROCPRIM_400000_NS6detail17trampoline_kernelINS0_13select_configILj256ELj13ELNS0_17block_load_methodE3ELS4_3ELS4_3ELNS0_20block_scan_algorithmE0ELj4294967295EEENS1_25partition_config_selectorILNS1_17partition_subalgoE4EjNS0_10empty_typeEbEEZZNS1_14partition_implILS8_4ELb0ES6_15HIP_vector_typeIjLj2EENS0_17counting_iteratorIjlEEPS9_SG_NS0_5tupleIJPjSI_NS0_16reverse_iteratorISI_EEEEENSH_IJSG_SG_SG_EEES9_SI_JZNS1_25segmented_radix_sort_implINS0_14default_configELb1EPKiPiPKlPlN2at6native12_GLOBAL__N_18offset_tEEE10hipError_tPvRmT1_PNSt15iterator_traitsIS12_E10value_typeET2_T3_PNS13_IS18_E10value_typeET4_jRbjT5_S1E_jjP12ihipStream_tbEUljE_ZNSN_ISO_Lb1ESQ_SR_ST_SU_SY_EESZ_S10_S11_S12_S16_S17_S18_S1B_S1C_jS1D_jS1E_S1E_jjS1G_bEUljE0_EEESZ_S10_S11_S18_S1C_S1E_T6_T7_T9_mT8_S1G_bDpT10_ENKUlT_T0_E_clISt17integral_constantIbLb1EES1U_EEDaS1P_S1Q_EUlS1P_E_NS1_11comp_targetILNS1_3genE2ELNS1_11target_archE906ELNS1_3gpuE6ELNS1_3repE0EEENS1_30default_config_static_selectorELNS0_4arch9wavefront6targetE0EEEvS12_.private_seg_size, 0
	.set _ZN7rocprim17ROCPRIM_400000_NS6detail17trampoline_kernelINS0_13select_configILj256ELj13ELNS0_17block_load_methodE3ELS4_3ELS4_3ELNS0_20block_scan_algorithmE0ELj4294967295EEENS1_25partition_config_selectorILNS1_17partition_subalgoE4EjNS0_10empty_typeEbEEZZNS1_14partition_implILS8_4ELb0ES6_15HIP_vector_typeIjLj2EENS0_17counting_iteratorIjlEEPS9_SG_NS0_5tupleIJPjSI_NS0_16reverse_iteratorISI_EEEEENSH_IJSG_SG_SG_EEES9_SI_JZNS1_25segmented_radix_sort_implINS0_14default_configELb1EPKiPiPKlPlN2at6native12_GLOBAL__N_18offset_tEEE10hipError_tPvRmT1_PNSt15iterator_traitsIS12_E10value_typeET2_T3_PNS13_IS18_E10value_typeET4_jRbjT5_S1E_jjP12ihipStream_tbEUljE_ZNSN_ISO_Lb1ESQ_SR_ST_SU_SY_EESZ_S10_S11_S12_S16_S17_S18_S1B_S1C_jS1D_jS1E_S1E_jjS1G_bEUljE0_EEESZ_S10_S11_S18_S1C_S1E_T6_T7_T9_mT8_S1G_bDpT10_ENKUlT_T0_E_clISt17integral_constantIbLb1EES1U_EEDaS1P_S1Q_EUlS1P_E_NS1_11comp_targetILNS1_3genE2ELNS1_11target_archE906ELNS1_3gpuE6ELNS1_3repE0EEENS1_30default_config_static_selectorELNS0_4arch9wavefront6targetE0EEEvS12_.uses_vcc, 0
	.set _ZN7rocprim17ROCPRIM_400000_NS6detail17trampoline_kernelINS0_13select_configILj256ELj13ELNS0_17block_load_methodE3ELS4_3ELS4_3ELNS0_20block_scan_algorithmE0ELj4294967295EEENS1_25partition_config_selectorILNS1_17partition_subalgoE4EjNS0_10empty_typeEbEEZZNS1_14partition_implILS8_4ELb0ES6_15HIP_vector_typeIjLj2EENS0_17counting_iteratorIjlEEPS9_SG_NS0_5tupleIJPjSI_NS0_16reverse_iteratorISI_EEEEENSH_IJSG_SG_SG_EEES9_SI_JZNS1_25segmented_radix_sort_implINS0_14default_configELb1EPKiPiPKlPlN2at6native12_GLOBAL__N_18offset_tEEE10hipError_tPvRmT1_PNSt15iterator_traitsIS12_E10value_typeET2_T3_PNS13_IS18_E10value_typeET4_jRbjT5_S1E_jjP12ihipStream_tbEUljE_ZNSN_ISO_Lb1ESQ_SR_ST_SU_SY_EESZ_S10_S11_S12_S16_S17_S18_S1B_S1C_jS1D_jS1E_S1E_jjS1G_bEUljE0_EEESZ_S10_S11_S18_S1C_S1E_T6_T7_T9_mT8_S1G_bDpT10_ENKUlT_T0_E_clISt17integral_constantIbLb1EES1U_EEDaS1P_S1Q_EUlS1P_E_NS1_11comp_targetILNS1_3genE2ELNS1_11target_archE906ELNS1_3gpuE6ELNS1_3repE0EEENS1_30default_config_static_selectorELNS0_4arch9wavefront6targetE0EEEvS12_.uses_flat_scratch, 0
	.set _ZN7rocprim17ROCPRIM_400000_NS6detail17trampoline_kernelINS0_13select_configILj256ELj13ELNS0_17block_load_methodE3ELS4_3ELS4_3ELNS0_20block_scan_algorithmE0ELj4294967295EEENS1_25partition_config_selectorILNS1_17partition_subalgoE4EjNS0_10empty_typeEbEEZZNS1_14partition_implILS8_4ELb0ES6_15HIP_vector_typeIjLj2EENS0_17counting_iteratorIjlEEPS9_SG_NS0_5tupleIJPjSI_NS0_16reverse_iteratorISI_EEEEENSH_IJSG_SG_SG_EEES9_SI_JZNS1_25segmented_radix_sort_implINS0_14default_configELb1EPKiPiPKlPlN2at6native12_GLOBAL__N_18offset_tEEE10hipError_tPvRmT1_PNSt15iterator_traitsIS12_E10value_typeET2_T3_PNS13_IS18_E10value_typeET4_jRbjT5_S1E_jjP12ihipStream_tbEUljE_ZNSN_ISO_Lb1ESQ_SR_ST_SU_SY_EESZ_S10_S11_S12_S16_S17_S18_S1B_S1C_jS1D_jS1E_S1E_jjS1G_bEUljE0_EEESZ_S10_S11_S18_S1C_S1E_T6_T7_T9_mT8_S1G_bDpT10_ENKUlT_T0_E_clISt17integral_constantIbLb1EES1U_EEDaS1P_S1Q_EUlS1P_E_NS1_11comp_targetILNS1_3genE2ELNS1_11target_archE906ELNS1_3gpuE6ELNS1_3repE0EEENS1_30default_config_static_selectorELNS0_4arch9wavefront6targetE0EEEvS12_.has_dyn_sized_stack, 0
	.set _ZN7rocprim17ROCPRIM_400000_NS6detail17trampoline_kernelINS0_13select_configILj256ELj13ELNS0_17block_load_methodE3ELS4_3ELS4_3ELNS0_20block_scan_algorithmE0ELj4294967295EEENS1_25partition_config_selectorILNS1_17partition_subalgoE4EjNS0_10empty_typeEbEEZZNS1_14partition_implILS8_4ELb0ES6_15HIP_vector_typeIjLj2EENS0_17counting_iteratorIjlEEPS9_SG_NS0_5tupleIJPjSI_NS0_16reverse_iteratorISI_EEEEENSH_IJSG_SG_SG_EEES9_SI_JZNS1_25segmented_radix_sort_implINS0_14default_configELb1EPKiPiPKlPlN2at6native12_GLOBAL__N_18offset_tEEE10hipError_tPvRmT1_PNSt15iterator_traitsIS12_E10value_typeET2_T3_PNS13_IS18_E10value_typeET4_jRbjT5_S1E_jjP12ihipStream_tbEUljE_ZNSN_ISO_Lb1ESQ_SR_ST_SU_SY_EESZ_S10_S11_S12_S16_S17_S18_S1B_S1C_jS1D_jS1E_S1E_jjS1G_bEUljE0_EEESZ_S10_S11_S18_S1C_S1E_T6_T7_T9_mT8_S1G_bDpT10_ENKUlT_T0_E_clISt17integral_constantIbLb1EES1U_EEDaS1P_S1Q_EUlS1P_E_NS1_11comp_targetILNS1_3genE2ELNS1_11target_archE906ELNS1_3gpuE6ELNS1_3repE0EEENS1_30default_config_static_selectorELNS0_4arch9wavefront6targetE0EEEvS12_.has_recursion, 0
	.set _ZN7rocprim17ROCPRIM_400000_NS6detail17trampoline_kernelINS0_13select_configILj256ELj13ELNS0_17block_load_methodE3ELS4_3ELS4_3ELNS0_20block_scan_algorithmE0ELj4294967295EEENS1_25partition_config_selectorILNS1_17partition_subalgoE4EjNS0_10empty_typeEbEEZZNS1_14partition_implILS8_4ELb0ES6_15HIP_vector_typeIjLj2EENS0_17counting_iteratorIjlEEPS9_SG_NS0_5tupleIJPjSI_NS0_16reverse_iteratorISI_EEEEENSH_IJSG_SG_SG_EEES9_SI_JZNS1_25segmented_radix_sort_implINS0_14default_configELb1EPKiPiPKlPlN2at6native12_GLOBAL__N_18offset_tEEE10hipError_tPvRmT1_PNSt15iterator_traitsIS12_E10value_typeET2_T3_PNS13_IS18_E10value_typeET4_jRbjT5_S1E_jjP12ihipStream_tbEUljE_ZNSN_ISO_Lb1ESQ_SR_ST_SU_SY_EESZ_S10_S11_S12_S16_S17_S18_S1B_S1C_jS1D_jS1E_S1E_jjS1G_bEUljE0_EEESZ_S10_S11_S18_S1C_S1E_T6_T7_T9_mT8_S1G_bDpT10_ENKUlT_T0_E_clISt17integral_constantIbLb1EES1U_EEDaS1P_S1Q_EUlS1P_E_NS1_11comp_targetILNS1_3genE2ELNS1_11target_archE906ELNS1_3gpuE6ELNS1_3repE0EEENS1_30default_config_static_selectorELNS0_4arch9wavefront6targetE0EEEvS12_.has_indirect_call, 0
	.section	.AMDGPU.csdata,"",@progbits
; Kernel info:
; codeLenInByte = 0
; TotalNumSgprs: 0
; NumVgprs: 0
; ScratchSize: 0
; MemoryBound: 0
; FloatMode: 240
; IeeeMode: 1
; LDSByteSize: 0 bytes/workgroup (compile time only)
; SGPRBlocks: 0
; VGPRBlocks: 0
; NumSGPRsForWavesPerEU: 1
; NumVGPRsForWavesPerEU: 1
; Occupancy: 16
; WaveLimiterHint : 0
; COMPUTE_PGM_RSRC2:SCRATCH_EN: 0
; COMPUTE_PGM_RSRC2:USER_SGPR: 2
; COMPUTE_PGM_RSRC2:TRAP_HANDLER: 0
; COMPUTE_PGM_RSRC2:TGID_X_EN: 1
; COMPUTE_PGM_RSRC2:TGID_Y_EN: 0
; COMPUTE_PGM_RSRC2:TGID_Z_EN: 0
; COMPUTE_PGM_RSRC2:TIDIG_COMP_CNT: 0
	.section	.text._ZN7rocprim17ROCPRIM_400000_NS6detail17trampoline_kernelINS0_13select_configILj256ELj13ELNS0_17block_load_methodE3ELS4_3ELS4_3ELNS0_20block_scan_algorithmE0ELj4294967295EEENS1_25partition_config_selectorILNS1_17partition_subalgoE4EjNS0_10empty_typeEbEEZZNS1_14partition_implILS8_4ELb0ES6_15HIP_vector_typeIjLj2EENS0_17counting_iteratorIjlEEPS9_SG_NS0_5tupleIJPjSI_NS0_16reverse_iteratorISI_EEEEENSH_IJSG_SG_SG_EEES9_SI_JZNS1_25segmented_radix_sort_implINS0_14default_configELb1EPKiPiPKlPlN2at6native12_GLOBAL__N_18offset_tEEE10hipError_tPvRmT1_PNSt15iterator_traitsIS12_E10value_typeET2_T3_PNS13_IS18_E10value_typeET4_jRbjT5_S1E_jjP12ihipStream_tbEUljE_ZNSN_ISO_Lb1ESQ_SR_ST_SU_SY_EESZ_S10_S11_S12_S16_S17_S18_S1B_S1C_jS1D_jS1E_S1E_jjS1G_bEUljE0_EEESZ_S10_S11_S18_S1C_S1E_T6_T7_T9_mT8_S1G_bDpT10_ENKUlT_T0_E_clISt17integral_constantIbLb1EES1U_EEDaS1P_S1Q_EUlS1P_E_NS1_11comp_targetILNS1_3genE10ELNS1_11target_archE1200ELNS1_3gpuE4ELNS1_3repE0EEENS1_30default_config_static_selectorELNS0_4arch9wavefront6targetE0EEEvS12_,"axG",@progbits,_ZN7rocprim17ROCPRIM_400000_NS6detail17trampoline_kernelINS0_13select_configILj256ELj13ELNS0_17block_load_methodE3ELS4_3ELS4_3ELNS0_20block_scan_algorithmE0ELj4294967295EEENS1_25partition_config_selectorILNS1_17partition_subalgoE4EjNS0_10empty_typeEbEEZZNS1_14partition_implILS8_4ELb0ES6_15HIP_vector_typeIjLj2EENS0_17counting_iteratorIjlEEPS9_SG_NS0_5tupleIJPjSI_NS0_16reverse_iteratorISI_EEEEENSH_IJSG_SG_SG_EEES9_SI_JZNS1_25segmented_radix_sort_implINS0_14default_configELb1EPKiPiPKlPlN2at6native12_GLOBAL__N_18offset_tEEE10hipError_tPvRmT1_PNSt15iterator_traitsIS12_E10value_typeET2_T3_PNS13_IS18_E10value_typeET4_jRbjT5_S1E_jjP12ihipStream_tbEUljE_ZNSN_ISO_Lb1ESQ_SR_ST_SU_SY_EESZ_S10_S11_S12_S16_S17_S18_S1B_S1C_jS1D_jS1E_S1E_jjS1G_bEUljE0_EEESZ_S10_S11_S18_S1C_S1E_T6_T7_T9_mT8_S1G_bDpT10_ENKUlT_T0_E_clISt17integral_constantIbLb1EES1U_EEDaS1P_S1Q_EUlS1P_E_NS1_11comp_targetILNS1_3genE10ELNS1_11target_archE1200ELNS1_3gpuE4ELNS1_3repE0EEENS1_30default_config_static_selectorELNS0_4arch9wavefront6targetE0EEEvS12_,comdat
	.globl	_ZN7rocprim17ROCPRIM_400000_NS6detail17trampoline_kernelINS0_13select_configILj256ELj13ELNS0_17block_load_methodE3ELS4_3ELS4_3ELNS0_20block_scan_algorithmE0ELj4294967295EEENS1_25partition_config_selectorILNS1_17partition_subalgoE4EjNS0_10empty_typeEbEEZZNS1_14partition_implILS8_4ELb0ES6_15HIP_vector_typeIjLj2EENS0_17counting_iteratorIjlEEPS9_SG_NS0_5tupleIJPjSI_NS0_16reverse_iteratorISI_EEEEENSH_IJSG_SG_SG_EEES9_SI_JZNS1_25segmented_radix_sort_implINS0_14default_configELb1EPKiPiPKlPlN2at6native12_GLOBAL__N_18offset_tEEE10hipError_tPvRmT1_PNSt15iterator_traitsIS12_E10value_typeET2_T3_PNS13_IS18_E10value_typeET4_jRbjT5_S1E_jjP12ihipStream_tbEUljE_ZNSN_ISO_Lb1ESQ_SR_ST_SU_SY_EESZ_S10_S11_S12_S16_S17_S18_S1B_S1C_jS1D_jS1E_S1E_jjS1G_bEUljE0_EEESZ_S10_S11_S18_S1C_S1E_T6_T7_T9_mT8_S1G_bDpT10_ENKUlT_T0_E_clISt17integral_constantIbLb1EES1U_EEDaS1P_S1Q_EUlS1P_E_NS1_11comp_targetILNS1_3genE10ELNS1_11target_archE1200ELNS1_3gpuE4ELNS1_3repE0EEENS1_30default_config_static_selectorELNS0_4arch9wavefront6targetE0EEEvS12_ ; -- Begin function _ZN7rocprim17ROCPRIM_400000_NS6detail17trampoline_kernelINS0_13select_configILj256ELj13ELNS0_17block_load_methodE3ELS4_3ELS4_3ELNS0_20block_scan_algorithmE0ELj4294967295EEENS1_25partition_config_selectorILNS1_17partition_subalgoE4EjNS0_10empty_typeEbEEZZNS1_14partition_implILS8_4ELb0ES6_15HIP_vector_typeIjLj2EENS0_17counting_iteratorIjlEEPS9_SG_NS0_5tupleIJPjSI_NS0_16reverse_iteratorISI_EEEEENSH_IJSG_SG_SG_EEES9_SI_JZNS1_25segmented_radix_sort_implINS0_14default_configELb1EPKiPiPKlPlN2at6native12_GLOBAL__N_18offset_tEEE10hipError_tPvRmT1_PNSt15iterator_traitsIS12_E10value_typeET2_T3_PNS13_IS18_E10value_typeET4_jRbjT5_S1E_jjP12ihipStream_tbEUljE_ZNSN_ISO_Lb1ESQ_SR_ST_SU_SY_EESZ_S10_S11_S12_S16_S17_S18_S1B_S1C_jS1D_jS1E_S1E_jjS1G_bEUljE0_EEESZ_S10_S11_S18_S1C_S1E_T6_T7_T9_mT8_S1G_bDpT10_ENKUlT_T0_E_clISt17integral_constantIbLb1EES1U_EEDaS1P_S1Q_EUlS1P_E_NS1_11comp_targetILNS1_3genE10ELNS1_11target_archE1200ELNS1_3gpuE4ELNS1_3repE0EEENS1_30default_config_static_selectorELNS0_4arch9wavefront6targetE0EEEvS12_
	.p2align	8
	.type	_ZN7rocprim17ROCPRIM_400000_NS6detail17trampoline_kernelINS0_13select_configILj256ELj13ELNS0_17block_load_methodE3ELS4_3ELS4_3ELNS0_20block_scan_algorithmE0ELj4294967295EEENS1_25partition_config_selectorILNS1_17partition_subalgoE4EjNS0_10empty_typeEbEEZZNS1_14partition_implILS8_4ELb0ES6_15HIP_vector_typeIjLj2EENS0_17counting_iteratorIjlEEPS9_SG_NS0_5tupleIJPjSI_NS0_16reverse_iteratorISI_EEEEENSH_IJSG_SG_SG_EEES9_SI_JZNS1_25segmented_radix_sort_implINS0_14default_configELb1EPKiPiPKlPlN2at6native12_GLOBAL__N_18offset_tEEE10hipError_tPvRmT1_PNSt15iterator_traitsIS12_E10value_typeET2_T3_PNS13_IS18_E10value_typeET4_jRbjT5_S1E_jjP12ihipStream_tbEUljE_ZNSN_ISO_Lb1ESQ_SR_ST_SU_SY_EESZ_S10_S11_S12_S16_S17_S18_S1B_S1C_jS1D_jS1E_S1E_jjS1G_bEUljE0_EEESZ_S10_S11_S18_S1C_S1E_T6_T7_T9_mT8_S1G_bDpT10_ENKUlT_T0_E_clISt17integral_constantIbLb1EES1U_EEDaS1P_S1Q_EUlS1P_E_NS1_11comp_targetILNS1_3genE10ELNS1_11target_archE1200ELNS1_3gpuE4ELNS1_3repE0EEENS1_30default_config_static_selectorELNS0_4arch9wavefront6targetE0EEEvS12_,@function
_ZN7rocprim17ROCPRIM_400000_NS6detail17trampoline_kernelINS0_13select_configILj256ELj13ELNS0_17block_load_methodE3ELS4_3ELS4_3ELNS0_20block_scan_algorithmE0ELj4294967295EEENS1_25partition_config_selectorILNS1_17partition_subalgoE4EjNS0_10empty_typeEbEEZZNS1_14partition_implILS8_4ELb0ES6_15HIP_vector_typeIjLj2EENS0_17counting_iteratorIjlEEPS9_SG_NS0_5tupleIJPjSI_NS0_16reverse_iteratorISI_EEEEENSH_IJSG_SG_SG_EEES9_SI_JZNS1_25segmented_radix_sort_implINS0_14default_configELb1EPKiPiPKlPlN2at6native12_GLOBAL__N_18offset_tEEE10hipError_tPvRmT1_PNSt15iterator_traitsIS12_E10value_typeET2_T3_PNS13_IS18_E10value_typeET4_jRbjT5_S1E_jjP12ihipStream_tbEUljE_ZNSN_ISO_Lb1ESQ_SR_ST_SU_SY_EESZ_S10_S11_S12_S16_S17_S18_S1B_S1C_jS1D_jS1E_S1E_jjS1G_bEUljE0_EEESZ_S10_S11_S18_S1C_S1E_T6_T7_T9_mT8_S1G_bDpT10_ENKUlT_T0_E_clISt17integral_constantIbLb1EES1U_EEDaS1P_S1Q_EUlS1P_E_NS1_11comp_targetILNS1_3genE10ELNS1_11target_archE1200ELNS1_3gpuE4ELNS1_3repE0EEENS1_30default_config_static_selectorELNS0_4arch9wavefront6targetE0EEEvS12_: ; @_ZN7rocprim17ROCPRIM_400000_NS6detail17trampoline_kernelINS0_13select_configILj256ELj13ELNS0_17block_load_methodE3ELS4_3ELS4_3ELNS0_20block_scan_algorithmE0ELj4294967295EEENS1_25partition_config_selectorILNS1_17partition_subalgoE4EjNS0_10empty_typeEbEEZZNS1_14partition_implILS8_4ELb0ES6_15HIP_vector_typeIjLj2EENS0_17counting_iteratorIjlEEPS9_SG_NS0_5tupleIJPjSI_NS0_16reverse_iteratorISI_EEEEENSH_IJSG_SG_SG_EEES9_SI_JZNS1_25segmented_radix_sort_implINS0_14default_configELb1EPKiPiPKlPlN2at6native12_GLOBAL__N_18offset_tEEE10hipError_tPvRmT1_PNSt15iterator_traitsIS12_E10value_typeET2_T3_PNS13_IS18_E10value_typeET4_jRbjT5_S1E_jjP12ihipStream_tbEUljE_ZNSN_ISO_Lb1ESQ_SR_ST_SU_SY_EESZ_S10_S11_S12_S16_S17_S18_S1B_S1C_jS1D_jS1E_S1E_jjS1G_bEUljE0_EEESZ_S10_S11_S18_S1C_S1E_T6_T7_T9_mT8_S1G_bDpT10_ENKUlT_T0_E_clISt17integral_constantIbLb1EES1U_EEDaS1P_S1Q_EUlS1P_E_NS1_11comp_targetILNS1_3genE10ELNS1_11target_archE1200ELNS1_3gpuE4ELNS1_3repE0EEENS1_30default_config_static_selectorELNS0_4arch9wavefront6targetE0EEEvS12_
; %bb.0:
	s_endpgm
	.section	.rodata,"a",@progbits
	.p2align	6, 0x0
	.amdhsa_kernel _ZN7rocprim17ROCPRIM_400000_NS6detail17trampoline_kernelINS0_13select_configILj256ELj13ELNS0_17block_load_methodE3ELS4_3ELS4_3ELNS0_20block_scan_algorithmE0ELj4294967295EEENS1_25partition_config_selectorILNS1_17partition_subalgoE4EjNS0_10empty_typeEbEEZZNS1_14partition_implILS8_4ELb0ES6_15HIP_vector_typeIjLj2EENS0_17counting_iteratorIjlEEPS9_SG_NS0_5tupleIJPjSI_NS0_16reverse_iteratorISI_EEEEENSH_IJSG_SG_SG_EEES9_SI_JZNS1_25segmented_radix_sort_implINS0_14default_configELb1EPKiPiPKlPlN2at6native12_GLOBAL__N_18offset_tEEE10hipError_tPvRmT1_PNSt15iterator_traitsIS12_E10value_typeET2_T3_PNS13_IS18_E10value_typeET4_jRbjT5_S1E_jjP12ihipStream_tbEUljE_ZNSN_ISO_Lb1ESQ_SR_ST_SU_SY_EESZ_S10_S11_S12_S16_S17_S18_S1B_S1C_jS1D_jS1E_S1E_jjS1G_bEUljE0_EEESZ_S10_S11_S18_S1C_S1E_T6_T7_T9_mT8_S1G_bDpT10_ENKUlT_T0_E_clISt17integral_constantIbLb1EES1U_EEDaS1P_S1Q_EUlS1P_E_NS1_11comp_targetILNS1_3genE10ELNS1_11target_archE1200ELNS1_3gpuE4ELNS1_3repE0EEENS1_30default_config_static_selectorELNS0_4arch9wavefront6targetE0EEEvS12_
		.amdhsa_group_segment_fixed_size 0
		.amdhsa_private_segment_fixed_size 0
		.amdhsa_kernarg_size 184
		.amdhsa_user_sgpr_count 2
		.amdhsa_user_sgpr_dispatch_ptr 0
		.amdhsa_user_sgpr_queue_ptr 0
		.amdhsa_user_sgpr_kernarg_segment_ptr 1
		.amdhsa_user_sgpr_dispatch_id 0
		.amdhsa_user_sgpr_private_segment_size 0
		.amdhsa_wavefront_size32 1
		.amdhsa_uses_dynamic_stack 0
		.amdhsa_enable_private_segment 0
		.amdhsa_system_sgpr_workgroup_id_x 1
		.amdhsa_system_sgpr_workgroup_id_y 0
		.amdhsa_system_sgpr_workgroup_id_z 0
		.amdhsa_system_sgpr_workgroup_info 0
		.amdhsa_system_vgpr_workitem_id 0
		.amdhsa_next_free_vgpr 1
		.amdhsa_next_free_sgpr 1
		.amdhsa_reserve_vcc 0
		.amdhsa_float_round_mode_32 0
		.amdhsa_float_round_mode_16_64 0
		.amdhsa_float_denorm_mode_32 3
		.amdhsa_float_denorm_mode_16_64 3
		.amdhsa_fp16_overflow 0
		.amdhsa_workgroup_processor_mode 1
		.amdhsa_memory_ordered 1
		.amdhsa_forward_progress 1
		.amdhsa_inst_pref_size 1
		.amdhsa_round_robin_scheduling 0
		.amdhsa_exception_fp_ieee_invalid_op 0
		.amdhsa_exception_fp_denorm_src 0
		.amdhsa_exception_fp_ieee_div_zero 0
		.amdhsa_exception_fp_ieee_overflow 0
		.amdhsa_exception_fp_ieee_underflow 0
		.amdhsa_exception_fp_ieee_inexact 0
		.amdhsa_exception_int_div_zero 0
	.end_amdhsa_kernel
	.section	.text._ZN7rocprim17ROCPRIM_400000_NS6detail17trampoline_kernelINS0_13select_configILj256ELj13ELNS0_17block_load_methodE3ELS4_3ELS4_3ELNS0_20block_scan_algorithmE0ELj4294967295EEENS1_25partition_config_selectorILNS1_17partition_subalgoE4EjNS0_10empty_typeEbEEZZNS1_14partition_implILS8_4ELb0ES6_15HIP_vector_typeIjLj2EENS0_17counting_iteratorIjlEEPS9_SG_NS0_5tupleIJPjSI_NS0_16reverse_iteratorISI_EEEEENSH_IJSG_SG_SG_EEES9_SI_JZNS1_25segmented_radix_sort_implINS0_14default_configELb1EPKiPiPKlPlN2at6native12_GLOBAL__N_18offset_tEEE10hipError_tPvRmT1_PNSt15iterator_traitsIS12_E10value_typeET2_T3_PNS13_IS18_E10value_typeET4_jRbjT5_S1E_jjP12ihipStream_tbEUljE_ZNSN_ISO_Lb1ESQ_SR_ST_SU_SY_EESZ_S10_S11_S12_S16_S17_S18_S1B_S1C_jS1D_jS1E_S1E_jjS1G_bEUljE0_EEESZ_S10_S11_S18_S1C_S1E_T6_T7_T9_mT8_S1G_bDpT10_ENKUlT_T0_E_clISt17integral_constantIbLb1EES1U_EEDaS1P_S1Q_EUlS1P_E_NS1_11comp_targetILNS1_3genE10ELNS1_11target_archE1200ELNS1_3gpuE4ELNS1_3repE0EEENS1_30default_config_static_selectorELNS0_4arch9wavefront6targetE0EEEvS12_,"axG",@progbits,_ZN7rocprim17ROCPRIM_400000_NS6detail17trampoline_kernelINS0_13select_configILj256ELj13ELNS0_17block_load_methodE3ELS4_3ELS4_3ELNS0_20block_scan_algorithmE0ELj4294967295EEENS1_25partition_config_selectorILNS1_17partition_subalgoE4EjNS0_10empty_typeEbEEZZNS1_14partition_implILS8_4ELb0ES6_15HIP_vector_typeIjLj2EENS0_17counting_iteratorIjlEEPS9_SG_NS0_5tupleIJPjSI_NS0_16reverse_iteratorISI_EEEEENSH_IJSG_SG_SG_EEES9_SI_JZNS1_25segmented_radix_sort_implINS0_14default_configELb1EPKiPiPKlPlN2at6native12_GLOBAL__N_18offset_tEEE10hipError_tPvRmT1_PNSt15iterator_traitsIS12_E10value_typeET2_T3_PNS13_IS18_E10value_typeET4_jRbjT5_S1E_jjP12ihipStream_tbEUljE_ZNSN_ISO_Lb1ESQ_SR_ST_SU_SY_EESZ_S10_S11_S12_S16_S17_S18_S1B_S1C_jS1D_jS1E_S1E_jjS1G_bEUljE0_EEESZ_S10_S11_S18_S1C_S1E_T6_T7_T9_mT8_S1G_bDpT10_ENKUlT_T0_E_clISt17integral_constantIbLb1EES1U_EEDaS1P_S1Q_EUlS1P_E_NS1_11comp_targetILNS1_3genE10ELNS1_11target_archE1200ELNS1_3gpuE4ELNS1_3repE0EEENS1_30default_config_static_selectorELNS0_4arch9wavefront6targetE0EEEvS12_,comdat
.Lfunc_end446:
	.size	_ZN7rocprim17ROCPRIM_400000_NS6detail17trampoline_kernelINS0_13select_configILj256ELj13ELNS0_17block_load_methodE3ELS4_3ELS4_3ELNS0_20block_scan_algorithmE0ELj4294967295EEENS1_25partition_config_selectorILNS1_17partition_subalgoE4EjNS0_10empty_typeEbEEZZNS1_14partition_implILS8_4ELb0ES6_15HIP_vector_typeIjLj2EENS0_17counting_iteratorIjlEEPS9_SG_NS0_5tupleIJPjSI_NS0_16reverse_iteratorISI_EEEEENSH_IJSG_SG_SG_EEES9_SI_JZNS1_25segmented_radix_sort_implINS0_14default_configELb1EPKiPiPKlPlN2at6native12_GLOBAL__N_18offset_tEEE10hipError_tPvRmT1_PNSt15iterator_traitsIS12_E10value_typeET2_T3_PNS13_IS18_E10value_typeET4_jRbjT5_S1E_jjP12ihipStream_tbEUljE_ZNSN_ISO_Lb1ESQ_SR_ST_SU_SY_EESZ_S10_S11_S12_S16_S17_S18_S1B_S1C_jS1D_jS1E_S1E_jjS1G_bEUljE0_EEESZ_S10_S11_S18_S1C_S1E_T6_T7_T9_mT8_S1G_bDpT10_ENKUlT_T0_E_clISt17integral_constantIbLb1EES1U_EEDaS1P_S1Q_EUlS1P_E_NS1_11comp_targetILNS1_3genE10ELNS1_11target_archE1200ELNS1_3gpuE4ELNS1_3repE0EEENS1_30default_config_static_selectorELNS0_4arch9wavefront6targetE0EEEvS12_, .Lfunc_end446-_ZN7rocprim17ROCPRIM_400000_NS6detail17trampoline_kernelINS0_13select_configILj256ELj13ELNS0_17block_load_methodE3ELS4_3ELS4_3ELNS0_20block_scan_algorithmE0ELj4294967295EEENS1_25partition_config_selectorILNS1_17partition_subalgoE4EjNS0_10empty_typeEbEEZZNS1_14partition_implILS8_4ELb0ES6_15HIP_vector_typeIjLj2EENS0_17counting_iteratorIjlEEPS9_SG_NS0_5tupleIJPjSI_NS0_16reverse_iteratorISI_EEEEENSH_IJSG_SG_SG_EEES9_SI_JZNS1_25segmented_radix_sort_implINS0_14default_configELb1EPKiPiPKlPlN2at6native12_GLOBAL__N_18offset_tEEE10hipError_tPvRmT1_PNSt15iterator_traitsIS12_E10value_typeET2_T3_PNS13_IS18_E10value_typeET4_jRbjT5_S1E_jjP12ihipStream_tbEUljE_ZNSN_ISO_Lb1ESQ_SR_ST_SU_SY_EESZ_S10_S11_S12_S16_S17_S18_S1B_S1C_jS1D_jS1E_S1E_jjS1G_bEUljE0_EEESZ_S10_S11_S18_S1C_S1E_T6_T7_T9_mT8_S1G_bDpT10_ENKUlT_T0_E_clISt17integral_constantIbLb1EES1U_EEDaS1P_S1Q_EUlS1P_E_NS1_11comp_targetILNS1_3genE10ELNS1_11target_archE1200ELNS1_3gpuE4ELNS1_3repE0EEENS1_30default_config_static_selectorELNS0_4arch9wavefront6targetE0EEEvS12_
                                        ; -- End function
	.set _ZN7rocprim17ROCPRIM_400000_NS6detail17trampoline_kernelINS0_13select_configILj256ELj13ELNS0_17block_load_methodE3ELS4_3ELS4_3ELNS0_20block_scan_algorithmE0ELj4294967295EEENS1_25partition_config_selectorILNS1_17partition_subalgoE4EjNS0_10empty_typeEbEEZZNS1_14partition_implILS8_4ELb0ES6_15HIP_vector_typeIjLj2EENS0_17counting_iteratorIjlEEPS9_SG_NS0_5tupleIJPjSI_NS0_16reverse_iteratorISI_EEEEENSH_IJSG_SG_SG_EEES9_SI_JZNS1_25segmented_radix_sort_implINS0_14default_configELb1EPKiPiPKlPlN2at6native12_GLOBAL__N_18offset_tEEE10hipError_tPvRmT1_PNSt15iterator_traitsIS12_E10value_typeET2_T3_PNS13_IS18_E10value_typeET4_jRbjT5_S1E_jjP12ihipStream_tbEUljE_ZNSN_ISO_Lb1ESQ_SR_ST_SU_SY_EESZ_S10_S11_S12_S16_S17_S18_S1B_S1C_jS1D_jS1E_S1E_jjS1G_bEUljE0_EEESZ_S10_S11_S18_S1C_S1E_T6_T7_T9_mT8_S1G_bDpT10_ENKUlT_T0_E_clISt17integral_constantIbLb1EES1U_EEDaS1P_S1Q_EUlS1P_E_NS1_11comp_targetILNS1_3genE10ELNS1_11target_archE1200ELNS1_3gpuE4ELNS1_3repE0EEENS1_30default_config_static_selectorELNS0_4arch9wavefront6targetE0EEEvS12_.num_vgpr, 0
	.set _ZN7rocprim17ROCPRIM_400000_NS6detail17trampoline_kernelINS0_13select_configILj256ELj13ELNS0_17block_load_methodE3ELS4_3ELS4_3ELNS0_20block_scan_algorithmE0ELj4294967295EEENS1_25partition_config_selectorILNS1_17partition_subalgoE4EjNS0_10empty_typeEbEEZZNS1_14partition_implILS8_4ELb0ES6_15HIP_vector_typeIjLj2EENS0_17counting_iteratorIjlEEPS9_SG_NS0_5tupleIJPjSI_NS0_16reverse_iteratorISI_EEEEENSH_IJSG_SG_SG_EEES9_SI_JZNS1_25segmented_radix_sort_implINS0_14default_configELb1EPKiPiPKlPlN2at6native12_GLOBAL__N_18offset_tEEE10hipError_tPvRmT1_PNSt15iterator_traitsIS12_E10value_typeET2_T3_PNS13_IS18_E10value_typeET4_jRbjT5_S1E_jjP12ihipStream_tbEUljE_ZNSN_ISO_Lb1ESQ_SR_ST_SU_SY_EESZ_S10_S11_S12_S16_S17_S18_S1B_S1C_jS1D_jS1E_S1E_jjS1G_bEUljE0_EEESZ_S10_S11_S18_S1C_S1E_T6_T7_T9_mT8_S1G_bDpT10_ENKUlT_T0_E_clISt17integral_constantIbLb1EES1U_EEDaS1P_S1Q_EUlS1P_E_NS1_11comp_targetILNS1_3genE10ELNS1_11target_archE1200ELNS1_3gpuE4ELNS1_3repE0EEENS1_30default_config_static_selectorELNS0_4arch9wavefront6targetE0EEEvS12_.num_agpr, 0
	.set _ZN7rocprim17ROCPRIM_400000_NS6detail17trampoline_kernelINS0_13select_configILj256ELj13ELNS0_17block_load_methodE3ELS4_3ELS4_3ELNS0_20block_scan_algorithmE0ELj4294967295EEENS1_25partition_config_selectorILNS1_17partition_subalgoE4EjNS0_10empty_typeEbEEZZNS1_14partition_implILS8_4ELb0ES6_15HIP_vector_typeIjLj2EENS0_17counting_iteratorIjlEEPS9_SG_NS0_5tupleIJPjSI_NS0_16reverse_iteratorISI_EEEEENSH_IJSG_SG_SG_EEES9_SI_JZNS1_25segmented_radix_sort_implINS0_14default_configELb1EPKiPiPKlPlN2at6native12_GLOBAL__N_18offset_tEEE10hipError_tPvRmT1_PNSt15iterator_traitsIS12_E10value_typeET2_T3_PNS13_IS18_E10value_typeET4_jRbjT5_S1E_jjP12ihipStream_tbEUljE_ZNSN_ISO_Lb1ESQ_SR_ST_SU_SY_EESZ_S10_S11_S12_S16_S17_S18_S1B_S1C_jS1D_jS1E_S1E_jjS1G_bEUljE0_EEESZ_S10_S11_S18_S1C_S1E_T6_T7_T9_mT8_S1G_bDpT10_ENKUlT_T0_E_clISt17integral_constantIbLb1EES1U_EEDaS1P_S1Q_EUlS1P_E_NS1_11comp_targetILNS1_3genE10ELNS1_11target_archE1200ELNS1_3gpuE4ELNS1_3repE0EEENS1_30default_config_static_selectorELNS0_4arch9wavefront6targetE0EEEvS12_.numbered_sgpr, 0
	.set _ZN7rocprim17ROCPRIM_400000_NS6detail17trampoline_kernelINS0_13select_configILj256ELj13ELNS0_17block_load_methodE3ELS4_3ELS4_3ELNS0_20block_scan_algorithmE0ELj4294967295EEENS1_25partition_config_selectorILNS1_17partition_subalgoE4EjNS0_10empty_typeEbEEZZNS1_14partition_implILS8_4ELb0ES6_15HIP_vector_typeIjLj2EENS0_17counting_iteratorIjlEEPS9_SG_NS0_5tupleIJPjSI_NS0_16reverse_iteratorISI_EEEEENSH_IJSG_SG_SG_EEES9_SI_JZNS1_25segmented_radix_sort_implINS0_14default_configELb1EPKiPiPKlPlN2at6native12_GLOBAL__N_18offset_tEEE10hipError_tPvRmT1_PNSt15iterator_traitsIS12_E10value_typeET2_T3_PNS13_IS18_E10value_typeET4_jRbjT5_S1E_jjP12ihipStream_tbEUljE_ZNSN_ISO_Lb1ESQ_SR_ST_SU_SY_EESZ_S10_S11_S12_S16_S17_S18_S1B_S1C_jS1D_jS1E_S1E_jjS1G_bEUljE0_EEESZ_S10_S11_S18_S1C_S1E_T6_T7_T9_mT8_S1G_bDpT10_ENKUlT_T0_E_clISt17integral_constantIbLb1EES1U_EEDaS1P_S1Q_EUlS1P_E_NS1_11comp_targetILNS1_3genE10ELNS1_11target_archE1200ELNS1_3gpuE4ELNS1_3repE0EEENS1_30default_config_static_selectorELNS0_4arch9wavefront6targetE0EEEvS12_.num_named_barrier, 0
	.set _ZN7rocprim17ROCPRIM_400000_NS6detail17trampoline_kernelINS0_13select_configILj256ELj13ELNS0_17block_load_methodE3ELS4_3ELS4_3ELNS0_20block_scan_algorithmE0ELj4294967295EEENS1_25partition_config_selectorILNS1_17partition_subalgoE4EjNS0_10empty_typeEbEEZZNS1_14partition_implILS8_4ELb0ES6_15HIP_vector_typeIjLj2EENS0_17counting_iteratorIjlEEPS9_SG_NS0_5tupleIJPjSI_NS0_16reverse_iteratorISI_EEEEENSH_IJSG_SG_SG_EEES9_SI_JZNS1_25segmented_radix_sort_implINS0_14default_configELb1EPKiPiPKlPlN2at6native12_GLOBAL__N_18offset_tEEE10hipError_tPvRmT1_PNSt15iterator_traitsIS12_E10value_typeET2_T3_PNS13_IS18_E10value_typeET4_jRbjT5_S1E_jjP12ihipStream_tbEUljE_ZNSN_ISO_Lb1ESQ_SR_ST_SU_SY_EESZ_S10_S11_S12_S16_S17_S18_S1B_S1C_jS1D_jS1E_S1E_jjS1G_bEUljE0_EEESZ_S10_S11_S18_S1C_S1E_T6_T7_T9_mT8_S1G_bDpT10_ENKUlT_T0_E_clISt17integral_constantIbLb1EES1U_EEDaS1P_S1Q_EUlS1P_E_NS1_11comp_targetILNS1_3genE10ELNS1_11target_archE1200ELNS1_3gpuE4ELNS1_3repE0EEENS1_30default_config_static_selectorELNS0_4arch9wavefront6targetE0EEEvS12_.private_seg_size, 0
	.set _ZN7rocprim17ROCPRIM_400000_NS6detail17trampoline_kernelINS0_13select_configILj256ELj13ELNS0_17block_load_methodE3ELS4_3ELS4_3ELNS0_20block_scan_algorithmE0ELj4294967295EEENS1_25partition_config_selectorILNS1_17partition_subalgoE4EjNS0_10empty_typeEbEEZZNS1_14partition_implILS8_4ELb0ES6_15HIP_vector_typeIjLj2EENS0_17counting_iteratorIjlEEPS9_SG_NS0_5tupleIJPjSI_NS0_16reverse_iteratorISI_EEEEENSH_IJSG_SG_SG_EEES9_SI_JZNS1_25segmented_radix_sort_implINS0_14default_configELb1EPKiPiPKlPlN2at6native12_GLOBAL__N_18offset_tEEE10hipError_tPvRmT1_PNSt15iterator_traitsIS12_E10value_typeET2_T3_PNS13_IS18_E10value_typeET4_jRbjT5_S1E_jjP12ihipStream_tbEUljE_ZNSN_ISO_Lb1ESQ_SR_ST_SU_SY_EESZ_S10_S11_S12_S16_S17_S18_S1B_S1C_jS1D_jS1E_S1E_jjS1G_bEUljE0_EEESZ_S10_S11_S18_S1C_S1E_T6_T7_T9_mT8_S1G_bDpT10_ENKUlT_T0_E_clISt17integral_constantIbLb1EES1U_EEDaS1P_S1Q_EUlS1P_E_NS1_11comp_targetILNS1_3genE10ELNS1_11target_archE1200ELNS1_3gpuE4ELNS1_3repE0EEENS1_30default_config_static_selectorELNS0_4arch9wavefront6targetE0EEEvS12_.uses_vcc, 0
	.set _ZN7rocprim17ROCPRIM_400000_NS6detail17trampoline_kernelINS0_13select_configILj256ELj13ELNS0_17block_load_methodE3ELS4_3ELS4_3ELNS0_20block_scan_algorithmE0ELj4294967295EEENS1_25partition_config_selectorILNS1_17partition_subalgoE4EjNS0_10empty_typeEbEEZZNS1_14partition_implILS8_4ELb0ES6_15HIP_vector_typeIjLj2EENS0_17counting_iteratorIjlEEPS9_SG_NS0_5tupleIJPjSI_NS0_16reverse_iteratorISI_EEEEENSH_IJSG_SG_SG_EEES9_SI_JZNS1_25segmented_radix_sort_implINS0_14default_configELb1EPKiPiPKlPlN2at6native12_GLOBAL__N_18offset_tEEE10hipError_tPvRmT1_PNSt15iterator_traitsIS12_E10value_typeET2_T3_PNS13_IS18_E10value_typeET4_jRbjT5_S1E_jjP12ihipStream_tbEUljE_ZNSN_ISO_Lb1ESQ_SR_ST_SU_SY_EESZ_S10_S11_S12_S16_S17_S18_S1B_S1C_jS1D_jS1E_S1E_jjS1G_bEUljE0_EEESZ_S10_S11_S18_S1C_S1E_T6_T7_T9_mT8_S1G_bDpT10_ENKUlT_T0_E_clISt17integral_constantIbLb1EES1U_EEDaS1P_S1Q_EUlS1P_E_NS1_11comp_targetILNS1_3genE10ELNS1_11target_archE1200ELNS1_3gpuE4ELNS1_3repE0EEENS1_30default_config_static_selectorELNS0_4arch9wavefront6targetE0EEEvS12_.uses_flat_scratch, 0
	.set _ZN7rocprim17ROCPRIM_400000_NS6detail17trampoline_kernelINS0_13select_configILj256ELj13ELNS0_17block_load_methodE3ELS4_3ELS4_3ELNS0_20block_scan_algorithmE0ELj4294967295EEENS1_25partition_config_selectorILNS1_17partition_subalgoE4EjNS0_10empty_typeEbEEZZNS1_14partition_implILS8_4ELb0ES6_15HIP_vector_typeIjLj2EENS0_17counting_iteratorIjlEEPS9_SG_NS0_5tupleIJPjSI_NS0_16reverse_iteratorISI_EEEEENSH_IJSG_SG_SG_EEES9_SI_JZNS1_25segmented_radix_sort_implINS0_14default_configELb1EPKiPiPKlPlN2at6native12_GLOBAL__N_18offset_tEEE10hipError_tPvRmT1_PNSt15iterator_traitsIS12_E10value_typeET2_T3_PNS13_IS18_E10value_typeET4_jRbjT5_S1E_jjP12ihipStream_tbEUljE_ZNSN_ISO_Lb1ESQ_SR_ST_SU_SY_EESZ_S10_S11_S12_S16_S17_S18_S1B_S1C_jS1D_jS1E_S1E_jjS1G_bEUljE0_EEESZ_S10_S11_S18_S1C_S1E_T6_T7_T9_mT8_S1G_bDpT10_ENKUlT_T0_E_clISt17integral_constantIbLb1EES1U_EEDaS1P_S1Q_EUlS1P_E_NS1_11comp_targetILNS1_3genE10ELNS1_11target_archE1200ELNS1_3gpuE4ELNS1_3repE0EEENS1_30default_config_static_selectorELNS0_4arch9wavefront6targetE0EEEvS12_.has_dyn_sized_stack, 0
	.set _ZN7rocprim17ROCPRIM_400000_NS6detail17trampoline_kernelINS0_13select_configILj256ELj13ELNS0_17block_load_methodE3ELS4_3ELS4_3ELNS0_20block_scan_algorithmE0ELj4294967295EEENS1_25partition_config_selectorILNS1_17partition_subalgoE4EjNS0_10empty_typeEbEEZZNS1_14partition_implILS8_4ELb0ES6_15HIP_vector_typeIjLj2EENS0_17counting_iteratorIjlEEPS9_SG_NS0_5tupleIJPjSI_NS0_16reverse_iteratorISI_EEEEENSH_IJSG_SG_SG_EEES9_SI_JZNS1_25segmented_radix_sort_implINS0_14default_configELb1EPKiPiPKlPlN2at6native12_GLOBAL__N_18offset_tEEE10hipError_tPvRmT1_PNSt15iterator_traitsIS12_E10value_typeET2_T3_PNS13_IS18_E10value_typeET4_jRbjT5_S1E_jjP12ihipStream_tbEUljE_ZNSN_ISO_Lb1ESQ_SR_ST_SU_SY_EESZ_S10_S11_S12_S16_S17_S18_S1B_S1C_jS1D_jS1E_S1E_jjS1G_bEUljE0_EEESZ_S10_S11_S18_S1C_S1E_T6_T7_T9_mT8_S1G_bDpT10_ENKUlT_T0_E_clISt17integral_constantIbLb1EES1U_EEDaS1P_S1Q_EUlS1P_E_NS1_11comp_targetILNS1_3genE10ELNS1_11target_archE1200ELNS1_3gpuE4ELNS1_3repE0EEENS1_30default_config_static_selectorELNS0_4arch9wavefront6targetE0EEEvS12_.has_recursion, 0
	.set _ZN7rocprim17ROCPRIM_400000_NS6detail17trampoline_kernelINS0_13select_configILj256ELj13ELNS0_17block_load_methodE3ELS4_3ELS4_3ELNS0_20block_scan_algorithmE0ELj4294967295EEENS1_25partition_config_selectorILNS1_17partition_subalgoE4EjNS0_10empty_typeEbEEZZNS1_14partition_implILS8_4ELb0ES6_15HIP_vector_typeIjLj2EENS0_17counting_iteratorIjlEEPS9_SG_NS0_5tupleIJPjSI_NS0_16reverse_iteratorISI_EEEEENSH_IJSG_SG_SG_EEES9_SI_JZNS1_25segmented_radix_sort_implINS0_14default_configELb1EPKiPiPKlPlN2at6native12_GLOBAL__N_18offset_tEEE10hipError_tPvRmT1_PNSt15iterator_traitsIS12_E10value_typeET2_T3_PNS13_IS18_E10value_typeET4_jRbjT5_S1E_jjP12ihipStream_tbEUljE_ZNSN_ISO_Lb1ESQ_SR_ST_SU_SY_EESZ_S10_S11_S12_S16_S17_S18_S1B_S1C_jS1D_jS1E_S1E_jjS1G_bEUljE0_EEESZ_S10_S11_S18_S1C_S1E_T6_T7_T9_mT8_S1G_bDpT10_ENKUlT_T0_E_clISt17integral_constantIbLb1EES1U_EEDaS1P_S1Q_EUlS1P_E_NS1_11comp_targetILNS1_3genE10ELNS1_11target_archE1200ELNS1_3gpuE4ELNS1_3repE0EEENS1_30default_config_static_selectorELNS0_4arch9wavefront6targetE0EEEvS12_.has_indirect_call, 0
	.section	.AMDGPU.csdata,"",@progbits
; Kernel info:
; codeLenInByte = 4
; TotalNumSgprs: 0
; NumVgprs: 0
; ScratchSize: 0
; MemoryBound: 0
; FloatMode: 240
; IeeeMode: 1
; LDSByteSize: 0 bytes/workgroup (compile time only)
; SGPRBlocks: 0
; VGPRBlocks: 0
; NumSGPRsForWavesPerEU: 1
; NumVGPRsForWavesPerEU: 1
; Occupancy: 16
; WaveLimiterHint : 0
; COMPUTE_PGM_RSRC2:SCRATCH_EN: 0
; COMPUTE_PGM_RSRC2:USER_SGPR: 2
; COMPUTE_PGM_RSRC2:TRAP_HANDLER: 0
; COMPUTE_PGM_RSRC2:TGID_X_EN: 1
; COMPUTE_PGM_RSRC2:TGID_Y_EN: 0
; COMPUTE_PGM_RSRC2:TGID_Z_EN: 0
; COMPUTE_PGM_RSRC2:TIDIG_COMP_CNT: 0
	.section	.text._ZN7rocprim17ROCPRIM_400000_NS6detail17trampoline_kernelINS0_13select_configILj256ELj13ELNS0_17block_load_methodE3ELS4_3ELS4_3ELNS0_20block_scan_algorithmE0ELj4294967295EEENS1_25partition_config_selectorILNS1_17partition_subalgoE4EjNS0_10empty_typeEbEEZZNS1_14partition_implILS8_4ELb0ES6_15HIP_vector_typeIjLj2EENS0_17counting_iteratorIjlEEPS9_SG_NS0_5tupleIJPjSI_NS0_16reverse_iteratorISI_EEEEENSH_IJSG_SG_SG_EEES9_SI_JZNS1_25segmented_radix_sort_implINS0_14default_configELb1EPKiPiPKlPlN2at6native12_GLOBAL__N_18offset_tEEE10hipError_tPvRmT1_PNSt15iterator_traitsIS12_E10value_typeET2_T3_PNS13_IS18_E10value_typeET4_jRbjT5_S1E_jjP12ihipStream_tbEUljE_ZNSN_ISO_Lb1ESQ_SR_ST_SU_SY_EESZ_S10_S11_S12_S16_S17_S18_S1B_S1C_jS1D_jS1E_S1E_jjS1G_bEUljE0_EEESZ_S10_S11_S18_S1C_S1E_T6_T7_T9_mT8_S1G_bDpT10_ENKUlT_T0_E_clISt17integral_constantIbLb1EES1U_EEDaS1P_S1Q_EUlS1P_E_NS1_11comp_targetILNS1_3genE9ELNS1_11target_archE1100ELNS1_3gpuE3ELNS1_3repE0EEENS1_30default_config_static_selectorELNS0_4arch9wavefront6targetE0EEEvS12_,"axG",@progbits,_ZN7rocprim17ROCPRIM_400000_NS6detail17trampoline_kernelINS0_13select_configILj256ELj13ELNS0_17block_load_methodE3ELS4_3ELS4_3ELNS0_20block_scan_algorithmE0ELj4294967295EEENS1_25partition_config_selectorILNS1_17partition_subalgoE4EjNS0_10empty_typeEbEEZZNS1_14partition_implILS8_4ELb0ES6_15HIP_vector_typeIjLj2EENS0_17counting_iteratorIjlEEPS9_SG_NS0_5tupleIJPjSI_NS0_16reverse_iteratorISI_EEEEENSH_IJSG_SG_SG_EEES9_SI_JZNS1_25segmented_radix_sort_implINS0_14default_configELb1EPKiPiPKlPlN2at6native12_GLOBAL__N_18offset_tEEE10hipError_tPvRmT1_PNSt15iterator_traitsIS12_E10value_typeET2_T3_PNS13_IS18_E10value_typeET4_jRbjT5_S1E_jjP12ihipStream_tbEUljE_ZNSN_ISO_Lb1ESQ_SR_ST_SU_SY_EESZ_S10_S11_S12_S16_S17_S18_S1B_S1C_jS1D_jS1E_S1E_jjS1G_bEUljE0_EEESZ_S10_S11_S18_S1C_S1E_T6_T7_T9_mT8_S1G_bDpT10_ENKUlT_T0_E_clISt17integral_constantIbLb1EES1U_EEDaS1P_S1Q_EUlS1P_E_NS1_11comp_targetILNS1_3genE9ELNS1_11target_archE1100ELNS1_3gpuE3ELNS1_3repE0EEENS1_30default_config_static_selectorELNS0_4arch9wavefront6targetE0EEEvS12_,comdat
	.globl	_ZN7rocprim17ROCPRIM_400000_NS6detail17trampoline_kernelINS0_13select_configILj256ELj13ELNS0_17block_load_methodE3ELS4_3ELS4_3ELNS0_20block_scan_algorithmE0ELj4294967295EEENS1_25partition_config_selectorILNS1_17partition_subalgoE4EjNS0_10empty_typeEbEEZZNS1_14partition_implILS8_4ELb0ES6_15HIP_vector_typeIjLj2EENS0_17counting_iteratorIjlEEPS9_SG_NS0_5tupleIJPjSI_NS0_16reverse_iteratorISI_EEEEENSH_IJSG_SG_SG_EEES9_SI_JZNS1_25segmented_radix_sort_implINS0_14default_configELb1EPKiPiPKlPlN2at6native12_GLOBAL__N_18offset_tEEE10hipError_tPvRmT1_PNSt15iterator_traitsIS12_E10value_typeET2_T3_PNS13_IS18_E10value_typeET4_jRbjT5_S1E_jjP12ihipStream_tbEUljE_ZNSN_ISO_Lb1ESQ_SR_ST_SU_SY_EESZ_S10_S11_S12_S16_S17_S18_S1B_S1C_jS1D_jS1E_S1E_jjS1G_bEUljE0_EEESZ_S10_S11_S18_S1C_S1E_T6_T7_T9_mT8_S1G_bDpT10_ENKUlT_T0_E_clISt17integral_constantIbLb1EES1U_EEDaS1P_S1Q_EUlS1P_E_NS1_11comp_targetILNS1_3genE9ELNS1_11target_archE1100ELNS1_3gpuE3ELNS1_3repE0EEENS1_30default_config_static_selectorELNS0_4arch9wavefront6targetE0EEEvS12_ ; -- Begin function _ZN7rocprim17ROCPRIM_400000_NS6detail17trampoline_kernelINS0_13select_configILj256ELj13ELNS0_17block_load_methodE3ELS4_3ELS4_3ELNS0_20block_scan_algorithmE0ELj4294967295EEENS1_25partition_config_selectorILNS1_17partition_subalgoE4EjNS0_10empty_typeEbEEZZNS1_14partition_implILS8_4ELb0ES6_15HIP_vector_typeIjLj2EENS0_17counting_iteratorIjlEEPS9_SG_NS0_5tupleIJPjSI_NS0_16reverse_iteratorISI_EEEEENSH_IJSG_SG_SG_EEES9_SI_JZNS1_25segmented_radix_sort_implINS0_14default_configELb1EPKiPiPKlPlN2at6native12_GLOBAL__N_18offset_tEEE10hipError_tPvRmT1_PNSt15iterator_traitsIS12_E10value_typeET2_T3_PNS13_IS18_E10value_typeET4_jRbjT5_S1E_jjP12ihipStream_tbEUljE_ZNSN_ISO_Lb1ESQ_SR_ST_SU_SY_EESZ_S10_S11_S12_S16_S17_S18_S1B_S1C_jS1D_jS1E_S1E_jjS1G_bEUljE0_EEESZ_S10_S11_S18_S1C_S1E_T6_T7_T9_mT8_S1G_bDpT10_ENKUlT_T0_E_clISt17integral_constantIbLb1EES1U_EEDaS1P_S1Q_EUlS1P_E_NS1_11comp_targetILNS1_3genE9ELNS1_11target_archE1100ELNS1_3gpuE3ELNS1_3repE0EEENS1_30default_config_static_selectorELNS0_4arch9wavefront6targetE0EEEvS12_
	.p2align	8
	.type	_ZN7rocprim17ROCPRIM_400000_NS6detail17trampoline_kernelINS0_13select_configILj256ELj13ELNS0_17block_load_methodE3ELS4_3ELS4_3ELNS0_20block_scan_algorithmE0ELj4294967295EEENS1_25partition_config_selectorILNS1_17partition_subalgoE4EjNS0_10empty_typeEbEEZZNS1_14partition_implILS8_4ELb0ES6_15HIP_vector_typeIjLj2EENS0_17counting_iteratorIjlEEPS9_SG_NS0_5tupleIJPjSI_NS0_16reverse_iteratorISI_EEEEENSH_IJSG_SG_SG_EEES9_SI_JZNS1_25segmented_radix_sort_implINS0_14default_configELb1EPKiPiPKlPlN2at6native12_GLOBAL__N_18offset_tEEE10hipError_tPvRmT1_PNSt15iterator_traitsIS12_E10value_typeET2_T3_PNS13_IS18_E10value_typeET4_jRbjT5_S1E_jjP12ihipStream_tbEUljE_ZNSN_ISO_Lb1ESQ_SR_ST_SU_SY_EESZ_S10_S11_S12_S16_S17_S18_S1B_S1C_jS1D_jS1E_S1E_jjS1G_bEUljE0_EEESZ_S10_S11_S18_S1C_S1E_T6_T7_T9_mT8_S1G_bDpT10_ENKUlT_T0_E_clISt17integral_constantIbLb1EES1U_EEDaS1P_S1Q_EUlS1P_E_NS1_11comp_targetILNS1_3genE9ELNS1_11target_archE1100ELNS1_3gpuE3ELNS1_3repE0EEENS1_30default_config_static_selectorELNS0_4arch9wavefront6targetE0EEEvS12_,@function
_ZN7rocprim17ROCPRIM_400000_NS6detail17trampoline_kernelINS0_13select_configILj256ELj13ELNS0_17block_load_methodE3ELS4_3ELS4_3ELNS0_20block_scan_algorithmE0ELj4294967295EEENS1_25partition_config_selectorILNS1_17partition_subalgoE4EjNS0_10empty_typeEbEEZZNS1_14partition_implILS8_4ELb0ES6_15HIP_vector_typeIjLj2EENS0_17counting_iteratorIjlEEPS9_SG_NS0_5tupleIJPjSI_NS0_16reverse_iteratorISI_EEEEENSH_IJSG_SG_SG_EEES9_SI_JZNS1_25segmented_radix_sort_implINS0_14default_configELb1EPKiPiPKlPlN2at6native12_GLOBAL__N_18offset_tEEE10hipError_tPvRmT1_PNSt15iterator_traitsIS12_E10value_typeET2_T3_PNS13_IS18_E10value_typeET4_jRbjT5_S1E_jjP12ihipStream_tbEUljE_ZNSN_ISO_Lb1ESQ_SR_ST_SU_SY_EESZ_S10_S11_S12_S16_S17_S18_S1B_S1C_jS1D_jS1E_S1E_jjS1G_bEUljE0_EEESZ_S10_S11_S18_S1C_S1E_T6_T7_T9_mT8_S1G_bDpT10_ENKUlT_T0_E_clISt17integral_constantIbLb1EES1U_EEDaS1P_S1Q_EUlS1P_E_NS1_11comp_targetILNS1_3genE9ELNS1_11target_archE1100ELNS1_3gpuE3ELNS1_3repE0EEENS1_30default_config_static_selectorELNS0_4arch9wavefront6targetE0EEEvS12_: ; @_ZN7rocprim17ROCPRIM_400000_NS6detail17trampoline_kernelINS0_13select_configILj256ELj13ELNS0_17block_load_methodE3ELS4_3ELS4_3ELNS0_20block_scan_algorithmE0ELj4294967295EEENS1_25partition_config_selectorILNS1_17partition_subalgoE4EjNS0_10empty_typeEbEEZZNS1_14partition_implILS8_4ELb0ES6_15HIP_vector_typeIjLj2EENS0_17counting_iteratorIjlEEPS9_SG_NS0_5tupleIJPjSI_NS0_16reverse_iteratorISI_EEEEENSH_IJSG_SG_SG_EEES9_SI_JZNS1_25segmented_radix_sort_implINS0_14default_configELb1EPKiPiPKlPlN2at6native12_GLOBAL__N_18offset_tEEE10hipError_tPvRmT1_PNSt15iterator_traitsIS12_E10value_typeET2_T3_PNS13_IS18_E10value_typeET4_jRbjT5_S1E_jjP12ihipStream_tbEUljE_ZNSN_ISO_Lb1ESQ_SR_ST_SU_SY_EESZ_S10_S11_S12_S16_S17_S18_S1B_S1C_jS1D_jS1E_S1E_jjS1G_bEUljE0_EEESZ_S10_S11_S18_S1C_S1E_T6_T7_T9_mT8_S1G_bDpT10_ENKUlT_T0_E_clISt17integral_constantIbLb1EES1U_EEDaS1P_S1Q_EUlS1P_E_NS1_11comp_targetILNS1_3genE9ELNS1_11target_archE1100ELNS1_3gpuE3ELNS1_3repE0EEENS1_30default_config_static_selectorELNS0_4arch9wavefront6targetE0EEEvS12_
; %bb.0:
	.section	.rodata,"a",@progbits
	.p2align	6, 0x0
	.amdhsa_kernel _ZN7rocprim17ROCPRIM_400000_NS6detail17trampoline_kernelINS0_13select_configILj256ELj13ELNS0_17block_load_methodE3ELS4_3ELS4_3ELNS0_20block_scan_algorithmE0ELj4294967295EEENS1_25partition_config_selectorILNS1_17partition_subalgoE4EjNS0_10empty_typeEbEEZZNS1_14partition_implILS8_4ELb0ES6_15HIP_vector_typeIjLj2EENS0_17counting_iteratorIjlEEPS9_SG_NS0_5tupleIJPjSI_NS0_16reverse_iteratorISI_EEEEENSH_IJSG_SG_SG_EEES9_SI_JZNS1_25segmented_radix_sort_implINS0_14default_configELb1EPKiPiPKlPlN2at6native12_GLOBAL__N_18offset_tEEE10hipError_tPvRmT1_PNSt15iterator_traitsIS12_E10value_typeET2_T3_PNS13_IS18_E10value_typeET4_jRbjT5_S1E_jjP12ihipStream_tbEUljE_ZNSN_ISO_Lb1ESQ_SR_ST_SU_SY_EESZ_S10_S11_S12_S16_S17_S18_S1B_S1C_jS1D_jS1E_S1E_jjS1G_bEUljE0_EEESZ_S10_S11_S18_S1C_S1E_T6_T7_T9_mT8_S1G_bDpT10_ENKUlT_T0_E_clISt17integral_constantIbLb1EES1U_EEDaS1P_S1Q_EUlS1P_E_NS1_11comp_targetILNS1_3genE9ELNS1_11target_archE1100ELNS1_3gpuE3ELNS1_3repE0EEENS1_30default_config_static_selectorELNS0_4arch9wavefront6targetE0EEEvS12_
		.amdhsa_group_segment_fixed_size 0
		.amdhsa_private_segment_fixed_size 0
		.amdhsa_kernarg_size 184
		.amdhsa_user_sgpr_count 2
		.amdhsa_user_sgpr_dispatch_ptr 0
		.amdhsa_user_sgpr_queue_ptr 0
		.amdhsa_user_sgpr_kernarg_segment_ptr 1
		.amdhsa_user_sgpr_dispatch_id 0
		.amdhsa_user_sgpr_private_segment_size 0
		.amdhsa_wavefront_size32 1
		.amdhsa_uses_dynamic_stack 0
		.amdhsa_enable_private_segment 0
		.amdhsa_system_sgpr_workgroup_id_x 1
		.amdhsa_system_sgpr_workgroup_id_y 0
		.amdhsa_system_sgpr_workgroup_id_z 0
		.amdhsa_system_sgpr_workgroup_info 0
		.amdhsa_system_vgpr_workitem_id 0
		.amdhsa_next_free_vgpr 1
		.amdhsa_next_free_sgpr 1
		.amdhsa_reserve_vcc 0
		.amdhsa_float_round_mode_32 0
		.amdhsa_float_round_mode_16_64 0
		.amdhsa_float_denorm_mode_32 3
		.amdhsa_float_denorm_mode_16_64 3
		.amdhsa_fp16_overflow 0
		.amdhsa_workgroup_processor_mode 1
		.amdhsa_memory_ordered 1
		.amdhsa_forward_progress 1
		.amdhsa_inst_pref_size 0
		.amdhsa_round_robin_scheduling 0
		.amdhsa_exception_fp_ieee_invalid_op 0
		.amdhsa_exception_fp_denorm_src 0
		.amdhsa_exception_fp_ieee_div_zero 0
		.amdhsa_exception_fp_ieee_overflow 0
		.amdhsa_exception_fp_ieee_underflow 0
		.amdhsa_exception_fp_ieee_inexact 0
		.amdhsa_exception_int_div_zero 0
	.end_amdhsa_kernel
	.section	.text._ZN7rocprim17ROCPRIM_400000_NS6detail17trampoline_kernelINS0_13select_configILj256ELj13ELNS0_17block_load_methodE3ELS4_3ELS4_3ELNS0_20block_scan_algorithmE0ELj4294967295EEENS1_25partition_config_selectorILNS1_17partition_subalgoE4EjNS0_10empty_typeEbEEZZNS1_14partition_implILS8_4ELb0ES6_15HIP_vector_typeIjLj2EENS0_17counting_iteratorIjlEEPS9_SG_NS0_5tupleIJPjSI_NS0_16reverse_iteratorISI_EEEEENSH_IJSG_SG_SG_EEES9_SI_JZNS1_25segmented_radix_sort_implINS0_14default_configELb1EPKiPiPKlPlN2at6native12_GLOBAL__N_18offset_tEEE10hipError_tPvRmT1_PNSt15iterator_traitsIS12_E10value_typeET2_T3_PNS13_IS18_E10value_typeET4_jRbjT5_S1E_jjP12ihipStream_tbEUljE_ZNSN_ISO_Lb1ESQ_SR_ST_SU_SY_EESZ_S10_S11_S12_S16_S17_S18_S1B_S1C_jS1D_jS1E_S1E_jjS1G_bEUljE0_EEESZ_S10_S11_S18_S1C_S1E_T6_T7_T9_mT8_S1G_bDpT10_ENKUlT_T0_E_clISt17integral_constantIbLb1EES1U_EEDaS1P_S1Q_EUlS1P_E_NS1_11comp_targetILNS1_3genE9ELNS1_11target_archE1100ELNS1_3gpuE3ELNS1_3repE0EEENS1_30default_config_static_selectorELNS0_4arch9wavefront6targetE0EEEvS12_,"axG",@progbits,_ZN7rocprim17ROCPRIM_400000_NS6detail17trampoline_kernelINS0_13select_configILj256ELj13ELNS0_17block_load_methodE3ELS4_3ELS4_3ELNS0_20block_scan_algorithmE0ELj4294967295EEENS1_25partition_config_selectorILNS1_17partition_subalgoE4EjNS0_10empty_typeEbEEZZNS1_14partition_implILS8_4ELb0ES6_15HIP_vector_typeIjLj2EENS0_17counting_iteratorIjlEEPS9_SG_NS0_5tupleIJPjSI_NS0_16reverse_iteratorISI_EEEEENSH_IJSG_SG_SG_EEES9_SI_JZNS1_25segmented_radix_sort_implINS0_14default_configELb1EPKiPiPKlPlN2at6native12_GLOBAL__N_18offset_tEEE10hipError_tPvRmT1_PNSt15iterator_traitsIS12_E10value_typeET2_T3_PNS13_IS18_E10value_typeET4_jRbjT5_S1E_jjP12ihipStream_tbEUljE_ZNSN_ISO_Lb1ESQ_SR_ST_SU_SY_EESZ_S10_S11_S12_S16_S17_S18_S1B_S1C_jS1D_jS1E_S1E_jjS1G_bEUljE0_EEESZ_S10_S11_S18_S1C_S1E_T6_T7_T9_mT8_S1G_bDpT10_ENKUlT_T0_E_clISt17integral_constantIbLb1EES1U_EEDaS1P_S1Q_EUlS1P_E_NS1_11comp_targetILNS1_3genE9ELNS1_11target_archE1100ELNS1_3gpuE3ELNS1_3repE0EEENS1_30default_config_static_selectorELNS0_4arch9wavefront6targetE0EEEvS12_,comdat
.Lfunc_end447:
	.size	_ZN7rocprim17ROCPRIM_400000_NS6detail17trampoline_kernelINS0_13select_configILj256ELj13ELNS0_17block_load_methodE3ELS4_3ELS4_3ELNS0_20block_scan_algorithmE0ELj4294967295EEENS1_25partition_config_selectorILNS1_17partition_subalgoE4EjNS0_10empty_typeEbEEZZNS1_14partition_implILS8_4ELb0ES6_15HIP_vector_typeIjLj2EENS0_17counting_iteratorIjlEEPS9_SG_NS0_5tupleIJPjSI_NS0_16reverse_iteratorISI_EEEEENSH_IJSG_SG_SG_EEES9_SI_JZNS1_25segmented_radix_sort_implINS0_14default_configELb1EPKiPiPKlPlN2at6native12_GLOBAL__N_18offset_tEEE10hipError_tPvRmT1_PNSt15iterator_traitsIS12_E10value_typeET2_T3_PNS13_IS18_E10value_typeET4_jRbjT5_S1E_jjP12ihipStream_tbEUljE_ZNSN_ISO_Lb1ESQ_SR_ST_SU_SY_EESZ_S10_S11_S12_S16_S17_S18_S1B_S1C_jS1D_jS1E_S1E_jjS1G_bEUljE0_EEESZ_S10_S11_S18_S1C_S1E_T6_T7_T9_mT8_S1G_bDpT10_ENKUlT_T0_E_clISt17integral_constantIbLb1EES1U_EEDaS1P_S1Q_EUlS1P_E_NS1_11comp_targetILNS1_3genE9ELNS1_11target_archE1100ELNS1_3gpuE3ELNS1_3repE0EEENS1_30default_config_static_selectorELNS0_4arch9wavefront6targetE0EEEvS12_, .Lfunc_end447-_ZN7rocprim17ROCPRIM_400000_NS6detail17trampoline_kernelINS0_13select_configILj256ELj13ELNS0_17block_load_methodE3ELS4_3ELS4_3ELNS0_20block_scan_algorithmE0ELj4294967295EEENS1_25partition_config_selectorILNS1_17partition_subalgoE4EjNS0_10empty_typeEbEEZZNS1_14partition_implILS8_4ELb0ES6_15HIP_vector_typeIjLj2EENS0_17counting_iteratorIjlEEPS9_SG_NS0_5tupleIJPjSI_NS0_16reverse_iteratorISI_EEEEENSH_IJSG_SG_SG_EEES9_SI_JZNS1_25segmented_radix_sort_implINS0_14default_configELb1EPKiPiPKlPlN2at6native12_GLOBAL__N_18offset_tEEE10hipError_tPvRmT1_PNSt15iterator_traitsIS12_E10value_typeET2_T3_PNS13_IS18_E10value_typeET4_jRbjT5_S1E_jjP12ihipStream_tbEUljE_ZNSN_ISO_Lb1ESQ_SR_ST_SU_SY_EESZ_S10_S11_S12_S16_S17_S18_S1B_S1C_jS1D_jS1E_S1E_jjS1G_bEUljE0_EEESZ_S10_S11_S18_S1C_S1E_T6_T7_T9_mT8_S1G_bDpT10_ENKUlT_T0_E_clISt17integral_constantIbLb1EES1U_EEDaS1P_S1Q_EUlS1P_E_NS1_11comp_targetILNS1_3genE9ELNS1_11target_archE1100ELNS1_3gpuE3ELNS1_3repE0EEENS1_30default_config_static_selectorELNS0_4arch9wavefront6targetE0EEEvS12_
                                        ; -- End function
	.set _ZN7rocprim17ROCPRIM_400000_NS6detail17trampoline_kernelINS0_13select_configILj256ELj13ELNS0_17block_load_methodE3ELS4_3ELS4_3ELNS0_20block_scan_algorithmE0ELj4294967295EEENS1_25partition_config_selectorILNS1_17partition_subalgoE4EjNS0_10empty_typeEbEEZZNS1_14partition_implILS8_4ELb0ES6_15HIP_vector_typeIjLj2EENS0_17counting_iteratorIjlEEPS9_SG_NS0_5tupleIJPjSI_NS0_16reverse_iteratorISI_EEEEENSH_IJSG_SG_SG_EEES9_SI_JZNS1_25segmented_radix_sort_implINS0_14default_configELb1EPKiPiPKlPlN2at6native12_GLOBAL__N_18offset_tEEE10hipError_tPvRmT1_PNSt15iterator_traitsIS12_E10value_typeET2_T3_PNS13_IS18_E10value_typeET4_jRbjT5_S1E_jjP12ihipStream_tbEUljE_ZNSN_ISO_Lb1ESQ_SR_ST_SU_SY_EESZ_S10_S11_S12_S16_S17_S18_S1B_S1C_jS1D_jS1E_S1E_jjS1G_bEUljE0_EEESZ_S10_S11_S18_S1C_S1E_T6_T7_T9_mT8_S1G_bDpT10_ENKUlT_T0_E_clISt17integral_constantIbLb1EES1U_EEDaS1P_S1Q_EUlS1P_E_NS1_11comp_targetILNS1_3genE9ELNS1_11target_archE1100ELNS1_3gpuE3ELNS1_3repE0EEENS1_30default_config_static_selectorELNS0_4arch9wavefront6targetE0EEEvS12_.num_vgpr, 0
	.set _ZN7rocprim17ROCPRIM_400000_NS6detail17trampoline_kernelINS0_13select_configILj256ELj13ELNS0_17block_load_methodE3ELS4_3ELS4_3ELNS0_20block_scan_algorithmE0ELj4294967295EEENS1_25partition_config_selectorILNS1_17partition_subalgoE4EjNS0_10empty_typeEbEEZZNS1_14partition_implILS8_4ELb0ES6_15HIP_vector_typeIjLj2EENS0_17counting_iteratorIjlEEPS9_SG_NS0_5tupleIJPjSI_NS0_16reverse_iteratorISI_EEEEENSH_IJSG_SG_SG_EEES9_SI_JZNS1_25segmented_radix_sort_implINS0_14default_configELb1EPKiPiPKlPlN2at6native12_GLOBAL__N_18offset_tEEE10hipError_tPvRmT1_PNSt15iterator_traitsIS12_E10value_typeET2_T3_PNS13_IS18_E10value_typeET4_jRbjT5_S1E_jjP12ihipStream_tbEUljE_ZNSN_ISO_Lb1ESQ_SR_ST_SU_SY_EESZ_S10_S11_S12_S16_S17_S18_S1B_S1C_jS1D_jS1E_S1E_jjS1G_bEUljE0_EEESZ_S10_S11_S18_S1C_S1E_T6_T7_T9_mT8_S1G_bDpT10_ENKUlT_T0_E_clISt17integral_constantIbLb1EES1U_EEDaS1P_S1Q_EUlS1P_E_NS1_11comp_targetILNS1_3genE9ELNS1_11target_archE1100ELNS1_3gpuE3ELNS1_3repE0EEENS1_30default_config_static_selectorELNS0_4arch9wavefront6targetE0EEEvS12_.num_agpr, 0
	.set _ZN7rocprim17ROCPRIM_400000_NS6detail17trampoline_kernelINS0_13select_configILj256ELj13ELNS0_17block_load_methodE3ELS4_3ELS4_3ELNS0_20block_scan_algorithmE0ELj4294967295EEENS1_25partition_config_selectorILNS1_17partition_subalgoE4EjNS0_10empty_typeEbEEZZNS1_14partition_implILS8_4ELb0ES6_15HIP_vector_typeIjLj2EENS0_17counting_iteratorIjlEEPS9_SG_NS0_5tupleIJPjSI_NS0_16reverse_iteratorISI_EEEEENSH_IJSG_SG_SG_EEES9_SI_JZNS1_25segmented_radix_sort_implINS0_14default_configELb1EPKiPiPKlPlN2at6native12_GLOBAL__N_18offset_tEEE10hipError_tPvRmT1_PNSt15iterator_traitsIS12_E10value_typeET2_T3_PNS13_IS18_E10value_typeET4_jRbjT5_S1E_jjP12ihipStream_tbEUljE_ZNSN_ISO_Lb1ESQ_SR_ST_SU_SY_EESZ_S10_S11_S12_S16_S17_S18_S1B_S1C_jS1D_jS1E_S1E_jjS1G_bEUljE0_EEESZ_S10_S11_S18_S1C_S1E_T6_T7_T9_mT8_S1G_bDpT10_ENKUlT_T0_E_clISt17integral_constantIbLb1EES1U_EEDaS1P_S1Q_EUlS1P_E_NS1_11comp_targetILNS1_3genE9ELNS1_11target_archE1100ELNS1_3gpuE3ELNS1_3repE0EEENS1_30default_config_static_selectorELNS0_4arch9wavefront6targetE0EEEvS12_.numbered_sgpr, 0
	.set _ZN7rocprim17ROCPRIM_400000_NS6detail17trampoline_kernelINS0_13select_configILj256ELj13ELNS0_17block_load_methodE3ELS4_3ELS4_3ELNS0_20block_scan_algorithmE0ELj4294967295EEENS1_25partition_config_selectorILNS1_17partition_subalgoE4EjNS0_10empty_typeEbEEZZNS1_14partition_implILS8_4ELb0ES6_15HIP_vector_typeIjLj2EENS0_17counting_iteratorIjlEEPS9_SG_NS0_5tupleIJPjSI_NS0_16reverse_iteratorISI_EEEEENSH_IJSG_SG_SG_EEES9_SI_JZNS1_25segmented_radix_sort_implINS0_14default_configELb1EPKiPiPKlPlN2at6native12_GLOBAL__N_18offset_tEEE10hipError_tPvRmT1_PNSt15iterator_traitsIS12_E10value_typeET2_T3_PNS13_IS18_E10value_typeET4_jRbjT5_S1E_jjP12ihipStream_tbEUljE_ZNSN_ISO_Lb1ESQ_SR_ST_SU_SY_EESZ_S10_S11_S12_S16_S17_S18_S1B_S1C_jS1D_jS1E_S1E_jjS1G_bEUljE0_EEESZ_S10_S11_S18_S1C_S1E_T6_T7_T9_mT8_S1G_bDpT10_ENKUlT_T0_E_clISt17integral_constantIbLb1EES1U_EEDaS1P_S1Q_EUlS1P_E_NS1_11comp_targetILNS1_3genE9ELNS1_11target_archE1100ELNS1_3gpuE3ELNS1_3repE0EEENS1_30default_config_static_selectorELNS0_4arch9wavefront6targetE0EEEvS12_.num_named_barrier, 0
	.set _ZN7rocprim17ROCPRIM_400000_NS6detail17trampoline_kernelINS0_13select_configILj256ELj13ELNS0_17block_load_methodE3ELS4_3ELS4_3ELNS0_20block_scan_algorithmE0ELj4294967295EEENS1_25partition_config_selectorILNS1_17partition_subalgoE4EjNS0_10empty_typeEbEEZZNS1_14partition_implILS8_4ELb0ES6_15HIP_vector_typeIjLj2EENS0_17counting_iteratorIjlEEPS9_SG_NS0_5tupleIJPjSI_NS0_16reverse_iteratorISI_EEEEENSH_IJSG_SG_SG_EEES9_SI_JZNS1_25segmented_radix_sort_implINS0_14default_configELb1EPKiPiPKlPlN2at6native12_GLOBAL__N_18offset_tEEE10hipError_tPvRmT1_PNSt15iterator_traitsIS12_E10value_typeET2_T3_PNS13_IS18_E10value_typeET4_jRbjT5_S1E_jjP12ihipStream_tbEUljE_ZNSN_ISO_Lb1ESQ_SR_ST_SU_SY_EESZ_S10_S11_S12_S16_S17_S18_S1B_S1C_jS1D_jS1E_S1E_jjS1G_bEUljE0_EEESZ_S10_S11_S18_S1C_S1E_T6_T7_T9_mT8_S1G_bDpT10_ENKUlT_T0_E_clISt17integral_constantIbLb1EES1U_EEDaS1P_S1Q_EUlS1P_E_NS1_11comp_targetILNS1_3genE9ELNS1_11target_archE1100ELNS1_3gpuE3ELNS1_3repE0EEENS1_30default_config_static_selectorELNS0_4arch9wavefront6targetE0EEEvS12_.private_seg_size, 0
	.set _ZN7rocprim17ROCPRIM_400000_NS6detail17trampoline_kernelINS0_13select_configILj256ELj13ELNS0_17block_load_methodE3ELS4_3ELS4_3ELNS0_20block_scan_algorithmE0ELj4294967295EEENS1_25partition_config_selectorILNS1_17partition_subalgoE4EjNS0_10empty_typeEbEEZZNS1_14partition_implILS8_4ELb0ES6_15HIP_vector_typeIjLj2EENS0_17counting_iteratorIjlEEPS9_SG_NS0_5tupleIJPjSI_NS0_16reverse_iteratorISI_EEEEENSH_IJSG_SG_SG_EEES9_SI_JZNS1_25segmented_radix_sort_implINS0_14default_configELb1EPKiPiPKlPlN2at6native12_GLOBAL__N_18offset_tEEE10hipError_tPvRmT1_PNSt15iterator_traitsIS12_E10value_typeET2_T3_PNS13_IS18_E10value_typeET4_jRbjT5_S1E_jjP12ihipStream_tbEUljE_ZNSN_ISO_Lb1ESQ_SR_ST_SU_SY_EESZ_S10_S11_S12_S16_S17_S18_S1B_S1C_jS1D_jS1E_S1E_jjS1G_bEUljE0_EEESZ_S10_S11_S18_S1C_S1E_T6_T7_T9_mT8_S1G_bDpT10_ENKUlT_T0_E_clISt17integral_constantIbLb1EES1U_EEDaS1P_S1Q_EUlS1P_E_NS1_11comp_targetILNS1_3genE9ELNS1_11target_archE1100ELNS1_3gpuE3ELNS1_3repE0EEENS1_30default_config_static_selectorELNS0_4arch9wavefront6targetE0EEEvS12_.uses_vcc, 0
	.set _ZN7rocprim17ROCPRIM_400000_NS6detail17trampoline_kernelINS0_13select_configILj256ELj13ELNS0_17block_load_methodE3ELS4_3ELS4_3ELNS0_20block_scan_algorithmE0ELj4294967295EEENS1_25partition_config_selectorILNS1_17partition_subalgoE4EjNS0_10empty_typeEbEEZZNS1_14partition_implILS8_4ELb0ES6_15HIP_vector_typeIjLj2EENS0_17counting_iteratorIjlEEPS9_SG_NS0_5tupleIJPjSI_NS0_16reverse_iteratorISI_EEEEENSH_IJSG_SG_SG_EEES9_SI_JZNS1_25segmented_radix_sort_implINS0_14default_configELb1EPKiPiPKlPlN2at6native12_GLOBAL__N_18offset_tEEE10hipError_tPvRmT1_PNSt15iterator_traitsIS12_E10value_typeET2_T3_PNS13_IS18_E10value_typeET4_jRbjT5_S1E_jjP12ihipStream_tbEUljE_ZNSN_ISO_Lb1ESQ_SR_ST_SU_SY_EESZ_S10_S11_S12_S16_S17_S18_S1B_S1C_jS1D_jS1E_S1E_jjS1G_bEUljE0_EEESZ_S10_S11_S18_S1C_S1E_T6_T7_T9_mT8_S1G_bDpT10_ENKUlT_T0_E_clISt17integral_constantIbLb1EES1U_EEDaS1P_S1Q_EUlS1P_E_NS1_11comp_targetILNS1_3genE9ELNS1_11target_archE1100ELNS1_3gpuE3ELNS1_3repE0EEENS1_30default_config_static_selectorELNS0_4arch9wavefront6targetE0EEEvS12_.uses_flat_scratch, 0
	.set _ZN7rocprim17ROCPRIM_400000_NS6detail17trampoline_kernelINS0_13select_configILj256ELj13ELNS0_17block_load_methodE3ELS4_3ELS4_3ELNS0_20block_scan_algorithmE0ELj4294967295EEENS1_25partition_config_selectorILNS1_17partition_subalgoE4EjNS0_10empty_typeEbEEZZNS1_14partition_implILS8_4ELb0ES6_15HIP_vector_typeIjLj2EENS0_17counting_iteratorIjlEEPS9_SG_NS0_5tupleIJPjSI_NS0_16reverse_iteratorISI_EEEEENSH_IJSG_SG_SG_EEES9_SI_JZNS1_25segmented_radix_sort_implINS0_14default_configELb1EPKiPiPKlPlN2at6native12_GLOBAL__N_18offset_tEEE10hipError_tPvRmT1_PNSt15iterator_traitsIS12_E10value_typeET2_T3_PNS13_IS18_E10value_typeET4_jRbjT5_S1E_jjP12ihipStream_tbEUljE_ZNSN_ISO_Lb1ESQ_SR_ST_SU_SY_EESZ_S10_S11_S12_S16_S17_S18_S1B_S1C_jS1D_jS1E_S1E_jjS1G_bEUljE0_EEESZ_S10_S11_S18_S1C_S1E_T6_T7_T9_mT8_S1G_bDpT10_ENKUlT_T0_E_clISt17integral_constantIbLb1EES1U_EEDaS1P_S1Q_EUlS1P_E_NS1_11comp_targetILNS1_3genE9ELNS1_11target_archE1100ELNS1_3gpuE3ELNS1_3repE0EEENS1_30default_config_static_selectorELNS0_4arch9wavefront6targetE0EEEvS12_.has_dyn_sized_stack, 0
	.set _ZN7rocprim17ROCPRIM_400000_NS6detail17trampoline_kernelINS0_13select_configILj256ELj13ELNS0_17block_load_methodE3ELS4_3ELS4_3ELNS0_20block_scan_algorithmE0ELj4294967295EEENS1_25partition_config_selectorILNS1_17partition_subalgoE4EjNS0_10empty_typeEbEEZZNS1_14partition_implILS8_4ELb0ES6_15HIP_vector_typeIjLj2EENS0_17counting_iteratorIjlEEPS9_SG_NS0_5tupleIJPjSI_NS0_16reverse_iteratorISI_EEEEENSH_IJSG_SG_SG_EEES9_SI_JZNS1_25segmented_radix_sort_implINS0_14default_configELb1EPKiPiPKlPlN2at6native12_GLOBAL__N_18offset_tEEE10hipError_tPvRmT1_PNSt15iterator_traitsIS12_E10value_typeET2_T3_PNS13_IS18_E10value_typeET4_jRbjT5_S1E_jjP12ihipStream_tbEUljE_ZNSN_ISO_Lb1ESQ_SR_ST_SU_SY_EESZ_S10_S11_S12_S16_S17_S18_S1B_S1C_jS1D_jS1E_S1E_jjS1G_bEUljE0_EEESZ_S10_S11_S18_S1C_S1E_T6_T7_T9_mT8_S1G_bDpT10_ENKUlT_T0_E_clISt17integral_constantIbLb1EES1U_EEDaS1P_S1Q_EUlS1P_E_NS1_11comp_targetILNS1_3genE9ELNS1_11target_archE1100ELNS1_3gpuE3ELNS1_3repE0EEENS1_30default_config_static_selectorELNS0_4arch9wavefront6targetE0EEEvS12_.has_recursion, 0
	.set _ZN7rocprim17ROCPRIM_400000_NS6detail17trampoline_kernelINS0_13select_configILj256ELj13ELNS0_17block_load_methodE3ELS4_3ELS4_3ELNS0_20block_scan_algorithmE0ELj4294967295EEENS1_25partition_config_selectorILNS1_17partition_subalgoE4EjNS0_10empty_typeEbEEZZNS1_14partition_implILS8_4ELb0ES6_15HIP_vector_typeIjLj2EENS0_17counting_iteratorIjlEEPS9_SG_NS0_5tupleIJPjSI_NS0_16reverse_iteratorISI_EEEEENSH_IJSG_SG_SG_EEES9_SI_JZNS1_25segmented_radix_sort_implINS0_14default_configELb1EPKiPiPKlPlN2at6native12_GLOBAL__N_18offset_tEEE10hipError_tPvRmT1_PNSt15iterator_traitsIS12_E10value_typeET2_T3_PNS13_IS18_E10value_typeET4_jRbjT5_S1E_jjP12ihipStream_tbEUljE_ZNSN_ISO_Lb1ESQ_SR_ST_SU_SY_EESZ_S10_S11_S12_S16_S17_S18_S1B_S1C_jS1D_jS1E_S1E_jjS1G_bEUljE0_EEESZ_S10_S11_S18_S1C_S1E_T6_T7_T9_mT8_S1G_bDpT10_ENKUlT_T0_E_clISt17integral_constantIbLb1EES1U_EEDaS1P_S1Q_EUlS1P_E_NS1_11comp_targetILNS1_3genE9ELNS1_11target_archE1100ELNS1_3gpuE3ELNS1_3repE0EEENS1_30default_config_static_selectorELNS0_4arch9wavefront6targetE0EEEvS12_.has_indirect_call, 0
	.section	.AMDGPU.csdata,"",@progbits
; Kernel info:
; codeLenInByte = 0
; TotalNumSgprs: 0
; NumVgprs: 0
; ScratchSize: 0
; MemoryBound: 0
; FloatMode: 240
; IeeeMode: 1
; LDSByteSize: 0 bytes/workgroup (compile time only)
; SGPRBlocks: 0
; VGPRBlocks: 0
; NumSGPRsForWavesPerEU: 1
; NumVGPRsForWavesPerEU: 1
; Occupancy: 16
; WaveLimiterHint : 0
; COMPUTE_PGM_RSRC2:SCRATCH_EN: 0
; COMPUTE_PGM_RSRC2:USER_SGPR: 2
; COMPUTE_PGM_RSRC2:TRAP_HANDLER: 0
; COMPUTE_PGM_RSRC2:TGID_X_EN: 1
; COMPUTE_PGM_RSRC2:TGID_Y_EN: 0
; COMPUTE_PGM_RSRC2:TGID_Z_EN: 0
; COMPUTE_PGM_RSRC2:TIDIG_COMP_CNT: 0
	.section	.text._ZN7rocprim17ROCPRIM_400000_NS6detail17trampoline_kernelINS0_13select_configILj256ELj13ELNS0_17block_load_methodE3ELS4_3ELS4_3ELNS0_20block_scan_algorithmE0ELj4294967295EEENS1_25partition_config_selectorILNS1_17partition_subalgoE4EjNS0_10empty_typeEbEEZZNS1_14partition_implILS8_4ELb0ES6_15HIP_vector_typeIjLj2EENS0_17counting_iteratorIjlEEPS9_SG_NS0_5tupleIJPjSI_NS0_16reverse_iteratorISI_EEEEENSH_IJSG_SG_SG_EEES9_SI_JZNS1_25segmented_radix_sort_implINS0_14default_configELb1EPKiPiPKlPlN2at6native12_GLOBAL__N_18offset_tEEE10hipError_tPvRmT1_PNSt15iterator_traitsIS12_E10value_typeET2_T3_PNS13_IS18_E10value_typeET4_jRbjT5_S1E_jjP12ihipStream_tbEUljE_ZNSN_ISO_Lb1ESQ_SR_ST_SU_SY_EESZ_S10_S11_S12_S16_S17_S18_S1B_S1C_jS1D_jS1E_S1E_jjS1G_bEUljE0_EEESZ_S10_S11_S18_S1C_S1E_T6_T7_T9_mT8_S1G_bDpT10_ENKUlT_T0_E_clISt17integral_constantIbLb1EES1U_EEDaS1P_S1Q_EUlS1P_E_NS1_11comp_targetILNS1_3genE8ELNS1_11target_archE1030ELNS1_3gpuE2ELNS1_3repE0EEENS1_30default_config_static_selectorELNS0_4arch9wavefront6targetE0EEEvS12_,"axG",@progbits,_ZN7rocprim17ROCPRIM_400000_NS6detail17trampoline_kernelINS0_13select_configILj256ELj13ELNS0_17block_load_methodE3ELS4_3ELS4_3ELNS0_20block_scan_algorithmE0ELj4294967295EEENS1_25partition_config_selectorILNS1_17partition_subalgoE4EjNS0_10empty_typeEbEEZZNS1_14partition_implILS8_4ELb0ES6_15HIP_vector_typeIjLj2EENS0_17counting_iteratorIjlEEPS9_SG_NS0_5tupleIJPjSI_NS0_16reverse_iteratorISI_EEEEENSH_IJSG_SG_SG_EEES9_SI_JZNS1_25segmented_radix_sort_implINS0_14default_configELb1EPKiPiPKlPlN2at6native12_GLOBAL__N_18offset_tEEE10hipError_tPvRmT1_PNSt15iterator_traitsIS12_E10value_typeET2_T3_PNS13_IS18_E10value_typeET4_jRbjT5_S1E_jjP12ihipStream_tbEUljE_ZNSN_ISO_Lb1ESQ_SR_ST_SU_SY_EESZ_S10_S11_S12_S16_S17_S18_S1B_S1C_jS1D_jS1E_S1E_jjS1G_bEUljE0_EEESZ_S10_S11_S18_S1C_S1E_T6_T7_T9_mT8_S1G_bDpT10_ENKUlT_T0_E_clISt17integral_constantIbLb1EES1U_EEDaS1P_S1Q_EUlS1P_E_NS1_11comp_targetILNS1_3genE8ELNS1_11target_archE1030ELNS1_3gpuE2ELNS1_3repE0EEENS1_30default_config_static_selectorELNS0_4arch9wavefront6targetE0EEEvS12_,comdat
	.globl	_ZN7rocprim17ROCPRIM_400000_NS6detail17trampoline_kernelINS0_13select_configILj256ELj13ELNS0_17block_load_methodE3ELS4_3ELS4_3ELNS0_20block_scan_algorithmE0ELj4294967295EEENS1_25partition_config_selectorILNS1_17partition_subalgoE4EjNS0_10empty_typeEbEEZZNS1_14partition_implILS8_4ELb0ES6_15HIP_vector_typeIjLj2EENS0_17counting_iteratorIjlEEPS9_SG_NS0_5tupleIJPjSI_NS0_16reverse_iteratorISI_EEEEENSH_IJSG_SG_SG_EEES9_SI_JZNS1_25segmented_radix_sort_implINS0_14default_configELb1EPKiPiPKlPlN2at6native12_GLOBAL__N_18offset_tEEE10hipError_tPvRmT1_PNSt15iterator_traitsIS12_E10value_typeET2_T3_PNS13_IS18_E10value_typeET4_jRbjT5_S1E_jjP12ihipStream_tbEUljE_ZNSN_ISO_Lb1ESQ_SR_ST_SU_SY_EESZ_S10_S11_S12_S16_S17_S18_S1B_S1C_jS1D_jS1E_S1E_jjS1G_bEUljE0_EEESZ_S10_S11_S18_S1C_S1E_T6_T7_T9_mT8_S1G_bDpT10_ENKUlT_T0_E_clISt17integral_constantIbLb1EES1U_EEDaS1P_S1Q_EUlS1P_E_NS1_11comp_targetILNS1_3genE8ELNS1_11target_archE1030ELNS1_3gpuE2ELNS1_3repE0EEENS1_30default_config_static_selectorELNS0_4arch9wavefront6targetE0EEEvS12_ ; -- Begin function _ZN7rocprim17ROCPRIM_400000_NS6detail17trampoline_kernelINS0_13select_configILj256ELj13ELNS0_17block_load_methodE3ELS4_3ELS4_3ELNS0_20block_scan_algorithmE0ELj4294967295EEENS1_25partition_config_selectorILNS1_17partition_subalgoE4EjNS0_10empty_typeEbEEZZNS1_14partition_implILS8_4ELb0ES6_15HIP_vector_typeIjLj2EENS0_17counting_iteratorIjlEEPS9_SG_NS0_5tupleIJPjSI_NS0_16reverse_iteratorISI_EEEEENSH_IJSG_SG_SG_EEES9_SI_JZNS1_25segmented_radix_sort_implINS0_14default_configELb1EPKiPiPKlPlN2at6native12_GLOBAL__N_18offset_tEEE10hipError_tPvRmT1_PNSt15iterator_traitsIS12_E10value_typeET2_T3_PNS13_IS18_E10value_typeET4_jRbjT5_S1E_jjP12ihipStream_tbEUljE_ZNSN_ISO_Lb1ESQ_SR_ST_SU_SY_EESZ_S10_S11_S12_S16_S17_S18_S1B_S1C_jS1D_jS1E_S1E_jjS1G_bEUljE0_EEESZ_S10_S11_S18_S1C_S1E_T6_T7_T9_mT8_S1G_bDpT10_ENKUlT_T0_E_clISt17integral_constantIbLb1EES1U_EEDaS1P_S1Q_EUlS1P_E_NS1_11comp_targetILNS1_3genE8ELNS1_11target_archE1030ELNS1_3gpuE2ELNS1_3repE0EEENS1_30default_config_static_selectorELNS0_4arch9wavefront6targetE0EEEvS12_
	.p2align	8
	.type	_ZN7rocprim17ROCPRIM_400000_NS6detail17trampoline_kernelINS0_13select_configILj256ELj13ELNS0_17block_load_methodE3ELS4_3ELS4_3ELNS0_20block_scan_algorithmE0ELj4294967295EEENS1_25partition_config_selectorILNS1_17partition_subalgoE4EjNS0_10empty_typeEbEEZZNS1_14partition_implILS8_4ELb0ES6_15HIP_vector_typeIjLj2EENS0_17counting_iteratorIjlEEPS9_SG_NS0_5tupleIJPjSI_NS0_16reverse_iteratorISI_EEEEENSH_IJSG_SG_SG_EEES9_SI_JZNS1_25segmented_radix_sort_implINS0_14default_configELb1EPKiPiPKlPlN2at6native12_GLOBAL__N_18offset_tEEE10hipError_tPvRmT1_PNSt15iterator_traitsIS12_E10value_typeET2_T3_PNS13_IS18_E10value_typeET4_jRbjT5_S1E_jjP12ihipStream_tbEUljE_ZNSN_ISO_Lb1ESQ_SR_ST_SU_SY_EESZ_S10_S11_S12_S16_S17_S18_S1B_S1C_jS1D_jS1E_S1E_jjS1G_bEUljE0_EEESZ_S10_S11_S18_S1C_S1E_T6_T7_T9_mT8_S1G_bDpT10_ENKUlT_T0_E_clISt17integral_constantIbLb1EES1U_EEDaS1P_S1Q_EUlS1P_E_NS1_11comp_targetILNS1_3genE8ELNS1_11target_archE1030ELNS1_3gpuE2ELNS1_3repE0EEENS1_30default_config_static_selectorELNS0_4arch9wavefront6targetE0EEEvS12_,@function
_ZN7rocprim17ROCPRIM_400000_NS6detail17trampoline_kernelINS0_13select_configILj256ELj13ELNS0_17block_load_methodE3ELS4_3ELS4_3ELNS0_20block_scan_algorithmE0ELj4294967295EEENS1_25partition_config_selectorILNS1_17partition_subalgoE4EjNS0_10empty_typeEbEEZZNS1_14partition_implILS8_4ELb0ES6_15HIP_vector_typeIjLj2EENS0_17counting_iteratorIjlEEPS9_SG_NS0_5tupleIJPjSI_NS0_16reverse_iteratorISI_EEEEENSH_IJSG_SG_SG_EEES9_SI_JZNS1_25segmented_radix_sort_implINS0_14default_configELb1EPKiPiPKlPlN2at6native12_GLOBAL__N_18offset_tEEE10hipError_tPvRmT1_PNSt15iterator_traitsIS12_E10value_typeET2_T3_PNS13_IS18_E10value_typeET4_jRbjT5_S1E_jjP12ihipStream_tbEUljE_ZNSN_ISO_Lb1ESQ_SR_ST_SU_SY_EESZ_S10_S11_S12_S16_S17_S18_S1B_S1C_jS1D_jS1E_S1E_jjS1G_bEUljE0_EEESZ_S10_S11_S18_S1C_S1E_T6_T7_T9_mT8_S1G_bDpT10_ENKUlT_T0_E_clISt17integral_constantIbLb1EES1U_EEDaS1P_S1Q_EUlS1P_E_NS1_11comp_targetILNS1_3genE8ELNS1_11target_archE1030ELNS1_3gpuE2ELNS1_3repE0EEENS1_30default_config_static_selectorELNS0_4arch9wavefront6targetE0EEEvS12_: ; @_ZN7rocprim17ROCPRIM_400000_NS6detail17trampoline_kernelINS0_13select_configILj256ELj13ELNS0_17block_load_methodE3ELS4_3ELS4_3ELNS0_20block_scan_algorithmE0ELj4294967295EEENS1_25partition_config_selectorILNS1_17partition_subalgoE4EjNS0_10empty_typeEbEEZZNS1_14partition_implILS8_4ELb0ES6_15HIP_vector_typeIjLj2EENS0_17counting_iteratorIjlEEPS9_SG_NS0_5tupleIJPjSI_NS0_16reverse_iteratorISI_EEEEENSH_IJSG_SG_SG_EEES9_SI_JZNS1_25segmented_radix_sort_implINS0_14default_configELb1EPKiPiPKlPlN2at6native12_GLOBAL__N_18offset_tEEE10hipError_tPvRmT1_PNSt15iterator_traitsIS12_E10value_typeET2_T3_PNS13_IS18_E10value_typeET4_jRbjT5_S1E_jjP12ihipStream_tbEUljE_ZNSN_ISO_Lb1ESQ_SR_ST_SU_SY_EESZ_S10_S11_S12_S16_S17_S18_S1B_S1C_jS1D_jS1E_S1E_jjS1G_bEUljE0_EEESZ_S10_S11_S18_S1C_S1E_T6_T7_T9_mT8_S1G_bDpT10_ENKUlT_T0_E_clISt17integral_constantIbLb1EES1U_EEDaS1P_S1Q_EUlS1P_E_NS1_11comp_targetILNS1_3genE8ELNS1_11target_archE1030ELNS1_3gpuE2ELNS1_3repE0EEENS1_30default_config_static_selectorELNS0_4arch9wavefront6targetE0EEEvS12_
; %bb.0:
	.section	.rodata,"a",@progbits
	.p2align	6, 0x0
	.amdhsa_kernel _ZN7rocprim17ROCPRIM_400000_NS6detail17trampoline_kernelINS0_13select_configILj256ELj13ELNS0_17block_load_methodE3ELS4_3ELS4_3ELNS0_20block_scan_algorithmE0ELj4294967295EEENS1_25partition_config_selectorILNS1_17partition_subalgoE4EjNS0_10empty_typeEbEEZZNS1_14partition_implILS8_4ELb0ES6_15HIP_vector_typeIjLj2EENS0_17counting_iteratorIjlEEPS9_SG_NS0_5tupleIJPjSI_NS0_16reverse_iteratorISI_EEEEENSH_IJSG_SG_SG_EEES9_SI_JZNS1_25segmented_radix_sort_implINS0_14default_configELb1EPKiPiPKlPlN2at6native12_GLOBAL__N_18offset_tEEE10hipError_tPvRmT1_PNSt15iterator_traitsIS12_E10value_typeET2_T3_PNS13_IS18_E10value_typeET4_jRbjT5_S1E_jjP12ihipStream_tbEUljE_ZNSN_ISO_Lb1ESQ_SR_ST_SU_SY_EESZ_S10_S11_S12_S16_S17_S18_S1B_S1C_jS1D_jS1E_S1E_jjS1G_bEUljE0_EEESZ_S10_S11_S18_S1C_S1E_T6_T7_T9_mT8_S1G_bDpT10_ENKUlT_T0_E_clISt17integral_constantIbLb1EES1U_EEDaS1P_S1Q_EUlS1P_E_NS1_11comp_targetILNS1_3genE8ELNS1_11target_archE1030ELNS1_3gpuE2ELNS1_3repE0EEENS1_30default_config_static_selectorELNS0_4arch9wavefront6targetE0EEEvS12_
		.amdhsa_group_segment_fixed_size 0
		.amdhsa_private_segment_fixed_size 0
		.amdhsa_kernarg_size 184
		.amdhsa_user_sgpr_count 2
		.amdhsa_user_sgpr_dispatch_ptr 0
		.amdhsa_user_sgpr_queue_ptr 0
		.amdhsa_user_sgpr_kernarg_segment_ptr 1
		.amdhsa_user_sgpr_dispatch_id 0
		.amdhsa_user_sgpr_private_segment_size 0
		.amdhsa_wavefront_size32 1
		.amdhsa_uses_dynamic_stack 0
		.amdhsa_enable_private_segment 0
		.amdhsa_system_sgpr_workgroup_id_x 1
		.amdhsa_system_sgpr_workgroup_id_y 0
		.amdhsa_system_sgpr_workgroup_id_z 0
		.amdhsa_system_sgpr_workgroup_info 0
		.amdhsa_system_vgpr_workitem_id 0
		.amdhsa_next_free_vgpr 1
		.amdhsa_next_free_sgpr 1
		.amdhsa_reserve_vcc 0
		.amdhsa_float_round_mode_32 0
		.amdhsa_float_round_mode_16_64 0
		.amdhsa_float_denorm_mode_32 3
		.amdhsa_float_denorm_mode_16_64 3
		.amdhsa_fp16_overflow 0
		.amdhsa_workgroup_processor_mode 1
		.amdhsa_memory_ordered 1
		.amdhsa_forward_progress 1
		.amdhsa_inst_pref_size 0
		.amdhsa_round_robin_scheduling 0
		.amdhsa_exception_fp_ieee_invalid_op 0
		.amdhsa_exception_fp_denorm_src 0
		.amdhsa_exception_fp_ieee_div_zero 0
		.amdhsa_exception_fp_ieee_overflow 0
		.amdhsa_exception_fp_ieee_underflow 0
		.amdhsa_exception_fp_ieee_inexact 0
		.amdhsa_exception_int_div_zero 0
	.end_amdhsa_kernel
	.section	.text._ZN7rocprim17ROCPRIM_400000_NS6detail17trampoline_kernelINS0_13select_configILj256ELj13ELNS0_17block_load_methodE3ELS4_3ELS4_3ELNS0_20block_scan_algorithmE0ELj4294967295EEENS1_25partition_config_selectorILNS1_17partition_subalgoE4EjNS0_10empty_typeEbEEZZNS1_14partition_implILS8_4ELb0ES6_15HIP_vector_typeIjLj2EENS0_17counting_iteratorIjlEEPS9_SG_NS0_5tupleIJPjSI_NS0_16reverse_iteratorISI_EEEEENSH_IJSG_SG_SG_EEES9_SI_JZNS1_25segmented_radix_sort_implINS0_14default_configELb1EPKiPiPKlPlN2at6native12_GLOBAL__N_18offset_tEEE10hipError_tPvRmT1_PNSt15iterator_traitsIS12_E10value_typeET2_T3_PNS13_IS18_E10value_typeET4_jRbjT5_S1E_jjP12ihipStream_tbEUljE_ZNSN_ISO_Lb1ESQ_SR_ST_SU_SY_EESZ_S10_S11_S12_S16_S17_S18_S1B_S1C_jS1D_jS1E_S1E_jjS1G_bEUljE0_EEESZ_S10_S11_S18_S1C_S1E_T6_T7_T9_mT8_S1G_bDpT10_ENKUlT_T0_E_clISt17integral_constantIbLb1EES1U_EEDaS1P_S1Q_EUlS1P_E_NS1_11comp_targetILNS1_3genE8ELNS1_11target_archE1030ELNS1_3gpuE2ELNS1_3repE0EEENS1_30default_config_static_selectorELNS0_4arch9wavefront6targetE0EEEvS12_,"axG",@progbits,_ZN7rocprim17ROCPRIM_400000_NS6detail17trampoline_kernelINS0_13select_configILj256ELj13ELNS0_17block_load_methodE3ELS4_3ELS4_3ELNS0_20block_scan_algorithmE0ELj4294967295EEENS1_25partition_config_selectorILNS1_17partition_subalgoE4EjNS0_10empty_typeEbEEZZNS1_14partition_implILS8_4ELb0ES6_15HIP_vector_typeIjLj2EENS0_17counting_iteratorIjlEEPS9_SG_NS0_5tupleIJPjSI_NS0_16reverse_iteratorISI_EEEEENSH_IJSG_SG_SG_EEES9_SI_JZNS1_25segmented_radix_sort_implINS0_14default_configELb1EPKiPiPKlPlN2at6native12_GLOBAL__N_18offset_tEEE10hipError_tPvRmT1_PNSt15iterator_traitsIS12_E10value_typeET2_T3_PNS13_IS18_E10value_typeET4_jRbjT5_S1E_jjP12ihipStream_tbEUljE_ZNSN_ISO_Lb1ESQ_SR_ST_SU_SY_EESZ_S10_S11_S12_S16_S17_S18_S1B_S1C_jS1D_jS1E_S1E_jjS1G_bEUljE0_EEESZ_S10_S11_S18_S1C_S1E_T6_T7_T9_mT8_S1G_bDpT10_ENKUlT_T0_E_clISt17integral_constantIbLb1EES1U_EEDaS1P_S1Q_EUlS1P_E_NS1_11comp_targetILNS1_3genE8ELNS1_11target_archE1030ELNS1_3gpuE2ELNS1_3repE0EEENS1_30default_config_static_selectorELNS0_4arch9wavefront6targetE0EEEvS12_,comdat
.Lfunc_end448:
	.size	_ZN7rocprim17ROCPRIM_400000_NS6detail17trampoline_kernelINS0_13select_configILj256ELj13ELNS0_17block_load_methodE3ELS4_3ELS4_3ELNS0_20block_scan_algorithmE0ELj4294967295EEENS1_25partition_config_selectorILNS1_17partition_subalgoE4EjNS0_10empty_typeEbEEZZNS1_14partition_implILS8_4ELb0ES6_15HIP_vector_typeIjLj2EENS0_17counting_iteratorIjlEEPS9_SG_NS0_5tupleIJPjSI_NS0_16reverse_iteratorISI_EEEEENSH_IJSG_SG_SG_EEES9_SI_JZNS1_25segmented_radix_sort_implINS0_14default_configELb1EPKiPiPKlPlN2at6native12_GLOBAL__N_18offset_tEEE10hipError_tPvRmT1_PNSt15iterator_traitsIS12_E10value_typeET2_T3_PNS13_IS18_E10value_typeET4_jRbjT5_S1E_jjP12ihipStream_tbEUljE_ZNSN_ISO_Lb1ESQ_SR_ST_SU_SY_EESZ_S10_S11_S12_S16_S17_S18_S1B_S1C_jS1D_jS1E_S1E_jjS1G_bEUljE0_EEESZ_S10_S11_S18_S1C_S1E_T6_T7_T9_mT8_S1G_bDpT10_ENKUlT_T0_E_clISt17integral_constantIbLb1EES1U_EEDaS1P_S1Q_EUlS1P_E_NS1_11comp_targetILNS1_3genE8ELNS1_11target_archE1030ELNS1_3gpuE2ELNS1_3repE0EEENS1_30default_config_static_selectorELNS0_4arch9wavefront6targetE0EEEvS12_, .Lfunc_end448-_ZN7rocprim17ROCPRIM_400000_NS6detail17trampoline_kernelINS0_13select_configILj256ELj13ELNS0_17block_load_methodE3ELS4_3ELS4_3ELNS0_20block_scan_algorithmE0ELj4294967295EEENS1_25partition_config_selectorILNS1_17partition_subalgoE4EjNS0_10empty_typeEbEEZZNS1_14partition_implILS8_4ELb0ES6_15HIP_vector_typeIjLj2EENS0_17counting_iteratorIjlEEPS9_SG_NS0_5tupleIJPjSI_NS0_16reverse_iteratorISI_EEEEENSH_IJSG_SG_SG_EEES9_SI_JZNS1_25segmented_radix_sort_implINS0_14default_configELb1EPKiPiPKlPlN2at6native12_GLOBAL__N_18offset_tEEE10hipError_tPvRmT1_PNSt15iterator_traitsIS12_E10value_typeET2_T3_PNS13_IS18_E10value_typeET4_jRbjT5_S1E_jjP12ihipStream_tbEUljE_ZNSN_ISO_Lb1ESQ_SR_ST_SU_SY_EESZ_S10_S11_S12_S16_S17_S18_S1B_S1C_jS1D_jS1E_S1E_jjS1G_bEUljE0_EEESZ_S10_S11_S18_S1C_S1E_T6_T7_T9_mT8_S1G_bDpT10_ENKUlT_T0_E_clISt17integral_constantIbLb1EES1U_EEDaS1P_S1Q_EUlS1P_E_NS1_11comp_targetILNS1_3genE8ELNS1_11target_archE1030ELNS1_3gpuE2ELNS1_3repE0EEENS1_30default_config_static_selectorELNS0_4arch9wavefront6targetE0EEEvS12_
                                        ; -- End function
	.set _ZN7rocprim17ROCPRIM_400000_NS6detail17trampoline_kernelINS0_13select_configILj256ELj13ELNS0_17block_load_methodE3ELS4_3ELS4_3ELNS0_20block_scan_algorithmE0ELj4294967295EEENS1_25partition_config_selectorILNS1_17partition_subalgoE4EjNS0_10empty_typeEbEEZZNS1_14partition_implILS8_4ELb0ES6_15HIP_vector_typeIjLj2EENS0_17counting_iteratorIjlEEPS9_SG_NS0_5tupleIJPjSI_NS0_16reverse_iteratorISI_EEEEENSH_IJSG_SG_SG_EEES9_SI_JZNS1_25segmented_radix_sort_implINS0_14default_configELb1EPKiPiPKlPlN2at6native12_GLOBAL__N_18offset_tEEE10hipError_tPvRmT1_PNSt15iterator_traitsIS12_E10value_typeET2_T3_PNS13_IS18_E10value_typeET4_jRbjT5_S1E_jjP12ihipStream_tbEUljE_ZNSN_ISO_Lb1ESQ_SR_ST_SU_SY_EESZ_S10_S11_S12_S16_S17_S18_S1B_S1C_jS1D_jS1E_S1E_jjS1G_bEUljE0_EEESZ_S10_S11_S18_S1C_S1E_T6_T7_T9_mT8_S1G_bDpT10_ENKUlT_T0_E_clISt17integral_constantIbLb1EES1U_EEDaS1P_S1Q_EUlS1P_E_NS1_11comp_targetILNS1_3genE8ELNS1_11target_archE1030ELNS1_3gpuE2ELNS1_3repE0EEENS1_30default_config_static_selectorELNS0_4arch9wavefront6targetE0EEEvS12_.num_vgpr, 0
	.set _ZN7rocprim17ROCPRIM_400000_NS6detail17trampoline_kernelINS0_13select_configILj256ELj13ELNS0_17block_load_methodE3ELS4_3ELS4_3ELNS0_20block_scan_algorithmE0ELj4294967295EEENS1_25partition_config_selectorILNS1_17partition_subalgoE4EjNS0_10empty_typeEbEEZZNS1_14partition_implILS8_4ELb0ES6_15HIP_vector_typeIjLj2EENS0_17counting_iteratorIjlEEPS9_SG_NS0_5tupleIJPjSI_NS0_16reverse_iteratorISI_EEEEENSH_IJSG_SG_SG_EEES9_SI_JZNS1_25segmented_radix_sort_implINS0_14default_configELb1EPKiPiPKlPlN2at6native12_GLOBAL__N_18offset_tEEE10hipError_tPvRmT1_PNSt15iterator_traitsIS12_E10value_typeET2_T3_PNS13_IS18_E10value_typeET4_jRbjT5_S1E_jjP12ihipStream_tbEUljE_ZNSN_ISO_Lb1ESQ_SR_ST_SU_SY_EESZ_S10_S11_S12_S16_S17_S18_S1B_S1C_jS1D_jS1E_S1E_jjS1G_bEUljE0_EEESZ_S10_S11_S18_S1C_S1E_T6_T7_T9_mT8_S1G_bDpT10_ENKUlT_T0_E_clISt17integral_constantIbLb1EES1U_EEDaS1P_S1Q_EUlS1P_E_NS1_11comp_targetILNS1_3genE8ELNS1_11target_archE1030ELNS1_3gpuE2ELNS1_3repE0EEENS1_30default_config_static_selectorELNS0_4arch9wavefront6targetE0EEEvS12_.num_agpr, 0
	.set _ZN7rocprim17ROCPRIM_400000_NS6detail17trampoline_kernelINS0_13select_configILj256ELj13ELNS0_17block_load_methodE3ELS4_3ELS4_3ELNS0_20block_scan_algorithmE0ELj4294967295EEENS1_25partition_config_selectorILNS1_17partition_subalgoE4EjNS0_10empty_typeEbEEZZNS1_14partition_implILS8_4ELb0ES6_15HIP_vector_typeIjLj2EENS0_17counting_iteratorIjlEEPS9_SG_NS0_5tupleIJPjSI_NS0_16reverse_iteratorISI_EEEEENSH_IJSG_SG_SG_EEES9_SI_JZNS1_25segmented_radix_sort_implINS0_14default_configELb1EPKiPiPKlPlN2at6native12_GLOBAL__N_18offset_tEEE10hipError_tPvRmT1_PNSt15iterator_traitsIS12_E10value_typeET2_T3_PNS13_IS18_E10value_typeET4_jRbjT5_S1E_jjP12ihipStream_tbEUljE_ZNSN_ISO_Lb1ESQ_SR_ST_SU_SY_EESZ_S10_S11_S12_S16_S17_S18_S1B_S1C_jS1D_jS1E_S1E_jjS1G_bEUljE0_EEESZ_S10_S11_S18_S1C_S1E_T6_T7_T9_mT8_S1G_bDpT10_ENKUlT_T0_E_clISt17integral_constantIbLb1EES1U_EEDaS1P_S1Q_EUlS1P_E_NS1_11comp_targetILNS1_3genE8ELNS1_11target_archE1030ELNS1_3gpuE2ELNS1_3repE0EEENS1_30default_config_static_selectorELNS0_4arch9wavefront6targetE0EEEvS12_.numbered_sgpr, 0
	.set _ZN7rocprim17ROCPRIM_400000_NS6detail17trampoline_kernelINS0_13select_configILj256ELj13ELNS0_17block_load_methodE3ELS4_3ELS4_3ELNS0_20block_scan_algorithmE0ELj4294967295EEENS1_25partition_config_selectorILNS1_17partition_subalgoE4EjNS0_10empty_typeEbEEZZNS1_14partition_implILS8_4ELb0ES6_15HIP_vector_typeIjLj2EENS0_17counting_iteratorIjlEEPS9_SG_NS0_5tupleIJPjSI_NS0_16reverse_iteratorISI_EEEEENSH_IJSG_SG_SG_EEES9_SI_JZNS1_25segmented_radix_sort_implINS0_14default_configELb1EPKiPiPKlPlN2at6native12_GLOBAL__N_18offset_tEEE10hipError_tPvRmT1_PNSt15iterator_traitsIS12_E10value_typeET2_T3_PNS13_IS18_E10value_typeET4_jRbjT5_S1E_jjP12ihipStream_tbEUljE_ZNSN_ISO_Lb1ESQ_SR_ST_SU_SY_EESZ_S10_S11_S12_S16_S17_S18_S1B_S1C_jS1D_jS1E_S1E_jjS1G_bEUljE0_EEESZ_S10_S11_S18_S1C_S1E_T6_T7_T9_mT8_S1G_bDpT10_ENKUlT_T0_E_clISt17integral_constantIbLb1EES1U_EEDaS1P_S1Q_EUlS1P_E_NS1_11comp_targetILNS1_3genE8ELNS1_11target_archE1030ELNS1_3gpuE2ELNS1_3repE0EEENS1_30default_config_static_selectorELNS0_4arch9wavefront6targetE0EEEvS12_.num_named_barrier, 0
	.set _ZN7rocprim17ROCPRIM_400000_NS6detail17trampoline_kernelINS0_13select_configILj256ELj13ELNS0_17block_load_methodE3ELS4_3ELS4_3ELNS0_20block_scan_algorithmE0ELj4294967295EEENS1_25partition_config_selectorILNS1_17partition_subalgoE4EjNS0_10empty_typeEbEEZZNS1_14partition_implILS8_4ELb0ES6_15HIP_vector_typeIjLj2EENS0_17counting_iteratorIjlEEPS9_SG_NS0_5tupleIJPjSI_NS0_16reverse_iteratorISI_EEEEENSH_IJSG_SG_SG_EEES9_SI_JZNS1_25segmented_radix_sort_implINS0_14default_configELb1EPKiPiPKlPlN2at6native12_GLOBAL__N_18offset_tEEE10hipError_tPvRmT1_PNSt15iterator_traitsIS12_E10value_typeET2_T3_PNS13_IS18_E10value_typeET4_jRbjT5_S1E_jjP12ihipStream_tbEUljE_ZNSN_ISO_Lb1ESQ_SR_ST_SU_SY_EESZ_S10_S11_S12_S16_S17_S18_S1B_S1C_jS1D_jS1E_S1E_jjS1G_bEUljE0_EEESZ_S10_S11_S18_S1C_S1E_T6_T7_T9_mT8_S1G_bDpT10_ENKUlT_T0_E_clISt17integral_constantIbLb1EES1U_EEDaS1P_S1Q_EUlS1P_E_NS1_11comp_targetILNS1_3genE8ELNS1_11target_archE1030ELNS1_3gpuE2ELNS1_3repE0EEENS1_30default_config_static_selectorELNS0_4arch9wavefront6targetE0EEEvS12_.private_seg_size, 0
	.set _ZN7rocprim17ROCPRIM_400000_NS6detail17trampoline_kernelINS0_13select_configILj256ELj13ELNS0_17block_load_methodE3ELS4_3ELS4_3ELNS0_20block_scan_algorithmE0ELj4294967295EEENS1_25partition_config_selectorILNS1_17partition_subalgoE4EjNS0_10empty_typeEbEEZZNS1_14partition_implILS8_4ELb0ES6_15HIP_vector_typeIjLj2EENS0_17counting_iteratorIjlEEPS9_SG_NS0_5tupleIJPjSI_NS0_16reverse_iteratorISI_EEEEENSH_IJSG_SG_SG_EEES9_SI_JZNS1_25segmented_radix_sort_implINS0_14default_configELb1EPKiPiPKlPlN2at6native12_GLOBAL__N_18offset_tEEE10hipError_tPvRmT1_PNSt15iterator_traitsIS12_E10value_typeET2_T3_PNS13_IS18_E10value_typeET4_jRbjT5_S1E_jjP12ihipStream_tbEUljE_ZNSN_ISO_Lb1ESQ_SR_ST_SU_SY_EESZ_S10_S11_S12_S16_S17_S18_S1B_S1C_jS1D_jS1E_S1E_jjS1G_bEUljE0_EEESZ_S10_S11_S18_S1C_S1E_T6_T7_T9_mT8_S1G_bDpT10_ENKUlT_T0_E_clISt17integral_constantIbLb1EES1U_EEDaS1P_S1Q_EUlS1P_E_NS1_11comp_targetILNS1_3genE8ELNS1_11target_archE1030ELNS1_3gpuE2ELNS1_3repE0EEENS1_30default_config_static_selectorELNS0_4arch9wavefront6targetE0EEEvS12_.uses_vcc, 0
	.set _ZN7rocprim17ROCPRIM_400000_NS6detail17trampoline_kernelINS0_13select_configILj256ELj13ELNS0_17block_load_methodE3ELS4_3ELS4_3ELNS0_20block_scan_algorithmE0ELj4294967295EEENS1_25partition_config_selectorILNS1_17partition_subalgoE4EjNS0_10empty_typeEbEEZZNS1_14partition_implILS8_4ELb0ES6_15HIP_vector_typeIjLj2EENS0_17counting_iteratorIjlEEPS9_SG_NS0_5tupleIJPjSI_NS0_16reverse_iteratorISI_EEEEENSH_IJSG_SG_SG_EEES9_SI_JZNS1_25segmented_radix_sort_implINS0_14default_configELb1EPKiPiPKlPlN2at6native12_GLOBAL__N_18offset_tEEE10hipError_tPvRmT1_PNSt15iterator_traitsIS12_E10value_typeET2_T3_PNS13_IS18_E10value_typeET4_jRbjT5_S1E_jjP12ihipStream_tbEUljE_ZNSN_ISO_Lb1ESQ_SR_ST_SU_SY_EESZ_S10_S11_S12_S16_S17_S18_S1B_S1C_jS1D_jS1E_S1E_jjS1G_bEUljE0_EEESZ_S10_S11_S18_S1C_S1E_T6_T7_T9_mT8_S1G_bDpT10_ENKUlT_T0_E_clISt17integral_constantIbLb1EES1U_EEDaS1P_S1Q_EUlS1P_E_NS1_11comp_targetILNS1_3genE8ELNS1_11target_archE1030ELNS1_3gpuE2ELNS1_3repE0EEENS1_30default_config_static_selectorELNS0_4arch9wavefront6targetE0EEEvS12_.uses_flat_scratch, 0
	.set _ZN7rocprim17ROCPRIM_400000_NS6detail17trampoline_kernelINS0_13select_configILj256ELj13ELNS0_17block_load_methodE3ELS4_3ELS4_3ELNS0_20block_scan_algorithmE0ELj4294967295EEENS1_25partition_config_selectorILNS1_17partition_subalgoE4EjNS0_10empty_typeEbEEZZNS1_14partition_implILS8_4ELb0ES6_15HIP_vector_typeIjLj2EENS0_17counting_iteratorIjlEEPS9_SG_NS0_5tupleIJPjSI_NS0_16reverse_iteratorISI_EEEEENSH_IJSG_SG_SG_EEES9_SI_JZNS1_25segmented_radix_sort_implINS0_14default_configELb1EPKiPiPKlPlN2at6native12_GLOBAL__N_18offset_tEEE10hipError_tPvRmT1_PNSt15iterator_traitsIS12_E10value_typeET2_T3_PNS13_IS18_E10value_typeET4_jRbjT5_S1E_jjP12ihipStream_tbEUljE_ZNSN_ISO_Lb1ESQ_SR_ST_SU_SY_EESZ_S10_S11_S12_S16_S17_S18_S1B_S1C_jS1D_jS1E_S1E_jjS1G_bEUljE0_EEESZ_S10_S11_S18_S1C_S1E_T6_T7_T9_mT8_S1G_bDpT10_ENKUlT_T0_E_clISt17integral_constantIbLb1EES1U_EEDaS1P_S1Q_EUlS1P_E_NS1_11comp_targetILNS1_3genE8ELNS1_11target_archE1030ELNS1_3gpuE2ELNS1_3repE0EEENS1_30default_config_static_selectorELNS0_4arch9wavefront6targetE0EEEvS12_.has_dyn_sized_stack, 0
	.set _ZN7rocprim17ROCPRIM_400000_NS6detail17trampoline_kernelINS0_13select_configILj256ELj13ELNS0_17block_load_methodE3ELS4_3ELS4_3ELNS0_20block_scan_algorithmE0ELj4294967295EEENS1_25partition_config_selectorILNS1_17partition_subalgoE4EjNS0_10empty_typeEbEEZZNS1_14partition_implILS8_4ELb0ES6_15HIP_vector_typeIjLj2EENS0_17counting_iteratorIjlEEPS9_SG_NS0_5tupleIJPjSI_NS0_16reverse_iteratorISI_EEEEENSH_IJSG_SG_SG_EEES9_SI_JZNS1_25segmented_radix_sort_implINS0_14default_configELb1EPKiPiPKlPlN2at6native12_GLOBAL__N_18offset_tEEE10hipError_tPvRmT1_PNSt15iterator_traitsIS12_E10value_typeET2_T3_PNS13_IS18_E10value_typeET4_jRbjT5_S1E_jjP12ihipStream_tbEUljE_ZNSN_ISO_Lb1ESQ_SR_ST_SU_SY_EESZ_S10_S11_S12_S16_S17_S18_S1B_S1C_jS1D_jS1E_S1E_jjS1G_bEUljE0_EEESZ_S10_S11_S18_S1C_S1E_T6_T7_T9_mT8_S1G_bDpT10_ENKUlT_T0_E_clISt17integral_constantIbLb1EES1U_EEDaS1P_S1Q_EUlS1P_E_NS1_11comp_targetILNS1_3genE8ELNS1_11target_archE1030ELNS1_3gpuE2ELNS1_3repE0EEENS1_30default_config_static_selectorELNS0_4arch9wavefront6targetE0EEEvS12_.has_recursion, 0
	.set _ZN7rocprim17ROCPRIM_400000_NS6detail17trampoline_kernelINS0_13select_configILj256ELj13ELNS0_17block_load_methodE3ELS4_3ELS4_3ELNS0_20block_scan_algorithmE0ELj4294967295EEENS1_25partition_config_selectorILNS1_17partition_subalgoE4EjNS0_10empty_typeEbEEZZNS1_14partition_implILS8_4ELb0ES6_15HIP_vector_typeIjLj2EENS0_17counting_iteratorIjlEEPS9_SG_NS0_5tupleIJPjSI_NS0_16reverse_iteratorISI_EEEEENSH_IJSG_SG_SG_EEES9_SI_JZNS1_25segmented_radix_sort_implINS0_14default_configELb1EPKiPiPKlPlN2at6native12_GLOBAL__N_18offset_tEEE10hipError_tPvRmT1_PNSt15iterator_traitsIS12_E10value_typeET2_T3_PNS13_IS18_E10value_typeET4_jRbjT5_S1E_jjP12ihipStream_tbEUljE_ZNSN_ISO_Lb1ESQ_SR_ST_SU_SY_EESZ_S10_S11_S12_S16_S17_S18_S1B_S1C_jS1D_jS1E_S1E_jjS1G_bEUljE0_EEESZ_S10_S11_S18_S1C_S1E_T6_T7_T9_mT8_S1G_bDpT10_ENKUlT_T0_E_clISt17integral_constantIbLb1EES1U_EEDaS1P_S1Q_EUlS1P_E_NS1_11comp_targetILNS1_3genE8ELNS1_11target_archE1030ELNS1_3gpuE2ELNS1_3repE0EEENS1_30default_config_static_selectorELNS0_4arch9wavefront6targetE0EEEvS12_.has_indirect_call, 0
	.section	.AMDGPU.csdata,"",@progbits
; Kernel info:
; codeLenInByte = 0
; TotalNumSgprs: 0
; NumVgprs: 0
; ScratchSize: 0
; MemoryBound: 0
; FloatMode: 240
; IeeeMode: 1
; LDSByteSize: 0 bytes/workgroup (compile time only)
; SGPRBlocks: 0
; VGPRBlocks: 0
; NumSGPRsForWavesPerEU: 1
; NumVGPRsForWavesPerEU: 1
; Occupancy: 16
; WaveLimiterHint : 0
; COMPUTE_PGM_RSRC2:SCRATCH_EN: 0
; COMPUTE_PGM_RSRC2:USER_SGPR: 2
; COMPUTE_PGM_RSRC2:TRAP_HANDLER: 0
; COMPUTE_PGM_RSRC2:TGID_X_EN: 1
; COMPUTE_PGM_RSRC2:TGID_Y_EN: 0
; COMPUTE_PGM_RSRC2:TGID_Z_EN: 0
; COMPUTE_PGM_RSRC2:TIDIG_COMP_CNT: 0
	.section	.text._ZN7rocprim17ROCPRIM_400000_NS6detail17trampoline_kernelINS0_13select_configILj256ELj13ELNS0_17block_load_methodE3ELS4_3ELS4_3ELNS0_20block_scan_algorithmE0ELj4294967295EEENS1_25partition_config_selectorILNS1_17partition_subalgoE4EjNS0_10empty_typeEbEEZZNS1_14partition_implILS8_4ELb0ES6_15HIP_vector_typeIjLj2EENS0_17counting_iteratorIjlEEPS9_SG_NS0_5tupleIJPjSI_NS0_16reverse_iteratorISI_EEEEENSH_IJSG_SG_SG_EEES9_SI_JZNS1_25segmented_radix_sort_implINS0_14default_configELb1EPKiPiPKlPlN2at6native12_GLOBAL__N_18offset_tEEE10hipError_tPvRmT1_PNSt15iterator_traitsIS12_E10value_typeET2_T3_PNS13_IS18_E10value_typeET4_jRbjT5_S1E_jjP12ihipStream_tbEUljE_ZNSN_ISO_Lb1ESQ_SR_ST_SU_SY_EESZ_S10_S11_S12_S16_S17_S18_S1B_S1C_jS1D_jS1E_S1E_jjS1G_bEUljE0_EEESZ_S10_S11_S18_S1C_S1E_T6_T7_T9_mT8_S1G_bDpT10_ENKUlT_T0_E_clISt17integral_constantIbLb1EES1T_IbLb0EEEEDaS1P_S1Q_EUlS1P_E_NS1_11comp_targetILNS1_3genE0ELNS1_11target_archE4294967295ELNS1_3gpuE0ELNS1_3repE0EEENS1_30default_config_static_selectorELNS0_4arch9wavefront6targetE0EEEvS12_,"axG",@progbits,_ZN7rocprim17ROCPRIM_400000_NS6detail17trampoline_kernelINS0_13select_configILj256ELj13ELNS0_17block_load_methodE3ELS4_3ELS4_3ELNS0_20block_scan_algorithmE0ELj4294967295EEENS1_25partition_config_selectorILNS1_17partition_subalgoE4EjNS0_10empty_typeEbEEZZNS1_14partition_implILS8_4ELb0ES6_15HIP_vector_typeIjLj2EENS0_17counting_iteratorIjlEEPS9_SG_NS0_5tupleIJPjSI_NS0_16reverse_iteratorISI_EEEEENSH_IJSG_SG_SG_EEES9_SI_JZNS1_25segmented_radix_sort_implINS0_14default_configELb1EPKiPiPKlPlN2at6native12_GLOBAL__N_18offset_tEEE10hipError_tPvRmT1_PNSt15iterator_traitsIS12_E10value_typeET2_T3_PNS13_IS18_E10value_typeET4_jRbjT5_S1E_jjP12ihipStream_tbEUljE_ZNSN_ISO_Lb1ESQ_SR_ST_SU_SY_EESZ_S10_S11_S12_S16_S17_S18_S1B_S1C_jS1D_jS1E_S1E_jjS1G_bEUljE0_EEESZ_S10_S11_S18_S1C_S1E_T6_T7_T9_mT8_S1G_bDpT10_ENKUlT_T0_E_clISt17integral_constantIbLb1EES1T_IbLb0EEEEDaS1P_S1Q_EUlS1P_E_NS1_11comp_targetILNS1_3genE0ELNS1_11target_archE4294967295ELNS1_3gpuE0ELNS1_3repE0EEENS1_30default_config_static_selectorELNS0_4arch9wavefront6targetE0EEEvS12_,comdat
	.globl	_ZN7rocprim17ROCPRIM_400000_NS6detail17trampoline_kernelINS0_13select_configILj256ELj13ELNS0_17block_load_methodE3ELS4_3ELS4_3ELNS0_20block_scan_algorithmE0ELj4294967295EEENS1_25partition_config_selectorILNS1_17partition_subalgoE4EjNS0_10empty_typeEbEEZZNS1_14partition_implILS8_4ELb0ES6_15HIP_vector_typeIjLj2EENS0_17counting_iteratorIjlEEPS9_SG_NS0_5tupleIJPjSI_NS0_16reverse_iteratorISI_EEEEENSH_IJSG_SG_SG_EEES9_SI_JZNS1_25segmented_radix_sort_implINS0_14default_configELb1EPKiPiPKlPlN2at6native12_GLOBAL__N_18offset_tEEE10hipError_tPvRmT1_PNSt15iterator_traitsIS12_E10value_typeET2_T3_PNS13_IS18_E10value_typeET4_jRbjT5_S1E_jjP12ihipStream_tbEUljE_ZNSN_ISO_Lb1ESQ_SR_ST_SU_SY_EESZ_S10_S11_S12_S16_S17_S18_S1B_S1C_jS1D_jS1E_S1E_jjS1G_bEUljE0_EEESZ_S10_S11_S18_S1C_S1E_T6_T7_T9_mT8_S1G_bDpT10_ENKUlT_T0_E_clISt17integral_constantIbLb1EES1T_IbLb0EEEEDaS1P_S1Q_EUlS1P_E_NS1_11comp_targetILNS1_3genE0ELNS1_11target_archE4294967295ELNS1_3gpuE0ELNS1_3repE0EEENS1_30default_config_static_selectorELNS0_4arch9wavefront6targetE0EEEvS12_ ; -- Begin function _ZN7rocprim17ROCPRIM_400000_NS6detail17trampoline_kernelINS0_13select_configILj256ELj13ELNS0_17block_load_methodE3ELS4_3ELS4_3ELNS0_20block_scan_algorithmE0ELj4294967295EEENS1_25partition_config_selectorILNS1_17partition_subalgoE4EjNS0_10empty_typeEbEEZZNS1_14partition_implILS8_4ELb0ES6_15HIP_vector_typeIjLj2EENS0_17counting_iteratorIjlEEPS9_SG_NS0_5tupleIJPjSI_NS0_16reverse_iteratorISI_EEEEENSH_IJSG_SG_SG_EEES9_SI_JZNS1_25segmented_radix_sort_implINS0_14default_configELb1EPKiPiPKlPlN2at6native12_GLOBAL__N_18offset_tEEE10hipError_tPvRmT1_PNSt15iterator_traitsIS12_E10value_typeET2_T3_PNS13_IS18_E10value_typeET4_jRbjT5_S1E_jjP12ihipStream_tbEUljE_ZNSN_ISO_Lb1ESQ_SR_ST_SU_SY_EESZ_S10_S11_S12_S16_S17_S18_S1B_S1C_jS1D_jS1E_S1E_jjS1G_bEUljE0_EEESZ_S10_S11_S18_S1C_S1E_T6_T7_T9_mT8_S1G_bDpT10_ENKUlT_T0_E_clISt17integral_constantIbLb1EES1T_IbLb0EEEEDaS1P_S1Q_EUlS1P_E_NS1_11comp_targetILNS1_3genE0ELNS1_11target_archE4294967295ELNS1_3gpuE0ELNS1_3repE0EEENS1_30default_config_static_selectorELNS0_4arch9wavefront6targetE0EEEvS12_
	.p2align	8
	.type	_ZN7rocprim17ROCPRIM_400000_NS6detail17trampoline_kernelINS0_13select_configILj256ELj13ELNS0_17block_load_methodE3ELS4_3ELS4_3ELNS0_20block_scan_algorithmE0ELj4294967295EEENS1_25partition_config_selectorILNS1_17partition_subalgoE4EjNS0_10empty_typeEbEEZZNS1_14partition_implILS8_4ELb0ES6_15HIP_vector_typeIjLj2EENS0_17counting_iteratorIjlEEPS9_SG_NS0_5tupleIJPjSI_NS0_16reverse_iteratorISI_EEEEENSH_IJSG_SG_SG_EEES9_SI_JZNS1_25segmented_radix_sort_implINS0_14default_configELb1EPKiPiPKlPlN2at6native12_GLOBAL__N_18offset_tEEE10hipError_tPvRmT1_PNSt15iterator_traitsIS12_E10value_typeET2_T3_PNS13_IS18_E10value_typeET4_jRbjT5_S1E_jjP12ihipStream_tbEUljE_ZNSN_ISO_Lb1ESQ_SR_ST_SU_SY_EESZ_S10_S11_S12_S16_S17_S18_S1B_S1C_jS1D_jS1E_S1E_jjS1G_bEUljE0_EEESZ_S10_S11_S18_S1C_S1E_T6_T7_T9_mT8_S1G_bDpT10_ENKUlT_T0_E_clISt17integral_constantIbLb1EES1T_IbLb0EEEEDaS1P_S1Q_EUlS1P_E_NS1_11comp_targetILNS1_3genE0ELNS1_11target_archE4294967295ELNS1_3gpuE0ELNS1_3repE0EEENS1_30default_config_static_selectorELNS0_4arch9wavefront6targetE0EEEvS12_,@function
_ZN7rocprim17ROCPRIM_400000_NS6detail17trampoline_kernelINS0_13select_configILj256ELj13ELNS0_17block_load_methodE3ELS4_3ELS4_3ELNS0_20block_scan_algorithmE0ELj4294967295EEENS1_25partition_config_selectorILNS1_17partition_subalgoE4EjNS0_10empty_typeEbEEZZNS1_14partition_implILS8_4ELb0ES6_15HIP_vector_typeIjLj2EENS0_17counting_iteratorIjlEEPS9_SG_NS0_5tupleIJPjSI_NS0_16reverse_iteratorISI_EEEEENSH_IJSG_SG_SG_EEES9_SI_JZNS1_25segmented_radix_sort_implINS0_14default_configELb1EPKiPiPKlPlN2at6native12_GLOBAL__N_18offset_tEEE10hipError_tPvRmT1_PNSt15iterator_traitsIS12_E10value_typeET2_T3_PNS13_IS18_E10value_typeET4_jRbjT5_S1E_jjP12ihipStream_tbEUljE_ZNSN_ISO_Lb1ESQ_SR_ST_SU_SY_EESZ_S10_S11_S12_S16_S17_S18_S1B_S1C_jS1D_jS1E_S1E_jjS1G_bEUljE0_EEESZ_S10_S11_S18_S1C_S1E_T6_T7_T9_mT8_S1G_bDpT10_ENKUlT_T0_E_clISt17integral_constantIbLb1EES1T_IbLb0EEEEDaS1P_S1Q_EUlS1P_E_NS1_11comp_targetILNS1_3genE0ELNS1_11target_archE4294967295ELNS1_3gpuE0ELNS1_3repE0EEENS1_30default_config_static_selectorELNS0_4arch9wavefront6targetE0EEEvS12_: ; @_ZN7rocprim17ROCPRIM_400000_NS6detail17trampoline_kernelINS0_13select_configILj256ELj13ELNS0_17block_load_methodE3ELS4_3ELS4_3ELNS0_20block_scan_algorithmE0ELj4294967295EEENS1_25partition_config_selectorILNS1_17partition_subalgoE4EjNS0_10empty_typeEbEEZZNS1_14partition_implILS8_4ELb0ES6_15HIP_vector_typeIjLj2EENS0_17counting_iteratorIjlEEPS9_SG_NS0_5tupleIJPjSI_NS0_16reverse_iteratorISI_EEEEENSH_IJSG_SG_SG_EEES9_SI_JZNS1_25segmented_radix_sort_implINS0_14default_configELb1EPKiPiPKlPlN2at6native12_GLOBAL__N_18offset_tEEE10hipError_tPvRmT1_PNSt15iterator_traitsIS12_E10value_typeET2_T3_PNS13_IS18_E10value_typeET4_jRbjT5_S1E_jjP12ihipStream_tbEUljE_ZNSN_ISO_Lb1ESQ_SR_ST_SU_SY_EESZ_S10_S11_S12_S16_S17_S18_S1B_S1C_jS1D_jS1E_S1E_jjS1G_bEUljE0_EEESZ_S10_S11_S18_S1C_S1E_T6_T7_T9_mT8_S1G_bDpT10_ENKUlT_T0_E_clISt17integral_constantIbLb1EES1T_IbLb0EEEEDaS1P_S1Q_EUlS1P_E_NS1_11comp_targetILNS1_3genE0ELNS1_11target_archE4294967295ELNS1_3gpuE0ELNS1_3repE0EEENS1_30default_config_static_selectorELNS0_4arch9wavefront6targetE0EEEvS12_
; %bb.0:
	.section	.rodata,"a",@progbits
	.p2align	6, 0x0
	.amdhsa_kernel _ZN7rocprim17ROCPRIM_400000_NS6detail17trampoline_kernelINS0_13select_configILj256ELj13ELNS0_17block_load_methodE3ELS4_3ELS4_3ELNS0_20block_scan_algorithmE0ELj4294967295EEENS1_25partition_config_selectorILNS1_17partition_subalgoE4EjNS0_10empty_typeEbEEZZNS1_14partition_implILS8_4ELb0ES6_15HIP_vector_typeIjLj2EENS0_17counting_iteratorIjlEEPS9_SG_NS0_5tupleIJPjSI_NS0_16reverse_iteratorISI_EEEEENSH_IJSG_SG_SG_EEES9_SI_JZNS1_25segmented_radix_sort_implINS0_14default_configELb1EPKiPiPKlPlN2at6native12_GLOBAL__N_18offset_tEEE10hipError_tPvRmT1_PNSt15iterator_traitsIS12_E10value_typeET2_T3_PNS13_IS18_E10value_typeET4_jRbjT5_S1E_jjP12ihipStream_tbEUljE_ZNSN_ISO_Lb1ESQ_SR_ST_SU_SY_EESZ_S10_S11_S12_S16_S17_S18_S1B_S1C_jS1D_jS1E_S1E_jjS1G_bEUljE0_EEESZ_S10_S11_S18_S1C_S1E_T6_T7_T9_mT8_S1G_bDpT10_ENKUlT_T0_E_clISt17integral_constantIbLb1EES1T_IbLb0EEEEDaS1P_S1Q_EUlS1P_E_NS1_11comp_targetILNS1_3genE0ELNS1_11target_archE4294967295ELNS1_3gpuE0ELNS1_3repE0EEENS1_30default_config_static_selectorELNS0_4arch9wavefront6targetE0EEEvS12_
		.amdhsa_group_segment_fixed_size 0
		.amdhsa_private_segment_fixed_size 0
		.amdhsa_kernarg_size 176
		.amdhsa_user_sgpr_count 2
		.amdhsa_user_sgpr_dispatch_ptr 0
		.amdhsa_user_sgpr_queue_ptr 0
		.amdhsa_user_sgpr_kernarg_segment_ptr 1
		.amdhsa_user_sgpr_dispatch_id 0
		.amdhsa_user_sgpr_private_segment_size 0
		.amdhsa_wavefront_size32 1
		.amdhsa_uses_dynamic_stack 0
		.amdhsa_enable_private_segment 0
		.amdhsa_system_sgpr_workgroup_id_x 1
		.amdhsa_system_sgpr_workgroup_id_y 0
		.amdhsa_system_sgpr_workgroup_id_z 0
		.amdhsa_system_sgpr_workgroup_info 0
		.amdhsa_system_vgpr_workitem_id 0
		.amdhsa_next_free_vgpr 1
		.amdhsa_next_free_sgpr 1
		.amdhsa_reserve_vcc 0
		.amdhsa_float_round_mode_32 0
		.amdhsa_float_round_mode_16_64 0
		.amdhsa_float_denorm_mode_32 3
		.amdhsa_float_denorm_mode_16_64 3
		.amdhsa_fp16_overflow 0
		.amdhsa_workgroup_processor_mode 1
		.amdhsa_memory_ordered 1
		.amdhsa_forward_progress 1
		.amdhsa_inst_pref_size 0
		.amdhsa_round_robin_scheduling 0
		.amdhsa_exception_fp_ieee_invalid_op 0
		.amdhsa_exception_fp_denorm_src 0
		.amdhsa_exception_fp_ieee_div_zero 0
		.amdhsa_exception_fp_ieee_overflow 0
		.amdhsa_exception_fp_ieee_underflow 0
		.amdhsa_exception_fp_ieee_inexact 0
		.amdhsa_exception_int_div_zero 0
	.end_amdhsa_kernel
	.section	.text._ZN7rocprim17ROCPRIM_400000_NS6detail17trampoline_kernelINS0_13select_configILj256ELj13ELNS0_17block_load_methodE3ELS4_3ELS4_3ELNS0_20block_scan_algorithmE0ELj4294967295EEENS1_25partition_config_selectorILNS1_17partition_subalgoE4EjNS0_10empty_typeEbEEZZNS1_14partition_implILS8_4ELb0ES6_15HIP_vector_typeIjLj2EENS0_17counting_iteratorIjlEEPS9_SG_NS0_5tupleIJPjSI_NS0_16reverse_iteratorISI_EEEEENSH_IJSG_SG_SG_EEES9_SI_JZNS1_25segmented_radix_sort_implINS0_14default_configELb1EPKiPiPKlPlN2at6native12_GLOBAL__N_18offset_tEEE10hipError_tPvRmT1_PNSt15iterator_traitsIS12_E10value_typeET2_T3_PNS13_IS18_E10value_typeET4_jRbjT5_S1E_jjP12ihipStream_tbEUljE_ZNSN_ISO_Lb1ESQ_SR_ST_SU_SY_EESZ_S10_S11_S12_S16_S17_S18_S1B_S1C_jS1D_jS1E_S1E_jjS1G_bEUljE0_EEESZ_S10_S11_S18_S1C_S1E_T6_T7_T9_mT8_S1G_bDpT10_ENKUlT_T0_E_clISt17integral_constantIbLb1EES1T_IbLb0EEEEDaS1P_S1Q_EUlS1P_E_NS1_11comp_targetILNS1_3genE0ELNS1_11target_archE4294967295ELNS1_3gpuE0ELNS1_3repE0EEENS1_30default_config_static_selectorELNS0_4arch9wavefront6targetE0EEEvS12_,"axG",@progbits,_ZN7rocprim17ROCPRIM_400000_NS6detail17trampoline_kernelINS0_13select_configILj256ELj13ELNS0_17block_load_methodE3ELS4_3ELS4_3ELNS0_20block_scan_algorithmE0ELj4294967295EEENS1_25partition_config_selectorILNS1_17partition_subalgoE4EjNS0_10empty_typeEbEEZZNS1_14partition_implILS8_4ELb0ES6_15HIP_vector_typeIjLj2EENS0_17counting_iteratorIjlEEPS9_SG_NS0_5tupleIJPjSI_NS0_16reverse_iteratorISI_EEEEENSH_IJSG_SG_SG_EEES9_SI_JZNS1_25segmented_radix_sort_implINS0_14default_configELb1EPKiPiPKlPlN2at6native12_GLOBAL__N_18offset_tEEE10hipError_tPvRmT1_PNSt15iterator_traitsIS12_E10value_typeET2_T3_PNS13_IS18_E10value_typeET4_jRbjT5_S1E_jjP12ihipStream_tbEUljE_ZNSN_ISO_Lb1ESQ_SR_ST_SU_SY_EESZ_S10_S11_S12_S16_S17_S18_S1B_S1C_jS1D_jS1E_S1E_jjS1G_bEUljE0_EEESZ_S10_S11_S18_S1C_S1E_T6_T7_T9_mT8_S1G_bDpT10_ENKUlT_T0_E_clISt17integral_constantIbLb1EES1T_IbLb0EEEEDaS1P_S1Q_EUlS1P_E_NS1_11comp_targetILNS1_3genE0ELNS1_11target_archE4294967295ELNS1_3gpuE0ELNS1_3repE0EEENS1_30default_config_static_selectorELNS0_4arch9wavefront6targetE0EEEvS12_,comdat
.Lfunc_end449:
	.size	_ZN7rocprim17ROCPRIM_400000_NS6detail17trampoline_kernelINS0_13select_configILj256ELj13ELNS0_17block_load_methodE3ELS4_3ELS4_3ELNS0_20block_scan_algorithmE0ELj4294967295EEENS1_25partition_config_selectorILNS1_17partition_subalgoE4EjNS0_10empty_typeEbEEZZNS1_14partition_implILS8_4ELb0ES6_15HIP_vector_typeIjLj2EENS0_17counting_iteratorIjlEEPS9_SG_NS0_5tupleIJPjSI_NS0_16reverse_iteratorISI_EEEEENSH_IJSG_SG_SG_EEES9_SI_JZNS1_25segmented_radix_sort_implINS0_14default_configELb1EPKiPiPKlPlN2at6native12_GLOBAL__N_18offset_tEEE10hipError_tPvRmT1_PNSt15iterator_traitsIS12_E10value_typeET2_T3_PNS13_IS18_E10value_typeET4_jRbjT5_S1E_jjP12ihipStream_tbEUljE_ZNSN_ISO_Lb1ESQ_SR_ST_SU_SY_EESZ_S10_S11_S12_S16_S17_S18_S1B_S1C_jS1D_jS1E_S1E_jjS1G_bEUljE0_EEESZ_S10_S11_S18_S1C_S1E_T6_T7_T9_mT8_S1G_bDpT10_ENKUlT_T0_E_clISt17integral_constantIbLb1EES1T_IbLb0EEEEDaS1P_S1Q_EUlS1P_E_NS1_11comp_targetILNS1_3genE0ELNS1_11target_archE4294967295ELNS1_3gpuE0ELNS1_3repE0EEENS1_30default_config_static_selectorELNS0_4arch9wavefront6targetE0EEEvS12_, .Lfunc_end449-_ZN7rocprim17ROCPRIM_400000_NS6detail17trampoline_kernelINS0_13select_configILj256ELj13ELNS0_17block_load_methodE3ELS4_3ELS4_3ELNS0_20block_scan_algorithmE0ELj4294967295EEENS1_25partition_config_selectorILNS1_17partition_subalgoE4EjNS0_10empty_typeEbEEZZNS1_14partition_implILS8_4ELb0ES6_15HIP_vector_typeIjLj2EENS0_17counting_iteratorIjlEEPS9_SG_NS0_5tupleIJPjSI_NS0_16reverse_iteratorISI_EEEEENSH_IJSG_SG_SG_EEES9_SI_JZNS1_25segmented_radix_sort_implINS0_14default_configELb1EPKiPiPKlPlN2at6native12_GLOBAL__N_18offset_tEEE10hipError_tPvRmT1_PNSt15iterator_traitsIS12_E10value_typeET2_T3_PNS13_IS18_E10value_typeET4_jRbjT5_S1E_jjP12ihipStream_tbEUljE_ZNSN_ISO_Lb1ESQ_SR_ST_SU_SY_EESZ_S10_S11_S12_S16_S17_S18_S1B_S1C_jS1D_jS1E_S1E_jjS1G_bEUljE0_EEESZ_S10_S11_S18_S1C_S1E_T6_T7_T9_mT8_S1G_bDpT10_ENKUlT_T0_E_clISt17integral_constantIbLb1EES1T_IbLb0EEEEDaS1P_S1Q_EUlS1P_E_NS1_11comp_targetILNS1_3genE0ELNS1_11target_archE4294967295ELNS1_3gpuE0ELNS1_3repE0EEENS1_30default_config_static_selectorELNS0_4arch9wavefront6targetE0EEEvS12_
                                        ; -- End function
	.set _ZN7rocprim17ROCPRIM_400000_NS6detail17trampoline_kernelINS0_13select_configILj256ELj13ELNS0_17block_load_methodE3ELS4_3ELS4_3ELNS0_20block_scan_algorithmE0ELj4294967295EEENS1_25partition_config_selectorILNS1_17partition_subalgoE4EjNS0_10empty_typeEbEEZZNS1_14partition_implILS8_4ELb0ES6_15HIP_vector_typeIjLj2EENS0_17counting_iteratorIjlEEPS9_SG_NS0_5tupleIJPjSI_NS0_16reverse_iteratorISI_EEEEENSH_IJSG_SG_SG_EEES9_SI_JZNS1_25segmented_radix_sort_implINS0_14default_configELb1EPKiPiPKlPlN2at6native12_GLOBAL__N_18offset_tEEE10hipError_tPvRmT1_PNSt15iterator_traitsIS12_E10value_typeET2_T3_PNS13_IS18_E10value_typeET4_jRbjT5_S1E_jjP12ihipStream_tbEUljE_ZNSN_ISO_Lb1ESQ_SR_ST_SU_SY_EESZ_S10_S11_S12_S16_S17_S18_S1B_S1C_jS1D_jS1E_S1E_jjS1G_bEUljE0_EEESZ_S10_S11_S18_S1C_S1E_T6_T7_T9_mT8_S1G_bDpT10_ENKUlT_T0_E_clISt17integral_constantIbLb1EES1T_IbLb0EEEEDaS1P_S1Q_EUlS1P_E_NS1_11comp_targetILNS1_3genE0ELNS1_11target_archE4294967295ELNS1_3gpuE0ELNS1_3repE0EEENS1_30default_config_static_selectorELNS0_4arch9wavefront6targetE0EEEvS12_.num_vgpr, 0
	.set _ZN7rocprim17ROCPRIM_400000_NS6detail17trampoline_kernelINS0_13select_configILj256ELj13ELNS0_17block_load_methodE3ELS4_3ELS4_3ELNS0_20block_scan_algorithmE0ELj4294967295EEENS1_25partition_config_selectorILNS1_17partition_subalgoE4EjNS0_10empty_typeEbEEZZNS1_14partition_implILS8_4ELb0ES6_15HIP_vector_typeIjLj2EENS0_17counting_iteratorIjlEEPS9_SG_NS0_5tupleIJPjSI_NS0_16reverse_iteratorISI_EEEEENSH_IJSG_SG_SG_EEES9_SI_JZNS1_25segmented_radix_sort_implINS0_14default_configELb1EPKiPiPKlPlN2at6native12_GLOBAL__N_18offset_tEEE10hipError_tPvRmT1_PNSt15iterator_traitsIS12_E10value_typeET2_T3_PNS13_IS18_E10value_typeET4_jRbjT5_S1E_jjP12ihipStream_tbEUljE_ZNSN_ISO_Lb1ESQ_SR_ST_SU_SY_EESZ_S10_S11_S12_S16_S17_S18_S1B_S1C_jS1D_jS1E_S1E_jjS1G_bEUljE0_EEESZ_S10_S11_S18_S1C_S1E_T6_T7_T9_mT8_S1G_bDpT10_ENKUlT_T0_E_clISt17integral_constantIbLb1EES1T_IbLb0EEEEDaS1P_S1Q_EUlS1P_E_NS1_11comp_targetILNS1_3genE0ELNS1_11target_archE4294967295ELNS1_3gpuE0ELNS1_3repE0EEENS1_30default_config_static_selectorELNS0_4arch9wavefront6targetE0EEEvS12_.num_agpr, 0
	.set _ZN7rocprim17ROCPRIM_400000_NS6detail17trampoline_kernelINS0_13select_configILj256ELj13ELNS0_17block_load_methodE3ELS4_3ELS4_3ELNS0_20block_scan_algorithmE0ELj4294967295EEENS1_25partition_config_selectorILNS1_17partition_subalgoE4EjNS0_10empty_typeEbEEZZNS1_14partition_implILS8_4ELb0ES6_15HIP_vector_typeIjLj2EENS0_17counting_iteratorIjlEEPS9_SG_NS0_5tupleIJPjSI_NS0_16reverse_iteratorISI_EEEEENSH_IJSG_SG_SG_EEES9_SI_JZNS1_25segmented_radix_sort_implINS0_14default_configELb1EPKiPiPKlPlN2at6native12_GLOBAL__N_18offset_tEEE10hipError_tPvRmT1_PNSt15iterator_traitsIS12_E10value_typeET2_T3_PNS13_IS18_E10value_typeET4_jRbjT5_S1E_jjP12ihipStream_tbEUljE_ZNSN_ISO_Lb1ESQ_SR_ST_SU_SY_EESZ_S10_S11_S12_S16_S17_S18_S1B_S1C_jS1D_jS1E_S1E_jjS1G_bEUljE0_EEESZ_S10_S11_S18_S1C_S1E_T6_T7_T9_mT8_S1G_bDpT10_ENKUlT_T0_E_clISt17integral_constantIbLb1EES1T_IbLb0EEEEDaS1P_S1Q_EUlS1P_E_NS1_11comp_targetILNS1_3genE0ELNS1_11target_archE4294967295ELNS1_3gpuE0ELNS1_3repE0EEENS1_30default_config_static_selectorELNS0_4arch9wavefront6targetE0EEEvS12_.numbered_sgpr, 0
	.set _ZN7rocprim17ROCPRIM_400000_NS6detail17trampoline_kernelINS0_13select_configILj256ELj13ELNS0_17block_load_methodE3ELS4_3ELS4_3ELNS0_20block_scan_algorithmE0ELj4294967295EEENS1_25partition_config_selectorILNS1_17partition_subalgoE4EjNS0_10empty_typeEbEEZZNS1_14partition_implILS8_4ELb0ES6_15HIP_vector_typeIjLj2EENS0_17counting_iteratorIjlEEPS9_SG_NS0_5tupleIJPjSI_NS0_16reverse_iteratorISI_EEEEENSH_IJSG_SG_SG_EEES9_SI_JZNS1_25segmented_radix_sort_implINS0_14default_configELb1EPKiPiPKlPlN2at6native12_GLOBAL__N_18offset_tEEE10hipError_tPvRmT1_PNSt15iterator_traitsIS12_E10value_typeET2_T3_PNS13_IS18_E10value_typeET4_jRbjT5_S1E_jjP12ihipStream_tbEUljE_ZNSN_ISO_Lb1ESQ_SR_ST_SU_SY_EESZ_S10_S11_S12_S16_S17_S18_S1B_S1C_jS1D_jS1E_S1E_jjS1G_bEUljE0_EEESZ_S10_S11_S18_S1C_S1E_T6_T7_T9_mT8_S1G_bDpT10_ENKUlT_T0_E_clISt17integral_constantIbLb1EES1T_IbLb0EEEEDaS1P_S1Q_EUlS1P_E_NS1_11comp_targetILNS1_3genE0ELNS1_11target_archE4294967295ELNS1_3gpuE0ELNS1_3repE0EEENS1_30default_config_static_selectorELNS0_4arch9wavefront6targetE0EEEvS12_.num_named_barrier, 0
	.set _ZN7rocprim17ROCPRIM_400000_NS6detail17trampoline_kernelINS0_13select_configILj256ELj13ELNS0_17block_load_methodE3ELS4_3ELS4_3ELNS0_20block_scan_algorithmE0ELj4294967295EEENS1_25partition_config_selectorILNS1_17partition_subalgoE4EjNS0_10empty_typeEbEEZZNS1_14partition_implILS8_4ELb0ES6_15HIP_vector_typeIjLj2EENS0_17counting_iteratorIjlEEPS9_SG_NS0_5tupleIJPjSI_NS0_16reverse_iteratorISI_EEEEENSH_IJSG_SG_SG_EEES9_SI_JZNS1_25segmented_radix_sort_implINS0_14default_configELb1EPKiPiPKlPlN2at6native12_GLOBAL__N_18offset_tEEE10hipError_tPvRmT1_PNSt15iterator_traitsIS12_E10value_typeET2_T3_PNS13_IS18_E10value_typeET4_jRbjT5_S1E_jjP12ihipStream_tbEUljE_ZNSN_ISO_Lb1ESQ_SR_ST_SU_SY_EESZ_S10_S11_S12_S16_S17_S18_S1B_S1C_jS1D_jS1E_S1E_jjS1G_bEUljE0_EEESZ_S10_S11_S18_S1C_S1E_T6_T7_T9_mT8_S1G_bDpT10_ENKUlT_T0_E_clISt17integral_constantIbLb1EES1T_IbLb0EEEEDaS1P_S1Q_EUlS1P_E_NS1_11comp_targetILNS1_3genE0ELNS1_11target_archE4294967295ELNS1_3gpuE0ELNS1_3repE0EEENS1_30default_config_static_selectorELNS0_4arch9wavefront6targetE0EEEvS12_.private_seg_size, 0
	.set _ZN7rocprim17ROCPRIM_400000_NS6detail17trampoline_kernelINS0_13select_configILj256ELj13ELNS0_17block_load_methodE3ELS4_3ELS4_3ELNS0_20block_scan_algorithmE0ELj4294967295EEENS1_25partition_config_selectorILNS1_17partition_subalgoE4EjNS0_10empty_typeEbEEZZNS1_14partition_implILS8_4ELb0ES6_15HIP_vector_typeIjLj2EENS0_17counting_iteratorIjlEEPS9_SG_NS0_5tupleIJPjSI_NS0_16reverse_iteratorISI_EEEEENSH_IJSG_SG_SG_EEES9_SI_JZNS1_25segmented_radix_sort_implINS0_14default_configELb1EPKiPiPKlPlN2at6native12_GLOBAL__N_18offset_tEEE10hipError_tPvRmT1_PNSt15iterator_traitsIS12_E10value_typeET2_T3_PNS13_IS18_E10value_typeET4_jRbjT5_S1E_jjP12ihipStream_tbEUljE_ZNSN_ISO_Lb1ESQ_SR_ST_SU_SY_EESZ_S10_S11_S12_S16_S17_S18_S1B_S1C_jS1D_jS1E_S1E_jjS1G_bEUljE0_EEESZ_S10_S11_S18_S1C_S1E_T6_T7_T9_mT8_S1G_bDpT10_ENKUlT_T0_E_clISt17integral_constantIbLb1EES1T_IbLb0EEEEDaS1P_S1Q_EUlS1P_E_NS1_11comp_targetILNS1_3genE0ELNS1_11target_archE4294967295ELNS1_3gpuE0ELNS1_3repE0EEENS1_30default_config_static_selectorELNS0_4arch9wavefront6targetE0EEEvS12_.uses_vcc, 0
	.set _ZN7rocprim17ROCPRIM_400000_NS6detail17trampoline_kernelINS0_13select_configILj256ELj13ELNS0_17block_load_methodE3ELS4_3ELS4_3ELNS0_20block_scan_algorithmE0ELj4294967295EEENS1_25partition_config_selectorILNS1_17partition_subalgoE4EjNS0_10empty_typeEbEEZZNS1_14partition_implILS8_4ELb0ES6_15HIP_vector_typeIjLj2EENS0_17counting_iteratorIjlEEPS9_SG_NS0_5tupleIJPjSI_NS0_16reverse_iteratorISI_EEEEENSH_IJSG_SG_SG_EEES9_SI_JZNS1_25segmented_radix_sort_implINS0_14default_configELb1EPKiPiPKlPlN2at6native12_GLOBAL__N_18offset_tEEE10hipError_tPvRmT1_PNSt15iterator_traitsIS12_E10value_typeET2_T3_PNS13_IS18_E10value_typeET4_jRbjT5_S1E_jjP12ihipStream_tbEUljE_ZNSN_ISO_Lb1ESQ_SR_ST_SU_SY_EESZ_S10_S11_S12_S16_S17_S18_S1B_S1C_jS1D_jS1E_S1E_jjS1G_bEUljE0_EEESZ_S10_S11_S18_S1C_S1E_T6_T7_T9_mT8_S1G_bDpT10_ENKUlT_T0_E_clISt17integral_constantIbLb1EES1T_IbLb0EEEEDaS1P_S1Q_EUlS1P_E_NS1_11comp_targetILNS1_3genE0ELNS1_11target_archE4294967295ELNS1_3gpuE0ELNS1_3repE0EEENS1_30default_config_static_selectorELNS0_4arch9wavefront6targetE0EEEvS12_.uses_flat_scratch, 0
	.set _ZN7rocprim17ROCPRIM_400000_NS6detail17trampoline_kernelINS0_13select_configILj256ELj13ELNS0_17block_load_methodE3ELS4_3ELS4_3ELNS0_20block_scan_algorithmE0ELj4294967295EEENS1_25partition_config_selectorILNS1_17partition_subalgoE4EjNS0_10empty_typeEbEEZZNS1_14partition_implILS8_4ELb0ES6_15HIP_vector_typeIjLj2EENS0_17counting_iteratorIjlEEPS9_SG_NS0_5tupleIJPjSI_NS0_16reverse_iteratorISI_EEEEENSH_IJSG_SG_SG_EEES9_SI_JZNS1_25segmented_radix_sort_implINS0_14default_configELb1EPKiPiPKlPlN2at6native12_GLOBAL__N_18offset_tEEE10hipError_tPvRmT1_PNSt15iterator_traitsIS12_E10value_typeET2_T3_PNS13_IS18_E10value_typeET4_jRbjT5_S1E_jjP12ihipStream_tbEUljE_ZNSN_ISO_Lb1ESQ_SR_ST_SU_SY_EESZ_S10_S11_S12_S16_S17_S18_S1B_S1C_jS1D_jS1E_S1E_jjS1G_bEUljE0_EEESZ_S10_S11_S18_S1C_S1E_T6_T7_T9_mT8_S1G_bDpT10_ENKUlT_T0_E_clISt17integral_constantIbLb1EES1T_IbLb0EEEEDaS1P_S1Q_EUlS1P_E_NS1_11comp_targetILNS1_3genE0ELNS1_11target_archE4294967295ELNS1_3gpuE0ELNS1_3repE0EEENS1_30default_config_static_selectorELNS0_4arch9wavefront6targetE0EEEvS12_.has_dyn_sized_stack, 0
	.set _ZN7rocprim17ROCPRIM_400000_NS6detail17trampoline_kernelINS0_13select_configILj256ELj13ELNS0_17block_load_methodE3ELS4_3ELS4_3ELNS0_20block_scan_algorithmE0ELj4294967295EEENS1_25partition_config_selectorILNS1_17partition_subalgoE4EjNS0_10empty_typeEbEEZZNS1_14partition_implILS8_4ELb0ES6_15HIP_vector_typeIjLj2EENS0_17counting_iteratorIjlEEPS9_SG_NS0_5tupleIJPjSI_NS0_16reverse_iteratorISI_EEEEENSH_IJSG_SG_SG_EEES9_SI_JZNS1_25segmented_radix_sort_implINS0_14default_configELb1EPKiPiPKlPlN2at6native12_GLOBAL__N_18offset_tEEE10hipError_tPvRmT1_PNSt15iterator_traitsIS12_E10value_typeET2_T3_PNS13_IS18_E10value_typeET4_jRbjT5_S1E_jjP12ihipStream_tbEUljE_ZNSN_ISO_Lb1ESQ_SR_ST_SU_SY_EESZ_S10_S11_S12_S16_S17_S18_S1B_S1C_jS1D_jS1E_S1E_jjS1G_bEUljE0_EEESZ_S10_S11_S18_S1C_S1E_T6_T7_T9_mT8_S1G_bDpT10_ENKUlT_T0_E_clISt17integral_constantIbLb1EES1T_IbLb0EEEEDaS1P_S1Q_EUlS1P_E_NS1_11comp_targetILNS1_3genE0ELNS1_11target_archE4294967295ELNS1_3gpuE0ELNS1_3repE0EEENS1_30default_config_static_selectorELNS0_4arch9wavefront6targetE0EEEvS12_.has_recursion, 0
	.set _ZN7rocprim17ROCPRIM_400000_NS6detail17trampoline_kernelINS0_13select_configILj256ELj13ELNS0_17block_load_methodE3ELS4_3ELS4_3ELNS0_20block_scan_algorithmE0ELj4294967295EEENS1_25partition_config_selectorILNS1_17partition_subalgoE4EjNS0_10empty_typeEbEEZZNS1_14partition_implILS8_4ELb0ES6_15HIP_vector_typeIjLj2EENS0_17counting_iteratorIjlEEPS9_SG_NS0_5tupleIJPjSI_NS0_16reverse_iteratorISI_EEEEENSH_IJSG_SG_SG_EEES9_SI_JZNS1_25segmented_radix_sort_implINS0_14default_configELb1EPKiPiPKlPlN2at6native12_GLOBAL__N_18offset_tEEE10hipError_tPvRmT1_PNSt15iterator_traitsIS12_E10value_typeET2_T3_PNS13_IS18_E10value_typeET4_jRbjT5_S1E_jjP12ihipStream_tbEUljE_ZNSN_ISO_Lb1ESQ_SR_ST_SU_SY_EESZ_S10_S11_S12_S16_S17_S18_S1B_S1C_jS1D_jS1E_S1E_jjS1G_bEUljE0_EEESZ_S10_S11_S18_S1C_S1E_T6_T7_T9_mT8_S1G_bDpT10_ENKUlT_T0_E_clISt17integral_constantIbLb1EES1T_IbLb0EEEEDaS1P_S1Q_EUlS1P_E_NS1_11comp_targetILNS1_3genE0ELNS1_11target_archE4294967295ELNS1_3gpuE0ELNS1_3repE0EEENS1_30default_config_static_selectorELNS0_4arch9wavefront6targetE0EEEvS12_.has_indirect_call, 0
	.section	.AMDGPU.csdata,"",@progbits
; Kernel info:
; codeLenInByte = 0
; TotalNumSgprs: 0
; NumVgprs: 0
; ScratchSize: 0
; MemoryBound: 0
; FloatMode: 240
; IeeeMode: 1
; LDSByteSize: 0 bytes/workgroup (compile time only)
; SGPRBlocks: 0
; VGPRBlocks: 0
; NumSGPRsForWavesPerEU: 1
; NumVGPRsForWavesPerEU: 1
; Occupancy: 16
; WaveLimiterHint : 0
; COMPUTE_PGM_RSRC2:SCRATCH_EN: 0
; COMPUTE_PGM_RSRC2:USER_SGPR: 2
; COMPUTE_PGM_RSRC2:TRAP_HANDLER: 0
; COMPUTE_PGM_RSRC2:TGID_X_EN: 1
; COMPUTE_PGM_RSRC2:TGID_Y_EN: 0
; COMPUTE_PGM_RSRC2:TGID_Z_EN: 0
; COMPUTE_PGM_RSRC2:TIDIG_COMP_CNT: 0
	.section	.text._ZN7rocprim17ROCPRIM_400000_NS6detail17trampoline_kernelINS0_13select_configILj256ELj13ELNS0_17block_load_methodE3ELS4_3ELS4_3ELNS0_20block_scan_algorithmE0ELj4294967295EEENS1_25partition_config_selectorILNS1_17partition_subalgoE4EjNS0_10empty_typeEbEEZZNS1_14partition_implILS8_4ELb0ES6_15HIP_vector_typeIjLj2EENS0_17counting_iteratorIjlEEPS9_SG_NS0_5tupleIJPjSI_NS0_16reverse_iteratorISI_EEEEENSH_IJSG_SG_SG_EEES9_SI_JZNS1_25segmented_radix_sort_implINS0_14default_configELb1EPKiPiPKlPlN2at6native12_GLOBAL__N_18offset_tEEE10hipError_tPvRmT1_PNSt15iterator_traitsIS12_E10value_typeET2_T3_PNS13_IS18_E10value_typeET4_jRbjT5_S1E_jjP12ihipStream_tbEUljE_ZNSN_ISO_Lb1ESQ_SR_ST_SU_SY_EESZ_S10_S11_S12_S16_S17_S18_S1B_S1C_jS1D_jS1E_S1E_jjS1G_bEUljE0_EEESZ_S10_S11_S18_S1C_S1E_T6_T7_T9_mT8_S1G_bDpT10_ENKUlT_T0_E_clISt17integral_constantIbLb1EES1T_IbLb0EEEEDaS1P_S1Q_EUlS1P_E_NS1_11comp_targetILNS1_3genE5ELNS1_11target_archE942ELNS1_3gpuE9ELNS1_3repE0EEENS1_30default_config_static_selectorELNS0_4arch9wavefront6targetE0EEEvS12_,"axG",@progbits,_ZN7rocprim17ROCPRIM_400000_NS6detail17trampoline_kernelINS0_13select_configILj256ELj13ELNS0_17block_load_methodE3ELS4_3ELS4_3ELNS0_20block_scan_algorithmE0ELj4294967295EEENS1_25partition_config_selectorILNS1_17partition_subalgoE4EjNS0_10empty_typeEbEEZZNS1_14partition_implILS8_4ELb0ES6_15HIP_vector_typeIjLj2EENS0_17counting_iteratorIjlEEPS9_SG_NS0_5tupleIJPjSI_NS0_16reverse_iteratorISI_EEEEENSH_IJSG_SG_SG_EEES9_SI_JZNS1_25segmented_radix_sort_implINS0_14default_configELb1EPKiPiPKlPlN2at6native12_GLOBAL__N_18offset_tEEE10hipError_tPvRmT1_PNSt15iterator_traitsIS12_E10value_typeET2_T3_PNS13_IS18_E10value_typeET4_jRbjT5_S1E_jjP12ihipStream_tbEUljE_ZNSN_ISO_Lb1ESQ_SR_ST_SU_SY_EESZ_S10_S11_S12_S16_S17_S18_S1B_S1C_jS1D_jS1E_S1E_jjS1G_bEUljE0_EEESZ_S10_S11_S18_S1C_S1E_T6_T7_T9_mT8_S1G_bDpT10_ENKUlT_T0_E_clISt17integral_constantIbLb1EES1T_IbLb0EEEEDaS1P_S1Q_EUlS1P_E_NS1_11comp_targetILNS1_3genE5ELNS1_11target_archE942ELNS1_3gpuE9ELNS1_3repE0EEENS1_30default_config_static_selectorELNS0_4arch9wavefront6targetE0EEEvS12_,comdat
	.globl	_ZN7rocprim17ROCPRIM_400000_NS6detail17trampoline_kernelINS0_13select_configILj256ELj13ELNS0_17block_load_methodE3ELS4_3ELS4_3ELNS0_20block_scan_algorithmE0ELj4294967295EEENS1_25partition_config_selectorILNS1_17partition_subalgoE4EjNS0_10empty_typeEbEEZZNS1_14partition_implILS8_4ELb0ES6_15HIP_vector_typeIjLj2EENS0_17counting_iteratorIjlEEPS9_SG_NS0_5tupleIJPjSI_NS0_16reverse_iteratorISI_EEEEENSH_IJSG_SG_SG_EEES9_SI_JZNS1_25segmented_radix_sort_implINS0_14default_configELb1EPKiPiPKlPlN2at6native12_GLOBAL__N_18offset_tEEE10hipError_tPvRmT1_PNSt15iterator_traitsIS12_E10value_typeET2_T3_PNS13_IS18_E10value_typeET4_jRbjT5_S1E_jjP12ihipStream_tbEUljE_ZNSN_ISO_Lb1ESQ_SR_ST_SU_SY_EESZ_S10_S11_S12_S16_S17_S18_S1B_S1C_jS1D_jS1E_S1E_jjS1G_bEUljE0_EEESZ_S10_S11_S18_S1C_S1E_T6_T7_T9_mT8_S1G_bDpT10_ENKUlT_T0_E_clISt17integral_constantIbLb1EES1T_IbLb0EEEEDaS1P_S1Q_EUlS1P_E_NS1_11comp_targetILNS1_3genE5ELNS1_11target_archE942ELNS1_3gpuE9ELNS1_3repE0EEENS1_30default_config_static_selectorELNS0_4arch9wavefront6targetE0EEEvS12_ ; -- Begin function _ZN7rocprim17ROCPRIM_400000_NS6detail17trampoline_kernelINS0_13select_configILj256ELj13ELNS0_17block_load_methodE3ELS4_3ELS4_3ELNS0_20block_scan_algorithmE0ELj4294967295EEENS1_25partition_config_selectorILNS1_17partition_subalgoE4EjNS0_10empty_typeEbEEZZNS1_14partition_implILS8_4ELb0ES6_15HIP_vector_typeIjLj2EENS0_17counting_iteratorIjlEEPS9_SG_NS0_5tupleIJPjSI_NS0_16reverse_iteratorISI_EEEEENSH_IJSG_SG_SG_EEES9_SI_JZNS1_25segmented_radix_sort_implINS0_14default_configELb1EPKiPiPKlPlN2at6native12_GLOBAL__N_18offset_tEEE10hipError_tPvRmT1_PNSt15iterator_traitsIS12_E10value_typeET2_T3_PNS13_IS18_E10value_typeET4_jRbjT5_S1E_jjP12ihipStream_tbEUljE_ZNSN_ISO_Lb1ESQ_SR_ST_SU_SY_EESZ_S10_S11_S12_S16_S17_S18_S1B_S1C_jS1D_jS1E_S1E_jjS1G_bEUljE0_EEESZ_S10_S11_S18_S1C_S1E_T6_T7_T9_mT8_S1G_bDpT10_ENKUlT_T0_E_clISt17integral_constantIbLb1EES1T_IbLb0EEEEDaS1P_S1Q_EUlS1P_E_NS1_11comp_targetILNS1_3genE5ELNS1_11target_archE942ELNS1_3gpuE9ELNS1_3repE0EEENS1_30default_config_static_selectorELNS0_4arch9wavefront6targetE0EEEvS12_
	.p2align	8
	.type	_ZN7rocprim17ROCPRIM_400000_NS6detail17trampoline_kernelINS0_13select_configILj256ELj13ELNS0_17block_load_methodE3ELS4_3ELS4_3ELNS0_20block_scan_algorithmE0ELj4294967295EEENS1_25partition_config_selectorILNS1_17partition_subalgoE4EjNS0_10empty_typeEbEEZZNS1_14partition_implILS8_4ELb0ES6_15HIP_vector_typeIjLj2EENS0_17counting_iteratorIjlEEPS9_SG_NS0_5tupleIJPjSI_NS0_16reverse_iteratorISI_EEEEENSH_IJSG_SG_SG_EEES9_SI_JZNS1_25segmented_radix_sort_implINS0_14default_configELb1EPKiPiPKlPlN2at6native12_GLOBAL__N_18offset_tEEE10hipError_tPvRmT1_PNSt15iterator_traitsIS12_E10value_typeET2_T3_PNS13_IS18_E10value_typeET4_jRbjT5_S1E_jjP12ihipStream_tbEUljE_ZNSN_ISO_Lb1ESQ_SR_ST_SU_SY_EESZ_S10_S11_S12_S16_S17_S18_S1B_S1C_jS1D_jS1E_S1E_jjS1G_bEUljE0_EEESZ_S10_S11_S18_S1C_S1E_T6_T7_T9_mT8_S1G_bDpT10_ENKUlT_T0_E_clISt17integral_constantIbLb1EES1T_IbLb0EEEEDaS1P_S1Q_EUlS1P_E_NS1_11comp_targetILNS1_3genE5ELNS1_11target_archE942ELNS1_3gpuE9ELNS1_3repE0EEENS1_30default_config_static_selectorELNS0_4arch9wavefront6targetE0EEEvS12_,@function
_ZN7rocprim17ROCPRIM_400000_NS6detail17trampoline_kernelINS0_13select_configILj256ELj13ELNS0_17block_load_methodE3ELS4_3ELS4_3ELNS0_20block_scan_algorithmE0ELj4294967295EEENS1_25partition_config_selectorILNS1_17partition_subalgoE4EjNS0_10empty_typeEbEEZZNS1_14partition_implILS8_4ELb0ES6_15HIP_vector_typeIjLj2EENS0_17counting_iteratorIjlEEPS9_SG_NS0_5tupleIJPjSI_NS0_16reverse_iteratorISI_EEEEENSH_IJSG_SG_SG_EEES9_SI_JZNS1_25segmented_radix_sort_implINS0_14default_configELb1EPKiPiPKlPlN2at6native12_GLOBAL__N_18offset_tEEE10hipError_tPvRmT1_PNSt15iterator_traitsIS12_E10value_typeET2_T3_PNS13_IS18_E10value_typeET4_jRbjT5_S1E_jjP12ihipStream_tbEUljE_ZNSN_ISO_Lb1ESQ_SR_ST_SU_SY_EESZ_S10_S11_S12_S16_S17_S18_S1B_S1C_jS1D_jS1E_S1E_jjS1G_bEUljE0_EEESZ_S10_S11_S18_S1C_S1E_T6_T7_T9_mT8_S1G_bDpT10_ENKUlT_T0_E_clISt17integral_constantIbLb1EES1T_IbLb0EEEEDaS1P_S1Q_EUlS1P_E_NS1_11comp_targetILNS1_3genE5ELNS1_11target_archE942ELNS1_3gpuE9ELNS1_3repE0EEENS1_30default_config_static_selectorELNS0_4arch9wavefront6targetE0EEEvS12_: ; @_ZN7rocprim17ROCPRIM_400000_NS6detail17trampoline_kernelINS0_13select_configILj256ELj13ELNS0_17block_load_methodE3ELS4_3ELS4_3ELNS0_20block_scan_algorithmE0ELj4294967295EEENS1_25partition_config_selectorILNS1_17partition_subalgoE4EjNS0_10empty_typeEbEEZZNS1_14partition_implILS8_4ELb0ES6_15HIP_vector_typeIjLj2EENS0_17counting_iteratorIjlEEPS9_SG_NS0_5tupleIJPjSI_NS0_16reverse_iteratorISI_EEEEENSH_IJSG_SG_SG_EEES9_SI_JZNS1_25segmented_radix_sort_implINS0_14default_configELb1EPKiPiPKlPlN2at6native12_GLOBAL__N_18offset_tEEE10hipError_tPvRmT1_PNSt15iterator_traitsIS12_E10value_typeET2_T3_PNS13_IS18_E10value_typeET4_jRbjT5_S1E_jjP12ihipStream_tbEUljE_ZNSN_ISO_Lb1ESQ_SR_ST_SU_SY_EESZ_S10_S11_S12_S16_S17_S18_S1B_S1C_jS1D_jS1E_S1E_jjS1G_bEUljE0_EEESZ_S10_S11_S18_S1C_S1E_T6_T7_T9_mT8_S1G_bDpT10_ENKUlT_T0_E_clISt17integral_constantIbLb1EES1T_IbLb0EEEEDaS1P_S1Q_EUlS1P_E_NS1_11comp_targetILNS1_3genE5ELNS1_11target_archE942ELNS1_3gpuE9ELNS1_3repE0EEENS1_30default_config_static_selectorELNS0_4arch9wavefront6targetE0EEEvS12_
; %bb.0:
	.section	.rodata,"a",@progbits
	.p2align	6, 0x0
	.amdhsa_kernel _ZN7rocprim17ROCPRIM_400000_NS6detail17trampoline_kernelINS0_13select_configILj256ELj13ELNS0_17block_load_methodE3ELS4_3ELS4_3ELNS0_20block_scan_algorithmE0ELj4294967295EEENS1_25partition_config_selectorILNS1_17partition_subalgoE4EjNS0_10empty_typeEbEEZZNS1_14partition_implILS8_4ELb0ES6_15HIP_vector_typeIjLj2EENS0_17counting_iteratorIjlEEPS9_SG_NS0_5tupleIJPjSI_NS0_16reverse_iteratorISI_EEEEENSH_IJSG_SG_SG_EEES9_SI_JZNS1_25segmented_radix_sort_implINS0_14default_configELb1EPKiPiPKlPlN2at6native12_GLOBAL__N_18offset_tEEE10hipError_tPvRmT1_PNSt15iterator_traitsIS12_E10value_typeET2_T3_PNS13_IS18_E10value_typeET4_jRbjT5_S1E_jjP12ihipStream_tbEUljE_ZNSN_ISO_Lb1ESQ_SR_ST_SU_SY_EESZ_S10_S11_S12_S16_S17_S18_S1B_S1C_jS1D_jS1E_S1E_jjS1G_bEUljE0_EEESZ_S10_S11_S18_S1C_S1E_T6_T7_T9_mT8_S1G_bDpT10_ENKUlT_T0_E_clISt17integral_constantIbLb1EES1T_IbLb0EEEEDaS1P_S1Q_EUlS1P_E_NS1_11comp_targetILNS1_3genE5ELNS1_11target_archE942ELNS1_3gpuE9ELNS1_3repE0EEENS1_30default_config_static_selectorELNS0_4arch9wavefront6targetE0EEEvS12_
		.amdhsa_group_segment_fixed_size 0
		.amdhsa_private_segment_fixed_size 0
		.amdhsa_kernarg_size 176
		.amdhsa_user_sgpr_count 2
		.amdhsa_user_sgpr_dispatch_ptr 0
		.amdhsa_user_sgpr_queue_ptr 0
		.amdhsa_user_sgpr_kernarg_segment_ptr 1
		.amdhsa_user_sgpr_dispatch_id 0
		.amdhsa_user_sgpr_private_segment_size 0
		.amdhsa_wavefront_size32 1
		.amdhsa_uses_dynamic_stack 0
		.amdhsa_enable_private_segment 0
		.amdhsa_system_sgpr_workgroup_id_x 1
		.amdhsa_system_sgpr_workgroup_id_y 0
		.amdhsa_system_sgpr_workgroup_id_z 0
		.amdhsa_system_sgpr_workgroup_info 0
		.amdhsa_system_vgpr_workitem_id 0
		.amdhsa_next_free_vgpr 1
		.amdhsa_next_free_sgpr 1
		.amdhsa_reserve_vcc 0
		.amdhsa_float_round_mode_32 0
		.amdhsa_float_round_mode_16_64 0
		.amdhsa_float_denorm_mode_32 3
		.amdhsa_float_denorm_mode_16_64 3
		.amdhsa_fp16_overflow 0
		.amdhsa_workgroup_processor_mode 1
		.amdhsa_memory_ordered 1
		.amdhsa_forward_progress 1
		.amdhsa_inst_pref_size 0
		.amdhsa_round_robin_scheduling 0
		.amdhsa_exception_fp_ieee_invalid_op 0
		.amdhsa_exception_fp_denorm_src 0
		.amdhsa_exception_fp_ieee_div_zero 0
		.amdhsa_exception_fp_ieee_overflow 0
		.amdhsa_exception_fp_ieee_underflow 0
		.amdhsa_exception_fp_ieee_inexact 0
		.amdhsa_exception_int_div_zero 0
	.end_amdhsa_kernel
	.section	.text._ZN7rocprim17ROCPRIM_400000_NS6detail17trampoline_kernelINS0_13select_configILj256ELj13ELNS0_17block_load_methodE3ELS4_3ELS4_3ELNS0_20block_scan_algorithmE0ELj4294967295EEENS1_25partition_config_selectorILNS1_17partition_subalgoE4EjNS0_10empty_typeEbEEZZNS1_14partition_implILS8_4ELb0ES6_15HIP_vector_typeIjLj2EENS0_17counting_iteratorIjlEEPS9_SG_NS0_5tupleIJPjSI_NS0_16reverse_iteratorISI_EEEEENSH_IJSG_SG_SG_EEES9_SI_JZNS1_25segmented_radix_sort_implINS0_14default_configELb1EPKiPiPKlPlN2at6native12_GLOBAL__N_18offset_tEEE10hipError_tPvRmT1_PNSt15iterator_traitsIS12_E10value_typeET2_T3_PNS13_IS18_E10value_typeET4_jRbjT5_S1E_jjP12ihipStream_tbEUljE_ZNSN_ISO_Lb1ESQ_SR_ST_SU_SY_EESZ_S10_S11_S12_S16_S17_S18_S1B_S1C_jS1D_jS1E_S1E_jjS1G_bEUljE0_EEESZ_S10_S11_S18_S1C_S1E_T6_T7_T9_mT8_S1G_bDpT10_ENKUlT_T0_E_clISt17integral_constantIbLb1EES1T_IbLb0EEEEDaS1P_S1Q_EUlS1P_E_NS1_11comp_targetILNS1_3genE5ELNS1_11target_archE942ELNS1_3gpuE9ELNS1_3repE0EEENS1_30default_config_static_selectorELNS0_4arch9wavefront6targetE0EEEvS12_,"axG",@progbits,_ZN7rocprim17ROCPRIM_400000_NS6detail17trampoline_kernelINS0_13select_configILj256ELj13ELNS0_17block_load_methodE3ELS4_3ELS4_3ELNS0_20block_scan_algorithmE0ELj4294967295EEENS1_25partition_config_selectorILNS1_17partition_subalgoE4EjNS0_10empty_typeEbEEZZNS1_14partition_implILS8_4ELb0ES6_15HIP_vector_typeIjLj2EENS0_17counting_iteratorIjlEEPS9_SG_NS0_5tupleIJPjSI_NS0_16reverse_iteratorISI_EEEEENSH_IJSG_SG_SG_EEES9_SI_JZNS1_25segmented_radix_sort_implINS0_14default_configELb1EPKiPiPKlPlN2at6native12_GLOBAL__N_18offset_tEEE10hipError_tPvRmT1_PNSt15iterator_traitsIS12_E10value_typeET2_T3_PNS13_IS18_E10value_typeET4_jRbjT5_S1E_jjP12ihipStream_tbEUljE_ZNSN_ISO_Lb1ESQ_SR_ST_SU_SY_EESZ_S10_S11_S12_S16_S17_S18_S1B_S1C_jS1D_jS1E_S1E_jjS1G_bEUljE0_EEESZ_S10_S11_S18_S1C_S1E_T6_T7_T9_mT8_S1G_bDpT10_ENKUlT_T0_E_clISt17integral_constantIbLb1EES1T_IbLb0EEEEDaS1P_S1Q_EUlS1P_E_NS1_11comp_targetILNS1_3genE5ELNS1_11target_archE942ELNS1_3gpuE9ELNS1_3repE0EEENS1_30default_config_static_selectorELNS0_4arch9wavefront6targetE0EEEvS12_,comdat
.Lfunc_end450:
	.size	_ZN7rocprim17ROCPRIM_400000_NS6detail17trampoline_kernelINS0_13select_configILj256ELj13ELNS0_17block_load_methodE3ELS4_3ELS4_3ELNS0_20block_scan_algorithmE0ELj4294967295EEENS1_25partition_config_selectorILNS1_17partition_subalgoE4EjNS0_10empty_typeEbEEZZNS1_14partition_implILS8_4ELb0ES6_15HIP_vector_typeIjLj2EENS0_17counting_iteratorIjlEEPS9_SG_NS0_5tupleIJPjSI_NS0_16reverse_iteratorISI_EEEEENSH_IJSG_SG_SG_EEES9_SI_JZNS1_25segmented_radix_sort_implINS0_14default_configELb1EPKiPiPKlPlN2at6native12_GLOBAL__N_18offset_tEEE10hipError_tPvRmT1_PNSt15iterator_traitsIS12_E10value_typeET2_T3_PNS13_IS18_E10value_typeET4_jRbjT5_S1E_jjP12ihipStream_tbEUljE_ZNSN_ISO_Lb1ESQ_SR_ST_SU_SY_EESZ_S10_S11_S12_S16_S17_S18_S1B_S1C_jS1D_jS1E_S1E_jjS1G_bEUljE0_EEESZ_S10_S11_S18_S1C_S1E_T6_T7_T9_mT8_S1G_bDpT10_ENKUlT_T0_E_clISt17integral_constantIbLb1EES1T_IbLb0EEEEDaS1P_S1Q_EUlS1P_E_NS1_11comp_targetILNS1_3genE5ELNS1_11target_archE942ELNS1_3gpuE9ELNS1_3repE0EEENS1_30default_config_static_selectorELNS0_4arch9wavefront6targetE0EEEvS12_, .Lfunc_end450-_ZN7rocprim17ROCPRIM_400000_NS6detail17trampoline_kernelINS0_13select_configILj256ELj13ELNS0_17block_load_methodE3ELS4_3ELS4_3ELNS0_20block_scan_algorithmE0ELj4294967295EEENS1_25partition_config_selectorILNS1_17partition_subalgoE4EjNS0_10empty_typeEbEEZZNS1_14partition_implILS8_4ELb0ES6_15HIP_vector_typeIjLj2EENS0_17counting_iteratorIjlEEPS9_SG_NS0_5tupleIJPjSI_NS0_16reverse_iteratorISI_EEEEENSH_IJSG_SG_SG_EEES9_SI_JZNS1_25segmented_radix_sort_implINS0_14default_configELb1EPKiPiPKlPlN2at6native12_GLOBAL__N_18offset_tEEE10hipError_tPvRmT1_PNSt15iterator_traitsIS12_E10value_typeET2_T3_PNS13_IS18_E10value_typeET4_jRbjT5_S1E_jjP12ihipStream_tbEUljE_ZNSN_ISO_Lb1ESQ_SR_ST_SU_SY_EESZ_S10_S11_S12_S16_S17_S18_S1B_S1C_jS1D_jS1E_S1E_jjS1G_bEUljE0_EEESZ_S10_S11_S18_S1C_S1E_T6_T7_T9_mT8_S1G_bDpT10_ENKUlT_T0_E_clISt17integral_constantIbLb1EES1T_IbLb0EEEEDaS1P_S1Q_EUlS1P_E_NS1_11comp_targetILNS1_3genE5ELNS1_11target_archE942ELNS1_3gpuE9ELNS1_3repE0EEENS1_30default_config_static_selectorELNS0_4arch9wavefront6targetE0EEEvS12_
                                        ; -- End function
	.set _ZN7rocprim17ROCPRIM_400000_NS6detail17trampoline_kernelINS0_13select_configILj256ELj13ELNS0_17block_load_methodE3ELS4_3ELS4_3ELNS0_20block_scan_algorithmE0ELj4294967295EEENS1_25partition_config_selectorILNS1_17partition_subalgoE4EjNS0_10empty_typeEbEEZZNS1_14partition_implILS8_4ELb0ES6_15HIP_vector_typeIjLj2EENS0_17counting_iteratorIjlEEPS9_SG_NS0_5tupleIJPjSI_NS0_16reverse_iteratorISI_EEEEENSH_IJSG_SG_SG_EEES9_SI_JZNS1_25segmented_radix_sort_implINS0_14default_configELb1EPKiPiPKlPlN2at6native12_GLOBAL__N_18offset_tEEE10hipError_tPvRmT1_PNSt15iterator_traitsIS12_E10value_typeET2_T3_PNS13_IS18_E10value_typeET4_jRbjT5_S1E_jjP12ihipStream_tbEUljE_ZNSN_ISO_Lb1ESQ_SR_ST_SU_SY_EESZ_S10_S11_S12_S16_S17_S18_S1B_S1C_jS1D_jS1E_S1E_jjS1G_bEUljE0_EEESZ_S10_S11_S18_S1C_S1E_T6_T7_T9_mT8_S1G_bDpT10_ENKUlT_T0_E_clISt17integral_constantIbLb1EES1T_IbLb0EEEEDaS1P_S1Q_EUlS1P_E_NS1_11comp_targetILNS1_3genE5ELNS1_11target_archE942ELNS1_3gpuE9ELNS1_3repE0EEENS1_30default_config_static_selectorELNS0_4arch9wavefront6targetE0EEEvS12_.num_vgpr, 0
	.set _ZN7rocprim17ROCPRIM_400000_NS6detail17trampoline_kernelINS0_13select_configILj256ELj13ELNS0_17block_load_methodE3ELS4_3ELS4_3ELNS0_20block_scan_algorithmE0ELj4294967295EEENS1_25partition_config_selectorILNS1_17partition_subalgoE4EjNS0_10empty_typeEbEEZZNS1_14partition_implILS8_4ELb0ES6_15HIP_vector_typeIjLj2EENS0_17counting_iteratorIjlEEPS9_SG_NS0_5tupleIJPjSI_NS0_16reverse_iteratorISI_EEEEENSH_IJSG_SG_SG_EEES9_SI_JZNS1_25segmented_radix_sort_implINS0_14default_configELb1EPKiPiPKlPlN2at6native12_GLOBAL__N_18offset_tEEE10hipError_tPvRmT1_PNSt15iterator_traitsIS12_E10value_typeET2_T3_PNS13_IS18_E10value_typeET4_jRbjT5_S1E_jjP12ihipStream_tbEUljE_ZNSN_ISO_Lb1ESQ_SR_ST_SU_SY_EESZ_S10_S11_S12_S16_S17_S18_S1B_S1C_jS1D_jS1E_S1E_jjS1G_bEUljE0_EEESZ_S10_S11_S18_S1C_S1E_T6_T7_T9_mT8_S1G_bDpT10_ENKUlT_T0_E_clISt17integral_constantIbLb1EES1T_IbLb0EEEEDaS1P_S1Q_EUlS1P_E_NS1_11comp_targetILNS1_3genE5ELNS1_11target_archE942ELNS1_3gpuE9ELNS1_3repE0EEENS1_30default_config_static_selectorELNS0_4arch9wavefront6targetE0EEEvS12_.num_agpr, 0
	.set _ZN7rocprim17ROCPRIM_400000_NS6detail17trampoline_kernelINS0_13select_configILj256ELj13ELNS0_17block_load_methodE3ELS4_3ELS4_3ELNS0_20block_scan_algorithmE0ELj4294967295EEENS1_25partition_config_selectorILNS1_17partition_subalgoE4EjNS0_10empty_typeEbEEZZNS1_14partition_implILS8_4ELb0ES6_15HIP_vector_typeIjLj2EENS0_17counting_iteratorIjlEEPS9_SG_NS0_5tupleIJPjSI_NS0_16reverse_iteratorISI_EEEEENSH_IJSG_SG_SG_EEES9_SI_JZNS1_25segmented_radix_sort_implINS0_14default_configELb1EPKiPiPKlPlN2at6native12_GLOBAL__N_18offset_tEEE10hipError_tPvRmT1_PNSt15iterator_traitsIS12_E10value_typeET2_T3_PNS13_IS18_E10value_typeET4_jRbjT5_S1E_jjP12ihipStream_tbEUljE_ZNSN_ISO_Lb1ESQ_SR_ST_SU_SY_EESZ_S10_S11_S12_S16_S17_S18_S1B_S1C_jS1D_jS1E_S1E_jjS1G_bEUljE0_EEESZ_S10_S11_S18_S1C_S1E_T6_T7_T9_mT8_S1G_bDpT10_ENKUlT_T0_E_clISt17integral_constantIbLb1EES1T_IbLb0EEEEDaS1P_S1Q_EUlS1P_E_NS1_11comp_targetILNS1_3genE5ELNS1_11target_archE942ELNS1_3gpuE9ELNS1_3repE0EEENS1_30default_config_static_selectorELNS0_4arch9wavefront6targetE0EEEvS12_.numbered_sgpr, 0
	.set _ZN7rocprim17ROCPRIM_400000_NS6detail17trampoline_kernelINS0_13select_configILj256ELj13ELNS0_17block_load_methodE3ELS4_3ELS4_3ELNS0_20block_scan_algorithmE0ELj4294967295EEENS1_25partition_config_selectorILNS1_17partition_subalgoE4EjNS0_10empty_typeEbEEZZNS1_14partition_implILS8_4ELb0ES6_15HIP_vector_typeIjLj2EENS0_17counting_iteratorIjlEEPS9_SG_NS0_5tupleIJPjSI_NS0_16reverse_iteratorISI_EEEEENSH_IJSG_SG_SG_EEES9_SI_JZNS1_25segmented_radix_sort_implINS0_14default_configELb1EPKiPiPKlPlN2at6native12_GLOBAL__N_18offset_tEEE10hipError_tPvRmT1_PNSt15iterator_traitsIS12_E10value_typeET2_T3_PNS13_IS18_E10value_typeET4_jRbjT5_S1E_jjP12ihipStream_tbEUljE_ZNSN_ISO_Lb1ESQ_SR_ST_SU_SY_EESZ_S10_S11_S12_S16_S17_S18_S1B_S1C_jS1D_jS1E_S1E_jjS1G_bEUljE0_EEESZ_S10_S11_S18_S1C_S1E_T6_T7_T9_mT8_S1G_bDpT10_ENKUlT_T0_E_clISt17integral_constantIbLb1EES1T_IbLb0EEEEDaS1P_S1Q_EUlS1P_E_NS1_11comp_targetILNS1_3genE5ELNS1_11target_archE942ELNS1_3gpuE9ELNS1_3repE0EEENS1_30default_config_static_selectorELNS0_4arch9wavefront6targetE0EEEvS12_.num_named_barrier, 0
	.set _ZN7rocprim17ROCPRIM_400000_NS6detail17trampoline_kernelINS0_13select_configILj256ELj13ELNS0_17block_load_methodE3ELS4_3ELS4_3ELNS0_20block_scan_algorithmE0ELj4294967295EEENS1_25partition_config_selectorILNS1_17partition_subalgoE4EjNS0_10empty_typeEbEEZZNS1_14partition_implILS8_4ELb0ES6_15HIP_vector_typeIjLj2EENS0_17counting_iteratorIjlEEPS9_SG_NS0_5tupleIJPjSI_NS0_16reverse_iteratorISI_EEEEENSH_IJSG_SG_SG_EEES9_SI_JZNS1_25segmented_radix_sort_implINS0_14default_configELb1EPKiPiPKlPlN2at6native12_GLOBAL__N_18offset_tEEE10hipError_tPvRmT1_PNSt15iterator_traitsIS12_E10value_typeET2_T3_PNS13_IS18_E10value_typeET4_jRbjT5_S1E_jjP12ihipStream_tbEUljE_ZNSN_ISO_Lb1ESQ_SR_ST_SU_SY_EESZ_S10_S11_S12_S16_S17_S18_S1B_S1C_jS1D_jS1E_S1E_jjS1G_bEUljE0_EEESZ_S10_S11_S18_S1C_S1E_T6_T7_T9_mT8_S1G_bDpT10_ENKUlT_T0_E_clISt17integral_constantIbLb1EES1T_IbLb0EEEEDaS1P_S1Q_EUlS1P_E_NS1_11comp_targetILNS1_3genE5ELNS1_11target_archE942ELNS1_3gpuE9ELNS1_3repE0EEENS1_30default_config_static_selectorELNS0_4arch9wavefront6targetE0EEEvS12_.private_seg_size, 0
	.set _ZN7rocprim17ROCPRIM_400000_NS6detail17trampoline_kernelINS0_13select_configILj256ELj13ELNS0_17block_load_methodE3ELS4_3ELS4_3ELNS0_20block_scan_algorithmE0ELj4294967295EEENS1_25partition_config_selectorILNS1_17partition_subalgoE4EjNS0_10empty_typeEbEEZZNS1_14partition_implILS8_4ELb0ES6_15HIP_vector_typeIjLj2EENS0_17counting_iteratorIjlEEPS9_SG_NS0_5tupleIJPjSI_NS0_16reverse_iteratorISI_EEEEENSH_IJSG_SG_SG_EEES9_SI_JZNS1_25segmented_radix_sort_implINS0_14default_configELb1EPKiPiPKlPlN2at6native12_GLOBAL__N_18offset_tEEE10hipError_tPvRmT1_PNSt15iterator_traitsIS12_E10value_typeET2_T3_PNS13_IS18_E10value_typeET4_jRbjT5_S1E_jjP12ihipStream_tbEUljE_ZNSN_ISO_Lb1ESQ_SR_ST_SU_SY_EESZ_S10_S11_S12_S16_S17_S18_S1B_S1C_jS1D_jS1E_S1E_jjS1G_bEUljE0_EEESZ_S10_S11_S18_S1C_S1E_T6_T7_T9_mT8_S1G_bDpT10_ENKUlT_T0_E_clISt17integral_constantIbLb1EES1T_IbLb0EEEEDaS1P_S1Q_EUlS1P_E_NS1_11comp_targetILNS1_3genE5ELNS1_11target_archE942ELNS1_3gpuE9ELNS1_3repE0EEENS1_30default_config_static_selectorELNS0_4arch9wavefront6targetE0EEEvS12_.uses_vcc, 0
	.set _ZN7rocprim17ROCPRIM_400000_NS6detail17trampoline_kernelINS0_13select_configILj256ELj13ELNS0_17block_load_methodE3ELS4_3ELS4_3ELNS0_20block_scan_algorithmE0ELj4294967295EEENS1_25partition_config_selectorILNS1_17partition_subalgoE4EjNS0_10empty_typeEbEEZZNS1_14partition_implILS8_4ELb0ES6_15HIP_vector_typeIjLj2EENS0_17counting_iteratorIjlEEPS9_SG_NS0_5tupleIJPjSI_NS0_16reverse_iteratorISI_EEEEENSH_IJSG_SG_SG_EEES9_SI_JZNS1_25segmented_radix_sort_implINS0_14default_configELb1EPKiPiPKlPlN2at6native12_GLOBAL__N_18offset_tEEE10hipError_tPvRmT1_PNSt15iterator_traitsIS12_E10value_typeET2_T3_PNS13_IS18_E10value_typeET4_jRbjT5_S1E_jjP12ihipStream_tbEUljE_ZNSN_ISO_Lb1ESQ_SR_ST_SU_SY_EESZ_S10_S11_S12_S16_S17_S18_S1B_S1C_jS1D_jS1E_S1E_jjS1G_bEUljE0_EEESZ_S10_S11_S18_S1C_S1E_T6_T7_T9_mT8_S1G_bDpT10_ENKUlT_T0_E_clISt17integral_constantIbLb1EES1T_IbLb0EEEEDaS1P_S1Q_EUlS1P_E_NS1_11comp_targetILNS1_3genE5ELNS1_11target_archE942ELNS1_3gpuE9ELNS1_3repE0EEENS1_30default_config_static_selectorELNS0_4arch9wavefront6targetE0EEEvS12_.uses_flat_scratch, 0
	.set _ZN7rocprim17ROCPRIM_400000_NS6detail17trampoline_kernelINS0_13select_configILj256ELj13ELNS0_17block_load_methodE3ELS4_3ELS4_3ELNS0_20block_scan_algorithmE0ELj4294967295EEENS1_25partition_config_selectorILNS1_17partition_subalgoE4EjNS0_10empty_typeEbEEZZNS1_14partition_implILS8_4ELb0ES6_15HIP_vector_typeIjLj2EENS0_17counting_iteratorIjlEEPS9_SG_NS0_5tupleIJPjSI_NS0_16reverse_iteratorISI_EEEEENSH_IJSG_SG_SG_EEES9_SI_JZNS1_25segmented_radix_sort_implINS0_14default_configELb1EPKiPiPKlPlN2at6native12_GLOBAL__N_18offset_tEEE10hipError_tPvRmT1_PNSt15iterator_traitsIS12_E10value_typeET2_T3_PNS13_IS18_E10value_typeET4_jRbjT5_S1E_jjP12ihipStream_tbEUljE_ZNSN_ISO_Lb1ESQ_SR_ST_SU_SY_EESZ_S10_S11_S12_S16_S17_S18_S1B_S1C_jS1D_jS1E_S1E_jjS1G_bEUljE0_EEESZ_S10_S11_S18_S1C_S1E_T6_T7_T9_mT8_S1G_bDpT10_ENKUlT_T0_E_clISt17integral_constantIbLb1EES1T_IbLb0EEEEDaS1P_S1Q_EUlS1P_E_NS1_11comp_targetILNS1_3genE5ELNS1_11target_archE942ELNS1_3gpuE9ELNS1_3repE0EEENS1_30default_config_static_selectorELNS0_4arch9wavefront6targetE0EEEvS12_.has_dyn_sized_stack, 0
	.set _ZN7rocprim17ROCPRIM_400000_NS6detail17trampoline_kernelINS0_13select_configILj256ELj13ELNS0_17block_load_methodE3ELS4_3ELS4_3ELNS0_20block_scan_algorithmE0ELj4294967295EEENS1_25partition_config_selectorILNS1_17partition_subalgoE4EjNS0_10empty_typeEbEEZZNS1_14partition_implILS8_4ELb0ES6_15HIP_vector_typeIjLj2EENS0_17counting_iteratorIjlEEPS9_SG_NS0_5tupleIJPjSI_NS0_16reverse_iteratorISI_EEEEENSH_IJSG_SG_SG_EEES9_SI_JZNS1_25segmented_radix_sort_implINS0_14default_configELb1EPKiPiPKlPlN2at6native12_GLOBAL__N_18offset_tEEE10hipError_tPvRmT1_PNSt15iterator_traitsIS12_E10value_typeET2_T3_PNS13_IS18_E10value_typeET4_jRbjT5_S1E_jjP12ihipStream_tbEUljE_ZNSN_ISO_Lb1ESQ_SR_ST_SU_SY_EESZ_S10_S11_S12_S16_S17_S18_S1B_S1C_jS1D_jS1E_S1E_jjS1G_bEUljE0_EEESZ_S10_S11_S18_S1C_S1E_T6_T7_T9_mT8_S1G_bDpT10_ENKUlT_T0_E_clISt17integral_constantIbLb1EES1T_IbLb0EEEEDaS1P_S1Q_EUlS1P_E_NS1_11comp_targetILNS1_3genE5ELNS1_11target_archE942ELNS1_3gpuE9ELNS1_3repE0EEENS1_30default_config_static_selectorELNS0_4arch9wavefront6targetE0EEEvS12_.has_recursion, 0
	.set _ZN7rocprim17ROCPRIM_400000_NS6detail17trampoline_kernelINS0_13select_configILj256ELj13ELNS0_17block_load_methodE3ELS4_3ELS4_3ELNS0_20block_scan_algorithmE0ELj4294967295EEENS1_25partition_config_selectorILNS1_17partition_subalgoE4EjNS0_10empty_typeEbEEZZNS1_14partition_implILS8_4ELb0ES6_15HIP_vector_typeIjLj2EENS0_17counting_iteratorIjlEEPS9_SG_NS0_5tupleIJPjSI_NS0_16reverse_iteratorISI_EEEEENSH_IJSG_SG_SG_EEES9_SI_JZNS1_25segmented_radix_sort_implINS0_14default_configELb1EPKiPiPKlPlN2at6native12_GLOBAL__N_18offset_tEEE10hipError_tPvRmT1_PNSt15iterator_traitsIS12_E10value_typeET2_T3_PNS13_IS18_E10value_typeET4_jRbjT5_S1E_jjP12ihipStream_tbEUljE_ZNSN_ISO_Lb1ESQ_SR_ST_SU_SY_EESZ_S10_S11_S12_S16_S17_S18_S1B_S1C_jS1D_jS1E_S1E_jjS1G_bEUljE0_EEESZ_S10_S11_S18_S1C_S1E_T6_T7_T9_mT8_S1G_bDpT10_ENKUlT_T0_E_clISt17integral_constantIbLb1EES1T_IbLb0EEEEDaS1P_S1Q_EUlS1P_E_NS1_11comp_targetILNS1_3genE5ELNS1_11target_archE942ELNS1_3gpuE9ELNS1_3repE0EEENS1_30default_config_static_selectorELNS0_4arch9wavefront6targetE0EEEvS12_.has_indirect_call, 0
	.section	.AMDGPU.csdata,"",@progbits
; Kernel info:
; codeLenInByte = 0
; TotalNumSgprs: 0
; NumVgprs: 0
; ScratchSize: 0
; MemoryBound: 0
; FloatMode: 240
; IeeeMode: 1
; LDSByteSize: 0 bytes/workgroup (compile time only)
; SGPRBlocks: 0
; VGPRBlocks: 0
; NumSGPRsForWavesPerEU: 1
; NumVGPRsForWavesPerEU: 1
; Occupancy: 16
; WaveLimiterHint : 0
; COMPUTE_PGM_RSRC2:SCRATCH_EN: 0
; COMPUTE_PGM_RSRC2:USER_SGPR: 2
; COMPUTE_PGM_RSRC2:TRAP_HANDLER: 0
; COMPUTE_PGM_RSRC2:TGID_X_EN: 1
; COMPUTE_PGM_RSRC2:TGID_Y_EN: 0
; COMPUTE_PGM_RSRC2:TGID_Z_EN: 0
; COMPUTE_PGM_RSRC2:TIDIG_COMP_CNT: 0
	.section	.text._ZN7rocprim17ROCPRIM_400000_NS6detail17trampoline_kernelINS0_13select_configILj256ELj13ELNS0_17block_load_methodE3ELS4_3ELS4_3ELNS0_20block_scan_algorithmE0ELj4294967295EEENS1_25partition_config_selectorILNS1_17partition_subalgoE4EjNS0_10empty_typeEbEEZZNS1_14partition_implILS8_4ELb0ES6_15HIP_vector_typeIjLj2EENS0_17counting_iteratorIjlEEPS9_SG_NS0_5tupleIJPjSI_NS0_16reverse_iteratorISI_EEEEENSH_IJSG_SG_SG_EEES9_SI_JZNS1_25segmented_radix_sort_implINS0_14default_configELb1EPKiPiPKlPlN2at6native12_GLOBAL__N_18offset_tEEE10hipError_tPvRmT1_PNSt15iterator_traitsIS12_E10value_typeET2_T3_PNS13_IS18_E10value_typeET4_jRbjT5_S1E_jjP12ihipStream_tbEUljE_ZNSN_ISO_Lb1ESQ_SR_ST_SU_SY_EESZ_S10_S11_S12_S16_S17_S18_S1B_S1C_jS1D_jS1E_S1E_jjS1G_bEUljE0_EEESZ_S10_S11_S18_S1C_S1E_T6_T7_T9_mT8_S1G_bDpT10_ENKUlT_T0_E_clISt17integral_constantIbLb1EES1T_IbLb0EEEEDaS1P_S1Q_EUlS1P_E_NS1_11comp_targetILNS1_3genE4ELNS1_11target_archE910ELNS1_3gpuE8ELNS1_3repE0EEENS1_30default_config_static_selectorELNS0_4arch9wavefront6targetE0EEEvS12_,"axG",@progbits,_ZN7rocprim17ROCPRIM_400000_NS6detail17trampoline_kernelINS0_13select_configILj256ELj13ELNS0_17block_load_methodE3ELS4_3ELS4_3ELNS0_20block_scan_algorithmE0ELj4294967295EEENS1_25partition_config_selectorILNS1_17partition_subalgoE4EjNS0_10empty_typeEbEEZZNS1_14partition_implILS8_4ELb0ES6_15HIP_vector_typeIjLj2EENS0_17counting_iteratorIjlEEPS9_SG_NS0_5tupleIJPjSI_NS0_16reverse_iteratorISI_EEEEENSH_IJSG_SG_SG_EEES9_SI_JZNS1_25segmented_radix_sort_implINS0_14default_configELb1EPKiPiPKlPlN2at6native12_GLOBAL__N_18offset_tEEE10hipError_tPvRmT1_PNSt15iterator_traitsIS12_E10value_typeET2_T3_PNS13_IS18_E10value_typeET4_jRbjT5_S1E_jjP12ihipStream_tbEUljE_ZNSN_ISO_Lb1ESQ_SR_ST_SU_SY_EESZ_S10_S11_S12_S16_S17_S18_S1B_S1C_jS1D_jS1E_S1E_jjS1G_bEUljE0_EEESZ_S10_S11_S18_S1C_S1E_T6_T7_T9_mT8_S1G_bDpT10_ENKUlT_T0_E_clISt17integral_constantIbLb1EES1T_IbLb0EEEEDaS1P_S1Q_EUlS1P_E_NS1_11comp_targetILNS1_3genE4ELNS1_11target_archE910ELNS1_3gpuE8ELNS1_3repE0EEENS1_30default_config_static_selectorELNS0_4arch9wavefront6targetE0EEEvS12_,comdat
	.globl	_ZN7rocprim17ROCPRIM_400000_NS6detail17trampoline_kernelINS0_13select_configILj256ELj13ELNS0_17block_load_methodE3ELS4_3ELS4_3ELNS0_20block_scan_algorithmE0ELj4294967295EEENS1_25partition_config_selectorILNS1_17partition_subalgoE4EjNS0_10empty_typeEbEEZZNS1_14partition_implILS8_4ELb0ES6_15HIP_vector_typeIjLj2EENS0_17counting_iteratorIjlEEPS9_SG_NS0_5tupleIJPjSI_NS0_16reverse_iteratorISI_EEEEENSH_IJSG_SG_SG_EEES9_SI_JZNS1_25segmented_radix_sort_implINS0_14default_configELb1EPKiPiPKlPlN2at6native12_GLOBAL__N_18offset_tEEE10hipError_tPvRmT1_PNSt15iterator_traitsIS12_E10value_typeET2_T3_PNS13_IS18_E10value_typeET4_jRbjT5_S1E_jjP12ihipStream_tbEUljE_ZNSN_ISO_Lb1ESQ_SR_ST_SU_SY_EESZ_S10_S11_S12_S16_S17_S18_S1B_S1C_jS1D_jS1E_S1E_jjS1G_bEUljE0_EEESZ_S10_S11_S18_S1C_S1E_T6_T7_T9_mT8_S1G_bDpT10_ENKUlT_T0_E_clISt17integral_constantIbLb1EES1T_IbLb0EEEEDaS1P_S1Q_EUlS1P_E_NS1_11comp_targetILNS1_3genE4ELNS1_11target_archE910ELNS1_3gpuE8ELNS1_3repE0EEENS1_30default_config_static_selectorELNS0_4arch9wavefront6targetE0EEEvS12_ ; -- Begin function _ZN7rocprim17ROCPRIM_400000_NS6detail17trampoline_kernelINS0_13select_configILj256ELj13ELNS0_17block_load_methodE3ELS4_3ELS4_3ELNS0_20block_scan_algorithmE0ELj4294967295EEENS1_25partition_config_selectorILNS1_17partition_subalgoE4EjNS0_10empty_typeEbEEZZNS1_14partition_implILS8_4ELb0ES6_15HIP_vector_typeIjLj2EENS0_17counting_iteratorIjlEEPS9_SG_NS0_5tupleIJPjSI_NS0_16reverse_iteratorISI_EEEEENSH_IJSG_SG_SG_EEES9_SI_JZNS1_25segmented_radix_sort_implINS0_14default_configELb1EPKiPiPKlPlN2at6native12_GLOBAL__N_18offset_tEEE10hipError_tPvRmT1_PNSt15iterator_traitsIS12_E10value_typeET2_T3_PNS13_IS18_E10value_typeET4_jRbjT5_S1E_jjP12ihipStream_tbEUljE_ZNSN_ISO_Lb1ESQ_SR_ST_SU_SY_EESZ_S10_S11_S12_S16_S17_S18_S1B_S1C_jS1D_jS1E_S1E_jjS1G_bEUljE0_EEESZ_S10_S11_S18_S1C_S1E_T6_T7_T9_mT8_S1G_bDpT10_ENKUlT_T0_E_clISt17integral_constantIbLb1EES1T_IbLb0EEEEDaS1P_S1Q_EUlS1P_E_NS1_11comp_targetILNS1_3genE4ELNS1_11target_archE910ELNS1_3gpuE8ELNS1_3repE0EEENS1_30default_config_static_selectorELNS0_4arch9wavefront6targetE0EEEvS12_
	.p2align	8
	.type	_ZN7rocprim17ROCPRIM_400000_NS6detail17trampoline_kernelINS0_13select_configILj256ELj13ELNS0_17block_load_methodE3ELS4_3ELS4_3ELNS0_20block_scan_algorithmE0ELj4294967295EEENS1_25partition_config_selectorILNS1_17partition_subalgoE4EjNS0_10empty_typeEbEEZZNS1_14partition_implILS8_4ELb0ES6_15HIP_vector_typeIjLj2EENS0_17counting_iteratorIjlEEPS9_SG_NS0_5tupleIJPjSI_NS0_16reverse_iteratorISI_EEEEENSH_IJSG_SG_SG_EEES9_SI_JZNS1_25segmented_radix_sort_implINS0_14default_configELb1EPKiPiPKlPlN2at6native12_GLOBAL__N_18offset_tEEE10hipError_tPvRmT1_PNSt15iterator_traitsIS12_E10value_typeET2_T3_PNS13_IS18_E10value_typeET4_jRbjT5_S1E_jjP12ihipStream_tbEUljE_ZNSN_ISO_Lb1ESQ_SR_ST_SU_SY_EESZ_S10_S11_S12_S16_S17_S18_S1B_S1C_jS1D_jS1E_S1E_jjS1G_bEUljE0_EEESZ_S10_S11_S18_S1C_S1E_T6_T7_T9_mT8_S1G_bDpT10_ENKUlT_T0_E_clISt17integral_constantIbLb1EES1T_IbLb0EEEEDaS1P_S1Q_EUlS1P_E_NS1_11comp_targetILNS1_3genE4ELNS1_11target_archE910ELNS1_3gpuE8ELNS1_3repE0EEENS1_30default_config_static_selectorELNS0_4arch9wavefront6targetE0EEEvS12_,@function
_ZN7rocprim17ROCPRIM_400000_NS6detail17trampoline_kernelINS0_13select_configILj256ELj13ELNS0_17block_load_methodE3ELS4_3ELS4_3ELNS0_20block_scan_algorithmE0ELj4294967295EEENS1_25partition_config_selectorILNS1_17partition_subalgoE4EjNS0_10empty_typeEbEEZZNS1_14partition_implILS8_4ELb0ES6_15HIP_vector_typeIjLj2EENS0_17counting_iteratorIjlEEPS9_SG_NS0_5tupleIJPjSI_NS0_16reverse_iteratorISI_EEEEENSH_IJSG_SG_SG_EEES9_SI_JZNS1_25segmented_radix_sort_implINS0_14default_configELb1EPKiPiPKlPlN2at6native12_GLOBAL__N_18offset_tEEE10hipError_tPvRmT1_PNSt15iterator_traitsIS12_E10value_typeET2_T3_PNS13_IS18_E10value_typeET4_jRbjT5_S1E_jjP12ihipStream_tbEUljE_ZNSN_ISO_Lb1ESQ_SR_ST_SU_SY_EESZ_S10_S11_S12_S16_S17_S18_S1B_S1C_jS1D_jS1E_S1E_jjS1G_bEUljE0_EEESZ_S10_S11_S18_S1C_S1E_T6_T7_T9_mT8_S1G_bDpT10_ENKUlT_T0_E_clISt17integral_constantIbLb1EES1T_IbLb0EEEEDaS1P_S1Q_EUlS1P_E_NS1_11comp_targetILNS1_3genE4ELNS1_11target_archE910ELNS1_3gpuE8ELNS1_3repE0EEENS1_30default_config_static_selectorELNS0_4arch9wavefront6targetE0EEEvS12_: ; @_ZN7rocprim17ROCPRIM_400000_NS6detail17trampoline_kernelINS0_13select_configILj256ELj13ELNS0_17block_load_methodE3ELS4_3ELS4_3ELNS0_20block_scan_algorithmE0ELj4294967295EEENS1_25partition_config_selectorILNS1_17partition_subalgoE4EjNS0_10empty_typeEbEEZZNS1_14partition_implILS8_4ELb0ES6_15HIP_vector_typeIjLj2EENS0_17counting_iteratorIjlEEPS9_SG_NS0_5tupleIJPjSI_NS0_16reverse_iteratorISI_EEEEENSH_IJSG_SG_SG_EEES9_SI_JZNS1_25segmented_radix_sort_implINS0_14default_configELb1EPKiPiPKlPlN2at6native12_GLOBAL__N_18offset_tEEE10hipError_tPvRmT1_PNSt15iterator_traitsIS12_E10value_typeET2_T3_PNS13_IS18_E10value_typeET4_jRbjT5_S1E_jjP12ihipStream_tbEUljE_ZNSN_ISO_Lb1ESQ_SR_ST_SU_SY_EESZ_S10_S11_S12_S16_S17_S18_S1B_S1C_jS1D_jS1E_S1E_jjS1G_bEUljE0_EEESZ_S10_S11_S18_S1C_S1E_T6_T7_T9_mT8_S1G_bDpT10_ENKUlT_T0_E_clISt17integral_constantIbLb1EES1T_IbLb0EEEEDaS1P_S1Q_EUlS1P_E_NS1_11comp_targetILNS1_3genE4ELNS1_11target_archE910ELNS1_3gpuE8ELNS1_3repE0EEENS1_30default_config_static_selectorELNS0_4arch9wavefront6targetE0EEEvS12_
; %bb.0:
	.section	.rodata,"a",@progbits
	.p2align	6, 0x0
	.amdhsa_kernel _ZN7rocprim17ROCPRIM_400000_NS6detail17trampoline_kernelINS0_13select_configILj256ELj13ELNS0_17block_load_methodE3ELS4_3ELS4_3ELNS0_20block_scan_algorithmE0ELj4294967295EEENS1_25partition_config_selectorILNS1_17partition_subalgoE4EjNS0_10empty_typeEbEEZZNS1_14partition_implILS8_4ELb0ES6_15HIP_vector_typeIjLj2EENS0_17counting_iteratorIjlEEPS9_SG_NS0_5tupleIJPjSI_NS0_16reverse_iteratorISI_EEEEENSH_IJSG_SG_SG_EEES9_SI_JZNS1_25segmented_radix_sort_implINS0_14default_configELb1EPKiPiPKlPlN2at6native12_GLOBAL__N_18offset_tEEE10hipError_tPvRmT1_PNSt15iterator_traitsIS12_E10value_typeET2_T3_PNS13_IS18_E10value_typeET4_jRbjT5_S1E_jjP12ihipStream_tbEUljE_ZNSN_ISO_Lb1ESQ_SR_ST_SU_SY_EESZ_S10_S11_S12_S16_S17_S18_S1B_S1C_jS1D_jS1E_S1E_jjS1G_bEUljE0_EEESZ_S10_S11_S18_S1C_S1E_T6_T7_T9_mT8_S1G_bDpT10_ENKUlT_T0_E_clISt17integral_constantIbLb1EES1T_IbLb0EEEEDaS1P_S1Q_EUlS1P_E_NS1_11comp_targetILNS1_3genE4ELNS1_11target_archE910ELNS1_3gpuE8ELNS1_3repE0EEENS1_30default_config_static_selectorELNS0_4arch9wavefront6targetE0EEEvS12_
		.amdhsa_group_segment_fixed_size 0
		.amdhsa_private_segment_fixed_size 0
		.amdhsa_kernarg_size 176
		.amdhsa_user_sgpr_count 2
		.amdhsa_user_sgpr_dispatch_ptr 0
		.amdhsa_user_sgpr_queue_ptr 0
		.amdhsa_user_sgpr_kernarg_segment_ptr 1
		.amdhsa_user_sgpr_dispatch_id 0
		.amdhsa_user_sgpr_private_segment_size 0
		.amdhsa_wavefront_size32 1
		.amdhsa_uses_dynamic_stack 0
		.amdhsa_enable_private_segment 0
		.amdhsa_system_sgpr_workgroup_id_x 1
		.amdhsa_system_sgpr_workgroup_id_y 0
		.amdhsa_system_sgpr_workgroup_id_z 0
		.amdhsa_system_sgpr_workgroup_info 0
		.amdhsa_system_vgpr_workitem_id 0
		.amdhsa_next_free_vgpr 1
		.amdhsa_next_free_sgpr 1
		.amdhsa_reserve_vcc 0
		.amdhsa_float_round_mode_32 0
		.amdhsa_float_round_mode_16_64 0
		.amdhsa_float_denorm_mode_32 3
		.amdhsa_float_denorm_mode_16_64 3
		.amdhsa_fp16_overflow 0
		.amdhsa_workgroup_processor_mode 1
		.amdhsa_memory_ordered 1
		.amdhsa_forward_progress 1
		.amdhsa_inst_pref_size 0
		.amdhsa_round_robin_scheduling 0
		.amdhsa_exception_fp_ieee_invalid_op 0
		.amdhsa_exception_fp_denorm_src 0
		.amdhsa_exception_fp_ieee_div_zero 0
		.amdhsa_exception_fp_ieee_overflow 0
		.amdhsa_exception_fp_ieee_underflow 0
		.amdhsa_exception_fp_ieee_inexact 0
		.amdhsa_exception_int_div_zero 0
	.end_amdhsa_kernel
	.section	.text._ZN7rocprim17ROCPRIM_400000_NS6detail17trampoline_kernelINS0_13select_configILj256ELj13ELNS0_17block_load_methodE3ELS4_3ELS4_3ELNS0_20block_scan_algorithmE0ELj4294967295EEENS1_25partition_config_selectorILNS1_17partition_subalgoE4EjNS0_10empty_typeEbEEZZNS1_14partition_implILS8_4ELb0ES6_15HIP_vector_typeIjLj2EENS0_17counting_iteratorIjlEEPS9_SG_NS0_5tupleIJPjSI_NS0_16reverse_iteratorISI_EEEEENSH_IJSG_SG_SG_EEES9_SI_JZNS1_25segmented_radix_sort_implINS0_14default_configELb1EPKiPiPKlPlN2at6native12_GLOBAL__N_18offset_tEEE10hipError_tPvRmT1_PNSt15iterator_traitsIS12_E10value_typeET2_T3_PNS13_IS18_E10value_typeET4_jRbjT5_S1E_jjP12ihipStream_tbEUljE_ZNSN_ISO_Lb1ESQ_SR_ST_SU_SY_EESZ_S10_S11_S12_S16_S17_S18_S1B_S1C_jS1D_jS1E_S1E_jjS1G_bEUljE0_EEESZ_S10_S11_S18_S1C_S1E_T6_T7_T9_mT8_S1G_bDpT10_ENKUlT_T0_E_clISt17integral_constantIbLb1EES1T_IbLb0EEEEDaS1P_S1Q_EUlS1P_E_NS1_11comp_targetILNS1_3genE4ELNS1_11target_archE910ELNS1_3gpuE8ELNS1_3repE0EEENS1_30default_config_static_selectorELNS0_4arch9wavefront6targetE0EEEvS12_,"axG",@progbits,_ZN7rocprim17ROCPRIM_400000_NS6detail17trampoline_kernelINS0_13select_configILj256ELj13ELNS0_17block_load_methodE3ELS4_3ELS4_3ELNS0_20block_scan_algorithmE0ELj4294967295EEENS1_25partition_config_selectorILNS1_17partition_subalgoE4EjNS0_10empty_typeEbEEZZNS1_14partition_implILS8_4ELb0ES6_15HIP_vector_typeIjLj2EENS0_17counting_iteratorIjlEEPS9_SG_NS0_5tupleIJPjSI_NS0_16reverse_iteratorISI_EEEEENSH_IJSG_SG_SG_EEES9_SI_JZNS1_25segmented_radix_sort_implINS0_14default_configELb1EPKiPiPKlPlN2at6native12_GLOBAL__N_18offset_tEEE10hipError_tPvRmT1_PNSt15iterator_traitsIS12_E10value_typeET2_T3_PNS13_IS18_E10value_typeET4_jRbjT5_S1E_jjP12ihipStream_tbEUljE_ZNSN_ISO_Lb1ESQ_SR_ST_SU_SY_EESZ_S10_S11_S12_S16_S17_S18_S1B_S1C_jS1D_jS1E_S1E_jjS1G_bEUljE0_EEESZ_S10_S11_S18_S1C_S1E_T6_T7_T9_mT8_S1G_bDpT10_ENKUlT_T0_E_clISt17integral_constantIbLb1EES1T_IbLb0EEEEDaS1P_S1Q_EUlS1P_E_NS1_11comp_targetILNS1_3genE4ELNS1_11target_archE910ELNS1_3gpuE8ELNS1_3repE0EEENS1_30default_config_static_selectorELNS0_4arch9wavefront6targetE0EEEvS12_,comdat
.Lfunc_end451:
	.size	_ZN7rocprim17ROCPRIM_400000_NS6detail17trampoline_kernelINS0_13select_configILj256ELj13ELNS0_17block_load_methodE3ELS4_3ELS4_3ELNS0_20block_scan_algorithmE0ELj4294967295EEENS1_25partition_config_selectorILNS1_17partition_subalgoE4EjNS0_10empty_typeEbEEZZNS1_14partition_implILS8_4ELb0ES6_15HIP_vector_typeIjLj2EENS0_17counting_iteratorIjlEEPS9_SG_NS0_5tupleIJPjSI_NS0_16reverse_iteratorISI_EEEEENSH_IJSG_SG_SG_EEES9_SI_JZNS1_25segmented_radix_sort_implINS0_14default_configELb1EPKiPiPKlPlN2at6native12_GLOBAL__N_18offset_tEEE10hipError_tPvRmT1_PNSt15iterator_traitsIS12_E10value_typeET2_T3_PNS13_IS18_E10value_typeET4_jRbjT5_S1E_jjP12ihipStream_tbEUljE_ZNSN_ISO_Lb1ESQ_SR_ST_SU_SY_EESZ_S10_S11_S12_S16_S17_S18_S1B_S1C_jS1D_jS1E_S1E_jjS1G_bEUljE0_EEESZ_S10_S11_S18_S1C_S1E_T6_T7_T9_mT8_S1G_bDpT10_ENKUlT_T0_E_clISt17integral_constantIbLb1EES1T_IbLb0EEEEDaS1P_S1Q_EUlS1P_E_NS1_11comp_targetILNS1_3genE4ELNS1_11target_archE910ELNS1_3gpuE8ELNS1_3repE0EEENS1_30default_config_static_selectorELNS0_4arch9wavefront6targetE0EEEvS12_, .Lfunc_end451-_ZN7rocprim17ROCPRIM_400000_NS6detail17trampoline_kernelINS0_13select_configILj256ELj13ELNS0_17block_load_methodE3ELS4_3ELS4_3ELNS0_20block_scan_algorithmE0ELj4294967295EEENS1_25partition_config_selectorILNS1_17partition_subalgoE4EjNS0_10empty_typeEbEEZZNS1_14partition_implILS8_4ELb0ES6_15HIP_vector_typeIjLj2EENS0_17counting_iteratorIjlEEPS9_SG_NS0_5tupleIJPjSI_NS0_16reverse_iteratorISI_EEEEENSH_IJSG_SG_SG_EEES9_SI_JZNS1_25segmented_radix_sort_implINS0_14default_configELb1EPKiPiPKlPlN2at6native12_GLOBAL__N_18offset_tEEE10hipError_tPvRmT1_PNSt15iterator_traitsIS12_E10value_typeET2_T3_PNS13_IS18_E10value_typeET4_jRbjT5_S1E_jjP12ihipStream_tbEUljE_ZNSN_ISO_Lb1ESQ_SR_ST_SU_SY_EESZ_S10_S11_S12_S16_S17_S18_S1B_S1C_jS1D_jS1E_S1E_jjS1G_bEUljE0_EEESZ_S10_S11_S18_S1C_S1E_T6_T7_T9_mT8_S1G_bDpT10_ENKUlT_T0_E_clISt17integral_constantIbLb1EES1T_IbLb0EEEEDaS1P_S1Q_EUlS1P_E_NS1_11comp_targetILNS1_3genE4ELNS1_11target_archE910ELNS1_3gpuE8ELNS1_3repE0EEENS1_30default_config_static_selectorELNS0_4arch9wavefront6targetE0EEEvS12_
                                        ; -- End function
	.set _ZN7rocprim17ROCPRIM_400000_NS6detail17trampoline_kernelINS0_13select_configILj256ELj13ELNS0_17block_load_methodE3ELS4_3ELS4_3ELNS0_20block_scan_algorithmE0ELj4294967295EEENS1_25partition_config_selectorILNS1_17partition_subalgoE4EjNS0_10empty_typeEbEEZZNS1_14partition_implILS8_4ELb0ES6_15HIP_vector_typeIjLj2EENS0_17counting_iteratorIjlEEPS9_SG_NS0_5tupleIJPjSI_NS0_16reverse_iteratorISI_EEEEENSH_IJSG_SG_SG_EEES9_SI_JZNS1_25segmented_radix_sort_implINS0_14default_configELb1EPKiPiPKlPlN2at6native12_GLOBAL__N_18offset_tEEE10hipError_tPvRmT1_PNSt15iterator_traitsIS12_E10value_typeET2_T3_PNS13_IS18_E10value_typeET4_jRbjT5_S1E_jjP12ihipStream_tbEUljE_ZNSN_ISO_Lb1ESQ_SR_ST_SU_SY_EESZ_S10_S11_S12_S16_S17_S18_S1B_S1C_jS1D_jS1E_S1E_jjS1G_bEUljE0_EEESZ_S10_S11_S18_S1C_S1E_T6_T7_T9_mT8_S1G_bDpT10_ENKUlT_T0_E_clISt17integral_constantIbLb1EES1T_IbLb0EEEEDaS1P_S1Q_EUlS1P_E_NS1_11comp_targetILNS1_3genE4ELNS1_11target_archE910ELNS1_3gpuE8ELNS1_3repE0EEENS1_30default_config_static_selectorELNS0_4arch9wavefront6targetE0EEEvS12_.num_vgpr, 0
	.set _ZN7rocprim17ROCPRIM_400000_NS6detail17trampoline_kernelINS0_13select_configILj256ELj13ELNS0_17block_load_methodE3ELS4_3ELS4_3ELNS0_20block_scan_algorithmE0ELj4294967295EEENS1_25partition_config_selectorILNS1_17partition_subalgoE4EjNS0_10empty_typeEbEEZZNS1_14partition_implILS8_4ELb0ES6_15HIP_vector_typeIjLj2EENS0_17counting_iteratorIjlEEPS9_SG_NS0_5tupleIJPjSI_NS0_16reverse_iteratorISI_EEEEENSH_IJSG_SG_SG_EEES9_SI_JZNS1_25segmented_radix_sort_implINS0_14default_configELb1EPKiPiPKlPlN2at6native12_GLOBAL__N_18offset_tEEE10hipError_tPvRmT1_PNSt15iterator_traitsIS12_E10value_typeET2_T3_PNS13_IS18_E10value_typeET4_jRbjT5_S1E_jjP12ihipStream_tbEUljE_ZNSN_ISO_Lb1ESQ_SR_ST_SU_SY_EESZ_S10_S11_S12_S16_S17_S18_S1B_S1C_jS1D_jS1E_S1E_jjS1G_bEUljE0_EEESZ_S10_S11_S18_S1C_S1E_T6_T7_T9_mT8_S1G_bDpT10_ENKUlT_T0_E_clISt17integral_constantIbLb1EES1T_IbLb0EEEEDaS1P_S1Q_EUlS1P_E_NS1_11comp_targetILNS1_3genE4ELNS1_11target_archE910ELNS1_3gpuE8ELNS1_3repE0EEENS1_30default_config_static_selectorELNS0_4arch9wavefront6targetE0EEEvS12_.num_agpr, 0
	.set _ZN7rocprim17ROCPRIM_400000_NS6detail17trampoline_kernelINS0_13select_configILj256ELj13ELNS0_17block_load_methodE3ELS4_3ELS4_3ELNS0_20block_scan_algorithmE0ELj4294967295EEENS1_25partition_config_selectorILNS1_17partition_subalgoE4EjNS0_10empty_typeEbEEZZNS1_14partition_implILS8_4ELb0ES6_15HIP_vector_typeIjLj2EENS0_17counting_iteratorIjlEEPS9_SG_NS0_5tupleIJPjSI_NS0_16reverse_iteratorISI_EEEEENSH_IJSG_SG_SG_EEES9_SI_JZNS1_25segmented_radix_sort_implINS0_14default_configELb1EPKiPiPKlPlN2at6native12_GLOBAL__N_18offset_tEEE10hipError_tPvRmT1_PNSt15iterator_traitsIS12_E10value_typeET2_T3_PNS13_IS18_E10value_typeET4_jRbjT5_S1E_jjP12ihipStream_tbEUljE_ZNSN_ISO_Lb1ESQ_SR_ST_SU_SY_EESZ_S10_S11_S12_S16_S17_S18_S1B_S1C_jS1D_jS1E_S1E_jjS1G_bEUljE0_EEESZ_S10_S11_S18_S1C_S1E_T6_T7_T9_mT8_S1G_bDpT10_ENKUlT_T0_E_clISt17integral_constantIbLb1EES1T_IbLb0EEEEDaS1P_S1Q_EUlS1P_E_NS1_11comp_targetILNS1_3genE4ELNS1_11target_archE910ELNS1_3gpuE8ELNS1_3repE0EEENS1_30default_config_static_selectorELNS0_4arch9wavefront6targetE0EEEvS12_.numbered_sgpr, 0
	.set _ZN7rocprim17ROCPRIM_400000_NS6detail17trampoline_kernelINS0_13select_configILj256ELj13ELNS0_17block_load_methodE3ELS4_3ELS4_3ELNS0_20block_scan_algorithmE0ELj4294967295EEENS1_25partition_config_selectorILNS1_17partition_subalgoE4EjNS0_10empty_typeEbEEZZNS1_14partition_implILS8_4ELb0ES6_15HIP_vector_typeIjLj2EENS0_17counting_iteratorIjlEEPS9_SG_NS0_5tupleIJPjSI_NS0_16reverse_iteratorISI_EEEEENSH_IJSG_SG_SG_EEES9_SI_JZNS1_25segmented_radix_sort_implINS0_14default_configELb1EPKiPiPKlPlN2at6native12_GLOBAL__N_18offset_tEEE10hipError_tPvRmT1_PNSt15iterator_traitsIS12_E10value_typeET2_T3_PNS13_IS18_E10value_typeET4_jRbjT5_S1E_jjP12ihipStream_tbEUljE_ZNSN_ISO_Lb1ESQ_SR_ST_SU_SY_EESZ_S10_S11_S12_S16_S17_S18_S1B_S1C_jS1D_jS1E_S1E_jjS1G_bEUljE0_EEESZ_S10_S11_S18_S1C_S1E_T6_T7_T9_mT8_S1G_bDpT10_ENKUlT_T0_E_clISt17integral_constantIbLb1EES1T_IbLb0EEEEDaS1P_S1Q_EUlS1P_E_NS1_11comp_targetILNS1_3genE4ELNS1_11target_archE910ELNS1_3gpuE8ELNS1_3repE0EEENS1_30default_config_static_selectorELNS0_4arch9wavefront6targetE0EEEvS12_.num_named_barrier, 0
	.set _ZN7rocprim17ROCPRIM_400000_NS6detail17trampoline_kernelINS0_13select_configILj256ELj13ELNS0_17block_load_methodE3ELS4_3ELS4_3ELNS0_20block_scan_algorithmE0ELj4294967295EEENS1_25partition_config_selectorILNS1_17partition_subalgoE4EjNS0_10empty_typeEbEEZZNS1_14partition_implILS8_4ELb0ES6_15HIP_vector_typeIjLj2EENS0_17counting_iteratorIjlEEPS9_SG_NS0_5tupleIJPjSI_NS0_16reverse_iteratorISI_EEEEENSH_IJSG_SG_SG_EEES9_SI_JZNS1_25segmented_radix_sort_implINS0_14default_configELb1EPKiPiPKlPlN2at6native12_GLOBAL__N_18offset_tEEE10hipError_tPvRmT1_PNSt15iterator_traitsIS12_E10value_typeET2_T3_PNS13_IS18_E10value_typeET4_jRbjT5_S1E_jjP12ihipStream_tbEUljE_ZNSN_ISO_Lb1ESQ_SR_ST_SU_SY_EESZ_S10_S11_S12_S16_S17_S18_S1B_S1C_jS1D_jS1E_S1E_jjS1G_bEUljE0_EEESZ_S10_S11_S18_S1C_S1E_T6_T7_T9_mT8_S1G_bDpT10_ENKUlT_T0_E_clISt17integral_constantIbLb1EES1T_IbLb0EEEEDaS1P_S1Q_EUlS1P_E_NS1_11comp_targetILNS1_3genE4ELNS1_11target_archE910ELNS1_3gpuE8ELNS1_3repE0EEENS1_30default_config_static_selectorELNS0_4arch9wavefront6targetE0EEEvS12_.private_seg_size, 0
	.set _ZN7rocprim17ROCPRIM_400000_NS6detail17trampoline_kernelINS0_13select_configILj256ELj13ELNS0_17block_load_methodE3ELS4_3ELS4_3ELNS0_20block_scan_algorithmE0ELj4294967295EEENS1_25partition_config_selectorILNS1_17partition_subalgoE4EjNS0_10empty_typeEbEEZZNS1_14partition_implILS8_4ELb0ES6_15HIP_vector_typeIjLj2EENS0_17counting_iteratorIjlEEPS9_SG_NS0_5tupleIJPjSI_NS0_16reverse_iteratorISI_EEEEENSH_IJSG_SG_SG_EEES9_SI_JZNS1_25segmented_radix_sort_implINS0_14default_configELb1EPKiPiPKlPlN2at6native12_GLOBAL__N_18offset_tEEE10hipError_tPvRmT1_PNSt15iterator_traitsIS12_E10value_typeET2_T3_PNS13_IS18_E10value_typeET4_jRbjT5_S1E_jjP12ihipStream_tbEUljE_ZNSN_ISO_Lb1ESQ_SR_ST_SU_SY_EESZ_S10_S11_S12_S16_S17_S18_S1B_S1C_jS1D_jS1E_S1E_jjS1G_bEUljE0_EEESZ_S10_S11_S18_S1C_S1E_T6_T7_T9_mT8_S1G_bDpT10_ENKUlT_T0_E_clISt17integral_constantIbLb1EES1T_IbLb0EEEEDaS1P_S1Q_EUlS1P_E_NS1_11comp_targetILNS1_3genE4ELNS1_11target_archE910ELNS1_3gpuE8ELNS1_3repE0EEENS1_30default_config_static_selectorELNS0_4arch9wavefront6targetE0EEEvS12_.uses_vcc, 0
	.set _ZN7rocprim17ROCPRIM_400000_NS6detail17trampoline_kernelINS0_13select_configILj256ELj13ELNS0_17block_load_methodE3ELS4_3ELS4_3ELNS0_20block_scan_algorithmE0ELj4294967295EEENS1_25partition_config_selectorILNS1_17partition_subalgoE4EjNS0_10empty_typeEbEEZZNS1_14partition_implILS8_4ELb0ES6_15HIP_vector_typeIjLj2EENS0_17counting_iteratorIjlEEPS9_SG_NS0_5tupleIJPjSI_NS0_16reverse_iteratorISI_EEEEENSH_IJSG_SG_SG_EEES9_SI_JZNS1_25segmented_radix_sort_implINS0_14default_configELb1EPKiPiPKlPlN2at6native12_GLOBAL__N_18offset_tEEE10hipError_tPvRmT1_PNSt15iterator_traitsIS12_E10value_typeET2_T3_PNS13_IS18_E10value_typeET4_jRbjT5_S1E_jjP12ihipStream_tbEUljE_ZNSN_ISO_Lb1ESQ_SR_ST_SU_SY_EESZ_S10_S11_S12_S16_S17_S18_S1B_S1C_jS1D_jS1E_S1E_jjS1G_bEUljE0_EEESZ_S10_S11_S18_S1C_S1E_T6_T7_T9_mT8_S1G_bDpT10_ENKUlT_T0_E_clISt17integral_constantIbLb1EES1T_IbLb0EEEEDaS1P_S1Q_EUlS1P_E_NS1_11comp_targetILNS1_3genE4ELNS1_11target_archE910ELNS1_3gpuE8ELNS1_3repE0EEENS1_30default_config_static_selectorELNS0_4arch9wavefront6targetE0EEEvS12_.uses_flat_scratch, 0
	.set _ZN7rocprim17ROCPRIM_400000_NS6detail17trampoline_kernelINS0_13select_configILj256ELj13ELNS0_17block_load_methodE3ELS4_3ELS4_3ELNS0_20block_scan_algorithmE0ELj4294967295EEENS1_25partition_config_selectorILNS1_17partition_subalgoE4EjNS0_10empty_typeEbEEZZNS1_14partition_implILS8_4ELb0ES6_15HIP_vector_typeIjLj2EENS0_17counting_iteratorIjlEEPS9_SG_NS0_5tupleIJPjSI_NS0_16reverse_iteratorISI_EEEEENSH_IJSG_SG_SG_EEES9_SI_JZNS1_25segmented_radix_sort_implINS0_14default_configELb1EPKiPiPKlPlN2at6native12_GLOBAL__N_18offset_tEEE10hipError_tPvRmT1_PNSt15iterator_traitsIS12_E10value_typeET2_T3_PNS13_IS18_E10value_typeET4_jRbjT5_S1E_jjP12ihipStream_tbEUljE_ZNSN_ISO_Lb1ESQ_SR_ST_SU_SY_EESZ_S10_S11_S12_S16_S17_S18_S1B_S1C_jS1D_jS1E_S1E_jjS1G_bEUljE0_EEESZ_S10_S11_S18_S1C_S1E_T6_T7_T9_mT8_S1G_bDpT10_ENKUlT_T0_E_clISt17integral_constantIbLb1EES1T_IbLb0EEEEDaS1P_S1Q_EUlS1P_E_NS1_11comp_targetILNS1_3genE4ELNS1_11target_archE910ELNS1_3gpuE8ELNS1_3repE0EEENS1_30default_config_static_selectorELNS0_4arch9wavefront6targetE0EEEvS12_.has_dyn_sized_stack, 0
	.set _ZN7rocprim17ROCPRIM_400000_NS6detail17trampoline_kernelINS0_13select_configILj256ELj13ELNS0_17block_load_methodE3ELS4_3ELS4_3ELNS0_20block_scan_algorithmE0ELj4294967295EEENS1_25partition_config_selectorILNS1_17partition_subalgoE4EjNS0_10empty_typeEbEEZZNS1_14partition_implILS8_4ELb0ES6_15HIP_vector_typeIjLj2EENS0_17counting_iteratorIjlEEPS9_SG_NS0_5tupleIJPjSI_NS0_16reverse_iteratorISI_EEEEENSH_IJSG_SG_SG_EEES9_SI_JZNS1_25segmented_radix_sort_implINS0_14default_configELb1EPKiPiPKlPlN2at6native12_GLOBAL__N_18offset_tEEE10hipError_tPvRmT1_PNSt15iterator_traitsIS12_E10value_typeET2_T3_PNS13_IS18_E10value_typeET4_jRbjT5_S1E_jjP12ihipStream_tbEUljE_ZNSN_ISO_Lb1ESQ_SR_ST_SU_SY_EESZ_S10_S11_S12_S16_S17_S18_S1B_S1C_jS1D_jS1E_S1E_jjS1G_bEUljE0_EEESZ_S10_S11_S18_S1C_S1E_T6_T7_T9_mT8_S1G_bDpT10_ENKUlT_T0_E_clISt17integral_constantIbLb1EES1T_IbLb0EEEEDaS1P_S1Q_EUlS1P_E_NS1_11comp_targetILNS1_3genE4ELNS1_11target_archE910ELNS1_3gpuE8ELNS1_3repE0EEENS1_30default_config_static_selectorELNS0_4arch9wavefront6targetE0EEEvS12_.has_recursion, 0
	.set _ZN7rocprim17ROCPRIM_400000_NS6detail17trampoline_kernelINS0_13select_configILj256ELj13ELNS0_17block_load_methodE3ELS4_3ELS4_3ELNS0_20block_scan_algorithmE0ELj4294967295EEENS1_25partition_config_selectorILNS1_17partition_subalgoE4EjNS0_10empty_typeEbEEZZNS1_14partition_implILS8_4ELb0ES6_15HIP_vector_typeIjLj2EENS0_17counting_iteratorIjlEEPS9_SG_NS0_5tupleIJPjSI_NS0_16reverse_iteratorISI_EEEEENSH_IJSG_SG_SG_EEES9_SI_JZNS1_25segmented_radix_sort_implINS0_14default_configELb1EPKiPiPKlPlN2at6native12_GLOBAL__N_18offset_tEEE10hipError_tPvRmT1_PNSt15iterator_traitsIS12_E10value_typeET2_T3_PNS13_IS18_E10value_typeET4_jRbjT5_S1E_jjP12ihipStream_tbEUljE_ZNSN_ISO_Lb1ESQ_SR_ST_SU_SY_EESZ_S10_S11_S12_S16_S17_S18_S1B_S1C_jS1D_jS1E_S1E_jjS1G_bEUljE0_EEESZ_S10_S11_S18_S1C_S1E_T6_T7_T9_mT8_S1G_bDpT10_ENKUlT_T0_E_clISt17integral_constantIbLb1EES1T_IbLb0EEEEDaS1P_S1Q_EUlS1P_E_NS1_11comp_targetILNS1_3genE4ELNS1_11target_archE910ELNS1_3gpuE8ELNS1_3repE0EEENS1_30default_config_static_selectorELNS0_4arch9wavefront6targetE0EEEvS12_.has_indirect_call, 0
	.section	.AMDGPU.csdata,"",@progbits
; Kernel info:
; codeLenInByte = 0
; TotalNumSgprs: 0
; NumVgprs: 0
; ScratchSize: 0
; MemoryBound: 0
; FloatMode: 240
; IeeeMode: 1
; LDSByteSize: 0 bytes/workgroup (compile time only)
; SGPRBlocks: 0
; VGPRBlocks: 0
; NumSGPRsForWavesPerEU: 1
; NumVGPRsForWavesPerEU: 1
; Occupancy: 16
; WaveLimiterHint : 0
; COMPUTE_PGM_RSRC2:SCRATCH_EN: 0
; COMPUTE_PGM_RSRC2:USER_SGPR: 2
; COMPUTE_PGM_RSRC2:TRAP_HANDLER: 0
; COMPUTE_PGM_RSRC2:TGID_X_EN: 1
; COMPUTE_PGM_RSRC2:TGID_Y_EN: 0
; COMPUTE_PGM_RSRC2:TGID_Z_EN: 0
; COMPUTE_PGM_RSRC2:TIDIG_COMP_CNT: 0
	.section	.text._ZN7rocprim17ROCPRIM_400000_NS6detail17trampoline_kernelINS0_13select_configILj256ELj13ELNS0_17block_load_methodE3ELS4_3ELS4_3ELNS0_20block_scan_algorithmE0ELj4294967295EEENS1_25partition_config_selectorILNS1_17partition_subalgoE4EjNS0_10empty_typeEbEEZZNS1_14partition_implILS8_4ELb0ES6_15HIP_vector_typeIjLj2EENS0_17counting_iteratorIjlEEPS9_SG_NS0_5tupleIJPjSI_NS0_16reverse_iteratorISI_EEEEENSH_IJSG_SG_SG_EEES9_SI_JZNS1_25segmented_radix_sort_implINS0_14default_configELb1EPKiPiPKlPlN2at6native12_GLOBAL__N_18offset_tEEE10hipError_tPvRmT1_PNSt15iterator_traitsIS12_E10value_typeET2_T3_PNS13_IS18_E10value_typeET4_jRbjT5_S1E_jjP12ihipStream_tbEUljE_ZNSN_ISO_Lb1ESQ_SR_ST_SU_SY_EESZ_S10_S11_S12_S16_S17_S18_S1B_S1C_jS1D_jS1E_S1E_jjS1G_bEUljE0_EEESZ_S10_S11_S18_S1C_S1E_T6_T7_T9_mT8_S1G_bDpT10_ENKUlT_T0_E_clISt17integral_constantIbLb1EES1T_IbLb0EEEEDaS1P_S1Q_EUlS1P_E_NS1_11comp_targetILNS1_3genE3ELNS1_11target_archE908ELNS1_3gpuE7ELNS1_3repE0EEENS1_30default_config_static_selectorELNS0_4arch9wavefront6targetE0EEEvS12_,"axG",@progbits,_ZN7rocprim17ROCPRIM_400000_NS6detail17trampoline_kernelINS0_13select_configILj256ELj13ELNS0_17block_load_methodE3ELS4_3ELS4_3ELNS0_20block_scan_algorithmE0ELj4294967295EEENS1_25partition_config_selectorILNS1_17partition_subalgoE4EjNS0_10empty_typeEbEEZZNS1_14partition_implILS8_4ELb0ES6_15HIP_vector_typeIjLj2EENS0_17counting_iteratorIjlEEPS9_SG_NS0_5tupleIJPjSI_NS0_16reverse_iteratorISI_EEEEENSH_IJSG_SG_SG_EEES9_SI_JZNS1_25segmented_radix_sort_implINS0_14default_configELb1EPKiPiPKlPlN2at6native12_GLOBAL__N_18offset_tEEE10hipError_tPvRmT1_PNSt15iterator_traitsIS12_E10value_typeET2_T3_PNS13_IS18_E10value_typeET4_jRbjT5_S1E_jjP12ihipStream_tbEUljE_ZNSN_ISO_Lb1ESQ_SR_ST_SU_SY_EESZ_S10_S11_S12_S16_S17_S18_S1B_S1C_jS1D_jS1E_S1E_jjS1G_bEUljE0_EEESZ_S10_S11_S18_S1C_S1E_T6_T7_T9_mT8_S1G_bDpT10_ENKUlT_T0_E_clISt17integral_constantIbLb1EES1T_IbLb0EEEEDaS1P_S1Q_EUlS1P_E_NS1_11comp_targetILNS1_3genE3ELNS1_11target_archE908ELNS1_3gpuE7ELNS1_3repE0EEENS1_30default_config_static_selectorELNS0_4arch9wavefront6targetE0EEEvS12_,comdat
	.globl	_ZN7rocprim17ROCPRIM_400000_NS6detail17trampoline_kernelINS0_13select_configILj256ELj13ELNS0_17block_load_methodE3ELS4_3ELS4_3ELNS0_20block_scan_algorithmE0ELj4294967295EEENS1_25partition_config_selectorILNS1_17partition_subalgoE4EjNS0_10empty_typeEbEEZZNS1_14partition_implILS8_4ELb0ES6_15HIP_vector_typeIjLj2EENS0_17counting_iteratorIjlEEPS9_SG_NS0_5tupleIJPjSI_NS0_16reverse_iteratorISI_EEEEENSH_IJSG_SG_SG_EEES9_SI_JZNS1_25segmented_radix_sort_implINS0_14default_configELb1EPKiPiPKlPlN2at6native12_GLOBAL__N_18offset_tEEE10hipError_tPvRmT1_PNSt15iterator_traitsIS12_E10value_typeET2_T3_PNS13_IS18_E10value_typeET4_jRbjT5_S1E_jjP12ihipStream_tbEUljE_ZNSN_ISO_Lb1ESQ_SR_ST_SU_SY_EESZ_S10_S11_S12_S16_S17_S18_S1B_S1C_jS1D_jS1E_S1E_jjS1G_bEUljE0_EEESZ_S10_S11_S18_S1C_S1E_T6_T7_T9_mT8_S1G_bDpT10_ENKUlT_T0_E_clISt17integral_constantIbLb1EES1T_IbLb0EEEEDaS1P_S1Q_EUlS1P_E_NS1_11comp_targetILNS1_3genE3ELNS1_11target_archE908ELNS1_3gpuE7ELNS1_3repE0EEENS1_30default_config_static_selectorELNS0_4arch9wavefront6targetE0EEEvS12_ ; -- Begin function _ZN7rocprim17ROCPRIM_400000_NS6detail17trampoline_kernelINS0_13select_configILj256ELj13ELNS0_17block_load_methodE3ELS4_3ELS4_3ELNS0_20block_scan_algorithmE0ELj4294967295EEENS1_25partition_config_selectorILNS1_17partition_subalgoE4EjNS0_10empty_typeEbEEZZNS1_14partition_implILS8_4ELb0ES6_15HIP_vector_typeIjLj2EENS0_17counting_iteratorIjlEEPS9_SG_NS0_5tupleIJPjSI_NS0_16reverse_iteratorISI_EEEEENSH_IJSG_SG_SG_EEES9_SI_JZNS1_25segmented_radix_sort_implINS0_14default_configELb1EPKiPiPKlPlN2at6native12_GLOBAL__N_18offset_tEEE10hipError_tPvRmT1_PNSt15iterator_traitsIS12_E10value_typeET2_T3_PNS13_IS18_E10value_typeET4_jRbjT5_S1E_jjP12ihipStream_tbEUljE_ZNSN_ISO_Lb1ESQ_SR_ST_SU_SY_EESZ_S10_S11_S12_S16_S17_S18_S1B_S1C_jS1D_jS1E_S1E_jjS1G_bEUljE0_EEESZ_S10_S11_S18_S1C_S1E_T6_T7_T9_mT8_S1G_bDpT10_ENKUlT_T0_E_clISt17integral_constantIbLb1EES1T_IbLb0EEEEDaS1P_S1Q_EUlS1P_E_NS1_11comp_targetILNS1_3genE3ELNS1_11target_archE908ELNS1_3gpuE7ELNS1_3repE0EEENS1_30default_config_static_selectorELNS0_4arch9wavefront6targetE0EEEvS12_
	.p2align	8
	.type	_ZN7rocprim17ROCPRIM_400000_NS6detail17trampoline_kernelINS0_13select_configILj256ELj13ELNS0_17block_load_methodE3ELS4_3ELS4_3ELNS0_20block_scan_algorithmE0ELj4294967295EEENS1_25partition_config_selectorILNS1_17partition_subalgoE4EjNS0_10empty_typeEbEEZZNS1_14partition_implILS8_4ELb0ES6_15HIP_vector_typeIjLj2EENS0_17counting_iteratorIjlEEPS9_SG_NS0_5tupleIJPjSI_NS0_16reverse_iteratorISI_EEEEENSH_IJSG_SG_SG_EEES9_SI_JZNS1_25segmented_radix_sort_implINS0_14default_configELb1EPKiPiPKlPlN2at6native12_GLOBAL__N_18offset_tEEE10hipError_tPvRmT1_PNSt15iterator_traitsIS12_E10value_typeET2_T3_PNS13_IS18_E10value_typeET4_jRbjT5_S1E_jjP12ihipStream_tbEUljE_ZNSN_ISO_Lb1ESQ_SR_ST_SU_SY_EESZ_S10_S11_S12_S16_S17_S18_S1B_S1C_jS1D_jS1E_S1E_jjS1G_bEUljE0_EEESZ_S10_S11_S18_S1C_S1E_T6_T7_T9_mT8_S1G_bDpT10_ENKUlT_T0_E_clISt17integral_constantIbLb1EES1T_IbLb0EEEEDaS1P_S1Q_EUlS1P_E_NS1_11comp_targetILNS1_3genE3ELNS1_11target_archE908ELNS1_3gpuE7ELNS1_3repE0EEENS1_30default_config_static_selectorELNS0_4arch9wavefront6targetE0EEEvS12_,@function
_ZN7rocprim17ROCPRIM_400000_NS6detail17trampoline_kernelINS0_13select_configILj256ELj13ELNS0_17block_load_methodE3ELS4_3ELS4_3ELNS0_20block_scan_algorithmE0ELj4294967295EEENS1_25partition_config_selectorILNS1_17partition_subalgoE4EjNS0_10empty_typeEbEEZZNS1_14partition_implILS8_4ELb0ES6_15HIP_vector_typeIjLj2EENS0_17counting_iteratorIjlEEPS9_SG_NS0_5tupleIJPjSI_NS0_16reverse_iteratorISI_EEEEENSH_IJSG_SG_SG_EEES9_SI_JZNS1_25segmented_radix_sort_implINS0_14default_configELb1EPKiPiPKlPlN2at6native12_GLOBAL__N_18offset_tEEE10hipError_tPvRmT1_PNSt15iterator_traitsIS12_E10value_typeET2_T3_PNS13_IS18_E10value_typeET4_jRbjT5_S1E_jjP12ihipStream_tbEUljE_ZNSN_ISO_Lb1ESQ_SR_ST_SU_SY_EESZ_S10_S11_S12_S16_S17_S18_S1B_S1C_jS1D_jS1E_S1E_jjS1G_bEUljE0_EEESZ_S10_S11_S18_S1C_S1E_T6_T7_T9_mT8_S1G_bDpT10_ENKUlT_T0_E_clISt17integral_constantIbLb1EES1T_IbLb0EEEEDaS1P_S1Q_EUlS1P_E_NS1_11comp_targetILNS1_3genE3ELNS1_11target_archE908ELNS1_3gpuE7ELNS1_3repE0EEENS1_30default_config_static_selectorELNS0_4arch9wavefront6targetE0EEEvS12_: ; @_ZN7rocprim17ROCPRIM_400000_NS6detail17trampoline_kernelINS0_13select_configILj256ELj13ELNS0_17block_load_methodE3ELS4_3ELS4_3ELNS0_20block_scan_algorithmE0ELj4294967295EEENS1_25partition_config_selectorILNS1_17partition_subalgoE4EjNS0_10empty_typeEbEEZZNS1_14partition_implILS8_4ELb0ES6_15HIP_vector_typeIjLj2EENS0_17counting_iteratorIjlEEPS9_SG_NS0_5tupleIJPjSI_NS0_16reverse_iteratorISI_EEEEENSH_IJSG_SG_SG_EEES9_SI_JZNS1_25segmented_radix_sort_implINS0_14default_configELb1EPKiPiPKlPlN2at6native12_GLOBAL__N_18offset_tEEE10hipError_tPvRmT1_PNSt15iterator_traitsIS12_E10value_typeET2_T3_PNS13_IS18_E10value_typeET4_jRbjT5_S1E_jjP12ihipStream_tbEUljE_ZNSN_ISO_Lb1ESQ_SR_ST_SU_SY_EESZ_S10_S11_S12_S16_S17_S18_S1B_S1C_jS1D_jS1E_S1E_jjS1G_bEUljE0_EEESZ_S10_S11_S18_S1C_S1E_T6_T7_T9_mT8_S1G_bDpT10_ENKUlT_T0_E_clISt17integral_constantIbLb1EES1T_IbLb0EEEEDaS1P_S1Q_EUlS1P_E_NS1_11comp_targetILNS1_3genE3ELNS1_11target_archE908ELNS1_3gpuE7ELNS1_3repE0EEENS1_30default_config_static_selectorELNS0_4arch9wavefront6targetE0EEEvS12_
; %bb.0:
	.section	.rodata,"a",@progbits
	.p2align	6, 0x0
	.amdhsa_kernel _ZN7rocprim17ROCPRIM_400000_NS6detail17trampoline_kernelINS0_13select_configILj256ELj13ELNS0_17block_load_methodE3ELS4_3ELS4_3ELNS0_20block_scan_algorithmE0ELj4294967295EEENS1_25partition_config_selectorILNS1_17partition_subalgoE4EjNS0_10empty_typeEbEEZZNS1_14partition_implILS8_4ELb0ES6_15HIP_vector_typeIjLj2EENS0_17counting_iteratorIjlEEPS9_SG_NS0_5tupleIJPjSI_NS0_16reverse_iteratorISI_EEEEENSH_IJSG_SG_SG_EEES9_SI_JZNS1_25segmented_radix_sort_implINS0_14default_configELb1EPKiPiPKlPlN2at6native12_GLOBAL__N_18offset_tEEE10hipError_tPvRmT1_PNSt15iterator_traitsIS12_E10value_typeET2_T3_PNS13_IS18_E10value_typeET4_jRbjT5_S1E_jjP12ihipStream_tbEUljE_ZNSN_ISO_Lb1ESQ_SR_ST_SU_SY_EESZ_S10_S11_S12_S16_S17_S18_S1B_S1C_jS1D_jS1E_S1E_jjS1G_bEUljE0_EEESZ_S10_S11_S18_S1C_S1E_T6_T7_T9_mT8_S1G_bDpT10_ENKUlT_T0_E_clISt17integral_constantIbLb1EES1T_IbLb0EEEEDaS1P_S1Q_EUlS1P_E_NS1_11comp_targetILNS1_3genE3ELNS1_11target_archE908ELNS1_3gpuE7ELNS1_3repE0EEENS1_30default_config_static_selectorELNS0_4arch9wavefront6targetE0EEEvS12_
		.amdhsa_group_segment_fixed_size 0
		.amdhsa_private_segment_fixed_size 0
		.amdhsa_kernarg_size 176
		.amdhsa_user_sgpr_count 2
		.amdhsa_user_sgpr_dispatch_ptr 0
		.amdhsa_user_sgpr_queue_ptr 0
		.amdhsa_user_sgpr_kernarg_segment_ptr 1
		.amdhsa_user_sgpr_dispatch_id 0
		.amdhsa_user_sgpr_private_segment_size 0
		.amdhsa_wavefront_size32 1
		.amdhsa_uses_dynamic_stack 0
		.amdhsa_enable_private_segment 0
		.amdhsa_system_sgpr_workgroup_id_x 1
		.amdhsa_system_sgpr_workgroup_id_y 0
		.amdhsa_system_sgpr_workgroup_id_z 0
		.amdhsa_system_sgpr_workgroup_info 0
		.amdhsa_system_vgpr_workitem_id 0
		.amdhsa_next_free_vgpr 1
		.amdhsa_next_free_sgpr 1
		.amdhsa_reserve_vcc 0
		.amdhsa_float_round_mode_32 0
		.amdhsa_float_round_mode_16_64 0
		.amdhsa_float_denorm_mode_32 3
		.amdhsa_float_denorm_mode_16_64 3
		.amdhsa_fp16_overflow 0
		.amdhsa_workgroup_processor_mode 1
		.amdhsa_memory_ordered 1
		.amdhsa_forward_progress 1
		.amdhsa_inst_pref_size 0
		.amdhsa_round_robin_scheduling 0
		.amdhsa_exception_fp_ieee_invalid_op 0
		.amdhsa_exception_fp_denorm_src 0
		.amdhsa_exception_fp_ieee_div_zero 0
		.amdhsa_exception_fp_ieee_overflow 0
		.amdhsa_exception_fp_ieee_underflow 0
		.amdhsa_exception_fp_ieee_inexact 0
		.amdhsa_exception_int_div_zero 0
	.end_amdhsa_kernel
	.section	.text._ZN7rocprim17ROCPRIM_400000_NS6detail17trampoline_kernelINS0_13select_configILj256ELj13ELNS0_17block_load_methodE3ELS4_3ELS4_3ELNS0_20block_scan_algorithmE0ELj4294967295EEENS1_25partition_config_selectorILNS1_17partition_subalgoE4EjNS0_10empty_typeEbEEZZNS1_14partition_implILS8_4ELb0ES6_15HIP_vector_typeIjLj2EENS0_17counting_iteratorIjlEEPS9_SG_NS0_5tupleIJPjSI_NS0_16reverse_iteratorISI_EEEEENSH_IJSG_SG_SG_EEES9_SI_JZNS1_25segmented_radix_sort_implINS0_14default_configELb1EPKiPiPKlPlN2at6native12_GLOBAL__N_18offset_tEEE10hipError_tPvRmT1_PNSt15iterator_traitsIS12_E10value_typeET2_T3_PNS13_IS18_E10value_typeET4_jRbjT5_S1E_jjP12ihipStream_tbEUljE_ZNSN_ISO_Lb1ESQ_SR_ST_SU_SY_EESZ_S10_S11_S12_S16_S17_S18_S1B_S1C_jS1D_jS1E_S1E_jjS1G_bEUljE0_EEESZ_S10_S11_S18_S1C_S1E_T6_T7_T9_mT8_S1G_bDpT10_ENKUlT_T0_E_clISt17integral_constantIbLb1EES1T_IbLb0EEEEDaS1P_S1Q_EUlS1P_E_NS1_11comp_targetILNS1_3genE3ELNS1_11target_archE908ELNS1_3gpuE7ELNS1_3repE0EEENS1_30default_config_static_selectorELNS0_4arch9wavefront6targetE0EEEvS12_,"axG",@progbits,_ZN7rocprim17ROCPRIM_400000_NS6detail17trampoline_kernelINS0_13select_configILj256ELj13ELNS0_17block_load_methodE3ELS4_3ELS4_3ELNS0_20block_scan_algorithmE0ELj4294967295EEENS1_25partition_config_selectorILNS1_17partition_subalgoE4EjNS0_10empty_typeEbEEZZNS1_14partition_implILS8_4ELb0ES6_15HIP_vector_typeIjLj2EENS0_17counting_iteratorIjlEEPS9_SG_NS0_5tupleIJPjSI_NS0_16reverse_iteratorISI_EEEEENSH_IJSG_SG_SG_EEES9_SI_JZNS1_25segmented_radix_sort_implINS0_14default_configELb1EPKiPiPKlPlN2at6native12_GLOBAL__N_18offset_tEEE10hipError_tPvRmT1_PNSt15iterator_traitsIS12_E10value_typeET2_T3_PNS13_IS18_E10value_typeET4_jRbjT5_S1E_jjP12ihipStream_tbEUljE_ZNSN_ISO_Lb1ESQ_SR_ST_SU_SY_EESZ_S10_S11_S12_S16_S17_S18_S1B_S1C_jS1D_jS1E_S1E_jjS1G_bEUljE0_EEESZ_S10_S11_S18_S1C_S1E_T6_T7_T9_mT8_S1G_bDpT10_ENKUlT_T0_E_clISt17integral_constantIbLb1EES1T_IbLb0EEEEDaS1P_S1Q_EUlS1P_E_NS1_11comp_targetILNS1_3genE3ELNS1_11target_archE908ELNS1_3gpuE7ELNS1_3repE0EEENS1_30default_config_static_selectorELNS0_4arch9wavefront6targetE0EEEvS12_,comdat
.Lfunc_end452:
	.size	_ZN7rocprim17ROCPRIM_400000_NS6detail17trampoline_kernelINS0_13select_configILj256ELj13ELNS0_17block_load_methodE3ELS4_3ELS4_3ELNS0_20block_scan_algorithmE0ELj4294967295EEENS1_25partition_config_selectorILNS1_17partition_subalgoE4EjNS0_10empty_typeEbEEZZNS1_14partition_implILS8_4ELb0ES6_15HIP_vector_typeIjLj2EENS0_17counting_iteratorIjlEEPS9_SG_NS0_5tupleIJPjSI_NS0_16reverse_iteratorISI_EEEEENSH_IJSG_SG_SG_EEES9_SI_JZNS1_25segmented_radix_sort_implINS0_14default_configELb1EPKiPiPKlPlN2at6native12_GLOBAL__N_18offset_tEEE10hipError_tPvRmT1_PNSt15iterator_traitsIS12_E10value_typeET2_T3_PNS13_IS18_E10value_typeET4_jRbjT5_S1E_jjP12ihipStream_tbEUljE_ZNSN_ISO_Lb1ESQ_SR_ST_SU_SY_EESZ_S10_S11_S12_S16_S17_S18_S1B_S1C_jS1D_jS1E_S1E_jjS1G_bEUljE0_EEESZ_S10_S11_S18_S1C_S1E_T6_T7_T9_mT8_S1G_bDpT10_ENKUlT_T0_E_clISt17integral_constantIbLb1EES1T_IbLb0EEEEDaS1P_S1Q_EUlS1P_E_NS1_11comp_targetILNS1_3genE3ELNS1_11target_archE908ELNS1_3gpuE7ELNS1_3repE0EEENS1_30default_config_static_selectorELNS0_4arch9wavefront6targetE0EEEvS12_, .Lfunc_end452-_ZN7rocprim17ROCPRIM_400000_NS6detail17trampoline_kernelINS0_13select_configILj256ELj13ELNS0_17block_load_methodE3ELS4_3ELS4_3ELNS0_20block_scan_algorithmE0ELj4294967295EEENS1_25partition_config_selectorILNS1_17partition_subalgoE4EjNS0_10empty_typeEbEEZZNS1_14partition_implILS8_4ELb0ES6_15HIP_vector_typeIjLj2EENS0_17counting_iteratorIjlEEPS9_SG_NS0_5tupleIJPjSI_NS0_16reverse_iteratorISI_EEEEENSH_IJSG_SG_SG_EEES9_SI_JZNS1_25segmented_radix_sort_implINS0_14default_configELb1EPKiPiPKlPlN2at6native12_GLOBAL__N_18offset_tEEE10hipError_tPvRmT1_PNSt15iterator_traitsIS12_E10value_typeET2_T3_PNS13_IS18_E10value_typeET4_jRbjT5_S1E_jjP12ihipStream_tbEUljE_ZNSN_ISO_Lb1ESQ_SR_ST_SU_SY_EESZ_S10_S11_S12_S16_S17_S18_S1B_S1C_jS1D_jS1E_S1E_jjS1G_bEUljE0_EEESZ_S10_S11_S18_S1C_S1E_T6_T7_T9_mT8_S1G_bDpT10_ENKUlT_T0_E_clISt17integral_constantIbLb1EES1T_IbLb0EEEEDaS1P_S1Q_EUlS1P_E_NS1_11comp_targetILNS1_3genE3ELNS1_11target_archE908ELNS1_3gpuE7ELNS1_3repE0EEENS1_30default_config_static_selectorELNS0_4arch9wavefront6targetE0EEEvS12_
                                        ; -- End function
	.set _ZN7rocprim17ROCPRIM_400000_NS6detail17trampoline_kernelINS0_13select_configILj256ELj13ELNS0_17block_load_methodE3ELS4_3ELS4_3ELNS0_20block_scan_algorithmE0ELj4294967295EEENS1_25partition_config_selectorILNS1_17partition_subalgoE4EjNS0_10empty_typeEbEEZZNS1_14partition_implILS8_4ELb0ES6_15HIP_vector_typeIjLj2EENS0_17counting_iteratorIjlEEPS9_SG_NS0_5tupleIJPjSI_NS0_16reverse_iteratorISI_EEEEENSH_IJSG_SG_SG_EEES9_SI_JZNS1_25segmented_radix_sort_implINS0_14default_configELb1EPKiPiPKlPlN2at6native12_GLOBAL__N_18offset_tEEE10hipError_tPvRmT1_PNSt15iterator_traitsIS12_E10value_typeET2_T3_PNS13_IS18_E10value_typeET4_jRbjT5_S1E_jjP12ihipStream_tbEUljE_ZNSN_ISO_Lb1ESQ_SR_ST_SU_SY_EESZ_S10_S11_S12_S16_S17_S18_S1B_S1C_jS1D_jS1E_S1E_jjS1G_bEUljE0_EEESZ_S10_S11_S18_S1C_S1E_T6_T7_T9_mT8_S1G_bDpT10_ENKUlT_T0_E_clISt17integral_constantIbLb1EES1T_IbLb0EEEEDaS1P_S1Q_EUlS1P_E_NS1_11comp_targetILNS1_3genE3ELNS1_11target_archE908ELNS1_3gpuE7ELNS1_3repE0EEENS1_30default_config_static_selectorELNS0_4arch9wavefront6targetE0EEEvS12_.num_vgpr, 0
	.set _ZN7rocprim17ROCPRIM_400000_NS6detail17trampoline_kernelINS0_13select_configILj256ELj13ELNS0_17block_load_methodE3ELS4_3ELS4_3ELNS0_20block_scan_algorithmE0ELj4294967295EEENS1_25partition_config_selectorILNS1_17partition_subalgoE4EjNS0_10empty_typeEbEEZZNS1_14partition_implILS8_4ELb0ES6_15HIP_vector_typeIjLj2EENS0_17counting_iteratorIjlEEPS9_SG_NS0_5tupleIJPjSI_NS0_16reverse_iteratorISI_EEEEENSH_IJSG_SG_SG_EEES9_SI_JZNS1_25segmented_radix_sort_implINS0_14default_configELb1EPKiPiPKlPlN2at6native12_GLOBAL__N_18offset_tEEE10hipError_tPvRmT1_PNSt15iterator_traitsIS12_E10value_typeET2_T3_PNS13_IS18_E10value_typeET4_jRbjT5_S1E_jjP12ihipStream_tbEUljE_ZNSN_ISO_Lb1ESQ_SR_ST_SU_SY_EESZ_S10_S11_S12_S16_S17_S18_S1B_S1C_jS1D_jS1E_S1E_jjS1G_bEUljE0_EEESZ_S10_S11_S18_S1C_S1E_T6_T7_T9_mT8_S1G_bDpT10_ENKUlT_T0_E_clISt17integral_constantIbLb1EES1T_IbLb0EEEEDaS1P_S1Q_EUlS1P_E_NS1_11comp_targetILNS1_3genE3ELNS1_11target_archE908ELNS1_3gpuE7ELNS1_3repE0EEENS1_30default_config_static_selectorELNS0_4arch9wavefront6targetE0EEEvS12_.num_agpr, 0
	.set _ZN7rocprim17ROCPRIM_400000_NS6detail17trampoline_kernelINS0_13select_configILj256ELj13ELNS0_17block_load_methodE3ELS4_3ELS4_3ELNS0_20block_scan_algorithmE0ELj4294967295EEENS1_25partition_config_selectorILNS1_17partition_subalgoE4EjNS0_10empty_typeEbEEZZNS1_14partition_implILS8_4ELb0ES6_15HIP_vector_typeIjLj2EENS0_17counting_iteratorIjlEEPS9_SG_NS0_5tupleIJPjSI_NS0_16reverse_iteratorISI_EEEEENSH_IJSG_SG_SG_EEES9_SI_JZNS1_25segmented_radix_sort_implINS0_14default_configELb1EPKiPiPKlPlN2at6native12_GLOBAL__N_18offset_tEEE10hipError_tPvRmT1_PNSt15iterator_traitsIS12_E10value_typeET2_T3_PNS13_IS18_E10value_typeET4_jRbjT5_S1E_jjP12ihipStream_tbEUljE_ZNSN_ISO_Lb1ESQ_SR_ST_SU_SY_EESZ_S10_S11_S12_S16_S17_S18_S1B_S1C_jS1D_jS1E_S1E_jjS1G_bEUljE0_EEESZ_S10_S11_S18_S1C_S1E_T6_T7_T9_mT8_S1G_bDpT10_ENKUlT_T0_E_clISt17integral_constantIbLb1EES1T_IbLb0EEEEDaS1P_S1Q_EUlS1P_E_NS1_11comp_targetILNS1_3genE3ELNS1_11target_archE908ELNS1_3gpuE7ELNS1_3repE0EEENS1_30default_config_static_selectorELNS0_4arch9wavefront6targetE0EEEvS12_.numbered_sgpr, 0
	.set _ZN7rocprim17ROCPRIM_400000_NS6detail17trampoline_kernelINS0_13select_configILj256ELj13ELNS0_17block_load_methodE3ELS4_3ELS4_3ELNS0_20block_scan_algorithmE0ELj4294967295EEENS1_25partition_config_selectorILNS1_17partition_subalgoE4EjNS0_10empty_typeEbEEZZNS1_14partition_implILS8_4ELb0ES6_15HIP_vector_typeIjLj2EENS0_17counting_iteratorIjlEEPS9_SG_NS0_5tupleIJPjSI_NS0_16reverse_iteratorISI_EEEEENSH_IJSG_SG_SG_EEES9_SI_JZNS1_25segmented_radix_sort_implINS0_14default_configELb1EPKiPiPKlPlN2at6native12_GLOBAL__N_18offset_tEEE10hipError_tPvRmT1_PNSt15iterator_traitsIS12_E10value_typeET2_T3_PNS13_IS18_E10value_typeET4_jRbjT5_S1E_jjP12ihipStream_tbEUljE_ZNSN_ISO_Lb1ESQ_SR_ST_SU_SY_EESZ_S10_S11_S12_S16_S17_S18_S1B_S1C_jS1D_jS1E_S1E_jjS1G_bEUljE0_EEESZ_S10_S11_S18_S1C_S1E_T6_T7_T9_mT8_S1G_bDpT10_ENKUlT_T0_E_clISt17integral_constantIbLb1EES1T_IbLb0EEEEDaS1P_S1Q_EUlS1P_E_NS1_11comp_targetILNS1_3genE3ELNS1_11target_archE908ELNS1_3gpuE7ELNS1_3repE0EEENS1_30default_config_static_selectorELNS0_4arch9wavefront6targetE0EEEvS12_.num_named_barrier, 0
	.set _ZN7rocprim17ROCPRIM_400000_NS6detail17trampoline_kernelINS0_13select_configILj256ELj13ELNS0_17block_load_methodE3ELS4_3ELS4_3ELNS0_20block_scan_algorithmE0ELj4294967295EEENS1_25partition_config_selectorILNS1_17partition_subalgoE4EjNS0_10empty_typeEbEEZZNS1_14partition_implILS8_4ELb0ES6_15HIP_vector_typeIjLj2EENS0_17counting_iteratorIjlEEPS9_SG_NS0_5tupleIJPjSI_NS0_16reverse_iteratorISI_EEEEENSH_IJSG_SG_SG_EEES9_SI_JZNS1_25segmented_radix_sort_implINS0_14default_configELb1EPKiPiPKlPlN2at6native12_GLOBAL__N_18offset_tEEE10hipError_tPvRmT1_PNSt15iterator_traitsIS12_E10value_typeET2_T3_PNS13_IS18_E10value_typeET4_jRbjT5_S1E_jjP12ihipStream_tbEUljE_ZNSN_ISO_Lb1ESQ_SR_ST_SU_SY_EESZ_S10_S11_S12_S16_S17_S18_S1B_S1C_jS1D_jS1E_S1E_jjS1G_bEUljE0_EEESZ_S10_S11_S18_S1C_S1E_T6_T7_T9_mT8_S1G_bDpT10_ENKUlT_T0_E_clISt17integral_constantIbLb1EES1T_IbLb0EEEEDaS1P_S1Q_EUlS1P_E_NS1_11comp_targetILNS1_3genE3ELNS1_11target_archE908ELNS1_3gpuE7ELNS1_3repE0EEENS1_30default_config_static_selectorELNS0_4arch9wavefront6targetE0EEEvS12_.private_seg_size, 0
	.set _ZN7rocprim17ROCPRIM_400000_NS6detail17trampoline_kernelINS0_13select_configILj256ELj13ELNS0_17block_load_methodE3ELS4_3ELS4_3ELNS0_20block_scan_algorithmE0ELj4294967295EEENS1_25partition_config_selectorILNS1_17partition_subalgoE4EjNS0_10empty_typeEbEEZZNS1_14partition_implILS8_4ELb0ES6_15HIP_vector_typeIjLj2EENS0_17counting_iteratorIjlEEPS9_SG_NS0_5tupleIJPjSI_NS0_16reverse_iteratorISI_EEEEENSH_IJSG_SG_SG_EEES9_SI_JZNS1_25segmented_radix_sort_implINS0_14default_configELb1EPKiPiPKlPlN2at6native12_GLOBAL__N_18offset_tEEE10hipError_tPvRmT1_PNSt15iterator_traitsIS12_E10value_typeET2_T3_PNS13_IS18_E10value_typeET4_jRbjT5_S1E_jjP12ihipStream_tbEUljE_ZNSN_ISO_Lb1ESQ_SR_ST_SU_SY_EESZ_S10_S11_S12_S16_S17_S18_S1B_S1C_jS1D_jS1E_S1E_jjS1G_bEUljE0_EEESZ_S10_S11_S18_S1C_S1E_T6_T7_T9_mT8_S1G_bDpT10_ENKUlT_T0_E_clISt17integral_constantIbLb1EES1T_IbLb0EEEEDaS1P_S1Q_EUlS1P_E_NS1_11comp_targetILNS1_3genE3ELNS1_11target_archE908ELNS1_3gpuE7ELNS1_3repE0EEENS1_30default_config_static_selectorELNS0_4arch9wavefront6targetE0EEEvS12_.uses_vcc, 0
	.set _ZN7rocprim17ROCPRIM_400000_NS6detail17trampoline_kernelINS0_13select_configILj256ELj13ELNS0_17block_load_methodE3ELS4_3ELS4_3ELNS0_20block_scan_algorithmE0ELj4294967295EEENS1_25partition_config_selectorILNS1_17partition_subalgoE4EjNS0_10empty_typeEbEEZZNS1_14partition_implILS8_4ELb0ES6_15HIP_vector_typeIjLj2EENS0_17counting_iteratorIjlEEPS9_SG_NS0_5tupleIJPjSI_NS0_16reverse_iteratorISI_EEEEENSH_IJSG_SG_SG_EEES9_SI_JZNS1_25segmented_radix_sort_implINS0_14default_configELb1EPKiPiPKlPlN2at6native12_GLOBAL__N_18offset_tEEE10hipError_tPvRmT1_PNSt15iterator_traitsIS12_E10value_typeET2_T3_PNS13_IS18_E10value_typeET4_jRbjT5_S1E_jjP12ihipStream_tbEUljE_ZNSN_ISO_Lb1ESQ_SR_ST_SU_SY_EESZ_S10_S11_S12_S16_S17_S18_S1B_S1C_jS1D_jS1E_S1E_jjS1G_bEUljE0_EEESZ_S10_S11_S18_S1C_S1E_T6_T7_T9_mT8_S1G_bDpT10_ENKUlT_T0_E_clISt17integral_constantIbLb1EES1T_IbLb0EEEEDaS1P_S1Q_EUlS1P_E_NS1_11comp_targetILNS1_3genE3ELNS1_11target_archE908ELNS1_3gpuE7ELNS1_3repE0EEENS1_30default_config_static_selectorELNS0_4arch9wavefront6targetE0EEEvS12_.uses_flat_scratch, 0
	.set _ZN7rocprim17ROCPRIM_400000_NS6detail17trampoline_kernelINS0_13select_configILj256ELj13ELNS0_17block_load_methodE3ELS4_3ELS4_3ELNS0_20block_scan_algorithmE0ELj4294967295EEENS1_25partition_config_selectorILNS1_17partition_subalgoE4EjNS0_10empty_typeEbEEZZNS1_14partition_implILS8_4ELb0ES6_15HIP_vector_typeIjLj2EENS0_17counting_iteratorIjlEEPS9_SG_NS0_5tupleIJPjSI_NS0_16reverse_iteratorISI_EEEEENSH_IJSG_SG_SG_EEES9_SI_JZNS1_25segmented_radix_sort_implINS0_14default_configELb1EPKiPiPKlPlN2at6native12_GLOBAL__N_18offset_tEEE10hipError_tPvRmT1_PNSt15iterator_traitsIS12_E10value_typeET2_T3_PNS13_IS18_E10value_typeET4_jRbjT5_S1E_jjP12ihipStream_tbEUljE_ZNSN_ISO_Lb1ESQ_SR_ST_SU_SY_EESZ_S10_S11_S12_S16_S17_S18_S1B_S1C_jS1D_jS1E_S1E_jjS1G_bEUljE0_EEESZ_S10_S11_S18_S1C_S1E_T6_T7_T9_mT8_S1G_bDpT10_ENKUlT_T0_E_clISt17integral_constantIbLb1EES1T_IbLb0EEEEDaS1P_S1Q_EUlS1P_E_NS1_11comp_targetILNS1_3genE3ELNS1_11target_archE908ELNS1_3gpuE7ELNS1_3repE0EEENS1_30default_config_static_selectorELNS0_4arch9wavefront6targetE0EEEvS12_.has_dyn_sized_stack, 0
	.set _ZN7rocprim17ROCPRIM_400000_NS6detail17trampoline_kernelINS0_13select_configILj256ELj13ELNS0_17block_load_methodE3ELS4_3ELS4_3ELNS0_20block_scan_algorithmE0ELj4294967295EEENS1_25partition_config_selectorILNS1_17partition_subalgoE4EjNS0_10empty_typeEbEEZZNS1_14partition_implILS8_4ELb0ES6_15HIP_vector_typeIjLj2EENS0_17counting_iteratorIjlEEPS9_SG_NS0_5tupleIJPjSI_NS0_16reverse_iteratorISI_EEEEENSH_IJSG_SG_SG_EEES9_SI_JZNS1_25segmented_radix_sort_implINS0_14default_configELb1EPKiPiPKlPlN2at6native12_GLOBAL__N_18offset_tEEE10hipError_tPvRmT1_PNSt15iterator_traitsIS12_E10value_typeET2_T3_PNS13_IS18_E10value_typeET4_jRbjT5_S1E_jjP12ihipStream_tbEUljE_ZNSN_ISO_Lb1ESQ_SR_ST_SU_SY_EESZ_S10_S11_S12_S16_S17_S18_S1B_S1C_jS1D_jS1E_S1E_jjS1G_bEUljE0_EEESZ_S10_S11_S18_S1C_S1E_T6_T7_T9_mT8_S1G_bDpT10_ENKUlT_T0_E_clISt17integral_constantIbLb1EES1T_IbLb0EEEEDaS1P_S1Q_EUlS1P_E_NS1_11comp_targetILNS1_3genE3ELNS1_11target_archE908ELNS1_3gpuE7ELNS1_3repE0EEENS1_30default_config_static_selectorELNS0_4arch9wavefront6targetE0EEEvS12_.has_recursion, 0
	.set _ZN7rocprim17ROCPRIM_400000_NS6detail17trampoline_kernelINS0_13select_configILj256ELj13ELNS0_17block_load_methodE3ELS4_3ELS4_3ELNS0_20block_scan_algorithmE0ELj4294967295EEENS1_25partition_config_selectorILNS1_17partition_subalgoE4EjNS0_10empty_typeEbEEZZNS1_14partition_implILS8_4ELb0ES6_15HIP_vector_typeIjLj2EENS0_17counting_iteratorIjlEEPS9_SG_NS0_5tupleIJPjSI_NS0_16reverse_iteratorISI_EEEEENSH_IJSG_SG_SG_EEES9_SI_JZNS1_25segmented_radix_sort_implINS0_14default_configELb1EPKiPiPKlPlN2at6native12_GLOBAL__N_18offset_tEEE10hipError_tPvRmT1_PNSt15iterator_traitsIS12_E10value_typeET2_T3_PNS13_IS18_E10value_typeET4_jRbjT5_S1E_jjP12ihipStream_tbEUljE_ZNSN_ISO_Lb1ESQ_SR_ST_SU_SY_EESZ_S10_S11_S12_S16_S17_S18_S1B_S1C_jS1D_jS1E_S1E_jjS1G_bEUljE0_EEESZ_S10_S11_S18_S1C_S1E_T6_T7_T9_mT8_S1G_bDpT10_ENKUlT_T0_E_clISt17integral_constantIbLb1EES1T_IbLb0EEEEDaS1P_S1Q_EUlS1P_E_NS1_11comp_targetILNS1_3genE3ELNS1_11target_archE908ELNS1_3gpuE7ELNS1_3repE0EEENS1_30default_config_static_selectorELNS0_4arch9wavefront6targetE0EEEvS12_.has_indirect_call, 0
	.section	.AMDGPU.csdata,"",@progbits
; Kernel info:
; codeLenInByte = 0
; TotalNumSgprs: 0
; NumVgprs: 0
; ScratchSize: 0
; MemoryBound: 0
; FloatMode: 240
; IeeeMode: 1
; LDSByteSize: 0 bytes/workgroup (compile time only)
; SGPRBlocks: 0
; VGPRBlocks: 0
; NumSGPRsForWavesPerEU: 1
; NumVGPRsForWavesPerEU: 1
; Occupancy: 16
; WaveLimiterHint : 0
; COMPUTE_PGM_RSRC2:SCRATCH_EN: 0
; COMPUTE_PGM_RSRC2:USER_SGPR: 2
; COMPUTE_PGM_RSRC2:TRAP_HANDLER: 0
; COMPUTE_PGM_RSRC2:TGID_X_EN: 1
; COMPUTE_PGM_RSRC2:TGID_Y_EN: 0
; COMPUTE_PGM_RSRC2:TGID_Z_EN: 0
; COMPUTE_PGM_RSRC2:TIDIG_COMP_CNT: 0
	.section	.text._ZN7rocprim17ROCPRIM_400000_NS6detail17trampoline_kernelINS0_13select_configILj256ELj13ELNS0_17block_load_methodE3ELS4_3ELS4_3ELNS0_20block_scan_algorithmE0ELj4294967295EEENS1_25partition_config_selectorILNS1_17partition_subalgoE4EjNS0_10empty_typeEbEEZZNS1_14partition_implILS8_4ELb0ES6_15HIP_vector_typeIjLj2EENS0_17counting_iteratorIjlEEPS9_SG_NS0_5tupleIJPjSI_NS0_16reverse_iteratorISI_EEEEENSH_IJSG_SG_SG_EEES9_SI_JZNS1_25segmented_radix_sort_implINS0_14default_configELb1EPKiPiPKlPlN2at6native12_GLOBAL__N_18offset_tEEE10hipError_tPvRmT1_PNSt15iterator_traitsIS12_E10value_typeET2_T3_PNS13_IS18_E10value_typeET4_jRbjT5_S1E_jjP12ihipStream_tbEUljE_ZNSN_ISO_Lb1ESQ_SR_ST_SU_SY_EESZ_S10_S11_S12_S16_S17_S18_S1B_S1C_jS1D_jS1E_S1E_jjS1G_bEUljE0_EEESZ_S10_S11_S18_S1C_S1E_T6_T7_T9_mT8_S1G_bDpT10_ENKUlT_T0_E_clISt17integral_constantIbLb1EES1T_IbLb0EEEEDaS1P_S1Q_EUlS1P_E_NS1_11comp_targetILNS1_3genE2ELNS1_11target_archE906ELNS1_3gpuE6ELNS1_3repE0EEENS1_30default_config_static_selectorELNS0_4arch9wavefront6targetE0EEEvS12_,"axG",@progbits,_ZN7rocprim17ROCPRIM_400000_NS6detail17trampoline_kernelINS0_13select_configILj256ELj13ELNS0_17block_load_methodE3ELS4_3ELS4_3ELNS0_20block_scan_algorithmE0ELj4294967295EEENS1_25partition_config_selectorILNS1_17partition_subalgoE4EjNS0_10empty_typeEbEEZZNS1_14partition_implILS8_4ELb0ES6_15HIP_vector_typeIjLj2EENS0_17counting_iteratorIjlEEPS9_SG_NS0_5tupleIJPjSI_NS0_16reverse_iteratorISI_EEEEENSH_IJSG_SG_SG_EEES9_SI_JZNS1_25segmented_radix_sort_implINS0_14default_configELb1EPKiPiPKlPlN2at6native12_GLOBAL__N_18offset_tEEE10hipError_tPvRmT1_PNSt15iterator_traitsIS12_E10value_typeET2_T3_PNS13_IS18_E10value_typeET4_jRbjT5_S1E_jjP12ihipStream_tbEUljE_ZNSN_ISO_Lb1ESQ_SR_ST_SU_SY_EESZ_S10_S11_S12_S16_S17_S18_S1B_S1C_jS1D_jS1E_S1E_jjS1G_bEUljE0_EEESZ_S10_S11_S18_S1C_S1E_T6_T7_T9_mT8_S1G_bDpT10_ENKUlT_T0_E_clISt17integral_constantIbLb1EES1T_IbLb0EEEEDaS1P_S1Q_EUlS1P_E_NS1_11comp_targetILNS1_3genE2ELNS1_11target_archE906ELNS1_3gpuE6ELNS1_3repE0EEENS1_30default_config_static_selectorELNS0_4arch9wavefront6targetE0EEEvS12_,comdat
	.globl	_ZN7rocprim17ROCPRIM_400000_NS6detail17trampoline_kernelINS0_13select_configILj256ELj13ELNS0_17block_load_methodE3ELS4_3ELS4_3ELNS0_20block_scan_algorithmE0ELj4294967295EEENS1_25partition_config_selectorILNS1_17partition_subalgoE4EjNS0_10empty_typeEbEEZZNS1_14partition_implILS8_4ELb0ES6_15HIP_vector_typeIjLj2EENS0_17counting_iteratorIjlEEPS9_SG_NS0_5tupleIJPjSI_NS0_16reverse_iteratorISI_EEEEENSH_IJSG_SG_SG_EEES9_SI_JZNS1_25segmented_radix_sort_implINS0_14default_configELb1EPKiPiPKlPlN2at6native12_GLOBAL__N_18offset_tEEE10hipError_tPvRmT1_PNSt15iterator_traitsIS12_E10value_typeET2_T3_PNS13_IS18_E10value_typeET4_jRbjT5_S1E_jjP12ihipStream_tbEUljE_ZNSN_ISO_Lb1ESQ_SR_ST_SU_SY_EESZ_S10_S11_S12_S16_S17_S18_S1B_S1C_jS1D_jS1E_S1E_jjS1G_bEUljE0_EEESZ_S10_S11_S18_S1C_S1E_T6_T7_T9_mT8_S1G_bDpT10_ENKUlT_T0_E_clISt17integral_constantIbLb1EES1T_IbLb0EEEEDaS1P_S1Q_EUlS1P_E_NS1_11comp_targetILNS1_3genE2ELNS1_11target_archE906ELNS1_3gpuE6ELNS1_3repE0EEENS1_30default_config_static_selectorELNS0_4arch9wavefront6targetE0EEEvS12_ ; -- Begin function _ZN7rocprim17ROCPRIM_400000_NS6detail17trampoline_kernelINS0_13select_configILj256ELj13ELNS0_17block_load_methodE3ELS4_3ELS4_3ELNS0_20block_scan_algorithmE0ELj4294967295EEENS1_25partition_config_selectorILNS1_17partition_subalgoE4EjNS0_10empty_typeEbEEZZNS1_14partition_implILS8_4ELb0ES6_15HIP_vector_typeIjLj2EENS0_17counting_iteratorIjlEEPS9_SG_NS0_5tupleIJPjSI_NS0_16reverse_iteratorISI_EEEEENSH_IJSG_SG_SG_EEES9_SI_JZNS1_25segmented_radix_sort_implINS0_14default_configELb1EPKiPiPKlPlN2at6native12_GLOBAL__N_18offset_tEEE10hipError_tPvRmT1_PNSt15iterator_traitsIS12_E10value_typeET2_T3_PNS13_IS18_E10value_typeET4_jRbjT5_S1E_jjP12ihipStream_tbEUljE_ZNSN_ISO_Lb1ESQ_SR_ST_SU_SY_EESZ_S10_S11_S12_S16_S17_S18_S1B_S1C_jS1D_jS1E_S1E_jjS1G_bEUljE0_EEESZ_S10_S11_S18_S1C_S1E_T6_T7_T9_mT8_S1G_bDpT10_ENKUlT_T0_E_clISt17integral_constantIbLb1EES1T_IbLb0EEEEDaS1P_S1Q_EUlS1P_E_NS1_11comp_targetILNS1_3genE2ELNS1_11target_archE906ELNS1_3gpuE6ELNS1_3repE0EEENS1_30default_config_static_selectorELNS0_4arch9wavefront6targetE0EEEvS12_
	.p2align	8
	.type	_ZN7rocprim17ROCPRIM_400000_NS6detail17trampoline_kernelINS0_13select_configILj256ELj13ELNS0_17block_load_methodE3ELS4_3ELS4_3ELNS0_20block_scan_algorithmE0ELj4294967295EEENS1_25partition_config_selectorILNS1_17partition_subalgoE4EjNS0_10empty_typeEbEEZZNS1_14partition_implILS8_4ELb0ES6_15HIP_vector_typeIjLj2EENS0_17counting_iteratorIjlEEPS9_SG_NS0_5tupleIJPjSI_NS0_16reverse_iteratorISI_EEEEENSH_IJSG_SG_SG_EEES9_SI_JZNS1_25segmented_radix_sort_implINS0_14default_configELb1EPKiPiPKlPlN2at6native12_GLOBAL__N_18offset_tEEE10hipError_tPvRmT1_PNSt15iterator_traitsIS12_E10value_typeET2_T3_PNS13_IS18_E10value_typeET4_jRbjT5_S1E_jjP12ihipStream_tbEUljE_ZNSN_ISO_Lb1ESQ_SR_ST_SU_SY_EESZ_S10_S11_S12_S16_S17_S18_S1B_S1C_jS1D_jS1E_S1E_jjS1G_bEUljE0_EEESZ_S10_S11_S18_S1C_S1E_T6_T7_T9_mT8_S1G_bDpT10_ENKUlT_T0_E_clISt17integral_constantIbLb1EES1T_IbLb0EEEEDaS1P_S1Q_EUlS1P_E_NS1_11comp_targetILNS1_3genE2ELNS1_11target_archE906ELNS1_3gpuE6ELNS1_3repE0EEENS1_30default_config_static_selectorELNS0_4arch9wavefront6targetE0EEEvS12_,@function
_ZN7rocprim17ROCPRIM_400000_NS6detail17trampoline_kernelINS0_13select_configILj256ELj13ELNS0_17block_load_methodE3ELS4_3ELS4_3ELNS0_20block_scan_algorithmE0ELj4294967295EEENS1_25partition_config_selectorILNS1_17partition_subalgoE4EjNS0_10empty_typeEbEEZZNS1_14partition_implILS8_4ELb0ES6_15HIP_vector_typeIjLj2EENS0_17counting_iteratorIjlEEPS9_SG_NS0_5tupleIJPjSI_NS0_16reverse_iteratorISI_EEEEENSH_IJSG_SG_SG_EEES9_SI_JZNS1_25segmented_radix_sort_implINS0_14default_configELb1EPKiPiPKlPlN2at6native12_GLOBAL__N_18offset_tEEE10hipError_tPvRmT1_PNSt15iterator_traitsIS12_E10value_typeET2_T3_PNS13_IS18_E10value_typeET4_jRbjT5_S1E_jjP12ihipStream_tbEUljE_ZNSN_ISO_Lb1ESQ_SR_ST_SU_SY_EESZ_S10_S11_S12_S16_S17_S18_S1B_S1C_jS1D_jS1E_S1E_jjS1G_bEUljE0_EEESZ_S10_S11_S18_S1C_S1E_T6_T7_T9_mT8_S1G_bDpT10_ENKUlT_T0_E_clISt17integral_constantIbLb1EES1T_IbLb0EEEEDaS1P_S1Q_EUlS1P_E_NS1_11comp_targetILNS1_3genE2ELNS1_11target_archE906ELNS1_3gpuE6ELNS1_3repE0EEENS1_30default_config_static_selectorELNS0_4arch9wavefront6targetE0EEEvS12_: ; @_ZN7rocprim17ROCPRIM_400000_NS6detail17trampoline_kernelINS0_13select_configILj256ELj13ELNS0_17block_load_methodE3ELS4_3ELS4_3ELNS0_20block_scan_algorithmE0ELj4294967295EEENS1_25partition_config_selectorILNS1_17partition_subalgoE4EjNS0_10empty_typeEbEEZZNS1_14partition_implILS8_4ELb0ES6_15HIP_vector_typeIjLj2EENS0_17counting_iteratorIjlEEPS9_SG_NS0_5tupleIJPjSI_NS0_16reverse_iteratorISI_EEEEENSH_IJSG_SG_SG_EEES9_SI_JZNS1_25segmented_radix_sort_implINS0_14default_configELb1EPKiPiPKlPlN2at6native12_GLOBAL__N_18offset_tEEE10hipError_tPvRmT1_PNSt15iterator_traitsIS12_E10value_typeET2_T3_PNS13_IS18_E10value_typeET4_jRbjT5_S1E_jjP12ihipStream_tbEUljE_ZNSN_ISO_Lb1ESQ_SR_ST_SU_SY_EESZ_S10_S11_S12_S16_S17_S18_S1B_S1C_jS1D_jS1E_S1E_jjS1G_bEUljE0_EEESZ_S10_S11_S18_S1C_S1E_T6_T7_T9_mT8_S1G_bDpT10_ENKUlT_T0_E_clISt17integral_constantIbLb1EES1T_IbLb0EEEEDaS1P_S1Q_EUlS1P_E_NS1_11comp_targetILNS1_3genE2ELNS1_11target_archE906ELNS1_3gpuE6ELNS1_3repE0EEENS1_30default_config_static_selectorELNS0_4arch9wavefront6targetE0EEEvS12_
; %bb.0:
	.section	.rodata,"a",@progbits
	.p2align	6, 0x0
	.amdhsa_kernel _ZN7rocprim17ROCPRIM_400000_NS6detail17trampoline_kernelINS0_13select_configILj256ELj13ELNS0_17block_load_methodE3ELS4_3ELS4_3ELNS0_20block_scan_algorithmE0ELj4294967295EEENS1_25partition_config_selectorILNS1_17partition_subalgoE4EjNS0_10empty_typeEbEEZZNS1_14partition_implILS8_4ELb0ES6_15HIP_vector_typeIjLj2EENS0_17counting_iteratorIjlEEPS9_SG_NS0_5tupleIJPjSI_NS0_16reverse_iteratorISI_EEEEENSH_IJSG_SG_SG_EEES9_SI_JZNS1_25segmented_radix_sort_implINS0_14default_configELb1EPKiPiPKlPlN2at6native12_GLOBAL__N_18offset_tEEE10hipError_tPvRmT1_PNSt15iterator_traitsIS12_E10value_typeET2_T3_PNS13_IS18_E10value_typeET4_jRbjT5_S1E_jjP12ihipStream_tbEUljE_ZNSN_ISO_Lb1ESQ_SR_ST_SU_SY_EESZ_S10_S11_S12_S16_S17_S18_S1B_S1C_jS1D_jS1E_S1E_jjS1G_bEUljE0_EEESZ_S10_S11_S18_S1C_S1E_T6_T7_T9_mT8_S1G_bDpT10_ENKUlT_T0_E_clISt17integral_constantIbLb1EES1T_IbLb0EEEEDaS1P_S1Q_EUlS1P_E_NS1_11comp_targetILNS1_3genE2ELNS1_11target_archE906ELNS1_3gpuE6ELNS1_3repE0EEENS1_30default_config_static_selectorELNS0_4arch9wavefront6targetE0EEEvS12_
		.amdhsa_group_segment_fixed_size 0
		.amdhsa_private_segment_fixed_size 0
		.amdhsa_kernarg_size 176
		.amdhsa_user_sgpr_count 2
		.amdhsa_user_sgpr_dispatch_ptr 0
		.amdhsa_user_sgpr_queue_ptr 0
		.amdhsa_user_sgpr_kernarg_segment_ptr 1
		.amdhsa_user_sgpr_dispatch_id 0
		.amdhsa_user_sgpr_private_segment_size 0
		.amdhsa_wavefront_size32 1
		.amdhsa_uses_dynamic_stack 0
		.amdhsa_enable_private_segment 0
		.amdhsa_system_sgpr_workgroup_id_x 1
		.amdhsa_system_sgpr_workgroup_id_y 0
		.amdhsa_system_sgpr_workgroup_id_z 0
		.amdhsa_system_sgpr_workgroup_info 0
		.amdhsa_system_vgpr_workitem_id 0
		.amdhsa_next_free_vgpr 1
		.amdhsa_next_free_sgpr 1
		.amdhsa_reserve_vcc 0
		.amdhsa_float_round_mode_32 0
		.amdhsa_float_round_mode_16_64 0
		.amdhsa_float_denorm_mode_32 3
		.amdhsa_float_denorm_mode_16_64 3
		.amdhsa_fp16_overflow 0
		.amdhsa_workgroup_processor_mode 1
		.amdhsa_memory_ordered 1
		.amdhsa_forward_progress 1
		.amdhsa_inst_pref_size 0
		.amdhsa_round_robin_scheduling 0
		.amdhsa_exception_fp_ieee_invalid_op 0
		.amdhsa_exception_fp_denorm_src 0
		.amdhsa_exception_fp_ieee_div_zero 0
		.amdhsa_exception_fp_ieee_overflow 0
		.amdhsa_exception_fp_ieee_underflow 0
		.amdhsa_exception_fp_ieee_inexact 0
		.amdhsa_exception_int_div_zero 0
	.end_amdhsa_kernel
	.section	.text._ZN7rocprim17ROCPRIM_400000_NS6detail17trampoline_kernelINS0_13select_configILj256ELj13ELNS0_17block_load_methodE3ELS4_3ELS4_3ELNS0_20block_scan_algorithmE0ELj4294967295EEENS1_25partition_config_selectorILNS1_17partition_subalgoE4EjNS0_10empty_typeEbEEZZNS1_14partition_implILS8_4ELb0ES6_15HIP_vector_typeIjLj2EENS0_17counting_iteratorIjlEEPS9_SG_NS0_5tupleIJPjSI_NS0_16reverse_iteratorISI_EEEEENSH_IJSG_SG_SG_EEES9_SI_JZNS1_25segmented_radix_sort_implINS0_14default_configELb1EPKiPiPKlPlN2at6native12_GLOBAL__N_18offset_tEEE10hipError_tPvRmT1_PNSt15iterator_traitsIS12_E10value_typeET2_T3_PNS13_IS18_E10value_typeET4_jRbjT5_S1E_jjP12ihipStream_tbEUljE_ZNSN_ISO_Lb1ESQ_SR_ST_SU_SY_EESZ_S10_S11_S12_S16_S17_S18_S1B_S1C_jS1D_jS1E_S1E_jjS1G_bEUljE0_EEESZ_S10_S11_S18_S1C_S1E_T6_T7_T9_mT8_S1G_bDpT10_ENKUlT_T0_E_clISt17integral_constantIbLb1EES1T_IbLb0EEEEDaS1P_S1Q_EUlS1P_E_NS1_11comp_targetILNS1_3genE2ELNS1_11target_archE906ELNS1_3gpuE6ELNS1_3repE0EEENS1_30default_config_static_selectorELNS0_4arch9wavefront6targetE0EEEvS12_,"axG",@progbits,_ZN7rocprim17ROCPRIM_400000_NS6detail17trampoline_kernelINS0_13select_configILj256ELj13ELNS0_17block_load_methodE3ELS4_3ELS4_3ELNS0_20block_scan_algorithmE0ELj4294967295EEENS1_25partition_config_selectorILNS1_17partition_subalgoE4EjNS0_10empty_typeEbEEZZNS1_14partition_implILS8_4ELb0ES6_15HIP_vector_typeIjLj2EENS0_17counting_iteratorIjlEEPS9_SG_NS0_5tupleIJPjSI_NS0_16reverse_iteratorISI_EEEEENSH_IJSG_SG_SG_EEES9_SI_JZNS1_25segmented_radix_sort_implINS0_14default_configELb1EPKiPiPKlPlN2at6native12_GLOBAL__N_18offset_tEEE10hipError_tPvRmT1_PNSt15iterator_traitsIS12_E10value_typeET2_T3_PNS13_IS18_E10value_typeET4_jRbjT5_S1E_jjP12ihipStream_tbEUljE_ZNSN_ISO_Lb1ESQ_SR_ST_SU_SY_EESZ_S10_S11_S12_S16_S17_S18_S1B_S1C_jS1D_jS1E_S1E_jjS1G_bEUljE0_EEESZ_S10_S11_S18_S1C_S1E_T6_T7_T9_mT8_S1G_bDpT10_ENKUlT_T0_E_clISt17integral_constantIbLb1EES1T_IbLb0EEEEDaS1P_S1Q_EUlS1P_E_NS1_11comp_targetILNS1_3genE2ELNS1_11target_archE906ELNS1_3gpuE6ELNS1_3repE0EEENS1_30default_config_static_selectorELNS0_4arch9wavefront6targetE0EEEvS12_,comdat
.Lfunc_end453:
	.size	_ZN7rocprim17ROCPRIM_400000_NS6detail17trampoline_kernelINS0_13select_configILj256ELj13ELNS0_17block_load_methodE3ELS4_3ELS4_3ELNS0_20block_scan_algorithmE0ELj4294967295EEENS1_25partition_config_selectorILNS1_17partition_subalgoE4EjNS0_10empty_typeEbEEZZNS1_14partition_implILS8_4ELb0ES6_15HIP_vector_typeIjLj2EENS0_17counting_iteratorIjlEEPS9_SG_NS0_5tupleIJPjSI_NS0_16reverse_iteratorISI_EEEEENSH_IJSG_SG_SG_EEES9_SI_JZNS1_25segmented_radix_sort_implINS0_14default_configELb1EPKiPiPKlPlN2at6native12_GLOBAL__N_18offset_tEEE10hipError_tPvRmT1_PNSt15iterator_traitsIS12_E10value_typeET2_T3_PNS13_IS18_E10value_typeET4_jRbjT5_S1E_jjP12ihipStream_tbEUljE_ZNSN_ISO_Lb1ESQ_SR_ST_SU_SY_EESZ_S10_S11_S12_S16_S17_S18_S1B_S1C_jS1D_jS1E_S1E_jjS1G_bEUljE0_EEESZ_S10_S11_S18_S1C_S1E_T6_T7_T9_mT8_S1G_bDpT10_ENKUlT_T0_E_clISt17integral_constantIbLb1EES1T_IbLb0EEEEDaS1P_S1Q_EUlS1P_E_NS1_11comp_targetILNS1_3genE2ELNS1_11target_archE906ELNS1_3gpuE6ELNS1_3repE0EEENS1_30default_config_static_selectorELNS0_4arch9wavefront6targetE0EEEvS12_, .Lfunc_end453-_ZN7rocprim17ROCPRIM_400000_NS6detail17trampoline_kernelINS0_13select_configILj256ELj13ELNS0_17block_load_methodE3ELS4_3ELS4_3ELNS0_20block_scan_algorithmE0ELj4294967295EEENS1_25partition_config_selectorILNS1_17partition_subalgoE4EjNS0_10empty_typeEbEEZZNS1_14partition_implILS8_4ELb0ES6_15HIP_vector_typeIjLj2EENS0_17counting_iteratorIjlEEPS9_SG_NS0_5tupleIJPjSI_NS0_16reverse_iteratorISI_EEEEENSH_IJSG_SG_SG_EEES9_SI_JZNS1_25segmented_radix_sort_implINS0_14default_configELb1EPKiPiPKlPlN2at6native12_GLOBAL__N_18offset_tEEE10hipError_tPvRmT1_PNSt15iterator_traitsIS12_E10value_typeET2_T3_PNS13_IS18_E10value_typeET4_jRbjT5_S1E_jjP12ihipStream_tbEUljE_ZNSN_ISO_Lb1ESQ_SR_ST_SU_SY_EESZ_S10_S11_S12_S16_S17_S18_S1B_S1C_jS1D_jS1E_S1E_jjS1G_bEUljE0_EEESZ_S10_S11_S18_S1C_S1E_T6_T7_T9_mT8_S1G_bDpT10_ENKUlT_T0_E_clISt17integral_constantIbLb1EES1T_IbLb0EEEEDaS1P_S1Q_EUlS1P_E_NS1_11comp_targetILNS1_3genE2ELNS1_11target_archE906ELNS1_3gpuE6ELNS1_3repE0EEENS1_30default_config_static_selectorELNS0_4arch9wavefront6targetE0EEEvS12_
                                        ; -- End function
	.set _ZN7rocprim17ROCPRIM_400000_NS6detail17trampoline_kernelINS0_13select_configILj256ELj13ELNS0_17block_load_methodE3ELS4_3ELS4_3ELNS0_20block_scan_algorithmE0ELj4294967295EEENS1_25partition_config_selectorILNS1_17partition_subalgoE4EjNS0_10empty_typeEbEEZZNS1_14partition_implILS8_4ELb0ES6_15HIP_vector_typeIjLj2EENS0_17counting_iteratorIjlEEPS9_SG_NS0_5tupleIJPjSI_NS0_16reverse_iteratorISI_EEEEENSH_IJSG_SG_SG_EEES9_SI_JZNS1_25segmented_radix_sort_implINS0_14default_configELb1EPKiPiPKlPlN2at6native12_GLOBAL__N_18offset_tEEE10hipError_tPvRmT1_PNSt15iterator_traitsIS12_E10value_typeET2_T3_PNS13_IS18_E10value_typeET4_jRbjT5_S1E_jjP12ihipStream_tbEUljE_ZNSN_ISO_Lb1ESQ_SR_ST_SU_SY_EESZ_S10_S11_S12_S16_S17_S18_S1B_S1C_jS1D_jS1E_S1E_jjS1G_bEUljE0_EEESZ_S10_S11_S18_S1C_S1E_T6_T7_T9_mT8_S1G_bDpT10_ENKUlT_T0_E_clISt17integral_constantIbLb1EES1T_IbLb0EEEEDaS1P_S1Q_EUlS1P_E_NS1_11comp_targetILNS1_3genE2ELNS1_11target_archE906ELNS1_3gpuE6ELNS1_3repE0EEENS1_30default_config_static_selectorELNS0_4arch9wavefront6targetE0EEEvS12_.num_vgpr, 0
	.set _ZN7rocprim17ROCPRIM_400000_NS6detail17trampoline_kernelINS0_13select_configILj256ELj13ELNS0_17block_load_methodE3ELS4_3ELS4_3ELNS0_20block_scan_algorithmE0ELj4294967295EEENS1_25partition_config_selectorILNS1_17partition_subalgoE4EjNS0_10empty_typeEbEEZZNS1_14partition_implILS8_4ELb0ES6_15HIP_vector_typeIjLj2EENS0_17counting_iteratorIjlEEPS9_SG_NS0_5tupleIJPjSI_NS0_16reverse_iteratorISI_EEEEENSH_IJSG_SG_SG_EEES9_SI_JZNS1_25segmented_radix_sort_implINS0_14default_configELb1EPKiPiPKlPlN2at6native12_GLOBAL__N_18offset_tEEE10hipError_tPvRmT1_PNSt15iterator_traitsIS12_E10value_typeET2_T3_PNS13_IS18_E10value_typeET4_jRbjT5_S1E_jjP12ihipStream_tbEUljE_ZNSN_ISO_Lb1ESQ_SR_ST_SU_SY_EESZ_S10_S11_S12_S16_S17_S18_S1B_S1C_jS1D_jS1E_S1E_jjS1G_bEUljE0_EEESZ_S10_S11_S18_S1C_S1E_T6_T7_T9_mT8_S1G_bDpT10_ENKUlT_T0_E_clISt17integral_constantIbLb1EES1T_IbLb0EEEEDaS1P_S1Q_EUlS1P_E_NS1_11comp_targetILNS1_3genE2ELNS1_11target_archE906ELNS1_3gpuE6ELNS1_3repE0EEENS1_30default_config_static_selectorELNS0_4arch9wavefront6targetE0EEEvS12_.num_agpr, 0
	.set _ZN7rocprim17ROCPRIM_400000_NS6detail17trampoline_kernelINS0_13select_configILj256ELj13ELNS0_17block_load_methodE3ELS4_3ELS4_3ELNS0_20block_scan_algorithmE0ELj4294967295EEENS1_25partition_config_selectorILNS1_17partition_subalgoE4EjNS0_10empty_typeEbEEZZNS1_14partition_implILS8_4ELb0ES6_15HIP_vector_typeIjLj2EENS0_17counting_iteratorIjlEEPS9_SG_NS0_5tupleIJPjSI_NS0_16reverse_iteratorISI_EEEEENSH_IJSG_SG_SG_EEES9_SI_JZNS1_25segmented_radix_sort_implINS0_14default_configELb1EPKiPiPKlPlN2at6native12_GLOBAL__N_18offset_tEEE10hipError_tPvRmT1_PNSt15iterator_traitsIS12_E10value_typeET2_T3_PNS13_IS18_E10value_typeET4_jRbjT5_S1E_jjP12ihipStream_tbEUljE_ZNSN_ISO_Lb1ESQ_SR_ST_SU_SY_EESZ_S10_S11_S12_S16_S17_S18_S1B_S1C_jS1D_jS1E_S1E_jjS1G_bEUljE0_EEESZ_S10_S11_S18_S1C_S1E_T6_T7_T9_mT8_S1G_bDpT10_ENKUlT_T0_E_clISt17integral_constantIbLb1EES1T_IbLb0EEEEDaS1P_S1Q_EUlS1P_E_NS1_11comp_targetILNS1_3genE2ELNS1_11target_archE906ELNS1_3gpuE6ELNS1_3repE0EEENS1_30default_config_static_selectorELNS0_4arch9wavefront6targetE0EEEvS12_.numbered_sgpr, 0
	.set _ZN7rocprim17ROCPRIM_400000_NS6detail17trampoline_kernelINS0_13select_configILj256ELj13ELNS0_17block_load_methodE3ELS4_3ELS4_3ELNS0_20block_scan_algorithmE0ELj4294967295EEENS1_25partition_config_selectorILNS1_17partition_subalgoE4EjNS0_10empty_typeEbEEZZNS1_14partition_implILS8_4ELb0ES6_15HIP_vector_typeIjLj2EENS0_17counting_iteratorIjlEEPS9_SG_NS0_5tupleIJPjSI_NS0_16reverse_iteratorISI_EEEEENSH_IJSG_SG_SG_EEES9_SI_JZNS1_25segmented_radix_sort_implINS0_14default_configELb1EPKiPiPKlPlN2at6native12_GLOBAL__N_18offset_tEEE10hipError_tPvRmT1_PNSt15iterator_traitsIS12_E10value_typeET2_T3_PNS13_IS18_E10value_typeET4_jRbjT5_S1E_jjP12ihipStream_tbEUljE_ZNSN_ISO_Lb1ESQ_SR_ST_SU_SY_EESZ_S10_S11_S12_S16_S17_S18_S1B_S1C_jS1D_jS1E_S1E_jjS1G_bEUljE0_EEESZ_S10_S11_S18_S1C_S1E_T6_T7_T9_mT8_S1G_bDpT10_ENKUlT_T0_E_clISt17integral_constantIbLb1EES1T_IbLb0EEEEDaS1P_S1Q_EUlS1P_E_NS1_11comp_targetILNS1_3genE2ELNS1_11target_archE906ELNS1_3gpuE6ELNS1_3repE0EEENS1_30default_config_static_selectorELNS0_4arch9wavefront6targetE0EEEvS12_.num_named_barrier, 0
	.set _ZN7rocprim17ROCPRIM_400000_NS6detail17trampoline_kernelINS0_13select_configILj256ELj13ELNS0_17block_load_methodE3ELS4_3ELS4_3ELNS0_20block_scan_algorithmE0ELj4294967295EEENS1_25partition_config_selectorILNS1_17partition_subalgoE4EjNS0_10empty_typeEbEEZZNS1_14partition_implILS8_4ELb0ES6_15HIP_vector_typeIjLj2EENS0_17counting_iteratorIjlEEPS9_SG_NS0_5tupleIJPjSI_NS0_16reverse_iteratorISI_EEEEENSH_IJSG_SG_SG_EEES9_SI_JZNS1_25segmented_radix_sort_implINS0_14default_configELb1EPKiPiPKlPlN2at6native12_GLOBAL__N_18offset_tEEE10hipError_tPvRmT1_PNSt15iterator_traitsIS12_E10value_typeET2_T3_PNS13_IS18_E10value_typeET4_jRbjT5_S1E_jjP12ihipStream_tbEUljE_ZNSN_ISO_Lb1ESQ_SR_ST_SU_SY_EESZ_S10_S11_S12_S16_S17_S18_S1B_S1C_jS1D_jS1E_S1E_jjS1G_bEUljE0_EEESZ_S10_S11_S18_S1C_S1E_T6_T7_T9_mT8_S1G_bDpT10_ENKUlT_T0_E_clISt17integral_constantIbLb1EES1T_IbLb0EEEEDaS1P_S1Q_EUlS1P_E_NS1_11comp_targetILNS1_3genE2ELNS1_11target_archE906ELNS1_3gpuE6ELNS1_3repE0EEENS1_30default_config_static_selectorELNS0_4arch9wavefront6targetE0EEEvS12_.private_seg_size, 0
	.set _ZN7rocprim17ROCPRIM_400000_NS6detail17trampoline_kernelINS0_13select_configILj256ELj13ELNS0_17block_load_methodE3ELS4_3ELS4_3ELNS0_20block_scan_algorithmE0ELj4294967295EEENS1_25partition_config_selectorILNS1_17partition_subalgoE4EjNS0_10empty_typeEbEEZZNS1_14partition_implILS8_4ELb0ES6_15HIP_vector_typeIjLj2EENS0_17counting_iteratorIjlEEPS9_SG_NS0_5tupleIJPjSI_NS0_16reverse_iteratorISI_EEEEENSH_IJSG_SG_SG_EEES9_SI_JZNS1_25segmented_radix_sort_implINS0_14default_configELb1EPKiPiPKlPlN2at6native12_GLOBAL__N_18offset_tEEE10hipError_tPvRmT1_PNSt15iterator_traitsIS12_E10value_typeET2_T3_PNS13_IS18_E10value_typeET4_jRbjT5_S1E_jjP12ihipStream_tbEUljE_ZNSN_ISO_Lb1ESQ_SR_ST_SU_SY_EESZ_S10_S11_S12_S16_S17_S18_S1B_S1C_jS1D_jS1E_S1E_jjS1G_bEUljE0_EEESZ_S10_S11_S18_S1C_S1E_T6_T7_T9_mT8_S1G_bDpT10_ENKUlT_T0_E_clISt17integral_constantIbLb1EES1T_IbLb0EEEEDaS1P_S1Q_EUlS1P_E_NS1_11comp_targetILNS1_3genE2ELNS1_11target_archE906ELNS1_3gpuE6ELNS1_3repE0EEENS1_30default_config_static_selectorELNS0_4arch9wavefront6targetE0EEEvS12_.uses_vcc, 0
	.set _ZN7rocprim17ROCPRIM_400000_NS6detail17trampoline_kernelINS0_13select_configILj256ELj13ELNS0_17block_load_methodE3ELS4_3ELS4_3ELNS0_20block_scan_algorithmE0ELj4294967295EEENS1_25partition_config_selectorILNS1_17partition_subalgoE4EjNS0_10empty_typeEbEEZZNS1_14partition_implILS8_4ELb0ES6_15HIP_vector_typeIjLj2EENS0_17counting_iteratorIjlEEPS9_SG_NS0_5tupleIJPjSI_NS0_16reverse_iteratorISI_EEEEENSH_IJSG_SG_SG_EEES9_SI_JZNS1_25segmented_radix_sort_implINS0_14default_configELb1EPKiPiPKlPlN2at6native12_GLOBAL__N_18offset_tEEE10hipError_tPvRmT1_PNSt15iterator_traitsIS12_E10value_typeET2_T3_PNS13_IS18_E10value_typeET4_jRbjT5_S1E_jjP12ihipStream_tbEUljE_ZNSN_ISO_Lb1ESQ_SR_ST_SU_SY_EESZ_S10_S11_S12_S16_S17_S18_S1B_S1C_jS1D_jS1E_S1E_jjS1G_bEUljE0_EEESZ_S10_S11_S18_S1C_S1E_T6_T7_T9_mT8_S1G_bDpT10_ENKUlT_T0_E_clISt17integral_constantIbLb1EES1T_IbLb0EEEEDaS1P_S1Q_EUlS1P_E_NS1_11comp_targetILNS1_3genE2ELNS1_11target_archE906ELNS1_3gpuE6ELNS1_3repE0EEENS1_30default_config_static_selectorELNS0_4arch9wavefront6targetE0EEEvS12_.uses_flat_scratch, 0
	.set _ZN7rocprim17ROCPRIM_400000_NS6detail17trampoline_kernelINS0_13select_configILj256ELj13ELNS0_17block_load_methodE3ELS4_3ELS4_3ELNS0_20block_scan_algorithmE0ELj4294967295EEENS1_25partition_config_selectorILNS1_17partition_subalgoE4EjNS0_10empty_typeEbEEZZNS1_14partition_implILS8_4ELb0ES6_15HIP_vector_typeIjLj2EENS0_17counting_iteratorIjlEEPS9_SG_NS0_5tupleIJPjSI_NS0_16reverse_iteratorISI_EEEEENSH_IJSG_SG_SG_EEES9_SI_JZNS1_25segmented_radix_sort_implINS0_14default_configELb1EPKiPiPKlPlN2at6native12_GLOBAL__N_18offset_tEEE10hipError_tPvRmT1_PNSt15iterator_traitsIS12_E10value_typeET2_T3_PNS13_IS18_E10value_typeET4_jRbjT5_S1E_jjP12ihipStream_tbEUljE_ZNSN_ISO_Lb1ESQ_SR_ST_SU_SY_EESZ_S10_S11_S12_S16_S17_S18_S1B_S1C_jS1D_jS1E_S1E_jjS1G_bEUljE0_EEESZ_S10_S11_S18_S1C_S1E_T6_T7_T9_mT8_S1G_bDpT10_ENKUlT_T0_E_clISt17integral_constantIbLb1EES1T_IbLb0EEEEDaS1P_S1Q_EUlS1P_E_NS1_11comp_targetILNS1_3genE2ELNS1_11target_archE906ELNS1_3gpuE6ELNS1_3repE0EEENS1_30default_config_static_selectorELNS0_4arch9wavefront6targetE0EEEvS12_.has_dyn_sized_stack, 0
	.set _ZN7rocprim17ROCPRIM_400000_NS6detail17trampoline_kernelINS0_13select_configILj256ELj13ELNS0_17block_load_methodE3ELS4_3ELS4_3ELNS0_20block_scan_algorithmE0ELj4294967295EEENS1_25partition_config_selectorILNS1_17partition_subalgoE4EjNS0_10empty_typeEbEEZZNS1_14partition_implILS8_4ELb0ES6_15HIP_vector_typeIjLj2EENS0_17counting_iteratorIjlEEPS9_SG_NS0_5tupleIJPjSI_NS0_16reverse_iteratorISI_EEEEENSH_IJSG_SG_SG_EEES9_SI_JZNS1_25segmented_radix_sort_implINS0_14default_configELb1EPKiPiPKlPlN2at6native12_GLOBAL__N_18offset_tEEE10hipError_tPvRmT1_PNSt15iterator_traitsIS12_E10value_typeET2_T3_PNS13_IS18_E10value_typeET4_jRbjT5_S1E_jjP12ihipStream_tbEUljE_ZNSN_ISO_Lb1ESQ_SR_ST_SU_SY_EESZ_S10_S11_S12_S16_S17_S18_S1B_S1C_jS1D_jS1E_S1E_jjS1G_bEUljE0_EEESZ_S10_S11_S18_S1C_S1E_T6_T7_T9_mT8_S1G_bDpT10_ENKUlT_T0_E_clISt17integral_constantIbLb1EES1T_IbLb0EEEEDaS1P_S1Q_EUlS1P_E_NS1_11comp_targetILNS1_3genE2ELNS1_11target_archE906ELNS1_3gpuE6ELNS1_3repE0EEENS1_30default_config_static_selectorELNS0_4arch9wavefront6targetE0EEEvS12_.has_recursion, 0
	.set _ZN7rocprim17ROCPRIM_400000_NS6detail17trampoline_kernelINS0_13select_configILj256ELj13ELNS0_17block_load_methodE3ELS4_3ELS4_3ELNS0_20block_scan_algorithmE0ELj4294967295EEENS1_25partition_config_selectorILNS1_17partition_subalgoE4EjNS0_10empty_typeEbEEZZNS1_14partition_implILS8_4ELb0ES6_15HIP_vector_typeIjLj2EENS0_17counting_iteratorIjlEEPS9_SG_NS0_5tupleIJPjSI_NS0_16reverse_iteratorISI_EEEEENSH_IJSG_SG_SG_EEES9_SI_JZNS1_25segmented_radix_sort_implINS0_14default_configELb1EPKiPiPKlPlN2at6native12_GLOBAL__N_18offset_tEEE10hipError_tPvRmT1_PNSt15iterator_traitsIS12_E10value_typeET2_T3_PNS13_IS18_E10value_typeET4_jRbjT5_S1E_jjP12ihipStream_tbEUljE_ZNSN_ISO_Lb1ESQ_SR_ST_SU_SY_EESZ_S10_S11_S12_S16_S17_S18_S1B_S1C_jS1D_jS1E_S1E_jjS1G_bEUljE0_EEESZ_S10_S11_S18_S1C_S1E_T6_T7_T9_mT8_S1G_bDpT10_ENKUlT_T0_E_clISt17integral_constantIbLb1EES1T_IbLb0EEEEDaS1P_S1Q_EUlS1P_E_NS1_11comp_targetILNS1_3genE2ELNS1_11target_archE906ELNS1_3gpuE6ELNS1_3repE0EEENS1_30default_config_static_selectorELNS0_4arch9wavefront6targetE0EEEvS12_.has_indirect_call, 0
	.section	.AMDGPU.csdata,"",@progbits
; Kernel info:
; codeLenInByte = 0
; TotalNumSgprs: 0
; NumVgprs: 0
; ScratchSize: 0
; MemoryBound: 0
; FloatMode: 240
; IeeeMode: 1
; LDSByteSize: 0 bytes/workgroup (compile time only)
; SGPRBlocks: 0
; VGPRBlocks: 0
; NumSGPRsForWavesPerEU: 1
; NumVGPRsForWavesPerEU: 1
; Occupancy: 16
; WaveLimiterHint : 0
; COMPUTE_PGM_RSRC2:SCRATCH_EN: 0
; COMPUTE_PGM_RSRC2:USER_SGPR: 2
; COMPUTE_PGM_RSRC2:TRAP_HANDLER: 0
; COMPUTE_PGM_RSRC2:TGID_X_EN: 1
; COMPUTE_PGM_RSRC2:TGID_Y_EN: 0
; COMPUTE_PGM_RSRC2:TGID_Z_EN: 0
; COMPUTE_PGM_RSRC2:TIDIG_COMP_CNT: 0
	.section	.text._ZN7rocprim17ROCPRIM_400000_NS6detail17trampoline_kernelINS0_13select_configILj256ELj13ELNS0_17block_load_methodE3ELS4_3ELS4_3ELNS0_20block_scan_algorithmE0ELj4294967295EEENS1_25partition_config_selectorILNS1_17partition_subalgoE4EjNS0_10empty_typeEbEEZZNS1_14partition_implILS8_4ELb0ES6_15HIP_vector_typeIjLj2EENS0_17counting_iteratorIjlEEPS9_SG_NS0_5tupleIJPjSI_NS0_16reverse_iteratorISI_EEEEENSH_IJSG_SG_SG_EEES9_SI_JZNS1_25segmented_radix_sort_implINS0_14default_configELb1EPKiPiPKlPlN2at6native12_GLOBAL__N_18offset_tEEE10hipError_tPvRmT1_PNSt15iterator_traitsIS12_E10value_typeET2_T3_PNS13_IS18_E10value_typeET4_jRbjT5_S1E_jjP12ihipStream_tbEUljE_ZNSN_ISO_Lb1ESQ_SR_ST_SU_SY_EESZ_S10_S11_S12_S16_S17_S18_S1B_S1C_jS1D_jS1E_S1E_jjS1G_bEUljE0_EEESZ_S10_S11_S18_S1C_S1E_T6_T7_T9_mT8_S1G_bDpT10_ENKUlT_T0_E_clISt17integral_constantIbLb1EES1T_IbLb0EEEEDaS1P_S1Q_EUlS1P_E_NS1_11comp_targetILNS1_3genE10ELNS1_11target_archE1200ELNS1_3gpuE4ELNS1_3repE0EEENS1_30default_config_static_selectorELNS0_4arch9wavefront6targetE0EEEvS12_,"axG",@progbits,_ZN7rocprim17ROCPRIM_400000_NS6detail17trampoline_kernelINS0_13select_configILj256ELj13ELNS0_17block_load_methodE3ELS4_3ELS4_3ELNS0_20block_scan_algorithmE0ELj4294967295EEENS1_25partition_config_selectorILNS1_17partition_subalgoE4EjNS0_10empty_typeEbEEZZNS1_14partition_implILS8_4ELb0ES6_15HIP_vector_typeIjLj2EENS0_17counting_iteratorIjlEEPS9_SG_NS0_5tupleIJPjSI_NS0_16reverse_iteratorISI_EEEEENSH_IJSG_SG_SG_EEES9_SI_JZNS1_25segmented_radix_sort_implINS0_14default_configELb1EPKiPiPKlPlN2at6native12_GLOBAL__N_18offset_tEEE10hipError_tPvRmT1_PNSt15iterator_traitsIS12_E10value_typeET2_T3_PNS13_IS18_E10value_typeET4_jRbjT5_S1E_jjP12ihipStream_tbEUljE_ZNSN_ISO_Lb1ESQ_SR_ST_SU_SY_EESZ_S10_S11_S12_S16_S17_S18_S1B_S1C_jS1D_jS1E_S1E_jjS1G_bEUljE0_EEESZ_S10_S11_S18_S1C_S1E_T6_T7_T9_mT8_S1G_bDpT10_ENKUlT_T0_E_clISt17integral_constantIbLb1EES1T_IbLb0EEEEDaS1P_S1Q_EUlS1P_E_NS1_11comp_targetILNS1_3genE10ELNS1_11target_archE1200ELNS1_3gpuE4ELNS1_3repE0EEENS1_30default_config_static_selectorELNS0_4arch9wavefront6targetE0EEEvS12_,comdat
	.globl	_ZN7rocprim17ROCPRIM_400000_NS6detail17trampoline_kernelINS0_13select_configILj256ELj13ELNS0_17block_load_methodE3ELS4_3ELS4_3ELNS0_20block_scan_algorithmE0ELj4294967295EEENS1_25partition_config_selectorILNS1_17partition_subalgoE4EjNS0_10empty_typeEbEEZZNS1_14partition_implILS8_4ELb0ES6_15HIP_vector_typeIjLj2EENS0_17counting_iteratorIjlEEPS9_SG_NS0_5tupleIJPjSI_NS0_16reverse_iteratorISI_EEEEENSH_IJSG_SG_SG_EEES9_SI_JZNS1_25segmented_radix_sort_implINS0_14default_configELb1EPKiPiPKlPlN2at6native12_GLOBAL__N_18offset_tEEE10hipError_tPvRmT1_PNSt15iterator_traitsIS12_E10value_typeET2_T3_PNS13_IS18_E10value_typeET4_jRbjT5_S1E_jjP12ihipStream_tbEUljE_ZNSN_ISO_Lb1ESQ_SR_ST_SU_SY_EESZ_S10_S11_S12_S16_S17_S18_S1B_S1C_jS1D_jS1E_S1E_jjS1G_bEUljE0_EEESZ_S10_S11_S18_S1C_S1E_T6_T7_T9_mT8_S1G_bDpT10_ENKUlT_T0_E_clISt17integral_constantIbLb1EES1T_IbLb0EEEEDaS1P_S1Q_EUlS1P_E_NS1_11comp_targetILNS1_3genE10ELNS1_11target_archE1200ELNS1_3gpuE4ELNS1_3repE0EEENS1_30default_config_static_selectorELNS0_4arch9wavefront6targetE0EEEvS12_ ; -- Begin function _ZN7rocprim17ROCPRIM_400000_NS6detail17trampoline_kernelINS0_13select_configILj256ELj13ELNS0_17block_load_methodE3ELS4_3ELS4_3ELNS0_20block_scan_algorithmE0ELj4294967295EEENS1_25partition_config_selectorILNS1_17partition_subalgoE4EjNS0_10empty_typeEbEEZZNS1_14partition_implILS8_4ELb0ES6_15HIP_vector_typeIjLj2EENS0_17counting_iteratorIjlEEPS9_SG_NS0_5tupleIJPjSI_NS0_16reverse_iteratorISI_EEEEENSH_IJSG_SG_SG_EEES9_SI_JZNS1_25segmented_radix_sort_implINS0_14default_configELb1EPKiPiPKlPlN2at6native12_GLOBAL__N_18offset_tEEE10hipError_tPvRmT1_PNSt15iterator_traitsIS12_E10value_typeET2_T3_PNS13_IS18_E10value_typeET4_jRbjT5_S1E_jjP12ihipStream_tbEUljE_ZNSN_ISO_Lb1ESQ_SR_ST_SU_SY_EESZ_S10_S11_S12_S16_S17_S18_S1B_S1C_jS1D_jS1E_S1E_jjS1G_bEUljE0_EEESZ_S10_S11_S18_S1C_S1E_T6_T7_T9_mT8_S1G_bDpT10_ENKUlT_T0_E_clISt17integral_constantIbLb1EES1T_IbLb0EEEEDaS1P_S1Q_EUlS1P_E_NS1_11comp_targetILNS1_3genE10ELNS1_11target_archE1200ELNS1_3gpuE4ELNS1_3repE0EEENS1_30default_config_static_selectorELNS0_4arch9wavefront6targetE0EEEvS12_
	.p2align	8
	.type	_ZN7rocprim17ROCPRIM_400000_NS6detail17trampoline_kernelINS0_13select_configILj256ELj13ELNS0_17block_load_methodE3ELS4_3ELS4_3ELNS0_20block_scan_algorithmE0ELj4294967295EEENS1_25partition_config_selectorILNS1_17partition_subalgoE4EjNS0_10empty_typeEbEEZZNS1_14partition_implILS8_4ELb0ES6_15HIP_vector_typeIjLj2EENS0_17counting_iteratorIjlEEPS9_SG_NS0_5tupleIJPjSI_NS0_16reverse_iteratorISI_EEEEENSH_IJSG_SG_SG_EEES9_SI_JZNS1_25segmented_radix_sort_implINS0_14default_configELb1EPKiPiPKlPlN2at6native12_GLOBAL__N_18offset_tEEE10hipError_tPvRmT1_PNSt15iterator_traitsIS12_E10value_typeET2_T3_PNS13_IS18_E10value_typeET4_jRbjT5_S1E_jjP12ihipStream_tbEUljE_ZNSN_ISO_Lb1ESQ_SR_ST_SU_SY_EESZ_S10_S11_S12_S16_S17_S18_S1B_S1C_jS1D_jS1E_S1E_jjS1G_bEUljE0_EEESZ_S10_S11_S18_S1C_S1E_T6_T7_T9_mT8_S1G_bDpT10_ENKUlT_T0_E_clISt17integral_constantIbLb1EES1T_IbLb0EEEEDaS1P_S1Q_EUlS1P_E_NS1_11comp_targetILNS1_3genE10ELNS1_11target_archE1200ELNS1_3gpuE4ELNS1_3repE0EEENS1_30default_config_static_selectorELNS0_4arch9wavefront6targetE0EEEvS12_,@function
_ZN7rocprim17ROCPRIM_400000_NS6detail17trampoline_kernelINS0_13select_configILj256ELj13ELNS0_17block_load_methodE3ELS4_3ELS4_3ELNS0_20block_scan_algorithmE0ELj4294967295EEENS1_25partition_config_selectorILNS1_17partition_subalgoE4EjNS0_10empty_typeEbEEZZNS1_14partition_implILS8_4ELb0ES6_15HIP_vector_typeIjLj2EENS0_17counting_iteratorIjlEEPS9_SG_NS0_5tupleIJPjSI_NS0_16reverse_iteratorISI_EEEEENSH_IJSG_SG_SG_EEES9_SI_JZNS1_25segmented_radix_sort_implINS0_14default_configELb1EPKiPiPKlPlN2at6native12_GLOBAL__N_18offset_tEEE10hipError_tPvRmT1_PNSt15iterator_traitsIS12_E10value_typeET2_T3_PNS13_IS18_E10value_typeET4_jRbjT5_S1E_jjP12ihipStream_tbEUljE_ZNSN_ISO_Lb1ESQ_SR_ST_SU_SY_EESZ_S10_S11_S12_S16_S17_S18_S1B_S1C_jS1D_jS1E_S1E_jjS1G_bEUljE0_EEESZ_S10_S11_S18_S1C_S1E_T6_T7_T9_mT8_S1G_bDpT10_ENKUlT_T0_E_clISt17integral_constantIbLb1EES1T_IbLb0EEEEDaS1P_S1Q_EUlS1P_E_NS1_11comp_targetILNS1_3genE10ELNS1_11target_archE1200ELNS1_3gpuE4ELNS1_3repE0EEENS1_30default_config_static_selectorELNS0_4arch9wavefront6targetE0EEEvS12_: ; @_ZN7rocprim17ROCPRIM_400000_NS6detail17trampoline_kernelINS0_13select_configILj256ELj13ELNS0_17block_load_methodE3ELS4_3ELS4_3ELNS0_20block_scan_algorithmE0ELj4294967295EEENS1_25partition_config_selectorILNS1_17partition_subalgoE4EjNS0_10empty_typeEbEEZZNS1_14partition_implILS8_4ELb0ES6_15HIP_vector_typeIjLj2EENS0_17counting_iteratorIjlEEPS9_SG_NS0_5tupleIJPjSI_NS0_16reverse_iteratorISI_EEEEENSH_IJSG_SG_SG_EEES9_SI_JZNS1_25segmented_radix_sort_implINS0_14default_configELb1EPKiPiPKlPlN2at6native12_GLOBAL__N_18offset_tEEE10hipError_tPvRmT1_PNSt15iterator_traitsIS12_E10value_typeET2_T3_PNS13_IS18_E10value_typeET4_jRbjT5_S1E_jjP12ihipStream_tbEUljE_ZNSN_ISO_Lb1ESQ_SR_ST_SU_SY_EESZ_S10_S11_S12_S16_S17_S18_S1B_S1C_jS1D_jS1E_S1E_jjS1G_bEUljE0_EEESZ_S10_S11_S18_S1C_S1E_T6_T7_T9_mT8_S1G_bDpT10_ENKUlT_T0_E_clISt17integral_constantIbLb1EES1T_IbLb0EEEEDaS1P_S1Q_EUlS1P_E_NS1_11comp_targetILNS1_3genE10ELNS1_11target_archE1200ELNS1_3gpuE4ELNS1_3repE0EEENS1_30default_config_static_selectorELNS0_4arch9wavefront6targetE0EEEvS12_
; %bb.0:
	s_endpgm
	.section	.rodata,"a",@progbits
	.p2align	6, 0x0
	.amdhsa_kernel _ZN7rocprim17ROCPRIM_400000_NS6detail17trampoline_kernelINS0_13select_configILj256ELj13ELNS0_17block_load_methodE3ELS4_3ELS4_3ELNS0_20block_scan_algorithmE0ELj4294967295EEENS1_25partition_config_selectorILNS1_17partition_subalgoE4EjNS0_10empty_typeEbEEZZNS1_14partition_implILS8_4ELb0ES6_15HIP_vector_typeIjLj2EENS0_17counting_iteratorIjlEEPS9_SG_NS0_5tupleIJPjSI_NS0_16reverse_iteratorISI_EEEEENSH_IJSG_SG_SG_EEES9_SI_JZNS1_25segmented_radix_sort_implINS0_14default_configELb1EPKiPiPKlPlN2at6native12_GLOBAL__N_18offset_tEEE10hipError_tPvRmT1_PNSt15iterator_traitsIS12_E10value_typeET2_T3_PNS13_IS18_E10value_typeET4_jRbjT5_S1E_jjP12ihipStream_tbEUljE_ZNSN_ISO_Lb1ESQ_SR_ST_SU_SY_EESZ_S10_S11_S12_S16_S17_S18_S1B_S1C_jS1D_jS1E_S1E_jjS1G_bEUljE0_EEESZ_S10_S11_S18_S1C_S1E_T6_T7_T9_mT8_S1G_bDpT10_ENKUlT_T0_E_clISt17integral_constantIbLb1EES1T_IbLb0EEEEDaS1P_S1Q_EUlS1P_E_NS1_11comp_targetILNS1_3genE10ELNS1_11target_archE1200ELNS1_3gpuE4ELNS1_3repE0EEENS1_30default_config_static_selectorELNS0_4arch9wavefront6targetE0EEEvS12_
		.amdhsa_group_segment_fixed_size 0
		.amdhsa_private_segment_fixed_size 0
		.amdhsa_kernarg_size 176
		.amdhsa_user_sgpr_count 2
		.amdhsa_user_sgpr_dispatch_ptr 0
		.amdhsa_user_sgpr_queue_ptr 0
		.amdhsa_user_sgpr_kernarg_segment_ptr 1
		.amdhsa_user_sgpr_dispatch_id 0
		.amdhsa_user_sgpr_private_segment_size 0
		.amdhsa_wavefront_size32 1
		.amdhsa_uses_dynamic_stack 0
		.amdhsa_enable_private_segment 0
		.amdhsa_system_sgpr_workgroup_id_x 1
		.amdhsa_system_sgpr_workgroup_id_y 0
		.amdhsa_system_sgpr_workgroup_id_z 0
		.amdhsa_system_sgpr_workgroup_info 0
		.amdhsa_system_vgpr_workitem_id 0
		.amdhsa_next_free_vgpr 1
		.amdhsa_next_free_sgpr 1
		.amdhsa_reserve_vcc 0
		.amdhsa_float_round_mode_32 0
		.amdhsa_float_round_mode_16_64 0
		.amdhsa_float_denorm_mode_32 3
		.amdhsa_float_denorm_mode_16_64 3
		.amdhsa_fp16_overflow 0
		.amdhsa_workgroup_processor_mode 1
		.amdhsa_memory_ordered 1
		.amdhsa_forward_progress 1
		.amdhsa_inst_pref_size 1
		.amdhsa_round_robin_scheduling 0
		.amdhsa_exception_fp_ieee_invalid_op 0
		.amdhsa_exception_fp_denorm_src 0
		.amdhsa_exception_fp_ieee_div_zero 0
		.amdhsa_exception_fp_ieee_overflow 0
		.amdhsa_exception_fp_ieee_underflow 0
		.amdhsa_exception_fp_ieee_inexact 0
		.amdhsa_exception_int_div_zero 0
	.end_amdhsa_kernel
	.section	.text._ZN7rocprim17ROCPRIM_400000_NS6detail17trampoline_kernelINS0_13select_configILj256ELj13ELNS0_17block_load_methodE3ELS4_3ELS4_3ELNS0_20block_scan_algorithmE0ELj4294967295EEENS1_25partition_config_selectorILNS1_17partition_subalgoE4EjNS0_10empty_typeEbEEZZNS1_14partition_implILS8_4ELb0ES6_15HIP_vector_typeIjLj2EENS0_17counting_iteratorIjlEEPS9_SG_NS0_5tupleIJPjSI_NS0_16reverse_iteratorISI_EEEEENSH_IJSG_SG_SG_EEES9_SI_JZNS1_25segmented_radix_sort_implINS0_14default_configELb1EPKiPiPKlPlN2at6native12_GLOBAL__N_18offset_tEEE10hipError_tPvRmT1_PNSt15iterator_traitsIS12_E10value_typeET2_T3_PNS13_IS18_E10value_typeET4_jRbjT5_S1E_jjP12ihipStream_tbEUljE_ZNSN_ISO_Lb1ESQ_SR_ST_SU_SY_EESZ_S10_S11_S12_S16_S17_S18_S1B_S1C_jS1D_jS1E_S1E_jjS1G_bEUljE0_EEESZ_S10_S11_S18_S1C_S1E_T6_T7_T9_mT8_S1G_bDpT10_ENKUlT_T0_E_clISt17integral_constantIbLb1EES1T_IbLb0EEEEDaS1P_S1Q_EUlS1P_E_NS1_11comp_targetILNS1_3genE10ELNS1_11target_archE1200ELNS1_3gpuE4ELNS1_3repE0EEENS1_30default_config_static_selectorELNS0_4arch9wavefront6targetE0EEEvS12_,"axG",@progbits,_ZN7rocprim17ROCPRIM_400000_NS6detail17trampoline_kernelINS0_13select_configILj256ELj13ELNS0_17block_load_methodE3ELS4_3ELS4_3ELNS0_20block_scan_algorithmE0ELj4294967295EEENS1_25partition_config_selectorILNS1_17partition_subalgoE4EjNS0_10empty_typeEbEEZZNS1_14partition_implILS8_4ELb0ES6_15HIP_vector_typeIjLj2EENS0_17counting_iteratorIjlEEPS9_SG_NS0_5tupleIJPjSI_NS0_16reverse_iteratorISI_EEEEENSH_IJSG_SG_SG_EEES9_SI_JZNS1_25segmented_radix_sort_implINS0_14default_configELb1EPKiPiPKlPlN2at6native12_GLOBAL__N_18offset_tEEE10hipError_tPvRmT1_PNSt15iterator_traitsIS12_E10value_typeET2_T3_PNS13_IS18_E10value_typeET4_jRbjT5_S1E_jjP12ihipStream_tbEUljE_ZNSN_ISO_Lb1ESQ_SR_ST_SU_SY_EESZ_S10_S11_S12_S16_S17_S18_S1B_S1C_jS1D_jS1E_S1E_jjS1G_bEUljE0_EEESZ_S10_S11_S18_S1C_S1E_T6_T7_T9_mT8_S1G_bDpT10_ENKUlT_T0_E_clISt17integral_constantIbLb1EES1T_IbLb0EEEEDaS1P_S1Q_EUlS1P_E_NS1_11comp_targetILNS1_3genE10ELNS1_11target_archE1200ELNS1_3gpuE4ELNS1_3repE0EEENS1_30default_config_static_selectorELNS0_4arch9wavefront6targetE0EEEvS12_,comdat
.Lfunc_end454:
	.size	_ZN7rocprim17ROCPRIM_400000_NS6detail17trampoline_kernelINS0_13select_configILj256ELj13ELNS0_17block_load_methodE3ELS4_3ELS4_3ELNS0_20block_scan_algorithmE0ELj4294967295EEENS1_25partition_config_selectorILNS1_17partition_subalgoE4EjNS0_10empty_typeEbEEZZNS1_14partition_implILS8_4ELb0ES6_15HIP_vector_typeIjLj2EENS0_17counting_iteratorIjlEEPS9_SG_NS0_5tupleIJPjSI_NS0_16reverse_iteratorISI_EEEEENSH_IJSG_SG_SG_EEES9_SI_JZNS1_25segmented_radix_sort_implINS0_14default_configELb1EPKiPiPKlPlN2at6native12_GLOBAL__N_18offset_tEEE10hipError_tPvRmT1_PNSt15iterator_traitsIS12_E10value_typeET2_T3_PNS13_IS18_E10value_typeET4_jRbjT5_S1E_jjP12ihipStream_tbEUljE_ZNSN_ISO_Lb1ESQ_SR_ST_SU_SY_EESZ_S10_S11_S12_S16_S17_S18_S1B_S1C_jS1D_jS1E_S1E_jjS1G_bEUljE0_EEESZ_S10_S11_S18_S1C_S1E_T6_T7_T9_mT8_S1G_bDpT10_ENKUlT_T0_E_clISt17integral_constantIbLb1EES1T_IbLb0EEEEDaS1P_S1Q_EUlS1P_E_NS1_11comp_targetILNS1_3genE10ELNS1_11target_archE1200ELNS1_3gpuE4ELNS1_3repE0EEENS1_30default_config_static_selectorELNS0_4arch9wavefront6targetE0EEEvS12_, .Lfunc_end454-_ZN7rocprim17ROCPRIM_400000_NS6detail17trampoline_kernelINS0_13select_configILj256ELj13ELNS0_17block_load_methodE3ELS4_3ELS4_3ELNS0_20block_scan_algorithmE0ELj4294967295EEENS1_25partition_config_selectorILNS1_17partition_subalgoE4EjNS0_10empty_typeEbEEZZNS1_14partition_implILS8_4ELb0ES6_15HIP_vector_typeIjLj2EENS0_17counting_iteratorIjlEEPS9_SG_NS0_5tupleIJPjSI_NS0_16reverse_iteratorISI_EEEEENSH_IJSG_SG_SG_EEES9_SI_JZNS1_25segmented_radix_sort_implINS0_14default_configELb1EPKiPiPKlPlN2at6native12_GLOBAL__N_18offset_tEEE10hipError_tPvRmT1_PNSt15iterator_traitsIS12_E10value_typeET2_T3_PNS13_IS18_E10value_typeET4_jRbjT5_S1E_jjP12ihipStream_tbEUljE_ZNSN_ISO_Lb1ESQ_SR_ST_SU_SY_EESZ_S10_S11_S12_S16_S17_S18_S1B_S1C_jS1D_jS1E_S1E_jjS1G_bEUljE0_EEESZ_S10_S11_S18_S1C_S1E_T6_T7_T9_mT8_S1G_bDpT10_ENKUlT_T0_E_clISt17integral_constantIbLb1EES1T_IbLb0EEEEDaS1P_S1Q_EUlS1P_E_NS1_11comp_targetILNS1_3genE10ELNS1_11target_archE1200ELNS1_3gpuE4ELNS1_3repE0EEENS1_30default_config_static_selectorELNS0_4arch9wavefront6targetE0EEEvS12_
                                        ; -- End function
	.set _ZN7rocprim17ROCPRIM_400000_NS6detail17trampoline_kernelINS0_13select_configILj256ELj13ELNS0_17block_load_methodE3ELS4_3ELS4_3ELNS0_20block_scan_algorithmE0ELj4294967295EEENS1_25partition_config_selectorILNS1_17partition_subalgoE4EjNS0_10empty_typeEbEEZZNS1_14partition_implILS8_4ELb0ES6_15HIP_vector_typeIjLj2EENS0_17counting_iteratorIjlEEPS9_SG_NS0_5tupleIJPjSI_NS0_16reverse_iteratorISI_EEEEENSH_IJSG_SG_SG_EEES9_SI_JZNS1_25segmented_radix_sort_implINS0_14default_configELb1EPKiPiPKlPlN2at6native12_GLOBAL__N_18offset_tEEE10hipError_tPvRmT1_PNSt15iterator_traitsIS12_E10value_typeET2_T3_PNS13_IS18_E10value_typeET4_jRbjT5_S1E_jjP12ihipStream_tbEUljE_ZNSN_ISO_Lb1ESQ_SR_ST_SU_SY_EESZ_S10_S11_S12_S16_S17_S18_S1B_S1C_jS1D_jS1E_S1E_jjS1G_bEUljE0_EEESZ_S10_S11_S18_S1C_S1E_T6_T7_T9_mT8_S1G_bDpT10_ENKUlT_T0_E_clISt17integral_constantIbLb1EES1T_IbLb0EEEEDaS1P_S1Q_EUlS1P_E_NS1_11comp_targetILNS1_3genE10ELNS1_11target_archE1200ELNS1_3gpuE4ELNS1_3repE0EEENS1_30default_config_static_selectorELNS0_4arch9wavefront6targetE0EEEvS12_.num_vgpr, 0
	.set _ZN7rocprim17ROCPRIM_400000_NS6detail17trampoline_kernelINS0_13select_configILj256ELj13ELNS0_17block_load_methodE3ELS4_3ELS4_3ELNS0_20block_scan_algorithmE0ELj4294967295EEENS1_25partition_config_selectorILNS1_17partition_subalgoE4EjNS0_10empty_typeEbEEZZNS1_14partition_implILS8_4ELb0ES6_15HIP_vector_typeIjLj2EENS0_17counting_iteratorIjlEEPS9_SG_NS0_5tupleIJPjSI_NS0_16reverse_iteratorISI_EEEEENSH_IJSG_SG_SG_EEES9_SI_JZNS1_25segmented_radix_sort_implINS0_14default_configELb1EPKiPiPKlPlN2at6native12_GLOBAL__N_18offset_tEEE10hipError_tPvRmT1_PNSt15iterator_traitsIS12_E10value_typeET2_T3_PNS13_IS18_E10value_typeET4_jRbjT5_S1E_jjP12ihipStream_tbEUljE_ZNSN_ISO_Lb1ESQ_SR_ST_SU_SY_EESZ_S10_S11_S12_S16_S17_S18_S1B_S1C_jS1D_jS1E_S1E_jjS1G_bEUljE0_EEESZ_S10_S11_S18_S1C_S1E_T6_T7_T9_mT8_S1G_bDpT10_ENKUlT_T0_E_clISt17integral_constantIbLb1EES1T_IbLb0EEEEDaS1P_S1Q_EUlS1P_E_NS1_11comp_targetILNS1_3genE10ELNS1_11target_archE1200ELNS1_3gpuE4ELNS1_3repE0EEENS1_30default_config_static_selectorELNS0_4arch9wavefront6targetE0EEEvS12_.num_agpr, 0
	.set _ZN7rocprim17ROCPRIM_400000_NS6detail17trampoline_kernelINS0_13select_configILj256ELj13ELNS0_17block_load_methodE3ELS4_3ELS4_3ELNS0_20block_scan_algorithmE0ELj4294967295EEENS1_25partition_config_selectorILNS1_17partition_subalgoE4EjNS0_10empty_typeEbEEZZNS1_14partition_implILS8_4ELb0ES6_15HIP_vector_typeIjLj2EENS0_17counting_iteratorIjlEEPS9_SG_NS0_5tupleIJPjSI_NS0_16reverse_iteratorISI_EEEEENSH_IJSG_SG_SG_EEES9_SI_JZNS1_25segmented_radix_sort_implINS0_14default_configELb1EPKiPiPKlPlN2at6native12_GLOBAL__N_18offset_tEEE10hipError_tPvRmT1_PNSt15iterator_traitsIS12_E10value_typeET2_T3_PNS13_IS18_E10value_typeET4_jRbjT5_S1E_jjP12ihipStream_tbEUljE_ZNSN_ISO_Lb1ESQ_SR_ST_SU_SY_EESZ_S10_S11_S12_S16_S17_S18_S1B_S1C_jS1D_jS1E_S1E_jjS1G_bEUljE0_EEESZ_S10_S11_S18_S1C_S1E_T6_T7_T9_mT8_S1G_bDpT10_ENKUlT_T0_E_clISt17integral_constantIbLb1EES1T_IbLb0EEEEDaS1P_S1Q_EUlS1P_E_NS1_11comp_targetILNS1_3genE10ELNS1_11target_archE1200ELNS1_3gpuE4ELNS1_3repE0EEENS1_30default_config_static_selectorELNS0_4arch9wavefront6targetE0EEEvS12_.numbered_sgpr, 0
	.set _ZN7rocprim17ROCPRIM_400000_NS6detail17trampoline_kernelINS0_13select_configILj256ELj13ELNS0_17block_load_methodE3ELS4_3ELS4_3ELNS0_20block_scan_algorithmE0ELj4294967295EEENS1_25partition_config_selectorILNS1_17partition_subalgoE4EjNS0_10empty_typeEbEEZZNS1_14partition_implILS8_4ELb0ES6_15HIP_vector_typeIjLj2EENS0_17counting_iteratorIjlEEPS9_SG_NS0_5tupleIJPjSI_NS0_16reverse_iteratorISI_EEEEENSH_IJSG_SG_SG_EEES9_SI_JZNS1_25segmented_radix_sort_implINS0_14default_configELb1EPKiPiPKlPlN2at6native12_GLOBAL__N_18offset_tEEE10hipError_tPvRmT1_PNSt15iterator_traitsIS12_E10value_typeET2_T3_PNS13_IS18_E10value_typeET4_jRbjT5_S1E_jjP12ihipStream_tbEUljE_ZNSN_ISO_Lb1ESQ_SR_ST_SU_SY_EESZ_S10_S11_S12_S16_S17_S18_S1B_S1C_jS1D_jS1E_S1E_jjS1G_bEUljE0_EEESZ_S10_S11_S18_S1C_S1E_T6_T7_T9_mT8_S1G_bDpT10_ENKUlT_T0_E_clISt17integral_constantIbLb1EES1T_IbLb0EEEEDaS1P_S1Q_EUlS1P_E_NS1_11comp_targetILNS1_3genE10ELNS1_11target_archE1200ELNS1_3gpuE4ELNS1_3repE0EEENS1_30default_config_static_selectorELNS0_4arch9wavefront6targetE0EEEvS12_.num_named_barrier, 0
	.set _ZN7rocprim17ROCPRIM_400000_NS6detail17trampoline_kernelINS0_13select_configILj256ELj13ELNS0_17block_load_methodE3ELS4_3ELS4_3ELNS0_20block_scan_algorithmE0ELj4294967295EEENS1_25partition_config_selectorILNS1_17partition_subalgoE4EjNS0_10empty_typeEbEEZZNS1_14partition_implILS8_4ELb0ES6_15HIP_vector_typeIjLj2EENS0_17counting_iteratorIjlEEPS9_SG_NS0_5tupleIJPjSI_NS0_16reverse_iteratorISI_EEEEENSH_IJSG_SG_SG_EEES9_SI_JZNS1_25segmented_radix_sort_implINS0_14default_configELb1EPKiPiPKlPlN2at6native12_GLOBAL__N_18offset_tEEE10hipError_tPvRmT1_PNSt15iterator_traitsIS12_E10value_typeET2_T3_PNS13_IS18_E10value_typeET4_jRbjT5_S1E_jjP12ihipStream_tbEUljE_ZNSN_ISO_Lb1ESQ_SR_ST_SU_SY_EESZ_S10_S11_S12_S16_S17_S18_S1B_S1C_jS1D_jS1E_S1E_jjS1G_bEUljE0_EEESZ_S10_S11_S18_S1C_S1E_T6_T7_T9_mT8_S1G_bDpT10_ENKUlT_T0_E_clISt17integral_constantIbLb1EES1T_IbLb0EEEEDaS1P_S1Q_EUlS1P_E_NS1_11comp_targetILNS1_3genE10ELNS1_11target_archE1200ELNS1_3gpuE4ELNS1_3repE0EEENS1_30default_config_static_selectorELNS0_4arch9wavefront6targetE0EEEvS12_.private_seg_size, 0
	.set _ZN7rocprim17ROCPRIM_400000_NS6detail17trampoline_kernelINS0_13select_configILj256ELj13ELNS0_17block_load_methodE3ELS4_3ELS4_3ELNS0_20block_scan_algorithmE0ELj4294967295EEENS1_25partition_config_selectorILNS1_17partition_subalgoE4EjNS0_10empty_typeEbEEZZNS1_14partition_implILS8_4ELb0ES6_15HIP_vector_typeIjLj2EENS0_17counting_iteratorIjlEEPS9_SG_NS0_5tupleIJPjSI_NS0_16reverse_iteratorISI_EEEEENSH_IJSG_SG_SG_EEES9_SI_JZNS1_25segmented_radix_sort_implINS0_14default_configELb1EPKiPiPKlPlN2at6native12_GLOBAL__N_18offset_tEEE10hipError_tPvRmT1_PNSt15iterator_traitsIS12_E10value_typeET2_T3_PNS13_IS18_E10value_typeET4_jRbjT5_S1E_jjP12ihipStream_tbEUljE_ZNSN_ISO_Lb1ESQ_SR_ST_SU_SY_EESZ_S10_S11_S12_S16_S17_S18_S1B_S1C_jS1D_jS1E_S1E_jjS1G_bEUljE0_EEESZ_S10_S11_S18_S1C_S1E_T6_T7_T9_mT8_S1G_bDpT10_ENKUlT_T0_E_clISt17integral_constantIbLb1EES1T_IbLb0EEEEDaS1P_S1Q_EUlS1P_E_NS1_11comp_targetILNS1_3genE10ELNS1_11target_archE1200ELNS1_3gpuE4ELNS1_3repE0EEENS1_30default_config_static_selectorELNS0_4arch9wavefront6targetE0EEEvS12_.uses_vcc, 0
	.set _ZN7rocprim17ROCPRIM_400000_NS6detail17trampoline_kernelINS0_13select_configILj256ELj13ELNS0_17block_load_methodE3ELS4_3ELS4_3ELNS0_20block_scan_algorithmE0ELj4294967295EEENS1_25partition_config_selectorILNS1_17partition_subalgoE4EjNS0_10empty_typeEbEEZZNS1_14partition_implILS8_4ELb0ES6_15HIP_vector_typeIjLj2EENS0_17counting_iteratorIjlEEPS9_SG_NS0_5tupleIJPjSI_NS0_16reverse_iteratorISI_EEEEENSH_IJSG_SG_SG_EEES9_SI_JZNS1_25segmented_radix_sort_implINS0_14default_configELb1EPKiPiPKlPlN2at6native12_GLOBAL__N_18offset_tEEE10hipError_tPvRmT1_PNSt15iterator_traitsIS12_E10value_typeET2_T3_PNS13_IS18_E10value_typeET4_jRbjT5_S1E_jjP12ihipStream_tbEUljE_ZNSN_ISO_Lb1ESQ_SR_ST_SU_SY_EESZ_S10_S11_S12_S16_S17_S18_S1B_S1C_jS1D_jS1E_S1E_jjS1G_bEUljE0_EEESZ_S10_S11_S18_S1C_S1E_T6_T7_T9_mT8_S1G_bDpT10_ENKUlT_T0_E_clISt17integral_constantIbLb1EES1T_IbLb0EEEEDaS1P_S1Q_EUlS1P_E_NS1_11comp_targetILNS1_3genE10ELNS1_11target_archE1200ELNS1_3gpuE4ELNS1_3repE0EEENS1_30default_config_static_selectorELNS0_4arch9wavefront6targetE0EEEvS12_.uses_flat_scratch, 0
	.set _ZN7rocprim17ROCPRIM_400000_NS6detail17trampoline_kernelINS0_13select_configILj256ELj13ELNS0_17block_load_methodE3ELS4_3ELS4_3ELNS0_20block_scan_algorithmE0ELj4294967295EEENS1_25partition_config_selectorILNS1_17partition_subalgoE4EjNS0_10empty_typeEbEEZZNS1_14partition_implILS8_4ELb0ES6_15HIP_vector_typeIjLj2EENS0_17counting_iteratorIjlEEPS9_SG_NS0_5tupleIJPjSI_NS0_16reverse_iteratorISI_EEEEENSH_IJSG_SG_SG_EEES9_SI_JZNS1_25segmented_radix_sort_implINS0_14default_configELb1EPKiPiPKlPlN2at6native12_GLOBAL__N_18offset_tEEE10hipError_tPvRmT1_PNSt15iterator_traitsIS12_E10value_typeET2_T3_PNS13_IS18_E10value_typeET4_jRbjT5_S1E_jjP12ihipStream_tbEUljE_ZNSN_ISO_Lb1ESQ_SR_ST_SU_SY_EESZ_S10_S11_S12_S16_S17_S18_S1B_S1C_jS1D_jS1E_S1E_jjS1G_bEUljE0_EEESZ_S10_S11_S18_S1C_S1E_T6_T7_T9_mT8_S1G_bDpT10_ENKUlT_T0_E_clISt17integral_constantIbLb1EES1T_IbLb0EEEEDaS1P_S1Q_EUlS1P_E_NS1_11comp_targetILNS1_3genE10ELNS1_11target_archE1200ELNS1_3gpuE4ELNS1_3repE0EEENS1_30default_config_static_selectorELNS0_4arch9wavefront6targetE0EEEvS12_.has_dyn_sized_stack, 0
	.set _ZN7rocprim17ROCPRIM_400000_NS6detail17trampoline_kernelINS0_13select_configILj256ELj13ELNS0_17block_load_methodE3ELS4_3ELS4_3ELNS0_20block_scan_algorithmE0ELj4294967295EEENS1_25partition_config_selectorILNS1_17partition_subalgoE4EjNS0_10empty_typeEbEEZZNS1_14partition_implILS8_4ELb0ES6_15HIP_vector_typeIjLj2EENS0_17counting_iteratorIjlEEPS9_SG_NS0_5tupleIJPjSI_NS0_16reverse_iteratorISI_EEEEENSH_IJSG_SG_SG_EEES9_SI_JZNS1_25segmented_radix_sort_implINS0_14default_configELb1EPKiPiPKlPlN2at6native12_GLOBAL__N_18offset_tEEE10hipError_tPvRmT1_PNSt15iterator_traitsIS12_E10value_typeET2_T3_PNS13_IS18_E10value_typeET4_jRbjT5_S1E_jjP12ihipStream_tbEUljE_ZNSN_ISO_Lb1ESQ_SR_ST_SU_SY_EESZ_S10_S11_S12_S16_S17_S18_S1B_S1C_jS1D_jS1E_S1E_jjS1G_bEUljE0_EEESZ_S10_S11_S18_S1C_S1E_T6_T7_T9_mT8_S1G_bDpT10_ENKUlT_T0_E_clISt17integral_constantIbLb1EES1T_IbLb0EEEEDaS1P_S1Q_EUlS1P_E_NS1_11comp_targetILNS1_3genE10ELNS1_11target_archE1200ELNS1_3gpuE4ELNS1_3repE0EEENS1_30default_config_static_selectorELNS0_4arch9wavefront6targetE0EEEvS12_.has_recursion, 0
	.set _ZN7rocprim17ROCPRIM_400000_NS6detail17trampoline_kernelINS0_13select_configILj256ELj13ELNS0_17block_load_methodE3ELS4_3ELS4_3ELNS0_20block_scan_algorithmE0ELj4294967295EEENS1_25partition_config_selectorILNS1_17partition_subalgoE4EjNS0_10empty_typeEbEEZZNS1_14partition_implILS8_4ELb0ES6_15HIP_vector_typeIjLj2EENS0_17counting_iteratorIjlEEPS9_SG_NS0_5tupleIJPjSI_NS0_16reverse_iteratorISI_EEEEENSH_IJSG_SG_SG_EEES9_SI_JZNS1_25segmented_radix_sort_implINS0_14default_configELb1EPKiPiPKlPlN2at6native12_GLOBAL__N_18offset_tEEE10hipError_tPvRmT1_PNSt15iterator_traitsIS12_E10value_typeET2_T3_PNS13_IS18_E10value_typeET4_jRbjT5_S1E_jjP12ihipStream_tbEUljE_ZNSN_ISO_Lb1ESQ_SR_ST_SU_SY_EESZ_S10_S11_S12_S16_S17_S18_S1B_S1C_jS1D_jS1E_S1E_jjS1G_bEUljE0_EEESZ_S10_S11_S18_S1C_S1E_T6_T7_T9_mT8_S1G_bDpT10_ENKUlT_T0_E_clISt17integral_constantIbLb1EES1T_IbLb0EEEEDaS1P_S1Q_EUlS1P_E_NS1_11comp_targetILNS1_3genE10ELNS1_11target_archE1200ELNS1_3gpuE4ELNS1_3repE0EEENS1_30default_config_static_selectorELNS0_4arch9wavefront6targetE0EEEvS12_.has_indirect_call, 0
	.section	.AMDGPU.csdata,"",@progbits
; Kernel info:
; codeLenInByte = 4
; TotalNumSgprs: 0
; NumVgprs: 0
; ScratchSize: 0
; MemoryBound: 0
; FloatMode: 240
; IeeeMode: 1
; LDSByteSize: 0 bytes/workgroup (compile time only)
; SGPRBlocks: 0
; VGPRBlocks: 0
; NumSGPRsForWavesPerEU: 1
; NumVGPRsForWavesPerEU: 1
; Occupancy: 16
; WaveLimiterHint : 0
; COMPUTE_PGM_RSRC2:SCRATCH_EN: 0
; COMPUTE_PGM_RSRC2:USER_SGPR: 2
; COMPUTE_PGM_RSRC2:TRAP_HANDLER: 0
; COMPUTE_PGM_RSRC2:TGID_X_EN: 1
; COMPUTE_PGM_RSRC2:TGID_Y_EN: 0
; COMPUTE_PGM_RSRC2:TGID_Z_EN: 0
; COMPUTE_PGM_RSRC2:TIDIG_COMP_CNT: 0
	.section	.text._ZN7rocprim17ROCPRIM_400000_NS6detail17trampoline_kernelINS0_13select_configILj256ELj13ELNS0_17block_load_methodE3ELS4_3ELS4_3ELNS0_20block_scan_algorithmE0ELj4294967295EEENS1_25partition_config_selectorILNS1_17partition_subalgoE4EjNS0_10empty_typeEbEEZZNS1_14partition_implILS8_4ELb0ES6_15HIP_vector_typeIjLj2EENS0_17counting_iteratorIjlEEPS9_SG_NS0_5tupleIJPjSI_NS0_16reverse_iteratorISI_EEEEENSH_IJSG_SG_SG_EEES9_SI_JZNS1_25segmented_radix_sort_implINS0_14default_configELb1EPKiPiPKlPlN2at6native12_GLOBAL__N_18offset_tEEE10hipError_tPvRmT1_PNSt15iterator_traitsIS12_E10value_typeET2_T3_PNS13_IS18_E10value_typeET4_jRbjT5_S1E_jjP12ihipStream_tbEUljE_ZNSN_ISO_Lb1ESQ_SR_ST_SU_SY_EESZ_S10_S11_S12_S16_S17_S18_S1B_S1C_jS1D_jS1E_S1E_jjS1G_bEUljE0_EEESZ_S10_S11_S18_S1C_S1E_T6_T7_T9_mT8_S1G_bDpT10_ENKUlT_T0_E_clISt17integral_constantIbLb1EES1T_IbLb0EEEEDaS1P_S1Q_EUlS1P_E_NS1_11comp_targetILNS1_3genE9ELNS1_11target_archE1100ELNS1_3gpuE3ELNS1_3repE0EEENS1_30default_config_static_selectorELNS0_4arch9wavefront6targetE0EEEvS12_,"axG",@progbits,_ZN7rocprim17ROCPRIM_400000_NS6detail17trampoline_kernelINS0_13select_configILj256ELj13ELNS0_17block_load_methodE3ELS4_3ELS4_3ELNS0_20block_scan_algorithmE0ELj4294967295EEENS1_25partition_config_selectorILNS1_17partition_subalgoE4EjNS0_10empty_typeEbEEZZNS1_14partition_implILS8_4ELb0ES6_15HIP_vector_typeIjLj2EENS0_17counting_iteratorIjlEEPS9_SG_NS0_5tupleIJPjSI_NS0_16reverse_iteratorISI_EEEEENSH_IJSG_SG_SG_EEES9_SI_JZNS1_25segmented_radix_sort_implINS0_14default_configELb1EPKiPiPKlPlN2at6native12_GLOBAL__N_18offset_tEEE10hipError_tPvRmT1_PNSt15iterator_traitsIS12_E10value_typeET2_T3_PNS13_IS18_E10value_typeET4_jRbjT5_S1E_jjP12ihipStream_tbEUljE_ZNSN_ISO_Lb1ESQ_SR_ST_SU_SY_EESZ_S10_S11_S12_S16_S17_S18_S1B_S1C_jS1D_jS1E_S1E_jjS1G_bEUljE0_EEESZ_S10_S11_S18_S1C_S1E_T6_T7_T9_mT8_S1G_bDpT10_ENKUlT_T0_E_clISt17integral_constantIbLb1EES1T_IbLb0EEEEDaS1P_S1Q_EUlS1P_E_NS1_11comp_targetILNS1_3genE9ELNS1_11target_archE1100ELNS1_3gpuE3ELNS1_3repE0EEENS1_30default_config_static_selectorELNS0_4arch9wavefront6targetE0EEEvS12_,comdat
	.globl	_ZN7rocprim17ROCPRIM_400000_NS6detail17trampoline_kernelINS0_13select_configILj256ELj13ELNS0_17block_load_methodE3ELS4_3ELS4_3ELNS0_20block_scan_algorithmE0ELj4294967295EEENS1_25partition_config_selectorILNS1_17partition_subalgoE4EjNS0_10empty_typeEbEEZZNS1_14partition_implILS8_4ELb0ES6_15HIP_vector_typeIjLj2EENS0_17counting_iteratorIjlEEPS9_SG_NS0_5tupleIJPjSI_NS0_16reverse_iteratorISI_EEEEENSH_IJSG_SG_SG_EEES9_SI_JZNS1_25segmented_radix_sort_implINS0_14default_configELb1EPKiPiPKlPlN2at6native12_GLOBAL__N_18offset_tEEE10hipError_tPvRmT1_PNSt15iterator_traitsIS12_E10value_typeET2_T3_PNS13_IS18_E10value_typeET4_jRbjT5_S1E_jjP12ihipStream_tbEUljE_ZNSN_ISO_Lb1ESQ_SR_ST_SU_SY_EESZ_S10_S11_S12_S16_S17_S18_S1B_S1C_jS1D_jS1E_S1E_jjS1G_bEUljE0_EEESZ_S10_S11_S18_S1C_S1E_T6_T7_T9_mT8_S1G_bDpT10_ENKUlT_T0_E_clISt17integral_constantIbLb1EES1T_IbLb0EEEEDaS1P_S1Q_EUlS1P_E_NS1_11comp_targetILNS1_3genE9ELNS1_11target_archE1100ELNS1_3gpuE3ELNS1_3repE0EEENS1_30default_config_static_selectorELNS0_4arch9wavefront6targetE0EEEvS12_ ; -- Begin function _ZN7rocprim17ROCPRIM_400000_NS6detail17trampoline_kernelINS0_13select_configILj256ELj13ELNS0_17block_load_methodE3ELS4_3ELS4_3ELNS0_20block_scan_algorithmE0ELj4294967295EEENS1_25partition_config_selectorILNS1_17partition_subalgoE4EjNS0_10empty_typeEbEEZZNS1_14partition_implILS8_4ELb0ES6_15HIP_vector_typeIjLj2EENS0_17counting_iteratorIjlEEPS9_SG_NS0_5tupleIJPjSI_NS0_16reverse_iteratorISI_EEEEENSH_IJSG_SG_SG_EEES9_SI_JZNS1_25segmented_radix_sort_implINS0_14default_configELb1EPKiPiPKlPlN2at6native12_GLOBAL__N_18offset_tEEE10hipError_tPvRmT1_PNSt15iterator_traitsIS12_E10value_typeET2_T3_PNS13_IS18_E10value_typeET4_jRbjT5_S1E_jjP12ihipStream_tbEUljE_ZNSN_ISO_Lb1ESQ_SR_ST_SU_SY_EESZ_S10_S11_S12_S16_S17_S18_S1B_S1C_jS1D_jS1E_S1E_jjS1G_bEUljE0_EEESZ_S10_S11_S18_S1C_S1E_T6_T7_T9_mT8_S1G_bDpT10_ENKUlT_T0_E_clISt17integral_constantIbLb1EES1T_IbLb0EEEEDaS1P_S1Q_EUlS1P_E_NS1_11comp_targetILNS1_3genE9ELNS1_11target_archE1100ELNS1_3gpuE3ELNS1_3repE0EEENS1_30default_config_static_selectorELNS0_4arch9wavefront6targetE0EEEvS12_
	.p2align	8
	.type	_ZN7rocprim17ROCPRIM_400000_NS6detail17trampoline_kernelINS0_13select_configILj256ELj13ELNS0_17block_load_methodE3ELS4_3ELS4_3ELNS0_20block_scan_algorithmE0ELj4294967295EEENS1_25partition_config_selectorILNS1_17partition_subalgoE4EjNS0_10empty_typeEbEEZZNS1_14partition_implILS8_4ELb0ES6_15HIP_vector_typeIjLj2EENS0_17counting_iteratorIjlEEPS9_SG_NS0_5tupleIJPjSI_NS0_16reverse_iteratorISI_EEEEENSH_IJSG_SG_SG_EEES9_SI_JZNS1_25segmented_radix_sort_implINS0_14default_configELb1EPKiPiPKlPlN2at6native12_GLOBAL__N_18offset_tEEE10hipError_tPvRmT1_PNSt15iterator_traitsIS12_E10value_typeET2_T3_PNS13_IS18_E10value_typeET4_jRbjT5_S1E_jjP12ihipStream_tbEUljE_ZNSN_ISO_Lb1ESQ_SR_ST_SU_SY_EESZ_S10_S11_S12_S16_S17_S18_S1B_S1C_jS1D_jS1E_S1E_jjS1G_bEUljE0_EEESZ_S10_S11_S18_S1C_S1E_T6_T7_T9_mT8_S1G_bDpT10_ENKUlT_T0_E_clISt17integral_constantIbLb1EES1T_IbLb0EEEEDaS1P_S1Q_EUlS1P_E_NS1_11comp_targetILNS1_3genE9ELNS1_11target_archE1100ELNS1_3gpuE3ELNS1_3repE0EEENS1_30default_config_static_selectorELNS0_4arch9wavefront6targetE0EEEvS12_,@function
_ZN7rocprim17ROCPRIM_400000_NS6detail17trampoline_kernelINS0_13select_configILj256ELj13ELNS0_17block_load_methodE3ELS4_3ELS4_3ELNS0_20block_scan_algorithmE0ELj4294967295EEENS1_25partition_config_selectorILNS1_17partition_subalgoE4EjNS0_10empty_typeEbEEZZNS1_14partition_implILS8_4ELb0ES6_15HIP_vector_typeIjLj2EENS0_17counting_iteratorIjlEEPS9_SG_NS0_5tupleIJPjSI_NS0_16reverse_iteratorISI_EEEEENSH_IJSG_SG_SG_EEES9_SI_JZNS1_25segmented_radix_sort_implINS0_14default_configELb1EPKiPiPKlPlN2at6native12_GLOBAL__N_18offset_tEEE10hipError_tPvRmT1_PNSt15iterator_traitsIS12_E10value_typeET2_T3_PNS13_IS18_E10value_typeET4_jRbjT5_S1E_jjP12ihipStream_tbEUljE_ZNSN_ISO_Lb1ESQ_SR_ST_SU_SY_EESZ_S10_S11_S12_S16_S17_S18_S1B_S1C_jS1D_jS1E_S1E_jjS1G_bEUljE0_EEESZ_S10_S11_S18_S1C_S1E_T6_T7_T9_mT8_S1G_bDpT10_ENKUlT_T0_E_clISt17integral_constantIbLb1EES1T_IbLb0EEEEDaS1P_S1Q_EUlS1P_E_NS1_11comp_targetILNS1_3genE9ELNS1_11target_archE1100ELNS1_3gpuE3ELNS1_3repE0EEENS1_30default_config_static_selectorELNS0_4arch9wavefront6targetE0EEEvS12_: ; @_ZN7rocprim17ROCPRIM_400000_NS6detail17trampoline_kernelINS0_13select_configILj256ELj13ELNS0_17block_load_methodE3ELS4_3ELS4_3ELNS0_20block_scan_algorithmE0ELj4294967295EEENS1_25partition_config_selectorILNS1_17partition_subalgoE4EjNS0_10empty_typeEbEEZZNS1_14partition_implILS8_4ELb0ES6_15HIP_vector_typeIjLj2EENS0_17counting_iteratorIjlEEPS9_SG_NS0_5tupleIJPjSI_NS0_16reverse_iteratorISI_EEEEENSH_IJSG_SG_SG_EEES9_SI_JZNS1_25segmented_radix_sort_implINS0_14default_configELb1EPKiPiPKlPlN2at6native12_GLOBAL__N_18offset_tEEE10hipError_tPvRmT1_PNSt15iterator_traitsIS12_E10value_typeET2_T3_PNS13_IS18_E10value_typeET4_jRbjT5_S1E_jjP12ihipStream_tbEUljE_ZNSN_ISO_Lb1ESQ_SR_ST_SU_SY_EESZ_S10_S11_S12_S16_S17_S18_S1B_S1C_jS1D_jS1E_S1E_jjS1G_bEUljE0_EEESZ_S10_S11_S18_S1C_S1E_T6_T7_T9_mT8_S1G_bDpT10_ENKUlT_T0_E_clISt17integral_constantIbLb1EES1T_IbLb0EEEEDaS1P_S1Q_EUlS1P_E_NS1_11comp_targetILNS1_3genE9ELNS1_11target_archE1100ELNS1_3gpuE3ELNS1_3repE0EEENS1_30default_config_static_selectorELNS0_4arch9wavefront6targetE0EEEvS12_
; %bb.0:
	.section	.rodata,"a",@progbits
	.p2align	6, 0x0
	.amdhsa_kernel _ZN7rocprim17ROCPRIM_400000_NS6detail17trampoline_kernelINS0_13select_configILj256ELj13ELNS0_17block_load_methodE3ELS4_3ELS4_3ELNS0_20block_scan_algorithmE0ELj4294967295EEENS1_25partition_config_selectorILNS1_17partition_subalgoE4EjNS0_10empty_typeEbEEZZNS1_14partition_implILS8_4ELb0ES6_15HIP_vector_typeIjLj2EENS0_17counting_iteratorIjlEEPS9_SG_NS0_5tupleIJPjSI_NS0_16reverse_iteratorISI_EEEEENSH_IJSG_SG_SG_EEES9_SI_JZNS1_25segmented_radix_sort_implINS0_14default_configELb1EPKiPiPKlPlN2at6native12_GLOBAL__N_18offset_tEEE10hipError_tPvRmT1_PNSt15iterator_traitsIS12_E10value_typeET2_T3_PNS13_IS18_E10value_typeET4_jRbjT5_S1E_jjP12ihipStream_tbEUljE_ZNSN_ISO_Lb1ESQ_SR_ST_SU_SY_EESZ_S10_S11_S12_S16_S17_S18_S1B_S1C_jS1D_jS1E_S1E_jjS1G_bEUljE0_EEESZ_S10_S11_S18_S1C_S1E_T6_T7_T9_mT8_S1G_bDpT10_ENKUlT_T0_E_clISt17integral_constantIbLb1EES1T_IbLb0EEEEDaS1P_S1Q_EUlS1P_E_NS1_11comp_targetILNS1_3genE9ELNS1_11target_archE1100ELNS1_3gpuE3ELNS1_3repE0EEENS1_30default_config_static_selectorELNS0_4arch9wavefront6targetE0EEEvS12_
		.amdhsa_group_segment_fixed_size 0
		.amdhsa_private_segment_fixed_size 0
		.amdhsa_kernarg_size 176
		.amdhsa_user_sgpr_count 2
		.amdhsa_user_sgpr_dispatch_ptr 0
		.amdhsa_user_sgpr_queue_ptr 0
		.amdhsa_user_sgpr_kernarg_segment_ptr 1
		.amdhsa_user_sgpr_dispatch_id 0
		.amdhsa_user_sgpr_private_segment_size 0
		.amdhsa_wavefront_size32 1
		.amdhsa_uses_dynamic_stack 0
		.amdhsa_enable_private_segment 0
		.amdhsa_system_sgpr_workgroup_id_x 1
		.amdhsa_system_sgpr_workgroup_id_y 0
		.amdhsa_system_sgpr_workgroup_id_z 0
		.amdhsa_system_sgpr_workgroup_info 0
		.amdhsa_system_vgpr_workitem_id 0
		.amdhsa_next_free_vgpr 1
		.amdhsa_next_free_sgpr 1
		.amdhsa_reserve_vcc 0
		.amdhsa_float_round_mode_32 0
		.amdhsa_float_round_mode_16_64 0
		.amdhsa_float_denorm_mode_32 3
		.amdhsa_float_denorm_mode_16_64 3
		.amdhsa_fp16_overflow 0
		.amdhsa_workgroup_processor_mode 1
		.amdhsa_memory_ordered 1
		.amdhsa_forward_progress 1
		.amdhsa_inst_pref_size 0
		.amdhsa_round_robin_scheduling 0
		.amdhsa_exception_fp_ieee_invalid_op 0
		.amdhsa_exception_fp_denorm_src 0
		.amdhsa_exception_fp_ieee_div_zero 0
		.amdhsa_exception_fp_ieee_overflow 0
		.amdhsa_exception_fp_ieee_underflow 0
		.amdhsa_exception_fp_ieee_inexact 0
		.amdhsa_exception_int_div_zero 0
	.end_amdhsa_kernel
	.section	.text._ZN7rocprim17ROCPRIM_400000_NS6detail17trampoline_kernelINS0_13select_configILj256ELj13ELNS0_17block_load_methodE3ELS4_3ELS4_3ELNS0_20block_scan_algorithmE0ELj4294967295EEENS1_25partition_config_selectorILNS1_17partition_subalgoE4EjNS0_10empty_typeEbEEZZNS1_14partition_implILS8_4ELb0ES6_15HIP_vector_typeIjLj2EENS0_17counting_iteratorIjlEEPS9_SG_NS0_5tupleIJPjSI_NS0_16reverse_iteratorISI_EEEEENSH_IJSG_SG_SG_EEES9_SI_JZNS1_25segmented_radix_sort_implINS0_14default_configELb1EPKiPiPKlPlN2at6native12_GLOBAL__N_18offset_tEEE10hipError_tPvRmT1_PNSt15iterator_traitsIS12_E10value_typeET2_T3_PNS13_IS18_E10value_typeET4_jRbjT5_S1E_jjP12ihipStream_tbEUljE_ZNSN_ISO_Lb1ESQ_SR_ST_SU_SY_EESZ_S10_S11_S12_S16_S17_S18_S1B_S1C_jS1D_jS1E_S1E_jjS1G_bEUljE0_EEESZ_S10_S11_S18_S1C_S1E_T6_T7_T9_mT8_S1G_bDpT10_ENKUlT_T0_E_clISt17integral_constantIbLb1EES1T_IbLb0EEEEDaS1P_S1Q_EUlS1P_E_NS1_11comp_targetILNS1_3genE9ELNS1_11target_archE1100ELNS1_3gpuE3ELNS1_3repE0EEENS1_30default_config_static_selectorELNS0_4arch9wavefront6targetE0EEEvS12_,"axG",@progbits,_ZN7rocprim17ROCPRIM_400000_NS6detail17trampoline_kernelINS0_13select_configILj256ELj13ELNS0_17block_load_methodE3ELS4_3ELS4_3ELNS0_20block_scan_algorithmE0ELj4294967295EEENS1_25partition_config_selectorILNS1_17partition_subalgoE4EjNS0_10empty_typeEbEEZZNS1_14partition_implILS8_4ELb0ES6_15HIP_vector_typeIjLj2EENS0_17counting_iteratorIjlEEPS9_SG_NS0_5tupleIJPjSI_NS0_16reverse_iteratorISI_EEEEENSH_IJSG_SG_SG_EEES9_SI_JZNS1_25segmented_radix_sort_implINS0_14default_configELb1EPKiPiPKlPlN2at6native12_GLOBAL__N_18offset_tEEE10hipError_tPvRmT1_PNSt15iterator_traitsIS12_E10value_typeET2_T3_PNS13_IS18_E10value_typeET4_jRbjT5_S1E_jjP12ihipStream_tbEUljE_ZNSN_ISO_Lb1ESQ_SR_ST_SU_SY_EESZ_S10_S11_S12_S16_S17_S18_S1B_S1C_jS1D_jS1E_S1E_jjS1G_bEUljE0_EEESZ_S10_S11_S18_S1C_S1E_T6_T7_T9_mT8_S1G_bDpT10_ENKUlT_T0_E_clISt17integral_constantIbLb1EES1T_IbLb0EEEEDaS1P_S1Q_EUlS1P_E_NS1_11comp_targetILNS1_3genE9ELNS1_11target_archE1100ELNS1_3gpuE3ELNS1_3repE0EEENS1_30default_config_static_selectorELNS0_4arch9wavefront6targetE0EEEvS12_,comdat
.Lfunc_end455:
	.size	_ZN7rocprim17ROCPRIM_400000_NS6detail17trampoline_kernelINS0_13select_configILj256ELj13ELNS0_17block_load_methodE3ELS4_3ELS4_3ELNS0_20block_scan_algorithmE0ELj4294967295EEENS1_25partition_config_selectorILNS1_17partition_subalgoE4EjNS0_10empty_typeEbEEZZNS1_14partition_implILS8_4ELb0ES6_15HIP_vector_typeIjLj2EENS0_17counting_iteratorIjlEEPS9_SG_NS0_5tupleIJPjSI_NS0_16reverse_iteratorISI_EEEEENSH_IJSG_SG_SG_EEES9_SI_JZNS1_25segmented_radix_sort_implINS0_14default_configELb1EPKiPiPKlPlN2at6native12_GLOBAL__N_18offset_tEEE10hipError_tPvRmT1_PNSt15iterator_traitsIS12_E10value_typeET2_T3_PNS13_IS18_E10value_typeET4_jRbjT5_S1E_jjP12ihipStream_tbEUljE_ZNSN_ISO_Lb1ESQ_SR_ST_SU_SY_EESZ_S10_S11_S12_S16_S17_S18_S1B_S1C_jS1D_jS1E_S1E_jjS1G_bEUljE0_EEESZ_S10_S11_S18_S1C_S1E_T6_T7_T9_mT8_S1G_bDpT10_ENKUlT_T0_E_clISt17integral_constantIbLb1EES1T_IbLb0EEEEDaS1P_S1Q_EUlS1P_E_NS1_11comp_targetILNS1_3genE9ELNS1_11target_archE1100ELNS1_3gpuE3ELNS1_3repE0EEENS1_30default_config_static_selectorELNS0_4arch9wavefront6targetE0EEEvS12_, .Lfunc_end455-_ZN7rocprim17ROCPRIM_400000_NS6detail17trampoline_kernelINS0_13select_configILj256ELj13ELNS0_17block_load_methodE3ELS4_3ELS4_3ELNS0_20block_scan_algorithmE0ELj4294967295EEENS1_25partition_config_selectorILNS1_17partition_subalgoE4EjNS0_10empty_typeEbEEZZNS1_14partition_implILS8_4ELb0ES6_15HIP_vector_typeIjLj2EENS0_17counting_iteratorIjlEEPS9_SG_NS0_5tupleIJPjSI_NS0_16reverse_iteratorISI_EEEEENSH_IJSG_SG_SG_EEES9_SI_JZNS1_25segmented_radix_sort_implINS0_14default_configELb1EPKiPiPKlPlN2at6native12_GLOBAL__N_18offset_tEEE10hipError_tPvRmT1_PNSt15iterator_traitsIS12_E10value_typeET2_T3_PNS13_IS18_E10value_typeET4_jRbjT5_S1E_jjP12ihipStream_tbEUljE_ZNSN_ISO_Lb1ESQ_SR_ST_SU_SY_EESZ_S10_S11_S12_S16_S17_S18_S1B_S1C_jS1D_jS1E_S1E_jjS1G_bEUljE0_EEESZ_S10_S11_S18_S1C_S1E_T6_T7_T9_mT8_S1G_bDpT10_ENKUlT_T0_E_clISt17integral_constantIbLb1EES1T_IbLb0EEEEDaS1P_S1Q_EUlS1P_E_NS1_11comp_targetILNS1_3genE9ELNS1_11target_archE1100ELNS1_3gpuE3ELNS1_3repE0EEENS1_30default_config_static_selectorELNS0_4arch9wavefront6targetE0EEEvS12_
                                        ; -- End function
	.set _ZN7rocprim17ROCPRIM_400000_NS6detail17trampoline_kernelINS0_13select_configILj256ELj13ELNS0_17block_load_methodE3ELS4_3ELS4_3ELNS0_20block_scan_algorithmE0ELj4294967295EEENS1_25partition_config_selectorILNS1_17partition_subalgoE4EjNS0_10empty_typeEbEEZZNS1_14partition_implILS8_4ELb0ES6_15HIP_vector_typeIjLj2EENS0_17counting_iteratorIjlEEPS9_SG_NS0_5tupleIJPjSI_NS0_16reverse_iteratorISI_EEEEENSH_IJSG_SG_SG_EEES9_SI_JZNS1_25segmented_radix_sort_implINS0_14default_configELb1EPKiPiPKlPlN2at6native12_GLOBAL__N_18offset_tEEE10hipError_tPvRmT1_PNSt15iterator_traitsIS12_E10value_typeET2_T3_PNS13_IS18_E10value_typeET4_jRbjT5_S1E_jjP12ihipStream_tbEUljE_ZNSN_ISO_Lb1ESQ_SR_ST_SU_SY_EESZ_S10_S11_S12_S16_S17_S18_S1B_S1C_jS1D_jS1E_S1E_jjS1G_bEUljE0_EEESZ_S10_S11_S18_S1C_S1E_T6_T7_T9_mT8_S1G_bDpT10_ENKUlT_T0_E_clISt17integral_constantIbLb1EES1T_IbLb0EEEEDaS1P_S1Q_EUlS1P_E_NS1_11comp_targetILNS1_3genE9ELNS1_11target_archE1100ELNS1_3gpuE3ELNS1_3repE0EEENS1_30default_config_static_selectorELNS0_4arch9wavefront6targetE0EEEvS12_.num_vgpr, 0
	.set _ZN7rocprim17ROCPRIM_400000_NS6detail17trampoline_kernelINS0_13select_configILj256ELj13ELNS0_17block_load_methodE3ELS4_3ELS4_3ELNS0_20block_scan_algorithmE0ELj4294967295EEENS1_25partition_config_selectorILNS1_17partition_subalgoE4EjNS0_10empty_typeEbEEZZNS1_14partition_implILS8_4ELb0ES6_15HIP_vector_typeIjLj2EENS0_17counting_iteratorIjlEEPS9_SG_NS0_5tupleIJPjSI_NS0_16reverse_iteratorISI_EEEEENSH_IJSG_SG_SG_EEES9_SI_JZNS1_25segmented_radix_sort_implINS0_14default_configELb1EPKiPiPKlPlN2at6native12_GLOBAL__N_18offset_tEEE10hipError_tPvRmT1_PNSt15iterator_traitsIS12_E10value_typeET2_T3_PNS13_IS18_E10value_typeET4_jRbjT5_S1E_jjP12ihipStream_tbEUljE_ZNSN_ISO_Lb1ESQ_SR_ST_SU_SY_EESZ_S10_S11_S12_S16_S17_S18_S1B_S1C_jS1D_jS1E_S1E_jjS1G_bEUljE0_EEESZ_S10_S11_S18_S1C_S1E_T6_T7_T9_mT8_S1G_bDpT10_ENKUlT_T0_E_clISt17integral_constantIbLb1EES1T_IbLb0EEEEDaS1P_S1Q_EUlS1P_E_NS1_11comp_targetILNS1_3genE9ELNS1_11target_archE1100ELNS1_3gpuE3ELNS1_3repE0EEENS1_30default_config_static_selectorELNS0_4arch9wavefront6targetE0EEEvS12_.num_agpr, 0
	.set _ZN7rocprim17ROCPRIM_400000_NS6detail17trampoline_kernelINS0_13select_configILj256ELj13ELNS0_17block_load_methodE3ELS4_3ELS4_3ELNS0_20block_scan_algorithmE0ELj4294967295EEENS1_25partition_config_selectorILNS1_17partition_subalgoE4EjNS0_10empty_typeEbEEZZNS1_14partition_implILS8_4ELb0ES6_15HIP_vector_typeIjLj2EENS0_17counting_iteratorIjlEEPS9_SG_NS0_5tupleIJPjSI_NS0_16reverse_iteratorISI_EEEEENSH_IJSG_SG_SG_EEES9_SI_JZNS1_25segmented_radix_sort_implINS0_14default_configELb1EPKiPiPKlPlN2at6native12_GLOBAL__N_18offset_tEEE10hipError_tPvRmT1_PNSt15iterator_traitsIS12_E10value_typeET2_T3_PNS13_IS18_E10value_typeET4_jRbjT5_S1E_jjP12ihipStream_tbEUljE_ZNSN_ISO_Lb1ESQ_SR_ST_SU_SY_EESZ_S10_S11_S12_S16_S17_S18_S1B_S1C_jS1D_jS1E_S1E_jjS1G_bEUljE0_EEESZ_S10_S11_S18_S1C_S1E_T6_T7_T9_mT8_S1G_bDpT10_ENKUlT_T0_E_clISt17integral_constantIbLb1EES1T_IbLb0EEEEDaS1P_S1Q_EUlS1P_E_NS1_11comp_targetILNS1_3genE9ELNS1_11target_archE1100ELNS1_3gpuE3ELNS1_3repE0EEENS1_30default_config_static_selectorELNS0_4arch9wavefront6targetE0EEEvS12_.numbered_sgpr, 0
	.set _ZN7rocprim17ROCPRIM_400000_NS6detail17trampoline_kernelINS0_13select_configILj256ELj13ELNS0_17block_load_methodE3ELS4_3ELS4_3ELNS0_20block_scan_algorithmE0ELj4294967295EEENS1_25partition_config_selectorILNS1_17partition_subalgoE4EjNS0_10empty_typeEbEEZZNS1_14partition_implILS8_4ELb0ES6_15HIP_vector_typeIjLj2EENS0_17counting_iteratorIjlEEPS9_SG_NS0_5tupleIJPjSI_NS0_16reverse_iteratorISI_EEEEENSH_IJSG_SG_SG_EEES9_SI_JZNS1_25segmented_radix_sort_implINS0_14default_configELb1EPKiPiPKlPlN2at6native12_GLOBAL__N_18offset_tEEE10hipError_tPvRmT1_PNSt15iterator_traitsIS12_E10value_typeET2_T3_PNS13_IS18_E10value_typeET4_jRbjT5_S1E_jjP12ihipStream_tbEUljE_ZNSN_ISO_Lb1ESQ_SR_ST_SU_SY_EESZ_S10_S11_S12_S16_S17_S18_S1B_S1C_jS1D_jS1E_S1E_jjS1G_bEUljE0_EEESZ_S10_S11_S18_S1C_S1E_T6_T7_T9_mT8_S1G_bDpT10_ENKUlT_T0_E_clISt17integral_constantIbLb1EES1T_IbLb0EEEEDaS1P_S1Q_EUlS1P_E_NS1_11comp_targetILNS1_3genE9ELNS1_11target_archE1100ELNS1_3gpuE3ELNS1_3repE0EEENS1_30default_config_static_selectorELNS0_4arch9wavefront6targetE0EEEvS12_.num_named_barrier, 0
	.set _ZN7rocprim17ROCPRIM_400000_NS6detail17trampoline_kernelINS0_13select_configILj256ELj13ELNS0_17block_load_methodE3ELS4_3ELS4_3ELNS0_20block_scan_algorithmE0ELj4294967295EEENS1_25partition_config_selectorILNS1_17partition_subalgoE4EjNS0_10empty_typeEbEEZZNS1_14partition_implILS8_4ELb0ES6_15HIP_vector_typeIjLj2EENS0_17counting_iteratorIjlEEPS9_SG_NS0_5tupleIJPjSI_NS0_16reverse_iteratorISI_EEEEENSH_IJSG_SG_SG_EEES9_SI_JZNS1_25segmented_radix_sort_implINS0_14default_configELb1EPKiPiPKlPlN2at6native12_GLOBAL__N_18offset_tEEE10hipError_tPvRmT1_PNSt15iterator_traitsIS12_E10value_typeET2_T3_PNS13_IS18_E10value_typeET4_jRbjT5_S1E_jjP12ihipStream_tbEUljE_ZNSN_ISO_Lb1ESQ_SR_ST_SU_SY_EESZ_S10_S11_S12_S16_S17_S18_S1B_S1C_jS1D_jS1E_S1E_jjS1G_bEUljE0_EEESZ_S10_S11_S18_S1C_S1E_T6_T7_T9_mT8_S1G_bDpT10_ENKUlT_T0_E_clISt17integral_constantIbLb1EES1T_IbLb0EEEEDaS1P_S1Q_EUlS1P_E_NS1_11comp_targetILNS1_3genE9ELNS1_11target_archE1100ELNS1_3gpuE3ELNS1_3repE0EEENS1_30default_config_static_selectorELNS0_4arch9wavefront6targetE0EEEvS12_.private_seg_size, 0
	.set _ZN7rocprim17ROCPRIM_400000_NS6detail17trampoline_kernelINS0_13select_configILj256ELj13ELNS0_17block_load_methodE3ELS4_3ELS4_3ELNS0_20block_scan_algorithmE0ELj4294967295EEENS1_25partition_config_selectorILNS1_17partition_subalgoE4EjNS0_10empty_typeEbEEZZNS1_14partition_implILS8_4ELb0ES6_15HIP_vector_typeIjLj2EENS0_17counting_iteratorIjlEEPS9_SG_NS0_5tupleIJPjSI_NS0_16reverse_iteratorISI_EEEEENSH_IJSG_SG_SG_EEES9_SI_JZNS1_25segmented_radix_sort_implINS0_14default_configELb1EPKiPiPKlPlN2at6native12_GLOBAL__N_18offset_tEEE10hipError_tPvRmT1_PNSt15iterator_traitsIS12_E10value_typeET2_T3_PNS13_IS18_E10value_typeET4_jRbjT5_S1E_jjP12ihipStream_tbEUljE_ZNSN_ISO_Lb1ESQ_SR_ST_SU_SY_EESZ_S10_S11_S12_S16_S17_S18_S1B_S1C_jS1D_jS1E_S1E_jjS1G_bEUljE0_EEESZ_S10_S11_S18_S1C_S1E_T6_T7_T9_mT8_S1G_bDpT10_ENKUlT_T0_E_clISt17integral_constantIbLb1EES1T_IbLb0EEEEDaS1P_S1Q_EUlS1P_E_NS1_11comp_targetILNS1_3genE9ELNS1_11target_archE1100ELNS1_3gpuE3ELNS1_3repE0EEENS1_30default_config_static_selectorELNS0_4arch9wavefront6targetE0EEEvS12_.uses_vcc, 0
	.set _ZN7rocprim17ROCPRIM_400000_NS6detail17trampoline_kernelINS0_13select_configILj256ELj13ELNS0_17block_load_methodE3ELS4_3ELS4_3ELNS0_20block_scan_algorithmE0ELj4294967295EEENS1_25partition_config_selectorILNS1_17partition_subalgoE4EjNS0_10empty_typeEbEEZZNS1_14partition_implILS8_4ELb0ES6_15HIP_vector_typeIjLj2EENS0_17counting_iteratorIjlEEPS9_SG_NS0_5tupleIJPjSI_NS0_16reverse_iteratorISI_EEEEENSH_IJSG_SG_SG_EEES9_SI_JZNS1_25segmented_radix_sort_implINS0_14default_configELb1EPKiPiPKlPlN2at6native12_GLOBAL__N_18offset_tEEE10hipError_tPvRmT1_PNSt15iterator_traitsIS12_E10value_typeET2_T3_PNS13_IS18_E10value_typeET4_jRbjT5_S1E_jjP12ihipStream_tbEUljE_ZNSN_ISO_Lb1ESQ_SR_ST_SU_SY_EESZ_S10_S11_S12_S16_S17_S18_S1B_S1C_jS1D_jS1E_S1E_jjS1G_bEUljE0_EEESZ_S10_S11_S18_S1C_S1E_T6_T7_T9_mT8_S1G_bDpT10_ENKUlT_T0_E_clISt17integral_constantIbLb1EES1T_IbLb0EEEEDaS1P_S1Q_EUlS1P_E_NS1_11comp_targetILNS1_3genE9ELNS1_11target_archE1100ELNS1_3gpuE3ELNS1_3repE0EEENS1_30default_config_static_selectorELNS0_4arch9wavefront6targetE0EEEvS12_.uses_flat_scratch, 0
	.set _ZN7rocprim17ROCPRIM_400000_NS6detail17trampoline_kernelINS0_13select_configILj256ELj13ELNS0_17block_load_methodE3ELS4_3ELS4_3ELNS0_20block_scan_algorithmE0ELj4294967295EEENS1_25partition_config_selectorILNS1_17partition_subalgoE4EjNS0_10empty_typeEbEEZZNS1_14partition_implILS8_4ELb0ES6_15HIP_vector_typeIjLj2EENS0_17counting_iteratorIjlEEPS9_SG_NS0_5tupleIJPjSI_NS0_16reverse_iteratorISI_EEEEENSH_IJSG_SG_SG_EEES9_SI_JZNS1_25segmented_radix_sort_implINS0_14default_configELb1EPKiPiPKlPlN2at6native12_GLOBAL__N_18offset_tEEE10hipError_tPvRmT1_PNSt15iterator_traitsIS12_E10value_typeET2_T3_PNS13_IS18_E10value_typeET4_jRbjT5_S1E_jjP12ihipStream_tbEUljE_ZNSN_ISO_Lb1ESQ_SR_ST_SU_SY_EESZ_S10_S11_S12_S16_S17_S18_S1B_S1C_jS1D_jS1E_S1E_jjS1G_bEUljE0_EEESZ_S10_S11_S18_S1C_S1E_T6_T7_T9_mT8_S1G_bDpT10_ENKUlT_T0_E_clISt17integral_constantIbLb1EES1T_IbLb0EEEEDaS1P_S1Q_EUlS1P_E_NS1_11comp_targetILNS1_3genE9ELNS1_11target_archE1100ELNS1_3gpuE3ELNS1_3repE0EEENS1_30default_config_static_selectorELNS0_4arch9wavefront6targetE0EEEvS12_.has_dyn_sized_stack, 0
	.set _ZN7rocprim17ROCPRIM_400000_NS6detail17trampoline_kernelINS0_13select_configILj256ELj13ELNS0_17block_load_methodE3ELS4_3ELS4_3ELNS0_20block_scan_algorithmE0ELj4294967295EEENS1_25partition_config_selectorILNS1_17partition_subalgoE4EjNS0_10empty_typeEbEEZZNS1_14partition_implILS8_4ELb0ES6_15HIP_vector_typeIjLj2EENS0_17counting_iteratorIjlEEPS9_SG_NS0_5tupleIJPjSI_NS0_16reverse_iteratorISI_EEEEENSH_IJSG_SG_SG_EEES9_SI_JZNS1_25segmented_radix_sort_implINS0_14default_configELb1EPKiPiPKlPlN2at6native12_GLOBAL__N_18offset_tEEE10hipError_tPvRmT1_PNSt15iterator_traitsIS12_E10value_typeET2_T3_PNS13_IS18_E10value_typeET4_jRbjT5_S1E_jjP12ihipStream_tbEUljE_ZNSN_ISO_Lb1ESQ_SR_ST_SU_SY_EESZ_S10_S11_S12_S16_S17_S18_S1B_S1C_jS1D_jS1E_S1E_jjS1G_bEUljE0_EEESZ_S10_S11_S18_S1C_S1E_T6_T7_T9_mT8_S1G_bDpT10_ENKUlT_T0_E_clISt17integral_constantIbLb1EES1T_IbLb0EEEEDaS1P_S1Q_EUlS1P_E_NS1_11comp_targetILNS1_3genE9ELNS1_11target_archE1100ELNS1_3gpuE3ELNS1_3repE0EEENS1_30default_config_static_selectorELNS0_4arch9wavefront6targetE0EEEvS12_.has_recursion, 0
	.set _ZN7rocprim17ROCPRIM_400000_NS6detail17trampoline_kernelINS0_13select_configILj256ELj13ELNS0_17block_load_methodE3ELS4_3ELS4_3ELNS0_20block_scan_algorithmE0ELj4294967295EEENS1_25partition_config_selectorILNS1_17partition_subalgoE4EjNS0_10empty_typeEbEEZZNS1_14partition_implILS8_4ELb0ES6_15HIP_vector_typeIjLj2EENS0_17counting_iteratorIjlEEPS9_SG_NS0_5tupleIJPjSI_NS0_16reverse_iteratorISI_EEEEENSH_IJSG_SG_SG_EEES9_SI_JZNS1_25segmented_radix_sort_implINS0_14default_configELb1EPKiPiPKlPlN2at6native12_GLOBAL__N_18offset_tEEE10hipError_tPvRmT1_PNSt15iterator_traitsIS12_E10value_typeET2_T3_PNS13_IS18_E10value_typeET4_jRbjT5_S1E_jjP12ihipStream_tbEUljE_ZNSN_ISO_Lb1ESQ_SR_ST_SU_SY_EESZ_S10_S11_S12_S16_S17_S18_S1B_S1C_jS1D_jS1E_S1E_jjS1G_bEUljE0_EEESZ_S10_S11_S18_S1C_S1E_T6_T7_T9_mT8_S1G_bDpT10_ENKUlT_T0_E_clISt17integral_constantIbLb1EES1T_IbLb0EEEEDaS1P_S1Q_EUlS1P_E_NS1_11comp_targetILNS1_3genE9ELNS1_11target_archE1100ELNS1_3gpuE3ELNS1_3repE0EEENS1_30default_config_static_selectorELNS0_4arch9wavefront6targetE0EEEvS12_.has_indirect_call, 0
	.section	.AMDGPU.csdata,"",@progbits
; Kernel info:
; codeLenInByte = 0
; TotalNumSgprs: 0
; NumVgprs: 0
; ScratchSize: 0
; MemoryBound: 0
; FloatMode: 240
; IeeeMode: 1
; LDSByteSize: 0 bytes/workgroup (compile time only)
; SGPRBlocks: 0
; VGPRBlocks: 0
; NumSGPRsForWavesPerEU: 1
; NumVGPRsForWavesPerEU: 1
; Occupancy: 16
; WaveLimiterHint : 0
; COMPUTE_PGM_RSRC2:SCRATCH_EN: 0
; COMPUTE_PGM_RSRC2:USER_SGPR: 2
; COMPUTE_PGM_RSRC2:TRAP_HANDLER: 0
; COMPUTE_PGM_RSRC2:TGID_X_EN: 1
; COMPUTE_PGM_RSRC2:TGID_Y_EN: 0
; COMPUTE_PGM_RSRC2:TGID_Z_EN: 0
; COMPUTE_PGM_RSRC2:TIDIG_COMP_CNT: 0
	.section	.text._ZN7rocprim17ROCPRIM_400000_NS6detail17trampoline_kernelINS0_13select_configILj256ELj13ELNS0_17block_load_methodE3ELS4_3ELS4_3ELNS0_20block_scan_algorithmE0ELj4294967295EEENS1_25partition_config_selectorILNS1_17partition_subalgoE4EjNS0_10empty_typeEbEEZZNS1_14partition_implILS8_4ELb0ES6_15HIP_vector_typeIjLj2EENS0_17counting_iteratorIjlEEPS9_SG_NS0_5tupleIJPjSI_NS0_16reverse_iteratorISI_EEEEENSH_IJSG_SG_SG_EEES9_SI_JZNS1_25segmented_radix_sort_implINS0_14default_configELb1EPKiPiPKlPlN2at6native12_GLOBAL__N_18offset_tEEE10hipError_tPvRmT1_PNSt15iterator_traitsIS12_E10value_typeET2_T3_PNS13_IS18_E10value_typeET4_jRbjT5_S1E_jjP12ihipStream_tbEUljE_ZNSN_ISO_Lb1ESQ_SR_ST_SU_SY_EESZ_S10_S11_S12_S16_S17_S18_S1B_S1C_jS1D_jS1E_S1E_jjS1G_bEUljE0_EEESZ_S10_S11_S18_S1C_S1E_T6_T7_T9_mT8_S1G_bDpT10_ENKUlT_T0_E_clISt17integral_constantIbLb1EES1T_IbLb0EEEEDaS1P_S1Q_EUlS1P_E_NS1_11comp_targetILNS1_3genE8ELNS1_11target_archE1030ELNS1_3gpuE2ELNS1_3repE0EEENS1_30default_config_static_selectorELNS0_4arch9wavefront6targetE0EEEvS12_,"axG",@progbits,_ZN7rocprim17ROCPRIM_400000_NS6detail17trampoline_kernelINS0_13select_configILj256ELj13ELNS0_17block_load_methodE3ELS4_3ELS4_3ELNS0_20block_scan_algorithmE0ELj4294967295EEENS1_25partition_config_selectorILNS1_17partition_subalgoE4EjNS0_10empty_typeEbEEZZNS1_14partition_implILS8_4ELb0ES6_15HIP_vector_typeIjLj2EENS0_17counting_iteratorIjlEEPS9_SG_NS0_5tupleIJPjSI_NS0_16reverse_iteratorISI_EEEEENSH_IJSG_SG_SG_EEES9_SI_JZNS1_25segmented_radix_sort_implINS0_14default_configELb1EPKiPiPKlPlN2at6native12_GLOBAL__N_18offset_tEEE10hipError_tPvRmT1_PNSt15iterator_traitsIS12_E10value_typeET2_T3_PNS13_IS18_E10value_typeET4_jRbjT5_S1E_jjP12ihipStream_tbEUljE_ZNSN_ISO_Lb1ESQ_SR_ST_SU_SY_EESZ_S10_S11_S12_S16_S17_S18_S1B_S1C_jS1D_jS1E_S1E_jjS1G_bEUljE0_EEESZ_S10_S11_S18_S1C_S1E_T6_T7_T9_mT8_S1G_bDpT10_ENKUlT_T0_E_clISt17integral_constantIbLb1EES1T_IbLb0EEEEDaS1P_S1Q_EUlS1P_E_NS1_11comp_targetILNS1_3genE8ELNS1_11target_archE1030ELNS1_3gpuE2ELNS1_3repE0EEENS1_30default_config_static_selectorELNS0_4arch9wavefront6targetE0EEEvS12_,comdat
	.globl	_ZN7rocprim17ROCPRIM_400000_NS6detail17trampoline_kernelINS0_13select_configILj256ELj13ELNS0_17block_load_methodE3ELS4_3ELS4_3ELNS0_20block_scan_algorithmE0ELj4294967295EEENS1_25partition_config_selectorILNS1_17partition_subalgoE4EjNS0_10empty_typeEbEEZZNS1_14partition_implILS8_4ELb0ES6_15HIP_vector_typeIjLj2EENS0_17counting_iteratorIjlEEPS9_SG_NS0_5tupleIJPjSI_NS0_16reverse_iteratorISI_EEEEENSH_IJSG_SG_SG_EEES9_SI_JZNS1_25segmented_radix_sort_implINS0_14default_configELb1EPKiPiPKlPlN2at6native12_GLOBAL__N_18offset_tEEE10hipError_tPvRmT1_PNSt15iterator_traitsIS12_E10value_typeET2_T3_PNS13_IS18_E10value_typeET4_jRbjT5_S1E_jjP12ihipStream_tbEUljE_ZNSN_ISO_Lb1ESQ_SR_ST_SU_SY_EESZ_S10_S11_S12_S16_S17_S18_S1B_S1C_jS1D_jS1E_S1E_jjS1G_bEUljE0_EEESZ_S10_S11_S18_S1C_S1E_T6_T7_T9_mT8_S1G_bDpT10_ENKUlT_T0_E_clISt17integral_constantIbLb1EES1T_IbLb0EEEEDaS1P_S1Q_EUlS1P_E_NS1_11comp_targetILNS1_3genE8ELNS1_11target_archE1030ELNS1_3gpuE2ELNS1_3repE0EEENS1_30default_config_static_selectorELNS0_4arch9wavefront6targetE0EEEvS12_ ; -- Begin function _ZN7rocprim17ROCPRIM_400000_NS6detail17trampoline_kernelINS0_13select_configILj256ELj13ELNS0_17block_load_methodE3ELS4_3ELS4_3ELNS0_20block_scan_algorithmE0ELj4294967295EEENS1_25partition_config_selectorILNS1_17partition_subalgoE4EjNS0_10empty_typeEbEEZZNS1_14partition_implILS8_4ELb0ES6_15HIP_vector_typeIjLj2EENS0_17counting_iteratorIjlEEPS9_SG_NS0_5tupleIJPjSI_NS0_16reverse_iteratorISI_EEEEENSH_IJSG_SG_SG_EEES9_SI_JZNS1_25segmented_radix_sort_implINS0_14default_configELb1EPKiPiPKlPlN2at6native12_GLOBAL__N_18offset_tEEE10hipError_tPvRmT1_PNSt15iterator_traitsIS12_E10value_typeET2_T3_PNS13_IS18_E10value_typeET4_jRbjT5_S1E_jjP12ihipStream_tbEUljE_ZNSN_ISO_Lb1ESQ_SR_ST_SU_SY_EESZ_S10_S11_S12_S16_S17_S18_S1B_S1C_jS1D_jS1E_S1E_jjS1G_bEUljE0_EEESZ_S10_S11_S18_S1C_S1E_T6_T7_T9_mT8_S1G_bDpT10_ENKUlT_T0_E_clISt17integral_constantIbLb1EES1T_IbLb0EEEEDaS1P_S1Q_EUlS1P_E_NS1_11comp_targetILNS1_3genE8ELNS1_11target_archE1030ELNS1_3gpuE2ELNS1_3repE0EEENS1_30default_config_static_selectorELNS0_4arch9wavefront6targetE0EEEvS12_
	.p2align	8
	.type	_ZN7rocprim17ROCPRIM_400000_NS6detail17trampoline_kernelINS0_13select_configILj256ELj13ELNS0_17block_load_methodE3ELS4_3ELS4_3ELNS0_20block_scan_algorithmE0ELj4294967295EEENS1_25partition_config_selectorILNS1_17partition_subalgoE4EjNS0_10empty_typeEbEEZZNS1_14partition_implILS8_4ELb0ES6_15HIP_vector_typeIjLj2EENS0_17counting_iteratorIjlEEPS9_SG_NS0_5tupleIJPjSI_NS0_16reverse_iteratorISI_EEEEENSH_IJSG_SG_SG_EEES9_SI_JZNS1_25segmented_radix_sort_implINS0_14default_configELb1EPKiPiPKlPlN2at6native12_GLOBAL__N_18offset_tEEE10hipError_tPvRmT1_PNSt15iterator_traitsIS12_E10value_typeET2_T3_PNS13_IS18_E10value_typeET4_jRbjT5_S1E_jjP12ihipStream_tbEUljE_ZNSN_ISO_Lb1ESQ_SR_ST_SU_SY_EESZ_S10_S11_S12_S16_S17_S18_S1B_S1C_jS1D_jS1E_S1E_jjS1G_bEUljE0_EEESZ_S10_S11_S18_S1C_S1E_T6_T7_T9_mT8_S1G_bDpT10_ENKUlT_T0_E_clISt17integral_constantIbLb1EES1T_IbLb0EEEEDaS1P_S1Q_EUlS1P_E_NS1_11comp_targetILNS1_3genE8ELNS1_11target_archE1030ELNS1_3gpuE2ELNS1_3repE0EEENS1_30default_config_static_selectorELNS0_4arch9wavefront6targetE0EEEvS12_,@function
_ZN7rocprim17ROCPRIM_400000_NS6detail17trampoline_kernelINS0_13select_configILj256ELj13ELNS0_17block_load_methodE3ELS4_3ELS4_3ELNS0_20block_scan_algorithmE0ELj4294967295EEENS1_25partition_config_selectorILNS1_17partition_subalgoE4EjNS0_10empty_typeEbEEZZNS1_14partition_implILS8_4ELb0ES6_15HIP_vector_typeIjLj2EENS0_17counting_iteratorIjlEEPS9_SG_NS0_5tupleIJPjSI_NS0_16reverse_iteratorISI_EEEEENSH_IJSG_SG_SG_EEES9_SI_JZNS1_25segmented_radix_sort_implINS0_14default_configELb1EPKiPiPKlPlN2at6native12_GLOBAL__N_18offset_tEEE10hipError_tPvRmT1_PNSt15iterator_traitsIS12_E10value_typeET2_T3_PNS13_IS18_E10value_typeET4_jRbjT5_S1E_jjP12ihipStream_tbEUljE_ZNSN_ISO_Lb1ESQ_SR_ST_SU_SY_EESZ_S10_S11_S12_S16_S17_S18_S1B_S1C_jS1D_jS1E_S1E_jjS1G_bEUljE0_EEESZ_S10_S11_S18_S1C_S1E_T6_T7_T9_mT8_S1G_bDpT10_ENKUlT_T0_E_clISt17integral_constantIbLb1EES1T_IbLb0EEEEDaS1P_S1Q_EUlS1P_E_NS1_11comp_targetILNS1_3genE8ELNS1_11target_archE1030ELNS1_3gpuE2ELNS1_3repE0EEENS1_30default_config_static_selectorELNS0_4arch9wavefront6targetE0EEEvS12_: ; @_ZN7rocprim17ROCPRIM_400000_NS6detail17trampoline_kernelINS0_13select_configILj256ELj13ELNS0_17block_load_methodE3ELS4_3ELS4_3ELNS0_20block_scan_algorithmE0ELj4294967295EEENS1_25partition_config_selectorILNS1_17partition_subalgoE4EjNS0_10empty_typeEbEEZZNS1_14partition_implILS8_4ELb0ES6_15HIP_vector_typeIjLj2EENS0_17counting_iteratorIjlEEPS9_SG_NS0_5tupleIJPjSI_NS0_16reverse_iteratorISI_EEEEENSH_IJSG_SG_SG_EEES9_SI_JZNS1_25segmented_radix_sort_implINS0_14default_configELb1EPKiPiPKlPlN2at6native12_GLOBAL__N_18offset_tEEE10hipError_tPvRmT1_PNSt15iterator_traitsIS12_E10value_typeET2_T3_PNS13_IS18_E10value_typeET4_jRbjT5_S1E_jjP12ihipStream_tbEUljE_ZNSN_ISO_Lb1ESQ_SR_ST_SU_SY_EESZ_S10_S11_S12_S16_S17_S18_S1B_S1C_jS1D_jS1E_S1E_jjS1G_bEUljE0_EEESZ_S10_S11_S18_S1C_S1E_T6_T7_T9_mT8_S1G_bDpT10_ENKUlT_T0_E_clISt17integral_constantIbLb1EES1T_IbLb0EEEEDaS1P_S1Q_EUlS1P_E_NS1_11comp_targetILNS1_3genE8ELNS1_11target_archE1030ELNS1_3gpuE2ELNS1_3repE0EEENS1_30default_config_static_selectorELNS0_4arch9wavefront6targetE0EEEvS12_
; %bb.0:
	.section	.rodata,"a",@progbits
	.p2align	6, 0x0
	.amdhsa_kernel _ZN7rocprim17ROCPRIM_400000_NS6detail17trampoline_kernelINS0_13select_configILj256ELj13ELNS0_17block_load_methodE3ELS4_3ELS4_3ELNS0_20block_scan_algorithmE0ELj4294967295EEENS1_25partition_config_selectorILNS1_17partition_subalgoE4EjNS0_10empty_typeEbEEZZNS1_14partition_implILS8_4ELb0ES6_15HIP_vector_typeIjLj2EENS0_17counting_iteratorIjlEEPS9_SG_NS0_5tupleIJPjSI_NS0_16reverse_iteratorISI_EEEEENSH_IJSG_SG_SG_EEES9_SI_JZNS1_25segmented_radix_sort_implINS0_14default_configELb1EPKiPiPKlPlN2at6native12_GLOBAL__N_18offset_tEEE10hipError_tPvRmT1_PNSt15iterator_traitsIS12_E10value_typeET2_T3_PNS13_IS18_E10value_typeET4_jRbjT5_S1E_jjP12ihipStream_tbEUljE_ZNSN_ISO_Lb1ESQ_SR_ST_SU_SY_EESZ_S10_S11_S12_S16_S17_S18_S1B_S1C_jS1D_jS1E_S1E_jjS1G_bEUljE0_EEESZ_S10_S11_S18_S1C_S1E_T6_T7_T9_mT8_S1G_bDpT10_ENKUlT_T0_E_clISt17integral_constantIbLb1EES1T_IbLb0EEEEDaS1P_S1Q_EUlS1P_E_NS1_11comp_targetILNS1_3genE8ELNS1_11target_archE1030ELNS1_3gpuE2ELNS1_3repE0EEENS1_30default_config_static_selectorELNS0_4arch9wavefront6targetE0EEEvS12_
		.amdhsa_group_segment_fixed_size 0
		.amdhsa_private_segment_fixed_size 0
		.amdhsa_kernarg_size 176
		.amdhsa_user_sgpr_count 2
		.amdhsa_user_sgpr_dispatch_ptr 0
		.amdhsa_user_sgpr_queue_ptr 0
		.amdhsa_user_sgpr_kernarg_segment_ptr 1
		.amdhsa_user_sgpr_dispatch_id 0
		.amdhsa_user_sgpr_private_segment_size 0
		.amdhsa_wavefront_size32 1
		.amdhsa_uses_dynamic_stack 0
		.amdhsa_enable_private_segment 0
		.amdhsa_system_sgpr_workgroup_id_x 1
		.amdhsa_system_sgpr_workgroup_id_y 0
		.amdhsa_system_sgpr_workgroup_id_z 0
		.amdhsa_system_sgpr_workgroup_info 0
		.amdhsa_system_vgpr_workitem_id 0
		.amdhsa_next_free_vgpr 1
		.amdhsa_next_free_sgpr 1
		.amdhsa_reserve_vcc 0
		.amdhsa_float_round_mode_32 0
		.amdhsa_float_round_mode_16_64 0
		.amdhsa_float_denorm_mode_32 3
		.amdhsa_float_denorm_mode_16_64 3
		.amdhsa_fp16_overflow 0
		.amdhsa_workgroup_processor_mode 1
		.amdhsa_memory_ordered 1
		.amdhsa_forward_progress 1
		.amdhsa_inst_pref_size 0
		.amdhsa_round_robin_scheduling 0
		.amdhsa_exception_fp_ieee_invalid_op 0
		.amdhsa_exception_fp_denorm_src 0
		.amdhsa_exception_fp_ieee_div_zero 0
		.amdhsa_exception_fp_ieee_overflow 0
		.amdhsa_exception_fp_ieee_underflow 0
		.amdhsa_exception_fp_ieee_inexact 0
		.amdhsa_exception_int_div_zero 0
	.end_amdhsa_kernel
	.section	.text._ZN7rocprim17ROCPRIM_400000_NS6detail17trampoline_kernelINS0_13select_configILj256ELj13ELNS0_17block_load_methodE3ELS4_3ELS4_3ELNS0_20block_scan_algorithmE0ELj4294967295EEENS1_25partition_config_selectorILNS1_17partition_subalgoE4EjNS0_10empty_typeEbEEZZNS1_14partition_implILS8_4ELb0ES6_15HIP_vector_typeIjLj2EENS0_17counting_iteratorIjlEEPS9_SG_NS0_5tupleIJPjSI_NS0_16reverse_iteratorISI_EEEEENSH_IJSG_SG_SG_EEES9_SI_JZNS1_25segmented_radix_sort_implINS0_14default_configELb1EPKiPiPKlPlN2at6native12_GLOBAL__N_18offset_tEEE10hipError_tPvRmT1_PNSt15iterator_traitsIS12_E10value_typeET2_T3_PNS13_IS18_E10value_typeET4_jRbjT5_S1E_jjP12ihipStream_tbEUljE_ZNSN_ISO_Lb1ESQ_SR_ST_SU_SY_EESZ_S10_S11_S12_S16_S17_S18_S1B_S1C_jS1D_jS1E_S1E_jjS1G_bEUljE0_EEESZ_S10_S11_S18_S1C_S1E_T6_T7_T9_mT8_S1G_bDpT10_ENKUlT_T0_E_clISt17integral_constantIbLb1EES1T_IbLb0EEEEDaS1P_S1Q_EUlS1P_E_NS1_11comp_targetILNS1_3genE8ELNS1_11target_archE1030ELNS1_3gpuE2ELNS1_3repE0EEENS1_30default_config_static_selectorELNS0_4arch9wavefront6targetE0EEEvS12_,"axG",@progbits,_ZN7rocprim17ROCPRIM_400000_NS6detail17trampoline_kernelINS0_13select_configILj256ELj13ELNS0_17block_load_methodE3ELS4_3ELS4_3ELNS0_20block_scan_algorithmE0ELj4294967295EEENS1_25partition_config_selectorILNS1_17partition_subalgoE4EjNS0_10empty_typeEbEEZZNS1_14partition_implILS8_4ELb0ES6_15HIP_vector_typeIjLj2EENS0_17counting_iteratorIjlEEPS9_SG_NS0_5tupleIJPjSI_NS0_16reverse_iteratorISI_EEEEENSH_IJSG_SG_SG_EEES9_SI_JZNS1_25segmented_radix_sort_implINS0_14default_configELb1EPKiPiPKlPlN2at6native12_GLOBAL__N_18offset_tEEE10hipError_tPvRmT1_PNSt15iterator_traitsIS12_E10value_typeET2_T3_PNS13_IS18_E10value_typeET4_jRbjT5_S1E_jjP12ihipStream_tbEUljE_ZNSN_ISO_Lb1ESQ_SR_ST_SU_SY_EESZ_S10_S11_S12_S16_S17_S18_S1B_S1C_jS1D_jS1E_S1E_jjS1G_bEUljE0_EEESZ_S10_S11_S18_S1C_S1E_T6_T7_T9_mT8_S1G_bDpT10_ENKUlT_T0_E_clISt17integral_constantIbLb1EES1T_IbLb0EEEEDaS1P_S1Q_EUlS1P_E_NS1_11comp_targetILNS1_3genE8ELNS1_11target_archE1030ELNS1_3gpuE2ELNS1_3repE0EEENS1_30default_config_static_selectorELNS0_4arch9wavefront6targetE0EEEvS12_,comdat
.Lfunc_end456:
	.size	_ZN7rocprim17ROCPRIM_400000_NS6detail17trampoline_kernelINS0_13select_configILj256ELj13ELNS0_17block_load_methodE3ELS4_3ELS4_3ELNS0_20block_scan_algorithmE0ELj4294967295EEENS1_25partition_config_selectorILNS1_17partition_subalgoE4EjNS0_10empty_typeEbEEZZNS1_14partition_implILS8_4ELb0ES6_15HIP_vector_typeIjLj2EENS0_17counting_iteratorIjlEEPS9_SG_NS0_5tupleIJPjSI_NS0_16reverse_iteratorISI_EEEEENSH_IJSG_SG_SG_EEES9_SI_JZNS1_25segmented_radix_sort_implINS0_14default_configELb1EPKiPiPKlPlN2at6native12_GLOBAL__N_18offset_tEEE10hipError_tPvRmT1_PNSt15iterator_traitsIS12_E10value_typeET2_T3_PNS13_IS18_E10value_typeET4_jRbjT5_S1E_jjP12ihipStream_tbEUljE_ZNSN_ISO_Lb1ESQ_SR_ST_SU_SY_EESZ_S10_S11_S12_S16_S17_S18_S1B_S1C_jS1D_jS1E_S1E_jjS1G_bEUljE0_EEESZ_S10_S11_S18_S1C_S1E_T6_T7_T9_mT8_S1G_bDpT10_ENKUlT_T0_E_clISt17integral_constantIbLb1EES1T_IbLb0EEEEDaS1P_S1Q_EUlS1P_E_NS1_11comp_targetILNS1_3genE8ELNS1_11target_archE1030ELNS1_3gpuE2ELNS1_3repE0EEENS1_30default_config_static_selectorELNS0_4arch9wavefront6targetE0EEEvS12_, .Lfunc_end456-_ZN7rocprim17ROCPRIM_400000_NS6detail17trampoline_kernelINS0_13select_configILj256ELj13ELNS0_17block_load_methodE3ELS4_3ELS4_3ELNS0_20block_scan_algorithmE0ELj4294967295EEENS1_25partition_config_selectorILNS1_17partition_subalgoE4EjNS0_10empty_typeEbEEZZNS1_14partition_implILS8_4ELb0ES6_15HIP_vector_typeIjLj2EENS0_17counting_iteratorIjlEEPS9_SG_NS0_5tupleIJPjSI_NS0_16reverse_iteratorISI_EEEEENSH_IJSG_SG_SG_EEES9_SI_JZNS1_25segmented_radix_sort_implINS0_14default_configELb1EPKiPiPKlPlN2at6native12_GLOBAL__N_18offset_tEEE10hipError_tPvRmT1_PNSt15iterator_traitsIS12_E10value_typeET2_T3_PNS13_IS18_E10value_typeET4_jRbjT5_S1E_jjP12ihipStream_tbEUljE_ZNSN_ISO_Lb1ESQ_SR_ST_SU_SY_EESZ_S10_S11_S12_S16_S17_S18_S1B_S1C_jS1D_jS1E_S1E_jjS1G_bEUljE0_EEESZ_S10_S11_S18_S1C_S1E_T6_T7_T9_mT8_S1G_bDpT10_ENKUlT_T0_E_clISt17integral_constantIbLb1EES1T_IbLb0EEEEDaS1P_S1Q_EUlS1P_E_NS1_11comp_targetILNS1_3genE8ELNS1_11target_archE1030ELNS1_3gpuE2ELNS1_3repE0EEENS1_30default_config_static_selectorELNS0_4arch9wavefront6targetE0EEEvS12_
                                        ; -- End function
	.set _ZN7rocprim17ROCPRIM_400000_NS6detail17trampoline_kernelINS0_13select_configILj256ELj13ELNS0_17block_load_methodE3ELS4_3ELS4_3ELNS0_20block_scan_algorithmE0ELj4294967295EEENS1_25partition_config_selectorILNS1_17partition_subalgoE4EjNS0_10empty_typeEbEEZZNS1_14partition_implILS8_4ELb0ES6_15HIP_vector_typeIjLj2EENS0_17counting_iteratorIjlEEPS9_SG_NS0_5tupleIJPjSI_NS0_16reverse_iteratorISI_EEEEENSH_IJSG_SG_SG_EEES9_SI_JZNS1_25segmented_radix_sort_implINS0_14default_configELb1EPKiPiPKlPlN2at6native12_GLOBAL__N_18offset_tEEE10hipError_tPvRmT1_PNSt15iterator_traitsIS12_E10value_typeET2_T3_PNS13_IS18_E10value_typeET4_jRbjT5_S1E_jjP12ihipStream_tbEUljE_ZNSN_ISO_Lb1ESQ_SR_ST_SU_SY_EESZ_S10_S11_S12_S16_S17_S18_S1B_S1C_jS1D_jS1E_S1E_jjS1G_bEUljE0_EEESZ_S10_S11_S18_S1C_S1E_T6_T7_T9_mT8_S1G_bDpT10_ENKUlT_T0_E_clISt17integral_constantIbLb1EES1T_IbLb0EEEEDaS1P_S1Q_EUlS1P_E_NS1_11comp_targetILNS1_3genE8ELNS1_11target_archE1030ELNS1_3gpuE2ELNS1_3repE0EEENS1_30default_config_static_selectorELNS0_4arch9wavefront6targetE0EEEvS12_.num_vgpr, 0
	.set _ZN7rocprim17ROCPRIM_400000_NS6detail17trampoline_kernelINS0_13select_configILj256ELj13ELNS0_17block_load_methodE3ELS4_3ELS4_3ELNS0_20block_scan_algorithmE0ELj4294967295EEENS1_25partition_config_selectorILNS1_17partition_subalgoE4EjNS0_10empty_typeEbEEZZNS1_14partition_implILS8_4ELb0ES6_15HIP_vector_typeIjLj2EENS0_17counting_iteratorIjlEEPS9_SG_NS0_5tupleIJPjSI_NS0_16reverse_iteratorISI_EEEEENSH_IJSG_SG_SG_EEES9_SI_JZNS1_25segmented_radix_sort_implINS0_14default_configELb1EPKiPiPKlPlN2at6native12_GLOBAL__N_18offset_tEEE10hipError_tPvRmT1_PNSt15iterator_traitsIS12_E10value_typeET2_T3_PNS13_IS18_E10value_typeET4_jRbjT5_S1E_jjP12ihipStream_tbEUljE_ZNSN_ISO_Lb1ESQ_SR_ST_SU_SY_EESZ_S10_S11_S12_S16_S17_S18_S1B_S1C_jS1D_jS1E_S1E_jjS1G_bEUljE0_EEESZ_S10_S11_S18_S1C_S1E_T6_T7_T9_mT8_S1G_bDpT10_ENKUlT_T0_E_clISt17integral_constantIbLb1EES1T_IbLb0EEEEDaS1P_S1Q_EUlS1P_E_NS1_11comp_targetILNS1_3genE8ELNS1_11target_archE1030ELNS1_3gpuE2ELNS1_3repE0EEENS1_30default_config_static_selectorELNS0_4arch9wavefront6targetE0EEEvS12_.num_agpr, 0
	.set _ZN7rocprim17ROCPRIM_400000_NS6detail17trampoline_kernelINS0_13select_configILj256ELj13ELNS0_17block_load_methodE3ELS4_3ELS4_3ELNS0_20block_scan_algorithmE0ELj4294967295EEENS1_25partition_config_selectorILNS1_17partition_subalgoE4EjNS0_10empty_typeEbEEZZNS1_14partition_implILS8_4ELb0ES6_15HIP_vector_typeIjLj2EENS0_17counting_iteratorIjlEEPS9_SG_NS0_5tupleIJPjSI_NS0_16reverse_iteratorISI_EEEEENSH_IJSG_SG_SG_EEES9_SI_JZNS1_25segmented_radix_sort_implINS0_14default_configELb1EPKiPiPKlPlN2at6native12_GLOBAL__N_18offset_tEEE10hipError_tPvRmT1_PNSt15iterator_traitsIS12_E10value_typeET2_T3_PNS13_IS18_E10value_typeET4_jRbjT5_S1E_jjP12ihipStream_tbEUljE_ZNSN_ISO_Lb1ESQ_SR_ST_SU_SY_EESZ_S10_S11_S12_S16_S17_S18_S1B_S1C_jS1D_jS1E_S1E_jjS1G_bEUljE0_EEESZ_S10_S11_S18_S1C_S1E_T6_T7_T9_mT8_S1G_bDpT10_ENKUlT_T0_E_clISt17integral_constantIbLb1EES1T_IbLb0EEEEDaS1P_S1Q_EUlS1P_E_NS1_11comp_targetILNS1_3genE8ELNS1_11target_archE1030ELNS1_3gpuE2ELNS1_3repE0EEENS1_30default_config_static_selectorELNS0_4arch9wavefront6targetE0EEEvS12_.numbered_sgpr, 0
	.set _ZN7rocprim17ROCPRIM_400000_NS6detail17trampoline_kernelINS0_13select_configILj256ELj13ELNS0_17block_load_methodE3ELS4_3ELS4_3ELNS0_20block_scan_algorithmE0ELj4294967295EEENS1_25partition_config_selectorILNS1_17partition_subalgoE4EjNS0_10empty_typeEbEEZZNS1_14partition_implILS8_4ELb0ES6_15HIP_vector_typeIjLj2EENS0_17counting_iteratorIjlEEPS9_SG_NS0_5tupleIJPjSI_NS0_16reverse_iteratorISI_EEEEENSH_IJSG_SG_SG_EEES9_SI_JZNS1_25segmented_radix_sort_implINS0_14default_configELb1EPKiPiPKlPlN2at6native12_GLOBAL__N_18offset_tEEE10hipError_tPvRmT1_PNSt15iterator_traitsIS12_E10value_typeET2_T3_PNS13_IS18_E10value_typeET4_jRbjT5_S1E_jjP12ihipStream_tbEUljE_ZNSN_ISO_Lb1ESQ_SR_ST_SU_SY_EESZ_S10_S11_S12_S16_S17_S18_S1B_S1C_jS1D_jS1E_S1E_jjS1G_bEUljE0_EEESZ_S10_S11_S18_S1C_S1E_T6_T7_T9_mT8_S1G_bDpT10_ENKUlT_T0_E_clISt17integral_constantIbLb1EES1T_IbLb0EEEEDaS1P_S1Q_EUlS1P_E_NS1_11comp_targetILNS1_3genE8ELNS1_11target_archE1030ELNS1_3gpuE2ELNS1_3repE0EEENS1_30default_config_static_selectorELNS0_4arch9wavefront6targetE0EEEvS12_.num_named_barrier, 0
	.set _ZN7rocprim17ROCPRIM_400000_NS6detail17trampoline_kernelINS0_13select_configILj256ELj13ELNS0_17block_load_methodE3ELS4_3ELS4_3ELNS0_20block_scan_algorithmE0ELj4294967295EEENS1_25partition_config_selectorILNS1_17partition_subalgoE4EjNS0_10empty_typeEbEEZZNS1_14partition_implILS8_4ELb0ES6_15HIP_vector_typeIjLj2EENS0_17counting_iteratorIjlEEPS9_SG_NS0_5tupleIJPjSI_NS0_16reverse_iteratorISI_EEEEENSH_IJSG_SG_SG_EEES9_SI_JZNS1_25segmented_radix_sort_implINS0_14default_configELb1EPKiPiPKlPlN2at6native12_GLOBAL__N_18offset_tEEE10hipError_tPvRmT1_PNSt15iterator_traitsIS12_E10value_typeET2_T3_PNS13_IS18_E10value_typeET4_jRbjT5_S1E_jjP12ihipStream_tbEUljE_ZNSN_ISO_Lb1ESQ_SR_ST_SU_SY_EESZ_S10_S11_S12_S16_S17_S18_S1B_S1C_jS1D_jS1E_S1E_jjS1G_bEUljE0_EEESZ_S10_S11_S18_S1C_S1E_T6_T7_T9_mT8_S1G_bDpT10_ENKUlT_T0_E_clISt17integral_constantIbLb1EES1T_IbLb0EEEEDaS1P_S1Q_EUlS1P_E_NS1_11comp_targetILNS1_3genE8ELNS1_11target_archE1030ELNS1_3gpuE2ELNS1_3repE0EEENS1_30default_config_static_selectorELNS0_4arch9wavefront6targetE0EEEvS12_.private_seg_size, 0
	.set _ZN7rocprim17ROCPRIM_400000_NS6detail17trampoline_kernelINS0_13select_configILj256ELj13ELNS0_17block_load_methodE3ELS4_3ELS4_3ELNS0_20block_scan_algorithmE0ELj4294967295EEENS1_25partition_config_selectorILNS1_17partition_subalgoE4EjNS0_10empty_typeEbEEZZNS1_14partition_implILS8_4ELb0ES6_15HIP_vector_typeIjLj2EENS0_17counting_iteratorIjlEEPS9_SG_NS0_5tupleIJPjSI_NS0_16reverse_iteratorISI_EEEEENSH_IJSG_SG_SG_EEES9_SI_JZNS1_25segmented_radix_sort_implINS0_14default_configELb1EPKiPiPKlPlN2at6native12_GLOBAL__N_18offset_tEEE10hipError_tPvRmT1_PNSt15iterator_traitsIS12_E10value_typeET2_T3_PNS13_IS18_E10value_typeET4_jRbjT5_S1E_jjP12ihipStream_tbEUljE_ZNSN_ISO_Lb1ESQ_SR_ST_SU_SY_EESZ_S10_S11_S12_S16_S17_S18_S1B_S1C_jS1D_jS1E_S1E_jjS1G_bEUljE0_EEESZ_S10_S11_S18_S1C_S1E_T6_T7_T9_mT8_S1G_bDpT10_ENKUlT_T0_E_clISt17integral_constantIbLb1EES1T_IbLb0EEEEDaS1P_S1Q_EUlS1P_E_NS1_11comp_targetILNS1_3genE8ELNS1_11target_archE1030ELNS1_3gpuE2ELNS1_3repE0EEENS1_30default_config_static_selectorELNS0_4arch9wavefront6targetE0EEEvS12_.uses_vcc, 0
	.set _ZN7rocprim17ROCPRIM_400000_NS6detail17trampoline_kernelINS0_13select_configILj256ELj13ELNS0_17block_load_methodE3ELS4_3ELS4_3ELNS0_20block_scan_algorithmE0ELj4294967295EEENS1_25partition_config_selectorILNS1_17partition_subalgoE4EjNS0_10empty_typeEbEEZZNS1_14partition_implILS8_4ELb0ES6_15HIP_vector_typeIjLj2EENS0_17counting_iteratorIjlEEPS9_SG_NS0_5tupleIJPjSI_NS0_16reverse_iteratorISI_EEEEENSH_IJSG_SG_SG_EEES9_SI_JZNS1_25segmented_radix_sort_implINS0_14default_configELb1EPKiPiPKlPlN2at6native12_GLOBAL__N_18offset_tEEE10hipError_tPvRmT1_PNSt15iterator_traitsIS12_E10value_typeET2_T3_PNS13_IS18_E10value_typeET4_jRbjT5_S1E_jjP12ihipStream_tbEUljE_ZNSN_ISO_Lb1ESQ_SR_ST_SU_SY_EESZ_S10_S11_S12_S16_S17_S18_S1B_S1C_jS1D_jS1E_S1E_jjS1G_bEUljE0_EEESZ_S10_S11_S18_S1C_S1E_T6_T7_T9_mT8_S1G_bDpT10_ENKUlT_T0_E_clISt17integral_constantIbLb1EES1T_IbLb0EEEEDaS1P_S1Q_EUlS1P_E_NS1_11comp_targetILNS1_3genE8ELNS1_11target_archE1030ELNS1_3gpuE2ELNS1_3repE0EEENS1_30default_config_static_selectorELNS0_4arch9wavefront6targetE0EEEvS12_.uses_flat_scratch, 0
	.set _ZN7rocprim17ROCPRIM_400000_NS6detail17trampoline_kernelINS0_13select_configILj256ELj13ELNS0_17block_load_methodE3ELS4_3ELS4_3ELNS0_20block_scan_algorithmE0ELj4294967295EEENS1_25partition_config_selectorILNS1_17partition_subalgoE4EjNS0_10empty_typeEbEEZZNS1_14partition_implILS8_4ELb0ES6_15HIP_vector_typeIjLj2EENS0_17counting_iteratorIjlEEPS9_SG_NS0_5tupleIJPjSI_NS0_16reverse_iteratorISI_EEEEENSH_IJSG_SG_SG_EEES9_SI_JZNS1_25segmented_radix_sort_implINS0_14default_configELb1EPKiPiPKlPlN2at6native12_GLOBAL__N_18offset_tEEE10hipError_tPvRmT1_PNSt15iterator_traitsIS12_E10value_typeET2_T3_PNS13_IS18_E10value_typeET4_jRbjT5_S1E_jjP12ihipStream_tbEUljE_ZNSN_ISO_Lb1ESQ_SR_ST_SU_SY_EESZ_S10_S11_S12_S16_S17_S18_S1B_S1C_jS1D_jS1E_S1E_jjS1G_bEUljE0_EEESZ_S10_S11_S18_S1C_S1E_T6_T7_T9_mT8_S1G_bDpT10_ENKUlT_T0_E_clISt17integral_constantIbLb1EES1T_IbLb0EEEEDaS1P_S1Q_EUlS1P_E_NS1_11comp_targetILNS1_3genE8ELNS1_11target_archE1030ELNS1_3gpuE2ELNS1_3repE0EEENS1_30default_config_static_selectorELNS0_4arch9wavefront6targetE0EEEvS12_.has_dyn_sized_stack, 0
	.set _ZN7rocprim17ROCPRIM_400000_NS6detail17trampoline_kernelINS0_13select_configILj256ELj13ELNS0_17block_load_methodE3ELS4_3ELS4_3ELNS0_20block_scan_algorithmE0ELj4294967295EEENS1_25partition_config_selectorILNS1_17partition_subalgoE4EjNS0_10empty_typeEbEEZZNS1_14partition_implILS8_4ELb0ES6_15HIP_vector_typeIjLj2EENS0_17counting_iteratorIjlEEPS9_SG_NS0_5tupleIJPjSI_NS0_16reverse_iteratorISI_EEEEENSH_IJSG_SG_SG_EEES9_SI_JZNS1_25segmented_radix_sort_implINS0_14default_configELb1EPKiPiPKlPlN2at6native12_GLOBAL__N_18offset_tEEE10hipError_tPvRmT1_PNSt15iterator_traitsIS12_E10value_typeET2_T3_PNS13_IS18_E10value_typeET4_jRbjT5_S1E_jjP12ihipStream_tbEUljE_ZNSN_ISO_Lb1ESQ_SR_ST_SU_SY_EESZ_S10_S11_S12_S16_S17_S18_S1B_S1C_jS1D_jS1E_S1E_jjS1G_bEUljE0_EEESZ_S10_S11_S18_S1C_S1E_T6_T7_T9_mT8_S1G_bDpT10_ENKUlT_T0_E_clISt17integral_constantIbLb1EES1T_IbLb0EEEEDaS1P_S1Q_EUlS1P_E_NS1_11comp_targetILNS1_3genE8ELNS1_11target_archE1030ELNS1_3gpuE2ELNS1_3repE0EEENS1_30default_config_static_selectorELNS0_4arch9wavefront6targetE0EEEvS12_.has_recursion, 0
	.set _ZN7rocprim17ROCPRIM_400000_NS6detail17trampoline_kernelINS0_13select_configILj256ELj13ELNS0_17block_load_methodE3ELS4_3ELS4_3ELNS0_20block_scan_algorithmE0ELj4294967295EEENS1_25partition_config_selectorILNS1_17partition_subalgoE4EjNS0_10empty_typeEbEEZZNS1_14partition_implILS8_4ELb0ES6_15HIP_vector_typeIjLj2EENS0_17counting_iteratorIjlEEPS9_SG_NS0_5tupleIJPjSI_NS0_16reverse_iteratorISI_EEEEENSH_IJSG_SG_SG_EEES9_SI_JZNS1_25segmented_radix_sort_implINS0_14default_configELb1EPKiPiPKlPlN2at6native12_GLOBAL__N_18offset_tEEE10hipError_tPvRmT1_PNSt15iterator_traitsIS12_E10value_typeET2_T3_PNS13_IS18_E10value_typeET4_jRbjT5_S1E_jjP12ihipStream_tbEUljE_ZNSN_ISO_Lb1ESQ_SR_ST_SU_SY_EESZ_S10_S11_S12_S16_S17_S18_S1B_S1C_jS1D_jS1E_S1E_jjS1G_bEUljE0_EEESZ_S10_S11_S18_S1C_S1E_T6_T7_T9_mT8_S1G_bDpT10_ENKUlT_T0_E_clISt17integral_constantIbLb1EES1T_IbLb0EEEEDaS1P_S1Q_EUlS1P_E_NS1_11comp_targetILNS1_3genE8ELNS1_11target_archE1030ELNS1_3gpuE2ELNS1_3repE0EEENS1_30default_config_static_selectorELNS0_4arch9wavefront6targetE0EEEvS12_.has_indirect_call, 0
	.section	.AMDGPU.csdata,"",@progbits
; Kernel info:
; codeLenInByte = 0
; TotalNumSgprs: 0
; NumVgprs: 0
; ScratchSize: 0
; MemoryBound: 0
; FloatMode: 240
; IeeeMode: 1
; LDSByteSize: 0 bytes/workgroup (compile time only)
; SGPRBlocks: 0
; VGPRBlocks: 0
; NumSGPRsForWavesPerEU: 1
; NumVGPRsForWavesPerEU: 1
; Occupancy: 16
; WaveLimiterHint : 0
; COMPUTE_PGM_RSRC2:SCRATCH_EN: 0
; COMPUTE_PGM_RSRC2:USER_SGPR: 2
; COMPUTE_PGM_RSRC2:TRAP_HANDLER: 0
; COMPUTE_PGM_RSRC2:TGID_X_EN: 1
; COMPUTE_PGM_RSRC2:TGID_Y_EN: 0
; COMPUTE_PGM_RSRC2:TGID_Z_EN: 0
; COMPUTE_PGM_RSRC2:TIDIG_COMP_CNT: 0
	.section	.text._ZN7rocprim17ROCPRIM_400000_NS6detail17trampoline_kernelINS0_13select_configILj256ELj13ELNS0_17block_load_methodE3ELS4_3ELS4_3ELNS0_20block_scan_algorithmE0ELj4294967295EEENS1_25partition_config_selectorILNS1_17partition_subalgoE4EjNS0_10empty_typeEbEEZZNS1_14partition_implILS8_4ELb0ES6_15HIP_vector_typeIjLj2EENS0_17counting_iteratorIjlEEPS9_SG_NS0_5tupleIJPjSI_NS0_16reverse_iteratorISI_EEEEENSH_IJSG_SG_SG_EEES9_SI_JZNS1_25segmented_radix_sort_implINS0_14default_configELb1EPKiPiPKlPlN2at6native12_GLOBAL__N_18offset_tEEE10hipError_tPvRmT1_PNSt15iterator_traitsIS12_E10value_typeET2_T3_PNS13_IS18_E10value_typeET4_jRbjT5_S1E_jjP12ihipStream_tbEUljE_ZNSN_ISO_Lb1ESQ_SR_ST_SU_SY_EESZ_S10_S11_S12_S16_S17_S18_S1B_S1C_jS1D_jS1E_S1E_jjS1G_bEUljE0_EEESZ_S10_S11_S18_S1C_S1E_T6_T7_T9_mT8_S1G_bDpT10_ENKUlT_T0_E_clISt17integral_constantIbLb0EES1T_IbLb1EEEEDaS1P_S1Q_EUlS1P_E_NS1_11comp_targetILNS1_3genE0ELNS1_11target_archE4294967295ELNS1_3gpuE0ELNS1_3repE0EEENS1_30default_config_static_selectorELNS0_4arch9wavefront6targetE0EEEvS12_,"axG",@progbits,_ZN7rocprim17ROCPRIM_400000_NS6detail17trampoline_kernelINS0_13select_configILj256ELj13ELNS0_17block_load_methodE3ELS4_3ELS4_3ELNS0_20block_scan_algorithmE0ELj4294967295EEENS1_25partition_config_selectorILNS1_17partition_subalgoE4EjNS0_10empty_typeEbEEZZNS1_14partition_implILS8_4ELb0ES6_15HIP_vector_typeIjLj2EENS0_17counting_iteratorIjlEEPS9_SG_NS0_5tupleIJPjSI_NS0_16reverse_iteratorISI_EEEEENSH_IJSG_SG_SG_EEES9_SI_JZNS1_25segmented_radix_sort_implINS0_14default_configELb1EPKiPiPKlPlN2at6native12_GLOBAL__N_18offset_tEEE10hipError_tPvRmT1_PNSt15iterator_traitsIS12_E10value_typeET2_T3_PNS13_IS18_E10value_typeET4_jRbjT5_S1E_jjP12ihipStream_tbEUljE_ZNSN_ISO_Lb1ESQ_SR_ST_SU_SY_EESZ_S10_S11_S12_S16_S17_S18_S1B_S1C_jS1D_jS1E_S1E_jjS1G_bEUljE0_EEESZ_S10_S11_S18_S1C_S1E_T6_T7_T9_mT8_S1G_bDpT10_ENKUlT_T0_E_clISt17integral_constantIbLb0EES1T_IbLb1EEEEDaS1P_S1Q_EUlS1P_E_NS1_11comp_targetILNS1_3genE0ELNS1_11target_archE4294967295ELNS1_3gpuE0ELNS1_3repE0EEENS1_30default_config_static_selectorELNS0_4arch9wavefront6targetE0EEEvS12_,comdat
	.globl	_ZN7rocprim17ROCPRIM_400000_NS6detail17trampoline_kernelINS0_13select_configILj256ELj13ELNS0_17block_load_methodE3ELS4_3ELS4_3ELNS0_20block_scan_algorithmE0ELj4294967295EEENS1_25partition_config_selectorILNS1_17partition_subalgoE4EjNS0_10empty_typeEbEEZZNS1_14partition_implILS8_4ELb0ES6_15HIP_vector_typeIjLj2EENS0_17counting_iteratorIjlEEPS9_SG_NS0_5tupleIJPjSI_NS0_16reverse_iteratorISI_EEEEENSH_IJSG_SG_SG_EEES9_SI_JZNS1_25segmented_radix_sort_implINS0_14default_configELb1EPKiPiPKlPlN2at6native12_GLOBAL__N_18offset_tEEE10hipError_tPvRmT1_PNSt15iterator_traitsIS12_E10value_typeET2_T3_PNS13_IS18_E10value_typeET4_jRbjT5_S1E_jjP12ihipStream_tbEUljE_ZNSN_ISO_Lb1ESQ_SR_ST_SU_SY_EESZ_S10_S11_S12_S16_S17_S18_S1B_S1C_jS1D_jS1E_S1E_jjS1G_bEUljE0_EEESZ_S10_S11_S18_S1C_S1E_T6_T7_T9_mT8_S1G_bDpT10_ENKUlT_T0_E_clISt17integral_constantIbLb0EES1T_IbLb1EEEEDaS1P_S1Q_EUlS1P_E_NS1_11comp_targetILNS1_3genE0ELNS1_11target_archE4294967295ELNS1_3gpuE0ELNS1_3repE0EEENS1_30default_config_static_selectorELNS0_4arch9wavefront6targetE0EEEvS12_ ; -- Begin function _ZN7rocprim17ROCPRIM_400000_NS6detail17trampoline_kernelINS0_13select_configILj256ELj13ELNS0_17block_load_methodE3ELS4_3ELS4_3ELNS0_20block_scan_algorithmE0ELj4294967295EEENS1_25partition_config_selectorILNS1_17partition_subalgoE4EjNS0_10empty_typeEbEEZZNS1_14partition_implILS8_4ELb0ES6_15HIP_vector_typeIjLj2EENS0_17counting_iteratorIjlEEPS9_SG_NS0_5tupleIJPjSI_NS0_16reverse_iteratorISI_EEEEENSH_IJSG_SG_SG_EEES9_SI_JZNS1_25segmented_radix_sort_implINS0_14default_configELb1EPKiPiPKlPlN2at6native12_GLOBAL__N_18offset_tEEE10hipError_tPvRmT1_PNSt15iterator_traitsIS12_E10value_typeET2_T3_PNS13_IS18_E10value_typeET4_jRbjT5_S1E_jjP12ihipStream_tbEUljE_ZNSN_ISO_Lb1ESQ_SR_ST_SU_SY_EESZ_S10_S11_S12_S16_S17_S18_S1B_S1C_jS1D_jS1E_S1E_jjS1G_bEUljE0_EEESZ_S10_S11_S18_S1C_S1E_T6_T7_T9_mT8_S1G_bDpT10_ENKUlT_T0_E_clISt17integral_constantIbLb0EES1T_IbLb1EEEEDaS1P_S1Q_EUlS1P_E_NS1_11comp_targetILNS1_3genE0ELNS1_11target_archE4294967295ELNS1_3gpuE0ELNS1_3repE0EEENS1_30default_config_static_selectorELNS0_4arch9wavefront6targetE0EEEvS12_
	.p2align	8
	.type	_ZN7rocprim17ROCPRIM_400000_NS6detail17trampoline_kernelINS0_13select_configILj256ELj13ELNS0_17block_load_methodE3ELS4_3ELS4_3ELNS0_20block_scan_algorithmE0ELj4294967295EEENS1_25partition_config_selectorILNS1_17partition_subalgoE4EjNS0_10empty_typeEbEEZZNS1_14partition_implILS8_4ELb0ES6_15HIP_vector_typeIjLj2EENS0_17counting_iteratorIjlEEPS9_SG_NS0_5tupleIJPjSI_NS0_16reverse_iteratorISI_EEEEENSH_IJSG_SG_SG_EEES9_SI_JZNS1_25segmented_radix_sort_implINS0_14default_configELb1EPKiPiPKlPlN2at6native12_GLOBAL__N_18offset_tEEE10hipError_tPvRmT1_PNSt15iterator_traitsIS12_E10value_typeET2_T3_PNS13_IS18_E10value_typeET4_jRbjT5_S1E_jjP12ihipStream_tbEUljE_ZNSN_ISO_Lb1ESQ_SR_ST_SU_SY_EESZ_S10_S11_S12_S16_S17_S18_S1B_S1C_jS1D_jS1E_S1E_jjS1G_bEUljE0_EEESZ_S10_S11_S18_S1C_S1E_T6_T7_T9_mT8_S1G_bDpT10_ENKUlT_T0_E_clISt17integral_constantIbLb0EES1T_IbLb1EEEEDaS1P_S1Q_EUlS1P_E_NS1_11comp_targetILNS1_3genE0ELNS1_11target_archE4294967295ELNS1_3gpuE0ELNS1_3repE0EEENS1_30default_config_static_selectorELNS0_4arch9wavefront6targetE0EEEvS12_,@function
_ZN7rocprim17ROCPRIM_400000_NS6detail17trampoline_kernelINS0_13select_configILj256ELj13ELNS0_17block_load_methodE3ELS4_3ELS4_3ELNS0_20block_scan_algorithmE0ELj4294967295EEENS1_25partition_config_selectorILNS1_17partition_subalgoE4EjNS0_10empty_typeEbEEZZNS1_14partition_implILS8_4ELb0ES6_15HIP_vector_typeIjLj2EENS0_17counting_iteratorIjlEEPS9_SG_NS0_5tupleIJPjSI_NS0_16reverse_iteratorISI_EEEEENSH_IJSG_SG_SG_EEES9_SI_JZNS1_25segmented_radix_sort_implINS0_14default_configELb1EPKiPiPKlPlN2at6native12_GLOBAL__N_18offset_tEEE10hipError_tPvRmT1_PNSt15iterator_traitsIS12_E10value_typeET2_T3_PNS13_IS18_E10value_typeET4_jRbjT5_S1E_jjP12ihipStream_tbEUljE_ZNSN_ISO_Lb1ESQ_SR_ST_SU_SY_EESZ_S10_S11_S12_S16_S17_S18_S1B_S1C_jS1D_jS1E_S1E_jjS1G_bEUljE0_EEESZ_S10_S11_S18_S1C_S1E_T6_T7_T9_mT8_S1G_bDpT10_ENKUlT_T0_E_clISt17integral_constantIbLb0EES1T_IbLb1EEEEDaS1P_S1Q_EUlS1P_E_NS1_11comp_targetILNS1_3genE0ELNS1_11target_archE4294967295ELNS1_3gpuE0ELNS1_3repE0EEENS1_30default_config_static_selectorELNS0_4arch9wavefront6targetE0EEEvS12_: ; @_ZN7rocprim17ROCPRIM_400000_NS6detail17trampoline_kernelINS0_13select_configILj256ELj13ELNS0_17block_load_methodE3ELS4_3ELS4_3ELNS0_20block_scan_algorithmE0ELj4294967295EEENS1_25partition_config_selectorILNS1_17partition_subalgoE4EjNS0_10empty_typeEbEEZZNS1_14partition_implILS8_4ELb0ES6_15HIP_vector_typeIjLj2EENS0_17counting_iteratorIjlEEPS9_SG_NS0_5tupleIJPjSI_NS0_16reverse_iteratorISI_EEEEENSH_IJSG_SG_SG_EEES9_SI_JZNS1_25segmented_radix_sort_implINS0_14default_configELb1EPKiPiPKlPlN2at6native12_GLOBAL__N_18offset_tEEE10hipError_tPvRmT1_PNSt15iterator_traitsIS12_E10value_typeET2_T3_PNS13_IS18_E10value_typeET4_jRbjT5_S1E_jjP12ihipStream_tbEUljE_ZNSN_ISO_Lb1ESQ_SR_ST_SU_SY_EESZ_S10_S11_S12_S16_S17_S18_S1B_S1C_jS1D_jS1E_S1E_jjS1G_bEUljE0_EEESZ_S10_S11_S18_S1C_S1E_T6_T7_T9_mT8_S1G_bDpT10_ENKUlT_T0_E_clISt17integral_constantIbLb0EES1T_IbLb1EEEEDaS1P_S1Q_EUlS1P_E_NS1_11comp_targetILNS1_3genE0ELNS1_11target_archE4294967295ELNS1_3gpuE0ELNS1_3repE0EEENS1_30default_config_static_selectorELNS0_4arch9wavefront6targetE0EEEvS12_
; %bb.0:
	.section	.rodata,"a",@progbits
	.p2align	6, 0x0
	.amdhsa_kernel _ZN7rocprim17ROCPRIM_400000_NS6detail17trampoline_kernelINS0_13select_configILj256ELj13ELNS0_17block_load_methodE3ELS4_3ELS4_3ELNS0_20block_scan_algorithmE0ELj4294967295EEENS1_25partition_config_selectorILNS1_17partition_subalgoE4EjNS0_10empty_typeEbEEZZNS1_14partition_implILS8_4ELb0ES6_15HIP_vector_typeIjLj2EENS0_17counting_iteratorIjlEEPS9_SG_NS0_5tupleIJPjSI_NS0_16reverse_iteratorISI_EEEEENSH_IJSG_SG_SG_EEES9_SI_JZNS1_25segmented_radix_sort_implINS0_14default_configELb1EPKiPiPKlPlN2at6native12_GLOBAL__N_18offset_tEEE10hipError_tPvRmT1_PNSt15iterator_traitsIS12_E10value_typeET2_T3_PNS13_IS18_E10value_typeET4_jRbjT5_S1E_jjP12ihipStream_tbEUljE_ZNSN_ISO_Lb1ESQ_SR_ST_SU_SY_EESZ_S10_S11_S12_S16_S17_S18_S1B_S1C_jS1D_jS1E_S1E_jjS1G_bEUljE0_EEESZ_S10_S11_S18_S1C_S1E_T6_T7_T9_mT8_S1G_bDpT10_ENKUlT_T0_E_clISt17integral_constantIbLb0EES1T_IbLb1EEEEDaS1P_S1Q_EUlS1P_E_NS1_11comp_targetILNS1_3genE0ELNS1_11target_archE4294967295ELNS1_3gpuE0ELNS1_3repE0EEENS1_30default_config_static_selectorELNS0_4arch9wavefront6targetE0EEEvS12_
		.amdhsa_group_segment_fixed_size 0
		.amdhsa_private_segment_fixed_size 0
		.amdhsa_kernarg_size 184
		.amdhsa_user_sgpr_count 2
		.amdhsa_user_sgpr_dispatch_ptr 0
		.amdhsa_user_sgpr_queue_ptr 0
		.amdhsa_user_sgpr_kernarg_segment_ptr 1
		.amdhsa_user_sgpr_dispatch_id 0
		.amdhsa_user_sgpr_private_segment_size 0
		.amdhsa_wavefront_size32 1
		.amdhsa_uses_dynamic_stack 0
		.amdhsa_enable_private_segment 0
		.amdhsa_system_sgpr_workgroup_id_x 1
		.amdhsa_system_sgpr_workgroup_id_y 0
		.amdhsa_system_sgpr_workgroup_id_z 0
		.amdhsa_system_sgpr_workgroup_info 0
		.amdhsa_system_vgpr_workitem_id 0
		.amdhsa_next_free_vgpr 1
		.amdhsa_next_free_sgpr 1
		.amdhsa_reserve_vcc 0
		.amdhsa_float_round_mode_32 0
		.amdhsa_float_round_mode_16_64 0
		.amdhsa_float_denorm_mode_32 3
		.amdhsa_float_denorm_mode_16_64 3
		.amdhsa_fp16_overflow 0
		.amdhsa_workgroup_processor_mode 1
		.amdhsa_memory_ordered 1
		.amdhsa_forward_progress 1
		.amdhsa_inst_pref_size 0
		.amdhsa_round_robin_scheduling 0
		.amdhsa_exception_fp_ieee_invalid_op 0
		.amdhsa_exception_fp_denorm_src 0
		.amdhsa_exception_fp_ieee_div_zero 0
		.amdhsa_exception_fp_ieee_overflow 0
		.amdhsa_exception_fp_ieee_underflow 0
		.amdhsa_exception_fp_ieee_inexact 0
		.amdhsa_exception_int_div_zero 0
	.end_amdhsa_kernel
	.section	.text._ZN7rocprim17ROCPRIM_400000_NS6detail17trampoline_kernelINS0_13select_configILj256ELj13ELNS0_17block_load_methodE3ELS4_3ELS4_3ELNS0_20block_scan_algorithmE0ELj4294967295EEENS1_25partition_config_selectorILNS1_17partition_subalgoE4EjNS0_10empty_typeEbEEZZNS1_14partition_implILS8_4ELb0ES6_15HIP_vector_typeIjLj2EENS0_17counting_iteratorIjlEEPS9_SG_NS0_5tupleIJPjSI_NS0_16reverse_iteratorISI_EEEEENSH_IJSG_SG_SG_EEES9_SI_JZNS1_25segmented_radix_sort_implINS0_14default_configELb1EPKiPiPKlPlN2at6native12_GLOBAL__N_18offset_tEEE10hipError_tPvRmT1_PNSt15iterator_traitsIS12_E10value_typeET2_T3_PNS13_IS18_E10value_typeET4_jRbjT5_S1E_jjP12ihipStream_tbEUljE_ZNSN_ISO_Lb1ESQ_SR_ST_SU_SY_EESZ_S10_S11_S12_S16_S17_S18_S1B_S1C_jS1D_jS1E_S1E_jjS1G_bEUljE0_EEESZ_S10_S11_S18_S1C_S1E_T6_T7_T9_mT8_S1G_bDpT10_ENKUlT_T0_E_clISt17integral_constantIbLb0EES1T_IbLb1EEEEDaS1P_S1Q_EUlS1P_E_NS1_11comp_targetILNS1_3genE0ELNS1_11target_archE4294967295ELNS1_3gpuE0ELNS1_3repE0EEENS1_30default_config_static_selectorELNS0_4arch9wavefront6targetE0EEEvS12_,"axG",@progbits,_ZN7rocprim17ROCPRIM_400000_NS6detail17trampoline_kernelINS0_13select_configILj256ELj13ELNS0_17block_load_methodE3ELS4_3ELS4_3ELNS0_20block_scan_algorithmE0ELj4294967295EEENS1_25partition_config_selectorILNS1_17partition_subalgoE4EjNS0_10empty_typeEbEEZZNS1_14partition_implILS8_4ELb0ES6_15HIP_vector_typeIjLj2EENS0_17counting_iteratorIjlEEPS9_SG_NS0_5tupleIJPjSI_NS0_16reverse_iteratorISI_EEEEENSH_IJSG_SG_SG_EEES9_SI_JZNS1_25segmented_radix_sort_implINS0_14default_configELb1EPKiPiPKlPlN2at6native12_GLOBAL__N_18offset_tEEE10hipError_tPvRmT1_PNSt15iterator_traitsIS12_E10value_typeET2_T3_PNS13_IS18_E10value_typeET4_jRbjT5_S1E_jjP12ihipStream_tbEUljE_ZNSN_ISO_Lb1ESQ_SR_ST_SU_SY_EESZ_S10_S11_S12_S16_S17_S18_S1B_S1C_jS1D_jS1E_S1E_jjS1G_bEUljE0_EEESZ_S10_S11_S18_S1C_S1E_T6_T7_T9_mT8_S1G_bDpT10_ENKUlT_T0_E_clISt17integral_constantIbLb0EES1T_IbLb1EEEEDaS1P_S1Q_EUlS1P_E_NS1_11comp_targetILNS1_3genE0ELNS1_11target_archE4294967295ELNS1_3gpuE0ELNS1_3repE0EEENS1_30default_config_static_selectorELNS0_4arch9wavefront6targetE0EEEvS12_,comdat
.Lfunc_end457:
	.size	_ZN7rocprim17ROCPRIM_400000_NS6detail17trampoline_kernelINS0_13select_configILj256ELj13ELNS0_17block_load_methodE3ELS4_3ELS4_3ELNS0_20block_scan_algorithmE0ELj4294967295EEENS1_25partition_config_selectorILNS1_17partition_subalgoE4EjNS0_10empty_typeEbEEZZNS1_14partition_implILS8_4ELb0ES6_15HIP_vector_typeIjLj2EENS0_17counting_iteratorIjlEEPS9_SG_NS0_5tupleIJPjSI_NS0_16reverse_iteratorISI_EEEEENSH_IJSG_SG_SG_EEES9_SI_JZNS1_25segmented_radix_sort_implINS0_14default_configELb1EPKiPiPKlPlN2at6native12_GLOBAL__N_18offset_tEEE10hipError_tPvRmT1_PNSt15iterator_traitsIS12_E10value_typeET2_T3_PNS13_IS18_E10value_typeET4_jRbjT5_S1E_jjP12ihipStream_tbEUljE_ZNSN_ISO_Lb1ESQ_SR_ST_SU_SY_EESZ_S10_S11_S12_S16_S17_S18_S1B_S1C_jS1D_jS1E_S1E_jjS1G_bEUljE0_EEESZ_S10_S11_S18_S1C_S1E_T6_T7_T9_mT8_S1G_bDpT10_ENKUlT_T0_E_clISt17integral_constantIbLb0EES1T_IbLb1EEEEDaS1P_S1Q_EUlS1P_E_NS1_11comp_targetILNS1_3genE0ELNS1_11target_archE4294967295ELNS1_3gpuE0ELNS1_3repE0EEENS1_30default_config_static_selectorELNS0_4arch9wavefront6targetE0EEEvS12_, .Lfunc_end457-_ZN7rocprim17ROCPRIM_400000_NS6detail17trampoline_kernelINS0_13select_configILj256ELj13ELNS0_17block_load_methodE3ELS4_3ELS4_3ELNS0_20block_scan_algorithmE0ELj4294967295EEENS1_25partition_config_selectorILNS1_17partition_subalgoE4EjNS0_10empty_typeEbEEZZNS1_14partition_implILS8_4ELb0ES6_15HIP_vector_typeIjLj2EENS0_17counting_iteratorIjlEEPS9_SG_NS0_5tupleIJPjSI_NS0_16reverse_iteratorISI_EEEEENSH_IJSG_SG_SG_EEES9_SI_JZNS1_25segmented_radix_sort_implINS0_14default_configELb1EPKiPiPKlPlN2at6native12_GLOBAL__N_18offset_tEEE10hipError_tPvRmT1_PNSt15iterator_traitsIS12_E10value_typeET2_T3_PNS13_IS18_E10value_typeET4_jRbjT5_S1E_jjP12ihipStream_tbEUljE_ZNSN_ISO_Lb1ESQ_SR_ST_SU_SY_EESZ_S10_S11_S12_S16_S17_S18_S1B_S1C_jS1D_jS1E_S1E_jjS1G_bEUljE0_EEESZ_S10_S11_S18_S1C_S1E_T6_T7_T9_mT8_S1G_bDpT10_ENKUlT_T0_E_clISt17integral_constantIbLb0EES1T_IbLb1EEEEDaS1P_S1Q_EUlS1P_E_NS1_11comp_targetILNS1_3genE0ELNS1_11target_archE4294967295ELNS1_3gpuE0ELNS1_3repE0EEENS1_30default_config_static_selectorELNS0_4arch9wavefront6targetE0EEEvS12_
                                        ; -- End function
	.set _ZN7rocprim17ROCPRIM_400000_NS6detail17trampoline_kernelINS0_13select_configILj256ELj13ELNS0_17block_load_methodE3ELS4_3ELS4_3ELNS0_20block_scan_algorithmE0ELj4294967295EEENS1_25partition_config_selectorILNS1_17partition_subalgoE4EjNS0_10empty_typeEbEEZZNS1_14partition_implILS8_4ELb0ES6_15HIP_vector_typeIjLj2EENS0_17counting_iteratorIjlEEPS9_SG_NS0_5tupleIJPjSI_NS0_16reverse_iteratorISI_EEEEENSH_IJSG_SG_SG_EEES9_SI_JZNS1_25segmented_radix_sort_implINS0_14default_configELb1EPKiPiPKlPlN2at6native12_GLOBAL__N_18offset_tEEE10hipError_tPvRmT1_PNSt15iterator_traitsIS12_E10value_typeET2_T3_PNS13_IS18_E10value_typeET4_jRbjT5_S1E_jjP12ihipStream_tbEUljE_ZNSN_ISO_Lb1ESQ_SR_ST_SU_SY_EESZ_S10_S11_S12_S16_S17_S18_S1B_S1C_jS1D_jS1E_S1E_jjS1G_bEUljE0_EEESZ_S10_S11_S18_S1C_S1E_T6_T7_T9_mT8_S1G_bDpT10_ENKUlT_T0_E_clISt17integral_constantIbLb0EES1T_IbLb1EEEEDaS1P_S1Q_EUlS1P_E_NS1_11comp_targetILNS1_3genE0ELNS1_11target_archE4294967295ELNS1_3gpuE0ELNS1_3repE0EEENS1_30default_config_static_selectorELNS0_4arch9wavefront6targetE0EEEvS12_.num_vgpr, 0
	.set _ZN7rocprim17ROCPRIM_400000_NS6detail17trampoline_kernelINS0_13select_configILj256ELj13ELNS0_17block_load_methodE3ELS4_3ELS4_3ELNS0_20block_scan_algorithmE0ELj4294967295EEENS1_25partition_config_selectorILNS1_17partition_subalgoE4EjNS0_10empty_typeEbEEZZNS1_14partition_implILS8_4ELb0ES6_15HIP_vector_typeIjLj2EENS0_17counting_iteratorIjlEEPS9_SG_NS0_5tupleIJPjSI_NS0_16reverse_iteratorISI_EEEEENSH_IJSG_SG_SG_EEES9_SI_JZNS1_25segmented_radix_sort_implINS0_14default_configELb1EPKiPiPKlPlN2at6native12_GLOBAL__N_18offset_tEEE10hipError_tPvRmT1_PNSt15iterator_traitsIS12_E10value_typeET2_T3_PNS13_IS18_E10value_typeET4_jRbjT5_S1E_jjP12ihipStream_tbEUljE_ZNSN_ISO_Lb1ESQ_SR_ST_SU_SY_EESZ_S10_S11_S12_S16_S17_S18_S1B_S1C_jS1D_jS1E_S1E_jjS1G_bEUljE0_EEESZ_S10_S11_S18_S1C_S1E_T6_T7_T9_mT8_S1G_bDpT10_ENKUlT_T0_E_clISt17integral_constantIbLb0EES1T_IbLb1EEEEDaS1P_S1Q_EUlS1P_E_NS1_11comp_targetILNS1_3genE0ELNS1_11target_archE4294967295ELNS1_3gpuE0ELNS1_3repE0EEENS1_30default_config_static_selectorELNS0_4arch9wavefront6targetE0EEEvS12_.num_agpr, 0
	.set _ZN7rocprim17ROCPRIM_400000_NS6detail17trampoline_kernelINS0_13select_configILj256ELj13ELNS0_17block_load_methodE3ELS4_3ELS4_3ELNS0_20block_scan_algorithmE0ELj4294967295EEENS1_25partition_config_selectorILNS1_17partition_subalgoE4EjNS0_10empty_typeEbEEZZNS1_14partition_implILS8_4ELb0ES6_15HIP_vector_typeIjLj2EENS0_17counting_iteratorIjlEEPS9_SG_NS0_5tupleIJPjSI_NS0_16reverse_iteratorISI_EEEEENSH_IJSG_SG_SG_EEES9_SI_JZNS1_25segmented_radix_sort_implINS0_14default_configELb1EPKiPiPKlPlN2at6native12_GLOBAL__N_18offset_tEEE10hipError_tPvRmT1_PNSt15iterator_traitsIS12_E10value_typeET2_T3_PNS13_IS18_E10value_typeET4_jRbjT5_S1E_jjP12ihipStream_tbEUljE_ZNSN_ISO_Lb1ESQ_SR_ST_SU_SY_EESZ_S10_S11_S12_S16_S17_S18_S1B_S1C_jS1D_jS1E_S1E_jjS1G_bEUljE0_EEESZ_S10_S11_S18_S1C_S1E_T6_T7_T9_mT8_S1G_bDpT10_ENKUlT_T0_E_clISt17integral_constantIbLb0EES1T_IbLb1EEEEDaS1P_S1Q_EUlS1P_E_NS1_11comp_targetILNS1_3genE0ELNS1_11target_archE4294967295ELNS1_3gpuE0ELNS1_3repE0EEENS1_30default_config_static_selectorELNS0_4arch9wavefront6targetE0EEEvS12_.numbered_sgpr, 0
	.set _ZN7rocprim17ROCPRIM_400000_NS6detail17trampoline_kernelINS0_13select_configILj256ELj13ELNS0_17block_load_methodE3ELS4_3ELS4_3ELNS0_20block_scan_algorithmE0ELj4294967295EEENS1_25partition_config_selectorILNS1_17partition_subalgoE4EjNS0_10empty_typeEbEEZZNS1_14partition_implILS8_4ELb0ES6_15HIP_vector_typeIjLj2EENS0_17counting_iteratorIjlEEPS9_SG_NS0_5tupleIJPjSI_NS0_16reverse_iteratorISI_EEEEENSH_IJSG_SG_SG_EEES9_SI_JZNS1_25segmented_radix_sort_implINS0_14default_configELb1EPKiPiPKlPlN2at6native12_GLOBAL__N_18offset_tEEE10hipError_tPvRmT1_PNSt15iterator_traitsIS12_E10value_typeET2_T3_PNS13_IS18_E10value_typeET4_jRbjT5_S1E_jjP12ihipStream_tbEUljE_ZNSN_ISO_Lb1ESQ_SR_ST_SU_SY_EESZ_S10_S11_S12_S16_S17_S18_S1B_S1C_jS1D_jS1E_S1E_jjS1G_bEUljE0_EEESZ_S10_S11_S18_S1C_S1E_T6_T7_T9_mT8_S1G_bDpT10_ENKUlT_T0_E_clISt17integral_constantIbLb0EES1T_IbLb1EEEEDaS1P_S1Q_EUlS1P_E_NS1_11comp_targetILNS1_3genE0ELNS1_11target_archE4294967295ELNS1_3gpuE0ELNS1_3repE0EEENS1_30default_config_static_selectorELNS0_4arch9wavefront6targetE0EEEvS12_.num_named_barrier, 0
	.set _ZN7rocprim17ROCPRIM_400000_NS6detail17trampoline_kernelINS0_13select_configILj256ELj13ELNS0_17block_load_methodE3ELS4_3ELS4_3ELNS0_20block_scan_algorithmE0ELj4294967295EEENS1_25partition_config_selectorILNS1_17partition_subalgoE4EjNS0_10empty_typeEbEEZZNS1_14partition_implILS8_4ELb0ES6_15HIP_vector_typeIjLj2EENS0_17counting_iteratorIjlEEPS9_SG_NS0_5tupleIJPjSI_NS0_16reverse_iteratorISI_EEEEENSH_IJSG_SG_SG_EEES9_SI_JZNS1_25segmented_radix_sort_implINS0_14default_configELb1EPKiPiPKlPlN2at6native12_GLOBAL__N_18offset_tEEE10hipError_tPvRmT1_PNSt15iterator_traitsIS12_E10value_typeET2_T3_PNS13_IS18_E10value_typeET4_jRbjT5_S1E_jjP12ihipStream_tbEUljE_ZNSN_ISO_Lb1ESQ_SR_ST_SU_SY_EESZ_S10_S11_S12_S16_S17_S18_S1B_S1C_jS1D_jS1E_S1E_jjS1G_bEUljE0_EEESZ_S10_S11_S18_S1C_S1E_T6_T7_T9_mT8_S1G_bDpT10_ENKUlT_T0_E_clISt17integral_constantIbLb0EES1T_IbLb1EEEEDaS1P_S1Q_EUlS1P_E_NS1_11comp_targetILNS1_3genE0ELNS1_11target_archE4294967295ELNS1_3gpuE0ELNS1_3repE0EEENS1_30default_config_static_selectorELNS0_4arch9wavefront6targetE0EEEvS12_.private_seg_size, 0
	.set _ZN7rocprim17ROCPRIM_400000_NS6detail17trampoline_kernelINS0_13select_configILj256ELj13ELNS0_17block_load_methodE3ELS4_3ELS4_3ELNS0_20block_scan_algorithmE0ELj4294967295EEENS1_25partition_config_selectorILNS1_17partition_subalgoE4EjNS0_10empty_typeEbEEZZNS1_14partition_implILS8_4ELb0ES6_15HIP_vector_typeIjLj2EENS0_17counting_iteratorIjlEEPS9_SG_NS0_5tupleIJPjSI_NS0_16reverse_iteratorISI_EEEEENSH_IJSG_SG_SG_EEES9_SI_JZNS1_25segmented_radix_sort_implINS0_14default_configELb1EPKiPiPKlPlN2at6native12_GLOBAL__N_18offset_tEEE10hipError_tPvRmT1_PNSt15iterator_traitsIS12_E10value_typeET2_T3_PNS13_IS18_E10value_typeET4_jRbjT5_S1E_jjP12ihipStream_tbEUljE_ZNSN_ISO_Lb1ESQ_SR_ST_SU_SY_EESZ_S10_S11_S12_S16_S17_S18_S1B_S1C_jS1D_jS1E_S1E_jjS1G_bEUljE0_EEESZ_S10_S11_S18_S1C_S1E_T6_T7_T9_mT8_S1G_bDpT10_ENKUlT_T0_E_clISt17integral_constantIbLb0EES1T_IbLb1EEEEDaS1P_S1Q_EUlS1P_E_NS1_11comp_targetILNS1_3genE0ELNS1_11target_archE4294967295ELNS1_3gpuE0ELNS1_3repE0EEENS1_30default_config_static_selectorELNS0_4arch9wavefront6targetE0EEEvS12_.uses_vcc, 0
	.set _ZN7rocprim17ROCPRIM_400000_NS6detail17trampoline_kernelINS0_13select_configILj256ELj13ELNS0_17block_load_methodE3ELS4_3ELS4_3ELNS0_20block_scan_algorithmE0ELj4294967295EEENS1_25partition_config_selectorILNS1_17partition_subalgoE4EjNS0_10empty_typeEbEEZZNS1_14partition_implILS8_4ELb0ES6_15HIP_vector_typeIjLj2EENS0_17counting_iteratorIjlEEPS9_SG_NS0_5tupleIJPjSI_NS0_16reverse_iteratorISI_EEEEENSH_IJSG_SG_SG_EEES9_SI_JZNS1_25segmented_radix_sort_implINS0_14default_configELb1EPKiPiPKlPlN2at6native12_GLOBAL__N_18offset_tEEE10hipError_tPvRmT1_PNSt15iterator_traitsIS12_E10value_typeET2_T3_PNS13_IS18_E10value_typeET4_jRbjT5_S1E_jjP12ihipStream_tbEUljE_ZNSN_ISO_Lb1ESQ_SR_ST_SU_SY_EESZ_S10_S11_S12_S16_S17_S18_S1B_S1C_jS1D_jS1E_S1E_jjS1G_bEUljE0_EEESZ_S10_S11_S18_S1C_S1E_T6_T7_T9_mT8_S1G_bDpT10_ENKUlT_T0_E_clISt17integral_constantIbLb0EES1T_IbLb1EEEEDaS1P_S1Q_EUlS1P_E_NS1_11comp_targetILNS1_3genE0ELNS1_11target_archE4294967295ELNS1_3gpuE0ELNS1_3repE0EEENS1_30default_config_static_selectorELNS0_4arch9wavefront6targetE0EEEvS12_.uses_flat_scratch, 0
	.set _ZN7rocprim17ROCPRIM_400000_NS6detail17trampoline_kernelINS0_13select_configILj256ELj13ELNS0_17block_load_methodE3ELS4_3ELS4_3ELNS0_20block_scan_algorithmE0ELj4294967295EEENS1_25partition_config_selectorILNS1_17partition_subalgoE4EjNS0_10empty_typeEbEEZZNS1_14partition_implILS8_4ELb0ES6_15HIP_vector_typeIjLj2EENS0_17counting_iteratorIjlEEPS9_SG_NS0_5tupleIJPjSI_NS0_16reverse_iteratorISI_EEEEENSH_IJSG_SG_SG_EEES9_SI_JZNS1_25segmented_radix_sort_implINS0_14default_configELb1EPKiPiPKlPlN2at6native12_GLOBAL__N_18offset_tEEE10hipError_tPvRmT1_PNSt15iterator_traitsIS12_E10value_typeET2_T3_PNS13_IS18_E10value_typeET4_jRbjT5_S1E_jjP12ihipStream_tbEUljE_ZNSN_ISO_Lb1ESQ_SR_ST_SU_SY_EESZ_S10_S11_S12_S16_S17_S18_S1B_S1C_jS1D_jS1E_S1E_jjS1G_bEUljE0_EEESZ_S10_S11_S18_S1C_S1E_T6_T7_T9_mT8_S1G_bDpT10_ENKUlT_T0_E_clISt17integral_constantIbLb0EES1T_IbLb1EEEEDaS1P_S1Q_EUlS1P_E_NS1_11comp_targetILNS1_3genE0ELNS1_11target_archE4294967295ELNS1_3gpuE0ELNS1_3repE0EEENS1_30default_config_static_selectorELNS0_4arch9wavefront6targetE0EEEvS12_.has_dyn_sized_stack, 0
	.set _ZN7rocprim17ROCPRIM_400000_NS6detail17trampoline_kernelINS0_13select_configILj256ELj13ELNS0_17block_load_methodE3ELS4_3ELS4_3ELNS0_20block_scan_algorithmE0ELj4294967295EEENS1_25partition_config_selectorILNS1_17partition_subalgoE4EjNS0_10empty_typeEbEEZZNS1_14partition_implILS8_4ELb0ES6_15HIP_vector_typeIjLj2EENS0_17counting_iteratorIjlEEPS9_SG_NS0_5tupleIJPjSI_NS0_16reverse_iteratorISI_EEEEENSH_IJSG_SG_SG_EEES9_SI_JZNS1_25segmented_radix_sort_implINS0_14default_configELb1EPKiPiPKlPlN2at6native12_GLOBAL__N_18offset_tEEE10hipError_tPvRmT1_PNSt15iterator_traitsIS12_E10value_typeET2_T3_PNS13_IS18_E10value_typeET4_jRbjT5_S1E_jjP12ihipStream_tbEUljE_ZNSN_ISO_Lb1ESQ_SR_ST_SU_SY_EESZ_S10_S11_S12_S16_S17_S18_S1B_S1C_jS1D_jS1E_S1E_jjS1G_bEUljE0_EEESZ_S10_S11_S18_S1C_S1E_T6_T7_T9_mT8_S1G_bDpT10_ENKUlT_T0_E_clISt17integral_constantIbLb0EES1T_IbLb1EEEEDaS1P_S1Q_EUlS1P_E_NS1_11comp_targetILNS1_3genE0ELNS1_11target_archE4294967295ELNS1_3gpuE0ELNS1_3repE0EEENS1_30default_config_static_selectorELNS0_4arch9wavefront6targetE0EEEvS12_.has_recursion, 0
	.set _ZN7rocprim17ROCPRIM_400000_NS6detail17trampoline_kernelINS0_13select_configILj256ELj13ELNS0_17block_load_methodE3ELS4_3ELS4_3ELNS0_20block_scan_algorithmE0ELj4294967295EEENS1_25partition_config_selectorILNS1_17partition_subalgoE4EjNS0_10empty_typeEbEEZZNS1_14partition_implILS8_4ELb0ES6_15HIP_vector_typeIjLj2EENS0_17counting_iteratorIjlEEPS9_SG_NS0_5tupleIJPjSI_NS0_16reverse_iteratorISI_EEEEENSH_IJSG_SG_SG_EEES9_SI_JZNS1_25segmented_radix_sort_implINS0_14default_configELb1EPKiPiPKlPlN2at6native12_GLOBAL__N_18offset_tEEE10hipError_tPvRmT1_PNSt15iterator_traitsIS12_E10value_typeET2_T3_PNS13_IS18_E10value_typeET4_jRbjT5_S1E_jjP12ihipStream_tbEUljE_ZNSN_ISO_Lb1ESQ_SR_ST_SU_SY_EESZ_S10_S11_S12_S16_S17_S18_S1B_S1C_jS1D_jS1E_S1E_jjS1G_bEUljE0_EEESZ_S10_S11_S18_S1C_S1E_T6_T7_T9_mT8_S1G_bDpT10_ENKUlT_T0_E_clISt17integral_constantIbLb0EES1T_IbLb1EEEEDaS1P_S1Q_EUlS1P_E_NS1_11comp_targetILNS1_3genE0ELNS1_11target_archE4294967295ELNS1_3gpuE0ELNS1_3repE0EEENS1_30default_config_static_selectorELNS0_4arch9wavefront6targetE0EEEvS12_.has_indirect_call, 0
	.section	.AMDGPU.csdata,"",@progbits
; Kernel info:
; codeLenInByte = 0
; TotalNumSgprs: 0
; NumVgprs: 0
; ScratchSize: 0
; MemoryBound: 0
; FloatMode: 240
; IeeeMode: 1
; LDSByteSize: 0 bytes/workgroup (compile time only)
; SGPRBlocks: 0
; VGPRBlocks: 0
; NumSGPRsForWavesPerEU: 1
; NumVGPRsForWavesPerEU: 1
; Occupancy: 16
; WaveLimiterHint : 0
; COMPUTE_PGM_RSRC2:SCRATCH_EN: 0
; COMPUTE_PGM_RSRC2:USER_SGPR: 2
; COMPUTE_PGM_RSRC2:TRAP_HANDLER: 0
; COMPUTE_PGM_RSRC2:TGID_X_EN: 1
; COMPUTE_PGM_RSRC2:TGID_Y_EN: 0
; COMPUTE_PGM_RSRC2:TGID_Z_EN: 0
; COMPUTE_PGM_RSRC2:TIDIG_COMP_CNT: 0
	.section	.text._ZN7rocprim17ROCPRIM_400000_NS6detail17trampoline_kernelINS0_13select_configILj256ELj13ELNS0_17block_load_methodE3ELS4_3ELS4_3ELNS0_20block_scan_algorithmE0ELj4294967295EEENS1_25partition_config_selectorILNS1_17partition_subalgoE4EjNS0_10empty_typeEbEEZZNS1_14partition_implILS8_4ELb0ES6_15HIP_vector_typeIjLj2EENS0_17counting_iteratorIjlEEPS9_SG_NS0_5tupleIJPjSI_NS0_16reverse_iteratorISI_EEEEENSH_IJSG_SG_SG_EEES9_SI_JZNS1_25segmented_radix_sort_implINS0_14default_configELb1EPKiPiPKlPlN2at6native12_GLOBAL__N_18offset_tEEE10hipError_tPvRmT1_PNSt15iterator_traitsIS12_E10value_typeET2_T3_PNS13_IS18_E10value_typeET4_jRbjT5_S1E_jjP12ihipStream_tbEUljE_ZNSN_ISO_Lb1ESQ_SR_ST_SU_SY_EESZ_S10_S11_S12_S16_S17_S18_S1B_S1C_jS1D_jS1E_S1E_jjS1G_bEUljE0_EEESZ_S10_S11_S18_S1C_S1E_T6_T7_T9_mT8_S1G_bDpT10_ENKUlT_T0_E_clISt17integral_constantIbLb0EES1T_IbLb1EEEEDaS1P_S1Q_EUlS1P_E_NS1_11comp_targetILNS1_3genE5ELNS1_11target_archE942ELNS1_3gpuE9ELNS1_3repE0EEENS1_30default_config_static_selectorELNS0_4arch9wavefront6targetE0EEEvS12_,"axG",@progbits,_ZN7rocprim17ROCPRIM_400000_NS6detail17trampoline_kernelINS0_13select_configILj256ELj13ELNS0_17block_load_methodE3ELS4_3ELS4_3ELNS0_20block_scan_algorithmE0ELj4294967295EEENS1_25partition_config_selectorILNS1_17partition_subalgoE4EjNS0_10empty_typeEbEEZZNS1_14partition_implILS8_4ELb0ES6_15HIP_vector_typeIjLj2EENS0_17counting_iteratorIjlEEPS9_SG_NS0_5tupleIJPjSI_NS0_16reverse_iteratorISI_EEEEENSH_IJSG_SG_SG_EEES9_SI_JZNS1_25segmented_radix_sort_implINS0_14default_configELb1EPKiPiPKlPlN2at6native12_GLOBAL__N_18offset_tEEE10hipError_tPvRmT1_PNSt15iterator_traitsIS12_E10value_typeET2_T3_PNS13_IS18_E10value_typeET4_jRbjT5_S1E_jjP12ihipStream_tbEUljE_ZNSN_ISO_Lb1ESQ_SR_ST_SU_SY_EESZ_S10_S11_S12_S16_S17_S18_S1B_S1C_jS1D_jS1E_S1E_jjS1G_bEUljE0_EEESZ_S10_S11_S18_S1C_S1E_T6_T7_T9_mT8_S1G_bDpT10_ENKUlT_T0_E_clISt17integral_constantIbLb0EES1T_IbLb1EEEEDaS1P_S1Q_EUlS1P_E_NS1_11comp_targetILNS1_3genE5ELNS1_11target_archE942ELNS1_3gpuE9ELNS1_3repE0EEENS1_30default_config_static_selectorELNS0_4arch9wavefront6targetE0EEEvS12_,comdat
	.globl	_ZN7rocprim17ROCPRIM_400000_NS6detail17trampoline_kernelINS0_13select_configILj256ELj13ELNS0_17block_load_methodE3ELS4_3ELS4_3ELNS0_20block_scan_algorithmE0ELj4294967295EEENS1_25partition_config_selectorILNS1_17partition_subalgoE4EjNS0_10empty_typeEbEEZZNS1_14partition_implILS8_4ELb0ES6_15HIP_vector_typeIjLj2EENS0_17counting_iteratorIjlEEPS9_SG_NS0_5tupleIJPjSI_NS0_16reverse_iteratorISI_EEEEENSH_IJSG_SG_SG_EEES9_SI_JZNS1_25segmented_radix_sort_implINS0_14default_configELb1EPKiPiPKlPlN2at6native12_GLOBAL__N_18offset_tEEE10hipError_tPvRmT1_PNSt15iterator_traitsIS12_E10value_typeET2_T3_PNS13_IS18_E10value_typeET4_jRbjT5_S1E_jjP12ihipStream_tbEUljE_ZNSN_ISO_Lb1ESQ_SR_ST_SU_SY_EESZ_S10_S11_S12_S16_S17_S18_S1B_S1C_jS1D_jS1E_S1E_jjS1G_bEUljE0_EEESZ_S10_S11_S18_S1C_S1E_T6_T7_T9_mT8_S1G_bDpT10_ENKUlT_T0_E_clISt17integral_constantIbLb0EES1T_IbLb1EEEEDaS1P_S1Q_EUlS1P_E_NS1_11comp_targetILNS1_3genE5ELNS1_11target_archE942ELNS1_3gpuE9ELNS1_3repE0EEENS1_30default_config_static_selectorELNS0_4arch9wavefront6targetE0EEEvS12_ ; -- Begin function _ZN7rocprim17ROCPRIM_400000_NS6detail17trampoline_kernelINS0_13select_configILj256ELj13ELNS0_17block_load_methodE3ELS4_3ELS4_3ELNS0_20block_scan_algorithmE0ELj4294967295EEENS1_25partition_config_selectorILNS1_17partition_subalgoE4EjNS0_10empty_typeEbEEZZNS1_14partition_implILS8_4ELb0ES6_15HIP_vector_typeIjLj2EENS0_17counting_iteratorIjlEEPS9_SG_NS0_5tupleIJPjSI_NS0_16reverse_iteratorISI_EEEEENSH_IJSG_SG_SG_EEES9_SI_JZNS1_25segmented_radix_sort_implINS0_14default_configELb1EPKiPiPKlPlN2at6native12_GLOBAL__N_18offset_tEEE10hipError_tPvRmT1_PNSt15iterator_traitsIS12_E10value_typeET2_T3_PNS13_IS18_E10value_typeET4_jRbjT5_S1E_jjP12ihipStream_tbEUljE_ZNSN_ISO_Lb1ESQ_SR_ST_SU_SY_EESZ_S10_S11_S12_S16_S17_S18_S1B_S1C_jS1D_jS1E_S1E_jjS1G_bEUljE0_EEESZ_S10_S11_S18_S1C_S1E_T6_T7_T9_mT8_S1G_bDpT10_ENKUlT_T0_E_clISt17integral_constantIbLb0EES1T_IbLb1EEEEDaS1P_S1Q_EUlS1P_E_NS1_11comp_targetILNS1_3genE5ELNS1_11target_archE942ELNS1_3gpuE9ELNS1_3repE0EEENS1_30default_config_static_selectorELNS0_4arch9wavefront6targetE0EEEvS12_
	.p2align	8
	.type	_ZN7rocprim17ROCPRIM_400000_NS6detail17trampoline_kernelINS0_13select_configILj256ELj13ELNS0_17block_load_methodE3ELS4_3ELS4_3ELNS0_20block_scan_algorithmE0ELj4294967295EEENS1_25partition_config_selectorILNS1_17partition_subalgoE4EjNS0_10empty_typeEbEEZZNS1_14partition_implILS8_4ELb0ES6_15HIP_vector_typeIjLj2EENS0_17counting_iteratorIjlEEPS9_SG_NS0_5tupleIJPjSI_NS0_16reverse_iteratorISI_EEEEENSH_IJSG_SG_SG_EEES9_SI_JZNS1_25segmented_radix_sort_implINS0_14default_configELb1EPKiPiPKlPlN2at6native12_GLOBAL__N_18offset_tEEE10hipError_tPvRmT1_PNSt15iterator_traitsIS12_E10value_typeET2_T3_PNS13_IS18_E10value_typeET4_jRbjT5_S1E_jjP12ihipStream_tbEUljE_ZNSN_ISO_Lb1ESQ_SR_ST_SU_SY_EESZ_S10_S11_S12_S16_S17_S18_S1B_S1C_jS1D_jS1E_S1E_jjS1G_bEUljE0_EEESZ_S10_S11_S18_S1C_S1E_T6_T7_T9_mT8_S1G_bDpT10_ENKUlT_T0_E_clISt17integral_constantIbLb0EES1T_IbLb1EEEEDaS1P_S1Q_EUlS1P_E_NS1_11comp_targetILNS1_3genE5ELNS1_11target_archE942ELNS1_3gpuE9ELNS1_3repE0EEENS1_30default_config_static_selectorELNS0_4arch9wavefront6targetE0EEEvS12_,@function
_ZN7rocprim17ROCPRIM_400000_NS6detail17trampoline_kernelINS0_13select_configILj256ELj13ELNS0_17block_load_methodE3ELS4_3ELS4_3ELNS0_20block_scan_algorithmE0ELj4294967295EEENS1_25partition_config_selectorILNS1_17partition_subalgoE4EjNS0_10empty_typeEbEEZZNS1_14partition_implILS8_4ELb0ES6_15HIP_vector_typeIjLj2EENS0_17counting_iteratorIjlEEPS9_SG_NS0_5tupleIJPjSI_NS0_16reverse_iteratorISI_EEEEENSH_IJSG_SG_SG_EEES9_SI_JZNS1_25segmented_radix_sort_implINS0_14default_configELb1EPKiPiPKlPlN2at6native12_GLOBAL__N_18offset_tEEE10hipError_tPvRmT1_PNSt15iterator_traitsIS12_E10value_typeET2_T3_PNS13_IS18_E10value_typeET4_jRbjT5_S1E_jjP12ihipStream_tbEUljE_ZNSN_ISO_Lb1ESQ_SR_ST_SU_SY_EESZ_S10_S11_S12_S16_S17_S18_S1B_S1C_jS1D_jS1E_S1E_jjS1G_bEUljE0_EEESZ_S10_S11_S18_S1C_S1E_T6_T7_T9_mT8_S1G_bDpT10_ENKUlT_T0_E_clISt17integral_constantIbLb0EES1T_IbLb1EEEEDaS1P_S1Q_EUlS1P_E_NS1_11comp_targetILNS1_3genE5ELNS1_11target_archE942ELNS1_3gpuE9ELNS1_3repE0EEENS1_30default_config_static_selectorELNS0_4arch9wavefront6targetE0EEEvS12_: ; @_ZN7rocprim17ROCPRIM_400000_NS6detail17trampoline_kernelINS0_13select_configILj256ELj13ELNS0_17block_load_methodE3ELS4_3ELS4_3ELNS0_20block_scan_algorithmE0ELj4294967295EEENS1_25partition_config_selectorILNS1_17partition_subalgoE4EjNS0_10empty_typeEbEEZZNS1_14partition_implILS8_4ELb0ES6_15HIP_vector_typeIjLj2EENS0_17counting_iteratorIjlEEPS9_SG_NS0_5tupleIJPjSI_NS0_16reverse_iteratorISI_EEEEENSH_IJSG_SG_SG_EEES9_SI_JZNS1_25segmented_radix_sort_implINS0_14default_configELb1EPKiPiPKlPlN2at6native12_GLOBAL__N_18offset_tEEE10hipError_tPvRmT1_PNSt15iterator_traitsIS12_E10value_typeET2_T3_PNS13_IS18_E10value_typeET4_jRbjT5_S1E_jjP12ihipStream_tbEUljE_ZNSN_ISO_Lb1ESQ_SR_ST_SU_SY_EESZ_S10_S11_S12_S16_S17_S18_S1B_S1C_jS1D_jS1E_S1E_jjS1G_bEUljE0_EEESZ_S10_S11_S18_S1C_S1E_T6_T7_T9_mT8_S1G_bDpT10_ENKUlT_T0_E_clISt17integral_constantIbLb0EES1T_IbLb1EEEEDaS1P_S1Q_EUlS1P_E_NS1_11comp_targetILNS1_3genE5ELNS1_11target_archE942ELNS1_3gpuE9ELNS1_3repE0EEENS1_30default_config_static_selectorELNS0_4arch9wavefront6targetE0EEEvS12_
; %bb.0:
	.section	.rodata,"a",@progbits
	.p2align	6, 0x0
	.amdhsa_kernel _ZN7rocprim17ROCPRIM_400000_NS6detail17trampoline_kernelINS0_13select_configILj256ELj13ELNS0_17block_load_methodE3ELS4_3ELS4_3ELNS0_20block_scan_algorithmE0ELj4294967295EEENS1_25partition_config_selectorILNS1_17partition_subalgoE4EjNS0_10empty_typeEbEEZZNS1_14partition_implILS8_4ELb0ES6_15HIP_vector_typeIjLj2EENS0_17counting_iteratorIjlEEPS9_SG_NS0_5tupleIJPjSI_NS0_16reverse_iteratorISI_EEEEENSH_IJSG_SG_SG_EEES9_SI_JZNS1_25segmented_radix_sort_implINS0_14default_configELb1EPKiPiPKlPlN2at6native12_GLOBAL__N_18offset_tEEE10hipError_tPvRmT1_PNSt15iterator_traitsIS12_E10value_typeET2_T3_PNS13_IS18_E10value_typeET4_jRbjT5_S1E_jjP12ihipStream_tbEUljE_ZNSN_ISO_Lb1ESQ_SR_ST_SU_SY_EESZ_S10_S11_S12_S16_S17_S18_S1B_S1C_jS1D_jS1E_S1E_jjS1G_bEUljE0_EEESZ_S10_S11_S18_S1C_S1E_T6_T7_T9_mT8_S1G_bDpT10_ENKUlT_T0_E_clISt17integral_constantIbLb0EES1T_IbLb1EEEEDaS1P_S1Q_EUlS1P_E_NS1_11comp_targetILNS1_3genE5ELNS1_11target_archE942ELNS1_3gpuE9ELNS1_3repE0EEENS1_30default_config_static_selectorELNS0_4arch9wavefront6targetE0EEEvS12_
		.amdhsa_group_segment_fixed_size 0
		.amdhsa_private_segment_fixed_size 0
		.amdhsa_kernarg_size 184
		.amdhsa_user_sgpr_count 2
		.amdhsa_user_sgpr_dispatch_ptr 0
		.amdhsa_user_sgpr_queue_ptr 0
		.amdhsa_user_sgpr_kernarg_segment_ptr 1
		.amdhsa_user_sgpr_dispatch_id 0
		.amdhsa_user_sgpr_private_segment_size 0
		.amdhsa_wavefront_size32 1
		.amdhsa_uses_dynamic_stack 0
		.amdhsa_enable_private_segment 0
		.amdhsa_system_sgpr_workgroup_id_x 1
		.amdhsa_system_sgpr_workgroup_id_y 0
		.amdhsa_system_sgpr_workgroup_id_z 0
		.amdhsa_system_sgpr_workgroup_info 0
		.amdhsa_system_vgpr_workitem_id 0
		.amdhsa_next_free_vgpr 1
		.amdhsa_next_free_sgpr 1
		.amdhsa_reserve_vcc 0
		.amdhsa_float_round_mode_32 0
		.amdhsa_float_round_mode_16_64 0
		.amdhsa_float_denorm_mode_32 3
		.amdhsa_float_denorm_mode_16_64 3
		.amdhsa_fp16_overflow 0
		.amdhsa_workgroup_processor_mode 1
		.amdhsa_memory_ordered 1
		.amdhsa_forward_progress 1
		.amdhsa_inst_pref_size 0
		.amdhsa_round_robin_scheduling 0
		.amdhsa_exception_fp_ieee_invalid_op 0
		.amdhsa_exception_fp_denorm_src 0
		.amdhsa_exception_fp_ieee_div_zero 0
		.amdhsa_exception_fp_ieee_overflow 0
		.amdhsa_exception_fp_ieee_underflow 0
		.amdhsa_exception_fp_ieee_inexact 0
		.amdhsa_exception_int_div_zero 0
	.end_amdhsa_kernel
	.section	.text._ZN7rocprim17ROCPRIM_400000_NS6detail17trampoline_kernelINS0_13select_configILj256ELj13ELNS0_17block_load_methodE3ELS4_3ELS4_3ELNS0_20block_scan_algorithmE0ELj4294967295EEENS1_25partition_config_selectorILNS1_17partition_subalgoE4EjNS0_10empty_typeEbEEZZNS1_14partition_implILS8_4ELb0ES6_15HIP_vector_typeIjLj2EENS0_17counting_iteratorIjlEEPS9_SG_NS0_5tupleIJPjSI_NS0_16reverse_iteratorISI_EEEEENSH_IJSG_SG_SG_EEES9_SI_JZNS1_25segmented_radix_sort_implINS0_14default_configELb1EPKiPiPKlPlN2at6native12_GLOBAL__N_18offset_tEEE10hipError_tPvRmT1_PNSt15iterator_traitsIS12_E10value_typeET2_T3_PNS13_IS18_E10value_typeET4_jRbjT5_S1E_jjP12ihipStream_tbEUljE_ZNSN_ISO_Lb1ESQ_SR_ST_SU_SY_EESZ_S10_S11_S12_S16_S17_S18_S1B_S1C_jS1D_jS1E_S1E_jjS1G_bEUljE0_EEESZ_S10_S11_S18_S1C_S1E_T6_T7_T9_mT8_S1G_bDpT10_ENKUlT_T0_E_clISt17integral_constantIbLb0EES1T_IbLb1EEEEDaS1P_S1Q_EUlS1P_E_NS1_11comp_targetILNS1_3genE5ELNS1_11target_archE942ELNS1_3gpuE9ELNS1_3repE0EEENS1_30default_config_static_selectorELNS0_4arch9wavefront6targetE0EEEvS12_,"axG",@progbits,_ZN7rocprim17ROCPRIM_400000_NS6detail17trampoline_kernelINS0_13select_configILj256ELj13ELNS0_17block_load_methodE3ELS4_3ELS4_3ELNS0_20block_scan_algorithmE0ELj4294967295EEENS1_25partition_config_selectorILNS1_17partition_subalgoE4EjNS0_10empty_typeEbEEZZNS1_14partition_implILS8_4ELb0ES6_15HIP_vector_typeIjLj2EENS0_17counting_iteratorIjlEEPS9_SG_NS0_5tupleIJPjSI_NS0_16reverse_iteratorISI_EEEEENSH_IJSG_SG_SG_EEES9_SI_JZNS1_25segmented_radix_sort_implINS0_14default_configELb1EPKiPiPKlPlN2at6native12_GLOBAL__N_18offset_tEEE10hipError_tPvRmT1_PNSt15iterator_traitsIS12_E10value_typeET2_T3_PNS13_IS18_E10value_typeET4_jRbjT5_S1E_jjP12ihipStream_tbEUljE_ZNSN_ISO_Lb1ESQ_SR_ST_SU_SY_EESZ_S10_S11_S12_S16_S17_S18_S1B_S1C_jS1D_jS1E_S1E_jjS1G_bEUljE0_EEESZ_S10_S11_S18_S1C_S1E_T6_T7_T9_mT8_S1G_bDpT10_ENKUlT_T0_E_clISt17integral_constantIbLb0EES1T_IbLb1EEEEDaS1P_S1Q_EUlS1P_E_NS1_11comp_targetILNS1_3genE5ELNS1_11target_archE942ELNS1_3gpuE9ELNS1_3repE0EEENS1_30default_config_static_selectorELNS0_4arch9wavefront6targetE0EEEvS12_,comdat
.Lfunc_end458:
	.size	_ZN7rocprim17ROCPRIM_400000_NS6detail17trampoline_kernelINS0_13select_configILj256ELj13ELNS0_17block_load_methodE3ELS4_3ELS4_3ELNS0_20block_scan_algorithmE0ELj4294967295EEENS1_25partition_config_selectorILNS1_17partition_subalgoE4EjNS0_10empty_typeEbEEZZNS1_14partition_implILS8_4ELb0ES6_15HIP_vector_typeIjLj2EENS0_17counting_iteratorIjlEEPS9_SG_NS0_5tupleIJPjSI_NS0_16reverse_iteratorISI_EEEEENSH_IJSG_SG_SG_EEES9_SI_JZNS1_25segmented_radix_sort_implINS0_14default_configELb1EPKiPiPKlPlN2at6native12_GLOBAL__N_18offset_tEEE10hipError_tPvRmT1_PNSt15iterator_traitsIS12_E10value_typeET2_T3_PNS13_IS18_E10value_typeET4_jRbjT5_S1E_jjP12ihipStream_tbEUljE_ZNSN_ISO_Lb1ESQ_SR_ST_SU_SY_EESZ_S10_S11_S12_S16_S17_S18_S1B_S1C_jS1D_jS1E_S1E_jjS1G_bEUljE0_EEESZ_S10_S11_S18_S1C_S1E_T6_T7_T9_mT8_S1G_bDpT10_ENKUlT_T0_E_clISt17integral_constantIbLb0EES1T_IbLb1EEEEDaS1P_S1Q_EUlS1P_E_NS1_11comp_targetILNS1_3genE5ELNS1_11target_archE942ELNS1_3gpuE9ELNS1_3repE0EEENS1_30default_config_static_selectorELNS0_4arch9wavefront6targetE0EEEvS12_, .Lfunc_end458-_ZN7rocprim17ROCPRIM_400000_NS6detail17trampoline_kernelINS0_13select_configILj256ELj13ELNS0_17block_load_methodE3ELS4_3ELS4_3ELNS0_20block_scan_algorithmE0ELj4294967295EEENS1_25partition_config_selectorILNS1_17partition_subalgoE4EjNS0_10empty_typeEbEEZZNS1_14partition_implILS8_4ELb0ES6_15HIP_vector_typeIjLj2EENS0_17counting_iteratorIjlEEPS9_SG_NS0_5tupleIJPjSI_NS0_16reverse_iteratorISI_EEEEENSH_IJSG_SG_SG_EEES9_SI_JZNS1_25segmented_radix_sort_implINS0_14default_configELb1EPKiPiPKlPlN2at6native12_GLOBAL__N_18offset_tEEE10hipError_tPvRmT1_PNSt15iterator_traitsIS12_E10value_typeET2_T3_PNS13_IS18_E10value_typeET4_jRbjT5_S1E_jjP12ihipStream_tbEUljE_ZNSN_ISO_Lb1ESQ_SR_ST_SU_SY_EESZ_S10_S11_S12_S16_S17_S18_S1B_S1C_jS1D_jS1E_S1E_jjS1G_bEUljE0_EEESZ_S10_S11_S18_S1C_S1E_T6_T7_T9_mT8_S1G_bDpT10_ENKUlT_T0_E_clISt17integral_constantIbLb0EES1T_IbLb1EEEEDaS1P_S1Q_EUlS1P_E_NS1_11comp_targetILNS1_3genE5ELNS1_11target_archE942ELNS1_3gpuE9ELNS1_3repE0EEENS1_30default_config_static_selectorELNS0_4arch9wavefront6targetE0EEEvS12_
                                        ; -- End function
	.set _ZN7rocprim17ROCPRIM_400000_NS6detail17trampoline_kernelINS0_13select_configILj256ELj13ELNS0_17block_load_methodE3ELS4_3ELS4_3ELNS0_20block_scan_algorithmE0ELj4294967295EEENS1_25partition_config_selectorILNS1_17partition_subalgoE4EjNS0_10empty_typeEbEEZZNS1_14partition_implILS8_4ELb0ES6_15HIP_vector_typeIjLj2EENS0_17counting_iteratorIjlEEPS9_SG_NS0_5tupleIJPjSI_NS0_16reverse_iteratorISI_EEEEENSH_IJSG_SG_SG_EEES9_SI_JZNS1_25segmented_radix_sort_implINS0_14default_configELb1EPKiPiPKlPlN2at6native12_GLOBAL__N_18offset_tEEE10hipError_tPvRmT1_PNSt15iterator_traitsIS12_E10value_typeET2_T3_PNS13_IS18_E10value_typeET4_jRbjT5_S1E_jjP12ihipStream_tbEUljE_ZNSN_ISO_Lb1ESQ_SR_ST_SU_SY_EESZ_S10_S11_S12_S16_S17_S18_S1B_S1C_jS1D_jS1E_S1E_jjS1G_bEUljE0_EEESZ_S10_S11_S18_S1C_S1E_T6_T7_T9_mT8_S1G_bDpT10_ENKUlT_T0_E_clISt17integral_constantIbLb0EES1T_IbLb1EEEEDaS1P_S1Q_EUlS1P_E_NS1_11comp_targetILNS1_3genE5ELNS1_11target_archE942ELNS1_3gpuE9ELNS1_3repE0EEENS1_30default_config_static_selectorELNS0_4arch9wavefront6targetE0EEEvS12_.num_vgpr, 0
	.set _ZN7rocprim17ROCPRIM_400000_NS6detail17trampoline_kernelINS0_13select_configILj256ELj13ELNS0_17block_load_methodE3ELS4_3ELS4_3ELNS0_20block_scan_algorithmE0ELj4294967295EEENS1_25partition_config_selectorILNS1_17partition_subalgoE4EjNS0_10empty_typeEbEEZZNS1_14partition_implILS8_4ELb0ES6_15HIP_vector_typeIjLj2EENS0_17counting_iteratorIjlEEPS9_SG_NS0_5tupleIJPjSI_NS0_16reverse_iteratorISI_EEEEENSH_IJSG_SG_SG_EEES9_SI_JZNS1_25segmented_radix_sort_implINS0_14default_configELb1EPKiPiPKlPlN2at6native12_GLOBAL__N_18offset_tEEE10hipError_tPvRmT1_PNSt15iterator_traitsIS12_E10value_typeET2_T3_PNS13_IS18_E10value_typeET4_jRbjT5_S1E_jjP12ihipStream_tbEUljE_ZNSN_ISO_Lb1ESQ_SR_ST_SU_SY_EESZ_S10_S11_S12_S16_S17_S18_S1B_S1C_jS1D_jS1E_S1E_jjS1G_bEUljE0_EEESZ_S10_S11_S18_S1C_S1E_T6_T7_T9_mT8_S1G_bDpT10_ENKUlT_T0_E_clISt17integral_constantIbLb0EES1T_IbLb1EEEEDaS1P_S1Q_EUlS1P_E_NS1_11comp_targetILNS1_3genE5ELNS1_11target_archE942ELNS1_3gpuE9ELNS1_3repE0EEENS1_30default_config_static_selectorELNS0_4arch9wavefront6targetE0EEEvS12_.num_agpr, 0
	.set _ZN7rocprim17ROCPRIM_400000_NS6detail17trampoline_kernelINS0_13select_configILj256ELj13ELNS0_17block_load_methodE3ELS4_3ELS4_3ELNS0_20block_scan_algorithmE0ELj4294967295EEENS1_25partition_config_selectorILNS1_17partition_subalgoE4EjNS0_10empty_typeEbEEZZNS1_14partition_implILS8_4ELb0ES6_15HIP_vector_typeIjLj2EENS0_17counting_iteratorIjlEEPS9_SG_NS0_5tupleIJPjSI_NS0_16reverse_iteratorISI_EEEEENSH_IJSG_SG_SG_EEES9_SI_JZNS1_25segmented_radix_sort_implINS0_14default_configELb1EPKiPiPKlPlN2at6native12_GLOBAL__N_18offset_tEEE10hipError_tPvRmT1_PNSt15iterator_traitsIS12_E10value_typeET2_T3_PNS13_IS18_E10value_typeET4_jRbjT5_S1E_jjP12ihipStream_tbEUljE_ZNSN_ISO_Lb1ESQ_SR_ST_SU_SY_EESZ_S10_S11_S12_S16_S17_S18_S1B_S1C_jS1D_jS1E_S1E_jjS1G_bEUljE0_EEESZ_S10_S11_S18_S1C_S1E_T6_T7_T9_mT8_S1G_bDpT10_ENKUlT_T0_E_clISt17integral_constantIbLb0EES1T_IbLb1EEEEDaS1P_S1Q_EUlS1P_E_NS1_11comp_targetILNS1_3genE5ELNS1_11target_archE942ELNS1_3gpuE9ELNS1_3repE0EEENS1_30default_config_static_selectorELNS0_4arch9wavefront6targetE0EEEvS12_.numbered_sgpr, 0
	.set _ZN7rocprim17ROCPRIM_400000_NS6detail17trampoline_kernelINS0_13select_configILj256ELj13ELNS0_17block_load_methodE3ELS4_3ELS4_3ELNS0_20block_scan_algorithmE0ELj4294967295EEENS1_25partition_config_selectorILNS1_17partition_subalgoE4EjNS0_10empty_typeEbEEZZNS1_14partition_implILS8_4ELb0ES6_15HIP_vector_typeIjLj2EENS0_17counting_iteratorIjlEEPS9_SG_NS0_5tupleIJPjSI_NS0_16reverse_iteratorISI_EEEEENSH_IJSG_SG_SG_EEES9_SI_JZNS1_25segmented_radix_sort_implINS0_14default_configELb1EPKiPiPKlPlN2at6native12_GLOBAL__N_18offset_tEEE10hipError_tPvRmT1_PNSt15iterator_traitsIS12_E10value_typeET2_T3_PNS13_IS18_E10value_typeET4_jRbjT5_S1E_jjP12ihipStream_tbEUljE_ZNSN_ISO_Lb1ESQ_SR_ST_SU_SY_EESZ_S10_S11_S12_S16_S17_S18_S1B_S1C_jS1D_jS1E_S1E_jjS1G_bEUljE0_EEESZ_S10_S11_S18_S1C_S1E_T6_T7_T9_mT8_S1G_bDpT10_ENKUlT_T0_E_clISt17integral_constantIbLb0EES1T_IbLb1EEEEDaS1P_S1Q_EUlS1P_E_NS1_11comp_targetILNS1_3genE5ELNS1_11target_archE942ELNS1_3gpuE9ELNS1_3repE0EEENS1_30default_config_static_selectorELNS0_4arch9wavefront6targetE0EEEvS12_.num_named_barrier, 0
	.set _ZN7rocprim17ROCPRIM_400000_NS6detail17trampoline_kernelINS0_13select_configILj256ELj13ELNS0_17block_load_methodE3ELS4_3ELS4_3ELNS0_20block_scan_algorithmE0ELj4294967295EEENS1_25partition_config_selectorILNS1_17partition_subalgoE4EjNS0_10empty_typeEbEEZZNS1_14partition_implILS8_4ELb0ES6_15HIP_vector_typeIjLj2EENS0_17counting_iteratorIjlEEPS9_SG_NS0_5tupleIJPjSI_NS0_16reverse_iteratorISI_EEEEENSH_IJSG_SG_SG_EEES9_SI_JZNS1_25segmented_radix_sort_implINS0_14default_configELb1EPKiPiPKlPlN2at6native12_GLOBAL__N_18offset_tEEE10hipError_tPvRmT1_PNSt15iterator_traitsIS12_E10value_typeET2_T3_PNS13_IS18_E10value_typeET4_jRbjT5_S1E_jjP12ihipStream_tbEUljE_ZNSN_ISO_Lb1ESQ_SR_ST_SU_SY_EESZ_S10_S11_S12_S16_S17_S18_S1B_S1C_jS1D_jS1E_S1E_jjS1G_bEUljE0_EEESZ_S10_S11_S18_S1C_S1E_T6_T7_T9_mT8_S1G_bDpT10_ENKUlT_T0_E_clISt17integral_constantIbLb0EES1T_IbLb1EEEEDaS1P_S1Q_EUlS1P_E_NS1_11comp_targetILNS1_3genE5ELNS1_11target_archE942ELNS1_3gpuE9ELNS1_3repE0EEENS1_30default_config_static_selectorELNS0_4arch9wavefront6targetE0EEEvS12_.private_seg_size, 0
	.set _ZN7rocprim17ROCPRIM_400000_NS6detail17trampoline_kernelINS0_13select_configILj256ELj13ELNS0_17block_load_methodE3ELS4_3ELS4_3ELNS0_20block_scan_algorithmE0ELj4294967295EEENS1_25partition_config_selectorILNS1_17partition_subalgoE4EjNS0_10empty_typeEbEEZZNS1_14partition_implILS8_4ELb0ES6_15HIP_vector_typeIjLj2EENS0_17counting_iteratorIjlEEPS9_SG_NS0_5tupleIJPjSI_NS0_16reverse_iteratorISI_EEEEENSH_IJSG_SG_SG_EEES9_SI_JZNS1_25segmented_radix_sort_implINS0_14default_configELb1EPKiPiPKlPlN2at6native12_GLOBAL__N_18offset_tEEE10hipError_tPvRmT1_PNSt15iterator_traitsIS12_E10value_typeET2_T3_PNS13_IS18_E10value_typeET4_jRbjT5_S1E_jjP12ihipStream_tbEUljE_ZNSN_ISO_Lb1ESQ_SR_ST_SU_SY_EESZ_S10_S11_S12_S16_S17_S18_S1B_S1C_jS1D_jS1E_S1E_jjS1G_bEUljE0_EEESZ_S10_S11_S18_S1C_S1E_T6_T7_T9_mT8_S1G_bDpT10_ENKUlT_T0_E_clISt17integral_constantIbLb0EES1T_IbLb1EEEEDaS1P_S1Q_EUlS1P_E_NS1_11comp_targetILNS1_3genE5ELNS1_11target_archE942ELNS1_3gpuE9ELNS1_3repE0EEENS1_30default_config_static_selectorELNS0_4arch9wavefront6targetE0EEEvS12_.uses_vcc, 0
	.set _ZN7rocprim17ROCPRIM_400000_NS6detail17trampoline_kernelINS0_13select_configILj256ELj13ELNS0_17block_load_methodE3ELS4_3ELS4_3ELNS0_20block_scan_algorithmE0ELj4294967295EEENS1_25partition_config_selectorILNS1_17partition_subalgoE4EjNS0_10empty_typeEbEEZZNS1_14partition_implILS8_4ELb0ES6_15HIP_vector_typeIjLj2EENS0_17counting_iteratorIjlEEPS9_SG_NS0_5tupleIJPjSI_NS0_16reverse_iteratorISI_EEEEENSH_IJSG_SG_SG_EEES9_SI_JZNS1_25segmented_radix_sort_implINS0_14default_configELb1EPKiPiPKlPlN2at6native12_GLOBAL__N_18offset_tEEE10hipError_tPvRmT1_PNSt15iterator_traitsIS12_E10value_typeET2_T3_PNS13_IS18_E10value_typeET4_jRbjT5_S1E_jjP12ihipStream_tbEUljE_ZNSN_ISO_Lb1ESQ_SR_ST_SU_SY_EESZ_S10_S11_S12_S16_S17_S18_S1B_S1C_jS1D_jS1E_S1E_jjS1G_bEUljE0_EEESZ_S10_S11_S18_S1C_S1E_T6_T7_T9_mT8_S1G_bDpT10_ENKUlT_T0_E_clISt17integral_constantIbLb0EES1T_IbLb1EEEEDaS1P_S1Q_EUlS1P_E_NS1_11comp_targetILNS1_3genE5ELNS1_11target_archE942ELNS1_3gpuE9ELNS1_3repE0EEENS1_30default_config_static_selectorELNS0_4arch9wavefront6targetE0EEEvS12_.uses_flat_scratch, 0
	.set _ZN7rocprim17ROCPRIM_400000_NS6detail17trampoline_kernelINS0_13select_configILj256ELj13ELNS0_17block_load_methodE3ELS4_3ELS4_3ELNS0_20block_scan_algorithmE0ELj4294967295EEENS1_25partition_config_selectorILNS1_17partition_subalgoE4EjNS0_10empty_typeEbEEZZNS1_14partition_implILS8_4ELb0ES6_15HIP_vector_typeIjLj2EENS0_17counting_iteratorIjlEEPS9_SG_NS0_5tupleIJPjSI_NS0_16reverse_iteratorISI_EEEEENSH_IJSG_SG_SG_EEES9_SI_JZNS1_25segmented_radix_sort_implINS0_14default_configELb1EPKiPiPKlPlN2at6native12_GLOBAL__N_18offset_tEEE10hipError_tPvRmT1_PNSt15iterator_traitsIS12_E10value_typeET2_T3_PNS13_IS18_E10value_typeET4_jRbjT5_S1E_jjP12ihipStream_tbEUljE_ZNSN_ISO_Lb1ESQ_SR_ST_SU_SY_EESZ_S10_S11_S12_S16_S17_S18_S1B_S1C_jS1D_jS1E_S1E_jjS1G_bEUljE0_EEESZ_S10_S11_S18_S1C_S1E_T6_T7_T9_mT8_S1G_bDpT10_ENKUlT_T0_E_clISt17integral_constantIbLb0EES1T_IbLb1EEEEDaS1P_S1Q_EUlS1P_E_NS1_11comp_targetILNS1_3genE5ELNS1_11target_archE942ELNS1_3gpuE9ELNS1_3repE0EEENS1_30default_config_static_selectorELNS0_4arch9wavefront6targetE0EEEvS12_.has_dyn_sized_stack, 0
	.set _ZN7rocprim17ROCPRIM_400000_NS6detail17trampoline_kernelINS0_13select_configILj256ELj13ELNS0_17block_load_methodE3ELS4_3ELS4_3ELNS0_20block_scan_algorithmE0ELj4294967295EEENS1_25partition_config_selectorILNS1_17partition_subalgoE4EjNS0_10empty_typeEbEEZZNS1_14partition_implILS8_4ELb0ES6_15HIP_vector_typeIjLj2EENS0_17counting_iteratorIjlEEPS9_SG_NS0_5tupleIJPjSI_NS0_16reverse_iteratorISI_EEEEENSH_IJSG_SG_SG_EEES9_SI_JZNS1_25segmented_radix_sort_implINS0_14default_configELb1EPKiPiPKlPlN2at6native12_GLOBAL__N_18offset_tEEE10hipError_tPvRmT1_PNSt15iterator_traitsIS12_E10value_typeET2_T3_PNS13_IS18_E10value_typeET4_jRbjT5_S1E_jjP12ihipStream_tbEUljE_ZNSN_ISO_Lb1ESQ_SR_ST_SU_SY_EESZ_S10_S11_S12_S16_S17_S18_S1B_S1C_jS1D_jS1E_S1E_jjS1G_bEUljE0_EEESZ_S10_S11_S18_S1C_S1E_T6_T7_T9_mT8_S1G_bDpT10_ENKUlT_T0_E_clISt17integral_constantIbLb0EES1T_IbLb1EEEEDaS1P_S1Q_EUlS1P_E_NS1_11comp_targetILNS1_3genE5ELNS1_11target_archE942ELNS1_3gpuE9ELNS1_3repE0EEENS1_30default_config_static_selectorELNS0_4arch9wavefront6targetE0EEEvS12_.has_recursion, 0
	.set _ZN7rocprim17ROCPRIM_400000_NS6detail17trampoline_kernelINS0_13select_configILj256ELj13ELNS0_17block_load_methodE3ELS4_3ELS4_3ELNS0_20block_scan_algorithmE0ELj4294967295EEENS1_25partition_config_selectorILNS1_17partition_subalgoE4EjNS0_10empty_typeEbEEZZNS1_14partition_implILS8_4ELb0ES6_15HIP_vector_typeIjLj2EENS0_17counting_iteratorIjlEEPS9_SG_NS0_5tupleIJPjSI_NS0_16reverse_iteratorISI_EEEEENSH_IJSG_SG_SG_EEES9_SI_JZNS1_25segmented_radix_sort_implINS0_14default_configELb1EPKiPiPKlPlN2at6native12_GLOBAL__N_18offset_tEEE10hipError_tPvRmT1_PNSt15iterator_traitsIS12_E10value_typeET2_T3_PNS13_IS18_E10value_typeET4_jRbjT5_S1E_jjP12ihipStream_tbEUljE_ZNSN_ISO_Lb1ESQ_SR_ST_SU_SY_EESZ_S10_S11_S12_S16_S17_S18_S1B_S1C_jS1D_jS1E_S1E_jjS1G_bEUljE0_EEESZ_S10_S11_S18_S1C_S1E_T6_T7_T9_mT8_S1G_bDpT10_ENKUlT_T0_E_clISt17integral_constantIbLb0EES1T_IbLb1EEEEDaS1P_S1Q_EUlS1P_E_NS1_11comp_targetILNS1_3genE5ELNS1_11target_archE942ELNS1_3gpuE9ELNS1_3repE0EEENS1_30default_config_static_selectorELNS0_4arch9wavefront6targetE0EEEvS12_.has_indirect_call, 0
	.section	.AMDGPU.csdata,"",@progbits
; Kernel info:
; codeLenInByte = 0
; TotalNumSgprs: 0
; NumVgprs: 0
; ScratchSize: 0
; MemoryBound: 0
; FloatMode: 240
; IeeeMode: 1
; LDSByteSize: 0 bytes/workgroup (compile time only)
; SGPRBlocks: 0
; VGPRBlocks: 0
; NumSGPRsForWavesPerEU: 1
; NumVGPRsForWavesPerEU: 1
; Occupancy: 16
; WaveLimiterHint : 0
; COMPUTE_PGM_RSRC2:SCRATCH_EN: 0
; COMPUTE_PGM_RSRC2:USER_SGPR: 2
; COMPUTE_PGM_RSRC2:TRAP_HANDLER: 0
; COMPUTE_PGM_RSRC2:TGID_X_EN: 1
; COMPUTE_PGM_RSRC2:TGID_Y_EN: 0
; COMPUTE_PGM_RSRC2:TGID_Z_EN: 0
; COMPUTE_PGM_RSRC2:TIDIG_COMP_CNT: 0
	.section	.text._ZN7rocprim17ROCPRIM_400000_NS6detail17trampoline_kernelINS0_13select_configILj256ELj13ELNS0_17block_load_methodE3ELS4_3ELS4_3ELNS0_20block_scan_algorithmE0ELj4294967295EEENS1_25partition_config_selectorILNS1_17partition_subalgoE4EjNS0_10empty_typeEbEEZZNS1_14partition_implILS8_4ELb0ES6_15HIP_vector_typeIjLj2EENS0_17counting_iteratorIjlEEPS9_SG_NS0_5tupleIJPjSI_NS0_16reverse_iteratorISI_EEEEENSH_IJSG_SG_SG_EEES9_SI_JZNS1_25segmented_radix_sort_implINS0_14default_configELb1EPKiPiPKlPlN2at6native12_GLOBAL__N_18offset_tEEE10hipError_tPvRmT1_PNSt15iterator_traitsIS12_E10value_typeET2_T3_PNS13_IS18_E10value_typeET4_jRbjT5_S1E_jjP12ihipStream_tbEUljE_ZNSN_ISO_Lb1ESQ_SR_ST_SU_SY_EESZ_S10_S11_S12_S16_S17_S18_S1B_S1C_jS1D_jS1E_S1E_jjS1G_bEUljE0_EEESZ_S10_S11_S18_S1C_S1E_T6_T7_T9_mT8_S1G_bDpT10_ENKUlT_T0_E_clISt17integral_constantIbLb0EES1T_IbLb1EEEEDaS1P_S1Q_EUlS1P_E_NS1_11comp_targetILNS1_3genE4ELNS1_11target_archE910ELNS1_3gpuE8ELNS1_3repE0EEENS1_30default_config_static_selectorELNS0_4arch9wavefront6targetE0EEEvS12_,"axG",@progbits,_ZN7rocprim17ROCPRIM_400000_NS6detail17trampoline_kernelINS0_13select_configILj256ELj13ELNS0_17block_load_methodE3ELS4_3ELS4_3ELNS0_20block_scan_algorithmE0ELj4294967295EEENS1_25partition_config_selectorILNS1_17partition_subalgoE4EjNS0_10empty_typeEbEEZZNS1_14partition_implILS8_4ELb0ES6_15HIP_vector_typeIjLj2EENS0_17counting_iteratorIjlEEPS9_SG_NS0_5tupleIJPjSI_NS0_16reverse_iteratorISI_EEEEENSH_IJSG_SG_SG_EEES9_SI_JZNS1_25segmented_radix_sort_implINS0_14default_configELb1EPKiPiPKlPlN2at6native12_GLOBAL__N_18offset_tEEE10hipError_tPvRmT1_PNSt15iterator_traitsIS12_E10value_typeET2_T3_PNS13_IS18_E10value_typeET4_jRbjT5_S1E_jjP12ihipStream_tbEUljE_ZNSN_ISO_Lb1ESQ_SR_ST_SU_SY_EESZ_S10_S11_S12_S16_S17_S18_S1B_S1C_jS1D_jS1E_S1E_jjS1G_bEUljE0_EEESZ_S10_S11_S18_S1C_S1E_T6_T7_T9_mT8_S1G_bDpT10_ENKUlT_T0_E_clISt17integral_constantIbLb0EES1T_IbLb1EEEEDaS1P_S1Q_EUlS1P_E_NS1_11comp_targetILNS1_3genE4ELNS1_11target_archE910ELNS1_3gpuE8ELNS1_3repE0EEENS1_30default_config_static_selectorELNS0_4arch9wavefront6targetE0EEEvS12_,comdat
	.globl	_ZN7rocprim17ROCPRIM_400000_NS6detail17trampoline_kernelINS0_13select_configILj256ELj13ELNS0_17block_load_methodE3ELS4_3ELS4_3ELNS0_20block_scan_algorithmE0ELj4294967295EEENS1_25partition_config_selectorILNS1_17partition_subalgoE4EjNS0_10empty_typeEbEEZZNS1_14partition_implILS8_4ELb0ES6_15HIP_vector_typeIjLj2EENS0_17counting_iteratorIjlEEPS9_SG_NS0_5tupleIJPjSI_NS0_16reverse_iteratorISI_EEEEENSH_IJSG_SG_SG_EEES9_SI_JZNS1_25segmented_radix_sort_implINS0_14default_configELb1EPKiPiPKlPlN2at6native12_GLOBAL__N_18offset_tEEE10hipError_tPvRmT1_PNSt15iterator_traitsIS12_E10value_typeET2_T3_PNS13_IS18_E10value_typeET4_jRbjT5_S1E_jjP12ihipStream_tbEUljE_ZNSN_ISO_Lb1ESQ_SR_ST_SU_SY_EESZ_S10_S11_S12_S16_S17_S18_S1B_S1C_jS1D_jS1E_S1E_jjS1G_bEUljE0_EEESZ_S10_S11_S18_S1C_S1E_T6_T7_T9_mT8_S1G_bDpT10_ENKUlT_T0_E_clISt17integral_constantIbLb0EES1T_IbLb1EEEEDaS1P_S1Q_EUlS1P_E_NS1_11comp_targetILNS1_3genE4ELNS1_11target_archE910ELNS1_3gpuE8ELNS1_3repE0EEENS1_30default_config_static_selectorELNS0_4arch9wavefront6targetE0EEEvS12_ ; -- Begin function _ZN7rocprim17ROCPRIM_400000_NS6detail17trampoline_kernelINS0_13select_configILj256ELj13ELNS0_17block_load_methodE3ELS4_3ELS4_3ELNS0_20block_scan_algorithmE0ELj4294967295EEENS1_25partition_config_selectorILNS1_17partition_subalgoE4EjNS0_10empty_typeEbEEZZNS1_14partition_implILS8_4ELb0ES6_15HIP_vector_typeIjLj2EENS0_17counting_iteratorIjlEEPS9_SG_NS0_5tupleIJPjSI_NS0_16reverse_iteratorISI_EEEEENSH_IJSG_SG_SG_EEES9_SI_JZNS1_25segmented_radix_sort_implINS0_14default_configELb1EPKiPiPKlPlN2at6native12_GLOBAL__N_18offset_tEEE10hipError_tPvRmT1_PNSt15iterator_traitsIS12_E10value_typeET2_T3_PNS13_IS18_E10value_typeET4_jRbjT5_S1E_jjP12ihipStream_tbEUljE_ZNSN_ISO_Lb1ESQ_SR_ST_SU_SY_EESZ_S10_S11_S12_S16_S17_S18_S1B_S1C_jS1D_jS1E_S1E_jjS1G_bEUljE0_EEESZ_S10_S11_S18_S1C_S1E_T6_T7_T9_mT8_S1G_bDpT10_ENKUlT_T0_E_clISt17integral_constantIbLb0EES1T_IbLb1EEEEDaS1P_S1Q_EUlS1P_E_NS1_11comp_targetILNS1_3genE4ELNS1_11target_archE910ELNS1_3gpuE8ELNS1_3repE0EEENS1_30default_config_static_selectorELNS0_4arch9wavefront6targetE0EEEvS12_
	.p2align	8
	.type	_ZN7rocprim17ROCPRIM_400000_NS6detail17trampoline_kernelINS0_13select_configILj256ELj13ELNS0_17block_load_methodE3ELS4_3ELS4_3ELNS0_20block_scan_algorithmE0ELj4294967295EEENS1_25partition_config_selectorILNS1_17partition_subalgoE4EjNS0_10empty_typeEbEEZZNS1_14partition_implILS8_4ELb0ES6_15HIP_vector_typeIjLj2EENS0_17counting_iteratorIjlEEPS9_SG_NS0_5tupleIJPjSI_NS0_16reverse_iteratorISI_EEEEENSH_IJSG_SG_SG_EEES9_SI_JZNS1_25segmented_radix_sort_implINS0_14default_configELb1EPKiPiPKlPlN2at6native12_GLOBAL__N_18offset_tEEE10hipError_tPvRmT1_PNSt15iterator_traitsIS12_E10value_typeET2_T3_PNS13_IS18_E10value_typeET4_jRbjT5_S1E_jjP12ihipStream_tbEUljE_ZNSN_ISO_Lb1ESQ_SR_ST_SU_SY_EESZ_S10_S11_S12_S16_S17_S18_S1B_S1C_jS1D_jS1E_S1E_jjS1G_bEUljE0_EEESZ_S10_S11_S18_S1C_S1E_T6_T7_T9_mT8_S1G_bDpT10_ENKUlT_T0_E_clISt17integral_constantIbLb0EES1T_IbLb1EEEEDaS1P_S1Q_EUlS1P_E_NS1_11comp_targetILNS1_3genE4ELNS1_11target_archE910ELNS1_3gpuE8ELNS1_3repE0EEENS1_30default_config_static_selectorELNS0_4arch9wavefront6targetE0EEEvS12_,@function
_ZN7rocprim17ROCPRIM_400000_NS6detail17trampoline_kernelINS0_13select_configILj256ELj13ELNS0_17block_load_methodE3ELS4_3ELS4_3ELNS0_20block_scan_algorithmE0ELj4294967295EEENS1_25partition_config_selectorILNS1_17partition_subalgoE4EjNS0_10empty_typeEbEEZZNS1_14partition_implILS8_4ELb0ES6_15HIP_vector_typeIjLj2EENS0_17counting_iteratorIjlEEPS9_SG_NS0_5tupleIJPjSI_NS0_16reverse_iteratorISI_EEEEENSH_IJSG_SG_SG_EEES9_SI_JZNS1_25segmented_radix_sort_implINS0_14default_configELb1EPKiPiPKlPlN2at6native12_GLOBAL__N_18offset_tEEE10hipError_tPvRmT1_PNSt15iterator_traitsIS12_E10value_typeET2_T3_PNS13_IS18_E10value_typeET4_jRbjT5_S1E_jjP12ihipStream_tbEUljE_ZNSN_ISO_Lb1ESQ_SR_ST_SU_SY_EESZ_S10_S11_S12_S16_S17_S18_S1B_S1C_jS1D_jS1E_S1E_jjS1G_bEUljE0_EEESZ_S10_S11_S18_S1C_S1E_T6_T7_T9_mT8_S1G_bDpT10_ENKUlT_T0_E_clISt17integral_constantIbLb0EES1T_IbLb1EEEEDaS1P_S1Q_EUlS1P_E_NS1_11comp_targetILNS1_3genE4ELNS1_11target_archE910ELNS1_3gpuE8ELNS1_3repE0EEENS1_30default_config_static_selectorELNS0_4arch9wavefront6targetE0EEEvS12_: ; @_ZN7rocprim17ROCPRIM_400000_NS6detail17trampoline_kernelINS0_13select_configILj256ELj13ELNS0_17block_load_methodE3ELS4_3ELS4_3ELNS0_20block_scan_algorithmE0ELj4294967295EEENS1_25partition_config_selectorILNS1_17partition_subalgoE4EjNS0_10empty_typeEbEEZZNS1_14partition_implILS8_4ELb0ES6_15HIP_vector_typeIjLj2EENS0_17counting_iteratorIjlEEPS9_SG_NS0_5tupleIJPjSI_NS0_16reverse_iteratorISI_EEEEENSH_IJSG_SG_SG_EEES9_SI_JZNS1_25segmented_radix_sort_implINS0_14default_configELb1EPKiPiPKlPlN2at6native12_GLOBAL__N_18offset_tEEE10hipError_tPvRmT1_PNSt15iterator_traitsIS12_E10value_typeET2_T3_PNS13_IS18_E10value_typeET4_jRbjT5_S1E_jjP12ihipStream_tbEUljE_ZNSN_ISO_Lb1ESQ_SR_ST_SU_SY_EESZ_S10_S11_S12_S16_S17_S18_S1B_S1C_jS1D_jS1E_S1E_jjS1G_bEUljE0_EEESZ_S10_S11_S18_S1C_S1E_T6_T7_T9_mT8_S1G_bDpT10_ENKUlT_T0_E_clISt17integral_constantIbLb0EES1T_IbLb1EEEEDaS1P_S1Q_EUlS1P_E_NS1_11comp_targetILNS1_3genE4ELNS1_11target_archE910ELNS1_3gpuE8ELNS1_3repE0EEENS1_30default_config_static_selectorELNS0_4arch9wavefront6targetE0EEEvS12_
; %bb.0:
	.section	.rodata,"a",@progbits
	.p2align	6, 0x0
	.amdhsa_kernel _ZN7rocprim17ROCPRIM_400000_NS6detail17trampoline_kernelINS0_13select_configILj256ELj13ELNS0_17block_load_methodE3ELS4_3ELS4_3ELNS0_20block_scan_algorithmE0ELj4294967295EEENS1_25partition_config_selectorILNS1_17partition_subalgoE4EjNS0_10empty_typeEbEEZZNS1_14partition_implILS8_4ELb0ES6_15HIP_vector_typeIjLj2EENS0_17counting_iteratorIjlEEPS9_SG_NS0_5tupleIJPjSI_NS0_16reverse_iteratorISI_EEEEENSH_IJSG_SG_SG_EEES9_SI_JZNS1_25segmented_radix_sort_implINS0_14default_configELb1EPKiPiPKlPlN2at6native12_GLOBAL__N_18offset_tEEE10hipError_tPvRmT1_PNSt15iterator_traitsIS12_E10value_typeET2_T3_PNS13_IS18_E10value_typeET4_jRbjT5_S1E_jjP12ihipStream_tbEUljE_ZNSN_ISO_Lb1ESQ_SR_ST_SU_SY_EESZ_S10_S11_S12_S16_S17_S18_S1B_S1C_jS1D_jS1E_S1E_jjS1G_bEUljE0_EEESZ_S10_S11_S18_S1C_S1E_T6_T7_T9_mT8_S1G_bDpT10_ENKUlT_T0_E_clISt17integral_constantIbLb0EES1T_IbLb1EEEEDaS1P_S1Q_EUlS1P_E_NS1_11comp_targetILNS1_3genE4ELNS1_11target_archE910ELNS1_3gpuE8ELNS1_3repE0EEENS1_30default_config_static_selectorELNS0_4arch9wavefront6targetE0EEEvS12_
		.amdhsa_group_segment_fixed_size 0
		.amdhsa_private_segment_fixed_size 0
		.amdhsa_kernarg_size 184
		.amdhsa_user_sgpr_count 2
		.amdhsa_user_sgpr_dispatch_ptr 0
		.amdhsa_user_sgpr_queue_ptr 0
		.amdhsa_user_sgpr_kernarg_segment_ptr 1
		.amdhsa_user_sgpr_dispatch_id 0
		.amdhsa_user_sgpr_private_segment_size 0
		.amdhsa_wavefront_size32 1
		.amdhsa_uses_dynamic_stack 0
		.amdhsa_enable_private_segment 0
		.amdhsa_system_sgpr_workgroup_id_x 1
		.amdhsa_system_sgpr_workgroup_id_y 0
		.amdhsa_system_sgpr_workgroup_id_z 0
		.amdhsa_system_sgpr_workgroup_info 0
		.amdhsa_system_vgpr_workitem_id 0
		.amdhsa_next_free_vgpr 1
		.amdhsa_next_free_sgpr 1
		.amdhsa_reserve_vcc 0
		.amdhsa_float_round_mode_32 0
		.amdhsa_float_round_mode_16_64 0
		.amdhsa_float_denorm_mode_32 3
		.amdhsa_float_denorm_mode_16_64 3
		.amdhsa_fp16_overflow 0
		.amdhsa_workgroup_processor_mode 1
		.amdhsa_memory_ordered 1
		.amdhsa_forward_progress 1
		.amdhsa_inst_pref_size 0
		.amdhsa_round_robin_scheduling 0
		.amdhsa_exception_fp_ieee_invalid_op 0
		.amdhsa_exception_fp_denorm_src 0
		.amdhsa_exception_fp_ieee_div_zero 0
		.amdhsa_exception_fp_ieee_overflow 0
		.amdhsa_exception_fp_ieee_underflow 0
		.amdhsa_exception_fp_ieee_inexact 0
		.amdhsa_exception_int_div_zero 0
	.end_amdhsa_kernel
	.section	.text._ZN7rocprim17ROCPRIM_400000_NS6detail17trampoline_kernelINS0_13select_configILj256ELj13ELNS0_17block_load_methodE3ELS4_3ELS4_3ELNS0_20block_scan_algorithmE0ELj4294967295EEENS1_25partition_config_selectorILNS1_17partition_subalgoE4EjNS0_10empty_typeEbEEZZNS1_14partition_implILS8_4ELb0ES6_15HIP_vector_typeIjLj2EENS0_17counting_iteratorIjlEEPS9_SG_NS0_5tupleIJPjSI_NS0_16reverse_iteratorISI_EEEEENSH_IJSG_SG_SG_EEES9_SI_JZNS1_25segmented_radix_sort_implINS0_14default_configELb1EPKiPiPKlPlN2at6native12_GLOBAL__N_18offset_tEEE10hipError_tPvRmT1_PNSt15iterator_traitsIS12_E10value_typeET2_T3_PNS13_IS18_E10value_typeET4_jRbjT5_S1E_jjP12ihipStream_tbEUljE_ZNSN_ISO_Lb1ESQ_SR_ST_SU_SY_EESZ_S10_S11_S12_S16_S17_S18_S1B_S1C_jS1D_jS1E_S1E_jjS1G_bEUljE0_EEESZ_S10_S11_S18_S1C_S1E_T6_T7_T9_mT8_S1G_bDpT10_ENKUlT_T0_E_clISt17integral_constantIbLb0EES1T_IbLb1EEEEDaS1P_S1Q_EUlS1P_E_NS1_11comp_targetILNS1_3genE4ELNS1_11target_archE910ELNS1_3gpuE8ELNS1_3repE0EEENS1_30default_config_static_selectorELNS0_4arch9wavefront6targetE0EEEvS12_,"axG",@progbits,_ZN7rocprim17ROCPRIM_400000_NS6detail17trampoline_kernelINS0_13select_configILj256ELj13ELNS0_17block_load_methodE3ELS4_3ELS4_3ELNS0_20block_scan_algorithmE0ELj4294967295EEENS1_25partition_config_selectorILNS1_17partition_subalgoE4EjNS0_10empty_typeEbEEZZNS1_14partition_implILS8_4ELb0ES6_15HIP_vector_typeIjLj2EENS0_17counting_iteratorIjlEEPS9_SG_NS0_5tupleIJPjSI_NS0_16reverse_iteratorISI_EEEEENSH_IJSG_SG_SG_EEES9_SI_JZNS1_25segmented_radix_sort_implINS0_14default_configELb1EPKiPiPKlPlN2at6native12_GLOBAL__N_18offset_tEEE10hipError_tPvRmT1_PNSt15iterator_traitsIS12_E10value_typeET2_T3_PNS13_IS18_E10value_typeET4_jRbjT5_S1E_jjP12ihipStream_tbEUljE_ZNSN_ISO_Lb1ESQ_SR_ST_SU_SY_EESZ_S10_S11_S12_S16_S17_S18_S1B_S1C_jS1D_jS1E_S1E_jjS1G_bEUljE0_EEESZ_S10_S11_S18_S1C_S1E_T6_T7_T9_mT8_S1G_bDpT10_ENKUlT_T0_E_clISt17integral_constantIbLb0EES1T_IbLb1EEEEDaS1P_S1Q_EUlS1P_E_NS1_11comp_targetILNS1_3genE4ELNS1_11target_archE910ELNS1_3gpuE8ELNS1_3repE0EEENS1_30default_config_static_selectorELNS0_4arch9wavefront6targetE0EEEvS12_,comdat
.Lfunc_end459:
	.size	_ZN7rocprim17ROCPRIM_400000_NS6detail17trampoline_kernelINS0_13select_configILj256ELj13ELNS0_17block_load_methodE3ELS4_3ELS4_3ELNS0_20block_scan_algorithmE0ELj4294967295EEENS1_25partition_config_selectorILNS1_17partition_subalgoE4EjNS0_10empty_typeEbEEZZNS1_14partition_implILS8_4ELb0ES6_15HIP_vector_typeIjLj2EENS0_17counting_iteratorIjlEEPS9_SG_NS0_5tupleIJPjSI_NS0_16reverse_iteratorISI_EEEEENSH_IJSG_SG_SG_EEES9_SI_JZNS1_25segmented_radix_sort_implINS0_14default_configELb1EPKiPiPKlPlN2at6native12_GLOBAL__N_18offset_tEEE10hipError_tPvRmT1_PNSt15iterator_traitsIS12_E10value_typeET2_T3_PNS13_IS18_E10value_typeET4_jRbjT5_S1E_jjP12ihipStream_tbEUljE_ZNSN_ISO_Lb1ESQ_SR_ST_SU_SY_EESZ_S10_S11_S12_S16_S17_S18_S1B_S1C_jS1D_jS1E_S1E_jjS1G_bEUljE0_EEESZ_S10_S11_S18_S1C_S1E_T6_T7_T9_mT8_S1G_bDpT10_ENKUlT_T0_E_clISt17integral_constantIbLb0EES1T_IbLb1EEEEDaS1P_S1Q_EUlS1P_E_NS1_11comp_targetILNS1_3genE4ELNS1_11target_archE910ELNS1_3gpuE8ELNS1_3repE0EEENS1_30default_config_static_selectorELNS0_4arch9wavefront6targetE0EEEvS12_, .Lfunc_end459-_ZN7rocprim17ROCPRIM_400000_NS6detail17trampoline_kernelINS0_13select_configILj256ELj13ELNS0_17block_load_methodE3ELS4_3ELS4_3ELNS0_20block_scan_algorithmE0ELj4294967295EEENS1_25partition_config_selectorILNS1_17partition_subalgoE4EjNS0_10empty_typeEbEEZZNS1_14partition_implILS8_4ELb0ES6_15HIP_vector_typeIjLj2EENS0_17counting_iteratorIjlEEPS9_SG_NS0_5tupleIJPjSI_NS0_16reverse_iteratorISI_EEEEENSH_IJSG_SG_SG_EEES9_SI_JZNS1_25segmented_radix_sort_implINS0_14default_configELb1EPKiPiPKlPlN2at6native12_GLOBAL__N_18offset_tEEE10hipError_tPvRmT1_PNSt15iterator_traitsIS12_E10value_typeET2_T3_PNS13_IS18_E10value_typeET4_jRbjT5_S1E_jjP12ihipStream_tbEUljE_ZNSN_ISO_Lb1ESQ_SR_ST_SU_SY_EESZ_S10_S11_S12_S16_S17_S18_S1B_S1C_jS1D_jS1E_S1E_jjS1G_bEUljE0_EEESZ_S10_S11_S18_S1C_S1E_T6_T7_T9_mT8_S1G_bDpT10_ENKUlT_T0_E_clISt17integral_constantIbLb0EES1T_IbLb1EEEEDaS1P_S1Q_EUlS1P_E_NS1_11comp_targetILNS1_3genE4ELNS1_11target_archE910ELNS1_3gpuE8ELNS1_3repE0EEENS1_30default_config_static_selectorELNS0_4arch9wavefront6targetE0EEEvS12_
                                        ; -- End function
	.set _ZN7rocprim17ROCPRIM_400000_NS6detail17trampoline_kernelINS0_13select_configILj256ELj13ELNS0_17block_load_methodE3ELS4_3ELS4_3ELNS0_20block_scan_algorithmE0ELj4294967295EEENS1_25partition_config_selectorILNS1_17partition_subalgoE4EjNS0_10empty_typeEbEEZZNS1_14partition_implILS8_4ELb0ES6_15HIP_vector_typeIjLj2EENS0_17counting_iteratorIjlEEPS9_SG_NS0_5tupleIJPjSI_NS0_16reverse_iteratorISI_EEEEENSH_IJSG_SG_SG_EEES9_SI_JZNS1_25segmented_radix_sort_implINS0_14default_configELb1EPKiPiPKlPlN2at6native12_GLOBAL__N_18offset_tEEE10hipError_tPvRmT1_PNSt15iterator_traitsIS12_E10value_typeET2_T3_PNS13_IS18_E10value_typeET4_jRbjT5_S1E_jjP12ihipStream_tbEUljE_ZNSN_ISO_Lb1ESQ_SR_ST_SU_SY_EESZ_S10_S11_S12_S16_S17_S18_S1B_S1C_jS1D_jS1E_S1E_jjS1G_bEUljE0_EEESZ_S10_S11_S18_S1C_S1E_T6_T7_T9_mT8_S1G_bDpT10_ENKUlT_T0_E_clISt17integral_constantIbLb0EES1T_IbLb1EEEEDaS1P_S1Q_EUlS1P_E_NS1_11comp_targetILNS1_3genE4ELNS1_11target_archE910ELNS1_3gpuE8ELNS1_3repE0EEENS1_30default_config_static_selectorELNS0_4arch9wavefront6targetE0EEEvS12_.num_vgpr, 0
	.set _ZN7rocprim17ROCPRIM_400000_NS6detail17trampoline_kernelINS0_13select_configILj256ELj13ELNS0_17block_load_methodE3ELS4_3ELS4_3ELNS0_20block_scan_algorithmE0ELj4294967295EEENS1_25partition_config_selectorILNS1_17partition_subalgoE4EjNS0_10empty_typeEbEEZZNS1_14partition_implILS8_4ELb0ES6_15HIP_vector_typeIjLj2EENS0_17counting_iteratorIjlEEPS9_SG_NS0_5tupleIJPjSI_NS0_16reverse_iteratorISI_EEEEENSH_IJSG_SG_SG_EEES9_SI_JZNS1_25segmented_radix_sort_implINS0_14default_configELb1EPKiPiPKlPlN2at6native12_GLOBAL__N_18offset_tEEE10hipError_tPvRmT1_PNSt15iterator_traitsIS12_E10value_typeET2_T3_PNS13_IS18_E10value_typeET4_jRbjT5_S1E_jjP12ihipStream_tbEUljE_ZNSN_ISO_Lb1ESQ_SR_ST_SU_SY_EESZ_S10_S11_S12_S16_S17_S18_S1B_S1C_jS1D_jS1E_S1E_jjS1G_bEUljE0_EEESZ_S10_S11_S18_S1C_S1E_T6_T7_T9_mT8_S1G_bDpT10_ENKUlT_T0_E_clISt17integral_constantIbLb0EES1T_IbLb1EEEEDaS1P_S1Q_EUlS1P_E_NS1_11comp_targetILNS1_3genE4ELNS1_11target_archE910ELNS1_3gpuE8ELNS1_3repE0EEENS1_30default_config_static_selectorELNS0_4arch9wavefront6targetE0EEEvS12_.num_agpr, 0
	.set _ZN7rocprim17ROCPRIM_400000_NS6detail17trampoline_kernelINS0_13select_configILj256ELj13ELNS0_17block_load_methodE3ELS4_3ELS4_3ELNS0_20block_scan_algorithmE0ELj4294967295EEENS1_25partition_config_selectorILNS1_17partition_subalgoE4EjNS0_10empty_typeEbEEZZNS1_14partition_implILS8_4ELb0ES6_15HIP_vector_typeIjLj2EENS0_17counting_iteratorIjlEEPS9_SG_NS0_5tupleIJPjSI_NS0_16reverse_iteratorISI_EEEEENSH_IJSG_SG_SG_EEES9_SI_JZNS1_25segmented_radix_sort_implINS0_14default_configELb1EPKiPiPKlPlN2at6native12_GLOBAL__N_18offset_tEEE10hipError_tPvRmT1_PNSt15iterator_traitsIS12_E10value_typeET2_T3_PNS13_IS18_E10value_typeET4_jRbjT5_S1E_jjP12ihipStream_tbEUljE_ZNSN_ISO_Lb1ESQ_SR_ST_SU_SY_EESZ_S10_S11_S12_S16_S17_S18_S1B_S1C_jS1D_jS1E_S1E_jjS1G_bEUljE0_EEESZ_S10_S11_S18_S1C_S1E_T6_T7_T9_mT8_S1G_bDpT10_ENKUlT_T0_E_clISt17integral_constantIbLb0EES1T_IbLb1EEEEDaS1P_S1Q_EUlS1P_E_NS1_11comp_targetILNS1_3genE4ELNS1_11target_archE910ELNS1_3gpuE8ELNS1_3repE0EEENS1_30default_config_static_selectorELNS0_4arch9wavefront6targetE0EEEvS12_.numbered_sgpr, 0
	.set _ZN7rocprim17ROCPRIM_400000_NS6detail17trampoline_kernelINS0_13select_configILj256ELj13ELNS0_17block_load_methodE3ELS4_3ELS4_3ELNS0_20block_scan_algorithmE0ELj4294967295EEENS1_25partition_config_selectorILNS1_17partition_subalgoE4EjNS0_10empty_typeEbEEZZNS1_14partition_implILS8_4ELb0ES6_15HIP_vector_typeIjLj2EENS0_17counting_iteratorIjlEEPS9_SG_NS0_5tupleIJPjSI_NS0_16reverse_iteratorISI_EEEEENSH_IJSG_SG_SG_EEES9_SI_JZNS1_25segmented_radix_sort_implINS0_14default_configELb1EPKiPiPKlPlN2at6native12_GLOBAL__N_18offset_tEEE10hipError_tPvRmT1_PNSt15iterator_traitsIS12_E10value_typeET2_T3_PNS13_IS18_E10value_typeET4_jRbjT5_S1E_jjP12ihipStream_tbEUljE_ZNSN_ISO_Lb1ESQ_SR_ST_SU_SY_EESZ_S10_S11_S12_S16_S17_S18_S1B_S1C_jS1D_jS1E_S1E_jjS1G_bEUljE0_EEESZ_S10_S11_S18_S1C_S1E_T6_T7_T9_mT8_S1G_bDpT10_ENKUlT_T0_E_clISt17integral_constantIbLb0EES1T_IbLb1EEEEDaS1P_S1Q_EUlS1P_E_NS1_11comp_targetILNS1_3genE4ELNS1_11target_archE910ELNS1_3gpuE8ELNS1_3repE0EEENS1_30default_config_static_selectorELNS0_4arch9wavefront6targetE0EEEvS12_.num_named_barrier, 0
	.set _ZN7rocprim17ROCPRIM_400000_NS6detail17trampoline_kernelINS0_13select_configILj256ELj13ELNS0_17block_load_methodE3ELS4_3ELS4_3ELNS0_20block_scan_algorithmE0ELj4294967295EEENS1_25partition_config_selectorILNS1_17partition_subalgoE4EjNS0_10empty_typeEbEEZZNS1_14partition_implILS8_4ELb0ES6_15HIP_vector_typeIjLj2EENS0_17counting_iteratorIjlEEPS9_SG_NS0_5tupleIJPjSI_NS0_16reverse_iteratorISI_EEEEENSH_IJSG_SG_SG_EEES9_SI_JZNS1_25segmented_radix_sort_implINS0_14default_configELb1EPKiPiPKlPlN2at6native12_GLOBAL__N_18offset_tEEE10hipError_tPvRmT1_PNSt15iterator_traitsIS12_E10value_typeET2_T3_PNS13_IS18_E10value_typeET4_jRbjT5_S1E_jjP12ihipStream_tbEUljE_ZNSN_ISO_Lb1ESQ_SR_ST_SU_SY_EESZ_S10_S11_S12_S16_S17_S18_S1B_S1C_jS1D_jS1E_S1E_jjS1G_bEUljE0_EEESZ_S10_S11_S18_S1C_S1E_T6_T7_T9_mT8_S1G_bDpT10_ENKUlT_T0_E_clISt17integral_constantIbLb0EES1T_IbLb1EEEEDaS1P_S1Q_EUlS1P_E_NS1_11comp_targetILNS1_3genE4ELNS1_11target_archE910ELNS1_3gpuE8ELNS1_3repE0EEENS1_30default_config_static_selectorELNS0_4arch9wavefront6targetE0EEEvS12_.private_seg_size, 0
	.set _ZN7rocprim17ROCPRIM_400000_NS6detail17trampoline_kernelINS0_13select_configILj256ELj13ELNS0_17block_load_methodE3ELS4_3ELS4_3ELNS0_20block_scan_algorithmE0ELj4294967295EEENS1_25partition_config_selectorILNS1_17partition_subalgoE4EjNS0_10empty_typeEbEEZZNS1_14partition_implILS8_4ELb0ES6_15HIP_vector_typeIjLj2EENS0_17counting_iteratorIjlEEPS9_SG_NS0_5tupleIJPjSI_NS0_16reverse_iteratorISI_EEEEENSH_IJSG_SG_SG_EEES9_SI_JZNS1_25segmented_radix_sort_implINS0_14default_configELb1EPKiPiPKlPlN2at6native12_GLOBAL__N_18offset_tEEE10hipError_tPvRmT1_PNSt15iterator_traitsIS12_E10value_typeET2_T3_PNS13_IS18_E10value_typeET4_jRbjT5_S1E_jjP12ihipStream_tbEUljE_ZNSN_ISO_Lb1ESQ_SR_ST_SU_SY_EESZ_S10_S11_S12_S16_S17_S18_S1B_S1C_jS1D_jS1E_S1E_jjS1G_bEUljE0_EEESZ_S10_S11_S18_S1C_S1E_T6_T7_T9_mT8_S1G_bDpT10_ENKUlT_T0_E_clISt17integral_constantIbLb0EES1T_IbLb1EEEEDaS1P_S1Q_EUlS1P_E_NS1_11comp_targetILNS1_3genE4ELNS1_11target_archE910ELNS1_3gpuE8ELNS1_3repE0EEENS1_30default_config_static_selectorELNS0_4arch9wavefront6targetE0EEEvS12_.uses_vcc, 0
	.set _ZN7rocprim17ROCPRIM_400000_NS6detail17trampoline_kernelINS0_13select_configILj256ELj13ELNS0_17block_load_methodE3ELS4_3ELS4_3ELNS0_20block_scan_algorithmE0ELj4294967295EEENS1_25partition_config_selectorILNS1_17partition_subalgoE4EjNS0_10empty_typeEbEEZZNS1_14partition_implILS8_4ELb0ES6_15HIP_vector_typeIjLj2EENS0_17counting_iteratorIjlEEPS9_SG_NS0_5tupleIJPjSI_NS0_16reverse_iteratorISI_EEEEENSH_IJSG_SG_SG_EEES9_SI_JZNS1_25segmented_radix_sort_implINS0_14default_configELb1EPKiPiPKlPlN2at6native12_GLOBAL__N_18offset_tEEE10hipError_tPvRmT1_PNSt15iterator_traitsIS12_E10value_typeET2_T3_PNS13_IS18_E10value_typeET4_jRbjT5_S1E_jjP12ihipStream_tbEUljE_ZNSN_ISO_Lb1ESQ_SR_ST_SU_SY_EESZ_S10_S11_S12_S16_S17_S18_S1B_S1C_jS1D_jS1E_S1E_jjS1G_bEUljE0_EEESZ_S10_S11_S18_S1C_S1E_T6_T7_T9_mT8_S1G_bDpT10_ENKUlT_T0_E_clISt17integral_constantIbLb0EES1T_IbLb1EEEEDaS1P_S1Q_EUlS1P_E_NS1_11comp_targetILNS1_3genE4ELNS1_11target_archE910ELNS1_3gpuE8ELNS1_3repE0EEENS1_30default_config_static_selectorELNS0_4arch9wavefront6targetE0EEEvS12_.uses_flat_scratch, 0
	.set _ZN7rocprim17ROCPRIM_400000_NS6detail17trampoline_kernelINS0_13select_configILj256ELj13ELNS0_17block_load_methodE3ELS4_3ELS4_3ELNS0_20block_scan_algorithmE0ELj4294967295EEENS1_25partition_config_selectorILNS1_17partition_subalgoE4EjNS0_10empty_typeEbEEZZNS1_14partition_implILS8_4ELb0ES6_15HIP_vector_typeIjLj2EENS0_17counting_iteratorIjlEEPS9_SG_NS0_5tupleIJPjSI_NS0_16reverse_iteratorISI_EEEEENSH_IJSG_SG_SG_EEES9_SI_JZNS1_25segmented_radix_sort_implINS0_14default_configELb1EPKiPiPKlPlN2at6native12_GLOBAL__N_18offset_tEEE10hipError_tPvRmT1_PNSt15iterator_traitsIS12_E10value_typeET2_T3_PNS13_IS18_E10value_typeET4_jRbjT5_S1E_jjP12ihipStream_tbEUljE_ZNSN_ISO_Lb1ESQ_SR_ST_SU_SY_EESZ_S10_S11_S12_S16_S17_S18_S1B_S1C_jS1D_jS1E_S1E_jjS1G_bEUljE0_EEESZ_S10_S11_S18_S1C_S1E_T6_T7_T9_mT8_S1G_bDpT10_ENKUlT_T0_E_clISt17integral_constantIbLb0EES1T_IbLb1EEEEDaS1P_S1Q_EUlS1P_E_NS1_11comp_targetILNS1_3genE4ELNS1_11target_archE910ELNS1_3gpuE8ELNS1_3repE0EEENS1_30default_config_static_selectorELNS0_4arch9wavefront6targetE0EEEvS12_.has_dyn_sized_stack, 0
	.set _ZN7rocprim17ROCPRIM_400000_NS6detail17trampoline_kernelINS0_13select_configILj256ELj13ELNS0_17block_load_methodE3ELS4_3ELS4_3ELNS0_20block_scan_algorithmE0ELj4294967295EEENS1_25partition_config_selectorILNS1_17partition_subalgoE4EjNS0_10empty_typeEbEEZZNS1_14partition_implILS8_4ELb0ES6_15HIP_vector_typeIjLj2EENS0_17counting_iteratorIjlEEPS9_SG_NS0_5tupleIJPjSI_NS0_16reverse_iteratorISI_EEEEENSH_IJSG_SG_SG_EEES9_SI_JZNS1_25segmented_radix_sort_implINS0_14default_configELb1EPKiPiPKlPlN2at6native12_GLOBAL__N_18offset_tEEE10hipError_tPvRmT1_PNSt15iterator_traitsIS12_E10value_typeET2_T3_PNS13_IS18_E10value_typeET4_jRbjT5_S1E_jjP12ihipStream_tbEUljE_ZNSN_ISO_Lb1ESQ_SR_ST_SU_SY_EESZ_S10_S11_S12_S16_S17_S18_S1B_S1C_jS1D_jS1E_S1E_jjS1G_bEUljE0_EEESZ_S10_S11_S18_S1C_S1E_T6_T7_T9_mT8_S1G_bDpT10_ENKUlT_T0_E_clISt17integral_constantIbLb0EES1T_IbLb1EEEEDaS1P_S1Q_EUlS1P_E_NS1_11comp_targetILNS1_3genE4ELNS1_11target_archE910ELNS1_3gpuE8ELNS1_3repE0EEENS1_30default_config_static_selectorELNS0_4arch9wavefront6targetE0EEEvS12_.has_recursion, 0
	.set _ZN7rocprim17ROCPRIM_400000_NS6detail17trampoline_kernelINS0_13select_configILj256ELj13ELNS0_17block_load_methodE3ELS4_3ELS4_3ELNS0_20block_scan_algorithmE0ELj4294967295EEENS1_25partition_config_selectorILNS1_17partition_subalgoE4EjNS0_10empty_typeEbEEZZNS1_14partition_implILS8_4ELb0ES6_15HIP_vector_typeIjLj2EENS0_17counting_iteratorIjlEEPS9_SG_NS0_5tupleIJPjSI_NS0_16reverse_iteratorISI_EEEEENSH_IJSG_SG_SG_EEES9_SI_JZNS1_25segmented_radix_sort_implINS0_14default_configELb1EPKiPiPKlPlN2at6native12_GLOBAL__N_18offset_tEEE10hipError_tPvRmT1_PNSt15iterator_traitsIS12_E10value_typeET2_T3_PNS13_IS18_E10value_typeET4_jRbjT5_S1E_jjP12ihipStream_tbEUljE_ZNSN_ISO_Lb1ESQ_SR_ST_SU_SY_EESZ_S10_S11_S12_S16_S17_S18_S1B_S1C_jS1D_jS1E_S1E_jjS1G_bEUljE0_EEESZ_S10_S11_S18_S1C_S1E_T6_T7_T9_mT8_S1G_bDpT10_ENKUlT_T0_E_clISt17integral_constantIbLb0EES1T_IbLb1EEEEDaS1P_S1Q_EUlS1P_E_NS1_11comp_targetILNS1_3genE4ELNS1_11target_archE910ELNS1_3gpuE8ELNS1_3repE0EEENS1_30default_config_static_selectorELNS0_4arch9wavefront6targetE0EEEvS12_.has_indirect_call, 0
	.section	.AMDGPU.csdata,"",@progbits
; Kernel info:
; codeLenInByte = 0
; TotalNumSgprs: 0
; NumVgprs: 0
; ScratchSize: 0
; MemoryBound: 0
; FloatMode: 240
; IeeeMode: 1
; LDSByteSize: 0 bytes/workgroup (compile time only)
; SGPRBlocks: 0
; VGPRBlocks: 0
; NumSGPRsForWavesPerEU: 1
; NumVGPRsForWavesPerEU: 1
; Occupancy: 16
; WaveLimiterHint : 0
; COMPUTE_PGM_RSRC2:SCRATCH_EN: 0
; COMPUTE_PGM_RSRC2:USER_SGPR: 2
; COMPUTE_PGM_RSRC2:TRAP_HANDLER: 0
; COMPUTE_PGM_RSRC2:TGID_X_EN: 1
; COMPUTE_PGM_RSRC2:TGID_Y_EN: 0
; COMPUTE_PGM_RSRC2:TGID_Z_EN: 0
; COMPUTE_PGM_RSRC2:TIDIG_COMP_CNT: 0
	.section	.text._ZN7rocprim17ROCPRIM_400000_NS6detail17trampoline_kernelINS0_13select_configILj256ELj13ELNS0_17block_load_methodE3ELS4_3ELS4_3ELNS0_20block_scan_algorithmE0ELj4294967295EEENS1_25partition_config_selectorILNS1_17partition_subalgoE4EjNS0_10empty_typeEbEEZZNS1_14partition_implILS8_4ELb0ES6_15HIP_vector_typeIjLj2EENS0_17counting_iteratorIjlEEPS9_SG_NS0_5tupleIJPjSI_NS0_16reverse_iteratorISI_EEEEENSH_IJSG_SG_SG_EEES9_SI_JZNS1_25segmented_radix_sort_implINS0_14default_configELb1EPKiPiPKlPlN2at6native12_GLOBAL__N_18offset_tEEE10hipError_tPvRmT1_PNSt15iterator_traitsIS12_E10value_typeET2_T3_PNS13_IS18_E10value_typeET4_jRbjT5_S1E_jjP12ihipStream_tbEUljE_ZNSN_ISO_Lb1ESQ_SR_ST_SU_SY_EESZ_S10_S11_S12_S16_S17_S18_S1B_S1C_jS1D_jS1E_S1E_jjS1G_bEUljE0_EEESZ_S10_S11_S18_S1C_S1E_T6_T7_T9_mT8_S1G_bDpT10_ENKUlT_T0_E_clISt17integral_constantIbLb0EES1T_IbLb1EEEEDaS1P_S1Q_EUlS1P_E_NS1_11comp_targetILNS1_3genE3ELNS1_11target_archE908ELNS1_3gpuE7ELNS1_3repE0EEENS1_30default_config_static_selectorELNS0_4arch9wavefront6targetE0EEEvS12_,"axG",@progbits,_ZN7rocprim17ROCPRIM_400000_NS6detail17trampoline_kernelINS0_13select_configILj256ELj13ELNS0_17block_load_methodE3ELS4_3ELS4_3ELNS0_20block_scan_algorithmE0ELj4294967295EEENS1_25partition_config_selectorILNS1_17partition_subalgoE4EjNS0_10empty_typeEbEEZZNS1_14partition_implILS8_4ELb0ES6_15HIP_vector_typeIjLj2EENS0_17counting_iteratorIjlEEPS9_SG_NS0_5tupleIJPjSI_NS0_16reverse_iteratorISI_EEEEENSH_IJSG_SG_SG_EEES9_SI_JZNS1_25segmented_radix_sort_implINS0_14default_configELb1EPKiPiPKlPlN2at6native12_GLOBAL__N_18offset_tEEE10hipError_tPvRmT1_PNSt15iterator_traitsIS12_E10value_typeET2_T3_PNS13_IS18_E10value_typeET4_jRbjT5_S1E_jjP12ihipStream_tbEUljE_ZNSN_ISO_Lb1ESQ_SR_ST_SU_SY_EESZ_S10_S11_S12_S16_S17_S18_S1B_S1C_jS1D_jS1E_S1E_jjS1G_bEUljE0_EEESZ_S10_S11_S18_S1C_S1E_T6_T7_T9_mT8_S1G_bDpT10_ENKUlT_T0_E_clISt17integral_constantIbLb0EES1T_IbLb1EEEEDaS1P_S1Q_EUlS1P_E_NS1_11comp_targetILNS1_3genE3ELNS1_11target_archE908ELNS1_3gpuE7ELNS1_3repE0EEENS1_30default_config_static_selectorELNS0_4arch9wavefront6targetE0EEEvS12_,comdat
	.globl	_ZN7rocprim17ROCPRIM_400000_NS6detail17trampoline_kernelINS0_13select_configILj256ELj13ELNS0_17block_load_methodE3ELS4_3ELS4_3ELNS0_20block_scan_algorithmE0ELj4294967295EEENS1_25partition_config_selectorILNS1_17partition_subalgoE4EjNS0_10empty_typeEbEEZZNS1_14partition_implILS8_4ELb0ES6_15HIP_vector_typeIjLj2EENS0_17counting_iteratorIjlEEPS9_SG_NS0_5tupleIJPjSI_NS0_16reverse_iteratorISI_EEEEENSH_IJSG_SG_SG_EEES9_SI_JZNS1_25segmented_radix_sort_implINS0_14default_configELb1EPKiPiPKlPlN2at6native12_GLOBAL__N_18offset_tEEE10hipError_tPvRmT1_PNSt15iterator_traitsIS12_E10value_typeET2_T3_PNS13_IS18_E10value_typeET4_jRbjT5_S1E_jjP12ihipStream_tbEUljE_ZNSN_ISO_Lb1ESQ_SR_ST_SU_SY_EESZ_S10_S11_S12_S16_S17_S18_S1B_S1C_jS1D_jS1E_S1E_jjS1G_bEUljE0_EEESZ_S10_S11_S18_S1C_S1E_T6_T7_T9_mT8_S1G_bDpT10_ENKUlT_T0_E_clISt17integral_constantIbLb0EES1T_IbLb1EEEEDaS1P_S1Q_EUlS1P_E_NS1_11comp_targetILNS1_3genE3ELNS1_11target_archE908ELNS1_3gpuE7ELNS1_3repE0EEENS1_30default_config_static_selectorELNS0_4arch9wavefront6targetE0EEEvS12_ ; -- Begin function _ZN7rocprim17ROCPRIM_400000_NS6detail17trampoline_kernelINS0_13select_configILj256ELj13ELNS0_17block_load_methodE3ELS4_3ELS4_3ELNS0_20block_scan_algorithmE0ELj4294967295EEENS1_25partition_config_selectorILNS1_17partition_subalgoE4EjNS0_10empty_typeEbEEZZNS1_14partition_implILS8_4ELb0ES6_15HIP_vector_typeIjLj2EENS0_17counting_iteratorIjlEEPS9_SG_NS0_5tupleIJPjSI_NS0_16reverse_iteratorISI_EEEEENSH_IJSG_SG_SG_EEES9_SI_JZNS1_25segmented_radix_sort_implINS0_14default_configELb1EPKiPiPKlPlN2at6native12_GLOBAL__N_18offset_tEEE10hipError_tPvRmT1_PNSt15iterator_traitsIS12_E10value_typeET2_T3_PNS13_IS18_E10value_typeET4_jRbjT5_S1E_jjP12ihipStream_tbEUljE_ZNSN_ISO_Lb1ESQ_SR_ST_SU_SY_EESZ_S10_S11_S12_S16_S17_S18_S1B_S1C_jS1D_jS1E_S1E_jjS1G_bEUljE0_EEESZ_S10_S11_S18_S1C_S1E_T6_T7_T9_mT8_S1G_bDpT10_ENKUlT_T0_E_clISt17integral_constantIbLb0EES1T_IbLb1EEEEDaS1P_S1Q_EUlS1P_E_NS1_11comp_targetILNS1_3genE3ELNS1_11target_archE908ELNS1_3gpuE7ELNS1_3repE0EEENS1_30default_config_static_selectorELNS0_4arch9wavefront6targetE0EEEvS12_
	.p2align	8
	.type	_ZN7rocprim17ROCPRIM_400000_NS6detail17trampoline_kernelINS0_13select_configILj256ELj13ELNS0_17block_load_methodE3ELS4_3ELS4_3ELNS0_20block_scan_algorithmE0ELj4294967295EEENS1_25partition_config_selectorILNS1_17partition_subalgoE4EjNS0_10empty_typeEbEEZZNS1_14partition_implILS8_4ELb0ES6_15HIP_vector_typeIjLj2EENS0_17counting_iteratorIjlEEPS9_SG_NS0_5tupleIJPjSI_NS0_16reverse_iteratorISI_EEEEENSH_IJSG_SG_SG_EEES9_SI_JZNS1_25segmented_radix_sort_implINS0_14default_configELb1EPKiPiPKlPlN2at6native12_GLOBAL__N_18offset_tEEE10hipError_tPvRmT1_PNSt15iterator_traitsIS12_E10value_typeET2_T3_PNS13_IS18_E10value_typeET4_jRbjT5_S1E_jjP12ihipStream_tbEUljE_ZNSN_ISO_Lb1ESQ_SR_ST_SU_SY_EESZ_S10_S11_S12_S16_S17_S18_S1B_S1C_jS1D_jS1E_S1E_jjS1G_bEUljE0_EEESZ_S10_S11_S18_S1C_S1E_T6_T7_T9_mT8_S1G_bDpT10_ENKUlT_T0_E_clISt17integral_constantIbLb0EES1T_IbLb1EEEEDaS1P_S1Q_EUlS1P_E_NS1_11comp_targetILNS1_3genE3ELNS1_11target_archE908ELNS1_3gpuE7ELNS1_3repE0EEENS1_30default_config_static_selectorELNS0_4arch9wavefront6targetE0EEEvS12_,@function
_ZN7rocprim17ROCPRIM_400000_NS6detail17trampoline_kernelINS0_13select_configILj256ELj13ELNS0_17block_load_methodE3ELS4_3ELS4_3ELNS0_20block_scan_algorithmE0ELj4294967295EEENS1_25partition_config_selectorILNS1_17partition_subalgoE4EjNS0_10empty_typeEbEEZZNS1_14partition_implILS8_4ELb0ES6_15HIP_vector_typeIjLj2EENS0_17counting_iteratorIjlEEPS9_SG_NS0_5tupleIJPjSI_NS0_16reverse_iteratorISI_EEEEENSH_IJSG_SG_SG_EEES9_SI_JZNS1_25segmented_radix_sort_implINS0_14default_configELb1EPKiPiPKlPlN2at6native12_GLOBAL__N_18offset_tEEE10hipError_tPvRmT1_PNSt15iterator_traitsIS12_E10value_typeET2_T3_PNS13_IS18_E10value_typeET4_jRbjT5_S1E_jjP12ihipStream_tbEUljE_ZNSN_ISO_Lb1ESQ_SR_ST_SU_SY_EESZ_S10_S11_S12_S16_S17_S18_S1B_S1C_jS1D_jS1E_S1E_jjS1G_bEUljE0_EEESZ_S10_S11_S18_S1C_S1E_T6_T7_T9_mT8_S1G_bDpT10_ENKUlT_T0_E_clISt17integral_constantIbLb0EES1T_IbLb1EEEEDaS1P_S1Q_EUlS1P_E_NS1_11comp_targetILNS1_3genE3ELNS1_11target_archE908ELNS1_3gpuE7ELNS1_3repE0EEENS1_30default_config_static_selectorELNS0_4arch9wavefront6targetE0EEEvS12_: ; @_ZN7rocprim17ROCPRIM_400000_NS6detail17trampoline_kernelINS0_13select_configILj256ELj13ELNS0_17block_load_methodE3ELS4_3ELS4_3ELNS0_20block_scan_algorithmE0ELj4294967295EEENS1_25partition_config_selectorILNS1_17partition_subalgoE4EjNS0_10empty_typeEbEEZZNS1_14partition_implILS8_4ELb0ES6_15HIP_vector_typeIjLj2EENS0_17counting_iteratorIjlEEPS9_SG_NS0_5tupleIJPjSI_NS0_16reverse_iteratorISI_EEEEENSH_IJSG_SG_SG_EEES9_SI_JZNS1_25segmented_radix_sort_implINS0_14default_configELb1EPKiPiPKlPlN2at6native12_GLOBAL__N_18offset_tEEE10hipError_tPvRmT1_PNSt15iterator_traitsIS12_E10value_typeET2_T3_PNS13_IS18_E10value_typeET4_jRbjT5_S1E_jjP12ihipStream_tbEUljE_ZNSN_ISO_Lb1ESQ_SR_ST_SU_SY_EESZ_S10_S11_S12_S16_S17_S18_S1B_S1C_jS1D_jS1E_S1E_jjS1G_bEUljE0_EEESZ_S10_S11_S18_S1C_S1E_T6_T7_T9_mT8_S1G_bDpT10_ENKUlT_T0_E_clISt17integral_constantIbLb0EES1T_IbLb1EEEEDaS1P_S1Q_EUlS1P_E_NS1_11comp_targetILNS1_3genE3ELNS1_11target_archE908ELNS1_3gpuE7ELNS1_3repE0EEENS1_30default_config_static_selectorELNS0_4arch9wavefront6targetE0EEEvS12_
; %bb.0:
	.section	.rodata,"a",@progbits
	.p2align	6, 0x0
	.amdhsa_kernel _ZN7rocprim17ROCPRIM_400000_NS6detail17trampoline_kernelINS0_13select_configILj256ELj13ELNS0_17block_load_methodE3ELS4_3ELS4_3ELNS0_20block_scan_algorithmE0ELj4294967295EEENS1_25partition_config_selectorILNS1_17partition_subalgoE4EjNS0_10empty_typeEbEEZZNS1_14partition_implILS8_4ELb0ES6_15HIP_vector_typeIjLj2EENS0_17counting_iteratorIjlEEPS9_SG_NS0_5tupleIJPjSI_NS0_16reverse_iteratorISI_EEEEENSH_IJSG_SG_SG_EEES9_SI_JZNS1_25segmented_radix_sort_implINS0_14default_configELb1EPKiPiPKlPlN2at6native12_GLOBAL__N_18offset_tEEE10hipError_tPvRmT1_PNSt15iterator_traitsIS12_E10value_typeET2_T3_PNS13_IS18_E10value_typeET4_jRbjT5_S1E_jjP12ihipStream_tbEUljE_ZNSN_ISO_Lb1ESQ_SR_ST_SU_SY_EESZ_S10_S11_S12_S16_S17_S18_S1B_S1C_jS1D_jS1E_S1E_jjS1G_bEUljE0_EEESZ_S10_S11_S18_S1C_S1E_T6_T7_T9_mT8_S1G_bDpT10_ENKUlT_T0_E_clISt17integral_constantIbLb0EES1T_IbLb1EEEEDaS1P_S1Q_EUlS1P_E_NS1_11comp_targetILNS1_3genE3ELNS1_11target_archE908ELNS1_3gpuE7ELNS1_3repE0EEENS1_30default_config_static_selectorELNS0_4arch9wavefront6targetE0EEEvS12_
		.amdhsa_group_segment_fixed_size 0
		.amdhsa_private_segment_fixed_size 0
		.amdhsa_kernarg_size 184
		.amdhsa_user_sgpr_count 2
		.amdhsa_user_sgpr_dispatch_ptr 0
		.amdhsa_user_sgpr_queue_ptr 0
		.amdhsa_user_sgpr_kernarg_segment_ptr 1
		.amdhsa_user_sgpr_dispatch_id 0
		.amdhsa_user_sgpr_private_segment_size 0
		.amdhsa_wavefront_size32 1
		.amdhsa_uses_dynamic_stack 0
		.amdhsa_enable_private_segment 0
		.amdhsa_system_sgpr_workgroup_id_x 1
		.amdhsa_system_sgpr_workgroup_id_y 0
		.amdhsa_system_sgpr_workgroup_id_z 0
		.amdhsa_system_sgpr_workgroup_info 0
		.amdhsa_system_vgpr_workitem_id 0
		.amdhsa_next_free_vgpr 1
		.amdhsa_next_free_sgpr 1
		.amdhsa_reserve_vcc 0
		.amdhsa_float_round_mode_32 0
		.amdhsa_float_round_mode_16_64 0
		.amdhsa_float_denorm_mode_32 3
		.amdhsa_float_denorm_mode_16_64 3
		.amdhsa_fp16_overflow 0
		.amdhsa_workgroup_processor_mode 1
		.amdhsa_memory_ordered 1
		.amdhsa_forward_progress 1
		.amdhsa_inst_pref_size 0
		.amdhsa_round_robin_scheduling 0
		.amdhsa_exception_fp_ieee_invalid_op 0
		.amdhsa_exception_fp_denorm_src 0
		.amdhsa_exception_fp_ieee_div_zero 0
		.amdhsa_exception_fp_ieee_overflow 0
		.amdhsa_exception_fp_ieee_underflow 0
		.amdhsa_exception_fp_ieee_inexact 0
		.amdhsa_exception_int_div_zero 0
	.end_amdhsa_kernel
	.section	.text._ZN7rocprim17ROCPRIM_400000_NS6detail17trampoline_kernelINS0_13select_configILj256ELj13ELNS0_17block_load_methodE3ELS4_3ELS4_3ELNS0_20block_scan_algorithmE0ELj4294967295EEENS1_25partition_config_selectorILNS1_17partition_subalgoE4EjNS0_10empty_typeEbEEZZNS1_14partition_implILS8_4ELb0ES6_15HIP_vector_typeIjLj2EENS0_17counting_iteratorIjlEEPS9_SG_NS0_5tupleIJPjSI_NS0_16reverse_iteratorISI_EEEEENSH_IJSG_SG_SG_EEES9_SI_JZNS1_25segmented_radix_sort_implINS0_14default_configELb1EPKiPiPKlPlN2at6native12_GLOBAL__N_18offset_tEEE10hipError_tPvRmT1_PNSt15iterator_traitsIS12_E10value_typeET2_T3_PNS13_IS18_E10value_typeET4_jRbjT5_S1E_jjP12ihipStream_tbEUljE_ZNSN_ISO_Lb1ESQ_SR_ST_SU_SY_EESZ_S10_S11_S12_S16_S17_S18_S1B_S1C_jS1D_jS1E_S1E_jjS1G_bEUljE0_EEESZ_S10_S11_S18_S1C_S1E_T6_T7_T9_mT8_S1G_bDpT10_ENKUlT_T0_E_clISt17integral_constantIbLb0EES1T_IbLb1EEEEDaS1P_S1Q_EUlS1P_E_NS1_11comp_targetILNS1_3genE3ELNS1_11target_archE908ELNS1_3gpuE7ELNS1_3repE0EEENS1_30default_config_static_selectorELNS0_4arch9wavefront6targetE0EEEvS12_,"axG",@progbits,_ZN7rocprim17ROCPRIM_400000_NS6detail17trampoline_kernelINS0_13select_configILj256ELj13ELNS0_17block_load_methodE3ELS4_3ELS4_3ELNS0_20block_scan_algorithmE0ELj4294967295EEENS1_25partition_config_selectorILNS1_17partition_subalgoE4EjNS0_10empty_typeEbEEZZNS1_14partition_implILS8_4ELb0ES6_15HIP_vector_typeIjLj2EENS0_17counting_iteratorIjlEEPS9_SG_NS0_5tupleIJPjSI_NS0_16reverse_iteratorISI_EEEEENSH_IJSG_SG_SG_EEES9_SI_JZNS1_25segmented_radix_sort_implINS0_14default_configELb1EPKiPiPKlPlN2at6native12_GLOBAL__N_18offset_tEEE10hipError_tPvRmT1_PNSt15iterator_traitsIS12_E10value_typeET2_T3_PNS13_IS18_E10value_typeET4_jRbjT5_S1E_jjP12ihipStream_tbEUljE_ZNSN_ISO_Lb1ESQ_SR_ST_SU_SY_EESZ_S10_S11_S12_S16_S17_S18_S1B_S1C_jS1D_jS1E_S1E_jjS1G_bEUljE0_EEESZ_S10_S11_S18_S1C_S1E_T6_T7_T9_mT8_S1G_bDpT10_ENKUlT_T0_E_clISt17integral_constantIbLb0EES1T_IbLb1EEEEDaS1P_S1Q_EUlS1P_E_NS1_11comp_targetILNS1_3genE3ELNS1_11target_archE908ELNS1_3gpuE7ELNS1_3repE0EEENS1_30default_config_static_selectorELNS0_4arch9wavefront6targetE0EEEvS12_,comdat
.Lfunc_end460:
	.size	_ZN7rocprim17ROCPRIM_400000_NS6detail17trampoline_kernelINS0_13select_configILj256ELj13ELNS0_17block_load_methodE3ELS4_3ELS4_3ELNS0_20block_scan_algorithmE0ELj4294967295EEENS1_25partition_config_selectorILNS1_17partition_subalgoE4EjNS0_10empty_typeEbEEZZNS1_14partition_implILS8_4ELb0ES6_15HIP_vector_typeIjLj2EENS0_17counting_iteratorIjlEEPS9_SG_NS0_5tupleIJPjSI_NS0_16reverse_iteratorISI_EEEEENSH_IJSG_SG_SG_EEES9_SI_JZNS1_25segmented_radix_sort_implINS0_14default_configELb1EPKiPiPKlPlN2at6native12_GLOBAL__N_18offset_tEEE10hipError_tPvRmT1_PNSt15iterator_traitsIS12_E10value_typeET2_T3_PNS13_IS18_E10value_typeET4_jRbjT5_S1E_jjP12ihipStream_tbEUljE_ZNSN_ISO_Lb1ESQ_SR_ST_SU_SY_EESZ_S10_S11_S12_S16_S17_S18_S1B_S1C_jS1D_jS1E_S1E_jjS1G_bEUljE0_EEESZ_S10_S11_S18_S1C_S1E_T6_T7_T9_mT8_S1G_bDpT10_ENKUlT_T0_E_clISt17integral_constantIbLb0EES1T_IbLb1EEEEDaS1P_S1Q_EUlS1P_E_NS1_11comp_targetILNS1_3genE3ELNS1_11target_archE908ELNS1_3gpuE7ELNS1_3repE0EEENS1_30default_config_static_selectorELNS0_4arch9wavefront6targetE0EEEvS12_, .Lfunc_end460-_ZN7rocprim17ROCPRIM_400000_NS6detail17trampoline_kernelINS0_13select_configILj256ELj13ELNS0_17block_load_methodE3ELS4_3ELS4_3ELNS0_20block_scan_algorithmE0ELj4294967295EEENS1_25partition_config_selectorILNS1_17partition_subalgoE4EjNS0_10empty_typeEbEEZZNS1_14partition_implILS8_4ELb0ES6_15HIP_vector_typeIjLj2EENS0_17counting_iteratorIjlEEPS9_SG_NS0_5tupleIJPjSI_NS0_16reverse_iteratorISI_EEEEENSH_IJSG_SG_SG_EEES9_SI_JZNS1_25segmented_radix_sort_implINS0_14default_configELb1EPKiPiPKlPlN2at6native12_GLOBAL__N_18offset_tEEE10hipError_tPvRmT1_PNSt15iterator_traitsIS12_E10value_typeET2_T3_PNS13_IS18_E10value_typeET4_jRbjT5_S1E_jjP12ihipStream_tbEUljE_ZNSN_ISO_Lb1ESQ_SR_ST_SU_SY_EESZ_S10_S11_S12_S16_S17_S18_S1B_S1C_jS1D_jS1E_S1E_jjS1G_bEUljE0_EEESZ_S10_S11_S18_S1C_S1E_T6_T7_T9_mT8_S1G_bDpT10_ENKUlT_T0_E_clISt17integral_constantIbLb0EES1T_IbLb1EEEEDaS1P_S1Q_EUlS1P_E_NS1_11comp_targetILNS1_3genE3ELNS1_11target_archE908ELNS1_3gpuE7ELNS1_3repE0EEENS1_30default_config_static_selectorELNS0_4arch9wavefront6targetE0EEEvS12_
                                        ; -- End function
	.set _ZN7rocprim17ROCPRIM_400000_NS6detail17trampoline_kernelINS0_13select_configILj256ELj13ELNS0_17block_load_methodE3ELS4_3ELS4_3ELNS0_20block_scan_algorithmE0ELj4294967295EEENS1_25partition_config_selectorILNS1_17partition_subalgoE4EjNS0_10empty_typeEbEEZZNS1_14partition_implILS8_4ELb0ES6_15HIP_vector_typeIjLj2EENS0_17counting_iteratorIjlEEPS9_SG_NS0_5tupleIJPjSI_NS0_16reverse_iteratorISI_EEEEENSH_IJSG_SG_SG_EEES9_SI_JZNS1_25segmented_radix_sort_implINS0_14default_configELb1EPKiPiPKlPlN2at6native12_GLOBAL__N_18offset_tEEE10hipError_tPvRmT1_PNSt15iterator_traitsIS12_E10value_typeET2_T3_PNS13_IS18_E10value_typeET4_jRbjT5_S1E_jjP12ihipStream_tbEUljE_ZNSN_ISO_Lb1ESQ_SR_ST_SU_SY_EESZ_S10_S11_S12_S16_S17_S18_S1B_S1C_jS1D_jS1E_S1E_jjS1G_bEUljE0_EEESZ_S10_S11_S18_S1C_S1E_T6_T7_T9_mT8_S1G_bDpT10_ENKUlT_T0_E_clISt17integral_constantIbLb0EES1T_IbLb1EEEEDaS1P_S1Q_EUlS1P_E_NS1_11comp_targetILNS1_3genE3ELNS1_11target_archE908ELNS1_3gpuE7ELNS1_3repE0EEENS1_30default_config_static_selectorELNS0_4arch9wavefront6targetE0EEEvS12_.num_vgpr, 0
	.set _ZN7rocprim17ROCPRIM_400000_NS6detail17trampoline_kernelINS0_13select_configILj256ELj13ELNS0_17block_load_methodE3ELS4_3ELS4_3ELNS0_20block_scan_algorithmE0ELj4294967295EEENS1_25partition_config_selectorILNS1_17partition_subalgoE4EjNS0_10empty_typeEbEEZZNS1_14partition_implILS8_4ELb0ES6_15HIP_vector_typeIjLj2EENS0_17counting_iteratorIjlEEPS9_SG_NS0_5tupleIJPjSI_NS0_16reverse_iteratorISI_EEEEENSH_IJSG_SG_SG_EEES9_SI_JZNS1_25segmented_radix_sort_implINS0_14default_configELb1EPKiPiPKlPlN2at6native12_GLOBAL__N_18offset_tEEE10hipError_tPvRmT1_PNSt15iterator_traitsIS12_E10value_typeET2_T3_PNS13_IS18_E10value_typeET4_jRbjT5_S1E_jjP12ihipStream_tbEUljE_ZNSN_ISO_Lb1ESQ_SR_ST_SU_SY_EESZ_S10_S11_S12_S16_S17_S18_S1B_S1C_jS1D_jS1E_S1E_jjS1G_bEUljE0_EEESZ_S10_S11_S18_S1C_S1E_T6_T7_T9_mT8_S1G_bDpT10_ENKUlT_T0_E_clISt17integral_constantIbLb0EES1T_IbLb1EEEEDaS1P_S1Q_EUlS1P_E_NS1_11comp_targetILNS1_3genE3ELNS1_11target_archE908ELNS1_3gpuE7ELNS1_3repE0EEENS1_30default_config_static_selectorELNS0_4arch9wavefront6targetE0EEEvS12_.num_agpr, 0
	.set _ZN7rocprim17ROCPRIM_400000_NS6detail17trampoline_kernelINS0_13select_configILj256ELj13ELNS0_17block_load_methodE3ELS4_3ELS4_3ELNS0_20block_scan_algorithmE0ELj4294967295EEENS1_25partition_config_selectorILNS1_17partition_subalgoE4EjNS0_10empty_typeEbEEZZNS1_14partition_implILS8_4ELb0ES6_15HIP_vector_typeIjLj2EENS0_17counting_iteratorIjlEEPS9_SG_NS0_5tupleIJPjSI_NS0_16reverse_iteratorISI_EEEEENSH_IJSG_SG_SG_EEES9_SI_JZNS1_25segmented_radix_sort_implINS0_14default_configELb1EPKiPiPKlPlN2at6native12_GLOBAL__N_18offset_tEEE10hipError_tPvRmT1_PNSt15iterator_traitsIS12_E10value_typeET2_T3_PNS13_IS18_E10value_typeET4_jRbjT5_S1E_jjP12ihipStream_tbEUljE_ZNSN_ISO_Lb1ESQ_SR_ST_SU_SY_EESZ_S10_S11_S12_S16_S17_S18_S1B_S1C_jS1D_jS1E_S1E_jjS1G_bEUljE0_EEESZ_S10_S11_S18_S1C_S1E_T6_T7_T9_mT8_S1G_bDpT10_ENKUlT_T0_E_clISt17integral_constantIbLb0EES1T_IbLb1EEEEDaS1P_S1Q_EUlS1P_E_NS1_11comp_targetILNS1_3genE3ELNS1_11target_archE908ELNS1_3gpuE7ELNS1_3repE0EEENS1_30default_config_static_selectorELNS0_4arch9wavefront6targetE0EEEvS12_.numbered_sgpr, 0
	.set _ZN7rocprim17ROCPRIM_400000_NS6detail17trampoline_kernelINS0_13select_configILj256ELj13ELNS0_17block_load_methodE3ELS4_3ELS4_3ELNS0_20block_scan_algorithmE0ELj4294967295EEENS1_25partition_config_selectorILNS1_17partition_subalgoE4EjNS0_10empty_typeEbEEZZNS1_14partition_implILS8_4ELb0ES6_15HIP_vector_typeIjLj2EENS0_17counting_iteratorIjlEEPS9_SG_NS0_5tupleIJPjSI_NS0_16reverse_iteratorISI_EEEEENSH_IJSG_SG_SG_EEES9_SI_JZNS1_25segmented_radix_sort_implINS0_14default_configELb1EPKiPiPKlPlN2at6native12_GLOBAL__N_18offset_tEEE10hipError_tPvRmT1_PNSt15iterator_traitsIS12_E10value_typeET2_T3_PNS13_IS18_E10value_typeET4_jRbjT5_S1E_jjP12ihipStream_tbEUljE_ZNSN_ISO_Lb1ESQ_SR_ST_SU_SY_EESZ_S10_S11_S12_S16_S17_S18_S1B_S1C_jS1D_jS1E_S1E_jjS1G_bEUljE0_EEESZ_S10_S11_S18_S1C_S1E_T6_T7_T9_mT8_S1G_bDpT10_ENKUlT_T0_E_clISt17integral_constantIbLb0EES1T_IbLb1EEEEDaS1P_S1Q_EUlS1P_E_NS1_11comp_targetILNS1_3genE3ELNS1_11target_archE908ELNS1_3gpuE7ELNS1_3repE0EEENS1_30default_config_static_selectorELNS0_4arch9wavefront6targetE0EEEvS12_.num_named_barrier, 0
	.set _ZN7rocprim17ROCPRIM_400000_NS6detail17trampoline_kernelINS0_13select_configILj256ELj13ELNS0_17block_load_methodE3ELS4_3ELS4_3ELNS0_20block_scan_algorithmE0ELj4294967295EEENS1_25partition_config_selectorILNS1_17partition_subalgoE4EjNS0_10empty_typeEbEEZZNS1_14partition_implILS8_4ELb0ES6_15HIP_vector_typeIjLj2EENS0_17counting_iteratorIjlEEPS9_SG_NS0_5tupleIJPjSI_NS0_16reverse_iteratorISI_EEEEENSH_IJSG_SG_SG_EEES9_SI_JZNS1_25segmented_radix_sort_implINS0_14default_configELb1EPKiPiPKlPlN2at6native12_GLOBAL__N_18offset_tEEE10hipError_tPvRmT1_PNSt15iterator_traitsIS12_E10value_typeET2_T3_PNS13_IS18_E10value_typeET4_jRbjT5_S1E_jjP12ihipStream_tbEUljE_ZNSN_ISO_Lb1ESQ_SR_ST_SU_SY_EESZ_S10_S11_S12_S16_S17_S18_S1B_S1C_jS1D_jS1E_S1E_jjS1G_bEUljE0_EEESZ_S10_S11_S18_S1C_S1E_T6_T7_T9_mT8_S1G_bDpT10_ENKUlT_T0_E_clISt17integral_constantIbLb0EES1T_IbLb1EEEEDaS1P_S1Q_EUlS1P_E_NS1_11comp_targetILNS1_3genE3ELNS1_11target_archE908ELNS1_3gpuE7ELNS1_3repE0EEENS1_30default_config_static_selectorELNS0_4arch9wavefront6targetE0EEEvS12_.private_seg_size, 0
	.set _ZN7rocprim17ROCPRIM_400000_NS6detail17trampoline_kernelINS0_13select_configILj256ELj13ELNS0_17block_load_methodE3ELS4_3ELS4_3ELNS0_20block_scan_algorithmE0ELj4294967295EEENS1_25partition_config_selectorILNS1_17partition_subalgoE4EjNS0_10empty_typeEbEEZZNS1_14partition_implILS8_4ELb0ES6_15HIP_vector_typeIjLj2EENS0_17counting_iteratorIjlEEPS9_SG_NS0_5tupleIJPjSI_NS0_16reverse_iteratorISI_EEEEENSH_IJSG_SG_SG_EEES9_SI_JZNS1_25segmented_radix_sort_implINS0_14default_configELb1EPKiPiPKlPlN2at6native12_GLOBAL__N_18offset_tEEE10hipError_tPvRmT1_PNSt15iterator_traitsIS12_E10value_typeET2_T3_PNS13_IS18_E10value_typeET4_jRbjT5_S1E_jjP12ihipStream_tbEUljE_ZNSN_ISO_Lb1ESQ_SR_ST_SU_SY_EESZ_S10_S11_S12_S16_S17_S18_S1B_S1C_jS1D_jS1E_S1E_jjS1G_bEUljE0_EEESZ_S10_S11_S18_S1C_S1E_T6_T7_T9_mT8_S1G_bDpT10_ENKUlT_T0_E_clISt17integral_constantIbLb0EES1T_IbLb1EEEEDaS1P_S1Q_EUlS1P_E_NS1_11comp_targetILNS1_3genE3ELNS1_11target_archE908ELNS1_3gpuE7ELNS1_3repE0EEENS1_30default_config_static_selectorELNS0_4arch9wavefront6targetE0EEEvS12_.uses_vcc, 0
	.set _ZN7rocprim17ROCPRIM_400000_NS6detail17trampoline_kernelINS0_13select_configILj256ELj13ELNS0_17block_load_methodE3ELS4_3ELS4_3ELNS0_20block_scan_algorithmE0ELj4294967295EEENS1_25partition_config_selectorILNS1_17partition_subalgoE4EjNS0_10empty_typeEbEEZZNS1_14partition_implILS8_4ELb0ES6_15HIP_vector_typeIjLj2EENS0_17counting_iteratorIjlEEPS9_SG_NS0_5tupleIJPjSI_NS0_16reverse_iteratorISI_EEEEENSH_IJSG_SG_SG_EEES9_SI_JZNS1_25segmented_radix_sort_implINS0_14default_configELb1EPKiPiPKlPlN2at6native12_GLOBAL__N_18offset_tEEE10hipError_tPvRmT1_PNSt15iterator_traitsIS12_E10value_typeET2_T3_PNS13_IS18_E10value_typeET4_jRbjT5_S1E_jjP12ihipStream_tbEUljE_ZNSN_ISO_Lb1ESQ_SR_ST_SU_SY_EESZ_S10_S11_S12_S16_S17_S18_S1B_S1C_jS1D_jS1E_S1E_jjS1G_bEUljE0_EEESZ_S10_S11_S18_S1C_S1E_T6_T7_T9_mT8_S1G_bDpT10_ENKUlT_T0_E_clISt17integral_constantIbLb0EES1T_IbLb1EEEEDaS1P_S1Q_EUlS1P_E_NS1_11comp_targetILNS1_3genE3ELNS1_11target_archE908ELNS1_3gpuE7ELNS1_3repE0EEENS1_30default_config_static_selectorELNS0_4arch9wavefront6targetE0EEEvS12_.uses_flat_scratch, 0
	.set _ZN7rocprim17ROCPRIM_400000_NS6detail17trampoline_kernelINS0_13select_configILj256ELj13ELNS0_17block_load_methodE3ELS4_3ELS4_3ELNS0_20block_scan_algorithmE0ELj4294967295EEENS1_25partition_config_selectorILNS1_17partition_subalgoE4EjNS0_10empty_typeEbEEZZNS1_14partition_implILS8_4ELb0ES6_15HIP_vector_typeIjLj2EENS0_17counting_iteratorIjlEEPS9_SG_NS0_5tupleIJPjSI_NS0_16reverse_iteratorISI_EEEEENSH_IJSG_SG_SG_EEES9_SI_JZNS1_25segmented_radix_sort_implINS0_14default_configELb1EPKiPiPKlPlN2at6native12_GLOBAL__N_18offset_tEEE10hipError_tPvRmT1_PNSt15iterator_traitsIS12_E10value_typeET2_T3_PNS13_IS18_E10value_typeET4_jRbjT5_S1E_jjP12ihipStream_tbEUljE_ZNSN_ISO_Lb1ESQ_SR_ST_SU_SY_EESZ_S10_S11_S12_S16_S17_S18_S1B_S1C_jS1D_jS1E_S1E_jjS1G_bEUljE0_EEESZ_S10_S11_S18_S1C_S1E_T6_T7_T9_mT8_S1G_bDpT10_ENKUlT_T0_E_clISt17integral_constantIbLb0EES1T_IbLb1EEEEDaS1P_S1Q_EUlS1P_E_NS1_11comp_targetILNS1_3genE3ELNS1_11target_archE908ELNS1_3gpuE7ELNS1_3repE0EEENS1_30default_config_static_selectorELNS0_4arch9wavefront6targetE0EEEvS12_.has_dyn_sized_stack, 0
	.set _ZN7rocprim17ROCPRIM_400000_NS6detail17trampoline_kernelINS0_13select_configILj256ELj13ELNS0_17block_load_methodE3ELS4_3ELS4_3ELNS0_20block_scan_algorithmE0ELj4294967295EEENS1_25partition_config_selectorILNS1_17partition_subalgoE4EjNS0_10empty_typeEbEEZZNS1_14partition_implILS8_4ELb0ES6_15HIP_vector_typeIjLj2EENS0_17counting_iteratorIjlEEPS9_SG_NS0_5tupleIJPjSI_NS0_16reverse_iteratorISI_EEEEENSH_IJSG_SG_SG_EEES9_SI_JZNS1_25segmented_radix_sort_implINS0_14default_configELb1EPKiPiPKlPlN2at6native12_GLOBAL__N_18offset_tEEE10hipError_tPvRmT1_PNSt15iterator_traitsIS12_E10value_typeET2_T3_PNS13_IS18_E10value_typeET4_jRbjT5_S1E_jjP12ihipStream_tbEUljE_ZNSN_ISO_Lb1ESQ_SR_ST_SU_SY_EESZ_S10_S11_S12_S16_S17_S18_S1B_S1C_jS1D_jS1E_S1E_jjS1G_bEUljE0_EEESZ_S10_S11_S18_S1C_S1E_T6_T7_T9_mT8_S1G_bDpT10_ENKUlT_T0_E_clISt17integral_constantIbLb0EES1T_IbLb1EEEEDaS1P_S1Q_EUlS1P_E_NS1_11comp_targetILNS1_3genE3ELNS1_11target_archE908ELNS1_3gpuE7ELNS1_3repE0EEENS1_30default_config_static_selectorELNS0_4arch9wavefront6targetE0EEEvS12_.has_recursion, 0
	.set _ZN7rocprim17ROCPRIM_400000_NS6detail17trampoline_kernelINS0_13select_configILj256ELj13ELNS0_17block_load_methodE3ELS4_3ELS4_3ELNS0_20block_scan_algorithmE0ELj4294967295EEENS1_25partition_config_selectorILNS1_17partition_subalgoE4EjNS0_10empty_typeEbEEZZNS1_14partition_implILS8_4ELb0ES6_15HIP_vector_typeIjLj2EENS0_17counting_iteratorIjlEEPS9_SG_NS0_5tupleIJPjSI_NS0_16reverse_iteratorISI_EEEEENSH_IJSG_SG_SG_EEES9_SI_JZNS1_25segmented_radix_sort_implINS0_14default_configELb1EPKiPiPKlPlN2at6native12_GLOBAL__N_18offset_tEEE10hipError_tPvRmT1_PNSt15iterator_traitsIS12_E10value_typeET2_T3_PNS13_IS18_E10value_typeET4_jRbjT5_S1E_jjP12ihipStream_tbEUljE_ZNSN_ISO_Lb1ESQ_SR_ST_SU_SY_EESZ_S10_S11_S12_S16_S17_S18_S1B_S1C_jS1D_jS1E_S1E_jjS1G_bEUljE0_EEESZ_S10_S11_S18_S1C_S1E_T6_T7_T9_mT8_S1G_bDpT10_ENKUlT_T0_E_clISt17integral_constantIbLb0EES1T_IbLb1EEEEDaS1P_S1Q_EUlS1P_E_NS1_11comp_targetILNS1_3genE3ELNS1_11target_archE908ELNS1_3gpuE7ELNS1_3repE0EEENS1_30default_config_static_selectorELNS0_4arch9wavefront6targetE0EEEvS12_.has_indirect_call, 0
	.section	.AMDGPU.csdata,"",@progbits
; Kernel info:
; codeLenInByte = 0
; TotalNumSgprs: 0
; NumVgprs: 0
; ScratchSize: 0
; MemoryBound: 0
; FloatMode: 240
; IeeeMode: 1
; LDSByteSize: 0 bytes/workgroup (compile time only)
; SGPRBlocks: 0
; VGPRBlocks: 0
; NumSGPRsForWavesPerEU: 1
; NumVGPRsForWavesPerEU: 1
; Occupancy: 16
; WaveLimiterHint : 0
; COMPUTE_PGM_RSRC2:SCRATCH_EN: 0
; COMPUTE_PGM_RSRC2:USER_SGPR: 2
; COMPUTE_PGM_RSRC2:TRAP_HANDLER: 0
; COMPUTE_PGM_RSRC2:TGID_X_EN: 1
; COMPUTE_PGM_RSRC2:TGID_Y_EN: 0
; COMPUTE_PGM_RSRC2:TGID_Z_EN: 0
; COMPUTE_PGM_RSRC2:TIDIG_COMP_CNT: 0
	.section	.text._ZN7rocprim17ROCPRIM_400000_NS6detail17trampoline_kernelINS0_13select_configILj256ELj13ELNS0_17block_load_methodE3ELS4_3ELS4_3ELNS0_20block_scan_algorithmE0ELj4294967295EEENS1_25partition_config_selectorILNS1_17partition_subalgoE4EjNS0_10empty_typeEbEEZZNS1_14partition_implILS8_4ELb0ES6_15HIP_vector_typeIjLj2EENS0_17counting_iteratorIjlEEPS9_SG_NS0_5tupleIJPjSI_NS0_16reverse_iteratorISI_EEEEENSH_IJSG_SG_SG_EEES9_SI_JZNS1_25segmented_radix_sort_implINS0_14default_configELb1EPKiPiPKlPlN2at6native12_GLOBAL__N_18offset_tEEE10hipError_tPvRmT1_PNSt15iterator_traitsIS12_E10value_typeET2_T3_PNS13_IS18_E10value_typeET4_jRbjT5_S1E_jjP12ihipStream_tbEUljE_ZNSN_ISO_Lb1ESQ_SR_ST_SU_SY_EESZ_S10_S11_S12_S16_S17_S18_S1B_S1C_jS1D_jS1E_S1E_jjS1G_bEUljE0_EEESZ_S10_S11_S18_S1C_S1E_T6_T7_T9_mT8_S1G_bDpT10_ENKUlT_T0_E_clISt17integral_constantIbLb0EES1T_IbLb1EEEEDaS1P_S1Q_EUlS1P_E_NS1_11comp_targetILNS1_3genE2ELNS1_11target_archE906ELNS1_3gpuE6ELNS1_3repE0EEENS1_30default_config_static_selectorELNS0_4arch9wavefront6targetE0EEEvS12_,"axG",@progbits,_ZN7rocprim17ROCPRIM_400000_NS6detail17trampoline_kernelINS0_13select_configILj256ELj13ELNS0_17block_load_methodE3ELS4_3ELS4_3ELNS0_20block_scan_algorithmE0ELj4294967295EEENS1_25partition_config_selectorILNS1_17partition_subalgoE4EjNS0_10empty_typeEbEEZZNS1_14partition_implILS8_4ELb0ES6_15HIP_vector_typeIjLj2EENS0_17counting_iteratorIjlEEPS9_SG_NS0_5tupleIJPjSI_NS0_16reverse_iteratorISI_EEEEENSH_IJSG_SG_SG_EEES9_SI_JZNS1_25segmented_radix_sort_implINS0_14default_configELb1EPKiPiPKlPlN2at6native12_GLOBAL__N_18offset_tEEE10hipError_tPvRmT1_PNSt15iterator_traitsIS12_E10value_typeET2_T3_PNS13_IS18_E10value_typeET4_jRbjT5_S1E_jjP12ihipStream_tbEUljE_ZNSN_ISO_Lb1ESQ_SR_ST_SU_SY_EESZ_S10_S11_S12_S16_S17_S18_S1B_S1C_jS1D_jS1E_S1E_jjS1G_bEUljE0_EEESZ_S10_S11_S18_S1C_S1E_T6_T7_T9_mT8_S1G_bDpT10_ENKUlT_T0_E_clISt17integral_constantIbLb0EES1T_IbLb1EEEEDaS1P_S1Q_EUlS1P_E_NS1_11comp_targetILNS1_3genE2ELNS1_11target_archE906ELNS1_3gpuE6ELNS1_3repE0EEENS1_30default_config_static_selectorELNS0_4arch9wavefront6targetE0EEEvS12_,comdat
	.globl	_ZN7rocprim17ROCPRIM_400000_NS6detail17trampoline_kernelINS0_13select_configILj256ELj13ELNS0_17block_load_methodE3ELS4_3ELS4_3ELNS0_20block_scan_algorithmE0ELj4294967295EEENS1_25partition_config_selectorILNS1_17partition_subalgoE4EjNS0_10empty_typeEbEEZZNS1_14partition_implILS8_4ELb0ES6_15HIP_vector_typeIjLj2EENS0_17counting_iteratorIjlEEPS9_SG_NS0_5tupleIJPjSI_NS0_16reverse_iteratorISI_EEEEENSH_IJSG_SG_SG_EEES9_SI_JZNS1_25segmented_radix_sort_implINS0_14default_configELb1EPKiPiPKlPlN2at6native12_GLOBAL__N_18offset_tEEE10hipError_tPvRmT1_PNSt15iterator_traitsIS12_E10value_typeET2_T3_PNS13_IS18_E10value_typeET4_jRbjT5_S1E_jjP12ihipStream_tbEUljE_ZNSN_ISO_Lb1ESQ_SR_ST_SU_SY_EESZ_S10_S11_S12_S16_S17_S18_S1B_S1C_jS1D_jS1E_S1E_jjS1G_bEUljE0_EEESZ_S10_S11_S18_S1C_S1E_T6_T7_T9_mT8_S1G_bDpT10_ENKUlT_T0_E_clISt17integral_constantIbLb0EES1T_IbLb1EEEEDaS1P_S1Q_EUlS1P_E_NS1_11comp_targetILNS1_3genE2ELNS1_11target_archE906ELNS1_3gpuE6ELNS1_3repE0EEENS1_30default_config_static_selectorELNS0_4arch9wavefront6targetE0EEEvS12_ ; -- Begin function _ZN7rocprim17ROCPRIM_400000_NS6detail17trampoline_kernelINS0_13select_configILj256ELj13ELNS0_17block_load_methodE3ELS4_3ELS4_3ELNS0_20block_scan_algorithmE0ELj4294967295EEENS1_25partition_config_selectorILNS1_17partition_subalgoE4EjNS0_10empty_typeEbEEZZNS1_14partition_implILS8_4ELb0ES6_15HIP_vector_typeIjLj2EENS0_17counting_iteratorIjlEEPS9_SG_NS0_5tupleIJPjSI_NS0_16reverse_iteratorISI_EEEEENSH_IJSG_SG_SG_EEES9_SI_JZNS1_25segmented_radix_sort_implINS0_14default_configELb1EPKiPiPKlPlN2at6native12_GLOBAL__N_18offset_tEEE10hipError_tPvRmT1_PNSt15iterator_traitsIS12_E10value_typeET2_T3_PNS13_IS18_E10value_typeET4_jRbjT5_S1E_jjP12ihipStream_tbEUljE_ZNSN_ISO_Lb1ESQ_SR_ST_SU_SY_EESZ_S10_S11_S12_S16_S17_S18_S1B_S1C_jS1D_jS1E_S1E_jjS1G_bEUljE0_EEESZ_S10_S11_S18_S1C_S1E_T6_T7_T9_mT8_S1G_bDpT10_ENKUlT_T0_E_clISt17integral_constantIbLb0EES1T_IbLb1EEEEDaS1P_S1Q_EUlS1P_E_NS1_11comp_targetILNS1_3genE2ELNS1_11target_archE906ELNS1_3gpuE6ELNS1_3repE0EEENS1_30default_config_static_selectorELNS0_4arch9wavefront6targetE0EEEvS12_
	.p2align	8
	.type	_ZN7rocprim17ROCPRIM_400000_NS6detail17trampoline_kernelINS0_13select_configILj256ELj13ELNS0_17block_load_methodE3ELS4_3ELS4_3ELNS0_20block_scan_algorithmE0ELj4294967295EEENS1_25partition_config_selectorILNS1_17partition_subalgoE4EjNS0_10empty_typeEbEEZZNS1_14partition_implILS8_4ELb0ES6_15HIP_vector_typeIjLj2EENS0_17counting_iteratorIjlEEPS9_SG_NS0_5tupleIJPjSI_NS0_16reverse_iteratorISI_EEEEENSH_IJSG_SG_SG_EEES9_SI_JZNS1_25segmented_radix_sort_implINS0_14default_configELb1EPKiPiPKlPlN2at6native12_GLOBAL__N_18offset_tEEE10hipError_tPvRmT1_PNSt15iterator_traitsIS12_E10value_typeET2_T3_PNS13_IS18_E10value_typeET4_jRbjT5_S1E_jjP12ihipStream_tbEUljE_ZNSN_ISO_Lb1ESQ_SR_ST_SU_SY_EESZ_S10_S11_S12_S16_S17_S18_S1B_S1C_jS1D_jS1E_S1E_jjS1G_bEUljE0_EEESZ_S10_S11_S18_S1C_S1E_T6_T7_T9_mT8_S1G_bDpT10_ENKUlT_T0_E_clISt17integral_constantIbLb0EES1T_IbLb1EEEEDaS1P_S1Q_EUlS1P_E_NS1_11comp_targetILNS1_3genE2ELNS1_11target_archE906ELNS1_3gpuE6ELNS1_3repE0EEENS1_30default_config_static_selectorELNS0_4arch9wavefront6targetE0EEEvS12_,@function
_ZN7rocprim17ROCPRIM_400000_NS6detail17trampoline_kernelINS0_13select_configILj256ELj13ELNS0_17block_load_methodE3ELS4_3ELS4_3ELNS0_20block_scan_algorithmE0ELj4294967295EEENS1_25partition_config_selectorILNS1_17partition_subalgoE4EjNS0_10empty_typeEbEEZZNS1_14partition_implILS8_4ELb0ES6_15HIP_vector_typeIjLj2EENS0_17counting_iteratorIjlEEPS9_SG_NS0_5tupleIJPjSI_NS0_16reverse_iteratorISI_EEEEENSH_IJSG_SG_SG_EEES9_SI_JZNS1_25segmented_radix_sort_implINS0_14default_configELb1EPKiPiPKlPlN2at6native12_GLOBAL__N_18offset_tEEE10hipError_tPvRmT1_PNSt15iterator_traitsIS12_E10value_typeET2_T3_PNS13_IS18_E10value_typeET4_jRbjT5_S1E_jjP12ihipStream_tbEUljE_ZNSN_ISO_Lb1ESQ_SR_ST_SU_SY_EESZ_S10_S11_S12_S16_S17_S18_S1B_S1C_jS1D_jS1E_S1E_jjS1G_bEUljE0_EEESZ_S10_S11_S18_S1C_S1E_T6_T7_T9_mT8_S1G_bDpT10_ENKUlT_T0_E_clISt17integral_constantIbLb0EES1T_IbLb1EEEEDaS1P_S1Q_EUlS1P_E_NS1_11comp_targetILNS1_3genE2ELNS1_11target_archE906ELNS1_3gpuE6ELNS1_3repE0EEENS1_30default_config_static_selectorELNS0_4arch9wavefront6targetE0EEEvS12_: ; @_ZN7rocprim17ROCPRIM_400000_NS6detail17trampoline_kernelINS0_13select_configILj256ELj13ELNS0_17block_load_methodE3ELS4_3ELS4_3ELNS0_20block_scan_algorithmE0ELj4294967295EEENS1_25partition_config_selectorILNS1_17partition_subalgoE4EjNS0_10empty_typeEbEEZZNS1_14partition_implILS8_4ELb0ES6_15HIP_vector_typeIjLj2EENS0_17counting_iteratorIjlEEPS9_SG_NS0_5tupleIJPjSI_NS0_16reverse_iteratorISI_EEEEENSH_IJSG_SG_SG_EEES9_SI_JZNS1_25segmented_radix_sort_implINS0_14default_configELb1EPKiPiPKlPlN2at6native12_GLOBAL__N_18offset_tEEE10hipError_tPvRmT1_PNSt15iterator_traitsIS12_E10value_typeET2_T3_PNS13_IS18_E10value_typeET4_jRbjT5_S1E_jjP12ihipStream_tbEUljE_ZNSN_ISO_Lb1ESQ_SR_ST_SU_SY_EESZ_S10_S11_S12_S16_S17_S18_S1B_S1C_jS1D_jS1E_S1E_jjS1G_bEUljE0_EEESZ_S10_S11_S18_S1C_S1E_T6_T7_T9_mT8_S1G_bDpT10_ENKUlT_T0_E_clISt17integral_constantIbLb0EES1T_IbLb1EEEEDaS1P_S1Q_EUlS1P_E_NS1_11comp_targetILNS1_3genE2ELNS1_11target_archE906ELNS1_3gpuE6ELNS1_3repE0EEENS1_30default_config_static_selectorELNS0_4arch9wavefront6targetE0EEEvS12_
; %bb.0:
	.section	.rodata,"a",@progbits
	.p2align	6, 0x0
	.amdhsa_kernel _ZN7rocprim17ROCPRIM_400000_NS6detail17trampoline_kernelINS0_13select_configILj256ELj13ELNS0_17block_load_methodE3ELS4_3ELS4_3ELNS0_20block_scan_algorithmE0ELj4294967295EEENS1_25partition_config_selectorILNS1_17partition_subalgoE4EjNS0_10empty_typeEbEEZZNS1_14partition_implILS8_4ELb0ES6_15HIP_vector_typeIjLj2EENS0_17counting_iteratorIjlEEPS9_SG_NS0_5tupleIJPjSI_NS0_16reverse_iteratorISI_EEEEENSH_IJSG_SG_SG_EEES9_SI_JZNS1_25segmented_radix_sort_implINS0_14default_configELb1EPKiPiPKlPlN2at6native12_GLOBAL__N_18offset_tEEE10hipError_tPvRmT1_PNSt15iterator_traitsIS12_E10value_typeET2_T3_PNS13_IS18_E10value_typeET4_jRbjT5_S1E_jjP12ihipStream_tbEUljE_ZNSN_ISO_Lb1ESQ_SR_ST_SU_SY_EESZ_S10_S11_S12_S16_S17_S18_S1B_S1C_jS1D_jS1E_S1E_jjS1G_bEUljE0_EEESZ_S10_S11_S18_S1C_S1E_T6_T7_T9_mT8_S1G_bDpT10_ENKUlT_T0_E_clISt17integral_constantIbLb0EES1T_IbLb1EEEEDaS1P_S1Q_EUlS1P_E_NS1_11comp_targetILNS1_3genE2ELNS1_11target_archE906ELNS1_3gpuE6ELNS1_3repE0EEENS1_30default_config_static_selectorELNS0_4arch9wavefront6targetE0EEEvS12_
		.amdhsa_group_segment_fixed_size 0
		.amdhsa_private_segment_fixed_size 0
		.amdhsa_kernarg_size 184
		.amdhsa_user_sgpr_count 2
		.amdhsa_user_sgpr_dispatch_ptr 0
		.amdhsa_user_sgpr_queue_ptr 0
		.amdhsa_user_sgpr_kernarg_segment_ptr 1
		.amdhsa_user_sgpr_dispatch_id 0
		.amdhsa_user_sgpr_private_segment_size 0
		.amdhsa_wavefront_size32 1
		.amdhsa_uses_dynamic_stack 0
		.amdhsa_enable_private_segment 0
		.amdhsa_system_sgpr_workgroup_id_x 1
		.amdhsa_system_sgpr_workgroup_id_y 0
		.amdhsa_system_sgpr_workgroup_id_z 0
		.amdhsa_system_sgpr_workgroup_info 0
		.amdhsa_system_vgpr_workitem_id 0
		.amdhsa_next_free_vgpr 1
		.amdhsa_next_free_sgpr 1
		.amdhsa_reserve_vcc 0
		.amdhsa_float_round_mode_32 0
		.amdhsa_float_round_mode_16_64 0
		.amdhsa_float_denorm_mode_32 3
		.amdhsa_float_denorm_mode_16_64 3
		.amdhsa_fp16_overflow 0
		.amdhsa_workgroup_processor_mode 1
		.amdhsa_memory_ordered 1
		.amdhsa_forward_progress 1
		.amdhsa_inst_pref_size 0
		.amdhsa_round_robin_scheduling 0
		.amdhsa_exception_fp_ieee_invalid_op 0
		.amdhsa_exception_fp_denorm_src 0
		.amdhsa_exception_fp_ieee_div_zero 0
		.amdhsa_exception_fp_ieee_overflow 0
		.amdhsa_exception_fp_ieee_underflow 0
		.amdhsa_exception_fp_ieee_inexact 0
		.amdhsa_exception_int_div_zero 0
	.end_amdhsa_kernel
	.section	.text._ZN7rocprim17ROCPRIM_400000_NS6detail17trampoline_kernelINS0_13select_configILj256ELj13ELNS0_17block_load_methodE3ELS4_3ELS4_3ELNS0_20block_scan_algorithmE0ELj4294967295EEENS1_25partition_config_selectorILNS1_17partition_subalgoE4EjNS0_10empty_typeEbEEZZNS1_14partition_implILS8_4ELb0ES6_15HIP_vector_typeIjLj2EENS0_17counting_iteratorIjlEEPS9_SG_NS0_5tupleIJPjSI_NS0_16reverse_iteratorISI_EEEEENSH_IJSG_SG_SG_EEES9_SI_JZNS1_25segmented_radix_sort_implINS0_14default_configELb1EPKiPiPKlPlN2at6native12_GLOBAL__N_18offset_tEEE10hipError_tPvRmT1_PNSt15iterator_traitsIS12_E10value_typeET2_T3_PNS13_IS18_E10value_typeET4_jRbjT5_S1E_jjP12ihipStream_tbEUljE_ZNSN_ISO_Lb1ESQ_SR_ST_SU_SY_EESZ_S10_S11_S12_S16_S17_S18_S1B_S1C_jS1D_jS1E_S1E_jjS1G_bEUljE0_EEESZ_S10_S11_S18_S1C_S1E_T6_T7_T9_mT8_S1G_bDpT10_ENKUlT_T0_E_clISt17integral_constantIbLb0EES1T_IbLb1EEEEDaS1P_S1Q_EUlS1P_E_NS1_11comp_targetILNS1_3genE2ELNS1_11target_archE906ELNS1_3gpuE6ELNS1_3repE0EEENS1_30default_config_static_selectorELNS0_4arch9wavefront6targetE0EEEvS12_,"axG",@progbits,_ZN7rocprim17ROCPRIM_400000_NS6detail17trampoline_kernelINS0_13select_configILj256ELj13ELNS0_17block_load_methodE3ELS4_3ELS4_3ELNS0_20block_scan_algorithmE0ELj4294967295EEENS1_25partition_config_selectorILNS1_17partition_subalgoE4EjNS0_10empty_typeEbEEZZNS1_14partition_implILS8_4ELb0ES6_15HIP_vector_typeIjLj2EENS0_17counting_iteratorIjlEEPS9_SG_NS0_5tupleIJPjSI_NS0_16reverse_iteratorISI_EEEEENSH_IJSG_SG_SG_EEES9_SI_JZNS1_25segmented_radix_sort_implINS0_14default_configELb1EPKiPiPKlPlN2at6native12_GLOBAL__N_18offset_tEEE10hipError_tPvRmT1_PNSt15iterator_traitsIS12_E10value_typeET2_T3_PNS13_IS18_E10value_typeET4_jRbjT5_S1E_jjP12ihipStream_tbEUljE_ZNSN_ISO_Lb1ESQ_SR_ST_SU_SY_EESZ_S10_S11_S12_S16_S17_S18_S1B_S1C_jS1D_jS1E_S1E_jjS1G_bEUljE0_EEESZ_S10_S11_S18_S1C_S1E_T6_T7_T9_mT8_S1G_bDpT10_ENKUlT_T0_E_clISt17integral_constantIbLb0EES1T_IbLb1EEEEDaS1P_S1Q_EUlS1P_E_NS1_11comp_targetILNS1_3genE2ELNS1_11target_archE906ELNS1_3gpuE6ELNS1_3repE0EEENS1_30default_config_static_selectorELNS0_4arch9wavefront6targetE0EEEvS12_,comdat
.Lfunc_end461:
	.size	_ZN7rocprim17ROCPRIM_400000_NS6detail17trampoline_kernelINS0_13select_configILj256ELj13ELNS0_17block_load_methodE3ELS4_3ELS4_3ELNS0_20block_scan_algorithmE0ELj4294967295EEENS1_25partition_config_selectorILNS1_17partition_subalgoE4EjNS0_10empty_typeEbEEZZNS1_14partition_implILS8_4ELb0ES6_15HIP_vector_typeIjLj2EENS0_17counting_iteratorIjlEEPS9_SG_NS0_5tupleIJPjSI_NS0_16reverse_iteratorISI_EEEEENSH_IJSG_SG_SG_EEES9_SI_JZNS1_25segmented_radix_sort_implINS0_14default_configELb1EPKiPiPKlPlN2at6native12_GLOBAL__N_18offset_tEEE10hipError_tPvRmT1_PNSt15iterator_traitsIS12_E10value_typeET2_T3_PNS13_IS18_E10value_typeET4_jRbjT5_S1E_jjP12ihipStream_tbEUljE_ZNSN_ISO_Lb1ESQ_SR_ST_SU_SY_EESZ_S10_S11_S12_S16_S17_S18_S1B_S1C_jS1D_jS1E_S1E_jjS1G_bEUljE0_EEESZ_S10_S11_S18_S1C_S1E_T6_T7_T9_mT8_S1G_bDpT10_ENKUlT_T0_E_clISt17integral_constantIbLb0EES1T_IbLb1EEEEDaS1P_S1Q_EUlS1P_E_NS1_11comp_targetILNS1_3genE2ELNS1_11target_archE906ELNS1_3gpuE6ELNS1_3repE0EEENS1_30default_config_static_selectorELNS0_4arch9wavefront6targetE0EEEvS12_, .Lfunc_end461-_ZN7rocprim17ROCPRIM_400000_NS6detail17trampoline_kernelINS0_13select_configILj256ELj13ELNS0_17block_load_methodE3ELS4_3ELS4_3ELNS0_20block_scan_algorithmE0ELj4294967295EEENS1_25partition_config_selectorILNS1_17partition_subalgoE4EjNS0_10empty_typeEbEEZZNS1_14partition_implILS8_4ELb0ES6_15HIP_vector_typeIjLj2EENS0_17counting_iteratorIjlEEPS9_SG_NS0_5tupleIJPjSI_NS0_16reverse_iteratorISI_EEEEENSH_IJSG_SG_SG_EEES9_SI_JZNS1_25segmented_radix_sort_implINS0_14default_configELb1EPKiPiPKlPlN2at6native12_GLOBAL__N_18offset_tEEE10hipError_tPvRmT1_PNSt15iterator_traitsIS12_E10value_typeET2_T3_PNS13_IS18_E10value_typeET4_jRbjT5_S1E_jjP12ihipStream_tbEUljE_ZNSN_ISO_Lb1ESQ_SR_ST_SU_SY_EESZ_S10_S11_S12_S16_S17_S18_S1B_S1C_jS1D_jS1E_S1E_jjS1G_bEUljE0_EEESZ_S10_S11_S18_S1C_S1E_T6_T7_T9_mT8_S1G_bDpT10_ENKUlT_T0_E_clISt17integral_constantIbLb0EES1T_IbLb1EEEEDaS1P_S1Q_EUlS1P_E_NS1_11comp_targetILNS1_3genE2ELNS1_11target_archE906ELNS1_3gpuE6ELNS1_3repE0EEENS1_30default_config_static_selectorELNS0_4arch9wavefront6targetE0EEEvS12_
                                        ; -- End function
	.set _ZN7rocprim17ROCPRIM_400000_NS6detail17trampoline_kernelINS0_13select_configILj256ELj13ELNS0_17block_load_methodE3ELS4_3ELS4_3ELNS0_20block_scan_algorithmE0ELj4294967295EEENS1_25partition_config_selectorILNS1_17partition_subalgoE4EjNS0_10empty_typeEbEEZZNS1_14partition_implILS8_4ELb0ES6_15HIP_vector_typeIjLj2EENS0_17counting_iteratorIjlEEPS9_SG_NS0_5tupleIJPjSI_NS0_16reverse_iteratorISI_EEEEENSH_IJSG_SG_SG_EEES9_SI_JZNS1_25segmented_radix_sort_implINS0_14default_configELb1EPKiPiPKlPlN2at6native12_GLOBAL__N_18offset_tEEE10hipError_tPvRmT1_PNSt15iterator_traitsIS12_E10value_typeET2_T3_PNS13_IS18_E10value_typeET4_jRbjT5_S1E_jjP12ihipStream_tbEUljE_ZNSN_ISO_Lb1ESQ_SR_ST_SU_SY_EESZ_S10_S11_S12_S16_S17_S18_S1B_S1C_jS1D_jS1E_S1E_jjS1G_bEUljE0_EEESZ_S10_S11_S18_S1C_S1E_T6_T7_T9_mT8_S1G_bDpT10_ENKUlT_T0_E_clISt17integral_constantIbLb0EES1T_IbLb1EEEEDaS1P_S1Q_EUlS1P_E_NS1_11comp_targetILNS1_3genE2ELNS1_11target_archE906ELNS1_3gpuE6ELNS1_3repE0EEENS1_30default_config_static_selectorELNS0_4arch9wavefront6targetE0EEEvS12_.num_vgpr, 0
	.set _ZN7rocprim17ROCPRIM_400000_NS6detail17trampoline_kernelINS0_13select_configILj256ELj13ELNS0_17block_load_methodE3ELS4_3ELS4_3ELNS0_20block_scan_algorithmE0ELj4294967295EEENS1_25partition_config_selectorILNS1_17partition_subalgoE4EjNS0_10empty_typeEbEEZZNS1_14partition_implILS8_4ELb0ES6_15HIP_vector_typeIjLj2EENS0_17counting_iteratorIjlEEPS9_SG_NS0_5tupleIJPjSI_NS0_16reverse_iteratorISI_EEEEENSH_IJSG_SG_SG_EEES9_SI_JZNS1_25segmented_radix_sort_implINS0_14default_configELb1EPKiPiPKlPlN2at6native12_GLOBAL__N_18offset_tEEE10hipError_tPvRmT1_PNSt15iterator_traitsIS12_E10value_typeET2_T3_PNS13_IS18_E10value_typeET4_jRbjT5_S1E_jjP12ihipStream_tbEUljE_ZNSN_ISO_Lb1ESQ_SR_ST_SU_SY_EESZ_S10_S11_S12_S16_S17_S18_S1B_S1C_jS1D_jS1E_S1E_jjS1G_bEUljE0_EEESZ_S10_S11_S18_S1C_S1E_T6_T7_T9_mT8_S1G_bDpT10_ENKUlT_T0_E_clISt17integral_constantIbLb0EES1T_IbLb1EEEEDaS1P_S1Q_EUlS1P_E_NS1_11comp_targetILNS1_3genE2ELNS1_11target_archE906ELNS1_3gpuE6ELNS1_3repE0EEENS1_30default_config_static_selectorELNS0_4arch9wavefront6targetE0EEEvS12_.num_agpr, 0
	.set _ZN7rocprim17ROCPRIM_400000_NS6detail17trampoline_kernelINS0_13select_configILj256ELj13ELNS0_17block_load_methodE3ELS4_3ELS4_3ELNS0_20block_scan_algorithmE0ELj4294967295EEENS1_25partition_config_selectorILNS1_17partition_subalgoE4EjNS0_10empty_typeEbEEZZNS1_14partition_implILS8_4ELb0ES6_15HIP_vector_typeIjLj2EENS0_17counting_iteratorIjlEEPS9_SG_NS0_5tupleIJPjSI_NS0_16reverse_iteratorISI_EEEEENSH_IJSG_SG_SG_EEES9_SI_JZNS1_25segmented_radix_sort_implINS0_14default_configELb1EPKiPiPKlPlN2at6native12_GLOBAL__N_18offset_tEEE10hipError_tPvRmT1_PNSt15iterator_traitsIS12_E10value_typeET2_T3_PNS13_IS18_E10value_typeET4_jRbjT5_S1E_jjP12ihipStream_tbEUljE_ZNSN_ISO_Lb1ESQ_SR_ST_SU_SY_EESZ_S10_S11_S12_S16_S17_S18_S1B_S1C_jS1D_jS1E_S1E_jjS1G_bEUljE0_EEESZ_S10_S11_S18_S1C_S1E_T6_T7_T9_mT8_S1G_bDpT10_ENKUlT_T0_E_clISt17integral_constantIbLb0EES1T_IbLb1EEEEDaS1P_S1Q_EUlS1P_E_NS1_11comp_targetILNS1_3genE2ELNS1_11target_archE906ELNS1_3gpuE6ELNS1_3repE0EEENS1_30default_config_static_selectorELNS0_4arch9wavefront6targetE0EEEvS12_.numbered_sgpr, 0
	.set _ZN7rocprim17ROCPRIM_400000_NS6detail17trampoline_kernelINS0_13select_configILj256ELj13ELNS0_17block_load_methodE3ELS4_3ELS4_3ELNS0_20block_scan_algorithmE0ELj4294967295EEENS1_25partition_config_selectorILNS1_17partition_subalgoE4EjNS0_10empty_typeEbEEZZNS1_14partition_implILS8_4ELb0ES6_15HIP_vector_typeIjLj2EENS0_17counting_iteratorIjlEEPS9_SG_NS0_5tupleIJPjSI_NS0_16reverse_iteratorISI_EEEEENSH_IJSG_SG_SG_EEES9_SI_JZNS1_25segmented_radix_sort_implINS0_14default_configELb1EPKiPiPKlPlN2at6native12_GLOBAL__N_18offset_tEEE10hipError_tPvRmT1_PNSt15iterator_traitsIS12_E10value_typeET2_T3_PNS13_IS18_E10value_typeET4_jRbjT5_S1E_jjP12ihipStream_tbEUljE_ZNSN_ISO_Lb1ESQ_SR_ST_SU_SY_EESZ_S10_S11_S12_S16_S17_S18_S1B_S1C_jS1D_jS1E_S1E_jjS1G_bEUljE0_EEESZ_S10_S11_S18_S1C_S1E_T6_T7_T9_mT8_S1G_bDpT10_ENKUlT_T0_E_clISt17integral_constantIbLb0EES1T_IbLb1EEEEDaS1P_S1Q_EUlS1P_E_NS1_11comp_targetILNS1_3genE2ELNS1_11target_archE906ELNS1_3gpuE6ELNS1_3repE0EEENS1_30default_config_static_selectorELNS0_4arch9wavefront6targetE0EEEvS12_.num_named_barrier, 0
	.set _ZN7rocprim17ROCPRIM_400000_NS6detail17trampoline_kernelINS0_13select_configILj256ELj13ELNS0_17block_load_methodE3ELS4_3ELS4_3ELNS0_20block_scan_algorithmE0ELj4294967295EEENS1_25partition_config_selectorILNS1_17partition_subalgoE4EjNS0_10empty_typeEbEEZZNS1_14partition_implILS8_4ELb0ES6_15HIP_vector_typeIjLj2EENS0_17counting_iteratorIjlEEPS9_SG_NS0_5tupleIJPjSI_NS0_16reverse_iteratorISI_EEEEENSH_IJSG_SG_SG_EEES9_SI_JZNS1_25segmented_radix_sort_implINS0_14default_configELb1EPKiPiPKlPlN2at6native12_GLOBAL__N_18offset_tEEE10hipError_tPvRmT1_PNSt15iterator_traitsIS12_E10value_typeET2_T3_PNS13_IS18_E10value_typeET4_jRbjT5_S1E_jjP12ihipStream_tbEUljE_ZNSN_ISO_Lb1ESQ_SR_ST_SU_SY_EESZ_S10_S11_S12_S16_S17_S18_S1B_S1C_jS1D_jS1E_S1E_jjS1G_bEUljE0_EEESZ_S10_S11_S18_S1C_S1E_T6_T7_T9_mT8_S1G_bDpT10_ENKUlT_T0_E_clISt17integral_constantIbLb0EES1T_IbLb1EEEEDaS1P_S1Q_EUlS1P_E_NS1_11comp_targetILNS1_3genE2ELNS1_11target_archE906ELNS1_3gpuE6ELNS1_3repE0EEENS1_30default_config_static_selectorELNS0_4arch9wavefront6targetE0EEEvS12_.private_seg_size, 0
	.set _ZN7rocprim17ROCPRIM_400000_NS6detail17trampoline_kernelINS0_13select_configILj256ELj13ELNS0_17block_load_methodE3ELS4_3ELS4_3ELNS0_20block_scan_algorithmE0ELj4294967295EEENS1_25partition_config_selectorILNS1_17partition_subalgoE4EjNS0_10empty_typeEbEEZZNS1_14partition_implILS8_4ELb0ES6_15HIP_vector_typeIjLj2EENS0_17counting_iteratorIjlEEPS9_SG_NS0_5tupleIJPjSI_NS0_16reverse_iteratorISI_EEEEENSH_IJSG_SG_SG_EEES9_SI_JZNS1_25segmented_radix_sort_implINS0_14default_configELb1EPKiPiPKlPlN2at6native12_GLOBAL__N_18offset_tEEE10hipError_tPvRmT1_PNSt15iterator_traitsIS12_E10value_typeET2_T3_PNS13_IS18_E10value_typeET4_jRbjT5_S1E_jjP12ihipStream_tbEUljE_ZNSN_ISO_Lb1ESQ_SR_ST_SU_SY_EESZ_S10_S11_S12_S16_S17_S18_S1B_S1C_jS1D_jS1E_S1E_jjS1G_bEUljE0_EEESZ_S10_S11_S18_S1C_S1E_T6_T7_T9_mT8_S1G_bDpT10_ENKUlT_T0_E_clISt17integral_constantIbLb0EES1T_IbLb1EEEEDaS1P_S1Q_EUlS1P_E_NS1_11comp_targetILNS1_3genE2ELNS1_11target_archE906ELNS1_3gpuE6ELNS1_3repE0EEENS1_30default_config_static_selectorELNS0_4arch9wavefront6targetE0EEEvS12_.uses_vcc, 0
	.set _ZN7rocprim17ROCPRIM_400000_NS6detail17trampoline_kernelINS0_13select_configILj256ELj13ELNS0_17block_load_methodE3ELS4_3ELS4_3ELNS0_20block_scan_algorithmE0ELj4294967295EEENS1_25partition_config_selectorILNS1_17partition_subalgoE4EjNS0_10empty_typeEbEEZZNS1_14partition_implILS8_4ELb0ES6_15HIP_vector_typeIjLj2EENS0_17counting_iteratorIjlEEPS9_SG_NS0_5tupleIJPjSI_NS0_16reverse_iteratorISI_EEEEENSH_IJSG_SG_SG_EEES9_SI_JZNS1_25segmented_radix_sort_implINS0_14default_configELb1EPKiPiPKlPlN2at6native12_GLOBAL__N_18offset_tEEE10hipError_tPvRmT1_PNSt15iterator_traitsIS12_E10value_typeET2_T3_PNS13_IS18_E10value_typeET4_jRbjT5_S1E_jjP12ihipStream_tbEUljE_ZNSN_ISO_Lb1ESQ_SR_ST_SU_SY_EESZ_S10_S11_S12_S16_S17_S18_S1B_S1C_jS1D_jS1E_S1E_jjS1G_bEUljE0_EEESZ_S10_S11_S18_S1C_S1E_T6_T7_T9_mT8_S1G_bDpT10_ENKUlT_T0_E_clISt17integral_constantIbLb0EES1T_IbLb1EEEEDaS1P_S1Q_EUlS1P_E_NS1_11comp_targetILNS1_3genE2ELNS1_11target_archE906ELNS1_3gpuE6ELNS1_3repE0EEENS1_30default_config_static_selectorELNS0_4arch9wavefront6targetE0EEEvS12_.uses_flat_scratch, 0
	.set _ZN7rocprim17ROCPRIM_400000_NS6detail17trampoline_kernelINS0_13select_configILj256ELj13ELNS0_17block_load_methodE3ELS4_3ELS4_3ELNS0_20block_scan_algorithmE0ELj4294967295EEENS1_25partition_config_selectorILNS1_17partition_subalgoE4EjNS0_10empty_typeEbEEZZNS1_14partition_implILS8_4ELb0ES6_15HIP_vector_typeIjLj2EENS0_17counting_iteratorIjlEEPS9_SG_NS0_5tupleIJPjSI_NS0_16reverse_iteratorISI_EEEEENSH_IJSG_SG_SG_EEES9_SI_JZNS1_25segmented_radix_sort_implINS0_14default_configELb1EPKiPiPKlPlN2at6native12_GLOBAL__N_18offset_tEEE10hipError_tPvRmT1_PNSt15iterator_traitsIS12_E10value_typeET2_T3_PNS13_IS18_E10value_typeET4_jRbjT5_S1E_jjP12ihipStream_tbEUljE_ZNSN_ISO_Lb1ESQ_SR_ST_SU_SY_EESZ_S10_S11_S12_S16_S17_S18_S1B_S1C_jS1D_jS1E_S1E_jjS1G_bEUljE0_EEESZ_S10_S11_S18_S1C_S1E_T6_T7_T9_mT8_S1G_bDpT10_ENKUlT_T0_E_clISt17integral_constantIbLb0EES1T_IbLb1EEEEDaS1P_S1Q_EUlS1P_E_NS1_11comp_targetILNS1_3genE2ELNS1_11target_archE906ELNS1_3gpuE6ELNS1_3repE0EEENS1_30default_config_static_selectorELNS0_4arch9wavefront6targetE0EEEvS12_.has_dyn_sized_stack, 0
	.set _ZN7rocprim17ROCPRIM_400000_NS6detail17trampoline_kernelINS0_13select_configILj256ELj13ELNS0_17block_load_methodE3ELS4_3ELS4_3ELNS0_20block_scan_algorithmE0ELj4294967295EEENS1_25partition_config_selectorILNS1_17partition_subalgoE4EjNS0_10empty_typeEbEEZZNS1_14partition_implILS8_4ELb0ES6_15HIP_vector_typeIjLj2EENS0_17counting_iteratorIjlEEPS9_SG_NS0_5tupleIJPjSI_NS0_16reverse_iteratorISI_EEEEENSH_IJSG_SG_SG_EEES9_SI_JZNS1_25segmented_radix_sort_implINS0_14default_configELb1EPKiPiPKlPlN2at6native12_GLOBAL__N_18offset_tEEE10hipError_tPvRmT1_PNSt15iterator_traitsIS12_E10value_typeET2_T3_PNS13_IS18_E10value_typeET4_jRbjT5_S1E_jjP12ihipStream_tbEUljE_ZNSN_ISO_Lb1ESQ_SR_ST_SU_SY_EESZ_S10_S11_S12_S16_S17_S18_S1B_S1C_jS1D_jS1E_S1E_jjS1G_bEUljE0_EEESZ_S10_S11_S18_S1C_S1E_T6_T7_T9_mT8_S1G_bDpT10_ENKUlT_T0_E_clISt17integral_constantIbLb0EES1T_IbLb1EEEEDaS1P_S1Q_EUlS1P_E_NS1_11comp_targetILNS1_3genE2ELNS1_11target_archE906ELNS1_3gpuE6ELNS1_3repE0EEENS1_30default_config_static_selectorELNS0_4arch9wavefront6targetE0EEEvS12_.has_recursion, 0
	.set _ZN7rocprim17ROCPRIM_400000_NS6detail17trampoline_kernelINS0_13select_configILj256ELj13ELNS0_17block_load_methodE3ELS4_3ELS4_3ELNS0_20block_scan_algorithmE0ELj4294967295EEENS1_25partition_config_selectorILNS1_17partition_subalgoE4EjNS0_10empty_typeEbEEZZNS1_14partition_implILS8_4ELb0ES6_15HIP_vector_typeIjLj2EENS0_17counting_iteratorIjlEEPS9_SG_NS0_5tupleIJPjSI_NS0_16reverse_iteratorISI_EEEEENSH_IJSG_SG_SG_EEES9_SI_JZNS1_25segmented_radix_sort_implINS0_14default_configELb1EPKiPiPKlPlN2at6native12_GLOBAL__N_18offset_tEEE10hipError_tPvRmT1_PNSt15iterator_traitsIS12_E10value_typeET2_T3_PNS13_IS18_E10value_typeET4_jRbjT5_S1E_jjP12ihipStream_tbEUljE_ZNSN_ISO_Lb1ESQ_SR_ST_SU_SY_EESZ_S10_S11_S12_S16_S17_S18_S1B_S1C_jS1D_jS1E_S1E_jjS1G_bEUljE0_EEESZ_S10_S11_S18_S1C_S1E_T6_T7_T9_mT8_S1G_bDpT10_ENKUlT_T0_E_clISt17integral_constantIbLb0EES1T_IbLb1EEEEDaS1P_S1Q_EUlS1P_E_NS1_11comp_targetILNS1_3genE2ELNS1_11target_archE906ELNS1_3gpuE6ELNS1_3repE0EEENS1_30default_config_static_selectorELNS0_4arch9wavefront6targetE0EEEvS12_.has_indirect_call, 0
	.section	.AMDGPU.csdata,"",@progbits
; Kernel info:
; codeLenInByte = 0
; TotalNumSgprs: 0
; NumVgprs: 0
; ScratchSize: 0
; MemoryBound: 0
; FloatMode: 240
; IeeeMode: 1
; LDSByteSize: 0 bytes/workgroup (compile time only)
; SGPRBlocks: 0
; VGPRBlocks: 0
; NumSGPRsForWavesPerEU: 1
; NumVGPRsForWavesPerEU: 1
; Occupancy: 16
; WaveLimiterHint : 0
; COMPUTE_PGM_RSRC2:SCRATCH_EN: 0
; COMPUTE_PGM_RSRC2:USER_SGPR: 2
; COMPUTE_PGM_RSRC2:TRAP_HANDLER: 0
; COMPUTE_PGM_RSRC2:TGID_X_EN: 1
; COMPUTE_PGM_RSRC2:TGID_Y_EN: 0
; COMPUTE_PGM_RSRC2:TGID_Z_EN: 0
; COMPUTE_PGM_RSRC2:TIDIG_COMP_CNT: 0
	.section	.text._ZN7rocprim17ROCPRIM_400000_NS6detail17trampoline_kernelINS0_13select_configILj256ELj13ELNS0_17block_load_methodE3ELS4_3ELS4_3ELNS0_20block_scan_algorithmE0ELj4294967295EEENS1_25partition_config_selectorILNS1_17partition_subalgoE4EjNS0_10empty_typeEbEEZZNS1_14partition_implILS8_4ELb0ES6_15HIP_vector_typeIjLj2EENS0_17counting_iteratorIjlEEPS9_SG_NS0_5tupleIJPjSI_NS0_16reverse_iteratorISI_EEEEENSH_IJSG_SG_SG_EEES9_SI_JZNS1_25segmented_radix_sort_implINS0_14default_configELb1EPKiPiPKlPlN2at6native12_GLOBAL__N_18offset_tEEE10hipError_tPvRmT1_PNSt15iterator_traitsIS12_E10value_typeET2_T3_PNS13_IS18_E10value_typeET4_jRbjT5_S1E_jjP12ihipStream_tbEUljE_ZNSN_ISO_Lb1ESQ_SR_ST_SU_SY_EESZ_S10_S11_S12_S16_S17_S18_S1B_S1C_jS1D_jS1E_S1E_jjS1G_bEUljE0_EEESZ_S10_S11_S18_S1C_S1E_T6_T7_T9_mT8_S1G_bDpT10_ENKUlT_T0_E_clISt17integral_constantIbLb0EES1T_IbLb1EEEEDaS1P_S1Q_EUlS1P_E_NS1_11comp_targetILNS1_3genE10ELNS1_11target_archE1200ELNS1_3gpuE4ELNS1_3repE0EEENS1_30default_config_static_selectorELNS0_4arch9wavefront6targetE0EEEvS12_,"axG",@progbits,_ZN7rocprim17ROCPRIM_400000_NS6detail17trampoline_kernelINS0_13select_configILj256ELj13ELNS0_17block_load_methodE3ELS4_3ELS4_3ELNS0_20block_scan_algorithmE0ELj4294967295EEENS1_25partition_config_selectorILNS1_17partition_subalgoE4EjNS0_10empty_typeEbEEZZNS1_14partition_implILS8_4ELb0ES6_15HIP_vector_typeIjLj2EENS0_17counting_iteratorIjlEEPS9_SG_NS0_5tupleIJPjSI_NS0_16reverse_iteratorISI_EEEEENSH_IJSG_SG_SG_EEES9_SI_JZNS1_25segmented_radix_sort_implINS0_14default_configELb1EPKiPiPKlPlN2at6native12_GLOBAL__N_18offset_tEEE10hipError_tPvRmT1_PNSt15iterator_traitsIS12_E10value_typeET2_T3_PNS13_IS18_E10value_typeET4_jRbjT5_S1E_jjP12ihipStream_tbEUljE_ZNSN_ISO_Lb1ESQ_SR_ST_SU_SY_EESZ_S10_S11_S12_S16_S17_S18_S1B_S1C_jS1D_jS1E_S1E_jjS1G_bEUljE0_EEESZ_S10_S11_S18_S1C_S1E_T6_T7_T9_mT8_S1G_bDpT10_ENKUlT_T0_E_clISt17integral_constantIbLb0EES1T_IbLb1EEEEDaS1P_S1Q_EUlS1P_E_NS1_11comp_targetILNS1_3genE10ELNS1_11target_archE1200ELNS1_3gpuE4ELNS1_3repE0EEENS1_30default_config_static_selectorELNS0_4arch9wavefront6targetE0EEEvS12_,comdat
	.globl	_ZN7rocprim17ROCPRIM_400000_NS6detail17trampoline_kernelINS0_13select_configILj256ELj13ELNS0_17block_load_methodE3ELS4_3ELS4_3ELNS0_20block_scan_algorithmE0ELj4294967295EEENS1_25partition_config_selectorILNS1_17partition_subalgoE4EjNS0_10empty_typeEbEEZZNS1_14partition_implILS8_4ELb0ES6_15HIP_vector_typeIjLj2EENS0_17counting_iteratorIjlEEPS9_SG_NS0_5tupleIJPjSI_NS0_16reverse_iteratorISI_EEEEENSH_IJSG_SG_SG_EEES9_SI_JZNS1_25segmented_radix_sort_implINS0_14default_configELb1EPKiPiPKlPlN2at6native12_GLOBAL__N_18offset_tEEE10hipError_tPvRmT1_PNSt15iterator_traitsIS12_E10value_typeET2_T3_PNS13_IS18_E10value_typeET4_jRbjT5_S1E_jjP12ihipStream_tbEUljE_ZNSN_ISO_Lb1ESQ_SR_ST_SU_SY_EESZ_S10_S11_S12_S16_S17_S18_S1B_S1C_jS1D_jS1E_S1E_jjS1G_bEUljE0_EEESZ_S10_S11_S18_S1C_S1E_T6_T7_T9_mT8_S1G_bDpT10_ENKUlT_T0_E_clISt17integral_constantIbLb0EES1T_IbLb1EEEEDaS1P_S1Q_EUlS1P_E_NS1_11comp_targetILNS1_3genE10ELNS1_11target_archE1200ELNS1_3gpuE4ELNS1_3repE0EEENS1_30default_config_static_selectorELNS0_4arch9wavefront6targetE0EEEvS12_ ; -- Begin function _ZN7rocprim17ROCPRIM_400000_NS6detail17trampoline_kernelINS0_13select_configILj256ELj13ELNS0_17block_load_methodE3ELS4_3ELS4_3ELNS0_20block_scan_algorithmE0ELj4294967295EEENS1_25partition_config_selectorILNS1_17partition_subalgoE4EjNS0_10empty_typeEbEEZZNS1_14partition_implILS8_4ELb0ES6_15HIP_vector_typeIjLj2EENS0_17counting_iteratorIjlEEPS9_SG_NS0_5tupleIJPjSI_NS0_16reverse_iteratorISI_EEEEENSH_IJSG_SG_SG_EEES9_SI_JZNS1_25segmented_radix_sort_implINS0_14default_configELb1EPKiPiPKlPlN2at6native12_GLOBAL__N_18offset_tEEE10hipError_tPvRmT1_PNSt15iterator_traitsIS12_E10value_typeET2_T3_PNS13_IS18_E10value_typeET4_jRbjT5_S1E_jjP12ihipStream_tbEUljE_ZNSN_ISO_Lb1ESQ_SR_ST_SU_SY_EESZ_S10_S11_S12_S16_S17_S18_S1B_S1C_jS1D_jS1E_S1E_jjS1G_bEUljE0_EEESZ_S10_S11_S18_S1C_S1E_T6_T7_T9_mT8_S1G_bDpT10_ENKUlT_T0_E_clISt17integral_constantIbLb0EES1T_IbLb1EEEEDaS1P_S1Q_EUlS1P_E_NS1_11comp_targetILNS1_3genE10ELNS1_11target_archE1200ELNS1_3gpuE4ELNS1_3repE0EEENS1_30default_config_static_selectorELNS0_4arch9wavefront6targetE0EEEvS12_
	.p2align	8
	.type	_ZN7rocprim17ROCPRIM_400000_NS6detail17trampoline_kernelINS0_13select_configILj256ELj13ELNS0_17block_load_methodE3ELS4_3ELS4_3ELNS0_20block_scan_algorithmE0ELj4294967295EEENS1_25partition_config_selectorILNS1_17partition_subalgoE4EjNS0_10empty_typeEbEEZZNS1_14partition_implILS8_4ELb0ES6_15HIP_vector_typeIjLj2EENS0_17counting_iteratorIjlEEPS9_SG_NS0_5tupleIJPjSI_NS0_16reverse_iteratorISI_EEEEENSH_IJSG_SG_SG_EEES9_SI_JZNS1_25segmented_radix_sort_implINS0_14default_configELb1EPKiPiPKlPlN2at6native12_GLOBAL__N_18offset_tEEE10hipError_tPvRmT1_PNSt15iterator_traitsIS12_E10value_typeET2_T3_PNS13_IS18_E10value_typeET4_jRbjT5_S1E_jjP12ihipStream_tbEUljE_ZNSN_ISO_Lb1ESQ_SR_ST_SU_SY_EESZ_S10_S11_S12_S16_S17_S18_S1B_S1C_jS1D_jS1E_S1E_jjS1G_bEUljE0_EEESZ_S10_S11_S18_S1C_S1E_T6_T7_T9_mT8_S1G_bDpT10_ENKUlT_T0_E_clISt17integral_constantIbLb0EES1T_IbLb1EEEEDaS1P_S1Q_EUlS1P_E_NS1_11comp_targetILNS1_3genE10ELNS1_11target_archE1200ELNS1_3gpuE4ELNS1_3repE0EEENS1_30default_config_static_selectorELNS0_4arch9wavefront6targetE0EEEvS12_,@function
_ZN7rocprim17ROCPRIM_400000_NS6detail17trampoline_kernelINS0_13select_configILj256ELj13ELNS0_17block_load_methodE3ELS4_3ELS4_3ELNS0_20block_scan_algorithmE0ELj4294967295EEENS1_25partition_config_selectorILNS1_17partition_subalgoE4EjNS0_10empty_typeEbEEZZNS1_14partition_implILS8_4ELb0ES6_15HIP_vector_typeIjLj2EENS0_17counting_iteratorIjlEEPS9_SG_NS0_5tupleIJPjSI_NS0_16reverse_iteratorISI_EEEEENSH_IJSG_SG_SG_EEES9_SI_JZNS1_25segmented_radix_sort_implINS0_14default_configELb1EPKiPiPKlPlN2at6native12_GLOBAL__N_18offset_tEEE10hipError_tPvRmT1_PNSt15iterator_traitsIS12_E10value_typeET2_T3_PNS13_IS18_E10value_typeET4_jRbjT5_S1E_jjP12ihipStream_tbEUljE_ZNSN_ISO_Lb1ESQ_SR_ST_SU_SY_EESZ_S10_S11_S12_S16_S17_S18_S1B_S1C_jS1D_jS1E_S1E_jjS1G_bEUljE0_EEESZ_S10_S11_S18_S1C_S1E_T6_T7_T9_mT8_S1G_bDpT10_ENKUlT_T0_E_clISt17integral_constantIbLb0EES1T_IbLb1EEEEDaS1P_S1Q_EUlS1P_E_NS1_11comp_targetILNS1_3genE10ELNS1_11target_archE1200ELNS1_3gpuE4ELNS1_3repE0EEENS1_30default_config_static_selectorELNS0_4arch9wavefront6targetE0EEEvS12_: ; @_ZN7rocprim17ROCPRIM_400000_NS6detail17trampoline_kernelINS0_13select_configILj256ELj13ELNS0_17block_load_methodE3ELS4_3ELS4_3ELNS0_20block_scan_algorithmE0ELj4294967295EEENS1_25partition_config_selectorILNS1_17partition_subalgoE4EjNS0_10empty_typeEbEEZZNS1_14partition_implILS8_4ELb0ES6_15HIP_vector_typeIjLj2EENS0_17counting_iteratorIjlEEPS9_SG_NS0_5tupleIJPjSI_NS0_16reverse_iteratorISI_EEEEENSH_IJSG_SG_SG_EEES9_SI_JZNS1_25segmented_radix_sort_implINS0_14default_configELb1EPKiPiPKlPlN2at6native12_GLOBAL__N_18offset_tEEE10hipError_tPvRmT1_PNSt15iterator_traitsIS12_E10value_typeET2_T3_PNS13_IS18_E10value_typeET4_jRbjT5_S1E_jjP12ihipStream_tbEUljE_ZNSN_ISO_Lb1ESQ_SR_ST_SU_SY_EESZ_S10_S11_S12_S16_S17_S18_S1B_S1C_jS1D_jS1E_S1E_jjS1G_bEUljE0_EEESZ_S10_S11_S18_S1C_S1E_T6_T7_T9_mT8_S1G_bDpT10_ENKUlT_T0_E_clISt17integral_constantIbLb0EES1T_IbLb1EEEEDaS1P_S1Q_EUlS1P_E_NS1_11comp_targetILNS1_3genE10ELNS1_11target_archE1200ELNS1_3gpuE4ELNS1_3repE0EEENS1_30default_config_static_selectorELNS0_4arch9wavefront6targetE0EEEvS12_
; %bb.0:
	s_clause 0x7
	s_load_b64 s[34:35], s[0:1], 0x10
	s_load_b128 s[28:31], s[0:1], 0x28
	s_load_b64 s[14:15], s[0:1], 0x38
	s_load_b128 s[24:27], s[0:1], 0x58
	s_load_b64 s[4:5], s[0:1], 0x68
	s_load_b64 s[36:37], s[0:1], 0x78
	s_load_b64 s[38:39], s[0:1], 0xb0
	s_load_b256 s[16:23], s[0:1], 0x90
	v_cmp_eq_u32_e64 s2, 0, v0
	s_and_saveexec_b32 s3, s2
	s_cbranch_execz .LBB462_4
; %bb.1:
	s_mov_b32 s7, exec_lo
	s_mov_b32 s6, exec_lo
	v_mbcnt_lo_u32_b32 v1, s7, 0
                                        ; implicit-def: $vgpr2
	s_delay_alu instid0(VALU_DEP_1)
	v_cmpx_eq_u32_e32 0, v1
	s_cbranch_execz .LBB462_3
; %bb.2:
	s_load_b64 s[8:9], s[0:1], 0x88
	s_bcnt1_i32_b32 s7, s7
	s_wait_alu 0xfffe
	v_dual_mov_b32 v2, 0 :: v_dual_mov_b32 v3, s7
	s_wait_kmcnt 0x0
	global_atomic_add_u32 v2, v2, v3, s[8:9] th:TH_ATOMIC_RETURN scope:SCOPE_DEV
.LBB462_3:
	s_or_b32 exec_lo, exec_lo, s6
	s_wait_loadcnt 0x0
	v_readfirstlane_b32 s6, v2
	s_wait_alu 0xf1ff
	s_delay_alu instid0(VALU_DEP_1)
	v_dual_mov_b32 v2, 0 :: v_dual_add_nc_u32 v1, s6, v1
	ds_store_b32 v2, v1
.LBB462_4:
	s_or_b32 exec_lo, exec_lo, s3
	v_mov_b32_e32 v1, 0
	s_clause 0x1
	s_load_b32 s3, s[0:1], 0x8
	s_load_b32 s0, s[0:1], 0x80
	s_wait_dscnt 0x0
	s_barrier_signal -1
	s_barrier_wait -1
	global_inv scope:SCOPE_SE
	ds_load_b32 v5, v1
	s_wait_loadcnt_dscnt 0x0
	s_barrier_signal -1
	s_barrier_wait -1
	global_inv scope:SCOPE_SE
	s_wait_kmcnt 0x0
	global_load_b128 v[1:4], v1, s[26:27]
	s_mov_b32 s1, 0
	s_add_co_i32 s3, s3, s34
	s_add_co_i32 s6, s0, -1
	s_mulk_i32 s0, 0xd00
	s_delay_alu instid0(SALU_CYCLE_1)
	s_add_co_i32 s7, s0, s34
	s_add_nc_u64 s[0:1], s[34:35], s[0:1]
	v_readfirstlane_b32 s33, v5
	v_cmp_gt_u64_e64 s0, s[4:5], s[0:1]
	s_wait_alu 0xfffe
	s_sub_co_i32 s27, s4, s7
	v_cmp_ne_u32_e32 vcc_lo, s6, v5
	v_mul_lo_u32 v43, 0xd00, v5
	s_addk_co_i32 s27, 0xd00
	s_cmp_eq_u32 s33, s6
	s_mov_b32 s4, -1
	s_cselect_b32 s26, -1, 0
	s_or_b32 s1, s0, vcc_lo
	s_wait_alu 0xfffe
	s_and_b32 vcc_lo, exec_lo, s1
	s_cbranch_vccz .LBB462_6
; %bb.5:
	v_add3_u32 v5, v43, s3, v0
	v_lshlrev_b32_e32 v14, 2, v0
	s_mov_b32 s4, 0
	s_delay_alu instid0(VALU_DEP_2)
	v_add_nc_u32_e32 v6, 0x100, v5
	v_add_nc_u32_e32 v7, 0x200, v5
	;; [unrolled: 1-line block ×12, first 2 shown]
	ds_store_2addr_stride64_b32 v14, v5, v6 offset1:4
	ds_store_2addr_stride64_b32 v14, v7, v8 offset0:8 offset1:12
	ds_store_2addr_stride64_b32 v14, v9, v10 offset0:16 offset1:20
	;; [unrolled: 1-line block ×5, first 2 shown]
	ds_store_b32 v14, v18 offset:12288
	s_wait_loadcnt_dscnt 0x0
	s_barrier_signal -1
	s_barrier_wait -1
.LBB462_6:
	v_cmp_gt_u32_e64 s0, s27, v0
	v_or_b32_e32 v42, 0x100, v0
	v_or_b32_e32 v41, 0x200, v0
	;; [unrolled: 1-line block ×12, first 2 shown]
	s_wait_alu 0xfffe
	s_and_not1_b32 vcc_lo, exec_lo, s4
	s_cbranch_vccnz .LBB462_8
; %bb.7:
	v_add_nc_u32_e32 v5, s3, v43
	v_cmp_gt_u32_e32 vcc_lo, s27, v42
	s_delay_alu instid0(VALU_DEP_2) | instskip(NEXT) | instid1(VALU_DEP_1)
	v_add_nc_u32_e32 v7, v5, v42
	v_dual_cndmask_b32 v7, 0, v7 :: v_dual_add_nc_u32 v8, v5, v41
	v_cmp_gt_u32_e32 vcc_lo, s27, v41
	s_wait_alu 0xfffd
	s_delay_alu instid0(VALU_DEP_2)
	v_cndmask_b32_e32 v8, 0, v8, vcc_lo
	v_cmp_gt_u32_e32 vcc_lo, s27, v40
	v_add_nc_u32_e32 v17, v5, v32
	v_add_nc_u32_e32 v14, v5, v35
	;; [unrolled: 1-line block ×9, first 2 shown]
	s_wait_alu 0xfffd
	v_cndmask_b32_e32 v9, 0, v9, vcc_lo
	v_cmp_gt_u32_e32 vcc_lo, s27, v39
	v_cndmask_b32_e64 v6, 0, v6, s0
	s_wait_alu 0xfffd
	v_cndmask_b32_e32 v10, 0, v10, vcc_lo
	v_cmp_gt_u32_e32 vcc_lo, s27, v38
	v_add_nc_u32_e32 v12, v5, v37
	v_add_nc_u32_e32 v5, v5, v31
	s_wait_alu 0xfffd
	v_cndmask_b32_e32 v11, 0, v11, vcc_lo
	v_cmp_gt_u32_e32 vcc_lo, s27, v37
	s_wait_alu 0xfffd
	v_cndmask_b32_e32 v12, 0, v12, vcc_lo
	v_cmp_gt_u32_e32 vcc_lo, s27, v36
	;; [unrolled: 3-line block ×7, first 2 shown]
	s_wait_alu 0xfffd
	v_dual_cndmask_b32 v5, 0, v5 :: v_dual_lshlrev_b32 v18, 2, v0
	ds_store_2addr_stride64_b32 v18, v6, v7 offset1:4
	ds_store_2addr_stride64_b32 v18, v8, v9 offset0:8 offset1:12
	ds_store_2addr_stride64_b32 v18, v10, v11 offset0:16 offset1:20
	;; [unrolled: 1-line block ×5, first 2 shown]
	ds_store_b32 v18, v5 offset:12288
	s_wait_loadcnt_dscnt 0x0
	s_barrier_signal -1
	s_barrier_wait -1
.LBB462_8:
	v_mul_u32_u24_e32 v46, 13, v0
	s_wait_loadcnt 0x0
	global_inv scope:SCOPE_SE
	v_cndmask_b32_e64 v44, 0, 1, s1
	s_and_not1_b32 vcc_lo, exec_lo, s1
	v_lshlrev_b32_e32 v5, 2, v46
	ds_load_2addr_b32 v[23:24], v5 offset1:1
	ds_load_2addr_b32 v[21:22], v5 offset0:2 offset1:3
	ds_load_2addr_b32 v[19:20], v5 offset0:4 offset1:5
	ds_load_2addr_b32 v[17:18], v5 offset0:6 offset1:7
	ds_load_2addr_b32 v[15:16], v5 offset0:8 offset1:9
	ds_load_2addr_b32 v[13:14], v5 offset0:10 offset1:11
	ds_load_b32 v45, v5 offset:48
	s_wait_loadcnt_dscnt 0x0
	s_barrier_signal -1
	s_barrier_wait -1
	global_inv scope:SCOPE_SE
	s_wait_alu 0xfffe
	s_cbranch_vccnz .LBB462_36
; %bb.9:
	v_add_nc_u32_e32 v5, s17, v23
	v_add_nc_u32_e32 v6, s19, v23
	s_mov_b32 s41, 0
	s_mov_b32 s40, 0
	s_mov_b32 s1, exec_lo
	v_mul_lo_u32 v5, v5, s16
	v_mul_lo_u32 v6, v6, s18
	s_delay_alu instid0(VALU_DEP_1) | instskip(NEXT) | instid1(VALU_DEP_1)
	v_sub_nc_u32_e32 v5, v5, v6
	v_cmp_lt_u32_e32 vcc_lo, s20, v5
	v_cmpx_ge_u32_e64 s20, v5
	s_cbranch_execz .LBB462_11
; %bb.10:
	v_add_nc_u32_e32 v5, s22, v23
	v_add_nc_u32_e32 v6, s38, v23
	s_delay_alu instid0(VALU_DEP_2) | instskip(NEXT) | instid1(VALU_DEP_2)
	v_mul_lo_u32 v5, v5, s21
	v_mul_lo_u32 v6, v6, s23
	s_delay_alu instid0(VALU_DEP_1) | instskip(NEXT) | instid1(VALU_DEP_1)
	v_sub_nc_u32_e32 v5, v5, v6
	v_cmp_lt_u32_e64 s0, s39, v5
	s_and_b32 s40, s0, exec_lo
.LBB462_11:
	s_wait_alu 0xfffe
	s_or_b32 exec_lo, exec_lo, s1
	v_add_nc_u32_e32 v5, s17, v24
	v_add_nc_u32_e32 v6, s19, v24
	s_mov_b32 s3, exec_lo
	s_delay_alu instid0(VALU_DEP_2) | instskip(NEXT) | instid1(VALU_DEP_2)
	v_mul_lo_u32 v5, v5, s16
	v_mul_lo_u32 v6, v6, s18
	s_delay_alu instid0(VALU_DEP_1) | instskip(NEXT) | instid1(VALU_DEP_1)
	v_sub_nc_u32_e32 v5, v5, v6
	v_cmp_lt_u32_e64 s0, s20, v5
	v_cmpx_ge_u32_e64 s20, v5
	s_cbranch_execz .LBB462_13
; %bb.12:
	v_add_nc_u32_e32 v5, s22, v24
	v_add_nc_u32_e32 v6, s38, v24
	s_delay_alu instid0(VALU_DEP_2) | instskip(NEXT) | instid1(VALU_DEP_2)
	v_mul_lo_u32 v5, v5, s21
	v_mul_lo_u32 v6, v6, s23
	s_delay_alu instid0(VALU_DEP_1) | instskip(NEXT) | instid1(VALU_DEP_1)
	v_sub_nc_u32_e32 v5, v5, v6
	v_cmp_lt_u32_e64 s1, s39, v5
	s_and_b32 s41, s1, exec_lo
.LBB462_13:
	s_wait_alu 0xfffe
	s_or_b32 exec_lo, exec_lo, s3
	v_add_nc_u32_e32 v5, s17, v21
	v_add_nc_u32_e32 v6, s19, v21
	s_mov_b32 s43, 0
	s_mov_b32 s42, 0
	s_mov_b32 s4, exec_lo
	v_mul_lo_u32 v5, v5, s16
	v_mul_lo_u32 v6, v6, s18
	s_delay_alu instid0(VALU_DEP_1) | instskip(NEXT) | instid1(VALU_DEP_1)
	v_sub_nc_u32_e32 v5, v5, v6
	v_cmp_lt_u32_e64 s1, s20, v5
	v_cmpx_ge_u32_e64 s20, v5
	s_cbranch_execz .LBB462_15
; %bb.14:
	v_add_nc_u32_e32 v5, s22, v21
	v_add_nc_u32_e32 v6, s38, v21
	s_delay_alu instid0(VALU_DEP_2) | instskip(NEXT) | instid1(VALU_DEP_2)
	v_mul_lo_u32 v5, v5, s21
	v_mul_lo_u32 v6, v6, s23
	s_delay_alu instid0(VALU_DEP_1) | instskip(NEXT) | instid1(VALU_DEP_1)
	v_sub_nc_u32_e32 v5, v5, v6
	v_cmp_lt_u32_e64 s3, s39, v5
	s_and_b32 s42, s3, exec_lo
.LBB462_15:
	s_wait_alu 0xfffe
	s_or_b32 exec_lo, exec_lo, s4
	v_add_nc_u32_e32 v5, s17, v22
	v_add_nc_u32_e32 v6, s19, v22
	s_mov_b32 s5, exec_lo
	s_delay_alu instid0(VALU_DEP_2) | instskip(NEXT) | instid1(VALU_DEP_2)
	v_mul_lo_u32 v5, v5, s16
	v_mul_lo_u32 v6, v6, s18
	s_delay_alu instid0(VALU_DEP_1) | instskip(NEXT) | instid1(VALU_DEP_1)
	v_sub_nc_u32_e32 v5, v5, v6
	v_cmp_lt_u32_e64 s3, s20, v5
	v_cmpx_ge_u32_e64 s20, v5
	s_cbranch_execz .LBB462_17
; %bb.16:
	v_add_nc_u32_e32 v5, s22, v22
	v_add_nc_u32_e32 v6, s38, v22
	s_delay_alu instid0(VALU_DEP_2) | instskip(NEXT) | instid1(VALU_DEP_2)
	v_mul_lo_u32 v5, v5, s21
	v_mul_lo_u32 v6, v6, s23
	s_delay_alu instid0(VALU_DEP_1) | instskip(NEXT) | instid1(VALU_DEP_1)
	v_sub_nc_u32_e32 v5, v5, v6
	v_cmp_lt_u32_e64 s4, s39, v5
	s_and_b32 s43, s4, exec_lo
.LBB462_17:
	s_wait_alu 0xfffe
	s_or_b32 exec_lo, exec_lo, s5
	v_add_nc_u32_e32 v5, s17, v19
	v_add_nc_u32_e32 v6, s19, v19
	s_mov_b32 s45, 0
	s_mov_b32 s44, 0
	s_mov_b32 s6, exec_lo
	v_mul_lo_u32 v5, v5, s16
	v_mul_lo_u32 v6, v6, s18
	s_delay_alu instid0(VALU_DEP_1) | instskip(NEXT) | instid1(VALU_DEP_1)
	v_sub_nc_u32_e32 v5, v5, v6
	v_cmp_lt_u32_e64 s4, s20, v5
	;; [unrolled: 49-line block ×3, first 2 shown]
	v_cmpx_ge_u32_e64 s20, v5
	s_cbranch_execz .LBB462_23
; %bb.22:
	v_add_nc_u32_e32 v5, s22, v17
	v_add_nc_u32_e32 v6, s38, v17
	s_delay_alu instid0(VALU_DEP_2) | instskip(NEXT) | instid1(VALU_DEP_2)
	v_mul_lo_u32 v5, v5, s21
	v_mul_lo_u32 v6, v6, s23
	s_delay_alu instid0(VALU_DEP_1) | instskip(NEXT) | instid1(VALU_DEP_1)
	v_sub_nc_u32_e32 v5, v5, v6
	v_cmp_lt_u32_e64 s7, s39, v5
	s_and_b32 s46, s7, exec_lo
.LBB462_23:
	s_or_b32 exec_lo, exec_lo, s8
	v_add_nc_u32_e32 v5, s17, v18
	v_add_nc_u32_e32 v6, s19, v18
	s_mov_b32 s9, exec_lo
	s_delay_alu instid0(VALU_DEP_2) | instskip(NEXT) | instid1(VALU_DEP_2)
	v_mul_lo_u32 v5, v5, s16
	v_mul_lo_u32 v6, v6, s18
	s_delay_alu instid0(VALU_DEP_1) | instskip(NEXT) | instid1(VALU_DEP_1)
	v_sub_nc_u32_e32 v5, v5, v6
	v_cmp_lt_u32_e64 s7, s20, v5
	v_cmpx_ge_u32_e64 s20, v5
	s_cbranch_execz .LBB462_25
; %bb.24:
	v_add_nc_u32_e32 v5, s22, v18
	v_add_nc_u32_e32 v6, s38, v18
	s_delay_alu instid0(VALU_DEP_2) | instskip(NEXT) | instid1(VALU_DEP_2)
	v_mul_lo_u32 v5, v5, s21
	v_mul_lo_u32 v6, v6, s23
	s_delay_alu instid0(VALU_DEP_1) | instskip(NEXT) | instid1(VALU_DEP_1)
	v_sub_nc_u32_e32 v5, v5, v6
	v_cmp_lt_u32_e64 s8, s39, v5
	s_and_b32 s47, s8, exec_lo
.LBB462_25:
	s_or_b32 exec_lo, exec_lo, s9
	v_add_nc_u32_e32 v5, s17, v15
	v_add_nc_u32_e32 v6, s19, v15
	s_mov_b32 s50, 0
	s_mov_b32 s49, 0
	s_mov_b32 s10, exec_lo
	v_mul_lo_u32 v5, v5, s16
	v_mul_lo_u32 v6, v6, s18
	s_delay_alu instid0(VALU_DEP_1) | instskip(NEXT) | instid1(VALU_DEP_1)
	v_sub_nc_u32_e32 v5, v5, v6
	v_cmp_lt_u32_e64 s8, s20, v5
	v_cmpx_ge_u32_e64 s20, v5
	s_cbranch_execz .LBB462_27
; %bb.26:
	v_add_nc_u32_e32 v5, s22, v15
	v_add_nc_u32_e32 v6, s38, v15
	s_delay_alu instid0(VALU_DEP_2) | instskip(NEXT) | instid1(VALU_DEP_2)
	v_mul_lo_u32 v5, v5, s21
	v_mul_lo_u32 v6, v6, s23
	s_delay_alu instid0(VALU_DEP_1) | instskip(NEXT) | instid1(VALU_DEP_1)
	v_sub_nc_u32_e32 v5, v5, v6
	v_cmp_lt_u32_e64 s9, s39, v5
	s_and_b32 s49, s9, exec_lo
.LBB462_27:
	s_or_b32 exec_lo, exec_lo, s10
	v_add_nc_u32_e32 v5, s17, v16
	v_add_nc_u32_e32 v6, s19, v16
	s_mov_b32 s11, exec_lo
	s_delay_alu instid0(VALU_DEP_2) | instskip(NEXT) | instid1(VALU_DEP_2)
	v_mul_lo_u32 v5, v5, s16
	v_mul_lo_u32 v6, v6, s18
	s_delay_alu instid0(VALU_DEP_1) | instskip(NEXT) | instid1(VALU_DEP_1)
	v_sub_nc_u32_e32 v5, v5, v6
	v_cmp_lt_u32_e64 s9, s20, v5
	v_cmpx_ge_u32_e64 s20, v5
	s_cbranch_execz .LBB462_29
; %bb.28:
	v_add_nc_u32_e32 v5, s22, v16
	v_add_nc_u32_e32 v6, s38, v16
	s_delay_alu instid0(VALU_DEP_2) | instskip(NEXT) | instid1(VALU_DEP_2)
	v_mul_lo_u32 v5, v5, s21
	v_mul_lo_u32 v6, v6, s23
	s_delay_alu instid0(VALU_DEP_1) | instskip(NEXT) | instid1(VALU_DEP_1)
	v_sub_nc_u32_e32 v5, v5, v6
	v_cmp_lt_u32_e64 s10, s39, v5
	s_and_b32 s50, s10, exec_lo
.LBB462_29:
	s_or_b32 exec_lo, exec_lo, s11
	v_add_nc_u32_e32 v5, s17, v13
	v_add_nc_u32_e32 v6, s19, v13
	s_mov_b32 s51, 0
	s_mov_b32 s52, 0
	s_mov_b32 s12, exec_lo
	v_mul_lo_u32 v5, v5, s16
	v_mul_lo_u32 v6, v6, s18
	s_delay_alu instid0(VALU_DEP_1) | instskip(NEXT) | instid1(VALU_DEP_1)
	v_sub_nc_u32_e32 v5, v5, v6
	v_cmp_lt_u32_e64 s10, s20, v5
	v_cmpx_ge_u32_e64 s20, v5
	s_cbranch_execz .LBB462_31
; %bb.30:
	v_add_nc_u32_e32 v5, s22, v13
	v_add_nc_u32_e32 v6, s38, v13
	s_delay_alu instid0(VALU_DEP_2) | instskip(NEXT) | instid1(VALU_DEP_2)
	v_mul_lo_u32 v5, v5, s21
	v_mul_lo_u32 v6, v6, s23
	s_delay_alu instid0(VALU_DEP_1) | instskip(NEXT) | instid1(VALU_DEP_1)
	v_sub_nc_u32_e32 v5, v5, v6
	v_cmp_lt_u32_e64 s11, s39, v5
	s_and_b32 s52, s11, exec_lo
.LBB462_31:
	s_or_b32 exec_lo, exec_lo, s12
	v_add_nc_u32_e32 v5, s17, v14
	v_add_nc_u32_e32 v6, s19, v14
	s_mov_b32 s13, exec_lo
	s_delay_alu instid0(VALU_DEP_2) | instskip(NEXT) | instid1(VALU_DEP_2)
	v_mul_lo_u32 v5, v5, s16
	v_mul_lo_u32 v6, v6, s18
	s_delay_alu instid0(VALU_DEP_1) | instskip(NEXT) | instid1(VALU_DEP_1)
	v_sub_nc_u32_e32 v5, v5, v6
	v_cmp_lt_u32_e64 s12, s20, v5
	v_cmpx_ge_u32_e64 s20, v5
	s_cbranch_execz .LBB462_33
; %bb.32:
	v_add_nc_u32_e32 v5, s22, v14
	v_add_nc_u32_e32 v6, s38, v14
	s_delay_alu instid0(VALU_DEP_2) | instskip(NEXT) | instid1(VALU_DEP_2)
	v_mul_lo_u32 v5, v5, s21
	v_mul_lo_u32 v6, v6, s23
	s_delay_alu instid0(VALU_DEP_1) | instskip(NEXT) | instid1(VALU_DEP_1)
	v_sub_nc_u32_e32 v5, v5, v6
	v_cmp_lt_u32_e64 s11, s39, v5
	s_and_b32 s51, s11, exec_lo
.LBB462_33:
	s_or_b32 exec_lo, exec_lo, s13
	v_add_nc_u32_e32 v5, s17, v45
	v_add_nc_u32_e32 v6, s19, v45
	s_mov_b32 s48, 0
	s_mov_b32 s53, 0
	s_mov_b32 s54, exec_lo
	v_mul_lo_u32 v5, v5, s16
	v_mul_lo_u32 v6, v6, s18
	s_delay_alu instid0(VALU_DEP_1) | instskip(NEXT) | instid1(VALU_DEP_1)
	v_sub_nc_u32_e32 v5, v5, v6
	v_cmp_lt_u32_e64 s11, s20, v5
	v_cmpx_ge_u32_e64 s20, v5
	s_cbranch_execz .LBB462_35
; %bb.34:
	v_add_nc_u32_e32 v5, s22, v45
	v_add_nc_u32_e32 v6, s38, v45
	s_delay_alu instid0(VALU_DEP_2) | instskip(NEXT) | instid1(VALU_DEP_2)
	v_mul_lo_u32 v5, v5, s21
	v_mul_lo_u32 v6, v6, s23
	s_delay_alu instid0(VALU_DEP_1) | instskip(NEXT) | instid1(VALU_DEP_1)
	v_sub_nc_u32_e32 v5, v5, v6
	v_cmp_lt_u32_e64 s13, s39, v5
	s_and_b32 s53, s13, exec_lo
.LBB462_35:
	s_or_b32 exec_lo, exec_lo, s54
	v_cndmask_b32_e64 v6, 0, 1, s0
	v_cndmask_b32_e64 v8, 0, 1, s3
	s_wait_alu 0xfffd
	v_cndmask_b32_e64 v5, 0, 1, vcc_lo
	v_cndmask_b32_e64 v7, 0, 1, s1
	v_cndmask_b32_e64 v10, 0, 1, s5
	v_lshlrev_b16 v6, 8, v6
	v_lshlrev_b16 v8, 8, v8
	s_wait_alu 0xf1ff
	v_cndmask_b32_e64 v12, 0, 1, s7
	v_cndmask_b32_e64 v26, 0, 1, s9
	;; [unrolled: 1-line block ×3, first 2 shown]
	v_or_b32_e32 v5, v5, v6
	v_or_b32_e32 v6, v7, v8
	v_cndmask_b32_e64 v56, 0, 1, s40
	v_cndmask_b32_e64 v9, 0, 1, s4
	v_cndmask_b32_e64 v11, 0, 1, s6
	v_and_b32_e32 v5, 0xffff, v5
	v_lshlrev_b32_e32 v6, 16, v6
	v_cndmask_b32_e64 v25, 0, 1, s8
	v_cndmask_b32_e64 v27, 0, 1, s10
	;; [unrolled: 1-line block ×8, first 2 shown]
	v_or_b32_e32 v47, v5, v6
	v_lshlrev_b16 v5, 8, v10
	v_lshlrev_b16 v6, 8, v12
	;; [unrolled: 1-line block ×5, first 2 shown]
	v_cndmask_b32_e64 v30, 0, 1, s50
	v_cndmask_b32_e64 v49, 0, 1, s47
	;; [unrolled: 1-line block ×5, first 2 shown]
	v_or_b32_e32 v5, v9, v5
	v_or_b32_e32 v6, v11, v6
	;; [unrolled: 1-line block ×5, first 2 shown]
	v_lshlrev_b16 v8, 8, v8
	v_lshlrev_b16 v12, 8, v54
	;; [unrolled: 1-line block ×5, first 2 shown]
	v_or_b32_e32 v8, v55, v8
	v_or_b32_e32 v7, v7, v12
	;; [unrolled: 1-line block ×5, first 2 shown]
	v_and_b32_e32 v5, 0xffff, v5
	v_lshlrev_b32_e32 v6, 16, v6
	v_and_b32_e32 v9, 0xffff, v9
	v_lshlrev_b32_e32 v10, 16, v10
	;; [unrolled: 2-line block ×5, first 2 shown]
	v_cndmask_b32_e64 v50, 0, 1, s51
	v_cndmask_b32_e64 v53, 0, 1, s53
	v_or_b32_e32 v49, v5, v6
	v_or_b32_e32 v52, v9, v10
	;; [unrolled: 1-line block ×5, first 2 shown]
	s_and_b32 vcc_lo, exec_lo, s48
	s_wait_alu 0xfffe
	s_cbranch_vccnz .LBB462_37
	s_branch .LBB462_114
.LBB462_36:
                                        ; implicit-def: $vgpr53
                                        ; implicit-def: $vgpr50
                                        ; implicit-def: $vgpr51
                                        ; implicit-def: $vgpr48
                                        ; implicit-def: $vgpr54
                                        ; implicit-def: $vgpr52
                                        ; implicit-def: $vgpr49
                                        ; implicit-def: $vgpr47
	s_cbranch_execz .LBB462_114
.LBB462_37:
	v_dual_mov_b32 v6, 0 :: v_dual_mov_b32 v5, 0
	s_mov_b32 s1, exec_lo
	v_cmpx_gt_u32_e64 s27, v46
	s_cbranch_execz .LBB462_41
; %bb.38:
	v_add_nc_u32_e32 v5, s17, v23
	v_add_nc_u32_e32 v6, s19, v23
	s_mov_b32 s4, 0
	s_mov_b32 s3, exec_lo
	s_delay_alu instid0(VALU_DEP_2) | instskip(NEXT) | instid1(VALU_DEP_2)
	v_mul_lo_u32 v5, v5, s16
	v_mul_lo_u32 v6, v6, s18
	s_delay_alu instid0(VALU_DEP_1) | instskip(NEXT) | instid1(VALU_DEP_1)
	v_sub_nc_u32_e32 v5, v5, v6
	v_cmp_lt_u32_e32 vcc_lo, s20, v5
	v_cmpx_ge_u32_e64 s20, v5
	s_cbranch_execz .LBB462_40
; %bb.39:
	v_add_nc_u32_e32 v5, s22, v23
	v_add_nc_u32_e32 v6, s38, v23
	s_delay_alu instid0(VALU_DEP_2) | instskip(NEXT) | instid1(VALU_DEP_2)
	v_mul_lo_u32 v5, v5, s21
	v_mul_lo_u32 v6, v6, s23
	s_delay_alu instid0(VALU_DEP_1) | instskip(NEXT) | instid1(VALU_DEP_1)
	v_sub_nc_u32_e32 v5, v5, v6
	v_cmp_lt_u32_e64 s0, s39, v5
	s_and_b32 s4, s0, exec_lo
.LBB462_40:
	s_wait_alu 0xfffe
	s_or_b32 exec_lo, exec_lo, s3
	v_cndmask_b32_e64 v6, 0, 1, s4
	s_wait_alu 0xfffd
	v_cndmask_b32_e64 v5, 0, 1, vcc_lo
.LBB462_41:
	s_wait_alu 0xfffe
	s_or_b32 exec_lo, exec_lo, s1
	v_lshlrev_b16 v6, 8, v6
	v_add_nc_u32_e32 v7, 1, v46
	v_and_b32_e32 v10, 0xff, v5
	v_lshlrev_b16 v5, 8, 0
                                        ; implicit-def: $vgpr9
                                        ; implicit-def: $vgpr12
                                        ; implicit-def: $vgpr8
	s_delay_alu instid0(VALU_DEP_4) | instskip(NEXT) | instid1(VALU_DEP_4)
	v_and_b32_e32 v6, 0xffff, v6
	v_cmp_le_u32_e32 vcc_lo, s27, v7
                                        ; implicit-def: $vgpr7
	s_delay_alu instid0(VALU_DEP_2)
	v_lshrrev_b32_e32 v25, 8, v6
	v_and_b32_e32 v11, 0xff, v6
                                        ; implicit-def: $vgpr6
	s_and_saveexec_b32 s0, vcc_lo
	s_wait_alu 0xfffe
	s_xor_b32 s0, exec_lo, s0
	s_cbranch_execz .LBB462_43
; %bb.42:
	v_lshlrev_b16 v6, 8, v25
	v_and_b32_e32 v8, 0xffff, v5
                                        ; implicit-def: $vgpr25
	v_mov_b32_e32 v9, 0
	s_delay_alu instid0(VALU_DEP_3) | instskip(SKIP_1) | instid1(VALU_DEP_2)
	v_or_b32_e32 v7, v11, v6
	v_mov_b32_e32 v6, 0
                                        ; implicit-def: $vgpr11
	v_and_b32_e32 v12, 0xffff, v7
	v_and_b32_e32 v7, 0xffff, v5
                                        ; implicit-def: $vgpr5
.LBB462_43:
	s_wait_alu 0xfffe
	s_and_not1_saveexec_b32 s1, s0
	s_cbranch_execz .LBB462_47
; %bb.44:
	v_add_nc_u32_e32 v6, s17, v24
	v_add_nc_u32_e32 v7, s19, v24
	s_mov_b32 s3, 0
	s_mov_b32 s4, exec_lo
	s_delay_alu instid0(VALU_DEP_2) | instskip(NEXT) | instid1(VALU_DEP_2)
	v_mul_lo_u32 v6, v6, s16
	v_mul_lo_u32 v7, v7, s18
	s_delay_alu instid0(VALU_DEP_1) | instskip(NEXT) | instid1(VALU_DEP_1)
	v_sub_nc_u32_e32 v6, v6, v7
	v_cmp_lt_u32_e32 vcc_lo, s20, v6
	v_cmpx_ge_u32_e64 s20, v6
	s_cbranch_execz .LBB462_46
; %bb.45:
	v_add_nc_u32_e32 v6, s22, v24
	v_add_nc_u32_e32 v7, s38, v24
	s_delay_alu instid0(VALU_DEP_2) | instskip(NEXT) | instid1(VALU_DEP_2)
	v_mul_lo_u32 v6, v6, s21
	v_mul_lo_u32 v7, v7, s23
	s_delay_alu instid0(VALU_DEP_1) | instskip(NEXT) | instid1(VALU_DEP_1)
	v_sub_nc_u32_e32 v6, v6, v7
	v_cmp_lt_u32_e64 s0, s39, v6
	s_and_b32 s3, s0, exec_lo
.LBB462_46:
	s_wait_alu 0xfffe
	s_or_b32 exec_lo, exec_lo, s4
	s_wait_alu 0xfffd
	v_cndmask_b32_e64 v6, 0, 1, vcc_lo
	v_lshlrev_b16 v7, 8, v25
	v_dual_mov_b32 v9, 0 :: v_dual_and_b32 v8, 0xffff, v5
	s_delay_alu instid0(VALU_DEP_3) | instskip(NEXT) | instid1(VALU_DEP_3)
	v_lshlrev_b16 v6, 8, v6
	v_or_b32_e32 v7, v11, v7
	v_cndmask_b32_e64 v11, 0, 1, s3
	s_delay_alu instid0(VALU_DEP_3) | instskip(NEXT) | instid1(VALU_DEP_3)
	v_or_b32_e32 v10, v10, v6
	v_dual_mov_b32 v6, 0 :: v_dual_and_b32 v7, 0xffff, v7
	s_delay_alu instid0(VALU_DEP_2) | instskip(NEXT) | instid1(VALU_DEP_2)
	v_and_b32_e32 v10, 0xffff, v10
	v_lshl_or_b32 v12, v11, 16, v7
	v_and_b32_e32 v7, 0xffff, v5
.LBB462_47:
	s_wait_alu 0xfffe
	s_or_b32 exec_lo, exec_lo, s1
	v_add_nc_u32_e32 v5, 2, v46
	v_and_b32_e32 v25, 0xff, v10
	v_lshrrev_b32_e32 v26, 8, v10
                                        ; implicit-def: $vgpr11
	s_delay_alu instid0(VALU_DEP_3)
	v_cmp_le_u32_e32 vcc_lo, s27, v5
                                        ; implicit-def: $vgpr5
	s_and_saveexec_b32 s0, vcc_lo
	s_wait_alu 0xfffe
	s_xor_b32 s0, exec_lo, s0
	s_cbranch_execz .LBB462_49
; %bb.48:
	v_lshlrev_b16 v5, 8, v26
	v_perm_b32 v8, v8, v8, 0x3060504
                                        ; implicit-def: $vgpr26
	s_delay_alu instid0(VALU_DEP_2) | instskip(SKIP_1) | instid1(VALU_DEP_2)
	v_or_b32_e32 v5, v25, v5
	v_and_b32_e32 v25, 0xff0000, v12
	v_and_b32_e32 v5, 0xffff, v5
	s_delay_alu instid0(VALU_DEP_1) | instskip(NEXT) | instid1(VALU_DEP_3)
	v_and_or_b32 v11, 0xff000000, v10, v5
	v_perm_b32 v5, v12, v25, 0x3020504
                                        ; implicit-def: $vgpr25
                                        ; implicit-def: $vgpr10
                                        ; implicit-def: $vgpr12
.LBB462_49:
	s_wait_alu 0xfffe
	s_and_not1_saveexec_b32 s1, s0
	s_cbranch_execz .LBB462_53
; %bb.50:
	v_add_nc_u32_e32 v5, s17, v21
	v_add_nc_u32_e32 v11, s19, v21
	s_mov_b32 s3, 0
	s_mov_b32 s4, exec_lo
	s_delay_alu instid0(VALU_DEP_2) | instskip(NEXT) | instid1(VALU_DEP_2)
	v_mul_lo_u32 v5, v5, s16
	v_mul_lo_u32 v11, v11, s18
	s_delay_alu instid0(VALU_DEP_1) | instskip(NEXT) | instid1(VALU_DEP_1)
	v_sub_nc_u32_e32 v5, v5, v11
	v_cmp_lt_u32_e32 vcc_lo, s20, v5
	v_cmpx_ge_u32_e64 s20, v5
	s_cbranch_execz .LBB462_52
; %bb.51:
	v_add_nc_u32_e32 v5, s22, v21
	v_add_nc_u32_e32 v11, s38, v21
	s_delay_alu instid0(VALU_DEP_2) | instskip(NEXT) | instid1(VALU_DEP_2)
	v_mul_lo_u32 v5, v5, s21
	v_mul_lo_u32 v11, v11, s23
	s_delay_alu instid0(VALU_DEP_1) | instskip(NEXT) | instid1(VALU_DEP_1)
	v_sub_nc_u32_e32 v5, v5, v11
	v_cmp_lt_u32_e64 s0, s39, v5
	s_and_b32 s3, s0, exec_lo
.LBB462_52:
	s_wait_alu 0xfffe
	s_or_b32 exec_lo, exec_lo, s4
	v_lshrrev_b32_e32 v10, 24, v10
	v_cndmask_b32_e64 v11, 0, 1, s3
	v_lshrrev_b32_e32 v27, 8, v12
	v_lshrrev_b32_e32 v28, 16, v12
	s_wait_alu 0xfffd
	v_cndmask_b32_e64 v5, 0, 1, vcc_lo
	v_lshlrev_b16 v26, 8, v26
	v_lshlrev_b16 v10, 8, v10
	v_and_b32_e32 v12, 0xff, v12
	v_lshlrev_b16 v27, 8, v27
	v_lshlrev_b16 v11, 8, v11
	v_and_b32_e32 v28, 0xff, v28
	v_or_b32_e32 v25, v25, v26
	v_or_b32_e32 v5, v5, v10
	v_or_b32_e32 v10, v12, v27
	s_delay_alu instid0(VALU_DEP_4) | instskip(NEXT) | instid1(VALU_DEP_4)
	v_or_b32_e32 v11, v28, v11
	v_and_b32_e32 v12, 0xffff, v25
	s_delay_alu instid0(VALU_DEP_4) | instskip(NEXT) | instid1(VALU_DEP_4)
	v_lshlrev_b32_e32 v5, 16, v5
	v_and_b32_e32 v10, 0xffff, v10
	s_delay_alu instid0(VALU_DEP_4) | instskip(NEXT) | instid1(VALU_DEP_3)
	v_lshlrev_b32_e32 v25, 16, v11
	v_or_b32_e32 v11, v12, v5
	s_delay_alu instid0(VALU_DEP_2)
	v_or_b32_e32 v5, v10, v25
.LBB462_53:
	s_wait_alu 0xfffe
	s_or_b32 exec_lo, exec_lo, s1
	v_add_nc_u32_e32 v10, 3, v46
	v_lshrrev_b32_e32 v12, 24, v9
	v_lshrrev_b32_e32 v25, 16, v9
	;; [unrolled: 1-line block ×3, first 2 shown]
                                        ; implicit-def: $vgpr47
	s_delay_alu instid0(VALU_DEP_4)
	v_cmp_le_u32_e32 vcc_lo, s27, v10
                                        ; implicit-def: $vgpr10
	s_and_saveexec_b32 s0, vcc_lo
	s_wait_alu 0xfffe
	s_xor_b32 s0, exec_lo, s0
	s_cbranch_execz .LBB462_55
; %bb.54:
	v_lshlrev_b16 v10, 8, v12
	v_and_b32_e32 v12, 0xff, v25
	v_lshlrev_b16 v9, 8, v9
	v_perm_b32 v8, v8, v8, 0x3060504
	v_perm_b32 v7, v7, v7, 0x3060504
                                        ; implicit-def: $vgpr25
	s_delay_alu instid0(VALU_DEP_4) | instskip(SKIP_2) | instid1(VALU_DEP_3)
	v_or_b32_e32 v10, v12, v10
	v_and_b32_e32 v12, 0xff0000, v11
	v_and_b32_e32 v9, 0xffff, v9
	v_lshlrev_b32_e32 v10, 16, v10
	s_delay_alu instid0(VALU_DEP_3) | instskip(NEXT) | instid1(VALU_DEP_2)
	v_perm_b32 v47, v11, v12, 0x3020504
                                        ; implicit-def: $vgpr11
                                        ; implicit-def: $vgpr12
	v_or_b32_e32 v10, v9, v10
                                        ; implicit-def: $vgpr9
.LBB462_55:
	s_wait_alu 0xfffe
	s_and_not1_saveexec_b32 s1, s0
	s_cbranch_execz .LBB462_59
; %bb.56:
	v_add_nc_u32_e32 v10, s17, v22
	v_add_nc_u32_e32 v26, s19, v22
	s_mov_b32 s3, 0
	s_mov_b32 s4, exec_lo
	s_delay_alu instid0(VALU_DEP_2) | instskip(NEXT) | instid1(VALU_DEP_2)
	v_mul_lo_u32 v10, v10, s16
	v_mul_lo_u32 v26, v26, s18
	s_delay_alu instid0(VALU_DEP_1) | instskip(NEXT) | instid1(VALU_DEP_1)
	v_sub_nc_u32_e32 v10, v10, v26
	v_cmp_lt_u32_e32 vcc_lo, s20, v10
	v_cmpx_ge_u32_e64 s20, v10
	s_cbranch_execz .LBB462_58
; %bb.57:
	v_add_nc_u32_e32 v10, s22, v22
	v_add_nc_u32_e32 v26, s38, v22
	s_delay_alu instid0(VALU_DEP_2) | instskip(NEXT) | instid1(VALU_DEP_2)
	v_mul_lo_u32 v10, v10, s21
	v_mul_lo_u32 v26, v26, s23
	s_delay_alu instid0(VALU_DEP_1) | instskip(NEXT) | instid1(VALU_DEP_1)
	v_sub_nc_u32_e32 v10, v10, v26
	v_cmp_lt_u32_e64 s0, s39, v10
	s_and_b32 s3, s0, exec_lo
.LBB462_58:
	s_wait_alu 0xfffe
	s_or_b32 exec_lo, exec_lo, s4
	v_lshrrev_b32_e32 v10, 8, v11
	s_wait_alu 0xfffd
	v_cndmask_b32_e64 v26, 0, 1, vcc_lo
	v_lshrrev_b32_e32 v27, 16, v11
	v_cndmask_b32_e64 v28, 0, 1, s3
	v_and_b32_e32 v11, 0xff, v11
	v_lshlrev_b16 v10, 8, v10
	v_lshlrev_b16 v26, 8, v26
	v_and_b32_e32 v27, 0xff, v27
	v_lshlrev_b16 v12, 8, v12
	v_and_b32_e32 v25, 0xff, v25
	v_lshlrev_b16 v9, 8, v9
	v_or_b32_e32 v10, v11, v10
	v_or_b32_e32 v11, v27, v26
	s_delay_alu instid0(VALU_DEP_4) | instskip(NEXT) | instid1(VALU_DEP_4)
	v_or_b32_e32 v12, v25, v12
	v_or_b32_e32 v9, v28, v9
	s_delay_alu instid0(VALU_DEP_4) | instskip(NEXT) | instid1(VALU_DEP_4)
	v_and_b32_e32 v10, 0xffff, v10
	v_lshlrev_b32_e32 v11, 16, v11
	s_delay_alu instid0(VALU_DEP_4) | instskip(NEXT) | instid1(VALU_DEP_4)
	v_lshlrev_b32_e32 v12, 16, v12
	v_and_b32_e32 v9, 0xffff, v9
	s_delay_alu instid0(VALU_DEP_3) | instskip(NEXT) | instid1(VALU_DEP_2)
	v_or_b32_e32 v47, v10, v11
	v_or_b32_e32 v10, v9, v12
.LBB462_59:
	s_wait_alu 0xfffe
	s_or_b32 exec_lo, exec_lo, s1
	v_add_nc_u32_e32 v9, 4, v46
	v_lshrrev_b32_e32 v25, 8, v8
	v_lshrrev_b32_e32 v26, 16, v8
	;; [unrolled: 1-line block ×4, first 2 shown]
	v_cmp_le_u32_e32 vcc_lo, s27, v9
	v_lshrrev_b32_e32 v12, 16, v10
                                        ; implicit-def: $vgpr8
                                        ; implicit-def: $vgpr9
	s_and_saveexec_b32 s0, vcc_lo
	s_wait_alu 0xfffe
	s_xor_b32 s0, exec_lo, s0
	s_cbranch_execz .LBB462_61
; %bb.60:
	v_lshlrev_b16 v8, 8, v27
	v_and_b32_e32 v9, 0xff, v26
	v_lshlrev_b16 v25, 8, v25
	v_lshlrev_b16 v11, 8, v11
	v_and_b32_e32 v12, 0xff, v12
	v_perm_b32 v7, v7, v7, 0x3060504
	v_or_b32_e32 v8, v9, v8
	v_and_b32_e32 v9, 0xffff, v25
                                        ; implicit-def: $vgpr25
                                        ; implicit-def: $vgpr26
                                        ; implicit-def: $vgpr27
	s_delay_alu instid0(VALU_DEP_4) | instskip(NEXT) | instid1(VALU_DEP_3)
	v_or_b32_e32 v11, v12, v11
	v_lshlrev_b32_e32 v12, 16, v8
	s_delay_alu instid0(VALU_DEP_2) | instskip(NEXT) | instid1(VALU_DEP_2)
	v_perm_b32 v8, v11, v10, 0x5040c00
                                        ; implicit-def: $vgpr10
                                        ; implicit-def: $vgpr11
	v_or_b32_e32 v9, v9, v12
                                        ; implicit-def: $vgpr12
.LBB462_61:
	s_wait_alu 0xfffe
	s_and_not1_saveexec_b32 s1, s0
	s_cbranch_execz .LBB462_65
; %bb.62:
	v_add_nc_u32_e32 v8, s17, v19
	v_add_nc_u32_e32 v9, s19, v19
	s_mov_b32 s3, 0
	s_mov_b32 s4, exec_lo
	s_delay_alu instid0(VALU_DEP_2) | instskip(NEXT) | instid1(VALU_DEP_2)
	v_mul_lo_u32 v8, v8, s16
	v_mul_lo_u32 v9, v9, s18
	s_delay_alu instid0(VALU_DEP_1) | instskip(NEXT) | instid1(VALU_DEP_1)
	v_sub_nc_u32_e32 v8, v8, v9
	v_cmp_lt_u32_e32 vcc_lo, s20, v8
	v_cmpx_ge_u32_e64 s20, v8
	s_cbranch_execz .LBB462_64
; %bb.63:
	v_add_nc_u32_e32 v8, s22, v19
	v_add_nc_u32_e32 v9, s38, v19
	s_delay_alu instid0(VALU_DEP_2) | instskip(NEXT) | instid1(VALU_DEP_2)
	v_mul_lo_u32 v8, v8, s21
	v_mul_lo_u32 v9, v9, s23
	s_delay_alu instid0(VALU_DEP_1) | instskip(NEXT) | instid1(VALU_DEP_1)
	v_sub_nc_u32_e32 v8, v8, v9
	v_cmp_lt_u32_e64 s0, s39, v8
	s_and_b32 s3, s0, exec_lo
.LBB462_64:
	s_wait_alu 0xfffe
	s_or_b32 exec_lo, exec_lo, s4
	v_cndmask_b32_e64 v8, 0, 1, s3
	s_wait_alu 0xfffd
	v_cndmask_b32_e64 v9, 0, 1, vcc_lo
	v_lshlrev_b16 v27, 8, v27
	v_and_b32_e32 v26, 0xff, v26
	v_lshlrev_b16 v25, 8, v25
	v_lshlrev_b16 v8, 8, v8
	v_and_b32_e32 v10, 0xff, v10
	v_lshlrev_b16 v11, 8, v11
	v_and_b32_e32 v12, 0xff, v12
	v_or_b32_e32 v26, v26, v27
	v_or_b32_e32 v9, v9, v25
	;; [unrolled: 1-line block ×3, first 2 shown]
	s_delay_alu instid0(VALU_DEP_4) | instskip(NEXT) | instid1(VALU_DEP_4)
	v_or_b32_e32 v10, v12, v11
	v_lshlrev_b32_e32 v11, 16, v26
	s_delay_alu instid0(VALU_DEP_4) | instskip(NEXT) | instid1(VALU_DEP_4)
	v_and_b32_e32 v9, 0xffff, v9
	v_and_b32_e32 v8, 0xffff, v8
	s_delay_alu instid0(VALU_DEP_4) | instskip(NEXT) | instid1(VALU_DEP_3)
	v_lshlrev_b32_e32 v10, 16, v10
	v_or_b32_e32 v9, v9, v11
	s_delay_alu instid0(VALU_DEP_2)
	v_or_b32_e32 v8, v8, v10
.LBB462_65:
	s_wait_alu 0xfffe
	s_or_b32 exec_lo, exec_lo, s1
	v_add_nc_u32_e32 v10, 5, v46
	v_lshrrev_b32_e32 v25, 16, v9
	v_lshrrev_b32_e32 v27, 24, v9
	v_and_b32_e32 v12, 0xff, v8
	v_lshrrev_b32_e32 v26, 8, v8
	v_cmp_le_u32_e32 vcc_lo, s27, v10
                                        ; implicit-def: $vgpr10
                                        ; implicit-def: $vgpr11
	s_and_saveexec_b32 s0, vcc_lo
	s_wait_alu 0xfffe
	s_xor_b32 s0, exec_lo, s0
	s_cbranch_execz .LBB462_67
; %bb.66:
	v_lshlrev_b16 v10, 8, v26
	v_lshlrev_b16 v11, 8, v27
	v_and_b32_e32 v25, 0xff, v25
	v_perm_b32 v7, v7, v7, 0x3060504
                                        ; implicit-def: $vgpr27
                                        ; implicit-def: $vgpr26
	s_delay_alu instid0(VALU_DEP_4) | instskip(NEXT) | instid1(VALU_DEP_3)
	v_or_b32_e32 v10, v12, v10
                                        ; implicit-def: $vgpr12
	v_or_b32_e32 v11, v25, v11
                                        ; implicit-def: $vgpr25
	s_delay_alu instid0(VALU_DEP_2) | instskip(NEXT) | instid1(VALU_DEP_2)
	v_and_b32_e32 v10, 0xffff, v10
	v_perm_b32 v11, v11, v9, 0x5040c00
                                        ; implicit-def: $vgpr9
	s_delay_alu instid0(VALU_DEP_2)
	v_and_or_b32 v10, 0xff000000, v8, v10
                                        ; implicit-def: $vgpr8
.LBB462_67:
	s_wait_alu 0xfffe
	s_and_not1_saveexec_b32 s1, s0
	s_cbranch_execz .LBB462_71
; %bb.68:
	v_add_nc_u32_e32 v10, s17, v20
	v_add_nc_u32_e32 v11, s19, v20
	s_mov_b32 s3, 0
	s_mov_b32 s4, exec_lo
	s_delay_alu instid0(VALU_DEP_2) | instskip(NEXT) | instid1(VALU_DEP_2)
	v_mul_lo_u32 v10, v10, s16
	v_mul_lo_u32 v11, v11, s18
	s_delay_alu instid0(VALU_DEP_1) | instskip(NEXT) | instid1(VALU_DEP_1)
	v_sub_nc_u32_e32 v10, v10, v11
	v_cmp_lt_u32_e32 vcc_lo, s20, v10
	v_cmpx_ge_u32_e64 s20, v10
	s_cbranch_execz .LBB462_70
; %bb.69:
	v_add_nc_u32_e32 v10, s22, v20
	v_add_nc_u32_e32 v11, s38, v20
	s_delay_alu instid0(VALU_DEP_2) | instskip(NEXT) | instid1(VALU_DEP_2)
	v_mul_lo_u32 v10, v10, s21
	v_mul_lo_u32 v11, v11, s23
	s_delay_alu instid0(VALU_DEP_1) | instskip(NEXT) | instid1(VALU_DEP_1)
	v_sub_nc_u32_e32 v10, v10, v11
	v_cmp_lt_u32_e64 s0, s39, v10
	s_and_b32 s3, s0, exec_lo
.LBB462_70:
	s_wait_alu 0xfffe
	s_or_b32 exec_lo, exec_lo, s4
	s_wait_alu 0xfffd
	v_cndmask_b32_e64 v10, 0, 1, vcc_lo
	v_lshrrev_b32_e32 v8, 24, v8
	v_cndmask_b32_e64 v11, 0, 1, s3
	v_lshlrev_b16 v27, 8, v27
	v_and_b32_e32 v25, 0xff, v25
	v_lshlrev_b16 v10, 8, v10
	v_lshlrev_b16 v26, 8, v26
	v_and_b32_e32 v9, 0xff, v9
	v_lshlrev_b16 v8, 8, v8
	v_or_b32_e32 v25, v25, v27
	s_delay_alu instid0(VALU_DEP_4) | instskip(NEXT) | instid1(VALU_DEP_4)
	v_or_b32_e32 v12, v12, v26
	v_or_b32_e32 v9, v9, v10
	s_delay_alu instid0(VALU_DEP_4) | instskip(NEXT) | instid1(VALU_DEP_4)
	v_or_b32_e32 v8, v11, v8
	v_lshlrev_b32_e32 v10, 16, v25
	s_delay_alu instid0(VALU_DEP_4) | instskip(NEXT) | instid1(VALU_DEP_4)
	v_and_b32_e32 v12, 0xffff, v12
	v_and_b32_e32 v9, 0xffff, v9
	s_delay_alu instid0(VALU_DEP_4) | instskip(NEXT) | instid1(VALU_DEP_2)
	v_lshlrev_b32_e32 v8, 16, v8
	v_or_b32_e32 v11, v9, v10
	s_delay_alu instid0(VALU_DEP_2)
	v_or_b32_e32 v10, v12, v8
.LBB462_71:
	s_wait_alu 0xfffe
	s_or_b32 exec_lo, exec_lo, s1
	v_add_nc_u32_e32 v8, 6, v46
	v_lshrrev_b32_e32 v12, 8, v11
                                        ; implicit-def: $vgpr48
                                        ; implicit-def: $vgpr9
	s_delay_alu instid0(VALU_DEP_2)
	v_cmp_le_u32_e32 vcc_lo, s27, v8
	v_and_b32_e32 v8, 0xff, v11
	s_and_saveexec_b32 s0, vcc_lo
	s_wait_alu 0xfffe
	s_xor_b32 s0, exec_lo, s0
	s_cbranch_execz .LBB462_73
; %bb.72:
	v_lshlrev_b16 v9, 8, v12
	v_perm_b32 v7, v7, v7, 0x3060504
                                        ; implicit-def: $vgpr12
	s_delay_alu instid0(VALU_DEP_2) | instskip(SKIP_1) | instid1(VALU_DEP_2)
	v_or_b32_e32 v8, v8, v9
	v_and_b32_e32 v9, 0xff0000, v10
	v_and_b32_e32 v8, 0xffff, v8
	s_delay_alu instid0(VALU_DEP_2) | instskip(NEXT) | instid1(VALU_DEP_2)
	v_perm_b32 v48, v10, v9, 0x3020504
                                        ; implicit-def: $vgpr10
	v_and_or_b32 v9, 0xff000000, v11, v8
                                        ; implicit-def: $vgpr8
                                        ; implicit-def: $vgpr11
.LBB462_73:
	s_wait_alu 0xfffe
	s_and_not1_saveexec_b32 s1, s0
	s_cbranch_execz .LBB462_77
; %bb.74:
	v_add_nc_u32_e32 v9, s17, v17
	v_add_nc_u32_e32 v25, s19, v17
	s_mov_b32 s3, 0
	s_mov_b32 s4, exec_lo
	s_delay_alu instid0(VALU_DEP_2) | instskip(NEXT) | instid1(VALU_DEP_2)
	v_mul_lo_u32 v9, v9, s16
	v_mul_lo_u32 v25, v25, s18
	s_delay_alu instid0(VALU_DEP_1) | instskip(NEXT) | instid1(VALU_DEP_1)
	v_sub_nc_u32_e32 v9, v9, v25
	v_cmp_lt_u32_e32 vcc_lo, s20, v9
	v_cmpx_ge_u32_e64 s20, v9
	s_cbranch_execz .LBB462_76
; %bb.75:
	v_add_nc_u32_e32 v9, s22, v17
	v_add_nc_u32_e32 v25, s38, v17
	s_delay_alu instid0(VALU_DEP_2) | instskip(NEXT) | instid1(VALU_DEP_2)
	v_mul_lo_u32 v9, v9, s21
	v_mul_lo_u32 v25, v25, s23
	s_delay_alu instid0(VALU_DEP_1) | instskip(NEXT) | instid1(VALU_DEP_1)
	v_sub_nc_u32_e32 v9, v9, v25
	v_cmp_lt_u32_e64 s0, s39, v9
	s_and_b32 s3, s0, exec_lo
.LBB462_76:
	s_wait_alu 0xfffe
	s_or_b32 exec_lo, exec_lo, s4
	v_lshrrev_b32_e32 v11, 24, v11
	v_cndmask_b32_e64 v25, 0, 1, s3
	v_lshrrev_b32_e32 v26, 8, v10
	v_lshrrev_b32_e32 v27, 16, v10
	s_wait_alu 0xfffd
	v_cndmask_b32_e64 v9, 0, 1, vcc_lo
	v_lshlrev_b16 v12, 8, v12
	v_lshlrev_b16 v11, 8, v11
	v_and_b32_e32 v10, 0xff, v10
	v_lshlrev_b16 v26, 8, v26
	v_lshlrev_b16 v25, 8, v25
	v_and_b32_e32 v27, 0xff, v27
	v_or_b32_e32 v8, v8, v12
	v_or_b32_e32 v9, v9, v11
	;; [unrolled: 1-line block ×3, first 2 shown]
	s_delay_alu instid0(VALU_DEP_4) | instskip(NEXT) | instid1(VALU_DEP_4)
	v_or_b32_e32 v11, v27, v25
	v_and_b32_e32 v8, 0xffff, v8
	s_delay_alu instid0(VALU_DEP_4) | instskip(NEXT) | instid1(VALU_DEP_4)
	v_lshlrev_b32_e32 v9, 16, v9
	v_and_b32_e32 v10, 0xffff, v10
	s_delay_alu instid0(VALU_DEP_4) | instskip(NEXT) | instid1(VALU_DEP_3)
	v_lshlrev_b32_e32 v11, 16, v11
	v_or_b32_e32 v9, v8, v9
	s_delay_alu instid0(VALU_DEP_2)
	v_or_b32_e32 v48, v10, v11
.LBB462_77:
	s_wait_alu 0xfffe
	s_or_b32 exec_lo, exec_lo, s1
	v_add_nc_u32_e32 v8, 7, v46
	v_lshrrev_b32_e32 v10, 8, v7
	v_lshrrev_b32_e32 v11, 16, v7
	;; [unrolled: 1-line block ×3, first 2 shown]
                                        ; implicit-def: $vgpr49
	s_delay_alu instid0(VALU_DEP_4)
	v_cmp_le_u32_e32 vcc_lo, s27, v8
                                        ; implicit-def: $vgpr8
	s_and_saveexec_b32 s0, vcc_lo
	s_wait_alu 0xfffe
	s_xor_b32 s0, exec_lo, s0
	s_cbranch_execz .LBB462_79
; %bb.78:
	v_lshlrev_b16 v7, 8, v7
	v_and_b32_e32 v8, 0xff, v11
                                        ; implicit-def: $vgpr11
	s_delay_alu instid0(VALU_DEP_1) | instskip(SKIP_2) | instid1(VALU_DEP_3)
	v_or_b32_e32 v7, v8, v7
	v_lshlrev_b16 v8, 8, v10
	v_and_b32_e32 v10, 0xff0000, v9
	v_lshlrev_b32_e32 v7, 16, v7
	s_delay_alu instid0(VALU_DEP_3) | instskip(NEXT) | instid1(VALU_DEP_3)
	v_and_b32_e32 v8, 0xffff, v8
	v_perm_b32 v49, v9, v10, 0x3020504
                                        ; implicit-def: $vgpr9
                                        ; implicit-def: $vgpr10
	s_delay_alu instid0(VALU_DEP_2)
	v_or_b32_e32 v8, v8, v7
                                        ; implicit-def: $vgpr7
.LBB462_79:
	s_wait_alu 0xfffe
	s_and_not1_saveexec_b32 s1, s0
	s_cbranch_execz .LBB462_83
; %bb.80:
	v_add_nc_u32_e32 v8, s17, v18
	v_add_nc_u32_e32 v12, s19, v18
	s_mov_b32 s3, 0
	s_mov_b32 s4, exec_lo
	s_delay_alu instid0(VALU_DEP_2) | instskip(NEXT) | instid1(VALU_DEP_2)
	v_mul_lo_u32 v8, v8, s16
	v_mul_lo_u32 v12, v12, s18
	s_delay_alu instid0(VALU_DEP_1) | instskip(NEXT) | instid1(VALU_DEP_1)
	v_sub_nc_u32_e32 v8, v8, v12
	v_cmp_lt_u32_e32 vcc_lo, s20, v8
	v_cmpx_ge_u32_e64 s20, v8
	s_cbranch_execz .LBB462_82
; %bb.81:
	v_add_nc_u32_e32 v8, s22, v18
	v_add_nc_u32_e32 v12, s38, v18
	s_delay_alu instid0(VALU_DEP_2) | instskip(NEXT) | instid1(VALU_DEP_2)
	v_mul_lo_u32 v8, v8, s21
	v_mul_lo_u32 v12, v12, s23
	s_delay_alu instid0(VALU_DEP_1) | instskip(NEXT) | instid1(VALU_DEP_1)
	v_sub_nc_u32_e32 v8, v8, v12
	v_cmp_lt_u32_e64 s0, s39, v8
	s_and_b32 s3, s0, exec_lo
.LBB462_82:
	s_wait_alu 0xfffe
	s_or_b32 exec_lo, exec_lo, s4
	v_lshrrev_b32_e32 v8, 8, v9
	s_wait_alu 0xfffd
	v_cndmask_b32_e64 v12, 0, 1, vcc_lo
	v_lshrrev_b32_e32 v25, 16, v9
	v_cndmask_b32_e64 v26, 0, 1, s3
	v_and_b32_e32 v9, 0xff, v9
	v_lshlrev_b16 v8, 8, v8
	v_lshlrev_b16 v12, 8, v12
	v_and_b32_e32 v25, 0xff, v25
	v_lshlrev_b16 v7, 8, v7
	v_and_b32_e32 v11, 0xff, v11
	v_lshlrev_b16 v10, 8, v10
	v_or_b32_e32 v8, v9, v8
	v_or_b32_e32 v9, v25, v12
	s_delay_alu instid0(VALU_DEP_4) | instskip(NEXT) | instid1(VALU_DEP_4)
	v_or_b32_e32 v7, v11, v7
	v_or_b32_e32 v10, v26, v10
	s_delay_alu instid0(VALU_DEP_4) | instskip(NEXT) | instid1(VALU_DEP_4)
	v_and_b32_e32 v8, 0xffff, v8
	v_lshlrev_b32_e32 v9, 16, v9
	s_delay_alu instid0(VALU_DEP_4) | instskip(NEXT) | instid1(VALU_DEP_4)
	v_lshlrev_b32_e32 v7, 16, v7
	v_and_b32_e32 v10, 0xffff, v10
	s_delay_alu instid0(VALU_DEP_3) | instskip(NEXT) | instid1(VALU_DEP_2)
	v_or_b32_e32 v49, v8, v9
	v_or_b32_e32 v8, v10, v7
.LBB462_83:
	s_wait_alu 0xfffe
	s_or_b32 exec_lo, exec_lo, s1
	v_add_nc_u32_e32 v7, 8, v46
	s_delay_alu instid0(VALU_DEP_2)
	v_lshrrev_b32_e32 v9, 16, v8
	v_lshrrev_b32_e32 v10, 24, v8
	;; [unrolled: 1-line block ×4, first 2 shown]
	v_cmp_le_u32_e32 vcc_lo, s27, v7
	v_lshrrev_b32_e32 v11, 8, v6
                                        ; implicit-def: $vgpr6
                                        ; implicit-def: $vgpr7
	s_and_saveexec_b32 s0, vcc_lo
	s_wait_alu 0xfffe
	s_xor_b32 s0, exec_lo, s0
	s_cbranch_execz .LBB462_85
; %bb.84:
	v_lshlrev_b16 v6, 8, v12
	v_and_b32_e32 v7, 0xff, v25
	v_lshlrev_b16 v11, 8, v11
	v_lshlrev_b16 v10, 8, v10
	v_perm_b32 v5, v5, v5, 0x3060504
                                        ; implicit-def: $vgpr12
                                        ; implicit-def: $vgpr25
	s_delay_alu instid0(VALU_DEP_4) | instskip(SKIP_2) | instid1(VALU_DEP_3)
	v_or_b32_e32 v6, v7, v6
	v_and_b32_e32 v7, 0xff, v9
	v_and_b32_e32 v9, 0xffff, v11
                                        ; implicit-def: $vgpr11
	v_lshlrev_b32_e32 v6, 16, v6
	s_delay_alu instid0(VALU_DEP_3) | instskip(NEXT) | instid1(VALU_DEP_2)
	v_or_b32_e32 v10, v7, v10
	v_or_b32_e32 v7, v9, v6
	s_delay_alu instid0(VALU_DEP_2)
	v_perm_b32 v6, v10, v8, 0x5040c00
                                        ; implicit-def: $vgpr8
                                        ; implicit-def: $vgpr9
                                        ; implicit-def: $vgpr10
.LBB462_85:
	s_wait_alu 0xfffe
	s_and_not1_saveexec_b32 s1, s0
	s_cbranch_execz .LBB462_89
; %bb.86:
	v_add_nc_u32_e32 v6, s17, v15
	v_add_nc_u32_e32 v7, s19, v15
	s_mov_b32 s3, 0
	s_mov_b32 s4, exec_lo
	s_delay_alu instid0(VALU_DEP_2) | instskip(NEXT) | instid1(VALU_DEP_2)
	v_mul_lo_u32 v6, v6, s16
	v_mul_lo_u32 v7, v7, s18
	s_delay_alu instid0(VALU_DEP_1) | instskip(NEXT) | instid1(VALU_DEP_1)
	v_sub_nc_u32_e32 v6, v6, v7
	v_cmp_lt_u32_e32 vcc_lo, s20, v6
	v_cmpx_ge_u32_e64 s20, v6
	s_cbranch_execz .LBB462_88
; %bb.87:
	v_add_nc_u32_e32 v6, s22, v15
	v_add_nc_u32_e32 v7, s38, v15
	s_delay_alu instid0(VALU_DEP_2) | instskip(NEXT) | instid1(VALU_DEP_2)
	v_mul_lo_u32 v6, v6, s21
	v_mul_lo_u32 v7, v7, s23
	s_delay_alu instid0(VALU_DEP_1) | instskip(NEXT) | instid1(VALU_DEP_1)
	v_sub_nc_u32_e32 v6, v6, v7
	v_cmp_lt_u32_e64 s0, s39, v6
	s_and_b32 s3, s0, exec_lo
.LBB462_88:
	s_wait_alu 0xfffe
	s_or_b32 exec_lo, exec_lo, s4
	v_cndmask_b32_e64 v6, 0, 1, s3
	s_wait_alu 0xfffd
	v_cndmask_b32_e64 v7, 0, 1, vcc_lo
	v_lshlrev_b16 v12, 8, v12
	v_and_b32_e32 v25, 0xff, v25
	v_lshlrev_b16 v11, 8, v11
	v_lshlrev_b16 v6, 8, v6
	v_and_b32_e32 v8, 0xff, v8
	v_lshlrev_b16 v10, 8, v10
	v_and_b32_e32 v9, 0xff, v9
	v_or_b32_e32 v12, v25, v12
	v_or_b32_e32 v7, v7, v11
	;; [unrolled: 1-line block ×3, first 2 shown]
	s_delay_alu instid0(VALU_DEP_4) | instskip(NEXT) | instid1(VALU_DEP_4)
	v_or_b32_e32 v8, v9, v10
	v_lshlrev_b32_e32 v9, 16, v12
	s_delay_alu instid0(VALU_DEP_4) | instskip(NEXT) | instid1(VALU_DEP_4)
	v_and_b32_e32 v7, 0xffff, v7
	v_and_b32_e32 v6, 0xffff, v6
	s_delay_alu instid0(VALU_DEP_4) | instskip(NEXT) | instid1(VALU_DEP_3)
	v_lshlrev_b32_e32 v8, 16, v8
	v_or_b32_e32 v7, v7, v9
	s_delay_alu instid0(VALU_DEP_2)
	v_or_b32_e32 v6, v6, v8
.LBB462_89:
	s_wait_alu 0xfffe
	s_or_b32 exec_lo, exec_lo, s1
	v_add_nc_u32_e32 v8, 9, v46
	s_delay_alu instid0(VALU_DEP_2)
	v_lshrrev_b32_e32 v10, 8, v6
	v_lshrrev_b32_e32 v25, 24, v7
	;; [unrolled: 1-line block ×3, first 2 shown]
	v_and_b32_e32 v11, 0xff, v6
	v_cmp_le_u32_e32 vcc_lo, s27, v8
                                        ; implicit-def: $vgpr8
                                        ; implicit-def: $vgpr9
	s_and_saveexec_b32 s0, vcc_lo
	s_wait_alu 0xfffe
	s_xor_b32 s0, exec_lo, s0
	s_cbranch_execz .LBB462_91
; %bb.90:
	v_lshlrev_b16 v8, 8, v10
	v_lshlrev_b16 v9, 8, v25
	v_and_b32_e32 v10, 0xff, v12
	v_perm_b32 v5, v5, v5, 0x3060504
                                        ; implicit-def: $vgpr25
                                        ; implicit-def: $vgpr12
	s_delay_alu instid0(VALU_DEP_4) | instskip(NEXT) | instid1(VALU_DEP_3)
	v_or_b32_e32 v8, v11, v8
                                        ; implicit-def: $vgpr11
	v_or_b32_e32 v9, v10, v9
                                        ; implicit-def: $vgpr10
	s_delay_alu instid0(VALU_DEP_2) | instskip(NEXT) | instid1(VALU_DEP_2)
	v_and_b32_e32 v8, 0xffff, v8
	v_perm_b32 v9, v9, v7, 0x5040c00
                                        ; implicit-def: $vgpr7
	s_delay_alu instid0(VALU_DEP_2)
	v_and_or_b32 v8, 0xff000000, v6, v8
                                        ; implicit-def: $vgpr6
.LBB462_91:
	s_wait_alu 0xfffe
	s_and_not1_saveexec_b32 s1, s0
	s_cbranch_execz .LBB462_95
; %bb.92:
	v_add_nc_u32_e32 v8, s17, v16
	v_add_nc_u32_e32 v9, s19, v16
	s_mov_b32 s3, 0
	s_mov_b32 s4, exec_lo
	s_delay_alu instid0(VALU_DEP_2) | instskip(NEXT) | instid1(VALU_DEP_2)
	v_mul_lo_u32 v8, v8, s16
	v_mul_lo_u32 v9, v9, s18
	s_delay_alu instid0(VALU_DEP_1) | instskip(NEXT) | instid1(VALU_DEP_1)
	v_sub_nc_u32_e32 v8, v8, v9
	v_cmp_lt_u32_e32 vcc_lo, s20, v8
	v_cmpx_ge_u32_e64 s20, v8
	s_cbranch_execz .LBB462_94
; %bb.93:
	v_add_nc_u32_e32 v8, s22, v16
	v_add_nc_u32_e32 v9, s38, v16
	s_delay_alu instid0(VALU_DEP_2) | instskip(NEXT) | instid1(VALU_DEP_2)
	v_mul_lo_u32 v8, v8, s21
	v_mul_lo_u32 v9, v9, s23
	s_delay_alu instid0(VALU_DEP_1) | instskip(NEXT) | instid1(VALU_DEP_1)
	v_sub_nc_u32_e32 v8, v8, v9
	v_cmp_lt_u32_e64 s0, s39, v8
	s_and_b32 s3, s0, exec_lo
.LBB462_94:
	s_wait_alu 0xfffe
	s_or_b32 exec_lo, exec_lo, s4
	s_wait_alu 0xfffd
	v_cndmask_b32_e64 v8, 0, 1, vcc_lo
	v_lshrrev_b32_e32 v6, 24, v6
	v_cndmask_b32_e64 v9, 0, 1, s3
	v_lshlrev_b16 v25, 8, v25
	v_and_b32_e32 v12, 0xff, v12
	v_lshlrev_b16 v8, 8, v8
	v_lshlrev_b16 v10, 8, v10
	v_and_b32_e32 v7, 0xff, v7
	v_lshlrev_b16 v6, 8, v6
	v_or_b32_e32 v12, v12, v25
	s_delay_alu instid0(VALU_DEP_4) | instskip(NEXT) | instid1(VALU_DEP_4)
	v_or_b32_e32 v10, v11, v10
	v_or_b32_e32 v7, v7, v8
	s_delay_alu instid0(VALU_DEP_4) | instskip(NEXT) | instid1(VALU_DEP_4)
	v_or_b32_e32 v6, v9, v6
	v_lshlrev_b32_e32 v8, 16, v12
	s_delay_alu instid0(VALU_DEP_4) | instskip(NEXT) | instid1(VALU_DEP_4)
	v_and_b32_e32 v10, 0xffff, v10
	v_and_b32_e32 v7, 0xffff, v7
	s_delay_alu instid0(VALU_DEP_4) | instskip(NEXT) | instid1(VALU_DEP_2)
	v_lshlrev_b32_e32 v6, 16, v6
	v_or_b32_e32 v9, v7, v8
	s_delay_alu instid0(VALU_DEP_2)
	v_or_b32_e32 v8, v10, v6
.LBB462_95:
	s_wait_alu 0xfffe
	s_or_b32 exec_lo, exec_lo, s1
	v_add_nc_u32_e32 v6, 10, v46
	v_and_b32_e32 v7, 0xff, v9
	v_lshrrev_b32_e32 v10, 8, v9
                                        ; implicit-def: $vgpr51
	s_delay_alu instid0(VALU_DEP_3)
	v_cmp_le_u32_e32 vcc_lo, s27, v6
                                        ; implicit-def: $vgpr6
	s_and_saveexec_b32 s0, vcc_lo
	s_wait_alu 0xfffe
	s_xor_b32 s0, exec_lo, s0
	s_cbranch_execz .LBB462_97
; %bb.96:
	v_lshlrev_b16 v6, 8, v10
	v_perm_b32 v5, v5, v5, 0x3060504
                                        ; implicit-def: $vgpr10
	s_delay_alu instid0(VALU_DEP_2) | instskip(SKIP_1) | instid1(VALU_DEP_2)
	v_or_b32_e32 v6, v7, v6
	v_and_b32_e32 v7, 0xff0000, v8
	v_and_b32_e32 v6, 0xffff, v6
	s_delay_alu instid0(VALU_DEP_2) | instskip(NEXT) | instid1(VALU_DEP_2)
	v_perm_b32 v51, v8, v7, 0x3020504
                                        ; implicit-def: $vgpr7
                                        ; implicit-def: $vgpr8
	v_and_or_b32 v6, 0xff000000, v9, v6
                                        ; implicit-def: $vgpr9
.LBB462_97:
	s_wait_alu 0xfffe
	s_and_not1_saveexec_b32 s1, s0
	s_cbranch_execz .LBB462_101
; %bb.98:
	v_add_nc_u32_e32 v6, s17, v13
	v_add_nc_u32_e32 v11, s19, v13
	s_mov_b32 s3, 0
	s_mov_b32 s4, exec_lo
	s_delay_alu instid0(VALU_DEP_2) | instskip(NEXT) | instid1(VALU_DEP_2)
	v_mul_lo_u32 v6, v6, s16
	v_mul_lo_u32 v11, v11, s18
	s_delay_alu instid0(VALU_DEP_1) | instskip(NEXT) | instid1(VALU_DEP_1)
	v_sub_nc_u32_e32 v6, v6, v11
	v_cmp_lt_u32_e32 vcc_lo, s20, v6
	v_cmpx_ge_u32_e64 s20, v6
	s_cbranch_execz .LBB462_100
; %bb.99:
	v_add_nc_u32_e32 v6, s22, v13
	v_add_nc_u32_e32 v11, s38, v13
	s_delay_alu instid0(VALU_DEP_2) | instskip(NEXT) | instid1(VALU_DEP_2)
	v_mul_lo_u32 v6, v6, s21
	v_mul_lo_u32 v11, v11, s23
	s_delay_alu instid0(VALU_DEP_1) | instskip(NEXT) | instid1(VALU_DEP_1)
	v_sub_nc_u32_e32 v6, v6, v11
	v_cmp_lt_u32_e64 s0, s39, v6
	s_and_b32 s3, s0, exec_lo
.LBB462_100:
	s_wait_alu 0xfffe
	s_or_b32 exec_lo, exec_lo, s4
	v_lshrrev_b32_e32 v9, 24, v9
	v_cndmask_b32_e64 v11, 0, 1, s3
	v_lshrrev_b32_e32 v12, 8, v8
	v_lshrrev_b32_e32 v25, 16, v8
	s_wait_alu 0xfffd
	v_cndmask_b32_e64 v6, 0, 1, vcc_lo
	v_lshlrev_b16 v10, 8, v10
	v_lshlrev_b16 v9, 8, v9
	v_and_b32_e32 v8, 0xff, v8
	v_lshlrev_b16 v12, 8, v12
	v_lshlrev_b16 v11, 8, v11
	v_and_b32_e32 v25, 0xff, v25
	v_or_b32_e32 v7, v7, v10
	v_or_b32_e32 v6, v6, v9
	;; [unrolled: 1-line block ×3, first 2 shown]
	s_delay_alu instid0(VALU_DEP_4) | instskip(NEXT) | instid1(VALU_DEP_4)
	v_or_b32_e32 v9, v25, v11
	v_and_b32_e32 v7, 0xffff, v7
	s_delay_alu instid0(VALU_DEP_4) | instskip(NEXT) | instid1(VALU_DEP_4)
	v_lshlrev_b32_e32 v6, 16, v6
	v_and_b32_e32 v8, 0xffff, v8
	s_delay_alu instid0(VALU_DEP_4) | instskip(NEXT) | instid1(VALU_DEP_3)
	v_lshlrev_b32_e32 v9, 16, v9
	v_or_b32_e32 v6, v7, v6
	s_delay_alu instid0(VALU_DEP_2)
	v_or_b32_e32 v51, v8, v9
.LBB462_101:
	s_wait_alu 0xfffe
	s_or_b32 exec_lo, exec_lo, s1
	v_dual_mov_b32 v50, 0 :: v_dual_add_nc_u32 v7, 11, v46
	s_mov_b32 s0, exec_lo
                                        ; implicit-def: $vgpr52
	s_delay_alu instid0(VALU_DEP_1)
	v_cmpx_le_u32_e64 s27, v7
	s_wait_alu 0xfffe
	s_xor_b32 s0, exec_lo, s0
; %bb.102:
	v_and_b32_e32 v7, 0xff0000, v6
	v_perm_b32 v5, v5, v5, 0x3060504
	s_delay_alu instid0(VALU_DEP_2)
	v_perm_b32 v52, v6, v7, 0x3020504
                                        ; implicit-def: $vgpr6
; %bb.103:
	s_wait_alu 0xfffe
	s_and_not1_saveexec_b32 s1, s0
	s_cbranch_execz .LBB462_107
; %bb.104:
	v_add_nc_u32_e32 v7, s17, v14
	v_add_nc_u32_e32 v8, s19, v14
	s_mov_b32 s3, 0
	s_mov_b32 s4, exec_lo
	s_delay_alu instid0(VALU_DEP_2) | instskip(NEXT) | instid1(VALU_DEP_2)
	v_mul_lo_u32 v7, v7, s16
	v_mul_lo_u32 v8, v8, s18
	s_delay_alu instid0(VALU_DEP_1) | instskip(NEXT) | instid1(VALU_DEP_1)
	v_sub_nc_u32_e32 v7, v7, v8
	v_cmp_lt_u32_e32 vcc_lo, s20, v7
	v_cmpx_ge_u32_e64 s20, v7
	s_cbranch_execz .LBB462_106
; %bb.105:
	v_add_nc_u32_e32 v7, s22, v14
	v_add_nc_u32_e32 v8, s38, v14
	s_delay_alu instid0(VALU_DEP_2) | instskip(NEXT) | instid1(VALU_DEP_2)
	v_mul_lo_u32 v7, v7, s21
	v_mul_lo_u32 v8, v8, s23
	s_delay_alu instid0(VALU_DEP_1) | instskip(NEXT) | instid1(VALU_DEP_1)
	v_sub_nc_u32_e32 v7, v7, v8
	v_cmp_lt_u32_e64 s0, s39, v7
	s_and_b32 s3, s0, exec_lo
.LBB462_106:
	s_wait_alu 0xfffe
	s_or_b32 exec_lo, exec_lo, s4
	v_lshrrev_b32_e32 v7, 8, v6
	s_wait_alu 0xfffd
	v_cndmask_b32_e64 v8, 0, 1, vcc_lo
	v_lshrrev_b32_e32 v9, 16, v6
	v_and_b32_e32 v6, 0xff, v6
	v_cndmask_b32_e64 v50, 0, 1, s3
	v_lshlrev_b16 v7, 8, v7
	v_lshlrev_b16 v8, 8, v8
	v_and_b32_e32 v9, 0xff, v9
	s_delay_alu instid0(VALU_DEP_3) | instskip(NEXT) | instid1(VALU_DEP_2)
	v_or_b32_e32 v6, v6, v7
	v_or_b32_e32 v7, v9, v8
	s_delay_alu instid0(VALU_DEP_2) | instskip(NEXT) | instid1(VALU_DEP_2)
	v_and_b32_e32 v6, 0xffff, v6
	v_lshlrev_b32_e32 v7, 16, v7
	s_delay_alu instid0(VALU_DEP_1)
	v_or_b32_e32 v52, v6, v7
.LBB462_107:
	s_wait_alu 0xfffe
	s_or_b32 exec_lo, exec_lo, s1
	v_add_nc_u32_e32 v8, 12, v46
	v_lshrrev_b32_e32 v6, 8, v5
	v_lshrrev_b32_e32 v7, 16, v5
	;; [unrolled: 1-line block ×3, first 2 shown]
	s_mov_b32 s0, exec_lo
                                        ; implicit-def: $vgpr54
	v_cmpx_le_u32_e64 s27, v8
	s_wait_alu 0xfffe
	s_xor_b32 s0, exec_lo, s0
	s_cbranch_execz .LBB462_109
; %bb.108:
	v_lshlrev_b16 v5, 8, v5
	v_and_b32_e32 v7, 0xff, v7
	v_lshlrev_b16 v6, 8, v6
	s_delay_alu instid0(VALU_DEP_2) | instskip(NEXT) | instid1(VALU_DEP_2)
	v_or_b32_e32 v5, v7, v5
	v_and_b32_e32 v6, 0xffff, v6
                                        ; implicit-def: $vgpr7
	s_delay_alu instid0(VALU_DEP_2) | instskip(NEXT) | instid1(VALU_DEP_1)
	v_lshlrev_b32_e32 v5, 16, v5
	v_or_b32_e32 v54, v6, v5
                                        ; implicit-def: $vgpr5
                                        ; implicit-def: $vgpr6
.LBB462_109:
	s_wait_alu 0xfffe
	s_or_saveexec_b32 s1, s0
	v_mov_b32_e32 v53, 0
	s_wait_alu 0xfffe
	s_xor_b32 exec_lo, exec_lo, s1
	s_cbranch_execz .LBB462_113
; %bb.110:
	v_add_nc_u32_e32 v8, s17, v45
	v_add_nc_u32_e32 v9, s19, v45
	s_mov_b32 s3, 0
	s_mov_b32 s4, exec_lo
	s_delay_alu instid0(VALU_DEP_2) | instskip(NEXT) | instid1(VALU_DEP_2)
	v_mul_lo_u32 v8, v8, s16
	v_mul_lo_u32 v9, v9, s18
	s_delay_alu instid0(VALU_DEP_1) | instskip(NEXT) | instid1(VALU_DEP_1)
	v_sub_nc_u32_e32 v8, v8, v9
	v_cmp_lt_u32_e32 vcc_lo, s20, v8
	v_cmpx_ge_u32_e64 s20, v8
	s_cbranch_execz .LBB462_112
; %bb.111:
	v_add_nc_u32_e32 v8, s22, v45
	v_add_nc_u32_e32 v9, s38, v45
	s_delay_alu instid0(VALU_DEP_2) | instskip(NEXT) | instid1(VALU_DEP_2)
	v_mul_lo_u32 v8, v8, s21
	v_mul_lo_u32 v9, v9, s23
	s_delay_alu instid0(VALU_DEP_1) | instskip(NEXT) | instid1(VALU_DEP_1)
	v_sub_nc_u32_e32 v8, v8, v9
	v_cmp_lt_u32_e64 s0, s39, v8
	s_and_b32 s3, s0, exec_lo
.LBB462_112:
	s_wait_alu 0xfffe
	s_or_b32 exec_lo, exec_lo, s4
	s_wait_alu 0xfffd
	v_cndmask_b32_e64 v8, 0, 1, vcc_lo
	v_lshlrev_b16 v5, 8, v5
	v_and_b32_e32 v7, 0xff, v7
	v_lshlrev_b16 v6, 8, v6
	v_cndmask_b32_e64 v53, 0, 1, s3
	s_delay_alu instid0(VALU_DEP_3) | instskip(NEXT) | instid1(VALU_DEP_3)
	v_or_b32_e32 v5, v7, v5
	v_or_b32_e32 v6, v8, v6
	s_delay_alu instid0(VALU_DEP_2) | instskip(NEXT) | instid1(VALU_DEP_2)
	v_lshlrev_b32_e32 v5, 16, v5
	v_and_b32_e32 v6, 0xffff, v6
	s_delay_alu instid0(VALU_DEP_1)
	v_or_b32_e32 v54, v6, v5
.LBB462_113:
	s_or_b32 exec_lo, exec_lo, s1
.LBB462_114:
	v_and_b32_e32 v77, 0xff, v47
	s_delay_alu instid0(VALU_DEP_2)
	v_bfe_u32 v78, v54, 8, 8
	v_bfe_u32 v74, v47, 8, 8
	;; [unrolled: 1-line block ×4, first 2 shown]
	v_lshrrev_b32_e32 v60, 24, v54
	v_lshrrev_b32_e32 v59, 24, v47
	v_and_b32_e32 v73, 0xff, v48
	v_and_b32_e32 v71, 0xff, v49
	v_bfe_u32 v72, v48, 8, 8
	v_add3_u32 v5, v74, v77, v76
	v_add3_u32 v6, v75, v78, v60
	v_bfe_u32 v69, v49, 8, 8
	v_bfe_u32 v70, v48, 16, 8
	v_bfe_u32 v65, v49, 16, 8
	v_lshrrev_b32_e32 v58, 24, v48
	v_add3_u32 v5, v5, v59, v71
	v_add3_u32 v6, v6, v73, v72
	v_lshrrev_b32_e32 v57, 24, v49
	v_and_b32_e32 v68, 0xff, v51
	v_and_b32_e32 v66, 0xff, v52
	v_bfe_u32 v67, v51, 8, 8
	v_add3_u32 v5, v5, v69, v65
	v_add3_u32 v6, v6, v70, v58
	v_bfe_u32 v63, v52, 8, 8
	v_bfe_u32 v64, v51, 16, 8
	;; [unrolled: 1-line block ×3, first 2 shown]
	v_lshrrev_b32_e32 v56, 24, v51
	v_add3_u32 v5, v5, v57, v66
	v_add3_u32 v6, v6, v68, v67
	v_mbcnt_lo_u32_b32 v79, -1, 0
	v_lshrrev_b32_e32 v55, 24, v52
	v_and_b32_e32 v61, 0xff, v50
	v_and_b32_e32 v7, 0xff, v54
	;; [unrolled: 1-line block ×3, first 2 shown]
	v_add3_u32 v5, v5, v63, v62
	v_add3_u32 v6, v6, v64, v56
	v_and_b32_e32 v81, 15, v79
	v_and_b32_e32 v83, 16, v79
	v_lshrrev_b32_e32 v80, 5, v0
	v_add3_u32 v84, v5, v55, v7
	v_add3_u32 v85, v6, v61, v8
	v_cmp_eq_u32_e64 s1, 0, v81
	v_cmp_lt_u32_e64 s0, 1, v81
	v_cmp_lt_u32_e64 s3, 3, v81
	v_or_b32_e32 v82, 31, v0
	s_cmp_lg_u32 s33, 0
	s_mov_b32 s4, -1
	v_cmp_lt_u32_e32 vcc_lo, 7, v81
	s_cbranch_scc0 .LBB462_135
; %bb.115:
	v_mov_b32_dpp v6, v84 row_shr:1 row_mask:0xf bank_mask:0xf
	v_mov_b32_dpp v5, v85 row_shr:1 row_mask:0xf bank_mask:0xf
	s_mov_b32 s4, exec_lo
	s_delay_alu instid0(VALU_DEP_2) | instskip(SKIP_1) | instid1(VALU_DEP_1)
	v_add_nc_u32_e32 v6, v6, v84
	s_wait_alu 0xf1ff
	v_cndmask_b32_e64 v6, v6, v84, s1
	s_delay_alu instid0(VALU_DEP_1) | instskip(NEXT) | instid1(VALU_DEP_1)
	v_mov_b32_dpp v8, v6 row_shr:2 row_mask:0xf bank_mask:0xf
	v_add_nc_u32_e32 v8, v6, v8
	s_delay_alu instid0(VALU_DEP_1) | instskip(NEXT) | instid1(VALU_DEP_1)
	v_cndmask_b32_e64 v6, v6, v8, s0
	v_mov_b32_dpp v8, v6 row_shr:4 row_mask:0xf bank_mask:0xf
	s_delay_alu instid0(VALU_DEP_1) | instskip(NEXT) | instid1(VALU_DEP_1)
	v_add_nc_u32_e32 v8, v6, v8
	v_cndmask_b32_e64 v6, v6, v8, s3
	s_delay_alu instid0(VALU_DEP_1) | instskip(NEXT) | instid1(VALU_DEP_1)
	v_mov_b32_dpp v8, v6 row_shr:8 row_mask:0xf bank_mask:0xf
	v_add_nc_u32_e32 v8, v6, v8
	s_wait_alu 0xfffd
	s_delay_alu instid0(VALU_DEP_1) | instskip(NEXT) | instid1(VALU_DEP_1)
	v_dual_cndmask_b32 v6, v6, v8 :: v_dual_add_nc_u32 v5, v5, v85
	v_cndmask_b32_e64 v5, v5, v85, s1
	ds_swizzle_b32 v8, v6 offset:swizzle(BROADCAST,32,15)
	v_mov_b32_dpp v7, v5 row_shr:2 row_mask:0xf bank_mask:0xf
	s_delay_alu instid0(VALU_DEP_1) | instskip(NEXT) | instid1(VALU_DEP_1)
	v_add_nc_u32_e32 v7, v5, v7
	v_cndmask_b32_e64 v5, v5, v7, s0
	s_delay_alu instid0(VALU_DEP_1) | instskip(SKIP_2) | instid1(VALU_DEP_2)
	v_mov_b32_dpp v7, v5 row_shr:4 row_mask:0xf bank_mask:0xf
	s_wait_dscnt 0x0
	v_add_nc_u32_e32 v8, v6, v8
	v_add_nc_u32_e32 v7, v5, v7
	s_delay_alu instid0(VALU_DEP_1) | instskip(NEXT) | instid1(VALU_DEP_1)
	v_cndmask_b32_e64 v5, v5, v7, s3
	v_mov_b32_dpp v7, v5 row_shr:8 row_mask:0xf bank_mask:0xf
	s_delay_alu instid0(VALU_DEP_1) | instskip(NEXT) | instid1(VALU_DEP_1)
	v_add_nc_u32_e32 v7, v5, v7
	v_cndmask_b32_e32 v5, v5, v7, vcc_lo
	v_cmp_eq_u32_e32 vcc_lo, 0, v83
	ds_swizzle_b32 v7, v5 offset:swizzle(BROADCAST,32,15)
	s_wait_dscnt 0x0
	v_add_nc_u32_e32 v7, v5, v7
	v_cmpx_eq_u32_e64 v0, v82
; %bb.116:
	s_wait_alu 0xfffd
	s_delay_alu instid0(VALU_DEP_2)
	v_dual_cndmask_b32 v10, v7, v5 :: v_dual_lshlrev_b32 v11, 3, v80
	v_cndmask_b32_e32 v9, v8, v6, vcc_lo
	ds_store_b64 v11, v[9:10]
; %bb.117:
	s_wait_alu 0xfffe
	s_or_b32 exec_lo, exec_lo, s4
	s_delay_alu instid0(SALU_CYCLE_1)
	s_mov_b32 s4, exec_lo
	s_wait_loadcnt_dscnt 0x0
	s_barrier_signal -1
	s_barrier_wait -1
	global_inv scope:SCOPE_SE
	v_cmpx_gt_u32_e32 8, v0
	s_cbranch_execz .LBB462_119
; %bb.118:
	v_lshlrev_b32_e32 v11, 3, v0
	v_and_b32_e32 v26, 7, v79
	ds_load_b64 v[9:10], v11
	v_cmp_eq_u32_e64 s3, 0, v26
	s_wait_dscnt 0x0
	v_mov_b32_dpp v12, v9 row_shr:1 row_mask:0xf bank_mask:0xf
	v_mov_b32_dpp v25, v10 row_shr:1 row_mask:0xf bank_mask:0xf
	s_delay_alu instid0(VALU_DEP_2) | instskip(NEXT) | instid1(VALU_DEP_2)
	v_add_nc_u32_e32 v12, v12, v9
	v_add_nc_u32_e32 v25, v25, v10
	s_wait_alu 0xf1ff
	s_delay_alu instid0(VALU_DEP_2) | instskip(NEXT) | instid1(VALU_DEP_2)
	v_cndmask_b32_e64 v9, v12, v9, s3
	v_cndmask_b32_e64 v10, v25, v10, s3
	v_cmp_lt_u32_e64 s3, 1, v26
	s_delay_alu instid0(VALU_DEP_3) | instskip(NEXT) | instid1(VALU_DEP_3)
	v_mov_b32_dpp v12, v9 row_shr:2 row_mask:0xf bank_mask:0xf
	v_mov_b32_dpp v25, v10 row_shr:2 row_mask:0xf bank_mask:0xf
	s_delay_alu instid0(VALU_DEP_2) | instskip(NEXT) | instid1(VALU_DEP_2)
	v_add_nc_u32_e32 v12, v9, v12
	v_add_nc_u32_e32 v25, v10, v25
	s_wait_alu 0xf1ff
	s_delay_alu instid0(VALU_DEP_2) | instskip(NEXT) | instid1(VALU_DEP_2)
	v_cndmask_b32_e64 v9, v9, v12, s3
	v_cndmask_b32_e64 v10, v10, v25, s3
	v_cmp_lt_u32_e64 s3, 3, v26
	s_delay_alu instid0(VALU_DEP_3) | instskip(NEXT) | instid1(VALU_DEP_3)
	v_mov_b32_dpp v12, v9 row_shr:4 row_mask:0xf bank_mask:0xf
	v_mov_b32_dpp v25, v10 row_shr:4 row_mask:0xf bank_mask:0xf
	s_wait_alu 0xf1ff
	s_delay_alu instid0(VALU_DEP_2) | instskip(NEXT) | instid1(VALU_DEP_2)
	v_cndmask_b32_e64 v12, 0, v12, s3
	v_cndmask_b32_e64 v25, 0, v25, s3
	s_delay_alu instid0(VALU_DEP_2) | instskip(NEXT) | instid1(VALU_DEP_2)
	v_add_nc_u32_e32 v9, v12, v9
	v_add_nc_u32_e32 v10, v25, v10
	ds_store_b64 v11, v[9:10]
.LBB462_119:
	s_wait_alu 0xfffe
	s_or_b32 exec_lo, exec_lo, s4
	v_dual_cndmask_b32 v5, v7, v5 :: v_dual_cndmask_b32 v6, v8, v6
	s_mov_b32 s4, exec_lo
	v_cmp_gt_u32_e32 vcc_lo, 32, v0
	s_wait_loadcnt_dscnt 0x0
	s_barrier_signal -1
	s_barrier_wait -1
	global_inv scope:SCOPE_SE
                                        ; implicit-def: $vgpr25
	v_cmpx_lt_u32_e32 31, v0
	s_cbranch_execz .LBB462_121
; %bb.120:
	v_lshl_add_u32 v7, v80, 3, -8
	ds_load_b64 v[25:26], v7
	s_wait_dscnt 0x0
	v_add_nc_u32_e32 v5, v26, v5
	v_add_nc_u32_e32 v6, v25, v6
.LBB462_121:
	s_wait_alu 0xfffe
	s_or_b32 exec_lo, exec_lo, s4
	v_sub_co_u32 v7, s3, v79, 1
	s_delay_alu instid0(VALU_DEP_1) | instskip(SKIP_1) | instid1(VALU_DEP_1)
	v_cmp_gt_i32_e64 s4, 0, v7
	s_wait_alu 0xf1ff
	v_cndmask_b32_e64 v7, v7, v79, s4
	s_delay_alu instid0(VALU_DEP_1)
	v_lshlrev_b32_e32 v7, 2, v7
	ds_bpermute_b32 v86, v7, v6
	ds_bpermute_b32 v87, v7, v5
	s_and_saveexec_b32 s4, vcc_lo
	s_cbranch_execz .LBB462_140
; %bb.122:
	v_mov_b32_e32 v8, 0
	ds_load_b64 v[5:6], v8 offset:56
	s_and_saveexec_b32 s5, s3
	s_cbranch_execz .LBB462_124
; %bb.123:
	s_add_co_i32 s6, s33, 32
	s_mov_b32 s7, 0
	s_wait_alu 0xfffe
	s_lshl_b64 s[6:7], s[6:7], 4
	s_wait_alu 0xfffe
	s_add_nc_u64 s[6:7], s[36:37], s[6:7]
	s_wait_alu 0xfffe
	v_dual_mov_b32 v7, 1 :: v_dual_mov_b32 v10, s7
	v_mov_b32_e32 v9, s6
	s_wait_dscnt 0x0
	;;#ASMSTART
	global_store_b128 v[9:10], v[5:8] off scope:SCOPE_DEV	
s_wait_storecnt 0x0
	;;#ASMEND
.LBB462_124:
	s_wait_alu 0xfffe
	s_or_b32 exec_lo, exec_lo, s5
	v_xad_u32 v27, v79, -1, s33
	s_mov_b32 s6, 0
	s_mov_b32 s5, exec_lo
	s_delay_alu instid0(VALU_DEP_1) | instskip(NEXT) | instid1(VALU_DEP_1)
	v_add_nc_u32_e32 v7, 32, v27
	v_lshlrev_b64_e32 v[7:8], 4, v[7:8]
	s_delay_alu instid0(VALU_DEP_1) | instskip(SKIP_1) | instid1(VALU_DEP_2)
	v_add_co_u32 v7, vcc_lo, s36, v7
	s_wait_alu 0xfffd
	v_add_co_ci_u32_e64 v8, null, s37, v8, vcc_lo
	;;#ASMSTART
	global_load_b128 v[9:12], v[7:8] off scope:SCOPE_DEV	
s_wait_loadcnt 0x0
	;;#ASMEND
	v_and_b32_e32 v12, 0xff, v11
	s_delay_alu instid0(VALU_DEP_1)
	v_cmpx_eq_u16_e32 0, v12
	s_cbranch_execz .LBB462_127
.LBB462_125:                            ; =>This Inner Loop Header: Depth=1
	;;#ASMSTART
	global_load_b128 v[9:12], v[7:8] off scope:SCOPE_DEV	
s_wait_loadcnt 0x0
	;;#ASMEND
	v_and_b32_e32 v12, 0xff, v11
	s_delay_alu instid0(VALU_DEP_1)
	v_cmp_ne_u16_e32 vcc_lo, 0, v12
	s_wait_alu 0xfffe
	s_or_b32 s6, vcc_lo, s6
	s_wait_alu 0xfffe
	s_and_not1_b32 exec_lo, exec_lo, s6
	s_cbranch_execnz .LBB462_125
; %bb.126:
	s_or_b32 exec_lo, exec_lo, s6
.LBB462_127:
	s_wait_alu 0xfffe
	s_or_b32 exec_lo, exec_lo, s5
	v_cmp_ne_u32_e32 vcc_lo, 31, v79
	v_lshlrev_b32_e64 v89, v79, -1
	v_add_nc_u32_e32 v91, 2, v79
	v_add_nc_u32_e32 v93, 4, v79
	;; [unrolled: 1-line block ×3, first 2 shown]
	s_wait_alu 0xfffd
	v_add_co_ci_u32_e64 v7, null, 0, v79, vcc_lo
	v_lshl_or_b32 v96, v79, 2, 64
	v_add_nc_u32_e32 v97, 16, v79
	s_delay_alu instid0(VALU_DEP_3) | instskip(SKIP_4) | instid1(VALU_DEP_1)
	v_lshlrev_b32_e32 v88, 2, v7
	ds_bpermute_b32 v8, v88, v10
	s_wait_dscnt 0x0
	v_add_nc_u32_e32 v8, v8, v10
	v_and_b32_e32 v7, 0xff, v11
	v_cmp_eq_u16_e32 vcc_lo, 2, v7
	ds_bpermute_b32 v7, v88, v9
	s_wait_dscnt 0x0
	v_add_nc_u32_e32 v7, v7, v9
	s_wait_alu 0xfffd
	v_and_b32_e32 v12, vcc_lo, v89
	v_cmp_gt_u32_e32 vcc_lo, 30, v79
	s_delay_alu instid0(VALU_DEP_2) | instskip(SKIP_2) | instid1(VALU_DEP_2)
	v_or_b32_e32 v12, 0x80000000, v12
	s_wait_alu 0xfffd
	v_cndmask_b32_e64 v28, 0, 2, vcc_lo
	v_ctz_i32_b32_e32 v12, v12
	s_delay_alu instid0(VALU_DEP_2) | instskip(NEXT) | instid1(VALU_DEP_2)
	v_add_lshl_u32 v90, v28, v79, 2
	v_cmp_lt_u32_e32 vcc_lo, v79, v12
	s_wait_alu 0xfffd
	v_dual_cndmask_b32 v8, v10, v8 :: v_dual_cndmask_b32 v7, v9, v7
	v_cmp_gt_u32_e32 vcc_lo, 28, v79
	ds_bpermute_b32 v9, v90, v8
	ds_bpermute_b32 v10, v90, v7
	s_wait_alu 0xfffd
	v_cndmask_b32_e64 v28, 0, 4, vcc_lo
	v_cmp_gt_u32_e32 vcc_lo, v91, v12
	s_delay_alu instid0(VALU_DEP_2)
	v_add_lshl_u32 v92, v28, v79, 2
	s_wait_dscnt 0x1
	v_add_nc_u32_e32 v9, v8, v9
	s_wait_dscnt 0x0
	v_add_nc_u32_e32 v10, v7, v10
	s_wait_alu 0xfffd
	s_delay_alu instid0(VALU_DEP_1)
	v_dual_cndmask_b32 v8, v9, v8 :: v_dual_cndmask_b32 v7, v10, v7
	v_cmp_gt_u32_e32 vcc_lo, 24, v79
	ds_bpermute_b32 v9, v92, v8
	ds_bpermute_b32 v10, v92, v7
	s_wait_alu 0xfffd
	v_cndmask_b32_e64 v28, 0, 8, vcc_lo
	v_cmp_gt_u32_e32 vcc_lo, v93, v12
	s_delay_alu instid0(VALU_DEP_2)
	v_add_lshl_u32 v94, v28, v79, 2
	s_wait_dscnt 0x1
	v_dual_mov_b32 v28, 0 :: v_dual_add_nc_u32 v9, v8, v9
	s_wait_dscnt 0x0
	v_add_nc_u32_e32 v10, v7, v10
	s_wait_alu 0xfffd
	s_delay_alu instid0(VALU_DEP_1)
	v_dual_cndmask_b32 v8, v9, v8 :: v_dual_cndmask_b32 v7, v10, v7
	v_cmp_gt_u32_e32 vcc_lo, v95, v12
	ds_bpermute_b32 v9, v94, v8
	ds_bpermute_b32 v10, v94, v7
	s_wait_dscnt 0x1
	v_add_nc_u32_e32 v9, v8, v9
	s_wait_dscnt 0x0
	v_add_nc_u32_e32 v10, v7, v10
	s_wait_alu 0xfffd
	s_delay_alu instid0(VALU_DEP_1)
	v_dual_cndmask_b32 v8, v9, v8 :: v_dual_cndmask_b32 v7, v10, v7
	v_cmp_le_u32_e32 vcc_lo, v97, v12
	ds_bpermute_b32 v10, v96, v8
	ds_bpermute_b32 v9, v96, v7
	s_wait_dscnt 0x0
	s_wait_alu 0xfffd
	v_dual_cndmask_b32 v10, 0, v10 :: v_dual_cndmask_b32 v9, 0, v9
	s_delay_alu instid0(VALU_DEP_1) | instskip(NEXT) | instid1(VALU_DEP_2)
	v_add_nc_u32_e32 v10, v10, v8
	v_add_nc_u32_e32 v9, v9, v7
	s_branch .LBB462_131
.LBB462_128:                            ;   in Loop: Header=BB462_131 Depth=1
	s_or_b32 exec_lo, exec_lo, s6
.LBB462_129:                            ;   in Loop: Header=BB462_131 Depth=1
	s_wait_alu 0xfffe
	s_or_b32 exec_lo, exec_lo, s5
	ds_bpermute_b32 v12, v88, v9
	ds_bpermute_b32 v29, v88, v10
	v_subrev_nc_u32_e32 v27, 32, v27
	s_mov_b32 s5, 0
	s_wait_dscnt 0x1
	v_add_nc_u32_e32 v12, v12, v9
	v_and_b32_e32 v30, 0xff, v11
	s_wait_dscnt 0x0
	v_add_nc_u32_e32 v29, v29, v10
	s_delay_alu instid0(VALU_DEP_2) | instskip(SKIP_2) | instid1(VALU_DEP_1)
	v_cmp_eq_u16_e32 vcc_lo, 2, v30
	s_wait_alu 0xfffd
	v_and_or_b32 v30, vcc_lo, v89, 0x80000000
	v_ctz_i32_b32_e32 v30, v30
	s_delay_alu instid0(VALU_DEP_1)
	v_cmp_lt_u32_e32 vcc_lo, v79, v30
	s_wait_alu 0xfffd
	v_dual_cndmask_b32 v10, v10, v29 :: v_dual_cndmask_b32 v9, v9, v12
	v_cmp_gt_u32_e32 vcc_lo, v91, v30
	ds_bpermute_b32 v29, v90, v10
	ds_bpermute_b32 v12, v90, v9
	s_wait_dscnt 0x1
	v_add_nc_u32_e32 v29, v10, v29
	s_wait_dscnt 0x0
	v_add_nc_u32_e32 v12, v9, v12
	s_wait_alu 0xfffd
	s_delay_alu instid0(VALU_DEP_1)
	v_dual_cndmask_b32 v10, v29, v10 :: v_dual_cndmask_b32 v9, v12, v9
	v_cmp_gt_u32_e32 vcc_lo, v93, v30
	ds_bpermute_b32 v29, v92, v10
	ds_bpermute_b32 v12, v92, v9
	s_wait_dscnt 0x1
	v_add_nc_u32_e32 v29, v10, v29
	s_wait_dscnt 0x0
	v_add_nc_u32_e32 v12, v9, v12
	s_wait_alu 0xfffd
	s_delay_alu instid0(VALU_DEP_1)
	;; [unrolled: 10-line block ×3, first 2 shown]
	v_dual_cndmask_b32 v10, v29, v10 :: v_dual_cndmask_b32 v9, v12, v9
	v_cmp_le_u32_e32 vcc_lo, v97, v30
	ds_bpermute_b32 v29, v96, v10
	ds_bpermute_b32 v12, v96, v9
	s_wait_dscnt 0x0
	s_wait_alu 0xfffd
	v_dual_cndmask_b32 v29, 0, v29 :: v_dual_cndmask_b32 v12, 0, v12
	s_delay_alu instid0(VALU_DEP_1) | instskip(NEXT) | instid1(VALU_DEP_2)
	v_add3_u32 v10, v10, v8, v29
	v_add3_u32 v9, v9, v7, v12
.LBB462_130:                            ;   in Loop: Header=BB462_131 Depth=1
	s_wait_alu 0xfffe
	s_and_b32 vcc_lo, exec_lo, s5
	s_wait_alu 0xfffe
	s_cbranch_vccnz .LBB462_136
.LBB462_131:                            ; =>This Loop Header: Depth=1
                                        ;     Child Loop BB462_134 Depth 2
	v_and_b32_e32 v7, 0xff, v11
	s_mov_b32 s5, -1
                                        ; implicit-def: $vgpr11
	s_delay_alu instid0(VALU_DEP_1)
	v_cmp_ne_u16_e32 vcc_lo, 2, v7
	v_dual_mov_b32 v7, v9 :: v_dual_mov_b32 v8, v10
                                        ; implicit-def: $vgpr9_vgpr10
	s_cmp_lg_u32 vcc_lo, exec_lo
	s_cbranch_scc1 .LBB462_130
; %bb.132:                              ;   in Loop: Header=BB462_131 Depth=1
	v_lshlrev_b64_e32 v[9:10], 4, v[27:28]
	s_mov_b32 s5, exec_lo
	s_delay_alu instid0(VALU_DEP_1) | instskip(SKIP_1) | instid1(VALU_DEP_2)
	v_add_co_u32 v29, vcc_lo, s36, v9
	s_wait_alu 0xfffd
	v_add_co_ci_u32_e64 v30, null, s37, v10, vcc_lo
	;;#ASMSTART
	global_load_b128 v[9:12], v[29:30] off scope:SCOPE_DEV	
s_wait_loadcnt 0x0
	;;#ASMEND
	v_and_b32_e32 v12, 0xff, v11
	s_delay_alu instid0(VALU_DEP_1)
	v_cmpx_eq_u16_e32 0, v12
	s_cbranch_execz .LBB462_129
; %bb.133:                              ;   in Loop: Header=BB462_131 Depth=1
	s_mov_b32 s6, 0
.LBB462_134:                            ;   Parent Loop BB462_131 Depth=1
                                        ; =>  This Inner Loop Header: Depth=2
	;;#ASMSTART
	global_load_b128 v[9:12], v[29:30] off scope:SCOPE_DEV	
s_wait_loadcnt 0x0
	;;#ASMEND
	v_and_b32_e32 v12, 0xff, v11
	s_delay_alu instid0(VALU_DEP_1)
	v_cmp_ne_u16_e32 vcc_lo, 0, v12
	s_wait_alu 0xfffe
	s_or_b32 s6, vcc_lo, s6
	s_wait_alu 0xfffe
	s_and_not1_b32 exec_lo, exec_lo, s6
	s_cbranch_execnz .LBB462_134
	s_branch .LBB462_128
.LBB462_135:
                                        ; implicit-def: $vgpr29
                                        ; implicit-def: $vgpr7
                                        ; implicit-def: $vgpr86
	s_wait_alu 0xfffe
	s_and_b32 vcc_lo, exec_lo, s4
	s_wait_alu 0xfffe
	s_cbranch_vccnz .LBB462_141
	s_branch .LBB462_150
.LBB462_136:
	s_and_saveexec_b32 s5, s3
	s_cbranch_execnz .LBB462_378
; %bb.137:
	s_wait_alu 0xfffe
	s_or_b32 exec_lo, exec_lo, s5
	s_and_saveexec_b32 s5, s3
	s_cbranch_execnz .LBB462_379
.LBB462_138:
	s_wait_alu 0xfffe
	s_or_b32 exec_lo, exec_lo, s5
	s_delay_alu instid0(SALU_CYCLE_1)
	s_and_b32 exec_lo, exec_lo, s2
.LBB462_139:
	v_mov_b32_e32 v5, 0
	ds_store_b64 v5, v[7:8] offset:56
.LBB462_140:
	s_wait_alu 0xfffe
	s_or_b32 exec_lo, exec_lo, s4
	s_wait_dscnt 0x1
	v_cndmask_b32_e64 v12, v86, v25, s3
	v_mov_b32_e32 v5, 0
	s_wait_loadcnt_dscnt 0x0
	s_barrier_signal -1
	s_barrier_wait -1
	global_inv scope:SCOPE_SE
	ds_load_b64 v[9:10], v5 offset:56
	s_wait_loadcnt_dscnt 0x0
	s_barrier_signal -1
	s_barrier_wait -1
	global_inv scope:SCOPE_SE
	v_cndmask_b32_e64 v11, v87, v26, s3
	v_add_nc_u32_e32 v12, v9, v12
	ds_load_b128 v[5:8], v5 offset:13312
	v_add_nc_u32_e32 v11, v10, v11
	v_cndmask_b32_e64 v86, v12, v9, s2
	s_delay_alu instid0(VALU_DEP_2)
	v_cndmask_b32_e64 v29, v11, v10, s2
	s_branch .LBB462_150
.LBB462_141:
	s_wait_dscnt 0x0
	v_mov_b32_dpp v5, v84 row_shr:1 row_mask:0xf bank_mask:0xf
	v_cmp_lt_u32_e32 vcc_lo, 3, v81
	v_mov_b32_dpp v6, v85 row_shr:1 row_mask:0xf bank_mask:0xf
	s_delay_alu instid0(VALU_DEP_3) | instskip(NEXT) | instid1(VALU_DEP_1)
	v_add_nc_u32_e32 v5, v5, v84
	v_cndmask_b32_e64 v5, v5, v84, s1
	s_delay_alu instid0(VALU_DEP_1) | instskip(NEXT) | instid1(VALU_DEP_1)
	v_mov_b32_dpp v7, v5 row_shr:2 row_mask:0xf bank_mask:0xf
	v_add_nc_u32_e32 v7, v5, v7
	s_delay_alu instid0(VALU_DEP_1) | instskip(NEXT) | instid1(VALU_DEP_1)
	v_cndmask_b32_e64 v5, v5, v7, s0
	v_mov_b32_dpp v7, v5 row_shr:4 row_mask:0xf bank_mask:0xf
	s_delay_alu instid0(VALU_DEP_1) | instskip(SKIP_1) | instid1(VALU_DEP_1)
	v_add_nc_u32_e32 v7, v5, v7
	s_wait_alu 0xfffd
	v_dual_cndmask_b32 v7, v5, v7 :: v_dual_add_nc_u32 v6, v6, v85
	s_delay_alu instid0(VALU_DEP_1) | instskip(SKIP_1) | instid1(VALU_DEP_2)
	v_cndmask_b32_e64 v6, v6, v85, s1
	s_mov_b32 s1, exec_lo
	v_mov_b32_dpp v5, v7 row_shr:8 row_mask:0xf bank_mask:0xf
	s_delay_alu instid0(VALU_DEP_2) | instskip(NEXT) | instid1(VALU_DEP_2)
	v_mov_b32_dpp v8, v6 row_shr:2 row_mask:0xf bank_mask:0xf
	v_add_nc_u32_e32 v9, v7, v5
	s_delay_alu instid0(VALU_DEP_2) | instskip(NEXT) | instid1(VALU_DEP_1)
	v_add_nc_u32_e32 v8, v6, v8
	v_cndmask_b32_e64 v6, v6, v8, s0
	s_delay_alu instid0(VALU_DEP_1) | instskip(NEXT) | instid1(VALU_DEP_1)
	v_mov_b32_dpp v8, v6 row_shr:4 row_mask:0xf bank_mask:0xf
	v_add_nc_u32_e32 v8, v6, v8
	s_delay_alu instid0(VALU_DEP_1) | instskip(SKIP_1) | instid1(VALU_DEP_2)
	v_cndmask_b32_e32 v6, v6, v8, vcc_lo
	v_cmp_lt_u32_e32 vcc_lo, 7, v81
	v_mov_b32_dpp v8, v6 row_shr:8 row_mask:0xf bank_mask:0xf
	s_delay_alu instid0(VALU_DEP_1) | instskip(SKIP_1) | instid1(VALU_DEP_1)
	v_add_nc_u32_e32 v5, v6, v8
	s_wait_alu 0xfffd
	v_cndmask_b32_e32 v5, v6, v5, vcc_lo
	v_cndmask_b32_e32 v6, v7, v9, vcc_lo
	v_cmp_eq_u32_e32 vcc_lo, 0, v83
	ds_swizzle_b32 v7, v5 offset:swizzle(BROADCAST,32,15)
	ds_swizzle_b32 v8, v6 offset:swizzle(BROADCAST,32,15)
	s_wait_dscnt 0x1
	v_add_nc_u32_e32 v7, v5, v7
	s_wait_dscnt 0x0
	v_add_nc_u32_e32 v8, v6, v8
	v_cmpx_eq_u32_e64 v0, v82
; %bb.142:
	s_wait_alu 0xfffd
	s_delay_alu instid0(VALU_DEP_2)
	v_dual_cndmask_b32 v9, v8, v6 :: v_dual_cndmask_b32 v10, v7, v5
	v_lshlrev_b32_e32 v11, 3, v80
	ds_store_b64 v11, v[9:10]
; %bb.143:
	s_wait_alu 0xfffe
	s_or_b32 exec_lo, exec_lo, s1
	s_delay_alu instid0(SALU_CYCLE_1)
	s_mov_b32 s1, exec_lo
	s_wait_loadcnt_dscnt 0x0
	s_barrier_signal -1
	s_barrier_wait -1
	global_inv scope:SCOPE_SE
	v_cmpx_gt_u32_e32 8, v0
	s_cbranch_execz .LBB462_145
; %bb.144:
	v_lshlrev_b32_e32 v11, 3, v0
	v_and_b32_e32 v26, 7, v79
	ds_load_b64 v[9:10], v11
	v_cmp_eq_u32_e64 s0, 0, v26
	s_wait_dscnt 0x0
	v_mov_b32_dpp v12, v9 row_shr:1 row_mask:0xf bank_mask:0xf
	v_mov_b32_dpp v25, v10 row_shr:1 row_mask:0xf bank_mask:0xf
	s_delay_alu instid0(VALU_DEP_2) | instskip(NEXT) | instid1(VALU_DEP_2)
	v_add_nc_u32_e32 v12, v12, v9
	v_add_nc_u32_e32 v25, v25, v10
	s_wait_alu 0xf1ff
	s_delay_alu instid0(VALU_DEP_2) | instskip(NEXT) | instid1(VALU_DEP_2)
	v_cndmask_b32_e64 v9, v12, v9, s0
	v_cndmask_b32_e64 v10, v25, v10, s0
	v_cmp_lt_u32_e64 s0, 1, v26
	s_delay_alu instid0(VALU_DEP_3) | instskip(NEXT) | instid1(VALU_DEP_3)
	v_mov_b32_dpp v12, v9 row_shr:2 row_mask:0xf bank_mask:0xf
	v_mov_b32_dpp v25, v10 row_shr:2 row_mask:0xf bank_mask:0xf
	s_delay_alu instid0(VALU_DEP_2) | instskip(NEXT) | instid1(VALU_DEP_2)
	v_add_nc_u32_e32 v12, v9, v12
	v_add_nc_u32_e32 v25, v10, v25
	s_wait_alu 0xf1ff
	s_delay_alu instid0(VALU_DEP_2) | instskip(NEXT) | instid1(VALU_DEP_2)
	v_cndmask_b32_e64 v9, v9, v12, s0
	v_cndmask_b32_e64 v10, v10, v25, s0
	v_cmp_lt_u32_e64 s0, 3, v26
	s_delay_alu instid0(VALU_DEP_3) | instskip(NEXT) | instid1(VALU_DEP_3)
	v_mov_b32_dpp v12, v9 row_shr:4 row_mask:0xf bank_mask:0xf
	v_mov_b32_dpp v25, v10 row_shr:4 row_mask:0xf bank_mask:0xf
	s_wait_alu 0xf1ff
	s_delay_alu instid0(VALU_DEP_2) | instskip(NEXT) | instid1(VALU_DEP_2)
	v_cndmask_b32_e64 v12, 0, v12, s0
	v_cndmask_b32_e64 v25, 0, v25, s0
	s_delay_alu instid0(VALU_DEP_2) | instskip(NEXT) | instid1(VALU_DEP_2)
	v_add_nc_u32_e32 v9, v12, v9
	v_add_nc_u32_e32 v10, v25, v10
	ds_store_b64 v11, v[9:10]
.LBB462_145:
	s_wait_alu 0xfffe
	s_or_b32 exec_lo, exec_lo, s1
	v_dual_mov_b32 v11, 0 :: v_dual_mov_b32 v10, 0
	v_mov_b32_e32 v9, 0
	s_mov_b32 s1, exec_lo
	s_wait_loadcnt_dscnt 0x0
	s_barrier_signal -1
	s_barrier_wait -1
	global_inv scope:SCOPE_SE
	v_cmpx_lt_u32_e32 31, v0
; %bb.146:
	v_lshl_add_u32 v9, v80, 3, -8
	ds_load_b64 v[9:10], v9
; %bb.147:
	s_wait_alu 0xfffe
	s_or_b32 exec_lo, exec_lo, s1
	v_sub_co_u32 v12, s0, v79, 1
	v_dual_cndmask_b32 v6, v8, v6 :: v_dual_cndmask_b32 v5, v7, v5
	s_delay_alu instid0(VALU_DEP_2) | instskip(SKIP_1) | instid1(VALU_DEP_2)
	v_cmp_gt_i32_e64 s1, 0, v12
	s_wait_dscnt 0x0
	v_add_nc_u32_e32 v6, v9, v6
	s_delay_alu instid0(VALU_DEP_3) | instskip(SKIP_2) | instid1(VALU_DEP_1)
	v_add_nc_u32_e32 v5, v10, v5
	s_wait_alu 0xf1ff
	v_cndmask_b32_e64 v8, v12, v79, s1
	v_lshlrev_b32_e32 v7, 2, v8
	ds_bpermute_b32 v12, v7, v6
	ds_bpermute_b32 v25, v7, v5
	ds_load_b64 v[5:6], v11 offset:56
	s_and_saveexec_b32 s1, s2
	s_cbranch_execz .LBB462_149
; %bb.148:
	s_add_nc_u64 s[4:5], s[36:37], 0x200
	v_dual_mov_b32 v7, 2 :: v_dual_mov_b32 v8, 0
	s_wait_alu 0xfffe
	v_dual_mov_b32 v27, s5 :: v_dual_mov_b32 v26, s4
	s_wait_dscnt 0x0
	;;#ASMSTART
	global_store_b128 v[26:27], v[5:8] off scope:SCOPE_DEV	
s_wait_storecnt 0x0
	;;#ASMEND
.LBB462_149:
	s_wait_alu 0xfffe
	s_or_b32 exec_lo, exec_lo, s1
	s_wait_dscnt 0x1
	v_cndmask_b32_e64 v7, v25, v10, s0
	v_cndmask_b32_e64 v9, v12, v9, s0
	v_mov_b32_e32 v8, 0
	s_wait_loadcnt_dscnt 0x0
	s_barrier_signal -1
	v_cndmask_b32_e64 v29, v7, 0, s2
	v_cndmask_b32_e64 v86, v9, 0, s2
	v_mov_b32_e32 v7, 0
	s_barrier_wait -1
	global_inv scope:SCOPE_SE
.LBB462_150:
	v_lshrrev_b32_e32 v81, 8, v54
	s_wait_dscnt 0x0
	v_add_co_u32 v1, vcc_lo, v1, v7
	s_wait_alu 0xfffd
	v_add_co_ci_u32_e64 v2, null, 0, v2, vcc_lo
	v_and_b32_e32 v81, 1, v81
	v_sub_co_u32 v84, vcc_lo, v3, v5
	s_wait_alu 0xfffd
	v_subrev_co_ci_u32_e64 v85, null, 0, v4, vcc_lo
	s_delay_alu instid0(VALU_DEP_3)
	v_cmp_eq_u32_e32 vcc_lo, 1, v81
	v_add_nc_u32_e32 v78, v29, v78
	v_sub_nc_u32_e32 v29, v29, v8
	v_lshlrev_b32_e32 v87, 1, v5
	v_lshrrev_b32_e32 v79, 16, v54
	v_lshrrev_b32_e32 v80, 8, v47
	v_add_nc_u32_e32 v75, v78, v75
	v_sub_nc_u32_e32 v78, v78, v8
	v_add_nc_u32_e32 v29, v29, v5
	v_add3_u32 v90, v87, v6, v46
	v_and_b32_e32 v79, 1, v79
	v_lshrrev_b32_e32 v30, 16, v47
	v_add_nc_u32_e32 v78, v78, v5
	v_add_nc_u32_e32 v77, v86, v77
	v_sub_nc_u32_e32 v86, v86, v7
	v_and_b32_e32 v47, 1, v47
	v_and_b32_e32 v80, 1, v80
	;; [unrolled: 1-line block ×3, first 2 shown]
	v_add_nc_u32_e32 v74, v77, v74
	v_sub_nc_u32_e32 v77, v77, v7
	v_add_nc_u32_e32 v46, v86, v29
	v_lshrrev_b32_e32 v28, 8, v48
	v_lshrrev_b32_e32 v27, 16, v48
	v_and_b32_e32 v48, 1, v48
	v_add_nc_u32_e32 v91, v78, v77
	v_sub_nc_u32_e32 v46, v90, v46
	v_and_b32_e32 v28, 1, v28
	v_lshrrev_b32_e32 v25, 16, v49
	v_lshrrev_b32_e32 v26, 8, v49
	v_sub_nc_u32_e32 v91, v90, v91
	s_wait_alu 0xfffd
	v_cndmask_b32_e32 v29, v46, v29, vcc_lo
	v_cmp_eq_u32_e32 vcc_lo, 1, v79
	v_lshrrev_b32_e32 v12, 8, v51
	v_and_b32_e32 v26, 1, v26
	v_add_nc_u32_e32 v91, 1, v91
	v_lshrrev_b32_e32 v10, 16, v51
	v_lshrrev_b32_e32 v11, 8, v52
	v_and_b32_e32 v12, 1, v12
	v_lshrrev_b32_e32 v9, 16, v52
	s_wait_alu 0xfffd
	v_cndmask_b32_e32 v46, v91, v78, vcc_lo
	v_cmp_eq_u32_e32 vcc_lo, 1, v47
	v_add_nc_u32_e32 v82, v75, v60
	v_sub_nc_u32_e32 v75, v75, v8
	v_and_b32_e32 v60, 1, v60
	v_and_b32_e32 v10, 1, v10
	s_wait_alu 0xfffd
	v_cndmask_b32_e32 v29, v29, v86, vcc_lo
	v_cmp_eq_u32_e32 vcc_lo, 1, v80
	v_add_nc_u32_e32 v75, v75, v5
	v_sub_nc_u32_e32 v80, v82, v8
	v_and_b32_e32 v11, 1, v11
	v_lshlrev_b32_e32 v29, 2, v29
	s_wait_alu 0xfffd
	v_cndmask_b32_e32 v77, v46, v77, vcc_lo
	v_add_nc_u32_e32 v76, v74, v76
	v_sub_nc_u32_e32 v74, v74, v7
	v_add_co_u32 v46, vcc_lo, v84, v8
	s_wait_alu 0xfffd
	v_add_co_ci_u32_e64 v47, null, 0, v85, vcc_lo
	s_delay_alu instid0(VALU_DEP_3)
	v_add_nc_u32_e32 v79, v75, v74
	v_cmp_eq_u32_e32 vcc_lo, 1, v60
	v_add_nc_u32_e32 v83, v76, v59
	v_lshlrev_b32_e32 v77, 2, v77
	ds_store_b32 v29, v23
	ds_store_b32 v77, v24
	v_sub_nc_u32_e32 v79, v90, v79
	v_and_b32_e32 v9, 1, v9
	s_delay_alu instid0(VALU_DEP_2) | instskip(SKIP_1) | instid1(VALU_DEP_1)
	v_add_nc_u32_e32 v79, 2, v79
	s_wait_alu 0xfffd
	v_dual_cndmask_b32 v60, v79, v75 :: v_dual_add_nc_u32 v73, v82, v73
	s_delay_alu instid0(VALU_DEP_1)
	v_add_nc_u32_e32 v72, v73, v72
	v_sub_nc_u32_e32 v75, v76, v7
	v_sub_nc_u32_e32 v73, v73, v8
	v_add_nc_u32_e32 v76, v80, v5
	v_cmp_eq_u32_e32 vcc_lo, 1, v30
	s_wait_alu 0xfffd
	s_delay_alu instid0(VALU_DEP_3)
	v_dual_cndmask_b32 v30, v60, v74 :: v_dual_add_nc_u32 v73, v73, v5
	v_sub_nc_u32_e32 v60, v83, v7
	v_add_nc_u32_e32 v74, v75, v76
	v_cmp_eq_u32_e32 vcc_lo, 1, v48
	v_and_b32_e32 v48, 1, v49
	v_lshlrev_b32_e32 v23, 2, v30
	v_add_nc_u32_e32 v24, v60, v73
	v_sub_nc_u32_e32 v29, v90, v74
	v_and_b32_e32 v30, 1, v59
	v_sub_nc_u32_e32 v59, v72, v8
	ds_store_b32 v23, v21
	v_sub_nc_u32_e32 v24, v90, v24
	v_add_nc_u32_e32 v29, 3, v29
	v_and_b32_e32 v23, 1, v27
	v_add_nc_u32_e32 v59, v59, v5
	s_delay_alu instid0(VALU_DEP_4)
	v_add_nc_u32_e32 v24, 4, v24
	s_wait_alu 0xfffd
	v_cndmask_b32_e32 v29, v29, v76, vcc_lo
	v_cmp_eq_u32_e32 vcc_lo, 1, v28
	s_wait_alu 0xfffd
	v_dual_cndmask_b32 v24, v24, v73 :: v_dual_add_nc_u32 v71, v83, v71
	s_delay_alu instid0(VALU_DEP_1) | instskip(SKIP_2) | instid1(VALU_DEP_3)
	v_add_nc_u32_e32 v69, v71, v69
	v_sub_nc_u32_e32 v71, v71, v7
	v_cmp_eq_u32_e32 vcc_lo, 1, v30
	v_add_nc_u32_e32 v65, v69, v65
	s_delay_alu instid0(VALU_DEP_3)
	v_add_nc_u32_e32 v49, v71, v59
	s_wait_alu 0xfffd
	v_cndmask_b32_e32 v28, v29, v75, vcc_lo
	v_cmp_eq_u32_e32 vcc_lo, 1, v48
	v_add_nc_u32_e32 v89, v65, v57
	v_sub_nc_u32_e32 v29, v90, v49
	s_delay_alu instid0(VALU_DEP_4)
	v_lshlrev_b32_e32 v21, 2, v28
	s_wait_alu 0xfffd
	v_cndmask_b32_e32 v24, v24, v60, vcc_lo
	v_cmp_eq_u32_e32 vcc_lo, 1, v23
	v_sub_nc_u32_e32 v48, v89, v7
	v_add_nc_u32_e32 v27, 5, v29
	v_add_nc_u32_e32 v66, v89, v66
	v_lshlrev_b32_e32 v24, 2, v24
	ds_store_b32 v21, v22
	ds_store_b32 v24, v19
	s_wait_alu 0xfffd
	v_cndmask_b32_e32 v23, v27, v59, vcc_lo
	v_cmp_eq_u32_e32 vcc_lo, 1, v26
	v_sub_nc_u32_e32 v27, v69, v7
	v_sub_nc_u32_e32 v26, v65, v7
	v_and_b32_e32 v24, 1, v58
	v_add_nc_u32_e32 v63, v66, v63
	s_wait_alu 0xfffd
	v_dual_cndmask_b32 v23, v23, v71 :: v_dual_add_nc_u32 v70, v72, v70
	s_delay_alu instid0(VALU_DEP_3) | instskip(SKIP_1) | instid1(VALU_DEP_3)
	v_cmp_eq_u32_e32 vcc_lo, 1, v24
	v_and_b32_e32 v24, 1, v57
	v_lshlrev_b32_e32 v19, 2, v23
	s_delay_alu instid0(VALU_DEP_4) | instskip(SKIP_3) | instid1(VALU_DEP_4)
	v_add_nc_u32_e32 v88, v70, v58
	v_sub_nc_u32_e32 v28, v70, v8
	v_and_b32_e32 v23, 1, v25
	v_add_nc_u32_e32 v62, v63, v62
	v_sub_nc_u32_e32 v29, v88, v8
	s_delay_alu instid0(VALU_DEP_4) | instskip(SKIP_1) | instid1(VALU_DEP_4)
	v_add_nc_u32_e32 v28, v28, v5
	v_add_nc_u32_e32 v68, v88, v68
	;; [unrolled: 1-line block ×3, first 2 shown]
	s_delay_alu instid0(VALU_DEP_4) | instskip(NEXT) | instid1(VALU_DEP_4)
	v_add_nc_u32_e32 v29, v29, v5
	v_add_nc_u32_e32 v30, v27, v28
	s_delay_alu instid0(VALU_DEP_4) | instskip(SKIP_1) | instid1(VALU_DEP_4)
	v_sub_nc_u32_e32 v25, v68, v8
	v_add_nc_u32_e32 v67, v68, v67
	v_add_nc_u32_e32 v21, v26, v29
	s_delay_alu instid0(VALU_DEP_4)
	v_sub_nc_u32_e32 v22, v90, v30
	v_and_b32_e32 v30, 1, v51
	v_add_nc_u32_e32 v25, v25, v5
	v_add_nc_u32_e32 v64, v67, v64
	v_sub_nc_u32_e32 v21, v90, v21
	v_add_nc_u32_e32 v22, 6, v22
	s_delay_alu instid0(VALU_DEP_3) | instskip(SKIP_1) | instid1(VALU_DEP_2)
	v_add_nc_u32_e32 v92, v64, v56
	s_wait_alu 0xfffd
	v_dual_cndmask_b32 v22, v22, v28 :: v_dual_add_nc_u32 v21, 7, v21
	v_cmp_eq_u32_e32 vcc_lo, 1, v30
	v_add_nc_u32_e32 v28, v48, v25
	v_add_nc_u32_e32 v61, v92, v61
	s_wait_alu 0xfffd
	v_cndmask_b32_e32 v21, v21, v29, vcc_lo
	v_cmp_eq_u32_e32 vcc_lo, 1, v23
	v_sub_nc_u32_e32 v23, v90, v28
	s_wait_alu 0xfffd
	v_cndmask_b32_e32 v22, v22, v27, vcc_lo
	v_cmp_eq_u32_e32 vcc_lo, 1, v24
	v_sub_nc_u32_e32 v24, v67, v8
	v_add_nc_u32_e32 v23, 8, v23
	v_sub_nc_u32_e32 v27, v66, v7
	v_lshlrev_b32_e32 v22, 2, v22
	s_wait_alu 0xfffd
	v_dual_cndmask_b32 v21, v21, v26 :: v_dual_add_nc_u32 v24, v24, v5
	v_cmp_eq_u32_e32 vcc_lo, 1, v12
	v_and_b32_e32 v26, 1, v52
	s_delay_alu instid0(VALU_DEP_3)
	v_lshlrev_b32_e32 v21, 2, v21
	ds_store_b32 v19, v20
	ds_store_b32 v22, v17
	;; [unrolled: 1-line block ×3, first 2 shown]
	s_wait_alu 0xfffd
	v_cndmask_b32_e32 v12, v23, v25, vcc_lo
	v_add_nc_u32_e32 v23, v27, v24
	v_cmp_eq_u32_e32 vcc_lo, 1, v26
	v_sub_nc_u32_e32 v18, v64, v8
	v_sub_nc_u32_e32 v19, v63, v7
	;; [unrolled: 1-line block ×4, first 2 shown]
	s_wait_alu 0xfffd
	v_cndmask_b32_e32 v12, v12, v48, vcc_lo
	v_add_nc_u32_e32 v18, v18, v5
	v_cmp_eq_u32_e32 vcc_lo, 1, v10
	v_add_nc_u32_e32 v20, v20, v5
	v_add_nc_u32_e32 v17, 9, v17
	v_lshlrev_b32_e32 v12, 2, v12
	v_add_nc_u32_e32 v21, v19, v18
	v_and_b32_e32 v22, 1, v50
	s_wait_alu 0xfffd
	v_cndmask_b32_e32 v10, v17, v24, vcc_lo
	v_sub_nc_u32_e32 v17, v62, v7
	ds_store_b32 v12, v15
	v_cmp_eq_u32_e32 vcc_lo, 1, v11
	v_sub_nc_u32_e32 v12, v90, v21
	v_and_b32_e32 v15, 1, v56
	v_add_nc_u32_e32 v11, v17, v20
	v_sub_nc_u32_e32 v21, v61, v8
	s_wait_alu 0xfffd
	v_cndmask_b32_e32 v10, v10, v27, vcc_lo
	v_add_nc_u32_e32 v12, 10, v12
	v_cmp_eq_u32_e32 vcc_lo, 1, v15
	v_sub_nc_u32_e32 v11, v90, v11
	v_sub_nc_u32_e32 v7, v78, v7
	v_add_nc_u32_e32 v21, v21, v5
	s_wait_alu 0xfffd
	v_dual_cndmask_b32 v12, v12, v18 :: v_dual_and_b32 v15, 1, v55
	v_add_nc_u32_e32 v11, 11, v11
	v_cmp_eq_u32_e32 vcc_lo, 1, v22
	v_add_nc_u32_e32 v18, v7, v21
	s_wait_alu 0xfffd
	s_delay_alu instid0(VALU_DEP_3)
	v_dual_cndmask_b32 v11, v11, v20 :: v_dual_lshlrev_b32 v10, 2, v10
	v_cmp_eq_u32_e32 vcc_lo, 1, v9
	s_wait_alu 0xfffd
	v_cndmask_b32_e32 v9, v12, v19, vcc_lo
	v_cmp_eq_u32_e32 vcc_lo, 1, v15
	v_sub_nc_u32_e32 v12, v90, v18
	v_and_b32_e32 v15, 1, v53
	s_delay_alu instid0(VALU_DEP_4) | instskip(SKIP_1) | instid1(VALU_DEP_3)
	v_lshlrev_b32_e32 v9, 2, v9
	s_wait_alu 0xfffd
	v_dual_cndmask_b32 v11, v11, v17 :: v_dual_add_nc_u32 v12, 12, v12
	v_and_b32_e32 v17, 1, v54
	v_cmp_eq_u32_e32 vcc_lo, 1, v15
	s_delay_alu instid0(VALU_DEP_3)
	v_lshlrev_b32_e32 v11, 2, v11
	ds_store_b32 v10, v16
	ds_store_b32 v9, v13
	;; [unrolled: 1-line block ×3, first 2 shown]
	s_wait_alu 0xfffd
	v_cndmask_b32_e32 v12, v12, v21, vcc_lo
	v_cmp_eq_u32_e32 vcc_lo, 1, v17
	v_add_co_u32 v9, s0, v6, v87
	s_wait_alu 0xf1ff
	v_add_co_ci_u32_e64 v10, null, 0, 0, s0
	s_wait_alu 0xfffd
	v_cndmask_b32_e32 v7, v12, v7, vcc_lo
	v_add_co_u32 v9, vcc_lo, v9, v46
	s_wait_alu 0xfffd
	v_add_co_ci_u32_e64 v10, null, v10, v47, vcc_lo
	s_delay_alu instid0(VALU_DEP_3)
	v_lshlrev_b32_e32 v7, 2, v7
	v_add_co_u32 v11, s0, s34, v43
	v_add_co_u32 v9, vcc_lo, v9, v1
	s_wait_alu 0xf1ff
	v_add_co_ci_u32_e64 v12, null, s35, 0, s0
	s_wait_alu 0xfffd
	v_add_co_ci_u32_e64 v10, null, v10, v2, vcc_lo
	ds_store_b32 v7, v45
	v_sub_co_u32 v7, vcc_lo, v11, v9
	s_wait_alu 0xfffd
	v_sub_co_ci_u32_e64 v13, null, v12, v10, vcc_lo
	v_lshlrev_b64_e32 v[9:10], 2, v[46:47]
	v_lshlrev_b64_e32 v[11:12], 2, v[1:2]
	v_add_nc_u32_e32 v14, v5, v6
	s_wait_loadcnt_dscnt 0x0
	s_barrier_signal -1
	s_barrier_wait -1
	v_add_co_u32 v9, vcc_lo, s30, v9
	s_wait_alu 0xfffd
	v_add_co_ci_u32_e64 v10, null, s31, v10, vcc_lo
	v_cmp_ne_u32_e32 vcc_lo, 1, v44
	v_add_co_u32 v11, s0, s28, v11
	s_wait_alu 0xf1ff
	v_add_co_ci_u32_e64 v12, null, s29, v12, s0
	s_mov_b32 s0, -1
	global_inv scope:SCOPE_SE
	s_cbranch_vccz .LBB462_154
; %bb.151:
	s_wait_alu 0xfffe
	s_and_b32 vcc_lo, exec_lo, s0
	s_wait_alu 0xfffe
	s_cbranch_vccnz .LBB462_259
.LBB462_152:
	s_and_b32 s0, s2, s26
	s_wait_alu 0xfffe
	s_and_saveexec_b32 s1, s0
	s_cbranch_execnz .LBB462_377
.LBB462_153:
	s_nop 0
	s_sendmsg sendmsg(MSG_DEALLOC_VGPRS)
	s_endpgm
.LBB462_154:
	s_mov_b32 s0, exec_lo
	v_cmpx_ge_u32_e64 v0, v5
	s_wait_alu 0xfffe
	s_xor_b32 s0, exec_lo, s0
	s_cbranch_execz .LBB462_160
; %bb.155:
	s_mov_b32 s1, exec_lo
	v_cmpx_ge_u32_e64 v0, v14
	s_wait_alu 0xfffe
	s_xor_b32 s1, exec_lo, s1
	s_cbranch_execz .LBB462_157
; %bb.156:
	v_lshlrev_b32_e32 v15, 2, v0
	ds_load_b32 v17, v15
	v_add_co_u32 v15, vcc_lo, v7, v0
	s_wait_alu 0xfffd
	v_add_co_ci_u32_e64 v16, null, 0, v13, vcc_lo
	s_delay_alu instid0(VALU_DEP_1) | instskip(NEXT) | instid1(VALU_DEP_1)
	v_lshlrev_b64_e32 v[15:16], 2, v[15:16]
	v_sub_co_u32 v15, vcc_lo, s14, v15
	s_wait_alu 0xfffd
	s_delay_alu instid0(VALU_DEP_2)
	v_sub_co_ci_u32_e64 v16, null, s15, v16, vcc_lo
	s_wait_dscnt 0x0
	global_store_b32 v[15:16], v17, off offset:-4
.LBB462_157:
	s_wait_alu 0xfffe
	s_and_not1_saveexec_b32 s1, s1
	s_cbranch_execz .LBB462_159
; %bb.158:
	v_lshlrev_b32_e32 v15, 2, v0
	v_readfirstlane_b32 s4, v9
	v_readfirstlane_b32 s5, v10
	ds_load_b32 v16, v15
	s_wait_dscnt 0x0
	global_store_b32 v15, v16, s[4:5]
.LBB462_159:
	s_wait_alu 0xfffe
	s_or_b32 exec_lo, exec_lo, s1
.LBB462_160:
	s_wait_alu 0xfffe
	s_and_not1_saveexec_b32 s0, s0
	s_cbranch_execz .LBB462_162
; %bb.161:
	v_lshlrev_b32_e32 v15, 2, v0
	v_readfirstlane_b32 s4, v11
	v_readfirstlane_b32 s5, v12
	ds_load_b32 v16, v15
	s_wait_dscnt 0x0
	global_store_b32 v15, v16, s[4:5]
.LBB462_162:
	s_wait_alu 0xfffe
	s_or_b32 exec_lo, exec_lo, s0
	s_delay_alu instid0(SALU_CYCLE_1)
	s_mov_b32 s0, exec_lo
	v_cmpx_ge_u32_e64 v42, v5
	s_wait_alu 0xfffe
	s_xor_b32 s0, exec_lo, s0
	s_cbranch_execz .LBB462_168
; %bb.163:
	s_mov_b32 s1, exec_lo
	v_cmpx_ge_u32_e64 v42, v14
	s_wait_alu 0xfffe
	s_xor_b32 s1, exec_lo, s1
	s_cbranch_execz .LBB462_165
; %bb.164:
	v_lshlrev_b32_e32 v15, 2, v0
	ds_load_b32 v17, v15 offset:1024
	v_add_co_u32 v15, vcc_lo, v7, v0
	s_wait_alu 0xfffd
	v_add_co_ci_u32_e64 v16, null, 0, v13, vcc_lo
	s_delay_alu instid0(VALU_DEP_1) | instskip(NEXT) | instid1(VALU_DEP_1)
	v_lshlrev_b64_e32 v[15:16], 2, v[15:16]
	v_sub_co_u32 v15, vcc_lo, s14, v15
	s_wait_alu 0xfffd
	s_delay_alu instid0(VALU_DEP_2)
	v_sub_co_ci_u32_e64 v16, null, s15, v16, vcc_lo
	s_wait_dscnt 0x0
	global_store_b32 v[15:16], v17, off offset:-1028
.LBB462_165:
	s_wait_alu 0xfffe
	s_and_not1_saveexec_b32 s1, s1
	s_cbranch_execz .LBB462_167
; %bb.166:
	v_lshlrev_b32_e32 v15, 2, v0
	v_readfirstlane_b32 s4, v9
	v_readfirstlane_b32 s5, v10
	ds_load_b32 v16, v15 offset:1024
	s_wait_dscnt 0x0
	global_store_b32 v15, v16, s[4:5] offset:1024
.LBB462_167:
	s_wait_alu 0xfffe
	s_or_b32 exec_lo, exec_lo, s1
.LBB462_168:
	s_wait_alu 0xfffe
	s_and_not1_saveexec_b32 s0, s0
	s_cbranch_execz .LBB462_170
; %bb.169:
	v_lshlrev_b32_e32 v15, 2, v0
	v_readfirstlane_b32 s4, v11
	v_readfirstlane_b32 s5, v12
	ds_load_b32 v16, v15 offset:1024
	s_wait_dscnt 0x0
	global_store_b32 v15, v16, s[4:5] offset:1024
.LBB462_170:
	s_wait_alu 0xfffe
	s_or_b32 exec_lo, exec_lo, s0
	s_delay_alu instid0(SALU_CYCLE_1)
	s_mov_b32 s0, exec_lo
	v_cmpx_ge_u32_e64 v41, v5
	s_wait_alu 0xfffe
	s_xor_b32 s0, exec_lo, s0
	s_cbranch_execz .LBB462_176
; %bb.171:
	s_mov_b32 s1, exec_lo
	v_cmpx_ge_u32_e64 v41, v14
	s_wait_alu 0xfffe
	s_xor_b32 s1, exec_lo, s1
	s_cbranch_execz .LBB462_173
; %bb.172:
	v_lshlrev_b32_e32 v15, 2, v0
	ds_load_b32 v17, v15 offset:2048
	v_add_co_u32 v15, vcc_lo, v7, v0
	s_wait_alu 0xfffd
	v_add_co_ci_u32_e64 v16, null, 0, v13, vcc_lo
	s_delay_alu instid0(VALU_DEP_1) | instskip(NEXT) | instid1(VALU_DEP_1)
	v_lshlrev_b64_e32 v[15:16], 2, v[15:16]
	v_sub_co_u32 v15, vcc_lo, s14, v15
	s_wait_alu 0xfffd
	s_delay_alu instid0(VALU_DEP_2)
	v_sub_co_ci_u32_e64 v16, null, s15, v16, vcc_lo
	s_wait_dscnt 0x0
	global_store_b32 v[15:16], v17, off offset:-2052
.LBB462_173:
	s_wait_alu 0xfffe
	s_and_not1_saveexec_b32 s1, s1
	s_cbranch_execz .LBB462_175
; %bb.174:
	v_lshlrev_b32_e32 v15, 2, v0
	v_readfirstlane_b32 s4, v9
	v_readfirstlane_b32 s5, v10
	ds_load_b32 v16, v15 offset:2048
	s_wait_dscnt 0x0
	global_store_b32 v15, v16, s[4:5] offset:2048
.LBB462_175:
	s_wait_alu 0xfffe
	s_or_b32 exec_lo, exec_lo, s1
.LBB462_176:
	s_wait_alu 0xfffe
	s_and_not1_saveexec_b32 s0, s0
	s_cbranch_execz .LBB462_178
; %bb.177:
	v_lshlrev_b32_e32 v15, 2, v0
	v_readfirstlane_b32 s4, v11
	v_readfirstlane_b32 s5, v12
	ds_load_b32 v16, v15 offset:2048
	s_wait_dscnt 0x0
	global_store_b32 v15, v16, s[4:5] offset:2048
.LBB462_178:
	;; [unrolled: 54-line block ×12, first 2 shown]
	s_wait_alu 0xfffe
	s_or_b32 exec_lo, exec_lo, s0
	s_branch .LBB462_152
.LBB462_259:
	s_mov_b32 s0, exec_lo
	v_cmpx_gt_u32_e64 s27, v0
	s_cbranch_execz .LBB462_268
; %bb.260:
	s_mov_b32 s1, exec_lo
	v_cmpx_ge_u32_e64 v0, v5
	s_wait_alu 0xfffe
	s_xor_b32 s1, exec_lo, s1
	s_cbranch_execz .LBB462_266
; %bb.261:
	s_mov_b32 s3, exec_lo
	v_cmpx_ge_u32_e64 v0, v14
	s_wait_alu 0xfffe
	s_xor_b32 s3, exec_lo, s3
	s_cbranch_execz .LBB462_263
; %bb.262:
	v_lshlrev_b32_e32 v15, 2, v0
	ds_load_b32 v17, v15
	v_add_co_u32 v15, vcc_lo, v7, v0
	s_wait_alu 0xfffd
	v_add_co_ci_u32_e64 v16, null, 0, v13, vcc_lo
	s_delay_alu instid0(VALU_DEP_1) | instskip(NEXT) | instid1(VALU_DEP_1)
	v_lshlrev_b64_e32 v[15:16], 2, v[15:16]
	v_sub_co_u32 v15, vcc_lo, s14, v15
	s_wait_alu 0xfffd
	s_delay_alu instid0(VALU_DEP_2)
	v_sub_co_ci_u32_e64 v16, null, s15, v16, vcc_lo
	s_wait_dscnt 0x0
	global_store_b32 v[15:16], v17, off offset:-4
.LBB462_263:
	s_wait_alu 0xfffe
	s_and_not1_saveexec_b32 s3, s3
	s_cbranch_execz .LBB462_265
; %bb.264:
	v_lshlrev_b32_e32 v15, 2, v0
	v_readfirstlane_b32 s4, v9
	v_readfirstlane_b32 s5, v10
	ds_load_b32 v16, v15
	s_wait_dscnt 0x0
	global_store_b32 v15, v16, s[4:5]
.LBB462_265:
	s_wait_alu 0xfffe
	s_or_b32 exec_lo, exec_lo, s3
.LBB462_266:
	s_wait_alu 0xfffe
	s_and_not1_saveexec_b32 s1, s1
	s_cbranch_execz .LBB462_268
; %bb.267:
	v_lshlrev_b32_e32 v15, 2, v0
	v_readfirstlane_b32 s4, v11
	v_readfirstlane_b32 s5, v12
	ds_load_b32 v16, v15
	s_wait_dscnt 0x0
	global_store_b32 v15, v16, s[4:5]
.LBB462_268:
	s_wait_alu 0xfffe
	s_or_b32 exec_lo, exec_lo, s0
	s_delay_alu instid0(SALU_CYCLE_1)
	s_mov_b32 s0, exec_lo
	v_cmpx_gt_u32_e64 s27, v42
	s_cbranch_execz .LBB462_277
; %bb.269:
	s_mov_b32 s1, exec_lo
	v_cmpx_ge_u32_e64 v42, v5
	s_wait_alu 0xfffe
	s_xor_b32 s1, exec_lo, s1
	s_cbranch_execz .LBB462_275
; %bb.270:
	s_mov_b32 s3, exec_lo
	v_cmpx_ge_u32_e64 v42, v14
	s_wait_alu 0xfffe
	s_xor_b32 s3, exec_lo, s3
	s_cbranch_execz .LBB462_272
; %bb.271:
	v_lshlrev_b32_e32 v15, 2, v0
	ds_load_b32 v17, v15 offset:1024
	v_add_co_u32 v15, vcc_lo, v7, v0
	s_wait_alu 0xfffd
	v_add_co_ci_u32_e64 v16, null, 0, v13, vcc_lo
	s_delay_alu instid0(VALU_DEP_1) | instskip(NEXT) | instid1(VALU_DEP_1)
	v_lshlrev_b64_e32 v[15:16], 2, v[15:16]
	v_sub_co_u32 v15, vcc_lo, s14, v15
	s_wait_alu 0xfffd
	s_delay_alu instid0(VALU_DEP_2)
	v_sub_co_ci_u32_e64 v16, null, s15, v16, vcc_lo
	s_wait_dscnt 0x0
	global_store_b32 v[15:16], v17, off offset:-1028
.LBB462_272:
	s_wait_alu 0xfffe
	s_and_not1_saveexec_b32 s3, s3
	s_cbranch_execz .LBB462_274
; %bb.273:
	v_lshlrev_b32_e32 v15, 2, v0
	v_readfirstlane_b32 s4, v9
	v_readfirstlane_b32 s5, v10
	ds_load_b32 v16, v15 offset:1024
	s_wait_dscnt 0x0
	global_store_b32 v15, v16, s[4:5] offset:1024
.LBB462_274:
	s_wait_alu 0xfffe
	s_or_b32 exec_lo, exec_lo, s3
.LBB462_275:
	s_wait_alu 0xfffe
	s_and_not1_saveexec_b32 s1, s1
	s_cbranch_execz .LBB462_277
; %bb.276:
	v_lshlrev_b32_e32 v15, 2, v0
	v_readfirstlane_b32 s4, v11
	v_readfirstlane_b32 s5, v12
	ds_load_b32 v16, v15 offset:1024
	s_wait_dscnt 0x0
	global_store_b32 v15, v16, s[4:5] offset:1024
.LBB462_277:
	s_wait_alu 0xfffe
	s_or_b32 exec_lo, exec_lo, s0
	s_delay_alu instid0(SALU_CYCLE_1)
	s_mov_b32 s0, exec_lo
	v_cmpx_gt_u32_e64 s27, v41
	s_cbranch_execz .LBB462_286
; %bb.278:
	s_mov_b32 s1, exec_lo
	v_cmpx_ge_u32_e64 v41, v5
	s_wait_alu 0xfffe
	s_xor_b32 s1, exec_lo, s1
	s_cbranch_execz .LBB462_284
; %bb.279:
	s_mov_b32 s3, exec_lo
	v_cmpx_ge_u32_e64 v41, v14
	s_wait_alu 0xfffe
	s_xor_b32 s3, exec_lo, s3
	s_cbranch_execz .LBB462_281
; %bb.280:
	v_lshlrev_b32_e32 v15, 2, v0
	ds_load_b32 v17, v15 offset:2048
	v_add_co_u32 v15, vcc_lo, v7, v0
	s_wait_alu 0xfffd
	v_add_co_ci_u32_e64 v16, null, 0, v13, vcc_lo
	s_delay_alu instid0(VALU_DEP_1) | instskip(NEXT) | instid1(VALU_DEP_1)
	v_lshlrev_b64_e32 v[15:16], 2, v[15:16]
	v_sub_co_u32 v15, vcc_lo, s14, v15
	s_wait_alu 0xfffd
	s_delay_alu instid0(VALU_DEP_2)
	v_sub_co_ci_u32_e64 v16, null, s15, v16, vcc_lo
	s_wait_dscnt 0x0
	global_store_b32 v[15:16], v17, off offset:-2052
.LBB462_281:
	s_wait_alu 0xfffe
	s_and_not1_saveexec_b32 s3, s3
	s_cbranch_execz .LBB462_283
; %bb.282:
	v_lshlrev_b32_e32 v15, 2, v0
	v_readfirstlane_b32 s4, v9
	v_readfirstlane_b32 s5, v10
	ds_load_b32 v16, v15 offset:2048
	s_wait_dscnt 0x0
	global_store_b32 v15, v16, s[4:5] offset:2048
.LBB462_283:
	s_wait_alu 0xfffe
	s_or_b32 exec_lo, exec_lo, s3
.LBB462_284:
	s_wait_alu 0xfffe
	s_and_not1_saveexec_b32 s1, s1
	s_cbranch_execz .LBB462_286
; %bb.285:
	v_lshlrev_b32_e32 v15, 2, v0
	v_readfirstlane_b32 s4, v11
	v_readfirstlane_b32 s5, v12
	ds_load_b32 v16, v15 offset:2048
	s_wait_dscnt 0x0
	global_store_b32 v15, v16, s[4:5] offset:2048
.LBB462_286:
	;; [unrolled: 58-line block ×11, first 2 shown]
	s_wait_alu 0xfffe
	s_or_b32 exec_lo, exec_lo, s0
	s_delay_alu instid0(SALU_CYCLE_1)
	s_mov_b32 s0, exec_lo
	v_cmpx_gt_u32_e64 s27, v31
	s_cbranch_execz .LBB462_376
; %bb.368:
	s_mov_b32 s1, exec_lo
	v_cmpx_ge_u32_e64 v31, v5
	s_wait_alu 0xfffe
	s_xor_b32 s1, exec_lo, s1
	s_cbranch_execz .LBB462_374
; %bb.369:
	s_mov_b32 s3, exec_lo
	v_cmpx_ge_u32_e64 v31, v14
	s_wait_alu 0xfffe
	s_xor_b32 s3, exec_lo, s3
	s_cbranch_execz .LBB462_371
; %bb.370:
	v_lshlrev_b32_e32 v9, 2, v0
	ds_load_b32 v11, v9 offset:12288
	v_add_co_u32 v9, vcc_lo, v7, v0
	s_wait_alu 0xfffd
	v_add_co_ci_u32_e64 v10, null, 0, v13, vcc_lo
                                        ; implicit-def: $vgpr0
	s_delay_alu instid0(VALU_DEP_1) | instskip(NEXT) | instid1(VALU_DEP_1)
	v_lshlrev_b64_e32 v[9:10], 2, v[9:10]
	v_sub_co_u32 v9, vcc_lo, s14, v9
	s_wait_alu 0xfffd
	s_delay_alu instid0(VALU_DEP_2)
	v_sub_co_ci_u32_e64 v10, null, s15, v10, vcc_lo
	s_wait_dscnt 0x0
	global_store_b32 v[9:10], v11, off offset:-12292
                                        ; implicit-def: $vgpr9_vgpr10
.LBB462_371:
	s_wait_alu 0xfffe
	s_and_not1_saveexec_b32 s3, s3
	s_cbranch_execz .LBB462_373
; %bb.372:
	v_lshlrev_b32_e32 v0, 2, v0
	v_readfirstlane_b32 s4, v9
	v_readfirstlane_b32 s5, v10
	ds_load_b32 v7, v0 offset:12288
	s_wait_dscnt 0x0
	global_store_b32 v0, v7, s[4:5] offset:12288
.LBB462_373:
	s_wait_alu 0xfffe
	s_or_b32 exec_lo, exec_lo, s3
                                        ; implicit-def: $vgpr0
                                        ; implicit-def: $vgpr11_vgpr12
.LBB462_374:
	s_wait_alu 0xfffe
	s_and_not1_saveexec_b32 s1, s1
	s_cbranch_execz .LBB462_376
; %bb.375:
	v_lshlrev_b32_e32 v0, 2, v0
	v_readfirstlane_b32 s4, v11
	v_readfirstlane_b32 s5, v12
	ds_load_b32 v7, v0 offset:12288
	s_wait_dscnt 0x0
	global_store_b32 v0, v7, s[4:5] offset:12288
.LBB462_376:
	s_wait_alu 0xfffe
	s_or_b32 exec_lo, exec_lo, s0
	s_and_b32 s0, s2, s26
	s_wait_alu 0xfffe
	s_and_saveexec_b32 s1, s0
	s_cbranch_execz .LBB462_153
.LBB462_377:
	v_add_co_u32 v0, vcc_lo, v3, v6
	s_wait_alu 0xfffd
	v_add_co_ci_u32_e64 v4, null, 0, v4, vcc_lo
	v_mov_b32_e32 v6, 0
	s_delay_alu instid0(VALU_DEP_3) | instskip(SKIP_1) | instid1(VALU_DEP_3)
	v_add_co_u32 v3, vcc_lo, v0, v8
	s_wait_alu 0xfffd
	v_add_co_ci_u32_e64 v4, null, 0, v4, vcc_lo
	v_add_co_u32 v1, vcc_lo, v1, v5
	s_wait_alu 0xfffd
	v_add_co_ci_u32_e64 v2, null, 0, v2, vcc_lo
	global_store_b128 v6, v[1:4], s[24:25]
	s_nop 0
	s_sendmsg sendmsg(MSG_DEALLOC_VGPRS)
	s_endpgm
.LBB462_378:
	s_add_co_i32 s6, s33, 32
	s_mov_b32 s7, 0
	v_dual_mov_b32 v11, 2 :: v_dual_add_nc_u32 v10, v8, v6
	s_wait_alu 0xfffe
	s_lshl_b64 s[6:7], s[6:7], 4
	v_dual_mov_b32 v12, 0 :: v_dual_add_nc_u32 v9, v7, v5
	s_wait_alu 0xfffe
	s_add_nc_u64 s[6:7], s[36:37], s[6:7]
	s_wait_alu 0xfffe
	v_dual_mov_b32 v28, s7 :: v_dual_mov_b32 v27, s6
	;;#ASMSTART
	global_store_b128 v[27:28], v[9:12] off scope:SCOPE_DEV	
s_wait_storecnt 0x0
	;;#ASMEND
	s_or_b32 exec_lo, exec_lo, s5
	s_and_saveexec_b32 s5, s3
	s_cbranch_execz .LBB462_138
.LBB462_379:
	v_mov_b32_e32 v9, 0
	ds_store_b128 v9, v[5:8] offset:13312
	s_wait_alu 0xfffe
	s_or_b32 exec_lo, exec_lo, s5
	s_delay_alu instid0(SALU_CYCLE_1)
	s_and_b32 exec_lo, exec_lo, s2
	s_cbranch_execnz .LBB462_139
	s_branch .LBB462_140
	.section	.rodata,"a",@progbits
	.p2align	6, 0x0
	.amdhsa_kernel _ZN7rocprim17ROCPRIM_400000_NS6detail17trampoline_kernelINS0_13select_configILj256ELj13ELNS0_17block_load_methodE3ELS4_3ELS4_3ELNS0_20block_scan_algorithmE0ELj4294967295EEENS1_25partition_config_selectorILNS1_17partition_subalgoE4EjNS0_10empty_typeEbEEZZNS1_14partition_implILS8_4ELb0ES6_15HIP_vector_typeIjLj2EENS0_17counting_iteratorIjlEEPS9_SG_NS0_5tupleIJPjSI_NS0_16reverse_iteratorISI_EEEEENSH_IJSG_SG_SG_EEES9_SI_JZNS1_25segmented_radix_sort_implINS0_14default_configELb1EPKiPiPKlPlN2at6native12_GLOBAL__N_18offset_tEEE10hipError_tPvRmT1_PNSt15iterator_traitsIS12_E10value_typeET2_T3_PNS13_IS18_E10value_typeET4_jRbjT5_S1E_jjP12ihipStream_tbEUljE_ZNSN_ISO_Lb1ESQ_SR_ST_SU_SY_EESZ_S10_S11_S12_S16_S17_S18_S1B_S1C_jS1D_jS1E_S1E_jjS1G_bEUljE0_EEESZ_S10_S11_S18_S1C_S1E_T6_T7_T9_mT8_S1G_bDpT10_ENKUlT_T0_E_clISt17integral_constantIbLb0EES1T_IbLb1EEEEDaS1P_S1Q_EUlS1P_E_NS1_11comp_targetILNS1_3genE10ELNS1_11target_archE1200ELNS1_3gpuE4ELNS1_3repE0EEENS1_30default_config_static_selectorELNS0_4arch9wavefront6targetE0EEEvS12_
		.amdhsa_group_segment_fixed_size 13328
		.amdhsa_private_segment_fixed_size 0
		.amdhsa_kernarg_size 184
		.amdhsa_user_sgpr_count 2
		.amdhsa_user_sgpr_dispatch_ptr 0
		.amdhsa_user_sgpr_queue_ptr 0
		.amdhsa_user_sgpr_kernarg_segment_ptr 1
		.amdhsa_user_sgpr_dispatch_id 0
		.amdhsa_user_sgpr_private_segment_size 0
		.amdhsa_wavefront_size32 1
		.amdhsa_uses_dynamic_stack 0
		.amdhsa_enable_private_segment 0
		.amdhsa_system_sgpr_workgroup_id_x 1
		.amdhsa_system_sgpr_workgroup_id_y 0
		.amdhsa_system_sgpr_workgroup_id_z 0
		.amdhsa_system_sgpr_workgroup_info 0
		.amdhsa_system_vgpr_workitem_id 0
		.amdhsa_next_free_vgpr 98
		.amdhsa_next_free_sgpr 55
		.amdhsa_reserve_vcc 1
		.amdhsa_float_round_mode_32 0
		.amdhsa_float_round_mode_16_64 0
		.amdhsa_float_denorm_mode_32 3
		.amdhsa_float_denorm_mode_16_64 3
		.amdhsa_fp16_overflow 0
		.amdhsa_workgroup_processor_mode 1
		.amdhsa_memory_ordered 1
		.amdhsa_forward_progress 1
		.amdhsa_inst_pref_size 151
		.amdhsa_round_robin_scheduling 0
		.amdhsa_exception_fp_ieee_invalid_op 0
		.amdhsa_exception_fp_denorm_src 0
		.amdhsa_exception_fp_ieee_div_zero 0
		.amdhsa_exception_fp_ieee_overflow 0
		.amdhsa_exception_fp_ieee_underflow 0
		.amdhsa_exception_fp_ieee_inexact 0
		.amdhsa_exception_int_div_zero 0
	.end_amdhsa_kernel
	.section	.text._ZN7rocprim17ROCPRIM_400000_NS6detail17trampoline_kernelINS0_13select_configILj256ELj13ELNS0_17block_load_methodE3ELS4_3ELS4_3ELNS0_20block_scan_algorithmE0ELj4294967295EEENS1_25partition_config_selectorILNS1_17partition_subalgoE4EjNS0_10empty_typeEbEEZZNS1_14partition_implILS8_4ELb0ES6_15HIP_vector_typeIjLj2EENS0_17counting_iteratorIjlEEPS9_SG_NS0_5tupleIJPjSI_NS0_16reverse_iteratorISI_EEEEENSH_IJSG_SG_SG_EEES9_SI_JZNS1_25segmented_radix_sort_implINS0_14default_configELb1EPKiPiPKlPlN2at6native12_GLOBAL__N_18offset_tEEE10hipError_tPvRmT1_PNSt15iterator_traitsIS12_E10value_typeET2_T3_PNS13_IS18_E10value_typeET4_jRbjT5_S1E_jjP12ihipStream_tbEUljE_ZNSN_ISO_Lb1ESQ_SR_ST_SU_SY_EESZ_S10_S11_S12_S16_S17_S18_S1B_S1C_jS1D_jS1E_S1E_jjS1G_bEUljE0_EEESZ_S10_S11_S18_S1C_S1E_T6_T7_T9_mT8_S1G_bDpT10_ENKUlT_T0_E_clISt17integral_constantIbLb0EES1T_IbLb1EEEEDaS1P_S1Q_EUlS1P_E_NS1_11comp_targetILNS1_3genE10ELNS1_11target_archE1200ELNS1_3gpuE4ELNS1_3repE0EEENS1_30default_config_static_selectorELNS0_4arch9wavefront6targetE0EEEvS12_,"axG",@progbits,_ZN7rocprim17ROCPRIM_400000_NS6detail17trampoline_kernelINS0_13select_configILj256ELj13ELNS0_17block_load_methodE3ELS4_3ELS4_3ELNS0_20block_scan_algorithmE0ELj4294967295EEENS1_25partition_config_selectorILNS1_17partition_subalgoE4EjNS0_10empty_typeEbEEZZNS1_14partition_implILS8_4ELb0ES6_15HIP_vector_typeIjLj2EENS0_17counting_iteratorIjlEEPS9_SG_NS0_5tupleIJPjSI_NS0_16reverse_iteratorISI_EEEEENSH_IJSG_SG_SG_EEES9_SI_JZNS1_25segmented_radix_sort_implINS0_14default_configELb1EPKiPiPKlPlN2at6native12_GLOBAL__N_18offset_tEEE10hipError_tPvRmT1_PNSt15iterator_traitsIS12_E10value_typeET2_T3_PNS13_IS18_E10value_typeET4_jRbjT5_S1E_jjP12ihipStream_tbEUljE_ZNSN_ISO_Lb1ESQ_SR_ST_SU_SY_EESZ_S10_S11_S12_S16_S17_S18_S1B_S1C_jS1D_jS1E_S1E_jjS1G_bEUljE0_EEESZ_S10_S11_S18_S1C_S1E_T6_T7_T9_mT8_S1G_bDpT10_ENKUlT_T0_E_clISt17integral_constantIbLb0EES1T_IbLb1EEEEDaS1P_S1Q_EUlS1P_E_NS1_11comp_targetILNS1_3genE10ELNS1_11target_archE1200ELNS1_3gpuE4ELNS1_3repE0EEENS1_30default_config_static_selectorELNS0_4arch9wavefront6targetE0EEEvS12_,comdat
.Lfunc_end462:
	.size	_ZN7rocprim17ROCPRIM_400000_NS6detail17trampoline_kernelINS0_13select_configILj256ELj13ELNS0_17block_load_methodE3ELS4_3ELS4_3ELNS0_20block_scan_algorithmE0ELj4294967295EEENS1_25partition_config_selectorILNS1_17partition_subalgoE4EjNS0_10empty_typeEbEEZZNS1_14partition_implILS8_4ELb0ES6_15HIP_vector_typeIjLj2EENS0_17counting_iteratorIjlEEPS9_SG_NS0_5tupleIJPjSI_NS0_16reverse_iteratorISI_EEEEENSH_IJSG_SG_SG_EEES9_SI_JZNS1_25segmented_radix_sort_implINS0_14default_configELb1EPKiPiPKlPlN2at6native12_GLOBAL__N_18offset_tEEE10hipError_tPvRmT1_PNSt15iterator_traitsIS12_E10value_typeET2_T3_PNS13_IS18_E10value_typeET4_jRbjT5_S1E_jjP12ihipStream_tbEUljE_ZNSN_ISO_Lb1ESQ_SR_ST_SU_SY_EESZ_S10_S11_S12_S16_S17_S18_S1B_S1C_jS1D_jS1E_S1E_jjS1G_bEUljE0_EEESZ_S10_S11_S18_S1C_S1E_T6_T7_T9_mT8_S1G_bDpT10_ENKUlT_T0_E_clISt17integral_constantIbLb0EES1T_IbLb1EEEEDaS1P_S1Q_EUlS1P_E_NS1_11comp_targetILNS1_3genE10ELNS1_11target_archE1200ELNS1_3gpuE4ELNS1_3repE0EEENS1_30default_config_static_selectorELNS0_4arch9wavefront6targetE0EEEvS12_, .Lfunc_end462-_ZN7rocprim17ROCPRIM_400000_NS6detail17trampoline_kernelINS0_13select_configILj256ELj13ELNS0_17block_load_methodE3ELS4_3ELS4_3ELNS0_20block_scan_algorithmE0ELj4294967295EEENS1_25partition_config_selectorILNS1_17partition_subalgoE4EjNS0_10empty_typeEbEEZZNS1_14partition_implILS8_4ELb0ES6_15HIP_vector_typeIjLj2EENS0_17counting_iteratorIjlEEPS9_SG_NS0_5tupleIJPjSI_NS0_16reverse_iteratorISI_EEEEENSH_IJSG_SG_SG_EEES9_SI_JZNS1_25segmented_radix_sort_implINS0_14default_configELb1EPKiPiPKlPlN2at6native12_GLOBAL__N_18offset_tEEE10hipError_tPvRmT1_PNSt15iterator_traitsIS12_E10value_typeET2_T3_PNS13_IS18_E10value_typeET4_jRbjT5_S1E_jjP12ihipStream_tbEUljE_ZNSN_ISO_Lb1ESQ_SR_ST_SU_SY_EESZ_S10_S11_S12_S16_S17_S18_S1B_S1C_jS1D_jS1E_S1E_jjS1G_bEUljE0_EEESZ_S10_S11_S18_S1C_S1E_T6_T7_T9_mT8_S1G_bDpT10_ENKUlT_T0_E_clISt17integral_constantIbLb0EES1T_IbLb1EEEEDaS1P_S1Q_EUlS1P_E_NS1_11comp_targetILNS1_3genE10ELNS1_11target_archE1200ELNS1_3gpuE4ELNS1_3repE0EEENS1_30default_config_static_selectorELNS0_4arch9wavefront6targetE0EEEvS12_
                                        ; -- End function
	.set _ZN7rocprim17ROCPRIM_400000_NS6detail17trampoline_kernelINS0_13select_configILj256ELj13ELNS0_17block_load_methodE3ELS4_3ELS4_3ELNS0_20block_scan_algorithmE0ELj4294967295EEENS1_25partition_config_selectorILNS1_17partition_subalgoE4EjNS0_10empty_typeEbEEZZNS1_14partition_implILS8_4ELb0ES6_15HIP_vector_typeIjLj2EENS0_17counting_iteratorIjlEEPS9_SG_NS0_5tupleIJPjSI_NS0_16reverse_iteratorISI_EEEEENSH_IJSG_SG_SG_EEES9_SI_JZNS1_25segmented_radix_sort_implINS0_14default_configELb1EPKiPiPKlPlN2at6native12_GLOBAL__N_18offset_tEEE10hipError_tPvRmT1_PNSt15iterator_traitsIS12_E10value_typeET2_T3_PNS13_IS18_E10value_typeET4_jRbjT5_S1E_jjP12ihipStream_tbEUljE_ZNSN_ISO_Lb1ESQ_SR_ST_SU_SY_EESZ_S10_S11_S12_S16_S17_S18_S1B_S1C_jS1D_jS1E_S1E_jjS1G_bEUljE0_EEESZ_S10_S11_S18_S1C_S1E_T6_T7_T9_mT8_S1G_bDpT10_ENKUlT_T0_E_clISt17integral_constantIbLb0EES1T_IbLb1EEEEDaS1P_S1Q_EUlS1P_E_NS1_11comp_targetILNS1_3genE10ELNS1_11target_archE1200ELNS1_3gpuE4ELNS1_3repE0EEENS1_30default_config_static_selectorELNS0_4arch9wavefront6targetE0EEEvS12_.num_vgpr, 98
	.set _ZN7rocprim17ROCPRIM_400000_NS6detail17trampoline_kernelINS0_13select_configILj256ELj13ELNS0_17block_load_methodE3ELS4_3ELS4_3ELNS0_20block_scan_algorithmE0ELj4294967295EEENS1_25partition_config_selectorILNS1_17partition_subalgoE4EjNS0_10empty_typeEbEEZZNS1_14partition_implILS8_4ELb0ES6_15HIP_vector_typeIjLj2EENS0_17counting_iteratorIjlEEPS9_SG_NS0_5tupleIJPjSI_NS0_16reverse_iteratorISI_EEEEENSH_IJSG_SG_SG_EEES9_SI_JZNS1_25segmented_radix_sort_implINS0_14default_configELb1EPKiPiPKlPlN2at6native12_GLOBAL__N_18offset_tEEE10hipError_tPvRmT1_PNSt15iterator_traitsIS12_E10value_typeET2_T3_PNS13_IS18_E10value_typeET4_jRbjT5_S1E_jjP12ihipStream_tbEUljE_ZNSN_ISO_Lb1ESQ_SR_ST_SU_SY_EESZ_S10_S11_S12_S16_S17_S18_S1B_S1C_jS1D_jS1E_S1E_jjS1G_bEUljE0_EEESZ_S10_S11_S18_S1C_S1E_T6_T7_T9_mT8_S1G_bDpT10_ENKUlT_T0_E_clISt17integral_constantIbLb0EES1T_IbLb1EEEEDaS1P_S1Q_EUlS1P_E_NS1_11comp_targetILNS1_3genE10ELNS1_11target_archE1200ELNS1_3gpuE4ELNS1_3repE0EEENS1_30default_config_static_selectorELNS0_4arch9wavefront6targetE0EEEvS12_.num_agpr, 0
	.set _ZN7rocprim17ROCPRIM_400000_NS6detail17trampoline_kernelINS0_13select_configILj256ELj13ELNS0_17block_load_methodE3ELS4_3ELS4_3ELNS0_20block_scan_algorithmE0ELj4294967295EEENS1_25partition_config_selectorILNS1_17partition_subalgoE4EjNS0_10empty_typeEbEEZZNS1_14partition_implILS8_4ELb0ES6_15HIP_vector_typeIjLj2EENS0_17counting_iteratorIjlEEPS9_SG_NS0_5tupleIJPjSI_NS0_16reverse_iteratorISI_EEEEENSH_IJSG_SG_SG_EEES9_SI_JZNS1_25segmented_radix_sort_implINS0_14default_configELb1EPKiPiPKlPlN2at6native12_GLOBAL__N_18offset_tEEE10hipError_tPvRmT1_PNSt15iterator_traitsIS12_E10value_typeET2_T3_PNS13_IS18_E10value_typeET4_jRbjT5_S1E_jjP12ihipStream_tbEUljE_ZNSN_ISO_Lb1ESQ_SR_ST_SU_SY_EESZ_S10_S11_S12_S16_S17_S18_S1B_S1C_jS1D_jS1E_S1E_jjS1G_bEUljE0_EEESZ_S10_S11_S18_S1C_S1E_T6_T7_T9_mT8_S1G_bDpT10_ENKUlT_T0_E_clISt17integral_constantIbLb0EES1T_IbLb1EEEEDaS1P_S1Q_EUlS1P_E_NS1_11comp_targetILNS1_3genE10ELNS1_11target_archE1200ELNS1_3gpuE4ELNS1_3repE0EEENS1_30default_config_static_selectorELNS0_4arch9wavefront6targetE0EEEvS12_.numbered_sgpr, 55
	.set _ZN7rocprim17ROCPRIM_400000_NS6detail17trampoline_kernelINS0_13select_configILj256ELj13ELNS0_17block_load_methodE3ELS4_3ELS4_3ELNS0_20block_scan_algorithmE0ELj4294967295EEENS1_25partition_config_selectorILNS1_17partition_subalgoE4EjNS0_10empty_typeEbEEZZNS1_14partition_implILS8_4ELb0ES6_15HIP_vector_typeIjLj2EENS0_17counting_iteratorIjlEEPS9_SG_NS0_5tupleIJPjSI_NS0_16reverse_iteratorISI_EEEEENSH_IJSG_SG_SG_EEES9_SI_JZNS1_25segmented_radix_sort_implINS0_14default_configELb1EPKiPiPKlPlN2at6native12_GLOBAL__N_18offset_tEEE10hipError_tPvRmT1_PNSt15iterator_traitsIS12_E10value_typeET2_T3_PNS13_IS18_E10value_typeET4_jRbjT5_S1E_jjP12ihipStream_tbEUljE_ZNSN_ISO_Lb1ESQ_SR_ST_SU_SY_EESZ_S10_S11_S12_S16_S17_S18_S1B_S1C_jS1D_jS1E_S1E_jjS1G_bEUljE0_EEESZ_S10_S11_S18_S1C_S1E_T6_T7_T9_mT8_S1G_bDpT10_ENKUlT_T0_E_clISt17integral_constantIbLb0EES1T_IbLb1EEEEDaS1P_S1Q_EUlS1P_E_NS1_11comp_targetILNS1_3genE10ELNS1_11target_archE1200ELNS1_3gpuE4ELNS1_3repE0EEENS1_30default_config_static_selectorELNS0_4arch9wavefront6targetE0EEEvS12_.num_named_barrier, 0
	.set _ZN7rocprim17ROCPRIM_400000_NS6detail17trampoline_kernelINS0_13select_configILj256ELj13ELNS0_17block_load_methodE3ELS4_3ELS4_3ELNS0_20block_scan_algorithmE0ELj4294967295EEENS1_25partition_config_selectorILNS1_17partition_subalgoE4EjNS0_10empty_typeEbEEZZNS1_14partition_implILS8_4ELb0ES6_15HIP_vector_typeIjLj2EENS0_17counting_iteratorIjlEEPS9_SG_NS0_5tupleIJPjSI_NS0_16reverse_iteratorISI_EEEEENSH_IJSG_SG_SG_EEES9_SI_JZNS1_25segmented_radix_sort_implINS0_14default_configELb1EPKiPiPKlPlN2at6native12_GLOBAL__N_18offset_tEEE10hipError_tPvRmT1_PNSt15iterator_traitsIS12_E10value_typeET2_T3_PNS13_IS18_E10value_typeET4_jRbjT5_S1E_jjP12ihipStream_tbEUljE_ZNSN_ISO_Lb1ESQ_SR_ST_SU_SY_EESZ_S10_S11_S12_S16_S17_S18_S1B_S1C_jS1D_jS1E_S1E_jjS1G_bEUljE0_EEESZ_S10_S11_S18_S1C_S1E_T6_T7_T9_mT8_S1G_bDpT10_ENKUlT_T0_E_clISt17integral_constantIbLb0EES1T_IbLb1EEEEDaS1P_S1Q_EUlS1P_E_NS1_11comp_targetILNS1_3genE10ELNS1_11target_archE1200ELNS1_3gpuE4ELNS1_3repE0EEENS1_30default_config_static_selectorELNS0_4arch9wavefront6targetE0EEEvS12_.private_seg_size, 0
	.set _ZN7rocprim17ROCPRIM_400000_NS6detail17trampoline_kernelINS0_13select_configILj256ELj13ELNS0_17block_load_methodE3ELS4_3ELS4_3ELNS0_20block_scan_algorithmE0ELj4294967295EEENS1_25partition_config_selectorILNS1_17partition_subalgoE4EjNS0_10empty_typeEbEEZZNS1_14partition_implILS8_4ELb0ES6_15HIP_vector_typeIjLj2EENS0_17counting_iteratorIjlEEPS9_SG_NS0_5tupleIJPjSI_NS0_16reverse_iteratorISI_EEEEENSH_IJSG_SG_SG_EEES9_SI_JZNS1_25segmented_radix_sort_implINS0_14default_configELb1EPKiPiPKlPlN2at6native12_GLOBAL__N_18offset_tEEE10hipError_tPvRmT1_PNSt15iterator_traitsIS12_E10value_typeET2_T3_PNS13_IS18_E10value_typeET4_jRbjT5_S1E_jjP12ihipStream_tbEUljE_ZNSN_ISO_Lb1ESQ_SR_ST_SU_SY_EESZ_S10_S11_S12_S16_S17_S18_S1B_S1C_jS1D_jS1E_S1E_jjS1G_bEUljE0_EEESZ_S10_S11_S18_S1C_S1E_T6_T7_T9_mT8_S1G_bDpT10_ENKUlT_T0_E_clISt17integral_constantIbLb0EES1T_IbLb1EEEEDaS1P_S1Q_EUlS1P_E_NS1_11comp_targetILNS1_3genE10ELNS1_11target_archE1200ELNS1_3gpuE4ELNS1_3repE0EEENS1_30default_config_static_selectorELNS0_4arch9wavefront6targetE0EEEvS12_.uses_vcc, 1
	.set _ZN7rocprim17ROCPRIM_400000_NS6detail17trampoline_kernelINS0_13select_configILj256ELj13ELNS0_17block_load_methodE3ELS4_3ELS4_3ELNS0_20block_scan_algorithmE0ELj4294967295EEENS1_25partition_config_selectorILNS1_17partition_subalgoE4EjNS0_10empty_typeEbEEZZNS1_14partition_implILS8_4ELb0ES6_15HIP_vector_typeIjLj2EENS0_17counting_iteratorIjlEEPS9_SG_NS0_5tupleIJPjSI_NS0_16reverse_iteratorISI_EEEEENSH_IJSG_SG_SG_EEES9_SI_JZNS1_25segmented_radix_sort_implINS0_14default_configELb1EPKiPiPKlPlN2at6native12_GLOBAL__N_18offset_tEEE10hipError_tPvRmT1_PNSt15iterator_traitsIS12_E10value_typeET2_T3_PNS13_IS18_E10value_typeET4_jRbjT5_S1E_jjP12ihipStream_tbEUljE_ZNSN_ISO_Lb1ESQ_SR_ST_SU_SY_EESZ_S10_S11_S12_S16_S17_S18_S1B_S1C_jS1D_jS1E_S1E_jjS1G_bEUljE0_EEESZ_S10_S11_S18_S1C_S1E_T6_T7_T9_mT8_S1G_bDpT10_ENKUlT_T0_E_clISt17integral_constantIbLb0EES1T_IbLb1EEEEDaS1P_S1Q_EUlS1P_E_NS1_11comp_targetILNS1_3genE10ELNS1_11target_archE1200ELNS1_3gpuE4ELNS1_3repE0EEENS1_30default_config_static_selectorELNS0_4arch9wavefront6targetE0EEEvS12_.uses_flat_scratch, 0
	.set _ZN7rocprim17ROCPRIM_400000_NS6detail17trampoline_kernelINS0_13select_configILj256ELj13ELNS0_17block_load_methodE3ELS4_3ELS4_3ELNS0_20block_scan_algorithmE0ELj4294967295EEENS1_25partition_config_selectorILNS1_17partition_subalgoE4EjNS0_10empty_typeEbEEZZNS1_14partition_implILS8_4ELb0ES6_15HIP_vector_typeIjLj2EENS0_17counting_iteratorIjlEEPS9_SG_NS0_5tupleIJPjSI_NS0_16reverse_iteratorISI_EEEEENSH_IJSG_SG_SG_EEES9_SI_JZNS1_25segmented_radix_sort_implINS0_14default_configELb1EPKiPiPKlPlN2at6native12_GLOBAL__N_18offset_tEEE10hipError_tPvRmT1_PNSt15iterator_traitsIS12_E10value_typeET2_T3_PNS13_IS18_E10value_typeET4_jRbjT5_S1E_jjP12ihipStream_tbEUljE_ZNSN_ISO_Lb1ESQ_SR_ST_SU_SY_EESZ_S10_S11_S12_S16_S17_S18_S1B_S1C_jS1D_jS1E_S1E_jjS1G_bEUljE0_EEESZ_S10_S11_S18_S1C_S1E_T6_T7_T9_mT8_S1G_bDpT10_ENKUlT_T0_E_clISt17integral_constantIbLb0EES1T_IbLb1EEEEDaS1P_S1Q_EUlS1P_E_NS1_11comp_targetILNS1_3genE10ELNS1_11target_archE1200ELNS1_3gpuE4ELNS1_3repE0EEENS1_30default_config_static_selectorELNS0_4arch9wavefront6targetE0EEEvS12_.has_dyn_sized_stack, 0
	.set _ZN7rocprim17ROCPRIM_400000_NS6detail17trampoline_kernelINS0_13select_configILj256ELj13ELNS0_17block_load_methodE3ELS4_3ELS4_3ELNS0_20block_scan_algorithmE0ELj4294967295EEENS1_25partition_config_selectorILNS1_17partition_subalgoE4EjNS0_10empty_typeEbEEZZNS1_14partition_implILS8_4ELb0ES6_15HIP_vector_typeIjLj2EENS0_17counting_iteratorIjlEEPS9_SG_NS0_5tupleIJPjSI_NS0_16reverse_iteratorISI_EEEEENSH_IJSG_SG_SG_EEES9_SI_JZNS1_25segmented_radix_sort_implINS0_14default_configELb1EPKiPiPKlPlN2at6native12_GLOBAL__N_18offset_tEEE10hipError_tPvRmT1_PNSt15iterator_traitsIS12_E10value_typeET2_T3_PNS13_IS18_E10value_typeET4_jRbjT5_S1E_jjP12ihipStream_tbEUljE_ZNSN_ISO_Lb1ESQ_SR_ST_SU_SY_EESZ_S10_S11_S12_S16_S17_S18_S1B_S1C_jS1D_jS1E_S1E_jjS1G_bEUljE0_EEESZ_S10_S11_S18_S1C_S1E_T6_T7_T9_mT8_S1G_bDpT10_ENKUlT_T0_E_clISt17integral_constantIbLb0EES1T_IbLb1EEEEDaS1P_S1Q_EUlS1P_E_NS1_11comp_targetILNS1_3genE10ELNS1_11target_archE1200ELNS1_3gpuE4ELNS1_3repE0EEENS1_30default_config_static_selectorELNS0_4arch9wavefront6targetE0EEEvS12_.has_recursion, 0
	.set _ZN7rocprim17ROCPRIM_400000_NS6detail17trampoline_kernelINS0_13select_configILj256ELj13ELNS0_17block_load_methodE3ELS4_3ELS4_3ELNS0_20block_scan_algorithmE0ELj4294967295EEENS1_25partition_config_selectorILNS1_17partition_subalgoE4EjNS0_10empty_typeEbEEZZNS1_14partition_implILS8_4ELb0ES6_15HIP_vector_typeIjLj2EENS0_17counting_iteratorIjlEEPS9_SG_NS0_5tupleIJPjSI_NS0_16reverse_iteratorISI_EEEEENSH_IJSG_SG_SG_EEES9_SI_JZNS1_25segmented_radix_sort_implINS0_14default_configELb1EPKiPiPKlPlN2at6native12_GLOBAL__N_18offset_tEEE10hipError_tPvRmT1_PNSt15iterator_traitsIS12_E10value_typeET2_T3_PNS13_IS18_E10value_typeET4_jRbjT5_S1E_jjP12ihipStream_tbEUljE_ZNSN_ISO_Lb1ESQ_SR_ST_SU_SY_EESZ_S10_S11_S12_S16_S17_S18_S1B_S1C_jS1D_jS1E_S1E_jjS1G_bEUljE0_EEESZ_S10_S11_S18_S1C_S1E_T6_T7_T9_mT8_S1G_bDpT10_ENKUlT_T0_E_clISt17integral_constantIbLb0EES1T_IbLb1EEEEDaS1P_S1Q_EUlS1P_E_NS1_11comp_targetILNS1_3genE10ELNS1_11target_archE1200ELNS1_3gpuE4ELNS1_3repE0EEENS1_30default_config_static_selectorELNS0_4arch9wavefront6targetE0EEEvS12_.has_indirect_call, 0
	.section	.AMDGPU.csdata,"",@progbits
; Kernel info:
; codeLenInByte = 19208
; TotalNumSgprs: 57
; NumVgprs: 98
; ScratchSize: 0
; MemoryBound: 0
; FloatMode: 240
; IeeeMode: 1
; LDSByteSize: 13328 bytes/workgroup (compile time only)
; SGPRBlocks: 0
; VGPRBlocks: 12
; NumSGPRsForWavesPerEU: 57
; NumVGPRsForWavesPerEU: 98
; Occupancy: 12
; WaveLimiterHint : 1
; COMPUTE_PGM_RSRC2:SCRATCH_EN: 0
; COMPUTE_PGM_RSRC2:USER_SGPR: 2
; COMPUTE_PGM_RSRC2:TRAP_HANDLER: 0
; COMPUTE_PGM_RSRC2:TGID_X_EN: 1
; COMPUTE_PGM_RSRC2:TGID_Y_EN: 0
; COMPUTE_PGM_RSRC2:TGID_Z_EN: 0
; COMPUTE_PGM_RSRC2:TIDIG_COMP_CNT: 0
	.section	.text._ZN7rocprim17ROCPRIM_400000_NS6detail17trampoline_kernelINS0_13select_configILj256ELj13ELNS0_17block_load_methodE3ELS4_3ELS4_3ELNS0_20block_scan_algorithmE0ELj4294967295EEENS1_25partition_config_selectorILNS1_17partition_subalgoE4EjNS0_10empty_typeEbEEZZNS1_14partition_implILS8_4ELb0ES6_15HIP_vector_typeIjLj2EENS0_17counting_iteratorIjlEEPS9_SG_NS0_5tupleIJPjSI_NS0_16reverse_iteratorISI_EEEEENSH_IJSG_SG_SG_EEES9_SI_JZNS1_25segmented_radix_sort_implINS0_14default_configELb1EPKiPiPKlPlN2at6native12_GLOBAL__N_18offset_tEEE10hipError_tPvRmT1_PNSt15iterator_traitsIS12_E10value_typeET2_T3_PNS13_IS18_E10value_typeET4_jRbjT5_S1E_jjP12ihipStream_tbEUljE_ZNSN_ISO_Lb1ESQ_SR_ST_SU_SY_EESZ_S10_S11_S12_S16_S17_S18_S1B_S1C_jS1D_jS1E_S1E_jjS1G_bEUljE0_EEESZ_S10_S11_S18_S1C_S1E_T6_T7_T9_mT8_S1G_bDpT10_ENKUlT_T0_E_clISt17integral_constantIbLb0EES1T_IbLb1EEEEDaS1P_S1Q_EUlS1P_E_NS1_11comp_targetILNS1_3genE9ELNS1_11target_archE1100ELNS1_3gpuE3ELNS1_3repE0EEENS1_30default_config_static_selectorELNS0_4arch9wavefront6targetE0EEEvS12_,"axG",@progbits,_ZN7rocprim17ROCPRIM_400000_NS6detail17trampoline_kernelINS0_13select_configILj256ELj13ELNS0_17block_load_methodE3ELS4_3ELS4_3ELNS0_20block_scan_algorithmE0ELj4294967295EEENS1_25partition_config_selectorILNS1_17partition_subalgoE4EjNS0_10empty_typeEbEEZZNS1_14partition_implILS8_4ELb0ES6_15HIP_vector_typeIjLj2EENS0_17counting_iteratorIjlEEPS9_SG_NS0_5tupleIJPjSI_NS0_16reverse_iteratorISI_EEEEENSH_IJSG_SG_SG_EEES9_SI_JZNS1_25segmented_radix_sort_implINS0_14default_configELb1EPKiPiPKlPlN2at6native12_GLOBAL__N_18offset_tEEE10hipError_tPvRmT1_PNSt15iterator_traitsIS12_E10value_typeET2_T3_PNS13_IS18_E10value_typeET4_jRbjT5_S1E_jjP12ihipStream_tbEUljE_ZNSN_ISO_Lb1ESQ_SR_ST_SU_SY_EESZ_S10_S11_S12_S16_S17_S18_S1B_S1C_jS1D_jS1E_S1E_jjS1G_bEUljE0_EEESZ_S10_S11_S18_S1C_S1E_T6_T7_T9_mT8_S1G_bDpT10_ENKUlT_T0_E_clISt17integral_constantIbLb0EES1T_IbLb1EEEEDaS1P_S1Q_EUlS1P_E_NS1_11comp_targetILNS1_3genE9ELNS1_11target_archE1100ELNS1_3gpuE3ELNS1_3repE0EEENS1_30default_config_static_selectorELNS0_4arch9wavefront6targetE0EEEvS12_,comdat
	.globl	_ZN7rocprim17ROCPRIM_400000_NS6detail17trampoline_kernelINS0_13select_configILj256ELj13ELNS0_17block_load_methodE3ELS4_3ELS4_3ELNS0_20block_scan_algorithmE0ELj4294967295EEENS1_25partition_config_selectorILNS1_17partition_subalgoE4EjNS0_10empty_typeEbEEZZNS1_14partition_implILS8_4ELb0ES6_15HIP_vector_typeIjLj2EENS0_17counting_iteratorIjlEEPS9_SG_NS0_5tupleIJPjSI_NS0_16reverse_iteratorISI_EEEEENSH_IJSG_SG_SG_EEES9_SI_JZNS1_25segmented_radix_sort_implINS0_14default_configELb1EPKiPiPKlPlN2at6native12_GLOBAL__N_18offset_tEEE10hipError_tPvRmT1_PNSt15iterator_traitsIS12_E10value_typeET2_T3_PNS13_IS18_E10value_typeET4_jRbjT5_S1E_jjP12ihipStream_tbEUljE_ZNSN_ISO_Lb1ESQ_SR_ST_SU_SY_EESZ_S10_S11_S12_S16_S17_S18_S1B_S1C_jS1D_jS1E_S1E_jjS1G_bEUljE0_EEESZ_S10_S11_S18_S1C_S1E_T6_T7_T9_mT8_S1G_bDpT10_ENKUlT_T0_E_clISt17integral_constantIbLb0EES1T_IbLb1EEEEDaS1P_S1Q_EUlS1P_E_NS1_11comp_targetILNS1_3genE9ELNS1_11target_archE1100ELNS1_3gpuE3ELNS1_3repE0EEENS1_30default_config_static_selectorELNS0_4arch9wavefront6targetE0EEEvS12_ ; -- Begin function _ZN7rocprim17ROCPRIM_400000_NS6detail17trampoline_kernelINS0_13select_configILj256ELj13ELNS0_17block_load_methodE3ELS4_3ELS4_3ELNS0_20block_scan_algorithmE0ELj4294967295EEENS1_25partition_config_selectorILNS1_17partition_subalgoE4EjNS0_10empty_typeEbEEZZNS1_14partition_implILS8_4ELb0ES6_15HIP_vector_typeIjLj2EENS0_17counting_iteratorIjlEEPS9_SG_NS0_5tupleIJPjSI_NS0_16reverse_iteratorISI_EEEEENSH_IJSG_SG_SG_EEES9_SI_JZNS1_25segmented_radix_sort_implINS0_14default_configELb1EPKiPiPKlPlN2at6native12_GLOBAL__N_18offset_tEEE10hipError_tPvRmT1_PNSt15iterator_traitsIS12_E10value_typeET2_T3_PNS13_IS18_E10value_typeET4_jRbjT5_S1E_jjP12ihipStream_tbEUljE_ZNSN_ISO_Lb1ESQ_SR_ST_SU_SY_EESZ_S10_S11_S12_S16_S17_S18_S1B_S1C_jS1D_jS1E_S1E_jjS1G_bEUljE0_EEESZ_S10_S11_S18_S1C_S1E_T6_T7_T9_mT8_S1G_bDpT10_ENKUlT_T0_E_clISt17integral_constantIbLb0EES1T_IbLb1EEEEDaS1P_S1Q_EUlS1P_E_NS1_11comp_targetILNS1_3genE9ELNS1_11target_archE1100ELNS1_3gpuE3ELNS1_3repE0EEENS1_30default_config_static_selectorELNS0_4arch9wavefront6targetE0EEEvS12_
	.p2align	8
	.type	_ZN7rocprim17ROCPRIM_400000_NS6detail17trampoline_kernelINS0_13select_configILj256ELj13ELNS0_17block_load_methodE3ELS4_3ELS4_3ELNS0_20block_scan_algorithmE0ELj4294967295EEENS1_25partition_config_selectorILNS1_17partition_subalgoE4EjNS0_10empty_typeEbEEZZNS1_14partition_implILS8_4ELb0ES6_15HIP_vector_typeIjLj2EENS0_17counting_iteratorIjlEEPS9_SG_NS0_5tupleIJPjSI_NS0_16reverse_iteratorISI_EEEEENSH_IJSG_SG_SG_EEES9_SI_JZNS1_25segmented_radix_sort_implINS0_14default_configELb1EPKiPiPKlPlN2at6native12_GLOBAL__N_18offset_tEEE10hipError_tPvRmT1_PNSt15iterator_traitsIS12_E10value_typeET2_T3_PNS13_IS18_E10value_typeET4_jRbjT5_S1E_jjP12ihipStream_tbEUljE_ZNSN_ISO_Lb1ESQ_SR_ST_SU_SY_EESZ_S10_S11_S12_S16_S17_S18_S1B_S1C_jS1D_jS1E_S1E_jjS1G_bEUljE0_EEESZ_S10_S11_S18_S1C_S1E_T6_T7_T9_mT8_S1G_bDpT10_ENKUlT_T0_E_clISt17integral_constantIbLb0EES1T_IbLb1EEEEDaS1P_S1Q_EUlS1P_E_NS1_11comp_targetILNS1_3genE9ELNS1_11target_archE1100ELNS1_3gpuE3ELNS1_3repE0EEENS1_30default_config_static_selectorELNS0_4arch9wavefront6targetE0EEEvS12_,@function
_ZN7rocprim17ROCPRIM_400000_NS6detail17trampoline_kernelINS0_13select_configILj256ELj13ELNS0_17block_load_methodE3ELS4_3ELS4_3ELNS0_20block_scan_algorithmE0ELj4294967295EEENS1_25partition_config_selectorILNS1_17partition_subalgoE4EjNS0_10empty_typeEbEEZZNS1_14partition_implILS8_4ELb0ES6_15HIP_vector_typeIjLj2EENS0_17counting_iteratorIjlEEPS9_SG_NS0_5tupleIJPjSI_NS0_16reverse_iteratorISI_EEEEENSH_IJSG_SG_SG_EEES9_SI_JZNS1_25segmented_radix_sort_implINS0_14default_configELb1EPKiPiPKlPlN2at6native12_GLOBAL__N_18offset_tEEE10hipError_tPvRmT1_PNSt15iterator_traitsIS12_E10value_typeET2_T3_PNS13_IS18_E10value_typeET4_jRbjT5_S1E_jjP12ihipStream_tbEUljE_ZNSN_ISO_Lb1ESQ_SR_ST_SU_SY_EESZ_S10_S11_S12_S16_S17_S18_S1B_S1C_jS1D_jS1E_S1E_jjS1G_bEUljE0_EEESZ_S10_S11_S18_S1C_S1E_T6_T7_T9_mT8_S1G_bDpT10_ENKUlT_T0_E_clISt17integral_constantIbLb0EES1T_IbLb1EEEEDaS1P_S1Q_EUlS1P_E_NS1_11comp_targetILNS1_3genE9ELNS1_11target_archE1100ELNS1_3gpuE3ELNS1_3repE0EEENS1_30default_config_static_selectorELNS0_4arch9wavefront6targetE0EEEvS12_: ; @_ZN7rocprim17ROCPRIM_400000_NS6detail17trampoline_kernelINS0_13select_configILj256ELj13ELNS0_17block_load_methodE3ELS4_3ELS4_3ELNS0_20block_scan_algorithmE0ELj4294967295EEENS1_25partition_config_selectorILNS1_17partition_subalgoE4EjNS0_10empty_typeEbEEZZNS1_14partition_implILS8_4ELb0ES6_15HIP_vector_typeIjLj2EENS0_17counting_iteratorIjlEEPS9_SG_NS0_5tupleIJPjSI_NS0_16reverse_iteratorISI_EEEEENSH_IJSG_SG_SG_EEES9_SI_JZNS1_25segmented_radix_sort_implINS0_14default_configELb1EPKiPiPKlPlN2at6native12_GLOBAL__N_18offset_tEEE10hipError_tPvRmT1_PNSt15iterator_traitsIS12_E10value_typeET2_T3_PNS13_IS18_E10value_typeET4_jRbjT5_S1E_jjP12ihipStream_tbEUljE_ZNSN_ISO_Lb1ESQ_SR_ST_SU_SY_EESZ_S10_S11_S12_S16_S17_S18_S1B_S1C_jS1D_jS1E_S1E_jjS1G_bEUljE0_EEESZ_S10_S11_S18_S1C_S1E_T6_T7_T9_mT8_S1G_bDpT10_ENKUlT_T0_E_clISt17integral_constantIbLb0EES1T_IbLb1EEEEDaS1P_S1Q_EUlS1P_E_NS1_11comp_targetILNS1_3genE9ELNS1_11target_archE1100ELNS1_3gpuE3ELNS1_3repE0EEENS1_30default_config_static_selectorELNS0_4arch9wavefront6targetE0EEEvS12_
; %bb.0:
	.section	.rodata,"a",@progbits
	.p2align	6, 0x0
	.amdhsa_kernel _ZN7rocprim17ROCPRIM_400000_NS6detail17trampoline_kernelINS0_13select_configILj256ELj13ELNS0_17block_load_methodE3ELS4_3ELS4_3ELNS0_20block_scan_algorithmE0ELj4294967295EEENS1_25partition_config_selectorILNS1_17partition_subalgoE4EjNS0_10empty_typeEbEEZZNS1_14partition_implILS8_4ELb0ES6_15HIP_vector_typeIjLj2EENS0_17counting_iteratorIjlEEPS9_SG_NS0_5tupleIJPjSI_NS0_16reverse_iteratorISI_EEEEENSH_IJSG_SG_SG_EEES9_SI_JZNS1_25segmented_radix_sort_implINS0_14default_configELb1EPKiPiPKlPlN2at6native12_GLOBAL__N_18offset_tEEE10hipError_tPvRmT1_PNSt15iterator_traitsIS12_E10value_typeET2_T3_PNS13_IS18_E10value_typeET4_jRbjT5_S1E_jjP12ihipStream_tbEUljE_ZNSN_ISO_Lb1ESQ_SR_ST_SU_SY_EESZ_S10_S11_S12_S16_S17_S18_S1B_S1C_jS1D_jS1E_S1E_jjS1G_bEUljE0_EEESZ_S10_S11_S18_S1C_S1E_T6_T7_T9_mT8_S1G_bDpT10_ENKUlT_T0_E_clISt17integral_constantIbLb0EES1T_IbLb1EEEEDaS1P_S1Q_EUlS1P_E_NS1_11comp_targetILNS1_3genE9ELNS1_11target_archE1100ELNS1_3gpuE3ELNS1_3repE0EEENS1_30default_config_static_selectorELNS0_4arch9wavefront6targetE0EEEvS12_
		.amdhsa_group_segment_fixed_size 0
		.amdhsa_private_segment_fixed_size 0
		.amdhsa_kernarg_size 184
		.amdhsa_user_sgpr_count 2
		.amdhsa_user_sgpr_dispatch_ptr 0
		.amdhsa_user_sgpr_queue_ptr 0
		.amdhsa_user_sgpr_kernarg_segment_ptr 1
		.amdhsa_user_sgpr_dispatch_id 0
		.amdhsa_user_sgpr_private_segment_size 0
		.amdhsa_wavefront_size32 1
		.amdhsa_uses_dynamic_stack 0
		.amdhsa_enable_private_segment 0
		.amdhsa_system_sgpr_workgroup_id_x 1
		.amdhsa_system_sgpr_workgroup_id_y 0
		.amdhsa_system_sgpr_workgroup_id_z 0
		.amdhsa_system_sgpr_workgroup_info 0
		.amdhsa_system_vgpr_workitem_id 0
		.amdhsa_next_free_vgpr 1
		.amdhsa_next_free_sgpr 1
		.amdhsa_reserve_vcc 0
		.amdhsa_float_round_mode_32 0
		.amdhsa_float_round_mode_16_64 0
		.amdhsa_float_denorm_mode_32 3
		.amdhsa_float_denorm_mode_16_64 3
		.amdhsa_fp16_overflow 0
		.amdhsa_workgroup_processor_mode 1
		.amdhsa_memory_ordered 1
		.amdhsa_forward_progress 1
		.amdhsa_inst_pref_size 0
		.amdhsa_round_robin_scheduling 0
		.amdhsa_exception_fp_ieee_invalid_op 0
		.amdhsa_exception_fp_denorm_src 0
		.amdhsa_exception_fp_ieee_div_zero 0
		.amdhsa_exception_fp_ieee_overflow 0
		.amdhsa_exception_fp_ieee_underflow 0
		.amdhsa_exception_fp_ieee_inexact 0
		.amdhsa_exception_int_div_zero 0
	.end_amdhsa_kernel
	.section	.text._ZN7rocprim17ROCPRIM_400000_NS6detail17trampoline_kernelINS0_13select_configILj256ELj13ELNS0_17block_load_methodE3ELS4_3ELS4_3ELNS0_20block_scan_algorithmE0ELj4294967295EEENS1_25partition_config_selectorILNS1_17partition_subalgoE4EjNS0_10empty_typeEbEEZZNS1_14partition_implILS8_4ELb0ES6_15HIP_vector_typeIjLj2EENS0_17counting_iteratorIjlEEPS9_SG_NS0_5tupleIJPjSI_NS0_16reverse_iteratorISI_EEEEENSH_IJSG_SG_SG_EEES9_SI_JZNS1_25segmented_radix_sort_implINS0_14default_configELb1EPKiPiPKlPlN2at6native12_GLOBAL__N_18offset_tEEE10hipError_tPvRmT1_PNSt15iterator_traitsIS12_E10value_typeET2_T3_PNS13_IS18_E10value_typeET4_jRbjT5_S1E_jjP12ihipStream_tbEUljE_ZNSN_ISO_Lb1ESQ_SR_ST_SU_SY_EESZ_S10_S11_S12_S16_S17_S18_S1B_S1C_jS1D_jS1E_S1E_jjS1G_bEUljE0_EEESZ_S10_S11_S18_S1C_S1E_T6_T7_T9_mT8_S1G_bDpT10_ENKUlT_T0_E_clISt17integral_constantIbLb0EES1T_IbLb1EEEEDaS1P_S1Q_EUlS1P_E_NS1_11comp_targetILNS1_3genE9ELNS1_11target_archE1100ELNS1_3gpuE3ELNS1_3repE0EEENS1_30default_config_static_selectorELNS0_4arch9wavefront6targetE0EEEvS12_,"axG",@progbits,_ZN7rocprim17ROCPRIM_400000_NS6detail17trampoline_kernelINS0_13select_configILj256ELj13ELNS0_17block_load_methodE3ELS4_3ELS4_3ELNS0_20block_scan_algorithmE0ELj4294967295EEENS1_25partition_config_selectorILNS1_17partition_subalgoE4EjNS0_10empty_typeEbEEZZNS1_14partition_implILS8_4ELb0ES6_15HIP_vector_typeIjLj2EENS0_17counting_iteratorIjlEEPS9_SG_NS0_5tupleIJPjSI_NS0_16reverse_iteratorISI_EEEEENSH_IJSG_SG_SG_EEES9_SI_JZNS1_25segmented_radix_sort_implINS0_14default_configELb1EPKiPiPKlPlN2at6native12_GLOBAL__N_18offset_tEEE10hipError_tPvRmT1_PNSt15iterator_traitsIS12_E10value_typeET2_T3_PNS13_IS18_E10value_typeET4_jRbjT5_S1E_jjP12ihipStream_tbEUljE_ZNSN_ISO_Lb1ESQ_SR_ST_SU_SY_EESZ_S10_S11_S12_S16_S17_S18_S1B_S1C_jS1D_jS1E_S1E_jjS1G_bEUljE0_EEESZ_S10_S11_S18_S1C_S1E_T6_T7_T9_mT8_S1G_bDpT10_ENKUlT_T0_E_clISt17integral_constantIbLb0EES1T_IbLb1EEEEDaS1P_S1Q_EUlS1P_E_NS1_11comp_targetILNS1_3genE9ELNS1_11target_archE1100ELNS1_3gpuE3ELNS1_3repE0EEENS1_30default_config_static_selectorELNS0_4arch9wavefront6targetE0EEEvS12_,comdat
.Lfunc_end463:
	.size	_ZN7rocprim17ROCPRIM_400000_NS6detail17trampoline_kernelINS0_13select_configILj256ELj13ELNS0_17block_load_methodE3ELS4_3ELS4_3ELNS0_20block_scan_algorithmE0ELj4294967295EEENS1_25partition_config_selectorILNS1_17partition_subalgoE4EjNS0_10empty_typeEbEEZZNS1_14partition_implILS8_4ELb0ES6_15HIP_vector_typeIjLj2EENS0_17counting_iteratorIjlEEPS9_SG_NS0_5tupleIJPjSI_NS0_16reverse_iteratorISI_EEEEENSH_IJSG_SG_SG_EEES9_SI_JZNS1_25segmented_radix_sort_implINS0_14default_configELb1EPKiPiPKlPlN2at6native12_GLOBAL__N_18offset_tEEE10hipError_tPvRmT1_PNSt15iterator_traitsIS12_E10value_typeET2_T3_PNS13_IS18_E10value_typeET4_jRbjT5_S1E_jjP12ihipStream_tbEUljE_ZNSN_ISO_Lb1ESQ_SR_ST_SU_SY_EESZ_S10_S11_S12_S16_S17_S18_S1B_S1C_jS1D_jS1E_S1E_jjS1G_bEUljE0_EEESZ_S10_S11_S18_S1C_S1E_T6_T7_T9_mT8_S1G_bDpT10_ENKUlT_T0_E_clISt17integral_constantIbLb0EES1T_IbLb1EEEEDaS1P_S1Q_EUlS1P_E_NS1_11comp_targetILNS1_3genE9ELNS1_11target_archE1100ELNS1_3gpuE3ELNS1_3repE0EEENS1_30default_config_static_selectorELNS0_4arch9wavefront6targetE0EEEvS12_, .Lfunc_end463-_ZN7rocprim17ROCPRIM_400000_NS6detail17trampoline_kernelINS0_13select_configILj256ELj13ELNS0_17block_load_methodE3ELS4_3ELS4_3ELNS0_20block_scan_algorithmE0ELj4294967295EEENS1_25partition_config_selectorILNS1_17partition_subalgoE4EjNS0_10empty_typeEbEEZZNS1_14partition_implILS8_4ELb0ES6_15HIP_vector_typeIjLj2EENS0_17counting_iteratorIjlEEPS9_SG_NS0_5tupleIJPjSI_NS0_16reverse_iteratorISI_EEEEENSH_IJSG_SG_SG_EEES9_SI_JZNS1_25segmented_radix_sort_implINS0_14default_configELb1EPKiPiPKlPlN2at6native12_GLOBAL__N_18offset_tEEE10hipError_tPvRmT1_PNSt15iterator_traitsIS12_E10value_typeET2_T3_PNS13_IS18_E10value_typeET4_jRbjT5_S1E_jjP12ihipStream_tbEUljE_ZNSN_ISO_Lb1ESQ_SR_ST_SU_SY_EESZ_S10_S11_S12_S16_S17_S18_S1B_S1C_jS1D_jS1E_S1E_jjS1G_bEUljE0_EEESZ_S10_S11_S18_S1C_S1E_T6_T7_T9_mT8_S1G_bDpT10_ENKUlT_T0_E_clISt17integral_constantIbLb0EES1T_IbLb1EEEEDaS1P_S1Q_EUlS1P_E_NS1_11comp_targetILNS1_3genE9ELNS1_11target_archE1100ELNS1_3gpuE3ELNS1_3repE0EEENS1_30default_config_static_selectorELNS0_4arch9wavefront6targetE0EEEvS12_
                                        ; -- End function
	.set _ZN7rocprim17ROCPRIM_400000_NS6detail17trampoline_kernelINS0_13select_configILj256ELj13ELNS0_17block_load_methodE3ELS4_3ELS4_3ELNS0_20block_scan_algorithmE0ELj4294967295EEENS1_25partition_config_selectorILNS1_17partition_subalgoE4EjNS0_10empty_typeEbEEZZNS1_14partition_implILS8_4ELb0ES6_15HIP_vector_typeIjLj2EENS0_17counting_iteratorIjlEEPS9_SG_NS0_5tupleIJPjSI_NS0_16reverse_iteratorISI_EEEEENSH_IJSG_SG_SG_EEES9_SI_JZNS1_25segmented_radix_sort_implINS0_14default_configELb1EPKiPiPKlPlN2at6native12_GLOBAL__N_18offset_tEEE10hipError_tPvRmT1_PNSt15iterator_traitsIS12_E10value_typeET2_T3_PNS13_IS18_E10value_typeET4_jRbjT5_S1E_jjP12ihipStream_tbEUljE_ZNSN_ISO_Lb1ESQ_SR_ST_SU_SY_EESZ_S10_S11_S12_S16_S17_S18_S1B_S1C_jS1D_jS1E_S1E_jjS1G_bEUljE0_EEESZ_S10_S11_S18_S1C_S1E_T6_T7_T9_mT8_S1G_bDpT10_ENKUlT_T0_E_clISt17integral_constantIbLb0EES1T_IbLb1EEEEDaS1P_S1Q_EUlS1P_E_NS1_11comp_targetILNS1_3genE9ELNS1_11target_archE1100ELNS1_3gpuE3ELNS1_3repE0EEENS1_30default_config_static_selectorELNS0_4arch9wavefront6targetE0EEEvS12_.num_vgpr, 0
	.set _ZN7rocprim17ROCPRIM_400000_NS6detail17trampoline_kernelINS0_13select_configILj256ELj13ELNS0_17block_load_methodE3ELS4_3ELS4_3ELNS0_20block_scan_algorithmE0ELj4294967295EEENS1_25partition_config_selectorILNS1_17partition_subalgoE4EjNS0_10empty_typeEbEEZZNS1_14partition_implILS8_4ELb0ES6_15HIP_vector_typeIjLj2EENS0_17counting_iteratorIjlEEPS9_SG_NS0_5tupleIJPjSI_NS0_16reverse_iteratorISI_EEEEENSH_IJSG_SG_SG_EEES9_SI_JZNS1_25segmented_radix_sort_implINS0_14default_configELb1EPKiPiPKlPlN2at6native12_GLOBAL__N_18offset_tEEE10hipError_tPvRmT1_PNSt15iterator_traitsIS12_E10value_typeET2_T3_PNS13_IS18_E10value_typeET4_jRbjT5_S1E_jjP12ihipStream_tbEUljE_ZNSN_ISO_Lb1ESQ_SR_ST_SU_SY_EESZ_S10_S11_S12_S16_S17_S18_S1B_S1C_jS1D_jS1E_S1E_jjS1G_bEUljE0_EEESZ_S10_S11_S18_S1C_S1E_T6_T7_T9_mT8_S1G_bDpT10_ENKUlT_T0_E_clISt17integral_constantIbLb0EES1T_IbLb1EEEEDaS1P_S1Q_EUlS1P_E_NS1_11comp_targetILNS1_3genE9ELNS1_11target_archE1100ELNS1_3gpuE3ELNS1_3repE0EEENS1_30default_config_static_selectorELNS0_4arch9wavefront6targetE0EEEvS12_.num_agpr, 0
	.set _ZN7rocprim17ROCPRIM_400000_NS6detail17trampoline_kernelINS0_13select_configILj256ELj13ELNS0_17block_load_methodE3ELS4_3ELS4_3ELNS0_20block_scan_algorithmE0ELj4294967295EEENS1_25partition_config_selectorILNS1_17partition_subalgoE4EjNS0_10empty_typeEbEEZZNS1_14partition_implILS8_4ELb0ES6_15HIP_vector_typeIjLj2EENS0_17counting_iteratorIjlEEPS9_SG_NS0_5tupleIJPjSI_NS0_16reverse_iteratorISI_EEEEENSH_IJSG_SG_SG_EEES9_SI_JZNS1_25segmented_radix_sort_implINS0_14default_configELb1EPKiPiPKlPlN2at6native12_GLOBAL__N_18offset_tEEE10hipError_tPvRmT1_PNSt15iterator_traitsIS12_E10value_typeET2_T3_PNS13_IS18_E10value_typeET4_jRbjT5_S1E_jjP12ihipStream_tbEUljE_ZNSN_ISO_Lb1ESQ_SR_ST_SU_SY_EESZ_S10_S11_S12_S16_S17_S18_S1B_S1C_jS1D_jS1E_S1E_jjS1G_bEUljE0_EEESZ_S10_S11_S18_S1C_S1E_T6_T7_T9_mT8_S1G_bDpT10_ENKUlT_T0_E_clISt17integral_constantIbLb0EES1T_IbLb1EEEEDaS1P_S1Q_EUlS1P_E_NS1_11comp_targetILNS1_3genE9ELNS1_11target_archE1100ELNS1_3gpuE3ELNS1_3repE0EEENS1_30default_config_static_selectorELNS0_4arch9wavefront6targetE0EEEvS12_.numbered_sgpr, 0
	.set _ZN7rocprim17ROCPRIM_400000_NS6detail17trampoline_kernelINS0_13select_configILj256ELj13ELNS0_17block_load_methodE3ELS4_3ELS4_3ELNS0_20block_scan_algorithmE0ELj4294967295EEENS1_25partition_config_selectorILNS1_17partition_subalgoE4EjNS0_10empty_typeEbEEZZNS1_14partition_implILS8_4ELb0ES6_15HIP_vector_typeIjLj2EENS0_17counting_iteratorIjlEEPS9_SG_NS0_5tupleIJPjSI_NS0_16reverse_iteratorISI_EEEEENSH_IJSG_SG_SG_EEES9_SI_JZNS1_25segmented_radix_sort_implINS0_14default_configELb1EPKiPiPKlPlN2at6native12_GLOBAL__N_18offset_tEEE10hipError_tPvRmT1_PNSt15iterator_traitsIS12_E10value_typeET2_T3_PNS13_IS18_E10value_typeET4_jRbjT5_S1E_jjP12ihipStream_tbEUljE_ZNSN_ISO_Lb1ESQ_SR_ST_SU_SY_EESZ_S10_S11_S12_S16_S17_S18_S1B_S1C_jS1D_jS1E_S1E_jjS1G_bEUljE0_EEESZ_S10_S11_S18_S1C_S1E_T6_T7_T9_mT8_S1G_bDpT10_ENKUlT_T0_E_clISt17integral_constantIbLb0EES1T_IbLb1EEEEDaS1P_S1Q_EUlS1P_E_NS1_11comp_targetILNS1_3genE9ELNS1_11target_archE1100ELNS1_3gpuE3ELNS1_3repE0EEENS1_30default_config_static_selectorELNS0_4arch9wavefront6targetE0EEEvS12_.num_named_barrier, 0
	.set _ZN7rocprim17ROCPRIM_400000_NS6detail17trampoline_kernelINS0_13select_configILj256ELj13ELNS0_17block_load_methodE3ELS4_3ELS4_3ELNS0_20block_scan_algorithmE0ELj4294967295EEENS1_25partition_config_selectorILNS1_17partition_subalgoE4EjNS0_10empty_typeEbEEZZNS1_14partition_implILS8_4ELb0ES6_15HIP_vector_typeIjLj2EENS0_17counting_iteratorIjlEEPS9_SG_NS0_5tupleIJPjSI_NS0_16reverse_iteratorISI_EEEEENSH_IJSG_SG_SG_EEES9_SI_JZNS1_25segmented_radix_sort_implINS0_14default_configELb1EPKiPiPKlPlN2at6native12_GLOBAL__N_18offset_tEEE10hipError_tPvRmT1_PNSt15iterator_traitsIS12_E10value_typeET2_T3_PNS13_IS18_E10value_typeET4_jRbjT5_S1E_jjP12ihipStream_tbEUljE_ZNSN_ISO_Lb1ESQ_SR_ST_SU_SY_EESZ_S10_S11_S12_S16_S17_S18_S1B_S1C_jS1D_jS1E_S1E_jjS1G_bEUljE0_EEESZ_S10_S11_S18_S1C_S1E_T6_T7_T9_mT8_S1G_bDpT10_ENKUlT_T0_E_clISt17integral_constantIbLb0EES1T_IbLb1EEEEDaS1P_S1Q_EUlS1P_E_NS1_11comp_targetILNS1_3genE9ELNS1_11target_archE1100ELNS1_3gpuE3ELNS1_3repE0EEENS1_30default_config_static_selectorELNS0_4arch9wavefront6targetE0EEEvS12_.private_seg_size, 0
	.set _ZN7rocprim17ROCPRIM_400000_NS6detail17trampoline_kernelINS0_13select_configILj256ELj13ELNS0_17block_load_methodE3ELS4_3ELS4_3ELNS0_20block_scan_algorithmE0ELj4294967295EEENS1_25partition_config_selectorILNS1_17partition_subalgoE4EjNS0_10empty_typeEbEEZZNS1_14partition_implILS8_4ELb0ES6_15HIP_vector_typeIjLj2EENS0_17counting_iteratorIjlEEPS9_SG_NS0_5tupleIJPjSI_NS0_16reverse_iteratorISI_EEEEENSH_IJSG_SG_SG_EEES9_SI_JZNS1_25segmented_radix_sort_implINS0_14default_configELb1EPKiPiPKlPlN2at6native12_GLOBAL__N_18offset_tEEE10hipError_tPvRmT1_PNSt15iterator_traitsIS12_E10value_typeET2_T3_PNS13_IS18_E10value_typeET4_jRbjT5_S1E_jjP12ihipStream_tbEUljE_ZNSN_ISO_Lb1ESQ_SR_ST_SU_SY_EESZ_S10_S11_S12_S16_S17_S18_S1B_S1C_jS1D_jS1E_S1E_jjS1G_bEUljE0_EEESZ_S10_S11_S18_S1C_S1E_T6_T7_T9_mT8_S1G_bDpT10_ENKUlT_T0_E_clISt17integral_constantIbLb0EES1T_IbLb1EEEEDaS1P_S1Q_EUlS1P_E_NS1_11comp_targetILNS1_3genE9ELNS1_11target_archE1100ELNS1_3gpuE3ELNS1_3repE0EEENS1_30default_config_static_selectorELNS0_4arch9wavefront6targetE0EEEvS12_.uses_vcc, 0
	.set _ZN7rocprim17ROCPRIM_400000_NS6detail17trampoline_kernelINS0_13select_configILj256ELj13ELNS0_17block_load_methodE3ELS4_3ELS4_3ELNS0_20block_scan_algorithmE0ELj4294967295EEENS1_25partition_config_selectorILNS1_17partition_subalgoE4EjNS0_10empty_typeEbEEZZNS1_14partition_implILS8_4ELb0ES6_15HIP_vector_typeIjLj2EENS0_17counting_iteratorIjlEEPS9_SG_NS0_5tupleIJPjSI_NS0_16reverse_iteratorISI_EEEEENSH_IJSG_SG_SG_EEES9_SI_JZNS1_25segmented_radix_sort_implINS0_14default_configELb1EPKiPiPKlPlN2at6native12_GLOBAL__N_18offset_tEEE10hipError_tPvRmT1_PNSt15iterator_traitsIS12_E10value_typeET2_T3_PNS13_IS18_E10value_typeET4_jRbjT5_S1E_jjP12ihipStream_tbEUljE_ZNSN_ISO_Lb1ESQ_SR_ST_SU_SY_EESZ_S10_S11_S12_S16_S17_S18_S1B_S1C_jS1D_jS1E_S1E_jjS1G_bEUljE0_EEESZ_S10_S11_S18_S1C_S1E_T6_T7_T9_mT8_S1G_bDpT10_ENKUlT_T0_E_clISt17integral_constantIbLb0EES1T_IbLb1EEEEDaS1P_S1Q_EUlS1P_E_NS1_11comp_targetILNS1_3genE9ELNS1_11target_archE1100ELNS1_3gpuE3ELNS1_3repE0EEENS1_30default_config_static_selectorELNS0_4arch9wavefront6targetE0EEEvS12_.uses_flat_scratch, 0
	.set _ZN7rocprim17ROCPRIM_400000_NS6detail17trampoline_kernelINS0_13select_configILj256ELj13ELNS0_17block_load_methodE3ELS4_3ELS4_3ELNS0_20block_scan_algorithmE0ELj4294967295EEENS1_25partition_config_selectorILNS1_17partition_subalgoE4EjNS0_10empty_typeEbEEZZNS1_14partition_implILS8_4ELb0ES6_15HIP_vector_typeIjLj2EENS0_17counting_iteratorIjlEEPS9_SG_NS0_5tupleIJPjSI_NS0_16reverse_iteratorISI_EEEEENSH_IJSG_SG_SG_EEES9_SI_JZNS1_25segmented_radix_sort_implINS0_14default_configELb1EPKiPiPKlPlN2at6native12_GLOBAL__N_18offset_tEEE10hipError_tPvRmT1_PNSt15iterator_traitsIS12_E10value_typeET2_T3_PNS13_IS18_E10value_typeET4_jRbjT5_S1E_jjP12ihipStream_tbEUljE_ZNSN_ISO_Lb1ESQ_SR_ST_SU_SY_EESZ_S10_S11_S12_S16_S17_S18_S1B_S1C_jS1D_jS1E_S1E_jjS1G_bEUljE0_EEESZ_S10_S11_S18_S1C_S1E_T6_T7_T9_mT8_S1G_bDpT10_ENKUlT_T0_E_clISt17integral_constantIbLb0EES1T_IbLb1EEEEDaS1P_S1Q_EUlS1P_E_NS1_11comp_targetILNS1_3genE9ELNS1_11target_archE1100ELNS1_3gpuE3ELNS1_3repE0EEENS1_30default_config_static_selectorELNS0_4arch9wavefront6targetE0EEEvS12_.has_dyn_sized_stack, 0
	.set _ZN7rocprim17ROCPRIM_400000_NS6detail17trampoline_kernelINS0_13select_configILj256ELj13ELNS0_17block_load_methodE3ELS4_3ELS4_3ELNS0_20block_scan_algorithmE0ELj4294967295EEENS1_25partition_config_selectorILNS1_17partition_subalgoE4EjNS0_10empty_typeEbEEZZNS1_14partition_implILS8_4ELb0ES6_15HIP_vector_typeIjLj2EENS0_17counting_iteratorIjlEEPS9_SG_NS0_5tupleIJPjSI_NS0_16reverse_iteratorISI_EEEEENSH_IJSG_SG_SG_EEES9_SI_JZNS1_25segmented_radix_sort_implINS0_14default_configELb1EPKiPiPKlPlN2at6native12_GLOBAL__N_18offset_tEEE10hipError_tPvRmT1_PNSt15iterator_traitsIS12_E10value_typeET2_T3_PNS13_IS18_E10value_typeET4_jRbjT5_S1E_jjP12ihipStream_tbEUljE_ZNSN_ISO_Lb1ESQ_SR_ST_SU_SY_EESZ_S10_S11_S12_S16_S17_S18_S1B_S1C_jS1D_jS1E_S1E_jjS1G_bEUljE0_EEESZ_S10_S11_S18_S1C_S1E_T6_T7_T9_mT8_S1G_bDpT10_ENKUlT_T0_E_clISt17integral_constantIbLb0EES1T_IbLb1EEEEDaS1P_S1Q_EUlS1P_E_NS1_11comp_targetILNS1_3genE9ELNS1_11target_archE1100ELNS1_3gpuE3ELNS1_3repE0EEENS1_30default_config_static_selectorELNS0_4arch9wavefront6targetE0EEEvS12_.has_recursion, 0
	.set _ZN7rocprim17ROCPRIM_400000_NS6detail17trampoline_kernelINS0_13select_configILj256ELj13ELNS0_17block_load_methodE3ELS4_3ELS4_3ELNS0_20block_scan_algorithmE0ELj4294967295EEENS1_25partition_config_selectorILNS1_17partition_subalgoE4EjNS0_10empty_typeEbEEZZNS1_14partition_implILS8_4ELb0ES6_15HIP_vector_typeIjLj2EENS0_17counting_iteratorIjlEEPS9_SG_NS0_5tupleIJPjSI_NS0_16reverse_iteratorISI_EEEEENSH_IJSG_SG_SG_EEES9_SI_JZNS1_25segmented_radix_sort_implINS0_14default_configELb1EPKiPiPKlPlN2at6native12_GLOBAL__N_18offset_tEEE10hipError_tPvRmT1_PNSt15iterator_traitsIS12_E10value_typeET2_T3_PNS13_IS18_E10value_typeET4_jRbjT5_S1E_jjP12ihipStream_tbEUljE_ZNSN_ISO_Lb1ESQ_SR_ST_SU_SY_EESZ_S10_S11_S12_S16_S17_S18_S1B_S1C_jS1D_jS1E_S1E_jjS1G_bEUljE0_EEESZ_S10_S11_S18_S1C_S1E_T6_T7_T9_mT8_S1G_bDpT10_ENKUlT_T0_E_clISt17integral_constantIbLb0EES1T_IbLb1EEEEDaS1P_S1Q_EUlS1P_E_NS1_11comp_targetILNS1_3genE9ELNS1_11target_archE1100ELNS1_3gpuE3ELNS1_3repE0EEENS1_30default_config_static_selectorELNS0_4arch9wavefront6targetE0EEEvS12_.has_indirect_call, 0
	.section	.AMDGPU.csdata,"",@progbits
; Kernel info:
; codeLenInByte = 0
; TotalNumSgprs: 0
; NumVgprs: 0
; ScratchSize: 0
; MemoryBound: 0
; FloatMode: 240
; IeeeMode: 1
; LDSByteSize: 0 bytes/workgroup (compile time only)
; SGPRBlocks: 0
; VGPRBlocks: 0
; NumSGPRsForWavesPerEU: 1
; NumVGPRsForWavesPerEU: 1
; Occupancy: 16
; WaveLimiterHint : 0
; COMPUTE_PGM_RSRC2:SCRATCH_EN: 0
; COMPUTE_PGM_RSRC2:USER_SGPR: 2
; COMPUTE_PGM_RSRC2:TRAP_HANDLER: 0
; COMPUTE_PGM_RSRC2:TGID_X_EN: 1
; COMPUTE_PGM_RSRC2:TGID_Y_EN: 0
; COMPUTE_PGM_RSRC2:TGID_Z_EN: 0
; COMPUTE_PGM_RSRC2:TIDIG_COMP_CNT: 0
	.section	.text._ZN7rocprim17ROCPRIM_400000_NS6detail17trampoline_kernelINS0_13select_configILj256ELj13ELNS0_17block_load_methodE3ELS4_3ELS4_3ELNS0_20block_scan_algorithmE0ELj4294967295EEENS1_25partition_config_selectorILNS1_17partition_subalgoE4EjNS0_10empty_typeEbEEZZNS1_14partition_implILS8_4ELb0ES6_15HIP_vector_typeIjLj2EENS0_17counting_iteratorIjlEEPS9_SG_NS0_5tupleIJPjSI_NS0_16reverse_iteratorISI_EEEEENSH_IJSG_SG_SG_EEES9_SI_JZNS1_25segmented_radix_sort_implINS0_14default_configELb1EPKiPiPKlPlN2at6native12_GLOBAL__N_18offset_tEEE10hipError_tPvRmT1_PNSt15iterator_traitsIS12_E10value_typeET2_T3_PNS13_IS18_E10value_typeET4_jRbjT5_S1E_jjP12ihipStream_tbEUljE_ZNSN_ISO_Lb1ESQ_SR_ST_SU_SY_EESZ_S10_S11_S12_S16_S17_S18_S1B_S1C_jS1D_jS1E_S1E_jjS1G_bEUljE0_EEESZ_S10_S11_S18_S1C_S1E_T6_T7_T9_mT8_S1G_bDpT10_ENKUlT_T0_E_clISt17integral_constantIbLb0EES1T_IbLb1EEEEDaS1P_S1Q_EUlS1P_E_NS1_11comp_targetILNS1_3genE8ELNS1_11target_archE1030ELNS1_3gpuE2ELNS1_3repE0EEENS1_30default_config_static_selectorELNS0_4arch9wavefront6targetE0EEEvS12_,"axG",@progbits,_ZN7rocprim17ROCPRIM_400000_NS6detail17trampoline_kernelINS0_13select_configILj256ELj13ELNS0_17block_load_methodE3ELS4_3ELS4_3ELNS0_20block_scan_algorithmE0ELj4294967295EEENS1_25partition_config_selectorILNS1_17partition_subalgoE4EjNS0_10empty_typeEbEEZZNS1_14partition_implILS8_4ELb0ES6_15HIP_vector_typeIjLj2EENS0_17counting_iteratorIjlEEPS9_SG_NS0_5tupleIJPjSI_NS0_16reverse_iteratorISI_EEEEENSH_IJSG_SG_SG_EEES9_SI_JZNS1_25segmented_radix_sort_implINS0_14default_configELb1EPKiPiPKlPlN2at6native12_GLOBAL__N_18offset_tEEE10hipError_tPvRmT1_PNSt15iterator_traitsIS12_E10value_typeET2_T3_PNS13_IS18_E10value_typeET4_jRbjT5_S1E_jjP12ihipStream_tbEUljE_ZNSN_ISO_Lb1ESQ_SR_ST_SU_SY_EESZ_S10_S11_S12_S16_S17_S18_S1B_S1C_jS1D_jS1E_S1E_jjS1G_bEUljE0_EEESZ_S10_S11_S18_S1C_S1E_T6_T7_T9_mT8_S1G_bDpT10_ENKUlT_T0_E_clISt17integral_constantIbLb0EES1T_IbLb1EEEEDaS1P_S1Q_EUlS1P_E_NS1_11comp_targetILNS1_3genE8ELNS1_11target_archE1030ELNS1_3gpuE2ELNS1_3repE0EEENS1_30default_config_static_selectorELNS0_4arch9wavefront6targetE0EEEvS12_,comdat
	.globl	_ZN7rocprim17ROCPRIM_400000_NS6detail17trampoline_kernelINS0_13select_configILj256ELj13ELNS0_17block_load_methodE3ELS4_3ELS4_3ELNS0_20block_scan_algorithmE0ELj4294967295EEENS1_25partition_config_selectorILNS1_17partition_subalgoE4EjNS0_10empty_typeEbEEZZNS1_14partition_implILS8_4ELb0ES6_15HIP_vector_typeIjLj2EENS0_17counting_iteratorIjlEEPS9_SG_NS0_5tupleIJPjSI_NS0_16reverse_iteratorISI_EEEEENSH_IJSG_SG_SG_EEES9_SI_JZNS1_25segmented_radix_sort_implINS0_14default_configELb1EPKiPiPKlPlN2at6native12_GLOBAL__N_18offset_tEEE10hipError_tPvRmT1_PNSt15iterator_traitsIS12_E10value_typeET2_T3_PNS13_IS18_E10value_typeET4_jRbjT5_S1E_jjP12ihipStream_tbEUljE_ZNSN_ISO_Lb1ESQ_SR_ST_SU_SY_EESZ_S10_S11_S12_S16_S17_S18_S1B_S1C_jS1D_jS1E_S1E_jjS1G_bEUljE0_EEESZ_S10_S11_S18_S1C_S1E_T6_T7_T9_mT8_S1G_bDpT10_ENKUlT_T0_E_clISt17integral_constantIbLb0EES1T_IbLb1EEEEDaS1P_S1Q_EUlS1P_E_NS1_11comp_targetILNS1_3genE8ELNS1_11target_archE1030ELNS1_3gpuE2ELNS1_3repE0EEENS1_30default_config_static_selectorELNS0_4arch9wavefront6targetE0EEEvS12_ ; -- Begin function _ZN7rocprim17ROCPRIM_400000_NS6detail17trampoline_kernelINS0_13select_configILj256ELj13ELNS0_17block_load_methodE3ELS4_3ELS4_3ELNS0_20block_scan_algorithmE0ELj4294967295EEENS1_25partition_config_selectorILNS1_17partition_subalgoE4EjNS0_10empty_typeEbEEZZNS1_14partition_implILS8_4ELb0ES6_15HIP_vector_typeIjLj2EENS0_17counting_iteratorIjlEEPS9_SG_NS0_5tupleIJPjSI_NS0_16reverse_iteratorISI_EEEEENSH_IJSG_SG_SG_EEES9_SI_JZNS1_25segmented_radix_sort_implINS0_14default_configELb1EPKiPiPKlPlN2at6native12_GLOBAL__N_18offset_tEEE10hipError_tPvRmT1_PNSt15iterator_traitsIS12_E10value_typeET2_T3_PNS13_IS18_E10value_typeET4_jRbjT5_S1E_jjP12ihipStream_tbEUljE_ZNSN_ISO_Lb1ESQ_SR_ST_SU_SY_EESZ_S10_S11_S12_S16_S17_S18_S1B_S1C_jS1D_jS1E_S1E_jjS1G_bEUljE0_EEESZ_S10_S11_S18_S1C_S1E_T6_T7_T9_mT8_S1G_bDpT10_ENKUlT_T0_E_clISt17integral_constantIbLb0EES1T_IbLb1EEEEDaS1P_S1Q_EUlS1P_E_NS1_11comp_targetILNS1_3genE8ELNS1_11target_archE1030ELNS1_3gpuE2ELNS1_3repE0EEENS1_30default_config_static_selectorELNS0_4arch9wavefront6targetE0EEEvS12_
	.p2align	8
	.type	_ZN7rocprim17ROCPRIM_400000_NS6detail17trampoline_kernelINS0_13select_configILj256ELj13ELNS0_17block_load_methodE3ELS4_3ELS4_3ELNS0_20block_scan_algorithmE0ELj4294967295EEENS1_25partition_config_selectorILNS1_17partition_subalgoE4EjNS0_10empty_typeEbEEZZNS1_14partition_implILS8_4ELb0ES6_15HIP_vector_typeIjLj2EENS0_17counting_iteratorIjlEEPS9_SG_NS0_5tupleIJPjSI_NS0_16reverse_iteratorISI_EEEEENSH_IJSG_SG_SG_EEES9_SI_JZNS1_25segmented_radix_sort_implINS0_14default_configELb1EPKiPiPKlPlN2at6native12_GLOBAL__N_18offset_tEEE10hipError_tPvRmT1_PNSt15iterator_traitsIS12_E10value_typeET2_T3_PNS13_IS18_E10value_typeET4_jRbjT5_S1E_jjP12ihipStream_tbEUljE_ZNSN_ISO_Lb1ESQ_SR_ST_SU_SY_EESZ_S10_S11_S12_S16_S17_S18_S1B_S1C_jS1D_jS1E_S1E_jjS1G_bEUljE0_EEESZ_S10_S11_S18_S1C_S1E_T6_T7_T9_mT8_S1G_bDpT10_ENKUlT_T0_E_clISt17integral_constantIbLb0EES1T_IbLb1EEEEDaS1P_S1Q_EUlS1P_E_NS1_11comp_targetILNS1_3genE8ELNS1_11target_archE1030ELNS1_3gpuE2ELNS1_3repE0EEENS1_30default_config_static_selectorELNS0_4arch9wavefront6targetE0EEEvS12_,@function
_ZN7rocprim17ROCPRIM_400000_NS6detail17trampoline_kernelINS0_13select_configILj256ELj13ELNS0_17block_load_methodE3ELS4_3ELS4_3ELNS0_20block_scan_algorithmE0ELj4294967295EEENS1_25partition_config_selectorILNS1_17partition_subalgoE4EjNS0_10empty_typeEbEEZZNS1_14partition_implILS8_4ELb0ES6_15HIP_vector_typeIjLj2EENS0_17counting_iteratorIjlEEPS9_SG_NS0_5tupleIJPjSI_NS0_16reverse_iteratorISI_EEEEENSH_IJSG_SG_SG_EEES9_SI_JZNS1_25segmented_radix_sort_implINS0_14default_configELb1EPKiPiPKlPlN2at6native12_GLOBAL__N_18offset_tEEE10hipError_tPvRmT1_PNSt15iterator_traitsIS12_E10value_typeET2_T3_PNS13_IS18_E10value_typeET4_jRbjT5_S1E_jjP12ihipStream_tbEUljE_ZNSN_ISO_Lb1ESQ_SR_ST_SU_SY_EESZ_S10_S11_S12_S16_S17_S18_S1B_S1C_jS1D_jS1E_S1E_jjS1G_bEUljE0_EEESZ_S10_S11_S18_S1C_S1E_T6_T7_T9_mT8_S1G_bDpT10_ENKUlT_T0_E_clISt17integral_constantIbLb0EES1T_IbLb1EEEEDaS1P_S1Q_EUlS1P_E_NS1_11comp_targetILNS1_3genE8ELNS1_11target_archE1030ELNS1_3gpuE2ELNS1_3repE0EEENS1_30default_config_static_selectorELNS0_4arch9wavefront6targetE0EEEvS12_: ; @_ZN7rocprim17ROCPRIM_400000_NS6detail17trampoline_kernelINS0_13select_configILj256ELj13ELNS0_17block_load_methodE3ELS4_3ELS4_3ELNS0_20block_scan_algorithmE0ELj4294967295EEENS1_25partition_config_selectorILNS1_17partition_subalgoE4EjNS0_10empty_typeEbEEZZNS1_14partition_implILS8_4ELb0ES6_15HIP_vector_typeIjLj2EENS0_17counting_iteratorIjlEEPS9_SG_NS0_5tupleIJPjSI_NS0_16reverse_iteratorISI_EEEEENSH_IJSG_SG_SG_EEES9_SI_JZNS1_25segmented_radix_sort_implINS0_14default_configELb1EPKiPiPKlPlN2at6native12_GLOBAL__N_18offset_tEEE10hipError_tPvRmT1_PNSt15iterator_traitsIS12_E10value_typeET2_T3_PNS13_IS18_E10value_typeET4_jRbjT5_S1E_jjP12ihipStream_tbEUljE_ZNSN_ISO_Lb1ESQ_SR_ST_SU_SY_EESZ_S10_S11_S12_S16_S17_S18_S1B_S1C_jS1D_jS1E_S1E_jjS1G_bEUljE0_EEESZ_S10_S11_S18_S1C_S1E_T6_T7_T9_mT8_S1G_bDpT10_ENKUlT_T0_E_clISt17integral_constantIbLb0EES1T_IbLb1EEEEDaS1P_S1Q_EUlS1P_E_NS1_11comp_targetILNS1_3genE8ELNS1_11target_archE1030ELNS1_3gpuE2ELNS1_3repE0EEENS1_30default_config_static_selectorELNS0_4arch9wavefront6targetE0EEEvS12_
; %bb.0:
	.section	.rodata,"a",@progbits
	.p2align	6, 0x0
	.amdhsa_kernel _ZN7rocprim17ROCPRIM_400000_NS6detail17trampoline_kernelINS0_13select_configILj256ELj13ELNS0_17block_load_methodE3ELS4_3ELS4_3ELNS0_20block_scan_algorithmE0ELj4294967295EEENS1_25partition_config_selectorILNS1_17partition_subalgoE4EjNS0_10empty_typeEbEEZZNS1_14partition_implILS8_4ELb0ES6_15HIP_vector_typeIjLj2EENS0_17counting_iteratorIjlEEPS9_SG_NS0_5tupleIJPjSI_NS0_16reverse_iteratorISI_EEEEENSH_IJSG_SG_SG_EEES9_SI_JZNS1_25segmented_radix_sort_implINS0_14default_configELb1EPKiPiPKlPlN2at6native12_GLOBAL__N_18offset_tEEE10hipError_tPvRmT1_PNSt15iterator_traitsIS12_E10value_typeET2_T3_PNS13_IS18_E10value_typeET4_jRbjT5_S1E_jjP12ihipStream_tbEUljE_ZNSN_ISO_Lb1ESQ_SR_ST_SU_SY_EESZ_S10_S11_S12_S16_S17_S18_S1B_S1C_jS1D_jS1E_S1E_jjS1G_bEUljE0_EEESZ_S10_S11_S18_S1C_S1E_T6_T7_T9_mT8_S1G_bDpT10_ENKUlT_T0_E_clISt17integral_constantIbLb0EES1T_IbLb1EEEEDaS1P_S1Q_EUlS1P_E_NS1_11comp_targetILNS1_3genE8ELNS1_11target_archE1030ELNS1_3gpuE2ELNS1_3repE0EEENS1_30default_config_static_selectorELNS0_4arch9wavefront6targetE0EEEvS12_
		.amdhsa_group_segment_fixed_size 0
		.amdhsa_private_segment_fixed_size 0
		.amdhsa_kernarg_size 184
		.amdhsa_user_sgpr_count 2
		.amdhsa_user_sgpr_dispatch_ptr 0
		.amdhsa_user_sgpr_queue_ptr 0
		.amdhsa_user_sgpr_kernarg_segment_ptr 1
		.amdhsa_user_sgpr_dispatch_id 0
		.amdhsa_user_sgpr_private_segment_size 0
		.amdhsa_wavefront_size32 1
		.amdhsa_uses_dynamic_stack 0
		.amdhsa_enable_private_segment 0
		.amdhsa_system_sgpr_workgroup_id_x 1
		.amdhsa_system_sgpr_workgroup_id_y 0
		.amdhsa_system_sgpr_workgroup_id_z 0
		.amdhsa_system_sgpr_workgroup_info 0
		.amdhsa_system_vgpr_workitem_id 0
		.amdhsa_next_free_vgpr 1
		.amdhsa_next_free_sgpr 1
		.amdhsa_reserve_vcc 0
		.amdhsa_float_round_mode_32 0
		.amdhsa_float_round_mode_16_64 0
		.amdhsa_float_denorm_mode_32 3
		.amdhsa_float_denorm_mode_16_64 3
		.amdhsa_fp16_overflow 0
		.amdhsa_workgroup_processor_mode 1
		.amdhsa_memory_ordered 1
		.amdhsa_forward_progress 1
		.amdhsa_inst_pref_size 0
		.amdhsa_round_robin_scheduling 0
		.amdhsa_exception_fp_ieee_invalid_op 0
		.amdhsa_exception_fp_denorm_src 0
		.amdhsa_exception_fp_ieee_div_zero 0
		.amdhsa_exception_fp_ieee_overflow 0
		.amdhsa_exception_fp_ieee_underflow 0
		.amdhsa_exception_fp_ieee_inexact 0
		.amdhsa_exception_int_div_zero 0
	.end_amdhsa_kernel
	.section	.text._ZN7rocprim17ROCPRIM_400000_NS6detail17trampoline_kernelINS0_13select_configILj256ELj13ELNS0_17block_load_methodE3ELS4_3ELS4_3ELNS0_20block_scan_algorithmE0ELj4294967295EEENS1_25partition_config_selectorILNS1_17partition_subalgoE4EjNS0_10empty_typeEbEEZZNS1_14partition_implILS8_4ELb0ES6_15HIP_vector_typeIjLj2EENS0_17counting_iteratorIjlEEPS9_SG_NS0_5tupleIJPjSI_NS0_16reverse_iteratorISI_EEEEENSH_IJSG_SG_SG_EEES9_SI_JZNS1_25segmented_radix_sort_implINS0_14default_configELb1EPKiPiPKlPlN2at6native12_GLOBAL__N_18offset_tEEE10hipError_tPvRmT1_PNSt15iterator_traitsIS12_E10value_typeET2_T3_PNS13_IS18_E10value_typeET4_jRbjT5_S1E_jjP12ihipStream_tbEUljE_ZNSN_ISO_Lb1ESQ_SR_ST_SU_SY_EESZ_S10_S11_S12_S16_S17_S18_S1B_S1C_jS1D_jS1E_S1E_jjS1G_bEUljE0_EEESZ_S10_S11_S18_S1C_S1E_T6_T7_T9_mT8_S1G_bDpT10_ENKUlT_T0_E_clISt17integral_constantIbLb0EES1T_IbLb1EEEEDaS1P_S1Q_EUlS1P_E_NS1_11comp_targetILNS1_3genE8ELNS1_11target_archE1030ELNS1_3gpuE2ELNS1_3repE0EEENS1_30default_config_static_selectorELNS0_4arch9wavefront6targetE0EEEvS12_,"axG",@progbits,_ZN7rocprim17ROCPRIM_400000_NS6detail17trampoline_kernelINS0_13select_configILj256ELj13ELNS0_17block_load_methodE3ELS4_3ELS4_3ELNS0_20block_scan_algorithmE0ELj4294967295EEENS1_25partition_config_selectorILNS1_17partition_subalgoE4EjNS0_10empty_typeEbEEZZNS1_14partition_implILS8_4ELb0ES6_15HIP_vector_typeIjLj2EENS0_17counting_iteratorIjlEEPS9_SG_NS0_5tupleIJPjSI_NS0_16reverse_iteratorISI_EEEEENSH_IJSG_SG_SG_EEES9_SI_JZNS1_25segmented_radix_sort_implINS0_14default_configELb1EPKiPiPKlPlN2at6native12_GLOBAL__N_18offset_tEEE10hipError_tPvRmT1_PNSt15iterator_traitsIS12_E10value_typeET2_T3_PNS13_IS18_E10value_typeET4_jRbjT5_S1E_jjP12ihipStream_tbEUljE_ZNSN_ISO_Lb1ESQ_SR_ST_SU_SY_EESZ_S10_S11_S12_S16_S17_S18_S1B_S1C_jS1D_jS1E_S1E_jjS1G_bEUljE0_EEESZ_S10_S11_S18_S1C_S1E_T6_T7_T9_mT8_S1G_bDpT10_ENKUlT_T0_E_clISt17integral_constantIbLb0EES1T_IbLb1EEEEDaS1P_S1Q_EUlS1P_E_NS1_11comp_targetILNS1_3genE8ELNS1_11target_archE1030ELNS1_3gpuE2ELNS1_3repE0EEENS1_30default_config_static_selectorELNS0_4arch9wavefront6targetE0EEEvS12_,comdat
.Lfunc_end464:
	.size	_ZN7rocprim17ROCPRIM_400000_NS6detail17trampoline_kernelINS0_13select_configILj256ELj13ELNS0_17block_load_methodE3ELS4_3ELS4_3ELNS0_20block_scan_algorithmE0ELj4294967295EEENS1_25partition_config_selectorILNS1_17partition_subalgoE4EjNS0_10empty_typeEbEEZZNS1_14partition_implILS8_4ELb0ES6_15HIP_vector_typeIjLj2EENS0_17counting_iteratorIjlEEPS9_SG_NS0_5tupleIJPjSI_NS0_16reverse_iteratorISI_EEEEENSH_IJSG_SG_SG_EEES9_SI_JZNS1_25segmented_radix_sort_implINS0_14default_configELb1EPKiPiPKlPlN2at6native12_GLOBAL__N_18offset_tEEE10hipError_tPvRmT1_PNSt15iterator_traitsIS12_E10value_typeET2_T3_PNS13_IS18_E10value_typeET4_jRbjT5_S1E_jjP12ihipStream_tbEUljE_ZNSN_ISO_Lb1ESQ_SR_ST_SU_SY_EESZ_S10_S11_S12_S16_S17_S18_S1B_S1C_jS1D_jS1E_S1E_jjS1G_bEUljE0_EEESZ_S10_S11_S18_S1C_S1E_T6_T7_T9_mT8_S1G_bDpT10_ENKUlT_T0_E_clISt17integral_constantIbLb0EES1T_IbLb1EEEEDaS1P_S1Q_EUlS1P_E_NS1_11comp_targetILNS1_3genE8ELNS1_11target_archE1030ELNS1_3gpuE2ELNS1_3repE0EEENS1_30default_config_static_selectorELNS0_4arch9wavefront6targetE0EEEvS12_, .Lfunc_end464-_ZN7rocprim17ROCPRIM_400000_NS6detail17trampoline_kernelINS0_13select_configILj256ELj13ELNS0_17block_load_methodE3ELS4_3ELS4_3ELNS0_20block_scan_algorithmE0ELj4294967295EEENS1_25partition_config_selectorILNS1_17partition_subalgoE4EjNS0_10empty_typeEbEEZZNS1_14partition_implILS8_4ELb0ES6_15HIP_vector_typeIjLj2EENS0_17counting_iteratorIjlEEPS9_SG_NS0_5tupleIJPjSI_NS0_16reverse_iteratorISI_EEEEENSH_IJSG_SG_SG_EEES9_SI_JZNS1_25segmented_radix_sort_implINS0_14default_configELb1EPKiPiPKlPlN2at6native12_GLOBAL__N_18offset_tEEE10hipError_tPvRmT1_PNSt15iterator_traitsIS12_E10value_typeET2_T3_PNS13_IS18_E10value_typeET4_jRbjT5_S1E_jjP12ihipStream_tbEUljE_ZNSN_ISO_Lb1ESQ_SR_ST_SU_SY_EESZ_S10_S11_S12_S16_S17_S18_S1B_S1C_jS1D_jS1E_S1E_jjS1G_bEUljE0_EEESZ_S10_S11_S18_S1C_S1E_T6_T7_T9_mT8_S1G_bDpT10_ENKUlT_T0_E_clISt17integral_constantIbLb0EES1T_IbLb1EEEEDaS1P_S1Q_EUlS1P_E_NS1_11comp_targetILNS1_3genE8ELNS1_11target_archE1030ELNS1_3gpuE2ELNS1_3repE0EEENS1_30default_config_static_selectorELNS0_4arch9wavefront6targetE0EEEvS12_
                                        ; -- End function
	.set _ZN7rocprim17ROCPRIM_400000_NS6detail17trampoline_kernelINS0_13select_configILj256ELj13ELNS0_17block_load_methodE3ELS4_3ELS4_3ELNS0_20block_scan_algorithmE0ELj4294967295EEENS1_25partition_config_selectorILNS1_17partition_subalgoE4EjNS0_10empty_typeEbEEZZNS1_14partition_implILS8_4ELb0ES6_15HIP_vector_typeIjLj2EENS0_17counting_iteratorIjlEEPS9_SG_NS0_5tupleIJPjSI_NS0_16reverse_iteratorISI_EEEEENSH_IJSG_SG_SG_EEES9_SI_JZNS1_25segmented_radix_sort_implINS0_14default_configELb1EPKiPiPKlPlN2at6native12_GLOBAL__N_18offset_tEEE10hipError_tPvRmT1_PNSt15iterator_traitsIS12_E10value_typeET2_T3_PNS13_IS18_E10value_typeET4_jRbjT5_S1E_jjP12ihipStream_tbEUljE_ZNSN_ISO_Lb1ESQ_SR_ST_SU_SY_EESZ_S10_S11_S12_S16_S17_S18_S1B_S1C_jS1D_jS1E_S1E_jjS1G_bEUljE0_EEESZ_S10_S11_S18_S1C_S1E_T6_T7_T9_mT8_S1G_bDpT10_ENKUlT_T0_E_clISt17integral_constantIbLb0EES1T_IbLb1EEEEDaS1P_S1Q_EUlS1P_E_NS1_11comp_targetILNS1_3genE8ELNS1_11target_archE1030ELNS1_3gpuE2ELNS1_3repE0EEENS1_30default_config_static_selectorELNS0_4arch9wavefront6targetE0EEEvS12_.num_vgpr, 0
	.set _ZN7rocprim17ROCPRIM_400000_NS6detail17trampoline_kernelINS0_13select_configILj256ELj13ELNS0_17block_load_methodE3ELS4_3ELS4_3ELNS0_20block_scan_algorithmE0ELj4294967295EEENS1_25partition_config_selectorILNS1_17partition_subalgoE4EjNS0_10empty_typeEbEEZZNS1_14partition_implILS8_4ELb0ES6_15HIP_vector_typeIjLj2EENS0_17counting_iteratorIjlEEPS9_SG_NS0_5tupleIJPjSI_NS0_16reverse_iteratorISI_EEEEENSH_IJSG_SG_SG_EEES9_SI_JZNS1_25segmented_radix_sort_implINS0_14default_configELb1EPKiPiPKlPlN2at6native12_GLOBAL__N_18offset_tEEE10hipError_tPvRmT1_PNSt15iterator_traitsIS12_E10value_typeET2_T3_PNS13_IS18_E10value_typeET4_jRbjT5_S1E_jjP12ihipStream_tbEUljE_ZNSN_ISO_Lb1ESQ_SR_ST_SU_SY_EESZ_S10_S11_S12_S16_S17_S18_S1B_S1C_jS1D_jS1E_S1E_jjS1G_bEUljE0_EEESZ_S10_S11_S18_S1C_S1E_T6_T7_T9_mT8_S1G_bDpT10_ENKUlT_T0_E_clISt17integral_constantIbLb0EES1T_IbLb1EEEEDaS1P_S1Q_EUlS1P_E_NS1_11comp_targetILNS1_3genE8ELNS1_11target_archE1030ELNS1_3gpuE2ELNS1_3repE0EEENS1_30default_config_static_selectorELNS0_4arch9wavefront6targetE0EEEvS12_.num_agpr, 0
	.set _ZN7rocprim17ROCPRIM_400000_NS6detail17trampoline_kernelINS0_13select_configILj256ELj13ELNS0_17block_load_methodE3ELS4_3ELS4_3ELNS0_20block_scan_algorithmE0ELj4294967295EEENS1_25partition_config_selectorILNS1_17partition_subalgoE4EjNS0_10empty_typeEbEEZZNS1_14partition_implILS8_4ELb0ES6_15HIP_vector_typeIjLj2EENS0_17counting_iteratorIjlEEPS9_SG_NS0_5tupleIJPjSI_NS0_16reverse_iteratorISI_EEEEENSH_IJSG_SG_SG_EEES9_SI_JZNS1_25segmented_radix_sort_implINS0_14default_configELb1EPKiPiPKlPlN2at6native12_GLOBAL__N_18offset_tEEE10hipError_tPvRmT1_PNSt15iterator_traitsIS12_E10value_typeET2_T3_PNS13_IS18_E10value_typeET4_jRbjT5_S1E_jjP12ihipStream_tbEUljE_ZNSN_ISO_Lb1ESQ_SR_ST_SU_SY_EESZ_S10_S11_S12_S16_S17_S18_S1B_S1C_jS1D_jS1E_S1E_jjS1G_bEUljE0_EEESZ_S10_S11_S18_S1C_S1E_T6_T7_T9_mT8_S1G_bDpT10_ENKUlT_T0_E_clISt17integral_constantIbLb0EES1T_IbLb1EEEEDaS1P_S1Q_EUlS1P_E_NS1_11comp_targetILNS1_3genE8ELNS1_11target_archE1030ELNS1_3gpuE2ELNS1_3repE0EEENS1_30default_config_static_selectorELNS0_4arch9wavefront6targetE0EEEvS12_.numbered_sgpr, 0
	.set _ZN7rocprim17ROCPRIM_400000_NS6detail17trampoline_kernelINS0_13select_configILj256ELj13ELNS0_17block_load_methodE3ELS4_3ELS4_3ELNS0_20block_scan_algorithmE0ELj4294967295EEENS1_25partition_config_selectorILNS1_17partition_subalgoE4EjNS0_10empty_typeEbEEZZNS1_14partition_implILS8_4ELb0ES6_15HIP_vector_typeIjLj2EENS0_17counting_iteratorIjlEEPS9_SG_NS0_5tupleIJPjSI_NS0_16reverse_iteratorISI_EEEEENSH_IJSG_SG_SG_EEES9_SI_JZNS1_25segmented_radix_sort_implINS0_14default_configELb1EPKiPiPKlPlN2at6native12_GLOBAL__N_18offset_tEEE10hipError_tPvRmT1_PNSt15iterator_traitsIS12_E10value_typeET2_T3_PNS13_IS18_E10value_typeET4_jRbjT5_S1E_jjP12ihipStream_tbEUljE_ZNSN_ISO_Lb1ESQ_SR_ST_SU_SY_EESZ_S10_S11_S12_S16_S17_S18_S1B_S1C_jS1D_jS1E_S1E_jjS1G_bEUljE0_EEESZ_S10_S11_S18_S1C_S1E_T6_T7_T9_mT8_S1G_bDpT10_ENKUlT_T0_E_clISt17integral_constantIbLb0EES1T_IbLb1EEEEDaS1P_S1Q_EUlS1P_E_NS1_11comp_targetILNS1_3genE8ELNS1_11target_archE1030ELNS1_3gpuE2ELNS1_3repE0EEENS1_30default_config_static_selectorELNS0_4arch9wavefront6targetE0EEEvS12_.num_named_barrier, 0
	.set _ZN7rocprim17ROCPRIM_400000_NS6detail17trampoline_kernelINS0_13select_configILj256ELj13ELNS0_17block_load_methodE3ELS4_3ELS4_3ELNS0_20block_scan_algorithmE0ELj4294967295EEENS1_25partition_config_selectorILNS1_17partition_subalgoE4EjNS0_10empty_typeEbEEZZNS1_14partition_implILS8_4ELb0ES6_15HIP_vector_typeIjLj2EENS0_17counting_iteratorIjlEEPS9_SG_NS0_5tupleIJPjSI_NS0_16reverse_iteratorISI_EEEEENSH_IJSG_SG_SG_EEES9_SI_JZNS1_25segmented_radix_sort_implINS0_14default_configELb1EPKiPiPKlPlN2at6native12_GLOBAL__N_18offset_tEEE10hipError_tPvRmT1_PNSt15iterator_traitsIS12_E10value_typeET2_T3_PNS13_IS18_E10value_typeET4_jRbjT5_S1E_jjP12ihipStream_tbEUljE_ZNSN_ISO_Lb1ESQ_SR_ST_SU_SY_EESZ_S10_S11_S12_S16_S17_S18_S1B_S1C_jS1D_jS1E_S1E_jjS1G_bEUljE0_EEESZ_S10_S11_S18_S1C_S1E_T6_T7_T9_mT8_S1G_bDpT10_ENKUlT_T0_E_clISt17integral_constantIbLb0EES1T_IbLb1EEEEDaS1P_S1Q_EUlS1P_E_NS1_11comp_targetILNS1_3genE8ELNS1_11target_archE1030ELNS1_3gpuE2ELNS1_3repE0EEENS1_30default_config_static_selectorELNS0_4arch9wavefront6targetE0EEEvS12_.private_seg_size, 0
	.set _ZN7rocprim17ROCPRIM_400000_NS6detail17trampoline_kernelINS0_13select_configILj256ELj13ELNS0_17block_load_methodE3ELS4_3ELS4_3ELNS0_20block_scan_algorithmE0ELj4294967295EEENS1_25partition_config_selectorILNS1_17partition_subalgoE4EjNS0_10empty_typeEbEEZZNS1_14partition_implILS8_4ELb0ES6_15HIP_vector_typeIjLj2EENS0_17counting_iteratorIjlEEPS9_SG_NS0_5tupleIJPjSI_NS0_16reverse_iteratorISI_EEEEENSH_IJSG_SG_SG_EEES9_SI_JZNS1_25segmented_radix_sort_implINS0_14default_configELb1EPKiPiPKlPlN2at6native12_GLOBAL__N_18offset_tEEE10hipError_tPvRmT1_PNSt15iterator_traitsIS12_E10value_typeET2_T3_PNS13_IS18_E10value_typeET4_jRbjT5_S1E_jjP12ihipStream_tbEUljE_ZNSN_ISO_Lb1ESQ_SR_ST_SU_SY_EESZ_S10_S11_S12_S16_S17_S18_S1B_S1C_jS1D_jS1E_S1E_jjS1G_bEUljE0_EEESZ_S10_S11_S18_S1C_S1E_T6_T7_T9_mT8_S1G_bDpT10_ENKUlT_T0_E_clISt17integral_constantIbLb0EES1T_IbLb1EEEEDaS1P_S1Q_EUlS1P_E_NS1_11comp_targetILNS1_3genE8ELNS1_11target_archE1030ELNS1_3gpuE2ELNS1_3repE0EEENS1_30default_config_static_selectorELNS0_4arch9wavefront6targetE0EEEvS12_.uses_vcc, 0
	.set _ZN7rocprim17ROCPRIM_400000_NS6detail17trampoline_kernelINS0_13select_configILj256ELj13ELNS0_17block_load_methodE3ELS4_3ELS4_3ELNS0_20block_scan_algorithmE0ELj4294967295EEENS1_25partition_config_selectorILNS1_17partition_subalgoE4EjNS0_10empty_typeEbEEZZNS1_14partition_implILS8_4ELb0ES6_15HIP_vector_typeIjLj2EENS0_17counting_iteratorIjlEEPS9_SG_NS0_5tupleIJPjSI_NS0_16reverse_iteratorISI_EEEEENSH_IJSG_SG_SG_EEES9_SI_JZNS1_25segmented_radix_sort_implINS0_14default_configELb1EPKiPiPKlPlN2at6native12_GLOBAL__N_18offset_tEEE10hipError_tPvRmT1_PNSt15iterator_traitsIS12_E10value_typeET2_T3_PNS13_IS18_E10value_typeET4_jRbjT5_S1E_jjP12ihipStream_tbEUljE_ZNSN_ISO_Lb1ESQ_SR_ST_SU_SY_EESZ_S10_S11_S12_S16_S17_S18_S1B_S1C_jS1D_jS1E_S1E_jjS1G_bEUljE0_EEESZ_S10_S11_S18_S1C_S1E_T6_T7_T9_mT8_S1G_bDpT10_ENKUlT_T0_E_clISt17integral_constantIbLb0EES1T_IbLb1EEEEDaS1P_S1Q_EUlS1P_E_NS1_11comp_targetILNS1_3genE8ELNS1_11target_archE1030ELNS1_3gpuE2ELNS1_3repE0EEENS1_30default_config_static_selectorELNS0_4arch9wavefront6targetE0EEEvS12_.uses_flat_scratch, 0
	.set _ZN7rocprim17ROCPRIM_400000_NS6detail17trampoline_kernelINS0_13select_configILj256ELj13ELNS0_17block_load_methodE3ELS4_3ELS4_3ELNS0_20block_scan_algorithmE0ELj4294967295EEENS1_25partition_config_selectorILNS1_17partition_subalgoE4EjNS0_10empty_typeEbEEZZNS1_14partition_implILS8_4ELb0ES6_15HIP_vector_typeIjLj2EENS0_17counting_iteratorIjlEEPS9_SG_NS0_5tupleIJPjSI_NS0_16reverse_iteratorISI_EEEEENSH_IJSG_SG_SG_EEES9_SI_JZNS1_25segmented_radix_sort_implINS0_14default_configELb1EPKiPiPKlPlN2at6native12_GLOBAL__N_18offset_tEEE10hipError_tPvRmT1_PNSt15iterator_traitsIS12_E10value_typeET2_T3_PNS13_IS18_E10value_typeET4_jRbjT5_S1E_jjP12ihipStream_tbEUljE_ZNSN_ISO_Lb1ESQ_SR_ST_SU_SY_EESZ_S10_S11_S12_S16_S17_S18_S1B_S1C_jS1D_jS1E_S1E_jjS1G_bEUljE0_EEESZ_S10_S11_S18_S1C_S1E_T6_T7_T9_mT8_S1G_bDpT10_ENKUlT_T0_E_clISt17integral_constantIbLb0EES1T_IbLb1EEEEDaS1P_S1Q_EUlS1P_E_NS1_11comp_targetILNS1_3genE8ELNS1_11target_archE1030ELNS1_3gpuE2ELNS1_3repE0EEENS1_30default_config_static_selectorELNS0_4arch9wavefront6targetE0EEEvS12_.has_dyn_sized_stack, 0
	.set _ZN7rocprim17ROCPRIM_400000_NS6detail17trampoline_kernelINS0_13select_configILj256ELj13ELNS0_17block_load_methodE3ELS4_3ELS4_3ELNS0_20block_scan_algorithmE0ELj4294967295EEENS1_25partition_config_selectorILNS1_17partition_subalgoE4EjNS0_10empty_typeEbEEZZNS1_14partition_implILS8_4ELb0ES6_15HIP_vector_typeIjLj2EENS0_17counting_iteratorIjlEEPS9_SG_NS0_5tupleIJPjSI_NS0_16reverse_iteratorISI_EEEEENSH_IJSG_SG_SG_EEES9_SI_JZNS1_25segmented_radix_sort_implINS0_14default_configELb1EPKiPiPKlPlN2at6native12_GLOBAL__N_18offset_tEEE10hipError_tPvRmT1_PNSt15iterator_traitsIS12_E10value_typeET2_T3_PNS13_IS18_E10value_typeET4_jRbjT5_S1E_jjP12ihipStream_tbEUljE_ZNSN_ISO_Lb1ESQ_SR_ST_SU_SY_EESZ_S10_S11_S12_S16_S17_S18_S1B_S1C_jS1D_jS1E_S1E_jjS1G_bEUljE0_EEESZ_S10_S11_S18_S1C_S1E_T6_T7_T9_mT8_S1G_bDpT10_ENKUlT_T0_E_clISt17integral_constantIbLb0EES1T_IbLb1EEEEDaS1P_S1Q_EUlS1P_E_NS1_11comp_targetILNS1_3genE8ELNS1_11target_archE1030ELNS1_3gpuE2ELNS1_3repE0EEENS1_30default_config_static_selectorELNS0_4arch9wavefront6targetE0EEEvS12_.has_recursion, 0
	.set _ZN7rocprim17ROCPRIM_400000_NS6detail17trampoline_kernelINS0_13select_configILj256ELj13ELNS0_17block_load_methodE3ELS4_3ELS4_3ELNS0_20block_scan_algorithmE0ELj4294967295EEENS1_25partition_config_selectorILNS1_17partition_subalgoE4EjNS0_10empty_typeEbEEZZNS1_14partition_implILS8_4ELb0ES6_15HIP_vector_typeIjLj2EENS0_17counting_iteratorIjlEEPS9_SG_NS0_5tupleIJPjSI_NS0_16reverse_iteratorISI_EEEEENSH_IJSG_SG_SG_EEES9_SI_JZNS1_25segmented_radix_sort_implINS0_14default_configELb1EPKiPiPKlPlN2at6native12_GLOBAL__N_18offset_tEEE10hipError_tPvRmT1_PNSt15iterator_traitsIS12_E10value_typeET2_T3_PNS13_IS18_E10value_typeET4_jRbjT5_S1E_jjP12ihipStream_tbEUljE_ZNSN_ISO_Lb1ESQ_SR_ST_SU_SY_EESZ_S10_S11_S12_S16_S17_S18_S1B_S1C_jS1D_jS1E_S1E_jjS1G_bEUljE0_EEESZ_S10_S11_S18_S1C_S1E_T6_T7_T9_mT8_S1G_bDpT10_ENKUlT_T0_E_clISt17integral_constantIbLb0EES1T_IbLb1EEEEDaS1P_S1Q_EUlS1P_E_NS1_11comp_targetILNS1_3genE8ELNS1_11target_archE1030ELNS1_3gpuE2ELNS1_3repE0EEENS1_30default_config_static_selectorELNS0_4arch9wavefront6targetE0EEEvS12_.has_indirect_call, 0
	.section	.AMDGPU.csdata,"",@progbits
; Kernel info:
; codeLenInByte = 0
; TotalNumSgprs: 0
; NumVgprs: 0
; ScratchSize: 0
; MemoryBound: 0
; FloatMode: 240
; IeeeMode: 1
; LDSByteSize: 0 bytes/workgroup (compile time only)
; SGPRBlocks: 0
; VGPRBlocks: 0
; NumSGPRsForWavesPerEU: 1
; NumVGPRsForWavesPerEU: 1
; Occupancy: 16
; WaveLimiterHint : 0
; COMPUTE_PGM_RSRC2:SCRATCH_EN: 0
; COMPUTE_PGM_RSRC2:USER_SGPR: 2
; COMPUTE_PGM_RSRC2:TRAP_HANDLER: 0
; COMPUTE_PGM_RSRC2:TGID_X_EN: 1
; COMPUTE_PGM_RSRC2:TGID_Y_EN: 0
; COMPUTE_PGM_RSRC2:TGID_Z_EN: 0
; COMPUTE_PGM_RSRC2:TIDIG_COMP_CNT: 0
	.section	.text._ZN7rocprim17ROCPRIM_400000_NS6detail17trampoline_kernelINS0_13select_configILj256ELj13ELNS0_17block_load_methodE3ELS4_3ELS4_3ELNS0_20block_scan_algorithmE0ELj4294967295EEENS1_25partition_config_selectorILNS1_17partition_subalgoE3EjNS0_10empty_typeEbEEZZNS1_14partition_implILS8_3ELb0ES6_jNS0_17counting_iteratorIjlEEPS9_SE_NS0_5tupleIJPjSE_EEENSF_IJSE_SE_EEES9_SG_JZNS1_25segmented_radix_sort_implINS0_14default_configELb1EPKiPiPKlPlN2at6native12_GLOBAL__N_18offset_tEEE10hipError_tPvRmT1_PNSt15iterator_traitsISY_E10value_typeET2_T3_PNSZ_IS14_E10value_typeET4_jRbjT5_S1A_jjP12ihipStream_tbEUljE_EEESV_SW_SX_S14_S18_S1A_T6_T7_T9_mT8_S1C_bDpT10_ENKUlT_T0_E_clISt17integral_constantIbLb0EES1P_EEDaS1K_S1L_EUlS1K_E_NS1_11comp_targetILNS1_3genE0ELNS1_11target_archE4294967295ELNS1_3gpuE0ELNS1_3repE0EEENS1_30default_config_static_selectorELNS0_4arch9wavefront6targetE0EEEvSY_,"axG",@progbits,_ZN7rocprim17ROCPRIM_400000_NS6detail17trampoline_kernelINS0_13select_configILj256ELj13ELNS0_17block_load_methodE3ELS4_3ELS4_3ELNS0_20block_scan_algorithmE0ELj4294967295EEENS1_25partition_config_selectorILNS1_17partition_subalgoE3EjNS0_10empty_typeEbEEZZNS1_14partition_implILS8_3ELb0ES6_jNS0_17counting_iteratorIjlEEPS9_SE_NS0_5tupleIJPjSE_EEENSF_IJSE_SE_EEES9_SG_JZNS1_25segmented_radix_sort_implINS0_14default_configELb1EPKiPiPKlPlN2at6native12_GLOBAL__N_18offset_tEEE10hipError_tPvRmT1_PNSt15iterator_traitsISY_E10value_typeET2_T3_PNSZ_IS14_E10value_typeET4_jRbjT5_S1A_jjP12ihipStream_tbEUljE_EEESV_SW_SX_S14_S18_S1A_T6_T7_T9_mT8_S1C_bDpT10_ENKUlT_T0_E_clISt17integral_constantIbLb0EES1P_EEDaS1K_S1L_EUlS1K_E_NS1_11comp_targetILNS1_3genE0ELNS1_11target_archE4294967295ELNS1_3gpuE0ELNS1_3repE0EEENS1_30default_config_static_selectorELNS0_4arch9wavefront6targetE0EEEvSY_,comdat
	.globl	_ZN7rocprim17ROCPRIM_400000_NS6detail17trampoline_kernelINS0_13select_configILj256ELj13ELNS0_17block_load_methodE3ELS4_3ELS4_3ELNS0_20block_scan_algorithmE0ELj4294967295EEENS1_25partition_config_selectorILNS1_17partition_subalgoE3EjNS0_10empty_typeEbEEZZNS1_14partition_implILS8_3ELb0ES6_jNS0_17counting_iteratorIjlEEPS9_SE_NS0_5tupleIJPjSE_EEENSF_IJSE_SE_EEES9_SG_JZNS1_25segmented_radix_sort_implINS0_14default_configELb1EPKiPiPKlPlN2at6native12_GLOBAL__N_18offset_tEEE10hipError_tPvRmT1_PNSt15iterator_traitsISY_E10value_typeET2_T3_PNSZ_IS14_E10value_typeET4_jRbjT5_S1A_jjP12ihipStream_tbEUljE_EEESV_SW_SX_S14_S18_S1A_T6_T7_T9_mT8_S1C_bDpT10_ENKUlT_T0_E_clISt17integral_constantIbLb0EES1P_EEDaS1K_S1L_EUlS1K_E_NS1_11comp_targetILNS1_3genE0ELNS1_11target_archE4294967295ELNS1_3gpuE0ELNS1_3repE0EEENS1_30default_config_static_selectorELNS0_4arch9wavefront6targetE0EEEvSY_ ; -- Begin function _ZN7rocprim17ROCPRIM_400000_NS6detail17trampoline_kernelINS0_13select_configILj256ELj13ELNS0_17block_load_methodE3ELS4_3ELS4_3ELNS0_20block_scan_algorithmE0ELj4294967295EEENS1_25partition_config_selectorILNS1_17partition_subalgoE3EjNS0_10empty_typeEbEEZZNS1_14partition_implILS8_3ELb0ES6_jNS0_17counting_iteratorIjlEEPS9_SE_NS0_5tupleIJPjSE_EEENSF_IJSE_SE_EEES9_SG_JZNS1_25segmented_radix_sort_implINS0_14default_configELb1EPKiPiPKlPlN2at6native12_GLOBAL__N_18offset_tEEE10hipError_tPvRmT1_PNSt15iterator_traitsISY_E10value_typeET2_T3_PNSZ_IS14_E10value_typeET4_jRbjT5_S1A_jjP12ihipStream_tbEUljE_EEESV_SW_SX_S14_S18_S1A_T6_T7_T9_mT8_S1C_bDpT10_ENKUlT_T0_E_clISt17integral_constantIbLb0EES1P_EEDaS1K_S1L_EUlS1K_E_NS1_11comp_targetILNS1_3genE0ELNS1_11target_archE4294967295ELNS1_3gpuE0ELNS1_3repE0EEENS1_30default_config_static_selectorELNS0_4arch9wavefront6targetE0EEEvSY_
	.p2align	8
	.type	_ZN7rocprim17ROCPRIM_400000_NS6detail17trampoline_kernelINS0_13select_configILj256ELj13ELNS0_17block_load_methodE3ELS4_3ELS4_3ELNS0_20block_scan_algorithmE0ELj4294967295EEENS1_25partition_config_selectorILNS1_17partition_subalgoE3EjNS0_10empty_typeEbEEZZNS1_14partition_implILS8_3ELb0ES6_jNS0_17counting_iteratorIjlEEPS9_SE_NS0_5tupleIJPjSE_EEENSF_IJSE_SE_EEES9_SG_JZNS1_25segmented_radix_sort_implINS0_14default_configELb1EPKiPiPKlPlN2at6native12_GLOBAL__N_18offset_tEEE10hipError_tPvRmT1_PNSt15iterator_traitsISY_E10value_typeET2_T3_PNSZ_IS14_E10value_typeET4_jRbjT5_S1A_jjP12ihipStream_tbEUljE_EEESV_SW_SX_S14_S18_S1A_T6_T7_T9_mT8_S1C_bDpT10_ENKUlT_T0_E_clISt17integral_constantIbLb0EES1P_EEDaS1K_S1L_EUlS1K_E_NS1_11comp_targetILNS1_3genE0ELNS1_11target_archE4294967295ELNS1_3gpuE0ELNS1_3repE0EEENS1_30default_config_static_selectorELNS0_4arch9wavefront6targetE0EEEvSY_,@function
_ZN7rocprim17ROCPRIM_400000_NS6detail17trampoline_kernelINS0_13select_configILj256ELj13ELNS0_17block_load_methodE3ELS4_3ELS4_3ELNS0_20block_scan_algorithmE0ELj4294967295EEENS1_25partition_config_selectorILNS1_17partition_subalgoE3EjNS0_10empty_typeEbEEZZNS1_14partition_implILS8_3ELb0ES6_jNS0_17counting_iteratorIjlEEPS9_SE_NS0_5tupleIJPjSE_EEENSF_IJSE_SE_EEES9_SG_JZNS1_25segmented_radix_sort_implINS0_14default_configELb1EPKiPiPKlPlN2at6native12_GLOBAL__N_18offset_tEEE10hipError_tPvRmT1_PNSt15iterator_traitsISY_E10value_typeET2_T3_PNSZ_IS14_E10value_typeET4_jRbjT5_S1A_jjP12ihipStream_tbEUljE_EEESV_SW_SX_S14_S18_S1A_T6_T7_T9_mT8_S1C_bDpT10_ENKUlT_T0_E_clISt17integral_constantIbLb0EES1P_EEDaS1K_S1L_EUlS1K_E_NS1_11comp_targetILNS1_3genE0ELNS1_11target_archE4294967295ELNS1_3gpuE0ELNS1_3repE0EEENS1_30default_config_static_selectorELNS0_4arch9wavefront6targetE0EEEvSY_: ; @_ZN7rocprim17ROCPRIM_400000_NS6detail17trampoline_kernelINS0_13select_configILj256ELj13ELNS0_17block_load_methodE3ELS4_3ELS4_3ELNS0_20block_scan_algorithmE0ELj4294967295EEENS1_25partition_config_selectorILNS1_17partition_subalgoE3EjNS0_10empty_typeEbEEZZNS1_14partition_implILS8_3ELb0ES6_jNS0_17counting_iteratorIjlEEPS9_SE_NS0_5tupleIJPjSE_EEENSF_IJSE_SE_EEES9_SG_JZNS1_25segmented_radix_sort_implINS0_14default_configELb1EPKiPiPKlPlN2at6native12_GLOBAL__N_18offset_tEEE10hipError_tPvRmT1_PNSt15iterator_traitsISY_E10value_typeET2_T3_PNSZ_IS14_E10value_typeET4_jRbjT5_S1A_jjP12ihipStream_tbEUljE_EEESV_SW_SX_S14_S18_S1A_T6_T7_T9_mT8_S1C_bDpT10_ENKUlT_T0_E_clISt17integral_constantIbLb0EES1P_EEDaS1K_S1L_EUlS1K_E_NS1_11comp_targetILNS1_3genE0ELNS1_11target_archE4294967295ELNS1_3gpuE0ELNS1_3repE0EEENS1_30default_config_static_selectorELNS0_4arch9wavefront6targetE0EEEvSY_
; %bb.0:
	.section	.rodata,"a",@progbits
	.p2align	6, 0x0
	.amdhsa_kernel _ZN7rocprim17ROCPRIM_400000_NS6detail17trampoline_kernelINS0_13select_configILj256ELj13ELNS0_17block_load_methodE3ELS4_3ELS4_3ELNS0_20block_scan_algorithmE0ELj4294967295EEENS1_25partition_config_selectorILNS1_17partition_subalgoE3EjNS0_10empty_typeEbEEZZNS1_14partition_implILS8_3ELb0ES6_jNS0_17counting_iteratorIjlEEPS9_SE_NS0_5tupleIJPjSE_EEENSF_IJSE_SE_EEES9_SG_JZNS1_25segmented_radix_sort_implINS0_14default_configELb1EPKiPiPKlPlN2at6native12_GLOBAL__N_18offset_tEEE10hipError_tPvRmT1_PNSt15iterator_traitsISY_E10value_typeET2_T3_PNSZ_IS14_E10value_typeET4_jRbjT5_S1A_jjP12ihipStream_tbEUljE_EEESV_SW_SX_S14_S18_S1A_T6_T7_T9_mT8_S1C_bDpT10_ENKUlT_T0_E_clISt17integral_constantIbLb0EES1P_EEDaS1K_S1L_EUlS1K_E_NS1_11comp_targetILNS1_3genE0ELNS1_11target_archE4294967295ELNS1_3gpuE0ELNS1_3repE0EEENS1_30default_config_static_selectorELNS0_4arch9wavefront6targetE0EEEvSY_
		.amdhsa_group_segment_fixed_size 0
		.amdhsa_private_segment_fixed_size 0
		.amdhsa_kernarg_size 144
		.amdhsa_user_sgpr_count 2
		.amdhsa_user_sgpr_dispatch_ptr 0
		.amdhsa_user_sgpr_queue_ptr 0
		.amdhsa_user_sgpr_kernarg_segment_ptr 1
		.amdhsa_user_sgpr_dispatch_id 0
		.amdhsa_user_sgpr_private_segment_size 0
		.amdhsa_wavefront_size32 1
		.amdhsa_uses_dynamic_stack 0
		.amdhsa_enable_private_segment 0
		.amdhsa_system_sgpr_workgroup_id_x 1
		.amdhsa_system_sgpr_workgroup_id_y 0
		.amdhsa_system_sgpr_workgroup_id_z 0
		.amdhsa_system_sgpr_workgroup_info 0
		.amdhsa_system_vgpr_workitem_id 0
		.amdhsa_next_free_vgpr 1
		.amdhsa_next_free_sgpr 1
		.amdhsa_reserve_vcc 0
		.amdhsa_float_round_mode_32 0
		.amdhsa_float_round_mode_16_64 0
		.amdhsa_float_denorm_mode_32 3
		.amdhsa_float_denorm_mode_16_64 3
		.amdhsa_fp16_overflow 0
		.amdhsa_workgroup_processor_mode 1
		.amdhsa_memory_ordered 1
		.amdhsa_forward_progress 1
		.amdhsa_inst_pref_size 0
		.amdhsa_round_robin_scheduling 0
		.amdhsa_exception_fp_ieee_invalid_op 0
		.amdhsa_exception_fp_denorm_src 0
		.amdhsa_exception_fp_ieee_div_zero 0
		.amdhsa_exception_fp_ieee_overflow 0
		.amdhsa_exception_fp_ieee_underflow 0
		.amdhsa_exception_fp_ieee_inexact 0
		.amdhsa_exception_int_div_zero 0
	.end_amdhsa_kernel
	.section	.text._ZN7rocprim17ROCPRIM_400000_NS6detail17trampoline_kernelINS0_13select_configILj256ELj13ELNS0_17block_load_methodE3ELS4_3ELS4_3ELNS0_20block_scan_algorithmE0ELj4294967295EEENS1_25partition_config_selectorILNS1_17partition_subalgoE3EjNS0_10empty_typeEbEEZZNS1_14partition_implILS8_3ELb0ES6_jNS0_17counting_iteratorIjlEEPS9_SE_NS0_5tupleIJPjSE_EEENSF_IJSE_SE_EEES9_SG_JZNS1_25segmented_radix_sort_implINS0_14default_configELb1EPKiPiPKlPlN2at6native12_GLOBAL__N_18offset_tEEE10hipError_tPvRmT1_PNSt15iterator_traitsISY_E10value_typeET2_T3_PNSZ_IS14_E10value_typeET4_jRbjT5_S1A_jjP12ihipStream_tbEUljE_EEESV_SW_SX_S14_S18_S1A_T6_T7_T9_mT8_S1C_bDpT10_ENKUlT_T0_E_clISt17integral_constantIbLb0EES1P_EEDaS1K_S1L_EUlS1K_E_NS1_11comp_targetILNS1_3genE0ELNS1_11target_archE4294967295ELNS1_3gpuE0ELNS1_3repE0EEENS1_30default_config_static_selectorELNS0_4arch9wavefront6targetE0EEEvSY_,"axG",@progbits,_ZN7rocprim17ROCPRIM_400000_NS6detail17trampoline_kernelINS0_13select_configILj256ELj13ELNS0_17block_load_methodE3ELS4_3ELS4_3ELNS0_20block_scan_algorithmE0ELj4294967295EEENS1_25partition_config_selectorILNS1_17partition_subalgoE3EjNS0_10empty_typeEbEEZZNS1_14partition_implILS8_3ELb0ES6_jNS0_17counting_iteratorIjlEEPS9_SE_NS0_5tupleIJPjSE_EEENSF_IJSE_SE_EEES9_SG_JZNS1_25segmented_radix_sort_implINS0_14default_configELb1EPKiPiPKlPlN2at6native12_GLOBAL__N_18offset_tEEE10hipError_tPvRmT1_PNSt15iterator_traitsISY_E10value_typeET2_T3_PNSZ_IS14_E10value_typeET4_jRbjT5_S1A_jjP12ihipStream_tbEUljE_EEESV_SW_SX_S14_S18_S1A_T6_T7_T9_mT8_S1C_bDpT10_ENKUlT_T0_E_clISt17integral_constantIbLb0EES1P_EEDaS1K_S1L_EUlS1K_E_NS1_11comp_targetILNS1_3genE0ELNS1_11target_archE4294967295ELNS1_3gpuE0ELNS1_3repE0EEENS1_30default_config_static_selectorELNS0_4arch9wavefront6targetE0EEEvSY_,comdat
.Lfunc_end465:
	.size	_ZN7rocprim17ROCPRIM_400000_NS6detail17trampoline_kernelINS0_13select_configILj256ELj13ELNS0_17block_load_methodE3ELS4_3ELS4_3ELNS0_20block_scan_algorithmE0ELj4294967295EEENS1_25partition_config_selectorILNS1_17partition_subalgoE3EjNS0_10empty_typeEbEEZZNS1_14partition_implILS8_3ELb0ES6_jNS0_17counting_iteratorIjlEEPS9_SE_NS0_5tupleIJPjSE_EEENSF_IJSE_SE_EEES9_SG_JZNS1_25segmented_radix_sort_implINS0_14default_configELb1EPKiPiPKlPlN2at6native12_GLOBAL__N_18offset_tEEE10hipError_tPvRmT1_PNSt15iterator_traitsISY_E10value_typeET2_T3_PNSZ_IS14_E10value_typeET4_jRbjT5_S1A_jjP12ihipStream_tbEUljE_EEESV_SW_SX_S14_S18_S1A_T6_T7_T9_mT8_S1C_bDpT10_ENKUlT_T0_E_clISt17integral_constantIbLb0EES1P_EEDaS1K_S1L_EUlS1K_E_NS1_11comp_targetILNS1_3genE0ELNS1_11target_archE4294967295ELNS1_3gpuE0ELNS1_3repE0EEENS1_30default_config_static_selectorELNS0_4arch9wavefront6targetE0EEEvSY_, .Lfunc_end465-_ZN7rocprim17ROCPRIM_400000_NS6detail17trampoline_kernelINS0_13select_configILj256ELj13ELNS0_17block_load_methodE3ELS4_3ELS4_3ELNS0_20block_scan_algorithmE0ELj4294967295EEENS1_25partition_config_selectorILNS1_17partition_subalgoE3EjNS0_10empty_typeEbEEZZNS1_14partition_implILS8_3ELb0ES6_jNS0_17counting_iteratorIjlEEPS9_SE_NS0_5tupleIJPjSE_EEENSF_IJSE_SE_EEES9_SG_JZNS1_25segmented_radix_sort_implINS0_14default_configELb1EPKiPiPKlPlN2at6native12_GLOBAL__N_18offset_tEEE10hipError_tPvRmT1_PNSt15iterator_traitsISY_E10value_typeET2_T3_PNSZ_IS14_E10value_typeET4_jRbjT5_S1A_jjP12ihipStream_tbEUljE_EEESV_SW_SX_S14_S18_S1A_T6_T7_T9_mT8_S1C_bDpT10_ENKUlT_T0_E_clISt17integral_constantIbLb0EES1P_EEDaS1K_S1L_EUlS1K_E_NS1_11comp_targetILNS1_3genE0ELNS1_11target_archE4294967295ELNS1_3gpuE0ELNS1_3repE0EEENS1_30default_config_static_selectorELNS0_4arch9wavefront6targetE0EEEvSY_
                                        ; -- End function
	.set _ZN7rocprim17ROCPRIM_400000_NS6detail17trampoline_kernelINS0_13select_configILj256ELj13ELNS0_17block_load_methodE3ELS4_3ELS4_3ELNS0_20block_scan_algorithmE0ELj4294967295EEENS1_25partition_config_selectorILNS1_17partition_subalgoE3EjNS0_10empty_typeEbEEZZNS1_14partition_implILS8_3ELb0ES6_jNS0_17counting_iteratorIjlEEPS9_SE_NS0_5tupleIJPjSE_EEENSF_IJSE_SE_EEES9_SG_JZNS1_25segmented_radix_sort_implINS0_14default_configELb1EPKiPiPKlPlN2at6native12_GLOBAL__N_18offset_tEEE10hipError_tPvRmT1_PNSt15iterator_traitsISY_E10value_typeET2_T3_PNSZ_IS14_E10value_typeET4_jRbjT5_S1A_jjP12ihipStream_tbEUljE_EEESV_SW_SX_S14_S18_S1A_T6_T7_T9_mT8_S1C_bDpT10_ENKUlT_T0_E_clISt17integral_constantIbLb0EES1P_EEDaS1K_S1L_EUlS1K_E_NS1_11comp_targetILNS1_3genE0ELNS1_11target_archE4294967295ELNS1_3gpuE0ELNS1_3repE0EEENS1_30default_config_static_selectorELNS0_4arch9wavefront6targetE0EEEvSY_.num_vgpr, 0
	.set _ZN7rocprim17ROCPRIM_400000_NS6detail17trampoline_kernelINS0_13select_configILj256ELj13ELNS0_17block_load_methodE3ELS4_3ELS4_3ELNS0_20block_scan_algorithmE0ELj4294967295EEENS1_25partition_config_selectorILNS1_17partition_subalgoE3EjNS0_10empty_typeEbEEZZNS1_14partition_implILS8_3ELb0ES6_jNS0_17counting_iteratorIjlEEPS9_SE_NS0_5tupleIJPjSE_EEENSF_IJSE_SE_EEES9_SG_JZNS1_25segmented_radix_sort_implINS0_14default_configELb1EPKiPiPKlPlN2at6native12_GLOBAL__N_18offset_tEEE10hipError_tPvRmT1_PNSt15iterator_traitsISY_E10value_typeET2_T3_PNSZ_IS14_E10value_typeET4_jRbjT5_S1A_jjP12ihipStream_tbEUljE_EEESV_SW_SX_S14_S18_S1A_T6_T7_T9_mT8_S1C_bDpT10_ENKUlT_T0_E_clISt17integral_constantIbLb0EES1P_EEDaS1K_S1L_EUlS1K_E_NS1_11comp_targetILNS1_3genE0ELNS1_11target_archE4294967295ELNS1_3gpuE0ELNS1_3repE0EEENS1_30default_config_static_selectorELNS0_4arch9wavefront6targetE0EEEvSY_.num_agpr, 0
	.set _ZN7rocprim17ROCPRIM_400000_NS6detail17trampoline_kernelINS0_13select_configILj256ELj13ELNS0_17block_load_methodE3ELS4_3ELS4_3ELNS0_20block_scan_algorithmE0ELj4294967295EEENS1_25partition_config_selectorILNS1_17partition_subalgoE3EjNS0_10empty_typeEbEEZZNS1_14partition_implILS8_3ELb0ES6_jNS0_17counting_iteratorIjlEEPS9_SE_NS0_5tupleIJPjSE_EEENSF_IJSE_SE_EEES9_SG_JZNS1_25segmented_radix_sort_implINS0_14default_configELb1EPKiPiPKlPlN2at6native12_GLOBAL__N_18offset_tEEE10hipError_tPvRmT1_PNSt15iterator_traitsISY_E10value_typeET2_T3_PNSZ_IS14_E10value_typeET4_jRbjT5_S1A_jjP12ihipStream_tbEUljE_EEESV_SW_SX_S14_S18_S1A_T6_T7_T9_mT8_S1C_bDpT10_ENKUlT_T0_E_clISt17integral_constantIbLb0EES1P_EEDaS1K_S1L_EUlS1K_E_NS1_11comp_targetILNS1_3genE0ELNS1_11target_archE4294967295ELNS1_3gpuE0ELNS1_3repE0EEENS1_30default_config_static_selectorELNS0_4arch9wavefront6targetE0EEEvSY_.numbered_sgpr, 0
	.set _ZN7rocprim17ROCPRIM_400000_NS6detail17trampoline_kernelINS0_13select_configILj256ELj13ELNS0_17block_load_methodE3ELS4_3ELS4_3ELNS0_20block_scan_algorithmE0ELj4294967295EEENS1_25partition_config_selectorILNS1_17partition_subalgoE3EjNS0_10empty_typeEbEEZZNS1_14partition_implILS8_3ELb0ES6_jNS0_17counting_iteratorIjlEEPS9_SE_NS0_5tupleIJPjSE_EEENSF_IJSE_SE_EEES9_SG_JZNS1_25segmented_radix_sort_implINS0_14default_configELb1EPKiPiPKlPlN2at6native12_GLOBAL__N_18offset_tEEE10hipError_tPvRmT1_PNSt15iterator_traitsISY_E10value_typeET2_T3_PNSZ_IS14_E10value_typeET4_jRbjT5_S1A_jjP12ihipStream_tbEUljE_EEESV_SW_SX_S14_S18_S1A_T6_T7_T9_mT8_S1C_bDpT10_ENKUlT_T0_E_clISt17integral_constantIbLb0EES1P_EEDaS1K_S1L_EUlS1K_E_NS1_11comp_targetILNS1_3genE0ELNS1_11target_archE4294967295ELNS1_3gpuE0ELNS1_3repE0EEENS1_30default_config_static_selectorELNS0_4arch9wavefront6targetE0EEEvSY_.num_named_barrier, 0
	.set _ZN7rocprim17ROCPRIM_400000_NS6detail17trampoline_kernelINS0_13select_configILj256ELj13ELNS0_17block_load_methodE3ELS4_3ELS4_3ELNS0_20block_scan_algorithmE0ELj4294967295EEENS1_25partition_config_selectorILNS1_17partition_subalgoE3EjNS0_10empty_typeEbEEZZNS1_14partition_implILS8_3ELb0ES6_jNS0_17counting_iteratorIjlEEPS9_SE_NS0_5tupleIJPjSE_EEENSF_IJSE_SE_EEES9_SG_JZNS1_25segmented_radix_sort_implINS0_14default_configELb1EPKiPiPKlPlN2at6native12_GLOBAL__N_18offset_tEEE10hipError_tPvRmT1_PNSt15iterator_traitsISY_E10value_typeET2_T3_PNSZ_IS14_E10value_typeET4_jRbjT5_S1A_jjP12ihipStream_tbEUljE_EEESV_SW_SX_S14_S18_S1A_T6_T7_T9_mT8_S1C_bDpT10_ENKUlT_T0_E_clISt17integral_constantIbLb0EES1P_EEDaS1K_S1L_EUlS1K_E_NS1_11comp_targetILNS1_3genE0ELNS1_11target_archE4294967295ELNS1_3gpuE0ELNS1_3repE0EEENS1_30default_config_static_selectorELNS0_4arch9wavefront6targetE0EEEvSY_.private_seg_size, 0
	.set _ZN7rocprim17ROCPRIM_400000_NS6detail17trampoline_kernelINS0_13select_configILj256ELj13ELNS0_17block_load_methodE3ELS4_3ELS4_3ELNS0_20block_scan_algorithmE0ELj4294967295EEENS1_25partition_config_selectorILNS1_17partition_subalgoE3EjNS0_10empty_typeEbEEZZNS1_14partition_implILS8_3ELb0ES6_jNS0_17counting_iteratorIjlEEPS9_SE_NS0_5tupleIJPjSE_EEENSF_IJSE_SE_EEES9_SG_JZNS1_25segmented_radix_sort_implINS0_14default_configELb1EPKiPiPKlPlN2at6native12_GLOBAL__N_18offset_tEEE10hipError_tPvRmT1_PNSt15iterator_traitsISY_E10value_typeET2_T3_PNSZ_IS14_E10value_typeET4_jRbjT5_S1A_jjP12ihipStream_tbEUljE_EEESV_SW_SX_S14_S18_S1A_T6_T7_T9_mT8_S1C_bDpT10_ENKUlT_T0_E_clISt17integral_constantIbLb0EES1P_EEDaS1K_S1L_EUlS1K_E_NS1_11comp_targetILNS1_3genE0ELNS1_11target_archE4294967295ELNS1_3gpuE0ELNS1_3repE0EEENS1_30default_config_static_selectorELNS0_4arch9wavefront6targetE0EEEvSY_.uses_vcc, 0
	.set _ZN7rocprim17ROCPRIM_400000_NS6detail17trampoline_kernelINS0_13select_configILj256ELj13ELNS0_17block_load_methodE3ELS4_3ELS4_3ELNS0_20block_scan_algorithmE0ELj4294967295EEENS1_25partition_config_selectorILNS1_17partition_subalgoE3EjNS0_10empty_typeEbEEZZNS1_14partition_implILS8_3ELb0ES6_jNS0_17counting_iteratorIjlEEPS9_SE_NS0_5tupleIJPjSE_EEENSF_IJSE_SE_EEES9_SG_JZNS1_25segmented_radix_sort_implINS0_14default_configELb1EPKiPiPKlPlN2at6native12_GLOBAL__N_18offset_tEEE10hipError_tPvRmT1_PNSt15iterator_traitsISY_E10value_typeET2_T3_PNSZ_IS14_E10value_typeET4_jRbjT5_S1A_jjP12ihipStream_tbEUljE_EEESV_SW_SX_S14_S18_S1A_T6_T7_T9_mT8_S1C_bDpT10_ENKUlT_T0_E_clISt17integral_constantIbLb0EES1P_EEDaS1K_S1L_EUlS1K_E_NS1_11comp_targetILNS1_3genE0ELNS1_11target_archE4294967295ELNS1_3gpuE0ELNS1_3repE0EEENS1_30default_config_static_selectorELNS0_4arch9wavefront6targetE0EEEvSY_.uses_flat_scratch, 0
	.set _ZN7rocprim17ROCPRIM_400000_NS6detail17trampoline_kernelINS0_13select_configILj256ELj13ELNS0_17block_load_methodE3ELS4_3ELS4_3ELNS0_20block_scan_algorithmE0ELj4294967295EEENS1_25partition_config_selectorILNS1_17partition_subalgoE3EjNS0_10empty_typeEbEEZZNS1_14partition_implILS8_3ELb0ES6_jNS0_17counting_iteratorIjlEEPS9_SE_NS0_5tupleIJPjSE_EEENSF_IJSE_SE_EEES9_SG_JZNS1_25segmented_radix_sort_implINS0_14default_configELb1EPKiPiPKlPlN2at6native12_GLOBAL__N_18offset_tEEE10hipError_tPvRmT1_PNSt15iterator_traitsISY_E10value_typeET2_T3_PNSZ_IS14_E10value_typeET4_jRbjT5_S1A_jjP12ihipStream_tbEUljE_EEESV_SW_SX_S14_S18_S1A_T6_T7_T9_mT8_S1C_bDpT10_ENKUlT_T0_E_clISt17integral_constantIbLb0EES1P_EEDaS1K_S1L_EUlS1K_E_NS1_11comp_targetILNS1_3genE0ELNS1_11target_archE4294967295ELNS1_3gpuE0ELNS1_3repE0EEENS1_30default_config_static_selectorELNS0_4arch9wavefront6targetE0EEEvSY_.has_dyn_sized_stack, 0
	.set _ZN7rocprim17ROCPRIM_400000_NS6detail17trampoline_kernelINS0_13select_configILj256ELj13ELNS0_17block_load_methodE3ELS4_3ELS4_3ELNS0_20block_scan_algorithmE0ELj4294967295EEENS1_25partition_config_selectorILNS1_17partition_subalgoE3EjNS0_10empty_typeEbEEZZNS1_14partition_implILS8_3ELb0ES6_jNS0_17counting_iteratorIjlEEPS9_SE_NS0_5tupleIJPjSE_EEENSF_IJSE_SE_EEES9_SG_JZNS1_25segmented_radix_sort_implINS0_14default_configELb1EPKiPiPKlPlN2at6native12_GLOBAL__N_18offset_tEEE10hipError_tPvRmT1_PNSt15iterator_traitsISY_E10value_typeET2_T3_PNSZ_IS14_E10value_typeET4_jRbjT5_S1A_jjP12ihipStream_tbEUljE_EEESV_SW_SX_S14_S18_S1A_T6_T7_T9_mT8_S1C_bDpT10_ENKUlT_T0_E_clISt17integral_constantIbLb0EES1P_EEDaS1K_S1L_EUlS1K_E_NS1_11comp_targetILNS1_3genE0ELNS1_11target_archE4294967295ELNS1_3gpuE0ELNS1_3repE0EEENS1_30default_config_static_selectorELNS0_4arch9wavefront6targetE0EEEvSY_.has_recursion, 0
	.set _ZN7rocprim17ROCPRIM_400000_NS6detail17trampoline_kernelINS0_13select_configILj256ELj13ELNS0_17block_load_methodE3ELS4_3ELS4_3ELNS0_20block_scan_algorithmE0ELj4294967295EEENS1_25partition_config_selectorILNS1_17partition_subalgoE3EjNS0_10empty_typeEbEEZZNS1_14partition_implILS8_3ELb0ES6_jNS0_17counting_iteratorIjlEEPS9_SE_NS0_5tupleIJPjSE_EEENSF_IJSE_SE_EEES9_SG_JZNS1_25segmented_radix_sort_implINS0_14default_configELb1EPKiPiPKlPlN2at6native12_GLOBAL__N_18offset_tEEE10hipError_tPvRmT1_PNSt15iterator_traitsISY_E10value_typeET2_T3_PNSZ_IS14_E10value_typeET4_jRbjT5_S1A_jjP12ihipStream_tbEUljE_EEESV_SW_SX_S14_S18_S1A_T6_T7_T9_mT8_S1C_bDpT10_ENKUlT_T0_E_clISt17integral_constantIbLb0EES1P_EEDaS1K_S1L_EUlS1K_E_NS1_11comp_targetILNS1_3genE0ELNS1_11target_archE4294967295ELNS1_3gpuE0ELNS1_3repE0EEENS1_30default_config_static_selectorELNS0_4arch9wavefront6targetE0EEEvSY_.has_indirect_call, 0
	.section	.AMDGPU.csdata,"",@progbits
; Kernel info:
; codeLenInByte = 0
; TotalNumSgprs: 0
; NumVgprs: 0
; ScratchSize: 0
; MemoryBound: 0
; FloatMode: 240
; IeeeMode: 1
; LDSByteSize: 0 bytes/workgroup (compile time only)
; SGPRBlocks: 0
; VGPRBlocks: 0
; NumSGPRsForWavesPerEU: 1
; NumVGPRsForWavesPerEU: 1
; Occupancy: 16
; WaveLimiterHint : 0
; COMPUTE_PGM_RSRC2:SCRATCH_EN: 0
; COMPUTE_PGM_RSRC2:USER_SGPR: 2
; COMPUTE_PGM_RSRC2:TRAP_HANDLER: 0
; COMPUTE_PGM_RSRC2:TGID_X_EN: 1
; COMPUTE_PGM_RSRC2:TGID_Y_EN: 0
; COMPUTE_PGM_RSRC2:TGID_Z_EN: 0
; COMPUTE_PGM_RSRC2:TIDIG_COMP_CNT: 0
	.section	.text._ZN7rocprim17ROCPRIM_400000_NS6detail17trampoline_kernelINS0_13select_configILj256ELj13ELNS0_17block_load_methodE3ELS4_3ELS4_3ELNS0_20block_scan_algorithmE0ELj4294967295EEENS1_25partition_config_selectorILNS1_17partition_subalgoE3EjNS0_10empty_typeEbEEZZNS1_14partition_implILS8_3ELb0ES6_jNS0_17counting_iteratorIjlEEPS9_SE_NS0_5tupleIJPjSE_EEENSF_IJSE_SE_EEES9_SG_JZNS1_25segmented_radix_sort_implINS0_14default_configELb1EPKiPiPKlPlN2at6native12_GLOBAL__N_18offset_tEEE10hipError_tPvRmT1_PNSt15iterator_traitsISY_E10value_typeET2_T3_PNSZ_IS14_E10value_typeET4_jRbjT5_S1A_jjP12ihipStream_tbEUljE_EEESV_SW_SX_S14_S18_S1A_T6_T7_T9_mT8_S1C_bDpT10_ENKUlT_T0_E_clISt17integral_constantIbLb0EES1P_EEDaS1K_S1L_EUlS1K_E_NS1_11comp_targetILNS1_3genE5ELNS1_11target_archE942ELNS1_3gpuE9ELNS1_3repE0EEENS1_30default_config_static_selectorELNS0_4arch9wavefront6targetE0EEEvSY_,"axG",@progbits,_ZN7rocprim17ROCPRIM_400000_NS6detail17trampoline_kernelINS0_13select_configILj256ELj13ELNS0_17block_load_methodE3ELS4_3ELS4_3ELNS0_20block_scan_algorithmE0ELj4294967295EEENS1_25partition_config_selectorILNS1_17partition_subalgoE3EjNS0_10empty_typeEbEEZZNS1_14partition_implILS8_3ELb0ES6_jNS0_17counting_iteratorIjlEEPS9_SE_NS0_5tupleIJPjSE_EEENSF_IJSE_SE_EEES9_SG_JZNS1_25segmented_radix_sort_implINS0_14default_configELb1EPKiPiPKlPlN2at6native12_GLOBAL__N_18offset_tEEE10hipError_tPvRmT1_PNSt15iterator_traitsISY_E10value_typeET2_T3_PNSZ_IS14_E10value_typeET4_jRbjT5_S1A_jjP12ihipStream_tbEUljE_EEESV_SW_SX_S14_S18_S1A_T6_T7_T9_mT8_S1C_bDpT10_ENKUlT_T0_E_clISt17integral_constantIbLb0EES1P_EEDaS1K_S1L_EUlS1K_E_NS1_11comp_targetILNS1_3genE5ELNS1_11target_archE942ELNS1_3gpuE9ELNS1_3repE0EEENS1_30default_config_static_selectorELNS0_4arch9wavefront6targetE0EEEvSY_,comdat
	.globl	_ZN7rocprim17ROCPRIM_400000_NS6detail17trampoline_kernelINS0_13select_configILj256ELj13ELNS0_17block_load_methodE3ELS4_3ELS4_3ELNS0_20block_scan_algorithmE0ELj4294967295EEENS1_25partition_config_selectorILNS1_17partition_subalgoE3EjNS0_10empty_typeEbEEZZNS1_14partition_implILS8_3ELb0ES6_jNS0_17counting_iteratorIjlEEPS9_SE_NS0_5tupleIJPjSE_EEENSF_IJSE_SE_EEES9_SG_JZNS1_25segmented_radix_sort_implINS0_14default_configELb1EPKiPiPKlPlN2at6native12_GLOBAL__N_18offset_tEEE10hipError_tPvRmT1_PNSt15iterator_traitsISY_E10value_typeET2_T3_PNSZ_IS14_E10value_typeET4_jRbjT5_S1A_jjP12ihipStream_tbEUljE_EEESV_SW_SX_S14_S18_S1A_T6_T7_T9_mT8_S1C_bDpT10_ENKUlT_T0_E_clISt17integral_constantIbLb0EES1P_EEDaS1K_S1L_EUlS1K_E_NS1_11comp_targetILNS1_3genE5ELNS1_11target_archE942ELNS1_3gpuE9ELNS1_3repE0EEENS1_30default_config_static_selectorELNS0_4arch9wavefront6targetE0EEEvSY_ ; -- Begin function _ZN7rocprim17ROCPRIM_400000_NS6detail17trampoline_kernelINS0_13select_configILj256ELj13ELNS0_17block_load_methodE3ELS4_3ELS4_3ELNS0_20block_scan_algorithmE0ELj4294967295EEENS1_25partition_config_selectorILNS1_17partition_subalgoE3EjNS0_10empty_typeEbEEZZNS1_14partition_implILS8_3ELb0ES6_jNS0_17counting_iteratorIjlEEPS9_SE_NS0_5tupleIJPjSE_EEENSF_IJSE_SE_EEES9_SG_JZNS1_25segmented_radix_sort_implINS0_14default_configELb1EPKiPiPKlPlN2at6native12_GLOBAL__N_18offset_tEEE10hipError_tPvRmT1_PNSt15iterator_traitsISY_E10value_typeET2_T3_PNSZ_IS14_E10value_typeET4_jRbjT5_S1A_jjP12ihipStream_tbEUljE_EEESV_SW_SX_S14_S18_S1A_T6_T7_T9_mT8_S1C_bDpT10_ENKUlT_T0_E_clISt17integral_constantIbLb0EES1P_EEDaS1K_S1L_EUlS1K_E_NS1_11comp_targetILNS1_3genE5ELNS1_11target_archE942ELNS1_3gpuE9ELNS1_3repE0EEENS1_30default_config_static_selectorELNS0_4arch9wavefront6targetE0EEEvSY_
	.p2align	8
	.type	_ZN7rocprim17ROCPRIM_400000_NS6detail17trampoline_kernelINS0_13select_configILj256ELj13ELNS0_17block_load_methodE3ELS4_3ELS4_3ELNS0_20block_scan_algorithmE0ELj4294967295EEENS1_25partition_config_selectorILNS1_17partition_subalgoE3EjNS0_10empty_typeEbEEZZNS1_14partition_implILS8_3ELb0ES6_jNS0_17counting_iteratorIjlEEPS9_SE_NS0_5tupleIJPjSE_EEENSF_IJSE_SE_EEES9_SG_JZNS1_25segmented_radix_sort_implINS0_14default_configELb1EPKiPiPKlPlN2at6native12_GLOBAL__N_18offset_tEEE10hipError_tPvRmT1_PNSt15iterator_traitsISY_E10value_typeET2_T3_PNSZ_IS14_E10value_typeET4_jRbjT5_S1A_jjP12ihipStream_tbEUljE_EEESV_SW_SX_S14_S18_S1A_T6_T7_T9_mT8_S1C_bDpT10_ENKUlT_T0_E_clISt17integral_constantIbLb0EES1P_EEDaS1K_S1L_EUlS1K_E_NS1_11comp_targetILNS1_3genE5ELNS1_11target_archE942ELNS1_3gpuE9ELNS1_3repE0EEENS1_30default_config_static_selectorELNS0_4arch9wavefront6targetE0EEEvSY_,@function
_ZN7rocprim17ROCPRIM_400000_NS6detail17trampoline_kernelINS0_13select_configILj256ELj13ELNS0_17block_load_methodE3ELS4_3ELS4_3ELNS0_20block_scan_algorithmE0ELj4294967295EEENS1_25partition_config_selectorILNS1_17partition_subalgoE3EjNS0_10empty_typeEbEEZZNS1_14partition_implILS8_3ELb0ES6_jNS0_17counting_iteratorIjlEEPS9_SE_NS0_5tupleIJPjSE_EEENSF_IJSE_SE_EEES9_SG_JZNS1_25segmented_radix_sort_implINS0_14default_configELb1EPKiPiPKlPlN2at6native12_GLOBAL__N_18offset_tEEE10hipError_tPvRmT1_PNSt15iterator_traitsISY_E10value_typeET2_T3_PNSZ_IS14_E10value_typeET4_jRbjT5_S1A_jjP12ihipStream_tbEUljE_EEESV_SW_SX_S14_S18_S1A_T6_T7_T9_mT8_S1C_bDpT10_ENKUlT_T0_E_clISt17integral_constantIbLb0EES1P_EEDaS1K_S1L_EUlS1K_E_NS1_11comp_targetILNS1_3genE5ELNS1_11target_archE942ELNS1_3gpuE9ELNS1_3repE0EEENS1_30default_config_static_selectorELNS0_4arch9wavefront6targetE0EEEvSY_: ; @_ZN7rocprim17ROCPRIM_400000_NS6detail17trampoline_kernelINS0_13select_configILj256ELj13ELNS0_17block_load_methodE3ELS4_3ELS4_3ELNS0_20block_scan_algorithmE0ELj4294967295EEENS1_25partition_config_selectorILNS1_17partition_subalgoE3EjNS0_10empty_typeEbEEZZNS1_14partition_implILS8_3ELb0ES6_jNS0_17counting_iteratorIjlEEPS9_SE_NS0_5tupleIJPjSE_EEENSF_IJSE_SE_EEES9_SG_JZNS1_25segmented_radix_sort_implINS0_14default_configELb1EPKiPiPKlPlN2at6native12_GLOBAL__N_18offset_tEEE10hipError_tPvRmT1_PNSt15iterator_traitsISY_E10value_typeET2_T3_PNSZ_IS14_E10value_typeET4_jRbjT5_S1A_jjP12ihipStream_tbEUljE_EEESV_SW_SX_S14_S18_S1A_T6_T7_T9_mT8_S1C_bDpT10_ENKUlT_T0_E_clISt17integral_constantIbLb0EES1P_EEDaS1K_S1L_EUlS1K_E_NS1_11comp_targetILNS1_3genE5ELNS1_11target_archE942ELNS1_3gpuE9ELNS1_3repE0EEENS1_30default_config_static_selectorELNS0_4arch9wavefront6targetE0EEEvSY_
; %bb.0:
	.section	.rodata,"a",@progbits
	.p2align	6, 0x0
	.amdhsa_kernel _ZN7rocprim17ROCPRIM_400000_NS6detail17trampoline_kernelINS0_13select_configILj256ELj13ELNS0_17block_load_methodE3ELS4_3ELS4_3ELNS0_20block_scan_algorithmE0ELj4294967295EEENS1_25partition_config_selectorILNS1_17partition_subalgoE3EjNS0_10empty_typeEbEEZZNS1_14partition_implILS8_3ELb0ES6_jNS0_17counting_iteratorIjlEEPS9_SE_NS0_5tupleIJPjSE_EEENSF_IJSE_SE_EEES9_SG_JZNS1_25segmented_radix_sort_implINS0_14default_configELb1EPKiPiPKlPlN2at6native12_GLOBAL__N_18offset_tEEE10hipError_tPvRmT1_PNSt15iterator_traitsISY_E10value_typeET2_T3_PNSZ_IS14_E10value_typeET4_jRbjT5_S1A_jjP12ihipStream_tbEUljE_EEESV_SW_SX_S14_S18_S1A_T6_T7_T9_mT8_S1C_bDpT10_ENKUlT_T0_E_clISt17integral_constantIbLb0EES1P_EEDaS1K_S1L_EUlS1K_E_NS1_11comp_targetILNS1_3genE5ELNS1_11target_archE942ELNS1_3gpuE9ELNS1_3repE0EEENS1_30default_config_static_selectorELNS0_4arch9wavefront6targetE0EEEvSY_
		.amdhsa_group_segment_fixed_size 0
		.amdhsa_private_segment_fixed_size 0
		.amdhsa_kernarg_size 144
		.amdhsa_user_sgpr_count 2
		.amdhsa_user_sgpr_dispatch_ptr 0
		.amdhsa_user_sgpr_queue_ptr 0
		.amdhsa_user_sgpr_kernarg_segment_ptr 1
		.amdhsa_user_sgpr_dispatch_id 0
		.amdhsa_user_sgpr_private_segment_size 0
		.amdhsa_wavefront_size32 1
		.amdhsa_uses_dynamic_stack 0
		.amdhsa_enable_private_segment 0
		.amdhsa_system_sgpr_workgroup_id_x 1
		.amdhsa_system_sgpr_workgroup_id_y 0
		.amdhsa_system_sgpr_workgroup_id_z 0
		.amdhsa_system_sgpr_workgroup_info 0
		.amdhsa_system_vgpr_workitem_id 0
		.amdhsa_next_free_vgpr 1
		.amdhsa_next_free_sgpr 1
		.amdhsa_reserve_vcc 0
		.amdhsa_float_round_mode_32 0
		.amdhsa_float_round_mode_16_64 0
		.amdhsa_float_denorm_mode_32 3
		.amdhsa_float_denorm_mode_16_64 3
		.amdhsa_fp16_overflow 0
		.amdhsa_workgroup_processor_mode 1
		.amdhsa_memory_ordered 1
		.amdhsa_forward_progress 1
		.amdhsa_inst_pref_size 0
		.amdhsa_round_robin_scheduling 0
		.amdhsa_exception_fp_ieee_invalid_op 0
		.amdhsa_exception_fp_denorm_src 0
		.amdhsa_exception_fp_ieee_div_zero 0
		.amdhsa_exception_fp_ieee_overflow 0
		.amdhsa_exception_fp_ieee_underflow 0
		.amdhsa_exception_fp_ieee_inexact 0
		.amdhsa_exception_int_div_zero 0
	.end_amdhsa_kernel
	.section	.text._ZN7rocprim17ROCPRIM_400000_NS6detail17trampoline_kernelINS0_13select_configILj256ELj13ELNS0_17block_load_methodE3ELS4_3ELS4_3ELNS0_20block_scan_algorithmE0ELj4294967295EEENS1_25partition_config_selectorILNS1_17partition_subalgoE3EjNS0_10empty_typeEbEEZZNS1_14partition_implILS8_3ELb0ES6_jNS0_17counting_iteratorIjlEEPS9_SE_NS0_5tupleIJPjSE_EEENSF_IJSE_SE_EEES9_SG_JZNS1_25segmented_radix_sort_implINS0_14default_configELb1EPKiPiPKlPlN2at6native12_GLOBAL__N_18offset_tEEE10hipError_tPvRmT1_PNSt15iterator_traitsISY_E10value_typeET2_T3_PNSZ_IS14_E10value_typeET4_jRbjT5_S1A_jjP12ihipStream_tbEUljE_EEESV_SW_SX_S14_S18_S1A_T6_T7_T9_mT8_S1C_bDpT10_ENKUlT_T0_E_clISt17integral_constantIbLb0EES1P_EEDaS1K_S1L_EUlS1K_E_NS1_11comp_targetILNS1_3genE5ELNS1_11target_archE942ELNS1_3gpuE9ELNS1_3repE0EEENS1_30default_config_static_selectorELNS0_4arch9wavefront6targetE0EEEvSY_,"axG",@progbits,_ZN7rocprim17ROCPRIM_400000_NS6detail17trampoline_kernelINS0_13select_configILj256ELj13ELNS0_17block_load_methodE3ELS4_3ELS4_3ELNS0_20block_scan_algorithmE0ELj4294967295EEENS1_25partition_config_selectorILNS1_17partition_subalgoE3EjNS0_10empty_typeEbEEZZNS1_14partition_implILS8_3ELb0ES6_jNS0_17counting_iteratorIjlEEPS9_SE_NS0_5tupleIJPjSE_EEENSF_IJSE_SE_EEES9_SG_JZNS1_25segmented_radix_sort_implINS0_14default_configELb1EPKiPiPKlPlN2at6native12_GLOBAL__N_18offset_tEEE10hipError_tPvRmT1_PNSt15iterator_traitsISY_E10value_typeET2_T3_PNSZ_IS14_E10value_typeET4_jRbjT5_S1A_jjP12ihipStream_tbEUljE_EEESV_SW_SX_S14_S18_S1A_T6_T7_T9_mT8_S1C_bDpT10_ENKUlT_T0_E_clISt17integral_constantIbLb0EES1P_EEDaS1K_S1L_EUlS1K_E_NS1_11comp_targetILNS1_3genE5ELNS1_11target_archE942ELNS1_3gpuE9ELNS1_3repE0EEENS1_30default_config_static_selectorELNS0_4arch9wavefront6targetE0EEEvSY_,comdat
.Lfunc_end466:
	.size	_ZN7rocprim17ROCPRIM_400000_NS6detail17trampoline_kernelINS0_13select_configILj256ELj13ELNS0_17block_load_methodE3ELS4_3ELS4_3ELNS0_20block_scan_algorithmE0ELj4294967295EEENS1_25partition_config_selectorILNS1_17partition_subalgoE3EjNS0_10empty_typeEbEEZZNS1_14partition_implILS8_3ELb0ES6_jNS0_17counting_iteratorIjlEEPS9_SE_NS0_5tupleIJPjSE_EEENSF_IJSE_SE_EEES9_SG_JZNS1_25segmented_radix_sort_implINS0_14default_configELb1EPKiPiPKlPlN2at6native12_GLOBAL__N_18offset_tEEE10hipError_tPvRmT1_PNSt15iterator_traitsISY_E10value_typeET2_T3_PNSZ_IS14_E10value_typeET4_jRbjT5_S1A_jjP12ihipStream_tbEUljE_EEESV_SW_SX_S14_S18_S1A_T6_T7_T9_mT8_S1C_bDpT10_ENKUlT_T0_E_clISt17integral_constantIbLb0EES1P_EEDaS1K_S1L_EUlS1K_E_NS1_11comp_targetILNS1_3genE5ELNS1_11target_archE942ELNS1_3gpuE9ELNS1_3repE0EEENS1_30default_config_static_selectorELNS0_4arch9wavefront6targetE0EEEvSY_, .Lfunc_end466-_ZN7rocprim17ROCPRIM_400000_NS6detail17trampoline_kernelINS0_13select_configILj256ELj13ELNS0_17block_load_methodE3ELS4_3ELS4_3ELNS0_20block_scan_algorithmE0ELj4294967295EEENS1_25partition_config_selectorILNS1_17partition_subalgoE3EjNS0_10empty_typeEbEEZZNS1_14partition_implILS8_3ELb0ES6_jNS0_17counting_iteratorIjlEEPS9_SE_NS0_5tupleIJPjSE_EEENSF_IJSE_SE_EEES9_SG_JZNS1_25segmented_radix_sort_implINS0_14default_configELb1EPKiPiPKlPlN2at6native12_GLOBAL__N_18offset_tEEE10hipError_tPvRmT1_PNSt15iterator_traitsISY_E10value_typeET2_T3_PNSZ_IS14_E10value_typeET4_jRbjT5_S1A_jjP12ihipStream_tbEUljE_EEESV_SW_SX_S14_S18_S1A_T6_T7_T9_mT8_S1C_bDpT10_ENKUlT_T0_E_clISt17integral_constantIbLb0EES1P_EEDaS1K_S1L_EUlS1K_E_NS1_11comp_targetILNS1_3genE5ELNS1_11target_archE942ELNS1_3gpuE9ELNS1_3repE0EEENS1_30default_config_static_selectorELNS0_4arch9wavefront6targetE0EEEvSY_
                                        ; -- End function
	.set _ZN7rocprim17ROCPRIM_400000_NS6detail17trampoline_kernelINS0_13select_configILj256ELj13ELNS0_17block_load_methodE3ELS4_3ELS4_3ELNS0_20block_scan_algorithmE0ELj4294967295EEENS1_25partition_config_selectorILNS1_17partition_subalgoE3EjNS0_10empty_typeEbEEZZNS1_14partition_implILS8_3ELb0ES6_jNS0_17counting_iteratorIjlEEPS9_SE_NS0_5tupleIJPjSE_EEENSF_IJSE_SE_EEES9_SG_JZNS1_25segmented_radix_sort_implINS0_14default_configELb1EPKiPiPKlPlN2at6native12_GLOBAL__N_18offset_tEEE10hipError_tPvRmT1_PNSt15iterator_traitsISY_E10value_typeET2_T3_PNSZ_IS14_E10value_typeET4_jRbjT5_S1A_jjP12ihipStream_tbEUljE_EEESV_SW_SX_S14_S18_S1A_T6_T7_T9_mT8_S1C_bDpT10_ENKUlT_T0_E_clISt17integral_constantIbLb0EES1P_EEDaS1K_S1L_EUlS1K_E_NS1_11comp_targetILNS1_3genE5ELNS1_11target_archE942ELNS1_3gpuE9ELNS1_3repE0EEENS1_30default_config_static_selectorELNS0_4arch9wavefront6targetE0EEEvSY_.num_vgpr, 0
	.set _ZN7rocprim17ROCPRIM_400000_NS6detail17trampoline_kernelINS0_13select_configILj256ELj13ELNS0_17block_load_methodE3ELS4_3ELS4_3ELNS0_20block_scan_algorithmE0ELj4294967295EEENS1_25partition_config_selectorILNS1_17partition_subalgoE3EjNS0_10empty_typeEbEEZZNS1_14partition_implILS8_3ELb0ES6_jNS0_17counting_iteratorIjlEEPS9_SE_NS0_5tupleIJPjSE_EEENSF_IJSE_SE_EEES9_SG_JZNS1_25segmented_radix_sort_implINS0_14default_configELb1EPKiPiPKlPlN2at6native12_GLOBAL__N_18offset_tEEE10hipError_tPvRmT1_PNSt15iterator_traitsISY_E10value_typeET2_T3_PNSZ_IS14_E10value_typeET4_jRbjT5_S1A_jjP12ihipStream_tbEUljE_EEESV_SW_SX_S14_S18_S1A_T6_T7_T9_mT8_S1C_bDpT10_ENKUlT_T0_E_clISt17integral_constantIbLb0EES1P_EEDaS1K_S1L_EUlS1K_E_NS1_11comp_targetILNS1_3genE5ELNS1_11target_archE942ELNS1_3gpuE9ELNS1_3repE0EEENS1_30default_config_static_selectorELNS0_4arch9wavefront6targetE0EEEvSY_.num_agpr, 0
	.set _ZN7rocprim17ROCPRIM_400000_NS6detail17trampoline_kernelINS0_13select_configILj256ELj13ELNS0_17block_load_methodE3ELS4_3ELS4_3ELNS0_20block_scan_algorithmE0ELj4294967295EEENS1_25partition_config_selectorILNS1_17partition_subalgoE3EjNS0_10empty_typeEbEEZZNS1_14partition_implILS8_3ELb0ES6_jNS0_17counting_iteratorIjlEEPS9_SE_NS0_5tupleIJPjSE_EEENSF_IJSE_SE_EEES9_SG_JZNS1_25segmented_radix_sort_implINS0_14default_configELb1EPKiPiPKlPlN2at6native12_GLOBAL__N_18offset_tEEE10hipError_tPvRmT1_PNSt15iterator_traitsISY_E10value_typeET2_T3_PNSZ_IS14_E10value_typeET4_jRbjT5_S1A_jjP12ihipStream_tbEUljE_EEESV_SW_SX_S14_S18_S1A_T6_T7_T9_mT8_S1C_bDpT10_ENKUlT_T0_E_clISt17integral_constantIbLb0EES1P_EEDaS1K_S1L_EUlS1K_E_NS1_11comp_targetILNS1_3genE5ELNS1_11target_archE942ELNS1_3gpuE9ELNS1_3repE0EEENS1_30default_config_static_selectorELNS0_4arch9wavefront6targetE0EEEvSY_.numbered_sgpr, 0
	.set _ZN7rocprim17ROCPRIM_400000_NS6detail17trampoline_kernelINS0_13select_configILj256ELj13ELNS0_17block_load_methodE3ELS4_3ELS4_3ELNS0_20block_scan_algorithmE0ELj4294967295EEENS1_25partition_config_selectorILNS1_17partition_subalgoE3EjNS0_10empty_typeEbEEZZNS1_14partition_implILS8_3ELb0ES6_jNS0_17counting_iteratorIjlEEPS9_SE_NS0_5tupleIJPjSE_EEENSF_IJSE_SE_EEES9_SG_JZNS1_25segmented_radix_sort_implINS0_14default_configELb1EPKiPiPKlPlN2at6native12_GLOBAL__N_18offset_tEEE10hipError_tPvRmT1_PNSt15iterator_traitsISY_E10value_typeET2_T3_PNSZ_IS14_E10value_typeET4_jRbjT5_S1A_jjP12ihipStream_tbEUljE_EEESV_SW_SX_S14_S18_S1A_T6_T7_T9_mT8_S1C_bDpT10_ENKUlT_T0_E_clISt17integral_constantIbLb0EES1P_EEDaS1K_S1L_EUlS1K_E_NS1_11comp_targetILNS1_3genE5ELNS1_11target_archE942ELNS1_3gpuE9ELNS1_3repE0EEENS1_30default_config_static_selectorELNS0_4arch9wavefront6targetE0EEEvSY_.num_named_barrier, 0
	.set _ZN7rocprim17ROCPRIM_400000_NS6detail17trampoline_kernelINS0_13select_configILj256ELj13ELNS0_17block_load_methodE3ELS4_3ELS4_3ELNS0_20block_scan_algorithmE0ELj4294967295EEENS1_25partition_config_selectorILNS1_17partition_subalgoE3EjNS0_10empty_typeEbEEZZNS1_14partition_implILS8_3ELb0ES6_jNS0_17counting_iteratorIjlEEPS9_SE_NS0_5tupleIJPjSE_EEENSF_IJSE_SE_EEES9_SG_JZNS1_25segmented_radix_sort_implINS0_14default_configELb1EPKiPiPKlPlN2at6native12_GLOBAL__N_18offset_tEEE10hipError_tPvRmT1_PNSt15iterator_traitsISY_E10value_typeET2_T3_PNSZ_IS14_E10value_typeET4_jRbjT5_S1A_jjP12ihipStream_tbEUljE_EEESV_SW_SX_S14_S18_S1A_T6_T7_T9_mT8_S1C_bDpT10_ENKUlT_T0_E_clISt17integral_constantIbLb0EES1P_EEDaS1K_S1L_EUlS1K_E_NS1_11comp_targetILNS1_3genE5ELNS1_11target_archE942ELNS1_3gpuE9ELNS1_3repE0EEENS1_30default_config_static_selectorELNS0_4arch9wavefront6targetE0EEEvSY_.private_seg_size, 0
	.set _ZN7rocprim17ROCPRIM_400000_NS6detail17trampoline_kernelINS0_13select_configILj256ELj13ELNS0_17block_load_methodE3ELS4_3ELS4_3ELNS0_20block_scan_algorithmE0ELj4294967295EEENS1_25partition_config_selectorILNS1_17partition_subalgoE3EjNS0_10empty_typeEbEEZZNS1_14partition_implILS8_3ELb0ES6_jNS0_17counting_iteratorIjlEEPS9_SE_NS0_5tupleIJPjSE_EEENSF_IJSE_SE_EEES9_SG_JZNS1_25segmented_radix_sort_implINS0_14default_configELb1EPKiPiPKlPlN2at6native12_GLOBAL__N_18offset_tEEE10hipError_tPvRmT1_PNSt15iterator_traitsISY_E10value_typeET2_T3_PNSZ_IS14_E10value_typeET4_jRbjT5_S1A_jjP12ihipStream_tbEUljE_EEESV_SW_SX_S14_S18_S1A_T6_T7_T9_mT8_S1C_bDpT10_ENKUlT_T0_E_clISt17integral_constantIbLb0EES1P_EEDaS1K_S1L_EUlS1K_E_NS1_11comp_targetILNS1_3genE5ELNS1_11target_archE942ELNS1_3gpuE9ELNS1_3repE0EEENS1_30default_config_static_selectorELNS0_4arch9wavefront6targetE0EEEvSY_.uses_vcc, 0
	.set _ZN7rocprim17ROCPRIM_400000_NS6detail17trampoline_kernelINS0_13select_configILj256ELj13ELNS0_17block_load_methodE3ELS4_3ELS4_3ELNS0_20block_scan_algorithmE0ELj4294967295EEENS1_25partition_config_selectorILNS1_17partition_subalgoE3EjNS0_10empty_typeEbEEZZNS1_14partition_implILS8_3ELb0ES6_jNS0_17counting_iteratorIjlEEPS9_SE_NS0_5tupleIJPjSE_EEENSF_IJSE_SE_EEES9_SG_JZNS1_25segmented_radix_sort_implINS0_14default_configELb1EPKiPiPKlPlN2at6native12_GLOBAL__N_18offset_tEEE10hipError_tPvRmT1_PNSt15iterator_traitsISY_E10value_typeET2_T3_PNSZ_IS14_E10value_typeET4_jRbjT5_S1A_jjP12ihipStream_tbEUljE_EEESV_SW_SX_S14_S18_S1A_T6_T7_T9_mT8_S1C_bDpT10_ENKUlT_T0_E_clISt17integral_constantIbLb0EES1P_EEDaS1K_S1L_EUlS1K_E_NS1_11comp_targetILNS1_3genE5ELNS1_11target_archE942ELNS1_3gpuE9ELNS1_3repE0EEENS1_30default_config_static_selectorELNS0_4arch9wavefront6targetE0EEEvSY_.uses_flat_scratch, 0
	.set _ZN7rocprim17ROCPRIM_400000_NS6detail17trampoline_kernelINS0_13select_configILj256ELj13ELNS0_17block_load_methodE3ELS4_3ELS4_3ELNS0_20block_scan_algorithmE0ELj4294967295EEENS1_25partition_config_selectorILNS1_17partition_subalgoE3EjNS0_10empty_typeEbEEZZNS1_14partition_implILS8_3ELb0ES6_jNS0_17counting_iteratorIjlEEPS9_SE_NS0_5tupleIJPjSE_EEENSF_IJSE_SE_EEES9_SG_JZNS1_25segmented_radix_sort_implINS0_14default_configELb1EPKiPiPKlPlN2at6native12_GLOBAL__N_18offset_tEEE10hipError_tPvRmT1_PNSt15iterator_traitsISY_E10value_typeET2_T3_PNSZ_IS14_E10value_typeET4_jRbjT5_S1A_jjP12ihipStream_tbEUljE_EEESV_SW_SX_S14_S18_S1A_T6_T7_T9_mT8_S1C_bDpT10_ENKUlT_T0_E_clISt17integral_constantIbLb0EES1P_EEDaS1K_S1L_EUlS1K_E_NS1_11comp_targetILNS1_3genE5ELNS1_11target_archE942ELNS1_3gpuE9ELNS1_3repE0EEENS1_30default_config_static_selectorELNS0_4arch9wavefront6targetE0EEEvSY_.has_dyn_sized_stack, 0
	.set _ZN7rocprim17ROCPRIM_400000_NS6detail17trampoline_kernelINS0_13select_configILj256ELj13ELNS0_17block_load_methodE3ELS4_3ELS4_3ELNS0_20block_scan_algorithmE0ELj4294967295EEENS1_25partition_config_selectorILNS1_17partition_subalgoE3EjNS0_10empty_typeEbEEZZNS1_14partition_implILS8_3ELb0ES6_jNS0_17counting_iteratorIjlEEPS9_SE_NS0_5tupleIJPjSE_EEENSF_IJSE_SE_EEES9_SG_JZNS1_25segmented_radix_sort_implINS0_14default_configELb1EPKiPiPKlPlN2at6native12_GLOBAL__N_18offset_tEEE10hipError_tPvRmT1_PNSt15iterator_traitsISY_E10value_typeET2_T3_PNSZ_IS14_E10value_typeET4_jRbjT5_S1A_jjP12ihipStream_tbEUljE_EEESV_SW_SX_S14_S18_S1A_T6_T7_T9_mT8_S1C_bDpT10_ENKUlT_T0_E_clISt17integral_constantIbLb0EES1P_EEDaS1K_S1L_EUlS1K_E_NS1_11comp_targetILNS1_3genE5ELNS1_11target_archE942ELNS1_3gpuE9ELNS1_3repE0EEENS1_30default_config_static_selectorELNS0_4arch9wavefront6targetE0EEEvSY_.has_recursion, 0
	.set _ZN7rocprim17ROCPRIM_400000_NS6detail17trampoline_kernelINS0_13select_configILj256ELj13ELNS0_17block_load_methodE3ELS4_3ELS4_3ELNS0_20block_scan_algorithmE0ELj4294967295EEENS1_25partition_config_selectorILNS1_17partition_subalgoE3EjNS0_10empty_typeEbEEZZNS1_14partition_implILS8_3ELb0ES6_jNS0_17counting_iteratorIjlEEPS9_SE_NS0_5tupleIJPjSE_EEENSF_IJSE_SE_EEES9_SG_JZNS1_25segmented_radix_sort_implINS0_14default_configELb1EPKiPiPKlPlN2at6native12_GLOBAL__N_18offset_tEEE10hipError_tPvRmT1_PNSt15iterator_traitsISY_E10value_typeET2_T3_PNSZ_IS14_E10value_typeET4_jRbjT5_S1A_jjP12ihipStream_tbEUljE_EEESV_SW_SX_S14_S18_S1A_T6_T7_T9_mT8_S1C_bDpT10_ENKUlT_T0_E_clISt17integral_constantIbLb0EES1P_EEDaS1K_S1L_EUlS1K_E_NS1_11comp_targetILNS1_3genE5ELNS1_11target_archE942ELNS1_3gpuE9ELNS1_3repE0EEENS1_30default_config_static_selectorELNS0_4arch9wavefront6targetE0EEEvSY_.has_indirect_call, 0
	.section	.AMDGPU.csdata,"",@progbits
; Kernel info:
; codeLenInByte = 0
; TotalNumSgprs: 0
; NumVgprs: 0
; ScratchSize: 0
; MemoryBound: 0
; FloatMode: 240
; IeeeMode: 1
; LDSByteSize: 0 bytes/workgroup (compile time only)
; SGPRBlocks: 0
; VGPRBlocks: 0
; NumSGPRsForWavesPerEU: 1
; NumVGPRsForWavesPerEU: 1
; Occupancy: 16
; WaveLimiterHint : 0
; COMPUTE_PGM_RSRC2:SCRATCH_EN: 0
; COMPUTE_PGM_RSRC2:USER_SGPR: 2
; COMPUTE_PGM_RSRC2:TRAP_HANDLER: 0
; COMPUTE_PGM_RSRC2:TGID_X_EN: 1
; COMPUTE_PGM_RSRC2:TGID_Y_EN: 0
; COMPUTE_PGM_RSRC2:TGID_Z_EN: 0
; COMPUTE_PGM_RSRC2:TIDIG_COMP_CNT: 0
	.section	.text._ZN7rocprim17ROCPRIM_400000_NS6detail17trampoline_kernelINS0_13select_configILj256ELj13ELNS0_17block_load_methodE3ELS4_3ELS4_3ELNS0_20block_scan_algorithmE0ELj4294967295EEENS1_25partition_config_selectorILNS1_17partition_subalgoE3EjNS0_10empty_typeEbEEZZNS1_14partition_implILS8_3ELb0ES6_jNS0_17counting_iteratorIjlEEPS9_SE_NS0_5tupleIJPjSE_EEENSF_IJSE_SE_EEES9_SG_JZNS1_25segmented_radix_sort_implINS0_14default_configELb1EPKiPiPKlPlN2at6native12_GLOBAL__N_18offset_tEEE10hipError_tPvRmT1_PNSt15iterator_traitsISY_E10value_typeET2_T3_PNSZ_IS14_E10value_typeET4_jRbjT5_S1A_jjP12ihipStream_tbEUljE_EEESV_SW_SX_S14_S18_S1A_T6_T7_T9_mT8_S1C_bDpT10_ENKUlT_T0_E_clISt17integral_constantIbLb0EES1P_EEDaS1K_S1L_EUlS1K_E_NS1_11comp_targetILNS1_3genE4ELNS1_11target_archE910ELNS1_3gpuE8ELNS1_3repE0EEENS1_30default_config_static_selectorELNS0_4arch9wavefront6targetE0EEEvSY_,"axG",@progbits,_ZN7rocprim17ROCPRIM_400000_NS6detail17trampoline_kernelINS0_13select_configILj256ELj13ELNS0_17block_load_methodE3ELS4_3ELS4_3ELNS0_20block_scan_algorithmE0ELj4294967295EEENS1_25partition_config_selectorILNS1_17partition_subalgoE3EjNS0_10empty_typeEbEEZZNS1_14partition_implILS8_3ELb0ES6_jNS0_17counting_iteratorIjlEEPS9_SE_NS0_5tupleIJPjSE_EEENSF_IJSE_SE_EEES9_SG_JZNS1_25segmented_radix_sort_implINS0_14default_configELb1EPKiPiPKlPlN2at6native12_GLOBAL__N_18offset_tEEE10hipError_tPvRmT1_PNSt15iterator_traitsISY_E10value_typeET2_T3_PNSZ_IS14_E10value_typeET4_jRbjT5_S1A_jjP12ihipStream_tbEUljE_EEESV_SW_SX_S14_S18_S1A_T6_T7_T9_mT8_S1C_bDpT10_ENKUlT_T0_E_clISt17integral_constantIbLb0EES1P_EEDaS1K_S1L_EUlS1K_E_NS1_11comp_targetILNS1_3genE4ELNS1_11target_archE910ELNS1_3gpuE8ELNS1_3repE0EEENS1_30default_config_static_selectorELNS0_4arch9wavefront6targetE0EEEvSY_,comdat
	.globl	_ZN7rocprim17ROCPRIM_400000_NS6detail17trampoline_kernelINS0_13select_configILj256ELj13ELNS0_17block_load_methodE3ELS4_3ELS4_3ELNS0_20block_scan_algorithmE0ELj4294967295EEENS1_25partition_config_selectorILNS1_17partition_subalgoE3EjNS0_10empty_typeEbEEZZNS1_14partition_implILS8_3ELb0ES6_jNS0_17counting_iteratorIjlEEPS9_SE_NS0_5tupleIJPjSE_EEENSF_IJSE_SE_EEES9_SG_JZNS1_25segmented_radix_sort_implINS0_14default_configELb1EPKiPiPKlPlN2at6native12_GLOBAL__N_18offset_tEEE10hipError_tPvRmT1_PNSt15iterator_traitsISY_E10value_typeET2_T3_PNSZ_IS14_E10value_typeET4_jRbjT5_S1A_jjP12ihipStream_tbEUljE_EEESV_SW_SX_S14_S18_S1A_T6_T7_T9_mT8_S1C_bDpT10_ENKUlT_T0_E_clISt17integral_constantIbLb0EES1P_EEDaS1K_S1L_EUlS1K_E_NS1_11comp_targetILNS1_3genE4ELNS1_11target_archE910ELNS1_3gpuE8ELNS1_3repE0EEENS1_30default_config_static_selectorELNS0_4arch9wavefront6targetE0EEEvSY_ ; -- Begin function _ZN7rocprim17ROCPRIM_400000_NS6detail17trampoline_kernelINS0_13select_configILj256ELj13ELNS0_17block_load_methodE3ELS4_3ELS4_3ELNS0_20block_scan_algorithmE0ELj4294967295EEENS1_25partition_config_selectorILNS1_17partition_subalgoE3EjNS0_10empty_typeEbEEZZNS1_14partition_implILS8_3ELb0ES6_jNS0_17counting_iteratorIjlEEPS9_SE_NS0_5tupleIJPjSE_EEENSF_IJSE_SE_EEES9_SG_JZNS1_25segmented_radix_sort_implINS0_14default_configELb1EPKiPiPKlPlN2at6native12_GLOBAL__N_18offset_tEEE10hipError_tPvRmT1_PNSt15iterator_traitsISY_E10value_typeET2_T3_PNSZ_IS14_E10value_typeET4_jRbjT5_S1A_jjP12ihipStream_tbEUljE_EEESV_SW_SX_S14_S18_S1A_T6_T7_T9_mT8_S1C_bDpT10_ENKUlT_T0_E_clISt17integral_constantIbLb0EES1P_EEDaS1K_S1L_EUlS1K_E_NS1_11comp_targetILNS1_3genE4ELNS1_11target_archE910ELNS1_3gpuE8ELNS1_3repE0EEENS1_30default_config_static_selectorELNS0_4arch9wavefront6targetE0EEEvSY_
	.p2align	8
	.type	_ZN7rocprim17ROCPRIM_400000_NS6detail17trampoline_kernelINS0_13select_configILj256ELj13ELNS0_17block_load_methodE3ELS4_3ELS4_3ELNS0_20block_scan_algorithmE0ELj4294967295EEENS1_25partition_config_selectorILNS1_17partition_subalgoE3EjNS0_10empty_typeEbEEZZNS1_14partition_implILS8_3ELb0ES6_jNS0_17counting_iteratorIjlEEPS9_SE_NS0_5tupleIJPjSE_EEENSF_IJSE_SE_EEES9_SG_JZNS1_25segmented_radix_sort_implINS0_14default_configELb1EPKiPiPKlPlN2at6native12_GLOBAL__N_18offset_tEEE10hipError_tPvRmT1_PNSt15iterator_traitsISY_E10value_typeET2_T3_PNSZ_IS14_E10value_typeET4_jRbjT5_S1A_jjP12ihipStream_tbEUljE_EEESV_SW_SX_S14_S18_S1A_T6_T7_T9_mT8_S1C_bDpT10_ENKUlT_T0_E_clISt17integral_constantIbLb0EES1P_EEDaS1K_S1L_EUlS1K_E_NS1_11comp_targetILNS1_3genE4ELNS1_11target_archE910ELNS1_3gpuE8ELNS1_3repE0EEENS1_30default_config_static_selectorELNS0_4arch9wavefront6targetE0EEEvSY_,@function
_ZN7rocprim17ROCPRIM_400000_NS6detail17trampoline_kernelINS0_13select_configILj256ELj13ELNS0_17block_load_methodE3ELS4_3ELS4_3ELNS0_20block_scan_algorithmE0ELj4294967295EEENS1_25partition_config_selectorILNS1_17partition_subalgoE3EjNS0_10empty_typeEbEEZZNS1_14partition_implILS8_3ELb0ES6_jNS0_17counting_iteratorIjlEEPS9_SE_NS0_5tupleIJPjSE_EEENSF_IJSE_SE_EEES9_SG_JZNS1_25segmented_radix_sort_implINS0_14default_configELb1EPKiPiPKlPlN2at6native12_GLOBAL__N_18offset_tEEE10hipError_tPvRmT1_PNSt15iterator_traitsISY_E10value_typeET2_T3_PNSZ_IS14_E10value_typeET4_jRbjT5_S1A_jjP12ihipStream_tbEUljE_EEESV_SW_SX_S14_S18_S1A_T6_T7_T9_mT8_S1C_bDpT10_ENKUlT_T0_E_clISt17integral_constantIbLb0EES1P_EEDaS1K_S1L_EUlS1K_E_NS1_11comp_targetILNS1_3genE4ELNS1_11target_archE910ELNS1_3gpuE8ELNS1_3repE0EEENS1_30default_config_static_selectorELNS0_4arch9wavefront6targetE0EEEvSY_: ; @_ZN7rocprim17ROCPRIM_400000_NS6detail17trampoline_kernelINS0_13select_configILj256ELj13ELNS0_17block_load_methodE3ELS4_3ELS4_3ELNS0_20block_scan_algorithmE0ELj4294967295EEENS1_25partition_config_selectorILNS1_17partition_subalgoE3EjNS0_10empty_typeEbEEZZNS1_14partition_implILS8_3ELb0ES6_jNS0_17counting_iteratorIjlEEPS9_SE_NS0_5tupleIJPjSE_EEENSF_IJSE_SE_EEES9_SG_JZNS1_25segmented_radix_sort_implINS0_14default_configELb1EPKiPiPKlPlN2at6native12_GLOBAL__N_18offset_tEEE10hipError_tPvRmT1_PNSt15iterator_traitsISY_E10value_typeET2_T3_PNSZ_IS14_E10value_typeET4_jRbjT5_S1A_jjP12ihipStream_tbEUljE_EEESV_SW_SX_S14_S18_S1A_T6_T7_T9_mT8_S1C_bDpT10_ENKUlT_T0_E_clISt17integral_constantIbLb0EES1P_EEDaS1K_S1L_EUlS1K_E_NS1_11comp_targetILNS1_3genE4ELNS1_11target_archE910ELNS1_3gpuE8ELNS1_3repE0EEENS1_30default_config_static_selectorELNS0_4arch9wavefront6targetE0EEEvSY_
; %bb.0:
	.section	.rodata,"a",@progbits
	.p2align	6, 0x0
	.amdhsa_kernel _ZN7rocprim17ROCPRIM_400000_NS6detail17trampoline_kernelINS0_13select_configILj256ELj13ELNS0_17block_load_methodE3ELS4_3ELS4_3ELNS0_20block_scan_algorithmE0ELj4294967295EEENS1_25partition_config_selectorILNS1_17partition_subalgoE3EjNS0_10empty_typeEbEEZZNS1_14partition_implILS8_3ELb0ES6_jNS0_17counting_iteratorIjlEEPS9_SE_NS0_5tupleIJPjSE_EEENSF_IJSE_SE_EEES9_SG_JZNS1_25segmented_radix_sort_implINS0_14default_configELb1EPKiPiPKlPlN2at6native12_GLOBAL__N_18offset_tEEE10hipError_tPvRmT1_PNSt15iterator_traitsISY_E10value_typeET2_T3_PNSZ_IS14_E10value_typeET4_jRbjT5_S1A_jjP12ihipStream_tbEUljE_EEESV_SW_SX_S14_S18_S1A_T6_T7_T9_mT8_S1C_bDpT10_ENKUlT_T0_E_clISt17integral_constantIbLb0EES1P_EEDaS1K_S1L_EUlS1K_E_NS1_11comp_targetILNS1_3genE4ELNS1_11target_archE910ELNS1_3gpuE8ELNS1_3repE0EEENS1_30default_config_static_selectorELNS0_4arch9wavefront6targetE0EEEvSY_
		.amdhsa_group_segment_fixed_size 0
		.amdhsa_private_segment_fixed_size 0
		.amdhsa_kernarg_size 144
		.amdhsa_user_sgpr_count 2
		.amdhsa_user_sgpr_dispatch_ptr 0
		.amdhsa_user_sgpr_queue_ptr 0
		.amdhsa_user_sgpr_kernarg_segment_ptr 1
		.amdhsa_user_sgpr_dispatch_id 0
		.amdhsa_user_sgpr_private_segment_size 0
		.amdhsa_wavefront_size32 1
		.amdhsa_uses_dynamic_stack 0
		.amdhsa_enable_private_segment 0
		.amdhsa_system_sgpr_workgroup_id_x 1
		.amdhsa_system_sgpr_workgroup_id_y 0
		.amdhsa_system_sgpr_workgroup_id_z 0
		.amdhsa_system_sgpr_workgroup_info 0
		.amdhsa_system_vgpr_workitem_id 0
		.amdhsa_next_free_vgpr 1
		.amdhsa_next_free_sgpr 1
		.amdhsa_reserve_vcc 0
		.amdhsa_float_round_mode_32 0
		.amdhsa_float_round_mode_16_64 0
		.amdhsa_float_denorm_mode_32 3
		.amdhsa_float_denorm_mode_16_64 3
		.amdhsa_fp16_overflow 0
		.amdhsa_workgroup_processor_mode 1
		.amdhsa_memory_ordered 1
		.amdhsa_forward_progress 1
		.amdhsa_inst_pref_size 0
		.amdhsa_round_robin_scheduling 0
		.amdhsa_exception_fp_ieee_invalid_op 0
		.amdhsa_exception_fp_denorm_src 0
		.amdhsa_exception_fp_ieee_div_zero 0
		.amdhsa_exception_fp_ieee_overflow 0
		.amdhsa_exception_fp_ieee_underflow 0
		.amdhsa_exception_fp_ieee_inexact 0
		.amdhsa_exception_int_div_zero 0
	.end_amdhsa_kernel
	.section	.text._ZN7rocprim17ROCPRIM_400000_NS6detail17trampoline_kernelINS0_13select_configILj256ELj13ELNS0_17block_load_methodE3ELS4_3ELS4_3ELNS0_20block_scan_algorithmE0ELj4294967295EEENS1_25partition_config_selectorILNS1_17partition_subalgoE3EjNS0_10empty_typeEbEEZZNS1_14partition_implILS8_3ELb0ES6_jNS0_17counting_iteratorIjlEEPS9_SE_NS0_5tupleIJPjSE_EEENSF_IJSE_SE_EEES9_SG_JZNS1_25segmented_radix_sort_implINS0_14default_configELb1EPKiPiPKlPlN2at6native12_GLOBAL__N_18offset_tEEE10hipError_tPvRmT1_PNSt15iterator_traitsISY_E10value_typeET2_T3_PNSZ_IS14_E10value_typeET4_jRbjT5_S1A_jjP12ihipStream_tbEUljE_EEESV_SW_SX_S14_S18_S1A_T6_T7_T9_mT8_S1C_bDpT10_ENKUlT_T0_E_clISt17integral_constantIbLb0EES1P_EEDaS1K_S1L_EUlS1K_E_NS1_11comp_targetILNS1_3genE4ELNS1_11target_archE910ELNS1_3gpuE8ELNS1_3repE0EEENS1_30default_config_static_selectorELNS0_4arch9wavefront6targetE0EEEvSY_,"axG",@progbits,_ZN7rocprim17ROCPRIM_400000_NS6detail17trampoline_kernelINS0_13select_configILj256ELj13ELNS0_17block_load_methodE3ELS4_3ELS4_3ELNS0_20block_scan_algorithmE0ELj4294967295EEENS1_25partition_config_selectorILNS1_17partition_subalgoE3EjNS0_10empty_typeEbEEZZNS1_14partition_implILS8_3ELb0ES6_jNS0_17counting_iteratorIjlEEPS9_SE_NS0_5tupleIJPjSE_EEENSF_IJSE_SE_EEES9_SG_JZNS1_25segmented_radix_sort_implINS0_14default_configELb1EPKiPiPKlPlN2at6native12_GLOBAL__N_18offset_tEEE10hipError_tPvRmT1_PNSt15iterator_traitsISY_E10value_typeET2_T3_PNSZ_IS14_E10value_typeET4_jRbjT5_S1A_jjP12ihipStream_tbEUljE_EEESV_SW_SX_S14_S18_S1A_T6_T7_T9_mT8_S1C_bDpT10_ENKUlT_T0_E_clISt17integral_constantIbLb0EES1P_EEDaS1K_S1L_EUlS1K_E_NS1_11comp_targetILNS1_3genE4ELNS1_11target_archE910ELNS1_3gpuE8ELNS1_3repE0EEENS1_30default_config_static_selectorELNS0_4arch9wavefront6targetE0EEEvSY_,comdat
.Lfunc_end467:
	.size	_ZN7rocprim17ROCPRIM_400000_NS6detail17trampoline_kernelINS0_13select_configILj256ELj13ELNS0_17block_load_methodE3ELS4_3ELS4_3ELNS0_20block_scan_algorithmE0ELj4294967295EEENS1_25partition_config_selectorILNS1_17partition_subalgoE3EjNS0_10empty_typeEbEEZZNS1_14partition_implILS8_3ELb0ES6_jNS0_17counting_iteratorIjlEEPS9_SE_NS0_5tupleIJPjSE_EEENSF_IJSE_SE_EEES9_SG_JZNS1_25segmented_radix_sort_implINS0_14default_configELb1EPKiPiPKlPlN2at6native12_GLOBAL__N_18offset_tEEE10hipError_tPvRmT1_PNSt15iterator_traitsISY_E10value_typeET2_T3_PNSZ_IS14_E10value_typeET4_jRbjT5_S1A_jjP12ihipStream_tbEUljE_EEESV_SW_SX_S14_S18_S1A_T6_T7_T9_mT8_S1C_bDpT10_ENKUlT_T0_E_clISt17integral_constantIbLb0EES1P_EEDaS1K_S1L_EUlS1K_E_NS1_11comp_targetILNS1_3genE4ELNS1_11target_archE910ELNS1_3gpuE8ELNS1_3repE0EEENS1_30default_config_static_selectorELNS0_4arch9wavefront6targetE0EEEvSY_, .Lfunc_end467-_ZN7rocprim17ROCPRIM_400000_NS6detail17trampoline_kernelINS0_13select_configILj256ELj13ELNS0_17block_load_methodE3ELS4_3ELS4_3ELNS0_20block_scan_algorithmE0ELj4294967295EEENS1_25partition_config_selectorILNS1_17partition_subalgoE3EjNS0_10empty_typeEbEEZZNS1_14partition_implILS8_3ELb0ES6_jNS0_17counting_iteratorIjlEEPS9_SE_NS0_5tupleIJPjSE_EEENSF_IJSE_SE_EEES9_SG_JZNS1_25segmented_radix_sort_implINS0_14default_configELb1EPKiPiPKlPlN2at6native12_GLOBAL__N_18offset_tEEE10hipError_tPvRmT1_PNSt15iterator_traitsISY_E10value_typeET2_T3_PNSZ_IS14_E10value_typeET4_jRbjT5_S1A_jjP12ihipStream_tbEUljE_EEESV_SW_SX_S14_S18_S1A_T6_T7_T9_mT8_S1C_bDpT10_ENKUlT_T0_E_clISt17integral_constantIbLb0EES1P_EEDaS1K_S1L_EUlS1K_E_NS1_11comp_targetILNS1_3genE4ELNS1_11target_archE910ELNS1_3gpuE8ELNS1_3repE0EEENS1_30default_config_static_selectorELNS0_4arch9wavefront6targetE0EEEvSY_
                                        ; -- End function
	.set _ZN7rocprim17ROCPRIM_400000_NS6detail17trampoline_kernelINS0_13select_configILj256ELj13ELNS0_17block_load_methodE3ELS4_3ELS4_3ELNS0_20block_scan_algorithmE0ELj4294967295EEENS1_25partition_config_selectorILNS1_17partition_subalgoE3EjNS0_10empty_typeEbEEZZNS1_14partition_implILS8_3ELb0ES6_jNS0_17counting_iteratorIjlEEPS9_SE_NS0_5tupleIJPjSE_EEENSF_IJSE_SE_EEES9_SG_JZNS1_25segmented_radix_sort_implINS0_14default_configELb1EPKiPiPKlPlN2at6native12_GLOBAL__N_18offset_tEEE10hipError_tPvRmT1_PNSt15iterator_traitsISY_E10value_typeET2_T3_PNSZ_IS14_E10value_typeET4_jRbjT5_S1A_jjP12ihipStream_tbEUljE_EEESV_SW_SX_S14_S18_S1A_T6_T7_T9_mT8_S1C_bDpT10_ENKUlT_T0_E_clISt17integral_constantIbLb0EES1P_EEDaS1K_S1L_EUlS1K_E_NS1_11comp_targetILNS1_3genE4ELNS1_11target_archE910ELNS1_3gpuE8ELNS1_3repE0EEENS1_30default_config_static_selectorELNS0_4arch9wavefront6targetE0EEEvSY_.num_vgpr, 0
	.set _ZN7rocprim17ROCPRIM_400000_NS6detail17trampoline_kernelINS0_13select_configILj256ELj13ELNS0_17block_load_methodE3ELS4_3ELS4_3ELNS0_20block_scan_algorithmE0ELj4294967295EEENS1_25partition_config_selectorILNS1_17partition_subalgoE3EjNS0_10empty_typeEbEEZZNS1_14partition_implILS8_3ELb0ES6_jNS0_17counting_iteratorIjlEEPS9_SE_NS0_5tupleIJPjSE_EEENSF_IJSE_SE_EEES9_SG_JZNS1_25segmented_radix_sort_implINS0_14default_configELb1EPKiPiPKlPlN2at6native12_GLOBAL__N_18offset_tEEE10hipError_tPvRmT1_PNSt15iterator_traitsISY_E10value_typeET2_T3_PNSZ_IS14_E10value_typeET4_jRbjT5_S1A_jjP12ihipStream_tbEUljE_EEESV_SW_SX_S14_S18_S1A_T6_T7_T9_mT8_S1C_bDpT10_ENKUlT_T0_E_clISt17integral_constantIbLb0EES1P_EEDaS1K_S1L_EUlS1K_E_NS1_11comp_targetILNS1_3genE4ELNS1_11target_archE910ELNS1_3gpuE8ELNS1_3repE0EEENS1_30default_config_static_selectorELNS0_4arch9wavefront6targetE0EEEvSY_.num_agpr, 0
	.set _ZN7rocprim17ROCPRIM_400000_NS6detail17trampoline_kernelINS0_13select_configILj256ELj13ELNS0_17block_load_methodE3ELS4_3ELS4_3ELNS0_20block_scan_algorithmE0ELj4294967295EEENS1_25partition_config_selectorILNS1_17partition_subalgoE3EjNS0_10empty_typeEbEEZZNS1_14partition_implILS8_3ELb0ES6_jNS0_17counting_iteratorIjlEEPS9_SE_NS0_5tupleIJPjSE_EEENSF_IJSE_SE_EEES9_SG_JZNS1_25segmented_radix_sort_implINS0_14default_configELb1EPKiPiPKlPlN2at6native12_GLOBAL__N_18offset_tEEE10hipError_tPvRmT1_PNSt15iterator_traitsISY_E10value_typeET2_T3_PNSZ_IS14_E10value_typeET4_jRbjT5_S1A_jjP12ihipStream_tbEUljE_EEESV_SW_SX_S14_S18_S1A_T6_T7_T9_mT8_S1C_bDpT10_ENKUlT_T0_E_clISt17integral_constantIbLb0EES1P_EEDaS1K_S1L_EUlS1K_E_NS1_11comp_targetILNS1_3genE4ELNS1_11target_archE910ELNS1_3gpuE8ELNS1_3repE0EEENS1_30default_config_static_selectorELNS0_4arch9wavefront6targetE0EEEvSY_.numbered_sgpr, 0
	.set _ZN7rocprim17ROCPRIM_400000_NS6detail17trampoline_kernelINS0_13select_configILj256ELj13ELNS0_17block_load_methodE3ELS4_3ELS4_3ELNS0_20block_scan_algorithmE0ELj4294967295EEENS1_25partition_config_selectorILNS1_17partition_subalgoE3EjNS0_10empty_typeEbEEZZNS1_14partition_implILS8_3ELb0ES6_jNS0_17counting_iteratorIjlEEPS9_SE_NS0_5tupleIJPjSE_EEENSF_IJSE_SE_EEES9_SG_JZNS1_25segmented_radix_sort_implINS0_14default_configELb1EPKiPiPKlPlN2at6native12_GLOBAL__N_18offset_tEEE10hipError_tPvRmT1_PNSt15iterator_traitsISY_E10value_typeET2_T3_PNSZ_IS14_E10value_typeET4_jRbjT5_S1A_jjP12ihipStream_tbEUljE_EEESV_SW_SX_S14_S18_S1A_T6_T7_T9_mT8_S1C_bDpT10_ENKUlT_T0_E_clISt17integral_constantIbLb0EES1P_EEDaS1K_S1L_EUlS1K_E_NS1_11comp_targetILNS1_3genE4ELNS1_11target_archE910ELNS1_3gpuE8ELNS1_3repE0EEENS1_30default_config_static_selectorELNS0_4arch9wavefront6targetE0EEEvSY_.num_named_barrier, 0
	.set _ZN7rocprim17ROCPRIM_400000_NS6detail17trampoline_kernelINS0_13select_configILj256ELj13ELNS0_17block_load_methodE3ELS4_3ELS4_3ELNS0_20block_scan_algorithmE0ELj4294967295EEENS1_25partition_config_selectorILNS1_17partition_subalgoE3EjNS0_10empty_typeEbEEZZNS1_14partition_implILS8_3ELb0ES6_jNS0_17counting_iteratorIjlEEPS9_SE_NS0_5tupleIJPjSE_EEENSF_IJSE_SE_EEES9_SG_JZNS1_25segmented_radix_sort_implINS0_14default_configELb1EPKiPiPKlPlN2at6native12_GLOBAL__N_18offset_tEEE10hipError_tPvRmT1_PNSt15iterator_traitsISY_E10value_typeET2_T3_PNSZ_IS14_E10value_typeET4_jRbjT5_S1A_jjP12ihipStream_tbEUljE_EEESV_SW_SX_S14_S18_S1A_T6_T7_T9_mT8_S1C_bDpT10_ENKUlT_T0_E_clISt17integral_constantIbLb0EES1P_EEDaS1K_S1L_EUlS1K_E_NS1_11comp_targetILNS1_3genE4ELNS1_11target_archE910ELNS1_3gpuE8ELNS1_3repE0EEENS1_30default_config_static_selectorELNS0_4arch9wavefront6targetE0EEEvSY_.private_seg_size, 0
	.set _ZN7rocprim17ROCPRIM_400000_NS6detail17trampoline_kernelINS0_13select_configILj256ELj13ELNS0_17block_load_methodE3ELS4_3ELS4_3ELNS0_20block_scan_algorithmE0ELj4294967295EEENS1_25partition_config_selectorILNS1_17partition_subalgoE3EjNS0_10empty_typeEbEEZZNS1_14partition_implILS8_3ELb0ES6_jNS0_17counting_iteratorIjlEEPS9_SE_NS0_5tupleIJPjSE_EEENSF_IJSE_SE_EEES9_SG_JZNS1_25segmented_radix_sort_implINS0_14default_configELb1EPKiPiPKlPlN2at6native12_GLOBAL__N_18offset_tEEE10hipError_tPvRmT1_PNSt15iterator_traitsISY_E10value_typeET2_T3_PNSZ_IS14_E10value_typeET4_jRbjT5_S1A_jjP12ihipStream_tbEUljE_EEESV_SW_SX_S14_S18_S1A_T6_T7_T9_mT8_S1C_bDpT10_ENKUlT_T0_E_clISt17integral_constantIbLb0EES1P_EEDaS1K_S1L_EUlS1K_E_NS1_11comp_targetILNS1_3genE4ELNS1_11target_archE910ELNS1_3gpuE8ELNS1_3repE0EEENS1_30default_config_static_selectorELNS0_4arch9wavefront6targetE0EEEvSY_.uses_vcc, 0
	.set _ZN7rocprim17ROCPRIM_400000_NS6detail17trampoline_kernelINS0_13select_configILj256ELj13ELNS0_17block_load_methodE3ELS4_3ELS4_3ELNS0_20block_scan_algorithmE0ELj4294967295EEENS1_25partition_config_selectorILNS1_17partition_subalgoE3EjNS0_10empty_typeEbEEZZNS1_14partition_implILS8_3ELb0ES6_jNS0_17counting_iteratorIjlEEPS9_SE_NS0_5tupleIJPjSE_EEENSF_IJSE_SE_EEES9_SG_JZNS1_25segmented_radix_sort_implINS0_14default_configELb1EPKiPiPKlPlN2at6native12_GLOBAL__N_18offset_tEEE10hipError_tPvRmT1_PNSt15iterator_traitsISY_E10value_typeET2_T3_PNSZ_IS14_E10value_typeET4_jRbjT5_S1A_jjP12ihipStream_tbEUljE_EEESV_SW_SX_S14_S18_S1A_T6_T7_T9_mT8_S1C_bDpT10_ENKUlT_T0_E_clISt17integral_constantIbLb0EES1P_EEDaS1K_S1L_EUlS1K_E_NS1_11comp_targetILNS1_3genE4ELNS1_11target_archE910ELNS1_3gpuE8ELNS1_3repE0EEENS1_30default_config_static_selectorELNS0_4arch9wavefront6targetE0EEEvSY_.uses_flat_scratch, 0
	.set _ZN7rocprim17ROCPRIM_400000_NS6detail17trampoline_kernelINS0_13select_configILj256ELj13ELNS0_17block_load_methodE3ELS4_3ELS4_3ELNS0_20block_scan_algorithmE0ELj4294967295EEENS1_25partition_config_selectorILNS1_17partition_subalgoE3EjNS0_10empty_typeEbEEZZNS1_14partition_implILS8_3ELb0ES6_jNS0_17counting_iteratorIjlEEPS9_SE_NS0_5tupleIJPjSE_EEENSF_IJSE_SE_EEES9_SG_JZNS1_25segmented_radix_sort_implINS0_14default_configELb1EPKiPiPKlPlN2at6native12_GLOBAL__N_18offset_tEEE10hipError_tPvRmT1_PNSt15iterator_traitsISY_E10value_typeET2_T3_PNSZ_IS14_E10value_typeET4_jRbjT5_S1A_jjP12ihipStream_tbEUljE_EEESV_SW_SX_S14_S18_S1A_T6_T7_T9_mT8_S1C_bDpT10_ENKUlT_T0_E_clISt17integral_constantIbLb0EES1P_EEDaS1K_S1L_EUlS1K_E_NS1_11comp_targetILNS1_3genE4ELNS1_11target_archE910ELNS1_3gpuE8ELNS1_3repE0EEENS1_30default_config_static_selectorELNS0_4arch9wavefront6targetE0EEEvSY_.has_dyn_sized_stack, 0
	.set _ZN7rocprim17ROCPRIM_400000_NS6detail17trampoline_kernelINS0_13select_configILj256ELj13ELNS0_17block_load_methodE3ELS4_3ELS4_3ELNS0_20block_scan_algorithmE0ELj4294967295EEENS1_25partition_config_selectorILNS1_17partition_subalgoE3EjNS0_10empty_typeEbEEZZNS1_14partition_implILS8_3ELb0ES6_jNS0_17counting_iteratorIjlEEPS9_SE_NS0_5tupleIJPjSE_EEENSF_IJSE_SE_EEES9_SG_JZNS1_25segmented_radix_sort_implINS0_14default_configELb1EPKiPiPKlPlN2at6native12_GLOBAL__N_18offset_tEEE10hipError_tPvRmT1_PNSt15iterator_traitsISY_E10value_typeET2_T3_PNSZ_IS14_E10value_typeET4_jRbjT5_S1A_jjP12ihipStream_tbEUljE_EEESV_SW_SX_S14_S18_S1A_T6_T7_T9_mT8_S1C_bDpT10_ENKUlT_T0_E_clISt17integral_constantIbLb0EES1P_EEDaS1K_S1L_EUlS1K_E_NS1_11comp_targetILNS1_3genE4ELNS1_11target_archE910ELNS1_3gpuE8ELNS1_3repE0EEENS1_30default_config_static_selectorELNS0_4arch9wavefront6targetE0EEEvSY_.has_recursion, 0
	.set _ZN7rocprim17ROCPRIM_400000_NS6detail17trampoline_kernelINS0_13select_configILj256ELj13ELNS0_17block_load_methodE3ELS4_3ELS4_3ELNS0_20block_scan_algorithmE0ELj4294967295EEENS1_25partition_config_selectorILNS1_17partition_subalgoE3EjNS0_10empty_typeEbEEZZNS1_14partition_implILS8_3ELb0ES6_jNS0_17counting_iteratorIjlEEPS9_SE_NS0_5tupleIJPjSE_EEENSF_IJSE_SE_EEES9_SG_JZNS1_25segmented_radix_sort_implINS0_14default_configELb1EPKiPiPKlPlN2at6native12_GLOBAL__N_18offset_tEEE10hipError_tPvRmT1_PNSt15iterator_traitsISY_E10value_typeET2_T3_PNSZ_IS14_E10value_typeET4_jRbjT5_S1A_jjP12ihipStream_tbEUljE_EEESV_SW_SX_S14_S18_S1A_T6_T7_T9_mT8_S1C_bDpT10_ENKUlT_T0_E_clISt17integral_constantIbLb0EES1P_EEDaS1K_S1L_EUlS1K_E_NS1_11comp_targetILNS1_3genE4ELNS1_11target_archE910ELNS1_3gpuE8ELNS1_3repE0EEENS1_30default_config_static_selectorELNS0_4arch9wavefront6targetE0EEEvSY_.has_indirect_call, 0
	.section	.AMDGPU.csdata,"",@progbits
; Kernel info:
; codeLenInByte = 0
; TotalNumSgprs: 0
; NumVgprs: 0
; ScratchSize: 0
; MemoryBound: 0
; FloatMode: 240
; IeeeMode: 1
; LDSByteSize: 0 bytes/workgroup (compile time only)
; SGPRBlocks: 0
; VGPRBlocks: 0
; NumSGPRsForWavesPerEU: 1
; NumVGPRsForWavesPerEU: 1
; Occupancy: 16
; WaveLimiterHint : 0
; COMPUTE_PGM_RSRC2:SCRATCH_EN: 0
; COMPUTE_PGM_RSRC2:USER_SGPR: 2
; COMPUTE_PGM_RSRC2:TRAP_HANDLER: 0
; COMPUTE_PGM_RSRC2:TGID_X_EN: 1
; COMPUTE_PGM_RSRC2:TGID_Y_EN: 0
; COMPUTE_PGM_RSRC2:TGID_Z_EN: 0
; COMPUTE_PGM_RSRC2:TIDIG_COMP_CNT: 0
	.section	.text._ZN7rocprim17ROCPRIM_400000_NS6detail17trampoline_kernelINS0_13select_configILj256ELj13ELNS0_17block_load_methodE3ELS4_3ELS4_3ELNS0_20block_scan_algorithmE0ELj4294967295EEENS1_25partition_config_selectorILNS1_17partition_subalgoE3EjNS0_10empty_typeEbEEZZNS1_14partition_implILS8_3ELb0ES6_jNS0_17counting_iteratorIjlEEPS9_SE_NS0_5tupleIJPjSE_EEENSF_IJSE_SE_EEES9_SG_JZNS1_25segmented_radix_sort_implINS0_14default_configELb1EPKiPiPKlPlN2at6native12_GLOBAL__N_18offset_tEEE10hipError_tPvRmT1_PNSt15iterator_traitsISY_E10value_typeET2_T3_PNSZ_IS14_E10value_typeET4_jRbjT5_S1A_jjP12ihipStream_tbEUljE_EEESV_SW_SX_S14_S18_S1A_T6_T7_T9_mT8_S1C_bDpT10_ENKUlT_T0_E_clISt17integral_constantIbLb0EES1P_EEDaS1K_S1L_EUlS1K_E_NS1_11comp_targetILNS1_3genE3ELNS1_11target_archE908ELNS1_3gpuE7ELNS1_3repE0EEENS1_30default_config_static_selectorELNS0_4arch9wavefront6targetE0EEEvSY_,"axG",@progbits,_ZN7rocprim17ROCPRIM_400000_NS6detail17trampoline_kernelINS0_13select_configILj256ELj13ELNS0_17block_load_methodE3ELS4_3ELS4_3ELNS0_20block_scan_algorithmE0ELj4294967295EEENS1_25partition_config_selectorILNS1_17partition_subalgoE3EjNS0_10empty_typeEbEEZZNS1_14partition_implILS8_3ELb0ES6_jNS0_17counting_iteratorIjlEEPS9_SE_NS0_5tupleIJPjSE_EEENSF_IJSE_SE_EEES9_SG_JZNS1_25segmented_radix_sort_implINS0_14default_configELb1EPKiPiPKlPlN2at6native12_GLOBAL__N_18offset_tEEE10hipError_tPvRmT1_PNSt15iterator_traitsISY_E10value_typeET2_T3_PNSZ_IS14_E10value_typeET4_jRbjT5_S1A_jjP12ihipStream_tbEUljE_EEESV_SW_SX_S14_S18_S1A_T6_T7_T9_mT8_S1C_bDpT10_ENKUlT_T0_E_clISt17integral_constantIbLb0EES1P_EEDaS1K_S1L_EUlS1K_E_NS1_11comp_targetILNS1_3genE3ELNS1_11target_archE908ELNS1_3gpuE7ELNS1_3repE0EEENS1_30default_config_static_selectorELNS0_4arch9wavefront6targetE0EEEvSY_,comdat
	.globl	_ZN7rocprim17ROCPRIM_400000_NS6detail17trampoline_kernelINS0_13select_configILj256ELj13ELNS0_17block_load_methodE3ELS4_3ELS4_3ELNS0_20block_scan_algorithmE0ELj4294967295EEENS1_25partition_config_selectorILNS1_17partition_subalgoE3EjNS0_10empty_typeEbEEZZNS1_14partition_implILS8_3ELb0ES6_jNS0_17counting_iteratorIjlEEPS9_SE_NS0_5tupleIJPjSE_EEENSF_IJSE_SE_EEES9_SG_JZNS1_25segmented_radix_sort_implINS0_14default_configELb1EPKiPiPKlPlN2at6native12_GLOBAL__N_18offset_tEEE10hipError_tPvRmT1_PNSt15iterator_traitsISY_E10value_typeET2_T3_PNSZ_IS14_E10value_typeET4_jRbjT5_S1A_jjP12ihipStream_tbEUljE_EEESV_SW_SX_S14_S18_S1A_T6_T7_T9_mT8_S1C_bDpT10_ENKUlT_T0_E_clISt17integral_constantIbLb0EES1P_EEDaS1K_S1L_EUlS1K_E_NS1_11comp_targetILNS1_3genE3ELNS1_11target_archE908ELNS1_3gpuE7ELNS1_3repE0EEENS1_30default_config_static_selectorELNS0_4arch9wavefront6targetE0EEEvSY_ ; -- Begin function _ZN7rocprim17ROCPRIM_400000_NS6detail17trampoline_kernelINS0_13select_configILj256ELj13ELNS0_17block_load_methodE3ELS4_3ELS4_3ELNS0_20block_scan_algorithmE0ELj4294967295EEENS1_25partition_config_selectorILNS1_17partition_subalgoE3EjNS0_10empty_typeEbEEZZNS1_14partition_implILS8_3ELb0ES6_jNS0_17counting_iteratorIjlEEPS9_SE_NS0_5tupleIJPjSE_EEENSF_IJSE_SE_EEES9_SG_JZNS1_25segmented_radix_sort_implINS0_14default_configELb1EPKiPiPKlPlN2at6native12_GLOBAL__N_18offset_tEEE10hipError_tPvRmT1_PNSt15iterator_traitsISY_E10value_typeET2_T3_PNSZ_IS14_E10value_typeET4_jRbjT5_S1A_jjP12ihipStream_tbEUljE_EEESV_SW_SX_S14_S18_S1A_T6_T7_T9_mT8_S1C_bDpT10_ENKUlT_T0_E_clISt17integral_constantIbLb0EES1P_EEDaS1K_S1L_EUlS1K_E_NS1_11comp_targetILNS1_3genE3ELNS1_11target_archE908ELNS1_3gpuE7ELNS1_3repE0EEENS1_30default_config_static_selectorELNS0_4arch9wavefront6targetE0EEEvSY_
	.p2align	8
	.type	_ZN7rocprim17ROCPRIM_400000_NS6detail17trampoline_kernelINS0_13select_configILj256ELj13ELNS0_17block_load_methodE3ELS4_3ELS4_3ELNS0_20block_scan_algorithmE0ELj4294967295EEENS1_25partition_config_selectorILNS1_17partition_subalgoE3EjNS0_10empty_typeEbEEZZNS1_14partition_implILS8_3ELb0ES6_jNS0_17counting_iteratorIjlEEPS9_SE_NS0_5tupleIJPjSE_EEENSF_IJSE_SE_EEES9_SG_JZNS1_25segmented_radix_sort_implINS0_14default_configELb1EPKiPiPKlPlN2at6native12_GLOBAL__N_18offset_tEEE10hipError_tPvRmT1_PNSt15iterator_traitsISY_E10value_typeET2_T3_PNSZ_IS14_E10value_typeET4_jRbjT5_S1A_jjP12ihipStream_tbEUljE_EEESV_SW_SX_S14_S18_S1A_T6_T7_T9_mT8_S1C_bDpT10_ENKUlT_T0_E_clISt17integral_constantIbLb0EES1P_EEDaS1K_S1L_EUlS1K_E_NS1_11comp_targetILNS1_3genE3ELNS1_11target_archE908ELNS1_3gpuE7ELNS1_3repE0EEENS1_30default_config_static_selectorELNS0_4arch9wavefront6targetE0EEEvSY_,@function
_ZN7rocprim17ROCPRIM_400000_NS6detail17trampoline_kernelINS0_13select_configILj256ELj13ELNS0_17block_load_methodE3ELS4_3ELS4_3ELNS0_20block_scan_algorithmE0ELj4294967295EEENS1_25partition_config_selectorILNS1_17partition_subalgoE3EjNS0_10empty_typeEbEEZZNS1_14partition_implILS8_3ELb0ES6_jNS0_17counting_iteratorIjlEEPS9_SE_NS0_5tupleIJPjSE_EEENSF_IJSE_SE_EEES9_SG_JZNS1_25segmented_radix_sort_implINS0_14default_configELb1EPKiPiPKlPlN2at6native12_GLOBAL__N_18offset_tEEE10hipError_tPvRmT1_PNSt15iterator_traitsISY_E10value_typeET2_T3_PNSZ_IS14_E10value_typeET4_jRbjT5_S1A_jjP12ihipStream_tbEUljE_EEESV_SW_SX_S14_S18_S1A_T6_T7_T9_mT8_S1C_bDpT10_ENKUlT_T0_E_clISt17integral_constantIbLb0EES1P_EEDaS1K_S1L_EUlS1K_E_NS1_11comp_targetILNS1_3genE3ELNS1_11target_archE908ELNS1_3gpuE7ELNS1_3repE0EEENS1_30default_config_static_selectorELNS0_4arch9wavefront6targetE0EEEvSY_: ; @_ZN7rocprim17ROCPRIM_400000_NS6detail17trampoline_kernelINS0_13select_configILj256ELj13ELNS0_17block_load_methodE3ELS4_3ELS4_3ELNS0_20block_scan_algorithmE0ELj4294967295EEENS1_25partition_config_selectorILNS1_17partition_subalgoE3EjNS0_10empty_typeEbEEZZNS1_14partition_implILS8_3ELb0ES6_jNS0_17counting_iteratorIjlEEPS9_SE_NS0_5tupleIJPjSE_EEENSF_IJSE_SE_EEES9_SG_JZNS1_25segmented_radix_sort_implINS0_14default_configELb1EPKiPiPKlPlN2at6native12_GLOBAL__N_18offset_tEEE10hipError_tPvRmT1_PNSt15iterator_traitsISY_E10value_typeET2_T3_PNSZ_IS14_E10value_typeET4_jRbjT5_S1A_jjP12ihipStream_tbEUljE_EEESV_SW_SX_S14_S18_S1A_T6_T7_T9_mT8_S1C_bDpT10_ENKUlT_T0_E_clISt17integral_constantIbLb0EES1P_EEDaS1K_S1L_EUlS1K_E_NS1_11comp_targetILNS1_3genE3ELNS1_11target_archE908ELNS1_3gpuE7ELNS1_3repE0EEENS1_30default_config_static_selectorELNS0_4arch9wavefront6targetE0EEEvSY_
; %bb.0:
	.section	.rodata,"a",@progbits
	.p2align	6, 0x0
	.amdhsa_kernel _ZN7rocprim17ROCPRIM_400000_NS6detail17trampoline_kernelINS0_13select_configILj256ELj13ELNS0_17block_load_methodE3ELS4_3ELS4_3ELNS0_20block_scan_algorithmE0ELj4294967295EEENS1_25partition_config_selectorILNS1_17partition_subalgoE3EjNS0_10empty_typeEbEEZZNS1_14partition_implILS8_3ELb0ES6_jNS0_17counting_iteratorIjlEEPS9_SE_NS0_5tupleIJPjSE_EEENSF_IJSE_SE_EEES9_SG_JZNS1_25segmented_radix_sort_implINS0_14default_configELb1EPKiPiPKlPlN2at6native12_GLOBAL__N_18offset_tEEE10hipError_tPvRmT1_PNSt15iterator_traitsISY_E10value_typeET2_T3_PNSZ_IS14_E10value_typeET4_jRbjT5_S1A_jjP12ihipStream_tbEUljE_EEESV_SW_SX_S14_S18_S1A_T6_T7_T9_mT8_S1C_bDpT10_ENKUlT_T0_E_clISt17integral_constantIbLb0EES1P_EEDaS1K_S1L_EUlS1K_E_NS1_11comp_targetILNS1_3genE3ELNS1_11target_archE908ELNS1_3gpuE7ELNS1_3repE0EEENS1_30default_config_static_selectorELNS0_4arch9wavefront6targetE0EEEvSY_
		.amdhsa_group_segment_fixed_size 0
		.amdhsa_private_segment_fixed_size 0
		.amdhsa_kernarg_size 144
		.amdhsa_user_sgpr_count 2
		.amdhsa_user_sgpr_dispatch_ptr 0
		.amdhsa_user_sgpr_queue_ptr 0
		.amdhsa_user_sgpr_kernarg_segment_ptr 1
		.amdhsa_user_sgpr_dispatch_id 0
		.amdhsa_user_sgpr_private_segment_size 0
		.amdhsa_wavefront_size32 1
		.amdhsa_uses_dynamic_stack 0
		.amdhsa_enable_private_segment 0
		.amdhsa_system_sgpr_workgroup_id_x 1
		.amdhsa_system_sgpr_workgroup_id_y 0
		.amdhsa_system_sgpr_workgroup_id_z 0
		.amdhsa_system_sgpr_workgroup_info 0
		.amdhsa_system_vgpr_workitem_id 0
		.amdhsa_next_free_vgpr 1
		.amdhsa_next_free_sgpr 1
		.amdhsa_reserve_vcc 0
		.amdhsa_float_round_mode_32 0
		.amdhsa_float_round_mode_16_64 0
		.amdhsa_float_denorm_mode_32 3
		.amdhsa_float_denorm_mode_16_64 3
		.amdhsa_fp16_overflow 0
		.amdhsa_workgroup_processor_mode 1
		.amdhsa_memory_ordered 1
		.amdhsa_forward_progress 1
		.amdhsa_inst_pref_size 0
		.amdhsa_round_robin_scheduling 0
		.amdhsa_exception_fp_ieee_invalid_op 0
		.amdhsa_exception_fp_denorm_src 0
		.amdhsa_exception_fp_ieee_div_zero 0
		.amdhsa_exception_fp_ieee_overflow 0
		.amdhsa_exception_fp_ieee_underflow 0
		.amdhsa_exception_fp_ieee_inexact 0
		.amdhsa_exception_int_div_zero 0
	.end_amdhsa_kernel
	.section	.text._ZN7rocprim17ROCPRIM_400000_NS6detail17trampoline_kernelINS0_13select_configILj256ELj13ELNS0_17block_load_methodE3ELS4_3ELS4_3ELNS0_20block_scan_algorithmE0ELj4294967295EEENS1_25partition_config_selectorILNS1_17partition_subalgoE3EjNS0_10empty_typeEbEEZZNS1_14partition_implILS8_3ELb0ES6_jNS0_17counting_iteratorIjlEEPS9_SE_NS0_5tupleIJPjSE_EEENSF_IJSE_SE_EEES9_SG_JZNS1_25segmented_radix_sort_implINS0_14default_configELb1EPKiPiPKlPlN2at6native12_GLOBAL__N_18offset_tEEE10hipError_tPvRmT1_PNSt15iterator_traitsISY_E10value_typeET2_T3_PNSZ_IS14_E10value_typeET4_jRbjT5_S1A_jjP12ihipStream_tbEUljE_EEESV_SW_SX_S14_S18_S1A_T6_T7_T9_mT8_S1C_bDpT10_ENKUlT_T0_E_clISt17integral_constantIbLb0EES1P_EEDaS1K_S1L_EUlS1K_E_NS1_11comp_targetILNS1_3genE3ELNS1_11target_archE908ELNS1_3gpuE7ELNS1_3repE0EEENS1_30default_config_static_selectorELNS0_4arch9wavefront6targetE0EEEvSY_,"axG",@progbits,_ZN7rocprim17ROCPRIM_400000_NS6detail17trampoline_kernelINS0_13select_configILj256ELj13ELNS0_17block_load_methodE3ELS4_3ELS4_3ELNS0_20block_scan_algorithmE0ELj4294967295EEENS1_25partition_config_selectorILNS1_17partition_subalgoE3EjNS0_10empty_typeEbEEZZNS1_14partition_implILS8_3ELb0ES6_jNS0_17counting_iteratorIjlEEPS9_SE_NS0_5tupleIJPjSE_EEENSF_IJSE_SE_EEES9_SG_JZNS1_25segmented_radix_sort_implINS0_14default_configELb1EPKiPiPKlPlN2at6native12_GLOBAL__N_18offset_tEEE10hipError_tPvRmT1_PNSt15iterator_traitsISY_E10value_typeET2_T3_PNSZ_IS14_E10value_typeET4_jRbjT5_S1A_jjP12ihipStream_tbEUljE_EEESV_SW_SX_S14_S18_S1A_T6_T7_T9_mT8_S1C_bDpT10_ENKUlT_T0_E_clISt17integral_constantIbLb0EES1P_EEDaS1K_S1L_EUlS1K_E_NS1_11comp_targetILNS1_3genE3ELNS1_11target_archE908ELNS1_3gpuE7ELNS1_3repE0EEENS1_30default_config_static_selectorELNS0_4arch9wavefront6targetE0EEEvSY_,comdat
.Lfunc_end468:
	.size	_ZN7rocprim17ROCPRIM_400000_NS6detail17trampoline_kernelINS0_13select_configILj256ELj13ELNS0_17block_load_methodE3ELS4_3ELS4_3ELNS0_20block_scan_algorithmE0ELj4294967295EEENS1_25partition_config_selectorILNS1_17partition_subalgoE3EjNS0_10empty_typeEbEEZZNS1_14partition_implILS8_3ELb0ES6_jNS0_17counting_iteratorIjlEEPS9_SE_NS0_5tupleIJPjSE_EEENSF_IJSE_SE_EEES9_SG_JZNS1_25segmented_radix_sort_implINS0_14default_configELb1EPKiPiPKlPlN2at6native12_GLOBAL__N_18offset_tEEE10hipError_tPvRmT1_PNSt15iterator_traitsISY_E10value_typeET2_T3_PNSZ_IS14_E10value_typeET4_jRbjT5_S1A_jjP12ihipStream_tbEUljE_EEESV_SW_SX_S14_S18_S1A_T6_T7_T9_mT8_S1C_bDpT10_ENKUlT_T0_E_clISt17integral_constantIbLb0EES1P_EEDaS1K_S1L_EUlS1K_E_NS1_11comp_targetILNS1_3genE3ELNS1_11target_archE908ELNS1_3gpuE7ELNS1_3repE0EEENS1_30default_config_static_selectorELNS0_4arch9wavefront6targetE0EEEvSY_, .Lfunc_end468-_ZN7rocprim17ROCPRIM_400000_NS6detail17trampoline_kernelINS0_13select_configILj256ELj13ELNS0_17block_load_methodE3ELS4_3ELS4_3ELNS0_20block_scan_algorithmE0ELj4294967295EEENS1_25partition_config_selectorILNS1_17partition_subalgoE3EjNS0_10empty_typeEbEEZZNS1_14partition_implILS8_3ELb0ES6_jNS0_17counting_iteratorIjlEEPS9_SE_NS0_5tupleIJPjSE_EEENSF_IJSE_SE_EEES9_SG_JZNS1_25segmented_radix_sort_implINS0_14default_configELb1EPKiPiPKlPlN2at6native12_GLOBAL__N_18offset_tEEE10hipError_tPvRmT1_PNSt15iterator_traitsISY_E10value_typeET2_T3_PNSZ_IS14_E10value_typeET4_jRbjT5_S1A_jjP12ihipStream_tbEUljE_EEESV_SW_SX_S14_S18_S1A_T6_T7_T9_mT8_S1C_bDpT10_ENKUlT_T0_E_clISt17integral_constantIbLb0EES1P_EEDaS1K_S1L_EUlS1K_E_NS1_11comp_targetILNS1_3genE3ELNS1_11target_archE908ELNS1_3gpuE7ELNS1_3repE0EEENS1_30default_config_static_selectorELNS0_4arch9wavefront6targetE0EEEvSY_
                                        ; -- End function
	.set _ZN7rocprim17ROCPRIM_400000_NS6detail17trampoline_kernelINS0_13select_configILj256ELj13ELNS0_17block_load_methodE3ELS4_3ELS4_3ELNS0_20block_scan_algorithmE0ELj4294967295EEENS1_25partition_config_selectorILNS1_17partition_subalgoE3EjNS0_10empty_typeEbEEZZNS1_14partition_implILS8_3ELb0ES6_jNS0_17counting_iteratorIjlEEPS9_SE_NS0_5tupleIJPjSE_EEENSF_IJSE_SE_EEES9_SG_JZNS1_25segmented_radix_sort_implINS0_14default_configELb1EPKiPiPKlPlN2at6native12_GLOBAL__N_18offset_tEEE10hipError_tPvRmT1_PNSt15iterator_traitsISY_E10value_typeET2_T3_PNSZ_IS14_E10value_typeET4_jRbjT5_S1A_jjP12ihipStream_tbEUljE_EEESV_SW_SX_S14_S18_S1A_T6_T7_T9_mT8_S1C_bDpT10_ENKUlT_T0_E_clISt17integral_constantIbLb0EES1P_EEDaS1K_S1L_EUlS1K_E_NS1_11comp_targetILNS1_3genE3ELNS1_11target_archE908ELNS1_3gpuE7ELNS1_3repE0EEENS1_30default_config_static_selectorELNS0_4arch9wavefront6targetE0EEEvSY_.num_vgpr, 0
	.set _ZN7rocprim17ROCPRIM_400000_NS6detail17trampoline_kernelINS0_13select_configILj256ELj13ELNS0_17block_load_methodE3ELS4_3ELS4_3ELNS0_20block_scan_algorithmE0ELj4294967295EEENS1_25partition_config_selectorILNS1_17partition_subalgoE3EjNS0_10empty_typeEbEEZZNS1_14partition_implILS8_3ELb0ES6_jNS0_17counting_iteratorIjlEEPS9_SE_NS0_5tupleIJPjSE_EEENSF_IJSE_SE_EEES9_SG_JZNS1_25segmented_radix_sort_implINS0_14default_configELb1EPKiPiPKlPlN2at6native12_GLOBAL__N_18offset_tEEE10hipError_tPvRmT1_PNSt15iterator_traitsISY_E10value_typeET2_T3_PNSZ_IS14_E10value_typeET4_jRbjT5_S1A_jjP12ihipStream_tbEUljE_EEESV_SW_SX_S14_S18_S1A_T6_T7_T9_mT8_S1C_bDpT10_ENKUlT_T0_E_clISt17integral_constantIbLb0EES1P_EEDaS1K_S1L_EUlS1K_E_NS1_11comp_targetILNS1_3genE3ELNS1_11target_archE908ELNS1_3gpuE7ELNS1_3repE0EEENS1_30default_config_static_selectorELNS0_4arch9wavefront6targetE0EEEvSY_.num_agpr, 0
	.set _ZN7rocprim17ROCPRIM_400000_NS6detail17trampoline_kernelINS0_13select_configILj256ELj13ELNS0_17block_load_methodE3ELS4_3ELS4_3ELNS0_20block_scan_algorithmE0ELj4294967295EEENS1_25partition_config_selectorILNS1_17partition_subalgoE3EjNS0_10empty_typeEbEEZZNS1_14partition_implILS8_3ELb0ES6_jNS0_17counting_iteratorIjlEEPS9_SE_NS0_5tupleIJPjSE_EEENSF_IJSE_SE_EEES9_SG_JZNS1_25segmented_radix_sort_implINS0_14default_configELb1EPKiPiPKlPlN2at6native12_GLOBAL__N_18offset_tEEE10hipError_tPvRmT1_PNSt15iterator_traitsISY_E10value_typeET2_T3_PNSZ_IS14_E10value_typeET4_jRbjT5_S1A_jjP12ihipStream_tbEUljE_EEESV_SW_SX_S14_S18_S1A_T6_T7_T9_mT8_S1C_bDpT10_ENKUlT_T0_E_clISt17integral_constantIbLb0EES1P_EEDaS1K_S1L_EUlS1K_E_NS1_11comp_targetILNS1_3genE3ELNS1_11target_archE908ELNS1_3gpuE7ELNS1_3repE0EEENS1_30default_config_static_selectorELNS0_4arch9wavefront6targetE0EEEvSY_.numbered_sgpr, 0
	.set _ZN7rocprim17ROCPRIM_400000_NS6detail17trampoline_kernelINS0_13select_configILj256ELj13ELNS0_17block_load_methodE3ELS4_3ELS4_3ELNS0_20block_scan_algorithmE0ELj4294967295EEENS1_25partition_config_selectorILNS1_17partition_subalgoE3EjNS0_10empty_typeEbEEZZNS1_14partition_implILS8_3ELb0ES6_jNS0_17counting_iteratorIjlEEPS9_SE_NS0_5tupleIJPjSE_EEENSF_IJSE_SE_EEES9_SG_JZNS1_25segmented_radix_sort_implINS0_14default_configELb1EPKiPiPKlPlN2at6native12_GLOBAL__N_18offset_tEEE10hipError_tPvRmT1_PNSt15iterator_traitsISY_E10value_typeET2_T3_PNSZ_IS14_E10value_typeET4_jRbjT5_S1A_jjP12ihipStream_tbEUljE_EEESV_SW_SX_S14_S18_S1A_T6_T7_T9_mT8_S1C_bDpT10_ENKUlT_T0_E_clISt17integral_constantIbLb0EES1P_EEDaS1K_S1L_EUlS1K_E_NS1_11comp_targetILNS1_3genE3ELNS1_11target_archE908ELNS1_3gpuE7ELNS1_3repE0EEENS1_30default_config_static_selectorELNS0_4arch9wavefront6targetE0EEEvSY_.num_named_barrier, 0
	.set _ZN7rocprim17ROCPRIM_400000_NS6detail17trampoline_kernelINS0_13select_configILj256ELj13ELNS0_17block_load_methodE3ELS4_3ELS4_3ELNS0_20block_scan_algorithmE0ELj4294967295EEENS1_25partition_config_selectorILNS1_17partition_subalgoE3EjNS0_10empty_typeEbEEZZNS1_14partition_implILS8_3ELb0ES6_jNS0_17counting_iteratorIjlEEPS9_SE_NS0_5tupleIJPjSE_EEENSF_IJSE_SE_EEES9_SG_JZNS1_25segmented_radix_sort_implINS0_14default_configELb1EPKiPiPKlPlN2at6native12_GLOBAL__N_18offset_tEEE10hipError_tPvRmT1_PNSt15iterator_traitsISY_E10value_typeET2_T3_PNSZ_IS14_E10value_typeET4_jRbjT5_S1A_jjP12ihipStream_tbEUljE_EEESV_SW_SX_S14_S18_S1A_T6_T7_T9_mT8_S1C_bDpT10_ENKUlT_T0_E_clISt17integral_constantIbLb0EES1P_EEDaS1K_S1L_EUlS1K_E_NS1_11comp_targetILNS1_3genE3ELNS1_11target_archE908ELNS1_3gpuE7ELNS1_3repE0EEENS1_30default_config_static_selectorELNS0_4arch9wavefront6targetE0EEEvSY_.private_seg_size, 0
	.set _ZN7rocprim17ROCPRIM_400000_NS6detail17trampoline_kernelINS0_13select_configILj256ELj13ELNS0_17block_load_methodE3ELS4_3ELS4_3ELNS0_20block_scan_algorithmE0ELj4294967295EEENS1_25partition_config_selectorILNS1_17partition_subalgoE3EjNS0_10empty_typeEbEEZZNS1_14partition_implILS8_3ELb0ES6_jNS0_17counting_iteratorIjlEEPS9_SE_NS0_5tupleIJPjSE_EEENSF_IJSE_SE_EEES9_SG_JZNS1_25segmented_radix_sort_implINS0_14default_configELb1EPKiPiPKlPlN2at6native12_GLOBAL__N_18offset_tEEE10hipError_tPvRmT1_PNSt15iterator_traitsISY_E10value_typeET2_T3_PNSZ_IS14_E10value_typeET4_jRbjT5_S1A_jjP12ihipStream_tbEUljE_EEESV_SW_SX_S14_S18_S1A_T6_T7_T9_mT8_S1C_bDpT10_ENKUlT_T0_E_clISt17integral_constantIbLb0EES1P_EEDaS1K_S1L_EUlS1K_E_NS1_11comp_targetILNS1_3genE3ELNS1_11target_archE908ELNS1_3gpuE7ELNS1_3repE0EEENS1_30default_config_static_selectorELNS0_4arch9wavefront6targetE0EEEvSY_.uses_vcc, 0
	.set _ZN7rocprim17ROCPRIM_400000_NS6detail17trampoline_kernelINS0_13select_configILj256ELj13ELNS0_17block_load_methodE3ELS4_3ELS4_3ELNS0_20block_scan_algorithmE0ELj4294967295EEENS1_25partition_config_selectorILNS1_17partition_subalgoE3EjNS0_10empty_typeEbEEZZNS1_14partition_implILS8_3ELb0ES6_jNS0_17counting_iteratorIjlEEPS9_SE_NS0_5tupleIJPjSE_EEENSF_IJSE_SE_EEES9_SG_JZNS1_25segmented_radix_sort_implINS0_14default_configELb1EPKiPiPKlPlN2at6native12_GLOBAL__N_18offset_tEEE10hipError_tPvRmT1_PNSt15iterator_traitsISY_E10value_typeET2_T3_PNSZ_IS14_E10value_typeET4_jRbjT5_S1A_jjP12ihipStream_tbEUljE_EEESV_SW_SX_S14_S18_S1A_T6_T7_T9_mT8_S1C_bDpT10_ENKUlT_T0_E_clISt17integral_constantIbLb0EES1P_EEDaS1K_S1L_EUlS1K_E_NS1_11comp_targetILNS1_3genE3ELNS1_11target_archE908ELNS1_3gpuE7ELNS1_3repE0EEENS1_30default_config_static_selectorELNS0_4arch9wavefront6targetE0EEEvSY_.uses_flat_scratch, 0
	.set _ZN7rocprim17ROCPRIM_400000_NS6detail17trampoline_kernelINS0_13select_configILj256ELj13ELNS0_17block_load_methodE3ELS4_3ELS4_3ELNS0_20block_scan_algorithmE0ELj4294967295EEENS1_25partition_config_selectorILNS1_17partition_subalgoE3EjNS0_10empty_typeEbEEZZNS1_14partition_implILS8_3ELb0ES6_jNS0_17counting_iteratorIjlEEPS9_SE_NS0_5tupleIJPjSE_EEENSF_IJSE_SE_EEES9_SG_JZNS1_25segmented_radix_sort_implINS0_14default_configELb1EPKiPiPKlPlN2at6native12_GLOBAL__N_18offset_tEEE10hipError_tPvRmT1_PNSt15iterator_traitsISY_E10value_typeET2_T3_PNSZ_IS14_E10value_typeET4_jRbjT5_S1A_jjP12ihipStream_tbEUljE_EEESV_SW_SX_S14_S18_S1A_T6_T7_T9_mT8_S1C_bDpT10_ENKUlT_T0_E_clISt17integral_constantIbLb0EES1P_EEDaS1K_S1L_EUlS1K_E_NS1_11comp_targetILNS1_3genE3ELNS1_11target_archE908ELNS1_3gpuE7ELNS1_3repE0EEENS1_30default_config_static_selectorELNS0_4arch9wavefront6targetE0EEEvSY_.has_dyn_sized_stack, 0
	.set _ZN7rocprim17ROCPRIM_400000_NS6detail17trampoline_kernelINS0_13select_configILj256ELj13ELNS0_17block_load_methodE3ELS4_3ELS4_3ELNS0_20block_scan_algorithmE0ELj4294967295EEENS1_25partition_config_selectorILNS1_17partition_subalgoE3EjNS0_10empty_typeEbEEZZNS1_14partition_implILS8_3ELb0ES6_jNS0_17counting_iteratorIjlEEPS9_SE_NS0_5tupleIJPjSE_EEENSF_IJSE_SE_EEES9_SG_JZNS1_25segmented_radix_sort_implINS0_14default_configELb1EPKiPiPKlPlN2at6native12_GLOBAL__N_18offset_tEEE10hipError_tPvRmT1_PNSt15iterator_traitsISY_E10value_typeET2_T3_PNSZ_IS14_E10value_typeET4_jRbjT5_S1A_jjP12ihipStream_tbEUljE_EEESV_SW_SX_S14_S18_S1A_T6_T7_T9_mT8_S1C_bDpT10_ENKUlT_T0_E_clISt17integral_constantIbLb0EES1P_EEDaS1K_S1L_EUlS1K_E_NS1_11comp_targetILNS1_3genE3ELNS1_11target_archE908ELNS1_3gpuE7ELNS1_3repE0EEENS1_30default_config_static_selectorELNS0_4arch9wavefront6targetE0EEEvSY_.has_recursion, 0
	.set _ZN7rocprim17ROCPRIM_400000_NS6detail17trampoline_kernelINS0_13select_configILj256ELj13ELNS0_17block_load_methodE3ELS4_3ELS4_3ELNS0_20block_scan_algorithmE0ELj4294967295EEENS1_25partition_config_selectorILNS1_17partition_subalgoE3EjNS0_10empty_typeEbEEZZNS1_14partition_implILS8_3ELb0ES6_jNS0_17counting_iteratorIjlEEPS9_SE_NS0_5tupleIJPjSE_EEENSF_IJSE_SE_EEES9_SG_JZNS1_25segmented_radix_sort_implINS0_14default_configELb1EPKiPiPKlPlN2at6native12_GLOBAL__N_18offset_tEEE10hipError_tPvRmT1_PNSt15iterator_traitsISY_E10value_typeET2_T3_PNSZ_IS14_E10value_typeET4_jRbjT5_S1A_jjP12ihipStream_tbEUljE_EEESV_SW_SX_S14_S18_S1A_T6_T7_T9_mT8_S1C_bDpT10_ENKUlT_T0_E_clISt17integral_constantIbLb0EES1P_EEDaS1K_S1L_EUlS1K_E_NS1_11comp_targetILNS1_3genE3ELNS1_11target_archE908ELNS1_3gpuE7ELNS1_3repE0EEENS1_30default_config_static_selectorELNS0_4arch9wavefront6targetE0EEEvSY_.has_indirect_call, 0
	.section	.AMDGPU.csdata,"",@progbits
; Kernel info:
; codeLenInByte = 0
; TotalNumSgprs: 0
; NumVgprs: 0
; ScratchSize: 0
; MemoryBound: 0
; FloatMode: 240
; IeeeMode: 1
; LDSByteSize: 0 bytes/workgroup (compile time only)
; SGPRBlocks: 0
; VGPRBlocks: 0
; NumSGPRsForWavesPerEU: 1
; NumVGPRsForWavesPerEU: 1
; Occupancy: 16
; WaveLimiterHint : 0
; COMPUTE_PGM_RSRC2:SCRATCH_EN: 0
; COMPUTE_PGM_RSRC2:USER_SGPR: 2
; COMPUTE_PGM_RSRC2:TRAP_HANDLER: 0
; COMPUTE_PGM_RSRC2:TGID_X_EN: 1
; COMPUTE_PGM_RSRC2:TGID_Y_EN: 0
; COMPUTE_PGM_RSRC2:TGID_Z_EN: 0
; COMPUTE_PGM_RSRC2:TIDIG_COMP_CNT: 0
	.section	.text._ZN7rocprim17ROCPRIM_400000_NS6detail17trampoline_kernelINS0_13select_configILj256ELj13ELNS0_17block_load_methodE3ELS4_3ELS4_3ELNS0_20block_scan_algorithmE0ELj4294967295EEENS1_25partition_config_selectorILNS1_17partition_subalgoE3EjNS0_10empty_typeEbEEZZNS1_14partition_implILS8_3ELb0ES6_jNS0_17counting_iteratorIjlEEPS9_SE_NS0_5tupleIJPjSE_EEENSF_IJSE_SE_EEES9_SG_JZNS1_25segmented_radix_sort_implINS0_14default_configELb1EPKiPiPKlPlN2at6native12_GLOBAL__N_18offset_tEEE10hipError_tPvRmT1_PNSt15iterator_traitsISY_E10value_typeET2_T3_PNSZ_IS14_E10value_typeET4_jRbjT5_S1A_jjP12ihipStream_tbEUljE_EEESV_SW_SX_S14_S18_S1A_T6_T7_T9_mT8_S1C_bDpT10_ENKUlT_T0_E_clISt17integral_constantIbLb0EES1P_EEDaS1K_S1L_EUlS1K_E_NS1_11comp_targetILNS1_3genE2ELNS1_11target_archE906ELNS1_3gpuE6ELNS1_3repE0EEENS1_30default_config_static_selectorELNS0_4arch9wavefront6targetE0EEEvSY_,"axG",@progbits,_ZN7rocprim17ROCPRIM_400000_NS6detail17trampoline_kernelINS0_13select_configILj256ELj13ELNS0_17block_load_methodE3ELS4_3ELS4_3ELNS0_20block_scan_algorithmE0ELj4294967295EEENS1_25partition_config_selectorILNS1_17partition_subalgoE3EjNS0_10empty_typeEbEEZZNS1_14partition_implILS8_3ELb0ES6_jNS0_17counting_iteratorIjlEEPS9_SE_NS0_5tupleIJPjSE_EEENSF_IJSE_SE_EEES9_SG_JZNS1_25segmented_radix_sort_implINS0_14default_configELb1EPKiPiPKlPlN2at6native12_GLOBAL__N_18offset_tEEE10hipError_tPvRmT1_PNSt15iterator_traitsISY_E10value_typeET2_T3_PNSZ_IS14_E10value_typeET4_jRbjT5_S1A_jjP12ihipStream_tbEUljE_EEESV_SW_SX_S14_S18_S1A_T6_T7_T9_mT8_S1C_bDpT10_ENKUlT_T0_E_clISt17integral_constantIbLb0EES1P_EEDaS1K_S1L_EUlS1K_E_NS1_11comp_targetILNS1_3genE2ELNS1_11target_archE906ELNS1_3gpuE6ELNS1_3repE0EEENS1_30default_config_static_selectorELNS0_4arch9wavefront6targetE0EEEvSY_,comdat
	.globl	_ZN7rocprim17ROCPRIM_400000_NS6detail17trampoline_kernelINS0_13select_configILj256ELj13ELNS0_17block_load_methodE3ELS4_3ELS4_3ELNS0_20block_scan_algorithmE0ELj4294967295EEENS1_25partition_config_selectorILNS1_17partition_subalgoE3EjNS0_10empty_typeEbEEZZNS1_14partition_implILS8_3ELb0ES6_jNS0_17counting_iteratorIjlEEPS9_SE_NS0_5tupleIJPjSE_EEENSF_IJSE_SE_EEES9_SG_JZNS1_25segmented_radix_sort_implINS0_14default_configELb1EPKiPiPKlPlN2at6native12_GLOBAL__N_18offset_tEEE10hipError_tPvRmT1_PNSt15iterator_traitsISY_E10value_typeET2_T3_PNSZ_IS14_E10value_typeET4_jRbjT5_S1A_jjP12ihipStream_tbEUljE_EEESV_SW_SX_S14_S18_S1A_T6_T7_T9_mT8_S1C_bDpT10_ENKUlT_T0_E_clISt17integral_constantIbLb0EES1P_EEDaS1K_S1L_EUlS1K_E_NS1_11comp_targetILNS1_3genE2ELNS1_11target_archE906ELNS1_3gpuE6ELNS1_3repE0EEENS1_30default_config_static_selectorELNS0_4arch9wavefront6targetE0EEEvSY_ ; -- Begin function _ZN7rocprim17ROCPRIM_400000_NS6detail17trampoline_kernelINS0_13select_configILj256ELj13ELNS0_17block_load_methodE3ELS4_3ELS4_3ELNS0_20block_scan_algorithmE0ELj4294967295EEENS1_25partition_config_selectorILNS1_17partition_subalgoE3EjNS0_10empty_typeEbEEZZNS1_14partition_implILS8_3ELb0ES6_jNS0_17counting_iteratorIjlEEPS9_SE_NS0_5tupleIJPjSE_EEENSF_IJSE_SE_EEES9_SG_JZNS1_25segmented_radix_sort_implINS0_14default_configELb1EPKiPiPKlPlN2at6native12_GLOBAL__N_18offset_tEEE10hipError_tPvRmT1_PNSt15iterator_traitsISY_E10value_typeET2_T3_PNSZ_IS14_E10value_typeET4_jRbjT5_S1A_jjP12ihipStream_tbEUljE_EEESV_SW_SX_S14_S18_S1A_T6_T7_T9_mT8_S1C_bDpT10_ENKUlT_T0_E_clISt17integral_constantIbLb0EES1P_EEDaS1K_S1L_EUlS1K_E_NS1_11comp_targetILNS1_3genE2ELNS1_11target_archE906ELNS1_3gpuE6ELNS1_3repE0EEENS1_30default_config_static_selectorELNS0_4arch9wavefront6targetE0EEEvSY_
	.p2align	8
	.type	_ZN7rocprim17ROCPRIM_400000_NS6detail17trampoline_kernelINS0_13select_configILj256ELj13ELNS0_17block_load_methodE3ELS4_3ELS4_3ELNS0_20block_scan_algorithmE0ELj4294967295EEENS1_25partition_config_selectorILNS1_17partition_subalgoE3EjNS0_10empty_typeEbEEZZNS1_14partition_implILS8_3ELb0ES6_jNS0_17counting_iteratorIjlEEPS9_SE_NS0_5tupleIJPjSE_EEENSF_IJSE_SE_EEES9_SG_JZNS1_25segmented_radix_sort_implINS0_14default_configELb1EPKiPiPKlPlN2at6native12_GLOBAL__N_18offset_tEEE10hipError_tPvRmT1_PNSt15iterator_traitsISY_E10value_typeET2_T3_PNSZ_IS14_E10value_typeET4_jRbjT5_S1A_jjP12ihipStream_tbEUljE_EEESV_SW_SX_S14_S18_S1A_T6_T7_T9_mT8_S1C_bDpT10_ENKUlT_T0_E_clISt17integral_constantIbLb0EES1P_EEDaS1K_S1L_EUlS1K_E_NS1_11comp_targetILNS1_3genE2ELNS1_11target_archE906ELNS1_3gpuE6ELNS1_3repE0EEENS1_30default_config_static_selectorELNS0_4arch9wavefront6targetE0EEEvSY_,@function
_ZN7rocprim17ROCPRIM_400000_NS6detail17trampoline_kernelINS0_13select_configILj256ELj13ELNS0_17block_load_methodE3ELS4_3ELS4_3ELNS0_20block_scan_algorithmE0ELj4294967295EEENS1_25partition_config_selectorILNS1_17partition_subalgoE3EjNS0_10empty_typeEbEEZZNS1_14partition_implILS8_3ELb0ES6_jNS0_17counting_iteratorIjlEEPS9_SE_NS0_5tupleIJPjSE_EEENSF_IJSE_SE_EEES9_SG_JZNS1_25segmented_radix_sort_implINS0_14default_configELb1EPKiPiPKlPlN2at6native12_GLOBAL__N_18offset_tEEE10hipError_tPvRmT1_PNSt15iterator_traitsISY_E10value_typeET2_T3_PNSZ_IS14_E10value_typeET4_jRbjT5_S1A_jjP12ihipStream_tbEUljE_EEESV_SW_SX_S14_S18_S1A_T6_T7_T9_mT8_S1C_bDpT10_ENKUlT_T0_E_clISt17integral_constantIbLb0EES1P_EEDaS1K_S1L_EUlS1K_E_NS1_11comp_targetILNS1_3genE2ELNS1_11target_archE906ELNS1_3gpuE6ELNS1_3repE0EEENS1_30default_config_static_selectorELNS0_4arch9wavefront6targetE0EEEvSY_: ; @_ZN7rocprim17ROCPRIM_400000_NS6detail17trampoline_kernelINS0_13select_configILj256ELj13ELNS0_17block_load_methodE3ELS4_3ELS4_3ELNS0_20block_scan_algorithmE0ELj4294967295EEENS1_25partition_config_selectorILNS1_17partition_subalgoE3EjNS0_10empty_typeEbEEZZNS1_14partition_implILS8_3ELb0ES6_jNS0_17counting_iteratorIjlEEPS9_SE_NS0_5tupleIJPjSE_EEENSF_IJSE_SE_EEES9_SG_JZNS1_25segmented_radix_sort_implINS0_14default_configELb1EPKiPiPKlPlN2at6native12_GLOBAL__N_18offset_tEEE10hipError_tPvRmT1_PNSt15iterator_traitsISY_E10value_typeET2_T3_PNSZ_IS14_E10value_typeET4_jRbjT5_S1A_jjP12ihipStream_tbEUljE_EEESV_SW_SX_S14_S18_S1A_T6_T7_T9_mT8_S1C_bDpT10_ENKUlT_T0_E_clISt17integral_constantIbLb0EES1P_EEDaS1K_S1L_EUlS1K_E_NS1_11comp_targetILNS1_3genE2ELNS1_11target_archE906ELNS1_3gpuE6ELNS1_3repE0EEENS1_30default_config_static_selectorELNS0_4arch9wavefront6targetE0EEEvSY_
; %bb.0:
	.section	.rodata,"a",@progbits
	.p2align	6, 0x0
	.amdhsa_kernel _ZN7rocprim17ROCPRIM_400000_NS6detail17trampoline_kernelINS0_13select_configILj256ELj13ELNS0_17block_load_methodE3ELS4_3ELS4_3ELNS0_20block_scan_algorithmE0ELj4294967295EEENS1_25partition_config_selectorILNS1_17partition_subalgoE3EjNS0_10empty_typeEbEEZZNS1_14partition_implILS8_3ELb0ES6_jNS0_17counting_iteratorIjlEEPS9_SE_NS0_5tupleIJPjSE_EEENSF_IJSE_SE_EEES9_SG_JZNS1_25segmented_radix_sort_implINS0_14default_configELb1EPKiPiPKlPlN2at6native12_GLOBAL__N_18offset_tEEE10hipError_tPvRmT1_PNSt15iterator_traitsISY_E10value_typeET2_T3_PNSZ_IS14_E10value_typeET4_jRbjT5_S1A_jjP12ihipStream_tbEUljE_EEESV_SW_SX_S14_S18_S1A_T6_T7_T9_mT8_S1C_bDpT10_ENKUlT_T0_E_clISt17integral_constantIbLb0EES1P_EEDaS1K_S1L_EUlS1K_E_NS1_11comp_targetILNS1_3genE2ELNS1_11target_archE906ELNS1_3gpuE6ELNS1_3repE0EEENS1_30default_config_static_selectorELNS0_4arch9wavefront6targetE0EEEvSY_
		.amdhsa_group_segment_fixed_size 0
		.amdhsa_private_segment_fixed_size 0
		.amdhsa_kernarg_size 144
		.amdhsa_user_sgpr_count 2
		.amdhsa_user_sgpr_dispatch_ptr 0
		.amdhsa_user_sgpr_queue_ptr 0
		.amdhsa_user_sgpr_kernarg_segment_ptr 1
		.amdhsa_user_sgpr_dispatch_id 0
		.amdhsa_user_sgpr_private_segment_size 0
		.amdhsa_wavefront_size32 1
		.amdhsa_uses_dynamic_stack 0
		.amdhsa_enable_private_segment 0
		.amdhsa_system_sgpr_workgroup_id_x 1
		.amdhsa_system_sgpr_workgroup_id_y 0
		.amdhsa_system_sgpr_workgroup_id_z 0
		.amdhsa_system_sgpr_workgroup_info 0
		.amdhsa_system_vgpr_workitem_id 0
		.amdhsa_next_free_vgpr 1
		.amdhsa_next_free_sgpr 1
		.amdhsa_reserve_vcc 0
		.amdhsa_float_round_mode_32 0
		.amdhsa_float_round_mode_16_64 0
		.amdhsa_float_denorm_mode_32 3
		.amdhsa_float_denorm_mode_16_64 3
		.amdhsa_fp16_overflow 0
		.amdhsa_workgroup_processor_mode 1
		.amdhsa_memory_ordered 1
		.amdhsa_forward_progress 1
		.amdhsa_inst_pref_size 0
		.amdhsa_round_robin_scheduling 0
		.amdhsa_exception_fp_ieee_invalid_op 0
		.amdhsa_exception_fp_denorm_src 0
		.amdhsa_exception_fp_ieee_div_zero 0
		.amdhsa_exception_fp_ieee_overflow 0
		.amdhsa_exception_fp_ieee_underflow 0
		.amdhsa_exception_fp_ieee_inexact 0
		.amdhsa_exception_int_div_zero 0
	.end_amdhsa_kernel
	.section	.text._ZN7rocprim17ROCPRIM_400000_NS6detail17trampoline_kernelINS0_13select_configILj256ELj13ELNS0_17block_load_methodE3ELS4_3ELS4_3ELNS0_20block_scan_algorithmE0ELj4294967295EEENS1_25partition_config_selectorILNS1_17partition_subalgoE3EjNS0_10empty_typeEbEEZZNS1_14partition_implILS8_3ELb0ES6_jNS0_17counting_iteratorIjlEEPS9_SE_NS0_5tupleIJPjSE_EEENSF_IJSE_SE_EEES9_SG_JZNS1_25segmented_radix_sort_implINS0_14default_configELb1EPKiPiPKlPlN2at6native12_GLOBAL__N_18offset_tEEE10hipError_tPvRmT1_PNSt15iterator_traitsISY_E10value_typeET2_T3_PNSZ_IS14_E10value_typeET4_jRbjT5_S1A_jjP12ihipStream_tbEUljE_EEESV_SW_SX_S14_S18_S1A_T6_T7_T9_mT8_S1C_bDpT10_ENKUlT_T0_E_clISt17integral_constantIbLb0EES1P_EEDaS1K_S1L_EUlS1K_E_NS1_11comp_targetILNS1_3genE2ELNS1_11target_archE906ELNS1_3gpuE6ELNS1_3repE0EEENS1_30default_config_static_selectorELNS0_4arch9wavefront6targetE0EEEvSY_,"axG",@progbits,_ZN7rocprim17ROCPRIM_400000_NS6detail17trampoline_kernelINS0_13select_configILj256ELj13ELNS0_17block_load_methodE3ELS4_3ELS4_3ELNS0_20block_scan_algorithmE0ELj4294967295EEENS1_25partition_config_selectorILNS1_17partition_subalgoE3EjNS0_10empty_typeEbEEZZNS1_14partition_implILS8_3ELb0ES6_jNS0_17counting_iteratorIjlEEPS9_SE_NS0_5tupleIJPjSE_EEENSF_IJSE_SE_EEES9_SG_JZNS1_25segmented_radix_sort_implINS0_14default_configELb1EPKiPiPKlPlN2at6native12_GLOBAL__N_18offset_tEEE10hipError_tPvRmT1_PNSt15iterator_traitsISY_E10value_typeET2_T3_PNSZ_IS14_E10value_typeET4_jRbjT5_S1A_jjP12ihipStream_tbEUljE_EEESV_SW_SX_S14_S18_S1A_T6_T7_T9_mT8_S1C_bDpT10_ENKUlT_T0_E_clISt17integral_constantIbLb0EES1P_EEDaS1K_S1L_EUlS1K_E_NS1_11comp_targetILNS1_3genE2ELNS1_11target_archE906ELNS1_3gpuE6ELNS1_3repE0EEENS1_30default_config_static_selectorELNS0_4arch9wavefront6targetE0EEEvSY_,comdat
.Lfunc_end469:
	.size	_ZN7rocprim17ROCPRIM_400000_NS6detail17trampoline_kernelINS0_13select_configILj256ELj13ELNS0_17block_load_methodE3ELS4_3ELS4_3ELNS0_20block_scan_algorithmE0ELj4294967295EEENS1_25partition_config_selectorILNS1_17partition_subalgoE3EjNS0_10empty_typeEbEEZZNS1_14partition_implILS8_3ELb0ES6_jNS0_17counting_iteratorIjlEEPS9_SE_NS0_5tupleIJPjSE_EEENSF_IJSE_SE_EEES9_SG_JZNS1_25segmented_radix_sort_implINS0_14default_configELb1EPKiPiPKlPlN2at6native12_GLOBAL__N_18offset_tEEE10hipError_tPvRmT1_PNSt15iterator_traitsISY_E10value_typeET2_T3_PNSZ_IS14_E10value_typeET4_jRbjT5_S1A_jjP12ihipStream_tbEUljE_EEESV_SW_SX_S14_S18_S1A_T6_T7_T9_mT8_S1C_bDpT10_ENKUlT_T0_E_clISt17integral_constantIbLb0EES1P_EEDaS1K_S1L_EUlS1K_E_NS1_11comp_targetILNS1_3genE2ELNS1_11target_archE906ELNS1_3gpuE6ELNS1_3repE0EEENS1_30default_config_static_selectorELNS0_4arch9wavefront6targetE0EEEvSY_, .Lfunc_end469-_ZN7rocprim17ROCPRIM_400000_NS6detail17trampoline_kernelINS0_13select_configILj256ELj13ELNS0_17block_load_methodE3ELS4_3ELS4_3ELNS0_20block_scan_algorithmE0ELj4294967295EEENS1_25partition_config_selectorILNS1_17partition_subalgoE3EjNS0_10empty_typeEbEEZZNS1_14partition_implILS8_3ELb0ES6_jNS0_17counting_iteratorIjlEEPS9_SE_NS0_5tupleIJPjSE_EEENSF_IJSE_SE_EEES9_SG_JZNS1_25segmented_radix_sort_implINS0_14default_configELb1EPKiPiPKlPlN2at6native12_GLOBAL__N_18offset_tEEE10hipError_tPvRmT1_PNSt15iterator_traitsISY_E10value_typeET2_T3_PNSZ_IS14_E10value_typeET4_jRbjT5_S1A_jjP12ihipStream_tbEUljE_EEESV_SW_SX_S14_S18_S1A_T6_T7_T9_mT8_S1C_bDpT10_ENKUlT_T0_E_clISt17integral_constantIbLb0EES1P_EEDaS1K_S1L_EUlS1K_E_NS1_11comp_targetILNS1_3genE2ELNS1_11target_archE906ELNS1_3gpuE6ELNS1_3repE0EEENS1_30default_config_static_selectorELNS0_4arch9wavefront6targetE0EEEvSY_
                                        ; -- End function
	.set _ZN7rocprim17ROCPRIM_400000_NS6detail17trampoline_kernelINS0_13select_configILj256ELj13ELNS0_17block_load_methodE3ELS4_3ELS4_3ELNS0_20block_scan_algorithmE0ELj4294967295EEENS1_25partition_config_selectorILNS1_17partition_subalgoE3EjNS0_10empty_typeEbEEZZNS1_14partition_implILS8_3ELb0ES6_jNS0_17counting_iteratorIjlEEPS9_SE_NS0_5tupleIJPjSE_EEENSF_IJSE_SE_EEES9_SG_JZNS1_25segmented_radix_sort_implINS0_14default_configELb1EPKiPiPKlPlN2at6native12_GLOBAL__N_18offset_tEEE10hipError_tPvRmT1_PNSt15iterator_traitsISY_E10value_typeET2_T3_PNSZ_IS14_E10value_typeET4_jRbjT5_S1A_jjP12ihipStream_tbEUljE_EEESV_SW_SX_S14_S18_S1A_T6_T7_T9_mT8_S1C_bDpT10_ENKUlT_T0_E_clISt17integral_constantIbLb0EES1P_EEDaS1K_S1L_EUlS1K_E_NS1_11comp_targetILNS1_3genE2ELNS1_11target_archE906ELNS1_3gpuE6ELNS1_3repE0EEENS1_30default_config_static_selectorELNS0_4arch9wavefront6targetE0EEEvSY_.num_vgpr, 0
	.set _ZN7rocprim17ROCPRIM_400000_NS6detail17trampoline_kernelINS0_13select_configILj256ELj13ELNS0_17block_load_methodE3ELS4_3ELS4_3ELNS0_20block_scan_algorithmE0ELj4294967295EEENS1_25partition_config_selectorILNS1_17partition_subalgoE3EjNS0_10empty_typeEbEEZZNS1_14partition_implILS8_3ELb0ES6_jNS0_17counting_iteratorIjlEEPS9_SE_NS0_5tupleIJPjSE_EEENSF_IJSE_SE_EEES9_SG_JZNS1_25segmented_radix_sort_implINS0_14default_configELb1EPKiPiPKlPlN2at6native12_GLOBAL__N_18offset_tEEE10hipError_tPvRmT1_PNSt15iterator_traitsISY_E10value_typeET2_T3_PNSZ_IS14_E10value_typeET4_jRbjT5_S1A_jjP12ihipStream_tbEUljE_EEESV_SW_SX_S14_S18_S1A_T6_T7_T9_mT8_S1C_bDpT10_ENKUlT_T0_E_clISt17integral_constantIbLb0EES1P_EEDaS1K_S1L_EUlS1K_E_NS1_11comp_targetILNS1_3genE2ELNS1_11target_archE906ELNS1_3gpuE6ELNS1_3repE0EEENS1_30default_config_static_selectorELNS0_4arch9wavefront6targetE0EEEvSY_.num_agpr, 0
	.set _ZN7rocprim17ROCPRIM_400000_NS6detail17trampoline_kernelINS0_13select_configILj256ELj13ELNS0_17block_load_methodE3ELS4_3ELS4_3ELNS0_20block_scan_algorithmE0ELj4294967295EEENS1_25partition_config_selectorILNS1_17partition_subalgoE3EjNS0_10empty_typeEbEEZZNS1_14partition_implILS8_3ELb0ES6_jNS0_17counting_iteratorIjlEEPS9_SE_NS0_5tupleIJPjSE_EEENSF_IJSE_SE_EEES9_SG_JZNS1_25segmented_radix_sort_implINS0_14default_configELb1EPKiPiPKlPlN2at6native12_GLOBAL__N_18offset_tEEE10hipError_tPvRmT1_PNSt15iterator_traitsISY_E10value_typeET2_T3_PNSZ_IS14_E10value_typeET4_jRbjT5_S1A_jjP12ihipStream_tbEUljE_EEESV_SW_SX_S14_S18_S1A_T6_T7_T9_mT8_S1C_bDpT10_ENKUlT_T0_E_clISt17integral_constantIbLb0EES1P_EEDaS1K_S1L_EUlS1K_E_NS1_11comp_targetILNS1_3genE2ELNS1_11target_archE906ELNS1_3gpuE6ELNS1_3repE0EEENS1_30default_config_static_selectorELNS0_4arch9wavefront6targetE0EEEvSY_.numbered_sgpr, 0
	.set _ZN7rocprim17ROCPRIM_400000_NS6detail17trampoline_kernelINS0_13select_configILj256ELj13ELNS0_17block_load_methodE3ELS4_3ELS4_3ELNS0_20block_scan_algorithmE0ELj4294967295EEENS1_25partition_config_selectorILNS1_17partition_subalgoE3EjNS0_10empty_typeEbEEZZNS1_14partition_implILS8_3ELb0ES6_jNS0_17counting_iteratorIjlEEPS9_SE_NS0_5tupleIJPjSE_EEENSF_IJSE_SE_EEES9_SG_JZNS1_25segmented_radix_sort_implINS0_14default_configELb1EPKiPiPKlPlN2at6native12_GLOBAL__N_18offset_tEEE10hipError_tPvRmT1_PNSt15iterator_traitsISY_E10value_typeET2_T3_PNSZ_IS14_E10value_typeET4_jRbjT5_S1A_jjP12ihipStream_tbEUljE_EEESV_SW_SX_S14_S18_S1A_T6_T7_T9_mT8_S1C_bDpT10_ENKUlT_T0_E_clISt17integral_constantIbLb0EES1P_EEDaS1K_S1L_EUlS1K_E_NS1_11comp_targetILNS1_3genE2ELNS1_11target_archE906ELNS1_3gpuE6ELNS1_3repE0EEENS1_30default_config_static_selectorELNS0_4arch9wavefront6targetE0EEEvSY_.num_named_barrier, 0
	.set _ZN7rocprim17ROCPRIM_400000_NS6detail17trampoline_kernelINS0_13select_configILj256ELj13ELNS0_17block_load_methodE3ELS4_3ELS4_3ELNS0_20block_scan_algorithmE0ELj4294967295EEENS1_25partition_config_selectorILNS1_17partition_subalgoE3EjNS0_10empty_typeEbEEZZNS1_14partition_implILS8_3ELb0ES6_jNS0_17counting_iteratorIjlEEPS9_SE_NS0_5tupleIJPjSE_EEENSF_IJSE_SE_EEES9_SG_JZNS1_25segmented_radix_sort_implINS0_14default_configELb1EPKiPiPKlPlN2at6native12_GLOBAL__N_18offset_tEEE10hipError_tPvRmT1_PNSt15iterator_traitsISY_E10value_typeET2_T3_PNSZ_IS14_E10value_typeET4_jRbjT5_S1A_jjP12ihipStream_tbEUljE_EEESV_SW_SX_S14_S18_S1A_T6_T7_T9_mT8_S1C_bDpT10_ENKUlT_T0_E_clISt17integral_constantIbLb0EES1P_EEDaS1K_S1L_EUlS1K_E_NS1_11comp_targetILNS1_3genE2ELNS1_11target_archE906ELNS1_3gpuE6ELNS1_3repE0EEENS1_30default_config_static_selectorELNS0_4arch9wavefront6targetE0EEEvSY_.private_seg_size, 0
	.set _ZN7rocprim17ROCPRIM_400000_NS6detail17trampoline_kernelINS0_13select_configILj256ELj13ELNS0_17block_load_methodE3ELS4_3ELS4_3ELNS0_20block_scan_algorithmE0ELj4294967295EEENS1_25partition_config_selectorILNS1_17partition_subalgoE3EjNS0_10empty_typeEbEEZZNS1_14partition_implILS8_3ELb0ES6_jNS0_17counting_iteratorIjlEEPS9_SE_NS0_5tupleIJPjSE_EEENSF_IJSE_SE_EEES9_SG_JZNS1_25segmented_radix_sort_implINS0_14default_configELb1EPKiPiPKlPlN2at6native12_GLOBAL__N_18offset_tEEE10hipError_tPvRmT1_PNSt15iterator_traitsISY_E10value_typeET2_T3_PNSZ_IS14_E10value_typeET4_jRbjT5_S1A_jjP12ihipStream_tbEUljE_EEESV_SW_SX_S14_S18_S1A_T6_T7_T9_mT8_S1C_bDpT10_ENKUlT_T0_E_clISt17integral_constantIbLb0EES1P_EEDaS1K_S1L_EUlS1K_E_NS1_11comp_targetILNS1_3genE2ELNS1_11target_archE906ELNS1_3gpuE6ELNS1_3repE0EEENS1_30default_config_static_selectorELNS0_4arch9wavefront6targetE0EEEvSY_.uses_vcc, 0
	.set _ZN7rocprim17ROCPRIM_400000_NS6detail17trampoline_kernelINS0_13select_configILj256ELj13ELNS0_17block_load_methodE3ELS4_3ELS4_3ELNS0_20block_scan_algorithmE0ELj4294967295EEENS1_25partition_config_selectorILNS1_17partition_subalgoE3EjNS0_10empty_typeEbEEZZNS1_14partition_implILS8_3ELb0ES6_jNS0_17counting_iteratorIjlEEPS9_SE_NS0_5tupleIJPjSE_EEENSF_IJSE_SE_EEES9_SG_JZNS1_25segmented_radix_sort_implINS0_14default_configELb1EPKiPiPKlPlN2at6native12_GLOBAL__N_18offset_tEEE10hipError_tPvRmT1_PNSt15iterator_traitsISY_E10value_typeET2_T3_PNSZ_IS14_E10value_typeET4_jRbjT5_S1A_jjP12ihipStream_tbEUljE_EEESV_SW_SX_S14_S18_S1A_T6_T7_T9_mT8_S1C_bDpT10_ENKUlT_T0_E_clISt17integral_constantIbLb0EES1P_EEDaS1K_S1L_EUlS1K_E_NS1_11comp_targetILNS1_3genE2ELNS1_11target_archE906ELNS1_3gpuE6ELNS1_3repE0EEENS1_30default_config_static_selectorELNS0_4arch9wavefront6targetE0EEEvSY_.uses_flat_scratch, 0
	.set _ZN7rocprim17ROCPRIM_400000_NS6detail17trampoline_kernelINS0_13select_configILj256ELj13ELNS0_17block_load_methodE3ELS4_3ELS4_3ELNS0_20block_scan_algorithmE0ELj4294967295EEENS1_25partition_config_selectorILNS1_17partition_subalgoE3EjNS0_10empty_typeEbEEZZNS1_14partition_implILS8_3ELb0ES6_jNS0_17counting_iteratorIjlEEPS9_SE_NS0_5tupleIJPjSE_EEENSF_IJSE_SE_EEES9_SG_JZNS1_25segmented_radix_sort_implINS0_14default_configELb1EPKiPiPKlPlN2at6native12_GLOBAL__N_18offset_tEEE10hipError_tPvRmT1_PNSt15iterator_traitsISY_E10value_typeET2_T3_PNSZ_IS14_E10value_typeET4_jRbjT5_S1A_jjP12ihipStream_tbEUljE_EEESV_SW_SX_S14_S18_S1A_T6_T7_T9_mT8_S1C_bDpT10_ENKUlT_T0_E_clISt17integral_constantIbLb0EES1P_EEDaS1K_S1L_EUlS1K_E_NS1_11comp_targetILNS1_3genE2ELNS1_11target_archE906ELNS1_3gpuE6ELNS1_3repE0EEENS1_30default_config_static_selectorELNS0_4arch9wavefront6targetE0EEEvSY_.has_dyn_sized_stack, 0
	.set _ZN7rocprim17ROCPRIM_400000_NS6detail17trampoline_kernelINS0_13select_configILj256ELj13ELNS0_17block_load_methodE3ELS4_3ELS4_3ELNS0_20block_scan_algorithmE0ELj4294967295EEENS1_25partition_config_selectorILNS1_17partition_subalgoE3EjNS0_10empty_typeEbEEZZNS1_14partition_implILS8_3ELb0ES6_jNS0_17counting_iteratorIjlEEPS9_SE_NS0_5tupleIJPjSE_EEENSF_IJSE_SE_EEES9_SG_JZNS1_25segmented_radix_sort_implINS0_14default_configELb1EPKiPiPKlPlN2at6native12_GLOBAL__N_18offset_tEEE10hipError_tPvRmT1_PNSt15iterator_traitsISY_E10value_typeET2_T3_PNSZ_IS14_E10value_typeET4_jRbjT5_S1A_jjP12ihipStream_tbEUljE_EEESV_SW_SX_S14_S18_S1A_T6_T7_T9_mT8_S1C_bDpT10_ENKUlT_T0_E_clISt17integral_constantIbLb0EES1P_EEDaS1K_S1L_EUlS1K_E_NS1_11comp_targetILNS1_3genE2ELNS1_11target_archE906ELNS1_3gpuE6ELNS1_3repE0EEENS1_30default_config_static_selectorELNS0_4arch9wavefront6targetE0EEEvSY_.has_recursion, 0
	.set _ZN7rocprim17ROCPRIM_400000_NS6detail17trampoline_kernelINS0_13select_configILj256ELj13ELNS0_17block_load_methodE3ELS4_3ELS4_3ELNS0_20block_scan_algorithmE0ELj4294967295EEENS1_25partition_config_selectorILNS1_17partition_subalgoE3EjNS0_10empty_typeEbEEZZNS1_14partition_implILS8_3ELb0ES6_jNS0_17counting_iteratorIjlEEPS9_SE_NS0_5tupleIJPjSE_EEENSF_IJSE_SE_EEES9_SG_JZNS1_25segmented_radix_sort_implINS0_14default_configELb1EPKiPiPKlPlN2at6native12_GLOBAL__N_18offset_tEEE10hipError_tPvRmT1_PNSt15iterator_traitsISY_E10value_typeET2_T3_PNSZ_IS14_E10value_typeET4_jRbjT5_S1A_jjP12ihipStream_tbEUljE_EEESV_SW_SX_S14_S18_S1A_T6_T7_T9_mT8_S1C_bDpT10_ENKUlT_T0_E_clISt17integral_constantIbLb0EES1P_EEDaS1K_S1L_EUlS1K_E_NS1_11comp_targetILNS1_3genE2ELNS1_11target_archE906ELNS1_3gpuE6ELNS1_3repE0EEENS1_30default_config_static_selectorELNS0_4arch9wavefront6targetE0EEEvSY_.has_indirect_call, 0
	.section	.AMDGPU.csdata,"",@progbits
; Kernel info:
; codeLenInByte = 0
; TotalNumSgprs: 0
; NumVgprs: 0
; ScratchSize: 0
; MemoryBound: 0
; FloatMode: 240
; IeeeMode: 1
; LDSByteSize: 0 bytes/workgroup (compile time only)
; SGPRBlocks: 0
; VGPRBlocks: 0
; NumSGPRsForWavesPerEU: 1
; NumVGPRsForWavesPerEU: 1
; Occupancy: 16
; WaveLimiterHint : 0
; COMPUTE_PGM_RSRC2:SCRATCH_EN: 0
; COMPUTE_PGM_RSRC2:USER_SGPR: 2
; COMPUTE_PGM_RSRC2:TRAP_HANDLER: 0
; COMPUTE_PGM_RSRC2:TGID_X_EN: 1
; COMPUTE_PGM_RSRC2:TGID_Y_EN: 0
; COMPUTE_PGM_RSRC2:TGID_Z_EN: 0
; COMPUTE_PGM_RSRC2:TIDIG_COMP_CNT: 0
	.section	.text._ZN7rocprim17ROCPRIM_400000_NS6detail17trampoline_kernelINS0_13select_configILj256ELj13ELNS0_17block_load_methodE3ELS4_3ELS4_3ELNS0_20block_scan_algorithmE0ELj4294967295EEENS1_25partition_config_selectorILNS1_17partition_subalgoE3EjNS0_10empty_typeEbEEZZNS1_14partition_implILS8_3ELb0ES6_jNS0_17counting_iteratorIjlEEPS9_SE_NS0_5tupleIJPjSE_EEENSF_IJSE_SE_EEES9_SG_JZNS1_25segmented_radix_sort_implINS0_14default_configELb1EPKiPiPKlPlN2at6native12_GLOBAL__N_18offset_tEEE10hipError_tPvRmT1_PNSt15iterator_traitsISY_E10value_typeET2_T3_PNSZ_IS14_E10value_typeET4_jRbjT5_S1A_jjP12ihipStream_tbEUljE_EEESV_SW_SX_S14_S18_S1A_T6_T7_T9_mT8_S1C_bDpT10_ENKUlT_T0_E_clISt17integral_constantIbLb0EES1P_EEDaS1K_S1L_EUlS1K_E_NS1_11comp_targetILNS1_3genE10ELNS1_11target_archE1200ELNS1_3gpuE4ELNS1_3repE0EEENS1_30default_config_static_selectorELNS0_4arch9wavefront6targetE0EEEvSY_,"axG",@progbits,_ZN7rocprim17ROCPRIM_400000_NS6detail17trampoline_kernelINS0_13select_configILj256ELj13ELNS0_17block_load_methodE3ELS4_3ELS4_3ELNS0_20block_scan_algorithmE0ELj4294967295EEENS1_25partition_config_selectorILNS1_17partition_subalgoE3EjNS0_10empty_typeEbEEZZNS1_14partition_implILS8_3ELb0ES6_jNS0_17counting_iteratorIjlEEPS9_SE_NS0_5tupleIJPjSE_EEENSF_IJSE_SE_EEES9_SG_JZNS1_25segmented_radix_sort_implINS0_14default_configELb1EPKiPiPKlPlN2at6native12_GLOBAL__N_18offset_tEEE10hipError_tPvRmT1_PNSt15iterator_traitsISY_E10value_typeET2_T3_PNSZ_IS14_E10value_typeET4_jRbjT5_S1A_jjP12ihipStream_tbEUljE_EEESV_SW_SX_S14_S18_S1A_T6_T7_T9_mT8_S1C_bDpT10_ENKUlT_T0_E_clISt17integral_constantIbLb0EES1P_EEDaS1K_S1L_EUlS1K_E_NS1_11comp_targetILNS1_3genE10ELNS1_11target_archE1200ELNS1_3gpuE4ELNS1_3repE0EEENS1_30default_config_static_selectorELNS0_4arch9wavefront6targetE0EEEvSY_,comdat
	.globl	_ZN7rocprim17ROCPRIM_400000_NS6detail17trampoline_kernelINS0_13select_configILj256ELj13ELNS0_17block_load_methodE3ELS4_3ELS4_3ELNS0_20block_scan_algorithmE0ELj4294967295EEENS1_25partition_config_selectorILNS1_17partition_subalgoE3EjNS0_10empty_typeEbEEZZNS1_14partition_implILS8_3ELb0ES6_jNS0_17counting_iteratorIjlEEPS9_SE_NS0_5tupleIJPjSE_EEENSF_IJSE_SE_EEES9_SG_JZNS1_25segmented_radix_sort_implINS0_14default_configELb1EPKiPiPKlPlN2at6native12_GLOBAL__N_18offset_tEEE10hipError_tPvRmT1_PNSt15iterator_traitsISY_E10value_typeET2_T3_PNSZ_IS14_E10value_typeET4_jRbjT5_S1A_jjP12ihipStream_tbEUljE_EEESV_SW_SX_S14_S18_S1A_T6_T7_T9_mT8_S1C_bDpT10_ENKUlT_T0_E_clISt17integral_constantIbLb0EES1P_EEDaS1K_S1L_EUlS1K_E_NS1_11comp_targetILNS1_3genE10ELNS1_11target_archE1200ELNS1_3gpuE4ELNS1_3repE0EEENS1_30default_config_static_selectorELNS0_4arch9wavefront6targetE0EEEvSY_ ; -- Begin function _ZN7rocprim17ROCPRIM_400000_NS6detail17trampoline_kernelINS0_13select_configILj256ELj13ELNS0_17block_load_methodE3ELS4_3ELS4_3ELNS0_20block_scan_algorithmE0ELj4294967295EEENS1_25partition_config_selectorILNS1_17partition_subalgoE3EjNS0_10empty_typeEbEEZZNS1_14partition_implILS8_3ELb0ES6_jNS0_17counting_iteratorIjlEEPS9_SE_NS0_5tupleIJPjSE_EEENSF_IJSE_SE_EEES9_SG_JZNS1_25segmented_radix_sort_implINS0_14default_configELb1EPKiPiPKlPlN2at6native12_GLOBAL__N_18offset_tEEE10hipError_tPvRmT1_PNSt15iterator_traitsISY_E10value_typeET2_T3_PNSZ_IS14_E10value_typeET4_jRbjT5_S1A_jjP12ihipStream_tbEUljE_EEESV_SW_SX_S14_S18_S1A_T6_T7_T9_mT8_S1C_bDpT10_ENKUlT_T0_E_clISt17integral_constantIbLb0EES1P_EEDaS1K_S1L_EUlS1K_E_NS1_11comp_targetILNS1_3genE10ELNS1_11target_archE1200ELNS1_3gpuE4ELNS1_3repE0EEENS1_30default_config_static_selectorELNS0_4arch9wavefront6targetE0EEEvSY_
	.p2align	8
	.type	_ZN7rocprim17ROCPRIM_400000_NS6detail17trampoline_kernelINS0_13select_configILj256ELj13ELNS0_17block_load_methodE3ELS4_3ELS4_3ELNS0_20block_scan_algorithmE0ELj4294967295EEENS1_25partition_config_selectorILNS1_17partition_subalgoE3EjNS0_10empty_typeEbEEZZNS1_14partition_implILS8_3ELb0ES6_jNS0_17counting_iteratorIjlEEPS9_SE_NS0_5tupleIJPjSE_EEENSF_IJSE_SE_EEES9_SG_JZNS1_25segmented_radix_sort_implINS0_14default_configELb1EPKiPiPKlPlN2at6native12_GLOBAL__N_18offset_tEEE10hipError_tPvRmT1_PNSt15iterator_traitsISY_E10value_typeET2_T3_PNSZ_IS14_E10value_typeET4_jRbjT5_S1A_jjP12ihipStream_tbEUljE_EEESV_SW_SX_S14_S18_S1A_T6_T7_T9_mT8_S1C_bDpT10_ENKUlT_T0_E_clISt17integral_constantIbLb0EES1P_EEDaS1K_S1L_EUlS1K_E_NS1_11comp_targetILNS1_3genE10ELNS1_11target_archE1200ELNS1_3gpuE4ELNS1_3repE0EEENS1_30default_config_static_selectorELNS0_4arch9wavefront6targetE0EEEvSY_,@function
_ZN7rocprim17ROCPRIM_400000_NS6detail17trampoline_kernelINS0_13select_configILj256ELj13ELNS0_17block_load_methodE3ELS4_3ELS4_3ELNS0_20block_scan_algorithmE0ELj4294967295EEENS1_25partition_config_selectorILNS1_17partition_subalgoE3EjNS0_10empty_typeEbEEZZNS1_14partition_implILS8_3ELb0ES6_jNS0_17counting_iteratorIjlEEPS9_SE_NS0_5tupleIJPjSE_EEENSF_IJSE_SE_EEES9_SG_JZNS1_25segmented_radix_sort_implINS0_14default_configELb1EPKiPiPKlPlN2at6native12_GLOBAL__N_18offset_tEEE10hipError_tPvRmT1_PNSt15iterator_traitsISY_E10value_typeET2_T3_PNSZ_IS14_E10value_typeET4_jRbjT5_S1A_jjP12ihipStream_tbEUljE_EEESV_SW_SX_S14_S18_S1A_T6_T7_T9_mT8_S1C_bDpT10_ENKUlT_T0_E_clISt17integral_constantIbLb0EES1P_EEDaS1K_S1L_EUlS1K_E_NS1_11comp_targetILNS1_3genE10ELNS1_11target_archE1200ELNS1_3gpuE4ELNS1_3repE0EEENS1_30default_config_static_selectorELNS0_4arch9wavefront6targetE0EEEvSY_: ; @_ZN7rocprim17ROCPRIM_400000_NS6detail17trampoline_kernelINS0_13select_configILj256ELj13ELNS0_17block_load_methodE3ELS4_3ELS4_3ELNS0_20block_scan_algorithmE0ELj4294967295EEENS1_25partition_config_selectorILNS1_17partition_subalgoE3EjNS0_10empty_typeEbEEZZNS1_14partition_implILS8_3ELb0ES6_jNS0_17counting_iteratorIjlEEPS9_SE_NS0_5tupleIJPjSE_EEENSF_IJSE_SE_EEES9_SG_JZNS1_25segmented_radix_sort_implINS0_14default_configELb1EPKiPiPKlPlN2at6native12_GLOBAL__N_18offset_tEEE10hipError_tPvRmT1_PNSt15iterator_traitsISY_E10value_typeET2_T3_PNSZ_IS14_E10value_typeET4_jRbjT5_S1A_jjP12ihipStream_tbEUljE_EEESV_SW_SX_S14_S18_S1A_T6_T7_T9_mT8_S1C_bDpT10_ENKUlT_T0_E_clISt17integral_constantIbLb0EES1P_EEDaS1K_S1L_EUlS1K_E_NS1_11comp_targetILNS1_3genE10ELNS1_11target_archE1200ELNS1_3gpuE4ELNS1_3repE0EEENS1_30default_config_static_selectorELNS0_4arch9wavefront6targetE0EEEvSY_
; %bb.0:
	s_clause 0x6
	s_load_b32 s2, s[0:1], 0x70
	s_load_b128 s[8:11], s[0:1], 0x48
	s_load_b64 s[12:13], s[0:1], 0x10
	s_load_b64 s[14:15], s[0:1], 0x58
	s_load_b32 s20, s[0:1], 0x8
	s_load_b32 s3, s[0:1], 0x88
	s_load_b128 s[4:7], s[0:1], 0x78
	s_mov_b32 s17, 0
	v_lshlrev_b32_e32 v42, 2, v0
	s_wait_kmcnt 0x0
	s_mul_i32 s16, s2, 0xd00
	s_load_b64 s[18:19], s[10:11], 0x0
	s_add_co_i32 s10, s16, s12
	s_add_co_i32 s2, s2, -1
	s_sub_co_i32 s23, s14, s10
	s_add_nc_u64 s[10:11], s[12:13], s[16:17]
	s_addk_co_i32 s23, 0xd00
	s_cmp_eq_u32 ttmp9, s2
	s_mul_i32 s16, ttmp9, 0xd00
	s_cselect_b32 s22, -1, 0
	s_cmp_lg_u32 ttmp9, s2
	v_cmp_gt_u64_e64 s10, s[14:15], s[10:11]
	s_cselect_b32 s2, -1, 0
	s_add_co_i32 s11, s20, s16
	s_mov_b32 s17, -1
	s_wait_alu 0xfffe
	s_add_co_i32 s11, s11, s12
	s_wait_alu 0xfffe
	v_add_nc_u32_e32 v1, s11, v0
	s_or_b32 s10, s2, s10
	s_wait_alu 0xfffe
	s_and_b32 vcc_lo, exec_lo, s10
	s_cbranch_vccz .LBB470_2
; %bb.1:
	v_add_nc_u32_e32 v2, 0x100, v1
	v_add_nc_u32_e32 v3, 0x200, v1
	;; [unrolled: 1-line block ×12, first 2 shown]
	ds_store_2addr_stride64_b32 v42, v1, v2 offset1:4
	ds_store_2addr_stride64_b32 v42, v3, v4 offset0:8 offset1:12
	ds_store_2addr_stride64_b32 v42, v5, v6 offset0:16 offset1:20
	;; [unrolled: 1-line block ×5, first 2 shown]
	ds_store_b32 v42, v13 offset:12288
	s_wait_dscnt 0x0
	s_barrier_signal -1
	s_mov_b32 s17, 0
	s_barrier_wait -1
.LBB470_2:
	v_cmp_gt_u32_e64 s2, s23, v0
	v_or_b32_e32 v41, 0x100, v0
	v_or_b32_e32 v40, 0x200, v0
	;; [unrolled: 1-line block ×12, first 2 shown]
	s_and_not1_b32 vcc_lo, exec_lo, s17
	s_cbranch_vccnz .LBB470_4
; %bb.3:
	v_cmp_gt_u32_e32 vcc_lo, s23, v41
	v_add_nc_u32_e32 v3, s11, v40
	v_add_nc_u32_e32 v2, s11, v41
	v_cndmask_b32_e64 v1, 0, v1, s2
	s_delay_alu instid0(VALU_DEP_2)
	v_cndmask_b32_e32 v2, 0, v2, vcc_lo
	v_cmp_gt_u32_e32 vcc_lo, s23, v40
	s_wait_alu 0xfffd
	v_cndmask_b32_e32 v3, 0, v3, vcc_lo
	v_cmp_gt_u32_e32 vcc_lo, s23, v39
	v_add_nc_u32_e32 v5, s11, v38
	v_add_nc_u32_e32 v4, s11, v39
	s_wait_alu 0xfffd
	s_delay_alu instid0(VALU_DEP_1)
	v_cndmask_b32_e32 v4, 0, v4, vcc_lo
	v_cmp_gt_u32_e32 vcc_lo, s23, v38
	s_wait_alu 0xfffd
	v_cndmask_b32_e32 v5, 0, v5, vcc_lo
	v_cmp_gt_u32_e32 vcc_lo, s23, v37
	v_add_nc_u32_e32 v7, s11, v36
	v_add_nc_u32_e32 v6, s11, v37
	s_wait_alu 0xfffd
	s_delay_alu instid0(VALU_DEP_1)
	;; [unrolled: 9-line block ×5, first 2 shown]
	v_cndmask_b32_e32 v12, 0, v12, vcc_lo
	v_cmp_gt_u32_e32 vcc_lo, s23, v30
	s_wait_alu 0xfffd
	v_cndmask_b32_e32 v13, 0, v13, vcc_lo
	ds_store_2addr_stride64_b32 v42, v1, v2 offset1:4
	ds_store_2addr_stride64_b32 v42, v3, v4 offset0:8 offset1:12
	ds_store_2addr_stride64_b32 v42, v5, v6 offset0:16 offset1:20
	;; [unrolled: 1-line block ×5, first 2 shown]
	ds_store_b32 v42, v13 offset:12288
	s_wait_dscnt 0x0
	s_barrier_signal -1
	s_barrier_wait -1
.LBB470_4:
	v_mul_u32_u24_e32 v45, 13, v0
	global_inv scope:SCOPE_SE
	v_cndmask_b32_e64 v43, 0, 1, s10
	s_and_not1_b32 vcc_lo, exec_lo, s10
	v_lshlrev_b32_e32 v1, 2, v45
	ds_load_2addr_b32 v[26:27], v1 offset0:2 offset1:3
	ds_load_2addr_b32 v[22:23], v1 offset0:6 offset1:7
	;; [unrolled: 1-line block ×3, first 2 shown]
	ds_load_2addr_b32 v[28:29], v1 offset1:1
	ds_load_2addr_b32 v[18:19], v1 offset0:10 offset1:11
	ds_load_b32 v44, v1 offset:48
	ds_load_2addr_b32 v[20:21], v1 offset0:8 offset1:9
	s_wait_loadcnt_dscnt 0x0
	s_barrier_signal -1
	s_barrier_wait -1
	global_inv scope:SCOPE_SE
	s_wait_alu 0xfffe
	s_cbranch_vccnz .LBB470_6
; %bb.5:
	v_add_nc_u32_e32 v1, s5, v27
	v_add_nc_u32_e32 v2, s7, v27
	;; [unrolled: 1-line block ×5, first 2 shown]
	v_mul_lo_u32 v1, v1, s4
	v_mul_lo_u32 v2, v2, s6
	v_add_nc_u32_e32 v8, s7, v26
	v_add_nc_u32_e32 v3, s5, v29
	;; [unrolled: 1-line block ×3, first 2 shown]
	v_mul_lo_u32 v5, v5, s4
	v_mul_lo_u32 v4, v4, s4
	v_add_nc_u32_e32 v9, s5, v24
	v_mul_lo_u32 v3, v3, s4
	v_sub_nc_u32_e32 v1, v1, v2
	v_mul_lo_u32 v2, v7, s6
	v_mul_lo_u32 v7, v8, s6
	;; [unrolled: 1-line block ×3, first 2 shown]
	v_add_nc_u32_e32 v8, s5, v25
	v_add_nc_u32_e32 v10, s7, v24
	v_mul_lo_u32 v9, v9, s4
	v_cmp_lt_u32_e32 vcc_lo, s3, v1
	v_add_nc_u32_e32 v14, s7, v19
	v_sub_nc_u32_e32 v2, v4, v2
	v_sub_nc_u32_e32 v4, v5, v7
	v_add_nc_u32_e32 v5, s7, v25
	v_sub_nc_u32_e32 v3, v3, v6
	v_add_nc_u32_e32 v6, s5, v23
	v_add_nc_u32_e32 v7, s7, v23
	v_mul_lo_u32 v8, v8, s4
	v_mul_lo_u32 v5, v5, s6
	;; [unrolled: 1-line block ×5, first 2 shown]
	s_wait_alu 0xfffd
	v_cndmask_b32_e64 v1, 0, 1, vcc_lo
	v_cmp_lt_u32_e32 vcc_lo, s3, v3
	v_mul_lo_u32 v14, v14, s6
	v_add_nc_u32_e32 v15, s7, v21
	v_sub_nc_u32_e32 v5, v8, v5
	v_add_nc_u32_e32 v8, s7, v22
	s_wait_alu 0xfffd
	v_cndmask_b32_e64 v3, 0, 1, vcc_lo
	v_sub_nc_u32_e32 v6, v6, v7
	v_mul_lo_u32 v15, v15, s6
	v_cmp_lt_u32_e32 vcc_lo, s3, v5
	v_mul_lo_u32 v7, v8, s6
	v_sub_nc_u32_e32 v8, v9, v10
	v_add_nc_u32_e32 v9, s5, v19
	v_add_nc_u32_e32 v10, s5, v21
	s_wait_alu 0xfffd
	v_cndmask_b32_e64 v5, 0, 1, vcc_lo
	v_cmp_lt_u32_e32 vcc_lo, s3, v6
	v_add_nc_u32_e32 v11, s5, v22
	v_mul_lo_u32 v9, v9, s4
	v_mul_lo_u32 v10, v10, s4
	v_add_nc_u32_e32 v12, s5, v20
	s_wait_alu 0xfffd
	v_cndmask_b32_e64 v6, 0, 1, vcc_lo
	v_mul_lo_u32 v11, v11, s4
	v_add_nc_u32_e32 v16, s7, v20
	v_lshlrev_b16 v3, 8, v3
	v_add_nc_u32_e32 v13, s5, v18
	v_sub_nc_u32_e32 v9, v9, v14
	v_sub_nc_u32_e32 v10, v10, v15
	v_add_nc_u32_e32 v17, s7, v18
	v_mul_lo_u32 v12, v12, s4
	v_mul_lo_u32 v16, v16, s6
	v_cmp_lt_u32_e32 vcc_lo, s3, v9
	v_sub_nc_u32_e32 v7, v11, v7
	v_lshrrev_b32_e32 v3, 8, v3
	v_mul_lo_u32 v11, v13, s4
	v_mul_lo_u32 v13, v17, s6
	s_wait_alu 0xfffd
	v_cndmask_b32_e64 v9, 0, 1, vcc_lo
	v_cmp_lt_u32_e32 vcc_lo, s3, v2
	v_sub_nc_u32_e32 v12, v12, v16
	v_lshlrev_b16 v3, 8, v3
	v_lshlrev_b16 v1, 8, v1
	;; [unrolled: 1-line block ×3, first 2 shown]
	s_wait_alu 0xfffd
	v_cndmask_b32_e64 v2, 0, 1, vcc_lo
	v_cmp_lt_u32_e32 vcc_lo, s3, v10
	v_sub_nc_u32_e32 v11, v11, v13
	v_add_nc_u32_e32 v14, s5, v44
	v_add_nc_u32_e32 v15, s7, v44
	v_or_b32_e32 v2, v2, v3
	s_wait_alu 0xfffd
	v_cndmask_b32_e64 v10, 0, 1, vcc_lo
	v_cmp_lt_u32_e32 vcc_lo, s3, v4
	v_lshlrev_b16 v3, 8, v9
	v_lshrrev_b32_e32 v5, 8, v5
	v_lshrrev_b32_e32 v1, 8, v1
	v_lshlrev_b16 v9, 8, v10
	s_wait_alu 0xfffd
	v_cndmask_b32_e64 v4, 0, 1, vcc_lo
	v_cmp_lt_u32_e32 vcc_lo, s3, v8
	v_lshrrev_b32_e32 v3, 8, v3
	v_mul_lo_u32 v14, v14, s4
	v_lshrrev_b32_e32 v9, 8, v9
	v_mul_lo_u32 v15, v15, s6
	s_wait_alu 0xfffd
	v_cndmask_b32_e64 v8, 0, 1, vcc_lo
	v_cmp_lt_u32_e32 vcc_lo, s3, v7
	v_lshlrev_b16 v6, 8, v6
	v_lshlrev_b16 v1, 8, v1
	;; [unrolled: 1-line block ×4, first 2 shown]
	s_wait_alu 0xfffd
	v_cndmask_b32_e64 v7, 0, 1, vcc_lo
	v_cmp_lt_u32_e32 vcc_lo, s3, v12
	v_lshlrev_b16 v3, 8, v3
	v_sub_nc_u32_e32 v10, v14, v15
	v_or_b32_e32 v1, v4, v1
	v_or_b32_e32 v4, v8, v5
	s_wait_alu 0xfffd
	v_cndmask_b32_e64 v12, 0, 1, vcc_lo
	v_cmp_lt_u32_e32 vcc_lo, s3, v11
	v_or_b32_e32 v5, v7, v6
	v_and_b32_e32 v2, 0xffff, v2
	v_lshlrev_b32_e32 v1, 16, v1
	v_or_b32_e32 v6, v12, v9
	s_wait_alu 0xfffd
	v_cndmask_b32_e64 v11, 0, 1, vcc_lo
	v_and_b32_e32 v4, 0xffff, v4
	v_lshlrev_b32_e32 v5, 16, v5
	v_cmp_lt_u32_e32 vcc_lo, s3, v10
	v_and_b32_e32 v6, 0xffff, v6
	v_or_b32_e32 v3, v11, v3
	v_or_b32_e32 v51, v2, v1
	;; [unrolled: 1-line block ×3, first 2 shown]
	s_wait_alu 0xfffd
	v_cndmask_b32_e64 v46, 0, 1, vcc_lo
	v_lshlrev_b32_e32 v3, 16, v3
	s_delay_alu instid0(VALU_DEP_1)
	v_or_b32_e32 v47, v6, v3
	s_clause 0x1
	s_load_b64 s[10:11], s[0:1], 0x28
	s_load_b64 s[20:21], s[0:1], 0x68
	s_cbranch_execz .LBB470_7
	s_branch .LBB470_34
.LBB470_6:
                                        ; implicit-def: $vgpr46
                                        ; implicit-def: $vgpr47
                                        ; implicit-def: $vgpr49
                                        ; implicit-def: $vgpr51
	s_clause 0x1
	s_load_b64 s[10:11], s[0:1], 0x28
	s_load_b64 s[20:21], s[0:1], 0x68
.LBB470_7:
	v_dual_mov_b32 v2, 0 :: v_dual_mov_b32 v1, 0
	s_mov_b32 s0, exec_lo
	v_cmpx_gt_u32_e64 s23, v45
	s_cbranch_execz .LBB470_9
; %bb.8:
	v_add_nc_u32_e32 v1, s5, v28
	v_add_nc_u32_e32 v3, s7, v28
	s_delay_alu instid0(VALU_DEP_2) | instskip(NEXT) | instid1(VALU_DEP_2)
	v_mul_lo_u32 v1, v1, s4
	v_mul_lo_u32 v3, v3, s6
	s_delay_alu instid0(VALU_DEP_1) | instskip(NEXT) | instid1(VALU_DEP_1)
	v_sub_nc_u32_e32 v1, v1, v3
	v_cmp_lt_u32_e32 vcc_lo, s3, v1
	s_wait_alu 0xfffd
	v_cndmask_b32_e64 v1, 0, 1, vcc_lo
.LBB470_9:
	s_or_b32 exec_lo, exec_lo, s0
	v_add_nc_u32_e32 v3, 1, v45
	s_mov_b32 s0, exec_lo
	s_delay_alu instid0(VALU_DEP_1)
	v_cmpx_gt_u32_e64 s23, v3
	s_cbranch_execz .LBB470_11
; %bb.10:
	v_add_nc_u32_e32 v2, s5, v29
	v_add_nc_u32_e32 v3, s7, v29
	s_delay_alu instid0(VALU_DEP_2) | instskip(NEXT) | instid1(VALU_DEP_2)
	v_mul_lo_u32 v2, v2, s4
	v_mul_lo_u32 v3, v3, s6
	s_delay_alu instid0(VALU_DEP_1) | instskip(NEXT) | instid1(VALU_DEP_1)
	v_sub_nc_u32_e32 v2, v2, v3
	v_cmp_lt_u32_e32 vcc_lo, s3, v2
	s_wait_alu 0xfffd
	v_cndmask_b32_e64 v2, 0, 1, vcc_lo
.LBB470_11:
	s_or_b32 exec_lo, exec_lo, s0
	v_dual_mov_b32 v4, 0 :: v_dual_add_nc_u32 v3, 2, v45
	s_delay_alu instid0(VALU_DEP_1)
	v_cmp_gt_u32_e32 vcc_lo, s23, v3
	v_mov_b32_e32 v3, 0
	s_and_saveexec_b32 s0, vcc_lo
	s_cbranch_execz .LBB470_13
; %bb.12:
	v_add_nc_u32_e32 v3, s5, v26
	v_add_nc_u32_e32 v5, s7, v26
	s_delay_alu instid0(VALU_DEP_2) | instskip(NEXT) | instid1(VALU_DEP_2)
	v_mul_lo_u32 v3, v3, s4
	v_mul_lo_u32 v5, v5, s6
	s_delay_alu instid0(VALU_DEP_1) | instskip(NEXT) | instid1(VALU_DEP_1)
	v_sub_nc_u32_e32 v3, v3, v5
	v_cmp_lt_u32_e32 vcc_lo, s3, v3
	s_wait_alu 0xfffd
	v_cndmask_b32_e64 v3, 0, 1, vcc_lo
.LBB470_13:
	s_or_b32 exec_lo, exec_lo, s0
	v_add_nc_u32_e32 v5, 3, v45
	s_mov_b32 s0, exec_lo
	s_delay_alu instid0(VALU_DEP_1)
	v_cmpx_gt_u32_e64 s23, v5
	s_cbranch_execz .LBB470_15
; %bb.14:
	v_add_nc_u32_e32 v4, s5, v27
	v_add_nc_u32_e32 v5, s7, v27
	s_delay_alu instid0(VALU_DEP_2) | instskip(NEXT) | instid1(VALU_DEP_2)
	v_mul_lo_u32 v4, v4, s4
	v_mul_lo_u32 v5, v5, s6
	s_delay_alu instid0(VALU_DEP_1) | instskip(NEXT) | instid1(VALU_DEP_1)
	v_sub_nc_u32_e32 v4, v4, v5
	v_cmp_lt_u32_e32 vcc_lo, s3, v4
	s_wait_alu 0xfffd
	v_cndmask_b32_e64 v4, 0, 1, vcc_lo
.LBB470_15:
	s_or_b32 exec_lo, exec_lo, s0
	v_dual_mov_b32 v6, 0 :: v_dual_add_nc_u32 v5, 4, v45
	s_delay_alu instid0(VALU_DEP_1)
	v_cmp_gt_u32_e32 vcc_lo, s23, v5
	v_mov_b32_e32 v5, 0
	s_and_saveexec_b32 s0, vcc_lo
	;; [unrolled: 37-line block ×5, first 2 shown]
	s_cbranch_execz .LBB470_29
; %bb.28:
	v_add_nc_u32_e32 v11, s5, v18
	v_add_nc_u32_e32 v13, s7, v18
	s_delay_alu instid0(VALU_DEP_2) | instskip(NEXT) | instid1(VALU_DEP_2)
	v_mul_lo_u32 v11, v11, s4
	v_mul_lo_u32 v13, v13, s6
	s_delay_alu instid0(VALU_DEP_1) | instskip(NEXT) | instid1(VALU_DEP_1)
	v_sub_nc_u32_e32 v11, v11, v13
	v_cmp_lt_u32_e32 vcc_lo, s3, v11
	s_wait_alu 0xfffd
	v_cndmask_b32_e64 v11, 0, 1, vcc_lo
.LBB470_29:
	s_or_b32 exec_lo, exec_lo, s0
	v_add_nc_u32_e32 v13, 11, v45
	s_mov_b32 s0, exec_lo
	s_delay_alu instid0(VALU_DEP_1)
	v_cmpx_gt_u32_e64 s23, v13
	s_cbranch_execz .LBB470_31
; %bb.30:
	v_add_nc_u32_e32 v12, s5, v19
	v_add_nc_u32_e32 v13, s7, v19
	s_delay_alu instid0(VALU_DEP_2) | instskip(NEXT) | instid1(VALU_DEP_2)
	v_mul_lo_u32 v12, v12, s4
	v_mul_lo_u32 v13, v13, s6
	s_delay_alu instid0(VALU_DEP_1) | instskip(NEXT) | instid1(VALU_DEP_1)
	v_sub_nc_u32_e32 v12, v12, v13
	v_cmp_lt_u32_e32 vcc_lo, s3, v12
	s_wait_alu 0xfffd
	v_cndmask_b32_e64 v12, 0, 1, vcc_lo
.LBB470_31:
	s_or_b32 exec_lo, exec_lo, s0
	v_dual_mov_b32 v46, 0 :: v_dual_add_nc_u32 v13, 12, v45
	s_mov_b32 s0, exec_lo
	s_delay_alu instid0(VALU_DEP_1)
	v_cmpx_gt_u32_e64 s23, v13
	s_cbranch_execz .LBB470_33
; %bb.32:
	v_add_nc_u32_e32 v13, s5, v44
	v_add_nc_u32_e32 v14, s7, v44
	s_delay_alu instid0(VALU_DEP_2) | instskip(NEXT) | instid1(VALU_DEP_2)
	v_mul_lo_u32 v13, v13, s4
	v_mul_lo_u32 v14, v14, s6
	s_delay_alu instid0(VALU_DEP_1) | instskip(NEXT) | instid1(VALU_DEP_1)
	v_sub_nc_u32_e32 v13, v13, v14
	v_cmp_lt_u32_e32 vcc_lo, s3, v13
	s_wait_alu 0xfffd
	v_cndmask_b32_e64 v46, 0, 1, vcc_lo
.LBB470_33:
	s_or_b32 exec_lo, exec_lo, s0
	v_lshlrev_b16 v2, 8, v2
	v_lshlrev_b16 v4, 8, v4
	;; [unrolled: 1-line block ×5, first 2 shown]
	v_or_b32_e32 v1, v1, v2
	v_lshlrev_b16 v2, 8, v12
	v_or_b32_e32 v3, v3, v4
	v_or_b32_e32 v4, v5, v6
	;; [unrolled: 1-line block ×5, first 2 shown]
	v_and_b32_e32 v1, 0xffff, v1
	v_lshlrev_b32_e32 v3, 16, v3
	v_and_b32_e32 v4, 0xffff, v4
	v_lshlrev_b32_e32 v5, 16, v5
	;; [unrolled: 2-line block ×3, first 2 shown]
	v_or_b32_e32 v51, v1, v3
	s_delay_alu instid0(VALU_DEP_4) | instskip(NEXT) | instid1(VALU_DEP_3)
	v_or_b32_e32 v49, v4, v5
	v_or_b32_e32 v47, v6, v2
.LBB470_34:
	s_delay_alu instid0(VALU_DEP_3)
	v_and_b32_e32 v53, 0xff, v51
	v_bfe_u32 v54, v51, 8, 8
	v_bfe_u32 v55, v51, 16, 8
	v_lshrrev_b32_e32 v52, 24, v51
	v_and_b32_e32 v56, 0xff, v49
	v_bfe_u32 v57, v49, 8, 8
	v_bfe_u32 v58, v49, 16, 8
	v_add3_u32 v1, v54, v53, v55
	v_lshrrev_b32_e32 v50, 24, v49
	v_and_b32_e32 v59, 0xff, v47
	v_bfe_u32 v60, v47, 8, 8
	v_mbcnt_lo_u32_b32 v62, -1, 0
	v_add3_u32 v1, v1, v52, v56
	v_bfe_u32 v61, v47, 16, 8
	v_lshrrev_b32_e32 v48, 24, v47
	v_and_b32_e32 v2, 0xff, v46
	v_and_b32_e32 v3, 15, v62
	v_add3_u32 v1, v1, v57, v58
	v_or_b32_e32 v4, 31, v0
	v_and_b32_e32 v5, 16, v62
	v_lshrrev_b32_e32 v63, 5, v0
	v_cmp_eq_u32_e64 s5, 0, v3
	v_add3_u32 v1, v1, v50, v59
	v_cmp_lt_u32_e64 s4, 1, v3
	v_cmp_lt_u32_e64 s3, 3, v3
	;; [unrolled: 1-line block ×3, first 2 shown]
	v_cmp_eq_u32_e64 s1, 0, v5
	v_add3_u32 v1, v1, v60, v61
	v_cmp_eq_u32_e64 s0, v0, v4
	s_cmp_lg_u32 ttmp9, 0
	s_mov_b32 s6, -1
	v_add3_u32 v64, v1, v48, v2
	s_cbranch_scc0 .LBB470_55
; %bb.35:
	s_delay_alu instid0(VALU_DEP_1) | instskip(SKIP_1) | instid1(VALU_DEP_1)
	v_mov_b32_dpp v1, v64 row_shr:1 row_mask:0xf bank_mask:0xf
	s_wait_alu 0xf1ff
	v_cndmask_b32_e64 v1, v1, 0, s5
	s_delay_alu instid0(VALU_DEP_1) | instskip(NEXT) | instid1(VALU_DEP_1)
	v_add_nc_u32_e32 v1, v1, v64
	v_mov_b32_dpp v2, v1 row_shr:2 row_mask:0xf bank_mask:0xf
	s_delay_alu instid0(VALU_DEP_1) | instskip(NEXT) | instid1(VALU_DEP_1)
	v_cndmask_b32_e64 v2, 0, v2, s4
	v_add_nc_u32_e32 v1, v1, v2
	s_delay_alu instid0(VALU_DEP_1) | instskip(NEXT) | instid1(VALU_DEP_1)
	v_mov_b32_dpp v2, v1 row_shr:4 row_mask:0xf bank_mask:0xf
	v_cndmask_b32_e64 v2, 0, v2, s3
	s_delay_alu instid0(VALU_DEP_1) | instskip(NEXT) | instid1(VALU_DEP_1)
	v_add_nc_u32_e32 v1, v1, v2
	v_mov_b32_dpp v2, v1 row_shr:8 row_mask:0xf bank_mask:0xf
	s_delay_alu instid0(VALU_DEP_1) | instskip(NEXT) | instid1(VALU_DEP_1)
	v_cndmask_b32_e64 v2, 0, v2, s2
	v_add_nc_u32_e32 v1, v1, v2
	ds_swizzle_b32 v2, v1 offset:swizzle(BROADCAST,32,15)
	s_wait_dscnt 0x0
	v_cndmask_b32_e64 v2, v2, 0, s1
	s_delay_alu instid0(VALU_DEP_1)
	v_add_nc_u32_e32 v1, v1, v2
	s_and_saveexec_b32 s6, s0
; %bb.36:
	v_lshlrev_b32_e32 v2, 2, v63
	ds_store_b32 v2, v1
; %bb.37:
	s_wait_alu 0xfffe
	s_or_b32 exec_lo, exec_lo, s6
	s_delay_alu instid0(SALU_CYCLE_1)
	s_mov_b32 s6, exec_lo
	s_wait_loadcnt_dscnt 0x0
	s_barrier_signal -1
	s_barrier_wait -1
	global_inv scope:SCOPE_SE
	v_cmpx_gt_u32_e32 8, v0
	s_cbranch_execz .LBB470_39
; %bb.38:
	ds_load_b32 v2, v42
	s_wait_dscnt 0x0
	v_mov_b32_dpp v4, v2 row_shr:1 row_mask:0xf bank_mask:0xf
	v_and_b32_e32 v3, 7, v62
	s_delay_alu instid0(VALU_DEP_1) | instskip(SKIP_1) | instid1(VALU_DEP_3)
	v_cmp_ne_u32_e32 vcc_lo, 0, v3
	s_wait_alu 0xfffd
	v_cndmask_b32_e32 v4, 0, v4, vcc_lo
	v_cmp_lt_u32_e32 vcc_lo, 1, v3
	s_delay_alu instid0(VALU_DEP_2) | instskip(NEXT) | instid1(VALU_DEP_1)
	v_add_nc_u32_e32 v2, v4, v2
	v_mov_b32_dpp v4, v2 row_shr:2 row_mask:0xf bank_mask:0xf
	s_wait_alu 0xfffd
	s_delay_alu instid0(VALU_DEP_1) | instskip(SKIP_1) | instid1(VALU_DEP_2)
	v_cndmask_b32_e32 v4, 0, v4, vcc_lo
	v_cmp_lt_u32_e32 vcc_lo, 3, v3
	v_add_nc_u32_e32 v2, v2, v4
	s_delay_alu instid0(VALU_DEP_1) | instskip(SKIP_1) | instid1(VALU_DEP_1)
	v_mov_b32_dpp v4, v2 row_shr:4 row_mask:0xf bank_mask:0xf
	s_wait_alu 0xfffd
	v_cndmask_b32_e32 v3, 0, v4, vcc_lo
	s_delay_alu instid0(VALU_DEP_1)
	v_add_nc_u32_e32 v2, v2, v3
	ds_store_b32 v42, v2
.LBB470_39:
	s_wait_alu 0xfffe
	s_or_b32 exec_lo, exec_lo, s6
	s_delay_alu instid0(SALU_CYCLE_1)
	s_mov_b32 s7, exec_lo
	v_cmp_gt_u32_e32 vcc_lo, 32, v0
	s_wait_loadcnt_dscnt 0x0
	s_barrier_signal -1
	s_barrier_wait -1
	global_inv scope:SCOPE_SE
                                        ; implicit-def: $vgpr9
	v_cmpx_lt_u32_e32 31, v0
	s_cbranch_execz .LBB470_41
; %bb.40:
	v_lshl_add_u32 v2, v63, 2, -4
	ds_load_b32 v9, v2
	s_wait_dscnt 0x0
	v_add_nc_u32_e32 v1, v9, v1
.LBB470_41:
	s_wait_alu 0xfffe
	s_or_b32 exec_lo, exec_lo, s7
	v_sub_co_u32 v2, s6, v62, 1
	s_delay_alu instid0(VALU_DEP_1) | instskip(SKIP_1) | instid1(VALU_DEP_1)
	v_cmp_gt_i32_e64 s7, 0, v2
	s_wait_alu 0xf1ff
	v_cndmask_b32_e64 v2, v2, v62, s7
	s_delay_alu instid0(VALU_DEP_1)
	v_lshlrev_b32_e32 v2, 2, v2
	ds_bpermute_b32 v10, v2, v1
	s_and_saveexec_b32 s7, vcc_lo
	s_cbranch_execz .LBB470_60
; %bb.42:
	v_mov_b32_e32 v5, 0
	ds_load_b32 v1, v5 offset:28
	s_and_saveexec_b32 s17, s6
	s_cbranch_execz .LBB470_44
; %bb.43:
	s_add_co_i32 s24, ttmp9, 32
	s_mov_b32 s25, 0
	v_mov_b32_e32 v2, 1
	s_lshl_b64 s[24:25], s[24:25], 3
	s_wait_kmcnt 0x0
	s_add_nc_u64 s[24:25], s[20:21], s[24:25]
	s_wait_dscnt 0x0
	global_store_b64 v5, v[1:2], s[24:25] scope:SCOPE_DEV
.LBB470_44:
	s_or_b32 exec_lo, exec_lo, s17
	v_xad_u32 v3, v62, -1, ttmp9
	s_mov_b32 s24, 0
	s_mov_b32 s17, exec_lo
	s_delay_alu instid0(VALU_DEP_1) | instskip(NEXT) | instid1(VALU_DEP_1)
	v_add_nc_u32_e32 v4, 32, v3
	v_lshlrev_b64_e32 v[4:5], 3, v[4:5]
	s_wait_kmcnt 0x0
	s_delay_alu instid0(VALU_DEP_1) | instskip(SKIP_1) | instid1(VALU_DEP_2)
	v_add_co_u32 v7, vcc_lo, s20, v4
	s_wait_alu 0xfffd
	v_add_co_ci_u32_e64 v8, null, s21, v5, vcc_lo
	global_load_b64 v[5:6], v[7:8], off scope:SCOPE_DEV
	s_wait_loadcnt 0x0
	v_and_b32_e32 v2, 0xff, v6
	s_delay_alu instid0(VALU_DEP_1)
	v_cmpx_eq_u16_e32 0, v2
	s_cbranch_execz .LBB470_47
.LBB470_45:                             ; =>This Inner Loop Header: Depth=1
	global_load_b64 v[5:6], v[7:8], off scope:SCOPE_DEV
	s_wait_loadcnt 0x0
	v_and_b32_e32 v2, 0xff, v6
	s_delay_alu instid0(VALU_DEP_1) | instskip(SKIP_1) | instid1(SALU_CYCLE_1)
	v_cmp_ne_u16_e32 vcc_lo, 0, v2
	s_or_b32 s24, vcc_lo, s24
	s_and_not1_b32 exec_lo, exec_lo, s24
	s_cbranch_execnz .LBB470_45
; %bb.46:
	s_or_b32 exec_lo, exec_lo, s24
.LBB470_47:
	s_delay_alu instid0(SALU_CYCLE_1)
	s_or_b32 exec_lo, exec_lo, s17
	v_cmp_ne_u32_e32 vcc_lo, 31, v62
	v_lshlrev_b32_e64 v12, v62, -1
	v_add_nc_u32_e32 v14, 2, v62
	v_add_nc_u32_e32 v16, 4, v62
	;; [unrolled: 1-line block ×3, first 2 shown]
	s_wait_alu 0xfffd
	v_add_co_ci_u32_e64 v2, null, 0, v62, vcc_lo
	v_lshl_or_b32 v66, v62, 2, 64
	v_add_nc_u32_e32 v67, 16, v62
	s_delay_alu instid0(VALU_DEP_3)
	v_lshlrev_b32_e32 v11, 2, v2
	v_and_b32_e32 v2, 0xff, v6
	ds_bpermute_b32 v4, v11, v5
	v_cmp_eq_u16_e32 vcc_lo, 2, v2
	s_wait_alu 0xfffd
	v_and_or_b32 v2, vcc_lo, v12, 0x80000000
	v_cmp_gt_u32_e32 vcc_lo, 30, v62
	s_delay_alu instid0(VALU_DEP_2) | instskip(SKIP_2) | instid1(VALU_DEP_2)
	v_ctz_i32_b32_e32 v2, v2
	s_wait_alu 0xfffd
	v_cndmask_b32_e64 v7, 0, 2, vcc_lo
	v_cmp_lt_u32_e32 vcc_lo, v62, v2
	s_delay_alu instid0(VALU_DEP_2) | instskip(SKIP_4) | instid1(VALU_DEP_2)
	v_add_lshl_u32 v13, v7, v62, 2
	s_wait_dscnt 0x0
	s_wait_alu 0xfffd
	v_cndmask_b32_e32 v4, 0, v4, vcc_lo
	v_cmp_gt_u32_e32 vcc_lo, 28, v62
	v_add_nc_u32_e32 v4, v4, v5
	s_wait_alu 0xfffd
	v_cndmask_b32_e64 v7, 0, 4, vcc_lo
	v_cmp_le_u32_e32 vcc_lo, v14, v2
	ds_bpermute_b32 v5, v13, v4
	v_add_lshl_u32 v15, v7, v62, 2
	s_wait_dscnt 0x0
	s_wait_alu 0xfffd
	v_cndmask_b32_e32 v5, 0, v5, vcc_lo
	v_cmp_gt_u32_e32 vcc_lo, 24, v62
	s_delay_alu instid0(VALU_DEP_2)
	v_add_nc_u32_e32 v4, v4, v5
	s_wait_alu 0xfffd
	v_cndmask_b32_e64 v7, 0, 8, vcc_lo
	v_cmp_le_u32_e32 vcc_lo, v16, v2
	ds_bpermute_b32 v5, v15, v4
	v_add_lshl_u32 v17, v7, v62, 2
	s_wait_dscnt 0x0
	s_wait_alu 0xfffd
	v_cndmask_b32_e32 v5, 0, v5, vcc_lo
	v_cmp_le_u32_e32 vcc_lo, v65, v2
	s_delay_alu instid0(VALU_DEP_2)
	v_add_nc_u32_e32 v4, v4, v5
	ds_bpermute_b32 v5, v17, v4
	s_wait_dscnt 0x0
	s_wait_alu 0xfffd
	v_cndmask_b32_e32 v5, 0, v5, vcc_lo
	v_cmp_le_u32_e32 vcc_lo, v67, v2
	s_delay_alu instid0(VALU_DEP_2) | instskip(SKIP_4) | instid1(VALU_DEP_1)
	v_add_nc_u32_e32 v4, v4, v5
	ds_bpermute_b32 v5, v66, v4
	s_wait_dscnt 0x0
	s_wait_alu 0xfffd
	v_cndmask_b32_e32 v2, 0, v5, vcc_lo
	v_dual_mov_b32 v4, 0 :: v_dual_add_nc_u32 v5, v4, v2
	s_branch .LBB470_51
.LBB470_48:                             ;   in Loop: Header=BB470_51 Depth=1
	s_or_b32 exec_lo, exec_lo, s24
.LBB470_49:                             ;   in Loop: Header=BB470_51 Depth=1
	s_delay_alu instid0(SALU_CYCLE_1) | instskip(SKIP_4) | instid1(VALU_DEP_2)
	s_or_b32 exec_lo, exec_lo, s17
	ds_bpermute_b32 v8, v11, v5
	v_and_b32_e32 v7, 0xff, v6
	v_subrev_nc_u32_e32 v3, 32, v3
	s_mov_b32 s17, 0
	v_cmp_eq_u16_e32 vcc_lo, 2, v7
	s_wait_alu 0xfffd
	v_and_or_b32 v7, vcc_lo, v12, 0x80000000
	s_delay_alu instid0(VALU_DEP_1) | instskip(NEXT) | instid1(VALU_DEP_1)
	v_ctz_i32_b32_e32 v7, v7
	v_cmp_lt_u32_e32 vcc_lo, v62, v7
	s_wait_dscnt 0x0
	s_wait_alu 0xfffd
	v_cndmask_b32_e32 v8, 0, v8, vcc_lo
	v_cmp_le_u32_e32 vcc_lo, v14, v7
	s_delay_alu instid0(VALU_DEP_2)
	v_add_nc_u32_e32 v5, v8, v5
	ds_bpermute_b32 v8, v13, v5
	s_wait_dscnt 0x0
	s_wait_alu 0xfffd
	v_cndmask_b32_e32 v8, 0, v8, vcc_lo
	v_cmp_le_u32_e32 vcc_lo, v16, v7
	s_delay_alu instid0(VALU_DEP_2)
	v_add_nc_u32_e32 v5, v5, v8
	ds_bpermute_b32 v8, v15, v5
	;; [unrolled: 7-line block ×3, first 2 shown]
	s_wait_dscnt 0x0
	s_wait_alu 0xfffd
	v_cndmask_b32_e32 v8, 0, v8, vcc_lo
	v_cmp_le_u32_e32 vcc_lo, v67, v7
	s_delay_alu instid0(VALU_DEP_2) | instskip(SKIP_4) | instid1(VALU_DEP_1)
	v_add_nc_u32_e32 v5, v5, v8
	ds_bpermute_b32 v8, v66, v5
	s_wait_dscnt 0x0
	s_wait_alu 0xfffd
	v_cndmask_b32_e32 v7, 0, v8, vcc_lo
	v_add3_u32 v5, v7, v2, v5
.LBB470_50:                             ;   in Loop: Header=BB470_51 Depth=1
	s_and_b32 vcc_lo, exec_lo, s17
	s_wait_alu 0xfffe
	s_cbranch_vccnz .LBB470_56
.LBB470_51:                             ; =>This Loop Header: Depth=1
                                        ;     Child Loop BB470_54 Depth 2
	v_and_b32_e32 v2, 0xff, v6
	s_mov_b32 s17, -1
                                        ; implicit-def: $vgpr6
	s_delay_alu instid0(VALU_DEP_1)
	v_cmp_ne_u16_e32 vcc_lo, 2, v2
	v_mov_b32_e32 v2, v5
                                        ; implicit-def: $vgpr5
	s_cmp_lg_u32 vcc_lo, exec_lo
	s_cbranch_scc1 .LBB470_50
; %bb.52:                               ;   in Loop: Header=BB470_51 Depth=1
	v_lshlrev_b64_e32 v[5:6], 3, v[3:4]
	s_mov_b32 s17, exec_lo
	s_delay_alu instid0(VALU_DEP_1) | instskip(SKIP_1) | instid1(VALU_DEP_2)
	v_add_co_u32 v7, vcc_lo, s20, v5
	s_wait_alu 0xfffd
	v_add_co_ci_u32_e64 v8, null, s21, v6, vcc_lo
	global_load_b64 v[5:6], v[7:8], off scope:SCOPE_DEV
	s_wait_loadcnt 0x0
	v_and_b32_e32 v68, 0xff, v6
	s_delay_alu instid0(VALU_DEP_1)
	v_cmpx_eq_u16_e32 0, v68
	s_cbranch_execz .LBB470_49
; %bb.53:                               ;   in Loop: Header=BB470_51 Depth=1
	s_mov_b32 s24, 0
.LBB470_54:                             ;   Parent Loop BB470_51 Depth=1
                                        ; =>  This Inner Loop Header: Depth=2
	global_load_b64 v[5:6], v[7:8], off scope:SCOPE_DEV
	s_wait_loadcnt 0x0
	v_and_b32_e32 v68, 0xff, v6
	s_delay_alu instid0(VALU_DEP_1) | instskip(SKIP_1) | instid1(SALU_CYCLE_1)
	v_cmp_ne_u16_e32 vcc_lo, 0, v68
	s_or_b32 s24, vcc_lo, s24
	s_and_not1_b32 exec_lo, exec_lo, s24
	s_cbranch_execnz .LBB470_54
	s_branch .LBB470_48
.LBB470_55:
                                        ; implicit-def: $vgpr17
                                        ; implicit-def: $vgpr1_vgpr2_vgpr3_vgpr4_vgpr5_vgpr6_vgpr7_vgpr8_vgpr9_vgpr10_vgpr11_vgpr12_vgpr13_vgpr14_vgpr15_vgpr16
	s_wait_alu 0xfffe
	s_and_b32 vcc_lo, exec_lo, s6
	s_wait_alu 0xfffe
	s_cbranch_vccnz .LBB470_61
	s_branch .LBB470_70
.LBB470_56:
	s_and_saveexec_b32 s17, s6
	s_cbranch_execz .LBB470_58
; %bb.57:
	s_add_co_i32 s24, ttmp9, 32
	s_mov_b32 s25, 0
	v_dual_mov_b32 v4, 2 :: v_dual_add_nc_u32 v3, v2, v1
	v_mov_b32_e32 v5, 0
	s_lshl_b64 s[24:25], s[24:25], 3
	s_delay_alu instid0(SALU_CYCLE_1)
	s_add_nc_u64 s[24:25], s[20:21], s[24:25]
	global_store_b64 v5, v[3:4], s[24:25] scope:SCOPE_DEV
	ds_store_b64 v5, v[1:2] offset:13312
.LBB470_58:
	s_or_b32 exec_lo, exec_lo, s17
	v_cmp_eq_u32_e32 vcc_lo, 0, v0
	s_and_b32 exec_lo, exec_lo, vcc_lo
; %bb.59:
	v_mov_b32_e32 v1, 0
	ds_store_b32 v1, v2 offset:28
.LBB470_60:
	s_wait_alu 0xfffe
	s_or_b32 exec_lo, exec_lo, s7
	s_wait_dscnt 0x0
	v_cndmask_b32_e64 v2, v10, v9, s6
	v_cmp_ne_u32_e32 vcc_lo, 0, v0
	v_mov_b32_e32 v11, 0
	s_wait_loadcnt 0x0
	s_wait_storecnt 0x0
	s_barrier_signal -1
	s_barrier_wait -1
	global_inv scope:SCOPE_SE
	s_wait_alu 0xfffd
	v_cndmask_b32_e32 v2, 0, v2, vcc_lo
	ds_load_b32 v1, v11 offset:28
	s_wait_loadcnt_dscnt 0x0
	s_barrier_signal -1
	s_barrier_wait -1
	global_inv scope:SCOPE_SE
	ds_load_b64 v[16:17], v11 offset:13312
	v_add_nc_u32_e32 v1, v1, v2
	s_delay_alu instid0(VALU_DEP_1) | instskip(NEXT) | instid1(VALU_DEP_1)
	v_add_nc_u32_e32 v2, v1, v53
	v_add_nc_u32_e32 v3, v2, v54
	s_delay_alu instid0(VALU_DEP_1) | instskip(NEXT) | instid1(VALU_DEP_1)
	v_add_nc_u32_e32 v4, v3, v55
	;; [unrolled: 3-line block ×6, first 2 shown]
	v_add_nc_u32_e32 v13, v12, v48
	s_branch .LBB470_70
.LBB470_61:
	v_mov_b32_dpp v1, v64 row_shr:1 row_mask:0xf bank_mask:0xf
	s_delay_alu instid0(VALU_DEP_1) | instskip(NEXT) | instid1(VALU_DEP_1)
	v_cndmask_b32_e64 v1, v1, 0, s5
	v_add_nc_u32_e32 v1, v1, v64
	s_delay_alu instid0(VALU_DEP_1) | instskip(NEXT) | instid1(VALU_DEP_1)
	v_mov_b32_dpp v2, v1 row_shr:2 row_mask:0xf bank_mask:0xf
	v_cndmask_b32_e64 v2, 0, v2, s4
	s_delay_alu instid0(VALU_DEP_1) | instskip(NEXT) | instid1(VALU_DEP_1)
	v_add_nc_u32_e32 v1, v1, v2
	v_mov_b32_dpp v2, v1 row_shr:4 row_mask:0xf bank_mask:0xf
	s_delay_alu instid0(VALU_DEP_1) | instskip(NEXT) | instid1(VALU_DEP_1)
	v_cndmask_b32_e64 v2, 0, v2, s3
	v_add_nc_u32_e32 v1, v1, v2
	s_delay_alu instid0(VALU_DEP_1) | instskip(NEXT) | instid1(VALU_DEP_1)
	v_mov_b32_dpp v2, v1 row_shr:8 row_mask:0xf bank_mask:0xf
	v_cndmask_b32_e64 v2, 0, v2, s2
	s_delay_alu instid0(VALU_DEP_1) | instskip(SKIP_3) | instid1(VALU_DEP_1)
	v_add_nc_u32_e32 v1, v1, v2
	ds_swizzle_b32 v2, v1 offset:swizzle(BROADCAST,32,15)
	s_wait_dscnt 0x0
	v_cndmask_b32_e64 v2, v2, 0, s1
	v_add_nc_u32_e32 v1, v1, v2
	s_and_saveexec_b32 s1, s0
; %bb.62:
	v_lshlrev_b32_e32 v2, 2, v63
	ds_store_b32 v2, v1
; %bb.63:
	s_wait_alu 0xfffe
	s_or_b32 exec_lo, exec_lo, s1
	s_delay_alu instid0(SALU_CYCLE_1)
	s_mov_b32 s0, exec_lo
	s_wait_loadcnt_dscnt 0x0
	s_barrier_signal -1
	s_barrier_wait -1
	global_inv scope:SCOPE_SE
	v_cmpx_gt_u32_e32 8, v0
	s_cbranch_execz .LBB470_65
; %bb.64:
	ds_load_b32 v2, v42
	s_wait_dscnt 0x0
	v_mov_b32_dpp v4, v2 row_shr:1 row_mask:0xf bank_mask:0xf
	v_and_b32_e32 v3, 7, v62
	s_delay_alu instid0(VALU_DEP_1) | instskip(SKIP_1) | instid1(VALU_DEP_3)
	v_cmp_ne_u32_e32 vcc_lo, 0, v3
	s_wait_alu 0xfffd
	v_cndmask_b32_e32 v4, 0, v4, vcc_lo
	v_cmp_lt_u32_e32 vcc_lo, 1, v3
	s_delay_alu instid0(VALU_DEP_2) | instskip(NEXT) | instid1(VALU_DEP_1)
	v_add_nc_u32_e32 v2, v4, v2
	v_mov_b32_dpp v4, v2 row_shr:2 row_mask:0xf bank_mask:0xf
	s_wait_alu 0xfffd
	s_delay_alu instid0(VALU_DEP_1) | instskip(SKIP_1) | instid1(VALU_DEP_2)
	v_cndmask_b32_e32 v4, 0, v4, vcc_lo
	v_cmp_lt_u32_e32 vcc_lo, 3, v3
	v_add_nc_u32_e32 v2, v2, v4
	s_delay_alu instid0(VALU_DEP_1) | instskip(SKIP_1) | instid1(VALU_DEP_1)
	v_mov_b32_dpp v4, v2 row_shr:4 row_mask:0xf bank_mask:0xf
	s_wait_alu 0xfffd
	v_cndmask_b32_e32 v3, 0, v4, vcc_lo
	s_delay_alu instid0(VALU_DEP_1)
	v_add_nc_u32_e32 v2, v2, v3
	ds_store_b32 v42, v2
.LBB470_65:
	s_wait_alu 0xfffe
	s_or_b32 exec_lo, exec_lo, s0
	v_dual_mov_b32 v3, 0 :: v_dual_mov_b32 v2, 0
	s_mov_b32 s0, exec_lo
	s_wait_loadcnt_dscnt 0x0
	s_barrier_signal -1
	s_barrier_wait -1
	global_inv scope:SCOPE_SE
	v_cmpx_lt_u32_e32 31, v0
; %bb.66:
	v_lshl_add_u32 v2, v63, 2, -4
	ds_load_b32 v2, v2
; %bb.67:
	s_wait_alu 0xfffe
	s_or_b32 exec_lo, exec_lo, s0
	v_sub_co_u32 v4, vcc_lo, v62, 1
	s_wait_dscnt 0x0
	v_add_nc_u32_e32 v1, v2, v1
	ds_load_b32 v16, v3 offset:28
	v_cmp_gt_i32_e64 s0, 0, v4
	s_wait_alu 0xf1ff
	s_delay_alu instid0(VALU_DEP_1) | instskip(SKIP_1) | instid1(VALU_DEP_2)
	v_cndmask_b32_e64 v4, v4, v62, s0
	v_cmp_eq_u32_e64 s0, 0, v0
	v_lshlrev_b32_e32 v4, 2, v4
	ds_bpermute_b32 v1, v4, v1
	s_and_saveexec_b32 s1, s0
	s_cbranch_execz .LBB470_69
; %bb.68:
	v_mov_b32_e32 v3, 0
	v_mov_b32_e32 v17, 2
	s_wait_dscnt 0x1
	s_wait_kmcnt 0x0
	global_store_b64 v3, v[16:17], s[20:21] offset:256 scope:SCOPE_DEV
.LBB470_69:
	s_wait_alu 0xfffe
	s_or_b32 exec_lo, exec_lo, s1
	s_wait_dscnt 0x0
	s_wait_alu 0xfffd
	v_cndmask_b32_e32 v1, v1, v2, vcc_lo
	s_wait_loadcnt 0x0
	s_wait_storecnt 0x0
	s_barrier_signal -1
	s_barrier_wait -1
	global_inv scope:SCOPE_SE
	v_cndmask_b32_e64 v1, v1, 0, s0
	s_delay_alu instid0(VALU_DEP_1) | instskip(NEXT) | instid1(VALU_DEP_1)
	v_dual_mov_b32 v17, 0 :: v_dual_add_nc_u32 v2, v1, v53
	v_add_nc_u32_e32 v3, v2, v54
	s_delay_alu instid0(VALU_DEP_1) | instskip(NEXT) | instid1(VALU_DEP_1)
	v_add_nc_u32_e32 v4, v3, v55
	v_add_nc_u32_e32 v5, v4, v52
	s_delay_alu instid0(VALU_DEP_1) | instskip(NEXT) | instid1(VALU_DEP_1)
	v_add_nc_u32_e32 v6, v5, v56
	;; [unrolled: 3-line block ×5, first 2 shown]
	v_add_nc_u32_e32 v13, v12, v48
.LBB470_70:
	v_lshrrev_b32_e32 v56, 8, v51
	v_lshrrev_b32_e32 v55, 16, v51
	s_wait_dscnt 0x0
	v_sub_nc_u32_e32 v1, v1, v17
	v_and_b32_e32 v51, 1, v51
	v_sub_nc_u32_e32 v3, v3, v17
	v_add_nc_u32_e32 v45, v16, v45
	v_sub_nc_u32_e32 v2, v2, v17
	v_sub_nc_u32_e32 v4, v4, v17
	v_cmp_eq_u32_e32 vcc_lo, 1, v51
	v_and_b32_e32 v51, 1, v55
	v_sub_nc_u32_e32 v57, v45, v1
	v_and_b32_e32 v56, 1, v56
	v_sub_nc_u32_e32 v55, v45, v2
	v_lshrrev_b32_e32 v54, 8, v49
	v_lshrrev_b32_e32 v53, 16, v49
	s_wait_alu 0xfffd
	v_cndmask_b32_e32 v1, v57, v1, vcc_lo
	v_sub_nc_u32_e32 v57, v45, v3
	v_add_nc_u32_e32 v55, 1, v55
	v_cmp_eq_u32_e32 vcc_lo, 1, v56
	v_and_b32_e32 v52, 1, v52
	v_lshlrev_b32_e32 v1, 2, v1
	v_add_nc_u32_e32 v57, 2, v57
	v_lshrrev_b32_e32 v15, 8, v47
	v_lshrrev_b32_e32 v14, 16, v47
	ds_store_b32 v1, v28
	s_wait_alu 0xfffd
	v_cndmask_b32_e32 v1, v55, v2, vcc_lo
	v_cmp_eq_u32_e32 vcc_lo, 1, v51
	s_wait_alu 0xfffd
	s_delay_alu instid0(VALU_DEP_2)
	v_dual_cndmask_b32 v2, v57, v3 :: v_dual_lshlrev_b32 v1, 2, v1
	v_sub_nc_u32_e32 v58, v45, v4
	v_cmp_eq_u32_e32 vcc_lo, 1, v52
	ds_store_b32 v1, v29
	v_lshlrev_b32_e32 v2, 2, v2
	v_add_nc_u32_e32 v58, 3, v58
	s_wait_alu 0xfffd
	s_delay_alu instid0(VALU_DEP_1) | instskip(SKIP_2) | instid1(VALU_DEP_3)
	v_cndmask_b32_e32 v3, v58, v4, vcc_lo
	v_sub_nc_u32_e32 v4, v5, v17
	v_sub_nc_u32_e32 v5, v6, v17
	v_lshlrev_b32_e32 v3, 2, v3
	s_delay_alu instid0(VALU_DEP_3) | instskip(NEXT) | instid1(VALU_DEP_3)
	v_sub_nc_u32_e32 v1, v45, v4
	v_sub_nc_u32_e32 v6, v45, v5
	ds_store_b32 v2, v26
	ds_store_b32 v3, v27
	v_and_b32_e32 v2, 1, v49
	v_add_nc_u32_e32 v1, 4, v1
	v_add_nc_u32_e32 v3, 5, v6
	v_sub_nc_u32_e32 v6, v7, v17
	v_and_b32_e32 v7, 1, v54
	v_cmp_eq_u32_e32 vcc_lo, 1, v2
	v_sub_nc_u32_e32 v2, v8, v17
	s_wait_alu 0xfffd
	v_dual_cndmask_b32 v1, v1, v4 :: v_dual_and_b32 v8, 1, v50
	v_sub_nc_u32_e32 v4, v45, v6
	v_cmp_eq_u32_e32 vcc_lo, 1, v7
	v_and_b32_e32 v7, 1, v53
	s_delay_alu instid0(VALU_DEP_4)
	v_lshlrev_b32_e32 v1, 2, v1
	s_wait_alu 0xfffd
	v_dual_cndmask_b32 v3, v3, v5 :: v_dual_add_nc_u32 v4, 6, v4
	v_sub_nc_u32_e32 v5, v45, v2
	v_cmp_eq_u32_e32 vcc_lo, 1, v7
	v_sub_nc_u32_e32 v7, v13, v17
	s_delay_alu instid0(VALU_DEP_4)
	v_lshlrev_b32_e32 v3, 2, v3
	s_wait_alu 0xfffd
	v_dual_cndmask_b32 v4, v4, v6 :: v_dual_add_nc_u32 v5, 7, v5
	v_cmp_eq_u32_e32 vcc_lo, 1, v8
	v_sub_nc_u32_e32 v6, v9, v17
	ds_store_b32 v1, v24
	ds_store_b32 v3, v25
	s_wait_alu 0xfffd
	v_dual_cndmask_b32 v2, v5, v2 :: v_dual_lshlrev_b32 v3, 2, v4
	v_and_b32_e32 v5, 1, v47
	v_sub_nc_u32_e32 v1, v45, v6
	v_sub_nc_u32_e32 v4, v10, v17
	v_and_b32_e32 v10, 1, v48
	s_delay_alu instid0(VALU_DEP_4) | instskip(SKIP_2) | instid1(VALU_DEP_2)
	v_cmp_eq_u32_e32 vcc_lo, 1, v5
	v_sub_nc_u32_e32 v5, v12, v17
	v_add_nc_u32_e32 v1, 8, v1
	v_sub_nc_u32_e32 v9, v45, v5
	s_wait_alu 0xfffd
	s_delay_alu instid0(VALU_DEP_2)
	v_dual_cndmask_b32 v1, v1, v6 :: v_dual_and_b32 v6, 1, v15
	s_wait_kmcnt 0x0
	v_add_co_u32 v15, s0, s18, v17
	v_add_nc_u32_e32 v9, 11, v9
	v_lshlrev_b32_e32 v2, 2, v2
	ds_store_b32 v3, v22
	ds_store_b32 v2, v23
	v_sub_nc_u32_e32 v3, v11, v17
	v_sub_nc_u32_e32 v2, v45, v4
	v_cmp_eq_u32_e32 vcc_lo, 1, v6
	v_and_b32_e32 v11, 1, v46
	v_lshlrev_b32_e32 v1, 2, v1
	v_sub_nc_u32_e32 v8, v45, v3
	v_add_nc_u32_e32 v2, 9, v2
	s_wait_alu 0xf1ff
	v_add_co_ci_u32_e64 v17, null, s19, 0, s0
	s_delay_alu instid0(VALU_DEP_3) | instskip(SKIP_4) | instid1(VALU_DEP_3)
	v_add_nc_u32_e32 v6, 10, v8
	v_and_b32_e32 v8, 1, v14
	s_wait_alu 0xfffd
	v_cndmask_b32_e32 v2, v2, v4, vcc_lo
	v_sub_nc_u32_e32 v4, v45, v7
	v_cmp_eq_u32_e32 vcc_lo, 1, v8
	s_delay_alu instid0(VALU_DEP_3) | instskip(SKIP_1) | instid1(VALU_DEP_3)
	v_lshlrev_b32_e32 v2, 2, v2
	s_wait_alu 0xfffd
	v_dual_cndmask_b32 v3, v6, v3 :: v_dual_add_nc_u32 v4, 12, v4
	v_cmp_eq_u32_e32 vcc_lo, 1, v10
	s_delay_alu instid0(VALU_DEP_2) | instskip(SKIP_4) | instid1(VALU_DEP_2)
	v_lshlrev_b32_e32 v3, 2, v3
	s_wait_alu 0xfffd
	v_cndmask_b32_e32 v5, v9, v5, vcc_lo
	v_cmp_eq_u32_e32 vcc_lo, 1, v11
	s_wait_alu 0xfffd
	v_dual_cndmask_b32 v4, v4, v7 :: v_dual_lshlrev_b32 v5, 2, v5
	v_cmp_ne_u32_e32 vcc_lo, 1, v43
	s_delay_alu instid0(VALU_DEP_2)
	v_lshlrev_b32_e32 v4, 2, v4
	ds_store_b32 v1, v20
	ds_store_b32 v2, v21
	ds_store_b32 v3, v18
	ds_store_b32 v5, v19
	ds_store_b32 v4, v44
	s_wait_loadcnt_dscnt 0x0
	s_barrier_signal -1
	s_barrier_wait -1
	global_inv scope:SCOPE_SE
	ds_load_2addr_stride64_b32 v[11:12], v42 offset1:4
	ds_load_2addr_stride64_b32 v[9:10], v42 offset0:8 offset1:12
	ds_load_2addr_stride64_b32 v[7:8], v42 offset0:16 offset1:20
	;; [unrolled: 1-line block ×5, first 2 shown]
	ds_load_b32 v18, v42 offset:12288
	s_cbranch_vccnz .LBB470_124
; %bb.71:
	s_mov_b32 s17, 0
	v_sub_co_u32 v13, vcc_lo, v15, s12
	s_sub_nc_u64 s[0:1], s[14:15], s[16:17]
	s_wait_alu 0xfffd
	v_subrev_co_ci_u32_e64 v14, null, s13, v17, vcc_lo
	s_wait_alu 0xfffe
	v_add_co_u32 v19, s0, s0, v16
	s_wait_alu 0xf1ff
	v_add_co_ci_u32_e64 v20, null, s1, 0, s0
	s_mov_b32 s0, exec_lo
	v_add_co_u32 v19, vcc_lo, v19, v13
	s_wait_alu 0xfffd
	v_add_co_ci_u32_e64 v20, null, v20, v14, vcc_lo
                                        ; implicit-def: $vgpr13_vgpr14
	v_cmpx_ge_u32_e64 v0, v16
	s_wait_alu 0xfffe
	s_xor_b32 s0, exec_lo, s0
; %bb.72:
	v_not_b32_e32 v13, v0
	s_delay_alu instid0(VALU_DEP_1) | instskip(SKIP_2) | instid1(VALU_DEP_2)
	v_ashrrev_i32_e32 v14, 31, v13
	v_add_co_u32 v13, vcc_lo, v19, v13
	s_wait_alu 0xfffd
	v_add_co_ci_u32_e64 v14, null, v20, v14, vcc_lo
; %bb.73:
	s_wait_alu 0xfffe
	s_and_not1_saveexec_b32 s0, s0
; %bb.74:
	v_add_co_u32 v13, vcc_lo, v15, v0
	s_wait_alu 0xfffd
	v_add_co_ci_u32_e64 v14, null, 0, v17, vcc_lo
; %bb.75:
	s_wait_alu 0xfffe
	s_or_b32 exec_lo, exec_lo, s0
	s_delay_alu instid0(VALU_DEP_1) | instskip(SKIP_1) | instid1(VALU_DEP_1)
	v_lshlrev_b64_e32 v[13:14], 2, v[13:14]
	s_mov_b32 s0, exec_lo
	v_add_co_u32 v13, vcc_lo, s10, v13
	s_wait_alu 0xfffd
	s_delay_alu instid0(VALU_DEP_2)
	v_add_co_ci_u32_e64 v14, null, s11, v14, vcc_lo
	s_wait_dscnt 0x6
	global_store_b32 v[13:14], v11, off
                                        ; implicit-def: $vgpr13_vgpr14
	v_cmpx_ge_u32_e64 v41, v16
	s_wait_alu 0xfffe
	s_xor_b32 s0, exec_lo, s0
; %bb.76:
	v_xor_b32_e32 v13, 0xfffffeff, v0
	s_delay_alu instid0(VALU_DEP_1) | instskip(SKIP_2) | instid1(VALU_DEP_2)
	v_ashrrev_i32_e32 v14, 31, v13
	v_add_co_u32 v13, vcc_lo, v19, v13
	s_wait_alu 0xfffd
	v_add_co_ci_u32_e64 v14, null, v20, v14, vcc_lo
; %bb.77:
	s_wait_alu 0xfffe
	s_and_not1_saveexec_b32 s0, s0
; %bb.78:
	v_add_co_u32 v13, vcc_lo, v15, v41
	s_wait_alu 0xfffd
	v_add_co_ci_u32_e64 v14, null, 0, v17, vcc_lo
; %bb.79:
	s_wait_alu 0xfffe
	s_or_b32 exec_lo, exec_lo, s0
	s_delay_alu instid0(VALU_DEP_1) | instskip(SKIP_1) | instid1(VALU_DEP_1)
	v_lshlrev_b64_e32 v[13:14], 2, v[13:14]
	s_mov_b32 s0, exec_lo
	v_add_co_u32 v13, vcc_lo, s10, v13
	s_wait_alu 0xfffd
	s_delay_alu instid0(VALU_DEP_2)
	v_add_co_ci_u32_e64 v14, null, s11, v14, vcc_lo
	global_store_b32 v[13:14], v12, off
                                        ; implicit-def: $vgpr13_vgpr14
	v_cmpx_ge_u32_e64 v40, v16
	s_wait_alu 0xfffe
	s_xor_b32 s0, exec_lo, s0
; %bb.80:
	v_xor_b32_e32 v13, 0xfffffdff, v0
	s_delay_alu instid0(VALU_DEP_1) | instskip(SKIP_2) | instid1(VALU_DEP_2)
	v_ashrrev_i32_e32 v14, 31, v13
	v_add_co_u32 v13, vcc_lo, v19, v13
	s_wait_alu 0xfffd
	v_add_co_ci_u32_e64 v14, null, v20, v14, vcc_lo
; %bb.81:
	s_wait_alu 0xfffe
	s_and_not1_saveexec_b32 s0, s0
; %bb.82:
	v_add_co_u32 v13, vcc_lo, v15, v40
	s_wait_alu 0xfffd
	v_add_co_ci_u32_e64 v14, null, 0, v17, vcc_lo
; %bb.83:
	s_wait_alu 0xfffe
	s_or_b32 exec_lo, exec_lo, s0
	s_delay_alu instid0(VALU_DEP_1) | instskip(SKIP_1) | instid1(VALU_DEP_1)
	v_lshlrev_b64_e32 v[13:14], 2, v[13:14]
	s_mov_b32 s0, exec_lo
	v_add_co_u32 v13, vcc_lo, s10, v13
	s_wait_alu 0xfffd
	s_delay_alu instid0(VALU_DEP_2)
	v_add_co_ci_u32_e64 v14, null, s11, v14, vcc_lo
	s_wait_dscnt 0x5
	global_store_b32 v[13:14], v9, off
                                        ; implicit-def: $vgpr13_vgpr14
	v_cmpx_ge_u32_e64 v39, v16
	s_wait_alu 0xfffe
	s_xor_b32 s0, exec_lo, s0
; %bb.84:
	v_xor_b32_e32 v13, 0xfffffcff, v0
	s_delay_alu instid0(VALU_DEP_1) | instskip(SKIP_2) | instid1(VALU_DEP_2)
	v_ashrrev_i32_e32 v14, 31, v13
	v_add_co_u32 v13, vcc_lo, v19, v13
	s_wait_alu 0xfffd
	v_add_co_ci_u32_e64 v14, null, v20, v14, vcc_lo
; %bb.85:
	s_wait_alu 0xfffe
	s_and_not1_saveexec_b32 s0, s0
; %bb.86:
	v_add_co_u32 v13, vcc_lo, v15, v39
	s_wait_alu 0xfffd
	v_add_co_ci_u32_e64 v14, null, 0, v17, vcc_lo
; %bb.87:
	s_wait_alu 0xfffe
	s_or_b32 exec_lo, exec_lo, s0
	s_delay_alu instid0(VALU_DEP_1) | instskip(SKIP_1) | instid1(VALU_DEP_1)
	v_lshlrev_b64_e32 v[13:14], 2, v[13:14]
	s_mov_b32 s0, exec_lo
	v_add_co_u32 v13, vcc_lo, s10, v13
	s_wait_alu 0xfffd
	s_delay_alu instid0(VALU_DEP_2)
	v_add_co_ci_u32_e64 v14, null, s11, v14, vcc_lo
	global_store_b32 v[13:14], v10, off
                                        ; implicit-def: $vgpr13_vgpr14
	v_cmpx_ge_u32_e64 v38, v16
	s_wait_alu 0xfffe
	s_xor_b32 s0, exec_lo, s0
; %bb.88:
	v_xor_b32_e32 v13, 0xfffffbff, v0
	;; [unrolled: 59-line block ×6, first 2 shown]
	s_delay_alu instid0(VALU_DEP_1) | instskip(SKIP_2) | instid1(VALU_DEP_2)
	v_ashrrev_i32_e32 v14, 31, v13
	v_add_co_u32 v13, vcc_lo, v19, v13
	s_wait_alu 0xfffd
	v_add_co_ci_u32_e64 v14, null, v20, v14, vcc_lo
; %bb.121:
	s_wait_alu 0xfffe
	s_and_not1_saveexec_b32 s0, s0
; %bb.122:
	v_add_co_u32 v13, vcc_lo, v15, v30
	s_wait_alu 0xfffd
	v_add_co_ci_u32_e64 v14, null, 0, v17, vcc_lo
; %bb.123:
	s_wait_alu 0xfffe
	s_or_b32 exec_lo, exec_lo, s0
	s_mov_b32 s0, -1
	s_branch .LBB470_204
.LBB470_124:
	s_mov_b32 s0, 0
                                        ; implicit-def: $vgpr13_vgpr14
	s_cbranch_execz .LBB470_204
; %bb.125:
	s_mov_b32 s17, 0
	s_delay_alu instid0(SALU_CYCLE_1)
	s_add_nc_u64 s[2:3], s[12:13], s[16:17]
	s_wait_alu 0xfffe
	s_sub_nc_u64 s[2:3], s[14:15], s[2:3]
	s_wait_alu 0xfffe
	v_add_co_u32 v13, s1, s2, v16
	s_wait_alu 0xf1ff
	v_add_co_ci_u32_e64 v14, null, s3, 0, s1
	s_mov_b32 s1, exec_lo
	v_add_co_u32 v19, vcc_lo, v13, v15
	s_wait_alu 0xfffd
	v_add_co_ci_u32_e64 v20, null, v14, v17, vcc_lo
	v_cmpx_gt_u32_e64 s23, v0
	s_cbranch_execz .LBB470_161
; %bb.126:
	s_mov_b32 s2, exec_lo
                                        ; implicit-def: $vgpr13_vgpr14
	v_cmpx_ge_u32_e64 v0, v16
	s_wait_alu 0xfffe
	s_xor_b32 s2, exec_lo, s2
; %bb.127:
	v_not_b32_e32 v13, v0
	s_delay_alu instid0(VALU_DEP_1) | instskip(SKIP_2) | instid1(VALU_DEP_2)
	v_ashrrev_i32_e32 v14, 31, v13
	v_add_co_u32 v13, vcc_lo, v19, v13
	s_wait_alu 0xfffd
	v_add_co_ci_u32_e64 v14, null, v20, v14, vcc_lo
; %bb.128:
	s_wait_alu 0xfffe
	s_and_not1_saveexec_b32 s2, s2
; %bb.129:
	v_add_co_u32 v13, vcc_lo, v15, v0
	s_wait_alu 0xfffd
	v_add_co_ci_u32_e64 v14, null, 0, v17, vcc_lo
; %bb.130:
	s_wait_alu 0xfffe
	s_or_b32 exec_lo, exec_lo, s2
	s_delay_alu instid0(VALU_DEP_1) | instskip(NEXT) | instid1(VALU_DEP_1)
	v_lshlrev_b64_e32 v[13:14], 2, v[13:14]
	v_add_co_u32 v13, vcc_lo, s10, v13
	s_wait_alu 0xfffd
	s_delay_alu instid0(VALU_DEP_2) | instskip(SKIP_3) | instid1(SALU_CYCLE_1)
	v_add_co_ci_u32_e64 v14, null, s11, v14, vcc_lo
	s_wait_dscnt 0x6
	global_store_b32 v[13:14], v11, off
	s_or_b32 exec_lo, exec_lo, s1
	s_mov_b32 s1, exec_lo
	v_cmpx_gt_u32_e64 s23, v41
	s_cbranch_execnz .LBB470_162
.LBB470_131:
	s_wait_alu 0xfffe
	s_or_b32 exec_lo, exec_lo, s1
	s_delay_alu instid0(SALU_CYCLE_1)
	s_mov_b32 s1, exec_lo
	v_cmpx_gt_u32_e64 s23, v40
	s_cbranch_execz .LBB470_167
.LBB470_132:
	s_mov_b32 s2, exec_lo
                                        ; implicit-def: $vgpr11_vgpr12
	v_cmpx_ge_u32_e64 v40, v16
	s_wait_alu 0xfffe
	s_xor_b32 s2, exec_lo, s2
	s_cbranch_execz .LBB470_134
; %bb.133:
	s_wait_dscnt 0x6
	v_xor_b32_e32 v11, 0xfffffdff, v0
                                        ; implicit-def: $vgpr40
	s_delay_alu instid0(VALU_DEP_1) | instskip(SKIP_2) | instid1(VALU_DEP_2)
	v_ashrrev_i32_e32 v12, 31, v11
	v_add_co_u32 v11, vcc_lo, v19, v11
	s_wait_alu 0xfffd
	v_add_co_ci_u32_e64 v12, null, v20, v12, vcc_lo
.LBB470_134:
	s_wait_alu 0xfffe
	s_and_not1_saveexec_b32 s2, s2
	s_cbranch_execz .LBB470_136
; %bb.135:
	s_wait_dscnt 0x6
	v_add_co_u32 v11, vcc_lo, v15, v40
	s_wait_alu 0xfffd
	v_add_co_ci_u32_e64 v12, null, 0, v17, vcc_lo
.LBB470_136:
	s_wait_alu 0xfffe
	s_or_b32 exec_lo, exec_lo, s2
	s_wait_dscnt 0x6
	s_delay_alu instid0(VALU_DEP_1) | instskip(NEXT) | instid1(VALU_DEP_1)
	v_lshlrev_b64_e32 v[11:12], 2, v[11:12]
	v_add_co_u32 v11, vcc_lo, s10, v11
	s_wait_alu 0xfffd
	s_delay_alu instid0(VALU_DEP_2) | instskip(SKIP_3) | instid1(SALU_CYCLE_1)
	v_add_co_ci_u32_e64 v12, null, s11, v12, vcc_lo
	s_wait_dscnt 0x5
	global_store_b32 v[11:12], v9, off
	s_or_b32 exec_lo, exec_lo, s1
	s_mov_b32 s1, exec_lo
	v_cmpx_gt_u32_e64 s23, v39
	s_cbranch_execnz .LBB470_168
.LBB470_137:
	s_wait_alu 0xfffe
	s_or_b32 exec_lo, exec_lo, s1
	s_delay_alu instid0(SALU_CYCLE_1)
	s_mov_b32 s1, exec_lo
	v_cmpx_gt_u32_e64 s23, v38
	s_cbranch_execz .LBB470_173
.LBB470_138:
	s_mov_b32 s2, exec_lo
                                        ; implicit-def: $vgpr9_vgpr10
	v_cmpx_ge_u32_e64 v38, v16
	s_wait_alu 0xfffe
	s_xor_b32 s2, exec_lo, s2
	s_cbranch_execz .LBB470_140
; %bb.139:
	s_wait_dscnt 0x5
	v_xor_b32_e32 v9, 0xfffffbff, v0
                                        ; implicit-def: $vgpr38
	s_delay_alu instid0(VALU_DEP_1) | instskip(SKIP_2) | instid1(VALU_DEP_2)
	v_ashrrev_i32_e32 v10, 31, v9
	v_add_co_u32 v9, vcc_lo, v19, v9
	s_wait_alu 0xfffd
	v_add_co_ci_u32_e64 v10, null, v20, v10, vcc_lo
.LBB470_140:
	s_wait_alu 0xfffe
	s_and_not1_saveexec_b32 s2, s2
	s_cbranch_execz .LBB470_142
; %bb.141:
	s_wait_dscnt 0x5
	v_add_co_u32 v9, vcc_lo, v15, v38
	s_wait_alu 0xfffd
	v_add_co_ci_u32_e64 v10, null, 0, v17, vcc_lo
.LBB470_142:
	s_wait_alu 0xfffe
	s_or_b32 exec_lo, exec_lo, s2
	s_wait_dscnt 0x5
	s_delay_alu instid0(VALU_DEP_1) | instskip(NEXT) | instid1(VALU_DEP_1)
	v_lshlrev_b64_e32 v[9:10], 2, v[9:10]
	v_add_co_u32 v9, vcc_lo, s10, v9
	s_wait_alu 0xfffd
	s_delay_alu instid0(VALU_DEP_2) | instskip(SKIP_3) | instid1(SALU_CYCLE_1)
	v_add_co_ci_u32_e64 v10, null, s11, v10, vcc_lo
	s_wait_dscnt 0x4
	global_store_b32 v[9:10], v7, off
	s_or_b32 exec_lo, exec_lo, s1
	s_mov_b32 s1, exec_lo
	v_cmpx_gt_u32_e64 s23, v37
	s_cbranch_execnz .LBB470_174
.LBB470_143:
	s_wait_alu 0xfffe
	s_or_b32 exec_lo, exec_lo, s1
	s_delay_alu instid0(SALU_CYCLE_1)
	s_mov_b32 s1, exec_lo
	v_cmpx_gt_u32_e64 s23, v36
	s_cbranch_execz .LBB470_179
.LBB470_144:
	s_mov_b32 s2, exec_lo
                                        ; implicit-def: $vgpr7_vgpr8
	v_cmpx_ge_u32_e64 v36, v16
	s_wait_alu 0xfffe
	s_xor_b32 s2, exec_lo, s2
	s_cbranch_execz .LBB470_146
; %bb.145:
	s_wait_dscnt 0x4
	v_xor_b32_e32 v7, 0xfffff9ff, v0
                                        ; implicit-def: $vgpr36
	s_delay_alu instid0(VALU_DEP_1) | instskip(SKIP_2) | instid1(VALU_DEP_2)
	v_ashrrev_i32_e32 v8, 31, v7
	v_add_co_u32 v7, vcc_lo, v19, v7
	s_wait_alu 0xfffd
	v_add_co_ci_u32_e64 v8, null, v20, v8, vcc_lo
.LBB470_146:
	s_wait_alu 0xfffe
	s_and_not1_saveexec_b32 s2, s2
	s_cbranch_execz .LBB470_148
; %bb.147:
	s_wait_dscnt 0x4
	v_add_co_u32 v7, vcc_lo, v15, v36
	s_wait_alu 0xfffd
	v_add_co_ci_u32_e64 v8, null, 0, v17, vcc_lo
.LBB470_148:
	s_wait_alu 0xfffe
	s_or_b32 exec_lo, exec_lo, s2
	s_wait_dscnt 0x4
	s_delay_alu instid0(VALU_DEP_1) | instskip(NEXT) | instid1(VALU_DEP_1)
	v_lshlrev_b64_e32 v[7:8], 2, v[7:8]
	v_add_co_u32 v7, vcc_lo, s10, v7
	s_wait_alu 0xfffd
	s_delay_alu instid0(VALU_DEP_2) | instskip(SKIP_3) | instid1(SALU_CYCLE_1)
	v_add_co_ci_u32_e64 v8, null, s11, v8, vcc_lo
	s_wait_dscnt 0x3
	global_store_b32 v[7:8], v5, off
	s_or_b32 exec_lo, exec_lo, s1
	s_mov_b32 s1, exec_lo
	v_cmpx_gt_u32_e64 s23, v35
	s_cbranch_execnz .LBB470_180
.LBB470_149:
	s_wait_alu 0xfffe
	s_or_b32 exec_lo, exec_lo, s1
	s_delay_alu instid0(SALU_CYCLE_1)
	s_mov_b32 s1, exec_lo
	v_cmpx_gt_u32_e64 s23, v34
	s_cbranch_execz .LBB470_185
.LBB470_150:
	s_mov_b32 s2, exec_lo
                                        ; implicit-def: $vgpr5_vgpr6
	v_cmpx_ge_u32_e64 v34, v16
	s_wait_alu 0xfffe
	s_xor_b32 s2, exec_lo, s2
	s_cbranch_execz .LBB470_152
; %bb.151:
	s_wait_dscnt 0x3
	v_xor_b32_e32 v5, 0xfffff7ff, v0
                                        ; implicit-def: $vgpr34
	s_delay_alu instid0(VALU_DEP_1) | instskip(SKIP_2) | instid1(VALU_DEP_2)
	v_ashrrev_i32_e32 v6, 31, v5
	v_add_co_u32 v5, vcc_lo, v19, v5
	s_wait_alu 0xfffd
	v_add_co_ci_u32_e64 v6, null, v20, v6, vcc_lo
.LBB470_152:
	s_wait_alu 0xfffe
	s_and_not1_saveexec_b32 s2, s2
	s_cbranch_execz .LBB470_154
; %bb.153:
	s_wait_dscnt 0x3
	v_add_co_u32 v5, vcc_lo, v15, v34
	s_wait_alu 0xfffd
	v_add_co_ci_u32_e64 v6, null, 0, v17, vcc_lo
.LBB470_154:
	s_wait_alu 0xfffe
	s_or_b32 exec_lo, exec_lo, s2
	s_wait_dscnt 0x3
	s_delay_alu instid0(VALU_DEP_1) | instskip(NEXT) | instid1(VALU_DEP_1)
	v_lshlrev_b64_e32 v[5:6], 2, v[5:6]
	v_add_co_u32 v5, vcc_lo, s10, v5
	s_wait_alu 0xfffd
	s_delay_alu instid0(VALU_DEP_2) | instskip(SKIP_3) | instid1(SALU_CYCLE_1)
	v_add_co_ci_u32_e64 v6, null, s11, v6, vcc_lo
	s_wait_dscnt 0x2
	global_store_b32 v[5:6], v3, off
	s_or_b32 exec_lo, exec_lo, s1
	s_mov_b32 s1, exec_lo
	v_cmpx_gt_u32_e64 s23, v33
	s_cbranch_execnz .LBB470_186
.LBB470_155:
	s_wait_alu 0xfffe
	s_or_b32 exec_lo, exec_lo, s1
	s_delay_alu instid0(SALU_CYCLE_1)
	s_mov_b32 s1, exec_lo
	v_cmpx_gt_u32_e64 s23, v32
	s_cbranch_execz .LBB470_191
.LBB470_156:
	s_mov_b32 s2, exec_lo
                                        ; implicit-def: $vgpr3_vgpr4
	v_cmpx_ge_u32_e64 v32, v16
	s_wait_alu 0xfffe
	s_xor_b32 s2, exec_lo, s2
	s_cbranch_execz .LBB470_158
; %bb.157:
	s_wait_dscnt 0x2
	v_xor_b32_e32 v3, 0xfffff5ff, v0
                                        ; implicit-def: $vgpr32
	s_delay_alu instid0(VALU_DEP_1) | instskip(SKIP_2) | instid1(VALU_DEP_2)
	v_ashrrev_i32_e32 v4, 31, v3
	v_add_co_u32 v3, vcc_lo, v19, v3
	s_wait_alu 0xfffd
	v_add_co_ci_u32_e64 v4, null, v20, v4, vcc_lo
.LBB470_158:
	s_wait_alu 0xfffe
	s_and_not1_saveexec_b32 s2, s2
	s_cbranch_execz .LBB470_160
; %bb.159:
	s_wait_dscnt 0x2
	v_add_co_u32 v3, vcc_lo, v15, v32
	s_wait_alu 0xfffd
	v_add_co_ci_u32_e64 v4, null, 0, v17, vcc_lo
.LBB470_160:
	s_wait_alu 0xfffe
	s_or_b32 exec_lo, exec_lo, s2
	s_wait_dscnt 0x2
	s_delay_alu instid0(VALU_DEP_1) | instskip(NEXT) | instid1(VALU_DEP_1)
	v_lshlrev_b64_e32 v[3:4], 2, v[3:4]
	v_add_co_u32 v3, vcc_lo, s10, v3
	s_wait_alu 0xfffd
	s_delay_alu instid0(VALU_DEP_2) | instskip(SKIP_3) | instid1(SALU_CYCLE_1)
	v_add_co_ci_u32_e64 v4, null, s11, v4, vcc_lo
	s_wait_dscnt 0x1
	global_store_b32 v[3:4], v1, off
	s_or_b32 exec_lo, exec_lo, s1
	s_mov_b32 s1, exec_lo
	v_cmpx_gt_u32_e64 s23, v31
	s_cbranch_execz .LBB470_197
	s_branch .LBB470_192
.LBB470_161:
	s_wait_alu 0xfffe
	s_or_b32 exec_lo, exec_lo, s1
	s_delay_alu instid0(SALU_CYCLE_1)
	s_mov_b32 s1, exec_lo
	v_cmpx_gt_u32_e64 s23, v41
	s_cbranch_execz .LBB470_131
.LBB470_162:
	s_mov_b32 s2, exec_lo
                                        ; implicit-def: $vgpr13_vgpr14
	v_cmpx_ge_u32_e64 v41, v16
	s_wait_alu 0xfffe
	s_xor_b32 s2, exec_lo, s2
	s_cbranch_execz .LBB470_164
; %bb.163:
	s_wait_dscnt 0x6
	v_xor_b32_e32 v11, 0xfffffeff, v0
                                        ; implicit-def: $vgpr41
	s_delay_alu instid0(VALU_DEP_1) | instskip(SKIP_2) | instid1(VALU_DEP_2)
	v_ashrrev_i32_e32 v14, 31, v11
	v_add_co_u32 v13, vcc_lo, v19, v11
	s_wait_alu 0xfffd
	v_add_co_ci_u32_e64 v14, null, v20, v14, vcc_lo
.LBB470_164:
	s_wait_alu 0xfffe
	s_and_not1_saveexec_b32 s2, s2
; %bb.165:
	v_add_co_u32 v13, vcc_lo, v15, v41
	s_wait_alu 0xfffd
	v_add_co_ci_u32_e64 v14, null, 0, v17, vcc_lo
; %bb.166:
	s_wait_alu 0xfffe
	s_or_b32 exec_lo, exec_lo, s2
	s_delay_alu instid0(VALU_DEP_1) | instskip(NEXT) | instid1(VALU_DEP_1)
	v_lshlrev_b64_e32 v[13:14], 2, v[13:14]
	v_add_co_u32 v13, vcc_lo, s10, v13
	s_wait_alu 0xfffd
	s_delay_alu instid0(VALU_DEP_2) | instskip(SKIP_3) | instid1(SALU_CYCLE_1)
	v_add_co_ci_u32_e64 v14, null, s11, v14, vcc_lo
	s_wait_dscnt 0x6
	global_store_b32 v[13:14], v12, off
	s_or_b32 exec_lo, exec_lo, s1
	s_mov_b32 s1, exec_lo
	v_cmpx_gt_u32_e64 s23, v40
	s_cbranch_execnz .LBB470_132
.LBB470_167:
	s_wait_alu 0xfffe
	s_or_b32 exec_lo, exec_lo, s1
	s_delay_alu instid0(SALU_CYCLE_1)
	s_mov_b32 s1, exec_lo
	v_cmpx_gt_u32_e64 s23, v39
	s_cbranch_execz .LBB470_137
.LBB470_168:
	s_mov_b32 s2, exec_lo
                                        ; implicit-def: $vgpr11_vgpr12
	v_cmpx_ge_u32_e64 v39, v16
	s_wait_alu 0xfffe
	s_xor_b32 s2, exec_lo, s2
	s_cbranch_execz .LBB470_170
; %bb.169:
	s_wait_dscnt 0x5
	v_xor_b32_e32 v9, 0xfffffcff, v0
                                        ; implicit-def: $vgpr39
	s_delay_alu instid0(VALU_DEP_1) | instskip(SKIP_2) | instid1(VALU_DEP_2)
	v_ashrrev_i32_e32 v12, 31, v9
	v_add_co_u32 v11, vcc_lo, v19, v9
	s_wait_alu 0xfffd
	v_add_co_ci_u32_e64 v12, null, v20, v12, vcc_lo
.LBB470_170:
	s_wait_alu 0xfffe
	s_and_not1_saveexec_b32 s2, s2
	s_cbranch_execz .LBB470_172
; %bb.171:
	s_wait_dscnt 0x6
	v_add_co_u32 v11, vcc_lo, v15, v39
	s_wait_alu 0xfffd
	v_add_co_ci_u32_e64 v12, null, 0, v17, vcc_lo
.LBB470_172:
	s_wait_alu 0xfffe
	s_or_b32 exec_lo, exec_lo, s2
	s_wait_dscnt 0x6
	s_delay_alu instid0(VALU_DEP_1) | instskip(NEXT) | instid1(VALU_DEP_1)
	v_lshlrev_b64_e32 v[11:12], 2, v[11:12]
	v_add_co_u32 v11, vcc_lo, s10, v11
	s_wait_alu 0xfffd
	s_delay_alu instid0(VALU_DEP_2) | instskip(SKIP_3) | instid1(SALU_CYCLE_1)
	v_add_co_ci_u32_e64 v12, null, s11, v12, vcc_lo
	s_wait_dscnt 0x5
	global_store_b32 v[11:12], v10, off
	s_or_b32 exec_lo, exec_lo, s1
	s_mov_b32 s1, exec_lo
	v_cmpx_gt_u32_e64 s23, v38
	s_cbranch_execnz .LBB470_138
.LBB470_173:
	s_wait_alu 0xfffe
	s_or_b32 exec_lo, exec_lo, s1
	s_delay_alu instid0(SALU_CYCLE_1)
	s_mov_b32 s1, exec_lo
	v_cmpx_gt_u32_e64 s23, v37
	s_cbranch_execz .LBB470_143
.LBB470_174:
	s_mov_b32 s2, exec_lo
                                        ; implicit-def: $vgpr9_vgpr10
	v_cmpx_ge_u32_e64 v37, v16
	s_wait_alu 0xfffe
	s_xor_b32 s2, exec_lo, s2
	s_cbranch_execz .LBB470_176
; %bb.175:
	s_wait_dscnt 0x4
	v_xor_b32_e32 v7, 0xfffffaff, v0
                                        ; implicit-def: $vgpr37
	s_delay_alu instid0(VALU_DEP_1) | instskip(SKIP_2) | instid1(VALU_DEP_2)
	v_ashrrev_i32_e32 v10, 31, v7
	v_add_co_u32 v9, vcc_lo, v19, v7
	s_wait_alu 0xfffd
	v_add_co_ci_u32_e64 v10, null, v20, v10, vcc_lo
.LBB470_176:
	s_wait_alu 0xfffe
	s_and_not1_saveexec_b32 s2, s2
	s_cbranch_execz .LBB470_178
; %bb.177:
	s_wait_dscnt 0x5
	v_add_co_u32 v9, vcc_lo, v15, v37
	s_wait_alu 0xfffd
	v_add_co_ci_u32_e64 v10, null, 0, v17, vcc_lo
.LBB470_178:
	s_wait_alu 0xfffe
	s_or_b32 exec_lo, exec_lo, s2
	s_wait_dscnt 0x5
	s_delay_alu instid0(VALU_DEP_1) | instskip(NEXT) | instid1(VALU_DEP_1)
	v_lshlrev_b64_e32 v[9:10], 2, v[9:10]
	v_add_co_u32 v9, vcc_lo, s10, v9
	s_wait_alu 0xfffd
	s_delay_alu instid0(VALU_DEP_2) | instskip(SKIP_3) | instid1(SALU_CYCLE_1)
	v_add_co_ci_u32_e64 v10, null, s11, v10, vcc_lo
	s_wait_dscnt 0x4
	global_store_b32 v[9:10], v8, off
	s_or_b32 exec_lo, exec_lo, s1
	s_mov_b32 s1, exec_lo
	v_cmpx_gt_u32_e64 s23, v36
	s_cbranch_execnz .LBB470_144
.LBB470_179:
	s_wait_alu 0xfffe
	s_or_b32 exec_lo, exec_lo, s1
	s_delay_alu instid0(SALU_CYCLE_1)
	s_mov_b32 s1, exec_lo
	v_cmpx_gt_u32_e64 s23, v35
	s_cbranch_execz .LBB470_149
.LBB470_180:
	s_mov_b32 s2, exec_lo
                                        ; implicit-def: $vgpr7_vgpr8
	v_cmpx_ge_u32_e64 v35, v16
	s_wait_alu 0xfffe
	s_xor_b32 s2, exec_lo, s2
	s_cbranch_execz .LBB470_182
; %bb.181:
	s_wait_dscnt 0x3
	v_xor_b32_e32 v5, 0xfffff8ff, v0
                                        ; implicit-def: $vgpr35
	s_delay_alu instid0(VALU_DEP_1) | instskip(SKIP_2) | instid1(VALU_DEP_2)
	v_ashrrev_i32_e32 v8, 31, v5
	v_add_co_u32 v7, vcc_lo, v19, v5
	s_wait_alu 0xfffd
	v_add_co_ci_u32_e64 v8, null, v20, v8, vcc_lo
.LBB470_182:
	s_wait_alu 0xfffe
	s_and_not1_saveexec_b32 s2, s2
	s_cbranch_execz .LBB470_184
; %bb.183:
	s_wait_dscnt 0x4
	v_add_co_u32 v7, vcc_lo, v15, v35
	s_wait_alu 0xfffd
	v_add_co_ci_u32_e64 v8, null, 0, v17, vcc_lo
.LBB470_184:
	s_wait_alu 0xfffe
	s_or_b32 exec_lo, exec_lo, s2
	s_wait_dscnt 0x4
	s_delay_alu instid0(VALU_DEP_1) | instskip(NEXT) | instid1(VALU_DEP_1)
	v_lshlrev_b64_e32 v[7:8], 2, v[7:8]
	v_add_co_u32 v7, vcc_lo, s10, v7
	s_wait_alu 0xfffd
	s_delay_alu instid0(VALU_DEP_2) | instskip(SKIP_3) | instid1(SALU_CYCLE_1)
	v_add_co_ci_u32_e64 v8, null, s11, v8, vcc_lo
	s_wait_dscnt 0x3
	global_store_b32 v[7:8], v6, off
	s_or_b32 exec_lo, exec_lo, s1
	s_mov_b32 s1, exec_lo
	v_cmpx_gt_u32_e64 s23, v34
	s_cbranch_execnz .LBB470_150
.LBB470_185:
	s_wait_alu 0xfffe
	s_or_b32 exec_lo, exec_lo, s1
	s_delay_alu instid0(SALU_CYCLE_1)
	s_mov_b32 s1, exec_lo
	v_cmpx_gt_u32_e64 s23, v33
	s_cbranch_execz .LBB470_155
.LBB470_186:
	s_mov_b32 s2, exec_lo
                                        ; implicit-def: $vgpr5_vgpr6
	v_cmpx_ge_u32_e64 v33, v16
	s_wait_alu 0xfffe
	s_xor_b32 s2, exec_lo, s2
	s_cbranch_execz .LBB470_188
; %bb.187:
	s_wait_dscnt 0x2
	v_xor_b32_e32 v3, 0xfffff6ff, v0
                                        ; implicit-def: $vgpr33
	s_delay_alu instid0(VALU_DEP_1) | instskip(SKIP_2) | instid1(VALU_DEP_2)
	v_ashrrev_i32_e32 v6, 31, v3
	v_add_co_u32 v5, vcc_lo, v19, v3
	s_wait_alu 0xfffd
	v_add_co_ci_u32_e64 v6, null, v20, v6, vcc_lo
.LBB470_188:
	s_wait_alu 0xfffe
	s_and_not1_saveexec_b32 s2, s2
	s_cbranch_execz .LBB470_190
; %bb.189:
	s_wait_dscnt 0x3
	v_add_co_u32 v5, vcc_lo, v15, v33
	s_wait_alu 0xfffd
	v_add_co_ci_u32_e64 v6, null, 0, v17, vcc_lo
.LBB470_190:
	s_wait_alu 0xfffe
	s_or_b32 exec_lo, exec_lo, s2
	s_wait_dscnt 0x3
	s_delay_alu instid0(VALU_DEP_1) | instskip(NEXT) | instid1(VALU_DEP_1)
	v_lshlrev_b64_e32 v[5:6], 2, v[5:6]
	v_add_co_u32 v5, vcc_lo, s10, v5
	s_wait_alu 0xfffd
	s_delay_alu instid0(VALU_DEP_2) | instskip(SKIP_3) | instid1(SALU_CYCLE_1)
	v_add_co_ci_u32_e64 v6, null, s11, v6, vcc_lo
	s_wait_dscnt 0x2
	global_store_b32 v[5:6], v4, off
	s_or_b32 exec_lo, exec_lo, s1
	s_mov_b32 s1, exec_lo
	v_cmpx_gt_u32_e64 s23, v32
	s_cbranch_execnz .LBB470_156
.LBB470_191:
	s_wait_alu 0xfffe
	s_or_b32 exec_lo, exec_lo, s1
	s_delay_alu instid0(SALU_CYCLE_1)
	s_mov_b32 s1, exec_lo
	v_cmpx_gt_u32_e64 s23, v31
	s_cbranch_execz .LBB470_197
.LBB470_192:
	s_mov_b32 s2, exec_lo
                                        ; implicit-def: $vgpr3_vgpr4
	v_cmpx_ge_u32_e64 v31, v16
	s_wait_alu 0xfffe
	s_xor_b32 s2, exec_lo, s2
	s_cbranch_execz .LBB470_194
; %bb.193:
	s_wait_dscnt 0x1
	v_xor_b32_e32 v1, 0xfffff4ff, v0
                                        ; implicit-def: $vgpr31
	s_delay_alu instid0(VALU_DEP_1) | instskip(SKIP_2) | instid1(VALU_DEP_2)
	v_ashrrev_i32_e32 v4, 31, v1
	v_add_co_u32 v3, vcc_lo, v19, v1
	s_wait_alu 0xfffd
	v_add_co_ci_u32_e64 v4, null, v20, v4, vcc_lo
.LBB470_194:
	s_wait_alu 0xfffe
	s_and_not1_saveexec_b32 s2, s2
	s_cbranch_execz .LBB470_196
; %bb.195:
	s_wait_dscnt 0x2
	v_add_co_u32 v3, vcc_lo, v15, v31
	s_wait_alu 0xfffd
	v_add_co_ci_u32_e64 v4, null, 0, v17, vcc_lo
.LBB470_196:
	s_wait_alu 0xfffe
	s_or_b32 exec_lo, exec_lo, s2
	s_wait_dscnt 0x2
	s_delay_alu instid0(VALU_DEP_1) | instskip(NEXT) | instid1(VALU_DEP_1)
	v_lshlrev_b64_e32 v[3:4], 2, v[3:4]
	v_add_co_u32 v3, vcc_lo, s10, v3
	s_wait_alu 0xfffd
	s_delay_alu instid0(VALU_DEP_2)
	v_add_co_ci_u32_e64 v4, null, s11, v4, vcc_lo
	s_wait_dscnt 0x1
	global_store_b32 v[3:4], v2, off
.LBB470_197:
	s_wait_alu 0xfffe
	s_or_b32 exec_lo, exec_lo, s1
	s_delay_alu instid0(SALU_CYCLE_1)
	s_mov_b32 s1, exec_lo
                                        ; implicit-def: $vgpr13_vgpr14
	v_cmpx_gt_u32_e64 s23, v30
	s_cbranch_execz .LBB470_203
; %bb.198:
	s_mov_b32 s2, exec_lo
                                        ; implicit-def: $vgpr13_vgpr14
	v_cmpx_ge_u32_e64 v30, v16
	s_wait_alu 0xfffe
	s_xor_b32 s2, exec_lo, s2
	s_cbranch_execz .LBB470_200
; %bb.199:
	s_wait_dscnt 0x1
	v_xor_b32_e32 v1, 0xfffff3ff, v0
                                        ; implicit-def: $vgpr30
	s_delay_alu instid0(VALU_DEP_1) | instskip(SKIP_2) | instid1(VALU_DEP_2)
	v_ashrrev_i32_e32 v2, 31, v1
	v_add_co_u32 v13, vcc_lo, v19, v1
	s_wait_alu 0xfffd
	v_add_co_ci_u32_e64 v14, null, v20, v2, vcc_lo
.LBB470_200:
	s_wait_alu 0xfffe
	s_and_not1_saveexec_b32 s2, s2
; %bb.201:
	v_add_co_u32 v13, vcc_lo, v15, v30
	s_wait_alu 0xfffd
	v_add_co_ci_u32_e64 v14, null, 0, v17, vcc_lo
; %bb.202:
	s_wait_alu 0xfffe
	s_or_b32 exec_lo, exec_lo, s2
	s_delay_alu instid0(SALU_CYCLE_1)
	s_or_b32 s0, s0, exec_lo
.LBB470_203:
	s_wait_alu 0xfffe
	s_or_b32 exec_lo, exec_lo, s1
.LBB470_204:
	s_wait_alu 0xfffe
	s_and_saveexec_b32 s1, s0
	s_cbranch_execz .LBB470_206
; %bb.205:
	s_wait_dscnt 0x1
	v_lshlrev_b64_e32 v[1:2], 2, v[13:14]
	s_delay_alu instid0(VALU_DEP_1) | instskip(SKIP_1) | instid1(VALU_DEP_2)
	v_add_co_u32 v1, vcc_lo, s10, v1
	s_wait_alu 0xfffd
	v_add_co_ci_u32_e64 v2, null, s11, v2, vcc_lo
	s_wait_dscnt 0x0
	global_store_b32 v[1:2], v18, off
.LBB470_206:
	s_wait_alu 0xfffe
	s_or_b32 exec_lo, exec_lo, s1
	v_cmp_eq_u32_e32 vcc_lo, 0, v0
	s_and_b32 s0, vcc_lo, s22
	s_wait_alu 0xfffe
	s_and_saveexec_b32 s1, s0
	s_cbranch_execz .LBB470_208
; %bb.207:
	v_add_co_u32 v0, vcc_lo, v15, v16
	s_wait_dscnt 0x1
	v_mov_b32_e32 v2, 0
	s_wait_alu 0xfffd
	v_add_co_ci_u32_e64 v1, null, 0, v17, vcc_lo
	global_store_b64 v2, v[0:1], s[8:9]
.LBB470_208:
	s_endpgm
	.section	.rodata,"a",@progbits
	.p2align	6, 0x0
	.amdhsa_kernel _ZN7rocprim17ROCPRIM_400000_NS6detail17trampoline_kernelINS0_13select_configILj256ELj13ELNS0_17block_load_methodE3ELS4_3ELS4_3ELNS0_20block_scan_algorithmE0ELj4294967295EEENS1_25partition_config_selectorILNS1_17partition_subalgoE3EjNS0_10empty_typeEbEEZZNS1_14partition_implILS8_3ELb0ES6_jNS0_17counting_iteratorIjlEEPS9_SE_NS0_5tupleIJPjSE_EEENSF_IJSE_SE_EEES9_SG_JZNS1_25segmented_radix_sort_implINS0_14default_configELb1EPKiPiPKlPlN2at6native12_GLOBAL__N_18offset_tEEE10hipError_tPvRmT1_PNSt15iterator_traitsISY_E10value_typeET2_T3_PNSZ_IS14_E10value_typeET4_jRbjT5_S1A_jjP12ihipStream_tbEUljE_EEESV_SW_SX_S14_S18_S1A_T6_T7_T9_mT8_S1C_bDpT10_ENKUlT_T0_E_clISt17integral_constantIbLb0EES1P_EEDaS1K_S1L_EUlS1K_E_NS1_11comp_targetILNS1_3genE10ELNS1_11target_archE1200ELNS1_3gpuE4ELNS1_3repE0EEENS1_30default_config_static_selectorELNS0_4arch9wavefront6targetE0EEEvSY_
		.amdhsa_group_segment_fixed_size 13320
		.amdhsa_private_segment_fixed_size 0
		.amdhsa_kernarg_size 144
		.amdhsa_user_sgpr_count 2
		.amdhsa_user_sgpr_dispatch_ptr 0
		.amdhsa_user_sgpr_queue_ptr 0
		.amdhsa_user_sgpr_kernarg_segment_ptr 1
		.amdhsa_user_sgpr_dispatch_id 0
		.amdhsa_user_sgpr_private_segment_size 0
		.amdhsa_wavefront_size32 1
		.amdhsa_uses_dynamic_stack 0
		.amdhsa_enable_private_segment 0
		.amdhsa_system_sgpr_workgroup_id_x 1
		.amdhsa_system_sgpr_workgroup_id_y 0
		.amdhsa_system_sgpr_workgroup_id_z 0
		.amdhsa_system_sgpr_workgroup_info 0
		.amdhsa_system_vgpr_workitem_id 0
		.amdhsa_next_free_vgpr 69
		.amdhsa_next_free_sgpr 26
		.amdhsa_reserve_vcc 1
		.amdhsa_float_round_mode_32 0
		.amdhsa_float_round_mode_16_64 0
		.amdhsa_float_denorm_mode_32 3
		.amdhsa_float_denorm_mode_16_64 3
		.amdhsa_fp16_overflow 0
		.amdhsa_workgroup_processor_mode 1
		.amdhsa_memory_ordered 1
		.amdhsa_forward_progress 1
		.amdhsa_inst_pref_size 84
		.amdhsa_round_robin_scheduling 0
		.amdhsa_exception_fp_ieee_invalid_op 0
		.amdhsa_exception_fp_denorm_src 0
		.amdhsa_exception_fp_ieee_div_zero 0
		.amdhsa_exception_fp_ieee_overflow 0
		.amdhsa_exception_fp_ieee_underflow 0
		.amdhsa_exception_fp_ieee_inexact 0
		.amdhsa_exception_int_div_zero 0
	.end_amdhsa_kernel
	.section	.text._ZN7rocprim17ROCPRIM_400000_NS6detail17trampoline_kernelINS0_13select_configILj256ELj13ELNS0_17block_load_methodE3ELS4_3ELS4_3ELNS0_20block_scan_algorithmE0ELj4294967295EEENS1_25partition_config_selectorILNS1_17partition_subalgoE3EjNS0_10empty_typeEbEEZZNS1_14partition_implILS8_3ELb0ES6_jNS0_17counting_iteratorIjlEEPS9_SE_NS0_5tupleIJPjSE_EEENSF_IJSE_SE_EEES9_SG_JZNS1_25segmented_radix_sort_implINS0_14default_configELb1EPKiPiPKlPlN2at6native12_GLOBAL__N_18offset_tEEE10hipError_tPvRmT1_PNSt15iterator_traitsISY_E10value_typeET2_T3_PNSZ_IS14_E10value_typeET4_jRbjT5_S1A_jjP12ihipStream_tbEUljE_EEESV_SW_SX_S14_S18_S1A_T6_T7_T9_mT8_S1C_bDpT10_ENKUlT_T0_E_clISt17integral_constantIbLb0EES1P_EEDaS1K_S1L_EUlS1K_E_NS1_11comp_targetILNS1_3genE10ELNS1_11target_archE1200ELNS1_3gpuE4ELNS1_3repE0EEENS1_30default_config_static_selectorELNS0_4arch9wavefront6targetE0EEEvSY_,"axG",@progbits,_ZN7rocprim17ROCPRIM_400000_NS6detail17trampoline_kernelINS0_13select_configILj256ELj13ELNS0_17block_load_methodE3ELS4_3ELS4_3ELNS0_20block_scan_algorithmE0ELj4294967295EEENS1_25partition_config_selectorILNS1_17partition_subalgoE3EjNS0_10empty_typeEbEEZZNS1_14partition_implILS8_3ELb0ES6_jNS0_17counting_iteratorIjlEEPS9_SE_NS0_5tupleIJPjSE_EEENSF_IJSE_SE_EEES9_SG_JZNS1_25segmented_radix_sort_implINS0_14default_configELb1EPKiPiPKlPlN2at6native12_GLOBAL__N_18offset_tEEE10hipError_tPvRmT1_PNSt15iterator_traitsISY_E10value_typeET2_T3_PNSZ_IS14_E10value_typeET4_jRbjT5_S1A_jjP12ihipStream_tbEUljE_EEESV_SW_SX_S14_S18_S1A_T6_T7_T9_mT8_S1C_bDpT10_ENKUlT_T0_E_clISt17integral_constantIbLb0EES1P_EEDaS1K_S1L_EUlS1K_E_NS1_11comp_targetILNS1_3genE10ELNS1_11target_archE1200ELNS1_3gpuE4ELNS1_3repE0EEENS1_30default_config_static_selectorELNS0_4arch9wavefront6targetE0EEEvSY_,comdat
.Lfunc_end470:
	.size	_ZN7rocprim17ROCPRIM_400000_NS6detail17trampoline_kernelINS0_13select_configILj256ELj13ELNS0_17block_load_methodE3ELS4_3ELS4_3ELNS0_20block_scan_algorithmE0ELj4294967295EEENS1_25partition_config_selectorILNS1_17partition_subalgoE3EjNS0_10empty_typeEbEEZZNS1_14partition_implILS8_3ELb0ES6_jNS0_17counting_iteratorIjlEEPS9_SE_NS0_5tupleIJPjSE_EEENSF_IJSE_SE_EEES9_SG_JZNS1_25segmented_radix_sort_implINS0_14default_configELb1EPKiPiPKlPlN2at6native12_GLOBAL__N_18offset_tEEE10hipError_tPvRmT1_PNSt15iterator_traitsISY_E10value_typeET2_T3_PNSZ_IS14_E10value_typeET4_jRbjT5_S1A_jjP12ihipStream_tbEUljE_EEESV_SW_SX_S14_S18_S1A_T6_T7_T9_mT8_S1C_bDpT10_ENKUlT_T0_E_clISt17integral_constantIbLb0EES1P_EEDaS1K_S1L_EUlS1K_E_NS1_11comp_targetILNS1_3genE10ELNS1_11target_archE1200ELNS1_3gpuE4ELNS1_3repE0EEENS1_30default_config_static_selectorELNS0_4arch9wavefront6targetE0EEEvSY_, .Lfunc_end470-_ZN7rocprim17ROCPRIM_400000_NS6detail17trampoline_kernelINS0_13select_configILj256ELj13ELNS0_17block_load_methodE3ELS4_3ELS4_3ELNS0_20block_scan_algorithmE0ELj4294967295EEENS1_25partition_config_selectorILNS1_17partition_subalgoE3EjNS0_10empty_typeEbEEZZNS1_14partition_implILS8_3ELb0ES6_jNS0_17counting_iteratorIjlEEPS9_SE_NS0_5tupleIJPjSE_EEENSF_IJSE_SE_EEES9_SG_JZNS1_25segmented_radix_sort_implINS0_14default_configELb1EPKiPiPKlPlN2at6native12_GLOBAL__N_18offset_tEEE10hipError_tPvRmT1_PNSt15iterator_traitsISY_E10value_typeET2_T3_PNSZ_IS14_E10value_typeET4_jRbjT5_S1A_jjP12ihipStream_tbEUljE_EEESV_SW_SX_S14_S18_S1A_T6_T7_T9_mT8_S1C_bDpT10_ENKUlT_T0_E_clISt17integral_constantIbLb0EES1P_EEDaS1K_S1L_EUlS1K_E_NS1_11comp_targetILNS1_3genE10ELNS1_11target_archE1200ELNS1_3gpuE4ELNS1_3repE0EEENS1_30default_config_static_selectorELNS0_4arch9wavefront6targetE0EEEvSY_
                                        ; -- End function
	.set _ZN7rocprim17ROCPRIM_400000_NS6detail17trampoline_kernelINS0_13select_configILj256ELj13ELNS0_17block_load_methodE3ELS4_3ELS4_3ELNS0_20block_scan_algorithmE0ELj4294967295EEENS1_25partition_config_selectorILNS1_17partition_subalgoE3EjNS0_10empty_typeEbEEZZNS1_14partition_implILS8_3ELb0ES6_jNS0_17counting_iteratorIjlEEPS9_SE_NS0_5tupleIJPjSE_EEENSF_IJSE_SE_EEES9_SG_JZNS1_25segmented_radix_sort_implINS0_14default_configELb1EPKiPiPKlPlN2at6native12_GLOBAL__N_18offset_tEEE10hipError_tPvRmT1_PNSt15iterator_traitsISY_E10value_typeET2_T3_PNSZ_IS14_E10value_typeET4_jRbjT5_S1A_jjP12ihipStream_tbEUljE_EEESV_SW_SX_S14_S18_S1A_T6_T7_T9_mT8_S1C_bDpT10_ENKUlT_T0_E_clISt17integral_constantIbLb0EES1P_EEDaS1K_S1L_EUlS1K_E_NS1_11comp_targetILNS1_3genE10ELNS1_11target_archE1200ELNS1_3gpuE4ELNS1_3repE0EEENS1_30default_config_static_selectorELNS0_4arch9wavefront6targetE0EEEvSY_.num_vgpr, 69
	.set _ZN7rocprim17ROCPRIM_400000_NS6detail17trampoline_kernelINS0_13select_configILj256ELj13ELNS0_17block_load_methodE3ELS4_3ELS4_3ELNS0_20block_scan_algorithmE0ELj4294967295EEENS1_25partition_config_selectorILNS1_17partition_subalgoE3EjNS0_10empty_typeEbEEZZNS1_14partition_implILS8_3ELb0ES6_jNS0_17counting_iteratorIjlEEPS9_SE_NS0_5tupleIJPjSE_EEENSF_IJSE_SE_EEES9_SG_JZNS1_25segmented_radix_sort_implINS0_14default_configELb1EPKiPiPKlPlN2at6native12_GLOBAL__N_18offset_tEEE10hipError_tPvRmT1_PNSt15iterator_traitsISY_E10value_typeET2_T3_PNSZ_IS14_E10value_typeET4_jRbjT5_S1A_jjP12ihipStream_tbEUljE_EEESV_SW_SX_S14_S18_S1A_T6_T7_T9_mT8_S1C_bDpT10_ENKUlT_T0_E_clISt17integral_constantIbLb0EES1P_EEDaS1K_S1L_EUlS1K_E_NS1_11comp_targetILNS1_3genE10ELNS1_11target_archE1200ELNS1_3gpuE4ELNS1_3repE0EEENS1_30default_config_static_selectorELNS0_4arch9wavefront6targetE0EEEvSY_.num_agpr, 0
	.set _ZN7rocprim17ROCPRIM_400000_NS6detail17trampoline_kernelINS0_13select_configILj256ELj13ELNS0_17block_load_methodE3ELS4_3ELS4_3ELNS0_20block_scan_algorithmE0ELj4294967295EEENS1_25partition_config_selectorILNS1_17partition_subalgoE3EjNS0_10empty_typeEbEEZZNS1_14partition_implILS8_3ELb0ES6_jNS0_17counting_iteratorIjlEEPS9_SE_NS0_5tupleIJPjSE_EEENSF_IJSE_SE_EEES9_SG_JZNS1_25segmented_radix_sort_implINS0_14default_configELb1EPKiPiPKlPlN2at6native12_GLOBAL__N_18offset_tEEE10hipError_tPvRmT1_PNSt15iterator_traitsISY_E10value_typeET2_T3_PNSZ_IS14_E10value_typeET4_jRbjT5_S1A_jjP12ihipStream_tbEUljE_EEESV_SW_SX_S14_S18_S1A_T6_T7_T9_mT8_S1C_bDpT10_ENKUlT_T0_E_clISt17integral_constantIbLb0EES1P_EEDaS1K_S1L_EUlS1K_E_NS1_11comp_targetILNS1_3genE10ELNS1_11target_archE1200ELNS1_3gpuE4ELNS1_3repE0EEENS1_30default_config_static_selectorELNS0_4arch9wavefront6targetE0EEEvSY_.numbered_sgpr, 26
	.set _ZN7rocprim17ROCPRIM_400000_NS6detail17trampoline_kernelINS0_13select_configILj256ELj13ELNS0_17block_load_methodE3ELS4_3ELS4_3ELNS0_20block_scan_algorithmE0ELj4294967295EEENS1_25partition_config_selectorILNS1_17partition_subalgoE3EjNS0_10empty_typeEbEEZZNS1_14partition_implILS8_3ELb0ES6_jNS0_17counting_iteratorIjlEEPS9_SE_NS0_5tupleIJPjSE_EEENSF_IJSE_SE_EEES9_SG_JZNS1_25segmented_radix_sort_implINS0_14default_configELb1EPKiPiPKlPlN2at6native12_GLOBAL__N_18offset_tEEE10hipError_tPvRmT1_PNSt15iterator_traitsISY_E10value_typeET2_T3_PNSZ_IS14_E10value_typeET4_jRbjT5_S1A_jjP12ihipStream_tbEUljE_EEESV_SW_SX_S14_S18_S1A_T6_T7_T9_mT8_S1C_bDpT10_ENKUlT_T0_E_clISt17integral_constantIbLb0EES1P_EEDaS1K_S1L_EUlS1K_E_NS1_11comp_targetILNS1_3genE10ELNS1_11target_archE1200ELNS1_3gpuE4ELNS1_3repE0EEENS1_30default_config_static_selectorELNS0_4arch9wavefront6targetE0EEEvSY_.num_named_barrier, 0
	.set _ZN7rocprim17ROCPRIM_400000_NS6detail17trampoline_kernelINS0_13select_configILj256ELj13ELNS0_17block_load_methodE3ELS4_3ELS4_3ELNS0_20block_scan_algorithmE0ELj4294967295EEENS1_25partition_config_selectorILNS1_17partition_subalgoE3EjNS0_10empty_typeEbEEZZNS1_14partition_implILS8_3ELb0ES6_jNS0_17counting_iteratorIjlEEPS9_SE_NS0_5tupleIJPjSE_EEENSF_IJSE_SE_EEES9_SG_JZNS1_25segmented_radix_sort_implINS0_14default_configELb1EPKiPiPKlPlN2at6native12_GLOBAL__N_18offset_tEEE10hipError_tPvRmT1_PNSt15iterator_traitsISY_E10value_typeET2_T3_PNSZ_IS14_E10value_typeET4_jRbjT5_S1A_jjP12ihipStream_tbEUljE_EEESV_SW_SX_S14_S18_S1A_T6_T7_T9_mT8_S1C_bDpT10_ENKUlT_T0_E_clISt17integral_constantIbLb0EES1P_EEDaS1K_S1L_EUlS1K_E_NS1_11comp_targetILNS1_3genE10ELNS1_11target_archE1200ELNS1_3gpuE4ELNS1_3repE0EEENS1_30default_config_static_selectorELNS0_4arch9wavefront6targetE0EEEvSY_.private_seg_size, 0
	.set _ZN7rocprim17ROCPRIM_400000_NS6detail17trampoline_kernelINS0_13select_configILj256ELj13ELNS0_17block_load_methodE3ELS4_3ELS4_3ELNS0_20block_scan_algorithmE0ELj4294967295EEENS1_25partition_config_selectorILNS1_17partition_subalgoE3EjNS0_10empty_typeEbEEZZNS1_14partition_implILS8_3ELb0ES6_jNS0_17counting_iteratorIjlEEPS9_SE_NS0_5tupleIJPjSE_EEENSF_IJSE_SE_EEES9_SG_JZNS1_25segmented_radix_sort_implINS0_14default_configELb1EPKiPiPKlPlN2at6native12_GLOBAL__N_18offset_tEEE10hipError_tPvRmT1_PNSt15iterator_traitsISY_E10value_typeET2_T3_PNSZ_IS14_E10value_typeET4_jRbjT5_S1A_jjP12ihipStream_tbEUljE_EEESV_SW_SX_S14_S18_S1A_T6_T7_T9_mT8_S1C_bDpT10_ENKUlT_T0_E_clISt17integral_constantIbLb0EES1P_EEDaS1K_S1L_EUlS1K_E_NS1_11comp_targetILNS1_3genE10ELNS1_11target_archE1200ELNS1_3gpuE4ELNS1_3repE0EEENS1_30default_config_static_selectorELNS0_4arch9wavefront6targetE0EEEvSY_.uses_vcc, 1
	.set _ZN7rocprim17ROCPRIM_400000_NS6detail17trampoline_kernelINS0_13select_configILj256ELj13ELNS0_17block_load_methodE3ELS4_3ELS4_3ELNS0_20block_scan_algorithmE0ELj4294967295EEENS1_25partition_config_selectorILNS1_17partition_subalgoE3EjNS0_10empty_typeEbEEZZNS1_14partition_implILS8_3ELb0ES6_jNS0_17counting_iteratorIjlEEPS9_SE_NS0_5tupleIJPjSE_EEENSF_IJSE_SE_EEES9_SG_JZNS1_25segmented_radix_sort_implINS0_14default_configELb1EPKiPiPKlPlN2at6native12_GLOBAL__N_18offset_tEEE10hipError_tPvRmT1_PNSt15iterator_traitsISY_E10value_typeET2_T3_PNSZ_IS14_E10value_typeET4_jRbjT5_S1A_jjP12ihipStream_tbEUljE_EEESV_SW_SX_S14_S18_S1A_T6_T7_T9_mT8_S1C_bDpT10_ENKUlT_T0_E_clISt17integral_constantIbLb0EES1P_EEDaS1K_S1L_EUlS1K_E_NS1_11comp_targetILNS1_3genE10ELNS1_11target_archE1200ELNS1_3gpuE4ELNS1_3repE0EEENS1_30default_config_static_selectorELNS0_4arch9wavefront6targetE0EEEvSY_.uses_flat_scratch, 0
	.set _ZN7rocprim17ROCPRIM_400000_NS6detail17trampoline_kernelINS0_13select_configILj256ELj13ELNS0_17block_load_methodE3ELS4_3ELS4_3ELNS0_20block_scan_algorithmE0ELj4294967295EEENS1_25partition_config_selectorILNS1_17partition_subalgoE3EjNS0_10empty_typeEbEEZZNS1_14partition_implILS8_3ELb0ES6_jNS0_17counting_iteratorIjlEEPS9_SE_NS0_5tupleIJPjSE_EEENSF_IJSE_SE_EEES9_SG_JZNS1_25segmented_radix_sort_implINS0_14default_configELb1EPKiPiPKlPlN2at6native12_GLOBAL__N_18offset_tEEE10hipError_tPvRmT1_PNSt15iterator_traitsISY_E10value_typeET2_T3_PNSZ_IS14_E10value_typeET4_jRbjT5_S1A_jjP12ihipStream_tbEUljE_EEESV_SW_SX_S14_S18_S1A_T6_T7_T9_mT8_S1C_bDpT10_ENKUlT_T0_E_clISt17integral_constantIbLb0EES1P_EEDaS1K_S1L_EUlS1K_E_NS1_11comp_targetILNS1_3genE10ELNS1_11target_archE1200ELNS1_3gpuE4ELNS1_3repE0EEENS1_30default_config_static_selectorELNS0_4arch9wavefront6targetE0EEEvSY_.has_dyn_sized_stack, 0
	.set _ZN7rocprim17ROCPRIM_400000_NS6detail17trampoline_kernelINS0_13select_configILj256ELj13ELNS0_17block_load_methodE3ELS4_3ELS4_3ELNS0_20block_scan_algorithmE0ELj4294967295EEENS1_25partition_config_selectorILNS1_17partition_subalgoE3EjNS0_10empty_typeEbEEZZNS1_14partition_implILS8_3ELb0ES6_jNS0_17counting_iteratorIjlEEPS9_SE_NS0_5tupleIJPjSE_EEENSF_IJSE_SE_EEES9_SG_JZNS1_25segmented_radix_sort_implINS0_14default_configELb1EPKiPiPKlPlN2at6native12_GLOBAL__N_18offset_tEEE10hipError_tPvRmT1_PNSt15iterator_traitsISY_E10value_typeET2_T3_PNSZ_IS14_E10value_typeET4_jRbjT5_S1A_jjP12ihipStream_tbEUljE_EEESV_SW_SX_S14_S18_S1A_T6_T7_T9_mT8_S1C_bDpT10_ENKUlT_T0_E_clISt17integral_constantIbLb0EES1P_EEDaS1K_S1L_EUlS1K_E_NS1_11comp_targetILNS1_3genE10ELNS1_11target_archE1200ELNS1_3gpuE4ELNS1_3repE0EEENS1_30default_config_static_selectorELNS0_4arch9wavefront6targetE0EEEvSY_.has_recursion, 0
	.set _ZN7rocprim17ROCPRIM_400000_NS6detail17trampoline_kernelINS0_13select_configILj256ELj13ELNS0_17block_load_methodE3ELS4_3ELS4_3ELNS0_20block_scan_algorithmE0ELj4294967295EEENS1_25partition_config_selectorILNS1_17partition_subalgoE3EjNS0_10empty_typeEbEEZZNS1_14partition_implILS8_3ELb0ES6_jNS0_17counting_iteratorIjlEEPS9_SE_NS0_5tupleIJPjSE_EEENSF_IJSE_SE_EEES9_SG_JZNS1_25segmented_radix_sort_implINS0_14default_configELb1EPKiPiPKlPlN2at6native12_GLOBAL__N_18offset_tEEE10hipError_tPvRmT1_PNSt15iterator_traitsISY_E10value_typeET2_T3_PNSZ_IS14_E10value_typeET4_jRbjT5_S1A_jjP12ihipStream_tbEUljE_EEESV_SW_SX_S14_S18_S1A_T6_T7_T9_mT8_S1C_bDpT10_ENKUlT_T0_E_clISt17integral_constantIbLb0EES1P_EEDaS1K_S1L_EUlS1K_E_NS1_11comp_targetILNS1_3genE10ELNS1_11target_archE1200ELNS1_3gpuE4ELNS1_3repE0EEENS1_30default_config_static_selectorELNS0_4arch9wavefront6targetE0EEEvSY_.has_indirect_call, 0
	.section	.AMDGPU.csdata,"",@progbits
; Kernel info:
; codeLenInByte = 10676
; TotalNumSgprs: 28
; NumVgprs: 69
; ScratchSize: 0
; MemoryBound: 0
; FloatMode: 240
; IeeeMode: 1
; LDSByteSize: 13320 bytes/workgroup (compile time only)
; SGPRBlocks: 0
; VGPRBlocks: 8
; NumSGPRsForWavesPerEU: 28
; NumVGPRsForWavesPerEU: 69
; Occupancy: 16
; WaveLimiterHint : 0
; COMPUTE_PGM_RSRC2:SCRATCH_EN: 0
; COMPUTE_PGM_RSRC2:USER_SGPR: 2
; COMPUTE_PGM_RSRC2:TRAP_HANDLER: 0
; COMPUTE_PGM_RSRC2:TGID_X_EN: 1
; COMPUTE_PGM_RSRC2:TGID_Y_EN: 0
; COMPUTE_PGM_RSRC2:TGID_Z_EN: 0
; COMPUTE_PGM_RSRC2:TIDIG_COMP_CNT: 0
	.section	.text._ZN7rocprim17ROCPRIM_400000_NS6detail17trampoline_kernelINS0_13select_configILj256ELj13ELNS0_17block_load_methodE3ELS4_3ELS4_3ELNS0_20block_scan_algorithmE0ELj4294967295EEENS1_25partition_config_selectorILNS1_17partition_subalgoE3EjNS0_10empty_typeEbEEZZNS1_14partition_implILS8_3ELb0ES6_jNS0_17counting_iteratorIjlEEPS9_SE_NS0_5tupleIJPjSE_EEENSF_IJSE_SE_EEES9_SG_JZNS1_25segmented_radix_sort_implINS0_14default_configELb1EPKiPiPKlPlN2at6native12_GLOBAL__N_18offset_tEEE10hipError_tPvRmT1_PNSt15iterator_traitsISY_E10value_typeET2_T3_PNSZ_IS14_E10value_typeET4_jRbjT5_S1A_jjP12ihipStream_tbEUljE_EEESV_SW_SX_S14_S18_S1A_T6_T7_T9_mT8_S1C_bDpT10_ENKUlT_T0_E_clISt17integral_constantIbLb0EES1P_EEDaS1K_S1L_EUlS1K_E_NS1_11comp_targetILNS1_3genE9ELNS1_11target_archE1100ELNS1_3gpuE3ELNS1_3repE0EEENS1_30default_config_static_selectorELNS0_4arch9wavefront6targetE0EEEvSY_,"axG",@progbits,_ZN7rocprim17ROCPRIM_400000_NS6detail17trampoline_kernelINS0_13select_configILj256ELj13ELNS0_17block_load_methodE3ELS4_3ELS4_3ELNS0_20block_scan_algorithmE0ELj4294967295EEENS1_25partition_config_selectorILNS1_17partition_subalgoE3EjNS0_10empty_typeEbEEZZNS1_14partition_implILS8_3ELb0ES6_jNS0_17counting_iteratorIjlEEPS9_SE_NS0_5tupleIJPjSE_EEENSF_IJSE_SE_EEES9_SG_JZNS1_25segmented_radix_sort_implINS0_14default_configELb1EPKiPiPKlPlN2at6native12_GLOBAL__N_18offset_tEEE10hipError_tPvRmT1_PNSt15iterator_traitsISY_E10value_typeET2_T3_PNSZ_IS14_E10value_typeET4_jRbjT5_S1A_jjP12ihipStream_tbEUljE_EEESV_SW_SX_S14_S18_S1A_T6_T7_T9_mT8_S1C_bDpT10_ENKUlT_T0_E_clISt17integral_constantIbLb0EES1P_EEDaS1K_S1L_EUlS1K_E_NS1_11comp_targetILNS1_3genE9ELNS1_11target_archE1100ELNS1_3gpuE3ELNS1_3repE0EEENS1_30default_config_static_selectorELNS0_4arch9wavefront6targetE0EEEvSY_,comdat
	.globl	_ZN7rocprim17ROCPRIM_400000_NS6detail17trampoline_kernelINS0_13select_configILj256ELj13ELNS0_17block_load_methodE3ELS4_3ELS4_3ELNS0_20block_scan_algorithmE0ELj4294967295EEENS1_25partition_config_selectorILNS1_17partition_subalgoE3EjNS0_10empty_typeEbEEZZNS1_14partition_implILS8_3ELb0ES6_jNS0_17counting_iteratorIjlEEPS9_SE_NS0_5tupleIJPjSE_EEENSF_IJSE_SE_EEES9_SG_JZNS1_25segmented_radix_sort_implINS0_14default_configELb1EPKiPiPKlPlN2at6native12_GLOBAL__N_18offset_tEEE10hipError_tPvRmT1_PNSt15iterator_traitsISY_E10value_typeET2_T3_PNSZ_IS14_E10value_typeET4_jRbjT5_S1A_jjP12ihipStream_tbEUljE_EEESV_SW_SX_S14_S18_S1A_T6_T7_T9_mT8_S1C_bDpT10_ENKUlT_T0_E_clISt17integral_constantIbLb0EES1P_EEDaS1K_S1L_EUlS1K_E_NS1_11comp_targetILNS1_3genE9ELNS1_11target_archE1100ELNS1_3gpuE3ELNS1_3repE0EEENS1_30default_config_static_selectorELNS0_4arch9wavefront6targetE0EEEvSY_ ; -- Begin function _ZN7rocprim17ROCPRIM_400000_NS6detail17trampoline_kernelINS0_13select_configILj256ELj13ELNS0_17block_load_methodE3ELS4_3ELS4_3ELNS0_20block_scan_algorithmE0ELj4294967295EEENS1_25partition_config_selectorILNS1_17partition_subalgoE3EjNS0_10empty_typeEbEEZZNS1_14partition_implILS8_3ELb0ES6_jNS0_17counting_iteratorIjlEEPS9_SE_NS0_5tupleIJPjSE_EEENSF_IJSE_SE_EEES9_SG_JZNS1_25segmented_radix_sort_implINS0_14default_configELb1EPKiPiPKlPlN2at6native12_GLOBAL__N_18offset_tEEE10hipError_tPvRmT1_PNSt15iterator_traitsISY_E10value_typeET2_T3_PNSZ_IS14_E10value_typeET4_jRbjT5_S1A_jjP12ihipStream_tbEUljE_EEESV_SW_SX_S14_S18_S1A_T6_T7_T9_mT8_S1C_bDpT10_ENKUlT_T0_E_clISt17integral_constantIbLb0EES1P_EEDaS1K_S1L_EUlS1K_E_NS1_11comp_targetILNS1_3genE9ELNS1_11target_archE1100ELNS1_3gpuE3ELNS1_3repE0EEENS1_30default_config_static_selectorELNS0_4arch9wavefront6targetE0EEEvSY_
	.p2align	8
	.type	_ZN7rocprim17ROCPRIM_400000_NS6detail17trampoline_kernelINS0_13select_configILj256ELj13ELNS0_17block_load_methodE3ELS4_3ELS4_3ELNS0_20block_scan_algorithmE0ELj4294967295EEENS1_25partition_config_selectorILNS1_17partition_subalgoE3EjNS0_10empty_typeEbEEZZNS1_14partition_implILS8_3ELb0ES6_jNS0_17counting_iteratorIjlEEPS9_SE_NS0_5tupleIJPjSE_EEENSF_IJSE_SE_EEES9_SG_JZNS1_25segmented_radix_sort_implINS0_14default_configELb1EPKiPiPKlPlN2at6native12_GLOBAL__N_18offset_tEEE10hipError_tPvRmT1_PNSt15iterator_traitsISY_E10value_typeET2_T3_PNSZ_IS14_E10value_typeET4_jRbjT5_S1A_jjP12ihipStream_tbEUljE_EEESV_SW_SX_S14_S18_S1A_T6_T7_T9_mT8_S1C_bDpT10_ENKUlT_T0_E_clISt17integral_constantIbLb0EES1P_EEDaS1K_S1L_EUlS1K_E_NS1_11comp_targetILNS1_3genE9ELNS1_11target_archE1100ELNS1_3gpuE3ELNS1_3repE0EEENS1_30default_config_static_selectorELNS0_4arch9wavefront6targetE0EEEvSY_,@function
_ZN7rocprim17ROCPRIM_400000_NS6detail17trampoline_kernelINS0_13select_configILj256ELj13ELNS0_17block_load_methodE3ELS4_3ELS4_3ELNS0_20block_scan_algorithmE0ELj4294967295EEENS1_25partition_config_selectorILNS1_17partition_subalgoE3EjNS0_10empty_typeEbEEZZNS1_14partition_implILS8_3ELb0ES6_jNS0_17counting_iteratorIjlEEPS9_SE_NS0_5tupleIJPjSE_EEENSF_IJSE_SE_EEES9_SG_JZNS1_25segmented_radix_sort_implINS0_14default_configELb1EPKiPiPKlPlN2at6native12_GLOBAL__N_18offset_tEEE10hipError_tPvRmT1_PNSt15iterator_traitsISY_E10value_typeET2_T3_PNSZ_IS14_E10value_typeET4_jRbjT5_S1A_jjP12ihipStream_tbEUljE_EEESV_SW_SX_S14_S18_S1A_T6_T7_T9_mT8_S1C_bDpT10_ENKUlT_T0_E_clISt17integral_constantIbLb0EES1P_EEDaS1K_S1L_EUlS1K_E_NS1_11comp_targetILNS1_3genE9ELNS1_11target_archE1100ELNS1_3gpuE3ELNS1_3repE0EEENS1_30default_config_static_selectorELNS0_4arch9wavefront6targetE0EEEvSY_: ; @_ZN7rocprim17ROCPRIM_400000_NS6detail17trampoline_kernelINS0_13select_configILj256ELj13ELNS0_17block_load_methodE3ELS4_3ELS4_3ELNS0_20block_scan_algorithmE0ELj4294967295EEENS1_25partition_config_selectorILNS1_17partition_subalgoE3EjNS0_10empty_typeEbEEZZNS1_14partition_implILS8_3ELb0ES6_jNS0_17counting_iteratorIjlEEPS9_SE_NS0_5tupleIJPjSE_EEENSF_IJSE_SE_EEES9_SG_JZNS1_25segmented_radix_sort_implINS0_14default_configELb1EPKiPiPKlPlN2at6native12_GLOBAL__N_18offset_tEEE10hipError_tPvRmT1_PNSt15iterator_traitsISY_E10value_typeET2_T3_PNSZ_IS14_E10value_typeET4_jRbjT5_S1A_jjP12ihipStream_tbEUljE_EEESV_SW_SX_S14_S18_S1A_T6_T7_T9_mT8_S1C_bDpT10_ENKUlT_T0_E_clISt17integral_constantIbLb0EES1P_EEDaS1K_S1L_EUlS1K_E_NS1_11comp_targetILNS1_3genE9ELNS1_11target_archE1100ELNS1_3gpuE3ELNS1_3repE0EEENS1_30default_config_static_selectorELNS0_4arch9wavefront6targetE0EEEvSY_
; %bb.0:
	.section	.rodata,"a",@progbits
	.p2align	6, 0x0
	.amdhsa_kernel _ZN7rocprim17ROCPRIM_400000_NS6detail17trampoline_kernelINS0_13select_configILj256ELj13ELNS0_17block_load_methodE3ELS4_3ELS4_3ELNS0_20block_scan_algorithmE0ELj4294967295EEENS1_25partition_config_selectorILNS1_17partition_subalgoE3EjNS0_10empty_typeEbEEZZNS1_14partition_implILS8_3ELb0ES6_jNS0_17counting_iteratorIjlEEPS9_SE_NS0_5tupleIJPjSE_EEENSF_IJSE_SE_EEES9_SG_JZNS1_25segmented_radix_sort_implINS0_14default_configELb1EPKiPiPKlPlN2at6native12_GLOBAL__N_18offset_tEEE10hipError_tPvRmT1_PNSt15iterator_traitsISY_E10value_typeET2_T3_PNSZ_IS14_E10value_typeET4_jRbjT5_S1A_jjP12ihipStream_tbEUljE_EEESV_SW_SX_S14_S18_S1A_T6_T7_T9_mT8_S1C_bDpT10_ENKUlT_T0_E_clISt17integral_constantIbLb0EES1P_EEDaS1K_S1L_EUlS1K_E_NS1_11comp_targetILNS1_3genE9ELNS1_11target_archE1100ELNS1_3gpuE3ELNS1_3repE0EEENS1_30default_config_static_selectorELNS0_4arch9wavefront6targetE0EEEvSY_
		.amdhsa_group_segment_fixed_size 0
		.amdhsa_private_segment_fixed_size 0
		.amdhsa_kernarg_size 144
		.amdhsa_user_sgpr_count 2
		.amdhsa_user_sgpr_dispatch_ptr 0
		.amdhsa_user_sgpr_queue_ptr 0
		.amdhsa_user_sgpr_kernarg_segment_ptr 1
		.amdhsa_user_sgpr_dispatch_id 0
		.amdhsa_user_sgpr_private_segment_size 0
		.amdhsa_wavefront_size32 1
		.amdhsa_uses_dynamic_stack 0
		.amdhsa_enable_private_segment 0
		.amdhsa_system_sgpr_workgroup_id_x 1
		.amdhsa_system_sgpr_workgroup_id_y 0
		.amdhsa_system_sgpr_workgroup_id_z 0
		.amdhsa_system_sgpr_workgroup_info 0
		.amdhsa_system_vgpr_workitem_id 0
		.amdhsa_next_free_vgpr 1
		.amdhsa_next_free_sgpr 1
		.amdhsa_reserve_vcc 0
		.amdhsa_float_round_mode_32 0
		.amdhsa_float_round_mode_16_64 0
		.amdhsa_float_denorm_mode_32 3
		.amdhsa_float_denorm_mode_16_64 3
		.amdhsa_fp16_overflow 0
		.amdhsa_workgroup_processor_mode 1
		.amdhsa_memory_ordered 1
		.amdhsa_forward_progress 1
		.amdhsa_inst_pref_size 0
		.amdhsa_round_robin_scheduling 0
		.amdhsa_exception_fp_ieee_invalid_op 0
		.amdhsa_exception_fp_denorm_src 0
		.amdhsa_exception_fp_ieee_div_zero 0
		.amdhsa_exception_fp_ieee_overflow 0
		.amdhsa_exception_fp_ieee_underflow 0
		.amdhsa_exception_fp_ieee_inexact 0
		.amdhsa_exception_int_div_zero 0
	.end_amdhsa_kernel
	.section	.text._ZN7rocprim17ROCPRIM_400000_NS6detail17trampoline_kernelINS0_13select_configILj256ELj13ELNS0_17block_load_methodE3ELS4_3ELS4_3ELNS0_20block_scan_algorithmE0ELj4294967295EEENS1_25partition_config_selectorILNS1_17partition_subalgoE3EjNS0_10empty_typeEbEEZZNS1_14partition_implILS8_3ELb0ES6_jNS0_17counting_iteratorIjlEEPS9_SE_NS0_5tupleIJPjSE_EEENSF_IJSE_SE_EEES9_SG_JZNS1_25segmented_radix_sort_implINS0_14default_configELb1EPKiPiPKlPlN2at6native12_GLOBAL__N_18offset_tEEE10hipError_tPvRmT1_PNSt15iterator_traitsISY_E10value_typeET2_T3_PNSZ_IS14_E10value_typeET4_jRbjT5_S1A_jjP12ihipStream_tbEUljE_EEESV_SW_SX_S14_S18_S1A_T6_T7_T9_mT8_S1C_bDpT10_ENKUlT_T0_E_clISt17integral_constantIbLb0EES1P_EEDaS1K_S1L_EUlS1K_E_NS1_11comp_targetILNS1_3genE9ELNS1_11target_archE1100ELNS1_3gpuE3ELNS1_3repE0EEENS1_30default_config_static_selectorELNS0_4arch9wavefront6targetE0EEEvSY_,"axG",@progbits,_ZN7rocprim17ROCPRIM_400000_NS6detail17trampoline_kernelINS0_13select_configILj256ELj13ELNS0_17block_load_methodE3ELS4_3ELS4_3ELNS0_20block_scan_algorithmE0ELj4294967295EEENS1_25partition_config_selectorILNS1_17partition_subalgoE3EjNS0_10empty_typeEbEEZZNS1_14partition_implILS8_3ELb0ES6_jNS0_17counting_iteratorIjlEEPS9_SE_NS0_5tupleIJPjSE_EEENSF_IJSE_SE_EEES9_SG_JZNS1_25segmented_radix_sort_implINS0_14default_configELb1EPKiPiPKlPlN2at6native12_GLOBAL__N_18offset_tEEE10hipError_tPvRmT1_PNSt15iterator_traitsISY_E10value_typeET2_T3_PNSZ_IS14_E10value_typeET4_jRbjT5_S1A_jjP12ihipStream_tbEUljE_EEESV_SW_SX_S14_S18_S1A_T6_T7_T9_mT8_S1C_bDpT10_ENKUlT_T0_E_clISt17integral_constantIbLb0EES1P_EEDaS1K_S1L_EUlS1K_E_NS1_11comp_targetILNS1_3genE9ELNS1_11target_archE1100ELNS1_3gpuE3ELNS1_3repE0EEENS1_30default_config_static_selectorELNS0_4arch9wavefront6targetE0EEEvSY_,comdat
.Lfunc_end471:
	.size	_ZN7rocprim17ROCPRIM_400000_NS6detail17trampoline_kernelINS0_13select_configILj256ELj13ELNS0_17block_load_methodE3ELS4_3ELS4_3ELNS0_20block_scan_algorithmE0ELj4294967295EEENS1_25partition_config_selectorILNS1_17partition_subalgoE3EjNS0_10empty_typeEbEEZZNS1_14partition_implILS8_3ELb0ES6_jNS0_17counting_iteratorIjlEEPS9_SE_NS0_5tupleIJPjSE_EEENSF_IJSE_SE_EEES9_SG_JZNS1_25segmented_radix_sort_implINS0_14default_configELb1EPKiPiPKlPlN2at6native12_GLOBAL__N_18offset_tEEE10hipError_tPvRmT1_PNSt15iterator_traitsISY_E10value_typeET2_T3_PNSZ_IS14_E10value_typeET4_jRbjT5_S1A_jjP12ihipStream_tbEUljE_EEESV_SW_SX_S14_S18_S1A_T6_T7_T9_mT8_S1C_bDpT10_ENKUlT_T0_E_clISt17integral_constantIbLb0EES1P_EEDaS1K_S1L_EUlS1K_E_NS1_11comp_targetILNS1_3genE9ELNS1_11target_archE1100ELNS1_3gpuE3ELNS1_3repE0EEENS1_30default_config_static_selectorELNS0_4arch9wavefront6targetE0EEEvSY_, .Lfunc_end471-_ZN7rocprim17ROCPRIM_400000_NS6detail17trampoline_kernelINS0_13select_configILj256ELj13ELNS0_17block_load_methodE3ELS4_3ELS4_3ELNS0_20block_scan_algorithmE0ELj4294967295EEENS1_25partition_config_selectorILNS1_17partition_subalgoE3EjNS0_10empty_typeEbEEZZNS1_14partition_implILS8_3ELb0ES6_jNS0_17counting_iteratorIjlEEPS9_SE_NS0_5tupleIJPjSE_EEENSF_IJSE_SE_EEES9_SG_JZNS1_25segmented_radix_sort_implINS0_14default_configELb1EPKiPiPKlPlN2at6native12_GLOBAL__N_18offset_tEEE10hipError_tPvRmT1_PNSt15iterator_traitsISY_E10value_typeET2_T3_PNSZ_IS14_E10value_typeET4_jRbjT5_S1A_jjP12ihipStream_tbEUljE_EEESV_SW_SX_S14_S18_S1A_T6_T7_T9_mT8_S1C_bDpT10_ENKUlT_T0_E_clISt17integral_constantIbLb0EES1P_EEDaS1K_S1L_EUlS1K_E_NS1_11comp_targetILNS1_3genE9ELNS1_11target_archE1100ELNS1_3gpuE3ELNS1_3repE0EEENS1_30default_config_static_selectorELNS0_4arch9wavefront6targetE0EEEvSY_
                                        ; -- End function
	.set _ZN7rocprim17ROCPRIM_400000_NS6detail17trampoline_kernelINS0_13select_configILj256ELj13ELNS0_17block_load_methodE3ELS4_3ELS4_3ELNS0_20block_scan_algorithmE0ELj4294967295EEENS1_25partition_config_selectorILNS1_17partition_subalgoE3EjNS0_10empty_typeEbEEZZNS1_14partition_implILS8_3ELb0ES6_jNS0_17counting_iteratorIjlEEPS9_SE_NS0_5tupleIJPjSE_EEENSF_IJSE_SE_EEES9_SG_JZNS1_25segmented_radix_sort_implINS0_14default_configELb1EPKiPiPKlPlN2at6native12_GLOBAL__N_18offset_tEEE10hipError_tPvRmT1_PNSt15iterator_traitsISY_E10value_typeET2_T3_PNSZ_IS14_E10value_typeET4_jRbjT5_S1A_jjP12ihipStream_tbEUljE_EEESV_SW_SX_S14_S18_S1A_T6_T7_T9_mT8_S1C_bDpT10_ENKUlT_T0_E_clISt17integral_constantIbLb0EES1P_EEDaS1K_S1L_EUlS1K_E_NS1_11comp_targetILNS1_3genE9ELNS1_11target_archE1100ELNS1_3gpuE3ELNS1_3repE0EEENS1_30default_config_static_selectorELNS0_4arch9wavefront6targetE0EEEvSY_.num_vgpr, 0
	.set _ZN7rocprim17ROCPRIM_400000_NS6detail17trampoline_kernelINS0_13select_configILj256ELj13ELNS0_17block_load_methodE3ELS4_3ELS4_3ELNS0_20block_scan_algorithmE0ELj4294967295EEENS1_25partition_config_selectorILNS1_17partition_subalgoE3EjNS0_10empty_typeEbEEZZNS1_14partition_implILS8_3ELb0ES6_jNS0_17counting_iteratorIjlEEPS9_SE_NS0_5tupleIJPjSE_EEENSF_IJSE_SE_EEES9_SG_JZNS1_25segmented_radix_sort_implINS0_14default_configELb1EPKiPiPKlPlN2at6native12_GLOBAL__N_18offset_tEEE10hipError_tPvRmT1_PNSt15iterator_traitsISY_E10value_typeET2_T3_PNSZ_IS14_E10value_typeET4_jRbjT5_S1A_jjP12ihipStream_tbEUljE_EEESV_SW_SX_S14_S18_S1A_T6_T7_T9_mT8_S1C_bDpT10_ENKUlT_T0_E_clISt17integral_constantIbLb0EES1P_EEDaS1K_S1L_EUlS1K_E_NS1_11comp_targetILNS1_3genE9ELNS1_11target_archE1100ELNS1_3gpuE3ELNS1_3repE0EEENS1_30default_config_static_selectorELNS0_4arch9wavefront6targetE0EEEvSY_.num_agpr, 0
	.set _ZN7rocprim17ROCPRIM_400000_NS6detail17trampoline_kernelINS0_13select_configILj256ELj13ELNS0_17block_load_methodE3ELS4_3ELS4_3ELNS0_20block_scan_algorithmE0ELj4294967295EEENS1_25partition_config_selectorILNS1_17partition_subalgoE3EjNS0_10empty_typeEbEEZZNS1_14partition_implILS8_3ELb0ES6_jNS0_17counting_iteratorIjlEEPS9_SE_NS0_5tupleIJPjSE_EEENSF_IJSE_SE_EEES9_SG_JZNS1_25segmented_radix_sort_implINS0_14default_configELb1EPKiPiPKlPlN2at6native12_GLOBAL__N_18offset_tEEE10hipError_tPvRmT1_PNSt15iterator_traitsISY_E10value_typeET2_T3_PNSZ_IS14_E10value_typeET4_jRbjT5_S1A_jjP12ihipStream_tbEUljE_EEESV_SW_SX_S14_S18_S1A_T6_T7_T9_mT8_S1C_bDpT10_ENKUlT_T0_E_clISt17integral_constantIbLb0EES1P_EEDaS1K_S1L_EUlS1K_E_NS1_11comp_targetILNS1_3genE9ELNS1_11target_archE1100ELNS1_3gpuE3ELNS1_3repE0EEENS1_30default_config_static_selectorELNS0_4arch9wavefront6targetE0EEEvSY_.numbered_sgpr, 0
	.set _ZN7rocprim17ROCPRIM_400000_NS6detail17trampoline_kernelINS0_13select_configILj256ELj13ELNS0_17block_load_methodE3ELS4_3ELS4_3ELNS0_20block_scan_algorithmE0ELj4294967295EEENS1_25partition_config_selectorILNS1_17partition_subalgoE3EjNS0_10empty_typeEbEEZZNS1_14partition_implILS8_3ELb0ES6_jNS0_17counting_iteratorIjlEEPS9_SE_NS0_5tupleIJPjSE_EEENSF_IJSE_SE_EEES9_SG_JZNS1_25segmented_radix_sort_implINS0_14default_configELb1EPKiPiPKlPlN2at6native12_GLOBAL__N_18offset_tEEE10hipError_tPvRmT1_PNSt15iterator_traitsISY_E10value_typeET2_T3_PNSZ_IS14_E10value_typeET4_jRbjT5_S1A_jjP12ihipStream_tbEUljE_EEESV_SW_SX_S14_S18_S1A_T6_T7_T9_mT8_S1C_bDpT10_ENKUlT_T0_E_clISt17integral_constantIbLb0EES1P_EEDaS1K_S1L_EUlS1K_E_NS1_11comp_targetILNS1_3genE9ELNS1_11target_archE1100ELNS1_3gpuE3ELNS1_3repE0EEENS1_30default_config_static_selectorELNS0_4arch9wavefront6targetE0EEEvSY_.num_named_barrier, 0
	.set _ZN7rocprim17ROCPRIM_400000_NS6detail17trampoline_kernelINS0_13select_configILj256ELj13ELNS0_17block_load_methodE3ELS4_3ELS4_3ELNS0_20block_scan_algorithmE0ELj4294967295EEENS1_25partition_config_selectorILNS1_17partition_subalgoE3EjNS0_10empty_typeEbEEZZNS1_14partition_implILS8_3ELb0ES6_jNS0_17counting_iteratorIjlEEPS9_SE_NS0_5tupleIJPjSE_EEENSF_IJSE_SE_EEES9_SG_JZNS1_25segmented_radix_sort_implINS0_14default_configELb1EPKiPiPKlPlN2at6native12_GLOBAL__N_18offset_tEEE10hipError_tPvRmT1_PNSt15iterator_traitsISY_E10value_typeET2_T3_PNSZ_IS14_E10value_typeET4_jRbjT5_S1A_jjP12ihipStream_tbEUljE_EEESV_SW_SX_S14_S18_S1A_T6_T7_T9_mT8_S1C_bDpT10_ENKUlT_T0_E_clISt17integral_constantIbLb0EES1P_EEDaS1K_S1L_EUlS1K_E_NS1_11comp_targetILNS1_3genE9ELNS1_11target_archE1100ELNS1_3gpuE3ELNS1_3repE0EEENS1_30default_config_static_selectorELNS0_4arch9wavefront6targetE0EEEvSY_.private_seg_size, 0
	.set _ZN7rocprim17ROCPRIM_400000_NS6detail17trampoline_kernelINS0_13select_configILj256ELj13ELNS0_17block_load_methodE3ELS4_3ELS4_3ELNS0_20block_scan_algorithmE0ELj4294967295EEENS1_25partition_config_selectorILNS1_17partition_subalgoE3EjNS0_10empty_typeEbEEZZNS1_14partition_implILS8_3ELb0ES6_jNS0_17counting_iteratorIjlEEPS9_SE_NS0_5tupleIJPjSE_EEENSF_IJSE_SE_EEES9_SG_JZNS1_25segmented_radix_sort_implINS0_14default_configELb1EPKiPiPKlPlN2at6native12_GLOBAL__N_18offset_tEEE10hipError_tPvRmT1_PNSt15iterator_traitsISY_E10value_typeET2_T3_PNSZ_IS14_E10value_typeET4_jRbjT5_S1A_jjP12ihipStream_tbEUljE_EEESV_SW_SX_S14_S18_S1A_T6_T7_T9_mT8_S1C_bDpT10_ENKUlT_T0_E_clISt17integral_constantIbLb0EES1P_EEDaS1K_S1L_EUlS1K_E_NS1_11comp_targetILNS1_3genE9ELNS1_11target_archE1100ELNS1_3gpuE3ELNS1_3repE0EEENS1_30default_config_static_selectorELNS0_4arch9wavefront6targetE0EEEvSY_.uses_vcc, 0
	.set _ZN7rocprim17ROCPRIM_400000_NS6detail17trampoline_kernelINS0_13select_configILj256ELj13ELNS0_17block_load_methodE3ELS4_3ELS4_3ELNS0_20block_scan_algorithmE0ELj4294967295EEENS1_25partition_config_selectorILNS1_17partition_subalgoE3EjNS0_10empty_typeEbEEZZNS1_14partition_implILS8_3ELb0ES6_jNS0_17counting_iteratorIjlEEPS9_SE_NS0_5tupleIJPjSE_EEENSF_IJSE_SE_EEES9_SG_JZNS1_25segmented_radix_sort_implINS0_14default_configELb1EPKiPiPKlPlN2at6native12_GLOBAL__N_18offset_tEEE10hipError_tPvRmT1_PNSt15iterator_traitsISY_E10value_typeET2_T3_PNSZ_IS14_E10value_typeET4_jRbjT5_S1A_jjP12ihipStream_tbEUljE_EEESV_SW_SX_S14_S18_S1A_T6_T7_T9_mT8_S1C_bDpT10_ENKUlT_T0_E_clISt17integral_constantIbLb0EES1P_EEDaS1K_S1L_EUlS1K_E_NS1_11comp_targetILNS1_3genE9ELNS1_11target_archE1100ELNS1_3gpuE3ELNS1_3repE0EEENS1_30default_config_static_selectorELNS0_4arch9wavefront6targetE0EEEvSY_.uses_flat_scratch, 0
	.set _ZN7rocprim17ROCPRIM_400000_NS6detail17trampoline_kernelINS0_13select_configILj256ELj13ELNS0_17block_load_methodE3ELS4_3ELS4_3ELNS0_20block_scan_algorithmE0ELj4294967295EEENS1_25partition_config_selectorILNS1_17partition_subalgoE3EjNS0_10empty_typeEbEEZZNS1_14partition_implILS8_3ELb0ES6_jNS0_17counting_iteratorIjlEEPS9_SE_NS0_5tupleIJPjSE_EEENSF_IJSE_SE_EEES9_SG_JZNS1_25segmented_radix_sort_implINS0_14default_configELb1EPKiPiPKlPlN2at6native12_GLOBAL__N_18offset_tEEE10hipError_tPvRmT1_PNSt15iterator_traitsISY_E10value_typeET2_T3_PNSZ_IS14_E10value_typeET4_jRbjT5_S1A_jjP12ihipStream_tbEUljE_EEESV_SW_SX_S14_S18_S1A_T6_T7_T9_mT8_S1C_bDpT10_ENKUlT_T0_E_clISt17integral_constantIbLb0EES1P_EEDaS1K_S1L_EUlS1K_E_NS1_11comp_targetILNS1_3genE9ELNS1_11target_archE1100ELNS1_3gpuE3ELNS1_3repE0EEENS1_30default_config_static_selectorELNS0_4arch9wavefront6targetE0EEEvSY_.has_dyn_sized_stack, 0
	.set _ZN7rocprim17ROCPRIM_400000_NS6detail17trampoline_kernelINS0_13select_configILj256ELj13ELNS0_17block_load_methodE3ELS4_3ELS4_3ELNS0_20block_scan_algorithmE0ELj4294967295EEENS1_25partition_config_selectorILNS1_17partition_subalgoE3EjNS0_10empty_typeEbEEZZNS1_14partition_implILS8_3ELb0ES6_jNS0_17counting_iteratorIjlEEPS9_SE_NS0_5tupleIJPjSE_EEENSF_IJSE_SE_EEES9_SG_JZNS1_25segmented_radix_sort_implINS0_14default_configELb1EPKiPiPKlPlN2at6native12_GLOBAL__N_18offset_tEEE10hipError_tPvRmT1_PNSt15iterator_traitsISY_E10value_typeET2_T3_PNSZ_IS14_E10value_typeET4_jRbjT5_S1A_jjP12ihipStream_tbEUljE_EEESV_SW_SX_S14_S18_S1A_T6_T7_T9_mT8_S1C_bDpT10_ENKUlT_T0_E_clISt17integral_constantIbLb0EES1P_EEDaS1K_S1L_EUlS1K_E_NS1_11comp_targetILNS1_3genE9ELNS1_11target_archE1100ELNS1_3gpuE3ELNS1_3repE0EEENS1_30default_config_static_selectorELNS0_4arch9wavefront6targetE0EEEvSY_.has_recursion, 0
	.set _ZN7rocprim17ROCPRIM_400000_NS6detail17trampoline_kernelINS0_13select_configILj256ELj13ELNS0_17block_load_methodE3ELS4_3ELS4_3ELNS0_20block_scan_algorithmE0ELj4294967295EEENS1_25partition_config_selectorILNS1_17partition_subalgoE3EjNS0_10empty_typeEbEEZZNS1_14partition_implILS8_3ELb0ES6_jNS0_17counting_iteratorIjlEEPS9_SE_NS0_5tupleIJPjSE_EEENSF_IJSE_SE_EEES9_SG_JZNS1_25segmented_radix_sort_implINS0_14default_configELb1EPKiPiPKlPlN2at6native12_GLOBAL__N_18offset_tEEE10hipError_tPvRmT1_PNSt15iterator_traitsISY_E10value_typeET2_T3_PNSZ_IS14_E10value_typeET4_jRbjT5_S1A_jjP12ihipStream_tbEUljE_EEESV_SW_SX_S14_S18_S1A_T6_T7_T9_mT8_S1C_bDpT10_ENKUlT_T0_E_clISt17integral_constantIbLb0EES1P_EEDaS1K_S1L_EUlS1K_E_NS1_11comp_targetILNS1_3genE9ELNS1_11target_archE1100ELNS1_3gpuE3ELNS1_3repE0EEENS1_30default_config_static_selectorELNS0_4arch9wavefront6targetE0EEEvSY_.has_indirect_call, 0
	.section	.AMDGPU.csdata,"",@progbits
; Kernel info:
; codeLenInByte = 0
; TotalNumSgprs: 0
; NumVgprs: 0
; ScratchSize: 0
; MemoryBound: 0
; FloatMode: 240
; IeeeMode: 1
; LDSByteSize: 0 bytes/workgroup (compile time only)
; SGPRBlocks: 0
; VGPRBlocks: 0
; NumSGPRsForWavesPerEU: 1
; NumVGPRsForWavesPerEU: 1
; Occupancy: 16
; WaveLimiterHint : 0
; COMPUTE_PGM_RSRC2:SCRATCH_EN: 0
; COMPUTE_PGM_RSRC2:USER_SGPR: 2
; COMPUTE_PGM_RSRC2:TRAP_HANDLER: 0
; COMPUTE_PGM_RSRC2:TGID_X_EN: 1
; COMPUTE_PGM_RSRC2:TGID_Y_EN: 0
; COMPUTE_PGM_RSRC2:TGID_Z_EN: 0
; COMPUTE_PGM_RSRC2:TIDIG_COMP_CNT: 0
	.section	.text._ZN7rocprim17ROCPRIM_400000_NS6detail17trampoline_kernelINS0_13select_configILj256ELj13ELNS0_17block_load_methodE3ELS4_3ELS4_3ELNS0_20block_scan_algorithmE0ELj4294967295EEENS1_25partition_config_selectorILNS1_17partition_subalgoE3EjNS0_10empty_typeEbEEZZNS1_14partition_implILS8_3ELb0ES6_jNS0_17counting_iteratorIjlEEPS9_SE_NS0_5tupleIJPjSE_EEENSF_IJSE_SE_EEES9_SG_JZNS1_25segmented_radix_sort_implINS0_14default_configELb1EPKiPiPKlPlN2at6native12_GLOBAL__N_18offset_tEEE10hipError_tPvRmT1_PNSt15iterator_traitsISY_E10value_typeET2_T3_PNSZ_IS14_E10value_typeET4_jRbjT5_S1A_jjP12ihipStream_tbEUljE_EEESV_SW_SX_S14_S18_S1A_T6_T7_T9_mT8_S1C_bDpT10_ENKUlT_T0_E_clISt17integral_constantIbLb0EES1P_EEDaS1K_S1L_EUlS1K_E_NS1_11comp_targetILNS1_3genE8ELNS1_11target_archE1030ELNS1_3gpuE2ELNS1_3repE0EEENS1_30default_config_static_selectorELNS0_4arch9wavefront6targetE0EEEvSY_,"axG",@progbits,_ZN7rocprim17ROCPRIM_400000_NS6detail17trampoline_kernelINS0_13select_configILj256ELj13ELNS0_17block_load_methodE3ELS4_3ELS4_3ELNS0_20block_scan_algorithmE0ELj4294967295EEENS1_25partition_config_selectorILNS1_17partition_subalgoE3EjNS0_10empty_typeEbEEZZNS1_14partition_implILS8_3ELb0ES6_jNS0_17counting_iteratorIjlEEPS9_SE_NS0_5tupleIJPjSE_EEENSF_IJSE_SE_EEES9_SG_JZNS1_25segmented_radix_sort_implINS0_14default_configELb1EPKiPiPKlPlN2at6native12_GLOBAL__N_18offset_tEEE10hipError_tPvRmT1_PNSt15iterator_traitsISY_E10value_typeET2_T3_PNSZ_IS14_E10value_typeET4_jRbjT5_S1A_jjP12ihipStream_tbEUljE_EEESV_SW_SX_S14_S18_S1A_T6_T7_T9_mT8_S1C_bDpT10_ENKUlT_T0_E_clISt17integral_constantIbLb0EES1P_EEDaS1K_S1L_EUlS1K_E_NS1_11comp_targetILNS1_3genE8ELNS1_11target_archE1030ELNS1_3gpuE2ELNS1_3repE0EEENS1_30default_config_static_selectorELNS0_4arch9wavefront6targetE0EEEvSY_,comdat
	.globl	_ZN7rocprim17ROCPRIM_400000_NS6detail17trampoline_kernelINS0_13select_configILj256ELj13ELNS0_17block_load_methodE3ELS4_3ELS4_3ELNS0_20block_scan_algorithmE0ELj4294967295EEENS1_25partition_config_selectorILNS1_17partition_subalgoE3EjNS0_10empty_typeEbEEZZNS1_14partition_implILS8_3ELb0ES6_jNS0_17counting_iteratorIjlEEPS9_SE_NS0_5tupleIJPjSE_EEENSF_IJSE_SE_EEES9_SG_JZNS1_25segmented_radix_sort_implINS0_14default_configELb1EPKiPiPKlPlN2at6native12_GLOBAL__N_18offset_tEEE10hipError_tPvRmT1_PNSt15iterator_traitsISY_E10value_typeET2_T3_PNSZ_IS14_E10value_typeET4_jRbjT5_S1A_jjP12ihipStream_tbEUljE_EEESV_SW_SX_S14_S18_S1A_T6_T7_T9_mT8_S1C_bDpT10_ENKUlT_T0_E_clISt17integral_constantIbLb0EES1P_EEDaS1K_S1L_EUlS1K_E_NS1_11comp_targetILNS1_3genE8ELNS1_11target_archE1030ELNS1_3gpuE2ELNS1_3repE0EEENS1_30default_config_static_selectorELNS0_4arch9wavefront6targetE0EEEvSY_ ; -- Begin function _ZN7rocprim17ROCPRIM_400000_NS6detail17trampoline_kernelINS0_13select_configILj256ELj13ELNS0_17block_load_methodE3ELS4_3ELS4_3ELNS0_20block_scan_algorithmE0ELj4294967295EEENS1_25partition_config_selectorILNS1_17partition_subalgoE3EjNS0_10empty_typeEbEEZZNS1_14partition_implILS8_3ELb0ES6_jNS0_17counting_iteratorIjlEEPS9_SE_NS0_5tupleIJPjSE_EEENSF_IJSE_SE_EEES9_SG_JZNS1_25segmented_radix_sort_implINS0_14default_configELb1EPKiPiPKlPlN2at6native12_GLOBAL__N_18offset_tEEE10hipError_tPvRmT1_PNSt15iterator_traitsISY_E10value_typeET2_T3_PNSZ_IS14_E10value_typeET4_jRbjT5_S1A_jjP12ihipStream_tbEUljE_EEESV_SW_SX_S14_S18_S1A_T6_T7_T9_mT8_S1C_bDpT10_ENKUlT_T0_E_clISt17integral_constantIbLb0EES1P_EEDaS1K_S1L_EUlS1K_E_NS1_11comp_targetILNS1_3genE8ELNS1_11target_archE1030ELNS1_3gpuE2ELNS1_3repE0EEENS1_30default_config_static_selectorELNS0_4arch9wavefront6targetE0EEEvSY_
	.p2align	8
	.type	_ZN7rocprim17ROCPRIM_400000_NS6detail17trampoline_kernelINS0_13select_configILj256ELj13ELNS0_17block_load_methodE3ELS4_3ELS4_3ELNS0_20block_scan_algorithmE0ELj4294967295EEENS1_25partition_config_selectorILNS1_17partition_subalgoE3EjNS0_10empty_typeEbEEZZNS1_14partition_implILS8_3ELb0ES6_jNS0_17counting_iteratorIjlEEPS9_SE_NS0_5tupleIJPjSE_EEENSF_IJSE_SE_EEES9_SG_JZNS1_25segmented_radix_sort_implINS0_14default_configELb1EPKiPiPKlPlN2at6native12_GLOBAL__N_18offset_tEEE10hipError_tPvRmT1_PNSt15iterator_traitsISY_E10value_typeET2_T3_PNSZ_IS14_E10value_typeET4_jRbjT5_S1A_jjP12ihipStream_tbEUljE_EEESV_SW_SX_S14_S18_S1A_T6_T7_T9_mT8_S1C_bDpT10_ENKUlT_T0_E_clISt17integral_constantIbLb0EES1P_EEDaS1K_S1L_EUlS1K_E_NS1_11comp_targetILNS1_3genE8ELNS1_11target_archE1030ELNS1_3gpuE2ELNS1_3repE0EEENS1_30default_config_static_selectorELNS0_4arch9wavefront6targetE0EEEvSY_,@function
_ZN7rocprim17ROCPRIM_400000_NS6detail17trampoline_kernelINS0_13select_configILj256ELj13ELNS0_17block_load_methodE3ELS4_3ELS4_3ELNS0_20block_scan_algorithmE0ELj4294967295EEENS1_25partition_config_selectorILNS1_17partition_subalgoE3EjNS0_10empty_typeEbEEZZNS1_14partition_implILS8_3ELb0ES6_jNS0_17counting_iteratorIjlEEPS9_SE_NS0_5tupleIJPjSE_EEENSF_IJSE_SE_EEES9_SG_JZNS1_25segmented_radix_sort_implINS0_14default_configELb1EPKiPiPKlPlN2at6native12_GLOBAL__N_18offset_tEEE10hipError_tPvRmT1_PNSt15iterator_traitsISY_E10value_typeET2_T3_PNSZ_IS14_E10value_typeET4_jRbjT5_S1A_jjP12ihipStream_tbEUljE_EEESV_SW_SX_S14_S18_S1A_T6_T7_T9_mT8_S1C_bDpT10_ENKUlT_T0_E_clISt17integral_constantIbLb0EES1P_EEDaS1K_S1L_EUlS1K_E_NS1_11comp_targetILNS1_3genE8ELNS1_11target_archE1030ELNS1_3gpuE2ELNS1_3repE0EEENS1_30default_config_static_selectorELNS0_4arch9wavefront6targetE0EEEvSY_: ; @_ZN7rocprim17ROCPRIM_400000_NS6detail17trampoline_kernelINS0_13select_configILj256ELj13ELNS0_17block_load_methodE3ELS4_3ELS4_3ELNS0_20block_scan_algorithmE0ELj4294967295EEENS1_25partition_config_selectorILNS1_17partition_subalgoE3EjNS0_10empty_typeEbEEZZNS1_14partition_implILS8_3ELb0ES6_jNS0_17counting_iteratorIjlEEPS9_SE_NS0_5tupleIJPjSE_EEENSF_IJSE_SE_EEES9_SG_JZNS1_25segmented_radix_sort_implINS0_14default_configELb1EPKiPiPKlPlN2at6native12_GLOBAL__N_18offset_tEEE10hipError_tPvRmT1_PNSt15iterator_traitsISY_E10value_typeET2_T3_PNSZ_IS14_E10value_typeET4_jRbjT5_S1A_jjP12ihipStream_tbEUljE_EEESV_SW_SX_S14_S18_S1A_T6_T7_T9_mT8_S1C_bDpT10_ENKUlT_T0_E_clISt17integral_constantIbLb0EES1P_EEDaS1K_S1L_EUlS1K_E_NS1_11comp_targetILNS1_3genE8ELNS1_11target_archE1030ELNS1_3gpuE2ELNS1_3repE0EEENS1_30default_config_static_selectorELNS0_4arch9wavefront6targetE0EEEvSY_
; %bb.0:
	.section	.rodata,"a",@progbits
	.p2align	6, 0x0
	.amdhsa_kernel _ZN7rocprim17ROCPRIM_400000_NS6detail17trampoline_kernelINS0_13select_configILj256ELj13ELNS0_17block_load_methodE3ELS4_3ELS4_3ELNS0_20block_scan_algorithmE0ELj4294967295EEENS1_25partition_config_selectorILNS1_17partition_subalgoE3EjNS0_10empty_typeEbEEZZNS1_14partition_implILS8_3ELb0ES6_jNS0_17counting_iteratorIjlEEPS9_SE_NS0_5tupleIJPjSE_EEENSF_IJSE_SE_EEES9_SG_JZNS1_25segmented_radix_sort_implINS0_14default_configELb1EPKiPiPKlPlN2at6native12_GLOBAL__N_18offset_tEEE10hipError_tPvRmT1_PNSt15iterator_traitsISY_E10value_typeET2_T3_PNSZ_IS14_E10value_typeET4_jRbjT5_S1A_jjP12ihipStream_tbEUljE_EEESV_SW_SX_S14_S18_S1A_T6_T7_T9_mT8_S1C_bDpT10_ENKUlT_T0_E_clISt17integral_constantIbLb0EES1P_EEDaS1K_S1L_EUlS1K_E_NS1_11comp_targetILNS1_3genE8ELNS1_11target_archE1030ELNS1_3gpuE2ELNS1_3repE0EEENS1_30default_config_static_selectorELNS0_4arch9wavefront6targetE0EEEvSY_
		.amdhsa_group_segment_fixed_size 0
		.amdhsa_private_segment_fixed_size 0
		.amdhsa_kernarg_size 144
		.amdhsa_user_sgpr_count 2
		.amdhsa_user_sgpr_dispatch_ptr 0
		.amdhsa_user_sgpr_queue_ptr 0
		.amdhsa_user_sgpr_kernarg_segment_ptr 1
		.amdhsa_user_sgpr_dispatch_id 0
		.amdhsa_user_sgpr_private_segment_size 0
		.amdhsa_wavefront_size32 1
		.amdhsa_uses_dynamic_stack 0
		.amdhsa_enable_private_segment 0
		.amdhsa_system_sgpr_workgroup_id_x 1
		.amdhsa_system_sgpr_workgroup_id_y 0
		.amdhsa_system_sgpr_workgroup_id_z 0
		.amdhsa_system_sgpr_workgroup_info 0
		.amdhsa_system_vgpr_workitem_id 0
		.amdhsa_next_free_vgpr 1
		.amdhsa_next_free_sgpr 1
		.amdhsa_reserve_vcc 0
		.amdhsa_float_round_mode_32 0
		.amdhsa_float_round_mode_16_64 0
		.amdhsa_float_denorm_mode_32 3
		.amdhsa_float_denorm_mode_16_64 3
		.amdhsa_fp16_overflow 0
		.amdhsa_workgroup_processor_mode 1
		.amdhsa_memory_ordered 1
		.amdhsa_forward_progress 1
		.amdhsa_inst_pref_size 0
		.amdhsa_round_robin_scheduling 0
		.amdhsa_exception_fp_ieee_invalid_op 0
		.amdhsa_exception_fp_denorm_src 0
		.amdhsa_exception_fp_ieee_div_zero 0
		.amdhsa_exception_fp_ieee_overflow 0
		.amdhsa_exception_fp_ieee_underflow 0
		.amdhsa_exception_fp_ieee_inexact 0
		.amdhsa_exception_int_div_zero 0
	.end_amdhsa_kernel
	.section	.text._ZN7rocprim17ROCPRIM_400000_NS6detail17trampoline_kernelINS0_13select_configILj256ELj13ELNS0_17block_load_methodE3ELS4_3ELS4_3ELNS0_20block_scan_algorithmE0ELj4294967295EEENS1_25partition_config_selectorILNS1_17partition_subalgoE3EjNS0_10empty_typeEbEEZZNS1_14partition_implILS8_3ELb0ES6_jNS0_17counting_iteratorIjlEEPS9_SE_NS0_5tupleIJPjSE_EEENSF_IJSE_SE_EEES9_SG_JZNS1_25segmented_radix_sort_implINS0_14default_configELb1EPKiPiPKlPlN2at6native12_GLOBAL__N_18offset_tEEE10hipError_tPvRmT1_PNSt15iterator_traitsISY_E10value_typeET2_T3_PNSZ_IS14_E10value_typeET4_jRbjT5_S1A_jjP12ihipStream_tbEUljE_EEESV_SW_SX_S14_S18_S1A_T6_T7_T9_mT8_S1C_bDpT10_ENKUlT_T0_E_clISt17integral_constantIbLb0EES1P_EEDaS1K_S1L_EUlS1K_E_NS1_11comp_targetILNS1_3genE8ELNS1_11target_archE1030ELNS1_3gpuE2ELNS1_3repE0EEENS1_30default_config_static_selectorELNS0_4arch9wavefront6targetE0EEEvSY_,"axG",@progbits,_ZN7rocprim17ROCPRIM_400000_NS6detail17trampoline_kernelINS0_13select_configILj256ELj13ELNS0_17block_load_methodE3ELS4_3ELS4_3ELNS0_20block_scan_algorithmE0ELj4294967295EEENS1_25partition_config_selectorILNS1_17partition_subalgoE3EjNS0_10empty_typeEbEEZZNS1_14partition_implILS8_3ELb0ES6_jNS0_17counting_iteratorIjlEEPS9_SE_NS0_5tupleIJPjSE_EEENSF_IJSE_SE_EEES9_SG_JZNS1_25segmented_radix_sort_implINS0_14default_configELb1EPKiPiPKlPlN2at6native12_GLOBAL__N_18offset_tEEE10hipError_tPvRmT1_PNSt15iterator_traitsISY_E10value_typeET2_T3_PNSZ_IS14_E10value_typeET4_jRbjT5_S1A_jjP12ihipStream_tbEUljE_EEESV_SW_SX_S14_S18_S1A_T6_T7_T9_mT8_S1C_bDpT10_ENKUlT_T0_E_clISt17integral_constantIbLb0EES1P_EEDaS1K_S1L_EUlS1K_E_NS1_11comp_targetILNS1_3genE8ELNS1_11target_archE1030ELNS1_3gpuE2ELNS1_3repE0EEENS1_30default_config_static_selectorELNS0_4arch9wavefront6targetE0EEEvSY_,comdat
.Lfunc_end472:
	.size	_ZN7rocprim17ROCPRIM_400000_NS6detail17trampoline_kernelINS0_13select_configILj256ELj13ELNS0_17block_load_methodE3ELS4_3ELS4_3ELNS0_20block_scan_algorithmE0ELj4294967295EEENS1_25partition_config_selectorILNS1_17partition_subalgoE3EjNS0_10empty_typeEbEEZZNS1_14partition_implILS8_3ELb0ES6_jNS0_17counting_iteratorIjlEEPS9_SE_NS0_5tupleIJPjSE_EEENSF_IJSE_SE_EEES9_SG_JZNS1_25segmented_radix_sort_implINS0_14default_configELb1EPKiPiPKlPlN2at6native12_GLOBAL__N_18offset_tEEE10hipError_tPvRmT1_PNSt15iterator_traitsISY_E10value_typeET2_T3_PNSZ_IS14_E10value_typeET4_jRbjT5_S1A_jjP12ihipStream_tbEUljE_EEESV_SW_SX_S14_S18_S1A_T6_T7_T9_mT8_S1C_bDpT10_ENKUlT_T0_E_clISt17integral_constantIbLb0EES1P_EEDaS1K_S1L_EUlS1K_E_NS1_11comp_targetILNS1_3genE8ELNS1_11target_archE1030ELNS1_3gpuE2ELNS1_3repE0EEENS1_30default_config_static_selectorELNS0_4arch9wavefront6targetE0EEEvSY_, .Lfunc_end472-_ZN7rocprim17ROCPRIM_400000_NS6detail17trampoline_kernelINS0_13select_configILj256ELj13ELNS0_17block_load_methodE3ELS4_3ELS4_3ELNS0_20block_scan_algorithmE0ELj4294967295EEENS1_25partition_config_selectorILNS1_17partition_subalgoE3EjNS0_10empty_typeEbEEZZNS1_14partition_implILS8_3ELb0ES6_jNS0_17counting_iteratorIjlEEPS9_SE_NS0_5tupleIJPjSE_EEENSF_IJSE_SE_EEES9_SG_JZNS1_25segmented_radix_sort_implINS0_14default_configELb1EPKiPiPKlPlN2at6native12_GLOBAL__N_18offset_tEEE10hipError_tPvRmT1_PNSt15iterator_traitsISY_E10value_typeET2_T3_PNSZ_IS14_E10value_typeET4_jRbjT5_S1A_jjP12ihipStream_tbEUljE_EEESV_SW_SX_S14_S18_S1A_T6_T7_T9_mT8_S1C_bDpT10_ENKUlT_T0_E_clISt17integral_constantIbLb0EES1P_EEDaS1K_S1L_EUlS1K_E_NS1_11comp_targetILNS1_3genE8ELNS1_11target_archE1030ELNS1_3gpuE2ELNS1_3repE0EEENS1_30default_config_static_selectorELNS0_4arch9wavefront6targetE0EEEvSY_
                                        ; -- End function
	.set _ZN7rocprim17ROCPRIM_400000_NS6detail17trampoline_kernelINS0_13select_configILj256ELj13ELNS0_17block_load_methodE3ELS4_3ELS4_3ELNS0_20block_scan_algorithmE0ELj4294967295EEENS1_25partition_config_selectorILNS1_17partition_subalgoE3EjNS0_10empty_typeEbEEZZNS1_14partition_implILS8_3ELb0ES6_jNS0_17counting_iteratorIjlEEPS9_SE_NS0_5tupleIJPjSE_EEENSF_IJSE_SE_EEES9_SG_JZNS1_25segmented_radix_sort_implINS0_14default_configELb1EPKiPiPKlPlN2at6native12_GLOBAL__N_18offset_tEEE10hipError_tPvRmT1_PNSt15iterator_traitsISY_E10value_typeET2_T3_PNSZ_IS14_E10value_typeET4_jRbjT5_S1A_jjP12ihipStream_tbEUljE_EEESV_SW_SX_S14_S18_S1A_T6_T7_T9_mT8_S1C_bDpT10_ENKUlT_T0_E_clISt17integral_constantIbLb0EES1P_EEDaS1K_S1L_EUlS1K_E_NS1_11comp_targetILNS1_3genE8ELNS1_11target_archE1030ELNS1_3gpuE2ELNS1_3repE0EEENS1_30default_config_static_selectorELNS0_4arch9wavefront6targetE0EEEvSY_.num_vgpr, 0
	.set _ZN7rocprim17ROCPRIM_400000_NS6detail17trampoline_kernelINS0_13select_configILj256ELj13ELNS0_17block_load_methodE3ELS4_3ELS4_3ELNS0_20block_scan_algorithmE0ELj4294967295EEENS1_25partition_config_selectorILNS1_17partition_subalgoE3EjNS0_10empty_typeEbEEZZNS1_14partition_implILS8_3ELb0ES6_jNS0_17counting_iteratorIjlEEPS9_SE_NS0_5tupleIJPjSE_EEENSF_IJSE_SE_EEES9_SG_JZNS1_25segmented_radix_sort_implINS0_14default_configELb1EPKiPiPKlPlN2at6native12_GLOBAL__N_18offset_tEEE10hipError_tPvRmT1_PNSt15iterator_traitsISY_E10value_typeET2_T3_PNSZ_IS14_E10value_typeET4_jRbjT5_S1A_jjP12ihipStream_tbEUljE_EEESV_SW_SX_S14_S18_S1A_T6_T7_T9_mT8_S1C_bDpT10_ENKUlT_T0_E_clISt17integral_constantIbLb0EES1P_EEDaS1K_S1L_EUlS1K_E_NS1_11comp_targetILNS1_3genE8ELNS1_11target_archE1030ELNS1_3gpuE2ELNS1_3repE0EEENS1_30default_config_static_selectorELNS0_4arch9wavefront6targetE0EEEvSY_.num_agpr, 0
	.set _ZN7rocprim17ROCPRIM_400000_NS6detail17trampoline_kernelINS0_13select_configILj256ELj13ELNS0_17block_load_methodE3ELS4_3ELS4_3ELNS0_20block_scan_algorithmE0ELj4294967295EEENS1_25partition_config_selectorILNS1_17partition_subalgoE3EjNS0_10empty_typeEbEEZZNS1_14partition_implILS8_3ELb0ES6_jNS0_17counting_iteratorIjlEEPS9_SE_NS0_5tupleIJPjSE_EEENSF_IJSE_SE_EEES9_SG_JZNS1_25segmented_radix_sort_implINS0_14default_configELb1EPKiPiPKlPlN2at6native12_GLOBAL__N_18offset_tEEE10hipError_tPvRmT1_PNSt15iterator_traitsISY_E10value_typeET2_T3_PNSZ_IS14_E10value_typeET4_jRbjT5_S1A_jjP12ihipStream_tbEUljE_EEESV_SW_SX_S14_S18_S1A_T6_T7_T9_mT8_S1C_bDpT10_ENKUlT_T0_E_clISt17integral_constantIbLb0EES1P_EEDaS1K_S1L_EUlS1K_E_NS1_11comp_targetILNS1_3genE8ELNS1_11target_archE1030ELNS1_3gpuE2ELNS1_3repE0EEENS1_30default_config_static_selectorELNS0_4arch9wavefront6targetE0EEEvSY_.numbered_sgpr, 0
	.set _ZN7rocprim17ROCPRIM_400000_NS6detail17trampoline_kernelINS0_13select_configILj256ELj13ELNS0_17block_load_methodE3ELS4_3ELS4_3ELNS0_20block_scan_algorithmE0ELj4294967295EEENS1_25partition_config_selectorILNS1_17partition_subalgoE3EjNS0_10empty_typeEbEEZZNS1_14partition_implILS8_3ELb0ES6_jNS0_17counting_iteratorIjlEEPS9_SE_NS0_5tupleIJPjSE_EEENSF_IJSE_SE_EEES9_SG_JZNS1_25segmented_radix_sort_implINS0_14default_configELb1EPKiPiPKlPlN2at6native12_GLOBAL__N_18offset_tEEE10hipError_tPvRmT1_PNSt15iterator_traitsISY_E10value_typeET2_T3_PNSZ_IS14_E10value_typeET4_jRbjT5_S1A_jjP12ihipStream_tbEUljE_EEESV_SW_SX_S14_S18_S1A_T6_T7_T9_mT8_S1C_bDpT10_ENKUlT_T0_E_clISt17integral_constantIbLb0EES1P_EEDaS1K_S1L_EUlS1K_E_NS1_11comp_targetILNS1_3genE8ELNS1_11target_archE1030ELNS1_3gpuE2ELNS1_3repE0EEENS1_30default_config_static_selectorELNS0_4arch9wavefront6targetE0EEEvSY_.num_named_barrier, 0
	.set _ZN7rocprim17ROCPRIM_400000_NS6detail17trampoline_kernelINS0_13select_configILj256ELj13ELNS0_17block_load_methodE3ELS4_3ELS4_3ELNS0_20block_scan_algorithmE0ELj4294967295EEENS1_25partition_config_selectorILNS1_17partition_subalgoE3EjNS0_10empty_typeEbEEZZNS1_14partition_implILS8_3ELb0ES6_jNS0_17counting_iteratorIjlEEPS9_SE_NS0_5tupleIJPjSE_EEENSF_IJSE_SE_EEES9_SG_JZNS1_25segmented_radix_sort_implINS0_14default_configELb1EPKiPiPKlPlN2at6native12_GLOBAL__N_18offset_tEEE10hipError_tPvRmT1_PNSt15iterator_traitsISY_E10value_typeET2_T3_PNSZ_IS14_E10value_typeET4_jRbjT5_S1A_jjP12ihipStream_tbEUljE_EEESV_SW_SX_S14_S18_S1A_T6_T7_T9_mT8_S1C_bDpT10_ENKUlT_T0_E_clISt17integral_constantIbLb0EES1P_EEDaS1K_S1L_EUlS1K_E_NS1_11comp_targetILNS1_3genE8ELNS1_11target_archE1030ELNS1_3gpuE2ELNS1_3repE0EEENS1_30default_config_static_selectorELNS0_4arch9wavefront6targetE0EEEvSY_.private_seg_size, 0
	.set _ZN7rocprim17ROCPRIM_400000_NS6detail17trampoline_kernelINS0_13select_configILj256ELj13ELNS0_17block_load_methodE3ELS4_3ELS4_3ELNS0_20block_scan_algorithmE0ELj4294967295EEENS1_25partition_config_selectorILNS1_17partition_subalgoE3EjNS0_10empty_typeEbEEZZNS1_14partition_implILS8_3ELb0ES6_jNS0_17counting_iteratorIjlEEPS9_SE_NS0_5tupleIJPjSE_EEENSF_IJSE_SE_EEES9_SG_JZNS1_25segmented_radix_sort_implINS0_14default_configELb1EPKiPiPKlPlN2at6native12_GLOBAL__N_18offset_tEEE10hipError_tPvRmT1_PNSt15iterator_traitsISY_E10value_typeET2_T3_PNSZ_IS14_E10value_typeET4_jRbjT5_S1A_jjP12ihipStream_tbEUljE_EEESV_SW_SX_S14_S18_S1A_T6_T7_T9_mT8_S1C_bDpT10_ENKUlT_T0_E_clISt17integral_constantIbLb0EES1P_EEDaS1K_S1L_EUlS1K_E_NS1_11comp_targetILNS1_3genE8ELNS1_11target_archE1030ELNS1_3gpuE2ELNS1_3repE0EEENS1_30default_config_static_selectorELNS0_4arch9wavefront6targetE0EEEvSY_.uses_vcc, 0
	.set _ZN7rocprim17ROCPRIM_400000_NS6detail17trampoline_kernelINS0_13select_configILj256ELj13ELNS0_17block_load_methodE3ELS4_3ELS4_3ELNS0_20block_scan_algorithmE0ELj4294967295EEENS1_25partition_config_selectorILNS1_17partition_subalgoE3EjNS0_10empty_typeEbEEZZNS1_14partition_implILS8_3ELb0ES6_jNS0_17counting_iteratorIjlEEPS9_SE_NS0_5tupleIJPjSE_EEENSF_IJSE_SE_EEES9_SG_JZNS1_25segmented_radix_sort_implINS0_14default_configELb1EPKiPiPKlPlN2at6native12_GLOBAL__N_18offset_tEEE10hipError_tPvRmT1_PNSt15iterator_traitsISY_E10value_typeET2_T3_PNSZ_IS14_E10value_typeET4_jRbjT5_S1A_jjP12ihipStream_tbEUljE_EEESV_SW_SX_S14_S18_S1A_T6_T7_T9_mT8_S1C_bDpT10_ENKUlT_T0_E_clISt17integral_constantIbLb0EES1P_EEDaS1K_S1L_EUlS1K_E_NS1_11comp_targetILNS1_3genE8ELNS1_11target_archE1030ELNS1_3gpuE2ELNS1_3repE0EEENS1_30default_config_static_selectorELNS0_4arch9wavefront6targetE0EEEvSY_.uses_flat_scratch, 0
	.set _ZN7rocprim17ROCPRIM_400000_NS6detail17trampoline_kernelINS0_13select_configILj256ELj13ELNS0_17block_load_methodE3ELS4_3ELS4_3ELNS0_20block_scan_algorithmE0ELj4294967295EEENS1_25partition_config_selectorILNS1_17partition_subalgoE3EjNS0_10empty_typeEbEEZZNS1_14partition_implILS8_3ELb0ES6_jNS0_17counting_iteratorIjlEEPS9_SE_NS0_5tupleIJPjSE_EEENSF_IJSE_SE_EEES9_SG_JZNS1_25segmented_radix_sort_implINS0_14default_configELb1EPKiPiPKlPlN2at6native12_GLOBAL__N_18offset_tEEE10hipError_tPvRmT1_PNSt15iterator_traitsISY_E10value_typeET2_T3_PNSZ_IS14_E10value_typeET4_jRbjT5_S1A_jjP12ihipStream_tbEUljE_EEESV_SW_SX_S14_S18_S1A_T6_T7_T9_mT8_S1C_bDpT10_ENKUlT_T0_E_clISt17integral_constantIbLb0EES1P_EEDaS1K_S1L_EUlS1K_E_NS1_11comp_targetILNS1_3genE8ELNS1_11target_archE1030ELNS1_3gpuE2ELNS1_3repE0EEENS1_30default_config_static_selectorELNS0_4arch9wavefront6targetE0EEEvSY_.has_dyn_sized_stack, 0
	.set _ZN7rocprim17ROCPRIM_400000_NS6detail17trampoline_kernelINS0_13select_configILj256ELj13ELNS0_17block_load_methodE3ELS4_3ELS4_3ELNS0_20block_scan_algorithmE0ELj4294967295EEENS1_25partition_config_selectorILNS1_17partition_subalgoE3EjNS0_10empty_typeEbEEZZNS1_14partition_implILS8_3ELb0ES6_jNS0_17counting_iteratorIjlEEPS9_SE_NS0_5tupleIJPjSE_EEENSF_IJSE_SE_EEES9_SG_JZNS1_25segmented_radix_sort_implINS0_14default_configELb1EPKiPiPKlPlN2at6native12_GLOBAL__N_18offset_tEEE10hipError_tPvRmT1_PNSt15iterator_traitsISY_E10value_typeET2_T3_PNSZ_IS14_E10value_typeET4_jRbjT5_S1A_jjP12ihipStream_tbEUljE_EEESV_SW_SX_S14_S18_S1A_T6_T7_T9_mT8_S1C_bDpT10_ENKUlT_T0_E_clISt17integral_constantIbLb0EES1P_EEDaS1K_S1L_EUlS1K_E_NS1_11comp_targetILNS1_3genE8ELNS1_11target_archE1030ELNS1_3gpuE2ELNS1_3repE0EEENS1_30default_config_static_selectorELNS0_4arch9wavefront6targetE0EEEvSY_.has_recursion, 0
	.set _ZN7rocprim17ROCPRIM_400000_NS6detail17trampoline_kernelINS0_13select_configILj256ELj13ELNS0_17block_load_methodE3ELS4_3ELS4_3ELNS0_20block_scan_algorithmE0ELj4294967295EEENS1_25partition_config_selectorILNS1_17partition_subalgoE3EjNS0_10empty_typeEbEEZZNS1_14partition_implILS8_3ELb0ES6_jNS0_17counting_iteratorIjlEEPS9_SE_NS0_5tupleIJPjSE_EEENSF_IJSE_SE_EEES9_SG_JZNS1_25segmented_radix_sort_implINS0_14default_configELb1EPKiPiPKlPlN2at6native12_GLOBAL__N_18offset_tEEE10hipError_tPvRmT1_PNSt15iterator_traitsISY_E10value_typeET2_T3_PNSZ_IS14_E10value_typeET4_jRbjT5_S1A_jjP12ihipStream_tbEUljE_EEESV_SW_SX_S14_S18_S1A_T6_T7_T9_mT8_S1C_bDpT10_ENKUlT_T0_E_clISt17integral_constantIbLb0EES1P_EEDaS1K_S1L_EUlS1K_E_NS1_11comp_targetILNS1_3genE8ELNS1_11target_archE1030ELNS1_3gpuE2ELNS1_3repE0EEENS1_30default_config_static_selectorELNS0_4arch9wavefront6targetE0EEEvSY_.has_indirect_call, 0
	.section	.AMDGPU.csdata,"",@progbits
; Kernel info:
; codeLenInByte = 0
; TotalNumSgprs: 0
; NumVgprs: 0
; ScratchSize: 0
; MemoryBound: 0
; FloatMode: 240
; IeeeMode: 1
; LDSByteSize: 0 bytes/workgroup (compile time only)
; SGPRBlocks: 0
; VGPRBlocks: 0
; NumSGPRsForWavesPerEU: 1
; NumVGPRsForWavesPerEU: 1
; Occupancy: 16
; WaveLimiterHint : 0
; COMPUTE_PGM_RSRC2:SCRATCH_EN: 0
; COMPUTE_PGM_RSRC2:USER_SGPR: 2
; COMPUTE_PGM_RSRC2:TRAP_HANDLER: 0
; COMPUTE_PGM_RSRC2:TGID_X_EN: 1
; COMPUTE_PGM_RSRC2:TGID_Y_EN: 0
; COMPUTE_PGM_RSRC2:TGID_Z_EN: 0
; COMPUTE_PGM_RSRC2:TIDIG_COMP_CNT: 0
	.section	.text._ZN7rocprim17ROCPRIM_400000_NS6detail17trampoline_kernelINS0_13select_configILj256ELj13ELNS0_17block_load_methodE3ELS4_3ELS4_3ELNS0_20block_scan_algorithmE0ELj4294967295EEENS1_25partition_config_selectorILNS1_17partition_subalgoE3EjNS0_10empty_typeEbEEZZNS1_14partition_implILS8_3ELb0ES6_jNS0_17counting_iteratorIjlEEPS9_SE_NS0_5tupleIJPjSE_EEENSF_IJSE_SE_EEES9_SG_JZNS1_25segmented_radix_sort_implINS0_14default_configELb1EPKiPiPKlPlN2at6native12_GLOBAL__N_18offset_tEEE10hipError_tPvRmT1_PNSt15iterator_traitsISY_E10value_typeET2_T3_PNSZ_IS14_E10value_typeET4_jRbjT5_S1A_jjP12ihipStream_tbEUljE_EEESV_SW_SX_S14_S18_S1A_T6_T7_T9_mT8_S1C_bDpT10_ENKUlT_T0_E_clISt17integral_constantIbLb1EES1P_EEDaS1K_S1L_EUlS1K_E_NS1_11comp_targetILNS1_3genE0ELNS1_11target_archE4294967295ELNS1_3gpuE0ELNS1_3repE0EEENS1_30default_config_static_selectorELNS0_4arch9wavefront6targetE0EEEvSY_,"axG",@progbits,_ZN7rocprim17ROCPRIM_400000_NS6detail17trampoline_kernelINS0_13select_configILj256ELj13ELNS0_17block_load_methodE3ELS4_3ELS4_3ELNS0_20block_scan_algorithmE0ELj4294967295EEENS1_25partition_config_selectorILNS1_17partition_subalgoE3EjNS0_10empty_typeEbEEZZNS1_14partition_implILS8_3ELb0ES6_jNS0_17counting_iteratorIjlEEPS9_SE_NS0_5tupleIJPjSE_EEENSF_IJSE_SE_EEES9_SG_JZNS1_25segmented_radix_sort_implINS0_14default_configELb1EPKiPiPKlPlN2at6native12_GLOBAL__N_18offset_tEEE10hipError_tPvRmT1_PNSt15iterator_traitsISY_E10value_typeET2_T3_PNSZ_IS14_E10value_typeET4_jRbjT5_S1A_jjP12ihipStream_tbEUljE_EEESV_SW_SX_S14_S18_S1A_T6_T7_T9_mT8_S1C_bDpT10_ENKUlT_T0_E_clISt17integral_constantIbLb1EES1P_EEDaS1K_S1L_EUlS1K_E_NS1_11comp_targetILNS1_3genE0ELNS1_11target_archE4294967295ELNS1_3gpuE0ELNS1_3repE0EEENS1_30default_config_static_selectorELNS0_4arch9wavefront6targetE0EEEvSY_,comdat
	.globl	_ZN7rocprim17ROCPRIM_400000_NS6detail17trampoline_kernelINS0_13select_configILj256ELj13ELNS0_17block_load_methodE3ELS4_3ELS4_3ELNS0_20block_scan_algorithmE0ELj4294967295EEENS1_25partition_config_selectorILNS1_17partition_subalgoE3EjNS0_10empty_typeEbEEZZNS1_14partition_implILS8_3ELb0ES6_jNS0_17counting_iteratorIjlEEPS9_SE_NS0_5tupleIJPjSE_EEENSF_IJSE_SE_EEES9_SG_JZNS1_25segmented_radix_sort_implINS0_14default_configELb1EPKiPiPKlPlN2at6native12_GLOBAL__N_18offset_tEEE10hipError_tPvRmT1_PNSt15iterator_traitsISY_E10value_typeET2_T3_PNSZ_IS14_E10value_typeET4_jRbjT5_S1A_jjP12ihipStream_tbEUljE_EEESV_SW_SX_S14_S18_S1A_T6_T7_T9_mT8_S1C_bDpT10_ENKUlT_T0_E_clISt17integral_constantIbLb1EES1P_EEDaS1K_S1L_EUlS1K_E_NS1_11comp_targetILNS1_3genE0ELNS1_11target_archE4294967295ELNS1_3gpuE0ELNS1_3repE0EEENS1_30default_config_static_selectorELNS0_4arch9wavefront6targetE0EEEvSY_ ; -- Begin function _ZN7rocprim17ROCPRIM_400000_NS6detail17trampoline_kernelINS0_13select_configILj256ELj13ELNS0_17block_load_methodE3ELS4_3ELS4_3ELNS0_20block_scan_algorithmE0ELj4294967295EEENS1_25partition_config_selectorILNS1_17partition_subalgoE3EjNS0_10empty_typeEbEEZZNS1_14partition_implILS8_3ELb0ES6_jNS0_17counting_iteratorIjlEEPS9_SE_NS0_5tupleIJPjSE_EEENSF_IJSE_SE_EEES9_SG_JZNS1_25segmented_radix_sort_implINS0_14default_configELb1EPKiPiPKlPlN2at6native12_GLOBAL__N_18offset_tEEE10hipError_tPvRmT1_PNSt15iterator_traitsISY_E10value_typeET2_T3_PNSZ_IS14_E10value_typeET4_jRbjT5_S1A_jjP12ihipStream_tbEUljE_EEESV_SW_SX_S14_S18_S1A_T6_T7_T9_mT8_S1C_bDpT10_ENKUlT_T0_E_clISt17integral_constantIbLb1EES1P_EEDaS1K_S1L_EUlS1K_E_NS1_11comp_targetILNS1_3genE0ELNS1_11target_archE4294967295ELNS1_3gpuE0ELNS1_3repE0EEENS1_30default_config_static_selectorELNS0_4arch9wavefront6targetE0EEEvSY_
	.p2align	8
	.type	_ZN7rocprim17ROCPRIM_400000_NS6detail17trampoline_kernelINS0_13select_configILj256ELj13ELNS0_17block_load_methodE3ELS4_3ELS4_3ELNS0_20block_scan_algorithmE0ELj4294967295EEENS1_25partition_config_selectorILNS1_17partition_subalgoE3EjNS0_10empty_typeEbEEZZNS1_14partition_implILS8_3ELb0ES6_jNS0_17counting_iteratorIjlEEPS9_SE_NS0_5tupleIJPjSE_EEENSF_IJSE_SE_EEES9_SG_JZNS1_25segmented_radix_sort_implINS0_14default_configELb1EPKiPiPKlPlN2at6native12_GLOBAL__N_18offset_tEEE10hipError_tPvRmT1_PNSt15iterator_traitsISY_E10value_typeET2_T3_PNSZ_IS14_E10value_typeET4_jRbjT5_S1A_jjP12ihipStream_tbEUljE_EEESV_SW_SX_S14_S18_S1A_T6_T7_T9_mT8_S1C_bDpT10_ENKUlT_T0_E_clISt17integral_constantIbLb1EES1P_EEDaS1K_S1L_EUlS1K_E_NS1_11comp_targetILNS1_3genE0ELNS1_11target_archE4294967295ELNS1_3gpuE0ELNS1_3repE0EEENS1_30default_config_static_selectorELNS0_4arch9wavefront6targetE0EEEvSY_,@function
_ZN7rocprim17ROCPRIM_400000_NS6detail17trampoline_kernelINS0_13select_configILj256ELj13ELNS0_17block_load_methodE3ELS4_3ELS4_3ELNS0_20block_scan_algorithmE0ELj4294967295EEENS1_25partition_config_selectorILNS1_17partition_subalgoE3EjNS0_10empty_typeEbEEZZNS1_14partition_implILS8_3ELb0ES6_jNS0_17counting_iteratorIjlEEPS9_SE_NS0_5tupleIJPjSE_EEENSF_IJSE_SE_EEES9_SG_JZNS1_25segmented_radix_sort_implINS0_14default_configELb1EPKiPiPKlPlN2at6native12_GLOBAL__N_18offset_tEEE10hipError_tPvRmT1_PNSt15iterator_traitsISY_E10value_typeET2_T3_PNSZ_IS14_E10value_typeET4_jRbjT5_S1A_jjP12ihipStream_tbEUljE_EEESV_SW_SX_S14_S18_S1A_T6_T7_T9_mT8_S1C_bDpT10_ENKUlT_T0_E_clISt17integral_constantIbLb1EES1P_EEDaS1K_S1L_EUlS1K_E_NS1_11comp_targetILNS1_3genE0ELNS1_11target_archE4294967295ELNS1_3gpuE0ELNS1_3repE0EEENS1_30default_config_static_selectorELNS0_4arch9wavefront6targetE0EEEvSY_: ; @_ZN7rocprim17ROCPRIM_400000_NS6detail17trampoline_kernelINS0_13select_configILj256ELj13ELNS0_17block_load_methodE3ELS4_3ELS4_3ELNS0_20block_scan_algorithmE0ELj4294967295EEENS1_25partition_config_selectorILNS1_17partition_subalgoE3EjNS0_10empty_typeEbEEZZNS1_14partition_implILS8_3ELb0ES6_jNS0_17counting_iteratorIjlEEPS9_SE_NS0_5tupleIJPjSE_EEENSF_IJSE_SE_EEES9_SG_JZNS1_25segmented_radix_sort_implINS0_14default_configELb1EPKiPiPKlPlN2at6native12_GLOBAL__N_18offset_tEEE10hipError_tPvRmT1_PNSt15iterator_traitsISY_E10value_typeET2_T3_PNSZ_IS14_E10value_typeET4_jRbjT5_S1A_jjP12ihipStream_tbEUljE_EEESV_SW_SX_S14_S18_S1A_T6_T7_T9_mT8_S1C_bDpT10_ENKUlT_T0_E_clISt17integral_constantIbLb1EES1P_EEDaS1K_S1L_EUlS1K_E_NS1_11comp_targetILNS1_3genE0ELNS1_11target_archE4294967295ELNS1_3gpuE0ELNS1_3repE0EEENS1_30default_config_static_selectorELNS0_4arch9wavefront6targetE0EEEvSY_
; %bb.0:
	.section	.rodata,"a",@progbits
	.p2align	6, 0x0
	.amdhsa_kernel _ZN7rocprim17ROCPRIM_400000_NS6detail17trampoline_kernelINS0_13select_configILj256ELj13ELNS0_17block_load_methodE3ELS4_3ELS4_3ELNS0_20block_scan_algorithmE0ELj4294967295EEENS1_25partition_config_selectorILNS1_17partition_subalgoE3EjNS0_10empty_typeEbEEZZNS1_14partition_implILS8_3ELb0ES6_jNS0_17counting_iteratorIjlEEPS9_SE_NS0_5tupleIJPjSE_EEENSF_IJSE_SE_EEES9_SG_JZNS1_25segmented_radix_sort_implINS0_14default_configELb1EPKiPiPKlPlN2at6native12_GLOBAL__N_18offset_tEEE10hipError_tPvRmT1_PNSt15iterator_traitsISY_E10value_typeET2_T3_PNSZ_IS14_E10value_typeET4_jRbjT5_S1A_jjP12ihipStream_tbEUljE_EEESV_SW_SX_S14_S18_S1A_T6_T7_T9_mT8_S1C_bDpT10_ENKUlT_T0_E_clISt17integral_constantIbLb1EES1P_EEDaS1K_S1L_EUlS1K_E_NS1_11comp_targetILNS1_3genE0ELNS1_11target_archE4294967295ELNS1_3gpuE0ELNS1_3repE0EEENS1_30default_config_static_selectorELNS0_4arch9wavefront6targetE0EEEvSY_
		.amdhsa_group_segment_fixed_size 0
		.amdhsa_private_segment_fixed_size 0
		.amdhsa_kernarg_size 152
		.amdhsa_user_sgpr_count 2
		.amdhsa_user_sgpr_dispatch_ptr 0
		.amdhsa_user_sgpr_queue_ptr 0
		.amdhsa_user_sgpr_kernarg_segment_ptr 1
		.amdhsa_user_sgpr_dispatch_id 0
		.amdhsa_user_sgpr_private_segment_size 0
		.amdhsa_wavefront_size32 1
		.amdhsa_uses_dynamic_stack 0
		.amdhsa_enable_private_segment 0
		.amdhsa_system_sgpr_workgroup_id_x 1
		.amdhsa_system_sgpr_workgroup_id_y 0
		.amdhsa_system_sgpr_workgroup_id_z 0
		.amdhsa_system_sgpr_workgroup_info 0
		.amdhsa_system_vgpr_workitem_id 0
		.amdhsa_next_free_vgpr 1
		.amdhsa_next_free_sgpr 1
		.amdhsa_reserve_vcc 0
		.amdhsa_float_round_mode_32 0
		.amdhsa_float_round_mode_16_64 0
		.amdhsa_float_denorm_mode_32 3
		.amdhsa_float_denorm_mode_16_64 3
		.amdhsa_fp16_overflow 0
		.amdhsa_workgroup_processor_mode 1
		.amdhsa_memory_ordered 1
		.amdhsa_forward_progress 1
		.amdhsa_inst_pref_size 0
		.amdhsa_round_robin_scheduling 0
		.amdhsa_exception_fp_ieee_invalid_op 0
		.amdhsa_exception_fp_denorm_src 0
		.amdhsa_exception_fp_ieee_div_zero 0
		.amdhsa_exception_fp_ieee_overflow 0
		.amdhsa_exception_fp_ieee_underflow 0
		.amdhsa_exception_fp_ieee_inexact 0
		.amdhsa_exception_int_div_zero 0
	.end_amdhsa_kernel
	.section	.text._ZN7rocprim17ROCPRIM_400000_NS6detail17trampoline_kernelINS0_13select_configILj256ELj13ELNS0_17block_load_methodE3ELS4_3ELS4_3ELNS0_20block_scan_algorithmE0ELj4294967295EEENS1_25partition_config_selectorILNS1_17partition_subalgoE3EjNS0_10empty_typeEbEEZZNS1_14partition_implILS8_3ELb0ES6_jNS0_17counting_iteratorIjlEEPS9_SE_NS0_5tupleIJPjSE_EEENSF_IJSE_SE_EEES9_SG_JZNS1_25segmented_radix_sort_implINS0_14default_configELb1EPKiPiPKlPlN2at6native12_GLOBAL__N_18offset_tEEE10hipError_tPvRmT1_PNSt15iterator_traitsISY_E10value_typeET2_T3_PNSZ_IS14_E10value_typeET4_jRbjT5_S1A_jjP12ihipStream_tbEUljE_EEESV_SW_SX_S14_S18_S1A_T6_T7_T9_mT8_S1C_bDpT10_ENKUlT_T0_E_clISt17integral_constantIbLb1EES1P_EEDaS1K_S1L_EUlS1K_E_NS1_11comp_targetILNS1_3genE0ELNS1_11target_archE4294967295ELNS1_3gpuE0ELNS1_3repE0EEENS1_30default_config_static_selectorELNS0_4arch9wavefront6targetE0EEEvSY_,"axG",@progbits,_ZN7rocprim17ROCPRIM_400000_NS6detail17trampoline_kernelINS0_13select_configILj256ELj13ELNS0_17block_load_methodE3ELS4_3ELS4_3ELNS0_20block_scan_algorithmE0ELj4294967295EEENS1_25partition_config_selectorILNS1_17partition_subalgoE3EjNS0_10empty_typeEbEEZZNS1_14partition_implILS8_3ELb0ES6_jNS0_17counting_iteratorIjlEEPS9_SE_NS0_5tupleIJPjSE_EEENSF_IJSE_SE_EEES9_SG_JZNS1_25segmented_radix_sort_implINS0_14default_configELb1EPKiPiPKlPlN2at6native12_GLOBAL__N_18offset_tEEE10hipError_tPvRmT1_PNSt15iterator_traitsISY_E10value_typeET2_T3_PNSZ_IS14_E10value_typeET4_jRbjT5_S1A_jjP12ihipStream_tbEUljE_EEESV_SW_SX_S14_S18_S1A_T6_T7_T9_mT8_S1C_bDpT10_ENKUlT_T0_E_clISt17integral_constantIbLb1EES1P_EEDaS1K_S1L_EUlS1K_E_NS1_11comp_targetILNS1_3genE0ELNS1_11target_archE4294967295ELNS1_3gpuE0ELNS1_3repE0EEENS1_30default_config_static_selectorELNS0_4arch9wavefront6targetE0EEEvSY_,comdat
.Lfunc_end473:
	.size	_ZN7rocprim17ROCPRIM_400000_NS6detail17trampoline_kernelINS0_13select_configILj256ELj13ELNS0_17block_load_methodE3ELS4_3ELS4_3ELNS0_20block_scan_algorithmE0ELj4294967295EEENS1_25partition_config_selectorILNS1_17partition_subalgoE3EjNS0_10empty_typeEbEEZZNS1_14partition_implILS8_3ELb0ES6_jNS0_17counting_iteratorIjlEEPS9_SE_NS0_5tupleIJPjSE_EEENSF_IJSE_SE_EEES9_SG_JZNS1_25segmented_radix_sort_implINS0_14default_configELb1EPKiPiPKlPlN2at6native12_GLOBAL__N_18offset_tEEE10hipError_tPvRmT1_PNSt15iterator_traitsISY_E10value_typeET2_T3_PNSZ_IS14_E10value_typeET4_jRbjT5_S1A_jjP12ihipStream_tbEUljE_EEESV_SW_SX_S14_S18_S1A_T6_T7_T9_mT8_S1C_bDpT10_ENKUlT_T0_E_clISt17integral_constantIbLb1EES1P_EEDaS1K_S1L_EUlS1K_E_NS1_11comp_targetILNS1_3genE0ELNS1_11target_archE4294967295ELNS1_3gpuE0ELNS1_3repE0EEENS1_30default_config_static_selectorELNS0_4arch9wavefront6targetE0EEEvSY_, .Lfunc_end473-_ZN7rocprim17ROCPRIM_400000_NS6detail17trampoline_kernelINS0_13select_configILj256ELj13ELNS0_17block_load_methodE3ELS4_3ELS4_3ELNS0_20block_scan_algorithmE0ELj4294967295EEENS1_25partition_config_selectorILNS1_17partition_subalgoE3EjNS0_10empty_typeEbEEZZNS1_14partition_implILS8_3ELb0ES6_jNS0_17counting_iteratorIjlEEPS9_SE_NS0_5tupleIJPjSE_EEENSF_IJSE_SE_EEES9_SG_JZNS1_25segmented_radix_sort_implINS0_14default_configELb1EPKiPiPKlPlN2at6native12_GLOBAL__N_18offset_tEEE10hipError_tPvRmT1_PNSt15iterator_traitsISY_E10value_typeET2_T3_PNSZ_IS14_E10value_typeET4_jRbjT5_S1A_jjP12ihipStream_tbEUljE_EEESV_SW_SX_S14_S18_S1A_T6_T7_T9_mT8_S1C_bDpT10_ENKUlT_T0_E_clISt17integral_constantIbLb1EES1P_EEDaS1K_S1L_EUlS1K_E_NS1_11comp_targetILNS1_3genE0ELNS1_11target_archE4294967295ELNS1_3gpuE0ELNS1_3repE0EEENS1_30default_config_static_selectorELNS0_4arch9wavefront6targetE0EEEvSY_
                                        ; -- End function
	.set _ZN7rocprim17ROCPRIM_400000_NS6detail17trampoline_kernelINS0_13select_configILj256ELj13ELNS0_17block_load_methodE3ELS4_3ELS4_3ELNS0_20block_scan_algorithmE0ELj4294967295EEENS1_25partition_config_selectorILNS1_17partition_subalgoE3EjNS0_10empty_typeEbEEZZNS1_14partition_implILS8_3ELb0ES6_jNS0_17counting_iteratorIjlEEPS9_SE_NS0_5tupleIJPjSE_EEENSF_IJSE_SE_EEES9_SG_JZNS1_25segmented_radix_sort_implINS0_14default_configELb1EPKiPiPKlPlN2at6native12_GLOBAL__N_18offset_tEEE10hipError_tPvRmT1_PNSt15iterator_traitsISY_E10value_typeET2_T3_PNSZ_IS14_E10value_typeET4_jRbjT5_S1A_jjP12ihipStream_tbEUljE_EEESV_SW_SX_S14_S18_S1A_T6_T7_T9_mT8_S1C_bDpT10_ENKUlT_T0_E_clISt17integral_constantIbLb1EES1P_EEDaS1K_S1L_EUlS1K_E_NS1_11comp_targetILNS1_3genE0ELNS1_11target_archE4294967295ELNS1_3gpuE0ELNS1_3repE0EEENS1_30default_config_static_selectorELNS0_4arch9wavefront6targetE0EEEvSY_.num_vgpr, 0
	.set _ZN7rocprim17ROCPRIM_400000_NS6detail17trampoline_kernelINS0_13select_configILj256ELj13ELNS0_17block_load_methodE3ELS4_3ELS4_3ELNS0_20block_scan_algorithmE0ELj4294967295EEENS1_25partition_config_selectorILNS1_17partition_subalgoE3EjNS0_10empty_typeEbEEZZNS1_14partition_implILS8_3ELb0ES6_jNS0_17counting_iteratorIjlEEPS9_SE_NS0_5tupleIJPjSE_EEENSF_IJSE_SE_EEES9_SG_JZNS1_25segmented_radix_sort_implINS0_14default_configELb1EPKiPiPKlPlN2at6native12_GLOBAL__N_18offset_tEEE10hipError_tPvRmT1_PNSt15iterator_traitsISY_E10value_typeET2_T3_PNSZ_IS14_E10value_typeET4_jRbjT5_S1A_jjP12ihipStream_tbEUljE_EEESV_SW_SX_S14_S18_S1A_T6_T7_T9_mT8_S1C_bDpT10_ENKUlT_T0_E_clISt17integral_constantIbLb1EES1P_EEDaS1K_S1L_EUlS1K_E_NS1_11comp_targetILNS1_3genE0ELNS1_11target_archE4294967295ELNS1_3gpuE0ELNS1_3repE0EEENS1_30default_config_static_selectorELNS0_4arch9wavefront6targetE0EEEvSY_.num_agpr, 0
	.set _ZN7rocprim17ROCPRIM_400000_NS6detail17trampoline_kernelINS0_13select_configILj256ELj13ELNS0_17block_load_methodE3ELS4_3ELS4_3ELNS0_20block_scan_algorithmE0ELj4294967295EEENS1_25partition_config_selectorILNS1_17partition_subalgoE3EjNS0_10empty_typeEbEEZZNS1_14partition_implILS8_3ELb0ES6_jNS0_17counting_iteratorIjlEEPS9_SE_NS0_5tupleIJPjSE_EEENSF_IJSE_SE_EEES9_SG_JZNS1_25segmented_radix_sort_implINS0_14default_configELb1EPKiPiPKlPlN2at6native12_GLOBAL__N_18offset_tEEE10hipError_tPvRmT1_PNSt15iterator_traitsISY_E10value_typeET2_T3_PNSZ_IS14_E10value_typeET4_jRbjT5_S1A_jjP12ihipStream_tbEUljE_EEESV_SW_SX_S14_S18_S1A_T6_T7_T9_mT8_S1C_bDpT10_ENKUlT_T0_E_clISt17integral_constantIbLb1EES1P_EEDaS1K_S1L_EUlS1K_E_NS1_11comp_targetILNS1_3genE0ELNS1_11target_archE4294967295ELNS1_3gpuE0ELNS1_3repE0EEENS1_30default_config_static_selectorELNS0_4arch9wavefront6targetE0EEEvSY_.numbered_sgpr, 0
	.set _ZN7rocprim17ROCPRIM_400000_NS6detail17trampoline_kernelINS0_13select_configILj256ELj13ELNS0_17block_load_methodE3ELS4_3ELS4_3ELNS0_20block_scan_algorithmE0ELj4294967295EEENS1_25partition_config_selectorILNS1_17partition_subalgoE3EjNS0_10empty_typeEbEEZZNS1_14partition_implILS8_3ELb0ES6_jNS0_17counting_iteratorIjlEEPS9_SE_NS0_5tupleIJPjSE_EEENSF_IJSE_SE_EEES9_SG_JZNS1_25segmented_radix_sort_implINS0_14default_configELb1EPKiPiPKlPlN2at6native12_GLOBAL__N_18offset_tEEE10hipError_tPvRmT1_PNSt15iterator_traitsISY_E10value_typeET2_T3_PNSZ_IS14_E10value_typeET4_jRbjT5_S1A_jjP12ihipStream_tbEUljE_EEESV_SW_SX_S14_S18_S1A_T6_T7_T9_mT8_S1C_bDpT10_ENKUlT_T0_E_clISt17integral_constantIbLb1EES1P_EEDaS1K_S1L_EUlS1K_E_NS1_11comp_targetILNS1_3genE0ELNS1_11target_archE4294967295ELNS1_3gpuE0ELNS1_3repE0EEENS1_30default_config_static_selectorELNS0_4arch9wavefront6targetE0EEEvSY_.num_named_barrier, 0
	.set _ZN7rocprim17ROCPRIM_400000_NS6detail17trampoline_kernelINS0_13select_configILj256ELj13ELNS0_17block_load_methodE3ELS4_3ELS4_3ELNS0_20block_scan_algorithmE0ELj4294967295EEENS1_25partition_config_selectorILNS1_17partition_subalgoE3EjNS0_10empty_typeEbEEZZNS1_14partition_implILS8_3ELb0ES6_jNS0_17counting_iteratorIjlEEPS9_SE_NS0_5tupleIJPjSE_EEENSF_IJSE_SE_EEES9_SG_JZNS1_25segmented_radix_sort_implINS0_14default_configELb1EPKiPiPKlPlN2at6native12_GLOBAL__N_18offset_tEEE10hipError_tPvRmT1_PNSt15iterator_traitsISY_E10value_typeET2_T3_PNSZ_IS14_E10value_typeET4_jRbjT5_S1A_jjP12ihipStream_tbEUljE_EEESV_SW_SX_S14_S18_S1A_T6_T7_T9_mT8_S1C_bDpT10_ENKUlT_T0_E_clISt17integral_constantIbLb1EES1P_EEDaS1K_S1L_EUlS1K_E_NS1_11comp_targetILNS1_3genE0ELNS1_11target_archE4294967295ELNS1_3gpuE0ELNS1_3repE0EEENS1_30default_config_static_selectorELNS0_4arch9wavefront6targetE0EEEvSY_.private_seg_size, 0
	.set _ZN7rocprim17ROCPRIM_400000_NS6detail17trampoline_kernelINS0_13select_configILj256ELj13ELNS0_17block_load_methodE3ELS4_3ELS4_3ELNS0_20block_scan_algorithmE0ELj4294967295EEENS1_25partition_config_selectorILNS1_17partition_subalgoE3EjNS0_10empty_typeEbEEZZNS1_14partition_implILS8_3ELb0ES6_jNS0_17counting_iteratorIjlEEPS9_SE_NS0_5tupleIJPjSE_EEENSF_IJSE_SE_EEES9_SG_JZNS1_25segmented_radix_sort_implINS0_14default_configELb1EPKiPiPKlPlN2at6native12_GLOBAL__N_18offset_tEEE10hipError_tPvRmT1_PNSt15iterator_traitsISY_E10value_typeET2_T3_PNSZ_IS14_E10value_typeET4_jRbjT5_S1A_jjP12ihipStream_tbEUljE_EEESV_SW_SX_S14_S18_S1A_T6_T7_T9_mT8_S1C_bDpT10_ENKUlT_T0_E_clISt17integral_constantIbLb1EES1P_EEDaS1K_S1L_EUlS1K_E_NS1_11comp_targetILNS1_3genE0ELNS1_11target_archE4294967295ELNS1_3gpuE0ELNS1_3repE0EEENS1_30default_config_static_selectorELNS0_4arch9wavefront6targetE0EEEvSY_.uses_vcc, 0
	.set _ZN7rocprim17ROCPRIM_400000_NS6detail17trampoline_kernelINS0_13select_configILj256ELj13ELNS0_17block_load_methodE3ELS4_3ELS4_3ELNS0_20block_scan_algorithmE0ELj4294967295EEENS1_25partition_config_selectorILNS1_17partition_subalgoE3EjNS0_10empty_typeEbEEZZNS1_14partition_implILS8_3ELb0ES6_jNS0_17counting_iteratorIjlEEPS9_SE_NS0_5tupleIJPjSE_EEENSF_IJSE_SE_EEES9_SG_JZNS1_25segmented_radix_sort_implINS0_14default_configELb1EPKiPiPKlPlN2at6native12_GLOBAL__N_18offset_tEEE10hipError_tPvRmT1_PNSt15iterator_traitsISY_E10value_typeET2_T3_PNSZ_IS14_E10value_typeET4_jRbjT5_S1A_jjP12ihipStream_tbEUljE_EEESV_SW_SX_S14_S18_S1A_T6_T7_T9_mT8_S1C_bDpT10_ENKUlT_T0_E_clISt17integral_constantIbLb1EES1P_EEDaS1K_S1L_EUlS1K_E_NS1_11comp_targetILNS1_3genE0ELNS1_11target_archE4294967295ELNS1_3gpuE0ELNS1_3repE0EEENS1_30default_config_static_selectorELNS0_4arch9wavefront6targetE0EEEvSY_.uses_flat_scratch, 0
	.set _ZN7rocprim17ROCPRIM_400000_NS6detail17trampoline_kernelINS0_13select_configILj256ELj13ELNS0_17block_load_methodE3ELS4_3ELS4_3ELNS0_20block_scan_algorithmE0ELj4294967295EEENS1_25partition_config_selectorILNS1_17partition_subalgoE3EjNS0_10empty_typeEbEEZZNS1_14partition_implILS8_3ELb0ES6_jNS0_17counting_iteratorIjlEEPS9_SE_NS0_5tupleIJPjSE_EEENSF_IJSE_SE_EEES9_SG_JZNS1_25segmented_radix_sort_implINS0_14default_configELb1EPKiPiPKlPlN2at6native12_GLOBAL__N_18offset_tEEE10hipError_tPvRmT1_PNSt15iterator_traitsISY_E10value_typeET2_T3_PNSZ_IS14_E10value_typeET4_jRbjT5_S1A_jjP12ihipStream_tbEUljE_EEESV_SW_SX_S14_S18_S1A_T6_T7_T9_mT8_S1C_bDpT10_ENKUlT_T0_E_clISt17integral_constantIbLb1EES1P_EEDaS1K_S1L_EUlS1K_E_NS1_11comp_targetILNS1_3genE0ELNS1_11target_archE4294967295ELNS1_3gpuE0ELNS1_3repE0EEENS1_30default_config_static_selectorELNS0_4arch9wavefront6targetE0EEEvSY_.has_dyn_sized_stack, 0
	.set _ZN7rocprim17ROCPRIM_400000_NS6detail17trampoline_kernelINS0_13select_configILj256ELj13ELNS0_17block_load_methodE3ELS4_3ELS4_3ELNS0_20block_scan_algorithmE0ELj4294967295EEENS1_25partition_config_selectorILNS1_17partition_subalgoE3EjNS0_10empty_typeEbEEZZNS1_14partition_implILS8_3ELb0ES6_jNS0_17counting_iteratorIjlEEPS9_SE_NS0_5tupleIJPjSE_EEENSF_IJSE_SE_EEES9_SG_JZNS1_25segmented_radix_sort_implINS0_14default_configELb1EPKiPiPKlPlN2at6native12_GLOBAL__N_18offset_tEEE10hipError_tPvRmT1_PNSt15iterator_traitsISY_E10value_typeET2_T3_PNSZ_IS14_E10value_typeET4_jRbjT5_S1A_jjP12ihipStream_tbEUljE_EEESV_SW_SX_S14_S18_S1A_T6_T7_T9_mT8_S1C_bDpT10_ENKUlT_T0_E_clISt17integral_constantIbLb1EES1P_EEDaS1K_S1L_EUlS1K_E_NS1_11comp_targetILNS1_3genE0ELNS1_11target_archE4294967295ELNS1_3gpuE0ELNS1_3repE0EEENS1_30default_config_static_selectorELNS0_4arch9wavefront6targetE0EEEvSY_.has_recursion, 0
	.set _ZN7rocprim17ROCPRIM_400000_NS6detail17trampoline_kernelINS0_13select_configILj256ELj13ELNS0_17block_load_methodE3ELS4_3ELS4_3ELNS0_20block_scan_algorithmE0ELj4294967295EEENS1_25partition_config_selectorILNS1_17partition_subalgoE3EjNS0_10empty_typeEbEEZZNS1_14partition_implILS8_3ELb0ES6_jNS0_17counting_iteratorIjlEEPS9_SE_NS0_5tupleIJPjSE_EEENSF_IJSE_SE_EEES9_SG_JZNS1_25segmented_radix_sort_implINS0_14default_configELb1EPKiPiPKlPlN2at6native12_GLOBAL__N_18offset_tEEE10hipError_tPvRmT1_PNSt15iterator_traitsISY_E10value_typeET2_T3_PNSZ_IS14_E10value_typeET4_jRbjT5_S1A_jjP12ihipStream_tbEUljE_EEESV_SW_SX_S14_S18_S1A_T6_T7_T9_mT8_S1C_bDpT10_ENKUlT_T0_E_clISt17integral_constantIbLb1EES1P_EEDaS1K_S1L_EUlS1K_E_NS1_11comp_targetILNS1_3genE0ELNS1_11target_archE4294967295ELNS1_3gpuE0ELNS1_3repE0EEENS1_30default_config_static_selectorELNS0_4arch9wavefront6targetE0EEEvSY_.has_indirect_call, 0
	.section	.AMDGPU.csdata,"",@progbits
; Kernel info:
; codeLenInByte = 0
; TotalNumSgprs: 0
; NumVgprs: 0
; ScratchSize: 0
; MemoryBound: 0
; FloatMode: 240
; IeeeMode: 1
; LDSByteSize: 0 bytes/workgroup (compile time only)
; SGPRBlocks: 0
; VGPRBlocks: 0
; NumSGPRsForWavesPerEU: 1
; NumVGPRsForWavesPerEU: 1
; Occupancy: 16
; WaveLimiterHint : 0
; COMPUTE_PGM_RSRC2:SCRATCH_EN: 0
; COMPUTE_PGM_RSRC2:USER_SGPR: 2
; COMPUTE_PGM_RSRC2:TRAP_HANDLER: 0
; COMPUTE_PGM_RSRC2:TGID_X_EN: 1
; COMPUTE_PGM_RSRC2:TGID_Y_EN: 0
; COMPUTE_PGM_RSRC2:TGID_Z_EN: 0
; COMPUTE_PGM_RSRC2:TIDIG_COMP_CNT: 0
	.section	.text._ZN7rocprim17ROCPRIM_400000_NS6detail17trampoline_kernelINS0_13select_configILj256ELj13ELNS0_17block_load_methodE3ELS4_3ELS4_3ELNS0_20block_scan_algorithmE0ELj4294967295EEENS1_25partition_config_selectorILNS1_17partition_subalgoE3EjNS0_10empty_typeEbEEZZNS1_14partition_implILS8_3ELb0ES6_jNS0_17counting_iteratorIjlEEPS9_SE_NS0_5tupleIJPjSE_EEENSF_IJSE_SE_EEES9_SG_JZNS1_25segmented_radix_sort_implINS0_14default_configELb1EPKiPiPKlPlN2at6native12_GLOBAL__N_18offset_tEEE10hipError_tPvRmT1_PNSt15iterator_traitsISY_E10value_typeET2_T3_PNSZ_IS14_E10value_typeET4_jRbjT5_S1A_jjP12ihipStream_tbEUljE_EEESV_SW_SX_S14_S18_S1A_T6_T7_T9_mT8_S1C_bDpT10_ENKUlT_T0_E_clISt17integral_constantIbLb1EES1P_EEDaS1K_S1L_EUlS1K_E_NS1_11comp_targetILNS1_3genE5ELNS1_11target_archE942ELNS1_3gpuE9ELNS1_3repE0EEENS1_30default_config_static_selectorELNS0_4arch9wavefront6targetE0EEEvSY_,"axG",@progbits,_ZN7rocprim17ROCPRIM_400000_NS6detail17trampoline_kernelINS0_13select_configILj256ELj13ELNS0_17block_load_methodE3ELS4_3ELS4_3ELNS0_20block_scan_algorithmE0ELj4294967295EEENS1_25partition_config_selectorILNS1_17partition_subalgoE3EjNS0_10empty_typeEbEEZZNS1_14partition_implILS8_3ELb0ES6_jNS0_17counting_iteratorIjlEEPS9_SE_NS0_5tupleIJPjSE_EEENSF_IJSE_SE_EEES9_SG_JZNS1_25segmented_radix_sort_implINS0_14default_configELb1EPKiPiPKlPlN2at6native12_GLOBAL__N_18offset_tEEE10hipError_tPvRmT1_PNSt15iterator_traitsISY_E10value_typeET2_T3_PNSZ_IS14_E10value_typeET4_jRbjT5_S1A_jjP12ihipStream_tbEUljE_EEESV_SW_SX_S14_S18_S1A_T6_T7_T9_mT8_S1C_bDpT10_ENKUlT_T0_E_clISt17integral_constantIbLb1EES1P_EEDaS1K_S1L_EUlS1K_E_NS1_11comp_targetILNS1_3genE5ELNS1_11target_archE942ELNS1_3gpuE9ELNS1_3repE0EEENS1_30default_config_static_selectorELNS0_4arch9wavefront6targetE0EEEvSY_,comdat
	.globl	_ZN7rocprim17ROCPRIM_400000_NS6detail17trampoline_kernelINS0_13select_configILj256ELj13ELNS0_17block_load_methodE3ELS4_3ELS4_3ELNS0_20block_scan_algorithmE0ELj4294967295EEENS1_25partition_config_selectorILNS1_17partition_subalgoE3EjNS0_10empty_typeEbEEZZNS1_14partition_implILS8_3ELb0ES6_jNS0_17counting_iteratorIjlEEPS9_SE_NS0_5tupleIJPjSE_EEENSF_IJSE_SE_EEES9_SG_JZNS1_25segmented_radix_sort_implINS0_14default_configELb1EPKiPiPKlPlN2at6native12_GLOBAL__N_18offset_tEEE10hipError_tPvRmT1_PNSt15iterator_traitsISY_E10value_typeET2_T3_PNSZ_IS14_E10value_typeET4_jRbjT5_S1A_jjP12ihipStream_tbEUljE_EEESV_SW_SX_S14_S18_S1A_T6_T7_T9_mT8_S1C_bDpT10_ENKUlT_T0_E_clISt17integral_constantIbLb1EES1P_EEDaS1K_S1L_EUlS1K_E_NS1_11comp_targetILNS1_3genE5ELNS1_11target_archE942ELNS1_3gpuE9ELNS1_3repE0EEENS1_30default_config_static_selectorELNS0_4arch9wavefront6targetE0EEEvSY_ ; -- Begin function _ZN7rocprim17ROCPRIM_400000_NS6detail17trampoline_kernelINS0_13select_configILj256ELj13ELNS0_17block_load_methodE3ELS4_3ELS4_3ELNS0_20block_scan_algorithmE0ELj4294967295EEENS1_25partition_config_selectorILNS1_17partition_subalgoE3EjNS0_10empty_typeEbEEZZNS1_14partition_implILS8_3ELb0ES6_jNS0_17counting_iteratorIjlEEPS9_SE_NS0_5tupleIJPjSE_EEENSF_IJSE_SE_EEES9_SG_JZNS1_25segmented_radix_sort_implINS0_14default_configELb1EPKiPiPKlPlN2at6native12_GLOBAL__N_18offset_tEEE10hipError_tPvRmT1_PNSt15iterator_traitsISY_E10value_typeET2_T3_PNSZ_IS14_E10value_typeET4_jRbjT5_S1A_jjP12ihipStream_tbEUljE_EEESV_SW_SX_S14_S18_S1A_T6_T7_T9_mT8_S1C_bDpT10_ENKUlT_T0_E_clISt17integral_constantIbLb1EES1P_EEDaS1K_S1L_EUlS1K_E_NS1_11comp_targetILNS1_3genE5ELNS1_11target_archE942ELNS1_3gpuE9ELNS1_3repE0EEENS1_30default_config_static_selectorELNS0_4arch9wavefront6targetE0EEEvSY_
	.p2align	8
	.type	_ZN7rocprim17ROCPRIM_400000_NS6detail17trampoline_kernelINS0_13select_configILj256ELj13ELNS0_17block_load_methodE3ELS4_3ELS4_3ELNS0_20block_scan_algorithmE0ELj4294967295EEENS1_25partition_config_selectorILNS1_17partition_subalgoE3EjNS0_10empty_typeEbEEZZNS1_14partition_implILS8_3ELb0ES6_jNS0_17counting_iteratorIjlEEPS9_SE_NS0_5tupleIJPjSE_EEENSF_IJSE_SE_EEES9_SG_JZNS1_25segmented_radix_sort_implINS0_14default_configELb1EPKiPiPKlPlN2at6native12_GLOBAL__N_18offset_tEEE10hipError_tPvRmT1_PNSt15iterator_traitsISY_E10value_typeET2_T3_PNSZ_IS14_E10value_typeET4_jRbjT5_S1A_jjP12ihipStream_tbEUljE_EEESV_SW_SX_S14_S18_S1A_T6_T7_T9_mT8_S1C_bDpT10_ENKUlT_T0_E_clISt17integral_constantIbLb1EES1P_EEDaS1K_S1L_EUlS1K_E_NS1_11comp_targetILNS1_3genE5ELNS1_11target_archE942ELNS1_3gpuE9ELNS1_3repE0EEENS1_30default_config_static_selectorELNS0_4arch9wavefront6targetE0EEEvSY_,@function
_ZN7rocprim17ROCPRIM_400000_NS6detail17trampoline_kernelINS0_13select_configILj256ELj13ELNS0_17block_load_methodE3ELS4_3ELS4_3ELNS0_20block_scan_algorithmE0ELj4294967295EEENS1_25partition_config_selectorILNS1_17partition_subalgoE3EjNS0_10empty_typeEbEEZZNS1_14partition_implILS8_3ELb0ES6_jNS0_17counting_iteratorIjlEEPS9_SE_NS0_5tupleIJPjSE_EEENSF_IJSE_SE_EEES9_SG_JZNS1_25segmented_radix_sort_implINS0_14default_configELb1EPKiPiPKlPlN2at6native12_GLOBAL__N_18offset_tEEE10hipError_tPvRmT1_PNSt15iterator_traitsISY_E10value_typeET2_T3_PNSZ_IS14_E10value_typeET4_jRbjT5_S1A_jjP12ihipStream_tbEUljE_EEESV_SW_SX_S14_S18_S1A_T6_T7_T9_mT8_S1C_bDpT10_ENKUlT_T0_E_clISt17integral_constantIbLb1EES1P_EEDaS1K_S1L_EUlS1K_E_NS1_11comp_targetILNS1_3genE5ELNS1_11target_archE942ELNS1_3gpuE9ELNS1_3repE0EEENS1_30default_config_static_selectorELNS0_4arch9wavefront6targetE0EEEvSY_: ; @_ZN7rocprim17ROCPRIM_400000_NS6detail17trampoline_kernelINS0_13select_configILj256ELj13ELNS0_17block_load_methodE3ELS4_3ELS4_3ELNS0_20block_scan_algorithmE0ELj4294967295EEENS1_25partition_config_selectorILNS1_17partition_subalgoE3EjNS0_10empty_typeEbEEZZNS1_14partition_implILS8_3ELb0ES6_jNS0_17counting_iteratorIjlEEPS9_SE_NS0_5tupleIJPjSE_EEENSF_IJSE_SE_EEES9_SG_JZNS1_25segmented_radix_sort_implINS0_14default_configELb1EPKiPiPKlPlN2at6native12_GLOBAL__N_18offset_tEEE10hipError_tPvRmT1_PNSt15iterator_traitsISY_E10value_typeET2_T3_PNSZ_IS14_E10value_typeET4_jRbjT5_S1A_jjP12ihipStream_tbEUljE_EEESV_SW_SX_S14_S18_S1A_T6_T7_T9_mT8_S1C_bDpT10_ENKUlT_T0_E_clISt17integral_constantIbLb1EES1P_EEDaS1K_S1L_EUlS1K_E_NS1_11comp_targetILNS1_3genE5ELNS1_11target_archE942ELNS1_3gpuE9ELNS1_3repE0EEENS1_30default_config_static_selectorELNS0_4arch9wavefront6targetE0EEEvSY_
; %bb.0:
	.section	.rodata,"a",@progbits
	.p2align	6, 0x0
	.amdhsa_kernel _ZN7rocprim17ROCPRIM_400000_NS6detail17trampoline_kernelINS0_13select_configILj256ELj13ELNS0_17block_load_methodE3ELS4_3ELS4_3ELNS0_20block_scan_algorithmE0ELj4294967295EEENS1_25partition_config_selectorILNS1_17partition_subalgoE3EjNS0_10empty_typeEbEEZZNS1_14partition_implILS8_3ELb0ES6_jNS0_17counting_iteratorIjlEEPS9_SE_NS0_5tupleIJPjSE_EEENSF_IJSE_SE_EEES9_SG_JZNS1_25segmented_radix_sort_implINS0_14default_configELb1EPKiPiPKlPlN2at6native12_GLOBAL__N_18offset_tEEE10hipError_tPvRmT1_PNSt15iterator_traitsISY_E10value_typeET2_T3_PNSZ_IS14_E10value_typeET4_jRbjT5_S1A_jjP12ihipStream_tbEUljE_EEESV_SW_SX_S14_S18_S1A_T6_T7_T9_mT8_S1C_bDpT10_ENKUlT_T0_E_clISt17integral_constantIbLb1EES1P_EEDaS1K_S1L_EUlS1K_E_NS1_11comp_targetILNS1_3genE5ELNS1_11target_archE942ELNS1_3gpuE9ELNS1_3repE0EEENS1_30default_config_static_selectorELNS0_4arch9wavefront6targetE0EEEvSY_
		.amdhsa_group_segment_fixed_size 0
		.amdhsa_private_segment_fixed_size 0
		.amdhsa_kernarg_size 152
		.amdhsa_user_sgpr_count 2
		.amdhsa_user_sgpr_dispatch_ptr 0
		.amdhsa_user_sgpr_queue_ptr 0
		.amdhsa_user_sgpr_kernarg_segment_ptr 1
		.amdhsa_user_sgpr_dispatch_id 0
		.amdhsa_user_sgpr_private_segment_size 0
		.amdhsa_wavefront_size32 1
		.amdhsa_uses_dynamic_stack 0
		.amdhsa_enable_private_segment 0
		.amdhsa_system_sgpr_workgroup_id_x 1
		.amdhsa_system_sgpr_workgroup_id_y 0
		.amdhsa_system_sgpr_workgroup_id_z 0
		.amdhsa_system_sgpr_workgroup_info 0
		.amdhsa_system_vgpr_workitem_id 0
		.amdhsa_next_free_vgpr 1
		.amdhsa_next_free_sgpr 1
		.amdhsa_reserve_vcc 0
		.amdhsa_float_round_mode_32 0
		.amdhsa_float_round_mode_16_64 0
		.amdhsa_float_denorm_mode_32 3
		.amdhsa_float_denorm_mode_16_64 3
		.amdhsa_fp16_overflow 0
		.amdhsa_workgroup_processor_mode 1
		.amdhsa_memory_ordered 1
		.amdhsa_forward_progress 1
		.amdhsa_inst_pref_size 0
		.amdhsa_round_robin_scheduling 0
		.amdhsa_exception_fp_ieee_invalid_op 0
		.amdhsa_exception_fp_denorm_src 0
		.amdhsa_exception_fp_ieee_div_zero 0
		.amdhsa_exception_fp_ieee_overflow 0
		.amdhsa_exception_fp_ieee_underflow 0
		.amdhsa_exception_fp_ieee_inexact 0
		.amdhsa_exception_int_div_zero 0
	.end_amdhsa_kernel
	.section	.text._ZN7rocprim17ROCPRIM_400000_NS6detail17trampoline_kernelINS0_13select_configILj256ELj13ELNS0_17block_load_methodE3ELS4_3ELS4_3ELNS0_20block_scan_algorithmE0ELj4294967295EEENS1_25partition_config_selectorILNS1_17partition_subalgoE3EjNS0_10empty_typeEbEEZZNS1_14partition_implILS8_3ELb0ES6_jNS0_17counting_iteratorIjlEEPS9_SE_NS0_5tupleIJPjSE_EEENSF_IJSE_SE_EEES9_SG_JZNS1_25segmented_radix_sort_implINS0_14default_configELb1EPKiPiPKlPlN2at6native12_GLOBAL__N_18offset_tEEE10hipError_tPvRmT1_PNSt15iterator_traitsISY_E10value_typeET2_T3_PNSZ_IS14_E10value_typeET4_jRbjT5_S1A_jjP12ihipStream_tbEUljE_EEESV_SW_SX_S14_S18_S1A_T6_T7_T9_mT8_S1C_bDpT10_ENKUlT_T0_E_clISt17integral_constantIbLb1EES1P_EEDaS1K_S1L_EUlS1K_E_NS1_11comp_targetILNS1_3genE5ELNS1_11target_archE942ELNS1_3gpuE9ELNS1_3repE0EEENS1_30default_config_static_selectorELNS0_4arch9wavefront6targetE0EEEvSY_,"axG",@progbits,_ZN7rocprim17ROCPRIM_400000_NS6detail17trampoline_kernelINS0_13select_configILj256ELj13ELNS0_17block_load_methodE3ELS4_3ELS4_3ELNS0_20block_scan_algorithmE0ELj4294967295EEENS1_25partition_config_selectorILNS1_17partition_subalgoE3EjNS0_10empty_typeEbEEZZNS1_14partition_implILS8_3ELb0ES6_jNS0_17counting_iteratorIjlEEPS9_SE_NS0_5tupleIJPjSE_EEENSF_IJSE_SE_EEES9_SG_JZNS1_25segmented_radix_sort_implINS0_14default_configELb1EPKiPiPKlPlN2at6native12_GLOBAL__N_18offset_tEEE10hipError_tPvRmT1_PNSt15iterator_traitsISY_E10value_typeET2_T3_PNSZ_IS14_E10value_typeET4_jRbjT5_S1A_jjP12ihipStream_tbEUljE_EEESV_SW_SX_S14_S18_S1A_T6_T7_T9_mT8_S1C_bDpT10_ENKUlT_T0_E_clISt17integral_constantIbLb1EES1P_EEDaS1K_S1L_EUlS1K_E_NS1_11comp_targetILNS1_3genE5ELNS1_11target_archE942ELNS1_3gpuE9ELNS1_3repE0EEENS1_30default_config_static_selectorELNS0_4arch9wavefront6targetE0EEEvSY_,comdat
.Lfunc_end474:
	.size	_ZN7rocprim17ROCPRIM_400000_NS6detail17trampoline_kernelINS0_13select_configILj256ELj13ELNS0_17block_load_methodE3ELS4_3ELS4_3ELNS0_20block_scan_algorithmE0ELj4294967295EEENS1_25partition_config_selectorILNS1_17partition_subalgoE3EjNS0_10empty_typeEbEEZZNS1_14partition_implILS8_3ELb0ES6_jNS0_17counting_iteratorIjlEEPS9_SE_NS0_5tupleIJPjSE_EEENSF_IJSE_SE_EEES9_SG_JZNS1_25segmented_radix_sort_implINS0_14default_configELb1EPKiPiPKlPlN2at6native12_GLOBAL__N_18offset_tEEE10hipError_tPvRmT1_PNSt15iterator_traitsISY_E10value_typeET2_T3_PNSZ_IS14_E10value_typeET4_jRbjT5_S1A_jjP12ihipStream_tbEUljE_EEESV_SW_SX_S14_S18_S1A_T6_T7_T9_mT8_S1C_bDpT10_ENKUlT_T0_E_clISt17integral_constantIbLb1EES1P_EEDaS1K_S1L_EUlS1K_E_NS1_11comp_targetILNS1_3genE5ELNS1_11target_archE942ELNS1_3gpuE9ELNS1_3repE0EEENS1_30default_config_static_selectorELNS0_4arch9wavefront6targetE0EEEvSY_, .Lfunc_end474-_ZN7rocprim17ROCPRIM_400000_NS6detail17trampoline_kernelINS0_13select_configILj256ELj13ELNS0_17block_load_methodE3ELS4_3ELS4_3ELNS0_20block_scan_algorithmE0ELj4294967295EEENS1_25partition_config_selectorILNS1_17partition_subalgoE3EjNS0_10empty_typeEbEEZZNS1_14partition_implILS8_3ELb0ES6_jNS0_17counting_iteratorIjlEEPS9_SE_NS0_5tupleIJPjSE_EEENSF_IJSE_SE_EEES9_SG_JZNS1_25segmented_radix_sort_implINS0_14default_configELb1EPKiPiPKlPlN2at6native12_GLOBAL__N_18offset_tEEE10hipError_tPvRmT1_PNSt15iterator_traitsISY_E10value_typeET2_T3_PNSZ_IS14_E10value_typeET4_jRbjT5_S1A_jjP12ihipStream_tbEUljE_EEESV_SW_SX_S14_S18_S1A_T6_T7_T9_mT8_S1C_bDpT10_ENKUlT_T0_E_clISt17integral_constantIbLb1EES1P_EEDaS1K_S1L_EUlS1K_E_NS1_11comp_targetILNS1_3genE5ELNS1_11target_archE942ELNS1_3gpuE9ELNS1_3repE0EEENS1_30default_config_static_selectorELNS0_4arch9wavefront6targetE0EEEvSY_
                                        ; -- End function
	.set _ZN7rocprim17ROCPRIM_400000_NS6detail17trampoline_kernelINS0_13select_configILj256ELj13ELNS0_17block_load_methodE3ELS4_3ELS4_3ELNS0_20block_scan_algorithmE0ELj4294967295EEENS1_25partition_config_selectorILNS1_17partition_subalgoE3EjNS0_10empty_typeEbEEZZNS1_14partition_implILS8_3ELb0ES6_jNS0_17counting_iteratorIjlEEPS9_SE_NS0_5tupleIJPjSE_EEENSF_IJSE_SE_EEES9_SG_JZNS1_25segmented_radix_sort_implINS0_14default_configELb1EPKiPiPKlPlN2at6native12_GLOBAL__N_18offset_tEEE10hipError_tPvRmT1_PNSt15iterator_traitsISY_E10value_typeET2_T3_PNSZ_IS14_E10value_typeET4_jRbjT5_S1A_jjP12ihipStream_tbEUljE_EEESV_SW_SX_S14_S18_S1A_T6_T7_T9_mT8_S1C_bDpT10_ENKUlT_T0_E_clISt17integral_constantIbLb1EES1P_EEDaS1K_S1L_EUlS1K_E_NS1_11comp_targetILNS1_3genE5ELNS1_11target_archE942ELNS1_3gpuE9ELNS1_3repE0EEENS1_30default_config_static_selectorELNS0_4arch9wavefront6targetE0EEEvSY_.num_vgpr, 0
	.set _ZN7rocprim17ROCPRIM_400000_NS6detail17trampoline_kernelINS0_13select_configILj256ELj13ELNS0_17block_load_methodE3ELS4_3ELS4_3ELNS0_20block_scan_algorithmE0ELj4294967295EEENS1_25partition_config_selectorILNS1_17partition_subalgoE3EjNS0_10empty_typeEbEEZZNS1_14partition_implILS8_3ELb0ES6_jNS0_17counting_iteratorIjlEEPS9_SE_NS0_5tupleIJPjSE_EEENSF_IJSE_SE_EEES9_SG_JZNS1_25segmented_radix_sort_implINS0_14default_configELb1EPKiPiPKlPlN2at6native12_GLOBAL__N_18offset_tEEE10hipError_tPvRmT1_PNSt15iterator_traitsISY_E10value_typeET2_T3_PNSZ_IS14_E10value_typeET4_jRbjT5_S1A_jjP12ihipStream_tbEUljE_EEESV_SW_SX_S14_S18_S1A_T6_T7_T9_mT8_S1C_bDpT10_ENKUlT_T0_E_clISt17integral_constantIbLb1EES1P_EEDaS1K_S1L_EUlS1K_E_NS1_11comp_targetILNS1_3genE5ELNS1_11target_archE942ELNS1_3gpuE9ELNS1_3repE0EEENS1_30default_config_static_selectorELNS0_4arch9wavefront6targetE0EEEvSY_.num_agpr, 0
	.set _ZN7rocprim17ROCPRIM_400000_NS6detail17trampoline_kernelINS0_13select_configILj256ELj13ELNS0_17block_load_methodE3ELS4_3ELS4_3ELNS0_20block_scan_algorithmE0ELj4294967295EEENS1_25partition_config_selectorILNS1_17partition_subalgoE3EjNS0_10empty_typeEbEEZZNS1_14partition_implILS8_3ELb0ES6_jNS0_17counting_iteratorIjlEEPS9_SE_NS0_5tupleIJPjSE_EEENSF_IJSE_SE_EEES9_SG_JZNS1_25segmented_radix_sort_implINS0_14default_configELb1EPKiPiPKlPlN2at6native12_GLOBAL__N_18offset_tEEE10hipError_tPvRmT1_PNSt15iterator_traitsISY_E10value_typeET2_T3_PNSZ_IS14_E10value_typeET4_jRbjT5_S1A_jjP12ihipStream_tbEUljE_EEESV_SW_SX_S14_S18_S1A_T6_T7_T9_mT8_S1C_bDpT10_ENKUlT_T0_E_clISt17integral_constantIbLb1EES1P_EEDaS1K_S1L_EUlS1K_E_NS1_11comp_targetILNS1_3genE5ELNS1_11target_archE942ELNS1_3gpuE9ELNS1_3repE0EEENS1_30default_config_static_selectorELNS0_4arch9wavefront6targetE0EEEvSY_.numbered_sgpr, 0
	.set _ZN7rocprim17ROCPRIM_400000_NS6detail17trampoline_kernelINS0_13select_configILj256ELj13ELNS0_17block_load_methodE3ELS4_3ELS4_3ELNS0_20block_scan_algorithmE0ELj4294967295EEENS1_25partition_config_selectorILNS1_17partition_subalgoE3EjNS0_10empty_typeEbEEZZNS1_14partition_implILS8_3ELb0ES6_jNS0_17counting_iteratorIjlEEPS9_SE_NS0_5tupleIJPjSE_EEENSF_IJSE_SE_EEES9_SG_JZNS1_25segmented_radix_sort_implINS0_14default_configELb1EPKiPiPKlPlN2at6native12_GLOBAL__N_18offset_tEEE10hipError_tPvRmT1_PNSt15iterator_traitsISY_E10value_typeET2_T3_PNSZ_IS14_E10value_typeET4_jRbjT5_S1A_jjP12ihipStream_tbEUljE_EEESV_SW_SX_S14_S18_S1A_T6_T7_T9_mT8_S1C_bDpT10_ENKUlT_T0_E_clISt17integral_constantIbLb1EES1P_EEDaS1K_S1L_EUlS1K_E_NS1_11comp_targetILNS1_3genE5ELNS1_11target_archE942ELNS1_3gpuE9ELNS1_3repE0EEENS1_30default_config_static_selectorELNS0_4arch9wavefront6targetE0EEEvSY_.num_named_barrier, 0
	.set _ZN7rocprim17ROCPRIM_400000_NS6detail17trampoline_kernelINS0_13select_configILj256ELj13ELNS0_17block_load_methodE3ELS4_3ELS4_3ELNS0_20block_scan_algorithmE0ELj4294967295EEENS1_25partition_config_selectorILNS1_17partition_subalgoE3EjNS0_10empty_typeEbEEZZNS1_14partition_implILS8_3ELb0ES6_jNS0_17counting_iteratorIjlEEPS9_SE_NS0_5tupleIJPjSE_EEENSF_IJSE_SE_EEES9_SG_JZNS1_25segmented_radix_sort_implINS0_14default_configELb1EPKiPiPKlPlN2at6native12_GLOBAL__N_18offset_tEEE10hipError_tPvRmT1_PNSt15iterator_traitsISY_E10value_typeET2_T3_PNSZ_IS14_E10value_typeET4_jRbjT5_S1A_jjP12ihipStream_tbEUljE_EEESV_SW_SX_S14_S18_S1A_T6_T7_T9_mT8_S1C_bDpT10_ENKUlT_T0_E_clISt17integral_constantIbLb1EES1P_EEDaS1K_S1L_EUlS1K_E_NS1_11comp_targetILNS1_3genE5ELNS1_11target_archE942ELNS1_3gpuE9ELNS1_3repE0EEENS1_30default_config_static_selectorELNS0_4arch9wavefront6targetE0EEEvSY_.private_seg_size, 0
	.set _ZN7rocprim17ROCPRIM_400000_NS6detail17trampoline_kernelINS0_13select_configILj256ELj13ELNS0_17block_load_methodE3ELS4_3ELS4_3ELNS0_20block_scan_algorithmE0ELj4294967295EEENS1_25partition_config_selectorILNS1_17partition_subalgoE3EjNS0_10empty_typeEbEEZZNS1_14partition_implILS8_3ELb0ES6_jNS0_17counting_iteratorIjlEEPS9_SE_NS0_5tupleIJPjSE_EEENSF_IJSE_SE_EEES9_SG_JZNS1_25segmented_radix_sort_implINS0_14default_configELb1EPKiPiPKlPlN2at6native12_GLOBAL__N_18offset_tEEE10hipError_tPvRmT1_PNSt15iterator_traitsISY_E10value_typeET2_T3_PNSZ_IS14_E10value_typeET4_jRbjT5_S1A_jjP12ihipStream_tbEUljE_EEESV_SW_SX_S14_S18_S1A_T6_T7_T9_mT8_S1C_bDpT10_ENKUlT_T0_E_clISt17integral_constantIbLb1EES1P_EEDaS1K_S1L_EUlS1K_E_NS1_11comp_targetILNS1_3genE5ELNS1_11target_archE942ELNS1_3gpuE9ELNS1_3repE0EEENS1_30default_config_static_selectorELNS0_4arch9wavefront6targetE0EEEvSY_.uses_vcc, 0
	.set _ZN7rocprim17ROCPRIM_400000_NS6detail17trampoline_kernelINS0_13select_configILj256ELj13ELNS0_17block_load_methodE3ELS4_3ELS4_3ELNS0_20block_scan_algorithmE0ELj4294967295EEENS1_25partition_config_selectorILNS1_17partition_subalgoE3EjNS0_10empty_typeEbEEZZNS1_14partition_implILS8_3ELb0ES6_jNS0_17counting_iteratorIjlEEPS9_SE_NS0_5tupleIJPjSE_EEENSF_IJSE_SE_EEES9_SG_JZNS1_25segmented_radix_sort_implINS0_14default_configELb1EPKiPiPKlPlN2at6native12_GLOBAL__N_18offset_tEEE10hipError_tPvRmT1_PNSt15iterator_traitsISY_E10value_typeET2_T3_PNSZ_IS14_E10value_typeET4_jRbjT5_S1A_jjP12ihipStream_tbEUljE_EEESV_SW_SX_S14_S18_S1A_T6_T7_T9_mT8_S1C_bDpT10_ENKUlT_T0_E_clISt17integral_constantIbLb1EES1P_EEDaS1K_S1L_EUlS1K_E_NS1_11comp_targetILNS1_3genE5ELNS1_11target_archE942ELNS1_3gpuE9ELNS1_3repE0EEENS1_30default_config_static_selectorELNS0_4arch9wavefront6targetE0EEEvSY_.uses_flat_scratch, 0
	.set _ZN7rocprim17ROCPRIM_400000_NS6detail17trampoline_kernelINS0_13select_configILj256ELj13ELNS0_17block_load_methodE3ELS4_3ELS4_3ELNS0_20block_scan_algorithmE0ELj4294967295EEENS1_25partition_config_selectorILNS1_17partition_subalgoE3EjNS0_10empty_typeEbEEZZNS1_14partition_implILS8_3ELb0ES6_jNS0_17counting_iteratorIjlEEPS9_SE_NS0_5tupleIJPjSE_EEENSF_IJSE_SE_EEES9_SG_JZNS1_25segmented_radix_sort_implINS0_14default_configELb1EPKiPiPKlPlN2at6native12_GLOBAL__N_18offset_tEEE10hipError_tPvRmT1_PNSt15iterator_traitsISY_E10value_typeET2_T3_PNSZ_IS14_E10value_typeET4_jRbjT5_S1A_jjP12ihipStream_tbEUljE_EEESV_SW_SX_S14_S18_S1A_T6_T7_T9_mT8_S1C_bDpT10_ENKUlT_T0_E_clISt17integral_constantIbLb1EES1P_EEDaS1K_S1L_EUlS1K_E_NS1_11comp_targetILNS1_3genE5ELNS1_11target_archE942ELNS1_3gpuE9ELNS1_3repE0EEENS1_30default_config_static_selectorELNS0_4arch9wavefront6targetE0EEEvSY_.has_dyn_sized_stack, 0
	.set _ZN7rocprim17ROCPRIM_400000_NS6detail17trampoline_kernelINS0_13select_configILj256ELj13ELNS0_17block_load_methodE3ELS4_3ELS4_3ELNS0_20block_scan_algorithmE0ELj4294967295EEENS1_25partition_config_selectorILNS1_17partition_subalgoE3EjNS0_10empty_typeEbEEZZNS1_14partition_implILS8_3ELb0ES6_jNS0_17counting_iteratorIjlEEPS9_SE_NS0_5tupleIJPjSE_EEENSF_IJSE_SE_EEES9_SG_JZNS1_25segmented_radix_sort_implINS0_14default_configELb1EPKiPiPKlPlN2at6native12_GLOBAL__N_18offset_tEEE10hipError_tPvRmT1_PNSt15iterator_traitsISY_E10value_typeET2_T3_PNSZ_IS14_E10value_typeET4_jRbjT5_S1A_jjP12ihipStream_tbEUljE_EEESV_SW_SX_S14_S18_S1A_T6_T7_T9_mT8_S1C_bDpT10_ENKUlT_T0_E_clISt17integral_constantIbLb1EES1P_EEDaS1K_S1L_EUlS1K_E_NS1_11comp_targetILNS1_3genE5ELNS1_11target_archE942ELNS1_3gpuE9ELNS1_3repE0EEENS1_30default_config_static_selectorELNS0_4arch9wavefront6targetE0EEEvSY_.has_recursion, 0
	.set _ZN7rocprim17ROCPRIM_400000_NS6detail17trampoline_kernelINS0_13select_configILj256ELj13ELNS0_17block_load_methodE3ELS4_3ELS4_3ELNS0_20block_scan_algorithmE0ELj4294967295EEENS1_25partition_config_selectorILNS1_17partition_subalgoE3EjNS0_10empty_typeEbEEZZNS1_14partition_implILS8_3ELb0ES6_jNS0_17counting_iteratorIjlEEPS9_SE_NS0_5tupleIJPjSE_EEENSF_IJSE_SE_EEES9_SG_JZNS1_25segmented_radix_sort_implINS0_14default_configELb1EPKiPiPKlPlN2at6native12_GLOBAL__N_18offset_tEEE10hipError_tPvRmT1_PNSt15iterator_traitsISY_E10value_typeET2_T3_PNSZ_IS14_E10value_typeET4_jRbjT5_S1A_jjP12ihipStream_tbEUljE_EEESV_SW_SX_S14_S18_S1A_T6_T7_T9_mT8_S1C_bDpT10_ENKUlT_T0_E_clISt17integral_constantIbLb1EES1P_EEDaS1K_S1L_EUlS1K_E_NS1_11comp_targetILNS1_3genE5ELNS1_11target_archE942ELNS1_3gpuE9ELNS1_3repE0EEENS1_30default_config_static_selectorELNS0_4arch9wavefront6targetE0EEEvSY_.has_indirect_call, 0
	.section	.AMDGPU.csdata,"",@progbits
; Kernel info:
; codeLenInByte = 0
; TotalNumSgprs: 0
; NumVgprs: 0
; ScratchSize: 0
; MemoryBound: 0
; FloatMode: 240
; IeeeMode: 1
; LDSByteSize: 0 bytes/workgroup (compile time only)
; SGPRBlocks: 0
; VGPRBlocks: 0
; NumSGPRsForWavesPerEU: 1
; NumVGPRsForWavesPerEU: 1
; Occupancy: 16
; WaveLimiterHint : 0
; COMPUTE_PGM_RSRC2:SCRATCH_EN: 0
; COMPUTE_PGM_RSRC2:USER_SGPR: 2
; COMPUTE_PGM_RSRC2:TRAP_HANDLER: 0
; COMPUTE_PGM_RSRC2:TGID_X_EN: 1
; COMPUTE_PGM_RSRC2:TGID_Y_EN: 0
; COMPUTE_PGM_RSRC2:TGID_Z_EN: 0
; COMPUTE_PGM_RSRC2:TIDIG_COMP_CNT: 0
	.section	.text._ZN7rocprim17ROCPRIM_400000_NS6detail17trampoline_kernelINS0_13select_configILj256ELj13ELNS0_17block_load_methodE3ELS4_3ELS4_3ELNS0_20block_scan_algorithmE0ELj4294967295EEENS1_25partition_config_selectorILNS1_17partition_subalgoE3EjNS0_10empty_typeEbEEZZNS1_14partition_implILS8_3ELb0ES6_jNS0_17counting_iteratorIjlEEPS9_SE_NS0_5tupleIJPjSE_EEENSF_IJSE_SE_EEES9_SG_JZNS1_25segmented_radix_sort_implINS0_14default_configELb1EPKiPiPKlPlN2at6native12_GLOBAL__N_18offset_tEEE10hipError_tPvRmT1_PNSt15iterator_traitsISY_E10value_typeET2_T3_PNSZ_IS14_E10value_typeET4_jRbjT5_S1A_jjP12ihipStream_tbEUljE_EEESV_SW_SX_S14_S18_S1A_T6_T7_T9_mT8_S1C_bDpT10_ENKUlT_T0_E_clISt17integral_constantIbLb1EES1P_EEDaS1K_S1L_EUlS1K_E_NS1_11comp_targetILNS1_3genE4ELNS1_11target_archE910ELNS1_3gpuE8ELNS1_3repE0EEENS1_30default_config_static_selectorELNS0_4arch9wavefront6targetE0EEEvSY_,"axG",@progbits,_ZN7rocprim17ROCPRIM_400000_NS6detail17trampoline_kernelINS0_13select_configILj256ELj13ELNS0_17block_load_methodE3ELS4_3ELS4_3ELNS0_20block_scan_algorithmE0ELj4294967295EEENS1_25partition_config_selectorILNS1_17partition_subalgoE3EjNS0_10empty_typeEbEEZZNS1_14partition_implILS8_3ELb0ES6_jNS0_17counting_iteratorIjlEEPS9_SE_NS0_5tupleIJPjSE_EEENSF_IJSE_SE_EEES9_SG_JZNS1_25segmented_radix_sort_implINS0_14default_configELb1EPKiPiPKlPlN2at6native12_GLOBAL__N_18offset_tEEE10hipError_tPvRmT1_PNSt15iterator_traitsISY_E10value_typeET2_T3_PNSZ_IS14_E10value_typeET4_jRbjT5_S1A_jjP12ihipStream_tbEUljE_EEESV_SW_SX_S14_S18_S1A_T6_T7_T9_mT8_S1C_bDpT10_ENKUlT_T0_E_clISt17integral_constantIbLb1EES1P_EEDaS1K_S1L_EUlS1K_E_NS1_11comp_targetILNS1_3genE4ELNS1_11target_archE910ELNS1_3gpuE8ELNS1_3repE0EEENS1_30default_config_static_selectorELNS0_4arch9wavefront6targetE0EEEvSY_,comdat
	.globl	_ZN7rocprim17ROCPRIM_400000_NS6detail17trampoline_kernelINS0_13select_configILj256ELj13ELNS0_17block_load_methodE3ELS4_3ELS4_3ELNS0_20block_scan_algorithmE0ELj4294967295EEENS1_25partition_config_selectorILNS1_17partition_subalgoE3EjNS0_10empty_typeEbEEZZNS1_14partition_implILS8_3ELb0ES6_jNS0_17counting_iteratorIjlEEPS9_SE_NS0_5tupleIJPjSE_EEENSF_IJSE_SE_EEES9_SG_JZNS1_25segmented_radix_sort_implINS0_14default_configELb1EPKiPiPKlPlN2at6native12_GLOBAL__N_18offset_tEEE10hipError_tPvRmT1_PNSt15iterator_traitsISY_E10value_typeET2_T3_PNSZ_IS14_E10value_typeET4_jRbjT5_S1A_jjP12ihipStream_tbEUljE_EEESV_SW_SX_S14_S18_S1A_T6_T7_T9_mT8_S1C_bDpT10_ENKUlT_T0_E_clISt17integral_constantIbLb1EES1P_EEDaS1K_S1L_EUlS1K_E_NS1_11comp_targetILNS1_3genE4ELNS1_11target_archE910ELNS1_3gpuE8ELNS1_3repE0EEENS1_30default_config_static_selectorELNS0_4arch9wavefront6targetE0EEEvSY_ ; -- Begin function _ZN7rocprim17ROCPRIM_400000_NS6detail17trampoline_kernelINS0_13select_configILj256ELj13ELNS0_17block_load_methodE3ELS4_3ELS4_3ELNS0_20block_scan_algorithmE0ELj4294967295EEENS1_25partition_config_selectorILNS1_17partition_subalgoE3EjNS0_10empty_typeEbEEZZNS1_14partition_implILS8_3ELb0ES6_jNS0_17counting_iteratorIjlEEPS9_SE_NS0_5tupleIJPjSE_EEENSF_IJSE_SE_EEES9_SG_JZNS1_25segmented_radix_sort_implINS0_14default_configELb1EPKiPiPKlPlN2at6native12_GLOBAL__N_18offset_tEEE10hipError_tPvRmT1_PNSt15iterator_traitsISY_E10value_typeET2_T3_PNSZ_IS14_E10value_typeET4_jRbjT5_S1A_jjP12ihipStream_tbEUljE_EEESV_SW_SX_S14_S18_S1A_T6_T7_T9_mT8_S1C_bDpT10_ENKUlT_T0_E_clISt17integral_constantIbLb1EES1P_EEDaS1K_S1L_EUlS1K_E_NS1_11comp_targetILNS1_3genE4ELNS1_11target_archE910ELNS1_3gpuE8ELNS1_3repE0EEENS1_30default_config_static_selectorELNS0_4arch9wavefront6targetE0EEEvSY_
	.p2align	8
	.type	_ZN7rocprim17ROCPRIM_400000_NS6detail17trampoline_kernelINS0_13select_configILj256ELj13ELNS0_17block_load_methodE3ELS4_3ELS4_3ELNS0_20block_scan_algorithmE0ELj4294967295EEENS1_25partition_config_selectorILNS1_17partition_subalgoE3EjNS0_10empty_typeEbEEZZNS1_14partition_implILS8_3ELb0ES6_jNS0_17counting_iteratorIjlEEPS9_SE_NS0_5tupleIJPjSE_EEENSF_IJSE_SE_EEES9_SG_JZNS1_25segmented_radix_sort_implINS0_14default_configELb1EPKiPiPKlPlN2at6native12_GLOBAL__N_18offset_tEEE10hipError_tPvRmT1_PNSt15iterator_traitsISY_E10value_typeET2_T3_PNSZ_IS14_E10value_typeET4_jRbjT5_S1A_jjP12ihipStream_tbEUljE_EEESV_SW_SX_S14_S18_S1A_T6_T7_T9_mT8_S1C_bDpT10_ENKUlT_T0_E_clISt17integral_constantIbLb1EES1P_EEDaS1K_S1L_EUlS1K_E_NS1_11comp_targetILNS1_3genE4ELNS1_11target_archE910ELNS1_3gpuE8ELNS1_3repE0EEENS1_30default_config_static_selectorELNS0_4arch9wavefront6targetE0EEEvSY_,@function
_ZN7rocprim17ROCPRIM_400000_NS6detail17trampoline_kernelINS0_13select_configILj256ELj13ELNS0_17block_load_methodE3ELS4_3ELS4_3ELNS0_20block_scan_algorithmE0ELj4294967295EEENS1_25partition_config_selectorILNS1_17partition_subalgoE3EjNS0_10empty_typeEbEEZZNS1_14partition_implILS8_3ELb0ES6_jNS0_17counting_iteratorIjlEEPS9_SE_NS0_5tupleIJPjSE_EEENSF_IJSE_SE_EEES9_SG_JZNS1_25segmented_radix_sort_implINS0_14default_configELb1EPKiPiPKlPlN2at6native12_GLOBAL__N_18offset_tEEE10hipError_tPvRmT1_PNSt15iterator_traitsISY_E10value_typeET2_T3_PNSZ_IS14_E10value_typeET4_jRbjT5_S1A_jjP12ihipStream_tbEUljE_EEESV_SW_SX_S14_S18_S1A_T6_T7_T9_mT8_S1C_bDpT10_ENKUlT_T0_E_clISt17integral_constantIbLb1EES1P_EEDaS1K_S1L_EUlS1K_E_NS1_11comp_targetILNS1_3genE4ELNS1_11target_archE910ELNS1_3gpuE8ELNS1_3repE0EEENS1_30default_config_static_selectorELNS0_4arch9wavefront6targetE0EEEvSY_: ; @_ZN7rocprim17ROCPRIM_400000_NS6detail17trampoline_kernelINS0_13select_configILj256ELj13ELNS0_17block_load_methodE3ELS4_3ELS4_3ELNS0_20block_scan_algorithmE0ELj4294967295EEENS1_25partition_config_selectorILNS1_17partition_subalgoE3EjNS0_10empty_typeEbEEZZNS1_14partition_implILS8_3ELb0ES6_jNS0_17counting_iteratorIjlEEPS9_SE_NS0_5tupleIJPjSE_EEENSF_IJSE_SE_EEES9_SG_JZNS1_25segmented_radix_sort_implINS0_14default_configELb1EPKiPiPKlPlN2at6native12_GLOBAL__N_18offset_tEEE10hipError_tPvRmT1_PNSt15iterator_traitsISY_E10value_typeET2_T3_PNSZ_IS14_E10value_typeET4_jRbjT5_S1A_jjP12ihipStream_tbEUljE_EEESV_SW_SX_S14_S18_S1A_T6_T7_T9_mT8_S1C_bDpT10_ENKUlT_T0_E_clISt17integral_constantIbLb1EES1P_EEDaS1K_S1L_EUlS1K_E_NS1_11comp_targetILNS1_3genE4ELNS1_11target_archE910ELNS1_3gpuE8ELNS1_3repE0EEENS1_30default_config_static_selectorELNS0_4arch9wavefront6targetE0EEEvSY_
; %bb.0:
	.section	.rodata,"a",@progbits
	.p2align	6, 0x0
	.amdhsa_kernel _ZN7rocprim17ROCPRIM_400000_NS6detail17trampoline_kernelINS0_13select_configILj256ELj13ELNS0_17block_load_methodE3ELS4_3ELS4_3ELNS0_20block_scan_algorithmE0ELj4294967295EEENS1_25partition_config_selectorILNS1_17partition_subalgoE3EjNS0_10empty_typeEbEEZZNS1_14partition_implILS8_3ELb0ES6_jNS0_17counting_iteratorIjlEEPS9_SE_NS0_5tupleIJPjSE_EEENSF_IJSE_SE_EEES9_SG_JZNS1_25segmented_radix_sort_implINS0_14default_configELb1EPKiPiPKlPlN2at6native12_GLOBAL__N_18offset_tEEE10hipError_tPvRmT1_PNSt15iterator_traitsISY_E10value_typeET2_T3_PNSZ_IS14_E10value_typeET4_jRbjT5_S1A_jjP12ihipStream_tbEUljE_EEESV_SW_SX_S14_S18_S1A_T6_T7_T9_mT8_S1C_bDpT10_ENKUlT_T0_E_clISt17integral_constantIbLb1EES1P_EEDaS1K_S1L_EUlS1K_E_NS1_11comp_targetILNS1_3genE4ELNS1_11target_archE910ELNS1_3gpuE8ELNS1_3repE0EEENS1_30default_config_static_selectorELNS0_4arch9wavefront6targetE0EEEvSY_
		.amdhsa_group_segment_fixed_size 0
		.amdhsa_private_segment_fixed_size 0
		.amdhsa_kernarg_size 152
		.amdhsa_user_sgpr_count 2
		.amdhsa_user_sgpr_dispatch_ptr 0
		.amdhsa_user_sgpr_queue_ptr 0
		.amdhsa_user_sgpr_kernarg_segment_ptr 1
		.amdhsa_user_sgpr_dispatch_id 0
		.amdhsa_user_sgpr_private_segment_size 0
		.amdhsa_wavefront_size32 1
		.amdhsa_uses_dynamic_stack 0
		.amdhsa_enable_private_segment 0
		.amdhsa_system_sgpr_workgroup_id_x 1
		.amdhsa_system_sgpr_workgroup_id_y 0
		.amdhsa_system_sgpr_workgroup_id_z 0
		.amdhsa_system_sgpr_workgroup_info 0
		.amdhsa_system_vgpr_workitem_id 0
		.amdhsa_next_free_vgpr 1
		.amdhsa_next_free_sgpr 1
		.amdhsa_reserve_vcc 0
		.amdhsa_float_round_mode_32 0
		.amdhsa_float_round_mode_16_64 0
		.amdhsa_float_denorm_mode_32 3
		.amdhsa_float_denorm_mode_16_64 3
		.amdhsa_fp16_overflow 0
		.amdhsa_workgroup_processor_mode 1
		.amdhsa_memory_ordered 1
		.amdhsa_forward_progress 1
		.amdhsa_inst_pref_size 0
		.amdhsa_round_robin_scheduling 0
		.amdhsa_exception_fp_ieee_invalid_op 0
		.amdhsa_exception_fp_denorm_src 0
		.amdhsa_exception_fp_ieee_div_zero 0
		.amdhsa_exception_fp_ieee_overflow 0
		.amdhsa_exception_fp_ieee_underflow 0
		.amdhsa_exception_fp_ieee_inexact 0
		.amdhsa_exception_int_div_zero 0
	.end_amdhsa_kernel
	.section	.text._ZN7rocprim17ROCPRIM_400000_NS6detail17trampoline_kernelINS0_13select_configILj256ELj13ELNS0_17block_load_methodE3ELS4_3ELS4_3ELNS0_20block_scan_algorithmE0ELj4294967295EEENS1_25partition_config_selectorILNS1_17partition_subalgoE3EjNS0_10empty_typeEbEEZZNS1_14partition_implILS8_3ELb0ES6_jNS0_17counting_iteratorIjlEEPS9_SE_NS0_5tupleIJPjSE_EEENSF_IJSE_SE_EEES9_SG_JZNS1_25segmented_radix_sort_implINS0_14default_configELb1EPKiPiPKlPlN2at6native12_GLOBAL__N_18offset_tEEE10hipError_tPvRmT1_PNSt15iterator_traitsISY_E10value_typeET2_T3_PNSZ_IS14_E10value_typeET4_jRbjT5_S1A_jjP12ihipStream_tbEUljE_EEESV_SW_SX_S14_S18_S1A_T6_T7_T9_mT8_S1C_bDpT10_ENKUlT_T0_E_clISt17integral_constantIbLb1EES1P_EEDaS1K_S1L_EUlS1K_E_NS1_11comp_targetILNS1_3genE4ELNS1_11target_archE910ELNS1_3gpuE8ELNS1_3repE0EEENS1_30default_config_static_selectorELNS0_4arch9wavefront6targetE0EEEvSY_,"axG",@progbits,_ZN7rocprim17ROCPRIM_400000_NS6detail17trampoline_kernelINS0_13select_configILj256ELj13ELNS0_17block_load_methodE3ELS4_3ELS4_3ELNS0_20block_scan_algorithmE0ELj4294967295EEENS1_25partition_config_selectorILNS1_17partition_subalgoE3EjNS0_10empty_typeEbEEZZNS1_14partition_implILS8_3ELb0ES6_jNS0_17counting_iteratorIjlEEPS9_SE_NS0_5tupleIJPjSE_EEENSF_IJSE_SE_EEES9_SG_JZNS1_25segmented_radix_sort_implINS0_14default_configELb1EPKiPiPKlPlN2at6native12_GLOBAL__N_18offset_tEEE10hipError_tPvRmT1_PNSt15iterator_traitsISY_E10value_typeET2_T3_PNSZ_IS14_E10value_typeET4_jRbjT5_S1A_jjP12ihipStream_tbEUljE_EEESV_SW_SX_S14_S18_S1A_T6_T7_T9_mT8_S1C_bDpT10_ENKUlT_T0_E_clISt17integral_constantIbLb1EES1P_EEDaS1K_S1L_EUlS1K_E_NS1_11comp_targetILNS1_3genE4ELNS1_11target_archE910ELNS1_3gpuE8ELNS1_3repE0EEENS1_30default_config_static_selectorELNS0_4arch9wavefront6targetE0EEEvSY_,comdat
.Lfunc_end475:
	.size	_ZN7rocprim17ROCPRIM_400000_NS6detail17trampoline_kernelINS0_13select_configILj256ELj13ELNS0_17block_load_methodE3ELS4_3ELS4_3ELNS0_20block_scan_algorithmE0ELj4294967295EEENS1_25partition_config_selectorILNS1_17partition_subalgoE3EjNS0_10empty_typeEbEEZZNS1_14partition_implILS8_3ELb0ES6_jNS0_17counting_iteratorIjlEEPS9_SE_NS0_5tupleIJPjSE_EEENSF_IJSE_SE_EEES9_SG_JZNS1_25segmented_radix_sort_implINS0_14default_configELb1EPKiPiPKlPlN2at6native12_GLOBAL__N_18offset_tEEE10hipError_tPvRmT1_PNSt15iterator_traitsISY_E10value_typeET2_T3_PNSZ_IS14_E10value_typeET4_jRbjT5_S1A_jjP12ihipStream_tbEUljE_EEESV_SW_SX_S14_S18_S1A_T6_T7_T9_mT8_S1C_bDpT10_ENKUlT_T0_E_clISt17integral_constantIbLb1EES1P_EEDaS1K_S1L_EUlS1K_E_NS1_11comp_targetILNS1_3genE4ELNS1_11target_archE910ELNS1_3gpuE8ELNS1_3repE0EEENS1_30default_config_static_selectorELNS0_4arch9wavefront6targetE0EEEvSY_, .Lfunc_end475-_ZN7rocprim17ROCPRIM_400000_NS6detail17trampoline_kernelINS0_13select_configILj256ELj13ELNS0_17block_load_methodE3ELS4_3ELS4_3ELNS0_20block_scan_algorithmE0ELj4294967295EEENS1_25partition_config_selectorILNS1_17partition_subalgoE3EjNS0_10empty_typeEbEEZZNS1_14partition_implILS8_3ELb0ES6_jNS0_17counting_iteratorIjlEEPS9_SE_NS0_5tupleIJPjSE_EEENSF_IJSE_SE_EEES9_SG_JZNS1_25segmented_radix_sort_implINS0_14default_configELb1EPKiPiPKlPlN2at6native12_GLOBAL__N_18offset_tEEE10hipError_tPvRmT1_PNSt15iterator_traitsISY_E10value_typeET2_T3_PNSZ_IS14_E10value_typeET4_jRbjT5_S1A_jjP12ihipStream_tbEUljE_EEESV_SW_SX_S14_S18_S1A_T6_T7_T9_mT8_S1C_bDpT10_ENKUlT_T0_E_clISt17integral_constantIbLb1EES1P_EEDaS1K_S1L_EUlS1K_E_NS1_11comp_targetILNS1_3genE4ELNS1_11target_archE910ELNS1_3gpuE8ELNS1_3repE0EEENS1_30default_config_static_selectorELNS0_4arch9wavefront6targetE0EEEvSY_
                                        ; -- End function
	.set _ZN7rocprim17ROCPRIM_400000_NS6detail17trampoline_kernelINS0_13select_configILj256ELj13ELNS0_17block_load_methodE3ELS4_3ELS4_3ELNS0_20block_scan_algorithmE0ELj4294967295EEENS1_25partition_config_selectorILNS1_17partition_subalgoE3EjNS0_10empty_typeEbEEZZNS1_14partition_implILS8_3ELb0ES6_jNS0_17counting_iteratorIjlEEPS9_SE_NS0_5tupleIJPjSE_EEENSF_IJSE_SE_EEES9_SG_JZNS1_25segmented_radix_sort_implINS0_14default_configELb1EPKiPiPKlPlN2at6native12_GLOBAL__N_18offset_tEEE10hipError_tPvRmT1_PNSt15iterator_traitsISY_E10value_typeET2_T3_PNSZ_IS14_E10value_typeET4_jRbjT5_S1A_jjP12ihipStream_tbEUljE_EEESV_SW_SX_S14_S18_S1A_T6_T7_T9_mT8_S1C_bDpT10_ENKUlT_T0_E_clISt17integral_constantIbLb1EES1P_EEDaS1K_S1L_EUlS1K_E_NS1_11comp_targetILNS1_3genE4ELNS1_11target_archE910ELNS1_3gpuE8ELNS1_3repE0EEENS1_30default_config_static_selectorELNS0_4arch9wavefront6targetE0EEEvSY_.num_vgpr, 0
	.set _ZN7rocprim17ROCPRIM_400000_NS6detail17trampoline_kernelINS0_13select_configILj256ELj13ELNS0_17block_load_methodE3ELS4_3ELS4_3ELNS0_20block_scan_algorithmE0ELj4294967295EEENS1_25partition_config_selectorILNS1_17partition_subalgoE3EjNS0_10empty_typeEbEEZZNS1_14partition_implILS8_3ELb0ES6_jNS0_17counting_iteratorIjlEEPS9_SE_NS0_5tupleIJPjSE_EEENSF_IJSE_SE_EEES9_SG_JZNS1_25segmented_radix_sort_implINS0_14default_configELb1EPKiPiPKlPlN2at6native12_GLOBAL__N_18offset_tEEE10hipError_tPvRmT1_PNSt15iterator_traitsISY_E10value_typeET2_T3_PNSZ_IS14_E10value_typeET4_jRbjT5_S1A_jjP12ihipStream_tbEUljE_EEESV_SW_SX_S14_S18_S1A_T6_T7_T9_mT8_S1C_bDpT10_ENKUlT_T0_E_clISt17integral_constantIbLb1EES1P_EEDaS1K_S1L_EUlS1K_E_NS1_11comp_targetILNS1_3genE4ELNS1_11target_archE910ELNS1_3gpuE8ELNS1_3repE0EEENS1_30default_config_static_selectorELNS0_4arch9wavefront6targetE0EEEvSY_.num_agpr, 0
	.set _ZN7rocprim17ROCPRIM_400000_NS6detail17trampoline_kernelINS0_13select_configILj256ELj13ELNS0_17block_load_methodE3ELS4_3ELS4_3ELNS0_20block_scan_algorithmE0ELj4294967295EEENS1_25partition_config_selectorILNS1_17partition_subalgoE3EjNS0_10empty_typeEbEEZZNS1_14partition_implILS8_3ELb0ES6_jNS0_17counting_iteratorIjlEEPS9_SE_NS0_5tupleIJPjSE_EEENSF_IJSE_SE_EEES9_SG_JZNS1_25segmented_radix_sort_implINS0_14default_configELb1EPKiPiPKlPlN2at6native12_GLOBAL__N_18offset_tEEE10hipError_tPvRmT1_PNSt15iterator_traitsISY_E10value_typeET2_T3_PNSZ_IS14_E10value_typeET4_jRbjT5_S1A_jjP12ihipStream_tbEUljE_EEESV_SW_SX_S14_S18_S1A_T6_T7_T9_mT8_S1C_bDpT10_ENKUlT_T0_E_clISt17integral_constantIbLb1EES1P_EEDaS1K_S1L_EUlS1K_E_NS1_11comp_targetILNS1_3genE4ELNS1_11target_archE910ELNS1_3gpuE8ELNS1_3repE0EEENS1_30default_config_static_selectorELNS0_4arch9wavefront6targetE0EEEvSY_.numbered_sgpr, 0
	.set _ZN7rocprim17ROCPRIM_400000_NS6detail17trampoline_kernelINS0_13select_configILj256ELj13ELNS0_17block_load_methodE3ELS4_3ELS4_3ELNS0_20block_scan_algorithmE0ELj4294967295EEENS1_25partition_config_selectorILNS1_17partition_subalgoE3EjNS0_10empty_typeEbEEZZNS1_14partition_implILS8_3ELb0ES6_jNS0_17counting_iteratorIjlEEPS9_SE_NS0_5tupleIJPjSE_EEENSF_IJSE_SE_EEES9_SG_JZNS1_25segmented_radix_sort_implINS0_14default_configELb1EPKiPiPKlPlN2at6native12_GLOBAL__N_18offset_tEEE10hipError_tPvRmT1_PNSt15iterator_traitsISY_E10value_typeET2_T3_PNSZ_IS14_E10value_typeET4_jRbjT5_S1A_jjP12ihipStream_tbEUljE_EEESV_SW_SX_S14_S18_S1A_T6_T7_T9_mT8_S1C_bDpT10_ENKUlT_T0_E_clISt17integral_constantIbLb1EES1P_EEDaS1K_S1L_EUlS1K_E_NS1_11comp_targetILNS1_3genE4ELNS1_11target_archE910ELNS1_3gpuE8ELNS1_3repE0EEENS1_30default_config_static_selectorELNS0_4arch9wavefront6targetE0EEEvSY_.num_named_barrier, 0
	.set _ZN7rocprim17ROCPRIM_400000_NS6detail17trampoline_kernelINS0_13select_configILj256ELj13ELNS0_17block_load_methodE3ELS4_3ELS4_3ELNS0_20block_scan_algorithmE0ELj4294967295EEENS1_25partition_config_selectorILNS1_17partition_subalgoE3EjNS0_10empty_typeEbEEZZNS1_14partition_implILS8_3ELb0ES6_jNS0_17counting_iteratorIjlEEPS9_SE_NS0_5tupleIJPjSE_EEENSF_IJSE_SE_EEES9_SG_JZNS1_25segmented_radix_sort_implINS0_14default_configELb1EPKiPiPKlPlN2at6native12_GLOBAL__N_18offset_tEEE10hipError_tPvRmT1_PNSt15iterator_traitsISY_E10value_typeET2_T3_PNSZ_IS14_E10value_typeET4_jRbjT5_S1A_jjP12ihipStream_tbEUljE_EEESV_SW_SX_S14_S18_S1A_T6_T7_T9_mT8_S1C_bDpT10_ENKUlT_T0_E_clISt17integral_constantIbLb1EES1P_EEDaS1K_S1L_EUlS1K_E_NS1_11comp_targetILNS1_3genE4ELNS1_11target_archE910ELNS1_3gpuE8ELNS1_3repE0EEENS1_30default_config_static_selectorELNS0_4arch9wavefront6targetE0EEEvSY_.private_seg_size, 0
	.set _ZN7rocprim17ROCPRIM_400000_NS6detail17trampoline_kernelINS0_13select_configILj256ELj13ELNS0_17block_load_methodE3ELS4_3ELS4_3ELNS0_20block_scan_algorithmE0ELj4294967295EEENS1_25partition_config_selectorILNS1_17partition_subalgoE3EjNS0_10empty_typeEbEEZZNS1_14partition_implILS8_3ELb0ES6_jNS0_17counting_iteratorIjlEEPS9_SE_NS0_5tupleIJPjSE_EEENSF_IJSE_SE_EEES9_SG_JZNS1_25segmented_radix_sort_implINS0_14default_configELb1EPKiPiPKlPlN2at6native12_GLOBAL__N_18offset_tEEE10hipError_tPvRmT1_PNSt15iterator_traitsISY_E10value_typeET2_T3_PNSZ_IS14_E10value_typeET4_jRbjT5_S1A_jjP12ihipStream_tbEUljE_EEESV_SW_SX_S14_S18_S1A_T6_T7_T9_mT8_S1C_bDpT10_ENKUlT_T0_E_clISt17integral_constantIbLb1EES1P_EEDaS1K_S1L_EUlS1K_E_NS1_11comp_targetILNS1_3genE4ELNS1_11target_archE910ELNS1_3gpuE8ELNS1_3repE0EEENS1_30default_config_static_selectorELNS0_4arch9wavefront6targetE0EEEvSY_.uses_vcc, 0
	.set _ZN7rocprim17ROCPRIM_400000_NS6detail17trampoline_kernelINS0_13select_configILj256ELj13ELNS0_17block_load_methodE3ELS4_3ELS4_3ELNS0_20block_scan_algorithmE0ELj4294967295EEENS1_25partition_config_selectorILNS1_17partition_subalgoE3EjNS0_10empty_typeEbEEZZNS1_14partition_implILS8_3ELb0ES6_jNS0_17counting_iteratorIjlEEPS9_SE_NS0_5tupleIJPjSE_EEENSF_IJSE_SE_EEES9_SG_JZNS1_25segmented_radix_sort_implINS0_14default_configELb1EPKiPiPKlPlN2at6native12_GLOBAL__N_18offset_tEEE10hipError_tPvRmT1_PNSt15iterator_traitsISY_E10value_typeET2_T3_PNSZ_IS14_E10value_typeET4_jRbjT5_S1A_jjP12ihipStream_tbEUljE_EEESV_SW_SX_S14_S18_S1A_T6_T7_T9_mT8_S1C_bDpT10_ENKUlT_T0_E_clISt17integral_constantIbLb1EES1P_EEDaS1K_S1L_EUlS1K_E_NS1_11comp_targetILNS1_3genE4ELNS1_11target_archE910ELNS1_3gpuE8ELNS1_3repE0EEENS1_30default_config_static_selectorELNS0_4arch9wavefront6targetE0EEEvSY_.uses_flat_scratch, 0
	.set _ZN7rocprim17ROCPRIM_400000_NS6detail17trampoline_kernelINS0_13select_configILj256ELj13ELNS0_17block_load_methodE3ELS4_3ELS4_3ELNS0_20block_scan_algorithmE0ELj4294967295EEENS1_25partition_config_selectorILNS1_17partition_subalgoE3EjNS0_10empty_typeEbEEZZNS1_14partition_implILS8_3ELb0ES6_jNS0_17counting_iteratorIjlEEPS9_SE_NS0_5tupleIJPjSE_EEENSF_IJSE_SE_EEES9_SG_JZNS1_25segmented_radix_sort_implINS0_14default_configELb1EPKiPiPKlPlN2at6native12_GLOBAL__N_18offset_tEEE10hipError_tPvRmT1_PNSt15iterator_traitsISY_E10value_typeET2_T3_PNSZ_IS14_E10value_typeET4_jRbjT5_S1A_jjP12ihipStream_tbEUljE_EEESV_SW_SX_S14_S18_S1A_T6_T7_T9_mT8_S1C_bDpT10_ENKUlT_T0_E_clISt17integral_constantIbLb1EES1P_EEDaS1K_S1L_EUlS1K_E_NS1_11comp_targetILNS1_3genE4ELNS1_11target_archE910ELNS1_3gpuE8ELNS1_3repE0EEENS1_30default_config_static_selectorELNS0_4arch9wavefront6targetE0EEEvSY_.has_dyn_sized_stack, 0
	.set _ZN7rocprim17ROCPRIM_400000_NS6detail17trampoline_kernelINS0_13select_configILj256ELj13ELNS0_17block_load_methodE3ELS4_3ELS4_3ELNS0_20block_scan_algorithmE0ELj4294967295EEENS1_25partition_config_selectorILNS1_17partition_subalgoE3EjNS0_10empty_typeEbEEZZNS1_14partition_implILS8_3ELb0ES6_jNS0_17counting_iteratorIjlEEPS9_SE_NS0_5tupleIJPjSE_EEENSF_IJSE_SE_EEES9_SG_JZNS1_25segmented_radix_sort_implINS0_14default_configELb1EPKiPiPKlPlN2at6native12_GLOBAL__N_18offset_tEEE10hipError_tPvRmT1_PNSt15iterator_traitsISY_E10value_typeET2_T3_PNSZ_IS14_E10value_typeET4_jRbjT5_S1A_jjP12ihipStream_tbEUljE_EEESV_SW_SX_S14_S18_S1A_T6_T7_T9_mT8_S1C_bDpT10_ENKUlT_T0_E_clISt17integral_constantIbLb1EES1P_EEDaS1K_S1L_EUlS1K_E_NS1_11comp_targetILNS1_3genE4ELNS1_11target_archE910ELNS1_3gpuE8ELNS1_3repE0EEENS1_30default_config_static_selectorELNS0_4arch9wavefront6targetE0EEEvSY_.has_recursion, 0
	.set _ZN7rocprim17ROCPRIM_400000_NS6detail17trampoline_kernelINS0_13select_configILj256ELj13ELNS0_17block_load_methodE3ELS4_3ELS4_3ELNS0_20block_scan_algorithmE0ELj4294967295EEENS1_25partition_config_selectorILNS1_17partition_subalgoE3EjNS0_10empty_typeEbEEZZNS1_14partition_implILS8_3ELb0ES6_jNS0_17counting_iteratorIjlEEPS9_SE_NS0_5tupleIJPjSE_EEENSF_IJSE_SE_EEES9_SG_JZNS1_25segmented_radix_sort_implINS0_14default_configELb1EPKiPiPKlPlN2at6native12_GLOBAL__N_18offset_tEEE10hipError_tPvRmT1_PNSt15iterator_traitsISY_E10value_typeET2_T3_PNSZ_IS14_E10value_typeET4_jRbjT5_S1A_jjP12ihipStream_tbEUljE_EEESV_SW_SX_S14_S18_S1A_T6_T7_T9_mT8_S1C_bDpT10_ENKUlT_T0_E_clISt17integral_constantIbLb1EES1P_EEDaS1K_S1L_EUlS1K_E_NS1_11comp_targetILNS1_3genE4ELNS1_11target_archE910ELNS1_3gpuE8ELNS1_3repE0EEENS1_30default_config_static_selectorELNS0_4arch9wavefront6targetE0EEEvSY_.has_indirect_call, 0
	.section	.AMDGPU.csdata,"",@progbits
; Kernel info:
; codeLenInByte = 0
; TotalNumSgprs: 0
; NumVgprs: 0
; ScratchSize: 0
; MemoryBound: 0
; FloatMode: 240
; IeeeMode: 1
; LDSByteSize: 0 bytes/workgroup (compile time only)
; SGPRBlocks: 0
; VGPRBlocks: 0
; NumSGPRsForWavesPerEU: 1
; NumVGPRsForWavesPerEU: 1
; Occupancy: 16
; WaveLimiterHint : 0
; COMPUTE_PGM_RSRC2:SCRATCH_EN: 0
; COMPUTE_PGM_RSRC2:USER_SGPR: 2
; COMPUTE_PGM_RSRC2:TRAP_HANDLER: 0
; COMPUTE_PGM_RSRC2:TGID_X_EN: 1
; COMPUTE_PGM_RSRC2:TGID_Y_EN: 0
; COMPUTE_PGM_RSRC2:TGID_Z_EN: 0
; COMPUTE_PGM_RSRC2:TIDIG_COMP_CNT: 0
	.section	.text._ZN7rocprim17ROCPRIM_400000_NS6detail17trampoline_kernelINS0_13select_configILj256ELj13ELNS0_17block_load_methodE3ELS4_3ELS4_3ELNS0_20block_scan_algorithmE0ELj4294967295EEENS1_25partition_config_selectorILNS1_17partition_subalgoE3EjNS0_10empty_typeEbEEZZNS1_14partition_implILS8_3ELb0ES6_jNS0_17counting_iteratorIjlEEPS9_SE_NS0_5tupleIJPjSE_EEENSF_IJSE_SE_EEES9_SG_JZNS1_25segmented_radix_sort_implINS0_14default_configELb1EPKiPiPKlPlN2at6native12_GLOBAL__N_18offset_tEEE10hipError_tPvRmT1_PNSt15iterator_traitsISY_E10value_typeET2_T3_PNSZ_IS14_E10value_typeET4_jRbjT5_S1A_jjP12ihipStream_tbEUljE_EEESV_SW_SX_S14_S18_S1A_T6_T7_T9_mT8_S1C_bDpT10_ENKUlT_T0_E_clISt17integral_constantIbLb1EES1P_EEDaS1K_S1L_EUlS1K_E_NS1_11comp_targetILNS1_3genE3ELNS1_11target_archE908ELNS1_3gpuE7ELNS1_3repE0EEENS1_30default_config_static_selectorELNS0_4arch9wavefront6targetE0EEEvSY_,"axG",@progbits,_ZN7rocprim17ROCPRIM_400000_NS6detail17trampoline_kernelINS0_13select_configILj256ELj13ELNS0_17block_load_methodE3ELS4_3ELS4_3ELNS0_20block_scan_algorithmE0ELj4294967295EEENS1_25partition_config_selectorILNS1_17partition_subalgoE3EjNS0_10empty_typeEbEEZZNS1_14partition_implILS8_3ELb0ES6_jNS0_17counting_iteratorIjlEEPS9_SE_NS0_5tupleIJPjSE_EEENSF_IJSE_SE_EEES9_SG_JZNS1_25segmented_radix_sort_implINS0_14default_configELb1EPKiPiPKlPlN2at6native12_GLOBAL__N_18offset_tEEE10hipError_tPvRmT1_PNSt15iterator_traitsISY_E10value_typeET2_T3_PNSZ_IS14_E10value_typeET4_jRbjT5_S1A_jjP12ihipStream_tbEUljE_EEESV_SW_SX_S14_S18_S1A_T6_T7_T9_mT8_S1C_bDpT10_ENKUlT_T0_E_clISt17integral_constantIbLb1EES1P_EEDaS1K_S1L_EUlS1K_E_NS1_11comp_targetILNS1_3genE3ELNS1_11target_archE908ELNS1_3gpuE7ELNS1_3repE0EEENS1_30default_config_static_selectorELNS0_4arch9wavefront6targetE0EEEvSY_,comdat
	.globl	_ZN7rocprim17ROCPRIM_400000_NS6detail17trampoline_kernelINS0_13select_configILj256ELj13ELNS0_17block_load_methodE3ELS4_3ELS4_3ELNS0_20block_scan_algorithmE0ELj4294967295EEENS1_25partition_config_selectorILNS1_17partition_subalgoE3EjNS0_10empty_typeEbEEZZNS1_14partition_implILS8_3ELb0ES6_jNS0_17counting_iteratorIjlEEPS9_SE_NS0_5tupleIJPjSE_EEENSF_IJSE_SE_EEES9_SG_JZNS1_25segmented_radix_sort_implINS0_14default_configELb1EPKiPiPKlPlN2at6native12_GLOBAL__N_18offset_tEEE10hipError_tPvRmT1_PNSt15iterator_traitsISY_E10value_typeET2_T3_PNSZ_IS14_E10value_typeET4_jRbjT5_S1A_jjP12ihipStream_tbEUljE_EEESV_SW_SX_S14_S18_S1A_T6_T7_T9_mT8_S1C_bDpT10_ENKUlT_T0_E_clISt17integral_constantIbLb1EES1P_EEDaS1K_S1L_EUlS1K_E_NS1_11comp_targetILNS1_3genE3ELNS1_11target_archE908ELNS1_3gpuE7ELNS1_3repE0EEENS1_30default_config_static_selectorELNS0_4arch9wavefront6targetE0EEEvSY_ ; -- Begin function _ZN7rocprim17ROCPRIM_400000_NS6detail17trampoline_kernelINS0_13select_configILj256ELj13ELNS0_17block_load_methodE3ELS4_3ELS4_3ELNS0_20block_scan_algorithmE0ELj4294967295EEENS1_25partition_config_selectorILNS1_17partition_subalgoE3EjNS0_10empty_typeEbEEZZNS1_14partition_implILS8_3ELb0ES6_jNS0_17counting_iteratorIjlEEPS9_SE_NS0_5tupleIJPjSE_EEENSF_IJSE_SE_EEES9_SG_JZNS1_25segmented_radix_sort_implINS0_14default_configELb1EPKiPiPKlPlN2at6native12_GLOBAL__N_18offset_tEEE10hipError_tPvRmT1_PNSt15iterator_traitsISY_E10value_typeET2_T3_PNSZ_IS14_E10value_typeET4_jRbjT5_S1A_jjP12ihipStream_tbEUljE_EEESV_SW_SX_S14_S18_S1A_T6_T7_T9_mT8_S1C_bDpT10_ENKUlT_T0_E_clISt17integral_constantIbLb1EES1P_EEDaS1K_S1L_EUlS1K_E_NS1_11comp_targetILNS1_3genE3ELNS1_11target_archE908ELNS1_3gpuE7ELNS1_3repE0EEENS1_30default_config_static_selectorELNS0_4arch9wavefront6targetE0EEEvSY_
	.p2align	8
	.type	_ZN7rocprim17ROCPRIM_400000_NS6detail17trampoline_kernelINS0_13select_configILj256ELj13ELNS0_17block_load_methodE3ELS4_3ELS4_3ELNS0_20block_scan_algorithmE0ELj4294967295EEENS1_25partition_config_selectorILNS1_17partition_subalgoE3EjNS0_10empty_typeEbEEZZNS1_14partition_implILS8_3ELb0ES6_jNS0_17counting_iteratorIjlEEPS9_SE_NS0_5tupleIJPjSE_EEENSF_IJSE_SE_EEES9_SG_JZNS1_25segmented_radix_sort_implINS0_14default_configELb1EPKiPiPKlPlN2at6native12_GLOBAL__N_18offset_tEEE10hipError_tPvRmT1_PNSt15iterator_traitsISY_E10value_typeET2_T3_PNSZ_IS14_E10value_typeET4_jRbjT5_S1A_jjP12ihipStream_tbEUljE_EEESV_SW_SX_S14_S18_S1A_T6_T7_T9_mT8_S1C_bDpT10_ENKUlT_T0_E_clISt17integral_constantIbLb1EES1P_EEDaS1K_S1L_EUlS1K_E_NS1_11comp_targetILNS1_3genE3ELNS1_11target_archE908ELNS1_3gpuE7ELNS1_3repE0EEENS1_30default_config_static_selectorELNS0_4arch9wavefront6targetE0EEEvSY_,@function
_ZN7rocprim17ROCPRIM_400000_NS6detail17trampoline_kernelINS0_13select_configILj256ELj13ELNS0_17block_load_methodE3ELS4_3ELS4_3ELNS0_20block_scan_algorithmE0ELj4294967295EEENS1_25partition_config_selectorILNS1_17partition_subalgoE3EjNS0_10empty_typeEbEEZZNS1_14partition_implILS8_3ELb0ES6_jNS0_17counting_iteratorIjlEEPS9_SE_NS0_5tupleIJPjSE_EEENSF_IJSE_SE_EEES9_SG_JZNS1_25segmented_radix_sort_implINS0_14default_configELb1EPKiPiPKlPlN2at6native12_GLOBAL__N_18offset_tEEE10hipError_tPvRmT1_PNSt15iterator_traitsISY_E10value_typeET2_T3_PNSZ_IS14_E10value_typeET4_jRbjT5_S1A_jjP12ihipStream_tbEUljE_EEESV_SW_SX_S14_S18_S1A_T6_T7_T9_mT8_S1C_bDpT10_ENKUlT_T0_E_clISt17integral_constantIbLb1EES1P_EEDaS1K_S1L_EUlS1K_E_NS1_11comp_targetILNS1_3genE3ELNS1_11target_archE908ELNS1_3gpuE7ELNS1_3repE0EEENS1_30default_config_static_selectorELNS0_4arch9wavefront6targetE0EEEvSY_: ; @_ZN7rocprim17ROCPRIM_400000_NS6detail17trampoline_kernelINS0_13select_configILj256ELj13ELNS0_17block_load_methodE3ELS4_3ELS4_3ELNS0_20block_scan_algorithmE0ELj4294967295EEENS1_25partition_config_selectorILNS1_17partition_subalgoE3EjNS0_10empty_typeEbEEZZNS1_14partition_implILS8_3ELb0ES6_jNS0_17counting_iteratorIjlEEPS9_SE_NS0_5tupleIJPjSE_EEENSF_IJSE_SE_EEES9_SG_JZNS1_25segmented_radix_sort_implINS0_14default_configELb1EPKiPiPKlPlN2at6native12_GLOBAL__N_18offset_tEEE10hipError_tPvRmT1_PNSt15iterator_traitsISY_E10value_typeET2_T3_PNSZ_IS14_E10value_typeET4_jRbjT5_S1A_jjP12ihipStream_tbEUljE_EEESV_SW_SX_S14_S18_S1A_T6_T7_T9_mT8_S1C_bDpT10_ENKUlT_T0_E_clISt17integral_constantIbLb1EES1P_EEDaS1K_S1L_EUlS1K_E_NS1_11comp_targetILNS1_3genE3ELNS1_11target_archE908ELNS1_3gpuE7ELNS1_3repE0EEENS1_30default_config_static_selectorELNS0_4arch9wavefront6targetE0EEEvSY_
; %bb.0:
	.section	.rodata,"a",@progbits
	.p2align	6, 0x0
	.amdhsa_kernel _ZN7rocprim17ROCPRIM_400000_NS6detail17trampoline_kernelINS0_13select_configILj256ELj13ELNS0_17block_load_methodE3ELS4_3ELS4_3ELNS0_20block_scan_algorithmE0ELj4294967295EEENS1_25partition_config_selectorILNS1_17partition_subalgoE3EjNS0_10empty_typeEbEEZZNS1_14partition_implILS8_3ELb0ES6_jNS0_17counting_iteratorIjlEEPS9_SE_NS0_5tupleIJPjSE_EEENSF_IJSE_SE_EEES9_SG_JZNS1_25segmented_radix_sort_implINS0_14default_configELb1EPKiPiPKlPlN2at6native12_GLOBAL__N_18offset_tEEE10hipError_tPvRmT1_PNSt15iterator_traitsISY_E10value_typeET2_T3_PNSZ_IS14_E10value_typeET4_jRbjT5_S1A_jjP12ihipStream_tbEUljE_EEESV_SW_SX_S14_S18_S1A_T6_T7_T9_mT8_S1C_bDpT10_ENKUlT_T0_E_clISt17integral_constantIbLb1EES1P_EEDaS1K_S1L_EUlS1K_E_NS1_11comp_targetILNS1_3genE3ELNS1_11target_archE908ELNS1_3gpuE7ELNS1_3repE0EEENS1_30default_config_static_selectorELNS0_4arch9wavefront6targetE0EEEvSY_
		.amdhsa_group_segment_fixed_size 0
		.amdhsa_private_segment_fixed_size 0
		.amdhsa_kernarg_size 152
		.amdhsa_user_sgpr_count 2
		.amdhsa_user_sgpr_dispatch_ptr 0
		.amdhsa_user_sgpr_queue_ptr 0
		.amdhsa_user_sgpr_kernarg_segment_ptr 1
		.amdhsa_user_sgpr_dispatch_id 0
		.amdhsa_user_sgpr_private_segment_size 0
		.amdhsa_wavefront_size32 1
		.amdhsa_uses_dynamic_stack 0
		.amdhsa_enable_private_segment 0
		.amdhsa_system_sgpr_workgroup_id_x 1
		.amdhsa_system_sgpr_workgroup_id_y 0
		.amdhsa_system_sgpr_workgroup_id_z 0
		.amdhsa_system_sgpr_workgroup_info 0
		.amdhsa_system_vgpr_workitem_id 0
		.amdhsa_next_free_vgpr 1
		.amdhsa_next_free_sgpr 1
		.amdhsa_reserve_vcc 0
		.amdhsa_float_round_mode_32 0
		.amdhsa_float_round_mode_16_64 0
		.amdhsa_float_denorm_mode_32 3
		.amdhsa_float_denorm_mode_16_64 3
		.amdhsa_fp16_overflow 0
		.amdhsa_workgroup_processor_mode 1
		.amdhsa_memory_ordered 1
		.amdhsa_forward_progress 1
		.amdhsa_inst_pref_size 0
		.amdhsa_round_robin_scheduling 0
		.amdhsa_exception_fp_ieee_invalid_op 0
		.amdhsa_exception_fp_denorm_src 0
		.amdhsa_exception_fp_ieee_div_zero 0
		.amdhsa_exception_fp_ieee_overflow 0
		.amdhsa_exception_fp_ieee_underflow 0
		.amdhsa_exception_fp_ieee_inexact 0
		.amdhsa_exception_int_div_zero 0
	.end_amdhsa_kernel
	.section	.text._ZN7rocprim17ROCPRIM_400000_NS6detail17trampoline_kernelINS0_13select_configILj256ELj13ELNS0_17block_load_methodE3ELS4_3ELS4_3ELNS0_20block_scan_algorithmE0ELj4294967295EEENS1_25partition_config_selectorILNS1_17partition_subalgoE3EjNS0_10empty_typeEbEEZZNS1_14partition_implILS8_3ELb0ES6_jNS0_17counting_iteratorIjlEEPS9_SE_NS0_5tupleIJPjSE_EEENSF_IJSE_SE_EEES9_SG_JZNS1_25segmented_radix_sort_implINS0_14default_configELb1EPKiPiPKlPlN2at6native12_GLOBAL__N_18offset_tEEE10hipError_tPvRmT1_PNSt15iterator_traitsISY_E10value_typeET2_T3_PNSZ_IS14_E10value_typeET4_jRbjT5_S1A_jjP12ihipStream_tbEUljE_EEESV_SW_SX_S14_S18_S1A_T6_T7_T9_mT8_S1C_bDpT10_ENKUlT_T0_E_clISt17integral_constantIbLb1EES1P_EEDaS1K_S1L_EUlS1K_E_NS1_11comp_targetILNS1_3genE3ELNS1_11target_archE908ELNS1_3gpuE7ELNS1_3repE0EEENS1_30default_config_static_selectorELNS0_4arch9wavefront6targetE0EEEvSY_,"axG",@progbits,_ZN7rocprim17ROCPRIM_400000_NS6detail17trampoline_kernelINS0_13select_configILj256ELj13ELNS0_17block_load_methodE3ELS4_3ELS4_3ELNS0_20block_scan_algorithmE0ELj4294967295EEENS1_25partition_config_selectorILNS1_17partition_subalgoE3EjNS0_10empty_typeEbEEZZNS1_14partition_implILS8_3ELb0ES6_jNS0_17counting_iteratorIjlEEPS9_SE_NS0_5tupleIJPjSE_EEENSF_IJSE_SE_EEES9_SG_JZNS1_25segmented_radix_sort_implINS0_14default_configELb1EPKiPiPKlPlN2at6native12_GLOBAL__N_18offset_tEEE10hipError_tPvRmT1_PNSt15iterator_traitsISY_E10value_typeET2_T3_PNSZ_IS14_E10value_typeET4_jRbjT5_S1A_jjP12ihipStream_tbEUljE_EEESV_SW_SX_S14_S18_S1A_T6_T7_T9_mT8_S1C_bDpT10_ENKUlT_T0_E_clISt17integral_constantIbLb1EES1P_EEDaS1K_S1L_EUlS1K_E_NS1_11comp_targetILNS1_3genE3ELNS1_11target_archE908ELNS1_3gpuE7ELNS1_3repE0EEENS1_30default_config_static_selectorELNS0_4arch9wavefront6targetE0EEEvSY_,comdat
.Lfunc_end476:
	.size	_ZN7rocprim17ROCPRIM_400000_NS6detail17trampoline_kernelINS0_13select_configILj256ELj13ELNS0_17block_load_methodE3ELS4_3ELS4_3ELNS0_20block_scan_algorithmE0ELj4294967295EEENS1_25partition_config_selectorILNS1_17partition_subalgoE3EjNS0_10empty_typeEbEEZZNS1_14partition_implILS8_3ELb0ES6_jNS0_17counting_iteratorIjlEEPS9_SE_NS0_5tupleIJPjSE_EEENSF_IJSE_SE_EEES9_SG_JZNS1_25segmented_radix_sort_implINS0_14default_configELb1EPKiPiPKlPlN2at6native12_GLOBAL__N_18offset_tEEE10hipError_tPvRmT1_PNSt15iterator_traitsISY_E10value_typeET2_T3_PNSZ_IS14_E10value_typeET4_jRbjT5_S1A_jjP12ihipStream_tbEUljE_EEESV_SW_SX_S14_S18_S1A_T6_T7_T9_mT8_S1C_bDpT10_ENKUlT_T0_E_clISt17integral_constantIbLb1EES1P_EEDaS1K_S1L_EUlS1K_E_NS1_11comp_targetILNS1_3genE3ELNS1_11target_archE908ELNS1_3gpuE7ELNS1_3repE0EEENS1_30default_config_static_selectorELNS0_4arch9wavefront6targetE0EEEvSY_, .Lfunc_end476-_ZN7rocprim17ROCPRIM_400000_NS6detail17trampoline_kernelINS0_13select_configILj256ELj13ELNS0_17block_load_methodE3ELS4_3ELS4_3ELNS0_20block_scan_algorithmE0ELj4294967295EEENS1_25partition_config_selectorILNS1_17partition_subalgoE3EjNS0_10empty_typeEbEEZZNS1_14partition_implILS8_3ELb0ES6_jNS0_17counting_iteratorIjlEEPS9_SE_NS0_5tupleIJPjSE_EEENSF_IJSE_SE_EEES9_SG_JZNS1_25segmented_radix_sort_implINS0_14default_configELb1EPKiPiPKlPlN2at6native12_GLOBAL__N_18offset_tEEE10hipError_tPvRmT1_PNSt15iterator_traitsISY_E10value_typeET2_T3_PNSZ_IS14_E10value_typeET4_jRbjT5_S1A_jjP12ihipStream_tbEUljE_EEESV_SW_SX_S14_S18_S1A_T6_T7_T9_mT8_S1C_bDpT10_ENKUlT_T0_E_clISt17integral_constantIbLb1EES1P_EEDaS1K_S1L_EUlS1K_E_NS1_11comp_targetILNS1_3genE3ELNS1_11target_archE908ELNS1_3gpuE7ELNS1_3repE0EEENS1_30default_config_static_selectorELNS0_4arch9wavefront6targetE0EEEvSY_
                                        ; -- End function
	.set _ZN7rocprim17ROCPRIM_400000_NS6detail17trampoline_kernelINS0_13select_configILj256ELj13ELNS0_17block_load_methodE3ELS4_3ELS4_3ELNS0_20block_scan_algorithmE0ELj4294967295EEENS1_25partition_config_selectorILNS1_17partition_subalgoE3EjNS0_10empty_typeEbEEZZNS1_14partition_implILS8_3ELb0ES6_jNS0_17counting_iteratorIjlEEPS9_SE_NS0_5tupleIJPjSE_EEENSF_IJSE_SE_EEES9_SG_JZNS1_25segmented_radix_sort_implINS0_14default_configELb1EPKiPiPKlPlN2at6native12_GLOBAL__N_18offset_tEEE10hipError_tPvRmT1_PNSt15iterator_traitsISY_E10value_typeET2_T3_PNSZ_IS14_E10value_typeET4_jRbjT5_S1A_jjP12ihipStream_tbEUljE_EEESV_SW_SX_S14_S18_S1A_T6_T7_T9_mT8_S1C_bDpT10_ENKUlT_T0_E_clISt17integral_constantIbLb1EES1P_EEDaS1K_S1L_EUlS1K_E_NS1_11comp_targetILNS1_3genE3ELNS1_11target_archE908ELNS1_3gpuE7ELNS1_3repE0EEENS1_30default_config_static_selectorELNS0_4arch9wavefront6targetE0EEEvSY_.num_vgpr, 0
	.set _ZN7rocprim17ROCPRIM_400000_NS6detail17trampoline_kernelINS0_13select_configILj256ELj13ELNS0_17block_load_methodE3ELS4_3ELS4_3ELNS0_20block_scan_algorithmE0ELj4294967295EEENS1_25partition_config_selectorILNS1_17partition_subalgoE3EjNS0_10empty_typeEbEEZZNS1_14partition_implILS8_3ELb0ES6_jNS0_17counting_iteratorIjlEEPS9_SE_NS0_5tupleIJPjSE_EEENSF_IJSE_SE_EEES9_SG_JZNS1_25segmented_radix_sort_implINS0_14default_configELb1EPKiPiPKlPlN2at6native12_GLOBAL__N_18offset_tEEE10hipError_tPvRmT1_PNSt15iterator_traitsISY_E10value_typeET2_T3_PNSZ_IS14_E10value_typeET4_jRbjT5_S1A_jjP12ihipStream_tbEUljE_EEESV_SW_SX_S14_S18_S1A_T6_T7_T9_mT8_S1C_bDpT10_ENKUlT_T0_E_clISt17integral_constantIbLb1EES1P_EEDaS1K_S1L_EUlS1K_E_NS1_11comp_targetILNS1_3genE3ELNS1_11target_archE908ELNS1_3gpuE7ELNS1_3repE0EEENS1_30default_config_static_selectorELNS0_4arch9wavefront6targetE0EEEvSY_.num_agpr, 0
	.set _ZN7rocprim17ROCPRIM_400000_NS6detail17trampoline_kernelINS0_13select_configILj256ELj13ELNS0_17block_load_methodE3ELS4_3ELS4_3ELNS0_20block_scan_algorithmE0ELj4294967295EEENS1_25partition_config_selectorILNS1_17partition_subalgoE3EjNS0_10empty_typeEbEEZZNS1_14partition_implILS8_3ELb0ES6_jNS0_17counting_iteratorIjlEEPS9_SE_NS0_5tupleIJPjSE_EEENSF_IJSE_SE_EEES9_SG_JZNS1_25segmented_radix_sort_implINS0_14default_configELb1EPKiPiPKlPlN2at6native12_GLOBAL__N_18offset_tEEE10hipError_tPvRmT1_PNSt15iterator_traitsISY_E10value_typeET2_T3_PNSZ_IS14_E10value_typeET4_jRbjT5_S1A_jjP12ihipStream_tbEUljE_EEESV_SW_SX_S14_S18_S1A_T6_T7_T9_mT8_S1C_bDpT10_ENKUlT_T0_E_clISt17integral_constantIbLb1EES1P_EEDaS1K_S1L_EUlS1K_E_NS1_11comp_targetILNS1_3genE3ELNS1_11target_archE908ELNS1_3gpuE7ELNS1_3repE0EEENS1_30default_config_static_selectorELNS0_4arch9wavefront6targetE0EEEvSY_.numbered_sgpr, 0
	.set _ZN7rocprim17ROCPRIM_400000_NS6detail17trampoline_kernelINS0_13select_configILj256ELj13ELNS0_17block_load_methodE3ELS4_3ELS4_3ELNS0_20block_scan_algorithmE0ELj4294967295EEENS1_25partition_config_selectorILNS1_17partition_subalgoE3EjNS0_10empty_typeEbEEZZNS1_14partition_implILS8_3ELb0ES6_jNS0_17counting_iteratorIjlEEPS9_SE_NS0_5tupleIJPjSE_EEENSF_IJSE_SE_EEES9_SG_JZNS1_25segmented_radix_sort_implINS0_14default_configELb1EPKiPiPKlPlN2at6native12_GLOBAL__N_18offset_tEEE10hipError_tPvRmT1_PNSt15iterator_traitsISY_E10value_typeET2_T3_PNSZ_IS14_E10value_typeET4_jRbjT5_S1A_jjP12ihipStream_tbEUljE_EEESV_SW_SX_S14_S18_S1A_T6_T7_T9_mT8_S1C_bDpT10_ENKUlT_T0_E_clISt17integral_constantIbLb1EES1P_EEDaS1K_S1L_EUlS1K_E_NS1_11comp_targetILNS1_3genE3ELNS1_11target_archE908ELNS1_3gpuE7ELNS1_3repE0EEENS1_30default_config_static_selectorELNS0_4arch9wavefront6targetE0EEEvSY_.num_named_barrier, 0
	.set _ZN7rocprim17ROCPRIM_400000_NS6detail17trampoline_kernelINS0_13select_configILj256ELj13ELNS0_17block_load_methodE3ELS4_3ELS4_3ELNS0_20block_scan_algorithmE0ELj4294967295EEENS1_25partition_config_selectorILNS1_17partition_subalgoE3EjNS0_10empty_typeEbEEZZNS1_14partition_implILS8_3ELb0ES6_jNS0_17counting_iteratorIjlEEPS9_SE_NS0_5tupleIJPjSE_EEENSF_IJSE_SE_EEES9_SG_JZNS1_25segmented_radix_sort_implINS0_14default_configELb1EPKiPiPKlPlN2at6native12_GLOBAL__N_18offset_tEEE10hipError_tPvRmT1_PNSt15iterator_traitsISY_E10value_typeET2_T3_PNSZ_IS14_E10value_typeET4_jRbjT5_S1A_jjP12ihipStream_tbEUljE_EEESV_SW_SX_S14_S18_S1A_T6_T7_T9_mT8_S1C_bDpT10_ENKUlT_T0_E_clISt17integral_constantIbLb1EES1P_EEDaS1K_S1L_EUlS1K_E_NS1_11comp_targetILNS1_3genE3ELNS1_11target_archE908ELNS1_3gpuE7ELNS1_3repE0EEENS1_30default_config_static_selectorELNS0_4arch9wavefront6targetE0EEEvSY_.private_seg_size, 0
	.set _ZN7rocprim17ROCPRIM_400000_NS6detail17trampoline_kernelINS0_13select_configILj256ELj13ELNS0_17block_load_methodE3ELS4_3ELS4_3ELNS0_20block_scan_algorithmE0ELj4294967295EEENS1_25partition_config_selectorILNS1_17partition_subalgoE3EjNS0_10empty_typeEbEEZZNS1_14partition_implILS8_3ELb0ES6_jNS0_17counting_iteratorIjlEEPS9_SE_NS0_5tupleIJPjSE_EEENSF_IJSE_SE_EEES9_SG_JZNS1_25segmented_radix_sort_implINS0_14default_configELb1EPKiPiPKlPlN2at6native12_GLOBAL__N_18offset_tEEE10hipError_tPvRmT1_PNSt15iterator_traitsISY_E10value_typeET2_T3_PNSZ_IS14_E10value_typeET4_jRbjT5_S1A_jjP12ihipStream_tbEUljE_EEESV_SW_SX_S14_S18_S1A_T6_T7_T9_mT8_S1C_bDpT10_ENKUlT_T0_E_clISt17integral_constantIbLb1EES1P_EEDaS1K_S1L_EUlS1K_E_NS1_11comp_targetILNS1_3genE3ELNS1_11target_archE908ELNS1_3gpuE7ELNS1_3repE0EEENS1_30default_config_static_selectorELNS0_4arch9wavefront6targetE0EEEvSY_.uses_vcc, 0
	.set _ZN7rocprim17ROCPRIM_400000_NS6detail17trampoline_kernelINS0_13select_configILj256ELj13ELNS0_17block_load_methodE3ELS4_3ELS4_3ELNS0_20block_scan_algorithmE0ELj4294967295EEENS1_25partition_config_selectorILNS1_17partition_subalgoE3EjNS0_10empty_typeEbEEZZNS1_14partition_implILS8_3ELb0ES6_jNS0_17counting_iteratorIjlEEPS9_SE_NS0_5tupleIJPjSE_EEENSF_IJSE_SE_EEES9_SG_JZNS1_25segmented_radix_sort_implINS0_14default_configELb1EPKiPiPKlPlN2at6native12_GLOBAL__N_18offset_tEEE10hipError_tPvRmT1_PNSt15iterator_traitsISY_E10value_typeET2_T3_PNSZ_IS14_E10value_typeET4_jRbjT5_S1A_jjP12ihipStream_tbEUljE_EEESV_SW_SX_S14_S18_S1A_T6_T7_T9_mT8_S1C_bDpT10_ENKUlT_T0_E_clISt17integral_constantIbLb1EES1P_EEDaS1K_S1L_EUlS1K_E_NS1_11comp_targetILNS1_3genE3ELNS1_11target_archE908ELNS1_3gpuE7ELNS1_3repE0EEENS1_30default_config_static_selectorELNS0_4arch9wavefront6targetE0EEEvSY_.uses_flat_scratch, 0
	.set _ZN7rocprim17ROCPRIM_400000_NS6detail17trampoline_kernelINS0_13select_configILj256ELj13ELNS0_17block_load_methodE3ELS4_3ELS4_3ELNS0_20block_scan_algorithmE0ELj4294967295EEENS1_25partition_config_selectorILNS1_17partition_subalgoE3EjNS0_10empty_typeEbEEZZNS1_14partition_implILS8_3ELb0ES6_jNS0_17counting_iteratorIjlEEPS9_SE_NS0_5tupleIJPjSE_EEENSF_IJSE_SE_EEES9_SG_JZNS1_25segmented_radix_sort_implINS0_14default_configELb1EPKiPiPKlPlN2at6native12_GLOBAL__N_18offset_tEEE10hipError_tPvRmT1_PNSt15iterator_traitsISY_E10value_typeET2_T3_PNSZ_IS14_E10value_typeET4_jRbjT5_S1A_jjP12ihipStream_tbEUljE_EEESV_SW_SX_S14_S18_S1A_T6_T7_T9_mT8_S1C_bDpT10_ENKUlT_T0_E_clISt17integral_constantIbLb1EES1P_EEDaS1K_S1L_EUlS1K_E_NS1_11comp_targetILNS1_3genE3ELNS1_11target_archE908ELNS1_3gpuE7ELNS1_3repE0EEENS1_30default_config_static_selectorELNS0_4arch9wavefront6targetE0EEEvSY_.has_dyn_sized_stack, 0
	.set _ZN7rocprim17ROCPRIM_400000_NS6detail17trampoline_kernelINS0_13select_configILj256ELj13ELNS0_17block_load_methodE3ELS4_3ELS4_3ELNS0_20block_scan_algorithmE0ELj4294967295EEENS1_25partition_config_selectorILNS1_17partition_subalgoE3EjNS0_10empty_typeEbEEZZNS1_14partition_implILS8_3ELb0ES6_jNS0_17counting_iteratorIjlEEPS9_SE_NS0_5tupleIJPjSE_EEENSF_IJSE_SE_EEES9_SG_JZNS1_25segmented_radix_sort_implINS0_14default_configELb1EPKiPiPKlPlN2at6native12_GLOBAL__N_18offset_tEEE10hipError_tPvRmT1_PNSt15iterator_traitsISY_E10value_typeET2_T3_PNSZ_IS14_E10value_typeET4_jRbjT5_S1A_jjP12ihipStream_tbEUljE_EEESV_SW_SX_S14_S18_S1A_T6_T7_T9_mT8_S1C_bDpT10_ENKUlT_T0_E_clISt17integral_constantIbLb1EES1P_EEDaS1K_S1L_EUlS1K_E_NS1_11comp_targetILNS1_3genE3ELNS1_11target_archE908ELNS1_3gpuE7ELNS1_3repE0EEENS1_30default_config_static_selectorELNS0_4arch9wavefront6targetE0EEEvSY_.has_recursion, 0
	.set _ZN7rocprim17ROCPRIM_400000_NS6detail17trampoline_kernelINS0_13select_configILj256ELj13ELNS0_17block_load_methodE3ELS4_3ELS4_3ELNS0_20block_scan_algorithmE0ELj4294967295EEENS1_25partition_config_selectorILNS1_17partition_subalgoE3EjNS0_10empty_typeEbEEZZNS1_14partition_implILS8_3ELb0ES6_jNS0_17counting_iteratorIjlEEPS9_SE_NS0_5tupleIJPjSE_EEENSF_IJSE_SE_EEES9_SG_JZNS1_25segmented_radix_sort_implINS0_14default_configELb1EPKiPiPKlPlN2at6native12_GLOBAL__N_18offset_tEEE10hipError_tPvRmT1_PNSt15iterator_traitsISY_E10value_typeET2_T3_PNSZ_IS14_E10value_typeET4_jRbjT5_S1A_jjP12ihipStream_tbEUljE_EEESV_SW_SX_S14_S18_S1A_T6_T7_T9_mT8_S1C_bDpT10_ENKUlT_T0_E_clISt17integral_constantIbLb1EES1P_EEDaS1K_S1L_EUlS1K_E_NS1_11comp_targetILNS1_3genE3ELNS1_11target_archE908ELNS1_3gpuE7ELNS1_3repE0EEENS1_30default_config_static_selectorELNS0_4arch9wavefront6targetE0EEEvSY_.has_indirect_call, 0
	.section	.AMDGPU.csdata,"",@progbits
; Kernel info:
; codeLenInByte = 0
; TotalNumSgprs: 0
; NumVgprs: 0
; ScratchSize: 0
; MemoryBound: 0
; FloatMode: 240
; IeeeMode: 1
; LDSByteSize: 0 bytes/workgroup (compile time only)
; SGPRBlocks: 0
; VGPRBlocks: 0
; NumSGPRsForWavesPerEU: 1
; NumVGPRsForWavesPerEU: 1
; Occupancy: 16
; WaveLimiterHint : 0
; COMPUTE_PGM_RSRC2:SCRATCH_EN: 0
; COMPUTE_PGM_RSRC2:USER_SGPR: 2
; COMPUTE_PGM_RSRC2:TRAP_HANDLER: 0
; COMPUTE_PGM_RSRC2:TGID_X_EN: 1
; COMPUTE_PGM_RSRC2:TGID_Y_EN: 0
; COMPUTE_PGM_RSRC2:TGID_Z_EN: 0
; COMPUTE_PGM_RSRC2:TIDIG_COMP_CNT: 0
	.section	.text._ZN7rocprim17ROCPRIM_400000_NS6detail17trampoline_kernelINS0_13select_configILj256ELj13ELNS0_17block_load_methodE3ELS4_3ELS4_3ELNS0_20block_scan_algorithmE0ELj4294967295EEENS1_25partition_config_selectorILNS1_17partition_subalgoE3EjNS0_10empty_typeEbEEZZNS1_14partition_implILS8_3ELb0ES6_jNS0_17counting_iteratorIjlEEPS9_SE_NS0_5tupleIJPjSE_EEENSF_IJSE_SE_EEES9_SG_JZNS1_25segmented_radix_sort_implINS0_14default_configELb1EPKiPiPKlPlN2at6native12_GLOBAL__N_18offset_tEEE10hipError_tPvRmT1_PNSt15iterator_traitsISY_E10value_typeET2_T3_PNSZ_IS14_E10value_typeET4_jRbjT5_S1A_jjP12ihipStream_tbEUljE_EEESV_SW_SX_S14_S18_S1A_T6_T7_T9_mT8_S1C_bDpT10_ENKUlT_T0_E_clISt17integral_constantIbLb1EES1P_EEDaS1K_S1L_EUlS1K_E_NS1_11comp_targetILNS1_3genE2ELNS1_11target_archE906ELNS1_3gpuE6ELNS1_3repE0EEENS1_30default_config_static_selectorELNS0_4arch9wavefront6targetE0EEEvSY_,"axG",@progbits,_ZN7rocprim17ROCPRIM_400000_NS6detail17trampoline_kernelINS0_13select_configILj256ELj13ELNS0_17block_load_methodE3ELS4_3ELS4_3ELNS0_20block_scan_algorithmE0ELj4294967295EEENS1_25partition_config_selectorILNS1_17partition_subalgoE3EjNS0_10empty_typeEbEEZZNS1_14partition_implILS8_3ELb0ES6_jNS0_17counting_iteratorIjlEEPS9_SE_NS0_5tupleIJPjSE_EEENSF_IJSE_SE_EEES9_SG_JZNS1_25segmented_radix_sort_implINS0_14default_configELb1EPKiPiPKlPlN2at6native12_GLOBAL__N_18offset_tEEE10hipError_tPvRmT1_PNSt15iterator_traitsISY_E10value_typeET2_T3_PNSZ_IS14_E10value_typeET4_jRbjT5_S1A_jjP12ihipStream_tbEUljE_EEESV_SW_SX_S14_S18_S1A_T6_T7_T9_mT8_S1C_bDpT10_ENKUlT_T0_E_clISt17integral_constantIbLb1EES1P_EEDaS1K_S1L_EUlS1K_E_NS1_11comp_targetILNS1_3genE2ELNS1_11target_archE906ELNS1_3gpuE6ELNS1_3repE0EEENS1_30default_config_static_selectorELNS0_4arch9wavefront6targetE0EEEvSY_,comdat
	.globl	_ZN7rocprim17ROCPRIM_400000_NS6detail17trampoline_kernelINS0_13select_configILj256ELj13ELNS0_17block_load_methodE3ELS4_3ELS4_3ELNS0_20block_scan_algorithmE0ELj4294967295EEENS1_25partition_config_selectorILNS1_17partition_subalgoE3EjNS0_10empty_typeEbEEZZNS1_14partition_implILS8_3ELb0ES6_jNS0_17counting_iteratorIjlEEPS9_SE_NS0_5tupleIJPjSE_EEENSF_IJSE_SE_EEES9_SG_JZNS1_25segmented_radix_sort_implINS0_14default_configELb1EPKiPiPKlPlN2at6native12_GLOBAL__N_18offset_tEEE10hipError_tPvRmT1_PNSt15iterator_traitsISY_E10value_typeET2_T3_PNSZ_IS14_E10value_typeET4_jRbjT5_S1A_jjP12ihipStream_tbEUljE_EEESV_SW_SX_S14_S18_S1A_T6_T7_T9_mT8_S1C_bDpT10_ENKUlT_T0_E_clISt17integral_constantIbLb1EES1P_EEDaS1K_S1L_EUlS1K_E_NS1_11comp_targetILNS1_3genE2ELNS1_11target_archE906ELNS1_3gpuE6ELNS1_3repE0EEENS1_30default_config_static_selectorELNS0_4arch9wavefront6targetE0EEEvSY_ ; -- Begin function _ZN7rocprim17ROCPRIM_400000_NS6detail17trampoline_kernelINS0_13select_configILj256ELj13ELNS0_17block_load_methodE3ELS4_3ELS4_3ELNS0_20block_scan_algorithmE0ELj4294967295EEENS1_25partition_config_selectorILNS1_17partition_subalgoE3EjNS0_10empty_typeEbEEZZNS1_14partition_implILS8_3ELb0ES6_jNS0_17counting_iteratorIjlEEPS9_SE_NS0_5tupleIJPjSE_EEENSF_IJSE_SE_EEES9_SG_JZNS1_25segmented_radix_sort_implINS0_14default_configELb1EPKiPiPKlPlN2at6native12_GLOBAL__N_18offset_tEEE10hipError_tPvRmT1_PNSt15iterator_traitsISY_E10value_typeET2_T3_PNSZ_IS14_E10value_typeET4_jRbjT5_S1A_jjP12ihipStream_tbEUljE_EEESV_SW_SX_S14_S18_S1A_T6_T7_T9_mT8_S1C_bDpT10_ENKUlT_T0_E_clISt17integral_constantIbLb1EES1P_EEDaS1K_S1L_EUlS1K_E_NS1_11comp_targetILNS1_3genE2ELNS1_11target_archE906ELNS1_3gpuE6ELNS1_3repE0EEENS1_30default_config_static_selectorELNS0_4arch9wavefront6targetE0EEEvSY_
	.p2align	8
	.type	_ZN7rocprim17ROCPRIM_400000_NS6detail17trampoline_kernelINS0_13select_configILj256ELj13ELNS0_17block_load_methodE3ELS4_3ELS4_3ELNS0_20block_scan_algorithmE0ELj4294967295EEENS1_25partition_config_selectorILNS1_17partition_subalgoE3EjNS0_10empty_typeEbEEZZNS1_14partition_implILS8_3ELb0ES6_jNS0_17counting_iteratorIjlEEPS9_SE_NS0_5tupleIJPjSE_EEENSF_IJSE_SE_EEES9_SG_JZNS1_25segmented_radix_sort_implINS0_14default_configELb1EPKiPiPKlPlN2at6native12_GLOBAL__N_18offset_tEEE10hipError_tPvRmT1_PNSt15iterator_traitsISY_E10value_typeET2_T3_PNSZ_IS14_E10value_typeET4_jRbjT5_S1A_jjP12ihipStream_tbEUljE_EEESV_SW_SX_S14_S18_S1A_T6_T7_T9_mT8_S1C_bDpT10_ENKUlT_T0_E_clISt17integral_constantIbLb1EES1P_EEDaS1K_S1L_EUlS1K_E_NS1_11comp_targetILNS1_3genE2ELNS1_11target_archE906ELNS1_3gpuE6ELNS1_3repE0EEENS1_30default_config_static_selectorELNS0_4arch9wavefront6targetE0EEEvSY_,@function
_ZN7rocprim17ROCPRIM_400000_NS6detail17trampoline_kernelINS0_13select_configILj256ELj13ELNS0_17block_load_methodE3ELS4_3ELS4_3ELNS0_20block_scan_algorithmE0ELj4294967295EEENS1_25partition_config_selectorILNS1_17partition_subalgoE3EjNS0_10empty_typeEbEEZZNS1_14partition_implILS8_3ELb0ES6_jNS0_17counting_iteratorIjlEEPS9_SE_NS0_5tupleIJPjSE_EEENSF_IJSE_SE_EEES9_SG_JZNS1_25segmented_radix_sort_implINS0_14default_configELb1EPKiPiPKlPlN2at6native12_GLOBAL__N_18offset_tEEE10hipError_tPvRmT1_PNSt15iterator_traitsISY_E10value_typeET2_T3_PNSZ_IS14_E10value_typeET4_jRbjT5_S1A_jjP12ihipStream_tbEUljE_EEESV_SW_SX_S14_S18_S1A_T6_T7_T9_mT8_S1C_bDpT10_ENKUlT_T0_E_clISt17integral_constantIbLb1EES1P_EEDaS1K_S1L_EUlS1K_E_NS1_11comp_targetILNS1_3genE2ELNS1_11target_archE906ELNS1_3gpuE6ELNS1_3repE0EEENS1_30default_config_static_selectorELNS0_4arch9wavefront6targetE0EEEvSY_: ; @_ZN7rocprim17ROCPRIM_400000_NS6detail17trampoline_kernelINS0_13select_configILj256ELj13ELNS0_17block_load_methodE3ELS4_3ELS4_3ELNS0_20block_scan_algorithmE0ELj4294967295EEENS1_25partition_config_selectorILNS1_17partition_subalgoE3EjNS0_10empty_typeEbEEZZNS1_14partition_implILS8_3ELb0ES6_jNS0_17counting_iteratorIjlEEPS9_SE_NS0_5tupleIJPjSE_EEENSF_IJSE_SE_EEES9_SG_JZNS1_25segmented_radix_sort_implINS0_14default_configELb1EPKiPiPKlPlN2at6native12_GLOBAL__N_18offset_tEEE10hipError_tPvRmT1_PNSt15iterator_traitsISY_E10value_typeET2_T3_PNSZ_IS14_E10value_typeET4_jRbjT5_S1A_jjP12ihipStream_tbEUljE_EEESV_SW_SX_S14_S18_S1A_T6_T7_T9_mT8_S1C_bDpT10_ENKUlT_T0_E_clISt17integral_constantIbLb1EES1P_EEDaS1K_S1L_EUlS1K_E_NS1_11comp_targetILNS1_3genE2ELNS1_11target_archE906ELNS1_3gpuE6ELNS1_3repE0EEENS1_30default_config_static_selectorELNS0_4arch9wavefront6targetE0EEEvSY_
; %bb.0:
	.section	.rodata,"a",@progbits
	.p2align	6, 0x0
	.amdhsa_kernel _ZN7rocprim17ROCPRIM_400000_NS6detail17trampoline_kernelINS0_13select_configILj256ELj13ELNS0_17block_load_methodE3ELS4_3ELS4_3ELNS0_20block_scan_algorithmE0ELj4294967295EEENS1_25partition_config_selectorILNS1_17partition_subalgoE3EjNS0_10empty_typeEbEEZZNS1_14partition_implILS8_3ELb0ES6_jNS0_17counting_iteratorIjlEEPS9_SE_NS0_5tupleIJPjSE_EEENSF_IJSE_SE_EEES9_SG_JZNS1_25segmented_radix_sort_implINS0_14default_configELb1EPKiPiPKlPlN2at6native12_GLOBAL__N_18offset_tEEE10hipError_tPvRmT1_PNSt15iterator_traitsISY_E10value_typeET2_T3_PNSZ_IS14_E10value_typeET4_jRbjT5_S1A_jjP12ihipStream_tbEUljE_EEESV_SW_SX_S14_S18_S1A_T6_T7_T9_mT8_S1C_bDpT10_ENKUlT_T0_E_clISt17integral_constantIbLb1EES1P_EEDaS1K_S1L_EUlS1K_E_NS1_11comp_targetILNS1_3genE2ELNS1_11target_archE906ELNS1_3gpuE6ELNS1_3repE0EEENS1_30default_config_static_selectorELNS0_4arch9wavefront6targetE0EEEvSY_
		.amdhsa_group_segment_fixed_size 0
		.amdhsa_private_segment_fixed_size 0
		.amdhsa_kernarg_size 152
		.amdhsa_user_sgpr_count 2
		.amdhsa_user_sgpr_dispatch_ptr 0
		.amdhsa_user_sgpr_queue_ptr 0
		.amdhsa_user_sgpr_kernarg_segment_ptr 1
		.amdhsa_user_sgpr_dispatch_id 0
		.amdhsa_user_sgpr_private_segment_size 0
		.amdhsa_wavefront_size32 1
		.amdhsa_uses_dynamic_stack 0
		.amdhsa_enable_private_segment 0
		.amdhsa_system_sgpr_workgroup_id_x 1
		.amdhsa_system_sgpr_workgroup_id_y 0
		.amdhsa_system_sgpr_workgroup_id_z 0
		.amdhsa_system_sgpr_workgroup_info 0
		.amdhsa_system_vgpr_workitem_id 0
		.amdhsa_next_free_vgpr 1
		.amdhsa_next_free_sgpr 1
		.amdhsa_reserve_vcc 0
		.amdhsa_float_round_mode_32 0
		.amdhsa_float_round_mode_16_64 0
		.amdhsa_float_denorm_mode_32 3
		.amdhsa_float_denorm_mode_16_64 3
		.amdhsa_fp16_overflow 0
		.amdhsa_workgroup_processor_mode 1
		.amdhsa_memory_ordered 1
		.amdhsa_forward_progress 1
		.amdhsa_inst_pref_size 0
		.amdhsa_round_robin_scheduling 0
		.amdhsa_exception_fp_ieee_invalid_op 0
		.amdhsa_exception_fp_denorm_src 0
		.amdhsa_exception_fp_ieee_div_zero 0
		.amdhsa_exception_fp_ieee_overflow 0
		.amdhsa_exception_fp_ieee_underflow 0
		.amdhsa_exception_fp_ieee_inexact 0
		.amdhsa_exception_int_div_zero 0
	.end_amdhsa_kernel
	.section	.text._ZN7rocprim17ROCPRIM_400000_NS6detail17trampoline_kernelINS0_13select_configILj256ELj13ELNS0_17block_load_methodE3ELS4_3ELS4_3ELNS0_20block_scan_algorithmE0ELj4294967295EEENS1_25partition_config_selectorILNS1_17partition_subalgoE3EjNS0_10empty_typeEbEEZZNS1_14partition_implILS8_3ELb0ES6_jNS0_17counting_iteratorIjlEEPS9_SE_NS0_5tupleIJPjSE_EEENSF_IJSE_SE_EEES9_SG_JZNS1_25segmented_radix_sort_implINS0_14default_configELb1EPKiPiPKlPlN2at6native12_GLOBAL__N_18offset_tEEE10hipError_tPvRmT1_PNSt15iterator_traitsISY_E10value_typeET2_T3_PNSZ_IS14_E10value_typeET4_jRbjT5_S1A_jjP12ihipStream_tbEUljE_EEESV_SW_SX_S14_S18_S1A_T6_T7_T9_mT8_S1C_bDpT10_ENKUlT_T0_E_clISt17integral_constantIbLb1EES1P_EEDaS1K_S1L_EUlS1K_E_NS1_11comp_targetILNS1_3genE2ELNS1_11target_archE906ELNS1_3gpuE6ELNS1_3repE0EEENS1_30default_config_static_selectorELNS0_4arch9wavefront6targetE0EEEvSY_,"axG",@progbits,_ZN7rocprim17ROCPRIM_400000_NS6detail17trampoline_kernelINS0_13select_configILj256ELj13ELNS0_17block_load_methodE3ELS4_3ELS4_3ELNS0_20block_scan_algorithmE0ELj4294967295EEENS1_25partition_config_selectorILNS1_17partition_subalgoE3EjNS0_10empty_typeEbEEZZNS1_14partition_implILS8_3ELb0ES6_jNS0_17counting_iteratorIjlEEPS9_SE_NS0_5tupleIJPjSE_EEENSF_IJSE_SE_EEES9_SG_JZNS1_25segmented_radix_sort_implINS0_14default_configELb1EPKiPiPKlPlN2at6native12_GLOBAL__N_18offset_tEEE10hipError_tPvRmT1_PNSt15iterator_traitsISY_E10value_typeET2_T3_PNSZ_IS14_E10value_typeET4_jRbjT5_S1A_jjP12ihipStream_tbEUljE_EEESV_SW_SX_S14_S18_S1A_T6_T7_T9_mT8_S1C_bDpT10_ENKUlT_T0_E_clISt17integral_constantIbLb1EES1P_EEDaS1K_S1L_EUlS1K_E_NS1_11comp_targetILNS1_3genE2ELNS1_11target_archE906ELNS1_3gpuE6ELNS1_3repE0EEENS1_30default_config_static_selectorELNS0_4arch9wavefront6targetE0EEEvSY_,comdat
.Lfunc_end477:
	.size	_ZN7rocprim17ROCPRIM_400000_NS6detail17trampoline_kernelINS0_13select_configILj256ELj13ELNS0_17block_load_methodE3ELS4_3ELS4_3ELNS0_20block_scan_algorithmE0ELj4294967295EEENS1_25partition_config_selectorILNS1_17partition_subalgoE3EjNS0_10empty_typeEbEEZZNS1_14partition_implILS8_3ELb0ES6_jNS0_17counting_iteratorIjlEEPS9_SE_NS0_5tupleIJPjSE_EEENSF_IJSE_SE_EEES9_SG_JZNS1_25segmented_radix_sort_implINS0_14default_configELb1EPKiPiPKlPlN2at6native12_GLOBAL__N_18offset_tEEE10hipError_tPvRmT1_PNSt15iterator_traitsISY_E10value_typeET2_T3_PNSZ_IS14_E10value_typeET4_jRbjT5_S1A_jjP12ihipStream_tbEUljE_EEESV_SW_SX_S14_S18_S1A_T6_T7_T9_mT8_S1C_bDpT10_ENKUlT_T0_E_clISt17integral_constantIbLb1EES1P_EEDaS1K_S1L_EUlS1K_E_NS1_11comp_targetILNS1_3genE2ELNS1_11target_archE906ELNS1_3gpuE6ELNS1_3repE0EEENS1_30default_config_static_selectorELNS0_4arch9wavefront6targetE0EEEvSY_, .Lfunc_end477-_ZN7rocprim17ROCPRIM_400000_NS6detail17trampoline_kernelINS0_13select_configILj256ELj13ELNS0_17block_load_methodE3ELS4_3ELS4_3ELNS0_20block_scan_algorithmE0ELj4294967295EEENS1_25partition_config_selectorILNS1_17partition_subalgoE3EjNS0_10empty_typeEbEEZZNS1_14partition_implILS8_3ELb0ES6_jNS0_17counting_iteratorIjlEEPS9_SE_NS0_5tupleIJPjSE_EEENSF_IJSE_SE_EEES9_SG_JZNS1_25segmented_radix_sort_implINS0_14default_configELb1EPKiPiPKlPlN2at6native12_GLOBAL__N_18offset_tEEE10hipError_tPvRmT1_PNSt15iterator_traitsISY_E10value_typeET2_T3_PNSZ_IS14_E10value_typeET4_jRbjT5_S1A_jjP12ihipStream_tbEUljE_EEESV_SW_SX_S14_S18_S1A_T6_T7_T9_mT8_S1C_bDpT10_ENKUlT_T0_E_clISt17integral_constantIbLb1EES1P_EEDaS1K_S1L_EUlS1K_E_NS1_11comp_targetILNS1_3genE2ELNS1_11target_archE906ELNS1_3gpuE6ELNS1_3repE0EEENS1_30default_config_static_selectorELNS0_4arch9wavefront6targetE0EEEvSY_
                                        ; -- End function
	.set _ZN7rocprim17ROCPRIM_400000_NS6detail17trampoline_kernelINS0_13select_configILj256ELj13ELNS0_17block_load_methodE3ELS4_3ELS4_3ELNS0_20block_scan_algorithmE0ELj4294967295EEENS1_25partition_config_selectorILNS1_17partition_subalgoE3EjNS0_10empty_typeEbEEZZNS1_14partition_implILS8_3ELb0ES6_jNS0_17counting_iteratorIjlEEPS9_SE_NS0_5tupleIJPjSE_EEENSF_IJSE_SE_EEES9_SG_JZNS1_25segmented_radix_sort_implINS0_14default_configELb1EPKiPiPKlPlN2at6native12_GLOBAL__N_18offset_tEEE10hipError_tPvRmT1_PNSt15iterator_traitsISY_E10value_typeET2_T3_PNSZ_IS14_E10value_typeET4_jRbjT5_S1A_jjP12ihipStream_tbEUljE_EEESV_SW_SX_S14_S18_S1A_T6_T7_T9_mT8_S1C_bDpT10_ENKUlT_T0_E_clISt17integral_constantIbLb1EES1P_EEDaS1K_S1L_EUlS1K_E_NS1_11comp_targetILNS1_3genE2ELNS1_11target_archE906ELNS1_3gpuE6ELNS1_3repE0EEENS1_30default_config_static_selectorELNS0_4arch9wavefront6targetE0EEEvSY_.num_vgpr, 0
	.set _ZN7rocprim17ROCPRIM_400000_NS6detail17trampoline_kernelINS0_13select_configILj256ELj13ELNS0_17block_load_methodE3ELS4_3ELS4_3ELNS0_20block_scan_algorithmE0ELj4294967295EEENS1_25partition_config_selectorILNS1_17partition_subalgoE3EjNS0_10empty_typeEbEEZZNS1_14partition_implILS8_3ELb0ES6_jNS0_17counting_iteratorIjlEEPS9_SE_NS0_5tupleIJPjSE_EEENSF_IJSE_SE_EEES9_SG_JZNS1_25segmented_radix_sort_implINS0_14default_configELb1EPKiPiPKlPlN2at6native12_GLOBAL__N_18offset_tEEE10hipError_tPvRmT1_PNSt15iterator_traitsISY_E10value_typeET2_T3_PNSZ_IS14_E10value_typeET4_jRbjT5_S1A_jjP12ihipStream_tbEUljE_EEESV_SW_SX_S14_S18_S1A_T6_T7_T9_mT8_S1C_bDpT10_ENKUlT_T0_E_clISt17integral_constantIbLb1EES1P_EEDaS1K_S1L_EUlS1K_E_NS1_11comp_targetILNS1_3genE2ELNS1_11target_archE906ELNS1_3gpuE6ELNS1_3repE0EEENS1_30default_config_static_selectorELNS0_4arch9wavefront6targetE0EEEvSY_.num_agpr, 0
	.set _ZN7rocprim17ROCPRIM_400000_NS6detail17trampoline_kernelINS0_13select_configILj256ELj13ELNS0_17block_load_methodE3ELS4_3ELS4_3ELNS0_20block_scan_algorithmE0ELj4294967295EEENS1_25partition_config_selectorILNS1_17partition_subalgoE3EjNS0_10empty_typeEbEEZZNS1_14partition_implILS8_3ELb0ES6_jNS0_17counting_iteratorIjlEEPS9_SE_NS0_5tupleIJPjSE_EEENSF_IJSE_SE_EEES9_SG_JZNS1_25segmented_radix_sort_implINS0_14default_configELb1EPKiPiPKlPlN2at6native12_GLOBAL__N_18offset_tEEE10hipError_tPvRmT1_PNSt15iterator_traitsISY_E10value_typeET2_T3_PNSZ_IS14_E10value_typeET4_jRbjT5_S1A_jjP12ihipStream_tbEUljE_EEESV_SW_SX_S14_S18_S1A_T6_T7_T9_mT8_S1C_bDpT10_ENKUlT_T0_E_clISt17integral_constantIbLb1EES1P_EEDaS1K_S1L_EUlS1K_E_NS1_11comp_targetILNS1_3genE2ELNS1_11target_archE906ELNS1_3gpuE6ELNS1_3repE0EEENS1_30default_config_static_selectorELNS0_4arch9wavefront6targetE0EEEvSY_.numbered_sgpr, 0
	.set _ZN7rocprim17ROCPRIM_400000_NS6detail17trampoline_kernelINS0_13select_configILj256ELj13ELNS0_17block_load_methodE3ELS4_3ELS4_3ELNS0_20block_scan_algorithmE0ELj4294967295EEENS1_25partition_config_selectorILNS1_17partition_subalgoE3EjNS0_10empty_typeEbEEZZNS1_14partition_implILS8_3ELb0ES6_jNS0_17counting_iteratorIjlEEPS9_SE_NS0_5tupleIJPjSE_EEENSF_IJSE_SE_EEES9_SG_JZNS1_25segmented_radix_sort_implINS0_14default_configELb1EPKiPiPKlPlN2at6native12_GLOBAL__N_18offset_tEEE10hipError_tPvRmT1_PNSt15iterator_traitsISY_E10value_typeET2_T3_PNSZ_IS14_E10value_typeET4_jRbjT5_S1A_jjP12ihipStream_tbEUljE_EEESV_SW_SX_S14_S18_S1A_T6_T7_T9_mT8_S1C_bDpT10_ENKUlT_T0_E_clISt17integral_constantIbLb1EES1P_EEDaS1K_S1L_EUlS1K_E_NS1_11comp_targetILNS1_3genE2ELNS1_11target_archE906ELNS1_3gpuE6ELNS1_3repE0EEENS1_30default_config_static_selectorELNS0_4arch9wavefront6targetE0EEEvSY_.num_named_barrier, 0
	.set _ZN7rocprim17ROCPRIM_400000_NS6detail17trampoline_kernelINS0_13select_configILj256ELj13ELNS0_17block_load_methodE3ELS4_3ELS4_3ELNS0_20block_scan_algorithmE0ELj4294967295EEENS1_25partition_config_selectorILNS1_17partition_subalgoE3EjNS0_10empty_typeEbEEZZNS1_14partition_implILS8_3ELb0ES6_jNS0_17counting_iteratorIjlEEPS9_SE_NS0_5tupleIJPjSE_EEENSF_IJSE_SE_EEES9_SG_JZNS1_25segmented_radix_sort_implINS0_14default_configELb1EPKiPiPKlPlN2at6native12_GLOBAL__N_18offset_tEEE10hipError_tPvRmT1_PNSt15iterator_traitsISY_E10value_typeET2_T3_PNSZ_IS14_E10value_typeET4_jRbjT5_S1A_jjP12ihipStream_tbEUljE_EEESV_SW_SX_S14_S18_S1A_T6_T7_T9_mT8_S1C_bDpT10_ENKUlT_T0_E_clISt17integral_constantIbLb1EES1P_EEDaS1K_S1L_EUlS1K_E_NS1_11comp_targetILNS1_3genE2ELNS1_11target_archE906ELNS1_3gpuE6ELNS1_3repE0EEENS1_30default_config_static_selectorELNS0_4arch9wavefront6targetE0EEEvSY_.private_seg_size, 0
	.set _ZN7rocprim17ROCPRIM_400000_NS6detail17trampoline_kernelINS0_13select_configILj256ELj13ELNS0_17block_load_methodE3ELS4_3ELS4_3ELNS0_20block_scan_algorithmE0ELj4294967295EEENS1_25partition_config_selectorILNS1_17partition_subalgoE3EjNS0_10empty_typeEbEEZZNS1_14partition_implILS8_3ELb0ES6_jNS0_17counting_iteratorIjlEEPS9_SE_NS0_5tupleIJPjSE_EEENSF_IJSE_SE_EEES9_SG_JZNS1_25segmented_radix_sort_implINS0_14default_configELb1EPKiPiPKlPlN2at6native12_GLOBAL__N_18offset_tEEE10hipError_tPvRmT1_PNSt15iterator_traitsISY_E10value_typeET2_T3_PNSZ_IS14_E10value_typeET4_jRbjT5_S1A_jjP12ihipStream_tbEUljE_EEESV_SW_SX_S14_S18_S1A_T6_T7_T9_mT8_S1C_bDpT10_ENKUlT_T0_E_clISt17integral_constantIbLb1EES1P_EEDaS1K_S1L_EUlS1K_E_NS1_11comp_targetILNS1_3genE2ELNS1_11target_archE906ELNS1_3gpuE6ELNS1_3repE0EEENS1_30default_config_static_selectorELNS0_4arch9wavefront6targetE0EEEvSY_.uses_vcc, 0
	.set _ZN7rocprim17ROCPRIM_400000_NS6detail17trampoline_kernelINS0_13select_configILj256ELj13ELNS0_17block_load_methodE3ELS4_3ELS4_3ELNS0_20block_scan_algorithmE0ELj4294967295EEENS1_25partition_config_selectorILNS1_17partition_subalgoE3EjNS0_10empty_typeEbEEZZNS1_14partition_implILS8_3ELb0ES6_jNS0_17counting_iteratorIjlEEPS9_SE_NS0_5tupleIJPjSE_EEENSF_IJSE_SE_EEES9_SG_JZNS1_25segmented_radix_sort_implINS0_14default_configELb1EPKiPiPKlPlN2at6native12_GLOBAL__N_18offset_tEEE10hipError_tPvRmT1_PNSt15iterator_traitsISY_E10value_typeET2_T3_PNSZ_IS14_E10value_typeET4_jRbjT5_S1A_jjP12ihipStream_tbEUljE_EEESV_SW_SX_S14_S18_S1A_T6_T7_T9_mT8_S1C_bDpT10_ENKUlT_T0_E_clISt17integral_constantIbLb1EES1P_EEDaS1K_S1L_EUlS1K_E_NS1_11comp_targetILNS1_3genE2ELNS1_11target_archE906ELNS1_3gpuE6ELNS1_3repE0EEENS1_30default_config_static_selectorELNS0_4arch9wavefront6targetE0EEEvSY_.uses_flat_scratch, 0
	.set _ZN7rocprim17ROCPRIM_400000_NS6detail17trampoline_kernelINS0_13select_configILj256ELj13ELNS0_17block_load_methodE3ELS4_3ELS4_3ELNS0_20block_scan_algorithmE0ELj4294967295EEENS1_25partition_config_selectorILNS1_17partition_subalgoE3EjNS0_10empty_typeEbEEZZNS1_14partition_implILS8_3ELb0ES6_jNS0_17counting_iteratorIjlEEPS9_SE_NS0_5tupleIJPjSE_EEENSF_IJSE_SE_EEES9_SG_JZNS1_25segmented_radix_sort_implINS0_14default_configELb1EPKiPiPKlPlN2at6native12_GLOBAL__N_18offset_tEEE10hipError_tPvRmT1_PNSt15iterator_traitsISY_E10value_typeET2_T3_PNSZ_IS14_E10value_typeET4_jRbjT5_S1A_jjP12ihipStream_tbEUljE_EEESV_SW_SX_S14_S18_S1A_T6_T7_T9_mT8_S1C_bDpT10_ENKUlT_T0_E_clISt17integral_constantIbLb1EES1P_EEDaS1K_S1L_EUlS1K_E_NS1_11comp_targetILNS1_3genE2ELNS1_11target_archE906ELNS1_3gpuE6ELNS1_3repE0EEENS1_30default_config_static_selectorELNS0_4arch9wavefront6targetE0EEEvSY_.has_dyn_sized_stack, 0
	.set _ZN7rocprim17ROCPRIM_400000_NS6detail17trampoline_kernelINS0_13select_configILj256ELj13ELNS0_17block_load_methodE3ELS4_3ELS4_3ELNS0_20block_scan_algorithmE0ELj4294967295EEENS1_25partition_config_selectorILNS1_17partition_subalgoE3EjNS0_10empty_typeEbEEZZNS1_14partition_implILS8_3ELb0ES6_jNS0_17counting_iteratorIjlEEPS9_SE_NS0_5tupleIJPjSE_EEENSF_IJSE_SE_EEES9_SG_JZNS1_25segmented_radix_sort_implINS0_14default_configELb1EPKiPiPKlPlN2at6native12_GLOBAL__N_18offset_tEEE10hipError_tPvRmT1_PNSt15iterator_traitsISY_E10value_typeET2_T3_PNSZ_IS14_E10value_typeET4_jRbjT5_S1A_jjP12ihipStream_tbEUljE_EEESV_SW_SX_S14_S18_S1A_T6_T7_T9_mT8_S1C_bDpT10_ENKUlT_T0_E_clISt17integral_constantIbLb1EES1P_EEDaS1K_S1L_EUlS1K_E_NS1_11comp_targetILNS1_3genE2ELNS1_11target_archE906ELNS1_3gpuE6ELNS1_3repE0EEENS1_30default_config_static_selectorELNS0_4arch9wavefront6targetE0EEEvSY_.has_recursion, 0
	.set _ZN7rocprim17ROCPRIM_400000_NS6detail17trampoline_kernelINS0_13select_configILj256ELj13ELNS0_17block_load_methodE3ELS4_3ELS4_3ELNS0_20block_scan_algorithmE0ELj4294967295EEENS1_25partition_config_selectorILNS1_17partition_subalgoE3EjNS0_10empty_typeEbEEZZNS1_14partition_implILS8_3ELb0ES6_jNS0_17counting_iteratorIjlEEPS9_SE_NS0_5tupleIJPjSE_EEENSF_IJSE_SE_EEES9_SG_JZNS1_25segmented_radix_sort_implINS0_14default_configELb1EPKiPiPKlPlN2at6native12_GLOBAL__N_18offset_tEEE10hipError_tPvRmT1_PNSt15iterator_traitsISY_E10value_typeET2_T3_PNSZ_IS14_E10value_typeET4_jRbjT5_S1A_jjP12ihipStream_tbEUljE_EEESV_SW_SX_S14_S18_S1A_T6_T7_T9_mT8_S1C_bDpT10_ENKUlT_T0_E_clISt17integral_constantIbLb1EES1P_EEDaS1K_S1L_EUlS1K_E_NS1_11comp_targetILNS1_3genE2ELNS1_11target_archE906ELNS1_3gpuE6ELNS1_3repE0EEENS1_30default_config_static_selectorELNS0_4arch9wavefront6targetE0EEEvSY_.has_indirect_call, 0
	.section	.AMDGPU.csdata,"",@progbits
; Kernel info:
; codeLenInByte = 0
; TotalNumSgprs: 0
; NumVgprs: 0
; ScratchSize: 0
; MemoryBound: 0
; FloatMode: 240
; IeeeMode: 1
; LDSByteSize: 0 bytes/workgroup (compile time only)
; SGPRBlocks: 0
; VGPRBlocks: 0
; NumSGPRsForWavesPerEU: 1
; NumVGPRsForWavesPerEU: 1
; Occupancy: 16
; WaveLimiterHint : 0
; COMPUTE_PGM_RSRC2:SCRATCH_EN: 0
; COMPUTE_PGM_RSRC2:USER_SGPR: 2
; COMPUTE_PGM_RSRC2:TRAP_HANDLER: 0
; COMPUTE_PGM_RSRC2:TGID_X_EN: 1
; COMPUTE_PGM_RSRC2:TGID_Y_EN: 0
; COMPUTE_PGM_RSRC2:TGID_Z_EN: 0
; COMPUTE_PGM_RSRC2:TIDIG_COMP_CNT: 0
	.section	.text._ZN7rocprim17ROCPRIM_400000_NS6detail17trampoline_kernelINS0_13select_configILj256ELj13ELNS0_17block_load_methodE3ELS4_3ELS4_3ELNS0_20block_scan_algorithmE0ELj4294967295EEENS1_25partition_config_selectorILNS1_17partition_subalgoE3EjNS0_10empty_typeEbEEZZNS1_14partition_implILS8_3ELb0ES6_jNS0_17counting_iteratorIjlEEPS9_SE_NS0_5tupleIJPjSE_EEENSF_IJSE_SE_EEES9_SG_JZNS1_25segmented_radix_sort_implINS0_14default_configELb1EPKiPiPKlPlN2at6native12_GLOBAL__N_18offset_tEEE10hipError_tPvRmT1_PNSt15iterator_traitsISY_E10value_typeET2_T3_PNSZ_IS14_E10value_typeET4_jRbjT5_S1A_jjP12ihipStream_tbEUljE_EEESV_SW_SX_S14_S18_S1A_T6_T7_T9_mT8_S1C_bDpT10_ENKUlT_T0_E_clISt17integral_constantIbLb1EES1P_EEDaS1K_S1L_EUlS1K_E_NS1_11comp_targetILNS1_3genE10ELNS1_11target_archE1200ELNS1_3gpuE4ELNS1_3repE0EEENS1_30default_config_static_selectorELNS0_4arch9wavefront6targetE0EEEvSY_,"axG",@progbits,_ZN7rocprim17ROCPRIM_400000_NS6detail17trampoline_kernelINS0_13select_configILj256ELj13ELNS0_17block_load_methodE3ELS4_3ELS4_3ELNS0_20block_scan_algorithmE0ELj4294967295EEENS1_25partition_config_selectorILNS1_17partition_subalgoE3EjNS0_10empty_typeEbEEZZNS1_14partition_implILS8_3ELb0ES6_jNS0_17counting_iteratorIjlEEPS9_SE_NS0_5tupleIJPjSE_EEENSF_IJSE_SE_EEES9_SG_JZNS1_25segmented_radix_sort_implINS0_14default_configELb1EPKiPiPKlPlN2at6native12_GLOBAL__N_18offset_tEEE10hipError_tPvRmT1_PNSt15iterator_traitsISY_E10value_typeET2_T3_PNSZ_IS14_E10value_typeET4_jRbjT5_S1A_jjP12ihipStream_tbEUljE_EEESV_SW_SX_S14_S18_S1A_T6_T7_T9_mT8_S1C_bDpT10_ENKUlT_T0_E_clISt17integral_constantIbLb1EES1P_EEDaS1K_S1L_EUlS1K_E_NS1_11comp_targetILNS1_3genE10ELNS1_11target_archE1200ELNS1_3gpuE4ELNS1_3repE0EEENS1_30default_config_static_selectorELNS0_4arch9wavefront6targetE0EEEvSY_,comdat
	.globl	_ZN7rocprim17ROCPRIM_400000_NS6detail17trampoline_kernelINS0_13select_configILj256ELj13ELNS0_17block_load_methodE3ELS4_3ELS4_3ELNS0_20block_scan_algorithmE0ELj4294967295EEENS1_25partition_config_selectorILNS1_17partition_subalgoE3EjNS0_10empty_typeEbEEZZNS1_14partition_implILS8_3ELb0ES6_jNS0_17counting_iteratorIjlEEPS9_SE_NS0_5tupleIJPjSE_EEENSF_IJSE_SE_EEES9_SG_JZNS1_25segmented_radix_sort_implINS0_14default_configELb1EPKiPiPKlPlN2at6native12_GLOBAL__N_18offset_tEEE10hipError_tPvRmT1_PNSt15iterator_traitsISY_E10value_typeET2_T3_PNSZ_IS14_E10value_typeET4_jRbjT5_S1A_jjP12ihipStream_tbEUljE_EEESV_SW_SX_S14_S18_S1A_T6_T7_T9_mT8_S1C_bDpT10_ENKUlT_T0_E_clISt17integral_constantIbLb1EES1P_EEDaS1K_S1L_EUlS1K_E_NS1_11comp_targetILNS1_3genE10ELNS1_11target_archE1200ELNS1_3gpuE4ELNS1_3repE0EEENS1_30default_config_static_selectorELNS0_4arch9wavefront6targetE0EEEvSY_ ; -- Begin function _ZN7rocprim17ROCPRIM_400000_NS6detail17trampoline_kernelINS0_13select_configILj256ELj13ELNS0_17block_load_methodE3ELS4_3ELS4_3ELNS0_20block_scan_algorithmE0ELj4294967295EEENS1_25partition_config_selectorILNS1_17partition_subalgoE3EjNS0_10empty_typeEbEEZZNS1_14partition_implILS8_3ELb0ES6_jNS0_17counting_iteratorIjlEEPS9_SE_NS0_5tupleIJPjSE_EEENSF_IJSE_SE_EEES9_SG_JZNS1_25segmented_radix_sort_implINS0_14default_configELb1EPKiPiPKlPlN2at6native12_GLOBAL__N_18offset_tEEE10hipError_tPvRmT1_PNSt15iterator_traitsISY_E10value_typeET2_T3_PNSZ_IS14_E10value_typeET4_jRbjT5_S1A_jjP12ihipStream_tbEUljE_EEESV_SW_SX_S14_S18_S1A_T6_T7_T9_mT8_S1C_bDpT10_ENKUlT_T0_E_clISt17integral_constantIbLb1EES1P_EEDaS1K_S1L_EUlS1K_E_NS1_11comp_targetILNS1_3genE10ELNS1_11target_archE1200ELNS1_3gpuE4ELNS1_3repE0EEENS1_30default_config_static_selectorELNS0_4arch9wavefront6targetE0EEEvSY_
	.p2align	8
	.type	_ZN7rocprim17ROCPRIM_400000_NS6detail17trampoline_kernelINS0_13select_configILj256ELj13ELNS0_17block_load_methodE3ELS4_3ELS4_3ELNS0_20block_scan_algorithmE0ELj4294967295EEENS1_25partition_config_selectorILNS1_17partition_subalgoE3EjNS0_10empty_typeEbEEZZNS1_14partition_implILS8_3ELb0ES6_jNS0_17counting_iteratorIjlEEPS9_SE_NS0_5tupleIJPjSE_EEENSF_IJSE_SE_EEES9_SG_JZNS1_25segmented_radix_sort_implINS0_14default_configELb1EPKiPiPKlPlN2at6native12_GLOBAL__N_18offset_tEEE10hipError_tPvRmT1_PNSt15iterator_traitsISY_E10value_typeET2_T3_PNSZ_IS14_E10value_typeET4_jRbjT5_S1A_jjP12ihipStream_tbEUljE_EEESV_SW_SX_S14_S18_S1A_T6_T7_T9_mT8_S1C_bDpT10_ENKUlT_T0_E_clISt17integral_constantIbLb1EES1P_EEDaS1K_S1L_EUlS1K_E_NS1_11comp_targetILNS1_3genE10ELNS1_11target_archE1200ELNS1_3gpuE4ELNS1_3repE0EEENS1_30default_config_static_selectorELNS0_4arch9wavefront6targetE0EEEvSY_,@function
_ZN7rocprim17ROCPRIM_400000_NS6detail17trampoline_kernelINS0_13select_configILj256ELj13ELNS0_17block_load_methodE3ELS4_3ELS4_3ELNS0_20block_scan_algorithmE0ELj4294967295EEENS1_25partition_config_selectorILNS1_17partition_subalgoE3EjNS0_10empty_typeEbEEZZNS1_14partition_implILS8_3ELb0ES6_jNS0_17counting_iteratorIjlEEPS9_SE_NS0_5tupleIJPjSE_EEENSF_IJSE_SE_EEES9_SG_JZNS1_25segmented_radix_sort_implINS0_14default_configELb1EPKiPiPKlPlN2at6native12_GLOBAL__N_18offset_tEEE10hipError_tPvRmT1_PNSt15iterator_traitsISY_E10value_typeET2_T3_PNSZ_IS14_E10value_typeET4_jRbjT5_S1A_jjP12ihipStream_tbEUljE_EEESV_SW_SX_S14_S18_S1A_T6_T7_T9_mT8_S1C_bDpT10_ENKUlT_T0_E_clISt17integral_constantIbLb1EES1P_EEDaS1K_S1L_EUlS1K_E_NS1_11comp_targetILNS1_3genE10ELNS1_11target_archE1200ELNS1_3gpuE4ELNS1_3repE0EEENS1_30default_config_static_selectorELNS0_4arch9wavefront6targetE0EEEvSY_: ; @_ZN7rocprim17ROCPRIM_400000_NS6detail17trampoline_kernelINS0_13select_configILj256ELj13ELNS0_17block_load_methodE3ELS4_3ELS4_3ELNS0_20block_scan_algorithmE0ELj4294967295EEENS1_25partition_config_selectorILNS1_17partition_subalgoE3EjNS0_10empty_typeEbEEZZNS1_14partition_implILS8_3ELb0ES6_jNS0_17counting_iteratorIjlEEPS9_SE_NS0_5tupleIJPjSE_EEENSF_IJSE_SE_EEES9_SG_JZNS1_25segmented_radix_sort_implINS0_14default_configELb1EPKiPiPKlPlN2at6native12_GLOBAL__N_18offset_tEEE10hipError_tPvRmT1_PNSt15iterator_traitsISY_E10value_typeET2_T3_PNSZ_IS14_E10value_typeET4_jRbjT5_S1A_jjP12ihipStream_tbEUljE_EEESV_SW_SX_S14_S18_S1A_T6_T7_T9_mT8_S1C_bDpT10_ENKUlT_T0_E_clISt17integral_constantIbLb1EES1P_EEDaS1K_S1L_EUlS1K_E_NS1_11comp_targetILNS1_3genE10ELNS1_11target_archE1200ELNS1_3gpuE4ELNS1_3repE0EEENS1_30default_config_static_selectorELNS0_4arch9wavefront6targetE0EEEvSY_
; %bb.0:
	s_endpgm
	.section	.rodata,"a",@progbits
	.p2align	6, 0x0
	.amdhsa_kernel _ZN7rocprim17ROCPRIM_400000_NS6detail17trampoline_kernelINS0_13select_configILj256ELj13ELNS0_17block_load_methodE3ELS4_3ELS4_3ELNS0_20block_scan_algorithmE0ELj4294967295EEENS1_25partition_config_selectorILNS1_17partition_subalgoE3EjNS0_10empty_typeEbEEZZNS1_14partition_implILS8_3ELb0ES6_jNS0_17counting_iteratorIjlEEPS9_SE_NS0_5tupleIJPjSE_EEENSF_IJSE_SE_EEES9_SG_JZNS1_25segmented_radix_sort_implINS0_14default_configELb1EPKiPiPKlPlN2at6native12_GLOBAL__N_18offset_tEEE10hipError_tPvRmT1_PNSt15iterator_traitsISY_E10value_typeET2_T3_PNSZ_IS14_E10value_typeET4_jRbjT5_S1A_jjP12ihipStream_tbEUljE_EEESV_SW_SX_S14_S18_S1A_T6_T7_T9_mT8_S1C_bDpT10_ENKUlT_T0_E_clISt17integral_constantIbLb1EES1P_EEDaS1K_S1L_EUlS1K_E_NS1_11comp_targetILNS1_3genE10ELNS1_11target_archE1200ELNS1_3gpuE4ELNS1_3repE0EEENS1_30default_config_static_selectorELNS0_4arch9wavefront6targetE0EEEvSY_
		.amdhsa_group_segment_fixed_size 0
		.amdhsa_private_segment_fixed_size 0
		.amdhsa_kernarg_size 152
		.amdhsa_user_sgpr_count 2
		.amdhsa_user_sgpr_dispatch_ptr 0
		.amdhsa_user_sgpr_queue_ptr 0
		.amdhsa_user_sgpr_kernarg_segment_ptr 1
		.amdhsa_user_sgpr_dispatch_id 0
		.amdhsa_user_sgpr_private_segment_size 0
		.amdhsa_wavefront_size32 1
		.amdhsa_uses_dynamic_stack 0
		.amdhsa_enable_private_segment 0
		.amdhsa_system_sgpr_workgroup_id_x 1
		.amdhsa_system_sgpr_workgroup_id_y 0
		.amdhsa_system_sgpr_workgroup_id_z 0
		.amdhsa_system_sgpr_workgroup_info 0
		.amdhsa_system_vgpr_workitem_id 0
		.amdhsa_next_free_vgpr 1
		.amdhsa_next_free_sgpr 1
		.amdhsa_reserve_vcc 0
		.amdhsa_float_round_mode_32 0
		.amdhsa_float_round_mode_16_64 0
		.amdhsa_float_denorm_mode_32 3
		.amdhsa_float_denorm_mode_16_64 3
		.amdhsa_fp16_overflow 0
		.amdhsa_workgroup_processor_mode 1
		.amdhsa_memory_ordered 1
		.amdhsa_forward_progress 1
		.amdhsa_inst_pref_size 1
		.amdhsa_round_robin_scheduling 0
		.amdhsa_exception_fp_ieee_invalid_op 0
		.amdhsa_exception_fp_denorm_src 0
		.amdhsa_exception_fp_ieee_div_zero 0
		.amdhsa_exception_fp_ieee_overflow 0
		.amdhsa_exception_fp_ieee_underflow 0
		.amdhsa_exception_fp_ieee_inexact 0
		.amdhsa_exception_int_div_zero 0
	.end_amdhsa_kernel
	.section	.text._ZN7rocprim17ROCPRIM_400000_NS6detail17trampoline_kernelINS0_13select_configILj256ELj13ELNS0_17block_load_methodE3ELS4_3ELS4_3ELNS0_20block_scan_algorithmE0ELj4294967295EEENS1_25partition_config_selectorILNS1_17partition_subalgoE3EjNS0_10empty_typeEbEEZZNS1_14partition_implILS8_3ELb0ES6_jNS0_17counting_iteratorIjlEEPS9_SE_NS0_5tupleIJPjSE_EEENSF_IJSE_SE_EEES9_SG_JZNS1_25segmented_radix_sort_implINS0_14default_configELb1EPKiPiPKlPlN2at6native12_GLOBAL__N_18offset_tEEE10hipError_tPvRmT1_PNSt15iterator_traitsISY_E10value_typeET2_T3_PNSZ_IS14_E10value_typeET4_jRbjT5_S1A_jjP12ihipStream_tbEUljE_EEESV_SW_SX_S14_S18_S1A_T6_T7_T9_mT8_S1C_bDpT10_ENKUlT_T0_E_clISt17integral_constantIbLb1EES1P_EEDaS1K_S1L_EUlS1K_E_NS1_11comp_targetILNS1_3genE10ELNS1_11target_archE1200ELNS1_3gpuE4ELNS1_3repE0EEENS1_30default_config_static_selectorELNS0_4arch9wavefront6targetE0EEEvSY_,"axG",@progbits,_ZN7rocprim17ROCPRIM_400000_NS6detail17trampoline_kernelINS0_13select_configILj256ELj13ELNS0_17block_load_methodE3ELS4_3ELS4_3ELNS0_20block_scan_algorithmE0ELj4294967295EEENS1_25partition_config_selectorILNS1_17partition_subalgoE3EjNS0_10empty_typeEbEEZZNS1_14partition_implILS8_3ELb0ES6_jNS0_17counting_iteratorIjlEEPS9_SE_NS0_5tupleIJPjSE_EEENSF_IJSE_SE_EEES9_SG_JZNS1_25segmented_radix_sort_implINS0_14default_configELb1EPKiPiPKlPlN2at6native12_GLOBAL__N_18offset_tEEE10hipError_tPvRmT1_PNSt15iterator_traitsISY_E10value_typeET2_T3_PNSZ_IS14_E10value_typeET4_jRbjT5_S1A_jjP12ihipStream_tbEUljE_EEESV_SW_SX_S14_S18_S1A_T6_T7_T9_mT8_S1C_bDpT10_ENKUlT_T0_E_clISt17integral_constantIbLb1EES1P_EEDaS1K_S1L_EUlS1K_E_NS1_11comp_targetILNS1_3genE10ELNS1_11target_archE1200ELNS1_3gpuE4ELNS1_3repE0EEENS1_30default_config_static_selectorELNS0_4arch9wavefront6targetE0EEEvSY_,comdat
.Lfunc_end478:
	.size	_ZN7rocprim17ROCPRIM_400000_NS6detail17trampoline_kernelINS0_13select_configILj256ELj13ELNS0_17block_load_methodE3ELS4_3ELS4_3ELNS0_20block_scan_algorithmE0ELj4294967295EEENS1_25partition_config_selectorILNS1_17partition_subalgoE3EjNS0_10empty_typeEbEEZZNS1_14partition_implILS8_3ELb0ES6_jNS0_17counting_iteratorIjlEEPS9_SE_NS0_5tupleIJPjSE_EEENSF_IJSE_SE_EEES9_SG_JZNS1_25segmented_radix_sort_implINS0_14default_configELb1EPKiPiPKlPlN2at6native12_GLOBAL__N_18offset_tEEE10hipError_tPvRmT1_PNSt15iterator_traitsISY_E10value_typeET2_T3_PNSZ_IS14_E10value_typeET4_jRbjT5_S1A_jjP12ihipStream_tbEUljE_EEESV_SW_SX_S14_S18_S1A_T6_T7_T9_mT8_S1C_bDpT10_ENKUlT_T0_E_clISt17integral_constantIbLb1EES1P_EEDaS1K_S1L_EUlS1K_E_NS1_11comp_targetILNS1_3genE10ELNS1_11target_archE1200ELNS1_3gpuE4ELNS1_3repE0EEENS1_30default_config_static_selectorELNS0_4arch9wavefront6targetE0EEEvSY_, .Lfunc_end478-_ZN7rocprim17ROCPRIM_400000_NS6detail17trampoline_kernelINS0_13select_configILj256ELj13ELNS0_17block_load_methodE3ELS4_3ELS4_3ELNS0_20block_scan_algorithmE0ELj4294967295EEENS1_25partition_config_selectorILNS1_17partition_subalgoE3EjNS0_10empty_typeEbEEZZNS1_14partition_implILS8_3ELb0ES6_jNS0_17counting_iteratorIjlEEPS9_SE_NS0_5tupleIJPjSE_EEENSF_IJSE_SE_EEES9_SG_JZNS1_25segmented_radix_sort_implINS0_14default_configELb1EPKiPiPKlPlN2at6native12_GLOBAL__N_18offset_tEEE10hipError_tPvRmT1_PNSt15iterator_traitsISY_E10value_typeET2_T3_PNSZ_IS14_E10value_typeET4_jRbjT5_S1A_jjP12ihipStream_tbEUljE_EEESV_SW_SX_S14_S18_S1A_T6_T7_T9_mT8_S1C_bDpT10_ENKUlT_T0_E_clISt17integral_constantIbLb1EES1P_EEDaS1K_S1L_EUlS1K_E_NS1_11comp_targetILNS1_3genE10ELNS1_11target_archE1200ELNS1_3gpuE4ELNS1_3repE0EEENS1_30default_config_static_selectorELNS0_4arch9wavefront6targetE0EEEvSY_
                                        ; -- End function
	.set _ZN7rocprim17ROCPRIM_400000_NS6detail17trampoline_kernelINS0_13select_configILj256ELj13ELNS0_17block_load_methodE3ELS4_3ELS4_3ELNS0_20block_scan_algorithmE0ELj4294967295EEENS1_25partition_config_selectorILNS1_17partition_subalgoE3EjNS0_10empty_typeEbEEZZNS1_14partition_implILS8_3ELb0ES6_jNS0_17counting_iteratorIjlEEPS9_SE_NS0_5tupleIJPjSE_EEENSF_IJSE_SE_EEES9_SG_JZNS1_25segmented_radix_sort_implINS0_14default_configELb1EPKiPiPKlPlN2at6native12_GLOBAL__N_18offset_tEEE10hipError_tPvRmT1_PNSt15iterator_traitsISY_E10value_typeET2_T3_PNSZ_IS14_E10value_typeET4_jRbjT5_S1A_jjP12ihipStream_tbEUljE_EEESV_SW_SX_S14_S18_S1A_T6_T7_T9_mT8_S1C_bDpT10_ENKUlT_T0_E_clISt17integral_constantIbLb1EES1P_EEDaS1K_S1L_EUlS1K_E_NS1_11comp_targetILNS1_3genE10ELNS1_11target_archE1200ELNS1_3gpuE4ELNS1_3repE0EEENS1_30default_config_static_selectorELNS0_4arch9wavefront6targetE0EEEvSY_.num_vgpr, 0
	.set _ZN7rocprim17ROCPRIM_400000_NS6detail17trampoline_kernelINS0_13select_configILj256ELj13ELNS0_17block_load_methodE3ELS4_3ELS4_3ELNS0_20block_scan_algorithmE0ELj4294967295EEENS1_25partition_config_selectorILNS1_17partition_subalgoE3EjNS0_10empty_typeEbEEZZNS1_14partition_implILS8_3ELb0ES6_jNS0_17counting_iteratorIjlEEPS9_SE_NS0_5tupleIJPjSE_EEENSF_IJSE_SE_EEES9_SG_JZNS1_25segmented_radix_sort_implINS0_14default_configELb1EPKiPiPKlPlN2at6native12_GLOBAL__N_18offset_tEEE10hipError_tPvRmT1_PNSt15iterator_traitsISY_E10value_typeET2_T3_PNSZ_IS14_E10value_typeET4_jRbjT5_S1A_jjP12ihipStream_tbEUljE_EEESV_SW_SX_S14_S18_S1A_T6_T7_T9_mT8_S1C_bDpT10_ENKUlT_T0_E_clISt17integral_constantIbLb1EES1P_EEDaS1K_S1L_EUlS1K_E_NS1_11comp_targetILNS1_3genE10ELNS1_11target_archE1200ELNS1_3gpuE4ELNS1_3repE0EEENS1_30default_config_static_selectorELNS0_4arch9wavefront6targetE0EEEvSY_.num_agpr, 0
	.set _ZN7rocprim17ROCPRIM_400000_NS6detail17trampoline_kernelINS0_13select_configILj256ELj13ELNS0_17block_load_methodE3ELS4_3ELS4_3ELNS0_20block_scan_algorithmE0ELj4294967295EEENS1_25partition_config_selectorILNS1_17partition_subalgoE3EjNS0_10empty_typeEbEEZZNS1_14partition_implILS8_3ELb0ES6_jNS0_17counting_iteratorIjlEEPS9_SE_NS0_5tupleIJPjSE_EEENSF_IJSE_SE_EEES9_SG_JZNS1_25segmented_radix_sort_implINS0_14default_configELb1EPKiPiPKlPlN2at6native12_GLOBAL__N_18offset_tEEE10hipError_tPvRmT1_PNSt15iterator_traitsISY_E10value_typeET2_T3_PNSZ_IS14_E10value_typeET4_jRbjT5_S1A_jjP12ihipStream_tbEUljE_EEESV_SW_SX_S14_S18_S1A_T6_T7_T9_mT8_S1C_bDpT10_ENKUlT_T0_E_clISt17integral_constantIbLb1EES1P_EEDaS1K_S1L_EUlS1K_E_NS1_11comp_targetILNS1_3genE10ELNS1_11target_archE1200ELNS1_3gpuE4ELNS1_3repE0EEENS1_30default_config_static_selectorELNS0_4arch9wavefront6targetE0EEEvSY_.numbered_sgpr, 0
	.set _ZN7rocprim17ROCPRIM_400000_NS6detail17trampoline_kernelINS0_13select_configILj256ELj13ELNS0_17block_load_methodE3ELS4_3ELS4_3ELNS0_20block_scan_algorithmE0ELj4294967295EEENS1_25partition_config_selectorILNS1_17partition_subalgoE3EjNS0_10empty_typeEbEEZZNS1_14partition_implILS8_3ELb0ES6_jNS0_17counting_iteratorIjlEEPS9_SE_NS0_5tupleIJPjSE_EEENSF_IJSE_SE_EEES9_SG_JZNS1_25segmented_radix_sort_implINS0_14default_configELb1EPKiPiPKlPlN2at6native12_GLOBAL__N_18offset_tEEE10hipError_tPvRmT1_PNSt15iterator_traitsISY_E10value_typeET2_T3_PNSZ_IS14_E10value_typeET4_jRbjT5_S1A_jjP12ihipStream_tbEUljE_EEESV_SW_SX_S14_S18_S1A_T6_T7_T9_mT8_S1C_bDpT10_ENKUlT_T0_E_clISt17integral_constantIbLb1EES1P_EEDaS1K_S1L_EUlS1K_E_NS1_11comp_targetILNS1_3genE10ELNS1_11target_archE1200ELNS1_3gpuE4ELNS1_3repE0EEENS1_30default_config_static_selectorELNS0_4arch9wavefront6targetE0EEEvSY_.num_named_barrier, 0
	.set _ZN7rocprim17ROCPRIM_400000_NS6detail17trampoline_kernelINS0_13select_configILj256ELj13ELNS0_17block_load_methodE3ELS4_3ELS4_3ELNS0_20block_scan_algorithmE0ELj4294967295EEENS1_25partition_config_selectorILNS1_17partition_subalgoE3EjNS0_10empty_typeEbEEZZNS1_14partition_implILS8_3ELb0ES6_jNS0_17counting_iteratorIjlEEPS9_SE_NS0_5tupleIJPjSE_EEENSF_IJSE_SE_EEES9_SG_JZNS1_25segmented_radix_sort_implINS0_14default_configELb1EPKiPiPKlPlN2at6native12_GLOBAL__N_18offset_tEEE10hipError_tPvRmT1_PNSt15iterator_traitsISY_E10value_typeET2_T3_PNSZ_IS14_E10value_typeET4_jRbjT5_S1A_jjP12ihipStream_tbEUljE_EEESV_SW_SX_S14_S18_S1A_T6_T7_T9_mT8_S1C_bDpT10_ENKUlT_T0_E_clISt17integral_constantIbLb1EES1P_EEDaS1K_S1L_EUlS1K_E_NS1_11comp_targetILNS1_3genE10ELNS1_11target_archE1200ELNS1_3gpuE4ELNS1_3repE0EEENS1_30default_config_static_selectorELNS0_4arch9wavefront6targetE0EEEvSY_.private_seg_size, 0
	.set _ZN7rocprim17ROCPRIM_400000_NS6detail17trampoline_kernelINS0_13select_configILj256ELj13ELNS0_17block_load_methodE3ELS4_3ELS4_3ELNS0_20block_scan_algorithmE0ELj4294967295EEENS1_25partition_config_selectorILNS1_17partition_subalgoE3EjNS0_10empty_typeEbEEZZNS1_14partition_implILS8_3ELb0ES6_jNS0_17counting_iteratorIjlEEPS9_SE_NS0_5tupleIJPjSE_EEENSF_IJSE_SE_EEES9_SG_JZNS1_25segmented_radix_sort_implINS0_14default_configELb1EPKiPiPKlPlN2at6native12_GLOBAL__N_18offset_tEEE10hipError_tPvRmT1_PNSt15iterator_traitsISY_E10value_typeET2_T3_PNSZ_IS14_E10value_typeET4_jRbjT5_S1A_jjP12ihipStream_tbEUljE_EEESV_SW_SX_S14_S18_S1A_T6_T7_T9_mT8_S1C_bDpT10_ENKUlT_T0_E_clISt17integral_constantIbLb1EES1P_EEDaS1K_S1L_EUlS1K_E_NS1_11comp_targetILNS1_3genE10ELNS1_11target_archE1200ELNS1_3gpuE4ELNS1_3repE0EEENS1_30default_config_static_selectorELNS0_4arch9wavefront6targetE0EEEvSY_.uses_vcc, 0
	.set _ZN7rocprim17ROCPRIM_400000_NS6detail17trampoline_kernelINS0_13select_configILj256ELj13ELNS0_17block_load_methodE3ELS4_3ELS4_3ELNS0_20block_scan_algorithmE0ELj4294967295EEENS1_25partition_config_selectorILNS1_17partition_subalgoE3EjNS0_10empty_typeEbEEZZNS1_14partition_implILS8_3ELb0ES6_jNS0_17counting_iteratorIjlEEPS9_SE_NS0_5tupleIJPjSE_EEENSF_IJSE_SE_EEES9_SG_JZNS1_25segmented_radix_sort_implINS0_14default_configELb1EPKiPiPKlPlN2at6native12_GLOBAL__N_18offset_tEEE10hipError_tPvRmT1_PNSt15iterator_traitsISY_E10value_typeET2_T3_PNSZ_IS14_E10value_typeET4_jRbjT5_S1A_jjP12ihipStream_tbEUljE_EEESV_SW_SX_S14_S18_S1A_T6_T7_T9_mT8_S1C_bDpT10_ENKUlT_T0_E_clISt17integral_constantIbLb1EES1P_EEDaS1K_S1L_EUlS1K_E_NS1_11comp_targetILNS1_3genE10ELNS1_11target_archE1200ELNS1_3gpuE4ELNS1_3repE0EEENS1_30default_config_static_selectorELNS0_4arch9wavefront6targetE0EEEvSY_.uses_flat_scratch, 0
	.set _ZN7rocprim17ROCPRIM_400000_NS6detail17trampoline_kernelINS0_13select_configILj256ELj13ELNS0_17block_load_methodE3ELS4_3ELS4_3ELNS0_20block_scan_algorithmE0ELj4294967295EEENS1_25partition_config_selectorILNS1_17partition_subalgoE3EjNS0_10empty_typeEbEEZZNS1_14partition_implILS8_3ELb0ES6_jNS0_17counting_iteratorIjlEEPS9_SE_NS0_5tupleIJPjSE_EEENSF_IJSE_SE_EEES9_SG_JZNS1_25segmented_radix_sort_implINS0_14default_configELb1EPKiPiPKlPlN2at6native12_GLOBAL__N_18offset_tEEE10hipError_tPvRmT1_PNSt15iterator_traitsISY_E10value_typeET2_T3_PNSZ_IS14_E10value_typeET4_jRbjT5_S1A_jjP12ihipStream_tbEUljE_EEESV_SW_SX_S14_S18_S1A_T6_T7_T9_mT8_S1C_bDpT10_ENKUlT_T0_E_clISt17integral_constantIbLb1EES1P_EEDaS1K_S1L_EUlS1K_E_NS1_11comp_targetILNS1_3genE10ELNS1_11target_archE1200ELNS1_3gpuE4ELNS1_3repE0EEENS1_30default_config_static_selectorELNS0_4arch9wavefront6targetE0EEEvSY_.has_dyn_sized_stack, 0
	.set _ZN7rocprim17ROCPRIM_400000_NS6detail17trampoline_kernelINS0_13select_configILj256ELj13ELNS0_17block_load_methodE3ELS4_3ELS4_3ELNS0_20block_scan_algorithmE0ELj4294967295EEENS1_25partition_config_selectorILNS1_17partition_subalgoE3EjNS0_10empty_typeEbEEZZNS1_14partition_implILS8_3ELb0ES6_jNS0_17counting_iteratorIjlEEPS9_SE_NS0_5tupleIJPjSE_EEENSF_IJSE_SE_EEES9_SG_JZNS1_25segmented_radix_sort_implINS0_14default_configELb1EPKiPiPKlPlN2at6native12_GLOBAL__N_18offset_tEEE10hipError_tPvRmT1_PNSt15iterator_traitsISY_E10value_typeET2_T3_PNSZ_IS14_E10value_typeET4_jRbjT5_S1A_jjP12ihipStream_tbEUljE_EEESV_SW_SX_S14_S18_S1A_T6_T7_T9_mT8_S1C_bDpT10_ENKUlT_T0_E_clISt17integral_constantIbLb1EES1P_EEDaS1K_S1L_EUlS1K_E_NS1_11comp_targetILNS1_3genE10ELNS1_11target_archE1200ELNS1_3gpuE4ELNS1_3repE0EEENS1_30default_config_static_selectorELNS0_4arch9wavefront6targetE0EEEvSY_.has_recursion, 0
	.set _ZN7rocprim17ROCPRIM_400000_NS6detail17trampoline_kernelINS0_13select_configILj256ELj13ELNS0_17block_load_methodE3ELS4_3ELS4_3ELNS0_20block_scan_algorithmE0ELj4294967295EEENS1_25partition_config_selectorILNS1_17partition_subalgoE3EjNS0_10empty_typeEbEEZZNS1_14partition_implILS8_3ELb0ES6_jNS0_17counting_iteratorIjlEEPS9_SE_NS0_5tupleIJPjSE_EEENSF_IJSE_SE_EEES9_SG_JZNS1_25segmented_radix_sort_implINS0_14default_configELb1EPKiPiPKlPlN2at6native12_GLOBAL__N_18offset_tEEE10hipError_tPvRmT1_PNSt15iterator_traitsISY_E10value_typeET2_T3_PNSZ_IS14_E10value_typeET4_jRbjT5_S1A_jjP12ihipStream_tbEUljE_EEESV_SW_SX_S14_S18_S1A_T6_T7_T9_mT8_S1C_bDpT10_ENKUlT_T0_E_clISt17integral_constantIbLb1EES1P_EEDaS1K_S1L_EUlS1K_E_NS1_11comp_targetILNS1_3genE10ELNS1_11target_archE1200ELNS1_3gpuE4ELNS1_3repE0EEENS1_30default_config_static_selectorELNS0_4arch9wavefront6targetE0EEEvSY_.has_indirect_call, 0
	.section	.AMDGPU.csdata,"",@progbits
; Kernel info:
; codeLenInByte = 4
; TotalNumSgprs: 0
; NumVgprs: 0
; ScratchSize: 0
; MemoryBound: 0
; FloatMode: 240
; IeeeMode: 1
; LDSByteSize: 0 bytes/workgroup (compile time only)
; SGPRBlocks: 0
; VGPRBlocks: 0
; NumSGPRsForWavesPerEU: 1
; NumVGPRsForWavesPerEU: 1
; Occupancy: 16
; WaveLimiterHint : 0
; COMPUTE_PGM_RSRC2:SCRATCH_EN: 0
; COMPUTE_PGM_RSRC2:USER_SGPR: 2
; COMPUTE_PGM_RSRC2:TRAP_HANDLER: 0
; COMPUTE_PGM_RSRC2:TGID_X_EN: 1
; COMPUTE_PGM_RSRC2:TGID_Y_EN: 0
; COMPUTE_PGM_RSRC2:TGID_Z_EN: 0
; COMPUTE_PGM_RSRC2:TIDIG_COMP_CNT: 0
	.section	.text._ZN7rocprim17ROCPRIM_400000_NS6detail17trampoline_kernelINS0_13select_configILj256ELj13ELNS0_17block_load_methodE3ELS4_3ELS4_3ELNS0_20block_scan_algorithmE0ELj4294967295EEENS1_25partition_config_selectorILNS1_17partition_subalgoE3EjNS0_10empty_typeEbEEZZNS1_14partition_implILS8_3ELb0ES6_jNS0_17counting_iteratorIjlEEPS9_SE_NS0_5tupleIJPjSE_EEENSF_IJSE_SE_EEES9_SG_JZNS1_25segmented_radix_sort_implINS0_14default_configELb1EPKiPiPKlPlN2at6native12_GLOBAL__N_18offset_tEEE10hipError_tPvRmT1_PNSt15iterator_traitsISY_E10value_typeET2_T3_PNSZ_IS14_E10value_typeET4_jRbjT5_S1A_jjP12ihipStream_tbEUljE_EEESV_SW_SX_S14_S18_S1A_T6_T7_T9_mT8_S1C_bDpT10_ENKUlT_T0_E_clISt17integral_constantIbLb1EES1P_EEDaS1K_S1L_EUlS1K_E_NS1_11comp_targetILNS1_3genE9ELNS1_11target_archE1100ELNS1_3gpuE3ELNS1_3repE0EEENS1_30default_config_static_selectorELNS0_4arch9wavefront6targetE0EEEvSY_,"axG",@progbits,_ZN7rocprim17ROCPRIM_400000_NS6detail17trampoline_kernelINS0_13select_configILj256ELj13ELNS0_17block_load_methodE3ELS4_3ELS4_3ELNS0_20block_scan_algorithmE0ELj4294967295EEENS1_25partition_config_selectorILNS1_17partition_subalgoE3EjNS0_10empty_typeEbEEZZNS1_14partition_implILS8_3ELb0ES6_jNS0_17counting_iteratorIjlEEPS9_SE_NS0_5tupleIJPjSE_EEENSF_IJSE_SE_EEES9_SG_JZNS1_25segmented_radix_sort_implINS0_14default_configELb1EPKiPiPKlPlN2at6native12_GLOBAL__N_18offset_tEEE10hipError_tPvRmT1_PNSt15iterator_traitsISY_E10value_typeET2_T3_PNSZ_IS14_E10value_typeET4_jRbjT5_S1A_jjP12ihipStream_tbEUljE_EEESV_SW_SX_S14_S18_S1A_T6_T7_T9_mT8_S1C_bDpT10_ENKUlT_T0_E_clISt17integral_constantIbLb1EES1P_EEDaS1K_S1L_EUlS1K_E_NS1_11comp_targetILNS1_3genE9ELNS1_11target_archE1100ELNS1_3gpuE3ELNS1_3repE0EEENS1_30default_config_static_selectorELNS0_4arch9wavefront6targetE0EEEvSY_,comdat
	.globl	_ZN7rocprim17ROCPRIM_400000_NS6detail17trampoline_kernelINS0_13select_configILj256ELj13ELNS0_17block_load_methodE3ELS4_3ELS4_3ELNS0_20block_scan_algorithmE0ELj4294967295EEENS1_25partition_config_selectorILNS1_17partition_subalgoE3EjNS0_10empty_typeEbEEZZNS1_14partition_implILS8_3ELb0ES6_jNS0_17counting_iteratorIjlEEPS9_SE_NS0_5tupleIJPjSE_EEENSF_IJSE_SE_EEES9_SG_JZNS1_25segmented_radix_sort_implINS0_14default_configELb1EPKiPiPKlPlN2at6native12_GLOBAL__N_18offset_tEEE10hipError_tPvRmT1_PNSt15iterator_traitsISY_E10value_typeET2_T3_PNSZ_IS14_E10value_typeET4_jRbjT5_S1A_jjP12ihipStream_tbEUljE_EEESV_SW_SX_S14_S18_S1A_T6_T7_T9_mT8_S1C_bDpT10_ENKUlT_T0_E_clISt17integral_constantIbLb1EES1P_EEDaS1K_S1L_EUlS1K_E_NS1_11comp_targetILNS1_3genE9ELNS1_11target_archE1100ELNS1_3gpuE3ELNS1_3repE0EEENS1_30default_config_static_selectorELNS0_4arch9wavefront6targetE0EEEvSY_ ; -- Begin function _ZN7rocprim17ROCPRIM_400000_NS6detail17trampoline_kernelINS0_13select_configILj256ELj13ELNS0_17block_load_methodE3ELS4_3ELS4_3ELNS0_20block_scan_algorithmE0ELj4294967295EEENS1_25partition_config_selectorILNS1_17partition_subalgoE3EjNS0_10empty_typeEbEEZZNS1_14partition_implILS8_3ELb0ES6_jNS0_17counting_iteratorIjlEEPS9_SE_NS0_5tupleIJPjSE_EEENSF_IJSE_SE_EEES9_SG_JZNS1_25segmented_radix_sort_implINS0_14default_configELb1EPKiPiPKlPlN2at6native12_GLOBAL__N_18offset_tEEE10hipError_tPvRmT1_PNSt15iterator_traitsISY_E10value_typeET2_T3_PNSZ_IS14_E10value_typeET4_jRbjT5_S1A_jjP12ihipStream_tbEUljE_EEESV_SW_SX_S14_S18_S1A_T6_T7_T9_mT8_S1C_bDpT10_ENKUlT_T0_E_clISt17integral_constantIbLb1EES1P_EEDaS1K_S1L_EUlS1K_E_NS1_11comp_targetILNS1_3genE9ELNS1_11target_archE1100ELNS1_3gpuE3ELNS1_3repE0EEENS1_30default_config_static_selectorELNS0_4arch9wavefront6targetE0EEEvSY_
	.p2align	8
	.type	_ZN7rocprim17ROCPRIM_400000_NS6detail17trampoline_kernelINS0_13select_configILj256ELj13ELNS0_17block_load_methodE3ELS4_3ELS4_3ELNS0_20block_scan_algorithmE0ELj4294967295EEENS1_25partition_config_selectorILNS1_17partition_subalgoE3EjNS0_10empty_typeEbEEZZNS1_14partition_implILS8_3ELb0ES6_jNS0_17counting_iteratorIjlEEPS9_SE_NS0_5tupleIJPjSE_EEENSF_IJSE_SE_EEES9_SG_JZNS1_25segmented_radix_sort_implINS0_14default_configELb1EPKiPiPKlPlN2at6native12_GLOBAL__N_18offset_tEEE10hipError_tPvRmT1_PNSt15iterator_traitsISY_E10value_typeET2_T3_PNSZ_IS14_E10value_typeET4_jRbjT5_S1A_jjP12ihipStream_tbEUljE_EEESV_SW_SX_S14_S18_S1A_T6_T7_T9_mT8_S1C_bDpT10_ENKUlT_T0_E_clISt17integral_constantIbLb1EES1P_EEDaS1K_S1L_EUlS1K_E_NS1_11comp_targetILNS1_3genE9ELNS1_11target_archE1100ELNS1_3gpuE3ELNS1_3repE0EEENS1_30default_config_static_selectorELNS0_4arch9wavefront6targetE0EEEvSY_,@function
_ZN7rocprim17ROCPRIM_400000_NS6detail17trampoline_kernelINS0_13select_configILj256ELj13ELNS0_17block_load_methodE3ELS4_3ELS4_3ELNS0_20block_scan_algorithmE0ELj4294967295EEENS1_25partition_config_selectorILNS1_17partition_subalgoE3EjNS0_10empty_typeEbEEZZNS1_14partition_implILS8_3ELb0ES6_jNS0_17counting_iteratorIjlEEPS9_SE_NS0_5tupleIJPjSE_EEENSF_IJSE_SE_EEES9_SG_JZNS1_25segmented_radix_sort_implINS0_14default_configELb1EPKiPiPKlPlN2at6native12_GLOBAL__N_18offset_tEEE10hipError_tPvRmT1_PNSt15iterator_traitsISY_E10value_typeET2_T3_PNSZ_IS14_E10value_typeET4_jRbjT5_S1A_jjP12ihipStream_tbEUljE_EEESV_SW_SX_S14_S18_S1A_T6_T7_T9_mT8_S1C_bDpT10_ENKUlT_T0_E_clISt17integral_constantIbLb1EES1P_EEDaS1K_S1L_EUlS1K_E_NS1_11comp_targetILNS1_3genE9ELNS1_11target_archE1100ELNS1_3gpuE3ELNS1_3repE0EEENS1_30default_config_static_selectorELNS0_4arch9wavefront6targetE0EEEvSY_: ; @_ZN7rocprim17ROCPRIM_400000_NS6detail17trampoline_kernelINS0_13select_configILj256ELj13ELNS0_17block_load_methodE3ELS4_3ELS4_3ELNS0_20block_scan_algorithmE0ELj4294967295EEENS1_25partition_config_selectorILNS1_17partition_subalgoE3EjNS0_10empty_typeEbEEZZNS1_14partition_implILS8_3ELb0ES6_jNS0_17counting_iteratorIjlEEPS9_SE_NS0_5tupleIJPjSE_EEENSF_IJSE_SE_EEES9_SG_JZNS1_25segmented_radix_sort_implINS0_14default_configELb1EPKiPiPKlPlN2at6native12_GLOBAL__N_18offset_tEEE10hipError_tPvRmT1_PNSt15iterator_traitsISY_E10value_typeET2_T3_PNSZ_IS14_E10value_typeET4_jRbjT5_S1A_jjP12ihipStream_tbEUljE_EEESV_SW_SX_S14_S18_S1A_T6_T7_T9_mT8_S1C_bDpT10_ENKUlT_T0_E_clISt17integral_constantIbLb1EES1P_EEDaS1K_S1L_EUlS1K_E_NS1_11comp_targetILNS1_3genE9ELNS1_11target_archE1100ELNS1_3gpuE3ELNS1_3repE0EEENS1_30default_config_static_selectorELNS0_4arch9wavefront6targetE0EEEvSY_
; %bb.0:
	.section	.rodata,"a",@progbits
	.p2align	6, 0x0
	.amdhsa_kernel _ZN7rocprim17ROCPRIM_400000_NS6detail17trampoline_kernelINS0_13select_configILj256ELj13ELNS0_17block_load_methodE3ELS4_3ELS4_3ELNS0_20block_scan_algorithmE0ELj4294967295EEENS1_25partition_config_selectorILNS1_17partition_subalgoE3EjNS0_10empty_typeEbEEZZNS1_14partition_implILS8_3ELb0ES6_jNS0_17counting_iteratorIjlEEPS9_SE_NS0_5tupleIJPjSE_EEENSF_IJSE_SE_EEES9_SG_JZNS1_25segmented_radix_sort_implINS0_14default_configELb1EPKiPiPKlPlN2at6native12_GLOBAL__N_18offset_tEEE10hipError_tPvRmT1_PNSt15iterator_traitsISY_E10value_typeET2_T3_PNSZ_IS14_E10value_typeET4_jRbjT5_S1A_jjP12ihipStream_tbEUljE_EEESV_SW_SX_S14_S18_S1A_T6_T7_T9_mT8_S1C_bDpT10_ENKUlT_T0_E_clISt17integral_constantIbLb1EES1P_EEDaS1K_S1L_EUlS1K_E_NS1_11comp_targetILNS1_3genE9ELNS1_11target_archE1100ELNS1_3gpuE3ELNS1_3repE0EEENS1_30default_config_static_selectorELNS0_4arch9wavefront6targetE0EEEvSY_
		.amdhsa_group_segment_fixed_size 0
		.amdhsa_private_segment_fixed_size 0
		.amdhsa_kernarg_size 152
		.amdhsa_user_sgpr_count 2
		.amdhsa_user_sgpr_dispatch_ptr 0
		.amdhsa_user_sgpr_queue_ptr 0
		.amdhsa_user_sgpr_kernarg_segment_ptr 1
		.amdhsa_user_sgpr_dispatch_id 0
		.amdhsa_user_sgpr_private_segment_size 0
		.amdhsa_wavefront_size32 1
		.amdhsa_uses_dynamic_stack 0
		.amdhsa_enable_private_segment 0
		.amdhsa_system_sgpr_workgroup_id_x 1
		.amdhsa_system_sgpr_workgroup_id_y 0
		.amdhsa_system_sgpr_workgroup_id_z 0
		.amdhsa_system_sgpr_workgroup_info 0
		.amdhsa_system_vgpr_workitem_id 0
		.amdhsa_next_free_vgpr 1
		.amdhsa_next_free_sgpr 1
		.amdhsa_reserve_vcc 0
		.amdhsa_float_round_mode_32 0
		.amdhsa_float_round_mode_16_64 0
		.amdhsa_float_denorm_mode_32 3
		.amdhsa_float_denorm_mode_16_64 3
		.amdhsa_fp16_overflow 0
		.amdhsa_workgroup_processor_mode 1
		.amdhsa_memory_ordered 1
		.amdhsa_forward_progress 1
		.amdhsa_inst_pref_size 0
		.amdhsa_round_robin_scheduling 0
		.amdhsa_exception_fp_ieee_invalid_op 0
		.amdhsa_exception_fp_denorm_src 0
		.amdhsa_exception_fp_ieee_div_zero 0
		.amdhsa_exception_fp_ieee_overflow 0
		.amdhsa_exception_fp_ieee_underflow 0
		.amdhsa_exception_fp_ieee_inexact 0
		.amdhsa_exception_int_div_zero 0
	.end_amdhsa_kernel
	.section	.text._ZN7rocprim17ROCPRIM_400000_NS6detail17trampoline_kernelINS0_13select_configILj256ELj13ELNS0_17block_load_methodE3ELS4_3ELS4_3ELNS0_20block_scan_algorithmE0ELj4294967295EEENS1_25partition_config_selectorILNS1_17partition_subalgoE3EjNS0_10empty_typeEbEEZZNS1_14partition_implILS8_3ELb0ES6_jNS0_17counting_iteratorIjlEEPS9_SE_NS0_5tupleIJPjSE_EEENSF_IJSE_SE_EEES9_SG_JZNS1_25segmented_radix_sort_implINS0_14default_configELb1EPKiPiPKlPlN2at6native12_GLOBAL__N_18offset_tEEE10hipError_tPvRmT1_PNSt15iterator_traitsISY_E10value_typeET2_T3_PNSZ_IS14_E10value_typeET4_jRbjT5_S1A_jjP12ihipStream_tbEUljE_EEESV_SW_SX_S14_S18_S1A_T6_T7_T9_mT8_S1C_bDpT10_ENKUlT_T0_E_clISt17integral_constantIbLb1EES1P_EEDaS1K_S1L_EUlS1K_E_NS1_11comp_targetILNS1_3genE9ELNS1_11target_archE1100ELNS1_3gpuE3ELNS1_3repE0EEENS1_30default_config_static_selectorELNS0_4arch9wavefront6targetE0EEEvSY_,"axG",@progbits,_ZN7rocprim17ROCPRIM_400000_NS6detail17trampoline_kernelINS0_13select_configILj256ELj13ELNS0_17block_load_methodE3ELS4_3ELS4_3ELNS0_20block_scan_algorithmE0ELj4294967295EEENS1_25partition_config_selectorILNS1_17partition_subalgoE3EjNS0_10empty_typeEbEEZZNS1_14partition_implILS8_3ELb0ES6_jNS0_17counting_iteratorIjlEEPS9_SE_NS0_5tupleIJPjSE_EEENSF_IJSE_SE_EEES9_SG_JZNS1_25segmented_radix_sort_implINS0_14default_configELb1EPKiPiPKlPlN2at6native12_GLOBAL__N_18offset_tEEE10hipError_tPvRmT1_PNSt15iterator_traitsISY_E10value_typeET2_T3_PNSZ_IS14_E10value_typeET4_jRbjT5_S1A_jjP12ihipStream_tbEUljE_EEESV_SW_SX_S14_S18_S1A_T6_T7_T9_mT8_S1C_bDpT10_ENKUlT_T0_E_clISt17integral_constantIbLb1EES1P_EEDaS1K_S1L_EUlS1K_E_NS1_11comp_targetILNS1_3genE9ELNS1_11target_archE1100ELNS1_3gpuE3ELNS1_3repE0EEENS1_30default_config_static_selectorELNS0_4arch9wavefront6targetE0EEEvSY_,comdat
.Lfunc_end479:
	.size	_ZN7rocprim17ROCPRIM_400000_NS6detail17trampoline_kernelINS0_13select_configILj256ELj13ELNS0_17block_load_methodE3ELS4_3ELS4_3ELNS0_20block_scan_algorithmE0ELj4294967295EEENS1_25partition_config_selectorILNS1_17partition_subalgoE3EjNS0_10empty_typeEbEEZZNS1_14partition_implILS8_3ELb0ES6_jNS0_17counting_iteratorIjlEEPS9_SE_NS0_5tupleIJPjSE_EEENSF_IJSE_SE_EEES9_SG_JZNS1_25segmented_radix_sort_implINS0_14default_configELb1EPKiPiPKlPlN2at6native12_GLOBAL__N_18offset_tEEE10hipError_tPvRmT1_PNSt15iterator_traitsISY_E10value_typeET2_T3_PNSZ_IS14_E10value_typeET4_jRbjT5_S1A_jjP12ihipStream_tbEUljE_EEESV_SW_SX_S14_S18_S1A_T6_T7_T9_mT8_S1C_bDpT10_ENKUlT_T0_E_clISt17integral_constantIbLb1EES1P_EEDaS1K_S1L_EUlS1K_E_NS1_11comp_targetILNS1_3genE9ELNS1_11target_archE1100ELNS1_3gpuE3ELNS1_3repE0EEENS1_30default_config_static_selectorELNS0_4arch9wavefront6targetE0EEEvSY_, .Lfunc_end479-_ZN7rocprim17ROCPRIM_400000_NS6detail17trampoline_kernelINS0_13select_configILj256ELj13ELNS0_17block_load_methodE3ELS4_3ELS4_3ELNS0_20block_scan_algorithmE0ELj4294967295EEENS1_25partition_config_selectorILNS1_17partition_subalgoE3EjNS0_10empty_typeEbEEZZNS1_14partition_implILS8_3ELb0ES6_jNS0_17counting_iteratorIjlEEPS9_SE_NS0_5tupleIJPjSE_EEENSF_IJSE_SE_EEES9_SG_JZNS1_25segmented_radix_sort_implINS0_14default_configELb1EPKiPiPKlPlN2at6native12_GLOBAL__N_18offset_tEEE10hipError_tPvRmT1_PNSt15iterator_traitsISY_E10value_typeET2_T3_PNSZ_IS14_E10value_typeET4_jRbjT5_S1A_jjP12ihipStream_tbEUljE_EEESV_SW_SX_S14_S18_S1A_T6_T7_T9_mT8_S1C_bDpT10_ENKUlT_T0_E_clISt17integral_constantIbLb1EES1P_EEDaS1K_S1L_EUlS1K_E_NS1_11comp_targetILNS1_3genE9ELNS1_11target_archE1100ELNS1_3gpuE3ELNS1_3repE0EEENS1_30default_config_static_selectorELNS0_4arch9wavefront6targetE0EEEvSY_
                                        ; -- End function
	.set _ZN7rocprim17ROCPRIM_400000_NS6detail17trampoline_kernelINS0_13select_configILj256ELj13ELNS0_17block_load_methodE3ELS4_3ELS4_3ELNS0_20block_scan_algorithmE0ELj4294967295EEENS1_25partition_config_selectorILNS1_17partition_subalgoE3EjNS0_10empty_typeEbEEZZNS1_14partition_implILS8_3ELb0ES6_jNS0_17counting_iteratorIjlEEPS9_SE_NS0_5tupleIJPjSE_EEENSF_IJSE_SE_EEES9_SG_JZNS1_25segmented_radix_sort_implINS0_14default_configELb1EPKiPiPKlPlN2at6native12_GLOBAL__N_18offset_tEEE10hipError_tPvRmT1_PNSt15iterator_traitsISY_E10value_typeET2_T3_PNSZ_IS14_E10value_typeET4_jRbjT5_S1A_jjP12ihipStream_tbEUljE_EEESV_SW_SX_S14_S18_S1A_T6_T7_T9_mT8_S1C_bDpT10_ENKUlT_T0_E_clISt17integral_constantIbLb1EES1P_EEDaS1K_S1L_EUlS1K_E_NS1_11comp_targetILNS1_3genE9ELNS1_11target_archE1100ELNS1_3gpuE3ELNS1_3repE0EEENS1_30default_config_static_selectorELNS0_4arch9wavefront6targetE0EEEvSY_.num_vgpr, 0
	.set _ZN7rocprim17ROCPRIM_400000_NS6detail17trampoline_kernelINS0_13select_configILj256ELj13ELNS0_17block_load_methodE3ELS4_3ELS4_3ELNS0_20block_scan_algorithmE0ELj4294967295EEENS1_25partition_config_selectorILNS1_17partition_subalgoE3EjNS0_10empty_typeEbEEZZNS1_14partition_implILS8_3ELb0ES6_jNS0_17counting_iteratorIjlEEPS9_SE_NS0_5tupleIJPjSE_EEENSF_IJSE_SE_EEES9_SG_JZNS1_25segmented_radix_sort_implINS0_14default_configELb1EPKiPiPKlPlN2at6native12_GLOBAL__N_18offset_tEEE10hipError_tPvRmT1_PNSt15iterator_traitsISY_E10value_typeET2_T3_PNSZ_IS14_E10value_typeET4_jRbjT5_S1A_jjP12ihipStream_tbEUljE_EEESV_SW_SX_S14_S18_S1A_T6_T7_T9_mT8_S1C_bDpT10_ENKUlT_T0_E_clISt17integral_constantIbLb1EES1P_EEDaS1K_S1L_EUlS1K_E_NS1_11comp_targetILNS1_3genE9ELNS1_11target_archE1100ELNS1_3gpuE3ELNS1_3repE0EEENS1_30default_config_static_selectorELNS0_4arch9wavefront6targetE0EEEvSY_.num_agpr, 0
	.set _ZN7rocprim17ROCPRIM_400000_NS6detail17trampoline_kernelINS0_13select_configILj256ELj13ELNS0_17block_load_methodE3ELS4_3ELS4_3ELNS0_20block_scan_algorithmE0ELj4294967295EEENS1_25partition_config_selectorILNS1_17partition_subalgoE3EjNS0_10empty_typeEbEEZZNS1_14partition_implILS8_3ELb0ES6_jNS0_17counting_iteratorIjlEEPS9_SE_NS0_5tupleIJPjSE_EEENSF_IJSE_SE_EEES9_SG_JZNS1_25segmented_radix_sort_implINS0_14default_configELb1EPKiPiPKlPlN2at6native12_GLOBAL__N_18offset_tEEE10hipError_tPvRmT1_PNSt15iterator_traitsISY_E10value_typeET2_T3_PNSZ_IS14_E10value_typeET4_jRbjT5_S1A_jjP12ihipStream_tbEUljE_EEESV_SW_SX_S14_S18_S1A_T6_T7_T9_mT8_S1C_bDpT10_ENKUlT_T0_E_clISt17integral_constantIbLb1EES1P_EEDaS1K_S1L_EUlS1K_E_NS1_11comp_targetILNS1_3genE9ELNS1_11target_archE1100ELNS1_3gpuE3ELNS1_3repE0EEENS1_30default_config_static_selectorELNS0_4arch9wavefront6targetE0EEEvSY_.numbered_sgpr, 0
	.set _ZN7rocprim17ROCPRIM_400000_NS6detail17trampoline_kernelINS0_13select_configILj256ELj13ELNS0_17block_load_methodE3ELS4_3ELS4_3ELNS0_20block_scan_algorithmE0ELj4294967295EEENS1_25partition_config_selectorILNS1_17partition_subalgoE3EjNS0_10empty_typeEbEEZZNS1_14partition_implILS8_3ELb0ES6_jNS0_17counting_iteratorIjlEEPS9_SE_NS0_5tupleIJPjSE_EEENSF_IJSE_SE_EEES9_SG_JZNS1_25segmented_radix_sort_implINS0_14default_configELb1EPKiPiPKlPlN2at6native12_GLOBAL__N_18offset_tEEE10hipError_tPvRmT1_PNSt15iterator_traitsISY_E10value_typeET2_T3_PNSZ_IS14_E10value_typeET4_jRbjT5_S1A_jjP12ihipStream_tbEUljE_EEESV_SW_SX_S14_S18_S1A_T6_T7_T9_mT8_S1C_bDpT10_ENKUlT_T0_E_clISt17integral_constantIbLb1EES1P_EEDaS1K_S1L_EUlS1K_E_NS1_11comp_targetILNS1_3genE9ELNS1_11target_archE1100ELNS1_3gpuE3ELNS1_3repE0EEENS1_30default_config_static_selectorELNS0_4arch9wavefront6targetE0EEEvSY_.num_named_barrier, 0
	.set _ZN7rocprim17ROCPRIM_400000_NS6detail17trampoline_kernelINS0_13select_configILj256ELj13ELNS0_17block_load_methodE3ELS4_3ELS4_3ELNS0_20block_scan_algorithmE0ELj4294967295EEENS1_25partition_config_selectorILNS1_17partition_subalgoE3EjNS0_10empty_typeEbEEZZNS1_14partition_implILS8_3ELb0ES6_jNS0_17counting_iteratorIjlEEPS9_SE_NS0_5tupleIJPjSE_EEENSF_IJSE_SE_EEES9_SG_JZNS1_25segmented_radix_sort_implINS0_14default_configELb1EPKiPiPKlPlN2at6native12_GLOBAL__N_18offset_tEEE10hipError_tPvRmT1_PNSt15iterator_traitsISY_E10value_typeET2_T3_PNSZ_IS14_E10value_typeET4_jRbjT5_S1A_jjP12ihipStream_tbEUljE_EEESV_SW_SX_S14_S18_S1A_T6_T7_T9_mT8_S1C_bDpT10_ENKUlT_T0_E_clISt17integral_constantIbLb1EES1P_EEDaS1K_S1L_EUlS1K_E_NS1_11comp_targetILNS1_3genE9ELNS1_11target_archE1100ELNS1_3gpuE3ELNS1_3repE0EEENS1_30default_config_static_selectorELNS0_4arch9wavefront6targetE0EEEvSY_.private_seg_size, 0
	.set _ZN7rocprim17ROCPRIM_400000_NS6detail17trampoline_kernelINS0_13select_configILj256ELj13ELNS0_17block_load_methodE3ELS4_3ELS4_3ELNS0_20block_scan_algorithmE0ELj4294967295EEENS1_25partition_config_selectorILNS1_17partition_subalgoE3EjNS0_10empty_typeEbEEZZNS1_14partition_implILS8_3ELb0ES6_jNS0_17counting_iteratorIjlEEPS9_SE_NS0_5tupleIJPjSE_EEENSF_IJSE_SE_EEES9_SG_JZNS1_25segmented_radix_sort_implINS0_14default_configELb1EPKiPiPKlPlN2at6native12_GLOBAL__N_18offset_tEEE10hipError_tPvRmT1_PNSt15iterator_traitsISY_E10value_typeET2_T3_PNSZ_IS14_E10value_typeET4_jRbjT5_S1A_jjP12ihipStream_tbEUljE_EEESV_SW_SX_S14_S18_S1A_T6_T7_T9_mT8_S1C_bDpT10_ENKUlT_T0_E_clISt17integral_constantIbLb1EES1P_EEDaS1K_S1L_EUlS1K_E_NS1_11comp_targetILNS1_3genE9ELNS1_11target_archE1100ELNS1_3gpuE3ELNS1_3repE0EEENS1_30default_config_static_selectorELNS0_4arch9wavefront6targetE0EEEvSY_.uses_vcc, 0
	.set _ZN7rocprim17ROCPRIM_400000_NS6detail17trampoline_kernelINS0_13select_configILj256ELj13ELNS0_17block_load_methodE3ELS4_3ELS4_3ELNS0_20block_scan_algorithmE0ELj4294967295EEENS1_25partition_config_selectorILNS1_17partition_subalgoE3EjNS0_10empty_typeEbEEZZNS1_14partition_implILS8_3ELb0ES6_jNS0_17counting_iteratorIjlEEPS9_SE_NS0_5tupleIJPjSE_EEENSF_IJSE_SE_EEES9_SG_JZNS1_25segmented_radix_sort_implINS0_14default_configELb1EPKiPiPKlPlN2at6native12_GLOBAL__N_18offset_tEEE10hipError_tPvRmT1_PNSt15iterator_traitsISY_E10value_typeET2_T3_PNSZ_IS14_E10value_typeET4_jRbjT5_S1A_jjP12ihipStream_tbEUljE_EEESV_SW_SX_S14_S18_S1A_T6_T7_T9_mT8_S1C_bDpT10_ENKUlT_T0_E_clISt17integral_constantIbLb1EES1P_EEDaS1K_S1L_EUlS1K_E_NS1_11comp_targetILNS1_3genE9ELNS1_11target_archE1100ELNS1_3gpuE3ELNS1_3repE0EEENS1_30default_config_static_selectorELNS0_4arch9wavefront6targetE0EEEvSY_.uses_flat_scratch, 0
	.set _ZN7rocprim17ROCPRIM_400000_NS6detail17trampoline_kernelINS0_13select_configILj256ELj13ELNS0_17block_load_methodE3ELS4_3ELS4_3ELNS0_20block_scan_algorithmE0ELj4294967295EEENS1_25partition_config_selectorILNS1_17partition_subalgoE3EjNS0_10empty_typeEbEEZZNS1_14partition_implILS8_3ELb0ES6_jNS0_17counting_iteratorIjlEEPS9_SE_NS0_5tupleIJPjSE_EEENSF_IJSE_SE_EEES9_SG_JZNS1_25segmented_radix_sort_implINS0_14default_configELb1EPKiPiPKlPlN2at6native12_GLOBAL__N_18offset_tEEE10hipError_tPvRmT1_PNSt15iterator_traitsISY_E10value_typeET2_T3_PNSZ_IS14_E10value_typeET4_jRbjT5_S1A_jjP12ihipStream_tbEUljE_EEESV_SW_SX_S14_S18_S1A_T6_T7_T9_mT8_S1C_bDpT10_ENKUlT_T0_E_clISt17integral_constantIbLb1EES1P_EEDaS1K_S1L_EUlS1K_E_NS1_11comp_targetILNS1_3genE9ELNS1_11target_archE1100ELNS1_3gpuE3ELNS1_3repE0EEENS1_30default_config_static_selectorELNS0_4arch9wavefront6targetE0EEEvSY_.has_dyn_sized_stack, 0
	.set _ZN7rocprim17ROCPRIM_400000_NS6detail17trampoline_kernelINS0_13select_configILj256ELj13ELNS0_17block_load_methodE3ELS4_3ELS4_3ELNS0_20block_scan_algorithmE0ELj4294967295EEENS1_25partition_config_selectorILNS1_17partition_subalgoE3EjNS0_10empty_typeEbEEZZNS1_14partition_implILS8_3ELb0ES6_jNS0_17counting_iteratorIjlEEPS9_SE_NS0_5tupleIJPjSE_EEENSF_IJSE_SE_EEES9_SG_JZNS1_25segmented_radix_sort_implINS0_14default_configELb1EPKiPiPKlPlN2at6native12_GLOBAL__N_18offset_tEEE10hipError_tPvRmT1_PNSt15iterator_traitsISY_E10value_typeET2_T3_PNSZ_IS14_E10value_typeET4_jRbjT5_S1A_jjP12ihipStream_tbEUljE_EEESV_SW_SX_S14_S18_S1A_T6_T7_T9_mT8_S1C_bDpT10_ENKUlT_T0_E_clISt17integral_constantIbLb1EES1P_EEDaS1K_S1L_EUlS1K_E_NS1_11comp_targetILNS1_3genE9ELNS1_11target_archE1100ELNS1_3gpuE3ELNS1_3repE0EEENS1_30default_config_static_selectorELNS0_4arch9wavefront6targetE0EEEvSY_.has_recursion, 0
	.set _ZN7rocprim17ROCPRIM_400000_NS6detail17trampoline_kernelINS0_13select_configILj256ELj13ELNS0_17block_load_methodE3ELS4_3ELS4_3ELNS0_20block_scan_algorithmE0ELj4294967295EEENS1_25partition_config_selectorILNS1_17partition_subalgoE3EjNS0_10empty_typeEbEEZZNS1_14partition_implILS8_3ELb0ES6_jNS0_17counting_iteratorIjlEEPS9_SE_NS0_5tupleIJPjSE_EEENSF_IJSE_SE_EEES9_SG_JZNS1_25segmented_radix_sort_implINS0_14default_configELb1EPKiPiPKlPlN2at6native12_GLOBAL__N_18offset_tEEE10hipError_tPvRmT1_PNSt15iterator_traitsISY_E10value_typeET2_T3_PNSZ_IS14_E10value_typeET4_jRbjT5_S1A_jjP12ihipStream_tbEUljE_EEESV_SW_SX_S14_S18_S1A_T6_T7_T9_mT8_S1C_bDpT10_ENKUlT_T0_E_clISt17integral_constantIbLb1EES1P_EEDaS1K_S1L_EUlS1K_E_NS1_11comp_targetILNS1_3genE9ELNS1_11target_archE1100ELNS1_3gpuE3ELNS1_3repE0EEENS1_30default_config_static_selectorELNS0_4arch9wavefront6targetE0EEEvSY_.has_indirect_call, 0
	.section	.AMDGPU.csdata,"",@progbits
; Kernel info:
; codeLenInByte = 0
; TotalNumSgprs: 0
; NumVgprs: 0
; ScratchSize: 0
; MemoryBound: 0
; FloatMode: 240
; IeeeMode: 1
; LDSByteSize: 0 bytes/workgroup (compile time only)
; SGPRBlocks: 0
; VGPRBlocks: 0
; NumSGPRsForWavesPerEU: 1
; NumVGPRsForWavesPerEU: 1
; Occupancy: 16
; WaveLimiterHint : 0
; COMPUTE_PGM_RSRC2:SCRATCH_EN: 0
; COMPUTE_PGM_RSRC2:USER_SGPR: 2
; COMPUTE_PGM_RSRC2:TRAP_HANDLER: 0
; COMPUTE_PGM_RSRC2:TGID_X_EN: 1
; COMPUTE_PGM_RSRC2:TGID_Y_EN: 0
; COMPUTE_PGM_RSRC2:TGID_Z_EN: 0
; COMPUTE_PGM_RSRC2:TIDIG_COMP_CNT: 0
	.section	.text._ZN7rocprim17ROCPRIM_400000_NS6detail17trampoline_kernelINS0_13select_configILj256ELj13ELNS0_17block_load_methodE3ELS4_3ELS4_3ELNS0_20block_scan_algorithmE0ELj4294967295EEENS1_25partition_config_selectorILNS1_17partition_subalgoE3EjNS0_10empty_typeEbEEZZNS1_14partition_implILS8_3ELb0ES6_jNS0_17counting_iteratorIjlEEPS9_SE_NS0_5tupleIJPjSE_EEENSF_IJSE_SE_EEES9_SG_JZNS1_25segmented_radix_sort_implINS0_14default_configELb1EPKiPiPKlPlN2at6native12_GLOBAL__N_18offset_tEEE10hipError_tPvRmT1_PNSt15iterator_traitsISY_E10value_typeET2_T3_PNSZ_IS14_E10value_typeET4_jRbjT5_S1A_jjP12ihipStream_tbEUljE_EEESV_SW_SX_S14_S18_S1A_T6_T7_T9_mT8_S1C_bDpT10_ENKUlT_T0_E_clISt17integral_constantIbLb1EES1P_EEDaS1K_S1L_EUlS1K_E_NS1_11comp_targetILNS1_3genE8ELNS1_11target_archE1030ELNS1_3gpuE2ELNS1_3repE0EEENS1_30default_config_static_selectorELNS0_4arch9wavefront6targetE0EEEvSY_,"axG",@progbits,_ZN7rocprim17ROCPRIM_400000_NS6detail17trampoline_kernelINS0_13select_configILj256ELj13ELNS0_17block_load_methodE3ELS4_3ELS4_3ELNS0_20block_scan_algorithmE0ELj4294967295EEENS1_25partition_config_selectorILNS1_17partition_subalgoE3EjNS0_10empty_typeEbEEZZNS1_14partition_implILS8_3ELb0ES6_jNS0_17counting_iteratorIjlEEPS9_SE_NS0_5tupleIJPjSE_EEENSF_IJSE_SE_EEES9_SG_JZNS1_25segmented_radix_sort_implINS0_14default_configELb1EPKiPiPKlPlN2at6native12_GLOBAL__N_18offset_tEEE10hipError_tPvRmT1_PNSt15iterator_traitsISY_E10value_typeET2_T3_PNSZ_IS14_E10value_typeET4_jRbjT5_S1A_jjP12ihipStream_tbEUljE_EEESV_SW_SX_S14_S18_S1A_T6_T7_T9_mT8_S1C_bDpT10_ENKUlT_T0_E_clISt17integral_constantIbLb1EES1P_EEDaS1K_S1L_EUlS1K_E_NS1_11comp_targetILNS1_3genE8ELNS1_11target_archE1030ELNS1_3gpuE2ELNS1_3repE0EEENS1_30default_config_static_selectorELNS0_4arch9wavefront6targetE0EEEvSY_,comdat
	.globl	_ZN7rocprim17ROCPRIM_400000_NS6detail17trampoline_kernelINS0_13select_configILj256ELj13ELNS0_17block_load_methodE3ELS4_3ELS4_3ELNS0_20block_scan_algorithmE0ELj4294967295EEENS1_25partition_config_selectorILNS1_17partition_subalgoE3EjNS0_10empty_typeEbEEZZNS1_14partition_implILS8_3ELb0ES6_jNS0_17counting_iteratorIjlEEPS9_SE_NS0_5tupleIJPjSE_EEENSF_IJSE_SE_EEES9_SG_JZNS1_25segmented_radix_sort_implINS0_14default_configELb1EPKiPiPKlPlN2at6native12_GLOBAL__N_18offset_tEEE10hipError_tPvRmT1_PNSt15iterator_traitsISY_E10value_typeET2_T3_PNSZ_IS14_E10value_typeET4_jRbjT5_S1A_jjP12ihipStream_tbEUljE_EEESV_SW_SX_S14_S18_S1A_T6_T7_T9_mT8_S1C_bDpT10_ENKUlT_T0_E_clISt17integral_constantIbLb1EES1P_EEDaS1K_S1L_EUlS1K_E_NS1_11comp_targetILNS1_3genE8ELNS1_11target_archE1030ELNS1_3gpuE2ELNS1_3repE0EEENS1_30default_config_static_selectorELNS0_4arch9wavefront6targetE0EEEvSY_ ; -- Begin function _ZN7rocprim17ROCPRIM_400000_NS6detail17trampoline_kernelINS0_13select_configILj256ELj13ELNS0_17block_load_methodE3ELS4_3ELS4_3ELNS0_20block_scan_algorithmE0ELj4294967295EEENS1_25partition_config_selectorILNS1_17partition_subalgoE3EjNS0_10empty_typeEbEEZZNS1_14partition_implILS8_3ELb0ES6_jNS0_17counting_iteratorIjlEEPS9_SE_NS0_5tupleIJPjSE_EEENSF_IJSE_SE_EEES9_SG_JZNS1_25segmented_radix_sort_implINS0_14default_configELb1EPKiPiPKlPlN2at6native12_GLOBAL__N_18offset_tEEE10hipError_tPvRmT1_PNSt15iterator_traitsISY_E10value_typeET2_T3_PNSZ_IS14_E10value_typeET4_jRbjT5_S1A_jjP12ihipStream_tbEUljE_EEESV_SW_SX_S14_S18_S1A_T6_T7_T9_mT8_S1C_bDpT10_ENKUlT_T0_E_clISt17integral_constantIbLb1EES1P_EEDaS1K_S1L_EUlS1K_E_NS1_11comp_targetILNS1_3genE8ELNS1_11target_archE1030ELNS1_3gpuE2ELNS1_3repE0EEENS1_30default_config_static_selectorELNS0_4arch9wavefront6targetE0EEEvSY_
	.p2align	8
	.type	_ZN7rocprim17ROCPRIM_400000_NS6detail17trampoline_kernelINS0_13select_configILj256ELj13ELNS0_17block_load_methodE3ELS4_3ELS4_3ELNS0_20block_scan_algorithmE0ELj4294967295EEENS1_25partition_config_selectorILNS1_17partition_subalgoE3EjNS0_10empty_typeEbEEZZNS1_14partition_implILS8_3ELb0ES6_jNS0_17counting_iteratorIjlEEPS9_SE_NS0_5tupleIJPjSE_EEENSF_IJSE_SE_EEES9_SG_JZNS1_25segmented_radix_sort_implINS0_14default_configELb1EPKiPiPKlPlN2at6native12_GLOBAL__N_18offset_tEEE10hipError_tPvRmT1_PNSt15iterator_traitsISY_E10value_typeET2_T3_PNSZ_IS14_E10value_typeET4_jRbjT5_S1A_jjP12ihipStream_tbEUljE_EEESV_SW_SX_S14_S18_S1A_T6_T7_T9_mT8_S1C_bDpT10_ENKUlT_T0_E_clISt17integral_constantIbLb1EES1P_EEDaS1K_S1L_EUlS1K_E_NS1_11comp_targetILNS1_3genE8ELNS1_11target_archE1030ELNS1_3gpuE2ELNS1_3repE0EEENS1_30default_config_static_selectorELNS0_4arch9wavefront6targetE0EEEvSY_,@function
_ZN7rocprim17ROCPRIM_400000_NS6detail17trampoline_kernelINS0_13select_configILj256ELj13ELNS0_17block_load_methodE3ELS4_3ELS4_3ELNS0_20block_scan_algorithmE0ELj4294967295EEENS1_25partition_config_selectorILNS1_17partition_subalgoE3EjNS0_10empty_typeEbEEZZNS1_14partition_implILS8_3ELb0ES6_jNS0_17counting_iteratorIjlEEPS9_SE_NS0_5tupleIJPjSE_EEENSF_IJSE_SE_EEES9_SG_JZNS1_25segmented_radix_sort_implINS0_14default_configELb1EPKiPiPKlPlN2at6native12_GLOBAL__N_18offset_tEEE10hipError_tPvRmT1_PNSt15iterator_traitsISY_E10value_typeET2_T3_PNSZ_IS14_E10value_typeET4_jRbjT5_S1A_jjP12ihipStream_tbEUljE_EEESV_SW_SX_S14_S18_S1A_T6_T7_T9_mT8_S1C_bDpT10_ENKUlT_T0_E_clISt17integral_constantIbLb1EES1P_EEDaS1K_S1L_EUlS1K_E_NS1_11comp_targetILNS1_3genE8ELNS1_11target_archE1030ELNS1_3gpuE2ELNS1_3repE0EEENS1_30default_config_static_selectorELNS0_4arch9wavefront6targetE0EEEvSY_: ; @_ZN7rocprim17ROCPRIM_400000_NS6detail17trampoline_kernelINS0_13select_configILj256ELj13ELNS0_17block_load_methodE3ELS4_3ELS4_3ELNS0_20block_scan_algorithmE0ELj4294967295EEENS1_25partition_config_selectorILNS1_17partition_subalgoE3EjNS0_10empty_typeEbEEZZNS1_14partition_implILS8_3ELb0ES6_jNS0_17counting_iteratorIjlEEPS9_SE_NS0_5tupleIJPjSE_EEENSF_IJSE_SE_EEES9_SG_JZNS1_25segmented_radix_sort_implINS0_14default_configELb1EPKiPiPKlPlN2at6native12_GLOBAL__N_18offset_tEEE10hipError_tPvRmT1_PNSt15iterator_traitsISY_E10value_typeET2_T3_PNSZ_IS14_E10value_typeET4_jRbjT5_S1A_jjP12ihipStream_tbEUljE_EEESV_SW_SX_S14_S18_S1A_T6_T7_T9_mT8_S1C_bDpT10_ENKUlT_T0_E_clISt17integral_constantIbLb1EES1P_EEDaS1K_S1L_EUlS1K_E_NS1_11comp_targetILNS1_3genE8ELNS1_11target_archE1030ELNS1_3gpuE2ELNS1_3repE0EEENS1_30default_config_static_selectorELNS0_4arch9wavefront6targetE0EEEvSY_
; %bb.0:
	.section	.rodata,"a",@progbits
	.p2align	6, 0x0
	.amdhsa_kernel _ZN7rocprim17ROCPRIM_400000_NS6detail17trampoline_kernelINS0_13select_configILj256ELj13ELNS0_17block_load_methodE3ELS4_3ELS4_3ELNS0_20block_scan_algorithmE0ELj4294967295EEENS1_25partition_config_selectorILNS1_17partition_subalgoE3EjNS0_10empty_typeEbEEZZNS1_14partition_implILS8_3ELb0ES6_jNS0_17counting_iteratorIjlEEPS9_SE_NS0_5tupleIJPjSE_EEENSF_IJSE_SE_EEES9_SG_JZNS1_25segmented_radix_sort_implINS0_14default_configELb1EPKiPiPKlPlN2at6native12_GLOBAL__N_18offset_tEEE10hipError_tPvRmT1_PNSt15iterator_traitsISY_E10value_typeET2_T3_PNSZ_IS14_E10value_typeET4_jRbjT5_S1A_jjP12ihipStream_tbEUljE_EEESV_SW_SX_S14_S18_S1A_T6_T7_T9_mT8_S1C_bDpT10_ENKUlT_T0_E_clISt17integral_constantIbLb1EES1P_EEDaS1K_S1L_EUlS1K_E_NS1_11comp_targetILNS1_3genE8ELNS1_11target_archE1030ELNS1_3gpuE2ELNS1_3repE0EEENS1_30default_config_static_selectorELNS0_4arch9wavefront6targetE0EEEvSY_
		.amdhsa_group_segment_fixed_size 0
		.amdhsa_private_segment_fixed_size 0
		.amdhsa_kernarg_size 152
		.amdhsa_user_sgpr_count 2
		.amdhsa_user_sgpr_dispatch_ptr 0
		.amdhsa_user_sgpr_queue_ptr 0
		.amdhsa_user_sgpr_kernarg_segment_ptr 1
		.amdhsa_user_sgpr_dispatch_id 0
		.amdhsa_user_sgpr_private_segment_size 0
		.amdhsa_wavefront_size32 1
		.amdhsa_uses_dynamic_stack 0
		.amdhsa_enable_private_segment 0
		.amdhsa_system_sgpr_workgroup_id_x 1
		.amdhsa_system_sgpr_workgroup_id_y 0
		.amdhsa_system_sgpr_workgroup_id_z 0
		.amdhsa_system_sgpr_workgroup_info 0
		.amdhsa_system_vgpr_workitem_id 0
		.amdhsa_next_free_vgpr 1
		.amdhsa_next_free_sgpr 1
		.amdhsa_reserve_vcc 0
		.amdhsa_float_round_mode_32 0
		.amdhsa_float_round_mode_16_64 0
		.amdhsa_float_denorm_mode_32 3
		.amdhsa_float_denorm_mode_16_64 3
		.amdhsa_fp16_overflow 0
		.amdhsa_workgroup_processor_mode 1
		.amdhsa_memory_ordered 1
		.amdhsa_forward_progress 1
		.amdhsa_inst_pref_size 0
		.amdhsa_round_robin_scheduling 0
		.amdhsa_exception_fp_ieee_invalid_op 0
		.amdhsa_exception_fp_denorm_src 0
		.amdhsa_exception_fp_ieee_div_zero 0
		.amdhsa_exception_fp_ieee_overflow 0
		.amdhsa_exception_fp_ieee_underflow 0
		.amdhsa_exception_fp_ieee_inexact 0
		.amdhsa_exception_int_div_zero 0
	.end_amdhsa_kernel
	.section	.text._ZN7rocprim17ROCPRIM_400000_NS6detail17trampoline_kernelINS0_13select_configILj256ELj13ELNS0_17block_load_methodE3ELS4_3ELS4_3ELNS0_20block_scan_algorithmE0ELj4294967295EEENS1_25partition_config_selectorILNS1_17partition_subalgoE3EjNS0_10empty_typeEbEEZZNS1_14partition_implILS8_3ELb0ES6_jNS0_17counting_iteratorIjlEEPS9_SE_NS0_5tupleIJPjSE_EEENSF_IJSE_SE_EEES9_SG_JZNS1_25segmented_radix_sort_implINS0_14default_configELb1EPKiPiPKlPlN2at6native12_GLOBAL__N_18offset_tEEE10hipError_tPvRmT1_PNSt15iterator_traitsISY_E10value_typeET2_T3_PNSZ_IS14_E10value_typeET4_jRbjT5_S1A_jjP12ihipStream_tbEUljE_EEESV_SW_SX_S14_S18_S1A_T6_T7_T9_mT8_S1C_bDpT10_ENKUlT_T0_E_clISt17integral_constantIbLb1EES1P_EEDaS1K_S1L_EUlS1K_E_NS1_11comp_targetILNS1_3genE8ELNS1_11target_archE1030ELNS1_3gpuE2ELNS1_3repE0EEENS1_30default_config_static_selectorELNS0_4arch9wavefront6targetE0EEEvSY_,"axG",@progbits,_ZN7rocprim17ROCPRIM_400000_NS6detail17trampoline_kernelINS0_13select_configILj256ELj13ELNS0_17block_load_methodE3ELS4_3ELS4_3ELNS0_20block_scan_algorithmE0ELj4294967295EEENS1_25partition_config_selectorILNS1_17partition_subalgoE3EjNS0_10empty_typeEbEEZZNS1_14partition_implILS8_3ELb0ES6_jNS0_17counting_iteratorIjlEEPS9_SE_NS0_5tupleIJPjSE_EEENSF_IJSE_SE_EEES9_SG_JZNS1_25segmented_radix_sort_implINS0_14default_configELb1EPKiPiPKlPlN2at6native12_GLOBAL__N_18offset_tEEE10hipError_tPvRmT1_PNSt15iterator_traitsISY_E10value_typeET2_T3_PNSZ_IS14_E10value_typeET4_jRbjT5_S1A_jjP12ihipStream_tbEUljE_EEESV_SW_SX_S14_S18_S1A_T6_T7_T9_mT8_S1C_bDpT10_ENKUlT_T0_E_clISt17integral_constantIbLb1EES1P_EEDaS1K_S1L_EUlS1K_E_NS1_11comp_targetILNS1_3genE8ELNS1_11target_archE1030ELNS1_3gpuE2ELNS1_3repE0EEENS1_30default_config_static_selectorELNS0_4arch9wavefront6targetE0EEEvSY_,comdat
.Lfunc_end480:
	.size	_ZN7rocprim17ROCPRIM_400000_NS6detail17trampoline_kernelINS0_13select_configILj256ELj13ELNS0_17block_load_methodE3ELS4_3ELS4_3ELNS0_20block_scan_algorithmE0ELj4294967295EEENS1_25partition_config_selectorILNS1_17partition_subalgoE3EjNS0_10empty_typeEbEEZZNS1_14partition_implILS8_3ELb0ES6_jNS0_17counting_iteratorIjlEEPS9_SE_NS0_5tupleIJPjSE_EEENSF_IJSE_SE_EEES9_SG_JZNS1_25segmented_radix_sort_implINS0_14default_configELb1EPKiPiPKlPlN2at6native12_GLOBAL__N_18offset_tEEE10hipError_tPvRmT1_PNSt15iterator_traitsISY_E10value_typeET2_T3_PNSZ_IS14_E10value_typeET4_jRbjT5_S1A_jjP12ihipStream_tbEUljE_EEESV_SW_SX_S14_S18_S1A_T6_T7_T9_mT8_S1C_bDpT10_ENKUlT_T0_E_clISt17integral_constantIbLb1EES1P_EEDaS1K_S1L_EUlS1K_E_NS1_11comp_targetILNS1_3genE8ELNS1_11target_archE1030ELNS1_3gpuE2ELNS1_3repE0EEENS1_30default_config_static_selectorELNS0_4arch9wavefront6targetE0EEEvSY_, .Lfunc_end480-_ZN7rocprim17ROCPRIM_400000_NS6detail17trampoline_kernelINS0_13select_configILj256ELj13ELNS0_17block_load_methodE3ELS4_3ELS4_3ELNS0_20block_scan_algorithmE0ELj4294967295EEENS1_25partition_config_selectorILNS1_17partition_subalgoE3EjNS0_10empty_typeEbEEZZNS1_14partition_implILS8_3ELb0ES6_jNS0_17counting_iteratorIjlEEPS9_SE_NS0_5tupleIJPjSE_EEENSF_IJSE_SE_EEES9_SG_JZNS1_25segmented_radix_sort_implINS0_14default_configELb1EPKiPiPKlPlN2at6native12_GLOBAL__N_18offset_tEEE10hipError_tPvRmT1_PNSt15iterator_traitsISY_E10value_typeET2_T3_PNSZ_IS14_E10value_typeET4_jRbjT5_S1A_jjP12ihipStream_tbEUljE_EEESV_SW_SX_S14_S18_S1A_T6_T7_T9_mT8_S1C_bDpT10_ENKUlT_T0_E_clISt17integral_constantIbLb1EES1P_EEDaS1K_S1L_EUlS1K_E_NS1_11comp_targetILNS1_3genE8ELNS1_11target_archE1030ELNS1_3gpuE2ELNS1_3repE0EEENS1_30default_config_static_selectorELNS0_4arch9wavefront6targetE0EEEvSY_
                                        ; -- End function
	.set _ZN7rocprim17ROCPRIM_400000_NS6detail17trampoline_kernelINS0_13select_configILj256ELj13ELNS0_17block_load_methodE3ELS4_3ELS4_3ELNS0_20block_scan_algorithmE0ELj4294967295EEENS1_25partition_config_selectorILNS1_17partition_subalgoE3EjNS0_10empty_typeEbEEZZNS1_14partition_implILS8_3ELb0ES6_jNS0_17counting_iteratorIjlEEPS9_SE_NS0_5tupleIJPjSE_EEENSF_IJSE_SE_EEES9_SG_JZNS1_25segmented_radix_sort_implINS0_14default_configELb1EPKiPiPKlPlN2at6native12_GLOBAL__N_18offset_tEEE10hipError_tPvRmT1_PNSt15iterator_traitsISY_E10value_typeET2_T3_PNSZ_IS14_E10value_typeET4_jRbjT5_S1A_jjP12ihipStream_tbEUljE_EEESV_SW_SX_S14_S18_S1A_T6_T7_T9_mT8_S1C_bDpT10_ENKUlT_T0_E_clISt17integral_constantIbLb1EES1P_EEDaS1K_S1L_EUlS1K_E_NS1_11comp_targetILNS1_3genE8ELNS1_11target_archE1030ELNS1_3gpuE2ELNS1_3repE0EEENS1_30default_config_static_selectorELNS0_4arch9wavefront6targetE0EEEvSY_.num_vgpr, 0
	.set _ZN7rocprim17ROCPRIM_400000_NS6detail17trampoline_kernelINS0_13select_configILj256ELj13ELNS0_17block_load_methodE3ELS4_3ELS4_3ELNS0_20block_scan_algorithmE0ELj4294967295EEENS1_25partition_config_selectorILNS1_17partition_subalgoE3EjNS0_10empty_typeEbEEZZNS1_14partition_implILS8_3ELb0ES6_jNS0_17counting_iteratorIjlEEPS9_SE_NS0_5tupleIJPjSE_EEENSF_IJSE_SE_EEES9_SG_JZNS1_25segmented_radix_sort_implINS0_14default_configELb1EPKiPiPKlPlN2at6native12_GLOBAL__N_18offset_tEEE10hipError_tPvRmT1_PNSt15iterator_traitsISY_E10value_typeET2_T3_PNSZ_IS14_E10value_typeET4_jRbjT5_S1A_jjP12ihipStream_tbEUljE_EEESV_SW_SX_S14_S18_S1A_T6_T7_T9_mT8_S1C_bDpT10_ENKUlT_T0_E_clISt17integral_constantIbLb1EES1P_EEDaS1K_S1L_EUlS1K_E_NS1_11comp_targetILNS1_3genE8ELNS1_11target_archE1030ELNS1_3gpuE2ELNS1_3repE0EEENS1_30default_config_static_selectorELNS0_4arch9wavefront6targetE0EEEvSY_.num_agpr, 0
	.set _ZN7rocprim17ROCPRIM_400000_NS6detail17trampoline_kernelINS0_13select_configILj256ELj13ELNS0_17block_load_methodE3ELS4_3ELS4_3ELNS0_20block_scan_algorithmE0ELj4294967295EEENS1_25partition_config_selectorILNS1_17partition_subalgoE3EjNS0_10empty_typeEbEEZZNS1_14partition_implILS8_3ELb0ES6_jNS0_17counting_iteratorIjlEEPS9_SE_NS0_5tupleIJPjSE_EEENSF_IJSE_SE_EEES9_SG_JZNS1_25segmented_radix_sort_implINS0_14default_configELb1EPKiPiPKlPlN2at6native12_GLOBAL__N_18offset_tEEE10hipError_tPvRmT1_PNSt15iterator_traitsISY_E10value_typeET2_T3_PNSZ_IS14_E10value_typeET4_jRbjT5_S1A_jjP12ihipStream_tbEUljE_EEESV_SW_SX_S14_S18_S1A_T6_T7_T9_mT8_S1C_bDpT10_ENKUlT_T0_E_clISt17integral_constantIbLb1EES1P_EEDaS1K_S1L_EUlS1K_E_NS1_11comp_targetILNS1_3genE8ELNS1_11target_archE1030ELNS1_3gpuE2ELNS1_3repE0EEENS1_30default_config_static_selectorELNS0_4arch9wavefront6targetE0EEEvSY_.numbered_sgpr, 0
	.set _ZN7rocprim17ROCPRIM_400000_NS6detail17trampoline_kernelINS0_13select_configILj256ELj13ELNS0_17block_load_methodE3ELS4_3ELS4_3ELNS0_20block_scan_algorithmE0ELj4294967295EEENS1_25partition_config_selectorILNS1_17partition_subalgoE3EjNS0_10empty_typeEbEEZZNS1_14partition_implILS8_3ELb0ES6_jNS0_17counting_iteratorIjlEEPS9_SE_NS0_5tupleIJPjSE_EEENSF_IJSE_SE_EEES9_SG_JZNS1_25segmented_radix_sort_implINS0_14default_configELb1EPKiPiPKlPlN2at6native12_GLOBAL__N_18offset_tEEE10hipError_tPvRmT1_PNSt15iterator_traitsISY_E10value_typeET2_T3_PNSZ_IS14_E10value_typeET4_jRbjT5_S1A_jjP12ihipStream_tbEUljE_EEESV_SW_SX_S14_S18_S1A_T6_T7_T9_mT8_S1C_bDpT10_ENKUlT_T0_E_clISt17integral_constantIbLb1EES1P_EEDaS1K_S1L_EUlS1K_E_NS1_11comp_targetILNS1_3genE8ELNS1_11target_archE1030ELNS1_3gpuE2ELNS1_3repE0EEENS1_30default_config_static_selectorELNS0_4arch9wavefront6targetE0EEEvSY_.num_named_barrier, 0
	.set _ZN7rocprim17ROCPRIM_400000_NS6detail17trampoline_kernelINS0_13select_configILj256ELj13ELNS0_17block_load_methodE3ELS4_3ELS4_3ELNS0_20block_scan_algorithmE0ELj4294967295EEENS1_25partition_config_selectorILNS1_17partition_subalgoE3EjNS0_10empty_typeEbEEZZNS1_14partition_implILS8_3ELb0ES6_jNS0_17counting_iteratorIjlEEPS9_SE_NS0_5tupleIJPjSE_EEENSF_IJSE_SE_EEES9_SG_JZNS1_25segmented_radix_sort_implINS0_14default_configELb1EPKiPiPKlPlN2at6native12_GLOBAL__N_18offset_tEEE10hipError_tPvRmT1_PNSt15iterator_traitsISY_E10value_typeET2_T3_PNSZ_IS14_E10value_typeET4_jRbjT5_S1A_jjP12ihipStream_tbEUljE_EEESV_SW_SX_S14_S18_S1A_T6_T7_T9_mT8_S1C_bDpT10_ENKUlT_T0_E_clISt17integral_constantIbLb1EES1P_EEDaS1K_S1L_EUlS1K_E_NS1_11comp_targetILNS1_3genE8ELNS1_11target_archE1030ELNS1_3gpuE2ELNS1_3repE0EEENS1_30default_config_static_selectorELNS0_4arch9wavefront6targetE0EEEvSY_.private_seg_size, 0
	.set _ZN7rocprim17ROCPRIM_400000_NS6detail17trampoline_kernelINS0_13select_configILj256ELj13ELNS0_17block_load_methodE3ELS4_3ELS4_3ELNS0_20block_scan_algorithmE0ELj4294967295EEENS1_25partition_config_selectorILNS1_17partition_subalgoE3EjNS0_10empty_typeEbEEZZNS1_14partition_implILS8_3ELb0ES6_jNS0_17counting_iteratorIjlEEPS9_SE_NS0_5tupleIJPjSE_EEENSF_IJSE_SE_EEES9_SG_JZNS1_25segmented_radix_sort_implINS0_14default_configELb1EPKiPiPKlPlN2at6native12_GLOBAL__N_18offset_tEEE10hipError_tPvRmT1_PNSt15iterator_traitsISY_E10value_typeET2_T3_PNSZ_IS14_E10value_typeET4_jRbjT5_S1A_jjP12ihipStream_tbEUljE_EEESV_SW_SX_S14_S18_S1A_T6_T7_T9_mT8_S1C_bDpT10_ENKUlT_T0_E_clISt17integral_constantIbLb1EES1P_EEDaS1K_S1L_EUlS1K_E_NS1_11comp_targetILNS1_3genE8ELNS1_11target_archE1030ELNS1_3gpuE2ELNS1_3repE0EEENS1_30default_config_static_selectorELNS0_4arch9wavefront6targetE0EEEvSY_.uses_vcc, 0
	.set _ZN7rocprim17ROCPRIM_400000_NS6detail17trampoline_kernelINS0_13select_configILj256ELj13ELNS0_17block_load_methodE3ELS4_3ELS4_3ELNS0_20block_scan_algorithmE0ELj4294967295EEENS1_25partition_config_selectorILNS1_17partition_subalgoE3EjNS0_10empty_typeEbEEZZNS1_14partition_implILS8_3ELb0ES6_jNS0_17counting_iteratorIjlEEPS9_SE_NS0_5tupleIJPjSE_EEENSF_IJSE_SE_EEES9_SG_JZNS1_25segmented_radix_sort_implINS0_14default_configELb1EPKiPiPKlPlN2at6native12_GLOBAL__N_18offset_tEEE10hipError_tPvRmT1_PNSt15iterator_traitsISY_E10value_typeET2_T3_PNSZ_IS14_E10value_typeET4_jRbjT5_S1A_jjP12ihipStream_tbEUljE_EEESV_SW_SX_S14_S18_S1A_T6_T7_T9_mT8_S1C_bDpT10_ENKUlT_T0_E_clISt17integral_constantIbLb1EES1P_EEDaS1K_S1L_EUlS1K_E_NS1_11comp_targetILNS1_3genE8ELNS1_11target_archE1030ELNS1_3gpuE2ELNS1_3repE0EEENS1_30default_config_static_selectorELNS0_4arch9wavefront6targetE0EEEvSY_.uses_flat_scratch, 0
	.set _ZN7rocprim17ROCPRIM_400000_NS6detail17trampoline_kernelINS0_13select_configILj256ELj13ELNS0_17block_load_methodE3ELS4_3ELS4_3ELNS0_20block_scan_algorithmE0ELj4294967295EEENS1_25partition_config_selectorILNS1_17partition_subalgoE3EjNS0_10empty_typeEbEEZZNS1_14partition_implILS8_3ELb0ES6_jNS0_17counting_iteratorIjlEEPS9_SE_NS0_5tupleIJPjSE_EEENSF_IJSE_SE_EEES9_SG_JZNS1_25segmented_radix_sort_implINS0_14default_configELb1EPKiPiPKlPlN2at6native12_GLOBAL__N_18offset_tEEE10hipError_tPvRmT1_PNSt15iterator_traitsISY_E10value_typeET2_T3_PNSZ_IS14_E10value_typeET4_jRbjT5_S1A_jjP12ihipStream_tbEUljE_EEESV_SW_SX_S14_S18_S1A_T6_T7_T9_mT8_S1C_bDpT10_ENKUlT_T0_E_clISt17integral_constantIbLb1EES1P_EEDaS1K_S1L_EUlS1K_E_NS1_11comp_targetILNS1_3genE8ELNS1_11target_archE1030ELNS1_3gpuE2ELNS1_3repE0EEENS1_30default_config_static_selectorELNS0_4arch9wavefront6targetE0EEEvSY_.has_dyn_sized_stack, 0
	.set _ZN7rocprim17ROCPRIM_400000_NS6detail17trampoline_kernelINS0_13select_configILj256ELj13ELNS0_17block_load_methodE3ELS4_3ELS4_3ELNS0_20block_scan_algorithmE0ELj4294967295EEENS1_25partition_config_selectorILNS1_17partition_subalgoE3EjNS0_10empty_typeEbEEZZNS1_14partition_implILS8_3ELb0ES6_jNS0_17counting_iteratorIjlEEPS9_SE_NS0_5tupleIJPjSE_EEENSF_IJSE_SE_EEES9_SG_JZNS1_25segmented_radix_sort_implINS0_14default_configELb1EPKiPiPKlPlN2at6native12_GLOBAL__N_18offset_tEEE10hipError_tPvRmT1_PNSt15iterator_traitsISY_E10value_typeET2_T3_PNSZ_IS14_E10value_typeET4_jRbjT5_S1A_jjP12ihipStream_tbEUljE_EEESV_SW_SX_S14_S18_S1A_T6_T7_T9_mT8_S1C_bDpT10_ENKUlT_T0_E_clISt17integral_constantIbLb1EES1P_EEDaS1K_S1L_EUlS1K_E_NS1_11comp_targetILNS1_3genE8ELNS1_11target_archE1030ELNS1_3gpuE2ELNS1_3repE0EEENS1_30default_config_static_selectorELNS0_4arch9wavefront6targetE0EEEvSY_.has_recursion, 0
	.set _ZN7rocprim17ROCPRIM_400000_NS6detail17trampoline_kernelINS0_13select_configILj256ELj13ELNS0_17block_load_methodE3ELS4_3ELS4_3ELNS0_20block_scan_algorithmE0ELj4294967295EEENS1_25partition_config_selectorILNS1_17partition_subalgoE3EjNS0_10empty_typeEbEEZZNS1_14partition_implILS8_3ELb0ES6_jNS0_17counting_iteratorIjlEEPS9_SE_NS0_5tupleIJPjSE_EEENSF_IJSE_SE_EEES9_SG_JZNS1_25segmented_radix_sort_implINS0_14default_configELb1EPKiPiPKlPlN2at6native12_GLOBAL__N_18offset_tEEE10hipError_tPvRmT1_PNSt15iterator_traitsISY_E10value_typeET2_T3_PNSZ_IS14_E10value_typeET4_jRbjT5_S1A_jjP12ihipStream_tbEUljE_EEESV_SW_SX_S14_S18_S1A_T6_T7_T9_mT8_S1C_bDpT10_ENKUlT_T0_E_clISt17integral_constantIbLb1EES1P_EEDaS1K_S1L_EUlS1K_E_NS1_11comp_targetILNS1_3genE8ELNS1_11target_archE1030ELNS1_3gpuE2ELNS1_3repE0EEENS1_30default_config_static_selectorELNS0_4arch9wavefront6targetE0EEEvSY_.has_indirect_call, 0
	.section	.AMDGPU.csdata,"",@progbits
; Kernel info:
; codeLenInByte = 0
; TotalNumSgprs: 0
; NumVgprs: 0
; ScratchSize: 0
; MemoryBound: 0
; FloatMode: 240
; IeeeMode: 1
; LDSByteSize: 0 bytes/workgroup (compile time only)
; SGPRBlocks: 0
; VGPRBlocks: 0
; NumSGPRsForWavesPerEU: 1
; NumVGPRsForWavesPerEU: 1
; Occupancy: 16
; WaveLimiterHint : 0
; COMPUTE_PGM_RSRC2:SCRATCH_EN: 0
; COMPUTE_PGM_RSRC2:USER_SGPR: 2
; COMPUTE_PGM_RSRC2:TRAP_HANDLER: 0
; COMPUTE_PGM_RSRC2:TGID_X_EN: 1
; COMPUTE_PGM_RSRC2:TGID_Y_EN: 0
; COMPUTE_PGM_RSRC2:TGID_Z_EN: 0
; COMPUTE_PGM_RSRC2:TIDIG_COMP_CNT: 0
	.section	.text._ZN7rocprim17ROCPRIM_400000_NS6detail17trampoline_kernelINS0_13select_configILj256ELj13ELNS0_17block_load_methodE3ELS4_3ELS4_3ELNS0_20block_scan_algorithmE0ELj4294967295EEENS1_25partition_config_selectorILNS1_17partition_subalgoE3EjNS0_10empty_typeEbEEZZNS1_14partition_implILS8_3ELb0ES6_jNS0_17counting_iteratorIjlEEPS9_SE_NS0_5tupleIJPjSE_EEENSF_IJSE_SE_EEES9_SG_JZNS1_25segmented_radix_sort_implINS0_14default_configELb1EPKiPiPKlPlN2at6native12_GLOBAL__N_18offset_tEEE10hipError_tPvRmT1_PNSt15iterator_traitsISY_E10value_typeET2_T3_PNSZ_IS14_E10value_typeET4_jRbjT5_S1A_jjP12ihipStream_tbEUljE_EEESV_SW_SX_S14_S18_S1A_T6_T7_T9_mT8_S1C_bDpT10_ENKUlT_T0_E_clISt17integral_constantIbLb1EES1O_IbLb0EEEEDaS1K_S1L_EUlS1K_E_NS1_11comp_targetILNS1_3genE0ELNS1_11target_archE4294967295ELNS1_3gpuE0ELNS1_3repE0EEENS1_30default_config_static_selectorELNS0_4arch9wavefront6targetE0EEEvSY_,"axG",@progbits,_ZN7rocprim17ROCPRIM_400000_NS6detail17trampoline_kernelINS0_13select_configILj256ELj13ELNS0_17block_load_methodE3ELS4_3ELS4_3ELNS0_20block_scan_algorithmE0ELj4294967295EEENS1_25partition_config_selectorILNS1_17partition_subalgoE3EjNS0_10empty_typeEbEEZZNS1_14partition_implILS8_3ELb0ES6_jNS0_17counting_iteratorIjlEEPS9_SE_NS0_5tupleIJPjSE_EEENSF_IJSE_SE_EEES9_SG_JZNS1_25segmented_radix_sort_implINS0_14default_configELb1EPKiPiPKlPlN2at6native12_GLOBAL__N_18offset_tEEE10hipError_tPvRmT1_PNSt15iterator_traitsISY_E10value_typeET2_T3_PNSZ_IS14_E10value_typeET4_jRbjT5_S1A_jjP12ihipStream_tbEUljE_EEESV_SW_SX_S14_S18_S1A_T6_T7_T9_mT8_S1C_bDpT10_ENKUlT_T0_E_clISt17integral_constantIbLb1EES1O_IbLb0EEEEDaS1K_S1L_EUlS1K_E_NS1_11comp_targetILNS1_3genE0ELNS1_11target_archE4294967295ELNS1_3gpuE0ELNS1_3repE0EEENS1_30default_config_static_selectorELNS0_4arch9wavefront6targetE0EEEvSY_,comdat
	.globl	_ZN7rocprim17ROCPRIM_400000_NS6detail17trampoline_kernelINS0_13select_configILj256ELj13ELNS0_17block_load_methodE3ELS4_3ELS4_3ELNS0_20block_scan_algorithmE0ELj4294967295EEENS1_25partition_config_selectorILNS1_17partition_subalgoE3EjNS0_10empty_typeEbEEZZNS1_14partition_implILS8_3ELb0ES6_jNS0_17counting_iteratorIjlEEPS9_SE_NS0_5tupleIJPjSE_EEENSF_IJSE_SE_EEES9_SG_JZNS1_25segmented_radix_sort_implINS0_14default_configELb1EPKiPiPKlPlN2at6native12_GLOBAL__N_18offset_tEEE10hipError_tPvRmT1_PNSt15iterator_traitsISY_E10value_typeET2_T3_PNSZ_IS14_E10value_typeET4_jRbjT5_S1A_jjP12ihipStream_tbEUljE_EEESV_SW_SX_S14_S18_S1A_T6_T7_T9_mT8_S1C_bDpT10_ENKUlT_T0_E_clISt17integral_constantIbLb1EES1O_IbLb0EEEEDaS1K_S1L_EUlS1K_E_NS1_11comp_targetILNS1_3genE0ELNS1_11target_archE4294967295ELNS1_3gpuE0ELNS1_3repE0EEENS1_30default_config_static_selectorELNS0_4arch9wavefront6targetE0EEEvSY_ ; -- Begin function _ZN7rocprim17ROCPRIM_400000_NS6detail17trampoline_kernelINS0_13select_configILj256ELj13ELNS0_17block_load_methodE3ELS4_3ELS4_3ELNS0_20block_scan_algorithmE0ELj4294967295EEENS1_25partition_config_selectorILNS1_17partition_subalgoE3EjNS0_10empty_typeEbEEZZNS1_14partition_implILS8_3ELb0ES6_jNS0_17counting_iteratorIjlEEPS9_SE_NS0_5tupleIJPjSE_EEENSF_IJSE_SE_EEES9_SG_JZNS1_25segmented_radix_sort_implINS0_14default_configELb1EPKiPiPKlPlN2at6native12_GLOBAL__N_18offset_tEEE10hipError_tPvRmT1_PNSt15iterator_traitsISY_E10value_typeET2_T3_PNSZ_IS14_E10value_typeET4_jRbjT5_S1A_jjP12ihipStream_tbEUljE_EEESV_SW_SX_S14_S18_S1A_T6_T7_T9_mT8_S1C_bDpT10_ENKUlT_T0_E_clISt17integral_constantIbLb1EES1O_IbLb0EEEEDaS1K_S1L_EUlS1K_E_NS1_11comp_targetILNS1_3genE0ELNS1_11target_archE4294967295ELNS1_3gpuE0ELNS1_3repE0EEENS1_30default_config_static_selectorELNS0_4arch9wavefront6targetE0EEEvSY_
	.p2align	8
	.type	_ZN7rocprim17ROCPRIM_400000_NS6detail17trampoline_kernelINS0_13select_configILj256ELj13ELNS0_17block_load_methodE3ELS4_3ELS4_3ELNS0_20block_scan_algorithmE0ELj4294967295EEENS1_25partition_config_selectorILNS1_17partition_subalgoE3EjNS0_10empty_typeEbEEZZNS1_14partition_implILS8_3ELb0ES6_jNS0_17counting_iteratorIjlEEPS9_SE_NS0_5tupleIJPjSE_EEENSF_IJSE_SE_EEES9_SG_JZNS1_25segmented_radix_sort_implINS0_14default_configELb1EPKiPiPKlPlN2at6native12_GLOBAL__N_18offset_tEEE10hipError_tPvRmT1_PNSt15iterator_traitsISY_E10value_typeET2_T3_PNSZ_IS14_E10value_typeET4_jRbjT5_S1A_jjP12ihipStream_tbEUljE_EEESV_SW_SX_S14_S18_S1A_T6_T7_T9_mT8_S1C_bDpT10_ENKUlT_T0_E_clISt17integral_constantIbLb1EES1O_IbLb0EEEEDaS1K_S1L_EUlS1K_E_NS1_11comp_targetILNS1_3genE0ELNS1_11target_archE4294967295ELNS1_3gpuE0ELNS1_3repE0EEENS1_30default_config_static_selectorELNS0_4arch9wavefront6targetE0EEEvSY_,@function
_ZN7rocprim17ROCPRIM_400000_NS6detail17trampoline_kernelINS0_13select_configILj256ELj13ELNS0_17block_load_methodE3ELS4_3ELS4_3ELNS0_20block_scan_algorithmE0ELj4294967295EEENS1_25partition_config_selectorILNS1_17partition_subalgoE3EjNS0_10empty_typeEbEEZZNS1_14partition_implILS8_3ELb0ES6_jNS0_17counting_iteratorIjlEEPS9_SE_NS0_5tupleIJPjSE_EEENSF_IJSE_SE_EEES9_SG_JZNS1_25segmented_radix_sort_implINS0_14default_configELb1EPKiPiPKlPlN2at6native12_GLOBAL__N_18offset_tEEE10hipError_tPvRmT1_PNSt15iterator_traitsISY_E10value_typeET2_T3_PNSZ_IS14_E10value_typeET4_jRbjT5_S1A_jjP12ihipStream_tbEUljE_EEESV_SW_SX_S14_S18_S1A_T6_T7_T9_mT8_S1C_bDpT10_ENKUlT_T0_E_clISt17integral_constantIbLb1EES1O_IbLb0EEEEDaS1K_S1L_EUlS1K_E_NS1_11comp_targetILNS1_3genE0ELNS1_11target_archE4294967295ELNS1_3gpuE0ELNS1_3repE0EEENS1_30default_config_static_selectorELNS0_4arch9wavefront6targetE0EEEvSY_: ; @_ZN7rocprim17ROCPRIM_400000_NS6detail17trampoline_kernelINS0_13select_configILj256ELj13ELNS0_17block_load_methodE3ELS4_3ELS4_3ELNS0_20block_scan_algorithmE0ELj4294967295EEENS1_25partition_config_selectorILNS1_17partition_subalgoE3EjNS0_10empty_typeEbEEZZNS1_14partition_implILS8_3ELb0ES6_jNS0_17counting_iteratorIjlEEPS9_SE_NS0_5tupleIJPjSE_EEENSF_IJSE_SE_EEES9_SG_JZNS1_25segmented_radix_sort_implINS0_14default_configELb1EPKiPiPKlPlN2at6native12_GLOBAL__N_18offset_tEEE10hipError_tPvRmT1_PNSt15iterator_traitsISY_E10value_typeET2_T3_PNSZ_IS14_E10value_typeET4_jRbjT5_S1A_jjP12ihipStream_tbEUljE_EEESV_SW_SX_S14_S18_S1A_T6_T7_T9_mT8_S1C_bDpT10_ENKUlT_T0_E_clISt17integral_constantIbLb1EES1O_IbLb0EEEEDaS1K_S1L_EUlS1K_E_NS1_11comp_targetILNS1_3genE0ELNS1_11target_archE4294967295ELNS1_3gpuE0ELNS1_3repE0EEENS1_30default_config_static_selectorELNS0_4arch9wavefront6targetE0EEEvSY_
; %bb.0:
	.section	.rodata,"a",@progbits
	.p2align	6, 0x0
	.amdhsa_kernel _ZN7rocprim17ROCPRIM_400000_NS6detail17trampoline_kernelINS0_13select_configILj256ELj13ELNS0_17block_load_methodE3ELS4_3ELS4_3ELNS0_20block_scan_algorithmE0ELj4294967295EEENS1_25partition_config_selectorILNS1_17partition_subalgoE3EjNS0_10empty_typeEbEEZZNS1_14partition_implILS8_3ELb0ES6_jNS0_17counting_iteratorIjlEEPS9_SE_NS0_5tupleIJPjSE_EEENSF_IJSE_SE_EEES9_SG_JZNS1_25segmented_radix_sort_implINS0_14default_configELb1EPKiPiPKlPlN2at6native12_GLOBAL__N_18offset_tEEE10hipError_tPvRmT1_PNSt15iterator_traitsISY_E10value_typeET2_T3_PNSZ_IS14_E10value_typeET4_jRbjT5_S1A_jjP12ihipStream_tbEUljE_EEESV_SW_SX_S14_S18_S1A_T6_T7_T9_mT8_S1C_bDpT10_ENKUlT_T0_E_clISt17integral_constantIbLb1EES1O_IbLb0EEEEDaS1K_S1L_EUlS1K_E_NS1_11comp_targetILNS1_3genE0ELNS1_11target_archE4294967295ELNS1_3gpuE0ELNS1_3repE0EEENS1_30default_config_static_selectorELNS0_4arch9wavefront6targetE0EEEvSY_
		.amdhsa_group_segment_fixed_size 0
		.amdhsa_private_segment_fixed_size 0
		.amdhsa_kernarg_size 144
		.amdhsa_user_sgpr_count 2
		.amdhsa_user_sgpr_dispatch_ptr 0
		.amdhsa_user_sgpr_queue_ptr 0
		.amdhsa_user_sgpr_kernarg_segment_ptr 1
		.amdhsa_user_sgpr_dispatch_id 0
		.amdhsa_user_sgpr_private_segment_size 0
		.amdhsa_wavefront_size32 1
		.amdhsa_uses_dynamic_stack 0
		.amdhsa_enable_private_segment 0
		.amdhsa_system_sgpr_workgroup_id_x 1
		.amdhsa_system_sgpr_workgroup_id_y 0
		.amdhsa_system_sgpr_workgroup_id_z 0
		.amdhsa_system_sgpr_workgroup_info 0
		.amdhsa_system_vgpr_workitem_id 0
		.amdhsa_next_free_vgpr 1
		.amdhsa_next_free_sgpr 1
		.amdhsa_reserve_vcc 0
		.amdhsa_float_round_mode_32 0
		.amdhsa_float_round_mode_16_64 0
		.amdhsa_float_denorm_mode_32 3
		.amdhsa_float_denorm_mode_16_64 3
		.amdhsa_fp16_overflow 0
		.amdhsa_workgroup_processor_mode 1
		.amdhsa_memory_ordered 1
		.amdhsa_forward_progress 1
		.amdhsa_inst_pref_size 0
		.amdhsa_round_robin_scheduling 0
		.amdhsa_exception_fp_ieee_invalid_op 0
		.amdhsa_exception_fp_denorm_src 0
		.amdhsa_exception_fp_ieee_div_zero 0
		.amdhsa_exception_fp_ieee_overflow 0
		.amdhsa_exception_fp_ieee_underflow 0
		.amdhsa_exception_fp_ieee_inexact 0
		.amdhsa_exception_int_div_zero 0
	.end_amdhsa_kernel
	.section	.text._ZN7rocprim17ROCPRIM_400000_NS6detail17trampoline_kernelINS0_13select_configILj256ELj13ELNS0_17block_load_methodE3ELS4_3ELS4_3ELNS0_20block_scan_algorithmE0ELj4294967295EEENS1_25partition_config_selectorILNS1_17partition_subalgoE3EjNS0_10empty_typeEbEEZZNS1_14partition_implILS8_3ELb0ES6_jNS0_17counting_iteratorIjlEEPS9_SE_NS0_5tupleIJPjSE_EEENSF_IJSE_SE_EEES9_SG_JZNS1_25segmented_radix_sort_implINS0_14default_configELb1EPKiPiPKlPlN2at6native12_GLOBAL__N_18offset_tEEE10hipError_tPvRmT1_PNSt15iterator_traitsISY_E10value_typeET2_T3_PNSZ_IS14_E10value_typeET4_jRbjT5_S1A_jjP12ihipStream_tbEUljE_EEESV_SW_SX_S14_S18_S1A_T6_T7_T9_mT8_S1C_bDpT10_ENKUlT_T0_E_clISt17integral_constantIbLb1EES1O_IbLb0EEEEDaS1K_S1L_EUlS1K_E_NS1_11comp_targetILNS1_3genE0ELNS1_11target_archE4294967295ELNS1_3gpuE0ELNS1_3repE0EEENS1_30default_config_static_selectorELNS0_4arch9wavefront6targetE0EEEvSY_,"axG",@progbits,_ZN7rocprim17ROCPRIM_400000_NS6detail17trampoline_kernelINS0_13select_configILj256ELj13ELNS0_17block_load_methodE3ELS4_3ELS4_3ELNS0_20block_scan_algorithmE0ELj4294967295EEENS1_25partition_config_selectorILNS1_17partition_subalgoE3EjNS0_10empty_typeEbEEZZNS1_14partition_implILS8_3ELb0ES6_jNS0_17counting_iteratorIjlEEPS9_SE_NS0_5tupleIJPjSE_EEENSF_IJSE_SE_EEES9_SG_JZNS1_25segmented_radix_sort_implINS0_14default_configELb1EPKiPiPKlPlN2at6native12_GLOBAL__N_18offset_tEEE10hipError_tPvRmT1_PNSt15iterator_traitsISY_E10value_typeET2_T3_PNSZ_IS14_E10value_typeET4_jRbjT5_S1A_jjP12ihipStream_tbEUljE_EEESV_SW_SX_S14_S18_S1A_T6_T7_T9_mT8_S1C_bDpT10_ENKUlT_T0_E_clISt17integral_constantIbLb1EES1O_IbLb0EEEEDaS1K_S1L_EUlS1K_E_NS1_11comp_targetILNS1_3genE0ELNS1_11target_archE4294967295ELNS1_3gpuE0ELNS1_3repE0EEENS1_30default_config_static_selectorELNS0_4arch9wavefront6targetE0EEEvSY_,comdat
.Lfunc_end481:
	.size	_ZN7rocprim17ROCPRIM_400000_NS6detail17trampoline_kernelINS0_13select_configILj256ELj13ELNS0_17block_load_methodE3ELS4_3ELS4_3ELNS0_20block_scan_algorithmE0ELj4294967295EEENS1_25partition_config_selectorILNS1_17partition_subalgoE3EjNS0_10empty_typeEbEEZZNS1_14partition_implILS8_3ELb0ES6_jNS0_17counting_iteratorIjlEEPS9_SE_NS0_5tupleIJPjSE_EEENSF_IJSE_SE_EEES9_SG_JZNS1_25segmented_radix_sort_implINS0_14default_configELb1EPKiPiPKlPlN2at6native12_GLOBAL__N_18offset_tEEE10hipError_tPvRmT1_PNSt15iterator_traitsISY_E10value_typeET2_T3_PNSZ_IS14_E10value_typeET4_jRbjT5_S1A_jjP12ihipStream_tbEUljE_EEESV_SW_SX_S14_S18_S1A_T6_T7_T9_mT8_S1C_bDpT10_ENKUlT_T0_E_clISt17integral_constantIbLb1EES1O_IbLb0EEEEDaS1K_S1L_EUlS1K_E_NS1_11comp_targetILNS1_3genE0ELNS1_11target_archE4294967295ELNS1_3gpuE0ELNS1_3repE0EEENS1_30default_config_static_selectorELNS0_4arch9wavefront6targetE0EEEvSY_, .Lfunc_end481-_ZN7rocprim17ROCPRIM_400000_NS6detail17trampoline_kernelINS0_13select_configILj256ELj13ELNS0_17block_load_methodE3ELS4_3ELS4_3ELNS0_20block_scan_algorithmE0ELj4294967295EEENS1_25partition_config_selectorILNS1_17partition_subalgoE3EjNS0_10empty_typeEbEEZZNS1_14partition_implILS8_3ELb0ES6_jNS0_17counting_iteratorIjlEEPS9_SE_NS0_5tupleIJPjSE_EEENSF_IJSE_SE_EEES9_SG_JZNS1_25segmented_radix_sort_implINS0_14default_configELb1EPKiPiPKlPlN2at6native12_GLOBAL__N_18offset_tEEE10hipError_tPvRmT1_PNSt15iterator_traitsISY_E10value_typeET2_T3_PNSZ_IS14_E10value_typeET4_jRbjT5_S1A_jjP12ihipStream_tbEUljE_EEESV_SW_SX_S14_S18_S1A_T6_T7_T9_mT8_S1C_bDpT10_ENKUlT_T0_E_clISt17integral_constantIbLb1EES1O_IbLb0EEEEDaS1K_S1L_EUlS1K_E_NS1_11comp_targetILNS1_3genE0ELNS1_11target_archE4294967295ELNS1_3gpuE0ELNS1_3repE0EEENS1_30default_config_static_selectorELNS0_4arch9wavefront6targetE0EEEvSY_
                                        ; -- End function
	.set _ZN7rocprim17ROCPRIM_400000_NS6detail17trampoline_kernelINS0_13select_configILj256ELj13ELNS0_17block_load_methodE3ELS4_3ELS4_3ELNS0_20block_scan_algorithmE0ELj4294967295EEENS1_25partition_config_selectorILNS1_17partition_subalgoE3EjNS0_10empty_typeEbEEZZNS1_14partition_implILS8_3ELb0ES6_jNS0_17counting_iteratorIjlEEPS9_SE_NS0_5tupleIJPjSE_EEENSF_IJSE_SE_EEES9_SG_JZNS1_25segmented_radix_sort_implINS0_14default_configELb1EPKiPiPKlPlN2at6native12_GLOBAL__N_18offset_tEEE10hipError_tPvRmT1_PNSt15iterator_traitsISY_E10value_typeET2_T3_PNSZ_IS14_E10value_typeET4_jRbjT5_S1A_jjP12ihipStream_tbEUljE_EEESV_SW_SX_S14_S18_S1A_T6_T7_T9_mT8_S1C_bDpT10_ENKUlT_T0_E_clISt17integral_constantIbLb1EES1O_IbLb0EEEEDaS1K_S1L_EUlS1K_E_NS1_11comp_targetILNS1_3genE0ELNS1_11target_archE4294967295ELNS1_3gpuE0ELNS1_3repE0EEENS1_30default_config_static_selectorELNS0_4arch9wavefront6targetE0EEEvSY_.num_vgpr, 0
	.set _ZN7rocprim17ROCPRIM_400000_NS6detail17trampoline_kernelINS0_13select_configILj256ELj13ELNS0_17block_load_methodE3ELS4_3ELS4_3ELNS0_20block_scan_algorithmE0ELj4294967295EEENS1_25partition_config_selectorILNS1_17partition_subalgoE3EjNS0_10empty_typeEbEEZZNS1_14partition_implILS8_3ELb0ES6_jNS0_17counting_iteratorIjlEEPS9_SE_NS0_5tupleIJPjSE_EEENSF_IJSE_SE_EEES9_SG_JZNS1_25segmented_radix_sort_implINS0_14default_configELb1EPKiPiPKlPlN2at6native12_GLOBAL__N_18offset_tEEE10hipError_tPvRmT1_PNSt15iterator_traitsISY_E10value_typeET2_T3_PNSZ_IS14_E10value_typeET4_jRbjT5_S1A_jjP12ihipStream_tbEUljE_EEESV_SW_SX_S14_S18_S1A_T6_T7_T9_mT8_S1C_bDpT10_ENKUlT_T0_E_clISt17integral_constantIbLb1EES1O_IbLb0EEEEDaS1K_S1L_EUlS1K_E_NS1_11comp_targetILNS1_3genE0ELNS1_11target_archE4294967295ELNS1_3gpuE0ELNS1_3repE0EEENS1_30default_config_static_selectorELNS0_4arch9wavefront6targetE0EEEvSY_.num_agpr, 0
	.set _ZN7rocprim17ROCPRIM_400000_NS6detail17trampoline_kernelINS0_13select_configILj256ELj13ELNS0_17block_load_methodE3ELS4_3ELS4_3ELNS0_20block_scan_algorithmE0ELj4294967295EEENS1_25partition_config_selectorILNS1_17partition_subalgoE3EjNS0_10empty_typeEbEEZZNS1_14partition_implILS8_3ELb0ES6_jNS0_17counting_iteratorIjlEEPS9_SE_NS0_5tupleIJPjSE_EEENSF_IJSE_SE_EEES9_SG_JZNS1_25segmented_radix_sort_implINS0_14default_configELb1EPKiPiPKlPlN2at6native12_GLOBAL__N_18offset_tEEE10hipError_tPvRmT1_PNSt15iterator_traitsISY_E10value_typeET2_T3_PNSZ_IS14_E10value_typeET4_jRbjT5_S1A_jjP12ihipStream_tbEUljE_EEESV_SW_SX_S14_S18_S1A_T6_T7_T9_mT8_S1C_bDpT10_ENKUlT_T0_E_clISt17integral_constantIbLb1EES1O_IbLb0EEEEDaS1K_S1L_EUlS1K_E_NS1_11comp_targetILNS1_3genE0ELNS1_11target_archE4294967295ELNS1_3gpuE0ELNS1_3repE0EEENS1_30default_config_static_selectorELNS0_4arch9wavefront6targetE0EEEvSY_.numbered_sgpr, 0
	.set _ZN7rocprim17ROCPRIM_400000_NS6detail17trampoline_kernelINS0_13select_configILj256ELj13ELNS0_17block_load_methodE3ELS4_3ELS4_3ELNS0_20block_scan_algorithmE0ELj4294967295EEENS1_25partition_config_selectorILNS1_17partition_subalgoE3EjNS0_10empty_typeEbEEZZNS1_14partition_implILS8_3ELb0ES6_jNS0_17counting_iteratorIjlEEPS9_SE_NS0_5tupleIJPjSE_EEENSF_IJSE_SE_EEES9_SG_JZNS1_25segmented_radix_sort_implINS0_14default_configELb1EPKiPiPKlPlN2at6native12_GLOBAL__N_18offset_tEEE10hipError_tPvRmT1_PNSt15iterator_traitsISY_E10value_typeET2_T3_PNSZ_IS14_E10value_typeET4_jRbjT5_S1A_jjP12ihipStream_tbEUljE_EEESV_SW_SX_S14_S18_S1A_T6_T7_T9_mT8_S1C_bDpT10_ENKUlT_T0_E_clISt17integral_constantIbLb1EES1O_IbLb0EEEEDaS1K_S1L_EUlS1K_E_NS1_11comp_targetILNS1_3genE0ELNS1_11target_archE4294967295ELNS1_3gpuE0ELNS1_3repE0EEENS1_30default_config_static_selectorELNS0_4arch9wavefront6targetE0EEEvSY_.num_named_barrier, 0
	.set _ZN7rocprim17ROCPRIM_400000_NS6detail17trampoline_kernelINS0_13select_configILj256ELj13ELNS0_17block_load_methodE3ELS4_3ELS4_3ELNS0_20block_scan_algorithmE0ELj4294967295EEENS1_25partition_config_selectorILNS1_17partition_subalgoE3EjNS0_10empty_typeEbEEZZNS1_14partition_implILS8_3ELb0ES6_jNS0_17counting_iteratorIjlEEPS9_SE_NS0_5tupleIJPjSE_EEENSF_IJSE_SE_EEES9_SG_JZNS1_25segmented_radix_sort_implINS0_14default_configELb1EPKiPiPKlPlN2at6native12_GLOBAL__N_18offset_tEEE10hipError_tPvRmT1_PNSt15iterator_traitsISY_E10value_typeET2_T3_PNSZ_IS14_E10value_typeET4_jRbjT5_S1A_jjP12ihipStream_tbEUljE_EEESV_SW_SX_S14_S18_S1A_T6_T7_T9_mT8_S1C_bDpT10_ENKUlT_T0_E_clISt17integral_constantIbLb1EES1O_IbLb0EEEEDaS1K_S1L_EUlS1K_E_NS1_11comp_targetILNS1_3genE0ELNS1_11target_archE4294967295ELNS1_3gpuE0ELNS1_3repE0EEENS1_30default_config_static_selectorELNS0_4arch9wavefront6targetE0EEEvSY_.private_seg_size, 0
	.set _ZN7rocprim17ROCPRIM_400000_NS6detail17trampoline_kernelINS0_13select_configILj256ELj13ELNS0_17block_load_methodE3ELS4_3ELS4_3ELNS0_20block_scan_algorithmE0ELj4294967295EEENS1_25partition_config_selectorILNS1_17partition_subalgoE3EjNS0_10empty_typeEbEEZZNS1_14partition_implILS8_3ELb0ES6_jNS0_17counting_iteratorIjlEEPS9_SE_NS0_5tupleIJPjSE_EEENSF_IJSE_SE_EEES9_SG_JZNS1_25segmented_radix_sort_implINS0_14default_configELb1EPKiPiPKlPlN2at6native12_GLOBAL__N_18offset_tEEE10hipError_tPvRmT1_PNSt15iterator_traitsISY_E10value_typeET2_T3_PNSZ_IS14_E10value_typeET4_jRbjT5_S1A_jjP12ihipStream_tbEUljE_EEESV_SW_SX_S14_S18_S1A_T6_T7_T9_mT8_S1C_bDpT10_ENKUlT_T0_E_clISt17integral_constantIbLb1EES1O_IbLb0EEEEDaS1K_S1L_EUlS1K_E_NS1_11comp_targetILNS1_3genE0ELNS1_11target_archE4294967295ELNS1_3gpuE0ELNS1_3repE0EEENS1_30default_config_static_selectorELNS0_4arch9wavefront6targetE0EEEvSY_.uses_vcc, 0
	.set _ZN7rocprim17ROCPRIM_400000_NS6detail17trampoline_kernelINS0_13select_configILj256ELj13ELNS0_17block_load_methodE3ELS4_3ELS4_3ELNS0_20block_scan_algorithmE0ELj4294967295EEENS1_25partition_config_selectorILNS1_17partition_subalgoE3EjNS0_10empty_typeEbEEZZNS1_14partition_implILS8_3ELb0ES6_jNS0_17counting_iteratorIjlEEPS9_SE_NS0_5tupleIJPjSE_EEENSF_IJSE_SE_EEES9_SG_JZNS1_25segmented_radix_sort_implINS0_14default_configELb1EPKiPiPKlPlN2at6native12_GLOBAL__N_18offset_tEEE10hipError_tPvRmT1_PNSt15iterator_traitsISY_E10value_typeET2_T3_PNSZ_IS14_E10value_typeET4_jRbjT5_S1A_jjP12ihipStream_tbEUljE_EEESV_SW_SX_S14_S18_S1A_T6_T7_T9_mT8_S1C_bDpT10_ENKUlT_T0_E_clISt17integral_constantIbLb1EES1O_IbLb0EEEEDaS1K_S1L_EUlS1K_E_NS1_11comp_targetILNS1_3genE0ELNS1_11target_archE4294967295ELNS1_3gpuE0ELNS1_3repE0EEENS1_30default_config_static_selectorELNS0_4arch9wavefront6targetE0EEEvSY_.uses_flat_scratch, 0
	.set _ZN7rocprim17ROCPRIM_400000_NS6detail17trampoline_kernelINS0_13select_configILj256ELj13ELNS0_17block_load_methodE3ELS4_3ELS4_3ELNS0_20block_scan_algorithmE0ELj4294967295EEENS1_25partition_config_selectorILNS1_17partition_subalgoE3EjNS0_10empty_typeEbEEZZNS1_14partition_implILS8_3ELb0ES6_jNS0_17counting_iteratorIjlEEPS9_SE_NS0_5tupleIJPjSE_EEENSF_IJSE_SE_EEES9_SG_JZNS1_25segmented_radix_sort_implINS0_14default_configELb1EPKiPiPKlPlN2at6native12_GLOBAL__N_18offset_tEEE10hipError_tPvRmT1_PNSt15iterator_traitsISY_E10value_typeET2_T3_PNSZ_IS14_E10value_typeET4_jRbjT5_S1A_jjP12ihipStream_tbEUljE_EEESV_SW_SX_S14_S18_S1A_T6_T7_T9_mT8_S1C_bDpT10_ENKUlT_T0_E_clISt17integral_constantIbLb1EES1O_IbLb0EEEEDaS1K_S1L_EUlS1K_E_NS1_11comp_targetILNS1_3genE0ELNS1_11target_archE4294967295ELNS1_3gpuE0ELNS1_3repE0EEENS1_30default_config_static_selectorELNS0_4arch9wavefront6targetE0EEEvSY_.has_dyn_sized_stack, 0
	.set _ZN7rocprim17ROCPRIM_400000_NS6detail17trampoline_kernelINS0_13select_configILj256ELj13ELNS0_17block_load_methodE3ELS4_3ELS4_3ELNS0_20block_scan_algorithmE0ELj4294967295EEENS1_25partition_config_selectorILNS1_17partition_subalgoE3EjNS0_10empty_typeEbEEZZNS1_14partition_implILS8_3ELb0ES6_jNS0_17counting_iteratorIjlEEPS9_SE_NS0_5tupleIJPjSE_EEENSF_IJSE_SE_EEES9_SG_JZNS1_25segmented_radix_sort_implINS0_14default_configELb1EPKiPiPKlPlN2at6native12_GLOBAL__N_18offset_tEEE10hipError_tPvRmT1_PNSt15iterator_traitsISY_E10value_typeET2_T3_PNSZ_IS14_E10value_typeET4_jRbjT5_S1A_jjP12ihipStream_tbEUljE_EEESV_SW_SX_S14_S18_S1A_T6_T7_T9_mT8_S1C_bDpT10_ENKUlT_T0_E_clISt17integral_constantIbLb1EES1O_IbLb0EEEEDaS1K_S1L_EUlS1K_E_NS1_11comp_targetILNS1_3genE0ELNS1_11target_archE4294967295ELNS1_3gpuE0ELNS1_3repE0EEENS1_30default_config_static_selectorELNS0_4arch9wavefront6targetE0EEEvSY_.has_recursion, 0
	.set _ZN7rocprim17ROCPRIM_400000_NS6detail17trampoline_kernelINS0_13select_configILj256ELj13ELNS0_17block_load_methodE3ELS4_3ELS4_3ELNS0_20block_scan_algorithmE0ELj4294967295EEENS1_25partition_config_selectorILNS1_17partition_subalgoE3EjNS0_10empty_typeEbEEZZNS1_14partition_implILS8_3ELb0ES6_jNS0_17counting_iteratorIjlEEPS9_SE_NS0_5tupleIJPjSE_EEENSF_IJSE_SE_EEES9_SG_JZNS1_25segmented_radix_sort_implINS0_14default_configELb1EPKiPiPKlPlN2at6native12_GLOBAL__N_18offset_tEEE10hipError_tPvRmT1_PNSt15iterator_traitsISY_E10value_typeET2_T3_PNSZ_IS14_E10value_typeET4_jRbjT5_S1A_jjP12ihipStream_tbEUljE_EEESV_SW_SX_S14_S18_S1A_T6_T7_T9_mT8_S1C_bDpT10_ENKUlT_T0_E_clISt17integral_constantIbLb1EES1O_IbLb0EEEEDaS1K_S1L_EUlS1K_E_NS1_11comp_targetILNS1_3genE0ELNS1_11target_archE4294967295ELNS1_3gpuE0ELNS1_3repE0EEENS1_30default_config_static_selectorELNS0_4arch9wavefront6targetE0EEEvSY_.has_indirect_call, 0
	.section	.AMDGPU.csdata,"",@progbits
; Kernel info:
; codeLenInByte = 0
; TotalNumSgprs: 0
; NumVgprs: 0
; ScratchSize: 0
; MemoryBound: 0
; FloatMode: 240
; IeeeMode: 1
; LDSByteSize: 0 bytes/workgroup (compile time only)
; SGPRBlocks: 0
; VGPRBlocks: 0
; NumSGPRsForWavesPerEU: 1
; NumVGPRsForWavesPerEU: 1
; Occupancy: 16
; WaveLimiterHint : 0
; COMPUTE_PGM_RSRC2:SCRATCH_EN: 0
; COMPUTE_PGM_RSRC2:USER_SGPR: 2
; COMPUTE_PGM_RSRC2:TRAP_HANDLER: 0
; COMPUTE_PGM_RSRC2:TGID_X_EN: 1
; COMPUTE_PGM_RSRC2:TGID_Y_EN: 0
; COMPUTE_PGM_RSRC2:TGID_Z_EN: 0
; COMPUTE_PGM_RSRC2:TIDIG_COMP_CNT: 0
	.section	.text._ZN7rocprim17ROCPRIM_400000_NS6detail17trampoline_kernelINS0_13select_configILj256ELj13ELNS0_17block_load_methodE3ELS4_3ELS4_3ELNS0_20block_scan_algorithmE0ELj4294967295EEENS1_25partition_config_selectorILNS1_17partition_subalgoE3EjNS0_10empty_typeEbEEZZNS1_14partition_implILS8_3ELb0ES6_jNS0_17counting_iteratorIjlEEPS9_SE_NS0_5tupleIJPjSE_EEENSF_IJSE_SE_EEES9_SG_JZNS1_25segmented_radix_sort_implINS0_14default_configELb1EPKiPiPKlPlN2at6native12_GLOBAL__N_18offset_tEEE10hipError_tPvRmT1_PNSt15iterator_traitsISY_E10value_typeET2_T3_PNSZ_IS14_E10value_typeET4_jRbjT5_S1A_jjP12ihipStream_tbEUljE_EEESV_SW_SX_S14_S18_S1A_T6_T7_T9_mT8_S1C_bDpT10_ENKUlT_T0_E_clISt17integral_constantIbLb1EES1O_IbLb0EEEEDaS1K_S1L_EUlS1K_E_NS1_11comp_targetILNS1_3genE5ELNS1_11target_archE942ELNS1_3gpuE9ELNS1_3repE0EEENS1_30default_config_static_selectorELNS0_4arch9wavefront6targetE0EEEvSY_,"axG",@progbits,_ZN7rocprim17ROCPRIM_400000_NS6detail17trampoline_kernelINS0_13select_configILj256ELj13ELNS0_17block_load_methodE3ELS4_3ELS4_3ELNS0_20block_scan_algorithmE0ELj4294967295EEENS1_25partition_config_selectorILNS1_17partition_subalgoE3EjNS0_10empty_typeEbEEZZNS1_14partition_implILS8_3ELb0ES6_jNS0_17counting_iteratorIjlEEPS9_SE_NS0_5tupleIJPjSE_EEENSF_IJSE_SE_EEES9_SG_JZNS1_25segmented_radix_sort_implINS0_14default_configELb1EPKiPiPKlPlN2at6native12_GLOBAL__N_18offset_tEEE10hipError_tPvRmT1_PNSt15iterator_traitsISY_E10value_typeET2_T3_PNSZ_IS14_E10value_typeET4_jRbjT5_S1A_jjP12ihipStream_tbEUljE_EEESV_SW_SX_S14_S18_S1A_T6_T7_T9_mT8_S1C_bDpT10_ENKUlT_T0_E_clISt17integral_constantIbLb1EES1O_IbLb0EEEEDaS1K_S1L_EUlS1K_E_NS1_11comp_targetILNS1_3genE5ELNS1_11target_archE942ELNS1_3gpuE9ELNS1_3repE0EEENS1_30default_config_static_selectorELNS0_4arch9wavefront6targetE0EEEvSY_,comdat
	.globl	_ZN7rocprim17ROCPRIM_400000_NS6detail17trampoline_kernelINS0_13select_configILj256ELj13ELNS0_17block_load_methodE3ELS4_3ELS4_3ELNS0_20block_scan_algorithmE0ELj4294967295EEENS1_25partition_config_selectorILNS1_17partition_subalgoE3EjNS0_10empty_typeEbEEZZNS1_14partition_implILS8_3ELb0ES6_jNS0_17counting_iteratorIjlEEPS9_SE_NS0_5tupleIJPjSE_EEENSF_IJSE_SE_EEES9_SG_JZNS1_25segmented_radix_sort_implINS0_14default_configELb1EPKiPiPKlPlN2at6native12_GLOBAL__N_18offset_tEEE10hipError_tPvRmT1_PNSt15iterator_traitsISY_E10value_typeET2_T3_PNSZ_IS14_E10value_typeET4_jRbjT5_S1A_jjP12ihipStream_tbEUljE_EEESV_SW_SX_S14_S18_S1A_T6_T7_T9_mT8_S1C_bDpT10_ENKUlT_T0_E_clISt17integral_constantIbLb1EES1O_IbLb0EEEEDaS1K_S1L_EUlS1K_E_NS1_11comp_targetILNS1_3genE5ELNS1_11target_archE942ELNS1_3gpuE9ELNS1_3repE0EEENS1_30default_config_static_selectorELNS0_4arch9wavefront6targetE0EEEvSY_ ; -- Begin function _ZN7rocprim17ROCPRIM_400000_NS6detail17trampoline_kernelINS0_13select_configILj256ELj13ELNS0_17block_load_methodE3ELS4_3ELS4_3ELNS0_20block_scan_algorithmE0ELj4294967295EEENS1_25partition_config_selectorILNS1_17partition_subalgoE3EjNS0_10empty_typeEbEEZZNS1_14partition_implILS8_3ELb0ES6_jNS0_17counting_iteratorIjlEEPS9_SE_NS0_5tupleIJPjSE_EEENSF_IJSE_SE_EEES9_SG_JZNS1_25segmented_radix_sort_implINS0_14default_configELb1EPKiPiPKlPlN2at6native12_GLOBAL__N_18offset_tEEE10hipError_tPvRmT1_PNSt15iterator_traitsISY_E10value_typeET2_T3_PNSZ_IS14_E10value_typeET4_jRbjT5_S1A_jjP12ihipStream_tbEUljE_EEESV_SW_SX_S14_S18_S1A_T6_T7_T9_mT8_S1C_bDpT10_ENKUlT_T0_E_clISt17integral_constantIbLb1EES1O_IbLb0EEEEDaS1K_S1L_EUlS1K_E_NS1_11comp_targetILNS1_3genE5ELNS1_11target_archE942ELNS1_3gpuE9ELNS1_3repE0EEENS1_30default_config_static_selectorELNS0_4arch9wavefront6targetE0EEEvSY_
	.p2align	8
	.type	_ZN7rocprim17ROCPRIM_400000_NS6detail17trampoline_kernelINS0_13select_configILj256ELj13ELNS0_17block_load_methodE3ELS4_3ELS4_3ELNS0_20block_scan_algorithmE0ELj4294967295EEENS1_25partition_config_selectorILNS1_17partition_subalgoE3EjNS0_10empty_typeEbEEZZNS1_14partition_implILS8_3ELb0ES6_jNS0_17counting_iteratorIjlEEPS9_SE_NS0_5tupleIJPjSE_EEENSF_IJSE_SE_EEES9_SG_JZNS1_25segmented_radix_sort_implINS0_14default_configELb1EPKiPiPKlPlN2at6native12_GLOBAL__N_18offset_tEEE10hipError_tPvRmT1_PNSt15iterator_traitsISY_E10value_typeET2_T3_PNSZ_IS14_E10value_typeET4_jRbjT5_S1A_jjP12ihipStream_tbEUljE_EEESV_SW_SX_S14_S18_S1A_T6_T7_T9_mT8_S1C_bDpT10_ENKUlT_T0_E_clISt17integral_constantIbLb1EES1O_IbLb0EEEEDaS1K_S1L_EUlS1K_E_NS1_11comp_targetILNS1_3genE5ELNS1_11target_archE942ELNS1_3gpuE9ELNS1_3repE0EEENS1_30default_config_static_selectorELNS0_4arch9wavefront6targetE0EEEvSY_,@function
_ZN7rocprim17ROCPRIM_400000_NS6detail17trampoline_kernelINS0_13select_configILj256ELj13ELNS0_17block_load_methodE3ELS4_3ELS4_3ELNS0_20block_scan_algorithmE0ELj4294967295EEENS1_25partition_config_selectorILNS1_17partition_subalgoE3EjNS0_10empty_typeEbEEZZNS1_14partition_implILS8_3ELb0ES6_jNS0_17counting_iteratorIjlEEPS9_SE_NS0_5tupleIJPjSE_EEENSF_IJSE_SE_EEES9_SG_JZNS1_25segmented_radix_sort_implINS0_14default_configELb1EPKiPiPKlPlN2at6native12_GLOBAL__N_18offset_tEEE10hipError_tPvRmT1_PNSt15iterator_traitsISY_E10value_typeET2_T3_PNSZ_IS14_E10value_typeET4_jRbjT5_S1A_jjP12ihipStream_tbEUljE_EEESV_SW_SX_S14_S18_S1A_T6_T7_T9_mT8_S1C_bDpT10_ENKUlT_T0_E_clISt17integral_constantIbLb1EES1O_IbLb0EEEEDaS1K_S1L_EUlS1K_E_NS1_11comp_targetILNS1_3genE5ELNS1_11target_archE942ELNS1_3gpuE9ELNS1_3repE0EEENS1_30default_config_static_selectorELNS0_4arch9wavefront6targetE0EEEvSY_: ; @_ZN7rocprim17ROCPRIM_400000_NS6detail17trampoline_kernelINS0_13select_configILj256ELj13ELNS0_17block_load_methodE3ELS4_3ELS4_3ELNS0_20block_scan_algorithmE0ELj4294967295EEENS1_25partition_config_selectorILNS1_17partition_subalgoE3EjNS0_10empty_typeEbEEZZNS1_14partition_implILS8_3ELb0ES6_jNS0_17counting_iteratorIjlEEPS9_SE_NS0_5tupleIJPjSE_EEENSF_IJSE_SE_EEES9_SG_JZNS1_25segmented_radix_sort_implINS0_14default_configELb1EPKiPiPKlPlN2at6native12_GLOBAL__N_18offset_tEEE10hipError_tPvRmT1_PNSt15iterator_traitsISY_E10value_typeET2_T3_PNSZ_IS14_E10value_typeET4_jRbjT5_S1A_jjP12ihipStream_tbEUljE_EEESV_SW_SX_S14_S18_S1A_T6_T7_T9_mT8_S1C_bDpT10_ENKUlT_T0_E_clISt17integral_constantIbLb1EES1O_IbLb0EEEEDaS1K_S1L_EUlS1K_E_NS1_11comp_targetILNS1_3genE5ELNS1_11target_archE942ELNS1_3gpuE9ELNS1_3repE0EEENS1_30default_config_static_selectorELNS0_4arch9wavefront6targetE0EEEvSY_
; %bb.0:
	.section	.rodata,"a",@progbits
	.p2align	6, 0x0
	.amdhsa_kernel _ZN7rocprim17ROCPRIM_400000_NS6detail17trampoline_kernelINS0_13select_configILj256ELj13ELNS0_17block_load_methodE3ELS4_3ELS4_3ELNS0_20block_scan_algorithmE0ELj4294967295EEENS1_25partition_config_selectorILNS1_17partition_subalgoE3EjNS0_10empty_typeEbEEZZNS1_14partition_implILS8_3ELb0ES6_jNS0_17counting_iteratorIjlEEPS9_SE_NS0_5tupleIJPjSE_EEENSF_IJSE_SE_EEES9_SG_JZNS1_25segmented_radix_sort_implINS0_14default_configELb1EPKiPiPKlPlN2at6native12_GLOBAL__N_18offset_tEEE10hipError_tPvRmT1_PNSt15iterator_traitsISY_E10value_typeET2_T3_PNSZ_IS14_E10value_typeET4_jRbjT5_S1A_jjP12ihipStream_tbEUljE_EEESV_SW_SX_S14_S18_S1A_T6_T7_T9_mT8_S1C_bDpT10_ENKUlT_T0_E_clISt17integral_constantIbLb1EES1O_IbLb0EEEEDaS1K_S1L_EUlS1K_E_NS1_11comp_targetILNS1_3genE5ELNS1_11target_archE942ELNS1_3gpuE9ELNS1_3repE0EEENS1_30default_config_static_selectorELNS0_4arch9wavefront6targetE0EEEvSY_
		.amdhsa_group_segment_fixed_size 0
		.amdhsa_private_segment_fixed_size 0
		.amdhsa_kernarg_size 144
		.amdhsa_user_sgpr_count 2
		.amdhsa_user_sgpr_dispatch_ptr 0
		.amdhsa_user_sgpr_queue_ptr 0
		.amdhsa_user_sgpr_kernarg_segment_ptr 1
		.amdhsa_user_sgpr_dispatch_id 0
		.amdhsa_user_sgpr_private_segment_size 0
		.amdhsa_wavefront_size32 1
		.amdhsa_uses_dynamic_stack 0
		.amdhsa_enable_private_segment 0
		.amdhsa_system_sgpr_workgroup_id_x 1
		.amdhsa_system_sgpr_workgroup_id_y 0
		.amdhsa_system_sgpr_workgroup_id_z 0
		.amdhsa_system_sgpr_workgroup_info 0
		.amdhsa_system_vgpr_workitem_id 0
		.amdhsa_next_free_vgpr 1
		.amdhsa_next_free_sgpr 1
		.amdhsa_reserve_vcc 0
		.amdhsa_float_round_mode_32 0
		.amdhsa_float_round_mode_16_64 0
		.amdhsa_float_denorm_mode_32 3
		.amdhsa_float_denorm_mode_16_64 3
		.amdhsa_fp16_overflow 0
		.amdhsa_workgroup_processor_mode 1
		.amdhsa_memory_ordered 1
		.amdhsa_forward_progress 1
		.amdhsa_inst_pref_size 0
		.amdhsa_round_robin_scheduling 0
		.amdhsa_exception_fp_ieee_invalid_op 0
		.amdhsa_exception_fp_denorm_src 0
		.amdhsa_exception_fp_ieee_div_zero 0
		.amdhsa_exception_fp_ieee_overflow 0
		.amdhsa_exception_fp_ieee_underflow 0
		.amdhsa_exception_fp_ieee_inexact 0
		.amdhsa_exception_int_div_zero 0
	.end_amdhsa_kernel
	.section	.text._ZN7rocprim17ROCPRIM_400000_NS6detail17trampoline_kernelINS0_13select_configILj256ELj13ELNS0_17block_load_methodE3ELS4_3ELS4_3ELNS0_20block_scan_algorithmE0ELj4294967295EEENS1_25partition_config_selectorILNS1_17partition_subalgoE3EjNS0_10empty_typeEbEEZZNS1_14partition_implILS8_3ELb0ES6_jNS0_17counting_iteratorIjlEEPS9_SE_NS0_5tupleIJPjSE_EEENSF_IJSE_SE_EEES9_SG_JZNS1_25segmented_radix_sort_implINS0_14default_configELb1EPKiPiPKlPlN2at6native12_GLOBAL__N_18offset_tEEE10hipError_tPvRmT1_PNSt15iterator_traitsISY_E10value_typeET2_T3_PNSZ_IS14_E10value_typeET4_jRbjT5_S1A_jjP12ihipStream_tbEUljE_EEESV_SW_SX_S14_S18_S1A_T6_T7_T9_mT8_S1C_bDpT10_ENKUlT_T0_E_clISt17integral_constantIbLb1EES1O_IbLb0EEEEDaS1K_S1L_EUlS1K_E_NS1_11comp_targetILNS1_3genE5ELNS1_11target_archE942ELNS1_3gpuE9ELNS1_3repE0EEENS1_30default_config_static_selectorELNS0_4arch9wavefront6targetE0EEEvSY_,"axG",@progbits,_ZN7rocprim17ROCPRIM_400000_NS6detail17trampoline_kernelINS0_13select_configILj256ELj13ELNS0_17block_load_methodE3ELS4_3ELS4_3ELNS0_20block_scan_algorithmE0ELj4294967295EEENS1_25partition_config_selectorILNS1_17partition_subalgoE3EjNS0_10empty_typeEbEEZZNS1_14partition_implILS8_3ELb0ES6_jNS0_17counting_iteratorIjlEEPS9_SE_NS0_5tupleIJPjSE_EEENSF_IJSE_SE_EEES9_SG_JZNS1_25segmented_radix_sort_implINS0_14default_configELb1EPKiPiPKlPlN2at6native12_GLOBAL__N_18offset_tEEE10hipError_tPvRmT1_PNSt15iterator_traitsISY_E10value_typeET2_T3_PNSZ_IS14_E10value_typeET4_jRbjT5_S1A_jjP12ihipStream_tbEUljE_EEESV_SW_SX_S14_S18_S1A_T6_T7_T9_mT8_S1C_bDpT10_ENKUlT_T0_E_clISt17integral_constantIbLb1EES1O_IbLb0EEEEDaS1K_S1L_EUlS1K_E_NS1_11comp_targetILNS1_3genE5ELNS1_11target_archE942ELNS1_3gpuE9ELNS1_3repE0EEENS1_30default_config_static_selectorELNS0_4arch9wavefront6targetE0EEEvSY_,comdat
.Lfunc_end482:
	.size	_ZN7rocprim17ROCPRIM_400000_NS6detail17trampoline_kernelINS0_13select_configILj256ELj13ELNS0_17block_load_methodE3ELS4_3ELS4_3ELNS0_20block_scan_algorithmE0ELj4294967295EEENS1_25partition_config_selectorILNS1_17partition_subalgoE3EjNS0_10empty_typeEbEEZZNS1_14partition_implILS8_3ELb0ES6_jNS0_17counting_iteratorIjlEEPS9_SE_NS0_5tupleIJPjSE_EEENSF_IJSE_SE_EEES9_SG_JZNS1_25segmented_radix_sort_implINS0_14default_configELb1EPKiPiPKlPlN2at6native12_GLOBAL__N_18offset_tEEE10hipError_tPvRmT1_PNSt15iterator_traitsISY_E10value_typeET2_T3_PNSZ_IS14_E10value_typeET4_jRbjT5_S1A_jjP12ihipStream_tbEUljE_EEESV_SW_SX_S14_S18_S1A_T6_T7_T9_mT8_S1C_bDpT10_ENKUlT_T0_E_clISt17integral_constantIbLb1EES1O_IbLb0EEEEDaS1K_S1L_EUlS1K_E_NS1_11comp_targetILNS1_3genE5ELNS1_11target_archE942ELNS1_3gpuE9ELNS1_3repE0EEENS1_30default_config_static_selectorELNS0_4arch9wavefront6targetE0EEEvSY_, .Lfunc_end482-_ZN7rocprim17ROCPRIM_400000_NS6detail17trampoline_kernelINS0_13select_configILj256ELj13ELNS0_17block_load_methodE3ELS4_3ELS4_3ELNS0_20block_scan_algorithmE0ELj4294967295EEENS1_25partition_config_selectorILNS1_17partition_subalgoE3EjNS0_10empty_typeEbEEZZNS1_14partition_implILS8_3ELb0ES6_jNS0_17counting_iteratorIjlEEPS9_SE_NS0_5tupleIJPjSE_EEENSF_IJSE_SE_EEES9_SG_JZNS1_25segmented_radix_sort_implINS0_14default_configELb1EPKiPiPKlPlN2at6native12_GLOBAL__N_18offset_tEEE10hipError_tPvRmT1_PNSt15iterator_traitsISY_E10value_typeET2_T3_PNSZ_IS14_E10value_typeET4_jRbjT5_S1A_jjP12ihipStream_tbEUljE_EEESV_SW_SX_S14_S18_S1A_T6_T7_T9_mT8_S1C_bDpT10_ENKUlT_T0_E_clISt17integral_constantIbLb1EES1O_IbLb0EEEEDaS1K_S1L_EUlS1K_E_NS1_11comp_targetILNS1_3genE5ELNS1_11target_archE942ELNS1_3gpuE9ELNS1_3repE0EEENS1_30default_config_static_selectorELNS0_4arch9wavefront6targetE0EEEvSY_
                                        ; -- End function
	.set _ZN7rocprim17ROCPRIM_400000_NS6detail17trampoline_kernelINS0_13select_configILj256ELj13ELNS0_17block_load_methodE3ELS4_3ELS4_3ELNS0_20block_scan_algorithmE0ELj4294967295EEENS1_25partition_config_selectorILNS1_17partition_subalgoE3EjNS0_10empty_typeEbEEZZNS1_14partition_implILS8_3ELb0ES6_jNS0_17counting_iteratorIjlEEPS9_SE_NS0_5tupleIJPjSE_EEENSF_IJSE_SE_EEES9_SG_JZNS1_25segmented_radix_sort_implINS0_14default_configELb1EPKiPiPKlPlN2at6native12_GLOBAL__N_18offset_tEEE10hipError_tPvRmT1_PNSt15iterator_traitsISY_E10value_typeET2_T3_PNSZ_IS14_E10value_typeET4_jRbjT5_S1A_jjP12ihipStream_tbEUljE_EEESV_SW_SX_S14_S18_S1A_T6_T7_T9_mT8_S1C_bDpT10_ENKUlT_T0_E_clISt17integral_constantIbLb1EES1O_IbLb0EEEEDaS1K_S1L_EUlS1K_E_NS1_11comp_targetILNS1_3genE5ELNS1_11target_archE942ELNS1_3gpuE9ELNS1_3repE0EEENS1_30default_config_static_selectorELNS0_4arch9wavefront6targetE0EEEvSY_.num_vgpr, 0
	.set _ZN7rocprim17ROCPRIM_400000_NS6detail17trampoline_kernelINS0_13select_configILj256ELj13ELNS0_17block_load_methodE3ELS4_3ELS4_3ELNS0_20block_scan_algorithmE0ELj4294967295EEENS1_25partition_config_selectorILNS1_17partition_subalgoE3EjNS0_10empty_typeEbEEZZNS1_14partition_implILS8_3ELb0ES6_jNS0_17counting_iteratorIjlEEPS9_SE_NS0_5tupleIJPjSE_EEENSF_IJSE_SE_EEES9_SG_JZNS1_25segmented_radix_sort_implINS0_14default_configELb1EPKiPiPKlPlN2at6native12_GLOBAL__N_18offset_tEEE10hipError_tPvRmT1_PNSt15iterator_traitsISY_E10value_typeET2_T3_PNSZ_IS14_E10value_typeET4_jRbjT5_S1A_jjP12ihipStream_tbEUljE_EEESV_SW_SX_S14_S18_S1A_T6_T7_T9_mT8_S1C_bDpT10_ENKUlT_T0_E_clISt17integral_constantIbLb1EES1O_IbLb0EEEEDaS1K_S1L_EUlS1K_E_NS1_11comp_targetILNS1_3genE5ELNS1_11target_archE942ELNS1_3gpuE9ELNS1_3repE0EEENS1_30default_config_static_selectorELNS0_4arch9wavefront6targetE0EEEvSY_.num_agpr, 0
	.set _ZN7rocprim17ROCPRIM_400000_NS6detail17trampoline_kernelINS0_13select_configILj256ELj13ELNS0_17block_load_methodE3ELS4_3ELS4_3ELNS0_20block_scan_algorithmE0ELj4294967295EEENS1_25partition_config_selectorILNS1_17partition_subalgoE3EjNS0_10empty_typeEbEEZZNS1_14partition_implILS8_3ELb0ES6_jNS0_17counting_iteratorIjlEEPS9_SE_NS0_5tupleIJPjSE_EEENSF_IJSE_SE_EEES9_SG_JZNS1_25segmented_radix_sort_implINS0_14default_configELb1EPKiPiPKlPlN2at6native12_GLOBAL__N_18offset_tEEE10hipError_tPvRmT1_PNSt15iterator_traitsISY_E10value_typeET2_T3_PNSZ_IS14_E10value_typeET4_jRbjT5_S1A_jjP12ihipStream_tbEUljE_EEESV_SW_SX_S14_S18_S1A_T6_T7_T9_mT8_S1C_bDpT10_ENKUlT_T0_E_clISt17integral_constantIbLb1EES1O_IbLb0EEEEDaS1K_S1L_EUlS1K_E_NS1_11comp_targetILNS1_3genE5ELNS1_11target_archE942ELNS1_3gpuE9ELNS1_3repE0EEENS1_30default_config_static_selectorELNS0_4arch9wavefront6targetE0EEEvSY_.numbered_sgpr, 0
	.set _ZN7rocprim17ROCPRIM_400000_NS6detail17trampoline_kernelINS0_13select_configILj256ELj13ELNS0_17block_load_methodE3ELS4_3ELS4_3ELNS0_20block_scan_algorithmE0ELj4294967295EEENS1_25partition_config_selectorILNS1_17partition_subalgoE3EjNS0_10empty_typeEbEEZZNS1_14partition_implILS8_3ELb0ES6_jNS0_17counting_iteratorIjlEEPS9_SE_NS0_5tupleIJPjSE_EEENSF_IJSE_SE_EEES9_SG_JZNS1_25segmented_radix_sort_implINS0_14default_configELb1EPKiPiPKlPlN2at6native12_GLOBAL__N_18offset_tEEE10hipError_tPvRmT1_PNSt15iterator_traitsISY_E10value_typeET2_T3_PNSZ_IS14_E10value_typeET4_jRbjT5_S1A_jjP12ihipStream_tbEUljE_EEESV_SW_SX_S14_S18_S1A_T6_T7_T9_mT8_S1C_bDpT10_ENKUlT_T0_E_clISt17integral_constantIbLb1EES1O_IbLb0EEEEDaS1K_S1L_EUlS1K_E_NS1_11comp_targetILNS1_3genE5ELNS1_11target_archE942ELNS1_3gpuE9ELNS1_3repE0EEENS1_30default_config_static_selectorELNS0_4arch9wavefront6targetE0EEEvSY_.num_named_barrier, 0
	.set _ZN7rocprim17ROCPRIM_400000_NS6detail17trampoline_kernelINS0_13select_configILj256ELj13ELNS0_17block_load_methodE3ELS4_3ELS4_3ELNS0_20block_scan_algorithmE0ELj4294967295EEENS1_25partition_config_selectorILNS1_17partition_subalgoE3EjNS0_10empty_typeEbEEZZNS1_14partition_implILS8_3ELb0ES6_jNS0_17counting_iteratorIjlEEPS9_SE_NS0_5tupleIJPjSE_EEENSF_IJSE_SE_EEES9_SG_JZNS1_25segmented_radix_sort_implINS0_14default_configELb1EPKiPiPKlPlN2at6native12_GLOBAL__N_18offset_tEEE10hipError_tPvRmT1_PNSt15iterator_traitsISY_E10value_typeET2_T3_PNSZ_IS14_E10value_typeET4_jRbjT5_S1A_jjP12ihipStream_tbEUljE_EEESV_SW_SX_S14_S18_S1A_T6_T7_T9_mT8_S1C_bDpT10_ENKUlT_T0_E_clISt17integral_constantIbLb1EES1O_IbLb0EEEEDaS1K_S1L_EUlS1K_E_NS1_11comp_targetILNS1_3genE5ELNS1_11target_archE942ELNS1_3gpuE9ELNS1_3repE0EEENS1_30default_config_static_selectorELNS0_4arch9wavefront6targetE0EEEvSY_.private_seg_size, 0
	.set _ZN7rocprim17ROCPRIM_400000_NS6detail17trampoline_kernelINS0_13select_configILj256ELj13ELNS0_17block_load_methodE3ELS4_3ELS4_3ELNS0_20block_scan_algorithmE0ELj4294967295EEENS1_25partition_config_selectorILNS1_17partition_subalgoE3EjNS0_10empty_typeEbEEZZNS1_14partition_implILS8_3ELb0ES6_jNS0_17counting_iteratorIjlEEPS9_SE_NS0_5tupleIJPjSE_EEENSF_IJSE_SE_EEES9_SG_JZNS1_25segmented_radix_sort_implINS0_14default_configELb1EPKiPiPKlPlN2at6native12_GLOBAL__N_18offset_tEEE10hipError_tPvRmT1_PNSt15iterator_traitsISY_E10value_typeET2_T3_PNSZ_IS14_E10value_typeET4_jRbjT5_S1A_jjP12ihipStream_tbEUljE_EEESV_SW_SX_S14_S18_S1A_T6_T7_T9_mT8_S1C_bDpT10_ENKUlT_T0_E_clISt17integral_constantIbLb1EES1O_IbLb0EEEEDaS1K_S1L_EUlS1K_E_NS1_11comp_targetILNS1_3genE5ELNS1_11target_archE942ELNS1_3gpuE9ELNS1_3repE0EEENS1_30default_config_static_selectorELNS0_4arch9wavefront6targetE0EEEvSY_.uses_vcc, 0
	.set _ZN7rocprim17ROCPRIM_400000_NS6detail17trampoline_kernelINS0_13select_configILj256ELj13ELNS0_17block_load_methodE3ELS4_3ELS4_3ELNS0_20block_scan_algorithmE0ELj4294967295EEENS1_25partition_config_selectorILNS1_17partition_subalgoE3EjNS0_10empty_typeEbEEZZNS1_14partition_implILS8_3ELb0ES6_jNS0_17counting_iteratorIjlEEPS9_SE_NS0_5tupleIJPjSE_EEENSF_IJSE_SE_EEES9_SG_JZNS1_25segmented_radix_sort_implINS0_14default_configELb1EPKiPiPKlPlN2at6native12_GLOBAL__N_18offset_tEEE10hipError_tPvRmT1_PNSt15iterator_traitsISY_E10value_typeET2_T3_PNSZ_IS14_E10value_typeET4_jRbjT5_S1A_jjP12ihipStream_tbEUljE_EEESV_SW_SX_S14_S18_S1A_T6_T7_T9_mT8_S1C_bDpT10_ENKUlT_T0_E_clISt17integral_constantIbLb1EES1O_IbLb0EEEEDaS1K_S1L_EUlS1K_E_NS1_11comp_targetILNS1_3genE5ELNS1_11target_archE942ELNS1_3gpuE9ELNS1_3repE0EEENS1_30default_config_static_selectorELNS0_4arch9wavefront6targetE0EEEvSY_.uses_flat_scratch, 0
	.set _ZN7rocprim17ROCPRIM_400000_NS6detail17trampoline_kernelINS0_13select_configILj256ELj13ELNS0_17block_load_methodE3ELS4_3ELS4_3ELNS0_20block_scan_algorithmE0ELj4294967295EEENS1_25partition_config_selectorILNS1_17partition_subalgoE3EjNS0_10empty_typeEbEEZZNS1_14partition_implILS8_3ELb0ES6_jNS0_17counting_iteratorIjlEEPS9_SE_NS0_5tupleIJPjSE_EEENSF_IJSE_SE_EEES9_SG_JZNS1_25segmented_radix_sort_implINS0_14default_configELb1EPKiPiPKlPlN2at6native12_GLOBAL__N_18offset_tEEE10hipError_tPvRmT1_PNSt15iterator_traitsISY_E10value_typeET2_T3_PNSZ_IS14_E10value_typeET4_jRbjT5_S1A_jjP12ihipStream_tbEUljE_EEESV_SW_SX_S14_S18_S1A_T6_T7_T9_mT8_S1C_bDpT10_ENKUlT_T0_E_clISt17integral_constantIbLb1EES1O_IbLb0EEEEDaS1K_S1L_EUlS1K_E_NS1_11comp_targetILNS1_3genE5ELNS1_11target_archE942ELNS1_3gpuE9ELNS1_3repE0EEENS1_30default_config_static_selectorELNS0_4arch9wavefront6targetE0EEEvSY_.has_dyn_sized_stack, 0
	.set _ZN7rocprim17ROCPRIM_400000_NS6detail17trampoline_kernelINS0_13select_configILj256ELj13ELNS0_17block_load_methodE3ELS4_3ELS4_3ELNS0_20block_scan_algorithmE0ELj4294967295EEENS1_25partition_config_selectorILNS1_17partition_subalgoE3EjNS0_10empty_typeEbEEZZNS1_14partition_implILS8_3ELb0ES6_jNS0_17counting_iteratorIjlEEPS9_SE_NS0_5tupleIJPjSE_EEENSF_IJSE_SE_EEES9_SG_JZNS1_25segmented_radix_sort_implINS0_14default_configELb1EPKiPiPKlPlN2at6native12_GLOBAL__N_18offset_tEEE10hipError_tPvRmT1_PNSt15iterator_traitsISY_E10value_typeET2_T3_PNSZ_IS14_E10value_typeET4_jRbjT5_S1A_jjP12ihipStream_tbEUljE_EEESV_SW_SX_S14_S18_S1A_T6_T7_T9_mT8_S1C_bDpT10_ENKUlT_T0_E_clISt17integral_constantIbLb1EES1O_IbLb0EEEEDaS1K_S1L_EUlS1K_E_NS1_11comp_targetILNS1_3genE5ELNS1_11target_archE942ELNS1_3gpuE9ELNS1_3repE0EEENS1_30default_config_static_selectorELNS0_4arch9wavefront6targetE0EEEvSY_.has_recursion, 0
	.set _ZN7rocprim17ROCPRIM_400000_NS6detail17trampoline_kernelINS0_13select_configILj256ELj13ELNS0_17block_load_methodE3ELS4_3ELS4_3ELNS0_20block_scan_algorithmE0ELj4294967295EEENS1_25partition_config_selectorILNS1_17partition_subalgoE3EjNS0_10empty_typeEbEEZZNS1_14partition_implILS8_3ELb0ES6_jNS0_17counting_iteratorIjlEEPS9_SE_NS0_5tupleIJPjSE_EEENSF_IJSE_SE_EEES9_SG_JZNS1_25segmented_radix_sort_implINS0_14default_configELb1EPKiPiPKlPlN2at6native12_GLOBAL__N_18offset_tEEE10hipError_tPvRmT1_PNSt15iterator_traitsISY_E10value_typeET2_T3_PNSZ_IS14_E10value_typeET4_jRbjT5_S1A_jjP12ihipStream_tbEUljE_EEESV_SW_SX_S14_S18_S1A_T6_T7_T9_mT8_S1C_bDpT10_ENKUlT_T0_E_clISt17integral_constantIbLb1EES1O_IbLb0EEEEDaS1K_S1L_EUlS1K_E_NS1_11comp_targetILNS1_3genE5ELNS1_11target_archE942ELNS1_3gpuE9ELNS1_3repE0EEENS1_30default_config_static_selectorELNS0_4arch9wavefront6targetE0EEEvSY_.has_indirect_call, 0
	.section	.AMDGPU.csdata,"",@progbits
; Kernel info:
; codeLenInByte = 0
; TotalNumSgprs: 0
; NumVgprs: 0
; ScratchSize: 0
; MemoryBound: 0
; FloatMode: 240
; IeeeMode: 1
; LDSByteSize: 0 bytes/workgroup (compile time only)
; SGPRBlocks: 0
; VGPRBlocks: 0
; NumSGPRsForWavesPerEU: 1
; NumVGPRsForWavesPerEU: 1
; Occupancy: 16
; WaveLimiterHint : 0
; COMPUTE_PGM_RSRC2:SCRATCH_EN: 0
; COMPUTE_PGM_RSRC2:USER_SGPR: 2
; COMPUTE_PGM_RSRC2:TRAP_HANDLER: 0
; COMPUTE_PGM_RSRC2:TGID_X_EN: 1
; COMPUTE_PGM_RSRC2:TGID_Y_EN: 0
; COMPUTE_PGM_RSRC2:TGID_Z_EN: 0
; COMPUTE_PGM_RSRC2:TIDIG_COMP_CNT: 0
	.section	.text._ZN7rocprim17ROCPRIM_400000_NS6detail17trampoline_kernelINS0_13select_configILj256ELj13ELNS0_17block_load_methodE3ELS4_3ELS4_3ELNS0_20block_scan_algorithmE0ELj4294967295EEENS1_25partition_config_selectorILNS1_17partition_subalgoE3EjNS0_10empty_typeEbEEZZNS1_14partition_implILS8_3ELb0ES6_jNS0_17counting_iteratorIjlEEPS9_SE_NS0_5tupleIJPjSE_EEENSF_IJSE_SE_EEES9_SG_JZNS1_25segmented_radix_sort_implINS0_14default_configELb1EPKiPiPKlPlN2at6native12_GLOBAL__N_18offset_tEEE10hipError_tPvRmT1_PNSt15iterator_traitsISY_E10value_typeET2_T3_PNSZ_IS14_E10value_typeET4_jRbjT5_S1A_jjP12ihipStream_tbEUljE_EEESV_SW_SX_S14_S18_S1A_T6_T7_T9_mT8_S1C_bDpT10_ENKUlT_T0_E_clISt17integral_constantIbLb1EES1O_IbLb0EEEEDaS1K_S1L_EUlS1K_E_NS1_11comp_targetILNS1_3genE4ELNS1_11target_archE910ELNS1_3gpuE8ELNS1_3repE0EEENS1_30default_config_static_selectorELNS0_4arch9wavefront6targetE0EEEvSY_,"axG",@progbits,_ZN7rocprim17ROCPRIM_400000_NS6detail17trampoline_kernelINS0_13select_configILj256ELj13ELNS0_17block_load_methodE3ELS4_3ELS4_3ELNS0_20block_scan_algorithmE0ELj4294967295EEENS1_25partition_config_selectorILNS1_17partition_subalgoE3EjNS0_10empty_typeEbEEZZNS1_14partition_implILS8_3ELb0ES6_jNS0_17counting_iteratorIjlEEPS9_SE_NS0_5tupleIJPjSE_EEENSF_IJSE_SE_EEES9_SG_JZNS1_25segmented_radix_sort_implINS0_14default_configELb1EPKiPiPKlPlN2at6native12_GLOBAL__N_18offset_tEEE10hipError_tPvRmT1_PNSt15iterator_traitsISY_E10value_typeET2_T3_PNSZ_IS14_E10value_typeET4_jRbjT5_S1A_jjP12ihipStream_tbEUljE_EEESV_SW_SX_S14_S18_S1A_T6_T7_T9_mT8_S1C_bDpT10_ENKUlT_T0_E_clISt17integral_constantIbLb1EES1O_IbLb0EEEEDaS1K_S1L_EUlS1K_E_NS1_11comp_targetILNS1_3genE4ELNS1_11target_archE910ELNS1_3gpuE8ELNS1_3repE0EEENS1_30default_config_static_selectorELNS0_4arch9wavefront6targetE0EEEvSY_,comdat
	.globl	_ZN7rocprim17ROCPRIM_400000_NS6detail17trampoline_kernelINS0_13select_configILj256ELj13ELNS0_17block_load_methodE3ELS4_3ELS4_3ELNS0_20block_scan_algorithmE0ELj4294967295EEENS1_25partition_config_selectorILNS1_17partition_subalgoE3EjNS0_10empty_typeEbEEZZNS1_14partition_implILS8_3ELb0ES6_jNS0_17counting_iteratorIjlEEPS9_SE_NS0_5tupleIJPjSE_EEENSF_IJSE_SE_EEES9_SG_JZNS1_25segmented_radix_sort_implINS0_14default_configELb1EPKiPiPKlPlN2at6native12_GLOBAL__N_18offset_tEEE10hipError_tPvRmT1_PNSt15iterator_traitsISY_E10value_typeET2_T3_PNSZ_IS14_E10value_typeET4_jRbjT5_S1A_jjP12ihipStream_tbEUljE_EEESV_SW_SX_S14_S18_S1A_T6_T7_T9_mT8_S1C_bDpT10_ENKUlT_T0_E_clISt17integral_constantIbLb1EES1O_IbLb0EEEEDaS1K_S1L_EUlS1K_E_NS1_11comp_targetILNS1_3genE4ELNS1_11target_archE910ELNS1_3gpuE8ELNS1_3repE0EEENS1_30default_config_static_selectorELNS0_4arch9wavefront6targetE0EEEvSY_ ; -- Begin function _ZN7rocprim17ROCPRIM_400000_NS6detail17trampoline_kernelINS0_13select_configILj256ELj13ELNS0_17block_load_methodE3ELS4_3ELS4_3ELNS0_20block_scan_algorithmE0ELj4294967295EEENS1_25partition_config_selectorILNS1_17partition_subalgoE3EjNS0_10empty_typeEbEEZZNS1_14partition_implILS8_3ELb0ES6_jNS0_17counting_iteratorIjlEEPS9_SE_NS0_5tupleIJPjSE_EEENSF_IJSE_SE_EEES9_SG_JZNS1_25segmented_radix_sort_implINS0_14default_configELb1EPKiPiPKlPlN2at6native12_GLOBAL__N_18offset_tEEE10hipError_tPvRmT1_PNSt15iterator_traitsISY_E10value_typeET2_T3_PNSZ_IS14_E10value_typeET4_jRbjT5_S1A_jjP12ihipStream_tbEUljE_EEESV_SW_SX_S14_S18_S1A_T6_T7_T9_mT8_S1C_bDpT10_ENKUlT_T0_E_clISt17integral_constantIbLb1EES1O_IbLb0EEEEDaS1K_S1L_EUlS1K_E_NS1_11comp_targetILNS1_3genE4ELNS1_11target_archE910ELNS1_3gpuE8ELNS1_3repE0EEENS1_30default_config_static_selectorELNS0_4arch9wavefront6targetE0EEEvSY_
	.p2align	8
	.type	_ZN7rocprim17ROCPRIM_400000_NS6detail17trampoline_kernelINS0_13select_configILj256ELj13ELNS0_17block_load_methodE3ELS4_3ELS4_3ELNS0_20block_scan_algorithmE0ELj4294967295EEENS1_25partition_config_selectorILNS1_17partition_subalgoE3EjNS0_10empty_typeEbEEZZNS1_14partition_implILS8_3ELb0ES6_jNS0_17counting_iteratorIjlEEPS9_SE_NS0_5tupleIJPjSE_EEENSF_IJSE_SE_EEES9_SG_JZNS1_25segmented_radix_sort_implINS0_14default_configELb1EPKiPiPKlPlN2at6native12_GLOBAL__N_18offset_tEEE10hipError_tPvRmT1_PNSt15iterator_traitsISY_E10value_typeET2_T3_PNSZ_IS14_E10value_typeET4_jRbjT5_S1A_jjP12ihipStream_tbEUljE_EEESV_SW_SX_S14_S18_S1A_T6_T7_T9_mT8_S1C_bDpT10_ENKUlT_T0_E_clISt17integral_constantIbLb1EES1O_IbLb0EEEEDaS1K_S1L_EUlS1K_E_NS1_11comp_targetILNS1_3genE4ELNS1_11target_archE910ELNS1_3gpuE8ELNS1_3repE0EEENS1_30default_config_static_selectorELNS0_4arch9wavefront6targetE0EEEvSY_,@function
_ZN7rocprim17ROCPRIM_400000_NS6detail17trampoline_kernelINS0_13select_configILj256ELj13ELNS0_17block_load_methodE3ELS4_3ELS4_3ELNS0_20block_scan_algorithmE0ELj4294967295EEENS1_25partition_config_selectorILNS1_17partition_subalgoE3EjNS0_10empty_typeEbEEZZNS1_14partition_implILS8_3ELb0ES6_jNS0_17counting_iteratorIjlEEPS9_SE_NS0_5tupleIJPjSE_EEENSF_IJSE_SE_EEES9_SG_JZNS1_25segmented_radix_sort_implINS0_14default_configELb1EPKiPiPKlPlN2at6native12_GLOBAL__N_18offset_tEEE10hipError_tPvRmT1_PNSt15iterator_traitsISY_E10value_typeET2_T3_PNSZ_IS14_E10value_typeET4_jRbjT5_S1A_jjP12ihipStream_tbEUljE_EEESV_SW_SX_S14_S18_S1A_T6_T7_T9_mT8_S1C_bDpT10_ENKUlT_T0_E_clISt17integral_constantIbLb1EES1O_IbLb0EEEEDaS1K_S1L_EUlS1K_E_NS1_11comp_targetILNS1_3genE4ELNS1_11target_archE910ELNS1_3gpuE8ELNS1_3repE0EEENS1_30default_config_static_selectorELNS0_4arch9wavefront6targetE0EEEvSY_: ; @_ZN7rocprim17ROCPRIM_400000_NS6detail17trampoline_kernelINS0_13select_configILj256ELj13ELNS0_17block_load_methodE3ELS4_3ELS4_3ELNS0_20block_scan_algorithmE0ELj4294967295EEENS1_25partition_config_selectorILNS1_17partition_subalgoE3EjNS0_10empty_typeEbEEZZNS1_14partition_implILS8_3ELb0ES6_jNS0_17counting_iteratorIjlEEPS9_SE_NS0_5tupleIJPjSE_EEENSF_IJSE_SE_EEES9_SG_JZNS1_25segmented_radix_sort_implINS0_14default_configELb1EPKiPiPKlPlN2at6native12_GLOBAL__N_18offset_tEEE10hipError_tPvRmT1_PNSt15iterator_traitsISY_E10value_typeET2_T3_PNSZ_IS14_E10value_typeET4_jRbjT5_S1A_jjP12ihipStream_tbEUljE_EEESV_SW_SX_S14_S18_S1A_T6_T7_T9_mT8_S1C_bDpT10_ENKUlT_T0_E_clISt17integral_constantIbLb1EES1O_IbLb0EEEEDaS1K_S1L_EUlS1K_E_NS1_11comp_targetILNS1_3genE4ELNS1_11target_archE910ELNS1_3gpuE8ELNS1_3repE0EEENS1_30default_config_static_selectorELNS0_4arch9wavefront6targetE0EEEvSY_
; %bb.0:
	.section	.rodata,"a",@progbits
	.p2align	6, 0x0
	.amdhsa_kernel _ZN7rocprim17ROCPRIM_400000_NS6detail17trampoline_kernelINS0_13select_configILj256ELj13ELNS0_17block_load_methodE3ELS4_3ELS4_3ELNS0_20block_scan_algorithmE0ELj4294967295EEENS1_25partition_config_selectorILNS1_17partition_subalgoE3EjNS0_10empty_typeEbEEZZNS1_14partition_implILS8_3ELb0ES6_jNS0_17counting_iteratorIjlEEPS9_SE_NS0_5tupleIJPjSE_EEENSF_IJSE_SE_EEES9_SG_JZNS1_25segmented_radix_sort_implINS0_14default_configELb1EPKiPiPKlPlN2at6native12_GLOBAL__N_18offset_tEEE10hipError_tPvRmT1_PNSt15iterator_traitsISY_E10value_typeET2_T3_PNSZ_IS14_E10value_typeET4_jRbjT5_S1A_jjP12ihipStream_tbEUljE_EEESV_SW_SX_S14_S18_S1A_T6_T7_T9_mT8_S1C_bDpT10_ENKUlT_T0_E_clISt17integral_constantIbLb1EES1O_IbLb0EEEEDaS1K_S1L_EUlS1K_E_NS1_11comp_targetILNS1_3genE4ELNS1_11target_archE910ELNS1_3gpuE8ELNS1_3repE0EEENS1_30default_config_static_selectorELNS0_4arch9wavefront6targetE0EEEvSY_
		.amdhsa_group_segment_fixed_size 0
		.amdhsa_private_segment_fixed_size 0
		.amdhsa_kernarg_size 144
		.amdhsa_user_sgpr_count 2
		.amdhsa_user_sgpr_dispatch_ptr 0
		.amdhsa_user_sgpr_queue_ptr 0
		.amdhsa_user_sgpr_kernarg_segment_ptr 1
		.amdhsa_user_sgpr_dispatch_id 0
		.amdhsa_user_sgpr_private_segment_size 0
		.amdhsa_wavefront_size32 1
		.amdhsa_uses_dynamic_stack 0
		.amdhsa_enable_private_segment 0
		.amdhsa_system_sgpr_workgroup_id_x 1
		.amdhsa_system_sgpr_workgroup_id_y 0
		.amdhsa_system_sgpr_workgroup_id_z 0
		.amdhsa_system_sgpr_workgroup_info 0
		.amdhsa_system_vgpr_workitem_id 0
		.amdhsa_next_free_vgpr 1
		.amdhsa_next_free_sgpr 1
		.amdhsa_reserve_vcc 0
		.amdhsa_float_round_mode_32 0
		.amdhsa_float_round_mode_16_64 0
		.amdhsa_float_denorm_mode_32 3
		.amdhsa_float_denorm_mode_16_64 3
		.amdhsa_fp16_overflow 0
		.amdhsa_workgroup_processor_mode 1
		.amdhsa_memory_ordered 1
		.amdhsa_forward_progress 1
		.amdhsa_inst_pref_size 0
		.amdhsa_round_robin_scheduling 0
		.amdhsa_exception_fp_ieee_invalid_op 0
		.amdhsa_exception_fp_denorm_src 0
		.amdhsa_exception_fp_ieee_div_zero 0
		.amdhsa_exception_fp_ieee_overflow 0
		.amdhsa_exception_fp_ieee_underflow 0
		.amdhsa_exception_fp_ieee_inexact 0
		.amdhsa_exception_int_div_zero 0
	.end_amdhsa_kernel
	.section	.text._ZN7rocprim17ROCPRIM_400000_NS6detail17trampoline_kernelINS0_13select_configILj256ELj13ELNS0_17block_load_methodE3ELS4_3ELS4_3ELNS0_20block_scan_algorithmE0ELj4294967295EEENS1_25partition_config_selectorILNS1_17partition_subalgoE3EjNS0_10empty_typeEbEEZZNS1_14partition_implILS8_3ELb0ES6_jNS0_17counting_iteratorIjlEEPS9_SE_NS0_5tupleIJPjSE_EEENSF_IJSE_SE_EEES9_SG_JZNS1_25segmented_radix_sort_implINS0_14default_configELb1EPKiPiPKlPlN2at6native12_GLOBAL__N_18offset_tEEE10hipError_tPvRmT1_PNSt15iterator_traitsISY_E10value_typeET2_T3_PNSZ_IS14_E10value_typeET4_jRbjT5_S1A_jjP12ihipStream_tbEUljE_EEESV_SW_SX_S14_S18_S1A_T6_T7_T9_mT8_S1C_bDpT10_ENKUlT_T0_E_clISt17integral_constantIbLb1EES1O_IbLb0EEEEDaS1K_S1L_EUlS1K_E_NS1_11comp_targetILNS1_3genE4ELNS1_11target_archE910ELNS1_3gpuE8ELNS1_3repE0EEENS1_30default_config_static_selectorELNS0_4arch9wavefront6targetE0EEEvSY_,"axG",@progbits,_ZN7rocprim17ROCPRIM_400000_NS6detail17trampoline_kernelINS0_13select_configILj256ELj13ELNS0_17block_load_methodE3ELS4_3ELS4_3ELNS0_20block_scan_algorithmE0ELj4294967295EEENS1_25partition_config_selectorILNS1_17partition_subalgoE3EjNS0_10empty_typeEbEEZZNS1_14partition_implILS8_3ELb0ES6_jNS0_17counting_iteratorIjlEEPS9_SE_NS0_5tupleIJPjSE_EEENSF_IJSE_SE_EEES9_SG_JZNS1_25segmented_radix_sort_implINS0_14default_configELb1EPKiPiPKlPlN2at6native12_GLOBAL__N_18offset_tEEE10hipError_tPvRmT1_PNSt15iterator_traitsISY_E10value_typeET2_T3_PNSZ_IS14_E10value_typeET4_jRbjT5_S1A_jjP12ihipStream_tbEUljE_EEESV_SW_SX_S14_S18_S1A_T6_T7_T9_mT8_S1C_bDpT10_ENKUlT_T0_E_clISt17integral_constantIbLb1EES1O_IbLb0EEEEDaS1K_S1L_EUlS1K_E_NS1_11comp_targetILNS1_3genE4ELNS1_11target_archE910ELNS1_3gpuE8ELNS1_3repE0EEENS1_30default_config_static_selectorELNS0_4arch9wavefront6targetE0EEEvSY_,comdat
.Lfunc_end483:
	.size	_ZN7rocprim17ROCPRIM_400000_NS6detail17trampoline_kernelINS0_13select_configILj256ELj13ELNS0_17block_load_methodE3ELS4_3ELS4_3ELNS0_20block_scan_algorithmE0ELj4294967295EEENS1_25partition_config_selectorILNS1_17partition_subalgoE3EjNS0_10empty_typeEbEEZZNS1_14partition_implILS8_3ELb0ES6_jNS0_17counting_iteratorIjlEEPS9_SE_NS0_5tupleIJPjSE_EEENSF_IJSE_SE_EEES9_SG_JZNS1_25segmented_radix_sort_implINS0_14default_configELb1EPKiPiPKlPlN2at6native12_GLOBAL__N_18offset_tEEE10hipError_tPvRmT1_PNSt15iterator_traitsISY_E10value_typeET2_T3_PNSZ_IS14_E10value_typeET4_jRbjT5_S1A_jjP12ihipStream_tbEUljE_EEESV_SW_SX_S14_S18_S1A_T6_T7_T9_mT8_S1C_bDpT10_ENKUlT_T0_E_clISt17integral_constantIbLb1EES1O_IbLb0EEEEDaS1K_S1L_EUlS1K_E_NS1_11comp_targetILNS1_3genE4ELNS1_11target_archE910ELNS1_3gpuE8ELNS1_3repE0EEENS1_30default_config_static_selectorELNS0_4arch9wavefront6targetE0EEEvSY_, .Lfunc_end483-_ZN7rocprim17ROCPRIM_400000_NS6detail17trampoline_kernelINS0_13select_configILj256ELj13ELNS0_17block_load_methodE3ELS4_3ELS4_3ELNS0_20block_scan_algorithmE0ELj4294967295EEENS1_25partition_config_selectorILNS1_17partition_subalgoE3EjNS0_10empty_typeEbEEZZNS1_14partition_implILS8_3ELb0ES6_jNS0_17counting_iteratorIjlEEPS9_SE_NS0_5tupleIJPjSE_EEENSF_IJSE_SE_EEES9_SG_JZNS1_25segmented_radix_sort_implINS0_14default_configELb1EPKiPiPKlPlN2at6native12_GLOBAL__N_18offset_tEEE10hipError_tPvRmT1_PNSt15iterator_traitsISY_E10value_typeET2_T3_PNSZ_IS14_E10value_typeET4_jRbjT5_S1A_jjP12ihipStream_tbEUljE_EEESV_SW_SX_S14_S18_S1A_T6_T7_T9_mT8_S1C_bDpT10_ENKUlT_T0_E_clISt17integral_constantIbLb1EES1O_IbLb0EEEEDaS1K_S1L_EUlS1K_E_NS1_11comp_targetILNS1_3genE4ELNS1_11target_archE910ELNS1_3gpuE8ELNS1_3repE0EEENS1_30default_config_static_selectorELNS0_4arch9wavefront6targetE0EEEvSY_
                                        ; -- End function
	.set _ZN7rocprim17ROCPRIM_400000_NS6detail17trampoline_kernelINS0_13select_configILj256ELj13ELNS0_17block_load_methodE3ELS4_3ELS4_3ELNS0_20block_scan_algorithmE0ELj4294967295EEENS1_25partition_config_selectorILNS1_17partition_subalgoE3EjNS0_10empty_typeEbEEZZNS1_14partition_implILS8_3ELb0ES6_jNS0_17counting_iteratorIjlEEPS9_SE_NS0_5tupleIJPjSE_EEENSF_IJSE_SE_EEES9_SG_JZNS1_25segmented_radix_sort_implINS0_14default_configELb1EPKiPiPKlPlN2at6native12_GLOBAL__N_18offset_tEEE10hipError_tPvRmT1_PNSt15iterator_traitsISY_E10value_typeET2_T3_PNSZ_IS14_E10value_typeET4_jRbjT5_S1A_jjP12ihipStream_tbEUljE_EEESV_SW_SX_S14_S18_S1A_T6_T7_T9_mT8_S1C_bDpT10_ENKUlT_T0_E_clISt17integral_constantIbLb1EES1O_IbLb0EEEEDaS1K_S1L_EUlS1K_E_NS1_11comp_targetILNS1_3genE4ELNS1_11target_archE910ELNS1_3gpuE8ELNS1_3repE0EEENS1_30default_config_static_selectorELNS0_4arch9wavefront6targetE0EEEvSY_.num_vgpr, 0
	.set _ZN7rocprim17ROCPRIM_400000_NS6detail17trampoline_kernelINS0_13select_configILj256ELj13ELNS0_17block_load_methodE3ELS4_3ELS4_3ELNS0_20block_scan_algorithmE0ELj4294967295EEENS1_25partition_config_selectorILNS1_17partition_subalgoE3EjNS0_10empty_typeEbEEZZNS1_14partition_implILS8_3ELb0ES6_jNS0_17counting_iteratorIjlEEPS9_SE_NS0_5tupleIJPjSE_EEENSF_IJSE_SE_EEES9_SG_JZNS1_25segmented_radix_sort_implINS0_14default_configELb1EPKiPiPKlPlN2at6native12_GLOBAL__N_18offset_tEEE10hipError_tPvRmT1_PNSt15iterator_traitsISY_E10value_typeET2_T3_PNSZ_IS14_E10value_typeET4_jRbjT5_S1A_jjP12ihipStream_tbEUljE_EEESV_SW_SX_S14_S18_S1A_T6_T7_T9_mT8_S1C_bDpT10_ENKUlT_T0_E_clISt17integral_constantIbLb1EES1O_IbLb0EEEEDaS1K_S1L_EUlS1K_E_NS1_11comp_targetILNS1_3genE4ELNS1_11target_archE910ELNS1_3gpuE8ELNS1_3repE0EEENS1_30default_config_static_selectorELNS0_4arch9wavefront6targetE0EEEvSY_.num_agpr, 0
	.set _ZN7rocprim17ROCPRIM_400000_NS6detail17trampoline_kernelINS0_13select_configILj256ELj13ELNS0_17block_load_methodE3ELS4_3ELS4_3ELNS0_20block_scan_algorithmE0ELj4294967295EEENS1_25partition_config_selectorILNS1_17partition_subalgoE3EjNS0_10empty_typeEbEEZZNS1_14partition_implILS8_3ELb0ES6_jNS0_17counting_iteratorIjlEEPS9_SE_NS0_5tupleIJPjSE_EEENSF_IJSE_SE_EEES9_SG_JZNS1_25segmented_radix_sort_implINS0_14default_configELb1EPKiPiPKlPlN2at6native12_GLOBAL__N_18offset_tEEE10hipError_tPvRmT1_PNSt15iterator_traitsISY_E10value_typeET2_T3_PNSZ_IS14_E10value_typeET4_jRbjT5_S1A_jjP12ihipStream_tbEUljE_EEESV_SW_SX_S14_S18_S1A_T6_T7_T9_mT8_S1C_bDpT10_ENKUlT_T0_E_clISt17integral_constantIbLb1EES1O_IbLb0EEEEDaS1K_S1L_EUlS1K_E_NS1_11comp_targetILNS1_3genE4ELNS1_11target_archE910ELNS1_3gpuE8ELNS1_3repE0EEENS1_30default_config_static_selectorELNS0_4arch9wavefront6targetE0EEEvSY_.numbered_sgpr, 0
	.set _ZN7rocprim17ROCPRIM_400000_NS6detail17trampoline_kernelINS0_13select_configILj256ELj13ELNS0_17block_load_methodE3ELS4_3ELS4_3ELNS0_20block_scan_algorithmE0ELj4294967295EEENS1_25partition_config_selectorILNS1_17partition_subalgoE3EjNS0_10empty_typeEbEEZZNS1_14partition_implILS8_3ELb0ES6_jNS0_17counting_iteratorIjlEEPS9_SE_NS0_5tupleIJPjSE_EEENSF_IJSE_SE_EEES9_SG_JZNS1_25segmented_radix_sort_implINS0_14default_configELb1EPKiPiPKlPlN2at6native12_GLOBAL__N_18offset_tEEE10hipError_tPvRmT1_PNSt15iterator_traitsISY_E10value_typeET2_T3_PNSZ_IS14_E10value_typeET4_jRbjT5_S1A_jjP12ihipStream_tbEUljE_EEESV_SW_SX_S14_S18_S1A_T6_T7_T9_mT8_S1C_bDpT10_ENKUlT_T0_E_clISt17integral_constantIbLb1EES1O_IbLb0EEEEDaS1K_S1L_EUlS1K_E_NS1_11comp_targetILNS1_3genE4ELNS1_11target_archE910ELNS1_3gpuE8ELNS1_3repE0EEENS1_30default_config_static_selectorELNS0_4arch9wavefront6targetE0EEEvSY_.num_named_barrier, 0
	.set _ZN7rocprim17ROCPRIM_400000_NS6detail17trampoline_kernelINS0_13select_configILj256ELj13ELNS0_17block_load_methodE3ELS4_3ELS4_3ELNS0_20block_scan_algorithmE0ELj4294967295EEENS1_25partition_config_selectorILNS1_17partition_subalgoE3EjNS0_10empty_typeEbEEZZNS1_14partition_implILS8_3ELb0ES6_jNS0_17counting_iteratorIjlEEPS9_SE_NS0_5tupleIJPjSE_EEENSF_IJSE_SE_EEES9_SG_JZNS1_25segmented_radix_sort_implINS0_14default_configELb1EPKiPiPKlPlN2at6native12_GLOBAL__N_18offset_tEEE10hipError_tPvRmT1_PNSt15iterator_traitsISY_E10value_typeET2_T3_PNSZ_IS14_E10value_typeET4_jRbjT5_S1A_jjP12ihipStream_tbEUljE_EEESV_SW_SX_S14_S18_S1A_T6_T7_T9_mT8_S1C_bDpT10_ENKUlT_T0_E_clISt17integral_constantIbLb1EES1O_IbLb0EEEEDaS1K_S1L_EUlS1K_E_NS1_11comp_targetILNS1_3genE4ELNS1_11target_archE910ELNS1_3gpuE8ELNS1_3repE0EEENS1_30default_config_static_selectorELNS0_4arch9wavefront6targetE0EEEvSY_.private_seg_size, 0
	.set _ZN7rocprim17ROCPRIM_400000_NS6detail17trampoline_kernelINS0_13select_configILj256ELj13ELNS0_17block_load_methodE3ELS4_3ELS4_3ELNS0_20block_scan_algorithmE0ELj4294967295EEENS1_25partition_config_selectorILNS1_17partition_subalgoE3EjNS0_10empty_typeEbEEZZNS1_14partition_implILS8_3ELb0ES6_jNS0_17counting_iteratorIjlEEPS9_SE_NS0_5tupleIJPjSE_EEENSF_IJSE_SE_EEES9_SG_JZNS1_25segmented_radix_sort_implINS0_14default_configELb1EPKiPiPKlPlN2at6native12_GLOBAL__N_18offset_tEEE10hipError_tPvRmT1_PNSt15iterator_traitsISY_E10value_typeET2_T3_PNSZ_IS14_E10value_typeET4_jRbjT5_S1A_jjP12ihipStream_tbEUljE_EEESV_SW_SX_S14_S18_S1A_T6_T7_T9_mT8_S1C_bDpT10_ENKUlT_T0_E_clISt17integral_constantIbLb1EES1O_IbLb0EEEEDaS1K_S1L_EUlS1K_E_NS1_11comp_targetILNS1_3genE4ELNS1_11target_archE910ELNS1_3gpuE8ELNS1_3repE0EEENS1_30default_config_static_selectorELNS0_4arch9wavefront6targetE0EEEvSY_.uses_vcc, 0
	.set _ZN7rocprim17ROCPRIM_400000_NS6detail17trampoline_kernelINS0_13select_configILj256ELj13ELNS0_17block_load_methodE3ELS4_3ELS4_3ELNS0_20block_scan_algorithmE0ELj4294967295EEENS1_25partition_config_selectorILNS1_17partition_subalgoE3EjNS0_10empty_typeEbEEZZNS1_14partition_implILS8_3ELb0ES6_jNS0_17counting_iteratorIjlEEPS9_SE_NS0_5tupleIJPjSE_EEENSF_IJSE_SE_EEES9_SG_JZNS1_25segmented_radix_sort_implINS0_14default_configELb1EPKiPiPKlPlN2at6native12_GLOBAL__N_18offset_tEEE10hipError_tPvRmT1_PNSt15iterator_traitsISY_E10value_typeET2_T3_PNSZ_IS14_E10value_typeET4_jRbjT5_S1A_jjP12ihipStream_tbEUljE_EEESV_SW_SX_S14_S18_S1A_T6_T7_T9_mT8_S1C_bDpT10_ENKUlT_T0_E_clISt17integral_constantIbLb1EES1O_IbLb0EEEEDaS1K_S1L_EUlS1K_E_NS1_11comp_targetILNS1_3genE4ELNS1_11target_archE910ELNS1_3gpuE8ELNS1_3repE0EEENS1_30default_config_static_selectorELNS0_4arch9wavefront6targetE0EEEvSY_.uses_flat_scratch, 0
	.set _ZN7rocprim17ROCPRIM_400000_NS6detail17trampoline_kernelINS0_13select_configILj256ELj13ELNS0_17block_load_methodE3ELS4_3ELS4_3ELNS0_20block_scan_algorithmE0ELj4294967295EEENS1_25partition_config_selectorILNS1_17partition_subalgoE3EjNS0_10empty_typeEbEEZZNS1_14partition_implILS8_3ELb0ES6_jNS0_17counting_iteratorIjlEEPS9_SE_NS0_5tupleIJPjSE_EEENSF_IJSE_SE_EEES9_SG_JZNS1_25segmented_radix_sort_implINS0_14default_configELb1EPKiPiPKlPlN2at6native12_GLOBAL__N_18offset_tEEE10hipError_tPvRmT1_PNSt15iterator_traitsISY_E10value_typeET2_T3_PNSZ_IS14_E10value_typeET4_jRbjT5_S1A_jjP12ihipStream_tbEUljE_EEESV_SW_SX_S14_S18_S1A_T6_T7_T9_mT8_S1C_bDpT10_ENKUlT_T0_E_clISt17integral_constantIbLb1EES1O_IbLb0EEEEDaS1K_S1L_EUlS1K_E_NS1_11comp_targetILNS1_3genE4ELNS1_11target_archE910ELNS1_3gpuE8ELNS1_3repE0EEENS1_30default_config_static_selectorELNS0_4arch9wavefront6targetE0EEEvSY_.has_dyn_sized_stack, 0
	.set _ZN7rocprim17ROCPRIM_400000_NS6detail17trampoline_kernelINS0_13select_configILj256ELj13ELNS0_17block_load_methodE3ELS4_3ELS4_3ELNS0_20block_scan_algorithmE0ELj4294967295EEENS1_25partition_config_selectorILNS1_17partition_subalgoE3EjNS0_10empty_typeEbEEZZNS1_14partition_implILS8_3ELb0ES6_jNS0_17counting_iteratorIjlEEPS9_SE_NS0_5tupleIJPjSE_EEENSF_IJSE_SE_EEES9_SG_JZNS1_25segmented_radix_sort_implINS0_14default_configELb1EPKiPiPKlPlN2at6native12_GLOBAL__N_18offset_tEEE10hipError_tPvRmT1_PNSt15iterator_traitsISY_E10value_typeET2_T3_PNSZ_IS14_E10value_typeET4_jRbjT5_S1A_jjP12ihipStream_tbEUljE_EEESV_SW_SX_S14_S18_S1A_T6_T7_T9_mT8_S1C_bDpT10_ENKUlT_T0_E_clISt17integral_constantIbLb1EES1O_IbLb0EEEEDaS1K_S1L_EUlS1K_E_NS1_11comp_targetILNS1_3genE4ELNS1_11target_archE910ELNS1_3gpuE8ELNS1_3repE0EEENS1_30default_config_static_selectorELNS0_4arch9wavefront6targetE0EEEvSY_.has_recursion, 0
	.set _ZN7rocprim17ROCPRIM_400000_NS6detail17trampoline_kernelINS0_13select_configILj256ELj13ELNS0_17block_load_methodE3ELS4_3ELS4_3ELNS0_20block_scan_algorithmE0ELj4294967295EEENS1_25partition_config_selectorILNS1_17partition_subalgoE3EjNS0_10empty_typeEbEEZZNS1_14partition_implILS8_3ELb0ES6_jNS0_17counting_iteratorIjlEEPS9_SE_NS0_5tupleIJPjSE_EEENSF_IJSE_SE_EEES9_SG_JZNS1_25segmented_radix_sort_implINS0_14default_configELb1EPKiPiPKlPlN2at6native12_GLOBAL__N_18offset_tEEE10hipError_tPvRmT1_PNSt15iterator_traitsISY_E10value_typeET2_T3_PNSZ_IS14_E10value_typeET4_jRbjT5_S1A_jjP12ihipStream_tbEUljE_EEESV_SW_SX_S14_S18_S1A_T6_T7_T9_mT8_S1C_bDpT10_ENKUlT_T0_E_clISt17integral_constantIbLb1EES1O_IbLb0EEEEDaS1K_S1L_EUlS1K_E_NS1_11comp_targetILNS1_3genE4ELNS1_11target_archE910ELNS1_3gpuE8ELNS1_3repE0EEENS1_30default_config_static_selectorELNS0_4arch9wavefront6targetE0EEEvSY_.has_indirect_call, 0
	.section	.AMDGPU.csdata,"",@progbits
; Kernel info:
; codeLenInByte = 0
; TotalNumSgprs: 0
; NumVgprs: 0
; ScratchSize: 0
; MemoryBound: 0
; FloatMode: 240
; IeeeMode: 1
; LDSByteSize: 0 bytes/workgroup (compile time only)
; SGPRBlocks: 0
; VGPRBlocks: 0
; NumSGPRsForWavesPerEU: 1
; NumVGPRsForWavesPerEU: 1
; Occupancy: 16
; WaveLimiterHint : 0
; COMPUTE_PGM_RSRC2:SCRATCH_EN: 0
; COMPUTE_PGM_RSRC2:USER_SGPR: 2
; COMPUTE_PGM_RSRC2:TRAP_HANDLER: 0
; COMPUTE_PGM_RSRC2:TGID_X_EN: 1
; COMPUTE_PGM_RSRC2:TGID_Y_EN: 0
; COMPUTE_PGM_RSRC2:TGID_Z_EN: 0
; COMPUTE_PGM_RSRC2:TIDIG_COMP_CNT: 0
	.section	.text._ZN7rocprim17ROCPRIM_400000_NS6detail17trampoline_kernelINS0_13select_configILj256ELj13ELNS0_17block_load_methodE3ELS4_3ELS4_3ELNS0_20block_scan_algorithmE0ELj4294967295EEENS1_25partition_config_selectorILNS1_17partition_subalgoE3EjNS0_10empty_typeEbEEZZNS1_14partition_implILS8_3ELb0ES6_jNS0_17counting_iteratorIjlEEPS9_SE_NS0_5tupleIJPjSE_EEENSF_IJSE_SE_EEES9_SG_JZNS1_25segmented_radix_sort_implINS0_14default_configELb1EPKiPiPKlPlN2at6native12_GLOBAL__N_18offset_tEEE10hipError_tPvRmT1_PNSt15iterator_traitsISY_E10value_typeET2_T3_PNSZ_IS14_E10value_typeET4_jRbjT5_S1A_jjP12ihipStream_tbEUljE_EEESV_SW_SX_S14_S18_S1A_T6_T7_T9_mT8_S1C_bDpT10_ENKUlT_T0_E_clISt17integral_constantIbLb1EES1O_IbLb0EEEEDaS1K_S1L_EUlS1K_E_NS1_11comp_targetILNS1_3genE3ELNS1_11target_archE908ELNS1_3gpuE7ELNS1_3repE0EEENS1_30default_config_static_selectorELNS0_4arch9wavefront6targetE0EEEvSY_,"axG",@progbits,_ZN7rocprim17ROCPRIM_400000_NS6detail17trampoline_kernelINS0_13select_configILj256ELj13ELNS0_17block_load_methodE3ELS4_3ELS4_3ELNS0_20block_scan_algorithmE0ELj4294967295EEENS1_25partition_config_selectorILNS1_17partition_subalgoE3EjNS0_10empty_typeEbEEZZNS1_14partition_implILS8_3ELb0ES6_jNS0_17counting_iteratorIjlEEPS9_SE_NS0_5tupleIJPjSE_EEENSF_IJSE_SE_EEES9_SG_JZNS1_25segmented_radix_sort_implINS0_14default_configELb1EPKiPiPKlPlN2at6native12_GLOBAL__N_18offset_tEEE10hipError_tPvRmT1_PNSt15iterator_traitsISY_E10value_typeET2_T3_PNSZ_IS14_E10value_typeET4_jRbjT5_S1A_jjP12ihipStream_tbEUljE_EEESV_SW_SX_S14_S18_S1A_T6_T7_T9_mT8_S1C_bDpT10_ENKUlT_T0_E_clISt17integral_constantIbLb1EES1O_IbLb0EEEEDaS1K_S1L_EUlS1K_E_NS1_11comp_targetILNS1_3genE3ELNS1_11target_archE908ELNS1_3gpuE7ELNS1_3repE0EEENS1_30default_config_static_selectorELNS0_4arch9wavefront6targetE0EEEvSY_,comdat
	.globl	_ZN7rocprim17ROCPRIM_400000_NS6detail17trampoline_kernelINS0_13select_configILj256ELj13ELNS0_17block_load_methodE3ELS4_3ELS4_3ELNS0_20block_scan_algorithmE0ELj4294967295EEENS1_25partition_config_selectorILNS1_17partition_subalgoE3EjNS0_10empty_typeEbEEZZNS1_14partition_implILS8_3ELb0ES6_jNS0_17counting_iteratorIjlEEPS9_SE_NS0_5tupleIJPjSE_EEENSF_IJSE_SE_EEES9_SG_JZNS1_25segmented_radix_sort_implINS0_14default_configELb1EPKiPiPKlPlN2at6native12_GLOBAL__N_18offset_tEEE10hipError_tPvRmT1_PNSt15iterator_traitsISY_E10value_typeET2_T3_PNSZ_IS14_E10value_typeET4_jRbjT5_S1A_jjP12ihipStream_tbEUljE_EEESV_SW_SX_S14_S18_S1A_T6_T7_T9_mT8_S1C_bDpT10_ENKUlT_T0_E_clISt17integral_constantIbLb1EES1O_IbLb0EEEEDaS1K_S1L_EUlS1K_E_NS1_11comp_targetILNS1_3genE3ELNS1_11target_archE908ELNS1_3gpuE7ELNS1_3repE0EEENS1_30default_config_static_selectorELNS0_4arch9wavefront6targetE0EEEvSY_ ; -- Begin function _ZN7rocprim17ROCPRIM_400000_NS6detail17trampoline_kernelINS0_13select_configILj256ELj13ELNS0_17block_load_methodE3ELS4_3ELS4_3ELNS0_20block_scan_algorithmE0ELj4294967295EEENS1_25partition_config_selectorILNS1_17partition_subalgoE3EjNS0_10empty_typeEbEEZZNS1_14partition_implILS8_3ELb0ES6_jNS0_17counting_iteratorIjlEEPS9_SE_NS0_5tupleIJPjSE_EEENSF_IJSE_SE_EEES9_SG_JZNS1_25segmented_radix_sort_implINS0_14default_configELb1EPKiPiPKlPlN2at6native12_GLOBAL__N_18offset_tEEE10hipError_tPvRmT1_PNSt15iterator_traitsISY_E10value_typeET2_T3_PNSZ_IS14_E10value_typeET4_jRbjT5_S1A_jjP12ihipStream_tbEUljE_EEESV_SW_SX_S14_S18_S1A_T6_T7_T9_mT8_S1C_bDpT10_ENKUlT_T0_E_clISt17integral_constantIbLb1EES1O_IbLb0EEEEDaS1K_S1L_EUlS1K_E_NS1_11comp_targetILNS1_3genE3ELNS1_11target_archE908ELNS1_3gpuE7ELNS1_3repE0EEENS1_30default_config_static_selectorELNS0_4arch9wavefront6targetE0EEEvSY_
	.p2align	8
	.type	_ZN7rocprim17ROCPRIM_400000_NS6detail17trampoline_kernelINS0_13select_configILj256ELj13ELNS0_17block_load_methodE3ELS4_3ELS4_3ELNS0_20block_scan_algorithmE0ELj4294967295EEENS1_25partition_config_selectorILNS1_17partition_subalgoE3EjNS0_10empty_typeEbEEZZNS1_14partition_implILS8_3ELb0ES6_jNS0_17counting_iteratorIjlEEPS9_SE_NS0_5tupleIJPjSE_EEENSF_IJSE_SE_EEES9_SG_JZNS1_25segmented_radix_sort_implINS0_14default_configELb1EPKiPiPKlPlN2at6native12_GLOBAL__N_18offset_tEEE10hipError_tPvRmT1_PNSt15iterator_traitsISY_E10value_typeET2_T3_PNSZ_IS14_E10value_typeET4_jRbjT5_S1A_jjP12ihipStream_tbEUljE_EEESV_SW_SX_S14_S18_S1A_T6_T7_T9_mT8_S1C_bDpT10_ENKUlT_T0_E_clISt17integral_constantIbLb1EES1O_IbLb0EEEEDaS1K_S1L_EUlS1K_E_NS1_11comp_targetILNS1_3genE3ELNS1_11target_archE908ELNS1_3gpuE7ELNS1_3repE0EEENS1_30default_config_static_selectorELNS0_4arch9wavefront6targetE0EEEvSY_,@function
_ZN7rocprim17ROCPRIM_400000_NS6detail17trampoline_kernelINS0_13select_configILj256ELj13ELNS0_17block_load_methodE3ELS4_3ELS4_3ELNS0_20block_scan_algorithmE0ELj4294967295EEENS1_25partition_config_selectorILNS1_17partition_subalgoE3EjNS0_10empty_typeEbEEZZNS1_14partition_implILS8_3ELb0ES6_jNS0_17counting_iteratorIjlEEPS9_SE_NS0_5tupleIJPjSE_EEENSF_IJSE_SE_EEES9_SG_JZNS1_25segmented_radix_sort_implINS0_14default_configELb1EPKiPiPKlPlN2at6native12_GLOBAL__N_18offset_tEEE10hipError_tPvRmT1_PNSt15iterator_traitsISY_E10value_typeET2_T3_PNSZ_IS14_E10value_typeET4_jRbjT5_S1A_jjP12ihipStream_tbEUljE_EEESV_SW_SX_S14_S18_S1A_T6_T7_T9_mT8_S1C_bDpT10_ENKUlT_T0_E_clISt17integral_constantIbLb1EES1O_IbLb0EEEEDaS1K_S1L_EUlS1K_E_NS1_11comp_targetILNS1_3genE3ELNS1_11target_archE908ELNS1_3gpuE7ELNS1_3repE0EEENS1_30default_config_static_selectorELNS0_4arch9wavefront6targetE0EEEvSY_: ; @_ZN7rocprim17ROCPRIM_400000_NS6detail17trampoline_kernelINS0_13select_configILj256ELj13ELNS0_17block_load_methodE3ELS4_3ELS4_3ELNS0_20block_scan_algorithmE0ELj4294967295EEENS1_25partition_config_selectorILNS1_17partition_subalgoE3EjNS0_10empty_typeEbEEZZNS1_14partition_implILS8_3ELb0ES6_jNS0_17counting_iteratorIjlEEPS9_SE_NS0_5tupleIJPjSE_EEENSF_IJSE_SE_EEES9_SG_JZNS1_25segmented_radix_sort_implINS0_14default_configELb1EPKiPiPKlPlN2at6native12_GLOBAL__N_18offset_tEEE10hipError_tPvRmT1_PNSt15iterator_traitsISY_E10value_typeET2_T3_PNSZ_IS14_E10value_typeET4_jRbjT5_S1A_jjP12ihipStream_tbEUljE_EEESV_SW_SX_S14_S18_S1A_T6_T7_T9_mT8_S1C_bDpT10_ENKUlT_T0_E_clISt17integral_constantIbLb1EES1O_IbLb0EEEEDaS1K_S1L_EUlS1K_E_NS1_11comp_targetILNS1_3genE3ELNS1_11target_archE908ELNS1_3gpuE7ELNS1_3repE0EEENS1_30default_config_static_selectorELNS0_4arch9wavefront6targetE0EEEvSY_
; %bb.0:
	.section	.rodata,"a",@progbits
	.p2align	6, 0x0
	.amdhsa_kernel _ZN7rocprim17ROCPRIM_400000_NS6detail17trampoline_kernelINS0_13select_configILj256ELj13ELNS0_17block_load_methodE3ELS4_3ELS4_3ELNS0_20block_scan_algorithmE0ELj4294967295EEENS1_25partition_config_selectorILNS1_17partition_subalgoE3EjNS0_10empty_typeEbEEZZNS1_14partition_implILS8_3ELb0ES6_jNS0_17counting_iteratorIjlEEPS9_SE_NS0_5tupleIJPjSE_EEENSF_IJSE_SE_EEES9_SG_JZNS1_25segmented_radix_sort_implINS0_14default_configELb1EPKiPiPKlPlN2at6native12_GLOBAL__N_18offset_tEEE10hipError_tPvRmT1_PNSt15iterator_traitsISY_E10value_typeET2_T3_PNSZ_IS14_E10value_typeET4_jRbjT5_S1A_jjP12ihipStream_tbEUljE_EEESV_SW_SX_S14_S18_S1A_T6_T7_T9_mT8_S1C_bDpT10_ENKUlT_T0_E_clISt17integral_constantIbLb1EES1O_IbLb0EEEEDaS1K_S1L_EUlS1K_E_NS1_11comp_targetILNS1_3genE3ELNS1_11target_archE908ELNS1_3gpuE7ELNS1_3repE0EEENS1_30default_config_static_selectorELNS0_4arch9wavefront6targetE0EEEvSY_
		.amdhsa_group_segment_fixed_size 0
		.amdhsa_private_segment_fixed_size 0
		.amdhsa_kernarg_size 144
		.amdhsa_user_sgpr_count 2
		.amdhsa_user_sgpr_dispatch_ptr 0
		.amdhsa_user_sgpr_queue_ptr 0
		.amdhsa_user_sgpr_kernarg_segment_ptr 1
		.amdhsa_user_sgpr_dispatch_id 0
		.amdhsa_user_sgpr_private_segment_size 0
		.amdhsa_wavefront_size32 1
		.amdhsa_uses_dynamic_stack 0
		.amdhsa_enable_private_segment 0
		.amdhsa_system_sgpr_workgroup_id_x 1
		.amdhsa_system_sgpr_workgroup_id_y 0
		.amdhsa_system_sgpr_workgroup_id_z 0
		.amdhsa_system_sgpr_workgroup_info 0
		.amdhsa_system_vgpr_workitem_id 0
		.amdhsa_next_free_vgpr 1
		.amdhsa_next_free_sgpr 1
		.amdhsa_reserve_vcc 0
		.amdhsa_float_round_mode_32 0
		.amdhsa_float_round_mode_16_64 0
		.amdhsa_float_denorm_mode_32 3
		.amdhsa_float_denorm_mode_16_64 3
		.amdhsa_fp16_overflow 0
		.amdhsa_workgroup_processor_mode 1
		.amdhsa_memory_ordered 1
		.amdhsa_forward_progress 1
		.amdhsa_inst_pref_size 0
		.amdhsa_round_robin_scheduling 0
		.amdhsa_exception_fp_ieee_invalid_op 0
		.amdhsa_exception_fp_denorm_src 0
		.amdhsa_exception_fp_ieee_div_zero 0
		.amdhsa_exception_fp_ieee_overflow 0
		.amdhsa_exception_fp_ieee_underflow 0
		.amdhsa_exception_fp_ieee_inexact 0
		.amdhsa_exception_int_div_zero 0
	.end_amdhsa_kernel
	.section	.text._ZN7rocprim17ROCPRIM_400000_NS6detail17trampoline_kernelINS0_13select_configILj256ELj13ELNS0_17block_load_methodE3ELS4_3ELS4_3ELNS0_20block_scan_algorithmE0ELj4294967295EEENS1_25partition_config_selectorILNS1_17partition_subalgoE3EjNS0_10empty_typeEbEEZZNS1_14partition_implILS8_3ELb0ES6_jNS0_17counting_iteratorIjlEEPS9_SE_NS0_5tupleIJPjSE_EEENSF_IJSE_SE_EEES9_SG_JZNS1_25segmented_radix_sort_implINS0_14default_configELb1EPKiPiPKlPlN2at6native12_GLOBAL__N_18offset_tEEE10hipError_tPvRmT1_PNSt15iterator_traitsISY_E10value_typeET2_T3_PNSZ_IS14_E10value_typeET4_jRbjT5_S1A_jjP12ihipStream_tbEUljE_EEESV_SW_SX_S14_S18_S1A_T6_T7_T9_mT8_S1C_bDpT10_ENKUlT_T0_E_clISt17integral_constantIbLb1EES1O_IbLb0EEEEDaS1K_S1L_EUlS1K_E_NS1_11comp_targetILNS1_3genE3ELNS1_11target_archE908ELNS1_3gpuE7ELNS1_3repE0EEENS1_30default_config_static_selectorELNS0_4arch9wavefront6targetE0EEEvSY_,"axG",@progbits,_ZN7rocprim17ROCPRIM_400000_NS6detail17trampoline_kernelINS0_13select_configILj256ELj13ELNS0_17block_load_methodE3ELS4_3ELS4_3ELNS0_20block_scan_algorithmE0ELj4294967295EEENS1_25partition_config_selectorILNS1_17partition_subalgoE3EjNS0_10empty_typeEbEEZZNS1_14partition_implILS8_3ELb0ES6_jNS0_17counting_iteratorIjlEEPS9_SE_NS0_5tupleIJPjSE_EEENSF_IJSE_SE_EEES9_SG_JZNS1_25segmented_radix_sort_implINS0_14default_configELb1EPKiPiPKlPlN2at6native12_GLOBAL__N_18offset_tEEE10hipError_tPvRmT1_PNSt15iterator_traitsISY_E10value_typeET2_T3_PNSZ_IS14_E10value_typeET4_jRbjT5_S1A_jjP12ihipStream_tbEUljE_EEESV_SW_SX_S14_S18_S1A_T6_T7_T9_mT8_S1C_bDpT10_ENKUlT_T0_E_clISt17integral_constantIbLb1EES1O_IbLb0EEEEDaS1K_S1L_EUlS1K_E_NS1_11comp_targetILNS1_3genE3ELNS1_11target_archE908ELNS1_3gpuE7ELNS1_3repE0EEENS1_30default_config_static_selectorELNS0_4arch9wavefront6targetE0EEEvSY_,comdat
.Lfunc_end484:
	.size	_ZN7rocprim17ROCPRIM_400000_NS6detail17trampoline_kernelINS0_13select_configILj256ELj13ELNS0_17block_load_methodE3ELS4_3ELS4_3ELNS0_20block_scan_algorithmE0ELj4294967295EEENS1_25partition_config_selectorILNS1_17partition_subalgoE3EjNS0_10empty_typeEbEEZZNS1_14partition_implILS8_3ELb0ES6_jNS0_17counting_iteratorIjlEEPS9_SE_NS0_5tupleIJPjSE_EEENSF_IJSE_SE_EEES9_SG_JZNS1_25segmented_radix_sort_implINS0_14default_configELb1EPKiPiPKlPlN2at6native12_GLOBAL__N_18offset_tEEE10hipError_tPvRmT1_PNSt15iterator_traitsISY_E10value_typeET2_T3_PNSZ_IS14_E10value_typeET4_jRbjT5_S1A_jjP12ihipStream_tbEUljE_EEESV_SW_SX_S14_S18_S1A_T6_T7_T9_mT8_S1C_bDpT10_ENKUlT_T0_E_clISt17integral_constantIbLb1EES1O_IbLb0EEEEDaS1K_S1L_EUlS1K_E_NS1_11comp_targetILNS1_3genE3ELNS1_11target_archE908ELNS1_3gpuE7ELNS1_3repE0EEENS1_30default_config_static_selectorELNS0_4arch9wavefront6targetE0EEEvSY_, .Lfunc_end484-_ZN7rocprim17ROCPRIM_400000_NS6detail17trampoline_kernelINS0_13select_configILj256ELj13ELNS0_17block_load_methodE3ELS4_3ELS4_3ELNS0_20block_scan_algorithmE0ELj4294967295EEENS1_25partition_config_selectorILNS1_17partition_subalgoE3EjNS0_10empty_typeEbEEZZNS1_14partition_implILS8_3ELb0ES6_jNS0_17counting_iteratorIjlEEPS9_SE_NS0_5tupleIJPjSE_EEENSF_IJSE_SE_EEES9_SG_JZNS1_25segmented_radix_sort_implINS0_14default_configELb1EPKiPiPKlPlN2at6native12_GLOBAL__N_18offset_tEEE10hipError_tPvRmT1_PNSt15iterator_traitsISY_E10value_typeET2_T3_PNSZ_IS14_E10value_typeET4_jRbjT5_S1A_jjP12ihipStream_tbEUljE_EEESV_SW_SX_S14_S18_S1A_T6_T7_T9_mT8_S1C_bDpT10_ENKUlT_T0_E_clISt17integral_constantIbLb1EES1O_IbLb0EEEEDaS1K_S1L_EUlS1K_E_NS1_11comp_targetILNS1_3genE3ELNS1_11target_archE908ELNS1_3gpuE7ELNS1_3repE0EEENS1_30default_config_static_selectorELNS0_4arch9wavefront6targetE0EEEvSY_
                                        ; -- End function
	.set _ZN7rocprim17ROCPRIM_400000_NS6detail17trampoline_kernelINS0_13select_configILj256ELj13ELNS0_17block_load_methodE3ELS4_3ELS4_3ELNS0_20block_scan_algorithmE0ELj4294967295EEENS1_25partition_config_selectorILNS1_17partition_subalgoE3EjNS0_10empty_typeEbEEZZNS1_14partition_implILS8_3ELb0ES6_jNS0_17counting_iteratorIjlEEPS9_SE_NS0_5tupleIJPjSE_EEENSF_IJSE_SE_EEES9_SG_JZNS1_25segmented_radix_sort_implINS0_14default_configELb1EPKiPiPKlPlN2at6native12_GLOBAL__N_18offset_tEEE10hipError_tPvRmT1_PNSt15iterator_traitsISY_E10value_typeET2_T3_PNSZ_IS14_E10value_typeET4_jRbjT5_S1A_jjP12ihipStream_tbEUljE_EEESV_SW_SX_S14_S18_S1A_T6_T7_T9_mT8_S1C_bDpT10_ENKUlT_T0_E_clISt17integral_constantIbLb1EES1O_IbLb0EEEEDaS1K_S1L_EUlS1K_E_NS1_11comp_targetILNS1_3genE3ELNS1_11target_archE908ELNS1_3gpuE7ELNS1_3repE0EEENS1_30default_config_static_selectorELNS0_4arch9wavefront6targetE0EEEvSY_.num_vgpr, 0
	.set _ZN7rocprim17ROCPRIM_400000_NS6detail17trampoline_kernelINS0_13select_configILj256ELj13ELNS0_17block_load_methodE3ELS4_3ELS4_3ELNS0_20block_scan_algorithmE0ELj4294967295EEENS1_25partition_config_selectorILNS1_17partition_subalgoE3EjNS0_10empty_typeEbEEZZNS1_14partition_implILS8_3ELb0ES6_jNS0_17counting_iteratorIjlEEPS9_SE_NS0_5tupleIJPjSE_EEENSF_IJSE_SE_EEES9_SG_JZNS1_25segmented_radix_sort_implINS0_14default_configELb1EPKiPiPKlPlN2at6native12_GLOBAL__N_18offset_tEEE10hipError_tPvRmT1_PNSt15iterator_traitsISY_E10value_typeET2_T3_PNSZ_IS14_E10value_typeET4_jRbjT5_S1A_jjP12ihipStream_tbEUljE_EEESV_SW_SX_S14_S18_S1A_T6_T7_T9_mT8_S1C_bDpT10_ENKUlT_T0_E_clISt17integral_constantIbLb1EES1O_IbLb0EEEEDaS1K_S1L_EUlS1K_E_NS1_11comp_targetILNS1_3genE3ELNS1_11target_archE908ELNS1_3gpuE7ELNS1_3repE0EEENS1_30default_config_static_selectorELNS0_4arch9wavefront6targetE0EEEvSY_.num_agpr, 0
	.set _ZN7rocprim17ROCPRIM_400000_NS6detail17trampoline_kernelINS0_13select_configILj256ELj13ELNS0_17block_load_methodE3ELS4_3ELS4_3ELNS0_20block_scan_algorithmE0ELj4294967295EEENS1_25partition_config_selectorILNS1_17partition_subalgoE3EjNS0_10empty_typeEbEEZZNS1_14partition_implILS8_3ELb0ES6_jNS0_17counting_iteratorIjlEEPS9_SE_NS0_5tupleIJPjSE_EEENSF_IJSE_SE_EEES9_SG_JZNS1_25segmented_radix_sort_implINS0_14default_configELb1EPKiPiPKlPlN2at6native12_GLOBAL__N_18offset_tEEE10hipError_tPvRmT1_PNSt15iterator_traitsISY_E10value_typeET2_T3_PNSZ_IS14_E10value_typeET4_jRbjT5_S1A_jjP12ihipStream_tbEUljE_EEESV_SW_SX_S14_S18_S1A_T6_T7_T9_mT8_S1C_bDpT10_ENKUlT_T0_E_clISt17integral_constantIbLb1EES1O_IbLb0EEEEDaS1K_S1L_EUlS1K_E_NS1_11comp_targetILNS1_3genE3ELNS1_11target_archE908ELNS1_3gpuE7ELNS1_3repE0EEENS1_30default_config_static_selectorELNS0_4arch9wavefront6targetE0EEEvSY_.numbered_sgpr, 0
	.set _ZN7rocprim17ROCPRIM_400000_NS6detail17trampoline_kernelINS0_13select_configILj256ELj13ELNS0_17block_load_methodE3ELS4_3ELS4_3ELNS0_20block_scan_algorithmE0ELj4294967295EEENS1_25partition_config_selectorILNS1_17partition_subalgoE3EjNS0_10empty_typeEbEEZZNS1_14partition_implILS8_3ELb0ES6_jNS0_17counting_iteratorIjlEEPS9_SE_NS0_5tupleIJPjSE_EEENSF_IJSE_SE_EEES9_SG_JZNS1_25segmented_radix_sort_implINS0_14default_configELb1EPKiPiPKlPlN2at6native12_GLOBAL__N_18offset_tEEE10hipError_tPvRmT1_PNSt15iterator_traitsISY_E10value_typeET2_T3_PNSZ_IS14_E10value_typeET4_jRbjT5_S1A_jjP12ihipStream_tbEUljE_EEESV_SW_SX_S14_S18_S1A_T6_T7_T9_mT8_S1C_bDpT10_ENKUlT_T0_E_clISt17integral_constantIbLb1EES1O_IbLb0EEEEDaS1K_S1L_EUlS1K_E_NS1_11comp_targetILNS1_3genE3ELNS1_11target_archE908ELNS1_3gpuE7ELNS1_3repE0EEENS1_30default_config_static_selectorELNS0_4arch9wavefront6targetE0EEEvSY_.num_named_barrier, 0
	.set _ZN7rocprim17ROCPRIM_400000_NS6detail17trampoline_kernelINS0_13select_configILj256ELj13ELNS0_17block_load_methodE3ELS4_3ELS4_3ELNS0_20block_scan_algorithmE0ELj4294967295EEENS1_25partition_config_selectorILNS1_17partition_subalgoE3EjNS0_10empty_typeEbEEZZNS1_14partition_implILS8_3ELb0ES6_jNS0_17counting_iteratorIjlEEPS9_SE_NS0_5tupleIJPjSE_EEENSF_IJSE_SE_EEES9_SG_JZNS1_25segmented_radix_sort_implINS0_14default_configELb1EPKiPiPKlPlN2at6native12_GLOBAL__N_18offset_tEEE10hipError_tPvRmT1_PNSt15iterator_traitsISY_E10value_typeET2_T3_PNSZ_IS14_E10value_typeET4_jRbjT5_S1A_jjP12ihipStream_tbEUljE_EEESV_SW_SX_S14_S18_S1A_T6_T7_T9_mT8_S1C_bDpT10_ENKUlT_T0_E_clISt17integral_constantIbLb1EES1O_IbLb0EEEEDaS1K_S1L_EUlS1K_E_NS1_11comp_targetILNS1_3genE3ELNS1_11target_archE908ELNS1_3gpuE7ELNS1_3repE0EEENS1_30default_config_static_selectorELNS0_4arch9wavefront6targetE0EEEvSY_.private_seg_size, 0
	.set _ZN7rocprim17ROCPRIM_400000_NS6detail17trampoline_kernelINS0_13select_configILj256ELj13ELNS0_17block_load_methodE3ELS4_3ELS4_3ELNS0_20block_scan_algorithmE0ELj4294967295EEENS1_25partition_config_selectorILNS1_17partition_subalgoE3EjNS0_10empty_typeEbEEZZNS1_14partition_implILS8_3ELb0ES6_jNS0_17counting_iteratorIjlEEPS9_SE_NS0_5tupleIJPjSE_EEENSF_IJSE_SE_EEES9_SG_JZNS1_25segmented_radix_sort_implINS0_14default_configELb1EPKiPiPKlPlN2at6native12_GLOBAL__N_18offset_tEEE10hipError_tPvRmT1_PNSt15iterator_traitsISY_E10value_typeET2_T3_PNSZ_IS14_E10value_typeET4_jRbjT5_S1A_jjP12ihipStream_tbEUljE_EEESV_SW_SX_S14_S18_S1A_T6_T7_T9_mT8_S1C_bDpT10_ENKUlT_T0_E_clISt17integral_constantIbLb1EES1O_IbLb0EEEEDaS1K_S1L_EUlS1K_E_NS1_11comp_targetILNS1_3genE3ELNS1_11target_archE908ELNS1_3gpuE7ELNS1_3repE0EEENS1_30default_config_static_selectorELNS0_4arch9wavefront6targetE0EEEvSY_.uses_vcc, 0
	.set _ZN7rocprim17ROCPRIM_400000_NS6detail17trampoline_kernelINS0_13select_configILj256ELj13ELNS0_17block_load_methodE3ELS4_3ELS4_3ELNS0_20block_scan_algorithmE0ELj4294967295EEENS1_25partition_config_selectorILNS1_17partition_subalgoE3EjNS0_10empty_typeEbEEZZNS1_14partition_implILS8_3ELb0ES6_jNS0_17counting_iteratorIjlEEPS9_SE_NS0_5tupleIJPjSE_EEENSF_IJSE_SE_EEES9_SG_JZNS1_25segmented_radix_sort_implINS0_14default_configELb1EPKiPiPKlPlN2at6native12_GLOBAL__N_18offset_tEEE10hipError_tPvRmT1_PNSt15iterator_traitsISY_E10value_typeET2_T3_PNSZ_IS14_E10value_typeET4_jRbjT5_S1A_jjP12ihipStream_tbEUljE_EEESV_SW_SX_S14_S18_S1A_T6_T7_T9_mT8_S1C_bDpT10_ENKUlT_T0_E_clISt17integral_constantIbLb1EES1O_IbLb0EEEEDaS1K_S1L_EUlS1K_E_NS1_11comp_targetILNS1_3genE3ELNS1_11target_archE908ELNS1_3gpuE7ELNS1_3repE0EEENS1_30default_config_static_selectorELNS0_4arch9wavefront6targetE0EEEvSY_.uses_flat_scratch, 0
	.set _ZN7rocprim17ROCPRIM_400000_NS6detail17trampoline_kernelINS0_13select_configILj256ELj13ELNS0_17block_load_methodE3ELS4_3ELS4_3ELNS0_20block_scan_algorithmE0ELj4294967295EEENS1_25partition_config_selectorILNS1_17partition_subalgoE3EjNS0_10empty_typeEbEEZZNS1_14partition_implILS8_3ELb0ES6_jNS0_17counting_iteratorIjlEEPS9_SE_NS0_5tupleIJPjSE_EEENSF_IJSE_SE_EEES9_SG_JZNS1_25segmented_radix_sort_implINS0_14default_configELb1EPKiPiPKlPlN2at6native12_GLOBAL__N_18offset_tEEE10hipError_tPvRmT1_PNSt15iterator_traitsISY_E10value_typeET2_T3_PNSZ_IS14_E10value_typeET4_jRbjT5_S1A_jjP12ihipStream_tbEUljE_EEESV_SW_SX_S14_S18_S1A_T6_T7_T9_mT8_S1C_bDpT10_ENKUlT_T0_E_clISt17integral_constantIbLb1EES1O_IbLb0EEEEDaS1K_S1L_EUlS1K_E_NS1_11comp_targetILNS1_3genE3ELNS1_11target_archE908ELNS1_3gpuE7ELNS1_3repE0EEENS1_30default_config_static_selectorELNS0_4arch9wavefront6targetE0EEEvSY_.has_dyn_sized_stack, 0
	.set _ZN7rocprim17ROCPRIM_400000_NS6detail17trampoline_kernelINS0_13select_configILj256ELj13ELNS0_17block_load_methodE3ELS4_3ELS4_3ELNS0_20block_scan_algorithmE0ELj4294967295EEENS1_25partition_config_selectorILNS1_17partition_subalgoE3EjNS0_10empty_typeEbEEZZNS1_14partition_implILS8_3ELb0ES6_jNS0_17counting_iteratorIjlEEPS9_SE_NS0_5tupleIJPjSE_EEENSF_IJSE_SE_EEES9_SG_JZNS1_25segmented_radix_sort_implINS0_14default_configELb1EPKiPiPKlPlN2at6native12_GLOBAL__N_18offset_tEEE10hipError_tPvRmT1_PNSt15iterator_traitsISY_E10value_typeET2_T3_PNSZ_IS14_E10value_typeET4_jRbjT5_S1A_jjP12ihipStream_tbEUljE_EEESV_SW_SX_S14_S18_S1A_T6_T7_T9_mT8_S1C_bDpT10_ENKUlT_T0_E_clISt17integral_constantIbLb1EES1O_IbLb0EEEEDaS1K_S1L_EUlS1K_E_NS1_11comp_targetILNS1_3genE3ELNS1_11target_archE908ELNS1_3gpuE7ELNS1_3repE0EEENS1_30default_config_static_selectorELNS0_4arch9wavefront6targetE0EEEvSY_.has_recursion, 0
	.set _ZN7rocprim17ROCPRIM_400000_NS6detail17trampoline_kernelINS0_13select_configILj256ELj13ELNS0_17block_load_methodE3ELS4_3ELS4_3ELNS0_20block_scan_algorithmE0ELj4294967295EEENS1_25partition_config_selectorILNS1_17partition_subalgoE3EjNS0_10empty_typeEbEEZZNS1_14partition_implILS8_3ELb0ES6_jNS0_17counting_iteratorIjlEEPS9_SE_NS0_5tupleIJPjSE_EEENSF_IJSE_SE_EEES9_SG_JZNS1_25segmented_radix_sort_implINS0_14default_configELb1EPKiPiPKlPlN2at6native12_GLOBAL__N_18offset_tEEE10hipError_tPvRmT1_PNSt15iterator_traitsISY_E10value_typeET2_T3_PNSZ_IS14_E10value_typeET4_jRbjT5_S1A_jjP12ihipStream_tbEUljE_EEESV_SW_SX_S14_S18_S1A_T6_T7_T9_mT8_S1C_bDpT10_ENKUlT_T0_E_clISt17integral_constantIbLb1EES1O_IbLb0EEEEDaS1K_S1L_EUlS1K_E_NS1_11comp_targetILNS1_3genE3ELNS1_11target_archE908ELNS1_3gpuE7ELNS1_3repE0EEENS1_30default_config_static_selectorELNS0_4arch9wavefront6targetE0EEEvSY_.has_indirect_call, 0
	.section	.AMDGPU.csdata,"",@progbits
; Kernel info:
; codeLenInByte = 0
; TotalNumSgprs: 0
; NumVgprs: 0
; ScratchSize: 0
; MemoryBound: 0
; FloatMode: 240
; IeeeMode: 1
; LDSByteSize: 0 bytes/workgroup (compile time only)
; SGPRBlocks: 0
; VGPRBlocks: 0
; NumSGPRsForWavesPerEU: 1
; NumVGPRsForWavesPerEU: 1
; Occupancy: 16
; WaveLimiterHint : 0
; COMPUTE_PGM_RSRC2:SCRATCH_EN: 0
; COMPUTE_PGM_RSRC2:USER_SGPR: 2
; COMPUTE_PGM_RSRC2:TRAP_HANDLER: 0
; COMPUTE_PGM_RSRC2:TGID_X_EN: 1
; COMPUTE_PGM_RSRC2:TGID_Y_EN: 0
; COMPUTE_PGM_RSRC2:TGID_Z_EN: 0
; COMPUTE_PGM_RSRC2:TIDIG_COMP_CNT: 0
	.section	.text._ZN7rocprim17ROCPRIM_400000_NS6detail17trampoline_kernelINS0_13select_configILj256ELj13ELNS0_17block_load_methodE3ELS4_3ELS4_3ELNS0_20block_scan_algorithmE0ELj4294967295EEENS1_25partition_config_selectorILNS1_17partition_subalgoE3EjNS0_10empty_typeEbEEZZNS1_14partition_implILS8_3ELb0ES6_jNS0_17counting_iteratorIjlEEPS9_SE_NS0_5tupleIJPjSE_EEENSF_IJSE_SE_EEES9_SG_JZNS1_25segmented_radix_sort_implINS0_14default_configELb1EPKiPiPKlPlN2at6native12_GLOBAL__N_18offset_tEEE10hipError_tPvRmT1_PNSt15iterator_traitsISY_E10value_typeET2_T3_PNSZ_IS14_E10value_typeET4_jRbjT5_S1A_jjP12ihipStream_tbEUljE_EEESV_SW_SX_S14_S18_S1A_T6_T7_T9_mT8_S1C_bDpT10_ENKUlT_T0_E_clISt17integral_constantIbLb1EES1O_IbLb0EEEEDaS1K_S1L_EUlS1K_E_NS1_11comp_targetILNS1_3genE2ELNS1_11target_archE906ELNS1_3gpuE6ELNS1_3repE0EEENS1_30default_config_static_selectorELNS0_4arch9wavefront6targetE0EEEvSY_,"axG",@progbits,_ZN7rocprim17ROCPRIM_400000_NS6detail17trampoline_kernelINS0_13select_configILj256ELj13ELNS0_17block_load_methodE3ELS4_3ELS4_3ELNS0_20block_scan_algorithmE0ELj4294967295EEENS1_25partition_config_selectorILNS1_17partition_subalgoE3EjNS0_10empty_typeEbEEZZNS1_14partition_implILS8_3ELb0ES6_jNS0_17counting_iteratorIjlEEPS9_SE_NS0_5tupleIJPjSE_EEENSF_IJSE_SE_EEES9_SG_JZNS1_25segmented_radix_sort_implINS0_14default_configELb1EPKiPiPKlPlN2at6native12_GLOBAL__N_18offset_tEEE10hipError_tPvRmT1_PNSt15iterator_traitsISY_E10value_typeET2_T3_PNSZ_IS14_E10value_typeET4_jRbjT5_S1A_jjP12ihipStream_tbEUljE_EEESV_SW_SX_S14_S18_S1A_T6_T7_T9_mT8_S1C_bDpT10_ENKUlT_T0_E_clISt17integral_constantIbLb1EES1O_IbLb0EEEEDaS1K_S1L_EUlS1K_E_NS1_11comp_targetILNS1_3genE2ELNS1_11target_archE906ELNS1_3gpuE6ELNS1_3repE0EEENS1_30default_config_static_selectorELNS0_4arch9wavefront6targetE0EEEvSY_,comdat
	.globl	_ZN7rocprim17ROCPRIM_400000_NS6detail17trampoline_kernelINS0_13select_configILj256ELj13ELNS0_17block_load_methodE3ELS4_3ELS4_3ELNS0_20block_scan_algorithmE0ELj4294967295EEENS1_25partition_config_selectorILNS1_17partition_subalgoE3EjNS0_10empty_typeEbEEZZNS1_14partition_implILS8_3ELb0ES6_jNS0_17counting_iteratorIjlEEPS9_SE_NS0_5tupleIJPjSE_EEENSF_IJSE_SE_EEES9_SG_JZNS1_25segmented_radix_sort_implINS0_14default_configELb1EPKiPiPKlPlN2at6native12_GLOBAL__N_18offset_tEEE10hipError_tPvRmT1_PNSt15iterator_traitsISY_E10value_typeET2_T3_PNSZ_IS14_E10value_typeET4_jRbjT5_S1A_jjP12ihipStream_tbEUljE_EEESV_SW_SX_S14_S18_S1A_T6_T7_T9_mT8_S1C_bDpT10_ENKUlT_T0_E_clISt17integral_constantIbLb1EES1O_IbLb0EEEEDaS1K_S1L_EUlS1K_E_NS1_11comp_targetILNS1_3genE2ELNS1_11target_archE906ELNS1_3gpuE6ELNS1_3repE0EEENS1_30default_config_static_selectorELNS0_4arch9wavefront6targetE0EEEvSY_ ; -- Begin function _ZN7rocprim17ROCPRIM_400000_NS6detail17trampoline_kernelINS0_13select_configILj256ELj13ELNS0_17block_load_methodE3ELS4_3ELS4_3ELNS0_20block_scan_algorithmE0ELj4294967295EEENS1_25partition_config_selectorILNS1_17partition_subalgoE3EjNS0_10empty_typeEbEEZZNS1_14partition_implILS8_3ELb0ES6_jNS0_17counting_iteratorIjlEEPS9_SE_NS0_5tupleIJPjSE_EEENSF_IJSE_SE_EEES9_SG_JZNS1_25segmented_radix_sort_implINS0_14default_configELb1EPKiPiPKlPlN2at6native12_GLOBAL__N_18offset_tEEE10hipError_tPvRmT1_PNSt15iterator_traitsISY_E10value_typeET2_T3_PNSZ_IS14_E10value_typeET4_jRbjT5_S1A_jjP12ihipStream_tbEUljE_EEESV_SW_SX_S14_S18_S1A_T6_T7_T9_mT8_S1C_bDpT10_ENKUlT_T0_E_clISt17integral_constantIbLb1EES1O_IbLb0EEEEDaS1K_S1L_EUlS1K_E_NS1_11comp_targetILNS1_3genE2ELNS1_11target_archE906ELNS1_3gpuE6ELNS1_3repE0EEENS1_30default_config_static_selectorELNS0_4arch9wavefront6targetE0EEEvSY_
	.p2align	8
	.type	_ZN7rocprim17ROCPRIM_400000_NS6detail17trampoline_kernelINS0_13select_configILj256ELj13ELNS0_17block_load_methodE3ELS4_3ELS4_3ELNS0_20block_scan_algorithmE0ELj4294967295EEENS1_25partition_config_selectorILNS1_17partition_subalgoE3EjNS0_10empty_typeEbEEZZNS1_14partition_implILS8_3ELb0ES6_jNS0_17counting_iteratorIjlEEPS9_SE_NS0_5tupleIJPjSE_EEENSF_IJSE_SE_EEES9_SG_JZNS1_25segmented_radix_sort_implINS0_14default_configELb1EPKiPiPKlPlN2at6native12_GLOBAL__N_18offset_tEEE10hipError_tPvRmT1_PNSt15iterator_traitsISY_E10value_typeET2_T3_PNSZ_IS14_E10value_typeET4_jRbjT5_S1A_jjP12ihipStream_tbEUljE_EEESV_SW_SX_S14_S18_S1A_T6_T7_T9_mT8_S1C_bDpT10_ENKUlT_T0_E_clISt17integral_constantIbLb1EES1O_IbLb0EEEEDaS1K_S1L_EUlS1K_E_NS1_11comp_targetILNS1_3genE2ELNS1_11target_archE906ELNS1_3gpuE6ELNS1_3repE0EEENS1_30default_config_static_selectorELNS0_4arch9wavefront6targetE0EEEvSY_,@function
_ZN7rocprim17ROCPRIM_400000_NS6detail17trampoline_kernelINS0_13select_configILj256ELj13ELNS0_17block_load_methodE3ELS4_3ELS4_3ELNS0_20block_scan_algorithmE0ELj4294967295EEENS1_25partition_config_selectorILNS1_17partition_subalgoE3EjNS0_10empty_typeEbEEZZNS1_14partition_implILS8_3ELb0ES6_jNS0_17counting_iteratorIjlEEPS9_SE_NS0_5tupleIJPjSE_EEENSF_IJSE_SE_EEES9_SG_JZNS1_25segmented_radix_sort_implINS0_14default_configELb1EPKiPiPKlPlN2at6native12_GLOBAL__N_18offset_tEEE10hipError_tPvRmT1_PNSt15iterator_traitsISY_E10value_typeET2_T3_PNSZ_IS14_E10value_typeET4_jRbjT5_S1A_jjP12ihipStream_tbEUljE_EEESV_SW_SX_S14_S18_S1A_T6_T7_T9_mT8_S1C_bDpT10_ENKUlT_T0_E_clISt17integral_constantIbLb1EES1O_IbLb0EEEEDaS1K_S1L_EUlS1K_E_NS1_11comp_targetILNS1_3genE2ELNS1_11target_archE906ELNS1_3gpuE6ELNS1_3repE0EEENS1_30default_config_static_selectorELNS0_4arch9wavefront6targetE0EEEvSY_: ; @_ZN7rocprim17ROCPRIM_400000_NS6detail17trampoline_kernelINS0_13select_configILj256ELj13ELNS0_17block_load_methodE3ELS4_3ELS4_3ELNS0_20block_scan_algorithmE0ELj4294967295EEENS1_25partition_config_selectorILNS1_17partition_subalgoE3EjNS0_10empty_typeEbEEZZNS1_14partition_implILS8_3ELb0ES6_jNS0_17counting_iteratorIjlEEPS9_SE_NS0_5tupleIJPjSE_EEENSF_IJSE_SE_EEES9_SG_JZNS1_25segmented_radix_sort_implINS0_14default_configELb1EPKiPiPKlPlN2at6native12_GLOBAL__N_18offset_tEEE10hipError_tPvRmT1_PNSt15iterator_traitsISY_E10value_typeET2_T3_PNSZ_IS14_E10value_typeET4_jRbjT5_S1A_jjP12ihipStream_tbEUljE_EEESV_SW_SX_S14_S18_S1A_T6_T7_T9_mT8_S1C_bDpT10_ENKUlT_T0_E_clISt17integral_constantIbLb1EES1O_IbLb0EEEEDaS1K_S1L_EUlS1K_E_NS1_11comp_targetILNS1_3genE2ELNS1_11target_archE906ELNS1_3gpuE6ELNS1_3repE0EEENS1_30default_config_static_selectorELNS0_4arch9wavefront6targetE0EEEvSY_
; %bb.0:
	.section	.rodata,"a",@progbits
	.p2align	6, 0x0
	.amdhsa_kernel _ZN7rocprim17ROCPRIM_400000_NS6detail17trampoline_kernelINS0_13select_configILj256ELj13ELNS0_17block_load_methodE3ELS4_3ELS4_3ELNS0_20block_scan_algorithmE0ELj4294967295EEENS1_25partition_config_selectorILNS1_17partition_subalgoE3EjNS0_10empty_typeEbEEZZNS1_14partition_implILS8_3ELb0ES6_jNS0_17counting_iteratorIjlEEPS9_SE_NS0_5tupleIJPjSE_EEENSF_IJSE_SE_EEES9_SG_JZNS1_25segmented_radix_sort_implINS0_14default_configELb1EPKiPiPKlPlN2at6native12_GLOBAL__N_18offset_tEEE10hipError_tPvRmT1_PNSt15iterator_traitsISY_E10value_typeET2_T3_PNSZ_IS14_E10value_typeET4_jRbjT5_S1A_jjP12ihipStream_tbEUljE_EEESV_SW_SX_S14_S18_S1A_T6_T7_T9_mT8_S1C_bDpT10_ENKUlT_T0_E_clISt17integral_constantIbLb1EES1O_IbLb0EEEEDaS1K_S1L_EUlS1K_E_NS1_11comp_targetILNS1_3genE2ELNS1_11target_archE906ELNS1_3gpuE6ELNS1_3repE0EEENS1_30default_config_static_selectorELNS0_4arch9wavefront6targetE0EEEvSY_
		.amdhsa_group_segment_fixed_size 0
		.amdhsa_private_segment_fixed_size 0
		.amdhsa_kernarg_size 144
		.amdhsa_user_sgpr_count 2
		.amdhsa_user_sgpr_dispatch_ptr 0
		.amdhsa_user_sgpr_queue_ptr 0
		.amdhsa_user_sgpr_kernarg_segment_ptr 1
		.amdhsa_user_sgpr_dispatch_id 0
		.amdhsa_user_sgpr_private_segment_size 0
		.amdhsa_wavefront_size32 1
		.amdhsa_uses_dynamic_stack 0
		.amdhsa_enable_private_segment 0
		.amdhsa_system_sgpr_workgroup_id_x 1
		.amdhsa_system_sgpr_workgroup_id_y 0
		.amdhsa_system_sgpr_workgroup_id_z 0
		.amdhsa_system_sgpr_workgroup_info 0
		.amdhsa_system_vgpr_workitem_id 0
		.amdhsa_next_free_vgpr 1
		.amdhsa_next_free_sgpr 1
		.amdhsa_reserve_vcc 0
		.amdhsa_float_round_mode_32 0
		.amdhsa_float_round_mode_16_64 0
		.amdhsa_float_denorm_mode_32 3
		.amdhsa_float_denorm_mode_16_64 3
		.amdhsa_fp16_overflow 0
		.amdhsa_workgroup_processor_mode 1
		.amdhsa_memory_ordered 1
		.amdhsa_forward_progress 1
		.amdhsa_inst_pref_size 0
		.amdhsa_round_robin_scheduling 0
		.amdhsa_exception_fp_ieee_invalid_op 0
		.amdhsa_exception_fp_denorm_src 0
		.amdhsa_exception_fp_ieee_div_zero 0
		.amdhsa_exception_fp_ieee_overflow 0
		.amdhsa_exception_fp_ieee_underflow 0
		.amdhsa_exception_fp_ieee_inexact 0
		.amdhsa_exception_int_div_zero 0
	.end_amdhsa_kernel
	.section	.text._ZN7rocprim17ROCPRIM_400000_NS6detail17trampoline_kernelINS0_13select_configILj256ELj13ELNS0_17block_load_methodE3ELS4_3ELS4_3ELNS0_20block_scan_algorithmE0ELj4294967295EEENS1_25partition_config_selectorILNS1_17partition_subalgoE3EjNS0_10empty_typeEbEEZZNS1_14partition_implILS8_3ELb0ES6_jNS0_17counting_iteratorIjlEEPS9_SE_NS0_5tupleIJPjSE_EEENSF_IJSE_SE_EEES9_SG_JZNS1_25segmented_radix_sort_implINS0_14default_configELb1EPKiPiPKlPlN2at6native12_GLOBAL__N_18offset_tEEE10hipError_tPvRmT1_PNSt15iterator_traitsISY_E10value_typeET2_T3_PNSZ_IS14_E10value_typeET4_jRbjT5_S1A_jjP12ihipStream_tbEUljE_EEESV_SW_SX_S14_S18_S1A_T6_T7_T9_mT8_S1C_bDpT10_ENKUlT_T0_E_clISt17integral_constantIbLb1EES1O_IbLb0EEEEDaS1K_S1L_EUlS1K_E_NS1_11comp_targetILNS1_3genE2ELNS1_11target_archE906ELNS1_3gpuE6ELNS1_3repE0EEENS1_30default_config_static_selectorELNS0_4arch9wavefront6targetE0EEEvSY_,"axG",@progbits,_ZN7rocprim17ROCPRIM_400000_NS6detail17trampoline_kernelINS0_13select_configILj256ELj13ELNS0_17block_load_methodE3ELS4_3ELS4_3ELNS0_20block_scan_algorithmE0ELj4294967295EEENS1_25partition_config_selectorILNS1_17partition_subalgoE3EjNS0_10empty_typeEbEEZZNS1_14partition_implILS8_3ELb0ES6_jNS0_17counting_iteratorIjlEEPS9_SE_NS0_5tupleIJPjSE_EEENSF_IJSE_SE_EEES9_SG_JZNS1_25segmented_radix_sort_implINS0_14default_configELb1EPKiPiPKlPlN2at6native12_GLOBAL__N_18offset_tEEE10hipError_tPvRmT1_PNSt15iterator_traitsISY_E10value_typeET2_T3_PNSZ_IS14_E10value_typeET4_jRbjT5_S1A_jjP12ihipStream_tbEUljE_EEESV_SW_SX_S14_S18_S1A_T6_T7_T9_mT8_S1C_bDpT10_ENKUlT_T0_E_clISt17integral_constantIbLb1EES1O_IbLb0EEEEDaS1K_S1L_EUlS1K_E_NS1_11comp_targetILNS1_3genE2ELNS1_11target_archE906ELNS1_3gpuE6ELNS1_3repE0EEENS1_30default_config_static_selectorELNS0_4arch9wavefront6targetE0EEEvSY_,comdat
.Lfunc_end485:
	.size	_ZN7rocprim17ROCPRIM_400000_NS6detail17trampoline_kernelINS0_13select_configILj256ELj13ELNS0_17block_load_methodE3ELS4_3ELS4_3ELNS0_20block_scan_algorithmE0ELj4294967295EEENS1_25partition_config_selectorILNS1_17partition_subalgoE3EjNS0_10empty_typeEbEEZZNS1_14partition_implILS8_3ELb0ES6_jNS0_17counting_iteratorIjlEEPS9_SE_NS0_5tupleIJPjSE_EEENSF_IJSE_SE_EEES9_SG_JZNS1_25segmented_radix_sort_implINS0_14default_configELb1EPKiPiPKlPlN2at6native12_GLOBAL__N_18offset_tEEE10hipError_tPvRmT1_PNSt15iterator_traitsISY_E10value_typeET2_T3_PNSZ_IS14_E10value_typeET4_jRbjT5_S1A_jjP12ihipStream_tbEUljE_EEESV_SW_SX_S14_S18_S1A_T6_T7_T9_mT8_S1C_bDpT10_ENKUlT_T0_E_clISt17integral_constantIbLb1EES1O_IbLb0EEEEDaS1K_S1L_EUlS1K_E_NS1_11comp_targetILNS1_3genE2ELNS1_11target_archE906ELNS1_3gpuE6ELNS1_3repE0EEENS1_30default_config_static_selectorELNS0_4arch9wavefront6targetE0EEEvSY_, .Lfunc_end485-_ZN7rocprim17ROCPRIM_400000_NS6detail17trampoline_kernelINS0_13select_configILj256ELj13ELNS0_17block_load_methodE3ELS4_3ELS4_3ELNS0_20block_scan_algorithmE0ELj4294967295EEENS1_25partition_config_selectorILNS1_17partition_subalgoE3EjNS0_10empty_typeEbEEZZNS1_14partition_implILS8_3ELb0ES6_jNS0_17counting_iteratorIjlEEPS9_SE_NS0_5tupleIJPjSE_EEENSF_IJSE_SE_EEES9_SG_JZNS1_25segmented_radix_sort_implINS0_14default_configELb1EPKiPiPKlPlN2at6native12_GLOBAL__N_18offset_tEEE10hipError_tPvRmT1_PNSt15iterator_traitsISY_E10value_typeET2_T3_PNSZ_IS14_E10value_typeET4_jRbjT5_S1A_jjP12ihipStream_tbEUljE_EEESV_SW_SX_S14_S18_S1A_T6_T7_T9_mT8_S1C_bDpT10_ENKUlT_T0_E_clISt17integral_constantIbLb1EES1O_IbLb0EEEEDaS1K_S1L_EUlS1K_E_NS1_11comp_targetILNS1_3genE2ELNS1_11target_archE906ELNS1_3gpuE6ELNS1_3repE0EEENS1_30default_config_static_selectorELNS0_4arch9wavefront6targetE0EEEvSY_
                                        ; -- End function
	.set _ZN7rocprim17ROCPRIM_400000_NS6detail17trampoline_kernelINS0_13select_configILj256ELj13ELNS0_17block_load_methodE3ELS4_3ELS4_3ELNS0_20block_scan_algorithmE0ELj4294967295EEENS1_25partition_config_selectorILNS1_17partition_subalgoE3EjNS0_10empty_typeEbEEZZNS1_14partition_implILS8_3ELb0ES6_jNS0_17counting_iteratorIjlEEPS9_SE_NS0_5tupleIJPjSE_EEENSF_IJSE_SE_EEES9_SG_JZNS1_25segmented_radix_sort_implINS0_14default_configELb1EPKiPiPKlPlN2at6native12_GLOBAL__N_18offset_tEEE10hipError_tPvRmT1_PNSt15iterator_traitsISY_E10value_typeET2_T3_PNSZ_IS14_E10value_typeET4_jRbjT5_S1A_jjP12ihipStream_tbEUljE_EEESV_SW_SX_S14_S18_S1A_T6_T7_T9_mT8_S1C_bDpT10_ENKUlT_T0_E_clISt17integral_constantIbLb1EES1O_IbLb0EEEEDaS1K_S1L_EUlS1K_E_NS1_11comp_targetILNS1_3genE2ELNS1_11target_archE906ELNS1_3gpuE6ELNS1_3repE0EEENS1_30default_config_static_selectorELNS0_4arch9wavefront6targetE0EEEvSY_.num_vgpr, 0
	.set _ZN7rocprim17ROCPRIM_400000_NS6detail17trampoline_kernelINS0_13select_configILj256ELj13ELNS0_17block_load_methodE3ELS4_3ELS4_3ELNS0_20block_scan_algorithmE0ELj4294967295EEENS1_25partition_config_selectorILNS1_17partition_subalgoE3EjNS0_10empty_typeEbEEZZNS1_14partition_implILS8_3ELb0ES6_jNS0_17counting_iteratorIjlEEPS9_SE_NS0_5tupleIJPjSE_EEENSF_IJSE_SE_EEES9_SG_JZNS1_25segmented_radix_sort_implINS0_14default_configELb1EPKiPiPKlPlN2at6native12_GLOBAL__N_18offset_tEEE10hipError_tPvRmT1_PNSt15iterator_traitsISY_E10value_typeET2_T3_PNSZ_IS14_E10value_typeET4_jRbjT5_S1A_jjP12ihipStream_tbEUljE_EEESV_SW_SX_S14_S18_S1A_T6_T7_T9_mT8_S1C_bDpT10_ENKUlT_T0_E_clISt17integral_constantIbLb1EES1O_IbLb0EEEEDaS1K_S1L_EUlS1K_E_NS1_11comp_targetILNS1_3genE2ELNS1_11target_archE906ELNS1_3gpuE6ELNS1_3repE0EEENS1_30default_config_static_selectorELNS0_4arch9wavefront6targetE0EEEvSY_.num_agpr, 0
	.set _ZN7rocprim17ROCPRIM_400000_NS6detail17trampoline_kernelINS0_13select_configILj256ELj13ELNS0_17block_load_methodE3ELS4_3ELS4_3ELNS0_20block_scan_algorithmE0ELj4294967295EEENS1_25partition_config_selectorILNS1_17partition_subalgoE3EjNS0_10empty_typeEbEEZZNS1_14partition_implILS8_3ELb0ES6_jNS0_17counting_iteratorIjlEEPS9_SE_NS0_5tupleIJPjSE_EEENSF_IJSE_SE_EEES9_SG_JZNS1_25segmented_radix_sort_implINS0_14default_configELb1EPKiPiPKlPlN2at6native12_GLOBAL__N_18offset_tEEE10hipError_tPvRmT1_PNSt15iterator_traitsISY_E10value_typeET2_T3_PNSZ_IS14_E10value_typeET4_jRbjT5_S1A_jjP12ihipStream_tbEUljE_EEESV_SW_SX_S14_S18_S1A_T6_T7_T9_mT8_S1C_bDpT10_ENKUlT_T0_E_clISt17integral_constantIbLb1EES1O_IbLb0EEEEDaS1K_S1L_EUlS1K_E_NS1_11comp_targetILNS1_3genE2ELNS1_11target_archE906ELNS1_3gpuE6ELNS1_3repE0EEENS1_30default_config_static_selectorELNS0_4arch9wavefront6targetE0EEEvSY_.numbered_sgpr, 0
	.set _ZN7rocprim17ROCPRIM_400000_NS6detail17trampoline_kernelINS0_13select_configILj256ELj13ELNS0_17block_load_methodE3ELS4_3ELS4_3ELNS0_20block_scan_algorithmE0ELj4294967295EEENS1_25partition_config_selectorILNS1_17partition_subalgoE3EjNS0_10empty_typeEbEEZZNS1_14partition_implILS8_3ELb0ES6_jNS0_17counting_iteratorIjlEEPS9_SE_NS0_5tupleIJPjSE_EEENSF_IJSE_SE_EEES9_SG_JZNS1_25segmented_radix_sort_implINS0_14default_configELb1EPKiPiPKlPlN2at6native12_GLOBAL__N_18offset_tEEE10hipError_tPvRmT1_PNSt15iterator_traitsISY_E10value_typeET2_T3_PNSZ_IS14_E10value_typeET4_jRbjT5_S1A_jjP12ihipStream_tbEUljE_EEESV_SW_SX_S14_S18_S1A_T6_T7_T9_mT8_S1C_bDpT10_ENKUlT_T0_E_clISt17integral_constantIbLb1EES1O_IbLb0EEEEDaS1K_S1L_EUlS1K_E_NS1_11comp_targetILNS1_3genE2ELNS1_11target_archE906ELNS1_3gpuE6ELNS1_3repE0EEENS1_30default_config_static_selectorELNS0_4arch9wavefront6targetE0EEEvSY_.num_named_barrier, 0
	.set _ZN7rocprim17ROCPRIM_400000_NS6detail17trampoline_kernelINS0_13select_configILj256ELj13ELNS0_17block_load_methodE3ELS4_3ELS4_3ELNS0_20block_scan_algorithmE0ELj4294967295EEENS1_25partition_config_selectorILNS1_17partition_subalgoE3EjNS0_10empty_typeEbEEZZNS1_14partition_implILS8_3ELb0ES6_jNS0_17counting_iteratorIjlEEPS9_SE_NS0_5tupleIJPjSE_EEENSF_IJSE_SE_EEES9_SG_JZNS1_25segmented_radix_sort_implINS0_14default_configELb1EPKiPiPKlPlN2at6native12_GLOBAL__N_18offset_tEEE10hipError_tPvRmT1_PNSt15iterator_traitsISY_E10value_typeET2_T3_PNSZ_IS14_E10value_typeET4_jRbjT5_S1A_jjP12ihipStream_tbEUljE_EEESV_SW_SX_S14_S18_S1A_T6_T7_T9_mT8_S1C_bDpT10_ENKUlT_T0_E_clISt17integral_constantIbLb1EES1O_IbLb0EEEEDaS1K_S1L_EUlS1K_E_NS1_11comp_targetILNS1_3genE2ELNS1_11target_archE906ELNS1_3gpuE6ELNS1_3repE0EEENS1_30default_config_static_selectorELNS0_4arch9wavefront6targetE0EEEvSY_.private_seg_size, 0
	.set _ZN7rocprim17ROCPRIM_400000_NS6detail17trampoline_kernelINS0_13select_configILj256ELj13ELNS0_17block_load_methodE3ELS4_3ELS4_3ELNS0_20block_scan_algorithmE0ELj4294967295EEENS1_25partition_config_selectorILNS1_17partition_subalgoE3EjNS0_10empty_typeEbEEZZNS1_14partition_implILS8_3ELb0ES6_jNS0_17counting_iteratorIjlEEPS9_SE_NS0_5tupleIJPjSE_EEENSF_IJSE_SE_EEES9_SG_JZNS1_25segmented_radix_sort_implINS0_14default_configELb1EPKiPiPKlPlN2at6native12_GLOBAL__N_18offset_tEEE10hipError_tPvRmT1_PNSt15iterator_traitsISY_E10value_typeET2_T3_PNSZ_IS14_E10value_typeET4_jRbjT5_S1A_jjP12ihipStream_tbEUljE_EEESV_SW_SX_S14_S18_S1A_T6_T7_T9_mT8_S1C_bDpT10_ENKUlT_T0_E_clISt17integral_constantIbLb1EES1O_IbLb0EEEEDaS1K_S1L_EUlS1K_E_NS1_11comp_targetILNS1_3genE2ELNS1_11target_archE906ELNS1_3gpuE6ELNS1_3repE0EEENS1_30default_config_static_selectorELNS0_4arch9wavefront6targetE0EEEvSY_.uses_vcc, 0
	.set _ZN7rocprim17ROCPRIM_400000_NS6detail17trampoline_kernelINS0_13select_configILj256ELj13ELNS0_17block_load_methodE3ELS4_3ELS4_3ELNS0_20block_scan_algorithmE0ELj4294967295EEENS1_25partition_config_selectorILNS1_17partition_subalgoE3EjNS0_10empty_typeEbEEZZNS1_14partition_implILS8_3ELb0ES6_jNS0_17counting_iteratorIjlEEPS9_SE_NS0_5tupleIJPjSE_EEENSF_IJSE_SE_EEES9_SG_JZNS1_25segmented_radix_sort_implINS0_14default_configELb1EPKiPiPKlPlN2at6native12_GLOBAL__N_18offset_tEEE10hipError_tPvRmT1_PNSt15iterator_traitsISY_E10value_typeET2_T3_PNSZ_IS14_E10value_typeET4_jRbjT5_S1A_jjP12ihipStream_tbEUljE_EEESV_SW_SX_S14_S18_S1A_T6_T7_T9_mT8_S1C_bDpT10_ENKUlT_T0_E_clISt17integral_constantIbLb1EES1O_IbLb0EEEEDaS1K_S1L_EUlS1K_E_NS1_11comp_targetILNS1_3genE2ELNS1_11target_archE906ELNS1_3gpuE6ELNS1_3repE0EEENS1_30default_config_static_selectorELNS0_4arch9wavefront6targetE0EEEvSY_.uses_flat_scratch, 0
	.set _ZN7rocprim17ROCPRIM_400000_NS6detail17trampoline_kernelINS0_13select_configILj256ELj13ELNS0_17block_load_methodE3ELS4_3ELS4_3ELNS0_20block_scan_algorithmE0ELj4294967295EEENS1_25partition_config_selectorILNS1_17partition_subalgoE3EjNS0_10empty_typeEbEEZZNS1_14partition_implILS8_3ELb0ES6_jNS0_17counting_iteratorIjlEEPS9_SE_NS0_5tupleIJPjSE_EEENSF_IJSE_SE_EEES9_SG_JZNS1_25segmented_radix_sort_implINS0_14default_configELb1EPKiPiPKlPlN2at6native12_GLOBAL__N_18offset_tEEE10hipError_tPvRmT1_PNSt15iterator_traitsISY_E10value_typeET2_T3_PNSZ_IS14_E10value_typeET4_jRbjT5_S1A_jjP12ihipStream_tbEUljE_EEESV_SW_SX_S14_S18_S1A_T6_T7_T9_mT8_S1C_bDpT10_ENKUlT_T0_E_clISt17integral_constantIbLb1EES1O_IbLb0EEEEDaS1K_S1L_EUlS1K_E_NS1_11comp_targetILNS1_3genE2ELNS1_11target_archE906ELNS1_3gpuE6ELNS1_3repE0EEENS1_30default_config_static_selectorELNS0_4arch9wavefront6targetE0EEEvSY_.has_dyn_sized_stack, 0
	.set _ZN7rocprim17ROCPRIM_400000_NS6detail17trampoline_kernelINS0_13select_configILj256ELj13ELNS0_17block_load_methodE3ELS4_3ELS4_3ELNS0_20block_scan_algorithmE0ELj4294967295EEENS1_25partition_config_selectorILNS1_17partition_subalgoE3EjNS0_10empty_typeEbEEZZNS1_14partition_implILS8_3ELb0ES6_jNS0_17counting_iteratorIjlEEPS9_SE_NS0_5tupleIJPjSE_EEENSF_IJSE_SE_EEES9_SG_JZNS1_25segmented_radix_sort_implINS0_14default_configELb1EPKiPiPKlPlN2at6native12_GLOBAL__N_18offset_tEEE10hipError_tPvRmT1_PNSt15iterator_traitsISY_E10value_typeET2_T3_PNSZ_IS14_E10value_typeET4_jRbjT5_S1A_jjP12ihipStream_tbEUljE_EEESV_SW_SX_S14_S18_S1A_T6_T7_T9_mT8_S1C_bDpT10_ENKUlT_T0_E_clISt17integral_constantIbLb1EES1O_IbLb0EEEEDaS1K_S1L_EUlS1K_E_NS1_11comp_targetILNS1_3genE2ELNS1_11target_archE906ELNS1_3gpuE6ELNS1_3repE0EEENS1_30default_config_static_selectorELNS0_4arch9wavefront6targetE0EEEvSY_.has_recursion, 0
	.set _ZN7rocprim17ROCPRIM_400000_NS6detail17trampoline_kernelINS0_13select_configILj256ELj13ELNS0_17block_load_methodE3ELS4_3ELS4_3ELNS0_20block_scan_algorithmE0ELj4294967295EEENS1_25partition_config_selectorILNS1_17partition_subalgoE3EjNS0_10empty_typeEbEEZZNS1_14partition_implILS8_3ELb0ES6_jNS0_17counting_iteratorIjlEEPS9_SE_NS0_5tupleIJPjSE_EEENSF_IJSE_SE_EEES9_SG_JZNS1_25segmented_radix_sort_implINS0_14default_configELb1EPKiPiPKlPlN2at6native12_GLOBAL__N_18offset_tEEE10hipError_tPvRmT1_PNSt15iterator_traitsISY_E10value_typeET2_T3_PNSZ_IS14_E10value_typeET4_jRbjT5_S1A_jjP12ihipStream_tbEUljE_EEESV_SW_SX_S14_S18_S1A_T6_T7_T9_mT8_S1C_bDpT10_ENKUlT_T0_E_clISt17integral_constantIbLb1EES1O_IbLb0EEEEDaS1K_S1L_EUlS1K_E_NS1_11comp_targetILNS1_3genE2ELNS1_11target_archE906ELNS1_3gpuE6ELNS1_3repE0EEENS1_30default_config_static_selectorELNS0_4arch9wavefront6targetE0EEEvSY_.has_indirect_call, 0
	.section	.AMDGPU.csdata,"",@progbits
; Kernel info:
; codeLenInByte = 0
; TotalNumSgprs: 0
; NumVgprs: 0
; ScratchSize: 0
; MemoryBound: 0
; FloatMode: 240
; IeeeMode: 1
; LDSByteSize: 0 bytes/workgroup (compile time only)
; SGPRBlocks: 0
; VGPRBlocks: 0
; NumSGPRsForWavesPerEU: 1
; NumVGPRsForWavesPerEU: 1
; Occupancy: 16
; WaveLimiterHint : 0
; COMPUTE_PGM_RSRC2:SCRATCH_EN: 0
; COMPUTE_PGM_RSRC2:USER_SGPR: 2
; COMPUTE_PGM_RSRC2:TRAP_HANDLER: 0
; COMPUTE_PGM_RSRC2:TGID_X_EN: 1
; COMPUTE_PGM_RSRC2:TGID_Y_EN: 0
; COMPUTE_PGM_RSRC2:TGID_Z_EN: 0
; COMPUTE_PGM_RSRC2:TIDIG_COMP_CNT: 0
	.section	.text._ZN7rocprim17ROCPRIM_400000_NS6detail17trampoline_kernelINS0_13select_configILj256ELj13ELNS0_17block_load_methodE3ELS4_3ELS4_3ELNS0_20block_scan_algorithmE0ELj4294967295EEENS1_25partition_config_selectorILNS1_17partition_subalgoE3EjNS0_10empty_typeEbEEZZNS1_14partition_implILS8_3ELb0ES6_jNS0_17counting_iteratorIjlEEPS9_SE_NS0_5tupleIJPjSE_EEENSF_IJSE_SE_EEES9_SG_JZNS1_25segmented_radix_sort_implINS0_14default_configELb1EPKiPiPKlPlN2at6native12_GLOBAL__N_18offset_tEEE10hipError_tPvRmT1_PNSt15iterator_traitsISY_E10value_typeET2_T3_PNSZ_IS14_E10value_typeET4_jRbjT5_S1A_jjP12ihipStream_tbEUljE_EEESV_SW_SX_S14_S18_S1A_T6_T7_T9_mT8_S1C_bDpT10_ENKUlT_T0_E_clISt17integral_constantIbLb1EES1O_IbLb0EEEEDaS1K_S1L_EUlS1K_E_NS1_11comp_targetILNS1_3genE10ELNS1_11target_archE1200ELNS1_3gpuE4ELNS1_3repE0EEENS1_30default_config_static_selectorELNS0_4arch9wavefront6targetE0EEEvSY_,"axG",@progbits,_ZN7rocprim17ROCPRIM_400000_NS6detail17trampoline_kernelINS0_13select_configILj256ELj13ELNS0_17block_load_methodE3ELS4_3ELS4_3ELNS0_20block_scan_algorithmE0ELj4294967295EEENS1_25partition_config_selectorILNS1_17partition_subalgoE3EjNS0_10empty_typeEbEEZZNS1_14partition_implILS8_3ELb0ES6_jNS0_17counting_iteratorIjlEEPS9_SE_NS0_5tupleIJPjSE_EEENSF_IJSE_SE_EEES9_SG_JZNS1_25segmented_radix_sort_implINS0_14default_configELb1EPKiPiPKlPlN2at6native12_GLOBAL__N_18offset_tEEE10hipError_tPvRmT1_PNSt15iterator_traitsISY_E10value_typeET2_T3_PNSZ_IS14_E10value_typeET4_jRbjT5_S1A_jjP12ihipStream_tbEUljE_EEESV_SW_SX_S14_S18_S1A_T6_T7_T9_mT8_S1C_bDpT10_ENKUlT_T0_E_clISt17integral_constantIbLb1EES1O_IbLb0EEEEDaS1K_S1L_EUlS1K_E_NS1_11comp_targetILNS1_3genE10ELNS1_11target_archE1200ELNS1_3gpuE4ELNS1_3repE0EEENS1_30default_config_static_selectorELNS0_4arch9wavefront6targetE0EEEvSY_,comdat
	.globl	_ZN7rocprim17ROCPRIM_400000_NS6detail17trampoline_kernelINS0_13select_configILj256ELj13ELNS0_17block_load_methodE3ELS4_3ELS4_3ELNS0_20block_scan_algorithmE0ELj4294967295EEENS1_25partition_config_selectorILNS1_17partition_subalgoE3EjNS0_10empty_typeEbEEZZNS1_14partition_implILS8_3ELb0ES6_jNS0_17counting_iteratorIjlEEPS9_SE_NS0_5tupleIJPjSE_EEENSF_IJSE_SE_EEES9_SG_JZNS1_25segmented_radix_sort_implINS0_14default_configELb1EPKiPiPKlPlN2at6native12_GLOBAL__N_18offset_tEEE10hipError_tPvRmT1_PNSt15iterator_traitsISY_E10value_typeET2_T3_PNSZ_IS14_E10value_typeET4_jRbjT5_S1A_jjP12ihipStream_tbEUljE_EEESV_SW_SX_S14_S18_S1A_T6_T7_T9_mT8_S1C_bDpT10_ENKUlT_T0_E_clISt17integral_constantIbLb1EES1O_IbLb0EEEEDaS1K_S1L_EUlS1K_E_NS1_11comp_targetILNS1_3genE10ELNS1_11target_archE1200ELNS1_3gpuE4ELNS1_3repE0EEENS1_30default_config_static_selectorELNS0_4arch9wavefront6targetE0EEEvSY_ ; -- Begin function _ZN7rocprim17ROCPRIM_400000_NS6detail17trampoline_kernelINS0_13select_configILj256ELj13ELNS0_17block_load_methodE3ELS4_3ELS4_3ELNS0_20block_scan_algorithmE0ELj4294967295EEENS1_25partition_config_selectorILNS1_17partition_subalgoE3EjNS0_10empty_typeEbEEZZNS1_14partition_implILS8_3ELb0ES6_jNS0_17counting_iteratorIjlEEPS9_SE_NS0_5tupleIJPjSE_EEENSF_IJSE_SE_EEES9_SG_JZNS1_25segmented_radix_sort_implINS0_14default_configELb1EPKiPiPKlPlN2at6native12_GLOBAL__N_18offset_tEEE10hipError_tPvRmT1_PNSt15iterator_traitsISY_E10value_typeET2_T3_PNSZ_IS14_E10value_typeET4_jRbjT5_S1A_jjP12ihipStream_tbEUljE_EEESV_SW_SX_S14_S18_S1A_T6_T7_T9_mT8_S1C_bDpT10_ENKUlT_T0_E_clISt17integral_constantIbLb1EES1O_IbLb0EEEEDaS1K_S1L_EUlS1K_E_NS1_11comp_targetILNS1_3genE10ELNS1_11target_archE1200ELNS1_3gpuE4ELNS1_3repE0EEENS1_30default_config_static_selectorELNS0_4arch9wavefront6targetE0EEEvSY_
	.p2align	8
	.type	_ZN7rocprim17ROCPRIM_400000_NS6detail17trampoline_kernelINS0_13select_configILj256ELj13ELNS0_17block_load_methodE3ELS4_3ELS4_3ELNS0_20block_scan_algorithmE0ELj4294967295EEENS1_25partition_config_selectorILNS1_17partition_subalgoE3EjNS0_10empty_typeEbEEZZNS1_14partition_implILS8_3ELb0ES6_jNS0_17counting_iteratorIjlEEPS9_SE_NS0_5tupleIJPjSE_EEENSF_IJSE_SE_EEES9_SG_JZNS1_25segmented_radix_sort_implINS0_14default_configELb1EPKiPiPKlPlN2at6native12_GLOBAL__N_18offset_tEEE10hipError_tPvRmT1_PNSt15iterator_traitsISY_E10value_typeET2_T3_PNSZ_IS14_E10value_typeET4_jRbjT5_S1A_jjP12ihipStream_tbEUljE_EEESV_SW_SX_S14_S18_S1A_T6_T7_T9_mT8_S1C_bDpT10_ENKUlT_T0_E_clISt17integral_constantIbLb1EES1O_IbLb0EEEEDaS1K_S1L_EUlS1K_E_NS1_11comp_targetILNS1_3genE10ELNS1_11target_archE1200ELNS1_3gpuE4ELNS1_3repE0EEENS1_30default_config_static_selectorELNS0_4arch9wavefront6targetE0EEEvSY_,@function
_ZN7rocprim17ROCPRIM_400000_NS6detail17trampoline_kernelINS0_13select_configILj256ELj13ELNS0_17block_load_methodE3ELS4_3ELS4_3ELNS0_20block_scan_algorithmE0ELj4294967295EEENS1_25partition_config_selectorILNS1_17partition_subalgoE3EjNS0_10empty_typeEbEEZZNS1_14partition_implILS8_3ELb0ES6_jNS0_17counting_iteratorIjlEEPS9_SE_NS0_5tupleIJPjSE_EEENSF_IJSE_SE_EEES9_SG_JZNS1_25segmented_radix_sort_implINS0_14default_configELb1EPKiPiPKlPlN2at6native12_GLOBAL__N_18offset_tEEE10hipError_tPvRmT1_PNSt15iterator_traitsISY_E10value_typeET2_T3_PNSZ_IS14_E10value_typeET4_jRbjT5_S1A_jjP12ihipStream_tbEUljE_EEESV_SW_SX_S14_S18_S1A_T6_T7_T9_mT8_S1C_bDpT10_ENKUlT_T0_E_clISt17integral_constantIbLb1EES1O_IbLb0EEEEDaS1K_S1L_EUlS1K_E_NS1_11comp_targetILNS1_3genE10ELNS1_11target_archE1200ELNS1_3gpuE4ELNS1_3repE0EEENS1_30default_config_static_selectorELNS0_4arch9wavefront6targetE0EEEvSY_: ; @_ZN7rocprim17ROCPRIM_400000_NS6detail17trampoline_kernelINS0_13select_configILj256ELj13ELNS0_17block_load_methodE3ELS4_3ELS4_3ELNS0_20block_scan_algorithmE0ELj4294967295EEENS1_25partition_config_selectorILNS1_17partition_subalgoE3EjNS0_10empty_typeEbEEZZNS1_14partition_implILS8_3ELb0ES6_jNS0_17counting_iteratorIjlEEPS9_SE_NS0_5tupleIJPjSE_EEENSF_IJSE_SE_EEES9_SG_JZNS1_25segmented_radix_sort_implINS0_14default_configELb1EPKiPiPKlPlN2at6native12_GLOBAL__N_18offset_tEEE10hipError_tPvRmT1_PNSt15iterator_traitsISY_E10value_typeET2_T3_PNSZ_IS14_E10value_typeET4_jRbjT5_S1A_jjP12ihipStream_tbEUljE_EEESV_SW_SX_S14_S18_S1A_T6_T7_T9_mT8_S1C_bDpT10_ENKUlT_T0_E_clISt17integral_constantIbLb1EES1O_IbLb0EEEEDaS1K_S1L_EUlS1K_E_NS1_11comp_targetILNS1_3genE10ELNS1_11target_archE1200ELNS1_3gpuE4ELNS1_3repE0EEENS1_30default_config_static_selectorELNS0_4arch9wavefront6targetE0EEEvSY_
; %bb.0:
	s_endpgm
	.section	.rodata,"a",@progbits
	.p2align	6, 0x0
	.amdhsa_kernel _ZN7rocprim17ROCPRIM_400000_NS6detail17trampoline_kernelINS0_13select_configILj256ELj13ELNS0_17block_load_methodE3ELS4_3ELS4_3ELNS0_20block_scan_algorithmE0ELj4294967295EEENS1_25partition_config_selectorILNS1_17partition_subalgoE3EjNS0_10empty_typeEbEEZZNS1_14partition_implILS8_3ELb0ES6_jNS0_17counting_iteratorIjlEEPS9_SE_NS0_5tupleIJPjSE_EEENSF_IJSE_SE_EEES9_SG_JZNS1_25segmented_radix_sort_implINS0_14default_configELb1EPKiPiPKlPlN2at6native12_GLOBAL__N_18offset_tEEE10hipError_tPvRmT1_PNSt15iterator_traitsISY_E10value_typeET2_T3_PNSZ_IS14_E10value_typeET4_jRbjT5_S1A_jjP12ihipStream_tbEUljE_EEESV_SW_SX_S14_S18_S1A_T6_T7_T9_mT8_S1C_bDpT10_ENKUlT_T0_E_clISt17integral_constantIbLb1EES1O_IbLb0EEEEDaS1K_S1L_EUlS1K_E_NS1_11comp_targetILNS1_3genE10ELNS1_11target_archE1200ELNS1_3gpuE4ELNS1_3repE0EEENS1_30default_config_static_selectorELNS0_4arch9wavefront6targetE0EEEvSY_
		.amdhsa_group_segment_fixed_size 0
		.amdhsa_private_segment_fixed_size 0
		.amdhsa_kernarg_size 144
		.amdhsa_user_sgpr_count 2
		.amdhsa_user_sgpr_dispatch_ptr 0
		.amdhsa_user_sgpr_queue_ptr 0
		.amdhsa_user_sgpr_kernarg_segment_ptr 1
		.amdhsa_user_sgpr_dispatch_id 0
		.amdhsa_user_sgpr_private_segment_size 0
		.amdhsa_wavefront_size32 1
		.amdhsa_uses_dynamic_stack 0
		.amdhsa_enable_private_segment 0
		.amdhsa_system_sgpr_workgroup_id_x 1
		.amdhsa_system_sgpr_workgroup_id_y 0
		.amdhsa_system_sgpr_workgroup_id_z 0
		.amdhsa_system_sgpr_workgroup_info 0
		.amdhsa_system_vgpr_workitem_id 0
		.amdhsa_next_free_vgpr 1
		.amdhsa_next_free_sgpr 1
		.amdhsa_reserve_vcc 0
		.amdhsa_float_round_mode_32 0
		.amdhsa_float_round_mode_16_64 0
		.amdhsa_float_denorm_mode_32 3
		.amdhsa_float_denorm_mode_16_64 3
		.amdhsa_fp16_overflow 0
		.amdhsa_workgroup_processor_mode 1
		.amdhsa_memory_ordered 1
		.amdhsa_forward_progress 1
		.amdhsa_inst_pref_size 1
		.amdhsa_round_robin_scheduling 0
		.amdhsa_exception_fp_ieee_invalid_op 0
		.amdhsa_exception_fp_denorm_src 0
		.amdhsa_exception_fp_ieee_div_zero 0
		.amdhsa_exception_fp_ieee_overflow 0
		.amdhsa_exception_fp_ieee_underflow 0
		.amdhsa_exception_fp_ieee_inexact 0
		.amdhsa_exception_int_div_zero 0
	.end_amdhsa_kernel
	.section	.text._ZN7rocprim17ROCPRIM_400000_NS6detail17trampoline_kernelINS0_13select_configILj256ELj13ELNS0_17block_load_methodE3ELS4_3ELS4_3ELNS0_20block_scan_algorithmE0ELj4294967295EEENS1_25partition_config_selectorILNS1_17partition_subalgoE3EjNS0_10empty_typeEbEEZZNS1_14partition_implILS8_3ELb0ES6_jNS0_17counting_iteratorIjlEEPS9_SE_NS0_5tupleIJPjSE_EEENSF_IJSE_SE_EEES9_SG_JZNS1_25segmented_radix_sort_implINS0_14default_configELb1EPKiPiPKlPlN2at6native12_GLOBAL__N_18offset_tEEE10hipError_tPvRmT1_PNSt15iterator_traitsISY_E10value_typeET2_T3_PNSZ_IS14_E10value_typeET4_jRbjT5_S1A_jjP12ihipStream_tbEUljE_EEESV_SW_SX_S14_S18_S1A_T6_T7_T9_mT8_S1C_bDpT10_ENKUlT_T0_E_clISt17integral_constantIbLb1EES1O_IbLb0EEEEDaS1K_S1L_EUlS1K_E_NS1_11comp_targetILNS1_3genE10ELNS1_11target_archE1200ELNS1_3gpuE4ELNS1_3repE0EEENS1_30default_config_static_selectorELNS0_4arch9wavefront6targetE0EEEvSY_,"axG",@progbits,_ZN7rocprim17ROCPRIM_400000_NS6detail17trampoline_kernelINS0_13select_configILj256ELj13ELNS0_17block_load_methodE3ELS4_3ELS4_3ELNS0_20block_scan_algorithmE0ELj4294967295EEENS1_25partition_config_selectorILNS1_17partition_subalgoE3EjNS0_10empty_typeEbEEZZNS1_14partition_implILS8_3ELb0ES6_jNS0_17counting_iteratorIjlEEPS9_SE_NS0_5tupleIJPjSE_EEENSF_IJSE_SE_EEES9_SG_JZNS1_25segmented_radix_sort_implINS0_14default_configELb1EPKiPiPKlPlN2at6native12_GLOBAL__N_18offset_tEEE10hipError_tPvRmT1_PNSt15iterator_traitsISY_E10value_typeET2_T3_PNSZ_IS14_E10value_typeET4_jRbjT5_S1A_jjP12ihipStream_tbEUljE_EEESV_SW_SX_S14_S18_S1A_T6_T7_T9_mT8_S1C_bDpT10_ENKUlT_T0_E_clISt17integral_constantIbLb1EES1O_IbLb0EEEEDaS1K_S1L_EUlS1K_E_NS1_11comp_targetILNS1_3genE10ELNS1_11target_archE1200ELNS1_3gpuE4ELNS1_3repE0EEENS1_30default_config_static_selectorELNS0_4arch9wavefront6targetE0EEEvSY_,comdat
.Lfunc_end486:
	.size	_ZN7rocprim17ROCPRIM_400000_NS6detail17trampoline_kernelINS0_13select_configILj256ELj13ELNS0_17block_load_methodE3ELS4_3ELS4_3ELNS0_20block_scan_algorithmE0ELj4294967295EEENS1_25partition_config_selectorILNS1_17partition_subalgoE3EjNS0_10empty_typeEbEEZZNS1_14partition_implILS8_3ELb0ES6_jNS0_17counting_iteratorIjlEEPS9_SE_NS0_5tupleIJPjSE_EEENSF_IJSE_SE_EEES9_SG_JZNS1_25segmented_radix_sort_implINS0_14default_configELb1EPKiPiPKlPlN2at6native12_GLOBAL__N_18offset_tEEE10hipError_tPvRmT1_PNSt15iterator_traitsISY_E10value_typeET2_T3_PNSZ_IS14_E10value_typeET4_jRbjT5_S1A_jjP12ihipStream_tbEUljE_EEESV_SW_SX_S14_S18_S1A_T6_T7_T9_mT8_S1C_bDpT10_ENKUlT_T0_E_clISt17integral_constantIbLb1EES1O_IbLb0EEEEDaS1K_S1L_EUlS1K_E_NS1_11comp_targetILNS1_3genE10ELNS1_11target_archE1200ELNS1_3gpuE4ELNS1_3repE0EEENS1_30default_config_static_selectorELNS0_4arch9wavefront6targetE0EEEvSY_, .Lfunc_end486-_ZN7rocprim17ROCPRIM_400000_NS6detail17trampoline_kernelINS0_13select_configILj256ELj13ELNS0_17block_load_methodE3ELS4_3ELS4_3ELNS0_20block_scan_algorithmE0ELj4294967295EEENS1_25partition_config_selectorILNS1_17partition_subalgoE3EjNS0_10empty_typeEbEEZZNS1_14partition_implILS8_3ELb0ES6_jNS0_17counting_iteratorIjlEEPS9_SE_NS0_5tupleIJPjSE_EEENSF_IJSE_SE_EEES9_SG_JZNS1_25segmented_radix_sort_implINS0_14default_configELb1EPKiPiPKlPlN2at6native12_GLOBAL__N_18offset_tEEE10hipError_tPvRmT1_PNSt15iterator_traitsISY_E10value_typeET2_T3_PNSZ_IS14_E10value_typeET4_jRbjT5_S1A_jjP12ihipStream_tbEUljE_EEESV_SW_SX_S14_S18_S1A_T6_T7_T9_mT8_S1C_bDpT10_ENKUlT_T0_E_clISt17integral_constantIbLb1EES1O_IbLb0EEEEDaS1K_S1L_EUlS1K_E_NS1_11comp_targetILNS1_3genE10ELNS1_11target_archE1200ELNS1_3gpuE4ELNS1_3repE0EEENS1_30default_config_static_selectorELNS0_4arch9wavefront6targetE0EEEvSY_
                                        ; -- End function
	.set _ZN7rocprim17ROCPRIM_400000_NS6detail17trampoline_kernelINS0_13select_configILj256ELj13ELNS0_17block_load_methodE3ELS4_3ELS4_3ELNS0_20block_scan_algorithmE0ELj4294967295EEENS1_25partition_config_selectorILNS1_17partition_subalgoE3EjNS0_10empty_typeEbEEZZNS1_14partition_implILS8_3ELb0ES6_jNS0_17counting_iteratorIjlEEPS9_SE_NS0_5tupleIJPjSE_EEENSF_IJSE_SE_EEES9_SG_JZNS1_25segmented_radix_sort_implINS0_14default_configELb1EPKiPiPKlPlN2at6native12_GLOBAL__N_18offset_tEEE10hipError_tPvRmT1_PNSt15iterator_traitsISY_E10value_typeET2_T3_PNSZ_IS14_E10value_typeET4_jRbjT5_S1A_jjP12ihipStream_tbEUljE_EEESV_SW_SX_S14_S18_S1A_T6_T7_T9_mT8_S1C_bDpT10_ENKUlT_T0_E_clISt17integral_constantIbLb1EES1O_IbLb0EEEEDaS1K_S1L_EUlS1K_E_NS1_11comp_targetILNS1_3genE10ELNS1_11target_archE1200ELNS1_3gpuE4ELNS1_3repE0EEENS1_30default_config_static_selectorELNS0_4arch9wavefront6targetE0EEEvSY_.num_vgpr, 0
	.set _ZN7rocprim17ROCPRIM_400000_NS6detail17trampoline_kernelINS0_13select_configILj256ELj13ELNS0_17block_load_methodE3ELS4_3ELS4_3ELNS0_20block_scan_algorithmE0ELj4294967295EEENS1_25partition_config_selectorILNS1_17partition_subalgoE3EjNS0_10empty_typeEbEEZZNS1_14partition_implILS8_3ELb0ES6_jNS0_17counting_iteratorIjlEEPS9_SE_NS0_5tupleIJPjSE_EEENSF_IJSE_SE_EEES9_SG_JZNS1_25segmented_radix_sort_implINS0_14default_configELb1EPKiPiPKlPlN2at6native12_GLOBAL__N_18offset_tEEE10hipError_tPvRmT1_PNSt15iterator_traitsISY_E10value_typeET2_T3_PNSZ_IS14_E10value_typeET4_jRbjT5_S1A_jjP12ihipStream_tbEUljE_EEESV_SW_SX_S14_S18_S1A_T6_T7_T9_mT8_S1C_bDpT10_ENKUlT_T0_E_clISt17integral_constantIbLb1EES1O_IbLb0EEEEDaS1K_S1L_EUlS1K_E_NS1_11comp_targetILNS1_3genE10ELNS1_11target_archE1200ELNS1_3gpuE4ELNS1_3repE0EEENS1_30default_config_static_selectorELNS0_4arch9wavefront6targetE0EEEvSY_.num_agpr, 0
	.set _ZN7rocprim17ROCPRIM_400000_NS6detail17trampoline_kernelINS0_13select_configILj256ELj13ELNS0_17block_load_methodE3ELS4_3ELS4_3ELNS0_20block_scan_algorithmE0ELj4294967295EEENS1_25partition_config_selectorILNS1_17partition_subalgoE3EjNS0_10empty_typeEbEEZZNS1_14partition_implILS8_3ELb0ES6_jNS0_17counting_iteratorIjlEEPS9_SE_NS0_5tupleIJPjSE_EEENSF_IJSE_SE_EEES9_SG_JZNS1_25segmented_radix_sort_implINS0_14default_configELb1EPKiPiPKlPlN2at6native12_GLOBAL__N_18offset_tEEE10hipError_tPvRmT1_PNSt15iterator_traitsISY_E10value_typeET2_T3_PNSZ_IS14_E10value_typeET4_jRbjT5_S1A_jjP12ihipStream_tbEUljE_EEESV_SW_SX_S14_S18_S1A_T6_T7_T9_mT8_S1C_bDpT10_ENKUlT_T0_E_clISt17integral_constantIbLb1EES1O_IbLb0EEEEDaS1K_S1L_EUlS1K_E_NS1_11comp_targetILNS1_3genE10ELNS1_11target_archE1200ELNS1_3gpuE4ELNS1_3repE0EEENS1_30default_config_static_selectorELNS0_4arch9wavefront6targetE0EEEvSY_.numbered_sgpr, 0
	.set _ZN7rocprim17ROCPRIM_400000_NS6detail17trampoline_kernelINS0_13select_configILj256ELj13ELNS0_17block_load_methodE3ELS4_3ELS4_3ELNS0_20block_scan_algorithmE0ELj4294967295EEENS1_25partition_config_selectorILNS1_17partition_subalgoE3EjNS0_10empty_typeEbEEZZNS1_14partition_implILS8_3ELb0ES6_jNS0_17counting_iteratorIjlEEPS9_SE_NS0_5tupleIJPjSE_EEENSF_IJSE_SE_EEES9_SG_JZNS1_25segmented_radix_sort_implINS0_14default_configELb1EPKiPiPKlPlN2at6native12_GLOBAL__N_18offset_tEEE10hipError_tPvRmT1_PNSt15iterator_traitsISY_E10value_typeET2_T3_PNSZ_IS14_E10value_typeET4_jRbjT5_S1A_jjP12ihipStream_tbEUljE_EEESV_SW_SX_S14_S18_S1A_T6_T7_T9_mT8_S1C_bDpT10_ENKUlT_T0_E_clISt17integral_constantIbLb1EES1O_IbLb0EEEEDaS1K_S1L_EUlS1K_E_NS1_11comp_targetILNS1_3genE10ELNS1_11target_archE1200ELNS1_3gpuE4ELNS1_3repE0EEENS1_30default_config_static_selectorELNS0_4arch9wavefront6targetE0EEEvSY_.num_named_barrier, 0
	.set _ZN7rocprim17ROCPRIM_400000_NS6detail17trampoline_kernelINS0_13select_configILj256ELj13ELNS0_17block_load_methodE3ELS4_3ELS4_3ELNS0_20block_scan_algorithmE0ELj4294967295EEENS1_25partition_config_selectorILNS1_17partition_subalgoE3EjNS0_10empty_typeEbEEZZNS1_14partition_implILS8_3ELb0ES6_jNS0_17counting_iteratorIjlEEPS9_SE_NS0_5tupleIJPjSE_EEENSF_IJSE_SE_EEES9_SG_JZNS1_25segmented_radix_sort_implINS0_14default_configELb1EPKiPiPKlPlN2at6native12_GLOBAL__N_18offset_tEEE10hipError_tPvRmT1_PNSt15iterator_traitsISY_E10value_typeET2_T3_PNSZ_IS14_E10value_typeET4_jRbjT5_S1A_jjP12ihipStream_tbEUljE_EEESV_SW_SX_S14_S18_S1A_T6_T7_T9_mT8_S1C_bDpT10_ENKUlT_T0_E_clISt17integral_constantIbLb1EES1O_IbLb0EEEEDaS1K_S1L_EUlS1K_E_NS1_11comp_targetILNS1_3genE10ELNS1_11target_archE1200ELNS1_3gpuE4ELNS1_3repE0EEENS1_30default_config_static_selectorELNS0_4arch9wavefront6targetE0EEEvSY_.private_seg_size, 0
	.set _ZN7rocprim17ROCPRIM_400000_NS6detail17trampoline_kernelINS0_13select_configILj256ELj13ELNS0_17block_load_methodE3ELS4_3ELS4_3ELNS0_20block_scan_algorithmE0ELj4294967295EEENS1_25partition_config_selectorILNS1_17partition_subalgoE3EjNS0_10empty_typeEbEEZZNS1_14partition_implILS8_3ELb0ES6_jNS0_17counting_iteratorIjlEEPS9_SE_NS0_5tupleIJPjSE_EEENSF_IJSE_SE_EEES9_SG_JZNS1_25segmented_radix_sort_implINS0_14default_configELb1EPKiPiPKlPlN2at6native12_GLOBAL__N_18offset_tEEE10hipError_tPvRmT1_PNSt15iterator_traitsISY_E10value_typeET2_T3_PNSZ_IS14_E10value_typeET4_jRbjT5_S1A_jjP12ihipStream_tbEUljE_EEESV_SW_SX_S14_S18_S1A_T6_T7_T9_mT8_S1C_bDpT10_ENKUlT_T0_E_clISt17integral_constantIbLb1EES1O_IbLb0EEEEDaS1K_S1L_EUlS1K_E_NS1_11comp_targetILNS1_3genE10ELNS1_11target_archE1200ELNS1_3gpuE4ELNS1_3repE0EEENS1_30default_config_static_selectorELNS0_4arch9wavefront6targetE0EEEvSY_.uses_vcc, 0
	.set _ZN7rocprim17ROCPRIM_400000_NS6detail17trampoline_kernelINS0_13select_configILj256ELj13ELNS0_17block_load_methodE3ELS4_3ELS4_3ELNS0_20block_scan_algorithmE0ELj4294967295EEENS1_25partition_config_selectorILNS1_17partition_subalgoE3EjNS0_10empty_typeEbEEZZNS1_14partition_implILS8_3ELb0ES6_jNS0_17counting_iteratorIjlEEPS9_SE_NS0_5tupleIJPjSE_EEENSF_IJSE_SE_EEES9_SG_JZNS1_25segmented_radix_sort_implINS0_14default_configELb1EPKiPiPKlPlN2at6native12_GLOBAL__N_18offset_tEEE10hipError_tPvRmT1_PNSt15iterator_traitsISY_E10value_typeET2_T3_PNSZ_IS14_E10value_typeET4_jRbjT5_S1A_jjP12ihipStream_tbEUljE_EEESV_SW_SX_S14_S18_S1A_T6_T7_T9_mT8_S1C_bDpT10_ENKUlT_T0_E_clISt17integral_constantIbLb1EES1O_IbLb0EEEEDaS1K_S1L_EUlS1K_E_NS1_11comp_targetILNS1_3genE10ELNS1_11target_archE1200ELNS1_3gpuE4ELNS1_3repE0EEENS1_30default_config_static_selectorELNS0_4arch9wavefront6targetE0EEEvSY_.uses_flat_scratch, 0
	.set _ZN7rocprim17ROCPRIM_400000_NS6detail17trampoline_kernelINS0_13select_configILj256ELj13ELNS0_17block_load_methodE3ELS4_3ELS4_3ELNS0_20block_scan_algorithmE0ELj4294967295EEENS1_25partition_config_selectorILNS1_17partition_subalgoE3EjNS0_10empty_typeEbEEZZNS1_14partition_implILS8_3ELb0ES6_jNS0_17counting_iteratorIjlEEPS9_SE_NS0_5tupleIJPjSE_EEENSF_IJSE_SE_EEES9_SG_JZNS1_25segmented_radix_sort_implINS0_14default_configELb1EPKiPiPKlPlN2at6native12_GLOBAL__N_18offset_tEEE10hipError_tPvRmT1_PNSt15iterator_traitsISY_E10value_typeET2_T3_PNSZ_IS14_E10value_typeET4_jRbjT5_S1A_jjP12ihipStream_tbEUljE_EEESV_SW_SX_S14_S18_S1A_T6_T7_T9_mT8_S1C_bDpT10_ENKUlT_T0_E_clISt17integral_constantIbLb1EES1O_IbLb0EEEEDaS1K_S1L_EUlS1K_E_NS1_11comp_targetILNS1_3genE10ELNS1_11target_archE1200ELNS1_3gpuE4ELNS1_3repE0EEENS1_30default_config_static_selectorELNS0_4arch9wavefront6targetE0EEEvSY_.has_dyn_sized_stack, 0
	.set _ZN7rocprim17ROCPRIM_400000_NS6detail17trampoline_kernelINS0_13select_configILj256ELj13ELNS0_17block_load_methodE3ELS4_3ELS4_3ELNS0_20block_scan_algorithmE0ELj4294967295EEENS1_25partition_config_selectorILNS1_17partition_subalgoE3EjNS0_10empty_typeEbEEZZNS1_14partition_implILS8_3ELb0ES6_jNS0_17counting_iteratorIjlEEPS9_SE_NS0_5tupleIJPjSE_EEENSF_IJSE_SE_EEES9_SG_JZNS1_25segmented_radix_sort_implINS0_14default_configELb1EPKiPiPKlPlN2at6native12_GLOBAL__N_18offset_tEEE10hipError_tPvRmT1_PNSt15iterator_traitsISY_E10value_typeET2_T3_PNSZ_IS14_E10value_typeET4_jRbjT5_S1A_jjP12ihipStream_tbEUljE_EEESV_SW_SX_S14_S18_S1A_T6_T7_T9_mT8_S1C_bDpT10_ENKUlT_T0_E_clISt17integral_constantIbLb1EES1O_IbLb0EEEEDaS1K_S1L_EUlS1K_E_NS1_11comp_targetILNS1_3genE10ELNS1_11target_archE1200ELNS1_3gpuE4ELNS1_3repE0EEENS1_30default_config_static_selectorELNS0_4arch9wavefront6targetE0EEEvSY_.has_recursion, 0
	.set _ZN7rocprim17ROCPRIM_400000_NS6detail17trampoline_kernelINS0_13select_configILj256ELj13ELNS0_17block_load_methodE3ELS4_3ELS4_3ELNS0_20block_scan_algorithmE0ELj4294967295EEENS1_25partition_config_selectorILNS1_17partition_subalgoE3EjNS0_10empty_typeEbEEZZNS1_14partition_implILS8_3ELb0ES6_jNS0_17counting_iteratorIjlEEPS9_SE_NS0_5tupleIJPjSE_EEENSF_IJSE_SE_EEES9_SG_JZNS1_25segmented_radix_sort_implINS0_14default_configELb1EPKiPiPKlPlN2at6native12_GLOBAL__N_18offset_tEEE10hipError_tPvRmT1_PNSt15iterator_traitsISY_E10value_typeET2_T3_PNSZ_IS14_E10value_typeET4_jRbjT5_S1A_jjP12ihipStream_tbEUljE_EEESV_SW_SX_S14_S18_S1A_T6_T7_T9_mT8_S1C_bDpT10_ENKUlT_T0_E_clISt17integral_constantIbLb1EES1O_IbLb0EEEEDaS1K_S1L_EUlS1K_E_NS1_11comp_targetILNS1_3genE10ELNS1_11target_archE1200ELNS1_3gpuE4ELNS1_3repE0EEENS1_30default_config_static_selectorELNS0_4arch9wavefront6targetE0EEEvSY_.has_indirect_call, 0
	.section	.AMDGPU.csdata,"",@progbits
; Kernel info:
; codeLenInByte = 4
; TotalNumSgprs: 0
; NumVgprs: 0
; ScratchSize: 0
; MemoryBound: 0
; FloatMode: 240
; IeeeMode: 1
; LDSByteSize: 0 bytes/workgroup (compile time only)
; SGPRBlocks: 0
; VGPRBlocks: 0
; NumSGPRsForWavesPerEU: 1
; NumVGPRsForWavesPerEU: 1
; Occupancy: 16
; WaveLimiterHint : 0
; COMPUTE_PGM_RSRC2:SCRATCH_EN: 0
; COMPUTE_PGM_RSRC2:USER_SGPR: 2
; COMPUTE_PGM_RSRC2:TRAP_HANDLER: 0
; COMPUTE_PGM_RSRC2:TGID_X_EN: 1
; COMPUTE_PGM_RSRC2:TGID_Y_EN: 0
; COMPUTE_PGM_RSRC2:TGID_Z_EN: 0
; COMPUTE_PGM_RSRC2:TIDIG_COMP_CNT: 0
	.section	.text._ZN7rocprim17ROCPRIM_400000_NS6detail17trampoline_kernelINS0_13select_configILj256ELj13ELNS0_17block_load_methodE3ELS4_3ELS4_3ELNS0_20block_scan_algorithmE0ELj4294967295EEENS1_25partition_config_selectorILNS1_17partition_subalgoE3EjNS0_10empty_typeEbEEZZNS1_14partition_implILS8_3ELb0ES6_jNS0_17counting_iteratorIjlEEPS9_SE_NS0_5tupleIJPjSE_EEENSF_IJSE_SE_EEES9_SG_JZNS1_25segmented_radix_sort_implINS0_14default_configELb1EPKiPiPKlPlN2at6native12_GLOBAL__N_18offset_tEEE10hipError_tPvRmT1_PNSt15iterator_traitsISY_E10value_typeET2_T3_PNSZ_IS14_E10value_typeET4_jRbjT5_S1A_jjP12ihipStream_tbEUljE_EEESV_SW_SX_S14_S18_S1A_T6_T7_T9_mT8_S1C_bDpT10_ENKUlT_T0_E_clISt17integral_constantIbLb1EES1O_IbLb0EEEEDaS1K_S1L_EUlS1K_E_NS1_11comp_targetILNS1_3genE9ELNS1_11target_archE1100ELNS1_3gpuE3ELNS1_3repE0EEENS1_30default_config_static_selectorELNS0_4arch9wavefront6targetE0EEEvSY_,"axG",@progbits,_ZN7rocprim17ROCPRIM_400000_NS6detail17trampoline_kernelINS0_13select_configILj256ELj13ELNS0_17block_load_methodE3ELS4_3ELS4_3ELNS0_20block_scan_algorithmE0ELj4294967295EEENS1_25partition_config_selectorILNS1_17partition_subalgoE3EjNS0_10empty_typeEbEEZZNS1_14partition_implILS8_3ELb0ES6_jNS0_17counting_iteratorIjlEEPS9_SE_NS0_5tupleIJPjSE_EEENSF_IJSE_SE_EEES9_SG_JZNS1_25segmented_radix_sort_implINS0_14default_configELb1EPKiPiPKlPlN2at6native12_GLOBAL__N_18offset_tEEE10hipError_tPvRmT1_PNSt15iterator_traitsISY_E10value_typeET2_T3_PNSZ_IS14_E10value_typeET4_jRbjT5_S1A_jjP12ihipStream_tbEUljE_EEESV_SW_SX_S14_S18_S1A_T6_T7_T9_mT8_S1C_bDpT10_ENKUlT_T0_E_clISt17integral_constantIbLb1EES1O_IbLb0EEEEDaS1K_S1L_EUlS1K_E_NS1_11comp_targetILNS1_3genE9ELNS1_11target_archE1100ELNS1_3gpuE3ELNS1_3repE0EEENS1_30default_config_static_selectorELNS0_4arch9wavefront6targetE0EEEvSY_,comdat
	.globl	_ZN7rocprim17ROCPRIM_400000_NS6detail17trampoline_kernelINS0_13select_configILj256ELj13ELNS0_17block_load_methodE3ELS4_3ELS4_3ELNS0_20block_scan_algorithmE0ELj4294967295EEENS1_25partition_config_selectorILNS1_17partition_subalgoE3EjNS0_10empty_typeEbEEZZNS1_14partition_implILS8_3ELb0ES6_jNS0_17counting_iteratorIjlEEPS9_SE_NS0_5tupleIJPjSE_EEENSF_IJSE_SE_EEES9_SG_JZNS1_25segmented_radix_sort_implINS0_14default_configELb1EPKiPiPKlPlN2at6native12_GLOBAL__N_18offset_tEEE10hipError_tPvRmT1_PNSt15iterator_traitsISY_E10value_typeET2_T3_PNSZ_IS14_E10value_typeET4_jRbjT5_S1A_jjP12ihipStream_tbEUljE_EEESV_SW_SX_S14_S18_S1A_T6_T7_T9_mT8_S1C_bDpT10_ENKUlT_T0_E_clISt17integral_constantIbLb1EES1O_IbLb0EEEEDaS1K_S1L_EUlS1K_E_NS1_11comp_targetILNS1_3genE9ELNS1_11target_archE1100ELNS1_3gpuE3ELNS1_3repE0EEENS1_30default_config_static_selectorELNS0_4arch9wavefront6targetE0EEEvSY_ ; -- Begin function _ZN7rocprim17ROCPRIM_400000_NS6detail17trampoline_kernelINS0_13select_configILj256ELj13ELNS0_17block_load_methodE3ELS4_3ELS4_3ELNS0_20block_scan_algorithmE0ELj4294967295EEENS1_25partition_config_selectorILNS1_17partition_subalgoE3EjNS0_10empty_typeEbEEZZNS1_14partition_implILS8_3ELb0ES6_jNS0_17counting_iteratorIjlEEPS9_SE_NS0_5tupleIJPjSE_EEENSF_IJSE_SE_EEES9_SG_JZNS1_25segmented_radix_sort_implINS0_14default_configELb1EPKiPiPKlPlN2at6native12_GLOBAL__N_18offset_tEEE10hipError_tPvRmT1_PNSt15iterator_traitsISY_E10value_typeET2_T3_PNSZ_IS14_E10value_typeET4_jRbjT5_S1A_jjP12ihipStream_tbEUljE_EEESV_SW_SX_S14_S18_S1A_T6_T7_T9_mT8_S1C_bDpT10_ENKUlT_T0_E_clISt17integral_constantIbLb1EES1O_IbLb0EEEEDaS1K_S1L_EUlS1K_E_NS1_11comp_targetILNS1_3genE9ELNS1_11target_archE1100ELNS1_3gpuE3ELNS1_3repE0EEENS1_30default_config_static_selectorELNS0_4arch9wavefront6targetE0EEEvSY_
	.p2align	8
	.type	_ZN7rocprim17ROCPRIM_400000_NS6detail17trampoline_kernelINS0_13select_configILj256ELj13ELNS0_17block_load_methodE3ELS4_3ELS4_3ELNS0_20block_scan_algorithmE0ELj4294967295EEENS1_25partition_config_selectorILNS1_17partition_subalgoE3EjNS0_10empty_typeEbEEZZNS1_14partition_implILS8_3ELb0ES6_jNS0_17counting_iteratorIjlEEPS9_SE_NS0_5tupleIJPjSE_EEENSF_IJSE_SE_EEES9_SG_JZNS1_25segmented_radix_sort_implINS0_14default_configELb1EPKiPiPKlPlN2at6native12_GLOBAL__N_18offset_tEEE10hipError_tPvRmT1_PNSt15iterator_traitsISY_E10value_typeET2_T3_PNSZ_IS14_E10value_typeET4_jRbjT5_S1A_jjP12ihipStream_tbEUljE_EEESV_SW_SX_S14_S18_S1A_T6_T7_T9_mT8_S1C_bDpT10_ENKUlT_T0_E_clISt17integral_constantIbLb1EES1O_IbLb0EEEEDaS1K_S1L_EUlS1K_E_NS1_11comp_targetILNS1_3genE9ELNS1_11target_archE1100ELNS1_3gpuE3ELNS1_3repE0EEENS1_30default_config_static_selectorELNS0_4arch9wavefront6targetE0EEEvSY_,@function
_ZN7rocprim17ROCPRIM_400000_NS6detail17trampoline_kernelINS0_13select_configILj256ELj13ELNS0_17block_load_methodE3ELS4_3ELS4_3ELNS0_20block_scan_algorithmE0ELj4294967295EEENS1_25partition_config_selectorILNS1_17partition_subalgoE3EjNS0_10empty_typeEbEEZZNS1_14partition_implILS8_3ELb0ES6_jNS0_17counting_iteratorIjlEEPS9_SE_NS0_5tupleIJPjSE_EEENSF_IJSE_SE_EEES9_SG_JZNS1_25segmented_radix_sort_implINS0_14default_configELb1EPKiPiPKlPlN2at6native12_GLOBAL__N_18offset_tEEE10hipError_tPvRmT1_PNSt15iterator_traitsISY_E10value_typeET2_T3_PNSZ_IS14_E10value_typeET4_jRbjT5_S1A_jjP12ihipStream_tbEUljE_EEESV_SW_SX_S14_S18_S1A_T6_T7_T9_mT8_S1C_bDpT10_ENKUlT_T0_E_clISt17integral_constantIbLb1EES1O_IbLb0EEEEDaS1K_S1L_EUlS1K_E_NS1_11comp_targetILNS1_3genE9ELNS1_11target_archE1100ELNS1_3gpuE3ELNS1_3repE0EEENS1_30default_config_static_selectorELNS0_4arch9wavefront6targetE0EEEvSY_: ; @_ZN7rocprim17ROCPRIM_400000_NS6detail17trampoline_kernelINS0_13select_configILj256ELj13ELNS0_17block_load_methodE3ELS4_3ELS4_3ELNS0_20block_scan_algorithmE0ELj4294967295EEENS1_25partition_config_selectorILNS1_17partition_subalgoE3EjNS0_10empty_typeEbEEZZNS1_14partition_implILS8_3ELb0ES6_jNS0_17counting_iteratorIjlEEPS9_SE_NS0_5tupleIJPjSE_EEENSF_IJSE_SE_EEES9_SG_JZNS1_25segmented_radix_sort_implINS0_14default_configELb1EPKiPiPKlPlN2at6native12_GLOBAL__N_18offset_tEEE10hipError_tPvRmT1_PNSt15iterator_traitsISY_E10value_typeET2_T3_PNSZ_IS14_E10value_typeET4_jRbjT5_S1A_jjP12ihipStream_tbEUljE_EEESV_SW_SX_S14_S18_S1A_T6_T7_T9_mT8_S1C_bDpT10_ENKUlT_T0_E_clISt17integral_constantIbLb1EES1O_IbLb0EEEEDaS1K_S1L_EUlS1K_E_NS1_11comp_targetILNS1_3genE9ELNS1_11target_archE1100ELNS1_3gpuE3ELNS1_3repE0EEENS1_30default_config_static_selectorELNS0_4arch9wavefront6targetE0EEEvSY_
; %bb.0:
	.section	.rodata,"a",@progbits
	.p2align	6, 0x0
	.amdhsa_kernel _ZN7rocprim17ROCPRIM_400000_NS6detail17trampoline_kernelINS0_13select_configILj256ELj13ELNS0_17block_load_methodE3ELS4_3ELS4_3ELNS0_20block_scan_algorithmE0ELj4294967295EEENS1_25partition_config_selectorILNS1_17partition_subalgoE3EjNS0_10empty_typeEbEEZZNS1_14partition_implILS8_3ELb0ES6_jNS0_17counting_iteratorIjlEEPS9_SE_NS0_5tupleIJPjSE_EEENSF_IJSE_SE_EEES9_SG_JZNS1_25segmented_radix_sort_implINS0_14default_configELb1EPKiPiPKlPlN2at6native12_GLOBAL__N_18offset_tEEE10hipError_tPvRmT1_PNSt15iterator_traitsISY_E10value_typeET2_T3_PNSZ_IS14_E10value_typeET4_jRbjT5_S1A_jjP12ihipStream_tbEUljE_EEESV_SW_SX_S14_S18_S1A_T6_T7_T9_mT8_S1C_bDpT10_ENKUlT_T0_E_clISt17integral_constantIbLb1EES1O_IbLb0EEEEDaS1K_S1L_EUlS1K_E_NS1_11comp_targetILNS1_3genE9ELNS1_11target_archE1100ELNS1_3gpuE3ELNS1_3repE0EEENS1_30default_config_static_selectorELNS0_4arch9wavefront6targetE0EEEvSY_
		.amdhsa_group_segment_fixed_size 0
		.amdhsa_private_segment_fixed_size 0
		.amdhsa_kernarg_size 144
		.amdhsa_user_sgpr_count 2
		.amdhsa_user_sgpr_dispatch_ptr 0
		.amdhsa_user_sgpr_queue_ptr 0
		.amdhsa_user_sgpr_kernarg_segment_ptr 1
		.amdhsa_user_sgpr_dispatch_id 0
		.amdhsa_user_sgpr_private_segment_size 0
		.amdhsa_wavefront_size32 1
		.amdhsa_uses_dynamic_stack 0
		.amdhsa_enable_private_segment 0
		.amdhsa_system_sgpr_workgroup_id_x 1
		.amdhsa_system_sgpr_workgroup_id_y 0
		.amdhsa_system_sgpr_workgroup_id_z 0
		.amdhsa_system_sgpr_workgroup_info 0
		.amdhsa_system_vgpr_workitem_id 0
		.amdhsa_next_free_vgpr 1
		.amdhsa_next_free_sgpr 1
		.amdhsa_reserve_vcc 0
		.amdhsa_float_round_mode_32 0
		.amdhsa_float_round_mode_16_64 0
		.amdhsa_float_denorm_mode_32 3
		.amdhsa_float_denorm_mode_16_64 3
		.amdhsa_fp16_overflow 0
		.amdhsa_workgroup_processor_mode 1
		.amdhsa_memory_ordered 1
		.amdhsa_forward_progress 1
		.amdhsa_inst_pref_size 0
		.amdhsa_round_robin_scheduling 0
		.amdhsa_exception_fp_ieee_invalid_op 0
		.amdhsa_exception_fp_denorm_src 0
		.amdhsa_exception_fp_ieee_div_zero 0
		.amdhsa_exception_fp_ieee_overflow 0
		.amdhsa_exception_fp_ieee_underflow 0
		.amdhsa_exception_fp_ieee_inexact 0
		.amdhsa_exception_int_div_zero 0
	.end_amdhsa_kernel
	.section	.text._ZN7rocprim17ROCPRIM_400000_NS6detail17trampoline_kernelINS0_13select_configILj256ELj13ELNS0_17block_load_methodE3ELS4_3ELS4_3ELNS0_20block_scan_algorithmE0ELj4294967295EEENS1_25partition_config_selectorILNS1_17partition_subalgoE3EjNS0_10empty_typeEbEEZZNS1_14partition_implILS8_3ELb0ES6_jNS0_17counting_iteratorIjlEEPS9_SE_NS0_5tupleIJPjSE_EEENSF_IJSE_SE_EEES9_SG_JZNS1_25segmented_radix_sort_implINS0_14default_configELb1EPKiPiPKlPlN2at6native12_GLOBAL__N_18offset_tEEE10hipError_tPvRmT1_PNSt15iterator_traitsISY_E10value_typeET2_T3_PNSZ_IS14_E10value_typeET4_jRbjT5_S1A_jjP12ihipStream_tbEUljE_EEESV_SW_SX_S14_S18_S1A_T6_T7_T9_mT8_S1C_bDpT10_ENKUlT_T0_E_clISt17integral_constantIbLb1EES1O_IbLb0EEEEDaS1K_S1L_EUlS1K_E_NS1_11comp_targetILNS1_3genE9ELNS1_11target_archE1100ELNS1_3gpuE3ELNS1_3repE0EEENS1_30default_config_static_selectorELNS0_4arch9wavefront6targetE0EEEvSY_,"axG",@progbits,_ZN7rocprim17ROCPRIM_400000_NS6detail17trampoline_kernelINS0_13select_configILj256ELj13ELNS0_17block_load_methodE3ELS4_3ELS4_3ELNS0_20block_scan_algorithmE0ELj4294967295EEENS1_25partition_config_selectorILNS1_17partition_subalgoE3EjNS0_10empty_typeEbEEZZNS1_14partition_implILS8_3ELb0ES6_jNS0_17counting_iteratorIjlEEPS9_SE_NS0_5tupleIJPjSE_EEENSF_IJSE_SE_EEES9_SG_JZNS1_25segmented_radix_sort_implINS0_14default_configELb1EPKiPiPKlPlN2at6native12_GLOBAL__N_18offset_tEEE10hipError_tPvRmT1_PNSt15iterator_traitsISY_E10value_typeET2_T3_PNSZ_IS14_E10value_typeET4_jRbjT5_S1A_jjP12ihipStream_tbEUljE_EEESV_SW_SX_S14_S18_S1A_T6_T7_T9_mT8_S1C_bDpT10_ENKUlT_T0_E_clISt17integral_constantIbLb1EES1O_IbLb0EEEEDaS1K_S1L_EUlS1K_E_NS1_11comp_targetILNS1_3genE9ELNS1_11target_archE1100ELNS1_3gpuE3ELNS1_3repE0EEENS1_30default_config_static_selectorELNS0_4arch9wavefront6targetE0EEEvSY_,comdat
.Lfunc_end487:
	.size	_ZN7rocprim17ROCPRIM_400000_NS6detail17trampoline_kernelINS0_13select_configILj256ELj13ELNS0_17block_load_methodE3ELS4_3ELS4_3ELNS0_20block_scan_algorithmE0ELj4294967295EEENS1_25partition_config_selectorILNS1_17partition_subalgoE3EjNS0_10empty_typeEbEEZZNS1_14partition_implILS8_3ELb0ES6_jNS0_17counting_iteratorIjlEEPS9_SE_NS0_5tupleIJPjSE_EEENSF_IJSE_SE_EEES9_SG_JZNS1_25segmented_radix_sort_implINS0_14default_configELb1EPKiPiPKlPlN2at6native12_GLOBAL__N_18offset_tEEE10hipError_tPvRmT1_PNSt15iterator_traitsISY_E10value_typeET2_T3_PNSZ_IS14_E10value_typeET4_jRbjT5_S1A_jjP12ihipStream_tbEUljE_EEESV_SW_SX_S14_S18_S1A_T6_T7_T9_mT8_S1C_bDpT10_ENKUlT_T0_E_clISt17integral_constantIbLb1EES1O_IbLb0EEEEDaS1K_S1L_EUlS1K_E_NS1_11comp_targetILNS1_3genE9ELNS1_11target_archE1100ELNS1_3gpuE3ELNS1_3repE0EEENS1_30default_config_static_selectorELNS0_4arch9wavefront6targetE0EEEvSY_, .Lfunc_end487-_ZN7rocprim17ROCPRIM_400000_NS6detail17trampoline_kernelINS0_13select_configILj256ELj13ELNS0_17block_load_methodE3ELS4_3ELS4_3ELNS0_20block_scan_algorithmE0ELj4294967295EEENS1_25partition_config_selectorILNS1_17partition_subalgoE3EjNS0_10empty_typeEbEEZZNS1_14partition_implILS8_3ELb0ES6_jNS0_17counting_iteratorIjlEEPS9_SE_NS0_5tupleIJPjSE_EEENSF_IJSE_SE_EEES9_SG_JZNS1_25segmented_radix_sort_implINS0_14default_configELb1EPKiPiPKlPlN2at6native12_GLOBAL__N_18offset_tEEE10hipError_tPvRmT1_PNSt15iterator_traitsISY_E10value_typeET2_T3_PNSZ_IS14_E10value_typeET4_jRbjT5_S1A_jjP12ihipStream_tbEUljE_EEESV_SW_SX_S14_S18_S1A_T6_T7_T9_mT8_S1C_bDpT10_ENKUlT_T0_E_clISt17integral_constantIbLb1EES1O_IbLb0EEEEDaS1K_S1L_EUlS1K_E_NS1_11comp_targetILNS1_3genE9ELNS1_11target_archE1100ELNS1_3gpuE3ELNS1_3repE0EEENS1_30default_config_static_selectorELNS0_4arch9wavefront6targetE0EEEvSY_
                                        ; -- End function
	.set _ZN7rocprim17ROCPRIM_400000_NS6detail17trampoline_kernelINS0_13select_configILj256ELj13ELNS0_17block_load_methodE3ELS4_3ELS4_3ELNS0_20block_scan_algorithmE0ELj4294967295EEENS1_25partition_config_selectorILNS1_17partition_subalgoE3EjNS0_10empty_typeEbEEZZNS1_14partition_implILS8_3ELb0ES6_jNS0_17counting_iteratorIjlEEPS9_SE_NS0_5tupleIJPjSE_EEENSF_IJSE_SE_EEES9_SG_JZNS1_25segmented_radix_sort_implINS0_14default_configELb1EPKiPiPKlPlN2at6native12_GLOBAL__N_18offset_tEEE10hipError_tPvRmT1_PNSt15iterator_traitsISY_E10value_typeET2_T3_PNSZ_IS14_E10value_typeET4_jRbjT5_S1A_jjP12ihipStream_tbEUljE_EEESV_SW_SX_S14_S18_S1A_T6_T7_T9_mT8_S1C_bDpT10_ENKUlT_T0_E_clISt17integral_constantIbLb1EES1O_IbLb0EEEEDaS1K_S1L_EUlS1K_E_NS1_11comp_targetILNS1_3genE9ELNS1_11target_archE1100ELNS1_3gpuE3ELNS1_3repE0EEENS1_30default_config_static_selectorELNS0_4arch9wavefront6targetE0EEEvSY_.num_vgpr, 0
	.set _ZN7rocprim17ROCPRIM_400000_NS6detail17trampoline_kernelINS0_13select_configILj256ELj13ELNS0_17block_load_methodE3ELS4_3ELS4_3ELNS0_20block_scan_algorithmE0ELj4294967295EEENS1_25partition_config_selectorILNS1_17partition_subalgoE3EjNS0_10empty_typeEbEEZZNS1_14partition_implILS8_3ELb0ES6_jNS0_17counting_iteratorIjlEEPS9_SE_NS0_5tupleIJPjSE_EEENSF_IJSE_SE_EEES9_SG_JZNS1_25segmented_radix_sort_implINS0_14default_configELb1EPKiPiPKlPlN2at6native12_GLOBAL__N_18offset_tEEE10hipError_tPvRmT1_PNSt15iterator_traitsISY_E10value_typeET2_T3_PNSZ_IS14_E10value_typeET4_jRbjT5_S1A_jjP12ihipStream_tbEUljE_EEESV_SW_SX_S14_S18_S1A_T6_T7_T9_mT8_S1C_bDpT10_ENKUlT_T0_E_clISt17integral_constantIbLb1EES1O_IbLb0EEEEDaS1K_S1L_EUlS1K_E_NS1_11comp_targetILNS1_3genE9ELNS1_11target_archE1100ELNS1_3gpuE3ELNS1_3repE0EEENS1_30default_config_static_selectorELNS0_4arch9wavefront6targetE0EEEvSY_.num_agpr, 0
	.set _ZN7rocprim17ROCPRIM_400000_NS6detail17trampoline_kernelINS0_13select_configILj256ELj13ELNS0_17block_load_methodE3ELS4_3ELS4_3ELNS0_20block_scan_algorithmE0ELj4294967295EEENS1_25partition_config_selectorILNS1_17partition_subalgoE3EjNS0_10empty_typeEbEEZZNS1_14partition_implILS8_3ELb0ES6_jNS0_17counting_iteratorIjlEEPS9_SE_NS0_5tupleIJPjSE_EEENSF_IJSE_SE_EEES9_SG_JZNS1_25segmented_radix_sort_implINS0_14default_configELb1EPKiPiPKlPlN2at6native12_GLOBAL__N_18offset_tEEE10hipError_tPvRmT1_PNSt15iterator_traitsISY_E10value_typeET2_T3_PNSZ_IS14_E10value_typeET4_jRbjT5_S1A_jjP12ihipStream_tbEUljE_EEESV_SW_SX_S14_S18_S1A_T6_T7_T9_mT8_S1C_bDpT10_ENKUlT_T0_E_clISt17integral_constantIbLb1EES1O_IbLb0EEEEDaS1K_S1L_EUlS1K_E_NS1_11comp_targetILNS1_3genE9ELNS1_11target_archE1100ELNS1_3gpuE3ELNS1_3repE0EEENS1_30default_config_static_selectorELNS0_4arch9wavefront6targetE0EEEvSY_.numbered_sgpr, 0
	.set _ZN7rocprim17ROCPRIM_400000_NS6detail17trampoline_kernelINS0_13select_configILj256ELj13ELNS0_17block_load_methodE3ELS4_3ELS4_3ELNS0_20block_scan_algorithmE0ELj4294967295EEENS1_25partition_config_selectorILNS1_17partition_subalgoE3EjNS0_10empty_typeEbEEZZNS1_14partition_implILS8_3ELb0ES6_jNS0_17counting_iteratorIjlEEPS9_SE_NS0_5tupleIJPjSE_EEENSF_IJSE_SE_EEES9_SG_JZNS1_25segmented_radix_sort_implINS0_14default_configELb1EPKiPiPKlPlN2at6native12_GLOBAL__N_18offset_tEEE10hipError_tPvRmT1_PNSt15iterator_traitsISY_E10value_typeET2_T3_PNSZ_IS14_E10value_typeET4_jRbjT5_S1A_jjP12ihipStream_tbEUljE_EEESV_SW_SX_S14_S18_S1A_T6_T7_T9_mT8_S1C_bDpT10_ENKUlT_T0_E_clISt17integral_constantIbLb1EES1O_IbLb0EEEEDaS1K_S1L_EUlS1K_E_NS1_11comp_targetILNS1_3genE9ELNS1_11target_archE1100ELNS1_3gpuE3ELNS1_3repE0EEENS1_30default_config_static_selectorELNS0_4arch9wavefront6targetE0EEEvSY_.num_named_barrier, 0
	.set _ZN7rocprim17ROCPRIM_400000_NS6detail17trampoline_kernelINS0_13select_configILj256ELj13ELNS0_17block_load_methodE3ELS4_3ELS4_3ELNS0_20block_scan_algorithmE0ELj4294967295EEENS1_25partition_config_selectorILNS1_17partition_subalgoE3EjNS0_10empty_typeEbEEZZNS1_14partition_implILS8_3ELb0ES6_jNS0_17counting_iteratorIjlEEPS9_SE_NS0_5tupleIJPjSE_EEENSF_IJSE_SE_EEES9_SG_JZNS1_25segmented_radix_sort_implINS0_14default_configELb1EPKiPiPKlPlN2at6native12_GLOBAL__N_18offset_tEEE10hipError_tPvRmT1_PNSt15iterator_traitsISY_E10value_typeET2_T3_PNSZ_IS14_E10value_typeET4_jRbjT5_S1A_jjP12ihipStream_tbEUljE_EEESV_SW_SX_S14_S18_S1A_T6_T7_T9_mT8_S1C_bDpT10_ENKUlT_T0_E_clISt17integral_constantIbLb1EES1O_IbLb0EEEEDaS1K_S1L_EUlS1K_E_NS1_11comp_targetILNS1_3genE9ELNS1_11target_archE1100ELNS1_3gpuE3ELNS1_3repE0EEENS1_30default_config_static_selectorELNS0_4arch9wavefront6targetE0EEEvSY_.private_seg_size, 0
	.set _ZN7rocprim17ROCPRIM_400000_NS6detail17trampoline_kernelINS0_13select_configILj256ELj13ELNS0_17block_load_methodE3ELS4_3ELS4_3ELNS0_20block_scan_algorithmE0ELj4294967295EEENS1_25partition_config_selectorILNS1_17partition_subalgoE3EjNS0_10empty_typeEbEEZZNS1_14partition_implILS8_3ELb0ES6_jNS0_17counting_iteratorIjlEEPS9_SE_NS0_5tupleIJPjSE_EEENSF_IJSE_SE_EEES9_SG_JZNS1_25segmented_radix_sort_implINS0_14default_configELb1EPKiPiPKlPlN2at6native12_GLOBAL__N_18offset_tEEE10hipError_tPvRmT1_PNSt15iterator_traitsISY_E10value_typeET2_T3_PNSZ_IS14_E10value_typeET4_jRbjT5_S1A_jjP12ihipStream_tbEUljE_EEESV_SW_SX_S14_S18_S1A_T6_T7_T9_mT8_S1C_bDpT10_ENKUlT_T0_E_clISt17integral_constantIbLb1EES1O_IbLb0EEEEDaS1K_S1L_EUlS1K_E_NS1_11comp_targetILNS1_3genE9ELNS1_11target_archE1100ELNS1_3gpuE3ELNS1_3repE0EEENS1_30default_config_static_selectorELNS0_4arch9wavefront6targetE0EEEvSY_.uses_vcc, 0
	.set _ZN7rocprim17ROCPRIM_400000_NS6detail17trampoline_kernelINS0_13select_configILj256ELj13ELNS0_17block_load_methodE3ELS4_3ELS4_3ELNS0_20block_scan_algorithmE0ELj4294967295EEENS1_25partition_config_selectorILNS1_17partition_subalgoE3EjNS0_10empty_typeEbEEZZNS1_14partition_implILS8_3ELb0ES6_jNS0_17counting_iteratorIjlEEPS9_SE_NS0_5tupleIJPjSE_EEENSF_IJSE_SE_EEES9_SG_JZNS1_25segmented_radix_sort_implINS0_14default_configELb1EPKiPiPKlPlN2at6native12_GLOBAL__N_18offset_tEEE10hipError_tPvRmT1_PNSt15iterator_traitsISY_E10value_typeET2_T3_PNSZ_IS14_E10value_typeET4_jRbjT5_S1A_jjP12ihipStream_tbEUljE_EEESV_SW_SX_S14_S18_S1A_T6_T7_T9_mT8_S1C_bDpT10_ENKUlT_T0_E_clISt17integral_constantIbLb1EES1O_IbLb0EEEEDaS1K_S1L_EUlS1K_E_NS1_11comp_targetILNS1_3genE9ELNS1_11target_archE1100ELNS1_3gpuE3ELNS1_3repE0EEENS1_30default_config_static_selectorELNS0_4arch9wavefront6targetE0EEEvSY_.uses_flat_scratch, 0
	.set _ZN7rocprim17ROCPRIM_400000_NS6detail17trampoline_kernelINS0_13select_configILj256ELj13ELNS0_17block_load_methodE3ELS4_3ELS4_3ELNS0_20block_scan_algorithmE0ELj4294967295EEENS1_25partition_config_selectorILNS1_17partition_subalgoE3EjNS0_10empty_typeEbEEZZNS1_14partition_implILS8_3ELb0ES6_jNS0_17counting_iteratorIjlEEPS9_SE_NS0_5tupleIJPjSE_EEENSF_IJSE_SE_EEES9_SG_JZNS1_25segmented_radix_sort_implINS0_14default_configELb1EPKiPiPKlPlN2at6native12_GLOBAL__N_18offset_tEEE10hipError_tPvRmT1_PNSt15iterator_traitsISY_E10value_typeET2_T3_PNSZ_IS14_E10value_typeET4_jRbjT5_S1A_jjP12ihipStream_tbEUljE_EEESV_SW_SX_S14_S18_S1A_T6_T7_T9_mT8_S1C_bDpT10_ENKUlT_T0_E_clISt17integral_constantIbLb1EES1O_IbLb0EEEEDaS1K_S1L_EUlS1K_E_NS1_11comp_targetILNS1_3genE9ELNS1_11target_archE1100ELNS1_3gpuE3ELNS1_3repE0EEENS1_30default_config_static_selectorELNS0_4arch9wavefront6targetE0EEEvSY_.has_dyn_sized_stack, 0
	.set _ZN7rocprim17ROCPRIM_400000_NS6detail17trampoline_kernelINS0_13select_configILj256ELj13ELNS0_17block_load_methodE3ELS4_3ELS4_3ELNS0_20block_scan_algorithmE0ELj4294967295EEENS1_25partition_config_selectorILNS1_17partition_subalgoE3EjNS0_10empty_typeEbEEZZNS1_14partition_implILS8_3ELb0ES6_jNS0_17counting_iteratorIjlEEPS9_SE_NS0_5tupleIJPjSE_EEENSF_IJSE_SE_EEES9_SG_JZNS1_25segmented_radix_sort_implINS0_14default_configELb1EPKiPiPKlPlN2at6native12_GLOBAL__N_18offset_tEEE10hipError_tPvRmT1_PNSt15iterator_traitsISY_E10value_typeET2_T3_PNSZ_IS14_E10value_typeET4_jRbjT5_S1A_jjP12ihipStream_tbEUljE_EEESV_SW_SX_S14_S18_S1A_T6_T7_T9_mT8_S1C_bDpT10_ENKUlT_T0_E_clISt17integral_constantIbLb1EES1O_IbLb0EEEEDaS1K_S1L_EUlS1K_E_NS1_11comp_targetILNS1_3genE9ELNS1_11target_archE1100ELNS1_3gpuE3ELNS1_3repE0EEENS1_30default_config_static_selectorELNS0_4arch9wavefront6targetE0EEEvSY_.has_recursion, 0
	.set _ZN7rocprim17ROCPRIM_400000_NS6detail17trampoline_kernelINS0_13select_configILj256ELj13ELNS0_17block_load_methodE3ELS4_3ELS4_3ELNS0_20block_scan_algorithmE0ELj4294967295EEENS1_25partition_config_selectorILNS1_17partition_subalgoE3EjNS0_10empty_typeEbEEZZNS1_14partition_implILS8_3ELb0ES6_jNS0_17counting_iteratorIjlEEPS9_SE_NS0_5tupleIJPjSE_EEENSF_IJSE_SE_EEES9_SG_JZNS1_25segmented_radix_sort_implINS0_14default_configELb1EPKiPiPKlPlN2at6native12_GLOBAL__N_18offset_tEEE10hipError_tPvRmT1_PNSt15iterator_traitsISY_E10value_typeET2_T3_PNSZ_IS14_E10value_typeET4_jRbjT5_S1A_jjP12ihipStream_tbEUljE_EEESV_SW_SX_S14_S18_S1A_T6_T7_T9_mT8_S1C_bDpT10_ENKUlT_T0_E_clISt17integral_constantIbLb1EES1O_IbLb0EEEEDaS1K_S1L_EUlS1K_E_NS1_11comp_targetILNS1_3genE9ELNS1_11target_archE1100ELNS1_3gpuE3ELNS1_3repE0EEENS1_30default_config_static_selectorELNS0_4arch9wavefront6targetE0EEEvSY_.has_indirect_call, 0
	.section	.AMDGPU.csdata,"",@progbits
; Kernel info:
; codeLenInByte = 0
; TotalNumSgprs: 0
; NumVgprs: 0
; ScratchSize: 0
; MemoryBound: 0
; FloatMode: 240
; IeeeMode: 1
; LDSByteSize: 0 bytes/workgroup (compile time only)
; SGPRBlocks: 0
; VGPRBlocks: 0
; NumSGPRsForWavesPerEU: 1
; NumVGPRsForWavesPerEU: 1
; Occupancy: 16
; WaveLimiterHint : 0
; COMPUTE_PGM_RSRC2:SCRATCH_EN: 0
; COMPUTE_PGM_RSRC2:USER_SGPR: 2
; COMPUTE_PGM_RSRC2:TRAP_HANDLER: 0
; COMPUTE_PGM_RSRC2:TGID_X_EN: 1
; COMPUTE_PGM_RSRC2:TGID_Y_EN: 0
; COMPUTE_PGM_RSRC2:TGID_Z_EN: 0
; COMPUTE_PGM_RSRC2:TIDIG_COMP_CNT: 0
	.section	.text._ZN7rocprim17ROCPRIM_400000_NS6detail17trampoline_kernelINS0_13select_configILj256ELj13ELNS0_17block_load_methodE3ELS4_3ELS4_3ELNS0_20block_scan_algorithmE0ELj4294967295EEENS1_25partition_config_selectorILNS1_17partition_subalgoE3EjNS0_10empty_typeEbEEZZNS1_14partition_implILS8_3ELb0ES6_jNS0_17counting_iteratorIjlEEPS9_SE_NS0_5tupleIJPjSE_EEENSF_IJSE_SE_EEES9_SG_JZNS1_25segmented_radix_sort_implINS0_14default_configELb1EPKiPiPKlPlN2at6native12_GLOBAL__N_18offset_tEEE10hipError_tPvRmT1_PNSt15iterator_traitsISY_E10value_typeET2_T3_PNSZ_IS14_E10value_typeET4_jRbjT5_S1A_jjP12ihipStream_tbEUljE_EEESV_SW_SX_S14_S18_S1A_T6_T7_T9_mT8_S1C_bDpT10_ENKUlT_T0_E_clISt17integral_constantIbLb1EES1O_IbLb0EEEEDaS1K_S1L_EUlS1K_E_NS1_11comp_targetILNS1_3genE8ELNS1_11target_archE1030ELNS1_3gpuE2ELNS1_3repE0EEENS1_30default_config_static_selectorELNS0_4arch9wavefront6targetE0EEEvSY_,"axG",@progbits,_ZN7rocprim17ROCPRIM_400000_NS6detail17trampoline_kernelINS0_13select_configILj256ELj13ELNS0_17block_load_methodE3ELS4_3ELS4_3ELNS0_20block_scan_algorithmE0ELj4294967295EEENS1_25partition_config_selectorILNS1_17partition_subalgoE3EjNS0_10empty_typeEbEEZZNS1_14partition_implILS8_3ELb0ES6_jNS0_17counting_iteratorIjlEEPS9_SE_NS0_5tupleIJPjSE_EEENSF_IJSE_SE_EEES9_SG_JZNS1_25segmented_radix_sort_implINS0_14default_configELb1EPKiPiPKlPlN2at6native12_GLOBAL__N_18offset_tEEE10hipError_tPvRmT1_PNSt15iterator_traitsISY_E10value_typeET2_T3_PNSZ_IS14_E10value_typeET4_jRbjT5_S1A_jjP12ihipStream_tbEUljE_EEESV_SW_SX_S14_S18_S1A_T6_T7_T9_mT8_S1C_bDpT10_ENKUlT_T0_E_clISt17integral_constantIbLb1EES1O_IbLb0EEEEDaS1K_S1L_EUlS1K_E_NS1_11comp_targetILNS1_3genE8ELNS1_11target_archE1030ELNS1_3gpuE2ELNS1_3repE0EEENS1_30default_config_static_selectorELNS0_4arch9wavefront6targetE0EEEvSY_,comdat
	.globl	_ZN7rocprim17ROCPRIM_400000_NS6detail17trampoline_kernelINS0_13select_configILj256ELj13ELNS0_17block_load_methodE3ELS4_3ELS4_3ELNS0_20block_scan_algorithmE0ELj4294967295EEENS1_25partition_config_selectorILNS1_17partition_subalgoE3EjNS0_10empty_typeEbEEZZNS1_14partition_implILS8_3ELb0ES6_jNS0_17counting_iteratorIjlEEPS9_SE_NS0_5tupleIJPjSE_EEENSF_IJSE_SE_EEES9_SG_JZNS1_25segmented_radix_sort_implINS0_14default_configELb1EPKiPiPKlPlN2at6native12_GLOBAL__N_18offset_tEEE10hipError_tPvRmT1_PNSt15iterator_traitsISY_E10value_typeET2_T3_PNSZ_IS14_E10value_typeET4_jRbjT5_S1A_jjP12ihipStream_tbEUljE_EEESV_SW_SX_S14_S18_S1A_T6_T7_T9_mT8_S1C_bDpT10_ENKUlT_T0_E_clISt17integral_constantIbLb1EES1O_IbLb0EEEEDaS1K_S1L_EUlS1K_E_NS1_11comp_targetILNS1_3genE8ELNS1_11target_archE1030ELNS1_3gpuE2ELNS1_3repE0EEENS1_30default_config_static_selectorELNS0_4arch9wavefront6targetE0EEEvSY_ ; -- Begin function _ZN7rocprim17ROCPRIM_400000_NS6detail17trampoline_kernelINS0_13select_configILj256ELj13ELNS0_17block_load_methodE3ELS4_3ELS4_3ELNS0_20block_scan_algorithmE0ELj4294967295EEENS1_25partition_config_selectorILNS1_17partition_subalgoE3EjNS0_10empty_typeEbEEZZNS1_14partition_implILS8_3ELb0ES6_jNS0_17counting_iteratorIjlEEPS9_SE_NS0_5tupleIJPjSE_EEENSF_IJSE_SE_EEES9_SG_JZNS1_25segmented_radix_sort_implINS0_14default_configELb1EPKiPiPKlPlN2at6native12_GLOBAL__N_18offset_tEEE10hipError_tPvRmT1_PNSt15iterator_traitsISY_E10value_typeET2_T3_PNSZ_IS14_E10value_typeET4_jRbjT5_S1A_jjP12ihipStream_tbEUljE_EEESV_SW_SX_S14_S18_S1A_T6_T7_T9_mT8_S1C_bDpT10_ENKUlT_T0_E_clISt17integral_constantIbLb1EES1O_IbLb0EEEEDaS1K_S1L_EUlS1K_E_NS1_11comp_targetILNS1_3genE8ELNS1_11target_archE1030ELNS1_3gpuE2ELNS1_3repE0EEENS1_30default_config_static_selectorELNS0_4arch9wavefront6targetE0EEEvSY_
	.p2align	8
	.type	_ZN7rocprim17ROCPRIM_400000_NS6detail17trampoline_kernelINS0_13select_configILj256ELj13ELNS0_17block_load_methodE3ELS4_3ELS4_3ELNS0_20block_scan_algorithmE0ELj4294967295EEENS1_25partition_config_selectorILNS1_17partition_subalgoE3EjNS0_10empty_typeEbEEZZNS1_14partition_implILS8_3ELb0ES6_jNS0_17counting_iteratorIjlEEPS9_SE_NS0_5tupleIJPjSE_EEENSF_IJSE_SE_EEES9_SG_JZNS1_25segmented_radix_sort_implINS0_14default_configELb1EPKiPiPKlPlN2at6native12_GLOBAL__N_18offset_tEEE10hipError_tPvRmT1_PNSt15iterator_traitsISY_E10value_typeET2_T3_PNSZ_IS14_E10value_typeET4_jRbjT5_S1A_jjP12ihipStream_tbEUljE_EEESV_SW_SX_S14_S18_S1A_T6_T7_T9_mT8_S1C_bDpT10_ENKUlT_T0_E_clISt17integral_constantIbLb1EES1O_IbLb0EEEEDaS1K_S1L_EUlS1K_E_NS1_11comp_targetILNS1_3genE8ELNS1_11target_archE1030ELNS1_3gpuE2ELNS1_3repE0EEENS1_30default_config_static_selectorELNS0_4arch9wavefront6targetE0EEEvSY_,@function
_ZN7rocprim17ROCPRIM_400000_NS6detail17trampoline_kernelINS0_13select_configILj256ELj13ELNS0_17block_load_methodE3ELS4_3ELS4_3ELNS0_20block_scan_algorithmE0ELj4294967295EEENS1_25partition_config_selectorILNS1_17partition_subalgoE3EjNS0_10empty_typeEbEEZZNS1_14partition_implILS8_3ELb0ES6_jNS0_17counting_iteratorIjlEEPS9_SE_NS0_5tupleIJPjSE_EEENSF_IJSE_SE_EEES9_SG_JZNS1_25segmented_radix_sort_implINS0_14default_configELb1EPKiPiPKlPlN2at6native12_GLOBAL__N_18offset_tEEE10hipError_tPvRmT1_PNSt15iterator_traitsISY_E10value_typeET2_T3_PNSZ_IS14_E10value_typeET4_jRbjT5_S1A_jjP12ihipStream_tbEUljE_EEESV_SW_SX_S14_S18_S1A_T6_T7_T9_mT8_S1C_bDpT10_ENKUlT_T0_E_clISt17integral_constantIbLb1EES1O_IbLb0EEEEDaS1K_S1L_EUlS1K_E_NS1_11comp_targetILNS1_3genE8ELNS1_11target_archE1030ELNS1_3gpuE2ELNS1_3repE0EEENS1_30default_config_static_selectorELNS0_4arch9wavefront6targetE0EEEvSY_: ; @_ZN7rocprim17ROCPRIM_400000_NS6detail17trampoline_kernelINS0_13select_configILj256ELj13ELNS0_17block_load_methodE3ELS4_3ELS4_3ELNS0_20block_scan_algorithmE0ELj4294967295EEENS1_25partition_config_selectorILNS1_17partition_subalgoE3EjNS0_10empty_typeEbEEZZNS1_14partition_implILS8_3ELb0ES6_jNS0_17counting_iteratorIjlEEPS9_SE_NS0_5tupleIJPjSE_EEENSF_IJSE_SE_EEES9_SG_JZNS1_25segmented_radix_sort_implINS0_14default_configELb1EPKiPiPKlPlN2at6native12_GLOBAL__N_18offset_tEEE10hipError_tPvRmT1_PNSt15iterator_traitsISY_E10value_typeET2_T3_PNSZ_IS14_E10value_typeET4_jRbjT5_S1A_jjP12ihipStream_tbEUljE_EEESV_SW_SX_S14_S18_S1A_T6_T7_T9_mT8_S1C_bDpT10_ENKUlT_T0_E_clISt17integral_constantIbLb1EES1O_IbLb0EEEEDaS1K_S1L_EUlS1K_E_NS1_11comp_targetILNS1_3genE8ELNS1_11target_archE1030ELNS1_3gpuE2ELNS1_3repE0EEENS1_30default_config_static_selectorELNS0_4arch9wavefront6targetE0EEEvSY_
; %bb.0:
	.section	.rodata,"a",@progbits
	.p2align	6, 0x0
	.amdhsa_kernel _ZN7rocprim17ROCPRIM_400000_NS6detail17trampoline_kernelINS0_13select_configILj256ELj13ELNS0_17block_load_methodE3ELS4_3ELS4_3ELNS0_20block_scan_algorithmE0ELj4294967295EEENS1_25partition_config_selectorILNS1_17partition_subalgoE3EjNS0_10empty_typeEbEEZZNS1_14partition_implILS8_3ELb0ES6_jNS0_17counting_iteratorIjlEEPS9_SE_NS0_5tupleIJPjSE_EEENSF_IJSE_SE_EEES9_SG_JZNS1_25segmented_radix_sort_implINS0_14default_configELb1EPKiPiPKlPlN2at6native12_GLOBAL__N_18offset_tEEE10hipError_tPvRmT1_PNSt15iterator_traitsISY_E10value_typeET2_T3_PNSZ_IS14_E10value_typeET4_jRbjT5_S1A_jjP12ihipStream_tbEUljE_EEESV_SW_SX_S14_S18_S1A_T6_T7_T9_mT8_S1C_bDpT10_ENKUlT_T0_E_clISt17integral_constantIbLb1EES1O_IbLb0EEEEDaS1K_S1L_EUlS1K_E_NS1_11comp_targetILNS1_3genE8ELNS1_11target_archE1030ELNS1_3gpuE2ELNS1_3repE0EEENS1_30default_config_static_selectorELNS0_4arch9wavefront6targetE0EEEvSY_
		.amdhsa_group_segment_fixed_size 0
		.amdhsa_private_segment_fixed_size 0
		.amdhsa_kernarg_size 144
		.amdhsa_user_sgpr_count 2
		.amdhsa_user_sgpr_dispatch_ptr 0
		.amdhsa_user_sgpr_queue_ptr 0
		.amdhsa_user_sgpr_kernarg_segment_ptr 1
		.amdhsa_user_sgpr_dispatch_id 0
		.amdhsa_user_sgpr_private_segment_size 0
		.amdhsa_wavefront_size32 1
		.amdhsa_uses_dynamic_stack 0
		.amdhsa_enable_private_segment 0
		.amdhsa_system_sgpr_workgroup_id_x 1
		.amdhsa_system_sgpr_workgroup_id_y 0
		.amdhsa_system_sgpr_workgroup_id_z 0
		.amdhsa_system_sgpr_workgroup_info 0
		.amdhsa_system_vgpr_workitem_id 0
		.amdhsa_next_free_vgpr 1
		.amdhsa_next_free_sgpr 1
		.amdhsa_reserve_vcc 0
		.amdhsa_float_round_mode_32 0
		.amdhsa_float_round_mode_16_64 0
		.amdhsa_float_denorm_mode_32 3
		.amdhsa_float_denorm_mode_16_64 3
		.amdhsa_fp16_overflow 0
		.amdhsa_workgroup_processor_mode 1
		.amdhsa_memory_ordered 1
		.amdhsa_forward_progress 1
		.amdhsa_inst_pref_size 0
		.amdhsa_round_robin_scheduling 0
		.amdhsa_exception_fp_ieee_invalid_op 0
		.amdhsa_exception_fp_denorm_src 0
		.amdhsa_exception_fp_ieee_div_zero 0
		.amdhsa_exception_fp_ieee_overflow 0
		.amdhsa_exception_fp_ieee_underflow 0
		.amdhsa_exception_fp_ieee_inexact 0
		.amdhsa_exception_int_div_zero 0
	.end_amdhsa_kernel
	.section	.text._ZN7rocprim17ROCPRIM_400000_NS6detail17trampoline_kernelINS0_13select_configILj256ELj13ELNS0_17block_load_methodE3ELS4_3ELS4_3ELNS0_20block_scan_algorithmE0ELj4294967295EEENS1_25partition_config_selectorILNS1_17partition_subalgoE3EjNS0_10empty_typeEbEEZZNS1_14partition_implILS8_3ELb0ES6_jNS0_17counting_iteratorIjlEEPS9_SE_NS0_5tupleIJPjSE_EEENSF_IJSE_SE_EEES9_SG_JZNS1_25segmented_radix_sort_implINS0_14default_configELb1EPKiPiPKlPlN2at6native12_GLOBAL__N_18offset_tEEE10hipError_tPvRmT1_PNSt15iterator_traitsISY_E10value_typeET2_T3_PNSZ_IS14_E10value_typeET4_jRbjT5_S1A_jjP12ihipStream_tbEUljE_EEESV_SW_SX_S14_S18_S1A_T6_T7_T9_mT8_S1C_bDpT10_ENKUlT_T0_E_clISt17integral_constantIbLb1EES1O_IbLb0EEEEDaS1K_S1L_EUlS1K_E_NS1_11comp_targetILNS1_3genE8ELNS1_11target_archE1030ELNS1_3gpuE2ELNS1_3repE0EEENS1_30default_config_static_selectorELNS0_4arch9wavefront6targetE0EEEvSY_,"axG",@progbits,_ZN7rocprim17ROCPRIM_400000_NS6detail17trampoline_kernelINS0_13select_configILj256ELj13ELNS0_17block_load_methodE3ELS4_3ELS4_3ELNS0_20block_scan_algorithmE0ELj4294967295EEENS1_25partition_config_selectorILNS1_17partition_subalgoE3EjNS0_10empty_typeEbEEZZNS1_14partition_implILS8_3ELb0ES6_jNS0_17counting_iteratorIjlEEPS9_SE_NS0_5tupleIJPjSE_EEENSF_IJSE_SE_EEES9_SG_JZNS1_25segmented_radix_sort_implINS0_14default_configELb1EPKiPiPKlPlN2at6native12_GLOBAL__N_18offset_tEEE10hipError_tPvRmT1_PNSt15iterator_traitsISY_E10value_typeET2_T3_PNSZ_IS14_E10value_typeET4_jRbjT5_S1A_jjP12ihipStream_tbEUljE_EEESV_SW_SX_S14_S18_S1A_T6_T7_T9_mT8_S1C_bDpT10_ENKUlT_T0_E_clISt17integral_constantIbLb1EES1O_IbLb0EEEEDaS1K_S1L_EUlS1K_E_NS1_11comp_targetILNS1_3genE8ELNS1_11target_archE1030ELNS1_3gpuE2ELNS1_3repE0EEENS1_30default_config_static_selectorELNS0_4arch9wavefront6targetE0EEEvSY_,comdat
.Lfunc_end488:
	.size	_ZN7rocprim17ROCPRIM_400000_NS6detail17trampoline_kernelINS0_13select_configILj256ELj13ELNS0_17block_load_methodE3ELS4_3ELS4_3ELNS0_20block_scan_algorithmE0ELj4294967295EEENS1_25partition_config_selectorILNS1_17partition_subalgoE3EjNS0_10empty_typeEbEEZZNS1_14partition_implILS8_3ELb0ES6_jNS0_17counting_iteratorIjlEEPS9_SE_NS0_5tupleIJPjSE_EEENSF_IJSE_SE_EEES9_SG_JZNS1_25segmented_radix_sort_implINS0_14default_configELb1EPKiPiPKlPlN2at6native12_GLOBAL__N_18offset_tEEE10hipError_tPvRmT1_PNSt15iterator_traitsISY_E10value_typeET2_T3_PNSZ_IS14_E10value_typeET4_jRbjT5_S1A_jjP12ihipStream_tbEUljE_EEESV_SW_SX_S14_S18_S1A_T6_T7_T9_mT8_S1C_bDpT10_ENKUlT_T0_E_clISt17integral_constantIbLb1EES1O_IbLb0EEEEDaS1K_S1L_EUlS1K_E_NS1_11comp_targetILNS1_3genE8ELNS1_11target_archE1030ELNS1_3gpuE2ELNS1_3repE0EEENS1_30default_config_static_selectorELNS0_4arch9wavefront6targetE0EEEvSY_, .Lfunc_end488-_ZN7rocprim17ROCPRIM_400000_NS6detail17trampoline_kernelINS0_13select_configILj256ELj13ELNS0_17block_load_methodE3ELS4_3ELS4_3ELNS0_20block_scan_algorithmE0ELj4294967295EEENS1_25partition_config_selectorILNS1_17partition_subalgoE3EjNS0_10empty_typeEbEEZZNS1_14partition_implILS8_3ELb0ES6_jNS0_17counting_iteratorIjlEEPS9_SE_NS0_5tupleIJPjSE_EEENSF_IJSE_SE_EEES9_SG_JZNS1_25segmented_radix_sort_implINS0_14default_configELb1EPKiPiPKlPlN2at6native12_GLOBAL__N_18offset_tEEE10hipError_tPvRmT1_PNSt15iterator_traitsISY_E10value_typeET2_T3_PNSZ_IS14_E10value_typeET4_jRbjT5_S1A_jjP12ihipStream_tbEUljE_EEESV_SW_SX_S14_S18_S1A_T6_T7_T9_mT8_S1C_bDpT10_ENKUlT_T0_E_clISt17integral_constantIbLb1EES1O_IbLb0EEEEDaS1K_S1L_EUlS1K_E_NS1_11comp_targetILNS1_3genE8ELNS1_11target_archE1030ELNS1_3gpuE2ELNS1_3repE0EEENS1_30default_config_static_selectorELNS0_4arch9wavefront6targetE0EEEvSY_
                                        ; -- End function
	.set _ZN7rocprim17ROCPRIM_400000_NS6detail17trampoline_kernelINS0_13select_configILj256ELj13ELNS0_17block_load_methodE3ELS4_3ELS4_3ELNS0_20block_scan_algorithmE0ELj4294967295EEENS1_25partition_config_selectorILNS1_17partition_subalgoE3EjNS0_10empty_typeEbEEZZNS1_14partition_implILS8_3ELb0ES6_jNS0_17counting_iteratorIjlEEPS9_SE_NS0_5tupleIJPjSE_EEENSF_IJSE_SE_EEES9_SG_JZNS1_25segmented_radix_sort_implINS0_14default_configELb1EPKiPiPKlPlN2at6native12_GLOBAL__N_18offset_tEEE10hipError_tPvRmT1_PNSt15iterator_traitsISY_E10value_typeET2_T3_PNSZ_IS14_E10value_typeET4_jRbjT5_S1A_jjP12ihipStream_tbEUljE_EEESV_SW_SX_S14_S18_S1A_T6_T7_T9_mT8_S1C_bDpT10_ENKUlT_T0_E_clISt17integral_constantIbLb1EES1O_IbLb0EEEEDaS1K_S1L_EUlS1K_E_NS1_11comp_targetILNS1_3genE8ELNS1_11target_archE1030ELNS1_3gpuE2ELNS1_3repE0EEENS1_30default_config_static_selectorELNS0_4arch9wavefront6targetE0EEEvSY_.num_vgpr, 0
	.set _ZN7rocprim17ROCPRIM_400000_NS6detail17trampoline_kernelINS0_13select_configILj256ELj13ELNS0_17block_load_methodE3ELS4_3ELS4_3ELNS0_20block_scan_algorithmE0ELj4294967295EEENS1_25partition_config_selectorILNS1_17partition_subalgoE3EjNS0_10empty_typeEbEEZZNS1_14partition_implILS8_3ELb0ES6_jNS0_17counting_iteratorIjlEEPS9_SE_NS0_5tupleIJPjSE_EEENSF_IJSE_SE_EEES9_SG_JZNS1_25segmented_radix_sort_implINS0_14default_configELb1EPKiPiPKlPlN2at6native12_GLOBAL__N_18offset_tEEE10hipError_tPvRmT1_PNSt15iterator_traitsISY_E10value_typeET2_T3_PNSZ_IS14_E10value_typeET4_jRbjT5_S1A_jjP12ihipStream_tbEUljE_EEESV_SW_SX_S14_S18_S1A_T6_T7_T9_mT8_S1C_bDpT10_ENKUlT_T0_E_clISt17integral_constantIbLb1EES1O_IbLb0EEEEDaS1K_S1L_EUlS1K_E_NS1_11comp_targetILNS1_3genE8ELNS1_11target_archE1030ELNS1_3gpuE2ELNS1_3repE0EEENS1_30default_config_static_selectorELNS0_4arch9wavefront6targetE0EEEvSY_.num_agpr, 0
	.set _ZN7rocprim17ROCPRIM_400000_NS6detail17trampoline_kernelINS0_13select_configILj256ELj13ELNS0_17block_load_methodE3ELS4_3ELS4_3ELNS0_20block_scan_algorithmE0ELj4294967295EEENS1_25partition_config_selectorILNS1_17partition_subalgoE3EjNS0_10empty_typeEbEEZZNS1_14partition_implILS8_3ELb0ES6_jNS0_17counting_iteratorIjlEEPS9_SE_NS0_5tupleIJPjSE_EEENSF_IJSE_SE_EEES9_SG_JZNS1_25segmented_radix_sort_implINS0_14default_configELb1EPKiPiPKlPlN2at6native12_GLOBAL__N_18offset_tEEE10hipError_tPvRmT1_PNSt15iterator_traitsISY_E10value_typeET2_T3_PNSZ_IS14_E10value_typeET4_jRbjT5_S1A_jjP12ihipStream_tbEUljE_EEESV_SW_SX_S14_S18_S1A_T6_T7_T9_mT8_S1C_bDpT10_ENKUlT_T0_E_clISt17integral_constantIbLb1EES1O_IbLb0EEEEDaS1K_S1L_EUlS1K_E_NS1_11comp_targetILNS1_3genE8ELNS1_11target_archE1030ELNS1_3gpuE2ELNS1_3repE0EEENS1_30default_config_static_selectorELNS0_4arch9wavefront6targetE0EEEvSY_.numbered_sgpr, 0
	.set _ZN7rocprim17ROCPRIM_400000_NS6detail17trampoline_kernelINS0_13select_configILj256ELj13ELNS0_17block_load_methodE3ELS4_3ELS4_3ELNS0_20block_scan_algorithmE0ELj4294967295EEENS1_25partition_config_selectorILNS1_17partition_subalgoE3EjNS0_10empty_typeEbEEZZNS1_14partition_implILS8_3ELb0ES6_jNS0_17counting_iteratorIjlEEPS9_SE_NS0_5tupleIJPjSE_EEENSF_IJSE_SE_EEES9_SG_JZNS1_25segmented_radix_sort_implINS0_14default_configELb1EPKiPiPKlPlN2at6native12_GLOBAL__N_18offset_tEEE10hipError_tPvRmT1_PNSt15iterator_traitsISY_E10value_typeET2_T3_PNSZ_IS14_E10value_typeET4_jRbjT5_S1A_jjP12ihipStream_tbEUljE_EEESV_SW_SX_S14_S18_S1A_T6_T7_T9_mT8_S1C_bDpT10_ENKUlT_T0_E_clISt17integral_constantIbLb1EES1O_IbLb0EEEEDaS1K_S1L_EUlS1K_E_NS1_11comp_targetILNS1_3genE8ELNS1_11target_archE1030ELNS1_3gpuE2ELNS1_3repE0EEENS1_30default_config_static_selectorELNS0_4arch9wavefront6targetE0EEEvSY_.num_named_barrier, 0
	.set _ZN7rocprim17ROCPRIM_400000_NS6detail17trampoline_kernelINS0_13select_configILj256ELj13ELNS0_17block_load_methodE3ELS4_3ELS4_3ELNS0_20block_scan_algorithmE0ELj4294967295EEENS1_25partition_config_selectorILNS1_17partition_subalgoE3EjNS0_10empty_typeEbEEZZNS1_14partition_implILS8_3ELb0ES6_jNS0_17counting_iteratorIjlEEPS9_SE_NS0_5tupleIJPjSE_EEENSF_IJSE_SE_EEES9_SG_JZNS1_25segmented_radix_sort_implINS0_14default_configELb1EPKiPiPKlPlN2at6native12_GLOBAL__N_18offset_tEEE10hipError_tPvRmT1_PNSt15iterator_traitsISY_E10value_typeET2_T3_PNSZ_IS14_E10value_typeET4_jRbjT5_S1A_jjP12ihipStream_tbEUljE_EEESV_SW_SX_S14_S18_S1A_T6_T7_T9_mT8_S1C_bDpT10_ENKUlT_T0_E_clISt17integral_constantIbLb1EES1O_IbLb0EEEEDaS1K_S1L_EUlS1K_E_NS1_11comp_targetILNS1_3genE8ELNS1_11target_archE1030ELNS1_3gpuE2ELNS1_3repE0EEENS1_30default_config_static_selectorELNS0_4arch9wavefront6targetE0EEEvSY_.private_seg_size, 0
	.set _ZN7rocprim17ROCPRIM_400000_NS6detail17trampoline_kernelINS0_13select_configILj256ELj13ELNS0_17block_load_methodE3ELS4_3ELS4_3ELNS0_20block_scan_algorithmE0ELj4294967295EEENS1_25partition_config_selectorILNS1_17partition_subalgoE3EjNS0_10empty_typeEbEEZZNS1_14partition_implILS8_3ELb0ES6_jNS0_17counting_iteratorIjlEEPS9_SE_NS0_5tupleIJPjSE_EEENSF_IJSE_SE_EEES9_SG_JZNS1_25segmented_radix_sort_implINS0_14default_configELb1EPKiPiPKlPlN2at6native12_GLOBAL__N_18offset_tEEE10hipError_tPvRmT1_PNSt15iterator_traitsISY_E10value_typeET2_T3_PNSZ_IS14_E10value_typeET4_jRbjT5_S1A_jjP12ihipStream_tbEUljE_EEESV_SW_SX_S14_S18_S1A_T6_T7_T9_mT8_S1C_bDpT10_ENKUlT_T0_E_clISt17integral_constantIbLb1EES1O_IbLb0EEEEDaS1K_S1L_EUlS1K_E_NS1_11comp_targetILNS1_3genE8ELNS1_11target_archE1030ELNS1_3gpuE2ELNS1_3repE0EEENS1_30default_config_static_selectorELNS0_4arch9wavefront6targetE0EEEvSY_.uses_vcc, 0
	.set _ZN7rocprim17ROCPRIM_400000_NS6detail17trampoline_kernelINS0_13select_configILj256ELj13ELNS0_17block_load_methodE3ELS4_3ELS4_3ELNS0_20block_scan_algorithmE0ELj4294967295EEENS1_25partition_config_selectorILNS1_17partition_subalgoE3EjNS0_10empty_typeEbEEZZNS1_14partition_implILS8_3ELb0ES6_jNS0_17counting_iteratorIjlEEPS9_SE_NS0_5tupleIJPjSE_EEENSF_IJSE_SE_EEES9_SG_JZNS1_25segmented_radix_sort_implINS0_14default_configELb1EPKiPiPKlPlN2at6native12_GLOBAL__N_18offset_tEEE10hipError_tPvRmT1_PNSt15iterator_traitsISY_E10value_typeET2_T3_PNSZ_IS14_E10value_typeET4_jRbjT5_S1A_jjP12ihipStream_tbEUljE_EEESV_SW_SX_S14_S18_S1A_T6_T7_T9_mT8_S1C_bDpT10_ENKUlT_T0_E_clISt17integral_constantIbLb1EES1O_IbLb0EEEEDaS1K_S1L_EUlS1K_E_NS1_11comp_targetILNS1_3genE8ELNS1_11target_archE1030ELNS1_3gpuE2ELNS1_3repE0EEENS1_30default_config_static_selectorELNS0_4arch9wavefront6targetE0EEEvSY_.uses_flat_scratch, 0
	.set _ZN7rocprim17ROCPRIM_400000_NS6detail17trampoline_kernelINS0_13select_configILj256ELj13ELNS0_17block_load_methodE3ELS4_3ELS4_3ELNS0_20block_scan_algorithmE0ELj4294967295EEENS1_25partition_config_selectorILNS1_17partition_subalgoE3EjNS0_10empty_typeEbEEZZNS1_14partition_implILS8_3ELb0ES6_jNS0_17counting_iteratorIjlEEPS9_SE_NS0_5tupleIJPjSE_EEENSF_IJSE_SE_EEES9_SG_JZNS1_25segmented_radix_sort_implINS0_14default_configELb1EPKiPiPKlPlN2at6native12_GLOBAL__N_18offset_tEEE10hipError_tPvRmT1_PNSt15iterator_traitsISY_E10value_typeET2_T3_PNSZ_IS14_E10value_typeET4_jRbjT5_S1A_jjP12ihipStream_tbEUljE_EEESV_SW_SX_S14_S18_S1A_T6_T7_T9_mT8_S1C_bDpT10_ENKUlT_T0_E_clISt17integral_constantIbLb1EES1O_IbLb0EEEEDaS1K_S1L_EUlS1K_E_NS1_11comp_targetILNS1_3genE8ELNS1_11target_archE1030ELNS1_3gpuE2ELNS1_3repE0EEENS1_30default_config_static_selectorELNS0_4arch9wavefront6targetE0EEEvSY_.has_dyn_sized_stack, 0
	.set _ZN7rocprim17ROCPRIM_400000_NS6detail17trampoline_kernelINS0_13select_configILj256ELj13ELNS0_17block_load_methodE3ELS4_3ELS4_3ELNS0_20block_scan_algorithmE0ELj4294967295EEENS1_25partition_config_selectorILNS1_17partition_subalgoE3EjNS0_10empty_typeEbEEZZNS1_14partition_implILS8_3ELb0ES6_jNS0_17counting_iteratorIjlEEPS9_SE_NS0_5tupleIJPjSE_EEENSF_IJSE_SE_EEES9_SG_JZNS1_25segmented_radix_sort_implINS0_14default_configELb1EPKiPiPKlPlN2at6native12_GLOBAL__N_18offset_tEEE10hipError_tPvRmT1_PNSt15iterator_traitsISY_E10value_typeET2_T3_PNSZ_IS14_E10value_typeET4_jRbjT5_S1A_jjP12ihipStream_tbEUljE_EEESV_SW_SX_S14_S18_S1A_T6_T7_T9_mT8_S1C_bDpT10_ENKUlT_T0_E_clISt17integral_constantIbLb1EES1O_IbLb0EEEEDaS1K_S1L_EUlS1K_E_NS1_11comp_targetILNS1_3genE8ELNS1_11target_archE1030ELNS1_3gpuE2ELNS1_3repE0EEENS1_30default_config_static_selectorELNS0_4arch9wavefront6targetE0EEEvSY_.has_recursion, 0
	.set _ZN7rocprim17ROCPRIM_400000_NS6detail17trampoline_kernelINS0_13select_configILj256ELj13ELNS0_17block_load_methodE3ELS4_3ELS4_3ELNS0_20block_scan_algorithmE0ELj4294967295EEENS1_25partition_config_selectorILNS1_17partition_subalgoE3EjNS0_10empty_typeEbEEZZNS1_14partition_implILS8_3ELb0ES6_jNS0_17counting_iteratorIjlEEPS9_SE_NS0_5tupleIJPjSE_EEENSF_IJSE_SE_EEES9_SG_JZNS1_25segmented_radix_sort_implINS0_14default_configELb1EPKiPiPKlPlN2at6native12_GLOBAL__N_18offset_tEEE10hipError_tPvRmT1_PNSt15iterator_traitsISY_E10value_typeET2_T3_PNSZ_IS14_E10value_typeET4_jRbjT5_S1A_jjP12ihipStream_tbEUljE_EEESV_SW_SX_S14_S18_S1A_T6_T7_T9_mT8_S1C_bDpT10_ENKUlT_T0_E_clISt17integral_constantIbLb1EES1O_IbLb0EEEEDaS1K_S1L_EUlS1K_E_NS1_11comp_targetILNS1_3genE8ELNS1_11target_archE1030ELNS1_3gpuE2ELNS1_3repE0EEENS1_30default_config_static_selectorELNS0_4arch9wavefront6targetE0EEEvSY_.has_indirect_call, 0
	.section	.AMDGPU.csdata,"",@progbits
; Kernel info:
; codeLenInByte = 0
; TotalNumSgprs: 0
; NumVgprs: 0
; ScratchSize: 0
; MemoryBound: 0
; FloatMode: 240
; IeeeMode: 1
; LDSByteSize: 0 bytes/workgroup (compile time only)
; SGPRBlocks: 0
; VGPRBlocks: 0
; NumSGPRsForWavesPerEU: 1
; NumVGPRsForWavesPerEU: 1
; Occupancy: 16
; WaveLimiterHint : 0
; COMPUTE_PGM_RSRC2:SCRATCH_EN: 0
; COMPUTE_PGM_RSRC2:USER_SGPR: 2
; COMPUTE_PGM_RSRC2:TRAP_HANDLER: 0
; COMPUTE_PGM_RSRC2:TGID_X_EN: 1
; COMPUTE_PGM_RSRC2:TGID_Y_EN: 0
; COMPUTE_PGM_RSRC2:TGID_Z_EN: 0
; COMPUTE_PGM_RSRC2:TIDIG_COMP_CNT: 0
	.section	.text._ZN7rocprim17ROCPRIM_400000_NS6detail17trampoline_kernelINS0_13select_configILj256ELj13ELNS0_17block_load_methodE3ELS4_3ELS4_3ELNS0_20block_scan_algorithmE0ELj4294967295EEENS1_25partition_config_selectorILNS1_17partition_subalgoE3EjNS0_10empty_typeEbEEZZNS1_14partition_implILS8_3ELb0ES6_jNS0_17counting_iteratorIjlEEPS9_SE_NS0_5tupleIJPjSE_EEENSF_IJSE_SE_EEES9_SG_JZNS1_25segmented_radix_sort_implINS0_14default_configELb1EPKiPiPKlPlN2at6native12_GLOBAL__N_18offset_tEEE10hipError_tPvRmT1_PNSt15iterator_traitsISY_E10value_typeET2_T3_PNSZ_IS14_E10value_typeET4_jRbjT5_S1A_jjP12ihipStream_tbEUljE_EEESV_SW_SX_S14_S18_S1A_T6_T7_T9_mT8_S1C_bDpT10_ENKUlT_T0_E_clISt17integral_constantIbLb0EES1O_IbLb1EEEEDaS1K_S1L_EUlS1K_E_NS1_11comp_targetILNS1_3genE0ELNS1_11target_archE4294967295ELNS1_3gpuE0ELNS1_3repE0EEENS1_30default_config_static_selectorELNS0_4arch9wavefront6targetE0EEEvSY_,"axG",@progbits,_ZN7rocprim17ROCPRIM_400000_NS6detail17trampoline_kernelINS0_13select_configILj256ELj13ELNS0_17block_load_methodE3ELS4_3ELS4_3ELNS0_20block_scan_algorithmE0ELj4294967295EEENS1_25partition_config_selectorILNS1_17partition_subalgoE3EjNS0_10empty_typeEbEEZZNS1_14partition_implILS8_3ELb0ES6_jNS0_17counting_iteratorIjlEEPS9_SE_NS0_5tupleIJPjSE_EEENSF_IJSE_SE_EEES9_SG_JZNS1_25segmented_radix_sort_implINS0_14default_configELb1EPKiPiPKlPlN2at6native12_GLOBAL__N_18offset_tEEE10hipError_tPvRmT1_PNSt15iterator_traitsISY_E10value_typeET2_T3_PNSZ_IS14_E10value_typeET4_jRbjT5_S1A_jjP12ihipStream_tbEUljE_EEESV_SW_SX_S14_S18_S1A_T6_T7_T9_mT8_S1C_bDpT10_ENKUlT_T0_E_clISt17integral_constantIbLb0EES1O_IbLb1EEEEDaS1K_S1L_EUlS1K_E_NS1_11comp_targetILNS1_3genE0ELNS1_11target_archE4294967295ELNS1_3gpuE0ELNS1_3repE0EEENS1_30default_config_static_selectorELNS0_4arch9wavefront6targetE0EEEvSY_,comdat
	.globl	_ZN7rocprim17ROCPRIM_400000_NS6detail17trampoline_kernelINS0_13select_configILj256ELj13ELNS0_17block_load_methodE3ELS4_3ELS4_3ELNS0_20block_scan_algorithmE0ELj4294967295EEENS1_25partition_config_selectorILNS1_17partition_subalgoE3EjNS0_10empty_typeEbEEZZNS1_14partition_implILS8_3ELb0ES6_jNS0_17counting_iteratorIjlEEPS9_SE_NS0_5tupleIJPjSE_EEENSF_IJSE_SE_EEES9_SG_JZNS1_25segmented_radix_sort_implINS0_14default_configELb1EPKiPiPKlPlN2at6native12_GLOBAL__N_18offset_tEEE10hipError_tPvRmT1_PNSt15iterator_traitsISY_E10value_typeET2_T3_PNSZ_IS14_E10value_typeET4_jRbjT5_S1A_jjP12ihipStream_tbEUljE_EEESV_SW_SX_S14_S18_S1A_T6_T7_T9_mT8_S1C_bDpT10_ENKUlT_T0_E_clISt17integral_constantIbLb0EES1O_IbLb1EEEEDaS1K_S1L_EUlS1K_E_NS1_11comp_targetILNS1_3genE0ELNS1_11target_archE4294967295ELNS1_3gpuE0ELNS1_3repE0EEENS1_30default_config_static_selectorELNS0_4arch9wavefront6targetE0EEEvSY_ ; -- Begin function _ZN7rocprim17ROCPRIM_400000_NS6detail17trampoline_kernelINS0_13select_configILj256ELj13ELNS0_17block_load_methodE3ELS4_3ELS4_3ELNS0_20block_scan_algorithmE0ELj4294967295EEENS1_25partition_config_selectorILNS1_17partition_subalgoE3EjNS0_10empty_typeEbEEZZNS1_14partition_implILS8_3ELb0ES6_jNS0_17counting_iteratorIjlEEPS9_SE_NS0_5tupleIJPjSE_EEENSF_IJSE_SE_EEES9_SG_JZNS1_25segmented_radix_sort_implINS0_14default_configELb1EPKiPiPKlPlN2at6native12_GLOBAL__N_18offset_tEEE10hipError_tPvRmT1_PNSt15iterator_traitsISY_E10value_typeET2_T3_PNSZ_IS14_E10value_typeET4_jRbjT5_S1A_jjP12ihipStream_tbEUljE_EEESV_SW_SX_S14_S18_S1A_T6_T7_T9_mT8_S1C_bDpT10_ENKUlT_T0_E_clISt17integral_constantIbLb0EES1O_IbLb1EEEEDaS1K_S1L_EUlS1K_E_NS1_11comp_targetILNS1_3genE0ELNS1_11target_archE4294967295ELNS1_3gpuE0ELNS1_3repE0EEENS1_30default_config_static_selectorELNS0_4arch9wavefront6targetE0EEEvSY_
	.p2align	8
	.type	_ZN7rocprim17ROCPRIM_400000_NS6detail17trampoline_kernelINS0_13select_configILj256ELj13ELNS0_17block_load_methodE3ELS4_3ELS4_3ELNS0_20block_scan_algorithmE0ELj4294967295EEENS1_25partition_config_selectorILNS1_17partition_subalgoE3EjNS0_10empty_typeEbEEZZNS1_14partition_implILS8_3ELb0ES6_jNS0_17counting_iteratorIjlEEPS9_SE_NS0_5tupleIJPjSE_EEENSF_IJSE_SE_EEES9_SG_JZNS1_25segmented_radix_sort_implINS0_14default_configELb1EPKiPiPKlPlN2at6native12_GLOBAL__N_18offset_tEEE10hipError_tPvRmT1_PNSt15iterator_traitsISY_E10value_typeET2_T3_PNSZ_IS14_E10value_typeET4_jRbjT5_S1A_jjP12ihipStream_tbEUljE_EEESV_SW_SX_S14_S18_S1A_T6_T7_T9_mT8_S1C_bDpT10_ENKUlT_T0_E_clISt17integral_constantIbLb0EES1O_IbLb1EEEEDaS1K_S1L_EUlS1K_E_NS1_11comp_targetILNS1_3genE0ELNS1_11target_archE4294967295ELNS1_3gpuE0ELNS1_3repE0EEENS1_30default_config_static_selectorELNS0_4arch9wavefront6targetE0EEEvSY_,@function
_ZN7rocprim17ROCPRIM_400000_NS6detail17trampoline_kernelINS0_13select_configILj256ELj13ELNS0_17block_load_methodE3ELS4_3ELS4_3ELNS0_20block_scan_algorithmE0ELj4294967295EEENS1_25partition_config_selectorILNS1_17partition_subalgoE3EjNS0_10empty_typeEbEEZZNS1_14partition_implILS8_3ELb0ES6_jNS0_17counting_iteratorIjlEEPS9_SE_NS0_5tupleIJPjSE_EEENSF_IJSE_SE_EEES9_SG_JZNS1_25segmented_radix_sort_implINS0_14default_configELb1EPKiPiPKlPlN2at6native12_GLOBAL__N_18offset_tEEE10hipError_tPvRmT1_PNSt15iterator_traitsISY_E10value_typeET2_T3_PNSZ_IS14_E10value_typeET4_jRbjT5_S1A_jjP12ihipStream_tbEUljE_EEESV_SW_SX_S14_S18_S1A_T6_T7_T9_mT8_S1C_bDpT10_ENKUlT_T0_E_clISt17integral_constantIbLb0EES1O_IbLb1EEEEDaS1K_S1L_EUlS1K_E_NS1_11comp_targetILNS1_3genE0ELNS1_11target_archE4294967295ELNS1_3gpuE0ELNS1_3repE0EEENS1_30default_config_static_selectorELNS0_4arch9wavefront6targetE0EEEvSY_: ; @_ZN7rocprim17ROCPRIM_400000_NS6detail17trampoline_kernelINS0_13select_configILj256ELj13ELNS0_17block_load_methodE3ELS4_3ELS4_3ELNS0_20block_scan_algorithmE0ELj4294967295EEENS1_25partition_config_selectorILNS1_17partition_subalgoE3EjNS0_10empty_typeEbEEZZNS1_14partition_implILS8_3ELb0ES6_jNS0_17counting_iteratorIjlEEPS9_SE_NS0_5tupleIJPjSE_EEENSF_IJSE_SE_EEES9_SG_JZNS1_25segmented_radix_sort_implINS0_14default_configELb1EPKiPiPKlPlN2at6native12_GLOBAL__N_18offset_tEEE10hipError_tPvRmT1_PNSt15iterator_traitsISY_E10value_typeET2_T3_PNSZ_IS14_E10value_typeET4_jRbjT5_S1A_jjP12ihipStream_tbEUljE_EEESV_SW_SX_S14_S18_S1A_T6_T7_T9_mT8_S1C_bDpT10_ENKUlT_T0_E_clISt17integral_constantIbLb0EES1O_IbLb1EEEEDaS1K_S1L_EUlS1K_E_NS1_11comp_targetILNS1_3genE0ELNS1_11target_archE4294967295ELNS1_3gpuE0ELNS1_3repE0EEENS1_30default_config_static_selectorELNS0_4arch9wavefront6targetE0EEEvSY_
; %bb.0:
	.section	.rodata,"a",@progbits
	.p2align	6, 0x0
	.amdhsa_kernel _ZN7rocprim17ROCPRIM_400000_NS6detail17trampoline_kernelINS0_13select_configILj256ELj13ELNS0_17block_load_methodE3ELS4_3ELS4_3ELNS0_20block_scan_algorithmE0ELj4294967295EEENS1_25partition_config_selectorILNS1_17partition_subalgoE3EjNS0_10empty_typeEbEEZZNS1_14partition_implILS8_3ELb0ES6_jNS0_17counting_iteratorIjlEEPS9_SE_NS0_5tupleIJPjSE_EEENSF_IJSE_SE_EEES9_SG_JZNS1_25segmented_radix_sort_implINS0_14default_configELb1EPKiPiPKlPlN2at6native12_GLOBAL__N_18offset_tEEE10hipError_tPvRmT1_PNSt15iterator_traitsISY_E10value_typeET2_T3_PNSZ_IS14_E10value_typeET4_jRbjT5_S1A_jjP12ihipStream_tbEUljE_EEESV_SW_SX_S14_S18_S1A_T6_T7_T9_mT8_S1C_bDpT10_ENKUlT_T0_E_clISt17integral_constantIbLb0EES1O_IbLb1EEEEDaS1K_S1L_EUlS1K_E_NS1_11comp_targetILNS1_3genE0ELNS1_11target_archE4294967295ELNS1_3gpuE0ELNS1_3repE0EEENS1_30default_config_static_selectorELNS0_4arch9wavefront6targetE0EEEvSY_
		.amdhsa_group_segment_fixed_size 0
		.amdhsa_private_segment_fixed_size 0
		.amdhsa_kernarg_size 152
		.amdhsa_user_sgpr_count 2
		.amdhsa_user_sgpr_dispatch_ptr 0
		.amdhsa_user_sgpr_queue_ptr 0
		.amdhsa_user_sgpr_kernarg_segment_ptr 1
		.amdhsa_user_sgpr_dispatch_id 0
		.amdhsa_user_sgpr_private_segment_size 0
		.amdhsa_wavefront_size32 1
		.amdhsa_uses_dynamic_stack 0
		.amdhsa_enable_private_segment 0
		.amdhsa_system_sgpr_workgroup_id_x 1
		.amdhsa_system_sgpr_workgroup_id_y 0
		.amdhsa_system_sgpr_workgroup_id_z 0
		.amdhsa_system_sgpr_workgroup_info 0
		.amdhsa_system_vgpr_workitem_id 0
		.amdhsa_next_free_vgpr 1
		.amdhsa_next_free_sgpr 1
		.amdhsa_reserve_vcc 0
		.amdhsa_float_round_mode_32 0
		.amdhsa_float_round_mode_16_64 0
		.amdhsa_float_denorm_mode_32 3
		.amdhsa_float_denorm_mode_16_64 3
		.amdhsa_fp16_overflow 0
		.amdhsa_workgroup_processor_mode 1
		.amdhsa_memory_ordered 1
		.amdhsa_forward_progress 1
		.amdhsa_inst_pref_size 0
		.amdhsa_round_robin_scheduling 0
		.amdhsa_exception_fp_ieee_invalid_op 0
		.amdhsa_exception_fp_denorm_src 0
		.amdhsa_exception_fp_ieee_div_zero 0
		.amdhsa_exception_fp_ieee_overflow 0
		.amdhsa_exception_fp_ieee_underflow 0
		.amdhsa_exception_fp_ieee_inexact 0
		.amdhsa_exception_int_div_zero 0
	.end_amdhsa_kernel
	.section	.text._ZN7rocprim17ROCPRIM_400000_NS6detail17trampoline_kernelINS0_13select_configILj256ELj13ELNS0_17block_load_methodE3ELS4_3ELS4_3ELNS0_20block_scan_algorithmE0ELj4294967295EEENS1_25partition_config_selectorILNS1_17partition_subalgoE3EjNS0_10empty_typeEbEEZZNS1_14partition_implILS8_3ELb0ES6_jNS0_17counting_iteratorIjlEEPS9_SE_NS0_5tupleIJPjSE_EEENSF_IJSE_SE_EEES9_SG_JZNS1_25segmented_radix_sort_implINS0_14default_configELb1EPKiPiPKlPlN2at6native12_GLOBAL__N_18offset_tEEE10hipError_tPvRmT1_PNSt15iterator_traitsISY_E10value_typeET2_T3_PNSZ_IS14_E10value_typeET4_jRbjT5_S1A_jjP12ihipStream_tbEUljE_EEESV_SW_SX_S14_S18_S1A_T6_T7_T9_mT8_S1C_bDpT10_ENKUlT_T0_E_clISt17integral_constantIbLb0EES1O_IbLb1EEEEDaS1K_S1L_EUlS1K_E_NS1_11comp_targetILNS1_3genE0ELNS1_11target_archE4294967295ELNS1_3gpuE0ELNS1_3repE0EEENS1_30default_config_static_selectorELNS0_4arch9wavefront6targetE0EEEvSY_,"axG",@progbits,_ZN7rocprim17ROCPRIM_400000_NS6detail17trampoline_kernelINS0_13select_configILj256ELj13ELNS0_17block_load_methodE3ELS4_3ELS4_3ELNS0_20block_scan_algorithmE0ELj4294967295EEENS1_25partition_config_selectorILNS1_17partition_subalgoE3EjNS0_10empty_typeEbEEZZNS1_14partition_implILS8_3ELb0ES6_jNS0_17counting_iteratorIjlEEPS9_SE_NS0_5tupleIJPjSE_EEENSF_IJSE_SE_EEES9_SG_JZNS1_25segmented_radix_sort_implINS0_14default_configELb1EPKiPiPKlPlN2at6native12_GLOBAL__N_18offset_tEEE10hipError_tPvRmT1_PNSt15iterator_traitsISY_E10value_typeET2_T3_PNSZ_IS14_E10value_typeET4_jRbjT5_S1A_jjP12ihipStream_tbEUljE_EEESV_SW_SX_S14_S18_S1A_T6_T7_T9_mT8_S1C_bDpT10_ENKUlT_T0_E_clISt17integral_constantIbLb0EES1O_IbLb1EEEEDaS1K_S1L_EUlS1K_E_NS1_11comp_targetILNS1_3genE0ELNS1_11target_archE4294967295ELNS1_3gpuE0ELNS1_3repE0EEENS1_30default_config_static_selectorELNS0_4arch9wavefront6targetE0EEEvSY_,comdat
.Lfunc_end489:
	.size	_ZN7rocprim17ROCPRIM_400000_NS6detail17trampoline_kernelINS0_13select_configILj256ELj13ELNS0_17block_load_methodE3ELS4_3ELS4_3ELNS0_20block_scan_algorithmE0ELj4294967295EEENS1_25partition_config_selectorILNS1_17partition_subalgoE3EjNS0_10empty_typeEbEEZZNS1_14partition_implILS8_3ELb0ES6_jNS0_17counting_iteratorIjlEEPS9_SE_NS0_5tupleIJPjSE_EEENSF_IJSE_SE_EEES9_SG_JZNS1_25segmented_radix_sort_implINS0_14default_configELb1EPKiPiPKlPlN2at6native12_GLOBAL__N_18offset_tEEE10hipError_tPvRmT1_PNSt15iterator_traitsISY_E10value_typeET2_T3_PNSZ_IS14_E10value_typeET4_jRbjT5_S1A_jjP12ihipStream_tbEUljE_EEESV_SW_SX_S14_S18_S1A_T6_T7_T9_mT8_S1C_bDpT10_ENKUlT_T0_E_clISt17integral_constantIbLb0EES1O_IbLb1EEEEDaS1K_S1L_EUlS1K_E_NS1_11comp_targetILNS1_3genE0ELNS1_11target_archE4294967295ELNS1_3gpuE0ELNS1_3repE0EEENS1_30default_config_static_selectorELNS0_4arch9wavefront6targetE0EEEvSY_, .Lfunc_end489-_ZN7rocprim17ROCPRIM_400000_NS6detail17trampoline_kernelINS0_13select_configILj256ELj13ELNS0_17block_load_methodE3ELS4_3ELS4_3ELNS0_20block_scan_algorithmE0ELj4294967295EEENS1_25partition_config_selectorILNS1_17partition_subalgoE3EjNS0_10empty_typeEbEEZZNS1_14partition_implILS8_3ELb0ES6_jNS0_17counting_iteratorIjlEEPS9_SE_NS0_5tupleIJPjSE_EEENSF_IJSE_SE_EEES9_SG_JZNS1_25segmented_radix_sort_implINS0_14default_configELb1EPKiPiPKlPlN2at6native12_GLOBAL__N_18offset_tEEE10hipError_tPvRmT1_PNSt15iterator_traitsISY_E10value_typeET2_T3_PNSZ_IS14_E10value_typeET4_jRbjT5_S1A_jjP12ihipStream_tbEUljE_EEESV_SW_SX_S14_S18_S1A_T6_T7_T9_mT8_S1C_bDpT10_ENKUlT_T0_E_clISt17integral_constantIbLb0EES1O_IbLb1EEEEDaS1K_S1L_EUlS1K_E_NS1_11comp_targetILNS1_3genE0ELNS1_11target_archE4294967295ELNS1_3gpuE0ELNS1_3repE0EEENS1_30default_config_static_selectorELNS0_4arch9wavefront6targetE0EEEvSY_
                                        ; -- End function
	.set _ZN7rocprim17ROCPRIM_400000_NS6detail17trampoline_kernelINS0_13select_configILj256ELj13ELNS0_17block_load_methodE3ELS4_3ELS4_3ELNS0_20block_scan_algorithmE0ELj4294967295EEENS1_25partition_config_selectorILNS1_17partition_subalgoE3EjNS0_10empty_typeEbEEZZNS1_14partition_implILS8_3ELb0ES6_jNS0_17counting_iteratorIjlEEPS9_SE_NS0_5tupleIJPjSE_EEENSF_IJSE_SE_EEES9_SG_JZNS1_25segmented_radix_sort_implINS0_14default_configELb1EPKiPiPKlPlN2at6native12_GLOBAL__N_18offset_tEEE10hipError_tPvRmT1_PNSt15iterator_traitsISY_E10value_typeET2_T3_PNSZ_IS14_E10value_typeET4_jRbjT5_S1A_jjP12ihipStream_tbEUljE_EEESV_SW_SX_S14_S18_S1A_T6_T7_T9_mT8_S1C_bDpT10_ENKUlT_T0_E_clISt17integral_constantIbLb0EES1O_IbLb1EEEEDaS1K_S1L_EUlS1K_E_NS1_11comp_targetILNS1_3genE0ELNS1_11target_archE4294967295ELNS1_3gpuE0ELNS1_3repE0EEENS1_30default_config_static_selectorELNS0_4arch9wavefront6targetE0EEEvSY_.num_vgpr, 0
	.set _ZN7rocprim17ROCPRIM_400000_NS6detail17trampoline_kernelINS0_13select_configILj256ELj13ELNS0_17block_load_methodE3ELS4_3ELS4_3ELNS0_20block_scan_algorithmE0ELj4294967295EEENS1_25partition_config_selectorILNS1_17partition_subalgoE3EjNS0_10empty_typeEbEEZZNS1_14partition_implILS8_3ELb0ES6_jNS0_17counting_iteratorIjlEEPS9_SE_NS0_5tupleIJPjSE_EEENSF_IJSE_SE_EEES9_SG_JZNS1_25segmented_radix_sort_implINS0_14default_configELb1EPKiPiPKlPlN2at6native12_GLOBAL__N_18offset_tEEE10hipError_tPvRmT1_PNSt15iterator_traitsISY_E10value_typeET2_T3_PNSZ_IS14_E10value_typeET4_jRbjT5_S1A_jjP12ihipStream_tbEUljE_EEESV_SW_SX_S14_S18_S1A_T6_T7_T9_mT8_S1C_bDpT10_ENKUlT_T0_E_clISt17integral_constantIbLb0EES1O_IbLb1EEEEDaS1K_S1L_EUlS1K_E_NS1_11comp_targetILNS1_3genE0ELNS1_11target_archE4294967295ELNS1_3gpuE0ELNS1_3repE0EEENS1_30default_config_static_selectorELNS0_4arch9wavefront6targetE0EEEvSY_.num_agpr, 0
	.set _ZN7rocprim17ROCPRIM_400000_NS6detail17trampoline_kernelINS0_13select_configILj256ELj13ELNS0_17block_load_methodE3ELS4_3ELS4_3ELNS0_20block_scan_algorithmE0ELj4294967295EEENS1_25partition_config_selectorILNS1_17partition_subalgoE3EjNS0_10empty_typeEbEEZZNS1_14partition_implILS8_3ELb0ES6_jNS0_17counting_iteratorIjlEEPS9_SE_NS0_5tupleIJPjSE_EEENSF_IJSE_SE_EEES9_SG_JZNS1_25segmented_radix_sort_implINS0_14default_configELb1EPKiPiPKlPlN2at6native12_GLOBAL__N_18offset_tEEE10hipError_tPvRmT1_PNSt15iterator_traitsISY_E10value_typeET2_T3_PNSZ_IS14_E10value_typeET4_jRbjT5_S1A_jjP12ihipStream_tbEUljE_EEESV_SW_SX_S14_S18_S1A_T6_T7_T9_mT8_S1C_bDpT10_ENKUlT_T0_E_clISt17integral_constantIbLb0EES1O_IbLb1EEEEDaS1K_S1L_EUlS1K_E_NS1_11comp_targetILNS1_3genE0ELNS1_11target_archE4294967295ELNS1_3gpuE0ELNS1_3repE0EEENS1_30default_config_static_selectorELNS0_4arch9wavefront6targetE0EEEvSY_.numbered_sgpr, 0
	.set _ZN7rocprim17ROCPRIM_400000_NS6detail17trampoline_kernelINS0_13select_configILj256ELj13ELNS0_17block_load_methodE3ELS4_3ELS4_3ELNS0_20block_scan_algorithmE0ELj4294967295EEENS1_25partition_config_selectorILNS1_17partition_subalgoE3EjNS0_10empty_typeEbEEZZNS1_14partition_implILS8_3ELb0ES6_jNS0_17counting_iteratorIjlEEPS9_SE_NS0_5tupleIJPjSE_EEENSF_IJSE_SE_EEES9_SG_JZNS1_25segmented_radix_sort_implINS0_14default_configELb1EPKiPiPKlPlN2at6native12_GLOBAL__N_18offset_tEEE10hipError_tPvRmT1_PNSt15iterator_traitsISY_E10value_typeET2_T3_PNSZ_IS14_E10value_typeET4_jRbjT5_S1A_jjP12ihipStream_tbEUljE_EEESV_SW_SX_S14_S18_S1A_T6_T7_T9_mT8_S1C_bDpT10_ENKUlT_T0_E_clISt17integral_constantIbLb0EES1O_IbLb1EEEEDaS1K_S1L_EUlS1K_E_NS1_11comp_targetILNS1_3genE0ELNS1_11target_archE4294967295ELNS1_3gpuE0ELNS1_3repE0EEENS1_30default_config_static_selectorELNS0_4arch9wavefront6targetE0EEEvSY_.num_named_barrier, 0
	.set _ZN7rocprim17ROCPRIM_400000_NS6detail17trampoline_kernelINS0_13select_configILj256ELj13ELNS0_17block_load_methodE3ELS4_3ELS4_3ELNS0_20block_scan_algorithmE0ELj4294967295EEENS1_25partition_config_selectorILNS1_17partition_subalgoE3EjNS0_10empty_typeEbEEZZNS1_14partition_implILS8_3ELb0ES6_jNS0_17counting_iteratorIjlEEPS9_SE_NS0_5tupleIJPjSE_EEENSF_IJSE_SE_EEES9_SG_JZNS1_25segmented_radix_sort_implINS0_14default_configELb1EPKiPiPKlPlN2at6native12_GLOBAL__N_18offset_tEEE10hipError_tPvRmT1_PNSt15iterator_traitsISY_E10value_typeET2_T3_PNSZ_IS14_E10value_typeET4_jRbjT5_S1A_jjP12ihipStream_tbEUljE_EEESV_SW_SX_S14_S18_S1A_T6_T7_T9_mT8_S1C_bDpT10_ENKUlT_T0_E_clISt17integral_constantIbLb0EES1O_IbLb1EEEEDaS1K_S1L_EUlS1K_E_NS1_11comp_targetILNS1_3genE0ELNS1_11target_archE4294967295ELNS1_3gpuE0ELNS1_3repE0EEENS1_30default_config_static_selectorELNS0_4arch9wavefront6targetE0EEEvSY_.private_seg_size, 0
	.set _ZN7rocprim17ROCPRIM_400000_NS6detail17trampoline_kernelINS0_13select_configILj256ELj13ELNS0_17block_load_methodE3ELS4_3ELS4_3ELNS0_20block_scan_algorithmE0ELj4294967295EEENS1_25partition_config_selectorILNS1_17partition_subalgoE3EjNS0_10empty_typeEbEEZZNS1_14partition_implILS8_3ELb0ES6_jNS0_17counting_iteratorIjlEEPS9_SE_NS0_5tupleIJPjSE_EEENSF_IJSE_SE_EEES9_SG_JZNS1_25segmented_radix_sort_implINS0_14default_configELb1EPKiPiPKlPlN2at6native12_GLOBAL__N_18offset_tEEE10hipError_tPvRmT1_PNSt15iterator_traitsISY_E10value_typeET2_T3_PNSZ_IS14_E10value_typeET4_jRbjT5_S1A_jjP12ihipStream_tbEUljE_EEESV_SW_SX_S14_S18_S1A_T6_T7_T9_mT8_S1C_bDpT10_ENKUlT_T0_E_clISt17integral_constantIbLb0EES1O_IbLb1EEEEDaS1K_S1L_EUlS1K_E_NS1_11comp_targetILNS1_3genE0ELNS1_11target_archE4294967295ELNS1_3gpuE0ELNS1_3repE0EEENS1_30default_config_static_selectorELNS0_4arch9wavefront6targetE0EEEvSY_.uses_vcc, 0
	.set _ZN7rocprim17ROCPRIM_400000_NS6detail17trampoline_kernelINS0_13select_configILj256ELj13ELNS0_17block_load_methodE3ELS4_3ELS4_3ELNS0_20block_scan_algorithmE0ELj4294967295EEENS1_25partition_config_selectorILNS1_17partition_subalgoE3EjNS0_10empty_typeEbEEZZNS1_14partition_implILS8_3ELb0ES6_jNS0_17counting_iteratorIjlEEPS9_SE_NS0_5tupleIJPjSE_EEENSF_IJSE_SE_EEES9_SG_JZNS1_25segmented_radix_sort_implINS0_14default_configELb1EPKiPiPKlPlN2at6native12_GLOBAL__N_18offset_tEEE10hipError_tPvRmT1_PNSt15iterator_traitsISY_E10value_typeET2_T3_PNSZ_IS14_E10value_typeET4_jRbjT5_S1A_jjP12ihipStream_tbEUljE_EEESV_SW_SX_S14_S18_S1A_T6_T7_T9_mT8_S1C_bDpT10_ENKUlT_T0_E_clISt17integral_constantIbLb0EES1O_IbLb1EEEEDaS1K_S1L_EUlS1K_E_NS1_11comp_targetILNS1_3genE0ELNS1_11target_archE4294967295ELNS1_3gpuE0ELNS1_3repE0EEENS1_30default_config_static_selectorELNS0_4arch9wavefront6targetE0EEEvSY_.uses_flat_scratch, 0
	.set _ZN7rocprim17ROCPRIM_400000_NS6detail17trampoline_kernelINS0_13select_configILj256ELj13ELNS0_17block_load_methodE3ELS4_3ELS4_3ELNS0_20block_scan_algorithmE0ELj4294967295EEENS1_25partition_config_selectorILNS1_17partition_subalgoE3EjNS0_10empty_typeEbEEZZNS1_14partition_implILS8_3ELb0ES6_jNS0_17counting_iteratorIjlEEPS9_SE_NS0_5tupleIJPjSE_EEENSF_IJSE_SE_EEES9_SG_JZNS1_25segmented_radix_sort_implINS0_14default_configELb1EPKiPiPKlPlN2at6native12_GLOBAL__N_18offset_tEEE10hipError_tPvRmT1_PNSt15iterator_traitsISY_E10value_typeET2_T3_PNSZ_IS14_E10value_typeET4_jRbjT5_S1A_jjP12ihipStream_tbEUljE_EEESV_SW_SX_S14_S18_S1A_T6_T7_T9_mT8_S1C_bDpT10_ENKUlT_T0_E_clISt17integral_constantIbLb0EES1O_IbLb1EEEEDaS1K_S1L_EUlS1K_E_NS1_11comp_targetILNS1_3genE0ELNS1_11target_archE4294967295ELNS1_3gpuE0ELNS1_3repE0EEENS1_30default_config_static_selectorELNS0_4arch9wavefront6targetE0EEEvSY_.has_dyn_sized_stack, 0
	.set _ZN7rocprim17ROCPRIM_400000_NS6detail17trampoline_kernelINS0_13select_configILj256ELj13ELNS0_17block_load_methodE3ELS4_3ELS4_3ELNS0_20block_scan_algorithmE0ELj4294967295EEENS1_25partition_config_selectorILNS1_17partition_subalgoE3EjNS0_10empty_typeEbEEZZNS1_14partition_implILS8_3ELb0ES6_jNS0_17counting_iteratorIjlEEPS9_SE_NS0_5tupleIJPjSE_EEENSF_IJSE_SE_EEES9_SG_JZNS1_25segmented_radix_sort_implINS0_14default_configELb1EPKiPiPKlPlN2at6native12_GLOBAL__N_18offset_tEEE10hipError_tPvRmT1_PNSt15iterator_traitsISY_E10value_typeET2_T3_PNSZ_IS14_E10value_typeET4_jRbjT5_S1A_jjP12ihipStream_tbEUljE_EEESV_SW_SX_S14_S18_S1A_T6_T7_T9_mT8_S1C_bDpT10_ENKUlT_T0_E_clISt17integral_constantIbLb0EES1O_IbLb1EEEEDaS1K_S1L_EUlS1K_E_NS1_11comp_targetILNS1_3genE0ELNS1_11target_archE4294967295ELNS1_3gpuE0ELNS1_3repE0EEENS1_30default_config_static_selectorELNS0_4arch9wavefront6targetE0EEEvSY_.has_recursion, 0
	.set _ZN7rocprim17ROCPRIM_400000_NS6detail17trampoline_kernelINS0_13select_configILj256ELj13ELNS0_17block_load_methodE3ELS4_3ELS4_3ELNS0_20block_scan_algorithmE0ELj4294967295EEENS1_25partition_config_selectorILNS1_17partition_subalgoE3EjNS0_10empty_typeEbEEZZNS1_14partition_implILS8_3ELb0ES6_jNS0_17counting_iteratorIjlEEPS9_SE_NS0_5tupleIJPjSE_EEENSF_IJSE_SE_EEES9_SG_JZNS1_25segmented_radix_sort_implINS0_14default_configELb1EPKiPiPKlPlN2at6native12_GLOBAL__N_18offset_tEEE10hipError_tPvRmT1_PNSt15iterator_traitsISY_E10value_typeET2_T3_PNSZ_IS14_E10value_typeET4_jRbjT5_S1A_jjP12ihipStream_tbEUljE_EEESV_SW_SX_S14_S18_S1A_T6_T7_T9_mT8_S1C_bDpT10_ENKUlT_T0_E_clISt17integral_constantIbLb0EES1O_IbLb1EEEEDaS1K_S1L_EUlS1K_E_NS1_11comp_targetILNS1_3genE0ELNS1_11target_archE4294967295ELNS1_3gpuE0ELNS1_3repE0EEENS1_30default_config_static_selectorELNS0_4arch9wavefront6targetE0EEEvSY_.has_indirect_call, 0
	.section	.AMDGPU.csdata,"",@progbits
; Kernel info:
; codeLenInByte = 0
; TotalNumSgprs: 0
; NumVgprs: 0
; ScratchSize: 0
; MemoryBound: 0
; FloatMode: 240
; IeeeMode: 1
; LDSByteSize: 0 bytes/workgroup (compile time only)
; SGPRBlocks: 0
; VGPRBlocks: 0
; NumSGPRsForWavesPerEU: 1
; NumVGPRsForWavesPerEU: 1
; Occupancy: 16
; WaveLimiterHint : 0
; COMPUTE_PGM_RSRC2:SCRATCH_EN: 0
; COMPUTE_PGM_RSRC2:USER_SGPR: 2
; COMPUTE_PGM_RSRC2:TRAP_HANDLER: 0
; COMPUTE_PGM_RSRC2:TGID_X_EN: 1
; COMPUTE_PGM_RSRC2:TGID_Y_EN: 0
; COMPUTE_PGM_RSRC2:TGID_Z_EN: 0
; COMPUTE_PGM_RSRC2:TIDIG_COMP_CNT: 0
	.section	.text._ZN7rocprim17ROCPRIM_400000_NS6detail17trampoline_kernelINS0_13select_configILj256ELj13ELNS0_17block_load_methodE3ELS4_3ELS4_3ELNS0_20block_scan_algorithmE0ELj4294967295EEENS1_25partition_config_selectorILNS1_17partition_subalgoE3EjNS0_10empty_typeEbEEZZNS1_14partition_implILS8_3ELb0ES6_jNS0_17counting_iteratorIjlEEPS9_SE_NS0_5tupleIJPjSE_EEENSF_IJSE_SE_EEES9_SG_JZNS1_25segmented_radix_sort_implINS0_14default_configELb1EPKiPiPKlPlN2at6native12_GLOBAL__N_18offset_tEEE10hipError_tPvRmT1_PNSt15iterator_traitsISY_E10value_typeET2_T3_PNSZ_IS14_E10value_typeET4_jRbjT5_S1A_jjP12ihipStream_tbEUljE_EEESV_SW_SX_S14_S18_S1A_T6_T7_T9_mT8_S1C_bDpT10_ENKUlT_T0_E_clISt17integral_constantIbLb0EES1O_IbLb1EEEEDaS1K_S1L_EUlS1K_E_NS1_11comp_targetILNS1_3genE5ELNS1_11target_archE942ELNS1_3gpuE9ELNS1_3repE0EEENS1_30default_config_static_selectorELNS0_4arch9wavefront6targetE0EEEvSY_,"axG",@progbits,_ZN7rocprim17ROCPRIM_400000_NS6detail17trampoline_kernelINS0_13select_configILj256ELj13ELNS0_17block_load_methodE3ELS4_3ELS4_3ELNS0_20block_scan_algorithmE0ELj4294967295EEENS1_25partition_config_selectorILNS1_17partition_subalgoE3EjNS0_10empty_typeEbEEZZNS1_14partition_implILS8_3ELb0ES6_jNS0_17counting_iteratorIjlEEPS9_SE_NS0_5tupleIJPjSE_EEENSF_IJSE_SE_EEES9_SG_JZNS1_25segmented_radix_sort_implINS0_14default_configELb1EPKiPiPKlPlN2at6native12_GLOBAL__N_18offset_tEEE10hipError_tPvRmT1_PNSt15iterator_traitsISY_E10value_typeET2_T3_PNSZ_IS14_E10value_typeET4_jRbjT5_S1A_jjP12ihipStream_tbEUljE_EEESV_SW_SX_S14_S18_S1A_T6_T7_T9_mT8_S1C_bDpT10_ENKUlT_T0_E_clISt17integral_constantIbLb0EES1O_IbLb1EEEEDaS1K_S1L_EUlS1K_E_NS1_11comp_targetILNS1_3genE5ELNS1_11target_archE942ELNS1_3gpuE9ELNS1_3repE0EEENS1_30default_config_static_selectorELNS0_4arch9wavefront6targetE0EEEvSY_,comdat
	.globl	_ZN7rocprim17ROCPRIM_400000_NS6detail17trampoline_kernelINS0_13select_configILj256ELj13ELNS0_17block_load_methodE3ELS4_3ELS4_3ELNS0_20block_scan_algorithmE0ELj4294967295EEENS1_25partition_config_selectorILNS1_17partition_subalgoE3EjNS0_10empty_typeEbEEZZNS1_14partition_implILS8_3ELb0ES6_jNS0_17counting_iteratorIjlEEPS9_SE_NS0_5tupleIJPjSE_EEENSF_IJSE_SE_EEES9_SG_JZNS1_25segmented_radix_sort_implINS0_14default_configELb1EPKiPiPKlPlN2at6native12_GLOBAL__N_18offset_tEEE10hipError_tPvRmT1_PNSt15iterator_traitsISY_E10value_typeET2_T3_PNSZ_IS14_E10value_typeET4_jRbjT5_S1A_jjP12ihipStream_tbEUljE_EEESV_SW_SX_S14_S18_S1A_T6_T7_T9_mT8_S1C_bDpT10_ENKUlT_T0_E_clISt17integral_constantIbLb0EES1O_IbLb1EEEEDaS1K_S1L_EUlS1K_E_NS1_11comp_targetILNS1_3genE5ELNS1_11target_archE942ELNS1_3gpuE9ELNS1_3repE0EEENS1_30default_config_static_selectorELNS0_4arch9wavefront6targetE0EEEvSY_ ; -- Begin function _ZN7rocprim17ROCPRIM_400000_NS6detail17trampoline_kernelINS0_13select_configILj256ELj13ELNS0_17block_load_methodE3ELS4_3ELS4_3ELNS0_20block_scan_algorithmE0ELj4294967295EEENS1_25partition_config_selectorILNS1_17partition_subalgoE3EjNS0_10empty_typeEbEEZZNS1_14partition_implILS8_3ELb0ES6_jNS0_17counting_iteratorIjlEEPS9_SE_NS0_5tupleIJPjSE_EEENSF_IJSE_SE_EEES9_SG_JZNS1_25segmented_radix_sort_implINS0_14default_configELb1EPKiPiPKlPlN2at6native12_GLOBAL__N_18offset_tEEE10hipError_tPvRmT1_PNSt15iterator_traitsISY_E10value_typeET2_T3_PNSZ_IS14_E10value_typeET4_jRbjT5_S1A_jjP12ihipStream_tbEUljE_EEESV_SW_SX_S14_S18_S1A_T6_T7_T9_mT8_S1C_bDpT10_ENKUlT_T0_E_clISt17integral_constantIbLb0EES1O_IbLb1EEEEDaS1K_S1L_EUlS1K_E_NS1_11comp_targetILNS1_3genE5ELNS1_11target_archE942ELNS1_3gpuE9ELNS1_3repE0EEENS1_30default_config_static_selectorELNS0_4arch9wavefront6targetE0EEEvSY_
	.p2align	8
	.type	_ZN7rocprim17ROCPRIM_400000_NS6detail17trampoline_kernelINS0_13select_configILj256ELj13ELNS0_17block_load_methodE3ELS4_3ELS4_3ELNS0_20block_scan_algorithmE0ELj4294967295EEENS1_25partition_config_selectorILNS1_17partition_subalgoE3EjNS0_10empty_typeEbEEZZNS1_14partition_implILS8_3ELb0ES6_jNS0_17counting_iteratorIjlEEPS9_SE_NS0_5tupleIJPjSE_EEENSF_IJSE_SE_EEES9_SG_JZNS1_25segmented_radix_sort_implINS0_14default_configELb1EPKiPiPKlPlN2at6native12_GLOBAL__N_18offset_tEEE10hipError_tPvRmT1_PNSt15iterator_traitsISY_E10value_typeET2_T3_PNSZ_IS14_E10value_typeET4_jRbjT5_S1A_jjP12ihipStream_tbEUljE_EEESV_SW_SX_S14_S18_S1A_T6_T7_T9_mT8_S1C_bDpT10_ENKUlT_T0_E_clISt17integral_constantIbLb0EES1O_IbLb1EEEEDaS1K_S1L_EUlS1K_E_NS1_11comp_targetILNS1_3genE5ELNS1_11target_archE942ELNS1_3gpuE9ELNS1_3repE0EEENS1_30default_config_static_selectorELNS0_4arch9wavefront6targetE0EEEvSY_,@function
_ZN7rocprim17ROCPRIM_400000_NS6detail17trampoline_kernelINS0_13select_configILj256ELj13ELNS0_17block_load_methodE3ELS4_3ELS4_3ELNS0_20block_scan_algorithmE0ELj4294967295EEENS1_25partition_config_selectorILNS1_17partition_subalgoE3EjNS0_10empty_typeEbEEZZNS1_14partition_implILS8_3ELb0ES6_jNS0_17counting_iteratorIjlEEPS9_SE_NS0_5tupleIJPjSE_EEENSF_IJSE_SE_EEES9_SG_JZNS1_25segmented_radix_sort_implINS0_14default_configELb1EPKiPiPKlPlN2at6native12_GLOBAL__N_18offset_tEEE10hipError_tPvRmT1_PNSt15iterator_traitsISY_E10value_typeET2_T3_PNSZ_IS14_E10value_typeET4_jRbjT5_S1A_jjP12ihipStream_tbEUljE_EEESV_SW_SX_S14_S18_S1A_T6_T7_T9_mT8_S1C_bDpT10_ENKUlT_T0_E_clISt17integral_constantIbLb0EES1O_IbLb1EEEEDaS1K_S1L_EUlS1K_E_NS1_11comp_targetILNS1_3genE5ELNS1_11target_archE942ELNS1_3gpuE9ELNS1_3repE0EEENS1_30default_config_static_selectorELNS0_4arch9wavefront6targetE0EEEvSY_: ; @_ZN7rocprim17ROCPRIM_400000_NS6detail17trampoline_kernelINS0_13select_configILj256ELj13ELNS0_17block_load_methodE3ELS4_3ELS4_3ELNS0_20block_scan_algorithmE0ELj4294967295EEENS1_25partition_config_selectorILNS1_17partition_subalgoE3EjNS0_10empty_typeEbEEZZNS1_14partition_implILS8_3ELb0ES6_jNS0_17counting_iteratorIjlEEPS9_SE_NS0_5tupleIJPjSE_EEENSF_IJSE_SE_EEES9_SG_JZNS1_25segmented_radix_sort_implINS0_14default_configELb1EPKiPiPKlPlN2at6native12_GLOBAL__N_18offset_tEEE10hipError_tPvRmT1_PNSt15iterator_traitsISY_E10value_typeET2_T3_PNSZ_IS14_E10value_typeET4_jRbjT5_S1A_jjP12ihipStream_tbEUljE_EEESV_SW_SX_S14_S18_S1A_T6_T7_T9_mT8_S1C_bDpT10_ENKUlT_T0_E_clISt17integral_constantIbLb0EES1O_IbLb1EEEEDaS1K_S1L_EUlS1K_E_NS1_11comp_targetILNS1_3genE5ELNS1_11target_archE942ELNS1_3gpuE9ELNS1_3repE0EEENS1_30default_config_static_selectorELNS0_4arch9wavefront6targetE0EEEvSY_
; %bb.0:
	.section	.rodata,"a",@progbits
	.p2align	6, 0x0
	.amdhsa_kernel _ZN7rocprim17ROCPRIM_400000_NS6detail17trampoline_kernelINS0_13select_configILj256ELj13ELNS0_17block_load_methodE3ELS4_3ELS4_3ELNS0_20block_scan_algorithmE0ELj4294967295EEENS1_25partition_config_selectorILNS1_17partition_subalgoE3EjNS0_10empty_typeEbEEZZNS1_14partition_implILS8_3ELb0ES6_jNS0_17counting_iteratorIjlEEPS9_SE_NS0_5tupleIJPjSE_EEENSF_IJSE_SE_EEES9_SG_JZNS1_25segmented_radix_sort_implINS0_14default_configELb1EPKiPiPKlPlN2at6native12_GLOBAL__N_18offset_tEEE10hipError_tPvRmT1_PNSt15iterator_traitsISY_E10value_typeET2_T3_PNSZ_IS14_E10value_typeET4_jRbjT5_S1A_jjP12ihipStream_tbEUljE_EEESV_SW_SX_S14_S18_S1A_T6_T7_T9_mT8_S1C_bDpT10_ENKUlT_T0_E_clISt17integral_constantIbLb0EES1O_IbLb1EEEEDaS1K_S1L_EUlS1K_E_NS1_11comp_targetILNS1_3genE5ELNS1_11target_archE942ELNS1_3gpuE9ELNS1_3repE0EEENS1_30default_config_static_selectorELNS0_4arch9wavefront6targetE0EEEvSY_
		.amdhsa_group_segment_fixed_size 0
		.amdhsa_private_segment_fixed_size 0
		.amdhsa_kernarg_size 152
		.amdhsa_user_sgpr_count 2
		.amdhsa_user_sgpr_dispatch_ptr 0
		.amdhsa_user_sgpr_queue_ptr 0
		.amdhsa_user_sgpr_kernarg_segment_ptr 1
		.amdhsa_user_sgpr_dispatch_id 0
		.amdhsa_user_sgpr_private_segment_size 0
		.amdhsa_wavefront_size32 1
		.amdhsa_uses_dynamic_stack 0
		.amdhsa_enable_private_segment 0
		.amdhsa_system_sgpr_workgroup_id_x 1
		.amdhsa_system_sgpr_workgroup_id_y 0
		.amdhsa_system_sgpr_workgroup_id_z 0
		.amdhsa_system_sgpr_workgroup_info 0
		.amdhsa_system_vgpr_workitem_id 0
		.amdhsa_next_free_vgpr 1
		.amdhsa_next_free_sgpr 1
		.amdhsa_reserve_vcc 0
		.amdhsa_float_round_mode_32 0
		.amdhsa_float_round_mode_16_64 0
		.amdhsa_float_denorm_mode_32 3
		.amdhsa_float_denorm_mode_16_64 3
		.amdhsa_fp16_overflow 0
		.amdhsa_workgroup_processor_mode 1
		.amdhsa_memory_ordered 1
		.amdhsa_forward_progress 1
		.amdhsa_inst_pref_size 0
		.amdhsa_round_robin_scheduling 0
		.amdhsa_exception_fp_ieee_invalid_op 0
		.amdhsa_exception_fp_denorm_src 0
		.amdhsa_exception_fp_ieee_div_zero 0
		.amdhsa_exception_fp_ieee_overflow 0
		.amdhsa_exception_fp_ieee_underflow 0
		.amdhsa_exception_fp_ieee_inexact 0
		.amdhsa_exception_int_div_zero 0
	.end_amdhsa_kernel
	.section	.text._ZN7rocprim17ROCPRIM_400000_NS6detail17trampoline_kernelINS0_13select_configILj256ELj13ELNS0_17block_load_methodE3ELS4_3ELS4_3ELNS0_20block_scan_algorithmE0ELj4294967295EEENS1_25partition_config_selectorILNS1_17partition_subalgoE3EjNS0_10empty_typeEbEEZZNS1_14partition_implILS8_3ELb0ES6_jNS0_17counting_iteratorIjlEEPS9_SE_NS0_5tupleIJPjSE_EEENSF_IJSE_SE_EEES9_SG_JZNS1_25segmented_radix_sort_implINS0_14default_configELb1EPKiPiPKlPlN2at6native12_GLOBAL__N_18offset_tEEE10hipError_tPvRmT1_PNSt15iterator_traitsISY_E10value_typeET2_T3_PNSZ_IS14_E10value_typeET4_jRbjT5_S1A_jjP12ihipStream_tbEUljE_EEESV_SW_SX_S14_S18_S1A_T6_T7_T9_mT8_S1C_bDpT10_ENKUlT_T0_E_clISt17integral_constantIbLb0EES1O_IbLb1EEEEDaS1K_S1L_EUlS1K_E_NS1_11comp_targetILNS1_3genE5ELNS1_11target_archE942ELNS1_3gpuE9ELNS1_3repE0EEENS1_30default_config_static_selectorELNS0_4arch9wavefront6targetE0EEEvSY_,"axG",@progbits,_ZN7rocprim17ROCPRIM_400000_NS6detail17trampoline_kernelINS0_13select_configILj256ELj13ELNS0_17block_load_methodE3ELS4_3ELS4_3ELNS0_20block_scan_algorithmE0ELj4294967295EEENS1_25partition_config_selectorILNS1_17partition_subalgoE3EjNS0_10empty_typeEbEEZZNS1_14partition_implILS8_3ELb0ES6_jNS0_17counting_iteratorIjlEEPS9_SE_NS0_5tupleIJPjSE_EEENSF_IJSE_SE_EEES9_SG_JZNS1_25segmented_radix_sort_implINS0_14default_configELb1EPKiPiPKlPlN2at6native12_GLOBAL__N_18offset_tEEE10hipError_tPvRmT1_PNSt15iterator_traitsISY_E10value_typeET2_T3_PNSZ_IS14_E10value_typeET4_jRbjT5_S1A_jjP12ihipStream_tbEUljE_EEESV_SW_SX_S14_S18_S1A_T6_T7_T9_mT8_S1C_bDpT10_ENKUlT_T0_E_clISt17integral_constantIbLb0EES1O_IbLb1EEEEDaS1K_S1L_EUlS1K_E_NS1_11comp_targetILNS1_3genE5ELNS1_11target_archE942ELNS1_3gpuE9ELNS1_3repE0EEENS1_30default_config_static_selectorELNS0_4arch9wavefront6targetE0EEEvSY_,comdat
.Lfunc_end490:
	.size	_ZN7rocprim17ROCPRIM_400000_NS6detail17trampoline_kernelINS0_13select_configILj256ELj13ELNS0_17block_load_methodE3ELS4_3ELS4_3ELNS0_20block_scan_algorithmE0ELj4294967295EEENS1_25partition_config_selectorILNS1_17partition_subalgoE3EjNS0_10empty_typeEbEEZZNS1_14partition_implILS8_3ELb0ES6_jNS0_17counting_iteratorIjlEEPS9_SE_NS0_5tupleIJPjSE_EEENSF_IJSE_SE_EEES9_SG_JZNS1_25segmented_radix_sort_implINS0_14default_configELb1EPKiPiPKlPlN2at6native12_GLOBAL__N_18offset_tEEE10hipError_tPvRmT1_PNSt15iterator_traitsISY_E10value_typeET2_T3_PNSZ_IS14_E10value_typeET4_jRbjT5_S1A_jjP12ihipStream_tbEUljE_EEESV_SW_SX_S14_S18_S1A_T6_T7_T9_mT8_S1C_bDpT10_ENKUlT_T0_E_clISt17integral_constantIbLb0EES1O_IbLb1EEEEDaS1K_S1L_EUlS1K_E_NS1_11comp_targetILNS1_3genE5ELNS1_11target_archE942ELNS1_3gpuE9ELNS1_3repE0EEENS1_30default_config_static_selectorELNS0_4arch9wavefront6targetE0EEEvSY_, .Lfunc_end490-_ZN7rocprim17ROCPRIM_400000_NS6detail17trampoline_kernelINS0_13select_configILj256ELj13ELNS0_17block_load_methodE3ELS4_3ELS4_3ELNS0_20block_scan_algorithmE0ELj4294967295EEENS1_25partition_config_selectorILNS1_17partition_subalgoE3EjNS0_10empty_typeEbEEZZNS1_14partition_implILS8_3ELb0ES6_jNS0_17counting_iteratorIjlEEPS9_SE_NS0_5tupleIJPjSE_EEENSF_IJSE_SE_EEES9_SG_JZNS1_25segmented_radix_sort_implINS0_14default_configELb1EPKiPiPKlPlN2at6native12_GLOBAL__N_18offset_tEEE10hipError_tPvRmT1_PNSt15iterator_traitsISY_E10value_typeET2_T3_PNSZ_IS14_E10value_typeET4_jRbjT5_S1A_jjP12ihipStream_tbEUljE_EEESV_SW_SX_S14_S18_S1A_T6_T7_T9_mT8_S1C_bDpT10_ENKUlT_T0_E_clISt17integral_constantIbLb0EES1O_IbLb1EEEEDaS1K_S1L_EUlS1K_E_NS1_11comp_targetILNS1_3genE5ELNS1_11target_archE942ELNS1_3gpuE9ELNS1_3repE0EEENS1_30default_config_static_selectorELNS0_4arch9wavefront6targetE0EEEvSY_
                                        ; -- End function
	.set _ZN7rocprim17ROCPRIM_400000_NS6detail17trampoline_kernelINS0_13select_configILj256ELj13ELNS0_17block_load_methodE3ELS4_3ELS4_3ELNS0_20block_scan_algorithmE0ELj4294967295EEENS1_25partition_config_selectorILNS1_17partition_subalgoE3EjNS0_10empty_typeEbEEZZNS1_14partition_implILS8_3ELb0ES6_jNS0_17counting_iteratorIjlEEPS9_SE_NS0_5tupleIJPjSE_EEENSF_IJSE_SE_EEES9_SG_JZNS1_25segmented_radix_sort_implINS0_14default_configELb1EPKiPiPKlPlN2at6native12_GLOBAL__N_18offset_tEEE10hipError_tPvRmT1_PNSt15iterator_traitsISY_E10value_typeET2_T3_PNSZ_IS14_E10value_typeET4_jRbjT5_S1A_jjP12ihipStream_tbEUljE_EEESV_SW_SX_S14_S18_S1A_T6_T7_T9_mT8_S1C_bDpT10_ENKUlT_T0_E_clISt17integral_constantIbLb0EES1O_IbLb1EEEEDaS1K_S1L_EUlS1K_E_NS1_11comp_targetILNS1_3genE5ELNS1_11target_archE942ELNS1_3gpuE9ELNS1_3repE0EEENS1_30default_config_static_selectorELNS0_4arch9wavefront6targetE0EEEvSY_.num_vgpr, 0
	.set _ZN7rocprim17ROCPRIM_400000_NS6detail17trampoline_kernelINS0_13select_configILj256ELj13ELNS0_17block_load_methodE3ELS4_3ELS4_3ELNS0_20block_scan_algorithmE0ELj4294967295EEENS1_25partition_config_selectorILNS1_17partition_subalgoE3EjNS0_10empty_typeEbEEZZNS1_14partition_implILS8_3ELb0ES6_jNS0_17counting_iteratorIjlEEPS9_SE_NS0_5tupleIJPjSE_EEENSF_IJSE_SE_EEES9_SG_JZNS1_25segmented_radix_sort_implINS0_14default_configELb1EPKiPiPKlPlN2at6native12_GLOBAL__N_18offset_tEEE10hipError_tPvRmT1_PNSt15iterator_traitsISY_E10value_typeET2_T3_PNSZ_IS14_E10value_typeET4_jRbjT5_S1A_jjP12ihipStream_tbEUljE_EEESV_SW_SX_S14_S18_S1A_T6_T7_T9_mT8_S1C_bDpT10_ENKUlT_T0_E_clISt17integral_constantIbLb0EES1O_IbLb1EEEEDaS1K_S1L_EUlS1K_E_NS1_11comp_targetILNS1_3genE5ELNS1_11target_archE942ELNS1_3gpuE9ELNS1_3repE0EEENS1_30default_config_static_selectorELNS0_4arch9wavefront6targetE0EEEvSY_.num_agpr, 0
	.set _ZN7rocprim17ROCPRIM_400000_NS6detail17trampoline_kernelINS0_13select_configILj256ELj13ELNS0_17block_load_methodE3ELS4_3ELS4_3ELNS0_20block_scan_algorithmE0ELj4294967295EEENS1_25partition_config_selectorILNS1_17partition_subalgoE3EjNS0_10empty_typeEbEEZZNS1_14partition_implILS8_3ELb0ES6_jNS0_17counting_iteratorIjlEEPS9_SE_NS0_5tupleIJPjSE_EEENSF_IJSE_SE_EEES9_SG_JZNS1_25segmented_radix_sort_implINS0_14default_configELb1EPKiPiPKlPlN2at6native12_GLOBAL__N_18offset_tEEE10hipError_tPvRmT1_PNSt15iterator_traitsISY_E10value_typeET2_T3_PNSZ_IS14_E10value_typeET4_jRbjT5_S1A_jjP12ihipStream_tbEUljE_EEESV_SW_SX_S14_S18_S1A_T6_T7_T9_mT8_S1C_bDpT10_ENKUlT_T0_E_clISt17integral_constantIbLb0EES1O_IbLb1EEEEDaS1K_S1L_EUlS1K_E_NS1_11comp_targetILNS1_3genE5ELNS1_11target_archE942ELNS1_3gpuE9ELNS1_3repE0EEENS1_30default_config_static_selectorELNS0_4arch9wavefront6targetE0EEEvSY_.numbered_sgpr, 0
	.set _ZN7rocprim17ROCPRIM_400000_NS6detail17trampoline_kernelINS0_13select_configILj256ELj13ELNS0_17block_load_methodE3ELS4_3ELS4_3ELNS0_20block_scan_algorithmE0ELj4294967295EEENS1_25partition_config_selectorILNS1_17partition_subalgoE3EjNS0_10empty_typeEbEEZZNS1_14partition_implILS8_3ELb0ES6_jNS0_17counting_iteratorIjlEEPS9_SE_NS0_5tupleIJPjSE_EEENSF_IJSE_SE_EEES9_SG_JZNS1_25segmented_radix_sort_implINS0_14default_configELb1EPKiPiPKlPlN2at6native12_GLOBAL__N_18offset_tEEE10hipError_tPvRmT1_PNSt15iterator_traitsISY_E10value_typeET2_T3_PNSZ_IS14_E10value_typeET4_jRbjT5_S1A_jjP12ihipStream_tbEUljE_EEESV_SW_SX_S14_S18_S1A_T6_T7_T9_mT8_S1C_bDpT10_ENKUlT_T0_E_clISt17integral_constantIbLb0EES1O_IbLb1EEEEDaS1K_S1L_EUlS1K_E_NS1_11comp_targetILNS1_3genE5ELNS1_11target_archE942ELNS1_3gpuE9ELNS1_3repE0EEENS1_30default_config_static_selectorELNS0_4arch9wavefront6targetE0EEEvSY_.num_named_barrier, 0
	.set _ZN7rocprim17ROCPRIM_400000_NS6detail17trampoline_kernelINS0_13select_configILj256ELj13ELNS0_17block_load_methodE3ELS4_3ELS4_3ELNS0_20block_scan_algorithmE0ELj4294967295EEENS1_25partition_config_selectorILNS1_17partition_subalgoE3EjNS0_10empty_typeEbEEZZNS1_14partition_implILS8_3ELb0ES6_jNS0_17counting_iteratorIjlEEPS9_SE_NS0_5tupleIJPjSE_EEENSF_IJSE_SE_EEES9_SG_JZNS1_25segmented_radix_sort_implINS0_14default_configELb1EPKiPiPKlPlN2at6native12_GLOBAL__N_18offset_tEEE10hipError_tPvRmT1_PNSt15iterator_traitsISY_E10value_typeET2_T3_PNSZ_IS14_E10value_typeET4_jRbjT5_S1A_jjP12ihipStream_tbEUljE_EEESV_SW_SX_S14_S18_S1A_T6_T7_T9_mT8_S1C_bDpT10_ENKUlT_T0_E_clISt17integral_constantIbLb0EES1O_IbLb1EEEEDaS1K_S1L_EUlS1K_E_NS1_11comp_targetILNS1_3genE5ELNS1_11target_archE942ELNS1_3gpuE9ELNS1_3repE0EEENS1_30default_config_static_selectorELNS0_4arch9wavefront6targetE0EEEvSY_.private_seg_size, 0
	.set _ZN7rocprim17ROCPRIM_400000_NS6detail17trampoline_kernelINS0_13select_configILj256ELj13ELNS0_17block_load_methodE3ELS4_3ELS4_3ELNS0_20block_scan_algorithmE0ELj4294967295EEENS1_25partition_config_selectorILNS1_17partition_subalgoE3EjNS0_10empty_typeEbEEZZNS1_14partition_implILS8_3ELb0ES6_jNS0_17counting_iteratorIjlEEPS9_SE_NS0_5tupleIJPjSE_EEENSF_IJSE_SE_EEES9_SG_JZNS1_25segmented_radix_sort_implINS0_14default_configELb1EPKiPiPKlPlN2at6native12_GLOBAL__N_18offset_tEEE10hipError_tPvRmT1_PNSt15iterator_traitsISY_E10value_typeET2_T3_PNSZ_IS14_E10value_typeET4_jRbjT5_S1A_jjP12ihipStream_tbEUljE_EEESV_SW_SX_S14_S18_S1A_T6_T7_T9_mT8_S1C_bDpT10_ENKUlT_T0_E_clISt17integral_constantIbLb0EES1O_IbLb1EEEEDaS1K_S1L_EUlS1K_E_NS1_11comp_targetILNS1_3genE5ELNS1_11target_archE942ELNS1_3gpuE9ELNS1_3repE0EEENS1_30default_config_static_selectorELNS0_4arch9wavefront6targetE0EEEvSY_.uses_vcc, 0
	.set _ZN7rocprim17ROCPRIM_400000_NS6detail17trampoline_kernelINS0_13select_configILj256ELj13ELNS0_17block_load_methodE3ELS4_3ELS4_3ELNS0_20block_scan_algorithmE0ELj4294967295EEENS1_25partition_config_selectorILNS1_17partition_subalgoE3EjNS0_10empty_typeEbEEZZNS1_14partition_implILS8_3ELb0ES6_jNS0_17counting_iteratorIjlEEPS9_SE_NS0_5tupleIJPjSE_EEENSF_IJSE_SE_EEES9_SG_JZNS1_25segmented_radix_sort_implINS0_14default_configELb1EPKiPiPKlPlN2at6native12_GLOBAL__N_18offset_tEEE10hipError_tPvRmT1_PNSt15iterator_traitsISY_E10value_typeET2_T3_PNSZ_IS14_E10value_typeET4_jRbjT5_S1A_jjP12ihipStream_tbEUljE_EEESV_SW_SX_S14_S18_S1A_T6_T7_T9_mT8_S1C_bDpT10_ENKUlT_T0_E_clISt17integral_constantIbLb0EES1O_IbLb1EEEEDaS1K_S1L_EUlS1K_E_NS1_11comp_targetILNS1_3genE5ELNS1_11target_archE942ELNS1_3gpuE9ELNS1_3repE0EEENS1_30default_config_static_selectorELNS0_4arch9wavefront6targetE0EEEvSY_.uses_flat_scratch, 0
	.set _ZN7rocprim17ROCPRIM_400000_NS6detail17trampoline_kernelINS0_13select_configILj256ELj13ELNS0_17block_load_methodE3ELS4_3ELS4_3ELNS0_20block_scan_algorithmE0ELj4294967295EEENS1_25partition_config_selectorILNS1_17partition_subalgoE3EjNS0_10empty_typeEbEEZZNS1_14partition_implILS8_3ELb0ES6_jNS0_17counting_iteratorIjlEEPS9_SE_NS0_5tupleIJPjSE_EEENSF_IJSE_SE_EEES9_SG_JZNS1_25segmented_radix_sort_implINS0_14default_configELb1EPKiPiPKlPlN2at6native12_GLOBAL__N_18offset_tEEE10hipError_tPvRmT1_PNSt15iterator_traitsISY_E10value_typeET2_T3_PNSZ_IS14_E10value_typeET4_jRbjT5_S1A_jjP12ihipStream_tbEUljE_EEESV_SW_SX_S14_S18_S1A_T6_T7_T9_mT8_S1C_bDpT10_ENKUlT_T0_E_clISt17integral_constantIbLb0EES1O_IbLb1EEEEDaS1K_S1L_EUlS1K_E_NS1_11comp_targetILNS1_3genE5ELNS1_11target_archE942ELNS1_3gpuE9ELNS1_3repE0EEENS1_30default_config_static_selectorELNS0_4arch9wavefront6targetE0EEEvSY_.has_dyn_sized_stack, 0
	.set _ZN7rocprim17ROCPRIM_400000_NS6detail17trampoline_kernelINS0_13select_configILj256ELj13ELNS0_17block_load_methodE3ELS4_3ELS4_3ELNS0_20block_scan_algorithmE0ELj4294967295EEENS1_25partition_config_selectorILNS1_17partition_subalgoE3EjNS0_10empty_typeEbEEZZNS1_14partition_implILS8_3ELb0ES6_jNS0_17counting_iteratorIjlEEPS9_SE_NS0_5tupleIJPjSE_EEENSF_IJSE_SE_EEES9_SG_JZNS1_25segmented_radix_sort_implINS0_14default_configELb1EPKiPiPKlPlN2at6native12_GLOBAL__N_18offset_tEEE10hipError_tPvRmT1_PNSt15iterator_traitsISY_E10value_typeET2_T3_PNSZ_IS14_E10value_typeET4_jRbjT5_S1A_jjP12ihipStream_tbEUljE_EEESV_SW_SX_S14_S18_S1A_T6_T7_T9_mT8_S1C_bDpT10_ENKUlT_T0_E_clISt17integral_constantIbLb0EES1O_IbLb1EEEEDaS1K_S1L_EUlS1K_E_NS1_11comp_targetILNS1_3genE5ELNS1_11target_archE942ELNS1_3gpuE9ELNS1_3repE0EEENS1_30default_config_static_selectorELNS0_4arch9wavefront6targetE0EEEvSY_.has_recursion, 0
	.set _ZN7rocprim17ROCPRIM_400000_NS6detail17trampoline_kernelINS0_13select_configILj256ELj13ELNS0_17block_load_methodE3ELS4_3ELS4_3ELNS0_20block_scan_algorithmE0ELj4294967295EEENS1_25partition_config_selectorILNS1_17partition_subalgoE3EjNS0_10empty_typeEbEEZZNS1_14partition_implILS8_3ELb0ES6_jNS0_17counting_iteratorIjlEEPS9_SE_NS0_5tupleIJPjSE_EEENSF_IJSE_SE_EEES9_SG_JZNS1_25segmented_radix_sort_implINS0_14default_configELb1EPKiPiPKlPlN2at6native12_GLOBAL__N_18offset_tEEE10hipError_tPvRmT1_PNSt15iterator_traitsISY_E10value_typeET2_T3_PNSZ_IS14_E10value_typeET4_jRbjT5_S1A_jjP12ihipStream_tbEUljE_EEESV_SW_SX_S14_S18_S1A_T6_T7_T9_mT8_S1C_bDpT10_ENKUlT_T0_E_clISt17integral_constantIbLb0EES1O_IbLb1EEEEDaS1K_S1L_EUlS1K_E_NS1_11comp_targetILNS1_3genE5ELNS1_11target_archE942ELNS1_3gpuE9ELNS1_3repE0EEENS1_30default_config_static_selectorELNS0_4arch9wavefront6targetE0EEEvSY_.has_indirect_call, 0
	.section	.AMDGPU.csdata,"",@progbits
; Kernel info:
; codeLenInByte = 0
; TotalNumSgprs: 0
; NumVgprs: 0
; ScratchSize: 0
; MemoryBound: 0
; FloatMode: 240
; IeeeMode: 1
; LDSByteSize: 0 bytes/workgroup (compile time only)
; SGPRBlocks: 0
; VGPRBlocks: 0
; NumSGPRsForWavesPerEU: 1
; NumVGPRsForWavesPerEU: 1
; Occupancy: 16
; WaveLimiterHint : 0
; COMPUTE_PGM_RSRC2:SCRATCH_EN: 0
; COMPUTE_PGM_RSRC2:USER_SGPR: 2
; COMPUTE_PGM_RSRC2:TRAP_HANDLER: 0
; COMPUTE_PGM_RSRC2:TGID_X_EN: 1
; COMPUTE_PGM_RSRC2:TGID_Y_EN: 0
; COMPUTE_PGM_RSRC2:TGID_Z_EN: 0
; COMPUTE_PGM_RSRC2:TIDIG_COMP_CNT: 0
	.section	.text._ZN7rocprim17ROCPRIM_400000_NS6detail17trampoline_kernelINS0_13select_configILj256ELj13ELNS0_17block_load_methodE3ELS4_3ELS4_3ELNS0_20block_scan_algorithmE0ELj4294967295EEENS1_25partition_config_selectorILNS1_17partition_subalgoE3EjNS0_10empty_typeEbEEZZNS1_14partition_implILS8_3ELb0ES6_jNS0_17counting_iteratorIjlEEPS9_SE_NS0_5tupleIJPjSE_EEENSF_IJSE_SE_EEES9_SG_JZNS1_25segmented_radix_sort_implINS0_14default_configELb1EPKiPiPKlPlN2at6native12_GLOBAL__N_18offset_tEEE10hipError_tPvRmT1_PNSt15iterator_traitsISY_E10value_typeET2_T3_PNSZ_IS14_E10value_typeET4_jRbjT5_S1A_jjP12ihipStream_tbEUljE_EEESV_SW_SX_S14_S18_S1A_T6_T7_T9_mT8_S1C_bDpT10_ENKUlT_T0_E_clISt17integral_constantIbLb0EES1O_IbLb1EEEEDaS1K_S1L_EUlS1K_E_NS1_11comp_targetILNS1_3genE4ELNS1_11target_archE910ELNS1_3gpuE8ELNS1_3repE0EEENS1_30default_config_static_selectorELNS0_4arch9wavefront6targetE0EEEvSY_,"axG",@progbits,_ZN7rocprim17ROCPRIM_400000_NS6detail17trampoline_kernelINS0_13select_configILj256ELj13ELNS0_17block_load_methodE3ELS4_3ELS4_3ELNS0_20block_scan_algorithmE0ELj4294967295EEENS1_25partition_config_selectorILNS1_17partition_subalgoE3EjNS0_10empty_typeEbEEZZNS1_14partition_implILS8_3ELb0ES6_jNS0_17counting_iteratorIjlEEPS9_SE_NS0_5tupleIJPjSE_EEENSF_IJSE_SE_EEES9_SG_JZNS1_25segmented_radix_sort_implINS0_14default_configELb1EPKiPiPKlPlN2at6native12_GLOBAL__N_18offset_tEEE10hipError_tPvRmT1_PNSt15iterator_traitsISY_E10value_typeET2_T3_PNSZ_IS14_E10value_typeET4_jRbjT5_S1A_jjP12ihipStream_tbEUljE_EEESV_SW_SX_S14_S18_S1A_T6_T7_T9_mT8_S1C_bDpT10_ENKUlT_T0_E_clISt17integral_constantIbLb0EES1O_IbLb1EEEEDaS1K_S1L_EUlS1K_E_NS1_11comp_targetILNS1_3genE4ELNS1_11target_archE910ELNS1_3gpuE8ELNS1_3repE0EEENS1_30default_config_static_selectorELNS0_4arch9wavefront6targetE0EEEvSY_,comdat
	.globl	_ZN7rocprim17ROCPRIM_400000_NS6detail17trampoline_kernelINS0_13select_configILj256ELj13ELNS0_17block_load_methodE3ELS4_3ELS4_3ELNS0_20block_scan_algorithmE0ELj4294967295EEENS1_25partition_config_selectorILNS1_17partition_subalgoE3EjNS0_10empty_typeEbEEZZNS1_14partition_implILS8_3ELb0ES6_jNS0_17counting_iteratorIjlEEPS9_SE_NS0_5tupleIJPjSE_EEENSF_IJSE_SE_EEES9_SG_JZNS1_25segmented_radix_sort_implINS0_14default_configELb1EPKiPiPKlPlN2at6native12_GLOBAL__N_18offset_tEEE10hipError_tPvRmT1_PNSt15iterator_traitsISY_E10value_typeET2_T3_PNSZ_IS14_E10value_typeET4_jRbjT5_S1A_jjP12ihipStream_tbEUljE_EEESV_SW_SX_S14_S18_S1A_T6_T7_T9_mT8_S1C_bDpT10_ENKUlT_T0_E_clISt17integral_constantIbLb0EES1O_IbLb1EEEEDaS1K_S1L_EUlS1K_E_NS1_11comp_targetILNS1_3genE4ELNS1_11target_archE910ELNS1_3gpuE8ELNS1_3repE0EEENS1_30default_config_static_selectorELNS0_4arch9wavefront6targetE0EEEvSY_ ; -- Begin function _ZN7rocprim17ROCPRIM_400000_NS6detail17trampoline_kernelINS0_13select_configILj256ELj13ELNS0_17block_load_methodE3ELS4_3ELS4_3ELNS0_20block_scan_algorithmE0ELj4294967295EEENS1_25partition_config_selectorILNS1_17partition_subalgoE3EjNS0_10empty_typeEbEEZZNS1_14partition_implILS8_3ELb0ES6_jNS0_17counting_iteratorIjlEEPS9_SE_NS0_5tupleIJPjSE_EEENSF_IJSE_SE_EEES9_SG_JZNS1_25segmented_radix_sort_implINS0_14default_configELb1EPKiPiPKlPlN2at6native12_GLOBAL__N_18offset_tEEE10hipError_tPvRmT1_PNSt15iterator_traitsISY_E10value_typeET2_T3_PNSZ_IS14_E10value_typeET4_jRbjT5_S1A_jjP12ihipStream_tbEUljE_EEESV_SW_SX_S14_S18_S1A_T6_T7_T9_mT8_S1C_bDpT10_ENKUlT_T0_E_clISt17integral_constantIbLb0EES1O_IbLb1EEEEDaS1K_S1L_EUlS1K_E_NS1_11comp_targetILNS1_3genE4ELNS1_11target_archE910ELNS1_3gpuE8ELNS1_3repE0EEENS1_30default_config_static_selectorELNS0_4arch9wavefront6targetE0EEEvSY_
	.p2align	8
	.type	_ZN7rocprim17ROCPRIM_400000_NS6detail17trampoline_kernelINS0_13select_configILj256ELj13ELNS0_17block_load_methodE3ELS4_3ELS4_3ELNS0_20block_scan_algorithmE0ELj4294967295EEENS1_25partition_config_selectorILNS1_17partition_subalgoE3EjNS0_10empty_typeEbEEZZNS1_14partition_implILS8_3ELb0ES6_jNS0_17counting_iteratorIjlEEPS9_SE_NS0_5tupleIJPjSE_EEENSF_IJSE_SE_EEES9_SG_JZNS1_25segmented_radix_sort_implINS0_14default_configELb1EPKiPiPKlPlN2at6native12_GLOBAL__N_18offset_tEEE10hipError_tPvRmT1_PNSt15iterator_traitsISY_E10value_typeET2_T3_PNSZ_IS14_E10value_typeET4_jRbjT5_S1A_jjP12ihipStream_tbEUljE_EEESV_SW_SX_S14_S18_S1A_T6_T7_T9_mT8_S1C_bDpT10_ENKUlT_T0_E_clISt17integral_constantIbLb0EES1O_IbLb1EEEEDaS1K_S1L_EUlS1K_E_NS1_11comp_targetILNS1_3genE4ELNS1_11target_archE910ELNS1_3gpuE8ELNS1_3repE0EEENS1_30default_config_static_selectorELNS0_4arch9wavefront6targetE0EEEvSY_,@function
_ZN7rocprim17ROCPRIM_400000_NS6detail17trampoline_kernelINS0_13select_configILj256ELj13ELNS0_17block_load_methodE3ELS4_3ELS4_3ELNS0_20block_scan_algorithmE0ELj4294967295EEENS1_25partition_config_selectorILNS1_17partition_subalgoE3EjNS0_10empty_typeEbEEZZNS1_14partition_implILS8_3ELb0ES6_jNS0_17counting_iteratorIjlEEPS9_SE_NS0_5tupleIJPjSE_EEENSF_IJSE_SE_EEES9_SG_JZNS1_25segmented_radix_sort_implINS0_14default_configELb1EPKiPiPKlPlN2at6native12_GLOBAL__N_18offset_tEEE10hipError_tPvRmT1_PNSt15iterator_traitsISY_E10value_typeET2_T3_PNSZ_IS14_E10value_typeET4_jRbjT5_S1A_jjP12ihipStream_tbEUljE_EEESV_SW_SX_S14_S18_S1A_T6_T7_T9_mT8_S1C_bDpT10_ENKUlT_T0_E_clISt17integral_constantIbLb0EES1O_IbLb1EEEEDaS1K_S1L_EUlS1K_E_NS1_11comp_targetILNS1_3genE4ELNS1_11target_archE910ELNS1_3gpuE8ELNS1_3repE0EEENS1_30default_config_static_selectorELNS0_4arch9wavefront6targetE0EEEvSY_: ; @_ZN7rocprim17ROCPRIM_400000_NS6detail17trampoline_kernelINS0_13select_configILj256ELj13ELNS0_17block_load_methodE3ELS4_3ELS4_3ELNS0_20block_scan_algorithmE0ELj4294967295EEENS1_25partition_config_selectorILNS1_17partition_subalgoE3EjNS0_10empty_typeEbEEZZNS1_14partition_implILS8_3ELb0ES6_jNS0_17counting_iteratorIjlEEPS9_SE_NS0_5tupleIJPjSE_EEENSF_IJSE_SE_EEES9_SG_JZNS1_25segmented_radix_sort_implINS0_14default_configELb1EPKiPiPKlPlN2at6native12_GLOBAL__N_18offset_tEEE10hipError_tPvRmT1_PNSt15iterator_traitsISY_E10value_typeET2_T3_PNSZ_IS14_E10value_typeET4_jRbjT5_S1A_jjP12ihipStream_tbEUljE_EEESV_SW_SX_S14_S18_S1A_T6_T7_T9_mT8_S1C_bDpT10_ENKUlT_T0_E_clISt17integral_constantIbLb0EES1O_IbLb1EEEEDaS1K_S1L_EUlS1K_E_NS1_11comp_targetILNS1_3genE4ELNS1_11target_archE910ELNS1_3gpuE8ELNS1_3repE0EEENS1_30default_config_static_selectorELNS0_4arch9wavefront6targetE0EEEvSY_
; %bb.0:
	.section	.rodata,"a",@progbits
	.p2align	6, 0x0
	.amdhsa_kernel _ZN7rocprim17ROCPRIM_400000_NS6detail17trampoline_kernelINS0_13select_configILj256ELj13ELNS0_17block_load_methodE3ELS4_3ELS4_3ELNS0_20block_scan_algorithmE0ELj4294967295EEENS1_25partition_config_selectorILNS1_17partition_subalgoE3EjNS0_10empty_typeEbEEZZNS1_14partition_implILS8_3ELb0ES6_jNS0_17counting_iteratorIjlEEPS9_SE_NS0_5tupleIJPjSE_EEENSF_IJSE_SE_EEES9_SG_JZNS1_25segmented_radix_sort_implINS0_14default_configELb1EPKiPiPKlPlN2at6native12_GLOBAL__N_18offset_tEEE10hipError_tPvRmT1_PNSt15iterator_traitsISY_E10value_typeET2_T3_PNSZ_IS14_E10value_typeET4_jRbjT5_S1A_jjP12ihipStream_tbEUljE_EEESV_SW_SX_S14_S18_S1A_T6_T7_T9_mT8_S1C_bDpT10_ENKUlT_T0_E_clISt17integral_constantIbLb0EES1O_IbLb1EEEEDaS1K_S1L_EUlS1K_E_NS1_11comp_targetILNS1_3genE4ELNS1_11target_archE910ELNS1_3gpuE8ELNS1_3repE0EEENS1_30default_config_static_selectorELNS0_4arch9wavefront6targetE0EEEvSY_
		.amdhsa_group_segment_fixed_size 0
		.amdhsa_private_segment_fixed_size 0
		.amdhsa_kernarg_size 152
		.amdhsa_user_sgpr_count 2
		.amdhsa_user_sgpr_dispatch_ptr 0
		.amdhsa_user_sgpr_queue_ptr 0
		.amdhsa_user_sgpr_kernarg_segment_ptr 1
		.amdhsa_user_sgpr_dispatch_id 0
		.amdhsa_user_sgpr_private_segment_size 0
		.amdhsa_wavefront_size32 1
		.amdhsa_uses_dynamic_stack 0
		.amdhsa_enable_private_segment 0
		.amdhsa_system_sgpr_workgroup_id_x 1
		.amdhsa_system_sgpr_workgroup_id_y 0
		.amdhsa_system_sgpr_workgroup_id_z 0
		.amdhsa_system_sgpr_workgroup_info 0
		.amdhsa_system_vgpr_workitem_id 0
		.amdhsa_next_free_vgpr 1
		.amdhsa_next_free_sgpr 1
		.amdhsa_reserve_vcc 0
		.amdhsa_float_round_mode_32 0
		.amdhsa_float_round_mode_16_64 0
		.amdhsa_float_denorm_mode_32 3
		.amdhsa_float_denorm_mode_16_64 3
		.amdhsa_fp16_overflow 0
		.amdhsa_workgroup_processor_mode 1
		.amdhsa_memory_ordered 1
		.amdhsa_forward_progress 1
		.amdhsa_inst_pref_size 0
		.amdhsa_round_robin_scheduling 0
		.amdhsa_exception_fp_ieee_invalid_op 0
		.amdhsa_exception_fp_denorm_src 0
		.amdhsa_exception_fp_ieee_div_zero 0
		.amdhsa_exception_fp_ieee_overflow 0
		.amdhsa_exception_fp_ieee_underflow 0
		.amdhsa_exception_fp_ieee_inexact 0
		.amdhsa_exception_int_div_zero 0
	.end_amdhsa_kernel
	.section	.text._ZN7rocprim17ROCPRIM_400000_NS6detail17trampoline_kernelINS0_13select_configILj256ELj13ELNS0_17block_load_methodE3ELS4_3ELS4_3ELNS0_20block_scan_algorithmE0ELj4294967295EEENS1_25partition_config_selectorILNS1_17partition_subalgoE3EjNS0_10empty_typeEbEEZZNS1_14partition_implILS8_3ELb0ES6_jNS0_17counting_iteratorIjlEEPS9_SE_NS0_5tupleIJPjSE_EEENSF_IJSE_SE_EEES9_SG_JZNS1_25segmented_radix_sort_implINS0_14default_configELb1EPKiPiPKlPlN2at6native12_GLOBAL__N_18offset_tEEE10hipError_tPvRmT1_PNSt15iterator_traitsISY_E10value_typeET2_T3_PNSZ_IS14_E10value_typeET4_jRbjT5_S1A_jjP12ihipStream_tbEUljE_EEESV_SW_SX_S14_S18_S1A_T6_T7_T9_mT8_S1C_bDpT10_ENKUlT_T0_E_clISt17integral_constantIbLb0EES1O_IbLb1EEEEDaS1K_S1L_EUlS1K_E_NS1_11comp_targetILNS1_3genE4ELNS1_11target_archE910ELNS1_3gpuE8ELNS1_3repE0EEENS1_30default_config_static_selectorELNS0_4arch9wavefront6targetE0EEEvSY_,"axG",@progbits,_ZN7rocprim17ROCPRIM_400000_NS6detail17trampoline_kernelINS0_13select_configILj256ELj13ELNS0_17block_load_methodE3ELS4_3ELS4_3ELNS0_20block_scan_algorithmE0ELj4294967295EEENS1_25partition_config_selectorILNS1_17partition_subalgoE3EjNS0_10empty_typeEbEEZZNS1_14partition_implILS8_3ELb0ES6_jNS0_17counting_iteratorIjlEEPS9_SE_NS0_5tupleIJPjSE_EEENSF_IJSE_SE_EEES9_SG_JZNS1_25segmented_radix_sort_implINS0_14default_configELb1EPKiPiPKlPlN2at6native12_GLOBAL__N_18offset_tEEE10hipError_tPvRmT1_PNSt15iterator_traitsISY_E10value_typeET2_T3_PNSZ_IS14_E10value_typeET4_jRbjT5_S1A_jjP12ihipStream_tbEUljE_EEESV_SW_SX_S14_S18_S1A_T6_T7_T9_mT8_S1C_bDpT10_ENKUlT_T0_E_clISt17integral_constantIbLb0EES1O_IbLb1EEEEDaS1K_S1L_EUlS1K_E_NS1_11comp_targetILNS1_3genE4ELNS1_11target_archE910ELNS1_3gpuE8ELNS1_3repE0EEENS1_30default_config_static_selectorELNS0_4arch9wavefront6targetE0EEEvSY_,comdat
.Lfunc_end491:
	.size	_ZN7rocprim17ROCPRIM_400000_NS6detail17trampoline_kernelINS0_13select_configILj256ELj13ELNS0_17block_load_methodE3ELS4_3ELS4_3ELNS0_20block_scan_algorithmE0ELj4294967295EEENS1_25partition_config_selectorILNS1_17partition_subalgoE3EjNS0_10empty_typeEbEEZZNS1_14partition_implILS8_3ELb0ES6_jNS0_17counting_iteratorIjlEEPS9_SE_NS0_5tupleIJPjSE_EEENSF_IJSE_SE_EEES9_SG_JZNS1_25segmented_radix_sort_implINS0_14default_configELb1EPKiPiPKlPlN2at6native12_GLOBAL__N_18offset_tEEE10hipError_tPvRmT1_PNSt15iterator_traitsISY_E10value_typeET2_T3_PNSZ_IS14_E10value_typeET4_jRbjT5_S1A_jjP12ihipStream_tbEUljE_EEESV_SW_SX_S14_S18_S1A_T6_T7_T9_mT8_S1C_bDpT10_ENKUlT_T0_E_clISt17integral_constantIbLb0EES1O_IbLb1EEEEDaS1K_S1L_EUlS1K_E_NS1_11comp_targetILNS1_3genE4ELNS1_11target_archE910ELNS1_3gpuE8ELNS1_3repE0EEENS1_30default_config_static_selectorELNS0_4arch9wavefront6targetE0EEEvSY_, .Lfunc_end491-_ZN7rocprim17ROCPRIM_400000_NS6detail17trampoline_kernelINS0_13select_configILj256ELj13ELNS0_17block_load_methodE3ELS4_3ELS4_3ELNS0_20block_scan_algorithmE0ELj4294967295EEENS1_25partition_config_selectorILNS1_17partition_subalgoE3EjNS0_10empty_typeEbEEZZNS1_14partition_implILS8_3ELb0ES6_jNS0_17counting_iteratorIjlEEPS9_SE_NS0_5tupleIJPjSE_EEENSF_IJSE_SE_EEES9_SG_JZNS1_25segmented_radix_sort_implINS0_14default_configELb1EPKiPiPKlPlN2at6native12_GLOBAL__N_18offset_tEEE10hipError_tPvRmT1_PNSt15iterator_traitsISY_E10value_typeET2_T3_PNSZ_IS14_E10value_typeET4_jRbjT5_S1A_jjP12ihipStream_tbEUljE_EEESV_SW_SX_S14_S18_S1A_T6_T7_T9_mT8_S1C_bDpT10_ENKUlT_T0_E_clISt17integral_constantIbLb0EES1O_IbLb1EEEEDaS1K_S1L_EUlS1K_E_NS1_11comp_targetILNS1_3genE4ELNS1_11target_archE910ELNS1_3gpuE8ELNS1_3repE0EEENS1_30default_config_static_selectorELNS0_4arch9wavefront6targetE0EEEvSY_
                                        ; -- End function
	.set _ZN7rocprim17ROCPRIM_400000_NS6detail17trampoline_kernelINS0_13select_configILj256ELj13ELNS0_17block_load_methodE3ELS4_3ELS4_3ELNS0_20block_scan_algorithmE0ELj4294967295EEENS1_25partition_config_selectorILNS1_17partition_subalgoE3EjNS0_10empty_typeEbEEZZNS1_14partition_implILS8_3ELb0ES6_jNS0_17counting_iteratorIjlEEPS9_SE_NS0_5tupleIJPjSE_EEENSF_IJSE_SE_EEES9_SG_JZNS1_25segmented_radix_sort_implINS0_14default_configELb1EPKiPiPKlPlN2at6native12_GLOBAL__N_18offset_tEEE10hipError_tPvRmT1_PNSt15iterator_traitsISY_E10value_typeET2_T3_PNSZ_IS14_E10value_typeET4_jRbjT5_S1A_jjP12ihipStream_tbEUljE_EEESV_SW_SX_S14_S18_S1A_T6_T7_T9_mT8_S1C_bDpT10_ENKUlT_T0_E_clISt17integral_constantIbLb0EES1O_IbLb1EEEEDaS1K_S1L_EUlS1K_E_NS1_11comp_targetILNS1_3genE4ELNS1_11target_archE910ELNS1_3gpuE8ELNS1_3repE0EEENS1_30default_config_static_selectorELNS0_4arch9wavefront6targetE0EEEvSY_.num_vgpr, 0
	.set _ZN7rocprim17ROCPRIM_400000_NS6detail17trampoline_kernelINS0_13select_configILj256ELj13ELNS0_17block_load_methodE3ELS4_3ELS4_3ELNS0_20block_scan_algorithmE0ELj4294967295EEENS1_25partition_config_selectorILNS1_17partition_subalgoE3EjNS0_10empty_typeEbEEZZNS1_14partition_implILS8_3ELb0ES6_jNS0_17counting_iteratorIjlEEPS9_SE_NS0_5tupleIJPjSE_EEENSF_IJSE_SE_EEES9_SG_JZNS1_25segmented_radix_sort_implINS0_14default_configELb1EPKiPiPKlPlN2at6native12_GLOBAL__N_18offset_tEEE10hipError_tPvRmT1_PNSt15iterator_traitsISY_E10value_typeET2_T3_PNSZ_IS14_E10value_typeET4_jRbjT5_S1A_jjP12ihipStream_tbEUljE_EEESV_SW_SX_S14_S18_S1A_T6_T7_T9_mT8_S1C_bDpT10_ENKUlT_T0_E_clISt17integral_constantIbLb0EES1O_IbLb1EEEEDaS1K_S1L_EUlS1K_E_NS1_11comp_targetILNS1_3genE4ELNS1_11target_archE910ELNS1_3gpuE8ELNS1_3repE0EEENS1_30default_config_static_selectorELNS0_4arch9wavefront6targetE0EEEvSY_.num_agpr, 0
	.set _ZN7rocprim17ROCPRIM_400000_NS6detail17trampoline_kernelINS0_13select_configILj256ELj13ELNS0_17block_load_methodE3ELS4_3ELS4_3ELNS0_20block_scan_algorithmE0ELj4294967295EEENS1_25partition_config_selectorILNS1_17partition_subalgoE3EjNS0_10empty_typeEbEEZZNS1_14partition_implILS8_3ELb0ES6_jNS0_17counting_iteratorIjlEEPS9_SE_NS0_5tupleIJPjSE_EEENSF_IJSE_SE_EEES9_SG_JZNS1_25segmented_radix_sort_implINS0_14default_configELb1EPKiPiPKlPlN2at6native12_GLOBAL__N_18offset_tEEE10hipError_tPvRmT1_PNSt15iterator_traitsISY_E10value_typeET2_T3_PNSZ_IS14_E10value_typeET4_jRbjT5_S1A_jjP12ihipStream_tbEUljE_EEESV_SW_SX_S14_S18_S1A_T6_T7_T9_mT8_S1C_bDpT10_ENKUlT_T0_E_clISt17integral_constantIbLb0EES1O_IbLb1EEEEDaS1K_S1L_EUlS1K_E_NS1_11comp_targetILNS1_3genE4ELNS1_11target_archE910ELNS1_3gpuE8ELNS1_3repE0EEENS1_30default_config_static_selectorELNS0_4arch9wavefront6targetE0EEEvSY_.numbered_sgpr, 0
	.set _ZN7rocprim17ROCPRIM_400000_NS6detail17trampoline_kernelINS0_13select_configILj256ELj13ELNS0_17block_load_methodE3ELS4_3ELS4_3ELNS0_20block_scan_algorithmE0ELj4294967295EEENS1_25partition_config_selectorILNS1_17partition_subalgoE3EjNS0_10empty_typeEbEEZZNS1_14partition_implILS8_3ELb0ES6_jNS0_17counting_iteratorIjlEEPS9_SE_NS0_5tupleIJPjSE_EEENSF_IJSE_SE_EEES9_SG_JZNS1_25segmented_radix_sort_implINS0_14default_configELb1EPKiPiPKlPlN2at6native12_GLOBAL__N_18offset_tEEE10hipError_tPvRmT1_PNSt15iterator_traitsISY_E10value_typeET2_T3_PNSZ_IS14_E10value_typeET4_jRbjT5_S1A_jjP12ihipStream_tbEUljE_EEESV_SW_SX_S14_S18_S1A_T6_T7_T9_mT8_S1C_bDpT10_ENKUlT_T0_E_clISt17integral_constantIbLb0EES1O_IbLb1EEEEDaS1K_S1L_EUlS1K_E_NS1_11comp_targetILNS1_3genE4ELNS1_11target_archE910ELNS1_3gpuE8ELNS1_3repE0EEENS1_30default_config_static_selectorELNS0_4arch9wavefront6targetE0EEEvSY_.num_named_barrier, 0
	.set _ZN7rocprim17ROCPRIM_400000_NS6detail17trampoline_kernelINS0_13select_configILj256ELj13ELNS0_17block_load_methodE3ELS4_3ELS4_3ELNS0_20block_scan_algorithmE0ELj4294967295EEENS1_25partition_config_selectorILNS1_17partition_subalgoE3EjNS0_10empty_typeEbEEZZNS1_14partition_implILS8_3ELb0ES6_jNS0_17counting_iteratorIjlEEPS9_SE_NS0_5tupleIJPjSE_EEENSF_IJSE_SE_EEES9_SG_JZNS1_25segmented_radix_sort_implINS0_14default_configELb1EPKiPiPKlPlN2at6native12_GLOBAL__N_18offset_tEEE10hipError_tPvRmT1_PNSt15iterator_traitsISY_E10value_typeET2_T3_PNSZ_IS14_E10value_typeET4_jRbjT5_S1A_jjP12ihipStream_tbEUljE_EEESV_SW_SX_S14_S18_S1A_T6_T7_T9_mT8_S1C_bDpT10_ENKUlT_T0_E_clISt17integral_constantIbLb0EES1O_IbLb1EEEEDaS1K_S1L_EUlS1K_E_NS1_11comp_targetILNS1_3genE4ELNS1_11target_archE910ELNS1_3gpuE8ELNS1_3repE0EEENS1_30default_config_static_selectorELNS0_4arch9wavefront6targetE0EEEvSY_.private_seg_size, 0
	.set _ZN7rocprim17ROCPRIM_400000_NS6detail17trampoline_kernelINS0_13select_configILj256ELj13ELNS0_17block_load_methodE3ELS4_3ELS4_3ELNS0_20block_scan_algorithmE0ELj4294967295EEENS1_25partition_config_selectorILNS1_17partition_subalgoE3EjNS0_10empty_typeEbEEZZNS1_14partition_implILS8_3ELb0ES6_jNS0_17counting_iteratorIjlEEPS9_SE_NS0_5tupleIJPjSE_EEENSF_IJSE_SE_EEES9_SG_JZNS1_25segmented_radix_sort_implINS0_14default_configELb1EPKiPiPKlPlN2at6native12_GLOBAL__N_18offset_tEEE10hipError_tPvRmT1_PNSt15iterator_traitsISY_E10value_typeET2_T3_PNSZ_IS14_E10value_typeET4_jRbjT5_S1A_jjP12ihipStream_tbEUljE_EEESV_SW_SX_S14_S18_S1A_T6_T7_T9_mT8_S1C_bDpT10_ENKUlT_T0_E_clISt17integral_constantIbLb0EES1O_IbLb1EEEEDaS1K_S1L_EUlS1K_E_NS1_11comp_targetILNS1_3genE4ELNS1_11target_archE910ELNS1_3gpuE8ELNS1_3repE0EEENS1_30default_config_static_selectorELNS0_4arch9wavefront6targetE0EEEvSY_.uses_vcc, 0
	.set _ZN7rocprim17ROCPRIM_400000_NS6detail17trampoline_kernelINS0_13select_configILj256ELj13ELNS0_17block_load_methodE3ELS4_3ELS4_3ELNS0_20block_scan_algorithmE0ELj4294967295EEENS1_25partition_config_selectorILNS1_17partition_subalgoE3EjNS0_10empty_typeEbEEZZNS1_14partition_implILS8_3ELb0ES6_jNS0_17counting_iteratorIjlEEPS9_SE_NS0_5tupleIJPjSE_EEENSF_IJSE_SE_EEES9_SG_JZNS1_25segmented_radix_sort_implINS0_14default_configELb1EPKiPiPKlPlN2at6native12_GLOBAL__N_18offset_tEEE10hipError_tPvRmT1_PNSt15iterator_traitsISY_E10value_typeET2_T3_PNSZ_IS14_E10value_typeET4_jRbjT5_S1A_jjP12ihipStream_tbEUljE_EEESV_SW_SX_S14_S18_S1A_T6_T7_T9_mT8_S1C_bDpT10_ENKUlT_T0_E_clISt17integral_constantIbLb0EES1O_IbLb1EEEEDaS1K_S1L_EUlS1K_E_NS1_11comp_targetILNS1_3genE4ELNS1_11target_archE910ELNS1_3gpuE8ELNS1_3repE0EEENS1_30default_config_static_selectorELNS0_4arch9wavefront6targetE0EEEvSY_.uses_flat_scratch, 0
	.set _ZN7rocprim17ROCPRIM_400000_NS6detail17trampoline_kernelINS0_13select_configILj256ELj13ELNS0_17block_load_methodE3ELS4_3ELS4_3ELNS0_20block_scan_algorithmE0ELj4294967295EEENS1_25partition_config_selectorILNS1_17partition_subalgoE3EjNS0_10empty_typeEbEEZZNS1_14partition_implILS8_3ELb0ES6_jNS0_17counting_iteratorIjlEEPS9_SE_NS0_5tupleIJPjSE_EEENSF_IJSE_SE_EEES9_SG_JZNS1_25segmented_radix_sort_implINS0_14default_configELb1EPKiPiPKlPlN2at6native12_GLOBAL__N_18offset_tEEE10hipError_tPvRmT1_PNSt15iterator_traitsISY_E10value_typeET2_T3_PNSZ_IS14_E10value_typeET4_jRbjT5_S1A_jjP12ihipStream_tbEUljE_EEESV_SW_SX_S14_S18_S1A_T6_T7_T9_mT8_S1C_bDpT10_ENKUlT_T0_E_clISt17integral_constantIbLb0EES1O_IbLb1EEEEDaS1K_S1L_EUlS1K_E_NS1_11comp_targetILNS1_3genE4ELNS1_11target_archE910ELNS1_3gpuE8ELNS1_3repE0EEENS1_30default_config_static_selectorELNS0_4arch9wavefront6targetE0EEEvSY_.has_dyn_sized_stack, 0
	.set _ZN7rocprim17ROCPRIM_400000_NS6detail17trampoline_kernelINS0_13select_configILj256ELj13ELNS0_17block_load_methodE3ELS4_3ELS4_3ELNS0_20block_scan_algorithmE0ELj4294967295EEENS1_25partition_config_selectorILNS1_17partition_subalgoE3EjNS0_10empty_typeEbEEZZNS1_14partition_implILS8_3ELb0ES6_jNS0_17counting_iteratorIjlEEPS9_SE_NS0_5tupleIJPjSE_EEENSF_IJSE_SE_EEES9_SG_JZNS1_25segmented_radix_sort_implINS0_14default_configELb1EPKiPiPKlPlN2at6native12_GLOBAL__N_18offset_tEEE10hipError_tPvRmT1_PNSt15iterator_traitsISY_E10value_typeET2_T3_PNSZ_IS14_E10value_typeET4_jRbjT5_S1A_jjP12ihipStream_tbEUljE_EEESV_SW_SX_S14_S18_S1A_T6_T7_T9_mT8_S1C_bDpT10_ENKUlT_T0_E_clISt17integral_constantIbLb0EES1O_IbLb1EEEEDaS1K_S1L_EUlS1K_E_NS1_11comp_targetILNS1_3genE4ELNS1_11target_archE910ELNS1_3gpuE8ELNS1_3repE0EEENS1_30default_config_static_selectorELNS0_4arch9wavefront6targetE0EEEvSY_.has_recursion, 0
	.set _ZN7rocprim17ROCPRIM_400000_NS6detail17trampoline_kernelINS0_13select_configILj256ELj13ELNS0_17block_load_methodE3ELS4_3ELS4_3ELNS0_20block_scan_algorithmE0ELj4294967295EEENS1_25partition_config_selectorILNS1_17partition_subalgoE3EjNS0_10empty_typeEbEEZZNS1_14partition_implILS8_3ELb0ES6_jNS0_17counting_iteratorIjlEEPS9_SE_NS0_5tupleIJPjSE_EEENSF_IJSE_SE_EEES9_SG_JZNS1_25segmented_radix_sort_implINS0_14default_configELb1EPKiPiPKlPlN2at6native12_GLOBAL__N_18offset_tEEE10hipError_tPvRmT1_PNSt15iterator_traitsISY_E10value_typeET2_T3_PNSZ_IS14_E10value_typeET4_jRbjT5_S1A_jjP12ihipStream_tbEUljE_EEESV_SW_SX_S14_S18_S1A_T6_T7_T9_mT8_S1C_bDpT10_ENKUlT_T0_E_clISt17integral_constantIbLb0EES1O_IbLb1EEEEDaS1K_S1L_EUlS1K_E_NS1_11comp_targetILNS1_3genE4ELNS1_11target_archE910ELNS1_3gpuE8ELNS1_3repE0EEENS1_30default_config_static_selectorELNS0_4arch9wavefront6targetE0EEEvSY_.has_indirect_call, 0
	.section	.AMDGPU.csdata,"",@progbits
; Kernel info:
; codeLenInByte = 0
; TotalNumSgprs: 0
; NumVgprs: 0
; ScratchSize: 0
; MemoryBound: 0
; FloatMode: 240
; IeeeMode: 1
; LDSByteSize: 0 bytes/workgroup (compile time only)
; SGPRBlocks: 0
; VGPRBlocks: 0
; NumSGPRsForWavesPerEU: 1
; NumVGPRsForWavesPerEU: 1
; Occupancy: 16
; WaveLimiterHint : 0
; COMPUTE_PGM_RSRC2:SCRATCH_EN: 0
; COMPUTE_PGM_RSRC2:USER_SGPR: 2
; COMPUTE_PGM_RSRC2:TRAP_HANDLER: 0
; COMPUTE_PGM_RSRC2:TGID_X_EN: 1
; COMPUTE_PGM_RSRC2:TGID_Y_EN: 0
; COMPUTE_PGM_RSRC2:TGID_Z_EN: 0
; COMPUTE_PGM_RSRC2:TIDIG_COMP_CNT: 0
	.section	.text._ZN7rocprim17ROCPRIM_400000_NS6detail17trampoline_kernelINS0_13select_configILj256ELj13ELNS0_17block_load_methodE3ELS4_3ELS4_3ELNS0_20block_scan_algorithmE0ELj4294967295EEENS1_25partition_config_selectorILNS1_17partition_subalgoE3EjNS0_10empty_typeEbEEZZNS1_14partition_implILS8_3ELb0ES6_jNS0_17counting_iteratorIjlEEPS9_SE_NS0_5tupleIJPjSE_EEENSF_IJSE_SE_EEES9_SG_JZNS1_25segmented_radix_sort_implINS0_14default_configELb1EPKiPiPKlPlN2at6native12_GLOBAL__N_18offset_tEEE10hipError_tPvRmT1_PNSt15iterator_traitsISY_E10value_typeET2_T3_PNSZ_IS14_E10value_typeET4_jRbjT5_S1A_jjP12ihipStream_tbEUljE_EEESV_SW_SX_S14_S18_S1A_T6_T7_T9_mT8_S1C_bDpT10_ENKUlT_T0_E_clISt17integral_constantIbLb0EES1O_IbLb1EEEEDaS1K_S1L_EUlS1K_E_NS1_11comp_targetILNS1_3genE3ELNS1_11target_archE908ELNS1_3gpuE7ELNS1_3repE0EEENS1_30default_config_static_selectorELNS0_4arch9wavefront6targetE0EEEvSY_,"axG",@progbits,_ZN7rocprim17ROCPRIM_400000_NS6detail17trampoline_kernelINS0_13select_configILj256ELj13ELNS0_17block_load_methodE3ELS4_3ELS4_3ELNS0_20block_scan_algorithmE0ELj4294967295EEENS1_25partition_config_selectorILNS1_17partition_subalgoE3EjNS0_10empty_typeEbEEZZNS1_14partition_implILS8_3ELb0ES6_jNS0_17counting_iteratorIjlEEPS9_SE_NS0_5tupleIJPjSE_EEENSF_IJSE_SE_EEES9_SG_JZNS1_25segmented_radix_sort_implINS0_14default_configELb1EPKiPiPKlPlN2at6native12_GLOBAL__N_18offset_tEEE10hipError_tPvRmT1_PNSt15iterator_traitsISY_E10value_typeET2_T3_PNSZ_IS14_E10value_typeET4_jRbjT5_S1A_jjP12ihipStream_tbEUljE_EEESV_SW_SX_S14_S18_S1A_T6_T7_T9_mT8_S1C_bDpT10_ENKUlT_T0_E_clISt17integral_constantIbLb0EES1O_IbLb1EEEEDaS1K_S1L_EUlS1K_E_NS1_11comp_targetILNS1_3genE3ELNS1_11target_archE908ELNS1_3gpuE7ELNS1_3repE0EEENS1_30default_config_static_selectorELNS0_4arch9wavefront6targetE0EEEvSY_,comdat
	.globl	_ZN7rocprim17ROCPRIM_400000_NS6detail17trampoline_kernelINS0_13select_configILj256ELj13ELNS0_17block_load_methodE3ELS4_3ELS4_3ELNS0_20block_scan_algorithmE0ELj4294967295EEENS1_25partition_config_selectorILNS1_17partition_subalgoE3EjNS0_10empty_typeEbEEZZNS1_14partition_implILS8_3ELb0ES6_jNS0_17counting_iteratorIjlEEPS9_SE_NS0_5tupleIJPjSE_EEENSF_IJSE_SE_EEES9_SG_JZNS1_25segmented_radix_sort_implINS0_14default_configELb1EPKiPiPKlPlN2at6native12_GLOBAL__N_18offset_tEEE10hipError_tPvRmT1_PNSt15iterator_traitsISY_E10value_typeET2_T3_PNSZ_IS14_E10value_typeET4_jRbjT5_S1A_jjP12ihipStream_tbEUljE_EEESV_SW_SX_S14_S18_S1A_T6_T7_T9_mT8_S1C_bDpT10_ENKUlT_T0_E_clISt17integral_constantIbLb0EES1O_IbLb1EEEEDaS1K_S1L_EUlS1K_E_NS1_11comp_targetILNS1_3genE3ELNS1_11target_archE908ELNS1_3gpuE7ELNS1_3repE0EEENS1_30default_config_static_selectorELNS0_4arch9wavefront6targetE0EEEvSY_ ; -- Begin function _ZN7rocprim17ROCPRIM_400000_NS6detail17trampoline_kernelINS0_13select_configILj256ELj13ELNS0_17block_load_methodE3ELS4_3ELS4_3ELNS0_20block_scan_algorithmE0ELj4294967295EEENS1_25partition_config_selectorILNS1_17partition_subalgoE3EjNS0_10empty_typeEbEEZZNS1_14partition_implILS8_3ELb0ES6_jNS0_17counting_iteratorIjlEEPS9_SE_NS0_5tupleIJPjSE_EEENSF_IJSE_SE_EEES9_SG_JZNS1_25segmented_radix_sort_implINS0_14default_configELb1EPKiPiPKlPlN2at6native12_GLOBAL__N_18offset_tEEE10hipError_tPvRmT1_PNSt15iterator_traitsISY_E10value_typeET2_T3_PNSZ_IS14_E10value_typeET4_jRbjT5_S1A_jjP12ihipStream_tbEUljE_EEESV_SW_SX_S14_S18_S1A_T6_T7_T9_mT8_S1C_bDpT10_ENKUlT_T0_E_clISt17integral_constantIbLb0EES1O_IbLb1EEEEDaS1K_S1L_EUlS1K_E_NS1_11comp_targetILNS1_3genE3ELNS1_11target_archE908ELNS1_3gpuE7ELNS1_3repE0EEENS1_30default_config_static_selectorELNS0_4arch9wavefront6targetE0EEEvSY_
	.p2align	8
	.type	_ZN7rocprim17ROCPRIM_400000_NS6detail17trampoline_kernelINS0_13select_configILj256ELj13ELNS0_17block_load_methodE3ELS4_3ELS4_3ELNS0_20block_scan_algorithmE0ELj4294967295EEENS1_25partition_config_selectorILNS1_17partition_subalgoE3EjNS0_10empty_typeEbEEZZNS1_14partition_implILS8_3ELb0ES6_jNS0_17counting_iteratorIjlEEPS9_SE_NS0_5tupleIJPjSE_EEENSF_IJSE_SE_EEES9_SG_JZNS1_25segmented_radix_sort_implINS0_14default_configELb1EPKiPiPKlPlN2at6native12_GLOBAL__N_18offset_tEEE10hipError_tPvRmT1_PNSt15iterator_traitsISY_E10value_typeET2_T3_PNSZ_IS14_E10value_typeET4_jRbjT5_S1A_jjP12ihipStream_tbEUljE_EEESV_SW_SX_S14_S18_S1A_T6_T7_T9_mT8_S1C_bDpT10_ENKUlT_T0_E_clISt17integral_constantIbLb0EES1O_IbLb1EEEEDaS1K_S1L_EUlS1K_E_NS1_11comp_targetILNS1_3genE3ELNS1_11target_archE908ELNS1_3gpuE7ELNS1_3repE0EEENS1_30default_config_static_selectorELNS0_4arch9wavefront6targetE0EEEvSY_,@function
_ZN7rocprim17ROCPRIM_400000_NS6detail17trampoline_kernelINS0_13select_configILj256ELj13ELNS0_17block_load_methodE3ELS4_3ELS4_3ELNS0_20block_scan_algorithmE0ELj4294967295EEENS1_25partition_config_selectorILNS1_17partition_subalgoE3EjNS0_10empty_typeEbEEZZNS1_14partition_implILS8_3ELb0ES6_jNS0_17counting_iteratorIjlEEPS9_SE_NS0_5tupleIJPjSE_EEENSF_IJSE_SE_EEES9_SG_JZNS1_25segmented_radix_sort_implINS0_14default_configELb1EPKiPiPKlPlN2at6native12_GLOBAL__N_18offset_tEEE10hipError_tPvRmT1_PNSt15iterator_traitsISY_E10value_typeET2_T3_PNSZ_IS14_E10value_typeET4_jRbjT5_S1A_jjP12ihipStream_tbEUljE_EEESV_SW_SX_S14_S18_S1A_T6_T7_T9_mT8_S1C_bDpT10_ENKUlT_T0_E_clISt17integral_constantIbLb0EES1O_IbLb1EEEEDaS1K_S1L_EUlS1K_E_NS1_11comp_targetILNS1_3genE3ELNS1_11target_archE908ELNS1_3gpuE7ELNS1_3repE0EEENS1_30default_config_static_selectorELNS0_4arch9wavefront6targetE0EEEvSY_: ; @_ZN7rocprim17ROCPRIM_400000_NS6detail17trampoline_kernelINS0_13select_configILj256ELj13ELNS0_17block_load_methodE3ELS4_3ELS4_3ELNS0_20block_scan_algorithmE0ELj4294967295EEENS1_25partition_config_selectorILNS1_17partition_subalgoE3EjNS0_10empty_typeEbEEZZNS1_14partition_implILS8_3ELb0ES6_jNS0_17counting_iteratorIjlEEPS9_SE_NS0_5tupleIJPjSE_EEENSF_IJSE_SE_EEES9_SG_JZNS1_25segmented_radix_sort_implINS0_14default_configELb1EPKiPiPKlPlN2at6native12_GLOBAL__N_18offset_tEEE10hipError_tPvRmT1_PNSt15iterator_traitsISY_E10value_typeET2_T3_PNSZ_IS14_E10value_typeET4_jRbjT5_S1A_jjP12ihipStream_tbEUljE_EEESV_SW_SX_S14_S18_S1A_T6_T7_T9_mT8_S1C_bDpT10_ENKUlT_T0_E_clISt17integral_constantIbLb0EES1O_IbLb1EEEEDaS1K_S1L_EUlS1K_E_NS1_11comp_targetILNS1_3genE3ELNS1_11target_archE908ELNS1_3gpuE7ELNS1_3repE0EEENS1_30default_config_static_selectorELNS0_4arch9wavefront6targetE0EEEvSY_
; %bb.0:
	.section	.rodata,"a",@progbits
	.p2align	6, 0x0
	.amdhsa_kernel _ZN7rocprim17ROCPRIM_400000_NS6detail17trampoline_kernelINS0_13select_configILj256ELj13ELNS0_17block_load_methodE3ELS4_3ELS4_3ELNS0_20block_scan_algorithmE0ELj4294967295EEENS1_25partition_config_selectorILNS1_17partition_subalgoE3EjNS0_10empty_typeEbEEZZNS1_14partition_implILS8_3ELb0ES6_jNS0_17counting_iteratorIjlEEPS9_SE_NS0_5tupleIJPjSE_EEENSF_IJSE_SE_EEES9_SG_JZNS1_25segmented_radix_sort_implINS0_14default_configELb1EPKiPiPKlPlN2at6native12_GLOBAL__N_18offset_tEEE10hipError_tPvRmT1_PNSt15iterator_traitsISY_E10value_typeET2_T3_PNSZ_IS14_E10value_typeET4_jRbjT5_S1A_jjP12ihipStream_tbEUljE_EEESV_SW_SX_S14_S18_S1A_T6_T7_T9_mT8_S1C_bDpT10_ENKUlT_T0_E_clISt17integral_constantIbLb0EES1O_IbLb1EEEEDaS1K_S1L_EUlS1K_E_NS1_11comp_targetILNS1_3genE3ELNS1_11target_archE908ELNS1_3gpuE7ELNS1_3repE0EEENS1_30default_config_static_selectorELNS0_4arch9wavefront6targetE0EEEvSY_
		.amdhsa_group_segment_fixed_size 0
		.amdhsa_private_segment_fixed_size 0
		.amdhsa_kernarg_size 152
		.amdhsa_user_sgpr_count 2
		.amdhsa_user_sgpr_dispatch_ptr 0
		.amdhsa_user_sgpr_queue_ptr 0
		.amdhsa_user_sgpr_kernarg_segment_ptr 1
		.amdhsa_user_sgpr_dispatch_id 0
		.amdhsa_user_sgpr_private_segment_size 0
		.amdhsa_wavefront_size32 1
		.amdhsa_uses_dynamic_stack 0
		.amdhsa_enable_private_segment 0
		.amdhsa_system_sgpr_workgroup_id_x 1
		.amdhsa_system_sgpr_workgroup_id_y 0
		.amdhsa_system_sgpr_workgroup_id_z 0
		.amdhsa_system_sgpr_workgroup_info 0
		.amdhsa_system_vgpr_workitem_id 0
		.amdhsa_next_free_vgpr 1
		.amdhsa_next_free_sgpr 1
		.amdhsa_reserve_vcc 0
		.amdhsa_float_round_mode_32 0
		.amdhsa_float_round_mode_16_64 0
		.amdhsa_float_denorm_mode_32 3
		.amdhsa_float_denorm_mode_16_64 3
		.amdhsa_fp16_overflow 0
		.amdhsa_workgroup_processor_mode 1
		.amdhsa_memory_ordered 1
		.amdhsa_forward_progress 1
		.amdhsa_inst_pref_size 0
		.amdhsa_round_robin_scheduling 0
		.amdhsa_exception_fp_ieee_invalid_op 0
		.amdhsa_exception_fp_denorm_src 0
		.amdhsa_exception_fp_ieee_div_zero 0
		.amdhsa_exception_fp_ieee_overflow 0
		.amdhsa_exception_fp_ieee_underflow 0
		.amdhsa_exception_fp_ieee_inexact 0
		.amdhsa_exception_int_div_zero 0
	.end_amdhsa_kernel
	.section	.text._ZN7rocprim17ROCPRIM_400000_NS6detail17trampoline_kernelINS0_13select_configILj256ELj13ELNS0_17block_load_methodE3ELS4_3ELS4_3ELNS0_20block_scan_algorithmE0ELj4294967295EEENS1_25partition_config_selectorILNS1_17partition_subalgoE3EjNS0_10empty_typeEbEEZZNS1_14partition_implILS8_3ELb0ES6_jNS0_17counting_iteratorIjlEEPS9_SE_NS0_5tupleIJPjSE_EEENSF_IJSE_SE_EEES9_SG_JZNS1_25segmented_radix_sort_implINS0_14default_configELb1EPKiPiPKlPlN2at6native12_GLOBAL__N_18offset_tEEE10hipError_tPvRmT1_PNSt15iterator_traitsISY_E10value_typeET2_T3_PNSZ_IS14_E10value_typeET4_jRbjT5_S1A_jjP12ihipStream_tbEUljE_EEESV_SW_SX_S14_S18_S1A_T6_T7_T9_mT8_S1C_bDpT10_ENKUlT_T0_E_clISt17integral_constantIbLb0EES1O_IbLb1EEEEDaS1K_S1L_EUlS1K_E_NS1_11comp_targetILNS1_3genE3ELNS1_11target_archE908ELNS1_3gpuE7ELNS1_3repE0EEENS1_30default_config_static_selectorELNS0_4arch9wavefront6targetE0EEEvSY_,"axG",@progbits,_ZN7rocprim17ROCPRIM_400000_NS6detail17trampoline_kernelINS0_13select_configILj256ELj13ELNS0_17block_load_methodE3ELS4_3ELS4_3ELNS0_20block_scan_algorithmE0ELj4294967295EEENS1_25partition_config_selectorILNS1_17partition_subalgoE3EjNS0_10empty_typeEbEEZZNS1_14partition_implILS8_3ELb0ES6_jNS0_17counting_iteratorIjlEEPS9_SE_NS0_5tupleIJPjSE_EEENSF_IJSE_SE_EEES9_SG_JZNS1_25segmented_radix_sort_implINS0_14default_configELb1EPKiPiPKlPlN2at6native12_GLOBAL__N_18offset_tEEE10hipError_tPvRmT1_PNSt15iterator_traitsISY_E10value_typeET2_T3_PNSZ_IS14_E10value_typeET4_jRbjT5_S1A_jjP12ihipStream_tbEUljE_EEESV_SW_SX_S14_S18_S1A_T6_T7_T9_mT8_S1C_bDpT10_ENKUlT_T0_E_clISt17integral_constantIbLb0EES1O_IbLb1EEEEDaS1K_S1L_EUlS1K_E_NS1_11comp_targetILNS1_3genE3ELNS1_11target_archE908ELNS1_3gpuE7ELNS1_3repE0EEENS1_30default_config_static_selectorELNS0_4arch9wavefront6targetE0EEEvSY_,comdat
.Lfunc_end492:
	.size	_ZN7rocprim17ROCPRIM_400000_NS6detail17trampoline_kernelINS0_13select_configILj256ELj13ELNS0_17block_load_methodE3ELS4_3ELS4_3ELNS0_20block_scan_algorithmE0ELj4294967295EEENS1_25partition_config_selectorILNS1_17partition_subalgoE3EjNS0_10empty_typeEbEEZZNS1_14partition_implILS8_3ELb0ES6_jNS0_17counting_iteratorIjlEEPS9_SE_NS0_5tupleIJPjSE_EEENSF_IJSE_SE_EEES9_SG_JZNS1_25segmented_radix_sort_implINS0_14default_configELb1EPKiPiPKlPlN2at6native12_GLOBAL__N_18offset_tEEE10hipError_tPvRmT1_PNSt15iterator_traitsISY_E10value_typeET2_T3_PNSZ_IS14_E10value_typeET4_jRbjT5_S1A_jjP12ihipStream_tbEUljE_EEESV_SW_SX_S14_S18_S1A_T6_T7_T9_mT8_S1C_bDpT10_ENKUlT_T0_E_clISt17integral_constantIbLb0EES1O_IbLb1EEEEDaS1K_S1L_EUlS1K_E_NS1_11comp_targetILNS1_3genE3ELNS1_11target_archE908ELNS1_3gpuE7ELNS1_3repE0EEENS1_30default_config_static_selectorELNS0_4arch9wavefront6targetE0EEEvSY_, .Lfunc_end492-_ZN7rocprim17ROCPRIM_400000_NS6detail17trampoline_kernelINS0_13select_configILj256ELj13ELNS0_17block_load_methodE3ELS4_3ELS4_3ELNS0_20block_scan_algorithmE0ELj4294967295EEENS1_25partition_config_selectorILNS1_17partition_subalgoE3EjNS0_10empty_typeEbEEZZNS1_14partition_implILS8_3ELb0ES6_jNS0_17counting_iteratorIjlEEPS9_SE_NS0_5tupleIJPjSE_EEENSF_IJSE_SE_EEES9_SG_JZNS1_25segmented_radix_sort_implINS0_14default_configELb1EPKiPiPKlPlN2at6native12_GLOBAL__N_18offset_tEEE10hipError_tPvRmT1_PNSt15iterator_traitsISY_E10value_typeET2_T3_PNSZ_IS14_E10value_typeET4_jRbjT5_S1A_jjP12ihipStream_tbEUljE_EEESV_SW_SX_S14_S18_S1A_T6_T7_T9_mT8_S1C_bDpT10_ENKUlT_T0_E_clISt17integral_constantIbLb0EES1O_IbLb1EEEEDaS1K_S1L_EUlS1K_E_NS1_11comp_targetILNS1_3genE3ELNS1_11target_archE908ELNS1_3gpuE7ELNS1_3repE0EEENS1_30default_config_static_selectorELNS0_4arch9wavefront6targetE0EEEvSY_
                                        ; -- End function
	.set _ZN7rocprim17ROCPRIM_400000_NS6detail17trampoline_kernelINS0_13select_configILj256ELj13ELNS0_17block_load_methodE3ELS4_3ELS4_3ELNS0_20block_scan_algorithmE0ELj4294967295EEENS1_25partition_config_selectorILNS1_17partition_subalgoE3EjNS0_10empty_typeEbEEZZNS1_14partition_implILS8_3ELb0ES6_jNS0_17counting_iteratorIjlEEPS9_SE_NS0_5tupleIJPjSE_EEENSF_IJSE_SE_EEES9_SG_JZNS1_25segmented_radix_sort_implINS0_14default_configELb1EPKiPiPKlPlN2at6native12_GLOBAL__N_18offset_tEEE10hipError_tPvRmT1_PNSt15iterator_traitsISY_E10value_typeET2_T3_PNSZ_IS14_E10value_typeET4_jRbjT5_S1A_jjP12ihipStream_tbEUljE_EEESV_SW_SX_S14_S18_S1A_T6_T7_T9_mT8_S1C_bDpT10_ENKUlT_T0_E_clISt17integral_constantIbLb0EES1O_IbLb1EEEEDaS1K_S1L_EUlS1K_E_NS1_11comp_targetILNS1_3genE3ELNS1_11target_archE908ELNS1_3gpuE7ELNS1_3repE0EEENS1_30default_config_static_selectorELNS0_4arch9wavefront6targetE0EEEvSY_.num_vgpr, 0
	.set _ZN7rocprim17ROCPRIM_400000_NS6detail17trampoline_kernelINS0_13select_configILj256ELj13ELNS0_17block_load_methodE3ELS4_3ELS4_3ELNS0_20block_scan_algorithmE0ELj4294967295EEENS1_25partition_config_selectorILNS1_17partition_subalgoE3EjNS0_10empty_typeEbEEZZNS1_14partition_implILS8_3ELb0ES6_jNS0_17counting_iteratorIjlEEPS9_SE_NS0_5tupleIJPjSE_EEENSF_IJSE_SE_EEES9_SG_JZNS1_25segmented_radix_sort_implINS0_14default_configELb1EPKiPiPKlPlN2at6native12_GLOBAL__N_18offset_tEEE10hipError_tPvRmT1_PNSt15iterator_traitsISY_E10value_typeET2_T3_PNSZ_IS14_E10value_typeET4_jRbjT5_S1A_jjP12ihipStream_tbEUljE_EEESV_SW_SX_S14_S18_S1A_T6_T7_T9_mT8_S1C_bDpT10_ENKUlT_T0_E_clISt17integral_constantIbLb0EES1O_IbLb1EEEEDaS1K_S1L_EUlS1K_E_NS1_11comp_targetILNS1_3genE3ELNS1_11target_archE908ELNS1_3gpuE7ELNS1_3repE0EEENS1_30default_config_static_selectorELNS0_4arch9wavefront6targetE0EEEvSY_.num_agpr, 0
	.set _ZN7rocprim17ROCPRIM_400000_NS6detail17trampoline_kernelINS0_13select_configILj256ELj13ELNS0_17block_load_methodE3ELS4_3ELS4_3ELNS0_20block_scan_algorithmE0ELj4294967295EEENS1_25partition_config_selectorILNS1_17partition_subalgoE3EjNS0_10empty_typeEbEEZZNS1_14partition_implILS8_3ELb0ES6_jNS0_17counting_iteratorIjlEEPS9_SE_NS0_5tupleIJPjSE_EEENSF_IJSE_SE_EEES9_SG_JZNS1_25segmented_radix_sort_implINS0_14default_configELb1EPKiPiPKlPlN2at6native12_GLOBAL__N_18offset_tEEE10hipError_tPvRmT1_PNSt15iterator_traitsISY_E10value_typeET2_T3_PNSZ_IS14_E10value_typeET4_jRbjT5_S1A_jjP12ihipStream_tbEUljE_EEESV_SW_SX_S14_S18_S1A_T6_T7_T9_mT8_S1C_bDpT10_ENKUlT_T0_E_clISt17integral_constantIbLb0EES1O_IbLb1EEEEDaS1K_S1L_EUlS1K_E_NS1_11comp_targetILNS1_3genE3ELNS1_11target_archE908ELNS1_3gpuE7ELNS1_3repE0EEENS1_30default_config_static_selectorELNS0_4arch9wavefront6targetE0EEEvSY_.numbered_sgpr, 0
	.set _ZN7rocprim17ROCPRIM_400000_NS6detail17trampoline_kernelINS0_13select_configILj256ELj13ELNS0_17block_load_methodE3ELS4_3ELS4_3ELNS0_20block_scan_algorithmE0ELj4294967295EEENS1_25partition_config_selectorILNS1_17partition_subalgoE3EjNS0_10empty_typeEbEEZZNS1_14partition_implILS8_3ELb0ES6_jNS0_17counting_iteratorIjlEEPS9_SE_NS0_5tupleIJPjSE_EEENSF_IJSE_SE_EEES9_SG_JZNS1_25segmented_radix_sort_implINS0_14default_configELb1EPKiPiPKlPlN2at6native12_GLOBAL__N_18offset_tEEE10hipError_tPvRmT1_PNSt15iterator_traitsISY_E10value_typeET2_T3_PNSZ_IS14_E10value_typeET4_jRbjT5_S1A_jjP12ihipStream_tbEUljE_EEESV_SW_SX_S14_S18_S1A_T6_T7_T9_mT8_S1C_bDpT10_ENKUlT_T0_E_clISt17integral_constantIbLb0EES1O_IbLb1EEEEDaS1K_S1L_EUlS1K_E_NS1_11comp_targetILNS1_3genE3ELNS1_11target_archE908ELNS1_3gpuE7ELNS1_3repE0EEENS1_30default_config_static_selectorELNS0_4arch9wavefront6targetE0EEEvSY_.num_named_barrier, 0
	.set _ZN7rocprim17ROCPRIM_400000_NS6detail17trampoline_kernelINS0_13select_configILj256ELj13ELNS0_17block_load_methodE3ELS4_3ELS4_3ELNS0_20block_scan_algorithmE0ELj4294967295EEENS1_25partition_config_selectorILNS1_17partition_subalgoE3EjNS0_10empty_typeEbEEZZNS1_14partition_implILS8_3ELb0ES6_jNS0_17counting_iteratorIjlEEPS9_SE_NS0_5tupleIJPjSE_EEENSF_IJSE_SE_EEES9_SG_JZNS1_25segmented_radix_sort_implINS0_14default_configELb1EPKiPiPKlPlN2at6native12_GLOBAL__N_18offset_tEEE10hipError_tPvRmT1_PNSt15iterator_traitsISY_E10value_typeET2_T3_PNSZ_IS14_E10value_typeET4_jRbjT5_S1A_jjP12ihipStream_tbEUljE_EEESV_SW_SX_S14_S18_S1A_T6_T7_T9_mT8_S1C_bDpT10_ENKUlT_T0_E_clISt17integral_constantIbLb0EES1O_IbLb1EEEEDaS1K_S1L_EUlS1K_E_NS1_11comp_targetILNS1_3genE3ELNS1_11target_archE908ELNS1_3gpuE7ELNS1_3repE0EEENS1_30default_config_static_selectorELNS0_4arch9wavefront6targetE0EEEvSY_.private_seg_size, 0
	.set _ZN7rocprim17ROCPRIM_400000_NS6detail17trampoline_kernelINS0_13select_configILj256ELj13ELNS0_17block_load_methodE3ELS4_3ELS4_3ELNS0_20block_scan_algorithmE0ELj4294967295EEENS1_25partition_config_selectorILNS1_17partition_subalgoE3EjNS0_10empty_typeEbEEZZNS1_14partition_implILS8_3ELb0ES6_jNS0_17counting_iteratorIjlEEPS9_SE_NS0_5tupleIJPjSE_EEENSF_IJSE_SE_EEES9_SG_JZNS1_25segmented_radix_sort_implINS0_14default_configELb1EPKiPiPKlPlN2at6native12_GLOBAL__N_18offset_tEEE10hipError_tPvRmT1_PNSt15iterator_traitsISY_E10value_typeET2_T3_PNSZ_IS14_E10value_typeET4_jRbjT5_S1A_jjP12ihipStream_tbEUljE_EEESV_SW_SX_S14_S18_S1A_T6_T7_T9_mT8_S1C_bDpT10_ENKUlT_T0_E_clISt17integral_constantIbLb0EES1O_IbLb1EEEEDaS1K_S1L_EUlS1K_E_NS1_11comp_targetILNS1_3genE3ELNS1_11target_archE908ELNS1_3gpuE7ELNS1_3repE0EEENS1_30default_config_static_selectorELNS0_4arch9wavefront6targetE0EEEvSY_.uses_vcc, 0
	.set _ZN7rocprim17ROCPRIM_400000_NS6detail17trampoline_kernelINS0_13select_configILj256ELj13ELNS0_17block_load_methodE3ELS4_3ELS4_3ELNS0_20block_scan_algorithmE0ELj4294967295EEENS1_25partition_config_selectorILNS1_17partition_subalgoE3EjNS0_10empty_typeEbEEZZNS1_14partition_implILS8_3ELb0ES6_jNS0_17counting_iteratorIjlEEPS9_SE_NS0_5tupleIJPjSE_EEENSF_IJSE_SE_EEES9_SG_JZNS1_25segmented_radix_sort_implINS0_14default_configELb1EPKiPiPKlPlN2at6native12_GLOBAL__N_18offset_tEEE10hipError_tPvRmT1_PNSt15iterator_traitsISY_E10value_typeET2_T3_PNSZ_IS14_E10value_typeET4_jRbjT5_S1A_jjP12ihipStream_tbEUljE_EEESV_SW_SX_S14_S18_S1A_T6_T7_T9_mT8_S1C_bDpT10_ENKUlT_T0_E_clISt17integral_constantIbLb0EES1O_IbLb1EEEEDaS1K_S1L_EUlS1K_E_NS1_11comp_targetILNS1_3genE3ELNS1_11target_archE908ELNS1_3gpuE7ELNS1_3repE0EEENS1_30default_config_static_selectorELNS0_4arch9wavefront6targetE0EEEvSY_.uses_flat_scratch, 0
	.set _ZN7rocprim17ROCPRIM_400000_NS6detail17trampoline_kernelINS0_13select_configILj256ELj13ELNS0_17block_load_methodE3ELS4_3ELS4_3ELNS0_20block_scan_algorithmE0ELj4294967295EEENS1_25partition_config_selectorILNS1_17partition_subalgoE3EjNS0_10empty_typeEbEEZZNS1_14partition_implILS8_3ELb0ES6_jNS0_17counting_iteratorIjlEEPS9_SE_NS0_5tupleIJPjSE_EEENSF_IJSE_SE_EEES9_SG_JZNS1_25segmented_radix_sort_implINS0_14default_configELb1EPKiPiPKlPlN2at6native12_GLOBAL__N_18offset_tEEE10hipError_tPvRmT1_PNSt15iterator_traitsISY_E10value_typeET2_T3_PNSZ_IS14_E10value_typeET4_jRbjT5_S1A_jjP12ihipStream_tbEUljE_EEESV_SW_SX_S14_S18_S1A_T6_T7_T9_mT8_S1C_bDpT10_ENKUlT_T0_E_clISt17integral_constantIbLb0EES1O_IbLb1EEEEDaS1K_S1L_EUlS1K_E_NS1_11comp_targetILNS1_3genE3ELNS1_11target_archE908ELNS1_3gpuE7ELNS1_3repE0EEENS1_30default_config_static_selectorELNS0_4arch9wavefront6targetE0EEEvSY_.has_dyn_sized_stack, 0
	.set _ZN7rocprim17ROCPRIM_400000_NS6detail17trampoline_kernelINS0_13select_configILj256ELj13ELNS0_17block_load_methodE3ELS4_3ELS4_3ELNS0_20block_scan_algorithmE0ELj4294967295EEENS1_25partition_config_selectorILNS1_17partition_subalgoE3EjNS0_10empty_typeEbEEZZNS1_14partition_implILS8_3ELb0ES6_jNS0_17counting_iteratorIjlEEPS9_SE_NS0_5tupleIJPjSE_EEENSF_IJSE_SE_EEES9_SG_JZNS1_25segmented_radix_sort_implINS0_14default_configELb1EPKiPiPKlPlN2at6native12_GLOBAL__N_18offset_tEEE10hipError_tPvRmT1_PNSt15iterator_traitsISY_E10value_typeET2_T3_PNSZ_IS14_E10value_typeET4_jRbjT5_S1A_jjP12ihipStream_tbEUljE_EEESV_SW_SX_S14_S18_S1A_T6_T7_T9_mT8_S1C_bDpT10_ENKUlT_T0_E_clISt17integral_constantIbLb0EES1O_IbLb1EEEEDaS1K_S1L_EUlS1K_E_NS1_11comp_targetILNS1_3genE3ELNS1_11target_archE908ELNS1_3gpuE7ELNS1_3repE0EEENS1_30default_config_static_selectorELNS0_4arch9wavefront6targetE0EEEvSY_.has_recursion, 0
	.set _ZN7rocprim17ROCPRIM_400000_NS6detail17trampoline_kernelINS0_13select_configILj256ELj13ELNS0_17block_load_methodE3ELS4_3ELS4_3ELNS0_20block_scan_algorithmE0ELj4294967295EEENS1_25partition_config_selectorILNS1_17partition_subalgoE3EjNS0_10empty_typeEbEEZZNS1_14partition_implILS8_3ELb0ES6_jNS0_17counting_iteratorIjlEEPS9_SE_NS0_5tupleIJPjSE_EEENSF_IJSE_SE_EEES9_SG_JZNS1_25segmented_radix_sort_implINS0_14default_configELb1EPKiPiPKlPlN2at6native12_GLOBAL__N_18offset_tEEE10hipError_tPvRmT1_PNSt15iterator_traitsISY_E10value_typeET2_T3_PNSZ_IS14_E10value_typeET4_jRbjT5_S1A_jjP12ihipStream_tbEUljE_EEESV_SW_SX_S14_S18_S1A_T6_T7_T9_mT8_S1C_bDpT10_ENKUlT_T0_E_clISt17integral_constantIbLb0EES1O_IbLb1EEEEDaS1K_S1L_EUlS1K_E_NS1_11comp_targetILNS1_3genE3ELNS1_11target_archE908ELNS1_3gpuE7ELNS1_3repE0EEENS1_30default_config_static_selectorELNS0_4arch9wavefront6targetE0EEEvSY_.has_indirect_call, 0
	.section	.AMDGPU.csdata,"",@progbits
; Kernel info:
; codeLenInByte = 0
; TotalNumSgprs: 0
; NumVgprs: 0
; ScratchSize: 0
; MemoryBound: 0
; FloatMode: 240
; IeeeMode: 1
; LDSByteSize: 0 bytes/workgroup (compile time only)
; SGPRBlocks: 0
; VGPRBlocks: 0
; NumSGPRsForWavesPerEU: 1
; NumVGPRsForWavesPerEU: 1
; Occupancy: 16
; WaveLimiterHint : 0
; COMPUTE_PGM_RSRC2:SCRATCH_EN: 0
; COMPUTE_PGM_RSRC2:USER_SGPR: 2
; COMPUTE_PGM_RSRC2:TRAP_HANDLER: 0
; COMPUTE_PGM_RSRC2:TGID_X_EN: 1
; COMPUTE_PGM_RSRC2:TGID_Y_EN: 0
; COMPUTE_PGM_RSRC2:TGID_Z_EN: 0
; COMPUTE_PGM_RSRC2:TIDIG_COMP_CNT: 0
	.section	.text._ZN7rocprim17ROCPRIM_400000_NS6detail17trampoline_kernelINS0_13select_configILj256ELj13ELNS0_17block_load_methodE3ELS4_3ELS4_3ELNS0_20block_scan_algorithmE0ELj4294967295EEENS1_25partition_config_selectorILNS1_17partition_subalgoE3EjNS0_10empty_typeEbEEZZNS1_14partition_implILS8_3ELb0ES6_jNS0_17counting_iteratorIjlEEPS9_SE_NS0_5tupleIJPjSE_EEENSF_IJSE_SE_EEES9_SG_JZNS1_25segmented_radix_sort_implINS0_14default_configELb1EPKiPiPKlPlN2at6native12_GLOBAL__N_18offset_tEEE10hipError_tPvRmT1_PNSt15iterator_traitsISY_E10value_typeET2_T3_PNSZ_IS14_E10value_typeET4_jRbjT5_S1A_jjP12ihipStream_tbEUljE_EEESV_SW_SX_S14_S18_S1A_T6_T7_T9_mT8_S1C_bDpT10_ENKUlT_T0_E_clISt17integral_constantIbLb0EES1O_IbLb1EEEEDaS1K_S1L_EUlS1K_E_NS1_11comp_targetILNS1_3genE2ELNS1_11target_archE906ELNS1_3gpuE6ELNS1_3repE0EEENS1_30default_config_static_selectorELNS0_4arch9wavefront6targetE0EEEvSY_,"axG",@progbits,_ZN7rocprim17ROCPRIM_400000_NS6detail17trampoline_kernelINS0_13select_configILj256ELj13ELNS0_17block_load_methodE3ELS4_3ELS4_3ELNS0_20block_scan_algorithmE0ELj4294967295EEENS1_25partition_config_selectorILNS1_17partition_subalgoE3EjNS0_10empty_typeEbEEZZNS1_14partition_implILS8_3ELb0ES6_jNS0_17counting_iteratorIjlEEPS9_SE_NS0_5tupleIJPjSE_EEENSF_IJSE_SE_EEES9_SG_JZNS1_25segmented_radix_sort_implINS0_14default_configELb1EPKiPiPKlPlN2at6native12_GLOBAL__N_18offset_tEEE10hipError_tPvRmT1_PNSt15iterator_traitsISY_E10value_typeET2_T3_PNSZ_IS14_E10value_typeET4_jRbjT5_S1A_jjP12ihipStream_tbEUljE_EEESV_SW_SX_S14_S18_S1A_T6_T7_T9_mT8_S1C_bDpT10_ENKUlT_T0_E_clISt17integral_constantIbLb0EES1O_IbLb1EEEEDaS1K_S1L_EUlS1K_E_NS1_11comp_targetILNS1_3genE2ELNS1_11target_archE906ELNS1_3gpuE6ELNS1_3repE0EEENS1_30default_config_static_selectorELNS0_4arch9wavefront6targetE0EEEvSY_,comdat
	.globl	_ZN7rocprim17ROCPRIM_400000_NS6detail17trampoline_kernelINS0_13select_configILj256ELj13ELNS0_17block_load_methodE3ELS4_3ELS4_3ELNS0_20block_scan_algorithmE0ELj4294967295EEENS1_25partition_config_selectorILNS1_17partition_subalgoE3EjNS0_10empty_typeEbEEZZNS1_14partition_implILS8_3ELb0ES6_jNS0_17counting_iteratorIjlEEPS9_SE_NS0_5tupleIJPjSE_EEENSF_IJSE_SE_EEES9_SG_JZNS1_25segmented_radix_sort_implINS0_14default_configELb1EPKiPiPKlPlN2at6native12_GLOBAL__N_18offset_tEEE10hipError_tPvRmT1_PNSt15iterator_traitsISY_E10value_typeET2_T3_PNSZ_IS14_E10value_typeET4_jRbjT5_S1A_jjP12ihipStream_tbEUljE_EEESV_SW_SX_S14_S18_S1A_T6_T7_T9_mT8_S1C_bDpT10_ENKUlT_T0_E_clISt17integral_constantIbLb0EES1O_IbLb1EEEEDaS1K_S1L_EUlS1K_E_NS1_11comp_targetILNS1_3genE2ELNS1_11target_archE906ELNS1_3gpuE6ELNS1_3repE0EEENS1_30default_config_static_selectorELNS0_4arch9wavefront6targetE0EEEvSY_ ; -- Begin function _ZN7rocprim17ROCPRIM_400000_NS6detail17trampoline_kernelINS0_13select_configILj256ELj13ELNS0_17block_load_methodE3ELS4_3ELS4_3ELNS0_20block_scan_algorithmE0ELj4294967295EEENS1_25partition_config_selectorILNS1_17partition_subalgoE3EjNS0_10empty_typeEbEEZZNS1_14partition_implILS8_3ELb0ES6_jNS0_17counting_iteratorIjlEEPS9_SE_NS0_5tupleIJPjSE_EEENSF_IJSE_SE_EEES9_SG_JZNS1_25segmented_radix_sort_implINS0_14default_configELb1EPKiPiPKlPlN2at6native12_GLOBAL__N_18offset_tEEE10hipError_tPvRmT1_PNSt15iterator_traitsISY_E10value_typeET2_T3_PNSZ_IS14_E10value_typeET4_jRbjT5_S1A_jjP12ihipStream_tbEUljE_EEESV_SW_SX_S14_S18_S1A_T6_T7_T9_mT8_S1C_bDpT10_ENKUlT_T0_E_clISt17integral_constantIbLb0EES1O_IbLb1EEEEDaS1K_S1L_EUlS1K_E_NS1_11comp_targetILNS1_3genE2ELNS1_11target_archE906ELNS1_3gpuE6ELNS1_3repE0EEENS1_30default_config_static_selectorELNS0_4arch9wavefront6targetE0EEEvSY_
	.p2align	8
	.type	_ZN7rocprim17ROCPRIM_400000_NS6detail17trampoline_kernelINS0_13select_configILj256ELj13ELNS0_17block_load_methodE3ELS4_3ELS4_3ELNS0_20block_scan_algorithmE0ELj4294967295EEENS1_25partition_config_selectorILNS1_17partition_subalgoE3EjNS0_10empty_typeEbEEZZNS1_14partition_implILS8_3ELb0ES6_jNS0_17counting_iteratorIjlEEPS9_SE_NS0_5tupleIJPjSE_EEENSF_IJSE_SE_EEES9_SG_JZNS1_25segmented_radix_sort_implINS0_14default_configELb1EPKiPiPKlPlN2at6native12_GLOBAL__N_18offset_tEEE10hipError_tPvRmT1_PNSt15iterator_traitsISY_E10value_typeET2_T3_PNSZ_IS14_E10value_typeET4_jRbjT5_S1A_jjP12ihipStream_tbEUljE_EEESV_SW_SX_S14_S18_S1A_T6_T7_T9_mT8_S1C_bDpT10_ENKUlT_T0_E_clISt17integral_constantIbLb0EES1O_IbLb1EEEEDaS1K_S1L_EUlS1K_E_NS1_11comp_targetILNS1_3genE2ELNS1_11target_archE906ELNS1_3gpuE6ELNS1_3repE0EEENS1_30default_config_static_selectorELNS0_4arch9wavefront6targetE0EEEvSY_,@function
_ZN7rocprim17ROCPRIM_400000_NS6detail17trampoline_kernelINS0_13select_configILj256ELj13ELNS0_17block_load_methodE3ELS4_3ELS4_3ELNS0_20block_scan_algorithmE0ELj4294967295EEENS1_25partition_config_selectorILNS1_17partition_subalgoE3EjNS0_10empty_typeEbEEZZNS1_14partition_implILS8_3ELb0ES6_jNS0_17counting_iteratorIjlEEPS9_SE_NS0_5tupleIJPjSE_EEENSF_IJSE_SE_EEES9_SG_JZNS1_25segmented_radix_sort_implINS0_14default_configELb1EPKiPiPKlPlN2at6native12_GLOBAL__N_18offset_tEEE10hipError_tPvRmT1_PNSt15iterator_traitsISY_E10value_typeET2_T3_PNSZ_IS14_E10value_typeET4_jRbjT5_S1A_jjP12ihipStream_tbEUljE_EEESV_SW_SX_S14_S18_S1A_T6_T7_T9_mT8_S1C_bDpT10_ENKUlT_T0_E_clISt17integral_constantIbLb0EES1O_IbLb1EEEEDaS1K_S1L_EUlS1K_E_NS1_11comp_targetILNS1_3genE2ELNS1_11target_archE906ELNS1_3gpuE6ELNS1_3repE0EEENS1_30default_config_static_selectorELNS0_4arch9wavefront6targetE0EEEvSY_: ; @_ZN7rocprim17ROCPRIM_400000_NS6detail17trampoline_kernelINS0_13select_configILj256ELj13ELNS0_17block_load_methodE3ELS4_3ELS4_3ELNS0_20block_scan_algorithmE0ELj4294967295EEENS1_25partition_config_selectorILNS1_17partition_subalgoE3EjNS0_10empty_typeEbEEZZNS1_14partition_implILS8_3ELb0ES6_jNS0_17counting_iteratorIjlEEPS9_SE_NS0_5tupleIJPjSE_EEENSF_IJSE_SE_EEES9_SG_JZNS1_25segmented_radix_sort_implINS0_14default_configELb1EPKiPiPKlPlN2at6native12_GLOBAL__N_18offset_tEEE10hipError_tPvRmT1_PNSt15iterator_traitsISY_E10value_typeET2_T3_PNSZ_IS14_E10value_typeET4_jRbjT5_S1A_jjP12ihipStream_tbEUljE_EEESV_SW_SX_S14_S18_S1A_T6_T7_T9_mT8_S1C_bDpT10_ENKUlT_T0_E_clISt17integral_constantIbLb0EES1O_IbLb1EEEEDaS1K_S1L_EUlS1K_E_NS1_11comp_targetILNS1_3genE2ELNS1_11target_archE906ELNS1_3gpuE6ELNS1_3repE0EEENS1_30default_config_static_selectorELNS0_4arch9wavefront6targetE0EEEvSY_
; %bb.0:
	.section	.rodata,"a",@progbits
	.p2align	6, 0x0
	.amdhsa_kernel _ZN7rocprim17ROCPRIM_400000_NS6detail17trampoline_kernelINS0_13select_configILj256ELj13ELNS0_17block_load_methodE3ELS4_3ELS4_3ELNS0_20block_scan_algorithmE0ELj4294967295EEENS1_25partition_config_selectorILNS1_17partition_subalgoE3EjNS0_10empty_typeEbEEZZNS1_14partition_implILS8_3ELb0ES6_jNS0_17counting_iteratorIjlEEPS9_SE_NS0_5tupleIJPjSE_EEENSF_IJSE_SE_EEES9_SG_JZNS1_25segmented_radix_sort_implINS0_14default_configELb1EPKiPiPKlPlN2at6native12_GLOBAL__N_18offset_tEEE10hipError_tPvRmT1_PNSt15iterator_traitsISY_E10value_typeET2_T3_PNSZ_IS14_E10value_typeET4_jRbjT5_S1A_jjP12ihipStream_tbEUljE_EEESV_SW_SX_S14_S18_S1A_T6_T7_T9_mT8_S1C_bDpT10_ENKUlT_T0_E_clISt17integral_constantIbLb0EES1O_IbLb1EEEEDaS1K_S1L_EUlS1K_E_NS1_11comp_targetILNS1_3genE2ELNS1_11target_archE906ELNS1_3gpuE6ELNS1_3repE0EEENS1_30default_config_static_selectorELNS0_4arch9wavefront6targetE0EEEvSY_
		.amdhsa_group_segment_fixed_size 0
		.amdhsa_private_segment_fixed_size 0
		.amdhsa_kernarg_size 152
		.amdhsa_user_sgpr_count 2
		.amdhsa_user_sgpr_dispatch_ptr 0
		.amdhsa_user_sgpr_queue_ptr 0
		.amdhsa_user_sgpr_kernarg_segment_ptr 1
		.amdhsa_user_sgpr_dispatch_id 0
		.amdhsa_user_sgpr_private_segment_size 0
		.amdhsa_wavefront_size32 1
		.amdhsa_uses_dynamic_stack 0
		.amdhsa_enable_private_segment 0
		.amdhsa_system_sgpr_workgroup_id_x 1
		.amdhsa_system_sgpr_workgroup_id_y 0
		.amdhsa_system_sgpr_workgroup_id_z 0
		.amdhsa_system_sgpr_workgroup_info 0
		.amdhsa_system_vgpr_workitem_id 0
		.amdhsa_next_free_vgpr 1
		.amdhsa_next_free_sgpr 1
		.amdhsa_reserve_vcc 0
		.amdhsa_float_round_mode_32 0
		.amdhsa_float_round_mode_16_64 0
		.amdhsa_float_denorm_mode_32 3
		.amdhsa_float_denorm_mode_16_64 3
		.amdhsa_fp16_overflow 0
		.amdhsa_workgroup_processor_mode 1
		.amdhsa_memory_ordered 1
		.amdhsa_forward_progress 1
		.amdhsa_inst_pref_size 0
		.amdhsa_round_robin_scheduling 0
		.amdhsa_exception_fp_ieee_invalid_op 0
		.amdhsa_exception_fp_denorm_src 0
		.amdhsa_exception_fp_ieee_div_zero 0
		.amdhsa_exception_fp_ieee_overflow 0
		.amdhsa_exception_fp_ieee_underflow 0
		.amdhsa_exception_fp_ieee_inexact 0
		.amdhsa_exception_int_div_zero 0
	.end_amdhsa_kernel
	.section	.text._ZN7rocprim17ROCPRIM_400000_NS6detail17trampoline_kernelINS0_13select_configILj256ELj13ELNS0_17block_load_methodE3ELS4_3ELS4_3ELNS0_20block_scan_algorithmE0ELj4294967295EEENS1_25partition_config_selectorILNS1_17partition_subalgoE3EjNS0_10empty_typeEbEEZZNS1_14partition_implILS8_3ELb0ES6_jNS0_17counting_iteratorIjlEEPS9_SE_NS0_5tupleIJPjSE_EEENSF_IJSE_SE_EEES9_SG_JZNS1_25segmented_radix_sort_implINS0_14default_configELb1EPKiPiPKlPlN2at6native12_GLOBAL__N_18offset_tEEE10hipError_tPvRmT1_PNSt15iterator_traitsISY_E10value_typeET2_T3_PNSZ_IS14_E10value_typeET4_jRbjT5_S1A_jjP12ihipStream_tbEUljE_EEESV_SW_SX_S14_S18_S1A_T6_T7_T9_mT8_S1C_bDpT10_ENKUlT_T0_E_clISt17integral_constantIbLb0EES1O_IbLb1EEEEDaS1K_S1L_EUlS1K_E_NS1_11comp_targetILNS1_3genE2ELNS1_11target_archE906ELNS1_3gpuE6ELNS1_3repE0EEENS1_30default_config_static_selectorELNS0_4arch9wavefront6targetE0EEEvSY_,"axG",@progbits,_ZN7rocprim17ROCPRIM_400000_NS6detail17trampoline_kernelINS0_13select_configILj256ELj13ELNS0_17block_load_methodE3ELS4_3ELS4_3ELNS0_20block_scan_algorithmE0ELj4294967295EEENS1_25partition_config_selectorILNS1_17partition_subalgoE3EjNS0_10empty_typeEbEEZZNS1_14partition_implILS8_3ELb0ES6_jNS0_17counting_iteratorIjlEEPS9_SE_NS0_5tupleIJPjSE_EEENSF_IJSE_SE_EEES9_SG_JZNS1_25segmented_radix_sort_implINS0_14default_configELb1EPKiPiPKlPlN2at6native12_GLOBAL__N_18offset_tEEE10hipError_tPvRmT1_PNSt15iterator_traitsISY_E10value_typeET2_T3_PNSZ_IS14_E10value_typeET4_jRbjT5_S1A_jjP12ihipStream_tbEUljE_EEESV_SW_SX_S14_S18_S1A_T6_T7_T9_mT8_S1C_bDpT10_ENKUlT_T0_E_clISt17integral_constantIbLb0EES1O_IbLb1EEEEDaS1K_S1L_EUlS1K_E_NS1_11comp_targetILNS1_3genE2ELNS1_11target_archE906ELNS1_3gpuE6ELNS1_3repE0EEENS1_30default_config_static_selectorELNS0_4arch9wavefront6targetE0EEEvSY_,comdat
.Lfunc_end493:
	.size	_ZN7rocprim17ROCPRIM_400000_NS6detail17trampoline_kernelINS0_13select_configILj256ELj13ELNS0_17block_load_methodE3ELS4_3ELS4_3ELNS0_20block_scan_algorithmE0ELj4294967295EEENS1_25partition_config_selectorILNS1_17partition_subalgoE3EjNS0_10empty_typeEbEEZZNS1_14partition_implILS8_3ELb0ES6_jNS0_17counting_iteratorIjlEEPS9_SE_NS0_5tupleIJPjSE_EEENSF_IJSE_SE_EEES9_SG_JZNS1_25segmented_radix_sort_implINS0_14default_configELb1EPKiPiPKlPlN2at6native12_GLOBAL__N_18offset_tEEE10hipError_tPvRmT1_PNSt15iterator_traitsISY_E10value_typeET2_T3_PNSZ_IS14_E10value_typeET4_jRbjT5_S1A_jjP12ihipStream_tbEUljE_EEESV_SW_SX_S14_S18_S1A_T6_T7_T9_mT8_S1C_bDpT10_ENKUlT_T0_E_clISt17integral_constantIbLb0EES1O_IbLb1EEEEDaS1K_S1L_EUlS1K_E_NS1_11comp_targetILNS1_3genE2ELNS1_11target_archE906ELNS1_3gpuE6ELNS1_3repE0EEENS1_30default_config_static_selectorELNS0_4arch9wavefront6targetE0EEEvSY_, .Lfunc_end493-_ZN7rocprim17ROCPRIM_400000_NS6detail17trampoline_kernelINS0_13select_configILj256ELj13ELNS0_17block_load_methodE3ELS4_3ELS4_3ELNS0_20block_scan_algorithmE0ELj4294967295EEENS1_25partition_config_selectorILNS1_17partition_subalgoE3EjNS0_10empty_typeEbEEZZNS1_14partition_implILS8_3ELb0ES6_jNS0_17counting_iteratorIjlEEPS9_SE_NS0_5tupleIJPjSE_EEENSF_IJSE_SE_EEES9_SG_JZNS1_25segmented_radix_sort_implINS0_14default_configELb1EPKiPiPKlPlN2at6native12_GLOBAL__N_18offset_tEEE10hipError_tPvRmT1_PNSt15iterator_traitsISY_E10value_typeET2_T3_PNSZ_IS14_E10value_typeET4_jRbjT5_S1A_jjP12ihipStream_tbEUljE_EEESV_SW_SX_S14_S18_S1A_T6_T7_T9_mT8_S1C_bDpT10_ENKUlT_T0_E_clISt17integral_constantIbLb0EES1O_IbLb1EEEEDaS1K_S1L_EUlS1K_E_NS1_11comp_targetILNS1_3genE2ELNS1_11target_archE906ELNS1_3gpuE6ELNS1_3repE0EEENS1_30default_config_static_selectorELNS0_4arch9wavefront6targetE0EEEvSY_
                                        ; -- End function
	.set _ZN7rocprim17ROCPRIM_400000_NS6detail17trampoline_kernelINS0_13select_configILj256ELj13ELNS0_17block_load_methodE3ELS4_3ELS4_3ELNS0_20block_scan_algorithmE0ELj4294967295EEENS1_25partition_config_selectorILNS1_17partition_subalgoE3EjNS0_10empty_typeEbEEZZNS1_14partition_implILS8_3ELb0ES6_jNS0_17counting_iteratorIjlEEPS9_SE_NS0_5tupleIJPjSE_EEENSF_IJSE_SE_EEES9_SG_JZNS1_25segmented_radix_sort_implINS0_14default_configELb1EPKiPiPKlPlN2at6native12_GLOBAL__N_18offset_tEEE10hipError_tPvRmT1_PNSt15iterator_traitsISY_E10value_typeET2_T3_PNSZ_IS14_E10value_typeET4_jRbjT5_S1A_jjP12ihipStream_tbEUljE_EEESV_SW_SX_S14_S18_S1A_T6_T7_T9_mT8_S1C_bDpT10_ENKUlT_T0_E_clISt17integral_constantIbLb0EES1O_IbLb1EEEEDaS1K_S1L_EUlS1K_E_NS1_11comp_targetILNS1_3genE2ELNS1_11target_archE906ELNS1_3gpuE6ELNS1_3repE0EEENS1_30default_config_static_selectorELNS0_4arch9wavefront6targetE0EEEvSY_.num_vgpr, 0
	.set _ZN7rocprim17ROCPRIM_400000_NS6detail17trampoline_kernelINS0_13select_configILj256ELj13ELNS0_17block_load_methodE3ELS4_3ELS4_3ELNS0_20block_scan_algorithmE0ELj4294967295EEENS1_25partition_config_selectorILNS1_17partition_subalgoE3EjNS0_10empty_typeEbEEZZNS1_14partition_implILS8_3ELb0ES6_jNS0_17counting_iteratorIjlEEPS9_SE_NS0_5tupleIJPjSE_EEENSF_IJSE_SE_EEES9_SG_JZNS1_25segmented_radix_sort_implINS0_14default_configELb1EPKiPiPKlPlN2at6native12_GLOBAL__N_18offset_tEEE10hipError_tPvRmT1_PNSt15iterator_traitsISY_E10value_typeET2_T3_PNSZ_IS14_E10value_typeET4_jRbjT5_S1A_jjP12ihipStream_tbEUljE_EEESV_SW_SX_S14_S18_S1A_T6_T7_T9_mT8_S1C_bDpT10_ENKUlT_T0_E_clISt17integral_constantIbLb0EES1O_IbLb1EEEEDaS1K_S1L_EUlS1K_E_NS1_11comp_targetILNS1_3genE2ELNS1_11target_archE906ELNS1_3gpuE6ELNS1_3repE0EEENS1_30default_config_static_selectorELNS0_4arch9wavefront6targetE0EEEvSY_.num_agpr, 0
	.set _ZN7rocprim17ROCPRIM_400000_NS6detail17trampoline_kernelINS0_13select_configILj256ELj13ELNS0_17block_load_methodE3ELS4_3ELS4_3ELNS0_20block_scan_algorithmE0ELj4294967295EEENS1_25partition_config_selectorILNS1_17partition_subalgoE3EjNS0_10empty_typeEbEEZZNS1_14partition_implILS8_3ELb0ES6_jNS0_17counting_iteratorIjlEEPS9_SE_NS0_5tupleIJPjSE_EEENSF_IJSE_SE_EEES9_SG_JZNS1_25segmented_radix_sort_implINS0_14default_configELb1EPKiPiPKlPlN2at6native12_GLOBAL__N_18offset_tEEE10hipError_tPvRmT1_PNSt15iterator_traitsISY_E10value_typeET2_T3_PNSZ_IS14_E10value_typeET4_jRbjT5_S1A_jjP12ihipStream_tbEUljE_EEESV_SW_SX_S14_S18_S1A_T6_T7_T9_mT8_S1C_bDpT10_ENKUlT_T0_E_clISt17integral_constantIbLb0EES1O_IbLb1EEEEDaS1K_S1L_EUlS1K_E_NS1_11comp_targetILNS1_3genE2ELNS1_11target_archE906ELNS1_3gpuE6ELNS1_3repE0EEENS1_30default_config_static_selectorELNS0_4arch9wavefront6targetE0EEEvSY_.numbered_sgpr, 0
	.set _ZN7rocprim17ROCPRIM_400000_NS6detail17trampoline_kernelINS0_13select_configILj256ELj13ELNS0_17block_load_methodE3ELS4_3ELS4_3ELNS0_20block_scan_algorithmE0ELj4294967295EEENS1_25partition_config_selectorILNS1_17partition_subalgoE3EjNS0_10empty_typeEbEEZZNS1_14partition_implILS8_3ELb0ES6_jNS0_17counting_iteratorIjlEEPS9_SE_NS0_5tupleIJPjSE_EEENSF_IJSE_SE_EEES9_SG_JZNS1_25segmented_radix_sort_implINS0_14default_configELb1EPKiPiPKlPlN2at6native12_GLOBAL__N_18offset_tEEE10hipError_tPvRmT1_PNSt15iterator_traitsISY_E10value_typeET2_T3_PNSZ_IS14_E10value_typeET4_jRbjT5_S1A_jjP12ihipStream_tbEUljE_EEESV_SW_SX_S14_S18_S1A_T6_T7_T9_mT8_S1C_bDpT10_ENKUlT_T0_E_clISt17integral_constantIbLb0EES1O_IbLb1EEEEDaS1K_S1L_EUlS1K_E_NS1_11comp_targetILNS1_3genE2ELNS1_11target_archE906ELNS1_3gpuE6ELNS1_3repE0EEENS1_30default_config_static_selectorELNS0_4arch9wavefront6targetE0EEEvSY_.num_named_barrier, 0
	.set _ZN7rocprim17ROCPRIM_400000_NS6detail17trampoline_kernelINS0_13select_configILj256ELj13ELNS0_17block_load_methodE3ELS4_3ELS4_3ELNS0_20block_scan_algorithmE0ELj4294967295EEENS1_25partition_config_selectorILNS1_17partition_subalgoE3EjNS0_10empty_typeEbEEZZNS1_14partition_implILS8_3ELb0ES6_jNS0_17counting_iteratorIjlEEPS9_SE_NS0_5tupleIJPjSE_EEENSF_IJSE_SE_EEES9_SG_JZNS1_25segmented_radix_sort_implINS0_14default_configELb1EPKiPiPKlPlN2at6native12_GLOBAL__N_18offset_tEEE10hipError_tPvRmT1_PNSt15iterator_traitsISY_E10value_typeET2_T3_PNSZ_IS14_E10value_typeET4_jRbjT5_S1A_jjP12ihipStream_tbEUljE_EEESV_SW_SX_S14_S18_S1A_T6_T7_T9_mT8_S1C_bDpT10_ENKUlT_T0_E_clISt17integral_constantIbLb0EES1O_IbLb1EEEEDaS1K_S1L_EUlS1K_E_NS1_11comp_targetILNS1_3genE2ELNS1_11target_archE906ELNS1_3gpuE6ELNS1_3repE0EEENS1_30default_config_static_selectorELNS0_4arch9wavefront6targetE0EEEvSY_.private_seg_size, 0
	.set _ZN7rocprim17ROCPRIM_400000_NS6detail17trampoline_kernelINS0_13select_configILj256ELj13ELNS0_17block_load_methodE3ELS4_3ELS4_3ELNS0_20block_scan_algorithmE0ELj4294967295EEENS1_25partition_config_selectorILNS1_17partition_subalgoE3EjNS0_10empty_typeEbEEZZNS1_14partition_implILS8_3ELb0ES6_jNS0_17counting_iteratorIjlEEPS9_SE_NS0_5tupleIJPjSE_EEENSF_IJSE_SE_EEES9_SG_JZNS1_25segmented_radix_sort_implINS0_14default_configELb1EPKiPiPKlPlN2at6native12_GLOBAL__N_18offset_tEEE10hipError_tPvRmT1_PNSt15iterator_traitsISY_E10value_typeET2_T3_PNSZ_IS14_E10value_typeET4_jRbjT5_S1A_jjP12ihipStream_tbEUljE_EEESV_SW_SX_S14_S18_S1A_T6_T7_T9_mT8_S1C_bDpT10_ENKUlT_T0_E_clISt17integral_constantIbLb0EES1O_IbLb1EEEEDaS1K_S1L_EUlS1K_E_NS1_11comp_targetILNS1_3genE2ELNS1_11target_archE906ELNS1_3gpuE6ELNS1_3repE0EEENS1_30default_config_static_selectorELNS0_4arch9wavefront6targetE0EEEvSY_.uses_vcc, 0
	.set _ZN7rocprim17ROCPRIM_400000_NS6detail17trampoline_kernelINS0_13select_configILj256ELj13ELNS0_17block_load_methodE3ELS4_3ELS4_3ELNS0_20block_scan_algorithmE0ELj4294967295EEENS1_25partition_config_selectorILNS1_17partition_subalgoE3EjNS0_10empty_typeEbEEZZNS1_14partition_implILS8_3ELb0ES6_jNS0_17counting_iteratorIjlEEPS9_SE_NS0_5tupleIJPjSE_EEENSF_IJSE_SE_EEES9_SG_JZNS1_25segmented_radix_sort_implINS0_14default_configELb1EPKiPiPKlPlN2at6native12_GLOBAL__N_18offset_tEEE10hipError_tPvRmT1_PNSt15iterator_traitsISY_E10value_typeET2_T3_PNSZ_IS14_E10value_typeET4_jRbjT5_S1A_jjP12ihipStream_tbEUljE_EEESV_SW_SX_S14_S18_S1A_T6_T7_T9_mT8_S1C_bDpT10_ENKUlT_T0_E_clISt17integral_constantIbLb0EES1O_IbLb1EEEEDaS1K_S1L_EUlS1K_E_NS1_11comp_targetILNS1_3genE2ELNS1_11target_archE906ELNS1_3gpuE6ELNS1_3repE0EEENS1_30default_config_static_selectorELNS0_4arch9wavefront6targetE0EEEvSY_.uses_flat_scratch, 0
	.set _ZN7rocprim17ROCPRIM_400000_NS6detail17trampoline_kernelINS0_13select_configILj256ELj13ELNS0_17block_load_methodE3ELS4_3ELS4_3ELNS0_20block_scan_algorithmE0ELj4294967295EEENS1_25partition_config_selectorILNS1_17partition_subalgoE3EjNS0_10empty_typeEbEEZZNS1_14partition_implILS8_3ELb0ES6_jNS0_17counting_iteratorIjlEEPS9_SE_NS0_5tupleIJPjSE_EEENSF_IJSE_SE_EEES9_SG_JZNS1_25segmented_radix_sort_implINS0_14default_configELb1EPKiPiPKlPlN2at6native12_GLOBAL__N_18offset_tEEE10hipError_tPvRmT1_PNSt15iterator_traitsISY_E10value_typeET2_T3_PNSZ_IS14_E10value_typeET4_jRbjT5_S1A_jjP12ihipStream_tbEUljE_EEESV_SW_SX_S14_S18_S1A_T6_T7_T9_mT8_S1C_bDpT10_ENKUlT_T0_E_clISt17integral_constantIbLb0EES1O_IbLb1EEEEDaS1K_S1L_EUlS1K_E_NS1_11comp_targetILNS1_3genE2ELNS1_11target_archE906ELNS1_3gpuE6ELNS1_3repE0EEENS1_30default_config_static_selectorELNS0_4arch9wavefront6targetE0EEEvSY_.has_dyn_sized_stack, 0
	.set _ZN7rocprim17ROCPRIM_400000_NS6detail17trampoline_kernelINS0_13select_configILj256ELj13ELNS0_17block_load_methodE3ELS4_3ELS4_3ELNS0_20block_scan_algorithmE0ELj4294967295EEENS1_25partition_config_selectorILNS1_17partition_subalgoE3EjNS0_10empty_typeEbEEZZNS1_14partition_implILS8_3ELb0ES6_jNS0_17counting_iteratorIjlEEPS9_SE_NS0_5tupleIJPjSE_EEENSF_IJSE_SE_EEES9_SG_JZNS1_25segmented_radix_sort_implINS0_14default_configELb1EPKiPiPKlPlN2at6native12_GLOBAL__N_18offset_tEEE10hipError_tPvRmT1_PNSt15iterator_traitsISY_E10value_typeET2_T3_PNSZ_IS14_E10value_typeET4_jRbjT5_S1A_jjP12ihipStream_tbEUljE_EEESV_SW_SX_S14_S18_S1A_T6_T7_T9_mT8_S1C_bDpT10_ENKUlT_T0_E_clISt17integral_constantIbLb0EES1O_IbLb1EEEEDaS1K_S1L_EUlS1K_E_NS1_11comp_targetILNS1_3genE2ELNS1_11target_archE906ELNS1_3gpuE6ELNS1_3repE0EEENS1_30default_config_static_selectorELNS0_4arch9wavefront6targetE0EEEvSY_.has_recursion, 0
	.set _ZN7rocprim17ROCPRIM_400000_NS6detail17trampoline_kernelINS0_13select_configILj256ELj13ELNS0_17block_load_methodE3ELS4_3ELS4_3ELNS0_20block_scan_algorithmE0ELj4294967295EEENS1_25partition_config_selectorILNS1_17partition_subalgoE3EjNS0_10empty_typeEbEEZZNS1_14partition_implILS8_3ELb0ES6_jNS0_17counting_iteratorIjlEEPS9_SE_NS0_5tupleIJPjSE_EEENSF_IJSE_SE_EEES9_SG_JZNS1_25segmented_radix_sort_implINS0_14default_configELb1EPKiPiPKlPlN2at6native12_GLOBAL__N_18offset_tEEE10hipError_tPvRmT1_PNSt15iterator_traitsISY_E10value_typeET2_T3_PNSZ_IS14_E10value_typeET4_jRbjT5_S1A_jjP12ihipStream_tbEUljE_EEESV_SW_SX_S14_S18_S1A_T6_T7_T9_mT8_S1C_bDpT10_ENKUlT_T0_E_clISt17integral_constantIbLb0EES1O_IbLb1EEEEDaS1K_S1L_EUlS1K_E_NS1_11comp_targetILNS1_3genE2ELNS1_11target_archE906ELNS1_3gpuE6ELNS1_3repE0EEENS1_30default_config_static_selectorELNS0_4arch9wavefront6targetE0EEEvSY_.has_indirect_call, 0
	.section	.AMDGPU.csdata,"",@progbits
; Kernel info:
; codeLenInByte = 0
; TotalNumSgprs: 0
; NumVgprs: 0
; ScratchSize: 0
; MemoryBound: 0
; FloatMode: 240
; IeeeMode: 1
; LDSByteSize: 0 bytes/workgroup (compile time only)
; SGPRBlocks: 0
; VGPRBlocks: 0
; NumSGPRsForWavesPerEU: 1
; NumVGPRsForWavesPerEU: 1
; Occupancy: 16
; WaveLimiterHint : 0
; COMPUTE_PGM_RSRC2:SCRATCH_EN: 0
; COMPUTE_PGM_RSRC2:USER_SGPR: 2
; COMPUTE_PGM_RSRC2:TRAP_HANDLER: 0
; COMPUTE_PGM_RSRC2:TGID_X_EN: 1
; COMPUTE_PGM_RSRC2:TGID_Y_EN: 0
; COMPUTE_PGM_RSRC2:TGID_Z_EN: 0
; COMPUTE_PGM_RSRC2:TIDIG_COMP_CNT: 0
	.section	.text._ZN7rocprim17ROCPRIM_400000_NS6detail17trampoline_kernelINS0_13select_configILj256ELj13ELNS0_17block_load_methodE3ELS4_3ELS4_3ELNS0_20block_scan_algorithmE0ELj4294967295EEENS1_25partition_config_selectorILNS1_17partition_subalgoE3EjNS0_10empty_typeEbEEZZNS1_14partition_implILS8_3ELb0ES6_jNS0_17counting_iteratorIjlEEPS9_SE_NS0_5tupleIJPjSE_EEENSF_IJSE_SE_EEES9_SG_JZNS1_25segmented_radix_sort_implINS0_14default_configELb1EPKiPiPKlPlN2at6native12_GLOBAL__N_18offset_tEEE10hipError_tPvRmT1_PNSt15iterator_traitsISY_E10value_typeET2_T3_PNSZ_IS14_E10value_typeET4_jRbjT5_S1A_jjP12ihipStream_tbEUljE_EEESV_SW_SX_S14_S18_S1A_T6_T7_T9_mT8_S1C_bDpT10_ENKUlT_T0_E_clISt17integral_constantIbLb0EES1O_IbLb1EEEEDaS1K_S1L_EUlS1K_E_NS1_11comp_targetILNS1_3genE10ELNS1_11target_archE1200ELNS1_3gpuE4ELNS1_3repE0EEENS1_30default_config_static_selectorELNS0_4arch9wavefront6targetE0EEEvSY_,"axG",@progbits,_ZN7rocprim17ROCPRIM_400000_NS6detail17trampoline_kernelINS0_13select_configILj256ELj13ELNS0_17block_load_methodE3ELS4_3ELS4_3ELNS0_20block_scan_algorithmE0ELj4294967295EEENS1_25partition_config_selectorILNS1_17partition_subalgoE3EjNS0_10empty_typeEbEEZZNS1_14partition_implILS8_3ELb0ES6_jNS0_17counting_iteratorIjlEEPS9_SE_NS0_5tupleIJPjSE_EEENSF_IJSE_SE_EEES9_SG_JZNS1_25segmented_radix_sort_implINS0_14default_configELb1EPKiPiPKlPlN2at6native12_GLOBAL__N_18offset_tEEE10hipError_tPvRmT1_PNSt15iterator_traitsISY_E10value_typeET2_T3_PNSZ_IS14_E10value_typeET4_jRbjT5_S1A_jjP12ihipStream_tbEUljE_EEESV_SW_SX_S14_S18_S1A_T6_T7_T9_mT8_S1C_bDpT10_ENKUlT_T0_E_clISt17integral_constantIbLb0EES1O_IbLb1EEEEDaS1K_S1L_EUlS1K_E_NS1_11comp_targetILNS1_3genE10ELNS1_11target_archE1200ELNS1_3gpuE4ELNS1_3repE0EEENS1_30default_config_static_selectorELNS0_4arch9wavefront6targetE0EEEvSY_,comdat
	.globl	_ZN7rocprim17ROCPRIM_400000_NS6detail17trampoline_kernelINS0_13select_configILj256ELj13ELNS0_17block_load_methodE3ELS4_3ELS4_3ELNS0_20block_scan_algorithmE0ELj4294967295EEENS1_25partition_config_selectorILNS1_17partition_subalgoE3EjNS0_10empty_typeEbEEZZNS1_14partition_implILS8_3ELb0ES6_jNS0_17counting_iteratorIjlEEPS9_SE_NS0_5tupleIJPjSE_EEENSF_IJSE_SE_EEES9_SG_JZNS1_25segmented_radix_sort_implINS0_14default_configELb1EPKiPiPKlPlN2at6native12_GLOBAL__N_18offset_tEEE10hipError_tPvRmT1_PNSt15iterator_traitsISY_E10value_typeET2_T3_PNSZ_IS14_E10value_typeET4_jRbjT5_S1A_jjP12ihipStream_tbEUljE_EEESV_SW_SX_S14_S18_S1A_T6_T7_T9_mT8_S1C_bDpT10_ENKUlT_T0_E_clISt17integral_constantIbLb0EES1O_IbLb1EEEEDaS1K_S1L_EUlS1K_E_NS1_11comp_targetILNS1_3genE10ELNS1_11target_archE1200ELNS1_3gpuE4ELNS1_3repE0EEENS1_30default_config_static_selectorELNS0_4arch9wavefront6targetE0EEEvSY_ ; -- Begin function _ZN7rocprim17ROCPRIM_400000_NS6detail17trampoline_kernelINS0_13select_configILj256ELj13ELNS0_17block_load_methodE3ELS4_3ELS4_3ELNS0_20block_scan_algorithmE0ELj4294967295EEENS1_25partition_config_selectorILNS1_17partition_subalgoE3EjNS0_10empty_typeEbEEZZNS1_14partition_implILS8_3ELb0ES6_jNS0_17counting_iteratorIjlEEPS9_SE_NS0_5tupleIJPjSE_EEENSF_IJSE_SE_EEES9_SG_JZNS1_25segmented_radix_sort_implINS0_14default_configELb1EPKiPiPKlPlN2at6native12_GLOBAL__N_18offset_tEEE10hipError_tPvRmT1_PNSt15iterator_traitsISY_E10value_typeET2_T3_PNSZ_IS14_E10value_typeET4_jRbjT5_S1A_jjP12ihipStream_tbEUljE_EEESV_SW_SX_S14_S18_S1A_T6_T7_T9_mT8_S1C_bDpT10_ENKUlT_T0_E_clISt17integral_constantIbLb0EES1O_IbLb1EEEEDaS1K_S1L_EUlS1K_E_NS1_11comp_targetILNS1_3genE10ELNS1_11target_archE1200ELNS1_3gpuE4ELNS1_3repE0EEENS1_30default_config_static_selectorELNS0_4arch9wavefront6targetE0EEEvSY_
	.p2align	8
	.type	_ZN7rocprim17ROCPRIM_400000_NS6detail17trampoline_kernelINS0_13select_configILj256ELj13ELNS0_17block_load_methodE3ELS4_3ELS4_3ELNS0_20block_scan_algorithmE0ELj4294967295EEENS1_25partition_config_selectorILNS1_17partition_subalgoE3EjNS0_10empty_typeEbEEZZNS1_14partition_implILS8_3ELb0ES6_jNS0_17counting_iteratorIjlEEPS9_SE_NS0_5tupleIJPjSE_EEENSF_IJSE_SE_EEES9_SG_JZNS1_25segmented_radix_sort_implINS0_14default_configELb1EPKiPiPKlPlN2at6native12_GLOBAL__N_18offset_tEEE10hipError_tPvRmT1_PNSt15iterator_traitsISY_E10value_typeET2_T3_PNSZ_IS14_E10value_typeET4_jRbjT5_S1A_jjP12ihipStream_tbEUljE_EEESV_SW_SX_S14_S18_S1A_T6_T7_T9_mT8_S1C_bDpT10_ENKUlT_T0_E_clISt17integral_constantIbLb0EES1O_IbLb1EEEEDaS1K_S1L_EUlS1K_E_NS1_11comp_targetILNS1_3genE10ELNS1_11target_archE1200ELNS1_3gpuE4ELNS1_3repE0EEENS1_30default_config_static_selectorELNS0_4arch9wavefront6targetE0EEEvSY_,@function
_ZN7rocprim17ROCPRIM_400000_NS6detail17trampoline_kernelINS0_13select_configILj256ELj13ELNS0_17block_load_methodE3ELS4_3ELS4_3ELNS0_20block_scan_algorithmE0ELj4294967295EEENS1_25partition_config_selectorILNS1_17partition_subalgoE3EjNS0_10empty_typeEbEEZZNS1_14partition_implILS8_3ELb0ES6_jNS0_17counting_iteratorIjlEEPS9_SE_NS0_5tupleIJPjSE_EEENSF_IJSE_SE_EEES9_SG_JZNS1_25segmented_radix_sort_implINS0_14default_configELb1EPKiPiPKlPlN2at6native12_GLOBAL__N_18offset_tEEE10hipError_tPvRmT1_PNSt15iterator_traitsISY_E10value_typeET2_T3_PNSZ_IS14_E10value_typeET4_jRbjT5_S1A_jjP12ihipStream_tbEUljE_EEESV_SW_SX_S14_S18_S1A_T6_T7_T9_mT8_S1C_bDpT10_ENKUlT_T0_E_clISt17integral_constantIbLb0EES1O_IbLb1EEEEDaS1K_S1L_EUlS1K_E_NS1_11comp_targetILNS1_3genE10ELNS1_11target_archE1200ELNS1_3gpuE4ELNS1_3repE0EEENS1_30default_config_static_selectorELNS0_4arch9wavefront6targetE0EEEvSY_: ; @_ZN7rocprim17ROCPRIM_400000_NS6detail17trampoline_kernelINS0_13select_configILj256ELj13ELNS0_17block_load_methodE3ELS4_3ELS4_3ELNS0_20block_scan_algorithmE0ELj4294967295EEENS1_25partition_config_selectorILNS1_17partition_subalgoE3EjNS0_10empty_typeEbEEZZNS1_14partition_implILS8_3ELb0ES6_jNS0_17counting_iteratorIjlEEPS9_SE_NS0_5tupleIJPjSE_EEENSF_IJSE_SE_EEES9_SG_JZNS1_25segmented_radix_sort_implINS0_14default_configELb1EPKiPiPKlPlN2at6native12_GLOBAL__N_18offset_tEEE10hipError_tPvRmT1_PNSt15iterator_traitsISY_E10value_typeET2_T3_PNSZ_IS14_E10value_typeET4_jRbjT5_S1A_jjP12ihipStream_tbEUljE_EEESV_SW_SX_S14_S18_S1A_T6_T7_T9_mT8_S1C_bDpT10_ENKUlT_T0_E_clISt17integral_constantIbLb0EES1O_IbLb1EEEEDaS1K_S1L_EUlS1K_E_NS1_11comp_targetILNS1_3genE10ELNS1_11target_archE1200ELNS1_3gpuE4ELNS1_3repE0EEENS1_30default_config_static_selectorELNS0_4arch9wavefront6targetE0EEEvSY_
; %bb.0:
	s_clause 0x6
	s_load_b64 s[16:17], s[0:1], 0x10
	s_load_b64 s[10:11], s[0:1], 0x28
	;; [unrolled: 1-line block ×3, first 2 shown]
	s_load_b128 s[12:15], s[0:1], 0x48
	s_load_b32 s3, s[0:1], 0x90
	s_load_b64 s[20:21], s[0:1], 0x68
	s_load_b128 s[4:7], s[0:1], 0x80
	v_cmp_eq_u32_e64 s2, 0, v0
	s_and_saveexec_b32 s8, s2
	s_cbranch_execz .LBB494_4
; %bb.1:
	s_mov_b32 s22, exec_lo
	s_mov_b32 s9, exec_lo
	v_mbcnt_lo_u32_b32 v1, s22, 0
                                        ; implicit-def: $vgpr2
	s_delay_alu instid0(VALU_DEP_1)
	v_cmpx_eq_u32_e32 0, v1
	s_cbranch_execz .LBB494_3
; %bb.2:
	s_load_b64 s[24:25], s[0:1], 0x78
	s_bcnt1_i32_b32 s22, s22
	s_wait_alu 0xfffe
	v_dual_mov_b32 v2, 0 :: v_dual_mov_b32 v3, s22
	s_wait_kmcnt 0x0
	global_atomic_add_u32 v2, v2, v3, s[24:25] th:TH_ATOMIC_RETURN scope:SCOPE_DEV
.LBB494_3:
	s_or_b32 exec_lo, exec_lo, s9
	s_wait_loadcnt 0x0
	v_readfirstlane_b32 s9, v2
	s_delay_alu instid0(VALU_DEP_1)
	v_dual_mov_b32 v2, 0 :: v_dual_add_nc_u32 v1, s9, v1
	ds_store_b32 v2, v1
.LBB494_4:
	s_or_b32 exec_lo, exec_lo, s8
	v_mov_b32_e32 v1, 0
	s_clause 0x1
	s_load_b32 s8, s[0:1], 0x8
	s_load_b32 s0, s[0:1], 0x70
	s_wait_dscnt 0x0
	s_barrier_signal -1
	s_barrier_wait -1
	global_inv scope:SCOPE_SE
	ds_load_b32 v2, v1
	s_wait_loadcnt_dscnt 0x0
	s_barrier_signal -1
	s_barrier_wait -1
	global_inv scope:SCOPE_SE
	s_wait_kmcnt 0x0
	global_load_b64 v[17:18], v1, s[14:15]
	s_mov_b32 s1, 0
	v_lshlrev_b32_e32 v45, 2, v0
	s_mov_b32 s23, -1
	s_add_co_i32 s8, s8, s16
	s_add_co_i32 s9, s0, -1
	s_mulk_i32 s0, 0xd00
	s_delay_alu instid0(SALU_CYCLE_1)
	s_add_co_i32 s14, s0, s16
	s_add_nc_u64 s[0:1], s[16:17], s[0:1]
	v_readfirstlane_b32 s15, v2
	v_cmp_gt_u64_e64 s0, s[18:19], s[0:1]
	s_sub_co_i32 s22, s18, s14
	s_wait_alu 0xfffe
	v_cmp_ne_u32_e32 vcc_lo, s9, v2
	s_addk_co_i32 s22, 0xd00
	s_cmp_eq_u32 s15, s9
	s_mul_i32 s14, s15, 0xd00
	s_cselect_b32 s9, -1, 0
	s_or_b32 s1, s0, vcc_lo
	s_wait_alu 0xfffe
	s_and_b32 vcc_lo, exec_lo, s1
	s_cbranch_vccz .LBB494_6
; %bb.5:
	v_add3_u32 v1, s14, s8, v0
	s_mov_b32 s23, 0
	s_delay_alu instid0(VALU_DEP_1)
	v_add_nc_u32_e32 v2, 0x100, v1
	v_add_nc_u32_e32 v3, 0x200, v1
	;; [unrolled: 1-line block ×12, first 2 shown]
	ds_store_2addr_stride64_b32 v45, v1, v2 offset1:4
	ds_store_2addr_stride64_b32 v45, v3, v4 offset0:8 offset1:12
	ds_store_2addr_stride64_b32 v45, v5, v6 offset0:16 offset1:20
	;; [unrolled: 1-line block ×5, first 2 shown]
	ds_store_b32 v45, v13 offset:12288
	s_wait_loadcnt_dscnt 0x0
	s_barrier_signal -1
	s_barrier_wait -1
.LBB494_6:
	v_cmp_gt_u32_e64 s0, s22, v0
	v_or_b32_e32 v44, 0x100, v0
	v_or_b32_e32 v43, 0x200, v0
	;; [unrolled: 1-line block ×12, first 2 shown]
	s_wait_alu 0xfffe
	s_and_not1_b32 vcc_lo, exec_lo, s23
	s_cbranch_vccnz .LBB494_8
; %bb.7:
	s_add_co_i32 s8, s14, s8
	v_cmp_gt_u32_e32 vcc_lo, s22, v44
	s_wait_alu 0xfffe
	v_add_nc_u32_e32 v13, s8, v33
	v_add_nc_u32_e32 v12, s8, v34
	;; [unrolled: 1-line block ×12, first 2 shown]
	s_delay_alu instid0(VALU_DEP_1) | instskip(SKIP_1) | instid1(VALU_DEP_2)
	v_dual_cndmask_b32 v2, 0, v2 :: v_dual_add_nc_u32 v1, s8, v0
	v_cmp_gt_u32_e32 vcc_lo, s22, v43
	v_cndmask_b32_e64 v1, 0, v1, s0
	s_wait_alu 0xfffd
	v_cndmask_b32_e32 v3, 0, v3, vcc_lo
	v_cmp_gt_u32_e32 vcc_lo, s22, v42
	s_wait_alu 0xfffd
	v_cndmask_b32_e32 v4, 0, v4, vcc_lo
	v_cmp_gt_u32_e32 vcc_lo, s22, v41
	;; [unrolled: 3-line block ×10, first 2 shown]
	s_wait_alu 0xfffd
	v_cndmask_b32_e32 v13, 0, v13, vcc_lo
	ds_store_2addr_stride64_b32 v45, v1, v2 offset1:4
	ds_store_2addr_stride64_b32 v45, v3, v4 offset0:8 offset1:12
	ds_store_2addr_stride64_b32 v45, v5, v6 offset0:16 offset1:20
	ds_store_2addr_stride64_b32 v45, v7, v8 offset0:24 offset1:28
	ds_store_2addr_stride64_b32 v45, v9, v10 offset0:32 offset1:36
	ds_store_2addr_stride64_b32 v45, v11, v12 offset0:40 offset1:44
	ds_store_b32 v45, v13 offset:12288
	s_wait_loadcnt_dscnt 0x0
	s_barrier_signal -1
	s_barrier_wait -1
.LBB494_8:
	v_mul_u32_u24_e32 v48, 13, v0
	s_wait_loadcnt 0x0
	global_inv scope:SCOPE_SE
	v_cndmask_b32_e64 v46, 0, 1, s1
	s_and_not1_b32 vcc_lo, exec_lo, s1
	v_lshlrev_b32_e32 v1, 2, v48
	ds_load_2addr_b32 v[29:30], v1 offset0:2 offset1:3
	ds_load_2addr_b32 v[25:26], v1 offset0:6 offset1:7
	;; [unrolled: 1-line block ×3, first 2 shown]
	ds_load_2addr_b32 v[31:32], v1 offset1:1
	ds_load_2addr_b32 v[21:22], v1 offset0:10 offset1:11
	ds_load_b32 v47, v1 offset:48
	ds_load_2addr_b32 v[23:24], v1 offset0:8 offset1:9
	s_wait_loadcnt_dscnt 0x0
	s_barrier_signal -1
	s_barrier_wait -1
	global_inv scope:SCOPE_SE
	s_wait_alu 0xfffe
	s_cbranch_vccnz .LBB494_10
; %bb.9:
	v_add_nc_u32_e32 v1, s5, v30
	v_add_nc_u32_e32 v2, s7, v30
	;; [unrolled: 1-line block ×5, first 2 shown]
	v_mul_lo_u32 v1, v1, s4
	v_mul_lo_u32 v2, v2, s6
	v_add_nc_u32_e32 v8, s7, v29
	v_add_nc_u32_e32 v3, s5, v32
	;; [unrolled: 1-line block ×3, first 2 shown]
	v_mul_lo_u32 v5, v5, s4
	v_mul_lo_u32 v4, v4, s4
	v_add_nc_u32_e32 v9, s5, v27
	v_mul_lo_u32 v3, v3, s4
	v_sub_nc_u32_e32 v1, v1, v2
	v_mul_lo_u32 v2, v7, s6
	v_mul_lo_u32 v7, v8, s6
	;; [unrolled: 1-line block ×3, first 2 shown]
	v_add_nc_u32_e32 v8, s5, v28
	v_add_nc_u32_e32 v10, s7, v27
	v_mul_lo_u32 v9, v9, s4
	v_cmp_lt_u32_e32 vcc_lo, s3, v1
	v_add_nc_u32_e32 v14, s7, v22
	v_sub_nc_u32_e32 v2, v4, v2
	v_sub_nc_u32_e32 v4, v5, v7
	v_add_nc_u32_e32 v5, s7, v28
	v_sub_nc_u32_e32 v3, v3, v6
	v_add_nc_u32_e32 v6, s5, v26
	v_add_nc_u32_e32 v7, s7, v26
	v_mul_lo_u32 v8, v8, s4
	v_mul_lo_u32 v5, v5, s6
	;; [unrolled: 1-line block ×5, first 2 shown]
	s_wait_alu 0xfffd
	v_cndmask_b32_e64 v1, 0, 1, vcc_lo
	v_cmp_lt_u32_e32 vcc_lo, s3, v3
	v_mul_lo_u32 v14, v14, s6
	v_add_nc_u32_e32 v15, s7, v24
	v_sub_nc_u32_e32 v5, v8, v5
	v_add_nc_u32_e32 v8, s7, v25
	s_wait_alu 0xfffd
	v_cndmask_b32_e64 v3, 0, 1, vcc_lo
	v_sub_nc_u32_e32 v6, v6, v7
	v_mul_lo_u32 v15, v15, s6
	v_cmp_lt_u32_e32 vcc_lo, s3, v5
	v_mul_lo_u32 v7, v8, s6
	v_sub_nc_u32_e32 v8, v9, v10
	v_add_nc_u32_e32 v9, s5, v22
	v_add_nc_u32_e32 v10, s5, v24
	s_wait_alu 0xfffd
	v_cndmask_b32_e64 v5, 0, 1, vcc_lo
	v_cmp_lt_u32_e32 vcc_lo, s3, v6
	v_add_nc_u32_e32 v11, s5, v25
	v_mul_lo_u32 v9, v9, s4
	v_mul_lo_u32 v10, v10, s4
	v_add_nc_u32_e32 v12, s5, v23
	s_wait_alu 0xfffd
	v_cndmask_b32_e64 v6, 0, 1, vcc_lo
	v_mul_lo_u32 v11, v11, s4
	v_add_nc_u32_e32 v16, s7, v23
	v_lshlrev_b16 v3, 8, v3
	v_add_nc_u32_e32 v13, s5, v21
	v_sub_nc_u32_e32 v9, v9, v14
	v_sub_nc_u32_e32 v10, v10, v15
	v_add_nc_u32_e32 v19, s7, v21
	v_mul_lo_u32 v12, v12, s4
	v_mul_lo_u32 v16, v16, s6
	v_cmp_lt_u32_e32 vcc_lo, s3, v9
	v_sub_nc_u32_e32 v7, v11, v7
	v_lshrrev_b32_e32 v3, 8, v3
	v_mul_lo_u32 v11, v13, s4
	v_mul_lo_u32 v13, v19, s6
	s_wait_alu 0xfffd
	v_cndmask_b32_e64 v9, 0, 1, vcc_lo
	v_cmp_lt_u32_e32 vcc_lo, s3, v2
	v_sub_nc_u32_e32 v12, v12, v16
	v_lshlrev_b16 v3, 8, v3
	v_lshlrev_b16 v1, 8, v1
	;; [unrolled: 1-line block ×3, first 2 shown]
	s_wait_alu 0xfffd
	v_cndmask_b32_e64 v2, 0, 1, vcc_lo
	v_cmp_lt_u32_e32 vcc_lo, s3, v10
	v_sub_nc_u32_e32 v11, v11, v13
	v_add_nc_u32_e32 v14, s5, v47
	v_add_nc_u32_e32 v15, s7, v47
	v_or_b32_e32 v2, v2, v3
	s_wait_alu 0xfffd
	v_cndmask_b32_e64 v10, 0, 1, vcc_lo
	v_cmp_lt_u32_e32 vcc_lo, s3, v4
	v_lshlrev_b16 v3, 8, v9
	v_lshrrev_b32_e32 v5, 8, v5
	v_lshrrev_b32_e32 v1, 8, v1
	v_lshlrev_b16 v9, 8, v10
	s_wait_alu 0xfffd
	v_cndmask_b32_e64 v4, 0, 1, vcc_lo
	v_cmp_lt_u32_e32 vcc_lo, s3, v8
	v_lshrrev_b32_e32 v3, 8, v3
	v_mul_lo_u32 v14, v14, s4
	v_lshrrev_b32_e32 v9, 8, v9
	v_mul_lo_u32 v15, v15, s6
	s_wait_alu 0xfffd
	v_cndmask_b32_e64 v8, 0, 1, vcc_lo
	v_cmp_lt_u32_e32 vcc_lo, s3, v7
	v_lshlrev_b16 v6, 8, v6
	v_lshlrev_b16 v1, 8, v1
	;; [unrolled: 1-line block ×4, first 2 shown]
	s_wait_alu 0xfffd
	v_cndmask_b32_e64 v7, 0, 1, vcc_lo
	v_cmp_lt_u32_e32 vcc_lo, s3, v12
	v_lshlrev_b16 v3, 8, v3
	v_sub_nc_u32_e32 v10, v14, v15
	v_or_b32_e32 v1, v4, v1
	v_or_b32_e32 v4, v8, v5
	s_wait_alu 0xfffd
	v_cndmask_b32_e64 v12, 0, 1, vcc_lo
	v_cmp_lt_u32_e32 vcc_lo, s3, v11
	v_or_b32_e32 v5, v7, v6
	v_and_b32_e32 v2, 0xffff, v2
	v_lshlrev_b32_e32 v1, 16, v1
	v_or_b32_e32 v6, v12, v9
	s_wait_alu 0xfffd
	v_cndmask_b32_e64 v11, 0, 1, vcc_lo
	v_and_b32_e32 v4, 0xffff, v4
	v_lshlrev_b32_e32 v5, 16, v5
	v_cmp_lt_u32_e32 vcc_lo, s3, v10
	v_and_b32_e32 v6, 0xffff, v6
	v_or_b32_e32 v3, v11, v3
	v_or_b32_e32 v54, v2, v1
	;; [unrolled: 1-line block ×3, first 2 shown]
	s_wait_alu 0xfffd
	v_cndmask_b32_e64 v49, 0, 1, vcc_lo
	v_lshlrev_b32_e32 v3, 16, v3
	s_delay_alu instid0(VALU_DEP_1)
	v_or_b32_e32 v50, v6, v3
	s_cbranch_execz .LBB494_11
	s_branch .LBB494_38
.LBB494_10:
                                        ; implicit-def: $vgpr49
                                        ; implicit-def: $vgpr50
                                        ; implicit-def: $vgpr52
                                        ; implicit-def: $vgpr54
.LBB494_11:
	v_dual_mov_b32 v2, 0 :: v_dual_mov_b32 v1, 0
	s_mov_b32 s0, exec_lo
	v_cmpx_gt_u32_e64 s22, v48
	s_cbranch_execz .LBB494_13
; %bb.12:
	v_add_nc_u32_e32 v1, s5, v31
	v_add_nc_u32_e32 v3, s7, v31
	s_delay_alu instid0(VALU_DEP_2) | instskip(NEXT) | instid1(VALU_DEP_2)
	v_mul_lo_u32 v1, v1, s4
	v_mul_lo_u32 v3, v3, s6
	s_delay_alu instid0(VALU_DEP_1) | instskip(NEXT) | instid1(VALU_DEP_1)
	v_sub_nc_u32_e32 v1, v1, v3
	v_cmp_lt_u32_e32 vcc_lo, s3, v1
	s_wait_alu 0xfffd
	v_cndmask_b32_e64 v1, 0, 1, vcc_lo
.LBB494_13:
	s_wait_alu 0xfffe
	s_or_b32 exec_lo, exec_lo, s0
	v_add_nc_u32_e32 v3, 1, v48
	s_mov_b32 s0, exec_lo
	s_delay_alu instid0(VALU_DEP_1)
	v_cmpx_gt_u32_e64 s22, v3
	s_cbranch_execz .LBB494_15
; %bb.14:
	v_add_nc_u32_e32 v2, s5, v32
	v_add_nc_u32_e32 v3, s7, v32
	s_delay_alu instid0(VALU_DEP_2) | instskip(NEXT) | instid1(VALU_DEP_2)
	v_mul_lo_u32 v2, v2, s4
	v_mul_lo_u32 v3, v3, s6
	s_delay_alu instid0(VALU_DEP_1) | instskip(NEXT) | instid1(VALU_DEP_1)
	v_sub_nc_u32_e32 v2, v2, v3
	v_cmp_lt_u32_e32 vcc_lo, s3, v2
	s_wait_alu 0xfffd
	v_cndmask_b32_e64 v2, 0, 1, vcc_lo
.LBB494_15:
	s_wait_alu 0xfffe
	s_or_b32 exec_lo, exec_lo, s0
	v_dual_mov_b32 v4, 0 :: v_dual_add_nc_u32 v3, 2, v48
	s_delay_alu instid0(VALU_DEP_1)
	v_cmp_gt_u32_e32 vcc_lo, s22, v3
	v_mov_b32_e32 v3, 0
	s_and_saveexec_b32 s0, vcc_lo
	s_cbranch_execz .LBB494_17
; %bb.16:
	v_add_nc_u32_e32 v3, s5, v29
	v_add_nc_u32_e32 v5, s7, v29
	s_delay_alu instid0(VALU_DEP_2) | instskip(NEXT) | instid1(VALU_DEP_2)
	v_mul_lo_u32 v3, v3, s4
	v_mul_lo_u32 v5, v5, s6
	s_delay_alu instid0(VALU_DEP_1) | instskip(NEXT) | instid1(VALU_DEP_1)
	v_sub_nc_u32_e32 v3, v3, v5
	v_cmp_lt_u32_e32 vcc_lo, s3, v3
	s_wait_alu 0xfffd
	v_cndmask_b32_e64 v3, 0, 1, vcc_lo
.LBB494_17:
	s_wait_alu 0xfffe
	s_or_b32 exec_lo, exec_lo, s0
	v_add_nc_u32_e32 v5, 3, v48
	s_mov_b32 s0, exec_lo
	s_delay_alu instid0(VALU_DEP_1)
	v_cmpx_gt_u32_e64 s22, v5
	s_cbranch_execz .LBB494_19
; %bb.18:
	v_add_nc_u32_e32 v4, s5, v30
	v_add_nc_u32_e32 v5, s7, v30
	s_delay_alu instid0(VALU_DEP_2) | instskip(NEXT) | instid1(VALU_DEP_2)
	v_mul_lo_u32 v4, v4, s4
	v_mul_lo_u32 v5, v5, s6
	s_delay_alu instid0(VALU_DEP_1) | instskip(NEXT) | instid1(VALU_DEP_1)
	v_sub_nc_u32_e32 v4, v4, v5
	v_cmp_lt_u32_e32 vcc_lo, s3, v4
	s_wait_alu 0xfffd
	v_cndmask_b32_e64 v4, 0, 1, vcc_lo
.LBB494_19:
	s_wait_alu 0xfffe
	s_or_b32 exec_lo, exec_lo, s0
	v_dual_mov_b32 v6, 0 :: v_dual_add_nc_u32 v5, 4, v48
	s_delay_alu instid0(VALU_DEP_1)
	v_cmp_gt_u32_e32 vcc_lo, s22, v5
	v_mov_b32_e32 v5, 0
	s_and_saveexec_b32 s0, vcc_lo
	;; [unrolled: 39-line block ×5, first 2 shown]
	s_cbranch_execz .LBB494_33
; %bb.32:
	v_add_nc_u32_e32 v11, s5, v21
	v_add_nc_u32_e32 v13, s7, v21
	s_delay_alu instid0(VALU_DEP_2) | instskip(NEXT) | instid1(VALU_DEP_2)
	v_mul_lo_u32 v11, v11, s4
	v_mul_lo_u32 v13, v13, s6
	s_delay_alu instid0(VALU_DEP_1) | instskip(NEXT) | instid1(VALU_DEP_1)
	v_sub_nc_u32_e32 v11, v11, v13
	v_cmp_lt_u32_e32 vcc_lo, s3, v11
	s_wait_alu 0xfffd
	v_cndmask_b32_e64 v11, 0, 1, vcc_lo
.LBB494_33:
	s_wait_alu 0xfffe
	s_or_b32 exec_lo, exec_lo, s0
	v_add_nc_u32_e32 v13, 11, v48
	s_mov_b32 s0, exec_lo
	s_delay_alu instid0(VALU_DEP_1)
	v_cmpx_gt_u32_e64 s22, v13
	s_cbranch_execz .LBB494_35
; %bb.34:
	v_add_nc_u32_e32 v12, s5, v22
	v_add_nc_u32_e32 v13, s7, v22
	s_delay_alu instid0(VALU_DEP_2) | instskip(NEXT) | instid1(VALU_DEP_2)
	v_mul_lo_u32 v12, v12, s4
	v_mul_lo_u32 v13, v13, s6
	s_delay_alu instid0(VALU_DEP_1) | instskip(NEXT) | instid1(VALU_DEP_1)
	v_sub_nc_u32_e32 v12, v12, v13
	v_cmp_lt_u32_e32 vcc_lo, s3, v12
	s_wait_alu 0xfffd
	v_cndmask_b32_e64 v12, 0, 1, vcc_lo
.LBB494_35:
	s_wait_alu 0xfffe
	s_or_b32 exec_lo, exec_lo, s0
	v_add_nc_u32_e32 v13, 12, v48
	v_mov_b32_e32 v49, 0
	s_mov_b32 s0, exec_lo
	s_delay_alu instid0(VALU_DEP_2)
	v_cmpx_gt_u32_e64 s22, v13
	s_cbranch_execz .LBB494_37
; %bb.36:
	v_add_nc_u32_e32 v13, s5, v47
	v_add_nc_u32_e32 v14, s7, v47
	s_delay_alu instid0(VALU_DEP_2) | instskip(NEXT) | instid1(VALU_DEP_2)
	v_mul_lo_u32 v13, v13, s4
	v_mul_lo_u32 v14, v14, s6
	s_delay_alu instid0(VALU_DEP_1) | instskip(NEXT) | instid1(VALU_DEP_1)
	v_sub_nc_u32_e32 v13, v13, v14
	v_cmp_lt_u32_e32 vcc_lo, s3, v13
	s_wait_alu 0xfffd
	v_cndmask_b32_e64 v49, 0, 1, vcc_lo
.LBB494_37:
	s_wait_alu 0xfffe
	s_or_b32 exec_lo, exec_lo, s0
	v_lshlrev_b16 v2, 8, v2
	v_lshlrev_b16 v4, 8, v4
	;; [unrolled: 1-line block ×5, first 2 shown]
	v_or_b32_e32 v1, v1, v2
	v_lshlrev_b16 v2, 8, v12
	v_or_b32_e32 v3, v3, v4
	v_or_b32_e32 v4, v5, v6
	;; [unrolled: 1-line block ×5, first 2 shown]
	v_and_b32_e32 v1, 0xffff, v1
	v_lshlrev_b32_e32 v3, 16, v3
	v_and_b32_e32 v4, 0xffff, v4
	v_lshlrev_b32_e32 v5, 16, v5
	;; [unrolled: 2-line block ×3, first 2 shown]
	v_or_b32_e32 v54, v1, v3
	s_delay_alu instid0(VALU_DEP_4) | instskip(NEXT) | instid1(VALU_DEP_3)
	v_or_b32_e32 v52, v4, v5
	v_or_b32_e32 v50, v6, v2
.LBB494_38:
	s_delay_alu instid0(VALU_DEP_3)
	v_and_b32_e32 v56, 0xff, v54
	v_bfe_u32 v57, v54, 8, 8
	v_bfe_u32 v58, v54, 16, 8
	v_lshrrev_b32_e32 v55, 24, v54
	v_and_b32_e32 v59, 0xff, v52
	v_bfe_u32 v60, v52, 8, 8
	v_bfe_u32 v61, v52, 16, 8
	v_add3_u32 v1, v57, v56, v58
	v_lshrrev_b32_e32 v53, 24, v52
	v_and_b32_e32 v62, 0xff, v50
	v_bfe_u32 v63, v50, 8, 8
	v_mbcnt_lo_u32_b32 v65, -1, 0
	v_add3_u32 v1, v1, v55, v59
	v_bfe_u32 v64, v50, 16, 8
	v_lshrrev_b32_e32 v51, 24, v50
	v_and_b32_e32 v2, 0xff, v49
	v_and_b32_e32 v3, 15, v65
	v_add3_u32 v1, v1, v60, v61
	v_or_b32_e32 v4, 31, v0
	v_and_b32_e32 v5, 16, v65
	v_lshrrev_b32_e32 v66, 5, v0
	v_cmp_eq_u32_e64 s6, 0, v3
	v_add3_u32 v1, v1, v53, v62
	v_cmp_lt_u32_e64 s5, 1, v3
	v_cmp_lt_u32_e64 s4, 3, v3
	;; [unrolled: 1-line block ×3, first 2 shown]
	v_cmp_eq_u32_e64 s1, 0, v5
	v_add3_u32 v1, v1, v63, v64
	v_cmp_eq_u32_e64 s0, v0, v4
	s_cmp_lg_u32 s15, 0
	s_mov_b32 s7, -1
	v_add3_u32 v67, v1, v51, v2
	s_cbranch_scc0 .LBB494_59
; %bb.39:
	s_delay_alu instid0(VALU_DEP_1) | instskip(NEXT) | instid1(VALU_DEP_1)
	v_mov_b32_dpp v1, v67 row_shr:1 row_mask:0xf bank_mask:0xf
	v_cndmask_b32_e64 v1, v1, 0, s6
	s_delay_alu instid0(VALU_DEP_1) | instskip(NEXT) | instid1(VALU_DEP_1)
	v_add_nc_u32_e32 v1, v1, v67
	v_mov_b32_dpp v2, v1 row_shr:2 row_mask:0xf bank_mask:0xf
	s_delay_alu instid0(VALU_DEP_1) | instskip(NEXT) | instid1(VALU_DEP_1)
	v_cndmask_b32_e64 v2, 0, v2, s5
	v_add_nc_u32_e32 v1, v1, v2
	s_delay_alu instid0(VALU_DEP_1) | instskip(NEXT) | instid1(VALU_DEP_1)
	v_mov_b32_dpp v2, v1 row_shr:4 row_mask:0xf bank_mask:0xf
	v_cndmask_b32_e64 v2, 0, v2, s4
	s_delay_alu instid0(VALU_DEP_1) | instskip(NEXT) | instid1(VALU_DEP_1)
	v_add_nc_u32_e32 v1, v1, v2
	v_mov_b32_dpp v2, v1 row_shr:8 row_mask:0xf bank_mask:0xf
	s_delay_alu instid0(VALU_DEP_1) | instskip(NEXT) | instid1(VALU_DEP_1)
	v_cndmask_b32_e64 v2, 0, v2, s3
	v_add_nc_u32_e32 v1, v1, v2
	ds_swizzle_b32 v2, v1 offset:swizzle(BROADCAST,32,15)
	s_wait_dscnt 0x0
	v_cndmask_b32_e64 v2, v2, 0, s1
	s_delay_alu instid0(VALU_DEP_1)
	v_add_nc_u32_e32 v1, v1, v2
	s_and_saveexec_b32 s7, s0
; %bb.40:
	v_lshlrev_b32_e32 v2, 2, v66
	ds_store_b32 v2, v1
; %bb.41:
	s_wait_alu 0xfffe
	s_or_b32 exec_lo, exec_lo, s7
	s_delay_alu instid0(SALU_CYCLE_1)
	s_mov_b32 s7, exec_lo
	s_wait_loadcnt_dscnt 0x0
	s_barrier_signal -1
	s_barrier_wait -1
	global_inv scope:SCOPE_SE
	v_cmpx_gt_u32_e32 8, v0
	s_cbranch_execz .LBB494_43
; %bb.42:
	ds_load_b32 v2, v45
	s_wait_dscnt 0x0
	v_mov_b32_dpp v4, v2 row_shr:1 row_mask:0xf bank_mask:0xf
	v_and_b32_e32 v3, 7, v65
	s_delay_alu instid0(VALU_DEP_1) | instskip(SKIP_1) | instid1(VALU_DEP_3)
	v_cmp_ne_u32_e32 vcc_lo, 0, v3
	s_wait_alu 0xfffd
	v_cndmask_b32_e32 v4, 0, v4, vcc_lo
	v_cmp_lt_u32_e32 vcc_lo, 1, v3
	s_delay_alu instid0(VALU_DEP_2) | instskip(NEXT) | instid1(VALU_DEP_1)
	v_add_nc_u32_e32 v2, v4, v2
	v_mov_b32_dpp v4, v2 row_shr:2 row_mask:0xf bank_mask:0xf
	s_wait_alu 0xfffd
	s_delay_alu instid0(VALU_DEP_1) | instskip(SKIP_1) | instid1(VALU_DEP_2)
	v_cndmask_b32_e32 v4, 0, v4, vcc_lo
	v_cmp_lt_u32_e32 vcc_lo, 3, v3
	v_add_nc_u32_e32 v2, v2, v4
	s_delay_alu instid0(VALU_DEP_1) | instskip(SKIP_1) | instid1(VALU_DEP_1)
	v_mov_b32_dpp v4, v2 row_shr:4 row_mask:0xf bank_mask:0xf
	s_wait_alu 0xfffd
	v_cndmask_b32_e32 v3, 0, v4, vcc_lo
	s_delay_alu instid0(VALU_DEP_1)
	v_add_nc_u32_e32 v2, v2, v3
	ds_store_b32 v45, v2
.LBB494_43:
	s_wait_alu 0xfffe
	s_or_b32 exec_lo, exec_lo, s7
	s_delay_alu instid0(SALU_CYCLE_1)
	s_mov_b32 s8, exec_lo
	v_cmp_gt_u32_e32 vcc_lo, 32, v0
	s_wait_loadcnt_dscnt 0x0
	s_barrier_signal -1
	s_barrier_wait -1
	global_inv scope:SCOPE_SE
                                        ; implicit-def: $vgpr9
	v_cmpx_lt_u32_e32 31, v0
	s_cbranch_execz .LBB494_45
; %bb.44:
	v_lshl_add_u32 v2, v66, 2, -4
	ds_load_b32 v9, v2
	s_wait_dscnt 0x0
	v_add_nc_u32_e32 v1, v9, v1
.LBB494_45:
	s_wait_alu 0xfffe
	s_or_b32 exec_lo, exec_lo, s8
	v_sub_co_u32 v2, s7, v65, 1
	s_delay_alu instid0(VALU_DEP_1) | instskip(SKIP_1) | instid1(VALU_DEP_1)
	v_cmp_gt_i32_e64 s8, 0, v2
	s_wait_alu 0xf1ff
	v_cndmask_b32_e64 v2, v2, v65, s8
	s_delay_alu instid0(VALU_DEP_1)
	v_lshlrev_b32_e32 v2, 2, v2
	ds_bpermute_b32 v10, v2, v1
	s_and_saveexec_b32 s8, vcc_lo
	s_cbranch_execz .LBB494_64
; %bb.46:
	v_mov_b32_e32 v5, 0
	ds_load_b32 v1, v5 offset:28
	s_and_saveexec_b32 s23, s7
	s_cbranch_execz .LBB494_48
; %bb.47:
	s_add_co_i32 s24, s15, 32
	s_mov_b32 s25, 0
	v_mov_b32_e32 v2, 1
	s_lshl_b64 s[24:25], s[24:25], 3
	s_delay_alu instid0(SALU_CYCLE_1)
	s_add_nc_u64 s[24:25], s[20:21], s[24:25]
	s_wait_dscnt 0x0
	global_store_b64 v5, v[1:2], s[24:25] scope:SCOPE_DEV
.LBB494_48:
	s_wait_alu 0xfffe
	s_or_b32 exec_lo, exec_lo, s23
	v_xad_u32 v3, v65, -1, s15
	s_mov_b32 s24, 0
	s_mov_b32 s23, exec_lo
	s_delay_alu instid0(VALU_DEP_1) | instskip(NEXT) | instid1(VALU_DEP_1)
	v_add_nc_u32_e32 v4, 32, v3
	v_lshlrev_b64_e32 v[4:5], 3, v[4:5]
	s_delay_alu instid0(VALU_DEP_1) | instskip(SKIP_1) | instid1(VALU_DEP_2)
	v_add_co_u32 v7, vcc_lo, s20, v4
	s_wait_alu 0xfffd
	v_add_co_ci_u32_e64 v8, null, s21, v5, vcc_lo
	global_load_b64 v[5:6], v[7:8], off scope:SCOPE_DEV
	s_wait_loadcnt 0x0
	v_and_b32_e32 v2, 0xff, v6
	s_delay_alu instid0(VALU_DEP_1)
	v_cmpx_eq_u16_e32 0, v2
	s_cbranch_execz .LBB494_51
.LBB494_49:                             ; =>This Inner Loop Header: Depth=1
	global_load_b64 v[5:6], v[7:8], off scope:SCOPE_DEV
	s_wait_loadcnt 0x0
	v_and_b32_e32 v2, 0xff, v6
	s_delay_alu instid0(VALU_DEP_1) | instskip(SKIP_1) | instid1(SALU_CYCLE_1)
	v_cmp_ne_u16_e32 vcc_lo, 0, v2
	s_or_b32 s24, vcc_lo, s24
	s_and_not1_b32 exec_lo, exec_lo, s24
	s_cbranch_execnz .LBB494_49
; %bb.50:
	s_or_b32 exec_lo, exec_lo, s24
.LBB494_51:
	s_wait_alu 0xfffe
	s_or_b32 exec_lo, exec_lo, s23
	v_cmp_ne_u32_e32 vcc_lo, 31, v65
	v_lshlrev_b32_e64 v12, v65, -1
	v_add_nc_u32_e32 v14, 2, v65
	v_add_nc_u32_e32 v16, 4, v65
	;; [unrolled: 1-line block ×3, first 2 shown]
	s_wait_alu 0xfffd
	v_add_co_ci_u32_e64 v2, null, 0, v65, vcc_lo
	v_lshl_or_b32 v68, v65, 2, 64
	v_add_nc_u32_e32 v69, 16, v65
	s_delay_alu instid0(VALU_DEP_3)
	v_lshlrev_b32_e32 v11, 2, v2
	v_and_b32_e32 v2, 0xff, v6
	ds_bpermute_b32 v4, v11, v5
	v_cmp_eq_u16_e32 vcc_lo, 2, v2
	s_wait_alu 0xfffd
	v_and_or_b32 v2, vcc_lo, v12, 0x80000000
	v_cmp_gt_u32_e32 vcc_lo, 30, v65
	s_delay_alu instid0(VALU_DEP_2) | instskip(SKIP_2) | instid1(VALU_DEP_2)
	v_ctz_i32_b32_e32 v2, v2
	s_wait_alu 0xfffd
	v_cndmask_b32_e64 v7, 0, 2, vcc_lo
	v_cmp_lt_u32_e32 vcc_lo, v65, v2
	s_delay_alu instid0(VALU_DEP_2) | instskip(SKIP_4) | instid1(VALU_DEP_2)
	v_add_lshl_u32 v13, v7, v65, 2
	s_wait_dscnt 0x0
	s_wait_alu 0xfffd
	v_cndmask_b32_e32 v4, 0, v4, vcc_lo
	v_cmp_gt_u32_e32 vcc_lo, 28, v65
	v_add_nc_u32_e32 v4, v4, v5
	s_wait_alu 0xfffd
	v_cndmask_b32_e64 v7, 0, 4, vcc_lo
	v_cmp_le_u32_e32 vcc_lo, v14, v2
	ds_bpermute_b32 v5, v13, v4
	v_add_lshl_u32 v15, v7, v65, 2
	s_wait_dscnt 0x0
	s_wait_alu 0xfffd
	v_cndmask_b32_e32 v5, 0, v5, vcc_lo
	v_cmp_gt_u32_e32 vcc_lo, 24, v65
	s_delay_alu instid0(VALU_DEP_2)
	v_add_nc_u32_e32 v4, v4, v5
	s_wait_alu 0xfffd
	v_cndmask_b32_e64 v7, 0, 8, vcc_lo
	v_cmp_le_u32_e32 vcc_lo, v16, v2
	ds_bpermute_b32 v5, v15, v4
	v_add_lshl_u32 v19, v7, v65, 2
	s_wait_dscnt 0x0
	s_wait_alu 0xfffd
	v_cndmask_b32_e32 v5, 0, v5, vcc_lo
	v_cmp_le_u32_e32 vcc_lo, v20, v2
	s_delay_alu instid0(VALU_DEP_2)
	v_add_nc_u32_e32 v4, v4, v5
	ds_bpermute_b32 v5, v19, v4
	s_wait_dscnt 0x0
	s_wait_alu 0xfffd
	v_cndmask_b32_e32 v5, 0, v5, vcc_lo
	v_cmp_le_u32_e32 vcc_lo, v69, v2
	s_delay_alu instid0(VALU_DEP_2) | instskip(SKIP_4) | instid1(VALU_DEP_1)
	v_add_nc_u32_e32 v4, v4, v5
	ds_bpermute_b32 v5, v68, v4
	s_wait_dscnt 0x0
	s_wait_alu 0xfffd
	v_cndmask_b32_e32 v2, 0, v5, vcc_lo
	v_dual_mov_b32 v4, 0 :: v_dual_add_nc_u32 v5, v4, v2
	s_branch .LBB494_55
.LBB494_52:                             ;   in Loop: Header=BB494_55 Depth=1
	s_or_b32 exec_lo, exec_lo, s24
.LBB494_53:                             ;   in Loop: Header=BB494_55 Depth=1
	s_wait_alu 0xfffe
	s_or_b32 exec_lo, exec_lo, s23
	ds_bpermute_b32 v8, v11, v5
	v_and_b32_e32 v7, 0xff, v6
	v_subrev_nc_u32_e32 v3, 32, v3
	s_mov_b32 s23, 0
	s_delay_alu instid0(VALU_DEP_2) | instskip(SKIP_2) | instid1(VALU_DEP_1)
	v_cmp_eq_u16_e32 vcc_lo, 2, v7
	s_wait_alu 0xfffd
	v_and_or_b32 v7, vcc_lo, v12, 0x80000000
	v_ctz_i32_b32_e32 v7, v7
	s_delay_alu instid0(VALU_DEP_1) | instskip(SKIP_4) | instid1(VALU_DEP_2)
	v_cmp_lt_u32_e32 vcc_lo, v65, v7
	s_wait_dscnt 0x0
	s_wait_alu 0xfffd
	v_cndmask_b32_e32 v8, 0, v8, vcc_lo
	v_cmp_le_u32_e32 vcc_lo, v14, v7
	v_add_nc_u32_e32 v5, v8, v5
	ds_bpermute_b32 v8, v13, v5
	s_wait_dscnt 0x0
	s_wait_alu 0xfffd
	v_cndmask_b32_e32 v8, 0, v8, vcc_lo
	v_cmp_le_u32_e32 vcc_lo, v16, v7
	s_delay_alu instid0(VALU_DEP_2)
	v_add_nc_u32_e32 v5, v5, v8
	ds_bpermute_b32 v8, v15, v5
	s_wait_dscnt 0x0
	s_wait_alu 0xfffd
	v_cndmask_b32_e32 v8, 0, v8, vcc_lo
	v_cmp_le_u32_e32 vcc_lo, v20, v7
	s_delay_alu instid0(VALU_DEP_2)
	v_add_nc_u32_e32 v5, v5, v8
	ds_bpermute_b32 v8, v19, v5
	s_wait_dscnt 0x0
	s_wait_alu 0xfffd
	v_cndmask_b32_e32 v8, 0, v8, vcc_lo
	v_cmp_le_u32_e32 vcc_lo, v69, v7
	s_delay_alu instid0(VALU_DEP_2) | instskip(SKIP_4) | instid1(VALU_DEP_1)
	v_add_nc_u32_e32 v5, v5, v8
	ds_bpermute_b32 v8, v68, v5
	s_wait_dscnt 0x0
	s_wait_alu 0xfffd
	v_cndmask_b32_e32 v7, 0, v8, vcc_lo
	v_add3_u32 v5, v7, v2, v5
.LBB494_54:                             ;   in Loop: Header=BB494_55 Depth=1
	s_wait_alu 0xfffe
	s_and_b32 vcc_lo, exec_lo, s23
	s_wait_alu 0xfffe
	s_cbranch_vccnz .LBB494_60
.LBB494_55:                             ; =>This Loop Header: Depth=1
                                        ;     Child Loop BB494_58 Depth 2
	v_and_b32_e32 v2, 0xff, v6
	s_mov_b32 s23, -1
                                        ; implicit-def: $vgpr6
	s_delay_alu instid0(VALU_DEP_1)
	v_cmp_ne_u16_e32 vcc_lo, 2, v2
	v_mov_b32_e32 v2, v5
                                        ; implicit-def: $vgpr5
	s_cmp_lg_u32 vcc_lo, exec_lo
	s_cbranch_scc1 .LBB494_54
; %bb.56:                               ;   in Loop: Header=BB494_55 Depth=1
	v_lshlrev_b64_e32 v[5:6], 3, v[3:4]
	s_mov_b32 s23, exec_lo
	s_delay_alu instid0(VALU_DEP_1) | instskip(SKIP_1) | instid1(VALU_DEP_2)
	v_add_co_u32 v7, vcc_lo, s20, v5
	s_wait_alu 0xfffd
	v_add_co_ci_u32_e64 v8, null, s21, v6, vcc_lo
	global_load_b64 v[5:6], v[7:8], off scope:SCOPE_DEV
	s_wait_loadcnt 0x0
	v_and_b32_e32 v70, 0xff, v6
	s_delay_alu instid0(VALU_DEP_1)
	v_cmpx_eq_u16_e32 0, v70
	s_cbranch_execz .LBB494_53
; %bb.57:                               ;   in Loop: Header=BB494_55 Depth=1
	s_mov_b32 s24, 0
.LBB494_58:                             ;   Parent Loop BB494_55 Depth=1
                                        ; =>  This Inner Loop Header: Depth=2
	global_load_b64 v[5:6], v[7:8], off scope:SCOPE_DEV
	s_wait_loadcnt 0x0
	v_and_b32_e32 v70, 0xff, v6
	s_delay_alu instid0(VALU_DEP_1) | instskip(SKIP_1) | instid1(SALU_CYCLE_1)
	v_cmp_ne_u16_e32 vcc_lo, 0, v70
	s_or_b32 s24, vcc_lo, s24
	s_and_not1_b32 exec_lo, exec_lo, s24
	s_cbranch_execnz .LBB494_58
	s_branch .LBB494_52
.LBB494_59:
                                        ; implicit-def: $vgpr20
                                        ; implicit-def: $vgpr1_vgpr2_vgpr3_vgpr4_vgpr5_vgpr6_vgpr7_vgpr8_vgpr9_vgpr10_vgpr11_vgpr12_vgpr13_vgpr14_vgpr15_vgpr16
	s_wait_alu 0xfffe
	s_and_b32 vcc_lo, exec_lo, s7
	s_wait_alu 0xfffe
	s_cbranch_vccnz .LBB494_65
	s_branch .LBB494_74
.LBB494_60:
	s_and_saveexec_b32 s23, s7
	s_cbranch_execz .LBB494_62
; %bb.61:
	s_add_co_i32 s24, s15, 32
	s_mov_b32 s25, 0
	v_dual_mov_b32 v4, 2 :: v_dual_add_nc_u32 v3, v2, v1
	v_mov_b32_e32 v5, 0
	s_lshl_b64 s[24:25], s[24:25], 3
	s_delay_alu instid0(SALU_CYCLE_1)
	s_add_nc_u64 s[24:25], s[20:21], s[24:25]
	global_store_b64 v5, v[3:4], s[24:25] scope:SCOPE_DEV
	ds_store_b64 v5, v[1:2] offset:13312
.LBB494_62:
	s_wait_alu 0xfffe
	s_or_b32 exec_lo, exec_lo, s23
	s_delay_alu instid0(SALU_CYCLE_1)
	s_and_b32 exec_lo, exec_lo, s2
; %bb.63:
	v_mov_b32_e32 v1, 0
	ds_store_b32 v1, v2 offset:28
.LBB494_64:
	s_wait_alu 0xfffe
	s_or_b32 exec_lo, exec_lo, s8
	v_mov_b32_e32 v11, 0
	s_wait_storecnt 0x0
	s_wait_loadcnt_dscnt 0x0
	s_barrier_signal -1
	s_barrier_wait -1
	global_inv scope:SCOPE_SE
	ds_load_b32 v1, v11 offset:28
	v_cndmask_b32_e64 v2, v10, v9, s7
	s_wait_loadcnt_dscnt 0x0
	s_barrier_signal -1
	s_barrier_wait -1
	global_inv scope:SCOPE_SE
	v_cndmask_b32_e64 v2, v2, 0, s2
	s_delay_alu instid0(VALU_DEP_1) | instskip(NEXT) | instid1(VALU_DEP_1)
	v_add_nc_u32_e32 v1, v1, v2
	v_add_nc_u32_e32 v2, v1, v56
	ds_load_b64 v[19:20], v11 offset:13312
	v_add_nc_u32_e32 v3, v2, v57
	s_delay_alu instid0(VALU_DEP_1) | instskip(NEXT) | instid1(VALU_DEP_1)
	v_add_nc_u32_e32 v4, v3, v58
	v_add_nc_u32_e32 v5, v4, v55
	s_delay_alu instid0(VALU_DEP_1) | instskip(NEXT) | instid1(VALU_DEP_1)
	v_add_nc_u32_e32 v6, v5, v59
	;; [unrolled: 3-line block ×5, first 2 shown]
	v_add_nc_u32_e32 v13, v12, v51
	s_branch .LBB494_74
.LBB494_65:
	v_mov_b32_dpp v1, v67 row_shr:1 row_mask:0xf bank_mask:0xf
	s_delay_alu instid0(VALU_DEP_1) | instskip(NEXT) | instid1(VALU_DEP_1)
	v_cndmask_b32_e64 v1, v1, 0, s6
	v_add_nc_u32_e32 v1, v1, v67
	s_delay_alu instid0(VALU_DEP_1) | instskip(NEXT) | instid1(VALU_DEP_1)
	v_mov_b32_dpp v2, v1 row_shr:2 row_mask:0xf bank_mask:0xf
	v_cndmask_b32_e64 v2, 0, v2, s5
	s_delay_alu instid0(VALU_DEP_1) | instskip(NEXT) | instid1(VALU_DEP_1)
	v_add_nc_u32_e32 v1, v1, v2
	v_mov_b32_dpp v2, v1 row_shr:4 row_mask:0xf bank_mask:0xf
	s_delay_alu instid0(VALU_DEP_1) | instskip(NEXT) | instid1(VALU_DEP_1)
	v_cndmask_b32_e64 v2, 0, v2, s4
	v_add_nc_u32_e32 v1, v1, v2
	s_delay_alu instid0(VALU_DEP_1) | instskip(NEXT) | instid1(VALU_DEP_1)
	v_mov_b32_dpp v2, v1 row_shr:8 row_mask:0xf bank_mask:0xf
	v_cndmask_b32_e64 v2, 0, v2, s3
	s_delay_alu instid0(VALU_DEP_1) | instskip(SKIP_3) | instid1(VALU_DEP_1)
	v_add_nc_u32_e32 v1, v1, v2
	ds_swizzle_b32 v2, v1 offset:swizzle(BROADCAST,32,15)
	s_wait_dscnt 0x0
	v_cndmask_b32_e64 v2, v2, 0, s1
	v_add_nc_u32_e32 v1, v1, v2
	s_and_saveexec_b32 s1, s0
; %bb.66:
	v_lshlrev_b32_e32 v2, 2, v66
	ds_store_b32 v2, v1
; %bb.67:
	s_wait_alu 0xfffe
	s_or_b32 exec_lo, exec_lo, s1
	s_delay_alu instid0(SALU_CYCLE_1)
	s_mov_b32 s0, exec_lo
	s_wait_loadcnt_dscnt 0x0
	s_barrier_signal -1
	s_barrier_wait -1
	global_inv scope:SCOPE_SE
	v_cmpx_gt_u32_e32 8, v0
	s_cbranch_execz .LBB494_69
; %bb.68:
	ds_load_b32 v2, v45
	s_wait_dscnt 0x0
	v_mov_b32_dpp v4, v2 row_shr:1 row_mask:0xf bank_mask:0xf
	v_and_b32_e32 v3, 7, v65
	s_delay_alu instid0(VALU_DEP_1) | instskip(SKIP_1) | instid1(VALU_DEP_3)
	v_cmp_ne_u32_e32 vcc_lo, 0, v3
	s_wait_alu 0xfffd
	v_cndmask_b32_e32 v4, 0, v4, vcc_lo
	v_cmp_lt_u32_e32 vcc_lo, 1, v3
	s_delay_alu instid0(VALU_DEP_2) | instskip(NEXT) | instid1(VALU_DEP_1)
	v_add_nc_u32_e32 v2, v4, v2
	v_mov_b32_dpp v4, v2 row_shr:2 row_mask:0xf bank_mask:0xf
	s_wait_alu 0xfffd
	s_delay_alu instid0(VALU_DEP_1) | instskip(SKIP_1) | instid1(VALU_DEP_2)
	v_cndmask_b32_e32 v4, 0, v4, vcc_lo
	v_cmp_lt_u32_e32 vcc_lo, 3, v3
	v_add_nc_u32_e32 v2, v2, v4
	s_delay_alu instid0(VALU_DEP_1) | instskip(SKIP_1) | instid1(VALU_DEP_1)
	v_mov_b32_dpp v4, v2 row_shr:4 row_mask:0xf bank_mask:0xf
	s_wait_alu 0xfffd
	v_cndmask_b32_e32 v3, 0, v4, vcc_lo
	s_delay_alu instid0(VALU_DEP_1)
	v_add_nc_u32_e32 v2, v2, v3
	ds_store_b32 v45, v2
.LBB494_69:
	s_wait_alu 0xfffe
	s_or_b32 exec_lo, exec_lo, s0
	v_dual_mov_b32 v3, 0 :: v_dual_mov_b32 v2, 0
	s_mov_b32 s0, exec_lo
	s_wait_loadcnt_dscnt 0x0
	s_barrier_signal -1
	s_barrier_wait -1
	global_inv scope:SCOPE_SE
	v_cmpx_lt_u32_e32 31, v0
; %bb.70:
	v_lshl_add_u32 v2, v66, 2, -4
	ds_load_b32 v2, v2
; %bb.71:
	s_wait_alu 0xfffe
	s_or_b32 exec_lo, exec_lo, s0
	v_sub_co_u32 v4, vcc_lo, v65, 1
	s_wait_dscnt 0x0
	v_add_nc_u32_e32 v1, v2, v1
	ds_load_b32 v19, v3 offset:28
	v_cmp_gt_i32_e64 s0, 0, v4
	s_wait_alu 0xf1ff
	s_delay_alu instid0(VALU_DEP_1) | instskip(NEXT) | instid1(VALU_DEP_1)
	v_cndmask_b32_e64 v4, v4, v65, s0
	v_lshlrev_b32_e32 v4, 2, v4
	ds_bpermute_b32 v1, v4, v1
	s_and_saveexec_b32 s0, s2
	s_cbranch_execz .LBB494_73
; %bb.72:
	v_dual_mov_b32 v3, 0 :: v_dual_mov_b32 v20, 2
	s_wait_dscnt 0x1
	global_store_b64 v3, v[19:20], s[20:21] offset:256 scope:SCOPE_DEV
.LBB494_73:
	s_wait_alu 0xfffe
	s_or_b32 exec_lo, exec_lo, s0
	s_wait_dscnt 0x0
	s_wait_alu 0xfffd
	v_cndmask_b32_e32 v1, v1, v2, vcc_lo
	s_wait_loadcnt 0x0
	s_wait_storecnt 0x0
	s_barrier_signal -1
	s_barrier_wait -1
	global_inv scope:SCOPE_SE
	v_cndmask_b32_e64 v1, v1, 0, s2
	v_mov_b32_e32 v20, 0
	s_delay_alu instid0(VALU_DEP_2) | instskip(NEXT) | instid1(VALU_DEP_1)
	v_add_nc_u32_e32 v2, v1, v56
	v_add_nc_u32_e32 v3, v2, v57
	s_delay_alu instid0(VALU_DEP_1) | instskip(NEXT) | instid1(VALU_DEP_1)
	v_add_nc_u32_e32 v4, v3, v58
	v_add_nc_u32_e32 v5, v4, v55
	s_delay_alu instid0(VALU_DEP_1) | instskip(NEXT) | instid1(VALU_DEP_1)
	;; [unrolled: 3-line block ×5, first 2 shown]
	v_add_nc_u32_e32 v12, v11, v64
	v_add_nc_u32_e32 v13, v12, v51
.LBB494_74:
	s_wait_dscnt 0x0
	v_sub_nc_u32_e32 v1, v1, v20
	v_sub_nc_u32_e32 v2, v2, v20
	v_add_nc_u32_e32 v48, v19, v48
	v_lshrrev_b32_e32 v58, 8, v54
	v_lshrrev_b32_e32 v57, 16, v54
	v_sub_nc_u32_e32 v4, v4, v20
	v_sub_nc_u32_e32 v3, v3, v20
	;; [unrolled: 1-line block ×3, first 2 shown]
	v_and_b32_e32 v54, 1, v54
	v_and_b32_e32 v58, 1, v58
	;; [unrolled: 1-line block ×3, first 2 shown]
	v_lshrrev_b32_e32 v56, 8, v52
	v_lshrrev_b32_e32 v16, 16, v52
	v_cmp_eq_u32_e32 vcc_lo, 1, v54
	v_and_b32_e32 v54, 1, v57
	v_sub_nc_u32_e32 v57, v48, v2
	v_lshrrev_b32_e32 v15, 8, v50
	v_lshrrev_b32_e32 v14, 16, v50
	s_wait_alu 0xfffd
	v_cndmask_b32_e32 v1, v59, v1, vcc_lo
	v_cmp_eq_u32_e32 vcc_lo, 1, v58
	v_add_nc_u32_e32 v57, 1, v57
	s_delay_alu instid0(VALU_DEP_3)
	v_lshlrev_b32_e32 v1, 2, v1
	ds_store_b32 v1, v31
	s_wait_alu 0xfffd
	v_cndmask_b32_e32 v1, v57, v2, vcc_lo
	v_sub_nc_u32_e32 v59, v48, v3
	v_sub_nc_u32_e32 v60, v48, v4
	v_cmp_eq_u32_e32 vcc_lo, 1, v54
	s_delay_alu instid0(VALU_DEP_4) | instskip(NEXT) | instid1(VALU_DEP_4)
	v_lshlrev_b32_e32 v1, 2, v1
	v_add_nc_u32_e32 v59, 2, v59
	s_delay_alu instid0(VALU_DEP_4)
	v_add_nc_u32_e32 v60, 3, v60
	ds_store_b32 v1, v32
	s_wait_alu 0xfffd
	v_cndmask_b32_e32 v2, v59, v3, vcc_lo
	v_cmp_eq_u32_e32 vcc_lo, 1, v55
	s_wait_alu 0xfffd
	s_delay_alu instid0(VALU_DEP_2) | instskip(SKIP_2) | instid1(VALU_DEP_3)
	v_dual_cndmask_b32 v3, v60, v4 :: v_dual_lshlrev_b32 v2, 2, v2
	v_sub_nc_u32_e32 v4, v5, v20
	v_sub_nc_u32_e32 v5, v6, v20
	v_lshlrev_b32_e32 v3, 2, v3
	s_delay_alu instid0(VALU_DEP_3) | instskip(NEXT) | instid1(VALU_DEP_3)
	v_sub_nc_u32_e32 v1, v48, v4
	v_sub_nc_u32_e32 v6, v48, v5
	ds_store_b32 v2, v29
	ds_store_b32 v3, v30
	v_and_b32_e32 v2, 1, v52
	v_add_nc_u32_e32 v1, 4, v1
	v_add_nc_u32_e32 v3, 5, v6
	v_sub_nc_u32_e32 v6, v7, v20
	v_and_b32_e32 v7, 1, v56
	v_cmp_eq_u32_e32 vcc_lo, 1, v2
	v_sub_nc_u32_e32 v2, v8, v20
	s_wait_alu 0xfffd
	v_dual_cndmask_b32 v1, v1, v4 :: v_dual_and_b32 v8, 1, v53
	v_sub_nc_u32_e32 v4, v48, v6
	v_cmp_eq_u32_e32 vcc_lo, 1, v7
	v_and_b32_e32 v7, 1, v16
	s_delay_alu instid0(VALU_DEP_4)
	v_lshlrev_b32_e32 v1, 2, v1
	s_wait_alu 0xfffd
	v_dual_cndmask_b32 v3, v3, v5 :: v_dual_add_nc_u32 v4, 6, v4
	v_sub_nc_u32_e32 v5, v48, v2
	v_cmp_eq_u32_e32 vcc_lo, 1, v7
	v_sub_nc_u32_e32 v7, v13, v20
	s_delay_alu instid0(VALU_DEP_4)
	v_lshlrev_b32_e32 v3, 2, v3
	s_wait_alu 0xfffd
	v_dual_cndmask_b32 v4, v4, v6 :: v_dual_add_nc_u32 v5, 7, v5
	v_cmp_eq_u32_e32 vcc_lo, 1, v8
	v_sub_nc_u32_e32 v6, v9, v20
	ds_store_b32 v1, v27
	ds_store_b32 v3, v28
	s_wait_alu 0xfffd
	v_dual_cndmask_b32 v2, v5, v2 :: v_dual_lshlrev_b32 v3, 2, v4
	v_sub_nc_u32_e32 v1, v48, v6
	v_and_b32_e32 v5, 1, v50
	v_sub_nc_u32_e32 v4, v10, v20
	v_and_b32_e32 v10, 1, v51
	v_lshlrev_b32_e32 v2, 2, v2
	v_add_nc_u32_e32 v1, 8, v1
	ds_store_b32 v3, v25
	ds_store_b32 v2, v26
	v_cmp_eq_u32_e32 vcc_lo, 1, v5
	v_sub_nc_u32_e32 v3, v11, v20
	v_sub_nc_u32_e32 v2, v48, v4
	;; [unrolled: 1-line block ×3, first 2 shown]
	v_and_b32_e32 v11, 1, v49
	s_wait_alu 0xfffd
	v_dual_cndmask_b32 v1, v1, v6 :: v_dual_and_b32 v6, 1, v15
	v_sub_nc_u32_e32 v8, v48, v3
	v_add_nc_u32_e32 v2, 9, v2
	v_sub_nc_u32_e32 v9, v48, v5
	s_delay_alu instid0(VALU_DEP_4)
	v_lshlrev_b32_e32 v1, 2, v1
	v_cmp_eq_u32_e32 vcc_lo, 1, v6
	v_add_nc_u32_e32 v6, 10, v8
	v_and_b32_e32 v8, 1, v14
	v_add_nc_u32_e32 v9, 11, v9
	v_add_co_u32 v15, s0, v17, v20
	s_wait_alu 0xfffd
	v_cndmask_b32_e32 v2, v2, v4, vcc_lo
	v_cmp_eq_u32_e32 vcc_lo, 1, v8
	v_sub_nc_u32_e32 v4, v48, v7
	s_wait_alu 0xf1ff
	v_add_co_ci_u32_e64 v16, null, 0, v18, s0
	s_wait_alu 0xfffd
	v_dual_cndmask_b32 v3, v6, v3 :: v_dual_lshlrev_b32 v2, 2, v2
	v_cmp_eq_u32_e32 vcc_lo, 1, v10
	v_add_nc_u32_e32 v4, 12, v4
	s_delay_alu instid0(VALU_DEP_3) | instskip(SKIP_4) | instid1(VALU_DEP_2)
	v_lshlrev_b32_e32 v3, 2, v3
	s_wait_alu 0xfffd
	v_cndmask_b32_e32 v5, v9, v5, vcc_lo
	v_cmp_eq_u32_e32 vcc_lo, 1, v11
	s_wait_alu 0xfffd
	v_dual_cndmask_b32 v4, v4, v7 :: v_dual_lshlrev_b32 v5, 2, v5
	v_cmp_ne_u32_e32 vcc_lo, 1, v46
	s_delay_alu instid0(VALU_DEP_2)
	v_lshlrev_b32_e32 v4, 2, v4
	ds_store_b32 v1, v23
	ds_store_b32 v2, v24
	;; [unrolled: 1-line block ×5, first 2 shown]
	s_wait_loadcnt_dscnt 0x0
	s_barrier_signal -1
	s_barrier_wait -1
	global_inv scope:SCOPE_SE
	ds_load_2addr_stride64_b32 v[11:12], v45 offset1:4
	ds_load_2addr_stride64_b32 v[9:10], v45 offset0:8 offset1:12
	ds_load_2addr_stride64_b32 v[7:8], v45 offset0:16 offset1:20
	;; [unrolled: 1-line block ×5, first 2 shown]
	ds_load_b32 v21, v45 offset:12288
	s_cbranch_vccnz .LBB494_131
; %bb.75:
	s_mov_b32 s15, 0
	v_sub_co_u32 v13, vcc_lo, v15, s16
	s_wait_alu 0xfffe
	s_sub_nc_u64 s[0:1], s[18:19], s[14:15]
	s_wait_alu 0xfffd
	v_subrev_co_ci_u32_e64 v14, null, s17, v16, vcc_lo
	s_wait_alu 0xfffe
	v_add_co_u32 v17, s0, s0, v19
	s_wait_alu 0xf1ff
	v_add_co_ci_u32_e64 v18, null, s1, 0, s0
	s_mov_b32 s0, exec_lo
	v_add_co_u32 v17, vcc_lo, v17, v13
	s_wait_alu 0xfffd
	v_add_co_ci_u32_e64 v18, null, v18, v14, vcc_lo
                                        ; implicit-def: $vgpr13_vgpr14
	v_cmpx_ge_u32_e64 v0, v19
	s_wait_alu 0xfffe
	s_xor_b32 s0, exec_lo, s0
; %bb.76:
	v_not_b32_e32 v13, v0
	s_delay_alu instid0(VALU_DEP_1) | instskip(SKIP_2) | instid1(VALU_DEP_2)
	v_ashrrev_i32_e32 v14, 31, v13
	v_add_co_u32 v13, vcc_lo, v17, v13
	s_wait_alu 0xfffd
	v_add_co_ci_u32_e64 v14, null, v18, v14, vcc_lo
; %bb.77:
	s_wait_alu 0xfffe
	s_and_not1_saveexec_b32 s0, s0
; %bb.78:
	v_add_co_u32 v13, vcc_lo, v15, v0
	s_wait_alu 0xfffd
	v_add_co_ci_u32_e64 v14, null, 0, v16, vcc_lo
; %bb.79:
	s_wait_alu 0xfffe
	s_or_b32 exec_lo, exec_lo, s0
	s_delay_alu instid0(VALU_DEP_1) | instskip(SKIP_1) | instid1(VALU_DEP_1)
	v_lshlrev_b64_e32 v[13:14], 2, v[13:14]
	s_mov_b32 s0, exec_lo
	v_add_co_u32 v13, vcc_lo, s10, v13
	s_wait_alu 0xfffd
	s_delay_alu instid0(VALU_DEP_2)
	v_add_co_ci_u32_e64 v14, null, s11, v14, vcc_lo
	s_wait_dscnt 0x6
	global_store_b32 v[13:14], v11, off
                                        ; implicit-def: $vgpr13_vgpr14
	v_cmpx_ge_u32_e64 v44, v19
	s_wait_alu 0xfffe
	s_xor_b32 s0, exec_lo, s0
; %bb.80:
	v_xor_b32_e32 v13, 0xfffffeff, v0
	s_delay_alu instid0(VALU_DEP_1) | instskip(SKIP_2) | instid1(VALU_DEP_2)
	v_ashrrev_i32_e32 v14, 31, v13
	v_add_co_u32 v13, vcc_lo, v17, v13
	s_wait_alu 0xfffd
	v_add_co_ci_u32_e64 v14, null, v18, v14, vcc_lo
; %bb.81:
	s_wait_alu 0xfffe
	s_and_not1_saveexec_b32 s0, s0
; %bb.82:
	v_add_co_u32 v13, vcc_lo, v15, v44
	s_wait_alu 0xfffd
	v_add_co_ci_u32_e64 v14, null, 0, v16, vcc_lo
; %bb.83:
	s_wait_alu 0xfffe
	s_or_b32 exec_lo, exec_lo, s0
	s_delay_alu instid0(VALU_DEP_1) | instskip(SKIP_1) | instid1(VALU_DEP_1)
	v_lshlrev_b64_e32 v[13:14], 2, v[13:14]
	s_mov_b32 s0, exec_lo
	v_add_co_u32 v13, vcc_lo, s10, v13
	s_wait_alu 0xfffd
	s_delay_alu instid0(VALU_DEP_2)
	v_add_co_ci_u32_e64 v14, null, s11, v14, vcc_lo
	global_store_b32 v[13:14], v12, off
                                        ; implicit-def: $vgpr13_vgpr14
	v_cmpx_ge_u32_e64 v43, v19
	s_wait_alu 0xfffe
	s_xor_b32 s0, exec_lo, s0
; %bb.84:
	v_xor_b32_e32 v13, 0xfffffdff, v0
	s_delay_alu instid0(VALU_DEP_1) | instskip(SKIP_2) | instid1(VALU_DEP_2)
	v_ashrrev_i32_e32 v14, 31, v13
	v_add_co_u32 v13, vcc_lo, v17, v13
	s_wait_alu 0xfffd
	v_add_co_ci_u32_e64 v14, null, v18, v14, vcc_lo
; %bb.85:
	s_wait_alu 0xfffe
	s_and_not1_saveexec_b32 s0, s0
; %bb.86:
	v_add_co_u32 v13, vcc_lo, v15, v43
	s_wait_alu 0xfffd
	v_add_co_ci_u32_e64 v14, null, 0, v16, vcc_lo
; %bb.87:
	s_wait_alu 0xfffe
	s_or_b32 exec_lo, exec_lo, s0
	s_delay_alu instid0(VALU_DEP_1) | instskip(SKIP_1) | instid1(VALU_DEP_1)
	v_lshlrev_b64_e32 v[13:14], 2, v[13:14]
	s_mov_b32 s0, exec_lo
	v_add_co_u32 v13, vcc_lo, s10, v13
	s_wait_alu 0xfffd
	s_delay_alu instid0(VALU_DEP_2)
	v_add_co_ci_u32_e64 v14, null, s11, v14, vcc_lo
	s_wait_dscnt 0x5
	global_store_b32 v[13:14], v9, off
                                        ; implicit-def: $vgpr13_vgpr14
	v_cmpx_ge_u32_e64 v42, v19
	s_wait_alu 0xfffe
	s_xor_b32 s0, exec_lo, s0
; %bb.88:
	v_xor_b32_e32 v13, 0xfffffcff, v0
	s_delay_alu instid0(VALU_DEP_1) | instskip(SKIP_2) | instid1(VALU_DEP_2)
	v_ashrrev_i32_e32 v14, 31, v13
	v_add_co_u32 v13, vcc_lo, v17, v13
	s_wait_alu 0xfffd
	v_add_co_ci_u32_e64 v14, null, v18, v14, vcc_lo
; %bb.89:
	s_wait_alu 0xfffe
	s_and_not1_saveexec_b32 s0, s0
; %bb.90:
	v_add_co_u32 v13, vcc_lo, v15, v42
	s_wait_alu 0xfffd
	v_add_co_ci_u32_e64 v14, null, 0, v16, vcc_lo
; %bb.91:
	s_wait_alu 0xfffe
	s_or_b32 exec_lo, exec_lo, s0
	s_delay_alu instid0(VALU_DEP_1) | instskip(SKIP_1) | instid1(VALU_DEP_1)
	v_lshlrev_b64_e32 v[13:14], 2, v[13:14]
	s_mov_b32 s0, exec_lo
	v_add_co_u32 v13, vcc_lo, s10, v13
	s_wait_alu 0xfffd
	s_delay_alu instid0(VALU_DEP_2)
	v_add_co_ci_u32_e64 v14, null, s11, v14, vcc_lo
	global_store_b32 v[13:14], v10, off
                                        ; implicit-def: $vgpr13_vgpr14
	v_cmpx_ge_u32_e64 v41, v19
	s_wait_alu 0xfffe
	s_xor_b32 s0, exec_lo, s0
; %bb.92:
	v_xor_b32_e32 v13, 0xfffffbff, v0
	;; [unrolled: 59-line block ×6, first 2 shown]
	s_delay_alu instid0(VALU_DEP_1) | instskip(SKIP_2) | instid1(VALU_DEP_2)
	v_ashrrev_i32_e32 v14, 31, v13
	v_add_co_u32 v13, vcc_lo, v17, v13
	s_wait_alu 0xfffd
	v_add_co_ci_u32_e64 v14, null, v18, v14, vcc_lo
; %bb.125:
	s_wait_alu 0xfffe
	s_and_not1_saveexec_b32 s0, s0
; %bb.126:
	v_add_co_u32 v13, vcc_lo, v15, v33
	s_wait_alu 0xfffd
	v_add_co_ci_u32_e64 v14, null, 0, v16, vcc_lo
; %bb.127:
	s_wait_alu 0xfffe
	s_or_b32 exec_lo, exec_lo, s0
	s_mov_b32 s0, -1
.LBB494_128:
	s_wait_alu 0xfffe
	s_and_saveexec_b32 s1, s0
	s_cbranch_execz .LBB494_211
.LBB494_129:
	s_wait_dscnt 0x1
	v_lshlrev_b64_e32 v[0:1], 2, v[13:14]
	s_delay_alu instid0(VALU_DEP_1) | instskip(SKIP_1) | instid1(VALU_DEP_2)
	v_add_co_u32 v0, vcc_lo, s10, v0
	s_wait_alu 0xfffd
	v_add_co_ci_u32_e64 v1, null, s11, v1, vcc_lo
	s_wait_dscnt 0x0
	global_store_b32 v[0:1], v21, off
	s_wait_alu 0xfffe
	s_or_b32 exec_lo, exec_lo, s1
	s_and_b32 s0, s2, s9
	s_wait_alu 0xfffe
	s_and_saveexec_b32 s1, s0
	s_cbranch_execnz .LBB494_212
.LBB494_130:
	s_endpgm
.LBB494_131:
	s_mov_b32 s0, 0
                                        ; implicit-def: $vgpr13_vgpr14
	s_cbranch_execz .LBB494_128
; %bb.132:
	s_mov_b32 s15, 0
	s_wait_alu 0xfffe
	s_add_nc_u64 s[4:5], s[16:17], s[14:15]
	s_wait_alu 0xfffe
	s_sub_nc_u64 s[4:5], s[18:19], s[4:5]
	s_wait_alu 0xfffe
	v_add_co_u32 v13, s1, s4, v19
	s_wait_alu 0xf1ff
	v_add_co_ci_u32_e64 v14, null, s5, 0, s1
	s_mov_b32 s1, exec_lo
	v_add_co_u32 v17, vcc_lo, v13, v15
	s_wait_alu 0xfffd
	v_add_co_ci_u32_e64 v18, null, v14, v16, vcc_lo
	v_cmpx_gt_u32_e64 s22, v0
	s_cbranch_execz .LBB494_168
; %bb.133:
	s_mov_b32 s3, exec_lo
                                        ; implicit-def: $vgpr13_vgpr14
	v_cmpx_ge_u32_e64 v0, v19
	s_wait_alu 0xfffe
	s_xor_b32 s3, exec_lo, s3
; %bb.134:
	v_not_b32_e32 v13, v0
	s_delay_alu instid0(VALU_DEP_1) | instskip(SKIP_2) | instid1(VALU_DEP_2)
	v_ashrrev_i32_e32 v14, 31, v13
	v_add_co_u32 v13, vcc_lo, v17, v13
	s_wait_alu 0xfffd
	v_add_co_ci_u32_e64 v14, null, v18, v14, vcc_lo
; %bb.135:
	s_wait_alu 0xfffe
	s_and_not1_saveexec_b32 s3, s3
; %bb.136:
	v_add_co_u32 v13, vcc_lo, v15, v0
	s_wait_alu 0xfffd
	v_add_co_ci_u32_e64 v14, null, 0, v16, vcc_lo
; %bb.137:
	s_wait_alu 0xfffe
	s_or_b32 exec_lo, exec_lo, s3
	s_delay_alu instid0(VALU_DEP_1) | instskip(NEXT) | instid1(VALU_DEP_1)
	v_lshlrev_b64_e32 v[13:14], 2, v[13:14]
	v_add_co_u32 v13, vcc_lo, s10, v13
	s_wait_alu 0xfffd
	s_delay_alu instid0(VALU_DEP_2) | instskip(SKIP_3) | instid1(SALU_CYCLE_1)
	v_add_co_ci_u32_e64 v14, null, s11, v14, vcc_lo
	s_wait_dscnt 0x6
	global_store_b32 v[13:14], v11, off
	s_or_b32 exec_lo, exec_lo, s1
	s_mov_b32 s1, exec_lo
	v_cmpx_gt_u32_e64 s22, v44
	s_cbranch_execnz .LBB494_169
.LBB494_138:
	s_wait_alu 0xfffe
	s_or_b32 exec_lo, exec_lo, s1
	s_delay_alu instid0(SALU_CYCLE_1)
	s_mov_b32 s1, exec_lo
	v_cmpx_gt_u32_e64 s22, v43
	s_cbranch_execz .LBB494_174
.LBB494_139:
	s_mov_b32 s3, exec_lo
                                        ; implicit-def: $vgpr11_vgpr12
	v_cmpx_ge_u32_e64 v43, v19
	s_wait_alu 0xfffe
	s_xor_b32 s3, exec_lo, s3
	s_cbranch_execz .LBB494_141
; %bb.140:
	s_wait_dscnt 0x6
	v_xor_b32_e32 v11, 0xfffffdff, v0
                                        ; implicit-def: $vgpr43
	s_delay_alu instid0(VALU_DEP_1) | instskip(SKIP_2) | instid1(VALU_DEP_2)
	v_ashrrev_i32_e32 v12, 31, v11
	v_add_co_u32 v11, vcc_lo, v17, v11
	s_wait_alu 0xfffd
	v_add_co_ci_u32_e64 v12, null, v18, v12, vcc_lo
.LBB494_141:
	s_wait_alu 0xfffe
	s_and_not1_saveexec_b32 s3, s3
	s_cbranch_execz .LBB494_143
; %bb.142:
	s_wait_dscnt 0x6
	v_add_co_u32 v11, vcc_lo, v15, v43
	s_wait_alu 0xfffd
	v_add_co_ci_u32_e64 v12, null, 0, v16, vcc_lo
.LBB494_143:
	s_wait_alu 0xfffe
	s_or_b32 exec_lo, exec_lo, s3
	s_wait_dscnt 0x6
	s_delay_alu instid0(VALU_DEP_1) | instskip(NEXT) | instid1(VALU_DEP_1)
	v_lshlrev_b64_e32 v[11:12], 2, v[11:12]
	v_add_co_u32 v11, vcc_lo, s10, v11
	s_wait_alu 0xfffd
	s_delay_alu instid0(VALU_DEP_2) | instskip(SKIP_3) | instid1(SALU_CYCLE_1)
	v_add_co_ci_u32_e64 v12, null, s11, v12, vcc_lo
	s_wait_dscnt 0x5
	global_store_b32 v[11:12], v9, off
	s_or_b32 exec_lo, exec_lo, s1
	s_mov_b32 s1, exec_lo
	v_cmpx_gt_u32_e64 s22, v42
	s_cbranch_execnz .LBB494_175
.LBB494_144:
	s_wait_alu 0xfffe
	s_or_b32 exec_lo, exec_lo, s1
	s_delay_alu instid0(SALU_CYCLE_1)
	s_mov_b32 s1, exec_lo
	v_cmpx_gt_u32_e64 s22, v41
	s_cbranch_execz .LBB494_180
.LBB494_145:
	s_mov_b32 s3, exec_lo
                                        ; implicit-def: $vgpr9_vgpr10
	v_cmpx_ge_u32_e64 v41, v19
	s_wait_alu 0xfffe
	s_xor_b32 s3, exec_lo, s3
	s_cbranch_execz .LBB494_147
; %bb.146:
	s_wait_dscnt 0x5
	v_xor_b32_e32 v9, 0xfffffbff, v0
                                        ; implicit-def: $vgpr41
	s_delay_alu instid0(VALU_DEP_1) | instskip(SKIP_2) | instid1(VALU_DEP_2)
	v_ashrrev_i32_e32 v10, 31, v9
	v_add_co_u32 v9, vcc_lo, v17, v9
	s_wait_alu 0xfffd
	v_add_co_ci_u32_e64 v10, null, v18, v10, vcc_lo
.LBB494_147:
	s_wait_alu 0xfffe
	s_and_not1_saveexec_b32 s3, s3
	s_cbranch_execz .LBB494_149
; %bb.148:
	s_wait_dscnt 0x5
	v_add_co_u32 v9, vcc_lo, v15, v41
	s_wait_alu 0xfffd
	v_add_co_ci_u32_e64 v10, null, 0, v16, vcc_lo
.LBB494_149:
	s_wait_alu 0xfffe
	s_or_b32 exec_lo, exec_lo, s3
	s_wait_dscnt 0x5
	s_delay_alu instid0(VALU_DEP_1) | instskip(NEXT) | instid1(VALU_DEP_1)
	v_lshlrev_b64_e32 v[9:10], 2, v[9:10]
	v_add_co_u32 v9, vcc_lo, s10, v9
	s_wait_alu 0xfffd
	s_delay_alu instid0(VALU_DEP_2) | instskip(SKIP_3) | instid1(SALU_CYCLE_1)
	v_add_co_ci_u32_e64 v10, null, s11, v10, vcc_lo
	s_wait_dscnt 0x4
	global_store_b32 v[9:10], v7, off
	s_or_b32 exec_lo, exec_lo, s1
	s_mov_b32 s1, exec_lo
	v_cmpx_gt_u32_e64 s22, v40
	s_cbranch_execnz .LBB494_181
.LBB494_150:
	s_wait_alu 0xfffe
	s_or_b32 exec_lo, exec_lo, s1
	s_delay_alu instid0(SALU_CYCLE_1)
	s_mov_b32 s1, exec_lo
	v_cmpx_gt_u32_e64 s22, v39
	s_cbranch_execz .LBB494_186
.LBB494_151:
	s_mov_b32 s3, exec_lo
                                        ; implicit-def: $vgpr7_vgpr8
	v_cmpx_ge_u32_e64 v39, v19
	s_wait_alu 0xfffe
	s_xor_b32 s3, exec_lo, s3
	s_cbranch_execz .LBB494_153
; %bb.152:
	s_wait_dscnt 0x4
	v_xor_b32_e32 v7, 0xfffff9ff, v0
                                        ; implicit-def: $vgpr39
	s_delay_alu instid0(VALU_DEP_1) | instskip(SKIP_2) | instid1(VALU_DEP_2)
	v_ashrrev_i32_e32 v8, 31, v7
	v_add_co_u32 v7, vcc_lo, v17, v7
	s_wait_alu 0xfffd
	v_add_co_ci_u32_e64 v8, null, v18, v8, vcc_lo
.LBB494_153:
	s_wait_alu 0xfffe
	s_and_not1_saveexec_b32 s3, s3
	s_cbranch_execz .LBB494_155
; %bb.154:
	s_wait_dscnt 0x4
	v_add_co_u32 v7, vcc_lo, v15, v39
	s_wait_alu 0xfffd
	v_add_co_ci_u32_e64 v8, null, 0, v16, vcc_lo
.LBB494_155:
	s_wait_alu 0xfffe
	s_or_b32 exec_lo, exec_lo, s3
	s_wait_dscnt 0x4
	s_delay_alu instid0(VALU_DEP_1) | instskip(NEXT) | instid1(VALU_DEP_1)
	v_lshlrev_b64_e32 v[7:8], 2, v[7:8]
	v_add_co_u32 v7, vcc_lo, s10, v7
	s_wait_alu 0xfffd
	s_delay_alu instid0(VALU_DEP_2) | instskip(SKIP_3) | instid1(SALU_CYCLE_1)
	v_add_co_ci_u32_e64 v8, null, s11, v8, vcc_lo
	s_wait_dscnt 0x3
	global_store_b32 v[7:8], v5, off
	s_or_b32 exec_lo, exec_lo, s1
	s_mov_b32 s1, exec_lo
	v_cmpx_gt_u32_e64 s22, v38
	s_cbranch_execnz .LBB494_187
.LBB494_156:
	s_wait_alu 0xfffe
	s_or_b32 exec_lo, exec_lo, s1
	s_delay_alu instid0(SALU_CYCLE_1)
	s_mov_b32 s1, exec_lo
	v_cmpx_gt_u32_e64 s22, v37
	s_cbranch_execz .LBB494_192
.LBB494_157:
	s_mov_b32 s3, exec_lo
                                        ; implicit-def: $vgpr5_vgpr6
	v_cmpx_ge_u32_e64 v37, v19
	s_wait_alu 0xfffe
	s_xor_b32 s3, exec_lo, s3
	s_cbranch_execz .LBB494_159
; %bb.158:
	s_wait_dscnt 0x3
	v_xor_b32_e32 v5, 0xfffff7ff, v0
                                        ; implicit-def: $vgpr37
	s_delay_alu instid0(VALU_DEP_1) | instskip(SKIP_2) | instid1(VALU_DEP_2)
	v_ashrrev_i32_e32 v6, 31, v5
	v_add_co_u32 v5, vcc_lo, v17, v5
	s_wait_alu 0xfffd
	v_add_co_ci_u32_e64 v6, null, v18, v6, vcc_lo
.LBB494_159:
	s_wait_alu 0xfffe
	s_and_not1_saveexec_b32 s3, s3
	s_cbranch_execz .LBB494_161
; %bb.160:
	s_wait_dscnt 0x3
	v_add_co_u32 v5, vcc_lo, v15, v37
	s_wait_alu 0xfffd
	v_add_co_ci_u32_e64 v6, null, 0, v16, vcc_lo
.LBB494_161:
	s_wait_alu 0xfffe
	s_or_b32 exec_lo, exec_lo, s3
	s_wait_dscnt 0x3
	s_delay_alu instid0(VALU_DEP_1) | instskip(NEXT) | instid1(VALU_DEP_1)
	v_lshlrev_b64_e32 v[5:6], 2, v[5:6]
	v_add_co_u32 v5, vcc_lo, s10, v5
	s_wait_alu 0xfffd
	s_delay_alu instid0(VALU_DEP_2) | instskip(SKIP_3) | instid1(SALU_CYCLE_1)
	v_add_co_ci_u32_e64 v6, null, s11, v6, vcc_lo
	s_wait_dscnt 0x2
	global_store_b32 v[5:6], v3, off
	s_or_b32 exec_lo, exec_lo, s1
	s_mov_b32 s1, exec_lo
	v_cmpx_gt_u32_e64 s22, v36
	s_cbranch_execnz .LBB494_193
.LBB494_162:
	s_wait_alu 0xfffe
	s_or_b32 exec_lo, exec_lo, s1
	s_delay_alu instid0(SALU_CYCLE_1)
	s_mov_b32 s1, exec_lo
	v_cmpx_gt_u32_e64 s22, v35
	s_cbranch_execz .LBB494_198
.LBB494_163:
	s_mov_b32 s3, exec_lo
                                        ; implicit-def: $vgpr3_vgpr4
	v_cmpx_ge_u32_e64 v35, v19
	s_wait_alu 0xfffe
	s_xor_b32 s3, exec_lo, s3
	s_cbranch_execz .LBB494_165
; %bb.164:
	s_wait_dscnt 0x2
	v_xor_b32_e32 v3, 0xfffff5ff, v0
                                        ; implicit-def: $vgpr35
	s_delay_alu instid0(VALU_DEP_1) | instskip(SKIP_2) | instid1(VALU_DEP_2)
	v_ashrrev_i32_e32 v4, 31, v3
	v_add_co_u32 v3, vcc_lo, v17, v3
	s_wait_alu 0xfffd
	v_add_co_ci_u32_e64 v4, null, v18, v4, vcc_lo
.LBB494_165:
	s_wait_alu 0xfffe
	s_and_not1_saveexec_b32 s3, s3
	s_cbranch_execz .LBB494_167
; %bb.166:
	s_wait_dscnt 0x2
	v_add_co_u32 v3, vcc_lo, v15, v35
	s_wait_alu 0xfffd
	v_add_co_ci_u32_e64 v4, null, 0, v16, vcc_lo
.LBB494_167:
	s_wait_alu 0xfffe
	s_or_b32 exec_lo, exec_lo, s3
	s_wait_dscnt 0x2
	s_delay_alu instid0(VALU_DEP_1) | instskip(NEXT) | instid1(VALU_DEP_1)
	v_lshlrev_b64_e32 v[3:4], 2, v[3:4]
	v_add_co_u32 v3, vcc_lo, s10, v3
	s_wait_alu 0xfffd
	s_delay_alu instid0(VALU_DEP_2) | instskip(SKIP_3) | instid1(SALU_CYCLE_1)
	v_add_co_ci_u32_e64 v4, null, s11, v4, vcc_lo
	s_wait_dscnt 0x1
	global_store_b32 v[3:4], v1, off
	s_or_b32 exec_lo, exec_lo, s1
	s_mov_b32 s1, exec_lo
	v_cmpx_gt_u32_e64 s22, v34
	s_cbranch_execz .LBB494_204
	s_branch .LBB494_199
.LBB494_168:
	s_wait_alu 0xfffe
	s_or_b32 exec_lo, exec_lo, s1
	s_delay_alu instid0(SALU_CYCLE_1)
	s_mov_b32 s1, exec_lo
	v_cmpx_gt_u32_e64 s22, v44
	s_cbranch_execz .LBB494_138
.LBB494_169:
	s_mov_b32 s3, exec_lo
                                        ; implicit-def: $vgpr13_vgpr14
	v_cmpx_ge_u32_e64 v44, v19
	s_wait_alu 0xfffe
	s_xor_b32 s3, exec_lo, s3
	s_cbranch_execz .LBB494_171
; %bb.170:
	s_wait_dscnt 0x6
	v_xor_b32_e32 v11, 0xfffffeff, v0
                                        ; implicit-def: $vgpr44
	s_delay_alu instid0(VALU_DEP_1) | instskip(SKIP_2) | instid1(VALU_DEP_2)
	v_ashrrev_i32_e32 v14, 31, v11
	v_add_co_u32 v13, vcc_lo, v17, v11
	s_wait_alu 0xfffd
	v_add_co_ci_u32_e64 v14, null, v18, v14, vcc_lo
.LBB494_171:
	s_wait_alu 0xfffe
	s_and_not1_saveexec_b32 s3, s3
; %bb.172:
	v_add_co_u32 v13, vcc_lo, v15, v44
	s_wait_alu 0xfffd
	v_add_co_ci_u32_e64 v14, null, 0, v16, vcc_lo
; %bb.173:
	s_wait_alu 0xfffe
	s_or_b32 exec_lo, exec_lo, s3
	s_delay_alu instid0(VALU_DEP_1) | instskip(NEXT) | instid1(VALU_DEP_1)
	v_lshlrev_b64_e32 v[13:14], 2, v[13:14]
	v_add_co_u32 v13, vcc_lo, s10, v13
	s_wait_alu 0xfffd
	s_delay_alu instid0(VALU_DEP_2) | instskip(SKIP_3) | instid1(SALU_CYCLE_1)
	v_add_co_ci_u32_e64 v14, null, s11, v14, vcc_lo
	s_wait_dscnt 0x6
	global_store_b32 v[13:14], v12, off
	s_or_b32 exec_lo, exec_lo, s1
	s_mov_b32 s1, exec_lo
	v_cmpx_gt_u32_e64 s22, v43
	s_cbranch_execnz .LBB494_139
.LBB494_174:
	s_wait_alu 0xfffe
	s_or_b32 exec_lo, exec_lo, s1
	s_delay_alu instid0(SALU_CYCLE_1)
	s_mov_b32 s1, exec_lo
	v_cmpx_gt_u32_e64 s22, v42
	s_cbranch_execz .LBB494_144
.LBB494_175:
	s_mov_b32 s3, exec_lo
                                        ; implicit-def: $vgpr11_vgpr12
	v_cmpx_ge_u32_e64 v42, v19
	s_wait_alu 0xfffe
	s_xor_b32 s3, exec_lo, s3
	s_cbranch_execz .LBB494_177
; %bb.176:
	s_wait_dscnt 0x5
	v_xor_b32_e32 v9, 0xfffffcff, v0
                                        ; implicit-def: $vgpr42
	s_delay_alu instid0(VALU_DEP_1) | instskip(SKIP_2) | instid1(VALU_DEP_2)
	v_ashrrev_i32_e32 v12, 31, v9
	v_add_co_u32 v11, vcc_lo, v17, v9
	s_wait_alu 0xfffd
	v_add_co_ci_u32_e64 v12, null, v18, v12, vcc_lo
.LBB494_177:
	s_wait_alu 0xfffe
	s_and_not1_saveexec_b32 s3, s3
	s_cbranch_execz .LBB494_179
; %bb.178:
	s_wait_dscnt 0x6
	v_add_co_u32 v11, vcc_lo, v15, v42
	s_wait_alu 0xfffd
	v_add_co_ci_u32_e64 v12, null, 0, v16, vcc_lo
.LBB494_179:
	s_wait_alu 0xfffe
	s_or_b32 exec_lo, exec_lo, s3
	s_wait_dscnt 0x6
	s_delay_alu instid0(VALU_DEP_1) | instskip(NEXT) | instid1(VALU_DEP_1)
	v_lshlrev_b64_e32 v[11:12], 2, v[11:12]
	v_add_co_u32 v11, vcc_lo, s10, v11
	s_wait_alu 0xfffd
	s_delay_alu instid0(VALU_DEP_2) | instskip(SKIP_3) | instid1(SALU_CYCLE_1)
	v_add_co_ci_u32_e64 v12, null, s11, v12, vcc_lo
	s_wait_dscnt 0x5
	global_store_b32 v[11:12], v10, off
	s_or_b32 exec_lo, exec_lo, s1
	s_mov_b32 s1, exec_lo
	v_cmpx_gt_u32_e64 s22, v41
	s_cbranch_execnz .LBB494_145
.LBB494_180:
	s_wait_alu 0xfffe
	s_or_b32 exec_lo, exec_lo, s1
	s_delay_alu instid0(SALU_CYCLE_1)
	s_mov_b32 s1, exec_lo
	v_cmpx_gt_u32_e64 s22, v40
	s_cbranch_execz .LBB494_150
.LBB494_181:
	s_mov_b32 s3, exec_lo
                                        ; implicit-def: $vgpr9_vgpr10
	v_cmpx_ge_u32_e64 v40, v19
	s_wait_alu 0xfffe
	s_xor_b32 s3, exec_lo, s3
	s_cbranch_execz .LBB494_183
; %bb.182:
	s_wait_dscnt 0x4
	v_xor_b32_e32 v7, 0xfffffaff, v0
                                        ; implicit-def: $vgpr40
	s_delay_alu instid0(VALU_DEP_1) | instskip(SKIP_2) | instid1(VALU_DEP_2)
	v_ashrrev_i32_e32 v10, 31, v7
	v_add_co_u32 v9, vcc_lo, v17, v7
	s_wait_alu 0xfffd
	v_add_co_ci_u32_e64 v10, null, v18, v10, vcc_lo
.LBB494_183:
	s_wait_alu 0xfffe
	s_and_not1_saveexec_b32 s3, s3
	s_cbranch_execz .LBB494_185
; %bb.184:
	s_wait_dscnt 0x5
	v_add_co_u32 v9, vcc_lo, v15, v40
	s_wait_alu 0xfffd
	v_add_co_ci_u32_e64 v10, null, 0, v16, vcc_lo
.LBB494_185:
	s_wait_alu 0xfffe
	s_or_b32 exec_lo, exec_lo, s3
	s_wait_dscnt 0x5
	s_delay_alu instid0(VALU_DEP_1) | instskip(NEXT) | instid1(VALU_DEP_1)
	v_lshlrev_b64_e32 v[9:10], 2, v[9:10]
	v_add_co_u32 v9, vcc_lo, s10, v9
	s_wait_alu 0xfffd
	s_delay_alu instid0(VALU_DEP_2) | instskip(SKIP_3) | instid1(SALU_CYCLE_1)
	v_add_co_ci_u32_e64 v10, null, s11, v10, vcc_lo
	s_wait_dscnt 0x4
	global_store_b32 v[9:10], v8, off
	s_or_b32 exec_lo, exec_lo, s1
	s_mov_b32 s1, exec_lo
	v_cmpx_gt_u32_e64 s22, v39
	s_cbranch_execnz .LBB494_151
.LBB494_186:
	s_wait_alu 0xfffe
	s_or_b32 exec_lo, exec_lo, s1
	s_delay_alu instid0(SALU_CYCLE_1)
	s_mov_b32 s1, exec_lo
	v_cmpx_gt_u32_e64 s22, v38
	s_cbranch_execz .LBB494_156
.LBB494_187:
	s_mov_b32 s3, exec_lo
                                        ; implicit-def: $vgpr7_vgpr8
	v_cmpx_ge_u32_e64 v38, v19
	s_wait_alu 0xfffe
	s_xor_b32 s3, exec_lo, s3
	s_cbranch_execz .LBB494_189
; %bb.188:
	s_wait_dscnt 0x3
	v_xor_b32_e32 v5, 0xfffff8ff, v0
                                        ; implicit-def: $vgpr38
	s_delay_alu instid0(VALU_DEP_1) | instskip(SKIP_2) | instid1(VALU_DEP_2)
	v_ashrrev_i32_e32 v8, 31, v5
	v_add_co_u32 v7, vcc_lo, v17, v5
	s_wait_alu 0xfffd
	v_add_co_ci_u32_e64 v8, null, v18, v8, vcc_lo
.LBB494_189:
	s_wait_alu 0xfffe
	s_and_not1_saveexec_b32 s3, s3
	s_cbranch_execz .LBB494_191
; %bb.190:
	s_wait_dscnt 0x4
	v_add_co_u32 v7, vcc_lo, v15, v38
	s_wait_alu 0xfffd
	v_add_co_ci_u32_e64 v8, null, 0, v16, vcc_lo
.LBB494_191:
	s_wait_alu 0xfffe
	s_or_b32 exec_lo, exec_lo, s3
	s_wait_dscnt 0x4
	s_delay_alu instid0(VALU_DEP_1) | instskip(NEXT) | instid1(VALU_DEP_1)
	v_lshlrev_b64_e32 v[7:8], 2, v[7:8]
	v_add_co_u32 v7, vcc_lo, s10, v7
	s_wait_alu 0xfffd
	s_delay_alu instid0(VALU_DEP_2) | instskip(SKIP_3) | instid1(SALU_CYCLE_1)
	v_add_co_ci_u32_e64 v8, null, s11, v8, vcc_lo
	s_wait_dscnt 0x3
	global_store_b32 v[7:8], v6, off
	s_or_b32 exec_lo, exec_lo, s1
	s_mov_b32 s1, exec_lo
	v_cmpx_gt_u32_e64 s22, v37
	s_cbranch_execnz .LBB494_157
.LBB494_192:
	s_wait_alu 0xfffe
	s_or_b32 exec_lo, exec_lo, s1
	s_delay_alu instid0(SALU_CYCLE_1)
	s_mov_b32 s1, exec_lo
	v_cmpx_gt_u32_e64 s22, v36
	s_cbranch_execz .LBB494_162
.LBB494_193:
	s_mov_b32 s3, exec_lo
                                        ; implicit-def: $vgpr5_vgpr6
	v_cmpx_ge_u32_e64 v36, v19
	s_wait_alu 0xfffe
	s_xor_b32 s3, exec_lo, s3
	s_cbranch_execz .LBB494_195
; %bb.194:
	s_wait_dscnt 0x2
	v_xor_b32_e32 v3, 0xfffff6ff, v0
                                        ; implicit-def: $vgpr36
	s_delay_alu instid0(VALU_DEP_1) | instskip(SKIP_2) | instid1(VALU_DEP_2)
	v_ashrrev_i32_e32 v6, 31, v3
	v_add_co_u32 v5, vcc_lo, v17, v3
	s_wait_alu 0xfffd
	v_add_co_ci_u32_e64 v6, null, v18, v6, vcc_lo
.LBB494_195:
	s_wait_alu 0xfffe
	s_and_not1_saveexec_b32 s3, s3
	s_cbranch_execz .LBB494_197
; %bb.196:
	s_wait_dscnt 0x3
	v_add_co_u32 v5, vcc_lo, v15, v36
	s_wait_alu 0xfffd
	v_add_co_ci_u32_e64 v6, null, 0, v16, vcc_lo
.LBB494_197:
	s_wait_alu 0xfffe
	s_or_b32 exec_lo, exec_lo, s3
	s_wait_dscnt 0x3
	s_delay_alu instid0(VALU_DEP_1) | instskip(NEXT) | instid1(VALU_DEP_1)
	v_lshlrev_b64_e32 v[5:6], 2, v[5:6]
	v_add_co_u32 v5, vcc_lo, s10, v5
	s_wait_alu 0xfffd
	s_delay_alu instid0(VALU_DEP_2) | instskip(SKIP_3) | instid1(SALU_CYCLE_1)
	v_add_co_ci_u32_e64 v6, null, s11, v6, vcc_lo
	s_wait_dscnt 0x2
	global_store_b32 v[5:6], v4, off
	s_or_b32 exec_lo, exec_lo, s1
	s_mov_b32 s1, exec_lo
	v_cmpx_gt_u32_e64 s22, v35
	s_cbranch_execnz .LBB494_163
.LBB494_198:
	s_wait_alu 0xfffe
	s_or_b32 exec_lo, exec_lo, s1
	s_delay_alu instid0(SALU_CYCLE_1)
	s_mov_b32 s1, exec_lo
	v_cmpx_gt_u32_e64 s22, v34
	s_cbranch_execz .LBB494_204
.LBB494_199:
	s_mov_b32 s3, exec_lo
                                        ; implicit-def: $vgpr3_vgpr4
	v_cmpx_ge_u32_e64 v34, v19
	s_wait_alu 0xfffe
	s_xor_b32 s3, exec_lo, s3
	s_cbranch_execz .LBB494_201
; %bb.200:
	s_wait_dscnt 0x1
	v_xor_b32_e32 v1, 0xfffff4ff, v0
                                        ; implicit-def: $vgpr34
	s_delay_alu instid0(VALU_DEP_1) | instskip(SKIP_2) | instid1(VALU_DEP_2)
	v_ashrrev_i32_e32 v4, 31, v1
	v_add_co_u32 v3, vcc_lo, v17, v1
	s_wait_alu 0xfffd
	v_add_co_ci_u32_e64 v4, null, v18, v4, vcc_lo
.LBB494_201:
	s_wait_alu 0xfffe
	s_and_not1_saveexec_b32 s3, s3
	s_cbranch_execz .LBB494_203
; %bb.202:
	s_wait_dscnt 0x2
	v_add_co_u32 v3, vcc_lo, v15, v34
	s_wait_alu 0xfffd
	v_add_co_ci_u32_e64 v4, null, 0, v16, vcc_lo
.LBB494_203:
	s_wait_alu 0xfffe
	s_or_b32 exec_lo, exec_lo, s3
	s_wait_dscnt 0x2
	s_delay_alu instid0(VALU_DEP_1) | instskip(NEXT) | instid1(VALU_DEP_1)
	v_lshlrev_b64_e32 v[3:4], 2, v[3:4]
	v_add_co_u32 v3, vcc_lo, s10, v3
	s_wait_alu 0xfffd
	s_delay_alu instid0(VALU_DEP_2)
	v_add_co_ci_u32_e64 v4, null, s11, v4, vcc_lo
	s_wait_dscnt 0x1
	global_store_b32 v[3:4], v2, off
.LBB494_204:
	s_wait_alu 0xfffe
	s_or_b32 exec_lo, exec_lo, s1
	s_delay_alu instid0(SALU_CYCLE_1)
	s_mov_b32 s1, exec_lo
                                        ; implicit-def: $vgpr13_vgpr14
	v_cmpx_gt_u32_e64 s22, v33
	s_cbranch_execz .LBB494_210
; %bb.205:
	s_mov_b32 s3, exec_lo
                                        ; implicit-def: $vgpr13_vgpr14
	v_cmpx_ge_u32_e64 v33, v19
	s_wait_alu 0xfffe
	s_xor_b32 s3, exec_lo, s3
	s_cbranch_execz .LBB494_207
; %bb.206:
	v_xor_b32_e32 v0, 0xfffff3ff, v0
                                        ; implicit-def: $vgpr33
	s_wait_dscnt 0x1
	s_delay_alu instid0(VALU_DEP_1) | instskip(SKIP_2) | instid1(VALU_DEP_2)
	v_ashrrev_i32_e32 v1, 31, v0
	v_add_co_u32 v13, vcc_lo, v17, v0
	s_wait_alu 0xfffd
	v_add_co_ci_u32_e64 v14, null, v18, v1, vcc_lo
.LBB494_207:
	s_wait_alu 0xfffe
	s_and_not1_saveexec_b32 s3, s3
; %bb.208:
	v_add_co_u32 v13, vcc_lo, v15, v33
	s_wait_alu 0xfffd
	v_add_co_ci_u32_e64 v14, null, 0, v16, vcc_lo
; %bb.209:
	s_wait_alu 0xfffe
	s_or_b32 exec_lo, exec_lo, s3
	s_delay_alu instid0(SALU_CYCLE_1)
	s_or_b32 s0, s0, exec_lo
.LBB494_210:
	s_wait_alu 0xfffe
	s_or_b32 exec_lo, exec_lo, s1
	s_and_saveexec_b32 s1, s0
	s_cbranch_execnz .LBB494_129
.LBB494_211:
	s_wait_alu 0xfffe
	s_or_b32 exec_lo, exec_lo, s1
	s_and_b32 s0, s2, s9
	s_wait_alu 0xfffe
	s_and_saveexec_b32 s1, s0
	s_cbranch_execz .LBB494_130
.LBB494_212:
	v_add_co_u32 v0, vcc_lo, v15, v19
	s_wait_dscnt 0x1
	v_mov_b32_e32 v2, 0
	s_wait_alu 0xfffd
	v_add_co_ci_u32_e64 v1, null, 0, v16, vcc_lo
	global_store_b64 v2, v[0:1], s[12:13]
	s_endpgm
	.section	.rodata,"a",@progbits
	.p2align	6, 0x0
	.amdhsa_kernel _ZN7rocprim17ROCPRIM_400000_NS6detail17trampoline_kernelINS0_13select_configILj256ELj13ELNS0_17block_load_methodE3ELS4_3ELS4_3ELNS0_20block_scan_algorithmE0ELj4294967295EEENS1_25partition_config_selectorILNS1_17partition_subalgoE3EjNS0_10empty_typeEbEEZZNS1_14partition_implILS8_3ELb0ES6_jNS0_17counting_iteratorIjlEEPS9_SE_NS0_5tupleIJPjSE_EEENSF_IJSE_SE_EEES9_SG_JZNS1_25segmented_radix_sort_implINS0_14default_configELb1EPKiPiPKlPlN2at6native12_GLOBAL__N_18offset_tEEE10hipError_tPvRmT1_PNSt15iterator_traitsISY_E10value_typeET2_T3_PNSZ_IS14_E10value_typeET4_jRbjT5_S1A_jjP12ihipStream_tbEUljE_EEESV_SW_SX_S14_S18_S1A_T6_T7_T9_mT8_S1C_bDpT10_ENKUlT_T0_E_clISt17integral_constantIbLb0EES1O_IbLb1EEEEDaS1K_S1L_EUlS1K_E_NS1_11comp_targetILNS1_3genE10ELNS1_11target_archE1200ELNS1_3gpuE4ELNS1_3repE0EEENS1_30default_config_static_selectorELNS0_4arch9wavefront6targetE0EEEvSY_
		.amdhsa_group_segment_fixed_size 13320
		.amdhsa_private_segment_fixed_size 0
		.amdhsa_kernarg_size 152
		.amdhsa_user_sgpr_count 2
		.amdhsa_user_sgpr_dispatch_ptr 0
		.amdhsa_user_sgpr_queue_ptr 0
		.amdhsa_user_sgpr_kernarg_segment_ptr 1
		.amdhsa_user_sgpr_dispatch_id 0
		.amdhsa_user_sgpr_private_segment_size 0
		.amdhsa_wavefront_size32 1
		.amdhsa_uses_dynamic_stack 0
		.amdhsa_enable_private_segment 0
		.amdhsa_system_sgpr_workgroup_id_x 1
		.amdhsa_system_sgpr_workgroup_id_y 0
		.amdhsa_system_sgpr_workgroup_id_z 0
		.amdhsa_system_sgpr_workgroup_info 0
		.amdhsa_system_vgpr_workitem_id 0
		.amdhsa_next_free_vgpr 71
		.amdhsa_next_free_sgpr 26
		.amdhsa_reserve_vcc 1
		.amdhsa_float_round_mode_32 0
		.amdhsa_float_round_mode_16_64 0
		.amdhsa_float_denorm_mode_32 3
		.amdhsa_float_denorm_mode_16_64 3
		.amdhsa_fp16_overflow 0
		.amdhsa_workgroup_processor_mode 1
		.amdhsa_memory_ordered 1
		.amdhsa_forward_progress 1
		.amdhsa_inst_pref_size 86
		.amdhsa_round_robin_scheduling 0
		.amdhsa_exception_fp_ieee_invalid_op 0
		.amdhsa_exception_fp_denorm_src 0
		.amdhsa_exception_fp_ieee_div_zero 0
		.amdhsa_exception_fp_ieee_overflow 0
		.amdhsa_exception_fp_ieee_underflow 0
		.amdhsa_exception_fp_ieee_inexact 0
		.amdhsa_exception_int_div_zero 0
	.end_amdhsa_kernel
	.section	.text._ZN7rocprim17ROCPRIM_400000_NS6detail17trampoline_kernelINS0_13select_configILj256ELj13ELNS0_17block_load_methodE3ELS4_3ELS4_3ELNS0_20block_scan_algorithmE0ELj4294967295EEENS1_25partition_config_selectorILNS1_17partition_subalgoE3EjNS0_10empty_typeEbEEZZNS1_14partition_implILS8_3ELb0ES6_jNS0_17counting_iteratorIjlEEPS9_SE_NS0_5tupleIJPjSE_EEENSF_IJSE_SE_EEES9_SG_JZNS1_25segmented_radix_sort_implINS0_14default_configELb1EPKiPiPKlPlN2at6native12_GLOBAL__N_18offset_tEEE10hipError_tPvRmT1_PNSt15iterator_traitsISY_E10value_typeET2_T3_PNSZ_IS14_E10value_typeET4_jRbjT5_S1A_jjP12ihipStream_tbEUljE_EEESV_SW_SX_S14_S18_S1A_T6_T7_T9_mT8_S1C_bDpT10_ENKUlT_T0_E_clISt17integral_constantIbLb0EES1O_IbLb1EEEEDaS1K_S1L_EUlS1K_E_NS1_11comp_targetILNS1_3genE10ELNS1_11target_archE1200ELNS1_3gpuE4ELNS1_3repE0EEENS1_30default_config_static_selectorELNS0_4arch9wavefront6targetE0EEEvSY_,"axG",@progbits,_ZN7rocprim17ROCPRIM_400000_NS6detail17trampoline_kernelINS0_13select_configILj256ELj13ELNS0_17block_load_methodE3ELS4_3ELS4_3ELNS0_20block_scan_algorithmE0ELj4294967295EEENS1_25partition_config_selectorILNS1_17partition_subalgoE3EjNS0_10empty_typeEbEEZZNS1_14partition_implILS8_3ELb0ES6_jNS0_17counting_iteratorIjlEEPS9_SE_NS0_5tupleIJPjSE_EEENSF_IJSE_SE_EEES9_SG_JZNS1_25segmented_radix_sort_implINS0_14default_configELb1EPKiPiPKlPlN2at6native12_GLOBAL__N_18offset_tEEE10hipError_tPvRmT1_PNSt15iterator_traitsISY_E10value_typeET2_T3_PNSZ_IS14_E10value_typeET4_jRbjT5_S1A_jjP12ihipStream_tbEUljE_EEESV_SW_SX_S14_S18_S1A_T6_T7_T9_mT8_S1C_bDpT10_ENKUlT_T0_E_clISt17integral_constantIbLb0EES1O_IbLb1EEEEDaS1K_S1L_EUlS1K_E_NS1_11comp_targetILNS1_3genE10ELNS1_11target_archE1200ELNS1_3gpuE4ELNS1_3repE0EEENS1_30default_config_static_selectorELNS0_4arch9wavefront6targetE0EEEvSY_,comdat
.Lfunc_end494:
	.size	_ZN7rocprim17ROCPRIM_400000_NS6detail17trampoline_kernelINS0_13select_configILj256ELj13ELNS0_17block_load_methodE3ELS4_3ELS4_3ELNS0_20block_scan_algorithmE0ELj4294967295EEENS1_25partition_config_selectorILNS1_17partition_subalgoE3EjNS0_10empty_typeEbEEZZNS1_14partition_implILS8_3ELb0ES6_jNS0_17counting_iteratorIjlEEPS9_SE_NS0_5tupleIJPjSE_EEENSF_IJSE_SE_EEES9_SG_JZNS1_25segmented_radix_sort_implINS0_14default_configELb1EPKiPiPKlPlN2at6native12_GLOBAL__N_18offset_tEEE10hipError_tPvRmT1_PNSt15iterator_traitsISY_E10value_typeET2_T3_PNSZ_IS14_E10value_typeET4_jRbjT5_S1A_jjP12ihipStream_tbEUljE_EEESV_SW_SX_S14_S18_S1A_T6_T7_T9_mT8_S1C_bDpT10_ENKUlT_T0_E_clISt17integral_constantIbLb0EES1O_IbLb1EEEEDaS1K_S1L_EUlS1K_E_NS1_11comp_targetILNS1_3genE10ELNS1_11target_archE1200ELNS1_3gpuE4ELNS1_3repE0EEENS1_30default_config_static_selectorELNS0_4arch9wavefront6targetE0EEEvSY_, .Lfunc_end494-_ZN7rocprim17ROCPRIM_400000_NS6detail17trampoline_kernelINS0_13select_configILj256ELj13ELNS0_17block_load_methodE3ELS4_3ELS4_3ELNS0_20block_scan_algorithmE0ELj4294967295EEENS1_25partition_config_selectorILNS1_17partition_subalgoE3EjNS0_10empty_typeEbEEZZNS1_14partition_implILS8_3ELb0ES6_jNS0_17counting_iteratorIjlEEPS9_SE_NS0_5tupleIJPjSE_EEENSF_IJSE_SE_EEES9_SG_JZNS1_25segmented_radix_sort_implINS0_14default_configELb1EPKiPiPKlPlN2at6native12_GLOBAL__N_18offset_tEEE10hipError_tPvRmT1_PNSt15iterator_traitsISY_E10value_typeET2_T3_PNSZ_IS14_E10value_typeET4_jRbjT5_S1A_jjP12ihipStream_tbEUljE_EEESV_SW_SX_S14_S18_S1A_T6_T7_T9_mT8_S1C_bDpT10_ENKUlT_T0_E_clISt17integral_constantIbLb0EES1O_IbLb1EEEEDaS1K_S1L_EUlS1K_E_NS1_11comp_targetILNS1_3genE10ELNS1_11target_archE1200ELNS1_3gpuE4ELNS1_3repE0EEENS1_30default_config_static_selectorELNS0_4arch9wavefront6targetE0EEEvSY_
                                        ; -- End function
	.set _ZN7rocprim17ROCPRIM_400000_NS6detail17trampoline_kernelINS0_13select_configILj256ELj13ELNS0_17block_load_methodE3ELS4_3ELS4_3ELNS0_20block_scan_algorithmE0ELj4294967295EEENS1_25partition_config_selectorILNS1_17partition_subalgoE3EjNS0_10empty_typeEbEEZZNS1_14partition_implILS8_3ELb0ES6_jNS0_17counting_iteratorIjlEEPS9_SE_NS0_5tupleIJPjSE_EEENSF_IJSE_SE_EEES9_SG_JZNS1_25segmented_radix_sort_implINS0_14default_configELb1EPKiPiPKlPlN2at6native12_GLOBAL__N_18offset_tEEE10hipError_tPvRmT1_PNSt15iterator_traitsISY_E10value_typeET2_T3_PNSZ_IS14_E10value_typeET4_jRbjT5_S1A_jjP12ihipStream_tbEUljE_EEESV_SW_SX_S14_S18_S1A_T6_T7_T9_mT8_S1C_bDpT10_ENKUlT_T0_E_clISt17integral_constantIbLb0EES1O_IbLb1EEEEDaS1K_S1L_EUlS1K_E_NS1_11comp_targetILNS1_3genE10ELNS1_11target_archE1200ELNS1_3gpuE4ELNS1_3repE0EEENS1_30default_config_static_selectorELNS0_4arch9wavefront6targetE0EEEvSY_.num_vgpr, 71
	.set _ZN7rocprim17ROCPRIM_400000_NS6detail17trampoline_kernelINS0_13select_configILj256ELj13ELNS0_17block_load_methodE3ELS4_3ELS4_3ELNS0_20block_scan_algorithmE0ELj4294967295EEENS1_25partition_config_selectorILNS1_17partition_subalgoE3EjNS0_10empty_typeEbEEZZNS1_14partition_implILS8_3ELb0ES6_jNS0_17counting_iteratorIjlEEPS9_SE_NS0_5tupleIJPjSE_EEENSF_IJSE_SE_EEES9_SG_JZNS1_25segmented_radix_sort_implINS0_14default_configELb1EPKiPiPKlPlN2at6native12_GLOBAL__N_18offset_tEEE10hipError_tPvRmT1_PNSt15iterator_traitsISY_E10value_typeET2_T3_PNSZ_IS14_E10value_typeET4_jRbjT5_S1A_jjP12ihipStream_tbEUljE_EEESV_SW_SX_S14_S18_S1A_T6_T7_T9_mT8_S1C_bDpT10_ENKUlT_T0_E_clISt17integral_constantIbLb0EES1O_IbLb1EEEEDaS1K_S1L_EUlS1K_E_NS1_11comp_targetILNS1_3genE10ELNS1_11target_archE1200ELNS1_3gpuE4ELNS1_3repE0EEENS1_30default_config_static_selectorELNS0_4arch9wavefront6targetE0EEEvSY_.num_agpr, 0
	.set _ZN7rocprim17ROCPRIM_400000_NS6detail17trampoline_kernelINS0_13select_configILj256ELj13ELNS0_17block_load_methodE3ELS4_3ELS4_3ELNS0_20block_scan_algorithmE0ELj4294967295EEENS1_25partition_config_selectorILNS1_17partition_subalgoE3EjNS0_10empty_typeEbEEZZNS1_14partition_implILS8_3ELb0ES6_jNS0_17counting_iteratorIjlEEPS9_SE_NS0_5tupleIJPjSE_EEENSF_IJSE_SE_EEES9_SG_JZNS1_25segmented_radix_sort_implINS0_14default_configELb1EPKiPiPKlPlN2at6native12_GLOBAL__N_18offset_tEEE10hipError_tPvRmT1_PNSt15iterator_traitsISY_E10value_typeET2_T3_PNSZ_IS14_E10value_typeET4_jRbjT5_S1A_jjP12ihipStream_tbEUljE_EEESV_SW_SX_S14_S18_S1A_T6_T7_T9_mT8_S1C_bDpT10_ENKUlT_T0_E_clISt17integral_constantIbLb0EES1O_IbLb1EEEEDaS1K_S1L_EUlS1K_E_NS1_11comp_targetILNS1_3genE10ELNS1_11target_archE1200ELNS1_3gpuE4ELNS1_3repE0EEENS1_30default_config_static_selectorELNS0_4arch9wavefront6targetE0EEEvSY_.numbered_sgpr, 26
	.set _ZN7rocprim17ROCPRIM_400000_NS6detail17trampoline_kernelINS0_13select_configILj256ELj13ELNS0_17block_load_methodE3ELS4_3ELS4_3ELNS0_20block_scan_algorithmE0ELj4294967295EEENS1_25partition_config_selectorILNS1_17partition_subalgoE3EjNS0_10empty_typeEbEEZZNS1_14partition_implILS8_3ELb0ES6_jNS0_17counting_iteratorIjlEEPS9_SE_NS0_5tupleIJPjSE_EEENSF_IJSE_SE_EEES9_SG_JZNS1_25segmented_radix_sort_implINS0_14default_configELb1EPKiPiPKlPlN2at6native12_GLOBAL__N_18offset_tEEE10hipError_tPvRmT1_PNSt15iterator_traitsISY_E10value_typeET2_T3_PNSZ_IS14_E10value_typeET4_jRbjT5_S1A_jjP12ihipStream_tbEUljE_EEESV_SW_SX_S14_S18_S1A_T6_T7_T9_mT8_S1C_bDpT10_ENKUlT_T0_E_clISt17integral_constantIbLb0EES1O_IbLb1EEEEDaS1K_S1L_EUlS1K_E_NS1_11comp_targetILNS1_3genE10ELNS1_11target_archE1200ELNS1_3gpuE4ELNS1_3repE0EEENS1_30default_config_static_selectorELNS0_4arch9wavefront6targetE0EEEvSY_.num_named_barrier, 0
	.set _ZN7rocprim17ROCPRIM_400000_NS6detail17trampoline_kernelINS0_13select_configILj256ELj13ELNS0_17block_load_methodE3ELS4_3ELS4_3ELNS0_20block_scan_algorithmE0ELj4294967295EEENS1_25partition_config_selectorILNS1_17partition_subalgoE3EjNS0_10empty_typeEbEEZZNS1_14partition_implILS8_3ELb0ES6_jNS0_17counting_iteratorIjlEEPS9_SE_NS0_5tupleIJPjSE_EEENSF_IJSE_SE_EEES9_SG_JZNS1_25segmented_radix_sort_implINS0_14default_configELb1EPKiPiPKlPlN2at6native12_GLOBAL__N_18offset_tEEE10hipError_tPvRmT1_PNSt15iterator_traitsISY_E10value_typeET2_T3_PNSZ_IS14_E10value_typeET4_jRbjT5_S1A_jjP12ihipStream_tbEUljE_EEESV_SW_SX_S14_S18_S1A_T6_T7_T9_mT8_S1C_bDpT10_ENKUlT_T0_E_clISt17integral_constantIbLb0EES1O_IbLb1EEEEDaS1K_S1L_EUlS1K_E_NS1_11comp_targetILNS1_3genE10ELNS1_11target_archE1200ELNS1_3gpuE4ELNS1_3repE0EEENS1_30default_config_static_selectorELNS0_4arch9wavefront6targetE0EEEvSY_.private_seg_size, 0
	.set _ZN7rocprim17ROCPRIM_400000_NS6detail17trampoline_kernelINS0_13select_configILj256ELj13ELNS0_17block_load_methodE3ELS4_3ELS4_3ELNS0_20block_scan_algorithmE0ELj4294967295EEENS1_25partition_config_selectorILNS1_17partition_subalgoE3EjNS0_10empty_typeEbEEZZNS1_14partition_implILS8_3ELb0ES6_jNS0_17counting_iteratorIjlEEPS9_SE_NS0_5tupleIJPjSE_EEENSF_IJSE_SE_EEES9_SG_JZNS1_25segmented_radix_sort_implINS0_14default_configELb1EPKiPiPKlPlN2at6native12_GLOBAL__N_18offset_tEEE10hipError_tPvRmT1_PNSt15iterator_traitsISY_E10value_typeET2_T3_PNSZ_IS14_E10value_typeET4_jRbjT5_S1A_jjP12ihipStream_tbEUljE_EEESV_SW_SX_S14_S18_S1A_T6_T7_T9_mT8_S1C_bDpT10_ENKUlT_T0_E_clISt17integral_constantIbLb0EES1O_IbLb1EEEEDaS1K_S1L_EUlS1K_E_NS1_11comp_targetILNS1_3genE10ELNS1_11target_archE1200ELNS1_3gpuE4ELNS1_3repE0EEENS1_30default_config_static_selectorELNS0_4arch9wavefront6targetE0EEEvSY_.uses_vcc, 1
	.set _ZN7rocprim17ROCPRIM_400000_NS6detail17trampoline_kernelINS0_13select_configILj256ELj13ELNS0_17block_load_methodE3ELS4_3ELS4_3ELNS0_20block_scan_algorithmE0ELj4294967295EEENS1_25partition_config_selectorILNS1_17partition_subalgoE3EjNS0_10empty_typeEbEEZZNS1_14partition_implILS8_3ELb0ES6_jNS0_17counting_iteratorIjlEEPS9_SE_NS0_5tupleIJPjSE_EEENSF_IJSE_SE_EEES9_SG_JZNS1_25segmented_radix_sort_implINS0_14default_configELb1EPKiPiPKlPlN2at6native12_GLOBAL__N_18offset_tEEE10hipError_tPvRmT1_PNSt15iterator_traitsISY_E10value_typeET2_T3_PNSZ_IS14_E10value_typeET4_jRbjT5_S1A_jjP12ihipStream_tbEUljE_EEESV_SW_SX_S14_S18_S1A_T6_T7_T9_mT8_S1C_bDpT10_ENKUlT_T0_E_clISt17integral_constantIbLb0EES1O_IbLb1EEEEDaS1K_S1L_EUlS1K_E_NS1_11comp_targetILNS1_3genE10ELNS1_11target_archE1200ELNS1_3gpuE4ELNS1_3repE0EEENS1_30default_config_static_selectorELNS0_4arch9wavefront6targetE0EEEvSY_.uses_flat_scratch, 0
	.set _ZN7rocprim17ROCPRIM_400000_NS6detail17trampoline_kernelINS0_13select_configILj256ELj13ELNS0_17block_load_methodE3ELS4_3ELS4_3ELNS0_20block_scan_algorithmE0ELj4294967295EEENS1_25partition_config_selectorILNS1_17partition_subalgoE3EjNS0_10empty_typeEbEEZZNS1_14partition_implILS8_3ELb0ES6_jNS0_17counting_iteratorIjlEEPS9_SE_NS0_5tupleIJPjSE_EEENSF_IJSE_SE_EEES9_SG_JZNS1_25segmented_radix_sort_implINS0_14default_configELb1EPKiPiPKlPlN2at6native12_GLOBAL__N_18offset_tEEE10hipError_tPvRmT1_PNSt15iterator_traitsISY_E10value_typeET2_T3_PNSZ_IS14_E10value_typeET4_jRbjT5_S1A_jjP12ihipStream_tbEUljE_EEESV_SW_SX_S14_S18_S1A_T6_T7_T9_mT8_S1C_bDpT10_ENKUlT_T0_E_clISt17integral_constantIbLb0EES1O_IbLb1EEEEDaS1K_S1L_EUlS1K_E_NS1_11comp_targetILNS1_3genE10ELNS1_11target_archE1200ELNS1_3gpuE4ELNS1_3repE0EEENS1_30default_config_static_selectorELNS0_4arch9wavefront6targetE0EEEvSY_.has_dyn_sized_stack, 0
	.set _ZN7rocprim17ROCPRIM_400000_NS6detail17trampoline_kernelINS0_13select_configILj256ELj13ELNS0_17block_load_methodE3ELS4_3ELS4_3ELNS0_20block_scan_algorithmE0ELj4294967295EEENS1_25partition_config_selectorILNS1_17partition_subalgoE3EjNS0_10empty_typeEbEEZZNS1_14partition_implILS8_3ELb0ES6_jNS0_17counting_iteratorIjlEEPS9_SE_NS0_5tupleIJPjSE_EEENSF_IJSE_SE_EEES9_SG_JZNS1_25segmented_radix_sort_implINS0_14default_configELb1EPKiPiPKlPlN2at6native12_GLOBAL__N_18offset_tEEE10hipError_tPvRmT1_PNSt15iterator_traitsISY_E10value_typeET2_T3_PNSZ_IS14_E10value_typeET4_jRbjT5_S1A_jjP12ihipStream_tbEUljE_EEESV_SW_SX_S14_S18_S1A_T6_T7_T9_mT8_S1C_bDpT10_ENKUlT_T0_E_clISt17integral_constantIbLb0EES1O_IbLb1EEEEDaS1K_S1L_EUlS1K_E_NS1_11comp_targetILNS1_3genE10ELNS1_11target_archE1200ELNS1_3gpuE4ELNS1_3repE0EEENS1_30default_config_static_selectorELNS0_4arch9wavefront6targetE0EEEvSY_.has_recursion, 0
	.set _ZN7rocprim17ROCPRIM_400000_NS6detail17trampoline_kernelINS0_13select_configILj256ELj13ELNS0_17block_load_methodE3ELS4_3ELS4_3ELNS0_20block_scan_algorithmE0ELj4294967295EEENS1_25partition_config_selectorILNS1_17partition_subalgoE3EjNS0_10empty_typeEbEEZZNS1_14partition_implILS8_3ELb0ES6_jNS0_17counting_iteratorIjlEEPS9_SE_NS0_5tupleIJPjSE_EEENSF_IJSE_SE_EEES9_SG_JZNS1_25segmented_radix_sort_implINS0_14default_configELb1EPKiPiPKlPlN2at6native12_GLOBAL__N_18offset_tEEE10hipError_tPvRmT1_PNSt15iterator_traitsISY_E10value_typeET2_T3_PNSZ_IS14_E10value_typeET4_jRbjT5_S1A_jjP12ihipStream_tbEUljE_EEESV_SW_SX_S14_S18_S1A_T6_T7_T9_mT8_S1C_bDpT10_ENKUlT_T0_E_clISt17integral_constantIbLb0EES1O_IbLb1EEEEDaS1K_S1L_EUlS1K_E_NS1_11comp_targetILNS1_3genE10ELNS1_11target_archE1200ELNS1_3gpuE4ELNS1_3repE0EEENS1_30default_config_static_selectorELNS0_4arch9wavefront6targetE0EEEvSY_.has_indirect_call, 0
	.section	.AMDGPU.csdata,"",@progbits
; Kernel info:
; codeLenInByte = 10900
; TotalNumSgprs: 28
; NumVgprs: 71
; ScratchSize: 0
; MemoryBound: 0
; FloatMode: 240
; IeeeMode: 1
; LDSByteSize: 13320 bytes/workgroup (compile time only)
; SGPRBlocks: 0
; VGPRBlocks: 8
; NumSGPRsForWavesPerEU: 28
; NumVGPRsForWavesPerEU: 71
; Occupancy: 16
; WaveLimiterHint : 0
; COMPUTE_PGM_RSRC2:SCRATCH_EN: 0
; COMPUTE_PGM_RSRC2:USER_SGPR: 2
; COMPUTE_PGM_RSRC2:TRAP_HANDLER: 0
; COMPUTE_PGM_RSRC2:TGID_X_EN: 1
; COMPUTE_PGM_RSRC2:TGID_Y_EN: 0
; COMPUTE_PGM_RSRC2:TGID_Z_EN: 0
; COMPUTE_PGM_RSRC2:TIDIG_COMP_CNT: 0
	.section	.text._ZN7rocprim17ROCPRIM_400000_NS6detail17trampoline_kernelINS0_13select_configILj256ELj13ELNS0_17block_load_methodE3ELS4_3ELS4_3ELNS0_20block_scan_algorithmE0ELj4294967295EEENS1_25partition_config_selectorILNS1_17partition_subalgoE3EjNS0_10empty_typeEbEEZZNS1_14partition_implILS8_3ELb0ES6_jNS0_17counting_iteratorIjlEEPS9_SE_NS0_5tupleIJPjSE_EEENSF_IJSE_SE_EEES9_SG_JZNS1_25segmented_radix_sort_implINS0_14default_configELb1EPKiPiPKlPlN2at6native12_GLOBAL__N_18offset_tEEE10hipError_tPvRmT1_PNSt15iterator_traitsISY_E10value_typeET2_T3_PNSZ_IS14_E10value_typeET4_jRbjT5_S1A_jjP12ihipStream_tbEUljE_EEESV_SW_SX_S14_S18_S1A_T6_T7_T9_mT8_S1C_bDpT10_ENKUlT_T0_E_clISt17integral_constantIbLb0EES1O_IbLb1EEEEDaS1K_S1L_EUlS1K_E_NS1_11comp_targetILNS1_3genE9ELNS1_11target_archE1100ELNS1_3gpuE3ELNS1_3repE0EEENS1_30default_config_static_selectorELNS0_4arch9wavefront6targetE0EEEvSY_,"axG",@progbits,_ZN7rocprim17ROCPRIM_400000_NS6detail17trampoline_kernelINS0_13select_configILj256ELj13ELNS0_17block_load_methodE3ELS4_3ELS4_3ELNS0_20block_scan_algorithmE0ELj4294967295EEENS1_25partition_config_selectorILNS1_17partition_subalgoE3EjNS0_10empty_typeEbEEZZNS1_14partition_implILS8_3ELb0ES6_jNS0_17counting_iteratorIjlEEPS9_SE_NS0_5tupleIJPjSE_EEENSF_IJSE_SE_EEES9_SG_JZNS1_25segmented_radix_sort_implINS0_14default_configELb1EPKiPiPKlPlN2at6native12_GLOBAL__N_18offset_tEEE10hipError_tPvRmT1_PNSt15iterator_traitsISY_E10value_typeET2_T3_PNSZ_IS14_E10value_typeET4_jRbjT5_S1A_jjP12ihipStream_tbEUljE_EEESV_SW_SX_S14_S18_S1A_T6_T7_T9_mT8_S1C_bDpT10_ENKUlT_T0_E_clISt17integral_constantIbLb0EES1O_IbLb1EEEEDaS1K_S1L_EUlS1K_E_NS1_11comp_targetILNS1_3genE9ELNS1_11target_archE1100ELNS1_3gpuE3ELNS1_3repE0EEENS1_30default_config_static_selectorELNS0_4arch9wavefront6targetE0EEEvSY_,comdat
	.globl	_ZN7rocprim17ROCPRIM_400000_NS6detail17trampoline_kernelINS0_13select_configILj256ELj13ELNS0_17block_load_methodE3ELS4_3ELS4_3ELNS0_20block_scan_algorithmE0ELj4294967295EEENS1_25partition_config_selectorILNS1_17partition_subalgoE3EjNS0_10empty_typeEbEEZZNS1_14partition_implILS8_3ELb0ES6_jNS0_17counting_iteratorIjlEEPS9_SE_NS0_5tupleIJPjSE_EEENSF_IJSE_SE_EEES9_SG_JZNS1_25segmented_radix_sort_implINS0_14default_configELb1EPKiPiPKlPlN2at6native12_GLOBAL__N_18offset_tEEE10hipError_tPvRmT1_PNSt15iterator_traitsISY_E10value_typeET2_T3_PNSZ_IS14_E10value_typeET4_jRbjT5_S1A_jjP12ihipStream_tbEUljE_EEESV_SW_SX_S14_S18_S1A_T6_T7_T9_mT8_S1C_bDpT10_ENKUlT_T0_E_clISt17integral_constantIbLb0EES1O_IbLb1EEEEDaS1K_S1L_EUlS1K_E_NS1_11comp_targetILNS1_3genE9ELNS1_11target_archE1100ELNS1_3gpuE3ELNS1_3repE0EEENS1_30default_config_static_selectorELNS0_4arch9wavefront6targetE0EEEvSY_ ; -- Begin function _ZN7rocprim17ROCPRIM_400000_NS6detail17trampoline_kernelINS0_13select_configILj256ELj13ELNS0_17block_load_methodE3ELS4_3ELS4_3ELNS0_20block_scan_algorithmE0ELj4294967295EEENS1_25partition_config_selectorILNS1_17partition_subalgoE3EjNS0_10empty_typeEbEEZZNS1_14partition_implILS8_3ELb0ES6_jNS0_17counting_iteratorIjlEEPS9_SE_NS0_5tupleIJPjSE_EEENSF_IJSE_SE_EEES9_SG_JZNS1_25segmented_radix_sort_implINS0_14default_configELb1EPKiPiPKlPlN2at6native12_GLOBAL__N_18offset_tEEE10hipError_tPvRmT1_PNSt15iterator_traitsISY_E10value_typeET2_T3_PNSZ_IS14_E10value_typeET4_jRbjT5_S1A_jjP12ihipStream_tbEUljE_EEESV_SW_SX_S14_S18_S1A_T6_T7_T9_mT8_S1C_bDpT10_ENKUlT_T0_E_clISt17integral_constantIbLb0EES1O_IbLb1EEEEDaS1K_S1L_EUlS1K_E_NS1_11comp_targetILNS1_3genE9ELNS1_11target_archE1100ELNS1_3gpuE3ELNS1_3repE0EEENS1_30default_config_static_selectorELNS0_4arch9wavefront6targetE0EEEvSY_
	.p2align	8
	.type	_ZN7rocprim17ROCPRIM_400000_NS6detail17trampoline_kernelINS0_13select_configILj256ELj13ELNS0_17block_load_methodE3ELS4_3ELS4_3ELNS0_20block_scan_algorithmE0ELj4294967295EEENS1_25partition_config_selectorILNS1_17partition_subalgoE3EjNS0_10empty_typeEbEEZZNS1_14partition_implILS8_3ELb0ES6_jNS0_17counting_iteratorIjlEEPS9_SE_NS0_5tupleIJPjSE_EEENSF_IJSE_SE_EEES9_SG_JZNS1_25segmented_radix_sort_implINS0_14default_configELb1EPKiPiPKlPlN2at6native12_GLOBAL__N_18offset_tEEE10hipError_tPvRmT1_PNSt15iterator_traitsISY_E10value_typeET2_T3_PNSZ_IS14_E10value_typeET4_jRbjT5_S1A_jjP12ihipStream_tbEUljE_EEESV_SW_SX_S14_S18_S1A_T6_T7_T9_mT8_S1C_bDpT10_ENKUlT_T0_E_clISt17integral_constantIbLb0EES1O_IbLb1EEEEDaS1K_S1L_EUlS1K_E_NS1_11comp_targetILNS1_3genE9ELNS1_11target_archE1100ELNS1_3gpuE3ELNS1_3repE0EEENS1_30default_config_static_selectorELNS0_4arch9wavefront6targetE0EEEvSY_,@function
_ZN7rocprim17ROCPRIM_400000_NS6detail17trampoline_kernelINS0_13select_configILj256ELj13ELNS0_17block_load_methodE3ELS4_3ELS4_3ELNS0_20block_scan_algorithmE0ELj4294967295EEENS1_25partition_config_selectorILNS1_17partition_subalgoE3EjNS0_10empty_typeEbEEZZNS1_14partition_implILS8_3ELb0ES6_jNS0_17counting_iteratorIjlEEPS9_SE_NS0_5tupleIJPjSE_EEENSF_IJSE_SE_EEES9_SG_JZNS1_25segmented_radix_sort_implINS0_14default_configELb1EPKiPiPKlPlN2at6native12_GLOBAL__N_18offset_tEEE10hipError_tPvRmT1_PNSt15iterator_traitsISY_E10value_typeET2_T3_PNSZ_IS14_E10value_typeET4_jRbjT5_S1A_jjP12ihipStream_tbEUljE_EEESV_SW_SX_S14_S18_S1A_T6_T7_T9_mT8_S1C_bDpT10_ENKUlT_T0_E_clISt17integral_constantIbLb0EES1O_IbLb1EEEEDaS1K_S1L_EUlS1K_E_NS1_11comp_targetILNS1_3genE9ELNS1_11target_archE1100ELNS1_3gpuE3ELNS1_3repE0EEENS1_30default_config_static_selectorELNS0_4arch9wavefront6targetE0EEEvSY_: ; @_ZN7rocprim17ROCPRIM_400000_NS6detail17trampoline_kernelINS0_13select_configILj256ELj13ELNS0_17block_load_methodE3ELS4_3ELS4_3ELNS0_20block_scan_algorithmE0ELj4294967295EEENS1_25partition_config_selectorILNS1_17partition_subalgoE3EjNS0_10empty_typeEbEEZZNS1_14partition_implILS8_3ELb0ES6_jNS0_17counting_iteratorIjlEEPS9_SE_NS0_5tupleIJPjSE_EEENSF_IJSE_SE_EEES9_SG_JZNS1_25segmented_radix_sort_implINS0_14default_configELb1EPKiPiPKlPlN2at6native12_GLOBAL__N_18offset_tEEE10hipError_tPvRmT1_PNSt15iterator_traitsISY_E10value_typeET2_T3_PNSZ_IS14_E10value_typeET4_jRbjT5_S1A_jjP12ihipStream_tbEUljE_EEESV_SW_SX_S14_S18_S1A_T6_T7_T9_mT8_S1C_bDpT10_ENKUlT_T0_E_clISt17integral_constantIbLb0EES1O_IbLb1EEEEDaS1K_S1L_EUlS1K_E_NS1_11comp_targetILNS1_3genE9ELNS1_11target_archE1100ELNS1_3gpuE3ELNS1_3repE0EEENS1_30default_config_static_selectorELNS0_4arch9wavefront6targetE0EEEvSY_
; %bb.0:
	.section	.rodata,"a",@progbits
	.p2align	6, 0x0
	.amdhsa_kernel _ZN7rocprim17ROCPRIM_400000_NS6detail17trampoline_kernelINS0_13select_configILj256ELj13ELNS0_17block_load_methodE3ELS4_3ELS4_3ELNS0_20block_scan_algorithmE0ELj4294967295EEENS1_25partition_config_selectorILNS1_17partition_subalgoE3EjNS0_10empty_typeEbEEZZNS1_14partition_implILS8_3ELb0ES6_jNS0_17counting_iteratorIjlEEPS9_SE_NS0_5tupleIJPjSE_EEENSF_IJSE_SE_EEES9_SG_JZNS1_25segmented_radix_sort_implINS0_14default_configELb1EPKiPiPKlPlN2at6native12_GLOBAL__N_18offset_tEEE10hipError_tPvRmT1_PNSt15iterator_traitsISY_E10value_typeET2_T3_PNSZ_IS14_E10value_typeET4_jRbjT5_S1A_jjP12ihipStream_tbEUljE_EEESV_SW_SX_S14_S18_S1A_T6_T7_T9_mT8_S1C_bDpT10_ENKUlT_T0_E_clISt17integral_constantIbLb0EES1O_IbLb1EEEEDaS1K_S1L_EUlS1K_E_NS1_11comp_targetILNS1_3genE9ELNS1_11target_archE1100ELNS1_3gpuE3ELNS1_3repE0EEENS1_30default_config_static_selectorELNS0_4arch9wavefront6targetE0EEEvSY_
		.amdhsa_group_segment_fixed_size 0
		.amdhsa_private_segment_fixed_size 0
		.amdhsa_kernarg_size 152
		.amdhsa_user_sgpr_count 2
		.amdhsa_user_sgpr_dispatch_ptr 0
		.amdhsa_user_sgpr_queue_ptr 0
		.amdhsa_user_sgpr_kernarg_segment_ptr 1
		.amdhsa_user_sgpr_dispatch_id 0
		.amdhsa_user_sgpr_private_segment_size 0
		.amdhsa_wavefront_size32 1
		.amdhsa_uses_dynamic_stack 0
		.amdhsa_enable_private_segment 0
		.amdhsa_system_sgpr_workgroup_id_x 1
		.amdhsa_system_sgpr_workgroup_id_y 0
		.amdhsa_system_sgpr_workgroup_id_z 0
		.amdhsa_system_sgpr_workgroup_info 0
		.amdhsa_system_vgpr_workitem_id 0
		.amdhsa_next_free_vgpr 1
		.amdhsa_next_free_sgpr 1
		.amdhsa_reserve_vcc 0
		.amdhsa_float_round_mode_32 0
		.amdhsa_float_round_mode_16_64 0
		.amdhsa_float_denorm_mode_32 3
		.amdhsa_float_denorm_mode_16_64 3
		.amdhsa_fp16_overflow 0
		.amdhsa_workgroup_processor_mode 1
		.amdhsa_memory_ordered 1
		.amdhsa_forward_progress 1
		.amdhsa_inst_pref_size 0
		.amdhsa_round_robin_scheduling 0
		.amdhsa_exception_fp_ieee_invalid_op 0
		.amdhsa_exception_fp_denorm_src 0
		.amdhsa_exception_fp_ieee_div_zero 0
		.amdhsa_exception_fp_ieee_overflow 0
		.amdhsa_exception_fp_ieee_underflow 0
		.amdhsa_exception_fp_ieee_inexact 0
		.amdhsa_exception_int_div_zero 0
	.end_amdhsa_kernel
	.section	.text._ZN7rocprim17ROCPRIM_400000_NS6detail17trampoline_kernelINS0_13select_configILj256ELj13ELNS0_17block_load_methodE3ELS4_3ELS4_3ELNS0_20block_scan_algorithmE0ELj4294967295EEENS1_25partition_config_selectorILNS1_17partition_subalgoE3EjNS0_10empty_typeEbEEZZNS1_14partition_implILS8_3ELb0ES6_jNS0_17counting_iteratorIjlEEPS9_SE_NS0_5tupleIJPjSE_EEENSF_IJSE_SE_EEES9_SG_JZNS1_25segmented_radix_sort_implINS0_14default_configELb1EPKiPiPKlPlN2at6native12_GLOBAL__N_18offset_tEEE10hipError_tPvRmT1_PNSt15iterator_traitsISY_E10value_typeET2_T3_PNSZ_IS14_E10value_typeET4_jRbjT5_S1A_jjP12ihipStream_tbEUljE_EEESV_SW_SX_S14_S18_S1A_T6_T7_T9_mT8_S1C_bDpT10_ENKUlT_T0_E_clISt17integral_constantIbLb0EES1O_IbLb1EEEEDaS1K_S1L_EUlS1K_E_NS1_11comp_targetILNS1_3genE9ELNS1_11target_archE1100ELNS1_3gpuE3ELNS1_3repE0EEENS1_30default_config_static_selectorELNS0_4arch9wavefront6targetE0EEEvSY_,"axG",@progbits,_ZN7rocprim17ROCPRIM_400000_NS6detail17trampoline_kernelINS0_13select_configILj256ELj13ELNS0_17block_load_methodE3ELS4_3ELS4_3ELNS0_20block_scan_algorithmE0ELj4294967295EEENS1_25partition_config_selectorILNS1_17partition_subalgoE3EjNS0_10empty_typeEbEEZZNS1_14partition_implILS8_3ELb0ES6_jNS0_17counting_iteratorIjlEEPS9_SE_NS0_5tupleIJPjSE_EEENSF_IJSE_SE_EEES9_SG_JZNS1_25segmented_radix_sort_implINS0_14default_configELb1EPKiPiPKlPlN2at6native12_GLOBAL__N_18offset_tEEE10hipError_tPvRmT1_PNSt15iterator_traitsISY_E10value_typeET2_T3_PNSZ_IS14_E10value_typeET4_jRbjT5_S1A_jjP12ihipStream_tbEUljE_EEESV_SW_SX_S14_S18_S1A_T6_T7_T9_mT8_S1C_bDpT10_ENKUlT_T0_E_clISt17integral_constantIbLb0EES1O_IbLb1EEEEDaS1K_S1L_EUlS1K_E_NS1_11comp_targetILNS1_3genE9ELNS1_11target_archE1100ELNS1_3gpuE3ELNS1_3repE0EEENS1_30default_config_static_selectorELNS0_4arch9wavefront6targetE0EEEvSY_,comdat
.Lfunc_end495:
	.size	_ZN7rocprim17ROCPRIM_400000_NS6detail17trampoline_kernelINS0_13select_configILj256ELj13ELNS0_17block_load_methodE3ELS4_3ELS4_3ELNS0_20block_scan_algorithmE0ELj4294967295EEENS1_25partition_config_selectorILNS1_17partition_subalgoE3EjNS0_10empty_typeEbEEZZNS1_14partition_implILS8_3ELb0ES6_jNS0_17counting_iteratorIjlEEPS9_SE_NS0_5tupleIJPjSE_EEENSF_IJSE_SE_EEES9_SG_JZNS1_25segmented_radix_sort_implINS0_14default_configELb1EPKiPiPKlPlN2at6native12_GLOBAL__N_18offset_tEEE10hipError_tPvRmT1_PNSt15iterator_traitsISY_E10value_typeET2_T3_PNSZ_IS14_E10value_typeET4_jRbjT5_S1A_jjP12ihipStream_tbEUljE_EEESV_SW_SX_S14_S18_S1A_T6_T7_T9_mT8_S1C_bDpT10_ENKUlT_T0_E_clISt17integral_constantIbLb0EES1O_IbLb1EEEEDaS1K_S1L_EUlS1K_E_NS1_11comp_targetILNS1_3genE9ELNS1_11target_archE1100ELNS1_3gpuE3ELNS1_3repE0EEENS1_30default_config_static_selectorELNS0_4arch9wavefront6targetE0EEEvSY_, .Lfunc_end495-_ZN7rocprim17ROCPRIM_400000_NS6detail17trampoline_kernelINS0_13select_configILj256ELj13ELNS0_17block_load_methodE3ELS4_3ELS4_3ELNS0_20block_scan_algorithmE0ELj4294967295EEENS1_25partition_config_selectorILNS1_17partition_subalgoE3EjNS0_10empty_typeEbEEZZNS1_14partition_implILS8_3ELb0ES6_jNS0_17counting_iteratorIjlEEPS9_SE_NS0_5tupleIJPjSE_EEENSF_IJSE_SE_EEES9_SG_JZNS1_25segmented_radix_sort_implINS0_14default_configELb1EPKiPiPKlPlN2at6native12_GLOBAL__N_18offset_tEEE10hipError_tPvRmT1_PNSt15iterator_traitsISY_E10value_typeET2_T3_PNSZ_IS14_E10value_typeET4_jRbjT5_S1A_jjP12ihipStream_tbEUljE_EEESV_SW_SX_S14_S18_S1A_T6_T7_T9_mT8_S1C_bDpT10_ENKUlT_T0_E_clISt17integral_constantIbLb0EES1O_IbLb1EEEEDaS1K_S1L_EUlS1K_E_NS1_11comp_targetILNS1_3genE9ELNS1_11target_archE1100ELNS1_3gpuE3ELNS1_3repE0EEENS1_30default_config_static_selectorELNS0_4arch9wavefront6targetE0EEEvSY_
                                        ; -- End function
	.set _ZN7rocprim17ROCPRIM_400000_NS6detail17trampoline_kernelINS0_13select_configILj256ELj13ELNS0_17block_load_methodE3ELS4_3ELS4_3ELNS0_20block_scan_algorithmE0ELj4294967295EEENS1_25partition_config_selectorILNS1_17partition_subalgoE3EjNS0_10empty_typeEbEEZZNS1_14partition_implILS8_3ELb0ES6_jNS0_17counting_iteratorIjlEEPS9_SE_NS0_5tupleIJPjSE_EEENSF_IJSE_SE_EEES9_SG_JZNS1_25segmented_radix_sort_implINS0_14default_configELb1EPKiPiPKlPlN2at6native12_GLOBAL__N_18offset_tEEE10hipError_tPvRmT1_PNSt15iterator_traitsISY_E10value_typeET2_T3_PNSZ_IS14_E10value_typeET4_jRbjT5_S1A_jjP12ihipStream_tbEUljE_EEESV_SW_SX_S14_S18_S1A_T6_T7_T9_mT8_S1C_bDpT10_ENKUlT_T0_E_clISt17integral_constantIbLb0EES1O_IbLb1EEEEDaS1K_S1L_EUlS1K_E_NS1_11comp_targetILNS1_3genE9ELNS1_11target_archE1100ELNS1_3gpuE3ELNS1_3repE0EEENS1_30default_config_static_selectorELNS0_4arch9wavefront6targetE0EEEvSY_.num_vgpr, 0
	.set _ZN7rocprim17ROCPRIM_400000_NS6detail17trampoline_kernelINS0_13select_configILj256ELj13ELNS0_17block_load_methodE3ELS4_3ELS4_3ELNS0_20block_scan_algorithmE0ELj4294967295EEENS1_25partition_config_selectorILNS1_17partition_subalgoE3EjNS0_10empty_typeEbEEZZNS1_14partition_implILS8_3ELb0ES6_jNS0_17counting_iteratorIjlEEPS9_SE_NS0_5tupleIJPjSE_EEENSF_IJSE_SE_EEES9_SG_JZNS1_25segmented_radix_sort_implINS0_14default_configELb1EPKiPiPKlPlN2at6native12_GLOBAL__N_18offset_tEEE10hipError_tPvRmT1_PNSt15iterator_traitsISY_E10value_typeET2_T3_PNSZ_IS14_E10value_typeET4_jRbjT5_S1A_jjP12ihipStream_tbEUljE_EEESV_SW_SX_S14_S18_S1A_T6_T7_T9_mT8_S1C_bDpT10_ENKUlT_T0_E_clISt17integral_constantIbLb0EES1O_IbLb1EEEEDaS1K_S1L_EUlS1K_E_NS1_11comp_targetILNS1_3genE9ELNS1_11target_archE1100ELNS1_3gpuE3ELNS1_3repE0EEENS1_30default_config_static_selectorELNS0_4arch9wavefront6targetE0EEEvSY_.num_agpr, 0
	.set _ZN7rocprim17ROCPRIM_400000_NS6detail17trampoline_kernelINS0_13select_configILj256ELj13ELNS0_17block_load_methodE3ELS4_3ELS4_3ELNS0_20block_scan_algorithmE0ELj4294967295EEENS1_25partition_config_selectorILNS1_17partition_subalgoE3EjNS0_10empty_typeEbEEZZNS1_14partition_implILS8_3ELb0ES6_jNS0_17counting_iteratorIjlEEPS9_SE_NS0_5tupleIJPjSE_EEENSF_IJSE_SE_EEES9_SG_JZNS1_25segmented_radix_sort_implINS0_14default_configELb1EPKiPiPKlPlN2at6native12_GLOBAL__N_18offset_tEEE10hipError_tPvRmT1_PNSt15iterator_traitsISY_E10value_typeET2_T3_PNSZ_IS14_E10value_typeET4_jRbjT5_S1A_jjP12ihipStream_tbEUljE_EEESV_SW_SX_S14_S18_S1A_T6_T7_T9_mT8_S1C_bDpT10_ENKUlT_T0_E_clISt17integral_constantIbLb0EES1O_IbLb1EEEEDaS1K_S1L_EUlS1K_E_NS1_11comp_targetILNS1_3genE9ELNS1_11target_archE1100ELNS1_3gpuE3ELNS1_3repE0EEENS1_30default_config_static_selectorELNS0_4arch9wavefront6targetE0EEEvSY_.numbered_sgpr, 0
	.set _ZN7rocprim17ROCPRIM_400000_NS6detail17trampoline_kernelINS0_13select_configILj256ELj13ELNS0_17block_load_methodE3ELS4_3ELS4_3ELNS0_20block_scan_algorithmE0ELj4294967295EEENS1_25partition_config_selectorILNS1_17partition_subalgoE3EjNS0_10empty_typeEbEEZZNS1_14partition_implILS8_3ELb0ES6_jNS0_17counting_iteratorIjlEEPS9_SE_NS0_5tupleIJPjSE_EEENSF_IJSE_SE_EEES9_SG_JZNS1_25segmented_radix_sort_implINS0_14default_configELb1EPKiPiPKlPlN2at6native12_GLOBAL__N_18offset_tEEE10hipError_tPvRmT1_PNSt15iterator_traitsISY_E10value_typeET2_T3_PNSZ_IS14_E10value_typeET4_jRbjT5_S1A_jjP12ihipStream_tbEUljE_EEESV_SW_SX_S14_S18_S1A_T6_T7_T9_mT8_S1C_bDpT10_ENKUlT_T0_E_clISt17integral_constantIbLb0EES1O_IbLb1EEEEDaS1K_S1L_EUlS1K_E_NS1_11comp_targetILNS1_3genE9ELNS1_11target_archE1100ELNS1_3gpuE3ELNS1_3repE0EEENS1_30default_config_static_selectorELNS0_4arch9wavefront6targetE0EEEvSY_.num_named_barrier, 0
	.set _ZN7rocprim17ROCPRIM_400000_NS6detail17trampoline_kernelINS0_13select_configILj256ELj13ELNS0_17block_load_methodE3ELS4_3ELS4_3ELNS0_20block_scan_algorithmE0ELj4294967295EEENS1_25partition_config_selectorILNS1_17partition_subalgoE3EjNS0_10empty_typeEbEEZZNS1_14partition_implILS8_3ELb0ES6_jNS0_17counting_iteratorIjlEEPS9_SE_NS0_5tupleIJPjSE_EEENSF_IJSE_SE_EEES9_SG_JZNS1_25segmented_radix_sort_implINS0_14default_configELb1EPKiPiPKlPlN2at6native12_GLOBAL__N_18offset_tEEE10hipError_tPvRmT1_PNSt15iterator_traitsISY_E10value_typeET2_T3_PNSZ_IS14_E10value_typeET4_jRbjT5_S1A_jjP12ihipStream_tbEUljE_EEESV_SW_SX_S14_S18_S1A_T6_T7_T9_mT8_S1C_bDpT10_ENKUlT_T0_E_clISt17integral_constantIbLb0EES1O_IbLb1EEEEDaS1K_S1L_EUlS1K_E_NS1_11comp_targetILNS1_3genE9ELNS1_11target_archE1100ELNS1_3gpuE3ELNS1_3repE0EEENS1_30default_config_static_selectorELNS0_4arch9wavefront6targetE0EEEvSY_.private_seg_size, 0
	.set _ZN7rocprim17ROCPRIM_400000_NS6detail17trampoline_kernelINS0_13select_configILj256ELj13ELNS0_17block_load_methodE3ELS4_3ELS4_3ELNS0_20block_scan_algorithmE0ELj4294967295EEENS1_25partition_config_selectorILNS1_17partition_subalgoE3EjNS0_10empty_typeEbEEZZNS1_14partition_implILS8_3ELb0ES6_jNS0_17counting_iteratorIjlEEPS9_SE_NS0_5tupleIJPjSE_EEENSF_IJSE_SE_EEES9_SG_JZNS1_25segmented_radix_sort_implINS0_14default_configELb1EPKiPiPKlPlN2at6native12_GLOBAL__N_18offset_tEEE10hipError_tPvRmT1_PNSt15iterator_traitsISY_E10value_typeET2_T3_PNSZ_IS14_E10value_typeET4_jRbjT5_S1A_jjP12ihipStream_tbEUljE_EEESV_SW_SX_S14_S18_S1A_T6_T7_T9_mT8_S1C_bDpT10_ENKUlT_T0_E_clISt17integral_constantIbLb0EES1O_IbLb1EEEEDaS1K_S1L_EUlS1K_E_NS1_11comp_targetILNS1_3genE9ELNS1_11target_archE1100ELNS1_3gpuE3ELNS1_3repE0EEENS1_30default_config_static_selectorELNS0_4arch9wavefront6targetE0EEEvSY_.uses_vcc, 0
	.set _ZN7rocprim17ROCPRIM_400000_NS6detail17trampoline_kernelINS0_13select_configILj256ELj13ELNS0_17block_load_methodE3ELS4_3ELS4_3ELNS0_20block_scan_algorithmE0ELj4294967295EEENS1_25partition_config_selectorILNS1_17partition_subalgoE3EjNS0_10empty_typeEbEEZZNS1_14partition_implILS8_3ELb0ES6_jNS0_17counting_iteratorIjlEEPS9_SE_NS0_5tupleIJPjSE_EEENSF_IJSE_SE_EEES9_SG_JZNS1_25segmented_radix_sort_implINS0_14default_configELb1EPKiPiPKlPlN2at6native12_GLOBAL__N_18offset_tEEE10hipError_tPvRmT1_PNSt15iterator_traitsISY_E10value_typeET2_T3_PNSZ_IS14_E10value_typeET4_jRbjT5_S1A_jjP12ihipStream_tbEUljE_EEESV_SW_SX_S14_S18_S1A_T6_T7_T9_mT8_S1C_bDpT10_ENKUlT_T0_E_clISt17integral_constantIbLb0EES1O_IbLb1EEEEDaS1K_S1L_EUlS1K_E_NS1_11comp_targetILNS1_3genE9ELNS1_11target_archE1100ELNS1_3gpuE3ELNS1_3repE0EEENS1_30default_config_static_selectorELNS0_4arch9wavefront6targetE0EEEvSY_.uses_flat_scratch, 0
	.set _ZN7rocprim17ROCPRIM_400000_NS6detail17trampoline_kernelINS0_13select_configILj256ELj13ELNS0_17block_load_methodE3ELS4_3ELS4_3ELNS0_20block_scan_algorithmE0ELj4294967295EEENS1_25partition_config_selectorILNS1_17partition_subalgoE3EjNS0_10empty_typeEbEEZZNS1_14partition_implILS8_3ELb0ES6_jNS0_17counting_iteratorIjlEEPS9_SE_NS0_5tupleIJPjSE_EEENSF_IJSE_SE_EEES9_SG_JZNS1_25segmented_radix_sort_implINS0_14default_configELb1EPKiPiPKlPlN2at6native12_GLOBAL__N_18offset_tEEE10hipError_tPvRmT1_PNSt15iterator_traitsISY_E10value_typeET2_T3_PNSZ_IS14_E10value_typeET4_jRbjT5_S1A_jjP12ihipStream_tbEUljE_EEESV_SW_SX_S14_S18_S1A_T6_T7_T9_mT8_S1C_bDpT10_ENKUlT_T0_E_clISt17integral_constantIbLb0EES1O_IbLb1EEEEDaS1K_S1L_EUlS1K_E_NS1_11comp_targetILNS1_3genE9ELNS1_11target_archE1100ELNS1_3gpuE3ELNS1_3repE0EEENS1_30default_config_static_selectorELNS0_4arch9wavefront6targetE0EEEvSY_.has_dyn_sized_stack, 0
	.set _ZN7rocprim17ROCPRIM_400000_NS6detail17trampoline_kernelINS0_13select_configILj256ELj13ELNS0_17block_load_methodE3ELS4_3ELS4_3ELNS0_20block_scan_algorithmE0ELj4294967295EEENS1_25partition_config_selectorILNS1_17partition_subalgoE3EjNS0_10empty_typeEbEEZZNS1_14partition_implILS8_3ELb0ES6_jNS0_17counting_iteratorIjlEEPS9_SE_NS0_5tupleIJPjSE_EEENSF_IJSE_SE_EEES9_SG_JZNS1_25segmented_radix_sort_implINS0_14default_configELb1EPKiPiPKlPlN2at6native12_GLOBAL__N_18offset_tEEE10hipError_tPvRmT1_PNSt15iterator_traitsISY_E10value_typeET2_T3_PNSZ_IS14_E10value_typeET4_jRbjT5_S1A_jjP12ihipStream_tbEUljE_EEESV_SW_SX_S14_S18_S1A_T6_T7_T9_mT8_S1C_bDpT10_ENKUlT_T0_E_clISt17integral_constantIbLb0EES1O_IbLb1EEEEDaS1K_S1L_EUlS1K_E_NS1_11comp_targetILNS1_3genE9ELNS1_11target_archE1100ELNS1_3gpuE3ELNS1_3repE0EEENS1_30default_config_static_selectorELNS0_4arch9wavefront6targetE0EEEvSY_.has_recursion, 0
	.set _ZN7rocprim17ROCPRIM_400000_NS6detail17trampoline_kernelINS0_13select_configILj256ELj13ELNS0_17block_load_methodE3ELS4_3ELS4_3ELNS0_20block_scan_algorithmE0ELj4294967295EEENS1_25partition_config_selectorILNS1_17partition_subalgoE3EjNS0_10empty_typeEbEEZZNS1_14partition_implILS8_3ELb0ES6_jNS0_17counting_iteratorIjlEEPS9_SE_NS0_5tupleIJPjSE_EEENSF_IJSE_SE_EEES9_SG_JZNS1_25segmented_radix_sort_implINS0_14default_configELb1EPKiPiPKlPlN2at6native12_GLOBAL__N_18offset_tEEE10hipError_tPvRmT1_PNSt15iterator_traitsISY_E10value_typeET2_T3_PNSZ_IS14_E10value_typeET4_jRbjT5_S1A_jjP12ihipStream_tbEUljE_EEESV_SW_SX_S14_S18_S1A_T6_T7_T9_mT8_S1C_bDpT10_ENKUlT_T0_E_clISt17integral_constantIbLb0EES1O_IbLb1EEEEDaS1K_S1L_EUlS1K_E_NS1_11comp_targetILNS1_3genE9ELNS1_11target_archE1100ELNS1_3gpuE3ELNS1_3repE0EEENS1_30default_config_static_selectorELNS0_4arch9wavefront6targetE0EEEvSY_.has_indirect_call, 0
	.section	.AMDGPU.csdata,"",@progbits
; Kernel info:
; codeLenInByte = 0
; TotalNumSgprs: 0
; NumVgprs: 0
; ScratchSize: 0
; MemoryBound: 0
; FloatMode: 240
; IeeeMode: 1
; LDSByteSize: 0 bytes/workgroup (compile time only)
; SGPRBlocks: 0
; VGPRBlocks: 0
; NumSGPRsForWavesPerEU: 1
; NumVGPRsForWavesPerEU: 1
; Occupancy: 16
; WaveLimiterHint : 0
; COMPUTE_PGM_RSRC2:SCRATCH_EN: 0
; COMPUTE_PGM_RSRC2:USER_SGPR: 2
; COMPUTE_PGM_RSRC2:TRAP_HANDLER: 0
; COMPUTE_PGM_RSRC2:TGID_X_EN: 1
; COMPUTE_PGM_RSRC2:TGID_Y_EN: 0
; COMPUTE_PGM_RSRC2:TGID_Z_EN: 0
; COMPUTE_PGM_RSRC2:TIDIG_COMP_CNT: 0
	.section	.text._ZN7rocprim17ROCPRIM_400000_NS6detail17trampoline_kernelINS0_13select_configILj256ELj13ELNS0_17block_load_methodE3ELS4_3ELS4_3ELNS0_20block_scan_algorithmE0ELj4294967295EEENS1_25partition_config_selectorILNS1_17partition_subalgoE3EjNS0_10empty_typeEbEEZZNS1_14partition_implILS8_3ELb0ES6_jNS0_17counting_iteratorIjlEEPS9_SE_NS0_5tupleIJPjSE_EEENSF_IJSE_SE_EEES9_SG_JZNS1_25segmented_radix_sort_implINS0_14default_configELb1EPKiPiPKlPlN2at6native12_GLOBAL__N_18offset_tEEE10hipError_tPvRmT1_PNSt15iterator_traitsISY_E10value_typeET2_T3_PNSZ_IS14_E10value_typeET4_jRbjT5_S1A_jjP12ihipStream_tbEUljE_EEESV_SW_SX_S14_S18_S1A_T6_T7_T9_mT8_S1C_bDpT10_ENKUlT_T0_E_clISt17integral_constantIbLb0EES1O_IbLb1EEEEDaS1K_S1L_EUlS1K_E_NS1_11comp_targetILNS1_3genE8ELNS1_11target_archE1030ELNS1_3gpuE2ELNS1_3repE0EEENS1_30default_config_static_selectorELNS0_4arch9wavefront6targetE0EEEvSY_,"axG",@progbits,_ZN7rocprim17ROCPRIM_400000_NS6detail17trampoline_kernelINS0_13select_configILj256ELj13ELNS0_17block_load_methodE3ELS4_3ELS4_3ELNS0_20block_scan_algorithmE0ELj4294967295EEENS1_25partition_config_selectorILNS1_17partition_subalgoE3EjNS0_10empty_typeEbEEZZNS1_14partition_implILS8_3ELb0ES6_jNS0_17counting_iteratorIjlEEPS9_SE_NS0_5tupleIJPjSE_EEENSF_IJSE_SE_EEES9_SG_JZNS1_25segmented_radix_sort_implINS0_14default_configELb1EPKiPiPKlPlN2at6native12_GLOBAL__N_18offset_tEEE10hipError_tPvRmT1_PNSt15iterator_traitsISY_E10value_typeET2_T3_PNSZ_IS14_E10value_typeET4_jRbjT5_S1A_jjP12ihipStream_tbEUljE_EEESV_SW_SX_S14_S18_S1A_T6_T7_T9_mT8_S1C_bDpT10_ENKUlT_T0_E_clISt17integral_constantIbLb0EES1O_IbLb1EEEEDaS1K_S1L_EUlS1K_E_NS1_11comp_targetILNS1_3genE8ELNS1_11target_archE1030ELNS1_3gpuE2ELNS1_3repE0EEENS1_30default_config_static_selectorELNS0_4arch9wavefront6targetE0EEEvSY_,comdat
	.globl	_ZN7rocprim17ROCPRIM_400000_NS6detail17trampoline_kernelINS0_13select_configILj256ELj13ELNS0_17block_load_methodE3ELS4_3ELS4_3ELNS0_20block_scan_algorithmE0ELj4294967295EEENS1_25partition_config_selectorILNS1_17partition_subalgoE3EjNS0_10empty_typeEbEEZZNS1_14partition_implILS8_3ELb0ES6_jNS0_17counting_iteratorIjlEEPS9_SE_NS0_5tupleIJPjSE_EEENSF_IJSE_SE_EEES9_SG_JZNS1_25segmented_radix_sort_implINS0_14default_configELb1EPKiPiPKlPlN2at6native12_GLOBAL__N_18offset_tEEE10hipError_tPvRmT1_PNSt15iterator_traitsISY_E10value_typeET2_T3_PNSZ_IS14_E10value_typeET4_jRbjT5_S1A_jjP12ihipStream_tbEUljE_EEESV_SW_SX_S14_S18_S1A_T6_T7_T9_mT8_S1C_bDpT10_ENKUlT_T0_E_clISt17integral_constantIbLb0EES1O_IbLb1EEEEDaS1K_S1L_EUlS1K_E_NS1_11comp_targetILNS1_3genE8ELNS1_11target_archE1030ELNS1_3gpuE2ELNS1_3repE0EEENS1_30default_config_static_selectorELNS0_4arch9wavefront6targetE0EEEvSY_ ; -- Begin function _ZN7rocprim17ROCPRIM_400000_NS6detail17trampoline_kernelINS0_13select_configILj256ELj13ELNS0_17block_load_methodE3ELS4_3ELS4_3ELNS0_20block_scan_algorithmE0ELj4294967295EEENS1_25partition_config_selectorILNS1_17partition_subalgoE3EjNS0_10empty_typeEbEEZZNS1_14partition_implILS8_3ELb0ES6_jNS0_17counting_iteratorIjlEEPS9_SE_NS0_5tupleIJPjSE_EEENSF_IJSE_SE_EEES9_SG_JZNS1_25segmented_radix_sort_implINS0_14default_configELb1EPKiPiPKlPlN2at6native12_GLOBAL__N_18offset_tEEE10hipError_tPvRmT1_PNSt15iterator_traitsISY_E10value_typeET2_T3_PNSZ_IS14_E10value_typeET4_jRbjT5_S1A_jjP12ihipStream_tbEUljE_EEESV_SW_SX_S14_S18_S1A_T6_T7_T9_mT8_S1C_bDpT10_ENKUlT_T0_E_clISt17integral_constantIbLb0EES1O_IbLb1EEEEDaS1K_S1L_EUlS1K_E_NS1_11comp_targetILNS1_3genE8ELNS1_11target_archE1030ELNS1_3gpuE2ELNS1_3repE0EEENS1_30default_config_static_selectorELNS0_4arch9wavefront6targetE0EEEvSY_
	.p2align	8
	.type	_ZN7rocprim17ROCPRIM_400000_NS6detail17trampoline_kernelINS0_13select_configILj256ELj13ELNS0_17block_load_methodE3ELS4_3ELS4_3ELNS0_20block_scan_algorithmE0ELj4294967295EEENS1_25partition_config_selectorILNS1_17partition_subalgoE3EjNS0_10empty_typeEbEEZZNS1_14partition_implILS8_3ELb0ES6_jNS0_17counting_iteratorIjlEEPS9_SE_NS0_5tupleIJPjSE_EEENSF_IJSE_SE_EEES9_SG_JZNS1_25segmented_radix_sort_implINS0_14default_configELb1EPKiPiPKlPlN2at6native12_GLOBAL__N_18offset_tEEE10hipError_tPvRmT1_PNSt15iterator_traitsISY_E10value_typeET2_T3_PNSZ_IS14_E10value_typeET4_jRbjT5_S1A_jjP12ihipStream_tbEUljE_EEESV_SW_SX_S14_S18_S1A_T6_T7_T9_mT8_S1C_bDpT10_ENKUlT_T0_E_clISt17integral_constantIbLb0EES1O_IbLb1EEEEDaS1K_S1L_EUlS1K_E_NS1_11comp_targetILNS1_3genE8ELNS1_11target_archE1030ELNS1_3gpuE2ELNS1_3repE0EEENS1_30default_config_static_selectorELNS0_4arch9wavefront6targetE0EEEvSY_,@function
_ZN7rocprim17ROCPRIM_400000_NS6detail17trampoline_kernelINS0_13select_configILj256ELj13ELNS0_17block_load_methodE3ELS4_3ELS4_3ELNS0_20block_scan_algorithmE0ELj4294967295EEENS1_25partition_config_selectorILNS1_17partition_subalgoE3EjNS0_10empty_typeEbEEZZNS1_14partition_implILS8_3ELb0ES6_jNS0_17counting_iteratorIjlEEPS9_SE_NS0_5tupleIJPjSE_EEENSF_IJSE_SE_EEES9_SG_JZNS1_25segmented_radix_sort_implINS0_14default_configELb1EPKiPiPKlPlN2at6native12_GLOBAL__N_18offset_tEEE10hipError_tPvRmT1_PNSt15iterator_traitsISY_E10value_typeET2_T3_PNSZ_IS14_E10value_typeET4_jRbjT5_S1A_jjP12ihipStream_tbEUljE_EEESV_SW_SX_S14_S18_S1A_T6_T7_T9_mT8_S1C_bDpT10_ENKUlT_T0_E_clISt17integral_constantIbLb0EES1O_IbLb1EEEEDaS1K_S1L_EUlS1K_E_NS1_11comp_targetILNS1_3genE8ELNS1_11target_archE1030ELNS1_3gpuE2ELNS1_3repE0EEENS1_30default_config_static_selectorELNS0_4arch9wavefront6targetE0EEEvSY_: ; @_ZN7rocprim17ROCPRIM_400000_NS6detail17trampoline_kernelINS0_13select_configILj256ELj13ELNS0_17block_load_methodE3ELS4_3ELS4_3ELNS0_20block_scan_algorithmE0ELj4294967295EEENS1_25partition_config_selectorILNS1_17partition_subalgoE3EjNS0_10empty_typeEbEEZZNS1_14partition_implILS8_3ELb0ES6_jNS0_17counting_iteratorIjlEEPS9_SE_NS0_5tupleIJPjSE_EEENSF_IJSE_SE_EEES9_SG_JZNS1_25segmented_radix_sort_implINS0_14default_configELb1EPKiPiPKlPlN2at6native12_GLOBAL__N_18offset_tEEE10hipError_tPvRmT1_PNSt15iterator_traitsISY_E10value_typeET2_T3_PNSZ_IS14_E10value_typeET4_jRbjT5_S1A_jjP12ihipStream_tbEUljE_EEESV_SW_SX_S14_S18_S1A_T6_T7_T9_mT8_S1C_bDpT10_ENKUlT_T0_E_clISt17integral_constantIbLb0EES1O_IbLb1EEEEDaS1K_S1L_EUlS1K_E_NS1_11comp_targetILNS1_3genE8ELNS1_11target_archE1030ELNS1_3gpuE2ELNS1_3repE0EEENS1_30default_config_static_selectorELNS0_4arch9wavefront6targetE0EEEvSY_
; %bb.0:
	.section	.rodata,"a",@progbits
	.p2align	6, 0x0
	.amdhsa_kernel _ZN7rocprim17ROCPRIM_400000_NS6detail17trampoline_kernelINS0_13select_configILj256ELj13ELNS0_17block_load_methodE3ELS4_3ELS4_3ELNS0_20block_scan_algorithmE0ELj4294967295EEENS1_25partition_config_selectorILNS1_17partition_subalgoE3EjNS0_10empty_typeEbEEZZNS1_14partition_implILS8_3ELb0ES6_jNS0_17counting_iteratorIjlEEPS9_SE_NS0_5tupleIJPjSE_EEENSF_IJSE_SE_EEES9_SG_JZNS1_25segmented_radix_sort_implINS0_14default_configELb1EPKiPiPKlPlN2at6native12_GLOBAL__N_18offset_tEEE10hipError_tPvRmT1_PNSt15iterator_traitsISY_E10value_typeET2_T3_PNSZ_IS14_E10value_typeET4_jRbjT5_S1A_jjP12ihipStream_tbEUljE_EEESV_SW_SX_S14_S18_S1A_T6_T7_T9_mT8_S1C_bDpT10_ENKUlT_T0_E_clISt17integral_constantIbLb0EES1O_IbLb1EEEEDaS1K_S1L_EUlS1K_E_NS1_11comp_targetILNS1_3genE8ELNS1_11target_archE1030ELNS1_3gpuE2ELNS1_3repE0EEENS1_30default_config_static_selectorELNS0_4arch9wavefront6targetE0EEEvSY_
		.amdhsa_group_segment_fixed_size 0
		.amdhsa_private_segment_fixed_size 0
		.amdhsa_kernarg_size 152
		.amdhsa_user_sgpr_count 2
		.amdhsa_user_sgpr_dispatch_ptr 0
		.amdhsa_user_sgpr_queue_ptr 0
		.amdhsa_user_sgpr_kernarg_segment_ptr 1
		.amdhsa_user_sgpr_dispatch_id 0
		.amdhsa_user_sgpr_private_segment_size 0
		.amdhsa_wavefront_size32 1
		.amdhsa_uses_dynamic_stack 0
		.amdhsa_enable_private_segment 0
		.amdhsa_system_sgpr_workgroup_id_x 1
		.amdhsa_system_sgpr_workgroup_id_y 0
		.amdhsa_system_sgpr_workgroup_id_z 0
		.amdhsa_system_sgpr_workgroup_info 0
		.amdhsa_system_vgpr_workitem_id 0
		.amdhsa_next_free_vgpr 1
		.amdhsa_next_free_sgpr 1
		.amdhsa_reserve_vcc 0
		.amdhsa_float_round_mode_32 0
		.amdhsa_float_round_mode_16_64 0
		.amdhsa_float_denorm_mode_32 3
		.amdhsa_float_denorm_mode_16_64 3
		.amdhsa_fp16_overflow 0
		.amdhsa_workgroup_processor_mode 1
		.amdhsa_memory_ordered 1
		.amdhsa_forward_progress 1
		.amdhsa_inst_pref_size 0
		.amdhsa_round_robin_scheduling 0
		.amdhsa_exception_fp_ieee_invalid_op 0
		.amdhsa_exception_fp_denorm_src 0
		.amdhsa_exception_fp_ieee_div_zero 0
		.amdhsa_exception_fp_ieee_overflow 0
		.amdhsa_exception_fp_ieee_underflow 0
		.amdhsa_exception_fp_ieee_inexact 0
		.amdhsa_exception_int_div_zero 0
	.end_amdhsa_kernel
	.section	.text._ZN7rocprim17ROCPRIM_400000_NS6detail17trampoline_kernelINS0_13select_configILj256ELj13ELNS0_17block_load_methodE3ELS4_3ELS4_3ELNS0_20block_scan_algorithmE0ELj4294967295EEENS1_25partition_config_selectorILNS1_17partition_subalgoE3EjNS0_10empty_typeEbEEZZNS1_14partition_implILS8_3ELb0ES6_jNS0_17counting_iteratorIjlEEPS9_SE_NS0_5tupleIJPjSE_EEENSF_IJSE_SE_EEES9_SG_JZNS1_25segmented_radix_sort_implINS0_14default_configELb1EPKiPiPKlPlN2at6native12_GLOBAL__N_18offset_tEEE10hipError_tPvRmT1_PNSt15iterator_traitsISY_E10value_typeET2_T3_PNSZ_IS14_E10value_typeET4_jRbjT5_S1A_jjP12ihipStream_tbEUljE_EEESV_SW_SX_S14_S18_S1A_T6_T7_T9_mT8_S1C_bDpT10_ENKUlT_T0_E_clISt17integral_constantIbLb0EES1O_IbLb1EEEEDaS1K_S1L_EUlS1K_E_NS1_11comp_targetILNS1_3genE8ELNS1_11target_archE1030ELNS1_3gpuE2ELNS1_3repE0EEENS1_30default_config_static_selectorELNS0_4arch9wavefront6targetE0EEEvSY_,"axG",@progbits,_ZN7rocprim17ROCPRIM_400000_NS6detail17trampoline_kernelINS0_13select_configILj256ELj13ELNS0_17block_load_methodE3ELS4_3ELS4_3ELNS0_20block_scan_algorithmE0ELj4294967295EEENS1_25partition_config_selectorILNS1_17partition_subalgoE3EjNS0_10empty_typeEbEEZZNS1_14partition_implILS8_3ELb0ES6_jNS0_17counting_iteratorIjlEEPS9_SE_NS0_5tupleIJPjSE_EEENSF_IJSE_SE_EEES9_SG_JZNS1_25segmented_radix_sort_implINS0_14default_configELb1EPKiPiPKlPlN2at6native12_GLOBAL__N_18offset_tEEE10hipError_tPvRmT1_PNSt15iterator_traitsISY_E10value_typeET2_T3_PNSZ_IS14_E10value_typeET4_jRbjT5_S1A_jjP12ihipStream_tbEUljE_EEESV_SW_SX_S14_S18_S1A_T6_T7_T9_mT8_S1C_bDpT10_ENKUlT_T0_E_clISt17integral_constantIbLb0EES1O_IbLb1EEEEDaS1K_S1L_EUlS1K_E_NS1_11comp_targetILNS1_3genE8ELNS1_11target_archE1030ELNS1_3gpuE2ELNS1_3repE0EEENS1_30default_config_static_selectorELNS0_4arch9wavefront6targetE0EEEvSY_,comdat
.Lfunc_end496:
	.size	_ZN7rocprim17ROCPRIM_400000_NS6detail17trampoline_kernelINS0_13select_configILj256ELj13ELNS0_17block_load_methodE3ELS4_3ELS4_3ELNS0_20block_scan_algorithmE0ELj4294967295EEENS1_25partition_config_selectorILNS1_17partition_subalgoE3EjNS0_10empty_typeEbEEZZNS1_14partition_implILS8_3ELb0ES6_jNS0_17counting_iteratorIjlEEPS9_SE_NS0_5tupleIJPjSE_EEENSF_IJSE_SE_EEES9_SG_JZNS1_25segmented_radix_sort_implINS0_14default_configELb1EPKiPiPKlPlN2at6native12_GLOBAL__N_18offset_tEEE10hipError_tPvRmT1_PNSt15iterator_traitsISY_E10value_typeET2_T3_PNSZ_IS14_E10value_typeET4_jRbjT5_S1A_jjP12ihipStream_tbEUljE_EEESV_SW_SX_S14_S18_S1A_T6_T7_T9_mT8_S1C_bDpT10_ENKUlT_T0_E_clISt17integral_constantIbLb0EES1O_IbLb1EEEEDaS1K_S1L_EUlS1K_E_NS1_11comp_targetILNS1_3genE8ELNS1_11target_archE1030ELNS1_3gpuE2ELNS1_3repE0EEENS1_30default_config_static_selectorELNS0_4arch9wavefront6targetE0EEEvSY_, .Lfunc_end496-_ZN7rocprim17ROCPRIM_400000_NS6detail17trampoline_kernelINS0_13select_configILj256ELj13ELNS0_17block_load_methodE3ELS4_3ELS4_3ELNS0_20block_scan_algorithmE0ELj4294967295EEENS1_25partition_config_selectorILNS1_17partition_subalgoE3EjNS0_10empty_typeEbEEZZNS1_14partition_implILS8_3ELb0ES6_jNS0_17counting_iteratorIjlEEPS9_SE_NS0_5tupleIJPjSE_EEENSF_IJSE_SE_EEES9_SG_JZNS1_25segmented_radix_sort_implINS0_14default_configELb1EPKiPiPKlPlN2at6native12_GLOBAL__N_18offset_tEEE10hipError_tPvRmT1_PNSt15iterator_traitsISY_E10value_typeET2_T3_PNSZ_IS14_E10value_typeET4_jRbjT5_S1A_jjP12ihipStream_tbEUljE_EEESV_SW_SX_S14_S18_S1A_T6_T7_T9_mT8_S1C_bDpT10_ENKUlT_T0_E_clISt17integral_constantIbLb0EES1O_IbLb1EEEEDaS1K_S1L_EUlS1K_E_NS1_11comp_targetILNS1_3genE8ELNS1_11target_archE1030ELNS1_3gpuE2ELNS1_3repE0EEENS1_30default_config_static_selectorELNS0_4arch9wavefront6targetE0EEEvSY_
                                        ; -- End function
	.set _ZN7rocprim17ROCPRIM_400000_NS6detail17trampoline_kernelINS0_13select_configILj256ELj13ELNS0_17block_load_methodE3ELS4_3ELS4_3ELNS0_20block_scan_algorithmE0ELj4294967295EEENS1_25partition_config_selectorILNS1_17partition_subalgoE3EjNS0_10empty_typeEbEEZZNS1_14partition_implILS8_3ELb0ES6_jNS0_17counting_iteratorIjlEEPS9_SE_NS0_5tupleIJPjSE_EEENSF_IJSE_SE_EEES9_SG_JZNS1_25segmented_radix_sort_implINS0_14default_configELb1EPKiPiPKlPlN2at6native12_GLOBAL__N_18offset_tEEE10hipError_tPvRmT1_PNSt15iterator_traitsISY_E10value_typeET2_T3_PNSZ_IS14_E10value_typeET4_jRbjT5_S1A_jjP12ihipStream_tbEUljE_EEESV_SW_SX_S14_S18_S1A_T6_T7_T9_mT8_S1C_bDpT10_ENKUlT_T0_E_clISt17integral_constantIbLb0EES1O_IbLb1EEEEDaS1K_S1L_EUlS1K_E_NS1_11comp_targetILNS1_3genE8ELNS1_11target_archE1030ELNS1_3gpuE2ELNS1_3repE0EEENS1_30default_config_static_selectorELNS0_4arch9wavefront6targetE0EEEvSY_.num_vgpr, 0
	.set _ZN7rocprim17ROCPRIM_400000_NS6detail17trampoline_kernelINS0_13select_configILj256ELj13ELNS0_17block_load_methodE3ELS4_3ELS4_3ELNS0_20block_scan_algorithmE0ELj4294967295EEENS1_25partition_config_selectorILNS1_17partition_subalgoE3EjNS0_10empty_typeEbEEZZNS1_14partition_implILS8_3ELb0ES6_jNS0_17counting_iteratorIjlEEPS9_SE_NS0_5tupleIJPjSE_EEENSF_IJSE_SE_EEES9_SG_JZNS1_25segmented_radix_sort_implINS0_14default_configELb1EPKiPiPKlPlN2at6native12_GLOBAL__N_18offset_tEEE10hipError_tPvRmT1_PNSt15iterator_traitsISY_E10value_typeET2_T3_PNSZ_IS14_E10value_typeET4_jRbjT5_S1A_jjP12ihipStream_tbEUljE_EEESV_SW_SX_S14_S18_S1A_T6_T7_T9_mT8_S1C_bDpT10_ENKUlT_T0_E_clISt17integral_constantIbLb0EES1O_IbLb1EEEEDaS1K_S1L_EUlS1K_E_NS1_11comp_targetILNS1_3genE8ELNS1_11target_archE1030ELNS1_3gpuE2ELNS1_3repE0EEENS1_30default_config_static_selectorELNS0_4arch9wavefront6targetE0EEEvSY_.num_agpr, 0
	.set _ZN7rocprim17ROCPRIM_400000_NS6detail17trampoline_kernelINS0_13select_configILj256ELj13ELNS0_17block_load_methodE3ELS4_3ELS4_3ELNS0_20block_scan_algorithmE0ELj4294967295EEENS1_25partition_config_selectorILNS1_17partition_subalgoE3EjNS0_10empty_typeEbEEZZNS1_14partition_implILS8_3ELb0ES6_jNS0_17counting_iteratorIjlEEPS9_SE_NS0_5tupleIJPjSE_EEENSF_IJSE_SE_EEES9_SG_JZNS1_25segmented_radix_sort_implINS0_14default_configELb1EPKiPiPKlPlN2at6native12_GLOBAL__N_18offset_tEEE10hipError_tPvRmT1_PNSt15iterator_traitsISY_E10value_typeET2_T3_PNSZ_IS14_E10value_typeET4_jRbjT5_S1A_jjP12ihipStream_tbEUljE_EEESV_SW_SX_S14_S18_S1A_T6_T7_T9_mT8_S1C_bDpT10_ENKUlT_T0_E_clISt17integral_constantIbLb0EES1O_IbLb1EEEEDaS1K_S1L_EUlS1K_E_NS1_11comp_targetILNS1_3genE8ELNS1_11target_archE1030ELNS1_3gpuE2ELNS1_3repE0EEENS1_30default_config_static_selectorELNS0_4arch9wavefront6targetE0EEEvSY_.numbered_sgpr, 0
	.set _ZN7rocprim17ROCPRIM_400000_NS6detail17trampoline_kernelINS0_13select_configILj256ELj13ELNS0_17block_load_methodE3ELS4_3ELS4_3ELNS0_20block_scan_algorithmE0ELj4294967295EEENS1_25partition_config_selectorILNS1_17partition_subalgoE3EjNS0_10empty_typeEbEEZZNS1_14partition_implILS8_3ELb0ES6_jNS0_17counting_iteratorIjlEEPS9_SE_NS0_5tupleIJPjSE_EEENSF_IJSE_SE_EEES9_SG_JZNS1_25segmented_radix_sort_implINS0_14default_configELb1EPKiPiPKlPlN2at6native12_GLOBAL__N_18offset_tEEE10hipError_tPvRmT1_PNSt15iterator_traitsISY_E10value_typeET2_T3_PNSZ_IS14_E10value_typeET4_jRbjT5_S1A_jjP12ihipStream_tbEUljE_EEESV_SW_SX_S14_S18_S1A_T6_T7_T9_mT8_S1C_bDpT10_ENKUlT_T0_E_clISt17integral_constantIbLb0EES1O_IbLb1EEEEDaS1K_S1L_EUlS1K_E_NS1_11comp_targetILNS1_3genE8ELNS1_11target_archE1030ELNS1_3gpuE2ELNS1_3repE0EEENS1_30default_config_static_selectorELNS0_4arch9wavefront6targetE0EEEvSY_.num_named_barrier, 0
	.set _ZN7rocprim17ROCPRIM_400000_NS6detail17trampoline_kernelINS0_13select_configILj256ELj13ELNS0_17block_load_methodE3ELS4_3ELS4_3ELNS0_20block_scan_algorithmE0ELj4294967295EEENS1_25partition_config_selectorILNS1_17partition_subalgoE3EjNS0_10empty_typeEbEEZZNS1_14partition_implILS8_3ELb0ES6_jNS0_17counting_iteratorIjlEEPS9_SE_NS0_5tupleIJPjSE_EEENSF_IJSE_SE_EEES9_SG_JZNS1_25segmented_radix_sort_implINS0_14default_configELb1EPKiPiPKlPlN2at6native12_GLOBAL__N_18offset_tEEE10hipError_tPvRmT1_PNSt15iterator_traitsISY_E10value_typeET2_T3_PNSZ_IS14_E10value_typeET4_jRbjT5_S1A_jjP12ihipStream_tbEUljE_EEESV_SW_SX_S14_S18_S1A_T6_T7_T9_mT8_S1C_bDpT10_ENKUlT_T0_E_clISt17integral_constantIbLb0EES1O_IbLb1EEEEDaS1K_S1L_EUlS1K_E_NS1_11comp_targetILNS1_3genE8ELNS1_11target_archE1030ELNS1_3gpuE2ELNS1_3repE0EEENS1_30default_config_static_selectorELNS0_4arch9wavefront6targetE0EEEvSY_.private_seg_size, 0
	.set _ZN7rocprim17ROCPRIM_400000_NS6detail17trampoline_kernelINS0_13select_configILj256ELj13ELNS0_17block_load_methodE3ELS4_3ELS4_3ELNS0_20block_scan_algorithmE0ELj4294967295EEENS1_25partition_config_selectorILNS1_17partition_subalgoE3EjNS0_10empty_typeEbEEZZNS1_14partition_implILS8_3ELb0ES6_jNS0_17counting_iteratorIjlEEPS9_SE_NS0_5tupleIJPjSE_EEENSF_IJSE_SE_EEES9_SG_JZNS1_25segmented_radix_sort_implINS0_14default_configELb1EPKiPiPKlPlN2at6native12_GLOBAL__N_18offset_tEEE10hipError_tPvRmT1_PNSt15iterator_traitsISY_E10value_typeET2_T3_PNSZ_IS14_E10value_typeET4_jRbjT5_S1A_jjP12ihipStream_tbEUljE_EEESV_SW_SX_S14_S18_S1A_T6_T7_T9_mT8_S1C_bDpT10_ENKUlT_T0_E_clISt17integral_constantIbLb0EES1O_IbLb1EEEEDaS1K_S1L_EUlS1K_E_NS1_11comp_targetILNS1_3genE8ELNS1_11target_archE1030ELNS1_3gpuE2ELNS1_3repE0EEENS1_30default_config_static_selectorELNS0_4arch9wavefront6targetE0EEEvSY_.uses_vcc, 0
	.set _ZN7rocprim17ROCPRIM_400000_NS6detail17trampoline_kernelINS0_13select_configILj256ELj13ELNS0_17block_load_methodE3ELS4_3ELS4_3ELNS0_20block_scan_algorithmE0ELj4294967295EEENS1_25partition_config_selectorILNS1_17partition_subalgoE3EjNS0_10empty_typeEbEEZZNS1_14partition_implILS8_3ELb0ES6_jNS0_17counting_iteratorIjlEEPS9_SE_NS0_5tupleIJPjSE_EEENSF_IJSE_SE_EEES9_SG_JZNS1_25segmented_radix_sort_implINS0_14default_configELb1EPKiPiPKlPlN2at6native12_GLOBAL__N_18offset_tEEE10hipError_tPvRmT1_PNSt15iterator_traitsISY_E10value_typeET2_T3_PNSZ_IS14_E10value_typeET4_jRbjT5_S1A_jjP12ihipStream_tbEUljE_EEESV_SW_SX_S14_S18_S1A_T6_T7_T9_mT8_S1C_bDpT10_ENKUlT_T0_E_clISt17integral_constantIbLb0EES1O_IbLb1EEEEDaS1K_S1L_EUlS1K_E_NS1_11comp_targetILNS1_3genE8ELNS1_11target_archE1030ELNS1_3gpuE2ELNS1_3repE0EEENS1_30default_config_static_selectorELNS0_4arch9wavefront6targetE0EEEvSY_.uses_flat_scratch, 0
	.set _ZN7rocprim17ROCPRIM_400000_NS6detail17trampoline_kernelINS0_13select_configILj256ELj13ELNS0_17block_load_methodE3ELS4_3ELS4_3ELNS0_20block_scan_algorithmE0ELj4294967295EEENS1_25partition_config_selectorILNS1_17partition_subalgoE3EjNS0_10empty_typeEbEEZZNS1_14partition_implILS8_3ELb0ES6_jNS0_17counting_iteratorIjlEEPS9_SE_NS0_5tupleIJPjSE_EEENSF_IJSE_SE_EEES9_SG_JZNS1_25segmented_radix_sort_implINS0_14default_configELb1EPKiPiPKlPlN2at6native12_GLOBAL__N_18offset_tEEE10hipError_tPvRmT1_PNSt15iterator_traitsISY_E10value_typeET2_T3_PNSZ_IS14_E10value_typeET4_jRbjT5_S1A_jjP12ihipStream_tbEUljE_EEESV_SW_SX_S14_S18_S1A_T6_T7_T9_mT8_S1C_bDpT10_ENKUlT_T0_E_clISt17integral_constantIbLb0EES1O_IbLb1EEEEDaS1K_S1L_EUlS1K_E_NS1_11comp_targetILNS1_3genE8ELNS1_11target_archE1030ELNS1_3gpuE2ELNS1_3repE0EEENS1_30default_config_static_selectorELNS0_4arch9wavefront6targetE0EEEvSY_.has_dyn_sized_stack, 0
	.set _ZN7rocprim17ROCPRIM_400000_NS6detail17trampoline_kernelINS0_13select_configILj256ELj13ELNS0_17block_load_methodE3ELS4_3ELS4_3ELNS0_20block_scan_algorithmE0ELj4294967295EEENS1_25partition_config_selectorILNS1_17partition_subalgoE3EjNS0_10empty_typeEbEEZZNS1_14partition_implILS8_3ELb0ES6_jNS0_17counting_iteratorIjlEEPS9_SE_NS0_5tupleIJPjSE_EEENSF_IJSE_SE_EEES9_SG_JZNS1_25segmented_radix_sort_implINS0_14default_configELb1EPKiPiPKlPlN2at6native12_GLOBAL__N_18offset_tEEE10hipError_tPvRmT1_PNSt15iterator_traitsISY_E10value_typeET2_T3_PNSZ_IS14_E10value_typeET4_jRbjT5_S1A_jjP12ihipStream_tbEUljE_EEESV_SW_SX_S14_S18_S1A_T6_T7_T9_mT8_S1C_bDpT10_ENKUlT_T0_E_clISt17integral_constantIbLb0EES1O_IbLb1EEEEDaS1K_S1L_EUlS1K_E_NS1_11comp_targetILNS1_3genE8ELNS1_11target_archE1030ELNS1_3gpuE2ELNS1_3repE0EEENS1_30default_config_static_selectorELNS0_4arch9wavefront6targetE0EEEvSY_.has_recursion, 0
	.set _ZN7rocprim17ROCPRIM_400000_NS6detail17trampoline_kernelINS0_13select_configILj256ELj13ELNS0_17block_load_methodE3ELS4_3ELS4_3ELNS0_20block_scan_algorithmE0ELj4294967295EEENS1_25partition_config_selectorILNS1_17partition_subalgoE3EjNS0_10empty_typeEbEEZZNS1_14partition_implILS8_3ELb0ES6_jNS0_17counting_iteratorIjlEEPS9_SE_NS0_5tupleIJPjSE_EEENSF_IJSE_SE_EEES9_SG_JZNS1_25segmented_radix_sort_implINS0_14default_configELb1EPKiPiPKlPlN2at6native12_GLOBAL__N_18offset_tEEE10hipError_tPvRmT1_PNSt15iterator_traitsISY_E10value_typeET2_T3_PNSZ_IS14_E10value_typeET4_jRbjT5_S1A_jjP12ihipStream_tbEUljE_EEESV_SW_SX_S14_S18_S1A_T6_T7_T9_mT8_S1C_bDpT10_ENKUlT_T0_E_clISt17integral_constantIbLb0EES1O_IbLb1EEEEDaS1K_S1L_EUlS1K_E_NS1_11comp_targetILNS1_3genE8ELNS1_11target_archE1030ELNS1_3gpuE2ELNS1_3repE0EEENS1_30default_config_static_selectorELNS0_4arch9wavefront6targetE0EEEvSY_.has_indirect_call, 0
	.section	.AMDGPU.csdata,"",@progbits
; Kernel info:
; codeLenInByte = 0
; TotalNumSgprs: 0
; NumVgprs: 0
; ScratchSize: 0
; MemoryBound: 0
; FloatMode: 240
; IeeeMode: 1
; LDSByteSize: 0 bytes/workgroup (compile time only)
; SGPRBlocks: 0
; VGPRBlocks: 0
; NumSGPRsForWavesPerEU: 1
; NumVGPRsForWavesPerEU: 1
; Occupancy: 16
; WaveLimiterHint : 0
; COMPUTE_PGM_RSRC2:SCRATCH_EN: 0
; COMPUTE_PGM_RSRC2:USER_SGPR: 2
; COMPUTE_PGM_RSRC2:TRAP_HANDLER: 0
; COMPUTE_PGM_RSRC2:TGID_X_EN: 1
; COMPUTE_PGM_RSRC2:TGID_Y_EN: 0
; COMPUTE_PGM_RSRC2:TGID_Z_EN: 0
; COMPUTE_PGM_RSRC2:TIDIG_COMP_CNT: 0
	.section	.text._ZN7rocprim17ROCPRIM_400000_NS6detail17trampoline_kernelINS0_14default_configENS1_36segmented_radix_sort_config_selectorIilEEZNS1_25segmented_radix_sort_implIS3_Lb1EPKiPiPKlPlN2at6native12_GLOBAL__N_18offset_tEEE10hipError_tPvRmT1_PNSt15iterator_traitsISK_E10value_typeET2_T3_PNSL_ISQ_E10value_typeET4_jRbjT5_SW_jjP12ihipStream_tbEUlT_E_NS1_11comp_targetILNS1_3genE0ELNS1_11target_archE4294967295ELNS1_3gpuE0ELNS1_3repE0EEENS1_30default_config_static_selectorELNS0_4arch9wavefront6targetE0EEEvSK_,"axG",@progbits,_ZN7rocprim17ROCPRIM_400000_NS6detail17trampoline_kernelINS0_14default_configENS1_36segmented_radix_sort_config_selectorIilEEZNS1_25segmented_radix_sort_implIS3_Lb1EPKiPiPKlPlN2at6native12_GLOBAL__N_18offset_tEEE10hipError_tPvRmT1_PNSt15iterator_traitsISK_E10value_typeET2_T3_PNSL_ISQ_E10value_typeET4_jRbjT5_SW_jjP12ihipStream_tbEUlT_E_NS1_11comp_targetILNS1_3genE0ELNS1_11target_archE4294967295ELNS1_3gpuE0ELNS1_3repE0EEENS1_30default_config_static_selectorELNS0_4arch9wavefront6targetE0EEEvSK_,comdat
	.globl	_ZN7rocprim17ROCPRIM_400000_NS6detail17trampoline_kernelINS0_14default_configENS1_36segmented_radix_sort_config_selectorIilEEZNS1_25segmented_radix_sort_implIS3_Lb1EPKiPiPKlPlN2at6native12_GLOBAL__N_18offset_tEEE10hipError_tPvRmT1_PNSt15iterator_traitsISK_E10value_typeET2_T3_PNSL_ISQ_E10value_typeET4_jRbjT5_SW_jjP12ihipStream_tbEUlT_E_NS1_11comp_targetILNS1_3genE0ELNS1_11target_archE4294967295ELNS1_3gpuE0ELNS1_3repE0EEENS1_30default_config_static_selectorELNS0_4arch9wavefront6targetE0EEEvSK_ ; -- Begin function _ZN7rocprim17ROCPRIM_400000_NS6detail17trampoline_kernelINS0_14default_configENS1_36segmented_radix_sort_config_selectorIilEEZNS1_25segmented_radix_sort_implIS3_Lb1EPKiPiPKlPlN2at6native12_GLOBAL__N_18offset_tEEE10hipError_tPvRmT1_PNSt15iterator_traitsISK_E10value_typeET2_T3_PNSL_ISQ_E10value_typeET4_jRbjT5_SW_jjP12ihipStream_tbEUlT_E_NS1_11comp_targetILNS1_3genE0ELNS1_11target_archE4294967295ELNS1_3gpuE0ELNS1_3repE0EEENS1_30default_config_static_selectorELNS0_4arch9wavefront6targetE0EEEvSK_
	.p2align	8
	.type	_ZN7rocprim17ROCPRIM_400000_NS6detail17trampoline_kernelINS0_14default_configENS1_36segmented_radix_sort_config_selectorIilEEZNS1_25segmented_radix_sort_implIS3_Lb1EPKiPiPKlPlN2at6native12_GLOBAL__N_18offset_tEEE10hipError_tPvRmT1_PNSt15iterator_traitsISK_E10value_typeET2_T3_PNSL_ISQ_E10value_typeET4_jRbjT5_SW_jjP12ihipStream_tbEUlT_E_NS1_11comp_targetILNS1_3genE0ELNS1_11target_archE4294967295ELNS1_3gpuE0ELNS1_3repE0EEENS1_30default_config_static_selectorELNS0_4arch9wavefront6targetE0EEEvSK_,@function
_ZN7rocprim17ROCPRIM_400000_NS6detail17trampoline_kernelINS0_14default_configENS1_36segmented_radix_sort_config_selectorIilEEZNS1_25segmented_radix_sort_implIS3_Lb1EPKiPiPKlPlN2at6native12_GLOBAL__N_18offset_tEEE10hipError_tPvRmT1_PNSt15iterator_traitsISK_E10value_typeET2_T3_PNSL_ISQ_E10value_typeET4_jRbjT5_SW_jjP12ihipStream_tbEUlT_E_NS1_11comp_targetILNS1_3genE0ELNS1_11target_archE4294967295ELNS1_3gpuE0ELNS1_3repE0EEENS1_30default_config_static_selectorELNS0_4arch9wavefront6targetE0EEEvSK_: ; @_ZN7rocprim17ROCPRIM_400000_NS6detail17trampoline_kernelINS0_14default_configENS1_36segmented_radix_sort_config_selectorIilEEZNS1_25segmented_radix_sort_implIS3_Lb1EPKiPiPKlPlN2at6native12_GLOBAL__N_18offset_tEEE10hipError_tPvRmT1_PNSt15iterator_traitsISK_E10value_typeET2_T3_PNSL_ISQ_E10value_typeET4_jRbjT5_SW_jjP12ihipStream_tbEUlT_E_NS1_11comp_targetILNS1_3genE0ELNS1_11target_archE4294967295ELNS1_3gpuE0ELNS1_3repE0EEENS1_30default_config_static_selectorELNS0_4arch9wavefront6targetE0EEEvSK_
; %bb.0:
	.section	.rodata,"a",@progbits
	.p2align	6, 0x0
	.amdhsa_kernel _ZN7rocprim17ROCPRIM_400000_NS6detail17trampoline_kernelINS0_14default_configENS1_36segmented_radix_sort_config_selectorIilEEZNS1_25segmented_radix_sort_implIS3_Lb1EPKiPiPKlPlN2at6native12_GLOBAL__N_18offset_tEEE10hipError_tPvRmT1_PNSt15iterator_traitsISK_E10value_typeET2_T3_PNSL_ISQ_E10value_typeET4_jRbjT5_SW_jjP12ihipStream_tbEUlT_E_NS1_11comp_targetILNS1_3genE0ELNS1_11target_archE4294967295ELNS1_3gpuE0ELNS1_3repE0EEENS1_30default_config_static_selectorELNS0_4arch9wavefront6targetE0EEEvSK_
		.amdhsa_group_segment_fixed_size 0
		.amdhsa_private_segment_fixed_size 0
		.amdhsa_kernarg_size 96
		.amdhsa_user_sgpr_count 2
		.amdhsa_user_sgpr_dispatch_ptr 0
		.amdhsa_user_sgpr_queue_ptr 0
		.amdhsa_user_sgpr_kernarg_segment_ptr 1
		.amdhsa_user_sgpr_dispatch_id 0
		.amdhsa_user_sgpr_private_segment_size 0
		.amdhsa_wavefront_size32 1
		.amdhsa_uses_dynamic_stack 0
		.amdhsa_enable_private_segment 0
		.amdhsa_system_sgpr_workgroup_id_x 1
		.amdhsa_system_sgpr_workgroup_id_y 0
		.amdhsa_system_sgpr_workgroup_id_z 0
		.amdhsa_system_sgpr_workgroup_info 0
		.amdhsa_system_vgpr_workitem_id 0
		.amdhsa_next_free_vgpr 1
		.amdhsa_next_free_sgpr 1
		.amdhsa_reserve_vcc 0
		.amdhsa_float_round_mode_32 0
		.amdhsa_float_round_mode_16_64 0
		.amdhsa_float_denorm_mode_32 3
		.amdhsa_float_denorm_mode_16_64 3
		.amdhsa_fp16_overflow 0
		.amdhsa_workgroup_processor_mode 1
		.amdhsa_memory_ordered 1
		.amdhsa_forward_progress 1
		.amdhsa_inst_pref_size 0
		.amdhsa_round_robin_scheduling 0
		.amdhsa_exception_fp_ieee_invalid_op 0
		.amdhsa_exception_fp_denorm_src 0
		.amdhsa_exception_fp_ieee_div_zero 0
		.amdhsa_exception_fp_ieee_overflow 0
		.amdhsa_exception_fp_ieee_underflow 0
		.amdhsa_exception_fp_ieee_inexact 0
		.amdhsa_exception_int_div_zero 0
	.end_amdhsa_kernel
	.section	.text._ZN7rocprim17ROCPRIM_400000_NS6detail17trampoline_kernelINS0_14default_configENS1_36segmented_radix_sort_config_selectorIilEEZNS1_25segmented_radix_sort_implIS3_Lb1EPKiPiPKlPlN2at6native12_GLOBAL__N_18offset_tEEE10hipError_tPvRmT1_PNSt15iterator_traitsISK_E10value_typeET2_T3_PNSL_ISQ_E10value_typeET4_jRbjT5_SW_jjP12ihipStream_tbEUlT_E_NS1_11comp_targetILNS1_3genE0ELNS1_11target_archE4294967295ELNS1_3gpuE0ELNS1_3repE0EEENS1_30default_config_static_selectorELNS0_4arch9wavefront6targetE0EEEvSK_,"axG",@progbits,_ZN7rocprim17ROCPRIM_400000_NS6detail17trampoline_kernelINS0_14default_configENS1_36segmented_radix_sort_config_selectorIilEEZNS1_25segmented_radix_sort_implIS3_Lb1EPKiPiPKlPlN2at6native12_GLOBAL__N_18offset_tEEE10hipError_tPvRmT1_PNSt15iterator_traitsISK_E10value_typeET2_T3_PNSL_ISQ_E10value_typeET4_jRbjT5_SW_jjP12ihipStream_tbEUlT_E_NS1_11comp_targetILNS1_3genE0ELNS1_11target_archE4294967295ELNS1_3gpuE0ELNS1_3repE0EEENS1_30default_config_static_selectorELNS0_4arch9wavefront6targetE0EEEvSK_,comdat
.Lfunc_end497:
	.size	_ZN7rocprim17ROCPRIM_400000_NS6detail17trampoline_kernelINS0_14default_configENS1_36segmented_radix_sort_config_selectorIilEEZNS1_25segmented_radix_sort_implIS3_Lb1EPKiPiPKlPlN2at6native12_GLOBAL__N_18offset_tEEE10hipError_tPvRmT1_PNSt15iterator_traitsISK_E10value_typeET2_T3_PNSL_ISQ_E10value_typeET4_jRbjT5_SW_jjP12ihipStream_tbEUlT_E_NS1_11comp_targetILNS1_3genE0ELNS1_11target_archE4294967295ELNS1_3gpuE0ELNS1_3repE0EEENS1_30default_config_static_selectorELNS0_4arch9wavefront6targetE0EEEvSK_, .Lfunc_end497-_ZN7rocprim17ROCPRIM_400000_NS6detail17trampoline_kernelINS0_14default_configENS1_36segmented_radix_sort_config_selectorIilEEZNS1_25segmented_radix_sort_implIS3_Lb1EPKiPiPKlPlN2at6native12_GLOBAL__N_18offset_tEEE10hipError_tPvRmT1_PNSt15iterator_traitsISK_E10value_typeET2_T3_PNSL_ISQ_E10value_typeET4_jRbjT5_SW_jjP12ihipStream_tbEUlT_E_NS1_11comp_targetILNS1_3genE0ELNS1_11target_archE4294967295ELNS1_3gpuE0ELNS1_3repE0EEENS1_30default_config_static_selectorELNS0_4arch9wavefront6targetE0EEEvSK_
                                        ; -- End function
	.set _ZN7rocprim17ROCPRIM_400000_NS6detail17trampoline_kernelINS0_14default_configENS1_36segmented_radix_sort_config_selectorIilEEZNS1_25segmented_radix_sort_implIS3_Lb1EPKiPiPKlPlN2at6native12_GLOBAL__N_18offset_tEEE10hipError_tPvRmT1_PNSt15iterator_traitsISK_E10value_typeET2_T3_PNSL_ISQ_E10value_typeET4_jRbjT5_SW_jjP12ihipStream_tbEUlT_E_NS1_11comp_targetILNS1_3genE0ELNS1_11target_archE4294967295ELNS1_3gpuE0ELNS1_3repE0EEENS1_30default_config_static_selectorELNS0_4arch9wavefront6targetE0EEEvSK_.num_vgpr, 0
	.set _ZN7rocprim17ROCPRIM_400000_NS6detail17trampoline_kernelINS0_14default_configENS1_36segmented_radix_sort_config_selectorIilEEZNS1_25segmented_radix_sort_implIS3_Lb1EPKiPiPKlPlN2at6native12_GLOBAL__N_18offset_tEEE10hipError_tPvRmT1_PNSt15iterator_traitsISK_E10value_typeET2_T3_PNSL_ISQ_E10value_typeET4_jRbjT5_SW_jjP12ihipStream_tbEUlT_E_NS1_11comp_targetILNS1_3genE0ELNS1_11target_archE4294967295ELNS1_3gpuE0ELNS1_3repE0EEENS1_30default_config_static_selectorELNS0_4arch9wavefront6targetE0EEEvSK_.num_agpr, 0
	.set _ZN7rocprim17ROCPRIM_400000_NS6detail17trampoline_kernelINS0_14default_configENS1_36segmented_radix_sort_config_selectorIilEEZNS1_25segmented_radix_sort_implIS3_Lb1EPKiPiPKlPlN2at6native12_GLOBAL__N_18offset_tEEE10hipError_tPvRmT1_PNSt15iterator_traitsISK_E10value_typeET2_T3_PNSL_ISQ_E10value_typeET4_jRbjT5_SW_jjP12ihipStream_tbEUlT_E_NS1_11comp_targetILNS1_3genE0ELNS1_11target_archE4294967295ELNS1_3gpuE0ELNS1_3repE0EEENS1_30default_config_static_selectorELNS0_4arch9wavefront6targetE0EEEvSK_.numbered_sgpr, 0
	.set _ZN7rocprim17ROCPRIM_400000_NS6detail17trampoline_kernelINS0_14default_configENS1_36segmented_radix_sort_config_selectorIilEEZNS1_25segmented_radix_sort_implIS3_Lb1EPKiPiPKlPlN2at6native12_GLOBAL__N_18offset_tEEE10hipError_tPvRmT1_PNSt15iterator_traitsISK_E10value_typeET2_T3_PNSL_ISQ_E10value_typeET4_jRbjT5_SW_jjP12ihipStream_tbEUlT_E_NS1_11comp_targetILNS1_3genE0ELNS1_11target_archE4294967295ELNS1_3gpuE0ELNS1_3repE0EEENS1_30default_config_static_selectorELNS0_4arch9wavefront6targetE0EEEvSK_.num_named_barrier, 0
	.set _ZN7rocprim17ROCPRIM_400000_NS6detail17trampoline_kernelINS0_14default_configENS1_36segmented_radix_sort_config_selectorIilEEZNS1_25segmented_radix_sort_implIS3_Lb1EPKiPiPKlPlN2at6native12_GLOBAL__N_18offset_tEEE10hipError_tPvRmT1_PNSt15iterator_traitsISK_E10value_typeET2_T3_PNSL_ISQ_E10value_typeET4_jRbjT5_SW_jjP12ihipStream_tbEUlT_E_NS1_11comp_targetILNS1_3genE0ELNS1_11target_archE4294967295ELNS1_3gpuE0ELNS1_3repE0EEENS1_30default_config_static_selectorELNS0_4arch9wavefront6targetE0EEEvSK_.private_seg_size, 0
	.set _ZN7rocprim17ROCPRIM_400000_NS6detail17trampoline_kernelINS0_14default_configENS1_36segmented_radix_sort_config_selectorIilEEZNS1_25segmented_radix_sort_implIS3_Lb1EPKiPiPKlPlN2at6native12_GLOBAL__N_18offset_tEEE10hipError_tPvRmT1_PNSt15iterator_traitsISK_E10value_typeET2_T3_PNSL_ISQ_E10value_typeET4_jRbjT5_SW_jjP12ihipStream_tbEUlT_E_NS1_11comp_targetILNS1_3genE0ELNS1_11target_archE4294967295ELNS1_3gpuE0ELNS1_3repE0EEENS1_30default_config_static_selectorELNS0_4arch9wavefront6targetE0EEEvSK_.uses_vcc, 0
	.set _ZN7rocprim17ROCPRIM_400000_NS6detail17trampoline_kernelINS0_14default_configENS1_36segmented_radix_sort_config_selectorIilEEZNS1_25segmented_radix_sort_implIS3_Lb1EPKiPiPKlPlN2at6native12_GLOBAL__N_18offset_tEEE10hipError_tPvRmT1_PNSt15iterator_traitsISK_E10value_typeET2_T3_PNSL_ISQ_E10value_typeET4_jRbjT5_SW_jjP12ihipStream_tbEUlT_E_NS1_11comp_targetILNS1_3genE0ELNS1_11target_archE4294967295ELNS1_3gpuE0ELNS1_3repE0EEENS1_30default_config_static_selectorELNS0_4arch9wavefront6targetE0EEEvSK_.uses_flat_scratch, 0
	.set _ZN7rocprim17ROCPRIM_400000_NS6detail17trampoline_kernelINS0_14default_configENS1_36segmented_radix_sort_config_selectorIilEEZNS1_25segmented_radix_sort_implIS3_Lb1EPKiPiPKlPlN2at6native12_GLOBAL__N_18offset_tEEE10hipError_tPvRmT1_PNSt15iterator_traitsISK_E10value_typeET2_T3_PNSL_ISQ_E10value_typeET4_jRbjT5_SW_jjP12ihipStream_tbEUlT_E_NS1_11comp_targetILNS1_3genE0ELNS1_11target_archE4294967295ELNS1_3gpuE0ELNS1_3repE0EEENS1_30default_config_static_selectorELNS0_4arch9wavefront6targetE0EEEvSK_.has_dyn_sized_stack, 0
	.set _ZN7rocprim17ROCPRIM_400000_NS6detail17trampoline_kernelINS0_14default_configENS1_36segmented_radix_sort_config_selectorIilEEZNS1_25segmented_radix_sort_implIS3_Lb1EPKiPiPKlPlN2at6native12_GLOBAL__N_18offset_tEEE10hipError_tPvRmT1_PNSt15iterator_traitsISK_E10value_typeET2_T3_PNSL_ISQ_E10value_typeET4_jRbjT5_SW_jjP12ihipStream_tbEUlT_E_NS1_11comp_targetILNS1_3genE0ELNS1_11target_archE4294967295ELNS1_3gpuE0ELNS1_3repE0EEENS1_30default_config_static_selectorELNS0_4arch9wavefront6targetE0EEEvSK_.has_recursion, 0
	.set _ZN7rocprim17ROCPRIM_400000_NS6detail17trampoline_kernelINS0_14default_configENS1_36segmented_radix_sort_config_selectorIilEEZNS1_25segmented_radix_sort_implIS3_Lb1EPKiPiPKlPlN2at6native12_GLOBAL__N_18offset_tEEE10hipError_tPvRmT1_PNSt15iterator_traitsISK_E10value_typeET2_T3_PNSL_ISQ_E10value_typeET4_jRbjT5_SW_jjP12ihipStream_tbEUlT_E_NS1_11comp_targetILNS1_3genE0ELNS1_11target_archE4294967295ELNS1_3gpuE0ELNS1_3repE0EEENS1_30default_config_static_selectorELNS0_4arch9wavefront6targetE0EEEvSK_.has_indirect_call, 0
	.section	.AMDGPU.csdata,"",@progbits
; Kernel info:
; codeLenInByte = 0
; TotalNumSgprs: 0
; NumVgprs: 0
; ScratchSize: 0
; MemoryBound: 0
; FloatMode: 240
; IeeeMode: 1
; LDSByteSize: 0 bytes/workgroup (compile time only)
; SGPRBlocks: 0
; VGPRBlocks: 0
; NumSGPRsForWavesPerEU: 1
; NumVGPRsForWavesPerEU: 1
; Occupancy: 16
; WaveLimiterHint : 0
; COMPUTE_PGM_RSRC2:SCRATCH_EN: 0
; COMPUTE_PGM_RSRC2:USER_SGPR: 2
; COMPUTE_PGM_RSRC2:TRAP_HANDLER: 0
; COMPUTE_PGM_RSRC2:TGID_X_EN: 1
; COMPUTE_PGM_RSRC2:TGID_Y_EN: 0
; COMPUTE_PGM_RSRC2:TGID_Z_EN: 0
; COMPUTE_PGM_RSRC2:TIDIG_COMP_CNT: 0
	.section	.text._ZN7rocprim17ROCPRIM_400000_NS6detail17trampoline_kernelINS0_14default_configENS1_36segmented_radix_sort_config_selectorIilEEZNS1_25segmented_radix_sort_implIS3_Lb1EPKiPiPKlPlN2at6native12_GLOBAL__N_18offset_tEEE10hipError_tPvRmT1_PNSt15iterator_traitsISK_E10value_typeET2_T3_PNSL_ISQ_E10value_typeET4_jRbjT5_SW_jjP12ihipStream_tbEUlT_E_NS1_11comp_targetILNS1_3genE5ELNS1_11target_archE942ELNS1_3gpuE9ELNS1_3repE0EEENS1_30default_config_static_selectorELNS0_4arch9wavefront6targetE0EEEvSK_,"axG",@progbits,_ZN7rocprim17ROCPRIM_400000_NS6detail17trampoline_kernelINS0_14default_configENS1_36segmented_radix_sort_config_selectorIilEEZNS1_25segmented_radix_sort_implIS3_Lb1EPKiPiPKlPlN2at6native12_GLOBAL__N_18offset_tEEE10hipError_tPvRmT1_PNSt15iterator_traitsISK_E10value_typeET2_T3_PNSL_ISQ_E10value_typeET4_jRbjT5_SW_jjP12ihipStream_tbEUlT_E_NS1_11comp_targetILNS1_3genE5ELNS1_11target_archE942ELNS1_3gpuE9ELNS1_3repE0EEENS1_30default_config_static_selectorELNS0_4arch9wavefront6targetE0EEEvSK_,comdat
	.globl	_ZN7rocprim17ROCPRIM_400000_NS6detail17trampoline_kernelINS0_14default_configENS1_36segmented_radix_sort_config_selectorIilEEZNS1_25segmented_radix_sort_implIS3_Lb1EPKiPiPKlPlN2at6native12_GLOBAL__N_18offset_tEEE10hipError_tPvRmT1_PNSt15iterator_traitsISK_E10value_typeET2_T3_PNSL_ISQ_E10value_typeET4_jRbjT5_SW_jjP12ihipStream_tbEUlT_E_NS1_11comp_targetILNS1_3genE5ELNS1_11target_archE942ELNS1_3gpuE9ELNS1_3repE0EEENS1_30default_config_static_selectorELNS0_4arch9wavefront6targetE0EEEvSK_ ; -- Begin function _ZN7rocprim17ROCPRIM_400000_NS6detail17trampoline_kernelINS0_14default_configENS1_36segmented_radix_sort_config_selectorIilEEZNS1_25segmented_radix_sort_implIS3_Lb1EPKiPiPKlPlN2at6native12_GLOBAL__N_18offset_tEEE10hipError_tPvRmT1_PNSt15iterator_traitsISK_E10value_typeET2_T3_PNSL_ISQ_E10value_typeET4_jRbjT5_SW_jjP12ihipStream_tbEUlT_E_NS1_11comp_targetILNS1_3genE5ELNS1_11target_archE942ELNS1_3gpuE9ELNS1_3repE0EEENS1_30default_config_static_selectorELNS0_4arch9wavefront6targetE0EEEvSK_
	.p2align	8
	.type	_ZN7rocprim17ROCPRIM_400000_NS6detail17trampoline_kernelINS0_14default_configENS1_36segmented_radix_sort_config_selectorIilEEZNS1_25segmented_radix_sort_implIS3_Lb1EPKiPiPKlPlN2at6native12_GLOBAL__N_18offset_tEEE10hipError_tPvRmT1_PNSt15iterator_traitsISK_E10value_typeET2_T3_PNSL_ISQ_E10value_typeET4_jRbjT5_SW_jjP12ihipStream_tbEUlT_E_NS1_11comp_targetILNS1_3genE5ELNS1_11target_archE942ELNS1_3gpuE9ELNS1_3repE0EEENS1_30default_config_static_selectorELNS0_4arch9wavefront6targetE0EEEvSK_,@function
_ZN7rocprim17ROCPRIM_400000_NS6detail17trampoline_kernelINS0_14default_configENS1_36segmented_radix_sort_config_selectorIilEEZNS1_25segmented_radix_sort_implIS3_Lb1EPKiPiPKlPlN2at6native12_GLOBAL__N_18offset_tEEE10hipError_tPvRmT1_PNSt15iterator_traitsISK_E10value_typeET2_T3_PNSL_ISQ_E10value_typeET4_jRbjT5_SW_jjP12ihipStream_tbEUlT_E_NS1_11comp_targetILNS1_3genE5ELNS1_11target_archE942ELNS1_3gpuE9ELNS1_3repE0EEENS1_30default_config_static_selectorELNS0_4arch9wavefront6targetE0EEEvSK_: ; @_ZN7rocprim17ROCPRIM_400000_NS6detail17trampoline_kernelINS0_14default_configENS1_36segmented_radix_sort_config_selectorIilEEZNS1_25segmented_radix_sort_implIS3_Lb1EPKiPiPKlPlN2at6native12_GLOBAL__N_18offset_tEEE10hipError_tPvRmT1_PNSt15iterator_traitsISK_E10value_typeET2_T3_PNSL_ISQ_E10value_typeET4_jRbjT5_SW_jjP12ihipStream_tbEUlT_E_NS1_11comp_targetILNS1_3genE5ELNS1_11target_archE942ELNS1_3gpuE9ELNS1_3repE0EEENS1_30default_config_static_selectorELNS0_4arch9wavefront6targetE0EEEvSK_
; %bb.0:
	.section	.rodata,"a",@progbits
	.p2align	6, 0x0
	.amdhsa_kernel _ZN7rocprim17ROCPRIM_400000_NS6detail17trampoline_kernelINS0_14default_configENS1_36segmented_radix_sort_config_selectorIilEEZNS1_25segmented_radix_sort_implIS3_Lb1EPKiPiPKlPlN2at6native12_GLOBAL__N_18offset_tEEE10hipError_tPvRmT1_PNSt15iterator_traitsISK_E10value_typeET2_T3_PNSL_ISQ_E10value_typeET4_jRbjT5_SW_jjP12ihipStream_tbEUlT_E_NS1_11comp_targetILNS1_3genE5ELNS1_11target_archE942ELNS1_3gpuE9ELNS1_3repE0EEENS1_30default_config_static_selectorELNS0_4arch9wavefront6targetE0EEEvSK_
		.amdhsa_group_segment_fixed_size 0
		.amdhsa_private_segment_fixed_size 0
		.amdhsa_kernarg_size 96
		.amdhsa_user_sgpr_count 2
		.amdhsa_user_sgpr_dispatch_ptr 0
		.amdhsa_user_sgpr_queue_ptr 0
		.amdhsa_user_sgpr_kernarg_segment_ptr 1
		.amdhsa_user_sgpr_dispatch_id 0
		.amdhsa_user_sgpr_private_segment_size 0
		.amdhsa_wavefront_size32 1
		.amdhsa_uses_dynamic_stack 0
		.amdhsa_enable_private_segment 0
		.amdhsa_system_sgpr_workgroup_id_x 1
		.amdhsa_system_sgpr_workgroup_id_y 0
		.amdhsa_system_sgpr_workgroup_id_z 0
		.amdhsa_system_sgpr_workgroup_info 0
		.amdhsa_system_vgpr_workitem_id 0
		.amdhsa_next_free_vgpr 1
		.amdhsa_next_free_sgpr 1
		.amdhsa_reserve_vcc 0
		.amdhsa_float_round_mode_32 0
		.amdhsa_float_round_mode_16_64 0
		.amdhsa_float_denorm_mode_32 3
		.amdhsa_float_denorm_mode_16_64 3
		.amdhsa_fp16_overflow 0
		.amdhsa_workgroup_processor_mode 1
		.amdhsa_memory_ordered 1
		.amdhsa_forward_progress 1
		.amdhsa_inst_pref_size 0
		.amdhsa_round_robin_scheduling 0
		.amdhsa_exception_fp_ieee_invalid_op 0
		.amdhsa_exception_fp_denorm_src 0
		.amdhsa_exception_fp_ieee_div_zero 0
		.amdhsa_exception_fp_ieee_overflow 0
		.amdhsa_exception_fp_ieee_underflow 0
		.amdhsa_exception_fp_ieee_inexact 0
		.amdhsa_exception_int_div_zero 0
	.end_amdhsa_kernel
	.section	.text._ZN7rocprim17ROCPRIM_400000_NS6detail17trampoline_kernelINS0_14default_configENS1_36segmented_radix_sort_config_selectorIilEEZNS1_25segmented_radix_sort_implIS3_Lb1EPKiPiPKlPlN2at6native12_GLOBAL__N_18offset_tEEE10hipError_tPvRmT1_PNSt15iterator_traitsISK_E10value_typeET2_T3_PNSL_ISQ_E10value_typeET4_jRbjT5_SW_jjP12ihipStream_tbEUlT_E_NS1_11comp_targetILNS1_3genE5ELNS1_11target_archE942ELNS1_3gpuE9ELNS1_3repE0EEENS1_30default_config_static_selectorELNS0_4arch9wavefront6targetE0EEEvSK_,"axG",@progbits,_ZN7rocprim17ROCPRIM_400000_NS6detail17trampoline_kernelINS0_14default_configENS1_36segmented_radix_sort_config_selectorIilEEZNS1_25segmented_radix_sort_implIS3_Lb1EPKiPiPKlPlN2at6native12_GLOBAL__N_18offset_tEEE10hipError_tPvRmT1_PNSt15iterator_traitsISK_E10value_typeET2_T3_PNSL_ISQ_E10value_typeET4_jRbjT5_SW_jjP12ihipStream_tbEUlT_E_NS1_11comp_targetILNS1_3genE5ELNS1_11target_archE942ELNS1_3gpuE9ELNS1_3repE0EEENS1_30default_config_static_selectorELNS0_4arch9wavefront6targetE0EEEvSK_,comdat
.Lfunc_end498:
	.size	_ZN7rocprim17ROCPRIM_400000_NS6detail17trampoline_kernelINS0_14default_configENS1_36segmented_radix_sort_config_selectorIilEEZNS1_25segmented_radix_sort_implIS3_Lb1EPKiPiPKlPlN2at6native12_GLOBAL__N_18offset_tEEE10hipError_tPvRmT1_PNSt15iterator_traitsISK_E10value_typeET2_T3_PNSL_ISQ_E10value_typeET4_jRbjT5_SW_jjP12ihipStream_tbEUlT_E_NS1_11comp_targetILNS1_3genE5ELNS1_11target_archE942ELNS1_3gpuE9ELNS1_3repE0EEENS1_30default_config_static_selectorELNS0_4arch9wavefront6targetE0EEEvSK_, .Lfunc_end498-_ZN7rocprim17ROCPRIM_400000_NS6detail17trampoline_kernelINS0_14default_configENS1_36segmented_radix_sort_config_selectorIilEEZNS1_25segmented_radix_sort_implIS3_Lb1EPKiPiPKlPlN2at6native12_GLOBAL__N_18offset_tEEE10hipError_tPvRmT1_PNSt15iterator_traitsISK_E10value_typeET2_T3_PNSL_ISQ_E10value_typeET4_jRbjT5_SW_jjP12ihipStream_tbEUlT_E_NS1_11comp_targetILNS1_3genE5ELNS1_11target_archE942ELNS1_3gpuE9ELNS1_3repE0EEENS1_30default_config_static_selectorELNS0_4arch9wavefront6targetE0EEEvSK_
                                        ; -- End function
	.set _ZN7rocprim17ROCPRIM_400000_NS6detail17trampoline_kernelINS0_14default_configENS1_36segmented_radix_sort_config_selectorIilEEZNS1_25segmented_radix_sort_implIS3_Lb1EPKiPiPKlPlN2at6native12_GLOBAL__N_18offset_tEEE10hipError_tPvRmT1_PNSt15iterator_traitsISK_E10value_typeET2_T3_PNSL_ISQ_E10value_typeET4_jRbjT5_SW_jjP12ihipStream_tbEUlT_E_NS1_11comp_targetILNS1_3genE5ELNS1_11target_archE942ELNS1_3gpuE9ELNS1_3repE0EEENS1_30default_config_static_selectorELNS0_4arch9wavefront6targetE0EEEvSK_.num_vgpr, 0
	.set _ZN7rocprim17ROCPRIM_400000_NS6detail17trampoline_kernelINS0_14default_configENS1_36segmented_radix_sort_config_selectorIilEEZNS1_25segmented_radix_sort_implIS3_Lb1EPKiPiPKlPlN2at6native12_GLOBAL__N_18offset_tEEE10hipError_tPvRmT1_PNSt15iterator_traitsISK_E10value_typeET2_T3_PNSL_ISQ_E10value_typeET4_jRbjT5_SW_jjP12ihipStream_tbEUlT_E_NS1_11comp_targetILNS1_3genE5ELNS1_11target_archE942ELNS1_3gpuE9ELNS1_3repE0EEENS1_30default_config_static_selectorELNS0_4arch9wavefront6targetE0EEEvSK_.num_agpr, 0
	.set _ZN7rocprim17ROCPRIM_400000_NS6detail17trampoline_kernelINS0_14default_configENS1_36segmented_radix_sort_config_selectorIilEEZNS1_25segmented_radix_sort_implIS3_Lb1EPKiPiPKlPlN2at6native12_GLOBAL__N_18offset_tEEE10hipError_tPvRmT1_PNSt15iterator_traitsISK_E10value_typeET2_T3_PNSL_ISQ_E10value_typeET4_jRbjT5_SW_jjP12ihipStream_tbEUlT_E_NS1_11comp_targetILNS1_3genE5ELNS1_11target_archE942ELNS1_3gpuE9ELNS1_3repE0EEENS1_30default_config_static_selectorELNS0_4arch9wavefront6targetE0EEEvSK_.numbered_sgpr, 0
	.set _ZN7rocprim17ROCPRIM_400000_NS6detail17trampoline_kernelINS0_14default_configENS1_36segmented_radix_sort_config_selectorIilEEZNS1_25segmented_radix_sort_implIS3_Lb1EPKiPiPKlPlN2at6native12_GLOBAL__N_18offset_tEEE10hipError_tPvRmT1_PNSt15iterator_traitsISK_E10value_typeET2_T3_PNSL_ISQ_E10value_typeET4_jRbjT5_SW_jjP12ihipStream_tbEUlT_E_NS1_11comp_targetILNS1_3genE5ELNS1_11target_archE942ELNS1_3gpuE9ELNS1_3repE0EEENS1_30default_config_static_selectorELNS0_4arch9wavefront6targetE0EEEvSK_.num_named_barrier, 0
	.set _ZN7rocprim17ROCPRIM_400000_NS6detail17trampoline_kernelINS0_14default_configENS1_36segmented_radix_sort_config_selectorIilEEZNS1_25segmented_radix_sort_implIS3_Lb1EPKiPiPKlPlN2at6native12_GLOBAL__N_18offset_tEEE10hipError_tPvRmT1_PNSt15iterator_traitsISK_E10value_typeET2_T3_PNSL_ISQ_E10value_typeET4_jRbjT5_SW_jjP12ihipStream_tbEUlT_E_NS1_11comp_targetILNS1_3genE5ELNS1_11target_archE942ELNS1_3gpuE9ELNS1_3repE0EEENS1_30default_config_static_selectorELNS0_4arch9wavefront6targetE0EEEvSK_.private_seg_size, 0
	.set _ZN7rocprim17ROCPRIM_400000_NS6detail17trampoline_kernelINS0_14default_configENS1_36segmented_radix_sort_config_selectorIilEEZNS1_25segmented_radix_sort_implIS3_Lb1EPKiPiPKlPlN2at6native12_GLOBAL__N_18offset_tEEE10hipError_tPvRmT1_PNSt15iterator_traitsISK_E10value_typeET2_T3_PNSL_ISQ_E10value_typeET4_jRbjT5_SW_jjP12ihipStream_tbEUlT_E_NS1_11comp_targetILNS1_3genE5ELNS1_11target_archE942ELNS1_3gpuE9ELNS1_3repE0EEENS1_30default_config_static_selectorELNS0_4arch9wavefront6targetE0EEEvSK_.uses_vcc, 0
	.set _ZN7rocprim17ROCPRIM_400000_NS6detail17trampoline_kernelINS0_14default_configENS1_36segmented_radix_sort_config_selectorIilEEZNS1_25segmented_radix_sort_implIS3_Lb1EPKiPiPKlPlN2at6native12_GLOBAL__N_18offset_tEEE10hipError_tPvRmT1_PNSt15iterator_traitsISK_E10value_typeET2_T3_PNSL_ISQ_E10value_typeET4_jRbjT5_SW_jjP12ihipStream_tbEUlT_E_NS1_11comp_targetILNS1_3genE5ELNS1_11target_archE942ELNS1_3gpuE9ELNS1_3repE0EEENS1_30default_config_static_selectorELNS0_4arch9wavefront6targetE0EEEvSK_.uses_flat_scratch, 0
	.set _ZN7rocprim17ROCPRIM_400000_NS6detail17trampoline_kernelINS0_14default_configENS1_36segmented_radix_sort_config_selectorIilEEZNS1_25segmented_radix_sort_implIS3_Lb1EPKiPiPKlPlN2at6native12_GLOBAL__N_18offset_tEEE10hipError_tPvRmT1_PNSt15iterator_traitsISK_E10value_typeET2_T3_PNSL_ISQ_E10value_typeET4_jRbjT5_SW_jjP12ihipStream_tbEUlT_E_NS1_11comp_targetILNS1_3genE5ELNS1_11target_archE942ELNS1_3gpuE9ELNS1_3repE0EEENS1_30default_config_static_selectorELNS0_4arch9wavefront6targetE0EEEvSK_.has_dyn_sized_stack, 0
	.set _ZN7rocprim17ROCPRIM_400000_NS6detail17trampoline_kernelINS0_14default_configENS1_36segmented_radix_sort_config_selectorIilEEZNS1_25segmented_radix_sort_implIS3_Lb1EPKiPiPKlPlN2at6native12_GLOBAL__N_18offset_tEEE10hipError_tPvRmT1_PNSt15iterator_traitsISK_E10value_typeET2_T3_PNSL_ISQ_E10value_typeET4_jRbjT5_SW_jjP12ihipStream_tbEUlT_E_NS1_11comp_targetILNS1_3genE5ELNS1_11target_archE942ELNS1_3gpuE9ELNS1_3repE0EEENS1_30default_config_static_selectorELNS0_4arch9wavefront6targetE0EEEvSK_.has_recursion, 0
	.set _ZN7rocprim17ROCPRIM_400000_NS6detail17trampoline_kernelINS0_14default_configENS1_36segmented_radix_sort_config_selectorIilEEZNS1_25segmented_radix_sort_implIS3_Lb1EPKiPiPKlPlN2at6native12_GLOBAL__N_18offset_tEEE10hipError_tPvRmT1_PNSt15iterator_traitsISK_E10value_typeET2_T3_PNSL_ISQ_E10value_typeET4_jRbjT5_SW_jjP12ihipStream_tbEUlT_E_NS1_11comp_targetILNS1_3genE5ELNS1_11target_archE942ELNS1_3gpuE9ELNS1_3repE0EEENS1_30default_config_static_selectorELNS0_4arch9wavefront6targetE0EEEvSK_.has_indirect_call, 0
	.section	.AMDGPU.csdata,"",@progbits
; Kernel info:
; codeLenInByte = 0
; TotalNumSgprs: 0
; NumVgprs: 0
; ScratchSize: 0
; MemoryBound: 0
; FloatMode: 240
; IeeeMode: 1
; LDSByteSize: 0 bytes/workgroup (compile time only)
; SGPRBlocks: 0
; VGPRBlocks: 0
; NumSGPRsForWavesPerEU: 1
; NumVGPRsForWavesPerEU: 1
; Occupancy: 16
; WaveLimiterHint : 0
; COMPUTE_PGM_RSRC2:SCRATCH_EN: 0
; COMPUTE_PGM_RSRC2:USER_SGPR: 2
; COMPUTE_PGM_RSRC2:TRAP_HANDLER: 0
; COMPUTE_PGM_RSRC2:TGID_X_EN: 1
; COMPUTE_PGM_RSRC2:TGID_Y_EN: 0
; COMPUTE_PGM_RSRC2:TGID_Z_EN: 0
; COMPUTE_PGM_RSRC2:TIDIG_COMP_CNT: 0
	.section	.text._ZN7rocprim17ROCPRIM_400000_NS6detail17trampoline_kernelINS0_14default_configENS1_36segmented_radix_sort_config_selectorIilEEZNS1_25segmented_radix_sort_implIS3_Lb1EPKiPiPKlPlN2at6native12_GLOBAL__N_18offset_tEEE10hipError_tPvRmT1_PNSt15iterator_traitsISK_E10value_typeET2_T3_PNSL_ISQ_E10value_typeET4_jRbjT5_SW_jjP12ihipStream_tbEUlT_E_NS1_11comp_targetILNS1_3genE4ELNS1_11target_archE910ELNS1_3gpuE8ELNS1_3repE0EEENS1_30default_config_static_selectorELNS0_4arch9wavefront6targetE0EEEvSK_,"axG",@progbits,_ZN7rocprim17ROCPRIM_400000_NS6detail17trampoline_kernelINS0_14default_configENS1_36segmented_radix_sort_config_selectorIilEEZNS1_25segmented_radix_sort_implIS3_Lb1EPKiPiPKlPlN2at6native12_GLOBAL__N_18offset_tEEE10hipError_tPvRmT1_PNSt15iterator_traitsISK_E10value_typeET2_T3_PNSL_ISQ_E10value_typeET4_jRbjT5_SW_jjP12ihipStream_tbEUlT_E_NS1_11comp_targetILNS1_3genE4ELNS1_11target_archE910ELNS1_3gpuE8ELNS1_3repE0EEENS1_30default_config_static_selectorELNS0_4arch9wavefront6targetE0EEEvSK_,comdat
	.globl	_ZN7rocprim17ROCPRIM_400000_NS6detail17trampoline_kernelINS0_14default_configENS1_36segmented_radix_sort_config_selectorIilEEZNS1_25segmented_radix_sort_implIS3_Lb1EPKiPiPKlPlN2at6native12_GLOBAL__N_18offset_tEEE10hipError_tPvRmT1_PNSt15iterator_traitsISK_E10value_typeET2_T3_PNSL_ISQ_E10value_typeET4_jRbjT5_SW_jjP12ihipStream_tbEUlT_E_NS1_11comp_targetILNS1_3genE4ELNS1_11target_archE910ELNS1_3gpuE8ELNS1_3repE0EEENS1_30default_config_static_selectorELNS0_4arch9wavefront6targetE0EEEvSK_ ; -- Begin function _ZN7rocprim17ROCPRIM_400000_NS6detail17trampoline_kernelINS0_14default_configENS1_36segmented_radix_sort_config_selectorIilEEZNS1_25segmented_radix_sort_implIS3_Lb1EPKiPiPKlPlN2at6native12_GLOBAL__N_18offset_tEEE10hipError_tPvRmT1_PNSt15iterator_traitsISK_E10value_typeET2_T3_PNSL_ISQ_E10value_typeET4_jRbjT5_SW_jjP12ihipStream_tbEUlT_E_NS1_11comp_targetILNS1_3genE4ELNS1_11target_archE910ELNS1_3gpuE8ELNS1_3repE0EEENS1_30default_config_static_selectorELNS0_4arch9wavefront6targetE0EEEvSK_
	.p2align	8
	.type	_ZN7rocprim17ROCPRIM_400000_NS6detail17trampoline_kernelINS0_14default_configENS1_36segmented_radix_sort_config_selectorIilEEZNS1_25segmented_radix_sort_implIS3_Lb1EPKiPiPKlPlN2at6native12_GLOBAL__N_18offset_tEEE10hipError_tPvRmT1_PNSt15iterator_traitsISK_E10value_typeET2_T3_PNSL_ISQ_E10value_typeET4_jRbjT5_SW_jjP12ihipStream_tbEUlT_E_NS1_11comp_targetILNS1_3genE4ELNS1_11target_archE910ELNS1_3gpuE8ELNS1_3repE0EEENS1_30default_config_static_selectorELNS0_4arch9wavefront6targetE0EEEvSK_,@function
_ZN7rocprim17ROCPRIM_400000_NS6detail17trampoline_kernelINS0_14default_configENS1_36segmented_radix_sort_config_selectorIilEEZNS1_25segmented_radix_sort_implIS3_Lb1EPKiPiPKlPlN2at6native12_GLOBAL__N_18offset_tEEE10hipError_tPvRmT1_PNSt15iterator_traitsISK_E10value_typeET2_T3_PNSL_ISQ_E10value_typeET4_jRbjT5_SW_jjP12ihipStream_tbEUlT_E_NS1_11comp_targetILNS1_3genE4ELNS1_11target_archE910ELNS1_3gpuE8ELNS1_3repE0EEENS1_30default_config_static_selectorELNS0_4arch9wavefront6targetE0EEEvSK_: ; @_ZN7rocprim17ROCPRIM_400000_NS6detail17trampoline_kernelINS0_14default_configENS1_36segmented_radix_sort_config_selectorIilEEZNS1_25segmented_radix_sort_implIS3_Lb1EPKiPiPKlPlN2at6native12_GLOBAL__N_18offset_tEEE10hipError_tPvRmT1_PNSt15iterator_traitsISK_E10value_typeET2_T3_PNSL_ISQ_E10value_typeET4_jRbjT5_SW_jjP12ihipStream_tbEUlT_E_NS1_11comp_targetILNS1_3genE4ELNS1_11target_archE910ELNS1_3gpuE8ELNS1_3repE0EEENS1_30default_config_static_selectorELNS0_4arch9wavefront6targetE0EEEvSK_
; %bb.0:
	.section	.rodata,"a",@progbits
	.p2align	6, 0x0
	.amdhsa_kernel _ZN7rocprim17ROCPRIM_400000_NS6detail17trampoline_kernelINS0_14default_configENS1_36segmented_radix_sort_config_selectorIilEEZNS1_25segmented_radix_sort_implIS3_Lb1EPKiPiPKlPlN2at6native12_GLOBAL__N_18offset_tEEE10hipError_tPvRmT1_PNSt15iterator_traitsISK_E10value_typeET2_T3_PNSL_ISQ_E10value_typeET4_jRbjT5_SW_jjP12ihipStream_tbEUlT_E_NS1_11comp_targetILNS1_3genE4ELNS1_11target_archE910ELNS1_3gpuE8ELNS1_3repE0EEENS1_30default_config_static_selectorELNS0_4arch9wavefront6targetE0EEEvSK_
		.amdhsa_group_segment_fixed_size 0
		.amdhsa_private_segment_fixed_size 0
		.amdhsa_kernarg_size 96
		.amdhsa_user_sgpr_count 2
		.amdhsa_user_sgpr_dispatch_ptr 0
		.amdhsa_user_sgpr_queue_ptr 0
		.amdhsa_user_sgpr_kernarg_segment_ptr 1
		.amdhsa_user_sgpr_dispatch_id 0
		.amdhsa_user_sgpr_private_segment_size 0
		.amdhsa_wavefront_size32 1
		.amdhsa_uses_dynamic_stack 0
		.amdhsa_enable_private_segment 0
		.amdhsa_system_sgpr_workgroup_id_x 1
		.amdhsa_system_sgpr_workgroup_id_y 0
		.amdhsa_system_sgpr_workgroup_id_z 0
		.amdhsa_system_sgpr_workgroup_info 0
		.amdhsa_system_vgpr_workitem_id 0
		.amdhsa_next_free_vgpr 1
		.amdhsa_next_free_sgpr 1
		.amdhsa_reserve_vcc 0
		.amdhsa_float_round_mode_32 0
		.amdhsa_float_round_mode_16_64 0
		.amdhsa_float_denorm_mode_32 3
		.amdhsa_float_denorm_mode_16_64 3
		.amdhsa_fp16_overflow 0
		.amdhsa_workgroup_processor_mode 1
		.amdhsa_memory_ordered 1
		.amdhsa_forward_progress 1
		.amdhsa_inst_pref_size 0
		.amdhsa_round_robin_scheduling 0
		.amdhsa_exception_fp_ieee_invalid_op 0
		.amdhsa_exception_fp_denorm_src 0
		.amdhsa_exception_fp_ieee_div_zero 0
		.amdhsa_exception_fp_ieee_overflow 0
		.amdhsa_exception_fp_ieee_underflow 0
		.amdhsa_exception_fp_ieee_inexact 0
		.amdhsa_exception_int_div_zero 0
	.end_amdhsa_kernel
	.section	.text._ZN7rocprim17ROCPRIM_400000_NS6detail17trampoline_kernelINS0_14default_configENS1_36segmented_radix_sort_config_selectorIilEEZNS1_25segmented_radix_sort_implIS3_Lb1EPKiPiPKlPlN2at6native12_GLOBAL__N_18offset_tEEE10hipError_tPvRmT1_PNSt15iterator_traitsISK_E10value_typeET2_T3_PNSL_ISQ_E10value_typeET4_jRbjT5_SW_jjP12ihipStream_tbEUlT_E_NS1_11comp_targetILNS1_3genE4ELNS1_11target_archE910ELNS1_3gpuE8ELNS1_3repE0EEENS1_30default_config_static_selectorELNS0_4arch9wavefront6targetE0EEEvSK_,"axG",@progbits,_ZN7rocprim17ROCPRIM_400000_NS6detail17trampoline_kernelINS0_14default_configENS1_36segmented_radix_sort_config_selectorIilEEZNS1_25segmented_radix_sort_implIS3_Lb1EPKiPiPKlPlN2at6native12_GLOBAL__N_18offset_tEEE10hipError_tPvRmT1_PNSt15iterator_traitsISK_E10value_typeET2_T3_PNSL_ISQ_E10value_typeET4_jRbjT5_SW_jjP12ihipStream_tbEUlT_E_NS1_11comp_targetILNS1_3genE4ELNS1_11target_archE910ELNS1_3gpuE8ELNS1_3repE0EEENS1_30default_config_static_selectorELNS0_4arch9wavefront6targetE0EEEvSK_,comdat
.Lfunc_end499:
	.size	_ZN7rocprim17ROCPRIM_400000_NS6detail17trampoline_kernelINS0_14default_configENS1_36segmented_radix_sort_config_selectorIilEEZNS1_25segmented_radix_sort_implIS3_Lb1EPKiPiPKlPlN2at6native12_GLOBAL__N_18offset_tEEE10hipError_tPvRmT1_PNSt15iterator_traitsISK_E10value_typeET2_T3_PNSL_ISQ_E10value_typeET4_jRbjT5_SW_jjP12ihipStream_tbEUlT_E_NS1_11comp_targetILNS1_3genE4ELNS1_11target_archE910ELNS1_3gpuE8ELNS1_3repE0EEENS1_30default_config_static_selectorELNS0_4arch9wavefront6targetE0EEEvSK_, .Lfunc_end499-_ZN7rocprim17ROCPRIM_400000_NS6detail17trampoline_kernelINS0_14default_configENS1_36segmented_radix_sort_config_selectorIilEEZNS1_25segmented_radix_sort_implIS3_Lb1EPKiPiPKlPlN2at6native12_GLOBAL__N_18offset_tEEE10hipError_tPvRmT1_PNSt15iterator_traitsISK_E10value_typeET2_T3_PNSL_ISQ_E10value_typeET4_jRbjT5_SW_jjP12ihipStream_tbEUlT_E_NS1_11comp_targetILNS1_3genE4ELNS1_11target_archE910ELNS1_3gpuE8ELNS1_3repE0EEENS1_30default_config_static_selectorELNS0_4arch9wavefront6targetE0EEEvSK_
                                        ; -- End function
	.set _ZN7rocprim17ROCPRIM_400000_NS6detail17trampoline_kernelINS0_14default_configENS1_36segmented_radix_sort_config_selectorIilEEZNS1_25segmented_radix_sort_implIS3_Lb1EPKiPiPKlPlN2at6native12_GLOBAL__N_18offset_tEEE10hipError_tPvRmT1_PNSt15iterator_traitsISK_E10value_typeET2_T3_PNSL_ISQ_E10value_typeET4_jRbjT5_SW_jjP12ihipStream_tbEUlT_E_NS1_11comp_targetILNS1_3genE4ELNS1_11target_archE910ELNS1_3gpuE8ELNS1_3repE0EEENS1_30default_config_static_selectorELNS0_4arch9wavefront6targetE0EEEvSK_.num_vgpr, 0
	.set _ZN7rocprim17ROCPRIM_400000_NS6detail17trampoline_kernelINS0_14default_configENS1_36segmented_radix_sort_config_selectorIilEEZNS1_25segmented_radix_sort_implIS3_Lb1EPKiPiPKlPlN2at6native12_GLOBAL__N_18offset_tEEE10hipError_tPvRmT1_PNSt15iterator_traitsISK_E10value_typeET2_T3_PNSL_ISQ_E10value_typeET4_jRbjT5_SW_jjP12ihipStream_tbEUlT_E_NS1_11comp_targetILNS1_3genE4ELNS1_11target_archE910ELNS1_3gpuE8ELNS1_3repE0EEENS1_30default_config_static_selectorELNS0_4arch9wavefront6targetE0EEEvSK_.num_agpr, 0
	.set _ZN7rocprim17ROCPRIM_400000_NS6detail17trampoline_kernelINS0_14default_configENS1_36segmented_radix_sort_config_selectorIilEEZNS1_25segmented_radix_sort_implIS3_Lb1EPKiPiPKlPlN2at6native12_GLOBAL__N_18offset_tEEE10hipError_tPvRmT1_PNSt15iterator_traitsISK_E10value_typeET2_T3_PNSL_ISQ_E10value_typeET4_jRbjT5_SW_jjP12ihipStream_tbEUlT_E_NS1_11comp_targetILNS1_3genE4ELNS1_11target_archE910ELNS1_3gpuE8ELNS1_3repE0EEENS1_30default_config_static_selectorELNS0_4arch9wavefront6targetE0EEEvSK_.numbered_sgpr, 0
	.set _ZN7rocprim17ROCPRIM_400000_NS6detail17trampoline_kernelINS0_14default_configENS1_36segmented_radix_sort_config_selectorIilEEZNS1_25segmented_radix_sort_implIS3_Lb1EPKiPiPKlPlN2at6native12_GLOBAL__N_18offset_tEEE10hipError_tPvRmT1_PNSt15iterator_traitsISK_E10value_typeET2_T3_PNSL_ISQ_E10value_typeET4_jRbjT5_SW_jjP12ihipStream_tbEUlT_E_NS1_11comp_targetILNS1_3genE4ELNS1_11target_archE910ELNS1_3gpuE8ELNS1_3repE0EEENS1_30default_config_static_selectorELNS0_4arch9wavefront6targetE0EEEvSK_.num_named_barrier, 0
	.set _ZN7rocprim17ROCPRIM_400000_NS6detail17trampoline_kernelINS0_14default_configENS1_36segmented_radix_sort_config_selectorIilEEZNS1_25segmented_radix_sort_implIS3_Lb1EPKiPiPKlPlN2at6native12_GLOBAL__N_18offset_tEEE10hipError_tPvRmT1_PNSt15iterator_traitsISK_E10value_typeET2_T3_PNSL_ISQ_E10value_typeET4_jRbjT5_SW_jjP12ihipStream_tbEUlT_E_NS1_11comp_targetILNS1_3genE4ELNS1_11target_archE910ELNS1_3gpuE8ELNS1_3repE0EEENS1_30default_config_static_selectorELNS0_4arch9wavefront6targetE0EEEvSK_.private_seg_size, 0
	.set _ZN7rocprim17ROCPRIM_400000_NS6detail17trampoline_kernelINS0_14default_configENS1_36segmented_radix_sort_config_selectorIilEEZNS1_25segmented_radix_sort_implIS3_Lb1EPKiPiPKlPlN2at6native12_GLOBAL__N_18offset_tEEE10hipError_tPvRmT1_PNSt15iterator_traitsISK_E10value_typeET2_T3_PNSL_ISQ_E10value_typeET4_jRbjT5_SW_jjP12ihipStream_tbEUlT_E_NS1_11comp_targetILNS1_3genE4ELNS1_11target_archE910ELNS1_3gpuE8ELNS1_3repE0EEENS1_30default_config_static_selectorELNS0_4arch9wavefront6targetE0EEEvSK_.uses_vcc, 0
	.set _ZN7rocprim17ROCPRIM_400000_NS6detail17trampoline_kernelINS0_14default_configENS1_36segmented_radix_sort_config_selectorIilEEZNS1_25segmented_radix_sort_implIS3_Lb1EPKiPiPKlPlN2at6native12_GLOBAL__N_18offset_tEEE10hipError_tPvRmT1_PNSt15iterator_traitsISK_E10value_typeET2_T3_PNSL_ISQ_E10value_typeET4_jRbjT5_SW_jjP12ihipStream_tbEUlT_E_NS1_11comp_targetILNS1_3genE4ELNS1_11target_archE910ELNS1_3gpuE8ELNS1_3repE0EEENS1_30default_config_static_selectorELNS0_4arch9wavefront6targetE0EEEvSK_.uses_flat_scratch, 0
	.set _ZN7rocprim17ROCPRIM_400000_NS6detail17trampoline_kernelINS0_14default_configENS1_36segmented_radix_sort_config_selectorIilEEZNS1_25segmented_radix_sort_implIS3_Lb1EPKiPiPKlPlN2at6native12_GLOBAL__N_18offset_tEEE10hipError_tPvRmT1_PNSt15iterator_traitsISK_E10value_typeET2_T3_PNSL_ISQ_E10value_typeET4_jRbjT5_SW_jjP12ihipStream_tbEUlT_E_NS1_11comp_targetILNS1_3genE4ELNS1_11target_archE910ELNS1_3gpuE8ELNS1_3repE0EEENS1_30default_config_static_selectorELNS0_4arch9wavefront6targetE0EEEvSK_.has_dyn_sized_stack, 0
	.set _ZN7rocprim17ROCPRIM_400000_NS6detail17trampoline_kernelINS0_14default_configENS1_36segmented_radix_sort_config_selectorIilEEZNS1_25segmented_radix_sort_implIS3_Lb1EPKiPiPKlPlN2at6native12_GLOBAL__N_18offset_tEEE10hipError_tPvRmT1_PNSt15iterator_traitsISK_E10value_typeET2_T3_PNSL_ISQ_E10value_typeET4_jRbjT5_SW_jjP12ihipStream_tbEUlT_E_NS1_11comp_targetILNS1_3genE4ELNS1_11target_archE910ELNS1_3gpuE8ELNS1_3repE0EEENS1_30default_config_static_selectorELNS0_4arch9wavefront6targetE0EEEvSK_.has_recursion, 0
	.set _ZN7rocprim17ROCPRIM_400000_NS6detail17trampoline_kernelINS0_14default_configENS1_36segmented_radix_sort_config_selectorIilEEZNS1_25segmented_radix_sort_implIS3_Lb1EPKiPiPKlPlN2at6native12_GLOBAL__N_18offset_tEEE10hipError_tPvRmT1_PNSt15iterator_traitsISK_E10value_typeET2_T3_PNSL_ISQ_E10value_typeET4_jRbjT5_SW_jjP12ihipStream_tbEUlT_E_NS1_11comp_targetILNS1_3genE4ELNS1_11target_archE910ELNS1_3gpuE8ELNS1_3repE0EEENS1_30default_config_static_selectorELNS0_4arch9wavefront6targetE0EEEvSK_.has_indirect_call, 0
	.section	.AMDGPU.csdata,"",@progbits
; Kernel info:
; codeLenInByte = 0
; TotalNumSgprs: 0
; NumVgprs: 0
; ScratchSize: 0
; MemoryBound: 0
; FloatMode: 240
; IeeeMode: 1
; LDSByteSize: 0 bytes/workgroup (compile time only)
; SGPRBlocks: 0
; VGPRBlocks: 0
; NumSGPRsForWavesPerEU: 1
; NumVGPRsForWavesPerEU: 1
; Occupancy: 16
; WaveLimiterHint : 0
; COMPUTE_PGM_RSRC2:SCRATCH_EN: 0
; COMPUTE_PGM_RSRC2:USER_SGPR: 2
; COMPUTE_PGM_RSRC2:TRAP_HANDLER: 0
; COMPUTE_PGM_RSRC2:TGID_X_EN: 1
; COMPUTE_PGM_RSRC2:TGID_Y_EN: 0
; COMPUTE_PGM_RSRC2:TGID_Z_EN: 0
; COMPUTE_PGM_RSRC2:TIDIG_COMP_CNT: 0
	.section	.text._ZN7rocprim17ROCPRIM_400000_NS6detail17trampoline_kernelINS0_14default_configENS1_36segmented_radix_sort_config_selectorIilEEZNS1_25segmented_radix_sort_implIS3_Lb1EPKiPiPKlPlN2at6native12_GLOBAL__N_18offset_tEEE10hipError_tPvRmT1_PNSt15iterator_traitsISK_E10value_typeET2_T3_PNSL_ISQ_E10value_typeET4_jRbjT5_SW_jjP12ihipStream_tbEUlT_E_NS1_11comp_targetILNS1_3genE3ELNS1_11target_archE908ELNS1_3gpuE7ELNS1_3repE0EEENS1_30default_config_static_selectorELNS0_4arch9wavefront6targetE0EEEvSK_,"axG",@progbits,_ZN7rocprim17ROCPRIM_400000_NS6detail17trampoline_kernelINS0_14default_configENS1_36segmented_radix_sort_config_selectorIilEEZNS1_25segmented_radix_sort_implIS3_Lb1EPKiPiPKlPlN2at6native12_GLOBAL__N_18offset_tEEE10hipError_tPvRmT1_PNSt15iterator_traitsISK_E10value_typeET2_T3_PNSL_ISQ_E10value_typeET4_jRbjT5_SW_jjP12ihipStream_tbEUlT_E_NS1_11comp_targetILNS1_3genE3ELNS1_11target_archE908ELNS1_3gpuE7ELNS1_3repE0EEENS1_30default_config_static_selectorELNS0_4arch9wavefront6targetE0EEEvSK_,comdat
	.globl	_ZN7rocprim17ROCPRIM_400000_NS6detail17trampoline_kernelINS0_14default_configENS1_36segmented_radix_sort_config_selectorIilEEZNS1_25segmented_radix_sort_implIS3_Lb1EPKiPiPKlPlN2at6native12_GLOBAL__N_18offset_tEEE10hipError_tPvRmT1_PNSt15iterator_traitsISK_E10value_typeET2_T3_PNSL_ISQ_E10value_typeET4_jRbjT5_SW_jjP12ihipStream_tbEUlT_E_NS1_11comp_targetILNS1_3genE3ELNS1_11target_archE908ELNS1_3gpuE7ELNS1_3repE0EEENS1_30default_config_static_selectorELNS0_4arch9wavefront6targetE0EEEvSK_ ; -- Begin function _ZN7rocprim17ROCPRIM_400000_NS6detail17trampoline_kernelINS0_14default_configENS1_36segmented_radix_sort_config_selectorIilEEZNS1_25segmented_radix_sort_implIS3_Lb1EPKiPiPKlPlN2at6native12_GLOBAL__N_18offset_tEEE10hipError_tPvRmT1_PNSt15iterator_traitsISK_E10value_typeET2_T3_PNSL_ISQ_E10value_typeET4_jRbjT5_SW_jjP12ihipStream_tbEUlT_E_NS1_11comp_targetILNS1_3genE3ELNS1_11target_archE908ELNS1_3gpuE7ELNS1_3repE0EEENS1_30default_config_static_selectorELNS0_4arch9wavefront6targetE0EEEvSK_
	.p2align	8
	.type	_ZN7rocprim17ROCPRIM_400000_NS6detail17trampoline_kernelINS0_14default_configENS1_36segmented_radix_sort_config_selectorIilEEZNS1_25segmented_radix_sort_implIS3_Lb1EPKiPiPKlPlN2at6native12_GLOBAL__N_18offset_tEEE10hipError_tPvRmT1_PNSt15iterator_traitsISK_E10value_typeET2_T3_PNSL_ISQ_E10value_typeET4_jRbjT5_SW_jjP12ihipStream_tbEUlT_E_NS1_11comp_targetILNS1_3genE3ELNS1_11target_archE908ELNS1_3gpuE7ELNS1_3repE0EEENS1_30default_config_static_selectorELNS0_4arch9wavefront6targetE0EEEvSK_,@function
_ZN7rocprim17ROCPRIM_400000_NS6detail17trampoline_kernelINS0_14default_configENS1_36segmented_radix_sort_config_selectorIilEEZNS1_25segmented_radix_sort_implIS3_Lb1EPKiPiPKlPlN2at6native12_GLOBAL__N_18offset_tEEE10hipError_tPvRmT1_PNSt15iterator_traitsISK_E10value_typeET2_T3_PNSL_ISQ_E10value_typeET4_jRbjT5_SW_jjP12ihipStream_tbEUlT_E_NS1_11comp_targetILNS1_3genE3ELNS1_11target_archE908ELNS1_3gpuE7ELNS1_3repE0EEENS1_30default_config_static_selectorELNS0_4arch9wavefront6targetE0EEEvSK_: ; @_ZN7rocprim17ROCPRIM_400000_NS6detail17trampoline_kernelINS0_14default_configENS1_36segmented_radix_sort_config_selectorIilEEZNS1_25segmented_radix_sort_implIS3_Lb1EPKiPiPKlPlN2at6native12_GLOBAL__N_18offset_tEEE10hipError_tPvRmT1_PNSt15iterator_traitsISK_E10value_typeET2_T3_PNSL_ISQ_E10value_typeET4_jRbjT5_SW_jjP12ihipStream_tbEUlT_E_NS1_11comp_targetILNS1_3genE3ELNS1_11target_archE908ELNS1_3gpuE7ELNS1_3repE0EEENS1_30default_config_static_selectorELNS0_4arch9wavefront6targetE0EEEvSK_
; %bb.0:
	.section	.rodata,"a",@progbits
	.p2align	6, 0x0
	.amdhsa_kernel _ZN7rocprim17ROCPRIM_400000_NS6detail17trampoline_kernelINS0_14default_configENS1_36segmented_radix_sort_config_selectorIilEEZNS1_25segmented_radix_sort_implIS3_Lb1EPKiPiPKlPlN2at6native12_GLOBAL__N_18offset_tEEE10hipError_tPvRmT1_PNSt15iterator_traitsISK_E10value_typeET2_T3_PNSL_ISQ_E10value_typeET4_jRbjT5_SW_jjP12ihipStream_tbEUlT_E_NS1_11comp_targetILNS1_3genE3ELNS1_11target_archE908ELNS1_3gpuE7ELNS1_3repE0EEENS1_30default_config_static_selectorELNS0_4arch9wavefront6targetE0EEEvSK_
		.amdhsa_group_segment_fixed_size 0
		.amdhsa_private_segment_fixed_size 0
		.amdhsa_kernarg_size 96
		.amdhsa_user_sgpr_count 2
		.amdhsa_user_sgpr_dispatch_ptr 0
		.amdhsa_user_sgpr_queue_ptr 0
		.amdhsa_user_sgpr_kernarg_segment_ptr 1
		.amdhsa_user_sgpr_dispatch_id 0
		.amdhsa_user_sgpr_private_segment_size 0
		.amdhsa_wavefront_size32 1
		.amdhsa_uses_dynamic_stack 0
		.amdhsa_enable_private_segment 0
		.amdhsa_system_sgpr_workgroup_id_x 1
		.amdhsa_system_sgpr_workgroup_id_y 0
		.amdhsa_system_sgpr_workgroup_id_z 0
		.amdhsa_system_sgpr_workgroup_info 0
		.amdhsa_system_vgpr_workitem_id 0
		.amdhsa_next_free_vgpr 1
		.amdhsa_next_free_sgpr 1
		.amdhsa_reserve_vcc 0
		.amdhsa_float_round_mode_32 0
		.amdhsa_float_round_mode_16_64 0
		.amdhsa_float_denorm_mode_32 3
		.amdhsa_float_denorm_mode_16_64 3
		.amdhsa_fp16_overflow 0
		.amdhsa_workgroup_processor_mode 1
		.amdhsa_memory_ordered 1
		.amdhsa_forward_progress 1
		.amdhsa_inst_pref_size 0
		.amdhsa_round_robin_scheduling 0
		.amdhsa_exception_fp_ieee_invalid_op 0
		.amdhsa_exception_fp_denorm_src 0
		.amdhsa_exception_fp_ieee_div_zero 0
		.amdhsa_exception_fp_ieee_overflow 0
		.amdhsa_exception_fp_ieee_underflow 0
		.amdhsa_exception_fp_ieee_inexact 0
		.amdhsa_exception_int_div_zero 0
	.end_amdhsa_kernel
	.section	.text._ZN7rocprim17ROCPRIM_400000_NS6detail17trampoline_kernelINS0_14default_configENS1_36segmented_radix_sort_config_selectorIilEEZNS1_25segmented_radix_sort_implIS3_Lb1EPKiPiPKlPlN2at6native12_GLOBAL__N_18offset_tEEE10hipError_tPvRmT1_PNSt15iterator_traitsISK_E10value_typeET2_T3_PNSL_ISQ_E10value_typeET4_jRbjT5_SW_jjP12ihipStream_tbEUlT_E_NS1_11comp_targetILNS1_3genE3ELNS1_11target_archE908ELNS1_3gpuE7ELNS1_3repE0EEENS1_30default_config_static_selectorELNS0_4arch9wavefront6targetE0EEEvSK_,"axG",@progbits,_ZN7rocprim17ROCPRIM_400000_NS6detail17trampoline_kernelINS0_14default_configENS1_36segmented_radix_sort_config_selectorIilEEZNS1_25segmented_radix_sort_implIS3_Lb1EPKiPiPKlPlN2at6native12_GLOBAL__N_18offset_tEEE10hipError_tPvRmT1_PNSt15iterator_traitsISK_E10value_typeET2_T3_PNSL_ISQ_E10value_typeET4_jRbjT5_SW_jjP12ihipStream_tbEUlT_E_NS1_11comp_targetILNS1_3genE3ELNS1_11target_archE908ELNS1_3gpuE7ELNS1_3repE0EEENS1_30default_config_static_selectorELNS0_4arch9wavefront6targetE0EEEvSK_,comdat
.Lfunc_end500:
	.size	_ZN7rocprim17ROCPRIM_400000_NS6detail17trampoline_kernelINS0_14default_configENS1_36segmented_radix_sort_config_selectorIilEEZNS1_25segmented_radix_sort_implIS3_Lb1EPKiPiPKlPlN2at6native12_GLOBAL__N_18offset_tEEE10hipError_tPvRmT1_PNSt15iterator_traitsISK_E10value_typeET2_T3_PNSL_ISQ_E10value_typeET4_jRbjT5_SW_jjP12ihipStream_tbEUlT_E_NS1_11comp_targetILNS1_3genE3ELNS1_11target_archE908ELNS1_3gpuE7ELNS1_3repE0EEENS1_30default_config_static_selectorELNS0_4arch9wavefront6targetE0EEEvSK_, .Lfunc_end500-_ZN7rocprim17ROCPRIM_400000_NS6detail17trampoline_kernelINS0_14default_configENS1_36segmented_radix_sort_config_selectorIilEEZNS1_25segmented_radix_sort_implIS3_Lb1EPKiPiPKlPlN2at6native12_GLOBAL__N_18offset_tEEE10hipError_tPvRmT1_PNSt15iterator_traitsISK_E10value_typeET2_T3_PNSL_ISQ_E10value_typeET4_jRbjT5_SW_jjP12ihipStream_tbEUlT_E_NS1_11comp_targetILNS1_3genE3ELNS1_11target_archE908ELNS1_3gpuE7ELNS1_3repE0EEENS1_30default_config_static_selectorELNS0_4arch9wavefront6targetE0EEEvSK_
                                        ; -- End function
	.set _ZN7rocprim17ROCPRIM_400000_NS6detail17trampoline_kernelINS0_14default_configENS1_36segmented_radix_sort_config_selectorIilEEZNS1_25segmented_radix_sort_implIS3_Lb1EPKiPiPKlPlN2at6native12_GLOBAL__N_18offset_tEEE10hipError_tPvRmT1_PNSt15iterator_traitsISK_E10value_typeET2_T3_PNSL_ISQ_E10value_typeET4_jRbjT5_SW_jjP12ihipStream_tbEUlT_E_NS1_11comp_targetILNS1_3genE3ELNS1_11target_archE908ELNS1_3gpuE7ELNS1_3repE0EEENS1_30default_config_static_selectorELNS0_4arch9wavefront6targetE0EEEvSK_.num_vgpr, 0
	.set _ZN7rocprim17ROCPRIM_400000_NS6detail17trampoline_kernelINS0_14default_configENS1_36segmented_radix_sort_config_selectorIilEEZNS1_25segmented_radix_sort_implIS3_Lb1EPKiPiPKlPlN2at6native12_GLOBAL__N_18offset_tEEE10hipError_tPvRmT1_PNSt15iterator_traitsISK_E10value_typeET2_T3_PNSL_ISQ_E10value_typeET4_jRbjT5_SW_jjP12ihipStream_tbEUlT_E_NS1_11comp_targetILNS1_3genE3ELNS1_11target_archE908ELNS1_3gpuE7ELNS1_3repE0EEENS1_30default_config_static_selectorELNS0_4arch9wavefront6targetE0EEEvSK_.num_agpr, 0
	.set _ZN7rocprim17ROCPRIM_400000_NS6detail17trampoline_kernelINS0_14default_configENS1_36segmented_radix_sort_config_selectorIilEEZNS1_25segmented_radix_sort_implIS3_Lb1EPKiPiPKlPlN2at6native12_GLOBAL__N_18offset_tEEE10hipError_tPvRmT1_PNSt15iterator_traitsISK_E10value_typeET2_T3_PNSL_ISQ_E10value_typeET4_jRbjT5_SW_jjP12ihipStream_tbEUlT_E_NS1_11comp_targetILNS1_3genE3ELNS1_11target_archE908ELNS1_3gpuE7ELNS1_3repE0EEENS1_30default_config_static_selectorELNS0_4arch9wavefront6targetE0EEEvSK_.numbered_sgpr, 0
	.set _ZN7rocprim17ROCPRIM_400000_NS6detail17trampoline_kernelINS0_14default_configENS1_36segmented_radix_sort_config_selectorIilEEZNS1_25segmented_radix_sort_implIS3_Lb1EPKiPiPKlPlN2at6native12_GLOBAL__N_18offset_tEEE10hipError_tPvRmT1_PNSt15iterator_traitsISK_E10value_typeET2_T3_PNSL_ISQ_E10value_typeET4_jRbjT5_SW_jjP12ihipStream_tbEUlT_E_NS1_11comp_targetILNS1_3genE3ELNS1_11target_archE908ELNS1_3gpuE7ELNS1_3repE0EEENS1_30default_config_static_selectorELNS0_4arch9wavefront6targetE0EEEvSK_.num_named_barrier, 0
	.set _ZN7rocprim17ROCPRIM_400000_NS6detail17trampoline_kernelINS0_14default_configENS1_36segmented_radix_sort_config_selectorIilEEZNS1_25segmented_radix_sort_implIS3_Lb1EPKiPiPKlPlN2at6native12_GLOBAL__N_18offset_tEEE10hipError_tPvRmT1_PNSt15iterator_traitsISK_E10value_typeET2_T3_PNSL_ISQ_E10value_typeET4_jRbjT5_SW_jjP12ihipStream_tbEUlT_E_NS1_11comp_targetILNS1_3genE3ELNS1_11target_archE908ELNS1_3gpuE7ELNS1_3repE0EEENS1_30default_config_static_selectorELNS0_4arch9wavefront6targetE0EEEvSK_.private_seg_size, 0
	.set _ZN7rocprim17ROCPRIM_400000_NS6detail17trampoline_kernelINS0_14default_configENS1_36segmented_radix_sort_config_selectorIilEEZNS1_25segmented_radix_sort_implIS3_Lb1EPKiPiPKlPlN2at6native12_GLOBAL__N_18offset_tEEE10hipError_tPvRmT1_PNSt15iterator_traitsISK_E10value_typeET2_T3_PNSL_ISQ_E10value_typeET4_jRbjT5_SW_jjP12ihipStream_tbEUlT_E_NS1_11comp_targetILNS1_3genE3ELNS1_11target_archE908ELNS1_3gpuE7ELNS1_3repE0EEENS1_30default_config_static_selectorELNS0_4arch9wavefront6targetE0EEEvSK_.uses_vcc, 0
	.set _ZN7rocprim17ROCPRIM_400000_NS6detail17trampoline_kernelINS0_14default_configENS1_36segmented_radix_sort_config_selectorIilEEZNS1_25segmented_radix_sort_implIS3_Lb1EPKiPiPKlPlN2at6native12_GLOBAL__N_18offset_tEEE10hipError_tPvRmT1_PNSt15iterator_traitsISK_E10value_typeET2_T3_PNSL_ISQ_E10value_typeET4_jRbjT5_SW_jjP12ihipStream_tbEUlT_E_NS1_11comp_targetILNS1_3genE3ELNS1_11target_archE908ELNS1_3gpuE7ELNS1_3repE0EEENS1_30default_config_static_selectorELNS0_4arch9wavefront6targetE0EEEvSK_.uses_flat_scratch, 0
	.set _ZN7rocprim17ROCPRIM_400000_NS6detail17trampoline_kernelINS0_14default_configENS1_36segmented_radix_sort_config_selectorIilEEZNS1_25segmented_radix_sort_implIS3_Lb1EPKiPiPKlPlN2at6native12_GLOBAL__N_18offset_tEEE10hipError_tPvRmT1_PNSt15iterator_traitsISK_E10value_typeET2_T3_PNSL_ISQ_E10value_typeET4_jRbjT5_SW_jjP12ihipStream_tbEUlT_E_NS1_11comp_targetILNS1_3genE3ELNS1_11target_archE908ELNS1_3gpuE7ELNS1_3repE0EEENS1_30default_config_static_selectorELNS0_4arch9wavefront6targetE0EEEvSK_.has_dyn_sized_stack, 0
	.set _ZN7rocprim17ROCPRIM_400000_NS6detail17trampoline_kernelINS0_14default_configENS1_36segmented_radix_sort_config_selectorIilEEZNS1_25segmented_radix_sort_implIS3_Lb1EPKiPiPKlPlN2at6native12_GLOBAL__N_18offset_tEEE10hipError_tPvRmT1_PNSt15iterator_traitsISK_E10value_typeET2_T3_PNSL_ISQ_E10value_typeET4_jRbjT5_SW_jjP12ihipStream_tbEUlT_E_NS1_11comp_targetILNS1_3genE3ELNS1_11target_archE908ELNS1_3gpuE7ELNS1_3repE0EEENS1_30default_config_static_selectorELNS0_4arch9wavefront6targetE0EEEvSK_.has_recursion, 0
	.set _ZN7rocprim17ROCPRIM_400000_NS6detail17trampoline_kernelINS0_14default_configENS1_36segmented_radix_sort_config_selectorIilEEZNS1_25segmented_radix_sort_implIS3_Lb1EPKiPiPKlPlN2at6native12_GLOBAL__N_18offset_tEEE10hipError_tPvRmT1_PNSt15iterator_traitsISK_E10value_typeET2_T3_PNSL_ISQ_E10value_typeET4_jRbjT5_SW_jjP12ihipStream_tbEUlT_E_NS1_11comp_targetILNS1_3genE3ELNS1_11target_archE908ELNS1_3gpuE7ELNS1_3repE0EEENS1_30default_config_static_selectorELNS0_4arch9wavefront6targetE0EEEvSK_.has_indirect_call, 0
	.section	.AMDGPU.csdata,"",@progbits
; Kernel info:
; codeLenInByte = 0
; TotalNumSgprs: 0
; NumVgprs: 0
; ScratchSize: 0
; MemoryBound: 0
; FloatMode: 240
; IeeeMode: 1
; LDSByteSize: 0 bytes/workgroup (compile time only)
; SGPRBlocks: 0
; VGPRBlocks: 0
; NumSGPRsForWavesPerEU: 1
; NumVGPRsForWavesPerEU: 1
; Occupancy: 16
; WaveLimiterHint : 0
; COMPUTE_PGM_RSRC2:SCRATCH_EN: 0
; COMPUTE_PGM_RSRC2:USER_SGPR: 2
; COMPUTE_PGM_RSRC2:TRAP_HANDLER: 0
; COMPUTE_PGM_RSRC2:TGID_X_EN: 1
; COMPUTE_PGM_RSRC2:TGID_Y_EN: 0
; COMPUTE_PGM_RSRC2:TGID_Z_EN: 0
; COMPUTE_PGM_RSRC2:TIDIG_COMP_CNT: 0
	.section	.text._ZN7rocprim17ROCPRIM_400000_NS6detail17trampoline_kernelINS0_14default_configENS1_36segmented_radix_sort_config_selectorIilEEZNS1_25segmented_radix_sort_implIS3_Lb1EPKiPiPKlPlN2at6native12_GLOBAL__N_18offset_tEEE10hipError_tPvRmT1_PNSt15iterator_traitsISK_E10value_typeET2_T3_PNSL_ISQ_E10value_typeET4_jRbjT5_SW_jjP12ihipStream_tbEUlT_E_NS1_11comp_targetILNS1_3genE2ELNS1_11target_archE906ELNS1_3gpuE6ELNS1_3repE0EEENS1_30default_config_static_selectorELNS0_4arch9wavefront6targetE0EEEvSK_,"axG",@progbits,_ZN7rocprim17ROCPRIM_400000_NS6detail17trampoline_kernelINS0_14default_configENS1_36segmented_radix_sort_config_selectorIilEEZNS1_25segmented_radix_sort_implIS3_Lb1EPKiPiPKlPlN2at6native12_GLOBAL__N_18offset_tEEE10hipError_tPvRmT1_PNSt15iterator_traitsISK_E10value_typeET2_T3_PNSL_ISQ_E10value_typeET4_jRbjT5_SW_jjP12ihipStream_tbEUlT_E_NS1_11comp_targetILNS1_3genE2ELNS1_11target_archE906ELNS1_3gpuE6ELNS1_3repE0EEENS1_30default_config_static_selectorELNS0_4arch9wavefront6targetE0EEEvSK_,comdat
	.globl	_ZN7rocprim17ROCPRIM_400000_NS6detail17trampoline_kernelINS0_14default_configENS1_36segmented_radix_sort_config_selectorIilEEZNS1_25segmented_radix_sort_implIS3_Lb1EPKiPiPKlPlN2at6native12_GLOBAL__N_18offset_tEEE10hipError_tPvRmT1_PNSt15iterator_traitsISK_E10value_typeET2_T3_PNSL_ISQ_E10value_typeET4_jRbjT5_SW_jjP12ihipStream_tbEUlT_E_NS1_11comp_targetILNS1_3genE2ELNS1_11target_archE906ELNS1_3gpuE6ELNS1_3repE0EEENS1_30default_config_static_selectorELNS0_4arch9wavefront6targetE0EEEvSK_ ; -- Begin function _ZN7rocprim17ROCPRIM_400000_NS6detail17trampoline_kernelINS0_14default_configENS1_36segmented_radix_sort_config_selectorIilEEZNS1_25segmented_radix_sort_implIS3_Lb1EPKiPiPKlPlN2at6native12_GLOBAL__N_18offset_tEEE10hipError_tPvRmT1_PNSt15iterator_traitsISK_E10value_typeET2_T3_PNSL_ISQ_E10value_typeET4_jRbjT5_SW_jjP12ihipStream_tbEUlT_E_NS1_11comp_targetILNS1_3genE2ELNS1_11target_archE906ELNS1_3gpuE6ELNS1_3repE0EEENS1_30default_config_static_selectorELNS0_4arch9wavefront6targetE0EEEvSK_
	.p2align	8
	.type	_ZN7rocprim17ROCPRIM_400000_NS6detail17trampoline_kernelINS0_14default_configENS1_36segmented_radix_sort_config_selectorIilEEZNS1_25segmented_radix_sort_implIS3_Lb1EPKiPiPKlPlN2at6native12_GLOBAL__N_18offset_tEEE10hipError_tPvRmT1_PNSt15iterator_traitsISK_E10value_typeET2_T3_PNSL_ISQ_E10value_typeET4_jRbjT5_SW_jjP12ihipStream_tbEUlT_E_NS1_11comp_targetILNS1_3genE2ELNS1_11target_archE906ELNS1_3gpuE6ELNS1_3repE0EEENS1_30default_config_static_selectorELNS0_4arch9wavefront6targetE0EEEvSK_,@function
_ZN7rocprim17ROCPRIM_400000_NS6detail17trampoline_kernelINS0_14default_configENS1_36segmented_radix_sort_config_selectorIilEEZNS1_25segmented_radix_sort_implIS3_Lb1EPKiPiPKlPlN2at6native12_GLOBAL__N_18offset_tEEE10hipError_tPvRmT1_PNSt15iterator_traitsISK_E10value_typeET2_T3_PNSL_ISQ_E10value_typeET4_jRbjT5_SW_jjP12ihipStream_tbEUlT_E_NS1_11comp_targetILNS1_3genE2ELNS1_11target_archE906ELNS1_3gpuE6ELNS1_3repE0EEENS1_30default_config_static_selectorELNS0_4arch9wavefront6targetE0EEEvSK_: ; @_ZN7rocprim17ROCPRIM_400000_NS6detail17trampoline_kernelINS0_14default_configENS1_36segmented_radix_sort_config_selectorIilEEZNS1_25segmented_radix_sort_implIS3_Lb1EPKiPiPKlPlN2at6native12_GLOBAL__N_18offset_tEEE10hipError_tPvRmT1_PNSt15iterator_traitsISK_E10value_typeET2_T3_PNSL_ISQ_E10value_typeET4_jRbjT5_SW_jjP12ihipStream_tbEUlT_E_NS1_11comp_targetILNS1_3genE2ELNS1_11target_archE906ELNS1_3gpuE6ELNS1_3repE0EEENS1_30default_config_static_selectorELNS0_4arch9wavefront6targetE0EEEvSK_
; %bb.0:
	.section	.rodata,"a",@progbits
	.p2align	6, 0x0
	.amdhsa_kernel _ZN7rocprim17ROCPRIM_400000_NS6detail17trampoline_kernelINS0_14default_configENS1_36segmented_radix_sort_config_selectorIilEEZNS1_25segmented_radix_sort_implIS3_Lb1EPKiPiPKlPlN2at6native12_GLOBAL__N_18offset_tEEE10hipError_tPvRmT1_PNSt15iterator_traitsISK_E10value_typeET2_T3_PNSL_ISQ_E10value_typeET4_jRbjT5_SW_jjP12ihipStream_tbEUlT_E_NS1_11comp_targetILNS1_3genE2ELNS1_11target_archE906ELNS1_3gpuE6ELNS1_3repE0EEENS1_30default_config_static_selectorELNS0_4arch9wavefront6targetE0EEEvSK_
		.amdhsa_group_segment_fixed_size 0
		.amdhsa_private_segment_fixed_size 0
		.amdhsa_kernarg_size 96
		.amdhsa_user_sgpr_count 2
		.amdhsa_user_sgpr_dispatch_ptr 0
		.amdhsa_user_sgpr_queue_ptr 0
		.amdhsa_user_sgpr_kernarg_segment_ptr 1
		.amdhsa_user_sgpr_dispatch_id 0
		.amdhsa_user_sgpr_private_segment_size 0
		.amdhsa_wavefront_size32 1
		.amdhsa_uses_dynamic_stack 0
		.amdhsa_enable_private_segment 0
		.amdhsa_system_sgpr_workgroup_id_x 1
		.amdhsa_system_sgpr_workgroup_id_y 0
		.amdhsa_system_sgpr_workgroup_id_z 0
		.amdhsa_system_sgpr_workgroup_info 0
		.amdhsa_system_vgpr_workitem_id 0
		.amdhsa_next_free_vgpr 1
		.amdhsa_next_free_sgpr 1
		.amdhsa_reserve_vcc 0
		.amdhsa_float_round_mode_32 0
		.amdhsa_float_round_mode_16_64 0
		.amdhsa_float_denorm_mode_32 3
		.amdhsa_float_denorm_mode_16_64 3
		.amdhsa_fp16_overflow 0
		.amdhsa_workgroup_processor_mode 1
		.amdhsa_memory_ordered 1
		.amdhsa_forward_progress 1
		.amdhsa_inst_pref_size 0
		.amdhsa_round_robin_scheduling 0
		.amdhsa_exception_fp_ieee_invalid_op 0
		.amdhsa_exception_fp_denorm_src 0
		.amdhsa_exception_fp_ieee_div_zero 0
		.amdhsa_exception_fp_ieee_overflow 0
		.amdhsa_exception_fp_ieee_underflow 0
		.amdhsa_exception_fp_ieee_inexact 0
		.amdhsa_exception_int_div_zero 0
	.end_amdhsa_kernel
	.section	.text._ZN7rocprim17ROCPRIM_400000_NS6detail17trampoline_kernelINS0_14default_configENS1_36segmented_radix_sort_config_selectorIilEEZNS1_25segmented_radix_sort_implIS3_Lb1EPKiPiPKlPlN2at6native12_GLOBAL__N_18offset_tEEE10hipError_tPvRmT1_PNSt15iterator_traitsISK_E10value_typeET2_T3_PNSL_ISQ_E10value_typeET4_jRbjT5_SW_jjP12ihipStream_tbEUlT_E_NS1_11comp_targetILNS1_3genE2ELNS1_11target_archE906ELNS1_3gpuE6ELNS1_3repE0EEENS1_30default_config_static_selectorELNS0_4arch9wavefront6targetE0EEEvSK_,"axG",@progbits,_ZN7rocprim17ROCPRIM_400000_NS6detail17trampoline_kernelINS0_14default_configENS1_36segmented_radix_sort_config_selectorIilEEZNS1_25segmented_radix_sort_implIS3_Lb1EPKiPiPKlPlN2at6native12_GLOBAL__N_18offset_tEEE10hipError_tPvRmT1_PNSt15iterator_traitsISK_E10value_typeET2_T3_PNSL_ISQ_E10value_typeET4_jRbjT5_SW_jjP12ihipStream_tbEUlT_E_NS1_11comp_targetILNS1_3genE2ELNS1_11target_archE906ELNS1_3gpuE6ELNS1_3repE0EEENS1_30default_config_static_selectorELNS0_4arch9wavefront6targetE0EEEvSK_,comdat
.Lfunc_end501:
	.size	_ZN7rocprim17ROCPRIM_400000_NS6detail17trampoline_kernelINS0_14default_configENS1_36segmented_radix_sort_config_selectorIilEEZNS1_25segmented_radix_sort_implIS3_Lb1EPKiPiPKlPlN2at6native12_GLOBAL__N_18offset_tEEE10hipError_tPvRmT1_PNSt15iterator_traitsISK_E10value_typeET2_T3_PNSL_ISQ_E10value_typeET4_jRbjT5_SW_jjP12ihipStream_tbEUlT_E_NS1_11comp_targetILNS1_3genE2ELNS1_11target_archE906ELNS1_3gpuE6ELNS1_3repE0EEENS1_30default_config_static_selectorELNS0_4arch9wavefront6targetE0EEEvSK_, .Lfunc_end501-_ZN7rocprim17ROCPRIM_400000_NS6detail17trampoline_kernelINS0_14default_configENS1_36segmented_radix_sort_config_selectorIilEEZNS1_25segmented_radix_sort_implIS3_Lb1EPKiPiPKlPlN2at6native12_GLOBAL__N_18offset_tEEE10hipError_tPvRmT1_PNSt15iterator_traitsISK_E10value_typeET2_T3_PNSL_ISQ_E10value_typeET4_jRbjT5_SW_jjP12ihipStream_tbEUlT_E_NS1_11comp_targetILNS1_3genE2ELNS1_11target_archE906ELNS1_3gpuE6ELNS1_3repE0EEENS1_30default_config_static_selectorELNS0_4arch9wavefront6targetE0EEEvSK_
                                        ; -- End function
	.set _ZN7rocprim17ROCPRIM_400000_NS6detail17trampoline_kernelINS0_14default_configENS1_36segmented_radix_sort_config_selectorIilEEZNS1_25segmented_radix_sort_implIS3_Lb1EPKiPiPKlPlN2at6native12_GLOBAL__N_18offset_tEEE10hipError_tPvRmT1_PNSt15iterator_traitsISK_E10value_typeET2_T3_PNSL_ISQ_E10value_typeET4_jRbjT5_SW_jjP12ihipStream_tbEUlT_E_NS1_11comp_targetILNS1_3genE2ELNS1_11target_archE906ELNS1_3gpuE6ELNS1_3repE0EEENS1_30default_config_static_selectorELNS0_4arch9wavefront6targetE0EEEvSK_.num_vgpr, 0
	.set _ZN7rocprim17ROCPRIM_400000_NS6detail17trampoline_kernelINS0_14default_configENS1_36segmented_radix_sort_config_selectorIilEEZNS1_25segmented_radix_sort_implIS3_Lb1EPKiPiPKlPlN2at6native12_GLOBAL__N_18offset_tEEE10hipError_tPvRmT1_PNSt15iterator_traitsISK_E10value_typeET2_T3_PNSL_ISQ_E10value_typeET4_jRbjT5_SW_jjP12ihipStream_tbEUlT_E_NS1_11comp_targetILNS1_3genE2ELNS1_11target_archE906ELNS1_3gpuE6ELNS1_3repE0EEENS1_30default_config_static_selectorELNS0_4arch9wavefront6targetE0EEEvSK_.num_agpr, 0
	.set _ZN7rocprim17ROCPRIM_400000_NS6detail17trampoline_kernelINS0_14default_configENS1_36segmented_radix_sort_config_selectorIilEEZNS1_25segmented_radix_sort_implIS3_Lb1EPKiPiPKlPlN2at6native12_GLOBAL__N_18offset_tEEE10hipError_tPvRmT1_PNSt15iterator_traitsISK_E10value_typeET2_T3_PNSL_ISQ_E10value_typeET4_jRbjT5_SW_jjP12ihipStream_tbEUlT_E_NS1_11comp_targetILNS1_3genE2ELNS1_11target_archE906ELNS1_3gpuE6ELNS1_3repE0EEENS1_30default_config_static_selectorELNS0_4arch9wavefront6targetE0EEEvSK_.numbered_sgpr, 0
	.set _ZN7rocprim17ROCPRIM_400000_NS6detail17trampoline_kernelINS0_14default_configENS1_36segmented_radix_sort_config_selectorIilEEZNS1_25segmented_radix_sort_implIS3_Lb1EPKiPiPKlPlN2at6native12_GLOBAL__N_18offset_tEEE10hipError_tPvRmT1_PNSt15iterator_traitsISK_E10value_typeET2_T3_PNSL_ISQ_E10value_typeET4_jRbjT5_SW_jjP12ihipStream_tbEUlT_E_NS1_11comp_targetILNS1_3genE2ELNS1_11target_archE906ELNS1_3gpuE6ELNS1_3repE0EEENS1_30default_config_static_selectorELNS0_4arch9wavefront6targetE0EEEvSK_.num_named_barrier, 0
	.set _ZN7rocprim17ROCPRIM_400000_NS6detail17trampoline_kernelINS0_14default_configENS1_36segmented_radix_sort_config_selectorIilEEZNS1_25segmented_radix_sort_implIS3_Lb1EPKiPiPKlPlN2at6native12_GLOBAL__N_18offset_tEEE10hipError_tPvRmT1_PNSt15iterator_traitsISK_E10value_typeET2_T3_PNSL_ISQ_E10value_typeET4_jRbjT5_SW_jjP12ihipStream_tbEUlT_E_NS1_11comp_targetILNS1_3genE2ELNS1_11target_archE906ELNS1_3gpuE6ELNS1_3repE0EEENS1_30default_config_static_selectorELNS0_4arch9wavefront6targetE0EEEvSK_.private_seg_size, 0
	.set _ZN7rocprim17ROCPRIM_400000_NS6detail17trampoline_kernelINS0_14default_configENS1_36segmented_radix_sort_config_selectorIilEEZNS1_25segmented_radix_sort_implIS3_Lb1EPKiPiPKlPlN2at6native12_GLOBAL__N_18offset_tEEE10hipError_tPvRmT1_PNSt15iterator_traitsISK_E10value_typeET2_T3_PNSL_ISQ_E10value_typeET4_jRbjT5_SW_jjP12ihipStream_tbEUlT_E_NS1_11comp_targetILNS1_3genE2ELNS1_11target_archE906ELNS1_3gpuE6ELNS1_3repE0EEENS1_30default_config_static_selectorELNS0_4arch9wavefront6targetE0EEEvSK_.uses_vcc, 0
	.set _ZN7rocprim17ROCPRIM_400000_NS6detail17trampoline_kernelINS0_14default_configENS1_36segmented_radix_sort_config_selectorIilEEZNS1_25segmented_radix_sort_implIS3_Lb1EPKiPiPKlPlN2at6native12_GLOBAL__N_18offset_tEEE10hipError_tPvRmT1_PNSt15iterator_traitsISK_E10value_typeET2_T3_PNSL_ISQ_E10value_typeET4_jRbjT5_SW_jjP12ihipStream_tbEUlT_E_NS1_11comp_targetILNS1_3genE2ELNS1_11target_archE906ELNS1_3gpuE6ELNS1_3repE0EEENS1_30default_config_static_selectorELNS0_4arch9wavefront6targetE0EEEvSK_.uses_flat_scratch, 0
	.set _ZN7rocprim17ROCPRIM_400000_NS6detail17trampoline_kernelINS0_14default_configENS1_36segmented_radix_sort_config_selectorIilEEZNS1_25segmented_radix_sort_implIS3_Lb1EPKiPiPKlPlN2at6native12_GLOBAL__N_18offset_tEEE10hipError_tPvRmT1_PNSt15iterator_traitsISK_E10value_typeET2_T3_PNSL_ISQ_E10value_typeET4_jRbjT5_SW_jjP12ihipStream_tbEUlT_E_NS1_11comp_targetILNS1_3genE2ELNS1_11target_archE906ELNS1_3gpuE6ELNS1_3repE0EEENS1_30default_config_static_selectorELNS0_4arch9wavefront6targetE0EEEvSK_.has_dyn_sized_stack, 0
	.set _ZN7rocprim17ROCPRIM_400000_NS6detail17trampoline_kernelINS0_14default_configENS1_36segmented_radix_sort_config_selectorIilEEZNS1_25segmented_radix_sort_implIS3_Lb1EPKiPiPKlPlN2at6native12_GLOBAL__N_18offset_tEEE10hipError_tPvRmT1_PNSt15iterator_traitsISK_E10value_typeET2_T3_PNSL_ISQ_E10value_typeET4_jRbjT5_SW_jjP12ihipStream_tbEUlT_E_NS1_11comp_targetILNS1_3genE2ELNS1_11target_archE906ELNS1_3gpuE6ELNS1_3repE0EEENS1_30default_config_static_selectorELNS0_4arch9wavefront6targetE0EEEvSK_.has_recursion, 0
	.set _ZN7rocprim17ROCPRIM_400000_NS6detail17trampoline_kernelINS0_14default_configENS1_36segmented_radix_sort_config_selectorIilEEZNS1_25segmented_radix_sort_implIS3_Lb1EPKiPiPKlPlN2at6native12_GLOBAL__N_18offset_tEEE10hipError_tPvRmT1_PNSt15iterator_traitsISK_E10value_typeET2_T3_PNSL_ISQ_E10value_typeET4_jRbjT5_SW_jjP12ihipStream_tbEUlT_E_NS1_11comp_targetILNS1_3genE2ELNS1_11target_archE906ELNS1_3gpuE6ELNS1_3repE0EEENS1_30default_config_static_selectorELNS0_4arch9wavefront6targetE0EEEvSK_.has_indirect_call, 0
	.section	.AMDGPU.csdata,"",@progbits
; Kernel info:
; codeLenInByte = 0
; TotalNumSgprs: 0
; NumVgprs: 0
; ScratchSize: 0
; MemoryBound: 0
; FloatMode: 240
; IeeeMode: 1
; LDSByteSize: 0 bytes/workgroup (compile time only)
; SGPRBlocks: 0
; VGPRBlocks: 0
; NumSGPRsForWavesPerEU: 1
; NumVGPRsForWavesPerEU: 1
; Occupancy: 16
; WaveLimiterHint : 0
; COMPUTE_PGM_RSRC2:SCRATCH_EN: 0
; COMPUTE_PGM_RSRC2:USER_SGPR: 2
; COMPUTE_PGM_RSRC2:TRAP_HANDLER: 0
; COMPUTE_PGM_RSRC2:TGID_X_EN: 1
; COMPUTE_PGM_RSRC2:TGID_Y_EN: 0
; COMPUTE_PGM_RSRC2:TGID_Z_EN: 0
; COMPUTE_PGM_RSRC2:TIDIG_COMP_CNT: 0
	.text
	.p2align	2                               ; -- Begin function _ZN7rocprim17ROCPRIM_400000_NS6detail40segmented_radix_sort_single_block_helperIilLj256ELj16ELb1EE4sortIPKiPiPKlPlEEbT_T0_T1_T2_jjjjRNS3_12storage_typeE
	.type	_ZN7rocprim17ROCPRIM_400000_NS6detail40segmented_radix_sort_single_block_helperIilLj256ELj16ELb1EE4sortIPKiPiPKlPlEEbT_T0_T1_T2_jjjjRNS3_12storage_typeE,@function
_ZN7rocprim17ROCPRIM_400000_NS6detail40segmented_radix_sort_single_block_helperIilLj256ELj16ELb1EE4sortIPKiPiPKlPlEEbT_T0_T1_T2_jjjjRNS3_12storage_typeE: ; @_ZN7rocprim17ROCPRIM_400000_NS6detail40segmented_radix_sort_single_block_helperIilLj256ELj16ELb1EE4sortIPKiPiPKlPlEEbT_T0_T1_T2_jjjjRNS3_12storage_typeE
; %bb.0:
	s_wait_loadcnt_dscnt 0x0
	s_wait_expcnt 0x0
	s_wait_samplecnt 0x0
	s_wait_bvhcnt 0x0
	s_wait_kmcnt 0x0
	s_clause 0x17
	scratch_store_b32 off, v40, s32 offset:92
	; meta instruction
	scratch_store_b32 off, v41, s32 offset:88
	; meta instruction
	;; [unrolled: 2-line block ×23, first 2 shown]
	scratch_store_b32 off, v79, s32
	v_sub_nc_u32_e32 v135, v9, v8
	s_mov_b32 s18, exec_lo
	s_delay_alu instid0(VALU_DEP_1)
	v_cmpx_gt_u32_e32 0x1001, v135
	s_cbranch_execz .LBB502_372
; %bb.1:
	v_bfe_u32 v9, v31, 10, 10
	v_bfe_u32 v13, v31, 20, 10
	v_and_b32_e32 v21, 0x3ff, v31
	v_mbcnt_lo_u32_b32 v96, -1, 0
	s_mov_b32 s0, exec_lo
	v_cmpx_lt_u32_e32 0x800, v135
	s_wait_alu 0xfffe
	s_xor_b32 s19, exec_lo, s0
	s_cbranch_execz .LBB502_143
; %bb.2:
	s_load_b64 s[0:1], s[8:9], 0x0
	s_and_b32 s2, ttmp7, 0xffff
	s_mov_b32 s3, 0
	v_dual_mov_b32 v113, -1 :: v_dual_lshlrev_b32 v16, 2, v96
	v_mov_b32_e32 v100, -1
	s_wait_kmcnt 0x0
	s_wait_alu 0xfffe
	s_cmp_lt_u32 s2, s1
	s_cselect_b32 s2, 14, 20
	s_cmp_lt_u32 ttmp9, s0
	s_wait_alu 0xfffe
	s_add_nc_u64 s[4:5], s[8:9], s[2:3]
	s_cselect_b32 s2, 12, 18
	s_load_u16 s4, s[4:5], 0x0
	s_add_nc_u64 s[0:1], s[8:9], s[2:3]
	s_load_u16 s0, s[0:1], 0x0
	s_wait_kmcnt 0x0
	v_mad_u32_u24 v9, v13, s4, v9
	s_delay_alu instid0(VALU_DEP_1) | instskip(SKIP_1) | instid1(VALU_DEP_1)
	v_mad_co_u64_u32 v[48:49], null, v9, s0, v[21:22]
	v_mov_b32_e32 v9, 0
	v_lshlrev_b64_e32 v[50:51], 2, v[8:9]
	s_delay_alu instid0(VALU_DEP_3) | instskip(NEXT) | instid1(VALU_DEP_2)
	v_dual_mov_b32 v14, v9 :: v_dual_lshlrev_b32 v13, 4, v48
	v_add_co_u32 v17, vcc_lo, v0, v50
	s_delay_alu instid0(VALU_DEP_2) | instskip(SKIP_1) | instid1(VALU_DEP_4)
	v_and_b32_e32 v13, 0xfffffe00, v13
	s_wait_alu 0xfffd
	v_add_co_ci_u32_e64 v18, null, v1, v51, vcc_lo
	s_delay_alu instid0(VALU_DEP_3) | instskip(NEXT) | instid1(VALU_DEP_3)
	v_add_co_u32 v16, vcc_lo, v17, v16
	v_lshlrev_b64_e32 v[0:1], 2, v[13:14]
	v_or_b32_e32 v15, v13, v96
	s_wait_alu 0xfffd
	v_add_co_ci_u32_e64 v17, null, 0, v18, vcc_lo
	s_delay_alu instid0(VALU_DEP_3) | instskip(NEXT) | instid1(VALU_DEP_3)
	v_add_co_u32 v0, s0, v16, v0
	v_cmp_lt_u32_e32 vcc_lo, v15, v135
	s_wait_alu 0xf1ff
	s_delay_alu instid0(VALU_DEP_3)
	v_add_co_ci_u32_e64 v1, null, v17, v1, s0
	s_and_saveexec_b32 s0, vcc_lo
	s_cbranch_execz .LBB502_4
; %bb.3:
	flat_load_b32 v16, v[0:1]
	s_wait_loadcnt_dscnt 0x0
	v_xor_b32_e32 v113, 0x7fffffff, v16
.LBB502_4:
	s_wait_alu 0xfffe
	s_or_b32 exec_lo, exec_lo, s0
	v_or_b32_e32 v16, 32, v15
	s_delay_alu instid0(VALU_DEP_1)
	v_cmp_lt_u32_e64 s0, v16, v135
	s_and_saveexec_b32 s1, s0
	s_cbranch_execz .LBB502_6
; %bb.5:
	flat_load_b32 v16, v[0:1] offset:128
	s_wait_loadcnt_dscnt 0x0
	v_xor_b32_e32 v100, 0x7fffffff, v16
.LBB502_6:
	s_wait_alu 0xfffe
	s_or_b32 exec_lo, exec_lo, s1
	v_or_b32_e32 v16, 64, v15
	v_mov_b32_e32 v115, -1
	v_mov_b32_e32 v117, -1
	s_delay_alu instid0(VALU_DEP_3)
	v_cmp_lt_u32_e64 s1, v16, v135
	s_and_saveexec_b32 s2, s1
	s_cbranch_execz .LBB502_8
; %bb.7:
	flat_load_b32 v16, v[0:1] offset:256
	s_wait_loadcnt_dscnt 0x0
	v_xor_b32_e32 v117, 0x7fffffff, v16
.LBB502_8:
	s_wait_alu 0xfffe
	s_or_b32 exec_lo, exec_lo, s2
	v_or_b32_e32 v16, 0x60, v15
	s_delay_alu instid0(VALU_DEP_1)
	v_cmp_lt_u32_e64 s2, v16, v135
	s_and_saveexec_b32 s3, s2
	s_cbranch_execz .LBB502_10
; %bb.9:
	flat_load_b32 v16, v[0:1] offset:384
	s_wait_loadcnt_dscnt 0x0
	v_xor_b32_e32 v115, 0x7fffffff, v16
.LBB502_10:
	s_wait_alu 0xfffe
	s_or_b32 exec_lo, exec_lo, s3
	v_or_b32_e32 v16, 0x80, v15
	v_mov_b32_e32 v119, -1
	v_mov_b32_e32 v129, -1
	s_delay_alu instid0(VALU_DEP_3)
	v_cmp_lt_u32_e64 s3, v16, v135
	s_and_saveexec_b32 s4, s3
	s_cbranch_execz .LBB502_12
; %bb.11:
	flat_load_b32 v16, v[0:1] offset:512
	s_wait_loadcnt_dscnt 0x0
	v_xor_b32_e32 v129, 0x7fffffff, v16
.LBB502_12:
	;; [unrolled: 26-line block ×4, first 2 shown]
	s_wait_alu 0xfffe
	s_or_b32 exec_lo, exec_lo, s10
	v_or_b32_e32 v16, 0x120, v15
	s_delay_alu instid0(VALU_DEP_1)
	v_cmp_lt_u32_e64 s10, v16, v135
	s_and_saveexec_b32 s11, s10
	s_cbranch_execz .LBB502_22
; %bb.21:
	flat_load_b32 v16, v[0:1] offset:1152
	s_wait_loadcnt_dscnt 0x0
	v_xor_b32_e32 v161, 0x7fffffff, v16
.LBB502_22:
	s_wait_alu 0xfffe
	s_or_b32 exec_lo, exec_lo, s11
	v_or_b32_e32 v16, 0x140, v15
	v_dual_mov_b32 v42, -1 :: v_dual_mov_b32 v43, -1
	s_delay_alu instid0(VALU_DEP_2)
	v_cmp_lt_u32_e64 s11, v16, v135
	s_and_saveexec_b32 s12, s11
	s_cbranch_execz .LBB502_24
; %bb.23:
	flat_load_b32 v16, v[0:1] offset:1280
	s_wait_loadcnt_dscnt 0x0
	v_xor_b32_e32 v43, 0x7fffffff, v16
.LBB502_24:
	s_wait_alu 0xfffe
	s_or_b32 exec_lo, exec_lo, s12
	v_or_b32_e32 v16, 0x160, v15
	s_delay_alu instid0(VALU_DEP_1)
	v_cmp_lt_u32_e64 s12, v16, v135
	s_and_saveexec_b32 s13, s12
	s_cbranch_execz .LBB502_26
; %bb.25:
	flat_load_b32 v16, v[0:1] offset:1408
	s_wait_loadcnt_dscnt 0x0
	v_xor_b32_e32 v42, 0x7fffffff, v16
.LBB502_26:
	s_wait_alu 0xfffe
	s_or_b32 exec_lo, exec_lo, s13
	v_or_b32_e32 v16, 0x180, v15
	v_dual_mov_b32 v44, -1 :: v_dual_mov_b32 v45, -1
	s_delay_alu instid0(VALU_DEP_2)
	v_cmp_lt_u32_e64 s13, v16, v135
	s_and_saveexec_b32 s14, s13
	s_cbranch_execz .LBB502_28
; %bb.27:
	flat_load_b32 v16, v[0:1] offset:1536
	s_wait_loadcnt_dscnt 0x0
	v_xor_b32_e32 v45, 0x7fffffff, v16
.LBB502_28:
	;; [unrolled: 25-line block ×3, first 2 shown]
	s_wait_alu 0xfffe
	s_or_b32 exec_lo, exec_lo, s16
	v_or_b32_e32 v15, 0x1e0, v15
	s_delay_alu instid0(VALU_DEP_1)
	v_cmp_lt_u32_e64 s16, v15, v135
	s_and_saveexec_b32 s17, s16
	s_cbranch_execz .LBB502_34
; %bb.33:
	flat_load_b32 v0, v[0:1] offset:1920
	s_wait_loadcnt_dscnt 0x0
	v_xor_b32_e32 v46, 0x7fffffff, v0
.LBB502_34:
	s_wait_alu 0xfffe
	s_or_b32 exec_lo, exec_lo, s17
	v_lshlrev_b64_e32 v[0:1], 3, v[8:9]
	v_lshlrev_b32_e32 v8, 3, v96
                                        ; implicit-def: $vgpr66_vgpr67
	s_delay_alu instid0(VALU_DEP_2) | instskip(SKIP_1) | instid1(VALU_DEP_3)
	v_add_co_u32 v9, s17, v4, v0
	s_wait_alu 0xf1ff
	v_add_co_ci_u32_e64 v15, null, v5, v1, s17
	v_lshlrev_b64_e32 v[4:5], 3, v[13:14]
	s_delay_alu instid0(VALU_DEP_3) | instskip(SKIP_1) | instid1(VALU_DEP_3)
	v_add_co_u32 v8, s17, v9, v8
	s_wait_alu 0xf1ff
	v_add_co_ci_u32_e64 v9, null, 0, v15, s17
	s_delay_alu instid0(VALU_DEP_2) | instskip(SKIP_1) | instid1(VALU_DEP_2)
	v_add_co_u32 v4, s17, v8, v4
	s_wait_alu 0xf1ff
	v_add_co_ci_u32_e64 v5, null, v9, v5, s17
	s_and_saveexec_b32 s17, vcc_lo
	s_cbranch_execnz .LBB502_196
; %bb.35:
	s_wait_alu 0xfffe
	s_or_b32 exec_lo, exec_lo, s17
                                        ; implicit-def: $vgpr64_vgpr65
	s_and_saveexec_b32 s17, s0
	s_cbranch_execnz .LBB502_197
.LBB502_36:
	s_wait_alu 0xfffe
	s_or_b32 exec_lo, exec_lo, s17
                                        ; implicit-def: $vgpr68_vgpr69
	s_and_saveexec_b32 s0, s1
	s_cbranch_execnz .LBB502_198
.LBB502_37:
	s_wait_alu 0xfffe
	s_or_b32 exec_lo, exec_lo, s0
                                        ; implicit-def: $vgpr70_vgpr71
	s_and_saveexec_b32 s0, s2
	s_cbranch_execnz .LBB502_199
.LBB502_38:
	s_wait_alu 0xfffe
	s_or_b32 exec_lo, exec_lo, s0
                                        ; implicit-def: $vgpr82_vgpr83
	s_and_saveexec_b32 s0, s3
	s_cbranch_execnz .LBB502_200
.LBB502_39:
	s_wait_alu 0xfffe
	s_or_b32 exec_lo, exec_lo, s0
                                        ; implicit-def: $vgpr80_vgpr81
	s_and_saveexec_b32 s0, s4
	s_cbranch_execnz .LBB502_201
.LBB502_40:
	s_wait_alu 0xfffe
	s_or_b32 exec_lo, exec_lo, s0
                                        ; implicit-def: $vgpr84_vgpr85
	s_and_saveexec_b32 s0, s5
	s_cbranch_execnz .LBB502_202
.LBB502_41:
	s_wait_alu 0xfffe
	s_or_b32 exec_lo, exec_lo, s0
                                        ; implicit-def: $vgpr86_vgpr87
	s_and_saveexec_b32 s0, s6
	s_cbranch_execnz .LBB502_203
.LBB502_42:
	s_wait_alu 0xfffe
	s_or_b32 exec_lo, exec_lo, s0
                                        ; implicit-def: $vgpr97_vgpr98
	s_and_saveexec_b32 s0, s7
	s_cbranch_execnz .LBB502_204
.LBB502_43:
	s_wait_alu 0xfffe
	s_or_b32 exec_lo, exec_lo, s0
                                        ; implicit-def: $vgpr102_vgpr103
	s_and_saveexec_b32 s0, s10
	s_cbranch_execnz .LBB502_205
.LBB502_44:
	s_wait_alu 0xfffe
	s_or_b32 exec_lo, exec_lo, s0
                                        ; implicit-def: $vgpr131_vgpr132
	s_and_saveexec_b32 s0, s11
	s_cbranch_execnz .LBB502_206
.LBB502_45:
	s_wait_alu 0xfffe
	s_or_b32 exec_lo, exec_lo, s0
                                        ; implicit-def: $vgpr133_vgpr134
	s_and_saveexec_b32 s0, s12
	s_cbranch_execnz .LBB502_207
.LBB502_46:
	s_wait_alu 0xfffe
	s_or_b32 exec_lo, exec_lo, s0
                                        ; implicit-def: $vgpr149_vgpr150
	s_and_saveexec_b32 s0, s13
	s_cbranch_execnz .LBB502_208
.LBB502_47:
	s_wait_alu 0xfffe
	s_or_b32 exec_lo, exec_lo, s0
                                        ; implicit-def: $vgpr165_vgpr166
	s_and_saveexec_b32 s0, s14
	s_cbranch_execnz .LBB502_209
.LBB502_48:
	s_wait_alu 0xfffe
	s_or_b32 exec_lo, exec_lo, s0
                                        ; implicit-def: $vgpr176_vgpr177
	s_and_saveexec_b32 s0, s15
	s_cbranch_execnz .LBB502_210
.LBB502_49:
	s_wait_alu 0xfffe
	s_or_b32 exec_lo, exec_lo, s0
                                        ; implicit-def: $vgpr178_vgpr179
	s_and_saveexec_b32 s0, s16
	s_cbranch_execz .LBB502_51
.LBB502_50:
	flat_load_b64 v[178:179], v[4:5] offset:3840
.LBB502_51:
	s_wait_alu 0xfffe
	s_or_b32 exec_lo, exec_lo, s0
	v_lshl_add_u32 v4, v21, 5, v12
	v_and_b32_e32 v5, 0x3e0, v21
	v_and_b32_e32 v8, 15, v96
	s_getpc_b64 s[0:1]
	s_wait_alu 0xfffe
	s_sext_i32_i16 s1, s1
	s_add_co_u32 s0, s0, _ZN7rocprim17ROCPRIM_400000_NS16block_radix_sortIiLj256ELj16ElLj1ELj1ELj8ELNS0_26block_radix_rank_algorithmE2ELNS0_18block_padding_hintE2ELNS0_4arch9wavefront6targetE0EE19radix_bits_per_passE@rel32@lo+12
	s_wait_alu 0xfffe
	s_add_co_ci_u32 s1, s1, _ZN7rocprim17ROCPRIM_400000_NS16block_radix_sortIiLj256ELj16ElLj1ELj1ELj8ELNS0_26block_radix_rank_algorithmE2ELNS0_18block_padding_hintE2ELNS0_4arch9wavefront6targetE0EE19radix_bits_per_passE@rel32@hi+24
	v_sub_co_u32 v9, s3, v96, 1
	v_add_nc_u32_e32 v49, 32, v4
	v_add_nc_u32_e32 v151, 36, v4
	;; [unrolled: 1-line block ×8, first 2 shown]
	v_min_u32_e32 v4, 0xe0, v5
	s_load_b32 s16, s[0:1], 0x0
	v_cmp_eq_u32_e32 vcc_lo, 0, v8
	v_cmp_lt_u32_e64 s0, 1, v8
	v_cmp_lt_u32_e64 s1, 3, v8
	v_or_b32_e32 v4, 31, v4
	v_cmp_lt_u32_e64 s2, 7, v8
	v_lshlrev_b32_e32 v8, 4, v21
	v_and_b32_e32 v5, 16, v96
	v_cmp_gt_i32_e64 s6, 0, v9
	v_cmp_eq_u32_e64 s5, v21, v4
	v_lshrrev_b32_e32 v193, 5, v48
	v_and_or_b32 v4, 0x3e00, v8, v96
	v_cmp_eq_u32_e64 s4, 0, v5
	v_lshrrev_b32_e32 v5, 3, v21
	s_wait_alu 0xf1ff
	v_cndmask_b32_e64 v8, v9, v96, s6
	v_and_b32_e32 v9, 7, v96
	v_lshlrev_b32_e32 v4, 2, v4
	v_cmp_gt_u32_e64 s6, 8, v21
	v_and_b32_e32 v5, 0x7c, v5
	v_lshlrev_b32_e32 v195, 2, v8
	v_lshlrev_b32_e32 v8, 2, v21
	v_add_nc_u32_e32 v196, v12, v4
	v_cmp_lt_u32_e64 s7, 31, v21
	v_cmp_eq_u32_e64 s10, 0, v21
	v_add_nc_u32_e32 v197, v12, v5
	s_delay_alu instid0(VALU_DEP_4)
	v_dual_mov_b32 v5, 0 :: v_dual_add_nc_u32 v198, v196, v4
	v_add_co_u32 v194, null, v12, v8
	v_cmp_eq_u32_e64 s11, 0, v9
	v_cmp_lt_u32_e64 s12, 1, v9
	v_cmp_lt_u32_e64 s13, 3, v9
	v_add_nc_u32_e32 v199, 0x600, v198
	v_add_nc_u32_e32 v208, 0x700, v198
	;; [unrolled: 1-line block ×10, first 2 shown]
	v_sub_nc_u32_e32 v225, v11, v10
	s_mov_b32 s17, 0
	s_wait_storecnt 0x0
	s_wait_loadcnt_dscnt 0x0
	s_barrier_signal -1
	s_barrier_wait -1
	global_inv scope:SCOPE_SE
	s_branch .LBB502_53
.LBB502_52:                             ;   in Loop: Header=BB502_53 Depth=1
	s_wait_alu 0xfffe
	s_or_b32 exec_lo, exec_lo, s15
	s_delay_alu instid0(SALU_CYCLE_1)
	s_and_b32 s14, exec_lo, s20
	s_wait_alu 0xfffe
	s_or_b32 s17, s14, s17
	s_wait_alu 0xfffe
	s_and_not1_b32 exec_lo, exec_lo, s17
	s_cbranch_execz .LBB502_93
.LBB502_53:                             ; =>This Inner Loop Header: Depth=1
	s_wait_kmcnt 0x0
	v_min_u32_e32 v4, s16, v225
	v_mov_b32_e32 v226, v113
	v_mov_b32_e32 v54, v80
	v_dual_mov_b32 v28, v68 :: v_dual_mov_b32 v29, v69
	s_delay_alu instid0(VALU_DEP_4) | instskip(SKIP_3) | instid1(VALU_DEP_4)
	v_lshlrev_b32_e64 v4, v4, -1
	v_dual_mov_b32 v55, v81 :: v_dual_mov_b32 v30, v64
	v_dual_mov_b32 v31, v65 :: v_dual_mov_b32 v8, v66
	v_mov_b32_e32 v9, v67
	v_not_b32_e32 v68, v4
	v_lshrrev_b32_e32 v4, v10, v226
	v_mov_b32_e32 v34, v84
	v_dual_mov_b32 v32, v86 :: v_dual_mov_b32 v19, v165
	v_mov_b32_e32 v52, v97
	s_delay_alu instid0(VALU_DEP_4) | instskip(SKIP_2) | instid1(VALU_DEP_3)
	v_and_b32_e32 v4, v4, v68
	v_mov_b32_e32 v230, v129
	v_dual_mov_b32 v240, v119 :: v_dual_mov_b32 v231, v147
	v_dual_mov_b32 v243, v161 :: v_dual_lshlrev_b32 v66, 30, v4
	v_and_b32_e32 v64, 1, v4
	v_lshlrev_b32_e32 v67, 29, v4
	v_dual_mov_b32 v242, v163 :: v_dual_lshlrev_b32 v69, 28, v4
	v_mov_b32_e32 v244, v43
	s_delay_alu instid0(VALU_DEP_4)
	v_add_co_u32 v64, s14, v64, -1
	s_wait_alu 0xf1ff
	v_cndmask_b32_e64 v65, 0, 1, s14
	v_mov_b32_e32 v246, v45
	v_mov_b32_e32 v38, v102
	v_dual_mov_b32 v36, v131 :: v_dual_mov_b32 v13, v133
	s_delay_alu instid0(VALU_DEP_4)
	v_cmp_ne_u32_e64 s14, 0, v65
	v_not_b32_e32 v65, v66
	v_dual_mov_b32 v22, v149 :: v_dual_mov_b32 v17, v176
	v_dual_mov_b32 v20, v166 :: v_dual_mov_b32 v15, v178
	s_wait_alu 0xf1ff
	v_xor_b32_e32 v64, s14, v64
	v_cmp_gt_i32_e64 s14, 0, v66
	v_ashrrev_i32_e32 v65, 31, v65
	v_not_b32_e32 v66, v67
	s_delay_alu instid0(VALU_DEP_4)
	v_dual_mov_b32 v245, v42 :: v_dual_and_b32 v64, exec_lo, v64
	v_mov_b32_e32 v41, v46
	s_wait_alu 0xf1ff
	v_xor_b32_e32 v65, s14, v65
	v_cmp_gt_i32_e64 s14, 0, v67
	v_ashrrev_i32_e32 v66, 31, v66
	v_not_b32_e32 v67, v69
	v_mov_b32_e32 v247, v44
	v_and_b32_e32 v64, v64, v65
	v_lshlrev_b32_e32 v65, 27, v4
	s_wait_alu 0xf1ff
	v_xor_b32_e32 v66, s14, v66
	v_cmp_gt_i32_e64 s14, 0, v69
	v_ashrrev_i32_e32 v67, 31, v67
	v_dual_mov_b32 v26, v70 :: v_dual_mov_b32 v27, v71
	v_not_b32_e32 v69, v65
	v_and_b32_e32 v64, v64, v66
	v_lshlrev_b32_e32 v66, 26, v4
	s_wait_alu 0xf1ff
	v_xor_b32_e32 v67, s14, v67
	v_cmp_gt_i32_e64 s14, 0, v65
	v_ashrrev_i32_e32 v65, 31, v69
	v_dual_mov_b32 v24, v82 :: v_dual_mov_b32 v25, v83
	v_not_b32_e32 v69, v66
	v_and_b32_e32 v64, v64, v67
	v_lshlrev_b32_e32 v67, 25, v4
	s_wait_alu 0xf1ff
	v_xor_b32_e32 v65, s14, v65
	v_cmp_gt_i32_e64 s14, 0, v66
	v_ashrrev_i32_e32 v66, 31, v69
	v_mov_b32_e32 v35, v85
	v_not_b32_e32 v69, v67
	v_and_b32_e32 v64, v64, v65
	v_lshlrev_b32_e32 v65, 24, v4
	s_wait_alu 0xf1ff
	v_xor_b32_e32 v66, s14, v66
	v_cmp_gt_i32_e64 s14, 0, v67
	v_ashrrev_i32_e32 v67, 31, v69
	v_lshl_add_u32 v4, v4, 3, v193
	v_not_b32_e32 v69, v65
	v_dual_mov_b32 v33, v87 :: v_dual_and_b32 v64, v64, v66
	s_wait_alu 0xf1ff
	v_xor_b32_e32 v66, s14, v67
	v_cmp_gt_i32_e64 s14, 0, v65
	v_ashrrev_i32_e32 v65, 31, v69
	v_mov_b32_e32 v53, v98
	s_delay_alu instid0(VALU_DEP_4)
	v_dual_mov_b32 v39, v103 :: v_dual_and_b32 v64, v64, v66
	v_lshlrev_b64_e32 v[66:67], 2, v[4:5]
	s_wait_alu 0xf1ff
	v_xor_b32_e32 v65, s14, v65
	v_dual_mov_b32 v40, v47 :: v_dual_mov_b32 v37, v132
	v_dual_mov_b32 v14, v134 :: v_dual_mov_b32 v23, v150
	s_delay_alu instid0(VALU_DEP_3) | instskip(SKIP_2) | instid1(VALU_DEP_3)
	v_and_b32_e32 v65, v64, v65
	v_add_co_u32 v64, null, v12, v66
	v_dual_mov_b32 v18, v177 :: v_dual_mov_b32 v229, v100
	v_mbcnt_lo_u32_b32 v4, v65, 0
	v_cmp_ne_u32_e64 s15, 0, v65
	v_dual_mov_b32 v16, v179 :: v_dual_mov_b32 v227, v115
	v_dual_mov_b32 v228, v117 :: v_dual_mov_b32 v241, v145
	s_delay_alu instid0(VALU_DEP_4)
	v_cmp_eq_u32_e64 s14, 0, v4
	v_add_co_u32 v64, null, v64, 32
	ds_store_b32 v49, v5
	ds_store_b32 v151, v5
	;; [unrolled: 1-line block ×4, first 2 shown]
	s_and_b32 s15, s15, s14
	ds_store_b32 v181, v5
	ds_store_b32 v182, v5
	;; [unrolled: 1-line block ×4, first 2 shown]
	s_wait_loadcnt_dscnt 0x0
	s_barrier_signal -1
	s_barrier_wait -1
	global_inv scope:SCOPE_SE
	; wave barrier
	s_wait_alu 0xfffe
	s_and_saveexec_b32 s14, s15
; %bb.54:                               ;   in Loop: Header=BB502_53 Depth=1
	v_bcnt_u32_b32 v65, v65, 0
	ds_store_b32 v64, v65
; %bb.55:                               ;   in Loop: Header=BB502_53 Depth=1
	s_wait_alu 0xfffe
	s_or_b32 exec_lo, exec_lo, s14
	v_lshrrev_b32_e32 v65, v10, v229
	; wave barrier
	s_delay_alu instid0(VALU_DEP_1) | instskip(NEXT) | instid1(VALU_DEP_1)
	v_and_b32_e32 v65, v65, v68
	v_and_b32_e32 v66, 1, v65
	v_lshlrev_b32_e32 v67, 30, v65
	v_lshlrev_b32_e32 v69, 29, v65
	;; [unrolled: 1-line block ×4, first 2 shown]
	v_add_co_u32 v66, s14, v66, -1
	s_wait_alu 0xf1ff
	v_cndmask_b32_e64 v71, 0, 1, s14
	v_not_b32_e32 v83, v67
	v_cmp_gt_i32_e64 s15, 0, v67
	v_not_b32_e32 v67, v69
	v_lshlrev_b32_e32 v81, 26, v65
	v_cmp_ne_u32_e64 s14, 0, v71
	v_ashrrev_i32_e32 v83, 31, v83
	v_lshlrev_b32_e32 v82, 25, v65
	v_ashrrev_i32_e32 v67, 31, v67
	v_lshlrev_b32_e32 v71, 24, v65
	s_wait_alu 0xf1ff
	v_xor_b32_e32 v66, s14, v66
	v_cmp_gt_i32_e64 s14, 0, v69
	v_not_b32_e32 v69, v70
	v_xor_b32_e32 v83, s15, v83
	v_cmp_gt_i32_e64 s15, 0, v70
	v_and_b32_e32 v66, exec_lo, v66
	v_not_b32_e32 v70, v80
	v_ashrrev_i32_e32 v69, 31, v69
	s_wait_alu 0xf1ff
	v_xor_b32_e32 v67, s14, v67
	v_cmp_gt_i32_e64 s14, 0, v80
	v_and_b32_e32 v66, v66, v83
	v_not_b32_e32 v80, v81
	v_ashrrev_i32_e32 v70, 31, v70
	v_xor_b32_e32 v69, s15, v69
	v_cmp_gt_i32_e64 s15, 0, v81
	v_and_b32_e32 v66, v66, v67
	v_not_b32_e32 v67, v82
	v_ashrrev_i32_e32 v80, 31, v80
	s_wait_alu 0xf1ff
	v_xor_b32_e32 v70, s14, v70
	v_cmp_gt_i32_e64 s14, 0, v82
	v_and_b32_e32 v66, v66, v69
	v_not_b32_e32 v69, v71
	v_ashrrev_i32_e32 v67, 31, v67
	v_xor_b32_e32 v80, s15, v80
	v_lshl_add_u32 v65, v65, 3, v193
	v_and_b32_e32 v66, v66, v70
	v_cmp_gt_i32_e64 s15, 0, v71
	v_ashrrev_i32_e32 v69, 31, v69
	s_wait_alu 0xf1ff
	v_xor_b32_e32 v67, s14, v67
	v_lshl_add_u32 v70, v65, 2, v12
	v_and_b32_e32 v66, v66, v80
	v_xor_b32_e32 v69, s15, v69
	ds_load_b32 v65, v70 offset:32
	v_and_b32_e32 v66, v66, v67
	v_add_nc_u32_e32 v67, 32, v70
	; wave barrier
	s_delay_alu instid0(VALU_DEP_2) | instskip(NEXT) | instid1(VALU_DEP_1)
	v_and_b32_e32 v69, v66, v69
	v_mbcnt_lo_u32_b32 v66, v69, 0
	v_cmp_ne_u32_e64 s15, 0, v69
	s_delay_alu instid0(VALU_DEP_2)
	v_cmp_eq_u32_e64 s14, 0, v66
	s_and_b32 s15, s15, s14
	s_wait_alu 0xfffe
	s_and_saveexec_b32 s14, s15
	s_cbranch_execz .LBB502_57
; %bb.56:                               ;   in Loop: Header=BB502_53 Depth=1
	s_wait_dscnt 0x0
	v_bcnt_u32_b32 v69, v69, v65
	ds_store_b32 v67, v69
.LBB502_57:                             ;   in Loop: Header=BB502_53 Depth=1
	s_wait_alu 0xfffe
	s_or_b32 exec_lo, exec_lo, s14
	v_lshrrev_b32_e32 v69, v10, v228
	; wave barrier
	s_delay_alu instid0(VALU_DEP_1) | instskip(NEXT) | instid1(VALU_DEP_1)
	v_and_b32_e32 v69, v69, v68
	v_and_b32_e32 v70, 1, v69
	v_lshlrev_b32_e32 v71, 30, v69
	v_lshlrev_b32_e32 v80, 29, v69
	;; [unrolled: 1-line block ×4, first 2 shown]
	v_add_co_u32 v70, s14, v70, -1
	s_wait_alu 0xf1ff
	v_cndmask_b32_e64 v82, 0, 1, s14
	v_not_b32_e32 v86, v71
	v_cmp_gt_i32_e64 s15, 0, v71
	v_not_b32_e32 v71, v80
	v_lshlrev_b32_e32 v84, 26, v69
	v_cmp_ne_u32_e64 s14, 0, v82
	v_ashrrev_i32_e32 v86, 31, v86
	v_lshlrev_b32_e32 v85, 25, v69
	v_ashrrev_i32_e32 v71, 31, v71
	v_lshlrev_b32_e32 v82, 24, v69
	s_wait_alu 0xf1ff
	v_xor_b32_e32 v70, s14, v70
	v_cmp_gt_i32_e64 s14, 0, v80
	v_not_b32_e32 v80, v81
	v_xor_b32_e32 v86, s15, v86
	v_cmp_gt_i32_e64 s15, 0, v81
	v_and_b32_e32 v70, exec_lo, v70
	v_not_b32_e32 v81, v83
	v_ashrrev_i32_e32 v80, 31, v80
	s_wait_alu 0xf1ff
	v_xor_b32_e32 v71, s14, v71
	v_cmp_gt_i32_e64 s14, 0, v83
	v_and_b32_e32 v70, v70, v86
	v_not_b32_e32 v83, v84
	v_ashrrev_i32_e32 v81, 31, v81
	v_xor_b32_e32 v80, s15, v80
	v_cmp_gt_i32_e64 s15, 0, v84
	v_and_b32_e32 v70, v70, v71
	v_not_b32_e32 v71, v85
	v_ashrrev_i32_e32 v83, 31, v83
	s_wait_alu 0xf1ff
	v_xor_b32_e32 v81, s14, v81
	v_cmp_gt_i32_e64 s14, 0, v85
	v_and_b32_e32 v70, v70, v80
	v_not_b32_e32 v80, v82
	v_ashrrev_i32_e32 v71, 31, v71
	v_xor_b32_e32 v83, s15, v83
	v_lshl_add_u32 v69, v69, 3, v193
	v_and_b32_e32 v70, v70, v81
	v_cmp_gt_i32_e64 s15, 0, v82
	v_ashrrev_i32_e32 v80, 31, v80
	s_wait_alu 0xf1ff
	v_xor_b32_e32 v71, s14, v71
	v_lshl_add_u32 v81, v69, 2, v12
	v_and_b32_e32 v70, v70, v83
	v_xor_b32_e32 v80, s15, v80
	ds_load_b32 v69, v81 offset:32
	v_and_b32_e32 v70, v70, v71
	v_add_nc_u32_e32 v71, 32, v81
	; wave barrier
	s_delay_alu instid0(VALU_DEP_2) | instskip(NEXT) | instid1(VALU_DEP_1)
	v_and_b32_e32 v80, v70, v80
	v_mbcnt_lo_u32_b32 v70, v80, 0
	v_cmp_ne_u32_e64 s15, 0, v80
	s_delay_alu instid0(VALU_DEP_2)
	v_cmp_eq_u32_e64 s14, 0, v70
	s_and_b32 s15, s15, s14
	s_wait_alu 0xfffe
	s_and_saveexec_b32 s14, s15
	s_cbranch_execz .LBB502_59
; %bb.58:                               ;   in Loop: Header=BB502_53 Depth=1
	s_wait_dscnt 0x0
	v_bcnt_u32_b32 v80, v80, v69
	ds_store_b32 v71, v80
.LBB502_59:                             ;   in Loop: Header=BB502_53 Depth=1
	s_wait_alu 0xfffe
	s_or_b32 exec_lo, exec_lo, s14
	v_lshrrev_b32_e32 v80, v10, v227
	; wave barrier
	s_delay_alu instid0(VALU_DEP_1) | instskip(NEXT) | instid1(VALU_DEP_1)
	v_and_b32_e32 v80, v80, v68
	v_and_b32_e32 v81, 1, v80
	v_lshlrev_b32_e32 v82, 30, v80
	v_lshlrev_b32_e32 v83, 29, v80
	;; [unrolled: 1-line block ×4, first 2 shown]
	v_add_co_u32 v81, s14, v81, -1
	s_wait_alu 0xf1ff
	v_cndmask_b32_e64 v85, 0, 1, s14
	v_not_b32_e32 v97, v82
	v_cmp_gt_i32_e64 s15, 0, v82
	v_not_b32_e32 v82, v83
	v_lshlrev_b32_e32 v87, 26, v80
	v_cmp_ne_u32_e64 s14, 0, v85
	v_ashrrev_i32_e32 v97, 31, v97
	v_lshlrev_b32_e32 v96, 25, v80
	v_ashrrev_i32_e32 v82, 31, v82
	v_lshlrev_b32_e32 v85, 24, v80
	s_wait_alu 0xf1ff
	v_xor_b32_e32 v81, s14, v81
	v_cmp_gt_i32_e64 s14, 0, v83
	v_not_b32_e32 v83, v84
	v_xor_b32_e32 v97, s15, v97
	v_cmp_gt_i32_e64 s15, 0, v84
	v_and_b32_e32 v81, exec_lo, v81
	v_not_b32_e32 v84, v86
	v_ashrrev_i32_e32 v83, 31, v83
	s_wait_alu 0xf1ff
	v_xor_b32_e32 v82, s14, v82
	v_cmp_gt_i32_e64 s14, 0, v86
	v_and_b32_e32 v81, v81, v97
	v_not_b32_e32 v86, v87
	v_ashrrev_i32_e32 v84, 31, v84
	v_xor_b32_e32 v83, s15, v83
	v_cmp_gt_i32_e64 s15, 0, v87
	v_and_b32_e32 v81, v81, v82
	v_not_b32_e32 v82, v96
	v_ashrrev_i32_e32 v86, 31, v86
	s_wait_alu 0xf1ff
	v_xor_b32_e32 v84, s14, v84
	v_cmp_gt_i32_e64 s14, 0, v96
	v_and_b32_e32 v81, v81, v83
	v_not_b32_e32 v83, v85
	v_ashrrev_i32_e32 v82, 31, v82
	v_xor_b32_e32 v86, s15, v86
	v_lshl_add_u32 v80, v80, 3, v193
	v_and_b32_e32 v81, v81, v84
	v_cmp_gt_i32_e64 s15, 0, v85
	v_ashrrev_i32_e32 v83, 31, v83
	s_wait_alu 0xf1ff
	v_xor_b32_e32 v82, s14, v82
	v_lshl_add_u32 v84, v80, 2, v12
	v_and_b32_e32 v81, v81, v86
	v_xor_b32_e32 v83, s15, v83
	ds_load_b32 v80, v84 offset:32
	v_and_b32_e32 v81, v81, v82
	v_add_nc_u32_e32 v82, 32, v84
	; wave barrier
	s_delay_alu instid0(VALU_DEP_2) | instskip(NEXT) | instid1(VALU_DEP_1)
	v_and_b32_e32 v83, v81, v83
	v_mbcnt_lo_u32_b32 v81, v83, 0
	v_cmp_ne_u32_e64 s15, 0, v83
	s_delay_alu instid0(VALU_DEP_2)
	v_cmp_eq_u32_e64 s14, 0, v81
	s_and_b32 s15, s15, s14
	s_wait_alu 0xfffe
	s_and_saveexec_b32 s14, s15
	s_cbranch_execz .LBB502_61
; %bb.60:                               ;   in Loop: Header=BB502_53 Depth=1
	s_wait_dscnt 0x0
	v_bcnt_u32_b32 v83, v83, v80
	ds_store_b32 v82, v83
.LBB502_61:                             ;   in Loop: Header=BB502_53 Depth=1
	s_wait_alu 0xfffe
	s_or_b32 exec_lo, exec_lo, s14
	v_lshrrev_b32_e32 v83, v10, v230
	; wave barrier
	s_delay_alu instid0(VALU_DEP_1) | instskip(NEXT) | instid1(VALU_DEP_1)
	v_and_b32_e32 v83, v83, v68
	v_and_b32_e32 v84, 1, v83
	v_lshlrev_b32_e32 v85, 30, v83
	v_lshlrev_b32_e32 v86, 29, v83
	;; [unrolled: 1-line block ×4, first 2 shown]
	v_add_co_u32 v84, s14, v84, -1
	s_wait_alu 0xf1ff
	v_cndmask_b32_e64 v96, 0, 1, s14
	v_not_b32_e32 v100, v85
	v_cmp_gt_i32_e64 s15, 0, v85
	v_not_b32_e32 v85, v86
	v_lshlrev_b32_e32 v98, 26, v83
	v_cmp_ne_u32_e64 s14, 0, v96
	v_ashrrev_i32_e32 v100, 31, v100
	v_lshlrev_b32_e32 v99, 25, v83
	v_ashrrev_i32_e32 v85, 31, v85
	v_lshlrev_b32_e32 v96, 24, v83
	s_wait_alu 0xf1ff
	v_xor_b32_e32 v84, s14, v84
	v_cmp_gt_i32_e64 s14, 0, v86
	v_not_b32_e32 v86, v87
	v_xor_b32_e32 v100, s15, v100
	v_cmp_gt_i32_e64 s15, 0, v87
	v_and_b32_e32 v84, exec_lo, v84
	v_not_b32_e32 v87, v97
	v_ashrrev_i32_e32 v86, 31, v86
	s_wait_alu 0xf1ff
	v_xor_b32_e32 v85, s14, v85
	v_cmp_gt_i32_e64 s14, 0, v97
	v_and_b32_e32 v84, v84, v100
	v_not_b32_e32 v97, v98
	v_ashrrev_i32_e32 v87, 31, v87
	v_xor_b32_e32 v86, s15, v86
	v_cmp_gt_i32_e64 s15, 0, v98
	v_and_b32_e32 v84, v84, v85
	v_not_b32_e32 v85, v99
	v_ashrrev_i32_e32 v97, 31, v97
	s_wait_alu 0xf1ff
	v_xor_b32_e32 v87, s14, v87
	v_cmp_gt_i32_e64 s14, 0, v99
	v_and_b32_e32 v84, v84, v86
	v_not_b32_e32 v86, v96
	v_ashrrev_i32_e32 v85, 31, v85
	v_xor_b32_e32 v97, s15, v97
	v_lshl_add_u32 v83, v83, 3, v193
	v_and_b32_e32 v84, v84, v87
	v_cmp_gt_i32_e64 s15, 0, v96
	v_ashrrev_i32_e32 v86, 31, v86
	s_wait_alu 0xf1ff
	v_xor_b32_e32 v85, s14, v85
	v_lshl_add_u32 v87, v83, 2, v12
	v_and_b32_e32 v84, v84, v97
	v_xor_b32_e32 v86, s15, v86
	ds_load_b32 v83, v87 offset:32
	v_and_b32_e32 v84, v84, v85
	v_add_nc_u32_e32 v85, 32, v87
	; wave barrier
	s_delay_alu instid0(VALU_DEP_2) | instskip(NEXT) | instid1(VALU_DEP_1)
	v_and_b32_e32 v86, v84, v86
	v_mbcnt_lo_u32_b32 v84, v86, 0
	v_cmp_ne_u32_e64 s15, 0, v86
	s_delay_alu instid0(VALU_DEP_2)
	v_cmp_eq_u32_e64 s14, 0, v84
	s_and_b32 s15, s15, s14
	s_wait_alu 0xfffe
	s_and_saveexec_b32 s14, s15
	s_cbranch_execz .LBB502_63
; %bb.62:                               ;   in Loop: Header=BB502_53 Depth=1
	s_wait_dscnt 0x0
	v_bcnt_u32_b32 v86, v86, v83
	ds_store_b32 v85, v86
.LBB502_63:                             ;   in Loop: Header=BB502_53 Depth=1
	s_wait_alu 0xfffe
	s_or_b32 exec_lo, exec_lo, s14
	v_lshrrev_b32_e32 v86, v10, v240
	; wave barrier
	s_delay_alu instid0(VALU_DEP_1) | instskip(NEXT) | instid1(VALU_DEP_1)
	v_and_b32_e32 v86, v86, v68
	v_and_b32_e32 v87, 1, v86
	v_lshlrev_b32_e32 v96, 30, v86
	v_lshlrev_b32_e32 v97, 29, v86
	;; [unrolled: 1-line block ×4, first 2 shown]
	v_add_co_u32 v87, s14, v87, -1
	s_wait_alu 0xf1ff
	v_cndmask_b32_e64 v99, 0, 1, s14
	v_not_b32_e32 v103, v96
	v_cmp_gt_i32_e64 s15, 0, v96
	v_not_b32_e32 v96, v97
	v_lshlrev_b32_e32 v101, 26, v86
	v_cmp_ne_u32_e64 s14, 0, v99
	v_ashrrev_i32_e32 v103, 31, v103
	v_lshlrev_b32_e32 v102, 25, v86
	v_ashrrev_i32_e32 v96, 31, v96
	v_lshlrev_b32_e32 v99, 24, v86
	s_wait_alu 0xf1ff
	v_xor_b32_e32 v87, s14, v87
	v_cmp_gt_i32_e64 s14, 0, v97
	v_not_b32_e32 v97, v98
	v_xor_b32_e32 v103, s15, v103
	v_cmp_gt_i32_e64 s15, 0, v98
	v_and_b32_e32 v87, exec_lo, v87
	v_not_b32_e32 v98, v100
	v_ashrrev_i32_e32 v97, 31, v97
	s_wait_alu 0xf1ff
	v_xor_b32_e32 v96, s14, v96
	v_cmp_gt_i32_e64 s14, 0, v100
	v_and_b32_e32 v87, v87, v103
	v_not_b32_e32 v100, v101
	v_ashrrev_i32_e32 v98, 31, v98
	v_xor_b32_e32 v97, s15, v97
	v_cmp_gt_i32_e64 s15, 0, v101
	v_and_b32_e32 v87, v87, v96
	v_not_b32_e32 v96, v102
	v_ashrrev_i32_e32 v100, 31, v100
	s_wait_alu 0xf1ff
	v_xor_b32_e32 v98, s14, v98
	v_cmp_gt_i32_e64 s14, 0, v102
	v_and_b32_e32 v87, v87, v97
	v_not_b32_e32 v97, v99
	v_ashrrev_i32_e32 v96, 31, v96
	v_xor_b32_e32 v100, s15, v100
	v_lshl_add_u32 v86, v86, 3, v193
	v_and_b32_e32 v87, v87, v98
	v_cmp_gt_i32_e64 s15, 0, v99
	v_ashrrev_i32_e32 v97, 31, v97
	s_wait_alu 0xf1ff
	v_xor_b32_e32 v96, s14, v96
	v_lshl_add_u32 v98, v86, 2, v12
	v_and_b32_e32 v87, v87, v100
	v_xor_b32_e32 v97, s15, v97
	ds_load_b32 v86, v98 offset:32
	v_and_b32_e32 v87, v87, v96
	v_add_nc_u32_e32 v96, 32, v98
	; wave barrier
	s_delay_alu instid0(VALU_DEP_2) | instskip(NEXT) | instid1(VALU_DEP_1)
	v_and_b32_e32 v97, v87, v97
	v_mbcnt_lo_u32_b32 v87, v97, 0
	v_cmp_ne_u32_e64 s15, 0, v97
	s_delay_alu instid0(VALU_DEP_2)
	v_cmp_eq_u32_e64 s14, 0, v87
	s_and_b32 s15, s15, s14
	s_wait_alu 0xfffe
	s_and_saveexec_b32 s14, s15
	s_cbranch_execz .LBB502_65
; %bb.64:                               ;   in Loop: Header=BB502_53 Depth=1
	s_wait_dscnt 0x0
	v_bcnt_u32_b32 v97, v97, v86
	ds_store_b32 v96, v97
.LBB502_65:                             ;   in Loop: Header=BB502_53 Depth=1
	s_wait_alu 0xfffe
	s_or_b32 exec_lo, exec_lo, s14
	v_lshrrev_b32_e32 v97, v10, v231
	; wave barrier
	s_delay_alu instid0(VALU_DEP_1) | instskip(NEXT) | instid1(VALU_DEP_1)
	v_and_b32_e32 v97, v97, v68
	v_and_b32_e32 v98, 1, v97
	v_lshlrev_b32_e32 v99, 30, v97
	v_lshlrev_b32_e32 v100, 29, v97
	;; [unrolled: 1-line block ×4, first 2 shown]
	v_add_co_u32 v98, s14, v98, -1
	s_wait_alu 0xf1ff
	v_cndmask_b32_e64 v102, 0, 1, s14
	v_not_b32_e32 v114, v99
	v_cmp_gt_i32_e64 s15, 0, v99
	v_not_b32_e32 v99, v100
	v_lshlrev_b32_e32 v112, 26, v97
	v_cmp_ne_u32_e64 s14, 0, v102
	v_ashrrev_i32_e32 v114, 31, v114
	v_lshlrev_b32_e32 v113, 25, v97
	v_ashrrev_i32_e32 v99, 31, v99
	v_lshlrev_b32_e32 v102, 24, v97
	s_wait_alu 0xf1ff
	v_xor_b32_e32 v98, s14, v98
	v_cmp_gt_i32_e64 s14, 0, v100
	v_not_b32_e32 v100, v101
	v_xor_b32_e32 v114, s15, v114
	v_cmp_gt_i32_e64 s15, 0, v101
	v_and_b32_e32 v98, exec_lo, v98
	v_not_b32_e32 v101, v103
	v_ashrrev_i32_e32 v100, 31, v100
	s_wait_alu 0xf1ff
	v_xor_b32_e32 v99, s14, v99
	v_cmp_gt_i32_e64 s14, 0, v103
	v_and_b32_e32 v98, v98, v114
	v_not_b32_e32 v103, v112
	v_ashrrev_i32_e32 v101, 31, v101
	v_xor_b32_e32 v100, s15, v100
	v_cmp_gt_i32_e64 s15, 0, v112
	v_and_b32_e32 v98, v98, v99
	v_not_b32_e32 v99, v113
	v_ashrrev_i32_e32 v103, 31, v103
	s_wait_alu 0xf1ff
	v_xor_b32_e32 v101, s14, v101
	v_cmp_gt_i32_e64 s14, 0, v113
	v_and_b32_e32 v98, v98, v100
	v_not_b32_e32 v100, v102
	v_ashrrev_i32_e32 v99, 31, v99
	v_xor_b32_e32 v103, s15, v103
	v_lshl_add_u32 v97, v97, 3, v193
	v_and_b32_e32 v98, v98, v101
	v_cmp_gt_i32_e64 s15, 0, v102
	v_ashrrev_i32_e32 v100, 31, v100
	s_wait_alu 0xf1ff
	v_xor_b32_e32 v99, s14, v99
	v_lshl_add_u32 v101, v97, 2, v12
	v_and_b32_e32 v98, v98, v103
	v_xor_b32_e32 v97, s15, v100
	s_delay_alu instid0(VALU_DEP_2) | instskip(SKIP_3) | instid1(VALU_DEP_2)
	v_and_b32_e32 v99, v98, v99
	ds_load_b32 v98, v101 offset:32
	; wave barrier
	v_and_b32_e32 v97, v99, v97
	v_add_nc_u32_e32 v99, 32, v101
	v_mbcnt_lo_u32_b32 v103, v97, 0
	v_cmp_ne_u32_e64 s15, 0, v97
	s_delay_alu instid0(VALU_DEP_2)
	v_cmp_eq_u32_e64 s14, 0, v103
	s_and_b32 s15, s15, s14
	s_wait_alu 0xfffe
	s_and_saveexec_b32 s14, s15
	s_cbranch_execz .LBB502_67
; %bb.66:                               ;   in Loop: Header=BB502_53 Depth=1
	s_wait_dscnt 0x0
	v_bcnt_u32_b32 v97, v97, v98
	ds_store_b32 v99, v97
.LBB502_67:                             ;   in Loop: Header=BB502_53 Depth=1
	s_wait_alu 0xfffe
	s_or_b32 exec_lo, exec_lo, s14
	v_lshrrev_b32_e32 v97, v10, v241
	; wave barrier
	s_delay_alu instid0(VALU_DEP_1) | instskip(NEXT) | instid1(VALU_DEP_1)
	v_and_b32_e32 v97, v97, v68
	v_and_b32_e32 v100, 1, v97
	v_lshlrev_b32_e32 v101, 30, v97
	v_lshlrev_b32_e32 v102, 29, v97
	v_lshlrev_b32_e32 v112, 28, v97
	v_lshlrev_b32_e32 v114, 27, v97
	v_add_co_u32 v100, s14, v100, -1
	s_wait_alu 0xf1ff
	v_cndmask_b32_e64 v113, 0, 1, s14
	v_not_b32_e32 v117, v101
	v_cmp_gt_i32_e64 s15, 0, v101
	v_not_b32_e32 v101, v102
	v_lshlrev_b32_e32 v115, 26, v97
	v_cmp_ne_u32_e64 s14, 0, v113
	v_ashrrev_i32_e32 v117, 31, v117
	v_lshlrev_b32_e32 v116, 25, v97
	v_ashrrev_i32_e32 v101, 31, v101
	v_lshlrev_b32_e32 v113, 24, v97
	s_wait_alu 0xf1ff
	v_xor_b32_e32 v100, s14, v100
	v_cmp_gt_i32_e64 s14, 0, v102
	v_not_b32_e32 v102, v112
	v_xor_b32_e32 v117, s15, v117
	v_cmp_gt_i32_e64 s15, 0, v112
	v_and_b32_e32 v100, exec_lo, v100
	v_not_b32_e32 v112, v114
	v_ashrrev_i32_e32 v102, 31, v102
	s_wait_alu 0xf1ff
	v_xor_b32_e32 v101, s14, v101
	v_cmp_gt_i32_e64 s14, 0, v114
	v_and_b32_e32 v100, v100, v117
	v_not_b32_e32 v114, v115
	v_ashrrev_i32_e32 v112, 31, v112
	v_xor_b32_e32 v102, s15, v102
	v_cmp_gt_i32_e64 s15, 0, v115
	v_and_b32_e32 v100, v100, v101
	v_not_b32_e32 v101, v116
	v_ashrrev_i32_e32 v114, 31, v114
	s_wait_alu 0xf1ff
	v_xor_b32_e32 v112, s14, v112
	v_cmp_gt_i32_e64 s14, 0, v116
	v_and_b32_e32 v100, v100, v102
	v_not_b32_e32 v102, v113
	v_ashrrev_i32_e32 v101, 31, v101
	v_xor_b32_e32 v114, s15, v114
	v_lshl_add_u32 v97, v97, 3, v193
	v_and_b32_e32 v100, v100, v112
	v_cmp_gt_i32_e64 s15, 0, v113
	v_ashrrev_i32_e32 v102, 31, v102
	s_wait_alu 0xf1ff
	v_xor_b32_e32 v101, s14, v101
	v_lshl_add_u32 v112, v97, 2, v12
	v_and_b32_e32 v100, v100, v114
	v_xor_b32_e32 v97, s15, v102
	ds_load_b32 v116, v112 offset:32
	v_and_b32_e32 v100, v100, v101
	v_add_nc_u32_e32 v101, 32, v112
	; wave barrier
	s_delay_alu instid0(VALU_DEP_2) | instskip(NEXT) | instid1(VALU_DEP_1)
	v_and_b32_e32 v97, v100, v97
	v_mbcnt_lo_u32_b32 v128, v97, 0
	v_cmp_ne_u32_e64 s15, 0, v97
	s_delay_alu instid0(VALU_DEP_2)
	v_cmp_eq_u32_e64 s14, 0, v128
	s_and_b32 s15, s15, s14
	s_wait_alu 0xfffe
	s_and_saveexec_b32 s14, s15
	s_cbranch_execz .LBB502_69
; %bb.68:                               ;   in Loop: Header=BB502_53 Depth=1
	s_wait_dscnt 0x0
	v_bcnt_u32_b32 v97, v97, v116
	ds_store_b32 v101, v97
.LBB502_69:                             ;   in Loop: Header=BB502_53 Depth=1
	s_wait_alu 0xfffe
	s_or_b32 exec_lo, exec_lo, s14
	v_lshrrev_b32_e32 v97, v10, v242
	; wave barrier
	s_delay_alu instid0(VALU_DEP_1) | instskip(NEXT) | instid1(VALU_DEP_1)
	v_and_b32_e32 v97, v97, v68
	v_and_b32_e32 v100, 1, v97
	v_lshlrev_b32_e32 v102, 30, v97
	v_lshlrev_b32_e32 v112, 29, v97
	;; [unrolled: 1-line block ×4, first 2 shown]
	v_add_co_u32 v100, s14, v100, -1
	s_wait_alu 0xf1ff
	v_cndmask_b32_e64 v114, 0, 1, s14
	v_not_b32_e32 v119, v102
	v_cmp_gt_i32_e64 s15, 0, v102
	v_not_b32_e32 v102, v112
	v_lshlrev_b32_e32 v117, 26, v97
	v_cmp_ne_u32_e64 s14, 0, v114
	v_ashrrev_i32_e32 v119, 31, v119
	v_lshlrev_b32_e32 v118, 25, v97
	v_ashrrev_i32_e32 v102, 31, v102
	v_lshlrev_b32_e32 v114, 24, v97
	s_wait_alu 0xf1ff
	v_xor_b32_e32 v100, s14, v100
	v_cmp_gt_i32_e64 s14, 0, v112
	v_not_b32_e32 v112, v113
	v_xor_b32_e32 v119, s15, v119
	v_cmp_gt_i32_e64 s15, 0, v113
	v_and_b32_e32 v100, exec_lo, v100
	v_not_b32_e32 v113, v115
	v_ashrrev_i32_e32 v112, 31, v112
	s_wait_alu 0xf1ff
	v_xor_b32_e32 v102, s14, v102
	v_cmp_gt_i32_e64 s14, 0, v115
	v_and_b32_e32 v100, v100, v119
	v_not_b32_e32 v115, v117
	v_ashrrev_i32_e32 v113, 31, v113
	v_xor_b32_e32 v112, s15, v112
	v_cmp_gt_i32_e64 s15, 0, v117
	v_and_b32_e32 v100, v100, v102
	v_not_b32_e32 v102, v118
	v_ashrrev_i32_e32 v115, 31, v115
	s_wait_alu 0xf1ff
	v_xor_b32_e32 v113, s14, v113
	v_cmp_gt_i32_e64 s14, 0, v118
	v_and_b32_e32 v100, v100, v112
	v_not_b32_e32 v112, v114
	v_ashrrev_i32_e32 v102, 31, v102
	v_xor_b32_e32 v115, s15, v115
	v_lshl_add_u32 v97, v97, 3, v193
	v_and_b32_e32 v100, v100, v113
	v_cmp_gt_i32_e64 s15, 0, v114
	v_ashrrev_i32_e32 v112, 31, v112
	s_wait_alu 0xf1ff
	v_xor_b32_e32 v102, s14, v102
	v_lshl_add_u32 v113, v97, 2, v12
	v_and_b32_e32 v100, v100, v115
	v_xor_b32_e32 v97, s15, v112
	ds_load_b32 v130, v113 offset:32
	v_and_b32_e32 v100, v100, v102
	v_add_nc_u32_e32 v112, 32, v113
	; wave barrier
	s_delay_alu instid0(VALU_DEP_2) | instskip(NEXT) | instid1(VALU_DEP_1)
	v_and_b32_e32 v97, v100, v97
	v_mbcnt_lo_u32_b32 v132, v97, 0
	v_cmp_ne_u32_e64 s15, 0, v97
	s_delay_alu instid0(VALU_DEP_2)
	v_cmp_eq_u32_e64 s14, 0, v132
	s_and_b32 s15, s15, s14
	s_wait_alu 0xfffe
	s_and_saveexec_b32 s14, s15
	s_cbranch_execz .LBB502_71
; %bb.70:                               ;   in Loop: Header=BB502_53 Depth=1
	s_wait_dscnt 0x0
	v_bcnt_u32_b32 v97, v97, v130
	ds_store_b32 v112, v97
.LBB502_71:                             ;   in Loop: Header=BB502_53 Depth=1
	s_wait_alu 0xfffe
	s_or_b32 exec_lo, exec_lo, s14
	v_lshrrev_b32_e32 v97, v10, v243
	; wave barrier
	s_delay_alu instid0(VALU_DEP_1) | instskip(NEXT) | instid1(VALU_DEP_1)
	v_and_b32_e32 v97, v97, v68
	v_and_b32_e32 v100, 1, v97
	v_lshlrev_b32_e32 v102, 30, v97
	v_lshlrev_b32_e32 v113, 29, v97
	;; [unrolled: 1-line block ×4, first 2 shown]
	v_add_co_u32 v100, s14, v100, -1
	s_wait_alu 0xf1ff
	v_cndmask_b32_e64 v115, 0, 1, s14
	v_not_b32_e32 v129, v102
	v_cmp_gt_i32_e64 s15, 0, v102
	v_not_b32_e32 v102, v113
	v_lshlrev_b32_e32 v118, 26, v97
	v_cmp_ne_u32_e64 s14, 0, v115
	v_ashrrev_i32_e32 v129, 31, v129
	v_lshlrev_b32_e32 v119, 25, v97
	v_ashrrev_i32_e32 v102, 31, v102
	v_lshlrev_b32_e32 v115, 24, v97
	s_wait_alu 0xf1ff
	v_xor_b32_e32 v100, s14, v100
	v_cmp_gt_i32_e64 s14, 0, v113
	v_not_b32_e32 v113, v114
	v_xor_b32_e32 v129, s15, v129
	v_cmp_gt_i32_e64 s15, 0, v114
	v_and_b32_e32 v100, exec_lo, v100
	v_not_b32_e32 v114, v117
	v_ashrrev_i32_e32 v113, 31, v113
	s_wait_alu 0xf1ff
	v_xor_b32_e32 v102, s14, v102
	v_cmp_gt_i32_e64 s14, 0, v117
	v_and_b32_e32 v100, v100, v129
	v_not_b32_e32 v117, v118
	v_ashrrev_i32_e32 v114, 31, v114
	v_xor_b32_e32 v113, s15, v113
	v_cmp_gt_i32_e64 s15, 0, v118
	v_and_b32_e32 v100, v100, v102
	v_not_b32_e32 v102, v119
	v_ashrrev_i32_e32 v117, 31, v117
	s_wait_alu 0xf1ff
	v_xor_b32_e32 v114, s14, v114
	v_cmp_gt_i32_e64 s14, 0, v119
	v_and_b32_e32 v100, v100, v113
	v_not_b32_e32 v113, v115
	v_ashrrev_i32_e32 v102, 31, v102
	v_xor_b32_e32 v117, s15, v117
	v_lshl_add_u32 v97, v97, 3, v193
	v_and_b32_e32 v100, v100, v114
	v_cmp_gt_i32_e64 s15, 0, v115
	v_ashrrev_i32_e32 v113, 31, v113
	s_wait_alu 0xf1ff
	v_xor_b32_e32 v102, s14, v102
	v_lshl_add_u32 v114, v97, 2, v12
	v_and_b32_e32 v100, v100, v117
	v_xor_b32_e32 v97, s15, v113
	ds_load_b32 v133, v114 offset:32
	v_and_b32_e32 v100, v100, v102
	v_add_nc_u32_e32 v114, 32, v114
	; wave barrier
	s_delay_alu instid0(VALU_DEP_2) | instskip(NEXT) | instid1(VALU_DEP_1)
	v_and_b32_e32 v97, v100, v97
	v_mbcnt_lo_u32_b32 v134, v97, 0
	v_cmp_ne_u32_e64 s15, 0, v97
	s_delay_alu instid0(VALU_DEP_2)
	v_cmp_eq_u32_e64 s14, 0, v134
	s_and_b32 s15, s15, s14
	s_wait_alu 0xfffe
	s_and_saveexec_b32 s14, s15
	s_cbranch_execz .LBB502_73
; %bb.72:                               ;   in Loop: Header=BB502_53 Depth=1
	s_wait_dscnt 0x0
	v_bcnt_u32_b32 v97, v97, v133
	ds_store_b32 v114, v97
.LBB502_73:                             ;   in Loop: Header=BB502_53 Depth=1
	s_wait_alu 0xfffe
	s_or_b32 exec_lo, exec_lo, s14
	v_lshrrev_b32_e32 v97, v10, v244
	; wave barrier
	s_delay_alu instid0(VALU_DEP_1) | instskip(NEXT) | instid1(VALU_DEP_1)
	v_and_b32_e32 v97, v97, v68
	v_and_b32_e32 v100, 1, v97
	v_lshlrev_b32_e32 v102, 30, v97
	v_lshlrev_b32_e32 v113, 29, v97
	;; [unrolled: 1-line block ×4, first 2 shown]
	v_add_co_u32 v100, s14, v100, -1
	s_wait_alu 0xf1ff
	v_cndmask_b32_e64 v117, 0, 1, s14
	v_not_b32_e32 v131, v102
	v_cmp_gt_i32_e64 s15, 0, v102
	v_not_b32_e32 v102, v113
	v_lshlrev_b32_e32 v119, 26, v97
	v_cmp_ne_u32_e64 s14, 0, v117
	v_ashrrev_i32_e32 v131, 31, v131
	v_lshlrev_b32_e32 v129, 25, v97
	v_ashrrev_i32_e32 v102, 31, v102
	v_lshlrev_b32_e32 v117, 24, v97
	s_wait_alu 0xf1ff
	v_xor_b32_e32 v100, s14, v100
	v_cmp_gt_i32_e64 s14, 0, v113
	v_not_b32_e32 v113, v115
	v_xor_b32_e32 v131, s15, v131
	v_cmp_gt_i32_e64 s15, 0, v115
	v_and_b32_e32 v100, exec_lo, v100
	v_not_b32_e32 v115, v118
	v_ashrrev_i32_e32 v113, 31, v113
	s_wait_alu 0xf1ff
	v_xor_b32_e32 v102, s14, v102
	v_cmp_gt_i32_e64 s14, 0, v118
	v_and_b32_e32 v100, v100, v131
	v_not_b32_e32 v118, v119
	v_ashrrev_i32_e32 v115, 31, v115
	v_xor_b32_e32 v113, s15, v113
	v_cmp_gt_i32_e64 s15, 0, v119
	v_and_b32_e32 v100, v100, v102
	v_not_b32_e32 v102, v129
	v_ashrrev_i32_e32 v118, 31, v118
	s_wait_alu 0xf1ff
	v_xor_b32_e32 v115, s14, v115
	v_cmp_gt_i32_e64 s14, 0, v129
	v_and_b32_e32 v100, v100, v113
	v_not_b32_e32 v113, v117
	v_ashrrev_i32_e32 v102, 31, v102
	v_xor_b32_e32 v118, s15, v118
	v_lshl_add_u32 v97, v97, 3, v193
	v_and_b32_e32 v100, v100, v115
	v_cmp_gt_i32_e64 s15, 0, v117
	v_ashrrev_i32_e32 v113, 31, v113
	s_wait_alu 0xf1ff
	v_xor_b32_e32 v102, s14, v102
	v_lshl_add_u32 v115, v97, 2, v12
	v_and_b32_e32 v100, v100, v118
	v_xor_b32_e32 v97, s15, v113
	ds_load_b32 v144, v115 offset:32
	v_and_b32_e32 v100, v100, v102
	v_add_nc_u32_e32 v118, 32, v115
	; wave barrier
	s_delay_alu instid0(VALU_DEP_2) | instskip(NEXT) | instid1(VALU_DEP_1)
	v_and_b32_e32 v97, v100, v97
	v_mbcnt_lo_u32_b32 v146, v97, 0
	v_cmp_ne_u32_e64 s15, 0, v97
	s_delay_alu instid0(VALU_DEP_2)
	v_cmp_eq_u32_e64 s14, 0, v146
	s_and_b32 s15, s15, s14
	s_wait_alu 0xfffe
	s_and_saveexec_b32 s14, s15
	s_cbranch_execz .LBB502_75
; %bb.74:                               ;   in Loop: Header=BB502_53 Depth=1
	s_wait_dscnt 0x0
	v_bcnt_u32_b32 v97, v97, v144
	ds_store_b32 v118, v97
.LBB502_75:                             ;   in Loop: Header=BB502_53 Depth=1
	s_wait_alu 0xfffe
	s_or_b32 exec_lo, exec_lo, s14
	v_lshrrev_b32_e32 v97, v10, v245
	; wave barrier
	s_delay_alu instid0(VALU_DEP_1) | instskip(NEXT) | instid1(VALU_DEP_1)
	v_and_b32_e32 v97, v97, v68
	v_and_b32_e32 v100, 1, v97
	v_lshlrev_b32_e32 v102, 30, v97
	v_lshlrev_b32_e32 v113, 29, v97
	;; [unrolled: 1-line block ×4, first 2 shown]
	v_add_co_u32 v100, s14, v100, -1
	s_wait_alu 0xf1ff
	v_cndmask_b32_e64 v117, 0, 1, s14
	v_not_b32_e32 v145, v102
	v_cmp_gt_i32_e64 s15, 0, v102
	v_not_b32_e32 v102, v113
	v_lshlrev_b32_e32 v129, 26, v97
	v_cmp_ne_u32_e64 s14, 0, v117
	v_ashrrev_i32_e32 v145, 31, v145
	v_lshlrev_b32_e32 v131, 25, v97
	v_ashrrev_i32_e32 v102, 31, v102
	v_lshlrev_b32_e32 v117, 24, v97
	s_wait_alu 0xf1ff
	v_xor_b32_e32 v100, s14, v100
	v_cmp_gt_i32_e64 s14, 0, v113
	v_not_b32_e32 v113, v115
	v_xor_b32_e32 v145, s15, v145
	v_cmp_gt_i32_e64 s15, 0, v115
	v_and_b32_e32 v100, exec_lo, v100
	v_not_b32_e32 v115, v119
	v_ashrrev_i32_e32 v113, 31, v113
	s_wait_alu 0xf1ff
	v_xor_b32_e32 v102, s14, v102
	v_cmp_gt_i32_e64 s14, 0, v119
	v_and_b32_e32 v100, v100, v145
	v_not_b32_e32 v119, v129
	v_ashrrev_i32_e32 v115, 31, v115
	v_xor_b32_e32 v113, s15, v113
	v_cmp_gt_i32_e64 s15, 0, v129
	v_and_b32_e32 v100, v100, v102
	v_not_b32_e32 v102, v131
	v_ashrrev_i32_e32 v119, 31, v119
	s_wait_alu 0xf1ff
	v_xor_b32_e32 v115, s14, v115
	v_cmp_gt_i32_e64 s14, 0, v131
	v_and_b32_e32 v100, v100, v113
	v_not_b32_e32 v113, v117
	v_ashrrev_i32_e32 v102, 31, v102
	v_xor_b32_e32 v119, s15, v119
	v_lshl_add_u32 v97, v97, 3, v193
	v_and_b32_e32 v100, v100, v115
	v_cmp_gt_i32_e64 s15, 0, v117
	v_ashrrev_i32_e32 v113, 31, v113
	s_wait_alu 0xf1ff
	v_xor_b32_e32 v102, s14, v102
	v_lshl_add_u32 v115, v97, 2, v12
	v_and_b32_e32 v100, v100, v119
	v_xor_b32_e32 v97, s15, v113
	ds_load_b32 v150, v115 offset:32
	v_and_b32_e32 v100, v100, v102
	v_add_nc_u32_e32 v145, 32, v115
	; wave barrier
	s_delay_alu instid0(VALU_DEP_2) | instskip(NEXT) | instid1(VALU_DEP_1)
	v_and_b32_e32 v97, v100, v97
	v_mbcnt_lo_u32_b32 v160, v97, 0
	v_cmp_ne_u32_e64 s15, 0, v97
	s_delay_alu instid0(VALU_DEP_2)
	v_cmp_eq_u32_e64 s14, 0, v160
	s_and_b32 s15, s15, s14
	s_wait_alu 0xfffe
	s_and_saveexec_b32 s14, s15
	s_cbranch_execz .LBB502_77
; %bb.76:                               ;   in Loop: Header=BB502_53 Depth=1
	s_wait_dscnt 0x0
	v_bcnt_u32_b32 v97, v97, v150
	ds_store_b32 v145, v97
.LBB502_77:                             ;   in Loop: Header=BB502_53 Depth=1
	s_wait_alu 0xfffe
	s_or_b32 exec_lo, exec_lo, s14
	v_lshrrev_b32_e32 v97, v10, v246
	; wave barrier
	s_delay_alu instid0(VALU_DEP_1) | instskip(NEXT) | instid1(VALU_DEP_1)
	v_and_b32_e32 v97, v97, v68
	v_and_b32_e32 v100, 1, v97
	v_lshlrev_b32_e32 v102, 30, v97
	v_lshlrev_b32_e32 v113, 29, v97
	;; [unrolled: 1-line block ×4, first 2 shown]
	v_add_co_u32 v100, s14, v100, -1
	s_wait_alu 0xf1ff
	v_cndmask_b32_e64 v117, 0, 1, s14
	v_not_b32_e32 v147, v102
	v_cmp_gt_i32_e64 s15, 0, v102
	v_not_b32_e32 v102, v113
	v_lshlrev_b32_e32 v129, 26, v97
	v_cmp_ne_u32_e64 s14, 0, v117
	v_ashrrev_i32_e32 v147, 31, v147
	v_lshlrev_b32_e32 v131, 25, v97
	v_ashrrev_i32_e32 v102, 31, v102
	v_lshlrev_b32_e32 v117, 24, v97
	s_wait_alu 0xf1ff
	v_xor_b32_e32 v100, s14, v100
	v_cmp_gt_i32_e64 s14, 0, v113
	v_not_b32_e32 v113, v115
	v_xor_b32_e32 v147, s15, v147
	v_cmp_gt_i32_e64 s15, 0, v115
	v_and_b32_e32 v100, exec_lo, v100
	v_not_b32_e32 v115, v119
	v_ashrrev_i32_e32 v113, 31, v113
	s_wait_alu 0xf1ff
	v_xor_b32_e32 v102, s14, v102
	v_cmp_gt_i32_e64 s14, 0, v119
	v_and_b32_e32 v100, v100, v147
	v_not_b32_e32 v119, v129
	v_ashrrev_i32_e32 v115, 31, v115
	v_xor_b32_e32 v113, s15, v113
	v_cmp_gt_i32_e64 s15, 0, v129
	v_and_b32_e32 v100, v100, v102
	v_not_b32_e32 v102, v131
	v_ashrrev_i32_e32 v119, 31, v119
	s_wait_alu 0xf1ff
	v_xor_b32_e32 v115, s14, v115
	v_cmp_gt_i32_e64 s14, 0, v131
	v_and_b32_e32 v100, v100, v113
	v_not_b32_e32 v113, v117
	v_ashrrev_i32_e32 v102, 31, v102
	v_xor_b32_e32 v119, s15, v119
	v_lshl_add_u32 v97, v97, 3, v193
	v_and_b32_e32 v100, v100, v115
	v_cmp_gt_i32_e64 s15, 0, v117
	v_ashrrev_i32_e32 v113, 31, v113
	s_wait_alu 0xf1ff
	v_xor_b32_e32 v102, s14, v102
	v_lshl_add_u32 v115, v97, 2, v12
	v_and_b32_e32 v100, v100, v119
	v_xor_b32_e32 v97, s15, v113
	ds_load_b32 v161, v115 offset:32
	v_and_b32_e32 v100, v100, v102
	v_add_nc_u32_e32 v147, 32, v115
	; wave barrier
	s_delay_alu instid0(VALU_DEP_2) | instskip(NEXT) | instid1(VALU_DEP_1)
	v_and_b32_e32 v97, v100, v97
	v_mbcnt_lo_u32_b32 v162, v97, 0
	v_cmp_ne_u32_e64 s15, 0, v97
	s_delay_alu instid0(VALU_DEP_2)
	v_cmp_eq_u32_e64 s14, 0, v162
	s_and_b32 s15, s15, s14
	s_wait_alu 0xfffe
	s_and_saveexec_b32 s14, s15
	s_cbranch_execz .LBB502_79
; %bb.78:                               ;   in Loop: Header=BB502_53 Depth=1
	s_wait_dscnt 0x0
	v_bcnt_u32_b32 v97, v97, v161
	ds_store_b32 v147, v97
.LBB502_79:                             ;   in Loop: Header=BB502_53 Depth=1
	s_wait_alu 0xfffe
	s_or_b32 exec_lo, exec_lo, s14
	v_lshrrev_b32_e32 v97, v10, v247
	; wave barrier
	s_delay_alu instid0(VALU_DEP_1) | instskip(NEXT) | instid1(VALU_DEP_1)
	v_and_b32_e32 v97, v97, v68
	v_and_b32_e32 v100, 1, v97
	v_lshlrev_b32_e32 v102, 30, v97
	v_lshlrev_b32_e32 v113, 29, v97
	;; [unrolled: 1-line block ×4, first 2 shown]
	v_add_co_u32 v100, s14, v100, -1
	s_wait_alu 0xf1ff
	v_cndmask_b32_e64 v117, 0, 1, s14
	v_not_b32_e32 v148, v102
	v_cmp_gt_i32_e64 s15, 0, v102
	v_not_b32_e32 v102, v113
	v_lshlrev_b32_e32 v129, 26, v97
	v_cmp_ne_u32_e64 s14, 0, v117
	v_ashrrev_i32_e32 v148, 31, v148
	v_lshlrev_b32_e32 v131, 25, v97
	v_ashrrev_i32_e32 v102, 31, v102
	v_lshlrev_b32_e32 v117, 24, v97
	s_wait_alu 0xf1ff
	v_xor_b32_e32 v100, s14, v100
	v_cmp_gt_i32_e64 s14, 0, v113
	v_not_b32_e32 v113, v115
	v_xor_b32_e32 v148, s15, v148
	v_cmp_gt_i32_e64 s15, 0, v115
	v_and_b32_e32 v100, exec_lo, v100
	v_not_b32_e32 v115, v119
	v_ashrrev_i32_e32 v113, 31, v113
	s_wait_alu 0xf1ff
	v_xor_b32_e32 v102, s14, v102
	v_cmp_gt_i32_e64 s14, 0, v119
	v_and_b32_e32 v100, v100, v148
	v_not_b32_e32 v119, v129
	v_ashrrev_i32_e32 v115, 31, v115
	v_xor_b32_e32 v113, s15, v113
	v_cmp_gt_i32_e64 s15, 0, v129
	v_and_b32_e32 v100, v100, v102
	v_not_b32_e32 v102, v131
	v_ashrrev_i32_e32 v119, 31, v119
	s_wait_alu 0xf1ff
	v_xor_b32_e32 v115, s14, v115
	v_cmp_gt_i32_e64 s14, 0, v131
	v_and_b32_e32 v100, v100, v113
	v_not_b32_e32 v113, v117
	v_ashrrev_i32_e32 v102, 31, v102
	v_xor_b32_e32 v119, s15, v119
	v_lshl_add_u32 v97, v97, 3, v193
	v_and_b32_e32 v100, v100, v115
	v_cmp_gt_i32_e64 s15, 0, v117
	v_ashrrev_i32_e32 v113, 31, v113
	s_wait_alu 0xf1ff
	v_xor_b32_e32 v102, s14, v102
	v_lshl_add_u32 v115, v97, 2, v12
	v_and_b32_e32 v100, v100, v119
	v_xor_b32_e32 v97, s15, v113
	ds_load_b32 v163, v115 offset:32
	v_and_b32_e32 v100, v100, v102
	v_add_nc_u32_e32 v148, 32, v115
	; wave barrier
	s_delay_alu instid0(VALU_DEP_2) | instskip(NEXT) | instid1(VALU_DEP_1)
	v_and_b32_e32 v97, v100, v97
	v_mbcnt_lo_u32_b32 v164, v97, 0
	v_cmp_ne_u32_e64 s15, 0, v97
	s_delay_alu instid0(VALU_DEP_2)
	v_cmp_eq_u32_e64 s14, 0, v164
	s_and_b32 s15, s15, s14
	s_wait_alu 0xfffe
	s_and_saveexec_b32 s14, s15
	s_cbranch_execz .LBB502_81
; %bb.80:                               ;   in Loop: Header=BB502_53 Depth=1
	s_wait_dscnt 0x0
	v_bcnt_u32_b32 v97, v97, v163
	ds_store_b32 v148, v97
.LBB502_81:                             ;   in Loop: Header=BB502_53 Depth=1
	s_wait_alu 0xfffe
	s_or_b32 exec_lo, exec_lo, s14
	v_lshrrev_b32_e32 v97, v10, v40
	; wave barrier
	s_delay_alu instid0(VALU_DEP_1) | instskip(NEXT) | instid1(VALU_DEP_1)
	v_and_b32_e32 v97, v97, v68
	v_and_b32_e32 v100, 1, v97
	v_lshlrev_b32_e32 v102, 30, v97
	v_lshlrev_b32_e32 v113, 29, v97
	;; [unrolled: 1-line block ×4, first 2 shown]
	v_add_co_u32 v100, s14, v100, -1
	s_wait_alu 0xf1ff
	v_cndmask_b32_e64 v117, 0, 1, s14
	v_not_b32_e32 v149, v102
	v_cmp_gt_i32_e64 s15, 0, v102
	v_not_b32_e32 v102, v113
	v_lshlrev_b32_e32 v129, 26, v97
	v_cmp_ne_u32_e64 s14, 0, v117
	v_ashrrev_i32_e32 v149, 31, v149
	v_lshlrev_b32_e32 v131, 25, v97
	v_ashrrev_i32_e32 v102, 31, v102
	v_lshlrev_b32_e32 v117, 24, v97
	s_wait_alu 0xf1ff
	v_xor_b32_e32 v100, s14, v100
	v_cmp_gt_i32_e64 s14, 0, v113
	v_not_b32_e32 v113, v115
	v_xor_b32_e32 v149, s15, v149
	v_cmp_gt_i32_e64 s15, 0, v115
	v_and_b32_e32 v100, exec_lo, v100
	v_not_b32_e32 v115, v119
	v_ashrrev_i32_e32 v113, 31, v113
	s_wait_alu 0xf1ff
	v_xor_b32_e32 v102, s14, v102
	v_cmp_gt_i32_e64 s14, 0, v119
	v_and_b32_e32 v100, v100, v149
	v_not_b32_e32 v119, v129
	v_ashrrev_i32_e32 v115, 31, v115
	v_xor_b32_e32 v113, s15, v113
	v_cmp_gt_i32_e64 s15, 0, v129
	v_and_b32_e32 v100, v100, v102
	v_not_b32_e32 v102, v131
	v_ashrrev_i32_e32 v119, 31, v119
	s_wait_alu 0xf1ff
	v_xor_b32_e32 v115, s14, v115
	v_cmp_gt_i32_e64 s14, 0, v131
	v_and_b32_e32 v100, v100, v113
	v_not_b32_e32 v113, v117
	v_ashrrev_i32_e32 v102, 31, v102
	v_xor_b32_e32 v119, s15, v119
	v_lshl_add_u32 v97, v97, 3, v193
	v_and_b32_e32 v100, v100, v115
	v_cmp_gt_i32_e64 s15, 0, v117
	v_ashrrev_i32_e32 v113, 31, v113
	s_wait_alu 0xf1ff
	v_xor_b32_e32 v102, s14, v102
	v_lshl_add_u32 v115, v97, 2, v12
	v_and_b32_e32 v100, v100, v119
	v_xor_b32_e32 v97, s15, v113
	ds_load_b32 v165, v115 offset:32
	v_and_b32_e32 v100, v100, v102
	v_add_nc_u32_e32 v149, 32, v115
	; wave barrier
	s_delay_alu instid0(VALU_DEP_2) | instskip(NEXT) | instid1(VALU_DEP_1)
	v_and_b32_e32 v97, v100, v97
	v_mbcnt_lo_u32_b32 v166, v97, 0
	v_cmp_ne_u32_e64 s15, 0, v97
	s_delay_alu instid0(VALU_DEP_2)
	v_cmp_eq_u32_e64 s14, 0, v166
	s_and_b32 s15, s15, s14
	s_wait_alu 0xfffe
	s_and_saveexec_b32 s14, s15
	s_cbranch_execz .LBB502_83
; %bb.82:                               ;   in Loop: Header=BB502_53 Depth=1
	s_wait_dscnt 0x0
	v_bcnt_u32_b32 v97, v97, v165
	ds_store_b32 v149, v97
.LBB502_83:                             ;   in Loop: Header=BB502_53 Depth=1
	s_wait_alu 0xfffe
	s_or_b32 exec_lo, exec_lo, s14
	v_lshrrev_b32_e32 v97, v10, v41
	; wave barrier
	s_delay_alu instid0(VALU_DEP_1) | instskip(NEXT) | instid1(VALU_DEP_1)
	v_and_b32_e32 v68, v97, v68
	v_and_b32_e32 v97, 1, v68
	v_lshlrev_b32_e32 v100, 30, v68
	v_lshlrev_b32_e32 v102, 29, v68
	;; [unrolled: 1-line block ×4, first 2 shown]
	v_add_co_u32 v97, s14, v97, -1
	s_wait_alu 0xf1ff
	v_cndmask_b32_e64 v115, 0, 1, s14
	v_not_b32_e32 v131, v100
	v_cmp_gt_i32_e64 s15, 0, v100
	v_not_b32_e32 v100, v102
	v_lshlrev_b32_e32 v119, 26, v68
	v_cmp_ne_u32_e64 s14, 0, v115
	v_ashrrev_i32_e32 v131, 31, v131
	v_lshlrev_b32_e32 v129, 25, v68
	v_ashrrev_i32_e32 v100, 31, v100
	v_lshlrev_b32_e32 v115, 24, v68
	s_wait_alu 0xf1ff
	v_xor_b32_e32 v97, s14, v97
	v_cmp_gt_i32_e64 s14, 0, v102
	v_not_b32_e32 v102, v113
	v_xor_b32_e32 v131, s15, v131
	v_cmp_gt_i32_e64 s15, 0, v113
	v_and_b32_e32 v97, exec_lo, v97
	v_not_b32_e32 v113, v117
	v_ashrrev_i32_e32 v102, 31, v102
	s_wait_alu 0xf1ff
	v_xor_b32_e32 v100, s14, v100
	v_cmp_gt_i32_e64 s14, 0, v117
	v_and_b32_e32 v97, v97, v131
	v_not_b32_e32 v117, v119
	v_ashrrev_i32_e32 v113, 31, v113
	v_xor_b32_e32 v102, s15, v102
	v_cmp_gt_i32_e64 s15, 0, v119
	v_and_b32_e32 v97, v97, v100
	v_not_b32_e32 v100, v129
	v_ashrrev_i32_e32 v117, 31, v117
	s_wait_alu 0xf1ff
	v_xor_b32_e32 v113, s14, v113
	v_cmp_gt_i32_e64 s14, 0, v129
	v_and_b32_e32 v97, v97, v102
	v_not_b32_e32 v102, v115
	v_ashrrev_i32_e32 v100, 31, v100
	v_xor_b32_e32 v117, s15, v117
	v_lshl_add_u32 v68, v68, 3, v193
	v_and_b32_e32 v97, v97, v113
	v_cmp_gt_i32_e64 s15, 0, v115
	v_ashrrev_i32_e32 v102, 31, v102
	s_wait_alu 0xf1ff
	v_xor_b32_e32 v100, s14, v100
	v_lshl_add_u32 v113, v68, 2, v12
	v_and_b32_e32 v97, v97, v117
	v_xor_b32_e32 v102, s15, v102
	ds_load_b32 v68, v113 offset:32
	v_and_b32_e32 v97, v97, v100
	v_add_nc_u32_e32 v177, 32, v113
	; wave barrier
	s_delay_alu instid0(VALU_DEP_2) | instskip(NEXT) | instid1(VALU_DEP_1)
	v_and_b32_e32 v97, v97, v102
	v_mbcnt_lo_u32_b32 v176, v97, 0
	v_cmp_ne_u32_e64 s15, 0, v97
	s_delay_alu instid0(VALU_DEP_2)
	v_cmp_eq_u32_e64 s14, 0, v176
	s_and_b32 s15, s15, s14
	s_wait_alu 0xfffe
	s_and_saveexec_b32 s14, s15
	s_cbranch_execz .LBB502_85
; %bb.84:                               ;   in Loop: Header=BB502_53 Depth=1
	s_wait_dscnt 0x0
	v_bcnt_u32_b32 v97, v97, v68
	ds_store_b32 v177, v97
.LBB502_85:                             ;   in Loop: Header=BB502_53 Depth=1
	s_wait_alu 0xfffe
	s_or_b32 exec_lo, exec_lo, s14
	; wave barrier
	s_wait_loadcnt_dscnt 0x0
	s_barrier_signal -1
	s_barrier_wait -1
	global_inv scope:SCOPE_SE
	ds_load_b32 v100, v49
	ds_load_b32 v102, v151
	;; [unrolled: 1-line block ×8, first 2 shown]
	s_wait_dscnt 0x6
	v_add_nc_u32_e32 v119, v102, v100
	s_wait_dscnt 0x4
	s_delay_alu instid0(VALU_DEP_1) | instskip(SKIP_1) | instid1(VALU_DEP_1)
	v_add3_u32 v119, v119, v113, v97
	s_wait_dscnt 0x2
	v_add3_u32 v119, v119, v115, v131
	s_wait_dscnt 0x0
	s_delay_alu instid0(VALU_DEP_1) | instskip(NEXT) | instid1(VALU_DEP_1)
	v_add3_u32 v117, v119, v178, v117
	v_mov_b32_dpp v119, v117 row_shr:1 row_mask:0xf bank_mask:0xf
	s_wait_alu 0xfffd
	s_delay_alu instid0(VALU_DEP_1) | instskip(NEXT) | instid1(VALU_DEP_1)
	v_cndmask_b32_e64 v119, v119, 0, vcc_lo
	v_add_nc_u32_e32 v117, v119, v117
	s_delay_alu instid0(VALU_DEP_1) | instskip(NEXT) | instid1(VALU_DEP_1)
	v_mov_b32_dpp v119, v117 row_shr:2 row_mask:0xf bank_mask:0xf
	v_cndmask_b32_e64 v119, 0, v119, s0
	s_delay_alu instid0(VALU_DEP_1) | instskip(NEXT) | instid1(VALU_DEP_1)
	v_add_nc_u32_e32 v117, v117, v119
	v_mov_b32_dpp v119, v117 row_shr:4 row_mask:0xf bank_mask:0xf
	s_delay_alu instid0(VALU_DEP_1) | instskip(NEXT) | instid1(VALU_DEP_1)
	v_cndmask_b32_e64 v119, 0, v119, s1
	v_add_nc_u32_e32 v117, v117, v119
	s_delay_alu instid0(VALU_DEP_1) | instskip(NEXT) | instid1(VALU_DEP_1)
	v_mov_b32_dpp v119, v117 row_shr:8 row_mask:0xf bank_mask:0xf
	v_cndmask_b32_e64 v119, 0, v119, s2
	s_delay_alu instid0(VALU_DEP_1) | instskip(SKIP_3) | instid1(VALU_DEP_1)
	v_add_nc_u32_e32 v117, v117, v119
	ds_swizzle_b32 v119, v117 offset:swizzle(BROADCAST,32,15)
	s_wait_dscnt 0x0
	v_cndmask_b32_e64 v119, v119, 0, s4
	v_add_nc_u32_e32 v117, v117, v119
	s_and_saveexec_b32 s14, s5
; %bb.86:                               ;   in Loop: Header=BB502_53 Depth=1
	ds_store_b32 v197, v117
; %bb.87:                               ;   in Loop: Header=BB502_53 Depth=1
	s_wait_alu 0xfffe
	s_or_b32 exec_lo, exec_lo, s14
	s_wait_loadcnt_dscnt 0x0
	s_barrier_signal -1
	s_barrier_wait -1
	global_inv scope:SCOPE_SE
	s_and_saveexec_b32 s14, s6
	s_cbranch_execz .LBB502_89
; %bb.88:                               ;   in Loop: Header=BB502_53 Depth=1
	ds_load_b32 v119, v194
	s_wait_dscnt 0x0
	v_mov_b32_dpp v129, v119 row_shr:1 row_mask:0xf bank_mask:0xf
	s_delay_alu instid0(VALU_DEP_1) | instskip(NEXT) | instid1(VALU_DEP_1)
	v_cndmask_b32_e64 v129, v129, 0, s11
	v_add_nc_u32_e32 v119, v129, v119
	s_delay_alu instid0(VALU_DEP_1) | instskip(NEXT) | instid1(VALU_DEP_1)
	v_mov_b32_dpp v129, v119 row_shr:2 row_mask:0xf bank_mask:0xf
	v_cndmask_b32_e64 v129, 0, v129, s12
	s_delay_alu instid0(VALU_DEP_1) | instskip(NEXT) | instid1(VALU_DEP_1)
	v_add_nc_u32_e32 v119, v119, v129
	v_mov_b32_dpp v129, v119 row_shr:4 row_mask:0xf bank_mask:0xf
	s_delay_alu instid0(VALU_DEP_1) | instskip(NEXT) | instid1(VALU_DEP_1)
	v_cndmask_b32_e64 v129, 0, v129, s13
	v_add_nc_u32_e32 v119, v119, v129
	ds_store_b32 v194, v119
.LBB502_89:                             ;   in Loop: Header=BB502_53 Depth=1
	s_wait_alu 0xfffe
	s_or_b32 exec_lo, exec_lo, s14
	v_mov_b32_e32 v119, 0
	s_wait_loadcnt_dscnt 0x0
	s_barrier_signal -1
	s_barrier_wait -1
	global_inv scope:SCOPE_SE
	s_and_saveexec_b32 s14, s7
; %bb.90:                               ;   in Loop: Header=BB502_53 Depth=1
	v_add_nc_u32_e32 v119, -4, v197
	ds_load_b32 v119, v119
; %bb.91:                               ;   in Loop: Header=BB502_53 Depth=1
	s_wait_alu 0xfffe
	s_or_b32 exec_lo, exec_lo, s14
	s_wait_dscnt 0x0
	v_add_nc_u32_e32 v117, v119, v117
	v_dual_mov_b32 v129, v5 :: v_dual_add_nc_u32 v10, 8, v10
	s_mov_b32 s20, -1
	ds_bpermute_b32 v117, v195, v117
	s_wait_dscnt 0x0
	v_cndmask_b32_e64 v117, v117, v119, s3
	v_mov_b32_e32 v119, v5
	v_cmp_lt_u32_e64 s14, v10, v11
	s_delay_alu instid0(VALU_DEP_3) | instskip(NEXT) | instid1(VALU_DEP_1)
	v_cndmask_b32_e64 v179, v117, 0, s10
	v_add_nc_u32_e32 v42, v179, v100
	s_delay_alu instid0(VALU_DEP_1) | instskip(SKIP_1) | instid1(VALU_DEP_2)
	v_dual_mov_b32 v100, v5 :: v_dual_add_nc_u32 v43, v42, v102
	v_mov_b32_e32 v102, v5
	v_dual_mov_b32 v113, v5 :: v_dual_add_nc_u32 v44, v43, v113
	s_delay_alu instid0(VALU_DEP_1)
	v_add_nc_u32_e32 v45, v44, v97
	v_mov_b32_e32 v97, v5
	ds_store_b32 v49, v179
	ds_store_b32 v151, v42
	;; [unrolled: 1-line block ×3, first 2 shown]
	v_add_nc_u32_e32 v46, v45, v115
	s_delay_alu instid0(VALU_DEP_1) | instskip(SKIP_1) | instid1(VALU_DEP_2)
	v_add_nc_u32_e32 v47, v46, v131
	v_mov_b32_e32 v115, v5
	v_dual_mov_b32 v131, v5 :: v_dual_add_nc_u32 v178, v47, v178
	ds_store_b32 v180, v44
	ds_store_b32 v181, v45
	;; [unrolled: 1-line block ×5, first 2 shown]
	s_wait_loadcnt_dscnt 0x0
	s_barrier_signal -1
	s_barrier_wait -1
	global_inv scope:SCOPE_SE
	ds_load_b32 v64, v64
	ds_load_b32 v67, v67
	ds_load_b32 v71, v71
	ds_load_b32 v82, v82
	ds_load_b32 v85, v85
	ds_load_b32 v178, v96
	ds_load_b32 v179, v99
	ds_load_b32 v42, v101
	ds_load_b32 v43, v112
	ds_load_b32 v44, v114
	ds_load_b32 v45, v118
	ds_load_b32 v46, v145
	ds_load_b32 v47, v147
	ds_load_b32 v56, v148
	ds_load_b32 v57, v149
	ds_load_b32 v177, v177
	v_mov_b32_e32 v117, v5
	v_mov_b32_e32 v147, v5
	;; [unrolled: 1-line block ×3, first 2 shown]
	s_wait_dscnt 0xf
	v_dual_mov_b32 v145, v5 :: v_dual_add_nc_u32 v4, v64, v4
	s_wait_dscnt 0xe
	v_add3_u32 v96, v66, v65, v67
	s_wait_dscnt 0xd
	v_add3_u32 v99, v70, v69, v71
	;; [unrolled: 2-line block ×4, first 2 shown]
	v_lshlrev_b64_e32 v[64:65], 2, v[4:5]
	v_lshlrev_b64_e32 v[65:66], 2, v[96:97]
	s_wait_dscnt 0x8
	v_add3_u32 v116, v128, v116, v42
	s_wait_dscnt 0x7
	v_add3_u32 v128, v132, v130, v43
	v_lshlrev_b64_e32 v[66:67], 2, v[99:100]
	s_wait_dscnt 0x5
	v_add3_u32 v148, v146, v144, v45
	v_add3_u32 v130, v134, v133, v44
	s_wait_dscnt 0x3
	v_add3_u32 v146, v162, v161, v47
	v_add3_u32 v144, v160, v150, v46
	s_wait_dscnt 0x2
	v_add3_u32 v164, v164, v163, v56
	s_wait_dscnt 0x1
	;; [unrolled: 2-line block ×3, first 2 shown]
	v_add3_u32 v160, v176, v68, v177
	v_lshlrev_b64_e32 v[67:68], 2, v[101:102]
	v_mov_b32_e32 v165, v5
	v_add3_u32 v118, v87, v86, v178
	v_lshlrev_b64_e32 v[68:69], 2, v[112:113]
	v_mov_b32_e32 v163, v5
	v_add3_u32 v114, v103, v98, v179
	v_mov_b32_e32 v161, v5
	v_lshlrev_b64_e32 v[80:81], 2, v[116:117]
	v_lshlrev_b64_e32 v[81:82], 2, v[128:129]
	v_add_co_u32 v79, null, v12, v64
	v_add_co_u32 v78, null, v12, v65
	v_lshlrev_b64_e32 v[64:65], 2, v[146:147]
	v_lshlrev_b64_e32 v[82:83], 2, v[130:131]
	v_add_co_u32 v77, null, v12, v66
	v_lshlrev_b64_e32 v[65:66], 2, v[164:165]
	v_lshlrev_b64_e32 v[69:70], 2, v[118:119]
	v_lshlrev_b64_e32 v[83:84], 2, v[148:149]
	v_add_co_u32 v76, null, v12, v67
	v_lshlrev_b64_e32 v[66:67], 2, v[162:163]
	;; [unrolled: 4-line block ×3, first 2 shown]
	v_add_co_u32 v74, null, v12, v69
	v_add_co_u32 v61, null, v12, v70
	;; [unrolled: 1-line block ×11, first 2 shown]
	s_wait_loadcnt 0x0
                                        ; implicit-def: $vgpr66_vgpr67
                                        ; implicit-def: $vgpr64_vgpr65
                                        ; implicit-def: $vgpr68_vgpr69
                                        ; implicit-def: $vgpr70_vgpr71
                                        ; implicit-def: $vgpr82_vgpr83
                                        ; implicit-def: $vgpr80_vgpr81
                                        ; implicit-def: $vgpr84_vgpr85
                                        ; implicit-def: $vgpr86_vgpr87
                                        ; implicit-def: $vgpr97_vgpr98
                                        ; implicit-def: $vgpr102_vgpr103
                                        ; implicit-def: $vgpr131_vgpr132
                                        ; implicit-def: $vgpr133_vgpr134
                                        ; implicit-def: $vgpr149_vgpr150
                                        ; implicit-def: $vgpr165_vgpr166
                                        ; implicit-def: $vgpr176_vgpr177
                                        ; implicit-def: $vgpr178_vgpr179
                                        ; implicit-def: $vgpr113
                                        ; implicit-def: $vgpr100
                                        ; implicit-def: $vgpr117
                                        ; implicit-def: $vgpr115
                                        ; implicit-def: $vgpr129
                                        ; implicit-def: $vgpr119
                                        ; implicit-def: $vgpr147
                                        ; implicit-def: $vgpr145
                                        ; implicit-def: $vgpr163
                                        ; implicit-def: $vgpr161
                                        ; implicit-def: $vgpr43
                                        ; implicit-def: $vgpr42
                                        ; implicit-def: $vgpr45
                                        ; implicit-def: $vgpr44
                                        ; implicit-def: $vgpr47
                                        ; implicit-def: $vgpr46
	s_and_saveexec_b32 s15, s14
	s_cbranch_execz .LBB502_52
; %bb.92:                               ;   in Loop: Header=BB502_53 Depth=1
	v_add_nc_u32_e32 v64, 0x80, v196
	v_add_nc_u32_e32 v65, 0x100, v196
	;; [unrolled: 1-line block ×5, first 2 shown]
	s_barrier_signal -1
	s_barrier_wait -1
	global_inv scope:SCOPE_SE
	ds_store_b32 v79, v226
	ds_store_b32 v78, v229
	;; [unrolled: 1-line block ×16, first 2 shown]
	s_wait_loadcnt_dscnt 0x0
	s_barrier_signal -1
	s_barrier_wait -1
	global_inv scope:SCOPE_SE
	ds_load_b32 v113, v196
	ds_load_b32 v100, v64
	;; [unrolled: 1-line block ×6, first 2 shown]
	v_add_nc_u32_e32 v64, 0x300, v196
	v_add_nc_u32_e32 v65, 0x380, v196
	;; [unrolled: 1-line block ×5, first 2 shown]
	ds_load_b32 v147, v64
	ds_load_b32 v145, v65
	;; [unrolled: 1-line block ×5, first 2 shown]
	v_add_nc_u32_e32 v64, 0x580, v196
	v_add_nc_u32_e32 v65, 0x600, v196
	v_add_nc_u32_e32 v66, 0x680, v196
	v_add_nc_u32_e32 v67, 0x700, v196
	v_add_nc_u32_e32 v68, 0x780, v196
	ds_load_b32 v42, v64
	ds_load_b32 v45, v65
	ds_load_b32 v44, v66
	ds_load_b32 v47, v67
	ds_load_b32 v46, v68
	v_lshl_add_u32 v64, v4, 2, v79
	s_wait_loadcnt_dscnt 0x0
	s_barrier_signal -1
	s_barrier_wait -1
	global_inv scope:SCOPE_SE
	ds_store_b64 v64, v[8:9]
	v_lshl_add_u32 v64, v96, 2, v78
	v_lshl_add_u32 v65, v99, 2, v77
	v_lshl_add_u32 v66, v101, 2, v76
	v_lshl_add_u32 v67, v112, 2, v75
	v_lshl_add_u32 v68, v118, 2, v74
	ds_store_b64 v64, v[30:31]
	ds_store_b64 v65, v[28:29]
	ds_store_b64 v66, v[26:27]
	ds_store_b64 v67, v[24:25]
	ds_store_b64 v68, v[54:55]
	v_lshl_add_u32 v64, v114, 2, v61
	v_lshl_add_u32 v65, v116, 2, v59
	v_lshl_add_u32 v66, v128, 2, v58
	v_lshl_add_u32 v67, v130, 2, v57
	v_lshl_add_u32 v68, v148, 2, v56
	ds_store_b64 v64, v[34:35]
	ds_store_b64 v65, v[32:33]
	ds_store_b64 v66, v[52:53]
	ds_store_b64 v67, v[38:39]
	ds_store_b64 v68, v[36:37]
	v_lshl_add_u32 v64, v144, 2, v60
	v_lshl_add_u32 v65, v146, 2, v72
	v_lshl_add_u32 v66, v164, 2, v73
	v_lshl_add_u32 v67, v162, 2, v63
	v_lshl_add_u32 v68, v160, 2, v62
	ds_store_b64 v64, v[13:14]
	ds_store_b64 v65, v[22:23]
	ds_store_b64 v66, v[19:20]
	ds_store_b64 v67, v[17:18]
	ds_store_b64 v68, v[15:16]
	v_add_nc_u32_e32 v64, 0x100, v198
	v_add_nc_u32_e32 v68, 0x200, v198
	v_add_nc_u32_e32 v70, 0x300, v198
	v_add_nc_u32_e32 v80, 0x400, v198
	v_add_nc_u32_e32 v81, 0x500, v198
	s_wait_loadcnt_dscnt 0x0
	s_barrier_signal -1
	s_barrier_wait -1
	global_inv scope:SCOPE_SE
	ds_load_b64 v[66:67], v198
	ds_load_b64 v[64:65], v64
	ds_load_b64 v[68:69], v68
	ds_load_b64 v[70:71], v70
	ds_load_b64 v[82:83], v80
	ds_load_b64 v[80:81], v81
	ds_load_b64 v[84:85], v199
	ds_load_b64 v[86:87], v208
	ds_load_b64 v[97:98], v209
	ds_load_b64 v[102:103], v210
	ds_load_b64 v[131:132], v211
	ds_load_b64 v[133:134], v212
	ds_load_b64 v[149:150], v213
	ds_load_b64 v[165:166], v214
	ds_load_b64 v[176:177], v215
	ds_load_b64 v[178:179], v224
	v_add_nc_u32_e32 v225, -8, v225
	s_xor_b32 s20, exec_lo, -1
	s_wait_loadcnt_dscnt 0x0
	s_barrier_signal -1
	s_barrier_wait -1
	global_inv scope:SCOPE_SE
	s_branch .LBB502_52
.LBB502_93:
	s_or_b32 exec_lo, exec_lo, s17
	v_lshl_add_u32 v4, v4, 2, v79
	s_barrier_signal -1
	s_barrier_wait -1
	s_wait_loadcnt 0x0
	global_inv scope:SCOPE_SE
	ds_store_b32 v79, v226
	ds_store_b32 v78, v229
	;; [unrolled: 1-line block ×16, first 2 shown]
	s_wait_loadcnt_dscnt 0x0
	s_barrier_signal -1
	s_barrier_wait -1
	global_inv scope:SCOPE_SE
	ds_load_2addr_stride64_b32 v[86:87], v194 offset1:4
	ds_load_2addr_stride64_b32 v[84:85], v194 offset0:8 offset1:12
	ds_load_2addr_stride64_b32 v[82:83], v194 offset0:16 offset1:20
	;; [unrolled: 1-line block ×7, first 2 shown]
	s_wait_loadcnt_dscnt 0x0
	s_barrier_signal -1
	s_barrier_wait -1
	global_inv scope:SCOPE_SE
	ds_store_b64 v4, v[8:9]
	v_lshl_add_u32 v4, v96, 2, v78
	v_lshl_add_u32 v5, v99, 2, v77
	v_lshl_add_u32 v8, v101, 2, v76
	v_lshl_add_u32 v9, v112, 2, v75
	v_lshl_add_u32 v10, v118, 2, v74
	ds_store_b64 v4, v[30:31]
	ds_store_b64 v5, v[28:29]
	ds_store_b64 v8, v[26:27]
	ds_store_b64 v9, v[24:25]
	ds_store_b64 v10, v[54:55]
	v_lshl_add_u32 v4, v114, 2, v61
	v_lshl_add_u32 v5, v116, 2, v59
	v_lshl_add_u32 v8, v128, 2, v58
	v_lshl_add_u32 v9, v130, 2, v57
	v_lshl_add_u32 v10, v148, 2, v56
	ds_store_b64 v4, v[34:35]
	ds_store_b64 v5, v[32:33]
	ds_store_b64 v8, v[52:53]
	ds_store_b64 v9, v[38:39]
	;; [unrolled: 10-line block ×3, first 2 shown]
	ds_store_b64 v10, v[15:16]
	v_lshl_add_u32 v4, v21, 3, v12
	s_wait_loadcnt_dscnt 0x0
	s_barrier_signal -1
	s_barrier_wait -1
	global_inv scope:SCOPE_SE
	ds_load_2addr_stride64_b64 v[36:39], v4 offset1:4
	ds_load_2addr_stride64_b64 v[32:35], v4 offset0:8 offset1:12
	ds_load_2addr_stride64_b64 v[28:31], v4 offset0:16 offset1:20
	;; [unrolled: 1-line block ×7, first 2 shown]
	v_mov_b32_e32 v49, 0
	v_add_co_u32 v2, vcc_lo, v2, v50
	s_wait_alu 0xfffd
	v_add_co_ci_u32_e64 v3, null, v3, v51, vcc_lo
	s_delay_alu instid0(VALU_DEP_3)
	v_lshlrev_b64_e32 v[4:5], 2, v[48:49]
	s_wait_loadcnt_dscnt 0x0
	s_barrier_signal -1
	s_barrier_wait -1
	global_inv scope:SCOPE_SE
	v_add_co_u32 v2, vcc_lo, v2, v4
	s_wait_alu 0xfffd
	v_add_co_ci_u32_e64 v3, null, v3, v5, vcc_lo
	v_cmp_lt_u32_e32 vcc_lo, v48, v135
	s_and_saveexec_b32 s0, vcc_lo
	s_cbranch_execz .LBB502_95
; %bb.94:
	v_xor_b32_e32 v4, 0x7fffffff, v86
	flat_store_b32 v[2:3], v4
.LBB502_95:
	s_wait_alu 0xfffe
	s_or_b32 exec_lo, exec_lo, s0
	v_add_nc_u32_e32 v4, 0x100, v48
	s_delay_alu instid0(VALU_DEP_1)
	v_cmp_lt_u32_e64 s0, v4, v135
	s_and_saveexec_b32 s1, s0
	s_cbranch_execz .LBB502_97
; %bb.96:
	v_xor_b32_e32 v4, 0x7fffffff, v87
	flat_store_b32 v[2:3], v4 offset:1024
.LBB502_97:
	s_wait_alu 0xfffe
	s_or_b32 exec_lo, exec_lo, s1
	v_add_nc_u32_e32 v4, 0x200, v48
	s_delay_alu instid0(VALU_DEP_1)
	v_cmp_lt_u32_e64 s1, v4, v135
	s_and_saveexec_b32 s2, s1
	s_cbranch_execz .LBB502_99
; %bb.98:
	v_xor_b32_e32 v4, 0x7fffffff, v84
	flat_store_b32 v[2:3], v4 offset:2048
.LBB502_99:
	;; [unrolled: 11-line block ×15, first 2 shown]
	s_wait_alu 0xfffe
	s_or_b32 exec_lo, exec_lo, s17
	v_lshlrev_b64_e32 v[2:3], 3, v[48:49]
	v_add_co_u32 v0, s17, v6, v0
	s_wait_alu 0xf1ff
	v_add_co_ci_u32_e64 v1, null, v7, v1, s17
	s_delay_alu instid0(VALU_DEP_2) | instskip(SKIP_1) | instid1(VALU_DEP_2)
	v_add_co_u32 v0, s17, v0, v2
	s_wait_alu 0xf1ff
	v_add_co_ci_u32_e64 v1, null, v1, v3, s17
	s_and_saveexec_b32 s17, vcc_lo
	s_cbranch_execnz .LBB502_211
; %bb.126:
	s_wait_alu 0xfffe
	s_or_b32 exec_lo, exec_lo, s17
	s_and_saveexec_b32 s17, s0
	s_cbranch_execnz .LBB502_212
.LBB502_127:
	s_wait_alu 0xfffe
	s_or_b32 exec_lo, exec_lo, s17
	s_and_saveexec_b32 s0, s1
	s_cbranch_execnz .LBB502_213
.LBB502_128:
	s_wait_alu 0xfffe
	s_or_b32 exec_lo, exec_lo, s0
	s_and_saveexec_b32 s0, s2
	s_cbranch_execnz .LBB502_214
.LBB502_129:
	s_wait_alu 0xfffe
	s_or_b32 exec_lo, exec_lo, s0
	s_and_saveexec_b32 s0, s3
	s_cbranch_execnz .LBB502_215
.LBB502_130:
	s_wait_alu 0xfffe
	s_or_b32 exec_lo, exec_lo, s0
	s_and_saveexec_b32 s0, s4
	s_cbranch_execnz .LBB502_216
.LBB502_131:
	s_wait_alu 0xfffe
	s_or_b32 exec_lo, exec_lo, s0
	s_and_saveexec_b32 s0, s5
	s_cbranch_execnz .LBB502_217
.LBB502_132:
	s_wait_alu 0xfffe
	s_or_b32 exec_lo, exec_lo, s0
	s_and_saveexec_b32 s0, s6
	s_cbranch_execnz .LBB502_218
.LBB502_133:
	s_wait_alu 0xfffe
	s_or_b32 exec_lo, exec_lo, s0
	s_and_saveexec_b32 s0, s7
	s_cbranch_execnz .LBB502_219
.LBB502_134:
	s_wait_alu 0xfffe
	s_or_b32 exec_lo, exec_lo, s0
	s_and_saveexec_b32 s0, s10
	s_cbranch_execnz .LBB502_220
.LBB502_135:
	s_wait_alu 0xfffe
	s_or_b32 exec_lo, exec_lo, s0
	s_and_saveexec_b32 s0, s11
	s_cbranch_execnz .LBB502_221
.LBB502_136:
	s_wait_alu 0xfffe
	s_or_b32 exec_lo, exec_lo, s0
	s_and_saveexec_b32 s0, s12
	s_cbranch_execnz .LBB502_222
.LBB502_137:
	s_wait_alu 0xfffe
	s_or_b32 exec_lo, exec_lo, s0
	s_and_saveexec_b32 s0, s13
	s_cbranch_execnz .LBB502_223
.LBB502_138:
	s_wait_alu 0xfffe
	s_or_b32 exec_lo, exec_lo, s0
	s_and_saveexec_b32 s0, s14
	s_cbranch_execnz .LBB502_224
.LBB502_139:
	s_wait_alu 0xfffe
	s_or_b32 exec_lo, exec_lo, s0
	s_and_saveexec_b32 s0, s15
	s_cbranch_execnz .LBB502_225
.LBB502_140:
	s_wait_alu 0xfffe
	s_or_b32 exec_lo, exec_lo, s0
	s_and_saveexec_b32 s0, s16
	s_cbranch_execz .LBB502_142
.LBB502_141:
	flat_store_b64 v[0:1], v[10:11] offset:30720
.LBB502_142:
	s_wait_alu 0xfffe
	s_or_b32 exec_lo, exec_lo, s0
                                        ; implicit-def: $vgpr135
                                        ; implicit-def: $vgpr0
                                        ; implicit-def: $vgpr1
                                        ; implicit-def: $vgpr2
                                        ; implicit-def: $vgpr3
                                        ; implicit-def: $vgpr4
                                        ; implicit-def: $vgpr5
                                        ; implicit-def: $vgpr6
                                        ; implicit-def: $vgpr7
                                        ; implicit-def: $vgpr8
                                        ; implicit-def: $vgpr10
                                        ; implicit-def: $vgpr11
                                        ; implicit-def: $vgpr12
                                        ; implicit-def: $vgpr9
                                        ; implicit-def: $vgpr13
                                        ; implicit-def: $vgpr21
                                        ; implicit-def: $vgpr96
.LBB502_143:
	s_wait_alu 0xfffe
	s_and_not1_saveexec_b32 s0, s19
	s_cbranch_execz .LBB502_372
; %bb.144:
	s_mov_b32 s0, exec_lo
	v_cmpx_lt_u32_e32 0x400, v135
	s_wait_alu 0xfffe
	s_xor_b32 s16, exec_lo, s0
	s_cbranch_execz .LBB502_252
; %bb.145:
	s_load_b64 s[0:1], s[8:9], 0x0
	s_and_b32 s2, ttmp7, 0xffff
	s_mov_b32 s3, 0
	v_lshlrev_b32_e32 v20, 2, v96
	s_wait_kmcnt 0x0
	s_wait_alu 0xfffe
	s_cmp_lt_u32 s2, s1
	s_cselect_b32 s2, 14, 20
	s_cmp_lt_u32 ttmp9, s0
	s_wait_alu 0xfffe
	s_add_nc_u64 s[4:5], s[8:9], s[2:3]
	s_cselect_b32 s2, 12, 18
	s_load_u16 s4, s[4:5], 0x0
	s_add_nc_u64 s[0:1], s[8:9], s[2:3]
	s_load_u16 s0, s[0:1], 0x0
	s_wait_kmcnt 0x0
	v_mad_u32_u24 v13, v13, s4, v9
	v_mov_b32_e32 v9, 0
	s_delay_alu instid0(VALU_DEP_2) | instskip(SKIP_1) | instid1(VALU_DEP_3)
	v_mad_co_u64_u32 v[24:25], null, v13, s0, v[21:22]
	v_bfrev_b32_e32 v13, 1
	v_lshlrev_b64_e32 v[26:27], 2, v[8:9]
	s_delay_alu instid0(VALU_DEP_2) | instskip(NEXT) | instid1(VALU_DEP_4)
	v_dual_mov_b32 v23, v9 :: v_dual_mov_b32 v14, v13
	v_dual_mov_b32 v15, v13 :: v_dual_lshlrev_b32 v22, 3, v24
	s_delay_alu instid0(VALU_DEP_3) | instskip(SKIP_1) | instid1(VALU_DEP_4)
	v_add_co_u32 v28, vcc_lo, v0, v26
	s_wait_alu 0xfffd
	v_add_co_ci_u32_e64 v29, null, v1, v27, vcc_lo
	s_delay_alu instid0(VALU_DEP_3) | instskip(NEXT) | instid1(VALU_DEP_3)
	v_and_b32_e32 v22, 0xffffff00, v22
	v_add_co_u32 v20, vcc_lo, v28, v20
	s_wait_alu 0xfffd
	s_delay_alu instid0(VALU_DEP_3) | instskip(NEXT) | instid1(VALU_DEP_3)
	v_add_co_ci_u32_e64 v28, null, 0, v29, vcc_lo
	v_lshlrev_b64_e32 v[0:1], 2, v[22:23]
	v_or_b32_e32 v25, v22, v96
	v_dual_mov_b32 v16, v13 :: v_dual_mov_b32 v17, v13
	v_dual_mov_b32 v18, v13 :: v_dual_mov_b32 v19, v13
	s_delay_alu instid0(VALU_DEP_4) | instskip(NEXT) | instid1(VALU_DEP_4)
	v_add_co_u32 v0, s0, v20, v0
	v_cmp_lt_u32_e32 vcc_lo, v25, v135
	s_wait_alu 0xf1ff
	v_add_co_ci_u32_e64 v1, null, v28, v1, s0
	v_mov_b32_e32 v20, v13
	s_and_saveexec_b32 s0, vcc_lo
	s_cbranch_execz .LBB502_147
; %bb.146:
	flat_load_b32 v28, v[0:1]
	v_dual_mov_b32 v29, v13 :: v_dual_mov_b32 v30, v13
	v_dual_mov_b32 v31, v13 :: v_dual_mov_b32 v32, v13
	;; [unrolled: 1-line block ×3, first 2 shown]
	v_mov_b32_e32 v35, v13
	s_wait_loadcnt_dscnt 0x0
	v_dual_mov_b32 v13, v28 :: v_dual_mov_b32 v14, v29
	v_dual_mov_b32 v15, v30 :: v_dual_mov_b32 v16, v31
	;; [unrolled: 1-line block ×4, first 2 shown]
.LBB502_147:
	s_wait_alu 0xfffe
	s_or_b32 exec_lo, exec_lo, s0
	v_or_b32_e32 v28, 32, v25
	s_delay_alu instid0(VALU_DEP_1)
	v_cmp_lt_u32_e64 s0, v28, v135
	s_and_saveexec_b32 s1, s0
	s_cbranch_execz .LBB502_149
; %bb.148:
	flat_load_b32 v14, v[0:1] offset:128
.LBB502_149:
	s_wait_alu 0xfffe
	s_or_b32 exec_lo, exec_lo, s1
	v_or_b32_e32 v28, 64, v25
	s_delay_alu instid0(VALU_DEP_1)
	v_cmp_lt_u32_e64 s1, v28, v135
	s_and_saveexec_b32 s2, s1
	s_cbranch_execz .LBB502_151
; %bb.150:
	flat_load_b32 v15, v[0:1] offset:256
.LBB502_151:
	;; [unrolled: 10-line block ×7, first 2 shown]
	s_wait_alu 0xfffe
	s_or_b32 exec_lo, exec_lo, s7
	v_lshlrev_b64_e32 v[0:1], 3, v[8:9]
	v_lshlrev_b32_e32 v8, 3, v96
                                        ; implicit-def: $vgpr32_vgpr33
	s_delay_alu instid0(VALU_DEP_2) | instskip(SKIP_1) | instid1(VALU_DEP_3)
	v_add_co_u32 v9, s7, v4, v0
	s_wait_alu 0xf1ff
	v_add_co_ci_u32_e64 v25, null, v5, v1, s7
	v_lshlrev_b64_e32 v[4:5], 3, v[22:23]
	s_delay_alu instid0(VALU_DEP_3) | instskip(SKIP_1) | instid1(VALU_DEP_3)
	v_add_co_u32 v8, s7, v9, v8
	s_wait_alu 0xf1ff
	v_add_co_ci_u32_e64 v9, null, 0, v25, s7
	s_delay_alu instid0(VALU_DEP_2) | instskip(SKIP_1) | instid1(VALU_DEP_2)
	v_add_co_u32 v4, s7, v8, v4
	s_wait_alu 0xf1ff
	v_add_co_ci_u32_e64 v5, null, v9, v5, s7
	s_and_saveexec_b32 s7, vcc_lo
	s_cbranch_execnz .LBB502_285
; %bb.162:
	s_wait_alu 0xfffe
	s_or_b32 exec_lo, exec_lo, s7
                                        ; implicit-def: $vgpr36_vgpr37
	s_and_saveexec_b32 s7, s0
	s_cbranch_execnz .LBB502_286
.LBB502_163:
	s_wait_alu 0xfffe
	s_or_b32 exec_lo, exec_lo, s7
                                        ; implicit-def: $vgpr38_vgpr39
	s_and_saveexec_b32 s0, s1
	s_cbranch_execnz .LBB502_287
.LBB502_164:
	s_wait_alu 0xfffe
	s_or_b32 exec_lo, exec_lo, s0
                                        ; implicit-def: $vgpr48_vgpr49
	s_and_saveexec_b32 s0, s2
	s_cbranch_execnz .LBB502_288
.LBB502_165:
	s_wait_alu 0xfffe
	s_or_b32 exec_lo, exec_lo, s0
                                        ; implicit-def: $vgpr50_vgpr51
	s_and_saveexec_b32 s0, s3
	s_cbranch_execnz .LBB502_289
.LBB502_166:
	s_wait_alu 0xfffe
	s_or_b32 exec_lo, exec_lo, s0
                                        ; implicit-def: $vgpr52_vgpr53
	s_and_saveexec_b32 s0, s4
	s_cbranch_execnz .LBB502_290
.LBB502_167:
	s_wait_alu 0xfffe
	s_or_b32 exec_lo, exec_lo, s0
                                        ; implicit-def: $vgpr54_vgpr55
	s_and_saveexec_b32 s0, s5
	s_cbranch_execnz .LBB502_291
.LBB502_168:
	s_wait_alu 0xfffe
	s_or_b32 exec_lo, exec_lo, s0
                                        ; implicit-def: $vgpr34_vgpr35
	s_and_saveexec_b32 s0, s6
	s_cbranch_execz .LBB502_170
.LBB502_169:
	flat_load_b64 v[34:35], v[4:5] offset:1792
.LBB502_170:
	s_wait_alu 0xfffe
	s_or_b32 exec_lo, exec_lo, s0
	v_lshl_add_u32 v4, v21, 5, v12
	v_and_b32_e32 v8, 0x3e0, v21
	v_lshlrev_b32_e32 v5, 3, v21
	v_xor_b32_e32 v83, 0x7fffffff, v13
	v_sub_co_u32 v13, s2, v96, 1
	v_add_nc_u32_e32 v25, 32, v4
	v_add_nc_u32_e32 v86, 36, v4
	;; [unrolled: 1-line block ×8, first 2 shown]
	v_min_u32_e32 v4, 0xe0, v8
	v_and_b32_e32 v8, 16, v96
	v_and_or_b32 v5, 0x1f00, v5, v96
	s_getpc_b64 s[0:1]
	s_wait_alu 0xfffe
	s_sext_i32_i16 s1, s1
	s_add_co_u32 s0, s0, _ZN7rocprim17ROCPRIM_400000_NS16block_radix_sortIiLj256ELj8ElLj1ELj1ELj8ELNS0_26block_radix_rank_algorithmE2ELNS0_18block_padding_hintE2ELNS0_4arch9wavefront6targetE0EE19radix_bits_per_passE@rel32@lo+12
	s_wait_alu 0xfffe
	s_add_co_ci_u32 s1, s1, _ZN7rocprim17ROCPRIM_400000_NS16block_radix_sortIiLj256ELj8ElLj1ELj1ELj8ELNS0_26block_radix_rank_algorithmE2ELNS0_18block_padding_hintE2ELNS0_4arch9wavefront6targetE0EE19radix_bits_per_passE@rel32@hi+24
	v_cmp_gt_i32_e64 s6, 0, v13
	s_load_b32 s17, s[0:1], 0x0
	v_cmp_eq_u32_e64 s4, 0, v8
	v_lshrrev_b32_e32 v8, 3, v21
	v_or_b32_e32 v4, 31, v4
	v_and_b32_e32 v9, 15, v96
	s_wait_loadcnt_dscnt 0x0
	v_xor_b32_e32 v65, 0x7fffffff, v14
	v_xor_b32_e32 v67, 0x7fffffff, v15
	v_and_b32_e32 v8, 0x7c, v8
	v_cmp_eq_u32_e64 s5, v21, v4
	v_cndmask_b32_e64 v4, v13, v96, s6
	v_cmp_eq_u32_e32 vcc_lo, 0, v9
	v_cmp_lt_u32_e64 s0, 1, v9
	v_add_nc_u32_e32 v112, v12, v8
	v_lshlrev_b32_e32 v8, 2, v5
	v_cmp_lt_u32_e64 s1, 3, v9
	v_cmp_lt_u32_e64 s3, 7, v9
	v_lshlrev_b32_e32 v103, 2, v4
	v_lshlrev_b32_e32 v4, 2, v21
	v_add_nc_u32_e32 v113, v12, v8
	v_and_b32_e32 v9, 7, v96
	v_xor_b32_e32 v69, 0x7fffffff, v16
	v_xor_b32_e32 v71, 0x7fffffff, v17
	;; [unrolled: 1-line block ×3, first 2 shown]
	v_add_nc_u32_e32 v118, v113, v8
	v_xor_b32_e32 v85, 0x7fffffff, v19
	v_xor_b32_e32 v164, 0x7fffffff, v20
	v_lshrrev_b32_e32 v102, 5, v24
	v_cmp_gt_u32_e64 s6, 8, v21
	v_cmp_lt_u32_e64 s7, 31, v21
	v_cmp_eq_u32_e64 s10, 0, v21
	v_mov_b32_e32 v5, 0
	v_add_co_u32 v96, null, v12, v4
	v_cmp_eq_u32_e64 s11, 0, v9
	v_cmp_lt_u32_e64 s12, 1, v9
	v_cmp_lt_u32_e64 s13, 3, v9
	v_add_nc_u32_e32 v114, -4, v112
	v_add_nc_u32_e32 v115, 0x80, v113
	v_add_nc_u32_e32 v116, 0x100, v113
	;; [unrolled: 1-line block ×14, first 2 shown]
	v_sub_nc_u32_e32 v147, v11, v10
	s_mov_b32 s19, 0
	s_wait_storecnt 0x0
	s_barrier_signal -1
	s_barrier_wait -1
	global_inv scope:SCOPE_SE
	s_branch .LBB502_172
.LBB502_171:                            ;   in Loop: Header=BB502_172 Depth=1
	s_wait_alu 0xfffe
	s_or_b32 exec_lo, exec_lo, s15
	s_delay_alu instid0(SALU_CYCLE_1)
	s_and_b32 s14, exec_lo, s20
	s_wait_alu 0xfffe
	s_or_b32 s19, s14, s19
	s_wait_alu 0xfffe
	s_and_not1_b32 exec_lo, exec_lo, s19
	s_cbranch_execz .LBB502_226
.LBB502_172:                            ; =>This Inner Loop Header: Depth=1
	s_wait_kmcnt 0x0
	v_min_u32_e32 v4, s17, v147
	v_dual_mov_b32 v150, v83 :: v_dual_mov_b32 v151, v81
	v_dual_mov_b32 v28, v38 :: v_dual_mov_b32 v15, v48
	s_delay_alu instid0(VALU_DEP_3) | instskip(NEXT) | instid1(VALU_DEP_3)
	v_lshlrev_b32_e64 v4, v4, -1
	v_lshrrev_b32_e32 v8, v10, v150
	v_dual_mov_b32 v22, v32 :: v_dual_mov_b32 v23, v33
	v_dual_mov_b32 v19, v36 :: v_dual_mov_b32 v20, v37
	s_delay_alu instid0(VALU_DEP_4) | instskip(SKIP_2) | instid1(VALU_DEP_3)
	v_not_b32_e32 v64, v4
	v_dual_mov_b32 v16, v49 :: v_dual_mov_b32 v13, v50
	v_dual_mov_b32 v148, v164 :: v_dual_mov_b32 v149, v85
	v_dual_mov_b32 v29, v39 :: v_dual_and_b32 v4, v8, v64
	v_dual_mov_b32 v8, v52 :: v_dual_mov_b32 v17, v54
	s_delay_alu instid0(VALU_DEP_2)
	v_dual_mov_b32 v18, v55 :: v_dual_lshlrev_b32 v31, 30, v4
	v_and_b32_e32 v30, 1, v4
	v_lshlrev_b32_e32 v32, 29, v4
	v_lshlrev_b32_e32 v36, 28, v4
	;; [unrolled: 1-line block ×3, first 2 shown]
	v_not_b32_e32 v39, v31
	v_add_co_u32 v30, s14, v30, -1
	s_wait_alu 0xf1ff
	v_cndmask_b32_e64 v33, 0, 1, s14
	v_cmp_gt_i32_e64 s15, 0, v31
	v_not_b32_e32 v31, v32
	v_ashrrev_i32_e32 v39, 31, v39
	v_lshlrev_b32_e32 v38, 26, v4
	v_cmp_ne_u32_e64 s14, 0, v33
	v_lshlrev_b32_e32 v33, 25, v4
	v_ashrrev_i32_e32 v31, 31, v31
	s_wait_alu 0xf1ff
	v_xor_b32_e32 v39, s15, v39
	v_cmp_gt_i32_e64 s15, 0, v36
	v_xor_b32_e32 v30, s14, v30
	v_cmp_gt_i32_e64 s14, 0, v32
	v_not_b32_e32 v32, v36
	v_not_b32_e32 v36, v37
	v_dual_mov_b32 v160, v71 :: v_dual_mov_b32 v161, v69
	v_and_b32_e32 v30, exec_lo, v30
	s_delay_alu instid0(VALU_DEP_4)
	v_ashrrev_i32_e32 v32, 31, v32
	s_wait_alu 0xf1ff
	v_xor_b32_e32 v31, s14, v31
	v_cmp_gt_i32_e64 s14, 0, v37
	v_not_b32_e32 v37, v38
	v_and_b32_e32 v30, v30, v39
	v_ashrrev_i32_e32 v36, 31, v36
	v_xor_b32_e32 v32, s15, v32
	v_cmp_gt_i32_e64 s15, 0, v38
	v_ashrrev_i32_e32 v37, 31, v37
	v_and_b32_e32 v30, v30, v31
	v_not_b32_e32 v31, v33
	s_wait_alu 0xf1ff
	v_xor_b32_e32 v36, s14, v36
	v_cmp_gt_i32_e64 s14, 0, v33
	v_xor_b32_e32 v37, s15, v37
	v_and_b32_e32 v30, v30, v32
	v_lshlrev_b32_e32 v32, 24, v4
	v_ashrrev_i32_e32 v33, 31, v31
	v_lshl_add_u32 v4, v4, 3, v102
	v_dual_mov_b32 v162, v67 :: v_dual_mov_b32 v163, v65
	v_and_b32_e32 v36, v30, v36
	v_not_b32_e32 v38, v32
	v_dual_mov_b32 v30, v34 :: v_dual_mov_b32 v31, v35
	v_cmp_gt_i32_e64 s15, 0, v32
	s_wait_alu 0xf1ff
	v_xor_b32_e32 v32, s14, v33
	v_and_b32_e32 v33, v36, v37
	v_ashrrev_i32_e32 v34, 31, v38
	v_dual_mov_b32 v14, v51 :: v_dual_mov_b32 v9, v53
	ds_store_b32 v25, v5
	ds_store_b32 v86, v5
	;; [unrolled: 1-line block ×3, first 2 shown]
	v_and_b32_e32 v32, v33, v32
	v_xor_b32_e32 v33, s15, v34
	v_lshlrev_b64_e32 v[34:35], 2, v[4:5]
	ds_store_b32 v97, v5
	ds_store_b32 v98, v5
	;; [unrolled: 1-line block ×4, first 2 shown]
	v_and_b32_e32 v33, v32, v33
	ds_store_b32 v101, v5
	v_add_co_u32 v32, null, v12, v34
	s_wait_loadcnt_dscnt 0x0
	v_mbcnt_lo_u32_b32 v4, v33, 0
	v_cmp_ne_u32_e64 s15, 0, v33
	s_delay_alu instid0(VALU_DEP_3) | instskip(SKIP_1) | instid1(VALU_DEP_3)
	v_add_co_u32 v32, null, v32, 32
	s_barrier_signal -1
	v_cmp_eq_u32_e64 s14, 0, v4
	s_barrier_wait -1
	global_inv scope:SCOPE_SE
	; wave barrier
	s_and_b32 s15, s15, s14
	s_wait_alu 0xfffe
	s_and_saveexec_b32 s14, s15
; %bb.173:                              ;   in Loop: Header=BB502_172 Depth=1
	v_bcnt_u32_b32 v33, v33, 0
	ds_store_b32 v32, v33
; %bb.174:                              ;   in Loop: Header=BB502_172 Depth=1
	s_wait_alu 0xfffe
	s_or_b32 exec_lo, exec_lo, s14
	v_lshrrev_b32_e32 v33, v10, v163
	; wave barrier
	s_delay_alu instid0(VALU_DEP_1) | instskip(NEXT) | instid1(VALU_DEP_1)
	v_and_b32_e32 v33, v33, v64
	v_and_b32_e32 v34, 1, v33
	v_lshlrev_b32_e32 v35, 30, v33
	v_lshlrev_b32_e32 v36, 29, v33
	;; [unrolled: 1-line block ×4, first 2 shown]
	v_add_co_u32 v34, s14, v34, -1
	s_wait_alu 0xf1ff
	v_cndmask_b32_e64 v38, 0, 1, s14
	v_not_b32_e32 v50, v35
	v_cmp_gt_i32_e64 s15, 0, v35
	v_not_b32_e32 v35, v36
	v_lshlrev_b32_e32 v48, 26, v33
	v_cmp_ne_u32_e64 s14, 0, v38
	v_ashrrev_i32_e32 v50, 31, v50
	v_lshlrev_b32_e32 v49, 25, v33
	v_ashrrev_i32_e32 v35, 31, v35
	v_lshlrev_b32_e32 v38, 24, v33
	s_wait_alu 0xf1ff
	v_xor_b32_e32 v34, s14, v34
	v_cmp_gt_i32_e64 s14, 0, v36
	v_not_b32_e32 v36, v37
	v_xor_b32_e32 v50, s15, v50
	v_cmp_gt_i32_e64 s15, 0, v37
	v_and_b32_e32 v34, exec_lo, v34
	v_not_b32_e32 v37, v39
	v_ashrrev_i32_e32 v36, 31, v36
	s_wait_alu 0xf1ff
	v_xor_b32_e32 v35, s14, v35
	v_cmp_gt_i32_e64 s14, 0, v39
	v_and_b32_e32 v34, v34, v50
	v_not_b32_e32 v39, v48
	v_ashrrev_i32_e32 v37, 31, v37
	v_xor_b32_e32 v36, s15, v36
	v_cmp_gt_i32_e64 s15, 0, v48
	v_and_b32_e32 v34, v34, v35
	v_not_b32_e32 v35, v49
	v_ashrrev_i32_e32 v39, 31, v39
	s_wait_alu 0xf1ff
	v_xor_b32_e32 v37, s14, v37
	v_cmp_gt_i32_e64 s14, 0, v49
	v_and_b32_e32 v34, v34, v36
	v_not_b32_e32 v36, v38
	v_ashrrev_i32_e32 v35, 31, v35
	v_xor_b32_e32 v39, s15, v39
	v_lshl_add_u32 v33, v33, 3, v102
	v_and_b32_e32 v34, v34, v37
	v_cmp_gt_i32_e64 s15, 0, v38
	v_ashrrev_i32_e32 v36, 31, v36
	s_wait_alu 0xf1ff
	v_xor_b32_e32 v35, s14, v35
	v_lshl_add_u32 v37, v33, 2, v12
	v_and_b32_e32 v34, v34, v39
	v_xor_b32_e32 v36, s15, v36
	ds_load_b32 v33, v37 offset:32
	v_and_b32_e32 v34, v34, v35
	v_add_nc_u32_e32 v35, 32, v37
	; wave barrier
	s_delay_alu instid0(VALU_DEP_2) | instskip(NEXT) | instid1(VALU_DEP_1)
	v_and_b32_e32 v36, v34, v36
	v_mbcnt_lo_u32_b32 v34, v36, 0
	v_cmp_ne_u32_e64 s15, 0, v36
	s_delay_alu instid0(VALU_DEP_2)
	v_cmp_eq_u32_e64 s14, 0, v34
	s_and_b32 s15, s15, s14
	s_wait_alu 0xfffe
	s_and_saveexec_b32 s14, s15
	s_cbranch_execz .LBB502_176
; %bb.175:                              ;   in Loop: Header=BB502_172 Depth=1
	s_wait_dscnt 0x0
	v_bcnt_u32_b32 v36, v36, v33
	ds_store_b32 v35, v36
.LBB502_176:                            ;   in Loop: Header=BB502_172 Depth=1
	s_wait_alu 0xfffe
	s_or_b32 exec_lo, exec_lo, s14
	v_lshrrev_b32_e32 v36, v10, v162
	; wave barrier
	s_delay_alu instid0(VALU_DEP_1) | instskip(NEXT) | instid1(VALU_DEP_1)
	v_and_b32_e32 v36, v36, v64
	v_and_b32_e32 v37, 1, v36
	v_lshlrev_b32_e32 v38, 30, v36
	v_lshlrev_b32_e32 v39, 29, v36
	;; [unrolled: 1-line block ×4, first 2 shown]
	v_add_co_u32 v37, s14, v37, -1
	s_wait_alu 0xf1ff
	v_cndmask_b32_e64 v49, 0, 1, s14
	v_not_b32_e32 v53, v38
	v_cmp_gt_i32_e64 s15, 0, v38
	v_not_b32_e32 v38, v39
	v_lshlrev_b32_e32 v51, 26, v36
	v_cmp_ne_u32_e64 s14, 0, v49
	v_ashrrev_i32_e32 v53, 31, v53
	v_lshlrev_b32_e32 v52, 25, v36
	v_ashrrev_i32_e32 v38, 31, v38
	v_lshlrev_b32_e32 v49, 24, v36
	s_wait_alu 0xf1ff
	v_xor_b32_e32 v37, s14, v37
	v_cmp_gt_i32_e64 s14, 0, v39
	v_not_b32_e32 v39, v48
	v_xor_b32_e32 v53, s15, v53
	v_cmp_gt_i32_e64 s15, 0, v48
	v_and_b32_e32 v37, exec_lo, v37
	v_not_b32_e32 v48, v50
	v_ashrrev_i32_e32 v39, 31, v39
	s_wait_alu 0xf1ff
	v_xor_b32_e32 v38, s14, v38
	v_cmp_gt_i32_e64 s14, 0, v50
	v_and_b32_e32 v37, v37, v53
	v_not_b32_e32 v50, v51
	v_ashrrev_i32_e32 v48, 31, v48
	v_xor_b32_e32 v39, s15, v39
	v_cmp_gt_i32_e64 s15, 0, v51
	v_and_b32_e32 v37, v37, v38
	v_not_b32_e32 v38, v52
	v_ashrrev_i32_e32 v50, 31, v50
	s_wait_alu 0xf1ff
	v_xor_b32_e32 v48, s14, v48
	v_cmp_gt_i32_e64 s14, 0, v52
	v_and_b32_e32 v37, v37, v39
	v_not_b32_e32 v39, v49
	v_ashrrev_i32_e32 v38, 31, v38
	v_xor_b32_e32 v50, s15, v50
	v_lshl_add_u32 v36, v36, 3, v102
	v_and_b32_e32 v37, v37, v48
	v_cmp_gt_i32_e64 s15, 0, v49
	v_ashrrev_i32_e32 v39, 31, v39
	s_wait_alu 0xf1ff
	v_xor_b32_e32 v38, s14, v38
	v_lshl_add_u32 v48, v36, 2, v12
	v_and_b32_e32 v37, v37, v50
	v_xor_b32_e32 v39, s15, v39
	ds_load_b32 v36, v48 offset:32
	v_and_b32_e32 v37, v37, v38
	v_add_nc_u32_e32 v38, 32, v48
	; wave barrier
	s_delay_alu instid0(VALU_DEP_2) | instskip(NEXT) | instid1(VALU_DEP_1)
	v_and_b32_e32 v39, v37, v39
	v_mbcnt_lo_u32_b32 v37, v39, 0
	v_cmp_ne_u32_e64 s15, 0, v39
	s_delay_alu instid0(VALU_DEP_2)
	v_cmp_eq_u32_e64 s14, 0, v37
	s_and_b32 s15, s15, s14
	s_wait_alu 0xfffe
	s_and_saveexec_b32 s14, s15
	s_cbranch_execz .LBB502_178
; %bb.177:                              ;   in Loop: Header=BB502_172 Depth=1
	s_wait_dscnt 0x0
	v_bcnt_u32_b32 v39, v39, v36
	ds_store_b32 v38, v39
.LBB502_178:                            ;   in Loop: Header=BB502_172 Depth=1
	s_wait_alu 0xfffe
	s_or_b32 exec_lo, exec_lo, s14
	v_lshrrev_b32_e32 v39, v10, v161
	; wave barrier
	s_delay_alu instid0(VALU_DEP_1) | instskip(NEXT) | instid1(VALU_DEP_1)
	v_and_b32_e32 v39, v39, v64
	v_and_b32_e32 v48, 1, v39
	v_lshlrev_b32_e32 v49, 30, v39
	v_lshlrev_b32_e32 v50, 29, v39
	;; [unrolled: 1-line block ×4, first 2 shown]
	v_add_co_u32 v48, s14, v48, -1
	s_wait_alu 0xf1ff
	v_cndmask_b32_e64 v52, 0, 1, s14
	v_not_b32_e32 v65, v49
	v_cmp_gt_i32_e64 s15, 0, v49
	v_not_b32_e32 v49, v50
	v_lshlrev_b32_e32 v54, 26, v39
	v_cmp_ne_u32_e64 s14, 0, v52
	v_ashrrev_i32_e32 v65, 31, v65
	v_lshlrev_b32_e32 v55, 25, v39
	v_ashrrev_i32_e32 v49, 31, v49
	v_lshlrev_b32_e32 v52, 24, v39
	s_wait_alu 0xf1ff
	v_xor_b32_e32 v48, s14, v48
	v_cmp_gt_i32_e64 s14, 0, v50
	v_not_b32_e32 v50, v51
	v_xor_b32_e32 v65, s15, v65
	v_cmp_gt_i32_e64 s15, 0, v51
	v_and_b32_e32 v48, exec_lo, v48
	v_not_b32_e32 v51, v53
	v_ashrrev_i32_e32 v50, 31, v50
	s_wait_alu 0xf1ff
	v_xor_b32_e32 v49, s14, v49
	v_cmp_gt_i32_e64 s14, 0, v53
	v_and_b32_e32 v48, v48, v65
	v_not_b32_e32 v53, v54
	v_ashrrev_i32_e32 v51, 31, v51
	v_xor_b32_e32 v50, s15, v50
	v_cmp_gt_i32_e64 s15, 0, v54
	v_and_b32_e32 v48, v48, v49
	v_not_b32_e32 v49, v55
	v_ashrrev_i32_e32 v53, 31, v53
	s_wait_alu 0xf1ff
	v_xor_b32_e32 v51, s14, v51
	v_cmp_gt_i32_e64 s14, 0, v55
	v_and_b32_e32 v48, v48, v50
	v_not_b32_e32 v50, v52
	v_ashrrev_i32_e32 v49, 31, v49
	v_xor_b32_e32 v53, s15, v53
	v_lshl_add_u32 v39, v39, 3, v102
	v_and_b32_e32 v48, v48, v51
	v_cmp_gt_i32_e64 s15, 0, v52
	v_ashrrev_i32_e32 v50, 31, v50
	s_wait_alu 0xf1ff
	v_xor_b32_e32 v49, s14, v49
	v_lshl_add_u32 v51, v39, 2, v12
	v_and_b32_e32 v48, v48, v53
	v_xor_b32_e32 v50, s15, v50
	ds_load_b32 v39, v51 offset:32
	v_and_b32_e32 v48, v48, v49
	v_add_nc_u32_e32 v49, 32, v51
	; wave barrier
	s_delay_alu instid0(VALU_DEP_2) | instskip(NEXT) | instid1(VALU_DEP_1)
	v_and_b32_e32 v50, v48, v50
	v_mbcnt_lo_u32_b32 v48, v50, 0
	v_cmp_ne_u32_e64 s15, 0, v50
	s_delay_alu instid0(VALU_DEP_2)
	v_cmp_eq_u32_e64 s14, 0, v48
	s_and_b32 s15, s15, s14
	s_wait_alu 0xfffe
	s_and_saveexec_b32 s14, s15
	s_cbranch_execz .LBB502_180
; %bb.179:                              ;   in Loop: Header=BB502_172 Depth=1
	s_wait_dscnt 0x0
	v_bcnt_u32_b32 v50, v50, v39
	ds_store_b32 v49, v50
.LBB502_180:                            ;   in Loop: Header=BB502_172 Depth=1
	s_wait_alu 0xfffe
	s_or_b32 exec_lo, exec_lo, s14
	v_lshrrev_b32_e32 v50, v10, v160
	; wave barrier
	s_delay_alu instid0(VALU_DEP_1) | instskip(NEXT) | instid1(VALU_DEP_1)
	v_and_b32_e32 v50, v50, v64
	v_and_b32_e32 v51, 1, v50
	v_lshlrev_b32_e32 v52, 30, v50
	v_lshlrev_b32_e32 v53, 29, v50
	;; [unrolled: 1-line block ×4, first 2 shown]
	v_add_co_u32 v51, s14, v51, -1
	s_wait_alu 0xf1ff
	v_cndmask_b32_e64 v55, 0, 1, s14
	v_not_b32_e32 v68, v52
	v_cmp_gt_i32_e64 s15, 0, v52
	v_not_b32_e32 v52, v53
	v_lshlrev_b32_e32 v66, 26, v50
	v_cmp_ne_u32_e64 s14, 0, v55
	v_ashrrev_i32_e32 v68, 31, v68
	v_lshlrev_b32_e32 v67, 25, v50
	v_ashrrev_i32_e32 v52, 31, v52
	v_lshlrev_b32_e32 v55, 24, v50
	s_wait_alu 0xf1ff
	v_xor_b32_e32 v51, s14, v51
	v_cmp_gt_i32_e64 s14, 0, v53
	v_not_b32_e32 v53, v54
	v_xor_b32_e32 v68, s15, v68
	v_cmp_gt_i32_e64 s15, 0, v54
	v_and_b32_e32 v51, exec_lo, v51
	v_not_b32_e32 v54, v65
	v_ashrrev_i32_e32 v53, 31, v53
	s_wait_alu 0xf1ff
	v_xor_b32_e32 v52, s14, v52
	v_cmp_gt_i32_e64 s14, 0, v65
	v_and_b32_e32 v51, v51, v68
	v_not_b32_e32 v65, v66
	v_ashrrev_i32_e32 v54, 31, v54
	v_xor_b32_e32 v53, s15, v53
	v_cmp_gt_i32_e64 s15, 0, v66
	v_and_b32_e32 v51, v51, v52
	v_not_b32_e32 v52, v67
	v_ashrrev_i32_e32 v65, 31, v65
	s_wait_alu 0xf1ff
	v_xor_b32_e32 v54, s14, v54
	v_cmp_gt_i32_e64 s14, 0, v67
	v_and_b32_e32 v51, v51, v53
	v_not_b32_e32 v53, v55
	v_ashrrev_i32_e32 v52, 31, v52
	v_xor_b32_e32 v65, s15, v65
	v_lshl_add_u32 v50, v50, 3, v102
	v_and_b32_e32 v51, v51, v54
	v_cmp_gt_i32_e64 s15, 0, v55
	v_ashrrev_i32_e32 v53, 31, v53
	s_wait_alu 0xf1ff
	v_xor_b32_e32 v52, s14, v52
	v_lshl_add_u32 v54, v50, 2, v12
	v_and_b32_e32 v51, v51, v65
	v_xor_b32_e32 v53, s15, v53
	ds_load_b32 v50, v54 offset:32
	v_and_b32_e32 v51, v51, v52
	v_add_nc_u32_e32 v52, 32, v54
	; wave barrier
	s_delay_alu instid0(VALU_DEP_2) | instskip(NEXT) | instid1(VALU_DEP_1)
	v_and_b32_e32 v53, v51, v53
	v_mbcnt_lo_u32_b32 v51, v53, 0
	v_cmp_ne_u32_e64 s15, 0, v53
	s_delay_alu instid0(VALU_DEP_2)
	v_cmp_eq_u32_e64 s14, 0, v51
	s_and_b32 s15, s15, s14
	s_wait_alu 0xfffe
	s_and_saveexec_b32 s14, s15
	s_cbranch_execz .LBB502_182
; %bb.181:                              ;   in Loop: Header=BB502_172 Depth=1
	s_wait_dscnt 0x0
	v_bcnt_u32_b32 v53, v53, v50
	ds_store_b32 v52, v53
.LBB502_182:                            ;   in Loop: Header=BB502_172 Depth=1
	s_wait_alu 0xfffe
	s_or_b32 exec_lo, exec_lo, s14
	v_lshrrev_b32_e32 v53, v10, v151
	; wave barrier
	s_delay_alu instid0(VALU_DEP_1) | instskip(NEXT) | instid1(VALU_DEP_1)
	v_and_b32_e32 v53, v53, v64
	v_and_b32_e32 v54, 1, v53
	v_lshlrev_b32_e32 v55, 30, v53
	v_lshlrev_b32_e32 v65, 29, v53
	;; [unrolled: 1-line block ×4, first 2 shown]
	v_add_co_u32 v54, s14, v54, -1
	s_wait_alu 0xf1ff
	v_cndmask_b32_e64 v67, 0, 1, s14
	v_not_b32_e32 v71, v55
	v_cmp_gt_i32_e64 s15, 0, v55
	v_not_b32_e32 v55, v65
	v_lshlrev_b32_e32 v69, 26, v53
	v_cmp_ne_u32_e64 s14, 0, v67
	v_ashrrev_i32_e32 v71, 31, v71
	v_lshlrev_b32_e32 v70, 25, v53
	v_ashrrev_i32_e32 v55, 31, v55
	v_lshlrev_b32_e32 v67, 24, v53
	s_wait_alu 0xf1ff
	v_xor_b32_e32 v54, s14, v54
	v_cmp_gt_i32_e64 s14, 0, v65
	v_not_b32_e32 v65, v66
	v_xor_b32_e32 v71, s15, v71
	v_cmp_gt_i32_e64 s15, 0, v66
	v_and_b32_e32 v54, exec_lo, v54
	v_not_b32_e32 v66, v68
	v_ashrrev_i32_e32 v65, 31, v65
	s_wait_alu 0xf1ff
	v_xor_b32_e32 v55, s14, v55
	v_cmp_gt_i32_e64 s14, 0, v68
	v_and_b32_e32 v54, v54, v71
	v_not_b32_e32 v68, v69
	v_ashrrev_i32_e32 v66, 31, v66
	v_xor_b32_e32 v65, s15, v65
	v_cmp_gt_i32_e64 s15, 0, v69
	v_and_b32_e32 v54, v54, v55
	v_not_b32_e32 v55, v70
	v_ashrrev_i32_e32 v68, 31, v68
	s_wait_alu 0xf1ff
	v_xor_b32_e32 v66, s14, v66
	v_cmp_gt_i32_e64 s14, 0, v70
	v_and_b32_e32 v54, v54, v65
	v_not_b32_e32 v65, v67
	v_ashrrev_i32_e32 v55, 31, v55
	v_xor_b32_e32 v68, s15, v68
	v_lshl_add_u32 v53, v53, 3, v102
	v_and_b32_e32 v54, v54, v66
	v_cmp_gt_i32_e64 s15, 0, v67
	v_ashrrev_i32_e32 v65, 31, v65
	s_wait_alu 0xf1ff
	v_xor_b32_e32 v55, s14, v55
	v_lshl_add_u32 v66, v53, 2, v12
	v_and_b32_e32 v54, v54, v68
	v_xor_b32_e32 v65, s15, v65
	ds_load_b32 v53, v66 offset:32
	v_and_b32_e32 v54, v54, v55
	v_add_nc_u32_e32 v55, 32, v66
	; wave barrier
	s_delay_alu instid0(VALU_DEP_2) | instskip(NEXT) | instid1(VALU_DEP_1)
	v_and_b32_e32 v65, v54, v65
	v_mbcnt_lo_u32_b32 v54, v65, 0
	v_cmp_ne_u32_e64 s15, 0, v65
	s_delay_alu instid0(VALU_DEP_2)
	v_cmp_eq_u32_e64 s14, 0, v54
	s_and_b32 s15, s15, s14
	s_wait_alu 0xfffe
	s_and_saveexec_b32 s14, s15
	s_cbranch_execz .LBB502_184
; %bb.183:                              ;   in Loop: Header=BB502_172 Depth=1
	s_wait_dscnt 0x0
	v_bcnt_u32_b32 v65, v65, v53
	ds_store_b32 v55, v65
.LBB502_184:                            ;   in Loop: Header=BB502_172 Depth=1
	s_wait_alu 0xfffe
	s_or_b32 exec_lo, exec_lo, s14
	v_lshrrev_b32_e32 v65, v10, v149
	; wave barrier
	s_delay_alu instid0(VALU_DEP_1) | instskip(NEXT) | instid1(VALU_DEP_1)
	v_and_b32_e32 v65, v65, v64
	v_and_b32_e32 v66, 1, v65
	v_lshlrev_b32_e32 v67, 30, v65
	v_lshlrev_b32_e32 v68, 29, v65
	;; [unrolled: 1-line block ×4, first 2 shown]
	v_add_co_u32 v66, s14, v66, -1
	s_wait_alu 0xf1ff
	v_cndmask_b32_e64 v70, 0, 1, s14
	v_not_b32_e32 v82, v67
	v_cmp_gt_i32_e64 s15, 0, v67
	v_not_b32_e32 v67, v68
	v_lshlrev_b32_e32 v80, 26, v65
	v_cmp_ne_u32_e64 s14, 0, v70
	v_ashrrev_i32_e32 v82, 31, v82
	v_lshlrev_b32_e32 v81, 25, v65
	v_ashrrev_i32_e32 v67, 31, v67
	v_lshlrev_b32_e32 v70, 24, v65
	s_wait_alu 0xf1ff
	v_xor_b32_e32 v66, s14, v66
	v_cmp_gt_i32_e64 s14, 0, v68
	v_not_b32_e32 v68, v69
	v_xor_b32_e32 v82, s15, v82
	v_cmp_gt_i32_e64 s15, 0, v69
	v_and_b32_e32 v66, exec_lo, v66
	v_not_b32_e32 v69, v71
	v_ashrrev_i32_e32 v68, 31, v68
	s_wait_alu 0xf1ff
	v_xor_b32_e32 v67, s14, v67
	v_cmp_gt_i32_e64 s14, 0, v71
	v_and_b32_e32 v66, v66, v82
	v_not_b32_e32 v71, v80
	v_ashrrev_i32_e32 v69, 31, v69
	v_xor_b32_e32 v68, s15, v68
	v_cmp_gt_i32_e64 s15, 0, v80
	v_and_b32_e32 v66, v66, v67
	v_not_b32_e32 v67, v81
	v_ashrrev_i32_e32 v71, 31, v71
	s_wait_alu 0xf1ff
	v_xor_b32_e32 v69, s14, v69
	v_cmp_gt_i32_e64 s14, 0, v81
	v_and_b32_e32 v66, v66, v68
	v_not_b32_e32 v68, v70
	v_ashrrev_i32_e32 v67, 31, v67
	v_xor_b32_e32 v71, s15, v71
	v_lshl_add_u32 v65, v65, 3, v102
	v_and_b32_e32 v66, v66, v69
	v_cmp_gt_i32_e64 s15, 0, v70
	v_ashrrev_i32_e32 v68, 31, v68
	s_wait_alu 0xf1ff
	v_xor_b32_e32 v67, s14, v67
	v_lshl_add_u32 v65, v65, 2, v12
	v_and_b32_e32 v66, v66, v71
	v_xor_b32_e32 v68, s15, v68
	ds_load_b32 v82, v65 offset:32
	v_and_b32_e32 v66, v66, v67
	v_add_nc_u32_e32 v65, 32, v65
	; wave barrier
	s_delay_alu instid0(VALU_DEP_2) | instskip(NEXT) | instid1(VALU_DEP_1)
	v_and_b32_e32 v66, v66, v68
	v_mbcnt_lo_u32_b32 v84, v66, 0
	v_cmp_ne_u32_e64 s15, 0, v66
	s_delay_alu instid0(VALU_DEP_2)
	v_cmp_eq_u32_e64 s14, 0, v84
	s_and_b32 s15, s15, s14
	s_wait_alu 0xfffe
	s_and_saveexec_b32 s14, s15
	s_cbranch_execz .LBB502_186
; %bb.185:                              ;   in Loop: Header=BB502_172 Depth=1
	s_wait_dscnt 0x0
	v_bcnt_u32_b32 v66, v66, v82
	ds_store_b32 v65, v66
.LBB502_186:                            ;   in Loop: Header=BB502_172 Depth=1
	s_wait_alu 0xfffe
	s_or_b32 exec_lo, exec_lo, s14
	v_lshrrev_b32_e32 v66, v10, v148
	; wave barrier
	s_delay_alu instid0(VALU_DEP_1) | instskip(NEXT) | instid1(VALU_DEP_1)
	v_and_b32_e32 v64, v66, v64
	v_and_b32_e32 v66, 1, v64
	v_lshlrev_b32_e32 v67, 30, v64
	v_lshlrev_b32_e32 v68, 29, v64
	;; [unrolled: 1-line block ×4, first 2 shown]
	v_add_co_u32 v66, s14, v66, -1
	s_wait_alu 0xf1ff
	v_cndmask_b32_e64 v70, 0, 1, s14
	v_not_b32_e32 v83, v67
	v_cmp_gt_i32_e64 s15, 0, v67
	v_not_b32_e32 v67, v68
	v_lshlrev_b32_e32 v80, 26, v64
	v_cmp_ne_u32_e64 s14, 0, v70
	v_ashrrev_i32_e32 v83, 31, v83
	v_lshlrev_b32_e32 v81, 25, v64
	v_ashrrev_i32_e32 v67, 31, v67
	v_lshlrev_b32_e32 v70, 24, v64
	s_wait_alu 0xf1ff
	v_xor_b32_e32 v66, s14, v66
	v_cmp_gt_i32_e64 s14, 0, v68
	v_not_b32_e32 v68, v69
	v_xor_b32_e32 v83, s15, v83
	v_cmp_gt_i32_e64 s15, 0, v69
	v_and_b32_e32 v66, exec_lo, v66
	v_not_b32_e32 v69, v71
	v_ashrrev_i32_e32 v68, 31, v68
	s_wait_alu 0xf1ff
	v_xor_b32_e32 v67, s14, v67
	v_cmp_gt_i32_e64 s14, 0, v71
	v_and_b32_e32 v66, v66, v83
	v_not_b32_e32 v71, v80
	v_ashrrev_i32_e32 v69, 31, v69
	v_xor_b32_e32 v68, s15, v68
	v_cmp_gt_i32_e64 s15, 0, v80
	v_and_b32_e32 v66, v66, v67
	v_not_b32_e32 v67, v81
	v_ashrrev_i32_e32 v71, 31, v71
	s_wait_alu 0xf1ff
	v_xor_b32_e32 v69, s14, v69
	v_cmp_gt_i32_e64 s14, 0, v81
	v_and_b32_e32 v66, v66, v68
	v_not_b32_e32 v68, v70
	v_ashrrev_i32_e32 v67, 31, v67
	v_xor_b32_e32 v71, s15, v71
	v_lshl_add_u32 v64, v64, 3, v102
	v_and_b32_e32 v66, v66, v69
	v_cmp_gt_i32_e64 s15, 0, v70
	v_ashrrev_i32_e32 v68, 31, v68
	s_wait_alu 0xf1ff
	v_xor_b32_e32 v67, s14, v67
	v_lshl_add_u32 v64, v64, 2, v12
	v_and_b32_e32 v66, v66, v71
	v_xor_b32_e32 v68, s15, v68
	ds_load_b32 v164, v64 offset:32
	v_and_b32_e32 v66, v66, v67
	v_add_nc_u32_e32 v64, 32, v64
	; wave barrier
	s_delay_alu instid0(VALU_DEP_2) | instskip(NEXT) | instid1(VALU_DEP_1)
	v_and_b32_e32 v66, v66, v68
	v_mbcnt_lo_u32_b32 v165, v66, 0
	v_cmp_ne_u32_e64 s15, 0, v66
	s_delay_alu instid0(VALU_DEP_2)
	v_cmp_eq_u32_e64 s14, 0, v165
	s_and_b32 s15, s15, s14
	s_wait_alu 0xfffe
	s_and_saveexec_b32 s14, s15
	s_cbranch_execz .LBB502_188
; %bb.187:                              ;   in Loop: Header=BB502_172 Depth=1
	s_wait_dscnt 0x0
	v_bcnt_u32_b32 v66, v66, v164
	ds_store_b32 v64, v66
.LBB502_188:                            ;   in Loop: Header=BB502_172 Depth=1
	s_wait_alu 0xfffe
	s_or_b32 exec_lo, exec_lo, s14
	; wave barrier
	s_wait_loadcnt_dscnt 0x0
	s_barrier_signal -1
	s_barrier_wait -1
	global_inv scope:SCOPE_SE
	ds_load_b32 v67, v25
	ds_load_b32 v68, v86
	;; [unrolled: 1-line block ×8, first 2 shown]
	s_wait_dscnt 0x6
	v_add_nc_u32_e32 v83, v68, v67
	s_wait_dscnt 0x4
	s_delay_alu instid0(VALU_DEP_1) | instskip(SKIP_1) | instid1(VALU_DEP_1)
	v_add3_u32 v83, v83, v69, v70
	s_wait_dscnt 0x2
	v_add3_u32 v83, v83, v71, v80
	s_wait_dscnt 0x0
	s_delay_alu instid0(VALU_DEP_1) | instskip(NEXT) | instid1(VALU_DEP_1)
	v_add3_u32 v81, v83, v66, v81
	v_mov_b32_dpp v83, v81 row_shr:1 row_mask:0xf bank_mask:0xf
	s_wait_alu 0xfffd
	s_delay_alu instid0(VALU_DEP_1) | instskip(NEXT) | instid1(VALU_DEP_1)
	v_cndmask_b32_e64 v83, v83, 0, vcc_lo
	v_add_nc_u32_e32 v81, v83, v81
	s_delay_alu instid0(VALU_DEP_1) | instskip(NEXT) | instid1(VALU_DEP_1)
	v_mov_b32_dpp v83, v81 row_shr:2 row_mask:0xf bank_mask:0xf
	v_cndmask_b32_e64 v83, 0, v83, s0
	s_delay_alu instid0(VALU_DEP_1) | instskip(NEXT) | instid1(VALU_DEP_1)
	v_add_nc_u32_e32 v81, v81, v83
	v_mov_b32_dpp v83, v81 row_shr:4 row_mask:0xf bank_mask:0xf
	s_delay_alu instid0(VALU_DEP_1) | instskip(NEXT) | instid1(VALU_DEP_1)
	v_cndmask_b32_e64 v83, 0, v83, s1
	v_add_nc_u32_e32 v81, v81, v83
	s_delay_alu instid0(VALU_DEP_1) | instskip(NEXT) | instid1(VALU_DEP_1)
	v_mov_b32_dpp v83, v81 row_shr:8 row_mask:0xf bank_mask:0xf
	v_cndmask_b32_e64 v83, 0, v83, s3
	s_delay_alu instid0(VALU_DEP_1) | instskip(SKIP_3) | instid1(VALU_DEP_1)
	v_add_nc_u32_e32 v81, v81, v83
	ds_swizzle_b32 v83, v81 offset:swizzle(BROADCAST,32,15)
	s_wait_dscnt 0x0
	v_cndmask_b32_e64 v83, v83, 0, s4
	v_add_nc_u32_e32 v81, v81, v83
	s_and_saveexec_b32 s14, s5
; %bb.189:                              ;   in Loop: Header=BB502_172 Depth=1
	ds_store_b32 v112, v81
; %bb.190:                              ;   in Loop: Header=BB502_172 Depth=1
	s_wait_alu 0xfffe
	s_or_b32 exec_lo, exec_lo, s14
	s_wait_loadcnt_dscnt 0x0
	s_barrier_signal -1
	s_barrier_wait -1
	global_inv scope:SCOPE_SE
	s_and_saveexec_b32 s14, s6
	s_cbranch_execz .LBB502_192
; %bb.191:                              ;   in Loop: Header=BB502_172 Depth=1
	ds_load_b32 v83, v96
	s_wait_dscnt 0x0
	v_mov_b32_dpp v85, v83 row_shr:1 row_mask:0xf bank_mask:0xf
	s_delay_alu instid0(VALU_DEP_1) | instskip(NEXT) | instid1(VALU_DEP_1)
	v_cndmask_b32_e64 v85, v85, 0, s11
	v_add_nc_u32_e32 v83, v85, v83
	s_delay_alu instid0(VALU_DEP_1) | instskip(NEXT) | instid1(VALU_DEP_1)
	v_mov_b32_dpp v85, v83 row_shr:2 row_mask:0xf bank_mask:0xf
	v_cndmask_b32_e64 v85, 0, v85, s12
	s_delay_alu instid0(VALU_DEP_1) | instskip(NEXT) | instid1(VALU_DEP_1)
	v_add_nc_u32_e32 v83, v83, v85
	v_mov_b32_dpp v85, v83 row_shr:4 row_mask:0xf bank_mask:0xf
	s_delay_alu instid0(VALU_DEP_1) | instskip(NEXT) | instid1(VALU_DEP_1)
	v_cndmask_b32_e64 v85, 0, v85, s13
	v_add_nc_u32_e32 v83, v83, v85
	ds_store_b32 v96, v83
.LBB502_192:                            ;   in Loop: Header=BB502_172 Depth=1
	s_wait_alu 0xfffe
	s_or_b32 exec_lo, exec_lo, s14
	v_mov_b32_e32 v83, 0
	s_wait_loadcnt_dscnt 0x0
	s_barrier_signal -1
	s_barrier_wait -1
	global_inv scope:SCOPE_SE
	s_and_saveexec_b32 s14, s7
; %bb.193:                              ;   in Loop: Header=BB502_172 Depth=1
	ds_load_b32 v83, v114
; %bb.194:                              ;   in Loop: Header=BB502_172 Depth=1
	s_wait_alu 0xfffe
	s_or_b32 exec_lo, exec_lo, s14
	s_wait_dscnt 0x0
	v_add_nc_u32_e32 v81, v83, v81
	v_dual_mov_b32 v85, v5 :: v_dual_add_nc_u32 v10, 8, v10
	s_mov_b32 s20, -1
	ds_bpermute_b32 v81, v103, v81
	s_wait_dscnt 0x0
	v_cndmask_b32_e64 v81, v81, v83, s2
	v_mov_b32_e32 v83, v5
	s_delay_alu instid0(VALU_DEP_2) | instskip(NEXT) | instid1(VALU_DEP_1)
	v_cndmask_b32_e64 v81, v81, 0, s10
	v_add_nc_u32_e32 v67, v81, v67
	s_delay_alu instid0(VALU_DEP_1)
	v_add_nc_u32_e32 v68, v67, v68
	ds_store_b32 v25, v81
	ds_store_b32 v86, v67
	;; [unrolled: 1-line block ×3, first 2 shown]
	v_mov_b32_e32 v67, v5
	v_add_nc_u32_e32 v69, v68, v69
	s_delay_alu instid0(VALU_DEP_1) | instskip(NEXT) | instid1(VALU_DEP_1)
	v_add_nc_u32_e32 v70, v69, v70
	v_add_nc_u32_e32 v71, v70, v71
	s_delay_alu instid0(VALU_DEP_1) | instskip(NEXT) | instid1(VALU_DEP_1)
	v_add_nc_u32_e32 v80, v71, v80
	v_add_nc_u32_e32 v66, v80, v66
	ds_store_b32 v97, v69
	ds_store_b32 v98, v70
	;; [unrolled: 1-line block ×5, first 2 shown]
	s_wait_loadcnt_dscnt 0x0
	s_barrier_signal -1
	s_barrier_wait -1
	global_inv scope:SCOPE_SE
	ds_load_b32 v32, v32
	ds_load_b32 v35, v35
	;; [unrolled: 1-line block ×8, first 2 shown]
	v_mov_b32_e32 v81, v5
	v_mov_b32_e32 v71, v5
	;; [unrolled: 1-line block ×4, first 2 shown]
	v_cmp_lt_u32_e64 s14, v10, v11
	s_wait_loadcnt_dscnt 0x0
	v_add_nc_u32_e32 v4, v32, v4
	v_add3_u32 v66, v34, v33, v35
	v_add3_u32 v70, v37, v36, v38
	v_add3_u32 v64, v48, v39, v49
	v_add3_u32 v68, v51, v50, v52
	v_add3_u32 v80, v54, v53, v55
	v_lshlrev_b64_e32 v[32:33], 2, v[4:5]
	v_add3_u32 v82, v84, v82, v166
	v_add3_u32 v84, v165, v164, v167
	v_lshlrev_b64_e32 v[33:34], 2, v[66:67]
	v_lshlrev_b64_e32 v[34:35], 2, v[70:71]
	;; [unrolled: 1-line block ×7, first 2 shown]
	v_add_co_u32 v180, null, v12, v32
	v_add_co_u32 v179, null, v12, v33
	v_add_co_u32 v178, null, v12, v34
	v_add_co_u32 v177, null, v12, v35
	v_add_co_u32 v176, null, v12, v36
	v_add_co_u32 v167, null, v12, v37
	v_add_co_u32 v166, null, v12, v38
	v_add_co_u32 v165, null, v12, v48
                                        ; implicit-def: $vgpr164
                                        ; implicit-def: $vgpr85
                                        ; implicit-def: $vgpr81
                                        ; implicit-def: $vgpr71
                                        ; implicit-def: $vgpr69
                                        ; implicit-def: $vgpr67
                                        ; implicit-def: $vgpr65
                                        ; implicit-def: $vgpr83
                                        ; implicit-def: $vgpr32_vgpr33
                                        ; implicit-def: $vgpr36_vgpr37
                                        ; implicit-def: $vgpr38_vgpr39
                                        ; implicit-def: $vgpr48_vgpr49
                                        ; implicit-def: $vgpr50_vgpr51
                                        ; implicit-def: $vgpr52_vgpr53
                                        ; implicit-def: $vgpr54_vgpr55
                                        ; implicit-def: $vgpr34_vgpr35
	s_and_saveexec_b32 s15, s14
	s_cbranch_execz .LBB502_171
; %bb.195:                              ;   in Loop: Header=BB502_172 Depth=1
	v_lshl_add_u32 v32, v4, 2, v180
	v_lshl_add_u32 v33, v66, 2, v179
	;; [unrolled: 1-line block ×3, first 2 shown]
	s_barrier_signal -1
	s_barrier_wait -1
	global_inv scope:SCOPE_SE
	ds_store_b32 v180, v150
	ds_store_b32 v179, v163
	;; [unrolled: 1-line block ×8, first 2 shown]
	s_wait_loadcnt_dscnt 0x0
	s_barrier_signal -1
	s_barrier_wait -1
	global_inv scope:SCOPE_SE
	ds_load_b32 v83, v113
	ds_load_b32 v65, v115
	;; [unrolled: 1-line block ×8, first 2 shown]
	s_wait_loadcnt_dscnt 0x0
	s_barrier_signal -1
	s_barrier_wait -1
	global_inv scope:SCOPE_SE
	ds_store_b64 v32, v[22:23]
	ds_store_b64 v33, v[19:20]
	;; [unrolled: 1-line block ×3, first 2 shown]
	v_lshl_add_u32 v32, v64, 2, v177
	v_lshl_add_u32 v33, v68, 2, v176
	;; [unrolled: 1-line block ×5, first 2 shown]
	ds_store_b64 v32, v[15:16]
	ds_store_b64 v33, v[13:14]
	;; [unrolled: 1-line block ×5, first 2 shown]
	s_wait_loadcnt_dscnt 0x0
	s_barrier_signal -1
	s_barrier_wait -1
	global_inv scope:SCOPE_SE
	ds_load_b64 v[32:33], v118
	ds_load_b64 v[36:37], v131
	;; [unrolled: 1-line block ×8, first 2 shown]
	v_add_nc_u32_e32 v147, -8, v147
	s_xor_b32 s20, exec_lo, -1
	s_wait_loadcnt_dscnt 0x0
	s_barrier_signal -1
	s_barrier_wait -1
	global_inv scope:SCOPE_SE
	s_branch .LBB502_171
.LBB502_196:
	flat_load_b64 v[66:67], v[4:5]
	s_wait_alu 0xfffe
	s_or_b32 exec_lo, exec_lo, s17
                                        ; implicit-def: $vgpr64_vgpr65
	s_and_saveexec_b32 s17, s0
	s_cbranch_execz .LBB502_36
.LBB502_197:
	flat_load_b64 v[64:65], v[4:5] offset:256
	s_wait_alu 0xfffe
	s_or_b32 exec_lo, exec_lo, s17
                                        ; implicit-def: $vgpr68_vgpr69
	s_and_saveexec_b32 s0, s1
	s_cbranch_execz .LBB502_37
.LBB502_198:
	flat_load_b64 v[68:69], v[4:5] offset:512
	s_wait_alu 0xfffe
	s_or_b32 exec_lo, exec_lo, s0
                                        ; implicit-def: $vgpr70_vgpr71
	s_and_saveexec_b32 s0, s2
	s_cbranch_execz .LBB502_38
.LBB502_199:
	flat_load_b64 v[70:71], v[4:5] offset:768
	s_wait_alu 0xfffe
	s_or_b32 exec_lo, exec_lo, s0
                                        ; implicit-def: $vgpr82_vgpr83
	s_and_saveexec_b32 s0, s3
	s_cbranch_execz .LBB502_39
.LBB502_200:
	flat_load_b64 v[82:83], v[4:5] offset:1024
	s_wait_alu 0xfffe
	s_or_b32 exec_lo, exec_lo, s0
                                        ; implicit-def: $vgpr80_vgpr81
	s_and_saveexec_b32 s0, s4
	s_cbranch_execz .LBB502_40
.LBB502_201:
	flat_load_b64 v[80:81], v[4:5] offset:1280
	s_wait_alu 0xfffe
	s_or_b32 exec_lo, exec_lo, s0
                                        ; implicit-def: $vgpr84_vgpr85
	s_and_saveexec_b32 s0, s5
	s_cbranch_execz .LBB502_41
.LBB502_202:
	flat_load_b64 v[84:85], v[4:5] offset:1536
	s_wait_alu 0xfffe
	s_or_b32 exec_lo, exec_lo, s0
                                        ; implicit-def: $vgpr86_vgpr87
	s_and_saveexec_b32 s0, s6
	s_cbranch_execz .LBB502_42
.LBB502_203:
	flat_load_b64 v[86:87], v[4:5] offset:1792
	s_wait_alu 0xfffe
	s_or_b32 exec_lo, exec_lo, s0
                                        ; implicit-def: $vgpr97_vgpr98
	s_and_saveexec_b32 s0, s7
	s_cbranch_execz .LBB502_43
.LBB502_204:
	flat_load_b64 v[97:98], v[4:5] offset:2048
	s_wait_alu 0xfffe
	s_or_b32 exec_lo, exec_lo, s0
                                        ; implicit-def: $vgpr102_vgpr103
	s_and_saveexec_b32 s0, s10
	s_cbranch_execz .LBB502_44
.LBB502_205:
	flat_load_b64 v[102:103], v[4:5] offset:2304
	s_wait_alu 0xfffe
	s_or_b32 exec_lo, exec_lo, s0
                                        ; implicit-def: $vgpr131_vgpr132
	s_and_saveexec_b32 s0, s11
	s_cbranch_execz .LBB502_45
.LBB502_206:
	flat_load_b64 v[131:132], v[4:5] offset:2560
	s_wait_alu 0xfffe
	s_or_b32 exec_lo, exec_lo, s0
                                        ; implicit-def: $vgpr133_vgpr134
	s_and_saveexec_b32 s0, s12
	s_cbranch_execz .LBB502_46
.LBB502_207:
	flat_load_b64 v[133:134], v[4:5] offset:2816
	s_wait_alu 0xfffe
	s_or_b32 exec_lo, exec_lo, s0
                                        ; implicit-def: $vgpr149_vgpr150
	s_and_saveexec_b32 s0, s13
	s_cbranch_execz .LBB502_47
.LBB502_208:
	flat_load_b64 v[149:150], v[4:5] offset:3072
	s_wait_alu 0xfffe
	s_or_b32 exec_lo, exec_lo, s0
                                        ; implicit-def: $vgpr165_vgpr166
	s_and_saveexec_b32 s0, s14
	s_cbranch_execz .LBB502_48
.LBB502_209:
	flat_load_b64 v[165:166], v[4:5] offset:3328
	s_wait_alu 0xfffe
	s_or_b32 exec_lo, exec_lo, s0
                                        ; implicit-def: $vgpr176_vgpr177
	s_and_saveexec_b32 s0, s15
	s_cbranch_execz .LBB502_49
.LBB502_210:
	flat_load_b64 v[176:177], v[4:5] offset:3584
	s_wait_alu 0xfffe
	s_or_b32 exec_lo, exec_lo, s0
                                        ; implicit-def: $vgpr178_vgpr179
	s_and_saveexec_b32 s0, s16
	s_cbranch_execnz .LBB502_50
	s_branch .LBB502_51
.LBB502_211:
	flat_store_b64 v[0:1], v[36:37]
	s_wait_alu 0xfffe
	s_or_b32 exec_lo, exec_lo, s17
	s_and_saveexec_b32 s17, s0
	s_cbranch_execz .LBB502_127
.LBB502_212:
	flat_store_b64 v[0:1], v[38:39] offset:2048
	s_wait_alu 0xfffe
	s_or_b32 exec_lo, exec_lo, s17
	s_and_saveexec_b32 s0, s1
	s_cbranch_execz .LBB502_128
.LBB502_213:
	flat_store_b64 v[0:1], v[32:33] offset:4096
	s_wait_alu 0xfffe
	s_or_b32 exec_lo, exec_lo, s0
	s_and_saveexec_b32 s0, s2
	s_cbranch_execz .LBB502_129
.LBB502_214:
	flat_store_b64 v[0:1], v[34:35] offset:6144
	s_wait_alu 0xfffe
	s_or_b32 exec_lo, exec_lo, s0
	s_and_saveexec_b32 s0, s3
	s_cbranch_execz .LBB502_130
.LBB502_215:
	flat_store_b64 v[0:1], v[28:29] offset:8192
	s_wait_alu 0xfffe
	s_or_b32 exec_lo, exec_lo, s0
	s_and_saveexec_b32 s0, s4
	s_cbranch_execz .LBB502_131
.LBB502_216:
	flat_store_b64 v[0:1], v[30:31] offset:10240
	s_wait_alu 0xfffe
	s_or_b32 exec_lo, exec_lo, s0
	s_and_saveexec_b32 s0, s5
	s_cbranch_execz .LBB502_132
.LBB502_217:
	flat_store_b64 v[0:1], v[24:25] offset:12288
	s_wait_alu 0xfffe
	s_or_b32 exec_lo, exec_lo, s0
	s_and_saveexec_b32 s0, s6
	s_cbranch_execz .LBB502_133
.LBB502_218:
	flat_store_b64 v[0:1], v[26:27] offset:14336
	s_wait_alu 0xfffe
	s_or_b32 exec_lo, exec_lo, s0
	s_and_saveexec_b32 s0, s7
	s_cbranch_execz .LBB502_134
.LBB502_219:
	flat_store_b64 v[0:1], v[20:21] offset:16384
	s_wait_alu 0xfffe
	s_or_b32 exec_lo, exec_lo, s0
	s_and_saveexec_b32 s0, s10
	s_cbranch_execz .LBB502_135
.LBB502_220:
	flat_store_b64 v[0:1], v[22:23] offset:18432
	s_wait_alu 0xfffe
	s_or_b32 exec_lo, exec_lo, s0
	s_and_saveexec_b32 s0, s11
	s_cbranch_execz .LBB502_136
.LBB502_221:
	flat_store_b64 v[0:1], v[16:17] offset:20480
	s_wait_alu 0xfffe
	s_or_b32 exec_lo, exec_lo, s0
	s_and_saveexec_b32 s0, s12
	s_cbranch_execz .LBB502_137
.LBB502_222:
	flat_store_b64 v[0:1], v[18:19] offset:22528
	s_wait_alu 0xfffe
	s_or_b32 exec_lo, exec_lo, s0
	s_and_saveexec_b32 s0, s13
	s_cbranch_execz .LBB502_138
.LBB502_223:
	flat_store_b64 v[0:1], v[12:13] offset:24576
	s_wait_alu 0xfffe
	s_or_b32 exec_lo, exec_lo, s0
	s_and_saveexec_b32 s0, s14
	s_cbranch_execz .LBB502_139
.LBB502_224:
	flat_store_b64 v[0:1], v[14:15] offset:26624
	s_wait_alu 0xfffe
	s_or_b32 exec_lo, exec_lo, s0
	s_and_saveexec_b32 s0, s15
	s_cbranch_execz .LBB502_140
.LBB502_225:
	flat_store_b64 v[0:1], v[8:9] offset:28672
	s_wait_alu 0xfffe
	s_or_b32 exec_lo, exec_lo, s0
	s_and_saveexec_b32 s0, s16
	s_cbranch_execnz .LBB502_141
	s_branch .LBB502_142
.LBB502_226:
	s_or_b32 exec_lo, exec_lo, s19
	v_lshl_add_u32 v4, v4, 2, v180
	v_lshl_add_u32 v5, v66, 2, v179
	;; [unrolled: 1-line block ×3, first 2 shown]
	s_barrier_signal -1
	s_barrier_wait -1
	s_wait_loadcnt 0x0
	global_inv scope:SCOPE_SE
	ds_store_b32 v180, v150
	ds_store_b32 v179, v163
	;; [unrolled: 1-line block ×8, first 2 shown]
	s_wait_loadcnt_dscnt 0x0
	s_barrier_signal -1
	s_barrier_wait -1
	global_inv scope:SCOPE_SE
	ds_load_2addr_stride64_b32 v[38:39], v96 offset1:4
	ds_load_2addr_stride64_b32 v[36:37], v96 offset0:8 offset1:12
	ds_load_2addr_stride64_b32 v[34:35], v96 offset0:16 offset1:20
	;; [unrolled: 1-line block ×3, first 2 shown]
	s_wait_loadcnt_dscnt 0x0
	s_barrier_signal -1
	s_barrier_wait -1
	global_inv scope:SCOPE_SE
	ds_store_b64 v4, v[22:23]
	ds_store_b64 v5, v[19:20]
	;; [unrolled: 1-line block ×3, first 2 shown]
	v_lshl_add_u32 v4, v64, 2, v177
	v_lshl_add_u32 v5, v68, 2, v176
	;; [unrolled: 1-line block ×5, first 2 shown]
	ds_store_b64 v4, v[15:16]
	ds_store_b64 v5, v[13:14]
	;; [unrolled: 1-line block ×5, first 2 shown]
	v_lshl_add_u32 v4, v21, 3, v12
	s_wait_loadcnt_dscnt 0x0
	s_barrier_signal -1
	s_barrier_wait -1
	global_inv scope:SCOPE_SE
	ds_load_2addr_stride64_b64 v[20:23], v4 offset1:4
	ds_load_2addr_stride64_b64 v[16:19], v4 offset0:8 offset1:12
	ds_load_2addr_stride64_b64 v[12:15], v4 offset0:16 offset1:20
	;; [unrolled: 1-line block ×3, first 2 shown]
	v_mov_b32_e32 v25, 0
	v_add_co_u32 v2, vcc_lo, v2, v26
	s_wait_alu 0xfffd
	v_add_co_ci_u32_e64 v3, null, v3, v27, vcc_lo
	s_delay_alu instid0(VALU_DEP_3)
	v_lshlrev_b64_e32 v[4:5], 2, v[24:25]
	s_wait_loadcnt_dscnt 0x0
	s_barrier_signal -1
	s_barrier_wait -1
	global_inv scope:SCOPE_SE
	v_add_co_u32 v2, vcc_lo, v2, v4
	s_wait_alu 0xfffd
	v_add_co_ci_u32_e64 v3, null, v3, v5, vcc_lo
	v_cmp_lt_u32_e32 vcc_lo, v24, v135
	s_and_saveexec_b32 s0, vcc_lo
	s_cbranch_execz .LBB502_228
; %bb.227:
	v_xor_b32_e32 v4, 0x7fffffff, v38
	flat_store_b32 v[2:3], v4
.LBB502_228:
	s_wait_alu 0xfffe
	s_or_b32 exec_lo, exec_lo, s0
	v_add_nc_u32_e32 v4, 0x100, v24
	s_delay_alu instid0(VALU_DEP_1)
	v_cmp_lt_u32_e64 s0, v4, v135
	s_and_saveexec_b32 s1, s0
	s_cbranch_execz .LBB502_230
; %bb.229:
	v_xor_b32_e32 v4, 0x7fffffff, v39
	flat_store_b32 v[2:3], v4 offset:1024
.LBB502_230:
	s_wait_alu 0xfffe
	s_or_b32 exec_lo, exec_lo, s1
	v_add_nc_u32_e32 v4, 0x200, v24
	s_delay_alu instid0(VALU_DEP_1)
	v_cmp_lt_u32_e64 s1, v4, v135
	s_and_saveexec_b32 s2, s1
	s_cbranch_execz .LBB502_232
; %bb.231:
	v_xor_b32_e32 v4, 0x7fffffff, v36
	flat_store_b32 v[2:3], v4 offset:2048
.LBB502_232:
	;; [unrolled: 11-line block ×7, first 2 shown]
	s_wait_alu 0xfffe
	s_or_b32 exec_lo, exec_lo, s7
	v_lshlrev_b64_e32 v[2:3], 3, v[24:25]
	v_add_co_u32 v0, s7, v6, v0
	s_wait_alu 0xf1ff
	v_add_co_ci_u32_e64 v1, null, v7, v1, s7
	s_delay_alu instid0(VALU_DEP_2) | instskip(SKIP_1) | instid1(VALU_DEP_2)
	v_add_co_u32 v0, s7, v0, v2
	s_wait_alu 0xf1ff
	v_add_co_ci_u32_e64 v1, null, v1, v3, s7
	s_and_saveexec_b32 s7, vcc_lo
	s_cbranch_execnz .LBB502_292
; %bb.243:
	s_wait_alu 0xfffe
	s_or_b32 exec_lo, exec_lo, s7
	s_and_saveexec_b32 s7, s0
	s_cbranch_execnz .LBB502_293
.LBB502_244:
	s_wait_alu 0xfffe
	s_or_b32 exec_lo, exec_lo, s7
	s_and_saveexec_b32 s0, s1
	s_cbranch_execnz .LBB502_294
.LBB502_245:
	s_wait_alu 0xfffe
	s_or_b32 exec_lo, exec_lo, s0
	s_and_saveexec_b32 s0, s2
	s_cbranch_execnz .LBB502_295
.LBB502_246:
	s_wait_alu 0xfffe
	s_or_b32 exec_lo, exec_lo, s0
	s_and_saveexec_b32 s0, s3
	s_cbranch_execnz .LBB502_296
.LBB502_247:
	s_wait_alu 0xfffe
	s_or_b32 exec_lo, exec_lo, s0
	s_and_saveexec_b32 s0, s4
	s_cbranch_execnz .LBB502_297
.LBB502_248:
	s_wait_alu 0xfffe
	s_or_b32 exec_lo, exec_lo, s0
	s_and_saveexec_b32 s0, s5
	s_cbranch_execnz .LBB502_298
.LBB502_249:
	s_wait_alu 0xfffe
	s_or_b32 exec_lo, exec_lo, s0
	s_and_saveexec_b32 s0, s6
	s_cbranch_execz .LBB502_251
.LBB502_250:
	flat_store_b64 v[0:1], v[10:11] offset:14336
.LBB502_251:
	s_wait_alu 0xfffe
	s_or_b32 exec_lo, exec_lo, s0
                                        ; implicit-def: $vgpr135
                                        ; implicit-def: $vgpr0
                                        ; implicit-def: $vgpr1
                                        ; implicit-def: $vgpr2
                                        ; implicit-def: $vgpr3
                                        ; implicit-def: $vgpr4
                                        ; implicit-def: $vgpr5
                                        ; implicit-def: $vgpr6
                                        ; implicit-def: $vgpr7
                                        ; implicit-def: $vgpr8
                                        ; implicit-def: $vgpr10
                                        ; implicit-def: $vgpr11
                                        ; implicit-def: $vgpr12
                                        ; implicit-def: $vgpr9
                                        ; implicit-def: $vgpr13
                                        ; implicit-def: $vgpr21
                                        ; implicit-def: $vgpr96
.LBB502_252:
	s_wait_alu 0xfffe
	s_and_not1_saveexec_b32 s0, s16
	s_cbranch_execz .LBB502_372
; %bb.253:
	s_mov_b32 s0, exec_lo
	v_cmpx_lt_u32_e32 0x200, v135
	s_wait_alu 0xfffe
	s_xor_b32 s16, exec_lo, s0
	s_cbranch_execz .LBB502_313
; %bb.254:
	s_load_b64 s[0:1], s[8:9], 0x0
	s_and_b32 s2, ttmp7, 0xffff
	s_mov_b32 s3, 0
	v_lshlrev_b32_e32 v16, 2, v96
	s_wait_kmcnt 0x0
	s_wait_alu 0xfffe
	s_cmp_lt_u32 s2, s1
	s_cselect_b32 s2, 14, 20
	s_cmp_lt_u32 ttmp9, s0
	s_wait_alu 0xfffe
	s_add_nc_u64 s[4:5], s[8:9], s[2:3]
	s_cselect_b32 s2, 12, 18
	s_load_u16 s4, s[4:5], 0x0
	s_add_nc_u64 s[0:1], s[8:9], s[2:3]
	s_load_u16 s0, s[0:1], 0x0
	s_wait_kmcnt 0x0
	v_mad_u32_u24 v9, v13, s4, v9
	v_bfrev_b32_e32 v13, 1
	s_delay_alu instid0(VALU_DEP_2) | instskip(NEXT) | instid1(VALU_DEP_2)
	v_mad_co_u64_u32 v[17:18], null, v9, s0, v[21:22]
	v_dual_mov_b32 v9, 0 :: v_dual_mov_b32 v14, v13
	v_mov_b32_e32 v15, v13
	s_delay_alu instid0(VALU_DEP_2) | instskip(NEXT) | instid1(VALU_DEP_4)
	v_lshlrev_b64_e32 v[19:20], 2, v[8:9]
	v_dual_mov_b32 v23, v9 :: v_dual_lshlrev_b32 v18, 2, v17
	s_delay_alu instid0(VALU_DEP_2) | instskip(NEXT) | instid1(VALU_DEP_2)
	v_add_co_u32 v24, vcc_lo, v0, v19
	v_and_b32_e32 v22, 0xffffff80, v18
	s_wait_alu 0xfffd
	s_delay_alu instid0(VALU_DEP_4) | instskip(NEXT) | instid1(VALU_DEP_3)
	v_add_co_ci_u32_e64 v25, null, v1, v20, vcc_lo
	v_add_co_u32 v16, vcc_lo, v24, v16
	s_delay_alu instid0(VALU_DEP_3) | instskip(SKIP_3) | instid1(VALU_DEP_3)
	v_lshlrev_b64_e32 v[0:1], 2, v[22:23]
	v_or_b32_e32 v18, v22, v96
	s_wait_alu 0xfffd
	v_add_co_ci_u32_e64 v24, null, 0, v25, vcc_lo
	v_add_co_u32 v0, s0, v16, v0
	s_delay_alu instid0(VALU_DEP_3) | instskip(SKIP_1) | instid1(VALU_DEP_3)
	v_cmp_lt_u32_e32 vcc_lo, v18, v135
	s_wait_alu 0xf1ff
	v_add_co_ci_u32_e64 v1, null, v24, v1, s0
	v_mov_b32_e32 v16, v13
	s_and_saveexec_b32 s0, vcc_lo
	s_cbranch_execz .LBB502_256
; %bb.255:
	flat_load_b32 v24, v[0:1]
	v_dual_mov_b32 v25, v13 :: v_dual_mov_b32 v26, v13
	v_mov_b32_e32 v27, v13
	s_wait_loadcnt_dscnt 0x0
	s_delay_alu instid0(VALU_DEP_2) | instskip(NEXT) | instid1(VALU_DEP_2)
	v_dual_mov_b32 v13, v24 :: v_dual_mov_b32 v14, v25
	v_dual_mov_b32 v15, v26 :: v_dual_mov_b32 v16, v27
.LBB502_256:
	s_wait_alu 0xfffe
	s_or_b32 exec_lo, exec_lo, s0
	v_or_b32_e32 v24, 32, v18
	s_delay_alu instid0(VALU_DEP_1)
	v_cmp_lt_u32_e64 s0, v24, v135
	s_and_saveexec_b32 s1, s0
	s_cbranch_execz .LBB502_258
; %bb.257:
	flat_load_b32 v14, v[0:1] offset:128
.LBB502_258:
	s_wait_alu 0xfffe
	s_or_b32 exec_lo, exec_lo, s1
	v_or_b32_e32 v24, 64, v18
	s_delay_alu instid0(VALU_DEP_1)
	v_cmp_lt_u32_e64 s1, v24, v135
	s_and_saveexec_b32 s2, s1
	s_cbranch_execz .LBB502_260
; %bb.259:
	flat_load_b32 v15, v[0:1] offset:256
.LBB502_260:
	s_wait_alu 0xfffe
	s_or_b32 exec_lo, exec_lo, s2
	v_or_b32_e32 v18, 0x60, v18
	s_delay_alu instid0(VALU_DEP_1)
	v_cmp_lt_u32_e64 s2, v18, v135
	s_and_saveexec_b32 s3, s2
	s_cbranch_execz .LBB502_262
; %bb.261:
	flat_load_b32 v16, v[0:1] offset:384
.LBB502_262:
	s_wait_alu 0xfffe
	s_or_b32 exec_lo, exec_lo, s3
	v_lshlrev_b64_e32 v[0:1], 3, v[8:9]
	v_lshlrev_b32_e32 v8, 3, v96
                                        ; implicit-def: $vgpr26_vgpr27
	s_delay_alu instid0(VALU_DEP_2) | instskip(SKIP_1) | instid1(VALU_DEP_3)
	v_add_co_u32 v9, s3, v4, v0
	s_wait_alu 0xf1ff
	v_add_co_ci_u32_e64 v18, null, v5, v1, s3
	v_lshlrev_b64_e32 v[4:5], 3, v[22:23]
	s_delay_alu instid0(VALU_DEP_3) | instskip(SKIP_1) | instid1(VALU_DEP_3)
	v_add_co_u32 v8, s3, v9, v8
	s_wait_alu 0xf1ff
	v_add_co_ci_u32_e64 v9, null, 0, v18, s3
	s_delay_alu instid0(VALU_DEP_2) | instskip(SKIP_1) | instid1(VALU_DEP_2)
	v_add_co_u32 v4, s3, v8, v4
	s_wait_alu 0xf1ff
	v_add_co_ci_u32_e64 v5, null, v9, v5, s3
	s_and_saveexec_b32 s3, vcc_lo
	s_cbranch_execnz .LBB502_337
; %bb.263:
	s_wait_alu 0xfffe
	s_or_b32 exec_lo, exec_lo, s3
                                        ; implicit-def: $vgpr28_vgpr29
	s_and_saveexec_b32 s3, s0
	s_cbranch_execnz .LBB502_338
.LBB502_264:
	s_wait_alu 0xfffe
	s_or_b32 exec_lo, exec_lo, s3
                                        ; implicit-def: $vgpr30_vgpr31
	s_and_saveexec_b32 s0, s1
	s_cbranch_execnz .LBB502_339
.LBB502_265:
	s_wait_alu 0xfffe
	s_or_b32 exec_lo, exec_lo, s0
                                        ; implicit-def: $vgpr24_vgpr25
	s_and_saveexec_b32 s0, s2
	s_cbranch_execz .LBB502_267
.LBB502_266:
	flat_load_b64 v[24:25], v[4:5] offset:768
.LBB502_267:
	s_wait_alu 0xfffe
	s_or_b32 exec_lo, exec_lo, s0
	v_lshl_add_u32 v4, v21, 5, v12
	v_and_b32_e32 v8, 0x3e0, v21
	v_and_b32_e32 v5, 15, v96
	s_getpc_b64 s[0:1]
	s_wait_alu 0xfffe
	s_sext_i32_i16 s1, s1
	s_add_co_u32 s0, s0, _ZN7rocprim17ROCPRIM_400000_NS16block_radix_sortIiLj256ELj4ElLj1ELj1ELj8ELNS0_26block_radix_rank_algorithmE2ELNS0_18block_padding_hintE2ELNS0_4arch9wavefront6targetE0EE19radix_bits_per_passE@rel32@lo+12
	s_wait_alu 0xfffe
	s_add_co_ci_u32 s1, s1, _ZN7rocprim17ROCPRIM_400000_NS16block_radix_sortIiLj256ELj4ElLj1ELj1ELj8ELNS0_26block_radix_rank_algorithmE2ELNS0_18block_padding_hintE2ELNS0_4arch9wavefront6targetE0EE19radix_bits_per_passE@rel32@hi+24
	v_xor_b32_e32 v87, 0x7fffffff, v13
	v_add_nc_u32_e32 v18, 32, v4
	v_add_nc_u32_e32 v38, 36, v4
	;; [unrolled: 1-line block ×8, first 2 shown]
	v_min_u32_e32 v4, 0xe0, v8
	v_and_b32_e32 v8, 16, v96
	s_load_b32 s17, s[0:1], 0x0
	v_cmp_eq_u32_e32 vcc_lo, 0, v5
	v_cmp_lt_u32_e64 s0, 1, v5
	v_or_b32_e32 v4, 31, v4
	v_cmp_eq_u32_e64 s4, 0, v8
	v_lshlrev_b32_e32 v8, 2, v21
	v_cmp_lt_u32_e64 s1, 3, v5
	v_cmp_lt_u32_e64 s2, 7, v5
	v_sub_co_u32 v5, s3, v96, 1
	s_delay_alu instid0(VALU_DEP_4) | instskip(SKIP_2) | instid1(VALU_DEP_4)
	v_and_or_b32 v9, 0xf80, v8, v96
	v_cmp_eq_u32_e64 s5, v21, v4
	v_lshrrev_b32_e32 v4, 3, v21
	v_cmp_gt_i32_e64 s6, 0, v5
	s_wait_loadcnt_dscnt 0x0
	v_xor_b32_e32 v33, 0x7fffffff, v14
	v_lshlrev_b32_e32 v9, 2, v9
	v_xor_b32_e32 v35, 0x7fffffff, v15
	v_and_b32_e32 v4, 0x7c, v4
	s_wait_alu 0xf1ff
	v_cndmask_b32_e64 v5, v5, v96, s6
	v_xor_b32_e32 v37, 0x7fffffff, v16
	v_add_nc_u32_e32 v65, v12, v9
	v_lshrrev_b32_e32 v53, 5, v17
	v_add_nc_u32_e32 v64, v12, v4
	v_and_b32_e32 v4, 7, v96
	v_cmp_gt_u32_e64 s6, 8, v21
	v_add_nc_u32_e32 v66, v65, v9
	v_cmp_lt_u32_e64 s7, 31, v21
	v_lshlrev_b32_e32 v55, 2, v5
	v_cmp_eq_u32_e64 s10, 0, v21
	v_mov_b32_e32 v5, 0
	v_add_co_u32 v54, null, v12, v8
	v_cmp_eq_u32_e64 s11, 0, v4
	v_cmp_lt_u32_e64 s12, 1, v4
	v_cmp_lt_u32_e64 s13, 3, v4
	v_add_nc_u32_e32 v67, -4, v64
	v_add_nc_u32_e32 v68, 0x80, v65
	v_add_nc_u32_e32 v69, 0x100, v65
	;; [unrolled: 1-line block ×6, first 2 shown]
	v_sub_nc_u32_e32 v82, v11, v10
	s_mov_b32 s19, 0
	s_wait_storecnt 0x0
	s_barrier_signal -1
	s_barrier_wait -1
	global_inv scope:SCOPE_SE
	s_branch .LBB502_269
.LBB502_268:                            ;   in Loop: Header=BB502_269 Depth=1
	s_wait_alu 0xfffe
	s_or_b32 exec_lo, exec_lo, s15
	s_delay_alu instid0(SALU_CYCLE_1)
	s_and_b32 s14, exec_lo, s20
	s_wait_alu 0xfffe
	s_or_b32 s19, s14, s19
	s_wait_alu 0xfffe
	s_and_not1_b32 exec_lo, exec_lo, s19
	s_cbranch_execz .LBB502_299
.LBB502_269:                            ; =>This Inner Loop Header: Depth=1
	s_wait_kmcnt 0x0
	v_min_u32_e32 v4, s17, v82
	v_dual_mov_b32 v83, v87 :: v_dual_mov_b32 v84, v37
	v_dual_mov_b32 v86, v33 :: v_dual_mov_b32 v15, v26
	s_delay_alu instid0(VALU_DEP_3) | instskip(NEXT) | instid1(VALU_DEP_3)
	v_lshlrev_b32_e64 v4, v4, -1
	v_lshrrev_b32_e32 v8, v10, v83
	v_dual_mov_b32 v16, v27 :: v_dual_mov_b32 v13, v28
	v_mov_b32_e32 v14, v29
	s_delay_alu instid0(VALU_DEP_4)
	v_not_b32_e32 v32, v4
	v_mov_b32_e32 v85, v35
	ds_store_b32 v18, v5
	ds_store_b32 v38, v5
	;; [unrolled: 1-line block ×6, first 2 shown]
	v_and_b32_e32 v4, v8, v32
	v_dual_mov_b32 v8, v30 :: v_dual_mov_b32 v9, v31
	ds_store_b32 v51, v5
	ds_store_b32 v52, v5
	v_and_b32_e32 v22, 1, v4
	v_lshlrev_b32_e32 v23, 30, v4
	v_lshlrev_b32_e32 v26, 29, v4
	;; [unrolled: 1-line block ×4, first 2 shown]
	v_add_co_u32 v22, s14, v22, -1
	s_wait_alu 0xf1ff
	v_cndmask_b32_e64 v28, 0, 1, s14
	v_not_b32_e32 v33, v23
	v_cmp_gt_i32_e64 s15, 0, v23
	v_not_b32_e32 v23, v26
	v_lshlrev_b32_e32 v30, 26, v4
	v_cmp_ne_u32_e64 s14, 0, v28
	v_ashrrev_i32_e32 v33, 31, v33
	v_lshlrev_b32_e32 v31, 25, v4
	v_ashrrev_i32_e32 v23, 31, v23
	v_lshlrev_b32_e32 v28, 24, v4
	s_wait_alu 0xf1ff
	v_xor_b32_e32 v22, s14, v22
	v_cmp_gt_i32_e64 s14, 0, v26
	v_not_b32_e32 v26, v27
	v_xor_b32_e32 v33, s15, v33
	v_cmp_gt_i32_e64 s15, 0, v27
	v_and_b32_e32 v22, exec_lo, v22
	v_not_b32_e32 v27, v29
	v_ashrrev_i32_e32 v26, 31, v26
	s_wait_alu 0xf1ff
	v_xor_b32_e32 v23, s14, v23
	v_cmp_gt_i32_e64 s14, 0, v29
	v_and_b32_e32 v22, v22, v33
	v_not_b32_e32 v29, v30
	v_ashrrev_i32_e32 v27, 31, v27
	v_xor_b32_e32 v26, s15, v26
	v_cmp_gt_i32_e64 s15, 0, v30
	v_and_b32_e32 v22, v22, v23
	v_not_b32_e32 v23, v31
	v_ashrrev_i32_e32 v29, 31, v29
	s_wait_alu 0xf1ff
	v_xor_b32_e32 v27, s14, v27
	v_cmp_gt_i32_e64 s14, 0, v31
	v_and_b32_e32 v22, v22, v26
	v_not_b32_e32 v26, v28
	v_ashrrev_i32_e32 v30, 31, v23
	v_xor_b32_e32 v29, s15, v29
	v_cmp_gt_i32_e64 s15, 0, v28
	v_dual_mov_b32 v22, v24 :: v_dual_and_b32 v27, v22, v27
	v_mov_b32_e32 v23, v25
	v_ashrrev_i32_e32 v24, 31, v26
	s_wait_alu 0xf1ff
	v_xor_b32_e32 v25, s14, v30
	v_and_b32_e32 v26, v27, v29
	v_lshl_add_u32 v4, v4, 3, v53
	s_wait_loadcnt_dscnt 0x0
	v_xor_b32_e32 v24, s15, v24
	s_barrier_signal -1
	v_and_b32_e32 v25, v26, v25
	v_lshlrev_b64_e32 v[26:27], 2, v[4:5]
	s_barrier_wait -1
	global_inv scope:SCOPE_SE
	v_and_b32_e32 v25, v25, v24
	; wave barrier
	v_add_co_u32 v24, null, v12, v26
	s_delay_alu instid0(VALU_DEP_2) | instskip(SKIP_1) | instid1(VALU_DEP_3)
	v_mbcnt_lo_u32_b32 v4, v25, 0
	v_cmp_ne_u32_e64 s15, 0, v25
	v_add_co_u32 v24, null, v24, 32
	s_delay_alu instid0(VALU_DEP_3)
	v_cmp_eq_u32_e64 s14, 0, v4
	s_and_b32 s15, s15, s14
	s_wait_alu 0xfffe
	s_and_saveexec_b32 s14, s15
; %bb.270:                              ;   in Loop: Header=BB502_269 Depth=1
	v_bcnt_u32_b32 v25, v25, 0
	ds_store_b32 v24, v25
; %bb.271:                              ;   in Loop: Header=BB502_269 Depth=1
	s_wait_alu 0xfffe
	s_or_b32 exec_lo, exec_lo, s14
	v_lshrrev_b32_e32 v25, v10, v86
	; wave barrier
	s_delay_alu instid0(VALU_DEP_1) | instskip(NEXT) | instid1(VALU_DEP_1)
	v_and_b32_e32 v25, v25, v32
	v_and_b32_e32 v26, 1, v25
	v_lshlrev_b32_e32 v27, 30, v25
	v_lshlrev_b32_e32 v28, 29, v25
	;; [unrolled: 1-line block ×4, first 2 shown]
	v_add_co_u32 v26, s14, v26, -1
	s_wait_alu 0xf1ff
	v_cndmask_b32_e64 v30, 0, 1, s14
	v_not_b32_e32 v35, v27
	v_cmp_gt_i32_e64 s15, 0, v27
	v_not_b32_e32 v27, v28
	v_lshlrev_b32_e32 v33, 26, v25
	v_cmp_ne_u32_e64 s14, 0, v30
	v_ashrrev_i32_e32 v35, 31, v35
	v_lshlrev_b32_e32 v34, 25, v25
	v_ashrrev_i32_e32 v27, 31, v27
	v_lshlrev_b32_e32 v30, 24, v25
	s_wait_alu 0xf1ff
	v_xor_b32_e32 v26, s14, v26
	v_cmp_gt_i32_e64 s14, 0, v28
	v_not_b32_e32 v28, v29
	v_xor_b32_e32 v35, s15, v35
	v_cmp_gt_i32_e64 s15, 0, v29
	v_and_b32_e32 v26, exec_lo, v26
	v_not_b32_e32 v29, v31
	v_ashrrev_i32_e32 v28, 31, v28
	s_wait_alu 0xf1ff
	v_xor_b32_e32 v27, s14, v27
	v_cmp_gt_i32_e64 s14, 0, v31
	v_and_b32_e32 v26, v26, v35
	v_not_b32_e32 v31, v33
	v_ashrrev_i32_e32 v29, 31, v29
	v_xor_b32_e32 v28, s15, v28
	v_cmp_gt_i32_e64 s15, 0, v33
	v_and_b32_e32 v26, v26, v27
	v_not_b32_e32 v27, v34
	v_ashrrev_i32_e32 v31, 31, v31
	s_wait_alu 0xf1ff
	v_xor_b32_e32 v29, s14, v29
	v_cmp_gt_i32_e64 s14, 0, v34
	v_and_b32_e32 v26, v26, v28
	v_not_b32_e32 v28, v30
	v_ashrrev_i32_e32 v27, 31, v27
	v_xor_b32_e32 v31, s15, v31
	v_lshl_add_u32 v25, v25, 3, v53
	v_and_b32_e32 v26, v26, v29
	v_cmp_gt_i32_e64 s15, 0, v30
	v_ashrrev_i32_e32 v28, 31, v28
	s_wait_alu 0xf1ff
	v_xor_b32_e32 v27, s14, v27
	v_lshl_add_u32 v29, v25, 2, v12
	v_and_b32_e32 v26, v26, v31
	v_xor_b32_e32 v28, s15, v28
	ds_load_b32 v25, v29 offset:32
	v_and_b32_e32 v26, v26, v27
	v_add_nc_u32_e32 v27, 32, v29
	; wave barrier
	s_delay_alu instid0(VALU_DEP_2) | instskip(NEXT) | instid1(VALU_DEP_1)
	v_and_b32_e32 v28, v26, v28
	v_mbcnt_lo_u32_b32 v26, v28, 0
	v_cmp_ne_u32_e64 s15, 0, v28
	s_delay_alu instid0(VALU_DEP_2)
	v_cmp_eq_u32_e64 s14, 0, v26
	s_and_b32 s15, s15, s14
	s_wait_alu 0xfffe
	s_and_saveexec_b32 s14, s15
	s_cbranch_execz .LBB502_273
; %bb.272:                              ;   in Loop: Header=BB502_269 Depth=1
	s_wait_dscnt 0x0
	v_bcnt_u32_b32 v28, v28, v25
	ds_store_b32 v27, v28
.LBB502_273:                            ;   in Loop: Header=BB502_269 Depth=1
	s_wait_alu 0xfffe
	s_or_b32 exec_lo, exec_lo, s14
	v_lshrrev_b32_e32 v28, v10, v85
	; wave barrier
	s_delay_alu instid0(VALU_DEP_1) | instskip(NEXT) | instid1(VALU_DEP_1)
	v_and_b32_e32 v28, v28, v32
	v_and_b32_e32 v29, 1, v28
	v_lshlrev_b32_e32 v30, 30, v28
	v_lshlrev_b32_e32 v31, 29, v28
	;; [unrolled: 1-line block ×4, first 2 shown]
	v_add_co_u32 v29, s14, v29, -1
	s_wait_alu 0xf1ff
	v_cndmask_b32_e64 v34, 0, 1, s14
	v_not_b32_e32 v87, v30
	v_cmp_gt_i32_e64 s15, 0, v30
	v_not_b32_e32 v30, v31
	v_lshlrev_b32_e32 v36, 26, v28
	v_cmp_ne_u32_e64 s14, 0, v34
	v_ashrrev_i32_e32 v87, 31, v87
	v_lshlrev_b32_e32 v37, 25, v28
	v_ashrrev_i32_e32 v30, 31, v30
	v_lshlrev_b32_e32 v34, 24, v28
	s_wait_alu 0xf1ff
	v_xor_b32_e32 v29, s14, v29
	v_cmp_gt_i32_e64 s14, 0, v31
	v_not_b32_e32 v31, v33
	v_xor_b32_e32 v87, s15, v87
	v_cmp_gt_i32_e64 s15, 0, v33
	v_and_b32_e32 v29, exec_lo, v29
	v_not_b32_e32 v33, v35
	v_ashrrev_i32_e32 v31, 31, v31
	s_wait_alu 0xf1ff
	v_xor_b32_e32 v30, s14, v30
	v_cmp_gt_i32_e64 s14, 0, v35
	v_and_b32_e32 v29, v29, v87
	v_not_b32_e32 v35, v36
	v_ashrrev_i32_e32 v33, 31, v33
	v_xor_b32_e32 v31, s15, v31
	v_cmp_gt_i32_e64 s15, 0, v36
	v_and_b32_e32 v29, v29, v30
	v_not_b32_e32 v30, v37
	v_ashrrev_i32_e32 v35, 31, v35
	s_wait_alu 0xf1ff
	v_xor_b32_e32 v33, s14, v33
	v_cmp_gt_i32_e64 s14, 0, v37
	v_and_b32_e32 v29, v29, v31
	v_not_b32_e32 v31, v34
	v_ashrrev_i32_e32 v30, 31, v30
	v_xor_b32_e32 v35, s15, v35
	v_lshl_add_u32 v28, v28, 3, v53
	v_and_b32_e32 v29, v29, v33
	v_cmp_gt_i32_e64 s15, 0, v34
	v_ashrrev_i32_e32 v31, 31, v31
	s_wait_alu 0xf1ff
	v_xor_b32_e32 v30, s14, v30
	v_lshl_add_u32 v33, v28, 2, v12
	v_and_b32_e32 v29, v29, v35
	v_xor_b32_e32 v31, s15, v31
	ds_load_b32 v28, v33 offset:32
	v_and_b32_e32 v29, v29, v30
	v_add_nc_u32_e32 v30, 32, v33
	; wave barrier
	s_delay_alu instid0(VALU_DEP_2) | instskip(NEXT) | instid1(VALU_DEP_1)
	v_and_b32_e32 v31, v29, v31
	v_mbcnt_lo_u32_b32 v29, v31, 0
	v_cmp_ne_u32_e64 s15, 0, v31
	s_delay_alu instid0(VALU_DEP_2)
	v_cmp_eq_u32_e64 s14, 0, v29
	s_and_b32 s15, s15, s14
	s_wait_alu 0xfffe
	s_and_saveexec_b32 s14, s15
	s_cbranch_execz .LBB502_275
; %bb.274:                              ;   in Loop: Header=BB502_269 Depth=1
	s_wait_dscnt 0x0
	v_bcnt_u32_b32 v31, v31, v28
	ds_store_b32 v30, v31
.LBB502_275:                            ;   in Loop: Header=BB502_269 Depth=1
	s_wait_alu 0xfffe
	s_or_b32 exec_lo, exec_lo, s14
	v_lshrrev_b32_e32 v31, v10, v84
	; wave barrier
	s_delay_alu instid0(VALU_DEP_1) | instskip(NEXT) | instid1(VALU_DEP_1)
	v_and_b32_e32 v31, v31, v32
	v_and_b32_e32 v32, 1, v31
	v_lshlrev_b32_e32 v33, 30, v31
	v_lshlrev_b32_e32 v34, 29, v31
	;; [unrolled: 1-line block ×4, first 2 shown]
	v_add_co_u32 v32, s14, v32, -1
	s_wait_alu 0xf1ff
	v_cndmask_b32_e64 v36, 0, 1, s14
	v_not_b32_e32 v97, v33
	v_cmp_gt_i32_e64 s15, 0, v33
	v_not_b32_e32 v33, v34
	v_lshlrev_b32_e32 v87, 26, v31
	v_cmp_ne_u32_e64 s14, 0, v36
	v_ashrrev_i32_e32 v97, 31, v97
	v_lshlrev_b32_e32 v96, 25, v31
	v_ashrrev_i32_e32 v33, 31, v33
	v_lshlrev_b32_e32 v36, 24, v31
	s_wait_alu 0xf1ff
	v_xor_b32_e32 v32, s14, v32
	v_cmp_gt_i32_e64 s14, 0, v34
	v_not_b32_e32 v34, v35
	v_xor_b32_e32 v97, s15, v97
	v_cmp_gt_i32_e64 s15, 0, v35
	v_and_b32_e32 v32, exec_lo, v32
	v_not_b32_e32 v35, v37
	v_ashrrev_i32_e32 v34, 31, v34
	s_wait_alu 0xf1ff
	v_xor_b32_e32 v33, s14, v33
	v_cmp_gt_i32_e64 s14, 0, v37
	v_and_b32_e32 v32, v32, v97
	v_not_b32_e32 v37, v87
	v_ashrrev_i32_e32 v35, 31, v35
	v_xor_b32_e32 v34, s15, v34
	v_cmp_gt_i32_e64 s15, 0, v87
	v_and_b32_e32 v32, v32, v33
	v_not_b32_e32 v33, v96
	v_ashrrev_i32_e32 v37, 31, v37
	s_wait_alu 0xf1ff
	v_xor_b32_e32 v35, s14, v35
	v_cmp_gt_i32_e64 s14, 0, v96
	v_and_b32_e32 v32, v32, v34
	v_not_b32_e32 v34, v36
	v_ashrrev_i32_e32 v33, 31, v33
	v_xor_b32_e32 v37, s15, v37
	v_lshl_add_u32 v31, v31, 3, v53
	v_and_b32_e32 v32, v32, v35
	v_cmp_gt_i32_e64 s15, 0, v36
	v_ashrrev_i32_e32 v34, 31, v34
	s_wait_alu 0xf1ff
	v_xor_b32_e32 v33, s14, v33
	v_lshl_add_u32 v35, v31, 2, v12
	v_and_b32_e32 v32, v32, v37
	v_xor_b32_e32 v34, s15, v34
	ds_load_b32 v31, v35 offset:32
	v_and_b32_e32 v32, v32, v33
	; wave barrier
	s_delay_alu instid0(VALU_DEP_1) | instskip(SKIP_1) | instid1(VALU_DEP_2)
	v_and_b32_e32 v33, v32, v34
	v_add_nc_u32_e32 v32, 32, v35
	v_mbcnt_lo_u32_b32 v36, v33, 0
	v_cmp_ne_u32_e64 s15, 0, v33
	s_delay_alu instid0(VALU_DEP_2)
	v_cmp_eq_u32_e64 s14, 0, v36
	s_and_b32 s15, s15, s14
	s_wait_alu 0xfffe
	s_and_saveexec_b32 s14, s15
	s_cbranch_execz .LBB502_277
; %bb.276:                              ;   in Loop: Header=BB502_269 Depth=1
	s_wait_dscnt 0x0
	v_bcnt_u32_b32 v33, v33, v31
	ds_store_b32 v32, v33
.LBB502_277:                            ;   in Loop: Header=BB502_269 Depth=1
	s_wait_alu 0xfffe
	s_or_b32 exec_lo, exec_lo, s14
	; wave barrier
	s_wait_loadcnt_dscnt 0x0
	s_barrier_signal -1
	s_barrier_wait -1
	global_inv scope:SCOPE_SE
	ds_load_b32 v34, v18
	ds_load_b32 v35, v38
	;; [unrolled: 1-line block ×8, first 2 shown]
	s_wait_dscnt 0x6
	v_add_nc_u32_e32 v99, v35, v34
	s_wait_dscnt 0x4
	s_delay_alu instid0(VALU_DEP_1) | instskip(SKIP_1) | instid1(VALU_DEP_1)
	v_add3_u32 v99, v99, v37, v87
	s_wait_dscnt 0x2
	v_add3_u32 v99, v99, v96, v97
	s_wait_dscnt 0x0
	s_delay_alu instid0(VALU_DEP_1) | instskip(NEXT) | instid1(VALU_DEP_1)
	v_add3_u32 v98, v99, v33, v98
	v_mov_b32_dpp v99, v98 row_shr:1 row_mask:0xf bank_mask:0xf
	s_wait_alu 0xfffd
	s_delay_alu instid0(VALU_DEP_1) | instskip(NEXT) | instid1(VALU_DEP_1)
	v_cndmask_b32_e64 v99, v99, 0, vcc_lo
	v_add_nc_u32_e32 v98, v99, v98
	s_delay_alu instid0(VALU_DEP_1) | instskip(NEXT) | instid1(VALU_DEP_1)
	v_mov_b32_dpp v99, v98 row_shr:2 row_mask:0xf bank_mask:0xf
	v_cndmask_b32_e64 v99, 0, v99, s0
	s_delay_alu instid0(VALU_DEP_1) | instskip(NEXT) | instid1(VALU_DEP_1)
	v_add_nc_u32_e32 v98, v98, v99
	v_mov_b32_dpp v99, v98 row_shr:4 row_mask:0xf bank_mask:0xf
	s_delay_alu instid0(VALU_DEP_1) | instskip(NEXT) | instid1(VALU_DEP_1)
	v_cndmask_b32_e64 v99, 0, v99, s1
	v_add_nc_u32_e32 v98, v98, v99
	s_delay_alu instid0(VALU_DEP_1) | instskip(NEXT) | instid1(VALU_DEP_1)
	v_mov_b32_dpp v99, v98 row_shr:8 row_mask:0xf bank_mask:0xf
	v_cndmask_b32_e64 v99, 0, v99, s2
	s_delay_alu instid0(VALU_DEP_1) | instskip(SKIP_3) | instid1(VALU_DEP_1)
	v_add_nc_u32_e32 v98, v98, v99
	ds_swizzle_b32 v99, v98 offset:swizzle(BROADCAST,32,15)
	s_wait_dscnt 0x0
	v_cndmask_b32_e64 v99, v99, 0, s4
	v_add_nc_u32_e32 v98, v98, v99
	s_and_saveexec_b32 s14, s5
; %bb.278:                              ;   in Loop: Header=BB502_269 Depth=1
	ds_store_b32 v64, v98
; %bb.279:                              ;   in Loop: Header=BB502_269 Depth=1
	s_wait_alu 0xfffe
	s_or_b32 exec_lo, exec_lo, s14
	s_wait_loadcnt_dscnt 0x0
	s_barrier_signal -1
	s_barrier_wait -1
	global_inv scope:SCOPE_SE
	s_and_saveexec_b32 s14, s6
	s_cbranch_execz .LBB502_281
; %bb.280:                              ;   in Loop: Header=BB502_269 Depth=1
	ds_load_b32 v99, v54
	s_wait_dscnt 0x0
	v_mov_b32_dpp v100, v99 row_shr:1 row_mask:0xf bank_mask:0xf
	s_delay_alu instid0(VALU_DEP_1) | instskip(NEXT) | instid1(VALU_DEP_1)
	v_cndmask_b32_e64 v100, v100, 0, s11
	v_add_nc_u32_e32 v99, v100, v99
	s_delay_alu instid0(VALU_DEP_1) | instskip(NEXT) | instid1(VALU_DEP_1)
	v_mov_b32_dpp v100, v99 row_shr:2 row_mask:0xf bank_mask:0xf
	v_cndmask_b32_e64 v100, 0, v100, s12
	s_delay_alu instid0(VALU_DEP_1) | instskip(NEXT) | instid1(VALU_DEP_1)
	v_add_nc_u32_e32 v99, v99, v100
	v_mov_b32_dpp v100, v99 row_shr:4 row_mask:0xf bank_mask:0xf
	s_delay_alu instid0(VALU_DEP_1) | instskip(NEXT) | instid1(VALU_DEP_1)
	v_cndmask_b32_e64 v100, 0, v100, s13
	v_add_nc_u32_e32 v99, v99, v100
	ds_store_b32 v54, v99
.LBB502_281:                            ;   in Loop: Header=BB502_269 Depth=1
	s_wait_alu 0xfffe
	s_or_b32 exec_lo, exec_lo, s14
	v_mov_b32_e32 v99, 0
	s_wait_loadcnt_dscnt 0x0
	s_barrier_signal -1
	s_barrier_wait -1
	global_inv scope:SCOPE_SE
	s_and_saveexec_b32 s14, s7
; %bb.282:                              ;   in Loop: Header=BB502_269 Depth=1
	ds_load_b32 v99, v67
; %bb.283:                              ;   in Loop: Header=BB502_269 Depth=1
	s_wait_alu 0xfffe
	s_or_b32 exec_lo, exec_lo, s14
	s_wait_dscnt 0x0
	v_add_nc_u32_e32 v98, v99, v98
	v_add_nc_u32_e32 v10, 8, v10
	s_mov_b32 s20, -1
	s_mov_b32 s15, exec_lo
	ds_bpermute_b32 v98, v55, v98
	s_wait_dscnt 0x0
	v_cndmask_b32_e64 v98, v98, v99, s3
	s_delay_alu instid0(VALU_DEP_1) | instskip(NEXT) | instid1(VALU_DEP_1)
	v_cndmask_b32_e64 v98, v98, 0, s10
	v_add_nc_u32_e32 v34, v98, v34
	s_delay_alu instid0(VALU_DEP_1)
	v_add_nc_u32_e32 v35, v34, v35
	ds_store_b32 v18, v98
	ds_store_b32 v38, v34
	;; [unrolled: 1-line block ×3, first 2 shown]
	v_add_nc_u32_e32 v37, v35, v37
	v_mov_b32_e32 v35, v5
	s_delay_alu instid0(VALU_DEP_2) | instskip(NEXT) | instid1(VALU_DEP_1)
	v_add_nc_u32_e32 v87, v37, v87
	v_add_nc_u32_e32 v96, v87, v96
	s_delay_alu instid0(VALU_DEP_1) | instskip(NEXT) | instid1(VALU_DEP_1)
	v_add_nc_u32_e32 v97, v96, v97
	v_add_nc_u32_e32 v33, v97, v33
	ds_store_b32 v48, v37
	ds_store_b32 v49, v87
	;; [unrolled: 1-line block ×5, first 2 shown]
	s_wait_loadcnt_dscnt 0x0
	s_barrier_signal -1
	s_barrier_wait -1
	global_inv scope:SCOPE_SE
	ds_load_b32 v24, v24
	ds_load_b32 v27, v27
	ds_load_b32 v30, v30
	ds_load_b32 v87, v32
	v_mov_b32_e32 v33, v5
	v_mov_b32_e32 v37, v5
	s_wait_loadcnt_dscnt 0x0
	v_add_nc_u32_e32 v4, v24, v4
	v_add3_u32 v32, v26, v25, v27
	v_add3_u32 v34, v29, v28, v30
	;; [unrolled: 1-line block ×3, first 2 shown]
                                        ; implicit-def: $vgpr87
                                        ; implicit-def: $vgpr30_vgpr31
	s_delay_alu instid0(VALU_DEP_4) | instskip(NEXT) | instid1(VALU_DEP_4)
	v_lshlrev_b64_e32 v[24:25], 2, v[4:5]
	v_lshlrev_b64_e32 v[25:26], 2, v[32:33]
	s_delay_alu instid0(VALU_DEP_4) | instskip(NEXT) | instid1(VALU_DEP_4)
	v_lshlrev_b64_e32 v[26:27], 2, v[34:35]
	v_lshlrev_b64_e32 v[27:28], 2, v[36:37]
                                        ; implicit-def: $vgpr37
                                        ; implicit-def: $vgpr35
                                        ; implicit-def: $vgpr33
                                        ; implicit-def: $vgpr28_vgpr29
	s_delay_alu instid0(VALU_DEP_4) | instskip(NEXT) | instid1(VALU_DEP_4)
	v_add_co_u32 v99, null, v12, v24
	v_add_co_u32 v98, null, v12, v25
	s_delay_alu instid0(VALU_DEP_4) | instskip(NEXT) | instid1(VALU_DEP_4)
	v_add_co_u32 v97, null, v12, v26
	v_add_co_u32 v96, null, v12, v27
                                        ; implicit-def: $vgpr26_vgpr27
                                        ; implicit-def: $vgpr24_vgpr25
	v_cmpx_lt_u32_e64 v10, v11
	s_cbranch_execz .LBB502_268
; %bb.284:                              ;   in Loop: Header=BB502_269 Depth=1
	v_lshl_add_u32 v24, v4, 2, v99
	v_lshl_add_u32 v25, v32, 2, v98
	v_lshl_add_u32 v26, v34, 2, v97
	v_lshl_add_u32 v27, v36, 2, v96
	s_barrier_signal -1
	s_barrier_wait -1
	global_inv scope:SCOPE_SE
	ds_store_b32 v99, v83
	ds_store_b32 v98, v86
	;; [unrolled: 1-line block ×4, first 2 shown]
	s_wait_loadcnt_dscnt 0x0
	s_barrier_signal -1
	s_barrier_wait -1
	global_inv scope:SCOPE_SE
	ds_load_b32 v87, v65
	ds_load_b32 v33, v68
	;; [unrolled: 1-line block ×4, first 2 shown]
	s_wait_loadcnt_dscnt 0x0
	s_barrier_signal -1
	s_barrier_wait -1
	global_inv scope:SCOPE_SE
	ds_store_b64 v24, v[15:16]
	ds_store_b64 v25, v[13:14]
	;; [unrolled: 1-line block ×4, first 2 shown]
	s_wait_loadcnt_dscnt 0x0
	s_barrier_signal -1
	s_barrier_wait -1
	global_inv scope:SCOPE_SE
	ds_load_b64 v[26:27], v66
	ds_load_b64 v[28:29], v71
	;; [unrolled: 1-line block ×4, first 2 shown]
	v_add_nc_u32_e32 v82, -8, v82
	s_xor_b32 s20, exec_lo, -1
	s_wait_loadcnt_dscnt 0x0
	s_barrier_signal -1
	s_barrier_wait -1
	global_inv scope:SCOPE_SE
	s_branch .LBB502_268
.LBB502_285:
	flat_load_b64 v[32:33], v[4:5]
	s_wait_alu 0xfffe
	s_or_b32 exec_lo, exec_lo, s7
                                        ; implicit-def: $vgpr36_vgpr37
	s_and_saveexec_b32 s7, s0
	s_cbranch_execz .LBB502_163
.LBB502_286:
	flat_load_b64 v[36:37], v[4:5] offset:256
	s_wait_alu 0xfffe
	s_or_b32 exec_lo, exec_lo, s7
                                        ; implicit-def: $vgpr38_vgpr39
	s_and_saveexec_b32 s0, s1
	s_cbranch_execz .LBB502_164
.LBB502_287:
	flat_load_b64 v[38:39], v[4:5] offset:512
	s_wait_alu 0xfffe
	s_or_b32 exec_lo, exec_lo, s0
                                        ; implicit-def: $vgpr48_vgpr49
	s_and_saveexec_b32 s0, s2
	s_cbranch_execz .LBB502_165
.LBB502_288:
	flat_load_b64 v[48:49], v[4:5] offset:768
	s_wait_alu 0xfffe
	s_or_b32 exec_lo, exec_lo, s0
                                        ; implicit-def: $vgpr50_vgpr51
	s_and_saveexec_b32 s0, s3
	s_cbranch_execz .LBB502_166
.LBB502_289:
	flat_load_b64 v[50:51], v[4:5] offset:1024
	s_wait_alu 0xfffe
	s_or_b32 exec_lo, exec_lo, s0
                                        ; implicit-def: $vgpr52_vgpr53
	s_and_saveexec_b32 s0, s4
	s_cbranch_execz .LBB502_167
.LBB502_290:
	flat_load_b64 v[52:53], v[4:5] offset:1280
	s_wait_alu 0xfffe
	s_or_b32 exec_lo, exec_lo, s0
                                        ; implicit-def: $vgpr54_vgpr55
	s_and_saveexec_b32 s0, s5
	s_cbranch_execz .LBB502_168
.LBB502_291:
	flat_load_b64 v[54:55], v[4:5] offset:1536
	s_wait_alu 0xfffe
	s_or_b32 exec_lo, exec_lo, s0
                                        ; implicit-def: $vgpr34_vgpr35
	s_and_saveexec_b32 s0, s6
	s_cbranch_execnz .LBB502_169
	s_branch .LBB502_170
.LBB502_292:
	flat_store_b64 v[0:1], v[20:21]
	s_wait_alu 0xfffe
	s_or_b32 exec_lo, exec_lo, s7
	s_and_saveexec_b32 s7, s0
	s_cbranch_execz .LBB502_244
.LBB502_293:
	flat_store_b64 v[0:1], v[22:23] offset:2048
	s_wait_alu 0xfffe
	s_or_b32 exec_lo, exec_lo, s7
	s_and_saveexec_b32 s0, s1
	s_cbranch_execz .LBB502_245
.LBB502_294:
	flat_store_b64 v[0:1], v[16:17] offset:4096
	s_wait_alu 0xfffe
	s_or_b32 exec_lo, exec_lo, s0
	s_and_saveexec_b32 s0, s2
	s_cbranch_execz .LBB502_246
.LBB502_295:
	flat_store_b64 v[0:1], v[18:19] offset:6144
	s_wait_alu 0xfffe
	s_or_b32 exec_lo, exec_lo, s0
	s_and_saveexec_b32 s0, s3
	s_cbranch_execz .LBB502_247
.LBB502_296:
	flat_store_b64 v[0:1], v[12:13] offset:8192
	s_wait_alu 0xfffe
	s_or_b32 exec_lo, exec_lo, s0
	s_and_saveexec_b32 s0, s4
	s_cbranch_execz .LBB502_248
.LBB502_297:
	flat_store_b64 v[0:1], v[14:15] offset:10240
	s_wait_alu 0xfffe
	s_or_b32 exec_lo, exec_lo, s0
	s_and_saveexec_b32 s0, s5
	s_cbranch_execz .LBB502_249
.LBB502_298:
	flat_store_b64 v[0:1], v[8:9] offset:12288
	s_wait_alu 0xfffe
	s_or_b32 exec_lo, exec_lo, s0
	s_and_saveexec_b32 s0, s6
	s_cbranch_execnz .LBB502_250
	s_branch .LBB502_251
.LBB502_299:
	s_or_b32 exec_lo, exec_lo, s19
	v_lshl_add_u32 v4, v4, 2, v99
	v_lshl_add_u32 v5, v32, 2, v98
	;; [unrolled: 1-line block ×4, first 2 shown]
	s_barrier_signal -1
	s_barrier_wait -1
	s_wait_loadcnt 0x0
	global_inv scope:SCOPE_SE
	ds_store_b32 v99, v83
	ds_store_b32 v98, v86
	ds_store_b32 v97, v85
	ds_store_b32 v96, v84
	s_wait_loadcnt_dscnt 0x0
	s_barrier_signal -1
	s_barrier_wait -1
	global_inv scope:SCOPE_SE
	ds_load_2addr_stride64_b32 v[26:27], v54 offset1:4
	ds_load_2addr_stride64_b32 v[24:25], v54 offset0:8 offset1:12
	s_wait_loadcnt_dscnt 0x0
	s_barrier_signal -1
	s_barrier_wait -1
	global_inv scope:SCOPE_SE
	ds_store_b64 v4, v[15:16]
	ds_store_b64 v5, v[13:14]
	;; [unrolled: 1-line block ×4, first 2 shown]
	v_lshl_add_u32 v4, v21, 3, v12
	s_wait_loadcnt_dscnt 0x0
	s_barrier_signal -1
	s_barrier_wait -1
	global_inv scope:SCOPE_SE
	ds_load_2addr_stride64_b64 v[12:15], v4 offset1:4
	ds_load_2addr_stride64_b64 v[8:11], v4 offset0:8 offset1:12
	v_mov_b32_e32 v18, 0
	v_add_co_u32 v2, vcc_lo, v2, v19
	s_wait_alu 0xfffd
	v_add_co_ci_u32_e64 v3, null, v3, v20, vcc_lo
	s_delay_alu instid0(VALU_DEP_3)
	v_lshlrev_b64_e32 v[4:5], 2, v[17:18]
	s_wait_loadcnt_dscnt 0x0
	s_barrier_signal -1
	s_barrier_wait -1
	global_inv scope:SCOPE_SE
	v_add_co_u32 v2, vcc_lo, v2, v4
	s_wait_alu 0xfffd
	v_add_co_ci_u32_e64 v3, null, v3, v5, vcc_lo
	v_cmp_lt_u32_e32 vcc_lo, v17, v135
	s_and_saveexec_b32 s0, vcc_lo
	s_cbranch_execz .LBB502_301
; %bb.300:
	v_xor_b32_e32 v4, 0x7fffffff, v26
	flat_store_b32 v[2:3], v4
.LBB502_301:
	s_wait_alu 0xfffe
	s_or_b32 exec_lo, exec_lo, s0
	v_add_nc_u32_e32 v4, 0x100, v17
	s_delay_alu instid0(VALU_DEP_1)
	v_cmp_lt_u32_e64 s0, v4, v135
	s_and_saveexec_b32 s1, s0
	s_cbranch_execz .LBB502_303
; %bb.302:
	v_xor_b32_e32 v4, 0x7fffffff, v27
	flat_store_b32 v[2:3], v4 offset:1024
.LBB502_303:
	s_wait_alu 0xfffe
	s_or_b32 exec_lo, exec_lo, s1
	v_add_nc_u32_e32 v4, 0x200, v17
	s_delay_alu instid0(VALU_DEP_1)
	v_cmp_lt_u32_e64 s1, v4, v135
	s_and_saveexec_b32 s2, s1
	s_cbranch_execz .LBB502_305
; %bb.304:
	v_xor_b32_e32 v4, 0x7fffffff, v24
	flat_store_b32 v[2:3], v4 offset:2048
.LBB502_305:
	;; [unrolled: 11-line block ×3, first 2 shown]
	s_wait_alu 0xfffe
	s_or_b32 exec_lo, exec_lo, s3
	v_lshlrev_b64_e32 v[2:3], 3, v[17:18]
	v_add_co_u32 v0, s3, v6, v0
	s_wait_alu 0xf1ff
	v_add_co_ci_u32_e64 v1, null, v7, v1, s3
	s_delay_alu instid0(VALU_DEP_2) | instskip(SKIP_1) | instid1(VALU_DEP_2)
	v_add_co_u32 v0, s3, v0, v2
	s_wait_alu 0xf1ff
	v_add_co_ci_u32_e64 v1, null, v1, v3, s3
	s_and_saveexec_b32 s3, vcc_lo
	s_cbranch_execnz .LBB502_340
; %bb.308:
	s_wait_alu 0xfffe
	s_or_b32 exec_lo, exec_lo, s3
	s_and_saveexec_b32 s3, s0
	s_cbranch_execnz .LBB502_341
.LBB502_309:
	s_wait_alu 0xfffe
	s_or_b32 exec_lo, exec_lo, s3
	s_and_saveexec_b32 s0, s1
	s_cbranch_execnz .LBB502_342
.LBB502_310:
	s_wait_alu 0xfffe
	s_or_b32 exec_lo, exec_lo, s0
	s_and_saveexec_b32 s0, s2
	s_cbranch_execz .LBB502_312
.LBB502_311:
	flat_store_b64 v[0:1], v[10:11] offset:6144
.LBB502_312:
	s_wait_alu 0xfffe
	s_or_b32 exec_lo, exec_lo, s0
                                        ; implicit-def: $vgpr135
                                        ; implicit-def: $vgpr0
                                        ; implicit-def: $vgpr1
                                        ; implicit-def: $vgpr2
                                        ; implicit-def: $vgpr3
                                        ; implicit-def: $vgpr4
                                        ; implicit-def: $vgpr5
                                        ; implicit-def: $vgpr6
                                        ; implicit-def: $vgpr7
                                        ; implicit-def: $vgpr8
                                        ; implicit-def: $vgpr10
                                        ; implicit-def: $vgpr11
                                        ; implicit-def: $vgpr12
                                        ; implicit-def: $vgpr9
                                        ; implicit-def: $vgpr13
                                        ; implicit-def: $vgpr21
                                        ; implicit-def: $vgpr96
.LBB502_313:
	s_wait_alu 0xfffe
	s_and_not1_saveexec_b32 s0, s16
	s_cbranch_execz .LBB502_372
; %bb.314:
	s_load_b64 s[0:1], s[8:9], 0x0
	s_and_b32 s2, ttmp7, 0xffff
	s_mov_b32 s3, 0
	s_wait_kmcnt 0x0
	s_wait_alu 0xfffe
	s_cmp_lt_u32 s2, s1
	s_cselect_b32 s2, 14, 20
	s_cmp_lt_u32 ttmp9, s0
	s_wait_alu 0xfffe
	s_add_nc_u64 s[4:5], s[8:9], s[2:3]
	s_cselect_b32 s2, 12, 18
	s_load_u16 s4, s[4:5], 0x0
	s_add_nc_u64 s[0:1], s[8:9], s[2:3]
	s_load_u16 s0, s[0:1], 0x0
	s_wait_kmcnt 0x0
	v_mad_u32_u24 v13, v13, s4, v9
	v_mov_b32_e32 v9, 0
	s_delay_alu instid0(VALU_DEP_2) | instskip(NEXT) | instid1(VALU_DEP_2)
	v_mad_co_u64_u32 v[13:14], null, v13, s0, v[21:22]
	v_lshlrev_b64_e32 v[15:16], 2, v[8:9]
	s_mov_b32 s0, exec_lo
	v_cmpx_lt_u32_e32 0x100, v135
	s_wait_alu 0xfffe
	s_xor_b32 s14, exec_lo, s0
	s_cbranch_execz .LBB502_352
; %bb.315:
	s_delay_alu instid0(VALU_DEP_3) | instskip(SKIP_3) | instid1(VALU_DEP_4)
	v_lshlrev_b32_e32 v14, 1, v13
	v_mov_b32_e32 v20, v9
	v_lshlrev_b32_e32 v18, 2, v96
	v_bfrev_b32_e32 v17, 1
	v_and_b32_e32 v19, 0xffffffc0, v14
	v_add_co_u32 v14, vcc_lo, v0, v15
	s_wait_alu 0xfffd
	v_add_co_ci_u32_e64 v22, null, v1, v16, vcc_lo
	s_delay_alu instid0(VALU_DEP_3) | instskip(NEXT) | instid1(VALU_DEP_3)
	v_lshlrev_b64_e32 v[0:1], 2, v[19:20]
	v_add_co_u32 v18, vcc_lo, v14, v18
	s_wait_alu 0xfffd
	s_delay_alu instid0(VALU_DEP_3) | instskip(SKIP_1) | instid1(VALU_DEP_3)
	v_add_co_ci_u32_e64 v22, null, 0, v22, vcc_lo
	v_or_b32_e32 v14, v96, v19
	v_add_co_u32 v0, vcc_lo, v18, v0
	s_wait_alu 0xfffd
	s_delay_alu instid0(VALU_DEP_3) | instskip(NEXT) | instid1(VALU_DEP_3)
	v_add_co_ci_u32_e64 v1, null, v22, v1, vcc_lo
	v_cmp_lt_u32_e32 vcc_lo, v14, v135
	v_mov_b32_e32 v18, v17
	s_and_saveexec_b32 s0, vcc_lo
	s_cbranch_execz .LBB502_317
; %bb.316:
	flat_load_b32 v22, v[0:1]
	v_mov_b32_e32 v23, v17
	s_wait_loadcnt_dscnt 0x0
	s_delay_alu instid0(VALU_DEP_1)
	v_dual_mov_b32 v17, v22 :: v_dual_mov_b32 v18, v23
.LBB502_317:
	s_wait_alu 0xfffe
	s_or_b32 exec_lo, exec_lo, s0
	v_or_b32_e32 v14, 32, v14
	s_delay_alu instid0(VALU_DEP_1)
	v_cmp_lt_u32_e64 s0, v14, v135
	s_and_saveexec_b32 s1, s0
	s_cbranch_execz .LBB502_319
; %bb.318:
	flat_load_b32 v18, v[0:1] offset:128
.LBB502_319:
	s_wait_alu 0xfffe
	s_or_b32 exec_lo, exec_lo, s1
	v_lshlrev_b64_e32 v[0:1], 3, v[8:9]
	v_lshlrev_b32_e32 v14, 3, v96
	v_lshlrev_b64_e32 v[8:9], 3, v[19:20]
	v_dual_mov_b32 v22, 0 :: v_dual_mov_b32 v19, 0
	v_mov_b32_e32 v23, 0
	v_add_co_u32 v4, s1, v4, v0
	s_wait_alu 0xf1ff
	v_add_co_ci_u32_e64 v5, null, v5, v1, s1
	v_mov_b32_e32 v20, 0
	s_delay_alu instid0(VALU_DEP_3) | instskip(SKIP_1) | instid1(VALU_DEP_3)
	v_add_co_u32 v4, s1, v4, v14
	s_wait_alu 0xf1ff
	v_add_co_ci_u32_e64 v5, null, 0, v5, s1
	s_delay_alu instid0(VALU_DEP_2) | instskip(SKIP_1) | instid1(VALU_DEP_2)
	v_add_co_u32 v4, s1, v4, v8
	s_wait_alu 0xf1ff
	v_add_co_ci_u32_e64 v5, null, v5, v9, s1
	s_and_saveexec_b32 s1, vcc_lo
	s_cbranch_execz .LBB502_321
; %bb.320:
	flat_load_b64 v[19:20], v[4:5]
.LBB502_321:
	s_wait_alu 0xfffe
	s_or_b32 exec_lo, exec_lo, s1
	s_and_saveexec_b32 s1, s0
	s_cbranch_execz .LBB502_323
; %bb.322:
	flat_load_b64 v[22:23], v[4:5] offset:256
.LBB502_323:
	s_wait_alu 0xfffe
	s_or_b32 exec_lo, exec_lo, s1
	v_lshl_add_u32 v4, v21, 5, v12
	v_and_b32_e32 v8, 0x3e0, v21
	v_and_b32_e32 v5, 15, v96
	s_getpc_b64 s[0:1]
	s_wait_alu 0xfffe
	s_sext_i32_i16 s1, s1
	s_add_co_u32 s0, s0, _ZN7rocprim17ROCPRIM_400000_NS16block_radix_sortIiLj256ELj2ElLj1ELj1ELj8ELNS0_26block_radix_rank_algorithmE2ELNS0_18block_padding_hintE2ELNS0_4arch9wavefront6targetE0EE19radix_bits_per_passE@rel32@lo+12
	s_wait_alu 0xfffe
	s_add_co_ci_u32 s1, s1, _ZN7rocprim17ROCPRIM_400000_NS16block_radix_sortIiLj256ELj2ElLj1ELj1ELj8ELNS0_26block_radix_rank_algorithmE2ELNS0_18block_padding_hintE2ELNS0_4arch9wavefront6targetE0EE19radix_bits_per_passE@rel32@hi+24
	v_and_b32_e32 v9, 7, v96
	v_add_nc_u32_e32 v14, 32, v4
	v_add_nc_u32_e32 v26, 36, v4
	;; [unrolled: 1-line block ×8, first 2 shown]
	v_min_u32_e32 v4, 0xe0, v8
	v_and_b32_e32 v8, 16, v96
	s_load_b32 s15, s[0:1], 0x0
	v_cmp_eq_u32_e32 vcc_lo, 0, v5
	v_cmp_lt_u32_e64 s0, 1, v5
	v_or_b32_e32 v4, 31, v4
	v_cmp_eq_u32_e64 s4, 0, v8
	v_lshlrev_b32_e32 v8, 1, v21
	v_cmp_lt_u32_e64 s1, 3, v5
	v_cmp_lt_u32_e64 s2, 7, v5
	v_sub_co_u32 v5, s3, v96, 1
	s_delay_alu instid0(VALU_DEP_4) | instskip(SKIP_2) | instid1(VALU_DEP_4)
	v_and_or_b32 v8, 0x7c0, v8, v96
	v_cmp_eq_u32_e64 s5, v21, v4
	v_lshrrev_b32_e32 v4, 3, v21
	v_cmp_gt_i32_e64 s6, 0, v5
	v_xor_b32_e32 v53, 0x7fffffff, v17
	v_lshlrev_b32_e32 v8, 2, v8
	s_wait_loadcnt_dscnt 0x0
	v_xor_b32_e32 v25, 0x7fffffff, v18
	v_and_b32_e32 v4, 0x7c, v4
	s_wait_alu 0xf1ff
	v_cndmask_b32_e64 v5, v5, v96, s6
	v_lshrrev_b32_e32 v33, 5, v13
	v_add_nc_u32_e32 v37, v12, v8
	v_cmp_gt_u32_e64 s6, 8, v21
	v_add_nc_u32_e32 v36, v12, v4
	v_lshlrev_b32_e32 v4, 2, v21
	v_cmp_lt_u32_e64 s7, 31, v21
	v_add_nc_u32_e32 v38, v37, v8
	v_lshlrev_b32_e32 v35, 2, v5
	v_cmp_eq_u32_e64 s8, 0, v21
	v_mov_b32_e32 v5, 0
	v_add_co_u32 v34, null, v12, v4
	v_cmp_eq_u32_e64 s9, 0, v9
	v_cmp_lt_u32_e64 s10, 1, v9
	v_cmp_lt_u32_e64 s11, 3, v9
	v_add_nc_u32_e32 v39, -4, v36
	v_add_nc_u32_e32 v48, 0x80, v37
	v_add_nc_u32_e32 v49, 0x100, v38
	v_sub_nc_u32_e32 v50, v11, v10
	s_mov_b32 s16, 0
	s_wait_storecnt 0x0
	s_barrier_signal -1
	s_barrier_wait -1
	global_inv scope:SCOPE_SE
	s_branch .LBB502_325
.LBB502_324:                            ;   in Loop: Header=BB502_325 Depth=1
	s_wait_alu 0xfffe
	s_or_b32 exec_lo, exec_lo, s13
	s_delay_alu instid0(SALU_CYCLE_1)
	s_and_b32 s12, exec_lo, s17
	s_wait_alu 0xfffe
	s_or_b32 s16, s12, s16
	s_wait_alu 0xfffe
	s_and_not1_b32 exec_lo, exec_lo, s16
	s_cbranch_execz .LBB502_343
.LBB502_325:                            ; =>This Inner Loop Header: Depth=1
	s_wait_kmcnt 0x0
	v_min_u32_e32 v4, s15, v50
	v_mov_b32_e32 v52, v25
	ds_store_b32 v14, v5
	ds_store_b32 v26, v5
	;; [unrolled: 1-line block ×6, first 2 shown]
	v_lshlrev_b32_e64 v4, v4, -1
	ds_store_b32 v31, v5
	ds_store_b32 v32, v5
	s_wait_loadcnt_dscnt 0x0
	s_barrier_signal -1
	v_not_b32_e32 v24, v4
	v_mov_b32_e32 v51, v53
	s_barrier_wait -1
	global_inv scope:SCOPE_SE
	; wave barrier
	v_lshrrev_b32_e32 v8, v10, v51
	s_delay_alu instid0(VALU_DEP_1) | instskip(SKIP_1) | instid1(VALU_DEP_2)
	v_and_b32_e32 v4, v8, v24
	v_dual_mov_b32 v8, v22 :: v_dual_mov_b32 v9, v23
	v_and_b32_e32 v17, 1, v4
	v_lshlrev_b32_e32 v18, 30, v4
	v_lshlrev_b32_e32 v22, 29, v4
	;; [unrolled: 1-line block ×4, first 2 shown]
	v_add_co_u32 v17, s12, v17, -1
	s_wait_alu 0xf1ff
	v_cndmask_b32_e64 v25, 0, 1, s12
	v_not_b32_e32 v64, v18
	v_cmp_gt_i32_e64 s13, 0, v18
	v_not_b32_e32 v18, v22
	v_lshlrev_b32_e32 v54, 26, v4
	v_cmp_ne_u32_e64 s12, 0, v25
	v_ashrrev_i32_e32 v64, 31, v64
	v_lshlrev_b32_e32 v55, 25, v4
	v_ashrrev_i32_e32 v18, 31, v18
	v_lshlrev_b32_e32 v25, 24, v4
	s_wait_alu 0xf1ff
	v_xor_b32_e32 v17, s12, v17
	v_cmp_gt_i32_e64 s12, 0, v22
	v_not_b32_e32 v22, v23
	v_xor_b32_e32 v64, s13, v64
	v_cmp_gt_i32_e64 s13, 0, v23
	v_and_b32_e32 v17, exec_lo, v17
	v_not_b32_e32 v23, v53
	v_ashrrev_i32_e32 v22, 31, v22
	s_wait_alu 0xf1ff
	v_xor_b32_e32 v18, s12, v18
	v_cmp_gt_i32_e64 s12, 0, v53
	v_and_b32_e32 v17, v17, v64
	v_not_b32_e32 v53, v54
	v_ashrrev_i32_e32 v23, 31, v23
	v_xor_b32_e32 v22, s13, v22
	v_cmp_gt_i32_e64 s13, 0, v54
	v_and_b32_e32 v17, v17, v18
	v_not_b32_e32 v18, v55
	v_ashrrev_i32_e32 v53, 31, v53
	s_wait_alu 0xf1ff
	v_xor_b32_e32 v23, s12, v23
	v_cmp_gt_i32_e64 s12, 0, v55
	v_and_b32_e32 v17, v17, v22
	v_not_b32_e32 v22, v25
	v_ashrrev_i32_e32 v54, 31, v18
	v_xor_b32_e32 v53, s13, v53
	v_cmp_gt_i32_e64 s13, 0, v25
	v_and_b32_e32 v23, v17, v23
	v_dual_mov_b32 v17, v19 :: v_dual_mov_b32 v18, v20
	v_ashrrev_i32_e32 v19, 31, v22
	s_wait_alu 0xf1ff
	v_xor_b32_e32 v20, s12, v54
	v_and_b32_e32 v22, v23, v53
	v_lshl_add_u32 v4, v4, 3, v33
	v_xor_b32_e32 v19, s13, v19
	s_delay_alu instid0(VALU_DEP_3) | instskip(NEXT) | instid1(VALU_DEP_3)
	v_and_b32_e32 v20, v22, v20
	v_lshlrev_b64_e32 v[22:23], 2, v[4:5]
	s_delay_alu instid0(VALU_DEP_2) | instskip(NEXT) | instid1(VALU_DEP_2)
	v_and_b32_e32 v20, v20, v19
	v_add_co_u32 v19, null, v12, v22
	s_delay_alu instid0(VALU_DEP_2) | instskip(SKIP_1) | instid1(VALU_DEP_3)
	v_mbcnt_lo_u32_b32 v4, v20, 0
	v_cmp_ne_u32_e64 s13, 0, v20
	v_add_co_u32 v19, null, v19, 32
	s_delay_alu instid0(VALU_DEP_3)
	v_cmp_eq_u32_e64 s12, 0, v4
	s_and_b32 s13, s13, s12
	s_wait_alu 0xfffe
	s_and_saveexec_b32 s12, s13
; %bb.326:                              ;   in Loop: Header=BB502_325 Depth=1
	v_bcnt_u32_b32 v20, v20, 0
	ds_store_b32 v19, v20
; %bb.327:                              ;   in Loop: Header=BB502_325 Depth=1
	s_wait_alu 0xfffe
	s_or_b32 exec_lo, exec_lo, s12
	v_lshrrev_b32_e32 v20, v10, v52
	; wave barrier
	s_delay_alu instid0(VALU_DEP_1) | instskip(NEXT) | instid1(VALU_DEP_1)
	v_and_b32_e32 v20, v20, v24
	v_and_b32_e32 v22, 1, v20
	v_lshlrev_b32_e32 v23, 30, v20
	v_lshlrev_b32_e32 v24, 29, v20
	;; [unrolled: 1-line block ×4, first 2 shown]
	v_add_co_u32 v22, s12, v22, -1
	s_wait_alu 0xf1ff
	v_cndmask_b32_e64 v53, 0, 1, s12
	v_not_b32_e32 v65, v23
	v_cmp_gt_i32_e64 s13, 0, v23
	v_not_b32_e32 v23, v24
	v_lshlrev_b32_e32 v55, 26, v20
	v_cmp_ne_u32_e64 s12, 0, v53
	v_ashrrev_i32_e32 v65, 31, v65
	v_lshlrev_b32_e32 v64, 25, v20
	v_ashrrev_i32_e32 v23, 31, v23
	v_lshlrev_b32_e32 v53, 24, v20
	s_wait_alu 0xf1ff
	v_xor_b32_e32 v22, s12, v22
	v_cmp_gt_i32_e64 s12, 0, v24
	v_not_b32_e32 v24, v25
	v_xor_b32_e32 v65, s13, v65
	v_cmp_gt_i32_e64 s13, 0, v25
	v_and_b32_e32 v22, exec_lo, v22
	v_not_b32_e32 v25, v54
	v_ashrrev_i32_e32 v24, 31, v24
	s_wait_alu 0xf1ff
	v_xor_b32_e32 v23, s12, v23
	v_cmp_gt_i32_e64 s12, 0, v54
	v_and_b32_e32 v22, v22, v65
	v_not_b32_e32 v54, v55
	v_ashrrev_i32_e32 v25, 31, v25
	v_xor_b32_e32 v24, s13, v24
	v_cmp_gt_i32_e64 s13, 0, v55
	v_and_b32_e32 v22, v22, v23
	v_not_b32_e32 v23, v64
	v_ashrrev_i32_e32 v54, 31, v54
	s_wait_alu 0xf1ff
	v_xor_b32_e32 v25, s12, v25
	v_cmp_gt_i32_e64 s12, 0, v64
	v_and_b32_e32 v22, v22, v24
	v_not_b32_e32 v24, v53
	v_ashrrev_i32_e32 v23, 31, v23
	v_xor_b32_e32 v54, s13, v54
	v_lshl_add_u32 v20, v20, 3, v33
	v_and_b32_e32 v22, v22, v25
	v_cmp_gt_i32_e64 s13, 0, v53
	v_ashrrev_i32_e32 v24, 31, v24
	s_wait_alu 0xf1ff
	v_xor_b32_e32 v23, s12, v23
	v_lshl_add_u32 v25, v20, 2, v12
	v_and_b32_e32 v22, v22, v54
	v_xor_b32_e32 v24, s13, v24
	ds_load_b32 v20, v25 offset:32
	v_and_b32_e32 v22, v22, v23
	v_add_nc_u32_e32 v23, 32, v25
	; wave barrier
	s_delay_alu instid0(VALU_DEP_2) | instskip(NEXT) | instid1(VALU_DEP_1)
	v_and_b32_e32 v24, v22, v24
	v_mbcnt_lo_u32_b32 v22, v24, 0
	v_cmp_ne_u32_e64 s13, 0, v24
	s_delay_alu instid0(VALU_DEP_2)
	v_cmp_eq_u32_e64 s12, 0, v22
	s_and_b32 s13, s13, s12
	s_wait_alu 0xfffe
	s_and_saveexec_b32 s12, s13
	s_cbranch_execz .LBB502_329
; %bb.328:                              ;   in Loop: Header=BB502_325 Depth=1
	s_wait_dscnt 0x0
	v_bcnt_u32_b32 v24, v24, v20
	ds_store_b32 v23, v24
.LBB502_329:                            ;   in Loop: Header=BB502_325 Depth=1
	s_wait_alu 0xfffe
	s_or_b32 exec_lo, exec_lo, s12
	; wave barrier
	s_wait_loadcnt_dscnt 0x0
	s_barrier_signal -1
	s_barrier_wait -1
	global_inv scope:SCOPE_SE
	ds_load_b32 v25, v14
	ds_load_b32 v53, v26
	;; [unrolled: 1-line block ×8, first 2 shown]
	s_wait_dscnt 0x6
	v_add_nc_u32_e32 v67, v53, v25
	s_wait_dscnt 0x4
	s_delay_alu instid0(VALU_DEP_1) | instskip(SKIP_1) | instid1(VALU_DEP_1)
	v_add3_u32 v67, v67, v54, v55
	s_wait_dscnt 0x2
	v_add3_u32 v67, v67, v64, v65
	s_wait_dscnt 0x0
	s_delay_alu instid0(VALU_DEP_1) | instskip(NEXT) | instid1(VALU_DEP_1)
	v_add3_u32 v66, v67, v24, v66
	v_mov_b32_dpp v67, v66 row_shr:1 row_mask:0xf bank_mask:0xf
	s_wait_alu 0xfffd
	s_delay_alu instid0(VALU_DEP_1) | instskip(NEXT) | instid1(VALU_DEP_1)
	v_cndmask_b32_e64 v67, v67, 0, vcc_lo
	v_add_nc_u32_e32 v66, v67, v66
	s_delay_alu instid0(VALU_DEP_1) | instskip(NEXT) | instid1(VALU_DEP_1)
	v_mov_b32_dpp v67, v66 row_shr:2 row_mask:0xf bank_mask:0xf
	v_cndmask_b32_e64 v67, 0, v67, s0
	s_delay_alu instid0(VALU_DEP_1) | instskip(NEXT) | instid1(VALU_DEP_1)
	v_add_nc_u32_e32 v66, v66, v67
	v_mov_b32_dpp v67, v66 row_shr:4 row_mask:0xf bank_mask:0xf
	s_delay_alu instid0(VALU_DEP_1) | instskip(NEXT) | instid1(VALU_DEP_1)
	v_cndmask_b32_e64 v67, 0, v67, s1
	v_add_nc_u32_e32 v66, v66, v67
	s_delay_alu instid0(VALU_DEP_1) | instskip(NEXT) | instid1(VALU_DEP_1)
	v_mov_b32_dpp v67, v66 row_shr:8 row_mask:0xf bank_mask:0xf
	v_cndmask_b32_e64 v67, 0, v67, s2
	s_delay_alu instid0(VALU_DEP_1) | instskip(SKIP_3) | instid1(VALU_DEP_1)
	v_add_nc_u32_e32 v66, v66, v67
	ds_swizzle_b32 v67, v66 offset:swizzle(BROADCAST,32,15)
	s_wait_dscnt 0x0
	v_cndmask_b32_e64 v67, v67, 0, s4
	v_add_nc_u32_e32 v66, v66, v67
	s_and_saveexec_b32 s12, s5
; %bb.330:                              ;   in Loop: Header=BB502_325 Depth=1
	ds_store_b32 v36, v66
; %bb.331:                              ;   in Loop: Header=BB502_325 Depth=1
	s_wait_alu 0xfffe
	s_or_b32 exec_lo, exec_lo, s12
	s_wait_loadcnt_dscnt 0x0
	s_barrier_signal -1
	s_barrier_wait -1
	global_inv scope:SCOPE_SE
	s_and_saveexec_b32 s12, s6
	s_cbranch_execz .LBB502_333
; %bb.332:                              ;   in Loop: Header=BB502_325 Depth=1
	ds_load_b32 v67, v34
	s_wait_dscnt 0x0
	v_mov_b32_dpp v68, v67 row_shr:1 row_mask:0xf bank_mask:0xf
	s_delay_alu instid0(VALU_DEP_1) | instskip(NEXT) | instid1(VALU_DEP_1)
	v_cndmask_b32_e64 v68, v68, 0, s9
	v_add_nc_u32_e32 v67, v68, v67
	s_delay_alu instid0(VALU_DEP_1) | instskip(NEXT) | instid1(VALU_DEP_1)
	v_mov_b32_dpp v68, v67 row_shr:2 row_mask:0xf bank_mask:0xf
	v_cndmask_b32_e64 v68, 0, v68, s10
	s_delay_alu instid0(VALU_DEP_1) | instskip(NEXT) | instid1(VALU_DEP_1)
	v_add_nc_u32_e32 v67, v67, v68
	v_mov_b32_dpp v68, v67 row_shr:4 row_mask:0xf bank_mask:0xf
	s_delay_alu instid0(VALU_DEP_1) | instskip(NEXT) | instid1(VALU_DEP_1)
	v_cndmask_b32_e64 v68, 0, v68, s11
	v_add_nc_u32_e32 v67, v67, v68
	ds_store_b32 v34, v67
.LBB502_333:                            ;   in Loop: Header=BB502_325 Depth=1
	s_wait_alu 0xfffe
	s_or_b32 exec_lo, exec_lo, s12
	v_mov_b32_e32 v67, 0
	s_wait_loadcnt_dscnt 0x0
	s_barrier_signal -1
	s_barrier_wait -1
	global_inv scope:SCOPE_SE
	s_and_saveexec_b32 s12, s7
; %bb.334:                              ;   in Loop: Header=BB502_325 Depth=1
	ds_load_b32 v67, v39
; %bb.335:                              ;   in Loop: Header=BB502_325 Depth=1
	s_wait_alu 0xfffe
	s_or_b32 exec_lo, exec_lo, s12
	s_wait_dscnt 0x0
	v_add_nc_u32_e32 v66, v67, v66
	v_add_nc_u32_e32 v10, 8, v10
	s_mov_b32 s17, -1
	s_mov_b32 s13, exec_lo
	ds_bpermute_b32 v66, v35, v66
	s_wait_dscnt 0x0
	v_cndmask_b32_e64 v66, v66, v67, s3
	s_delay_alu instid0(VALU_DEP_1) | instskip(NEXT) | instid1(VALU_DEP_1)
	v_cndmask_b32_e64 v66, v66, 0, s8
	v_add_nc_u32_e32 v25, v66, v25
	s_delay_alu instid0(VALU_DEP_1)
	v_add_nc_u32_e32 v53, v25, v53
	ds_store_b32 v14, v66
	ds_store_b32 v26, v25
	;; [unrolled: 1-line block ×3, first 2 shown]
	v_mov_b32_e32 v25, v5
	v_add_nc_u32_e32 v54, v53, v54
                                        ; implicit-def: $vgpr53
	s_delay_alu instid0(VALU_DEP_1) | instskip(NEXT) | instid1(VALU_DEP_1)
	v_add_nc_u32_e32 v55, v54, v55
	v_add_nc_u32_e32 v64, v55, v64
	s_delay_alu instid0(VALU_DEP_1) | instskip(NEXT) | instid1(VALU_DEP_1)
	v_add_nc_u32_e32 v65, v64, v65
	v_add_nc_u32_e32 v24, v65, v24
	ds_store_b32 v28, v54
	ds_store_b32 v29, v55
	;; [unrolled: 1-line block ×5, first 2 shown]
	s_wait_loadcnt_dscnt 0x0
	s_barrier_signal -1
	s_barrier_wait -1
	global_inv scope:SCOPE_SE
	ds_load_b32 v19, v19
	ds_load_b32 v23, v23
	s_wait_loadcnt_dscnt 0x0
	v_add_nc_u32_e32 v4, v19, v4
	v_add3_u32 v24, v22, v20, v23
	s_delay_alu instid0(VALU_DEP_2) | instskip(NEXT) | instid1(VALU_DEP_2)
	v_lshlrev_b64_e32 v[19:20], 2, v[4:5]
	v_lshlrev_b64_e32 v[22:23], 2, v[24:25]
                                        ; implicit-def: $vgpr25
	s_delay_alu instid0(VALU_DEP_2) | instskip(NEXT) | instid1(VALU_DEP_2)
	v_add_co_u32 v55, null, v12, v19
	v_add_co_u32 v54, null, v12, v22
                                        ; implicit-def: $vgpr22_vgpr23
                                        ; implicit-def: $vgpr19_vgpr20
	v_cmpx_lt_u32_e64 v10, v11
	s_cbranch_execz .LBB502_324
; %bb.336:                              ;   in Loop: Header=BB502_325 Depth=1
	s_delay_alu instid0(VALU_DEP_3) | instskip(NEXT) | instid1(VALU_DEP_3)
	v_lshl_add_u32 v19, v4, 2, v55
	v_lshl_add_u32 v20, v24, 2, v54
	s_barrier_signal -1
	s_barrier_wait -1
	global_inv scope:SCOPE_SE
	ds_store_b32 v55, v51
	ds_store_b32 v54, v52
	s_wait_loadcnt_dscnt 0x0
	s_barrier_signal -1
	s_barrier_wait -1
	global_inv scope:SCOPE_SE
	ds_load_b32 v53, v37
	ds_load_b32 v25, v48
	s_wait_loadcnt_dscnt 0x0
	s_barrier_signal -1
	s_barrier_wait -1
	global_inv scope:SCOPE_SE
	ds_store_b64 v19, v[17:18]
	ds_store_b64 v20, v[8:9]
	s_wait_loadcnt_dscnt 0x0
	s_barrier_signal -1
	s_barrier_wait -1
	global_inv scope:SCOPE_SE
	ds_load_b64 v[19:20], v38
	ds_load_b64 v[22:23], v49
	v_add_nc_u32_e32 v50, -8, v50
	s_xor_b32 s17, exec_lo, -1
	s_wait_loadcnt_dscnt 0x0
	s_barrier_signal -1
	s_barrier_wait -1
	global_inv scope:SCOPE_SE
	s_branch .LBB502_324
.LBB502_337:
	flat_load_b64 v[26:27], v[4:5]
	s_wait_alu 0xfffe
	s_or_b32 exec_lo, exec_lo, s3
                                        ; implicit-def: $vgpr28_vgpr29
	s_and_saveexec_b32 s3, s0
	s_cbranch_execz .LBB502_264
.LBB502_338:
	flat_load_b64 v[28:29], v[4:5] offset:256
	s_wait_alu 0xfffe
	s_or_b32 exec_lo, exec_lo, s3
                                        ; implicit-def: $vgpr30_vgpr31
	s_and_saveexec_b32 s0, s1
	s_cbranch_execz .LBB502_265
.LBB502_339:
	flat_load_b64 v[30:31], v[4:5] offset:512
	s_wait_alu 0xfffe
	s_or_b32 exec_lo, exec_lo, s0
                                        ; implicit-def: $vgpr24_vgpr25
	s_and_saveexec_b32 s0, s2
	s_cbranch_execnz .LBB502_266
	s_branch .LBB502_267
.LBB502_340:
	flat_store_b64 v[0:1], v[12:13]
	s_wait_alu 0xfffe
	s_or_b32 exec_lo, exec_lo, s3
	s_and_saveexec_b32 s3, s0
	s_cbranch_execz .LBB502_309
.LBB502_341:
	flat_store_b64 v[0:1], v[14:15] offset:2048
	s_wait_alu 0xfffe
	s_or_b32 exec_lo, exec_lo, s3
	s_and_saveexec_b32 s0, s1
	s_cbranch_execz .LBB502_310
.LBB502_342:
	flat_store_b64 v[0:1], v[8:9] offset:4096
	s_wait_alu 0xfffe
	s_or_b32 exec_lo, exec_lo, s0
	s_and_saveexec_b32 s0, s2
	s_cbranch_execnz .LBB502_311
	s_branch .LBB502_312
.LBB502_343:
	s_or_b32 exec_lo, exec_lo, s16
	v_lshl_add_u32 v4, v4, 2, v55
	v_lshl_add_u32 v5, v24, 2, v54
	s_barrier_signal -1
	s_barrier_wait -1
	s_wait_loadcnt 0x0
	global_inv scope:SCOPE_SE
	ds_store_b32 v55, v51
	ds_store_b32 v54, v52
	s_wait_loadcnt_dscnt 0x0
	s_barrier_signal -1
	s_barrier_wait -1
	global_inv scope:SCOPE_SE
	ds_load_2addr_stride64_b32 v[19:20], v34 offset1:4
	s_wait_loadcnt_dscnt 0x0
	s_barrier_signal -1
	s_barrier_wait -1
	global_inv scope:SCOPE_SE
	ds_store_b64 v4, v[17:18]
	ds_store_b64 v5, v[8:9]
	v_lshl_add_u32 v4, v21, 3, v12
	s_wait_loadcnt_dscnt 0x0
	s_barrier_signal -1
	s_barrier_wait -1
	global_inv scope:SCOPE_SE
	ds_load_2addr_stride64_b64 v[8:11], v4 offset1:4
	v_mov_b32_e32 v14, 0
	v_add_co_u32 v2, vcc_lo, v2, v15
	s_wait_alu 0xfffd
	v_add_co_ci_u32_e64 v3, null, v3, v16, vcc_lo
	s_delay_alu instid0(VALU_DEP_3)
	v_lshlrev_b64_e32 v[4:5], 2, v[13:14]
	s_wait_loadcnt_dscnt 0x0
	s_barrier_signal -1
	s_barrier_wait -1
	global_inv scope:SCOPE_SE
	v_add_co_u32 v2, vcc_lo, v2, v4
	s_wait_alu 0xfffd
	v_add_co_ci_u32_e64 v3, null, v3, v5, vcc_lo
	v_cmp_lt_u32_e32 vcc_lo, v13, v135
	s_and_saveexec_b32 s0, vcc_lo
	s_cbranch_execz .LBB502_345
; %bb.344:
	v_xor_b32_e32 v4, 0x7fffffff, v19
	flat_store_b32 v[2:3], v4
.LBB502_345:
	s_wait_alu 0xfffe
	s_or_b32 exec_lo, exec_lo, s0
	v_add_nc_u32_e32 v4, 0x100, v13
	s_delay_alu instid0(VALU_DEP_1)
	v_cmp_lt_u32_e64 s0, v4, v135
	s_and_saveexec_b32 s1, s0
	s_cbranch_execz .LBB502_347
; %bb.346:
	v_xor_b32_e32 v4, 0x7fffffff, v20
	flat_store_b32 v[2:3], v4 offset:1024
.LBB502_347:
	s_wait_alu 0xfffe
	s_or_b32 exec_lo, exec_lo, s1
	v_lshlrev_b64_e32 v[2:3], 3, v[13:14]
	v_add_co_u32 v0, s1, v6, v0
	s_wait_alu 0xf1ff
	v_add_co_ci_u32_e64 v1, null, v7, v1, s1
	s_delay_alu instid0(VALU_DEP_2) | instskip(SKIP_1) | instid1(VALU_DEP_2)
	v_add_co_u32 v0, s1, v0, v2
	s_wait_alu 0xf1ff
	v_add_co_ci_u32_e64 v1, null, v1, v3, s1
	s_and_saveexec_b32 s1, vcc_lo
	s_cbranch_execz .LBB502_349
; %bb.348:
	flat_store_b64 v[0:1], v[8:9]
.LBB502_349:
	s_wait_alu 0xfffe
	s_or_b32 exec_lo, exec_lo, s1
	s_and_saveexec_b32 s1, s0
	s_cbranch_execz .LBB502_351
; %bb.350:
	flat_store_b64 v[0:1], v[10:11] offset:2048
.LBB502_351:
	s_wait_alu 0xfffe
	s_or_b32 exec_lo, exec_lo, s1
                                        ; implicit-def: $vgpr13_vgpr14
                                        ; implicit-def: $vgpr8_vgpr9
                                        ; implicit-def: $vgpr15_vgpr16
                                        ; implicit-def: $vgpr135
                                        ; implicit-def: $vgpr0
                                        ; implicit-def: $vgpr1
                                        ; implicit-def: $vgpr2
                                        ; implicit-def: $vgpr3
                                        ; implicit-def: $vgpr4
                                        ; implicit-def: $vgpr5
                                        ; implicit-def: $vgpr6
                                        ; implicit-def: $vgpr7
                                        ; implicit-def: $vgpr10
                                        ; implicit-def: $vgpr11
                                        ; implicit-def: $vgpr12
                                        ; implicit-def: $vgpr21
                                        ; implicit-def: $vgpr96
.LBB502_352:
	s_wait_alu 0xfffe
	s_and_not1_saveexec_b32 s0, s14
	s_cbranch_execz .LBB502_372
; %bb.353:
	v_dual_mov_b32 v36, -1 :: v_dual_and_b32 v19, 0xffffffe0, v13
	s_delay_alu instid0(VALU_DEP_1) | instskip(NEXT) | instid1(VALU_DEP_1)
	v_or_b32_e32 v14, v96, v19
	v_cmp_lt_u32_e32 vcc_lo, v14, v135
	s_and_saveexec_b32 s1, vcc_lo
	s_cbranch_execz .LBB502_355
; %bb.354:
	v_mov_b32_e32 v20, 0
	v_lshlrev_b32_e32 v14, 2, v96
	v_add_co_u32 v17, s0, v0, v15
	s_wait_alu 0xf1fe
	v_add_co_ci_u32_e64 v18, null, v1, v16, s0
	v_lshlrev_b64_e32 v[0:1], 2, v[19:20]
	s_delay_alu instid0(VALU_DEP_3) | instskip(SKIP_1) | instid1(VALU_DEP_3)
	v_add_co_u32 v14, s0, v17, v14
	s_wait_alu 0xf1ff
	v_add_co_ci_u32_e64 v17, null, 0, v18, s0
	s_delay_alu instid0(VALU_DEP_2) | instskip(SKIP_1) | instid1(VALU_DEP_2)
	v_add_co_u32 v0, s0, v14, v0
	s_wait_alu 0xf1ff
	v_add_co_ci_u32_e64 v1, null, v17, v1, s0
	flat_load_b32 v0, v[0:1]
	s_wait_loadcnt_dscnt 0x0
	v_xor_b32_e32 v36, 0x7fffffff, v0
.LBB502_355:
	s_wait_alu 0xfffe
	s_or_b32 exec_lo, exec_lo, s1
	v_lshlrev_b64_e32 v[0:1], 3, v[8:9]
                                        ; implicit-def: $vgpr17_vgpr18
	s_and_saveexec_b32 s0, vcc_lo
	s_cbranch_execz .LBB502_357
; %bb.356:
	v_mov_b32_e32 v20, 0
	v_lshlrev_b32_e32 v8, 3, v96
	s_delay_alu instid0(VALU_DEP_3) | instskip(SKIP_3) | instid1(VALU_DEP_3)
	v_add_co_u32 v9, vcc_lo, v4, v0
	s_wait_alu 0xfffd
	v_add_co_ci_u32_e64 v14, null, v5, v1, vcc_lo
	v_lshlrev_b64_e32 v[4:5], 3, v[19:20]
	v_add_co_u32 v8, vcc_lo, v9, v8
	s_wait_alu 0xfffd
	s_delay_alu instid0(VALU_DEP_3) | instskip(NEXT) | instid1(VALU_DEP_2)
	v_add_co_ci_u32_e64 v9, null, 0, v14, vcc_lo
	v_add_co_u32 v4, vcc_lo, v8, v4
	s_wait_alu 0xfffd
	s_delay_alu instid0(VALU_DEP_2)
	v_add_co_ci_u32_e64 v5, null, v9, v5, vcc_lo
	flat_load_b64 v[17:18], v[4:5]
.LBB502_357:
	s_wait_alu 0xfffe
	s_or_b32 exec_lo, exec_lo, s0
	v_lshl_add_u32 v4, v21, 5, v12
	v_and_b32_e32 v5, 0x3e0, v21
	v_sub_co_u32 v28, s2, v96, 1
	v_and_b32_e32 v8, 15, v96
	s_delay_alu instid0(VALU_DEP_4)
	v_add_nc_u32_e32 v14, 32, v4
	v_add_nc_u32_e32 v19, 36, v4
	;; [unrolled: 1-line block ×8, first 2 shown]
	v_min_u32_e32 v4, 0xe0, v5
	v_cmp_gt_i32_e64 s6, 0, v28
	s_getpc_b64 s[0:1]
	s_wait_alu 0xfffe
	s_sext_i32_i16 s1, s1
	s_add_co_u32 s0, s0, _ZN7rocprim17ROCPRIM_400000_NS16block_radix_sortIiLj256ELj1ElLj1ELj1ELj8ELNS0_26block_radix_rank_algorithmE2ELNS0_18block_padding_hintE2ELNS0_4arch9wavefront6targetE0EE19radix_bits_per_passE@rel32@lo+12
	s_wait_alu 0xfffe
	s_add_co_ci_u32 s1, s1, _ZN7rocprim17ROCPRIM_400000_NS16block_radix_sortIiLj256ELj1ElLj1ELj1ELj8ELNS0_26block_radix_rank_algorithmE2ELNS0_18block_padding_hintE2ELNS0_4arch9wavefront6targetE0EE19radix_bits_per_passE@rel32@hi+24
	v_cmp_eq_u32_e32 vcc_lo, 0, v8
	s_load_b32 s14, s[0:1], 0x0
	v_or_b32_e32 v4, 31, v4
	v_cmp_lt_u32_e64 s0, 1, v8
	v_cmp_lt_u32_e64 s1, 3, v8
	;; [unrolled: 1-line block ×3, first 2 shown]
	v_cndmask_b32_e64 v8, v28, v96, s6
	v_cmp_eq_u32_e64 s5, v21, v4
	v_lshrrev_b32_e32 v4, 3, v21
	v_or_b32_e32 v5, v96, v5
	v_and_b32_e32 v9, 16, v96
	v_lshlrev_b32_e32 v29, 2, v8
	v_lshrrev_b32_e32 v27, 5, v13
	v_and_b32_e32 v4, 0x7c, v4
	v_lshlrev_b32_e32 v8, 2, v5
	v_cmp_eq_u32_e64 s4, 0, v9
	v_and_b32_e32 v9, 7, v96
	v_cmp_gt_u32_e64 s6, 8, v21
	v_add_nc_u32_e32 v30, v12, v4
	v_add_nc_u32_e32 v31, v12, v8
	v_cmp_lt_u32_e64 s7, 31, v21
	v_cmp_eq_u32_e64 s8, 0, v21
	v_mov_b32_e32 v5, 0
	v_lshl_add_u32 v28, v21, 2, v12
	v_cmp_eq_u32_e64 s9, 0, v9
	v_cmp_lt_u32_e64 s10, 1, v9
	v_cmp_lt_u32_e64 s11, 3, v9
	v_add_nc_u32_e32 v32, -4, v30
	v_add_nc_u32_e32 v33, v31, v8
	v_sub_nc_u32_e32 v34, v11, v10
	s_mov_b32 s15, 0
	s_wait_storecnt 0x0
	s_wait_loadcnt_dscnt 0x0
	s_barrier_signal -1
	s_barrier_wait -1
	global_inv scope:SCOPE_SE
	s_branch .LBB502_359
.LBB502_358:                            ;   in Loop: Header=BB502_359 Depth=1
	s_wait_alu 0xfffe
	s_or_b32 exec_lo, exec_lo, s13
	s_delay_alu instid0(SALU_CYCLE_1)
	s_and_b32 s12, exec_lo, s16
	s_wait_alu 0xfffe
	s_or_b32 s15, s12, s15
	s_wait_alu 0xfffe
	s_and_not1_b32 exec_lo, exec_lo, s15
	s_cbranch_execz .LBB502_369
.LBB502_359:                            ; =>This Inner Loop Header: Depth=1
	v_mov_b32_e32 v35, v36
	s_wait_kmcnt 0x0
	v_min_u32_e32 v4, s14, v34
	ds_store_b32 v14, v5
	ds_store_b32 v19, v5
	;; [unrolled: 1-line block ×6, first 2 shown]
	v_lshrrev_b32_e32 v8, v10, v35
	ds_store_b32 v25, v5
	ds_store_b32 v26, v5
	s_wait_loadcnt_dscnt 0x0
	s_barrier_signal -1
	v_bfe_u32 v4, v8, 0, v4
	s_barrier_wait -1
	global_inv scope:SCOPE_SE
	; wave barrier
	v_and_b32_e32 v8, 1, v4
	v_lshlrev_b32_e32 v9, 30, v4
	v_lshlrev_b32_e32 v36, 29, v4
	;; [unrolled: 1-line block ×4, first 2 shown]
	v_add_co_u32 v8, s12, v8, -1
	s_wait_alu 0xf1ff
	v_cndmask_b32_e64 v38, 0, 1, s12
	v_not_b32_e32 v50, v9
	v_cmp_gt_i32_e64 s13, 0, v9
	v_not_b32_e32 v9, v36
	v_lshlrev_b32_e32 v48, 26, v4
	v_cmp_ne_u32_e64 s12, 0, v38
	v_ashrrev_i32_e32 v50, 31, v50
	v_lshlrev_b32_e32 v49, 25, v4
	v_ashrrev_i32_e32 v9, 31, v9
	v_lshlrev_b32_e32 v38, 24, v4
	s_wait_alu 0xf1ff
	v_xor_b32_e32 v8, s12, v8
	v_cmp_gt_i32_e64 s12, 0, v36
	v_not_b32_e32 v36, v37
	v_xor_b32_e32 v50, s13, v50
	v_cmp_gt_i32_e64 s13, 0, v37
	v_and_b32_e32 v8, exec_lo, v8
	v_not_b32_e32 v37, v39
	v_ashrrev_i32_e32 v36, 31, v36
	s_wait_alu 0xf1ff
	v_xor_b32_e32 v9, s12, v9
	v_cmp_gt_i32_e64 s12, 0, v39
	v_and_b32_e32 v8, v8, v50
	v_not_b32_e32 v39, v48
	v_ashrrev_i32_e32 v37, 31, v37
	v_xor_b32_e32 v36, s13, v36
	v_cmp_gt_i32_e64 s13, 0, v48
	v_and_b32_e32 v8, v8, v9
	v_not_b32_e32 v9, v49
	v_ashrrev_i32_e32 v39, 31, v39
	s_wait_alu 0xf1ff
	v_xor_b32_e32 v37, s12, v37
	v_cmp_gt_i32_e64 s12, 0, v49
	v_and_b32_e32 v8, v8, v36
	v_not_b32_e32 v36, v38
	v_ashrrev_i32_e32 v48, 31, v9
	v_xor_b32_e32 v39, s13, v39
	v_cmp_gt_i32_e64 s13, 0, v38
	v_dual_mov_b32 v8, v17 :: v_dual_and_b32 v37, v8, v37
	v_mov_b32_e32 v9, v18
	v_ashrrev_i32_e32 v17, 31, v36
	s_wait_alu 0xf1ff
	v_xor_b32_e32 v18, s12, v48
	v_and_b32_e32 v36, v37, v39
	v_lshl_add_u32 v4, v4, 3, v27
	v_xor_b32_e32 v17, s13, v17
	s_delay_alu instid0(VALU_DEP_3) | instskip(NEXT) | instid1(VALU_DEP_3)
	v_and_b32_e32 v18, v36, v18
	v_lshlrev_b64_e32 v[36:37], 2, v[4:5]
	s_delay_alu instid0(VALU_DEP_2) | instskip(NEXT) | instid1(VALU_DEP_2)
	v_and_b32_e32 v18, v18, v17
	v_add_co_u32 v17, null, v12, v36
	s_delay_alu instid0(VALU_DEP_2) | instskip(SKIP_1) | instid1(VALU_DEP_3)
	v_mbcnt_lo_u32_b32 v4, v18, 0
	v_cmp_ne_u32_e64 s13, 0, v18
	v_add_co_u32 v17, null, v17, 32
	s_delay_alu instid0(VALU_DEP_3)
	v_cmp_eq_u32_e64 s12, 0, v4
	s_and_b32 s13, s13, s12
	s_wait_alu 0xfffe
	s_and_saveexec_b32 s12, s13
; %bb.360:                              ;   in Loop: Header=BB502_359 Depth=1
	v_bcnt_u32_b32 v18, v18, 0
	ds_store_b32 v17, v18
; %bb.361:                              ;   in Loop: Header=BB502_359 Depth=1
	s_wait_alu 0xfffe
	s_or_b32 exec_lo, exec_lo, s12
	; wave barrier
	s_wait_loadcnt_dscnt 0x0
	s_barrier_signal -1
	s_barrier_wait -1
	global_inv scope:SCOPE_SE
	ds_load_b32 v36, v14
	ds_load_b32 v37, v19
	;; [unrolled: 1-line block ×8, first 2 shown]
	s_wait_dscnt 0x6
	v_add_nc_u32_e32 v51, v37, v36
	s_wait_dscnt 0x4
	s_delay_alu instid0(VALU_DEP_1) | instskip(SKIP_1) | instid1(VALU_DEP_1)
	v_add3_u32 v51, v51, v38, v39
	s_wait_dscnt 0x2
	v_add3_u32 v51, v51, v48, v49
	s_wait_dscnt 0x0
	s_delay_alu instid0(VALU_DEP_1) | instskip(NEXT) | instid1(VALU_DEP_1)
	v_add3_u32 v50, v51, v18, v50
	v_mov_b32_dpp v51, v50 row_shr:1 row_mask:0xf bank_mask:0xf
	s_delay_alu instid0(VALU_DEP_1) | instskip(NEXT) | instid1(VALU_DEP_1)
	v_cndmask_b32_e64 v51, v51, 0, vcc_lo
	v_add_nc_u32_e32 v50, v51, v50
	s_delay_alu instid0(VALU_DEP_1) | instskip(NEXT) | instid1(VALU_DEP_1)
	v_mov_b32_dpp v51, v50 row_shr:2 row_mask:0xf bank_mask:0xf
	v_cndmask_b32_e64 v51, 0, v51, s0
	s_delay_alu instid0(VALU_DEP_1) | instskip(NEXT) | instid1(VALU_DEP_1)
	v_add_nc_u32_e32 v50, v50, v51
	v_mov_b32_dpp v51, v50 row_shr:4 row_mask:0xf bank_mask:0xf
	s_delay_alu instid0(VALU_DEP_1) | instskip(NEXT) | instid1(VALU_DEP_1)
	v_cndmask_b32_e64 v51, 0, v51, s1
	v_add_nc_u32_e32 v50, v50, v51
	s_delay_alu instid0(VALU_DEP_1) | instskip(NEXT) | instid1(VALU_DEP_1)
	v_mov_b32_dpp v51, v50 row_shr:8 row_mask:0xf bank_mask:0xf
	v_cndmask_b32_e64 v51, 0, v51, s3
	s_delay_alu instid0(VALU_DEP_1) | instskip(SKIP_3) | instid1(VALU_DEP_1)
	v_add_nc_u32_e32 v50, v50, v51
	ds_swizzle_b32 v51, v50 offset:swizzle(BROADCAST,32,15)
	s_wait_dscnt 0x0
	v_cndmask_b32_e64 v51, v51, 0, s4
	v_add_nc_u32_e32 v50, v50, v51
	s_and_saveexec_b32 s12, s5
; %bb.362:                              ;   in Loop: Header=BB502_359 Depth=1
	ds_store_b32 v30, v50
; %bb.363:                              ;   in Loop: Header=BB502_359 Depth=1
	s_wait_alu 0xfffe
	s_or_b32 exec_lo, exec_lo, s12
	s_wait_loadcnt_dscnt 0x0
	s_barrier_signal -1
	s_barrier_wait -1
	global_inv scope:SCOPE_SE
	s_and_saveexec_b32 s12, s6
	s_cbranch_execz .LBB502_365
; %bb.364:                              ;   in Loop: Header=BB502_359 Depth=1
	ds_load_b32 v51, v28
	s_wait_dscnt 0x0
	v_mov_b32_dpp v52, v51 row_shr:1 row_mask:0xf bank_mask:0xf
	s_delay_alu instid0(VALU_DEP_1) | instskip(NEXT) | instid1(VALU_DEP_1)
	v_cndmask_b32_e64 v52, v52, 0, s9
	v_add_nc_u32_e32 v51, v52, v51
	s_delay_alu instid0(VALU_DEP_1) | instskip(NEXT) | instid1(VALU_DEP_1)
	v_mov_b32_dpp v52, v51 row_shr:2 row_mask:0xf bank_mask:0xf
	v_cndmask_b32_e64 v52, 0, v52, s10
	s_delay_alu instid0(VALU_DEP_1) | instskip(NEXT) | instid1(VALU_DEP_1)
	v_add_nc_u32_e32 v51, v51, v52
	v_mov_b32_dpp v52, v51 row_shr:4 row_mask:0xf bank_mask:0xf
	s_delay_alu instid0(VALU_DEP_1) | instskip(NEXT) | instid1(VALU_DEP_1)
	v_cndmask_b32_e64 v52, 0, v52, s11
	v_add_nc_u32_e32 v51, v51, v52
	ds_store_b32 v28, v51
.LBB502_365:                            ;   in Loop: Header=BB502_359 Depth=1
	s_wait_alu 0xfffe
	s_or_b32 exec_lo, exec_lo, s12
	v_mov_b32_e32 v51, 0
	s_wait_loadcnt_dscnt 0x0
	s_barrier_signal -1
	s_barrier_wait -1
	global_inv scope:SCOPE_SE
	s_and_saveexec_b32 s12, s7
; %bb.366:                              ;   in Loop: Header=BB502_359 Depth=1
	ds_load_b32 v51, v32
; %bb.367:                              ;   in Loop: Header=BB502_359 Depth=1
	s_wait_alu 0xfffe
	s_or_b32 exec_lo, exec_lo, s12
	s_wait_dscnt 0x0
	v_add_nc_u32_e32 v50, v51, v50
	v_add_nc_u32_e32 v10, 8, v10
	s_mov_b32 s16, -1
	s_mov_b32 s13, exec_lo
	ds_bpermute_b32 v50, v29, v50
	s_wait_dscnt 0x0
	v_cndmask_b32_e64 v50, v50, v51, s2
	s_delay_alu instid0(VALU_DEP_1) | instskip(NEXT) | instid1(VALU_DEP_1)
	v_cndmask_b32_e64 v50, v50, 0, s8
	v_add_nc_u32_e32 v36, v50, v36
	s_delay_alu instid0(VALU_DEP_1) | instskip(SKIP_4) | instid1(VALU_DEP_1)
	v_add_nc_u32_e32 v37, v36, v37
	ds_store_b32 v14, v50
	ds_store_b32 v19, v36
	;; [unrolled: 1-line block ×3, first 2 shown]
                                        ; implicit-def: $vgpr36
	v_add_nc_u32_e32 v38, v37, v38
	v_add_nc_u32_e32 v39, v38, v39
	s_delay_alu instid0(VALU_DEP_1) | instskip(NEXT) | instid1(VALU_DEP_1)
	v_add_nc_u32_e32 v48, v39, v48
	v_add_nc_u32_e32 v49, v48, v49
	s_delay_alu instid0(VALU_DEP_1)
	v_add_nc_u32_e32 v18, v49, v18
	ds_store_b32 v22, v38
	ds_store_b32 v23, v39
	ds_store_b32 v24, v48
	ds_store_b32 v25, v49
	ds_store_b32 v26, v18
	s_wait_loadcnt_dscnt 0x0
	s_barrier_signal -1
	s_barrier_wait -1
	global_inv scope:SCOPE_SE
	ds_load_b32 v17, v17
	s_wait_loadcnt_dscnt 0x0
	v_add_nc_u32_e32 v4, v17, v4
	s_delay_alu instid0(VALU_DEP_1) | instskip(NEXT) | instid1(VALU_DEP_1)
	v_lshlrev_b64_e32 v[17:18], 2, v[4:5]
	v_add_co_u32 v37, null, v12, v17
	s_delay_alu instid0(VALU_DEP_1)
	v_add_co_u32 v4, null, v37, v17
                                        ; implicit-def: $vgpr17_vgpr18
	v_cmpx_lt_u32_e64 v10, v11
	s_cbranch_execz .LBB502_358
; %bb.368:                              ;   in Loop: Header=BB502_359 Depth=1
	s_barrier_signal -1
	s_barrier_wait -1
	global_inv scope:SCOPE_SE
	ds_store_b32 v37, v35
	s_wait_loadcnt_dscnt 0x0
	s_barrier_signal -1
	s_barrier_wait -1
	global_inv scope:SCOPE_SE
	ds_load_b32 v36, v31
	s_wait_loadcnt_dscnt 0x0
	s_barrier_signal -1
	s_barrier_wait -1
	global_inv scope:SCOPE_SE
	ds_store_b64 v4, v[8:9]
	s_wait_loadcnt_dscnt 0x0
	s_barrier_signal -1
	s_barrier_wait -1
	global_inv scope:SCOPE_SE
	ds_load_b64 v[17:18], v33
	v_add_nc_u32_e32 v34, -8, v34
	s_xor_b32 s16, exec_lo, -1
	s_wait_loadcnt_dscnt 0x0
	s_barrier_signal -1
	s_barrier_wait -1
	global_inv scope:SCOPE_SE
	s_branch .LBB502_358
.LBB502_369:
	s_or_b32 exec_lo, exec_lo, s15
	s_barrier_signal -1
	s_barrier_wait -1
	s_wait_loadcnt 0x0
	global_inv scope:SCOPE_SE
	ds_store_b32 v37, v35
	s_wait_loadcnt_dscnt 0x0
	s_barrier_signal -1
	s_barrier_wait -1
	global_inv scope:SCOPE_SE
	ds_load_b32 v10, v28
	s_wait_loadcnt_dscnt 0x0
	s_barrier_signal -1
	s_barrier_wait -1
	global_inv scope:SCOPE_SE
	ds_store_b64 v4, v[8:9]
	v_lshl_add_u32 v4, v21, 3, v12
	s_wait_loadcnt_dscnt 0x0
	s_barrier_signal -1
	s_barrier_wait -1
	global_inv scope:SCOPE_SE
	ds_load_b64 v[4:5], v4
	s_mov_b32 s0, exec_lo
	s_wait_loadcnt_dscnt 0x0
	s_barrier_signal -1
	s_barrier_wait -1
	global_inv scope:SCOPE_SE
	v_cmpx_lt_u32_e64 v13, v135
	s_cbranch_execz .LBB502_371
; %bb.370:
	v_mov_b32_e32 v14, 0
	v_add_co_u32 v11, vcc_lo, v2, v15
	s_wait_alu 0xfffd
	v_add_co_ci_u32_e64 v12, null, v3, v16, vcc_lo
	s_delay_alu instid0(VALU_DEP_3) | instskip(SKIP_1) | instid1(VALU_DEP_2)
	v_lshlrev_b64_e32 v[8:9], 2, v[13:14]
	v_lshlrev_b64_e32 v[2:3], 3, v[13:14]
	v_add_co_u32 v8, vcc_lo, v11, v8
	s_wait_alu 0xfffd
	s_delay_alu instid0(VALU_DEP_3) | instskip(SKIP_4) | instid1(VALU_DEP_3)
	v_add_co_ci_u32_e64 v9, null, v12, v9, vcc_lo
	v_add_co_u32 v0, vcc_lo, v6, v0
	s_wait_alu 0xfffd
	v_add_co_ci_u32_e64 v1, null, v7, v1, vcc_lo
	v_xor_b32_e32 v6, 0x7fffffff, v10
	v_add_co_u32 v0, vcc_lo, v0, v2
	s_wait_alu 0xfffd
	s_delay_alu instid0(VALU_DEP_3)
	v_add_co_ci_u32_e64 v1, null, v1, v3, vcc_lo
	flat_store_b32 v[8:9], v6
	flat_store_b64 v[0:1], v[4:5]
.LBB502_371:
	s_wait_alu 0xfffe
	s_or_b32 exec_lo, exec_lo, s0
.LBB502_372:
	s_wait_alu 0xfffe
	s_or_b32 exec_lo, exec_lo, s18
	s_clause 0x17
	scratch_load_b32 v79, off, s32
	scratch_load_b32 v78, off, s32 offset:4
	scratch_load_b32 v77, off, s32 offset:8
	;; [unrolled: 1-line block ×23, first 2 shown]
	s_wait_loadcnt_dscnt 0x0
	s_setpc_b64 s[30:31]
.Lfunc_end502:
	.size	_ZN7rocprim17ROCPRIM_400000_NS6detail40segmented_radix_sort_single_block_helperIilLj256ELj16ELb1EE4sortIPKiPiPKlPlEEbT_T0_T1_T2_jjjjRNS3_12storage_typeE, .Lfunc_end502-_ZN7rocprim17ROCPRIM_400000_NS6detail40segmented_radix_sort_single_block_helperIilLj256ELj16ELb1EE4sortIPKiPiPKlPlEEbT_T0_T1_T2_jjjjRNS3_12storage_typeE
                                        ; -- End function
	.set .L_ZN7rocprim17ROCPRIM_400000_NS6detail40segmented_radix_sort_single_block_helperIilLj256ELj16ELb1EE4sortIPKiPiPKlPlEEbT_T0_T1_T2_jjjjRNS3_12storage_typeE.num_vgpr, 248
	.set .L_ZN7rocprim17ROCPRIM_400000_NS6detail40segmented_radix_sort_single_block_helperIilLj256ELj16ELb1EE4sortIPKiPiPKlPlEEbT_T0_T1_T2_jjjjRNS3_12storage_typeE.num_agpr, 0
	.set .L_ZN7rocprim17ROCPRIM_400000_NS6detail40segmented_radix_sort_single_block_helperIilLj256ELj16ELb1EE4sortIPKiPiPKlPlEEbT_T0_T1_T2_jjjjRNS3_12storage_typeE.numbered_sgpr, 33
	.set .L_ZN7rocprim17ROCPRIM_400000_NS6detail40segmented_radix_sort_single_block_helperIilLj256ELj16ELb1EE4sortIPKiPiPKlPlEEbT_T0_T1_T2_jjjjRNS3_12storage_typeE.num_named_barrier, 0
	.set .L_ZN7rocprim17ROCPRIM_400000_NS6detail40segmented_radix_sort_single_block_helperIilLj256ELj16ELb1EE4sortIPKiPiPKlPlEEbT_T0_T1_T2_jjjjRNS3_12storage_typeE.private_seg_size, 100
	.set .L_ZN7rocprim17ROCPRIM_400000_NS6detail40segmented_radix_sort_single_block_helperIilLj256ELj16ELb1EE4sortIPKiPiPKlPlEEbT_T0_T1_T2_jjjjRNS3_12storage_typeE.uses_vcc, 1
	.set .L_ZN7rocprim17ROCPRIM_400000_NS6detail40segmented_radix_sort_single_block_helperIilLj256ELj16ELb1EE4sortIPKiPiPKlPlEEbT_T0_T1_T2_jjjjRNS3_12storage_typeE.uses_flat_scratch, 1
	.set .L_ZN7rocprim17ROCPRIM_400000_NS6detail40segmented_radix_sort_single_block_helperIilLj256ELj16ELb1EE4sortIPKiPiPKlPlEEbT_T0_T1_T2_jjjjRNS3_12storage_typeE.has_dyn_sized_stack, 0
	.set .L_ZN7rocprim17ROCPRIM_400000_NS6detail40segmented_radix_sort_single_block_helperIilLj256ELj16ELb1EE4sortIPKiPiPKlPlEEbT_T0_T1_T2_jjjjRNS3_12storage_typeE.has_recursion, 0
	.set .L_ZN7rocprim17ROCPRIM_400000_NS6detail40segmented_radix_sort_single_block_helperIilLj256ELj16ELb1EE4sortIPKiPiPKlPlEEbT_T0_T1_T2_jjjjRNS3_12storage_typeE.has_indirect_call, 0
	.section	.AMDGPU.csdata,"",@progbits
; Function info:
; codeLenInByte = 31404
; TotalNumSgprs: 35
; NumVgprs: 248
; ScratchSize: 100
; MemoryBound: 1
	.section	.text._ZN7rocprim17ROCPRIM_400000_NS6detail17trampoline_kernelINS0_14default_configENS1_36segmented_radix_sort_config_selectorIilEEZNS1_25segmented_radix_sort_implIS3_Lb1EPKiPiPKlPlN2at6native12_GLOBAL__N_18offset_tEEE10hipError_tPvRmT1_PNSt15iterator_traitsISK_E10value_typeET2_T3_PNSL_ISQ_E10value_typeET4_jRbjT5_SW_jjP12ihipStream_tbEUlT_E_NS1_11comp_targetILNS1_3genE10ELNS1_11target_archE1201ELNS1_3gpuE5ELNS1_3repE0EEENS1_30default_config_static_selectorELNS0_4arch9wavefront6targetE0EEEvSK_,"axG",@progbits,_ZN7rocprim17ROCPRIM_400000_NS6detail17trampoline_kernelINS0_14default_configENS1_36segmented_radix_sort_config_selectorIilEEZNS1_25segmented_radix_sort_implIS3_Lb1EPKiPiPKlPlN2at6native12_GLOBAL__N_18offset_tEEE10hipError_tPvRmT1_PNSt15iterator_traitsISK_E10value_typeET2_T3_PNSL_ISQ_E10value_typeET4_jRbjT5_SW_jjP12ihipStream_tbEUlT_E_NS1_11comp_targetILNS1_3genE10ELNS1_11target_archE1201ELNS1_3gpuE5ELNS1_3repE0EEENS1_30default_config_static_selectorELNS0_4arch9wavefront6targetE0EEEvSK_,comdat
	.globl	_ZN7rocprim17ROCPRIM_400000_NS6detail17trampoline_kernelINS0_14default_configENS1_36segmented_radix_sort_config_selectorIilEEZNS1_25segmented_radix_sort_implIS3_Lb1EPKiPiPKlPlN2at6native12_GLOBAL__N_18offset_tEEE10hipError_tPvRmT1_PNSt15iterator_traitsISK_E10value_typeET2_T3_PNSL_ISQ_E10value_typeET4_jRbjT5_SW_jjP12ihipStream_tbEUlT_E_NS1_11comp_targetILNS1_3genE10ELNS1_11target_archE1201ELNS1_3gpuE5ELNS1_3repE0EEENS1_30default_config_static_selectorELNS0_4arch9wavefront6targetE0EEEvSK_ ; -- Begin function _ZN7rocprim17ROCPRIM_400000_NS6detail17trampoline_kernelINS0_14default_configENS1_36segmented_radix_sort_config_selectorIilEEZNS1_25segmented_radix_sort_implIS3_Lb1EPKiPiPKlPlN2at6native12_GLOBAL__N_18offset_tEEE10hipError_tPvRmT1_PNSt15iterator_traitsISK_E10value_typeET2_T3_PNSL_ISQ_E10value_typeET4_jRbjT5_SW_jjP12ihipStream_tbEUlT_E_NS1_11comp_targetILNS1_3genE10ELNS1_11target_archE1201ELNS1_3gpuE5ELNS1_3repE0EEENS1_30default_config_static_selectorELNS0_4arch9wavefront6targetE0EEEvSK_
	.p2align	8
	.type	_ZN7rocprim17ROCPRIM_400000_NS6detail17trampoline_kernelINS0_14default_configENS1_36segmented_radix_sort_config_selectorIilEEZNS1_25segmented_radix_sort_implIS3_Lb1EPKiPiPKlPlN2at6native12_GLOBAL__N_18offset_tEEE10hipError_tPvRmT1_PNSt15iterator_traitsISK_E10value_typeET2_T3_PNSL_ISQ_E10value_typeET4_jRbjT5_SW_jjP12ihipStream_tbEUlT_E_NS1_11comp_targetILNS1_3genE10ELNS1_11target_archE1201ELNS1_3gpuE5ELNS1_3repE0EEENS1_30default_config_static_selectorELNS0_4arch9wavefront6targetE0EEEvSK_,@function
_ZN7rocprim17ROCPRIM_400000_NS6detail17trampoline_kernelINS0_14default_configENS1_36segmented_radix_sort_config_selectorIilEEZNS1_25segmented_radix_sort_implIS3_Lb1EPKiPiPKlPlN2at6native12_GLOBAL__N_18offset_tEEE10hipError_tPvRmT1_PNSt15iterator_traitsISK_E10value_typeET2_T3_PNSL_ISQ_E10value_typeET4_jRbjT5_SW_jjP12ihipStream_tbEUlT_E_NS1_11comp_targetILNS1_3genE10ELNS1_11target_archE1201ELNS1_3gpuE5ELNS1_3repE0EEENS1_30default_config_static_selectorELNS0_4arch9wavefront6targetE0EEEvSK_: ; @_ZN7rocprim17ROCPRIM_400000_NS6detail17trampoline_kernelINS0_14default_configENS1_36segmented_radix_sort_config_selectorIilEEZNS1_25segmented_radix_sort_implIS3_Lb1EPKiPiPKlPlN2at6native12_GLOBAL__N_18offset_tEEE10hipError_tPvRmT1_PNSt15iterator_traitsISK_E10value_typeET2_T3_PNSL_ISQ_E10value_typeET4_jRbjT5_SW_jjP12ihipStream_tbEUlT_E_NS1_11comp_targetILNS1_3genE10ELNS1_11target_archE1201ELNS1_3gpuE5ELNS1_3repE0EEENS1_30default_config_static_selectorELNS0_4arch9wavefront6targetE0EEEvSK_
; %bb.0:
	s_clause 0x1
	s_load_b64 s[8:9], s[0:1], 0x38
	s_load_b128 s[4:7], s[0:1], 0x40
	s_mov_b32 s2, ttmp9
	s_mov_b32 s3, 0
	s_mov_b32 s32, 0
	s_lshl_b64 s[2:3], s[2:3], 2
	s_wait_kmcnt 0x0
	s_add_nc_u64 s[2:3], s[8:9], s[2:3]
	s_load_b32 s2, s[2:3], 0x0
	s_wait_kmcnt 0x0
	s_add_co_i32 s33, s2, s5
	s_add_co_i32 s51, s2, s7
	s_mul_i32 s33, s33, s4
	s_mul_i32 s51, s51, s6
	s_delay_alu instid0(SALU_CYCLE_1)
	s_cmp_le_u32 s51, s33
	s_cbranch_scc1 .LBB503_1182
; %bb.1:
	s_clause 0x3
	s_load_b32 s2, s[0:1], 0x30
	s_load_b128 s[44:47], s[0:1], 0x20
	s_load_b96 s[48:50], s[0:1], 0x50
	s_load_b256 s[36:43], s[0:1], 0x0
	s_wait_kmcnt 0x0
	s_bitcmp1_b32 s2, 0
	s_mov_b32 s2, -1
	s_cselect_b32 s52, -1, 0
	s_sub_co_i32 s53, s51, s33
	s_delay_alu instid0(SALU_CYCLE_1)
	s_cmp_lt_u32 s53, 0x1001
	s_cbranch_scc0 .LBB503_7
; %bb.2:
	v_cndmask_b32_e64 v1, 0, 1, s52
	s_and_b32 s2, s48, 1
	s_delay_alu instid0(VALU_DEP_1) | instid1(SALU_CYCLE_1)
	v_cmp_ne_u32_e32 vcc_lo, s2, v1
	s_mov_b32 s2, -1
	s_cbranch_vccnz .LBB503_4
; %bb.3:
	s_mov_b64 s[2:3], src_shared_base
	v_dual_mov_b32 v31, v0 :: v_dual_mov_b32 v40, v0
	v_dual_mov_b32 v0, s36 :: v_dual_mov_b32 v1, s37
	;; [unrolled: 1-line block ×7, first 2 shown]
	s_wait_alu 0xfffe
	v_dual_mov_b32 v12, 0 :: v_dual_mov_b32 v13, s3
	s_add_nc_u64 s[8:9], s[0:1], 0x60
	s_getpc_b64 s[4:5]
	s_sext_i32_i16 s5, s5
	s_add_co_u32 s4, s4, _ZN7rocprim17ROCPRIM_400000_NS6detail40segmented_radix_sort_single_block_helperIilLj256ELj16ELb1EE4sortIPKiPiPKlPlEEbT_T0_T1_T2_jjjjRNS3_12storage_typeE@rel32@lo+8
	s_add_co_ci_u32 s5, s5, _ZN7rocprim17ROCPRIM_400000_NS6detail40segmented_radix_sort_single_block_helperIilLj256ELj16ELb1EE4sortIPKiPiPKlPlEEbT_T0_T1_T2_jjjjRNS3_12storage_typeE@rel32@hi+16
	s_mov_b64 s[22:23], s[0:1]
	s_swappc_b64 s[30:31], s[4:5]
	v_mov_b32_e32 v0, v40
	s_mov_b64 s[0:1], s[22:23]
	s_mov_b32 s2, 0
.LBB503_4:
	s_wait_alu 0xfffe
	s_and_not1_b32 vcc_lo, exec_lo, s2
	s_wait_alu 0xfffe
	s_cbranch_vccnz .LBB503_6
; %bb.5:
	s_mov_b64 s[2:3], src_shared_base
	v_dual_mov_b32 v31, v0 :: v_dual_mov_b32 v40, v0
	v_dual_mov_b32 v0, s36 :: v_dual_mov_b32 v1, s37
	;; [unrolled: 1-line block ×7, first 2 shown]
	s_wait_alu 0xfffe
	v_dual_mov_b32 v12, 0 :: v_dual_mov_b32 v13, s3
	s_add_nc_u64 s[8:9], s[0:1], 0x60
	s_getpc_b64 s[4:5]
	s_wait_alu 0xfffe
	s_sext_i32_i16 s5, s5
	s_add_co_u32 s4, s4, _ZN7rocprim17ROCPRIM_400000_NS6detail40segmented_radix_sort_single_block_helperIilLj256ELj16ELb1EE4sortIPKiPiPKlPlEEbT_T0_T1_T2_jjjjRNS3_12storage_typeE@rel32@lo+12
	s_wait_alu 0xfffe
	s_add_co_ci_u32 s5, s5, _ZN7rocprim17ROCPRIM_400000_NS6detail40segmented_radix_sort_single_block_helperIilLj256ELj16ELb1EE4sortIPKiPiPKlPlEEbT_T0_T1_T2_jjjjRNS3_12storage_typeE@rel32@hi+24
	s_mov_b64 s[22:23], s[0:1]
	s_wait_alu 0xfffe
	s_swappc_b64 s[30:31], s[4:5]
	v_mov_b32_e32 v0, v40
	s_mov_b64 s[0:1], s[22:23]
.LBB503_6:
	s_mov_b32 s2, 0
.LBB503_7:
	s_wait_alu 0xfffe
	s_and_not1_b32 vcc_lo, exec_lo, s2
	s_wait_alu 0xfffe
	s_cbranch_vccnz .LBB503_1182
; %bb.8:
	s_cmp_ge_u32 s49, s50
	s_cbranch_scc1 .LBB503_1182
; %bb.9:
	v_dual_mov_b32 v84, 1 :: v_dual_and_b32 v1, 0x3ff, v0
	v_dual_mov_b32 v3, 0 :: v_dual_and_b32 v2, 3, v0
	v_lshrrev_b32_e32 v4, 3, v0
	s_delay_alu instid0(VALU_DEP_3)
	v_lshlrev_b32_e32 v44, 2, v1
	v_mbcnt_lo_u32_b32 v81, -1, 0
	v_or_b32_e32 v45, 0x100, v1
	v_lshlrev_b32_e32 v62, 2, v2
	v_or_b32_e32 v2, 31, v1
	v_and_b32_e32 v63, 28, v4
	v_lshlrev_b32_e32 v4, 4, v1
	v_mad_u32_u24 v64, v1, 12, v44
	v_lshlrev_b32_e32 v91, 3, v81
	v_cmp_eq_u32_e64 s3, v1, v2
	v_lshlrev_b32_e32 v2, 5, v1
	v_and_b32_e32 v4, 0xe00, v4
	v_mad_u32_u24 v67, v1, 20, v64
	v_lshlrev_b32_e32 v107, 2, v81
	v_add_co_u32 v48, s2, s40, v44
	s_delay_alu instid0(VALU_DEP_4) | instskip(NEXT) | instid1(VALU_DEP_4)
	v_lshlrev_b32_e32 v5, 2, v4
	v_sub_nc_u32_e32 v70, v67, v2
	v_lshlrev_b32_e32 v2, 3, v4
	v_or_b32_e32 v88, v81, v4
	v_or_b32_e32 v46, 0x200, v1
	;; [unrolled: 1-line block ×3, first 2 shown]
	s_wait_alu 0xf1ff
	v_add_co_ci_u32_e64 v49, null, s41, 0, s2
	v_add_co_u32 v6, s8, s46, v2
	s_wait_alu 0xf1ff
	v_add_co_ci_u32_e64 v7, null, s47, 0, s8
	v_add_co_u32 v8, s8, s40, v5
	;; [unrolled: 3-line block ×7, first 2 shown]
	v_add_co_u32 v109, vcc_lo, v6, v91
	s_wait_alu 0xf1ff
	v_add_co_ci_u32_e64 v80, null, s43, 0, s8
	v_add_co_u32 v82, s8, s36, v5
	s_wait_alu 0xfffd
	v_add_co_ci_u32_e64 v110, null, 0, v7, vcc_lo
	v_add_co_u32 v111, vcc_lo, v8, v107
	v_or_b32_e32 v50, 0x400, v1
	v_or_b32_e32 v51, 0x500, v1
	;; [unrolled: 1-line block ×12, first 2 shown]
	v_cmp_gt_u32_e64 s2, 0x100, v1
	v_or_b32_e32 v65, 0x8400, v63
	v_cmp_gt_u32_e64 s4, 8, v1
	v_add_nc_u32_e32 v66, 0x8400, v44
	v_cmp_lt_u32_e64 s5, 31, v1
	v_add_nc_u32_e32 v68, 0x83fc, v63
	v_bfe_u32 v69, v0, 20, 10
	v_bfe_u32 v0, v0, 10, 10
	v_cmp_eq_u32_e64 s6, 0, v1
	v_cmp_ne_u32_e64 s7, 0xff, v1
	s_wait_alu 0xf1ff
	v_add_co_ci_u32_e64 v83, null, s37, 0, s8
	v_and_b32_e32 v85, 15, v81
	v_bfe_i32 v86, v81, 4, 1
	v_and_b32_e32 v87, 16, v81
	v_and_b32_e32 v89, 7, v81
	v_sub_co_u32 v90, s8, v81, 1
	v_or_b32_e32 v92, 32, v88
	v_or_b32_e32 v93, 64, v88
	v_or_b32_e32 v94, 0x60, v88
	v_or_b32_e32 v95, 0x80, v88
	v_or_b32_e32 v96, 0xa0, v88
	v_or_b32_e32 v97, 0xc0, v88
	v_or_b32_e32 v98, 0xe0, v88
	v_or_b32_e32 v99, 0x100, v88
	v_or_b32_e32 v100, 0x120, v88
	v_or_b32_e32 v101, 0x140, v88
	v_or_b32_e32 v102, 0x160, v88
	v_or_b32_e32 v103, 0x180, v88
	v_or_b32_e32 v104, 0x1a0, v88
	v_or_b32_e32 v105, 0x1c0, v88
	v_or_b32_e32 v106, 0x1e0, v88
	v_lshlrev_b32_e32 v108, 2, v1
	s_wait_alu 0xfffd
	v_add_co_ci_u32_e64 v112, null, 0, v9, vcc_lo
	s_add_nc_u64 s[34:35], s[0:1], 0x60
	s_mov_b32 s43, 0
	s_mov_b32 s31, s49
	s_branch .LBB503_12
.LBB503_10:                             ;   in Loop: Header=BB503_12 Depth=1
	s_wait_loadcnt_dscnt 0x0
	s_barrier_signal -1
	s_barrier_wait -1
.LBB503_11:                             ;   in Loop: Header=BB503_12 Depth=1
	s_add_co_i32 s31, s31, 8
	global_inv scope:SCOPE_SE
	s_wait_alu 0xfffe
	s_cmp_ge_u32 s31, s50
	s_cbranch_scc1 .LBB503_1182
.LBB503_12:                             ; =>This Loop Header: Depth=1
                                        ;     Child Loop BB503_16 Depth 2
                                        ;     Child Loop BB503_96 Depth 2
	;; [unrolled: 1-line block ×8, first 2 shown]
	s_wait_alu 0xfffe
	s_sub_co_i32 s0, s50, s31
	s_xor_b32 s52, s52, -1
	s_wait_alu 0xfffe
	s_min_u32 s0, s0, 8
	ds_store_2addr_stride64_b32 v44, v3, v3 offset1:4
	s_wait_alu 0xfffe
	s_lshl_b32 s0, -1, s0
	ds_store_2addr_stride64_b32 v44, v3, v3 offset0:8 offset1:12
	s_wait_alu 0xfffe
	s_not_b32 s48, s0
	s_cmp_lg_u32 s31, s49
	s_mov_b32 s0, -1
	s_wait_storecnt_dscnt 0x0
	s_cbranch_scc0 .LBB503_598
; %bb.13:                               ;   in Loop: Header=BB503_12 Depth=1
	s_and_b32 vcc_lo, exec_lo, s52
	s_wait_alu 0xfffe
	s_cbranch_vccz .LBB503_305
; %bb.14:                               ;   in Loop: Header=BB503_12 Depth=1
	s_mov_b32 s9, s53
	s_mov_b32 s42, s33
	s_barrier_signal -1
	s_barrier_wait -1
	global_inv scope:SCOPE_SE
                                        ; implicit-def: $vgpr2
                                        ; implicit-def: $vgpr4
                                        ; implicit-def: $vgpr5
                                        ; implicit-def: $vgpr6
                                        ; implicit-def: $vgpr7
                                        ; implicit-def: $vgpr8
                                        ; implicit-def: $vgpr9
                                        ; implicit-def: $vgpr10
                                        ; implicit-def: $vgpr11
                                        ; implicit-def: $vgpr12
                                        ; implicit-def: $vgpr13
                                        ; implicit-def: $vgpr14
                                        ; implicit-def: $vgpr15
                                        ; implicit-def: $vgpr16
                                        ; implicit-def: $vgpr17
                                        ; implicit-def: $vgpr18
	s_branch .LBB503_16
.LBB503_15:                             ;   in Loop: Header=BB503_16 Depth=2
	s_wait_alu 0xfffe
	s_or_b32 exec_lo, exec_lo, s0
	s_addk_co_i32 s9, 0xf000
	s_cmp_ge_u32 s10, s51
	s_mov_b32 s42, s10
	s_cbranch_scc1 .LBB503_84
.LBB503_16:                             ;   Parent Loop BB503_12 Depth=1
                                        ; =>  This Inner Loop Header: Depth=2
	s_wait_alu 0xfffe
	s_add_co_i32 s10, s42, 0x1000
	s_mov_b32 s0, -1
	s_wait_alu 0xfffe
	s_cmp_gt_u32 s10, s51
                                        ; implicit-def: $vgpr19
                                        ; implicit-def: $vgpr20
                                        ; implicit-def: $vgpr21
                                        ; implicit-def: $vgpr22
                                        ; implicit-def: $vgpr23
                                        ; implicit-def: $vgpr24
                                        ; implicit-def: $vgpr25
                                        ; implicit-def: $vgpr26
                                        ; implicit-def: $vgpr27
                                        ; implicit-def: $vgpr28
                                        ; implicit-def: $vgpr29
                                        ; implicit-def: $vgpr30
                                        ; implicit-def: $vgpr31
                                        ; implicit-def: $vgpr32
                                        ; implicit-def: $vgpr33
                                        ; implicit-def: $vgpr34
	s_cbranch_scc1 .LBB503_18
; %bb.17:                               ;   in Loop: Header=BB503_16 Depth=2
	s_lshl_b64 s[0:1], s[42:43], 2
	s_wait_alu 0xfffe
	v_add_co_u32 v34, vcc_lo, v48, s0
	s_wait_alu 0xfffd
	v_add_co_ci_u32_e64 v35, null, s1, v49, vcc_lo
	s_mov_b32 s0, 0
	s_clause 0xf
	global_load_b32 v19, v[34:35], off
	global_load_b32 v20, v[34:35], off offset:1024
	global_load_b32 v21, v[34:35], off offset:2048
	;; [unrolled: 1-line block ×15, first 2 shown]
.LBB503_18:                             ;   in Loop: Header=BB503_16 Depth=2
	s_wait_alu 0xfffe
	s_and_not1_b32 vcc_lo, exec_lo, s0
	s_movk_i32 s0, 0x1000
	s_wait_alu 0xfffe
	s_cbranch_vccnz .LBB503_37
; %bb.19:                               ;   in Loop: Header=BB503_16 Depth=2
	s_lshl_b64 s[0:1], s[42:43], 2
	s_mov_b32 s11, exec_lo
	s_wait_alu 0xfffe
	s_add_nc_u64 s[0:1], s[40:41], s[0:1]
	v_cmpx_gt_u32_e64 s9, v1
	s_cbranch_execnz .LBB503_69
; %bb.20:                               ;   in Loop: Header=BB503_16 Depth=2
	s_or_b32 exec_lo, exec_lo, s11
	s_delay_alu instid0(SALU_CYCLE_1)
	s_mov_b32 s11, exec_lo
	v_cmpx_gt_u32_e64 s9, v45
	s_cbranch_execnz .LBB503_70
.LBB503_21:                             ;   in Loop: Header=BB503_16 Depth=2
	s_wait_alu 0xfffe
	s_or_b32 exec_lo, exec_lo, s11
	s_delay_alu instid0(SALU_CYCLE_1)
	s_mov_b32 s11, exec_lo
	v_cmpx_gt_u32_e64 s9, v46
	s_cbranch_execnz .LBB503_71
.LBB503_22:                             ;   in Loop: Header=BB503_16 Depth=2
	s_wait_alu 0xfffe
	s_or_b32 exec_lo, exec_lo, s11
	s_delay_alu instid0(SALU_CYCLE_1)
	s_mov_b32 s11, exec_lo
	v_cmpx_gt_u32_e64 s9, v47
	s_cbranch_execnz .LBB503_72
.LBB503_23:                             ;   in Loop: Header=BB503_16 Depth=2
	s_wait_alu 0xfffe
	s_or_b32 exec_lo, exec_lo, s11
	s_delay_alu instid0(SALU_CYCLE_1)
	s_mov_b32 s11, exec_lo
	v_cmpx_gt_u32_e64 s9, v50
	s_cbranch_execnz .LBB503_73
.LBB503_24:                             ;   in Loop: Header=BB503_16 Depth=2
	s_wait_alu 0xfffe
	s_or_b32 exec_lo, exec_lo, s11
	s_delay_alu instid0(SALU_CYCLE_1)
	s_mov_b32 s11, exec_lo
	v_cmpx_gt_u32_e64 s9, v51
	s_cbranch_execnz .LBB503_74
.LBB503_25:                             ;   in Loop: Header=BB503_16 Depth=2
	s_wait_alu 0xfffe
	s_or_b32 exec_lo, exec_lo, s11
	s_delay_alu instid0(SALU_CYCLE_1)
	s_mov_b32 s11, exec_lo
	v_cmpx_gt_u32_e64 s9, v52
	s_cbranch_execnz .LBB503_75
.LBB503_26:                             ;   in Loop: Header=BB503_16 Depth=2
	s_wait_alu 0xfffe
	s_or_b32 exec_lo, exec_lo, s11
	s_delay_alu instid0(SALU_CYCLE_1)
	s_mov_b32 s11, exec_lo
	v_cmpx_gt_u32_e64 s9, v53
	s_cbranch_execnz .LBB503_76
.LBB503_27:                             ;   in Loop: Header=BB503_16 Depth=2
	s_wait_alu 0xfffe
	s_or_b32 exec_lo, exec_lo, s11
	s_delay_alu instid0(SALU_CYCLE_1)
	s_mov_b32 s11, exec_lo
	v_cmpx_gt_u32_e64 s9, v54
	s_cbranch_execnz .LBB503_77
.LBB503_28:                             ;   in Loop: Header=BB503_16 Depth=2
	s_wait_alu 0xfffe
	s_or_b32 exec_lo, exec_lo, s11
	s_delay_alu instid0(SALU_CYCLE_1)
	s_mov_b32 s11, exec_lo
	v_cmpx_gt_u32_e64 s9, v55
	s_cbranch_execnz .LBB503_78
.LBB503_29:                             ;   in Loop: Header=BB503_16 Depth=2
	s_wait_alu 0xfffe
	s_or_b32 exec_lo, exec_lo, s11
	s_delay_alu instid0(SALU_CYCLE_1)
	s_mov_b32 s11, exec_lo
	v_cmpx_gt_u32_e64 s9, v56
	s_cbranch_execnz .LBB503_79
.LBB503_30:                             ;   in Loop: Header=BB503_16 Depth=2
	s_wait_alu 0xfffe
	s_or_b32 exec_lo, exec_lo, s11
	s_delay_alu instid0(SALU_CYCLE_1)
	s_mov_b32 s11, exec_lo
	v_cmpx_gt_u32_e64 s9, v57
	s_cbranch_execnz .LBB503_80
.LBB503_31:                             ;   in Loop: Header=BB503_16 Depth=2
	s_wait_alu 0xfffe
	s_or_b32 exec_lo, exec_lo, s11
	s_delay_alu instid0(SALU_CYCLE_1)
	s_mov_b32 s11, exec_lo
	v_cmpx_gt_u32_e64 s9, v58
	s_cbranch_execnz .LBB503_81
.LBB503_32:                             ;   in Loop: Header=BB503_16 Depth=2
	s_wait_alu 0xfffe
	s_or_b32 exec_lo, exec_lo, s11
	s_delay_alu instid0(SALU_CYCLE_1)
	s_mov_b32 s11, exec_lo
	v_cmpx_gt_u32_e64 s9, v59
	s_cbranch_execnz .LBB503_82
.LBB503_33:                             ;   in Loop: Header=BB503_16 Depth=2
	s_wait_alu 0xfffe
	s_or_b32 exec_lo, exec_lo, s11
	s_delay_alu instid0(SALU_CYCLE_1)
	s_mov_b32 s11, exec_lo
	v_cmpx_gt_u32_e64 s9, v60
	s_cbranch_execnz .LBB503_83
.LBB503_34:                             ;   in Loop: Header=BB503_16 Depth=2
	s_wait_alu 0xfffe
	s_or_b32 exec_lo, exec_lo, s11
	s_delay_alu instid0(SALU_CYCLE_1)
	s_mov_b32 s11, exec_lo
	v_cmpx_gt_u32_e64 s9, v61
	s_cbranch_execz .LBB503_36
.LBB503_35:                             ;   in Loop: Header=BB503_16 Depth=2
	global_load_b32 v2, v108, s[0:1] offset:15360
.LBB503_36:                             ;   in Loop: Header=BB503_16 Depth=2
	s_wait_alu 0xfffe
	s_or_b32 exec_lo, exec_lo, s11
	s_wait_loadcnt 0x0
	v_dual_mov_b32 v19, v18 :: v_dual_mov_b32 v20, v17
	v_dual_mov_b32 v21, v16 :: v_dual_mov_b32 v22, v15
	;; [unrolled: 1-line block ×8, first 2 shown]
	s_mov_b32 s0, s9
.LBB503_37:                             ;   in Loop: Header=BB503_16 Depth=2
	s_wait_loadcnt 0x0
	s_delay_alu instid0(VALU_DEP_1) | instskip(NEXT) | instid1(VALU_DEP_2)
	v_dual_mov_b32 v2, v34 :: v_dual_mov_b32 v5, v32
	v_dual_mov_b32 v4, v33 :: v_dual_mov_b32 v7, v30
	;; [unrolled: 1-line block ×7, first 2 shown]
	v_mov_b32_e32 v16, v21
	v_mov_b32_e32 v18, v19
	s_mov_b32 s1, exec_lo
	s_wait_alu 0xfffe
	v_cmpx_gt_u32_e64 s0, v1
	s_cbranch_execnz .LBB503_53
; %bb.38:                               ;   in Loop: Header=BB503_16 Depth=2
	s_or_b32 exec_lo, exec_lo, s1
	s_delay_alu instid0(SALU_CYCLE_1)
	s_mov_b32 s1, exec_lo
	v_cmpx_gt_u32_e64 s0, v45
	s_cbranch_execnz .LBB503_54
.LBB503_39:                             ;   in Loop: Header=BB503_16 Depth=2
	s_wait_alu 0xfffe
	s_or_b32 exec_lo, exec_lo, s1
	s_delay_alu instid0(SALU_CYCLE_1)
	s_mov_b32 s1, exec_lo
	v_cmpx_gt_u32_e64 s0, v46
	s_cbranch_execnz .LBB503_55
.LBB503_40:                             ;   in Loop: Header=BB503_16 Depth=2
	s_wait_alu 0xfffe
	s_or_b32 exec_lo, exec_lo, s1
	s_delay_alu instid0(SALU_CYCLE_1)
	s_mov_b32 s1, exec_lo
	v_cmpx_gt_u32_e64 s0, v47
	s_cbranch_execnz .LBB503_56
.LBB503_41:                             ;   in Loop: Header=BB503_16 Depth=2
	s_wait_alu 0xfffe
	s_or_b32 exec_lo, exec_lo, s1
	s_delay_alu instid0(SALU_CYCLE_1)
	s_mov_b32 s1, exec_lo
	v_cmpx_gt_u32_e64 s0, v50
	s_cbranch_execnz .LBB503_57
.LBB503_42:                             ;   in Loop: Header=BB503_16 Depth=2
	s_wait_alu 0xfffe
	s_or_b32 exec_lo, exec_lo, s1
	s_delay_alu instid0(SALU_CYCLE_1)
	s_mov_b32 s1, exec_lo
	v_cmpx_gt_u32_e64 s0, v51
	s_cbranch_execnz .LBB503_58
.LBB503_43:                             ;   in Loop: Header=BB503_16 Depth=2
	s_wait_alu 0xfffe
	s_or_b32 exec_lo, exec_lo, s1
	s_delay_alu instid0(SALU_CYCLE_1)
	s_mov_b32 s1, exec_lo
	v_cmpx_gt_u32_e64 s0, v52
	s_cbranch_execnz .LBB503_59
.LBB503_44:                             ;   in Loop: Header=BB503_16 Depth=2
	s_wait_alu 0xfffe
	s_or_b32 exec_lo, exec_lo, s1
	s_delay_alu instid0(SALU_CYCLE_1)
	s_mov_b32 s1, exec_lo
	v_cmpx_gt_u32_e64 s0, v53
	s_cbranch_execnz .LBB503_60
.LBB503_45:                             ;   in Loop: Header=BB503_16 Depth=2
	s_wait_alu 0xfffe
	s_or_b32 exec_lo, exec_lo, s1
	s_delay_alu instid0(SALU_CYCLE_1)
	s_mov_b32 s1, exec_lo
	v_cmpx_gt_u32_e64 s0, v54
	s_cbranch_execnz .LBB503_61
.LBB503_46:                             ;   in Loop: Header=BB503_16 Depth=2
	s_wait_alu 0xfffe
	s_or_b32 exec_lo, exec_lo, s1
	s_delay_alu instid0(SALU_CYCLE_1)
	s_mov_b32 s1, exec_lo
	v_cmpx_gt_u32_e64 s0, v55
	s_cbranch_execnz .LBB503_62
.LBB503_47:                             ;   in Loop: Header=BB503_16 Depth=2
	s_wait_alu 0xfffe
	s_or_b32 exec_lo, exec_lo, s1
	s_delay_alu instid0(SALU_CYCLE_1)
	s_mov_b32 s1, exec_lo
	v_cmpx_gt_u32_e64 s0, v56
	s_cbranch_execnz .LBB503_63
.LBB503_48:                             ;   in Loop: Header=BB503_16 Depth=2
	s_wait_alu 0xfffe
	s_or_b32 exec_lo, exec_lo, s1
	s_delay_alu instid0(SALU_CYCLE_1)
	s_mov_b32 s1, exec_lo
	v_cmpx_gt_u32_e64 s0, v57
	s_cbranch_execnz .LBB503_64
.LBB503_49:                             ;   in Loop: Header=BB503_16 Depth=2
	s_wait_alu 0xfffe
	s_or_b32 exec_lo, exec_lo, s1
	s_delay_alu instid0(SALU_CYCLE_1)
	s_mov_b32 s1, exec_lo
	v_cmpx_gt_u32_e64 s0, v58
	s_cbranch_execnz .LBB503_65
.LBB503_50:                             ;   in Loop: Header=BB503_16 Depth=2
	s_wait_alu 0xfffe
	s_or_b32 exec_lo, exec_lo, s1
	s_delay_alu instid0(SALU_CYCLE_1)
	s_mov_b32 s1, exec_lo
	v_cmpx_gt_u32_e64 s0, v59
	s_cbranch_execnz .LBB503_66
.LBB503_51:                             ;   in Loop: Header=BB503_16 Depth=2
	s_wait_alu 0xfffe
	s_or_b32 exec_lo, exec_lo, s1
	s_delay_alu instid0(SALU_CYCLE_1)
	s_mov_b32 s1, exec_lo
	v_cmpx_gt_u32_e64 s0, v60
	s_cbranch_execnz .LBB503_67
.LBB503_52:                             ;   in Loop: Header=BB503_16 Depth=2
	s_wait_alu 0xfffe
	s_or_b32 exec_lo, exec_lo, s1
	v_cmp_gt_u32_e32 vcc_lo, s0, v61
	s_and_saveexec_b32 s0, vcc_lo
	s_cbranch_execz .LBB503_15
	s_branch .LBB503_68
.LBB503_53:                             ;   in Loop: Header=BB503_16 Depth=2
	v_xor_b32_e32 v19, 0x7fffffff, v18
	s_delay_alu instid0(VALU_DEP_1) | instskip(NEXT) | instid1(VALU_DEP_1)
	v_lshrrev_b32_e32 v19, s31, v19
	v_and_b32_e32 v19, s48, v19
	s_delay_alu instid0(VALU_DEP_1) | instskip(SKIP_2) | instid1(SALU_CYCLE_1)
	v_lshl_or_b32 v19, v19, 4, v62
	ds_add_u32 v19, v84
	s_or_b32 exec_lo, exec_lo, s1
	s_mov_b32 s1, exec_lo
	v_cmpx_gt_u32_e64 s0, v45
	s_cbranch_execz .LBB503_39
.LBB503_54:                             ;   in Loop: Header=BB503_16 Depth=2
	v_xor_b32_e32 v19, 0x7fffffff, v17
	s_delay_alu instid0(VALU_DEP_1) | instskip(NEXT) | instid1(VALU_DEP_1)
	v_lshrrev_b32_e32 v19, s31, v19
	v_and_b32_e32 v19, s48, v19
	s_delay_alu instid0(VALU_DEP_1) | instskip(SKIP_3) | instid1(SALU_CYCLE_1)
	v_lshl_or_b32 v19, v19, 4, v62
	ds_add_u32 v19, v84
	s_wait_alu 0xfffe
	s_or_b32 exec_lo, exec_lo, s1
	s_mov_b32 s1, exec_lo
	v_cmpx_gt_u32_e64 s0, v46
	s_cbranch_execz .LBB503_40
.LBB503_55:                             ;   in Loop: Header=BB503_16 Depth=2
	v_xor_b32_e32 v19, 0x7fffffff, v16
	s_delay_alu instid0(VALU_DEP_1) | instskip(NEXT) | instid1(VALU_DEP_1)
	v_lshrrev_b32_e32 v19, s31, v19
	v_and_b32_e32 v19, s48, v19
	s_delay_alu instid0(VALU_DEP_1) | instskip(SKIP_3) | instid1(SALU_CYCLE_1)
	v_lshl_or_b32 v19, v19, 4, v62
	ds_add_u32 v19, v84
	s_wait_alu 0xfffe
	s_or_b32 exec_lo, exec_lo, s1
	s_mov_b32 s1, exec_lo
	v_cmpx_gt_u32_e64 s0, v47
	s_cbranch_execz .LBB503_41
.LBB503_56:                             ;   in Loop: Header=BB503_16 Depth=2
	v_xor_b32_e32 v19, 0x7fffffff, v15
	s_delay_alu instid0(VALU_DEP_1) | instskip(NEXT) | instid1(VALU_DEP_1)
	v_lshrrev_b32_e32 v19, s31, v19
	v_and_b32_e32 v19, s48, v19
	s_delay_alu instid0(VALU_DEP_1) | instskip(SKIP_3) | instid1(SALU_CYCLE_1)
	v_lshl_or_b32 v19, v19, 4, v62
	ds_add_u32 v19, v84
	s_wait_alu 0xfffe
	s_or_b32 exec_lo, exec_lo, s1
	s_mov_b32 s1, exec_lo
	v_cmpx_gt_u32_e64 s0, v50
	s_cbranch_execz .LBB503_42
.LBB503_57:                             ;   in Loop: Header=BB503_16 Depth=2
	v_xor_b32_e32 v19, 0x7fffffff, v14
	s_delay_alu instid0(VALU_DEP_1) | instskip(NEXT) | instid1(VALU_DEP_1)
	v_lshrrev_b32_e32 v19, s31, v19
	v_and_b32_e32 v19, s48, v19
	s_delay_alu instid0(VALU_DEP_1) | instskip(SKIP_3) | instid1(SALU_CYCLE_1)
	v_lshl_or_b32 v19, v19, 4, v62
	ds_add_u32 v19, v84
	s_wait_alu 0xfffe
	s_or_b32 exec_lo, exec_lo, s1
	s_mov_b32 s1, exec_lo
	v_cmpx_gt_u32_e64 s0, v51
	s_cbranch_execz .LBB503_43
.LBB503_58:                             ;   in Loop: Header=BB503_16 Depth=2
	v_xor_b32_e32 v19, 0x7fffffff, v13
	s_delay_alu instid0(VALU_DEP_1) | instskip(NEXT) | instid1(VALU_DEP_1)
	v_lshrrev_b32_e32 v19, s31, v19
	v_and_b32_e32 v19, s48, v19
	s_delay_alu instid0(VALU_DEP_1) | instskip(SKIP_3) | instid1(SALU_CYCLE_1)
	v_lshl_or_b32 v19, v19, 4, v62
	ds_add_u32 v19, v84
	s_wait_alu 0xfffe
	s_or_b32 exec_lo, exec_lo, s1
	s_mov_b32 s1, exec_lo
	v_cmpx_gt_u32_e64 s0, v52
	s_cbranch_execz .LBB503_44
.LBB503_59:                             ;   in Loop: Header=BB503_16 Depth=2
	v_xor_b32_e32 v19, 0x7fffffff, v12
	s_delay_alu instid0(VALU_DEP_1) | instskip(NEXT) | instid1(VALU_DEP_1)
	v_lshrrev_b32_e32 v19, s31, v19
	v_and_b32_e32 v19, s48, v19
	s_delay_alu instid0(VALU_DEP_1) | instskip(SKIP_3) | instid1(SALU_CYCLE_1)
	v_lshl_or_b32 v19, v19, 4, v62
	ds_add_u32 v19, v84
	s_wait_alu 0xfffe
	s_or_b32 exec_lo, exec_lo, s1
	s_mov_b32 s1, exec_lo
	v_cmpx_gt_u32_e64 s0, v53
	s_cbranch_execz .LBB503_45
.LBB503_60:                             ;   in Loop: Header=BB503_16 Depth=2
	v_xor_b32_e32 v19, 0x7fffffff, v11
	s_delay_alu instid0(VALU_DEP_1) | instskip(NEXT) | instid1(VALU_DEP_1)
	v_lshrrev_b32_e32 v19, s31, v19
	v_and_b32_e32 v19, s48, v19
	s_delay_alu instid0(VALU_DEP_1) | instskip(SKIP_3) | instid1(SALU_CYCLE_1)
	v_lshl_or_b32 v19, v19, 4, v62
	ds_add_u32 v19, v84
	s_wait_alu 0xfffe
	s_or_b32 exec_lo, exec_lo, s1
	s_mov_b32 s1, exec_lo
	v_cmpx_gt_u32_e64 s0, v54
	s_cbranch_execz .LBB503_46
.LBB503_61:                             ;   in Loop: Header=BB503_16 Depth=2
	v_xor_b32_e32 v19, 0x7fffffff, v10
	s_delay_alu instid0(VALU_DEP_1) | instskip(NEXT) | instid1(VALU_DEP_1)
	v_lshrrev_b32_e32 v19, s31, v19
	v_and_b32_e32 v19, s48, v19
	s_delay_alu instid0(VALU_DEP_1) | instskip(SKIP_3) | instid1(SALU_CYCLE_1)
	v_lshl_or_b32 v19, v19, 4, v62
	ds_add_u32 v19, v84
	s_wait_alu 0xfffe
	s_or_b32 exec_lo, exec_lo, s1
	s_mov_b32 s1, exec_lo
	v_cmpx_gt_u32_e64 s0, v55
	s_cbranch_execz .LBB503_47
.LBB503_62:                             ;   in Loop: Header=BB503_16 Depth=2
	v_xor_b32_e32 v19, 0x7fffffff, v9
	s_delay_alu instid0(VALU_DEP_1) | instskip(NEXT) | instid1(VALU_DEP_1)
	v_lshrrev_b32_e32 v19, s31, v19
	v_and_b32_e32 v19, s48, v19
	s_delay_alu instid0(VALU_DEP_1) | instskip(SKIP_3) | instid1(SALU_CYCLE_1)
	v_lshl_or_b32 v19, v19, 4, v62
	ds_add_u32 v19, v84
	s_wait_alu 0xfffe
	s_or_b32 exec_lo, exec_lo, s1
	s_mov_b32 s1, exec_lo
	v_cmpx_gt_u32_e64 s0, v56
	s_cbranch_execz .LBB503_48
.LBB503_63:                             ;   in Loop: Header=BB503_16 Depth=2
	v_xor_b32_e32 v19, 0x7fffffff, v8
	s_delay_alu instid0(VALU_DEP_1) | instskip(NEXT) | instid1(VALU_DEP_1)
	v_lshrrev_b32_e32 v19, s31, v19
	v_and_b32_e32 v19, s48, v19
	s_delay_alu instid0(VALU_DEP_1) | instskip(SKIP_3) | instid1(SALU_CYCLE_1)
	v_lshl_or_b32 v19, v19, 4, v62
	ds_add_u32 v19, v84
	s_wait_alu 0xfffe
	s_or_b32 exec_lo, exec_lo, s1
	s_mov_b32 s1, exec_lo
	v_cmpx_gt_u32_e64 s0, v57
	s_cbranch_execz .LBB503_49
.LBB503_64:                             ;   in Loop: Header=BB503_16 Depth=2
	v_xor_b32_e32 v19, 0x7fffffff, v7
	s_delay_alu instid0(VALU_DEP_1) | instskip(NEXT) | instid1(VALU_DEP_1)
	v_lshrrev_b32_e32 v19, s31, v19
	v_and_b32_e32 v19, s48, v19
	s_delay_alu instid0(VALU_DEP_1) | instskip(SKIP_3) | instid1(SALU_CYCLE_1)
	v_lshl_or_b32 v19, v19, 4, v62
	ds_add_u32 v19, v84
	s_wait_alu 0xfffe
	s_or_b32 exec_lo, exec_lo, s1
	s_mov_b32 s1, exec_lo
	v_cmpx_gt_u32_e64 s0, v58
	s_cbranch_execz .LBB503_50
.LBB503_65:                             ;   in Loop: Header=BB503_16 Depth=2
	v_xor_b32_e32 v19, 0x7fffffff, v6
	s_delay_alu instid0(VALU_DEP_1) | instskip(NEXT) | instid1(VALU_DEP_1)
	v_lshrrev_b32_e32 v19, s31, v19
	v_and_b32_e32 v19, s48, v19
	s_delay_alu instid0(VALU_DEP_1) | instskip(SKIP_3) | instid1(SALU_CYCLE_1)
	v_lshl_or_b32 v19, v19, 4, v62
	ds_add_u32 v19, v84
	s_wait_alu 0xfffe
	s_or_b32 exec_lo, exec_lo, s1
	s_mov_b32 s1, exec_lo
	v_cmpx_gt_u32_e64 s0, v59
	s_cbranch_execz .LBB503_51
.LBB503_66:                             ;   in Loop: Header=BB503_16 Depth=2
	v_xor_b32_e32 v19, 0x7fffffff, v5
	s_delay_alu instid0(VALU_DEP_1) | instskip(NEXT) | instid1(VALU_DEP_1)
	v_lshrrev_b32_e32 v19, s31, v19
	v_and_b32_e32 v19, s48, v19
	s_delay_alu instid0(VALU_DEP_1) | instskip(SKIP_3) | instid1(SALU_CYCLE_1)
	v_lshl_or_b32 v19, v19, 4, v62
	ds_add_u32 v19, v84
	s_wait_alu 0xfffe
	s_or_b32 exec_lo, exec_lo, s1
	s_mov_b32 s1, exec_lo
	v_cmpx_gt_u32_e64 s0, v60
	s_cbranch_execz .LBB503_52
.LBB503_67:                             ;   in Loop: Header=BB503_16 Depth=2
	v_xor_b32_e32 v19, 0x7fffffff, v4
	s_delay_alu instid0(VALU_DEP_1) | instskip(NEXT) | instid1(VALU_DEP_1)
	v_lshrrev_b32_e32 v19, s31, v19
	v_and_b32_e32 v19, s48, v19
	s_delay_alu instid0(VALU_DEP_1)
	v_lshl_or_b32 v19, v19, 4, v62
	ds_add_u32 v19, v84
	s_wait_alu 0xfffe
	s_or_b32 exec_lo, exec_lo, s1
	v_cmp_gt_u32_e32 vcc_lo, s0, v61
	s_and_saveexec_b32 s0, vcc_lo
	s_cbranch_execz .LBB503_15
.LBB503_68:                             ;   in Loop: Header=BB503_16 Depth=2
	v_xor_b32_e32 v19, 0x7fffffff, v2
	s_delay_alu instid0(VALU_DEP_1) | instskip(NEXT) | instid1(VALU_DEP_1)
	v_lshrrev_b32_e32 v19, s31, v19
	v_and_b32_e32 v19, s48, v19
	s_delay_alu instid0(VALU_DEP_1)
	v_lshl_or_b32 v19, v19, 4, v62
	ds_add_u32 v19, v84
	s_branch .LBB503_15
.LBB503_69:                             ;   in Loop: Header=BB503_16 Depth=2
	global_load_b32 v18, v108, s[0:1]
	s_or_b32 exec_lo, exec_lo, s11
	s_delay_alu instid0(SALU_CYCLE_1)
	s_mov_b32 s11, exec_lo
	v_cmpx_gt_u32_e64 s9, v45
	s_cbranch_execz .LBB503_21
.LBB503_70:                             ;   in Loop: Header=BB503_16 Depth=2
	global_load_b32 v17, v108, s[0:1] offset:1024
	s_wait_alu 0xfffe
	s_or_b32 exec_lo, exec_lo, s11
	s_delay_alu instid0(SALU_CYCLE_1)
	s_mov_b32 s11, exec_lo
	v_cmpx_gt_u32_e64 s9, v46
	s_cbranch_execz .LBB503_22
.LBB503_71:                             ;   in Loop: Header=BB503_16 Depth=2
	global_load_b32 v16, v108, s[0:1] offset:2048
	s_wait_alu 0xfffe
	s_or_b32 exec_lo, exec_lo, s11
	s_delay_alu instid0(SALU_CYCLE_1)
	s_mov_b32 s11, exec_lo
	v_cmpx_gt_u32_e64 s9, v47
	s_cbranch_execz .LBB503_23
.LBB503_72:                             ;   in Loop: Header=BB503_16 Depth=2
	global_load_b32 v15, v108, s[0:1] offset:3072
	s_wait_alu 0xfffe
	s_or_b32 exec_lo, exec_lo, s11
	s_delay_alu instid0(SALU_CYCLE_1)
	s_mov_b32 s11, exec_lo
	v_cmpx_gt_u32_e64 s9, v50
	s_cbranch_execz .LBB503_24
.LBB503_73:                             ;   in Loop: Header=BB503_16 Depth=2
	global_load_b32 v14, v108, s[0:1] offset:4096
	s_wait_alu 0xfffe
	s_or_b32 exec_lo, exec_lo, s11
	s_delay_alu instid0(SALU_CYCLE_1)
	s_mov_b32 s11, exec_lo
	v_cmpx_gt_u32_e64 s9, v51
	s_cbranch_execz .LBB503_25
.LBB503_74:                             ;   in Loop: Header=BB503_16 Depth=2
	global_load_b32 v13, v108, s[0:1] offset:5120
	s_wait_alu 0xfffe
	s_or_b32 exec_lo, exec_lo, s11
	s_delay_alu instid0(SALU_CYCLE_1)
	s_mov_b32 s11, exec_lo
	v_cmpx_gt_u32_e64 s9, v52
	s_cbranch_execz .LBB503_26
.LBB503_75:                             ;   in Loop: Header=BB503_16 Depth=2
	global_load_b32 v12, v108, s[0:1] offset:6144
	s_wait_alu 0xfffe
	s_or_b32 exec_lo, exec_lo, s11
	s_delay_alu instid0(SALU_CYCLE_1)
	s_mov_b32 s11, exec_lo
	v_cmpx_gt_u32_e64 s9, v53
	s_cbranch_execz .LBB503_27
.LBB503_76:                             ;   in Loop: Header=BB503_16 Depth=2
	global_load_b32 v11, v108, s[0:1] offset:7168
	s_wait_alu 0xfffe
	s_or_b32 exec_lo, exec_lo, s11
	s_delay_alu instid0(SALU_CYCLE_1)
	s_mov_b32 s11, exec_lo
	v_cmpx_gt_u32_e64 s9, v54
	s_cbranch_execz .LBB503_28
.LBB503_77:                             ;   in Loop: Header=BB503_16 Depth=2
	global_load_b32 v10, v108, s[0:1] offset:8192
	s_wait_alu 0xfffe
	s_or_b32 exec_lo, exec_lo, s11
	s_delay_alu instid0(SALU_CYCLE_1)
	s_mov_b32 s11, exec_lo
	v_cmpx_gt_u32_e64 s9, v55
	s_cbranch_execz .LBB503_29
.LBB503_78:                             ;   in Loop: Header=BB503_16 Depth=2
	global_load_b32 v9, v108, s[0:1] offset:9216
	s_wait_alu 0xfffe
	s_or_b32 exec_lo, exec_lo, s11
	s_delay_alu instid0(SALU_CYCLE_1)
	s_mov_b32 s11, exec_lo
	v_cmpx_gt_u32_e64 s9, v56
	s_cbranch_execz .LBB503_30
.LBB503_79:                             ;   in Loop: Header=BB503_16 Depth=2
	global_load_b32 v8, v108, s[0:1] offset:10240
	s_wait_alu 0xfffe
	s_or_b32 exec_lo, exec_lo, s11
	s_delay_alu instid0(SALU_CYCLE_1)
	s_mov_b32 s11, exec_lo
	v_cmpx_gt_u32_e64 s9, v57
	s_cbranch_execz .LBB503_31
.LBB503_80:                             ;   in Loop: Header=BB503_16 Depth=2
	global_load_b32 v7, v108, s[0:1] offset:11264
	s_wait_alu 0xfffe
	s_or_b32 exec_lo, exec_lo, s11
	s_delay_alu instid0(SALU_CYCLE_1)
	s_mov_b32 s11, exec_lo
	v_cmpx_gt_u32_e64 s9, v58
	s_cbranch_execz .LBB503_32
.LBB503_81:                             ;   in Loop: Header=BB503_16 Depth=2
	global_load_b32 v6, v108, s[0:1] offset:12288
	s_wait_alu 0xfffe
	s_or_b32 exec_lo, exec_lo, s11
	s_delay_alu instid0(SALU_CYCLE_1)
	s_mov_b32 s11, exec_lo
	v_cmpx_gt_u32_e64 s9, v59
	s_cbranch_execz .LBB503_33
.LBB503_82:                             ;   in Loop: Header=BB503_16 Depth=2
	global_load_b32 v5, v108, s[0:1] offset:13312
	s_wait_alu 0xfffe
	s_or_b32 exec_lo, exec_lo, s11
	s_delay_alu instid0(SALU_CYCLE_1)
	s_mov_b32 s11, exec_lo
	v_cmpx_gt_u32_e64 s9, v60
	s_cbranch_execz .LBB503_34
.LBB503_83:                             ;   in Loop: Header=BB503_16 Depth=2
	global_load_b32 v4, v108, s[0:1] offset:14336
	s_wait_alu 0xfffe
	s_or_b32 exec_lo, exec_lo, s11
	s_delay_alu instid0(SALU_CYCLE_1)
	s_mov_b32 s11, exec_lo
	v_cmpx_gt_u32_e64 s9, v61
	s_cbranch_execnz .LBB503_35
	s_branch .LBB503_36
.LBB503_84:                             ;   in Loop: Header=BB503_12 Depth=1
	v_mov_b32_e32 v2, 0
	s_wait_dscnt 0x0
	s_barrier_signal -1
	s_barrier_wait -1
	global_inv scope:SCOPE_SE
	s_and_saveexec_b32 s0, s2
	s_cbranch_execz .LBB503_86
; %bb.85:                               ;   in Loop: Header=BB503_12 Depth=1
	ds_load_2addr_b64 v[4:7], v64 offset1:1
	s_wait_dscnt 0x0
	v_add_nc_u32_e32 v2, v5, v4
	s_delay_alu instid0(VALU_DEP_1)
	v_add3_u32 v2, v2, v6, v7
.LBB503_86:                             ;   in Loop: Header=BB503_12 Depth=1
	s_wait_alu 0xfffe
	s_or_b32 exec_lo, exec_lo, s0
	s_delay_alu instid0(VALU_DEP_1)
	v_mov_b32_dpp v4, v2 row_shr:1 row_mask:0xf bank_mask:0xf
	v_cmp_eq_u32_e64 s0, 0, v85
	v_cmp_lt_u32_e64 s1, 1, v85
	v_cmp_lt_u32_e64 s9, 3, v85
	;; [unrolled: 1-line block ×3, first 2 shown]
	v_cmp_eq_u32_e64 s11, 0, v87
	s_wait_alu 0xf1ff
	v_cndmask_b32_e64 v4, v4, 0, s0
	s_delay_alu instid0(VALU_DEP_1) | instskip(NEXT) | instid1(VALU_DEP_1)
	v_add_nc_u32_e32 v2, v4, v2
	v_mov_b32_dpp v4, v2 row_shr:2 row_mask:0xf bank_mask:0xf
	s_delay_alu instid0(VALU_DEP_1) | instskip(NEXT) | instid1(VALU_DEP_1)
	v_cndmask_b32_e64 v4, 0, v4, s1
	v_add_nc_u32_e32 v2, v2, v4
	s_delay_alu instid0(VALU_DEP_1) | instskip(NEXT) | instid1(VALU_DEP_1)
	v_mov_b32_dpp v4, v2 row_shr:4 row_mask:0xf bank_mask:0xf
	v_cndmask_b32_e64 v4, 0, v4, s9
	s_delay_alu instid0(VALU_DEP_1) | instskip(NEXT) | instid1(VALU_DEP_1)
	v_add_nc_u32_e32 v2, v2, v4
	v_mov_b32_dpp v4, v2 row_shr:8 row_mask:0xf bank_mask:0xf
	s_delay_alu instid0(VALU_DEP_1) | instskip(NEXT) | instid1(VALU_DEP_1)
	v_cndmask_b32_e64 v4, 0, v4, s10
	v_add_nc_u32_e32 v2, v2, v4
	ds_swizzle_b32 v4, v2 offset:swizzle(BROADCAST,32,15)
	s_wait_dscnt 0x0
	v_and_b32_e32 v4, v86, v4
	s_delay_alu instid0(VALU_DEP_1)
	v_add_nc_u32_e32 v2, v2, v4
	s_and_saveexec_b32 s12, s3
; %bb.87:                               ;   in Loop: Header=BB503_12 Depth=1
	ds_store_b32 v65, v2
; %bb.88:                               ;   in Loop: Header=BB503_12 Depth=1
	s_wait_alu 0xfffe
	s_or_b32 exec_lo, exec_lo, s12
	s_wait_loadcnt_dscnt 0x0
	s_barrier_signal -1
	s_barrier_wait -1
	global_inv scope:SCOPE_SE
	s_and_saveexec_b32 s12, s4
	s_cbranch_execz .LBB503_90
; %bb.89:                               ;   in Loop: Header=BB503_12 Depth=1
	ds_load_b32 v4, v66
	v_cmp_ne_u32_e32 vcc_lo, 0, v89
	s_wait_dscnt 0x0
	v_mov_b32_dpp v5, v4 row_shr:1 row_mask:0xf bank_mask:0xf
	s_wait_alu 0xfffd
	s_delay_alu instid0(VALU_DEP_1) | instskip(SKIP_1) | instid1(VALU_DEP_2)
	v_cndmask_b32_e32 v5, 0, v5, vcc_lo
	v_cmp_lt_u32_e32 vcc_lo, 1, v89
	v_add_nc_u32_e32 v4, v5, v4
	s_delay_alu instid0(VALU_DEP_1) | instskip(SKIP_1) | instid1(VALU_DEP_1)
	v_mov_b32_dpp v5, v4 row_shr:2 row_mask:0xf bank_mask:0xf
	s_wait_alu 0xfffd
	v_cndmask_b32_e32 v5, 0, v5, vcc_lo
	v_cmp_lt_u32_e32 vcc_lo, 3, v89
	s_delay_alu instid0(VALU_DEP_2) | instskip(NEXT) | instid1(VALU_DEP_1)
	v_add_nc_u32_e32 v4, v4, v5
	v_mov_b32_dpp v5, v4 row_shr:4 row_mask:0xf bank_mask:0xf
	s_wait_alu 0xfffd
	s_delay_alu instid0(VALU_DEP_1) | instskip(NEXT) | instid1(VALU_DEP_1)
	v_cndmask_b32_e32 v5, 0, v5, vcc_lo
	v_add_nc_u32_e32 v4, v4, v5
	ds_store_b32 v66, v4
.LBB503_90:                             ;   in Loop: Header=BB503_12 Depth=1
	s_wait_alu 0xfffe
	s_or_b32 exec_lo, exec_lo, s12
	v_mov_b32_e32 v4, 0
	s_wait_loadcnt_dscnt 0x0
	s_barrier_signal -1
	s_barrier_wait -1
	global_inv scope:SCOPE_SE
	s_and_saveexec_b32 s12, s5
; %bb.91:                               ;   in Loop: Header=BB503_12 Depth=1
	ds_load_b32 v4, v68
; %bb.92:                               ;   in Loop: Header=BB503_12 Depth=1
	s_wait_alu 0xfffe
	s_or_b32 exec_lo, exec_lo, s12
	v_cmp_gt_i32_e32 vcc_lo, 0, v90
	s_wait_loadcnt_dscnt 0x0
	s_barrier_signal -1
	s_barrier_wait -1
	global_inv scope:SCOPE_SE
	s_wait_alu 0xfffd
	v_dual_cndmask_b32 v5, v90, v81 :: v_dual_add_nc_u32 v2, v4, v2
	s_delay_alu instid0(VALU_DEP_1)
	v_lshlrev_b32_e32 v113, 2, v5
	ds_bpermute_b32 v2, v113, v2
	s_and_saveexec_b32 s12, s2
	s_cbranch_execz .LBB503_94
; %bb.93:                               ;   in Loop: Header=BB503_12 Depth=1
	s_wait_dscnt 0x0
	v_cndmask_b32_e64 v2, v2, v4, s8
	s_delay_alu instid0(VALU_DEP_1)
	v_add_nc_u32_e32 v2, s33, v2
	ds_store_b32 v44, v2
.LBB503_94:                             ;   in Loop: Header=BB503_12 Depth=1
	s_wait_alu 0xfffe
	s_or_b32 exec_lo, exec_lo, s12
	s_clause 0x1
	s_load_b32 s12, s[34:35], 0x4
	s_load_b32 s14, s[34:35], 0xc
	s_mov_b32 s54, s53
                                        ; implicit-def: $vgpr6_vgpr7
                                        ; implicit-def: $vgpr8_vgpr9
                                        ; implicit-def: $vgpr10_vgpr11
                                        ; implicit-def: $vgpr12_vgpr13
                                        ; implicit-def: $vgpr14_vgpr15
                                        ; implicit-def: $vgpr16_vgpr17
                                        ; implicit-def: $vgpr18_vgpr19
                                        ; implicit-def: $vgpr20_vgpr21
                                        ; implicit-def: $vgpr22_vgpr23
                                        ; implicit-def: $vgpr24_vgpr25
                                        ; implicit-def: $vgpr26_vgpr27
                                        ; implicit-def: $vgpr28_vgpr29
                                        ; implicit-def: $vgpr30_vgpr31
                                        ; implicit-def: $vgpr32_vgpr33
                                        ; implicit-def: $vgpr34_vgpr35
                                        ; implicit-def: $vgpr115
                                        ; implicit-def: $vgpr116
                                        ; implicit-def: $vgpr117
                                        ; implicit-def: $vgpr118
                                        ; implicit-def: $vgpr119
                                        ; implicit-def: $vgpr120
                                        ; implicit-def: $vgpr121
                                        ; implicit-def: $vgpr122
                                        ; implicit-def: $vgpr123
                                        ; implicit-def: $vgpr124
                                        ; implicit-def: $vgpr125
                                        ; implicit-def: $vgpr126
                                        ; implicit-def: $vgpr127
                                        ; implicit-def: $vgpr128
                                        ; implicit-def: $vgpr129
                                        ; implicit-def: $vgpr130
	s_wait_kmcnt 0x0
	s_cmp_lt_u32 ttmp7, s12
	s_cselect_b32 s42, 14, 20
	s_wait_alu 0xfffe
	s_add_nc_u64 s[12:13], s[34:35], s[42:43]
	s_mov_b32 s42, s33
	s_load_u16 s12, s[12:13], 0x0
	v_cmp_lt_u32_e64 s13, 1, v89
	s_wait_dscnt 0x0
	s_wait_kmcnt 0x0
	v_mad_u32_u24 v2, v69, s12, v0
	s_and_b32 s12, s14, 0xffff
	v_cmp_lt_u32_e64 s14, 3, v89
	s_wait_alu 0xfffe
	s_delay_alu instid0(VALU_DEP_2) | instskip(SKIP_1) | instid1(VALU_DEP_2)
	v_mad_co_u64_u32 v[4:5], null, v2, s12, v[1:2]
	v_cmp_eq_u32_e64 s12, 0, v89
	v_lshrrev_b32_e32 v2, 3, v4
                                        ; implicit-def: $vgpr4_vgpr5
	s_delay_alu instid0(VALU_DEP_1)
	v_and_b32_e32 v114, 0x1ffffffc, v2
	s_branch .LBB503_96
.LBB503_95:                             ;   in Loop: Header=BB503_96 Depth=2
	s_wait_alu 0xfffe
	s_or_b32 exec_lo, exec_lo, s15
	s_addk_co_i32 s54, 0xf000
	s_cmp_lt_u32 s55, s51
	s_mov_b32 s42, s55
	s_cbranch_scc0 .LBB503_304
.LBB503_96:                             ;   Parent Loop BB503_12 Depth=1
                                        ; =>  This Inner Loop Header: Depth=2
	s_wait_alu 0xfffe
	s_add_co_i32 s55, s42, 0x1000
	s_wait_alu 0xfffe
	s_cmp_gt_u32 s55, s51
	s_cbranch_scc1 .LBB503_98
; %bb.97:                               ;   in Loop: Header=BB503_96 Depth=2
	s_lshl_b64 s[16:17], s[42:43], 2
	s_mov_b32 s15, -1
	s_wait_alu 0xfffe
	v_add_co_u32 v36, vcc_lo, v111, s16
	s_wait_alu 0xfffd
	v_add_co_ci_u32_e64 v37, null, s17, v112, vcc_lo
	s_clause 0xe
	global_load_b32 v132, v[36:37], off
	global_load_b32 v133, v[36:37], off offset:128
	global_load_b32 v140, v[36:37], off offset:256
	;; [unrolled: 1-line block ×14, first 2 shown]
	s_movk_i32 s16, 0x1000
	s_cbranch_execz .LBB503_99
	s_branch .LBB503_130
.LBB503_98:                             ;   in Loop: Header=BB503_96 Depth=2
	s_mov_b32 s15, 0
                                        ; implicit-def: $vgpr132
                                        ; implicit-def: $vgpr133
                                        ; implicit-def: $vgpr140
                                        ; implicit-def: $vgpr144
                                        ; implicit-def: $vgpr148
                                        ; implicit-def: $vgpr152
                                        ; implicit-def: $vgpr156
                                        ; implicit-def: $vgpr160
                                        ; implicit-def: $vgpr163
                                        ; implicit-def: $vgpr43
                                        ; implicit-def: $vgpr42
                                        ; implicit-def: $vgpr41
                                        ; implicit-def: $vgpr40
                                        ; implicit-def: $vgpr39
                                        ; implicit-def: $vgpr38
	s_movk_i32 s16, 0x1000
.LBB503_99:                             ;   in Loop: Header=BB503_96 Depth=2
	s_lshl_b64 s[16:17], s[42:43], 2
	s_wait_loadcnt 0xd
	v_bfrev_b32_e32 v133, 1
	s_wait_alu 0xfffe
	v_add_co_u32 v36, vcc_lo, v111, s16
	s_wait_alu 0xfffd
	v_add_co_ci_u32_e64 v37, null, s17, v112, vcc_lo
	v_bfrev_b32_e32 v132, 1
	s_mov_b32 s15, exec_lo
	v_cmpx_gt_u32_e64 s54, v88
	s_cbranch_execz .LBB503_101
; %bb.100:                              ;   in Loop: Header=BB503_96 Depth=2
	global_load_b32 v132, v[36:37], off
.LBB503_101:                            ;   in Loop: Header=BB503_96 Depth=2
	s_wait_alu 0xfffe
	s_or_b32 exec_lo, exec_lo, s15
	s_delay_alu instid0(SALU_CYCLE_1)
	s_mov_b32 s15, exec_lo
	v_cmpx_gt_u32_e64 s54, v92
	s_cbranch_execz .LBB503_103
; %bb.102:                              ;   in Loop: Header=BB503_96 Depth=2
	global_load_b32 v133, v[36:37], off offset:128
.LBB503_103:                            ;   in Loop: Header=BB503_96 Depth=2
	s_wait_alu 0xfffe
	s_or_b32 exec_lo, exec_lo, s15
	s_wait_loadcnt 0xb
	v_bfrev_b32_e32 v144, 1
	v_bfrev_b32_e32 v140, 1
	s_mov_b32 s15, exec_lo
	v_cmpx_gt_u32_e64 s54, v93
	s_cbranch_execz .LBB503_105
; %bb.104:                              ;   in Loop: Header=BB503_96 Depth=2
	global_load_b32 v140, v[36:37], off offset:256
.LBB503_105:                            ;   in Loop: Header=BB503_96 Depth=2
	s_wait_alu 0xfffe
	s_or_b32 exec_lo, exec_lo, s15
	s_delay_alu instid0(SALU_CYCLE_1)
	s_mov_b32 s15, exec_lo
	v_cmpx_gt_u32_e64 s54, v94
	s_cbranch_execz .LBB503_107
; %bb.106:                              ;   in Loop: Header=BB503_96 Depth=2
	global_load_b32 v144, v[36:37], off offset:384
.LBB503_107:                            ;   in Loop: Header=BB503_96 Depth=2
	s_wait_alu 0xfffe
	s_or_b32 exec_lo, exec_lo, s15
	s_wait_loadcnt 0x9
	v_bfrev_b32_e32 v152, 1
	v_bfrev_b32_e32 v148, 1
	s_mov_b32 s15, exec_lo
	v_cmpx_gt_u32_e64 s54, v95
	s_cbranch_execz .LBB503_109
; %bb.108:                              ;   in Loop: Header=BB503_96 Depth=2
	global_load_b32 v148, v[36:37], off offset:512
.LBB503_109:                            ;   in Loop: Header=BB503_96 Depth=2
	;; [unrolled: 20-line block ×6, first 2 shown]
	s_wait_alu 0xfffe
	s_or_b32 exec_lo, exec_lo, s15
	s_delay_alu instid0(SALU_CYCLE_1)
	s_mov_b32 s15, exec_lo
	v_cmpx_gt_u32_e64 s54, v104
	s_cbranch_execz .LBB503_127
; %bb.126:                              ;   in Loop: Header=BB503_96 Depth=2
	global_load_b32 v39, v[36:37], off offset:1664
.LBB503_127:                            ;   in Loop: Header=BB503_96 Depth=2
	s_wait_alu 0xfffe
	s_or_b32 exec_lo, exec_lo, s15
	s_wait_loadcnt 0x0
	v_bfrev_b32_e32 v38, 1
	s_mov_b32 s15, exec_lo
	v_cmpx_gt_u32_e64 s54, v105
	s_cbranch_execz .LBB503_129
; %bb.128:                              ;   in Loop: Header=BB503_96 Depth=2
	global_load_b32 v38, v[36:37], off offset:1792
.LBB503_129:                            ;   in Loop: Header=BB503_96 Depth=2
	s_wait_alu 0xfffe
	s_or_b32 exec_lo, exec_lo, s15
	v_cmp_gt_u32_e64 s15, s54, v106
	s_sub_co_i32 s16, s51, s42
.LBB503_130:                            ;   in Loop: Header=BB503_96 Depth=2
	v_dual_mov_b32 v2, -1 :: v_dual_mov_b32 v131, s54
	s_and_saveexec_b32 s17, s15
	s_cbranch_execz .LBB503_132
; %bb.131:                              ;   in Loop: Header=BB503_96 Depth=2
	s_lshl_b64 s[18:19], s[42:43], 2
	s_wait_alu 0xfffe
	v_mov_b32_e32 v131, s16
	v_add_co_u32 v36, vcc_lo, v111, s18
	s_wait_alu 0xfffd
	v_add_co_ci_u32_e64 v37, null, s19, v112, vcc_lo
	global_load_b32 v2, v[36:37], off offset:1920
	s_wait_loadcnt 0x0
	v_xor_b32_e32 v2, 0x7fffffff, v2
.LBB503_132:                            ;   in Loop: Header=BB503_96 Depth=2
	s_wait_alu 0xfffe
	s_or_b32 exec_lo, exec_lo, s17
	s_wait_loadcnt 0xe
	v_xor_b32_e32 v132, 0x7fffffff, v132
	s_delay_alu instid0(VALU_DEP_1) | instskip(NEXT) | instid1(VALU_DEP_1)
	v_lshrrev_b32_e32 v36, s31, v132
	v_and_b32_e32 v37, s48, v36
	s_delay_alu instid0(VALU_DEP_1)
	v_and_b32_e32 v36, 1, v37
	v_lshlrev_b32_e32 v134, 30, v37
	v_lshlrev_b32_e32 v135, 29, v37
	;; [unrolled: 1-line block ×4, first 2 shown]
	v_add_co_u32 v36, s15, v36, -1
	s_wait_alu 0xf1ff
	v_cndmask_b32_e64 v137, 0, 1, s15
	v_not_b32_e32 v142, v134
	v_cmp_gt_i32_e64 s15, 0, v134
	v_not_b32_e32 v134, v135
	v_lshlrev_b32_e32 v139, 26, v37
	v_cmp_ne_u32_e32 vcc_lo, 0, v137
	v_ashrrev_i32_e32 v142, 31, v142
	v_lshlrev_b32_e32 v141, 25, v37
	v_ashrrev_i32_e32 v134, 31, v134
	v_lshlrev_b32_e32 v137, 24, v37
	s_wait_alu 0xfffd
	v_xor_b32_e32 v36, vcc_lo, v36
	v_cmp_gt_i32_e32 vcc_lo, 0, v135
	v_not_b32_e32 v135, v136
	s_wait_alu 0xf1ff
	v_xor_b32_e32 v142, s15, v142
	v_cmp_gt_i32_e64 s15, 0, v136
	v_and_b32_e32 v36, exec_lo, v36
	v_not_b32_e32 v136, v138
	v_ashrrev_i32_e32 v135, 31, v135
	s_wait_alu 0xfffd
	v_xor_b32_e32 v134, vcc_lo, v134
	v_cmp_gt_i32_e32 vcc_lo, 0, v138
	v_and_b32_e32 v36, v36, v142
	v_not_b32_e32 v138, v139
	v_ashrrev_i32_e32 v136, 31, v136
	s_wait_alu 0xf1ff
	v_xor_b32_e32 v135, s15, v135
	v_cmp_gt_i32_e64 s15, 0, v139
	v_and_b32_e32 v36, v36, v134
	v_not_b32_e32 v134, v141
	v_ashrrev_i32_e32 v138, 31, v138
	s_wait_alu 0xfffd
	v_xor_b32_e32 v136, vcc_lo, v136
	v_cmp_gt_i32_e32 vcc_lo, 0, v141
	v_and_b32_e32 v36, v36, v135
	v_not_b32_e32 v135, v137
	v_ashrrev_i32_e32 v134, 31, v134
	s_wait_alu 0xf1ff
	v_xor_b32_e32 v138, s15, v138
	v_cmp_gt_i32_e64 s15, 0, v137
	v_and_b32_e32 v36, v36, v136
	v_ashrrev_i32_e32 v135, 31, v135
	s_wait_alu 0xfffd
	v_xor_b32_e32 v134, vcc_lo, v134
	v_mul_u32_u24_e32 v37, 36, v37
	v_add_nc_u32_e32 v137, 0x428, v67
	v_and_b32_e32 v36, v36, v138
	s_wait_alu 0xf1ff
	v_xor_b32_e32 v136, s15, v135
	v_add_nc_u32_e32 v135, 0x438, v67
	v_add_nc_u32_e32 v138, 0x430, v67
	;; [unrolled: 1-line block ×3, first 2 shown]
	v_and_b32_e32 v36, v36, v134
	ds_store_2addr_b32 v135, v3, v3 offset1:1
	v_and_b32_e32 v36, v36, v136
	v_add_nc_u32_e32 v136, 0x420, v67
	ds_store_2addr_b32 v136, v3, v3 offset1:1
	ds_store_2addr_b32 v137, v3, v3 offset1:1
	;; [unrolled: 1-line block ×3, first 2 shown]
	ds_store_b32 v67, v3 offset:1088
	v_mbcnt_lo_u32_b32 v134, v36, 0
	v_cmp_ne_u32_e64 s15, 0, v36
	s_wait_loadcnt_dscnt 0x0
	s_barrier_signal -1
	s_barrier_wait -1
	v_cmp_eq_u32_e32 vcc_lo, 0, v134
	global_inv scope:SCOPE_SE
	; wave barrier
	s_and_b32 s16, s15, vcc_lo
	s_wait_alu 0xfffe
	s_and_saveexec_b32 s15, s16
; %bb.133:                              ;   in Loop: Header=BB503_96 Depth=2
	v_bcnt_u32_b32 v36, v36, 0
	ds_store_b32 v139, v36 offset:1056
; %bb.134:                              ;   in Loop: Header=BB503_96 Depth=2
	s_wait_alu 0xfffe
	s_or_b32 exec_lo, exec_lo, s15
	v_xor_b32_e32 v133, 0x7fffffff, v133
	; wave barrier
	s_delay_alu instid0(VALU_DEP_1) | instskip(NEXT) | instid1(VALU_DEP_1)
	v_lshrrev_b32_e32 v36, s31, v133
	v_and_b32_e32 v37, s48, v36
	s_delay_alu instid0(VALU_DEP_1)
	v_and_b32_e32 v36, 1, v37
	v_lshlrev_b32_e32 v141, 30, v37
	v_lshlrev_b32_e32 v142, 29, v37
	;; [unrolled: 1-line block ×4, first 2 shown]
	v_add_co_u32 v36, s15, v36, -1
	s_wait_alu 0xf1ff
	v_cndmask_b32_e64 v145, 0, 1, s15
	v_not_b32_e32 v150, v141
	v_cmp_gt_i32_e64 s15, 0, v141
	v_not_b32_e32 v141, v142
	v_lshlrev_b32_e32 v147, 26, v37
	v_cmp_ne_u32_e32 vcc_lo, 0, v145
	v_ashrrev_i32_e32 v150, 31, v150
	v_lshlrev_b32_e32 v149, 25, v37
	v_ashrrev_i32_e32 v141, 31, v141
	v_lshlrev_b32_e32 v145, 24, v37
	s_wait_alu 0xfffd
	v_xor_b32_e32 v36, vcc_lo, v36
	v_cmp_gt_i32_e32 vcc_lo, 0, v142
	v_not_b32_e32 v142, v143
	s_wait_alu 0xf1ff
	v_xor_b32_e32 v150, s15, v150
	v_cmp_gt_i32_e64 s15, 0, v143
	v_and_b32_e32 v36, exec_lo, v36
	v_not_b32_e32 v143, v146
	v_ashrrev_i32_e32 v142, 31, v142
	s_wait_alu 0xfffd
	v_xor_b32_e32 v141, vcc_lo, v141
	v_cmp_gt_i32_e32 vcc_lo, 0, v146
	v_and_b32_e32 v36, v36, v150
	v_not_b32_e32 v146, v147
	v_ashrrev_i32_e32 v143, 31, v143
	s_wait_alu 0xf1ff
	v_xor_b32_e32 v142, s15, v142
	v_cmp_gt_i32_e64 s15, 0, v147
	v_and_b32_e32 v36, v36, v141
	v_not_b32_e32 v141, v149
	v_ashrrev_i32_e32 v146, 31, v146
	s_wait_alu 0xfffd
	v_xor_b32_e32 v143, vcc_lo, v143
	v_cmp_gt_i32_e32 vcc_lo, 0, v149
	v_and_b32_e32 v36, v36, v142
	v_not_b32_e32 v142, v145
	v_ashrrev_i32_e32 v141, 31, v141
	s_wait_alu 0xf1ff
	v_xor_b32_e32 v146, s15, v146
	v_cmp_gt_i32_e64 s15, 0, v145
	v_and_b32_e32 v36, v36, v143
	v_ashrrev_i32_e32 v142, 31, v142
	s_wait_alu 0xfffd
	v_xor_b32_e32 v141, vcc_lo, v141
	v_mad_u32_u24 v143, v37, 36, v114
	v_mul_u32_u24_e32 v37, 36, v37
	v_and_b32_e32 v36, v36, v146
	s_wait_alu 0xf1ff
	v_xor_b32_e32 v142, s15, v142
	s_delay_alu instid0(VALU_DEP_2) | instskip(SKIP_3) | instid1(VALU_DEP_1)
	v_and_b32_e32 v36, v36, v141
	ds_load_b32 v141, v143 offset:1056
	v_add_nc_u32_e32 v143, v114, v37
	; wave barrier
	v_and_b32_e32 v36, v36, v142
	v_mbcnt_lo_u32_b32 v142, v36, 0
	v_cmp_ne_u32_e64 s15, 0, v36
	s_delay_alu instid0(VALU_DEP_2)
	v_cmp_eq_u32_e32 vcc_lo, 0, v142
	s_and_b32 s16, s15, vcc_lo
	s_wait_alu 0xfffe
	s_and_saveexec_b32 s15, s16
	s_cbranch_execz .LBB503_136
; %bb.135:                              ;   in Loop: Header=BB503_96 Depth=2
	s_wait_dscnt 0x0
	v_bcnt_u32_b32 v36, v36, v141
	ds_store_b32 v143, v36 offset:1056
.LBB503_136:                            ;   in Loop: Header=BB503_96 Depth=2
	s_wait_alu 0xfffe
	s_or_b32 exec_lo, exec_lo, s15
	v_xor_b32_e32 v140, 0x7fffffff, v140
	; wave barrier
	s_delay_alu instid0(VALU_DEP_1) | instskip(NEXT) | instid1(VALU_DEP_1)
	v_lshrrev_b32_e32 v36, s31, v140
	v_and_b32_e32 v37, s48, v36
	s_delay_alu instid0(VALU_DEP_1)
	v_and_b32_e32 v36, 1, v37
	v_lshlrev_b32_e32 v145, 30, v37
	v_lshlrev_b32_e32 v146, 29, v37
	;; [unrolled: 1-line block ×4, first 2 shown]
	v_add_co_u32 v36, s15, v36, -1
	s_wait_alu 0xf1ff
	v_cndmask_b32_e64 v149, 0, 1, s15
	v_not_b32_e32 v154, v145
	v_cmp_gt_i32_e64 s15, 0, v145
	v_not_b32_e32 v145, v146
	v_lshlrev_b32_e32 v151, 26, v37
	v_cmp_ne_u32_e32 vcc_lo, 0, v149
	v_ashrrev_i32_e32 v154, 31, v154
	v_lshlrev_b32_e32 v153, 25, v37
	v_ashrrev_i32_e32 v145, 31, v145
	v_lshlrev_b32_e32 v149, 24, v37
	s_wait_alu 0xfffd
	v_xor_b32_e32 v36, vcc_lo, v36
	v_cmp_gt_i32_e32 vcc_lo, 0, v146
	v_not_b32_e32 v146, v147
	s_wait_alu 0xf1ff
	v_xor_b32_e32 v154, s15, v154
	v_cmp_gt_i32_e64 s15, 0, v147
	v_and_b32_e32 v36, exec_lo, v36
	v_not_b32_e32 v147, v150
	v_ashrrev_i32_e32 v146, 31, v146
	s_wait_alu 0xfffd
	v_xor_b32_e32 v145, vcc_lo, v145
	v_cmp_gt_i32_e32 vcc_lo, 0, v150
	v_and_b32_e32 v36, v36, v154
	v_not_b32_e32 v150, v151
	v_ashrrev_i32_e32 v147, 31, v147
	s_wait_alu 0xf1ff
	v_xor_b32_e32 v146, s15, v146
	v_cmp_gt_i32_e64 s15, 0, v151
	v_and_b32_e32 v36, v36, v145
	v_not_b32_e32 v145, v153
	v_ashrrev_i32_e32 v150, 31, v150
	s_wait_alu 0xfffd
	v_xor_b32_e32 v147, vcc_lo, v147
	v_cmp_gt_i32_e32 vcc_lo, 0, v153
	v_and_b32_e32 v36, v36, v146
	v_not_b32_e32 v146, v149
	v_ashrrev_i32_e32 v145, 31, v145
	s_wait_alu 0xf1ff
	v_xor_b32_e32 v150, s15, v150
	v_cmp_gt_i32_e64 s15, 0, v149
	v_and_b32_e32 v36, v36, v147
	v_ashrrev_i32_e32 v146, 31, v146
	s_wait_alu 0xfffd
	v_xor_b32_e32 v145, vcc_lo, v145
	v_mad_u32_u24 v147, v37, 36, v114
	v_mul_u32_u24_e32 v37, 36, v37
	v_and_b32_e32 v36, v36, v150
	s_wait_alu 0xf1ff
	v_xor_b32_e32 v146, s15, v146
	s_delay_alu instid0(VALU_DEP_2) | instskip(SKIP_3) | instid1(VALU_DEP_1)
	v_and_b32_e32 v36, v36, v145
	ds_load_b32 v145, v147 offset:1056
	v_add_nc_u32_e32 v147, v114, v37
	; wave barrier
	v_and_b32_e32 v36, v36, v146
	v_mbcnt_lo_u32_b32 v146, v36, 0
	v_cmp_ne_u32_e64 s15, 0, v36
	s_delay_alu instid0(VALU_DEP_2)
	v_cmp_eq_u32_e32 vcc_lo, 0, v146
	s_and_b32 s16, s15, vcc_lo
	s_wait_alu 0xfffe
	s_and_saveexec_b32 s15, s16
	s_cbranch_execz .LBB503_138
; %bb.137:                              ;   in Loop: Header=BB503_96 Depth=2
	s_wait_dscnt 0x0
	v_bcnt_u32_b32 v36, v36, v145
	ds_store_b32 v147, v36 offset:1056
.LBB503_138:                            ;   in Loop: Header=BB503_96 Depth=2
	s_wait_alu 0xfffe
	s_or_b32 exec_lo, exec_lo, s15
	v_xor_b32_e32 v144, 0x7fffffff, v144
	; wave barrier
	s_delay_alu instid0(VALU_DEP_1) | instskip(NEXT) | instid1(VALU_DEP_1)
	v_lshrrev_b32_e32 v36, s31, v144
	v_and_b32_e32 v37, s48, v36
	s_delay_alu instid0(VALU_DEP_1)
	v_and_b32_e32 v36, 1, v37
	v_lshlrev_b32_e32 v149, 30, v37
	v_lshlrev_b32_e32 v150, 29, v37
	;; [unrolled: 1-line block ×4, first 2 shown]
	v_add_co_u32 v36, s15, v36, -1
	s_wait_alu 0xf1ff
	v_cndmask_b32_e64 v153, 0, 1, s15
	v_not_b32_e32 v158, v149
	v_cmp_gt_i32_e64 s15, 0, v149
	v_not_b32_e32 v149, v150
	v_lshlrev_b32_e32 v155, 26, v37
	v_cmp_ne_u32_e32 vcc_lo, 0, v153
	v_ashrrev_i32_e32 v158, 31, v158
	v_lshlrev_b32_e32 v157, 25, v37
	v_ashrrev_i32_e32 v149, 31, v149
	v_lshlrev_b32_e32 v153, 24, v37
	s_wait_alu 0xfffd
	v_xor_b32_e32 v36, vcc_lo, v36
	v_cmp_gt_i32_e32 vcc_lo, 0, v150
	v_not_b32_e32 v150, v151
	s_wait_alu 0xf1ff
	v_xor_b32_e32 v158, s15, v158
	v_cmp_gt_i32_e64 s15, 0, v151
	v_and_b32_e32 v36, exec_lo, v36
	v_not_b32_e32 v151, v154
	v_ashrrev_i32_e32 v150, 31, v150
	s_wait_alu 0xfffd
	v_xor_b32_e32 v149, vcc_lo, v149
	v_cmp_gt_i32_e32 vcc_lo, 0, v154
	v_and_b32_e32 v36, v36, v158
	v_not_b32_e32 v154, v155
	v_ashrrev_i32_e32 v151, 31, v151
	s_wait_alu 0xf1ff
	v_xor_b32_e32 v150, s15, v150
	v_cmp_gt_i32_e64 s15, 0, v155
	v_and_b32_e32 v36, v36, v149
	v_not_b32_e32 v149, v157
	v_ashrrev_i32_e32 v154, 31, v154
	s_wait_alu 0xfffd
	v_xor_b32_e32 v151, vcc_lo, v151
	v_cmp_gt_i32_e32 vcc_lo, 0, v157
	v_and_b32_e32 v36, v36, v150
	v_not_b32_e32 v150, v153
	v_ashrrev_i32_e32 v149, 31, v149
	s_wait_alu 0xf1ff
	v_xor_b32_e32 v154, s15, v154
	v_cmp_gt_i32_e64 s15, 0, v153
	v_and_b32_e32 v36, v36, v151
	v_ashrrev_i32_e32 v150, 31, v150
	s_wait_alu 0xfffd
	v_xor_b32_e32 v149, vcc_lo, v149
	v_mad_u32_u24 v151, v37, 36, v114
	v_mul_u32_u24_e32 v37, 36, v37
	v_and_b32_e32 v36, v36, v154
	s_wait_alu 0xf1ff
	v_xor_b32_e32 v150, s15, v150
	s_delay_alu instid0(VALU_DEP_2) | instskip(SKIP_3) | instid1(VALU_DEP_1)
	v_and_b32_e32 v36, v36, v149
	ds_load_b32 v149, v151 offset:1056
	v_add_nc_u32_e32 v151, v114, v37
	; wave barrier
	v_and_b32_e32 v36, v36, v150
	v_mbcnt_lo_u32_b32 v150, v36, 0
	v_cmp_ne_u32_e64 s15, 0, v36
	s_delay_alu instid0(VALU_DEP_2)
	v_cmp_eq_u32_e32 vcc_lo, 0, v150
	s_and_b32 s16, s15, vcc_lo
	s_wait_alu 0xfffe
	s_and_saveexec_b32 s15, s16
	s_cbranch_execz .LBB503_140
; %bb.139:                              ;   in Loop: Header=BB503_96 Depth=2
	s_wait_dscnt 0x0
	v_bcnt_u32_b32 v36, v36, v149
	ds_store_b32 v151, v36 offset:1056
.LBB503_140:                            ;   in Loop: Header=BB503_96 Depth=2
	s_wait_alu 0xfffe
	s_or_b32 exec_lo, exec_lo, s15
	v_xor_b32_e32 v148, 0x7fffffff, v148
	; wave barrier
	s_delay_alu instid0(VALU_DEP_1) | instskip(NEXT) | instid1(VALU_DEP_1)
	v_lshrrev_b32_e32 v36, s31, v148
	v_and_b32_e32 v37, s48, v36
	s_delay_alu instid0(VALU_DEP_1)
	v_and_b32_e32 v36, 1, v37
	v_lshlrev_b32_e32 v153, 30, v37
	v_lshlrev_b32_e32 v154, 29, v37
	;; [unrolled: 1-line block ×4, first 2 shown]
	v_add_co_u32 v36, s15, v36, -1
	s_wait_alu 0xf1ff
	v_cndmask_b32_e64 v157, 0, 1, s15
	v_not_b32_e32 v162, v153
	v_cmp_gt_i32_e64 s15, 0, v153
	v_not_b32_e32 v153, v154
	v_lshlrev_b32_e32 v159, 26, v37
	v_cmp_ne_u32_e32 vcc_lo, 0, v157
	v_ashrrev_i32_e32 v162, 31, v162
	v_lshlrev_b32_e32 v161, 25, v37
	v_ashrrev_i32_e32 v153, 31, v153
	v_lshlrev_b32_e32 v157, 24, v37
	s_wait_alu 0xfffd
	v_xor_b32_e32 v36, vcc_lo, v36
	v_cmp_gt_i32_e32 vcc_lo, 0, v154
	v_not_b32_e32 v154, v155
	s_wait_alu 0xf1ff
	v_xor_b32_e32 v162, s15, v162
	v_cmp_gt_i32_e64 s15, 0, v155
	v_and_b32_e32 v36, exec_lo, v36
	v_not_b32_e32 v155, v158
	v_ashrrev_i32_e32 v154, 31, v154
	s_wait_alu 0xfffd
	v_xor_b32_e32 v153, vcc_lo, v153
	v_cmp_gt_i32_e32 vcc_lo, 0, v158
	v_and_b32_e32 v36, v36, v162
	v_not_b32_e32 v158, v159
	v_ashrrev_i32_e32 v155, 31, v155
	s_wait_alu 0xf1ff
	v_xor_b32_e32 v154, s15, v154
	v_cmp_gt_i32_e64 s15, 0, v159
	v_and_b32_e32 v36, v36, v153
	v_not_b32_e32 v153, v161
	v_ashrrev_i32_e32 v158, 31, v158
	s_wait_alu 0xfffd
	v_xor_b32_e32 v155, vcc_lo, v155
	v_cmp_gt_i32_e32 vcc_lo, 0, v161
	v_and_b32_e32 v36, v36, v154
	v_not_b32_e32 v154, v157
	v_ashrrev_i32_e32 v153, 31, v153
	s_wait_alu 0xf1ff
	v_xor_b32_e32 v158, s15, v158
	v_cmp_gt_i32_e64 s15, 0, v157
	v_and_b32_e32 v36, v36, v155
	v_ashrrev_i32_e32 v154, 31, v154
	s_wait_alu 0xfffd
	v_xor_b32_e32 v153, vcc_lo, v153
	v_mad_u32_u24 v155, v37, 36, v114
	v_mul_u32_u24_e32 v37, 36, v37
	v_and_b32_e32 v36, v36, v158
	s_wait_alu 0xf1ff
	v_xor_b32_e32 v154, s15, v154
	s_delay_alu instid0(VALU_DEP_2) | instskip(SKIP_3) | instid1(VALU_DEP_1)
	v_and_b32_e32 v36, v36, v153
	ds_load_b32 v153, v155 offset:1056
	v_add_nc_u32_e32 v155, v114, v37
	; wave barrier
	v_and_b32_e32 v36, v36, v154
	v_mbcnt_lo_u32_b32 v154, v36, 0
	v_cmp_ne_u32_e64 s15, 0, v36
	s_delay_alu instid0(VALU_DEP_2)
	v_cmp_eq_u32_e32 vcc_lo, 0, v154
	s_and_b32 s16, s15, vcc_lo
	s_wait_alu 0xfffe
	s_and_saveexec_b32 s15, s16
	s_cbranch_execz .LBB503_142
; %bb.141:                              ;   in Loop: Header=BB503_96 Depth=2
	s_wait_dscnt 0x0
	v_bcnt_u32_b32 v36, v36, v153
	ds_store_b32 v155, v36 offset:1056
.LBB503_142:                            ;   in Loop: Header=BB503_96 Depth=2
	s_wait_alu 0xfffe
	s_or_b32 exec_lo, exec_lo, s15
	v_xor_b32_e32 v152, 0x7fffffff, v152
	; wave barrier
	s_delay_alu instid0(VALU_DEP_1) | instskip(NEXT) | instid1(VALU_DEP_1)
	v_lshrrev_b32_e32 v36, s31, v152
	v_and_b32_e32 v37, s48, v36
	s_delay_alu instid0(VALU_DEP_1)
	v_and_b32_e32 v36, 1, v37
	v_lshlrev_b32_e32 v157, 30, v37
	v_lshlrev_b32_e32 v158, 29, v37
	;; [unrolled: 1-line block ×4, first 2 shown]
	v_add_co_u32 v36, s15, v36, -1
	s_wait_alu 0xf1ff
	v_cndmask_b32_e64 v161, 0, 1, s15
	v_not_b32_e32 v166, v157
	v_cmp_gt_i32_e64 s15, 0, v157
	v_not_b32_e32 v157, v158
	v_lshlrev_b32_e32 v164, 26, v37
	v_cmp_ne_u32_e32 vcc_lo, 0, v161
	v_ashrrev_i32_e32 v166, 31, v166
	v_lshlrev_b32_e32 v165, 25, v37
	v_ashrrev_i32_e32 v157, 31, v157
	v_lshlrev_b32_e32 v161, 24, v37
	s_wait_alu 0xfffd
	v_xor_b32_e32 v36, vcc_lo, v36
	v_cmp_gt_i32_e32 vcc_lo, 0, v158
	v_not_b32_e32 v158, v159
	s_wait_alu 0xf1ff
	v_xor_b32_e32 v166, s15, v166
	v_cmp_gt_i32_e64 s15, 0, v159
	v_and_b32_e32 v36, exec_lo, v36
	v_not_b32_e32 v159, v162
	v_ashrrev_i32_e32 v158, 31, v158
	s_wait_alu 0xfffd
	v_xor_b32_e32 v157, vcc_lo, v157
	v_cmp_gt_i32_e32 vcc_lo, 0, v162
	v_and_b32_e32 v36, v36, v166
	v_not_b32_e32 v162, v164
	v_ashrrev_i32_e32 v159, 31, v159
	s_wait_alu 0xf1ff
	v_xor_b32_e32 v158, s15, v158
	v_cmp_gt_i32_e64 s15, 0, v164
	v_and_b32_e32 v36, v36, v157
	v_not_b32_e32 v157, v165
	v_ashrrev_i32_e32 v162, 31, v162
	s_wait_alu 0xfffd
	v_xor_b32_e32 v159, vcc_lo, v159
	v_cmp_gt_i32_e32 vcc_lo, 0, v165
	v_and_b32_e32 v36, v36, v158
	v_not_b32_e32 v158, v161
	v_ashrrev_i32_e32 v157, 31, v157
	s_wait_alu 0xf1ff
	v_xor_b32_e32 v162, s15, v162
	v_cmp_gt_i32_e64 s15, 0, v161
	v_and_b32_e32 v36, v36, v159
	v_ashrrev_i32_e32 v158, 31, v158
	s_wait_alu 0xfffd
	v_xor_b32_e32 v157, vcc_lo, v157
	v_mad_u32_u24 v159, v37, 36, v114
	v_mul_u32_u24_e32 v37, 36, v37
	v_and_b32_e32 v36, v36, v162
	s_wait_alu 0xf1ff
	v_xor_b32_e32 v158, s15, v158
	s_delay_alu instid0(VALU_DEP_2) | instskip(SKIP_3) | instid1(VALU_DEP_1)
	v_and_b32_e32 v36, v36, v157
	ds_load_b32 v157, v159 offset:1056
	v_add_nc_u32_e32 v159, v114, v37
	; wave barrier
	v_and_b32_e32 v36, v36, v158
	v_mbcnt_lo_u32_b32 v158, v36, 0
	v_cmp_ne_u32_e64 s15, 0, v36
	s_delay_alu instid0(VALU_DEP_2)
	v_cmp_eq_u32_e32 vcc_lo, 0, v158
	s_and_b32 s16, s15, vcc_lo
	s_wait_alu 0xfffe
	s_and_saveexec_b32 s15, s16
	s_cbranch_execz .LBB503_144
; %bb.143:                              ;   in Loop: Header=BB503_96 Depth=2
	s_wait_dscnt 0x0
	v_bcnt_u32_b32 v36, v36, v157
	ds_store_b32 v159, v36 offset:1056
.LBB503_144:                            ;   in Loop: Header=BB503_96 Depth=2
	s_wait_alu 0xfffe
	s_or_b32 exec_lo, exec_lo, s15
	v_xor_b32_e32 v156, 0x7fffffff, v156
	; wave barrier
	s_delay_alu instid0(VALU_DEP_1) | instskip(NEXT) | instid1(VALU_DEP_1)
	v_lshrrev_b32_e32 v36, s31, v156
	v_and_b32_e32 v37, s48, v36
	s_delay_alu instid0(VALU_DEP_1)
	v_and_b32_e32 v36, 1, v37
	v_lshlrev_b32_e32 v161, 30, v37
	v_lshlrev_b32_e32 v162, 29, v37
	;; [unrolled: 1-line block ×4, first 2 shown]
	v_add_co_u32 v36, s15, v36, -1
	s_wait_alu 0xf1ff
	v_cndmask_b32_e64 v165, 0, 1, s15
	v_not_b32_e32 v169, v161
	v_cmp_gt_i32_e64 s15, 0, v161
	v_not_b32_e32 v161, v162
	v_lshlrev_b32_e32 v167, 26, v37
	v_cmp_ne_u32_e32 vcc_lo, 0, v165
	v_ashrrev_i32_e32 v169, 31, v169
	v_lshlrev_b32_e32 v168, 25, v37
	v_ashrrev_i32_e32 v161, 31, v161
	v_lshlrev_b32_e32 v165, 24, v37
	s_wait_alu 0xfffd
	v_xor_b32_e32 v36, vcc_lo, v36
	v_cmp_gt_i32_e32 vcc_lo, 0, v162
	v_not_b32_e32 v162, v164
	s_wait_alu 0xf1ff
	v_xor_b32_e32 v169, s15, v169
	v_cmp_gt_i32_e64 s15, 0, v164
	v_and_b32_e32 v36, exec_lo, v36
	v_not_b32_e32 v164, v166
	v_ashrrev_i32_e32 v162, 31, v162
	s_wait_alu 0xfffd
	v_xor_b32_e32 v161, vcc_lo, v161
	v_cmp_gt_i32_e32 vcc_lo, 0, v166
	v_and_b32_e32 v36, v36, v169
	v_not_b32_e32 v166, v167
	v_ashrrev_i32_e32 v164, 31, v164
	s_wait_alu 0xf1ff
	v_xor_b32_e32 v162, s15, v162
	v_cmp_gt_i32_e64 s15, 0, v167
	v_and_b32_e32 v36, v36, v161
	v_not_b32_e32 v161, v168
	v_ashrrev_i32_e32 v166, 31, v166
	s_wait_alu 0xfffd
	v_xor_b32_e32 v164, vcc_lo, v164
	v_cmp_gt_i32_e32 vcc_lo, 0, v168
	v_and_b32_e32 v36, v36, v162
	v_not_b32_e32 v162, v165
	v_ashrrev_i32_e32 v161, 31, v161
	s_wait_alu 0xf1ff
	v_xor_b32_e32 v166, s15, v166
	v_cmp_gt_i32_e64 s15, 0, v165
	v_and_b32_e32 v36, v36, v164
	v_ashrrev_i32_e32 v162, 31, v162
	s_wait_alu 0xfffd
	v_xor_b32_e32 v161, vcc_lo, v161
	v_mad_u32_u24 v164, v37, 36, v114
	v_mul_u32_u24_e32 v37, 36, v37
	v_and_b32_e32 v36, v36, v166
	s_wait_alu 0xf1ff
	v_xor_b32_e32 v162, s15, v162
	s_delay_alu instid0(VALU_DEP_2) | instskip(SKIP_3) | instid1(VALU_DEP_1)
	v_and_b32_e32 v36, v36, v161
	ds_load_b32 v161, v164 offset:1056
	v_add_nc_u32_e32 v164, v114, v37
	; wave barrier
	v_and_b32_e32 v36, v36, v162
	v_mbcnt_lo_u32_b32 v162, v36, 0
	v_cmp_ne_u32_e64 s15, 0, v36
	s_delay_alu instid0(VALU_DEP_2)
	v_cmp_eq_u32_e32 vcc_lo, 0, v162
	s_and_b32 s16, s15, vcc_lo
	s_wait_alu 0xfffe
	s_and_saveexec_b32 s15, s16
	s_cbranch_execz .LBB503_146
; %bb.145:                              ;   in Loop: Header=BB503_96 Depth=2
	s_wait_dscnt 0x0
	v_bcnt_u32_b32 v36, v36, v161
	ds_store_b32 v164, v36 offset:1056
.LBB503_146:                            ;   in Loop: Header=BB503_96 Depth=2
	s_wait_alu 0xfffe
	s_or_b32 exec_lo, exec_lo, s15
	v_xor_b32_e32 v160, 0x7fffffff, v160
	; wave barrier
	s_delay_alu instid0(VALU_DEP_1) | instskip(NEXT) | instid1(VALU_DEP_1)
	v_lshrrev_b32_e32 v36, s31, v160
	v_and_b32_e32 v37, s48, v36
	s_delay_alu instid0(VALU_DEP_1)
	v_and_b32_e32 v36, 1, v37
	v_lshlrev_b32_e32 v165, 30, v37
	v_lshlrev_b32_e32 v166, 29, v37
	;; [unrolled: 1-line block ×4, first 2 shown]
	v_add_co_u32 v36, s15, v36, -1
	s_wait_alu 0xf1ff
	v_cndmask_b32_e64 v168, 0, 1, s15
	v_not_b32_e32 v172, v165
	v_cmp_gt_i32_e64 s15, 0, v165
	v_not_b32_e32 v165, v166
	v_lshlrev_b32_e32 v170, 26, v37
	v_cmp_ne_u32_e32 vcc_lo, 0, v168
	v_ashrrev_i32_e32 v172, 31, v172
	v_lshlrev_b32_e32 v171, 25, v37
	v_ashrrev_i32_e32 v165, 31, v165
	v_lshlrev_b32_e32 v168, 24, v37
	s_wait_alu 0xfffd
	v_xor_b32_e32 v36, vcc_lo, v36
	v_cmp_gt_i32_e32 vcc_lo, 0, v166
	v_not_b32_e32 v166, v167
	s_wait_alu 0xf1ff
	v_xor_b32_e32 v172, s15, v172
	v_cmp_gt_i32_e64 s15, 0, v167
	v_and_b32_e32 v36, exec_lo, v36
	v_not_b32_e32 v167, v169
	v_ashrrev_i32_e32 v166, 31, v166
	s_wait_alu 0xfffd
	v_xor_b32_e32 v165, vcc_lo, v165
	v_cmp_gt_i32_e32 vcc_lo, 0, v169
	v_and_b32_e32 v36, v36, v172
	v_not_b32_e32 v169, v170
	v_ashrrev_i32_e32 v167, 31, v167
	s_wait_alu 0xf1ff
	v_xor_b32_e32 v166, s15, v166
	v_cmp_gt_i32_e64 s15, 0, v170
	v_and_b32_e32 v36, v36, v165
	v_not_b32_e32 v165, v171
	v_ashrrev_i32_e32 v169, 31, v169
	s_wait_alu 0xfffd
	v_xor_b32_e32 v167, vcc_lo, v167
	v_cmp_gt_i32_e32 vcc_lo, 0, v171
	v_and_b32_e32 v36, v36, v166
	v_not_b32_e32 v166, v168
	v_ashrrev_i32_e32 v165, 31, v165
	s_wait_alu 0xf1ff
	v_xor_b32_e32 v169, s15, v169
	v_cmp_gt_i32_e64 s15, 0, v168
	v_and_b32_e32 v36, v36, v167
	v_ashrrev_i32_e32 v166, 31, v166
	s_wait_alu 0xfffd
	v_xor_b32_e32 v165, vcc_lo, v165
	v_mad_u32_u24 v167, v37, 36, v114
	v_mul_u32_u24_e32 v37, 36, v37
	v_and_b32_e32 v36, v36, v169
	s_wait_alu 0xf1ff
	v_xor_b32_e32 v166, s15, v166
	s_delay_alu instid0(VALU_DEP_2) | instskip(SKIP_3) | instid1(VALU_DEP_1)
	v_and_b32_e32 v36, v36, v165
	ds_load_b32 v165, v167 offset:1056
	v_add_nc_u32_e32 v167, v114, v37
	; wave barrier
	v_and_b32_e32 v36, v36, v166
	v_mbcnt_lo_u32_b32 v166, v36, 0
	v_cmp_ne_u32_e64 s15, 0, v36
	s_delay_alu instid0(VALU_DEP_2)
	v_cmp_eq_u32_e32 vcc_lo, 0, v166
	s_and_b32 s16, s15, vcc_lo
	s_wait_alu 0xfffe
	s_and_saveexec_b32 s15, s16
	s_cbranch_execz .LBB503_148
; %bb.147:                              ;   in Loop: Header=BB503_96 Depth=2
	s_wait_dscnt 0x0
	v_bcnt_u32_b32 v36, v36, v165
	ds_store_b32 v167, v36 offset:1056
.LBB503_148:                            ;   in Loop: Header=BB503_96 Depth=2
	s_wait_alu 0xfffe
	s_or_b32 exec_lo, exec_lo, s15
	v_xor_b32_e32 v163, 0x7fffffff, v163
	; wave barrier
	s_delay_alu instid0(VALU_DEP_1) | instskip(NEXT) | instid1(VALU_DEP_1)
	v_lshrrev_b32_e32 v36, s31, v163
	v_and_b32_e32 v37, s48, v36
	s_delay_alu instid0(VALU_DEP_1)
	v_and_b32_e32 v36, 1, v37
	v_lshlrev_b32_e32 v168, 30, v37
	v_lshlrev_b32_e32 v169, 29, v37
	;; [unrolled: 1-line block ×4, first 2 shown]
	v_add_co_u32 v36, s15, v36, -1
	s_wait_alu 0xf1ff
	v_cndmask_b32_e64 v171, 0, 1, s15
	v_not_b32_e32 v175, v168
	v_cmp_gt_i32_e64 s15, 0, v168
	v_not_b32_e32 v168, v169
	v_lshlrev_b32_e32 v173, 26, v37
	v_cmp_ne_u32_e32 vcc_lo, 0, v171
	v_ashrrev_i32_e32 v175, 31, v175
	v_lshlrev_b32_e32 v174, 25, v37
	v_ashrrev_i32_e32 v168, 31, v168
	v_lshlrev_b32_e32 v171, 24, v37
	s_wait_alu 0xfffd
	v_xor_b32_e32 v36, vcc_lo, v36
	v_cmp_gt_i32_e32 vcc_lo, 0, v169
	v_not_b32_e32 v169, v170
	s_wait_alu 0xf1ff
	v_xor_b32_e32 v175, s15, v175
	v_cmp_gt_i32_e64 s15, 0, v170
	v_and_b32_e32 v36, exec_lo, v36
	v_not_b32_e32 v170, v172
	v_ashrrev_i32_e32 v169, 31, v169
	s_wait_alu 0xfffd
	v_xor_b32_e32 v168, vcc_lo, v168
	v_cmp_gt_i32_e32 vcc_lo, 0, v172
	v_and_b32_e32 v36, v36, v175
	v_not_b32_e32 v172, v173
	v_ashrrev_i32_e32 v170, 31, v170
	s_wait_alu 0xf1ff
	v_xor_b32_e32 v169, s15, v169
	v_cmp_gt_i32_e64 s15, 0, v173
	v_and_b32_e32 v36, v36, v168
	v_not_b32_e32 v168, v174
	v_ashrrev_i32_e32 v172, 31, v172
	s_wait_alu 0xfffd
	v_xor_b32_e32 v170, vcc_lo, v170
	v_cmp_gt_i32_e32 vcc_lo, 0, v174
	v_and_b32_e32 v36, v36, v169
	v_not_b32_e32 v169, v171
	v_ashrrev_i32_e32 v168, 31, v168
	s_wait_alu 0xf1ff
	v_xor_b32_e32 v172, s15, v172
	v_cmp_gt_i32_e64 s15, 0, v171
	v_and_b32_e32 v36, v36, v170
	v_ashrrev_i32_e32 v169, 31, v169
	s_wait_alu 0xfffd
	v_xor_b32_e32 v168, vcc_lo, v168
	v_mad_u32_u24 v170, v37, 36, v114
	v_mul_u32_u24_e32 v37, 36, v37
	v_and_b32_e32 v36, v36, v172
	s_wait_alu 0xf1ff
	v_xor_b32_e32 v171, s15, v169
	ds_load_b32 v169, v170 offset:1056
	v_and_b32_e32 v36, v36, v168
	; wave barrier
	s_delay_alu instid0(VALU_DEP_1) | instskip(SKIP_1) | instid1(VALU_DEP_2)
	v_and_b32_e32 v36, v36, v171
	v_add_nc_u32_e32 v171, v114, v37
	v_mbcnt_lo_u32_b32 v170, v36, 0
	v_cmp_ne_u32_e64 s15, 0, v36
	s_delay_alu instid0(VALU_DEP_2)
	v_cmp_eq_u32_e32 vcc_lo, 0, v170
	s_and_b32 s16, s15, vcc_lo
	s_wait_alu 0xfffe
	s_and_saveexec_b32 s15, s16
	s_cbranch_execz .LBB503_150
; %bb.149:                              ;   in Loop: Header=BB503_96 Depth=2
	s_wait_dscnt 0x0
	v_bcnt_u32_b32 v36, v36, v169
	ds_store_b32 v171, v36 offset:1056
.LBB503_150:                            ;   in Loop: Header=BB503_96 Depth=2
	s_wait_alu 0xfffe
	s_or_b32 exec_lo, exec_lo, s15
	v_xor_b32_e32 v168, 0x7fffffff, v43
	; wave barrier
	s_delay_alu instid0(VALU_DEP_1) | instskip(NEXT) | instid1(VALU_DEP_1)
	v_lshrrev_b32_e32 v36, s31, v168
	v_and_b32_e32 v37, s48, v36
	s_delay_alu instid0(VALU_DEP_1)
	v_and_b32_e32 v36, 1, v37
	v_lshlrev_b32_e32 v43, 30, v37
	v_lshlrev_b32_e32 v172, 29, v37
	v_lshlrev_b32_e32 v173, 28, v37
	v_lshlrev_b32_e32 v175, 27, v37
	v_add_co_u32 v36, s15, v36, -1
	s_wait_alu 0xf1ff
	v_cndmask_b32_e64 v174, 0, 1, s15
	v_not_b32_e32 v178, v43
	v_cmp_gt_i32_e64 s15, 0, v43
	v_not_b32_e32 v43, v172
	v_lshlrev_b32_e32 v176, 26, v37
	v_cmp_ne_u32_e32 vcc_lo, 0, v174
	v_ashrrev_i32_e32 v178, 31, v178
	v_lshlrev_b32_e32 v177, 25, v37
	v_ashrrev_i32_e32 v43, 31, v43
	v_lshlrev_b32_e32 v174, 24, v37
	s_wait_alu 0xfffd
	v_xor_b32_e32 v36, vcc_lo, v36
	v_cmp_gt_i32_e32 vcc_lo, 0, v172
	v_not_b32_e32 v172, v173
	s_wait_alu 0xf1ff
	v_xor_b32_e32 v178, s15, v178
	v_cmp_gt_i32_e64 s15, 0, v173
	v_and_b32_e32 v36, exec_lo, v36
	v_not_b32_e32 v173, v175
	v_ashrrev_i32_e32 v172, 31, v172
	s_wait_alu 0xfffd
	v_xor_b32_e32 v43, vcc_lo, v43
	v_cmp_gt_i32_e32 vcc_lo, 0, v175
	v_and_b32_e32 v36, v36, v178
	v_not_b32_e32 v175, v176
	v_ashrrev_i32_e32 v173, 31, v173
	s_wait_alu 0xf1ff
	v_xor_b32_e32 v172, s15, v172
	v_cmp_gt_i32_e64 s15, 0, v176
	v_and_b32_e32 v36, v36, v43
	v_not_b32_e32 v43, v177
	v_ashrrev_i32_e32 v175, 31, v175
	s_wait_alu 0xfffd
	v_xor_b32_e32 v173, vcc_lo, v173
	v_cmp_gt_i32_e32 vcc_lo, 0, v177
	v_and_b32_e32 v36, v36, v172
	v_not_b32_e32 v172, v174
	v_ashrrev_i32_e32 v43, 31, v43
	s_wait_alu 0xf1ff
	v_xor_b32_e32 v175, s15, v175
	v_cmp_gt_i32_e64 s15, 0, v174
	v_and_b32_e32 v36, v36, v173
	v_ashrrev_i32_e32 v172, 31, v172
	s_wait_alu 0xfffd
	v_xor_b32_e32 v43, vcc_lo, v43
	v_mad_u32_u24 v173, v37, 36, v114
	v_mul_u32_u24_e32 v37, 36, v37
	v_and_b32_e32 v36, v36, v175
	s_wait_alu 0xf1ff
	v_xor_b32_e32 v172, s15, v172
	ds_load_b32 v173, v173 offset:1056
	v_add_nc_u32_e32 v175, v114, v37
	v_and_b32_e32 v36, v36, v43
	; wave barrier
	s_delay_alu instid0(VALU_DEP_1) | instskip(NEXT) | instid1(VALU_DEP_1)
	v_and_b32_e32 v36, v36, v172
	v_mbcnt_lo_u32_b32 v174, v36, 0
	v_cmp_ne_u32_e64 s15, 0, v36
	s_delay_alu instid0(VALU_DEP_2)
	v_cmp_eq_u32_e32 vcc_lo, 0, v174
	s_and_b32 s16, s15, vcc_lo
	s_wait_alu 0xfffe
	s_and_saveexec_b32 s15, s16
	s_cbranch_execz .LBB503_152
; %bb.151:                              ;   in Loop: Header=BB503_96 Depth=2
	s_wait_dscnt 0x0
	v_bcnt_u32_b32 v36, v36, v173
	ds_store_b32 v175, v36 offset:1056
.LBB503_152:                            ;   in Loop: Header=BB503_96 Depth=2
	s_wait_alu 0xfffe
	s_or_b32 exec_lo, exec_lo, s15
	v_xor_b32_e32 v172, 0x7fffffff, v42
	; wave barrier
	s_delay_alu instid0(VALU_DEP_1) | instskip(NEXT) | instid1(VALU_DEP_1)
	v_lshrrev_b32_e32 v36, s31, v172
	v_and_b32_e32 v37, s48, v36
	s_delay_alu instid0(VALU_DEP_1)
	v_and_b32_e32 v36, 1, v37
	v_lshlrev_b32_e32 v42, 30, v37
	v_lshlrev_b32_e32 v43, 29, v37
	;; [unrolled: 1-line block ×4, first 2 shown]
	v_add_co_u32 v36, s15, v36, -1
	s_wait_alu 0xf1ff
	v_cndmask_b32_e64 v177, 0, 1, s15
	v_not_b32_e32 v181, v42
	v_cmp_gt_i32_e64 s15, 0, v42
	v_not_b32_e32 v42, v43
	v_lshlrev_b32_e32 v179, 26, v37
	v_cmp_ne_u32_e32 vcc_lo, 0, v177
	v_ashrrev_i32_e32 v181, 31, v181
	v_lshlrev_b32_e32 v180, 25, v37
	v_ashrrev_i32_e32 v42, 31, v42
	v_lshlrev_b32_e32 v177, 24, v37
	s_wait_alu 0xfffd
	v_xor_b32_e32 v36, vcc_lo, v36
	v_cmp_gt_i32_e32 vcc_lo, 0, v43
	v_not_b32_e32 v43, v176
	s_wait_alu 0xf1ff
	v_xor_b32_e32 v181, s15, v181
	v_cmp_gt_i32_e64 s15, 0, v176
	v_and_b32_e32 v36, exec_lo, v36
	v_not_b32_e32 v176, v178
	v_ashrrev_i32_e32 v43, 31, v43
	s_wait_alu 0xfffd
	v_xor_b32_e32 v42, vcc_lo, v42
	v_cmp_gt_i32_e32 vcc_lo, 0, v178
	v_and_b32_e32 v36, v36, v181
	v_not_b32_e32 v178, v179
	v_ashrrev_i32_e32 v176, 31, v176
	s_wait_alu 0xf1ff
	v_xor_b32_e32 v43, s15, v43
	v_cmp_gt_i32_e64 s15, 0, v179
	v_and_b32_e32 v36, v36, v42
	v_not_b32_e32 v42, v180
	v_ashrrev_i32_e32 v178, 31, v178
	s_wait_alu 0xfffd
	v_xor_b32_e32 v176, vcc_lo, v176
	v_cmp_gt_i32_e32 vcc_lo, 0, v180
	v_and_b32_e32 v36, v36, v43
	v_not_b32_e32 v43, v177
	v_ashrrev_i32_e32 v42, 31, v42
	s_wait_alu 0xf1ff
	v_xor_b32_e32 v178, s15, v178
	v_cmp_gt_i32_e64 s15, 0, v177
	v_and_b32_e32 v36, v36, v176
	v_ashrrev_i32_e32 v43, 31, v43
	s_wait_alu 0xfffd
	v_xor_b32_e32 v42, vcc_lo, v42
	v_mad_u32_u24 v176, v37, 36, v114
	v_mul_u32_u24_e32 v37, 36, v37
	v_and_b32_e32 v36, v36, v178
	s_wait_alu 0xf1ff
	v_xor_b32_e32 v43, s15, v43
	ds_load_b32 v177, v176 offset:1056
	v_add_nc_u32_e32 v179, v114, v37
	v_and_b32_e32 v36, v36, v42
	; wave barrier
	s_delay_alu instid0(VALU_DEP_1) | instskip(NEXT) | instid1(VALU_DEP_1)
	v_and_b32_e32 v36, v36, v43
	v_mbcnt_lo_u32_b32 v178, v36, 0
	v_cmp_ne_u32_e64 s15, 0, v36
	s_delay_alu instid0(VALU_DEP_2)
	v_cmp_eq_u32_e32 vcc_lo, 0, v178
	s_and_b32 s16, s15, vcc_lo
	s_wait_alu 0xfffe
	s_and_saveexec_b32 s15, s16
	s_cbranch_execz .LBB503_154
; %bb.153:                              ;   in Loop: Header=BB503_96 Depth=2
	s_wait_dscnt 0x0
	v_bcnt_u32_b32 v36, v36, v177
	ds_store_b32 v179, v36 offset:1056
.LBB503_154:                            ;   in Loop: Header=BB503_96 Depth=2
	s_wait_alu 0xfffe
	s_or_b32 exec_lo, exec_lo, s15
	v_xor_b32_e32 v176, 0x7fffffff, v41
	; wave barrier
	s_delay_alu instid0(VALU_DEP_1) | instskip(NEXT) | instid1(VALU_DEP_1)
	v_lshrrev_b32_e32 v36, s31, v176
	v_and_b32_e32 v37, s48, v36
	s_delay_alu instid0(VALU_DEP_1)
	v_and_b32_e32 v36, 1, v37
	v_lshlrev_b32_e32 v41, 30, v37
	v_lshlrev_b32_e32 v42, 29, v37
	;; [unrolled: 1-line block ×4, first 2 shown]
	v_add_co_u32 v36, s15, v36, -1
	s_wait_alu 0xf1ff
	v_cndmask_b32_e64 v180, 0, 1, s15
	v_not_b32_e32 v184, v41
	v_cmp_gt_i32_e64 s15, 0, v41
	v_not_b32_e32 v41, v42
	v_lshlrev_b32_e32 v182, 26, v37
	v_cmp_ne_u32_e32 vcc_lo, 0, v180
	v_ashrrev_i32_e32 v184, 31, v184
	v_lshlrev_b32_e32 v183, 25, v37
	v_ashrrev_i32_e32 v41, 31, v41
	v_lshlrev_b32_e32 v180, 24, v37
	s_wait_alu 0xfffd
	v_xor_b32_e32 v36, vcc_lo, v36
	v_cmp_gt_i32_e32 vcc_lo, 0, v42
	v_not_b32_e32 v42, v43
	s_wait_alu 0xf1ff
	v_xor_b32_e32 v184, s15, v184
	v_cmp_gt_i32_e64 s15, 0, v43
	v_and_b32_e32 v36, exec_lo, v36
	v_not_b32_e32 v43, v181
	v_ashrrev_i32_e32 v42, 31, v42
	s_wait_alu 0xfffd
	v_xor_b32_e32 v41, vcc_lo, v41
	v_cmp_gt_i32_e32 vcc_lo, 0, v181
	v_and_b32_e32 v36, v36, v184
	v_not_b32_e32 v181, v182
	v_ashrrev_i32_e32 v43, 31, v43
	s_wait_alu 0xf1ff
	v_xor_b32_e32 v42, s15, v42
	v_cmp_gt_i32_e64 s15, 0, v182
	v_and_b32_e32 v36, v36, v41
	v_not_b32_e32 v41, v183
	v_ashrrev_i32_e32 v181, 31, v181
	s_wait_alu 0xfffd
	v_xor_b32_e32 v43, vcc_lo, v43
	v_cmp_gt_i32_e32 vcc_lo, 0, v183
	v_and_b32_e32 v36, v36, v42
	v_not_b32_e32 v42, v180
	v_ashrrev_i32_e32 v41, 31, v41
	s_wait_alu 0xf1ff
	v_xor_b32_e32 v181, s15, v181
	v_cmp_gt_i32_e64 s15, 0, v180
	v_and_b32_e32 v36, v36, v43
	v_ashrrev_i32_e32 v42, 31, v42
	s_wait_alu 0xfffd
	v_xor_b32_e32 v41, vcc_lo, v41
	v_mad_u32_u24 v43, v37, 36, v114
	v_mul_u32_u24_e32 v37, 36, v37
	v_and_b32_e32 v36, v36, v181
	s_wait_alu 0xf1ff
	v_xor_b32_e32 v42, s15, v42
	ds_load_b32 v181, v43 offset:1056
	v_add_nc_u32_e32 v183, v114, v37
	v_and_b32_e32 v36, v36, v41
	; wave barrier
	s_delay_alu instid0(VALU_DEP_1) | instskip(NEXT) | instid1(VALU_DEP_1)
	v_and_b32_e32 v36, v36, v42
	v_mbcnt_lo_u32_b32 v182, v36, 0
	v_cmp_ne_u32_e64 s15, 0, v36
	s_delay_alu instid0(VALU_DEP_2)
	v_cmp_eq_u32_e32 vcc_lo, 0, v182
	s_and_b32 s16, s15, vcc_lo
	s_wait_alu 0xfffe
	s_and_saveexec_b32 s15, s16
	s_cbranch_execz .LBB503_156
; %bb.155:                              ;   in Loop: Header=BB503_96 Depth=2
	s_wait_dscnt 0x0
	v_bcnt_u32_b32 v36, v36, v181
	ds_store_b32 v183, v36 offset:1056
.LBB503_156:                            ;   in Loop: Header=BB503_96 Depth=2
	s_wait_alu 0xfffe
	s_or_b32 exec_lo, exec_lo, s15
	v_xor_b32_e32 v180, 0x7fffffff, v40
	; wave barrier
	s_delay_alu instid0(VALU_DEP_1) | instskip(NEXT) | instid1(VALU_DEP_1)
	v_lshrrev_b32_e32 v36, s31, v180
	v_and_b32_e32 v37, s48, v36
	s_delay_alu instid0(VALU_DEP_1)
	v_and_b32_e32 v36, 1, v37
	v_lshlrev_b32_e32 v40, 30, v37
	v_lshlrev_b32_e32 v41, 29, v37
	;; [unrolled: 1-line block ×4, first 2 shown]
	v_add_co_u32 v36, s15, v36, -1
	s_wait_alu 0xf1ff
	v_cndmask_b32_e64 v43, 0, 1, s15
	v_not_b32_e32 v187, v40
	v_cmp_gt_i32_e64 s15, 0, v40
	v_not_b32_e32 v40, v41
	v_lshlrev_b32_e32 v185, 26, v37
	v_cmp_ne_u32_e32 vcc_lo, 0, v43
	v_ashrrev_i32_e32 v187, 31, v187
	v_lshlrev_b32_e32 v186, 25, v37
	v_ashrrev_i32_e32 v40, 31, v40
	v_lshlrev_b32_e32 v43, 24, v37
	s_wait_alu 0xfffd
	v_xor_b32_e32 v36, vcc_lo, v36
	v_cmp_gt_i32_e32 vcc_lo, 0, v41
	v_not_b32_e32 v41, v42
	s_wait_alu 0xf1ff
	v_xor_b32_e32 v187, s15, v187
	v_cmp_gt_i32_e64 s15, 0, v42
	v_and_b32_e32 v36, exec_lo, v36
	v_not_b32_e32 v42, v184
	v_ashrrev_i32_e32 v41, 31, v41
	s_wait_alu 0xfffd
	v_xor_b32_e32 v40, vcc_lo, v40
	v_cmp_gt_i32_e32 vcc_lo, 0, v184
	v_and_b32_e32 v36, v36, v187
	v_not_b32_e32 v184, v185
	v_ashrrev_i32_e32 v42, 31, v42
	s_wait_alu 0xf1ff
	v_xor_b32_e32 v41, s15, v41
	v_cmp_gt_i32_e64 s15, 0, v185
	v_and_b32_e32 v36, v36, v40
	v_not_b32_e32 v40, v186
	v_ashrrev_i32_e32 v184, 31, v184
	s_wait_alu 0xfffd
	v_xor_b32_e32 v42, vcc_lo, v42
	v_cmp_gt_i32_e32 vcc_lo, 0, v186
	v_and_b32_e32 v36, v36, v41
	v_not_b32_e32 v41, v43
	v_ashrrev_i32_e32 v40, 31, v40
	s_wait_alu 0xf1ff
	v_xor_b32_e32 v184, s15, v184
	v_cmp_gt_i32_e64 s15, 0, v43
	v_and_b32_e32 v36, v36, v42
	v_ashrrev_i32_e32 v41, 31, v41
	s_wait_alu 0xfffd
	v_xor_b32_e32 v40, vcc_lo, v40
	v_mad_u32_u24 v42, v37, 36, v114
	v_mul_u32_u24_e32 v37, 36, v37
	v_and_b32_e32 v36, v36, v184
	s_wait_alu 0xf1ff
	v_xor_b32_e32 v41, s15, v41
	ds_load_b32 v185, v42 offset:1056
	v_add_nc_u32_e32 v187, v114, v37
	v_and_b32_e32 v36, v36, v40
	; wave barrier
	s_delay_alu instid0(VALU_DEP_1) | instskip(NEXT) | instid1(VALU_DEP_1)
	v_and_b32_e32 v36, v36, v41
	v_mbcnt_lo_u32_b32 v186, v36, 0
	v_cmp_ne_u32_e64 s15, 0, v36
	s_delay_alu instid0(VALU_DEP_2)
	v_cmp_eq_u32_e32 vcc_lo, 0, v186
	s_and_b32 s16, s15, vcc_lo
	s_wait_alu 0xfffe
	s_and_saveexec_b32 s15, s16
	s_cbranch_execz .LBB503_158
; %bb.157:                              ;   in Loop: Header=BB503_96 Depth=2
	s_wait_dscnt 0x0
	v_bcnt_u32_b32 v36, v36, v185
	ds_store_b32 v187, v36 offset:1056
.LBB503_158:                            ;   in Loop: Header=BB503_96 Depth=2
	s_wait_alu 0xfffe
	s_or_b32 exec_lo, exec_lo, s15
	v_xor_b32_e32 v184, 0x7fffffff, v39
	; wave barrier
	s_delay_alu instid0(VALU_DEP_1) | instskip(NEXT) | instid1(VALU_DEP_1)
	v_lshrrev_b32_e32 v36, s31, v184
	v_and_b32_e32 v37, s48, v36
	s_delay_alu instid0(VALU_DEP_1)
	v_and_b32_e32 v36, 1, v37
	v_lshlrev_b32_e32 v39, 30, v37
	v_lshlrev_b32_e32 v40, 29, v37
	;; [unrolled: 1-line block ×4, first 2 shown]
	v_add_co_u32 v36, s15, v36, -1
	s_wait_alu 0xf1ff
	v_cndmask_b32_e64 v42, 0, 1, s15
	v_not_b32_e32 v190, v39
	v_cmp_gt_i32_e64 s15, 0, v39
	v_not_b32_e32 v39, v40
	v_lshlrev_b32_e32 v188, 26, v37
	v_cmp_ne_u32_e32 vcc_lo, 0, v42
	v_ashrrev_i32_e32 v190, 31, v190
	v_lshlrev_b32_e32 v189, 25, v37
	v_ashrrev_i32_e32 v39, 31, v39
	v_lshlrev_b32_e32 v42, 24, v37
	s_wait_alu 0xfffd
	v_xor_b32_e32 v36, vcc_lo, v36
	v_cmp_gt_i32_e32 vcc_lo, 0, v40
	v_not_b32_e32 v40, v41
	s_wait_alu 0xf1ff
	v_xor_b32_e32 v190, s15, v190
	v_cmp_gt_i32_e64 s15, 0, v41
	v_and_b32_e32 v36, exec_lo, v36
	v_not_b32_e32 v41, v43
	v_ashrrev_i32_e32 v40, 31, v40
	s_wait_alu 0xfffd
	v_xor_b32_e32 v39, vcc_lo, v39
	v_cmp_gt_i32_e32 vcc_lo, 0, v43
	v_and_b32_e32 v36, v36, v190
	v_not_b32_e32 v43, v188
	v_ashrrev_i32_e32 v41, 31, v41
	s_wait_alu 0xf1ff
	v_xor_b32_e32 v40, s15, v40
	v_cmp_gt_i32_e64 s15, 0, v188
	v_and_b32_e32 v36, v36, v39
	v_not_b32_e32 v39, v189
	v_ashrrev_i32_e32 v43, 31, v43
	s_wait_alu 0xfffd
	v_xor_b32_e32 v41, vcc_lo, v41
	v_cmp_gt_i32_e32 vcc_lo, 0, v189
	v_and_b32_e32 v36, v36, v40
	v_not_b32_e32 v40, v42
	v_ashrrev_i32_e32 v39, 31, v39
	s_wait_alu 0xf1ff
	v_xor_b32_e32 v43, s15, v43
	v_cmp_gt_i32_e64 s15, 0, v42
	v_and_b32_e32 v36, v36, v41
	v_ashrrev_i32_e32 v40, 31, v40
	s_wait_alu 0xfffd
	v_xor_b32_e32 v39, vcc_lo, v39
	v_mad_u32_u24 v41, v37, 36, v114
	v_mul_u32_u24_e32 v37, 36, v37
	v_and_b32_e32 v36, v36, v43
	s_wait_alu 0xf1ff
	v_xor_b32_e32 v40, s15, v40
	ds_load_b32 v189, v41 offset:1056
	v_add_nc_u32_e32 v191, v114, v37
	v_and_b32_e32 v36, v36, v39
	; wave barrier
	s_delay_alu instid0(VALU_DEP_1) | instskip(NEXT) | instid1(VALU_DEP_1)
	v_and_b32_e32 v36, v36, v40
	v_mbcnt_lo_u32_b32 v190, v36, 0
	v_cmp_ne_u32_e64 s15, 0, v36
	s_delay_alu instid0(VALU_DEP_2)
	v_cmp_eq_u32_e32 vcc_lo, 0, v190
	s_and_b32 s16, s15, vcc_lo
	s_wait_alu 0xfffe
	s_and_saveexec_b32 s15, s16
	s_cbranch_execz .LBB503_160
; %bb.159:                              ;   in Loop: Header=BB503_96 Depth=2
	s_wait_dscnt 0x0
	v_bcnt_u32_b32 v36, v36, v189
	ds_store_b32 v191, v36 offset:1056
.LBB503_160:                            ;   in Loop: Header=BB503_96 Depth=2
	s_wait_alu 0xfffe
	s_or_b32 exec_lo, exec_lo, s15
	v_xor_b32_e32 v188, 0x7fffffff, v38
	; wave barrier
	s_delay_alu instid0(VALU_DEP_1) | instskip(NEXT) | instid1(VALU_DEP_1)
	v_lshrrev_b32_e32 v36, s31, v188
	v_and_b32_e32 v37, s48, v36
	s_delay_alu instid0(VALU_DEP_1)
	v_and_b32_e32 v36, 1, v37
	v_lshlrev_b32_e32 v38, 30, v37
	v_lshlrev_b32_e32 v39, 29, v37
	;; [unrolled: 1-line block ×4, first 2 shown]
	v_add_co_u32 v36, s15, v36, -1
	s_wait_alu 0xf1ff
	v_cndmask_b32_e64 v41, 0, 1, s15
	v_not_b32_e32 v193, v38
	v_cmp_gt_i32_e64 s15, 0, v38
	v_not_b32_e32 v38, v39
	v_lshlrev_b32_e32 v43, 26, v37
	v_cmp_ne_u32_e32 vcc_lo, 0, v41
	v_ashrrev_i32_e32 v193, 31, v193
	v_lshlrev_b32_e32 v192, 25, v37
	v_ashrrev_i32_e32 v38, 31, v38
	v_lshlrev_b32_e32 v41, 24, v37
	s_wait_alu 0xfffd
	v_xor_b32_e32 v36, vcc_lo, v36
	v_cmp_gt_i32_e32 vcc_lo, 0, v39
	v_not_b32_e32 v39, v40
	s_wait_alu 0xf1ff
	v_xor_b32_e32 v193, s15, v193
	v_cmp_gt_i32_e64 s15, 0, v40
	v_and_b32_e32 v36, exec_lo, v36
	v_not_b32_e32 v40, v42
	v_ashrrev_i32_e32 v39, 31, v39
	s_wait_alu 0xfffd
	v_xor_b32_e32 v38, vcc_lo, v38
	v_cmp_gt_i32_e32 vcc_lo, 0, v42
	v_and_b32_e32 v36, v36, v193
	v_not_b32_e32 v42, v43
	v_ashrrev_i32_e32 v40, 31, v40
	s_wait_alu 0xf1ff
	v_xor_b32_e32 v39, s15, v39
	v_cmp_gt_i32_e64 s15, 0, v43
	v_and_b32_e32 v36, v36, v38
	v_not_b32_e32 v38, v192
	v_ashrrev_i32_e32 v42, 31, v42
	s_wait_alu 0xfffd
	v_xor_b32_e32 v40, vcc_lo, v40
	v_cmp_gt_i32_e32 vcc_lo, 0, v192
	v_and_b32_e32 v36, v36, v39
	v_not_b32_e32 v39, v41
	v_ashrrev_i32_e32 v38, 31, v38
	s_wait_alu 0xf1ff
	v_xor_b32_e32 v42, s15, v42
	v_cmp_gt_i32_e64 s15, 0, v41
	v_and_b32_e32 v36, v36, v40
	v_ashrrev_i32_e32 v39, 31, v39
	s_wait_alu 0xfffd
	v_xor_b32_e32 v38, vcc_lo, v38
	v_mad_u32_u24 v40, v37, 36, v114
	v_mul_u32_u24_e32 v37, 36, v37
	v_and_b32_e32 v36, v36, v42
	s_wait_alu 0xf1ff
	v_xor_b32_e32 v39, s15, v39
	ds_load_b32 v192, v40 offset:1056
	v_add_nc_u32_e32 v194, v114, v37
	v_and_b32_e32 v36, v36, v38
	; wave barrier
	s_delay_alu instid0(VALU_DEP_1) | instskip(NEXT) | instid1(VALU_DEP_1)
	v_and_b32_e32 v36, v36, v39
	v_mbcnt_lo_u32_b32 v193, v36, 0
	v_cmp_ne_u32_e64 s15, 0, v36
	s_delay_alu instid0(VALU_DEP_2)
	v_cmp_eq_u32_e32 vcc_lo, 0, v193
	s_and_b32 s16, s15, vcc_lo
	s_wait_alu 0xfffe
	s_and_saveexec_b32 s15, s16
	s_cbranch_execz .LBB503_162
; %bb.161:                              ;   in Loop: Header=BB503_96 Depth=2
	s_wait_dscnt 0x0
	v_bcnt_u32_b32 v36, v36, v192
	ds_store_b32 v194, v36 offset:1056
.LBB503_162:                            ;   in Loop: Header=BB503_96 Depth=2
	s_wait_alu 0xfffe
	s_or_b32 exec_lo, exec_lo, s15
	v_lshrrev_b32_e32 v36, s31, v2
	; wave barrier
	s_delay_alu instid0(VALU_DEP_1) | instskip(NEXT) | instid1(VALU_DEP_1)
	v_and_b32_e32 v37, s48, v36
	v_and_b32_e32 v36, 1, v37
	v_lshlrev_b32_e32 v38, 30, v37
	v_lshlrev_b32_e32 v39, 29, v37
	;; [unrolled: 1-line block ×4, first 2 shown]
	v_add_co_u32 v36, s15, v36, -1
	s_wait_alu 0xf1ff
	v_cndmask_b32_e64 v41, 0, 1, s15
	v_not_b32_e32 v196, v38
	v_cmp_gt_i32_e64 s15, 0, v38
	v_not_b32_e32 v38, v39
	v_lshlrev_b32_e32 v43, 26, v37
	v_cmp_ne_u32_e32 vcc_lo, 0, v41
	v_ashrrev_i32_e32 v196, 31, v196
	v_lshlrev_b32_e32 v195, 25, v37
	v_ashrrev_i32_e32 v38, 31, v38
	v_lshlrev_b32_e32 v41, 24, v37
	s_wait_alu 0xfffd
	v_xor_b32_e32 v36, vcc_lo, v36
	v_cmp_gt_i32_e32 vcc_lo, 0, v39
	v_not_b32_e32 v39, v40
	s_wait_alu 0xf1ff
	v_xor_b32_e32 v196, s15, v196
	v_cmp_gt_i32_e64 s15, 0, v40
	v_and_b32_e32 v36, exec_lo, v36
	v_not_b32_e32 v40, v42
	v_ashrrev_i32_e32 v39, 31, v39
	s_wait_alu 0xfffd
	v_xor_b32_e32 v38, vcc_lo, v38
	v_cmp_gt_i32_e32 vcc_lo, 0, v42
	v_and_b32_e32 v36, v36, v196
	v_not_b32_e32 v42, v43
	v_ashrrev_i32_e32 v40, 31, v40
	s_wait_alu 0xf1ff
	v_xor_b32_e32 v39, s15, v39
	v_cmp_gt_i32_e64 s15, 0, v43
	v_and_b32_e32 v36, v36, v38
	v_not_b32_e32 v38, v195
	v_ashrrev_i32_e32 v42, 31, v42
	s_wait_alu 0xfffd
	v_xor_b32_e32 v40, vcc_lo, v40
	v_cmp_gt_i32_e32 vcc_lo, 0, v195
	v_and_b32_e32 v36, v36, v39
	v_not_b32_e32 v39, v41
	v_ashrrev_i32_e32 v38, 31, v38
	s_wait_alu 0xf1ff
	v_xor_b32_e32 v42, s15, v42
	v_cmp_gt_i32_e64 s15, 0, v41
	v_and_b32_e32 v36, v36, v40
	v_ashrrev_i32_e32 v39, 31, v39
	s_wait_alu 0xfffd
	v_xor_b32_e32 v38, vcc_lo, v38
	v_mad_u32_u24 v40, v37, 36, v114
	v_mul_u32_u24_e32 v37, 36, v37
	v_and_b32_e32 v36, v36, v42
	s_wait_alu 0xf1ff
	v_xor_b32_e32 v39, s15, v39
	ds_load_b32 v195, v40 offset:1056
	v_add_nc_u32_e32 v197, v114, v37
	v_and_b32_e32 v36, v36, v38
	; wave barrier
	s_delay_alu instid0(VALU_DEP_1) | instskip(NEXT) | instid1(VALU_DEP_1)
	v_and_b32_e32 v36, v36, v39
	v_mbcnt_lo_u32_b32 v196, v36, 0
	v_cmp_ne_u32_e64 s15, 0, v36
	s_delay_alu instid0(VALU_DEP_2)
	v_cmp_eq_u32_e32 vcc_lo, 0, v196
	s_and_b32 s16, s15, vcc_lo
	s_wait_alu 0xfffe
	s_and_saveexec_b32 s15, s16
	s_cbranch_execz .LBB503_164
; %bb.163:                              ;   in Loop: Header=BB503_96 Depth=2
	s_wait_dscnt 0x0
	v_bcnt_u32_b32 v36, v36, v195
	ds_store_b32 v197, v36 offset:1056
.LBB503_164:                            ;   in Loop: Header=BB503_96 Depth=2
	s_wait_alu 0xfffe
	s_or_b32 exec_lo, exec_lo, s15
	; wave barrier
	s_wait_loadcnt_dscnt 0x0
	s_barrier_signal -1
	s_barrier_wait -1
	global_inv scope:SCOPE_SE
	ds_load_2addr_b32 v[42:43], v136 offset1:1
	ds_load_2addr_b32 v[40:41], v137 offset1:1
	;; [unrolled: 1-line block ×4, first 2 shown]
	ds_load_b32 v198, v67 offset:1088
	s_wait_dscnt 0x3
	v_add3_u32 v199, v43, v42, v40
	s_wait_dscnt 0x2
	s_delay_alu instid0(VALU_DEP_1) | instskip(SKIP_1) | instid1(VALU_DEP_1)
	v_add3_u32 v199, v199, v41, v38
	s_wait_dscnt 0x1
	v_add3_u32 v199, v199, v39, v36
	s_wait_dscnt 0x0
	s_delay_alu instid0(VALU_DEP_1) | instskip(NEXT) | instid1(VALU_DEP_1)
	v_add3_u32 v198, v199, v37, v198
	v_mov_b32_dpp v199, v198 row_shr:1 row_mask:0xf bank_mask:0xf
	s_delay_alu instid0(VALU_DEP_1) | instskip(NEXT) | instid1(VALU_DEP_1)
	v_cndmask_b32_e64 v199, v199, 0, s0
	v_add_nc_u32_e32 v198, v199, v198
	s_delay_alu instid0(VALU_DEP_1) | instskip(NEXT) | instid1(VALU_DEP_1)
	v_mov_b32_dpp v199, v198 row_shr:2 row_mask:0xf bank_mask:0xf
	v_cndmask_b32_e64 v199, 0, v199, s1
	s_delay_alu instid0(VALU_DEP_1) | instskip(NEXT) | instid1(VALU_DEP_1)
	v_add_nc_u32_e32 v198, v198, v199
	v_mov_b32_dpp v199, v198 row_shr:4 row_mask:0xf bank_mask:0xf
	s_delay_alu instid0(VALU_DEP_1) | instskip(NEXT) | instid1(VALU_DEP_1)
	v_cndmask_b32_e64 v199, 0, v199, s9
	v_add_nc_u32_e32 v198, v198, v199
	s_delay_alu instid0(VALU_DEP_1) | instskip(NEXT) | instid1(VALU_DEP_1)
	v_mov_b32_dpp v199, v198 row_shr:8 row_mask:0xf bank_mask:0xf
	v_cndmask_b32_e64 v199, 0, v199, s10
	s_delay_alu instid0(VALU_DEP_1) | instskip(SKIP_3) | instid1(VALU_DEP_1)
	v_add_nc_u32_e32 v198, v198, v199
	ds_swizzle_b32 v199, v198 offset:swizzle(BROADCAST,32,15)
	s_wait_dscnt 0x0
	v_cndmask_b32_e64 v199, v199, 0, s11
	v_add_nc_u32_e32 v198, v198, v199
	s_and_saveexec_b32 s15, s3
; %bb.165:                              ;   in Loop: Header=BB503_96 Depth=2
	ds_store_b32 v63, v198 offset:1024
; %bb.166:                              ;   in Loop: Header=BB503_96 Depth=2
	s_wait_alu 0xfffe
	s_or_b32 exec_lo, exec_lo, s15
	s_wait_loadcnt_dscnt 0x0
	s_barrier_signal -1
	s_barrier_wait -1
	global_inv scope:SCOPE_SE
	s_and_saveexec_b32 s15, s4
	s_cbranch_execz .LBB503_168
; %bb.167:                              ;   in Loop: Header=BB503_96 Depth=2
	ds_load_b32 v199, v70 offset:1024
	s_wait_dscnt 0x0
	v_mov_b32_dpp v200, v199 row_shr:1 row_mask:0xf bank_mask:0xf
	s_delay_alu instid0(VALU_DEP_1) | instskip(NEXT) | instid1(VALU_DEP_1)
	v_cndmask_b32_e64 v200, v200, 0, s12
	v_add_nc_u32_e32 v199, v200, v199
	s_delay_alu instid0(VALU_DEP_1) | instskip(NEXT) | instid1(VALU_DEP_1)
	v_mov_b32_dpp v200, v199 row_shr:2 row_mask:0xf bank_mask:0xf
	v_cndmask_b32_e64 v200, 0, v200, s13
	s_delay_alu instid0(VALU_DEP_1) | instskip(NEXT) | instid1(VALU_DEP_1)
	v_add_nc_u32_e32 v199, v199, v200
	v_mov_b32_dpp v200, v199 row_shr:4 row_mask:0xf bank_mask:0xf
	s_delay_alu instid0(VALU_DEP_1) | instskip(NEXT) | instid1(VALU_DEP_1)
	v_cndmask_b32_e64 v200, 0, v200, s14
	v_add_nc_u32_e32 v199, v199, v200
	ds_store_b32 v70, v199 offset:1024
.LBB503_168:                            ;   in Loop: Header=BB503_96 Depth=2
	s_wait_alu 0xfffe
	s_or_b32 exec_lo, exec_lo, s15
	v_mov_b32_e32 v199, 0
	s_wait_loadcnt_dscnt 0x0
	s_barrier_signal -1
	s_barrier_wait -1
	global_inv scope:SCOPE_SE
	s_and_saveexec_b32 s15, s5
; %bb.169:                              ;   in Loop: Header=BB503_96 Depth=2
	ds_load_b32 v199, v63 offset:1020
; %bb.170:                              ;   in Loop: Header=BB503_96 Depth=2
	s_wait_alu 0xfffe
	s_or_b32 exec_lo, exec_lo, s15
	s_wait_dscnt 0x0
	v_add_nc_u32_e32 v198, v199, v198
	ds_bpermute_b32 v198, v113, v198
	s_wait_dscnt 0x0
	v_cndmask_b32_e64 v198, v198, v199, s8
	s_delay_alu instid0(VALU_DEP_1) | instskip(NEXT) | instid1(VALU_DEP_1)
	v_cndmask_b32_e64 v198, v198, 0, s6
	v_add_nc_u32_e32 v42, v198, v42
	s_delay_alu instid0(VALU_DEP_1) | instskip(NEXT) | instid1(VALU_DEP_1)
	v_add_nc_u32_e32 v43, v42, v43
	v_add_nc_u32_e32 v40, v43, v40
	s_delay_alu instid0(VALU_DEP_1) | instskip(NEXT) | instid1(VALU_DEP_1)
	v_add_nc_u32_e32 v41, v40, v41
	;; [unrolled: 3-line block ×3, first 2 shown]
	v_add_nc_u32_e32 v36, v39, v36
	s_delay_alu instid0(VALU_DEP_1)
	v_add_nc_u32_e32 v37, v36, v37
	ds_store_2addr_b32 v135, v39, v36 offset1:1
	ds_store_2addr_b32 v136, v198, v42 offset1:1
	;; [unrolled: 1-line block ×4, first 2 shown]
	ds_store_b32 v67, v37 offset:1088
	s_wait_loadcnt_dscnt 0x0
	s_barrier_signal -1
	s_barrier_wait -1
	global_inv scope:SCOPE_SE
	ds_load_b32 v39, v139 offset:1056
	ds_load_b32 v41, v143 offset:1056
	;; [unrolled: 1-line block ×17, first 2 shown]
	v_mov_b32_e32 v38, 0x1000
	s_and_saveexec_b32 s15, s7
; %bb.171:                              ;   in Loop: Header=BB503_96 Depth=2
	ds_load_b32 v38, v67 offset:1092
; %bb.172:                              ;   in Loop: Header=BB503_96 Depth=2
	s_wait_alu 0xfffe
	s_or_b32 exec_lo, exec_lo, s15
	s_wait_loadcnt_dscnt 0x0
	s_barrier_signal -1
	s_barrier_wait -1
	global_inv scope:SCOPE_SE
	s_and_saveexec_b32 s15, s2
	s_cbranch_execz .LBB503_174
; %bb.173:                              ;   in Loop: Header=BB503_96 Depth=2
	ds_load_b32 v139, v44
	s_wait_dscnt 0x0
	v_sub_nc_u32_e32 v138, v139, v138
	ds_store_b32 v44, v138
.LBB503_174:                            ;   in Loop: Header=BB503_96 Depth=2
	s_wait_alu 0xfffe
	s_or_b32 exec_lo, exec_lo, s15
	v_add_nc_u32_e32 v151, v39, v134
	v_add3_u32 v147, v142, v141, v41
	v_add3_u32 v143, v146, v145, v42
	;; [unrolled: 1-line block ×4, first 2 shown]
	v_lshlrev_b32_e32 v145, 2, v151
	v_add3_u32 v139, v158, v157, v136
	v_add3_u32 v138, v162, v161, v137
	;; [unrolled: 1-line block ×3, first 2 shown]
	v_lshlrev_b32_e32 v36, 2, v147
	v_add3_u32 v137, v166, v165, v159
	v_add3_u32 v42, v190, v189, v37
	v_lshlrev_b32_e32 v37, 2, v143
	v_add3_u32 v136, v170, v169, v164
	ds_store_b32 v145, v132 offset:1024
	v_lshlrev_b32_e32 v132, 2, v142
	v_add3_u32 v135, v174, v173, v167
	v_lshlrev_b32_e32 v145, 2, v141
	v_add3_u32 v134, v178, v177, v171
	;; [unrolled: 2-line block ×3, first 2 shown]
	ds_store_b32 v36, v133 offset:1024
	ds_store_b32 v37, v140 offset:1024
	;; [unrolled: 1-line block ×5, first 2 shown]
	v_lshlrev_b32_e32 v36, 2, v138
	v_lshlrev_b32_e32 v37, 2, v137
	v_lshlrev_b32_e32 v132, 2, v136
	v_add3_u32 v41, v193, v192, v40
	v_lshlrev_b32_e32 v133, 2, v135
	v_add3_u32 v40, v196, v195, v155
	v_lshlrev_b32_e32 v140, 2, v134
	ds_store_b32 v36, v156 offset:1024
	ds_store_b32 v37, v160 offset:1024
	;; [unrolled: 1-line block ×5, first 2 shown]
	v_lshlrev_b32_e32 v36, 2, v39
	v_cmp_lt_u32_e32 vcc_lo, v1, v131
	v_lshlrev_b32_e32 v37, 2, v43
	v_lshlrev_b32_e32 v132, 2, v42
	;; [unrolled: 1-line block ×4, first 2 shown]
	ds_store_b32 v36, v176 offset:1024
	ds_store_b32 v37, v180 offset:1024
	;; [unrolled: 1-line block ×5, first 2 shown]
	s_wait_loadcnt_dscnt 0x0
	s_barrier_signal -1
	s_barrier_wait -1
	global_inv scope:SCOPE_SE
	s_and_saveexec_b32 s16, vcc_lo
	s_cbranch_execnz .LBB503_243
; %bb.175:                              ;   in Loop: Header=BB503_96 Depth=2
	s_wait_alu 0xfffe
	s_or_b32 exec_lo, exec_lo, s16
	v_cmp_lt_u32_e64 s15, v45, v131
	s_and_saveexec_b32 s17, s15
	s_cbranch_execnz .LBB503_244
.LBB503_176:                            ;   in Loop: Header=BB503_96 Depth=2
	s_wait_alu 0xfffe
	s_or_b32 exec_lo, exec_lo, s17
	v_cmp_lt_u32_e64 s16, v46, v131
	s_and_saveexec_b32 s18, s16
	s_cbranch_execnz .LBB503_245
.LBB503_177:                            ;   in Loop: Header=BB503_96 Depth=2
	s_wait_alu 0xfffe
	s_or_b32 exec_lo, exec_lo, s18
	v_cmp_lt_u32_e64 s17, v47, v131
	s_and_saveexec_b32 s19, s17
	s_cbranch_execnz .LBB503_246
.LBB503_178:                            ;   in Loop: Header=BB503_96 Depth=2
	s_wait_alu 0xfffe
	s_or_b32 exec_lo, exec_lo, s19
	v_cmp_lt_u32_e64 s18, v50, v131
	s_and_saveexec_b32 s20, s18
	s_cbranch_execnz .LBB503_247
.LBB503_179:                            ;   in Loop: Header=BB503_96 Depth=2
	s_wait_alu 0xfffe
	s_or_b32 exec_lo, exec_lo, s20
	v_cmp_lt_u32_e64 s19, v51, v131
	s_and_saveexec_b32 s21, s19
	s_cbranch_execnz .LBB503_248
.LBB503_180:                            ;   in Loop: Header=BB503_96 Depth=2
	s_wait_alu 0xfffe
	s_or_b32 exec_lo, exec_lo, s21
	v_cmp_lt_u32_e64 s20, v52, v131
	s_and_saveexec_b32 s22, s20
	s_cbranch_execnz .LBB503_249
.LBB503_181:                            ;   in Loop: Header=BB503_96 Depth=2
	s_wait_alu 0xfffe
	s_or_b32 exec_lo, exec_lo, s22
	v_cmp_lt_u32_e64 s21, v53, v131
	s_and_saveexec_b32 s23, s21
	s_cbranch_execnz .LBB503_250
.LBB503_182:                            ;   in Loop: Header=BB503_96 Depth=2
	s_wait_alu 0xfffe
	s_or_b32 exec_lo, exec_lo, s23
	v_cmp_lt_u32_e64 s22, v54, v131
	s_and_saveexec_b32 s24, s22
	s_cbranch_execnz .LBB503_251
.LBB503_183:                            ;   in Loop: Header=BB503_96 Depth=2
	s_wait_alu 0xfffe
	s_or_b32 exec_lo, exec_lo, s24
	v_cmp_lt_u32_e64 s23, v55, v131
	s_and_saveexec_b32 s25, s23
	s_cbranch_execnz .LBB503_252
.LBB503_184:                            ;   in Loop: Header=BB503_96 Depth=2
	s_wait_alu 0xfffe
	s_or_b32 exec_lo, exec_lo, s25
	v_cmp_lt_u32_e64 s24, v56, v131
	s_and_saveexec_b32 s26, s24
	s_cbranch_execnz .LBB503_253
.LBB503_185:                            ;   in Loop: Header=BB503_96 Depth=2
	s_wait_alu 0xfffe
	s_or_b32 exec_lo, exec_lo, s26
	v_cmp_lt_u32_e64 s25, v57, v131
	s_and_saveexec_b32 s27, s25
	s_cbranch_execnz .LBB503_254
.LBB503_186:                            ;   in Loop: Header=BB503_96 Depth=2
	s_wait_alu 0xfffe
	s_or_b32 exec_lo, exec_lo, s27
	v_cmp_lt_u32_e64 s26, v58, v131
	s_and_saveexec_b32 s28, s26
	s_cbranch_execnz .LBB503_255
.LBB503_187:                            ;   in Loop: Header=BB503_96 Depth=2
	s_wait_alu 0xfffe
	s_or_b32 exec_lo, exec_lo, s28
	v_cmp_lt_u32_e64 s27, v59, v131
	s_and_saveexec_b32 s29, s27
	s_cbranch_execnz .LBB503_256
.LBB503_188:                            ;   in Loop: Header=BB503_96 Depth=2
	s_wait_alu 0xfffe
	s_or_b32 exec_lo, exec_lo, s29
	v_cmp_lt_u32_e64 s28, v60, v131
	s_and_saveexec_b32 s30, s28
	s_cbranch_execnz .LBB503_257
.LBB503_189:                            ;   in Loop: Header=BB503_96 Depth=2
	s_wait_alu 0xfffe
	s_or_b32 exec_lo, exec_lo, s30
	v_cmp_lt_u32_e64 s29, v61, v131
	s_and_saveexec_b32 s56, s29
	s_cbranch_execz .LBB503_191
.LBB503_190:                            ;   in Loop: Header=BB503_96 Depth=2
	ds_load_b32 v132, v70 offset:16384
	s_wait_dscnt 0x0
	v_lshrrev_b32_e32 v2, s31, v132
	s_delay_alu instid0(VALU_DEP_1) | instskip(NEXT) | instid1(VALU_DEP_1)
	v_and_b32_e32 v2, s48, v2
	v_lshlrev_b32_e32 v2, 2, v2
	ds_load_b32 v2, v2
	s_wait_dscnt 0x0
	v_add_nc_u32_e32 v2, v2, v61
	s_delay_alu instid0(VALU_DEP_1) | instskip(SKIP_1) | instid1(VALU_DEP_2)
	v_lshlrev_b64_e32 v[36:37], 2, v[2:3]
	v_xor_b32_e32 v2, 0x7fffffff, v132
	v_add_co_u32 v36, s30, s38, v36
	s_wait_alu 0xf1ff
	s_delay_alu instid0(VALU_DEP_3)
	v_add_co_ci_u32_e64 v37, null, s39, v37, s30
	global_store_b32 v[36:37], v2, off
.LBB503_191:                            ;   in Loop: Header=BB503_96 Depth=2
	s_wait_alu 0xfffe
	s_or_b32 exec_lo, exec_lo, s56
	s_lshl_b64 s[56:57], s[42:43], 3
	s_wait_alu 0xfffe
	v_add_co_u32 v36, s30, v109, s56
	s_wait_alu 0xf1ff
	v_add_co_ci_u32_e64 v37, null, s57, v110, s30
	v_cmp_lt_u32_e64 s30, v88, v131
	s_and_saveexec_b32 s42, s30
	s_wait_alu 0xfffe
	s_xor_b32 s30, exec_lo, s42
	s_cbranch_execnz .LBB503_258
; %bb.192:                              ;   in Loop: Header=BB503_96 Depth=2
	s_wait_alu 0xfffe
	s_or_b32 exec_lo, exec_lo, s30
	s_delay_alu instid0(SALU_CYCLE_1)
	s_mov_b32 s42, exec_lo
	v_cmpx_lt_u32_e64 v92, v131
	s_cbranch_execnz .LBB503_259
.LBB503_193:                            ;   in Loop: Header=BB503_96 Depth=2
	s_wait_alu 0xfffe
	s_or_b32 exec_lo, exec_lo, s42
	s_delay_alu instid0(SALU_CYCLE_1)
	s_mov_b32 s42, exec_lo
	v_cmpx_lt_u32_e64 v93, v131
	s_cbranch_execnz .LBB503_260
.LBB503_194:                            ;   in Loop: Header=BB503_96 Depth=2
	s_wait_alu 0xfffe
	s_or_b32 exec_lo, exec_lo, s42
	s_delay_alu instid0(SALU_CYCLE_1)
	s_mov_b32 s42, exec_lo
	v_cmpx_lt_u32_e64 v94, v131
	s_cbranch_execnz .LBB503_261
.LBB503_195:                            ;   in Loop: Header=BB503_96 Depth=2
	s_wait_alu 0xfffe
	s_or_b32 exec_lo, exec_lo, s42
	s_delay_alu instid0(SALU_CYCLE_1)
	s_mov_b32 s42, exec_lo
	v_cmpx_lt_u32_e64 v95, v131
	s_cbranch_execnz .LBB503_262
.LBB503_196:                            ;   in Loop: Header=BB503_96 Depth=2
	s_wait_alu 0xfffe
	s_or_b32 exec_lo, exec_lo, s42
	s_delay_alu instid0(SALU_CYCLE_1)
	s_mov_b32 s42, exec_lo
	v_cmpx_lt_u32_e64 v96, v131
	s_cbranch_execnz .LBB503_263
.LBB503_197:                            ;   in Loop: Header=BB503_96 Depth=2
	s_wait_alu 0xfffe
	s_or_b32 exec_lo, exec_lo, s42
	s_delay_alu instid0(SALU_CYCLE_1)
	s_mov_b32 s42, exec_lo
	v_cmpx_lt_u32_e64 v97, v131
	s_cbranch_execnz .LBB503_264
.LBB503_198:                            ;   in Loop: Header=BB503_96 Depth=2
	s_wait_alu 0xfffe
	s_or_b32 exec_lo, exec_lo, s42
	s_delay_alu instid0(SALU_CYCLE_1)
	s_mov_b32 s42, exec_lo
	v_cmpx_lt_u32_e64 v98, v131
	s_cbranch_execnz .LBB503_265
.LBB503_199:                            ;   in Loop: Header=BB503_96 Depth=2
	s_wait_alu 0xfffe
	s_or_b32 exec_lo, exec_lo, s42
	s_delay_alu instid0(SALU_CYCLE_1)
	s_mov_b32 s42, exec_lo
	v_cmpx_lt_u32_e64 v99, v131
	s_cbranch_execnz .LBB503_266
.LBB503_200:                            ;   in Loop: Header=BB503_96 Depth=2
	s_wait_alu 0xfffe
	s_or_b32 exec_lo, exec_lo, s42
	s_delay_alu instid0(SALU_CYCLE_1)
	s_mov_b32 s42, exec_lo
	v_cmpx_lt_u32_e64 v100, v131
	s_cbranch_execnz .LBB503_267
.LBB503_201:                            ;   in Loop: Header=BB503_96 Depth=2
	s_wait_alu 0xfffe
	s_or_b32 exec_lo, exec_lo, s42
	s_delay_alu instid0(SALU_CYCLE_1)
	s_mov_b32 s42, exec_lo
	v_cmpx_lt_u32_e64 v101, v131
	s_cbranch_execnz .LBB503_268
.LBB503_202:                            ;   in Loop: Header=BB503_96 Depth=2
	s_wait_alu 0xfffe
	s_or_b32 exec_lo, exec_lo, s42
	s_delay_alu instid0(SALU_CYCLE_1)
	s_mov_b32 s42, exec_lo
	v_cmpx_lt_u32_e64 v102, v131
	s_cbranch_execnz .LBB503_269
.LBB503_203:                            ;   in Loop: Header=BB503_96 Depth=2
	s_wait_alu 0xfffe
	s_or_b32 exec_lo, exec_lo, s42
	s_delay_alu instid0(SALU_CYCLE_1)
	s_mov_b32 s42, exec_lo
	v_cmpx_lt_u32_e64 v103, v131
	s_cbranch_execnz .LBB503_270
.LBB503_204:                            ;   in Loop: Header=BB503_96 Depth=2
	s_wait_alu 0xfffe
	s_or_b32 exec_lo, exec_lo, s42
	s_delay_alu instid0(SALU_CYCLE_1)
	s_mov_b32 s42, exec_lo
	v_cmpx_lt_u32_e64 v104, v131
	s_cbranch_execnz .LBB503_271
.LBB503_205:                            ;   in Loop: Header=BB503_96 Depth=2
	s_wait_alu 0xfffe
	s_or_b32 exec_lo, exec_lo, s42
	s_delay_alu instid0(SALU_CYCLE_1)
	s_mov_b32 s42, exec_lo
	v_cmpx_lt_u32_e64 v105, v131
	s_cbranch_execnz .LBB503_272
.LBB503_206:                            ;   in Loop: Header=BB503_96 Depth=2
	s_wait_alu 0xfffe
	s_or_b32 exec_lo, exec_lo, s42
	s_delay_alu instid0(SALU_CYCLE_1)
	s_mov_b32 s42, exec_lo
	v_cmpx_lt_u32_e64 v106, v131
	s_cbranch_execnz .LBB503_273
.LBB503_207:                            ;   in Loop: Header=BB503_96 Depth=2
	s_wait_alu 0xfffe
	s_or_b32 exec_lo, exec_lo, s42
	s_and_saveexec_b32 s30, vcc_lo
	s_cbranch_execnz .LBB503_274
.LBB503_208:                            ;   in Loop: Header=BB503_96 Depth=2
	s_wait_alu 0xfffe
	s_or_b32 exec_lo, exec_lo, s30
	s_and_saveexec_b32 s30, s15
	s_cbranch_execnz .LBB503_275
.LBB503_209:                            ;   in Loop: Header=BB503_96 Depth=2
	s_wait_alu 0xfffe
	s_or_b32 exec_lo, exec_lo, s30
	s_and_saveexec_b32 s30, s16
	s_cbranch_execnz .LBB503_276
.LBB503_210:                            ;   in Loop: Header=BB503_96 Depth=2
	s_wait_alu 0xfffe
	s_or_b32 exec_lo, exec_lo, s30
	s_and_saveexec_b32 s30, s17
	s_cbranch_execnz .LBB503_277
.LBB503_211:                            ;   in Loop: Header=BB503_96 Depth=2
	s_wait_alu 0xfffe
	s_or_b32 exec_lo, exec_lo, s30
	s_and_saveexec_b32 s30, s18
	s_cbranch_execnz .LBB503_278
.LBB503_212:                            ;   in Loop: Header=BB503_96 Depth=2
	s_wait_alu 0xfffe
	s_or_b32 exec_lo, exec_lo, s30
	s_and_saveexec_b32 s30, s19
	s_cbranch_execnz .LBB503_279
.LBB503_213:                            ;   in Loop: Header=BB503_96 Depth=2
	s_wait_alu 0xfffe
	s_or_b32 exec_lo, exec_lo, s30
	s_and_saveexec_b32 s30, s20
	s_cbranch_execnz .LBB503_280
.LBB503_214:                            ;   in Loop: Header=BB503_96 Depth=2
	s_wait_alu 0xfffe
	s_or_b32 exec_lo, exec_lo, s30
	s_and_saveexec_b32 s30, s21
	s_cbranch_execnz .LBB503_281
.LBB503_215:                            ;   in Loop: Header=BB503_96 Depth=2
	s_wait_alu 0xfffe
	s_or_b32 exec_lo, exec_lo, s30
	s_and_saveexec_b32 s30, s22
	s_cbranch_execnz .LBB503_282
.LBB503_216:                            ;   in Loop: Header=BB503_96 Depth=2
	s_wait_alu 0xfffe
	s_or_b32 exec_lo, exec_lo, s30
	s_and_saveexec_b32 s30, s23
	s_cbranch_execnz .LBB503_283
.LBB503_217:                            ;   in Loop: Header=BB503_96 Depth=2
	s_wait_alu 0xfffe
	s_or_b32 exec_lo, exec_lo, s30
	s_and_saveexec_b32 s30, s24
	s_cbranch_execnz .LBB503_284
.LBB503_218:                            ;   in Loop: Header=BB503_96 Depth=2
	s_wait_alu 0xfffe
	s_or_b32 exec_lo, exec_lo, s30
	s_and_saveexec_b32 s30, s25
	s_cbranch_execnz .LBB503_285
.LBB503_219:                            ;   in Loop: Header=BB503_96 Depth=2
	s_wait_alu 0xfffe
	s_or_b32 exec_lo, exec_lo, s30
	s_and_saveexec_b32 s30, s26
	s_cbranch_execnz .LBB503_286
.LBB503_220:                            ;   in Loop: Header=BB503_96 Depth=2
	s_wait_alu 0xfffe
	s_or_b32 exec_lo, exec_lo, s30
	s_and_saveexec_b32 s30, s27
	s_cbranch_execnz .LBB503_287
.LBB503_221:                            ;   in Loop: Header=BB503_96 Depth=2
	s_wait_alu 0xfffe
	s_or_b32 exec_lo, exec_lo, s30
	s_and_saveexec_b32 s30, s28
	s_cbranch_execnz .LBB503_288
.LBB503_222:                            ;   in Loop: Header=BB503_96 Depth=2
	s_wait_alu 0xfffe
	s_or_b32 exec_lo, exec_lo, s30
	s_and_saveexec_b32 s30, s29
	s_cbranch_execz .LBB503_224
.LBB503_223:                            ;   in Loop: Header=BB503_96 Depth=2
	ds_load_b32 v2, v70 offset:16384
	s_wait_dscnt 0x0
	v_lshrrev_b32_e32 v2, s31, v2
	s_delay_alu instid0(VALU_DEP_1)
	v_and_b32_e32 v115, s48, v2
.LBB503_224:                            ;   in Loop: Header=BB503_96 Depth=2
	s_wait_alu 0xfffe
	s_or_b32 exec_lo, exec_lo, s30
	v_lshlrev_b32_e32 v2, 3, v151
	s_wait_loadcnt 0x0
	s_wait_storecnt 0x0
	s_barrier_signal -1
	s_barrier_wait -1
	global_inv scope:SCOPE_SE
	ds_store_b64 v2, v[34:35] offset:1024
	v_lshlrev_b32_e32 v2, 3, v147
	v_lshlrev_b32_e32 v36, 3, v143
	v_lshlrev_b32_e32 v37, 3, v142
	v_lshlrev_b32_e32 v131, 3, v141
	v_lshlrev_b32_e32 v132, 3, v139
	ds_store_b64 v2, v[32:33] offset:1024
	ds_store_b64 v36, v[30:31] offset:1024
	ds_store_b64 v37, v[28:29] offset:1024
	ds_store_b64 v131, v[26:27] offset:1024
	ds_store_b64 v132, v[24:25] offset:1024
	v_lshlrev_b32_e32 v2, 3, v138
	v_lshlrev_b32_e32 v36, 3, v137
	v_lshlrev_b32_e32 v37, 3, v136
	v_lshlrev_b32_e32 v131, 3, v135
	v_lshlrev_b32_e32 v132, 3, v134
	ds_store_b64 v2, v[22:23] offset:1024
	ds_store_b64 v36, v[20:21] offset:1024
	ds_store_b64 v37, v[18:19] offset:1024
	ds_store_b64 v131, v[16:17] offset:1024
	;; [unrolled: 10-line block ×3, first 2 shown]
	ds_store_b64 v40, v[4:5] offset:1024
	s_wait_loadcnt_dscnt 0x0
	s_barrier_signal -1
	s_barrier_wait -1
	global_inv scope:SCOPE_SE
	s_and_saveexec_b32 s30, vcc_lo
	s_cbranch_execnz .LBB503_289
; %bb.225:                              ;   in Loop: Header=BB503_96 Depth=2
	s_wait_alu 0xfffe
	s_or_b32 exec_lo, exec_lo, s30
	s_and_saveexec_b32 s30, s15
	s_cbranch_execnz .LBB503_290
.LBB503_226:                            ;   in Loop: Header=BB503_96 Depth=2
	s_wait_alu 0xfffe
	s_or_b32 exec_lo, exec_lo, s30
	s_and_saveexec_b32 s15, s16
	s_cbranch_execnz .LBB503_291
.LBB503_227:                            ;   in Loop: Header=BB503_96 Depth=2
	s_wait_alu 0xfffe
	s_or_b32 exec_lo, exec_lo, s15
	s_and_saveexec_b32 s15, s17
	s_cbranch_execnz .LBB503_292
.LBB503_228:                            ;   in Loop: Header=BB503_96 Depth=2
	s_wait_alu 0xfffe
	s_or_b32 exec_lo, exec_lo, s15
	s_and_saveexec_b32 s15, s18
	s_cbranch_execnz .LBB503_293
.LBB503_229:                            ;   in Loop: Header=BB503_96 Depth=2
	s_wait_alu 0xfffe
	s_or_b32 exec_lo, exec_lo, s15
	s_and_saveexec_b32 s15, s19
	s_cbranch_execnz .LBB503_294
.LBB503_230:                            ;   in Loop: Header=BB503_96 Depth=2
	s_wait_alu 0xfffe
	s_or_b32 exec_lo, exec_lo, s15
	s_and_saveexec_b32 s15, s20
	s_cbranch_execnz .LBB503_295
.LBB503_231:                            ;   in Loop: Header=BB503_96 Depth=2
	s_wait_alu 0xfffe
	s_or_b32 exec_lo, exec_lo, s15
	s_and_saveexec_b32 s15, s21
	s_cbranch_execnz .LBB503_296
.LBB503_232:                            ;   in Loop: Header=BB503_96 Depth=2
	s_wait_alu 0xfffe
	s_or_b32 exec_lo, exec_lo, s15
	s_and_saveexec_b32 s15, s22
	s_cbranch_execnz .LBB503_297
.LBB503_233:                            ;   in Loop: Header=BB503_96 Depth=2
	s_wait_alu 0xfffe
	s_or_b32 exec_lo, exec_lo, s15
	s_and_saveexec_b32 s15, s23
	s_cbranch_execnz .LBB503_298
.LBB503_234:                            ;   in Loop: Header=BB503_96 Depth=2
	s_wait_alu 0xfffe
	s_or_b32 exec_lo, exec_lo, s15
	s_and_saveexec_b32 s15, s24
	s_cbranch_execnz .LBB503_299
.LBB503_235:                            ;   in Loop: Header=BB503_96 Depth=2
	s_wait_alu 0xfffe
	s_or_b32 exec_lo, exec_lo, s15
	s_and_saveexec_b32 s15, s25
	s_cbranch_execnz .LBB503_300
.LBB503_236:                            ;   in Loop: Header=BB503_96 Depth=2
	s_wait_alu 0xfffe
	s_or_b32 exec_lo, exec_lo, s15
	s_and_saveexec_b32 s15, s26
	s_cbranch_execnz .LBB503_301
.LBB503_237:                            ;   in Loop: Header=BB503_96 Depth=2
	s_wait_alu 0xfffe
	s_or_b32 exec_lo, exec_lo, s15
	s_and_saveexec_b32 s15, s27
	s_cbranch_execnz .LBB503_302
.LBB503_238:                            ;   in Loop: Header=BB503_96 Depth=2
	s_wait_alu 0xfffe
	s_or_b32 exec_lo, exec_lo, s15
	s_and_saveexec_b32 s15, s28
	s_cbranch_execnz .LBB503_303
.LBB503_239:                            ;   in Loop: Header=BB503_96 Depth=2
	s_wait_alu 0xfffe
	s_or_b32 exec_lo, exec_lo, s15
	s_and_saveexec_b32 s15, s29
	s_cbranch_execz .LBB503_241
.LBB503_240:                            ;   in Loop: Header=BB503_96 Depth=2
	v_lshlrev_b32_e32 v2, 2, v115
	v_add_nc_u32_e32 v36, v70, v44
	ds_load_b32 v2, v2
	ds_load_b64 v[36:37], v36 offset:31744
	s_wait_dscnt 0x1
	v_add_nc_u32_e32 v2, v2, v61
	s_delay_alu instid0(VALU_DEP_1) | instskip(NEXT) | instid1(VALU_DEP_1)
	v_lshlrev_b64_e32 v[39:40], 3, v[2:3]
	v_add_co_u32 v39, vcc_lo, s44, v39
	s_wait_alu 0xfffd
	s_delay_alu instid0(VALU_DEP_2)
	v_add_co_ci_u32_e64 v40, null, s45, v40, vcc_lo
	s_wait_dscnt 0x0
	global_store_b64 v[39:40], v[36:37], off
.LBB503_241:                            ;   in Loop: Header=BB503_96 Depth=2
	s_wait_alu 0xfffe
	s_or_b32 exec_lo, exec_lo, s15
	s_wait_loadcnt 0x0
	s_wait_storecnt 0x0
	s_barrier_signal -1
	s_barrier_wait -1
	global_inv scope:SCOPE_SE
	s_and_saveexec_b32 s15, s2
	s_cbranch_execz .LBB503_95
; %bb.242:                              ;   in Loop: Header=BB503_96 Depth=2
	ds_load_b32 v2, v44
	s_wait_dscnt 0x0
	v_add_nc_u32_e32 v2, v2, v38
	ds_store_b32 v44, v2
	s_branch .LBB503_95
.LBB503_243:                            ;   in Loop: Header=BB503_96 Depth=2
	ds_load_b32 v132, v70 offset:1024
	s_wait_dscnt 0x0
	v_lshrrev_b32_e32 v2, s31, v132
	s_delay_alu instid0(VALU_DEP_1) | instskip(NEXT) | instid1(VALU_DEP_1)
	v_and_b32_e32 v2, s48, v2
	v_lshlrev_b32_e32 v2, 2, v2
	ds_load_b32 v2, v2
	s_wait_dscnt 0x0
	v_add_nc_u32_e32 v2, v2, v1
	s_delay_alu instid0(VALU_DEP_1) | instskip(SKIP_1) | instid1(VALU_DEP_2)
	v_lshlrev_b64_e32 v[36:37], 2, v[2:3]
	v_xor_b32_e32 v2, 0x7fffffff, v132
	v_add_co_u32 v36, s15, s38, v36
	s_wait_alu 0xf1ff
	s_delay_alu instid0(VALU_DEP_3)
	v_add_co_ci_u32_e64 v37, null, s39, v37, s15
	global_store_b32 v[36:37], v2, off
	s_wait_alu 0xfffe
	s_or_b32 exec_lo, exec_lo, s16
	v_cmp_lt_u32_e64 s15, v45, v131
	s_and_saveexec_b32 s17, s15
	s_cbranch_execz .LBB503_176
.LBB503_244:                            ;   in Loop: Header=BB503_96 Depth=2
	ds_load_b32 v132, v70 offset:2048
	s_wait_dscnt 0x0
	v_lshrrev_b32_e32 v2, s31, v132
	s_delay_alu instid0(VALU_DEP_1) | instskip(NEXT) | instid1(VALU_DEP_1)
	v_and_b32_e32 v2, s48, v2
	v_lshlrev_b32_e32 v2, 2, v2
	ds_load_b32 v2, v2
	s_wait_dscnt 0x0
	v_add_nc_u32_e32 v2, v2, v45
	s_delay_alu instid0(VALU_DEP_1) | instskip(SKIP_1) | instid1(VALU_DEP_2)
	v_lshlrev_b64_e32 v[36:37], 2, v[2:3]
	v_xor_b32_e32 v2, 0x7fffffff, v132
	v_add_co_u32 v36, s16, s38, v36
	s_wait_alu 0xf1ff
	s_delay_alu instid0(VALU_DEP_3)
	v_add_co_ci_u32_e64 v37, null, s39, v37, s16
	global_store_b32 v[36:37], v2, off
	s_wait_alu 0xfffe
	s_or_b32 exec_lo, exec_lo, s17
	v_cmp_lt_u32_e64 s16, v46, v131
	s_and_saveexec_b32 s18, s16
	s_cbranch_execz .LBB503_177
.LBB503_245:                            ;   in Loop: Header=BB503_96 Depth=2
	ds_load_b32 v132, v70 offset:3072
	s_wait_dscnt 0x0
	v_lshrrev_b32_e32 v2, s31, v132
	s_delay_alu instid0(VALU_DEP_1) | instskip(NEXT) | instid1(VALU_DEP_1)
	v_and_b32_e32 v2, s48, v2
	v_lshlrev_b32_e32 v2, 2, v2
	ds_load_b32 v2, v2
	s_wait_dscnt 0x0
	v_add_nc_u32_e32 v2, v2, v46
	s_delay_alu instid0(VALU_DEP_1) | instskip(SKIP_1) | instid1(VALU_DEP_2)
	v_lshlrev_b64_e32 v[36:37], 2, v[2:3]
	v_xor_b32_e32 v2, 0x7fffffff, v132
	v_add_co_u32 v36, s17, s38, v36
	s_wait_alu 0xf1ff
	s_delay_alu instid0(VALU_DEP_3)
	v_add_co_ci_u32_e64 v37, null, s39, v37, s17
	global_store_b32 v[36:37], v2, off
	s_wait_alu 0xfffe
	s_or_b32 exec_lo, exec_lo, s18
	v_cmp_lt_u32_e64 s17, v47, v131
	s_and_saveexec_b32 s19, s17
	s_cbranch_execz .LBB503_178
.LBB503_246:                            ;   in Loop: Header=BB503_96 Depth=2
	ds_load_b32 v132, v70 offset:4096
	s_wait_dscnt 0x0
	v_lshrrev_b32_e32 v2, s31, v132
	s_delay_alu instid0(VALU_DEP_1) | instskip(NEXT) | instid1(VALU_DEP_1)
	v_and_b32_e32 v2, s48, v2
	v_lshlrev_b32_e32 v2, 2, v2
	ds_load_b32 v2, v2
	s_wait_dscnt 0x0
	v_add_nc_u32_e32 v2, v2, v47
	s_delay_alu instid0(VALU_DEP_1) | instskip(SKIP_1) | instid1(VALU_DEP_2)
	v_lshlrev_b64_e32 v[36:37], 2, v[2:3]
	v_xor_b32_e32 v2, 0x7fffffff, v132
	v_add_co_u32 v36, s18, s38, v36
	s_wait_alu 0xf1ff
	s_delay_alu instid0(VALU_DEP_3)
	v_add_co_ci_u32_e64 v37, null, s39, v37, s18
	global_store_b32 v[36:37], v2, off
	s_wait_alu 0xfffe
	s_or_b32 exec_lo, exec_lo, s19
	v_cmp_lt_u32_e64 s18, v50, v131
	s_and_saveexec_b32 s20, s18
	s_cbranch_execz .LBB503_179
.LBB503_247:                            ;   in Loop: Header=BB503_96 Depth=2
	ds_load_b32 v132, v70 offset:5120
	s_wait_dscnt 0x0
	v_lshrrev_b32_e32 v2, s31, v132
	s_delay_alu instid0(VALU_DEP_1) | instskip(NEXT) | instid1(VALU_DEP_1)
	v_and_b32_e32 v2, s48, v2
	v_lshlrev_b32_e32 v2, 2, v2
	ds_load_b32 v2, v2
	s_wait_dscnt 0x0
	v_add_nc_u32_e32 v2, v2, v50
	s_delay_alu instid0(VALU_DEP_1) | instskip(SKIP_1) | instid1(VALU_DEP_2)
	v_lshlrev_b64_e32 v[36:37], 2, v[2:3]
	v_xor_b32_e32 v2, 0x7fffffff, v132
	v_add_co_u32 v36, s19, s38, v36
	s_wait_alu 0xf1ff
	s_delay_alu instid0(VALU_DEP_3)
	v_add_co_ci_u32_e64 v37, null, s39, v37, s19
	global_store_b32 v[36:37], v2, off
	s_wait_alu 0xfffe
	s_or_b32 exec_lo, exec_lo, s20
	v_cmp_lt_u32_e64 s19, v51, v131
	s_and_saveexec_b32 s21, s19
	s_cbranch_execz .LBB503_180
.LBB503_248:                            ;   in Loop: Header=BB503_96 Depth=2
	ds_load_b32 v132, v70 offset:6144
	s_wait_dscnt 0x0
	v_lshrrev_b32_e32 v2, s31, v132
	s_delay_alu instid0(VALU_DEP_1) | instskip(NEXT) | instid1(VALU_DEP_1)
	v_and_b32_e32 v2, s48, v2
	v_lshlrev_b32_e32 v2, 2, v2
	ds_load_b32 v2, v2
	s_wait_dscnt 0x0
	v_add_nc_u32_e32 v2, v2, v51
	s_delay_alu instid0(VALU_DEP_1) | instskip(SKIP_1) | instid1(VALU_DEP_2)
	v_lshlrev_b64_e32 v[36:37], 2, v[2:3]
	v_xor_b32_e32 v2, 0x7fffffff, v132
	v_add_co_u32 v36, s20, s38, v36
	s_wait_alu 0xf1ff
	s_delay_alu instid0(VALU_DEP_3)
	v_add_co_ci_u32_e64 v37, null, s39, v37, s20
	global_store_b32 v[36:37], v2, off
	s_wait_alu 0xfffe
	s_or_b32 exec_lo, exec_lo, s21
	v_cmp_lt_u32_e64 s20, v52, v131
	s_and_saveexec_b32 s22, s20
	s_cbranch_execz .LBB503_181
.LBB503_249:                            ;   in Loop: Header=BB503_96 Depth=2
	ds_load_b32 v132, v70 offset:7168
	s_wait_dscnt 0x0
	v_lshrrev_b32_e32 v2, s31, v132
	s_delay_alu instid0(VALU_DEP_1) | instskip(NEXT) | instid1(VALU_DEP_1)
	v_and_b32_e32 v2, s48, v2
	v_lshlrev_b32_e32 v2, 2, v2
	ds_load_b32 v2, v2
	s_wait_dscnt 0x0
	v_add_nc_u32_e32 v2, v2, v52
	s_delay_alu instid0(VALU_DEP_1) | instskip(SKIP_1) | instid1(VALU_DEP_2)
	v_lshlrev_b64_e32 v[36:37], 2, v[2:3]
	v_xor_b32_e32 v2, 0x7fffffff, v132
	v_add_co_u32 v36, s21, s38, v36
	s_wait_alu 0xf1ff
	s_delay_alu instid0(VALU_DEP_3)
	v_add_co_ci_u32_e64 v37, null, s39, v37, s21
	global_store_b32 v[36:37], v2, off
	s_wait_alu 0xfffe
	s_or_b32 exec_lo, exec_lo, s22
	v_cmp_lt_u32_e64 s21, v53, v131
	s_and_saveexec_b32 s23, s21
	s_cbranch_execz .LBB503_182
.LBB503_250:                            ;   in Loop: Header=BB503_96 Depth=2
	ds_load_b32 v132, v70 offset:8192
	s_wait_dscnt 0x0
	v_lshrrev_b32_e32 v2, s31, v132
	s_delay_alu instid0(VALU_DEP_1) | instskip(NEXT) | instid1(VALU_DEP_1)
	v_and_b32_e32 v2, s48, v2
	v_lshlrev_b32_e32 v2, 2, v2
	ds_load_b32 v2, v2
	s_wait_dscnt 0x0
	v_add_nc_u32_e32 v2, v2, v53
	s_delay_alu instid0(VALU_DEP_1) | instskip(SKIP_1) | instid1(VALU_DEP_2)
	v_lshlrev_b64_e32 v[36:37], 2, v[2:3]
	v_xor_b32_e32 v2, 0x7fffffff, v132
	v_add_co_u32 v36, s22, s38, v36
	s_wait_alu 0xf1ff
	s_delay_alu instid0(VALU_DEP_3)
	v_add_co_ci_u32_e64 v37, null, s39, v37, s22
	global_store_b32 v[36:37], v2, off
	s_wait_alu 0xfffe
	s_or_b32 exec_lo, exec_lo, s23
	v_cmp_lt_u32_e64 s22, v54, v131
	s_and_saveexec_b32 s24, s22
	s_cbranch_execz .LBB503_183
.LBB503_251:                            ;   in Loop: Header=BB503_96 Depth=2
	ds_load_b32 v132, v70 offset:9216
	s_wait_dscnt 0x0
	v_lshrrev_b32_e32 v2, s31, v132
	s_delay_alu instid0(VALU_DEP_1) | instskip(NEXT) | instid1(VALU_DEP_1)
	v_and_b32_e32 v2, s48, v2
	v_lshlrev_b32_e32 v2, 2, v2
	ds_load_b32 v2, v2
	s_wait_dscnt 0x0
	v_add_nc_u32_e32 v2, v2, v54
	s_delay_alu instid0(VALU_DEP_1) | instskip(SKIP_1) | instid1(VALU_DEP_2)
	v_lshlrev_b64_e32 v[36:37], 2, v[2:3]
	v_xor_b32_e32 v2, 0x7fffffff, v132
	v_add_co_u32 v36, s23, s38, v36
	s_wait_alu 0xf1ff
	s_delay_alu instid0(VALU_DEP_3)
	v_add_co_ci_u32_e64 v37, null, s39, v37, s23
	global_store_b32 v[36:37], v2, off
	s_wait_alu 0xfffe
	s_or_b32 exec_lo, exec_lo, s24
	v_cmp_lt_u32_e64 s23, v55, v131
	s_and_saveexec_b32 s25, s23
	s_cbranch_execz .LBB503_184
.LBB503_252:                            ;   in Loop: Header=BB503_96 Depth=2
	ds_load_b32 v132, v70 offset:10240
	s_wait_dscnt 0x0
	v_lshrrev_b32_e32 v2, s31, v132
	s_delay_alu instid0(VALU_DEP_1) | instskip(NEXT) | instid1(VALU_DEP_1)
	v_and_b32_e32 v2, s48, v2
	v_lshlrev_b32_e32 v2, 2, v2
	ds_load_b32 v2, v2
	s_wait_dscnt 0x0
	v_add_nc_u32_e32 v2, v2, v55
	s_delay_alu instid0(VALU_DEP_1) | instskip(SKIP_1) | instid1(VALU_DEP_2)
	v_lshlrev_b64_e32 v[36:37], 2, v[2:3]
	v_xor_b32_e32 v2, 0x7fffffff, v132
	v_add_co_u32 v36, s24, s38, v36
	s_wait_alu 0xf1ff
	s_delay_alu instid0(VALU_DEP_3)
	v_add_co_ci_u32_e64 v37, null, s39, v37, s24
	global_store_b32 v[36:37], v2, off
	s_wait_alu 0xfffe
	s_or_b32 exec_lo, exec_lo, s25
	v_cmp_lt_u32_e64 s24, v56, v131
	s_and_saveexec_b32 s26, s24
	s_cbranch_execz .LBB503_185
.LBB503_253:                            ;   in Loop: Header=BB503_96 Depth=2
	ds_load_b32 v132, v70 offset:11264
	s_wait_dscnt 0x0
	v_lshrrev_b32_e32 v2, s31, v132
	s_delay_alu instid0(VALU_DEP_1) | instskip(NEXT) | instid1(VALU_DEP_1)
	v_and_b32_e32 v2, s48, v2
	v_lshlrev_b32_e32 v2, 2, v2
	ds_load_b32 v2, v2
	s_wait_dscnt 0x0
	v_add_nc_u32_e32 v2, v2, v56
	s_delay_alu instid0(VALU_DEP_1) | instskip(SKIP_1) | instid1(VALU_DEP_2)
	v_lshlrev_b64_e32 v[36:37], 2, v[2:3]
	v_xor_b32_e32 v2, 0x7fffffff, v132
	v_add_co_u32 v36, s25, s38, v36
	s_wait_alu 0xf1ff
	s_delay_alu instid0(VALU_DEP_3)
	v_add_co_ci_u32_e64 v37, null, s39, v37, s25
	global_store_b32 v[36:37], v2, off
	s_wait_alu 0xfffe
	s_or_b32 exec_lo, exec_lo, s26
	v_cmp_lt_u32_e64 s25, v57, v131
	s_and_saveexec_b32 s27, s25
	s_cbranch_execz .LBB503_186
.LBB503_254:                            ;   in Loop: Header=BB503_96 Depth=2
	ds_load_b32 v132, v70 offset:12288
	s_wait_dscnt 0x0
	v_lshrrev_b32_e32 v2, s31, v132
	s_delay_alu instid0(VALU_DEP_1) | instskip(NEXT) | instid1(VALU_DEP_1)
	v_and_b32_e32 v2, s48, v2
	v_lshlrev_b32_e32 v2, 2, v2
	ds_load_b32 v2, v2
	s_wait_dscnt 0x0
	v_add_nc_u32_e32 v2, v2, v57
	s_delay_alu instid0(VALU_DEP_1) | instskip(SKIP_1) | instid1(VALU_DEP_2)
	v_lshlrev_b64_e32 v[36:37], 2, v[2:3]
	v_xor_b32_e32 v2, 0x7fffffff, v132
	v_add_co_u32 v36, s26, s38, v36
	s_wait_alu 0xf1ff
	s_delay_alu instid0(VALU_DEP_3)
	v_add_co_ci_u32_e64 v37, null, s39, v37, s26
	global_store_b32 v[36:37], v2, off
	s_wait_alu 0xfffe
	s_or_b32 exec_lo, exec_lo, s27
	v_cmp_lt_u32_e64 s26, v58, v131
	s_and_saveexec_b32 s28, s26
	s_cbranch_execz .LBB503_187
.LBB503_255:                            ;   in Loop: Header=BB503_96 Depth=2
	ds_load_b32 v132, v70 offset:13312
	s_wait_dscnt 0x0
	v_lshrrev_b32_e32 v2, s31, v132
	s_delay_alu instid0(VALU_DEP_1) | instskip(NEXT) | instid1(VALU_DEP_1)
	v_and_b32_e32 v2, s48, v2
	v_lshlrev_b32_e32 v2, 2, v2
	ds_load_b32 v2, v2
	s_wait_dscnt 0x0
	v_add_nc_u32_e32 v2, v2, v58
	s_delay_alu instid0(VALU_DEP_1) | instskip(SKIP_1) | instid1(VALU_DEP_2)
	v_lshlrev_b64_e32 v[36:37], 2, v[2:3]
	v_xor_b32_e32 v2, 0x7fffffff, v132
	v_add_co_u32 v36, s27, s38, v36
	s_wait_alu 0xf1ff
	s_delay_alu instid0(VALU_DEP_3)
	v_add_co_ci_u32_e64 v37, null, s39, v37, s27
	global_store_b32 v[36:37], v2, off
	s_wait_alu 0xfffe
	s_or_b32 exec_lo, exec_lo, s28
	v_cmp_lt_u32_e64 s27, v59, v131
	s_and_saveexec_b32 s29, s27
	s_cbranch_execz .LBB503_188
.LBB503_256:                            ;   in Loop: Header=BB503_96 Depth=2
	ds_load_b32 v132, v70 offset:14336
	s_wait_dscnt 0x0
	v_lshrrev_b32_e32 v2, s31, v132
	s_delay_alu instid0(VALU_DEP_1) | instskip(NEXT) | instid1(VALU_DEP_1)
	v_and_b32_e32 v2, s48, v2
	v_lshlrev_b32_e32 v2, 2, v2
	ds_load_b32 v2, v2
	s_wait_dscnt 0x0
	v_add_nc_u32_e32 v2, v2, v59
	s_delay_alu instid0(VALU_DEP_1) | instskip(SKIP_1) | instid1(VALU_DEP_2)
	v_lshlrev_b64_e32 v[36:37], 2, v[2:3]
	v_xor_b32_e32 v2, 0x7fffffff, v132
	v_add_co_u32 v36, s28, s38, v36
	s_wait_alu 0xf1ff
	s_delay_alu instid0(VALU_DEP_3)
	v_add_co_ci_u32_e64 v37, null, s39, v37, s28
	global_store_b32 v[36:37], v2, off
	s_wait_alu 0xfffe
	s_or_b32 exec_lo, exec_lo, s29
	v_cmp_lt_u32_e64 s28, v60, v131
	s_and_saveexec_b32 s30, s28
	s_cbranch_execz .LBB503_189
.LBB503_257:                            ;   in Loop: Header=BB503_96 Depth=2
	ds_load_b32 v132, v70 offset:15360
	s_wait_dscnt 0x0
	v_lshrrev_b32_e32 v2, s31, v132
	s_delay_alu instid0(VALU_DEP_1) | instskip(NEXT) | instid1(VALU_DEP_1)
	v_and_b32_e32 v2, s48, v2
	v_lshlrev_b32_e32 v2, 2, v2
	ds_load_b32 v2, v2
	s_wait_dscnt 0x0
	v_add_nc_u32_e32 v2, v2, v60
	s_delay_alu instid0(VALU_DEP_1) | instskip(SKIP_1) | instid1(VALU_DEP_2)
	v_lshlrev_b64_e32 v[36:37], 2, v[2:3]
	v_xor_b32_e32 v2, 0x7fffffff, v132
	v_add_co_u32 v36, s29, s38, v36
	s_wait_alu 0xf1ff
	s_delay_alu instid0(VALU_DEP_3)
	v_add_co_ci_u32_e64 v37, null, s39, v37, s29
	global_store_b32 v[36:37], v2, off
	s_wait_alu 0xfffe
	s_or_b32 exec_lo, exec_lo, s30
	v_cmp_lt_u32_e64 s29, v61, v131
	s_and_saveexec_b32 s56, s29
	s_cbranch_execnz .LBB503_190
	s_branch .LBB503_191
.LBB503_258:                            ;   in Loop: Header=BB503_96 Depth=2
	global_load_b64 v[34:35], v[36:37], off
	s_wait_alu 0xfffe
	s_or_b32 exec_lo, exec_lo, s30
	s_delay_alu instid0(SALU_CYCLE_1)
	s_mov_b32 s42, exec_lo
	v_cmpx_lt_u32_e64 v92, v131
	s_cbranch_execz .LBB503_193
.LBB503_259:                            ;   in Loop: Header=BB503_96 Depth=2
	global_load_b64 v[32:33], v[36:37], off offset:256
	s_wait_alu 0xfffe
	s_or_b32 exec_lo, exec_lo, s42
	s_delay_alu instid0(SALU_CYCLE_1)
	s_mov_b32 s42, exec_lo
	v_cmpx_lt_u32_e64 v93, v131
	s_cbranch_execz .LBB503_194
.LBB503_260:                            ;   in Loop: Header=BB503_96 Depth=2
	global_load_b64 v[30:31], v[36:37], off offset:512
	s_wait_alu 0xfffe
	s_or_b32 exec_lo, exec_lo, s42
	s_delay_alu instid0(SALU_CYCLE_1)
	s_mov_b32 s42, exec_lo
	v_cmpx_lt_u32_e64 v94, v131
	s_cbranch_execz .LBB503_195
.LBB503_261:                            ;   in Loop: Header=BB503_96 Depth=2
	global_load_b64 v[28:29], v[36:37], off offset:768
	s_wait_alu 0xfffe
	s_or_b32 exec_lo, exec_lo, s42
	s_delay_alu instid0(SALU_CYCLE_1)
	s_mov_b32 s42, exec_lo
	v_cmpx_lt_u32_e64 v95, v131
	s_cbranch_execz .LBB503_196
.LBB503_262:                            ;   in Loop: Header=BB503_96 Depth=2
	global_load_b64 v[26:27], v[36:37], off offset:1024
	s_wait_alu 0xfffe
	s_or_b32 exec_lo, exec_lo, s42
	s_delay_alu instid0(SALU_CYCLE_1)
	s_mov_b32 s42, exec_lo
	v_cmpx_lt_u32_e64 v96, v131
	s_cbranch_execz .LBB503_197
.LBB503_263:                            ;   in Loop: Header=BB503_96 Depth=2
	global_load_b64 v[24:25], v[36:37], off offset:1280
	s_wait_alu 0xfffe
	s_or_b32 exec_lo, exec_lo, s42
	s_delay_alu instid0(SALU_CYCLE_1)
	s_mov_b32 s42, exec_lo
	v_cmpx_lt_u32_e64 v97, v131
	s_cbranch_execz .LBB503_198
.LBB503_264:                            ;   in Loop: Header=BB503_96 Depth=2
	global_load_b64 v[22:23], v[36:37], off offset:1536
	s_wait_alu 0xfffe
	s_or_b32 exec_lo, exec_lo, s42
	s_delay_alu instid0(SALU_CYCLE_1)
	s_mov_b32 s42, exec_lo
	v_cmpx_lt_u32_e64 v98, v131
	s_cbranch_execz .LBB503_199
.LBB503_265:                            ;   in Loop: Header=BB503_96 Depth=2
	global_load_b64 v[20:21], v[36:37], off offset:1792
	s_wait_alu 0xfffe
	s_or_b32 exec_lo, exec_lo, s42
	s_delay_alu instid0(SALU_CYCLE_1)
	s_mov_b32 s42, exec_lo
	v_cmpx_lt_u32_e64 v99, v131
	s_cbranch_execz .LBB503_200
.LBB503_266:                            ;   in Loop: Header=BB503_96 Depth=2
	global_load_b64 v[18:19], v[36:37], off offset:2048
	s_wait_alu 0xfffe
	s_or_b32 exec_lo, exec_lo, s42
	s_delay_alu instid0(SALU_CYCLE_1)
	s_mov_b32 s42, exec_lo
	v_cmpx_lt_u32_e64 v100, v131
	s_cbranch_execz .LBB503_201
.LBB503_267:                            ;   in Loop: Header=BB503_96 Depth=2
	global_load_b64 v[16:17], v[36:37], off offset:2304
	s_wait_alu 0xfffe
	s_or_b32 exec_lo, exec_lo, s42
	s_delay_alu instid0(SALU_CYCLE_1)
	s_mov_b32 s42, exec_lo
	v_cmpx_lt_u32_e64 v101, v131
	s_cbranch_execz .LBB503_202
.LBB503_268:                            ;   in Loop: Header=BB503_96 Depth=2
	global_load_b64 v[14:15], v[36:37], off offset:2560
	s_wait_alu 0xfffe
	s_or_b32 exec_lo, exec_lo, s42
	s_delay_alu instid0(SALU_CYCLE_1)
	s_mov_b32 s42, exec_lo
	v_cmpx_lt_u32_e64 v102, v131
	s_cbranch_execz .LBB503_203
.LBB503_269:                            ;   in Loop: Header=BB503_96 Depth=2
	global_load_b64 v[12:13], v[36:37], off offset:2816
	s_wait_alu 0xfffe
	s_or_b32 exec_lo, exec_lo, s42
	s_delay_alu instid0(SALU_CYCLE_1)
	s_mov_b32 s42, exec_lo
	v_cmpx_lt_u32_e64 v103, v131
	s_cbranch_execz .LBB503_204
.LBB503_270:                            ;   in Loop: Header=BB503_96 Depth=2
	global_load_b64 v[10:11], v[36:37], off offset:3072
	s_wait_alu 0xfffe
	s_or_b32 exec_lo, exec_lo, s42
	s_delay_alu instid0(SALU_CYCLE_1)
	s_mov_b32 s42, exec_lo
	v_cmpx_lt_u32_e64 v104, v131
	s_cbranch_execz .LBB503_205
.LBB503_271:                            ;   in Loop: Header=BB503_96 Depth=2
	global_load_b64 v[8:9], v[36:37], off offset:3328
	s_wait_alu 0xfffe
	s_or_b32 exec_lo, exec_lo, s42
	s_delay_alu instid0(SALU_CYCLE_1)
	s_mov_b32 s42, exec_lo
	v_cmpx_lt_u32_e64 v105, v131
	s_cbranch_execz .LBB503_206
.LBB503_272:                            ;   in Loop: Header=BB503_96 Depth=2
	global_load_b64 v[6:7], v[36:37], off offset:3584
	s_wait_alu 0xfffe
	s_or_b32 exec_lo, exec_lo, s42
	s_delay_alu instid0(SALU_CYCLE_1)
	s_mov_b32 s42, exec_lo
	v_cmpx_lt_u32_e64 v106, v131
	s_cbranch_execz .LBB503_207
.LBB503_273:                            ;   in Loop: Header=BB503_96 Depth=2
	global_load_b64 v[4:5], v[36:37], off offset:3840
	s_wait_alu 0xfffe
	s_or_b32 exec_lo, exec_lo, s42
	s_and_saveexec_b32 s30, vcc_lo
	s_cbranch_execz .LBB503_208
.LBB503_274:                            ;   in Loop: Header=BB503_96 Depth=2
	ds_load_b32 v2, v70 offset:1024
	s_wait_dscnt 0x0
	v_lshrrev_b32_e32 v2, s31, v2
	s_delay_alu instid0(VALU_DEP_1)
	v_and_b32_e32 v130, s48, v2
	s_wait_alu 0xfffe
	s_or_b32 exec_lo, exec_lo, s30
	s_and_saveexec_b32 s30, s15
	s_cbranch_execz .LBB503_209
.LBB503_275:                            ;   in Loop: Header=BB503_96 Depth=2
	ds_load_b32 v2, v70 offset:2048
	s_wait_dscnt 0x0
	v_lshrrev_b32_e32 v2, s31, v2
	s_delay_alu instid0(VALU_DEP_1)
	v_and_b32_e32 v129, s48, v2
	s_wait_alu 0xfffe
	s_or_b32 exec_lo, exec_lo, s30
	s_and_saveexec_b32 s30, s16
	s_cbranch_execz .LBB503_210
.LBB503_276:                            ;   in Loop: Header=BB503_96 Depth=2
	ds_load_b32 v2, v70 offset:3072
	s_wait_dscnt 0x0
	v_lshrrev_b32_e32 v2, s31, v2
	s_delay_alu instid0(VALU_DEP_1)
	v_and_b32_e32 v128, s48, v2
	s_wait_alu 0xfffe
	s_or_b32 exec_lo, exec_lo, s30
	s_and_saveexec_b32 s30, s17
	s_cbranch_execz .LBB503_211
.LBB503_277:                            ;   in Loop: Header=BB503_96 Depth=2
	ds_load_b32 v2, v70 offset:4096
	s_wait_dscnt 0x0
	v_lshrrev_b32_e32 v2, s31, v2
	s_delay_alu instid0(VALU_DEP_1)
	v_and_b32_e32 v127, s48, v2
	s_wait_alu 0xfffe
	s_or_b32 exec_lo, exec_lo, s30
	s_and_saveexec_b32 s30, s18
	s_cbranch_execz .LBB503_212
.LBB503_278:                            ;   in Loop: Header=BB503_96 Depth=2
	ds_load_b32 v2, v70 offset:5120
	s_wait_dscnt 0x0
	v_lshrrev_b32_e32 v2, s31, v2
	s_delay_alu instid0(VALU_DEP_1)
	v_and_b32_e32 v126, s48, v2
	s_wait_alu 0xfffe
	s_or_b32 exec_lo, exec_lo, s30
	s_and_saveexec_b32 s30, s19
	s_cbranch_execz .LBB503_213
.LBB503_279:                            ;   in Loop: Header=BB503_96 Depth=2
	ds_load_b32 v2, v70 offset:6144
	s_wait_dscnt 0x0
	v_lshrrev_b32_e32 v2, s31, v2
	s_delay_alu instid0(VALU_DEP_1)
	v_and_b32_e32 v125, s48, v2
	s_wait_alu 0xfffe
	s_or_b32 exec_lo, exec_lo, s30
	s_and_saveexec_b32 s30, s20
	s_cbranch_execz .LBB503_214
.LBB503_280:                            ;   in Loop: Header=BB503_96 Depth=2
	ds_load_b32 v2, v70 offset:7168
	s_wait_dscnt 0x0
	v_lshrrev_b32_e32 v2, s31, v2
	s_delay_alu instid0(VALU_DEP_1)
	v_and_b32_e32 v124, s48, v2
	s_wait_alu 0xfffe
	s_or_b32 exec_lo, exec_lo, s30
	s_and_saveexec_b32 s30, s21
	s_cbranch_execz .LBB503_215
.LBB503_281:                            ;   in Loop: Header=BB503_96 Depth=2
	ds_load_b32 v2, v70 offset:8192
	s_wait_dscnt 0x0
	v_lshrrev_b32_e32 v2, s31, v2
	s_delay_alu instid0(VALU_DEP_1)
	v_and_b32_e32 v123, s48, v2
	s_wait_alu 0xfffe
	s_or_b32 exec_lo, exec_lo, s30
	s_and_saveexec_b32 s30, s22
	s_cbranch_execz .LBB503_216
.LBB503_282:                            ;   in Loop: Header=BB503_96 Depth=2
	ds_load_b32 v2, v70 offset:9216
	s_wait_dscnt 0x0
	v_lshrrev_b32_e32 v2, s31, v2
	s_delay_alu instid0(VALU_DEP_1)
	v_and_b32_e32 v122, s48, v2
	s_wait_alu 0xfffe
	s_or_b32 exec_lo, exec_lo, s30
	s_and_saveexec_b32 s30, s23
	s_cbranch_execz .LBB503_217
.LBB503_283:                            ;   in Loop: Header=BB503_96 Depth=2
	ds_load_b32 v2, v70 offset:10240
	s_wait_dscnt 0x0
	v_lshrrev_b32_e32 v2, s31, v2
	s_delay_alu instid0(VALU_DEP_1)
	v_and_b32_e32 v121, s48, v2
	s_wait_alu 0xfffe
	s_or_b32 exec_lo, exec_lo, s30
	s_and_saveexec_b32 s30, s24
	s_cbranch_execz .LBB503_218
.LBB503_284:                            ;   in Loop: Header=BB503_96 Depth=2
	ds_load_b32 v2, v70 offset:11264
	s_wait_dscnt 0x0
	v_lshrrev_b32_e32 v2, s31, v2
	s_delay_alu instid0(VALU_DEP_1)
	v_and_b32_e32 v120, s48, v2
	s_wait_alu 0xfffe
	s_or_b32 exec_lo, exec_lo, s30
	s_and_saveexec_b32 s30, s25
	s_cbranch_execz .LBB503_219
.LBB503_285:                            ;   in Loop: Header=BB503_96 Depth=2
	ds_load_b32 v2, v70 offset:12288
	s_wait_dscnt 0x0
	v_lshrrev_b32_e32 v2, s31, v2
	s_delay_alu instid0(VALU_DEP_1)
	v_and_b32_e32 v119, s48, v2
	s_wait_alu 0xfffe
	s_or_b32 exec_lo, exec_lo, s30
	s_and_saveexec_b32 s30, s26
	s_cbranch_execz .LBB503_220
.LBB503_286:                            ;   in Loop: Header=BB503_96 Depth=2
	ds_load_b32 v2, v70 offset:13312
	s_wait_dscnt 0x0
	v_lshrrev_b32_e32 v2, s31, v2
	s_delay_alu instid0(VALU_DEP_1)
	v_and_b32_e32 v118, s48, v2
	s_wait_alu 0xfffe
	s_or_b32 exec_lo, exec_lo, s30
	s_and_saveexec_b32 s30, s27
	s_cbranch_execz .LBB503_221
.LBB503_287:                            ;   in Loop: Header=BB503_96 Depth=2
	ds_load_b32 v2, v70 offset:14336
	s_wait_dscnt 0x0
	v_lshrrev_b32_e32 v2, s31, v2
	s_delay_alu instid0(VALU_DEP_1)
	v_and_b32_e32 v117, s48, v2
	s_wait_alu 0xfffe
	s_or_b32 exec_lo, exec_lo, s30
	s_and_saveexec_b32 s30, s28
	s_cbranch_execz .LBB503_222
.LBB503_288:                            ;   in Loop: Header=BB503_96 Depth=2
	ds_load_b32 v2, v70 offset:15360
	s_wait_dscnt 0x0
	v_lshrrev_b32_e32 v2, s31, v2
	s_delay_alu instid0(VALU_DEP_1)
	v_and_b32_e32 v116, s48, v2
	s_wait_alu 0xfffe
	s_or_b32 exec_lo, exec_lo, s30
	s_and_saveexec_b32 s30, s29
	s_cbranch_execnz .LBB503_223
	s_branch .LBB503_224
.LBB503_289:                            ;   in Loop: Header=BB503_96 Depth=2
	v_lshlrev_b32_e32 v2, 2, v130
	v_add_nc_u32_e32 v36, v70, v44
	ds_load_b32 v2, v2
	ds_load_b64 v[36:37], v36 offset:1024
	s_wait_dscnt 0x1
	v_add_nc_u32_e32 v2, v2, v1
	s_delay_alu instid0(VALU_DEP_1) | instskip(NEXT) | instid1(VALU_DEP_1)
	v_lshlrev_b64_e32 v[39:40], 3, v[2:3]
	v_add_co_u32 v39, vcc_lo, s44, v39
	s_wait_alu 0xfffd
	s_delay_alu instid0(VALU_DEP_2)
	v_add_co_ci_u32_e64 v40, null, s45, v40, vcc_lo
	s_wait_dscnt 0x0
	global_store_b64 v[39:40], v[36:37], off
	s_wait_alu 0xfffe
	s_or_b32 exec_lo, exec_lo, s30
	s_and_saveexec_b32 s30, s15
	s_cbranch_execz .LBB503_226
.LBB503_290:                            ;   in Loop: Header=BB503_96 Depth=2
	v_lshlrev_b32_e32 v2, 2, v129
	v_add_nc_u32_e32 v36, v70, v44
	ds_load_b32 v2, v2
	ds_load_b64 v[36:37], v36 offset:3072
	s_wait_dscnt 0x1
	v_add_nc_u32_e32 v2, v2, v45
	s_delay_alu instid0(VALU_DEP_1) | instskip(NEXT) | instid1(VALU_DEP_1)
	v_lshlrev_b64_e32 v[39:40], 3, v[2:3]
	v_add_co_u32 v39, vcc_lo, s44, v39
	s_wait_alu 0xfffd
	s_delay_alu instid0(VALU_DEP_2)
	v_add_co_ci_u32_e64 v40, null, s45, v40, vcc_lo
	s_wait_dscnt 0x0
	global_store_b64 v[39:40], v[36:37], off
	s_wait_alu 0xfffe
	s_or_b32 exec_lo, exec_lo, s30
	s_and_saveexec_b32 s15, s16
	s_cbranch_execz .LBB503_227
.LBB503_291:                            ;   in Loop: Header=BB503_96 Depth=2
	v_lshlrev_b32_e32 v2, 2, v128
	v_add_nc_u32_e32 v36, v70, v44
	ds_load_b32 v2, v2
	ds_load_b64 v[36:37], v36 offset:5120
	s_wait_dscnt 0x1
	v_add_nc_u32_e32 v2, v2, v46
	s_delay_alu instid0(VALU_DEP_1) | instskip(NEXT) | instid1(VALU_DEP_1)
	v_lshlrev_b64_e32 v[39:40], 3, v[2:3]
	v_add_co_u32 v39, vcc_lo, s44, v39
	s_wait_alu 0xfffd
	s_delay_alu instid0(VALU_DEP_2)
	v_add_co_ci_u32_e64 v40, null, s45, v40, vcc_lo
	s_wait_dscnt 0x0
	global_store_b64 v[39:40], v[36:37], off
	s_wait_alu 0xfffe
	s_or_b32 exec_lo, exec_lo, s15
	s_and_saveexec_b32 s15, s17
	s_cbranch_execz .LBB503_228
.LBB503_292:                            ;   in Loop: Header=BB503_96 Depth=2
	v_lshlrev_b32_e32 v2, 2, v127
	v_add_nc_u32_e32 v36, v70, v44
	ds_load_b32 v2, v2
	ds_load_b64 v[36:37], v36 offset:7168
	s_wait_dscnt 0x1
	v_add_nc_u32_e32 v2, v2, v47
	s_delay_alu instid0(VALU_DEP_1) | instskip(NEXT) | instid1(VALU_DEP_1)
	v_lshlrev_b64_e32 v[39:40], 3, v[2:3]
	v_add_co_u32 v39, vcc_lo, s44, v39
	s_wait_alu 0xfffd
	s_delay_alu instid0(VALU_DEP_2)
	v_add_co_ci_u32_e64 v40, null, s45, v40, vcc_lo
	s_wait_dscnt 0x0
	global_store_b64 v[39:40], v[36:37], off
	s_wait_alu 0xfffe
	s_or_b32 exec_lo, exec_lo, s15
	s_and_saveexec_b32 s15, s18
	s_cbranch_execz .LBB503_229
.LBB503_293:                            ;   in Loop: Header=BB503_96 Depth=2
	v_lshlrev_b32_e32 v2, 2, v126
	v_add_nc_u32_e32 v36, v70, v44
	ds_load_b32 v2, v2
	ds_load_b64 v[36:37], v36 offset:9216
	s_wait_dscnt 0x1
	v_add_nc_u32_e32 v2, v2, v50
	s_delay_alu instid0(VALU_DEP_1) | instskip(NEXT) | instid1(VALU_DEP_1)
	v_lshlrev_b64_e32 v[39:40], 3, v[2:3]
	v_add_co_u32 v39, vcc_lo, s44, v39
	s_wait_alu 0xfffd
	s_delay_alu instid0(VALU_DEP_2)
	v_add_co_ci_u32_e64 v40, null, s45, v40, vcc_lo
	s_wait_dscnt 0x0
	global_store_b64 v[39:40], v[36:37], off
	s_wait_alu 0xfffe
	s_or_b32 exec_lo, exec_lo, s15
	s_and_saveexec_b32 s15, s19
	s_cbranch_execz .LBB503_230
.LBB503_294:                            ;   in Loop: Header=BB503_96 Depth=2
	v_lshlrev_b32_e32 v2, 2, v125
	v_add_nc_u32_e32 v36, v70, v44
	ds_load_b32 v2, v2
	ds_load_b64 v[36:37], v36 offset:11264
	s_wait_dscnt 0x1
	v_add_nc_u32_e32 v2, v2, v51
	s_delay_alu instid0(VALU_DEP_1) | instskip(NEXT) | instid1(VALU_DEP_1)
	v_lshlrev_b64_e32 v[39:40], 3, v[2:3]
	v_add_co_u32 v39, vcc_lo, s44, v39
	s_wait_alu 0xfffd
	s_delay_alu instid0(VALU_DEP_2)
	v_add_co_ci_u32_e64 v40, null, s45, v40, vcc_lo
	s_wait_dscnt 0x0
	global_store_b64 v[39:40], v[36:37], off
	s_wait_alu 0xfffe
	s_or_b32 exec_lo, exec_lo, s15
	s_and_saveexec_b32 s15, s20
	s_cbranch_execz .LBB503_231
.LBB503_295:                            ;   in Loop: Header=BB503_96 Depth=2
	v_lshlrev_b32_e32 v2, 2, v124
	v_add_nc_u32_e32 v36, v70, v44
	ds_load_b32 v2, v2
	ds_load_b64 v[36:37], v36 offset:13312
	s_wait_dscnt 0x1
	v_add_nc_u32_e32 v2, v2, v52
	s_delay_alu instid0(VALU_DEP_1) | instskip(NEXT) | instid1(VALU_DEP_1)
	v_lshlrev_b64_e32 v[39:40], 3, v[2:3]
	v_add_co_u32 v39, vcc_lo, s44, v39
	s_wait_alu 0xfffd
	s_delay_alu instid0(VALU_DEP_2)
	v_add_co_ci_u32_e64 v40, null, s45, v40, vcc_lo
	s_wait_dscnt 0x0
	global_store_b64 v[39:40], v[36:37], off
	s_wait_alu 0xfffe
	s_or_b32 exec_lo, exec_lo, s15
	s_and_saveexec_b32 s15, s21
	s_cbranch_execz .LBB503_232
.LBB503_296:                            ;   in Loop: Header=BB503_96 Depth=2
	v_lshlrev_b32_e32 v2, 2, v123
	v_add_nc_u32_e32 v36, v70, v44
	ds_load_b32 v2, v2
	ds_load_b64 v[36:37], v36 offset:15360
	s_wait_dscnt 0x1
	v_add_nc_u32_e32 v2, v2, v53
	s_delay_alu instid0(VALU_DEP_1) | instskip(NEXT) | instid1(VALU_DEP_1)
	v_lshlrev_b64_e32 v[39:40], 3, v[2:3]
	v_add_co_u32 v39, vcc_lo, s44, v39
	s_wait_alu 0xfffd
	s_delay_alu instid0(VALU_DEP_2)
	v_add_co_ci_u32_e64 v40, null, s45, v40, vcc_lo
	s_wait_dscnt 0x0
	global_store_b64 v[39:40], v[36:37], off
	s_wait_alu 0xfffe
	s_or_b32 exec_lo, exec_lo, s15
	s_and_saveexec_b32 s15, s22
	s_cbranch_execz .LBB503_233
.LBB503_297:                            ;   in Loop: Header=BB503_96 Depth=2
	v_lshlrev_b32_e32 v2, 2, v122
	v_add_nc_u32_e32 v36, v70, v44
	ds_load_b32 v2, v2
	ds_load_b64 v[36:37], v36 offset:17408
	s_wait_dscnt 0x1
	v_add_nc_u32_e32 v2, v2, v54
	s_delay_alu instid0(VALU_DEP_1) | instskip(NEXT) | instid1(VALU_DEP_1)
	v_lshlrev_b64_e32 v[39:40], 3, v[2:3]
	v_add_co_u32 v39, vcc_lo, s44, v39
	s_wait_alu 0xfffd
	s_delay_alu instid0(VALU_DEP_2)
	v_add_co_ci_u32_e64 v40, null, s45, v40, vcc_lo
	s_wait_dscnt 0x0
	global_store_b64 v[39:40], v[36:37], off
	s_wait_alu 0xfffe
	s_or_b32 exec_lo, exec_lo, s15
	s_and_saveexec_b32 s15, s23
	s_cbranch_execz .LBB503_234
.LBB503_298:                            ;   in Loop: Header=BB503_96 Depth=2
	v_lshlrev_b32_e32 v2, 2, v121
	v_add_nc_u32_e32 v36, v70, v44
	ds_load_b32 v2, v2
	ds_load_b64 v[36:37], v36 offset:19456
	s_wait_dscnt 0x1
	v_add_nc_u32_e32 v2, v2, v55
	s_delay_alu instid0(VALU_DEP_1) | instskip(NEXT) | instid1(VALU_DEP_1)
	v_lshlrev_b64_e32 v[39:40], 3, v[2:3]
	v_add_co_u32 v39, vcc_lo, s44, v39
	s_wait_alu 0xfffd
	s_delay_alu instid0(VALU_DEP_2)
	v_add_co_ci_u32_e64 v40, null, s45, v40, vcc_lo
	s_wait_dscnt 0x0
	global_store_b64 v[39:40], v[36:37], off
	s_wait_alu 0xfffe
	s_or_b32 exec_lo, exec_lo, s15
	s_and_saveexec_b32 s15, s24
	s_cbranch_execz .LBB503_235
.LBB503_299:                            ;   in Loop: Header=BB503_96 Depth=2
	v_lshlrev_b32_e32 v2, 2, v120
	v_add_nc_u32_e32 v36, v70, v44
	ds_load_b32 v2, v2
	ds_load_b64 v[36:37], v36 offset:21504
	s_wait_dscnt 0x1
	v_add_nc_u32_e32 v2, v2, v56
	s_delay_alu instid0(VALU_DEP_1) | instskip(NEXT) | instid1(VALU_DEP_1)
	v_lshlrev_b64_e32 v[39:40], 3, v[2:3]
	v_add_co_u32 v39, vcc_lo, s44, v39
	s_wait_alu 0xfffd
	s_delay_alu instid0(VALU_DEP_2)
	v_add_co_ci_u32_e64 v40, null, s45, v40, vcc_lo
	s_wait_dscnt 0x0
	global_store_b64 v[39:40], v[36:37], off
	s_wait_alu 0xfffe
	s_or_b32 exec_lo, exec_lo, s15
	s_and_saveexec_b32 s15, s25
	s_cbranch_execz .LBB503_236
.LBB503_300:                            ;   in Loop: Header=BB503_96 Depth=2
	v_lshlrev_b32_e32 v2, 2, v119
	v_add_nc_u32_e32 v36, v70, v44
	ds_load_b32 v2, v2
	ds_load_b64 v[36:37], v36 offset:23552
	s_wait_dscnt 0x1
	v_add_nc_u32_e32 v2, v2, v57
	s_delay_alu instid0(VALU_DEP_1) | instskip(NEXT) | instid1(VALU_DEP_1)
	v_lshlrev_b64_e32 v[39:40], 3, v[2:3]
	v_add_co_u32 v39, vcc_lo, s44, v39
	s_wait_alu 0xfffd
	s_delay_alu instid0(VALU_DEP_2)
	v_add_co_ci_u32_e64 v40, null, s45, v40, vcc_lo
	s_wait_dscnt 0x0
	global_store_b64 v[39:40], v[36:37], off
	s_wait_alu 0xfffe
	s_or_b32 exec_lo, exec_lo, s15
	s_and_saveexec_b32 s15, s26
	s_cbranch_execz .LBB503_237
.LBB503_301:                            ;   in Loop: Header=BB503_96 Depth=2
	v_lshlrev_b32_e32 v2, 2, v118
	v_add_nc_u32_e32 v36, v70, v44
	ds_load_b32 v2, v2
	ds_load_b64 v[36:37], v36 offset:25600
	s_wait_dscnt 0x1
	v_add_nc_u32_e32 v2, v2, v58
	s_delay_alu instid0(VALU_DEP_1) | instskip(NEXT) | instid1(VALU_DEP_1)
	v_lshlrev_b64_e32 v[39:40], 3, v[2:3]
	v_add_co_u32 v39, vcc_lo, s44, v39
	s_wait_alu 0xfffd
	s_delay_alu instid0(VALU_DEP_2)
	v_add_co_ci_u32_e64 v40, null, s45, v40, vcc_lo
	s_wait_dscnt 0x0
	global_store_b64 v[39:40], v[36:37], off
	s_wait_alu 0xfffe
	s_or_b32 exec_lo, exec_lo, s15
	s_and_saveexec_b32 s15, s27
	s_cbranch_execz .LBB503_238
.LBB503_302:                            ;   in Loop: Header=BB503_96 Depth=2
	v_lshlrev_b32_e32 v2, 2, v117
	v_add_nc_u32_e32 v36, v70, v44
	ds_load_b32 v2, v2
	ds_load_b64 v[36:37], v36 offset:27648
	s_wait_dscnt 0x1
	v_add_nc_u32_e32 v2, v2, v59
	s_delay_alu instid0(VALU_DEP_1) | instskip(NEXT) | instid1(VALU_DEP_1)
	v_lshlrev_b64_e32 v[39:40], 3, v[2:3]
	v_add_co_u32 v39, vcc_lo, s44, v39
	s_wait_alu 0xfffd
	s_delay_alu instid0(VALU_DEP_2)
	v_add_co_ci_u32_e64 v40, null, s45, v40, vcc_lo
	s_wait_dscnt 0x0
	global_store_b64 v[39:40], v[36:37], off
	s_wait_alu 0xfffe
	s_or_b32 exec_lo, exec_lo, s15
	s_and_saveexec_b32 s15, s28
	s_cbranch_execz .LBB503_239
.LBB503_303:                            ;   in Loop: Header=BB503_96 Depth=2
	v_lshlrev_b32_e32 v2, 2, v116
	v_add_nc_u32_e32 v36, v70, v44
	ds_load_b32 v2, v2
	ds_load_b64 v[36:37], v36 offset:29696
	s_wait_dscnt 0x1
	v_add_nc_u32_e32 v2, v2, v60
	s_delay_alu instid0(VALU_DEP_1) | instskip(NEXT) | instid1(VALU_DEP_1)
	v_lshlrev_b64_e32 v[39:40], 3, v[2:3]
	v_add_co_u32 v39, vcc_lo, s44, v39
	s_wait_alu 0xfffd
	s_delay_alu instid0(VALU_DEP_2)
	v_add_co_ci_u32_e64 v40, null, s45, v40, vcc_lo
	s_wait_dscnt 0x0
	global_store_b64 v[39:40], v[36:37], off
	s_wait_alu 0xfffe
	s_or_b32 exec_lo, exec_lo, s15
	s_and_saveexec_b32 s15, s29
	s_cbranch_execnz .LBB503_240
	s_branch .LBB503_241
.LBB503_304:                            ;   in Loop: Header=BB503_12 Depth=1
	s_wait_loadcnt_dscnt 0x0
	s_barrier_signal -1
	s_mov_b32 s0, 0
	s_barrier_wait -1
.LBB503_305:                            ;   in Loop: Header=BB503_12 Depth=1
	s_wait_alu 0xfffe
	s_and_b32 vcc_lo, exec_lo, s0
	s_wait_alu 0xfffe
	s_cbranch_vccz .LBB503_597
; %bb.306:                              ;   in Loop: Header=BB503_12 Depth=1
	s_mov_b32 s9, s53
	s_mov_b32 s42, s33
	s_barrier_signal -1
	s_barrier_wait -1
	global_inv scope:SCOPE_SE
                                        ; implicit-def: $vgpr2
                                        ; implicit-def: $vgpr4
                                        ; implicit-def: $vgpr5
                                        ; implicit-def: $vgpr6
                                        ; implicit-def: $vgpr7
                                        ; implicit-def: $vgpr8
                                        ; implicit-def: $vgpr9
                                        ; implicit-def: $vgpr10
                                        ; implicit-def: $vgpr11
                                        ; implicit-def: $vgpr12
                                        ; implicit-def: $vgpr13
                                        ; implicit-def: $vgpr14
                                        ; implicit-def: $vgpr15
                                        ; implicit-def: $vgpr16
                                        ; implicit-def: $vgpr17
                                        ; implicit-def: $vgpr18
	s_branch .LBB503_308
.LBB503_307:                            ;   in Loop: Header=BB503_308 Depth=2
	s_wait_alu 0xfffe
	s_or_b32 exec_lo, exec_lo, s0
	s_addk_co_i32 s9, 0xf000
	s_cmp_ge_u32 s10, s51
	s_mov_b32 s42, s10
	s_cbranch_scc1 .LBB503_376
.LBB503_308:                            ;   Parent Loop BB503_12 Depth=1
                                        ; =>  This Inner Loop Header: Depth=2
	s_wait_alu 0xfffe
	s_add_co_i32 s10, s42, 0x1000
	s_mov_b32 s0, -1
	s_wait_alu 0xfffe
	s_cmp_gt_u32 s10, s51
                                        ; implicit-def: $vgpr19
                                        ; implicit-def: $vgpr20
                                        ; implicit-def: $vgpr21
                                        ; implicit-def: $vgpr22
                                        ; implicit-def: $vgpr23
                                        ; implicit-def: $vgpr24
                                        ; implicit-def: $vgpr25
                                        ; implicit-def: $vgpr26
                                        ; implicit-def: $vgpr27
                                        ; implicit-def: $vgpr28
                                        ; implicit-def: $vgpr29
                                        ; implicit-def: $vgpr30
                                        ; implicit-def: $vgpr31
                                        ; implicit-def: $vgpr32
                                        ; implicit-def: $vgpr33
                                        ; implicit-def: $vgpr34
	s_cbranch_scc1 .LBB503_310
; %bb.309:                              ;   in Loop: Header=BB503_308 Depth=2
	s_lshl_b64 s[0:1], s[42:43], 2
	s_wait_alu 0xfffe
	v_add_co_u32 v34, vcc_lo, v71, s0
	s_wait_alu 0xfffd
	v_add_co_ci_u32_e64 v35, null, s1, v72, vcc_lo
	s_mov_b32 s0, 0
	s_clause 0xf
	global_load_b32 v19, v[34:35], off
	global_load_b32 v20, v[34:35], off offset:1024
	global_load_b32 v21, v[34:35], off offset:2048
	;; [unrolled: 1-line block ×15, first 2 shown]
.LBB503_310:                            ;   in Loop: Header=BB503_308 Depth=2
	s_wait_alu 0xfffe
	s_and_not1_b32 vcc_lo, exec_lo, s0
	s_movk_i32 s0, 0x1000
	s_wait_alu 0xfffe
	s_cbranch_vccnz .LBB503_329
; %bb.311:                              ;   in Loop: Header=BB503_308 Depth=2
	s_lshl_b64 s[0:1], s[42:43], 2
	s_mov_b32 s11, exec_lo
	s_wait_alu 0xfffe
	s_add_nc_u64 s[0:1], s[38:39], s[0:1]
	v_cmpx_gt_u32_e64 s9, v1
	s_cbranch_execnz .LBB503_361
; %bb.312:                              ;   in Loop: Header=BB503_308 Depth=2
	s_or_b32 exec_lo, exec_lo, s11
	s_delay_alu instid0(SALU_CYCLE_1)
	s_mov_b32 s11, exec_lo
	v_cmpx_gt_u32_e64 s9, v45
	s_cbranch_execnz .LBB503_362
.LBB503_313:                            ;   in Loop: Header=BB503_308 Depth=2
	s_wait_alu 0xfffe
	s_or_b32 exec_lo, exec_lo, s11
	s_delay_alu instid0(SALU_CYCLE_1)
	s_mov_b32 s11, exec_lo
	v_cmpx_gt_u32_e64 s9, v46
	s_cbranch_execnz .LBB503_363
.LBB503_314:                            ;   in Loop: Header=BB503_308 Depth=2
	s_wait_alu 0xfffe
	s_or_b32 exec_lo, exec_lo, s11
	s_delay_alu instid0(SALU_CYCLE_1)
	s_mov_b32 s11, exec_lo
	v_cmpx_gt_u32_e64 s9, v47
	s_cbranch_execnz .LBB503_364
.LBB503_315:                            ;   in Loop: Header=BB503_308 Depth=2
	s_wait_alu 0xfffe
	s_or_b32 exec_lo, exec_lo, s11
	s_delay_alu instid0(SALU_CYCLE_1)
	s_mov_b32 s11, exec_lo
	v_cmpx_gt_u32_e64 s9, v50
	s_cbranch_execnz .LBB503_365
.LBB503_316:                            ;   in Loop: Header=BB503_308 Depth=2
	s_wait_alu 0xfffe
	s_or_b32 exec_lo, exec_lo, s11
	s_delay_alu instid0(SALU_CYCLE_1)
	s_mov_b32 s11, exec_lo
	v_cmpx_gt_u32_e64 s9, v51
	s_cbranch_execnz .LBB503_366
.LBB503_317:                            ;   in Loop: Header=BB503_308 Depth=2
	s_wait_alu 0xfffe
	s_or_b32 exec_lo, exec_lo, s11
	s_delay_alu instid0(SALU_CYCLE_1)
	s_mov_b32 s11, exec_lo
	v_cmpx_gt_u32_e64 s9, v52
	s_cbranch_execnz .LBB503_367
.LBB503_318:                            ;   in Loop: Header=BB503_308 Depth=2
	s_wait_alu 0xfffe
	s_or_b32 exec_lo, exec_lo, s11
	s_delay_alu instid0(SALU_CYCLE_1)
	s_mov_b32 s11, exec_lo
	v_cmpx_gt_u32_e64 s9, v53
	s_cbranch_execnz .LBB503_368
.LBB503_319:                            ;   in Loop: Header=BB503_308 Depth=2
	s_wait_alu 0xfffe
	s_or_b32 exec_lo, exec_lo, s11
	s_delay_alu instid0(SALU_CYCLE_1)
	s_mov_b32 s11, exec_lo
	v_cmpx_gt_u32_e64 s9, v54
	s_cbranch_execnz .LBB503_369
.LBB503_320:                            ;   in Loop: Header=BB503_308 Depth=2
	s_wait_alu 0xfffe
	s_or_b32 exec_lo, exec_lo, s11
	s_delay_alu instid0(SALU_CYCLE_1)
	s_mov_b32 s11, exec_lo
	v_cmpx_gt_u32_e64 s9, v55
	s_cbranch_execnz .LBB503_370
.LBB503_321:                            ;   in Loop: Header=BB503_308 Depth=2
	s_wait_alu 0xfffe
	s_or_b32 exec_lo, exec_lo, s11
	s_delay_alu instid0(SALU_CYCLE_1)
	s_mov_b32 s11, exec_lo
	v_cmpx_gt_u32_e64 s9, v56
	s_cbranch_execnz .LBB503_371
.LBB503_322:                            ;   in Loop: Header=BB503_308 Depth=2
	s_wait_alu 0xfffe
	s_or_b32 exec_lo, exec_lo, s11
	s_delay_alu instid0(SALU_CYCLE_1)
	s_mov_b32 s11, exec_lo
	v_cmpx_gt_u32_e64 s9, v57
	s_cbranch_execnz .LBB503_372
.LBB503_323:                            ;   in Loop: Header=BB503_308 Depth=2
	s_wait_alu 0xfffe
	s_or_b32 exec_lo, exec_lo, s11
	s_delay_alu instid0(SALU_CYCLE_1)
	s_mov_b32 s11, exec_lo
	v_cmpx_gt_u32_e64 s9, v58
	s_cbranch_execnz .LBB503_373
.LBB503_324:                            ;   in Loop: Header=BB503_308 Depth=2
	s_wait_alu 0xfffe
	s_or_b32 exec_lo, exec_lo, s11
	s_delay_alu instid0(SALU_CYCLE_1)
	s_mov_b32 s11, exec_lo
	v_cmpx_gt_u32_e64 s9, v59
	s_cbranch_execnz .LBB503_374
.LBB503_325:                            ;   in Loop: Header=BB503_308 Depth=2
	s_wait_alu 0xfffe
	s_or_b32 exec_lo, exec_lo, s11
	s_delay_alu instid0(SALU_CYCLE_1)
	s_mov_b32 s11, exec_lo
	v_cmpx_gt_u32_e64 s9, v60
	s_cbranch_execnz .LBB503_375
.LBB503_326:                            ;   in Loop: Header=BB503_308 Depth=2
	s_wait_alu 0xfffe
	s_or_b32 exec_lo, exec_lo, s11
	s_delay_alu instid0(SALU_CYCLE_1)
	s_mov_b32 s11, exec_lo
	v_cmpx_gt_u32_e64 s9, v61
	s_cbranch_execz .LBB503_328
.LBB503_327:                            ;   in Loop: Header=BB503_308 Depth=2
	global_load_b32 v2, v108, s[0:1] offset:15360
.LBB503_328:                            ;   in Loop: Header=BB503_308 Depth=2
	s_wait_alu 0xfffe
	s_or_b32 exec_lo, exec_lo, s11
	s_wait_loadcnt 0x0
	v_dual_mov_b32 v19, v18 :: v_dual_mov_b32 v20, v17
	v_dual_mov_b32 v21, v16 :: v_dual_mov_b32 v22, v15
	;; [unrolled: 1-line block ×8, first 2 shown]
	s_mov_b32 s0, s9
.LBB503_329:                            ;   in Loop: Header=BB503_308 Depth=2
	s_wait_loadcnt 0x0
	s_delay_alu instid0(VALU_DEP_1) | instskip(NEXT) | instid1(VALU_DEP_2)
	v_dual_mov_b32 v2, v34 :: v_dual_mov_b32 v5, v32
	v_dual_mov_b32 v4, v33 :: v_dual_mov_b32 v7, v30
	;; [unrolled: 1-line block ×7, first 2 shown]
	v_mov_b32_e32 v16, v21
	v_mov_b32_e32 v18, v19
	s_mov_b32 s1, exec_lo
	s_wait_alu 0xfffe
	v_cmpx_gt_u32_e64 s0, v1
	s_cbranch_execnz .LBB503_345
; %bb.330:                              ;   in Loop: Header=BB503_308 Depth=2
	s_or_b32 exec_lo, exec_lo, s1
	s_delay_alu instid0(SALU_CYCLE_1)
	s_mov_b32 s1, exec_lo
	v_cmpx_gt_u32_e64 s0, v45
	s_cbranch_execnz .LBB503_346
.LBB503_331:                            ;   in Loop: Header=BB503_308 Depth=2
	s_wait_alu 0xfffe
	s_or_b32 exec_lo, exec_lo, s1
	s_delay_alu instid0(SALU_CYCLE_1)
	s_mov_b32 s1, exec_lo
	v_cmpx_gt_u32_e64 s0, v46
	s_cbranch_execnz .LBB503_347
.LBB503_332:                            ;   in Loop: Header=BB503_308 Depth=2
	s_wait_alu 0xfffe
	s_or_b32 exec_lo, exec_lo, s1
	s_delay_alu instid0(SALU_CYCLE_1)
	s_mov_b32 s1, exec_lo
	v_cmpx_gt_u32_e64 s0, v47
	s_cbranch_execnz .LBB503_348
.LBB503_333:                            ;   in Loop: Header=BB503_308 Depth=2
	s_wait_alu 0xfffe
	s_or_b32 exec_lo, exec_lo, s1
	s_delay_alu instid0(SALU_CYCLE_1)
	s_mov_b32 s1, exec_lo
	v_cmpx_gt_u32_e64 s0, v50
	s_cbranch_execnz .LBB503_349
.LBB503_334:                            ;   in Loop: Header=BB503_308 Depth=2
	s_wait_alu 0xfffe
	s_or_b32 exec_lo, exec_lo, s1
	s_delay_alu instid0(SALU_CYCLE_1)
	s_mov_b32 s1, exec_lo
	v_cmpx_gt_u32_e64 s0, v51
	s_cbranch_execnz .LBB503_350
.LBB503_335:                            ;   in Loop: Header=BB503_308 Depth=2
	s_wait_alu 0xfffe
	s_or_b32 exec_lo, exec_lo, s1
	s_delay_alu instid0(SALU_CYCLE_1)
	s_mov_b32 s1, exec_lo
	v_cmpx_gt_u32_e64 s0, v52
	s_cbranch_execnz .LBB503_351
.LBB503_336:                            ;   in Loop: Header=BB503_308 Depth=2
	s_wait_alu 0xfffe
	s_or_b32 exec_lo, exec_lo, s1
	s_delay_alu instid0(SALU_CYCLE_1)
	s_mov_b32 s1, exec_lo
	v_cmpx_gt_u32_e64 s0, v53
	s_cbranch_execnz .LBB503_352
.LBB503_337:                            ;   in Loop: Header=BB503_308 Depth=2
	s_wait_alu 0xfffe
	s_or_b32 exec_lo, exec_lo, s1
	s_delay_alu instid0(SALU_CYCLE_1)
	s_mov_b32 s1, exec_lo
	v_cmpx_gt_u32_e64 s0, v54
	s_cbranch_execnz .LBB503_353
.LBB503_338:                            ;   in Loop: Header=BB503_308 Depth=2
	s_wait_alu 0xfffe
	s_or_b32 exec_lo, exec_lo, s1
	s_delay_alu instid0(SALU_CYCLE_1)
	s_mov_b32 s1, exec_lo
	v_cmpx_gt_u32_e64 s0, v55
	s_cbranch_execnz .LBB503_354
.LBB503_339:                            ;   in Loop: Header=BB503_308 Depth=2
	s_wait_alu 0xfffe
	s_or_b32 exec_lo, exec_lo, s1
	s_delay_alu instid0(SALU_CYCLE_1)
	s_mov_b32 s1, exec_lo
	v_cmpx_gt_u32_e64 s0, v56
	s_cbranch_execnz .LBB503_355
.LBB503_340:                            ;   in Loop: Header=BB503_308 Depth=2
	s_wait_alu 0xfffe
	s_or_b32 exec_lo, exec_lo, s1
	s_delay_alu instid0(SALU_CYCLE_1)
	s_mov_b32 s1, exec_lo
	v_cmpx_gt_u32_e64 s0, v57
	s_cbranch_execnz .LBB503_356
.LBB503_341:                            ;   in Loop: Header=BB503_308 Depth=2
	s_wait_alu 0xfffe
	s_or_b32 exec_lo, exec_lo, s1
	s_delay_alu instid0(SALU_CYCLE_1)
	s_mov_b32 s1, exec_lo
	v_cmpx_gt_u32_e64 s0, v58
	s_cbranch_execnz .LBB503_357
.LBB503_342:                            ;   in Loop: Header=BB503_308 Depth=2
	s_wait_alu 0xfffe
	s_or_b32 exec_lo, exec_lo, s1
	s_delay_alu instid0(SALU_CYCLE_1)
	s_mov_b32 s1, exec_lo
	v_cmpx_gt_u32_e64 s0, v59
	s_cbranch_execnz .LBB503_358
.LBB503_343:                            ;   in Loop: Header=BB503_308 Depth=2
	s_wait_alu 0xfffe
	s_or_b32 exec_lo, exec_lo, s1
	s_delay_alu instid0(SALU_CYCLE_1)
	s_mov_b32 s1, exec_lo
	v_cmpx_gt_u32_e64 s0, v60
	s_cbranch_execnz .LBB503_359
.LBB503_344:                            ;   in Loop: Header=BB503_308 Depth=2
	s_wait_alu 0xfffe
	s_or_b32 exec_lo, exec_lo, s1
	v_cmp_gt_u32_e32 vcc_lo, s0, v61
	s_and_saveexec_b32 s0, vcc_lo
	s_cbranch_execz .LBB503_307
	s_branch .LBB503_360
.LBB503_345:                            ;   in Loop: Header=BB503_308 Depth=2
	v_xor_b32_e32 v19, 0x7fffffff, v18
	s_delay_alu instid0(VALU_DEP_1) | instskip(NEXT) | instid1(VALU_DEP_1)
	v_lshrrev_b32_e32 v19, s31, v19
	v_and_b32_e32 v19, s48, v19
	s_delay_alu instid0(VALU_DEP_1) | instskip(SKIP_2) | instid1(SALU_CYCLE_1)
	v_lshl_or_b32 v19, v19, 4, v62
	ds_add_u32 v19, v84
	s_or_b32 exec_lo, exec_lo, s1
	s_mov_b32 s1, exec_lo
	v_cmpx_gt_u32_e64 s0, v45
	s_cbranch_execz .LBB503_331
.LBB503_346:                            ;   in Loop: Header=BB503_308 Depth=2
	v_xor_b32_e32 v19, 0x7fffffff, v17
	s_delay_alu instid0(VALU_DEP_1) | instskip(NEXT) | instid1(VALU_DEP_1)
	v_lshrrev_b32_e32 v19, s31, v19
	v_and_b32_e32 v19, s48, v19
	s_delay_alu instid0(VALU_DEP_1) | instskip(SKIP_3) | instid1(SALU_CYCLE_1)
	v_lshl_or_b32 v19, v19, 4, v62
	ds_add_u32 v19, v84
	s_wait_alu 0xfffe
	s_or_b32 exec_lo, exec_lo, s1
	s_mov_b32 s1, exec_lo
	v_cmpx_gt_u32_e64 s0, v46
	s_cbranch_execz .LBB503_332
.LBB503_347:                            ;   in Loop: Header=BB503_308 Depth=2
	v_xor_b32_e32 v19, 0x7fffffff, v16
	s_delay_alu instid0(VALU_DEP_1) | instskip(NEXT) | instid1(VALU_DEP_1)
	v_lshrrev_b32_e32 v19, s31, v19
	v_and_b32_e32 v19, s48, v19
	s_delay_alu instid0(VALU_DEP_1) | instskip(SKIP_3) | instid1(SALU_CYCLE_1)
	v_lshl_or_b32 v19, v19, 4, v62
	ds_add_u32 v19, v84
	s_wait_alu 0xfffe
	s_or_b32 exec_lo, exec_lo, s1
	s_mov_b32 s1, exec_lo
	v_cmpx_gt_u32_e64 s0, v47
	s_cbranch_execz .LBB503_333
.LBB503_348:                            ;   in Loop: Header=BB503_308 Depth=2
	v_xor_b32_e32 v19, 0x7fffffff, v15
	s_delay_alu instid0(VALU_DEP_1) | instskip(NEXT) | instid1(VALU_DEP_1)
	v_lshrrev_b32_e32 v19, s31, v19
	v_and_b32_e32 v19, s48, v19
	s_delay_alu instid0(VALU_DEP_1) | instskip(SKIP_3) | instid1(SALU_CYCLE_1)
	v_lshl_or_b32 v19, v19, 4, v62
	ds_add_u32 v19, v84
	s_wait_alu 0xfffe
	s_or_b32 exec_lo, exec_lo, s1
	s_mov_b32 s1, exec_lo
	v_cmpx_gt_u32_e64 s0, v50
	s_cbranch_execz .LBB503_334
.LBB503_349:                            ;   in Loop: Header=BB503_308 Depth=2
	v_xor_b32_e32 v19, 0x7fffffff, v14
	s_delay_alu instid0(VALU_DEP_1) | instskip(NEXT) | instid1(VALU_DEP_1)
	v_lshrrev_b32_e32 v19, s31, v19
	v_and_b32_e32 v19, s48, v19
	s_delay_alu instid0(VALU_DEP_1) | instskip(SKIP_3) | instid1(SALU_CYCLE_1)
	v_lshl_or_b32 v19, v19, 4, v62
	ds_add_u32 v19, v84
	s_wait_alu 0xfffe
	s_or_b32 exec_lo, exec_lo, s1
	s_mov_b32 s1, exec_lo
	v_cmpx_gt_u32_e64 s0, v51
	s_cbranch_execz .LBB503_335
.LBB503_350:                            ;   in Loop: Header=BB503_308 Depth=2
	v_xor_b32_e32 v19, 0x7fffffff, v13
	s_delay_alu instid0(VALU_DEP_1) | instskip(NEXT) | instid1(VALU_DEP_1)
	v_lshrrev_b32_e32 v19, s31, v19
	v_and_b32_e32 v19, s48, v19
	s_delay_alu instid0(VALU_DEP_1) | instskip(SKIP_3) | instid1(SALU_CYCLE_1)
	v_lshl_or_b32 v19, v19, 4, v62
	ds_add_u32 v19, v84
	s_wait_alu 0xfffe
	s_or_b32 exec_lo, exec_lo, s1
	s_mov_b32 s1, exec_lo
	v_cmpx_gt_u32_e64 s0, v52
	s_cbranch_execz .LBB503_336
.LBB503_351:                            ;   in Loop: Header=BB503_308 Depth=2
	v_xor_b32_e32 v19, 0x7fffffff, v12
	s_delay_alu instid0(VALU_DEP_1) | instskip(NEXT) | instid1(VALU_DEP_1)
	v_lshrrev_b32_e32 v19, s31, v19
	v_and_b32_e32 v19, s48, v19
	s_delay_alu instid0(VALU_DEP_1) | instskip(SKIP_3) | instid1(SALU_CYCLE_1)
	v_lshl_or_b32 v19, v19, 4, v62
	ds_add_u32 v19, v84
	s_wait_alu 0xfffe
	s_or_b32 exec_lo, exec_lo, s1
	s_mov_b32 s1, exec_lo
	v_cmpx_gt_u32_e64 s0, v53
	s_cbranch_execz .LBB503_337
.LBB503_352:                            ;   in Loop: Header=BB503_308 Depth=2
	v_xor_b32_e32 v19, 0x7fffffff, v11
	s_delay_alu instid0(VALU_DEP_1) | instskip(NEXT) | instid1(VALU_DEP_1)
	v_lshrrev_b32_e32 v19, s31, v19
	v_and_b32_e32 v19, s48, v19
	s_delay_alu instid0(VALU_DEP_1) | instskip(SKIP_3) | instid1(SALU_CYCLE_1)
	v_lshl_or_b32 v19, v19, 4, v62
	ds_add_u32 v19, v84
	s_wait_alu 0xfffe
	s_or_b32 exec_lo, exec_lo, s1
	s_mov_b32 s1, exec_lo
	v_cmpx_gt_u32_e64 s0, v54
	s_cbranch_execz .LBB503_338
.LBB503_353:                            ;   in Loop: Header=BB503_308 Depth=2
	v_xor_b32_e32 v19, 0x7fffffff, v10
	s_delay_alu instid0(VALU_DEP_1) | instskip(NEXT) | instid1(VALU_DEP_1)
	v_lshrrev_b32_e32 v19, s31, v19
	v_and_b32_e32 v19, s48, v19
	s_delay_alu instid0(VALU_DEP_1) | instskip(SKIP_3) | instid1(SALU_CYCLE_1)
	v_lshl_or_b32 v19, v19, 4, v62
	ds_add_u32 v19, v84
	s_wait_alu 0xfffe
	s_or_b32 exec_lo, exec_lo, s1
	s_mov_b32 s1, exec_lo
	v_cmpx_gt_u32_e64 s0, v55
	s_cbranch_execz .LBB503_339
.LBB503_354:                            ;   in Loop: Header=BB503_308 Depth=2
	v_xor_b32_e32 v19, 0x7fffffff, v9
	s_delay_alu instid0(VALU_DEP_1) | instskip(NEXT) | instid1(VALU_DEP_1)
	v_lshrrev_b32_e32 v19, s31, v19
	v_and_b32_e32 v19, s48, v19
	s_delay_alu instid0(VALU_DEP_1) | instskip(SKIP_3) | instid1(SALU_CYCLE_1)
	v_lshl_or_b32 v19, v19, 4, v62
	ds_add_u32 v19, v84
	s_wait_alu 0xfffe
	s_or_b32 exec_lo, exec_lo, s1
	s_mov_b32 s1, exec_lo
	v_cmpx_gt_u32_e64 s0, v56
	s_cbranch_execz .LBB503_340
.LBB503_355:                            ;   in Loop: Header=BB503_308 Depth=2
	v_xor_b32_e32 v19, 0x7fffffff, v8
	s_delay_alu instid0(VALU_DEP_1) | instskip(NEXT) | instid1(VALU_DEP_1)
	v_lshrrev_b32_e32 v19, s31, v19
	v_and_b32_e32 v19, s48, v19
	s_delay_alu instid0(VALU_DEP_1) | instskip(SKIP_3) | instid1(SALU_CYCLE_1)
	v_lshl_or_b32 v19, v19, 4, v62
	ds_add_u32 v19, v84
	s_wait_alu 0xfffe
	s_or_b32 exec_lo, exec_lo, s1
	s_mov_b32 s1, exec_lo
	v_cmpx_gt_u32_e64 s0, v57
	s_cbranch_execz .LBB503_341
.LBB503_356:                            ;   in Loop: Header=BB503_308 Depth=2
	v_xor_b32_e32 v19, 0x7fffffff, v7
	s_delay_alu instid0(VALU_DEP_1) | instskip(NEXT) | instid1(VALU_DEP_1)
	v_lshrrev_b32_e32 v19, s31, v19
	v_and_b32_e32 v19, s48, v19
	s_delay_alu instid0(VALU_DEP_1) | instskip(SKIP_3) | instid1(SALU_CYCLE_1)
	v_lshl_or_b32 v19, v19, 4, v62
	ds_add_u32 v19, v84
	s_wait_alu 0xfffe
	s_or_b32 exec_lo, exec_lo, s1
	s_mov_b32 s1, exec_lo
	v_cmpx_gt_u32_e64 s0, v58
	s_cbranch_execz .LBB503_342
.LBB503_357:                            ;   in Loop: Header=BB503_308 Depth=2
	v_xor_b32_e32 v19, 0x7fffffff, v6
	s_delay_alu instid0(VALU_DEP_1) | instskip(NEXT) | instid1(VALU_DEP_1)
	v_lshrrev_b32_e32 v19, s31, v19
	v_and_b32_e32 v19, s48, v19
	s_delay_alu instid0(VALU_DEP_1) | instskip(SKIP_3) | instid1(SALU_CYCLE_1)
	v_lshl_or_b32 v19, v19, 4, v62
	ds_add_u32 v19, v84
	s_wait_alu 0xfffe
	s_or_b32 exec_lo, exec_lo, s1
	s_mov_b32 s1, exec_lo
	v_cmpx_gt_u32_e64 s0, v59
	s_cbranch_execz .LBB503_343
.LBB503_358:                            ;   in Loop: Header=BB503_308 Depth=2
	v_xor_b32_e32 v19, 0x7fffffff, v5
	s_delay_alu instid0(VALU_DEP_1) | instskip(NEXT) | instid1(VALU_DEP_1)
	v_lshrrev_b32_e32 v19, s31, v19
	v_and_b32_e32 v19, s48, v19
	s_delay_alu instid0(VALU_DEP_1) | instskip(SKIP_3) | instid1(SALU_CYCLE_1)
	v_lshl_or_b32 v19, v19, 4, v62
	ds_add_u32 v19, v84
	s_wait_alu 0xfffe
	s_or_b32 exec_lo, exec_lo, s1
	s_mov_b32 s1, exec_lo
	v_cmpx_gt_u32_e64 s0, v60
	s_cbranch_execz .LBB503_344
.LBB503_359:                            ;   in Loop: Header=BB503_308 Depth=2
	v_xor_b32_e32 v19, 0x7fffffff, v4
	s_delay_alu instid0(VALU_DEP_1) | instskip(NEXT) | instid1(VALU_DEP_1)
	v_lshrrev_b32_e32 v19, s31, v19
	v_and_b32_e32 v19, s48, v19
	s_delay_alu instid0(VALU_DEP_1)
	v_lshl_or_b32 v19, v19, 4, v62
	ds_add_u32 v19, v84
	s_wait_alu 0xfffe
	s_or_b32 exec_lo, exec_lo, s1
	v_cmp_gt_u32_e32 vcc_lo, s0, v61
	s_and_saveexec_b32 s0, vcc_lo
	s_cbranch_execz .LBB503_307
.LBB503_360:                            ;   in Loop: Header=BB503_308 Depth=2
	v_xor_b32_e32 v19, 0x7fffffff, v2
	s_delay_alu instid0(VALU_DEP_1) | instskip(NEXT) | instid1(VALU_DEP_1)
	v_lshrrev_b32_e32 v19, s31, v19
	v_and_b32_e32 v19, s48, v19
	s_delay_alu instid0(VALU_DEP_1)
	v_lshl_or_b32 v19, v19, 4, v62
	ds_add_u32 v19, v84
	s_branch .LBB503_307
.LBB503_361:                            ;   in Loop: Header=BB503_308 Depth=2
	global_load_b32 v18, v108, s[0:1]
	s_or_b32 exec_lo, exec_lo, s11
	s_delay_alu instid0(SALU_CYCLE_1)
	s_mov_b32 s11, exec_lo
	v_cmpx_gt_u32_e64 s9, v45
	s_cbranch_execz .LBB503_313
.LBB503_362:                            ;   in Loop: Header=BB503_308 Depth=2
	global_load_b32 v17, v108, s[0:1] offset:1024
	s_wait_alu 0xfffe
	s_or_b32 exec_lo, exec_lo, s11
	s_delay_alu instid0(SALU_CYCLE_1)
	s_mov_b32 s11, exec_lo
	v_cmpx_gt_u32_e64 s9, v46
	s_cbranch_execz .LBB503_314
.LBB503_363:                            ;   in Loop: Header=BB503_308 Depth=2
	global_load_b32 v16, v108, s[0:1] offset:2048
	s_wait_alu 0xfffe
	s_or_b32 exec_lo, exec_lo, s11
	s_delay_alu instid0(SALU_CYCLE_1)
	s_mov_b32 s11, exec_lo
	v_cmpx_gt_u32_e64 s9, v47
	s_cbranch_execz .LBB503_315
.LBB503_364:                            ;   in Loop: Header=BB503_308 Depth=2
	global_load_b32 v15, v108, s[0:1] offset:3072
	s_wait_alu 0xfffe
	s_or_b32 exec_lo, exec_lo, s11
	s_delay_alu instid0(SALU_CYCLE_1)
	s_mov_b32 s11, exec_lo
	v_cmpx_gt_u32_e64 s9, v50
	s_cbranch_execz .LBB503_316
.LBB503_365:                            ;   in Loop: Header=BB503_308 Depth=2
	global_load_b32 v14, v108, s[0:1] offset:4096
	s_wait_alu 0xfffe
	s_or_b32 exec_lo, exec_lo, s11
	s_delay_alu instid0(SALU_CYCLE_1)
	s_mov_b32 s11, exec_lo
	v_cmpx_gt_u32_e64 s9, v51
	s_cbranch_execz .LBB503_317
.LBB503_366:                            ;   in Loop: Header=BB503_308 Depth=2
	global_load_b32 v13, v108, s[0:1] offset:5120
	s_wait_alu 0xfffe
	s_or_b32 exec_lo, exec_lo, s11
	s_delay_alu instid0(SALU_CYCLE_1)
	s_mov_b32 s11, exec_lo
	v_cmpx_gt_u32_e64 s9, v52
	s_cbranch_execz .LBB503_318
.LBB503_367:                            ;   in Loop: Header=BB503_308 Depth=2
	global_load_b32 v12, v108, s[0:1] offset:6144
	s_wait_alu 0xfffe
	s_or_b32 exec_lo, exec_lo, s11
	s_delay_alu instid0(SALU_CYCLE_1)
	s_mov_b32 s11, exec_lo
	v_cmpx_gt_u32_e64 s9, v53
	s_cbranch_execz .LBB503_319
.LBB503_368:                            ;   in Loop: Header=BB503_308 Depth=2
	global_load_b32 v11, v108, s[0:1] offset:7168
	s_wait_alu 0xfffe
	s_or_b32 exec_lo, exec_lo, s11
	s_delay_alu instid0(SALU_CYCLE_1)
	s_mov_b32 s11, exec_lo
	v_cmpx_gt_u32_e64 s9, v54
	s_cbranch_execz .LBB503_320
.LBB503_369:                            ;   in Loop: Header=BB503_308 Depth=2
	global_load_b32 v10, v108, s[0:1] offset:8192
	s_wait_alu 0xfffe
	s_or_b32 exec_lo, exec_lo, s11
	s_delay_alu instid0(SALU_CYCLE_1)
	s_mov_b32 s11, exec_lo
	v_cmpx_gt_u32_e64 s9, v55
	s_cbranch_execz .LBB503_321
.LBB503_370:                            ;   in Loop: Header=BB503_308 Depth=2
	global_load_b32 v9, v108, s[0:1] offset:9216
	s_wait_alu 0xfffe
	s_or_b32 exec_lo, exec_lo, s11
	s_delay_alu instid0(SALU_CYCLE_1)
	s_mov_b32 s11, exec_lo
	v_cmpx_gt_u32_e64 s9, v56
	s_cbranch_execz .LBB503_322
.LBB503_371:                            ;   in Loop: Header=BB503_308 Depth=2
	global_load_b32 v8, v108, s[0:1] offset:10240
	s_wait_alu 0xfffe
	s_or_b32 exec_lo, exec_lo, s11
	s_delay_alu instid0(SALU_CYCLE_1)
	s_mov_b32 s11, exec_lo
	v_cmpx_gt_u32_e64 s9, v57
	s_cbranch_execz .LBB503_323
.LBB503_372:                            ;   in Loop: Header=BB503_308 Depth=2
	global_load_b32 v7, v108, s[0:1] offset:11264
	s_wait_alu 0xfffe
	s_or_b32 exec_lo, exec_lo, s11
	s_delay_alu instid0(SALU_CYCLE_1)
	s_mov_b32 s11, exec_lo
	v_cmpx_gt_u32_e64 s9, v58
	s_cbranch_execz .LBB503_324
.LBB503_373:                            ;   in Loop: Header=BB503_308 Depth=2
	global_load_b32 v6, v108, s[0:1] offset:12288
	s_wait_alu 0xfffe
	s_or_b32 exec_lo, exec_lo, s11
	s_delay_alu instid0(SALU_CYCLE_1)
	s_mov_b32 s11, exec_lo
	v_cmpx_gt_u32_e64 s9, v59
	s_cbranch_execz .LBB503_325
.LBB503_374:                            ;   in Loop: Header=BB503_308 Depth=2
	global_load_b32 v5, v108, s[0:1] offset:13312
	s_wait_alu 0xfffe
	s_or_b32 exec_lo, exec_lo, s11
	s_delay_alu instid0(SALU_CYCLE_1)
	s_mov_b32 s11, exec_lo
	v_cmpx_gt_u32_e64 s9, v60
	s_cbranch_execz .LBB503_326
.LBB503_375:                            ;   in Loop: Header=BB503_308 Depth=2
	global_load_b32 v4, v108, s[0:1] offset:14336
	s_wait_alu 0xfffe
	s_or_b32 exec_lo, exec_lo, s11
	s_delay_alu instid0(SALU_CYCLE_1)
	s_mov_b32 s11, exec_lo
	v_cmpx_gt_u32_e64 s9, v61
	s_cbranch_execnz .LBB503_327
	s_branch .LBB503_328
.LBB503_376:                            ;   in Loop: Header=BB503_12 Depth=1
	v_mov_b32_e32 v2, 0
	s_wait_dscnt 0x0
	s_barrier_signal -1
	s_barrier_wait -1
	global_inv scope:SCOPE_SE
	s_and_saveexec_b32 s0, s2
	s_cbranch_execz .LBB503_378
; %bb.377:                              ;   in Loop: Header=BB503_12 Depth=1
	ds_load_2addr_b64 v[4:7], v64 offset1:1
	s_wait_dscnt 0x0
	v_add_nc_u32_e32 v2, v5, v4
	s_delay_alu instid0(VALU_DEP_1)
	v_add3_u32 v2, v2, v6, v7
.LBB503_378:                            ;   in Loop: Header=BB503_12 Depth=1
	s_wait_alu 0xfffe
	s_or_b32 exec_lo, exec_lo, s0
	s_delay_alu instid0(VALU_DEP_1)
	v_mov_b32_dpp v4, v2 row_shr:1 row_mask:0xf bank_mask:0xf
	v_cmp_eq_u32_e64 s0, 0, v85
	v_cmp_lt_u32_e64 s1, 1, v85
	v_cmp_lt_u32_e64 s9, 3, v85
	;; [unrolled: 1-line block ×3, first 2 shown]
	v_cmp_eq_u32_e64 s11, 0, v87
	s_wait_alu 0xf1ff
	v_cndmask_b32_e64 v4, v4, 0, s0
	s_delay_alu instid0(VALU_DEP_1) | instskip(NEXT) | instid1(VALU_DEP_1)
	v_add_nc_u32_e32 v2, v4, v2
	v_mov_b32_dpp v4, v2 row_shr:2 row_mask:0xf bank_mask:0xf
	s_delay_alu instid0(VALU_DEP_1) | instskip(NEXT) | instid1(VALU_DEP_1)
	v_cndmask_b32_e64 v4, 0, v4, s1
	v_add_nc_u32_e32 v2, v2, v4
	s_delay_alu instid0(VALU_DEP_1) | instskip(NEXT) | instid1(VALU_DEP_1)
	v_mov_b32_dpp v4, v2 row_shr:4 row_mask:0xf bank_mask:0xf
	v_cndmask_b32_e64 v4, 0, v4, s9
	s_delay_alu instid0(VALU_DEP_1) | instskip(NEXT) | instid1(VALU_DEP_1)
	v_add_nc_u32_e32 v2, v2, v4
	v_mov_b32_dpp v4, v2 row_shr:8 row_mask:0xf bank_mask:0xf
	s_delay_alu instid0(VALU_DEP_1) | instskip(NEXT) | instid1(VALU_DEP_1)
	v_cndmask_b32_e64 v4, 0, v4, s10
	v_add_nc_u32_e32 v2, v2, v4
	ds_swizzle_b32 v4, v2 offset:swizzle(BROADCAST,32,15)
	s_wait_dscnt 0x0
	v_and_b32_e32 v4, v86, v4
	s_delay_alu instid0(VALU_DEP_1)
	v_add_nc_u32_e32 v2, v2, v4
	s_and_saveexec_b32 s12, s3
; %bb.379:                              ;   in Loop: Header=BB503_12 Depth=1
	ds_store_b32 v65, v2
; %bb.380:                              ;   in Loop: Header=BB503_12 Depth=1
	s_wait_alu 0xfffe
	s_or_b32 exec_lo, exec_lo, s12
	s_wait_loadcnt_dscnt 0x0
	s_barrier_signal -1
	s_barrier_wait -1
	global_inv scope:SCOPE_SE
	s_and_saveexec_b32 s12, s4
	s_cbranch_execz .LBB503_382
; %bb.381:                              ;   in Loop: Header=BB503_12 Depth=1
	ds_load_b32 v4, v66
	v_cmp_ne_u32_e32 vcc_lo, 0, v89
	s_wait_dscnt 0x0
	v_mov_b32_dpp v5, v4 row_shr:1 row_mask:0xf bank_mask:0xf
	s_wait_alu 0xfffd
	s_delay_alu instid0(VALU_DEP_1) | instskip(SKIP_1) | instid1(VALU_DEP_2)
	v_cndmask_b32_e32 v5, 0, v5, vcc_lo
	v_cmp_lt_u32_e32 vcc_lo, 1, v89
	v_add_nc_u32_e32 v4, v5, v4
	s_delay_alu instid0(VALU_DEP_1) | instskip(SKIP_1) | instid1(VALU_DEP_1)
	v_mov_b32_dpp v5, v4 row_shr:2 row_mask:0xf bank_mask:0xf
	s_wait_alu 0xfffd
	v_cndmask_b32_e32 v5, 0, v5, vcc_lo
	v_cmp_lt_u32_e32 vcc_lo, 3, v89
	s_delay_alu instid0(VALU_DEP_2) | instskip(NEXT) | instid1(VALU_DEP_1)
	v_add_nc_u32_e32 v4, v4, v5
	v_mov_b32_dpp v5, v4 row_shr:4 row_mask:0xf bank_mask:0xf
	s_wait_alu 0xfffd
	s_delay_alu instid0(VALU_DEP_1) | instskip(NEXT) | instid1(VALU_DEP_1)
	v_cndmask_b32_e32 v5, 0, v5, vcc_lo
	v_add_nc_u32_e32 v4, v4, v5
	ds_store_b32 v66, v4
.LBB503_382:                            ;   in Loop: Header=BB503_12 Depth=1
	s_wait_alu 0xfffe
	s_or_b32 exec_lo, exec_lo, s12
	v_mov_b32_e32 v4, 0
	s_wait_loadcnt_dscnt 0x0
	s_barrier_signal -1
	s_barrier_wait -1
	global_inv scope:SCOPE_SE
	s_and_saveexec_b32 s12, s5
; %bb.383:                              ;   in Loop: Header=BB503_12 Depth=1
	ds_load_b32 v4, v68
; %bb.384:                              ;   in Loop: Header=BB503_12 Depth=1
	s_wait_alu 0xfffe
	s_or_b32 exec_lo, exec_lo, s12
	v_cmp_gt_i32_e32 vcc_lo, 0, v90
	s_wait_loadcnt_dscnt 0x0
	s_barrier_signal -1
	s_barrier_wait -1
	global_inv scope:SCOPE_SE
	s_wait_alu 0xfffd
	v_dual_cndmask_b32 v5, v90, v81 :: v_dual_add_nc_u32 v2, v4, v2
	s_delay_alu instid0(VALU_DEP_1)
	v_lshlrev_b32_e32 v113, 2, v5
	ds_bpermute_b32 v2, v113, v2
	s_and_saveexec_b32 s12, s2
	s_cbranch_execz .LBB503_386
; %bb.385:                              ;   in Loop: Header=BB503_12 Depth=1
	s_wait_dscnt 0x0
	v_cndmask_b32_e64 v2, v2, v4, s8
	s_delay_alu instid0(VALU_DEP_1)
	v_add_nc_u32_e32 v2, s33, v2
	ds_store_b32 v44, v2
.LBB503_386:                            ;   in Loop: Header=BB503_12 Depth=1
	s_wait_alu 0xfffe
	s_or_b32 exec_lo, exec_lo, s12
	s_load_b64 s[12:13], s[34:35], 0x0
	v_add_co_u32 v114, vcc_lo, v73, v91
	s_wait_alu 0xfffd
	v_add_co_ci_u32_e64 v115, null, 0, v74, vcc_lo
	v_add_co_u32 v116, vcc_lo, v75, v107
	s_wait_alu 0xfffd
	v_add_co_ci_u32_e64 v117, null, 0, v76, vcc_lo
	s_mov_b32 s54, s53
                                        ; implicit-def: $vgpr6_vgpr7
                                        ; implicit-def: $vgpr8_vgpr9
                                        ; implicit-def: $vgpr10_vgpr11
                                        ; implicit-def: $vgpr12_vgpr13
                                        ; implicit-def: $vgpr14_vgpr15
                                        ; implicit-def: $vgpr16_vgpr17
                                        ; implicit-def: $vgpr18_vgpr19
                                        ; implicit-def: $vgpr20_vgpr21
                                        ; implicit-def: $vgpr22_vgpr23
                                        ; implicit-def: $vgpr24_vgpr25
                                        ; implicit-def: $vgpr26_vgpr27
                                        ; implicit-def: $vgpr28_vgpr29
                                        ; implicit-def: $vgpr30_vgpr31
                                        ; implicit-def: $vgpr32_vgpr33
                                        ; implicit-def: $vgpr34_vgpr35
                                        ; implicit-def: $vgpr119
                                        ; implicit-def: $vgpr120
                                        ; implicit-def: $vgpr121
                                        ; implicit-def: $vgpr122
                                        ; implicit-def: $vgpr123
                                        ; implicit-def: $vgpr124
                                        ; implicit-def: $vgpr125
                                        ; implicit-def: $vgpr126
                                        ; implicit-def: $vgpr127
                                        ; implicit-def: $vgpr128
                                        ; implicit-def: $vgpr129
                                        ; implicit-def: $vgpr130
                                        ; implicit-def: $vgpr131
                                        ; implicit-def: $vgpr132
                                        ; implicit-def: $vgpr133
                                        ; implicit-def: $vgpr134
	s_wait_kmcnt 0x0
	s_cmp_lt_u32 ttmp7, s13
	s_cselect_b32 s42, 14, 20
	s_cmp_lt_u32 ttmp9, s12
	s_wait_alu 0xfffe
	s_add_nc_u64 s[14:15], s[34:35], s[42:43]
	s_cselect_b32 s42, 12, 18
	s_load_u16 s14, s[14:15], 0x0
	s_add_nc_u64 s[12:13], s[34:35], s[42:43]
	s_mov_b32 s42, s33
	s_load_u16 s12, s[12:13], 0x0
	v_cmp_lt_u32_e64 s13, 1, v89
	s_wait_dscnt 0x0
	s_wait_kmcnt 0x0
	v_mad_u32_u24 v2, v69, s14, v0
	v_cmp_lt_u32_e64 s14, 3, v89
	s_delay_alu instid0(VALU_DEP_2) | instskip(SKIP_1) | instid1(VALU_DEP_2)
	v_mad_co_u64_u32 v[4:5], null, v2, s12, v[1:2]
	v_cmp_eq_u32_e64 s12, 0, v89
	v_lshrrev_b32_e32 v2, 3, v4
                                        ; implicit-def: $vgpr4_vgpr5
	s_delay_alu instid0(VALU_DEP_1)
	v_and_b32_e32 v118, 0x1ffffffc, v2
	s_branch .LBB503_388
.LBB503_387:                            ;   in Loop: Header=BB503_388 Depth=2
	s_wait_alu 0xfffe
	s_or_b32 exec_lo, exec_lo, s15
	s_addk_co_i32 s54, 0xf000
	s_cmp_lt_u32 s55, s51
	s_mov_b32 s42, s55
	s_cbranch_scc0 .LBB503_596
.LBB503_388:                            ;   Parent Loop BB503_12 Depth=1
                                        ; =>  This Inner Loop Header: Depth=2
	s_wait_alu 0xfffe
	s_add_co_i32 s55, s42, 0x1000
	s_wait_alu 0xfffe
	s_cmp_gt_u32 s55, s51
	s_cbranch_scc1 .LBB503_390
; %bb.389:                              ;   in Loop: Header=BB503_388 Depth=2
	s_lshl_b64 s[16:17], s[42:43], 2
	s_mov_b32 s15, -1
	s_wait_alu 0xfffe
	v_add_co_u32 v36, vcc_lo, v116, s16
	s_wait_alu 0xfffd
	v_add_co_ci_u32_e64 v37, null, s17, v117, vcc_lo
	s_clause 0xe
	global_load_b32 v136, v[36:37], off
	global_load_b32 v137, v[36:37], off offset:128
	global_load_b32 v144, v[36:37], off offset:256
	;; [unrolled: 1-line block ×14, first 2 shown]
	s_movk_i32 s16, 0x1000
	s_cbranch_execz .LBB503_391
	s_branch .LBB503_422
.LBB503_390:                            ;   in Loop: Header=BB503_388 Depth=2
	s_mov_b32 s15, 0
                                        ; implicit-def: $vgpr136
                                        ; implicit-def: $vgpr137
                                        ; implicit-def: $vgpr144
                                        ; implicit-def: $vgpr148
                                        ; implicit-def: $vgpr152
                                        ; implicit-def: $vgpr156
                                        ; implicit-def: $vgpr160
                                        ; implicit-def: $vgpr164
                                        ; implicit-def: $vgpr167
                                        ; implicit-def: $vgpr43
                                        ; implicit-def: $vgpr42
                                        ; implicit-def: $vgpr41
                                        ; implicit-def: $vgpr40
                                        ; implicit-def: $vgpr39
                                        ; implicit-def: $vgpr38
	s_movk_i32 s16, 0x1000
.LBB503_391:                            ;   in Loop: Header=BB503_388 Depth=2
	s_lshl_b64 s[16:17], s[42:43], 2
	s_wait_loadcnt 0xd
	v_bfrev_b32_e32 v137, 1
	s_wait_alu 0xfffe
	v_add_co_u32 v36, vcc_lo, v116, s16
	s_wait_alu 0xfffd
	v_add_co_ci_u32_e64 v37, null, s17, v117, vcc_lo
	v_bfrev_b32_e32 v136, 1
	s_mov_b32 s15, exec_lo
	v_cmpx_gt_u32_e64 s54, v88
	s_cbranch_execz .LBB503_393
; %bb.392:                              ;   in Loop: Header=BB503_388 Depth=2
	global_load_b32 v136, v[36:37], off
.LBB503_393:                            ;   in Loop: Header=BB503_388 Depth=2
	s_wait_alu 0xfffe
	s_or_b32 exec_lo, exec_lo, s15
	s_delay_alu instid0(SALU_CYCLE_1)
	s_mov_b32 s15, exec_lo
	v_cmpx_gt_u32_e64 s54, v92
	s_cbranch_execz .LBB503_395
; %bb.394:                              ;   in Loop: Header=BB503_388 Depth=2
	global_load_b32 v137, v[36:37], off offset:128
.LBB503_395:                            ;   in Loop: Header=BB503_388 Depth=2
	s_wait_alu 0xfffe
	s_or_b32 exec_lo, exec_lo, s15
	s_wait_loadcnt 0xb
	v_bfrev_b32_e32 v148, 1
	v_bfrev_b32_e32 v144, 1
	s_mov_b32 s15, exec_lo
	v_cmpx_gt_u32_e64 s54, v93
	s_cbranch_execz .LBB503_397
; %bb.396:                              ;   in Loop: Header=BB503_388 Depth=2
	global_load_b32 v144, v[36:37], off offset:256
.LBB503_397:                            ;   in Loop: Header=BB503_388 Depth=2
	s_wait_alu 0xfffe
	s_or_b32 exec_lo, exec_lo, s15
	s_delay_alu instid0(SALU_CYCLE_1)
	s_mov_b32 s15, exec_lo
	v_cmpx_gt_u32_e64 s54, v94
	s_cbranch_execz .LBB503_399
; %bb.398:                              ;   in Loop: Header=BB503_388 Depth=2
	global_load_b32 v148, v[36:37], off offset:384
.LBB503_399:                            ;   in Loop: Header=BB503_388 Depth=2
	s_wait_alu 0xfffe
	s_or_b32 exec_lo, exec_lo, s15
	s_wait_loadcnt 0x9
	v_bfrev_b32_e32 v156, 1
	v_bfrev_b32_e32 v152, 1
	s_mov_b32 s15, exec_lo
	v_cmpx_gt_u32_e64 s54, v95
	s_cbranch_execz .LBB503_401
; %bb.400:                              ;   in Loop: Header=BB503_388 Depth=2
	global_load_b32 v152, v[36:37], off offset:512
.LBB503_401:                            ;   in Loop: Header=BB503_388 Depth=2
	;; [unrolled: 20-line block ×6, first 2 shown]
	s_wait_alu 0xfffe
	s_or_b32 exec_lo, exec_lo, s15
	s_delay_alu instid0(SALU_CYCLE_1)
	s_mov_b32 s15, exec_lo
	v_cmpx_gt_u32_e64 s54, v104
	s_cbranch_execz .LBB503_419
; %bb.418:                              ;   in Loop: Header=BB503_388 Depth=2
	global_load_b32 v39, v[36:37], off offset:1664
.LBB503_419:                            ;   in Loop: Header=BB503_388 Depth=2
	s_wait_alu 0xfffe
	s_or_b32 exec_lo, exec_lo, s15
	s_wait_loadcnt 0x0
	v_bfrev_b32_e32 v38, 1
	s_mov_b32 s15, exec_lo
	v_cmpx_gt_u32_e64 s54, v105
	s_cbranch_execz .LBB503_421
; %bb.420:                              ;   in Loop: Header=BB503_388 Depth=2
	global_load_b32 v38, v[36:37], off offset:1792
.LBB503_421:                            ;   in Loop: Header=BB503_388 Depth=2
	s_wait_alu 0xfffe
	s_or_b32 exec_lo, exec_lo, s15
	v_cmp_gt_u32_e64 s15, s54, v106
	s_sub_co_i32 s16, s51, s42
.LBB503_422:                            ;   in Loop: Header=BB503_388 Depth=2
	v_dual_mov_b32 v2, -1 :: v_dual_mov_b32 v135, s54
	s_and_saveexec_b32 s17, s15
	s_cbranch_execz .LBB503_424
; %bb.423:                              ;   in Loop: Header=BB503_388 Depth=2
	s_lshl_b64 s[18:19], s[42:43], 2
	s_wait_alu 0xfffe
	v_mov_b32_e32 v135, s16
	v_add_co_u32 v36, vcc_lo, v116, s18
	s_wait_alu 0xfffd
	v_add_co_ci_u32_e64 v37, null, s19, v117, vcc_lo
	global_load_b32 v2, v[36:37], off offset:1920
	s_wait_loadcnt 0x0
	v_xor_b32_e32 v2, 0x7fffffff, v2
.LBB503_424:                            ;   in Loop: Header=BB503_388 Depth=2
	s_wait_alu 0xfffe
	s_or_b32 exec_lo, exec_lo, s17
	s_wait_loadcnt 0xe
	v_xor_b32_e32 v136, 0x7fffffff, v136
	s_delay_alu instid0(VALU_DEP_1) | instskip(NEXT) | instid1(VALU_DEP_1)
	v_lshrrev_b32_e32 v36, s31, v136
	v_and_b32_e32 v37, s48, v36
	s_delay_alu instid0(VALU_DEP_1)
	v_and_b32_e32 v36, 1, v37
	v_lshlrev_b32_e32 v138, 30, v37
	v_lshlrev_b32_e32 v139, 29, v37
	;; [unrolled: 1-line block ×4, first 2 shown]
	v_add_co_u32 v36, s15, v36, -1
	s_wait_alu 0xf1ff
	v_cndmask_b32_e64 v141, 0, 1, s15
	v_not_b32_e32 v146, v138
	v_cmp_gt_i32_e64 s15, 0, v138
	v_not_b32_e32 v138, v139
	v_lshlrev_b32_e32 v143, 26, v37
	v_cmp_ne_u32_e32 vcc_lo, 0, v141
	v_ashrrev_i32_e32 v146, 31, v146
	v_lshlrev_b32_e32 v145, 25, v37
	v_ashrrev_i32_e32 v138, 31, v138
	v_lshlrev_b32_e32 v141, 24, v37
	s_wait_alu 0xfffd
	v_xor_b32_e32 v36, vcc_lo, v36
	v_cmp_gt_i32_e32 vcc_lo, 0, v139
	v_not_b32_e32 v139, v140
	s_wait_alu 0xf1ff
	v_xor_b32_e32 v146, s15, v146
	v_cmp_gt_i32_e64 s15, 0, v140
	v_and_b32_e32 v36, exec_lo, v36
	v_not_b32_e32 v140, v142
	v_ashrrev_i32_e32 v139, 31, v139
	s_wait_alu 0xfffd
	v_xor_b32_e32 v138, vcc_lo, v138
	v_cmp_gt_i32_e32 vcc_lo, 0, v142
	v_and_b32_e32 v36, v36, v146
	v_not_b32_e32 v142, v143
	v_ashrrev_i32_e32 v140, 31, v140
	s_wait_alu 0xf1ff
	v_xor_b32_e32 v139, s15, v139
	v_cmp_gt_i32_e64 s15, 0, v143
	v_and_b32_e32 v36, v36, v138
	v_not_b32_e32 v138, v145
	v_ashrrev_i32_e32 v142, 31, v142
	s_wait_alu 0xfffd
	v_xor_b32_e32 v140, vcc_lo, v140
	v_cmp_gt_i32_e32 vcc_lo, 0, v145
	v_and_b32_e32 v36, v36, v139
	v_not_b32_e32 v139, v141
	v_ashrrev_i32_e32 v138, 31, v138
	s_wait_alu 0xf1ff
	v_xor_b32_e32 v142, s15, v142
	v_cmp_gt_i32_e64 s15, 0, v141
	v_and_b32_e32 v36, v36, v140
	v_ashrrev_i32_e32 v139, 31, v139
	s_wait_alu 0xfffd
	v_xor_b32_e32 v138, vcc_lo, v138
	v_mul_u32_u24_e32 v37, 36, v37
	v_add_nc_u32_e32 v141, 0x428, v67
	v_and_b32_e32 v36, v36, v142
	s_wait_alu 0xf1ff
	v_xor_b32_e32 v140, s15, v139
	v_add_nc_u32_e32 v139, 0x438, v67
	v_add_nc_u32_e32 v142, 0x430, v67
	;; [unrolled: 1-line block ×3, first 2 shown]
	v_and_b32_e32 v36, v36, v138
	ds_store_2addr_b32 v139, v3, v3 offset1:1
	v_and_b32_e32 v36, v36, v140
	v_add_nc_u32_e32 v140, 0x420, v67
	ds_store_2addr_b32 v140, v3, v3 offset1:1
	ds_store_2addr_b32 v141, v3, v3 offset1:1
	;; [unrolled: 1-line block ×3, first 2 shown]
	ds_store_b32 v67, v3 offset:1088
	v_mbcnt_lo_u32_b32 v138, v36, 0
	v_cmp_ne_u32_e64 s15, 0, v36
	s_wait_loadcnt_dscnt 0x0
	s_barrier_signal -1
	s_barrier_wait -1
	v_cmp_eq_u32_e32 vcc_lo, 0, v138
	global_inv scope:SCOPE_SE
	; wave barrier
	s_and_b32 s16, s15, vcc_lo
	s_wait_alu 0xfffe
	s_and_saveexec_b32 s15, s16
; %bb.425:                              ;   in Loop: Header=BB503_388 Depth=2
	v_bcnt_u32_b32 v36, v36, 0
	ds_store_b32 v143, v36 offset:1056
; %bb.426:                              ;   in Loop: Header=BB503_388 Depth=2
	s_wait_alu 0xfffe
	s_or_b32 exec_lo, exec_lo, s15
	v_xor_b32_e32 v137, 0x7fffffff, v137
	; wave barrier
	s_delay_alu instid0(VALU_DEP_1) | instskip(NEXT) | instid1(VALU_DEP_1)
	v_lshrrev_b32_e32 v36, s31, v137
	v_and_b32_e32 v37, s48, v36
	s_delay_alu instid0(VALU_DEP_1)
	v_and_b32_e32 v36, 1, v37
	v_lshlrev_b32_e32 v145, 30, v37
	v_lshlrev_b32_e32 v146, 29, v37
	;; [unrolled: 1-line block ×4, first 2 shown]
	v_add_co_u32 v36, s15, v36, -1
	s_wait_alu 0xf1ff
	v_cndmask_b32_e64 v149, 0, 1, s15
	v_not_b32_e32 v154, v145
	v_cmp_gt_i32_e64 s15, 0, v145
	v_not_b32_e32 v145, v146
	v_lshlrev_b32_e32 v151, 26, v37
	v_cmp_ne_u32_e32 vcc_lo, 0, v149
	v_ashrrev_i32_e32 v154, 31, v154
	v_lshlrev_b32_e32 v153, 25, v37
	v_ashrrev_i32_e32 v145, 31, v145
	v_lshlrev_b32_e32 v149, 24, v37
	s_wait_alu 0xfffd
	v_xor_b32_e32 v36, vcc_lo, v36
	v_cmp_gt_i32_e32 vcc_lo, 0, v146
	v_not_b32_e32 v146, v147
	s_wait_alu 0xf1ff
	v_xor_b32_e32 v154, s15, v154
	v_cmp_gt_i32_e64 s15, 0, v147
	v_and_b32_e32 v36, exec_lo, v36
	v_not_b32_e32 v147, v150
	v_ashrrev_i32_e32 v146, 31, v146
	s_wait_alu 0xfffd
	v_xor_b32_e32 v145, vcc_lo, v145
	v_cmp_gt_i32_e32 vcc_lo, 0, v150
	v_and_b32_e32 v36, v36, v154
	v_not_b32_e32 v150, v151
	v_ashrrev_i32_e32 v147, 31, v147
	s_wait_alu 0xf1ff
	v_xor_b32_e32 v146, s15, v146
	v_cmp_gt_i32_e64 s15, 0, v151
	v_and_b32_e32 v36, v36, v145
	v_not_b32_e32 v145, v153
	v_ashrrev_i32_e32 v150, 31, v150
	s_wait_alu 0xfffd
	v_xor_b32_e32 v147, vcc_lo, v147
	v_cmp_gt_i32_e32 vcc_lo, 0, v153
	v_and_b32_e32 v36, v36, v146
	v_not_b32_e32 v146, v149
	v_ashrrev_i32_e32 v145, 31, v145
	s_wait_alu 0xf1ff
	v_xor_b32_e32 v150, s15, v150
	v_cmp_gt_i32_e64 s15, 0, v149
	v_and_b32_e32 v36, v36, v147
	v_ashrrev_i32_e32 v146, 31, v146
	s_wait_alu 0xfffd
	v_xor_b32_e32 v145, vcc_lo, v145
	v_mad_u32_u24 v147, v37, 36, v118
	v_mul_u32_u24_e32 v37, 36, v37
	v_and_b32_e32 v36, v36, v150
	s_wait_alu 0xf1ff
	v_xor_b32_e32 v146, s15, v146
	s_delay_alu instid0(VALU_DEP_2) | instskip(SKIP_3) | instid1(VALU_DEP_1)
	v_and_b32_e32 v36, v36, v145
	ds_load_b32 v145, v147 offset:1056
	v_add_nc_u32_e32 v147, v118, v37
	; wave barrier
	v_and_b32_e32 v36, v36, v146
	v_mbcnt_lo_u32_b32 v146, v36, 0
	v_cmp_ne_u32_e64 s15, 0, v36
	s_delay_alu instid0(VALU_DEP_2)
	v_cmp_eq_u32_e32 vcc_lo, 0, v146
	s_and_b32 s16, s15, vcc_lo
	s_wait_alu 0xfffe
	s_and_saveexec_b32 s15, s16
	s_cbranch_execz .LBB503_428
; %bb.427:                              ;   in Loop: Header=BB503_388 Depth=2
	s_wait_dscnt 0x0
	v_bcnt_u32_b32 v36, v36, v145
	ds_store_b32 v147, v36 offset:1056
.LBB503_428:                            ;   in Loop: Header=BB503_388 Depth=2
	s_wait_alu 0xfffe
	s_or_b32 exec_lo, exec_lo, s15
	v_xor_b32_e32 v144, 0x7fffffff, v144
	; wave barrier
	s_delay_alu instid0(VALU_DEP_1) | instskip(NEXT) | instid1(VALU_DEP_1)
	v_lshrrev_b32_e32 v36, s31, v144
	v_and_b32_e32 v37, s48, v36
	s_delay_alu instid0(VALU_DEP_1)
	v_and_b32_e32 v36, 1, v37
	v_lshlrev_b32_e32 v149, 30, v37
	v_lshlrev_b32_e32 v150, 29, v37
	;; [unrolled: 1-line block ×4, first 2 shown]
	v_add_co_u32 v36, s15, v36, -1
	s_wait_alu 0xf1ff
	v_cndmask_b32_e64 v153, 0, 1, s15
	v_not_b32_e32 v158, v149
	v_cmp_gt_i32_e64 s15, 0, v149
	v_not_b32_e32 v149, v150
	v_lshlrev_b32_e32 v155, 26, v37
	v_cmp_ne_u32_e32 vcc_lo, 0, v153
	v_ashrrev_i32_e32 v158, 31, v158
	v_lshlrev_b32_e32 v157, 25, v37
	v_ashrrev_i32_e32 v149, 31, v149
	v_lshlrev_b32_e32 v153, 24, v37
	s_wait_alu 0xfffd
	v_xor_b32_e32 v36, vcc_lo, v36
	v_cmp_gt_i32_e32 vcc_lo, 0, v150
	v_not_b32_e32 v150, v151
	s_wait_alu 0xf1ff
	v_xor_b32_e32 v158, s15, v158
	v_cmp_gt_i32_e64 s15, 0, v151
	v_and_b32_e32 v36, exec_lo, v36
	v_not_b32_e32 v151, v154
	v_ashrrev_i32_e32 v150, 31, v150
	s_wait_alu 0xfffd
	v_xor_b32_e32 v149, vcc_lo, v149
	v_cmp_gt_i32_e32 vcc_lo, 0, v154
	v_and_b32_e32 v36, v36, v158
	v_not_b32_e32 v154, v155
	v_ashrrev_i32_e32 v151, 31, v151
	s_wait_alu 0xf1ff
	v_xor_b32_e32 v150, s15, v150
	v_cmp_gt_i32_e64 s15, 0, v155
	v_and_b32_e32 v36, v36, v149
	v_not_b32_e32 v149, v157
	v_ashrrev_i32_e32 v154, 31, v154
	s_wait_alu 0xfffd
	v_xor_b32_e32 v151, vcc_lo, v151
	v_cmp_gt_i32_e32 vcc_lo, 0, v157
	v_and_b32_e32 v36, v36, v150
	v_not_b32_e32 v150, v153
	v_ashrrev_i32_e32 v149, 31, v149
	s_wait_alu 0xf1ff
	v_xor_b32_e32 v154, s15, v154
	v_cmp_gt_i32_e64 s15, 0, v153
	v_and_b32_e32 v36, v36, v151
	v_ashrrev_i32_e32 v150, 31, v150
	s_wait_alu 0xfffd
	v_xor_b32_e32 v149, vcc_lo, v149
	v_mad_u32_u24 v151, v37, 36, v118
	v_mul_u32_u24_e32 v37, 36, v37
	v_and_b32_e32 v36, v36, v154
	s_wait_alu 0xf1ff
	v_xor_b32_e32 v150, s15, v150
	s_delay_alu instid0(VALU_DEP_2) | instskip(SKIP_3) | instid1(VALU_DEP_1)
	v_and_b32_e32 v36, v36, v149
	ds_load_b32 v149, v151 offset:1056
	v_add_nc_u32_e32 v151, v118, v37
	; wave barrier
	v_and_b32_e32 v36, v36, v150
	v_mbcnt_lo_u32_b32 v150, v36, 0
	v_cmp_ne_u32_e64 s15, 0, v36
	s_delay_alu instid0(VALU_DEP_2)
	v_cmp_eq_u32_e32 vcc_lo, 0, v150
	s_and_b32 s16, s15, vcc_lo
	s_wait_alu 0xfffe
	s_and_saveexec_b32 s15, s16
	s_cbranch_execz .LBB503_430
; %bb.429:                              ;   in Loop: Header=BB503_388 Depth=2
	s_wait_dscnt 0x0
	v_bcnt_u32_b32 v36, v36, v149
	ds_store_b32 v151, v36 offset:1056
.LBB503_430:                            ;   in Loop: Header=BB503_388 Depth=2
	s_wait_alu 0xfffe
	s_or_b32 exec_lo, exec_lo, s15
	v_xor_b32_e32 v148, 0x7fffffff, v148
	; wave barrier
	s_delay_alu instid0(VALU_DEP_1) | instskip(NEXT) | instid1(VALU_DEP_1)
	v_lshrrev_b32_e32 v36, s31, v148
	v_and_b32_e32 v37, s48, v36
	s_delay_alu instid0(VALU_DEP_1)
	v_and_b32_e32 v36, 1, v37
	v_lshlrev_b32_e32 v153, 30, v37
	v_lshlrev_b32_e32 v154, 29, v37
	;; [unrolled: 1-line block ×4, first 2 shown]
	v_add_co_u32 v36, s15, v36, -1
	s_wait_alu 0xf1ff
	v_cndmask_b32_e64 v157, 0, 1, s15
	v_not_b32_e32 v162, v153
	v_cmp_gt_i32_e64 s15, 0, v153
	v_not_b32_e32 v153, v154
	v_lshlrev_b32_e32 v159, 26, v37
	v_cmp_ne_u32_e32 vcc_lo, 0, v157
	v_ashrrev_i32_e32 v162, 31, v162
	v_lshlrev_b32_e32 v161, 25, v37
	v_ashrrev_i32_e32 v153, 31, v153
	v_lshlrev_b32_e32 v157, 24, v37
	s_wait_alu 0xfffd
	v_xor_b32_e32 v36, vcc_lo, v36
	v_cmp_gt_i32_e32 vcc_lo, 0, v154
	v_not_b32_e32 v154, v155
	s_wait_alu 0xf1ff
	v_xor_b32_e32 v162, s15, v162
	v_cmp_gt_i32_e64 s15, 0, v155
	v_and_b32_e32 v36, exec_lo, v36
	v_not_b32_e32 v155, v158
	v_ashrrev_i32_e32 v154, 31, v154
	s_wait_alu 0xfffd
	v_xor_b32_e32 v153, vcc_lo, v153
	v_cmp_gt_i32_e32 vcc_lo, 0, v158
	v_and_b32_e32 v36, v36, v162
	v_not_b32_e32 v158, v159
	v_ashrrev_i32_e32 v155, 31, v155
	s_wait_alu 0xf1ff
	v_xor_b32_e32 v154, s15, v154
	v_cmp_gt_i32_e64 s15, 0, v159
	v_and_b32_e32 v36, v36, v153
	v_not_b32_e32 v153, v161
	v_ashrrev_i32_e32 v158, 31, v158
	s_wait_alu 0xfffd
	v_xor_b32_e32 v155, vcc_lo, v155
	v_cmp_gt_i32_e32 vcc_lo, 0, v161
	v_and_b32_e32 v36, v36, v154
	v_not_b32_e32 v154, v157
	v_ashrrev_i32_e32 v153, 31, v153
	s_wait_alu 0xf1ff
	v_xor_b32_e32 v158, s15, v158
	v_cmp_gt_i32_e64 s15, 0, v157
	v_and_b32_e32 v36, v36, v155
	v_ashrrev_i32_e32 v154, 31, v154
	s_wait_alu 0xfffd
	v_xor_b32_e32 v153, vcc_lo, v153
	v_mad_u32_u24 v155, v37, 36, v118
	v_mul_u32_u24_e32 v37, 36, v37
	v_and_b32_e32 v36, v36, v158
	s_wait_alu 0xf1ff
	v_xor_b32_e32 v154, s15, v154
	s_delay_alu instid0(VALU_DEP_2) | instskip(SKIP_3) | instid1(VALU_DEP_1)
	v_and_b32_e32 v36, v36, v153
	ds_load_b32 v153, v155 offset:1056
	v_add_nc_u32_e32 v155, v118, v37
	; wave barrier
	v_and_b32_e32 v36, v36, v154
	v_mbcnt_lo_u32_b32 v154, v36, 0
	v_cmp_ne_u32_e64 s15, 0, v36
	s_delay_alu instid0(VALU_DEP_2)
	v_cmp_eq_u32_e32 vcc_lo, 0, v154
	s_and_b32 s16, s15, vcc_lo
	s_wait_alu 0xfffe
	s_and_saveexec_b32 s15, s16
	s_cbranch_execz .LBB503_432
; %bb.431:                              ;   in Loop: Header=BB503_388 Depth=2
	s_wait_dscnt 0x0
	v_bcnt_u32_b32 v36, v36, v153
	ds_store_b32 v155, v36 offset:1056
.LBB503_432:                            ;   in Loop: Header=BB503_388 Depth=2
	s_wait_alu 0xfffe
	s_or_b32 exec_lo, exec_lo, s15
	v_xor_b32_e32 v152, 0x7fffffff, v152
	; wave barrier
	s_delay_alu instid0(VALU_DEP_1) | instskip(NEXT) | instid1(VALU_DEP_1)
	v_lshrrev_b32_e32 v36, s31, v152
	v_and_b32_e32 v37, s48, v36
	s_delay_alu instid0(VALU_DEP_1)
	v_and_b32_e32 v36, 1, v37
	v_lshlrev_b32_e32 v157, 30, v37
	v_lshlrev_b32_e32 v158, 29, v37
	v_lshlrev_b32_e32 v159, 28, v37
	v_lshlrev_b32_e32 v162, 27, v37
	v_add_co_u32 v36, s15, v36, -1
	s_wait_alu 0xf1ff
	v_cndmask_b32_e64 v161, 0, 1, s15
	v_not_b32_e32 v166, v157
	v_cmp_gt_i32_e64 s15, 0, v157
	v_not_b32_e32 v157, v158
	v_lshlrev_b32_e32 v163, 26, v37
	v_cmp_ne_u32_e32 vcc_lo, 0, v161
	v_ashrrev_i32_e32 v166, 31, v166
	v_lshlrev_b32_e32 v165, 25, v37
	v_ashrrev_i32_e32 v157, 31, v157
	v_lshlrev_b32_e32 v161, 24, v37
	s_wait_alu 0xfffd
	v_xor_b32_e32 v36, vcc_lo, v36
	v_cmp_gt_i32_e32 vcc_lo, 0, v158
	v_not_b32_e32 v158, v159
	s_wait_alu 0xf1ff
	v_xor_b32_e32 v166, s15, v166
	v_cmp_gt_i32_e64 s15, 0, v159
	v_and_b32_e32 v36, exec_lo, v36
	v_not_b32_e32 v159, v162
	v_ashrrev_i32_e32 v158, 31, v158
	s_wait_alu 0xfffd
	v_xor_b32_e32 v157, vcc_lo, v157
	v_cmp_gt_i32_e32 vcc_lo, 0, v162
	v_and_b32_e32 v36, v36, v166
	v_not_b32_e32 v162, v163
	v_ashrrev_i32_e32 v159, 31, v159
	s_wait_alu 0xf1ff
	v_xor_b32_e32 v158, s15, v158
	v_cmp_gt_i32_e64 s15, 0, v163
	v_and_b32_e32 v36, v36, v157
	v_not_b32_e32 v157, v165
	v_ashrrev_i32_e32 v162, 31, v162
	s_wait_alu 0xfffd
	v_xor_b32_e32 v159, vcc_lo, v159
	v_cmp_gt_i32_e32 vcc_lo, 0, v165
	v_and_b32_e32 v36, v36, v158
	v_not_b32_e32 v158, v161
	v_ashrrev_i32_e32 v157, 31, v157
	s_wait_alu 0xf1ff
	v_xor_b32_e32 v162, s15, v162
	v_cmp_gt_i32_e64 s15, 0, v161
	v_and_b32_e32 v36, v36, v159
	v_ashrrev_i32_e32 v158, 31, v158
	s_wait_alu 0xfffd
	v_xor_b32_e32 v157, vcc_lo, v157
	v_mad_u32_u24 v159, v37, 36, v118
	v_mul_u32_u24_e32 v37, 36, v37
	v_and_b32_e32 v36, v36, v162
	s_wait_alu 0xf1ff
	v_xor_b32_e32 v158, s15, v158
	s_delay_alu instid0(VALU_DEP_2) | instskip(SKIP_3) | instid1(VALU_DEP_1)
	v_and_b32_e32 v36, v36, v157
	ds_load_b32 v157, v159 offset:1056
	v_add_nc_u32_e32 v159, v118, v37
	; wave barrier
	v_and_b32_e32 v36, v36, v158
	v_mbcnt_lo_u32_b32 v158, v36, 0
	v_cmp_ne_u32_e64 s15, 0, v36
	s_delay_alu instid0(VALU_DEP_2)
	v_cmp_eq_u32_e32 vcc_lo, 0, v158
	s_and_b32 s16, s15, vcc_lo
	s_wait_alu 0xfffe
	s_and_saveexec_b32 s15, s16
	s_cbranch_execz .LBB503_434
; %bb.433:                              ;   in Loop: Header=BB503_388 Depth=2
	s_wait_dscnt 0x0
	v_bcnt_u32_b32 v36, v36, v157
	ds_store_b32 v159, v36 offset:1056
.LBB503_434:                            ;   in Loop: Header=BB503_388 Depth=2
	s_wait_alu 0xfffe
	s_or_b32 exec_lo, exec_lo, s15
	v_xor_b32_e32 v156, 0x7fffffff, v156
	; wave barrier
	s_delay_alu instid0(VALU_DEP_1) | instskip(NEXT) | instid1(VALU_DEP_1)
	v_lshrrev_b32_e32 v36, s31, v156
	v_and_b32_e32 v37, s48, v36
	s_delay_alu instid0(VALU_DEP_1)
	v_and_b32_e32 v36, 1, v37
	v_lshlrev_b32_e32 v161, 30, v37
	v_lshlrev_b32_e32 v162, 29, v37
	;; [unrolled: 1-line block ×4, first 2 shown]
	v_add_co_u32 v36, s15, v36, -1
	s_wait_alu 0xf1ff
	v_cndmask_b32_e64 v165, 0, 1, s15
	v_not_b32_e32 v170, v161
	v_cmp_gt_i32_e64 s15, 0, v161
	v_not_b32_e32 v161, v162
	v_lshlrev_b32_e32 v168, 26, v37
	v_cmp_ne_u32_e32 vcc_lo, 0, v165
	v_ashrrev_i32_e32 v170, 31, v170
	v_lshlrev_b32_e32 v169, 25, v37
	v_ashrrev_i32_e32 v161, 31, v161
	v_lshlrev_b32_e32 v165, 24, v37
	s_wait_alu 0xfffd
	v_xor_b32_e32 v36, vcc_lo, v36
	v_cmp_gt_i32_e32 vcc_lo, 0, v162
	v_not_b32_e32 v162, v163
	s_wait_alu 0xf1ff
	v_xor_b32_e32 v170, s15, v170
	v_cmp_gt_i32_e64 s15, 0, v163
	v_and_b32_e32 v36, exec_lo, v36
	v_not_b32_e32 v163, v166
	v_ashrrev_i32_e32 v162, 31, v162
	s_wait_alu 0xfffd
	v_xor_b32_e32 v161, vcc_lo, v161
	v_cmp_gt_i32_e32 vcc_lo, 0, v166
	v_and_b32_e32 v36, v36, v170
	v_not_b32_e32 v166, v168
	v_ashrrev_i32_e32 v163, 31, v163
	s_wait_alu 0xf1ff
	v_xor_b32_e32 v162, s15, v162
	v_cmp_gt_i32_e64 s15, 0, v168
	v_and_b32_e32 v36, v36, v161
	v_not_b32_e32 v161, v169
	v_ashrrev_i32_e32 v166, 31, v166
	s_wait_alu 0xfffd
	v_xor_b32_e32 v163, vcc_lo, v163
	v_cmp_gt_i32_e32 vcc_lo, 0, v169
	v_and_b32_e32 v36, v36, v162
	v_not_b32_e32 v162, v165
	v_ashrrev_i32_e32 v161, 31, v161
	s_wait_alu 0xf1ff
	v_xor_b32_e32 v166, s15, v166
	v_cmp_gt_i32_e64 s15, 0, v165
	v_and_b32_e32 v36, v36, v163
	v_ashrrev_i32_e32 v162, 31, v162
	s_wait_alu 0xfffd
	v_xor_b32_e32 v161, vcc_lo, v161
	v_mad_u32_u24 v163, v37, 36, v118
	v_mul_u32_u24_e32 v37, 36, v37
	v_and_b32_e32 v36, v36, v166
	s_wait_alu 0xf1ff
	v_xor_b32_e32 v162, s15, v162
	s_delay_alu instid0(VALU_DEP_2) | instskip(SKIP_3) | instid1(VALU_DEP_1)
	v_and_b32_e32 v36, v36, v161
	ds_load_b32 v161, v163 offset:1056
	v_add_nc_u32_e32 v163, v118, v37
	; wave barrier
	v_and_b32_e32 v36, v36, v162
	v_mbcnt_lo_u32_b32 v162, v36, 0
	v_cmp_ne_u32_e64 s15, 0, v36
	s_delay_alu instid0(VALU_DEP_2)
	v_cmp_eq_u32_e32 vcc_lo, 0, v162
	s_and_b32 s16, s15, vcc_lo
	s_wait_alu 0xfffe
	s_and_saveexec_b32 s15, s16
	s_cbranch_execz .LBB503_436
; %bb.435:                              ;   in Loop: Header=BB503_388 Depth=2
	s_wait_dscnt 0x0
	v_bcnt_u32_b32 v36, v36, v161
	ds_store_b32 v163, v36 offset:1056
.LBB503_436:                            ;   in Loop: Header=BB503_388 Depth=2
	s_wait_alu 0xfffe
	s_or_b32 exec_lo, exec_lo, s15
	v_xor_b32_e32 v160, 0x7fffffff, v160
	; wave barrier
	s_delay_alu instid0(VALU_DEP_1) | instskip(NEXT) | instid1(VALU_DEP_1)
	v_lshrrev_b32_e32 v36, s31, v160
	v_and_b32_e32 v37, s48, v36
	s_delay_alu instid0(VALU_DEP_1)
	v_and_b32_e32 v36, 1, v37
	v_lshlrev_b32_e32 v165, 30, v37
	v_lshlrev_b32_e32 v166, 29, v37
	;; [unrolled: 1-line block ×4, first 2 shown]
	v_add_co_u32 v36, s15, v36, -1
	s_wait_alu 0xf1ff
	v_cndmask_b32_e64 v169, 0, 1, s15
	v_not_b32_e32 v173, v165
	v_cmp_gt_i32_e64 s15, 0, v165
	v_not_b32_e32 v165, v166
	v_lshlrev_b32_e32 v171, 26, v37
	v_cmp_ne_u32_e32 vcc_lo, 0, v169
	v_ashrrev_i32_e32 v173, 31, v173
	v_lshlrev_b32_e32 v172, 25, v37
	v_ashrrev_i32_e32 v165, 31, v165
	v_lshlrev_b32_e32 v169, 24, v37
	s_wait_alu 0xfffd
	v_xor_b32_e32 v36, vcc_lo, v36
	v_cmp_gt_i32_e32 vcc_lo, 0, v166
	v_not_b32_e32 v166, v168
	s_wait_alu 0xf1ff
	v_xor_b32_e32 v173, s15, v173
	v_cmp_gt_i32_e64 s15, 0, v168
	v_and_b32_e32 v36, exec_lo, v36
	v_not_b32_e32 v168, v170
	v_ashrrev_i32_e32 v166, 31, v166
	s_wait_alu 0xfffd
	v_xor_b32_e32 v165, vcc_lo, v165
	v_cmp_gt_i32_e32 vcc_lo, 0, v170
	v_and_b32_e32 v36, v36, v173
	v_not_b32_e32 v170, v171
	v_ashrrev_i32_e32 v168, 31, v168
	s_wait_alu 0xf1ff
	v_xor_b32_e32 v166, s15, v166
	v_cmp_gt_i32_e64 s15, 0, v171
	v_and_b32_e32 v36, v36, v165
	v_not_b32_e32 v165, v172
	v_ashrrev_i32_e32 v170, 31, v170
	s_wait_alu 0xfffd
	v_xor_b32_e32 v168, vcc_lo, v168
	v_cmp_gt_i32_e32 vcc_lo, 0, v172
	v_and_b32_e32 v36, v36, v166
	v_not_b32_e32 v166, v169
	v_ashrrev_i32_e32 v165, 31, v165
	s_wait_alu 0xf1ff
	v_xor_b32_e32 v170, s15, v170
	v_cmp_gt_i32_e64 s15, 0, v169
	v_and_b32_e32 v36, v36, v168
	v_ashrrev_i32_e32 v166, 31, v166
	s_wait_alu 0xfffd
	v_xor_b32_e32 v165, vcc_lo, v165
	v_mad_u32_u24 v168, v37, 36, v118
	v_mul_u32_u24_e32 v37, 36, v37
	v_and_b32_e32 v36, v36, v170
	s_wait_alu 0xf1ff
	v_xor_b32_e32 v166, s15, v166
	s_delay_alu instid0(VALU_DEP_2) | instskip(SKIP_3) | instid1(VALU_DEP_1)
	v_and_b32_e32 v36, v36, v165
	ds_load_b32 v165, v168 offset:1056
	v_add_nc_u32_e32 v168, v118, v37
	; wave barrier
	v_and_b32_e32 v36, v36, v166
	v_mbcnt_lo_u32_b32 v166, v36, 0
	v_cmp_ne_u32_e64 s15, 0, v36
	s_delay_alu instid0(VALU_DEP_2)
	v_cmp_eq_u32_e32 vcc_lo, 0, v166
	s_and_b32 s16, s15, vcc_lo
	s_wait_alu 0xfffe
	s_and_saveexec_b32 s15, s16
	s_cbranch_execz .LBB503_438
; %bb.437:                              ;   in Loop: Header=BB503_388 Depth=2
	s_wait_dscnt 0x0
	v_bcnt_u32_b32 v36, v36, v165
	ds_store_b32 v168, v36 offset:1056
.LBB503_438:                            ;   in Loop: Header=BB503_388 Depth=2
	s_wait_alu 0xfffe
	s_or_b32 exec_lo, exec_lo, s15
	v_xor_b32_e32 v164, 0x7fffffff, v164
	; wave barrier
	s_delay_alu instid0(VALU_DEP_1) | instskip(NEXT) | instid1(VALU_DEP_1)
	v_lshrrev_b32_e32 v36, s31, v164
	v_and_b32_e32 v37, s48, v36
	s_delay_alu instid0(VALU_DEP_1)
	v_and_b32_e32 v36, 1, v37
	v_lshlrev_b32_e32 v169, 30, v37
	v_lshlrev_b32_e32 v170, 29, v37
	;; [unrolled: 1-line block ×4, first 2 shown]
	v_add_co_u32 v36, s15, v36, -1
	s_wait_alu 0xf1ff
	v_cndmask_b32_e64 v172, 0, 1, s15
	v_not_b32_e32 v176, v169
	v_cmp_gt_i32_e64 s15, 0, v169
	v_not_b32_e32 v169, v170
	v_lshlrev_b32_e32 v174, 26, v37
	v_cmp_ne_u32_e32 vcc_lo, 0, v172
	v_ashrrev_i32_e32 v176, 31, v176
	v_lshlrev_b32_e32 v175, 25, v37
	v_ashrrev_i32_e32 v169, 31, v169
	v_lshlrev_b32_e32 v172, 24, v37
	s_wait_alu 0xfffd
	v_xor_b32_e32 v36, vcc_lo, v36
	v_cmp_gt_i32_e32 vcc_lo, 0, v170
	v_not_b32_e32 v170, v171
	s_wait_alu 0xf1ff
	v_xor_b32_e32 v176, s15, v176
	v_cmp_gt_i32_e64 s15, 0, v171
	v_and_b32_e32 v36, exec_lo, v36
	v_not_b32_e32 v171, v173
	v_ashrrev_i32_e32 v170, 31, v170
	s_wait_alu 0xfffd
	v_xor_b32_e32 v169, vcc_lo, v169
	v_cmp_gt_i32_e32 vcc_lo, 0, v173
	v_and_b32_e32 v36, v36, v176
	v_not_b32_e32 v173, v174
	v_ashrrev_i32_e32 v171, 31, v171
	s_wait_alu 0xf1ff
	v_xor_b32_e32 v170, s15, v170
	v_cmp_gt_i32_e64 s15, 0, v174
	v_and_b32_e32 v36, v36, v169
	v_not_b32_e32 v169, v175
	v_ashrrev_i32_e32 v173, 31, v173
	s_wait_alu 0xfffd
	v_xor_b32_e32 v171, vcc_lo, v171
	v_cmp_gt_i32_e32 vcc_lo, 0, v175
	v_and_b32_e32 v36, v36, v170
	v_not_b32_e32 v170, v172
	v_ashrrev_i32_e32 v169, 31, v169
	s_wait_alu 0xf1ff
	v_xor_b32_e32 v173, s15, v173
	v_cmp_gt_i32_e64 s15, 0, v172
	v_and_b32_e32 v36, v36, v171
	v_ashrrev_i32_e32 v170, 31, v170
	s_wait_alu 0xfffd
	v_xor_b32_e32 v169, vcc_lo, v169
	v_mad_u32_u24 v171, v37, 36, v118
	v_mul_u32_u24_e32 v37, 36, v37
	v_and_b32_e32 v36, v36, v173
	s_wait_alu 0xf1ff
	v_xor_b32_e32 v170, s15, v170
	s_delay_alu instid0(VALU_DEP_2) | instskip(SKIP_3) | instid1(VALU_DEP_1)
	v_and_b32_e32 v36, v36, v169
	ds_load_b32 v169, v171 offset:1056
	v_add_nc_u32_e32 v171, v118, v37
	; wave barrier
	v_and_b32_e32 v36, v36, v170
	v_mbcnt_lo_u32_b32 v170, v36, 0
	v_cmp_ne_u32_e64 s15, 0, v36
	s_delay_alu instid0(VALU_DEP_2)
	v_cmp_eq_u32_e32 vcc_lo, 0, v170
	s_and_b32 s16, s15, vcc_lo
	s_wait_alu 0xfffe
	s_and_saveexec_b32 s15, s16
	s_cbranch_execz .LBB503_440
; %bb.439:                              ;   in Loop: Header=BB503_388 Depth=2
	s_wait_dscnt 0x0
	v_bcnt_u32_b32 v36, v36, v169
	ds_store_b32 v171, v36 offset:1056
.LBB503_440:                            ;   in Loop: Header=BB503_388 Depth=2
	s_wait_alu 0xfffe
	s_or_b32 exec_lo, exec_lo, s15
	v_xor_b32_e32 v167, 0x7fffffff, v167
	; wave barrier
	s_delay_alu instid0(VALU_DEP_1) | instskip(NEXT) | instid1(VALU_DEP_1)
	v_lshrrev_b32_e32 v36, s31, v167
	v_and_b32_e32 v37, s48, v36
	s_delay_alu instid0(VALU_DEP_1)
	v_and_b32_e32 v36, 1, v37
	v_lshlrev_b32_e32 v172, 30, v37
	v_lshlrev_b32_e32 v173, 29, v37
	;; [unrolled: 1-line block ×4, first 2 shown]
	v_add_co_u32 v36, s15, v36, -1
	s_wait_alu 0xf1ff
	v_cndmask_b32_e64 v175, 0, 1, s15
	v_not_b32_e32 v179, v172
	v_cmp_gt_i32_e64 s15, 0, v172
	v_not_b32_e32 v172, v173
	v_lshlrev_b32_e32 v177, 26, v37
	v_cmp_ne_u32_e32 vcc_lo, 0, v175
	v_ashrrev_i32_e32 v179, 31, v179
	v_lshlrev_b32_e32 v178, 25, v37
	v_ashrrev_i32_e32 v172, 31, v172
	v_lshlrev_b32_e32 v175, 24, v37
	s_wait_alu 0xfffd
	v_xor_b32_e32 v36, vcc_lo, v36
	v_cmp_gt_i32_e32 vcc_lo, 0, v173
	v_not_b32_e32 v173, v174
	s_wait_alu 0xf1ff
	v_xor_b32_e32 v179, s15, v179
	v_cmp_gt_i32_e64 s15, 0, v174
	v_and_b32_e32 v36, exec_lo, v36
	v_not_b32_e32 v174, v176
	v_ashrrev_i32_e32 v173, 31, v173
	s_wait_alu 0xfffd
	v_xor_b32_e32 v172, vcc_lo, v172
	v_cmp_gt_i32_e32 vcc_lo, 0, v176
	v_and_b32_e32 v36, v36, v179
	v_not_b32_e32 v176, v177
	v_ashrrev_i32_e32 v174, 31, v174
	s_wait_alu 0xf1ff
	v_xor_b32_e32 v173, s15, v173
	v_cmp_gt_i32_e64 s15, 0, v177
	v_and_b32_e32 v36, v36, v172
	v_not_b32_e32 v172, v178
	v_ashrrev_i32_e32 v176, 31, v176
	s_wait_alu 0xfffd
	v_xor_b32_e32 v174, vcc_lo, v174
	v_cmp_gt_i32_e32 vcc_lo, 0, v178
	v_and_b32_e32 v36, v36, v173
	v_not_b32_e32 v173, v175
	v_ashrrev_i32_e32 v172, 31, v172
	s_wait_alu 0xf1ff
	v_xor_b32_e32 v176, s15, v176
	v_cmp_gt_i32_e64 s15, 0, v175
	v_and_b32_e32 v36, v36, v174
	v_ashrrev_i32_e32 v173, 31, v173
	s_wait_alu 0xfffd
	v_xor_b32_e32 v172, vcc_lo, v172
	v_mad_u32_u24 v174, v37, 36, v118
	v_mul_u32_u24_e32 v37, 36, v37
	v_and_b32_e32 v36, v36, v176
	s_wait_alu 0xf1ff
	v_xor_b32_e32 v175, s15, v173
	ds_load_b32 v173, v174 offset:1056
	v_and_b32_e32 v36, v36, v172
	; wave barrier
	s_delay_alu instid0(VALU_DEP_1) | instskip(SKIP_1) | instid1(VALU_DEP_2)
	v_and_b32_e32 v36, v36, v175
	v_add_nc_u32_e32 v175, v118, v37
	v_mbcnt_lo_u32_b32 v174, v36, 0
	v_cmp_ne_u32_e64 s15, 0, v36
	s_delay_alu instid0(VALU_DEP_2)
	v_cmp_eq_u32_e32 vcc_lo, 0, v174
	s_and_b32 s16, s15, vcc_lo
	s_wait_alu 0xfffe
	s_and_saveexec_b32 s15, s16
	s_cbranch_execz .LBB503_442
; %bb.441:                              ;   in Loop: Header=BB503_388 Depth=2
	s_wait_dscnt 0x0
	v_bcnt_u32_b32 v36, v36, v173
	ds_store_b32 v175, v36 offset:1056
.LBB503_442:                            ;   in Loop: Header=BB503_388 Depth=2
	s_wait_alu 0xfffe
	s_or_b32 exec_lo, exec_lo, s15
	v_xor_b32_e32 v172, 0x7fffffff, v43
	; wave barrier
	s_delay_alu instid0(VALU_DEP_1) | instskip(NEXT) | instid1(VALU_DEP_1)
	v_lshrrev_b32_e32 v36, s31, v172
	v_and_b32_e32 v37, s48, v36
	s_delay_alu instid0(VALU_DEP_1)
	v_and_b32_e32 v36, 1, v37
	v_lshlrev_b32_e32 v43, 30, v37
	v_lshlrev_b32_e32 v176, 29, v37
	;; [unrolled: 1-line block ×4, first 2 shown]
	v_add_co_u32 v36, s15, v36, -1
	s_wait_alu 0xf1ff
	v_cndmask_b32_e64 v178, 0, 1, s15
	v_not_b32_e32 v182, v43
	v_cmp_gt_i32_e64 s15, 0, v43
	v_not_b32_e32 v43, v176
	v_lshlrev_b32_e32 v180, 26, v37
	v_cmp_ne_u32_e32 vcc_lo, 0, v178
	v_ashrrev_i32_e32 v182, 31, v182
	v_lshlrev_b32_e32 v181, 25, v37
	v_ashrrev_i32_e32 v43, 31, v43
	v_lshlrev_b32_e32 v178, 24, v37
	s_wait_alu 0xfffd
	v_xor_b32_e32 v36, vcc_lo, v36
	v_cmp_gt_i32_e32 vcc_lo, 0, v176
	v_not_b32_e32 v176, v177
	s_wait_alu 0xf1ff
	v_xor_b32_e32 v182, s15, v182
	v_cmp_gt_i32_e64 s15, 0, v177
	v_and_b32_e32 v36, exec_lo, v36
	v_not_b32_e32 v177, v179
	v_ashrrev_i32_e32 v176, 31, v176
	s_wait_alu 0xfffd
	v_xor_b32_e32 v43, vcc_lo, v43
	v_cmp_gt_i32_e32 vcc_lo, 0, v179
	v_and_b32_e32 v36, v36, v182
	v_not_b32_e32 v179, v180
	v_ashrrev_i32_e32 v177, 31, v177
	s_wait_alu 0xf1ff
	v_xor_b32_e32 v176, s15, v176
	v_cmp_gt_i32_e64 s15, 0, v180
	v_and_b32_e32 v36, v36, v43
	v_not_b32_e32 v43, v181
	v_ashrrev_i32_e32 v179, 31, v179
	s_wait_alu 0xfffd
	v_xor_b32_e32 v177, vcc_lo, v177
	v_cmp_gt_i32_e32 vcc_lo, 0, v181
	v_and_b32_e32 v36, v36, v176
	v_not_b32_e32 v176, v178
	v_ashrrev_i32_e32 v43, 31, v43
	s_wait_alu 0xf1ff
	v_xor_b32_e32 v179, s15, v179
	v_cmp_gt_i32_e64 s15, 0, v178
	v_and_b32_e32 v36, v36, v177
	v_ashrrev_i32_e32 v176, 31, v176
	s_wait_alu 0xfffd
	v_xor_b32_e32 v43, vcc_lo, v43
	v_mad_u32_u24 v177, v37, 36, v118
	v_mul_u32_u24_e32 v37, 36, v37
	v_and_b32_e32 v36, v36, v179
	s_wait_alu 0xf1ff
	v_xor_b32_e32 v176, s15, v176
	ds_load_b32 v177, v177 offset:1056
	v_add_nc_u32_e32 v179, v118, v37
	v_and_b32_e32 v36, v36, v43
	; wave barrier
	s_delay_alu instid0(VALU_DEP_1) | instskip(NEXT) | instid1(VALU_DEP_1)
	v_and_b32_e32 v36, v36, v176
	v_mbcnt_lo_u32_b32 v178, v36, 0
	v_cmp_ne_u32_e64 s15, 0, v36
	s_delay_alu instid0(VALU_DEP_2)
	v_cmp_eq_u32_e32 vcc_lo, 0, v178
	s_and_b32 s16, s15, vcc_lo
	s_wait_alu 0xfffe
	s_and_saveexec_b32 s15, s16
	s_cbranch_execz .LBB503_444
; %bb.443:                              ;   in Loop: Header=BB503_388 Depth=2
	s_wait_dscnt 0x0
	v_bcnt_u32_b32 v36, v36, v177
	ds_store_b32 v179, v36 offset:1056
.LBB503_444:                            ;   in Loop: Header=BB503_388 Depth=2
	s_wait_alu 0xfffe
	s_or_b32 exec_lo, exec_lo, s15
	v_xor_b32_e32 v176, 0x7fffffff, v42
	; wave barrier
	s_delay_alu instid0(VALU_DEP_1) | instskip(NEXT) | instid1(VALU_DEP_1)
	v_lshrrev_b32_e32 v36, s31, v176
	v_and_b32_e32 v37, s48, v36
	s_delay_alu instid0(VALU_DEP_1)
	v_and_b32_e32 v36, 1, v37
	v_lshlrev_b32_e32 v42, 30, v37
	v_lshlrev_b32_e32 v43, 29, v37
	;; [unrolled: 1-line block ×4, first 2 shown]
	v_add_co_u32 v36, s15, v36, -1
	s_wait_alu 0xf1ff
	v_cndmask_b32_e64 v181, 0, 1, s15
	v_not_b32_e32 v185, v42
	v_cmp_gt_i32_e64 s15, 0, v42
	v_not_b32_e32 v42, v43
	v_lshlrev_b32_e32 v183, 26, v37
	v_cmp_ne_u32_e32 vcc_lo, 0, v181
	v_ashrrev_i32_e32 v185, 31, v185
	v_lshlrev_b32_e32 v184, 25, v37
	v_ashrrev_i32_e32 v42, 31, v42
	v_lshlrev_b32_e32 v181, 24, v37
	s_wait_alu 0xfffd
	v_xor_b32_e32 v36, vcc_lo, v36
	v_cmp_gt_i32_e32 vcc_lo, 0, v43
	v_not_b32_e32 v43, v180
	s_wait_alu 0xf1ff
	v_xor_b32_e32 v185, s15, v185
	v_cmp_gt_i32_e64 s15, 0, v180
	v_and_b32_e32 v36, exec_lo, v36
	v_not_b32_e32 v180, v182
	v_ashrrev_i32_e32 v43, 31, v43
	s_wait_alu 0xfffd
	v_xor_b32_e32 v42, vcc_lo, v42
	v_cmp_gt_i32_e32 vcc_lo, 0, v182
	v_and_b32_e32 v36, v36, v185
	v_not_b32_e32 v182, v183
	v_ashrrev_i32_e32 v180, 31, v180
	s_wait_alu 0xf1ff
	v_xor_b32_e32 v43, s15, v43
	v_cmp_gt_i32_e64 s15, 0, v183
	v_and_b32_e32 v36, v36, v42
	v_not_b32_e32 v42, v184
	v_ashrrev_i32_e32 v182, 31, v182
	s_wait_alu 0xfffd
	v_xor_b32_e32 v180, vcc_lo, v180
	v_cmp_gt_i32_e32 vcc_lo, 0, v184
	v_and_b32_e32 v36, v36, v43
	v_not_b32_e32 v43, v181
	v_ashrrev_i32_e32 v42, 31, v42
	s_wait_alu 0xf1ff
	v_xor_b32_e32 v182, s15, v182
	v_cmp_gt_i32_e64 s15, 0, v181
	v_and_b32_e32 v36, v36, v180
	v_ashrrev_i32_e32 v43, 31, v43
	s_wait_alu 0xfffd
	v_xor_b32_e32 v42, vcc_lo, v42
	v_mad_u32_u24 v180, v37, 36, v118
	v_mul_u32_u24_e32 v37, 36, v37
	v_and_b32_e32 v36, v36, v182
	s_wait_alu 0xf1ff
	v_xor_b32_e32 v43, s15, v43
	ds_load_b32 v181, v180 offset:1056
	v_add_nc_u32_e32 v183, v118, v37
	v_and_b32_e32 v36, v36, v42
	; wave barrier
	s_delay_alu instid0(VALU_DEP_1) | instskip(NEXT) | instid1(VALU_DEP_1)
	v_and_b32_e32 v36, v36, v43
	v_mbcnt_lo_u32_b32 v182, v36, 0
	v_cmp_ne_u32_e64 s15, 0, v36
	s_delay_alu instid0(VALU_DEP_2)
	v_cmp_eq_u32_e32 vcc_lo, 0, v182
	s_and_b32 s16, s15, vcc_lo
	s_wait_alu 0xfffe
	s_and_saveexec_b32 s15, s16
	s_cbranch_execz .LBB503_446
; %bb.445:                              ;   in Loop: Header=BB503_388 Depth=2
	s_wait_dscnt 0x0
	v_bcnt_u32_b32 v36, v36, v181
	ds_store_b32 v183, v36 offset:1056
.LBB503_446:                            ;   in Loop: Header=BB503_388 Depth=2
	s_wait_alu 0xfffe
	s_or_b32 exec_lo, exec_lo, s15
	v_xor_b32_e32 v180, 0x7fffffff, v41
	; wave barrier
	s_delay_alu instid0(VALU_DEP_1) | instskip(NEXT) | instid1(VALU_DEP_1)
	v_lshrrev_b32_e32 v36, s31, v180
	v_and_b32_e32 v37, s48, v36
	s_delay_alu instid0(VALU_DEP_1)
	v_and_b32_e32 v36, 1, v37
	v_lshlrev_b32_e32 v41, 30, v37
	v_lshlrev_b32_e32 v42, 29, v37
	v_lshlrev_b32_e32 v43, 28, v37
	v_lshlrev_b32_e32 v185, 27, v37
	v_add_co_u32 v36, s15, v36, -1
	s_wait_alu 0xf1ff
	v_cndmask_b32_e64 v184, 0, 1, s15
	v_not_b32_e32 v188, v41
	v_cmp_gt_i32_e64 s15, 0, v41
	v_not_b32_e32 v41, v42
	v_lshlrev_b32_e32 v186, 26, v37
	v_cmp_ne_u32_e32 vcc_lo, 0, v184
	v_ashrrev_i32_e32 v188, 31, v188
	v_lshlrev_b32_e32 v187, 25, v37
	v_ashrrev_i32_e32 v41, 31, v41
	v_lshlrev_b32_e32 v184, 24, v37
	s_wait_alu 0xfffd
	v_xor_b32_e32 v36, vcc_lo, v36
	v_cmp_gt_i32_e32 vcc_lo, 0, v42
	v_not_b32_e32 v42, v43
	s_wait_alu 0xf1ff
	v_xor_b32_e32 v188, s15, v188
	v_cmp_gt_i32_e64 s15, 0, v43
	v_and_b32_e32 v36, exec_lo, v36
	v_not_b32_e32 v43, v185
	v_ashrrev_i32_e32 v42, 31, v42
	s_wait_alu 0xfffd
	v_xor_b32_e32 v41, vcc_lo, v41
	v_cmp_gt_i32_e32 vcc_lo, 0, v185
	v_and_b32_e32 v36, v36, v188
	v_not_b32_e32 v185, v186
	v_ashrrev_i32_e32 v43, 31, v43
	s_wait_alu 0xf1ff
	v_xor_b32_e32 v42, s15, v42
	v_cmp_gt_i32_e64 s15, 0, v186
	v_and_b32_e32 v36, v36, v41
	v_not_b32_e32 v41, v187
	v_ashrrev_i32_e32 v185, 31, v185
	s_wait_alu 0xfffd
	v_xor_b32_e32 v43, vcc_lo, v43
	v_cmp_gt_i32_e32 vcc_lo, 0, v187
	v_and_b32_e32 v36, v36, v42
	v_not_b32_e32 v42, v184
	v_ashrrev_i32_e32 v41, 31, v41
	s_wait_alu 0xf1ff
	v_xor_b32_e32 v185, s15, v185
	v_cmp_gt_i32_e64 s15, 0, v184
	v_and_b32_e32 v36, v36, v43
	v_ashrrev_i32_e32 v42, 31, v42
	s_wait_alu 0xfffd
	v_xor_b32_e32 v41, vcc_lo, v41
	v_mad_u32_u24 v43, v37, 36, v118
	v_mul_u32_u24_e32 v37, 36, v37
	v_and_b32_e32 v36, v36, v185
	s_wait_alu 0xf1ff
	v_xor_b32_e32 v42, s15, v42
	ds_load_b32 v185, v43 offset:1056
	v_add_nc_u32_e32 v187, v118, v37
	v_and_b32_e32 v36, v36, v41
	; wave barrier
	s_delay_alu instid0(VALU_DEP_1) | instskip(NEXT) | instid1(VALU_DEP_1)
	v_and_b32_e32 v36, v36, v42
	v_mbcnt_lo_u32_b32 v186, v36, 0
	v_cmp_ne_u32_e64 s15, 0, v36
	s_delay_alu instid0(VALU_DEP_2)
	v_cmp_eq_u32_e32 vcc_lo, 0, v186
	s_and_b32 s16, s15, vcc_lo
	s_wait_alu 0xfffe
	s_and_saveexec_b32 s15, s16
	s_cbranch_execz .LBB503_448
; %bb.447:                              ;   in Loop: Header=BB503_388 Depth=2
	s_wait_dscnt 0x0
	v_bcnt_u32_b32 v36, v36, v185
	ds_store_b32 v187, v36 offset:1056
.LBB503_448:                            ;   in Loop: Header=BB503_388 Depth=2
	s_wait_alu 0xfffe
	s_or_b32 exec_lo, exec_lo, s15
	v_xor_b32_e32 v184, 0x7fffffff, v40
	; wave barrier
	s_delay_alu instid0(VALU_DEP_1) | instskip(NEXT) | instid1(VALU_DEP_1)
	v_lshrrev_b32_e32 v36, s31, v184
	v_and_b32_e32 v37, s48, v36
	s_delay_alu instid0(VALU_DEP_1)
	v_and_b32_e32 v36, 1, v37
	v_lshlrev_b32_e32 v40, 30, v37
	v_lshlrev_b32_e32 v41, 29, v37
	;; [unrolled: 1-line block ×4, first 2 shown]
	v_add_co_u32 v36, s15, v36, -1
	s_wait_alu 0xf1ff
	v_cndmask_b32_e64 v43, 0, 1, s15
	v_not_b32_e32 v191, v40
	v_cmp_gt_i32_e64 s15, 0, v40
	v_not_b32_e32 v40, v41
	v_lshlrev_b32_e32 v189, 26, v37
	v_cmp_ne_u32_e32 vcc_lo, 0, v43
	v_ashrrev_i32_e32 v191, 31, v191
	v_lshlrev_b32_e32 v190, 25, v37
	v_ashrrev_i32_e32 v40, 31, v40
	v_lshlrev_b32_e32 v43, 24, v37
	s_wait_alu 0xfffd
	v_xor_b32_e32 v36, vcc_lo, v36
	v_cmp_gt_i32_e32 vcc_lo, 0, v41
	v_not_b32_e32 v41, v42
	s_wait_alu 0xf1ff
	v_xor_b32_e32 v191, s15, v191
	v_cmp_gt_i32_e64 s15, 0, v42
	v_and_b32_e32 v36, exec_lo, v36
	v_not_b32_e32 v42, v188
	v_ashrrev_i32_e32 v41, 31, v41
	s_wait_alu 0xfffd
	v_xor_b32_e32 v40, vcc_lo, v40
	v_cmp_gt_i32_e32 vcc_lo, 0, v188
	v_and_b32_e32 v36, v36, v191
	v_not_b32_e32 v188, v189
	v_ashrrev_i32_e32 v42, 31, v42
	s_wait_alu 0xf1ff
	v_xor_b32_e32 v41, s15, v41
	v_cmp_gt_i32_e64 s15, 0, v189
	v_and_b32_e32 v36, v36, v40
	v_not_b32_e32 v40, v190
	v_ashrrev_i32_e32 v188, 31, v188
	s_wait_alu 0xfffd
	v_xor_b32_e32 v42, vcc_lo, v42
	v_cmp_gt_i32_e32 vcc_lo, 0, v190
	v_and_b32_e32 v36, v36, v41
	v_not_b32_e32 v41, v43
	v_ashrrev_i32_e32 v40, 31, v40
	s_wait_alu 0xf1ff
	v_xor_b32_e32 v188, s15, v188
	v_cmp_gt_i32_e64 s15, 0, v43
	v_and_b32_e32 v36, v36, v42
	v_ashrrev_i32_e32 v41, 31, v41
	s_wait_alu 0xfffd
	v_xor_b32_e32 v40, vcc_lo, v40
	v_mad_u32_u24 v42, v37, 36, v118
	v_mul_u32_u24_e32 v37, 36, v37
	v_and_b32_e32 v36, v36, v188
	s_wait_alu 0xf1ff
	v_xor_b32_e32 v41, s15, v41
	ds_load_b32 v189, v42 offset:1056
	v_add_nc_u32_e32 v191, v118, v37
	v_and_b32_e32 v36, v36, v40
	; wave barrier
	s_delay_alu instid0(VALU_DEP_1) | instskip(NEXT) | instid1(VALU_DEP_1)
	v_and_b32_e32 v36, v36, v41
	v_mbcnt_lo_u32_b32 v190, v36, 0
	v_cmp_ne_u32_e64 s15, 0, v36
	s_delay_alu instid0(VALU_DEP_2)
	v_cmp_eq_u32_e32 vcc_lo, 0, v190
	s_and_b32 s16, s15, vcc_lo
	s_wait_alu 0xfffe
	s_and_saveexec_b32 s15, s16
	s_cbranch_execz .LBB503_450
; %bb.449:                              ;   in Loop: Header=BB503_388 Depth=2
	s_wait_dscnt 0x0
	v_bcnt_u32_b32 v36, v36, v189
	ds_store_b32 v191, v36 offset:1056
.LBB503_450:                            ;   in Loop: Header=BB503_388 Depth=2
	s_wait_alu 0xfffe
	s_or_b32 exec_lo, exec_lo, s15
	v_xor_b32_e32 v188, 0x7fffffff, v39
	; wave barrier
	s_delay_alu instid0(VALU_DEP_1) | instskip(NEXT) | instid1(VALU_DEP_1)
	v_lshrrev_b32_e32 v36, s31, v188
	v_and_b32_e32 v37, s48, v36
	s_delay_alu instid0(VALU_DEP_1)
	v_and_b32_e32 v36, 1, v37
	v_lshlrev_b32_e32 v39, 30, v37
	v_lshlrev_b32_e32 v40, 29, v37
	;; [unrolled: 1-line block ×4, first 2 shown]
	v_add_co_u32 v36, s15, v36, -1
	s_wait_alu 0xf1ff
	v_cndmask_b32_e64 v42, 0, 1, s15
	v_not_b32_e32 v194, v39
	v_cmp_gt_i32_e64 s15, 0, v39
	v_not_b32_e32 v39, v40
	v_lshlrev_b32_e32 v192, 26, v37
	v_cmp_ne_u32_e32 vcc_lo, 0, v42
	v_ashrrev_i32_e32 v194, 31, v194
	v_lshlrev_b32_e32 v193, 25, v37
	v_ashrrev_i32_e32 v39, 31, v39
	v_lshlrev_b32_e32 v42, 24, v37
	s_wait_alu 0xfffd
	v_xor_b32_e32 v36, vcc_lo, v36
	v_cmp_gt_i32_e32 vcc_lo, 0, v40
	v_not_b32_e32 v40, v41
	s_wait_alu 0xf1ff
	v_xor_b32_e32 v194, s15, v194
	v_cmp_gt_i32_e64 s15, 0, v41
	v_and_b32_e32 v36, exec_lo, v36
	v_not_b32_e32 v41, v43
	v_ashrrev_i32_e32 v40, 31, v40
	s_wait_alu 0xfffd
	v_xor_b32_e32 v39, vcc_lo, v39
	v_cmp_gt_i32_e32 vcc_lo, 0, v43
	v_and_b32_e32 v36, v36, v194
	v_not_b32_e32 v43, v192
	v_ashrrev_i32_e32 v41, 31, v41
	s_wait_alu 0xf1ff
	v_xor_b32_e32 v40, s15, v40
	v_cmp_gt_i32_e64 s15, 0, v192
	v_and_b32_e32 v36, v36, v39
	v_not_b32_e32 v39, v193
	v_ashrrev_i32_e32 v43, 31, v43
	s_wait_alu 0xfffd
	v_xor_b32_e32 v41, vcc_lo, v41
	v_cmp_gt_i32_e32 vcc_lo, 0, v193
	v_and_b32_e32 v36, v36, v40
	v_not_b32_e32 v40, v42
	v_ashrrev_i32_e32 v39, 31, v39
	s_wait_alu 0xf1ff
	v_xor_b32_e32 v43, s15, v43
	v_cmp_gt_i32_e64 s15, 0, v42
	v_and_b32_e32 v36, v36, v41
	v_ashrrev_i32_e32 v40, 31, v40
	s_wait_alu 0xfffd
	v_xor_b32_e32 v39, vcc_lo, v39
	v_mad_u32_u24 v41, v37, 36, v118
	v_mul_u32_u24_e32 v37, 36, v37
	v_and_b32_e32 v36, v36, v43
	s_wait_alu 0xf1ff
	v_xor_b32_e32 v40, s15, v40
	ds_load_b32 v193, v41 offset:1056
	v_add_nc_u32_e32 v195, v118, v37
	v_and_b32_e32 v36, v36, v39
	; wave barrier
	s_delay_alu instid0(VALU_DEP_1) | instskip(NEXT) | instid1(VALU_DEP_1)
	v_and_b32_e32 v36, v36, v40
	v_mbcnt_lo_u32_b32 v194, v36, 0
	v_cmp_ne_u32_e64 s15, 0, v36
	s_delay_alu instid0(VALU_DEP_2)
	v_cmp_eq_u32_e32 vcc_lo, 0, v194
	s_and_b32 s16, s15, vcc_lo
	s_wait_alu 0xfffe
	s_and_saveexec_b32 s15, s16
	s_cbranch_execz .LBB503_452
; %bb.451:                              ;   in Loop: Header=BB503_388 Depth=2
	s_wait_dscnt 0x0
	v_bcnt_u32_b32 v36, v36, v193
	ds_store_b32 v195, v36 offset:1056
.LBB503_452:                            ;   in Loop: Header=BB503_388 Depth=2
	s_wait_alu 0xfffe
	s_or_b32 exec_lo, exec_lo, s15
	v_xor_b32_e32 v192, 0x7fffffff, v38
	; wave barrier
	s_delay_alu instid0(VALU_DEP_1) | instskip(NEXT) | instid1(VALU_DEP_1)
	v_lshrrev_b32_e32 v36, s31, v192
	v_and_b32_e32 v37, s48, v36
	s_delay_alu instid0(VALU_DEP_1)
	v_and_b32_e32 v36, 1, v37
	v_lshlrev_b32_e32 v38, 30, v37
	v_lshlrev_b32_e32 v39, 29, v37
	;; [unrolled: 1-line block ×4, first 2 shown]
	v_add_co_u32 v36, s15, v36, -1
	s_wait_alu 0xf1ff
	v_cndmask_b32_e64 v41, 0, 1, s15
	v_not_b32_e32 v197, v38
	v_cmp_gt_i32_e64 s15, 0, v38
	v_not_b32_e32 v38, v39
	v_lshlrev_b32_e32 v43, 26, v37
	v_cmp_ne_u32_e32 vcc_lo, 0, v41
	v_ashrrev_i32_e32 v197, 31, v197
	v_lshlrev_b32_e32 v196, 25, v37
	v_ashrrev_i32_e32 v38, 31, v38
	v_lshlrev_b32_e32 v41, 24, v37
	s_wait_alu 0xfffd
	v_xor_b32_e32 v36, vcc_lo, v36
	v_cmp_gt_i32_e32 vcc_lo, 0, v39
	v_not_b32_e32 v39, v40
	s_wait_alu 0xf1ff
	v_xor_b32_e32 v197, s15, v197
	v_cmp_gt_i32_e64 s15, 0, v40
	v_and_b32_e32 v36, exec_lo, v36
	v_not_b32_e32 v40, v42
	v_ashrrev_i32_e32 v39, 31, v39
	s_wait_alu 0xfffd
	v_xor_b32_e32 v38, vcc_lo, v38
	v_cmp_gt_i32_e32 vcc_lo, 0, v42
	v_and_b32_e32 v36, v36, v197
	v_not_b32_e32 v42, v43
	v_ashrrev_i32_e32 v40, 31, v40
	s_wait_alu 0xf1ff
	v_xor_b32_e32 v39, s15, v39
	v_cmp_gt_i32_e64 s15, 0, v43
	v_and_b32_e32 v36, v36, v38
	v_not_b32_e32 v38, v196
	v_ashrrev_i32_e32 v42, 31, v42
	s_wait_alu 0xfffd
	v_xor_b32_e32 v40, vcc_lo, v40
	v_cmp_gt_i32_e32 vcc_lo, 0, v196
	v_and_b32_e32 v36, v36, v39
	v_not_b32_e32 v39, v41
	v_ashrrev_i32_e32 v38, 31, v38
	s_wait_alu 0xf1ff
	v_xor_b32_e32 v42, s15, v42
	v_cmp_gt_i32_e64 s15, 0, v41
	v_and_b32_e32 v36, v36, v40
	v_ashrrev_i32_e32 v39, 31, v39
	s_wait_alu 0xfffd
	v_xor_b32_e32 v38, vcc_lo, v38
	v_mad_u32_u24 v40, v37, 36, v118
	v_mul_u32_u24_e32 v37, 36, v37
	v_and_b32_e32 v36, v36, v42
	s_wait_alu 0xf1ff
	v_xor_b32_e32 v39, s15, v39
	ds_load_b32 v196, v40 offset:1056
	v_add_nc_u32_e32 v198, v118, v37
	v_and_b32_e32 v36, v36, v38
	; wave barrier
	s_delay_alu instid0(VALU_DEP_1) | instskip(NEXT) | instid1(VALU_DEP_1)
	v_and_b32_e32 v36, v36, v39
	v_mbcnt_lo_u32_b32 v197, v36, 0
	v_cmp_ne_u32_e64 s15, 0, v36
	s_delay_alu instid0(VALU_DEP_2)
	v_cmp_eq_u32_e32 vcc_lo, 0, v197
	s_and_b32 s16, s15, vcc_lo
	s_wait_alu 0xfffe
	s_and_saveexec_b32 s15, s16
	s_cbranch_execz .LBB503_454
; %bb.453:                              ;   in Loop: Header=BB503_388 Depth=2
	s_wait_dscnt 0x0
	v_bcnt_u32_b32 v36, v36, v196
	ds_store_b32 v198, v36 offset:1056
.LBB503_454:                            ;   in Loop: Header=BB503_388 Depth=2
	s_wait_alu 0xfffe
	s_or_b32 exec_lo, exec_lo, s15
	v_lshrrev_b32_e32 v36, s31, v2
	; wave barrier
	s_delay_alu instid0(VALU_DEP_1) | instskip(NEXT) | instid1(VALU_DEP_1)
	v_and_b32_e32 v37, s48, v36
	v_and_b32_e32 v36, 1, v37
	v_lshlrev_b32_e32 v38, 30, v37
	v_lshlrev_b32_e32 v39, 29, v37
	;; [unrolled: 1-line block ×4, first 2 shown]
	v_add_co_u32 v36, s15, v36, -1
	s_wait_alu 0xf1ff
	v_cndmask_b32_e64 v41, 0, 1, s15
	v_not_b32_e32 v200, v38
	v_cmp_gt_i32_e64 s15, 0, v38
	v_not_b32_e32 v38, v39
	v_lshlrev_b32_e32 v43, 26, v37
	v_cmp_ne_u32_e32 vcc_lo, 0, v41
	v_ashrrev_i32_e32 v200, 31, v200
	v_lshlrev_b32_e32 v199, 25, v37
	v_ashrrev_i32_e32 v38, 31, v38
	v_lshlrev_b32_e32 v41, 24, v37
	s_wait_alu 0xfffd
	v_xor_b32_e32 v36, vcc_lo, v36
	v_cmp_gt_i32_e32 vcc_lo, 0, v39
	v_not_b32_e32 v39, v40
	s_wait_alu 0xf1ff
	v_xor_b32_e32 v200, s15, v200
	v_cmp_gt_i32_e64 s15, 0, v40
	v_and_b32_e32 v36, exec_lo, v36
	v_not_b32_e32 v40, v42
	v_ashrrev_i32_e32 v39, 31, v39
	s_wait_alu 0xfffd
	v_xor_b32_e32 v38, vcc_lo, v38
	v_cmp_gt_i32_e32 vcc_lo, 0, v42
	v_and_b32_e32 v36, v36, v200
	v_not_b32_e32 v42, v43
	v_ashrrev_i32_e32 v40, 31, v40
	s_wait_alu 0xf1ff
	v_xor_b32_e32 v39, s15, v39
	v_cmp_gt_i32_e64 s15, 0, v43
	v_and_b32_e32 v36, v36, v38
	v_not_b32_e32 v38, v199
	v_ashrrev_i32_e32 v42, 31, v42
	s_wait_alu 0xfffd
	v_xor_b32_e32 v40, vcc_lo, v40
	v_cmp_gt_i32_e32 vcc_lo, 0, v199
	v_and_b32_e32 v36, v36, v39
	v_not_b32_e32 v39, v41
	v_ashrrev_i32_e32 v38, 31, v38
	s_wait_alu 0xf1ff
	v_xor_b32_e32 v42, s15, v42
	v_cmp_gt_i32_e64 s15, 0, v41
	v_and_b32_e32 v36, v36, v40
	v_ashrrev_i32_e32 v39, 31, v39
	s_wait_alu 0xfffd
	v_xor_b32_e32 v38, vcc_lo, v38
	v_mad_u32_u24 v40, v37, 36, v118
	v_mul_u32_u24_e32 v37, 36, v37
	v_and_b32_e32 v36, v36, v42
	s_wait_alu 0xf1ff
	v_xor_b32_e32 v39, s15, v39
	ds_load_b32 v199, v40 offset:1056
	v_add_nc_u32_e32 v201, v118, v37
	v_and_b32_e32 v36, v36, v38
	; wave barrier
	s_delay_alu instid0(VALU_DEP_1) | instskip(NEXT) | instid1(VALU_DEP_1)
	v_and_b32_e32 v36, v36, v39
	v_mbcnt_lo_u32_b32 v200, v36, 0
	v_cmp_ne_u32_e64 s15, 0, v36
	s_delay_alu instid0(VALU_DEP_2)
	v_cmp_eq_u32_e32 vcc_lo, 0, v200
	s_and_b32 s16, s15, vcc_lo
	s_wait_alu 0xfffe
	s_and_saveexec_b32 s15, s16
	s_cbranch_execz .LBB503_456
; %bb.455:                              ;   in Loop: Header=BB503_388 Depth=2
	s_wait_dscnt 0x0
	v_bcnt_u32_b32 v36, v36, v199
	ds_store_b32 v201, v36 offset:1056
.LBB503_456:                            ;   in Loop: Header=BB503_388 Depth=2
	s_wait_alu 0xfffe
	s_or_b32 exec_lo, exec_lo, s15
	; wave barrier
	s_wait_loadcnt_dscnt 0x0
	s_barrier_signal -1
	s_barrier_wait -1
	global_inv scope:SCOPE_SE
	ds_load_2addr_b32 v[42:43], v140 offset1:1
	ds_load_2addr_b32 v[40:41], v141 offset1:1
	;; [unrolled: 1-line block ×4, first 2 shown]
	ds_load_b32 v202, v67 offset:1088
	s_wait_dscnt 0x3
	v_add3_u32 v203, v43, v42, v40
	s_wait_dscnt 0x2
	s_delay_alu instid0(VALU_DEP_1) | instskip(SKIP_1) | instid1(VALU_DEP_1)
	v_add3_u32 v203, v203, v41, v38
	s_wait_dscnt 0x1
	v_add3_u32 v203, v203, v39, v36
	s_wait_dscnt 0x0
	s_delay_alu instid0(VALU_DEP_1) | instskip(NEXT) | instid1(VALU_DEP_1)
	v_add3_u32 v202, v203, v37, v202
	v_mov_b32_dpp v203, v202 row_shr:1 row_mask:0xf bank_mask:0xf
	s_delay_alu instid0(VALU_DEP_1) | instskip(NEXT) | instid1(VALU_DEP_1)
	v_cndmask_b32_e64 v203, v203, 0, s0
	v_add_nc_u32_e32 v202, v203, v202
	s_delay_alu instid0(VALU_DEP_1) | instskip(NEXT) | instid1(VALU_DEP_1)
	v_mov_b32_dpp v203, v202 row_shr:2 row_mask:0xf bank_mask:0xf
	v_cndmask_b32_e64 v203, 0, v203, s1
	s_delay_alu instid0(VALU_DEP_1) | instskip(NEXT) | instid1(VALU_DEP_1)
	v_add_nc_u32_e32 v202, v202, v203
	v_mov_b32_dpp v203, v202 row_shr:4 row_mask:0xf bank_mask:0xf
	s_delay_alu instid0(VALU_DEP_1) | instskip(NEXT) | instid1(VALU_DEP_1)
	v_cndmask_b32_e64 v203, 0, v203, s9
	v_add_nc_u32_e32 v202, v202, v203
	s_delay_alu instid0(VALU_DEP_1) | instskip(NEXT) | instid1(VALU_DEP_1)
	v_mov_b32_dpp v203, v202 row_shr:8 row_mask:0xf bank_mask:0xf
	v_cndmask_b32_e64 v203, 0, v203, s10
	s_delay_alu instid0(VALU_DEP_1) | instskip(SKIP_3) | instid1(VALU_DEP_1)
	v_add_nc_u32_e32 v202, v202, v203
	ds_swizzle_b32 v203, v202 offset:swizzle(BROADCAST,32,15)
	s_wait_dscnt 0x0
	v_cndmask_b32_e64 v203, v203, 0, s11
	v_add_nc_u32_e32 v202, v202, v203
	s_and_saveexec_b32 s15, s3
; %bb.457:                              ;   in Loop: Header=BB503_388 Depth=2
	ds_store_b32 v63, v202 offset:1024
; %bb.458:                              ;   in Loop: Header=BB503_388 Depth=2
	s_wait_alu 0xfffe
	s_or_b32 exec_lo, exec_lo, s15
	s_wait_loadcnt_dscnt 0x0
	s_barrier_signal -1
	s_barrier_wait -1
	global_inv scope:SCOPE_SE
	s_and_saveexec_b32 s15, s4
	s_cbranch_execz .LBB503_460
; %bb.459:                              ;   in Loop: Header=BB503_388 Depth=2
	ds_load_b32 v203, v70 offset:1024
	s_wait_dscnt 0x0
	v_mov_b32_dpp v204, v203 row_shr:1 row_mask:0xf bank_mask:0xf
	s_delay_alu instid0(VALU_DEP_1) | instskip(NEXT) | instid1(VALU_DEP_1)
	v_cndmask_b32_e64 v204, v204, 0, s12
	v_add_nc_u32_e32 v203, v204, v203
	s_delay_alu instid0(VALU_DEP_1) | instskip(NEXT) | instid1(VALU_DEP_1)
	v_mov_b32_dpp v204, v203 row_shr:2 row_mask:0xf bank_mask:0xf
	v_cndmask_b32_e64 v204, 0, v204, s13
	s_delay_alu instid0(VALU_DEP_1) | instskip(NEXT) | instid1(VALU_DEP_1)
	v_add_nc_u32_e32 v203, v203, v204
	v_mov_b32_dpp v204, v203 row_shr:4 row_mask:0xf bank_mask:0xf
	s_delay_alu instid0(VALU_DEP_1) | instskip(NEXT) | instid1(VALU_DEP_1)
	v_cndmask_b32_e64 v204, 0, v204, s14
	v_add_nc_u32_e32 v203, v203, v204
	ds_store_b32 v70, v203 offset:1024
.LBB503_460:                            ;   in Loop: Header=BB503_388 Depth=2
	s_wait_alu 0xfffe
	s_or_b32 exec_lo, exec_lo, s15
	v_mov_b32_e32 v203, 0
	s_wait_loadcnt_dscnt 0x0
	s_barrier_signal -1
	s_barrier_wait -1
	global_inv scope:SCOPE_SE
	s_and_saveexec_b32 s15, s5
; %bb.461:                              ;   in Loop: Header=BB503_388 Depth=2
	ds_load_b32 v203, v63 offset:1020
; %bb.462:                              ;   in Loop: Header=BB503_388 Depth=2
	s_wait_alu 0xfffe
	s_or_b32 exec_lo, exec_lo, s15
	s_wait_dscnt 0x0
	v_add_nc_u32_e32 v202, v203, v202
	ds_bpermute_b32 v202, v113, v202
	s_wait_dscnt 0x0
	v_cndmask_b32_e64 v202, v202, v203, s8
	s_delay_alu instid0(VALU_DEP_1) | instskip(NEXT) | instid1(VALU_DEP_1)
	v_cndmask_b32_e64 v202, v202, 0, s6
	v_add_nc_u32_e32 v42, v202, v42
	s_delay_alu instid0(VALU_DEP_1) | instskip(NEXT) | instid1(VALU_DEP_1)
	v_add_nc_u32_e32 v43, v42, v43
	v_add_nc_u32_e32 v40, v43, v40
	s_delay_alu instid0(VALU_DEP_1) | instskip(NEXT) | instid1(VALU_DEP_1)
	v_add_nc_u32_e32 v41, v40, v41
	;; [unrolled: 3-line block ×3, first 2 shown]
	v_add_nc_u32_e32 v36, v39, v36
	s_delay_alu instid0(VALU_DEP_1)
	v_add_nc_u32_e32 v37, v36, v37
	ds_store_2addr_b32 v139, v39, v36 offset1:1
	ds_store_2addr_b32 v140, v202, v42 offset1:1
	;; [unrolled: 1-line block ×4, first 2 shown]
	ds_store_b32 v67, v37 offset:1088
	s_wait_loadcnt_dscnt 0x0
	s_barrier_signal -1
	s_barrier_wait -1
	global_inv scope:SCOPE_SE
	ds_load_b32 v39, v143 offset:1056
	ds_load_b32 v41, v147 offset:1056
	;; [unrolled: 1-line block ×17, first 2 shown]
	v_mov_b32_e32 v38, 0x1000
	s_and_saveexec_b32 s15, s7
; %bb.463:                              ;   in Loop: Header=BB503_388 Depth=2
	ds_load_b32 v38, v67 offset:1092
; %bb.464:                              ;   in Loop: Header=BB503_388 Depth=2
	s_wait_alu 0xfffe
	s_or_b32 exec_lo, exec_lo, s15
	s_wait_loadcnt_dscnt 0x0
	s_barrier_signal -1
	s_barrier_wait -1
	global_inv scope:SCOPE_SE
	s_and_saveexec_b32 s15, s2
	s_cbranch_execz .LBB503_466
; %bb.465:                              ;   in Loop: Header=BB503_388 Depth=2
	ds_load_b32 v143, v44
	s_wait_dscnt 0x0
	v_sub_nc_u32_e32 v142, v143, v142
	ds_store_b32 v44, v142
.LBB503_466:                            ;   in Loop: Header=BB503_388 Depth=2
	s_wait_alu 0xfffe
	s_or_b32 exec_lo, exec_lo, s15
	v_add_nc_u32_e32 v155, v39, v138
	v_add3_u32 v151, v146, v145, v41
	v_add3_u32 v147, v150, v149, v42
	;; [unrolled: 1-line block ×4, first 2 shown]
	v_lshlrev_b32_e32 v149, 2, v155
	v_add3_u32 v143, v162, v161, v140
	v_add3_u32 v142, v166, v165, v141
	;; [unrolled: 1-line block ×3, first 2 shown]
	v_lshlrev_b32_e32 v36, 2, v151
	v_add3_u32 v141, v170, v169, v163
	v_add3_u32 v42, v194, v193, v37
	v_lshlrev_b32_e32 v37, 2, v147
	v_add3_u32 v140, v174, v173, v168
	ds_store_b32 v149, v136 offset:1024
	v_lshlrev_b32_e32 v136, 2, v146
	v_add3_u32 v139, v178, v177, v171
	v_lshlrev_b32_e32 v149, 2, v145
	v_add3_u32 v138, v182, v181, v175
	;; [unrolled: 2-line block ×3, first 2 shown]
	ds_store_b32 v36, v137 offset:1024
	ds_store_b32 v37, v144 offset:1024
	ds_store_b32 v136, v148 offset:1024
	ds_store_b32 v149, v152 offset:1024
	ds_store_b32 v150, v156 offset:1024
	v_lshlrev_b32_e32 v36, 2, v142
	v_lshlrev_b32_e32 v37, 2, v141
	;; [unrolled: 1-line block ×3, first 2 shown]
	v_add3_u32 v41, v197, v196, v40
	v_lshlrev_b32_e32 v137, 2, v139
	v_add3_u32 v40, v200, v199, v159
	v_lshlrev_b32_e32 v144, 2, v138
	ds_store_b32 v36, v160 offset:1024
	ds_store_b32 v37, v164 offset:1024
	;; [unrolled: 1-line block ×5, first 2 shown]
	v_lshlrev_b32_e32 v36, 2, v39
	v_cmp_lt_u32_e32 vcc_lo, v1, v135
	v_lshlrev_b32_e32 v37, 2, v43
	v_lshlrev_b32_e32 v136, 2, v42
	;; [unrolled: 1-line block ×4, first 2 shown]
	ds_store_b32 v36, v180 offset:1024
	ds_store_b32 v37, v184 offset:1024
	;; [unrolled: 1-line block ×5, first 2 shown]
	s_wait_loadcnt_dscnt 0x0
	s_barrier_signal -1
	s_barrier_wait -1
	global_inv scope:SCOPE_SE
	s_and_saveexec_b32 s16, vcc_lo
	s_cbranch_execnz .LBB503_535
; %bb.467:                              ;   in Loop: Header=BB503_388 Depth=2
	s_wait_alu 0xfffe
	s_or_b32 exec_lo, exec_lo, s16
	v_cmp_lt_u32_e64 s15, v45, v135
	s_and_saveexec_b32 s17, s15
	s_cbranch_execnz .LBB503_536
.LBB503_468:                            ;   in Loop: Header=BB503_388 Depth=2
	s_wait_alu 0xfffe
	s_or_b32 exec_lo, exec_lo, s17
	v_cmp_lt_u32_e64 s16, v46, v135
	s_and_saveexec_b32 s18, s16
	s_cbranch_execnz .LBB503_537
.LBB503_469:                            ;   in Loop: Header=BB503_388 Depth=2
	s_wait_alu 0xfffe
	s_or_b32 exec_lo, exec_lo, s18
	v_cmp_lt_u32_e64 s17, v47, v135
	s_and_saveexec_b32 s19, s17
	s_cbranch_execnz .LBB503_538
.LBB503_470:                            ;   in Loop: Header=BB503_388 Depth=2
	s_wait_alu 0xfffe
	s_or_b32 exec_lo, exec_lo, s19
	v_cmp_lt_u32_e64 s18, v50, v135
	s_and_saveexec_b32 s20, s18
	s_cbranch_execnz .LBB503_539
.LBB503_471:                            ;   in Loop: Header=BB503_388 Depth=2
	s_wait_alu 0xfffe
	s_or_b32 exec_lo, exec_lo, s20
	v_cmp_lt_u32_e64 s19, v51, v135
	s_and_saveexec_b32 s21, s19
	s_cbranch_execnz .LBB503_540
.LBB503_472:                            ;   in Loop: Header=BB503_388 Depth=2
	s_wait_alu 0xfffe
	s_or_b32 exec_lo, exec_lo, s21
	v_cmp_lt_u32_e64 s20, v52, v135
	s_and_saveexec_b32 s22, s20
	s_cbranch_execnz .LBB503_541
.LBB503_473:                            ;   in Loop: Header=BB503_388 Depth=2
	s_wait_alu 0xfffe
	s_or_b32 exec_lo, exec_lo, s22
	v_cmp_lt_u32_e64 s21, v53, v135
	s_and_saveexec_b32 s23, s21
	s_cbranch_execnz .LBB503_542
.LBB503_474:                            ;   in Loop: Header=BB503_388 Depth=2
	s_wait_alu 0xfffe
	s_or_b32 exec_lo, exec_lo, s23
	v_cmp_lt_u32_e64 s22, v54, v135
	s_and_saveexec_b32 s24, s22
	s_cbranch_execnz .LBB503_543
.LBB503_475:                            ;   in Loop: Header=BB503_388 Depth=2
	s_wait_alu 0xfffe
	s_or_b32 exec_lo, exec_lo, s24
	v_cmp_lt_u32_e64 s23, v55, v135
	s_and_saveexec_b32 s25, s23
	s_cbranch_execnz .LBB503_544
.LBB503_476:                            ;   in Loop: Header=BB503_388 Depth=2
	s_wait_alu 0xfffe
	s_or_b32 exec_lo, exec_lo, s25
	v_cmp_lt_u32_e64 s24, v56, v135
	s_and_saveexec_b32 s26, s24
	s_cbranch_execnz .LBB503_545
.LBB503_477:                            ;   in Loop: Header=BB503_388 Depth=2
	s_wait_alu 0xfffe
	s_or_b32 exec_lo, exec_lo, s26
	v_cmp_lt_u32_e64 s25, v57, v135
	s_and_saveexec_b32 s27, s25
	s_cbranch_execnz .LBB503_546
.LBB503_478:                            ;   in Loop: Header=BB503_388 Depth=2
	s_wait_alu 0xfffe
	s_or_b32 exec_lo, exec_lo, s27
	v_cmp_lt_u32_e64 s26, v58, v135
	s_and_saveexec_b32 s28, s26
	s_cbranch_execnz .LBB503_547
.LBB503_479:                            ;   in Loop: Header=BB503_388 Depth=2
	s_wait_alu 0xfffe
	s_or_b32 exec_lo, exec_lo, s28
	v_cmp_lt_u32_e64 s27, v59, v135
	s_and_saveexec_b32 s29, s27
	s_cbranch_execnz .LBB503_548
.LBB503_480:                            ;   in Loop: Header=BB503_388 Depth=2
	s_wait_alu 0xfffe
	s_or_b32 exec_lo, exec_lo, s29
	v_cmp_lt_u32_e64 s28, v60, v135
	s_and_saveexec_b32 s30, s28
	s_cbranch_execnz .LBB503_549
.LBB503_481:                            ;   in Loop: Header=BB503_388 Depth=2
	s_wait_alu 0xfffe
	s_or_b32 exec_lo, exec_lo, s30
	v_cmp_lt_u32_e64 s29, v61, v135
	s_and_saveexec_b32 s56, s29
	s_cbranch_execz .LBB503_483
.LBB503_482:                            ;   in Loop: Header=BB503_388 Depth=2
	ds_load_b32 v136, v70 offset:16384
	s_wait_dscnt 0x0
	v_lshrrev_b32_e32 v2, s31, v136
	s_delay_alu instid0(VALU_DEP_1) | instskip(NEXT) | instid1(VALU_DEP_1)
	v_and_b32_e32 v2, s48, v2
	v_lshlrev_b32_e32 v2, 2, v2
	ds_load_b32 v2, v2
	s_wait_dscnt 0x0
	v_add_nc_u32_e32 v2, v2, v61
	s_delay_alu instid0(VALU_DEP_1) | instskip(SKIP_1) | instid1(VALU_DEP_2)
	v_lshlrev_b64_e32 v[36:37], 2, v[2:3]
	v_xor_b32_e32 v2, 0x7fffffff, v136
	v_add_co_u32 v36, s30, s40, v36
	s_wait_alu 0xf1ff
	s_delay_alu instid0(VALU_DEP_3)
	v_add_co_ci_u32_e64 v37, null, s41, v37, s30
	global_store_b32 v[36:37], v2, off
.LBB503_483:                            ;   in Loop: Header=BB503_388 Depth=2
	s_wait_alu 0xfffe
	s_or_b32 exec_lo, exec_lo, s56
	s_lshl_b64 s[56:57], s[42:43], 3
	s_wait_alu 0xfffe
	v_add_co_u32 v36, s30, v114, s56
	s_wait_alu 0xf1ff
	v_add_co_ci_u32_e64 v37, null, s57, v115, s30
	v_cmp_lt_u32_e64 s30, v88, v135
	s_and_saveexec_b32 s42, s30
	s_wait_alu 0xfffe
	s_xor_b32 s30, exec_lo, s42
	s_cbranch_execnz .LBB503_550
; %bb.484:                              ;   in Loop: Header=BB503_388 Depth=2
	s_wait_alu 0xfffe
	s_or_b32 exec_lo, exec_lo, s30
	s_delay_alu instid0(SALU_CYCLE_1)
	s_mov_b32 s42, exec_lo
	v_cmpx_lt_u32_e64 v92, v135
	s_cbranch_execnz .LBB503_551
.LBB503_485:                            ;   in Loop: Header=BB503_388 Depth=2
	s_wait_alu 0xfffe
	s_or_b32 exec_lo, exec_lo, s42
	s_delay_alu instid0(SALU_CYCLE_1)
	s_mov_b32 s42, exec_lo
	v_cmpx_lt_u32_e64 v93, v135
	s_cbranch_execnz .LBB503_552
.LBB503_486:                            ;   in Loop: Header=BB503_388 Depth=2
	s_wait_alu 0xfffe
	s_or_b32 exec_lo, exec_lo, s42
	s_delay_alu instid0(SALU_CYCLE_1)
	s_mov_b32 s42, exec_lo
	v_cmpx_lt_u32_e64 v94, v135
	s_cbranch_execnz .LBB503_553
.LBB503_487:                            ;   in Loop: Header=BB503_388 Depth=2
	s_wait_alu 0xfffe
	s_or_b32 exec_lo, exec_lo, s42
	s_delay_alu instid0(SALU_CYCLE_1)
	s_mov_b32 s42, exec_lo
	v_cmpx_lt_u32_e64 v95, v135
	s_cbranch_execnz .LBB503_554
.LBB503_488:                            ;   in Loop: Header=BB503_388 Depth=2
	s_wait_alu 0xfffe
	s_or_b32 exec_lo, exec_lo, s42
	s_delay_alu instid0(SALU_CYCLE_1)
	s_mov_b32 s42, exec_lo
	v_cmpx_lt_u32_e64 v96, v135
	s_cbranch_execnz .LBB503_555
.LBB503_489:                            ;   in Loop: Header=BB503_388 Depth=2
	s_wait_alu 0xfffe
	s_or_b32 exec_lo, exec_lo, s42
	s_delay_alu instid0(SALU_CYCLE_1)
	s_mov_b32 s42, exec_lo
	v_cmpx_lt_u32_e64 v97, v135
	s_cbranch_execnz .LBB503_556
.LBB503_490:                            ;   in Loop: Header=BB503_388 Depth=2
	s_wait_alu 0xfffe
	s_or_b32 exec_lo, exec_lo, s42
	s_delay_alu instid0(SALU_CYCLE_1)
	s_mov_b32 s42, exec_lo
	v_cmpx_lt_u32_e64 v98, v135
	s_cbranch_execnz .LBB503_557
.LBB503_491:                            ;   in Loop: Header=BB503_388 Depth=2
	s_wait_alu 0xfffe
	s_or_b32 exec_lo, exec_lo, s42
	s_delay_alu instid0(SALU_CYCLE_1)
	s_mov_b32 s42, exec_lo
	v_cmpx_lt_u32_e64 v99, v135
	s_cbranch_execnz .LBB503_558
.LBB503_492:                            ;   in Loop: Header=BB503_388 Depth=2
	s_wait_alu 0xfffe
	s_or_b32 exec_lo, exec_lo, s42
	s_delay_alu instid0(SALU_CYCLE_1)
	s_mov_b32 s42, exec_lo
	v_cmpx_lt_u32_e64 v100, v135
	s_cbranch_execnz .LBB503_559
.LBB503_493:                            ;   in Loop: Header=BB503_388 Depth=2
	s_wait_alu 0xfffe
	s_or_b32 exec_lo, exec_lo, s42
	s_delay_alu instid0(SALU_CYCLE_1)
	s_mov_b32 s42, exec_lo
	v_cmpx_lt_u32_e64 v101, v135
	s_cbranch_execnz .LBB503_560
.LBB503_494:                            ;   in Loop: Header=BB503_388 Depth=2
	s_wait_alu 0xfffe
	s_or_b32 exec_lo, exec_lo, s42
	s_delay_alu instid0(SALU_CYCLE_1)
	s_mov_b32 s42, exec_lo
	v_cmpx_lt_u32_e64 v102, v135
	s_cbranch_execnz .LBB503_561
.LBB503_495:                            ;   in Loop: Header=BB503_388 Depth=2
	s_wait_alu 0xfffe
	s_or_b32 exec_lo, exec_lo, s42
	s_delay_alu instid0(SALU_CYCLE_1)
	s_mov_b32 s42, exec_lo
	v_cmpx_lt_u32_e64 v103, v135
	s_cbranch_execnz .LBB503_562
.LBB503_496:                            ;   in Loop: Header=BB503_388 Depth=2
	s_wait_alu 0xfffe
	s_or_b32 exec_lo, exec_lo, s42
	s_delay_alu instid0(SALU_CYCLE_1)
	s_mov_b32 s42, exec_lo
	v_cmpx_lt_u32_e64 v104, v135
	s_cbranch_execnz .LBB503_563
.LBB503_497:                            ;   in Loop: Header=BB503_388 Depth=2
	s_wait_alu 0xfffe
	s_or_b32 exec_lo, exec_lo, s42
	s_delay_alu instid0(SALU_CYCLE_1)
	s_mov_b32 s42, exec_lo
	v_cmpx_lt_u32_e64 v105, v135
	s_cbranch_execnz .LBB503_564
.LBB503_498:                            ;   in Loop: Header=BB503_388 Depth=2
	s_wait_alu 0xfffe
	s_or_b32 exec_lo, exec_lo, s42
	s_delay_alu instid0(SALU_CYCLE_1)
	s_mov_b32 s42, exec_lo
	v_cmpx_lt_u32_e64 v106, v135
	s_cbranch_execnz .LBB503_565
.LBB503_499:                            ;   in Loop: Header=BB503_388 Depth=2
	s_wait_alu 0xfffe
	s_or_b32 exec_lo, exec_lo, s42
	s_and_saveexec_b32 s30, vcc_lo
	s_cbranch_execnz .LBB503_566
.LBB503_500:                            ;   in Loop: Header=BB503_388 Depth=2
	s_wait_alu 0xfffe
	s_or_b32 exec_lo, exec_lo, s30
	s_and_saveexec_b32 s30, s15
	s_cbranch_execnz .LBB503_567
.LBB503_501:                            ;   in Loop: Header=BB503_388 Depth=2
	s_wait_alu 0xfffe
	s_or_b32 exec_lo, exec_lo, s30
	s_and_saveexec_b32 s30, s16
	s_cbranch_execnz .LBB503_568
.LBB503_502:                            ;   in Loop: Header=BB503_388 Depth=2
	s_wait_alu 0xfffe
	s_or_b32 exec_lo, exec_lo, s30
	s_and_saveexec_b32 s30, s17
	s_cbranch_execnz .LBB503_569
.LBB503_503:                            ;   in Loop: Header=BB503_388 Depth=2
	s_wait_alu 0xfffe
	s_or_b32 exec_lo, exec_lo, s30
	s_and_saveexec_b32 s30, s18
	s_cbranch_execnz .LBB503_570
.LBB503_504:                            ;   in Loop: Header=BB503_388 Depth=2
	s_wait_alu 0xfffe
	s_or_b32 exec_lo, exec_lo, s30
	s_and_saveexec_b32 s30, s19
	s_cbranch_execnz .LBB503_571
.LBB503_505:                            ;   in Loop: Header=BB503_388 Depth=2
	s_wait_alu 0xfffe
	s_or_b32 exec_lo, exec_lo, s30
	s_and_saveexec_b32 s30, s20
	s_cbranch_execnz .LBB503_572
.LBB503_506:                            ;   in Loop: Header=BB503_388 Depth=2
	s_wait_alu 0xfffe
	s_or_b32 exec_lo, exec_lo, s30
	s_and_saveexec_b32 s30, s21
	s_cbranch_execnz .LBB503_573
.LBB503_507:                            ;   in Loop: Header=BB503_388 Depth=2
	s_wait_alu 0xfffe
	s_or_b32 exec_lo, exec_lo, s30
	s_and_saveexec_b32 s30, s22
	s_cbranch_execnz .LBB503_574
.LBB503_508:                            ;   in Loop: Header=BB503_388 Depth=2
	s_wait_alu 0xfffe
	s_or_b32 exec_lo, exec_lo, s30
	s_and_saveexec_b32 s30, s23
	s_cbranch_execnz .LBB503_575
.LBB503_509:                            ;   in Loop: Header=BB503_388 Depth=2
	s_wait_alu 0xfffe
	s_or_b32 exec_lo, exec_lo, s30
	s_and_saveexec_b32 s30, s24
	s_cbranch_execnz .LBB503_576
.LBB503_510:                            ;   in Loop: Header=BB503_388 Depth=2
	s_wait_alu 0xfffe
	s_or_b32 exec_lo, exec_lo, s30
	s_and_saveexec_b32 s30, s25
	s_cbranch_execnz .LBB503_577
.LBB503_511:                            ;   in Loop: Header=BB503_388 Depth=2
	s_wait_alu 0xfffe
	s_or_b32 exec_lo, exec_lo, s30
	s_and_saveexec_b32 s30, s26
	s_cbranch_execnz .LBB503_578
.LBB503_512:                            ;   in Loop: Header=BB503_388 Depth=2
	s_wait_alu 0xfffe
	s_or_b32 exec_lo, exec_lo, s30
	s_and_saveexec_b32 s30, s27
	s_cbranch_execnz .LBB503_579
.LBB503_513:                            ;   in Loop: Header=BB503_388 Depth=2
	s_wait_alu 0xfffe
	s_or_b32 exec_lo, exec_lo, s30
	s_and_saveexec_b32 s30, s28
	s_cbranch_execnz .LBB503_580
.LBB503_514:                            ;   in Loop: Header=BB503_388 Depth=2
	s_wait_alu 0xfffe
	s_or_b32 exec_lo, exec_lo, s30
	s_and_saveexec_b32 s30, s29
	s_cbranch_execz .LBB503_516
.LBB503_515:                            ;   in Loop: Header=BB503_388 Depth=2
	ds_load_b32 v2, v70 offset:16384
	s_wait_dscnt 0x0
	v_lshrrev_b32_e32 v2, s31, v2
	s_delay_alu instid0(VALU_DEP_1)
	v_and_b32_e32 v119, s48, v2
.LBB503_516:                            ;   in Loop: Header=BB503_388 Depth=2
	s_wait_alu 0xfffe
	s_or_b32 exec_lo, exec_lo, s30
	v_lshlrev_b32_e32 v2, 3, v155
	s_wait_loadcnt 0x0
	s_wait_storecnt 0x0
	s_barrier_signal -1
	s_barrier_wait -1
	global_inv scope:SCOPE_SE
	ds_store_b64 v2, v[34:35] offset:1024
	v_lshlrev_b32_e32 v2, 3, v151
	v_lshlrev_b32_e32 v36, 3, v147
	v_lshlrev_b32_e32 v37, 3, v146
	v_lshlrev_b32_e32 v135, 3, v145
	v_lshlrev_b32_e32 v136, 3, v143
	ds_store_b64 v2, v[32:33] offset:1024
	ds_store_b64 v36, v[30:31] offset:1024
	ds_store_b64 v37, v[28:29] offset:1024
	ds_store_b64 v135, v[26:27] offset:1024
	ds_store_b64 v136, v[24:25] offset:1024
	v_lshlrev_b32_e32 v2, 3, v142
	v_lshlrev_b32_e32 v36, 3, v141
	v_lshlrev_b32_e32 v37, 3, v140
	v_lshlrev_b32_e32 v135, 3, v139
	v_lshlrev_b32_e32 v136, 3, v138
	ds_store_b64 v2, v[22:23] offset:1024
	ds_store_b64 v36, v[20:21] offset:1024
	ds_store_b64 v37, v[18:19] offset:1024
	ds_store_b64 v135, v[16:17] offset:1024
	;; [unrolled: 10-line block ×3, first 2 shown]
	ds_store_b64 v40, v[4:5] offset:1024
	s_wait_loadcnt_dscnt 0x0
	s_barrier_signal -1
	s_barrier_wait -1
	global_inv scope:SCOPE_SE
	s_and_saveexec_b32 s30, vcc_lo
	s_cbranch_execnz .LBB503_581
; %bb.517:                              ;   in Loop: Header=BB503_388 Depth=2
	s_wait_alu 0xfffe
	s_or_b32 exec_lo, exec_lo, s30
	s_and_saveexec_b32 s30, s15
	s_cbranch_execnz .LBB503_582
.LBB503_518:                            ;   in Loop: Header=BB503_388 Depth=2
	s_wait_alu 0xfffe
	s_or_b32 exec_lo, exec_lo, s30
	s_and_saveexec_b32 s15, s16
	s_cbranch_execnz .LBB503_583
.LBB503_519:                            ;   in Loop: Header=BB503_388 Depth=2
	s_wait_alu 0xfffe
	s_or_b32 exec_lo, exec_lo, s15
	s_and_saveexec_b32 s15, s17
	s_cbranch_execnz .LBB503_584
.LBB503_520:                            ;   in Loop: Header=BB503_388 Depth=2
	s_wait_alu 0xfffe
	s_or_b32 exec_lo, exec_lo, s15
	s_and_saveexec_b32 s15, s18
	s_cbranch_execnz .LBB503_585
.LBB503_521:                            ;   in Loop: Header=BB503_388 Depth=2
	s_wait_alu 0xfffe
	s_or_b32 exec_lo, exec_lo, s15
	s_and_saveexec_b32 s15, s19
	s_cbranch_execnz .LBB503_586
.LBB503_522:                            ;   in Loop: Header=BB503_388 Depth=2
	s_wait_alu 0xfffe
	s_or_b32 exec_lo, exec_lo, s15
	s_and_saveexec_b32 s15, s20
	s_cbranch_execnz .LBB503_587
.LBB503_523:                            ;   in Loop: Header=BB503_388 Depth=2
	s_wait_alu 0xfffe
	s_or_b32 exec_lo, exec_lo, s15
	s_and_saveexec_b32 s15, s21
	s_cbranch_execnz .LBB503_588
.LBB503_524:                            ;   in Loop: Header=BB503_388 Depth=2
	s_wait_alu 0xfffe
	s_or_b32 exec_lo, exec_lo, s15
	s_and_saveexec_b32 s15, s22
	s_cbranch_execnz .LBB503_589
.LBB503_525:                            ;   in Loop: Header=BB503_388 Depth=2
	s_wait_alu 0xfffe
	s_or_b32 exec_lo, exec_lo, s15
	s_and_saveexec_b32 s15, s23
	s_cbranch_execnz .LBB503_590
.LBB503_526:                            ;   in Loop: Header=BB503_388 Depth=2
	s_wait_alu 0xfffe
	s_or_b32 exec_lo, exec_lo, s15
	s_and_saveexec_b32 s15, s24
	s_cbranch_execnz .LBB503_591
.LBB503_527:                            ;   in Loop: Header=BB503_388 Depth=2
	s_wait_alu 0xfffe
	s_or_b32 exec_lo, exec_lo, s15
	s_and_saveexec_b32 s15, s25
	s_cbranch_execnz .LBB503_592
.LBB503_528:                            ;   in Loop: Header=BB503_388 Depth=2
	s_wait_alu 0xfffe
	s_or_b32 exec_lo, exec_lo, s15
	s_and_saveexec_b32 s15, s26
	s_cbranch_execnz .LBB503_593
.LBB503_529:                            ;   in Loop: Header=BB503_388 Depth=2
	s_wait_alu 0xfffe
	s_or_b32 exec_lo, exec_lo, s15
	s_and_saveexec_b32 s15, s27
	s_cbranch_execnz .LBB503_594
.LBB503_530:                            ;   in Loop: Header=BB503_388 Depth=2
	s_wait_alu 0xfffe
	s_or_b32 exec_lo, exec_lo, s15
	s_and_saveexec_b32 s15, s28
	s_cbranch_execnz .LBB503_595
.LBB503_531:                            ;   in Loop: Header=BB503_388 Depth=2
	s_wait_alu 0xfffe
	s_or_b32 exec_lo, exec_lo, s15
	s_and_saveexec_b32 s15, s29
	s_cbranch_execz .LBB503_533
.LBB503_532:                            ;   in Loop: Header=BB503_388 Depth=2
	v_lshlrev_b32_e32 v2, 2, v119
	v_add_nc_u32_e32 v36, v70, v44
	ds_load_b32 v2, v2
	ds_load_b64 v[36:37], v36 offset:31744
	s_wait_dscnt 0x1
	v_add_nc_u32_e32 v2, v2, v61
	s_delay_alu instid0(VALU_DEP_1) | instskip(NEXT) | instid1(VALU_DEP_1)
	v_lshlrev_b64_e32 v[39:40], 3, v[2:3]
	v_add_co_u32 v39, vcc_lo, s46, v39
	s_wait_alu 0xfffd
	s_delay_alu instid0(VALU_DEP_2)
	v_add_co_ci_u32_e64 v40, null, s47, v40, vcc_lo
	s_wait_dscnt 0x0
	global_store_b64 v[39:40], v[36:37], off
.LBB503_533:                            ;   in Loop: Header=BB503_388 Depth=2
	s_wait_alu 0xfffe
	s_or_b32 exec_lo, exec_lo, s15
	s_wait_loadcnt 0x0
	s_wait_storecnt 0x0
	s_barrier_signal -1
	s_barrier_wait -1
	global_inv scope:SCOPE_SE
	s_and_saveexec_b32 s15, s2
	s_cbranch_execz .LBB503_387
; %bb.534:                              ;   in Loop: Header=BB503_388 Depth=2
	ds_load_b32 v2, v44
	s_wait_dscnt 0x0
	v_add_nc_u32_e32 v2, v2, v38
	ds_store_b32 v44, v2
	s_branch .LBB503_387
.LBB503_535:                            ;   in Loop: Header=BB503_388 Depth=2
	ds_load_b32 v136, v70 offset:1024
	s_wait_dscnt 0x0
	v_lshrrev_b32_e32 v2, s31, v136
	s_delay_alu instid0(VALU_DEP_1) | instskip(NEXT) | instid1(VALU_DEP_1)
	v_and_b32_e32 v2, s48, v2
	v_lshlrev_b32_e32 v2, 2, v2
	ds_load_b32 v2, v2
	s_wait_dscnt 0x0
	v_add_nc_u32_e32 v2, v2, v1
	s_delay_alu instid0(VALU_DEP_1) | instskip(SKIP_1) | instid1(VALU_DEP_2)
	v_lshlrev_b64_e32 v[36:37], 2, v[2:3]
	v_xor_b32_e32 v2, 0x7fffffff, v136
	v_add_co_u32 v36, s15, s40, v36
	s_wait_alu 0xf1ff
	s_delay_alu instid0(VALU_DEP_3)
	v_add_co_ci_u32_e64 v37, null, s41, v37, s15
	global_store_b32 v[36:37], v2, off
	s_wait_alu 0xfffe
	s_or_b32 exec_lo, exec_lo, s16
	v_cmp_lt_u32_e64 s15, v45, v135
	s_and_saveexec_b32 s17, s15
	s_cbranch_execz .LBB503_468
.LBB503_536:                            ;   in Loop: Header=BB503_388 Depth=2
	ds_load_b32 v136, v70 offset:2048
	s_wait_dscnt 0x0
	v_lshrrev_b32_e32 v2, s31, v136
	s_delay_alu instid0(VALU_DEP_1) | instskip(NEXT) | instid1(VALU_DEP_1)
	v_and_b32_e32 v2, s48, v2
	v_lshlrev_b32_e32 v2, 2, v2
	ds_load_b32 v2, v2
	s_wait_dscnt 0x0
	v_add_nc_u32_e32 v2, v2, v45
	s_delay_alu instid0(VALU_DEP_1) | instskip(SKIP_1) | instid1(VALU_DEP_2)
	v_lshlrev_b64_e32 v[36:37], 2, v[2:3]
	v_xor_b32_e32 v2, 0x7fffffff, v136
	v_add_co_u32 v36, s16, s40, v36
	s_wait_alu 0xf1ff
	s_delay_alu instid0(VALU_DEP_3)
	v_add_co_ci_u32_e64 v37, null, s41, v37, s16
	global_store_b32 v[36:37], v2, off
	s_wait_alu 0xfffe
	s_or_b32 exec_lo, exec_lo, s17
	v_cmp_lt_u32_e64 s16, v46, v135
	s_and_saveexec_b32 s18, s16
	s_cbranch_execz .LBB503_469
.LBB503_537:                            ;   in Loop: Header=BB503_388 Depth=2
	ds_load_b32 v136, v70 offset:3072
	s_wait_dscnt 0x0
	v_lshrrev_b32_e32 v2, s31, v136
	s_delay_alu instid0(VALU_DEP_1) | instskip(NEXT) | instid1(VALU_DEP_1)
	v_and_b32_e32 v2, s48, v2
	v_lshlrev_b32_e32 v2, 2, v2
	ds_load_b32 v2, v2
	s_wait_dscnt 0x0
	v_add_nc_u32_e32 v2, v2, v46
	s_delay_alu instid0(VALU_DEP_1) | instskip(SKIP_1) | instid1(VALU_DEP_2)
	v_lshlrev_b64_e32 v[36:37], 2, v[2:3]
	v_xor_b32_e32 v2, 0x7fffffff, v136
	v_add_co_u32 v36, s17, s40, v36
	s_wait_alu 0xf1ff
	s_delay_alu instid0(VALU_DEP_3)
	v_add_co_ci_u32_e64 v37, null, s41, v37, s17
	global_store_b32 v[36:37], v2, off
	s_wait_alu 0xfffe
	s_or_b32 exec_lo, exec_lo, s18
	v_cmp_lt_u32_e64 s17, v47, v135
	s_and_saveexec_b32 s19, s17
	s_cbranch_execz .LBB503_470
.LBB503_538:                            ;   in Loop: Header=BB503_388 Depth=2
	ds_load_b32 v136, v70 offset:4096
	s_wait_dscnt 0x0
	v_lshrrev_b32_e32 v2, s31, v136
	s_delay_alu instid0(VALU_DEP_1) | instskip(NEXT) | instid1(VALU_DEP_1)
	v_and_b32_e32 v2, s48, v2
	v_lshlrev_b32_e32 v2, 2, v2
	ds_load_b32 v2, v2
	s_wait_dscnt 0x0
	v_add_nc_u32_e32 v2, v2, v47
	s_delay_alu instid0(VALU_DEP_1) | instskip(SKIP_1) | instid1(VALU_DEP_2)
	v_lshlrev_b64_e32 v[36:37], 2, v[2:3]
	v_xor_b32_e32 v2, 0x7fffffff, v136
	v_add_co_u32 v36, s18, s40, v36
	s_wait_alu 0xf1ff
	s_delay_alu instid0(VALU_DEP_3)
	v_add_co_ci_u32_e64 v37, null, s41, v37, s18
	global_store_b32 v[36:37], v2, off
	s_wait_alu 0xfffe
	s_or_b32 exec_lo, exec_lo, s19
	v_cmp_lt_u32_e64 s18, v50, v135
	s_and_saveexec_b32 s20, s18
	s_cbranch_execz .LBB503_471
.LBB503_539:                            ;   in Loop: Header=BB503_388 Depth=2
	ds_load_b32 v136, v70 offset:5120
	s_wait_dscnt 0x0
	v_lshrrev_b32_e32 v2, s31, v136
	s_delay_alu instid0(VALU_DEP_1) | instskip(NEXT) | instid1(VALU_DEP_1)
	v_and_b32_e32 v2, s48, v2
	v_lshlrev_b32_e32 v2, 2, v2
	ds_load_b32 v2, v2
	s_wait_dscnt 0x0
	v_add_nc_u32_e32 v2, v2, v50
	s_delay_alu instid0(VALU_DEP_1) | instskip(SKIP_1) | instid1(VALU_DEP_2)
	v_lshlrev_b64_e32 v[36:37], 2, v[2:3]
	v_xor_b32_e32 v2, 0x7fffffff, v136
	v_add_co_u32 v36, s19, s40, v36
	s_wait_alu 0xf1ff
	s_delay_alu instid0(VALU_DEP_3)
	v_add_co_ci_u32_e64 v37, null, s41, v37, s19
	global_store_b32 v[36:37], v2, off
	s_wait_alu 0xfffe
	s_or_b32 exec_lo, exec_lo, s20
	v_cmp_lt_u32_e64 s19, v51, v135
	s_and_saveexec_b32 s21, s19
	s_cbranch_execz .LBB503_472
.LBB503_540:                            ;   in Loop: Header=BB503_388 Depth=2
	ds_load_b32 v136, v70 offset:6144
	s_wait_dscnt 0x0
	v_lshrrev_b32_e32 v2, s31, v136
	s_delay_alu instid0(VALU_DEP_1) | instskip(NEXT) | instid1(VALU_DEP_1)
	v_and_b32_e32 v2, s48, v2
	v_lshlrev_b32_e32 v2, 2, v2
	ds_load_b32 v2, v2
	s_wait_dscnt 0x0
	v_add_nc_u32_e32 v2, v2, v51
	s_delay_alu instid0(VALU_DEP_1) | instskip(SKIP_1) | instid1(VALU_DEP_2)
	v_lshlrev_b64_e32 v[36:37], 2, v[2:3]
	v_xor_b32_e32 v2, 0x7fffffff, v136
	v_add_co_u32 v36, s20, s40, v36
	s_wait_alu 0xf1ff
	s_delay_alu instid0(VALU_DEP_3)
	v_add_co_ci_u32_e64 v37, null, s41, v37, s20
	global_store_b32 v[36:37], v2, off
	s_wait_alu 0xfffe
	s_or_b32 exec_lo, exec_lo, s21
	v_cmp_lt_u32_e64 s20, v52, v135
	s_and_saveexec_b32 s22, s20
	s_cbranch_execz .LBB503_473
.LBB503_541:                            ;   in Loop: Header=BB503_388 Depth=2
	ds_load_b32 v136, v70 offset:7168
	s_wait_dscnt 0x0
	v_lshrrev_b32_e32 v2, s31, v136
	s_delay_alu instid0(VALU_DEP_1) | instskip(NEXT) | instid1(VALU_DEP_1)
	v_and_b32_e32 v2, s48, v2
	v_lshlrev_b32_e32 v2, 2, v2
	ds_load_b32 v2, v2
	s_wait_dscnt 0x0
	v_add_nc_u32_e32 v2, v2, v52
	s_delay_alu instid0(VALU_DEP_1) | instskip(SKIP_1) | instid1(VALU_DEP_2)
	v_lshlrev_b64_e32 v[36:37], 2, v[2:3]
	v_xor_b32_e32 v2, 0x7fffffff, v136
	v_add_co_u32 v36, s21, s40, v36
	s_wait_alu 0xf1ff
	s_delay_alu instid0(VALU_DEP_3)
	v_add_co_ci_u32_e64 v37, null, s41, v37, s21
	global_store_b32 v[36:37], v2, off
	s_wait_alu 0xfffe
	s_or_b32 exec_lo, exec_lo, s22
	v_cmp_lt_u32_e64 s21, v53, v135
	s_and_saveexec_b32 s23, s21
	s_cbranch_execz .LBB503_474
.LBB503_542:                            ;   in Loop: Header=BB503_388 Depth=2
	ds_load_b32 v136, v70 offset:8192
	s_wait_dscnt 0x0
	v_lshrrev_b32_e32 v2, s31, v136
	s_delay_alu instid0(VALU_DEP_1) | instskip(NEXT) | instid1(VALU_DEP_1)
	v_and_b32_e32 v2, s48, v2
	v_lshlrev_b32_e32 v2, 2, v2
	ds_load_b32 v2, v2
	s_wait_dscnt 0x0
	v_add_nc_u32_e32 v2, v2, v53
	s_delay_alu instid0(VALU_DEP_1) | instskip(SKIP_1) | instid1(VALU_DEP_2)
	v_lshlrev_b64_e32 v[36:37], 2, v[2:3]
	v_xor_b32_e32 v2, 0x7fffffff, v136
	v_add_co_u32 v36, s22, s40, v36
	s_wait_alu 0xf1ff
	s_delay_alu instid0(VALU_DEP_3)
	v_add_co_ci_u32_e64 v37, null, s41, v37, s22
	global_store_b32 v[36:37], v2, off
	s_wait_alu 0xfffe
	s_or_b32 exec_lo, exec_lo, s23
	v_cmp_lt_u32_e64 s22, v54, v135
	s_and_saveexec_b32 s24, s22
	s_cbranch_execz .LBB503_475
.LBB503_543:                            ;   in Loop: Header=BB503_388 Depth=2
	ds_load_b32 v136, v70 offset:9216
	s_wait_dscnt 0x0
	v_lshrrev_b32_e32 v2, s31, v136
	s_delay_alu instid0(VALU_DEP_1) | instskip(NEXT) | instid1(VALU_DEP_1)
	v_and_b32_e32 v2, s48, v2
	v_lshlrev_b32_e32 v2, 2, v2
	ds_load_b32 v2, v2
	s_wait_dscnt 0x0
	v_add_nc_u32_e32 v2, v2, v54
	s_delay_alu instid0(VALU_DEP_1) | instskip(SKIP_1) | instid1(VALU_DEP_2)
	v_lshlrev_b64_e32 v[36:37], 2, v[2:3]
	v_xor_b32_e32 v2, 0x7fffffff, v136
	v_add_co_u32 v36, s23, s40, v36
	s_wait_alu 0xf1ff
	s_delay_alu instid0(VALU_DEP_3)
	v_add_co_ci_u32_e64 v37, null, s41, v37, s23
	global_store_b32 v[36:37], v2, off
	s_wait_alu 0xfffe
	s_or_b32 exec_lo, exec_lo, s24
	v_cmp_lt_u32_e64 s23, v55, v135
	s_and_saveexec_b32 s25, s23
	s_cbranch_execz .LBB503_476
.LBB503_544:                            ;   in Loop: Header=BB503_388 Depth=2
	ds_load_b32 v136, v70 offset:10240
	s_wait_dscnt 0x0
	v_lshrrev_b32_e32 v2, s31, v136
	s_delay_alu instid0(VALU_DEP_1) | instskip(NEXT) | instid1(VALU_DEP_1)
	v_and_b32_e32 v2, s48, v2
	v_lshlrev_b32_e32 v2, 2, v2
	ds_load_b32 v2, v2
	s_wait_dscnt 0x0
	v_add_nc_u32_e32 v2, v2, v55
	s_delay_alu instid0(VALU_DEP_1) | instskip(SKIP_1) | instid1(VALU_DEP_2)
	v_lshlrev_b64_e32 v[36:37], 2, v[2:3]
	v_xor_b32_e32 v2, 0x7fffffff, v136
	v_add_co_u32 v36, s24, s40, v36
	s_wait_alu 0xf1ff
	s_delay_alu instid0(VALU_DEP_3)
	v_add_co_ci_u32_e64 v37, null, s41, v37, s24
	global_store_b32 v[36:37], v2, off
	s_wait_alu 0xfffe
	s_or_b32 exec_lo, exec_lo, s25
	v_cmp_lt_u32_e64 s24, v56, v135
	s_and_saveexec_b32 s26, s24
	s_cbranch_execz .LBB503_477
.LBB503_545:                            ;   in Loop: Header=BB503_388 Depth=2
	ds_load_b32 v136, v70 offset:11264
	s_wait_dscnt 0x0
	v_lshrrev_b32_e32 v2, s31, v136
	s_delay_alu instid0(VALU_DEP_1) | instskip(NEXT) | instid1(VALU_DEP_1)
	v_and_b32_e32 v2, s48, v2
	v_lshlrev_b32_e32 v2, 2, v2
	ds_load_b32 v2, v2
	s_wait_dscnt 0x0
	v_add_nc_u32_e32 v2, v2, v56
	s_delay_alu instid0(VALU_DEP_1) | instskip(SKIP_1) | instid1(VALU_DEP_2)
	v_lshlrev_b64_e32 v[36:37], 2, v[2:3]
	v_xor_b32_e32 v2, 0x7fffffff, v136
	v_add_co_u32 v36, s25, s40, v36
	s_wait_alu 0xf1ff
	s_delay_alu instid0(VALU_DEP_3)
	v_add_co_ci_u32_e64 v37, null, s41, v37, s25
	global_store_b32 v[36:37], v2, off
	s_wait_alu 0xfffe
	s_or_b32 exec_lo, exec_lo, s26
	v_cmp_lt_u32_e64 s25, v57, v135
	s_and_saveexec_b32 s27, s25
	s_cbranch_execz .LBB503_478
.LBB503_546:                            ;   in Loop: Header=BB503_388 Depth=2
	ds_load_b32 v136, v70 offset:12288
	s_wait_dscnt 0x0
	v_lshrrev_b32_e32 v2, s31, v136
	s_delay_alu instid0(VALU_DEP_1) | instskip(NEXT) | instid1(VALU_DEP_1)
	v_and_b32_e32 v2, s48, v2
	v_lshlrev_b32_e32 v2, 2, v2
	ds_load_b32 v2, v2
	s_wait_dscnt 0x0
	v_add_nc_u32_e32 v2, v2, v57
	s_delay_alu instid0(VALU_DEP_1) | instskip(SKIP_1) | instid1(VALU_DEP_2)
	v_lshlrev_b64_e32 v[36:37], 2, v[2:3]
	v_xor_b32_e32 v2, 0x7fffffff, v136
	v_add_co_u32 v36, s26, s40, v36
	s_wait_alu 0xf1ff
	s_delay_alu instid0(VALU_DEP_3)
	v_add_co_ci_u32_e64 v37, null, s41, v37, s26
	global_store_b32 v[36:37], v2, off
	s_wait_alu 0xfffe
	s_or_b32 exec_lo, exec_lo, s27
	v_cmp_lt_u32_e64 s26, v58, v135
	s_and_saveexec_b32 s28, s26
	s_cbranch_execz .LBB503_479
.LBB503_547:                            ;   in Loop: Header=BB503_388 Depth=2
	ds_load_b32 v136, v70 offset:13312
	s_wait_dscnt 0x0
	v_lshrrev_b32_e32 v2, s31, v136
	s_delay_alu instid0(VALU_DEP_1) | instskip(NEXT) | instid1(VALU_DEP_1)
	v_and_b32_e32 v2, s48, v2
	v_lshlrev_b32_e32 v2, 2, v2
	ds_load_b32 v2, v2
	s_wait_dscnt 0x0
	v_add_nc_u32_e32 v2, v2, v58
	s_delay_alu instid0(VALU_DEP_1) | instskip(SKIP_1) | instid1(VALU_DEP_2)
	v_lshlrev_b64_e32 v[36:37], 2, v[2:3]
	v_xor_b32_e32 v2, 0x7fffffff, v136
	v_add_co_u32 v36, s27, s40, v36
	s_wait_alu 0xf1ff
	s_delay_alu instid0(VALU_DEP_3)
	v_add_co_ci_u32_e64 v37, null, s41, v37, s27
	global_store_b32 v[36:37], v2, off
	s_wait_alu 0xfffe
	s_or_b32 exec_lo, exec_lo, s28
	v_cmp_lt_u32_e64 s27, v59, v135
	s_and_saveexec_b32 s29, s27
	s_cbranch_execz .LBB503_480
.LBB503_548:                            ;   in Loop: Header=BB503_388 Depth=2
	ds_load_b32 v136, v70 offset:14336
	s_wait_dscnt 0x0
	v_lshrrev_b32_e32 v2, s31, v136
	s_delay_alu instid0(VALU_DEP_1) | instskip(NEXT) | instid1(VALU_DEP_1)
	v_and_b32_e32 v2, s48, v2
	v_lshlrev_b32_e32 v2, 2, v2
	ds_load_b32 v2, v2
	s_wait_dscnt 0x0
	v_add_nc_u32_e32 v2, v2, v59
	s_delay_alu instid0(VALU_DEP_1) | instskip(SKIP_1) | instid1(VALU_DEP_2)
	v_lshlrev_b64_e32 v[36:37], 2, v[2:3]
	v_xor_b32_e32 v2, 0x7fffffff, v136
	v_add_co_u32 v36, s28, s40, v36
	s_wait_alu 0xf1ff
	s_delay_alu instid0(VALU_DEP_3)
	v_add_co_ci_u32_e64 v37, null, s41, v37, s28
	global_store_b32 v[36:37], v2, off
	s_wait_alu 0xfffe
	s_or_b32 exec_lo, exec_lo, s29
	v_cmp_lt_u32_e64 s28, v60, v135
	s_and_saveexec_b32 s30, s28
	s_cbranch_execz .LBB503_481
.LBB503_549:                            ;   in Loop: Header=BB503_388 Depth=2
	ds_load_b32 v136, v70 offset:15360
	s_wait_dscnt 0x0
	v_lshrrev_b32_e32 v2, s31, v136
	s_delay_alu instid0(VALU_DEP_1) | instskip(NEXT) | instid1(VALU_DEP_1)
	v_and_b32_e32 v2, s48, v2
	v_lshlrev_b32_e32 v2, 2, v2
	ds_load_b32 v2, v2
	s_wait_dscnt 0x0
	v_add_nc_u32_e32 v2, v2, v60
	s_delay_alu instid0(VALU_DEP_1) | instskip(SKIP_1) | instid1(VALU_DEP_2)
	v_lshlrev_b64_e32 v[36:37], 2, v[2:3]
	v_xor_b32_e32 v2, 0x7fffffff, v136
	v_add_co_u32 v36, s29, s40, v36
	s_wait_alu 0xf1ff
	s_delay_alu instid0(VALU_DEP_3)
	v_add_co_ci_u32_e64 v37, null, s41, v37, s29
	global_store_b32 v[36:37], v2, off
	s_wait_alu 0xfffe
	s_or_b32 exec_lo, exec_lo, s30
	v_cmp_lt_u32_e64 s29, v61, v135
	s_and_saveexec_b32 s56, s29
	s_cbranch_execnz .LBB503_482
	s_branch .LBB503_483
.LBB503_550:                            ;   in Loop: Header=BB503_388 Depth=2
	global_load_b64 v[34:35], v[36:37], off
	s_wait_alu 0xfffe
	s_or_b32 exec_lo, exec_lo, s30
	s_delay_alu instid0(SALU_CYCLE_1)
	s_mov_b32 s42, exec_lo
	v_cmpx_lt_u32_e64 v92, v135
	s_cbranch_execz .LBB503_485
.LBB503_551:                            ;   in Loop: Header=BB503_388 Depth=2
	global_load_b64 v[32:33], v[36:37], off offset:256
	s_wait_alu 0xfffe
	s_or_b32 exec_lo, exec_lo, s42
	s_delay_alu instid0(SALU_CYCLE_1)
	s_mov_b32 s42, exec_lo
	v_cmpx_lt_u32_e64 v93, v135
	s_cbranch_execz .LBB503_486
.LBB503_552:                            ;   in Loop: Header=BB503_388 Depth=2
	global_load_b64 v[30:31], v[36:37], off offset:512
	s_wait_alu 0xfffe
	s_or_b32 exec_lo, exec_lo, s42
	s_delay_alu instid0(SALU_CYCLE_1)
	s_mov_b32 s42, exec_lo
	v_cmpx_lt_u32_e64 v94, v135
	s_cbranch_execz .LBB503_487
.LBB503_553:                            ;   in Loop: Header=BB503_388 Depth=2
	global_load_b64 v[28:29], v[36:37], off offset:768
	s_wait_alu 0xfffe
	s_or_b32 exec_lo, exec_lo, s42
	s_delay_alu instid0(SALU_CYCLE_1)
	s_mov_b32 s42, exec_lo
	v_cmpx_lt_u32_e64 v95, v135
	s_cbranch_execz .LBB503_488
.LBB503_554:                            ;   in Loop: Header=BB503_388 Depth=2
	global_load_b64 v[26:27], v[36:37], off offset:1024
	s_wait_alu 0xfffe
	s_or_b32 exec_lo, exec_lo, s42
	s_delay_alu instid0(SALU_CYCLE_1)
	s_mov_b32 s42, exec_lo
	v_cmpx_lt_u32_e64 v96, v135
	s_cbranch_execz .LBB503_489
.LBB503_555:                            ;   in Loop: Header=BB503_388 Depth=2
	global_load_b64 v[24:25], v[36:37], off offset:1280
	s_wait_alu 0xfffe
	s_or_b32 exec_lo, exec_lo, s42
	s_delay_alu instid0(SALU_CYCLE_1)
	s_mov_b32 s42, exec_lo
	v_cmpx_lt_u32_e64 v97, v135
	s_cbranch_execz .LBB503_490
.LBB503_556:                            ;   in Loop: Header=BB503_388 Depth=2
	global_load_b64 v[22:23], v[36:37], off offset:1536
	s_wait_alu 0xfffe
	s_or_b32 exec_lo, exec_lo, s42
	s_delay_alu instid0(SALU_CYCLE_1)
	s_mov_b32 s42, exec_lo
	v_cmpx_lt_u32_e64 v98, v135
	s_cbranch_execz .LBB503_491
.LBB503_557:                            ;   in Loop: Header=BB503_388 Depth=2
	global_load_b64 v[20:21], v[36:37], off offset:1792
	s_wait_alu 0xfffe
	s_or_b32 exec_lo, exec_lo, s42
	s_delay_alu instid0(SALU_CYCLE_1)
	s_mov_b32 s42, exec_lo
	v_cmpx_lt_u32_e64 v99, v135
	s_cbranch_execz .LBB503_492
.LBB503_558:                            ;   in Loop: Header=BB503_388 Depth=2
	global_load_b64 v[18:19], v[36:37], off offset:2048
	s_wait_alu 0xfffe
	s_or_b32 exec_lo, exec_lo, s42
	s_delay_alu instid0(SALU_CYCLE_1)
	s_mov_b32 s42, exec_lo
	v_cmpx_lt_u32_e64 v100, v135
	s_cbranch_execz .LBB503_493
.LBB503_559:                            ;   in Loop: Header=BB503_388 Depth=2
	global_load_b64 v[16:17], v[36:37], off offset:2304
	s_wait_alu 0xfffe
	s_or_b32 exec_lo, exec_lo, s42
	s_delay_alu instid0(SALU_CYCLE_1)
	s_mov_b32 s42, exec_lo
	v_cmpx_lt_u32_e64 v101, v135
	s_cbranch_execz .LBB503_494
.LBB503_560:                            ;   in Loop: Header=BB503_388 Depth=2
	global_load_b64 v[14:15], v[36:37], off offset:2560
	s_wait_alu 0xfffe
	s_or_b32 exec_lo, exec_lo, s42
	s_delay_alu instid0(SALU_CYCLE_1)
	s_mov_b32 s42, exec_lo
	v_cmpx_lt_u32_e64 v102, v135
	s_cbranch_execz .LBB503_495
.LBB503_561:                            ;   in Loop: Header=BB503_388 Depth=2
	global_load_b64 v[12:13], v[36:37], off offset:2816
	s_wait_alu 0xfffe
	s_or_b32 exec_lo, exec_lo, s42
	s_delay_alu instid0(SALU_CYCLE_1)
	s_mov_b32 s42, exec_lo
	v_cmpx_lt_u32_e64 v103, v135
	s_cbranch_execz .LBB503_496
.LBB503_562:                            ;   in Loop: Header=BB503_388 Depth=2
	global_load_b64 v[10:11], v[36:37], off offset:3072
	s_wait_alu 0xfffe
	s_or_b32 exec_lo, exec_lo, s42
	s_delay_alu instid0(SALU_CYCLE_1)
	s_mov_b32 s42, exec_lo
	v_cmpx_lt_u32_e64 v104, v135
	s_cbranch_execz .LBB503_497
.LBB503_563:                            ;   in Loop: Header=BB503_388 Depth=2
	global_load_b64 v[8:9], v[36:37], off offset:3328
	s_wait_alu 0xfffe
	s_or_b32 exec_lo, exec_lo, s42
	s_delay_alu instid0(SALU_CYCLE_1)
	s_mov_b32 s42, exec_lo
	v_cmpx_lt_u32_e64 v105, v135
	s_cbranch_execz .LBB503_498
.LBB503_564:                            ;   in Loop: Header=BB503_388 Depth=2
	global_load_b64 v[6:7], v[36:37], off offset:3584
	s_wait_alu 0xfffe
	s_or_b32 exec_lo, exec_lo, s42
	s_delay_alu instid0(SALU_CYCLE_1)
	s_mov_b32 s42, exec_lo
	v_cmpx_lt_u32_e64 v106, v135
	s_cbranch_execz .LBB503_499
.LBB503_565:                            ;   in Loop: Header=BB503_388 Depth=2
	global_load_b64 v[4:5], v[36:37], off offset:3840
	s_wait_alu 0xfffe
	s_or_b32 exec_lo, exec_lo, s42
	s_and_saveexec_b32 s30, vcc_lo
	s_cbranch_execz .LBB503_500
.LBB503_566:                            ;   in Loop: Header=BB503_388 Depth=2
	ds_load_b32 v2, v70 offset:1024
	s_wait_dscnt 0x0
	v_lshrrev_b32_e32 v2, s31, v2
	s_delay_alu instid0(VALU_DEP_1)
	v_and_b32_e32 v134, s48, v2
	s_wait_alu 0xfffe
	s_or_b32 exec_lo, exec_lo, s30
	s_and_saveexec_b32 s30, s15
	s_cbranch_execz .LBB503_501
.LBB503_567:                            ;   in Loop: Header=BB503_388 Depth=2
	ds_load_b32 v2, v70 offset:2048
	s_wait_dscnt 0x0
	v_lshrrev_b32_e32 v2, s31, v2
	s_delay_alu instid0(VALU_DEP_1)
	v_and_b32_e32 v133, s48, v2
	s_wait_alu 0xfffe
	s_or_b32 exec_lo, exec_lo, s30
	s_and_saveexec_b32 s30, s16
	s_cbranch_execz .LBB503_502
.LBB503_568:                            ;   in Loop: Header=BB503_388 Depth=2
	ds_load_b32 v2, v70 offset:3072
	s_wait_dscnt 0x0
	v_lshrrev_b32_e32 v2, s31, v2
	s_delay_alu instid0(VALU_DEP_1)
	v_and_b32_e32 v132, s48, v2
	s_wait_alu 0xfffe
	s_or_b32 exec_lo, exec_lo, s30
	s_and_saveexec_b32 s30, s17
	s_cbranch_execz .LBB503_503
.LBB503_569:                            ;   in Loop: Header=BB503_388 Depth=2
	ds_load_b32 v2, v70 offset:4096
	s_wait_dscnt 0x0
	v_lshrrev_b32_e32 v2, s31, v2
	s_delay_alu instid0(VALU_DEP_1)
	v_and_b32_e32 v131, s48, v2
	s_wait_alu 0xfffe
	s_or_b32 exec_lo, exec_lo, s30
	s_and_saveexec_b32 s30, s18
	s_cbranch_execz .LBB503_504
.LBB503_570:                            ;   in Loop: Header=BB503_388 Depth=2
	ds_load_b32 v2, v70 offset:5120
	s_wait_dscnt 0x0
	v_lshrrev_b32_e32 v2, s31, v2
	s_delay_alu instid0(VALU_DEP_1)
	v_and_b32_e32 v130, s48, v2
	s_wait_alu 0xfffe
	s_or_b32 exec_lo, exec_lo, s30
	s_and_saveexec_b32 s30, s19
	s_cbranch_execz .LBB503_505
.LBB503_571:                            ;   in Loop: Header=BB503_388 Depth=2
	ds_load_b32 v2, v70 offset:6144
	s_wait_dscnt 0x0
	v_lshrrev_b32_e32 v2, s31, v2
	s_delay_alu instid0(VALU_DEP_1)
	v_and_b32_e32 v129, s48, v2
	s_wait_alu 0xfffe
	s_or_b32 exec_lo, exec_lo, s30
	s_and_saveexec_b32 s30, s20
	s_cbranch_execz .LBB503_506
.LBB503_572:                            ;   in Loop: Header=BB503_388 Depth=2
	ds_load_b32 v2, v70 offset:7168
	s_wait_dscnt 0x0
	v_lshrrev_b32_e32 v2, s31, v2
	s_delay_alu instid0(VALU_DEP_1)
	v_and_b32_e32 v128, s48, v2
	s_wait_alu 0xfffe
	s_or_b32 exec_lo, exec_lo, s30
	s_and_saveexec_b32 s30, s21
	s_cbranch_execz .LBB503_507
.LBB503_573:                            ;   in Loop: Header=BB503_388 Depth=2
	ds_load_b32 v2, v70 offset:8192
	s_wait_dscnt 0x0
	v_lshrrev_b32_e32 v2, s31, v2
	s_delay_alu instid0(VALU_DEP_1)
	v_and_b32_e32 v127, s48, v2
	s_wait_alu 0xfffe
	s_or_b32 exec_lo, exec_lo, s30
	s_and_saveexec_b32 s30, s22
	s_cbranch_execz .LBB503_508
.LBB503_574:                            ;   in Loop: Header=BB503_388 Depth=2
	ds_load_b32 v2, v70 offset:9216
	s_wait_dscnt 0x0
	v_lshrrev_b32_e32 v2, s31, v2
	s_delay_alu instid0(VALU_DEP_1)
	v_and_b32_e32 v126, s48, v2
	s_wait_alu 0xfffe
	s_or_b32 exec_lo, exec_lo, s30
	s_and_saveexec_b32 s30, s23
	s_cbranch_execz .LBB503_509
.LBB503_575:                            ;   in Loop: Header=BB503_388 Depth=2
	ds_load_b32 v2, v70 offset:10240
	s_wait_dscnt 0x0
	v_lshrrev_b32_e32 v2, s31, v2
	s_delay_alu instid0(VALU_DEP_1)
	v_and_b32_e32 v125, s48, v2
	s_wait_alu 0xfffe
	s_or_b32 exec_lo, exec_lo, s30
	s_and_saveexec_b32 s30, s24
	s_cbranch_execz .LBB503_510
.LBB503_576:                            ;   in Loop: Header=BB503_388 Depth=2
	ds_load_b32 v2, v70 offset:11264
	s_wait_dscnt 0x0
	v_lshrrev_b32_e32 v2, s31, v2
	s_delay_alu instid0(VALU_DEP_1)
	v_and_b32_e32 v124, s48, v2
	s_wait_alu 0xfffe
	s_or_b32 exec_lo, exec_lo, s30
	s_and_saveexec_b32 s30, s25
	s_cbranch_execz .LBB503_511
.LBB503_577:                            ;   in Loop: Header=BB503_388 Depth=2
	ds_load_b32 v2, v70 offset:12288
	s_wait_dscnt 0x0
	v_lshrrev_b32_e32 v2, s31, v2
	s_delay_alu instid0(VALU_DEP_1)
	v_and_b32_e32 v123, s48, v2
	s_wait_alu 0xfffe
	s_or_b32 exec_lo, exec_lo, s30
	s_and_saveexec_b32 s30, s26
	s_cbranch_execz .LBB503_512
.LBB503_578:                            ;   in Loop: Header=BB503_388 Depth=2
	ds_load_b32 v2, v70 offset:13312
	s_wait_dscnt 0x0
	v_lshrrev_b32_e32 v2, s31, v2
	s_delay_alu instid0(VALU_DEP_1)
	v_and_b32_e32 v122, s48, v2
	s_wait_alu 0xfffe
	s_or_b32 exec_lo, exec_lo, s30
	s_and_saveexec_b32 s30, s27
	s_cbranch_execz .LBB503_513
.LBB503_579:                            ;   in Loop: Header=BB503_388 Depth=2
	ds_load_b32 v2, v70 offset:14336
	s_wait_dscnt 0x0
	v_lshrrev_b32_e32 v2, s31, v2
	s_delay_alu instid0(VALU_DEP_1)
	v_and_b32_e32 v121, s48, v2
	s_wait_alu 0xfffe
	s_or_b32 exec_lo, exec_lo, s30
	s_and_saveexec_b32 s30, s28
	s_cbranch_execz .LBB503_514
.LBB503_580:                            ;   in Loop: Header=BB503_388 Depth=2
	ds_load_b32 v2, v70 offset:15360
	s_wait_dscnt 0x0
	v_lshrrev_b32_e32 v2, s31, v2
	s_delay_alu instid0(VALU_DEP_1)
	v_and_b32_e32 v120, s48, v2
	s_wait_alu 0xfffe
	s_or_b32 exec_lo, exec_lo, s30
	s_and_saveexec_b32 s30, s29
	s_cbranch_execnz .LBB503_515
	s_branch .LBB503_516
.LBB503_581:                            ;   in Loop: Header=BB503_388 Depth=2
	v_lshlrev_b32_e32 v2, 2, v134
	v_add_nc_u32_e32 v36, v70, v44
	ds_load_b32 v2, v2
	ds_load_b64 v[36:37], v36 offset:1024
	s_wait_dscnt 0x1
	v_add_nc_u32_e32 v2, v2, v1
	s_delay_alu instid0(VALU_DEP_1) | instskip(NEXT) | instid1(VALU_DEP_1)
	v_lshlrev_b64_e32 v[39:40], 3, v[2:3]
	v_add_co_u32 v39, vcc_lo, s46, v39
	s_wait_alu 0xfffd
	s_delay_alu instid0(VALU_DEP_2)
	v_add_co_ci_u32_e64 v40, null, s47, v40, vcc_lo
	s_wait_dscnt 0x0
	global_store_b64 v[39:40], v[36:37], off
	s_wait_alu 0xfffe
	s_or_b32 exec_lo, exec_lo, s30
	s_and_saveexec_b32 s30, s15
	s_cbranch_execz .LBB503_518
.LBB503_582:                            ;   in Loop: Header=BB503_388 Depth=2
	v_lshlrev_b32_e32 v2, 2, v133
	v_add_nc_u32_e32 v36, v70, v44
	ds_load_b32 v2, v2
	ds_load_b64 v[36:37], v36 offset:3072
	s_wait_dscnt 0x1
	v_add_nc_u32_e32 v2, v2, v45
	s_delay_alu instid0(VALU_DEP_1) | instskip(NEXT) | instid1(VALU_DEP_1)
	v_lshlrev_b64_e32 v[39:40], 3, v[2:3]
	v_add_co_u32 v39, vcc_lo, s46, v39
	s_wait_alu 0xfffd
	s_delay_alu instid0(VALU_DEP_2)
	v_add_co_ci_u32_e64 v40, null, s47, v40, vcc_lo
	s_wait_dscnt 0x0
	global_store_b64 v[39:40], v[36:37], off
	s_wait_alu 0xfffe
	s_or_b32 exec_lo, exec_lo, s30
	s_and_saveexec_b32 s15, s16
	s_cbranch_execz .LBB503_519
.LBB503_583:                            ;   in Loop: Header=BB503_388 Depth=2
	v_lshlrev_b32_e32 v2, 2, v132
	v_add_nc_u32_e32 v36, v70, v44
	ds_load_b32 v2, v2
	ds_load_b64 v[36:37], v36 offset:5120
	s_wait_dscnt 0x1
	v_add_nc_u32_e32 v2, v2, v46
	s_delay_alu instid0(VALU_DEP_1) | instskip(NEXT) | instid1(VALU_DEP_1)
	v_lshlrev_b64_e32 v[39:40], 3, v[2:3]
	v_add_co_u32 v39, vcc_lo, s46, v39
	s_wait_alu 0xfffd
	s_delay_alu instid0(VALU_DEP_2)
	v_add_co_ci_u32_e64 v40, null, s47, v40, vcc_lo
	s_wait_dscnt 0x0
	global_store_b64 v[39:40], v[36:37], off
	s_wait_alu 0xfffe
	s_or_b32 exec_lo, exec_lo, s15
	s_and_saveexec_b32 s15, s17
	s_cbranch_execz .LBB503_520
.LBB503_584:                            ;   in Loop: Header=BB503_388 Depth=2
	v_lshlrev_b32_e32 v2, 2, v131
	v_add_nc_u32_e32 v36, v70, v44
	ds_load_b32 v2, v2
	ds_load_b64 v[36:37], v36 offset:7168
	s_wait_dscnt 0x1
	v_add_nc_u32_e32 v2, v2, v47
	s_delay_alu instid0(VALU_DEP_1) | instskip(NEXT) | instid1(VALU_DEP_1)
	v_lshlrev_b64_e32 v[39:40], 3, v[2:3]
	v_add_co_u32 v39, vcc_lo, s46, v39
	s_wait_alu 0xfffd
	s_delay_alu instid0(VALU_DEP_2)
	v_add_co_ci_u32_e64 v40, null, s47, v40, vcc_lo
	s_wait_dscnt 0x0
	global_store_b64 v[39:40], v[36:37], off
	s_wait_alu 0xfffe
	s_or_b32 exec_lo, exec_lo, s15
	s_and_saveexec_b32 s15, s18
	s_cbranch_execz .LBB503_521
.LBB503_585:                            ;   in Loop: Header=BB503_388 Depth=2
	v_lshlrev_b32_e32 v2, 2, v130
	v_add_nc_u32_e32 v36, v70, v44
	ds_load_b32 v2, v2
	ds_load_b64 v[36:37], v36 offset:9216
	s_wait_dscnt 0x1
	v_add_nc_u32_e32 v2, v2, v50
	s_delay_alu instid0(VALU_DEP_1) | instskip(NEXT) | instid1(VALU_DEP_1)
	v_lshlrev_b64_e32 v[39:40], 3, v[2:3]
	v_add_co_u32 v39, vcc_lo, s46, v39
	s_wait_alu 0xfffd
	s_delay_alu instid0(VALU_DEP_2)
	v_add_co_ci_u32_e64 v40, null, s47, v40, vcc_lo
	s_wait_dscnt 0x0
	global_store_b64 v[39:40], v[36:37], off
	s_wait_alu 0xfffe
	s_or_b32 exec_lo, exec_lo, s15
	s_and_saveexec_b32 s15, s19
	s_cbranch_execz .LBB503_522
.LBB503_586:                            ;   in Loop: Header=BB503_388 Depth=2
	v_lshlrev_b32_e32 v2, 2, v129
	v_add_nc_u32_e32 v36, v70, v44
	ds_load_b32 v2, v2
	ds_load_b64 v[36:37], v36 offset:11264
	s_wait_dscnt 0x1
	v_add_nc_u32_e32 v2, v2, v51
	s_delay_alu instid0(VALU_DEP_1) | instskip(NEXT) | instid1(VALU_DEP_1)
	v_lshlrev_b64_e32 v[39:40], 3, v[2:3]
	v_add_co_u32 v39, vcc_lo, s46, v39
	s_wait_alu 0xfffd
	s_delay_alu instid0(VALU_DEP_2)
	v_add_co_ci_u32_e64 v40, null, s47, v40, vcc_lo
	s_wait_dscnt 0x0
	global_store_b64 v[39:40], v[36:37], off
	s_wait_alu 0xfffe
	s_or_b32 exec_lo, exec_lo, s15
	s_and_saveexec_b32 s15, s20
	s_cbranch_execz .LBB503_523
.LBB503_587:                            ;   in Loop: Header=BB503_388 Depth=2
	v_lshlrev_b32_e32 v2, 2, v128
	v_add_nc_u32_e32 v36, v70, v44
	ds_load_b32 v2, v2
	ds_load_b64 v[36:37], v36 offset:13312
	s_wait_dscnt 0x1
	v_add_nc_u32_e32 v2, v2, v52
	s_delay_alu instid0(VALU_DEP_1) | instskip(NEXT) | instid1(VALU_DEP_1)
	v_lshlrev_b64_e32 v[39:40], 3, v[2:3]
	v_add_co_u32 v39, vcc_lo, s46, v39
	s_wait_alu 0xfffd
	s_delay_alu instid0(VALU_DEP_2)
	v_add_co_ci_u32_e64 v40, null, s47, v40, vcc_lo
	s_wait_dscnt 0x0
	global_store_b64 v[39:40], v[36:37], off
	s_wait_alu 0xfffe
	s_or_b32 exec_lo, exec_lo, s15
	s_and_saveexec_b32 s15, s21
	s_cbranch_execz .LBB503_524
.LBB503_588:                            ;   in Loop: Header=BB503_388 Depth=2
	v_lshlrev_b32_e32 v2, 2, v127
	v_add_nc_u32_e32 v36, v70, v44
	ds_load_b32 v2, v2
	ds_load_b64 v[36:37], v36 offset:15360
	s_wait_dscnt 0x1
	v_add_nc_u32_e32 v2, v2, v53
	s_delay_alu instid0(VALU_DEP_1) | instskip(NEXT) | instid1(VALU_DEP_1)
	v_lshlrev_b64_e32 v[39:40], 3, v[2:3]
	v_add_co_u32 v39, vcc_lo, s46, v39
	s_wait_alu 0xfffd
	s_delay_alu instid0(VALU_DEP_2)
	v_add_co_ci_u32_e64 v40, null, s47, v40, vcc_lo
	s_wait_dscnt 0x0
	global_store_b64 v[39:40], v[36:37], off
	s_wait_alu 0xfffe
	s_or_b32 exec_lo, exec_lo, s15
	s_and_saveexec_b32 s15, s22
	s_cbranch_execz .LBB503_525
.LBB503_589:                            ;   in Loop: Header=BB503_388 Depth=2
	v_lshlrev_b32_e32 v2, 2, v126
	v_add_nc_u32_e32 v36, v70, v44
	ds_load_b32 v2, v2
	ds_load_b64 v[36:37], v36 offset:17408
	s_wait_dscnt 0x1
	v_add_nc_u32_e32 v2, v2, v54
	s_delay_alu instid0(VALU_DEP_1) | instskip(NEXT) | instid1(VALU_DEP_1)
	v_lshlrev_b64_e32 v[39:40], 3, v[2:3]
	v_add_co_u32 v39, vcc_lo, s46, v39
	s_wait_alu 0xfffd
	s_delay_alu instid0(VALU_DEP_2)
	v_add_co_ci_u32_e64 v40, null, s47, v40, vcc_lo
	s_wait_dscnt 0x0
	global_store_b64 v[39:40], v[36:37], off
	s_wait_alu 0xfffe
	s_or_b32 exec_lo, exec_lo, s15
	s_and_saveexec_b32 s15, s23
	s_cbranch_execz .LBB503_526
.LBB503_590:                            ;   in Loop: Header=BB503_388 Depth=2
	v_lshlrev_b32_e32 v2, 2, v125
	v_add_nc_u32_e32 v36, v70, v44
	ds_load_b32 v2, v2
	ds_load_b64 v[36:37], v36 offset:19456
	s_wait_dscnt 0x1
	v_add_nc_u32_e32 v2, v2, v55
	s_delay_alu instid0(VALU_DEP_1) | instskip(NEXT) | instid1(VALU_DEP_1)
	v_lshlrev_b64_e32 v[39:40], 3, v[2:3]
	v_add_co_u32 v39, vcc_lo, s46, v39
	s_wait_alu 0xfffd
	s_delay_alu instid0(VALU_DEP_2)
	v_add_co_ci_u32_e64 v40, null, s47, v40, vcc_lo
	s_wait_dscnt 0x0
	global_store_b64 v[39:40], v[36:37], off
	s_wait_alu 0xfffe
	s_or_b32 exec_lo, exec_lo, s15
	s_and_saveexec_b32 s15, s24
	s_cbranch_execz .LBB503_527
.LBB503_591:                            ;   in Loop: Header=BB503_388 Depth=2
	v_lshlrev_b32_e32 v2, 2, v124
	v_add_nc_u32_e32 v36, v70, v44
	ds_load_b32 v2, v2
	ds_load_b64 v[36:37], v36 offset:21504
	s_wait_dscnt 0x1
	v_add_nc_u32_e32 v2, v2, v56
	s_delay_alu instid0(VALU_DEP_1) | instskip(NEXT) | instid1(VALU_DEP_1)
	v_lshlrev_b64_e32 v[39:40], 3, v[2:3]
	v_add_co_u32 v39, vcc_lo, s46, v39
	s_wait_alu 0xfffd
	s_delay_alu instid0(VALU_DEP_2)
	v_add_co_ci_u32_e64 v40, null, s47, v40, vcc_lo
	s_wait_dscnt 0x0
	global_store_b64 v[39:40], v[36:37], off
	s_wait_alu 0xfffe
	s_or_b32 exec_lo, exec_lo, s15
	s_and_saveexec_b32 s15, s25
	s_cbranch_execz .LBB503_528
.LBB503_592:                            ;   in Loop: Header=BB503_388 Depth=2
	v_lshlrev_b32_e32 v2, 2, v123
	v_add_nc_u32_e32 v36, v70, v44
	ds_load_b32 v2, v2
	ds_load_b64 v[36:37], v36 offset:23552
	s_wait_dscnt 0x1
	v_add_nc_u32_e32 v2, v2, v57
	s_delay_alu instid0(VALU_DEP_1) | instskip(NEXT) | instid1(VALU_DEP_1)
	v_lshlrev_b64_e32 v[39:40], 3, v[2:3]
	v_add_co_u32 v39, vcc_lo, s46, v39
	s_wait_alu 0xfffd
	s_delay_alu instid0(VALU_DEP_2)
	v_add_co_ci_u32_e64 v40, null, s47, v40, vcc_lo
	s_wait_dscnt 0x0
	global_store_b64 v[39:40], v[36:37], off
	s_wait_alu 0xfffe
	s_or_b32 exec_lo, exec_lo, s15
	s_and_saveexec_b32 s15, s26
	s_cbranch_execz .LBB503_529
.LBB503_593:                            ;   in Loop: Header=BB503_388 Depth=2
	v_lshlrev_b32_e32 v2, 2, v122
	v_add_nc_u32_e32 v36, v70, v44
	ds_load_b32 v2, v2
	ds_load_b64 v[36:37], v36 offset:25600
	s_wait_dscnt 0x1
	v_add_nc_u32_e32 v2, v2, v58
	s_delay_alu instid0(VALU_DEP_1) | instskip(NEXT) | instid1(VALU_DEP_1)
	v_lshlrev_b64_e32 v[39:40], 3, v[2:3]
	v_add_co_u32 v39, vcc_lo, s46, v39
	s_wait_alu 0xfffd
	s_delay_alu instid0(VALU_DEP_2)
	v_add_co_ci_u32_e64 v40, null, s47, v40, vcc_lo
	s_wait_dscnt 0x0
	global_store_b64 v[39:40], v[36:37], off
	s_wait_alu 0xfffe
	s_or_b32 exec_lo, exec_lo, s15
	s_and_saveexec_b32 s15, s27
	s_cbranch_execz .LBB503_530
.LBB503_594:                            ;   in Loop: Header=BB503_388 Depth=2
	v_lshlrev_b32_e32 v2, 2, v121
	v_add_nc_u32_e32 v36, v70, v44
	ds_load_b32 v2, v2
	ds_load_b64 v[36:37], v36 offset:27648
	s_wait_dscnt 0x1
	v_add_nc_u32_e32 v2, v2, v59
	s_delay_alu instid0(VALU_DEP_1) | instskip(NEXT) | instid1(VALU_DEP_1)
	v_lshlrev_b64_e32 v[39:40], 3, v[2:3]
	v_add_co_u32 v39, vcc_lo, s46, v39
	s_wait_alu 0xfffd
	s_delay_alu instid0(VALU_DEP_2)
	v_add_co_ci_u32_e64 v40, null, s47, v40, vcc_lo
	s_wait_dscnt 0x0
	global_store_b64 v[39:40], v[36:37], off
	s_wait_alu 0xfffe
	s_or_b32 exec_lo, exec_lo, s15
	s_and_saveexec_b32 s15, s28
	s_cbranch_execz .LBB503_531
.LBB503_595:                            ;   in Loop: Header=BB503_388 Depth=2
	v_lshlrev_b32_e32 v2, 2, v120
	v_add_nc_u32_e32 v36, v70, v44
	ds_load_b32 v2, v2
	ds_load_b64 v[36:37], v36 offset:29696
	s_wait_dscnt 0x1
	v_add_nc_u32_e32 v2, v2, v60
	s_delay_alu instid0(VALU_DEP_1) | instskip(NEXT) | instid1(VALU_DEP_1)
	v_lshlrev_b64_e32 v[39:40], 3, v[2:3]
	v_add_co_u32 v39, vcc_lo, s46, v39
	s_wait_alu 0xfffd
	s_delay_alu instid0(VALU_DEP_2)
	v_add_co_ci_u32_e64 v40, null, s47, v40, vcc_lo
	s_wait_dscnt 0x0
	global_store_b64 v[39:40], v[36:37], off
	s_wait_alu 0xfffe
	s_or_b32 exec_lo, exec_lo, s15
	s_and_saveexec_b32 s15, s29
	s_cbranch_execnz .LBB503_532
	s_branch .LBB503_533
.LBB503_596:                            ;   in Loop: Header=BB503_12 Depth=1
	s_wait_loadcnt_dscnt 0x0
	s_barrier_signal -1
	s_barrier_wait -1
.LBB503_597:                            ;   in Loop: Header=BB503_12 Depth=1
	s_mov_b32 s0, 0
.LBB503_598:                            ;   in Loop: Header=BB503_12 Depth=1
	s_wait_alu 0xfffe
	s_and_not1_b32 vcc_lo, exec_lo, s0
	s_wait_alu 0xfffe
	s_cbranch_vccnz .LBB503_11
; %bb.599:                              ;   in Loop: Header=BB503_12 Depth=1
	s_and_b32 vcc_lo, exec_lo, s52
	s_mov_b32 s0, -1
	s_wait_alu 0xfffe
	s_cbranch_vccz .LBB503_891
; %bb.600:                              ;   in Loop: Header=BB503_12 Depth=1
	s_mov_b32 s9, s53
	s_mov_b32 s42, s33
	s_barrier_signal -1
	s_barrier_wait -1
	global_inv scope:SCOPE_SE
                                        ; implicit-def: $vgpr2
                                        ; implicit-def: $vgpr4
                                        ; implicit-def: $vgpr5
                                        ; implicit-def: $vgpr6
                                        ; implicit-def: $vgpr7
                                        ; implicit-def: $vgpr8
                                        ; implicit-def: $vgpr9
                                        ; implicit-def: $vgpr10
                                        ; implicit-def: $vgpr11
                                        ; implicit-def: $vgpr12
                                        ; implicit-def: $vgpr13
                                        ; implicit-def: $vgpr14
                                        ; implicit-def: $vgpr15
                                        ; implicit-def: $vgpr16
                                        ; implicit-def: $vgpr17
                                        ; implicit-def: $vgpr18
	s_branch .LBB503_602
.LBB503_601:                            ;   in Loop: Header=BB503_602 Depth=2
	s_wait_alu 0xfffe
	s_or_b32 exec_lo, exec_lo, s0
	s_addk_co_i32 s9, 0xf000
	s_cmp_ge_u32 s10, s51
	s_mov_b32 s42, s10
	s_cbranch_scc1 .LBB503_670
.LBB503_602:                            ;   Parent Loop BB503_12 Depth=1
                                        ; =>  This Inner Loop Header: Depth=2
	s_wait_alu 0xfffe
	s_add_co_i32 s10, s42, 0x1000
	s_mov_b32 s0, -1
	s_wait_alu 0xfffe
	s_cmp_gt_u32 s10, s51
                                        ; implicit-def: $vgpr19
                                        ; implicit-def: $vgpr20
                                        ; implicit-def: $vgpr21
                                        ; implicit-def: $vgpr22
                                        ; implicit-def: $vgpr23
                                        ; implicit-def: $vgpr24
                                        ; implicit-def: $vgpr25
                                        ; implicit-def: $vgpr26
                                        ; implicit-def: $vgpr27
                                        ; implicit-def: $vgpr28
                                        ; implicit-def: $vgpr29
                                        ; implicit-def: $vgpr30
                                        ; implicit-def: $vgpr31
                                        ; implicit-def: $vgpr32
                                        ; implicit-def: $vgpr33
                                        ; implicit-def: $vgpr34
	s_cbranch_scc1 .LBB503_604
; %bb.603:                              ;   in Loop: Header=BB503_602 Depth=2
	s_lshl_b64 s[0:1], s[42:43], 2
	s_wait_alu 0xfffe
	v_add_co_u32 v34, vcc_lo, v77, s0
	s_wait_alu 0xfffd
	v_add_co_ci_u32_e64 v35, null, s1, v78, vcc_lo
	s_mov_b32 s0, 0
	s_clause 0xf
	global_load_b32 v19, v[34:35], off
	global_load_b32 v20, v[34:35], off offset:1024
	global_load_b32 v21, v[34:35], off offset:2048
	;; [unrolled: 1-line block ×15, first 2 shown]
.LBB503_604:                            ;   in Loop: Header=BB503_602 Depth=2
	s_wait_alu 0xfffe
	s_and_not1_b32 vcc_lo, exec_lo, s0
	s_movk_i32 s0, 0x1000
	s_wait_alu 0xfffe
	s_cbranch_vccnz .LBB503_623
; %bb.605:                              ;   in Loop: Header=BB503_602 Depth=2
	s_lshl_b64 s[0:1], s[42:43], 2
	s_mov_b32 s11, exec_lo
	s_wait_alu 0xfffe
	s_add_nc_u64 s[0:1], s[36:37], s[0:1]
	v_cmpx_gt_u32_e64 s9, v1
	s_cbranch_execnz .LBB503_655
; %bb.606:                              ;   in Loop: Header=BB503_602 Depth=2
	s_or_b32 exec_lo, exec_lo, s11
	s_delay_alu instid0(SALU_CYCLE_1)
	s_mov_b32 s11, exec_lo
	v_cmpx_gt_u32_e64 s9, v45
	s_cbranch_execnz .LBB503_656
.LBB503_607:                            ;   in Loop: Header=BB503_602 Depth=2
	s_wait_alu 0xfffe
	s_or_b32 exec_lo, exec_lo, s11
	s_delay_alu instid0(SALU_CYCLE_1)
	s_mov_b32 s11, exec_lo
	v_cmpx_gt_u32_e64 s9, v46
	s_cbranch_execnz .LBB503_657
.LBB503_608:                            ;   in Loop: Header=BB503_602 Depth=2
	s_wait_alu 0xfffe
	s_or_b32 exec_lo, exec_lo, s11
	s_delay_alu instid0(SALU_CYCLE_1)
	s_mov_b32 s11, exec_lo
	v_cmpx_gt_u32_e64 s9, v47
	s_cbranch_execnz .LBB503_658
.LBB503_609:                            ;   in Loop: Header=BB503_602 Depth=2
	s_wait_alu 0xfffe
	s_or_b32 exec_lo, exec_lo, s11
	s_delay_alu instid0(SALU_CYCLE_1)
	s_mov_b32 s11, exec_lo
	v_cmpx_gt_u32_e64 s9, v50
	s_cbranch_execnz .LBB503_659
.LBB503_610:                            ;   in Loop: Header=BB503_602 Depth=2
	s_wait_alu 0xfffe
	s_or_b32 exec_lo, exec_lo, s11
	s_delay_alu instid0(SALU_CYCLE_1)
	s_mov_b32 s11, exec_lo
	v_cmpx_gt_u32_e64 s9, v51
	s_cbranch_execnz .LBB503_660
.LBB503_611:                            ;   in Loop: Header=BB503_602 Depth=2
	s_wait_alu 0xfffe
	s_or_b32 exec_lo, exec_lo, s11
	s_delay_alu instid0(SALU_CYCLE_1)
	s_mov_b32 s11, exec_lo
	v_cmpx_gt_u32_e64 s9, v52
	s_cbranch_execnz .LBB503_661
.LBB503_612:                            ;   in Loop: Header=BB503_602 Depth=2
	s_wait_alu 0xfffe
	s_or_b32 exec_lo, exec_lo, s11
	s_delay_alu instid0(SALU_CYCLE_1)
	s_mov_b32 s11, exec_lo
	v_cmpx_gt_u32_e64 s9, v53
	s_cbranch_execnz .LBB503_662
.LBB503_613:                            ;   in Loop: Header=BB503_602 Depth=2
	s_wait_alu 0xfffe
	s_or_b32 exec_lo, exec_lo, s11
	s_delay_alu instid0(SALU_CYCLE_1)
	s_mov_b32 s11, exec_lo
	v_cmpx_gt_u32_e64 s9, v54
	s_cbranch_execnz .LBB503_663
.LBB503_614:                            ;   in Loop: Header=BB503_602 Depth=2
	s_wait_alu 0xfffe
	s_or_b32 exec_lo, exec_lo, s11
	s_delay_alu instid0(SALU_CYCLE_1)
	s_mov_b32 s11, exec_lo
	v_cmpx_gt_u32_e64 s9, v55
	s_cbranch_execnz .LBB503_664
.LBB503_615:                            ;   in Loop: Header=BB503_602 Depth=2
	s_wait_alu 0xfffe
	s_or_b32 exec_lo, exec_lo, s11
	s_delay_alu instid0(SALU_CYCLE_1)
	s_mov_b32 s11, exec_lo
	v_cmpx_gt_u32_e64 s9, v56
	s_cbranch_execnz .LBB503_665
.LBB503_616:                            ;   in Loop: Header=BB503_602 Depth=2
	s_wait_alu 0xfffe
	s_or_b32 exec_lo, exec_lo, s11
	s_delay_alu instid0(SALU_CYCLE_1)
	s_mov_b32 s11, exec_lo
	v_cmpx_gt_u32_e64 s9, v57
	s_cbranch_execnz .LBB503_666
.LBB503_617:                            ;   in Loop: Header=BB503_602 Depth=2
	s_wait_alu 0xfffe
	s_or_b32 exec_lo, exec_lo, s11
	s_delay_alu instid0(SALU_CYCLE_1)
	s_mov_b32 s11, exec_lo
	v_cmpx_gt_u32_e64 s9, v58
	s_cbranch_execnz .LBB503_667
.LBB503_618:                            ;   in Loop: Header=BB503_602 Depth=2
	s_wait_alu 0xfffe
	s_or_b32 exec_lo, exec_lo, s11
	s_delay_alu instid0(SALU_CYCLE_1)
	s_mov_b32 s11, exec_lo
	v_cmpx_gt_u32_e64 s9, v59
	s_cbranch_execnz .LBB503_668
.LBB503_619:                            ;   in Loop: Header=BB503_602 Depth=2
	s_wait_alu 0xfffe
	s_or_b32 exec_lo, exec_lo, s11
	s_delay_alu instid0(SALU_CYCLE_1)
	s_mov_b32 s11, exec_lo
	v_cmpx_gt_u32_e64 s9, v60
	s_cbranch_execnz .LBB503_669
.LBB503_620:                            ;   in Loop: Header=BB503_602 Depth=2
	s_wait_alu 0xfffe
	s_or_b32 exec_lo, exec_lo, s11
	s_delay_alu instid0(SALU_CYCLE_1)
	s_mov_b32 s11, exec_lo
	v_cmpx_gt_u32_e64 s9, v61
	s_cbranch_execz .LBB503_622
.LBB503_621:                            ;   in Loop: Header=BB503_602 Depth=2
	global_load_b32 v2, v108, s[0:1] offset:15360
.LBB503_622:                            ;   in Loop: Header=BB503_602 Depth=2
	s_wait_alu 0xfffe
	s_or_b32 exec_lo, exec_lo, s11
	s_wait_loadcnt 0x0
	v_dual_mov_b32 v19, v18 :: v_dual_mov_b32 v20, v17
	v_dual_mov_b32 v21, v16 :: v_dual_mov_b32 v22, v15
	;; [unrolled: 1-line block ×8, first 2 shown]
	s_mov_b32 s0, s9
.LBB503_623:                            ;   in Loop: Header=BB503_602 Depth=2
	s_wait_loadcnt 0x0
	s_delay_alu instid0(VALU_DEP_1) | instskip(NEXT) | instid1(VALU_DEP_2)
	v_dual_mov_b32 v2, v34 :: v_dual_mov_b32 v5, v32
	v_dual_mov_b32 v4, v33 :: v_dual_mov_b32 v7, v30
	;; [unrolled: 1-line block ×7, first 2 shown]
	v_mov_b32_e32 v16, v21
	v_mov_b32_e32 v18, v19
	s_mov_b32 s1, exec_lo
	s_wait_alu 0xfffe
	v_cmpx_gt_u32_e64 s0, v1
	s_cbranch_execnz .LBB503_639
; %bb.624:                              ;   in Loop: Header=BB503_602 Depth=2
	s_or_b32 exec_lo, exec_lo, s1
	s_delay_alu instid0(SALU_CYCLE_1)
	s_mov_b32 s1, exec_lo
	v_cmpx_gt_u32_e64 s0, v45
	s_cbranch_execnz .LBB503_640
.LBB503_625:                            ;   in Loop: Header=BB503_602 Depth=2
	s_wait_alu 0xfffe
	s_or_b32 exec_lo, exec_lo, s1
	s_delay_alu instid0(SALU_CYCLE_1)
	s_mov_b32 s1, exec_lo
	v_cmpx_gt_u32_e64 s0, v46
	s_cbranch_execnz .LBB503_641
.LBB503_626:                            ;   in Loop: Header=BB503_602 Depth=2
	s_wait_alu 0xfffe
	s_or_b32 exec_lo, exec_lo, s1
	s_delay_alu instid0(SALU_CYCLE_1)
	s_mov_b32 s1, exec_lo
	v_cmpx_gt_u32_e64 s0, v47
	s_cbranch_execnz .LBB503_642
.LBB503_627:                            ;   in Loop: Header=BB503_602 Depth=2
	s_wait_alu 0xfffe
	s_or_b32 exec_lo, exec_lo, s1
	s_delay_alu instid0(SALU_CYCLE_1)
	s_mov_b32 s1, exec_lo
	v_cmpx_gt_u32_e64 s0, v50
	s_cbranch_execnz .LBB503_643
.LBB503_628:                            ;   in Loop: Header=BB503_602 Depth=2
	s_wait_alu 0xfffe
	s_or_b32 exec_lo, exec_lo, s1
	s_delay_alu instid0(SALU_CYCLE_1)
	s_mov_b32 s1, exec_lo
	v_cmpx_gt_u32_e64 s0, v51
	s_cbranch_execnz .LBB503_644
.LBB503_629:                            ;   in Loop: Header=BB503_602 Depth=2
	s_wait_alu 0xfffe
	s_or_b32 exec_lo, exec_lo, s1
	s_delay_alu instid0(SALU_CYCLE_1)
	s_mov_b32 s1, exec_lo
	v_cmpx_gt_u32_e64 s0, v52
	s_cbranch_execnz .LBB503_645
.LBB503_630:                            ;   in Loop: Header=BB503_602 Depth=2
	s_wait_alu 0xfffe
	s_or_b32 exec_lo, exec_lo, s1
	s_delay_alu instid0(SALU_CYCLE_1)
	s_mov_b32 s1, exec_lo
	v_cmpx_gt_u32_e64 s0, v53
	s_cbranch_execnz .LBB503_646
.LBB503_631:                            ;   in Loop: Header=BB503_602 Depth=2
	s_wait_alu 0xfffe
	s_or_b32 exec_lo, exec_lo, s1
	s_delay_alu instid0(SALU_CYCLE_1)
	s_mov_b32 s1, exec_lo
	v_cmpx_gt_u32_e64 s0, v54
	s_cbranch_execnz .LBB503_647
.LBB503_632:                            ;   in Loop: Header=BB503_602 Depth=2
	s_wait_alu 0xfffe
	s_or_b32 exec_lo, exec_lo, s1
	s_delay_alu instid0(SALU_CYCLE_1)
	s_mov_b32 s1, exec_lo
	v_cmpx_gt_u32_e64 s0, v55
	s_cbranch_execnz .LBB503_648
.LBB503_633:                            ;   in Loop: Header=BB503_602 Depth=2
	s_wait_alu 0xfffe
	s_or_b32 exec_lo, exec_lo, s1
	s_delay_alu instid0(SALU_CYCLE_1)
	s_mov_b32 s1, exec_lo
	v_cmpx_gt_u32_e64 s0, v56
	s_cbranch_execnz .LBB503_649
.LBB503_634:                            ;   in Loop: Header=BB503_602 Depth=2
	s_wait_alu 0xfffe
	s_or_b32 exec_lo, exec_lo, s1
	s_delay_alu instid0(SALU_CYCLE_1)
	s_mov_b32 s1, exec_lo
	v_cmpx_gt_u32_e64 s0, v57
	s_cbranch_execnz .LBB503_650
.LBB503_635:                            ;   in Loop: Header=BB503_602 Depth=2
	s_wait_alu 0xfffe
	s_or_b32 exec_lo, exec_lo, s1
	s_delay_alu instid0(SALU_CYCLE_1)
	s_mov_b32 s1, exec_lo
	v_cmpx_gt_u32_e64 s0, v58
	s_cbranch_execnz .LBB503_651
.LBB503_636:                            ;   in Loop: Header=BB503_602 Depth=2
	s_wait_alu 0xfffe
	s_or_b32 exec_lo, exec_lo, s1
	s_delay_alu instid0(SALU_CYCLE_1)
	s_mov_b32 s1, exec_lo
	v_cmpx_gt_u32_e64 s0, v59
	s_cbranch_execnz .LBB503_652
.LBB503_637:                            ;   in Loop: Header=BB503_602 Depth=2
	s_wait_alu 0xfffe
	s_or_b32 exec_lo, exec_lo, s1
	s_delay_alu instid0(SALU_CYCLE_1)
	s_mov_b32 s1, exec_lo
	v_cmpx_gt_u32_e64 s0, v60
	s_cbranch_execnz .LBB503_653
.LBB503_638:                            ;   in Loop: Header=BB503_602 Depth=2
	s_wait_alu 0xfffe
	s_or_b32 exec_lo, exec_lo, s1
	v_cmp_gt_u32_e32 vcc_lo, s0, v61
	s_and_saveexec_b32 s0, vcc_lo
	s_cbranch_execz .LBB503_601
	s_branch .LBB503_654
.LBB503_639:                            ;   in Loop: Header=BB503_602 Depth=2
	v_xor_b32_e32 v19, 0x7fffffff, v18
	s_delay_alu instid0(VALU_DEP_1) | instskip(NEXT) | instid1(VALU_DEP_1)
	v_lshrrev_b32_e32 v19, s49, v19
	v_and_b32_e32 v19, s48, v19
	s_delay_alu instid0(VALU_DEP_1) | instskip(SKIP_2) | instid1(SALU_CYCLE_1)
	v_lshl_or_b32 v19, v19, 4, v62
	ds_add_u32 v19, v84
	s_or_b32 exec_lo, exec_lo, s1
	s_mov_b32 s1, exec_lo
	v_cmpx_gt_u32_e64 s0, v45
	s_cbranch_execz .LBB503_625
.LBB503_640:                            ;   in Loop: Header=BB503_602 Depth=2
	v_xor_b32_e32 v19, 0x7fffffff, v17
	s_delay_alu instid0(VALU_DEP_1) | instskip(NEXT) | instid1(VALU_DEP_1)
	v_lshrrev_b32_e32 v19, s49, v19
	v_and_b32_e32 v19, s48, v19
	s_delay_alu instid0(VALU_DEP_1) | instskip(SKIP_3) | instid1(SALU_CYCLE_1)
	v_lshl_or_b32 v19, v19, 4, v62
	ds_add_u32 v19, v84
	s_wait_alu 0xfffe
	s_or_b32 exec_lo, exec_lo, s1
	s_mov_b32 s1, exec_lo
	v_cmpx_gt_u32_e64 s0, v46
	s_cbranch_execz .LBB503_626
.LBB503_641:                            ;   in Loop: Header=BB503_602 Depth=2
	v_xor_b32_e32 v19, 0x7fffffff, v16
	s_delay_alu instid0(VALU_DEP_1) | instskip(NEXT) | instid1(VALU_DEP_1)
	v_lshrrev_b32_e32 v19, s49, v19
	v_and_b32_e32 v19, s48, v19
	s_delay_alu instid0(VALU_DEP_1) | instskip(SKIP_3) | instid1(SALU_CYCLE_1)
	v_lshl_or_b32 v19, v19, 4, v62
	ds_add_u32 v19, v84
	s_wait_alu 0xfffe
	s_or_b32 exec_lo, exec_lo, s1
	s_mov_b32 s1, exec_lo
	v_cmpx_gt_u32_e64 s0, v47
	s_cbranch_execz .LBB503_627
.LBB503_642:                            ;   in Loop: Header=BB503_602 Depth=2
	v_xor_b32_e32 v19, 0x7fffffff, v15
	s_delay_alu instid0(VALU_DEP_1) | instskip(NEXT) | instid1(VALU_DEP_1)
	v_lshrrev_b32_e32 v19, s49, v19
	v_and_b32_e32 v19, s48, v19
	s_delay_alu instid0(VALU_DEP_1) | instskip(SKIP_3) | instid1(SALU_CYCLE_1)
	v_lshl_or_b32 v19, v19, 4, v62
	ds_add_u32 v19, v84
	s_wait_alu 0xfffe
	s_or_b32 exec_lo, exec_lo, s1
	s_mov_b32 s1, exec_lo
	v_cmpx_gt_u32_e64 s0, v50
	s_cbranch_execz .LBB503_628
.LBB503_643:                            ;   in Loop: Header=BB503_602 Depth=2
	v_xor_b32_e32 v19, 0x7fffffff, v14
	s_delay_alu instid0(VALU_DEP_1) | instskip(NEXT) | instid1(VALU_DEP_1)
	v_lshrrev_b32_e32 v19, s49, v19
	v_and_b32_e32 v19, s48, v19
	s_delay_alu instid0(VALU_DEP_1) | instskip(SKIP_3) | instid1(SALU_CYCLE_1)
	v_lshl_or_b32 v19, v19, 4, v62
	ds_add_u32 v19, v84
	s_wait_alu 0xfffe
	s_or_b32 exec_lo, exec_lo, s1
	s_mov_b32 s1, exec_lo
	v_cmpx_gt_u32_e64 s0, v51
	s_cbranch_execz .LBB503_629
.LBB503_644:                            ;   in Loop: Header=BB503_602 Depth=2
	v_xor_b32_e32 v19, 0x7fffffff, v13
	s_delay_alu instid0(VALU_DEP_1) | instskip(NEXT) | instid1(VALU_DEP_1)
	v_lshrrev_b32_e32 v19, s49, v19
	v_and_b32_e32 v19, s48, v19
	s_delay_alu instid0(VALU_DEP_1) | instskip(SKIP_3) | instid1(SALU_CYCLE_1)
	v_lshl_or_b32 v19, v19, 4, v62
	ds_add_u32 v19, v84
	s_wait_alu 0xfffe
	s_or_b32 exec_lo, exec_lo, s1
	s_mov_b32 s1, exec_lo
	v_cmpx_gt_u32_e64 s0, v52
	s_cbranch_execz .LBB503_630
.LBB503_645:                            ;   in Loop: Header=BB503_602 Depth=2
	v_xor_b32_e32 v19, 0x7fffffff, v12
	s_delay_alu instid0(VALU_DEP_1) | instskip(NEXT) | instid1(VALU_DEP_1)
	v_lshrrev_b32_e32 v19, s49, v19
	v_and_b32_e32 v19, s48, v19
	s_delay_alu instid0(VALU_DEP_1) | instskip(SKIP_3) | instid1(SALU_CYCLE_1)
	v_lshl_or_b32 v19, v19, 4, v62
	ds_add_u32 v19, v84
	s_wait_alu 0xfffe
	s_or_b32 exec_lo, exec_lo, s1
	s_mov_b32 s1, exec_lo
	v_cmpx_gt_u32_e64 s0, v53
	s_cbranch_execz .LBB503_631
.LBB503_646:                            ;   in Loop: Header=BB503_602 Depth=2
	v_xor_b32_e32 v19, 0x7fffffff, v11
	s_delay_alu instid0(VALU_DEP_1) | instskip(NEXT) | instid1(VALU_DEP_1)
	v_lshrrev_b32_e32 v19, s49, v19
	v_and_b32_e32 v19, s48, v19
	s_delay_alu instid0(VALU_DEP_1) | instskip(SKIP_3) | instid1(SALU_CYCLE_1)
	v_lshl_or_b32 v19, v19, 4, v62
	ds_add_u32 v19, v84
	s_wait_alu 0xfffe
	s_or_b32 exec_lo, exec_lo, s1
	s_mov_b32 s1, exec_lo
	v_cmpx_gt_u32_e64 s0, v54
	s_cbranch_execz .LBB503_632
.LBB503_647:                            ;   in Loop: Header=BB503_602 Depth=2
	v_xor_b32_e32 v19, 0x7fffffff, v10
	s_delay_alu instid0(VALU_DEP_1) | instskip(NEXT) | instid1(VALU_DEP_1)
	v_lshrrev_b32_e32 v19, s49, v19
	v_and_b32_e32 v19, s48, v19
	s_delay_alu instid0(VALU_DEP_1) | instskip(SKIP_3) | instid1(SALU_CYCLE_1)
	v_lshl_or_b32 v19, v19, 4, v62
	ds_add_u32 v19, v84
	s_wait_alu 0xfffe
	s_or_b32 exec_lo, exec_lo, s1
	s_mov_b32 s1, exec_lo
	v_cmpx_gt_u32_e64 s0, v55
	s_cbranch_execz .LBB503_633
.LBB503_648:                            ;   in Loop: Header=BB503_602 Depth=2
	v_xor_b32_e32 v19, 0x7fffffff, v9
	s_delay_alu instid0(VALU_DEP_1) | instskip(NEXT) | instid1(VALU_DEP_1)
	v_lshrrev_b32_e32 v19, s49, v19
	v_and_b32_e32 v19, s48, v19
	s_delay_alu instid0(VALU_DEP_1) | instskip(SKIP_3) | instid1(SALU_CYCLE_1)
	v_lshl_or_b32 v19, v19, 4, v62
	ds_add_u32 v19, v84
	s_wait_alu 0xfffe
	s_or_b32 exec_lo, exec_lo, s1
	s_mov_b32 s1, exec_lo
	v_cmpx_gt_u32_e64 s0, v56
	s_cbranch_execz .LBB503_634
.LBB503_649:                            ;   in Loop: Header=BB503_602 Depth=2
	v_xor_b32_e32 v19, 0x7fffffff, v8
	s_delay_alu instid0(VALU_DEP_1) | instskip(NEXT) | instid1(VALU_DEP_1)
	v_lshrrev_b32_e32 v19, s49, v19
	v_and_b32_e32 v19, s48, v19
	s_delay_alu instid0(VALU_DEP_1) | instskip(SKIP_3) | instid1(SALU_CYCLE_1)
	v_lshl_or_b32 v19, v19, 4, v62
	ds_add_u32 v19, v84
	s_wait_alu 0xfffe
	s_or_b32 exec_lo, exec_lo, s1
	s_mov_b32 s1, exec_lo
	v_cmpx_gt_u32_e64 s0, v57
	s_cbranch_execz .LBB503_635
.LBB503_650:                            ;   in Loop: Header=BB503_602 Depth=2
	v_xor_b32_e32 v19, 0x7fffffff, v7
	s_delay_alu instid0(VALU_DEP_1) | instskip(NEXT) | instid1(VALU_DEP_1)
	v_lshrrev_b32_e32 v19, s49, v19
	v_and_b32_e32 v19, s48, v19
	s_delay_alu instid0(VALU_DEP_1) | instskip(SKIP_3) | instid1(SALU_CYCLE_1)
	v_lshl_or_b32 v19, v19, 4, v62
	ds_add_u32 v19, v84
	s_wait_alu 0xfffe
	s_or_b32 exec_lo, exec_lo, s1
	s_mov_b32 s1, exec_lo
	v_cmpx_gt_u32_e64 s0, v58
	s_cbranch_execz .LBB503_636
.LBB503_651:                            ;   in Loop: Header=BB503_602 Depth=2
	v_xor_b32_e32 v19, 0x7fffffff, v6
	s_delay_alu instid0(VALU_DEP_1) | instskip(NEXT) | instid1(VALU_DEP_1)
	v_lshrrev_b32_e32 v19, s49, v19
	v_and_b32_e32 v19, s48, v19
	s_delay_alu instid0(VALU_DEP_1) | instskip(SKIP_3) | instid1(SALU_CYCLE_1)
	v_lshl_or_b32 v19, v19, 4, v62
	ds_add_u32 v19, v84
	s_wait_alu 0xfffe
	s_or_b32 exec_lo, exec_lo, s1
	s_mov_b32 s1, exec_lo
	v_cmpx_gt_u32_e64 s0, v59
	s_cbranch_execz .LBB503_637
.LBB503_652:                            ;   in Loop: Header=BB503_602 Depth=2
	v_xor_b32_e32 v19, 0x7fffffff, v5
	s_delay_alu instid0(VALU_DEP_1) | instskip(NEXT) | instid1(VALU_DEP_1)
	v_lshrrev_b32_e32 v19, s49, v19
	v_and_b32_e32 v19, s48, v19
	s_delay_alu instid0(VALU_DEP_1) | instskip(SKIP_3) | instid1(SALU_CYCLE_1)
	v_lshl_or_b32 v19, v19, 4, v62
	ds_add_u32 v19, v84
	s_wait_alu 0xfffe
	s_or_b32 exec_lo, exec_lo, s1
	s_mov_b32 s1, exec_lo
	v_cmpx_gt_u32_e64 s0, v60
	s_cbranch_execz .LBB503_638
.LBB503_653:                            ;   in Loop: Header=BB503_602 Depth=2
	v_xor_b32_e32 v19, 0x7fffffff, v4
	s_delay_alu instid0(VALU_DEP_1) | instskip(NEXT) | instid1(VALU_DEP_1)
	v_lshrrev_b32_e32 v19, s49, v19
	v_and_b32_e32 v19, s48, v19
	s_delay_alu instid0(VALU_DEP_1)
	v_lshl_or_b32 v19, v19, 4, v62
	ds_add_u32 v19, v84
	s_wait_alu 0xfffe
	s_or_b32 exec_lo, exec_lo, s1
	v_cmp_gt_u32_e32 vcc_lo, s0, v61
	s_and_saveexec_b32 s0, vcc_lo
	s_cbranch_execz .LBB503_601
.LBB503_654:                            ;   in Loop: Header=BB503_602 Depth=2
	v_xor_b32_e32 v19, 0x7fffffff, v2
	s_delay_alu instid0(VALU_DEP_1) | instskip(NEXT) | instid1(VALU_DEP_1)
	v_lshrrev_b32_e32 v19, s49, v19
	v_and_b32_e32 v19, s48, v19
	s_delay_alu instid0(VALU_DEP_1)
	v_lshl_or_b32 v19, v19, 4, v62
	ds_add_u32 v19, v84
	s_branch .LBB503_601
.LBB503_655:                            ;   in Loop: Header=BB503_602 Depth=2
	global_load_b32 v18, v108, s[0:1]
	s_or_b32 exec_lo, exec_lo, s11
	s_delay_alu instid0(SALU_CYCLE_1)
	s_mov_b32 s11, exec_lo
	v_cmpx_gt_u32_e64 s9, v45
	s_cbranch_execz .LBB503_607
.LBB503_656:                            ;   in Loop: Header=BB503_602 Depth=2
	global_load_b32 v17, v108, s[0:1] offset:1024
	s_wait_alu 0xfffe
	s_or_b32 exec_lo, exec_lo, s11
	s_delay_alu instid0(SALU_CYCLE_1)
	s_mov_b32 s11, exec_lo
	v_cmpx_gt_u32_e64 s9, v46
	s_cbranch_execz .LBB503_608
.LBB503_657:                            ;   in Loop: Header=BB503_602 Depth=2
	global_load_b32 v16, v108, s[0:1] offset:2048
	s_wait_alu 0xfffe
	s_or_b32 exec_lo, exec_lo, s11
	s_delay_alu instid0(SALU_CYCLE_1)
	s_mov_b32 s11, exec_lo
	v_cmpx_gt_u32_e64 s9, v47
	s_cbranch_execz .LBB503_609
.LBB503_658:                            ;   in Loop: Header=BB503_602 Depth=2
	global_load_b32 v15, v108, s[0:1] offset:3072
	s_wait_alu 0xfffe
	s_or_b32 exec_lo, exec_lo, s11
	s_delay_alu instid0(SALU_CYCLE_1)
	s_mov_b32 s11, exec_lo
	v_cmpx_gt_u32_e64 s9, v50
	s_cbranch_execz .LBB503_610
.LBB503_659:                            ;   in Loop: Header=BB503_602 Depth=2
	global_load_b32 v14, v108, s[0:1] offset:4096
	s_wait_alu 0xfffe
	s_or_b32 exec_lo, exec_lo, s11
	s_delay_alu instid0(SALU_CYCLE_1)
	s_mov_b32 s11, exec_lo
	v_cmpx_gt_u32_e64 s9, v51
	s_cbranch_execz .LBB503_611
.LBB503_660:                            ;   in Loop: Header=BB503_602 Depth=2
	global_load_b32 v13, v108, s[0:1] offset:5120
	s_wait_alu 0xfffe
	s_or_b32 exec_lo, exec_lo, s11
	s_delay_alu instid0(SALU_CYCLE_1)
	s_mov_b32 s11, exec_lo
	v_cmpx_gt_u32_e64 s9, v52
	s_cbranch_execz .LBB503_612
.LBB503_661:                            ;   in Loop: Header=BB503_602 Depth=2
	global_load_b32 v12, v108, s[0:1] offset:6144
	s_wait_alu 0xfffe
	s_or_b32 exec_lo, exec_lo, s11
	s_delay_alu instid0(SALU_CYCLE_1)
	s_mov_b32 s11, exec_lo
	v_cmpx_gt_u32_e64 s9, v53
	s_cbranch_execz .LBB503_613
.LBB503_662:                            ;   in Loop: Header=BB503_602 Depth=2
	global_load_b32 v11, v108, s[0:1] offset:7168
	s_wait_alu 0xfffe
	s_or_b32 exec_lo, exec_lo, s11
	s_delay_alu instid0(SALU_CYCLE_1)
	s_mov_b32 s11, exec_lo
	v_cmpx_gt_u32_e64 s9, v54
	s_cbranch_execz .LBB503_614
.LBB503_663:                            ;   in Loop: Header=BB503_602 Depth=2
	global_load_b32 v10, v108, s[0:1] offset:8192
	s_wait_alu 0xfffe
	s_or_b32 exec_lo, exec_lo, s11
	s_delay_alu instid0(SALU_CYCLE_1)
	s_mov_b32 s11, exec_lo
	v_cmpx_gt_u32_e64 s9, v55
	s_cbranch_execz .LBB503_615
.LBB503_664:                            ;   in Loop: Header=BB503_602 Depth=2
	global_load_b32 v9, v108, s[0:1] offset:9216
	s_wait_alu 0xfffe
	s_or_b32 exec_lo, exec_lo, s11
	s_delay_alu instid0(SALU_CYCLE_1)
	s_mov_b32 s11, exec_lo
	v_cmpx_gt_u32_e64 s9, v56
	s_cbranch_execz .LBB503_616
.LBB503_665:                            ;   in Loop: Header=BB503_602 Depth=2
	global_load_b32 v8, v108, s[0:1] offset:10240
	s_wait_alu 0xfffe
	s_or_b32 exec_lo, exec_lo, s11
	s_delay_alu instid0(SALU_CYCLE_1)
	s_mov_b32 s11, exec_lo
	v_cmpx_gt_u32_e64 s9, v57
	s_cbranch_execz .LBB503_617
.LBB503_666:                            ;   in Loop: Header=BB503_602 Depth=2
	global_load_b32 v7, v108, s[0:1] offset:11264
	s_wait_alu 0xfffe
	s_or_b32 exec_lo, exec_lo, s11
	s_delay_alu instid0(SALU_CYCLE_1)
	s_mov_b32 s11, exec_lo
	v_cmpx_gt_u32_e64 s9, v58
	s_cbranch_execz .LBB503_618
.LBB503_667:                            ;   in Loop: Header=BB503_602 Depth=2
	global_load_b32 v6, v108, s[0:1] offset:12288
	s_wait_alu 0xfffe
	s_or_b32 exec_lo, exec_lo, s11
	s_delay_alu instid0(SALU_CYCLE_1)
	s_mov_b32 s11, exec_lo
	v_cmpx_gt_u32_e64 s9, v59
	s_cbranch_execz .LBB503_619
.LBB503_668:                            ;   in Loop: Header=BB503_602 Depth=2
	global_load_b32 v5, v108, s[0:1] offset:13312
	s_wait_alu 0xfffe
	s_or_b32 exec_lo, exec_lo, s11
	s_delay_alu instid0(SALU_CYCLE_1)
	s_mov_b32 s11, exec_lo
	v_cmpx_gt_u32_e64 s9, v60
	s_cbranch_execz .LBB503_620
.LBB503_669:                            ;   in Loop: Header=BB503_602 Depth=2
	global_load_b32 v4, v108, s[0:1] offset:14336
	s_wait_alu 0xfffe
	s_or_b32 exec_lo, exec_lo, s11
	s_delay_alu instid0(SALU_CYCLE_1)
	s_mov_b32 s11, exec_lo
	v_cmpx_gt_u32_e64 s9, v61
	s_cbranch_execnz .LBB503_621
	s_branch .LBB503_622
.LBB503_670:                            ;   in Loop: Header=BB503_12 Depth=1
	v_mov_b32_e32 v2, 0
	s_wait_dscnt 0x0
	s_barrier_signal -1
	s_barrier_wait -1
	global_inv scope:SCOPE_SE
	s_and_saveexec_b32 s0, s2
	s_cbranch_execz .LBB503_672
; %bb.671:                              ;   in Loop: Header=BB503_12 Depth=1
	ds_load_2addr_b64 v[4:7], v64 offset1:1
	s_wait_dscnt 0x0
	v_add_nc_u32_e32 v2, v5, v4
	s_delay_alu instid0(VALU_DEP_1)
	v_add3_u32 v2, v2, v6, v7
.LBB503_672:                            ;   in Loop: Header=BB503_12 Depth=1
	s_wait_alu 0xfffe
	s_or_b32 exec_lo, exec_lo, s0
	s_delay_alu instid0(VALU_DEP_1)
	v_mov_b32_dpp v4, v2 row_shr:1 row_mask:0xf bank_mask:0xf
	v_cmp_eq_u32_e64 s0, 0, v85
	v_cmp_lt_u32_e64 s1, 1, v85
	v_cmp_lt_u32_e64 s9, 3, v85
	;; [unrolled: 1-line block ×3, first 2 shown]
	v_cmp_eq_u32_e64 s11, 0, v87
	s_wait_alu 0xf1ff
	v_cndmask_b32_e64 v4, v4, 0, s0
	s_delay_alu instid0(VALU_DEP_1) | instskip(NEXT) | instid1(VALU_DEP_1)
	v_add_nc_u32_e32 v2, v4, v2
	v_mov_b32_dpp v4, v2 row_shr:2 row_mask:0xf bank_mask:0xf
	s_delay_alu instid0(VALU_DEP_1) | instskip(NEXT) | instid1(VALU_DEP_1)
	v_cndmask_b32_e64 v4, 0, v4, s1
	v_add_nc_u32_e32 v2, v2, v4
	s_delay_alu instid0(VALU_DEP_1) | instskip(NEXT) | instid1(VALU_DEP_1)
	v_mov_b32_dpp v4, v2 row_shr:4 row_mask:0xf bank_mask:0xf
	v_cndmask_b32_e64 v4, 0, v4, s9
	s_delay_alu instid0(VALU_DEP_1) | instskip(NEXT) | instid1(VALU_DEP_1)
	v_add_nc_u32_e32 v2, v2, v4
	v_mov_b32_dpp v4, v2 row_shr:8 row_mask:0xf bank_mask:0xf
	s_delay_alu instid0(VALU_DEP_1) | instskip(NEXT) | instid1(VALU_DEP_1)
	v_cndmask_b32_e64 v4, 0, v4, s10
	v_add_nc_u32_e32 v2, v2, v4
	ds_swizzle_b32 v4, v2 offset:swizzle(BROADCAST,32,15)
	s_wait_dscnt 0x0
	v_and_b32_e32 v4, v86, v4
	s_delay_alu instid0(VALU_DEP_1)
	v_add_nc_u32_e32 v2, v2, v4
	s_and_saveexec_b32 s12, s3
; %bb.673:                              ;   in Loop: Header=BB503_12 Depth=1
	ds_store_b32 v65, v2
; %bb.674:                              ;   in Loop: Header=BB503_12 Depth=1
	s_wait_alu 0xfffe
	s_or_b32 exec_lo, exec_lo, s12
	s_wait_loadcnt_dscnt 0x0
	s_barrier_signal -1
	s_barrier_wait -1
	global_inv scope:SCOPE_SE
	s_and_saveexec_b32 s12, s4
	s_cbranch_execz .LBB503_676
; %bb.675:                              ;   in Loop: Header=BB503_12 Depth=1
	ds_load_b32 v4, v66
	v_cmp_ne_u32_e32 vcc_lo, 0, v89
	s_wait_dscnt 0x0
	v_mov_b32_dpp v5, v4 row_shr:1 row_mask:0xf bank_mask:0xf
	s_wait_alu 0xfffd
	s_delay_alu instid0(VALU_DEP_1) | instskip(SKIP_1) | instid1(VALU_DEP_2)
	v_cndmask_b32_e32 v5, 0, v5, vcc_lo
	v_cmp_lt_u32_e32 vcc_lo, 1, v89
	v_add_nc_u32_e32 v4, v5, v4
	s_delay_alu instid0(VALU_DEP_1) | instskip(SKIP_1) | instid1(VALU_DEP_1)
	v_mov_b32_dpp v5, v4 row_shr:2 row_mask:0xf bank_mask:0xf
	s_wait_alu 0xfffd
	v_cndmask_b32_e32 v5, 0, v5, vcc_lo
	v_cmp_lt_u32_e32 vcc_lo, 3, v89
	s_delay_alu instid0(VALU_DEP_2) | instskip(NEXT) | instid1(VALU_DEP_1)
	v_add_nc_u32_e32 v4, v4, v5
	v_mov_b32_dpp v5, v4 row_shr:4 row_mask:0xf bank_mask:0xf
	s_wait_alu 0xfffd
	s_delay_alu instid0(VALU_DEP_1) | instskip(NEXT) | instid1(VALU_DEP_1)
	v_cndmask_b32_e32 v5, 0, v5, vcc_lo
	v_add_nc_u32_e32 v4, v4, v5
	ds_store_b32 v66, v4
.LBB503_676:                            ;   in Loop: Header=BB503_12 Depth=1
	s_wait_alu 0xfffe
	s_or_b32 exec_lo, exec_lo, s12
	v_mov_b32_e32 v4, 0
	s_wait_loadcnt_dscnt 0x0
	s_barrier_signal -1
	s_barrier_wait -1
	global_inv scope:SCOPE_SE
	s_and_saveexec_b32 s12, s5
; %bb.677:                              ;   in Loop: Header=BB503_12 Depth=1
	ds_load_b32 v4, v68
; %bb.678:                              ;   in Loop: Header=BB503_12 Depth=1
	s_wait_alu 0xfffe
	s_or_b32 exec_lo, exec_lo, s12
	v_cmp_gt_i32_e32 vcc_lo, 0, v90
	s_wait_loadcnt_dscnt 0x0
	s_barrier_signal -1
	s_barrier_wait -1
	global_inv scope:SCOPE_SE
	s_wait_alu 0xfffd
	v_dual_cndmask_b32 v5, v90, v81 :: v_dual_add_nc_u32 v2, v4, v2
	s_delay_alu instid0(VALU_DEP_1)
	v_lshlrev_b32_e32 v113, 2, v5
	ds_bpermute_b32 v2, v113, v2
	s_and_saveexec_b32 s12, s2
	s_cbranch_execz .LBB503_680
; %bb.679:                              ;   in Loop: Header=BB503_12 Depth=1
	s_wait_dscnt 0x0
	v_cndmask_b32_e64 v2, v2, v4, s8
	s_delay_alu instid0(VALU_DEP_1)
	v_add_nc_u32_e32 v2, s33, v2
	ds_store_b32 v44, v2
.LBB503_680:                            ;   in Loop: Header=BB503_12 Depth=1
	s_wait_alu 0xfffe
	s_or_b32 exec_lo, exec_lo, s12
	s_load_b64 s[12:13], s[34:35], 0x0
	v_add_co_u32 v114, vcc_lo, v79, v91
	s_wait_alu 0xfffd
	v_add_co_ci_u32_e64 v115, null, 0, v80, vcc_lo
	v_add_co_u32 v116, vcc_lo, v82, v107
	s_wait_alu 0xfffd
	v_add_co_ci_u32_e64 v117, null, 0, v83, vcc_lo
	s_mov_b32 s54, s53
                                        ; implicit-def: $vgpr6_vgpr7
                                        ; implicit-def: $vgpr8_vgpr9
                                        ; implicit-def: $vgpr10_vgpr11
                                        ; implicit-def: $vgpr12_vgpr13
                                        ; implicit-def: $vgpr14_vgpr15
                                        ; implicit-def: $vgpr16_vgpr17
                                        ; implicit-def: $vgpr18_vgpr19
                                        ; implicit-def: $vgpr20_vgpr21
                                        ; implicit-def: $vgpr22_vgpr23
                                        ; implicit-def: $vgpr24_vgpr25
                                        ; implicit-def: $vgpr26_vgpr27
                                        ; implicit-def: $vgpr28_vgpr29
                                        ; implicit-def: $vgpr30_vgpr31
                                        ; implicit-def: $vgpr32_vgpr33
                                        ; implicit-def: $vgpr34_vgpr35
                                        ; implicit-def: $vgpr119
                                        ; implicit-def: $vgpr120
                                        ; implicit-def: $vgpr121
                                        ; implicit-def: $vgpr122
                                        ; implicit-def: $vgpr123
                                        ; implicit-def: $vgpr124
                                        ; implicit-def: $vgpr125
                                        ; implicit-def: $vgpr126
                                        ; implicit-def: $vgpr127
                                        ; implicit-def: $vgpr128
                                        ; implicit-def: $vgpr129
                                        ; implicit-def: $vgpr130
                                        ; implicit-def: $vgpr131
                                        ; implicit-def: $vgpr132
                                        ; implicit-def: $vgpr133
                                        ; implicit-def: $vgpr134
	s_wait_kmcnt 0x0
	s_cmp_lt_u32 ttmp7, s13
	s_cselect_b32 s42, 14, 20
	s_cmp_lt_u32 ttmp9, s12
	s_wait_alu 0xfffe
	s_add_nc_u64 s[14:15], s[34:35], s[42:43]
	s_cselect_b32 s42, 12, 18
	s_load_u16 s14, s[14:15], 0x0
	s_add_nc_u64 s[12:13], s[34:35], s[42:43]
	s_mov_b32 s42, s33
	s_load_u16 s12, s[12:13], 0x0
	v_cmp_lt_u32_e64 s13, 1, v89
	s_wait_dscnt 0x0
	s_wait_kmcnt 0x0
	v_mad_u32_u24 v2, v69, s14, v0
	v_cmp_lt_u32_e64 s14, 3, v89
	s_delay_alu instid0(VALU_DEP_2) | instskip(SKIP_1) | instid1(VALU_DEP_2)
	v_mad_co_u64_u32 v[4:5], null, v2, s12, v[1:2]
	v_cmp_eq_u32_e64 s12, 0, v89
	v_lshrrev_b32_e32 v2, 3, v4
                                        ; implicit-def: $vgpr4_vgpr5
	s_delay_alu instid0(VALU_DEP_1)
	v_and_b32_e32 v118, 0x1ffffffc, v2
	s_branch .LBB503_682
.LBB503_681:                            ;   in Loop: Header=BB503_682 Depth=2
	s_wait_alu 0xfffe
	s_or_b32 exec_lo, exec_lo, s15
	s_addk_co_i32 s54, 0xf000
	s_cmp_lt_u32 s55, s51
	s_mov_b32 s42, s55
	s_cbranch_scc0 .LBB503_890
.LBB503_682:                            ;   Parent Loop BB503_12 Depth=1
                                        ; =>  This Inner Loop Header: Depth=2
	s_wait_alu 0xfffe
	s_add_co_i32 s55, s42, 0x1000
	s_wait_alu 0xfffe
	s_cmp_gt_u32 s55, s51
	s_cbranch_scc1 .LBB503_684
; %bb.683:                              ;   in Loop: Header=BB503_682 Depth=2
	s_lshl_b64 s[16:17], s[42:43], 2
	s_mov_b32 s15, -1
	s_wait_alu 0xfffe
	v_add_co_u32 v36, vcc_lo, v116, s16
	s_wait_alu 0xfffd
	v_add_co_ci_u32_e64 v37, null, s17, v117, vcc_lo
	s_clause 0xe
	global_load_b32 v136, v[36:37], off
	global_load_b32 v137, v[36:37], off offset:128
	global_load_b32 v144, v[36:37], off offset:256
	;; [unrolled: 1-line block ×14, first 2 shown]
	s_movk_i32 s16, 0x1000
	s_cbranch_execz .LBB503_685
	s_branch .LBB503_716
.LBB503_684:                            ;   in Loop: Header=BB503_682 Depth=2
	s_mov_b32 s15, 0
                                        ; implicit-def: $vgpr136
                                        ; implicit-def: $vgpr137
                                        ; implicit-def: $vgpr144
                                        ; implicit-def: $vgpr148
                                        ; implicit-def: $vgpr152
                                        ; implicit-def: $vgpr156
                                        ; implicit-def: $vgpr160
                                        ; implicit-def: $vgpr164
                                        ; implicit-def: $vgpr167
                                        ; implicit-def: $vgpr43
                                        ; implicit-def: $vgpr42
                                        ; implicit-def: $vgpr41
                                        ; implicit-def: $vgpr40
                                        ; implicit-def: $vgpr39
                                        ; implicit-def: $vgpr38
	s_movk_i32 s16, 0x1000
.LBB503_685:                            ;   in Loop: Header=BB503_682 Depth=2
	s_lshl_b64 s[16:17], s[42:43], 2
	s_wait_loadcnt 0xd
	v_bfrev_b32_e32 v137, 1
	s_wait_alu 0xfffe
	v_add_co_u32 v36, vcc_lo, v116, s16
	s_wait_alu 0xfffd
	v_add_co_ci_u32_e64 v37, null, s17, v117, vcc_lo
	v_bfrev_b32_e32 v136, 1
	s_mov_b32 s15, exec_lo
	v_cmpx_gt_u32_e64 s54, v88
	s_cbranch_execz .LBB503_687
; %bb.686:                              ;   in Loop: Header=BB503_682 Depth=2
	global_load_b32 v136, v[36:37], off
.LBB503_687:                            ;   in Loop: Header=BB503_682 Depth=2
	s_wait_alu 0xfffe
	s_or_b32 exec_lo, exec_lo, s15
	s_delay_alu instid0(SALU_CYCLE_1)
	s_mov_b32 s15, exec_lo
	v_cmpx_gt_u32_e64 s54, v92
	s_cbranch_execz .LBB503_689
; %bb.688:                              ;   in Loop: Header=BB503_682 Depth=2
	global_load_b32 v137, v[36:37], off offset:128
.LBB503_689:                            ;   in Loop: Header=BB503_682 Depth=2
	s_wait_alu 0xfffe
	s_or_b32 exec_lo, exec_lo, s15
	s_wait_loadcnt 0xb
	v_bfrev_b32_e32 v148, 1
	v_bfrev_b32_e32 v144, 1
	s_mov_b32 s15, exec_lo
	v_cmpx_gt_u32_e64 s54, v93
	s_cbranch_execz .LBB503_691
; %bb.690:                              ;   in Loop: Header=BB503_682 Depth=2
	global_load_b32 v144, v[36:37], off offset:256
.LBB503_691:                            ;   in Loop: Header=BB503_682 Depth=2
	s_wait_alu 0xfffe
	s_or_b32 exec_lo, exec_lo, s15
	s_delay_alu instid0(SALU_CYCLE_1)
	s_mov_b32 s15, exec_lo
	v_cmpx_gt_u32_e64 s54, v94
	s_cbranch_execz .LBB503_693
; %bb.692:                              ;   in Loop: Header=BB503_682 Depth=2
	global_load_b32 v148, v[36:37], off offset:384
.LBB503_693:                            ;   in Loop: Header=BB503_682 Depth=2
	s_wait_alu 0xfffe
	s_or_b32 exec_lo, exec_lo, s15
	s_wait_loadcnt 0x9
	v_bfrev_b32_e32 v156, 1
	v_bfrev_b32_e32 v152, 1
	s_mov_b32 s15, exec_lo
	v_cmpx_gt_u32_e64 s54, v95
	s_cbranch_execz .LBB503_695
; %bb.694:                              ;   in Loop: Header=BB503_682 Depth=2
	global_load_b32 v152, v[36:37], off offset:512
.LBB503_695:                            ;   in Loop: Header=BB503_682 Depth=2
	;; [unrolled: 20-line block ×6, first 2 shown]
	s_wait_alu 0xfffe
	s_or_b32 exec_lo, exec_lo, s15
	s_delay_alu instid0(SALU_CYCLE_1)
	s_mov_b32 s15, exec_lo
	v_cmpx_gt_u32_e64 s54, v104
	s_cbranch_execz .LBB503_713
; %bb.712:                              ;   in Loop: Header=BB503_682 Depth=2
	global_load_b32 v39, v[36:37], off offset:1664
.LBB503_713:                            ;   in Loop: Header=BB503_682 Depth=2
	s_wait_alu 0xfffe
	s_or_b32 exec_lo, exec_lo, s15
	s_wait_loadcnt 0x0
	v_bfrev_b32_e32 v38, 1
	s_mov_b32 s15, exec_lo
	v_cmpx_gt_u32_e64 s54, v105
	s_cbranch_execz .LBB503_715
; %bb.714:                              ;   in Loop: Header=BB503_682 Depth=2
	global_load_b32 v38, v[36:37], off offset:1792
.LBB503_715:                            ;   in Loop: Header=BB503_682 Depth=2
	s_wait_alu 0xfffe
	s_or_b32 exec_lo, exec_lo, s15
	v_cmp_gt_u32_e64 s15, s54, v106
	s_sub_co_i32 s16, s51, s42
.LBB503_716:                            ;   in Loop: Header=BB503_682 Depth=2
	v_dual_mov_b32 v2, -1 :: v_dual_mov_b32 v135, s54
	s_and_saveexec_b32 s17, s15
	s_cbranch_execz .LBB503_718
; %bb.717:                              ;   in Loop: Header=BB503_682 Depth=2
	s_lshl_b64 s[18:19], s[42:43], 2
	s_wait_alu 0xfffe
	v_mov_b32_e32 v135, s16
	v_add_co_u32 v36, vcc_lo, v116, s18
	s_wait_alu 0xfffd
	v_add_co_ci_u32_e64 v37, null, s19, v117, vcc_lo
	global_load_b32 v2, v[36:37], off offset:1920
	s_wait_loadcnt 0x0
	v_xor_b32_e32 v2, 0x7fffffff, v2
.LBB503_718:                            ;   in Loop: Header=BB503_682 Depth=2
	s_wait_alu 0xfffe
	s_or_b32 exec_lo, exec_lo, s17
	s_wait_loadcnt 0xe
	v_xor_b32_e32 v136, 0x7fffffff, v136
	s_delay_alu instid0(VALU_DEP_1) | instskip(NEXT) | instid1(VALU_DEP_1)
	v_lshrrev_b32_e32 v36, s49, v136
	v_and_b32_e32 v37, s48, v36
	s_delay_alu instid0(VALU_DEP_1)
	v_and_b32_e32 v36, 1, v37
	v_lshlrev_b32_e32 v138, 30, v37
	v_lshlrev_b32_e32 v139, 29, v37
	;; [unrolled: 1-line block ×4, first 2 shown]
	v_add_co_u32 v36, s15, v36, -1
	s_wait_alu 0xf1ff
	v_cndmask_b32_e64 v141, 0, 1, s15
	v_not_b32_e32 v146, v138
	v_cmp_gt_i32_e64 s15, 0, v138
	v_not_b32_e32 v138, v139
	v_lshlrev_b32_e32 v143, 26, v37
	v_cmp_ne_u32_e32 vcc_lo, 0, v141
	v_ashrrev_i32_e32 v146, 31, v146
	v_lshlrev_b32_e32 v145, 25, v37
	v_ashrrev_i32_e32 v138, 31, v138
	v_lshlrev_b32_e32 v141, 24, v37
	s_wait_alu 0xfffd
	v_xor_b32_e32 v36, vcc_lo, v36
	v_cmp_gt_i32_e32 vcc_lo, 0, v139
	v_not_b32_e32 v139, v140
	s_wait_alu 0xf1ff
	v_xor_b32_e32 v146, s15, v146
	v_cmp_gt_i32_e64 s15, 0, v140
	v_and_b32_e32 v36, exec_lo, v36
	v_not_b32_e32 v140, v142
	v_ashrrev_i32_e32 v139, 31, v139
	s_wait_alu 0xfffd
	v_xor_b32_e32 v138, vcc_lo, v138
	v_cmp_gt_i32_e32 vcc_lo, 0, v142
	v_and_b32_e32 v36, v36, v146
	v_not_b32_e32 v142, v143
	v_ashrrev_i32_e32 v140, 31, v140
	s_wait_alu 0xf1ff
	v_xor_b32_e32 v139, s15, v139
	v_cmp_gt_i32_e64 s15, 0, v143
	v_and_b32_e32 v36, v36, v138
	v_not_b32_e32 v138, v145
	v_ashrrev_i32_e32 v142, 31, v142
	s_wait_alu 0xfffd
	v_xor_b32_e32 v140, vcc_lo, v140
	v_cmp_gt_i32_e32 vcc_lo, 0, v145
	v_and_b32_e32 v36, v36, v139
	v_not_b32_e32 v139, v141
	v_ashrrev_i32_e32 v138, 31, v138
	s_wait_alu 0xf1ff
	v_xor_b32_e32 v142, s15, v142
	v_cmp_gt_i32_e64 s15, 0, v141
	v_and_b32_e32 v36, v36, v140
	v_ashrrev_i32_e32 v139, 31, v139
	s_wait_alu 0xfffd
	v_xor_b32_e32 v138, vcc_lo, v138
	v_mul_u32_u24_e32 v37, 36, v37
	v_add_nc_u32_e32 v141, 0x428, v67
	v_and_b32_e32 v36, v36, v142
	s_wait_alu 0xf1ff
	v_xor_b32_e32 v140, s15, v139
	v_add_nc_u32_e32 v139, 0x438, v67
	v_add_nc_u32_e32 v142, 0x430, v67
	;; [unrolled: 1-line block ×3, first 2 shown]
	v_and_b32_e32 v36, v36, v138
	ds_store_2addr_b32 v139, v3, v3 offset1:1
	v_and_b32_e32 v36, v36, v140
	v_add_nc_u32_e32 v140, 0x420, v67
	ds_store_2addr_b32 v140, v3, v3 offset1:1
	ds_store_2addr_b32 v141, v3, v3 offset1:1
	;; [unrolled: 1-line block ×3, first 2 shown]
	ds_store_b32 v67, v3 offset:1088
	v_mbcnt_lo_u32_b32 v138, v36, 0
	v_cmp_ne_u32_e64 s15, 0, v36
	s_wait_loadcnt_dscnt 0x0
	s_barrier_signal -1
	s_barrier_wait -1
	v_cmp_eq_u32_e32 vcc_lo, 0, v138
	global_inv scope:SCOPE_SE
	; wave barrier
	s_and_b32 s16, s15, vcc_lo
	s_wait_alu 0xfffe
	s_and_saveexec_b32 s15, s16
; %bb.719:                              ;   in Loop: Header=BB503_682 Depth=2
	v_bcnt_u32_b32 v36, v36, 0
	ds_store_b32 v143, v36 offset:1056
; %bb.720:                              ;   in Loop: Header=BB503_682 Depth=2
	s_wait_alu 0xfffe
	s_or_b32 exec_lo, exec_lo, s15
	v_xor_b32_e32 v137, 0x7fffffff, v137
	; wave barrier
	s_delay_alu instid0(VALU_DEP_1) | instskip(NEXT) | instid1(VALU_DEP_1)
	v_lshrrev_b32_e32 v36, s49, v137
	v_and_b32_e32 v37, s48, v36
	s_delay_alu instid0(VALU_DEP_1)
	v_and_b32_e32 v36, 1, v37
	v_lshlrev_b32_e32 v145, 30, v37
	v_lshlrev_b32_e32 v146, 29, v37
	;; [unrolled: 1-line block ×4, first 2 shown]
	v_add_co_u32 v36, s15, v36, -1
	s_wait_alu 0xf1ff
	v_cndmask_b32_e64 v149, 0, 1, s15
	v_not_b32_e32 v154, v145
	v_cmp_gt_i32_e64 s15, 0, v145
	v_not_b32_e32 v145, v146
	v_lshlrev_b32_e32 v151, 26, v37
	v_cmp_ne_u32_e32 vcc_lo, 0, v149
	v_ashrrev_i32_e32 v154, 31, v154
	v_lshlrev_b32_e32 v153, 25, v37
	v_ashrrev_i32_e32 v145, 31, v145
	v_lshlrev_b32_e32 v149, 24, v37
	s_wait_alu 0xfffd
	v_xor_b32_e32 v36, vcc_lo, v36
	v_cmp_gt_i32_e32 vcc_lo, 0, v146
	v_not_b32_e32 v146, v147
	s_wait_alu 0xf1ff
	v_xor_b32_e32 v154, s15, v154
	v_cmp_gt_i32_e64 s15, 0, v147
	v_and_b32_e32 v36, exec_lo, v36
	v_not_b32_e32 v147, v150
	v_ashrrev_i32_e32 v146, 31, v146
	s_wait_alu 0xfffd
	v_xor_b32_e32 v145, vcc_lo, v145
	v_cmp_gt_i32_e32 vcc_lo, 0, v150
	v_and_b32_e32 v36, v36, v154
	v_not_b32_e32 v150, v151
	v_ashrrev_i32_e32 v147, 31, v147
	s_wait_alu 0xf1ff
	v_xor_b32_e32 v146, s15, v146
	v_cmp_gt_i32_e64 s15, 0, v151
	v_and_b32_e32 v36, v36, v145
	v_not_b32_e32 v145, v153
	v_ashrrev_i32_e32 v150, 31, v150
	s_wait_alu 0xfffd
	v_xor_b32_e32 v147, vcc_lo, v147
	v_cmp_gt_i32_e32 vcc_lo, 0, v153
	v_and_b32_e32 v36, v36, v146
	v_not_b32_e32 v146, v149
	v_ashrrev_i32_e32 v145, 31, v145
	s_wait_alu 0xf1ff
	v_xor_b32_e32 v150, s15, v150
	v_cmp_gt_i32_e64 s15, 0, v149
	v_and_b32_e32 v36, v36, v147
	v_ashrrev_i32_e32 v146, 31, v146
	s_wait_alu 0xfffd
	v_xor_b32_e32 v145, vcc_lo, v145
	v_mad_u32_u24 v147, v37, 36, v118
	v_mul_u32_u24_e32 v37, 36, v37
	v_and_b32_e32 v36, v36, v150
	s_wait_alu 0xf1ff
	v_xor_b32_e32 v146, s15, v146
	s_delay_alu instid0(VALU_DEP_2) | instskip(SKIP_3) | instid1(VALU_DEP_1)
	v_and_b32_e32 v36, v36, v145
	ds_load_b32 v145, v147 offset:1056
	v_add_nc_u32_e32 v147, v118, v37
	; wave barrier
	v_and_b32_e32 v36, v36, v146
	v_mbcnt_lo_u32_b32 v146, v36, 0
	v_cmp_ne_u32_e64 s15, 0, v36
	s_delay_alu instid0(VALU_DEP_2)
	v_cmp_eq_u32_e32 vcc_lo, 0, v146
	s_and_b32 s16, s15, vcc_lo
	s_wait_alu 0xfffe
	s_and_saveexec_b32 s15, s16
	s_cbranch_execz .LBB503_722
; %bb.721:                              ;   in Loop: Header=BB503_682 Depth=2
	s_wait_dscnt 0x0
	v_bcnt_u32_b32 v36, v36, v145
	ds_store_b32 v147, v36 offset:1056
.LBB503_722:                            ;   in Loop: Header=BB503_682 Depth=2
	s_wait_alu 0xfffe
	s_or_b32 exec_lo, exec_lo, s15
	v_xor_b32_e32 v144, 0x7fffffff, v144
	; wave barrier
	s_delay_alu instid0(VALU_DEP_1) | instskip(NEXT) | instid1(VALU_DEP_1)
	v_lshrrev_b32_e32 v36, s49, v144
	v_and_b32_e32 v37, s48, v36
	s_delay_alu instid0(VALU_DEP_1)
	v_and_b32_e32 v36, 1, v37
	v_lshlrev_b32_e32 v149, 30, v37
	v_lshlrev_b32_e32 v150, 29, v37
	;; [unrolled: 1-line block ×4, first 2 shown]
	v_add_co_u32 v36, s15, v36, -1
	s_wait_alu 0xf1ff
	v_cndmask_b32_e64 v153, 0, 1, s15
	v_not_b32_e32 v158, v149
	v_cmp_gt_i32_e64 s15, 0, v149
	v_not_b32_e32 v149, v150
	v_lshlrev_b32_e32 v155, 26, v37
	v_cmp_ne_u32_e32 vcc_lo, 0, v153
	v_ashrrev_i32_e32 v158, 31, v158
	v_lshlrev_b32_e32 v157, 25, v37
	v_ashrrev_i32_e32 v149, 31, v149
	v_lshlrev_b32_e32 v153, 24, v37
	s_wait_alu 0xfffd
	v_xor_b32_e32 v36, vcc_lo, v36
	v_cmp_gt_i32_e32 vcc_lo, 0, v150
	v_not_b32_e32 v150, v151
	s_wait_alu 0xf1ff
	v_xor_b32_e32 v158, s15, v158
	v_cmp_gt_i32_e64 s15, 0, v151
	v_and_b32_e32 v36, exec_lo, v36
	v_not_b32_e32 v151, v154
	v_ashrrev_i32_e32 v150, 31, v150
	s_wait_alu 0xfffd
	v_xor_b32_e32 v149, vcc_lo, v149
	v_cmp_gt_i32_e32 vcc_lo, 0, v154
	v_and_b32_e32 v36, v36, v158
	v_not_b32_e32 v154, v155
	v_ashrrev_i32_e32 v151, 31, v151
	s_wait_alu 0xf1ff
	v_xor_b32_e32 v150, s15, v150
	v_cmp_gt_i32_e64 s15, 0, v155
	v_and_b32_e32 v36, v36, v149
	v_not_b32_e32 v149, v157
	v_ashrrev_i32_e32 v154, 31, v154
	s_wait_alu 0xfffd
	v_xor_b32_e32 v151, vcc_lo, v151
	v_cmp_gt_i32_e32 vcc_lo, 0, v157
	v_and_b32_e32 v36, v36, v150
	v_not_b32_e32 v150, v153
	v_ashrrev_i32_e32 v149, 31, v149
	s_wait_alu 0xf1ff
	v_xor_b32_e32 v154, s15, v154
	v_cmp_gt_i32_e64 s15, 0, v153
	v_and_b32_e32 v36, v36, v151
	v_ashrrev_i32_e32 v150, 31, v150
	s_wait_alu 0xfffd
	v_xor_b32_e32 v149, vcc_lo, v149
	v_mad_u32_u24 v151, v37, 36, v118
	v_mul_u32_u24_e32 v37, 36, v37
	v_and_b32_e32 v36, v36, v154
	s_wait_alu 0xf1ff
	v_xor_b32_e32 v150, s15, v150
	s_delay_alu instid0(VALU_DEP_2) | instskip(SKIP_3) | instid1(VALU_DEP_1)
	v_and_b32_e32 v36, v36, v149
	ds_load_b32 v149, v151 offset:1056
	v_add_nc_u32_e32 v151, v118, v37
	; wave barrier
	v_and_b32_e32 v36, v36, v150
	v_mbcnt_lo_u32_b32 v150, v36, 0
	v_cmp_ne_u32_e64 s15, 0, v36
	s_delay_alu instid0(VALU_DEP_2)
	v_cmp_eq_u32_e32 vcc_lo, 0, v150
	s_and_b32 s16, s15, vcc_lo
	s_wait_alu 0xfffe
	s_and_saveexec_b32 s15, s16
	s_cbranch_execz .LBB503_724
; %bb.723:                              ;   in Loop: Header=BB503_682 Depth=2
	s_wait_dscnt 0x0
	v_bcnt_u32_b32 v36, v36, v149
	ds_store_b32 v151, v36 offset:1056
.LBB503_724:                            ;   in Loop: Header=BB503_682 Depth=2
	s_wait_alu 0xfffe
	s_or_b32 exec_lo, exec_lo, s15
	v_xor_b32_e32 v148, 0x7fffffff, v148
	; wave barrier
	s_delay_alu instid0(VALU_DEP_1) | instskip(NEXT) | instid1(VALU_DEP_1)
	v_lshrrev_b32_e32 v36, s49, v148
	v_and_b32_e32 v37, s48, v36
	s_delay_alu instid0(VALU_DEP_1)
	v_and_b32_e32 v36, 1, v37
	v_lshlrev_b32_e32 v153, 30, v37
	v_lshlrev_b32_e32 v154, 29, v37
	;; [unrolled: 1-line block ×4, first 2 shown]
	v_add_co_u32 v36, s15, v36, -1
	s_wait_alu 0xf1ff
	v_cndmask_b32_e64 v157, 0, 1, s15
	v_not_b32_e32 v162, v153
	v_cmp_gt_i32_e64 s15, 0, v153
	v_not_b32_e32 v153, v154
	v_lshlrev_b32_e32 v159, 26, v37
	v_cmp_ne_u32_e32 vcc_lo, 0, v157
	v_ashrrev_i32_e32 v162, 31, v162
	v_lshlrev_b32_e32 v161, 25, v37
	v_ashrrev_i32_e32 v153, 31, v153
	v_lshlrev_b32_e32 v157, 24, v37
	s_wait_alu 0xfffd
	v_xor_b32_e32 v36, vcc_lo, v36
	v_cmp_gt_i32_e32 vcc_lo, 0, v154
	v_not_b32_e32 v154, v155
	s_wait_alu 0xf1ff
	v_xor_b32_e32 v162, s15, v162
	v_cmp_gt_i32_e64 s15, 0, v155
	v_and_b32_e32 v36, exec_lo, v36
	v_not_b32_e32 v155, v158
	v_ashrrev_i32_e32 v154, 31, v154
	s_wait_alu 0xfffd
	v_xor_b32_e32 v153, vcc_lo, v153
	v_cmp_gt_i32_e32 vcc_lo, 0, v158
	v_and_b32_e32 v36, v36, v162
	v_not_b32_e32 v158, v159
	v_ashrrev_i32_e32 v155, 31, v155
	s_wait_alu 0xf1ff
	v_xor_b32_e32 v154, s15, v154
	v_cmp_gt_i32_e64 s15, 0, v159
	v_and_b32_e32 v36, v36, v153
	v_not_b32_e32 v153, v161
	v_ashrrev_i32_e32 v158, 31, v158
	s_wait_alu 0xfffd
	v_xor_b32_e32 v155, vcc_lo, v155
	v_cmp_gt_i32_e32 vcc_lo, 0, v161
	v_and_b32_e32 v36, v36, v154
	v_not_b32_e32 v154, v157
	v_ashrrev_i32_e32 v153, 31, v153
	s_wait_alu 0xf1ff
	v_xor_b32_e32 v158, s15, v158
	v_cmp_gt_i32_e64 s15, 0, v157
	v_and_b32_e32 v36, v36, v155
	v_ashrrev_i32_e32 v154, 31, v154
	s_wait_alu 0xfffd
	v_xor_b32_e32 v153, vcc_lo, v153
	v_mad_u32_u24 v155, v37, 36, v118
	v_mul_u32_u24_e32 v37, 36, v37
	v_and_b32_e32 v36, v36, v158
	s_wait_alu 0xf1ff
	v_xor_b32_e32 v154, s15, v154
	s_delay_alu instid0(VALU_DEP_2) | instskip(SKIP_3) | instid1(VALU_DEP_1)
	v_and_b32_e32 v36, v36, v153
	ds_load_b32 v153, v155 offset:1056
	v_add_nc_u32_e32 v155, v118, v37
	; wave barrier
	v_and_b32_e32 v36, v36, v154
	v_mbcnt_lo_u32_b32 v154, v36, 0
	v_cmp_ne_u32_e64 s15, 0, v36
	s_delay_alu instid0(VALU_DEP_2)
	v_cmp_eq_u32_e32 vcc_lo, 0, v154
	s_and_b32 s16, s15, vcc_lo
	s_wait_alu 0xfffe
	s_and_saveexec_b32 s15, s16
	s_cbranch_execz .LBB503_726
; %bb.725:                              ;   in Loop: Header=BB503_682 Depth=2
	s_wait_dscnt 0x0
	v_bcnt_u32_b32 v36, v36, v153
	ds_store_b32 v155, v36 offset:1056
.LBB503_726:                            ;   in Loop: Header=BB503_682 Depth=2
	s_wait_alu 0xfffe
	s_or_b32 exec_lo, exec_lo, s15
	v_xor_b32_e32 v152, 0x7fffffff, v152
	; wave barrier
	s_delay_alu instid0(VALU_DEP_1) | instskip(NEXT) | instid1(VALU_DEP_1)
	v_lshrrev_b32_e32 v36, s49, v152
	v_and_b32_e32 v37, s48, v36
	s_delay_alu instid0(VALU_DEP_1)
	v_and_b32_e32 v36, 1, v37
	v_lshlrev_b32_e32 v157, 30, v37
	v_lshlrev_b32_e32 v158, 29, v37
	;; [unrolled: 1-line block ×4, first 2 shown]
	v_add_co_u32 v36, s15, v36, -1
	s_wait_alu 0xf1ff
	v_cndmask_b32_e64 v161, 0, 1, s15
	v_not_b32_e32 v166, v157
	v_cmp_gt_i32_e64 s15, 0, v157
	v_not_b32_e32 v157, v158
	v_lshlrev_b32_e32 v163, 26, v37
	v_cmp_ne_u32_e32 vcc_lo, 0, v161
	v_ashrrev_i32_e32 v166, 31, v166
	v_lshlrev_b32_e32 v165, 25, v37
	v_ashrrev_i32_e32 v157, 31, v157
	v_lshlrev_b32_e32 v161, 24, v37
	s_wait_alu 0xfffd
	v_xor_b32_e32 v36, vcc_lo, v36
	v_cmp_gt_i32_e32 vcc_lo, 0, v158
	v_not_b32_e32 v158, v159
	s_wait_alu 0xf1ff
	v_xor_b32_e32 v166, s15, v166
	v_cmp_gt_i32_e64 s15, 0, v159
	v_and_b32_e32 v36, exec_lo, v36
	v_not_b32_e32 v159, v162
	v_ashrrev_i32_e32 v158, 31, v158
	s_wait_alu 0xfffd
	v_xor_b32_e32 v157, vcc_lo, v157
	v_cmp_gt_i32_e32 vcc_lo, 0, v162
	v_and_b32_e32 v36, v36, v166
	v_not_b32_e32 v162, v163
	v_ashrrev_i32_e32 v159, 31, v159
	s_wait_alu 0xf1ff
	v_xor_b32_e32 v158, s15, v158
	v_cmp_gt_i32_e64 s15, 0, v163
	v_and_b32_e32 v36, v36, v157
	v_not_b32_e32 v157, v165
	v_ashrrev_i32_e32 v162, 31, v162
	s_wait_alu 0xfffd
	v_xor_b32_e32 v159, vcc_lo, v159
	v_cmp_gt_i32_e32 vcc_lo, 0, v165
	v_and_b32_e32 v36, v36, v158
	v_not_b32_e32 v158, v161
	v_ashrrev_i32_e32 v157, 31, v157
	s_wait_alu 0xf1ff
	v_xor_b32_e32 v162, s15, v162
	v_cmp_gt_i32_e64 s15, 0, v161
	v_and_b32_e32 v36, v36, v159
	v_ashrrev_i32_e32 v158, 31, v158
	s_wait_alu 0xfffd
	v_xor_b32_e32 v157, vcc_lo, v157
	v_mad_u32_u24 v159, v37, 36, v118
	v_mul_u32_u24_e32 v37, 36, v37
	v_and_b32_e32 v36, v36, v162
	s_wait_alu 0xf1ff
	v_xor_b32_e32 v158, s15, v158
	s_delay_alu instid0(VALU_DEP_2) | instskip(SKIP_3) | instid1(VALU_DEP_1)
	v_and_b32_e32 v36, v36, v157
	ds_load_b32 v157, v159 offset:1056
	v_add_nc_u32_e32 v159, v118, v37
	; wave barrier
	v_and_b32_e32 v36, v36, v158
	v_mbcnt_lo_u32_b32 v158, v36, 0
	v_cmp_ne_u32_e64 s15, 0, v36
	s_delay_alu instid0(VALU_DEP_2)
	v_cmp_eq_u32_e32 vcc_lo, 0, v158
	s_and_b32 s16, s15, vcc_lo
	s_wait_alu 0xfffe
	s_and_saveexec_b32 s15, s16
	s_cbranch_execz .LBB503_728
; %bb.727:                              ;   in Loop: Header=BB503_682 Depth=2
	s_wait_dscnt 0x0
	v_bcnt_u32_b32 v36, v36, v157
	ds_store_b32 v159, v36 offset:1056
.LBB503_728:                            ;   in Loop: Header=BB503_682 Depth=2
	s_wait_alu 0xfffe
	s_or_b32 exec_lo, exec_lo, s15
	v_xor_b32_e32 v156, 0x7fffffff, v156
	; wave barrier
	s_delay_alu instid0(VALU_DEP_1) | instskip(NEXT) | instid1(VALU_DEP_1)
	v_lshrrev_b32_e32 v36, s49, v156
	v_and_b32_e32 v37, s48, v36
	s_delay_alu instid0(VALU_DEP_1)
	v_and_b32_e32 v36, 1, v37
	v_lshlrev_b32_e32 v161, 30, v37
	v_lshlrev_b32_e32 v162, 29, v37
	;; [unrolled: 1-line block ×4, first 2 shown]
	v_add_co_u32 v36, s15, v36, -1
	s_wait_alu 0xf1ff
	v_cndmask_b32_e64 v165, 0, 1, s15
	v_not_b32_e32 v170, v161
	v_cmp_gt_i32_e64 s15, 0, v161
	v_not_b32_e32 v161, v162
	v_lshlrev_b32_e32 v168, 26, v37
	v_cmp_ne_u32_e32 vcc_lo, 0, v165
	v_ashrrev_i32_e32 v170, 31, v170
	v_lshlrev_b32_e32 v169, 25, v37
	v_ashrrev_i32_e32 v161, 31, v161
	v_lshlrev_b32_e32 v165, 24, v37
	s_wait_alu 0xfffd
	v_xor_b32_e32 v36, vcc_lo, v36
	v_cmp_gt_i32_e32 vcc_lo, 0, v162
	v_not_b32_e32 v162, v163
	s_wait_alu 0xf1ff
	v_xor_b32_e32 v170, s15, v170
	v_cmp_gt_i32_e64 s15, 0, v163
	v_and_b32_e32 v36, exec_lo, v36
	v_not_b32_e32 v163, v166
	v_ashrrev_i32_e32 v162, 31, v162
	s_wait_alu 0xfffd
	v_xor_b32_e32 v161, vcc_lo, v161
	v_cmp_gt_i32_e32 vcc_lo, 0, v166
	v_and_b32_e32 v36, v36, v170
	v_not_b32_e32 v166, v168
	v_ashrrev_i32_e32 v163, 31, v163
	s_wait_alu 0xf1ff
	v_xor_b32_e32 v162, s15, v162
	v_cmp_gt_i32_e64 s15, 0, v168
	v_and_b32_e32 v36, v36, v161
	v_not_b32_e32 v161, v169
	v_ashrrev_i32_e32 v166, 31, v166
	s_wait_alu 0xfffd
	v_xor_b32_e32 v163, vcc_lo, v163
	v_cmp_gt_i32_e32 vcc_lo, 0, v169
	v_and_b32_e32 v36, v36, v162
	v_not_b32_e32 v162, v165
	v_ashrrev_i32_e32 v161, 31, v161
	s_wait_alu 0xf1ff
	v_xor_b32_e32 v166, s15, v166
	v_cmp_gt_i32_e64 s15, 0, v165
	v_and_b32_e32 v36, v36, v163
	v_ashrrev_i32_e32 v162, 31, v162
	s_wait_alu 0xfffd
	v_xor_b32_e32 v161, vcc_lo, v161
	v_mad_u32_u24 v163, v37, 36, v118
	v_mul_u32_u24_e32 v37, 36, v37
	v_and_b32_e32 v36, v36, v166
	s_wait_alu 0xf1ff
	v_xor_b32_e32 v162, s15, v162
	s_delay_alu instid0(VALU_DEP_2) | instskip(SKIP_3) | instid1(VALU_DEP_1)
	v_and_b32_e32 v36, v36, v161
	ds_load_b32 v161, v163 offset:1056
	v_add_nc_u32_e32 v163, v118, v37
	; wave barrier
	v_and_b32_e32 v36, v36, v162
	v_mbcnt_lo_u32_b32 v162, v36, 0
	v_cmp_ne_u32_e64 s15, 0, v36
	s_delay_alu instid0(VALU_DEP_2)
	v_cmp_eq_u32_e32 vcc_lo, 0, v162
	s_and_b32 s16, s15, vcc_lo
	s_wait_alu 0xfffe
	s_and_saveexec_b32 s15, s16
	s_cbranch_execz .LBB503_730
; %bb.729:                              ;   in Loop: Header=BB503_682 Depth=2
	s_wait_dscnt 0x0
	v_bcnt_u32_b32 v36, v36, v161
	ds_store_b32 v163, v36 offset:1056
.LBB503_730:                            ;   in Loop: Header=BB503_682 Depth=2
	s_wait_alu 0xfffe
	s_or_b32 exec_lo, exec_lo, s15
	v_xor_b32_e32 v160, 0x7fffffff, v160
	; wave barrier
	s_delay_alu instid0(VALU_DEP_1) | instskip(NEXT) | instid1(VALU_DEP_1)
	v_lshrrev_b32_e32 v36, s49, v160
	v_and_b32_e32 v37, s48, v36
	s_delay_alu instid0(VALU_DEP_1)
	v_and_b32_e32 v36, 1, v37
	v_lshlrev_b32_e32 v165, 30, v37
	v_lshlrev_b32_e32 v166, 29, v37
	;; [unrolled: 1-line block ×4, first 2 shown]
	v_add_co_u32 v36, s15, v36, -1
	s_wait_alu 0xf1ff
	v_cndmask_b32_e64 v169, 0, 1, s15
	v_not_b32_e32 v173, v165
	v_cmp_gt_i32_e64 s15, 0, v165
	v_not_b32_e32 v165, v166
	v_lshlrev_b32_e32 v171, 26, v37
	v_cmp_ne_u32_e32 vcc_lo, 0, v169
	v_ashrrev_i32_e32 v173, 31, v173
	v_lshlrev_b32_e32 v172, 25, v37
	v_ashrrev_i32_e32 v165, 31, v165
	v_lshlrev_b32_e32 v169, 24, v37
	s_wait_alu 0xfffd
	v_xor_b32_e32 v36, vcc_lo, v36
	v_cmp_gt_i32_e32 vcc_lo, 0, v166
	v_not_b32_e32 v166, v168
	s_wait_alu 0xf1ff
	v_xor_b32_e32 v173, s15, v173
	v_cmp_gt_i32_e64 s15, 0, v168
	v_and_b32_e32 v36, exec_lo, v36
	v_not_b32_e32 v168, v170
	v_ashrrev_i32_e32 v166, 31, v166
	s_wait_alu 0xfffd
	v_xor_b32_e32 v165, vcc_lo, v165
	v_cmp_gt_i32_e32 vcc_lo, 0, v170
	v_and_b32_e32 v36, v36, v173
	v_not_b32_e32 v170, v171
	v_ashrrev_i32_e32 v168, 31, v168
	s_wait_alu 0xf1ff
	v_xor_b32_e32 v166, s15, v166
	v_cmp_gt_i32_e64 s15, 0, v171
	v_and_b32_e32 v36, v36, v165
	v_not_b32_e32 v165, v172
	v_ashrrev_i32_e32 v170, 31, v170
	s_wait_alu 0xfffd
	v_xor_b32_e32 v168, vcc_lo, v168
	v_cmp_gt_i32_e32 vcc_lo, 0, v172
	v_and_b32_e32 v36, v36, v166
	v_not_b32_e32 v166, v169
	v_ashrrev_i32_e32 v165, 31, v165
	s_wait_alu 0xf1ff
	v_xor_b32_e32 v170, s15, v170
	v_cmp_gt_i32_e64 s15, 0, v169
	v_and_b32_e32 v36, v36, v168
	v_ashrrev_i32_e32 v166, 31, v166
	s_wait_alu 0xfffd
	v_xor_b32_e32 v165, vcc_lo, v165
	v_mad_u32_u24 v168, v37, 36, v118
	v_mul_u32_u24_e32 v37, 36, v37
	v_and_b32_e32 v36, v36, v170
	s_wait_alu 0xf1ff
	v_xor_b32_e32 v166, s15, v166
	s_delay_alu instid0(VALU_DEP_2) | instskip(SKIP_3) | instid1(VALU_DEP_1)
	v_and_b32_e32 v36, v36, v165
	ds_load_b32 v165, v168 offset:1056
	v_add_nc_u32_e32 v168, v118, v37
	; wave barrier
	v_and_b32_e32 v36, v36, v166
	v_mbcnt_lo_u32_b32 v166, v36, 0
	v_cmp_ne_u32_e64 s15, 0, v36
	s_delay_alu instid0(VALU_DEP_2)
	v_cmp_eq_u32_e32 vcc_lo, 0, v166
	s_and_b32 s16, s15, vcc_lo
	s_wait_alu 0xfffe
	s_and_saveexec_b32 s15, s16
	s_cbranch_execz .LBB503_732
; %bb.731:                              ;   in Loop: Header=BB503_682 Depth=2
	s_wait_dscnt 0x0
	v_bcnt_u32_b32 v36, v36, v165
	ds_store_b32 v168, v36 offset:1056
.LBB503_732:                            ;   in Loop: Header=BB503_682 Depth=2
	s_wait_alu 0xfffe
	s_or_b32 exec_lo, exec_lo, s15
	v_xor_b32_e32 v164, 0x7fffffff, v164
	; wave barrier
	s_delay_alu instid0(VALU_DEP_1) | instskip(NEXT) | instid1(VALU_DEP_1)
	v_lshrrev_b32_e32 v36, s49, v164
	v_and_b32_e32 v37, s48, v36
	s_delay_alu instid0(VALU_DEP_1)
	v_and_b32_e32 v36, 1, v37
	v_lshlrev_b32_e32 v169, 30, v37
	v_lshlrev_b32_e32 v170, 29, v37
	v_lshlrev_b32_e32 v171, 28, v37
	v_lshlrev_b32_e32 v173, 27, v37
	v_add_co_u32 v36, s15, v36, -1
	s_wait_alu 0xf1ff
	v_cndmask_b32_e64 v172, 0, 1, s15
	v_not_b32_e32 v176, v169
	v_cmp_gt_i32_e64 s15, 0, v169
	v_not_b32_e32 v169, v170
	v_lshlrev_b32_e32 v174, 26, v37
	v_cmp_ne_u32_e32 vcc_lo, 0, v172
	v_ashrrev_i32_e32 v176, 31, v176
	v_lshlrev_b32_e32 v175, 25, v37
	v_ashrrev_i32_e32 v169, 31, v169
	v_lshlrev_b32_e32 v172, 24, v37
	s_wait_alu 0xfffd
	v_xor_b32_e32 v36, vcc_lo, v36
	v_cmp_gt_i32_e32 vcc_lo, 0, v170
	v_not_b32_e32 v170, v171
	s_wait_alu 0xf1ff
	v_xor_b32_e32 v176, s15, v176
	v_cmp_gt_i32_e64 s15, 0, v171
	v_and_b32_e32 v36, exec_lo, v36
	v_not_b32_e32 v171, v173
	v_ashrrev_i32_e32 v170, 31, v170
	s_wait_alu 0xfffd
	v_xor_b32_e32 v169, vcc_lo, v169
	v_cmp_gt_i32_e32 vcc_lo, 0, v173
	v_and_b32_e32 v36, v36, v176
	v_not_b32_e32 v173, v174
	v_ashrrev_i32_e32 v171, 31, v171
	s_wait_alu 0xf1ff
	v_xor_b32_e32 v170, s15, v170
	v_cmp_gt_i32_e64 s15, 0, v174
	v_and_b32_e32 v36, v36, v169
	v_not_b32_e32 v169, v175
	v_ashrrev_i32_e32 v173, 31, v173
	s_wait_alu 0xfffd
	v_xor_b32_e32 v171, vcc_lo, v171
	v_cmp_gt_i32_e32 vcc_lo, 0, v175
	v_and_b32_e32 v36, v36, v170
	v_not_b32_e32 v170, v172
	v_ashrrev_i32_e32 v169, 31, v169
	s_wait_alu 0xf1ff
	v_xor_b32_e32 v173, s15, v173
	v_cmp_gt_i32_e64 s15, 0, v172
	v_and_b32_e32 v36, v36, v171
	v_ashrrev_i32_e32 v170, 31, v170
	s_wait_alu 0xfffd
	v_xor_b32_e32 v169, vcc_lo, v169
	v_mad_u32_u24 v171, v37, 36, v118
	v_mul_u32_u24_e32 v37, 36, v37
	v_and_b32_e32 v36, v36, v173
	s_wait_alu 0xf1ff
	v_xor_b32_e32 v170, s15, v170
	s_delay_alu instid0(VALU_DEP_2) | instskip(SKIP_3) | instid1(VALU_DEP_1)
	v_and_b32_e32 v36, v36, v169
	ds_load_b32 v169, v171 offset:1056
	v_add_nc_u32_e32 v171, v118, v37
	; wave barrier
	v_and_b32_e32 v36, v36, v170
	v_mbcnt_lo_u32_b32 v170, v36, 0
	v_cmp_ne_u32_e64 s15, 0, v36
	s_delay_alu instid0(VALU_DEP_2)
	v_cmp_eq_u32_e32 vcc_lo, 0, v170
	s_and_b32 s16, s15, vcc_lo
	s_wait_alu 0xfffe
	s_and_saveexec_b32 s15, s16
	s_cbranch_execz .LBB503_734
; %bb.733:                              ;   in Loop: Header=BB503_682 Depth=2
	s_wait_dscnt 0x0
	v_bcnt_u32_b32 v36, v36, v169
	ds_store_b32 v171, v36 offset:1056
.LBB503_734:                            ;   in Loop: Header=BB503_682 Depth=2
	s_wait_alu 0xfffe
	s_or_b32 exec_lo, exec_lo, s15
	v_xor_b32_e32 v167, 0x7fffffff, v167
	; wave barrier
	s_delay_alu instid0(VALU_DEP_1) | instskip(NEXT) | instid1(VALU_DEP_1)
	v_lshrrev_b32_e32 v36, s49, v167
	v_and_b32_e32 v37, s48, v36
	s_delay_alu instid0(VALU_DEP_1)
	v_and_b32_e32 v36, 1, v37
	v_lshlrev_b32_e32 v172, 30, v37
	v_lshlrev_b32_e32 v173, 29, v37
	;; [unrolled: 1-line block ×4, first 2 shown]
	v_add_co_u32 v36, s15, v36, -1
	s_wait_alu 0xf1ff
	v_cndmask_b32_e64 v175, 0, 1, s15
	v_not_b32_e32 v179, v172
	v_cmp_gt_i32_e64 s15, 0, v172
	v_not_b32_e32 v172, v173
	v_lshlrev_b32_e32 v177, 26, v37
	v_cmp_ne_u32_e32 vcc_lo, 0, v175
	v_ashrrev_i32_e32 v179, 31, v179
	v_lshlrev_b32_e32 v178, 25, v37
	v_ashrrev_i32_e32 v172, 31, v172
	v_lshlrev_b32_e32 v175, 24, v37
	s_wait_alu 0xfffd
	v_xor_b32_e32 v36, vcc_lo, v36
	v_cmp_gt_i32_e32 vcc_lo, 0, v173
	v_not_b32_e32 v173, v174
	s_wait_alu 0xf1ff
	v_xor_b32_e32 v179, s15, v179
	v_cmp_gt_i32_e64 s15, 0, v174
	v_and_b32_e32 v36, exec_lo, v36
	v_not_b32_e32 v174, v176
	v_ashrrev_i32_e32 v173, 31, v173
	s_wait_alu 0xfffd
	v_xor_b32_e32 v172, vcc_lo, v172
	v_cmp_gt_i32_e32 vcc_lo, 0, v176
	v_and_b32_e32 v36, v36, v179
	v_not_b32_e32 v176, v177
	v_ashrrev_i32_e32 v174, 31, v174
	s_wait_alu 0xf1ff
	v_xor_b32_e32 v173, s15, v173
	v_cmp_gt_i32_e64 s15, 0, v177
	v_and_b32_e32 v36, v36, v172
	v_not_b32_e32 v172, v178
	v_ashrrev_i32_e32 v176, 31, v176
	s_wait_alu 0xfffd
	v_xor_b32_e32 v174, vcc_lo, v174
	v_cmp_gt_i32_e32 vcc_lo, 0, v178
	v_and_b32_e32 v36, v36, v173
	v_not_b32_e32 v173, v175
	v_ashrrev_i32_e32 v172, 31, v172
	s_wait_alu 0xf1ff
	v_xor_b32_e32 v176, s15, v176
	v_cmp_gt_i32_e64 s15, 0, v175
	v_and_b32_e32 v36, v36, v174
	v_ashrrev_i32_e32 v173, 31, v173
	s_wait_alu 0xfffd
	v_xor_b32_e32 v172, vcc_lo, v172
	v_mad_u32_u24 v174, v37, 36, v118
	v_mul_u32_u24_e32 v37, 36, v37
	v_and_b32_e32 v36, v36, v176
	s_wait_alu 0xf1ff
	v_xor_b32_e32 v175, s15, v173
	ds_load_b32 v173, v174 offset:1056
	v_and_b32_e32 v36, v36, v172
	; wave barrier
	s_delay_alu instid0(VALU_DEP_1) | instskip(SKIP_1) | instid1(VALU_DEP_2)
	v_and_b32_e32 v36, v36, v175
	v_add_nc_u32_e32 v175, v118, v37
	v_mbcnt_lo_u32_b32 v174, v36, 0
	v_cmp_ne_u32_e64 s15, 0, v36
	s_delay_alu instid0(VALU_DEP_2)
	v_cmp_eq_u32_e32 vcc_lo, 0, v174
	s_and_b32 s16, s15, vcc_lo
	s_wait_alu 0xfffe
	s_and_saveexec_b32 s15, s16
	s_cbranch_execz .LBB503_736
; %bb.735:                              ;   in Loop: Header=BB503_682 Depth=2
	s_wait_dscnt 0x0
	v_bcnt_u32_b32 v36, v36, v173
	ds_store_b32 v175, v36 offset:1056
.LBB503_736:                            ;   in Loop: Header=BB503_682 Depth=2
	s_wait_alu 0xfffe
	s_or_b32 exec_lo, exec_lo, s15
	v_xor_b32_e32 v172, 0x7fffffff, v43
	; wave barrier
	s_delay_alu instid0(VALU_DEP_1) | instskip(NEXT) | instid1(VALU_DEP_1)
	v_lshrrev_b32_e32 v36, s49, v172
	v_and_b32_e32 v37, s48, v36
	s_delay_alu instid0(VALU_DEP_1)
	v_and_b32_e32 v36, 1, v37
	v_lshlrev_b32_e32 v43, 30, v37
	v_lshlrev_b32_e32 v176, 29, v37
	;; [unrolled: 1-line block ×4, first 2 shown]
	v_add_co_u32 v36, s15, v36, -1
	s_wait_alu 0xf1ff
	v_cndmask_b32_e64 v178, 0, 1, s15
	v_not_b32_e32 v182, v43
	v_cmp_gt_i32_e64 s15, 0, v43
	v_not_b32_e32 v43, v176
	v_lshlrev_b32_e32 v180, 26, v37
	v_cmp_ne_u32_e32 vcc_lo, 0, v178
	v_ashrrev_i32_e32 v182, 31, v182
	v_lshlrev_b32_e32 v181, 25, v37
	v_ashrrev_i32_e32 v43, 31, v43
	v_lshlrev_b32_e32 v178, 24, v37
	s_wait_alu 0xfffd
	v_xor_b32_e32 v36, vcc_lo, v36
	v_cmp_gt_i32_e32 vcc_lo, 0, v176
	v_not_b32_e32 v176, v177
	s_wait_alu 0xf1ff
	v_xor_b32_e32 v182, s15, v182
	v_cmp_gt_i32_e64 s15, 0, v177
	v_and_b32_e32 v36, exec_lo, v36
	v_not_b32_e32 v177, v179
	v_ashrrev_i32_e32 v176, 31, v176
	s_wait_alu 0xfffd
	v_xor_b32_e32 v43, vcc_lo, v43
	v_cmp_gt_i32_e32 vcc_lo, 0, v179
	v_and_b32_e32 v36, v36, v182
	v_not_b32_e32 v179, v180
	v_ashrrev_i32_e32 v177, 31, v177
	s_wait_alu 0xf1ff
	v_xor_b32_e32 v176, s15, v176
	v_cmp_gt_i32_e64 s15, 0, v180
	v_and_b32_e32 v36, v36, v43
	v_not_b32_e32 v43, v181
	v_ashrrev_i32_e32 v179, 31, v179
	s_wait_alu 0xfffd
	v_xor_b32_e32 v177, vcc_lo, v177
	v_cmp_gt_i32_e32 vcc_lo, 0, v181
	v_and_b32_e32 v36, v36, v176
	v_not_b32_e32 v176, v178
	v_ashrrev_i32_e32 v43, 31, v43
	s_wait_alu 0xf1ff
	v_xor_b32_e32 v179, s15, v179
	v_cmp_gt_i32_e64 s15, 0, v178
	v_and_b32_e32 v36, v36, v177
	v_ashrrev_i32_e32 v176, 31, v176
	s_wait_alu 0xfffd
	v_xor_b32_e32 v43, vcc_lo, v43
	v_mad_u32_u24 v177, v37, 36, v118
	v_mul_u32_u24_e32 v37, 36, v37
	v_and_b32_e32 v36, v36, v179
	s_wait_alu 0xf1ff
	v_xor_b32_e32 v176, s15, v176
	ds_load_b32 v177, v177 offset:1056
	v_add_nc_u32_e32 v179, v118, v37
	v_and_b32_e32 v36, v36, v43
	; wave barrier
	s_delay_alu instid0(VALU_DEP_1) | instskip(NEXT) | instid1(VALU_DEP_1)
	v_and_b32_e32 v36, v36, v176
	v_mbcnt_lo_u32_b32 v178, v36, 0
	v_cmp_ne_u32_e64 s15, 0, v36
	s_delay_alu instid0(VALU_DEP_2)
	v_cmp_eq_u32_e32 vcc_lo, 0, v178
	s_and_b32 s16, s15, vcc_lo
	s_wait_alu 0xfffe
	s_and_saveexec_b32 s15, s16
	s_cbranch_execz .LBB503_738
; %bb.737:                              ;   in Loop: Header=BB503_682 Depth=2
	s_wait_dscnt 0x0
	v_bcnt_u32_b32 v36, v36, v177
	ds_store_b32 v179, v36 offset:1056
.LBB503_738:                            ;   in Loop: Header=BB503_682 Depth=2
	s_wait_alu 0xfffe
	s_or_b32 exec_lo, exec_lo, s15
	v_xor_b32_e32 v176, 0x7fffffff, v42
	; wave barrier
	s_delay_alu instid0(VALU_DEP_1) | instskip(NEXT) | instid1(VALU_DEP_1)
	v_lshrrev_b32_e32 v36, s49, v176
	v_and_b32_e32 v37, s48, v36
	s_delay_alu instid0(VALU_DEP_1)
	v_and_b32_e32 v36, 1, v37
	v_lshlrev_b32_e32 v42, 30, v37
	v_lshlrev_b32_e32 v43, 29, v37
	;; [unrolled: 1-line block ×4, first 2 shown]
	v_add_co_u32 v36, s15, v36, -1
	s_wait_alu 0xf1ff
	v_cndmask_b32_e64 v181, 0, 1, s15
	v_not_b32_e32 v185, v42
	v_cmp_gt_i32_e64 s15, 0, v42
	v_not_b32_e32 v42, v43
	v_lshlrev_b32_e32 v183, 26, v37
	v_cmp_ne_u32_e32 vcc_lo, 0, v181
	v_ashrrev_i32_e32 v185, 31, v185
	v_lshlrev_b32_e32 v184, 25, v37
	v_ashrrev_i32_e32 v42, 31, v42
	v_lshlrev_b32_e32 v181, 24, v37
	s_wait_alu 0xfffd
	v_xor_b32_e32 v36, vcc_lo, v36
	v_cmp_gt_i32_e32 vcc_lo, 0, v43
	v_not_b32_e32 v43, v180
	s_wait_alu 0xf1ff
	v_xor_b32_e32 v185, s15, v185
	v_cmp_gt_i32_e64 s15, 0, v180
	v_and_b32_e32 v36, exec_lo, v36
	v_not_b32_e32 v180, v182
	v_ashrrev_i32_e32 v43, 31, v43
	s_wait_alu 0xfffd
	v_xor_b32_e32 v42, vcc_lo, v42
	v_cmp_gt_i32_e32 vcc_lo, 0, v182
	v_and_b32_e32 v36, v36, v185
	v_not_b32_e32 v182, v183
	v_ashrrev_i32_e32 v180, 31, v180
	s_wait_alu 0xf1ff
	v_xor_b32_e32 v43, s15, v43
	v_cmp_gt_i32_e64 s15, 0, v183
	v_and_b32_e32 v36, v36, v42
	v_not_b32_e32 v42, v184
	v_ashrrev_i32_e32 v182, 31, v182
	s_wait_alu 0xfffd
	v_xor_b32_e32 v180, vcc_lo, v180
	v_cmp_gt_i32_e32 vcc_lo, 0, v184
	v_and_b32_e32 v36, v36, v43
	v_not_b32_e32 v43, v181
	v_ashrrev_i32_e32 v42, 31, v42
	s_wait_alu 0xf1ff
	v_xor_b32_e32 v182, s15, v182
	v_cmp_gt_i32_e64 s15, 0, v181
	v_and_b32_e32 v36, v36, v180
	v_ashrrev_i32_e32 v43, 31, v43
	s_wait_alu 0xfffd
	v_xor_b32_e32 v42, vcc_lo, v42
	v_mad_u32_u24 v180, v37, 36, v118
	v_mul_u32_u24_e32 v37, 36, v37
	v_and_b32_e32 v36, v36, v182
	s_wait_alu 0xf1ff
	v_xor_b32_e32 v43, s15, v43
	ds_load_b32 v181, v180 offset:1056
	v_add_nc_u32_e32 v183, v118, v37
	v_and_b32_e32 v36, v36, v42
	; wave barrier
	s_delay_alu instid0(VALU_DEP_1) | instskip(NEXT) | instid1(VALU_DEP_1)
	v_and_b32_e32 v36, v36, v43
	v_mbcnt_lo_u32_b32 v182, v36, 0
	v_cmp_ne_u32_e64 s15, 0, v36
	s_delay_alu instid0(VALU_DEP_2)
	v_cmp_eq_u32_e32 vcc_lo, 0, v182
	s_and_b32 s16, s15, vcc_lo
	s_wait_alu 0xfffe
	s_and_saveexec_b32 s15, s16
	s_cbranch_execz .LBB503_740
; %bb.739:                              ;   in Loop: Header=BB503_682 Depth=2
	s_wait_dscnt 0x0
	v_bcnt_u32_b32 v36, v36, v181
	ds_store_b32 v183, v36 offset:1056
.LBB503_740:                            ;   in Loop: Header=BB503_682 Depth=2
	s_wait_alu 0xfffe
	s_or_b32 exec_lo, exec_lo, s15
	v_xor_b32_e32 v180, 0x7fffffff, v41
	; wave barrier
	s_delay_alu instid0(VALU_DEP_1) | instskip(NEXT) | instid1(VALU_DEP_1)
	v_lshrrev_b32_e32 v36, s49, v180
	v_and_b32_e32 v37, s48, v36
	s_delay_alu instid0(VALU_DEP_1)
	v_and_b32_e32 v36, 1, v37
	v_lshlrev_b32_e32 v41, 30, v37
	v_lshlrev_b32_e32 v42, 29, v37
	;; [unrolled: 1-line block ×4, first 2 shown]
	v_add_co_u32 v36, s15, v36, -1
	s_wait_alu 0xf1ff
	v_cndmask_b32_e64 v184, 0, 1, s15
	v_not_b32_e32 v188, v41
	v_cmp_gt_i32_e64 s15, 0, v41
	v_not_b32_e32 v41, v42
	v_lshlrev_b32_e32 v186, 26, v37
	v_cmp_ne_u32_e32 vcc_lo, 0, v184
	v_ashrrev_i32_e32 v188, 31, v188
	v_lshlrev_b32_e32 v187, 25, v37
	v_ashrrev_i32_e32 v41, 31, v41
	v_lshlrev_b32_e32 v184, 24, v37
	s_wait_alu 0xfffd
	v_xor_b32_e32 v36, vcc_lo, v36
	v_cmp_gt_i32_e32 vcc_lo, 0, v42
	v_not_b32_e32 v42, v43
	s_wait_alu 0xf1ff
	v_xor_b32_e32 v188, s15, v188
	v_cmp_gt_i32_e64 s15, 0, v43
	v_and_b32_e32 v36, exec_lo, v36
	v_not_b32_e32 v43, v185
	v_ashrrev_i32_e32 v42, 31, v42
	s_wait_alu 0xfffd
	v_xor_b32_e32 v41, vcc_lo, v41
	v_cmp_gt_i32_e32 vcc_lo, 0, v185
	v_and_b32_e32 v36, v36, v188
	v_not_b32_e32 v185, v186
	v_ashrrev_i32_e32 v43, 31, v43
	s_wait_alu 0xf1ff
	v_xor_b32_e32 v42, s15, v42
	v_cmp_gt_i32_e64 s15, 0, v186
	v_and_b32_e32 v36, v36, v41
	v_not_b32_e32 v41, v187
	v_ashrrev_i32_e32 v185, 31, v185
	s_wait_alu 0xfffd
	v_xor_b32_e32 v43, vcc_lo, v43
	v_cmp_gt_i32_e32 vcc_lo, 0, v187
	v_and_b32_e32 v36, v36, v42
	v_not_b32_e32 v42, v184
	v_ashrrev_i32_e32 v41, 31, v41
	s_wait_alu 0xf1ff
	v_xor_b32_e32 v185, s15, v185
	v_cmp_gt_i32_e64 s15, 0, v184
	v_and_b32_e32 v36, v36, v43
	v_ashrrev_i32_e32 v42, 31, v42
	s_wait_alu 0xfffd
	v_xor_b32_e32 v41, vcc_lo, v41
	v_mad_u32_u24 v43, v37, 36, v118
	v_mul_u32_u24_e32 v37, 36, v37
	v_and_b32_e32 v36, v36, v185
	s_wait_alu 0xf1ff
	v_xor_b32_e32 v42, s15, v42
	ds_load_b32 v185, v43 offset:1056
	v_add_nc_u32_e32 v187, v118, v37
	v_and_b32_e32 v36, v36, v41
	; wave barrier
	s_delay_alu instid0(VALU_DEP_1) | instskip(NEXT) | instid1(VALU_DEP_1)
	v_and_b32_e32 v36, v36, v42
	v_mbcnt_lo_u32_b32 v186, v36, 0
	v_cmp_ne_u32_e64 s15, 0, v36
	s_delay_alu instid0(VALU_DEP_2)
	v_cmp_eq_u32_e32 vcc_lo, 0, v186
	s_and_b32 s16, s15, vcc_lo
	s_wait_alu 0xfffe
	s_and_saveexec_b32 s15, s16
	s_cbranch_execz .LBB503_742
; %bb.741:                              ;   in Loop: Header=BB503_682 Depth=2
	s_wait_dscnt 0x0
	v_bcnt_u32_b32 v36, v36, v185
	ds_store_b32 v187, v36 offset:1056
.LBB503_742:                            ;   in Loop: Header=BB503_682 Depth=2
	s_wait_alu 0xfffe
	s_or_b32 exec_lo, exec_lo, s15
	v_xor_b32_e32 v184, 0x7fffffff, v40
	; wave barrier
	s_delay_alu instid0(VALU_DEP_1) | instskip(NEXT) | instid1(VALU_DEP_1)
	v_lshrrev_b32_e32 v36, s49, v184
	v_and_b32_e32 v37, s48, v36
	s_delay_alu instid0(VALU_DEP_1)
	v_and_b32_e32 v36, 1, v37
	v_lshlrev_b32_e32 v40, 30, v37
	v_lshlrev_b32_e32 v41, 29, v37
	;; [unrolled: 1-line block ×4, first 2 shown]
	v_add_co_u32 v36, s15, v36, -1
	s_wait_alu 0xf1ff
	v_cndmask_b32_e64 v43, 0, 1, s15
	v_not_b32_e32 v191, v40
	v_cmp_gt_i32_e64 s15, 0, v40
	v_not_b32_e32 v40, v41
	v_lshlrev_b32_e32 v189, 26, v37
	v_cmp_ne_u32_e32 vcc_lo, 0, v43
	v_ashrrev_i32_e32 v191, 31, v191
	v_lshlrev_b32_e32 v190, 25, v37
	v_ashrrev_i32_e32 v40, 31, v40
	v_lshlrev_b32_e32 v43, 24, v37
	s_wait_alu 0xfffd
	v_xor_b32_e32 v36, vcc_lo, v36
	v_cmp_gt_i32_e32 vcc_lo, 0, v41
	v_not_b32_e32 v41, v42
	s_wait_alu 0xf1ff
	v_xor_b32_e32 v191, s15, v191
	v_cmp_gt_i32_e64 s15, 0, v42
	v_and_b32_e32 v36, exec_lo, v36
	v_not_b32_e32 v42, v188
	v_ashrrev_i32_e32 v41, 31, v41
	s_wait_alu 0xfffd
	v_xor_b32_e32 v40, vcc_lo, v40
	v_cmp_gt_i32_e32 vcc_lo, 0, v188
	v_and_b32_e32 v36, v36, v191
	v_not_b32_e32 v188, v189
	v_ashrrev_i32_e32 v42, 31, v42
	s_wait_alu 0xf1ff
	v_xor_b32_e32 v41, s15, v41
	v_cmp_gt_i32_e64 s15, 0, v189
	v_and_b32_e32 v36, v36, v40
	v_not_b32_e32 v40, v190
	v_ashrrev_i32_e32 v188, 31, v188
	s_wait_alu 0xfffd
	v_xor_b32_e32 v42, vcc_lo, v42
	v_cmp_gt_i32_e32 vcc_lo, 0, v190
	v_and_b32_e32 v36, v36, v41
	v_not_b32_e32 v41, v43
	v_ashrrev_i32_e32 v40, 31, v40
	s_wait_alu 0xf1ff
	v_xor_b32_e32 v188, s15, v188
	v_cmp_gt_i32_e64 s15, 0, v43
	v_and_b32_e32 v36, v36, v42
	v_ashrrev_i32_e32 v41, 31, v41
	s_wait_alu 0xfffd
	v_xor_b32_e32 v40, vcc_lo, v40
	v_mad_u32_u24 v42, v37, 36, v118
	v_mul_u32_u24_e32 v37, 36, v37
	v_and_b32_e32 v36, v36, v188
	s_wait_alu 0xf1ff
	v_xor_b32_e32 v41, s15, v41
	ds_load_b32 v189, v42 offset:1056
	v_add_nc_u32_e32 v191, v118, v37
	v_and_b32_e32 v36, v36, v40
	; wave barrier
	s_delay_alu instid0(VALU_DEP_1) | instskip(NEXT) | instid1(VALU_DEP_1)
	v_and_b32_e32 v36, v36, v41
	v_mbcnt_lo_u32_b32 v190, v36, 0
	v_cmp_ne_u32_e64 s15, 0, v36
	s_delay_alu instid0(VALU_DEP_2)
	v_cmp_eq_u32_e32 vcc_lo, 0, v190
	s_and_b32 s16, s15, vcc_lo
	s_wait_alu 0xfffe
	s_and_saveexec_b32 s15, s16
	s_cbranch_execz .LBB503_744
; %bb.743:                              ;   in Loop: Header=BB503_682 Depth=2
	s_wait_dscnt 0x0
	v_bcnt_u32_b32 v36, v36, v189
	ds_store_b32 v191, v36 offset:1056
.LBB503_744:                            ;   in Loop: Header=BB503_682 Depth=2
	s_wait_alu 0xfffe
	s_or_b32 exec_lo, exec_lo, s15
	v_xor_b32_e32 v188, 0x7fffffff, v39
	; wave barrier
	s_delay_alu instid0(VALU_DEP_1) | instskip(NEXT) | instid1(VALU_DEP_1)
	v_lshrrev_b32_e32 v36, s49, v188
	v_and_b32_e32 v37, s48, v36
	s_delay_alu instid0(VALU_DEP_1)
	v_and_b32_e32 v36, 1, v37
	v_lshlrev_b32_e32 v39, 30, v37
	v_lshlrev_b32_e32 v40, 29, v37
	;; [unrolled: 1-line block ×4, first 2 shown]
	v_add_co_u32 v36, s15, v36, -1
	s_wait_alu 0xf1ff
	v_cndmask_b32_e64 v42, 0, 1, s15
	v_not_b32_e32 v194, v39
	v_cmp_gt_i32_e64 s15, 0, v39
	v_not_b32_e32 v39, v40
	v_lshlrev_b32_e32 v192, 26, v37
	v_cmp_ne_u32_e32 vcc_lo, 0, v42
	v_ashrrev_i32_e32 v194, 31, v194
	v_lshlrev_b32_e32 v193, 25, v37
	v_ashrrev_i32_e32 v39, 31, v39
	v_lshlrev_b32_e32 v42, 24, v37
	s_wait_alu 0xfffd
	v_xor_b32_e32 v36, vcc_lo, v36
	v_cmp_gt_i32_e32 vcc_lo, 0, v40
	v_not_b32_e32 v40, v41
	s_wait_alu 0xf1ff
	v_xor_b32_e32 v194, s15, v194
	v_cmp_gt_i32_e64 s15, 0, v41
	v_and_b32_e32 v36, exec_lo, v36
	v_not_b32_e32 v41, v43
	v_ashrrev_i32_e32 v40, 31, v40
	s_wait_alu 0xfffd
	v_xor_b32_e32 v39, vcc_lo, v39
	v_cmp_gt_i32_e32 vcc_lo, 0, v43
	v_and_b32_e32 v36, v36, v194
	v_not_b32_e32 v43, v192
	v_ashrrev_i32_e32 v41, 31, v41
	s_wait_alu 0xf1ff
	v_xor_b32_e32 v40, s15, v40
	v_cmp_gt_i32_e64 s15, 0, v192
	v_and_b32_e32 v36, v36, v39
	v_not_b32_e32 v39, v193
	v_ashrrev_i32_e32 v43, 31, v43
	s_wait_alu 0xfffd
	v_xor_b32_e32 v41, vcc_lo, v41
	v_cmp_gt_i32_e32 vcc_lo, 0, v193
	v_and_b32_e32 v36, v36, v40
	v_not_b32_e32 v40, v42
	v_ashrrev_i32_e32 v39, 31, v39
	s_wait_alu 0xf1ff
	v_xor_b32_e32 v43, s15, v43
	v_cmp_gt_i32_e64 s15, 0, v42
	v_and_b32_e32 v36, v36, v41
	v_ashrrev_i32_e32 v40, 31, v40
	s_wait_alu 0xfffd
	v_xor_b32_e32 v39, vcc_lo, v39
	v_mad_u32_u24 v41, v37, 36, v118
	v_mul_u32_u24_e32 v37, 36, v37
	v_and_b32_e32 v36, v36, v43
	s_wait_alu 0xf1ff
	v_xor_b32_e32 v40, s15, v40
	ds_load_b32 v193, v41 offset:1056
	v_add_nc_u32_e32 v195, v118, v37
	v_and_b32_e32 v36, v36, v39
	; wave barrier
	s_delay_alu instid0(VALU_DEP_1) | instskip(NEXT) | instid1(VALU_DEP_1)
	v_and_b32_e32 v36, v36, v40
	v_mbcnt_lo_u32_b32 v194, v36, 0
	v_cmp_ne_u32_e64 s15, 0, v36
	s_delay_alu instid0(VALU_DEP_2)
	v_cmp_eq_u32_e32 vcc_lo, 0, v194
	s_and_b32 s16, s15, vcc_lo
	s_wait_alu 0xfffe
	s_and_saveexec_b32 s15, s16
	s_cbranch_execz .LBB503_746
; %bb.745:                              ;   in Loop: Header=BB503_682 Depth=2
	s_wait_dscnt 0x0
	v_bcnt_u32_b32 v36, v36, v193
	ds_store_b32 v195, v36 offset:1056
.LBB503_746:                            ;   in Loop: Header=BB503_682 Depth=2
	s_wait_alu 0xfffe
	s_or_b32 exec_lo, exec_lo, s15
	v_xor_b32_e32 v192, 0x7fffffff, v38
	; wave barrier
	s_delay_alu instid0(VALU_DEP_1) | instskip(NEXT) | instid1(VALU_DEP_1)
	v_lshrrev_b32_e32 v36, s49, v192
	v_and_b32_e32 v37, s48, v36
	s_delay_alu instid0(VALU_DEP_1)
	v_and_b32_e32 v36, 1, v37
	v_lshlrev_b32_e32 v38, 30, v37
	v_lshlrev_b32_e32 v39, 29, v37
	;; [unrolled: 1-line block ×4, first 2 shown]
	v_add_co_u32 v36, s15, v36, -1
	s_wait_alu 0xf1ff
	v_cndmask_b32_e64 v41, 0, 1, s15
	v_not_b32_e32 v197, v38
	v_cmp_gt_i32_e64 s15, 0, v38
	v_not_b32_e32 v38, v39
	v_lshlrev_b32_e32 v43, 26, v37
	v_cmp_ne_u32_e32 vcc_lo, 0, v41
	v_ashrrev_i32_e32 v197, 31, v197
	v_lshlrev_b32_e32 v196, 25, v37
	v_ashrrev_i32_e32 v38, 31, v38
	v_lshlrev_b32_e32 v41, 24, v37
	s_wait_alu 0xfffd
	v_xor_b32_e32 v36, vcc_lo, v36
	v_cmp_gt_i32_e32 vcc_lo, 0, v39
	v_not_b32_e32 v39, v40
	s_wait_alu 0xf1ff
	v_xor_b32_e32 v197, s15, v197
	v_cmp_gt_i32_e64 s15, 0, v40
	v_and_b32_e32 v36, exec_lo, v36
	v_not_b32_e32 v40, v42
	v_ashrrev_i32_e32 v39, 31, v39
	s_wait_alu 0xfffd
	v_xor_b32_e32 v38, vcc_lo, v38
	v_cmp_gt_i32_e32 vcc_lo, 0, v42
	v_and_b32_e32 v36, v36, v197
	v_not_b32_e32 v42, v43
	v_ashrrev_i32_e32 v40, 31, v40
	s_wait_alu 0xf1ff
	v_xor_b32_e32 v39, s15, v39
	v_cmp_gt_i32_e64 s15, 0, v43
	v_and_b32_e32 v36, v36, v38
	v_not_b32_e32 v38, v196
	v_ashrrev_i32_e32 v42, 31, v42
	s_wait_alu 0xfffd
	v_xor_b32_e32 v40, vcc_lo, v40
	v_cmp_gt_i32_e32 vcc_lo, 0, v196
	v_and_b32_e32 v36, v36, v39
	v_not_b32_e32 v39, v41
	v_ashrrev_i32_e32 v38, 31, v38
	s_wait_alu 0xf1ff
	v_xor_b32_e32 v42, s15, v42
	v_cmp_gt_i32_e64 s15, 0, v41
	v_and_b32_e32 v36, v36, v40
	v_ashrrev_i32_e32 v39, 31, v39
	s_wait_alu 0xfffd
	v_xor_b32_e32 v38, vcc_lo, v38
	v_mad_u32_u24 v40, v37, 36, v118
	v_mul_u32_u24_e32 v37, 36, v37
	v_and_b32_e32 v36, v36, v42
	s_wait_alu 0xf1ff
	v_xor_b32_e32 v39, s15, v39
	ds_load_b32 v196, v40 offset:1056
	v_add_nc_u32_e32 v198, v118, v37
	v_and_b32_e32 v36, v36, v38
	; wave barrier
	s_delay_alu instid0(VALU_DEP_1) | instskip(NEXT) | instid1(VALU_DEP_1)
	v_and_b32_e32 v36, v36, v39
	v_mbcnt_lo_u32_b32 v197, v36, 0
	v_cmp_ne_u32_e64 s15, 0, v36
	s_delay_alu instid0(VALU_DEP_2)
	v_cmp_eq_u32_e32 vcc_lo, 0, v197
	s_and_b32 s16, s15, vcc_lo
	s_wait_alu 0xfffe
	s_and_saveexec_b32 s15, s16
	s_cbranch_execz .LBB503_748
; %bb.747:                              ;   in Loop: Header=BB503_682 Depth=2
	s_wait_dscnt 0x0
	v_bcnt_u32_b32 v36, v36, v196
	ds_store_b32 v198, v36 offset:1056
.LBB503_748:                            ;   in Loop: Header=BB503_682 Depth=2
	s_wait_alu 0xfffe
	s_or_b32 exec_lo, exec_lo, s15
	v_lshrrev_b32_e32 v36, s49, v2
	; wave barrier
	s_delay_alu instid0(VALU_DEP_1) | instskip(NEXT) | instid1(VALU_DEP_1)
	v_and_b32_e32 v37, s48, v36
	v_and_b32_e32 v36, 1, v37
	v_lshlrev_b32_e32 v38, 30, v37
	v_lshlrev_b32_e32 v39, 29, v37
	;; [unrolled: 1-line block ×4, first 2 shown]
	v_add_co_u32 v36, s15, v36, -1
	s_wait_alu 0xf1ff
	v_cndmask_b32_e64 v41, 0, 1, s15
	v_not_b32_e32 v200, v38
	v_cmp_gt_i32_e64 s15, 0, v38
	v_not_b32_e32 v38, v39
	v_lshlrev_b32_e32 v43, 26, v37
	v_cmp_ne_u32_e32 vcc_lo, 0, v41
	v_ashrrev_i32_e32 v200, 31, v200
	v_lshlrev_b32_e32 v199, 25, v37
	v_ashrrev_i32_e32 v38, 31, v38
	v_lshlrev_b32_e32 v41, 24, v37
	s_wait_alu 0xfffd
	v_xor_b32_e32 v36, vcc_lo, v36
	v_cmp_gt_i32_e32 vcc_lo, 0, v39
	v_not_b32_e32 v39, v40
	s_wait_alu 0xf1ff
	v_xor_b32_e32 v200, s15, v200
	v_cmp_gt_i32_e64 s15, 0, v40
	v_and_b32_e32 v36, exec_lo, v36
	v_not_b32_e32 v40, v42
	v_ashrrev_i32_e32 v39, 31, v39
	s_wait_alu 0xfffd
	v_xor_b32_e32 v38, vcc_lo, v38
	v_cmp_gt_i32_e32 vcc_lo, 0, v42
	v_and_b32_e32 v36, v36, v200
	v_not_b32_e32 v42, v43
	v_ashrrev_i32_e32 v40, 31, v40
	s_wait_alu 0xf1ff
	v_xor_b32_e32 v39, s15, v39
	v_cmp_gt_i32_e64 s15, 0, v43
	v_and_b32_e32 v36, v36, v38
	v_not_b32_e32 v38, v199
	v_ashrrev_i32_e32 v42, 31, v42
	s_wait_alu 0xfffd
	v_xor_b32_e32 v40, vcc_lo, v40
	v_cmp_gt_i32_e32 vcc_lo, 0, v199
	v_and_b32_e32 v36, v36, v39
	v_not_b32_e32 v39, v41
	v_ashrrev_i32_e32 v38, 31, v38
	s_wait_alu 0xf1ff
	v_xor_b32_e32 v42, s15, v42
	v_cmp_gt_i32_e64 s15, 0, v41
	v_and_b32_e32 v36, v36, v40
	v_ashrrev_i32_e32 v39, 31, v39
	s_wait_alu 0xfffd
	v_xor_b32_e32 v38, vcc_lo, v38
	v_mad_u32_u24 v40, v37, 36, v118
	v_mul_u32_u24_e32 v37, 36, v37
	v_and_b32_e32 v36, v36, v42
	s_wait_alu 0xf1ff
	v_xor_b32_e32 v39, s15, v39
	ds_load_b32 v199, v40 offset:1056
	v_add_nc_u32_e32 v201, v118, v37
	v_and_b32_e32 v36, v36, v38
	; wave barrier
	s_delay_alu instid0(VALU_DEP_1) | instskip(NEXT) | instid1(VALU_DEP_1)
	v_and_b32_e32 v36, v36, v39
	v_mbcnt_lo_u32_b32 v200, v36, 0
	v_cmp_ne_u32_e64 s15, 0, v36
	s_delay_alu instid0(VALU_DEP_2)
	v_cmp_eq_u32_e32 vcc_lo, 0, v200
	s_and_b32 s16, s15, vcc_lo
	s_wait_alu 0xfffe
	s_and_saveexec_b32 s15, s16
	s_cbranch_execz .LBB503_750
; %bb.749:                              ;   in Loop: Header=BB503_682 Depth=2
	s_wait_dscnt 0x0
	v_bcnt_u32_b32 v36, v36, v199
	ds_store_b32 v201, v36 offset:1056
.LBB503_750:                            ;   in Loop: Header=BB503_682 Depth=2
	s_wait_alu 0xfffe
	s_or_b32 exec_lo, exec_lo, s15
	; wave barrier
	s_wait_loadcnt_dscnt 0x0
	s_barrier_signal -1
	s_barrier_wait -1
	global_inv scope:SCOPE_SE
	ds_load_2addr_b32 v[42:43], v140 offset1:1
	ds_load_2addr_b32 v[40:41], v141 offset1:1
	;; [unrolled: 1-line block ×4, first 2 shown]
	ds_load_b32 v202, v67 offset:1088
	s_wait_dscnt 0x3
	v_add3_u32 v203, v43, v42, v40
	s_wait_dscnt 0x2
	s_delay_alu instid0(VALU_DEP_1) | instskip(SKIP_1) | instid1(VALU_DEP_1)
	v_add3_u32 v203, v203, v41, v38
	s_wait_dscnt 0x1
	v_add3_u32 v203, v203, v39, v36
	s_wait_dscnt 0x0
	s_delay_alu instid0(VALU_DEP_1) | instskip(NEXT) | instid1(VALU_DEP_1)
	v_add3_u32 v202, v203, v37, v202
	v_mov_b32_dpp v203, v202 row_shr:1 row_mask:0xf bank_mask:0xf
	s_delay_alu instid0(VALU_DEP_1) | instskip(NEXT) | instid1(VALU_DEP_1)
	v_cndmask_b32_e64 v203, v203, 0, s0
	v_add_nc_u32_e32 v202, v203, v202
	s_delay_alu instid0(VALU_DEP_1) | instskip(NEXT) | instid1(VALU_DEP_1)
	v_mov_b32_dpp v203, v202 row_shr:2 row_mask:0xf bank_mask:0xf
	v_cndmask_b32_e64 v203, 0, v203, s1
	s_delay_alu instid0(VALU_DEP_1) | instskip(NEXT) | instid1(VALU_DEP_1)
	v_add_nc_u32_e32 v202, v202, v203
	v_mov_b32_dpp v203, v202 row_shr:4 row_mask:0xf bank_mask:0xf
	s_delay_alu instid0(VALU_DEP_1) | instskip(NEXT) | instid1(VALU_DEP_1)
	v_cndmask_b32_e64 v203, 0, v203, s9
	v_add_nc_u32_e32 v202, v202, v203
	s_delay_alu instid0(VALU_DEP_1) | instskip(NEXT) | instid1(VALU_DEP_1)
	v_mov_b32_dpp v203, v202 row_shr:8 row_mask:0xf bank_mask:0xf
	v_cndmask_b32_e64 v203, 0, v203, s10
	s_delay_alu instid0(VALU_DEP_1) | instskip(SKIP_3) | instid1(VALU_DEP_1)
	v_add_nc_u32_e32 v202, v202, v203
	ds_swizzle_b32 v203, v202 offset:swizzle(BROADCAST,32,15)
	s_wait_dscnt 0x0
	v_cndmask_b32_e64 v203, v203, 0, s11
	v_add_nc_u32_e32 v202, v202, v203
	s_and_saveexec_b32 s15, s3
; %bb.751:                              ;   in Loop: Header=BB503_682 Depth=2
	ds_store_b32 v63, v202 offset:1024
; %bb.752:                              ;   in Loop: Header=BB503_682 Depth=2
	s_wait_alu 0xfffe
	s_or_b32 exec_lo, exec_lo, s15
	s_wait_loadcnt_dscnt 0x0
	s_barrier_signal -1
	s_barrier_wait -1
	global_inv scope:SCOPE_SE
	s_and_saveexec_b32 s15, s4
	s_cbranch_execz .LBB503_754
; %bb.753:                              ;   in Loop: Header=BB503_682 Depth=2
	ds_load_b32 v203, v70 offset:1024
	s_wait_dscnt 0x0
	v_mov_b32_dpp v204, v203 row_shr:1 row_mask:0xf bank_mask:0xf
	s_delay_alu instid0(VALU_DEP_1) | instskip(NEXT) | instid1(VALU_DEP_1)
	v_cndmask_b32_e64 v204, v204, 0, s12
	v_add_nc_u32_e32 v203, v204, v203
	s_delay_alu instid0(VALU_DEP_1) | instskip(NEXT) | instid1(VALU_DEP_1)
	v_mov_b32_dpp v204, v203 row_shr:2 row_mask:0xf bank_mask:0xf
	v_cndmask_b32_e64 v204, 0, v204, s13
	s_delay_alu instid0(VALU_DEP_1) | instskip(NEXT) | instid1(VALU_DEP_1)
	v_add_nc_u32_e32 v203, v203, v204
	v_mov_b32_dpp v204, v203 row_shr:4 row_mask:0xf bank_mask:0xf
	s_delay_alu instid0(VALU_DEP_1) | instskip(NEXT) | instid1(VALU_DEP_1)
	v_cndmask_b32_e64 v204, 0, v204, s14
	v_add_nc_u32_e32 v203, v203, v204
	ds_store_b32 v70, v203 offset:1024
.LBB503_754:                            ;   in Loop: Header=BB503_682 Depth=2
	s_wait_alu 0xfffe
	s_or_b32 exec_lo, exec_lo, s15
	v_mov_b32_e32 v203, 0
	s_wait_loadcnt_dscnt 0x0
	s_barrier_signal -1
	s_barrier_wait -1
	global_inv scope:SCOPE_SE
	s_and_saveexec_b32 s15, s5
; %bb.755:                              ;   in Loop: Header=BB503_682 Depth=2
	ds_load_b32 v203, v63 offset:1020
; %bb.756:                              ;   in Loop: Header=BB503_682 Depth=2
	s_wait_alu 0xfffe
	s_or_b32 exec_lo, exec_lo, s15
	s_wait_dscnt 0x0
	v_add_nc_u32_e32 v202, v203, v202
	ds_bpermute_b32 v202, v113, v202
	s_wait_dscnt 0x0
	v_cndmask_b32_e64 v202, v202, v203, s8
	s_delay_alu instid0(VALU_DEP_1) | instskip(NEXT) | instid1(VALU_DEP_1)
	v_cndmask_b32_e64 v202, v202, 0, s6
	v_add_nc_u32_e32 v42, v202, v42
	s_delay_alu instid0(VALU_DEP_1) | instskip(NEXT) | instid1(VALU_DEP_1)
	v_add_nc_u32_e32 v43, v42, v43
	v_add_nc_u32_e32 v40, v43, v40
	s_delay_alu instid0(VALU_DEP_1) | instskip(NEXT) | instid1(VALU_DEP_1)
	v_add_nc_u32_e32 v41, v40, v41
	;; [unrolled: 3-line block ×3, first 2 shown]
	v_add_nc_u32_e32 v36, v39, v36
	s_delay_alu instid0(VALU_DEP_1)
	v_add_nc_u32_e32 v37, v36, v37
	ds_store_2addr_b32 v139, v39, v36 offset1:1
	ds_store_2addr_b32 v140, v202, v42 offset1:1
	;; [unrolled: 1-line block ×4, first 2 shown]
	ds_store_b32 v67, v37 offset:1088
	s_wait_loadcnt_dscnt 0x0
	s_barrier_signal -1
	s_barrier_wait -1
	global_inv scope:SCOPE_SE
	ds_load_b32 v39, v143 offset:1056
	ds_load_b32 v41, v147 offset:1056
	;; [unrolled: 1-line block ×17, first 2 shown]
	v_mov_b32_e32 v38, 0x1000
	s_and_saveexec_b32 s15, s7
; %bb.757:                              ;   in Loop: Header=BB503_682 Depth=2
	ds_load_b32 v38, v67 offset:1092
; %bb.758:                              ;   in Loop: Header=BB503_682 Depth=2
	s_wait_alu 0xfffe
	s_or_b32 exec_lo, exec_lo, s15
	s_wait_loadcnt_dscnt 0x0
	s_barrier_signal -1
	s_barrier_wait -1
	global_inv scope:SCOPE_SE
	s_and_saveexec_b32 s15, s2
	s_cbranch_execz .LBB503_760
; %bb.759:                              ;   in Loop: Header=BB503_682 Depth=2
	ds_load_b32 v143, v44
	s_wait_dscnt 0x0
	v_sub_nc_u32_e32 v142, v143, v142
	ds_store_b32 v44, v142
.LBB503_760:                            ;   in Loop: Header=BB503_682 Depth=2
	s_wait_alu 0xfffe
	s_or_b32 exec_lo, exec_lo, s15
	v_add_nc_u32_e32 v155, v39, v138
	v_add3_u32 v151, v146, v145, v41
	v_add3_u32 v147, v150, v149, v42
	;; [unrolled: 1-line block ×4, first 2 shown]
	v_lshlrev_b32_e32 v149, 2, v155
	v_add3_u32 v143, v162, v161, v140
	v_add3_u32 v142, v166, v165, v141
	;; [unrolled: 1-line block ×3, first 2 shown]
	v_lshlrev_b32_e32 v36, 2, v151
	v_add3_u32 v141, v170, v169, v163
	v_add3_u32 v42, v194, v193, v37
	v_lshlrev_b32_e32 v37, 2, v147
	v_add3_u32 v140, v174, v173, v168
	ds_store_b32 v149, v136 offset:1024
	v_lshlrev_b32_e32 v136, 2, v146
	v_add3_u32 v139, v178, v177, v171
	v_lshlrev_b32_e32 v149, 2, v145
	v_add3_u32 v138, v182, v181, v175
	;; [unrolled: 2-line block ×3, first 2 shown]
	ds_store_b32 v36, v137 offset:1024
	ds_store_b32 v37, v144 offset:1024
	ds_store_b32 v136, v148 offset:1024
	ds_store_b32 v149, v152 offset:1024
	ds_store_b32 v150, v156 offset:1024
	v_lshlrev_b32_e32 v36, 2, v142
	v_lshlrev_b32_e32 v37, 2, v141
	;; [unrolled: 1-line block ×3, first 2 shown]
	v_add3_u32 v41, v197, v196, v40
	v_lshlrev_b32_e32 v137, 2, v139
	v_add3_u32 v40, v200, v199, v159
	v_lshlrev_b32_e32 v144, 2, v138
	ds_store_b32 v36, v160 offset:1024
	ds_store_b32 v37, v164 offset:1024
	;; [unrolled: 1-line block ×5, first 2 shown]
	v_lshlrev_b32_e32 v36, 2, v39
	v_cmp_lt_u32_e32 vcc_lo, v1, v135
	v_lshlrev_b32_e32 v37, 2, v43
	v_lshlrev_b32_e32 v136, 2, v42
	;; [unrolled: 1-line block ×4, first 2 shown]
	ds_store_b32 v36, v180 offset:1024
	ds_store_b32 v37, v184 offset:1024
	;; [unrolled: 1-line block ×5, first 2 shown]
	s_wait_loadcnt_dscnt 0x0
	s_barrier_signal -1
	s_barrier_wait -1
	global_inv scope:SCOPE_SE
	s_and_saveexec_b32 s16, vcc_lo
	s_cbranch_execnz .LBB503_829
; %bb.761:                              ;   in Loop: Header=BB503_682 Depth=2
	s_wait_alu 0xfffe
	s_or_b32 exec_lo, exec_lo, s16
	v_cmp_lt_u32_e64 s15, v45, v135
	s_and_saveexec_b32 s17, s15
	s_cbranch_execnz .LBB503_830
.LBB503_762:                            ;   in Loop: Header=BB503_682 Depth=2
	s_wait_alu 0xfffe
	s_or_b32 exec_lo, exec_lo, s17
	v_cmp_lt_u32_e64 s16, v46, v135
	s_and_saveexec_b32 s18, s16
	s_cbranch_execnz .LBB503_831
.LBB503_763:                            ;   in Loop: Header=BB503_682 Depth=2
	s_wait_alu 0xfffe
	s_or_b32 exec_lo, exec_lo, s18
	v_cmp_lt_u32_e64 s17, v47, v135
	s_and_saveexec_b32 s19, s17
	s_cbranch_execnz .LBB503_832
.LBB503_764:                            ;   in Loop: Header=BB503_682 Depth=2
	s_wait_alu 0xfffe
	s_or_b32 exec_lo, exec_lo, s19
	v_cmp_lt_u32_e64 s18, v50, v135
	s_and_saveexec_b32 s20, s18
	s_cbranch_execnz .LBB503_833
.LBB503_765:                            ;   in Loop: Header=BB503_682 Depth=2
	s_wait_alu 0xfffe
	s_or_b32 exec_lo, exec_lo, s20
	v_cmp_lt_u32_e64 s19, v51, v135
	s_and_saveexec_b32 s21, s19
	s_cbranch_execnz .LBB503_834
.LBB503_766:                            ;   in Loop: Header=BB503_682 Depth=2
	s_wait_alu 0xfffe
	s_or_b32 exec_lo, exec_lo, s21
	v_cmp_lt_u32_e64 s20, v52, v135
	s_and_saveexec_b32 s22, s20
	s_cbranch_execnz .LBB503_835
.LBB503_767:                            ;   in Loop: Header=BB503_682 Depth=2
	s_wait_alu 0xfffe
	s_or_b32 exec_lo, exec_lo, s22
	v_cmp_lt_u32_e64 s21, v53, v135
	s_and_saveexec_b32 s23, s21
	s_cbranch_execnz .LBB503_836
.LBB503_768:                            ;   in Loop: Header=BB503_682 Depth=2
	s_wait_alu 0xfffe
	s_or_b32 exec_lo, exec_lo, s23
	v_cmp_lt_u32_e64 s22, v54, v135
	s_and_saveexec_b32 s24, s22
	s_cbranch_execnz .LBB503_837
.LBB503_769:                            ;   in Loop: Header=BB503_682 Depth=2
	s_wait_alu 0xfffe
	s_or_b32 exec_lo, exec_lo, s24
	v_cmp_lt_u32_e64 s23, v55, v135
	s_and_saveexec_b32 s25, s23
	s_cbranch_execnz .LBB503_838
.LBB503_770:                            ;   in Loop: Header=BB503_682 Depth=2
	s_wait_alu 0xfffe
	s_or_b32 exec_lo, exec_lo, s25
	v_cmp_lt_u32_e64 s24, v56, v135
	s_and_saveexec_b32 s26, s24
	s_cbranch_execnz .LBB503_839
.LBB503_771:                            ;   in Loop: Header=BB503_682 Depth=2
	s_wait_alu 0xfffe
	s_or_b32 exec_lo, exec_lo, s26
	v_cmp_lt_u32_e64 s25, v57, v135
	s_and_saveexec_b32 s27, s25
	s_cbranch_execnz .LBB503_840
.LBB503_772:                            ;   in Loop: Header=BB503_682 Depth=2
	s_wait_alu 0xfffe
	s_or_b32 exec_lo, exec_lo, s27
	v_cmp_lt_u32_e64 s26, v58, v135
	s_and_saveexec_b32 s28, s26
	s_cbranch_execnz .LBB503_841
.LBB503_773:                            ;   in Loop: Header=BB503_682 Depth=2
	s_wait_alu 0xfffe
	s_or_b32 exec_lo, exec_lo, s28
	v_cmp_lt_u32_e64 s27, v59, v135
	s_and_saveexec_b32 s29, s27
	s_cbranch_execnz .LBB503_842
.LBB503_774:                            ;   in Loop: Header=BB503_682 Depth=2
	s_wait_alu 0xfffe
	s_or_b32 exec_lo, exec_lo, s29
	v_cmp_lt_u32_e64 s28, v60, v135
	s_and_saveexec_b32 s30, s28
	s_cbranch_execnz .LBB503_843
.LBB503_775:                            ;   in Loop: Header=BB503_682 Depth=2
	s_wait_alu 0xfffe
	s_or_b32 exec_lo, exec_lo, s30
	v_cmp_lt_u32_e64 s29, v61, v135
	s_and_saveexec_b32 s56, s29
	s_cbranch_execz .LBB503_777
.LBB503_776:                            ;   in Loop: Header=BB503_682 Depth=2
	ds_load_b32 v136, v70 offset:16384
	s_wait_dscnt 0x0
	v_lshrrev_b32_e32 v2, s49, v136
	s_delay_alu instid0(VALU_DEP_1) | instskip(NEXT) | instid1(VALU_DEP_1)
	v_and_b32_e32 v2, s48, v2
	v_lshlrev_b32_e32 v2, 2, v2
	ds_load_b32 v2, v2
	s_wait_dscnt 0x0
	v_add_nc_u32_e32 v2, v2, v61
	s_delay_alu instid0(VALU_DEP_1) | instskip(SKIP_1) | instid1(VALU_DEP_2)
	v_lshlrev_b64_e32 v[36:37], 2, v[2:3]
	v_xor_b32_e32 v2, 0x7fffffff, v136
	v_add_co_u32 v36, s30, s38, v36
	s_wait_alu 0xf1ff
	s_delay_alu instid0(VALU_DEP_3)
	v_add_co_ci_u32_e64 v37, null, s39, v37, s30
	global_store_b32 v[36:37], v2, off
.LBB503_777:                            ;   in Loop: Header=BB503_682 Depth=2
	s_wait_alu 0xfffe
	s_or_b32 exec_lo, exec_lo, s56
	s_lshl_b64 s[56:57], s[42:43], 3
	s_wait_alu 0xfffe
	v_add_co_u32 v36, s30, v114, s56
	s_wait_alu 0xf1ff
	v_add_co_ci_u32_e64 v37, null, s57, v115, s30
	v_cmp_lt_u32_e64 s30, v88, v135
	s_and_saveexec_b32 s42, s30
	s_wait_alu 0xfffe
	s_xor_b32 s30, exec_lo, s42
	s_cbranch_execnz .LBB503_844
; %bb.778:                              ;   in Loop: Header=BB503_682 Depth=2
	s_wait_alu 0xfffe
	s_or_b32 exec_lo, exec_lo, s30
	s_delay_alu instid0(SALU_CYCLE_1)
	s_mov_b32 s42, exec_lo
	v_cmpx_lt_u32_e64 v92, v135
	s_cbranch_execnz .LBB503_845
.LBB503_779:                            ;   in Loop: Header=BB503_682 Depth=2
	s_wait_alu 0xfffe
	s_or_b32 exec_lo, exec_lo, s42
	s_delay_alu instid0(SALU_CYCLE_1)
	s_mov_b32 s42, exec_lo
	v_cmpx_lt_u32_e64 v93, v135
	s_cbranch_execnz .LBB503_846
.LBB503_780:                            ;   in Loop: Header=BB503_682 Depth=2
	s_wait_alu 0xfffe
	s_or_b32 exec_lo, exec_lo, s42
	s_delay_alu instid0(SALU_CYCLE_1)
	s_mov_b32 s42, exec_lo
	v_cmpx_lt_u32_e64 v94, v135
	s_cbranch_execnz .LBB503_847
.LBB503_781:                            ;   in Loop: Header=BB503_682 Depth=2
	s_wait_alu 0xfffe
	s_or_b32 exec_lo, exec_lo, s42
	s_delay_alu instid0(SALU_CYCLE_1)
	s_mov_b32 s42, exec_lo
	v_cmpx_lt_u32_e64 v95, v135
	s_cbranch_execnz .LBB503_848
.LBB503_782:                            ;   in Loop: Header=BB503_682 Depth=2
	s_wait_alu 0xfffe
	s_or_b32 exec_lo, exec_lo, s42
	s_delay_alu instid0(SALU_CYCLE_1)
	s_mov_b32 s42, exec_lo
	v_cmpx_lt_u32_e64 v96, v135
	s_cbranch_execnz .LBB503_849
.LBB503_783:                            ;   in Loop: Header=BB503_682 Depth=2
	s_wait_alu 0xfffe
	s_or_b32 exec_lo, exec_lo, s42
	s_delay_alu instid0(SALU_CYCLE_1)
	s_mov_b32 s42, exec_lo
	v_cmpx_lt_u32_e64 v97, v135
	s_cbranch_execnz .LBB503_850
.LBB503_784:                            ;   in Loop: Header=BB503_682 Depth=2
	s_wait_alu 0xfffe
	s_or_b32 exec_lo, exec_lo, s42
	s_delay_alu instid0(SALU_CYCLE_1)
	s_mov_b32 s42, exec_lo
	v_cmpx_lt_u32_e64 v98, v135
	s_cbranch_execnz .LBB503_851
.LBB503_785:                            ;   in Loop: Header=BB503_682 Depth=2
	s_wait_alu 0xfffe
	s_or_b32 exec_lo, exec_lo, s42
	s_delay_alu instid0(SALU_CYCLE_1)
	s_mov_b32 s42, exec_lo
	v_cmpx_lt_u32_e64 v99, v135
	s_cbranch_execnz .LBB503_852
.LBB503_786:                            ;   in Loop: Header=BB503_682 Depth=2
	s_wait_alu 0xfffe
	s_or_b32 exec_lo, exec_lo, s42
	s_delay_alu instid0(SALU_CYCLE_1)
	s_mov_b32 s42, exec_lo
	v_cmpx_lt_u32_e64 v100, v135
	s_cbranch_execnz .LBB503_853
.LBB503_787:                            ;   in Loop: Header=BB503_682 Depth=2
	s_wait_alu 0xfffe
	s_or_b32 exec_lo, exec_lo, s42
	s_delay_alu instid0(SALU_CYCLE_1)
	s_mov_b32 s42, exec_lo
	v_cmpx_lt_u32_e64 v101, v135
	s_cbranch_execnz .LBB503_854
.LBB503_788:                            ;   in Loop: Header=BB503_682 Depth=2
	s_wait_alu 0xfffe
	s_or_b32 exec_lo, exec_lo, s42
	s_delay_alu instid0(SALU_CYCLE_1)
	s_mov_b32 s42, exec_lo
	v_cmpx_lt_u32_e64 v102, v135
	s_cbranch_execnz .LBB503_855
.LBB503_789:                            ;   in Loop: Header=BB503_682 Depth=2
	s_wait_alu 0xfffe
	s_or_b32 exec_lo, exec_lo, s42
	s_delay_alu instid0(SALU_CYCLE_1)
	s_mov_b32 s42, exec_lo
	v_cmpx_lt_u32_e64 v103, v135
	s_cbranch_execnz .LBB503_856
.LBB503_790:                            ;   in Loop: Header=BB503_682 Depth=2
	s_wait_alu 0xfffe
	s_or_b32 exec_lo, exec_lo, s42
	s_delay_alu instid0(SALU_CYCLE_1)
	s_mov_b32 s42, exec_lo
	v_cmpx_lt_u32_e64 v104, v135
	s_cbranch_execnz .LBB503_857
.LBB503_791:                            ;   in Loop: Header=BB503_682 Depth=2
	s_wait_alu 0xfffe
	s_or_b32 exec_lo, exec_lo, s42
	s_delay_alu instid0(SALU_CYCLE_1)
	s_mov_b32 s42, exec_lo
	v_cmpx_lt_u32_e64 v105, v135
	s_cbranch_execnz .LBB503_858
.LBB503_792:                            ;   in Loop: Header=BB503_682 Depth=2
	s_wait_alu 0xfffe
	s_or_b32 exec_lo, exec_lo, s42
	s_delay_alu instid0(SALU_CYCLE_1)
	s_mov_b32 s42, exec_lo
	v_cmpx_lt_u32_e64 v106, v135
	s_cbranch_execnz .LBB503_859
.LBB503_793:                            ;   in Loop: Header=BB503_682 Depth=2
	s_wait_alu 0xfffe
	s_or_b32 exec_lo, exec_lo, s42
	s_and_saveexec_b32 s30, vcc_lo
	s_cbranch_execnz .LBB503_860
.LBB503_794:                            ;   in Loop: Header=BB503_682 Depth=2
	s_wait_alu 0xfffe
	s_or_b32 exec_lo, exec_lo, s30
	s_and_saveexec_b32 s30, s15
	s_cbranch_execnz .LBB503_861
.LBB503_795:                            ;   in Loop: Header=BB503_682 Depth=2
	s_wait_alu 0xfffe
	s_or_b32 exec_lo, exec_lo, s30
	s_and_saveexec_b32 s30, s16
	s_cbranch_execnz .LBB503_862
.LBB503_796:                            ;   in Loop: Header=BB503_682 Depth=2
	s_wait_alu 0xfffe
	s_or_b32 exec_lo, exec_lo, s30
	s_and_saveexec_b32 s30, s17
	s_cbranch_execnz .LBB503_863
.LBB503_797:                            ;   in Loop: Header=BB503_682 Depth=2
	s_wait_alu 0xfffe
	s_or_b32 exec_lo, exec_lo, s30
	s_and_saveexec_b32 s30, s18
	s_cbranch_execnz .LBB503_864
.LBB503_798:                            ;   in Loop: Header=BB503_682 Depth=2
	s_wait_alu 0xfffe
	s_or_b32 exec_lo, exec_lo, s30
	s_and_saveexec_b32 s30, s19
	s_cbranch_execnz .LBB503_865
.LBB503_799:                            ;   in Loop: Header=BB503_682 Depth=2
	s_wait_alu 0xfffe
	s_or_b32 exec_lo, exec_lo, s30
	s_and_saveexec_b32 s30, s20
	s_cbranch_execnz .LBB503_866
.LBB503_800:                            ;   in Loop: Header=BB503_682 Depth=2
	s_wait_alu 0xfffe
	s_or_b32 exec_lo, exec_lo, s30
	s_and_saveexec_b32 s30, s21
	s_cbranch_execnz .LBB503_867
.LBB503_801:                            ;   in Loop: Header=BB503_682 Depth=2
	s_wait_alu 0xfffe
	s_or_b32 exec_lo, exec_lo, s30
	s_and_saveexec_b32 s30, s22
	s_cbranch_execnz .LBB503_868
.LBB503_802:                            ;   in Loop: Header=BB503_682 Depth=2
	s_wait_alu 0xfffe
	s_or_b32 exec_lo, exec_lo, s30
	s_and_saveexec_b32 s30, s23
	s_cbranch_execnz .LBB503_869
.LBB503_803:                            ;   in Loop: Header=BB503_682 Depth=2
	s_wait_alu 0xfffe
	s_or_b32 exec_lo, exec_lo, s30
	s_and_saveexec_b32 s30, s24
	s_cbranch_execnz .LBB503_870
.LBB503_804:                            ;   in Loop: Header=BB503_682 Depth=2
	s_wait_alu 0xfffe
	s_or_b32 exec_lo, exec_lo, s30
	s_and_saveexec_b32 s30, s25
	s_cbranch_execnz .LBB503_871
.LBB503_805:                            ;   in Loop: Header=BB503_682 Depth=2
	s_wait_alu 0xfffe
	s_or_b32 exec_lo, exec_lo, s30
	s_and_saveexec_b32 s30, s26
	s_cbranch_execnz .LBB503_872
.LBB503_806:                            ;   in Loop: Header=BB503_682 Depth=2
	s_wait_alu 0xfffe
	s_or_b32 exec_lo, exec_lo, s30
	s_and_saveexec_b32 s30, s27
	s_cbranch_execnz .LBB503_873
.LBB503_807:                            ;   in Loop: Header=BB503_682 Depth=2
	s_wait_alu 0xfffe
	s_or_b32 exec_lo, exec_lo, s30
	s_and_saveexec_b32 s30, s28
	s_cbranch_execnz .LBB503_874
.LBB503_808:                            ;   in Loop: Header=BB503_682 Depth=2
	s_wait_alu 0xfffe
	s_or_b32 exec_lo, exec_lo, s30
	s_and_saveexec_b32 s30, s29
	s_cbranch_execz .LBB503_810
.LBB503_809:                            ;   in Loop: Header=BB503_682 Depth=2
	ds_load_b32 v2, v70 offset:16384
	s_wait_dscnt 0x0
	v_lshrrev_b32_e32 v2, s49, v2
	s_delay_alu instid0(VALU_DEP_1)
	v_and_b32_e32 v119, s48, v2
.LBB503_810:                            ;   in Loop: Header=BB503_682 Depth=2
	s_wait_alu 0xfffe
	s_or_b32 exec_lo, exec_lo, s30
	v_lshlrev_b32_e32 v2, 3, v155
	s_wait_loadcnt 0x0
	s_wait_storecnt 0x0
	s_barrier_signal -1
	s_barrier_wait -1
	global_inv scope:SCOPE_SE
	ds_store_b64 v2, v[34:35] offset:1024
	v_lshlrev_b32_e32 v2, 3, v151
	v_lshlrev_b32_e32 v36, 3, v147
	v_lshlrev_b32_e32 v37, 3, v146
	v_lshlrev_b32_e32 v135, 3, v145
	v_lshlrev_b32_e32 v136, 3, v143
	ds_store_b64 v2, v[32:33] offset:1024
	ds_store_b64 v36, v[30:31] offset:1024
	ds_store_b64 v37, v[28:29] offset:1024
	ds_store_b64 v135, v[26:27] offset:1024
	ds_store_b64 v136, v[24:25] offset:1024
	v_lshlrev_b32_e32 v2, 3, v142
	v_lshlrev_b32_e32 v36, 3, v141
	v_lshlrev_b32_e32 v37, 3, v140
	v_lshlrev_b32_e32 v135, 3, v139
	v_lshlrev_b32_e32 v136, 3, v138
	ds_store_b64 v2, v[22:23] offset:1024
	ds_store_b64 v36, v[20:21] offset:1024
	ds_store_b64 v37, v[18:19] offset:1024
	ds_store_b64 v135, v[16:17] offset:1024
	;; [unrolled: 10-line block ×3, first 2 shown]
	ds_store_b64 v40, v[4:5] offset:1024
	s_wait_loadcnt_dscnt 0x0
	s_barrier_signal -1
	s_barrier_wait -1
	global_inv scope:SCOPE_SE
	s_and_saveexec_b32 s30, vcc_lo
	s_cbranch_execnz .LBB503_875
; %bb.811:                              ;   in Loop: Header=BB503_682 Depth=2
	s_wait_alu 0xfffe
	s_or_b32 exec_lo, exec_lo, s30
	s_and_saveexec_b32 s30, s15
	s_cbranch_execnz .LBB503_876
.LBB503_812:                            ;   in Loop: Header=BB503_682 Depth=2
	s_wait_alu 0xfffe
	s_or_b32 exec_lo, exec_lo, s30
	s_and_saveexec_b32 s15, s16
	s_cbranch_execnz .LBB503_877
.LBB503_813:                            ;   in Loop: Header=BB503_682 Depth=2
	s_wait_alu 0xfffe
	s_or_b32 exec_lo, exec_lo, s15
	s_and_saveexec_b32 s15, s17
	s_cbranch_execnz .LBB503_878
.LBB503_814:                            ;   in Loop: Header=BB503_682 Depth=2
	s_wait_alu 0xfffe
	s_or_b32 exec_lo, exec_lo, s15
	s_and_saveexec_b32 s15, s18
	s_cbranch_execnz .LBB503_879
.LBB503_815:                            ;   in Loop: Header=BB503_682 Depth=2
	s_wait_alu 0xfffe
	s_or_b32 exec_lo, exec_lo, s15
	s_and_saveexec_b32 s15, s19
	s_cbranch_execnz .LBB503_880
.LBB503_816:                            ;   in Loop: Header=BB503_682 Depth=2
	s_wait_alu 0xfffe
	s_or_b32 exec_lo, exec_lo, s15
	s_and_saveexec_b32 s15, s20
	s_cbranch_execnz .LBB503_881
.LBB503_817:                            ;   in Loop: Header=BB503_682 Depth=2
	s_wait_alu 0xfffe
	s_or_b32 exec_lo, exec_lo, s15
	s_and_saveexec_b32 s15, s21
	s_cbranch_execnz .LBB503_882
.LBB503_818:                            ;   in Loop: Header=BB503_682 Depth=2
	s_wait_alu 0xfffe
	s_or_b32 exec_lo, exec_lo, s15
	s_and_saveexec_b32 s15, s22
	s_cbranch_execnz .LBB503_883
.LBB503_819:                            ;   in Loop: Header=BB503_682 Depth=2
	s_wait_alu 0xfffe
	s_or_b32 exec_lo, exec_lo, s15
	s_and_saveexec_b32 s15, s23
	s_cbranch_execnz .LBB503_884
.LBB503_820:                            ;   in Loop: Header=BB503_682 Depth=2
	s_wait_alu 0xfffe
	s_or_b32 exec_lo, exec_lo, s15
	s_and_saveexec_b32 s15, s24
	s_cbranch_execnz .LBB503_885
.LBB503_821:                            ;   in Loop: Header=BB503_682 Depth=2
	s_wait_alu 0xfffe
	s_or_b32 exec_lo, exec_lo, s15
	s_and_saveexec_b32 s15, s25
	s_cbranch_execnz .LBB503_886
.LBB503_822:                            ;   in Loop: Header=BB503_682 Depth=2
	s_wait_alu 0xfffe
	s_or_b32 exec_lo, exec_lo, s15
	s_and_saveexec_b32 s15, s26
	s_cbranch_execnz .LBB503_887
.LBB503_823:                            ;   in Loop: Header=BB503_682 Depth=2
	s_wait_alu 0xfffe
	s_or_b32 exec_lo, exec_lo, s15
	s_and_saveexec_b32 s15, s27
	s_cbranch_execnz .LBB503_888
.LBB503_824:                            ;   in Loop: Header=BB503_682 Depth=2
	s_wait_alu 0xfffe
	s_or_b32 exec_lo, exec_lo, s15
	s_and_saveexec_b32 s15, s28
	s_cbranch_execnz .LBB503_889
.LBB503_825:                            ;   in Loop: Header=BB503_682 Depth=2
	s_wait_alu 0xfffe
	s_or_b32 exec_lo, exec_lo, s15
	s_and_saveexec_b32 s15, s29
	s_cbranch_execz .LBB503_827
.LBB503_826:                            ;   in Loop: Header=BB503_682 Depth=2
	v_lshlrev_b32_e32 v2, 2, v119
	v_add_nc_u32_e32 v36, v70, v44
	ds_load_b32 v2, v2
	ds_load_b64 v[36:37], v36 offset:31744
	s_wait_dscnt 0x1
	v_add_nc_u32_e32 v2, v2, v61
	s_delay_alu instid0(VALU_DEP_1) | instskip(NEXT) | instid1(VALU_DEP_1)
	v_lshlrev_b64_e32 v[39:40], 3, v[2:3]
	v_add_co_u32 v39, vcc_lo, s44, v39
	s_wait_alu 0xfffd
	s_delay_alu instid0(VALU_DEP_2)
	v_add_co_ci_u32_e64 v40, null, s45, v40, vcc_lo
	s_wait_dscnt 0x0
	global_store_b64 v[39:40], v[36:37], off
.LBB503_827:                            ;   in Loop: Header=BB503_682 Depth=2
	s_wait_alu 0xfffe
	s_or_b32 exec_lo, exec_lo, s15
	s_wait_loadcnt 0x0
	s_wait_storecnt 0x0
	s_barrier_signal -1
	s_barrier_wait -1
	global_inv scope:SCOPE_SE
	s_and_saveexec_b32 s15, s2
	s_cbranch_execz .LBB503_681
; %bb.828:                              ;   in Loop: Header=BB503_682 Depth=2
	ds_load_b32 v2, v44
	s_wait_dscnt 0x0
	v_add_nc_u32_e32 v2, v2, v38
	ds_store_b32 v44, v2
	s_branch .LBB503_681
.LBB503_829:                            ;   in Loop: Header=BB503_682 Depth=2
	ds_load_b32 v136, v70 offset:1024
	s_wait_dscnt 0x0
	v_lshrrev_b32_e32 v2, s49, v136
	s_delay_alu instid0(VALU_DEP_1) | instskip(NEXT) | instid1(VALU_DEP_1)
	v_and_b32_e32 v2, s48, v2
	v_lshlrev_b32_e32 v2, 2, v2
	ds_load_b32 v2, v2
	s_wait_dscnt 0x0
	v_add_nc_u32_e32 v2, v2, v1
	s_delay_alu instid0(VALU_DEP_1) | instskip(SKIP_1) | instid1(VALU_DEP_2)
	v_lshlrev_b64_e32 v[36:37], 2, v[2:3]
	v_xor_b32_e32 v2, 0x7fffffff, v136
	v_add_co_u32 v36, s15, s38, v36
	s_wait_alu 0xf1ff
	s_delay_alu instid0(VALU_DEP_3)
	v_add_co_ci_u32_e64 v37, null, s39, v37, s15
	global_store_b32 v[36:37], v2, off
	s_wait_alu 0xfffe
	s_or_b32 exec_lo, exec_lo, s16
	v_cmp_lt_u32_e64 s15, v45, v135
	s_and_saveexec_b32 s17, s15
	s_cbranch_execz .LBB503_762
.LBB503_830:                            ;   in Loop: Header=BB503_682 Depth=2
	ds_load_b32 v136, v70 offset:2048
	s_wait_dscnt 0x0
	v_lshrrev_b32_e32 v2, s49, v136
	s_delay_alu instid0(VALU_DEP_1) | instskip(NEXT) | instid1(VALU_DEP_1)
	v_and_b32_e32 v2, s48, v2
	v_lshlrev_b32_e32 v2, 2, v2
	ds_load_b32 v2, v2
	s_wait_dscnt 0x0
	v_add_nc_u32_e32 v2, v2, v45
	s_delay_alu instid0(VALU_DEP_1) | instskip(SKIP_1) | instid1(VALU_DEP_2)
	v_lshlrev_b64_e32 v[36:37], 2, v[2:3]
	v_xor_b32_e32 v2, 0x7fffffff, v136
	v_add_co_u32 v36, s16, s38, v36
	s_wait_alu 0xf1ff
	s_delay_alu instid0(VALU_DEP_3)
	v_add_co_ci_u32_e64 v37, null, s39, v37, s16
	global_store_b32 v[36:37], v2, off
	s_wait_alu 0xfffe
	s_or_b32 exec_lo, exec_lo, s17
	v_cmp_lt_u32_e64 s16, v46, v135
	s_and_saveexec_b32 s18, s16
	s_cbranch_execz .LBB503_763
.LBB503_831:                            ;   in Loop: Header=BB503_682 Depth=2
	ds_load_b32 v136, v70 offset:3072
	s_wait_dscnt 0x0
	v_lshrrev_b32_e32 v2, s49, v136
	s_delay_alu instid0(VALU_DEP_1) | instskip(NEXT) | instid1(VALU_DEP_1)
	v_and_b32_e32 v2, s48, v2
	v_lshlrev_b32_e32 v2, 2, v2
	ds_load_b32 v2, v2
	s_wait_dscnt 0x0
	v_add_nc_u32_e32 v2, v2, v46
	s_delay_alu instid0(VALU_DEP_1) | instskip(SKIP_1) | instid1(VALU_DEP_2)
	v_lshlrev_b64_e32 v[36:37], 2, v[2:3]
	v_xor_b32_e32 v2, 0x7fffffff, v136
	v_add_co_u32 v36, s17, s38, v36
	s_wait_alu 0xf1ff
	s_delay_alu instid0(VALU_DEP_3)
	v_add_co_ci_u32_e64 v37, null, s39, v37, s17
	global_store_b32 v[36:37], v2, off
	s_wait_alu 0xfffe
	s_or_b32 exec_lo, exec_lo, s18
	v_cmp_lt_u32_e64 s17, v47, v135
	s_and_saveexec_b32 s19, s17
	s_cbranch_execz .LBB503_764
.LBB503_832:                            ;   in Loop: Header=BB503_682 Depth=2
	ds_load_b32 v136, v70 offset:4096
	s_wait_dscnt 0x0
	v_lshrrev_b32_e32 v2, s49, v136
	s_delay_alu instid0(VALU_DEP_1) | instskip(NEXT) | instid1(VALU_DEP_1)
	v_and_b32_e32 v2, s48, v2
	v_lshlrev_b32_e32 v2, 2, v2
	ds_load_b32 v2, v2
	s_wait_dscnt 0x0
	v_add_nc_u32_e32 v2, v2, v47
	s_delay_alu instid0(VALU_DEP_1) | instskip(SKIP_1) | instid1(VALU_DEP_2)
	v_lshlrev_b64_e32 v[36:37], 2, v[2:3]
	v_xor_b32_e32 v2, 0x7fffffff, v136
	v_add_co_u32 v36, s18, s38, v36
	s_wait_alu 0xf1ff
	s_delay_alu instid0(VALU_DEP_3)
	v_add_co_ci_u32_e64 v37, null, s39, v37, s18
	global_store_b32 v[36:37], v2, off
	s_wait_alu 0xfffe
	s_or_b32 exec_lo, exec_lo, s19
	v_cmp_lt_u32_e64 s18, v50, v135
	s_and_saveexec_b32 s20, s18
	s_cbranch_execz .LBB503_765
.LBB503_833:                            ;   in Loop: Header=BB503_682 Depth=2
	ds_load_b32 v136, v70 offset:5120
	s_wait_dscnt 0x0
	v_lshrrev_b32_e32 v2, s49, v136
	s_delay_alu instid0(VALU_DEP_1) | instskip(NEXT) | instid1(VALU_DEP_1)
	v_and_b32_e32 v2, s48, v2
	v_lshlrev_b32_e32 v2, 2, v2
	ds_load_b32 v2, v2
	s_wait_dscnt 0x0
	v_add_nc_u32_e32 v2, v2, v50
	s_delay_alu instid0(VALU_DEP_1) | instskip(SKIP_1) | instid1(VALU_DEP_2)
	v_lshlrev_b64_e32 v[36:37], 2, v[2:3]
	v_xor_b32_e32 v2, 0x7fffffff, v136
	v_add_co_u32 v36, s19, s38, v36
	s_wait_alu 0xf1ff
	s_delay_alu instid0(VALU_DEP_3)
	v_add_co_ci_u32_e64 v37, null, s39, v37, s19
	global_store_b32 v[36:37], v2, off
	s_wait_alu 0xfffe
	s_or_b32 exec_lo, exec_lo, s20
	v_cmp_lt_u32_e64 s19, v51, v135
	s_and_saveexec_b32 s21, s19
	s_cbranch_execz .LBB503_766
.LBB503_834:                            ;   in Loop: Header=BB503_682 Depth=2
	ds_load_b32 v136, v70 offset:6144
	s_wait_dscnt 0x0
	v_lshrrev_b32_e32 v2, s49, v136
	s_delay_alu instid0(VALU_DEP_1) | instskip(NEXT) | instid1(VALU_DEP_1)
	v_and_b32_e32 v2, s48, v2
	v_lshlrev_b32_e32 v2, 2, v2
	ds_load_b32 v2, v2
	s_wait_dscnt 0x0
	v_add_nc_u32_e32 v2, v2, v51
	s_delay_alu instid0(VALU_DEP_1) | instskip(SKIP_1) | instid1(VALU_DEP_2)
	v_lshlrev_b64_e32 v[36:37], 2, v[2:3]
	v_xor_b32_e32 v2, 0x7fffffff, v136
	v_add_co_u32 v36, s20, s38, v36
	s_wait_alu 0xf1ff
	s_delay_alu instid0(VALU_DEP_3)
	v_add_co_ci_u32_e64 v37, null, s39, v37, s20
	global_store_b32 v[36:37], v2, off
	s_wait_alu 0xfffe
	s_or_b32 exec_lo, exec_lo, s21
	v_cmp_lt_u32_e64 s20, v52, v135
	s_and_saveexec_b32 s22, s20
	s_cbranch_execz .LBB503_767
.LBB503_835:                            ;   in Loop: Header=BB503_682 Depth=2
	ds_load_b32 v136, v70 offset:7168
	s_wait_dscnt 0x0
	v_lshrrev_b32_e32 v2, s49, v136
	s_delay_alu instid0(VALU_DEP_1) | instskip(NEXT) | instid1(VALU_DEP_1)
	v_and_b32_e32 v2, s48, v2
	v_lshlrev_b32_e32 v2, 2, v2
	ds_load_b32 v2, v2
	s_wait_dscnt 0x0
	v_add_nc_u32_e32 v2, v2, v52
	s_delay_alu instid0(VALU_DEP_1) | instskip(SKIP_1) | instid1(VALU_DEP_2)
	v_lshlrev_b64_e32 v[36:37], 2, v[2:3]
	v_xor_b32_e32 v2, 0x7fffffff, v136
	v_add_co_u32 v36, s21, s38, v36
	s_wait_alu 0xf1ff
	s_delay_alu instid0(VALU_DEP_3)
	v_add_co_ci_u32_e64 v37, null, s39, v37, s21
	global_store_b32 v[36:37], v2, off
	s_wait_alu 0xfffe
	s_or_b32 exec_lo, exec_lo, s22
	v_cmp_lt_u32_e64 s21, v53, v135
	s_and_saveexec_b32 s23, s21
	s_cbranch_execz .LBB503_768
.LBB503_836:                            ;   in Loop: Header=BB503_682 Depth=2
	ds_load_b32 v136, v70 offset:8192
	s_wait_dscnt 0x0
	v_lshrrev_b32_e32 v2, s49, v136
	s_delay_alu instid0(VALU_DEP_1) | instskip(NEXT) | instid1(VALU_DEP_1)
	v_and_b32_e32 v2, s48, v2
	v_lshlrev_b32_e32 v2, 2, v2
	ds_load_b32 v2, v2
	s_wait_dscnt 0x0
	v_add_nc_u32_e32 v2, v2, v53
	s_delay_alu instid0(VALU_DEP_1) | instskip(SKIP_1) | instid1(VALU_DEP_2)
	v_lshlrev_b64_e32 v[36:37], 2, v[2:3]
	v_xor_b32_e32 v2, 0x7fffffff, v136
	v_add_co_u32 v36, s22, s38, v36
	s_wait_alu 0xf1ff
	s_delay_alu instid0(VALU_DEP_3)
	v_add_co_ci_u32_e64 v37, null, s39, v37, s22
	global_store_b32 v[36:37], v2, off
	s_wait_alu 0xfffe
	s_or_b32 exec_lo, exec_lo, s23
	v_cmp_lt_u32_e64 s22, v54, v135
	s_and_saveexec_b32 s24, s22
	s_cbranch_execz .LBB503_769
.LBB503_837:                            ;   in Loop: Header=BB503_682 Depth=2
	ds_load_b32 v136, v70 offset:9216
	s_wait_dscnt 0x0
	v_lshrrev_b32_e32 v2, s49, v136
	s_delay_alu instid0(VALU_DEP_1) | instskip(NEXT) | instid1(VALU_DEP_1)
	v_and_b32_e32 v2, s48, v2
	v_lshlrev_b32_e32 v2, 2, v2
	ds_load_b32 v2, v2
	s_wait_dscnt 0x0
	v_add_nc_u32_e32 v2, v2, v54
	s_delay_alu instid0(VALU_DEP_1) | instskip(SKIP_1) | instid1(VALU_DEP_2)
	v_lshlrev_b64_e32 v[36:37], 2, v[2:3]
	v_xor_b32_e32 v2, 0x7fffffff, v136
	v_add_co_u32 v36, s23, s38, v36
	s_wait_alu 0xf1ff
	s_delay_alu instid0(VALU_DEP_3)
	v_add_co_ci_u32_e64 v37, null, s39, v37, s23
	global_store_b32 v[36:37], v2, off
	s_wait_alu 0xfffe
	s_or_b32 exec_lo, exec_lo, s24
	v_cmp_lt_u32_e64 s23, v55, v135
	s_and_saveexec_b32 s25, s23
	s_cbranch_execz .LBB503_770
.LBB503_838:                            ;   in Loop: Header=BB503_682 Depth=2
	ds_load_b32 v136, v70 offset:10240
	s_wait_dscnt 0x0
	v_lshrrev_b32_e32 v2, s49, v136
	s_delay_alu instid0(VALU_DEP_1) | instskip(NEXT) | instid1(VALU_DEP_1)
	v_and_b32_e32 v2, s48, v2
	v_lshlrev_b32_e32 v2, 2, v2
	ds_load_b32 v2, v2
	s_wait_dscnt 0x0
	v_add_nc_u32_e32 v2, v2, v55
	s_delay_alu instid0(VALU_DEP_1) | instskip(SKIP_1) | instid1(VALU_DEP_2)
	v_lshlrev_b64_e32 v[36:37], 2, v[2:3]
	v_xor_b32_e32 v2, 0x7fffffff, v136
	v_add_co_u32 v36, s24, s38, v36
	s_wait_alu 0xf1ff
	s_delay_alu instid0(VALU_DEP_3)
	v_add_co_ci_u32_e64 v37, null, s39, v37, s24
	global_store_b32 v[36:37], v2, off
	s_wait_alu 0xfffe
	s_or_b32 exec_lo, exec_lo, s25
	v_cmp_lt_u32_e64 s24, v56, v135
	s_and_saveexec_b32 s26, s24
	s_cbranch_execz .LBB503_771
.LBB503_839:                            ;   in Loop: Header=BB503_682 Depth=2
	ds_load_b32 v136, v70 offset:11264
	s_wait_dscnt 0x0
	v_lshrrev_b32_e32 v2, s49, v136
	s_delay_alu instid0(VALU_DEP_1) | instskip(NEXT) | instid1(VALU_DEP_1)
	v_and_b32_e32 v2, s48, v2
	v_lshlrev_b32_e32 v2, 2, v2
	ds_load_b32 v2, v2
	s_wait_dscnt 0x0
	v_add_nc_u32_e32 v2, v2, v56
	s_delay_alu instid0(VALU_DEP_1) | instskip(SKIP_1) | instid1(VALU_DEP_2)
	v_lshlrev_b64_e32 v[36:37], 2, v[2:3]
	v_xor_b32_e32 v2, 0x7fffffff, v136
	v_add_co_u32 v36, s25, s38, v36
	s_wait_alu 0xf1ff
	s_delay_alu instid0(VALU_DEP_3)
	v_add_co_ci_u32_e64 v37, null, s39, v37, s25
	global_store_b32 v[36:37], v2, off
	s_wait_alu 0xfffe
	s_or_b32 exec_lo, exec_lo, s26
	v_cmp_lt_u32_e64 s25, v57, v135
	s_and_saveexec_b32 s27, s25
	s_cbranch_execz .LBB503_772
.LBB503_840:                            ;   in Loop: Header=BB503_682 Depth=2
	ds_load_b32 v136, v70 offset:12288
	s_wait_dscnt 0x0
	v_lshrrev_b32_e32 v2, s49, v136
	s_delay_alu instid0(VALU_DEP_1) | instskip(NEXT) | instid1(VALU_DEP_1)
	v_and_b32_e32 v2, s48, v2
	v_lshlrev_b32_e32 v2, 2, v2
	ds_load_b32 v2, v2
	s_wait_dscnt 0x0
	v_add_nc_u32_e32 v2, v2, v57
	s_delay_alu instid0(VALU_DEP_1) | instskip(SKIP_1) | instid1(VALU_DEP_2)
	v_lshlrev_b64_e32 v[36:37], 2, v[2:3]
	v_xor_b32_e32 v2, 0x7fffffff, v136
	v_add_co_u32 v36, s26, s38, v36
	s_wait_alu 0xf1ff
	s_delay_alu instid0(VALU_DEP_3)
	v_add_co_ci_u32_e64 v37, null, s39, v37, s26
	global_store_b32 v[36:37], v2, off
	s_wait_alu 0xfffe
	s_or_b32 exec_lo, exec_lo, s27
	v_cmp_lt_u32_e64 s26, v58, v135
	s_and_saveexec_b32 s28, s26
	s_cbranch_execz .LBB503_773
.LBB503_841:                            ;   in Loop: Header=BB503_682 Depth=2
	ds_load_b32 v136, v70 offset:13312
	s_wait_dscnt 0x0
	v_lshrrev_b32_e32 v2, s49, v136
	s_delay_alu instid0(VALU_DEP_1) | instskip(NEXT) | instid1(VALU_DEP_1)
	v_and_b32_e32 v2, s48, v2
	v_lshlrev_b32_e32 v2, 2, v2
	ds_load_b32 v2, v2
	s_wait_dscnt 0x0
	v_add_nc_u32_e32 v2, v2, v58
	s_delay_alu instid0(VALU_DEP_1) | instskip(SKIP_1) | instid1(VALU_DEP_2)
	v_lshlrev_b64_e32 v[36:37], 2, v[2:3]
	v_xor_b32_e32 v2, 0x7fffffff, v136
	v_add_co_u32 v36, s27, s38, v36
	s_wait_alu 0xf1ff
	s_delay_alu instid0(VALU_DEP_3)
	v_add_co_ci_u32_e64 v37, null, s39, v37, s27
	global_store_b32 v[36:37], v2, off
	s_wait_alu 0xfffe
	s_or_b32 exec_lo, exec_lo, s28
	v_cmp_lt_u32_e64 s27, v59, v135
	s_and_saveexec_b32 s29, s27
	s_cbranch_execz .LBB503_774
.LBB503_842:                            ;   in Loop: Header=BB503_682 Depth=2
	ds_load_b32 v136, v70 offset:14336
	s_wait_dscnt 0x0
	v_lshrrev_b32_e32 v2, s49, v136
	s_delay_alu instid0(VALU_DEP_1) | instskip(NEXT) | instid1(VALU_DEP_1)
	v_and_b32_e32 v2, s48, v2
	v_lshlrev_b32_e32 v2, 2, v2
	ds_load_b32 v2, v2
	s_wait_dscnt 0x0
	v_add_nc_u32_e32 v2, v2, v59
	s_delay_alu instid0(VALU_DEP_1) | instskip(SKIP_1) | instid1(VALU_DEP_2)
	v_lshlrev_b64_e32 v[36:37], 2, v[2:3]
	v_xor_b32_e32 v2, 0x7fffffff, v136
	v_add_co_u32 v36, s28, s38, v36
	s_wait_alu 0xf1ff
	s_delay_alu instid0(VALU_DEP_3)
	v_add_co_ci_u32_e64 v37, null, s39, v37, s28
	global_store_b32 v[36:37], v2, off
	s_wait_alu 0xfffe
	s_or_b32 exec_lo, exec_lo, s29
	v_cmp_lt_u32_e64 s28, v60, v135
	s_and_saveexec_b32 s30, s28
	s_cbranch_execz .LBB503_775
.LBB503_843:                            ;   in Loop: Header=BB503_682 Depth=2
	ds_load_b32 v136, v70 offset:15360
	s_wait_dscnt 0x0
	v_lshrrev_b32_e32 v2, s49, v136
	s_delay_alu instid0(VALU_DEP_1) | instskip(NEXT) | instid1(VALU_DEP_1)
	v_and_b32_e32 v2, s48, v2
	v_lshlrev_b32_e32 v2, 2, v2
	ds_load_b32 v2, v2
	s_wait_dscnt 0x0
	v_add_nc_u32_e32 v2, v2, v60
	s_delay_alu instid0(VALU_DEP_1) | instskip(SKIP_1) | instid1(VALU_DEP_2)
	v_lshlrev_b64_e32 v[36:37], 2, v[2:3]
	v_xor_b32_e32 v2, 0x7fffffff, v136
	v_add_co_u32 v36, s29, s38, v36
	s_wait_alu 0xf1ff
	s_delay_alu instid0(VALU_DEP_3)
	v_add_co_ci_u32_e64 v37, null, s39, v37, s29
	global_store_b32 v[36:37], v2, off
	s_wait_alu 0xfffe
	s_or_b32 exec_lo, exec_lo, s30
	v_cmp_lt_u32_e64 s29, v61, v135
	s_and_saveexec_b32 s56, s29
	s_cbranch_execnz .LBB503_776
	s_branch .LBB503_777
.LBB503_844:                            ;   in Loop: Header=BB503_682 Depth=2
	global_load_b64 v[34:35], v[36:37], off
	s_wait_alu 0xfffe
	s_or_b32 exec_lo, exec_lo, s30
	s_delay_alu instid0(SALU_CYCLE_1)
	s_mov_b32 s42, exec_lo
	v_cmpx_lt_u32_e64 v92, v135
	s_cbranch_execz .LBB503_779
.LBB503_845:                            ;   in Loop: Header=BB503_682 Depth=2
	global_load_b64 v[32:33], v[36:37], off offset:256
	s_wait_alu 0xfffe
	s_or_b32 exec_lo, exec_lo, s42
	s_delay_alu instid0(SALU_CYCLE_1)
	s_mov_b32 s42, exec_lo
	v_cmpx_lt_u32_e64 v93, v135
	s_cbranch_execz .LBB503_780
.LBB503_846:                            ;   in Loop: Header=BB503_682 Depth=2
	global_load_b64 v[30:31], v[36:37], off offset:512
	s_wait_alu 0xfffe
	s_or_b32 exec_lo, exec_lo, s42
	s_delay_alu instid0(SALU_CYCLE_1)
	s_mov_b32 s42, exec_lo
	v_cmpx_lt_u32_e64 v94, v135
	s_cbranch_execz .LBB503_781
.LBB503_847:                            ;   in Loop: Header=BB503_682 Depth=2
	global_load_b64 v[28:29], v[36:37], off offset:768
	s_wait_alu 0xfffe
	s_or_b32 exec_lo, exec_lo, s42
	s_delay_alu instid0(SALU_CYCLE_1)
	s_mov_b32 s42, exec_lo
	v_cmpx_lt_u32_e64 v95, v135
	s_cbranch_execz .LBB503_782
.LBB503_848:                            ;   in Loop: Header=BB503_682 Depth=2
	global_load_b64 v[26:27], v[36:37], off offset:1024
	s_wait_alu 0xfffe
	s_or_b32 exec_lo, exec_lo, s42
	s_delay_alu instid0(SALU_CYCLE_1)
	s_mov_b32 s42, exec_lo
	v_cmpx_lt_u32_e64 v96, v135
	s_cbranch_execz .LBB503_783
.LBB503_849:                            ;   in Loop: Header=BB503_682 Depth=2
	global_load_b64 v[24:25], v[36:37], off offset:1280
	s_wait_alu 0xfffe
	s_or_b32 exec_lo, exec_lo, s42
	s_delay_alu instid0(SALU_CYCLE_1)
	s_mov_b32 s42, exec_lo
	v_cmpx_lt_u32_e64 v97, v135
	s_cbranch_execz .LBB503_784
.LBB503_850:                            ;   in Loop: Header=BB503_682 Depth=2
	global_load_b64 v[22:23], v[36:37], off offset:1536
	s_wait_alu 0xfffe
	s_or_b32 exec_lo, exec_lo, s42
	s_delay_alu instid0(SALU_CYCLE_1)
	s_mov_b32 s42, exec_lo
	v_cmpx_lt_u32_e64 v98, v135
	s_cbranch_execz .LBB503_785
.LBB503_851:                            ;   in Loop: Header=BB503_682 Depth=2
	global_load_b64 v[20:21], v[36:37], off offset:1792
	s_wait_alu 0xfffe
	s_or_b32 exec_lo, exec_lo, s42
	s_delay_alu instid0(SALU_CYCLE_1)
	s_mov_b32 s42, exec_lo
	v_cmpx_lt_u32_e64 v99, v135
	s_cbranch_execz .LBB503_786
.LBB503_852:                            ;   in Loop: Header=BB503_682 Depth=2
	global_load_b64 v[18:19], v[36:37], off offset:2048
	s_wait_alu 0xfffe
	s_or_b32 exec_lo, exec_lo, s42
	s_delay_alu instid0(SALU_CYCLE_1)
	s_mov_b32 s42, exec_lo
	v_cmpx_lt_u32_e64 v100, v135
	s_cbranch_execz .LBB503_787
.LBB503_853:                            ;   in Loop: Header=BB503_682 Depth=2
	global_load_b64 v[16:17], v[36:37], off offset:2304
	s_wait_alu 0xfffe
	s_or_b32 exec_lo, exec_lo, s42
	s_delay_alu instid0(SALU_CYCLE_1)
	s_mov_b32 s42, exec_lo
	v_cmpx_lt_u32_e64 v101, v135
	s_cbranch_execz .LBB503_788
.LBB503_854:                            ;   in Loop: Header=BB503_682 Depth=2
	global_load_b64 v[14:15], v[36:37], off offset:2560
	s_wait_alu 0xfffe
	s_or_b32 exec_lo, exec_lo, s42
	s_delay_alu instid0(SALU_CYCLE_1)
	s_mov_b32 s42, exec_lo
	v_cmpx_lt_u32_e64 v102, v135
	s_cbranch_execz .LBB503_789
.LBB503_855:                            ;   in Loop: Header=BB503_682 Depth=2
	global_load_b64 v[12:13], v[36:37], off offset:2816
	s_wait_alu 0xfffe
	s_or_b32 exec_lo, exec_lo, s42
	s_delay_alu instid0(SALU_CYCLE_1)
	s_mov_b32 s42, exec_lo
	v_cmpx_lt_u32_e64 v103, v135
	s_cbranch_execz .LBB503_790
.LBB503_856:                            ;   in Loop: Header=BB503_682 Depth=2
	global_load_b64 v[10:11], v[36:37], off offset:3072
	s_wait_alu 0xfffe
	s_or_b32 exec_lo, exec_lo, s42
	s_delay_alu instid0(SALU_CYCLE_1)
	s_mov_b32 s42, exec_lo
	v_cmpx_lt_u32_e64 v104, v135
	s_cbranch_execz .LBB503_791
.LBB503_857:                            ;   in Loop: Header=BB503_682 Depth=2
	global_load_b64 v[8:9], v[36:37], off offset:3328
	s_wait_alu 0xfffe
	s_or_b32 exec_lo, exec_lo, s42
	s_delay_alu instid0(SALU_CYCLE_1)
	s_mov_b32 s42, exec_lo
	v_cmpx_lt_u32_e64 v105, v135
	s_cbranch_execz .LBB503_792
.LBB503_858:                            ;   in Loop: Header=BB503_682 Depth=2
	global_load_b64 v[6:7], v[36:37], off offset:3584
	s_wait_alu 0xfffe
	s_or_b32 exec_lo, exec_lo, s42
	s_delay_alu instid0(SALU_CYCLE_1)
	s_mov_b32 s42, exec_lo
	v_cmpx_lt_u32_e64 v106, v135
	s_cbranch_execz .LBB503_793
.LBB503_859:                            ;   in Loop: Header=BB503_682 Depth=2
	global_load_b64 v[4:5], v[36:37], off offset:3840
	s_wait_alu 0xfffe
	s_or_b32 exec_lo, exec_lo, s42
	s_and_saveexec_b32 s30, vcc_lo
	s_cbranch_execz .LBB503_794
.LBB503_860:                            ;   in Loop: Header=BB503_682 Depth=2
	ds_load_b32 v2, v70 offset:1024
	s_wait_dscnt 0x0
	v_lshrrev_b32_e32 v2, s49, v2
	s_delay_alu instid0(VALU_DEP_1)
	v_and_b32_e32 v134, s48, v2
	s_wait_alu 0xfffe
	s_or_b32 exec_lo, exec_lo, s30
	s_and_saveexec_b32 s30, s15
	s_cbranch_execz .LBB503_795
.LBB503_861:                            ;   in Loop: Header=BB503_682 Depth=2
	ds_load_b32 v2, v70 offset:2048
	s_wait_dscnt 0x0
	v_lshrrev_b32_e32 v2, s49, v2
	s_delay_alu instid0(VALU_DEP_1)
	v_and_b32_e32 v133, s48, v2
	s_wait_alu 0xfffe
	s_or_b32 exec_lo, exec_lo, s30
	s_and_saveexec_b32 s30, s16
	s_cbranch_execz .LBB503_796
.LBB503_862:                            ;   in Loop: Header=BB503_682 Depth=2
	ds_load_b32 v2, v70 offset:3072
	s_wait_dscnt 0x0
	v_lshrrev_b32_e32 v2, s49, v2
	s_delay_alu instid0(VALU_DEP_1)
	v_and_b32_e32 v132, s48, v2
	s_wait_alu 0xfffe
	s_or_b32 exec_lo, exec_lo, s30
	s_and_saveexec_b32 s30, s17
	s_cbranch_execz .LBB503_797
.LBB503_863:                            ;   in Loop: Header=BB503_682 Depth=2
	ds_load_b32 v2, v70 offset:4096
	s_wait_dscnt 0x0
	v_lshrrev_b32_e32 v2, s49, v2
	s_delay_alu instid0(VALU_DEP_1)
	v_and_b32_e32 v131, s48, v2
	s_wait_alu 0xfffe
	s_or_b32 exec_lo, exec_lo, s30
	s_and_saveexec_b32 s30, s18
	s_cbranch_execz .LBB503_798
.LBB503_864:                            ;   in Loop: Header=BB503_682 Depth=2
	ds_load_b32 v2, v70 offset:5120
	s_wait_dscnt 0x0
	v_lshrrev_b32_e32 v2, s49, v2
	s_delay_alu instid0(VALU_DEP_1)
	v_and_b32_e32 v130, s48, v2
	s_wait_alu 0xfffe
	s_or_b32 exec_lo, exec_lo, s30
	s_and_saveexec_b32 s30, s19
	s_cbranch_execz .LBB503_799
.LBB503_865:                            ;   in Loop: Header=BB503_682 Depth=2
	ds_load_b32 v2, v70 offset:6144
	s_wait_dscnt 0x0
	v_lshrrev_b32_e32 v2, s49, v2
	s_delay_alu instid0(VALU_DEP_1)
	v_and_b32_e32 v129, s48, v2
	s_wait_alu 0xfffe
	s_or_b32 exec_lo, exec_lo, s30
	s_and_saveexec_b32 s30, s20
	s_cbranch_execz .LBB503_800
.LBB503_866:                            ;   in Loop: Header=BB503_682 Depth=2
	ds_load_b32 v2, v70 offset:7168
	s_wait_dscnt 0x0
	v_lshrrev_b32_e32 v2, s49, v2
	s_delay_alu instid0(VALU_DEP_1)
	v_and_b32_e32 v128, s48, v2
	s_wait_alu 0xfffe
	s_or_b32 exec_lo, exec_lo, s30
	s_and_saveexec_b32 s30, s21
	s_cbranch_execz .LBB503_801
.LBB503_867:                            ;   in Loop: Header=BB503_682 Depth=2
	ds_load_b32 v2, v70 offset:8192
	s_wait_dscnt 0x0
	v_lshrrev_b32_e32 v2, s49, v2
	s_delay_alu instid0(VALU_DEP_1)
	v_and_b32_e32 v127, s48, v2
	s_wait_alu 0xfffe
	s_or_b32 exec_lo, exec_lo, s30
	s_and_saveexec_b32 s30, s22
	s_cbranch_execz .LBB503_802
.LBB503_868:                            ;   in Loop: Header=BB503_682 Depth=2
	ds_load_b32 v2, v70 offset:9216
	s_wait_dscnt 0x0
	v_lshrrev_b32_e32 v2, s49, v2
	s_delay_alu instid0(VALU_DEP_1)
	v_and_b32_e32 v126, s48, v2
	s_wait_alu 0xfffe
	s_or_b32 exec_lo, exec_lo, s30
	s_and_saveexec_b32 s30, s23
	s_cbranch_execz .LBB503_803
.LBB503_869:                            ;   in Loop: Header=BB503_682 Depth=2
	ds_load_b32 v2, v70 offset:10240
	s_wait_dscnt 0x0
	v_lshrrev_b32_e32 v2, s49, v2
	s_delay_alu instid0(VALU_DEP_1)
	v_and_b32_e32 v125, s48, v2
	s_wait_alu 0xfffe
	s_or_b32 exec_lo, exec_lo, s30
	s_and_saveexec_b32 s30, s24
	s_cbranch_execz .LBB503_804
.LBB503_870:                            ;   in Loop: Header=BB503_682 Depth=2
	ds_load_b32 v2, v70 offset:11264
	s_wait_dscnt 0x0
	v_lshrrev_b32_e32 v2, s49, v2
	s_delay_alu instid0(VALU_DEP_1)
	v_and_b32_e32 v124, s48, v2
	s_wait_alu 0xfffe
	s_or_b32 exec_lo, exec_lo, s30
	s_and_saveexec_b32 s30, s25
	s_cbranch_execz .LBB503_805
.LBB503_871:                            ;   in Loop: Header=BB503_682 Depth=2
	ds_load_b32 v2, v70 offset:12288
	s_wait_dscnt 0x0
	v_lshrrev_b32_e32 v2, s49, v2
	s_delay_alu instid0(VALU_DEP_1)
	v_and_b32_e32 v123, s48, v2
	s_wait_alu 0xfffe
	s_or_b32 exec_lo, exec_lo, s30
	s_and_saveexec_b32 s30, s26
	s_cbranch_execz .LBB503_806
.LBB503_872:                            ;   in Loop: Header=BB503_682 Depth=2
	ds_load_b32 v2, v70 offset:13312
	s_wait_dscnt 0x0
	v_lshrrev_b32_e32 v2, s49, v2
	s_delay_alu instid0(VALU_DEP_1)
	v_and_b32_e32 v122, s48, v2
	s_wait_alu 0xfffe
	s_or_b32 exec_lo, exec_lo, s30
	s_and_saveexec_b32 s30, s27
	s_cbranch_execz .LBB503_807
.LBB503_873:                            ;   in Loop: Header=BB503_682 Depth=2
	ds_load_b32 v2, v70 offset:14336
	s_wait_dscnt 0x0
	v_lshrrev_b32_e32 v2, s49, v2
	s_delay_alu instid0(VALU_DEP_1)
	v_and_b32_e32 v121, s48, v2
	s_wait_alu 0xfffe
	s_or_b32 exec_lo, exec_lo, s30
	s_and_saveexec_b32 s30, s28
	s_cbranch_execz .LBB503_808
.LBB503_874:                            ;   in Loop: Header=BB503_682 Depth=2
	ds_load_b32 v2, v70 offset:15360
	s_wait_dscnt 0x0
	v_lshrrev_b32_e32 v2, s49, v2
	s_delay_alu instid0(VALU_DEP_1)
	v_and_b32_e32 v120, s48, v2
	s_wait_alu 0xfffe
	s_or_b32 exec_lo, exec_lo, s30
	s_and_saveexec_b32 s30, s29
	s_cbranch_execnz .LBB503_809
	s_branch .LBB503_810
.LBB503_875:                            ;   in Loop: Header=BB503_682 Depth=2
	v_lshlrev_b32_e32 v2, 2, v134
	v_add_nc_u32_e32 v36, v70, v44
	ds_load_b32 v2, v2
	ds_load_b64 v[36:37], v36 offset:1024
	s_wait_dscnt 0x1
	v_add_nc_u32_e32 v2, v2, v1
	s_delay_alu instid0(VALU_DEP_1) | instskip(NEXT) | instid1(VALU_DEP_1)
	v_lshlrev_b64_e32 v[39:40], 3, v[2:3]
	v_add_co_u32 v39, vcc_lo, s44, v39
	s_wait_alu 0xfffd
	s_delay_alu instid0(VALU_DEP_2)
	v_add_co_ci_u32_e64 v40, null, s45, v40, vcc_lo
	s_wait_dscnt 0x0
	global_store_b64 v[39:40], v[36:37], off
	s_wait_alu 0xfffe
	s_or_b32 exec_lo, exec_lo, s30
	s_and_saveexec_b32 s30, s15
	s_cbranch_execz .LBB503_812
.LBB503_876:                            ;   in Loop: Header=BB503_682 Depth=2
	v_lshlrev_b32_e32 v2, 2, v133
	v_add_nc_u32_e32 v36, v70, v44
	ds_load_b32 v2, v2
	ds_load_b64 v[36:37], v36 offset:3072
	s_wait_dscnt 0x1
	v_add_nc_u32_e32 v2, v2, v45
	s_delay_alu instid0(VALU_DEP_1) | instskip(NEXT) | instid1(VALU_DEP_1)
	v_lshlrev_b64_e32 v[39:40], 3, v[2:3]
	v_add_co_u32 v39, vcc_lo, s44, v39
	s_wait_alu 0xfffd
	s_delay_alu instid0(VALU_DEP_2)
	v_add_co_ci_u32_e64 v40, null, s45, v40, vcc_lo
	s_wait_dscnt 0x0
	global_store_b64 v[39:40], v[36:37], off
	s_wait_alu 0xfffe
	s_or_b32 exec_lo, exec_lo, s30
	s_and_saveexec_b32 s15, s16
	s_cbranch_execz .LBB503_813
.LBB503_877:                            ;   in Loop: Header=BB503_682 Depth=2
	v_lshlrev_b32_e32 v2, 2, v132
	v_add_nc_u32_e32 v36, v70, v44
	ds_load_b32 v2, v2
	ds_load_b64 v[36:37], v36 offset:5120
	s_wait_dscnt 0x1
	v_add_nc_u32_e32 v2, v2, v46
	s_delay_alu instid0(VALU_DEP_1) | instskip(NEXT) | instid1(VALU_DEP_1)
	v_lshlrev_b64_e32 v[39:40], 3, v[2:3]
	v_add_co_u32 v39, vcc_lo, s44, v39
	s_wait_alu 0xfffd
	s_delay_alu instid0(VALU_DEP_2)
	v_add_co_ci_u32_e64 v40, null, s45, v40, vcc_lo
	s_wait_dscnt 0x0
	global_store_b64 v[39:40], v[36:37], off
	s_wait_alu 0xfffe
	s_or_b32 exec_lo, exec_lo, s15
	s_and_saveexec_b32 s15, s17
	s_cbranch_execz .LBB503_814
.LBB503_878:                            ;   in Loop: Header=BB503_682 Depth=2
	v_lshlrev_b32_e32 v2, 2, v131
	v_add_nc_u32_e32 v36, v70, v44
	ds_load_b32 v2, v2
	ds_load_b64 v[36:37], v36 offset:7168
	s_wait_dscnt 0x1
	v_add_nc_u32_e32 v2, v2, v47
	s_delay_alu instid0(VALU_DEP_1) | instskip(NEXT) | instid1(VALU_DEP_1)
	v_lshlrev_b64_e32 v[39:40], 3, v[2:3]
	v_add_co_u32 v39, vcc_lo, s44, v39
	s_wait_alu 0xfffd
	s_delay_alu instid0(VALU_DEP_2)
	v_add_co_ci_u32_e64 v40, null, s45, v40, vcc_lo
	s_wait_dscnt 0x0
	global_store_b64 v[39:40], v[36:37], off
	s_wait_alu 0xfffe
	s_or_b32 exec_lo, exec_lo, s15
	s_and_saveexec_b32 s15, s18
	s_cbranch_execz .LBB503_815
.LBB503_879:                            ;   in Loop: Header=BB503_682 Depth=2
	v_lshlrev_b32_e32 v2, 2, v130
	v_add_nc_u32_e32 v36, v70, v44
	ds_load_b32 v2, v2
	ds_load_b64 v[36:37], v36 offset:9216
	s_wait_dscnt 0x1
	v_add_nc_u32_e32 v2, v2, v50
	s_delay_alu instid0(VALU_DEP_1) | instskip(NEXT) | instid1(VALU_DEP_1)
	v_lshlrev_b64_e32 v[39:40], 3, v[2:3]
	v_add_co_u32 v39, vcc_lo, s44, v39
	s_wait_alu 0xfffd
	s_delay_alu instid0(VALU_DEP_2)
	v_add_co_ci_u32_e64 v40, null, s45, v40, vcc_lo
	s_wait_dscnt 0x0
	global_store_b64 v[39:40], v[36:37], off
	s_wait_alu 0xfffe
	s_or_b32 exec_lo, exec_lo, s15
	s_and_saveexec_b32 s15, s19
	s_cbranch_execz .LBB503_816
.LBB503_880:                            ;   in Loop: Header=BB503_682 Depth=2
	v_lshlrev_b32_e32 v2, 2, v129
	v_add_nc_u32_e32 v36, v70, v44
	ds_load_b32 v2, v2
	ds_load_b64 v[36:37], v36 offset:11264
	s_wait_dscnt 0x1
	v_add_nc_u32_e32 v2, v2, v51
	s_delay_alu instid0(VALU_DEP_1) | instskip(NEXT) | instid1(VALU_DEP_1)
	v_lshlrev_b64_e32 v[39:40], 3, v[2:3]
	v_add_co_u32 v39, vcc_lo, s44, v39
	s_wait_alu 0xfffd
	s_delay_alu instid0(VALU_DEP_2)
	v_add_co_ci_u32_e64 v40, null, s45, v40, vcc_lo
	s_wait_dscnt 0x0
	global_store_b64 v[39:40], v[36:37], off
	s_wait_alu 0xfffe
	s_or_b32 exec_lo, exec_lo, s15
	s_and_saveexec_b32 s15, s20
	s_cbranch_execz .LBB503_817
.LBB503_881:                            ;   in Loop: Header=BB503_682 Depth=2
	v_lshlrev_b32_e32 v2, 2, v128
	v_add_nc_u32_e32 v36, v70, v44
	ds_load_b32 v2, v2
	ds_load_b64 v[36:37], v36 offset:13312
	s_wait_dscnt 0x1
	v_add_nc_u32_e32 v2, v2, v52
	s_delay_alu instid0(VALU_DEP_1) | instskip(NEXT) | instid1(VALU_DEP_1)
	v_lshlrev_b64_e32 v[39:40], 3, v[2:3]
	v_add_co_u32 v39, vcc_lo, s44, v39
	s_wait_alu 0xfffd
	s_delay_alu instid0(VALU_DEP_2)
	v_add_co_ci_u32_e64 v40, null, s45, v40, vcc_lo
	s_wait_dscnt 0x0
	global_store_b64 v[39:40], v[36:37], off
	s_wait_alu 0xfffe
	s_or_b32 exec_lo, exec_lo, s15
	s_and_saveexec_b32 s15, s21
	s_cbranch_execz .LBB503_818
.LBB503_882:                            ;   in Loop: Header=BB503_682 Depth=2
	v_lshlrev_b32_e32 v2, 2, v127
	v_add_nc_u32_e32 v36, v70, v44
	ds_load_b32 v2, v2
	ds_load_b64 v[36:37], v36 offset:15360
	s_wait_dscnt 0x1
	v_add_nc_u32_e32 v2, v2, v53
	s_delay_alu instid0(VALU_DEP_1) | instskip(NEXT) | instid1(VALU_DEP_1)
	v_lshlrev_b64_e32 v[39:40], 3, v[2:3]
	v_add_co_u32 v39, vcc_lo, s44, v39
	s_wait_alu 0xfffd
	s_delay_alu instid0(VALU_DEP_2)
	v_add_co_ci_u32_e64 v40, null, s45, v40, vcc_lo
	s_wait_dscnt 0x0
	global_store_b64 v[39:40], v[36:37], off
	s_wait_alu 0xfffe
	s_or_b32 exec_lo, exec_lo, s15
	s_and_saveexec_b32 s15, s22
	s_cbranch_execz .LBB503_819
.LBB503_883:                            ;   in Loop: Header=BB503_682 Depth=2
	v_lshlrev_b32_e32 v2, 2, v126
	v_add_nc_u32_e32 v36, v70, v44
	ds_load_b32 v2, v2
	ds_load_b64 v[36:37], v36 offset:17408
	s_wait_dscnt 0x1
	v_add_nc_u32_e32 v2, v2, v54
	s_delay_alu instid0(VALU_DEP_1) | instskip(NEXT) | instid1(VALU_DEP_1)
	v_lshlrev_b64_e32 v[39:40], 3, v[2:3]
	v_add_co_u32 v39, vcc_lo, s44, v39
	s_wait_alu 0xfffd
	s_delay_alu instid0(VALU_DEP_2)
	v_add_co_ci_u32_e64 v40, null, s45, v40, vcc_lo
	s_wait_dscnt 0x0
	global_store_b64 v[39:40], v[36:37], off
	s_wait_alu 0xfffe
	s_or_b32 exec_lo, exec_lo, s15
	s_and_saveexec_b32 s15, s23
	s_cbranch_execz .LBB503_820
.LBB503_884:                            ;   in Loop: Header=BB503_682 Depth=2
	v_lshlrev_b32_e32 v2, 2, v125
	v_add_nc_u32_e32 v36, v70, v44
	ds_load_b32 v2, v2
	ds_load_b64 v[36:37], v36 offset:19456
	s_wait_dscnt 0x1
	v_add_nc_u32_e32 v2, v2, v55
	s_delay_alu instid0(VALU_DEP_1) | instskip(NEXT) | instid1(VALU_DEP_1)
	v_lshlrev_b64_e32 v[39:40], 3, v[2:3]
	v_add_co_u32 v39, vcc_lo, s44, v39
	s_wait_alu 0xfffd
	s_delay_alu instid0(VALU_DEP_2)
	v_add_co_ci_u32_e64 v40, null, s45, v40, vcc_lo
	s_wait_dscnt 0x0
	global_store_b64 v[39:40], v[36:37], off
	s_wait_alu 0xfffe
	s_or_b32 exec_lo, exec_lo, s15
	s_and_saveexec_b32 s15, s24
	s_cbranch_execz .LBB503_821
.LBB503_885:                            ;   in Loop: Header=BB503_682 Depth=2
	v_lshlrev_b32_e32 v2, 2, v124
	v_add_nc_u32_e32 v36, v70, v44
	ds_load_b32 v2, v2
	ds_load_b64 v[36:37], v36 offset:21504
	s_wait_dscnt 0x1
	v_add_nc_u32_e32 v2, v2, v56
	s_delay_alu instid0(VALU_DEP_1) | instskip(NEXT) | instid1(VALU_DEP_1)
	v_lshlrev_b64_e32 v[39:40], 3, v[2:3]
	v_add_co_u32 v39, vcc_lo, s44, v39
	s_wait_alu 0xfffd
	s_delay_alu instid0(VALU_DEP_2)
	v_add_co_ci_u32_e64 v40, null, s45, v40, vcc_lo
	s_wait_dscnt 0x0
	global_store_b64 v[39:40], v[36:37], off
	s_wait_alu 0xfffe
	s_or_b32 exec_lo, exec_lo, s15
	s_and_saveexec_b32 s15, s25
	s_cbranch_execz .LBB503_822
.LBB503_886:                            ;   in Loop: Header=BB503_682 Depth=2
	v_lshlrev_b32_e32 v2, 2, v123
	v_add_nc_u32_e32 v36, v70, v44
	ds_load_b32 v2, v2
	ds_load_b64 v[36:37], v36 offset:23552
	s_wait_dscnt 0x1
	v_add_nc_u32_e32 v2, v2, v57
	s_delay_alu instid0(VALU_DEP_1) | instskip(NEXT) | instid1(VALU_DEP_1)
	v_lshlrev_b64_e32 v[39:40], 3, v[2:3]
	v_add_co_u32 v39, vcc_lo, s44, v39
	s_wait_alu 0xfffd
	s_delay_alu instid0(VALU_DEP_2)
	v_add_co_ci_u32_e64 v40, null, s45, v40, vcc_lo
	s_wait_dscnt 0x0
	global_store_b64 v[39:40], v[36:37], off
	s_wait_alu 0xfffe
	s_or_b32 exec_lo, exec_lo, s15
	s_and_saveexec_b32 s15, s26
	s_cbranch_execz .LBB503_823
.LBB503_887:                            ;   in Loop: Header=BB503_682 Depth=2
	v_lshlrev_b32_e32 v2, 2, v122
	v_add_nc_u32_e32 v36, v70, v44
	ds_load_b32 v2, v2
	ds_load_b64 v[36:37], v36 offset:25600
	s_wait_dscnt 0x1
	v_add_nc_u32_e32 v2, v2, v58
	s_delay_alu instid0(VALU_DEP_1) | instskip(NEXT) | instid1(VALU_DEP_1)
	v_lshlrev_b64_e32 v[39:40], 3, v[2:3]
	v_add_co_u32 v39, vcc_lo, s44, v39
	s_wait_alu 0xfffd
	s_delay_alu instid0(VALU_DEP_2)
	v_add_co_ci_u32_e64 v40, null, s45, v40, vcc_lo
	s_wait_dscnt 0x0
	global_store_b64 v[39:40], v[36:37], off
	s_wait_alu 0xfffe
	s_or_b32 exec_lo, exec_lo, s15
	s_and_saveexec_b32 s15, s27
	s_cbranch_execz .LBB503_824
.LBB503_888:                            ;   in Loop: Header=BB503_682 Depth=2
	v_lshlrev_b32_e32 v2, 2, v121
	v_add_nc_u32_e32 v36, v70, v44
	ds_load_b32 v2, v2
	ds_load_b64 v[36:37], v36 offset:27648
	s_wait_dscnt 0x1
	v_add_nc_u32_e32 v2, v2, v59
	s_delay_alu instid0(VALU_DEP_1) | instskip(NEXT) | instid1(VALU_DEP_1)
	v_lshlrev_b64_e32 v[39:40], 3, v[2:3]
	v_add_co_u32 v39, vcc_lo, s44, v39
	s_wait_alu 0xfffd
	s_delay_alu instid0(VALU_DEP_2)
	v_add_co_ci_u32_e64 v40, null, s45, v40, vcc_lo
	s_wait_dscnt 0x0
	global_store_b64 v[39:40], v[36:37], off
	s_wait_alu 0xfffe
	s_or_b32 exec_lo, exec_lo, s15
	s_and_saveexec_b32 s15, s28
	s_cbranch_execz .LBB503_825
.LBB503_889:                            ;   in Loop: Header=BB503_682 Depth=2
	v_lshlrev_b32_e32 v2, 2, v120
	v_add_nc_u32_e32 v36, v70, v44
	ds_load_b32 v2, v2
	ds_load_b64 v[36:37], v36 offset:29696
	s_wait_dscnt 0x1
	v_add_nc_u32_e32 v2, v2, v60
	s_delay_alu instid0(VALU_DEP_1) | instskip(NEXT) | instid1(VALU_DEP_1)
	v_lshlrev_b64_e32 v[39:40], 3, v[2:3]
	v_add_co_u32 v39, vcc_lo, s44, v39
	s_wait_alu 0xfffd
	s_delay_alu instid0(VALU_DEP_2)
	v_add_co_ci_u32_e64 v40, null, s45, v40, vcc_lo
	s_wait_dscnt 0x0
	global_store_b64 v[39:40], v[36:37], off
	s_wait_alu 0xfffe
	s_or_b32 exec_lo, exec_lo, s15
	s_and_saveexec_b32 s15, s29
	s_cbranch_execnz .LBB503_826
	s_branch .LBB503_827
.LBB503_890:                            ;   in Loop: Header=BB503_12 Depth=1
	s_wait_loadcnt_dscnt 0x0
	s_barrier_signal -1
	s_mov_b32 s0, 0
	s_barrier_wait -1
.LBB503_891:                            ;   in Loop: Header=BB503_12 Depth=1
	s_wait_alu 0xfffe
	s_and_b32 vcc_lo, exec_lo, s0
	s_wait_alu 0xfffe
	s_cbranch_vccz .LBB503_11
; %bb.892:                              ;   in Loop: Header=BB503_12 Depth=1
	s_mov_b32 s9, s53
	s_mov_b32 s42, s33
	s_barrier_signal -1
	s_barrier_wait -1
	global_inv scope:SCOPE_SE
                                        ; implicit-def: $vgpr2
                                        ; implicit-def: $vgpr4
                                        ; implicit-def: $vgpr5
                                        ; implicit-def: $vgpr6
                                        ; implicit-def: $vgpr7
                                        ; implicit-def: $vgpr8
                                        ; implicit-def: $vgpr9
                                        ; implicit-def: $vgpr10
                                        ; implicit-def: $vgpr11
                                        ; implicit-def: $vgpr12
                                        ; implicit-def: $vgpr13
                                        ; implicit-def: $vgpr14
                                        ; implicit-def: $vgpr15
                                        ; implicit-def: $vgpr16
                                        ; implicit-def: $vgpr17
                                        ; implicit-def: $vgpr18
	s_branch .LBB503_894
.LBB503_893:                            ;   in Loop: Header=BB503_894 Depth=2
	s_wait_alu 0xfffe
	s_or_b32 exec_lo, exec_lo, s0
	s_addk_co_i32 s9, 0xf000
	s_cmp_ge_u32 s10, s51
	s_mov_b32 s42, s10
	s_cbranch_scc1 .LBB503_962
.LBB503_894:                            ;   Parent Loop BB503_12 Depth=1
                                        ; =>  This Inner Loop Header: Depth=2
	s_wait_alu 0xfffe
	s_add_co_i32 s10, s42, 0x1000
	s_mov_b32 s0, -1
	s_wait_alu 0xfffe
	s_cmp_gt_u32 s10, s51
                                        ; implicit-def: $vgpr19
                                        ; implicit-def: $vgpr20
                                        ; implicit-def: $vgpr21
                                        ; implicit-def: $vgpr22
                                        ; implicit-def: $vgpr23
                                        ; implicit-def: $vgpr24
                                        ; implicit-def: $vgpr25
                                        ; implicit-def: $vgpr26
                                        ; implicit-def: $vgpr27
                                        ; implicit-def: $vgpr28
                                        ; implicit-def: $vgpr29
                                        ; implicit-def: $vgpr30
                                        ; implicit-def: $vgpr31
                                        ; implicit-def: $vgpr32
                                        ; implicit-def: $vgpr33
                                        ; implicit-def: $vgpr34
	s_cbranch_scc1 .LBB503_896
; %bb.895:                              ;   in Loop: Header=BB503_894 Depth=2
	s_lshl_b64 s[0:1], s[42:43], 2
	s_wait_alu 0xfffe
	v_add_co_u32 v34, vcc_lo, v77, s0
	s_wait_alu 0xfffd
	v_add_co_ci_u32_e64 v35, null, s1, v78, vcc_lo
	s_mov_b32 s0, 0
	s_clause 0xf
	global_load_b32 v19, v[34:35], off
	global_load_b32 v20, v[34:35], off offset:1024
	global_load_b32 v21, v[34:35], off offset:2048
	;; [unrolled: 1-line block ×15, first 2 shown]
.LBB503_896:                            ;   in Loop: Header=BB503_894 Depth=2
	s_wait_alu 0xfffe
	s_and_not1_b32 vcc_lo, exec_lo, s0
	s_movk_i32 s0, 0x1000
	s_wait_alu 0xfffe
	s_cbranch_vccnz .LBB503_915
; %bb.897:                              ;   in Loop: Header=BB503_894 Depth=2
	s_lshl_b64 s[0:1], s[42:43], 2
	s_mov_b32 s11, exec_lo
	s_wait_alu 0xfffe
	s_add_nc_u64 s[0:1], s[36:37], s[0:1]
	v_cmpx_gt_u32_e64 s9, v1
	s_cbranch_execnz .LBB503_947
; %bb.898:                              ;   in Loop: Header=BB503_894 Depth=2
	s_or_b32 exec_lo, exec_lo, s11
	s_delay_alu instid0(SALU_CYCLE_1)
	s_mov_b32 s11, exec_lo
	v_cmpx_gt_u32_e64 s9, v45
	s_cbranch_execnz .LBB503_948
.LBB503_899:                            ;   in Loop: Header=BB503_894 Depth=2
	s_wait_alu 0xfffe
	s_or_b32 exec_lo, exec_lo, s11
	s_delay_alu instid0(SALU_CYCLE_1)
	s_mov_b32 s11, exec_lo
	v_cmpx_gt_u32_e64 s9, v46
	s_cbranch_execnz .LBB503_949
.LBB503_900:                            ;   in Loop: Header=BB503_894 Depth=2
	s_wait_alu 0xfffe
	s_or_b32 exec_lo, exec_lo, s11
	s_delay_alu instid0(SALU_CYCLE_1)
	s_mov_b32 s11, exec_lo
	v_cmpx_gt_u32_e64 s9, v47
	s_cbranch_execnz .LBB503_950
.LBB503_901:                            ;   in Loop: Header=BB503_894 Depth=2
	s_wait_alu 0xfffe
	s_or_b32 exec_lo, exec_lo, s11
	s_delay_alu instid0(SALU_CYCLE_1)
	s_mov_b32 s11, exec_lo
	v_cmpx_gt_u32_e64 s9, v50
	s_cbranch_execnz .LBB503_951
.LBB503_902:                            ;   in Loop: Header=BB503_894 Depth=2
	s_wait_alu 0xfffe
	s_or_b32 exec_lo, exec_lo, s11
	s_delay_alu instid0(SALU_CYCLE_1)
	s_mov_b32 s11, exec_lo
	v_cmpx_gt_u32_e64 s9, v51
	s_cbranch_execnz .LBB503_952
.LBB503_903:                            ;   in Loop: Header=BB503_894 Depth=2
	s_wait_alu 0xfffe
	s_or_b32 exec_lo, exec_lo, s11
	s_delay_alu instid0(SALU_CYCLE_1)
	s_mov_b32 s11, exec_lo
	v_cmpx_gt_u32_e64 s9, v52
	s_cbranch_execnz .LBB503_953
.LBB503_904:                            ;   in Loop: Header=BB503_894 Depth=2
	s_wait_alu 0xfffe
	s_or_b32 exec_lo, exec_lo, s11
	s_delay_alu instid0(SALU_CYCLE_1)
	s_mov_b32 s11, exec_lo
	v_cmpx_gt_u32_e64 s9, v53
	s_cbranch_execnz .LBB503_954
.LBB503_905:                            ;   in Loop: Header=BB503_894 Depth=2
	s_wait_alu 0xfffe
	s_or_b32 exec_lo, exec_lo, s11
	s_delay_alu instid0(SALU_CYCLE_1)
	s_mov_b32 s11, exec_lo
	v_cmpx_gt_u32_e64 s9, v54
	s_cbranch_execnz .LBB503_955
.LBB503_906:                            ;   in Loop: Header=BB503_894 Depth=2
	s_wait_alu 0xfffe
	s_or_b32 exec_lo, exec_lo, s11
	s_delay_alu instid0(SALU_CYCLE_1)
	s_mov_b32 s11, exec_lo
	v_cmpx_gt_u32_e64 s9, v55
	s_cbranch_execnz .LBB503_956
.LBB503_907:                            ;   in Loop: Header=BB503_894 Depth=2
	s_wait_alu 0xfffe
	s_or_b32 exec_lo, exec_lo, s11
	s_delay_alu instid0(SALU_CYCLE_1)
	s_mov_b32 s11, exec_lo
	v_cmpx_gt_u32_e64 s9, v56
	s_cbranch_execnz .LBB503_957
.LBB503_908:                            ;   in Loop: Header=BB503_894 Depth=2
	s_wait_alu 0xfffe
	s_or_b32 exec_lo, exec_lo, s11
	s_delay_alu instid0(SALU_CYCLE_1)
	s_mov_b32 s11, exec_lo
	v_cmpx_gt_u32_e64 s9, v57
	s_cbranch_execnz .LBB503_958
.LBB503_909:                            ;   in Loop: Header=BB503_894 Depth=2
	s_wait_alu 0xfffe
	s_or_b32 exec_lo, exec_lo, s11
	s_delay_alu instid0(SALU_CYCLE_1)
	s_mov_b32 s11, exec_lo
	v_cmpx_gt_u32_e64 s9, v58
	s_cbranch_execnz .LBB503_959
.LBB503_910:                            ;   in Loop: Header=BB503_894 Depth=2
	s_wait_alu 0xfffe
	s_or_b32 exec_lo, exec_lo, s11
	s_delay_alu instid0(SALU_CYCLE_1)
	s_mov_b32 s11, exec_lo
	v_cmpx_gt_u32_e64 s9, v59
	s_cbranch_execnz .LBB503_960
.LBB503_911:                            ;   in Loop: Header=BB503_894 Depth=2
	s_wait_alu 0xfffe
	s_or_b32 exec_lo, exec_lo, s11
	s_delay_alu instid0(SALU_CYCLE_1)
	s_mov_b32 s11, exec_lo
	v_cmpx_gt_u32_e64 s9, v60
	s_cbranch_execnz .LBB503_961
.LBB503_912:                            ;   in Loop: Header=BB503_894 Depth=2
	s_wait_alu 0xfffe
	s_or_b32 exec_lo, exec_lo, s11
	s_delay_alu instid0(SALU_CYCLE_1)
	s_mov_b32 s11, exec_lo
	v_cmpx_gt_u32_e64 s9, v61
	s_cbranch_execz .LBB503_914
.LBB503_913:                            ;   in Loop: Header=BB503_894 Depth=2
	global_load_b32 v2, v108, s[0:1] offset:15360
.LBB503_914:                            ;   in Loop: Header=BB503_894 Depth=2
	s_wait_alu 0xfffe
	s_or_b32 exec_lo, exec_lo, s11
	s_wait_loadcnt 0x0
	v_dual_mov_b32 v19, v18 :: v_dual_mov_b32 v20, v17
	v_dual_mov_b32 v21, v16 :: v_dual_mov_b32 v22, v15
	;; [unrolled: 1-line block ×8, first 2 shown]
	s_mov_b32 s0, s9
.LBB503_915:                            ;   in Loop: Header=BB503_894 Depth=2
	s_wait_loadcnt 0x0
	s_delay_alu instid0(VALU_DEP_1) | instskip(NEXT) | instid1(VALU_DEP_2)
	v_dual_mov_b32 v2, v34 :: v_dual_mov_b32 v5, v32
	v_dual_mov_b32 v4, v33 :: v_dual_mov_b32 v7, v30
	;; [unrolled: 1-line block ×7, first 2 shown]
	v_mov_b32_e32 v16, v21
	v_mov_b32_e32 v18, v19
	s_mov_b32 s1, exec_lo
	s_wait_alu 0xfffe
	v_cmpx_gt_u32_e64 s0, v1
	s_cbranch_execnz .LBB503_931
; %bb.916:                              ;   in Loop: Header=BB503_894 Depth=2
	s_or_b32 exec_lo, exec_lo, s1
	s_delay_alu instid0(SALU_CYCLE_1)
	s_mov_b32 s1, exec_lo
	v_cmpx_gt_u32_e64 s0, v45
	s_cbranch_execnz .LBB503_932
.LBB503_917:                            ;   in Loop: Header=BB503_894 Depth=2
	s_wait_alu 0xfffe
	s_or_b32 exec_lo, exec_lo, s1
	s_delay_alu instid0(SALU_CYCLE_1)
	s_mov_b32 s1, exec_lo
	v_cmpx_gt_u32_e64 s0, v46
	s_cbranch_execnz .LBB503_933
.LBB503_918:                            ;   in Loop: Header=BB503_894 Depth=2
	s_wait_alu 0xfffe
	s_or_b32 exec_lo, exec_lo, s1
	s_delay_alu instid0(SALU_CYCLE_1)
	s_mov_b32 s1, exec_lo
	v_cmpx_gt_u32_e64 s0, v47
	s_cbranch_execnz .LBB503_934
.LBB503_919:                            ;   in Loop: Header=BB503_894 Depth=2
	s_wait_alu 0xfffe
	s_or_b32 exec_lo, exec_lo, s1
	s_delay_alu instid0(SALU_CYCLE_1)
	s_mov_b32 s1, exec_lo
	v_cmpx_gt_u32_e64 s0, v50
	s_cbranch_execnz .LBB503_935
.LBB503_920:                            ;   in Loop: Header=BB503_894 Depth=2
	s_wait_alu 0xfffe
	s_or_b32 exec_lo, exec_lo, s1
	s_delay_alu instid0(SALU_CYCLE_1)
	s_mov_b32 s1, exec_lo
	v_cmpx_gt_u32_e64 s0, v51
	s_cbranch_execnz .LBB503_936
.LBB503_921:                            ;   in Loop: Header=BB503_894 Depth=2
	s_wait_alu 0xfffe
	s_or_b32 exec_lo, exec_lo, s1
	s_delay_alu instid0(SALU_CYCLE_1)
	s_mov_b32 s1, exec_lo
	v_cmpx_gt_u32_e64 s0, v52
	s_cbranch_execnz .LBB503_937
.LBB503_922:                            ;   in Loop: Header=BB503_894 Depth=2
	s_wait_alu 0xfffe
	s_or_b32 exec_lo, exec_lo, s1
	s_delay_alu instid0(SALU_CYCLE_1)
	s_mov_b32 s1, exec_lo
	v_cmpx_gt_u32_e64 s0, v53
	s_cbranch_execnz .LBB503_938
.LBB503_923:                            ;   in Loop: Header=BB503_894 Depth=2
	s_wait_alu 0xfffe
	s_or_b32 exec_lo, exec_lo, s1
	s_delay_alu instid0(SALU_CYCLE_1)
	s_mov_b32 s1, exec_lo
	v_cmpx_gt_u32_e64 s0, v54
	s_cbranch_execnz .LBB503_939
.LBB503_924:                            ;   in Loop: Header=BB503_894 Depth=2
	s_wait_alu 0xfffe
	s_or_b32 exec_lo, exec_lo, s1
	s_delay_alu instid0(SALU_CYCLE_1)
	s_mov_b32 s1, exec_lo
	v_cmpx_gt_u32_e64 s0, v55
	s_cbranch_execnz .LBB503_940
.LBB503_925:                            ;   in Loop: Header=BB503_894 Depth=2
	s_wait_alu 0xfffe
	s_or_b32 exec_lo, exec_lo, s1
	s_delay_alu instid0(SALU_CYCLE_1)
	s_mov_b32 s1, exec_lo
	v_cmpx_gt_u32_e64 s0, v56
	s_cbranch_execnz .LBB503_941
.LBB503_926:                            ;   in Loop: Header=BB503_894 Depth=2
	s_wait_alu 0xfffe
	s_or_b32 exec_lo, exec_lo, s1
	s_delay_alu instid0(SALU_CYCLE_1)
	s_mov_b32 s1, exec_lo
	v_cmpx_gt_u32_e64 s0, v57
	s_cbranch_execnz .LBB503_942
.LBB503_927:                            ;   in Loop: Header=BB503_894 Depth=2
	s_wait_alu 0xfffe
	s_or_b32 exec_lo, exec_lo, s1
	s_delay_alu instid0(SALU_CYCLE_1)
	s_mov_b32 s1, exec_lo
	v_cmpx_gt_u32_e64 s0, v58
	s_cbranch_execnz .LBB503_943
.LBB503_928:                            ;   in Loop: Header=BB503_894 Depth=2
	s_wait_alu 0xfffe
	s_or_b32 exec_lo, exec_lo, s1
	s_delay_alu instid0(SALU_CYCLE_1)
	s_mov_b32 s1, exec_lo
	v_cmpx_gt_u32_e64 s0, v59
	s_cbranch_execnz .LBB503_944
.LBB503_929:                            ;   in Loop: Header=BB503_894 Depth=2
	s_wait_alu 0xfffe
	s_or_b32 exec_lo, exec_lo, s1
	s_delay_alu instid0(SALU_CYCLE_1)
	s_mov_b32 s1, exec_lo
	v_cmpx_gt_u32_e64 s0, v60
	s_cbranch_execnz .LBB503_945
.LBB503_930:                            ;   in Loop: Header=BB503_894 Depth=2
	s_wait_alu 0xfffe
	s_or_b32 exec_lo, exec_lo, s1
	v_cmp_gt_u32_e32 vcc_lo, s0, v61
	s_and_saveexec_b32 s0, vcc_lo
	s_cbranch_execz .LBB503_893
	s_branch .LBB503_946
.LBB503_931:                            ;   in Loop: Header=BB503_894 Depth=2
	v_xor_b32_e32 v19, 0x7fffffff, v18
	s_delay_alu instid0(VALU_DEP_1) | instskip(NEXT) | instid1(VALU_DEP_1)
	v_lshrrev_b32_e32 v19, s49, v19
	v_and_b32_e32 v19, s48, v19
	s_delay_alu instid0(VALU_DEP_1) | instskip(SKIP_2) | instid1(SALU_CYCLE_1)
	v_lshl_or_b32 v19, v19, 4, v62
	ds_add_u32 v19, v84
	s_or_b32 exec_lo, exec_lo, s1
	s_mov_b32 s1, exec_lo
	v_cmpx_gt_u32_e64 s0, v45
	s_cbranch_execz .LBB503_917
.LBB503_932:                            ;   in Loop: Header=BB503_894 Depth=2
	v_xor_b32_e32 v19, 0x7fffffff, v17
	s_delay_alu instid0(VALU_DEP_1) | instskip(NEXT) | instid1(VALU_DEP_1)
	v_lshrrev_b32_e32 v19, s49, v19
	v_and_b32_e32 v19, s48, v19
	s_delay_alu instid0(VALU_DEP_1) | instskip(SKIP_3) | instid1(SALU_CYCLE_1)
	v_lshl_or_b32 v19, v19, 4, v62
	ds_add_u32 v19, v84
	s_wait_alu 0xfffe
	s_or_b32 exec_lo, exec_lo, s1
	s_mov_b32 s1, exec_lo
	v_cmpx_gt_u32_e64 s0, v46
	s_cbranch_execz .LBB503_918
.LBB503_933:                            ;   in Loop: Header=BB503_894 Depth=2
	v_xor_b32_e32 v19, 0x7fffffff, v16
	s_delay_alu instid0(VALU_DEP_1) | instskip(NEXT) | instid1(VALU_DEP_1)
	v_lshrrev_b32_e32 v19, s49, v19
	v_and_b32_e32 v19, s48, v19
	s_delay_alu instid0(VALU_DEP_1) | instskip(SKIP_3) | instid1(SALU_CYCLE_1)
	v_lshl_or_b32 v19, v19, 4, v62
	ds_add_u32 v19, v84
	s_wait_alu 0xfffe
	s_or_b32 exec_lo, exec_lo, s1
	s_mov_b32 s1, exec_lo
	v_cmpx_gt_u32_e64 s0, v47
	s_cbranch_execz .LBB503_919
.LBB503_934:                            ;   in Loop: Header=BB503_894 Depth=2
	v_xor_b32_e32 v19, 0x7fffffff, v15
	s_delay_alu instid0(VALU_DEP_1) | instskip(NEXT) | instid1(VALU_DEP_1)
	v_lshrrev_b32_e32 v19, s49, v19
	v_and_b32_e32 v19, s48, v19
	s_delay_alu instid0(VALU_DEP_1) | instskip(SKIP_3) | instid1(SALU_CYCLE_1)
	v_lshl_or_b32 v19, v19, 4, v62
	ds_add_u32 v19, v84
	s_wait_alu 0xfffe
	s_or_b32 exec_lo, exec_lo, s1
	s_mov_b32 s1, exec_lo
	v_cmpx_gt_u32_e64 s0, v50
	s_cbranch_execz .LBB503_920
.LBB503_935:                            ;   in Loop: Header=BB503_894 Depth=2
	v_xor_b32_e32 v19, 0x7fffffff, v14
	s_delay_alu instid0(VALU_DEP_1) | instskip(NEXT) | instid1(VALU_DEP_1)
	v_lshrrev_b32_e32 v19, s49, v19
	v_and_b32_e32 v19, s48, v19
	s_delay_alu instid0(VALU_DEP_1) | instskip(SKIP_3) | instid1(SALU_CYCLE_1)
	v_lshl_or_b32 v19, v19, 4, v62
	ds_add_u32 v19, v84
	s_wait_alu 0xfffe
	s_or_b32 exec_lo, exec_lo, s1
	s_mov_b32 s1, exec_lo
	v_cmpx_gt_u32_e64 s0, v51
	s_cbranch_execz .LBB503_921
.LBB503_936:                            ;   in Loop: Header=BB503_894 Depth=2
	v_xor_b32_e32 v19, 0x7fffffff, v13
	s_delay_alu instid0(VALU_DEP_1) | instskip(NEXT) | instid1(VALU_DEP_1)
	v_lshrrev_b32_e32 v19, s49, v19
	v_and_b32_e32 v19, s48, v19
	s_delay_alu instid0(VALU_DEP_1) | instskip(SKIP_3) | instid1(SALU_CYCLE_1)
	v_lshl_or_b32 v19, v19, 4, v62
	ds_add_u32 v19, v84
	s_wait_alu 0xfffe
	s_or_b32 exec_lo, exec_lo, s1
	s_mov_b32 s1, exec_lo
	v_cmpx_gt_u32_e64 s0, v52
	s_cbranch_execz .LBB503_922
.LBB503_937:                            ;   in Loop: Header=BB503_894 Depth=2
	v_xor_b32_e32 v19, 0x7fffffff, v12
	s_delay_alu instid0(VALU_DEP_1) | instskip(NEXT) | instid1(VALU_DEP_1)
	v_lshrrev_b32_e32 v19, s49, v19
	v_and_b32_e32 v19, s48, v19
	s_delay_alu instid0(VALU_DEP_1) | instskip(SKIP_3) | instid1(SALU_CYCLE_1)
	v_lshl_or_b32 v19, v19, 4, v62
	ds_add_u32 v19, v84
	s_wait_alu 0xfffe
	s_or_b32 exec_lo, exec_lo, s1
	s_mov_b32 s1, exec_lo
	v_cmpx_gt_u32_e64 s0, v53
	s_cbranch_execz .LBB503_923
.LBB503_938:                            ;   in Loop: Header=BB503_894 Depth=2
	v_xor_b32_e32 v19, 0x7fffffff, v11
	s_delay_alu instid0(VALU_DEP_1) | instskip(NEXT) | instid1(VALU_DEP_1)
	v_lshrrev_b32_e32 v19, s49, v19
	v_and_b32_e32 v19, s48, v19
	s_delay_alu instid0(VALU_DEP_1) | instskip(SKIP_3) | instid1(SALU_CYCLE_1)
	v_lshl_or_b32 v19, v19, 4, v62
	ds_add_u32 v19, v84
	s_wait_alu 0xfffe
	s_or_b32 exec_lo, exec_lo, s1
	s_mov_b32 s1, exec_lo
	v_cmpx_gt_u32_e64 s0, v54
	s_cbranch_execz .LBB503_924
.LBB503_939:                            ;   in Loop: Header=BB503_894 Depth=2
	v_xor_b32_e32 v19, 0x7fffffff, v10
	s_delay_alu instid0(VALU_DEP_1) | instskip(NEXT) | instid1(VALU_DEP_1)
	v_lshrrev_b32_e32 v19, s49, v19
	v_and_b32_e32 v19, s48, v19
	s_delay_alu instid0(VALU_DEP_1) | instskip(SKIP_3) | instid1(SALU_CYCLE_1)
	v_lshl_or_b32 v19, v19, 4, v62
	ds_add_u32 v19, v84
	s_wait_alu 0xfffe
	s_or_b32 exec_lo, exec_lo, s1
	s_mov_b32 s1, exec_lo
	v_cmpx_gt_u32_e64 s0, v55
	s_cbranch_execz .LBB503_925
.LBB503_940:                            ;   in Loop: Header=BB503_894 Depth=2
	v_xor_b32_e32 v19, 0x7fffffff, v9
	s_delay_alu instid0(VALU_DEP_1) | instskip(NEXT) | instid1(VALU_DEP_1)
	v_lshrrev_b32_e32 v19, s49, v19
	v_and_b32_e32 v19, s48, v19
	s_delay_alu instid0(VALU_DEP_1) | instskip(SKIP_3) | instid1(SALU_CYCLE_1)
	v_lshl_or_b32 v19, v19, 4, v62
	ds_add_u32 v19, v84
	s_wait_alu 0xfffe
	s_or_b32 exec_lo, exec_lo, s1
	s_mov_b32 s1, exec_lo
	v_cmpx_gt_u32_e64 s0, v56
	s_cbranch_execz .LBB503_926
.LBB503_941:                            ;   in Loop: Header=BB503_894 Depth=2
	v_xor_b32_e32 v19, 0x7fffffff, v8
	s_delay_alu instid0(VALU_DEP_1) | instskip(NEXT) | instid1(VALU_DEP_1)
	v_lshrrev_b32_e32 v19, s49, v19
	v_and_b32_e32 v19, s48, v19
	s_delay_alu instid0(VALU_DEP_1) | instskip(SKIP_3) | instid1(SALU_CYCLE_1)
	v_lshl_or_b32 v19, v19, 4, v62
	ds_add_u32 v19, v84
	s_wait_alu 0xfffe
	s_or_b32 exec_lo, exec_lo, s1
	s_mov_b32 s1, exec_lo
	v_cmpx_gt_u32_e64 s0, v57
	s_cbranch_execz .LBB503_927
.LBB503_942:                            ;   in Loop: Header=BB503_894 Depth=2
	v_xor_b32_e32 v19, 0x7fffffff, v7
	s_delay_alu instid0(VALU_DEP_1) | instskip(NEXT) | instid1(VALU_DEP_1)
	v_lshrrev_b32_e32 v19, s49, v19
	v_and_b32_e32 v19, s48, v19
	s_delay_alu instid0(VALU_DEP_1) | instskip(SKIP_3) | instid1(SALU_CYCLE_1)
	v_lshl_or_b32 v19, v19, 4, v62
	ds_add_u32 v19, v84
	s_wait_alu 0xfffe
	s_or_b32 exec_lo, exec_lo, s1
	s_mov_b32 s1, exec_lo
	v_cmpx_gt_u32_e64 s0, v58
	s_cbranch_execz .LBB503_928
.LBB503_943:                            ;   in Loop: Header=BB503_894 Depth=2
	v_xor_b32_e32 v19, 0x7fffffff, v6
	s_delay_alu instid0(VALU_DEP_1) | instskip(NEXT) | instid1(VALU_DEP_1)
	v_lshrrev_b32_e32 v19, s49, v19
	v_and_b32_e32 v19, s48, v19
	s_delay_alu instid0(VALU_DEP_1) | instskip(SKIP_3) | instid1(SALU_CYCLE_1)
	v_lshl_or_b32 v19, v19, 4, v62
	ds_add_u32 v19, v84
	s_wait_alu 0xfffe
	s_or_b32 exec_lo, exec_lo, s1
	s_mov_b32 s1, exec_lo
	v_cmpx_gt_u32_e64 s0, v59
	s_cbranch_execz .LBB503_929
.LBB503_944:                            ;   in Loop: Header=BB503_894 Depth=2
	v_xor_b32_e32 v19, 0x7fffffff, v5
	s_delay_alu instid0(VALU_DEP_1) | instskip(NEXT) | instid1(VALU_DEP_1)
	v_lshrrev_b32_e32 v19, s49, v19
	v_and_b32_e32 v19, s48, v19
	s_delay_alu instid0(VALU_DEP_1) | instskip(SKIP_3) | instid1(SALU_CYCLE_1)
	v_lshl_or_b32 v19, v19, 4, v62
	ds_add_u32 v19, v84
	s_wait_alu 0xfffe
	s_or_b32 exec_lo, exec_lo, s1
	s_mov_b32 s1, exec_lo
	v_cmpx_gt_u32_e64 s0, v60
	s_cbranch_execz .LBB503_930
.LBB503_945:                            ;   in Loop: Header=BB503_894 Depth=2
	v_xor_b32_e32 v19, 0x7fffffff, v4
	s_delay_alu instid0(VALU_DEP_1) | instskip(NEXT) | instid1(VALU_DEP_1)
	v_lshrrev_b32_e32 v19, s49, v19
	v_and_b32_e32 v19, s48, v19
	s_delay_alu instid0(VALU_DEP_1)
	v_lshl_or_b32 v19, v19, 4, v62
	ds_add_u32 v19, v84
	s_wait_alu 0xfffe
	s_or_b32 exec_lo, exec_lo, s1
	v_cmp_gt_u32_e32 vcc_lo, s0, v61
	s_and_saveexec_b32 s0, vcc_lo
	s_cbranch_execz .LBB503_893
.LBB503_946:                            ;   in Loop: Header=BB503_894 Depth=2
	v_xor_b32_e32 v19, 0x7fffffff, v2
	s_delay_alu instid0(VALU_DEP_1) | instskip(NEXT) | instid1(VALU_DEP_1)
	v_lshrrev_b32_e32 v19, s49, v19
	v_and_b32_e32 v19, s48, v19
	s_delay_alu instid0(VALU_DEP_1)
	v_lshl_or_b32 v19, v19, 4, v62
	ds_add_u32 v19, v84
	s_branch .LBB503_893
.LBB503_947:                            ;   in Loop: Header=BB503_894 Depth=2
	global_load_b32 v18, v108, s[0:1]
	s_or_b32 exec_lo, exec_lo, s11
	s_delay_alu instid0(SALU_CYCLE_1)
	s_mov_b32 s11, exec_lo
	v_cmpx_gt_u32_e64 s9, v45
	s_cbranch_execz .LBB503_899
.LBB503_948:                            ;   in Loop: Header=BB503_894 Depth=2
	global_load_b32 v17, v108, s[0:1] offset:1024
	s_wait_alu 0xfffe
	s_or_b32 exec_lo, exec_lo, s11
	s_delay_alu instid0(SALU_CYCLE_1)
	s_mov_b32 s11, exec_lo
	v_cmpx_gt_u32_e64 s9, v46
	s_cbranch_execz .LBB503_900
.LBB503_949:                            ;   in Loop: Header=BB503_894 Depth=2
	global_load_b32 v16, v108, s[0:1] offset:2048
	s_wait_alu 0xfffe
	s_or_b32 exec_lo, exec_lo, s11
	s_delay_alu instid0(SALU_CYCLE_1)
	s_mov_b32 s11, exec_lo
	v_cmpx_gt_u32_e64 s9, v47
	s_cbranch_execz .LBB503_901
.LBB503_950:                            ;   in Loop: Header=BB503_894 Depth=2
	global_load_b32 v15, v108, s[0:1] offset:3072
	s_wait_alu 0xfffe
	s_or_b32 exec_lo, exec_lo, s11
	s_delay_alu instid0(SALU_CYCLE_1)
	s_mov_b32 s11, exec_lo
	v_cmpx_gt_u32_e64 s9, v50
	s_cbranch_execz .LBB503_902
.LBB503_951:                            ;   in Loop: Header=BB503_894 Depth=2
	global_load_b32 v14, v108, s[0:1] offset:4096
	s_wait_alu 0xfffe
	s_or_b32 exec_lo, exec_lo, s11
	s_delay_alu instid0(SALU_CYCLE_1)
	s_mov_b32 s11, exec_lo
	v_cmpx_gt_u32_e64 s9, v51
	s_cbranch_execz .LBB503_903
.LBB503_952:                            ;   in Loop: Header=BB503_894 Depth=2
	global_load_b32 v13, v108, s[0:1] offset:5120
	s_wait_alu 0xfffe
	s_or_b32 exec_lo, exec_lo, s11
	s_delay_alu instid0(SALU_CYCLE_1)
	s_mov_b32 s11, exec_lo
	v_cmpx_gt_u32_e64 s9, v52
	s_cbranch_execz .LBB503_904
.LBB503_953:                            ;   in Loop: Header=BB503_894 Depth=2
	global_load_b32 v12, v108, s[0:1] offset:6144
	s_wait_alu 0xfffe
	s_or_b32 exec_lo, exec_lo, s11
	s_delay_alu instid0(SALU_CYCLE_1)
	s_mov_b32 s11, exec_lo
	v_cmpx_gt_u32_e64 s9, v53
	s_cbranch_execz .LBB503_905
.LBB503_954:                            ;   in Loop: Header=BB503_894 Depth=2
	global_load_b32 v11, v108, s[0:1] offset:7168
	s_wait_alu 0xfffe
	s_or_b32 exec_lo, exec_lo, s11
	s_delay_alu instid0(SALU_CYCLE_1)
	s_mov_b32 s11, exec_lo
	v_cmpx_gt_u32_e64 s9, v54
	s_cbranch_execz .LBB503_906
.LBB503_955:                            ;   in Loop: Header=BB503_894 Depth=2
	global_load_b32 v10, v108, s[0:1] offset:8192
	s_wait_alu 0xfffe
	s_or_b32 exec_lo, exec_lo, s11
	s_delay_alu instid0(SALU_CYCLE_1)
	s_mov_b32 s11, exec_lo
	v_cmpx_gt_u32_e64 s9, v55
	s_cbranch_execz .LBB503_907
.LBB503_956:                            ;   in Loop: Header=BB503_894 Depth=2
	global_load_b32 v9, v108, s[0:1] offset:9216
	s_wait_alu 0xfffe
	s_or_b32 exec_lo, exec_lo, s11
	s_delay_alu instid0(SALU_CYCLE_1)
	s_mov_b32 s11, exec_lo
	v_cmpx_gt_u32_e64 s9, v56
	s_cbranch_execz .LBB503_908
.LBB503_957:                            ;   in Loop: Header=BB503_894 Depth=2
	global_load_b32 v8, v108, s[0:1] offset:10240
	s_wait_alu 0xfffe
	s_or_b32 exec_lo, exec_lo, s11
	s_delay_alu instid0(SALU_CYCLE_1)
	s_mov_b32 s11, exec_lo
	v_cmpx_gt_u32_e64 s9, v57
	s_cbranch_execz .LBB503_909
.LBB503_958:                            ;   in Loop: Header=BB503_894 Depth=2
	global_load_b32 v7, v108, s[0:1] offset:11264
	s_wait_alu 0xfffe
	s_or_b32 exec_lo, exec_lo, s11
	s_delay_alu instid0(SALU_CYCLE_1)
	s_mov_b32 s11, exec_lo
	v_cmpx_gt_u32_e64 s9, v58
	s_cbranch_execz .LBB503_910
.LBB503_959:                            ;   in Loop: Header=BB503_894 Depth=2
	global_load_b32 v6, v108, s[0:1] offset:12288
	s_wait_alu 0xfffe
	s_or_b32 exec_lo, exec_lo, s11
	s_delay_alu instid0(SALU_CYCLE_1)
	s_mov_b32 s11, exec_lo
	v_cmpx_gt_u32_e64 s9, v59
	s_cbranch_execz .LBB503_911
.LBB503_960:                            ;   in Loop: Header=BB503_894 Depth=2
	global_load_b32 v5, v108, s[0:1] offset:13312
	s_wait_alu 0xfffe
	s_or_b32 exec_lo, exec_lo, s11
	s_delay_alu instid0(SALU_CYCLE_1)
	s_mov_b32 s11, exec_lo
	v_cmpx_gt_u32_e64 s9, v60
	s_cbranch_execz .LBB503_912
.LBB503_961:                            ;   in Loop: Header=BB503_894 Depth=2
	global_load_b32 v4, v108, s[0:1] offset:14336
	s_wait_alu 0xfffe
	s_or_b32 exec_lo, exec_lo, s11
	s_delay_alu instid0(SALU_CYCLE_1)
	s_mov_b32 s11, exec_lo
	v_cmpx_gt_u32_e64 s9, v61
	s_cbranch_execnz .LBB503_913
	s_branch .LBB503_914
.LBB503_962:                            ;   in Loop: Header=BB503_12 Depth=1
	v_mov_b32_e32 v2, 0
	s_wait_dscnt 0x0
	s_barrier_signal -1
	s_barrier_wait -1
	global_inv scope:SCOPE_SE
	s_and_saveexec_b32 s0, s2
	s_cbranch_execz .LBB503_964
; %bb.963:                              ;   in Loop: Header=BB503_12 Depth=1
	ds_load_2addr_b64 v[4:7], v64 offset1:1
	s_wait_dscnt 0x0
	v_add_nc_u32_e32 v2, v5, v4
	s_delay_alu instid0(VALU_DEP_1)
	v_add3_u32 v2, v2, v6, v7
.LBB503_964:                            ;   in Loop: Header=BB503_12 Depth=1
	s_wait_alu 0xfffe
	s_or_b32 exec_lo, exec_lo, s0
	s_delay_alu instid0(VALU_DEP_1)
	v_mov_b32_dpp v4, v2 row_shr:1 row_mask:0xf bank_mask:0xf
	v_cmp_eq_u32_e64 s0, 0, v85
	v_cmp_lt_u32_e64 s1, 1, v85
	v_cmp_lt_u32_e64 s9, 3, v85
	;; [unrolled: 1-line block ×3, first 2 shown]
	v_cmp_eq_u32_e64 s11, 0, v87
	s_wait_alu 0xf1ff
	v_cndmask_b32_e64 v4, v4, 0, s0
	s_delay_alu instid0(VALU_DEP_1) | instskip(NEXT) | instid1(VALU_DEP_1)
	v_add_nc_u32_e32 v2, v4, v2
	v_mov_b32_dpp v4, v2 row_shr:2 row_mask:0xf bank_mask:0xf
	s_delay_alu instid0(VALU_DEP_1) | instskip(NEXT) | instid1(VALU_DEP_1)
	v_cndmask_b32_e64 v4, 0, v4, s1
	v_add_nc_u32_e32 v2, v2, v4
	s_delay_alu instid0(VALU_DEP_1) | instskip(NEXT) | instid1(VALU_DEP_1)
	v_mov_b32_dpp v4, v2 row_shr:4 row_mask:0xf bank_mask:0xf
	v_cndmask_b32_e64 v4, 0, v4, s9
	s_delay_alu instid0(VALU_DEP_1) | instskip(NEXT) | instid1(VALU_DEP_1)
	v_add_nc_u32_e32 v2, v2, v4
	v_mov_b32_dpp v4, v2 row_shr:8 row_mask:0xf bank_mask:0xf
	s_delay_alu instid0(VALU_DEP_1) | instskip(NEXT) | instid1(VALU_DEP_1)
	v_cndmask_b32_e64 v4, 0, v4, s10
	v_add_nc_u32_e32 v2, v2, v4
	ds_swizzle_b32 v4, v2 offset:swizzle(BROADCAST,32,15)
	s_wait_dscnt 0x0
	v_and_b32_e32 v4, v86, v4
	s_delay_alu instid0(VALU_DEP_1)
	v_add_nc_u32_e32 v2, v2, v4
	s_and_saveexec_b32 s12, s3
; %bb.965:                              ;   in Loop: Header=BB503_12 Depth=1
	ds_store_b32 v65, v2
; %bb.966:                              ;   in Loop: Header=BB503_12 Depth=1
	s_wait_alu 0xfffe
	s_or_b32 exec_lo, exec_lo, s12
	s_wait_loadcnt_dscnt 0x0
	s_barrier_signal -1
	s_barrier_wait -1
	global_inv scope:SCOPE_SE
	s_and_saveexec_b32 s12, s4
	s_cbranch_execz .LBB503_968
; %bb.967:                              ;   in Loop: Header=BB503_12 Depth=1
	ds_load_b32 v4, v66
	v_cmp_ne_u32_e32 vcc_lo, 0, v89
	s_wait_dscnt 0x0
	v_mov_b32_dpp v5, v4 row_shr:1 row_mask:0xf bank_mask:0xf
	s_wait_alu 0xfffd
	s_delay_alu instid0(VALU_DEP_1) | instskip(SKIP_1) | instid1(VALU_DEP_2)
	v_cndmask_b32_e32 v5, 0, v5, vcc_lo
	v_cmp_lt_u32_e32 vcc_lo, 1, v89
	v_add_nc_u32_e32 v4, v5, v4
	s_delay_alu instid0(VALU_DEP_1) | instskip(SKIP_1) | instid1(VALU_DEP_1)
	v_mov_b32_dpp v5, v4 row_shr:2 row_mask:0xf bank_mask:0xf
	s_wait_alu 0xfffd
	v_cndmask_b32_e32 v5, 0, v5, vcc_lo
	v_cmp_lt_u32_e32 vcc_lo, 3, v89
	s_delay_alu instid0(VALU_DEP_2) | instskip(NEXT) | instid1(VALU_DEP_1)
	v_add_nc_u32_e32 v4, v4, v5
	v_mov_b32_dpp v5, v4 row_shr:4 row_mask:0xf bank_mask:0xf
	s_wait_alu 0xfffd
	s_delay_alu instid0(VALU_DEP_1) | instskip(NEXT) | instid1(VALU_DEP_1)
	v_cndmask_b32_e32 v5, 0, v5, vcc_lo
	v_add_nc_u32_e32 v4, v4, v5
	ds_store_b32 v66, v4
.LBB503_968:                            ;   in Loop: Header=BB503_12 Depth=1
	s_wait_alu 0xfffe
	s_or_b32 exec_lo, exec_lo, s12
	v_mov_b32_e32 v4, 0
	s_wait_loadcnt_dscnt 0x0
	s_barrier_signal -1
	s_barrier_wait -1
	global_inv scope:SCOPE_SE
	s_and_saveexec_b32 s12, s5
; %bb.969:                              ;   in Loop: Header=BB503_12 Depth=1
	ds_load_b32 v4, v68
; %bb.970:                              ;   in Loop: Header=BB503_12 Depth=1
	s_wait_alu 0xfffe
	s_or_b32 exec_lo, exec_lo, s12
	v_cmp_gt_i32_e32 vcc_lo, 0, v90
	s_wait_loadcnt_dscnt 0x0
	s_barrier_signal -1
	s_barrier_wait -1
	global_inv scope:SCOPE_SE
	s_wait_alu 0xfffd
	v_dual_cndmask_b32 v5, v90, v81 :: v_dual_add_nc_u32 v2, v4, v2
	s_delay_alu instid0(VALU_DEP_1)
	v_lshlrev_b32_e32 v113, 2, v5
	ds_bpermute_b32 v2, v113, v2
	s_and_saveexec_b32 s12, s2
	s_cbranch_execz .LBB503_972
; %bb.971:                              ;   in Loop: Header=BB503_12 Depth=1
	s_wait_dscnt 0x0
	v_cndmask_b32_e64 v2, v2, v4, s8
	s_delay_alu instid0(VALU_DEP_1)
	v_add_nc_u32_e32 v2, s33, v2
	ds_store_b32 v44, v2
.LBB503_972:                            ;   in Loop: Header=BB503_12 Depth=1
	s_wait_alu 0xfffe
	s_or_b32 exec_lo, exec_lo, s12
	s_load_b64 s[12:13], s[34:35], 0x0
	v_add_co_u32 v114, vcc_lo, v79, v91
	s_wait_alu 0xfffd
	v_add_co_ci_u32_e64 v115, null, 0, v80, vcc_lo
	v_add_co_u32 v116, vcc_lo, v82, v107
	s_wait_alu 0xfffd
	v_add_co_ci_u32_e64 v117, null, 0, v83, vcc_lo
	s_mov_b32 s54, s53
                                        ; implicit-def: $vgpr6_vgpr7
                                        ; implicit-def: $vgpr8_vgpr9
                                        ; implicit-def: $vgpr10_vgpr11
                                        ; implicit-def: $vgpr12_vgpr13
                                        ; implicit-def: $vgpr14_vgpr15
                                        ; implicit-def: $vgpr16_vgpr17
                                        ; implicit-def: $vgpr18_vgpr19
                                        ; implicit-def: $vgpr20_vgpr21
                                        ; implicit-def: $vgpr22_vgpr23
                                        ; implicit-def: $vgpr24_vgpr25
                                        ; implicit-def: $vgpr26_vgpr27
                                        ; implicit-def: $vgpr28_vgpr29
                                        ; implicit-def: $vgpr30_vgpr31
                                        ; implicit-def: $vgpr32_vgpr33
                                        ; implicit-def: $vgpr34_vgpr35
                                        ; implicit-def: $vgpr119
                                        ; implicit-def: $vgpr120
                                        ; implicit-def: $vgpr121
                                        ; implicit-def: $vgpr122
                                        ; implicit-def: $vgpr123
                                        ; implicit-def: $vgpr124
                                        ; implicit-def: $vgpr125
                                        ; implicit-def: $vgpr126
                                        ; implicit-def: $vgpr127
                                        ; implicit-def: $vgpr128
                                        ; implicit-def: $vgpr129
                                        ; implicit-def: $vgpr130
                                        ; implicit-def: $vgpr131
                                        ; implicit-def: $vgpr132
                                        ; implicit-def: $vgpr133
                                        ; implicit-def: $vgpr134
	s_wait_kmcnt 0x0
	s_cmp_lt_u32 ttmp7, s13
	s_cselect_b32 s42, 14, 20
	s_cmp_lt_u32 ttmp9, s12
	s_wait_alu 0xfffe
	s_add_nc_u64 s[14:15], s[34:35], s[42:43]
	s_cselect_b32 s42, 12, 18
	s_load_u16 s14, s[14:15], 0x0
	s_add_nc_u64 s[12:13], s[34:35], s[42:43]
	s_mov_b32 s42, s33
	s_load_u16 s12, s[12:13], 0x0
	v_cmp_lt_u32_e64 s13, 1, v89
	s_wait_dscnt 0x0
	s_wait_kmcnt 0x0
	v_mad_u32_u24 v2, v69, s14, v0
	v_cmp_lt_u32_e64 s14, 3, v89
	s_delay_alu instid0(VALU_DEP_2) | instskip(SKIP_1) | instid1(VALU_DEP_2)
	v_mad_co_u64_u32 v[4:5], null, v2, s12, v[1:2]
	v_cmp_eq_u32_e64 s12, 0, v89
	v_lshrrev_b32_e32 v2, 3, v4
                                        ; implicit-def: $vgpr4_vgpr5
	s_delay_alu instid0(VALU_DEP_1)
	v_and_b32_e32 v118, 0x1ffffffc, v2
	s_branch .LBB503_974
.LBB503_973:                            ;   in Loop: Header=BB503_974 Depth=2
	s_wait_alu 0xfffe
	s_or_b32 exec_lo, exec_lo, s15
	s_addk_co_i32 s54, 0xf000
	s_cmp_lt_u32 s55, s51
	s_mov_b32 s42, s55
	s_cbranch_scc0 .LBB503_10
.LBB503_974:                            ;   Parent Loop BB503_12 Depth=1
                                        ; =>  This Inner Loop Header: Depth=2
	s_wait_alu 0xfffe
	s_add_co_i32 s55, s42, 0x1000
	s_wait_alu 0xfffe
	s_cmp_gt_u32 s55, s51
	s_cbranch_scc1 .LBB503_976
; %bb.975:                              ;   in Loop: Header=BB503_974 Depth=2
	s_lshl_b64 s[16:17], s[42:43], 2
	s_mov_b32 s15, -1
	s_wait_alu 0xfffe
	v_add_co_u32 v36, vcc_lo, v116, s16
	s_wait_alu 0xfffd
	v_add_co_ci_u32_e64 v37, null, s17, v117, vcc_lo
	s_clause 0xe
	global_load_b32 v136, v[36:37], off
	global_load_b32 v137, v[36:37], off offset:128
	global_load_b32 v144, v[36:37], off offset:256
	;; [unrolled: 1-line block ×14, first 2 shown]
	s_movk_i32 s16, 0x1000
	s_cbranch_execz .LBB503_977
	s_branch .LBB503_1008
.LBB503_976:                            ;   in Loop: Header=BB503_974 Depth=2
	s_mov_b32 s15, 0
                                        ; implicit-def: $vgpr136
                                        ; implicit-def: $vgpr137
                                        ; implicit-def: $vgpr144
                                        ; implicit-def: $vgpr148
                                        ; implicit-def: $vgpr152
                                        ; implicit-def: $vgpr156
                                        ; implicit-def: $vgpr160
                                        ; implicit-def: $vgpr164
                                        ; implicit-def: $vgpr167
                                        ; implicit-def: $vgpr43
                                        ; implicit-def: $vgpr42
                                        ; implicit-def: $vgpr41
                                        ; implicit-def: $vgpr40
                                        ; implicit-def: $vgpr39
                                        ; implicit-def: $vgpr38
	s_movk_i32 s16, 0x1000
.LBB503_977:                            ;   in Loop: Header=BB503_974 Depth=2
	s_lshl_b64 s[16:17], s[42:43], 2
	s_wait_loadcnt 0xd
	v_bfrev_b32_e32 v137, 1
	s_wait_alu 0xfffe
	v_add_co_u32 v36, vcc_lo, v116, s16
	s_wait_alu 0xfffd
	v_add_co_ci_u32_e64 v37, null, s17, v117, vcc_lo
	v_bfrev_b32_e32 v136, 1
	s_mov_b32 s15, exec_lo
	v_cmpx_gt_u32_e64 s54, v88
	s_cbranch_execz .LBB503_979
; %bb.978:                              ;   in Loop: Header=BB503_974 Depth=2
	global_load_b32 v136, v[36:37], off
.LBB503_979:                            ;   in Loop: Header=BB503_974 Depth=2
	s_wait_alu 0xfffe
	s_or_b32 exec_lo, exec_lo, s15
	s_delay_alu instid0(SALU_CYCLE_1)
	s_mov_b32 s15, exec_lo
	v_cmpx_gt_u32_e64 s54, v92
	s_cbranch_execz .LBB503_981
; %bb.980:                              ;   in Loop: Header=BB503_974 Depth=2
	global_load_b32 v137, v[36:37], off offset:128
.LBB503_981:                            ;   in Loop: Header=BB503_974 Depth=2
	s_wait_alu 0xfffe
	s_or_b32 exec_lo, exec_lo, s15
	s_wait_loadcnt 0xb
	v_bfrev_b32_e32 v148, 1
	v_bfrev_b32_e32 v144, 1
	s_mov_b32 s15, exec_lo
	v_cmpx_gt_u32_e64 s54, v93
	s_cbranch_execz .LBB503_983
; %bb.982:                              ;   in Loop: Header=BB503_974 Depth=2
	global_load_b32 v144, v[36:37], off offset:256
.LBB503_983:                            ;   in Loop: Header=BB503_974 Depth=2
	s_wait_alu 0xfffe
	s_or_b32 exec_lo, exec_lo, s15
	s_delay_alu instid0(SALU_CYCLE_1)
	s_mov_b32 s15, exec_lo
	v_cmpx_gt_u32_e64 s54, v94
	s_cbranch_execz .LBB503_985
; %bb.984:                              ;   in Loop: Header=BB503_974 Depth=2
	global_load_b32 v148, v[36:37], off offset:384
.LBB503_985:                            ;   in Loop: Header=BB503_974 Depth=2
	s_wait_alu 0xfffe
	s_or_b32 exec_lo, exec_lo, s15
	s_wait_loadcnt 0x9
	v_bfrev_b32_e32 v156, 1
	v_bfrev_b32_e32 v152, 1
	s_mov_b32 s15, exec_lo
	v_cmpx_gt_u32_e64 s54, v95
	s_cbranch_execz .LBB503_987
; %bb.986:                              ;   in Loop: Header=BB503_974 Depth=2
	global_load_b32 v152, v[36:37], off offset:512
.LBB503_987:                            ;   in Loop: Header=BB503_974 Depth=2
	;; [unrolled: 20-line block ×5, first 2 shown]
	s_wait_alu 0xfffe
	s_or_b32 exec_lo, exec_lo, s15
	s_delay_alu instid0(SALU_CYCLE_1)
	s_mov_b32 s15, exec_lo
	v_cmpx_gt_u32_e64 s54, v102
	s_cbranch_execz .LBB503_1001
; %bb.1000:                             ;   in Loop: Header=BB503_974 Depth=2
	global_load_b32 v41, v[36:37], off offset:1408
.LBB503_1001:                           ;   in Loop: Header=BB503_974 Depth=2
	s_wait_alu 0xfffe
	s_or_b32 exec_lo, exec_lo, s15
	s_wait_loadcnt 0x1
	v_bfrev_b32_e32 v39, 1
	v_bfrev_b32_e32 v40, 1
	s_mov_b32 s15, exec_lo
	v_cmpx_gt_u32_e64 s54, v103
	s_cbranch_execz .LBB503_1003
; %bb.1002:                             ;   in Loop: Header=BB503_974 Depth=2
	global_load_b32 v40, v[36:37], off offset:1536
.LBB503_1003:                           ;   in Loop: Header=BB503_974 Depth=2
	s_wait_alu 0xfffe
	s_or_b32 exec_lo, exec_lo, s15
	s_delay_alu instid0(SALU_CYCLE_1)
	s_mov_b32 s15, exec_lo
	v_cmpx_gt_u32_e64 s54, v104
	s_cbranch_execz .LBB503_1005
; %bb.1004:                             ;   in Loop: Header=BB503_974 Depth=2
	global_load_b32 v39, v[36:37], off offset:1664
.LBB503_1005:                           ;   in Loop: Header=BB503_974 Depth=2
	s_wait_alu 0xfffe
	s_or_b32 exec_lo, exec_lo, s15
	s_wait_loadcnt 0x0
	v_bfrev_b32_e32 v38, 1
	s_mov_b32 s15, exec_lo
	v_cmpx_gt_u32_e64 s54, v105
	s_cbranch_execz .LBB503_1007
; %bb.1006:                             ;   in Loop: Header=BB503_974 Depth=2
	global_load_b32 v38, v[36:37], off offset:1792
.LBB503_1007:                           ;   in Loop: Header=BB503_974 Depth=2
	s_wait_alu 0xfffe
	s_or_b32 exec_lo, exec_lo, s15
	v_cmp_gt_u32_e64 s15, s54, v106
	s_sub_co_i32 s16, s51, s42
.LBB503_1008:                           ;   in Loop: Header=BB503_974 Depth=2
	v_dual_mov_b32 v2, -1 :: v_dual_mov_b32 v135, s54
	s_and_saveexec_b32 s17, s15
	s_cbranch_execz .LBB503_1010
; %bb.1009:                             ;   in Loop: Header=BB503_974 Depth=2
	s_lshl_b64 s[18:19], s[42:43], 2
	s_wait_alu 0xfffe
	v_mov_b32_e32 v135, s16
	v_add_co_u32 v36, vcc_lo, v116, s18
	s_wait_alu 0xfffd
	v_add_co_ci_u32_e64 v37, null, s19, v117, vcc_lo
	global_load_b32 v2, v[36:37], off offset:1920
	s_wait_loadcnt 0x0
	v_xor_b32_e32 v2, 0x7fffffff, v2
.LBB503_1010:                           ;   in Loop: Header=BB503_974 Depth=2
	s_wait_alu 0xfffe
	s_or_b32 exec_lo, exec_lo, s17
	s_wait_loadcnt 0xe
	v_xor_b32_e32 v136, 0x7fffffff, v136
	s_delay_alu instid0(VALU_DEP_1) | instskip(NEXT) | instid1(VALU_DEP_1)
	v_lshrrev_b32_e32 v36, s49, v136
	v_and_b32_e32 v37, s48, v36
	s_delay_alu instid0(VALU_DEP_1)
	v_and_b32_e32 v36, 1, v37
	v_lshlrev_b32_e32 v138, 30, v37
	v_lshlrev_b32_e32 v139, 29, v37
	;; [unrolled: 1-line block ×4, first 2 shown]
	v_add_co_u32 v36, s15, v36, -1
	s_wait_alu 0xf1ff
	v_cndmask_b32_e64 v141, 0, 1, s15
	v_not_b32_e32 v146, v138
	v_cmp_gt_i32_e64 s15, 0, v138
	v_not_b32_e32 v138, v139
	v_lshlrev_b32_e32 v143, 26, v37
	v_cmp_ne_u32_e32 vcc_lo, 0, v141
	v_ashrrev_i32_e32 v146, 31, v146
	v_lshlrev_b32_e32 v145, 25, v37
	v_ashrrev_i32_e32 v138, 31, v138
	v_lshlrev_b32_e32 v141, 24, v37
	s_wait_alu 0xfffd
	v_xor_b32_e32 v36, vcc_lo, v36
	v_cmp_gt_i32_e32 vcc_lo, 0, v139
	v_not_b32_e32 v139, v140
	s_wait_alu 0xf1ff
	v_xor_b32_e32 v146, s15, v146
	v_cmp_gt_i32_e64 s15, 0, v140
	v_and_b32_e32 v36, exec_lo, v36
	v_not_b32_e32 v140, v142
	v_ashrrev_i32_e32 v139, 31, v139
	s_wait_alu 0xfffd
	v_xor_b32_e32 v138, vcc_lo, v138
	v_cmp_gt_i32_e32 vcc_lo, 0, v142
	v_and_b32_e32 v36, v36, v146
	v_not_b32_e32 v142, v143
	v_ashrrev_i32_e32 v140, 31, v140
	s_wait_alu 0xf1ff
	v_xor_b32_e32 v139, s15, v139
	v_cmp_gt_i32_e64 s15, 0, v143
	v_and_b32_e32 v36, v36, v138
	v_not_b32_e32 v138, v145
	v_ashrrev_i32_e32 v142, 31, v142
	s_wait_alu 0xfffd
	v_xor_b32_e32 v140, vcc_lo, v140
	v_cmp_gt_i32_e32 vcc_lo, 0, v145
	v_and_b32_e32 v36, v36, v139
	v_not_b32_e32 v139, v141
	v_ashrrev_i32_e32 v138, 31, v138
	s_wait_alu 0xf1ff
	v_xor_b32_e32 v142, s15, v142
	v_cmp_gt_i32_e64 s15, 0, v141
	v_and_b32_e32 v36, v36, v140
	v_ashrrev_i32_e32 v139, 31, v139
	s_wait_alu 0xfffd
	v_xor_b32_e32 v138, vcc_lo, v138
	v_mul_u32_u24_e32 v37, 36, v37
	v_add_nc_u32_e32 v141, 0x428, v67
	v_and_b32_e32 v36, v36, v142
	s_wait_alu 0xf1ff
	v_xor_b32_e32 v140, s15, v139
	v_add_nc_u32_e32 v139, 0x438, v67
	v_add_nc_u32_e32 v142, 0x430, v67
	;; [unrolled: 1-line block ×3, first 2 shown]
	v_and_b32_e32 v36, v36, v138
	ds_store_2addr_b32 v139, v3, v3 offset1:1
	v_and_b32_e32 v36, v36, v140
	v_add_nc_u32_e32 v140, 0x420, v67
	ds_store_2addr_b32 v140, v3, v3 offset1:1
	ds_store_2addr_b32 v141, v3, v3 offset1:1
	;; [unrolled: 1-line block ×3, first 2 shown]
	ds_store_b32 v67, v3 offset:1088
	v_mbcnt_lo_u32_b32 v138, v36, 0
	v_cmp_ne_u32_e64 s15, 0, v36
	s_wait_loadcnt_dscnt 0x0
	s_barrier_signal -1
	s_barrier_wait -1
	v_cmp_eq_u32_e32 vcc_lo, 0, v138
	global_inv scope:SCOPE_SE
	; wave barrier
	s_and_b32 s16, s15, vcc_lo
	s_wait_alu 0xfffe
	s_and_saveexec_b32 s15, s16
; %bb.1011:                             ;   in Loop: Header=BB503_974 Depth=2
	v_bcnt_u32_b32 v36, v36, 0
	ds_store_b32 v143, v36 offset:1056
; %bb.1012:                             ;   in Loop: Header=BB503_974 Depth=2
	s_wait_alu 0xfffe
	s_or_b32 exec_lo, exec_lo, s15
	v_xor_b32_e32 v137, 0x7fffffff, v137
	; wave barrier
	s_delay_alu instid0(VALU_DEP_1) | instskip(NEXT) | instid1(VALU_DEP_1)
	v_lshrrev_b32_e32 v36, s49, v137
	v_and_b32_e32 v37, s48, v36
	s_delay_alu instid0(VALU_DEP_1)
	v_and_b32_e32 v36, 1, v37
	v_lshlrev_b32_e32 v145, 30, v37
	v_lshlrev_b32_e32 v146, 29, v37
	v_lshlrev_b32_e32 v147, 28, v37
	v_lshlrev_b32_e32 v150, 27, v37
	v_add_co_u32 v36, s15, v36, -1
	s_wait_alu 0xf1ff
	v_cndmask_b32_e64 v149, 0, 1, s15
	v_not_b32_e32 v154, v145
	v_cmp_gt_i32_e64 s15, 0, v145
	v_not_b32_e32 v145, v146
	v_lshlrev_b32_e32 v151, 26, v37
	v_cmp_ne_u32_e32 vcc_lo, 0, v149
	v_ashrrev_i32_e32 v154, 31, v154
	v_lshlrev_b32_e32 v153, 25, v37
	v_ashrrev_i32_e32 v145, 31, v145
	v_lshlrev_b32_e32 v149, 24, v37
	s_wait_alu 0xfffd
	v_xor_b32_e32 v36, vcc_lo, v36
	v_cmp_gt_i32_e32 vcc_lo, 0, v146
	v_not_b32_e32 v146, v147
	s_wait_alu 0xf1ff
	v_xor_b32_e32 v154, s15, v154
	v_cmp_gt_i32_e64 s15, 0, v147
	v_and_b32_e32 v36, exec_lo, v36
	v_not_b32_e32 v147, v150
	v_ashrrev_i32_e32 v146, 31, v146
	s_wait_alu 0xfffd
	v_xor_b32_e32 v145, vcc_lo, v145
	v_cmp_gt_i32_e32 vcc_lo, 0, v150
	v_and_b32_e32 v36, v36, v154
	v_not_b32_e32 v150, v151
	v_ashrrev_i32_e32 v147, 31, v147
	s_wait_alu 0xf1ff
	v_xor_b32_e32 v146, s15, v146
	v_cmp_gt_i32_e64 s15, 0, v151
	v_and_b32_e32 v36, v36, v145
	v_not_b32_e32 v145, v153
	v_ashrrev_i32_e32 v150, 31, v150
	s_wait_alu 0xfffd
	v_xor_b32_e32 v147, vcc_lo, v147
	v_cmp_gt_i32_e32 vcc_lo, 0, v153
	v_and_b32_e32 v36, v36, v146
	v_not_b32_e32 v146, v149
	v_ashrrev_i32_e32 v145, 31, v145
	s_wait_alu 0xf1ff
	v_xor_b32_e32 v150, s15, v150
	v_cmp_gt_i32_e64 s15, 0, v149
	v_and_b32_e32 v36, v36, v147
	v_ashrrev_i32_e32 v146, 31, v146
	s_wait_alu 0xfffd
	v_xor_b32_e32 v145, vcc_lo, v145
	v_mad_u32_u24 v147, v37, 36, v118
	v_mul_u32_u24_e32 v37, 36, v37
	v_and_b32_e32 v36, v36, v150
	s_wait_alu 0xf1ff
	v_xor_b32_e32 v146, s15, v146
	s_delay_alu instid0(VALU_DEP_2) | instskip(SKIP_3) | instid1(VALU_DEP_1)
	v_and_b32_e32 v36, v36, v145
	ds_load_b32 v145, v147 offset:1056
	v_add_nc_u32_e32 v147, v118, v37
	; wave barrier
	v_and_b32_e32 v36, v36, v146
	v_mbcnt_lo_u32_b32 v146, v36, 0
	v_cmp_ne_u32_e64 s15, 0, v36
	s_delay_alu instid0(VALU_DEP_2)
	v_cmp_eq_u32_e32 vcc_lo, 0, v146
	s_and_b32 s16, s15, vcc_lo
	s_wait_alu 0xfffe
	s_and_saveexec_b32 s15, s16
	s_cbranch_execz .LBB503_1014
; %bb.1013:                             ;   in Loop: Header=BB503_974 Depth=2
	s_wait_dscnt 0x0
	v_bcnt_u32_b32 v36, v36, v145
	ds_store_b32 v147, v36 offset:1056
.LBB503_1014:                           ;   in Loop: Header=BB503_974 Depth=2
	s_wait_alu 0xfffe
	s_or_b32 exec_lo, exec_lo, s15
	v_xor_b32_e32 v144, 0x7fffffff, v144
	; wave barrier
	s_delay_alu instid0(VALU_DEP_1) | instskip(NEXT) | instid1(VALU_DEP_1)
	v_lshrrev_b32_e32 v36, s49, v144
	v_and_b32_e32 v37, s48, v36
	s_delay_alu instid0(VALU_DEP_1)
	v_and_b32_e32 v36, 1, v37
	v_lshlrev_b32_e32 v149, 30, v37
	v_lshlrev_b32_e32 v150, 29, v37
	;; [unrolled: 1-line block ×4, first 2 shown]
	v_add_co_u32 v36, s15, v36, -1
	s_wait_alu 0xf1ff
	v_cndmask_b32_e64 v153, 0, 1, s15
	v_not_b32_e32 v158, v149
	v_cmp_gt_i32_e64 s15, 0, v149
	v_not_b32_e32 v149, v150
	v_lshlrev_b32_e32 v155, 26, v37
	v_cmp_ne_u32_e32 vcc_lo, 0, v153
	v_ashrrev_i32_e32 v158, 31, v158
	v_lshlrev_b32_e32 v157, 25, v37
	v_ashrrev_i32_e32 v149, 31, v149
	v_lshlrev_b32_e32 v153, 24, v37
	s_wait_alu 0xfffd
	v_xor_b32_e32 v36, vcc_lo, v36
	v_cmp_gt_i32_e32 vcc_lo, 0, v150
	v_not_b32_e32 v150, v151
	s_wait_alu 0xf1ff
	v_xor_b32_e32 v158, s15, v158
	v_cmp_gt_i32_e64 s15, 0, v151
	v_and_b32_e32 v36, exec_lo, v36
	v_not_b32_e32 v151, v154
	v_ashrrev_i32_e32 v150, 31, v150
	s_wait_alu 0xfffd
	v_xor_b32_e32 v149, vcc_lo, v149
	v_cmp_gt_i32_e32 vcc_lo, 0, v154
	v_and_b32_e32 v36, v36, v158
	v_not_b32_e32 v154, v155
	v_ashrrev_i32_e32 v151, 31, v151
	s_wait_alu 0xf1ff
	v_xor_b32_e32 v150, s15, v150
	v_cmp_gt_i32_e64 s15, 0, v155
	v_and_b32_e32 v36, v36, v149
	v_not_b32_e32 v149, v157
	v_ashrrev_i32_e32 v154, 31, v154
	s_wait_alu 0xfffd
	v_xor_b32_e32 v151, vcc_lo, v151
	v_cmp_gt_i32_e32 vcc_lo, 0, v157
	v_and_b32_e32 v36, v36, v150
	v_not_b32_e32 v150, v153
	v_ashrrev_i32_e32 v149, 31, v149
	s_wait_alu 0xf1ff
	v_xor_b32_e32 v154, s15, v154
	v_cmp_gt_i32_e64 s15, 0, v153
	v_and_b32_e32 v36, v36, v151
	v_ashrrev_i32_e32 v150, 31, v150
	s_wait_alu 0xfffd
	v_xor_b32_e32 v149, vcc_lo, v149
	v_mad_u32_u24 v151, v37, 36, v118
	v_mul_u32_u24_e32 v37, 36, v37
	v_and_b32_e32 v36, v36, v154
	s_wait_alu 0xf1ff
	v_xor_b32_e32 v150, s15, v150
	s_delay_alu instid0(VALU_DEP_2) | instskip(SKIP_3) | instid1(VALU_DEP_1)
	v_and_b32_e32 v36, v36, v149
	ds_load_b32 v149, v151 offset:1056
	v_add_nc_u32_e32 v151, v118, v37
	; wave barrier
	v_and_b32_e32 v36, v36, v150
	v_mbcnt_lo_u32_b32 v150, v36, 0
	v_cmp_ne_u32_e64 s15, 0, v36
	s_delay_alu instid0(VALU_DEP_2)
	v_cmp_eq_u32_e32 vcc_lo, 0, v150
	s_and_b32 s16, s15, vcc_lo
	s_wait_alu 0xfffe
	s_and_saveexec_b32 s15, s16
	s_cbranch_execz .LBB503_1016
; %bb.1015:                             ;   in Loop: Header=BB503_974 Depth=2
	s_wait_dscnt 0x0
	v_bcnt_u32_b32 v36, v36, v149
	ds_store_b32 v151, v36 offset:1056
.LBB503_1016:                           ;   in Loop: Header=BB503_974 Depth=2
	s_wait_alu 0xfffe
	s_or_b32 exec_lo, exec_lo, s15
	v_xor_b32_e32 v148, 0x7fffffff, v148
	; wave barrier
	s_delay_alu instid0(VALU_DEP_1) | instskip(NEXT) | instid1(VALU_DEP_1)
	v_lshrrev_b32_e32 v36, s49, v148
	v_and_b32_e32 v37, s48, v36
	s_delay_alu instid0(VALU_DEP_1)
	v_and_b32_e32 v36, 1, v37
	v_lshlrev_b32_e32 v153, 30, v37
	v_lshlrev_b32_e32 v154, 29, v37
	;; [unrolled: 1-line block ×4, first 2 shown]
	v_add_co_u32 v36, s15, v36, -1
	s_wait_alu 0xf1ff
	v_cndmask_b32_e64 v157, 0, 1, s15
	v_not_b32_e32 v162, v153
	v_cmp_gt_i32_e64 s15, 0, v153
	v_not_b32_e32 v153, v154
	v_lshlrev_b32_e32 v159, 26, v37
	v_cmp_ne_u32_e32 vcc_lo, 0, v157
	v_ashrrev_i32_e32 v162, 31, v162
	v_lshlrev_b32_e32 v161, 25, v37
	v_ashrrev_i32_e32 v153, 31, v153
	v_lshlrev_b32_e32 v157, 24, v37
	s_wait_alu 0xfffd
	v_xor_b32_e32 v36, vcc_lo, v36
	v_cmp_gt_i32_e32 vcc_lo, 0, v154
	v_not_b32_e32 v154, v155
	s_wait_alu 0xf1ff
	v_xor_b32_e32 v162, s15, v162
	v_cmp_gt_i32_e64 s15, 0, v155
	v_and_b32_e32 v36, exec_lo, v36
	v_not_b32_e32 v155, v158
	v_ashrrev_i32_e32 v154, 31, v154
	s_wait_alu 0xfffd
	v_xor_b32_e32 v153, vcc_lo, v153
	v_cmp_gt_i32_e32 vcc_lo, 0, v158
	v_and_b32_e32 v36, v36, v162
	v_not_b32_e32 v158, v159
	v_ashrrev_i32_e32 v155, 31, v155
	s_wait_alu 0xf1ff
	v_xor_b32_e32 v154, s15, v154
	v_cmp_gt_i32_e64 s15, 0, v159
	v_and_b32_e32 v36, v36, v153
	v_not_b32_e32 v153, v161
	v_ashrrev_i32_e32 v158, 31, v158
	s_wait_alu 0xfffd
	v_xor_b32_e32 v155, vcc_lo, v155
	v_cmp_gt_i32_e32 vcc_lo, 0, v161
	v_and_b32_e32 v36, v36, v154
	v_not_b32_e32 v154, v157
	v_ashrrev_i32_e32 v153, 31, v153
	s_wait_alu 0xf1ff
	v_xor_b32_e32 v158, s15, v158
	v_cmp_gt_i32_e64 s15, 0, v157
	v_and_b32_e32 v36, v36, v155
	v_ashrrev_i32_e32 v154, 31, v154
	s_wait_alu 0xfffd
	v_xor_b32_e32 v153, vcc_lo, v153
	v_mad_u32_u24 v155, v37, 36, v118
	v_mul_u32_u24_e32 v37, 36, v37
	v_and_b32_e32 v36, v36, v158
	s_wait_alu 0xf1ff
	v_xor_b32_e32 v154, s15, v154
	s_delay_alu instid0(VALU_DEP_2) | instskip(SKIP_3) | instid1(VALU_DEP_1)
	v_and_b32_e32 v36, v36, v153
	ds_load_b32 v153, v155 offset:1056
	v_add_nc_u32_e32 v155, v118, v37
	; wave barrier
	v_and_b32_e32 v36, v36, v154
	v_mbcnt_lo_u32_b32 v154, v36, 0
	v_cmp_ne_u32_e64 s15, 0, v36
	s_delay_alu instid0(VALU_DEP_2)
	v_cmp_eq_u32_e32 vcc_lo, 0, v154
	s_and_b32 s16, s15, vcc_lo
	s_wait_alu 0xfffe
	s_and_saveexec_b32 s15, s16
	s_cbranch_execz .LBB503_1018
; %bb.1017:                             ;   in Loop: Header=BB503_974 Depth=2
	s_wait_dscnt 0x0
	v_bcnt_u32_b32 v36, v36, v153
	ds_store_b32 v155, v36 offset:1056
.LBB503_1018:                           ;   in Loop: Header=BB503_974 Depth=2
	s_wait_alu 0xfffe
	s_or_b32 exec_lo, exec_lo, s15
	v_xor_b32_e32 v152, 0x7fffffff, v152
	; wave barrier
	s_delay_alu instid0(VALU_DEP_1) | instskip(NEXT) | instid1(VALU_DEP_1)
	v_lshrrev_b32_e32 v36, s49, v152
	v_and_b32_e32 v37, s48, v36
	s_delay_alu instid0(VALU_DEP_1)
	v_and_b32_e32 v36, 1, v37
	v_lshlrev_b32_e32 v157, 30, v37
	v_lshlrev_b32_e32 v158, 29, v37
	;; [unrolled: 1-line block ×4, first 2 shown]
	v_add_co_u32 v36, s15, v36, -1
	s_wait_alu 0xf1ff
	v_cndmask_b32_e64 v161, 0, 1, s15
	v_not_b32_e32 v166, v157
	v_cmp_gt_i32_e64 s15, 0, v157
	v_not_b32_e32 v157, v158
	v_lshlrev_b32_e32 v163, 26, v37
	v_cmp_ne_u32_e32 vcc_lo, 0, v161
	v_ashrrev_i32_e32 v166, 31, v166
	v_lshlrev_b32_e32 v165, 25, v37
	v_ashrrev_i32_e32 v157, 31, v157
	v_lshlrev_b32_e32 v161, 24, v37
	s_wait_alu 0xfffd
	v_xor_b32_e32 v36, vcc_lo, v36
	v_cmp_gt_i32_e32 vcc_lo, 0, v158
	v_not_b32_e32 v158, v159
	s_wait_alu 0xf1ff
	v_xor_b32_e32 v166, s15, v166
	v_cmp_gt_i32_e64 s15, 0, v159
	v_and_b32_e32 v36, exec_lo, v36
	v_not_b32_e32 v159, v162
	v_ashrrev_i32_e32 v158, 31, v158
	s_wait_alu 0xfffd
	v_xor_b32_e32 v157, vcc_lo, v157
	v_cmp_gt_i32_e32 vcc_lo, 0, v162
	v_and_b32_e32 v36, v36, v166
	v_not_b32_e32 v162, v163
	v_ashrrev_i32_e32 v159, 31, v159
	s_wait_alu 0xf1ff
	v_xor_b32_e32 v158, s15, v158
	v_cmp_gt_i32_e64 s15, 0, v163
	v_and_b32_e32 v36, v36, v157
	v_not_b32_e32 v157, v165
	v_ashrrev_i32_e32 v162, 31, v162
	s_wait_alu 0xfffd
	v_xor_b32_e32 v159, vcc_lo, v159
	v_cmp_gt_i32_e32 vcc_lo, 0, v165
	v_and_b32_e32 v36, v36, v158
	v_not_b32_e32 v158, v161
	v_ashrrev_i32_e32 v157, 31, v157
	s_wait_alu 0xf1ff
	v_xor_b32_e32 v162, s15, v162
	v_cmp_gt_i32_e64 s15, 0, v161
	v_and_b32_e32 v36, v36, v159
	v_ashrrev_i32_e32 v158, 31, v158
	s_wait_alu 0xfffd
	v_xor_b32_e32 v157, vcc_lo, v157
	v_mad_u32_u24 v159, v37, 36, v118
	v_mul_u32_u24_e32 v37, 36, v37
	v_and_b32_e32 v36, v36, v162
	s_wait_alu 0xf1ff
	v_xor_b32_e32 v158, s15, v158
	s_delay_alu instid0(VALU_DEP_2) | instskip(SKIP_3) | instid1(VALU_DEP_1)
	v_and_b32_e32 v36, v36, v157
	ds_load_b32 v157, v159 offset:1056
	v_add_nc_u32_e32 v159, v118, v37
	; wave barrier
	v_and_b32_e32 v36, v36, v158
	v_mbcnt_lo_u32_b32 v158, v36, 0
	v_cmp_ne_u32_e64 s15, 0, v36
	s_delay_alu instid0(VALU_DEP_2)
	v_cmp_eq_u32_e32 vcc_lo, 0, v158
	s_and_b32 s16, s15, vcc_lo
	s_wait_alu 0xfffe
	s_and_saveexec_b32 s15, s16
	s_cbranch_execz .LBB503_1020
; %bb.1019:                             ;   in Loop: Header=BB503_974 Depth=2
	s_wait_dscnt 0x0
	v_bcnt_u32_b32 v36, v36, v157
	ds_store_b32 v159, v36 offset:1056
.LBB503_1020:                           ;   in Loop: Header=BB503_974 Depth=2
	s_wait_alu 0xfffe
	s_or_b32 exec_lo, exec_lo, s15
	v_xor_b32_e32 v156, 0x7fffffff, v156
	; wave barrier
	s_delay_alu instid0(VALU_DEP_1) | instskip(NEXT) | instid1(VALU_DEP_1)
	v_lshrrev_b32_e32 v36, s49, v156
	v_and_b32_e32 v37, s48, v36
	s_delay_alu instid0(VALU_DEP_1)
	v_and_b32_e32 v36, 1, v37
	v_lshlrev_b32_e32 v161, 30, v37
	v_lshlrev_b32_e32 v162, 29, v37
	;; [unrolled: 1-line block ×4, first 2 shown]
	v_add_co_u32 v36, s15, v36, -1
	s_wait_alu 0xf1ff
	v_cndmask_b32_e64 v165, 0, 1, s15
	v_not_b32_e32 v170, v161
	v_cmp_gt_i32_e64 s15, 0, v161
	v_not_b32_e32 v161, v162
	v_lshlrev_b32_e32 v168, 26, v37
	v_cmp_ne_u32_e32 vcc_lo, 0, v165
	v_ashrrev_i32_e32 v170, 31, v170
	v_lshlrev_b32_e32 v169, 25, v37
	v_ashrrev_i32_e32 v161, 31, v161
	v_lshlrev_b32_e32 v165, 24, v37
	s_wait_alu 0xfffd
	v_xor_b32_e32 v36, vcc_lo, v36
	v_cmp_gt_i32_e32 vcc_lo, 0, v162
	v_not_b32_e32 v162, v163
	s_wait_alu 0xf1ff
	v_xor_b32_e32 v170, s15, v170
	v_cmp_gt_i32_e64 s15, 0, v163
	v_and_b32_e32 v36, exec_lo, v36
	v_not_b32_e32 v163, v166
	v_ashrrev_i32_e32 v162, 31, v162
	s_wait_alu 0xfffd
	v_xor_b32_e32 v161, vcc_lo, v161
	v_cmp_gt_i32_e32 vcc_lo, 0, v166
	v_and_b32_e32 v36, v36, v170
	v_not_b32_e32 v166, v168
	v_ashrrev_i32_e32 v163, 31, v163
	s_wait_alu 0xf1ff
	v_xor_b32_e32 v162, s15, v162
	v_cmp_gt_i32_e64 s15, 0, v168
	v_and_b32_e32 v36, v36, v161
	v_not_b32_e32 v161, v169
	v_ashrrev_i32_e32 v166, 31, v166
	s_wait_alu 0xfffd
	v_xor_b32_e32 v163, vcc_lo, v163
	v_cmp_gt_i32_e32 vcc_lo, 0, v169
	v_and_b32_e32 v36, v36, v162
	v_not_b32_e32 v162, v165
	v_ashrrev_i32_e32 v161, 31, v161
	s_wait_alu 0xf1ff
	v_xor_b32_e32 v166, s15, v166
	v_cmp_gt_i32_e64 s15, 0, v165
	v_and_b32_e32 v36, v36, v163
	v_ashrrev_i32_e32 v162, 31, v162
	s_wait_alu 0xfffd
	v_xor_b32_e32 v161, vcc_lo, v161
	v_mad_u32_u24 v163, v37, 36, v118
	v_mul_u32_u24_e32 v37, 36, v37
	v_and_b32_e32 v36, v36, v166
	s_wait_alu 0xf1ff
	v_xor_b32_e32 v162, s15, v162
	s_delay_alu instid0(VALU_DEP_2) | instskip(SKIP_3) | instid1(VALU_DEP_1)
	v_and_b32_e32 v36, v36, v161
	ds_load_b32 v161, v163 offset:1056
	v_add_nc_u32_e32 v163, v118, v37
	; wave barrier
	v_and_b32_e32 v36, v36, v162
	v_mbcnt_lo_u32_b32 v162, v36, 0
	v_cmp_ne_u32_e64 s15, 0, v36
	s_delay_alu instid0(VALU_DEP_2)
	v_cmp_eq_u32_e32 vcc_lo, 0, v162
	s_and_b32 s16, s15, vcc_lo
	s_wait_alu 0xfffe
	s_and_saveexec_b32 s15, s16
	s_cbranch_execz .LBB503_1022
; %bb.1021:                             ;   in Loop: Header=BB503_974 Depth=2
	s_wait_dscnt 0x0
	v_bcnt_u32_b32 v36, v36, v161
	ds_store_b32 v163, v36 offset:1056
.LBB503_1022:                           ;   in Loop: Header=BB503_974 Depth=2
	s_wait_alu 0xfffe
	s_or_b32 exec_lo, exec_lo, s15
	v_xor_b32_e32 v160, 0x7fffffff, v160
	; wave barrier
	s_delay_alu instid0(VALU_DEP_1) | instskip(NEXT) | instid1(VALU_DEP_1)
	v_lshrrev_b32_e32 v36, s49, v160
	v_and_b32_e32 v37, s48, v36
	s_delay_alu instid0(VALU_DEP_1)
	v_and_b32_e32 v36, 1, v37
	v_lshlrev_b32_e32 v165, 30, v37
	v_lshlrev_b32_e32 v166, 29, v37
	;; [unrolled: 1-line block ×4, first 2 shown]
	v_add_co_u32 v36, s15, v36, -1
	s_wait_alu 0xf1ff
	v_cndmask_b32_e64 v169, 0, 1, s15
	v_not_b32_e32 v173, v165
	v_cmp_gt_i32_e64 s15, 0, v165
	v_not_b32_e32 v165, v166
	v_lshlrev_b32_e32 v171, 26, v37
	v_cmp_ne_u32_e32 vcc_lo, 0, v169
	v_ashrrev_i32_e32 v173, 31, v173
	v_lshlrev_b32_e32 v172, 25, v37
	v_ashrrev_i32_e32 v165, 31, v165
	v_lshlrev_b32_e32 v169, 24, v37
	s_wait_alu 0xfffd
	v_xor_b32_e32 v36, vcc_lo, v36
	v_cmp_gt_i32_e32 vcc_lo, 0, v166
	v_not_b32_e32 v166, v168
	s_wait_alu 0xf1ff
	v_xor_b32_e32 v173, s15, v173
	v_cmp_gt_i32_e64 s15, 0, v168
	v_and_b32_e32 v36, exec_lo, v36
	v_not_b32_e32 v168, v170
	v_ashrrev_i32_e32 v166, 31, v166
	s_wait_alu 0xfffd
	v_xor_b32_e32 v165, vcc_lo, v165
	v_cmp_gt_i32_e32 vcc_lo, 0, v170
	v_and_b32_e32 v36, v36, v173
	v_not_b32_e32 v170, v171
	v_ashrrev_i32_e32 v168, 31, v168
	s_wait_alu 0xf1ff
	v_xor_b32_e32 v166, s15, v166
	v_cmp_gt_i32_e64 s15, 0, v171
	v_and_b32_e32 v36, v36, v165
	v_not_b32_e32 v165, v172
	v_ashrrev_i32_e32 v170, 31, v170
	s_wait_alu 0xfffd
	v_xor_b32_e32 v168, vcc_lo, v168
	v_cmp_gt_i32_e32 vcc_lo, 0, v172
	v_and_b32_e32 v36, v36, v166
	v_not_b32_e32 v166, v169
	v_ashrrev_i32_e32 v165, 31, v165
	s_wait_alu 0xf1ff
	v_xor_b32_e32 v170, s15, v170
	v_cmp_gt_i32_e64 s15, 0, v169
	v_and_b32_e32 v36, v36, v168
	v_ashrrev_i32_e32 v166, 31, v166
	s_wait_alu 0xfffd
	v_xor_b32_e32 v165, vcc_lo, v165
	v_mad_u32_u24 v168, v37, 36, v118
	v_mul_u32_u24_e32 v37, 36, v37
	v_and_b32_e32 v36, v36, v170
	s_wait_alu 0xf1ff
	v_xor_b32_e32 v166, s15, v166
	s_delay_alu instid0(VALU_DEP_2) | instskip(SKIP_3) | instid1(VALU_DEP_1)
	v_and_b32_e32 v36, v36, v165
	ds_load_b32 v165, v168 offset:1056
	v_add_nc_u32_e32 v168, v118, v37
	; wave barrier
	v_and_b32_e32 v36, v36, v166
	v_mbcnt_lo_u32_b32 v166, v36, 0
	v_cmp_ne_u32_e64 s15, 0, v36
	s_delay_alu instid0(VALU_DEP_2)
	v_cmp_eq_u32_e32 vcc_lo, 0, v166
	s_and_b32 s16, s15, vcc_lo
	s_wait_alu 0xfffe
	s_and_saveexec_b32 s15, s16
	s_cbranch_execz .LBB503_1024
; %bb.1023:                             ;   in Loop: Header=BB503_974 Depth=2
	s_wait_dscnt 0x0
	v_bcnt_u32_b32 v36, v36, v165
	ds_store_b32 v168, v36 offset:1056
.LBB503_1024:                           ;   in Loop: Header=BB503_974 Depth=2
	s_wait_alu 0xfffe
	s_or_b32 exec_lo, exec_lo, s15
	v_xor_b32_e32 v164, 0x7fffffff, v164
	; wave barrier
	s_delay_alu instid0(VALU_DEP_1) | instskip(NEXT) | instid1(VALU_DEP_1)
	v_lshrrev_b32_e32 v36, s49, v164
	v_and_b32_e32 v37, s48, v36
	s_delay_alu instid0(VALU_DEP_1)
	v_and_b32_e32 v36, 1, v37
	v_lshlrev_b32_e32 v169, 30, v37
	v_lshlrev_b32_e32 v170, 29, v37
	;; [unrolled: 1-line block ×4, first 2 shown]
	v_add_co_u32 v36, s15, v36, -1
	s_wait_alu 0xf1ff
	v_cndmask_b32_e64 v172, 0, 1, s15
	v_not_b32_e32 v176, v169
	v_cmp_gt_i32_e64 s15, 0, v169
	v_not_b32_e32 v169, v170
	v_lshlrev_b32_e32 v174, 26, v37
	v_cmp_ne_u32_e32 vcc_lo, 0, v172
	v_ashrrev_i32_e32 v176, 31, v176
	v_lshlrev_b32_e32 v175, 25, v37
	v_ashrrev_i32_e32 v169, 31, v169
	v_lshlrev_b32_e32 v172, 24, v37
	s_wait_alu 0xfffd
	v_xor_b32_e32 v36, vcc_lo, v36
	v_cmp_gt_i32_e32 vcc_lo, 0, v170
	v_not_b32_e32 v170, v171
	s_wait_alu 0xf1ff
	v_xor_b32_e32 v176, s15, v176
	v_cmp_gt_i32_e64 s15, 0, v171
	v_and_b32_e32 v36, exec_lo, v36
	v_not_b32_e32 v171, v173
	v_ashrrev_i32_e32 v170, 31, v170
	s_wait_alu 0xfffd
	v_xor_b32_e32 v169, vcc_lo, v169
	v_cmp_gt_i32_e32 vcc_lo, 0, v173
	v_and_b32_e32 v36, v36, v176
	v_not_b32_e32 v173, v174
	v_ashrrev_i32_e32 v171, 31, v171
	s_wait_alu 0xf1ff
	v_xor_b32_e32 v170, s15, v170
	v_cmp_gt_i32_e64 s15, 0, v174
	v_and_b32_e32 v36, v36, v169
	v_not_b32_e32 v169, v175
	v_ashrrev_i32_e32 v173, 31, v173
	s_wait_alu 0xfffd
	v_xor_b32_e32 v171, vcc_lo, v171
	v_cmp_gt_i32_e32 vcc_lo, 0, v175
	v_and_b32_e32 v36, v36, v170
	v_not_b32_e32 v170, v172
	v_ashrrev_i32_e32 v169, 31, v169
	s_wait_alu 0xf1ff
	v_xor_b32_e32 v173, s15, v173
	v_cmp_gt_i32_e64 s15, 0, v172
	v_and_b32_e32 v36, v36, v171
	v_ashrrev_i32_e32 v170, 31, v170
	s_wait_alu 0xfffd
	v_xor_b32_e32 v169, vcc_lo, v169
	v_mad_u32_u24 v171, v37, 36, v118
	v_mul_u32_u24_e32 v37, 36, v37
	v_and_b32_e32 v36, v36, v173
	s_wait_alu 0xf1ff
	v_xor_b32_e32 v170, s15, v170
	s_delay_alu instid0(VALU_DEP_2) | instskip(SKIP_3) | instid1(VALU_DEP_1)
	v_and_b32_e32 v36, v36, v169
	ds_load_b32 v169, v171 offset:1056
	v_add_nc_u32_e32 v171, v118, v37
	; wave barrier
	v_and_b32_e32 v36, v36, v170
	v_mbcnt_lo_u32_b32 v170, v36, 0
	v_cmp_ne_u32_e64 s15, 0, v36
	s_delay_alu instid0(VALU_DEP_2)
	v_cmp_eq_u32_e32 vcc_lo, 0, v170
	s_and_b32 s16, s15, vcc_lo
	s_wait_alu 0xfffe
	s_and_saveexec_b32 s15, s16
	s_cbranch_execz .LBB503_1026
; %bb.1025:                             ;   in Loop: Header=BB503_974 Depth=2
	s_wait_dscnt 0x0
	v_bcnt_u32_b32 v36, v36, v169
	ds_store_b32 v171, v36 offset:1056
.LBB503_1026:                           ;   in Loop: Header=BB503_974 Depth=2
	s_wait_alu 0xfffe
	s_or_b32 exec_lo, exec_lo, s15
	v_xor_b32_e32 v167, 0x7fffffff, v167
	; wave barrier
	s_delay_alu instid0(VALU_DEP_1) | instskip(NEXT) | instid1(VALU_DEP_1)
	v_lshrrev_b32_e32 v36, s49, v167
	v_and_b32_e32 v37, s48, v36
	s_delay_alu instid0(VALU_DEP_1)
	v_and_b32_e32 v36, 1, v37
	v_lshlrev_b32_e32 v172, 30, v37
	v_lshlrev_b32_e32 v173, 29, v37
	;; [unrolled: 1-line block ×4, first 2 shown]
	v_add_co_u32 v36, s15, v36, -1
	s_wait_alu 0xf1ff
	v_cndmask_b32_e64 v175, 0, 1, s15
	v_not_b32_e32 v179, v172
	v_cmp_gt_i32_e64 s15, 0, v172
	v_not_b32_e32 v172, v173
	v_lshlrev_b32_e32 v177, 26, v37
	v_cmp_ne_u32_e32 vcc_lo, 0, v175
	v_ashrrev_i32_e32 v179, 31, v179
	v_lshlrev_b32_e32 v178, 25, v37
	v_ashrrev_i32_e32 v172, 31, v172
	v_lshlrev_b32_e32 v175, 24, v37
	s_wait_alu 0xfffd
	v_xor_b32_e32 v36, vcc_lo, v36
	v_cmp_gt_i32_e32 vcc_lo, 0, v173
	v_not_b32_e32 v173, v174
	s_wait_alu 0xf1ff
	v_xor_b32_e32 v179, s15, v179
	v_cmp_gt_i32_e64 s15, 0, v174
	v_and_b32_e32 v36, exec_lo, v36
	v_not_b32_e32 v174, v176
	v_ashrrev_i32_e32 v173, 31, v173
	s_wait_alu 0xfffd
	v_xor_b32_e32 v172, vcc_lo, v172
	v_cmp_gt_i32_e32 vcc_lo, 0, v176
	v_and_b32_e32 v36, v36, v179
	v_not_b32_e32 v176, v177
	v_ashrrev_i32_e32 v174, 31, v174
	s_wait_alu 0xf1ff
	v_xor_b32_e32 v173, s15, v173
	v_cmp_gt_i32_e64 s15, 0, v177
	v_and_b32_e32 v36, v36, v172
	v_not_b32_e32 v172, v178
	v_ashrrev_i32_e32 v176, 31, v176
	s_wait_alu 0xfffd
	v_xor_b32_e32 v174, vcc_lo, v174
	v_cmp_gt_i32_e32 vcc_lo, 0, v178
	v_and_b32_e32 v36, v36, v173
	v_not_b32_e32 v173, v175
	v_ashrrev_i32_e32 v172, 31, v172
	s_wait_alu 0xf1ff
	v_xor_b32_e32 v176, s15, v176
	v_cmp_gt_i32_e64 s15, 0, v175
	v_and_b32_e32 v36, v36, v174
	v_ashrrev_i32_e32 v173, 31, v173
	s_wait_alu 0xfffd
	v_xor_b32_e32 v172, vcc_lo, v172
	v_mad_u32_u24 v174, v37, 36, v118
	v_mul_u32_u24_e32 v37, 36, v37
	v_and_b32_e32 v36, v36, v176
	s_wait_alu 0xf1ff
	v_xor_b32_e32 v175, s15, v173
	ds_load_b32 v173, v174 offset:1056
	v_and_b32_e32 v36, v36, v172
	; wave barrier
	s_delay_alu instid0(VALU_DEP_1) | instskip(SKIP_1) | instid1(VALU_DEP_2)
	v_and_b32_e32 v36, v36, v175
	v_add_nc_u32_e32 v175, v118, v37
	v_mbcnt_lo_u32_b32 v174, v36, 0
	v_cmp_ne_u32_e64 s15, 0, v36
	s_delay_alu instid0(VALU_DEP_2)
	v_cmp_eq_u32_e32 vcc_lo, 0, v174
	s_and_b32 s16, s15, vcc_lo
	s_wait_alu 0xfffe
	s_and_saveexec_b32 s15, s16
	s_cbranch_execz .LBB503_1028
; %bb.1027:                             ;   in Loop: Header=BB503_974 Depth=2
	s_wait_dscnt 0x0
	v_bcnt_u32_b32 v36, v36, v173
	ds_store_b32 v175, v36 offset:1056
.LBB503_1028:                           ;   in Loop: Header=BB503_974 Depth=2
	s_wait_alu 0xfffe
	s_or_b32 exec_lo, exec_lo, s15
	v_xor_b32_e32 v172, 0x7fffffff, v43
	; wave barrier
	s_delay_alu instid0(VALU_DEP_1) | instskip(NEXT) | instid1(VALU_DEP_1)
	v_lshrrev_b32_e32 v36, s49, v172
	v_and_b32_e32 v37, s48, v36
	s_delay_alu instid0(VALU_DEP_1)
	v_and_b32_e32 v36, 1, v37
	v_lshlrev_b32_e32 v43, 30, v37
	v_lshlrev_b32_e32 v176, 29, v37
	;; [unrolled: 1-line block ×4, first 2 shown]
	v_add_co_u32 v36, s15, v36, -1
	s_wait_alu 0xf1ff
	v_cndmask_b32_e64 v178, 0, 1, s15
	v_not_b32_e32 v182, v43
	v_cmp_gt_i32_e64 s15, 0, v43
	v_not_b32_e32 v43, v176
	v_lshlrev_b32_e32 v180, 26, v37
	v_cmp_ne_u32_e32 vcc_lo, 0, v178
	v_ashrrev_i32_e32 v182, 31, v182
	v_lshlrev_b32_e32 v181, 25, v37
	v_ashrrev_i32_e32 v43, 31, v43
	v_lshlrev_b32_e32 v178, 24, v37
	s_wait_alu 0xfffd
	v_xor_b32_e32 v36, vcc_lo, v36
	v_cmp_gt_i32_e32 vcc_lo, 0, v176
	v_not_b32_e32 v176, v177
	s_wait_alu 0xf1ff
	v_xor_b32_e32 v182, s15, v182
	v_cmp_gt_i32_e64 s15, 0, v177
	v_and_b32_e32 v36, exec_lo, v36
	v_not_b32_e32 v177, v179
	v_ashrrev_i32_e32 v176, 31, v176
	s_wait_alu 0xfffd
	v_xor_b32_e32 v43, vcc_lo, v43
	v_cmp_gt_i32_e32 vcc_lo, 0, v179
	v_and_b32_e32 v36, v36, v182
	v_not_b32_e32 v179, v180
	v_ashrrev_i32_e32 v177, 31, v177
	s_wait_alu 0xf1ff
	v_xor_b32_e32 v176, s15, v176
	v_cmp_gt_i32_e64 s15, 0, v180
	v_and_b32_e32 v36, v36, v43
	v_not_b32_e32 v43, v181
	v_ashrrev_i32_e32 v179, 31, v179
	s_wait_alu 0xfffd
	v_xor_b32_e32 v177, vcc_lo, v177
	v_cmp_gt_i32_e32 vcc_lo, 0, v181
	v_and_b32_e32 v36, v36, v176
	v_not_b32_e32 v176, v178
	v_ashrrev_i32_e32 v43, 31, v43
	s_wait_alu 0xf1ff
	v_xor_b32_e32 v179, s15, v179
	v_cmp_gt_i32_e64 s15, 0, v178
	v_and_b32_e32 v36, v36, v177
	v_ashrrev_i32_e32 v176, 31, v176
	s_wait_alu 0xfffd
	v_xor_b32_e32 v43, vcc_lo, v43
	v_mad_u32_u24 v177, v37, 36, v118
	v_mul_u32_u24_e32 v37, 36, v37
	v_and_b32_e32 v36, v36, v179
	s_wait_alu 0xf1ff
	v_xor_b32_e32 v176, s15, v176
	ds_load_b32 v177, v177 offset:1056
	v_add_nc_u32_e32 v179, v118, v37
	v_and_b32_e32 v36, v36, v43
	; wave barrier
	s_delay_alu instid0(VALU_DEP_1) | instskip(NEXT) | instid1(VALU_DEP_1)
	v_and_b32_e32 v36, v36, v176
	v_mbcnt_lo_u32_b32 v178, v36, 0
	v_cmp_ne_u32_e64 s15, 0, v36
	s_delay_alu instid0(VALU_DEP_2)
	v_cmp_eq_u32_e32 vcc_lo, 0, v178
	s_and_b32 s16, s15, vcc_lo
	s_wait_alu 0xfffe
	s_and_saveexec_b32 s15, s16
	s_cbranch_execz .LBB503_1030
; %bb.1029:                             ;   in Loop: Header=BB503_974 Depth=2
	s_wait_dscnt 0x0
	v_bcnt_u32_b32 v36, v36, v177
	ds_store_b32 v179, v36 offset:1056
.LBB503_1030:                           ;   in Loop: Header=BB503_974 Depth=2
	s_wait_alu 0xfffe
	s_or_b32 exec_lo, exec_lo, s15
	v_xor_b32_e32 v176, 0x7fffffff, v42
	; wave barrier
	s_delay_alu instid0(VALU_DEP_1) | instskip(NEXT) | instid1(VALU_DEP_1)
	v_lshrrev_b32_e32 v36, s49, v176
	v_and_b32_e32 v37, s48, v36
	s_delay_alu instid0(VALU_DEP_1)
	v_and_b32_e32 v36, 1, v37
	v_lshlrev_b32_e32 v42, 30, v37
	v_lshlrev_b32_e32 v43, 29, v37
	;; [unrolled: 1-line block ×4, first 2 shown]
	v_add_co_u32 v36, s15, v36, -1
	s_wait_alu 0xf1ff
	v_cndmask_b32_e64 v181, 0, 1, s15
	v_not_b32_e32 v185, v42
	v_cmp_gt_i32_e64 s15, 0, v42
	v_not_b32_e32 v42, v43
	v_lshlrev_b32_e32 v183, 26, v37
	v_cmp_ne_u32_e32 vcc_lo, 0, v181
	v_ashrrev_i32_e32 v185, 31, v185
	v_lshlrev_b32_e32 v184, 25, v37
	v_ashrrev_i32_e32 v42, 31, v42
	v_lshlrev_b32_e32 v181, 24, v37
	s_wait_alu 0xfffd
	v_xor_b32_e32 v36, vcc_lo, v36
	v_cmp_gt_i32_e32 vcc_lo, 0, v43
	v_not_b32_e32 v43, v180
	s_wait_alu 0xf1ff
	v_xor_b32_e32 v185, s15, v185
	v_cmp_gt_i32_e64 s15, 0, v180
	v_and_b32_e32 v36, exec_lo, v36
	v_not_b32_e32 v180, v182
	v_ashrrev_i32_e32 v43, 31, v43
	s_wait_alu 0xfffd
	v_xor_b32_e32 v42, vcc_lo, v42
	v_cmp_gt_i32_e32 vcc_lo, 0, v182
	v_and_b32_e32 v36, v36, v185
	v_not_b32_e32 v182, v183
	v_ashrrev_i32_e32 v180, 31, v180
	s_wait_alu 0xf1ff
	v_xor_b32_e32 v43, s15, v43
	v_cmp_gt_i32_e64 s15, 0, v183
	v_and_b32_e32 v36, v36, v42
	v_not_b32_e32 v42, v184
	v_ashrrev_i32_e32 v182, 31, v182
	s_wait_alu 0xfffd
	v_xor_b32_e32 v180, vcc_lo, v180
	v_cmp_gt_i32_e32 vcc_lo, 0, v184
	v_and_b32_e32 v36, v36, v43
	v_not_b32_e32 v43, v181
	v_ashrrev_i32_e32 v42, 31, v42
	s_wait_alu 0xf1ff
	v_xor_b32_e32 v182, s15, v182
	v_cmp_gt_i32_e64 s15, 0, v181
	v_and_b32_e32 v36, v36, v180
	v_ashrrev_i32_e32 v43, 31, v43
	s_wait_alu 0xfffd
	v_xor_b32_e32 v42, vcc_lo, v42
	v_mad_u32_u24 v180, v37, 36, v118
	v_mul_u32_u24_e32 v37, 36, v37
	v_and_b32_e32 v36, v36, v182
	s_wait_alu 0xf1ff
	v_xor_b32_e32 v43, s15, v43
	ds_load_b32 v181, v180 offset:1056
	v_add_nc_u32_e32 v183, v118, v37
	v_and_b32_e32 v36, v36, v42
	; wave barrier
	s_delay_alu instid0(VALU_DEP_1) | instskip(NEXT) | instid1(VALU_DEP_1)
	v_and_b32_e32 v36, v36, v43
	v_mbcnt_lo_u32_b32 v182, v36, 0
	v_cmp_ne_u32_e64 s15, 0, v36
	s_delay_alu instid0(VALU_DEP_2)
	v_cmp_eq_u32_e32 vcc_lo, 0, v182
	s_and_b32 s16, s15, vcc_lo
	s_wait_alu 0xfffe
	s_and_saveexec_b32 s15, s16
	s_cbranch_execz .LBB503_1032
; %bb.1031:                             ;   in Loop: Header=BB503_974 Depth=2
	s_wait_dscnt 0x0
	v_bcnt_u32_b32 v36, v36, v181
	ds_store_b32 v183, v36 offset:1056
.LBB503_1032:                           ;   in Loop: Header=BB503_974 Depth=2
	s_wait_alu 0xfffe
	s_or_b32 exec_lo, exec_lo, s15
	v_xor_b32_e32 v180, 0x7fffffff, v41
	; wave barrier
	s_delay_alu instid0(VALU_DEP_1) | instskip(NEXT) | instid1(VALU_DEP_1)
	v_lshrrev_b32_e32 v36, s49, v180
	v_and_b32_e32 v37, s48, v36
	s_delay_alu instid0(VALU_DEP_1)
	v_and_b32_e32 v36, 1, v37
	v_lshlrev_b32_e32 v41, 30, v37
	v_lshlrev_b32_e32 v42, 29, v37
	;; [unrolled: 1-line block ×4, first 2 shown]
	v_add_co_u32 v36, s15, v36, -1
	s_wait_alu 0xf1ff
	v_cndmask_b32_e64 v184, 0, 1, s15
	v_not_b32_e32 v188, v41
	v_cmp_gt_i32_e64 s15, 0, v41
	v_not_b32_e32 v41, v42
	v_lshlrev_b32_e32 v186, 26, v37
	v_cmp_ne_u32_e32 vcc_lo, 0, v184
	v_ashrrev_i32_e32 v188, 31, v188
	v_lshlrev_b32_e32 v187, 25, v37
	v_ashrrev_i32_e32 v41, 31, v41
	v_lshlrev_b32_e32 v184, 24, v37
	s_wait_alu 0xfffd
	v_xor_b32_e32 v36, vcc_lo, v36
	v_cmp_gt_i32_e32 vcc_lo, 0, v42
	v_not_b32_e32 v42, v43
	s_wait_alu 0xf1ff
	v_xor_b32_e32 v188, s15, v188
	v_cmp_gt_i32_e64 s15, 0, v43
	v_and_b32_e32 v36, exec_lo, v36
	v_not_b32_e32 v43, v185
	v_ashrrev_i32_e32 v42, 31, v42
	s_wait_alu 0xfffd
	v_xor_b32_e32 v41, vcc_lo, v41
	v_cmp_gt_i32_e32 vcc_lo, 0, v185
	v_and_b32_e32 v36, v36, v188
	v_not_b32_e32 v185, v186
	v_ashrrev_i32_e32 v43, 31, v43
	s_wait_alu 0xf1ff
	v_xor_b32_e32 v42, s15, v42
	v_cmp_gt_i32_e64 s15, 0, v186
	v_and_b32_e32 v36, v36, v41
	v_not_b32_e32 v41, v187
	v_ashrrev_i32_e32 v185, 31, v185
	s_wait_alu 0xfffd
	v_xor_b32_e32 v43, vcc_lo, v43
	v_cmp_gt_i32_e32 vcc_lo, 0, v187
	v_and_b32_e32 v36, v36, v42
	v_not_b32_e32 v42, v184
	v_ashrrev_i32_e32 v41, 31, v41
	s_wait_alu 0xf1ff
	v_xor_b32_e32 v185, s15, v185
	v_cmp_gt_i32_e64 s15, 0, v184
	v_and_b32_e32 v36, v36, v43
	v_ashrrev_i32_e32 v42, 31, v42
	s_wait_alu 0xfffd
	v_xor_b32_e32 v41, vcc_lo, v41
	v_mad_u32_u24 v43, v37, 36, v118
	v_mul_u32_u24_e32 v37, 36, v37
	v_and_b32_e32 v36, v36, v185
	s_wait_alu 0xf1ff
	v_xor_b32_e32 v42, s15, v42
	ds_load_b32 v185, v43 offset:1056
	v_add_nc_u32_e32 v187, v118, v37
	v_and_b32_e32 v36, v36, v41
	; wave barrier
	s_delay_alu instid0(VALU_DEP_1) | instskip(NEXT) | instid1(VALU_DEP_1)
	v_and_b32_e32 v36, v36, v42
	v_mbcnt_lo_u32_b32 v186, v36, 0
	v_cmp_ne_u32_e64 s15, 0, v36
	s_delay_alu instid0(VALU_DEP_2)
	v_cmp_eq_u32_e32 vcc_lo, 0, v186
	s_and_b32 s16, s15, vcc_lo
	s_wait_alu 0xfffe
	s_and_saveexec_b32 s15, s16
	s_cbranch_execz .LBB503_1034
; %bb.1033:                             ;   in Loop: Header=BB503_974 Depth=2
	s_wait_dscnt 0x0
	v_bcnt_u32_b32 v36, v36, v185
	ds_store_b32 v187, v36 offset:1056
.LBB503_1034:                           ;   in Loop: Header=BB503_974 Depth=2
	s_wait_alu 0xfffe
	s_or_b32 exec_lo, exec_lo, s15
	v_xor_b32_e32 v184, 0x7fffffff, v40
	; wave barrier
	s_delay_alu instid0(VALU_DEP_1) | instskip(NEXT) | instid1(VALU_DEP_1)
	v_lshrrev_b32_e32 v36, s49, v184
	v_and_b32_e32 v37, s48, v36
	s_delay_alu instid0(VALU_DEP_1)
	v_and_b32_e32 v36, 1, v37
	v_lshlrev_b32_e32 v40, 30, v37
	v_lshlrev_b32_e32 v41, 29, v37
	v_lshlrev_b32_e32 v42, 28, v37
	v_lshlrev_b32_e32 v188, 27, v37
	v_add_co_u32 v36, s15, v36, -1
	s_wait_alu 0xf1ff
	v_cndmask_b32_e64 v43, 0, 1, s15
	v_not_b32_e32 v191, v40
	v_cmp_gt_i32_e64 s15, 0, v40
	v_not_b32_e32 v40, v41
	v_lshlrev_b32_e32 v189, 26, v37
	v_cmp_ne_u32_e32 vcc_lo, 0, v43
	v_ashrrev_i32_e32 v191, 31, v191
	v_lshlrev_b32_e32 v190, 25, v37
	v_ashrrev_i32_e32 v40, 31, v40
	v_lshlrev_b32_e32 v43, 24, v37
	s_wait_alu 0xfffd
	v_xor_b32_e32 v36, vcc_lo, v36
	v_cmp_gt_i32_e32 vcc_lo, 0, v41
	v_not_b32_e32 v41, v42
	s_wait_alu 0xf1ff
	v_xor_b32_e32 v191, s15, v191
	v_cmp_gt_i32_e64 s15, 0, v42
	v_and_b32_e32 v36, exec_lo, v36
	v_not_b32_e32 v42, v188
	v_ashrrev_i32_e32 v41, 31, v41
	s_wait_alu 0xfffd
	v_xor_b32_e32 v40, vcc_lo, v40
	v_cmp_gt_i32_e32 vcc_lo, 0, v188
	v_and_b32_e32 v36, v36, v191
	v_not_b32_e32 v188, v189
	v_ashrrev_i32_e32 v42, 31, v42
	s_wait_alu 0xf1ff
	v_xor_b32_e32 v41, s15, v41
	v_cmp_gt_i32_e64 s15, 0, v189
	v_and_b32_e32 v36, v36, v40
	v_not_b32_e32 v40, v190
	v_ashrrev_i32_e32 v188, 31, v188
	s_wait_alu 0xfffd
	v_xor_b32_e32 v42, vcc_lo, v42
	v_cmp_gt_i32_e32 vcc_lo, 0, v190
	v_and_b32_e32 v36, v36, v41
	v_not_b32_e32 v41, v43
	v_ashrrev_i32_e32 v40, 31, v40
	s_wait_alu 0xf1ff
	v_xor_b32_e32 v188, s15, v188
	v_cmp_gt_i32_e64 s15, 0, v43
	v_and_b32_e32 v36, v36, v42
	v_ashrrev_i32_e32 v41, 31, v41
	s_wait_alu 0xfffd
	v_xor_b32_e32 v40, vcc_lo, v40
	v_mad_u32_u24 v42, v37, 36, v118
	v_mul_u32_u24_e32 v37, 36, v37
	v_and_b32_e32 v36, v36, v188
	s_wait_alu 0xf1ff
	v_xor_b32_e32 v41, s15, v41
	ds_load_b32 v189, v42 offset:1056
	v_add_nc_u32_e32 v191, v118, v37
	v_and_b32_e32 v36, v36, v40
	; wave barrier
	s_delay_alu instid0(VALU_DEP_1) | instskip(NEXT) | instid1(VALU_DEP_1)
	v_and_b32_e32 v36, v36, v41
	v_mbcnt_lo_u32_b32 v190, v36, 0
	v_cmp_ne_u32_e64 s15, 0, v36
	s_delay_alu instid0(VALU_DEP_2)
	v_cmp_eq_u32_e32 vcc_lo, 0, v190
	s_and_b32 s16, s15, vcc_lo
	s_wait_alu 0xfffe
	s_and_saveexec_b32 s15, s16
	s_cbranch_execz .LBB503_1036
; %bb.1035:                             ;   in Loop: Header=BB503_974 Depth=2
	s_wait_dscnt 0x0
	v_bcnt_u32_b32 v36, v36, v189
	ds_store_b32 v191, v36 offset:1056
.LBB503_1036:                           ;   in Loop: Header=BB503_974 Depth=2
	s_wait_alu 0xfffe
	s_or_b32 exec_lo, exec_lo, s15
	v_xor_b32_e32 v188, 0x7fffffff, v39
	; wave barrier
	s_delay_alu instid0(VALU_DEP_1) | instskip(NEXT) | instid1(VALU_DEP_1)
	v_lshrrev_b32_e32 v36, s49, v188
	v_and_b32_e32 v37, s48, v36
	s_delay_alu instid0(VALU_DEP_1)
	v_and_b32_e32 v36, 1, v37
	v_lshlrev_b32_e32 v39, 30, v37
	v_lshlrev_b32_e32 v40, 29, v37
	;; [unrolled: 1-line block ×4, first 2 shown]
	v_add_co_u32 v36, s15, v36, -1
	s_wait_alu 0xf1ff
	v_cndmask_b32_e64 v42, 0, 1, s15
	v_not_b32_e32 v194, v39
	v_cmp_gt_i32_e64 s15, 0, v39
	v_not_b32_e32 v39, v40
	v_lshlrev_b32_e32 v192, 26, v37
	v_cmp_ne_u32_e32 vcc_lo, 0, v42
	v_ashrrev_i32_e32 v194, 31, v194
	v_lshlrev_b32_e32 v193, 25, v37
	v_ashrrev_i32_e32 v39, 31, v39
	v_lshlrev_b32_e32 v42, 24, v37
	s_wait_alu 0xfffd
	v_xor_b32_e32 v36, vcc_lo, v36
	v_cmp_gt_i32_e32 vcc_lo, 0, v40
	v_not_b32_e32 v40, v41
	s_wait_alu 0xf1ff
	v_xor_b32_e32 v194, s15, v194
	v_cmp_gt_i32_e64 s15, 0, v41
	v_and_b32_e32 v36, exec_lo, v36
	v_not_b32_e32 v41, v43
	v_ashrrev_i32_e32 v40, 31, v40
	s_wait_alu 0xfffd
	v_xor_b32_e32 v39, vcc_lo, v39
	v_cmp_gt_i32_e32 vcc_lo, 0, v43
	v_and_b32_e32 v36, v36, v194
	v_not_b32_e32 v43, v192
	v_ashrrev_i32_e32 v41, 31, v41
	s_wait_alu 0xf1ff
	v_xor_b32_e32 v40, s15, v40
	v_cmp_gt_i32_e64 s15, 0, v192
	v_and_b32_e32 v36, v36, v39
	v_not_b32_e32 v39, v193
	v_ashrrev_i32_e32 v43, 31, v43
	s_wait_alu 0xfffd
	v_xor_b32_e32 v41, vcc_lo, v41
	v_cmp_gt_i32_e32 vcc_lo, 0, v193
	v_and_b32_e32 v36, v36, v40
	v_not_b32_e32 v40, v42
	v_ashrrev_i32_e32 v39, 31, v39
	s_wait_alu 0xf1ff
	v_xor_b32_e32 v43, s15, v43
	v_cmp_gt_i32_e64 s15, 0, v42
	v_and_b32_e32 v36, v36, v41
	v_ashrrev_i32_e32 v40, 31, v40
	s_wait_alu 0xfffd
	v_xor_b32_e32 v39, vcc_lo, v39
	v_mad_u32_u24 v41, v37, 36, v118
	v_mul_u32_u24_e32 v37, 36, v37
	v_and_b32_e32 v36, v36, v43
	s_wait_alu 0xf1ff
	v_xor_b32_e32 v40, s15, v40
	ds_load_b32 v193, v41 offset:1056
	v_add_nc_u32_e32 v195, v118, v37
	v_and_b32_e32 v36, v36, v39
	; wave barrier
	s_delay_alu instid0(VALU_DEP_1) | instskip(NEXT) | instid1(VALU_DEP_1)
	v_and_b32_e32 v36, v36, v40
	v_mbcnt_lo_u32_b32 v194, v36, 0
	v_cmp_ne_u32_e64 s15, 0, v36
	s_delay_alu instid0(VALU_DEP_2)
	v_cmp_eq_u32_e32 vcc_lo, 0, v194
	s_and_b32 s16, s15, vcc_lo
	s_wait_alu 0xfffe
	s_and_saveexec_b32 s15, s16
	s_cbranch_execz .LBB503_1038
; %bb.1037:                             ;   in Loop: Header=BB503_974 Depth=2
	s_wait_dscnt 0x0
	v_bcnt_u32_b32 v36, v36, v193
	ds_store_b32 v195, v36 offset:1056
.LBB503_1038:                           ;   in Loop: Header=BB503_974 Depth=2
	s_wait_alu 0xfffe
	s_or_b32 exec_lo, exec_lo, s15
	v_xor_b32_e32 v192, 0x7fffffff, v38
	; wave barrier
	s_delay_alu instid0(VALU_DEP_1) | instskip(NEXT) | instid1(VALU_DEP_1)
	v_lshrrev_b32_e32 v36, s49, v192
	v_and_b32_e32 v37, s48, v36
	s_delay_alu instid0(VALU_DEP_1)
	v_and_b32_e32 v36, 1, v37
	v_lshlrev_b32_e32 v38, 30, v37
	v_lshlrev_b32_e32 v39, 29, v37
	;; [unrolled: 1-line block ×4, first 2 shown]
	v_add_co_u32 v36, s15, v36, -1
	s_wait_alu 0xf1ff
	v_cndmask_b32_e64 v41, 0, 1, s15
	v_not_b32_e32 v197, v38
	v_cmp_gt_i32_e64 s15, 0, v38
	v_not_b32_e32 v38, v39
	v_lshlrev_b32_e32 v43, 26, v37
	v_cmp_ne_u32_e32 vcc_lo, 0, v41
	v_ashrrev_i32_e32 v197, 31, v197
	v_lshlrev_b32_e32 v196, 25, v37
	v_ashrrev_i32_e32 v38, 31, v38
	v_lshlrev_b32_e32 v41, 24, v37
	s_wait_alu 0xfffd
	v_xor_b32_e32 v36, vcc_lo, v36
	v_cmp_gt_i32_e32 vcc_lo, 0, v39
	v_not_b32_e32 v39, v40
	s_wait_alu 0xf1ff
	v_xor_b32_e32 v197, s15, v197
	v_cmp_gt_i32_e64 s15, 0, v40
	v_and_b32_e32 v36, exec_lo, v36
	v_not_b32_e32 v40, v42
	v_ashrrev_i32_e32 v39, 31, v39
	s_wait_alu 0xfffd
	v_xor_b32_e32 v38, vcc_lo, v38
	v_cmp_gt_i32_e32 vcc_lo, 0, v42
	v_and_b32_e32 v36, v36, v197
	v_not_b32_e32 v42, v43
	v_ashrrev_i32_e32 v40, 31, v40
	s_wait_alu 0xf1ff
	v_xor_b32_e32 v39, s15, v39
	v_cmp_gt_i32_e64 s15, 0, v43
	v_and_b32_e32 v36, v36, v38
	v_not_b32_e32 v38, v196
	v_ashrrev_i32_e32 v42, 31, v42
	s_wait_alu 0xfffd
	v_xor_b32_e32 v40, vcc_lo, v40
	v_cmp_gt_i32_e32 vcc_lo, 0, v196
	v_and_b32_e32 v36, v36, v39
	v_not_b32_e32 v39, v41
	v_ashrrev_i32_e32 v38, 31, v38
	s_wait_alu 0xf1ff
	v_xor_b32_e32 v42, s15, v42
	v_cmp_gt_i32_e64 s15, 0, v41
	v_and_b32_e32 v36, v36, v40
	v_ashrrev_i32_e32 v39, 31, v39
	s_wait_alu 0xfffd
	v_xor_b32_e32 v38, vcc_lo, v38
	v_mad_u32_u24 v40, v37, 36, v118
	v_mul_u32_u24_e32 v37, 36, v37
	v_and_b32_e32 v36, v36, v42
	s_wait_alu 0xf1ff
	v_xor_b32_e32 v39, s15, v39
	ds_load_b32 v196, v40 offset:1056
	v_add_nc_u32_e32 v198, v118, v37
	v_and_b32_e32 v36, v36, v38
	; wave barrier
	s_delay_alu instid0(VALU_DEP_1) | instskip(NEXT) | instid1(VALU_DEP_1)
	v_and_b32_e32 v36, v36, v39
	v_mbcnt_lo_u32_b32 v197, v36, 0
	v_cmp_ne_u32_e64 s15, 0, v36
	s_delay_alu instid0(VALU_DEP_2)
	v_cmp_eq_u32_e32 vcc_lo, 0, v197
	s_and_b32 s16, s15, vcc_lo
	s_wait_alu 0xfffe
	s_and_saveexec_b32 s15, s16
	s_cbranch_execz .LBB503_1040
; %bb.1039:                             ;   in Loop: Header=BB503_974 Depth=2
	s_wait_dscnt 0x0
	v_bcnt_u32_b32 v36, v36, v196
	ds_store_b32 v198, v36 offset:1056
.LBB503_1040:                           ;   in Loop: Header=BB503_974 Depth=2
	s_wait_alu 0xfffe
	s_or_b32 exec_lo, exec_lo, s15
	v_lshrrev_b32_e32 v36, s49, v2
	; wave barrier
	s_delay_alu instid0(VALU_DEP_1) | instskip(NEXT) | instid1(VALU_DEP_1)
	v_and_b32_e32 v37, s48, v36
	v_and_b32_e32 v36, 1, v37
	v_lshlrev_b32_e32 v38, 30, v37
	v_lshlrev_b32_e32 v39, 29, v37
	;; [unrolled: 1-line block ×4, first 2 shown]
	v_add_co_u32 v36, s15, v36, -1
	s_wait_alu 0xf1ff
	v_cndmask_b32_e64 v41, 0, 1, s15
	v_not_b32_e32 v200, v38
	v_cmp_gt_i32_e64 s15, 0, v38
	v_not_b32_e32 v38, v39
	v_lshlrev_b32_e32 v43, 26, v37
	v_cmp_ne_u32_e32 vcc_lo, 0, v41
	v_ashrrev_i32_e32 v200, 31, v200
	v_lshlrev_b32_e32 v199, 25, v37
	v_ashrrev_i32_e32 v38, 31, v38
	v_lshlrev_b32_e32 v41, 24, v37
	s_wait_alu 0xfffd
	v_xor_b32_e32 v36, vcc_lo, v36
	v_cmp_gt_i32_e32 vcc_lo, 0, v39
	v_not_b32_e32 v39, v40
	s_wait_alu 0xf1ff
	v_xor_b32_e32 v200, s15, v200
	v_cmp_gt_i32_e64 s15, 0, v40
	v_and_b32_e32 v36, exec_lo, v36
	v_not_b32_e32 v40, v42
	v_ashrrev_i32_e32 v39, 31, v39
	s_wait_alu 0xfffd
	v_xor_b32_e32 v38, vcc_lo, v38
	v_cmp_gt_i32_e32 vcc_lo, 0, v42
	v_and_b32_e32 v36, v36, v200
	v_not_b32_e32 v42, v43
	v_ashrrev_i32_e32 v40, 31, v40
	s_wait_alu 0xf1ff
	v_xor_b32_e32 v39, s15, v39
	v_cmp_gt_i32_e64 s15, 0, v43
	v_and_b32_e32 v36, v36, v38
	v_not_b32_e32 v38, v199
	v_ashrrev_i32_e32 v42, 31, v42
	s_wait_alu 0xfffd
	v_xor_b32_e32 v40, vcc_lo, v40
	v_cmp_gt_i32_e32 vcc_lo, 0, v199
	v_and_b32_e32 v36, v36, v39
	v_not_b32_e32 v39, v41
	v_ashrrev_i32_e32 v38, 31, v38
	s_wait_alu 0xf1ff
	v_xor_b32_e32 v42, s15, v42
	v_cmp_gt_i32_e64 s15, 0, v41
	v_and_b32_e32 v36, v36, v40
	v_ashrrev_i32_e32 v39, 31, v39
	s_wait_alu 0xfffd
	v_xor_b32_e32 v38, vcc_lo, v38
	v_mad_u32_u24 v40, v37, 36, v118
	v_mul_u32_u24_e32 v37, 36, v37
	v_and_b32_e32 v36, v36, v42
	s_wait_alu 0xf1ff
	v_xor_b32_e32 v39, s15, v39
	ds_load_b32 v199, v40 offset:1056
	v_add_nc_u32_e32 v201, v118, v37
	v_and_b32_e32 v36, v36, v38
	; wave barrier
	s_delay_alu instid0(VALU_DEP_1) | instskip(NEXT) | instid1(VALU_DEP_1)
	v_and_b32_e32 v36, v36, v39
	v_mbcnt_lo_u32_b32 v200, v36, 0
	v_cmp_ne_u32_e64 s15, 0, v36
	s_delay_alu instid0(VALU_DEP_2)
	v_cmp_eq_u32_e32 vcc_lo, 0, v200
	s_and_b32 s16, s15, vcc_lo
	s_wait_alu 0xfffe
	s_and_saveexec_b32 s15, s16
	s_cbranch_execz .LBB503_1042
; %bb.1041:                             ;   in Loop: Header=BB503_974 Depth=2
	s_wait_dscnt 0x0
	v_bcnt_u32_b32 v36, v36, v199
	ds_store_b32 v201, v36 offset:1056
.LBB503_1042:                           ;   in Loop: Header=BB503_974 Depth=2
	s_wait_alu 0xfffe
	s_or_b32 exec_lo, exec_lo, s15
	; wave barrier
	s_wait_loadcnt_dscnt 0x0
	s_barrier_signal -1
	s_barrier_wait -1
	global_inv scope:SCOPE_SE
	ds_load_2addr_b32 v[42:43], v140 offset1:1
	ds_load_2addr_b32 v[40:41], v141 offset1:1
	;; [unrolled: 1-line block ×4, first 2 shown]
	ds_load_b32 v202, v67 offset:1088
	s_wait_dscnt 0x3
	v_add3_u32 v203, v43, v42, v40
	s_wait_dscnt 0x2
	s_delay_alu instid0(VALU_DEP_1) | instskip(SKIP_1) | instid1(VALU_DEP_1)
	v_add3_u32 v203, v203, v41, v38
	s_wait_dscnt 0x1
	v_add3_u32 v203, v203, v39, v36
	s_wait_dscnt 0x0
	s_delay_alu instid0(VALU_DEP_1) | instskip(NEXT) | instid1(VALU_DEP_1)
	v_add3_u32 v202, v203, v37, v202
	v_mov_b32_dpp v203, v202 row_shr:1 row_mask:0xf bank_mask:0xf
	s_delay_alu instid0(VALU_DEP_1) | instskip(NEXT) | instid1(VALU_DEP_1)
	v_cndmask_b32_e64 v203, v203, 0, s0
	v_add_nc_u32_e32 v202, v203, v202
	s_delay_alu instid0(VALU_DEP_1) | instskip(NEXT) | instid1(VALU_DEP_1)
	v_mov_b32_dpp v203, v202 row_shr:2 row_mask:0xf bank_mask:0xf
	v_cndmask_b32_e64 v203, 0, v203, s1
	s_delay_alu instid0(VALU_DEP_1) | instskip(NEXT) | instid1(VALU_DEP_1)
	v_add_nc_u32_e32 v202, v202, v203
	v_mov_b32_dpp v203, v202 row_shr:4 row_mask:0xf bank_mask:0xf
	s_delay_alu instid0(VALU_DEP_1) | instskip(NEXT) | instid1(VALU_DEP_1)
	v_cndmask_b32_e64 v203, 0, v203, s9
	v_add_nc_u32_e32 v202, v202, v203
	s_delay_alu instid0(VALU_DEP_1) | instskip(NEXT) | instid1(VALU_DEP_1)
	v_mov_b32_dpp v203, v202 row_shr:8 row_mask:0xf bank_mask:0xf
	v_cndmask_b32_e64 v203, 0, v203, s10
	s_delay_alu instid0(VALU_DEP_1) | instskip(SKIP_3) | instid1(VALU_DEP_1)
	v_add_nc_u32_e32 v202, v202, v203
	ds_swizzle_b32 v203, v202 offset:swizzle(BROADCAST,32,15)
	s_wait_dscnt 0x0
	v_cndmask_b32_e64 v203, v203, 0, s11
	v_add_nc_u32_e32 v202, v202, v203
	s_and_saveexec_b32 s15, s3
; %bb.1043:                             ;   in Loop: Header=BB503_974 Depth=2
	ds_store_b32 v63, v202 offset:1024
; %bb.1044:                             ;   in Loop: Header=BB503_974 Depth=2
	s_wait_alu 0xfffe
	s_or_b32 exec_lo, exec_lo, s15
	s_wait_loadcnt_dscnt 0x0
	s_barrier_signal -1
	s_barrier_wait -1
	global_inv scope:SCOPE_SE
	s_and_saveexec_b32 s15, s4
	s_cbranch_execz .LBB503_1046
; %bb.1045:                             ;   in Loop: Header=BB503_974 Depth=2
	ds_load_b32 v203, v70 offset:1024
	s_wait_dscnt 0x0
	v_mov_b32_dpp v204, v203 row_shr:1 row_mask:0xf bank_mask:0xf
	s_delay_alu instid0(VALU_DEP_1) | instskip(NEXT) | instid1(VALU_DEP_1)
	v_cndmask_b32_e64 v204, v204, 0, s12
	v_add_nc_u32_e32 v203, v204, v203
	s_delay_alu instid0(VALU_DEP_1) | instskip(NEXT) | instid1(VALU_DEP_1)
	v_mov_b32_dpp v204, v203 row_shr:2 row_mask:0xf bank_mask:0xf
	v_cndmask_b32_e64 v204, 0, v204, s13
	s_delay_alu instid0(VALU_DEP_1) | instskip(NEXT) | instid1(VALU_DEP_1)
	v_add_nc_u32_e32 v203, v203, v204
	v_mov_b32_dpp v204, v203 row_shr:4 row_mask:0xf bank_mask:0xf
	s_delay_alu instid0(VALU_DEP_1) | instskip(NEXT) | instid1(VALU_DEP_1)
	v_cndmask_b32_e64 v204, 0, v204, s14
	v_add_nc_u32_e32 v203, v203, v204
	ds_store_b32 v70, v203 offset:1024
.LBB503_1046:                           ;   in Loop: Header=BB503_974 Depth=2
	s_wait_alu 0xfffe
	s_or_b32 exec_lo, exec_lo, s15
	v_mov_b32_e32 v203, 0
	s_wait_loadcnt_dscnt 0x0
	s_barrier_signal -1
	s_barrier_wait -1
	global_inv scope:SCOPE_SE
	s_and_saveexec_b32 s15, s5
; %bb.1047:                             ;   in Loop: Header=BB503_974 Depth=2
	ds_load_b32 v203, v63 offset:1020
; %bb.1048:                             ;   in Loop: Header=BB503_974 Depth=2
	s_wait_alu 0xfffe
	s_or_b32 exec_lo, exec_lo, s15
	s_wait_dscnt 0x0
	v_add_nc_u32_e32 v202, v203, v202
	ds_bpermute_b32 v202, v113, v202
	s_wait_dscnt 0x0
	v_cndmask_b32_e64 v202, v202, v203, s8
	s_delay_alu instid0(VALU_DEP_1) | instskip(NEXT) | instid1(VALU_DEP_1)
	v_cndmask_b32_e64 v202, v202, 0, s6
	v_add_nc_u32_e32 v42, v202, v42
	s_delay_alu instid0(VALU_DEP_1) | instskip(NEXT) | instid1(VALU_DEP_1)
	v_add_nc_u32_e32 v43, v42, v43
	v_add_nc_u32_e32 v40, v43, v40
	s_delay_alu instid0(VALU_DEP_1) | instskip(NEXT) | instid1(VALU_DEP_1)
	v_add_nc_u32_e32 v41, v40, v41
	;; [unrolled: 3-line block ×3, first 2 shown]
	v_add_nc_u32_e32 v36, v39, v36
	s_delay_alu instid0(VALU_DEP_1)
	v_add_nc_u32_e32 v37, v36, v37
	ds_store_2addr_b32 v139, v39, v36 offset1:1
	ds_store_2addr_b32 v140, v202, v42 offset1:1
	;; [unrolled: 1-line block ×4, first 2 shown]
	ds_store_b32 v67, v37 offset:1088
	s_wait_loadcnt_dscnt 0x0
	s_barrier_signal -1
	s_barrier_wait -1
	global_inv scope:SCOPE_SE
	ds_load_b32 v39, v143 offset:1056
	ds_load_b32 v41, v147 offset:1056
	;; [unrolled: 1-line block ×17, first 2 shown]
	v_mov_b32_e32 v38, 0x1000
	s_and_saveexec_b32 s15, s7
; %bb.1049:                             ;   in Loop: Header=BB503_974 Depth=2
	ds_load_b32 v38, v67 offset:1092
; %bb.1050:                             ;   in Loop: Header=BB503_974 Depth=2
	s_wait_alu 0xfffe
	s_or_b32 exec_lo, exec_lo, s15
	s_wait_loadcnt_dscnt 0x0
	s_barrier_signal -1
	s_barrier_wait -1
	global_inv scope:SCOPE_SE
	s_and_saveexec_b32 s15, s2
	s_cbranch_execz .LBB503_1052
; %bb.1051:                             ;   in Loop: Header=BB503_974 Depth=2
	ds_load_b32 v143, v44
	s_wait_dscnt 0x0
	v_sub_nc_u32_e32 v142, v143, v142
	ds_store_b32 v44, v142
.LBB503_1052:                           ;   in Loop: Header=BB503_974 Depth=2
	s_wait_alu 0xfffe
	s_or_b32 exec_lo, exec_lo, s15
	v_add_nc_u32_e32 v155, v39, v138
	v_add3_u32 v151, v146, v145, v41
	v_add3_u32 v147, v150, v149, v42
	v_add3_u32 v146, v154, v153, v43
	v_add3_u32 v145, v158, v157, v139
	v_lshlrev_b32_e32 v149, 2, v155
	v_add3_u32 v143, v162, v161, v140
	v_add3_u32 v142, v166, v165, v141
	;; [unrolled: 1-line block ×3, first 2 shown]
	v_lshlrev_b32_e32 v36, 2, v151
	v_add3_u32 v141, v170, v169, v163
	v_add3_u32 v42, v194, v193, v37
	v_lshlrev_b32_e32 v37, 2, v147
	v_add3_u32 v140, v174, v173, v168
	ds_store_b32 v149, v136 offset:1024
	v_lshlrev_b32_e32 v136, 2, v146
	v_add3_u32 v139, v178, v177, v171
	v_lshlrev_b32_e32 v149, 2, v145
	v_add3_u32 v138, v182, v181, v175
	;; [unrolled: 2-line block ×3, first 2 shown]
	ds_store_b32 v36, v137 offset:1024
	ds_store_b32 v37, v144 offset:1024
	;; [unrolled: 1-line block ×5, first 2 shown]
	v_lshlrev_b32_e32 v36, 2, v142
	v_lshlrev_b32_e32 v37, 2, v141
	;; [unrolled: 1-line block ×3, first 2 shown]
	v_add3_u32 v41, v197, v196, v40
	v_lshlrev_b32_e32 v137, 2, v139
	v_add3_u32 v40, v200, v199, v159
	v_lshlrev_b32_e32 v144, 2, v138
	ds_store_b32 v36, v160 offset:1024
	ds_store_b32 v37, v164 offset:1024
	;; [unrolled: 1-line block ×5, first 2 shown]
	v_lshlrev_b32_e32 v36, 2, v39
	v_cmp_lt_u32_e32 vcc_lo, v1, v135
	v_lshlrev_b32_e32 v37, 2, v43
	v_lshlrev_b32_e32 v136, 2, v42
	;; [unrolled: 1-line block ×4, first 2 shown]
	ds_store_b32 v36, v180 offset:1024
	ds_store_b32 v37, v184 offset:1024
	;; [unrolled: 1-line block ×5, first 2 shown]
	s_wait_loadcnt_dscnt 0x0
	s_barrier_signal -1
	s_barrier_wait -1
	global_inv scope:SCOPE_SE
	s_and_saveexec_b32 s16, vcc_lo
	s_cbranch_execnz .LBB503_1121
; %bb.1053:                             ;   in Loop: Header=BB503_974 Depth=2
	s_wait_alu 0xfffe
	s_or_b32 exec_lo, exec_lo, s16
	v_cmp_lt_u32_e64 s15, v45, v135
	s_and_saveexec_b32 s17, s15
	s_cbranch_execnz .LBB503_1122
.LBB503_1054:                           ;   in Loop: Header=BB503_974 Depth=2
	s_wait_alu 0xfffe
	s_or_b32 exec_lo, exec_lo, s17
	v_cmp_lt_u32_e64 s16, v46, v135
	s_and_saveexec_b32 s18, s16
	s_cbranch_execnz .LBB503_1123
.LBB503_1055:                           ;   in Loop: Header=BB503_974 Depth=2
	s_wait_alu 0xfffe
	s_or_b32 exec_lo, exec_lo, s18
	v_cmp_lt_u32_e64 s17, v47, v135
	s_and_saveexec_b32 s19, s17
	s_cbranch_execnz .LBB503_1124
.LBB503_1056:                           ;   in Loop: Header=BB503_974 Depth=2
	s_wait_alu 0xfffe
	s_or_b32 exec_lo, exec_lo, s19
	v_cmp_lt_u32_e64 s18, v50, v135
	s_and_saveexec_b32 s20, s18
	s_cbranch_execnz .LBB503_1125
.LBB503_1057:                           ;   in Loop: Header=BB503_974 Depth=2
	s_wait_alu 0xfffe
	s_or_b32 exec_lo, exec_lo, s20
	v_cmp_lt_u32_e64 s19, v51, v135
	s_and_saveexec_b32 s21, s19
	s_cbranch_execnz .LBB503_1126
.LBB503_1058:                           ;   in Loop: Header=BB503_974 Depth=2
	s_wait_alu 0xfffe
	s_or_b32 exec_lo, exec_lo, s21
	v_cmp_lt_u32_e64 s20, v52, v135
	s_and_saveexec_b32 s22, s20
	s_cbranch_execnz .LBB503_1127
.LBB503_1059:                           ;   in Loop: Header=BB503_974 Depth=2
	s_wait_alu 0xfffe
	s_or_b32 exec_lo, exec_lo, s22
	v_cmp_lt_u32_e64 s21, v53, v135
	s_and_saveexec_b32 s23, s21
	s_cbranch_execnz .LBB503_1128
.LBB503_1060:                           ;   in Loop: Header=BB503_974 Depth=2
	s_wait_alu 0xfffe
	s_or_b32 exec_lo, exec_lo, s23
	v_cmp_lt_u32_e64 s22, v54, v135
	s_and_saveexec_b32 s24, s22
	s_cbranch_execnz .LBB503_1129
.LBB503_1061:                           ;   in Loop: Header=BB503_974 Depth=2
	s_wait_alu 0xfffe
	s_or_b32 exec_lo, exec_lo, s24
	v_cmp_lt_u32_e64 s23, v55, v135
	s_and_saveexec_b32 s25, s23
	s_cbranch_execnz .LBB503_1130
.LBB503_1062:                           ;   in Loop: Header=BB503_974 Depth=2
	s_wait_alu 0xfffe
	s_or_b32 exec_lo, exec_lo, s25
	v_cmp_lt_u32_e64 s24, v56, v135
	s_and_saveexec_b32 s26, s24
	s_cbranch_execnz .LBB503_1131
.LBB503_1063:                           ;   in Loop: Header=BB503_974 Depth=2
	s_wait_alu 0xfffe
	s_or_b32 exec_lo, exec_lo, s26
	v_cmp_lt_u32_e64 s25, v57, v135
	s_and_saveexec_b32 s27, s25
	s_cbranch_execnz .LBB503_1132
.LBB503_1064:                           ;   in Loop: Header=BB503_974 Depth=2
	s_wait_alu 0xfffe
	s_or_b32 exec_lo, exec_lo, s27
	v_cmp_lt_u32_e64 s26, v58, v135
	s_and_saveexec_b32 s28, s26
	s_cbranch_execnz .LBB503_1133
.LBB503_1065:                           ;   in Loop: Header=BB503_974 Depth=2
	s_wait_alu 0xfffe
	s_or_b32 exec_lo, exec_lo, s28
	v_cmp_lt_u32_e64 s27, v59, v135
	s_and_saveexec_b32 s29, s27
	s_cbranch_execnz .LBB503_1134
.LBB503_1066:                           ;   in Loop: Header=BB503_974 Depth=2
	s_wait_alu 0xfffe
	s_or_b32 exec_lo, exec_lo, s29
	v_cmp_lt_u32_e64 s28, v60, v135
	s_and_saveexec_b32 s30, s28
	s_cbranch_execnz .LBB503_1135
.LBB503_1067:                           ;   in Loop: Header=BB503_974 Depth=2
	s_wait_alu 0xfffe
	s_or_b32 exec_lo, exec_lo, s30
	v_cmp_lt_u32_e64 s29, v61, v135
	s_and_saveexec_b32 s56, s29
	s_cbranch_execz .LBB503_1069
.LBB503_1068:                           ;   in Loop: Header=BB503_974 Depth=2
	ds_load_b32 v136, v70 offset:16384
	s_wait_dscnt 0x0
	v_lshrrev_b32_e32 v2, s49, v136
	s_delay_alu instid0(VALU_DEP_1) | instskip(NEXT) | instid1(VALU_DEP_1)
	v_and_b32_e32 v2, s48, v2
	v_lshlrev_b32_e32 v2, 2, v2
	ds_load_b32 v2, v2
	s_wait_dscnt 0x0
	v_add_nc_u32_e32 v2, v2, v61
	s_delay_alu instid0(VALU_DEP_1) | instskip(SKIP_1) | instid1(VALU_DEP_2)
	v_lshlrev_b64_e32 v[36:37], 2, v[2:3]
	v_xor_b32_e32 v2, 0x7fffffff, v136
	v_add_co_u32 v36, s30, s40, v36
	s_wait_alu 0xf1ff
	s_delay_alu instid0(VALU_DEP_3)
	v_add_co_ci_u32_e64 v37, null, s41, v37, s30
	global_store_b32 v[36:37], v2, off
.LBB503_1069:                           ;   in Loop: Header=BB503_974 Depth=2
	s_wait_alu 0xfffe
	s_or_b32 exec_lo, exec_lo, s56
	s_lshl_b64 s[56:57], s[42:43], 3
	s_wait_alu 0xfffe
	v_add_co_u32 v36, s30, v114, s56
	s_wait_alu 0xf1ff
	v_add_co_ci_u32_e64 v37, null, s57, v115, s30
	v_cmp_lt_u32_e64 s30, v88, v135
	s_and_saveexec_b32 s42, s30
	s_wait_alu 0xfffe
	s_xor_b32 s30, exec_lo, s42
	s_cbranch_execnz .LBB503_1136
; %bb.1070:                             ;   in Loop: Header=BB503_974 Depth=2
	s_wait_alu 0xfffe
	s_or_b32 exec_lo, exec_lo, s30
	s_delay_alu instid0(SALU_CYCLE_1)
	s_mov_b32 s42, exec_lo
	v_cmpx_lt_u32_e64 v92, v135
	s_cbranch_execnz .LBB503_1137
.LBB503_1071:                           ;   in Loop: Header=BB503_974 Depth=2
	s_wait_alu 0xfffe
	s_or_b32 exec_lo, exec_lo, s42
	s_delay_alu instid0(SALU_CYCLE_1)
	s_mov_b32 s42, exec_lo
	v_cmpx_lt_u32_e64 v93, v135
	s_cbranch_execnz .LBB503_1138
.LBB503_1072:                           ;   in Loop: Header=BB503_974 Depth=2
	s_wait_alu 0xfffe
	s_or_b32 exec_lo, exec_lo, s42
	s_delay_alu instid0(SALU_CYCLE_1)
	s_mov_b32 s42, exec_lo
	v_cmpx_lt_u32_e64 v94, v135
	s_cbranch_execnz .LBB503_1139
.LBB503_1073:                           ;   in Loop: Header=BB503_974 Depth=2
	s_wait_alu 0xfffe
	s_or_b32 exec_lo, exec_lo, s42
	s_delay_alu instid0(SALU_CYCLE_1)
	s_mov_b32 s42, exec_lo
	v_cmpx_lt_u32_e64 v95, v135
	s_cbranch_execnz .LBB503_1140
.LBB503_1074:                           ;   in Loop: Header=BB503_974 Depth=2
	s_wait_alu 0xfffe
	s_or_b32 exec_lo, exec_lo, s42
	s_delay_alu instid0(SALU_CYCLE_1)
	s_mov_b32 s42, exec_lo
	v_cmpx_lt_u32_e64 v96, v135
	s_cbranch_execnz .LBB503_1141
.LBB503_1075:                           ;   in Loop: Header=BB503_974 Depth=2
	s_wait_alu 0xfffe
	s_or_b32 exec_lo, exec_lo, s42
	s_delay_alu instid0(SALU_CYCLE_1)
	s_mov_b32 s42, exec_lo
	v_cmpx_lt_u32_e64 v97, v135
	s_cbranch_execnz .LBB503_1142
.LBB503_1076:                           ;   in Loop: Header=BB503_974 Depth=2
	s_wait_alu 0xfffe
	s_or_b32 exec_lo, exec_lo, s42
	s_delay_alu instid0(SALU_CYCLE_1)
	s_mov_b32 s42, exec_lo
	v_cmpx_lt_u32_e64 v98, v135
	s_cbranch_execnz .LBB503_1143
.LBB503_1077:                           ;   in Loop: Header=BB503_974 Depth=2
	s_wait_alu 0xfffe
	s_or_b32 exec_lo, exec_lo, s42
	s_delay_alu instid0(SALU_CYCLE_1)
	s_mov_b32 s42, exec_lo
	v_cmpx_lt_u32_e64 v99, v135
	s_cbranch_execnz .LBB503_1144
.LBB503_1078:                           ;   in Loop: Header=BB503_974 Depth=2
	s_wait_alu 0xfffe
	s_or_b32 exec_lo, exec_lo, s42
	s_delay_alu instid0(SALU_CYCLE_1)
	s_mov_b32 s42, exec_lo
	v_cmpx_lt_u32_e64 v100, v135
	s_cbranch_execnz .LBB503_1145
.LBB503_1079:                           ;   in Loop: Header=BB503_974 Depth=2
	s_wait_alu 0xfffe
	s_or_b32 exec_lo, exec_lo, s42
	s_delay_alu instid0(SALU_CYCLE_1)
	s_mov_b32 s42, exec_lo
	v_cmpx_lt_u32_e64 v101, v135
	s_cbranch_execnz .LBB503_1146
.LBB503_1080:                           ;   in Loop: Header=BB503_974 Depth=2
	s_wait_alu 0xfffe
	s_or_b32 exec_lo, exec_lo, s42
	s_delay_alu instid0(SALU_CYCLE_1)
	s_mov_b32 s42, exec_lo
	v_cmpx_lt_u32_e64 v102, v135
	s_cbranch_execnz .LBB503_1147
.LBB503_1081:                           ;   in Loop: Header=BB503_974 Depth=2
	s_wait_alu 0xfffe
	s_or_b32 exec_lo, exec_lo, s42
	s_delay_alu instid0(SALU_CYCLE_1)
	s_mov_b32 s42, exec_lo
	v_cmpx_lt_u32_e64 v103, v135
	s_cbranch_execnz .LBB503_1148
.LBB503_1082:                           ;   in Loop: Header=BB503_974 Depth=2
	s_wait_alu 0xfffe
	s_or_b32 exec_lo, exec_lo, s42
	s_delay_alu instid0(SALU_CYCLE_1)
	s_mov_b32 s42, exec_lo
	v_cmpx_lt_u32_e64 v104, v135
	s_cbranch_execnz .LBB503_1149
.LBB503_1083:                           ;   in Loop: Header=BB503_974 Depth=2
	s_wait_alu 0xfffe
	s_or_b32 exec_lo, exec_lo, s42
	s_delay_alu instid0(SALU_CYCLE_1)
	s_mov_b32 s42, exec_lo
	v_cmpx_lt_u32_e64 v105, v135
	s_cbranch_execnz .LBB503_1150
.LBB503_1084:                           ;   in Loop: Header=BB503_974 Depth=2
	s_wait_alu 0xfffe
	s_or_b32 exec_lo, exec_lo, s42
	s_delay_alu instid0(SALU_CYCLE_1)
	s_mov_b32 s42, exec_lo
	v_cmpx_lt_u32_e64 v106, v135
	s_cbranch_execnz .LBB503_1151
.LBB503_1085:                           ;   in Loop: Header=BB503_974 Depth=2
	s_wait_alu 0xfffe
	s_or_b32 exec_lo, exec_lo, s42
	s_and_saveexec_b32 s30, vcc_lo
	s_cbranch_execnz .LBB503_1152
.LBB503_1086:                           ;   in Loop: Header=BB503_974 Depth=2
	s_wait_alu 0xfffe
	s_or_b32 exec_lo, exec_lo, s30
	s_and_saveexec_b32 s30, s15
	s_cbranch_execnz .LBB503_1153
.LBB503_1087:                           ;   in Loop: Header=BB503_974 Depth=2
	s_wait_alu 0xfffe
	s_or_b32 exec_lo, exec_lo, s30
	s_and_saveexec_b32 s30, s16
	s_cbranch_execnz .LBB503_1154
.LBB503_1088:                           ;   in Loop: Header=BB503_974 Depth=2
	s_wait_alu 0xfffe
	s_or_b32 exec_lo, exec_lo, s30
	s_and_saveexec_b32 s30, s17
	s_cbranch_execnz .LBB503_1155
.LBB503_1089:                           ;   in Loop: Header=BB503_974 Depth=2
	s_wait_alu 0xfffe
	s_or_b32 exec_lo, exec_lo, s30
	s_and_saveexec_b32 s30, s18
	s_cbranch_execnz .LBB503_1156
.LBB503_1090:                           ;   in Loop: Header=BB503_974 Depth=2
	s_wait_alu 0xfffe
	s_or_b32 exec_lo, exec_lo, s30
	s_and_saveexec_b32 s30, s19
	s_cbranch_execnz .LBB503_1157
.LBB503_1091:                           ;   in Loop: Header=BB503_974 Depth=2
	s_wait_alu 0xfffe
	s_or_b32 exec_lo, exec_lo, s30
	s_and_saveexec_b32 s30, s20
	s_cbranch_execnz .LBB503_1158
.LBB503_1092:                           ;   in Loop: Header=BB503_974 Depth=2
	s_wait_alu 0xfffe
	s_or_b32 exec_lo, exec_lo, s30
	s_and_saveexec_b32 s30, s21
	s_cbranch_execnz .LBB503_1159
.LBB503_1093:                           ;   in Loop: Header=BB503_974 Depth=2
	s_wait_alu 0xfffe
	s_or_b32 exec_lo, exec_lo, s30
	s_and_saveexec_b32 s30, s22
	s_cbranch_execnz .LBB503_1160
.LBB503_1094:                           ;   in Loop: Header=BB503_974 Depth=2
	s_wait_alu 0xfffe
	s_or_b32 exec_lo, exec_lo, s30
	s_and_saveexec_b32 s30, s23
	s_cbranch_execnz .LBB503_1161
.LBB503_1095:                           ;   in Loop: Header=BB503_974 Depth=2
	s_wait_alu 0xfffe
	s_or_b32 exec_lo, exec_lo, s30
	s_and_saveexec_b32 s30, s24
	s_cbranch_execnz .LBB503_1162
.LBB503_1096:                           ;   in Loop: Header=BB503_974 Depth=2
	s_wait_alu 0xfffe
	s_or_b32 exec_lo, exec_lo, s30
	s_and_saveexec_b32 s30, s25
	s_cbranch_execnz .LBB503_1163
.LBB503_1097:                           ;   in Loop: Header=BB503_974 Depth=2
	s_wait_alu 0xfffe
	s_or_b32 exec_lo, exec_lo, s30
	s_and_saveexec_b32 s30, s26
	s_cbranch_execnz .LBB503_1164
.LBB503_1098:                           ;   in Loop: Header=BB503_974 Depth=2
	s_wait_alu 0xfffe
	s_or_b32 exec_lo, exec_lo, s30
	s_and_saveexec_b32 s30, s27
	s_cbranch_execnz .LBB503_1165
.LBB503_1099:                           ;   in Loop: Header=BB503_974 Depth=2
	s_wait_alu 0xfffe
	s_or_b32 exec_lo, exec_lo, s30
	s_and_saveexec_b32 s30, s28
	s_cbranch_execnz .LBB503_1166
.LBB503_1100:                           ;   in Loop: Header=BB503_974 Depth=2
	s_wait_alu 0xfffe
	s_or_b32 exec_lo, exec_lo, s30
	s_and_saveexec_b32 s30, s29
	s_cbranch_execz .LBB503_1102
.LBB503_1101:                           ;   in Loop: Header=BB503_974 Depth=2
	ds_load_b32 v2, v70 offset:16384
	s_wait_dscnt 0x0
	v_lshrrev_b32_e32 v2, s49, v2
	s_delay_alu instid0(VALU_DEP_1)
	v_and_b32_e32 v119, s48, v2
.LBB503_1102:                           ;   in Loop: Header=BB503_974 Depth=2
	s_wait_alu 0xfffe
	s_or_b32 exec_lo, exec_lo, s30
	v_lshlrev_b32_e32 v2, 3, v155
	s_wait_loadcnt 0x0
	s_wait_storecnt 0x0
	s_barrier_signal -1
	s_barrier_wait -1
	global_inv scope:SCOPE_SE
	ds_store_b64 v2, v[34:35] offset:1024
	v_lshlrev_b32_e32 v2, 3, v151
	v_lshlrev_b32_e32 v36, 3, v147
	v_lshlrev_b32_e32 v37, 3, v146
	v_lshlrev_b32_e32 v135, 3, v145
	v_lshlrev_b32_e32 v136, 3, v143
	ds_store_b64 v2, v[32:33] offset:1024
	ds_store_b64 v36, v[30:31] offset:1024
	ds_store_b64 v37, v[28:29] offset:1024
	ds_store_b64 v135, v[26:27] offset:1024
	ds_store_b64 v136, v[24:25] offset:1024
	v_lshlrev_b32_e32 v2, 3, v142
	v_lshlrev_b32_e32 v36, 3, v141
	v_lshlrev_b32_e32 v37, 3, v140
	v_lshlrev_b32_e32 v135, 3, v139
	v_lshlrev_b32_e32 v136, 3, v138
	ds_store_b64 v2, v[22:23] offset:1024
	ds_store_b64 v36, v[20:21] offset:1024
	ds_store_b64 v37, v[18:19] offset:1024
	ds_store_b64 v135, v[16:17] offset:1024
	ds_store_b64 v136, v[14:15] offset:1024
	v_lshlrev_b32_e32 v2, 3, v39
	v_lshlrev_b32_e32 v36, 3, v43
	v_lshlrev_b32_e32 v37, 3, v42
	v_lshlrev_b32_e32 v39, 3, v41
	v_lshlrev_b32_e32 v40, 3, v40
	ds_store_b64 v2, v[12:13] offset:1024
	ds_store_b64 v36, v[10:11] offset:1024
	ds_store_b64 v37, v[8:9] offset:1024
	ds_store_b64 v39, v[6:7] offset:1024
	ds_store_b64 v40, v[4:5] offset:1024
	v_add_nc_u32_e32 v36, v70, v44
	s_wait_loadcnt_dscnt 0x0
	s_barrier_signal -1
	s_barrier_wait -1
	global_inv scope:SCOPE_SE
	s_and_saveexec_b32 s30, vcc_lo
	s_cbranch_execnz .LBB503_1167
; %bb.1103:                             ;   in Loop: Header=BB503_974 Depth=2
	s_wait_alu 0xfffe
	s_or_b32 exec_lo, exec_lo, s30
	s_and_saveexec_b32 s30, s15
	s_cbranch_execnz .LBB503_1168
.LBB503_1104:                           ;   in Loop: Header=BB503_974 Depth=2
	s_wait_alu 0xfffe
	s_or_b32 exec_lo, exec_lo, s30
	s_and_saveexec_b32 s15, s16
	s_cbranch_execnz .LBB503_1169
.LBB503_1105:                           ;   in Loop: Header=BB503_974 Depth=2
	s_wait_alu 0xfffe
	s_or_b32 exec_lo, exec_lo, s15
	s_and_saveexec_b32 s15, s17
	s_cbranch_execnz .LBB503_1170
.LBB503_1106:                           ;   in Loop: Header=BB503_974 Depth=2
	s_wait_alu 0xfffe
	s_or_b32 exec_lo, exec_lo, s15
	s_and_saveexec_b32 s15, s18
	s_cbranch_execnz .LBB503_1171
.LBB503_1107:                           ;   in Loop: Header=BB503_974 Depth=2
	s_wait_alu 0xfffe
	s_or_b32 exec_lo, exec_lo, s15
	s_and_saveexec_b32 s15, s19
	s_cbranch_execnz .LBB503_1172
.LBB503_1108:                           ;   in Loop: Header=BB503_974 Depth=2
	s_wait_alu 0xfffe
	s_or_b32 exec_lo, exec_lo, s15
	s_and_saveexec_b32 s15, s20
	s_cbranch_execnz .LBB503_1173
.LBB503_1109:                           ;   in Loop: Header=BB503_974 Depth=2
	s_wait_alu 0xfffe
	s_or_b32 exec_lo, exec_lo, s15
	s_and_saveexec_b32 s15, s21
	s_cbranch_execnz .LBB503_1174
.LBB503_1110:                           ;   in Loop: Header=BB503_974 Depth=2
	s_wait_alu 0xfffe
	s_or_b32 exec_lo, exec_lo, s15
	s_and_saveexec_b32 s15, s22
	s_cbranch_execnz .LBB503_1175
.LBB503_1111:                           ;   in Loop: Header=BB503_974 Depth=2
	s_wait_alu 0xfffe
	s_or_b32 exec_lo, exec_lo, s15
	s_and_saveexec_b32 s15, s23
	s_cbranch_execnz .LBB503_1176
.LBB503_1112:                           ;   in Loop: Header=BB503_974 Depth=2
	s_wait_alu 0xfffe
	s_or_b32 exec_lo, exec_lo, s15
	s_and_saveexec_b32 s15, s24
	s_cbranch_execnz .LBB503_1177
.LBB503_1113:                           ;   in Loop: Header=BB503_974 Depth=2
	s_wait_alu 0xfffe
	s_or_b32 exec_lo, exec_lo, s15
	s_and_saveexec_b32 s15, s25
	s_cbranch_execnz .LBB503_1178
.LBB503_1114:                           ;   in Loop: Header=BB503_974 Depth=2
	s_wait_alu 0xfffe
	s_or_b32 exec_lo, exec_lo, s15
	s_and_saveexec_b32 s15, s26
	s_cbranch_execnz .LBB503_1179
.LBB503_1115:                           ;   in Loop: Header=BB503_974 Depth=2
	s_wait_alu 0xfffe
	s_or_b32 exec_lo, exec_lo, s15
	s_and_saveexec_b32 s15, s27
	s_cbranch_execnz .LBB503_1180
.LBB503_1116:                           ;   in Loop: Header=BB503_974 Depth=2
	s_wait_alu 0xfffe
	s_or_b32 exec_lo, exec_lo, s15
	s_and_saveexec_b32 s15, s28
	s_cbranch_execnz .LBB503_1181
.LBB503_1117:                           ;   in Loop: Header=BB503_974 Depth=2
	s_wait_alu 0xfffe
	s_or_b32 exec_lo, exec_lo, s15
	s_and_saveexec_b32 s15, s29
	s_cbranch_execz .LBB503_1119
.LBB503_1118:                           ;   in Loop: Header=BB503_974 Depth=2
	v_lshlrev_b32_e32 v2, 2, v119
	ds_load_b32 v2, v2
	ds_load_b64 v[36:37], v36 offset:31744
	s_wait_dscnt 0x1
	v_add_nc_u32_e32 v2, v2, v61
	s_delay_alu instid0(VALU_DEP_1) | instskip(NEXT) | instid1(VALU_DEP_1)
	v_lshlrev_b64_e32 v[39:40], 3, v[2:3]
	v_add_co_u32 v39, vcc_lo, s46, v39
	s_wait_alu 0xfffd
	s_delay_alu instid0(VALU_DEP_2)
	v_add_co_ci_u32_e64 v40, null, s47, v40, vcc_lo
	s_wait_dscnt 0x0
	global_store_b64 v[39:40], v[36:37], off
.LBB503_1119:                           ;   in Loop: Header=BB503_974 Depth=2
	s_wait_alu 0xfffe
	s_or_b32 exec_lo, exec_lo, s15
	s_wait_loadcnt 0x0
	s_wait_storecnt 0x0
	s_barrier_signal -1
	s_barrier_wait -1
	global_inv scope:SCOPE_SE
	s_and_saveexec_b32 s15, s2
	s_cbranch_execz .LBB503_973
; %bb.1120:                             ;   in Loop: Header=BB503_974 Depth=2
	ds_load_b32 v2, v44
	s_wait_dscnt 0x0
	v_add_nc_u32_e32 v2, v2, v38
	ds_store_b32 v44, v2
	s_branch .LBB503_973
.LBB503_1121:                           ;   in Loop: Header=BB503_974 Depth=2
	ds_load_b32 v136, v70 offset:1024
	s_wait_dscnt 0x0
	v_lshrrev_b32_e32 v2, s49, v136
	s_delay_alu instid0(VALU_DEP_1) | instskip(NEXT) | instid1(VALU_DEP_1)
	v_and_b32_e32 v2, s48, v2
	v_lshlrev_b32_e32 v2, 2, v2
	ds_load_b32 v2, v2
	s_wait_dscnt 0x0
	v_add_nc_u32_e32 v2, v2, v1
	s_delay_alu instid0(VALU_DEP_1) | instskip(SKIP_1) | instid1(VALU_DEP_2)
	v_lshlrev_b64_e32 v[36:37], 2, v[2:3]
	v_xor_b32_e32 v2, 0x7fffffff, v136
	v_add_co_u32 v36, s15, s40, v36
	s_wait_alu 0xf1ff
	s_delay_alu instid0(VALU_DEP_3)
	v_add_co_ci_u32_e64 v37, null, s41, v37, s15
	global_store_b32 v[36:37], v2, off
	s_wait_alu 0xfffe
	s_or_b32 exec_lo, exec_lo, s16
	v_cmp_lt_u32_e64 s15, v45, v135
	s_and_saveexec_b32 s17, s15
	s_cbranch_execz .LBB503_1054
.LBB503_1122:                           ;   in Loop: Header=BB503_974 Depth=2
	ds_load_b32 v136, v70 offset:2048
	s_wait_dscnt 0x0
	v_lshrrev_b32_e32 v2, s49, v136
	s_delay_alu instid0(VALU_DEP_1) | instskip(NEXT) | instid1(VALU_DEP_1)
	v_and_b32_e32 v2, s48, v2
	v_lshlrev_b32_e32 v2, 2, v2
	ds_load_b32 v2, v2
	s_wait_dscnt 0x0
	v_add_nc_u32_e32 v2, v2, v45
	s_delay_alu instid0(VALU_DEP_1) | instskip(SKIP_1) | instid1(VALU_DEP_2)
	v_lshlrev_b64_e32 v[36:37], 2, v[2:3]
	v_xor_b32_e32 v2, 0x7fffffff, v136
	v_add_co_u32 v36, s16, s40, v36
	s_wait_alu 0xf1ff
	s_delay_alu instid0(VALU_DEP_3)
	v_add_co_ci_u32_e64 v37, null, s41, v37, s16
	global_store_b32 v[36:37], v2, off
	s_wait_alu 0xfffe
	s_or_b32 exec_lo, exec_lo, s17
	v_cmp_lt_u32_e64 s16, v46, v135
	s_and_saveexec_b32 s18, s16
	s_cbranch_execz .LBB503_1055
.LBB503_1123:                           ;   in Loop: Header=BB503_974 Depth=2
	ds_load_b32 v136, v70 offset:3072
	s_wait_dscnt 0x0
	v_lshrrev_b32_e32 v2, s49, v136
	s_delay_alu instid0(VALU_DEP_1) | instskip(NEXT) | instid1(VALU_DEP_1)
	v_and_b32_e32 v2, s48, v2
	v_lshlrev_b32_e32 v2, 2, v2
	ds_load_b32 v2, v2
	s_wait_dscnt 0x0
	v_add_nc_u32_e32 v2, v2, v46
	s_delay_alu instid0(VALU_DEP_1) | instskip(SKIP_1) | instid1(VALU_DEP_2)
	v_lshlrev_b64_e32 v[36:37], 2, v[2:3]
	v_xor_b32_e32 v2, 0x7fffffff, v136
	v_add_co_u32 v36, s17, s40, v36
	s_wait_alu 0xf1ff
	s_delay_alu instid0(VALU_DEP_3)
	v_add_co_ci_u32_e64 v37, null, s41, v37, s17
	global_store_b32 v[36:37], v2, off
	s_wait_alu 0xfffe
	s_or_b32 exec_lo, exec_lo, s18
	v_cmp_lt_u32_e64 s17, v47, v135
	s_and_saveexec_b32 s19, s17
	s_cbranch_execz .LBB503_1056
.LBB503_1124:                           ;   in Loop: Header=BB503_974 Depth=2
	ds_load_b32 v136, v70 offset:4096
	s_wait_dscnt 0x0
	v_lshrrev_b32_e32 v2, s49, v136
	s_delay_alu instid0(VALU_DEP_1) | instskip(NEXT) | instid1(VALU_DEP_1)
	v_and_b32_e32 v2, s48, v2
	v_lshlrev_b32_e32 v2, 2, v2
	ds_load_b32 v2, v2
	s_wait_dscnt 0x0
	v_add_nc_u32_e32 v2, v2, v47
	s_delay_alu instid0(VALU_DEP_1) | instskip(SKIP_1) | instid1(VALU_DEP_2)
	v_lshlrev_b64_e32 v[36:37], 2, v[2:3]
	v_xor_b32_e32 v2, 0x7fffffff, v136
	v_add_co_u32 v36, s18, s40, v36
	s_wait_alu 0xf1ff
	s_delay_alu instid0(VALU_DEP_3)
	v_add_co_ci_u32_e64 v37, null, s41, v37, s18
	global_store_b32 v[36:37], v2, off
	s_wait_alu 0xfffe
	s_or_b32 exec_lo, exec_lo, s19
	v_cmp_lt_u32_e64 s18, v50, v135
	s_and_saveexec_b32 s20, s18
	s_cbranch_execz .LBB503_1057
.LBB503_1125:                           ;   in Loop: Header=BB503_974 Depth=2
	ds_load_b32 v136, v70 offset:5120
	s_wait_dscnt 0x0
	v_lshrrev_b32_e32 v2, s49, v136
	s_delay_alu instid0(VALU_DEP_1) | instskip(NEXT) | instid1(VALU_DEP_1)
	v_and_b32_e32 v2, s48, v2
	v_lshlrev_b32_e32 v2, 2, v2
	ds_load_b32 v2, v2
	s_wait_dscnt 0x0
	v_add_nc_u32_e32 v2, v2, v50
	s_delay_alu instid0(VALU_DEP_1) | instskip(SKIP_1) | instid1(VALU_DEP_2)
	v_lshlrev_b64_e32 v[36:37], 2, v[2:3]
	v_xor_b32_e32 v2, 0x7fffffff, v136
	v_add_co_u32 v36, s19, s40, v36
	s_wait_alu 0xf1ff
	s_delay_alu instid0(VALU_DEP_3)
	v_add_co_ci_u32_e64 v37, null, s41, v37, s19
	global_store_b32 v[36:37], v2, off
	s_wait_alu 0xfffe
	s_or_b32 exec_lo, exec_lo, s20
	v_cmp_lt_u32_e64 s19, v51, v135
	s_and_saveexec_b32 s21, s19
	s_cbranch_execz .LBB503_1058
.LBB503_1126:                           ;   in Loop: Header=BB503_974 Depth=2
	ds_load_b32 v136, v70 offset:6144
	s_wait_dscnt 0x0
	v_lshrrev_b32_e32 v2, s49, v136
	s_delay_alu instid0(VALU_DEP_1) | instskip(NEXT) | instid1(VALU_DEP_1)
	v_and_b32_e32 v2, s48, v2
	v_lshlrev_b32_e32 v2, 2, v2
	ds_load_b32 v2, v2
	s_wait_dscnt 0x0
	v_add_nc_u32_e32 v2, v2, v51
	s_delay_alu instid0(VALU_DEP_1) | instskip(SKIP_1) | instid1(VALU_DEP_2)
	v_lshlrev_b64_e32 v[36:37], 2, v[2:3]
	v_xor_b32_e32 v2, 0x7fffffff, v136
	v_add_co_u32 v36, s20, s40, v36
	s_wait_alu 0xf1ff
	s_delay_alu instid0(VALU_DEP_3)
	v_add_co_ci_u32_e64 v37, null, s41, v37, s20
	global_store_b32 v[36:37], v2, off
	s_wait_alu 0xfffe
	s_or_b32 exec_lo, exec_lo, s21
	v_cmp_lt_u32_e64 s20, v52, v135
	s_and_saveexec_b32 s22, s20
	s_cbranch_execz .LBB503_1059
.LBB503_1127:                           ;   in Loop: Header=BB503_974 Depth=2
	ds_load_b32 v136, v70 offset:7168
	s_wait_dscnt 0x0
	v_lshrrev_b32_e32 v2, s49, v136
	s_delay_alu instid0(VALU_DEP_1) | instskip(NEXT) | instid1(VALU_DEP_1)
	v_and_b32_e32 v2, s48, v2
	v_lshlrev_b32_e32 v2, 2, v2
	ds_load_b32 v2, v2
	s_wait_dscnt 0x0
	v_add_nc_u32_e32 v2, v2, v52
	s_delay_alu instid0(VALU_DEP_1) | instskip(SKIP_1) | instid1(VALU_DEP_2)
	v_lshlrev_b64_e32 v[36:37], 2, v[2:3]
	v_xor_b32_e32 v2, 0x7fffffff, v136
	v_add_co_u32 v36, s21, s40, v36
	s_wait_alu 0xf1ff
	s_delay_alu instid0(VALU_DEP_3)
	v_add_co_ci_u32_e64 v37, null, s41, v37, s21
	global_store_b32 v[36:37], v2, off
	s_wait_alu 0xfffe
	s_or_b32 exec_lo, exec_lo, s22
	v_cmp_lt_u32_e64 s21, v53, v135
	s_and_saveexec_b32 s23, s21
	s_cbranch_execz .LBB503_1060
.LBB503_1128:                           ;   in Loop: Header=BB503_974 Depth=2
	ds_load_b32 v136, v70 offset:8192
	s_wait_dscnt 0x0
	v_lshrrev_b32_e32 v2, s49, v136
	s_delay_alu instid0(VALU_DEP_1) | instskip(NEXT) | instid1(VALU_DEP_1)
	v_and_b32_e32 v2, s48, v2
	v_lshlrev_b32_e32 v2, 2, v2
	ds_load_b32 v2, v2
	s_wait_dscnt 0x0
	v_add_nc_u32_e32 v2, v2, v53
	s_delay_alu instid0(VALU_DEP_1) | instskip(SKIP_1) | instid1(VALU_DEP_2)
	v_lshlrev_b64_e32 v[36:37], 2, v[2:3]
	v_xor_b32_e32 v2, 0x7fffffff, v136
	v_add_co_u32 v36, s22, s40, v36
	s_wait_alu 0xf1ff
	s_delay_alu instid0(VALU_DEP_3)
	v_add_co_ci_u32_e64 v37, null, s41, v37, s22
	global_store_b32 v[36:37], v2, off
	s_wait_alu 0xfffe
	s_or_b32 exec_lo, exec_lo, s23
	v_cmp_lt_u32_e64 s22, v54, v135
	s_and_saveexec_b32 s24, s22
	s_cbranch_execz .LBB503_1061
.LBB503_1129:                           ;   in Loop: Header=BB503_974 Depth=2
	ds_load_b32 v136, v70 offset:9216
	s_wait_dscnt 0x0
	v_lshrrev_b32_e32 v2, s49, v136
	s_delay_alu instid0(VALU_DEP_1) | instskip(NEXT) | instid1(VALU_DEP_1)
	v_and_b32_e32 v2, s48, v2
	v_lshlrev_b32_e32 v2, 2, v2
	ds_load_b32 v2, v2
	s_wait_dscnt 0x0
	v_add_nc_u32_e32 v2, v2, v54
	s_delay_alu instid0(VALU_DEP_1) | instskip(SKIP_1) | instid1(VALU_DEP_2)
	v_lshlrev_b64_e32 v[36:37], 2, v[2:3]
	v_xor_b32_e32 v2, 0x7fffffff, v136
	v_add_co_u32 v36, s23, s40, v36
	s_wait_alu 0xf1ff
	s_delay_alu instid0(VALU_DEP_3)
	v_add_co_ci_u32_e64 v37, null, s41, v37, s23
	global_store_b32 v[36:37], v2, off
	s_wait_alu 0xfffe
	s_or_b32 exec_lo, exec_lo, s24
	v_cmp_lt_u32_e64 s23, v55, v135
	s_and_saveexec_b32 s25, s23
	s_cbranch_execz .LBB503_1062
.LBB503_1130:                           ;   in Loop: Header=BB503_974 Depth=2
	ds_load_b32 v136, v70 offset:10240
	s_wait_dscnt 0x0
	v_lshrrev_b32_e32 v2, s49, v136
	s_delay_alu instid0(VALU_DEP_1) | instskip(NEXT) | instid1(VALU_DEP_1)
	v_and_b32_e32 v2, s48, v2
	v_lshlrev_b32_e32 v2, 2, v2
	ds_load_b32 v2, v2
	s_wait_dscnt 0x0
	v_add_nc_u32_e32 v2, v2, v55
	s_delay_alu instid0(VALU_DEP_1) | instskip(SKIP_1) | instid1(VALU_DEP_2)
	v_lshlrev_b64_e32 v[36:37], 2, v[2:3]
	v_xor_b32_e32 v2, 0x7fffffff, v136
	v_add_co_u32 v36, s24, s40, v36
	s_wait_alu 0xf1ff
	s_delay_alu instid0(VALU_DEP_3)
	v_add_co_ci_u32_e64 v37, null, s41, v37, s24
	global_store_b32 v[36:37], v2, off
	s_wait_alu 0xfffe
	s_or_b32 exec_lo, exec_lo, s25
	v_cmp_lt_u32_e64 s24, v56, v135
	s_and_saveexec_b32 s26, s24
	s_cbranch_execz .LBB503_1063
.LBB503_1131:                           ;   in Loop: Header=BB503_974 Depth=2
	ds_load_b32 v136, v70 offset:11264
	s_wait_dscnt 0x0
	v_lshrrev_b32_e32 v2, s49, v136
	s_delay_alu instid0(VALU_DEP_1) | instskip(NEXT) | instid1(VALU_DEP_1)
	v_and_b32_e32 v2, s48, v2
	v_lshlrev_b32_e32 v2, 2, v2
	ds_load_b32 v2, v2
	s_wait_dscnt 0x0
	v_add_nc_u32_e32 v2, v2, v56
	s_delay_alu instid0(VALU_DEP_1) | instskip(SKIP_1) | instid1(VALU_DEP_2)
	v_lshlrev_b64_e32 v[36:37], 2, v[2:3]
	v_xor_b32_e32 v2, 0x7fffffff, v136
	v_add_co_u32 v36, s25, s40, v36
	s_wait_alu 0xf1ff
	s_delay_alu instid0(VALU_DEP_3)
	v_add_co_ci_u32_e64 v37, null, s41, v37, s25
	global_store_b32 v[36:37], v2, off
	s_wait_alu 0xfffe
	s_or_b32 exec_lo, exec_lo, s26
	v_cmp_lt_u32_e64 s25, v57, v135
	s_and_saveexec_b32 s27, s25
	s_cbranch_execz .LBB503_1064
.LBB503_1132:                           ;   in Loop: Header=BB503_974 Depth=2
	ds_load_b32 v136, v70 offset:12288
	s_wait_dscnt 0x0
	v_lshrrev_b32_e32 v2, s49, v136
	s_delay_alu instid0(VALU_DEP_1) | instskip(NEXT) | instid1(VALU_DEP_1)
	v_and_b32_e32 v2, s48, v2
	v_lshlrev_b32_e32 v2, 2, v2
	ds_load_b32 v2, v2
	s_wait_dscnt 0x0
	v_add_nc_u32_e32 v2, v2, v57
	s_delay_alu instid0(VALU_DEP_1) | instskip(SKIP_1) | instid1(VALU_DEP_2)
	v_lshlrev_b64_e32 v[36:37], 2, v[2:3]
	v_xor_b32_e32 v2, 0x7fffffff, v136
	v_add_co_u32 v36, s26, s40, v36
	s_wait_alu 0xf1ff
	s_delay_alu instid0(VALU_DEP_3)
	v_add_co_ci_u32_e64 v37, null, s41, v37, s26
	global_store_b32 v[36:37], v2, off
	s_wait_alu 0xfffe
	s_or_b32 exec_lo, exec_lo, s27
	v_cmp_lt_u32_e64 s26, v58, v135
	s_and_saveexec_b32 s28, s26
	s_cbranch_execz .LBB503_1065
.LBB503_1133:                           ;   in Loop: Header=BB503_974 Depth=2
	ds_load_b32 v136, v70 offset:13312
	s_wait_dscnt 0x0
	v_lshrrev_b32_e32 v2, s49, v136
	s_delay_alu instid0(VALU_DEP_1) | instskip(NEXT) | instid1(VALU_DEP_1)
	v_and_b32_e32 v2, s48, v2
	v_lshlrev_b32_e32 v2, 2, v2
	ds_load_b32 v2, v2
	s_wait_dscnt 0x0
	v_add_nc_u32_e32 v2, v2, v58
	s_delay_alu instid0(VALU_DEP_1) | instskip(SKIP_1) | instid1(VALU_DEP_2)
	v_lshlrev_b64_e32 v[36:37], 2, v[2:3]
	v_xor_b32_e32 v2, 0x7fffffff, v136
	v_add_co_u32 v36, s27, s40, v36
	s_wait_alu 0xf1ff
	s_delay_alu instid0(VALU_DEP_3)
	v_add_co_ci_u32_e64 v37, null, s41, v37, s27
	global_store_b32 v[36:37], v2, off
	s_wait_alu 0xfffe
	s_or_b32 exec_lo, exec_lo, s28
	v_cmp_lt_u32_e64 s27, v59, v135
	s_and_saveexec_b32 s29, s27
	s_cbranch_execz .LBB503_1066
.LBB503_1134:                           ;   in Loop: Header=BB503_974 Depth=2
	ds_load_b32 v136, v70 offset:14336
	s_wait_dscnt 0x0
	v_lshrrev_b32_e32 v2, s49, v136
	s_delay_alu instid0(VALU_DEP_1) | instskip(NEXT) | instid1(VALU_DEP_1)
	v_and_b32_e32 v2, s48, v2
	v_lshlrev_b32_e32 v2, 2, v2
	ds_load_b32 v2, v2
	s_wait_dscnt 0x0
	v_add_nc_u32_e32 v2, v2, v59
	s_delay_alu instid0(VALU_DEP_1) | instskip(SKIP_1) | instid1(VALU_DEP_2)
	v_lshlrev_b64_e32 v[36:37], 2, v[2:3]
	v_xor_b32_e32 v2, 0x7fffffff, v136
	v_add_co_u32 v36, s28, s40, v36
	s_wait_alu 0xf1ff
	s_delay_alu instid0(VALU_DEP_3)
	v_add_co_ci_u32_e64 v37, null, s41, v37, s28
	global_store_b32 v[36:37], v2, off
	s_wait_alu 0xfffe
	s_or_b32 exec_lo, exec_lo, s29
	v_cmp_lt_u32_e64 s28, v60, v135
	s_and_saveexec_b32 s30, s28
	s_cbranch_execz .LBB503_1067
.LBB503_1135:                           ;   in Loop: Header=BB503_974 Depth=2
	ds_load_b32 v136, v70 offset:15360
	s_wait_dscnt 0x0
	v_lshrrev_b32_e32 v2, s49, v136
	s_delay_alu instid0(VALU_DEP_1) | instskip(NEXT) | instid1(VALU_DEP_1)
	v_and_b32_e32 v2, s48, v2
	v_lshlrev_b32_e32 v2, 2, v2
	ds_load_b32 v2, v2
	s_wait_dscnt 0x0
	v_add_nc_u32_e32 v2, v2, v60
	s_delay_alu instid0(VALU_DEP_1) | instskip(SKIP_1) | instid1(VALU_DEP_2)
	v_lshlrev_b64_e32 v[36:37], 2, v[2:3]
	v_xor_b32_e32 v2, 0x7fffffff, v136
	v_add_co_u32 v36, s29, s40, v36
	s_wait_alu 0xf1ff
	s_delay_alu instid0(VALU_DEP_3)
	v_add_co_ci_u32_e64 v37, null, s41, v37, s29
	global_store_b32 v[36:37], v2, off
	s_wait_alu 0xfffe
	s_or_b32 exec_lo, exec_lo, s30
	v_cmp_lt_u32_e64 s29, v61, v135
	s_and_saveexec_b32 s56, s29
	s_cbranch_execnz .LBB503_1068
	s_branch .LBB503_1069
.LBB503_1136:                           ;   in Loop: Header=BB503_974 Depth=2
	global_load_b64 v[34:35], v[36:37], off
	s_wait_alu 0xfffe
	s_or_b32 exec_lo, exec_lo, s30
	s_delay_alu instid0(SALU_CYCLE_1)
	s_mov_b32 s42, exec_lo
	v_cmpx_lt_u32_e64 v92, v135
	s_cbranch_execz .LBB503_1071
.LBB503_1137:                           ;   in Loop: Header=BB503_974 Depth=2
	global_load_b64 v[32:33], v[36:37], off offset:256
	s_wait_alu 0xfffe
	s_or_b32 exec_lo, exec_lo, s42
	s_delay_alu instid0(SALU_CYCLE_1)
	s_mov_b32 s42, exec_lo
	v_cmpx_lt_u32_e64 v93, v135
	s_cbranch_execz .LBB503_1072
.LBB503_1138:                           ;   in Loop: Header=BB503_974 Depth=2
	global_load_b64 v[30:31], v[36:37], off offset:512
	s_wait_alu 0xfffe
	s_or_b32 exec_lo, exec_lo, s42
	s_delay_alu instid0(SALU_CYCLE_1)
	s_mov_b32 s42, exec_lo
	v_cmpx_lt_u32_e64 v94, v135
	s_cbranch_execz .LBB503_1073
.LBB503_1139:                           ;   in Loop: Header=BB503_974 Depth=2
	global_load_b64 v[28:29], v[36:37], off offset:768
	s_wait_alu 0xfffe
	s_or_b32 exec_lo, exec_lo, s42
	s_delay_alu instid0(SALU_CYCLE_1)
	s_mov_b32 s42, exec_lo
	v_cmpx_lt_u32_e64 v95, v135
	s_cbranch_execz .LBB503_1074
.LBB503_1140:                           ;   in Loop: Header=BB503_974 Depth=2
	global_load_b64 v[26:27], v[36:37], off offset:1024
	s_wait_alu 0xfffe
	s_or_b32 exec_lo, exec_lo, s42
	s_delay_alu instid0(SALU_CYCLE_1)
	s_mov_b32 s42, exec_lo
	v_cmpx_lt_u32_e64 v96, v135
	s_cbranch_execz .LBB503_1075
.LBB503_1141:                           ;   in Loop: Header=BB503_974 Depth=2
	global_load_b64 v[24:25], v[36:37], off offset:1280
	s_wait_alu 0xfffe
	s_or_b32 exec_lo, exec_lo, s42
	s_delay_alu instid0(SALU_CYCLE_1)
	s_mov_b32 s42, exec_lo
	v_cmpx_lt_u32_e64 v97, v135
	s_cbranch_execz .LBB503_1076
.LBB503_1142:                           ;   in Loop: Header=BB503_974 Depth=2
	global_load_b64 v[22:23], v[36:37], off offset:1536
	s_wait_alu 0xfffe
	s_or_b32 exec_lo, exec_lo, s42
	s_delay_alu instid0(SALU_CYCLE_1)
	s_mov_b32 s42, exec_lo
	v_cmpx_lt_u32_e64 v98, v135
	s_cbranch_execz .LBB503_1077
.LBB503_1143:                           ;   in Loop: Header=BB503_974 Depth=2
	global_load_b64 v[20:21], v[36:37], off offset:1792
	s_wait_alu 0xfffe
	s_or_b32 exec_lo, exec_lo, s42
	s_delay_alu instid0(SALU_CYCLE_1)
	s_mov_b32 s42, exec_lo
	v_cmpx_lt_u32_e64 v99, v135
	s_cbranch_execz .LBB503_1078
.LBB503_1144:                           ;   in Loop: Header=BB503_974 Depth=2
	global_load_b64 v[18:19], v[36:37], off offset:2048
	s_wait_alu 0xfffe
	s_or_b32 exec_lo, exec_lo, s42
	s_delay_alu instid0(SALU_CYCLE_1)
	s_mov_b32 s42, exec_lo
	v_cmpx_lt_u32_e64 v100, v135
	s_cbranch_execz .LBB503_1079
.LBB503_1145:                           ;   in Loop: Header=BB503_974 Depth=2
	global_load_b64 v[16:17], v[36:37], off offset:2304
	s_wait_alu 0xfffe
	s_or_b32 exec_lo, exec_lo, s42
	s_delay_alu instid0(SALU_CYCLE_1)
	s_mov_b32 s42, exec_lo
	v_cmpx_lt_u32_e64 v101, v135
	s_cbranch_execz .LBB503_1080
.LBB503_1146:                           ;   in Loop: Header=BB503_974 Depth=2
	global_load_b64 v[14:15], v[36:37], off offset:2560
	s_wait_alu 0xfffe
	s_or_b32 exec_lo, exec_lo, s42
	s_delay_alu instid0(SALU_CYCLE_1)
	s_mov_b32 s42, exec_lo
	v_cmpx_lt_u32_e64 v102, v135
	s_cbranch_execz .LBB503_1081
.LBB503_1147:                           ;   in Loop: Header=BB503_974 Depth=2
	global_load_b64 v[12:13], v[36:37], off offset:2816
	s_wait_alu 0xfffe
	s_or_b32 exec_lo, exec_lo, s42
	s_delay_alu instid0(SALU_CYCLE_1)
	s_mov_b32 s42, exec_lo
	v_cmpx_lt_u32_e64 v103, v135
	s_cbranch_execz .LBB503_1082
.LBB503_1148:                           ;   in Loop: Header=BB503_974 Depth=2
	global_load_b64 v[10:11], v[36:37], off offset:3072
	s_wait_alu 0xfffe
	s_or_b32 exec_lo, exec_lo, s42
	s_delay_alu instid0(SALU_CYCLE_1)
	s_mov_b32 s42, exec_lo
	v_cmpx_lt_u32_e64 v104, v135
	s_cbranch_execz .LBB503_1083
.LBB503_1149:                           ;   in Loop: Header=BB503_974 Depth=2
	global_load_b64 v[8:9], v[36:37], off offset:3328
	s_wait_alu 0xfffe
	s_or_b32 exec_lo, exec_lo, s42
	s_delay_alu instid0(SALU_CYCLE_1)
	s_mov_b32 s42, exec_lo
	v_cmpx_lt_u32_e64 v105, v135
	s_cbranch_execz .LBB503_1084
.LBB503_1150:                           ;   in Loop: Header=BB503_974 Depth=2
	global_load_b64 v[6:7], v[36:37], off offset:3584
	s_wait_alu 0xfffe
	s_or_b32 exec_lo, exec_lo, s42
	s_delay_alu instid0(SALU_CYCLE_1)
	s_mov_b32 s42, exec_lo
	v_cmpx_lt_u32_e64 v106, v135
	s_cbranch_execz .LBB503_1085
.LBB503_1151:                           ;   in Loop: Header=BB503_974 Depth=2
	global_load_b64 v[4:5], v[36:37], off offset:3840
	s_wait_alu 0xfffe
	s_or_b32 exec_lo, exec_lo, s42
	s_and_saveexec_b32 s30, vcc_lo
	s_cbranch_execz .LBB503_1086
.LBB503_1152:                           ;   in Loop: Header=BB503_974 Depth=2
	ds_load_b32 v2, v70 offset:1024
	s_wait_dscnt 0x0
	v_lshrrev_b32_e32 v2, s49, v2
	s_delay_alu instid0(VALU_DEP_1)
	v_and_b32_e32 v134, s48, v2
	s_wait_alu 0xfffe
	s_or_b32 exec_lo, exec_lo, s30
	s_and_saveexec_b32 s30, s15
	s_cbranch_execz .LBB503_1087
.LBB503_1153:                           ;   in Loop: Header=BB503_974 Depth=2
	ds_load_b32 v2, v70 offset:2048
	s_wait_dscnt 0x0
	v_lshrrev_b32_e32 v2, s49, v2
	s_delay_alu instid0(VALU_DEP_1)
	v_and_b32_e32 v133, s48, v2
	s_wait_alu 0xfffe
	s_or_b32 exec_lo, exec_lo, s30
	s_and_saveexec_b32 s30, s16
	s_cbranch_execz .LBB503_1088
.LBB503_1154:                           ;   in Loop: Header=BB503_974 Depth=2
	ds_load_b32 v2, v70 offset:3072
	s_wait_dscnt 0x0
	v_lshrrev_b32_e32 v2, s49, v2
	s_delay_alu instid0(VALU_DEP_1)
	v_and_b32_e32 v132, s48, v2
	s_wait_alu 0xfffe
	s_or_b32 exec_lo, exec_lo, s30
	s_and_saveexec_b32 s30, s17
	s_cbranch_execz .LBB503_1089
.LBB503_1155:                           ;   in Loop: Header=BB503_974 Depth=2
	ds_load_b32 v2, v70 offset:4096
	s_wait_dscnt 0x0
	v_lshrrev_b32_e32 v2, s49, v2
	s_delay_alu instid0(VALU_DEP_1)
	v_and_b32_e32 v131, s48, v2
	s_wait_alu 0xfffe
	s_or_b32 exec_lo, exec_lo, s30
	s_and_saveexec_b32 s30, s18
	s_cbranch_execz .LBB503_1090
.LBB503_1156:                           ;   in Loop: Header=BB503_974 Depth=2
	ds_load_b32 v2, v70 offset:5120
	s_wait_dscnt 0x0
	v_lshrrev_b32_e32 v2, s49, v2
	s_delay_alu instid0(VALU_DEP_1)
	v_and_b32_e32 v130, s48, v2
	s_wait_alu 0xfffe
	s_or_b32 exec_lo, exec_lo, s30
	s_and_saveexec_b32 s30, s19
	s_cbranch_execz .LBB503_1091
.LBB503_1157:                           ;   in Loop: Header=BB503_974 Depth=2
	ds_load_b32 v2, v70 offset:6144
	s_wait_dscnt 0x0
	v_lshrrev_b32_e32 v2, s49, v2
	s_delay_alu instid0(VALU_DEP_1)
	v_and_b32_e32 v129, s48, v2
	s_wait_alu 0xfffe
	s_or_b32 exec_lo, exec_lo, s30
	s_and_saveexec_b32 s30, s20
	s_cbranch_execz .LBB503_1092
.LBB503_1158:                           ;   in Loop: Header=BB503_974 Depth=2
	ds_load_b32 v2, v70 offset:7168
	s_wait_dscnt 0x0
	v_lshrrev_b32_e32 v2, s49, v2
	s_delay_alu instid0(VALU_DEP_1)
	v_and_b32_e32 v128, s48, v2
	s_wait_alu 0xfffe
	s_or_b32 exec_lo, exec_lo, s30
	s_and_saveexec_b32 s30, s21
	s_cbranch_execz .LBB503_1093
.LBB503_1159:                           ;   in Loop: Header=BB503_974 Depth=2
	ds_load_b32 v2, v70 offset:8192
	s_wait_dscnt 0x0
	v_lshrrev_b32_e32 v2, s49, v2
	s_delay_alu instid0(VALU_DEP_1)
	v_and_b32_e32 v127, s48, v2
	s_wait_alu 0xfffe
	s_or_b32 exec_lo, exec_lo, s30
	s_and_saveexec_b32 s30, s22
	s_cbranch_execz .LBB503_1094
.LBB503_1160:                           ;   in Loop: Header=BB503_974 Depth=2
	ds_load_b32 v2, v70 offset:9216
	s_wait_dscnt 0x0
	v_lshrrev_b32_e32 v2, s49, v2
	s_delay_alu instid0(VALU_DEP_1)
	v_and_b32_e32 v126, s48, v2
	s_wait_alu 0xfffe
	s_or_b32 exec_lo, exec_lo, s30
	s_and_saveexec_b32 s30, s23
	s_cbranch_execz .LBB503_1095
.LBB503_1161:                           ;   in Loop: Header=BB503_974 Depth=2
	ds_load_b32 v2, v70 offset:10240
	s_wait_dscnt 0x0
	v_lshrrev_b32_e32 v2, s49, v2
	s_delay_alu instid0(VALU_DEP_1)
	v_and_b32_e32 v125, s48, v2
	s_wait_alu 0xfffe
	s_or_b32 exec_lo, exec_lo, s30
	s_and_saveexec_b32 s30, s24
	s_cbranch_execz .LBB503_1096
.LBB503_1162:                           ;   in Loop: Header=BB503_974 Depth=2
	ds_load_b32 v2, v70 offset:11264
	s_wait_dscnt 0x0
	v_lshrrev_b32_e32 v2, s49, v2
	s_delay_alu instid0(VALU_DEP_1)
	v_and_b32_e32 v124, s48, v2
	s_wait_alu 0xfffe
	s_or_b32 exec_lo, exec_lo, s30
	s_and_saveexec_b32 s30, s25
	s_cbranch_execz .LBB503_1097
.LBB503_1163:                           ;   in Loop: Header=BB503_974 Depth=2
	ds_load_b32 v2, v70 offset:12288
	s_wait_dscnt 0x0
	v_lshrrev_b32_e32 v2, s49, v2
	s_delay_alu instid0(VALU_DEP_1)
	v_and_b32_e32 v123, s48, v2
	s_wait_alu 0xfffe
	s_or_b32 exec_lo, exec_lo, s30
	s_and_saveexec_b32 s30, s26
	s_cbranch_execz .LBB503_1098
.LBB503_1164:                           ;   in Loop: Header=BB503_974 Depth=2
	ds_load_b32 v2, v70 offset:13312
	s_wait_dscnt 0x0
	v_lshrrev_b32_e32 v2, s49, v2
	s_delay_alu instid0(VALU_DEP_1)
	v_and_b32_e32 v122, s48, v2
	s_wait_alu 0xfffe
	s_or_b32 exec_lo, exec_lo, s30
	s_and_saveexec_b32 s30, s27
	s_cbranch_execz .LBB503_1099
.LBB503_1165:                           ;   in Loop: Header=BB503_974 Depth=2
	ds_load_b32 v2, v70 offset:14336
	s_wait_dscnt 0x0
	v_lshrrev_b32_e32 v2, s49, v2
	s_delay_alu instid0(VALU_DEP_1)
	v_and_b32_e32 v121, s48, v2
	s_wait_alu 0xfffe
	s_or_b32 exec_lo, exec_lo, s30
	s_and_saveexec_b32 s30, s28
	s_cbranch_execz .LBB503_1100
.LBB503_1166:                           ;   in Loop: Header=BB503_974 Depth=2
	ds_load_b32 v2, v70 offset:15360
	s_wait_dscnt 0x0
	v_lshrrev_b32_e32 v2, s49, v2
	s_delay_alu instid0(VALU_DEP_1)
	v_and_b32_e32 v120, s48, v2
	s_wait_alu 0xfffe
	s_or_b32 exec_lo, exec_lo, s30
	s_and_saveexec_b32 s30, s29
	s_cbranch_execnz .LBB503_1101
	s_branch .LBB503_1102
.LBB503_1167:                           ;   in Loop: Header=BB503_974 Depth=2
	v_lshlrev_b32_e32 v2, 2, v134
	ds_load_b32 v2, v2
	ds_load_b64 v[39:40], v36 offset:1024
	s_wait_dscnt 0x1
	v_add_nc_u32_e32 v2, v2, v1
	s_delay_alu instid0(VALU_DEP_1) | instskip(NEXT) | instid1(VALU_DEP_1)
	v_lshlrev_b64_e32 v[41:42], 3, v[2:3]
	v_add_co_u32 v41, vcc_lo, s46, v41
	s_wait_alu 0xfffd
	s_delay_alu instid0(VALU_DEP_2)
	v_add_co_ci_u32_e64 v42, null, s47, v42, vcc_lo
	s_wait_dscnt 0x0
	global_store_b64 v[41:42], v[39:40], off
	s_wait_alu 0xfffe
	s_or_b32 exec_lo, exec_lo, s30
	s_and_saveexec_b32 s30, s15
	s_cbranch_execz .LBB503_1104
.LBB503_1168:                           ;   in Loop: Header=BB503_974 Depth=2
	v_lshlrev_b32_e32 v2, 2, v133
	ds_load_b32 v2, v2
	ds_load_b64 v[39:40], v36 offset:3072
	s_wait_dscnt 0x1
	v_add_nc_u32_e32 v2, v2, v45
	s_delay_alu instid0(VALU_DEP_1) | instskip(NEXT) | instid1(VALU_DEP_1)
	v_lshlrev_b64_e32 v[41:42], 3, v[2:3]
	v_add_co_u32 v41, vcc_lo, s46, v41
	s_wait_alu 0xfffd
	s_delay_alu instid0(VALU_DEP_2)
	v_add_co_ci_u32_e64 v42, null, s47, v42, vcc_lo
	s_wait_dscnt 0x0
	global_store_b64 v[41:42], v[39:40], off
	s_wait_alu 0xfffe
	s_or_b32 exec_lo, exec_lo, s30
	s_and_saveexec_b32 s15, s16
	s_cbranch_execz .LBB503_1105
.LBB503_1169:                           ;   in Loop: Header=BB503_974 Depth=2
	v_lshlrev_b32_e32 v2, 2, v132
	ds_load_b32 v2, v2
	ds_load_b64 v[39:40], v36 offset:5120
	s_wait_dscnt 0x1
	v_add_nc_u32_e32 v2, v2, v46
	s_delay_alu instid0(VALU_DEP_1) | instskip(NEXT) | instid1(VALU_DEP_1)
	v_lshlrev_b64_e32 v[41:42], 3, v[2:3]
	v_add_co_u32 v41, vcc_lo, s46, v41
	s_wait_alu 0xfffd
	s_delay_alu instid0(VALU_DEP_2)
	v_add_co_ci_u32_e64 v42, null, s47, v42, vcc_lo
	s_wait_dscnt 0x0
	global_store_b64 v[41:42], v[39:40], off
	s_wait_alu 0xfffe
	s_or_b32 exec_lo, exec_lo, s15
	s_and_saveexec_b32 s15, s17
	s_cbranch_execz .LBB503_1106
.LBB503_1170:                           ;   in Loop: Header=BB503_974 Depth=2
	v_lshlrev_b32_e32 v2, 2, v131
	ds_load_b32 v2, v2
	ds_load_b64 v[39:40], v36 offset:7168
	s_wait_dscnt 0x1
	v_add_nc_u32_e32 v2, v2, v47
	s_delay_alu instid0(VALU_DEP_1) | instskip(NEXT) | instid1(VALU_DEP_1)
	v_lshlrev_b64_e32 v[41:42], 3, v[2:3]
	v_add_co_u32 v41, vcc_lo, s46, v41
	s_wait_alu 0xfffd
	s_delay_alu instid0(VALU_DEP_2)
	v_add_co_ci_u32_e64 v42, null, s47, v42, vcc_lo
	s_wait_dscnt 0x0
	global_store_b64 v[41:42], v[39:40], off
	s_wait_alu 0xfffe
	s_or_b32 exec_lo, exec_lo, s15
	s_and_saveexec_b32 s15, s18
	s_cbranch_execz .LBB503_1107
.LBB503_1171:                           ;   in Loop: Header=BB503_974 Depth=2
	v_lshlrev_b32_e32 v2, 2, v130
	ds_load_b32 v2, v2
	ds_load_b64 v[39:40], v36 offset:9216
	s_wait_dscnt 0x1
	v_add_nc_u32_e32 v2, v2, v50
	s_delay_alu instid0(VALU_DEP_1) | instskip(NEXT) | instid1(VALU_DEP_1)
	v_lshlrev_b64_e32 v[41:42], 3, v[2:3]
	v_add_co_u32 v41, vcc_lo, s46, v41
	s_wait_alu 0xfffd
	s_delay_alu instid0(VALU_DEP_2)
	v_add_co_ci_u32_e64 v42, null, s47, v42, vcc_lo
	s_wait_dscnt 0x0
	global_store_b64 v[41:42], v[39:40], off
	s_wait_alu 0xfffe
	s_or_b32 exec_lo, exec_lo, s15
	s_and_saveexec_b32 s15, s19
	s_cbranch_execz .LBB503_1108
.LBB503_1172:                           ;   in Loop: Header=BB503_974 Depth=2
	v_lshlrev_b32_e32 v2, 2, v129
	ds_load_b32 v2, v2
	ds_load_b64 v[39:40], v36 offset:11264
	s_wait_dscnt 0x1
	v_add_nc_u32_e32 v2, v2, v51
	s_delay_alu instid0(VALU_DEP_1) | instskip(NEXT) | instid1(VALU_DEP_1)
	v_lshlrev_b64_e32 v[41:42], 3, v[2:3]
	v_add_co_u32 v41, vcc_lo, s46, v41
	s_wait_alu 0xfffd
	s_delay_alu instid0(VALU_DEP_2)
	v_add_co_ci_u32_e64 v42, null, s47, v42, vcc_lo
	s_wait_dscnt 0x0
	global_store_b64 v[41:42], v[39:40], off
	s_wait_alu 0xfffe
	s_or_b32 exec_lo, exec_lo, s15
	s_and_saveexec_b32 s15, s20
	s_cbranch_execz .LBB503_1109
.LBB503_1173:                           ;   in Loop: Header=BB503_974 Depth=2
	v_lshlrev_b32_e32 v2, 2, v128
	ds_load_b32 v2, v2
	ds_load_b64 v[39:40], v36 offset:13312
	s_wait_dscnt 0x1
	v_add_nc_u32_e32 v2, v2, v52
	s_delay_alu instid0(VALU_DEP_1) | instskip(NEXT) | instid1(VALU_DEP_1)
	v_lshlrev_b64_e32 v[41:42], 3, v[2:3]
	v_add_co_u32 v41, vcc_lo, s46, v41
	s_wait_alu 0xfffd
	s_delay_alu instid0(VALU_DEP_2)
	v_add_co_ci_u32_e64 v42, null, s47, v42, vcc_lo
	s_wait_dscnt 0x0
	global_store_b64 v[41:42], v[39:40], off
	s_wait_alu 0xfffe
	s_or_b32 exec_lo, exec_lo, s15
	s_and_saveexec_b32 s15, s21
	s_cbranch_execz .LBB503_1110
.LBB503_1174:                           ;   in Loop: Header=BB503_974 Depth=2
	v_lshlrev_b32_e32 v2, 2, v127
	ds_load_b32 v2, v2
	ds_load_b64 v[39:40], v36 offset:15360
	s_wait_dscnt 0x1
	v_add_nc_u32_e32 v2, v2, v53
	s_delay_alu instid0(VALU_DEP_1) | instskip(NEXT) | instid1(VALU_DEP_1)
	v_lshlrev_b64_e32 v[41:42], 3, v[2:3]
	v_add_co_u32 v41, vcc_lo, s46, v41
	s_wait_alu 0xfffd
	s_delay_alu instid0(VALU_DEP_2)
	v_add_co_ci_u32_e64 v42, null, s47, v42, vcc_lo
	s_wait_dscnt 0x0
	global_store_b64 v[41:42], v[39:40], off
	s_wait_alu 0xfffe
	s_or_b32 exec_lo, exec_lo, s15
	s_and_saveexec_b32 s15, s22
	s_cbranch_execz .LBB503_1111
.LBB503_1175:                           ;   in Loop: Header=BB503_974 Depth=2
	v_lshlrev_b32_e32 v2, 2, v126
	ds_load_b32 v2, v2
	ds_load_b64 v[39:40], v36 offset:17408
	s_wait_dscnt 0x1
	v_add_nc_u32_e32 v2, v2, v54
	s_delay_alu instid0(VALU_DEP_1) | instskip(NEXT) | instid1(VALU_DEP_1)
	v_lshlrev_b64_e32 v[41:42], 3, v[2:3]
	v_add_co_u32 v41, vcc_lo, s46, v41
	s_wait_alu 0xfffd
	s_delay_alu instid0(VALU_DEP_2)
	v_add_co_ci_u32_e64 v42, null, s47, v42, vcc_lo
	s_wait_dscnt 0x0
	global_store_b64 v[41:42], v[39:40], off
	s_wait_alu 0xfffe
	s_or_b32 exec_lo, exec_lo, s15
	s_and_saveexec_b32 s15, s23
	s_cbranch_execz .LBB503_1112
.LBB503_1176:                           ;   in Loop: Header=BB503_974 Depth=2
	v_lshlrev_b32_e32 v2, 2, v125
	ds_load_b32 v2, v2
	ds_load_b64 v[39:40], v36 offset:19456
	s_wait_dscnt 0x1
	v_add_nc_u32_e32 v2, v2, v55
	s_delay_alu instid0(VALU_DEP_1) | instskip(NEXT) | instid1(VALU_DEP_1)
	v_lshlrev_b64_e32 v[41:42], 3, v[2:3]
	v_add_co_u32 v41, vcc_lo, s46, v41
	s_wait_alu 0xfffd
	s_delay_alu instid0(VALU_DEP_2)
	v_add_co_ci_u32_e64 v42, null, s47, v42, vcc_lo
	s_wait_dscnt 0x0
	global_store_b64 v[41:42], v[39:40], off
	s_wait_alu 0xfffe
	s_or_b32 exec_lo, exec_lo, s15
	s_and_saveexec_b32 s15, s24
	s_cbranch_execz .LBB503_1113
.LBB503_1177:                           ;   in Loop: Header=BB503_974 Depth=2
	v_lshlrev_b32_e32 v2, 2, v124
	ds_load_b32 v2, v2
	ds_load_b64 v[39:40], v36 offset:21504
	s_wait_dscnt 0x1
	v_add_nc_u32_e32 v2, v2, v56
	s_delay_alu instid0(VALU_DEP_1) | instskip(NEXT) | instid1(VALU_DEP_1)
	v_lshlrev_b64_e32 v[41:42], 3, v[2:3]
	v_add_co_u32 v41, vcc_lo, s46, v41
	s_wait_alu 0xfffd
	s_delay_alu instid0(VALU_DEP_2)
	v_add_co_ci_u32_e64 v42, null, s47, v42, vcc_lo
	s_wait_dscnt 0x0
	global_store_b64 v[41:42], v[39:40], off
	s_wait_alu 0xfffe
	s_or_b32 exec_lo, exec_lo, s15
	s_and_saveexec_b32 s15, s25
	s_cbranch_execz .LBB503_1114
.LBB503_1178:                           ;   in Loop: Header=BB503_974 Depth=2
	v_lshlrev_b32_e32 v2, 2, v123
	ds_load_b32 v2, v2
	ds_load_b64 v[39:40], v36 offset:23552
	s_wait_dscnt 0x1
	v_add_nc_u32_e32 v2, v2, v57
	s_delay_alu instid0(VALU_DEP_1) | instskip(NEXT) | instid1(VALU_DEP_1)
	v_lshlrev_b64_e32 v[41:42], 3, v[2:3]
	v_add_co_u32 v41, vcc_lo, s46, v41
	s_wait_alu 0xfffd
	s_delay_alu instid0(VALU_DEP_2)
	v_add_co_ci_u32_e64 v42, null, s47, v42, vcc_lo
	s_wait_dscnt 0x0
	global_store_b64 v[41:42], v[39:40], off
	s_wait_alu 0xfffe
	s_or_b32 exec_lo, exec_lo, s15
	s_and_saveexec_b32 s15, s26
	s_cbranch_execz .LBB503_1115
.LBB503_1179:                           ;   in Loop: Header=BB503_974 Depth=2
	v_lshlrev_b32_e32 v2, 2, v122
	ds_load_b32 v2, v2
	ds_load_b64 v[39:40], v36 offset:25600
	s_wait_dscnt 0x1
	v_add_nc_u32_e32 v2, v2, v58
	s_delay_alu instid0(VALU_DEP_1) | instskip(NEXT) | instid1(VALU_DEP_1)
	v_lshlrev_b64_e32 v[41:42], 3, v[2:3]
	v_add_co_u32 v41, vcc_lo, s46, v41
	s_wait_alu 0xfffd
	s_delay_alu instid0(VALU_DEP_2)
	v_add_co_ci_u32_e64 v42, null, s47, v42, vcc_lo
	s_wait_dscnt 0x0
	global_store_b64 v[41:42], v[39:40], off
	s_wait_alu 0xfffe
	s_or_b32 exec_lo, exec_lo, s15
	s_and_saveexec_b32 s15, s27
	s_cbranch_execz .LBB503_1116
.LBB503_1180:                           ;   in Loop: Header=BB503_974 Depth=2
	v_lshlrev_b32_e32 v2, 2, v121
	ds_load_b32 v2, v2
	ds_load_b64 v[39:40], v36 offset:27648
	s_wait_dscnt 0x1
	v_add_nc_u32_e32 v2, v2, v59
	s_delay_alu instid0(VALU_DEP_1) | instskip(NEXT) | instid1(VALU_DEP_1)
	v_lshlrev_b64_e32 v[41:42], 3, v[2:3]
	v_add_co_u32 v41, vcc_lo, s46, v41
	s_wait_alu 0xfffd
	s_delay_alu instid0(VALU_DEP_2)
	v_add_co_ci_u32_e64 v42, null, s47, v42, vcc_lo
	s_wait_dscnt 0x0
	global_store_b64 v[41:42], v[39:40], off
	s_wait_alu 0xfffe
	s_or_b32 exec_lo, exec_lo, s15
	s_and_saveexec_b32 s15, s28
	s_cbranch_execz .LBB503_1117
.LBB503_1181:                           ;   in Loop: Header=BB503_974 Depth=2
	v_lshlrev_b32_e32 v2, 2, v120
	ds_load_b32 v2, v2
	ds_load_b64 v[39:40], v36 offset:29696
	s_wait_dscnt 0x1
	v_add_nc_u32_e32 v2, v2, v60
	s_delay_alu instid0(VALU_DEP_1) | instskip(NEXT) | instid1(VALU_DEP_1)
	v_lshlrev_b64_e32 v[41:42], 3, v[2:3]
	v_add_co_u32 v41, vcc_lo, s46, v41
	s_wait_alu 0xfffd
	s_delay_alu instid0(VALU_DEP_2)
	v_add_co_ci_u32_e64 v42, null, s47, v42, vcc_lo
	s_wait_dscnt 0x0
	global_store_b64 v[41:42], v[39:40], off
	s_wait_alu 0xfffe
	s_or_b32 exec_lo, exec_lo, s15
	s_and_saveexec_b32 s15, s29
	s_cbranch_execnz .LBB503_1118
	s_branch .LBB503_1119
.LBB503_1182:
	s_endpgm
	.section	.rodata,"a",@progbits
	.p2align	6, 0x0
	.amdhsa_kernel _ZN7rocprim17ROCPRIM_400000_NS6detail17trampoline_kernelINS0_14default_configENS1_36segmented_radix_sort_config_selectorIilEEZNS1_25segmented_radix_sort_implIS3_Lb1EPKiPiPKlPlN2at6native12_GLOBAL__N_18offset_tEEE10hipError_tPvRmT1_PNSt15iterator_traitsISK_E10value_typeET2_T3_PNSL_ISQ_E10value_typeET4_jRbjT5_SW_jjP12ihipStream_tbEUlT_E_NS1_11comp_targetILNS1_3genE10ELNS1_11target_archE1201ELNS1_3gpuE5ELNS1_3repE0EEENS1_30default_config_static_selectorELNS0_4arch9wavefront6targetE0EEEvSK_
		.amdhsa_group_segment_fixed_size 33824
		.amdhsa_private_segment_fixed_size 100
		.amdhsa_kernarg_size 352
		.amdhsa_user_sgpr_count 2
		.amdhsa_user_sgpr_dispatch_ptr 0
		.amdhsa_user_sgpr_queue_ptr 0
		.amdhsa_user_sgpr_kernarg_segment_ptr 1
		.amdhsa_user_sgpr_dispatch_id 0
		.amdhsa_user_sgpr_private_segment_size 0
		.amdhsa_wavefront_size32 1
		.amdhsa_uses_dynamic_stack 0
		.amdhsa_enable_private_segment 1
		.amdhsa_system_sgpr_workgroup_id_x 1
		.amdhsa_system_sgpr_workgroup_id_y 1
		.amdhsa_system_sgpr_workgroup_id_z 0
		.amdhsa_system_sgpr_workgroup_info 0
		.amdhsa_system_vgpr_workitem_id 2
		.amdhsa_next_free_vgpr 248
		.amdhsa_next_free_sgpr 58
		.amdhsa_reserve_vcc 1
		.amdhsa_float_round_mode_32 0
		.amdhsa_float_round_mode_16_64 0
		.amdhsa_float_denorm_mode_32 3
		.amdhsa_float_denorm_mode_16_64 3
		.amdhsa_fp16_overflow 0
		.amdhsa_workgroup_processor_mode 1
		.amdhsa_memory_ordered 1
		.amdhsa_forward_progress 1
		.amdhsa_inst_pref_size 255
		.amdhsa_round_robin_scheduling 0
		.amdhsa_exception_fp_ieee_invalid_op 0
		.amdhsa_exception_fp_denorm_src 0
		.amdhsa_exception_fp_ieee_div_zero 0
		.amdhsa_exception_fp_ieee_overflow 0
		.amdhsa_exception_fp_ieee_underflow 0
		.amdhsa_exception_fp_ieee_inexact 0
		.amdhsa_exception_int_div_zero 0
	.end_amdhsa_kernel
	.section	.text._ZN7rocprim17ROCPRIM_400000_NS6detail17trampoline_kernelINS0_14default_configENS1_36segmented_radix_sort_config_selectorIilEEZNS1_25segmented_radix_sort_implIS3_Lb1EPKiPiPKlPlN2at6native12_GLOBAL__N_18offset_tEEE10hipError_tPvRmT1_PNSt15iterator_traitsISK_E10value_typeET2_T3_PNSL_ISQ_E10value_typeET4_jRbjT5_SW_jjP12ihipStream_tbEUlT_E_NS1_11comp_targetILNS1_3genE10ELNS1_11target_archE1201ELNS1_3gpuE5ELNS1_3repE0EEENS1_30default_config_static_selectorELNS0_4arch9wavefront6targetE0EEEvSK_,"axG",@progbits,_ZN7rocprim17ROCPRIM_400000_NS6detail17trampoline_kernelINS0_14default_configENS1_36segmented_radix_sort_config_selectorIilEEZNS1_25segmented_radix_sort_implIS3_Lb1EPKiPiPKlPlN2at6native12_GLOBAL__N_18offset_tEEE10hipError_tPvRmT1_PNSt15iterator_traitsISK_E10value_typeET2_T3_PNSL_ISQ_E10value_typeET4_jRbjT5_SW_jjP12ihipStream_tbEUlT_E_NS1_11comp_targetILNS1_3genE10ELNS1_11target_archE1201ELNS1_3gpuE5ELNS1_3repE0EEENS1_30default_config_static_selectorELNS0_4arch9wavefront6targetE0EEEvSK_,comdat
.Lfunc_end503:
	.size	_ZN7rocprim17ROCPRIM_400000_NS6detail17trampoline_kernelINS0_14default_configENS1_36segmented_radix_sort_config_selectorIilEEZNS1_25segmented_radix_sort_implIS3_Lb1EPKiPiPKlPlN2at6native12_GLOBAL__N_18offset_tEEE10hipError_tPvRmT1_PNSt15iterator_traitsISK_E10value_typeET2_T3_PNSL_ISQ_E10value_typeET4_jRbjT5_SW_jjP12ihipStream_tbEUlT_E_NS1_11comp_targetILNS1_3genE10ELNS1_11target_archE1201ELNS1_3gpuE5ELNS1_3repE0EEENS1_30default_config_static_selectorELNS0_4arch9wavefront6targetE0EEEvSK_, .Lfunc_end503-_ZN7rocprim17ROCPRIM_400000_NS6detail17trampoline_kernelINS0_14default_configENS1_36segmented_radix_sort_config_selectorIilEEZNS1_25segmented_radix_sort_implIS3_Lb1EPKiPiPKlPlN2at6native12_GLOBAL__N_18offset_tEEE10hipError_tPvRmT1_PNSt15iterator_traitsISK_E10value_typeET2_T3_PNSL_ISQ_E10value_typeET4_jRbjT5_SW_jjP12ihipStream_tbEUlT_E_NS1_11comp_targetILNS1_3genE10ELNS1_11target_archE1201ELNS1_3gpuE5ELNS1_3repE0EEENS1_30default_config_static_selectorELNS0_4arch9wavefront6targetE0EEEvSK_
                                        ; -- End function
	.set _ZN7rocprim17ROCPRIM_400000_NS6detail17trampoline_kernelINS0_14default_configENS1_36segmented_radix_sort_config_selectorIilEEZNS1_25segmented_radix_sort_implIS3_Lb1EPKiPiPKlPlN2at6native12_GLOBAL__N_18offset_tEEE10hipError_tPvRmT1_PNSt15iterator_traitsISK_E10value_typeET2_T3_PNSL_ISQ_E10value_typeET4_jRbjT5_SW_jjP12ihipStream_tbEUlT_E_NS1_11comp_targetILNS1_3genE10ELNS1_11target_archE1201ELNS1_3gpuE5ELNS1_3repE0EEENS1_30default_config_static_selectorELNS0_4arch9wavefront6targetE0EEEvSK_.num_vgpr, max(205, .L_ZN7rocprim17ROCPRIM_400000_NS6detail40segmented_radix_sort_single_block_helperIilLj256ELj16ELb1EE4sortIPKiPiPKlPlEEbT_T0_T1_T2_jjjjRNS3_12storage_typeE.num_vgpr)
	.set _ZN7rocprim17ROCPRIM_400000_NS6detail17trampoline_kernelINS0_14default_configENS1_36segmented_radix_sort_config_selectorIilEEZNS1_25segmented_radix_sort_implIS3_Lb1EPKiPiPKlPlN2at6native12_GLOBAL__N_18offset_tEEE10hipError_tPvRmT1_PNSt15iterator_traitsISK_E10value_typeET2_T3_PNSL_ISQ_E10value_typeET4_jRbjT5_SW_jjP12ihipStream_tbEUlT_E_NS1_11comp_targetILNS1_3genE10ELNS1_11target_archE1201ELNS1_3gpuE5ELNS1_3repE0EEENS1_30default_config_static_selectorELNS0_4arch9wavefront6targetE0EEEvSK_.num_agpr, max(0, .L_ZN7rocprim17ROCPRIM_400000_NS6detail40segmented_radix_sort_single_block_helperIilLj256ELj16ELb1EE4sortIPKiPiPKlPlEEbT_T0_T1_T2_jjjjRNS3_12storage_typeE.num_agpr)
	.set _ZN7rocprim17ROCPRIM_400000_NS6detail17trampoline_kernelINS0_14default_configENS1_36segmented_radix_sort_config_selectorIilEEZNS1_25segmented_radix_sort_implIS3_Lb1EPKiPiPKlPlN2at6native12_GLOBAL__N_18offset_tEEE10hipError_tPvRmT1_PNSt15iterator_traitsISK_E10value_typeET2_T3_PNSL_ISQ_E10value_typeET4_jRbjT5_SW_jjP12ihipStream_tbEUlT_E_NS1_11comp_targetILNS1_3genE10ELNS1_11target_archE1201ELNS1_3gpuE5ELNS1_3repE0EEENS1_30default_config_static_selectorELNS0_4arch9wavefront6targetE0EEEvSK_.numbered_sgpr, max(58, .L_ZN7rocprim17ROCPRIM_400000_NS6detail40segmented_radix_sort_single_block_helperIilLj256ELj16ELb1EE4sortIPKiPiPKlPlEEbT_T0_T1_T2_jjjjRNS3_12storage_typeE.numbered_sgpr)
	.set _ZN7rocprim17ROCPRIM_400000_NS6detail17trampoline_kernelINS0_14default_configENS1_36segmented_radix_sort_config_selectorIilEEZNS1_25segmented_radix_sort_implIS3_Lb1EPKiPiPKlPlN2at6native12_GLOBAL__N_18offset_tEEE10hipError_tPvRmT1_PNSt15iterator_traitsISK_E10value_typeET2_T3_PNSL_ISQ_E10value_typeET4_jRbjT5_SW_jjP12ihipStream_tbEUlT_E_NS1_11comp_targetILNS1_3genE10ELNS1_11target_archE1201ELNS1_3gpuE5ELNS1_3repE0EEENS1_30default_config_static_selectorELNS0_4arch9wavefront6targetE0EEEvSK_.num_named_barrier, max(0, .L_ZN7rocprim17ROCPRIM_400000_NS6detail40segmented_radix_sort_single_block_helperIilLj256ELj16ELb1EE4sortIPKiPiPKlPlEEbT_T0_T1_T2_jjjjRNS3_12storage_typeE.num_named_barrier)
	.set _ZN7rocprim17ROCPRIM_400000_NS6detail17trampoline_kernelINS0_14default_configENS1_36segmented_radix_sort_config_selectorIilEEZNS1_25segmented_radix_sort_implIS3_Lb1EPKiPiPKlPlN2at6native12_GLOBAL__N_18offset_tEEE10hipError_tPvRmT1_PNSt15iterator_traitsISK_E10value_typeET2_T3_PNSL_ISQ_E10value_typeET4_jRbjT5_SW_jjP12ihipStream_tbEUlT_E_NS1_11comp_targetILNS1_3genE10ELNS1_11target_archE1201ELNS1_3gpuE5ELNS1_3repE0EEENS1_30default_config_static_selectorELNS0_4arch9wavefront6targetE0EEEvSK_.private_seg_size, 0+max(.L_ZN7rocprim17ROCPRIM_400000_NS6detail40segmented_radix_sort_single_block_helperIilLj256ELj16ELb1EE4sortIPKiPiPKlPlEEbT_T0_T1_T2_jjjjRNS3_12storage_typeE.private_seg_size)
	.set _ZN7rocprim17ROCPRIM_400000_NS6detail17trampoline_kernelINS0_14default_configENS1_36segmented_radix_sort_config_selectorIilEEZNS1_25segmented_radix_sort_implIS3_Lb1EPKiPiPKlPlN2at6native12_GLOBAL__N_18offset_tEEE10hipError_tPvRmT1_PNSt15iterator_traitsISK_E10value_typeET2_T3_PNSL_ISQ_E10value_typeET4_jRbjT5_SW_jjP12ihipStream_tbEUlT_E_NS1_11comp_targetILNS1_3genE10ELNS1_11target_archE1201ELNS1_3gpuE5ELNS1_3repE0EEENS1_30default_config_static_selectorELNS0_4arch9wavefront6targetE0EEEvSK_.uses_vcc, or(1, .L_ZN7rocprim17ROCPRIM_400000_NS6detail40segmented_radix_sort_single_block_helperIilLj256ELj16ELb1EE4sortIPKiPiPKlPlEEbT_T0_T1_T2_jjjjRNS3_12storage_typeE.uses_vcc)
	.set _ZN7rocprim17ROCPRIM_400000_NS6detail17trampoline_kernelINS0_14default_configENS1_36segmented_radix_sort_config_selectorIilEEZNS1_25segmented_radix_sort_implIS3_Lb1EPKiPiPKlPlN2at6native12_GLOBAL__N_18offset_tEEE10hipError_tPvRmT1_PNSt15iterator_traitsISK_E10value_typeET2_T3_PNSL_ISQ_E10value_typeET4_jRbjT5_SW_jjP12ihipStream_tbEUlT_E_NS1_11comp_targetILNS1_3genE10ELNS1_11target_archE1201ELNS1_3gpuE5ELNS1_3repE0EEENS1_30default_config_static_selectorELNS0_4arch9wavefront6targetE0EEEvSK_.uses_flat_scratch, or(0, .L_ZN7rocprim17ROCPRIM_400000_NS6detail40segmented_radix_sort_single_block_helperIilLj256ELj16ELb1EE4sortIPKiPiPKlPlEEbT_T0_T1_T2_jjjjRNS3_12storage_typeE.uses_flat_scratch)
	.set _ZN7rocprim17ROCPRIM_400000_NS6detail17trampoline_kernelINS0_14default_configENS1_36segmented_radix_sort_config_selectorIilEEZNS1_25segmented_radix_sort_implIS3_Lb1EPKiPiPKlPlN2at6native12_GLOBAL__N_18offset_tEEE10hipError_tPvRmT1_PNSt15iterator_traitsISK_E10value_typeET2_T3_PNSL_ISQ_E10value_typeET4_jRbjT5_SW_jjP12ihipStream_tbEUlT_E_NS1_11comp_targetILNS1_3genE10ELNS1_11target_archE1201ELNS1_3gpuE5ELNS1_3repE0EEENS1_30default_config_static_selectorELNS0_4arch9wavefront6targetE0EEEvSK_.has_dyn_sized_stack, or(0, .L_ZN7rocprim17ROCPRIM_400000_NS6detail40segmented_radix_sort_single_block_helperIilLj256ELj16ELb1EE4sortIPKiPiPKlPlEEbT_T0_T1_T2_jjjjRNS3_12storage_typeE.has_dyn_sized_stack)
	.set _ZN7rocprim17ROCPRIM_400000_NS6detail17trampoline_kernelINS0_14default_configENS1_36segmented_radix_sort_config_selectorIilEEZNS1_25segmented_radix_sort_implIS3_Lb1EPKiPiPKlPlN2at6native12_GLOBAL__N_18offset_tEEE10hipError_tPvRmT1_PNSt15iterator_traitsISK_E10value_typeET2_T3_PNSL_ISQ_E10value_typeET4_jRbjT5_SW_jjP12ihipStream_tbEUlT_E_NS1_11comp_targetILNS1_3genE10ELNS1_11target_archE1201ELNS1_3gpuE5ELNS1_3repE0EEENS1_30default_config_static_selectorELNS0_4arch9wavefront6targetE0EEEvSK_.has_recursion, or(0, .L_ZN7rocprim17ROCPRIM_400000_NS6detail40segmented_radix_sort_single_block_helperIilLj256ELj16ELb1EE4sortIPKiPiPKlPlEEbT_T0_T1_T2_jjjjRNS3_12storage_typeE.has_recursion)
	.set _ZN7rocprim17ROCPRIM_400000_NS6detail17trampoline_kernelINS0_14default_configENS1_36segmented_radix_sort_config_selectorIilEEZNS1_25segmented_radix_sort_implIS3_Lb1EPKiPiPKlPlN2at6native12_GLOBAL__N_18offset_tEEE10hipError_tPvRmT1_PNSt15iterator_traitsISK_E10value_typeET2_T3_PNSL_ISQ_E10value_typeET4_jRbjT5_SW_jjP12ihipStream_tbEUlT_E_NS1_11comp_targetILNS1_3genE10ELNS1_11target_archE1201ELNS1_3gpuE5ELNS1_3repE0EEENS1_30default_config_static_selectorELNS0_4arch9wavefront6targetE0EEEvSK_.has_indirect_call, or(0, .L_ZN7rocprim17ROCPRIM_400000_NS6detail40segmented_radix_sort_single_block_helperIilLj256ELj16ELb1EE4sortIPKiPiPKlPlEEbT_T0_T1_T2_jjjjRNS3_12storage_typeE.has_indirect_call)
	.section	.AMDGPU.csdata,"",@progbits
; Kernel info:
; codeLenInByte = 74568
; TotalNumSgprs: 60
; NumVgprs: 248
; ScratchSize: 100
; MemoryBound: 0
; FloatMode: 240
; IeeeMode: 1
; LDSByteSize: 33824 bytes/workgroup (compile time only)
; SGPRBlocks: 0
; VGPRBlocks: 30
; NumSGPRsForWavesPerEU: 60
; NumVGPRsForWavesPerEU: 248
; Occupancy: 5
; WaveLimiterHint : 1
; COMPUTE_PGM_RSRC2:SCRATCH_EN: 1
; COMPUTE_PGM_RSRC2:USER_SGPR: 2
; COMPUTE_PGM_RSRC2:TRAP_HANDLER: 0
; COMPUTE_PGM_RSRC2:TGID_X_EN: 1
; COMPUTE_PGM_RSRC2:TGID_Y_EN: 1
; COMPUTE_PGM_RSRC2:TGID_Z_EN: 0
; COMPUTE_PGM_RSRC2:TIDIG_COMP_CNT: 2
	.section	.text._ZN7rocprim17ROCPRIM_400000_NS6detail17trampoline_kernelINS0_14default_configENS1_36segmented_radix_sort_config_selectorIilEEZNS1_25segmented_radix_sort_implIS3_Lb1EPKiPiPKlPlN2at6native12_GLOBAL__N_18offset_tEEE10hipError_tPvRmT1_PNSt15iterator_traitsISK_E10value_typeET2_T3_PNSL_ISQ_E10value_typeET4_jRbjT5_SW_jjP12ihipStream_tbEUlT_E_NS1_11comp_targetILNS1_3genE10ELNS1_11target_archE1200ELNS1_3gpuE4ELNS1_3repE0EEENS1_30default_config_static_selectorELNS0_4arch9wavefront6targetE0EEEvSK_,"axG",@progbits,_ZN7rocprim17ROCPRIM_400000_NS6detail17trampoline_kernelINS0_14default_configENS1_36segmented_radix_sort_config_selectorIilEEZNS1_25segmented_radix_sort_implIS3_Lb1EPKiPiPKlPlN2at6native12_GLOBAL__N_18offset_tEEE10hipError_tPvRmT1_PNSt15iterator_traitsISK_E10value_typeET2_T3_PNSL_ISQ_E10value_typeET4_jRbjT5_SW_jjP12ihipStream_tbEUlT_E_NS1_11comp_targetILNS1_3genE10ELNS1_11target_archE1200ELNS1_3gpuE4ELNS1_3repE0EEENS1_30default_config_static_selectorELNS0_4arch9wavefront6targetE0EEEvSK_,comdat
	.globl	_ZN7rocprim17ROCPRIM_400000_NS6detail17trampoline_kernelINS0_14default_configENS1_36segmented_radix_sort_config_selectorIilEEZNS1_25segmented_radix_sort_implIS3_Lb1EPKiPiPKlPlN2at6native12_GLOBAL__N_18offset_tEEE10hipError_tPvRmT1_PNSt15iterator_traitsISK_E10value_typeET2_T3_PNSL_ISQ_E10value_typeET4_jRbjT5_SW_jjP12ihipStream_tbEUlT_E_NS1_11comp_targetILNS1_3genE10ELNS1_11target_archE1200ELNS1_3gpuE4ELNS1_3repE0EEENS1_30default_config_static_selectorELNS0_4arch9wavefront6targetE0EEEvSK_ ; -- Begin function _ZN7rocprim17ROCPRIM_400000_NS6detail17trampoline_kernelINS0_14default_configENS1_36segmented_radix_sort_config_selectorIilEEZNS1_25segmented_radix_sort_implIS3_Lb1EPKiPiPKlPlN2at6native12_GLOBAL__N_18offset_tEEE10hipError_tPvRmT1_PNSt15iterator_traitsISK_E10value_typeET2_T3_PNSL_ISQ_E10value_typeET4_jRbjT5_SW_jjP12ihipStream_tbEUlT_E_NS1_11comp_targetILNS1_3genE10ELNS1_11target_archE1200ELNS1_3gpuE4ELNS1_3repE0EEENS1_30default_config_static_selectorELNS0_4arch9wavefront6targetE0EEEvSK_
	.p2align	8
	.type	_ZN7rocprim17ROCPRIM_400000_NS6detail17trampoline_kernelINS0_14default_configENS1_36segmented_radix_sort_config_selectorIilEEZNS1_25segmented_radix_sort_implIS3_Lb1EPKiPiPKlPlN2at6native12_GLOBAL__N_18offset_tEEE10hipError_tPvRmT1_PNSt15iterator_traitsISK_E10value_typeET2_T3_PNSL_ISQ_E10value_typeET4_jRbjT5_SW_jjP12ihipStream_tbEUlT_E_NS1_11comp_targetILNS1_3genE10ELNS1_11target_archE1200ELNS1_3gpuE4ELNS1_3repE0EEENS1_30default_config_static_selectorELNS0_4arch9wavefront6targetE0EEEvSK_,@function
_ZN7rocprim17ROCPRIM_400000_NS6detail17trampoline_kernelINS0_14default_configENS1_36segmented_radix_sort_config_selectorIilEEZNS1_25segmented_radix_sort_implIS3_Lb1EPKiPiPKlPlN2at6native12_GLOBAL__N_18offset_tEEE10hipError_tPvRmT1_PNSt15iterator_traitsISK_E10value_typeET2_T3_PNSL_ISQ_E10value_typeET4_jRbjT5_SW_jjP12ihipStream_tbEUlT_E_NS1_11comp_targetILNS1_3genE10ELNS1_11target_archE1200ELNS1_3gpuE4ELNS1_3repE0EEENS1_30default_config_static_selectorELNS0_4arch9wavefront6targetE0EEEvSK_: ; @_ZN7rocprim17ROCPRIM_400000_NS6detail17trampoline_kernelINS0_14default_configENS1_36segmented_radix_sort_config_selectorIilEEZNS1_25segmented_radix_sort_implIS3_Lb1EPKiPiPKlPlN2at6native12_GLOBAL__N_18offset_tEEE10hipError_tPvRmT1_PNSt15iterator_traitsISK_E10value_typeET2_T3_PNSL_ISQ_E10value_typeET4_jRbjT5_SW_jjP12ihipStream_tbEUlT_E_NS1_11comp_targetILNS1_3genE10ELNS1_11target_archE1200ELNS1_3gpuE4ELNS1_3repE0EEENS1_30default_config_static_selectorELNS0_4arch9wavefront6targetE0EEEvSK_
; %bb.0:
	.section	.rodata,"a",@progbits
	.p2align	6, 0x0
	.amdhsa_kernel _ZN7rocprim17ROCPRIM_400000_NS6detail17trampoline_kernelINS0_14default_configENS1_36segmented_radix_sort_config_selectorIilEEZNS1_25segmented_radix_sort_implIS3_Lb1EPKiPiPKlPlN2at6native12_GLOBAL__N_18offset_tEEE10hipError_tPvRmT1_PNSt15iterator_traitsISK_E10value_typeET2_T3_PNSL_ISQ_E10value_typeET4_jRbjT5_SW_jjP12ihipStream_tbEUlT_E_NS1_11comp_targetILNS1_3genE10ELNS1_11target_archE1200ELNS1_3gpuE4ELNS1_3repE0EEENS1_30default_config_static_selectorELNS0_4arch9wavefront6targetE0EEEvSK_
		.amdhsa_group_segment_fixed_size 0
		.amdhsa_private_segment_fixed_size 0
		.amdhsa_kernarg_size 96
		.amdhsa_user_sgpr_count 2
		.amdhsa_user_sgpr_dispatch_ptr 0
		.amdhsa_user_sgpr_queue_ptr 0
		.amdhsa_user_sgpr_kernarg_segment_ptr 1
		.amdhsa_user_sgpr_dispatch_id 0
		.amdhsa_user_sgpr_private_segment_size 0
		.amdhsa_wavefront_size32 1
		.amdhsa_uses_dynamic_stack 0
		.amdhsa_enable_private_segment 0
		.amdhsa_system_sgpr_workgroup_id_x 1
		.amdhsa_system_sgpr_workgroup_id_y 0
		.amdhsa_system_sgpr_workgroup_id_z 0
		.amdhsa_system_sgpr_workgroup_info 0
		.amdhsa_system_vgpr_workitem_id 0
		.amdhsa_next_free_vgpr 1
		.amdhsa_next_free_sgpr 1
		.amdhsa_reserve_vcc 0
		.amdhsa_float_round_mode_32 0
		.amdhsa_float_round_mode_16_64 0
		.amdhsa_float_denorm_mode_32 3
		.amdhsa_float_denorm_mode_16_64 3
		.amdhsa_fp16_overflow 0
		.amdhsa_workgroup_processor_mode 1
		.amdhsa_memory_ordered 1
		.amdhsa_forward_progress 1
		.amdhsa_inst_pref_size 0
		.amdhsa_round_robin_scheduling 0
		.amdhsa_exception_fp_ieee_invalid_op 0
		.amdhsa_exception_fp_denorm_src 0
		.amdhsa_exception_fp_ieee_div_zero 0
		.amdhsa_exception_fp_ieee_overflow 0
		.amdhsa_exception_fp_ieee_underflow 0
		.amdhsa_exception_fp_ieee_inexact 0
		.amdhsa_exception_int_div_zero 0
	.end_amdhsa_kernel
	.section	.text._ZN7rocprim17ROCPRIM_400000_NS6detail17trampoline_kernelINS0_14default_configENS1_36segmented_radix_sort_config_selectorIilEEZNS1_25segmented_radix_sort_implIS3_Lb1EPKiPiPKlPlN2at6native12_GLOBAL__N_18offset_tEEE10hipError_tPvRmT1_PNSt15iterator_traitsISK_E10value_typeET2_T3_PNSL_ISQ_E10value_typeET4_jRbjT5_SW_jjP12ihipStream_tbEUlT_E_NS1_11comp_targetILNS1_3genE10ELNS1_11target_archE1200ELNS1_3gpuE4ELNS1_3repE0EEENS1_30default_config_static_selectorELNS0_4arch9wavefront6targetE0EEEvSK_,"axG",@progbits,_ZN7rocprim17ROCPRIM_400000_NS6detail17trampoline_kernelINS0_14default_configENS1_36segmented_radix_sort_config_selectorIilEEZNS1_25segmented_radix_sort_implIS3_Lb1EPKiPiPKlPlN2at6native12_GLOBAL__N_18offset_tEEE10hipError_tPvRmT1_PNSt15iterator_traitsISK_E10value_typeET2_T3_PNSL_ISQ_E10value_typeET4_jRbjT5_SW_jjP12ihipStream_tbEUlT_E_NS1_11comp_targetILNS1_3genE10ELNS1_11target_archE1200ELNS1_3gpuE4ELNS1_3repE0EEENS1_30default_config_static_selectorELNS0_4arch9wavefront6targetE0EEEvSK_,comdat
.Lfunc_end504:
	.size	_ZN7rocprim17ROCPRIM_400000_NS6detail17trampoline_kernelINS0_14default_configENS1_36segmented_radix_sort_config_selectorIilEEZNS1_25segmented_radix_sort_implIS3_Lb1EPKiPiPKlPlN2at6native12_GLOBAL__N_18offset_tEEE10hipError_tPvRmT1_PNSt15iterator_traitsISK_E10value_typeET2_T3_PNSL_ISQ_E10value_typeET4_jRbjT5_SW_jjP12ihipStream_tbEUlT_E_NS1_11comp_targetILNS1_3genE10ELNS1_11target_archE1200ELNS1_3gpuE4ELNS1_3repE0EEENS1_30default_config_static_selectorELNS0_4arch9wavefront6targetE0EEEvSK_, .Lfunc_end504-_ZN7rocprim17ROCPRIM_400000_NS6detail17trampoline_kernelINS0_14default_configENS1_36segmented_radix_sort_config_selectorIilEEZNS1_25segmented_radix_sort_implIS3_Lb1EPKiPiPKlPlN2at6native12_GLOBAL__N_18offset_tEEE10hipError_tPvRmT1_PNSt15iterator_traitsISK_E10value_typeET2_T3_PNSL_ISQ_E10value_typeET4_jRbjT5_SW_jjP12ihipStream_tbEUlT_E_NS1_11comp_targetILNS1_3genE10ELNS1_11target_archE1200ELNS1_3gpuE4ELNS1_3repE0EEENS1_30default_config_static_selectorELNS0_4arch9wavefront6targetE0EEEvSK_
                                        ; -- End function
	.set _ZN7rocprim17ROCPRIM_400000_NS6detail17trampoline_kernelINS0_14default_configENS1_36segmented_radix_sort_config_selectorIilEEZNS1_25segmented_radix_sort_implIS3_Lb1EPKiPiPKlPlN2at6native12_GLOBAL__N_18offset_tEEE10hipError_tPvRmT1_PNSt15iterator_traitsISK_E10value_typeET2_T3_PNSL_ISQ_E10value_typeET4_jRbjT5_SW_jjP12ihipStream_tbEUlT_E_NS1_11comp_targetILNS1_3genE10ELNS1_11target_archE1200ELNS1_3gpuE4ELNS1_3repE0EEENS1_30default_config_static_selectorELNS0_4arch9wavefront6targetE0EEEvSK_.num_vgpr, 0
	.set _ZN7rocprim17ROCPRIM_400000_NS6detail17trampoline_kernelINS0_14default_configENS1_36segmented_radix_sort_config_selectorIilEEZNS1_25segmented_radix_sort_implIS3_Lb1EPKiPiPKlPlN2at6native12_GLOBAL__N_18offset_tEEE10hipError_tPvRmT1_PNSt15iterator_traitsISK_E10value_typeET2_T3_PNSL_ISQ_E10value_typeET4_jRbjT5_SW_jjP12ihipStream_tbEUlT_E_NS1_11comp_targetILNS1_3genE10ELNS1_11target_archE1200ELNS1_3gpuE4ELNS1_3repE0EEENS1_30default_config_static_selectorELNS0_4arch9wavefront6targetE0EEEvSK_.num_agpr, 0
	.set _ZN7rocprim17ROCPRIM_400000_NS6detail17trampoline_kernelINS0_14default_configENS1_36segmented_radix_sort_config_selectorIilEEZNS1_25segmented_radix_sort_implIS3_Lb1EPKiPiPKlPlN2at6native12_GLOBAL__N_18offset_tEEE10hipError_tPvRmT1_PNSt15iterator_traitsISK_E10value_typeET2_T3_PNSL_ISQ_E10value_typeET4_jRbjT5_SW_jjP12ihipStream_tbEUlT_E_NS1_11comp_targetILNS1_3genE10ELNS1_11target_archE1200ELNS1_3gpuE4ELNS1_3repE0EEENS1_30default_config_static_selectorELNS0_4arch9wavefront6targetE0EEEvSK_.numbered_sgpr, 0
	.set _ZN7rocprim17ROCPRIM_400000_NS6detail17trampoline_kernelINS0_14default_configENS1_36segmented_radix_sort_config_selectorIilEEZNS1_25segmented_radix_sort_implIS3_Lb1EPKiPiPKlPlN2at6native12_GLOBAL__N_18offset_tEEE10hipError_tPvRmT1_PNSt15iterator_traitsISK_E10value_typeET2_T3_PNSL_ISQ_E10value_typeET4_jRbjT5_SW_jjP12ihipStream_tbEUlT_E_NS1_11comp_targetILNS1_3genE10ELNS1_11target_archE1200ELNS1_3gpuE4ELNS1_3repE0EEENS1_30default_config_static_selectorELNS0_4arch9wavefront6targetE0EEEvSK_.num_named_barrier, 0
	.set _ZN7rocprim17ROCPRIM_400000_NS6detail17trampoline_kernelINS0_14default_configENS1_36segmented_radix_sort_config_selectorIilEEZNS1_25segmented_radix_sort_implIS3_Lb1EPKiPiPKlPlN2at6native12_GLOBAL__N_18offset_tEEE10hipError_tPvRmT1_PNSt15iterator_traitsISK_E10value_typeET2_T3_PNSL_ISQ_E10value_typeET4_jRbjT5_SW_jjP12ihipStream_tbEUlT_E_NS1_11comp_targetILNS1_3genE10ELNS1_11target_archE1200ELNS1_3gpuE4ELNS1_3repE0EEENS1_30default_config_static_selectorELNS0_4arch9wavefront6targetE0EEEvSK_.private_seg_size, 0
	.set _ZN7rocprim17ROCPRIM_400000_NS6detail17trampoline_kernelINS0_14default_configENS1_36segmented_radix_sort_config_selectorIilEEZNS1_25segmented_radix_sort_implIS3_Lb1EPKiPiPKlPlN2at6native12_GLOBAL__N_18offset_tEEE10hipError_tPvRmT1_PNSt15iterator_traitsISK_E10value_typeET2_T3_PNSL_ISQ_E10value_typeET4_jRbjT5_SW_jjP12ihipStream_tbEUlT_E_NS1_11comp_targetILNS1_3genE10ELNS1_11target_archE1200ELNS1_3gpuE4ELNS1_3repE0EEENS1_30default_config_static_selectorELNS0_4arch9wavefront6targetE0EEEvSK_.uses_vcc, 0
	.set _ZN7rocprim17ROCPRIM_400000_NS6detail17trampoline_kernelINS0_14default_configENS1_36segmented_radix_sort_config_selectorIilEEZNS1_25segmented_radix_sort_implIS3_Lb1EPKiPiPKlPlN2at6native12_GLOBAL__N_18offset_tEEE10hipError_tPvRmT1_PNSt15iterator_traitsISK_E10value_typeET2_T3_PNSL_ISQ_E10value_typeET4_jRbjT5_SW_jjP12ihipStream_tbEUlT_E_NS1_11comp_targetILNS1_3genE10ELNS1_11target_archE1200ELNS1_3gpuE4ELNS1_3repE0EEENS1_30default_config_static_selectorELNS0_4arch9wavefront6targetE0EEEvSK_.uses_flat_scratch, 0
	.set _ZN7rocprim17ROCPRIM_400000_NS6detail17trampoline_kernelINS0_14default_configENS1_36segmented_radix_sort_config_selectorIilEEZNS1_25segmented_radix_sort_implIS3_Lb1EPKiPiPKlPlN2at6native12_GLOBAL__N_18offset_tEEE10hipError_tPvRmT1_PNSt15iterator_traitsISK_E10value_typeET2_T3_PNSL_ISQ_E10value_typeET4_jRbjT5_SW_jjP12ihipStream_tbEUlT_E_NS1_11comp_targetILNS1_3genE10ELNS1_11target_archE1200ELNS1_3gpuE4ELNS1_3repE0EEENS1_30default_config_static_selectorELNS0_4arch9wavefront6targetE0EEEvSK_.has_dyn_sized_stack, 0
	.set _ZN7rocprim17ROCPRIM_400000_NS6detail17trampoline_kernelINS0_14default_configENS1_36segmented_radix_sort_config_selectorIilEEZNS1_25segmented_radix_sort_implIS3_Lb1EPKiPiPKlPlN2at6native12_GLOBAL__N_18offset_tEEE10hipError_tPvRmT1_PNSt15iterator_traitsISK_E10value_typeET2_T3_PNSL_ISQ_E10value_typeET4_jRbjT5_SW_jjP12ihipStream_tbEUlT_E_NS1_11comp_targetILNS1_3genE10ELNS1_11target_archE1200ELNS1_3gpuE4ELNS1_3repE0EEENS1_30default_config_static_selectorELNS0_4arch9wavefront6targetE0EEEvSK_.has_recursion, 0
	.set _ZN7rocprim17ROCPRIM_400000_NS6detail17trampoline_kernelINS0_14default_configENS1_36segmented_radix_sort_config_selectorIilEEZNS1_25segmented_radix_sort_implIS3_Lb1EPKiPiPKlPlN2at6native12_GLOBAL__N_18offset_tEEE10hipError_tPvRmT1_PNSt15iterator_traitsISK_E10value_typeET2_T3_PNSL_ISQ_E10value_typeET4_jRbjT5_SW_jjP12ihipStream_tbEUlT_E_NS1_11comp_targetILNS1_3genE10ELNS1_11target_archE1200ELNS1_3gpuE4ELNS1_3repE0EEENS1_30default_config_static_selectorELNS0_4arch9wavefront6targetE0EEEvSK_.has_indirect_call, 0
	.section	.AMDGPU.csdata,"",@progbits
; Kernel info:
; codeLenInByte = 0
; TotalNumSgprs: 0
; NumVgprs: 0
; ScratchSize: 0
; MemoryBound: 0
; FloatMode: 240
; IeeeMode: 1
; LDSByteSize: 0 bytes/workgroup (compile time only)
; SGPRBlocks: 0
; VGPRBlocks: 0
; NumSGPRsForWavesPerEU: 1
; NumVGPRsForWavesPerEU: 1
; Occupancy: 16
; WaveLimiterHint : 0
; COMPUTE_PGM_RSRC2:SCRATCH_EN: 0
; COMPUTE_PGM_RSRC2:USER_SGPR: 2
; COMPUTE_PGM_RSRC2:TRAP_HANDLER: 0
; COMPUTE_PGM_RSRC2:TGID_X_EN: 1
; COMPUTE_PGM_RSRC2:TGID_Y_EN: 0
; COMPUTE_PGM_RSRC2:TGID_Z_EN: 0
; COMPUTE_PGM_RSRC2:TIDIG_COMP_CNT: 0
	.section	.text._ZN7rocprim17ROCPRIM_400000_NS6detail17trampoline_kernelINS0_14default_configENS1_36segmented_radix_sort_config_selectorIilEEZNS1_25segmented_radix_sort_implIS3_Lb1EPKiPiPKlPlN2at6native12_GLOBAL__N_18offset_tEEE10hipError_tPvRmT1_PNSt15iterator_traitsISK_E10value_typeET2_T3_PNSL_ISQ_E10value_typeET4_jRbjT5_SW_jjP12ihipStream_tbEUlT_E_NS1_11comp_targetILNS1_3genE9ELNS1_11target_archE1100ELNS1_3gpuE3ELNS1_3repE0EEENS1_30default_config_static_selectorELNS0_4arch9wavefront6targetE0EEEvSK_,"axG",@progbits,_ZN7rocprim17ROCPRIM_400000_NS6detail17trampoline_kernelINS0_14default_configENS1_36segmented_radix_sort_config_selectorIilEEZNS1_25segmented_radix_sort_implIS3_Lb1EPKiPiPKlPlN2at6native12_GLOBAL__N_18offset_tEEE10hipError_tPvRmT1_PNSt15iterator_traitsISK_E10value_typeET2_T3_PNSL_ISQ_E10value_typeET4_jRbjT5_SW_jjP12ihipStream_tbEUlT_E_NS1_11comp_targetILNS1_3genE9ELNS1_11target_archE1100ELNS1_3gpuE3ELNS1_3repE0EEENS1_30default_config_static_selectorELNS0_4arch9wavefront6targetE0EEEvSK_,comdat
	.globl	_ZN7rocprim17ROCPRIM_400000_NS6detail17trampoline_kernelINS0_14default_configENS1_36segmented_radix_sort_config_selectorIilEEZNS1_25segmented_radix_sort_implIS3_Lb1EPKiPiPKlPlN2at6native12_GLOBAL__N_18offset_tEEE10hipError_tPvRmT1_PNSt15iterator_traitsISK_E10value_typeET2_T3_PNSL_ISQ_E10value_typeET4_jRbjT5_SW_jjP12ihipStream_tbEUlT_E_NS1_11comp_targetILNS1_3genE9ELNS1_11target_archE1100ELNS1_3gpuE3ELNS1_3repE0EEENS1_30default_config_static_selectorELNS0_4arch9wavefront6targetE0EEEvSK_ ; -- Begin function _ZN7rocprim17ROCPRIM_400000_NS6detail17trampoline_kernelINS0_14default_configENS1_36segmented_radix_sort_config_selectorIilEEZNS1_25segmented_radix_sort_implIS3_Lb1EPKiPiPKlPlN2at6native12_GLOBAL__N_18offset_tEEE10hipError_tPvRmT1_PNSt15iterator_traitsISK_E10value_typeET2_T3_PNSL_ISQ_E10value_typeET4_jRbjT5_SW_jjP12ihipStream_tbEUlT_E_NS1_11comp_targetILNS1_3genE9ELNS1_11target_archE1100ELNS1_3gpuE3ELNS1_3repE0EEENS1_30default_config_static_selectorELNS0_4arch9wavefront6targetE0EEEvSK_
	.p2align	8
	.type	_ZN7rocprim17ROCPRIM_400000_NS6detail17trampoline_kernelINS0_14default_configENS1_36segmented_radix_sort_config_selectorIilEEZNS1_25segmented_radix_sort_implIS3_Lb1EPKiPiPKlPlN2at6native12_GLOBAL__N_18offset_tEEE10hipError_tPvRmT1_PNSt15iterator_traitsISK_E10value_typeET2_T3_PNSL_ISQ_E10value_typeET4_jRbjT5_SW_jjP12ihipStream_tbEUlT_E_NS1_11comp_targetILNS1_3genE9ELNS1_11target_archE1100ELNS1_3gpuE3ELNS1_3repE0EEENS1_30default_config_static_selectorELNS0_4arch9wavefront6targetE0EEEvSK_,@function
_ZN7rocprim17ROCPRIM_400000_NS6detail17trampoline_kernelINS0_14default_configENS1_36segmented_radix_sort_config_selectorIilEEZNS1_25segmented_radix_sort_implIS3_Lb1EPKiPiPKlPlN2at6native12_GLOBAL__N_18offset_tEEE10hipError_tPvRmT1_PNSt15iterator_traitsISK_E10value_typeET2_T3_PNSL_ISQ_E10value_typeET4_jRbjT5_SW_jjP12ihipStream_tbEUlT_E_NS1_11comp_targetILNS1_3genE9ELNS1_11target_archE1100ELNS1_3gpuE3ELNS1_3repE0EEENS1_30default_config_static_selectorELNS0_4arch9wavefront6targetE0EEEvSK_: ; @_ZN7rocprim17ROCPRIM_400000_NS6detail17trampoline_kernelINS0_14default_configENS1_36segmented_radix_sort_config_selectorIilEEZNS1_25segmented_radix_sort_implIS3_Lb1EPKiPiPKlPlN2at6native12_GLOBAL__N_18offset_tEEE10hipError_tPvRmT1_PNSt15iterator_traitsISK_E10value_typeET2_T3_PNSL_ISQ_E10value_typeET4_jRbjT5_SW_jjP12ihipStream_tbEUlT_E_NS1_11comp_targetILNS1_3genE9ELNS1_11target_archE1100ELNS1_3gpuE3ELNS1_3repE0EEENS1_30default_config_static_selectorELNS0_4arch9wavefront6targetE0EEEvSK_
; %bb.0:
	.section	.rodata,"a",@progbits
	.p2align	6, 0x0
	.amdhsa_kernel _ZN7rocprim17ROCPRIM_400000_NS6detail17trampoline_kernelINS0_14default_configENS1_36segmented_radix_sort_config_selectorIilEEZNS1_25segmented_radix_sort_implIS3_Lb1EPKiPiPKlPlN2at6native12_GLOBAL__N_18offset_tEEE10hipError_tPvRmT1_PNSt15iterator_traitsISK_E10value_typeET2_T3_PNSL_ISQ_E10value_typeET4_jRbjT5_SW_jjP12ihipStream_tbEUlT_E_NS1_11comp_targetILNS1_3genE9ELNS1_11target_archE1100ELNS1_3gpuE3ELNS1_3repE0EEENS1_30default_config_static_selectorELNS0_4arch9wavefront6targetE0EEEvSK_
		.amdhsa_group_segment_fixed_size 0
		.amdhsa_private_segment_fixed_size 0
		.amdhsa_kernarg_size 96
		.amdhsa_user_sgpr_count 2
		.amdhsa_user_sgpr_dispatch_ptr 0
		.amdhsa_user_sgpr_queue_ptr 0
		.amdhsa_user_sgpr_kernarg_segment_ptr 1
		.amdhsa_user_sgpr_dispatch_id 0
		.amdhsa_user_sgpr_private_segment_size 0
		.amdhsa_wavefront_size32 1
		.amdhsa_uses_dynamic_stack 0
		.amdhsa_enable_private_segment 0
		.amdhsa_system_sgpr_workgroup_id_x 1
		.amdhsa_system_sgpr_workgroup_id_y 0
		.amdhsa_system_sgpr_workgroup_id_z 0
		.amdhsa_system_sgpr_workgroup_info 0
		.amdhsa_system_vgpr_workitem_id 0
		.amdhsa_next_free_vgpr 1
		.amdhsa_next_free_sgpr 1
		.amdhsa_reserve_vcc 0
		.amdhsa_float_round_mode_32 0
		.amdhsa_float_round_mode_16_64 0
		.amdhsa_float_denorm_mode_32 3
		.amdhsa_float_denorm_mode_16_64 3
		.amdhsa_fp16_overflow 0
		.amdhsa_workgroup_processor_mode 1
		.amdhsa_memory_ordered 1
		.amdhsa_forward_progress 1
		.amdhsa_inst_pref_size 0
		.amdhsa_round_robin_scheduling 0
		.amdhsa_exception_fp_ieee_invalid_op 0
		.amdhsa_exception_fp_denorm_src 0
		.amdhsa_exception_fp_ieee_div_zero 0
		.amdhsa_exception_fp_ieee_overflow 0
		.amdhsa_exception_fp_ieee_underflow 0
		.amdhsa_exception_fp_ieee_inexact 0
		.amdhsa_exception_int_div_zero 0
	.end_amdhsa_kernel
	.section	.text._ZN7rocprim17ROCPRIM_400000_NS6detail17trampoline_kernelINS0_14default_configENS1_36segmented_radix_sort_config_selectorIilEEZNS1_25segmented_radix_sort_implIS3_Lb1EPKiPiPKlPlN2at6native12_GLOBAL__N_18offset_tEEE10hipError_tPvRmT1_PNSt15iterator_traitsISK_E10value_typeET2_T3_PNSL_ISQ_E10value_typeET4_jRbjT5_SW_jjP12ihipStream_tbEUlT_E_NS1_11comp_targetILNS1_3genE9ELNS1_11target_archE1100ELNS1_3gpuE3ELNS1_3repE0EEENS1_30default_config_static_selectorELNS0_4arch9wavefront6targetE0EEEvSK_,"axG",@progbits,_ZN7rocprim17ROCPRIM_400000_NS6detail17trampoline_kernelINS0_14default_configENS1_36segmented_radix_sort_config_selectorIilEEZNS1_25segmented_radix_sort_implIS3_Lb1EPKiPiPKlPlN2at6native12_GLOBAL__N_18offset_tEEE10hipError_tPvRmT1_PNSt15iterator_traitsISK_E10value_typeET2_T3_PNSL_ISQ_E10value_typeET4_jRbjT5_SW_jjP12ihipStream_tbEUlT_E_NS1_11comp_targetILNS1_3genE9ELNS1_11target_archE1100ELNS1_3gpuE3ELNS1_3repE0EEENS1_30default_config_static_selectorELNS0_4arch9wavefront6targetE0EEEvSK_,comdat
.Lfunc_end505:
	.size	_ZN7rocprim17ROCPRIM_400000_NS6detail17trampoline_kernelINS0_14default_configENS1_36segmented_radix_sort_config_selectorIilEEZNS1_25segmented_radix_sort_implIS3_Lb1EPKiPiPKlPlN2at6native12_GLOBAL__N_18offset_tEEE10hipError_tPvRmT1_PNSt15iterator_traitsISK_E10value_typeET2_T3_PNSL_ISQ_E10value_typeET4_jRbjT5_SW_jjP12ihipStream_tbEUlT_E_NS1_11comp_targetILNS1_3genE9ELNS1_11target_archE1100ELNS1_3gpuE3ELNS1_3repE0EEENS1_30default_config_static_selectorELNS0_4arch9wavefront6targetE0EEEvSK_, .Lfunc_end505-_ZN7rocprim17ROCPRIM_400000_NS6detail17trampoline_kernelINS0_14default_configENS1_36segmented_radix_sort_config_selectorIilEEZNS1_25segmented_radix_sort_implIS3_Lb1EPKiPiPKlPlN2at6native12_GLOBAL__N_18offset_tEEE10hipError_tPvRmT1_PNSt15iterator_traitsISK_E10value_typeET2_T3_PNSL_ISQ_E10value_typeET4_jRbjT5_SW_jjP12ihipStream_tbEUlT_E_NS1_11comp_targetILNS1_3genE9ELNS1_11target_archE1100ELNS1_3gpuE3ELNS1_3repE0EEENS1_30default_config_static_selectorELNS0_4arch9wavefront6targetE0EEEvSK_
                                        ; -- End function
	.set _ZN7rocprim17ROCPRIM_400000_NS6detail17trampoline_kernelINS0_14default_configENS1_36segmented_radix_sort_config_selectorIilEEZNS1_25segmented_radix_sort_implIS3_Lb1EPKiPiPKlPlN2at6native12_GLOBAL__N_18offset_tEEE10hipError_tPvRmT1_PNSt15iterator_traitsISK_E10value_typeET2_T3_PNSL_ISQ_E10value_typeET4_jRbjT5_SW_jjP12ihipStream_tbEUlT_E_NS1_11comp_targetILNS1_3genE9ELNS1_11target_archE1100ELNS1_3gpuE3ELNS1_3repE0EEENS1_30default_config_static_selectorELNS0_4arch9wavefront6targetE0EEEvSK_.num_vgpr, 0
	.set _ZN7rocprim17ROCPRIM_400000_NS6detail17trampoline_kernelINS0_14default_configENS1_36segmented_radix_sort_config_selectorIilEEZNS1_25segmented_radix_sort_implIS3_Lb1EPKiPiPKlPlN2at6native12_GLOBAL__N_18offset_tEEE10hipError_tPvRmT1_PNSt15iterator_traitsISK_E10value_typeET2_T3_PNSL_ISQ_E10value_typeET4_jRbjT5_SW_jjP12ihipStream_tbEUlT_E_NS1_11comp_targetILNS1_3genE9ELNS1_11target_archE1100ELNS1_3gpuE3ELNS1_3repE0EEENS1_30default_config_static_selectorELNS0_4arch9wavefront6targetE0EEEvSK_.num_agpr, 0
	.set _ZN7rocprim17ROCPRIM_400000_NS6detail17trampoline_kernelINS0_14default_configENS1_36segmented_radix_sort_config_selectorIilEEZNS1_25segmented_radix_sort_implIS3_Lb1EPKiPiPKlPlN2at6native12_GLOBAL__N_18offset_tEEE10hipError_tPvRmT1_PNSt15iterator_traitsISK_E10value_typeET2_T3_PNSL_ISQ_E10value_typeET4_jRbjT5_SW_jjP12ihipStream_tbEUlT_E_NS1_11comp_targetILNS1_3genE9ELNS1_11target_archE1100ELNS1_3gpuE3ELNS1_3repE0EEENS1_30default_config_static_selectorELNS0_4arch9wavefront6targetE0EEEvSK_.numbered_sgpr, 0
	.set _ZN7rocprim17ROCPRIM_400000_NS6detail17trampoline_kernelINS0_14default_configENS1_36segmented_radix_sort_config_selectorIilEEZNS1_25segmented_radix_sort_implIS3_Lb1EPKiPiPKlPlN2at6native12_GLOBAL__N_18offset_tEEE10hipError_tPvRmT1_PNSt15iterator_traitsISK_E10value_typeET2_T3_PNSL_ISQ_E10value_typeET4_jRbjT5_SW_jjP12ihipStream_tbEUlT_E_NS1_11comp_targetILNS1_3genE9ELNS1_11target_archE1100ELNS1_3gpuE3ELNS1_3repE0EEENS1_30default_config_static_selectorELNS0_4arch9wavefront6targetE0EEEvSK_.num_named_barrier, 0
	.set _ZN7rocprim17ROCPRIM_400000_NS6detail17trampoline_kernelINS0_14default_configENS1_36segmented_radix_sort_config_selectorIilEEZNS1_25segmented_radix_sort_implIS3_Lb1EPKiPiPKlPlN2at6native12_GLOBAL__N_18offset_tEEE10hipError_tPvRmT1_PNSt15iterator_traitsISK_E10value_typeET2_T3_PNSL_ISQ_E10value_typeET4_jRbjT5_SW_jjP12ihipStream_tbEUlT_E_NS1_11comp_targetILNS1_3genE9ELNS1_11target_archE1100ELNS1_3gpuE3ELNS1_3repE0EEENS1_30default_config_static_selectorELNS0_4arch9wavefront6targetE0EEEvSK_.private_seg_size, 0
	.set _ZN7rocprim17ROCPRIM_400000_NS6detail17trampoline_kernelINS0_14default_configENS1_36segmented_radix_sort_config_selectorIilEEZNS1_25segmented_radix_sort_implIS3_Lb1EPKiPiPKlPlN2at6native12_GLOBAL__N_18offset_tEEE10hipError_tPvRmT1_PNSt15iterator_traitsISK_E10value_typeET2_T3_PNSL_ISQ_E10value_typeET4_jRbjT5_SW_jjP12ihipStream_tbEUlT_E_NS1_11comp_targetILNS1_3genE9ELNS1_11target_archE1100ELNS1_3gpuE3ELNS1_3repE0EEENS1_30default_config_static_selectorELNS0_4arch9wavefront6targetE0EEEvSK_.uses_vcc, 0
	.set _ZN7rocprim17ROCPRIM_400000_NS6detail17trampoline_kernelINS0_14default_configENS1_36segmented_radix_sort_config_selectorIilEEZNS1_25segmented_radix_sort_implIS3_Lb1EPKiPiPKlPlN2at6native12_GLOBAL__N_18offset_tEEE10hipError_tPvRmT1_PNSt15iterator_traitsISK_E10value_typeET2_T3_PNSL_ISQ_E10value_typeET4_jRbjT5_SW_jjP12ihipStream_tbEUlT_E_NS1_11comp_targetILNS1_3genE9ELNS1_11target_archE1100ELNS1_3gpuE3ELNS1_3repE0EEENS1_30default_config_static_selectorELNS0_4arch9wavefront6targetE0EEEvSK_.uses_flat_scratch, 0
	.set _ZN7rocprim17ROCPRIM_400000_NS6detail17trampoline_kernelINS0_14default_configENS1_36segmented_radix_sort_config_selectorIilEEZNS1_25segmented_radix_sort_implIS3_Lb1EPKiPiPKlPlN2at6native12_GLOBAL__N_18offset_tEEE10hipError_tPvRmT1_PNSt15iterator_traitsISK_E10value_typeET2_T3_PNSL_ISQ_E10value_typeET4_jRbjT5_SW_jjP12ihipStream_tbEUlT_E_NS1_11comp_targetILNS1_3genE9ELNS1_11target_archE1100ELNS1_3gpuE3ELNS1_3repE0EEENS1_30default_config_static_selectorELNS0_4arch9wavefront6targetE0EEEvSK_.has_dyn_sized_stack, 0
	.set _ZN7rocprim17ROCPRIM_400000_NS6detail17trampoline_kernelINS0_14default_configENS1_36segmented_radix_sort_config_selectorIilEEZNS1_25segmented_radix_sort_implIS3_Lb1EPKiPiPKlPlN2at6native12_GLOBAL__N_18offset_tEEE10hipError_tPvRmT1_PNSt15iterator_traitsISK_E10value_typeET2_T3_PNSL_ISQ_E10value_typeET4_jRbjT5_SW_jjP12ihipStream_tbEUlT_E_NS1_11comp_targetILNS1_3genE9ELNS1_11target_archE1100ELNS1_3gpuE3ELNS1_3repE0EEENS1_30default_config_static_selectorELNS0_4arch9wavefront6targetE0EEEvSK_.has_recursion, 0
	.set _ZN7rocprim17ROCPRIM_400000_NS6detail17trampoline_kernelINS0_14default_configENS1_36segmented_radix_sort_config_selectorIilEEZNS1_25segmented_radix_sort_implIS3_Lb1EPKiPiPKlPlN2at6native12_GLOBAL__N_18offset_tEEE10hipError_tPvRmT1_PNSt15iterator_traitsISK_E10value_typeET2_T3_PNSL_ISQ_E10value_typeET4_jRbjT5_SW_jjP12ihipStream_tbEUlT_E_NS1_11comp_targetILNS1_3genE9ELNS1_11target_archE1100ELNS1_3gpuE3ELNS1_3repE0EEENS1_30default_config_static_selectorELNS0_4arch9wavefront6targetE0EEEvSK_.has_indirect_call, 0
	.section	.AMDGPU.csdata,"",@progbits
; Kernel info:
; codeLenInByte = 0
; TotalNumSgprs: 0
; NumVgprs: 0
; ScratchSize: 0
; MemoryBound: 0
; FloatMode: 240
; IeeeMode: 1
; LDSByteSize: 0 bytes/workgroup (compile time only)
; SGPRBlocks: 0
; VGPRBlocks: 0
; NumSGPRsForWavesPerEU: 1
; NumVGPRsForWavesPerEU: 1
; Occupancy: 16
; WaveLimiterHint : 0
; COMPUTE_PGM_RSRC2:SCRATCH_EN: 0
; COMPUTE_PGM_RSRC2:USER_SGPR: 2
; COMPUTE_PGM_RSRC2:TRAP_HANDLER: 0
; COMPUTE_PGM_RSRC2:TGID_X_EN: 1
; COMPUTE_PGM_RSRC2:TGID_Y_EN: 0
; COMPUTE_PGM_RSRC2:TGID_Z_EN: 0
; COMPUTE_PGM_RSRC2:TIDIG_COMP_CNT: 0
	.section	.text._ZN7rocprim17ROCPRIM_400000_NS6detail17trampoline_kernelINS0_14default_configENS1_36segmented_radix_sort_config_selectorIilEEZNS1_25segmented_radix_sort_implIS3_Lb1EPKiPiPKlPlN2at6native12_GLOBAL__N_18offset_tEEE10hipError_tPvRmT1_PNSt15iterator_traitsISK_E10value_typeET2_T3_PNSL_ISQ_E10value_typeET4_jRbjT5_SW_jjP12ihipStream_tbEUlT_E_NS1_11comp_targetILNS1_3genE8ELNS1_11target_archE1030ELNS1_3gpuE2ELNS1_3repE0EEENS1_30default_config_static_selectorELNS0_4arch9wavefront6targetE0EEEvSK_,"axG",@progbits,_ZN7rocprim17ROCPRIM_400000_NS6detail17trampoline_kernelINS0_14default_configENS1_36segmented_radix_sort_config_selectorIilEEZNS1_25segmented_radix_sort_implIS3_Lb1EPKiPiPKlPlN2at6native12_GLOBAL__N_18offset_tEEE10hipError_tPvRmT1_PNSt15iterator_traitsISK_E10value_typeET2_T3_PNSL_ISQ_E10value_typeET4_jRbjT5_SW_jjP12ihipStream_tbEUlT_E_NS1_11comp_targetILNS1_3genE8ELNS1_11target_archE1030ELNS1_3gpuE2ELNS1_3repE0EEENS1_30default_config_static_selectorELNS0_4arch9wavefront6targetE0EEEvSK_,comdat
	.globl	_ZN7rocprim17ROCPRIM_400000_NS6detail17trampoline_kernelINS0_14default_configENS1_36segmented_radix_sort_config_selectorIilEEZNS1_25segmented_radix_sort_implIS3_Lb1EPKiPiPKlPlN2at6native12_GLOBAL__N_18offset_tEEE10hipError_tPvRmT1_PNSt15iterator_traitsISK_E10value_typeET2_T3_PNSL_ISQ_E10value_typeET4_jRbjT5_SW_jjP12ihipStream_tbEUlT_E_NS1_11comp_targetILNS1_3genE8ELNS1_11target_archE1030ELNS1_3gpuE2ELNS1_3repE0EEENS1_30default_config_static_selectorELNS0_4arch9wavefront6targetE0EEEvSK_ ; -- Begin function _ZN7rocprim17ROCPRIM_400000_NS6detail17trampoline_kernelINS0_14default_configENS1_36segmented_radix_sort_config_selectorIilEEZNS1_25segmented_radix_sort_implIS3_Lb1EPKiPiPKlPlN2at6native12_GLOBAL__N_18offset_tEEE10hipError_tPvRmT1_PNSt15iterator_traitsISK_E10value_typeET2_T3_PNSL_ISQ_E10value_typeET4_jRbjT5_SW_jjP12ihipStream_tbEUlT_E_NS1_11comp_targetILNS1_3genE8ELNS1_11target_archE1030ELNS1_3gpuE2ELNS1_3repE0EEENS1_30default_config_static_selectorELNS0_4arch9wavefront6targetE0EEEvSK_
	.p2align	8
	.type	_ZN7rocprim17ROCPRIM_400000_NS6detail17trampoline_kernelINS0_14default_configENS1_36segmented_radix_sort_config_selectorIilEEZNS1_25segmented_radix_sort_implIS3_Lb1EPKiPiPKlPlN2at6native12_GLOBAL__N_18offset_tEEE10hipError_tPvRmT1_PNSt15iterator_traitsISK_E10value_typeET2_T3_PNSL_ISQ_E10value_typeET4_jRbjT5_SW_jjP12ihipStream_tbEUlT_E_NS1_11comp_targetILNS1_3genE8ELNS1_11target_archE1030ELNS1_3gpuE2ELNS1_3repE0EEENS1_30default_config_static_selectorELNS0_4arch9wavefront6targetE0EEEvSK_,@function
_ZN7rocprim17ROCPRIM_400000_NS6detail17trampoline_kernelINS0_14default_configENS1_36segmented_radix_sort_config_selectorIilEEZNS1_25segmented_radix_sort_implIS3_Lb1EPKiPiPKlPlN2at6native12_GLOBAL__N_18offset_tEEE10hipError_tPvRmT1_PNSt15iterator_traitsISK_E10value_typeET2_T3_PNSL_ISQ_E10value_typeET4_jRbjT5_SW_jjP12ihipStream_tbEUlT_E_NS1_11comp_targetILNS1_3genE8ELNS1_11target_archE1030ELNS1_3gpuE2ELNS1_3repE0EEENS1_30default_config_static_selectorELNS0_4arch9wavefront6targetE0EEEvSK_: ; @_ZN7rocprim17ROCPRIM_400000_NS6detail17trampoline_kernelINS0_14default_configENS1_36segmented_radix_sort_config_selectorIilEEZNS1_25segmented_radix_sort_implIS3_Lb1EPKiPiPKlPlN2at6native12_GLOBAL__N_18offset_tEEE10hipError_tPvRmT1_PNSt15iterator_traitsISK_E10value_typeET2_T3_PNSL_ISQ_E10value_typeET4_jRbjT5_SW_jjP12ihipStream_tbEUlT_E_NS1_11comp_targetILNS1_3genE8ELNS1_11target_archE1030ELNS1_3gpuE2ELNS1_3repE0EEENS1_30default_config_static_selectorELNS0_4arch9wavefront6targetE0EEEvSK_
; %bb.0:
	.section	.rodata,"a",@progbits
	.p2align	6, 0x0
	.amdhsa_kernel _ZN7rocprim17ROCPRIM_400000_NS6detail17trampoline_kernelINS0_14default_configENS1_36segmented_radix_sort_config_selectorIilEEZNS1_25segmented_radix_sort_implIS3_Lb1EPKiPiPKlPlN2at6native12_GLOBAL__N_18offset_tEEE10hipError_tPvRmT1_PNSt15iterator_traitsISK_E10value_typeET2_T3_PNSL_ISQ_E10value_typeET4_jRbjT5_SW_jjP12ihipStream_tbEUlT_E_NS1_11comp_targetILNS1_3genE8ELNS1_11target_archE1030ELNS1_3gpuE2ELNS1_3repE0EEENS1_30default_config_static_selectorELNS0_4arch9wavefront6targetE0EEEvSK_
		.amdhsa_group_segment_fixed_size 0
		.amdhsa_private_segment_fixed_size 0
		.amdhsa_kernarg_size 96
		.amdhsa_user_sgpr_count 2
		.amdhsa_user_sgpr_dispatch_ptr 0
		.amdhsa_user_sgpr_queue_ptr 0
		.amdhsa_user_sgpr_kernarg_segment_ptr 1
		.amdhsa_user_sgpr_dispatch_id 0
		.amdhsa_user_sgpr_private_segment_size 0
		.amdhsa_wavefront_size32 1
		.amdhsa_uses_dynamic_stack 0
		.amdhsa_enable_private_segment 0
		.amdhsa_system_sgpr_workgroup_id_x 1
		.amdhsa_system_sgpr_workgroup_id_y 0
		.amdhsa_system_sgpr_workgroup_id_z 0
		.amdhsa_system_sgpr_workgroup_info 0
		.amdhsa_system_vgpr_workitem_id 0
		.amdhsa_next_free_vgpr 1
		.amdhsa_next_free_sgpr 1
		.amdhsa_reserve_vcc 0
		.amdhsa_float_round_mode_32 0
		.amdhsa_float_round_mode_16_64 0
		.amdhsa_float_denorm_mode_32 3
		.amdhsa_float_denorm_mode_16_64 3
		.amdhsa_fp16_overflow 0
		.amdhsa_workgroup_processor_mode 1
		.amdhsa_memory_ordered 1
		.amdhsa_forward_progress 1
		.amdhsa_inst_pref_size 0
		.amdhsa_round_robin_scheduling 0
		.amdhsa_exception_fp_ieee_invalid_op 0
		.amdhsa_exception_fp_denorm_src 0
		.amdhsa_exception_fp_ieee_div_zero 0
		.amdhsa_exception_fp_ieee_overflow 0
		.amdhsa_exception_fp_ieee_underflow 0
		.amdhsa_exception_fp_ieee_inexact 0
		.amdhsa_exception_int_div_zero 0
	.end_amdhsa_kernel
	.section	.text._ZN7rocprim17ROCPRIM_400000_NS6detail17trampoline_kernelINS0_14default_configENS1_36segmented_radix_sort_config_selectorIilEEZNS1_25segmented_radix_sort_implIS3_Lb1EPKiPiPKlPlN2at6native12_GLOBAL__N_18offset_tEEE10hipError_tPvRmT1_PNSt15iterator_traitsISK_E10value_typeET2_T3_PNSL_ISQ_E10value_typeET4_jRbjT5_SW_jjP12ihipStream_tbEUlT_E_NS1_11comp_targetILNS1_3genE8ELNS1_11target_archE1030ELNS1_3gpuE2ELNS1_3repE0EEENS1_30default_config_static_selectorELNS0_4arch9wavefront6targetE0EEEvSK_,"axG",@progbits,_ZN7rocprim17ROCPRIM_400000_NS6detail17trampoline_kernelINS0_14default_configENS1_36segmented_radix_sort_config_selectorIilEEZNS1_25segmented_radix_sort_implIS3_Lb1EPKiPiPKlPlN2at6native12_GLOBAL__N_18offset_tEEE10hipError_tPvRmT1_PNSt15iterator_traitsISK_E10value_typeET2_T3_PNSL_ISQ_E10value_typeET4_jRbjT5_SW_jjP12ihipStream_tbEUlT_E_NS1_11comp_targetILNS1_3genE8ELNS1_11target_archE1030ELNS1_3gpuE2ELNS1_3repE0EEENS1_30default_config_static_selectorELNS0_4arch9wavefront6targetE0EEEvSK_,comdat
.Lfunc_end506:
	.size	_ZN7rocprim17ROCPRIM_400000_NS6detail17trampoline_kernelINS0_14default_configENS1_36segmented_radix_sort_config_selectorIilEEZNS1_25segmented_radix_sort_implIS3_Lb1EPKiPiPKlPlN2at6native12_GLOBAL__N_18offset_tEEE10hipError_tPvRmT1_PNSt15iterator_traitsISK_E10value_typeET2_T3_PNSL_ISQ_E10value_typeET4_jRbjT5_SW_jjP12ihipStream_tbEUlT_E_NS1_11comp_targetILNS1_3genE8ELNS1_11target_archE1030ELNS1_3gpuE2ELNS1_3repE0EEENS1_30default_config_static_selectorELNS0_4arch9wavefront6targetE0EEEvSK_, .Lfunc_end506-_ZN7rocprim17ROCPRIM_400000_NS6detail17trampoline_kernelINS0_14default_configENS1_36segmented_radix_sort_config_selectorIilEEZNS1_25segmented_radix_sort_implIS3_Lb1EPKiPiPKlPlN2at6native12_GLOBAL__N_18offset_tEEE10hipError_tPvRmT1_PNSt15iterator_traitsISK_E10value_typeET2_T3_PNSL_ISQ_E10value_typeET4_jRbjT5_SW_jjP12ihipStream_tbEUlT_E_NS1_11comp_targetILNS1_3genE8ELNS1_11target_archE1030ELNS1_3gpuE2ELNS1_3repE0EEENS1_30default_config_static_selectorELNS0_4arch9wavefront6targetE0EEEvSK_
                                        ; -- End function
	.set _ZN7rocprim17ROCPRIM_400000_NS6detail17trampoline_kernelINS0_14default_configENS1_36segmented_radix_sort_config_selectorIilEEZNS1_25segmented_radix_sort_implIS3_Lb1EPKiPiPKlPlN2at6native12_GLOBAL__N_18offset_tEEE10hipError_tPvRmT1_PNSt15iterator_traitsISK_E10value_typeET2_T3_PNSL_ISQ_E10value_typeET4_jRbjT5_SW_jjP12ihipStream_tbEUlT_E_NS1_11comp_targetILNS1_3genE8ELNS1_11target_archE1030ELNS1_3gpuE2ELNS1_3repE0EEENS1_30default_config_static_selectorELNS0_4arch9wavefront6targetE0EEEvSK_.num_vgpr, 0
	.set _ZN7rocprim17ROCPRIM_400000_NS6detail17trampoline_kernelINS0_14default_configENS1_36segmented_radix_sort_config_selectorIilEEZNS1_25segmented_radix_sort_implIS3_Lb1EPKiPiPKlPlN2at6native12_GLOBAL__N_18offset_tEEE10hipError_tPvRmT1_PNSt15iterator_traitsISK_E10value_typeET2_T3_PNSL_ISQ_E10value_typeET4_jRbjT5_SW_jjP12ihipStream_tbEUlT_E_NS1_11comp_targetILNS1_3genE8ELNS1_11target_archE1030ELNS1_3gpuE2ELNS1_3repE0EEENS1_30default_config_static_selectorELNS0_4arch9wavefront6targetE0EEEvSK_.num_agpr, 0
	.set _ZN7rocprim17ROCPRIM_400000_NS6detail17trampoline_kernelINS0_14default_configENS1_36segmented_radix_sort_config_selectorIilEEZNS1_25segmented_radix_sort_implIS3_Lb1EPKiPiPKlPlN2at6native12_GLOBAL__N_18offset_tEEE10hipError_tPvRmT1_PNSt15iterator_traitsISK_E10value_typeET2_T3_PNSL_ISQ_E10value_typeET4_jRbjT5_SW_jjP12ihipStream_tbEUlT_E_NS1_11comp_targetILNS1_3genE8ELNS1_11target_archE1030ELNS1_3gpuE2ELNS1_3repE0EEENS1_30default_config_static_selectorELNS0_4arch9wavefront6targetE0EEEvSK_.numbered_sgpr, 0
	.set _ZN7rocprim17ROCPRIM_400000_NS6detail17trampoline_kernelINS0_14default_configENS1_36segmented_radix_sort_config_selectorIilEEZNS1_25segmented_radix_sort_implIS3_Lb1EPKiPiPKlPlN2at6native12_GLOBAL__N_18offset_tEEE10hipError_tPvRmT1_PNSt15iterator_traitsISK_E10value_typeET2_T3_PNSL_ISQ_E10value_typeET4_jRbjT5_SW_jjP12ihipStream_tbEUlT_E_NS1_11comp_targetILNS1_3genE8ELNS1_11target_archE1030ELNS1_3gpuE2ELNS1_3repE0EEENS1_30default_config_static_selectorELNS0_4arch9wavefront6targetE0EEEvSK_.num_named_barrier, 0
	.set _ZN7rocprim17ROCPRIM_400000_NS6detail17trampoline_kernelINS0_14default_configENS1_36segmented_radix_sort_config_selectorIilEEZNS1_25segmented_radix_sort_implIS3_Lb1EPKiPiPKlPlN2at6native12_GLOBAL__N_18offset_tEEE10hipError_tPvRmT1_PNSt15iterator_traitsISK_E10value_typeET2_T3_PNSL_ISQ_E10value_typeET4_jRbjT5_SW_jjP12ihipStream_tbEUlT_E_NS1_11comp_targetILNS1_3genE8ELNS1_11target_archE1030ELNS1_3gpuE2ELNS1_3repE0EEENS1_30default_config_static_selectorELNS0_4arch9wavefront6targetE0EEEvSK_.private_seg_size, 0
	.set _ZN7rocprim17ROCPRIM_400000_NS6detail17trampoline_kernelINS0_14default_configENS1_36segmented_radix_sort_config_selectorIilEEZNS1_25segmented_radix_sort_implIS3_Lb1EPKiPiPKlPlN2at6native12_GLOBAL__N_18offset_tEEE10hipError_tPvRmT1_PNSt15iterator_traitsISK_E10value_typeET2_T3_PNSL_ISQ_E10value_typeET4_jRbjT5_SW_jjP12ihipStream_tbEUlT_E_NS1_11comp_targetILNS1_3genE8ELNS1_11target_archE1030ELNS1_3gpuE2ELNS1_3repE0EEENS1_30default_config_static_selectorELNS0_4arch9wavefront6targetE0EEEvSK_.uses_vcc, 0
	.set _ZN7rocprim17ROCPRIM_400000_NS6detail17trampoline_kernelINS0_14default_configENS1_36segmented_radix_sort_config_selectorIilEEZNS1_25segmented_radix_sort_implIS3_Lb1EPKiPiPKlPlN2at6native12_GLOBAL__N_18offset_tEEE10hipError_tPvRmT1_PNSt15iterator_traitsISK_E10value_typeET2_T3_PNSL_ISQ_E10value_typeET4_jRbjT5_SW_jjP12ihipStream_tbEUlT_E_NS1_11comp_targetILNS1_3genE8ELNS1_11target_archE1030ELNS1_3gpuE2ELNS1_3repE0EEENS1_30default_config_static_selectorELNS0_4arch9wavefront6targetE0EEEvSK_.uses_flat_scratch, 0
	.set _ZN7rocprim17ROCPRIM_400000_NS6detail17trampoline_kernelINS0_14default_configENS1_36segmented_radix_sort_config_selectorIilEEZNS1_25segmented_radix_sort_implIS3_Lb1EPKiPiPKlPlN2at6native12_GLOBAL__N_18offset_tEEE10hipError_tPvRmT1_PNSt15iterator_traitsISK_E10value_typeET2_T3_PNSL_ISQ_E10value_typeET4_jRbjT5_SW_jjP12ihipStream_tbEUlT_E_NS1_11comp_targetILNS1_3genE8ELNS1_11target_archE1030ELNS1_3gpuE2ELNS1_3repE0EEENS1_30default_config_static_selectorELNS0_4arch9wavefront6targetE0EEEvSK_.has_dyn_sized_stack, 0
	.set _ZN7rocprim17ROCPRIM_400000_NS6detail17trampoline_kernelINS0_14default_configENS1_36segmented_radix_sort_config_selectorIilEEZNS1_25segmented_radix_sort_implIS3_Lb1EPKiPiPKlPlN2at6native12_GLOBAL__N_18offset_tEEE10hipError_tPvRmT1_PNSt15iterator_traitsISK_E10value_typeET2_T3_PNSL_ISQ_E10value_typeET4_jRbjT5_SW_jjP12ihipStream_tbEUlT_E_NS1_11comp_targetILNS1_3genE8ELNS1_11target_archE1030ELNS1_3gpuE2ELNS1_3repE0EEENS1_30default_config_static_selectorELNS0_4arch9wavefront6targetE0EEEvSK_.has_recursion, 0
	.set _ZN7rocprim17ROCPRIM_400000_NS6detail17trampoline_kernelINS0_14default_configENS1_36segmented_radix_sort_config_selectorIilEEZNS1_25segmented_radix_sort_implIS3_Lb1EPKiPiPKlPlN2at6native12_GLOBAL__N_18offset_tEEE10hipError_tPvRmT1_PNSt15iterator_traitsISK_E10value_typeET2_T3_PNSL_ISQ_E10value_typeET4_jRbjT5_SW_jjP12ihipStream_tbEUlT_E_NS1_11comp_targetILNS1_3genE8ELNS1_11target_archE1030ELNS1_3gpuE2ELNS1_3repE0EEENS1_30default_config_static_selectorELNS0_4arch9wavefront6targetE0EEEvSK_.has_indirect_call, 0
	.section	.AMDGPU.csdata,"",@progbits
; Kernel info:
; codeLenInByte = 0
; TotalNumSgprs: 0
; NumVgprs: 0
; ScratchSize: 0
; MemoryBound: 0
; FloatMode: 240
; IeeeMode: 1
; LDSByteSize: 0 bytes/workgroup (compile time only)
; SGPRBlocks: 0
; VGPRBlocks: 0
; NumSGPRsForWavesPerEU: 1
; NumVGPRsForWavesPerEU: 1
; Occupancy: 16
; WaveLimiterHint : 0
; COMPUTE_PGM_RSRC2:SCRATCH_EN: 0
; COMPUTE_PGM_RSRC2:USER_SGPR: 2
; COMPUTE_PGM_RSRC2:TRAP_HANDLER: 0
; COMPUTE_PGM_RSRC2:TGID_X_EN: 1
; COMPUTE_PGM_RSRC2:TGID_Y_EN: 0
; COMPUTE_PGM_RSRC2:TGID_Z_EN: 0
; COMPUTE_PGM_RSRC2:TIDIG_COMP_CNT: 0
	.section	.text._ZN7rocprim17ROCPRIM_400000_NS6detail17trampoline_kernelINS0_14default_configENS1_36segmented_radix_sort_config_selectorIilEEZNS1_25segmented_radix_sort_implIS3_Lb1EPKiPiPKlPlN2at6native12_GLOBAL__N_18offset_tEEE10hipError_tPvRmT1_PNSt15iterator_traitsISK_E10value_typeET2_T3_PNSL_ISQ_E10value_typeET4_jRbjT5_SW_jjP12ihipStream_tbEUlT_E0_NS1_11comp_targetILNS1_3genE0ELNS1_11target_archE4294967295ELNS1_3gpuE0ELNS1_3repE0EEENS1_60segmented_radix_sort_warp_sort_medium_config_static_selectorELNS0_4arch9wavefront6targetE0EEEvSK_,"axG",@progbits,_ZN7rocprim17ROCPRIM_400000_NS6detail17trampoline_kernelINS0_14default_configENS1_36segmented_radix_sort_config_selectorIilEEZNS1_25segmented_radix_sort_implIS3_Lb1EPKiPiPKlPlN2at6native12_GLOBAL__N_18offset_tEEE10hipError_tPvRmT1_PNSt15iterator_traitsISK_E10value_typeET2_T3_PNSL_ISQ_E10value_typeET4_jRbjT5_SW_jjP12ihipStream_tbEUlT_E0_NS1_11comp_targetILNS1_3genE0ELNS1_11target_archE4294967295ELNS1_3gpuE0ELNS1_3repE0EEENS1_60segmented_radix_sort_warp_sort_medium_config_static_selectorELNS0_4arch9wavefront6targetE0EEEvSK_,comdat
	.globl	_ZN7rocprim17ROCPRIM_400000_NS6detail17trampoline_kernelINS0_14default_configENS1_36segmented_radix_sort_config_selectorIilEEZNS1_25segmented_radix_sort_implIS3_Lb1EPKiPiPKlPlN2at6native12_GLOBAL__N_18offset_tEEE10hipError_tPvRmT1_PNSt15iterator_traitsISK_E10value_typeET2_T3_PNSL_ISQ_E10value_typeET4_jRbjT5_SW_jjP12ihipStream_tbEUlT_E0_NS1_11comp_targetILNS1_3genE0ELNS1_11target_archE4294967295ELNS1_3gpuE0ELNS1_3repE0EEENS1_60segmented_radix_sort_warp_sort_medium_config_static_selectorELNS0_4arch9wavefront6targetE0EEEvSK_ ; -- Begin function _ZN7rocprim17ROCPRIM_400000_NS6detail17trampoline_kernelINS0_14default_configENS1_36segmented_radix_sort_config_selectorIilEEZNS1_25segmented_radix_sort_implIS3_Lb1EPKiPiPKlPlN2at6native12_GLOBAL__N_18offset_tEEE10hipError_tPvRmT1_PNSt15iterator_traitsISK_E10value_typeET2_T3_PNSL_ISQ_E10value_typeET4_jRbjT5_SW_jjP12ihipStream_tbEUlT_E0_NS1_11comp_targetILNS1_3genE0ELNS1_11target_archE4294967295ELNS1_3gpuE0ELNS1_3repE0EEENS1_60segmented_radix_sort_warp_sort_medium_config_static_selectorELNS0_4arch9wavefront6targetE0EEEvSK_
	.p2align	8
	.type	_ZN7rocprim17ROCPRIM_400000_NS6detail17trampoline_kernelINS0_14default_configENS1_36segmented_radix_sort_config_selectorIilEEZNS1_25segmented_radix_sort_implIS3_Lb1EPKiPiPKlPlN2at6native12_GLOBAL__N_18offset_tEEE10hipError_tPvRmT1_PNSt15iterator_traitsISK_E10value_typeET2_T3_PNSL_ISQ_E10value_typeET4_jRbjT5_SW_jjP12ihipStream_tbEUlT_E0_NS1_11comp_targetILNS1_3genE0ELNS1_11target_archE4294967295ELNS1_3gpuE0ELNS1_3repE0EEENS1_60segmented_radix_sort_warp_sort_medium_config_static_selectorELNS0_4arch9wavefront6targetE0EEEvSK_,@function
_ZN7rocprim17ROCPRIM_400000_NS6detail17trampoline_kernelINS0_14default_configENS1_36segmented_radix_sort_config_selectorIilEEZNS1_25segmented_radix_sort_implIS3_Lb1EPKiPiPKlPlN2at6native12_GLOBAL__N_18offset_tEEE10hipError_tPvRmT1_PNSt15iterator_traitsISK_E10value_typeET2_T3_PNSL_ISQ_E10value_typeET4_jRbjT5_SW_jjP12ihipStream_tbEUlT_E0_NS1_11comp_targetILNS1_3genE0ELNS1_11target_archE4294967295ELNS1_3gpuE0ELNS1_3repE0EEENS1_60segmented_radix_sort_warp_sort_medium_config_static_selectorELNS0_4arch9wavefront6targetE0EEEvSK_: ; @_ZN7rocprim17ROCPRIM_400000_NS6detail17trampoline_kernelINS0_14default_configENS1_36segmented_radix_sort_config_selectorIilEEZNS1_25segmented_radix_sort_implIS3_Lb1EPKiPiPKlPlN2at6native12_GLOBAL__N_18offset_tEEE10hipError_tPvRmT1_PNSt15iterator_traitsISK_E10value_typeET2_T3_PNSL_ISQ_E10value_typeET4_jRbjT5_SW_jjP12ihipStream_tbEUlT_E0_NS1_11comp_targetILNS1_3genE0ELNS1_11target_archE4294967295ELNS1_3gpuE0ELNS1_3repE0EEENS1_60segmented_radix_sort_warp_sort_medium_config_static_selectorELNS0_4arch9wavefront6targetE0EEEvSK_
; %bb.0:
	.section	.rodata,"a",@progbits
	.p2align	6, 0x0
	.amdhsa_kernel _ZN7rocprim17ROCPRIM_400000_NS6detail17trampoline_kernelINS0_14default_configENS1_36segmented_radix_sort_config_selectorIilEEZNS1_25segmented_radix_sort_implIS3_Lb1EPKiPiPKlPlN2at6native12_GLOBAL__N_18offset_tEEE10hipError_tPvRmT1_PNSt15iterator_traitsISK_E10value_typeET2_T3_PNSL_ISQ_E10value_typeET4_jRbjT5_SW_jjP12ihipStream_tbEUlT_E0_NS1_11comp_targetILNS1_3genE0ELNS1_11target_archE4294967295ELNS1_3gpuE0ELNS1_3repE0EEENS1_60segmented_radix_sort_warp_sort_medium_config_static_selectorELNS0_4arch9wavefront6targetE0EEEvSK_
		.amdhsa_group_segment_fixed_size 0
		.amdhsa_private_segment_fixed_size 0
		.amdhsa_kernarg_size 88
		.amdhsa_user_sgpr_count 2
		.amdhsa_user_sgpr_dispatch_ptr 0
		.amdhsa_user_sgpr_queue_ptr 0
		.amdhsa_user_sgpr_kernarg_segment_ptr 1
		.amdhsa_user_sgpr_dispatch_id 0
		.amdhsa_user_sgpr_private_segment_size 0
		.amdhsa_wavefront_size32 1
		.amdhsa_uses_dynamic_stack 0
		.amdhsa_enable_private_segment 0
		.amdhsa_system_sgpr_workgroup_id_x 1
		.amdhsa_system_sgpr_workgroup_id_y 0
		.amdhsa_system_sgpr_workgroup_id_z 0
		.amdhsa_system_sgpr_workgroup_info 0
		.amdhsa_system_vgpr_workitem_id 0
		.amdhsa_next_free_vgpr 1
		.amdhsa_next_free_sgpr 1
		.amdhsa_reserve_vcc 0
		.amdhsa_float_round_mode_32 0
		.amdhsa_float_round_mode_16_64 0
		.amdhsa_float_denorm_mode_32 3
		.amdhsa_float_denorm_mode_16_64 3
		.amdhsa_fp16_overflow 0
		.amdhsa_workgroup_processor_mode 1
		.amdhsa_memory_ordered 1
		.amdhsa_forward_progress 1
		.amdhsa_inst_pref_size 0
		.amdhsa_round_robin_scheduling 0
		.amdhsa_exception_fp_ieee_invalid_op 0
		.amdhsa_exception_fp_denorm_src 0
		.amdhsa_exception_fp_ieee_div_zero 0
		.amdhsa_exception_fp_ieee_overflow 0
		.amdhsa_exception_fp_ieee_underflow 0
		.amdhsa_exception_fp_ieee_inexact 0
		.amdhsa_exception_int_div_zero 0
	.end_amdhsa_kernel
	.section	.text._ZN7rocprim17ROCPRIM_400000_NS6detail17trampoline_kernelINS0_14default_configENS1_36segmented_radix_sort_config_selectorIilEEZNS1_25segmented_radix_sort_implIS3_Lb1EPKiPiPKlPlN2at6native12_GLOBAL__N_18offset_tEEE10hipError_tPvRmT1_PNSt15iterator_traitsISK_E10value_typeET2_T3_PNSL_ISQ_E10value_typeET4_jRbjT5_SW_jjP12ihipStream_tbEUlT_E0_NS1_11comp_targetILNS1_3genE0ELNS1_11target_archE4294967295ELNS1_3gpuE0ELNS1_3repE0EEENS1_60segmented_radix_sort_warp_sort_medium_config_static_selectorELNS0_4arch9wavefront6targetE0EEEvSK_,"axG",@progbits,_ZN7rocprim17ROCPRIM_400000_NS6detail17trampoline_kernelINS0_14default_configENS1_36segmented_radix_sort_config_selectorIilEEZNS1_25segmented_radix_sort_implIS3_Lb1EPKiPiPKlPlN2at6native12_GLOBAL__N_18offset_tEEE10hipError_tPvRmT1_PNSt15iterator_traitsISK_E10value_typeET2_T3_PNSL_ISQ_E10value_typeET4_jRbjT5_SW_jjP12ihipStream_tbEUlT_E0_NS1_11comp_targetILNS1_3genE0ELNS1_11target_archE4294967295ELNS1_3gpuE0ELNS1_3repE0EEENS1_60segmented_radix_sort_warp_sort_medium_config_static_selectorELNS0_4arch9wavefront6targetE0EEEvSK_,comdat
.Lfunc_end507:
	.size	_ZN7rocprim17ROCPRIM_400000_NS6detail17trampoline_kernelINS0_14default_configENS1_36segmented_radix_sort_config_selectorIilEEZNS1_25segmented_radix_sort_implIS3_Lb1EPKiPiPKlPlN2at6native12_GLOBAL__N_18offset_tEEE10hipError_tPvRmT1_PNSt15iterator_traitsISK_E10value_typeET2_T3_PNSL_ISQ_E10value_typeET4_jRbjT5_SW_jjP12ihipStream_tbEUlT_E0_NS1_11comp_targetILNS1_3genE0ELNS1_11target_archE4294967295ELNS1_3gpuE0ELNS1_3repE0EEENS1_60segmented_radix_sort_warp_sort_medium_config_static_selectorELNS0_4arch9wavefront6targetE0EEEvSK_, .Lfunc_end507-_ZN7rocprim17ROCPRIM_400000_NS6detail17trampoline_kernelINS0_14default_configENS1_36segmented_radix_sort_config_selectorIilEEZNS1_25segmented_radix_sort_implIS3_Lb1EPKiPiPKlPlN2at6native12_GLOBAL__N_18offset_tEEE10hipError_tPvRmT1_PNSt15iterator_traitsISK_E10value_typeET2_T3_PNSL_ISQ_E10value_typeET4_jRbjT5_SW_jjP12ihipStream_tbEUlT_E0_NS1_11comp_targetILNS1_3genE0ELNS1_11target_archE4294967295ELNS1_3gpuE0ELNS1_3repE0EEENS1_60segmented_radix_sort_warp_sort_medium_config_static_selectorELNS0_4arch9wavefront6targetE0EEEvSK_
                                        ; -- End function
	.set _ZN7rocprim17ROCPRIM_400000_NS6detail17trampoline_kernelINS0_14default_configENS1_36segmented_radix_sort_config_selectorIilEEZNS1_25segmented_radix_sort_implIS3_Lb1EPKiPiPKlPlN2at6native12_GLOBAL__N_18offset_tEEE10hipError_tPvRmT1_PNSt15iterator_traitsISK_E10value_typeET2_T3_PNSL_ISQ_E10value_typeET4_jRbjT5_SW_jjP12ihipStream_tbEUlT_E0_NS1_11comp_targetILNS1_3genE0ELNS1_11target_archE4294967295ELNS1_3gpuE0ELNS1_3repE0EEENS1_60segmented_radix_sort_warp_sort_medium_config_static_selectorELNS0_4arch9wavefront6targetE0EEEvSK_.num_vgpr, 0
	.set _ZN7rocprim17ROCPRIM_400000_NS6detail17trampoline_kernelINS0_14default_configENS1_36segmented_radix_sort_config_selectorIilEEZNS1_25segmented_radix_sort_implIS3_Lb1EPKiPiPKlPlN2at6native12_GLOBAL__N_18offset_tEEE10hipError_tPvRmT1_PNSt15iterator_traitsISK_E10value_typeET2_T3_PNSL_ISQ_E10value_typeET4_jRbjT5_SW_jjP12ihipStream_tbEUlT_E0_NS1_11comp_targetILNS1_3genE0ELNS1_11target_archE4294967295ELNS1_3gpuE0ELNS1_3repE0EEENS1_60segmented_radix_sort_warp_sort_medium_config_static_selectorELNS0_4arch9wavefront6targetE0EEEvSK_.num_agpr, 0
	.set _ZN7rocprim17ROCPRIM_400000_NS6detail17trampoline_kernelINS0_14default_configENS1_36segmented_radix_sort_config_selectorIilEEZNS1_25segmented_radix_sort_implIS3_Lb1EPKiPiPKlPlN2at6native12_GLOBAL__N_18offset_tEEE10hipError_tPvRmT1_PNSt15iterator_traitsISK_E10value_typeET2_T3_PNSL_ISQ_E10value_typeET4_jRbjT5_SW_jjP12ihipStream_tbEUlT_E0_NS1_11comp_targetILNS1_3genE0ELNS1_11target_archE4294967295ELNS1_3gpuE0ELNS1_3repE0EEENS1_60segmented_radix_sort_warp_sort_medium_config_static_selectorELNS0_4arch9wavefront6targetE0EEEvSK_.numbered_sgpr, 0
	.set _ZN7rocprim17ROCPRIM_400000_NS6detail17trampoline_kernelINS0_14default_configENS1_36segmented_radix_sort_config_selectorIilEEZNS1_25segmented_radix_sort_implIS3_Lb1EPKiPiPKlPlN2at6native12_GLOBAL__N_18offset_tEEE10hipError_tPvRmT1_PNSt15iterator_traitsISK_E10value_typeET2_T3_PNSL_ISQ_E10value_typeET4_jRbjT5_SW_jjP12ihipStream_tbEUlT_E0_NS1_11comp_targetILNS1_3genE0ELNS1_11target_archE4294967295ELNS1_3gpuE0ELNS1_3repE0EEENS1_60segmented_radix_sort_warp_sort_medium_config_static_selectorELNS0_4arch9wavefront6targetE0EEEvSK_.num_named_barrier, 0
	.set _ZN7rocprim17ROCPRIM_400000_NS6detail17trampoline_kernelINS0_14default_configENS1_36segmented_radix_sort_config_selectorIilEEZNS1_25segmented_radix_sort_implIS3_Lb1EPKiPiPKlPlN2at6native12_GLOBAL__N_18offset_tEEE10hipError_tPvRmT1_PNSt15iterator_traitsISK_E10value_typeET2_T3_PNSL_ISQ_E10value_typeET4_jRbjT5_SW_jjP12ihipStream_tbEUlT_E0_NS1_11comp_targetILNS1_3genE0ELNS1_11target_archE4294967295ELNS1_3gpuE0ELNS1_3repE0EEENS1_60segmented_radix_sort_warp_sort_medium_config_static_selectorELNS0_4arch9wavefront6targetE0EEEvSK_.private_seg_size, 0
	.set _ZN7rocprim17ROCPRIM_400000_NS6detail17trampoline_kernelINS0_14default_configENS1_36segmented_radix_sort_config_selectorIilEEZNS1_25segmented_radix_sort_implIS3_Lb1EPKiPiPKlPlN2at6native12_GLOBAL__N_18offset_tEEE10hipError_tPvRmT1_PNSt15iterator_traitsISK_E10value_typeET2_T3_PNSL_ISQ_E10value_typeET4_jRbjT5_SW_jjP12ihipStream_tbEUlT_E0_NS1_11comp_targetILNS1_3genE0ELNS1_11target_archE4294967295ELNS1_3gpuE0ELNS1_3repE0EEENS1_60segmented_radix_sort_warp_sort_medium_config_static_selectorELNS0_4arch9wavefront6targetE0EEEvSK_.uses_vcc, 0
	.set _ZN7rocprim17ROCPRIM_400000_NS6detail17trampoline_kernelINS0_14default_configENS1_36segmented_radix_sort_config_selectorIilEEZNS1_25segmented_radix_sort_implIS3_Lb1EPKiPiPKlPlN2at6native12_GLOBAL__N_18offset_tEEE10hipError_tPvRmT1_PNSt15iterator_traitsISK_E10value_typeET2_T3_PNSL_ISQ_E10value_typeET4_jRbjT5_SW_jjP12ihipStream_tbEUlT_E0_NS1_11comp_targetILNS1_3genE0ELNS1_11target_archE4294967295ELNS1_3gpuE0ELNS1_3repE0EEENS1_60segmented_radix_sort_warp_sort_medium_config_static_selectorELNS0_4arch9wavefront6targetE0EEEvSK_.uses_flat_scratch, 0
	.set _ZN7rocprim17ROCPRIM_400000_NS6detail17trampoline_kernelINS0_14default_configENS1_36segmented_radix_sort_config_selectorIilEEZNS1_25segmented_radix_sort_implIS3_Lb1EPKiPiPKlPlN2at6native12_GLOBAL__N_18offset_tEEE10hipError_tPvRmT1_PNSt15iterator_traitsISK_E10value_typeET2_T3_PNSL_ISQ_E10value_typeET4_jRbjT5_SW_jjP12ihipStream_tbEUlT_E0_NS1_11comp_targetILNS1_3genE0ELNS1_11target_archE4294967295ELNS1_3gpuE0ELNS1_3repE0EEENS1_60segmented_radix_sort_warp_sort_medium_config_static_selectorELNS0_4arch9wavefront6targetE0EEEvSK_.has_dyn_sized_stack, 0
	.set _ZN7rocprim17ROCPRIM_400000_NS6detail17trampoline_kernelINS0_14default_configENS1_36segmented_radix_sort_config_selectorIilEEZNS1_25segmented_radix_sort_implIS3_Lb1EPKiPiPKlPlN2at6native12_GLOBAL__N_18offset_tEEE10hipError_tPvRmT1_PNSt15iterator_traitsISK_E10value_typeET2_T3_PNSL_ISQ_E10value_typeET4_jRbjT5_SW_jjP12ihipStream_tbEUlT_E0_NS1_11comp_targetILNS1_3genE0ELNS1_11target_archE4294967295ELNS1_3gpuE0ELNS1_3repE0EEENS1_60segmented_radix_sort_warp_sort_medium_config_static_selectorELNS0_4arch9wavefront6targetE0EEEvSK_.has_recursion, 0
	.set _ZN7rocprim17ROCPRIM_400000_NS6detail17trampoline_kernelINS0_14default_configENS1_36segmented_radix_sort_config_selectorIilEEZNS1_25segmented_radix_sort_implIS3_Lb1EPKiPiPKlPlN2at6native12_GLOBAL__N_18offset_tEEE10hipError_tPvRmT1_PNSt15iterator_traitsISK_E10value_typeET2_T3_PNSL_ISQ_E10value_typeET4_jRbjT5_SW_jjP12ihipStream_tbEUlT_E0_NS1_11comp_targetILNS1_3genE0ELNS1_11target_archE4294967295ELNS1_3gpuE0ELNS1_3repE0EEENS1_60segmented_radix_sort_warp_sort_medium_config_static_selectorELNS0_4arch9wavefront6targetE0EEEvSK_.has_indirect_call, 0
	.section	.AMDGPU.csdata,"",@progbits
; Kernel info:
; codeLenInByte = 0
; TotalNumSgprs: 0
; NumVgprs: 0
; ScratchSize: 0
; MemoryBound: 0
; FloatMode: 240
; IeeeMode: 1
; LDSByteSize: 0 bytes/workgroup (compile time only)
; SGPRBlocks: 0
; VGPRBlocks: 0
; NumSGPRsForWavesPerEU: 1
; NumVGPRsForWavesPerEU: 1
; Occupancy: 16
; WaveLimiterHint : 0
; COMPUTE_PGM_RSRC2:SCRATCH_EN: 0
; COMPUTE_PGM_RSRC2:USER_SGPR: 2
; COMPUTE_PGM_RSRC2:TRAP_HANDLER: 0
; COMPUTE_PGM_RSRC2:TGID_X_EN: 1
; COMPUTE_PGM_RSRC2:TGID_Y_EN: 0
; COMPUTE_PGM_RSRC2:TGID_Z_EN: 0
; COMPUTE_PGM_RSRC2:TIDIG_COMP_CNT: 0
	.section	.text._ZN7rocprim17ROCPRIM_400000_NS6detail17trampoline_kernelINS0_14default_configENS1_36segmented_radix_sort_config_selectorIilEEZNS1_25segmented_radix_sort_implIS3_Lb1EPKiPiPKlPlN2at6native12_GLOBAL__N_18offset_tEEE10hipError_tPvRmT1_PNSt15iterator_traitsISK_E10value_typeET2_T3_PNSL_ISQ_E10value_typeET4_jRbjT5_SW_jjP12ihipStream_tbEUlT_E0_NS1_11comp_targetILNS1_3genE5ELNS1_11target_archE942ELNS1_3gpuE9ELNS1_3repE0EEENS1_60segmented_radix_sort_warp_sort_medium_config_static_selectorELNS0_4arch9wavefront6targetE0EEEvSK_,"axG",@progbits,_ZN7rocprim17ROCPRIM_400000_NS6detail17trampoline_kernelINS0_14default_configENS1_36segmented_radix_sort_config_selectorIilEEZNS1_25segmented_radix_sort_implIS3_Lb1EPKiPiPKlPlN2at6native12_GLOBAL__N_18offset_tEEE10hipError_tPvRmT1_PNSt15iterator_traitsISK_E10value_typeET2_T3_PNSL_ISQ_E10value_typeET4_jRbjT5_SW_jjP12ihipStream_tbEUlT_E0_NS1_11comp_targetILNS1_3genE5ELNS1_11target_archE942ELNS1_3gpuE9ELNS1_3repE0EEENS1_60segmented_radix_sort_warp_sort_medium_config_static_selectorELNS0_4arch9wavefront6targetE0EEEvSK_,comdat
	.globl	_ZN7rocprim17ROCPRIM_400000_NS6detail17trampoline_kernelINS0_14default_configENS1_36segmented_radix_sort_config_selectorIilEEZNS1_25segmented_radix_sort_implIS3_Lb1EPKiPiPKlPlN2at6native12_GLOBAL__N_18offset_tEEE10hipError_tPvRmT1_PNSt15iterator_traitsISK_E10value_typeET2_T3_PNSL_ISQ_E10value_typeET4_jRbjT5_SW_jjP12ihipStream_tbEUlT_E0_NS1_11comp_targetILNS1_3genE5ELNS1_11target_archE942ELNS1_3gpuE9ELNS1_3repE0EEENS1_60segmented_radix_sort_warp_sort_medium_config_static_selectorELNS0_4arch9wavefront6targetE0EEEvSK_ ; -- Begin function _ZN7rocprim17ROCPRIM_400000_NS6detail17trampoline_kernelINS0_14default_configENS1_36segmented_radix_sort_config_selectorIilEEZNS1_25segmented_radix_sort_implIS3_Lb1EPKiPiPKlPlN2at6native12_GLOBAL__N_18offset_tEEE10hipError_tPvRmT1_PNSt15iterator_traitsISK_E10value_typeET2_T3_PNSL_ISQ_E10value_typeET4_jRbjT5_SW_jjP12ihipStream_tbEUlT_E0_NS1_11comp_targetILNS1_3genE5ELNS1_11target_archE942ELNS1_3gpuE9ELNS1_3repE0EEENS1_60segmented_radix_sort_warp_sort_medium_config_static_selectorELNS0_4arch9wavefront6targetE0EEEvSK_
	.p2align	8
	.type	_ZN7rocprim17ROCPRIM_400000_NS6detail17trampoline_kernelINS0_14default_configENS1_36segmented_radix_sort_config_selectorIilEEZNS1_25segmented_radix_sort_implIS3_Lb1EPKiPiPKlPlN2at6native12_GLOBAL__N_18offset_tEEE10hipError_tPvRmT1_PNSt15iterator_traitsISK_E10value_typeET2_T3_PNSL_ISQ_E10value_typeET4_jRbjT5_SW_jjP12ihipStream_tbEUlT_E0_NS1_11comp_targetILNS1_3genE5ELNS1_11target_archE942ELNS1_3gpuE9ELNS1_3repE0EEENS1_60segmented_radix_sort_warp_sort_medium_config_static_selectorELNS0_4arch9wavefront6targetE0EEEvSK_,@function
_ZN7rocprim17ROCPRIM_400000_NS6detail17trampoline_kernelINS0_14default_configENS1_36segmented_radix_sort_config_selectorIilEEZNS1_25segmented_radix_sort_implIS3_Lb1EPKiPiPKlPlN2at6native12_GLOBAL__N_18offset_tEEE10hipError_tPvRmT1_PNSt15iterator_traitsISK_E10value_typeET2_T3_PNSL_ISQ_E10value_typeET4_jRbjT5_SW_jjP12ihipStream_tbEUlT_E0_NS1_11comp_targetILNS1_3genE5ELNS1_11target_archE942ELNS1_3gpuE9ELNS1_3repE0EEENS1_60segmented_radix_sort_warp_sort_medium_config_static_selectorELNS0_4arch9wavefront6targetE0EEEvSK_: ; @_ZN7rocprim17ROCPRIM_400000_NS6detail17trampoline_kernelINS0_14default_configENS1_36segmented_radix_sort_config_selectorIilEEZNS1_25segmented_radix_sort_implIS3_Lb1EPKiPiPKlPlN2at6native12_GLOBAL__N_18offset_tEEE10hipError_tPvRmT1_PNSt15iterator_traitsISK_E10value_typeET2_T3_PNSL_ISQ_E10value_typeET4_jRbjT5_SW_jjP12ihipStream_tbEUlT_E0_NS1_11comp_targetILNS1_3genE5ELNS1_11target_archE942ELNS1_3gpuE9ELNS1_3repE0EEENS1_60segmented_radix_sort_warp_sort_medium_config_static_selectorELNS0_4arch9wavefront6targetE0EEEvSK_
; %bb.0:
	.section	.rodata,"a",@progbits
	.p2align	6, 0x0
	.amdhsa_kernel _ZN7rocprim17ROCPRIM_400000_NS6detail17trampoline_kernelINS0_14default_configENS1_36segmented_radix_sort_config_selectorIilEEZNS1_25segmented_radix_sort_implIS3_Lb1EPKiPiPKlPlN2at6native12_GLOBAL__N_18offset_tEEE10hipError_tPvRmT1_PNSt15iterator_traitsISK_E10value_typeET2_T3_PNSL_ISQ_E10value_typeET4_jRbjT5_SW_jjP12ihipStream_tbEUlT_E0_NS1_11comp_targetILNS1_3genE5ELNS1_11target_archE942ELNS1_3gpuE9ELNS1_3repE0EEENS1_60segmented_radix_sort_warp_sort_medium_config_static_selectorELNS0_4arch9wavefront6targetE0EEEvSK_
		.amdhsa_group_segment_fixed_size 0
		.amdhsa_private_segment_fixed_size 0
		.amdhsa_kernarg_size 88
		.amdhsa_user_sgpr_count 2
		.amdhsa_user_sgpr_dispatch_ptr 0
		.amdhsa_user_sgpr_queue_ptr 0
		.amdhsa_user_sgpr_kernarg_segment_ptr 1
		.amdhsa_user_sgpr_dispatch_id 0
		.amdhsa_user_sgpr_private_segment_size 0
		.amdhsa_wavefront_size32 1
		.amdhsa_uses_dynamic_stack 0
		.amdhsa_enable_private_segment 0
		.amdhsa_system_sgpr_workgroup_id_x 1
		.amdhsa_system_sgpr_workgroup_id_y 0
		.amdhsa_system_sgpr_workgroup_id_z 0
		.amdhsa_system_sgpr_workgroup_info 0
		.amdhsa_system_vgpr_workitem_id 0
		.amdhsa_next_free_vgpr 1
		.amdhsa_next_free_sgpr 1
		.amdhsa_reserve_vcc 0
		.amdhsa_float_round_mode_32 0
		.amdhsa_float_round_mode_16_64 0
		.amdhsa_float_denorm_mode_32 3
		.amdhsa_float_denorm_mode_16_64 3
		.amdhsa_fp16_overflow 0
		.amdhsa_workgroup_processor_mode 1
		.amdhsa_memory_ordered 1
		.amdhsa_forward_progress 1
		.amdhsa_inst_pref_size 0
		.amdhsa_round_robin_scheduling 0
		.amdhsa_exception_fp_ieee_invalid_op 0
		.amdhsa_exception_fp_denorm_src 0
		.amdhsa_exception_fp_ieee_div_zero 0
		.amdhsa_exception_fp_ieee_overflow 0
		.amdhsa_exception_fp_ieee_underflow 0
		.amdhsa_exception_fp_ieee_inexact 0
		.amdhsa_exception_int_div_zero 0
	.end_amdhsa_kernel
	.section	.text._ZN7rocprim17ROCPRIM_400000_NS6detail17trampoline_kernelINS0_14default_configENS1_36segmented_radix_sort_config_selectorIilEEZNS1_25segmented_radix_sort_implIS3_Lb1EPKiPiPKlPlN2at6native12_GLOBAL__N_18offset_tEEE10hipError_tPvRmT1_PNSt15iterator_traitsISK_E10value_typeET2_T3_PNSL_ISQ_E10value_typeET4_jRbjT5_SW_jjP12ihipStream_tbEUlT_E0_NS1_11comp_targetILNS1_3genE5ELNS1_11target_archE942ELNS1_3gpuE9ELNS1_3repE0EEENS1_60segmented_radix_sort_warp_sort_medium_config_static_selectorELNS0_4arch9wavefront6targetE0EEEvSK_,"axG",@progbits,_ZN7rocprim17ROCPRIM_400000_NS6detail17trampoline_kernelINS0_14default_configENS1_36segmented_radix_sort_config_selectorIilEEZNS1_25segmented_radix_sort_implIS3_Lb1EPKiPiPKlPlN2at6native12_GLOBAL__N_18offset_tEEE10hipError_tPvRmT1_PNSt15iterator_traitsISK_E10value_typeET2_T3_PNSL_ISQ_E10value_typeET4_jRbjT5_SW_jjP12ihipStream_tbEUlT_E0_NS1_11comp_targetILNS1_3genE5ELNS1_11target_archE942ELNS1_3gpuE9ELNS1_3repE0EEENS1_60segmented_radix_sort_warp_sort_medium_config_static_selectorELNS0_4arch9wavefront6targetE0EEEvSK_,comdat
.Lfunc_end508:
	.size	_ZN7rocprim17ROCPRIM_400000_NS6detail17trampoline_kernelINS0_14default_configENS1_36segmented_radix_sort_config_selectorIilEEZNS1_25segmented_radix_sort_implIS3_Lb1EPKiPiPKlPlN2at6native12_GLOBAL__N_18offset_tEEE10hipError_tPvRmT1_PNSt15iterator_traitsISK_E10value_typeET2_T3_PNSL_ISQ_E10value_typeET4_jRbjT5_SW_jjP12ihipStream_tbEUlT_E0_NS1_11comp_targetILNS1_3genE5ELNS1_11target_archE942ELNS1_3gpuE9ELNS1_3repE0EEENS1_60segmented_radix_sort_warp_sort_medium_config_static_selectorELNS0_4arch9wavefront6targetE0EEEvSK_, .Lfunc_end508-_ZN7rocprim17ROCPRIM_400000_NS6detail17trampoline_kernelINS0_14default_configENS1_36segmented_radix_sort_config_selectorIilEEZNS1_25segmented_radix_sort_implIS3_Lb1EPKiPiPKlPlN2at6native12_GLOBAL__N_18offset_tEEE10hipError_tPvRmT1_PNSt15iterator_traitsISK_E10value_typeET2_T3_PNSL_ISQ_E10value_typeET4_jRbjT5_SW_jjP12ihipStream_tbEUlT_E0_NS1_11comp_targetILNS1_3genE5ELNS1_11target_archE942ELNS1_3gpuE9ELNS1_3repE0EEENS1_60segmented_radix_sort_warp_sort_medium_config_static_selectorELNS0_4arch9wavefront6targetE0EEEvSK_
                                        ; -- End function
	.set _ZN7rocprim17ROCPRIM_400000_NS6detail17trampoline_kernelINS0_14default_configENS1_36segmented_radix_sort_config_selectorIilEEZNS1_25segmented_radix_sort_implIS3_Lb1EPKiPiPKlPlN2at6native12_GLOBAL__N_18offset_tEEE10hipError_tPvRmT1_PNSt15iterator_traitsISK_E10value_typeET2_T3_PNSL_ISQ_E10value_typeET4_jRbjT5_SW_jjP12ihipStream_tbEUlT_E0_NS1_11comp_targetILNS1_3genE5ELNS1_11target_archE942ELNS1_3gpuE9ELNS1_3repE0EEENS1_60segmented_radix_sort_warp_sort_medium_config_static_selectorELNS0_4arch9wavefront6targetE0EEEvSK_.num_vgpr, 0
	.set _ZN7rocprim17ROCPRIM_400000_NS6detail17trampoline_kernelINS0_14default_configENS1_36segmented_radix_sort_config_selectorIilEEZNS1_25segmented_radix_sort_implIS3_Lb1EPKiPiPKlPlN2at6native12_GLOBAL__N_18offset_tEEE10hipError_tPvRmT1_PNSt15iterator_traitsISK_E10value_typeET2_T3_PNSL_ISQ_E10value_typeET4_jRbjT5_SW_jjP12ihipStream_tbEUlT_E0_NS1_11comp_targetILNS1_3genE5ELNS1_11target_archE942ELNS1_3gpuE9ELNS1_3repE0EEENS1_60segmented_radix_sort_warp_sort_medium_config_static_selectorELNS0_4arch9wavefront6targetE0EEEvSK_.num_agpr, 0
	.set _ZN7rocprim17ROCPRIM_400000_NS6detail17trampoline_kernelINS0_14default_configENS1_36segmented_radix_sort_config_selectorIilEEZNS1_25segmented_radix_sort_implIS3_Lb1EPKiPiPKlPlN2at6native12_GLOBAL__N_18offset_tEEE10hipError_tPvRmT1_PNSt15iterator_traitsISK_E10value_typeET2_T3_PNSL_ISQ_E10value_typeET4_jRbjT5_SW_jjP12ihipStream_tbEUlT_E0_NS1_11comp_targetILNS1_3genE5ELNS1_11target_archE942ELNS1_3gpuE9ELNS1_3repE0EEENS1_60segmented_radix_sort_warp_sort_medium_config_static_selectorELNS0_4arch9wavefront6targetE0EEEvSK_.numbered_sgpr, 0
	.set _ZN7rocprim17ROCPRIM_400000_NS6detail17trampoline_kernelINS0_14default_configENS1_36segmented_radix_sort_config_selectorIilEEZNS1_25segmented_radix_sort_implIS3_Lb1EPKiPiPKlPlN2at6native12_GLOBAL__N_18offset_tEEE10hipError_tPvRmT1_PNSt15iterator_traitsISK_E10value_typeET2_T3_PNSL_ISQ_E10value_typeET4_jRbjT5_SW_jjP12ihipStream_tbEUlT_E0_NS1_11comp_targetILNS1_3genE5ELNS1_11target_archE942ELNS1_3gpuE9ELNS1_3repE0EEENS1_60segmented_radix_sort_warp_sort_medium_config_static_selectorELNS0_4arch9wavefront6targetE0EEEvSK_.num_named_barrier, 0
	.set _ZN7rocprim17ROCPRIM_400000_NS6detail17trampoline_kernelINS0_14default_configENS1_36segmented_radix_sort_config_selectorIilEEZNS1_25segmented_radix_sort_implIS3_Lb1EPKiPiPKlPlN2at6native12_GLOBAL__N_18offset_tEEE10hipError_tPvRmT1_PNSt15iterator_traitsISK_E10value_typeET2_T3_PNSL_ISQ_E10value_typeET4_jRbjT5_SW_jjP12ihipStream_tbEUlT_E0_NS1_11comp_targetILNS1_3genE5ELNS1_11target_archE942ELNS1_3gpuE9ELNS1_3repE0EEENS1_60segmented_radix_sort_warp_sort_medium_config_static_selectorELNS0_4arch9wavefront6targetE0EEEvSK_.private_seg_size, 0
	.set _ZN7rocprim17ROCPRIM_400000_NS6detail17trampoline_kernelINS0_14default_configENS1_36segmented_radix_sort_config_selectorIilEEZNS1_25segmented_radix_sort_implIS3_Lb1EPKiPiPKlPlN2at6native12_GLOBAL__N_18offset_tEEE10hipError_tPvRmT1_PNSt15iterator_traitsISK_E10value_typeET2_T3_PNSL_ISQ_E10value_typeET4_jRbjT5_SW_jjP12ihipStream_tbEUlT_E0_NS1_11comp_targetILNS1_3genE5ELNS1_11target_archE942ELNS1_3gpuE9ELNS1_3repE0EEENS1_60segmented_radix_sort_warp_sort_medium_config_static_selectorELNS0_4arch9wavefront6targetE0EEEvSK_.uses_vcc, 0
	.set _ZN7rocprim17ROCPRIM_400000_NS6detail17trampoline_kernelINS0_14default_configENS1_36segmented_radix_sort_config_selectorIilEEZNS1_25segmented_radix_sort_implIS3_Lb1EPKiPiPKlPlN2at6native12_GLOBAL__N_18offset_tEEE10hipError_tPvRmT1_PNSt15iterator_traitsISK_E10value_typeET2_T3_PNSL_ISQ_E10value_typeET4_jRbjT5_SW_jjP12ihipStream_tbEUlT_E0_NS1_11comp_targetILNS1_3genE5ELNS1_11target_archE942ELNS1_3gpuE9ELNS1_3repE0EEENS1_60segmented_radix_sort_warp_sort_medium_config_static_selectorELNS0_4arch9wavefront6targetE0EEEvSK_.uses_flat_scratch, 0
	.set _ZN7rocprim17ROCPRIM_400000_NS6detail17trampoline_kernelINS0_14default_configENS1_36segmented_radix_sort_config_selectorIilEEZNS1_25segmented_radix_sort_implIS3_Lb1EPKiPiPKlPlN2at6native12_GLOBAL__N_18offset_tEEE10hipError_tPvRmT1_PNSt15iterator_traitsISK_E10value_typeET2_T3_PNSL_ISQ_E10value_typeET4_jRbjT5_SW_jjP12ihipStream_tbEUlT_E0_NS1_11comp_targetILNS1_3genE5ELNS1_11target_archE942ELNS1_3gpuE9ELNS1_3repE0EEENS1_60segmented_radix_sort_warp_sort_medium_config_static_selectorELNS0_4arch9wavefront6targetE0EEEvSK_.has_dyn_sized_stack, 0
	.set _ZN7rocprim17ROCPRIM_400000_NS6detail17trampoline_kernelINS0_14default_configENS1_36segmented_radix_sort_config_selectorIilEEZNS1_25segmented_radix_sort_implIS3_Lb1EPKiPiPKlPlN2at6native12_GLOBAL__N_18offset_tEEE10hipError_tPvRmT1_PNSt15iterator_traitsISK_E10value_typeET2_T3_PNSL_ISQ_E10value_typeET4_jRbjT5_SW_jjP12ihipStream_tbEUlT_E0_NS1_11comp_targetILNS1_3genE5ELNS1_11target_archE942ELNS1_3gpuE9ELNS1_3repE0EEENS1_60segmented_radix_sort_warp_sort_medium_config_static_selectorELNS0_4arch9wavefront6targetE0EEEvSK_.has_recursion, 0
	.set _ZN7rocprim17ROCPRIM_400000_NS6detail17trampoline_kernelINS0_14default_configENS1_36segmented_radix_sort_config_selectorIilEEZNS1_25segmented_radix_sort_implIS3_Lb1EPKiPiPKlPlN2at6native12_GLOBAL__N_18offset_tEEE10hipError_tPvRmT1_PNSt15iterator_traitsISK_E10value_typeET2_T3_PNSL_ISQ_E10value_typeET4_jRbjT5_SW_jjP12ihipStream_tbEUlT_E0_NS1_11comp_targetILNS1_3genE5ELNS1_11target_archE942ELNS1_3gpuE9ELNS1_3repE0EEENS1_60segmented_radix_sort_warp_sort_medium_config_static_selectorELNS0_4arch9wavefront6targetE0EEEvSK_.has_indirect_call, 0
	.section	.AMDGPU.csdata,"",@progbits
; Kernel info:
; codeLenInByte = 0
; TotalNumSgprs: 0
; NumVgprs: 0
; ScratchSize: 0
; MemoryBound: 0
; FloatMode: 240
; IeeeMode: 1
; LDSByteSize: 0 bytes/workgroup (compile time only)
; SGPRBlocks: 0
; VGPRBlocks: 0
; NumSGPRsForWavesPerEU: 1
; NumVGPRsForWavesPerEU: 1
; Occupancy: 16
; WaveLimiterHint : 0
; COMPUTE_PGM_RSRC2:SCRATCH_EN: 0
; COMPUTE_PGM_RSRC2:USER_SGPR: 2
; COMPUTE_PGM_RSRC2:TRAP_HANDLER: 0
; COMPUTE_PGM_RSRC2:TGID_X_EN: 1
; COMPUTE_PGM_RSRC2:TGID_Y_EN: 0
; COMPUTE_PGM_RSRC2:TGID_Z_EN: 0
; COMPUTE_PGM_RSRC2:TIDIG_COMP_CNT: 0
	.section	.text._ZN7rocprim17ROCPRIM_400000_NS6detail17trampoline_kernelINS0_14default_configENS1_36segmented_radix_sort_config_selectorIilEEZNS1_25segmented_radix_sort_implIS3_Lb1EPKiPiPKlPlN2at6native12_GLOBAL__N_18offset_tEEE10hipError_tPvRmT1_PNSt15iterator_traitsISK_E10value_typeET2_T3_PNSL_ISQ_E10value_typeET4_jRbjT5_SW_jjP12ihipStream_tbEUlT_E0_NS1_11comp_targetILNS1_3genE4ELNS1_11target_archE910ELNS1_3gpuE8ELNS1_3repE0EEENS1_60segmented_radix_sort_warp_sort_medium_config_static_selectorELNS0_4arch9wavefront6targetE0EEEvSK_,"axG",@progbits,_ZN7rocprim17ROCPRIM_400000_NS6detail17trampoline_kernelINS0_14default_configENS1_36segmented_radix_sort_config_selectorIilEEZNS1_25segmented_radix_sort_implIS3_Lb1EPKiPiPKlPlN2at6native12_GLOBAL__N_18offset_tEEE10hipError_tPvRmT1_PNSt15iterator_traitsISK_E10value_typeET2_T3_PNSL_ISQ_E10value_typeET4_jRbjT5_SW_jjP12ihipStream_tbEUlT_E0_NS1_11comp_targetILNS1_3genE4ELNS1_11target_archE910ELNS1_3gpuE8ELNS1_3repE0EEENS1_60segmented_radix_sort_warp_sort_medium_config_static_selectorELNS0_4arch9wavefront6targetE0EEEvSK_,comdat
	.globl	_ZN7rocprim17ROCPRIM_400000_NS6detail17trampoline_kernelINS0_14default_configENS1_36segmented_radix_sort_config_selectorIilEEZNS1_25segmented_radix_sort_implIS3_Lb1EPKiPiPKlPlN2at6native12_GLOBAL__N_18offset_tEEE10hipError_tPvRmT1_PNSt15iterator_traitsISK_E10value_typeET2_T3_PNSL_ISQ_E10value_typeET4_jRbjT5_SW_jjP12ihipStream_tbEUlT_E0_NS1_11comp_targetILNS1_3genE4ELNS1_11target_archE910ELNS1_3gpuE8ELNS1_3repE0EEENS1_60segmented_radix_sort_warp_sort_medium_config_static_selectorELNS0_4arch9wavefront6targetE0EEEvSK_ ; -- Begin function _ZN7rocprim17ROCPRIM_400000_NS6detail17trampoline_kernelINS0_14default_configENS1_36segmented_radix_sort_config_selectorIilEEZNS1_25segmented_radix_sort_implIS3_Lb1EPKiPiPKlPlN2at6native12_GLOBAL__N_18offset_tEEE10hipError_tPvRmT1_PNSt15iterator_traitsISK_E10value_typeET2_T3_PNSL_ISQ_E10value_typeET4_jRbjT5_SW_jjP12ihipStream_tbEUlT_E0_NS1_11comp_targetILNS1_3genE4ELNS1_11target_archE910ELNS1_3gpuE8ELNS1_3repE0EEENS1_60segmented_radix_sort_warp_sort_medium_config_static_selectorELNS0_4arch9wavefront6targetE0EEEvSK_
	.p2align	8
	.type	_ZN7rocprim17ROCPRIM_400000_NS6detail17trampoline_kernelINS0_14default_configENS1_36segmented_radix_sort_config_selectorIilEEZNS1_25segmented_radix_sort_implIS3_Lb1EPKiPiPKlPlN2at6native12_GLOBAL__N_18offset_tEEE10hipError_tPvRmT1_PNSt15iterator_traitsISK_E10value_typeET2_T3_PNSL_ISQ_E10value_typeET4_jRbjT5_SW_jjP12ihipStream_tbEUlT_E0_NS1_11comp_targetILNS1_3genE4ELNS1_11target_archE910ELNS1_3gpuE8ELNS1_3repE0EEENS1_60segmented_radix_sort_warp_sort_medium_config_static_selectorELNS0_4arch9wavefront6targetE0EEEvSK_,@function
_ZN7rocprim17ROCPRIM_400000_NS6detail17trampoline_kernelINS0_14default_configENS1_36segmented_radix_sort_config_selectorIilEEZNS1_25segmented_radix_sort_implIS3_Lb1EPKiPiPKlPlN2at6native12_GLOBAL__N_18offset_tEEE10hipError_tPvRmT1_PNSt15iterator_traitsISK_E10value_typeET2_T3_PNSL_ISQ_E10value_typeET4_jRbjT5_SW_jjP12ihipStream_tbEUlT_E0_NS1_11comp_targetILNS1_3genE4ELNS1_11target_archE910ELNS1_3gpuE8ELNS1_3repE0EEENS1_60segmented_radix_sort_warp_sort_medium_config_static_selectorELNS0_4arch9wavefront6targetE0EEEvSK_: ; @_ZN7rocprim17ROCPRIM_400000_NS6detail17trampoline_kernelINS0_14default_configENS1_36segmented_radix_sort_config_selectorIilEEZNS1_25segmented_radix_sort_implIS3_Lb1EPKiPiPKlPlN2at6native12_GLOBAL__N_18offset_tEEE10hipError_tPvRmT1_PNSt15iterator_traitsISK_E10value_typeET2_T3_PNSL_ISQ_E10value_typeET4_jRbjT5_SW_jjP12ihipStream_tbEUlT_E0_NS1_11comp_targetILNS1_3genE4ELNS1_11target_archE910ELNS1_3gpuE8ELNS1_3repE0EEENS1_60segmented_radix_sort_warp_sort_medium_config_static_selectorELNS0_4arch9wavefront6targetE0EEEvSK_
; %bb.0:
	.section	.rodata,"a",@progbits
	.p2align	6, 0x0
	.amdhsa_kernel _ZN7rocprim17ROCPRIM_400000_NS6detail17trampoline_kernelINS0_14default_configENS1_36segmented_radix_sort_config_selectorIilEEZNS1_25segmented_radix_sort_implIS3_Lb1EPKiPiPKlPlN2at6native12_GLOBAL__N_18offset_tEEE10hipError_tPvRmT1_PNSt15iterator_traitsISK_E10value_typeET2_T3_PNSL_ISQ_E10value_typeET4_jRbjT5_SW_jjP12ihipStream_tbEUlT_E0_NS1_11comp_targetILNS1_3genE4ELNS1_11target_archE910ELNS1_3gpuE8ELNS1_3repE0EEENS1_60segmented_radix_sort_warp_sort_medium_config_static_selectorELNS0_4arch9wavefront6targetE0EEEvSK_
		.amdhsa_group_segment_fixed_size 0
		.amdhsa_private_segment_fixed_size 0
		.amdhsa_kernarg_size 88
		.amdhsa_user_sgpr_count 2
		.amdhsa_user_sgpr_dispatch_ptr 0
		.amdhsa_user_sgpr_queue_ptr 0
		.amdhsa_user_sgpr_kernarg_segment_ptr 1
		.amdhsa_user_sgpr_dispatch_id 0
		.amdhsa_user_sgpr_private_segment_size 0
		.amdhsa_wavefront_size32 1
		.amdhsa_uses_dynamic_stack 0
		.amdhsa_enable_private_segment 0
		.amdhsa_system_sgpr_workgroup_id_x 1
		.amdhsa_system_sgpr_workgroup_id_y 0
		.amdhsa_system_sgpr_workgroup_id_z 0
		.amdhsa_system_sgpr_workgroup_info 0
		.amdhsa_system_vgpr_workitem_id 0
		.amdhsa_next_free_vgpr 1
		.amdhsa_next_free_sgpr 1
		.amdhsa_reserve_vcc 0
		.amdhsa_float_round_mode_32 0
		.amdhsa_float_round_mode_16_64 0
		.amdhsa_float_denorm_mode_32 3
		.amdhsa_float_denorm_mode_16_64 3
		.amdhsa_fp16_overflow 0
		.amdhsa_workgroup_processor_mode 1
		.amdhsa_memory_ordered 1
		.amdhsa_forward_progress 1
		.amdhsa_inst_pref_size 0
		.amdhsa_round_robin_scheduling 0
		.amdhsa_exception_fp_ieee_invalid_op 0
		.amdhsa_exception_fp_denorm_src 0
		.amdhsa_exception_fp_ieee_div_zero 0
		.amdhsa_exception_fp_ieee_overflow 0
		.amdhsa_exception_fp_ieee_underflow 0
		.amdhsa_exception_fp_ieee_inexact 0
		.amdhsa_exception_int_div_zero 0
	.end_amdhsa_kernel
	.section	.text._ZN7rocprim17ROCPRIM_400000_NS6detail17trampoline_kernelINS0_14default_configENS1_36segmented_radix_sort_config_selectorIilEEZNS1_25segmented_radix_sort_implIS3_Lb1EPKiPiPKlPlN2at6native12_GLOBAL__N_18offset_tEEE10hipError_tPvRmT1_PNSt15iterator_traitsISK_E10value_typeET2_T3_PNSL_ISQ_E10value_typeET4_jRbjT5_SW_jjP12ihipStream_tbEUlT_E0_NS1_11comp_targetILNS1_3genE4ELNS1_11target_archE910ELNS1_3gpuE8ELNS1_3repE0EEENS1_60segmented_radix_sort_warp_sort_medium_config_static_selectorELNS0_4arch9wavefront6targetE0EEEvSK_,"axG",@progbits,_ZN7rocprim17ROCPRIM_400000_NS6detail17trampoline_kernelINS0_14default_configENS1_36segmented_radix_sort_config_selectorIilEEZNS1_25segmented_radix_sort_implIS3_Lb1EPKiPiPKlPlN2at6native12_GLOBAL__N_18offset_tEEE10hipError_tPvRmT1_PNSt15iterator_traitsISK_E10value_typeET2_T3_PNSL_ISQ_E10value_typeET4_jRbjT5_SW_jjP12ihipStream_tbEUlT_E0_NS1_11comp_targetILNS1_3genE4ELNS1_11target_archE910ELNS1_3gpuE8ELNS1_3repE0EEENS1_60segmented_radix_sort_warp_sort_medium_config_static_selectorELNS0_4arch9wavefront6targetE0EEEvSK_,comdat
.Lfunc_end509:
	.size	_ZN7rocprim17ROCPRIM_400000_NS6detail17trampoline_kernelINS0_14default_configENS1_36segmented_radix_sort_config_selectorIilEEZNS1_25segmented_radix_sort_implIS3_Lb1EPKiPiPKlPlN2at6native12_GLOBAL__N_18offset_tEEE10hipError_tPvRmT1_PNSt15iterator_traitsISK_E10value_typeET2_T3_PNSL_ISQ_E10value_typeET4_jRbjT5_SW_jjP12ihipStream_tbEUlT_E0_NS1_11comp_targetILNS1_3genE4ELNS1_11target_archE910ELNS1_3gpuE8ELNS1_3repE0EEENS1_60segmented_radix_sort_warp_sort_medium_config_static_selectorELNS0_4arch9wavefront6targetE0EEEvSK_, .Lfunc_end509-_ZN7rocprim17ROCPRIM_400000_NS6detail17trampoline_kernelINS0_14default_configENS1_36segmented_radix_sort_config_selectorIilEEZNS1_25segmented_radix_sort_implIS3_Lb1EPKiPiPKlPlN2at6native12_GLOBAL__N_18offset_tEEE10hipError_tPvRmT1_PNSt15iterator_traitsISK_E10value_typeET2_T3_PNSL_ISQ_E10value_typeET4_jRbjT5_SW_jjP12ihipStream_tbEUlT_E0_NS1_11comp_targetILNS1_3genE4ELNS1_11target_archE910ELNS1_3gpuE8ELNS1_3repE0EEENS1_60segmented_radix_sort_warp_sort_medium_config_static_selectorELNS0_4arch9wavefront6targetE0EEEvSK_
                                        ; -- End function
	.set _ZN7rocprim17ROCPRIM_400000_NS6detail17trampoline_kernelINS0_14default_configENS1_36segmented_radix_sort_config_selectorIilEEZNS1_25segmented_radix_sort_implIS3_Lb1EPKiPiPKlPlN2at6native12_GLOBAL__N_18offset_tEEE10hipError_tPvRmT1_PNSt15iterator_traitsISK_E10value_typeET2_T3_PNSL_ISQ_E10value_typeET4_jRbjT5_SW_jjP12ihipStream_tbEUlT_E0_NS1_11comp_targetILNS1_3genE4ELNS1_11target_archE910ELNS1_3gpuE8ELNS1_3repE0EEENS1_60segmented_radix_sort_warp_sort_medium_config_static_selectorELNS0_4arch9wavefront6targetE0EEEvSK_.num_vgpr, 0
	.set _ZN7rocprim17ROCPRIM_400000_NS6detail17trampoline_kernelINS0_14default_configENS1_36segmented_radix_sort_config_selectorIilEEZNS1_25segmented_radix_sort_implIS3_Lb1EPKiPiPKlPlN2at6native12_GLOBAL__N_18offset_tEEE10hipError_tPvRmT1_PNSt15iterator_traitsISK_E10value_typeET2_T3_PNSL_ISQ_E10value_typeET4_jRbjT5_SW_jjP12ihipStream_tbEUlT_E0_NS1_11comp_targetILNS1_3genE4ELNS1_11target_archE910ELNS1_3gpuE8ELNS1_3repE0EEENS1_60segmented_radix_sort_warp_sort_medium_config_static_selectorELNS0_4arch9wavefront6targetE0EEEvSK_.num_agpr, 0
	.set _ZN7rocprim17ROCPRIM_400000_NS6detail17trampoline_kernelINS0_14default_configENS1_36segmented_radix_sort_config_selectorIilEEZNS1_25segmented_radix_sort_implIS3_Lb1EPKiPiPKlPlN2at6native12_GLOBAL__N_18offset_tEEE10hipError_tPvRmT1_PNSt15iterator_traitsISK_E10value_typeET2_T3_PNSL_ISQ_E10value_typeET4_jRbjT5_SW_jjP12ihipStream_tbEUlT_E0_NS1_11comp_targetILNS1_3genE4ELNS1_11target_archE910ELNS1_3gpuE8ELNS1_3repE0EEENS1_60segmented_radix_sort_warp_sort_medium_config_static_selectorELNS0_4arch9wavefront6targetE0EEEvSK_.numbered_sgpr, 0
	.set _ZN7rocprim17ROCPRIM_400000_NS6detail17trampoline_kernelINS0_14default_configENS1_36segmented_radix_sort_config_selectorIilEEZNS1_25segmented_radix_sort_implIS3_Lb1EPKiPiPKlPlN2at6native12_GLOBAL__N_18offset_tEEE10hipError_tPvRmT1_PNSt15iterator_traitsISK_E10value_typeET2_T3_PNSL_ISQ_E10value_typeET4_jRbjT5_SW_jjP12ihipStream_tbEUlT_E0_NS1_11comp_targetILNS1_3genE4ELNS1_11target_archE910ELNS1_3gpuE8ELNS1_3repE0EEENS1_60segmented_radix_sort_warp_sort_medium_config_static_selectorELNS0_4arch9wavefront6targetE0EEEvSK_.num_named_barrier, 0
	.set _ZN7rocprim17ROCPRIM_400000_NS6detail17trampoline_kernelINS0_14default_configENS1_36segmented_radix_sort_config_selectorIilEEZNS1_25segmented_radix_sort_implIS3_Lb1EPKiPiPKlPlN2at6native12_GLOBAL__N_18offset_tEEE10hipError_tPvRmT1_PNSt15iterator_traitsISK_E10value_typeET2_T3_PNSL_ISQ_E10value_typeET4_jRbjT5_SW_jjP12ihipStream_tbEUlT_E0_NS1_11comp_targetILNS1_3genE4ELNS1_11target_archE910ELNS1_3gpuE8ELNS1_3repE0EEENS1_60segmented_radix_sort_warp_sort_medium_config_static_selectorELNS0_4arch9wavefront6targetE0EEEvSK_.private_seg_size, 0
	.set _ZN7rocprim17ROCPRIM_400000_NS6detail17trampoline_kernelINS0_14default_configENS1_36segmented_radix_sort_config_selectorIilEEZNS1_25segmented_radix_sort_implIS3_Lb1EPKiPiPKlPlN2at6native12_GLOBAL__N_18offset_tEEE10hipError_tPvRmT1_PNSt15iterator_traitsISK_E10value_typeET2_T3_PNSL_ISQ_E10value_typeET4_jRbjT5_SW_jjP12ihipStream_tbEUlT_E0_NS1_11comp_targetILNS1_3genE4ELNS1_11target_archE910ELNS1_3gpuE8ELNS1_3repE0EEENS1_60segmented_radix_sort_warp_sort_medium_config_static_selectorELNS0_4arch9wavefront6targetE0EEEvSK_.uses_vcc, 0
	.set _ZN7rocprim17ROCPRIM_400000_NS6detail17trampoline_kernelINS0_14default_configENS1_36segmented_radix_sort_config_selectorIilEEZNS1_25segmented_radix_sort_implIS3_Lb1EPKiPiPKlPlN2at6native12_GLOBAL__N_18offset_tEEE10hipError_tPvRmT1_PNSt15iterator_traitsISK_E10value_typeET2_T3_PNSL_ISQ_E10value_typeET4_jRbjT5_SW_jjP12ihipStream_tbEUlT_E0_NS1_11comp_targetILNS1_3genE4ELNS1_11target_archE910ELNS1_3gpuE8ELNS1_3repE0EEENS1_60segmented_radix_sort_warp_sort_medium_config_static_selectorELNS0_4arch9wavefront6targetE0EEEvSK_.uses_flat_scratch, 0
	.set _ZN7rocprim17ROCPRIM_400000_NS6detail17trampoline_kernelINS0_14default_configENS1_36segmented_radix_sort_config_selectorIilEEZNS1_25segmented_radix_sort_implIS3_Lb1EPKiPiPKlPlN2at6native12_GLOBAL__N_18offset_tEEE10hipError_tPvRmT1_PNSt15iterator_traitsISK_E10value_typeET2_T3_PNSL_ISQ_E10value_typeET4_jRbjT5_SW_jjP12ihipStream_tbEUlT_E0_NS1_11comp_targetILNS1_3genE4ELNS1_11target_archE910ELNS1_3gpuE8ELNS1_3repE0EEENS1_60segmented_radix_sort_warp_sort_medium_config_static_selectorELNS0_4arch9wavefront6targetE0EEEvSK_.has_dyn_sized_stack, 0
	.set _ZN7rocprim17ROCPRIM_400000_NS6detail17trampoline_kernelINS0_14default_configENS1_36segmented_radix_sort_config_selectorIilEEZNS1_25segmented_radix_sort_implIS3_Lb1EPKiPiPKlPlN2at6native12_GLOBAL__N_18offset_tEEE10hipError_tPvRmT1_PNSt15iterator_traitsISK_E10value_typeET2_T3_PNSL_ISQ_E10value_typeET4_jRbjT5_SW_jjP12ihipStream_tbEUlT_E0_NS1_11comp_targetILNS1_3genE4ELNS1_11target_archE910ELNS1_3gpuE8ELNS1_3repE0EEENS1_60segmented_radix_sort_warp_sort_medium_config_static_selectorELNS0_4arch9wavefront6targetE0EEEvSK_.has_recursion, 0
	.set _ZN7rocprim17ROCPRIM_400000_NS6detail17trampoline_kernelINS0_14default_configENS1_36segmented_radix_sort_config_selectorIilEEZNS1_25segmented_radix_sort_implIS3_Lb1EPKiPiPKlPlN2at6native12_GLOBAL__N_18offset_tEEE10hipError_tPvRmT1_PNSt15iterator_traitsISK_E10value_typeET2_T3_PNSL_ISQ_E10value_typeET4_jRbjT5_SW_jjP12ihipStream_tbEUlT_E0_NS1_11comp_targetILNS1_3genE4ELNS1_11target_archE910ELNS1_3gpuE8ELNS1_3repE0EEENS1_60segmented_radix_sort_warp_sort_medium_config_static_selectorELNS0_4arch9wavefront6targetE0EEEvSK_.has_indirect_call, 0
	.section	.AMDGPU.csdata,"",@progbits
; Kernel info:
; codeLenInByte = 0
; TotalNumSgprs: 0
; NumVgprs: 0
; ScratchSize: 0
; MemoryBound: 0
; FloatMode: 240
; IeeeMode: 1
; LDSByteSize: 0 bytes/workgroup (compile time only)
; SGPRBlocks: 0
; VGPRBlocks: 0
; NumSGPRsForWavesPerEU: 1
; NumVGPRsForWavesPerEU: 1
; Occupancy: 16
; WaveLimiterHint : 0
; COMPUTE_PGM_RSRC2:SCRATCH_EN: 0
; COMPUTE_PGM_RSRC2:USER_SGPR: 2
; COMPUTE_PGM_RSRC2:TRAP_HANDLER: 0
; COMPUTE_PGM_RSRC2:TGID_X_EN: 1
; COMPUTE_PGM_RSRC2:TGID_Y_EN: 0
; COMPUTE_PGM_RSRC2:TGID_Z_EN: 0
; COMPUTE_PGM_RSRC2:TIDIG_COMP_CNT: 0
	.section	.text._ZN7rocprim17ROCPRIM_400000_NS6detail17trampoline_kernelINS0_14default_configENS1_36segmented_radix_sort_config_selectorIilEEZNS1_25segmented_radix_sort_implIS3_Lb1EPKiPiPKlPlN2at6native12_GLOBAL__N_18offset_tEEE10hipError_tPvRmT1_PNSt15iterator_traitsISK_E10value_typeET2_T3_PNSL_ISQ_E10value_typeET4_jRbjT5_SW_jjP12ihipStream_tbEUlT_E0_NS1_11comp_targetILNS1_3genE3ELNS1_11target_archE908ELNS1_3gpuE7ELNS1_3repE0EEENS1_60segmented_radix_sort_warp_sort_medium_config_static_selectorELNS0_4arch9wavefront6targetE0EEEvSK_,"axG",@progbits,_ZN7rocprim17ROCPRIM_400000_NS6detail17trampoline_kernelINS0_14default_configENS1_36segmented_radix_sort_config_selectorIilEEZNS1_25segmented_radix_sort_implIS3_Lb1EPKiPiPKlPlN2at6native12_GLOBAL__N_18offset_tEEE10hipError_tPvRmT1_PNSt15iterator_traitsISK_E10value_typeET2_T3_PNSL_ISQ_E10value_typeET4_jRbjT5_SW_jjP12ihipStream_tbEUlT_E0_NS1_11comp_targetILNS1_3genE3ELNS1_11target_archE908ELNS1_3gpuE7ELNS1_3repE0EEENS1_60segmented_radix_sort_warp_sort_medium_config_static_selectorELNS0_4arch9wavefront6targetE0EEEvSK_,comdat
	.globl	_ZN7rocprim17ROCPRIM_400000_NS6detail17trampoline_kernelINS0_14default_configENS1_36segmented_radix_sort_config_selectorIilEEZNS1_25segmented_radix_sort_implIS3_Lb1EPKiPiPKlPlN2at6native12_GLOBAL__N_18offset_tEEE10hipError_tPvRmT1_PNSt15iterator_traitsISK_E10value_typeET2_T3_PNSL_ISQ_E10value_typeET4_jRbjT5_SW_jjP12ihipStream_tbEUlT_E0_NS1_11comp_targetILNS1_3genE3ELNS1_11target_archE908ELNS1_3gpuE7ELNS1_3repE0EEENS1_60segmented_radix_sort_warp_sort_medium_config_static_selectorELNS0_4arch9wavefront6targetE0EEEvSK_ ; -- Begin function _ZN7rocprim17ROCPRIM_400000_NS6detail17trampoline_kernelINS0_14default_configENS1_36segmented_radix_sort_config_selectorIilEEZNS1_25segmented_radix_sort_implIS3_Lb1EPKiPiPKlPlN2at6native12_GLOBAL__N_18offset_tEEE10hipError_tPvRmT1_PNSt15iterator_traitsISK_E10value_typeET2_T3_PNSL_ISQ_E10value_typeET4_jRbjT5_SW_jjP12ihipStream_tbEUlT_E0_NS1_11comp_targetILNS1_3genE3ELNS1_11target_archE908ELNS1_3gpuE7ELNS1_3repE0EEENS1_60segmented_radix_sort_warp_sort_medium_config_static_selectorELNS0_4arch9wavefront6targetE0EEEvSK_
	.p2align	8
	.type	_ZN7rocprim17ROCPRIM_400000_NS6detail17trampoline_kernelINS0_14default_configENS1_36segmented_radix_sort_config_selectorIilEEZNS1_25segmented_radix_sort_implIS3_Lb1EPKiPiPKlPlN2at6native12_GLOBAL__N_18offset_tEEE10hipError_tPvRmT1_PNSt15iterator_traitsISK_E10value_typeET2_T3_PNSL_ISQ_E10value_typeET4_jRbjT5_SW_jjP12ihipStream_tbEUlT_E0_NS1_11comp_targetILNS1_3genE3ELNS1_11target_archE908ELNS1_3gpuE7ELNS1_3repE0EEENS1_60segmented_radix_sort_warp_sort_medium_config_static_selectorELNS0_4arch9wavefront6targetE0EEEvSK_,@function
_ZN7rocprim17ROCPRIM_400000_NS6detail17trampoline_kernelINS0_14default_configENS1_36segmented_radix_sort_config_selectorIilEEZNS1_25segmented_radix_sort_implIS3_Lb1EPKiPiPKlPlN2at6native12_GLOBAL__N_18offset_tEEE10hipError_tPvRmT1_PNSt15iterator_traitsISK_E10value_typeET2_T3_PNSL_ISQ_E10value_typeET4_jRbjT5_SW_jjP12ihipStream_tbEUlT_E0_NS1_11comp_targetILNS1_3genE3ELNS1_11target_archE908ELNS1_3gpuE7ELNS1_3repE0EEENS1_60segmented_radix_sort_warp_sort_medium_config_static_selectorELNS0_4arch9wavefront6targetE0EEEvSK_: ; @_ZN7rocprim17ROCPRIM_400000_NS6detail17trampoline_kernelINS0_14default_configENS1_36segmented_radix_sort_config_selectorIilEEZNS1_25segmented_radix_sort_implIS3_Lb1EPKiPiPKlPlN2at6native12_GLOBAL__N_18offset_tEEE10hipError_tPvRmT1_PNSt15iterator_traitsISK_E10value_typeET2_T3_PNSL_ISQ_E10value_typeET4_jRbjT5_SW_jjP12ihipStream_tbEUlT_E0_NS1_11comp_targetILNS1_3genE3ELNS1_11target_archE908ELNS1_3gpuE7ELNS1_3repE0EEENS1_60segmented_radix_sort_warp_sort_medium_config_static_selectorELNS0_4arch9wavefront6targetE0EEEvSK_
; %bb.0:
	.section	.rodata,"a",@progbits
	.p2align	6, 0x0
	.amdhsa_kernel _ZN7rocprim17ROCPRIM_400000_NS6detail17trampoline_kernelINS0_14default_configENS1_36segmented_radix_sort_config_selectorIilEEZNS1_25segmented_radix_sort_implIS3_Lb1EPKiPiPKlPlN2at6native12_GLOBAL__N_18offset_tEEE10hipError_tPvRmT1_PNSt15iterator_traitsISK_E10value_typeET2_T3_PNSL_ISQ_E10value_typeET4_jRbjT5_SW_jjP12ihipStream_tbEUlT_E0_NS1_11comp_targetILNS1_3genE3ELNS1_11target_archE908ELNS1_3gpuE7ELNS1_3repE0EEENS1_60segmented_radix_sort_warp_sort_medium_config_static_selectorELNS0_4arch9wavefront6targetE0EEEvSK_
		.amdhsa_group_segment_fixed_size 0
		.amdhsa_private_segment_fixed_size 0
		.amdhsa_kernarg_size 88
		.amdhsa_user_sgpr_count 2
		.amdhsa_user_sgpr_dispatch_ptr 0
		.amdhsa_user_sgpr_queue_ptr 0
		.amdhsa_user_sgpr_kernarg_segment_ptr 1
		.amdhsa_user_sgpr_dispatch_id 0
		.amdhsa_user_sgpr_private_segment_size 0
		.amdhsa_wavefront_size32 1
		.amdhsa_uses_dynamic_stack 0
		.amdhsa_enable_private_segment 0
		.amdhsa_system_sgpr_workgroup_id_x 1
		.amdhsa_system_sgpr_workgroup_id_y 0
		.amdhsa_system_sgpr_workgroup_id_z 0
		.amdhsa_system_sgpr_workgroup_info 0
		.amdhsa_system_vgpr_workitem_id 0
		.amdhsa_next_free_vgpr 1
		.amdhsa_next_free_sgpr 1
		.amdhsa_reserve_vcc 0
		.amdhsa_float_round_mode_32 0
		.amdhsa_float_round_mode_16_64 0
		.amdhsa_float_denorm_mode_32 3
		.amdhsa_float_denorm_mode_16_64 3
		.amdhsa_fp16_overflow 0
		.amdhsa_workgroup_processor_mode 1
		.amdhsa_memory_ordered 1
		.amdhsa_forward_progress 1
		.amdhsa_inst_pref_size 0
		.amdhsa_round_robin_scheduling 0
		.amdhsa_exception_fp_ieee_invalid_op 0
		.amdhsa_exception_fp_denorm_src 0
		.amdhsa_exception_fp_ieee_div_zero 0
		.amdhsa_exception_fp_ieee_overflow 0
		.amdhsa_exception_fp_ieee_underflow 0
		.amdhsa_exception_fp_ieee_inexact 0
		.amdhsa_exception_int_div_zero 0
	.end_amdhsa_kernel
	.section	.text._ZN7rocprim17ROCPRIM_400000_NS6detail17trampoline_kernelINS0_14default_configENS1_36segmented_radix_sort_config_selectorIilEEZNS1_25segmented_radix_sort_implIS3_Lb1EPKiPiPKlPlN2at6native12_GLOBAL__N_18offset_tEEE10hipError_tPvRmT1_PNSt15iterator_traitsISK_E10value_typeET2_T3_PNSL_ISQ_E10value_typeET4_jRbjT5_SW_jjP12ihipStream_tbEUlT_E0_NS1_11comp_targetILNS1_3genE3ELNS1_11target_archE908ELNS1_3gpuE7ELNS1_3repE0EEENS1_60segmented_radix_sort_warp_sort_medium_config_static_selectorELNS0_4arch9wavefront6targetE0EEEvSK_,"axG",@progbits,_ZN7rocprim17ROCPRIM_400000_NS6detail17trampoline_kernelINS0_14default_configENS1_36segmented_radix_sort_config_selectorIilEEZNS1_25segmented_radix_sort_implIS3_Lb1EPKiPiPKlPlN2at6native12_GLOBAL__N_18offset_tEEE10hipError_tPvRmT1_PNSt15iterator_traitsISK_E10value_typeET2_T3_PNSL_ISQ_E10value_typeET4_jRbjT5_SW_jjP12ihipStream_tbEUlT_E0_NS1_11comp_targetILNS1_3genE3ELNS1_11target_archE908ELNS1_3gpuE7ELNS1_3repE0EEENS1_60segmented_radix_sort_warp_sort_medium_config_static_selectorELNS0_4arch9wavefront6targetE0EEEvSK_,comdat
.Lfunc_end510:
	.size	_ZN7rocprim17ROCPRIM_400000_NS6detail17trampoline_kernelINS0_14default_configENS1_36segmented_radix_sort_config_selectorIilEEZNS1_25segmented_radix_sort_implIS3_Lb1EPKiPiPKlPlN2at6native12_GLOBAL__N_18offset_tEEE10hipError_tPvRmT1_PNSt15iterator_traitsISK_E10value_typeET2_T3_PNSL_ISQ_E10value_typeET4_jRbjT5_SW_jjP12ihipStream_tbEUlT_E0_NS1_11comp_targetILNS1_3genE3ELNS1_11target_archE908ELNS1_3gpuE7ELNS1_3repE0EEENS1_60segmented_radix_sort_warp_sort_medium_config_static_selectorELNS0_4arch9wavefront6targetE0EEEvSK_, .Lfunc_end510-_ZN7rocprim17ROCPRIM_400000_NS6detail17trampoline_kernelINS0_14default_configENS1_36segmented_radix_sort_config_selectorIilEEZNS1_25segmented_radix_sort_implIS3_Lb1EPKiPiPKlPlN2at6native12_GLOBAL__N_18offset_tEEE10hipError_tPvRmT1_PNSt15iterator_traitsISK_E10value_typeET2_T3_PNSL_ISQ_E10value_typeET4_jRbjT5_SW_jjP12ihipStream_tbEUlT_E0_NS1_11comp_targetILNS1_3genE3ELNS1_11target_archE908ELNS1_3gpuE7ELNS1_3repE0EEENS1_60segmented_radix_sort_warp_sort_medium_config_static_selectorELNS0_4arch9wavefront6targetE0EEEvSK_
                                        ; -- End function
	.set _ZN7rocprim17ROCPRIM_400000_NS6detail17trampoline_kernelINS0_14default_configENS1_36segmented_radix_sort_config_selectorIilEEZNS1_25segmented_radix_sort_implIS3_Lb1EPKiPiPKlPlN2at6native12_GLOBAL__N_18offset_tEEE10hipError_tPvRmT1_PNSt15iterator_traitsISK_E10value_typeET2_T3_PNSL_ISQ_E10value_typeET4_jRbjT5_SW_jjP12ihipStream_tbEUlT_E0_NS1_11comp_targetILNS1_3genE3ELNS1_11target_archE908ELNS1_3gpuE7ELNS1_3repE0EEENS1_60segmented_radix_sort_warp_sort_medium_config_static_selectorELNS0_4arch9wavefront6targetE0EEEvSK_.num_vgpr, 0
	.set _ZN7rocprim17ROCPRIM_400000_NS6detail17trampoline_kernelINS0_14default_configENS1_36segmented_radix_sort_config_selectorIilEEZNS1_25segmented_radix_sort_implIS3_Lb1EPKiPiPKlPlN2at6native12_GLOBAL__N_18offset_tEEE10hipError_tPvRmT1_PNSt15iterator_traitsISK_E10value_typeET2_T3_PNSL_ISQ_E10value_typeET4_jRbjT5_SW_jjP12ihipStream_tbEUlT_E0_NS1_11comp_targetILNS1_3genE3ELNS1_11target_archE908ELNS1_3gpuE7ELNS1_3repE0EEENS1_60segmented_radix_sort_warp_sort_medium_config_static_selectorELNS0_4arch9wavefront6targetE0EEEvSK_.num_agpr, 0
	.set _ZN7rocprim17ROCPRIM_400000_NS6detail17trampoline_kernelINS0_14default_configENS1_36segmented_radix_sort_config_selectorIilEEZNS1_25segmented_radix_sort_implIS3_Lb1EPKiPiPKlPlN2at6native12_GLOBAL__N_18offset_tEEE10hipError_tPvRmT1_PNSt15iterator_traitsISK_E10value_typeET2_T3_PNSL_ISQ_E10value_typeET4_jRbjT5_SW_jjP12ihipStream_tbEUlT_E0_NS1_11comp_targetILNS1_3genE3ELNS1_11target_archE908ELNS1_3gpuE7ELNS1_3repE0EEENS1_60segmented_radix_sort_warp_sort_medium_config_static_selectorELNS0_4arch9wavefront6targetE0EEEvSK_.numbered_sgpr, 0
	.set _ZN7rocprim17ROCPRIM_400000_NS6detail17trampoline_kernelINS0_14default_configENS1_36segmented_radix_sort_config_selectorIilEEZNS1_25segmented_radix_sort_implIS3_Lb1EPKiPiPKlPlN2at6native12_GLOBAL__N_18offset_tEEE10hipError_tPvRmT1_PNSt15iterator_traitsISK_E10value_typeET2_T3_PNSL_ISQ_E10value_typeET4_jRbjT5_SW_jjP12ihipStream_tbEUlT_E0_NS1_11comp_targetILNS1_3genE3ELNS1_11target_archE908ELNS1_3gpuE7ELNS1_3repE0EEENS1_60segmented_radix_sort_warp_sort_medium_config_static_selectorELNS0_4arch9wavefront6targetE0EEEvSK_.num_named_barrier, 0
	.set _ZN7rocprim17ROCPRIM_400000_NS6detail17trampoline_kernelINS0_14default_configENS1_36segmented_radix_sort_config_selectorIilEEZNS1_25segmented_radix_sort_implIS3_Lb1EPKiPiPKlPlN2at6native12_GLOBAL__N_18offset_tEEE10hipError_tPvRmT1_PNSt15iterator_traitsISK_E10value_typeET2_T3_PNSL_ISQ_E10value_typeET4_jRbjT5_SW_jjP12ihipStream_tbEUlT_E0_NS1_11comp_targetILNS1_3genE3ELNS1_11target_archE908ELNS1_3gpuE7ELNS1_3repE0EEENS1_60segmented_radix_sort_warp_sort_medium_config_static_selectorELNS0_4arch9wavefront6targetE0EEEvSK_.private_seg_size, 0
	.set _ZN7rocprim17ROCPRIM_400000_NS6detail17trampoline_kernelINS0_14default_configENS1_36segmented_radix_sort_config_selectorIilEEZNS1_25segmented_radix_sort_implIS3_Lb1EPKiPiPKlPlN2at6native12_GLOBAL__N_18offset_tEEE10hipError_tPvRmT1_PNSt15iterator_traitsISK_E10value_typeET2_T3_PNSL_ISQ_E10value_typeET4_jRbjT5_SW_jjP12ihipStream_tbEUlT_E0_NS1_11comp_targetILNS1_3genE3ELNS1_11target_archE908ELNS1_3gpuE7ELNS1_3repE0EEENS1_60segmented_radix_sort_warp_sort_medium_config_static_selectorELNS0_4arch9wavefront6targetE0EEEvSK_.uses_vcc, 0
	.set _ZN7rocprim17ROCPRIM_400000_NS6detail17trampoline_kernelINS0_14default_configENS1_36segmented_radix_sort_config_selectorIilEEZNS1_25segmented_radix_sort_implIS3_Lb1EPKiPiPKlPlN2at6native12_GLOBAL__N_18offset_tEEE10hipError_tPvRmT1_PNSt15iterator_traitsISK_E10value_typeET2_T3_PNSL_ISQ_E10value_typeET4_jRbjT5_SW_jjP12ihipStream_tbEUlT_E0_NS1_11comp_targetILNS1_3genE3ELNS1_11target_archE908ELNS1_3gpuE7ELNS1_3repE0EEENS1_60segmented_radix_sort_warp_sort_medium_config_static_selectorELNS0_4arch9wavefront6targetE0EEEvSK_.uses_flat_scratch, 0
	.set _ZN7rocprim17ROCPRIM_400000_NS6detail17trampoline_kernelINS0_14default_configENS1_36segmented_radix_sort_config_selectorIilEEZNS1_25segmented_radix_sort_implIS3_Lb1EPKiPiPKlPlN2at6native12_GLOBAL__N_18offset_tEEE10hipError_tPvRmT1_PNSt15iterator_traitsISK_E10value_typeET2_T3_PNSL_ISQ_E10value_typeET4_jRbjT5_SW_jjP12ihipStream_tbEUlT_E0_NS1_11comp_targetILNS1_3genE3ELNS1_11target_archE908ELNS1_3gpuE7ELNS1_3repE0EEENS1_60segmented_radix_sort_warp_sort_medium_config_static_selectorELNS0_4arch9wavefront6targetE0EEEvSK_.has_dyn_sized_stack, 0
	.set _ZN7rocprim17ROCPRIM_400000_NS6detail17trampoline_kernelINS0_14default_configENS1_36segmented_radix_sort_config_selectorIilEEZNS1_25segmented_radix_sort_implIS3_Lb1EPKiPiPKlPlN2at6native12_GLOBAL__N_18offset_tEEE10hipError_tPvRmT1_PNSt15iterator_traitsISK_E10value_typeET2_T3_PNSL_ISQ_E10value_typeET4_jRbjT5_SW_jjP12ihipStream_tbEUlT_E0_NS1_11comp_targetILNS1_3genE3ELNS1_11target_archE908ELNS1_3gpuE7ELNS1_3repE0EEENS1_60segmented_radix_sort_warp_sort_medium_config_static_selectorELNS0_4arch9wavefront6targetE0EEEvSK_.has_recursion, 0
	.set _ZN7rocprim17ROCPRIM_400000_NS6detail17trampoline_kernelINS0_14default_configENS1_36segmented_radix_sort_config_selectorIilEEZNS1_25segmented_radix_sort_implIS3_Lb1EPKiPiPKlPlN2at6native12_GLOBAL__N_18offset_tEEE10hipError_tPvRmT1_PNSt15iterator_traitsISK_E10value_typeET2_T3_PNSL_ISQ_E10value_typeET4_jRbjT5_SW_jjP12ihipStream_tbEUlT_E0_NS1_11comp_targetILNS1_3genE3ELNS1_11target_archE908ELNS1_3gpuE7ELNS1_3repE0EEENS1_60segmented_radix_sort_warp_sort_medium_config_static_selectorELNS0_4arch9wavefront6targetE0EEEvSK_.has_indirect_call, 0
	.section	.AMDGPU.csdata,"",@progbits
; Kernel info:
; codeLenInByte = 0
; TotalNumSgprs: 0
; NumVgprs: 0
; ScratchSize: 0
; MemoryBound: 0
; FloatMode: 240
; IeeeMode: 1
; LDSByteSize: 0 bytes/workgroup (compile time only)
; SGPRBlocks: 0
; VGPRBlocks: 0
; NumSGPRsForWavesPerEU: 1
; NumVGPRsForWavesPerEU: 1
; Occupancy: 16
; WaveLimiterHint : 0
; COMPUTE_PGM_RSRC2:SCRATCH_EN: 0
; COMPUTE_PGM_RSRC2:USER_SGPR: 2
; COMPUTE_PGM_RSRC2:TRAP_HANDLER: 0
; COMPUTE_PGM_RSRC2:TGID_X_EN: 1
; COMPUTE_PGM_RSRC2:TGID_Y_EN: 0
; COMPUTE_PGM_RSRC2:TGID_Z_EN: 0
; COMPUTE_PGM_RSRC2:TIDIG_COMP_CNT: 0
	.section	.text._ZN7rocprim17ROCPRIM_400000_NS6detail17trampoline_kernelINS0_14default_configENS1_36segmented_radix_sort_config_selectorIilEEZNS1_25segmented_radix_sort_implIS3_Lb1EPKiPiPKlPlN2at6native12_GLOBAL__N_18offset_tEEE10hipError_tPvRmT1_PNSt15iterator_traitsISK_E10value_typeET2_T3_PNSL_ISQ_E10value_typeET4_jRbjT5_SW_jjP12ihipStream_tbEUlT_E0_NS1_11comp_targetILNS1_3genE2ELNS1_11target_archE906ELNS1_3gpuE6ELNS1_3repE0EEENS1_60segmented_radix_sort_warp_sort_medium_config_static_selectorELNS0_4arch9wavefront6targetE0EEEvSK_,"axG",@progbits,_ZN7rocprim17ROCPRIM_400000_NS6detail17trampoline_kernelINS0_14default_configENS1_36segmented_radix_sort_config_selectorIilEEZNS1_25segmented_radix_sort_implIS3_Lb1EPKiPiPKlPlN2at6native12_GLOBAL__N_18offset_tEEE10hipError_tPvRmT1_PNSt15iterator_traitsISK_E10value_typeET2_T3_PNSL_ISQ_E10value_typeET4_jRbjT5_SW_jjP12ihipStream_tbEUlT_E0_NS1_11comp_targetILNS1_3genE2ELNS1_11target_archE906ELNS1_3gpuE6ELNS1_3repE0EEENS1_60segmented_radix_sort_warp_sort_medium_config_static_selectorELNS0_4arch9wavefront6targetE0EEEvSK_,comdat
	.globl	_ZN7rocprim17ROCPRIM_400000_NS6detail17trampoline_kernelINS0_14default_configENS1_36segmented_radix_sort_config_selectorIilEEZNS1_25segmented_radix_sort_implIS3_Lb1EPKiPiPKlPlN2at6native12_GLOBAL__N_18offset_tEEE10hipError_tPvRmT1_PNSt15iterator_traitsISK_E10value_typeET2_T3_PNSL_ISQ_E10value_typeET4_jRbjT5_SW_jjP12ihipStream_tbEUlT_E0_NS1_11comp_targetILNS1_3genE2ELNS1_11target_archE906ELNS1_3gpuE6ELNS1_3repE0EEENS1_60segmented_radix_sort_warp_sort_medium_config_static_selectorELNS0_4arch9wavefront6targetE0EEEvSK_ ; -- Begin function _ZN7rocprim17ROCPRIM_400000_NS6detail17trampoline_kernelINS0_14default_configENS1_36segmented_radix_sort_config_selectorIilEEZNS1_25segmented_radix_sort_implIS3_Lb1EPKiPiPKlPlN2at6native12_GLOBAL__N_18offset_tEEE10hipError_tPvRmT1_PNSt15iterator_traitsISK_E10value_typeET2_T3_PNSL_ISQ_E10value_typeET4_jRbjT5_SW_jjP12ihipStream_tbEUlT_E0_NS1_11comp_targetILNS1_3genE2ELNS1_11target_archE906ELNS1_3gpuE6ELNS1_3repE0EEENS1_60segmented_radix_sort_warp_sort_medium_config_static_selectorELNS0_4arch9wavefront6targetE0EEEvSK_
	.p2align	8
	.type	_ZN7rocprim17ROCPRIM_400000_NS6detail17trampoline_kernelINS0_14default_configENS1_36segmented_radix_sort_config_selectorIilEEZNS1_25segmented_radix_sort_implIS3_Lb1EPKiPiPKlPlN2at6native12_GLOBAL__N_18offset_tEEE10hipError_tPvRmT1_PNSt15iterator_traitsISK_E10value_typeET2_T3_PNSL_ISQ_E10value_typeET4_jRbjT5_SW_jjP12ihipStream_tbEUlT_E0_NS1_11comp_targetILNS1_3genE2ELNS1_11target_archE906ELNS1_3gpuE6ELNS1_3repE0EEENS1_60segmented_radix_sort_warp_sort_medium_config_static_selectorELNS0_4arch9wavefront6targetE0EEEvSK_,@function
_ZN7rocprim17ROCPRIM_400000_NS6detail17trampoline_kernelINS0_14default_configENS1_36segmented_radix_sort_config_selectorIilEEZNS1_25segmented_radix_sort_implIS3_Lb1EPKiPiPKlPlN2at6native12_GLOBAL__N_18offset_tEEE10hipError_tPvRmT1_PNSt15iterator_traitsISK_E10value_typeET2_T3_PNSL_ISQ_E10value_typeET4_jRbjT5_SW_jjP12ihipStream_tbEUlT_E0_NS1_11comp_targetILNS1_3genE2ELNS1_11target_archE906ELNS1_3gpuE6ELNS1_3repE0EEENS1_60segmented_radix_sort_warp_sort_medium_config_static_selectorELNS0_4arch9wavefront6targetE0EEEvSK_: ; @_ZN7rocprim17ROCPRIM_400000_NS6detail17trampoline_kernelINS0_14default_configENS1_36segmented_radix_sort_config_selectorIilEEZNS1_25segmented_radix_sort_implIS3_Lb1EPKiPiPKlPlN2at6native12_GLOBAL__N_18offset_tEEE10hipError_tPvRmT1_PNSt15iterator_traitsISK_E10value_typeET2_T3_PNSL_ISQ_E10value_typeET4_jRbjT5_SW_jjP12ihipStream_tbEUlT_E0_NS1_11comp_targetILNS1_3genE2ELNS1_11target_archE906ELNS1_3gpuE6ELNS1_3repE0EEENS1_60segmented_radix_sort_warp_sort_medium_config_static_selectorELNS0_4arch9wavefront6targetE0EEEvSK_
; %bb.0:
	.section	.rodata,"a",@progbits
	.p2align	6, 0x0
	.amdhsa_kernel _ZN7rocprim17ROCPRIM_400000_NS6detail17trampoline_kernelINS0_14default_configENS1_36segmented_radix_sort_config_selectorIilEEZNS1_25segmented_radix_sort_implIS3_Lb1EPKiPiPKlPlN2at6native12_GLOBAL__N_18offset_tEEE10hipError_tPvRmT1_PNSt15iterator_traitsISK_E10value_typeET2_T3_PNSL_ISQ_E10value_typeET4_jRbjT5_SW_jjP12ihipStream_tbEUlT_E0_NS1_11comp_targetILNS1_3genE2ELNS1_11target_archE906ELNS1_3gpuE6ELNS1_3repE0EEENS1_60segmented_radix_sort_warp_sort_medium_config_static_selectorELNS0_4arch9wavefront6targetE0EEEvSK_
		.amdhsa_group_segment_fixed_size 0
		.amdhsa_private_segment_fixed_size 0
		.amdhsa_kernarg_size 88
		.amdhsa_user_sgpr_count 2
		.amdhsa_user_sgpr_dispatch_ptr 0
		.amdhsa_user_sgpr_queue_ptr 0
		.amdhsa_user_sgpr_kernarg_segment_ptr 1
		.amdhsa_user_sgpr_dispatch_id 0
		.amdhsa_user_sgpr_private_segment_size 0
		.amdhsa_wavefront_size32 1
		.amdhsa_uses_dynamic_stack 0
		.amdhsa_enable_private_segment 0
		.amdhsa_system_sgpr_workgroup_id_x 1
		.amdhsa_system_sgpr_workgroup_id_y 0
		.amdhsa_system_sgpr_workgroup_id_z 0
		.amdhsa_system_sgpr_workgroup_info 0
		.amdhsa_system_vgpr_workitem_id 0
		.amdhsa_next_free_vgpr 1
		.amdhsa_next_free_sgpr 1
		.amdhsa_reserve_vcc 0
		.amdhsa_float_round_mode_32 0
		.amdhsa_float_round_mode_16_64 0
		.amdhsa_float_denorm_mode_32 3
		.amdhsa_float_denorm_mode_16_64 3
		.amdhsa_fp16_overflow 0
		.amdhsa_workgroup_processor_mode 1
		.amdhsa_memory_ordered 1
		.amdhsa_forward_progress 1
		.amdhsa_inst_pref_size 0
		.amdhsa_round_robin_scheduling 0
		.amdhsa_exception_fp_ieee_invalid_op 0
		.amdhsa_exception_fp_denorm_src 0
		.amdhsa_exception_fp_ieee_div_zero 0
		.amdhsa_exception_fp_ieee_overflow 0
		.amdhsa_exception_fp_ieee_underflow 0
		.amdhsa_exception_fp_ieee_inexact 0
		.amdhsa_exception_int_div_zero 0
	.end_amdhsa_kernel
	.section	.text._ZN7rocprim17ROCPRIM_400000_NS6detail17trampoline_kernelINS0_14default_configENS1_36segmented_radix_sort_config_selectorIilEEZNS1_25segmented_radix_sort_implIS3_Lb1EPKiPiPKlPlN2at6native12_GLOBAL__N_18offset_tEEE10hipError_tPvRmT1_PNSt15iterator_traitsISK_E10value_typeET2_T3_PNSL_ISQ_E10value_typeET4_jRbjT5_SW_jjP12ihipStream_tbEUlT_E0_NS1_11comp_targetILNS1_3genE2ELNS1_11target_archE906ELNS1_3gpuE6ELNS1_3repE0EEENS1_60segmented_radix_sort_warp_sort_medium_config_static_selectorELNS0_4arch9wavefront6targetE0EEEvSK_,"axG",@progbits,_ZN7rocprim17ROCPRIM_400000_NS6detail17trampoline_kernelINS0_14default_configENS1_36segmented_radix_sort_config_selectorIilEEZNS1_25segmented_radix_sort_implIS3_Lb1EPKiPiPKlPlN2at6native12_GLOBAL__N_18offset_tEEE10hipError_tPvRmT1_PNSt15iterator_traitsISK_E10value_typeET2_T3_PNSL_ISQ_E10value_typeET4_jRbjT5_SW_jjP12ihipStream_tbEUlT_E0_NS1_11comp_targetILNS1_3genE2ELNS1_11target_archE906ELNS1_3gpuE6ELNS1_3repE0EEENS1_60segmented_radix_sort_warp_sort_medium_config_static_selectorELNS0_4arch9wavefront6targetE0EEEvSK_,comdat
.Lfunc_end511:
	.size	_ZN7rocprim17ROCPRIM_400000_NS6detail17trampoline_kernelINS0_14default_configENS1_36segmented_radix_sort_config_selectorIilEEZNS1_25segmented_radix_sort_implIS3_Lb1EPKiPiPKlPlN2at6native12_GLOBAL__N_18offset_tEEE10hipError_tPvRmT1_PNSt15iterator_traitsISK_E10value_typeET2_T3_PNSL_ISQ_E10value_typeET4_jRbjT5_SW_jjP12ihipStream_tbEUlT_E0_NS1_11comp_targetILNS1_3genE2ELNS1_11target_archE906ELNS1_3gpuE6ELNS1_3repE0EEENS1_60segmented_radix_sort_warp_sort_medium_config_static_selectorELNS0_4arch9wavefront6targetE0EEEvSK_, .Lfunc_end511-_ZN7rocprim17ROCPRIM_400000_NS6detail17trampoline_kernelINS0_14default_configENS1_36segmented_radix_sort_config_selectorIilEEZNS1_25segmented_radix_sort_implIS3_Lb1EPKiPiPKlPlN2at6native12_GLOBAL__N_18offset_tEEE10hipError_tPvRmT1_PNSt15iterator_traitsISK_E10value_typeET2_T3_PNSL_ISQ_E10value_typeET4_jRbjT5_SW_jjP12ihipStream_tbEUlT_E0_NS1_11comp_targetILNS1_3genE2ELNS1_11target_archE906ELNS1_3gpuE6ELNS1_3repE0EEENS1_60segmented_radix_sort_warp_sort_medium_config_static_selectorELNS0_4arch9wavefront6targetE0EEEvSK_
                                        ; -- End function
	.set _ZN7rocprim17ROCPRIM_400000_NS6detail17trampoline_kernelINS0_14default_configENS1_36segmented_radix_sort_config_selectorIilEEZNS1_25segmented_radix_sort_implIS3_Lb1EPKiPiPKlPlN2at6native12_GLOBAL__N_18offset_tEEE10hipError_tPvRmT1_PNSt15iterator_traitsISK_E10value_typeET2_T3_PNSL_ISQ_E10value_typeET4_jRbjT5_SW_jjP12ihipStream_tbEUlT_E0_NS1_11comp_targetILNS1_3genE2ELNS1_11target_archE906ELNS1_3gpuE6ELNS1_3repE0EEENS1_60segmented_radix_sort_warp_sort_medium_config_static_selectorELNS0_4arch9wavefront6targetE0EEEvSK_.num_vgpr, 0
	.set _ZN7rocprim17ROCPRIM_400000_NS6detail17trampoline_kernelINS0_14default_configENS1_36segmented_radix_sort_config_selectorIilEEZNS1_25segmented_radix_sort_implIS3_Lb1EPKiPiPKlPlN2at6native12_GLOBAL__N_18offset_tEEE10hipError_tPvRmT1_PNSt15iterator_traitsISK_E10value_typeET2_T3_PNSL_ISQ_E10value_typeET4_jRbjT5_SW_jjP12ihipStream_tbEUlT_E0_NS1_11comp_targetILNS1_3genE2ELNS1_11target_archE906ELNS1_3gpuE6ELNS1_3repE0EEENS1_60segmented_radix_sort_warp_sort_medium_config_static_selectorELNS0_4arch9wavefront6targetE0EEEvSK_.num_agpr, 0
	.set _ZN7rocprim17ROCPRIM_400000_NS6detail17trampoline_kernelINS0_14default_configENS1_36segmented_radix_sort_config_selectorIilEEZNS1_25segmented_radix_sort_implIS3_Lb1EPKiPiPKlPlN2at6native12_GLOBAL__N_18offset_tEEE10hipError_tPvRmT1_PNSt15iterator_traitsISK_E10value_typeET2_T3_PNSL_ISQ_E10value_typeET4_jRbjT5_SW_jjP12ihipStream_tbEUlT_E0_NS1_11comp_targetILNS1_3genE2ELNS1_11target_archE906ELNS1_3gpuE6ELNS1_3repE0EEENS1_60segmented_radix_sort_warp_sort_medium_config_static_selectorELNS0_4arch9wavefront6targetE0EEEvSK_.numbered_sgpr, 0
	.set _ZN7rocprim17ROCPRIM_400000_NS6detail17trampoline_kernelINS0_14default_configENS1_36segmented_radix_sort_config_selectorIilEEZNS1_25segmented_radix_sort_implIS3_Lb1EPKiPiPKlPlN2at6native12_GLOBAL__N_18offset_tEEE10hipError_tPvRmT1_PNSt15iterator_traitsISK_E10value_typeET2_T3_PNSL_ISQ_E10value_typeET4_jRbjT5_SW_jjP12ihipStream_tbEUlT_E0_NS1_11comp_targetILNS1_3genE2ELNS1_11target_archE906ELNS1_3gpuE6ELNS1_3repE0EEENS1_60segmented_radix_sort_warp_sort_medium_config_static_selectorELNS0_4arch9wavefront6targetE0EEEvSK_.num_named_barrier, 0
	.set _ZN7rocprim17ROCPRIM_400000_NS6detail17trampoline_kernelINS0_14default_configENS1_36segmented_radix_sort_config_selectorIilEEZNS1_25segmented_radix_sort_implIS3_Lb1EPKiPiPKlPlN2at6native12_GLOBAL__N_18offset_tEEE10hipError_tPvRmT1_PNSt15iterator_traitsISK_E10value_typeET2_T3_PNSL_ISQ_E10value_typeET4_jRbjT5_SW_jjP12ihipStream_tbEUlT_E0_NS1_11comp_targetILNS1_3genE2ELNS1_11target_archE906ELNS1_3gpuE6ELNS1_3repE0EEENS1_60segmented_radix_sort_warp_sort_medium_config_static_selectorELNS0_4arch9wavefront6targetE0EEEvSK_.private_seg_size, 0
	.set _ZN7rocprim17ROCPRIM_400000_NS6detail17trampoline_kernelINS0_14default_configENS1_36segmented_radix_sort_config_selectorIilEEZNS1_25segmented_radix_sort_implIS3_Lb1EPKiPiPKlPlN2at6native12_GLOBAL__N_18offset_tEEE10hipError_tPvRmT1_PNSt15iterator_traitsISK_E10value_typeET2_T3_PNSL_ISQ_E10value_typeET4_jRbjT5_SW_jjP12ihipStream_tbEUlT_E0_NS1_11comp_targetILNS1_3genE2ELNS1_11target_archE906ELNS1_3gpuE6ELNS1_3repE0EEENS1_60segmented_radix_sort_warp_sort_medium_config_static_selectorELNS0_4arch9wavefront6targetE0EEEvSK_.uses_vcc, 0
	.set _ZN7rocprim17ROCPRIM_400000_NS6detail17trampoline_kernelINS0_14default_configENS1_36segmented_radix_sort_config_selectorIilEEZNS1_25segmented_radix_sort_implIS3_Lb1EPKiPiPKlPlN2at6native12_GLOBAL__N_18offset_tEEE10hipError_tPvRmT1_PNSt15iterator_traitsISK_E10value_typeET2_T3_PNSL_ISQ_E10value_typeET4_jRbjT5_SW_jjP12ihipStream_tbEUlT_E0_NS1_11comp_targetILNS1_3genE2ELNS1_11target_archE906ELNS1_3gpuE6ELNS1_3repE0EEENS1_60segmented_radix_sort_warp_sort_medium_config_static_selectorELNS0_4arch9wavefront6targetE0EEEvSK_.uses_flat_scratch, 0
	.set _ZN7rocprim17ROCPRIM_400000_NS6detail17trampoline_kernelINS0_14default_configENS1_36segmented_radix_sort_config_selectorIilEEZNS1_25segmented_radix_sort_implIS3_Lb1EPKiPiPKlPlN2at6native12_GLOBAL__N_18offset_tEEE10hipError_tPvRmT1_PNSt15iterator_traitsISK_E10value_typeET2_T3_PNSL_ISQ_E10value_typeET4_jRbjT5_SW_jjP12ihipStream_tbEUlT_E0_NS1_11comp_targetILNS1_3genE2ELNS1_11target_archE906ELNS1_3gpuE6ELNS1_3repE0EEENS1_60segmented_radix_sort_warp_sort_medium_config_static_selectorELNS0_4arch9wavefront6targetE0EEEvSK_.has_dyn_sized_stack, 0
	.set _ZN7rocprim17ROCPRIM_400000_NS6detail17trampoline_kernelINS0_14default_configENS1_36segmented_radix_sort_config_selectorIilEEZNS1_25segmented_radix_sort_implIS3_Lb1EPKiPiPKlPlN2at6native12_GLOBAL__N_18offset_tEEE10hipError_tPvRmT1_PNSt15iterator_traitsISK_E10value_typeET2_T3_PNSL_ISQ_E10value_typeET4_jRbjT5_SW_jjP12ihipStream_tbEUlT_E0_NS1_11comp_targetILNS1_3genE2ELNS1_11target_archE906ELNS1_3gpuE6ELNS1_3repE0EEENS1_60segmented_radix_sort_warp_sort_medium_config_static_selectorELNS0_4arch9wavefront6targetE0EEEvSK_.has_recursion, 0
	.set _ZN7rocprim17ROCPRIM_400000_NS6detail17trampoline_kernelINS0_14default_configENS1_36segmented_radix_sort_config_selectorIilEEZNS1_25segmented_radix_sort_implIS3_Lb1EPKiPiPKlPlN2at6native12_GLOBAL__N_18offset_tEEE10hipError_tPvRmT1_PNSt15iterator_traitsISK_E10value_typeET2_T3_PNSL_ISQ_E10value_typeET4_jRbjT5_SW_jjP12ihipStream_tbEUlT_E0_NS1_11comp_targetILNS1_3genE2ELNS1_11target_archE906ELNS1_3gpuE6ELNS1_3repE0EEENS1_60segmented_radix_sort_warp_sort_medium_config_static_selectorELNS0_4arch9wavefront6targetE0EEEvSK_.has_indirect_call, 0
	.section	.AMDGPU.csdata,"",@progbits
; Kernel info:
; codeLenInByte = 0
; TotalNumSgprs: 0
; NumVgprs: 0
; ScratchSize: 0
; MemoryBound: 0
; FloatMode: 240
; IeeeMode: 1
; LDSByteSize: 0 bytes/workgroup (compile time only)
; SGPRBlocks: 0
; VGPRBlocks: 0
; NumSGPRsForWavesPerEU: 1
; NumVGPRsForWavesPerEU: 1
; Occupancy: 16
; WaveLimiterHint : 0
; COMPUTE_PGM_RSRC2:SCRATCH_EN: 0
; COMPUTE_PGM_RSRC2:USER_SGPR: 2
; COMPUTE_PGM_RSRC2:TRAP_HANDLER: 0
; COMPUTE_PGM_RSRC2:TGID_X_EN: 1
; COMPUTE_PGM_RSRC2:TGID_Y_EN: 0
; COMPUTE_PGM_RSRC2:TGID_Z_EN: 0
; COMPUTE_PGM_RSRC2:TIDIG_COMP_CNT: 0
	.text
	.p2align	2                               ; -- Begin function _ZN7rocprim17ROCPRIM_400000_NS6detail26segmented_warp_sort_helperINS1_20WarpSortHelperConfigILj16ELj8ELj256EEEilLi256ELb1EvE4sortIPKiPiPKlPlEEvT_T0_T1_T2_jjjjRNS5_12storage_typeE
	.type	_ZN7rocprim17ROCPRIM_400000_NS6detail26segmented_warp_sort_helperINS1_20WarpSortHelperConfigILj16ELj8ELj256EEEilLi256ELb1EvE4sortIPKiPiPKlPlEEvT_T0_T1_T2_jjjjRNS5_12storage_typeE,@function
_ZN7rocprim17ROCPRIM_400000_NS6detail26segmented_warp_sort_helperINS1_20WarpSortHelperConfigILj16ELj8ELj256EEEilLi256ELb1EvE4sortIPKiPiPKlPlEEvT_T0_T1_T2_jjjjRNS5_12storage_typeE: ; @_ZN7rocprim17ROCPRIM_400000_NS6detail26segmented_warp_sort_helperINS1_20WarpSortHelperConfigILj16ELj8ELj256EEEilLi256ELb1EvE4sortIPKiPiPKlPlEEvT_T0_T1_T2_jjjjRNS5_12storage_typeE
; %bb.0:
	s_wait_loadcnt_dscnt 0x0
	s_wait_expcnt 0x0
	s_wait_samplecnt 0x0
	s_wait_bvhcnt 0x0
	s_wait_kmcnt 0x0
	v_mov_b32_e32 v12, v9
	v_mbcnt_lo_u32_b32 v9, -1, 0
	v_bfrev_b32_e32 v16, 1
	v_bfrev_b32_e32 v15, 1
	s_delay_alu instid0(VALU_DEP_3) | instskip(SKIP_2) | instid1(VALU_DEP_3)
	v_lshlrev_b32_e32 v49, 3, v9
	v_mov_b32_e32 v9, 0
	v_sub_nc_u32_e32 v12, v12, v8
	v_and_b32_e32 v50, 0x78, v49
	s_delay_alu instid0(VALU_DEP_3) | instskip(NEXT) | instid1(VALU_DEP_2)
	v_lshlrev_b64_e32 v[13:14], 2, v[8:9]
	v_lshlrev_b32_e32 v48, 2, v50
	s_delay_alu instid0(VALU_DEP_2) | instskip(SKIP_1) | instid1(VALU_DEP_3)
	v_add_co_u32 v0, vcc_lo, v0, v13
	s_wait_alu 0xfffd
	v_add_co_ci_u32_e64 v1, null, v1, v14, vcc_lo
	s_delay_alu instid0(VALU_DEP_2) | instskip(SKIP_1) | instid1(VALU_DEP_2)
	v_add_co_u32 v0, vcc_lo, v0, v48
	s_wait_alu 0xfffd
	v_add_co_ci_u32_e64 v1, null, 0, v1, vcc_lo
	v_cmp_lt_u32_e32 vcc_lo, v50, v12
	s_and_saveexec_b32 s0, vcc_lo
	s_cbranch_execz .LBB512_2
; %bb.1:
	flat_load_b32 v15, v[0:1]
.LBB512_2:
	s_wait_alu 0xfffe
	s_or_b32 exec_lo, exec_lo, s0
	v_or_b32_e32 v17, 1, v50
	s_delay_alu instid0(VALU_DEP_1)
	v_cmp_lt_u32_e64 s0, v17, v12
	s_and_saveexec_b32 s1, s0
	s_cbranch_execz .LBB512_4
; %bb.3:
	flat_load_b32 v16, v[0:1] offset:4
.LBB512_4:
	s_wait_alu 0xfffe
	s_or_b32 exec_lo, exec_lo, s1
	v_or_b32_e32 v17, 2, v50
	v_bfrev_b32_e32 v26, 1
	v_bfrev_b32_e32 v25, 1
	s_delay_alu instid0(VALU_DEP_3)
	v_cmp_lt_u32_e64 s1, v17, v12
	s_and_saveexec_b32 s2, s1
	s_cbranch_execz .LBB512_6
; %bb.5:
	flat_load_b32 v25, v[0:1] offset:8
.LBB512_6:
	s_wait_alu 0xfffe
	s_or_b32 exec_lo, exec_lo, s2
	v_or_b32_e32 v17, 3, v50
	s_delay_alu instid0(VALU_DEP_1)
	v_cmp_lt_u32_e64 s2, v17, v12
	s_and_saveexec_b32 s3, s2
	s_cbranch_execz .LBB512_8
; %bb.7:
	flat_load_b32 v26, v[0:1] offset:12
.LBB512_8:
	s_wait_alu 0xfffe
	s_or_b32 exec_lo, exec_lo, s3
	v_or_b32_e32 v17, 4, v50
	v_bfrev_b32_e32 v20, 1
	v_bfrev_b32_e32 v19, 1
	s_delay_alu instid0(VALU_DEP_3)
	v_cmp_lt_u32_e64 s3, v17, v12
	s_and_saveexec_b32 s4, s3
	s_cbranch_execz .LBB512_10
; %bb.9:
	flat_load_b32 v19, v[0:1] offset:16
.LBB512_10:
	s_wait_alu 0xfffe
	s_or_b32 exec_lo, exec_lo, s4
	v_or_b32_e32 v17, 5, v50
	s_delay_alu instid0(VALU_DEP_1)
	v_cmp_lt_u32_e64 s4, v17, v12
	s_and_saveexec_b32 s5, s4
	s_cbranch_execz .LBB512_12
; %bb.11:
	flat_load_b32 v20, v[0:1] offset:20
.LBB512_12:
	s_wait_alu 0xfffe
	s_or_b32 exec_lo, exec_lo, s5
	v_or_b32_e32 v17, 6, v50
	v_bfrev_b32_e32 v18, 1
	s_delay_alu instid0(VALU_DEP_2)
	v_cmp_lt_u32_e64 s5, v17, v12
	v_bfrev_b32_e32 v17, 1
	s_and_saveexec_b32 s6, s5
	s_cbranch_execz .LBB512_14
; %bb.13:
	flat_load_b32 v17, v[0:1] offset:24
.LBB512_14:
	s_wait_alu 0xfffe
	s_or_b32 exec_lo, exec_lo, s6
	v_or_b32_e32 v21, 7, v50
	s_delay_alu instid0(VALU_DEP_1)
	v_cmp_lt_u32_e64 s6, v21, v12
	s_and_saveexec_b32 s7, s6
	s_cbranch_execz .LBB512_16
; %bb.15:
	flat_load_b32 v18, v[0:1] offset:28
.LBB512_16:
	s_wait_alu 0xfffe
	s_or_b32 exec_lo, exec_lo, s7
	v_lshlrev_b64_e32 v[0:1], 3, v[8:9]
	v_lshlrev_b32_e32 v12, 3, v50
	; wave barrier
	s_delay_alu instid0(VALU_DEP_2) | instskip(SKIP_1) | instid1(VALU_DEP_3)
	v_add_co_u32 v4, s7, v4, v0
	s_wait_alu 0xf1ff
	v_add_co_ci_u32_e64 v5, null, v5, v1, s7
	s_delay_alu instid0(VALU_DEP_2) | instskip(SKIP_1) | instid1(VALU_DEP_2)
	v_add_co_u32 v36, s7, v4, v12
	s_wait_alu 0xf1ff
	v_add_co_ci_u32_e64 v37, null, 0, v5, s7
                                        ; implicit-def: $vgpr4_vgpr5
	s_and_saveexec_b32 s7, vcc_lo
	s_cbranch_execnz .LBB512_243
; %bb.17:
	s_wait_alu 0xfffe
	s_or_b32 exec_lo, exec_lo, s7
	s_and_saveexec_b32 s7, s0
                                        ; implicit-def: $vgpr21_vgpr22
	s_cbranch_execnz .LBB512_244
.LBB512_18:
	s_wait_alu 0xfffe
	s_or_b32 exec_lo, exec_lo, s7
                                        ; implicit-def: $vgpr23_vgpr24
	s_and_saveexec_b32 s7, s1
	s_cbranch_execnz .LBB512_245
.LBB512_19:
	s_wait_alu 0xfffe
	s_or_b32 exec_lo, exec_lo, s7
	s_and_saveexec_b32 s7, s2
                                        ; implicit-def: $vgpr27_vgpr28
	s_cbranch_execnz .LBB512_246
.LBB512_20:
	s_wait_alu 0xfffe
	s_or_b32 exec_lo, exec_lo, s7
                                        ; implicit-def: $vgpr29_vgpr30
	s_and_saveexec_b32 s7, s3
	s_cbranch_execnz .LBB512_247
.LBB512_21:
	s_wait_alu 0xfffe
	s_or_b32 exec_lo, exec_lo, s7
	s_and_saveexec_b32 s7, s4
                                        ; implicit-def: $vgpr34_vgpr35
	s_cbranch_execnz .LBB512_248
.LBB512_22:
	s_wait_alu 0xfffe
	s_or_b32 exec_lo, exec_lo, s7
                                        ; implicit-def: $vgpr8_vgpr9
	s_and_saveexec_b32 s7, s5
	s_cbranch_execnz .LBB512_249
.LBB512_23:
	s_wait_alu 0xfffe
	s_or_b32 exec_lo, exec_lo, s7
	s_and_saveexec_b32 s7, s6
                                        ; implicit-def: $vgpr32_vgpr33
	s_cbranch_execz .LBB512_25
.LBB512_24:
	flat_load_b64 v[32:33], v[36:37] offset:56
.LBB512_25:
	s_wait_alu 0xfffe
	s_or_b32 exec_lo, exec_lo, s7
	v_cmp_ne_u32_e64 s7, 0, v10
	v_cmp_ne_u32_e64 s10, 32, v11
	v_bfe_u32 v36, v31, 10, 10
	v_bfe_u32 v37, v31, 20, 10
	v_and_b32_e32 v31, 0x3ff, v31
	s_mov_b32 s11, 0
	s_or_b32 s7, s7, s10
	; wave barrier
	s_wait_alu 0xfffe
	s_and_saveexec_b32 s10, s7
	s_wait_alu 0xfffe
	s_xor_b32 s19, exec_lo, s10
	s_cbranch_execz .LBB512_125
; %bb.26:
	s_load_b64 s[12:13], s[8:9], 0x0
	s_and_b32 s7, ttmp7, 0xffff
	v_lshlrev_b32_e64 v11, v11, -1
	v_lshlrev_b32_e64 v10, v10, -1
	s_delay_alu instid0(VALU_DEP_1)
	v_xor_b32_e32 v51, v11, v10
	s_wait_kmcnt 0x0
	s_wait_alu 0xfffe
	s_cmp_lt_u32 s7, s13
	s_cselect_b32 s10, 14, 20
	s_cmp_lt_u32 ttmp9, s12
	s_wait_alu 0xfffe
	s_add_nc_u64 s[14:15], s[8:9], s[10:11]
	s_cselect_b32 s10, 12, 18
	s_load_u16 s7, s[14:15], 0x0
	s_add_nc_u64 s[10:11], s[8:9], s[10:11]
	s_load_u16 s10, s[10:11], 0x0
	s_wait_kmcnt 0x0
	v_mad_u32_u24 v36, v37, s7, v36
	s_delay_alu instid0(VALU_DEP_1) | instskip(SKIP_1) | instid1(VALU_DEP_1)
	v_mul_lo_u32 v36, v36, s10
	s_mov_b32 s10, exec_lo
	v_add_lshl_u32 v52, v36, v31, 3
	s_delay_alu instid0(VALU_DEP_1)
	v_cmpx_gt_u32_e32 0x800, v52
	s_cbranch_execz .LBB512_84
; %bb.27:
	s_wait_loadcnt_dscnt 0x0
	v_dual_mov_b32 v37, v22 :: v_dual_and_b32 v10, v16, v51
	v_dual_mov_b32 v36, v21 :: v_dual_and_b32 v11, v15, v51
	v_mov_b32_e32 v31, v16
	s_mov_b32 s11, exec_lo
	s_delay_alu instid0(VALU_DEP_2)
	v_cmpx_gt_u32_e64 v10, v11
; %bb.28:
	v_mov_b32_e32 v37, v5
	v_dual_mov_b32 v31, v15 :: v_dual_mov_b32 v36, v4
	v_dual_mov_b32 v15, v16 :: v_dual_mov_b32 v4, v21
	v_mov_b32_e32 v5, v22
; %bb.29:
	s_wait_alu 0xfffe
	s_or_b32 exec_lo, exec_lo, s11
	v_dual_mov_b32 v39, v28 :: v_dual_and_b32 v10, v26, v51
	v_dual_mov_b32 v16, v26 :: v_dual_and_b32 v11, v25, v51
	v_mov_b32_e32 v38, v27
	s_mov_b32 s11, exec_lo
	s_delay_alu instid0(VALU_DEP_2)
	v_cmpx_gt_u32_e64 v10, v11
; %bb.30:
	v_dual_mov_b32 v16, v25 :: v_dual_mov_b32 v25, v26
	v_dual_mov_b32 v39, v24 :: v_dual_mov_b32 v38, v23
	;; [unrolled: 1-line block ×3, first 2 shown]
; %bb.31:
	s_wait_alu 0xfffe
	s_or_b32 exec_lo, exec_lo, s11
	v_dual_mov_b32 v21, v34 :: v_dual_and_b32 v10, v20, v51
	v_and_b32_e32 v11, v19, v51
	v_dual_mov_b32 v22, v35 :: v_dual_mov_b32 v55, v19
	s_mov_b32 s11, exec_lo
	s_delay_alu instid0(VALU_DEP_2)
	v_cmpx_gt_u32_e64 v10, v11
; %bb.32:
	v_dual_mov_b32 v21, v29 :: v_dual_mov_b32 v22, v30
	v_dual_mov_b32 v29, v34 :: v_dual_mov_b32 v30, v35
	;; [unrolled: 1-line block ×3, first 2 shown]
; %bb.33:
	s_wait_alu 0xfffe
	s_or_b32 exec_lo, exec_lo, s11
	v_dual_mov_b32 v10, v32 :: v_dual_and_b32 v19, v18, v51
	v_and_b32_e32 v26, v17, v51
	v_mov_b32_e32 v11, v33
	v_mov_b32_e32 v53, v17
	s_mov_b32 s11, exec_lo
	s_delay_alu instid0(VALU_DEP_3)
	v_cmpx_gt_u32_e64 v19, v26
; %bb.34:
	v_dual_mov_b32 v11, v9 :: v_dual_mov_b32 v10, v8
	v_dual_mov_b32 v8, v32 :: v_dual_mov_b32 v9, v33
	;; [unrolled: 1-line block ×3, first 2 shown]
; %bb.35:
	s_wait_alu 0xfffe
	s_or_b32 exec_lo, exec_lo, s11
	v_and_b32_e32 v17, v25, v51
	v_dual_mov_b32 v34, v25 :: v_dual_and_b32 v19, v31, v51
	v_dual_mov_b32 v27, v24 :: v_dual_mov_b32 v26, v23
	s_delay_alu instid0(VALU_DEP_2)
	v_cmp_gt_u32_e64 s7, v17, v19
	s_and_saveexec_b32 s11, s7
	s_wait_alu 0xfffe
	s_xor_b32 s7, exec_lo, s11
; %bb.36:
	v_dual_mov_b32 v34, v31 :: v_dual_mov_b32 v31, v25
	v_dual_mov_b32 v26, v36 :: v_dual_mov_b32 v27, v37
	v_dual_mov_b32 v37, v24 :: v_dual_mov_b32 v36, v23
; %bb.37:
	s_wait_alu 0xfffe
	s_or_b32 exec_lo, exec_lo, s7
	v_and_b32_e32 v17, v55, v51
	v_and_b32_e32 v23, v16, v51
	v_mov_b32_e32 v19, v16
	s_delay_alu instid0(VALU_DEP_2)
	v_cmp_gt_u32_e64 s7, v17, v23
	v_dual_mov_b32 v23, v29 :: v_dual_mov_b32 v24, v30
	s_and_saveexec_b32 s11, s7
; %bb.38:
	v_mov_b32_e32 v23, v38
	v_dual_mov_b32 v19, v55 :: v_dual_mov_b32 v24, v39
	v_dual_mov_b32 v39, v30 :: v_dual_mov_b32 v38, v29
	v_mov_b32_e32 v55, v16
; %bb.39:
	s_wait_alu 0xfffe
	s_or_b32 exec_lo, exec_lo, s11
	v_dual_mov_b32 v17, v9 :: v_dual_and_b32 v28, v20, v51
	v_dual_mov_b32 v16, v8 :: v_dual_and_b32 v25, v53, v51
	v_mov_b32_e32 v54, v20
	s_mov_b32 s11, exec_lo
	s_delay_alu instid0(VALU_DEP_2)
	v_cmpx_gt_u32_e64 v25, v28
; %bb.40:
	v_dual_mov_b32 v16, v21 :: v_dual_mov_b32 v17, v22
	v_dual_mov_b32 v22, v9 :: v_dual_mov_b32 v21, v8
	;; [unrolled: 1-line block ×3, first 2 shown]
; %bb.41:
	s_wait_alu 0xfffe
	s_or_b32 exec_lo, exec_lo, s11
	v_dual_mov_b32 v28, v36 :: v_dual_and_b32 v9, v15, v51
	v_dual_mov_b32 v29, v37 :: v_dual_and_b32 v8, v31, v51
	v_mov_b32_e32 v35, v31
	s_mov_b32 s11, exec_lo
	s_delay_alu instid0(VALU_DEP_2)
	v_cmpx_gt_u32_e64 v8, v9
; %bb.42:
	v_mov_b32_e32 v29, v5
	v_dual_mov_b32 v35, v15 :: v_dual_mov_b32 v28, v4
	v_dual_mov_b32 v15, v31 :: v_dual_mov_b32 v4, v36
	v_mov_b32_e32 v5, v37
; %bb.43:
	s_wait_alu 0xfffe
	s_or_b32 exec_lo, exec_lo, s11
	v_and_b32_e32 v8, v19, v51
	v_dual_mov_b32 v36, v19 :: v_dual_and_b32 v9, v34, v51
	v_dual_mov_b32 v30, v38 :: v_dual_mov_b32 v31, v39
	s_mov_b32 s11, exec_lo
	s_delay_alu instid0(VALU_DEP_2)
	v_cmpx_gt_u32_e64 v8, v9
; %bb.44:
	v_dual_mov_b32 v36, v34 :: v_dual_mov_b32 v31, v27
	v_mov_b32_e32 v30, v26
	v_mov_b32_e32 v26, v38
	v_dual_mov_b32 v34, v19 :: v_dual_mov_b32 v27, v39
; %bb.45:
	s_wait_alu 0xfffe
	s_or_b32 exec_lo, exec_lo, s11
	v_dual_mov_b32 v19, v21 :: v_dual_and_b32 v8, v54, v51
	v_dual_mov_b32 v20, v22 :: v_dual_and_b32 v9, v55, v51
	v_mov_b32_e32 v64, v55
	s_mov_b32 s11, exec_lo
	s_delay_alu instid0(VALU_DEP_2)
	v_cmpx_gt_u32_e64 v8, v9
; %bb.46:
	v_dual_mov_b32 v19, v23 :: v_dual_mov_b32 v20, v24
	v_dual_mov_b32 v24, v22 :: v_dual_mov_b32 v23, v21
	v_mov_b32_e32 v64, v54
	v_mov_b32_e32 v54, v55
; %bb.47:
	s_wait_alu 0xfffe
	s_or_b32 exec_lo, exec_lo, s11
	v_dual_mov_b32 v8, v10 :: v_dual_mov_b32 v55, v53
	v_and_b32_e32 v21, v18, v51
	v_dual_mov_b32 v9, v11 :: v_dual_and_b32 v22, v53, v51
	s_mov_b32 s11, exec_lo
	s_delay_alu instid0(VALU_DEP_1)
	v_cmpx_gt_u32_e64 v21, v22
; %bb.48:
	v_dual_mov_b32 v8, v16 :: v_dual_mov_b32 v9, v17
	v_dual_mov_b32 v17, v11 :: v_dual_mov_b32 v16, v10
	;; [unrolled: 1-line block ×3, first 2 shown]
; %bb.49:
	s_wait_alu 0xfffe
	s_or_b32 exec_lo, exec_lo, s11
	v_dual_mov_b32 v33, v27 :: v_dual_and_b32 v10, v34, v51
	v_dual_mov_b32 v32, v26 :: v_dual_and_b32 v11, v35, v51
	v_mov_b32_e32 v53, v34
	s_mov_b32 s11, exec_lo
	s_delay_alu instid0(VALU_DEP_2)
	v_cmpx_gt_u32_e64 v10, v11
; %bb.50:
	v_mov_b32_e32 v33, v29
	v_dual_mov_b32 v53, v35 :: v_dual_mov_b32 v32, v28
	v_mov_b32_e32 v29, v27
	v_dual_mov_b32 v35, v34 :: v_dual_mov_b32 v28, v26
; %bb.51:
	s_wait_alu 0xfffe
	s_or_b32 exec_lo, exec_lo, s11
	v_mov_b32_e32 v26, v24
	v_and_b32_e32 v11, v64, v51
	v_and_b32_e32 v21, v36, v51
	v_dual_mov_b32 v10, v36 :: v_dual_mov_b32 v25, v23
	s_mov_b32 s11, exec_lo
	s_delay_alu instid0(VALU_DEP_2)
	v_cmpx_gt_u32_e64 v11, v21
; %bb.52:
	v_dual_mov_b32 v10, v64 :: v_dual_mov_b32 v25, v30
	v_dual_mov_b32 v26, v31 :: v_dual_mov_b32 v31, v24
	v_mov_b32_e32 v30, v23
	v_mov_b32_e32 v64, v36
; %bb.53:
	s_wait_alu 0xfffe
	s_or_b32 exec_lo, exec_lo, s11
	v_dual_mov_b32 v22, v17 :: v_dual_and_b32 v11, v55, v51
	v_and_b32_e32 v23, v54, v51
	v_mov_b32_e32 v21, v16
	v_mov_b32_e32 v27, v54
	s_mov_b32 s11, exec_lo
	s_delay_alu instid0(VALU_DEP_3)
	v_cmpx_gt_u32_e64 v11, v23
; %bb.54:
	v_dual_mov_b32 v22, v20 :: v_dual_mov_b32 v21, v19
	v_dual_mov_b32 v20, v17 :: v_dual_mov_b32 v19, v16
	v_mov_b32_e32 v27, v55
	v_mov_b32_e32 v55, v54
; %bb.55:
	s_wait_alu 0xfffe
	s_or_b32 exec_lo, exec_lo, s11
	v_dual_mov_b32 v37, v29 :: v_dual_and_b32 v16, v15, v51
	v_dual_mov_b32 v36, v28 :: v_dual_and_b32 v11, v35, v51
	v_mov_b32_e32 v17, v35
	s_mov_b32 s11, exec_lo
	s_delay_alu instid0(VALU_DEP_2)
	v_cmpx_gt_u32_e64 v11, v16
; %bb.56:
	v_mov_b32_e32 v37, v5
	v_dual_mov_b32 v17, v15 :: v_dual_mov_b32 v36, v4
	v_dual_mov_b32 v15, v35 :: v_dual_mov_b32 v4, v28
	v_mov_b32_e32 v5, v29
; %bb.57:
	s_wait_alu 0xfffe
	s_or_b32 exec_lo, exec_lo, s11
	v_and_b32_e32 v11, v10, v51
	v_dual_mov_b32 v16, v10 :: v_dual_and_b32 v23, v53, v51
	v_dual_mov_b32 v39, v31 :: v_dual_mov_b32 v38, v30
	s_mov_b32 s11, exec_lo
	s_delay_alu instid0(VALU_DEP_2)
	v_cmpx_gt_u32_e64 v11, v23
; %bb.58:
	v_dual_mov_b32 v16, v53 :: v_dual_mov_b32 v53, v10
	v_dual_mov_b32 v39, v33 :: v_dual_mov_b32 v38, v32
	;; [unrolled: 1-line block ×3, first 2 shown]
; %bb.59:
	s_wait_alu 0xfffe
	s_or_b32 exec_lo, exec_lo, s11
	v_dual_mov_b32 v65, v64 :: v_dual_and_b32 v10, v27, v51
	v_and_b32_e32 v11, v64, v51
	v_dual_mov_b32 v24, v20 :: v_dual_mov_b32 v23, v19
	s_mov_b32 s11, exec_lo
	s_delay_alu instid0(VALU_DEP_2)
	v_cmpx_gt_u32_e64 v10, v11
; %bb.60:
	v_dual_mov_b32 v23, v25 :: v_dual_mov_b32 v24, v26
	v_dual_mov_b32 v26, v20 :: v_dual_mov_b32 v25, v19
	v_mov_b32_e32 v65, v27
	v_mov_b32_e32 v27, v64
; %bb.61:
	s_wait_alu 0xfffe
	s_or_b32 exec_lo, exec_lo, s11
	v_dual_mov_b32 v11, v9 :: v_dual_and_b32 v20, v55, v51
	v_dual_mov_b32 v10, v8 :: v_dual_and_b32 v19, v18, v51
	v_mov_b32_e32 v54, v55
	s_mov_b32 s11, exec_lo
	s_delay_alu instid0(VALU_DEP_2)
	v_cmpx_gt_u32_e64 v19, v20
; %bb.62:
	v_dual_mov_b32 v10, v21 :: v_dual_mov_b32 v11, v22
	v_dual_mov_b32 v22, v9 :: v_dual_mov_b32 v21, v8
	v_mov_b32_e32 v54, v18
	v_mov_b32_e32 v18, v55
; %bb.63:
	s_wait_alu 0xfffe
	s_or_b32 exec_lo, exec_lo, s11
	v_dual_mov_b32 v29, v32 :: v_dual_and_b32 v8, v53, v51
	v_and_b32_e32 v9, v17, v51
	v_dual_mov_b32 v31, v53 :: v_dual_mov_b32 v30, v33
	s_mov_b32 s11, exec_lo
	s_delay_alu instid0(VALU_DEP_2)
	v_cmpx_gt_u32_e64 v8, v9
; %bb.64:
	v_mov_b32_e32 v29, v36
	v_dual_mov_b32 v31, v17 :: v_dual_mov_b32 v30, v37
	v_mov_b32_e32 v37, v33
	v_dual_mov_b32 v17, v53 :: v_dual_mov_b32 v36, v32
; %bb.65:
	s_wait_alu 0xfffe
	s_or_b32 exec_lo, exec_lo, s11
	v_dual_mov_b32 v35, v26 :: v_dual_and_b32 v8, v65, v51
	v_mov_b32_e32 v19, v16
	v_dual_mov_b32 v34, v25 :: v_dual_and_b32 v9, v16, v51
	s_mov_b32 s11, exec_lo
	s_delay_alu instid0(VALU_DEP_1)
	v_cmpx_gt_u32_e64 v8, v9
; %bb.66:
	v_dual_mov_b32 v19, v65 :: v_dual_mov_b32 v34, v38
	v_mov_b32_e32 v35, v39
	v_dual_mov_b32 v39, v26 :: v_dual_mov_b32 v38, v25
	v_mov_b32_e32 v65, v16
; %bb.67:
	s_wait_alu 0xfffe
	s_or_b32 exec_lo, exec_lo, s11
	v_and_b32_e32 v16, v54, v51
	v_and_b32_e32 v20, v27, v51
	v_dual_mov_b32 v8, v21 :: v_dual_mov_b32 v9, v22
	s_delay_alu instid0(VALU_DEP_2)
	v_cmp_gt_u32_e64 s7, v16, v20
	v_mov_b32_e32 v20, v27
	s_and_saveexec_b32 s11, s7
; %bb.68:
	v_dual_mov_b32 v8, v23 :: v_dual_mov_b32 v9, v24
	v_dual_mov_b32 v24, v22 :: v_dual_mov_b32 v23, v21
	v_mov_b32_e32 v20, v54
	v_mov_b32_e32 v54, v27
; %bb.69:
	s_wait_alu 0xfffe
	s_or_b32 exec_lo, exec_lo, s11
	v_and_b32_e32 v21, v17, v51
	v_and_b32_e32 v22, v15, v51
	v_mov_b32_e32 v16, v17
	s_delay_alu instid0(VALU_DEP_2)
	v_cmp_gt_u32_e64 s7, v21, v22
	v_dual_mov_b32 v21, v36 :: v_dual_mov_b32 v22, v37
	s_and_saveexec_b32 s11, s7
; %bb.70:
	v_dual_mov_b32 v16, v15 :: v_dual_mov_b32 v15, v17
	v_dual_mov_b32 v22, v5 :: v_dual_mov_b32 v21, v4
	v_dual_mov_b32 v4, v36 :: v_dual_mov_b32 v5, v37
; %bb.71:
	s_wait_alu 0xfffe
	s_or_b32 exec_lo, exec_lo, s11
	v_dual_mov_b32 v27, v38 :: v_dual_and_b32 v26, v31, v51
	v_and_b32_e32 v25, v19, v51
	v_dual_mov_b32 v17, v19 :: v_dual_mov_b32 v28, v39
	s_mov_b32 s11, exec_lo
	s_delay_alu instid0(VALU_DEP_2)
	v_cmpx_gt_u32_e64 v25, v26
; %bb.72:
	v_mov_b32_e32 v27, v29
	v_dual_mov_b32 v17, v31 :: v_dual_mov_b32 v28, v30
	v_mov_b32_e32 v29, v38
	v_dual_mov_b32 v31, v19 :: v_dual_mov_b32 v30, v39
; %bb.73:
	s_wait_alu 0xfffe
	s_or_b32 exec_lo, exec_lo, s11
	v_and_b32_e32 v19, v20, v51
	v_and_b32_e32 v25, v65, v51
	v_dual_mov_b32 v37, v24 :: v_dual_mov_b32 v36, v23
	s_delay_alu instid0(VALU_DEP_2)
	v_cmp_gt_u32_e64 s7, v19, v25
	v_mov_b32_e32 v19, v65
	s_and_saveexec_b32 s11, s7
; %bb.74:
	v_dual_mov_b32 v37, v35 :: v_dual_mov_b32 v36, v34
	v_dual_mov_b32 v35, v24 :: v_dual_mov_b32 v34, v23
	;; [unrolled: 1-line block ×3, first 2 shown]
; %bb.75:
	s_wait_alu 0xfffe
	s_or_b32 exec_lo, exec_lo, s11
	v_dual_mov_b32 v33, v11 :: v_dual_and_b32 v24, v54, v51
	v_and_b32_e32 v23, v18, v51
	v_mov_b32_e32 v32, v10
	v_mov_b32_e32 v38, v54
	s_mov_b32 s11, exec_lo
	s_delay_alu instid0(VALU_DEP_3)
	v_cmpx_gt_u32_e64 v23, v24
; %bb.76:
	v_dual_mov_b32 v33, v9 :: v_dual_mov_b32 v32, v8
	v_dual_mov_b32 v8, v10 :: v_dual_mov_b32 v9, v11
	v_mov_b32_e32 v38, v18
	v_mov_b32_e32 v18, v54
; %bb.77:
	s_wait_alu 0xfffe
	s_or_b32 exec_lo, exec_lo, s11
	v_dual_mov_b32 v23, v29 :: v_dual_and_b32 v10, v31, v51
	v_dual_mov_b32 v24, v30 :: v_dual_and_b32 v11, v16, v51
	v_mov_b32_e32 v25, v31
	s_mov_b32 s11, exec_lo
	s_delay_alu instid0(VALU_DEP_2)
	v_cmpx_gt_u32_e64 v10, v11
; %bb.78:
	v_dual_mov_b32 v25, v16 :: v_dual_mov_b32 v16, v31
	v_dual_mov_b32 v24, v22 :: v_dual_mov_b32 v23, v21
	;; [unrolled: 1-line block ×3, first 2 shown]
; %bb.79:
	s_wait_alu 0xfffe
	s_or_b32 exec_lo, exec_lo, s11
	v_dual_mov_b32 v29, v34 :: v_dual_and_b32 v10, v19, v51
	v_dual_mov_b32 v30, v35 :: v_dual_and_b32 v11, v17, v51
	v_mov_b32_e32 v26, v17
	s_mov_b32 s11, exec_lo
	s_delay_alu instid0(VALU_DEP_2)
	v_cmpx_gt_u32_e64 v10, v11
; %bb.80:
	v_mov_b32_e32 v30, v28
	v_dual_mov_b32 v26, v19 :: v_dual_mov_b32 v29, v27
	v_dual_mov_b32 v27, v34 :: v_dual_mov_b32 v28, v35
	v_mov_b32_e32 v19, v17
; %bb.81:
	s_wait_alu 0xfffe
	s_or_b32 exec_lo, exec_lo, s11
	v_dual_mov_b32 v17, v38 :: v_dual_mov_b32 v34, v36
	v_dual_mov_b32 v35, v37 :: v_dual_and_b32 v10, v38, v51
	v_and_b32_e32 v11, v20, v51
	s_mov_b32 s11, exec_lo
	s_delay_alu instid0(VALU_DEP_1)
	v_cmpx_gt_u32_e64 v10, v11
; %bb.82:
	v_dual_mov_b32 v17, v20 :: v_dual_mov_b32 v20, v38
	v_dual_mov_b32 v35, v9 :: v_dual_mov_b32 v34, v8
	;; [unrolled: 1-line block ×3, first 2 shown]
; %bb.83:
	s_wait_alu 0xfffe
	s_or_b32 exec_lo, exec_lo, s11
.LBB512_84:
	s_wait_alu 0xfffe
	s_or_b32 exec_lo, exec_lo, s10
	v_and_b32_e32 v10, 0xffffff00, v52
	v_or_b32_e32 v31, 8, v49
	v_and_b32_e32 v37, 8, v49
	v_and_b32_e32 v65, 0xf0, v49
	s_mov_b32 s10, exec_lo
	v_sub_nc_u32_e64 v36, 0x800, v10 clamp
	v_lshlrev_b32_e32 v11, 2, v10
	s_delay_alu instid0(VALU_DEP_2) | instskip(NEXT) | instid1(VALU_DEP_2)
	v_min_u32_e32 v53, v36, v31
	v_add_nc_u32_e32 v10, v11, v11
	v_min_u32_e32 v66, v36, v37
	s_delay_alu instid0(VALU_DEP_3) | instskip(NEXT) | instid1(VALU_DEP_3)
	v_add_nc_u32_e32 v31, 8, v53
	v_lshl_add_u32 v52, v49, 3, v10
	v_sub_nc_u32_e32 v64, v53, v65
	s_delay_alu instid0(VALU_DEP_3) | instskip(SKIP_1) | instid1(VALU_DEP_4)
	v_min_u32_e32 v54, v36, v31
	v_lshl_or_b32 v31, v49, 2, v11
	v_add_nc_u32_e32 v37, 0x2000, v52
	v_add_nc_u32_e32 v38, 0x2010, v52
	;; [unrolled: 1-line block ×3, first 2 shown]
	v_sub_nc_u32_e32 v55, v54, v53
	v_min_u32_e32 v67, v66, v64
	v_add_nc_u32_e32 v52, 0x2030, v52
	v_lshl_or_b32 v64, v65, 2, v11
	s_wait_loadcnt_dscnt 0x0
	ds_store_2addr_b64 v37, v[4:5], v[21:22] offset1:1
	ds_store_2addr_b64 v38, v[23:24], v[27:28] offset1:1
	v_sub_nc_u32_e64 v55, v66, v55 clamp
	ds_store_2addr_b64 v31, v[15:16], v[25:26] offset1:1
	ds_store_2addr_b64 v31, v[19:20], v[17:18] offset0:2 offset1:3
	ds_store_2addr_b64 v39, v[29:30], v[34:35] offset1:1
	ds_store_2addr_b64 v52, v[8:9], v[32:33] offset1:1
	; wave barrier
	v_cmpx_lt_u32_e64 v55, v67
	s_cbranch_execz .LBB512_88
; %bb.85:
	v_lshlrev_b32_e32 v68, 2, v53
	v_lshlrev_b32_e32 v69, 2, v66
	s_mov_b32 s11, 0
	s_delay_alu instid0(VALU_DEP_1)
	v_add3_u32 v68, v11, v68, v69
.LBB512_86:                             ; =>This Inner Loop Header: Depth=1
	v_add_nc_u32_e32 v69, v67, v55
	s_delay_alu instid0(VALU_DEP_1) | instskip(NEXT) | instid1(VALU_DEP_1)
	v_lshrrev_b32_e32 v69, 1, v69
	v_not_b32_e32 v70, v69
	v_lshl_add_u32 v71, v69, 2, v64
	v_add_nc_u32_e32 v80, 1, v69
	s_delay_alu instid0(VALU_DEP_3)
	v_lshl_add_u32 v70, v70, 2, v68
	ds_load_b32 v71, v71
	ds_load_b32 v70, v70
	s_wait_dscnt 0x1
	v_and_b32_e32 v71, v71, v51
	s_wait_dscnt 0x0
	v_and_b32_e32 v70, v70, v51
	s_delay_alu instid0(VALU_DEP_1) | instskip(SKIP_1) | instid1(VALU_DEP_1)
	v_cmp_gt_u32_e64 s7, v70, v71
	s_wait_alu 0xf1ff
	v_cndmask_b32_e64 v67, v67, v69, s7
	v_cndmask_b32_e64 v55, v80, v55, s7
	s_delay_alu instid0(VALU_DEP_1)
	v_cmp_ge_u32_e64 s7, v55, v67
	s_wait_alu 0xfffe
	s_or_b32 s11, s7, s11
	s_wait_alu 0xfffe
	s_and_not1_b32 exec_lo, exec_lo, s11
	s_cbranch_execnz .LBB512_86
; %bb.87:
	s_or_b32 exec_lo, exec_lo, s11
.LBB512_88:
	s_wait_alu 0xfffe
	s_or_b32 exec_lo, exec_lo, s10
	v_add_nc_u32_e32 v67, v53, v66
	v_add_nc_u32_e32 v66, v55, v65
	s_delay_alu instid0(VALU_DEP_2) | instskip(NEXT) | instid1(VALU_DEP_2)
	v_sub_nc_u32_e32 v65, v67, v55
	v_cmp_le_u32_e64 s7, v66, v53
	s_delay_alu instid0(VALU_DEP_2)
	v_cmp_le_u32_e64 s10, v65, v54
	s_or_b32 s7, s7, s10
	s_wait_alu 0xfffe
	s_and_saveexec_b32 s20, s7
	s_cbranch_execz .LBB512_94
; %bb.89:
	v_cmp_lt_u32_e64 s7, v66, v53
                                        ; implicit-def: $vgpr15
	s_and_saveexec_b32 s10, s7
; %bb.90:
	v_lshl_add_u32 v4, v55, 2, v64
	ds_load_b32 v15, v4
; %bb.91:
	s_wait_alu 0xfffe
	s_or_b32 exec_lo, exec_lo, s10
	v_cmp_ge_u32_e64 s10, v65, v54
	s_mov_b32 s12, exec_lo
                                        ; implicit-def: $vgpr16
	v_cmpx_lt_u32_e64 v65, v54
; %bb.92:
	v_lshl_add_u32 v4, v65, 2, v11
	ds_load_b32 v16, v4
; %bb.93:
	s_wait_alu 0xfffe
	s_or_b32 exec_lo, exec_lo, s12
	s_wait_dscnt 0x0
	v_and_b32_e32 v4, v16, v51
	v_and_b32_e32 v5, v15, v51
	s_delay_alu instid0(VALU_DEP_1)
	v_cmp_le_u32_e64 s11, v4, v5
	s_and_b32 s7, s7, s11
	s_wait_alu 0xfffe
	s_or_b32 s7, s10, s7
	s_wait_alu 0xfffe
	v_cndmask_b32_e64 v4, v65, v66, s7
	v_cndmask_b32_e64 v5, v54, v53, s7
	s_delay_alu instid0(VALU_DEP_2) | instskip(NEXT) | instid1(VALU_DEP_2)
	v_add_nc_u32_e32 v8, 1, v4
	v_add_nc_u32_e32 v5, -1, v5
	v_lshl_add_u32 v4, v4, 3, v10
	s_delay_alu instid0(VALU_DEP_2) | instskip(NEXT) | instid1(VALU_DEP_1)
	v_min_u32_e32 v5, v8, v5
	v_lshl_add_u32 v5, v5, 2, v11
	ds_load_b32 v5, v5
	s_wait_dscnt 0x0
	v_cndmask_b32_e64 v17, v5, v16, s7
	v_cndmask_b32_e64 v18, v15, v5, s7
	;; [unrolled: 1-line block ×5, first 2 shown]
	v_and_b32_e32 v9, v17, v51
	v_and_b32_e32 v19, v18, v51
	v_cmp_lt_u32_e64 s10, v5, v53
	v_cmp_ge_u32_e64 s12, v8, v54
	s_delay_alu instid0(VALU_DEP_3)
	v_cmp_le_u32_e64 s11, v9, v19
	s_and_b32 s10, s10, s11
	s_wait_alu 0xfffe
	s_or_b32 s10, s12, s10
	s_wait_alu 0xfffe
	v_cndmask_b32_e64 v9, v8, v5, s10
	v_cndmask_b32_e64 v19, v54, v53, s10
	v_cndmask_b32_e64 v16, v17, v18, s10
	s_delay_alu instid0(VALU_DEP_3) | instskip(NEXT) | instid1(VALU_DEP_3)
	v_add_nc_u32_e32 v20, 1, v9
	v_add_nc_u32_e32 v19, -1, v19
	v_lshl_add_u32 v9, v9, 3, v10
	s_delay_alu instid0(VALU_DEP_3) | instskip(NEXT) | instid1(VALU_DEP_3)
	v_cndmask_b32_e64 v5, v5, v20, s10
	v_min_u32_e32 v19, v20, v19
	v_cndmask_b32_e64 v8, v20, v8, s10
	s_delay_alu instid0(VALU_DEP_3) | instskip(NEXT) | instid1(VALU_DEP_3)
	v_cmp_lt_u32_e64 s11, v5, v53
	v_lshl_add_u32 v19, v19, 2, v11
	s_delay_alu instid0(VALU_DEP_3) | instskip(SKIP_4) | instid1(VALU_DEP_2)
	v_cmp_ge_u32_e64 s13, v8, v54
	ds_load_b32 v19, v19
	s_wait_dscnt 0x0
	v_cndmask_b32_e64 v25, v19, v17, s10
	v_cndmask_b32_e64 v19, v18, v19, s10
	v_and_b32_e32 v21, v25, v51
	s_delay_alu instid0(VALU_DEP_2) | instskip(NEXT) | instid1(VALU_DEP_1)
	v_and_b32_e32 v22, v19, v51
	v_cmp_le_u32_e64 s12, v21, v22
	s_and_b32 s11, s11, s12
	s_wait_alu 0xfffe
	s_or_b32 s11, s13, s11
	s_wait_alu 0xfffe
	v_cndmask_b32_e64 v20, v8, v5, s11
	v_cndmask_b32_e64 v21, v54, v53, s11
	s_delay_alu instid0(VALU_DEP_2) | instskip(NEXT) | instid1(VALU_DEP_2)
	v_add_nc_u32_e32 v22, 1, v20
	v_add_nc_u32_e32 v21, -1, v21
	v_lshl_add_u32 v20, v20, 3, v10
	s_delay_alu instid0(VALU_DEP_3) | instskip(NEXT) | instid1(VALU_DEP_3)
	v_cndmask_b32_e64 v5, v5, v22, s11
	v_min_u32_e32 v21, v22, v21
	v_cndmask_b32_e64 v8, v22, v8, s11
	s_delay_alu instid0(VALU_DEP_3) | instskip(NEXT) | instid1(VALU_DEP_3)
	v_cmp_lt_u32_e64 s12, v5, v53
	v_lshl_add_u32 v21, v21, 2, v11
	s_delay_alu instid0(VALU_DEP_3)
	v_cmp_ge_u32_e64 s14, v8, v54
	ds_load_b32 v21, v21
	s_wait_dscnt 0x0
	v_cndmask_b32_e64 v26, v21, v25, s11
	v_cndmask_b32_e64 v55, v19, v21, s11
	;; [unrolled: 1-line block ×3, first 2 shown]
	s_delay_alu instid0(VALU_DEP_3) | instskip(NEXT) | instid1(VALU_DEP_3)
	v_and_b32_e32 v21, v26, v51
	v_and_b32_e32 v23, v55, v51
	s_delay_alu instid0(VALU_DEP_1)
	v_cmp_le_u32_e64 s13, v21, v23
	s_and_b32 s12, s12, s13
	s_wait_alu 0xfffe
	s_or_b32 s12, s14, s12
	s_wait_alu 0xfffe
	v_cndmask_b32_e64 v27, v8, v5, s12
	v_cndmask_b32_e64 v21, v54, v53, s12
	s_delay_alu instid0(VALU_DEP_2) | instskip(NEXT) | instid1(VALU_DEP_2)
	v_add_nc_u32_e32 v22, 1, v27
	v_add_nc_u32_e32 v21, -1, v21
	s_delay_alu instid0(VALU_DEP_2) | instskip(NEXT) | instid1(VALU_DEP_2)
	v_cndmask_b32_e64 v5, v5, v22, s12
	v_min_u32_e32 v21, v22, v21
	v_cndmask_b32_e64 v8, v22, v8, s12
	s_delay_alu instid0(VALU_DEP_3) | instskip(NEXT) | instid1(VALU_DEP_3)
	v_cmp_lt_u32_e64 s13, v5, v53
	v_lshl_add_u32 v21, v21, 2, v11
	s_delay_alu instid0(VALU_DEP_3)
	v_cmp_ge_u32_e64 s15, v8, v54
	ds_load_b32 v21, v21
	s_wait_dscnt 0x0
	v_cndmask_b32_e64 v64, v21, v26, s12
	v_cndmask_b32_e64 v65, v55, v21, s12
	;; [unrolled: 1-line block ×3, first 2 shown]
	s_delay_alu instid0(VALU_DEP_3) | instskip(NEXT) | instid1(VALU_DEP_3)
	v_and_b32_e32 v21, v64, v51
	v_and_b32_e32 v23, v65, v51
	s_delay_alu instid0(VALU_DEP_1)
	v_cmp_le_u32_e64 s14, v21, v23
	s_and_b32 s13, s13, s14
	s_wait_alu 0xfffe
	s_or_b32 s13, s15, s13
	s_wait_alu 0xfffe
	v_cndmask_b32_e64 v28, v8, v5, s13
	v_cndmask_b32_e64 v21, v54, v53, s13
	;; [unrolled: 1-line block ×3, first 2 shown]
	s_delay_alu instid0(VALU_DEP_3) | instskip(NEXT) | instid1(VALU_DEP_3)
	v_add_nc_u32_e32 v22, 1, v28
	v_add_nc_u32_e32 v21, -1, v21
	s_delay_alu instid0(VALU_DEP_2) | instskip(NEXT) | instid1(VALU_DEP_2)
	v_cndmask_b32_e64 v5, v5, v22, s13
	v_min_u32_e32 v21, v22, v21
	v_cndmask_b32_e64 v8, v22, v8, s13
	s_delay_alu instid0(VALU_DEP_3) | instskip(NEXT) | instid1(VALU_DEP_3)
	v_cmp_lt_u32_e64 s14, v5, v53
	v_lshl_add_u32 v21, v21, 2, v11
	s_delay_alu instid0(VALU_DEP_3) | instskip(SKIP_4) | instid1(VALU_DEP_2)
	v_cmp_ge_u32_e64 s16, v8, v54
	ds_load_b32 v21, v21
	s_wait_dscnt 0x0
	v_cndmask_b32_e64 v66, v21, v64, s13
	v_cndmask_b32_e64 v67, v65, v21, s13
	v_and_b32_e32 v21, v66, v51
	s_delay_alu instid0(VALU_DEP_2) | instskip(NEXT) | instid1(VALU_DEP_1)
	v_and_b32_e32 v23, v67, v51
	v_cmp_le_u32_e64 s15, v21, v23
	s_and_b32 s14, s14, s15
	s_wait_alu 0xfffe
	s_or_b32 s14, s16, s14
	s_wait_alu 0xfffe
	v_cndmask_b32_e64 v29, v8, v5, s14
	v_cndmask_b32_e64 v21, v54, v53, s14
	s_delay_alu instid0(VALU_DEP_2) | instskip(NEXT) | instid1(VALU_DEP_2)
	v_add_nc_u32_e32 v22, 1, v29
	v_add_nc_u32_e32 v21, -1, v21
	s_delay_alu instid0(VALU_DEP_2) | instskip(NEXT) | instid1(VALU_DEP_2)
	v_cndmask_b32_e64 v5, v5, v22, s14
	v_min_u32_e32 v21, v22, v21
	v_cndmask_b32_e64 v8, v22, v8, s14
	s_delay_alu instid0(VALU_DEP_3) | instskip(NEXT) | instid1(VALU_DEP_3)
	v_cmp_lt_u32_e64 s15, v5, v53
	v_lshl_add_u32 v21, v21, 2, v11
	s_delay_alu instid0(VALU_DEP_3) | instskip(SKIP_4) | instid1(VALU_DEP_2)
	v_cmp_ge_u32_e64 s17, v8, v54
	ds_load_b32 v21, v21
	s_wait_dscnt 0x0
	v_cndmask_b32_e64 v68, v21, v66, s14
	v_cndmask_b32_e64 v69, v67, v21, s14
	v_and_b32_e32 v21, v68, v51
	s_delay_alu instid0(VALU_DEP_2) | instskip(NEXT) | instid1(VALU_DEP_1)
	v_and_b32_e32 v23, v69, v51
	v_cmp_le_u32_e64 s16, v21, v23
	s_and_b32 s15, s15, s16
	s_wait_alu 0xfffe
	s_or_b32 s15, s17, s15
	s_wait_alu 0xfffe
	v_cndmask_b32_e64 v30, v8, v5, s15
	v_cndmask_b32_e64 v21, v54, v53, s15
	;; [unrolled: 1-line block ×3, first 2 shown]
	s_delay_alu instid0(VALU_DEP_3) | instskip(NEXT) | instid1(VALU_DEP_3)
	v_add_nc_u32_e32 v22, 1, v30
	v_add_nc_u32_e32 v21, -1, v21
	v_lshl_add_u32 v33, v30, 3, v10
	s_delay_alu instid0(VALU_DEP_3) | instskip(NEXT) | instid1(VALU_DEP_3)
	v_cndmask_b32_e64 v32, v5, v22, s15
	v_min_u32_e32 v21, v22, v21
	v_cndmask_b32_e64 v8, v22, v8, s15
	s_delay_alu instid0(VALU_DEP_3) | instskip(NEXT) | instid1(VALU_DEP_3)
	v_cmp_lt_u32_e64 s16, v32, v53
	v_lshl_add_u32 v21, v21, 2, v11
	s_delay_alu instid0(VALU_DEP_3) | instskip(SKIP_4) | instid1(VALU_DEP_2)
	v_cmp_ge_u32_e64 s18, v8, v54
	ds_load_b32 v21, v21
	s_wait_dscnt 0x0
	v_cndmask_b32_e64 v70, v21, v68, s15
	v_cndmask_b32_e64 v71, v69, v21, s15
	v_and_b32_e32 v5, v70, v51
	s_delay_alu instid0(VALU_DEP_2) | instskip(NEXT) | instid1(VALU_DEP_1)
	v_and_b32_e32 v21, v71, v51
	v_cmp_le_u32_e64 s17, v5, v21
	ds_load_b64 v[4:5], v4 offset:8192
	ds_load_b64 v[21:22], v9 offset:8192
	v_lshl_add_u32 v9, v27, 3, v10
	ds_load_b64 v[23:24], v20 offset:8192
	v_lshl_add_u32 v20, v28, 3, v10
	s_and_b32 s16, s16, s17
	s_wait_alu 0xfffe
	s_or_b32 s16, s18, s16
	s_wait_alu 0xfffe
	v_cndmask_b32_e64 v8, v8, v32, s16
	v_lshl_add_u32 v32, v29, 3, v10
	v_cndmask_b32_e64 v18, v70, v71, s16
	s_delay_alu instid0(VALU_DEP_3)
	v_lshl_add_u32 v53, v8, 3, v10
	ds_load_b64 v[27:28], v9 offset:8192
	ds_load_b64 v[29:30], v20 offset:8192
	;; [unrolled: 1-line block ×5, first 2 shown]
	v_cndmask_b32_e64 v20, v66, v67, s14
.LBB512_94:
	s_wait_alu 0xfffe
	s_or_b32 exec_lo, exec_lo, s20
	v_and_b32_e32 v65, 0xe0, v49
	v_and_b32_e32 v55, 24, v49
	s_mov_b32 s10, exec_lo
	; wave barrier
	s_delay_alu instid0(VALU_DEP_2) | instskip(NEXT) | instid1(VALU_DEP_2)
	v_or_b32_e32 v53, 16, v65
	v_min_u32_e32 v66, v36, v55
	s_wait_dscnt 0x6
	ds_store_2addr_b64 v37, v[4:5], v[21:22] offset1:1
	s_wait_dscnt 0x5
	ds_store_2addr_b64 v38, v[23:24], v[27:28] offset1:1
	ds_store_2addr_b64 v31, v[15:16], v[25:26] offset1:1
	ds_store_2addr_b64 v31, v[19:20], v[17:18] offset0:2 offset1:3
	s_wait_dscnt 0x6
	ds_store_2addr_b64 v39, v[29:30], v[34:35] offset1:1
	s_wait_dscnt 0x5
	ds_store_2addr_b64 v52, v[8:9], v[32:33] offset1:1
	v_min_u32_e32 v53, v36, v53
	; wave barrier
	s_delay_alu instid0(VALU_DEP_1) | instskip(SKIP_1) | instid1(VALU_DEP_2)
	v_add_nc_u32_e32 v54, 16, v53
	v_sub_nc_u32_e32 v55, v53, v65
	v_min_u32_e32 v54, v36, v54
	s_delay_alu instid0(VALU_DEP_2) | instskip(NEXT) | instid1(VALU_DEP_2)
	v_min_u32_e32 v67, v66, v55
	v_sub_nc_u32_e32 v64, v54, v53
	s_delay_alu instid0(VALU_DEP_1) | instskip(SKIP_1) | instid1(VALU_DEP_2)
	v_sub_nc_u32_e64 v55, v66, v64 clamp
	v_lshl_add_u32 v64, v65, 2, v11
	v_cmpx_lt_u32_e64 v55, v67
	s_cbranch_execz .LBB512_98
; %bb.95:
	v_lshlrev_b32_e32 v68, 2, v53
	v_lshlrev_b32_e32 v69, 2, v66
	s_mov_b32 s11, 0
	s_delay_alu instid0(VALU_DEP_1)
	v_add3_u32 v68, v11, v68, v69
.LBB512_96:                             ; =>This Inner Loop Header: Depth=1
	v_add_nc_u32_e32 v69, v67, v55
	s_delay_alu instid0(VALU_DEP_1) | instskip(NEXT) | instid1(VALU_DEP_1)
	v_lshrrev_b32_e32 v69, 1, v69
	v_not_b32_e32 v70, v69
	v_lshl_add_u32 v71, v69, 2, v64
	v_add_nc_u32_e32 v80, 1, v69
	s_delay_alu instid0(VALU_DEP_3)
	v_lshl_add_u32 v70, v70, 2, v68
	ds_load_b32 v71, v71
	ds_load_b32 v70, v70
	s_wait_dscnt 0x1
	v_and_b32_e32 v71, v71, v51
	s_wait_dscnt 0x0
	v_and_b32_e32 v70, v70, v51
	s_delay_alu instid0(VALU_DEP_1) | instskip(SKIP_1) | instid1(VALU_DEP_1)
	v_cmp_gt_u32_e64 s7, v70, v71
	s_wait_alu 0xf1ff
	v_cndmask_b32_e64 v67, v67, v69, s7
	v_cndmask_b32_e64 v55, v80, v55, s7
	s_delay_alu instid0(VALU_DEP_1)
	v_cmp_ge_u32_e64 s7, v55, v67
	s_wait_alu 0xfffe
	s_or_b32 s11, s7, s11
	s_wait_alu 0xfffe
	s_and_not1_b32 exec_lo, exec_lo, s11
	s_cbranch_execnz .LBB512_96
; %bb.97:
	s_or_b32 exec_lo, exec_lo, s11
.LBB512_98:
	s_wait_alu 0xfffe
	s_or_b32 exec_lo, exec_lo, s10
	v_add_nc_u32_e32 v67, v53, v66
	v_add_nc_u32_e32 v66, v55, v65
	s_delay_alu instid0(VALU_DEP_2) | instskip(NEXT) | instid1(VALU_DEP_2)
	v_sub_nc_u32_e32 v65, v67, v55
	v_cmp_le_u32_e64 s7, v66, v53
	s_delay_alu instid0(VALU_DEP_2)
	v_cmp_le_u32_e64 s10, v65, v54
	s_or_b32 s7, s7, s10
	s_wait_alu 0xfffe
	s_and_saveexec_b32 s20, s7
	s_cbranch_execz .LBB512_104
; %bb.99:
	v_cmp_lt_u32_e64 s7, v66, v53
                                        ; implicit-def: $vgpr15
	s_and_saveexec_b32 s10, s7
; %bb.100:
	v_lshl_add_u32 v4, v55, 2, v64
	ds_load_b32 v15, v4
; %bb.101:
	s_wait_alu 0xfffe
	s_or_b32 exec_lo, exec_lo, s10
	v_cmp_ge_u32_e64 s10, v65, v54
	s_mov_b32 s12, exec_lo
                                        ; implicit-def: $vgpr16
	v_cmpx_lt_u32_e64 v65, v54
; %bb.102:
	v_lshl_add_u32 v4, v65, 2, v11
	ds_load_b32 v16, v4
; %bb.103:
	s_wait_alu 0xfffe
	s_or_b32 exec_lo, exec_lo, s12
	s_wait_dscnt 0x0
	v_and_b32_e32 v4, v16, v51
	v_and_b32_e32 v5, v15, v51
	s_delay_alu instid0(VALU_DEP_1)
	v_cmp_le_u32_e64 s11, v4, v5
	s_and_b32 s7, s7, s11
	s_wait_alu 0xfffe
	s_or_b32 s7, s10, s7
	s_wait_alu 0xfffe
	v_cndmask_b32_e64 v4, v65, v66, s7
	v_cndmask_b32_e64 v5, v54, v53, s7
	s_delay_alu instid0(VALU_DEP_2) | instskip(NEXT) | instid1(VALU_DEP_2)
	v_add_nc_u32_e32 v8, 1, v4
	v_add_nc_u32_e32 v5, -1, v5
	v_lshl_add_u32 v4, v4, 3, v10
	s_delay_alu instid0(VALU_DEP_2) | instskip(NEXT) | instid1(VALU_DEP_1)
	v_min_u32_e32 v5, v8, v5
	v_lshl_add_u32 v5, v5, 2, v11
	ds_load_b32 v5, v5
	s_wait_dscnt 0x0
	v_cndmask_b32_e64 v17, v5, v16, s7
	v_cndmask_b32_e64 v18, v15, v5, s7
	v_cndmask_b32_e64 v5, v66, v8, s7
	v_cndmask_b32_e64 v8, v8, v65, s7
	v_cndmask_b32_e64 v15, v16, v15, s7
	v_and_b32_e32 v9, v17, v51
	v_and_b32_e32 v19, v18, v51
	v_cmp_lt_u32_e64 s10, v5, v53
	v_cmp_ge_u32_e64 s12, v8, v54
	s_delay_alu instid0(VALU_DEP_3)
	v_cmp_le_u32_e64 s11, v9, v19
	s_and_b32 s10, s10, s11
	s_wait_alu 0xfffe
	s_or_b32 s10, s12, s10
	s_wait_alu 0xfffe
	v_cndmask_b32_e64 v9, v8, v5, s10
	v_cndmask_b32_e64 v19, v54, v53, s10
	;; [unrolled: 1-line block ×3, first 2 shown]
	s_delay_alu instid0(VALU_DEP_3) | instskip(NEXT) | instid1(VALU_DEP_3)
	v_add_nc_u32_e32 v20, 1, v9
	v_add_nc_u32_e32 v19, -1, v19
	v_lshl_add_u32 v9, v9, 3, v10
	s_delay_alu instid0(VALU_DEP_3) | instskip(NEXT) | instid1(VALU_DEP_3)
	v_cndmask_b32_e64 v5, v5, v20, s10
	v_min_u32_e32 v19, v20, v19
	v_cndmask_b32_e64 v8, v20, v8, s10
	s_delay_alu instid0(VALU_DEP_3) | instskip(NEXT) | instid1(VALU_DEP_3)
	v_cmp_lt_u32_e64 s11, v5, v53
	v_lshl_add_u32 v19, v19, 2, v11
	s_delay_alu instid0(VALU_DEP_3) | instskip(SKIP_4) | instid1(VALU_DEP_2)
	v_cmp_ge_u32_e64 s13, v8, v54
	ds_load_b32 v19, v19
	s_wait_dscnt 0x0
	v_cndmask_b32_e64 v25, v19, v17, s10
	v_cndmask_b32_e64 v19, v18, v19, s10
	v_and_b32_e32 v21, v25, v51
	s_delay_alu instid0(VALU_DEP_2) | instskip(NEXT) | instid1(VALU_DEP_1)
	v_and_b32_e32 v22, v19, v51
	v_cmp_le_u32_e64 s12, v21, v22
	s_and_b32 s11, s11, s12
	s_wait_alu 0xfffe
	s_or_b32 s11, s13, s11
	s_wait_alu 0xfffe
	v_cndmask_b32_e64 v20, v8, v5, s11
	v_cndmask_b32_e64 v21, v54, v53, s11
	s_delay_alu instid0(VALU_DEP_2) | instskip(NEXT) | instid1(VALU_DEP_2)
	v_add_nc_u32_e32 v22, 1, v20
	v_add_nc_u32_e32 v21, -1, v21
	v_lshl_add_u32 v20, v20, 3, v10
	s_delay_alu instid0(VALU_DEP_3) | instskip(NEXT) | instid1(VALU_DEP_3)
	v_cndmask_b32_e64 v5, v5, v22, s11
	v_min_u32_e32 v21, v22, v21
	v_cndmask_b32_e64 v8, v22, v8, s11
	s_delay_alu instid0(VALU_DEP_3) | instskip(NEXT) | instid1(VALU_DEP_3)
	v_cmp_lt_u32_e64 s12, v5, v53
	v_lshl_add_u32 v21, v21, 2, v11
	s_delay_alu instid0(VALU_DEP_3)
	v_cmp_ge_u32_e64 s14, v8, v54
	ds_load_b32 v21, v21
	s_wait_dscnt 0x0
	v_cndmask_b32_e64 v26, v21, v25, s11
	v_cndmask_b32_e64 v55, v19, v21, s11
	;; [unrolled: 1-line block ×3, first 2 shown]
	s_delay_alu instid0(VALU_DEP_3) | instskip(NEXT) | instid1(VALU_DEP_3)
	v_and_b32_e32 v21, v26, v51
	v_and_b32_e32 v23, v55, v51
	s_delay_alu instid0(VALU_DEP_1)
	v_cmp_le_u32_e64 s13, v21, v23
	s_and_b32 s12, s12, s13
	s_wait_alu 0xfffe
	s_or_b32 s12, s14, s12
	s_wait_alu 0xfffe
	v_cndmask_b32_e64 v27, v8, v5, s12
	v_cndmask_b32_e64 v21, v54, v53, s12
	s_delay_alu instid0(VALU_DEP_2) | instskip(NEXT) | instid1(VALU_DEP_2)
	v_add_nc_u32_e32 v22, 1, v27
	v_add_nc_u32_e32 v21, -1, v21
	s_delay_alu instid0(VALU_DEP_2) | instskip(NEXT) | instid1(VALU_DEP_2)
	v_cndmask_b32_e64 v5, v5, v22, s12
	v_min_u32_e32 v21, v22, v21
	v_cndmask_b32_e64 v8, v22, v8, s12
	s_delay_alu instid0(VALU_DEP_3) | instskip(NEXT) | instid1(VALU_DEP_3)
	v_cmp_lt_u32_e64 s13, v5, v53
	v_lshl_add_u32 v21, v21, 2, v11
	s_delay_alu instid0(VALU_DEP_3)
	v_cmp_ge_u32_e64 s15, v8, v54
	ds_load_b32 v21, v21
	s_wait_dscnt 0x0
	v_cndmask_b32_e64 v64, v21, v26, s12
	v_cndmask_b32_e64 v65, v55, v21, s12
	;; [unrolled: 1-line block ×3, first 2 shown]
	s_delay_alu instid0(VALU_DEP_3) | instskip(NEXT) | instid1(VALU_DEP_3)
	v_and_b32_e32 v21, v64, v51
	v_and_b32_e32 v23, v65, v51
	s_delay_alu instid0(VALU_DEP_1)
	v_cmp_le_u32_e64 s14, v21, v23
	s_and_b32 s13, s13, s14
	s_wait_alu 0xfffe
	s_or_b32 s13, s15, s13
	s_wait_alu 0xfffe
	v_cndmask_b32_e64 v28, v8, v5, s13
	v_cndmask_b32_e64 v21, v54, v53, s13
	;; [unrolled: 1-line block ×3, first 2 shown]
	s_delay_alu instid0(VALU_DEP_3) | instskip(NEXT) | instid1(VALU_DEP_3)
	v_add_nc_u32_e32 v22, 1, v28
	v_add_nc_u32_e32 v21, -1, v21
	s_delay_alu instid0(VALU_DEP_2) | instskip(NEXT) | instid1(VALU_DEP_2)
	v_cndmask_b32_e64 v5, v5, v22, s13
	v_min_u32_e32 v21, v22, v21
	v_cndmask_b32_e64 v8, v22, v8, s13
	s_delay_alu instid0(VALU_DEP_3) | instskip(NEXT) | instid1(VALU_DEP_3)
	v_cmp_lt_u32_e64 s14, v5, v53
	v_lshl_add_u32 v21, v21, 2, v11
	s_delay_alu instid0(VALU_DEP_3) | instskip(SKIP_4) | instid1(VALU_DEP_2)
	v_cmp_ge_u32_e64 s16, v8, v54
	ds_load_b32 v21, v21
	s_wait_dscnt 0x0
	v_cndmask_b32_e64 v66, v21, v64, s13
	v_cndmask_b32_e64 v67, v65, v21, s13
	v_and_b32_e32 v21, v66, v51
	s_delay_alu instid0(VALU_DEP_2) | instskip(NEXT) | instid1(VALU_DEP_1)
	v_and_b32_e32 v23, v67, v51
	v_cmp_le_u32_e64 s15, v21, v23
	s_and_b32 s14, s14, s15
	s_wait_alu 0xfffe
	s_or_b32 s14, s16, s14
	s_wait_alu 0xfffe
	v_cndmask_b32_e64 v29, v8, v5, s14
	v_cndmask_b32_e64 v21, v54, v53, s14
	s_delay_alu instid0(VALU_DEP_2) | instskip(NEXT) | instid1(VALU_DEP_2)
	v_add_nc_u32_e32 v22, 1, v29
	v_add_nc_u32_e32 v21, -1, v21
	s_delay_alu instid0(VALU_DEP_2) | instskip(NEXT) | instid1(VALU_DEP_2)
	v_cndmask_b32_e64 v5, v5, v22, s14
	v_min_u32_e32 v21, v22, v21
	v_cndmask_b32_e64 v8, v22, v8, s14
	s_delay_alu instid0(VALU_DEP_3) | instskip(NEXT) | instid1(VALU_DEP_3)
	v_cmp_lt_u32_e64 s15, v5, v53
	v_lshl_add_u32 v21, v21, 2, v11
	s_delay_alu instid0(VALU_DEP_3) | instskip(SKIP_4) | instid1(VALU_DEP_2)
	v_cmp_ge_u32_e64 s17, v8, v54
	ds_load_b32 v21, v21
	s_wait_dscnt 0x0
	v_cndmask_b32_e64 v68, v21, v66, s14
	v_cndmask_b32_e64 v69, v67, v21, s14
	v_and_b32_e32 v21, v68, v51
	s_delay_alu instid0(VALU_DEP_2) | instskip(NEXT) | instid1(VALU_DEP_1)
	v_and_b32_e32 v23, v69, v51
	v_cmp_le_u32_e64 s16, v21, v23
	s_and_b32 s15, s15, s16
	s_wait_alu 0xfffe
	s_or_b32 s15, s17, s15
	s_wait_alu 0xfffe
	v_cndmask_b32_e64 v30, v8, v5, s15
	v_cndmask_b32_e64 v21, v54, v53, s15
	;; [unrolled: 1-line block ×3, first 2 shown]
	s_delay_alu instid0(VALU_DEP_3) | instskip(NEXT) | instid1(VALU_DEP_3)
	v_add_nc_u32_e32 v22, 1, v30
	v_add_nc_u32_e32 v21, -1, v21
	v_lshl_add_u32 v33, v30, 3, v10
	s_delay_alu instid0(VALU_DEP_3) | instskip(NEXT) | instid1(VALU_DEP_3)
	v_cndmask_b32_e64 v32, v5, v22, s15
	v_min_u32_e32 v21, v22, v21
	v_cndmask_b32_e64 v8, v22, v8, s15
	s_delay_alu instid0(VALU_DEP_3) | instskip(NEXT) | instid1(VALU_DEP_3)
	v_cmp_lt_u32_e64 s16, v32, v53
	v_lshl_add_u32 v21, v21, 2, v11
	s_delay_alu instid0(VALU_DEP_3) | instskip(SKIP_4) | instid1(VALU_DEP_2)
	v_cmp_ge_u32_e64 s18, v8, v54
	ds_load_b32 v21, v21
	s_wait_dscnt 0x0
	v_cndmask_b32_e64 v70, v21, v68, s15
	v_cndmask_b32_e64 v71, v69, v21, s15
	v_and_b32_e32 v5, v70, v51
	s_delay_alu instid0(VALU_DEP_2) | instskip(NEXT) | instid1(VALU_DEP_1)
	v_and_b32_e32 v21, v71, v51
	v_cmp_le_u32_e64 s17, v5, v21
	ds_load_b64 v[4:5], v4 offset:8192
	ds_load_b64 v[21:22], v9 offset:8192
	v_lshl_add_u32 v9, v27, 3, v10
	ds_load_b64 v[23:24], v20 offset:8192
	v_lshl_add_u32 v20, v28, 3, v10
	s_and_b32 s16, s16, s17
	s_wait_alu 0xfffe
	s_or_b32 s16, s18, s16
	s_wait_alu 0xfffe
	v_cndmask_b32_e64 v8, v8, v32, s16
	v_lshl_add_u32 v32, v29, 3, v10
	v_cndmask_b32_e64 v18, v70, v71, s16
	s_delay_alu instid0(VALU_DEP_3)
	v_lshl_add_u32 v53, v8, 3, v10
	ds_load_b64 v[27:28], v9 offset:8192
	ds_load_b64 v[29:30], v20 offset:8192
	;; [unrolled: 1-line block ×5, first 2 shown]
	v_cndmask_b32_e64 v20, v66, v67, s14
.LBB512_104:
	s_wait_alu 0xfffe
	s_or_b32 exec_lo, exec_lo, s20
	v_and_b32_e32 v65, 0xc0, v49
	v_and_b32_e32 v55, 56, v49
	s_mov_b32 s10, exec_lo
	; wave barrier
	s_delay_alu instid0(VALU_DEP_2) | instskip(NEXT) | instid1(VALU_DEP_2)
	v_or_b32_e32 v53, 32, v65
	v_min_u32_e32 v66, v36, v55
	s_wait_dscnt 0x6
	ds_store_2addr_b64 v37, v[4:5], v[21:22] offset1:1
	s_wait_dscnt 0x5
	ds_store_2addr_b64 v38, v[23:24], v[27:28] offset1:1
	ds_store_2addr_b64 v31, v[15:16], v[25:26] offset1:1
	ds_store_2addr_b64 v31, v[19:20], v[17:18] offset0:2 offset1:3
	s_wait_dscnt 0x6
	ds_store_2addr_b64 v39, v[29:30], v[34:35] offset1:1
	s_wait_dscnt 0x5
	ds_store_2addr_b64 v52, v[8:9], v[32:33] offset1:1
	v_min_u32_e32 v53, v36, v53
	; wave barrier
	s_delay_alu instid0(VALU_DEP_1) | instskip(SKIP_1) | instid1(VALU_DEP_2)
	v_add_nc_u32_e32 v54, 32, v53
	v_sub_nc_u32_e32 v55, v53, v65
	v_min_u32_e32 v54, v36, v54
	s_delay_alu instid0(VALU_DEP_2) | instskip(NEXT) | instid1(VALU_DEP_2)
	v_min_u32_e32 v67, v66, v55
	v_sub_nc_u32_e32 v64, v54, v53
	s_delay_alu instid0(VALU_DEP_1) | instskip(SKIP_1) | instid1(VALU_DEP_2)
	v_sub_nc_u32_e64 v55, v66, v64 clamp
	v_lshl_add_u32 v64, v65, 2, v11
	v_cmpx_lt_u32_e64 v55, v67
	s_cbranch_execz .LBB512_108
; %bb.105:
	v_lshlrev_b32_e32 v68, 2, v53
	v_lshlrev_b32_e32 v69, 2, v66
	s_mov_b32 s11, 0
	s_delay_alu instid0(VALU_DEP_1)
	v_add3_u32 v68, v11, v68, v69
.LBB512_106:                            ; =>This Inner Loop Header: Depth=1
	v_add_nc_u32_e32 v69, v67, v55
	s_delay_alu instid0(VALU_DEP_1) | instskip(NEXT) | instid1(VALU_DEP_1)
	v_lshrrev_b32_e32 v69, 1, v69
	v_not_b32_e32 v70, v69
	v_lshl_add_u32 v71, v69, 2, v64
	v_add_nc_u32_e32 v80, 1, v69
	s_delay_alu instid0(VALU_DEP_3)
	v_lshl_add_u32 v70, v70, 2, v68
	ds_load_b32 v71, v71
	ds_load_b32 v70, v70
	s_wait_dscnt 0x1
	v_and_b32_e32 v71, v71, v51
	s_wait_dscnt 0x0
	v_and_b32_e32 v70, v70, v51
	s_delay_alu instid0(VALU_DEP_1) | instskip(SKIP_1) | instid1(VALU_DEP_1)
	v_cmp_gt_u32_e64 s7, v70, v71
	s_wait_alu 0xf1ff
	v_cndmask_b32_e64 v67, v67, v69, s7
	v_cndmask_b32_e64 v55, v80, v55, s7
	s_delay_alu instid0(VALU_DEP_1)
	v_cmp_ge_u32_e64 s7, v55, v67
	s_wait_alu 0xfffe
	s_or_b32 s11, s7, s11
	s_wait_alu 0xfffe
	s_and_not1_b32 exec_lo, exec_lo, s11
	s_cbranch_execnz .LBB512_106
; %bb.107:
	s_or_b32 exec_lo, exec_lo, s11
.LBB512_108:
	s_wait_alu 0xfffe
	s_or_b32 exec_lo, exec_lo, s10
	v_add_nc_u32_e32 v67, v53, v66
	v_add_nc_u32_e32 v66, v55, v65
	s_delay_alu instid0(VALU_DEP_2) | instskip(NEXT) | instid1(VALU_DEP_2)
	v_sub_nc_u32_e32 v65, v67, v55
	v_cmp_le_u32_e64 s7, v66, v53
	s_delay_alu instid0(VALU_DEP_2)
	v_cmp_le_u32_e64 s10, v65, v54
	s_or_b32 s7, s7, s10
	s_wait_alu 0xfffe
	s_and_saveexec_b32 s20, s7
	s_cbranch_execz .LBB512_114
; %bb.109:
	v_cmp_lt_u32_e64 s7, v66, v53
                                        ; implicit-def: $vgpr15
	s_and_saveexec_b32 s10, s7
; %bb.110:
	v_lshl_add_u32 v4, v55, 2, v64
	ds_load_b32 v15, v4
; %bb.111:
	s_wait_alu 0xfffe
	s_or_b32 exec_lo, exec_lo, s10
	v_cmp_ge_u32_e64 s10, v65, v54
	s_mov_b32 s12, exec_lo
                                        ; implicit-def: $vgpr16
	v_cmpx_lt_u32_e64 v65, v54
; %bb.112:
	v_lshl_add_u32 v4, v65, 2, v11
	ds_load_b32 v16, v4
; %bb.113:
	s_wait_alu 0xfffe
	s_or_b32 exec_lo, exec_lo, s12
	s_wait_dscnt 0x0
	v_and_b32_e32 v4, v16, v51
	v_and_b32_e32 v5, v15, v51
	s_delay_alu instid0(VALU_DEP_1)
	v_cmp_le_u32_e64 s11, v4, v5
	s_and_b32 s7, s7, s11
	s_wait_alu 0xfffe
	s_or_b32 s7, s10, s7
	s_wait_alu 0xfffe
	v_cndmask_b32_e64 v4, v65, v66, s7
	v_cndmask_b32_e64 v5, v54, v53, s7
	s_delay_alu instid0(VALU_DEP_2) | instskip(NEXT) | instid1(VALU_DEP_2)
	v_add_nc_u32_e32 v8, 1, v4
	v_add_nc_u32_e32 v5, -1, v5
	v_lshl_add_u32 v4, v4, 3, v10
	s_delay_alu instid0(VALU_DEP_2) | instskip(NEXT) | instid1(VALU_DEP_1)
	v_min_u32_e32 v5, v8, v5
	v_lshl_add_u32 v5, v5, 2, v11
	ds_load_b32 v5, v5
	s_wait_dscnt 0x0
	v_cndmask_b32_e64 v17, v5, v16, s7
	v_cndmask_b32_e64 v18, v15, v5, s7
	v_cndmask_b32_e64 v5, v66, v8, s7
	v_cndmask_b32_e64 v8, v8, v65, s7
	v_cndmask_b32_e64 v15, v16, v15, s7
	v_and_b32_e32 v9, v17, v51
	v_and_b32_e32 v19, v18, v51
	v_cmp_lt_u32_e64 s10, v5, v53
	v_cmp_ge_u32_e64 s12, v8, v54
	s_delay_alu instid0(VALU_DEP_3)
	v_cmp_le_u32_e64 s11, v9, v19
	s_and_b32 s10, s10, s11
	s_wait_alu 0xfffe
	s_or_b32 s10, s12, s10
	s_wait_alu 0xfffe
	v_cndmask_b32_e64 v9, v8, v5, s10
	v_cndmask_b32_e64 v19, v54, v53, s10
	;; [unrolled: 1-line block ×3, first 2 shown]
	s_delay_alu instid0(VALU_DEP_3) | instskip(NEXT) | instid1(VALU_DEP_3)
	v_add_nc_u32_e32 v20, 1, v9
	v_add_nc_u32_e32 v19, -1, v19
	v_lshl_add_u32 v9, v9, 3, v10
	s_delay_alu instid0(VALU_DEP_3) | instskip(NEXT) | instid1(VALU_DEP_3)
	v_cndmask_b32_e64 v5, v5, v20, s10
	v_min_u32_e32 v19, v20, v19
	v_cndmask_b32_e64 v8, v20, v8, s10
	s_delay_alu instid0(VALU_DEP_3) | instskip(NEXT) | instid1(VALU_DEP_3)
	v_cmp_lt_u32_e64 s11, v5, v53
	v_lshl_add_u32 v19, v19, 2, v11
	s_delay_alu instid0(VALU_DEP_3) | instskip(SKIP_4) | instid1(VALU_DEP_2)
	v_cmp_ge_u32_e64 s13, v8, v54
	ds_load_b32 v19, v19
	s_wait_dscnt 0x0
	v_cndmask_b32_e64 v25, v19, v17, s10
	v_cndmask_b32_e64 v19, v18, v19, s10
	v_and_b32_e32 v21, v25, v51
	s_delay_alu instid0(VALU_DEP_2) | instskip(NEXT) | instid1(VALU_DEP_1)
	v_and_b32_e32 v22, v19, v51
	v_cmp_le_u32_e64 s12, v21, v22
	s_and_b32 s11, s11, s12
	s_wait_alu 0xfffe
	s_or_b32 s11, s13, s11
	s_wait_alu 0xfffe
	v_cndmask_b32_e64 v20, v8, v5, s11
	v_cndmask_b32_e64 v21, v54, v53, s11
	s_delay_alu instid0(VALU_DEP_2) | instskip(NEXT) | instid1(VALU_DEP_2)
	v_add_nc_u32_e32 v22, 1, v20
	v_add_nc_u32_e32 v21, -1, v21
	v_lshl_add_u32 v20, v20, 3, v10
	s_delay_alu instid0(VALU_DEP_3) | instskip(NEXT) | instid1(VALU_DEP_3)
	v_cndmask_b32_e64 v5, v5, v22, s11
	v_min_u32_e32 v21, v22, v21
	v_cndmask_b32_e64 v8, v22, v8, s11
	s_delay_alu instid0(VALU_DEP_3) | instskip(NEXT) | instid1(VALU_DEP_3)
	v_cmp_lt_u32_e64 s12, v5, v53
	v_lshl_add_u32 v21, v21, 2, v11
	s_delay_alu instid0(VALU_DEP_3)
	v_cmp_ge_u32_e64 s14, v8, v54
	ds_load_b32 v21, v21
	s_wait_dscnt 0x0
	v_cndmask_b32_e64 v26, v21, v25, s11
	v_cndmask_b32_e64 v55, v19, v21, s11
	;; [unrolled: 1-line block ×3, first 2 shown]
	s_delay_alu instid0(VALU_DEP_3) | instskip(NEXT) | instid1(VALU_DEP_3)
	v_and_b32_e32 v21, v26, v51
	v_and_b32_e32 v23, v55, v51
	s_delay_alu instid0(VALU_DEP_1)
	v_cmp_le_u32_e64 s13, v21, v23
	s_and_b32 s12, s12, s13
	s_wait_alu 0xfffe
	s_or_b32 s12, s14, s12
	s_wait_alu 0xfffe
	v_cndmask_b32_e64 v27, v8, v5, s12
	v_cndmask_b32_e64 v21, v54, v53, s12
	s_delay_alu instid0(VALU_DEP_2) | instskip(NEXT) | instid1(VALU_DEP_2)
	v_add_nc_u32_e32 v22, 1, v27
	v_add_nc_u32_e32 v21, -1, v21
	s_delay_alu instid0(VALU_DEP_2) | instskip(NEXT) | instid1(VALU_DEP_2)
	v_cndmask_b32_e64 v5, v5, v22, s12
	v_min_u32_e32 v21, v22, v21
	v_cndmask_b32_e64 v8, v22, v8, s12
	s_delay_alu instid0(VALU_DEP_3) | instskip(NEXT) | instid1(VALU_DEP_3)
	v_cmp_lt_u32_e64 s13, v5, v53
	v_lshl_add_u32 v21, v21, 2, v11
	s_delay_alu instid0(VALU_DEP_3)
	v_cmp_ge_u32_e64 s15, v8, v54
	ds_load_b32 v21, v21
	s_wait_dscnt 0x0
	v_cndmask_b32_e64 v64, v21, v26, s12
	v_cndmask_b32_e64 v65, v55, v21, s12
	;; [unrolled: 1-line block ×3, first 2 shown]
	s_delay_alu instid0(VALU_DEP_3) | instskip(NEXT) | instid1(VALU_DEP_3)
	v_and_b32_e32 v21, v64, v51
	v_and_b32_e32 v23, v65, v51
	s_delay_alu instid0(VALU_DEP_1)
	v_cmp_le_u32_e64 s14, v21, v23
	s_and_b32 s13, s13, s14
	s_wait_alu 0xfffe
	s_or_b32 s13, s15, s13
	s_wait_alu 0xfffe
	v_cndmask_b32_e64 v28, v8, v5, s13
	v_cndmask_b32_e64 v21, v54, v53, s13
	;; [unrolled: 1-line block ×3, first 2 shown]
	s_delay_alu instid0(VALU_DEP_3) | instskip(NEXT) | instid1(VALU_DEP_3)
	v_add_nc_u32_e32 v22, 1, v28
	v_add_nc_u32_e32 v21, -1, v21
	s_delay_alu instid0(VALU_DEP_2) | instskip(NEXT) | instid1(VALU_DEP_2)
	v_cndmask_b32_e64 v5, v5, v22, s13
	v_min_u32_e32 v21, v22, v21
	v_cndmask_b32_e64 v8, v22, v8, s13
	s_delay_alu instid0(VALU_DEP_3) | instskip(NEXT) | instid1(VALU_DEP_3)
	v_cmp_lt_u32_e64 s14, v5, v53
	v_lshl_add_u32 v21, v21, 2, v11
	s_delay_alu instid0(VALU_DEP_3) | instskip(SKIP_4) | instid1(VALU_DEP_2)
	v_cmp_ge_u32_e64 s16, v8, v54
	ds_load_b32 v21, v21
	s_wait_dscnt 0x0
	v_cndmask_b32_e64 v66, v21, v64, s13
	v_cndmask_b32_e64 v67, v65, v21, s13
	v_and_b32_e32 v21, v66, v51
	s_delay_alu instid0(VALU_DEP_2) | instskip(NEXT) | instid1(VALU_DEP_1)
	v_and_b32_e32 v23, v67, v51
	v_cmp_le_u32_e64 s15, v21, v23
	s_and_b32 s14, s14, s15
	s_wait_alu 0xfffe
	s_or_b32 s14, s16, s14
	s_wait_alu 0xfffe
	v_cndmask_b32_e64 v29, v8, v5, s14
	v_cndmask_b32_e64 v21, v54, v53, s14
	s_delay_alu instid0(VALU_DEP_2) | instskip(NEXT) | instid1(VALU_DEP_2)
	v_add_nc_u32_e32 v22, 1, v29
	v_add_nc_u32_e32 v21, -1, v21
	s_delay_alu instid0(VALU_DEP_2) | instskip(NEXT) | instid1(VALU_DEP_2)
	v_cndmask_b32_e64 v5, v5, v22, s14
	v_min_u32_e32 v21, v22, v21
	v_cndmask_b32_e64 v8, v22, v8, s14
	s_delay_alu instid0(VALU_DEP_3) | instskip(NEXT) | instid1(VALU_DEP_3)
	v_cmp_lt_u32_e64 s15, v5, v53
	v_lshl_add_u32 v21, v21, 2, v11
	s_delay_alu instid0(VALU_DEP_3) | instskip(SKIP_4) | instid1(VALU_DEP_2)
	v_cmp_ge_u32_e64 s17, v8, v54
	ds_load_b32 v21, v21
	s_wait_dscnt 0x0
	v_cndmask_b32_e64 v68, v21, v66, s14
	v_cndmask_b32_e64 v69, v67, v21, s14
	v_and_b32_e32 v21, v68, v51
	s_delay_alu instid0(VALU_DEP_2) | instskip(NEXT) | instid1(VALU_DEP_1)
	v_and_b32_e32 v23, v69, v51
	v_cmp_le_u32_e64 s16, v21, v23
	s_and_b32 s15, s15, s16
	s_wait_alu 0xfffe
	s_or_b32 s15, s17, s15
	s_wait_alu 0xfffe
	v_cndmask_b32_e64 v30, v8, v5, s15
	v_cndmask_b32_e64 v21, v54, v53, s15
	;; [unrolled: 1-line block ×3, first 2 shown]
	s_delay_alu instid0(VALU_DEP_3) | instskip(NEXT) | instid1(VALU_DEP_3)
	v_add_nc_u32_e32 v22, 1, v30
	v_add_nc_u32_e32 v21, -1, v21
	v_lshl_add_u32 v33, v30, 3, v10
	s_delay_alu instid0(VALU_DEP_3) | instskip(NEXT) | instid1(VALU_DEP_3)
	v_cndmask_b32_e64 v32, v5, v22, s15
	v_min_u32_e32 v21, v22, v21
	v_cndmask_b32_e64 v8, v22, v8, s15
	s_delay_alu instid0(VALU_DEP_3) | instskip(NEXT) | instid1(VALU_DEP_3)
	v_cmp_lt_u32_e64 s16, v32, v53
	v_lshl_add_u32 v21, v21, 2, v11
	s_delay_alu instid0(VALU_DEP_3) | instskip(SKIP_4) | instid1(VALU_DEP_2)
	v_cmp_ge_u32_e64 s18, v8, v54
	ds_load_b32 v21, v21
	s_wait_dscnt 0x0
	v_cndmask_b32_e64 v70, v21, v68, s15
	v_cndmask_b32_e64 v71, v69, v21, s15
	v_and_b32_e32 v5, v70, v51
	s_delay_alu instid0(VALU_DEP_2) | instskip(NEXT) | instid1(VALU_DEP_1)
	v_and_b32_e32 v21, v71, v51
	v_cmp_le_u32_e64 s17, v5, v21
	ds_load_b64 v[4:5], v4 offset:8192
	ds_load_b64 v[21:22], v9 offset:8192
	v_lshl_add_u32 v9, v27, 3, v10
	ds_load_b64 v[23:24], v20 offset:8192
	v_lshl_add_u32 v20, v28, 3, v10
	s_and_b32 s16, s16, s17
	s_wait_alu 0xfffe
	s_or_b32 s16, s18, s16
	s_wait_alu 0xfffe
	v_cndmask_b32_e64 v8, v8, v32, s16
	v_lshl_add_u32 v32, v29, 3, v10
	v_cndmask_b32_e64 v18, v70, v71, s16
	s_delay_alu instid0(VALU_DEP_3)
	v_lshl_add_u32 v53, v8, 3, v10
	ds_load_b64 v[27:28], v9 offset:8192
	ds_load_b64 v[29:30], v20 offset:8192
	;; [unrolled: 1-line block ×5, first 2 shown]
	v_cndmask_b32_e64 v20, v66, v67, s14
.LBB512_114:
	s_wait_alu 0xfffe
	s_or_b32 exec_lo, exec_lo, s20
	v_and_b32_e32 v54, 0x80, v49
	v_min_u32_e32 v50, v36, v50
	; wave barrier
	s_wait_dscnt 0x6
	ds_store_2addr_b64 v37, v[4:5], v[21:22] offset1:1
	s_wait_dscnt 0x5
	ds_store_2addr_b64 v38, v[23:24], v[27:28] offset1:1
	ds_store_2addr_b64 v31, v[15:16], v[25:26] offset1:1
	ds_store_2addr_b64 v31, v[19:20], v[17:18] offset0:2 offset1:3
	v_or_b32_e32 v49, 64, v54
	v_lshl_add_u32 v31, v54, 2, v11
	s_mov_b32 s10, exec_lo
	s_wait_dscnt 0x6
	ds_store_2addr_b64 v39, v[29:30], v[34:35] offset1:1
	s_wait_dscnt 0x5
	ds_store_2addr_b64 v52, v[8:9], v[32:33] offset1:1
	v_min_u32_e32 v53, v36, v49
	; wave barrier
	s_delay_alu instid0(VALU_DEP_1) | instskip(NEXT) | instid1(VALU_DEP_1)
	v_add_nc_u32_e32 v49, 64, v53
	v_min_u32_e32 v49, v36, v49
	v_sub_nc_u32_e32 v36, v53, v54
	s_delay_alu instid0(VALU_DEP_2) | instskip(NEXT) | instid1(VALU_DEP_2)
	v_sub_nc_u32_e32 v64, v49, v53
	v_min_u32_e32 v55, v50, v36
	s_delay_alu instid0(VALU_DEP_2) | instskip(NEXT) | instid1(VALU_DEP_1)
	v_sub_nc_u32_e64 v36, v50, v64 clamp
	v_cmpx_lt_u32_e64 v36, v55
	s_cbranch_execz .LBB512_118
; %bb.115:
	v_lshlrev_b32_e32 v37, 2, v53
	v_lshlrev_b32_e32 v38, 2, v50
	s_mov_b32 s11, 0
	s_delay_alu instid0(VALU_DEP_1)
	v_add3_u32 v37, v11, v37, v38
.LBB512_116:                            ; =>This Inner Loop Header: Depth=1
	v_add_nc_u32_e32 v38, v55, v36
	s_delay_alu instid0(VALU_DEP_1) | instskip(NEXT) | instid1(VALU_DEP_1)
	v_lshrrev_b32_e32 v38, 1, v38
	v_not_b32_e32 v39, v38
	v_lshl_add_u32 v52, v38, 2, v31
	v_add_nc_u32_e32 v64, 1, v38
	s_delay_alu instid0(VALU_DEP_3)
	v_lshl_add_u32 v39, v39, 2, v37
	ds_load_b32 v52, v52
	ds_load_b32 v39, v39
	s_wait_dscnt 0x1
	v_and_b32_e32 v52, v52, v51
	s_wait_dscnt 0x0
	v_and_b32_e32 v39, v39, v51
	s_delay_alu instid0(VALU_DEP_1) | instskip(SKIP_1) | instid1(VALU_DEP_1)
	v_cmp_gt_u32_e64 s7, v39, v52
	s_wait_alu 0xf1ff
	v_cndmask_b32_e64 v55, v55, v38, s7
	v_cndmask_b32_e64 v36, v64, v36, s7
	s_delay_alu instid0(VALU_DEP_1)
	v_cmp_ge_u32_e64 s7, v36, v55
	s_wait_alu 0xfffe
	s_or_b32 s11, s7, s11
	s_wait_alu 0xfffe
	s_and_not1_b32 exec_lo, exec_lo, s11
	s_cbranch_execnz .LBB512_116
; %bb.117:
	s_or_b32 exec_lo, exec_lo, s11
.LBB512_118:
	s_wait_alu 0xfffe
	s_or_b32 exec_lo, exec_lo, s10
	v_add_nc_u32_e32 v37, v53, v50
	v_add_nc_u32_e32 v38, v36, v54
	s_delay_alu instid0(VALU_DEP_2) | instskip(NEXT) | instid1(VALU_DEP_2)
	v_sub_nc_u32_e32 v37, v37, v36
	v_cmp_le_u32_e64 s7, v38, v53
	s_delay_alu instid0(VALU_DEP_2)
	v_cmp_le_u32_e64 s10, v37, v49
	s_or_b32 s7, s7, s10
	s_wait_alu 0xfffe
	s_and_saveexec_b32 s20, s7
	s_cbranch_execz .LBB512_124
; %bb.119:
	v_cmp_lt_u32_e64 s7, v38, v53
                                        ; implicit-def: $vgpr15
	s_and_saveexec_b32 s10, s7
; %bb.120:
	v_lshl_add_u32 v4, v36, 2, v31
	ds_load_b32 v15, v4
; %bb.121:
	s_wait_alu 0xfffe
	s_or_b32 exec_lo, exec_lo, s10
	v_cmp_ge_u32_e64 s10, v37, v49
	s_mov_b32 s12, exec_lo
                                        ; implicit-def: $vgpr16
	v_cmpx_lt_u32_e64 v37, v49
; %bb.122:
	v_lshl_add_u32 v4, v37, 2, v11
	ds_load_b32 v16, v4
; %bb.123:
	s_wait_alu 0xfffe
	s_or_b32 exec_lo, exec_lo, s12
	s_wait_dscnt 0x0
	v_and_b32_e32 v4, v16, v51
	v_and_b32_e32 v5, v15, v51
	s_delay_alu instid0(VALU_DEP_1)
	v_cmp_le_u32_e64 s11, v4, v5
	s_and_b32 s7, s7, s11
	s_wait_alu 0xfffe
	s_or_b32 s7, s10, s7
	s_wait_alu 0xfffe
	v_cndmask_b32_e64 v4, v37, v38, s7
	v_cndmask_b32_e64 v5, v49, v53, s7
	s_delay_alu instid0(VALU_DEP_2) | instskip(NEXT) | instid1(VALU_DEP_2)
	v_add_nc_u32_e32 v8, 1, v4
	v_add_nc_u32_e32 v5, -1, v5
	v_lshl_add_u32 v4, v4, 3, v10
	s_delay_alu instid0(VALU_DEP_2) | instskip(NEXT) | instid1(VALU_DEP_1)
	v_min_u32_e32 v5, v8, v5
	v_lshl_add_u32 v5, v5, 2, v11
	ds_load_b32 v5, v5
	s_wait_dscnt 0x0
	v_cndmask_b32_e64 v17, v5, v16, s7
	v_cndmask_b32_e64 v18, v15, v5, s7
	;; [unrolled: 1-line block ×5, first 2 shown]
	v_and_b32_e32 v9, v17, v51
	v_and_b32_e32 v19, v18, v51
	v_cmp_lt_u32_e64 s10, v5, v53
	v_cmp_ge_u32_e64 s12, v8, v49
	s_delay_alu instid0(VALU_DEP_3)
	v_cmp_le_u32_e64 s11, v9, v19
	s_and_b32 s10, s10, s11
	s_wait_alu 0xfffe
	s_or_b32 s10, s12, s10
	s_wait_alu 0xfffe
	v_cndmask_b32_e64 v9, v8, v5, s10
	v_cndmask_b32_e64 v19, v49, v53, s10
	;; [unrolled: 1-line block ×3, first 2 shown]
	s_delay_alu instid0(VALU_DEP_3) | instskip(NEXT) | instid1(VALU_DEP_3)
	v_add_nc_u32_e32 v20, 1, v9
	v_add_nc_u32_e32 v19, -1, v19
	v_lshl_add_u32 v9, v9, 3, v10
	s_delay_alu instid0(VALU_DEP_3) | instskip(NEXT) | instid1(VALU_DEP_3)
	v_cndmask_b32_e64 v5, v5, v20, s10
	v_min_u32_e32 v19, v20, v19
	v_cndmask_b32_e64 v8, v20, v8, s10
	s_delay_alu instid0(VALU_DEP_3) | instskip(NEXT) | instid1(VALU_DEP_3)
	v_cmp_lt_u32_e64 s11, v5, v53
	v_lshl_add_u32 v19, v19, 2, v11
	s_delay_alu instid0(VALU_DEP_3) | instskip(SKIP_4) | instid1(VALU_DEP_2)
	v_cmp_ge_u32_e64 s13, v8, v49
	ds_load_b32 v19, v19
	s_wait_dscnt 0x0
	v_cndmask_b32_e64 v25, v19, v17, s10
	v_cndmask_b32_e64 v19, v18, v19, s10
	v_and_b32_e32 v21, v25, v51
	s_delay_alu instid0(VALU_DEP_2) | instskip(NEXT) | instid1(VALU_DEP_1)
	v_and_b32_e32 v22, v19, v51
	v_cmp_le_u32_e64 s12, v21, v22
	s_and_b32 s11, s11, s12
	s_wait_alu 0xfffe
	s_or_b32 s11, s13, s11
	s_wait_alu 0xfffe
	v_cndmask_b32_e64 v20, v8, v5, s11
	v_cndmask_b32_e64 v21, v49, v53, s11
	s_delay_alu instid0(VALU_DEP_2) | instskip(NEXT) | instid1(VALU_DEP_2)
	v_add_nc_u32_e32 v22, 1, v20
	v_add_nc_u32_e32 v21, -1, v21
	v_lshl_add_u32 v20, v20, 3, v10
	s_delay_alu instid0(VALU_DEP_3) | instskip(NEXT) | instid1(VALU_DEP_3)
	v_cndmask_b32_e64 v5, v5, v22, s11
	v_min_u32_e32 v21, v22, v21
	v_cndmask_b32_e64 v8, v22, v8, s11
	s_delay_alu instid0(VALU_DEP_3) | instskip(NEXT) | instid1(VALU_DEP_3)
	v_cmp_lt_u32_e64 s12, v5, v53
	v_lshl_add_u32 v21, v21, 2, v11
	s_delay_alu instid0(VALU_DEP_3)
	v_cmp_ge_u32_e64 s14, v8, v49
	ds_load_b32 v21, v21
	s_wait_dscnt 0x0
	v_cndmask_b32_e64 v26, v21, v25, s11
	v_cndmask_b32_e64 v31, v19, v21, s11
	;; [unrolled: 1-line block ×3, first 2 shown]
	s_delay_alu instid0(VALU_DEP_3) | instskip(NEXT) | instid1(VALU_DEP_3)
	v_and_b32_e32 v21, v26, v51
	v_and_b32_e32 v23, v31, v51
	s_delay_alu instid0(VALU_DEP_1)
	v_cmp_le_u32_e64 s13, v21, v23
	s_and_b32 s12, s12, s13
	s_wait_alu 0xfffe
	s_or_b32 s12, s14, s12
	s_wait_alu 0xfffe
	v_cndmask_b32_e64 v27, v8, v5, s12
	v_cndmask_b32_e64 v21, v49, v53, s12
	s_delay_alu instid0(VALU_DEP_2) | instskip(NEXT) | instid1(VALU_DEP_2)
	v_add_nc_u32_e32 v22, 1, v27
	v_add_nc_u32_e32 v21, -1, v21
	s_delay_alu instid0(VALU_DEP_2) | instskip(NEXT) | instid1(VALU_DEP_2)
	v_cndmask_b32_e64 v5, v5, v22, s12
	v_min_u32_e32 v21, v22, v21
	v_cndmask_b32_e64 v8, v22, v8, s12
	s_delay_alu instid0(VALU_DEP_3) | instskip(NEXT) | instid1(VALU_DEP_3)
	v_cmp_lt_u32_e64 s13, v5, v53
	v_lshl_add_u32 v21, v21, 2, v11
	s_delay_alu instid0(VALU_DEP_3)
	v_cmp_ge_u32_e64 s15, v8, v49
	ds_load_b32 v21, v21
	s_wait_dscnt 0x0
	v_cndmask_b32_e64 v36, v21, v26, s12
	v_cndmask_b32_e64 v37, v31, v21, s12
	;; [unrolled: 1-line block ×3, first 2 shown]
	s_delay_alu instid0(VALU_DEP_3) | instskip(NEXT) | instid1(VALU_DEP_3)
	v_and_b32_e32 v21, v36, v51
	v_and_b32_e32 v23, v37, v51
	s_delay_alu instid0(VALU_DEP_1)
	v_cmp_le_u32_e64 s14, v21, v23
	s_and_b32 s13, s13, s14
	s_wait_alu 0xfffe
	s_or_b32 s13, s15, s13
	s_wait_alu 0xfffe
	v_cndmask_b32_e64 v28, v8, v5, s13
	v_cndmask_b32_e64 v21, v49, v53, s13
	v_cndmask_b32_e64 v19, v36, v37, s13
	s_delay_alu instid0(VALU_DEP_3) | instskip(NEXT) | instid1(VALU_DEP_3)
	v_add_nc_u32_e32 v22, 1, v28
	v_add_nc_u32_e32 v21, -1, v21
	s_delay_alu instid0(VALU_DEP_2) | instskip(NEXT) | instid1(VALU_DEP_2)
	v_cndmask_b32_e64 v5, v5, v22, s13
	v_min_u32_e32 v21, v22, v21
	v_cndmask_b32_e64 v8, v22, v8, s13
	s_delay_alu instid0(VALU_DEP_3) | instskip(NEXT) | instid1(VALU_DEP_3)
	v_cmp_lt_u32_e64 s14, v5, v53
	v_lshl_add_u32 v21, v21, 2, v11
	s_delay_alu instid0(VALU_DEP_3) | instskip(SKIP_4) | instid1(VALU_DEP_2)
	v_cmp_ge_u32_e64 s16, v8, v49
	ds_load_b32 v21, v21
	s_wait_dscnt 0x0
	v_cndmask_b32_e64 v38, v21, v36, s13
	v_cndmask_b32_e64 v39, v37, v21, s13
	v_and_b32_e32 v21, v38, v51
	s_delay_alu instid0(VALU_DEP_2) | instskip(NEXT) | instid1(VALU_DEP_1)
	v_and_b32_e32 v23, v39, v51
	v_cmp_le_u32_e64 s15, v21, v23
	s_and_b32 s14, s14, s15
	s_wait_alu 0xfffe
	s_or_b32 s14, s16, s14
	s_wait_alu 0xfffe
	v_cndmask_b32_e64 v29, v8, v5, s14
	v_cndmask_b32_e64 v21, v49, v53, s14
	s_delay_alu instid0(VALU_DEP_2) | instskip(NEXT) | instid1(VALU_DEP_2)
	v_add_nc_u32_e32 v22, 1, v29
	v_add_nc_u32_e32 v21, -1, v21
	s_delay_alu instid0(VALU_DEP_2) | instskip(NEXT) | instid1(VALU_DEP_2)
	v_cndmask_b32_e64 v5, v5, v22, s14
	v_min_u32_e32 v21, v22, v21
	v_cndmask_b32_e64 v8, v22, v8, s14
	s_delay_alu instid0(VALU_DEP_3) | instskip(NEXT) | instid1(VALU_DEP_3)
	v_cmp_lt_u32_e64 s15, v5, v53
	v_lshl_add_u32 v21, v21, 2, v11
	s_delay_alu instid0(VALU_DEP_3) | instskip(SKIP_4) | instid1(VALU_DEP_2)
	v_cmp_ge_u32_e64 s17, v8, v49
	ds_load_b32 v21, v21
	s_wait_dscnt 0x0
	v_cndmask_b32_e64 v50, v21, v38, s14
	v_cndmask_b32_e64 v52, v39, v21, s14
	v_and_b32_e32 v21, v50, v51
	s_delay_alu instid0(VALU_DEP_2) | instskip(NEXT) | instid1(VALU_DEP_1)
	v_and_b32_e32 v23, v52, v51
	v_cmp_le_u32_e64 s16, v21, v23
	s_and_b32 s15, s15, s16
	s_wait_alu 0xfffe
	s_or_b32 s15, s17, s15
	s_wait_alu 0xfffe
	v_cndmask_b32_e64 v30, v8, v5, s15
	v_cndmask_b32_e64 v21, v49, v53, s15
	;; [unrolled: 1-line block ×3, first 2 shown]
	s_delay_alu instid0(VALU_DEP_3) | instskip(NEXT) | instid1(VALU_DEP_3)
	v_add_nc_u32_e32 v22, 1, v30
	v_add_nc_u32_e32 v21, -1, v21
	v_lshl_add_u32 v33, v30, 3, v10
	s_delay_alu instid0(VALU_DEP_3) | instskip(NEXT) | instid1(VALU_DEP_3)
	v_cndmask_b32_e64 v32, v5, v22, s15
	v_min_u32_e32 v21, v22, v21
	v_cndmask_b32_e64 v8, v22, v8, s15
	s_delay_alu instid0(VALU_DEP_3) | instskip(NEXT) | instid1(VALU_DEP_3)
	v_cmp_lt_u32_e64 s16, v32, v53
	v_lshl_add_u32 v11, v21, 2, v11
	s_delay_alu instid0(VALU_DEP_3) | instskip(SKIP_4) | instid1(VALU_DEP_2)
	v_cmp_ge_u32_e64 s18, v8, v49
	ds_load_b32 v11, v11
	s_wait_dscnt 0x0
	v_cndmask_b32_e64 v54, v11, v50, s15
	v_cndmask_b32_e64 v11, v52, v11, s15
	v_and_b32_e32 v5, v54, v51
	s_delay_alu instid0(VALU_DEP_2) | instskip(NEXT) | instid1(VALU_DEP_1)
	v_and_b32_e32 v21, v11, v51
	v_cmp_le_u32_e64 s17, v5, v21
	ds_load_b64 v[4:5], v4 offset:8192
	ds_load_b64 v[21:22], v9 offset:8192
	v_lshl_add_u32 v9, v27, 3, v10
	ds_load_b64 v[23:24], v20 offset:8192
	v_lshl_add_u32 v20, v28, 3, v10
	s_and_b32 s16, s16, s17
	s_wait_alu 0xfffe
	s_or_b32 s16, s18, s16
	s_wait_alu 0xfffe
	v_cndmask_b32_e64 v8, v8, v32, s16
	v_lshl_add_u32 v32, v29, 3, v10
	v_cndmask_b32_e64 v18, v54, v11, s16
	s_delay_alu instid0(VALU_DEP_3)
	v_lshl_add_u32 v10, v8, 3, v10
	ds_load_b64 v[27:28], v9 offset:8192
	ds_load_b64 v[29:30], v20 offset:8192
	;; [unrolled: 1-line block ×5, first 2 shown]
	v_cndmask_b32_e64 v20, v38, v39, s14
.LBB512_124:
	s_wait_alu 0xfffe
	s_or_b32 exec_lo, exec_lo, s20
	; wave barrier
	s_wait_storecnt_dscnt 0x0
	s_barrier_signal -1
	s_barrier_wait -1
                                        ; implicit-def: $vgpr49
                                        ; implicit-def: $vgpr50
                                        ; implicit-def: $vgpr36
                                        ; implicit-def: $vgpr37
                                        ; implicit-def: $vgpr31
.LBB512_125:
	s_wait_alu 0xfffe
	s_and_not1_saveexec_b32 s17, s19
	s_cbranch_execz .LBB512_225
; %bb.126:
	s_load_b64 s[10:11], s[8:9], 0x0
	s_and_b32 s7, ttmp7, 0xffff
	s_mov_b32 s13, 0
	s_wait_kmcnt 0x0
	s_wait_alu 0xfffe
	s_cmp_lt_u32 s7, s11
	s_cselect_b32 s12, 14, 20
	s_cmp_lt_u32 ttmp9, s10
	s_wait_alu 0xfffe
	s_add_nc_u64 s[14:15], s[8:9], s[12:13]
	s_cselect_b32 s12, 12, 18
	s_load_u16 s7, s[14:15], 0x0
	s_add_nc_u64 s[8:9], s[8:9], s[12:13]
	s_load_u16 s8, s[8:9], 0x0
	s_wait_kmcnt 0x0
	v_mad_u32_u24 v10, v37, s7, v36
	s_delay_alu instid0(VALU_DEP_1) | instskip(SKIP_1) | instid1(VALU_DEP_1)
	v_mul_lo_u32 v10, v10, s8
	s_mov_b32 s8, exec_lo
	v_add_lshl_u32 v51, v10, v31, 3
	s_delay_alu instid0(VALU_DEP_1)
	v_cmpx_gt_u32_e32 0x800, v51
	s_cbranch_execz .LBB512_184
; %bb.127:
	s_wait_loadcnt_dscnt 0x0
	v_mov_b32_e32 v37, v22
	v_dual_mov_b32 v31, v16 :: v_dual_mov_b32 v36, v21
	s_mov_b32 s9, exec_lo
	v_cmpx_gt_i32_e64 v16, v15
; %bb.128:
	v_mov_b32_e32 v37, v5
	v_dual_mov_b32 v31, v15 :: v_dual_mov_b32 v36, v4
	v_dual_mov_b32 v15, v16 :: v_dual_mov_b32 v4, v21
	v_mov_b32_e32 v5, v22
; %bb.129:
	s_wait_alu 0xfffe
	s_or_b32 exec_lo, exec_lo, s9
	v_dual_mov_b32 v16, v26 :: v_dual_mov_b32 v39, v28
	v_mov_b32_e32 v38, v27
	s_mov_b32 s9, exec_lo
	v_cmpx_gt_i32_e64 v26, v25
; %bb.130:
	v_dual_mov_b32 v16, v25 :: v_dual_mov_b32 v25, v26
	v_dual_mov_b32 v39, v24 :: v_dual_mov_b32 v38, v23
	;; [unrolled: 1-line block ×3, first 2 shown]
; %bb.131:
	s_wait_alu 0xfffe
	s_or_b32 exec_lo, exec_lo, s9
	v_dual_mov_b32 v21, v34 :: v_dual_mov_b32 v22, v35
	v_mov_b32_e32 v54, v19
	s_mov_b32 s9, exec_lo
	v_cmpx_gt_i32_e64 v20, v19
; %bb.132:
	v_dual_mov_b32 v21, v29 :: v_dual_mov_b32 v22, v30
	v_dual_mov_b32 v29, v34 :: v_dual_mov_b32 v30, v35
	v_mov_b32_e32 v54, v20
	v_mov_b32_e32 v20, v19
; %bb.133:
	s_wait_alu 0xfffe
	s_or_b32 exec_lo, exec_lo, s9
	v_dual_mov_b32 v10, v32 :: v_dual_mov_b32 v11, v33
	v_mov_b32_e32 v52, v17
	s_mov_b32 s9, exec_lo
	v_cmpx_gt_i32_e64 v18, v17
; %bb.134:
	v_dual_mov_b32 v11, v9 :: v_dual_mov_b32 v10, v8
	v_dual_mov_b32 v8, v32 :: v_dual_mov_b32 v9, v33
	v_mov_b32_e32 v52, v18
	v_mov_b32_e32 v18, v17
; %bb.135:
	s_wait_alu 0xfffe
	s_or_b32 exec_lo, exec_lo, s9
	v_dual_mov_b32 v34, v25 :: v_dual_mov_b32 v27, v24
	v_cmp_gt_i32_e64 s7, v25, v31
	v_mov_b32_e32 v26, v23
	s_and_saveexec_b32 s9, s7
	s_wait_alu 0xfffe
	s_xor_b32 s7, exec_lo, s9
; %bb.136:
	v_dual_mov_b32 v34, v31 :: v_dual_mov_b32 v31, v25
	v_dual_mov_b32 v26, v36 :: v_dual_mov_b32 v27, v37
	;; [unrolled: 1-line block ×3, first 2 shown]
; %bb.137:
	s_wait_alu 0xfffe
	s_or_b32 exec_lo, exec_lo, s7
	v_mov_b32_e32 v23, v29
	v_dual_mov_b32 v19, v16 :: v_dual_mov_b32 v24, v30
	s_mov_b32 s9, exec_lo
	v_cmpx_gt_i32_e64 v54, v16
; %bb.138:
	v_mov_b32_e32 v23, v38
	v_dual_mov_b32 v19, v54 :: v_dual_mov_b32 v24, v39
	v_dual_mov_b32 v39, v30 :: v_dual_mov_b32 v54, v16
	v_mov_b32_e32 v38, v29
; %bb.139:
	s_wait_alu 0xfffe
	s_or_b32 exec_lo, exec_lo, s9
	v_dual_mov_b32 v17, v9 :: v_dual_mov_b32 v16, v8
	v_mov_b32_e32 v53, v20
	s_mov_b32 s9, exec_lo
	v_cmpx_gt_i32_e64 v52, v20
; %bb.140:
	v_dual_mov_b32 v16, v21 :: v_dual_mov_b32 v17, v22
	v_dual_mov_b32 v22, v9 :: v_dual_mov_b32 v21, v8
	;; [unrolled: 1-line block ×3, first 2 shown]
; %bb.141:
	s_wait_alu 0xfffe
	s_or_b32 exec_lo, exec_lo, s9
	v_dual_mov_b32 v35, v31 :: v_dual_mov_b32 v28, v36
	v_mov_b32_e32 v29, v37
	s_mov_b32 s9, exec_lo
	v_cmpx_gt_i32_e64 v31, v15
; %bb.142:
	v_mov_b32_e32 v29, v5
	v_dual_mov_b32 v35, v15 :: v_dual_mov_b32 v28, v4
	v_dual_mov_b32 v15, v31 :: v_dual_mov_b32 v4, v36
	v_mov_b32_e32 v5, v37
; %bb.143:
	s_wait_alu 0xfffe
	s_or_b32 exec_lo, exec_lo, s9
	v_mov_b32_e32 v30, v38
	v_dual_mov_b32 v36, v19 :: v_dual_mov_b32 v31, v39
	s_mov_b32 s9, exec_lo
	v_cmpx_gt_i32_e64 v19, v34
; %bb.144:
	v_dual_mov_b32 v36, v34 :: v_dual_mov_b32 v31, v27
	v_mov_b32_e32 v30, v26
	v_mov_b32_e32 v26, v38
	v_dual_mov_b32 v34, v19 :: v_dual_mov_b32 v27, v39
; %bb.145:
	s_wait_alu 0xfffe
	s_or_b32 exec_lo, exec_lo, s9
	v_dual_mov_b32 v19, v21 :: v_dual_mov_b32 v20, v22
	v_mov_b32_e32 v55, v54
	s_mov_b32 s9, exec_lo
	v_cmpx_gt_i32_e64 v53, v54
; %bb.146:
	v_dual_mov_b32 v19, v23 :: v_dual_mov_b32 v20, v24
	v_dual_mov_b32 v24, v22 :: v_dual_mov_b32 v23, v21
	v_mov_b32_e32 v55, v53
	v_mov_b32_e32 v53, v54
; %bb.147:
	s_wait_alu 0xfffe
	s_or_b32 exec_lo, exec_lo, s9
	v_dual_mov_b32 v8, v10 :: v_dual_mov_b32 v9, v11
	v_mov_b32_e32 v54, v52
	s_mov_b32 s9, exec_lo
	v_cmpx_gt_i32_e64 v18, v52
; %bb.148:
	v_dual_mov_b32 v8, v16 :: v_dual_mov_b32 v9, v17
	v_dual_mov_b32 v17, v11 :: v_dual_mov_b32 v16, v10
	v_mov_b32_e32 v54, v18
	v_mov_b32_e32 v18, v52
; %bb.149:
	s_wait_alu 0xfffe
	s_or_b32 exec_lo, exec_lo, s9
	v_dual_mov_b32 v52, v34 :: v_dual_mov_b32 v33, v27
	v_mov_b32_e32 v32, v26
	s_mov_b32 s9, exec_lo
	v_cmpx_gt_i32_e64 v34, v35
; %bb.150:
	v_dual_mov_b32 v52, v35 :: v_dual_mov_b32 v35, v34
	v_dual_mov_b32 v33, v29 :: v_dual_mov_b32 v32, v28
	;; [unrolled: 1-line block ×3, first 2 shown]
; %bb.151:
	s_wait_alu 0xfffe
	s_or_b32 exec_lo, exec_lo, s9
	v_mov_b32_e32 v26, v24
	v_dual_mov_b32 v10, v36 :: v_dual_mov_b32 v25, v23
	s_mov_b32 s9, exec_lo
	v_cmpx_gt_i32_e64 v55, v36
; %bb.152:
	v_dual_mov_b32 v10, v55 :: v_dual_mov_b32 v25, v30
	v_dual_mov_b32 v26, v31 :: v_dual_mov_b32 v31, v24
	;; [unrolled: 1-line block ×3, first 2 shown]
; %bb.153:
	s_wait_alu 0xfffe
	s_or_b32 exec_lo, exec_lo, s9
	v_dual_mov_b32 v22, v17 :: v_dual_mov_b32 v21, v16
	v_mov_b32_e32 v27, v53
	s_mov_b32 s9, exec_lo
	v_cmpx_gt_i32_e64 v54, v53
; %bb.154:
	v_dual_mov_b32 v22, v20 :: v_dual_mov_b32 v21, v19
	v_dual_mov_b32 v20, v17 :: v_dual_mov_b32 v19, v16
	;; [unrolled: 1-line block ×3, first 2 shown]
; %bb.155:
	s_wait_alu 0xfffe
	s_or_b32 exec_lo, exec_lo, s9
	v_mov_b32_e32 v37, v29
	v_dual_mov_b32 v17, v35 :: v_dual_mov_b32 v36, v28
	s_mov_b32 s9, exec_lo
	v_cmpx_gt_i32_e64 v35, v15
; %bb.156:
	v_mov_b32_e32 v37, v5
	v_dual_mov_b32 v17, v15 :: v_dual_mov_b32 v36, v4
	v_dual_mov_b32 v15, v35 :: v_dual_mov_b32 v4, v28
	v_mov_b32_e32 v5, v29
; %bb.157:
	s_wait_alu 0xfffe
	s_or_b32 exec_lo, exec_lo, s9
	v_dual_mov_b32 v16, v10 :: v_dual_mov_b32 v39, v31
	v_mov_b32_e32 v38, v30
	s_mov_b32 s9, exec_lo
	v_cmpx_gt_i32_e64 v10, v52
; %bb.158:
	v_dual_mov_b32 v16, v52 :: v_dual_mov_b32 v39, v33
	v_mov_b32_e32 v52, v10
	v_dual_mov_b32 v38, v32 :: v_dual_mov_b32 v33, v31
	v_mov_b32_e32 v32, v30
; %bb.159:
	s_wait_alu 0xfffe
	s_or_b32 exec_lo, exec_lo, s9
	v_dual_mov_b32 v24, v20 :: v_dual_mov_b32 v23, v19
	v_mov_b32_e32 v64, v55
	s_mov_b32 s9, exec_lo
	v_cmpx_gt_i32_e64 v27, v55
; %bb.160:
	v_dual_mov_b32 v23, v25 :: v_dual_mov_b32 v24, v26
	v_dual_mov_b32 v26, v20 :: v_dual_mov_b32 v25, v19
	;; [unrolled: 1-line block ×3, first 2 shown]
; %bb.161:
	s_wait_alu 0xfffe
	s_or_b32 exec_lo, exec_lo, s9
	v_dual_mov_b32 v11, v9 :: v_dual_mov_b32 v10, v8
	v_mov_b32_e32 v53, v54
	s_mov_b32 s9, exec_lo
	v_cmpx_gt_i32_e64 v18, v54
; %bb.162:
	v_dual_mov_b32 v10, v21 :: v_dual_mov_b32 v11, v22
	v_dual_mov_b32 v22, v9 :: v_dual_mov_b32 v21, v8
	;; [unrolled: 1-line block ×3, first 2 shown]
; %bb.163:
	s_wait_alu 0xfffe
	s_or_b32 exec_lo, exec_lo, s9
	v_mov_b32_e32 v29, v32
	v_dual_mov_b32 v31, v52 :: v_dual_mov_b32 v30, v33
	s_mov_b32 s9, exec_lo
	v_cmpx_gt_i32_e64 v52, v17
; %bb.164:
	v_mov_b32_e32 v29, v36
	v_dual_mov_b32 v31, v17 :: v_dual_mov_b32 v30, v37
	v_mov_b32_e32 v37, v33
	v_dual_mov_b32 v17, v52 :: v_dual_mov_b32 v36, v32
; %bb.165:
	s_wait_alu 0xfffe
	s_or_b32 exec_lo, exec_lo, s9
	v_mov_b32_e32 v35, v26
	v_dual_mov_b32 v19, v16 :: v_dual_mov_b32 v34, v25
	s_mov_b32 s9, exec_lo
	v_cmpx_gt_i32_e64 v64, v16
; %bb.166:
	v_dual_mov_b32 v19, v64 :: v_dual_mov_b32 v34, v38
	v_mov_b32_e32 v35, v39
	v_dual_mov_b32 v39, v26 :: v_dual_mov_b32 v64, v16
	v_mov_b32_e32 v38, v25
; %bb.167:
	s_wait_alu 0xfffe
	s_or_b32 exec_lo, exec_lo, s9
	v_dual_mov_b32 v8, v21 :: v_dual_mov_b32 v9, v22
	v_mov_b32_e32 v20, v27
	s_mov_b32 s9, exec_lo
	v_cmpx_gt_i32_e64 v53, v27
; %bb.168:
	v_dual_mov_b32 v8, v23 :: v_dual_mov_b32 v9, v24
	v_dual_mov_b32 v24, v22 :: v_dual_mov_b32 v23, v21
	;; [unrolled: 1-line block ×3, first 2 shown]
; %bb.169:
	s_wait_alu 0xfffe
	s_or_b32 exec_lo, exec_lo, s9
	v_dual_mov_b32 v16, v17 :: v_dual_mov_b32 v21, v36
	v_mov_b32_e32 v22, v37
	s_mov_b32 s9, exec_lo
	v_cmpx_gt_i32_e64 v17, v15
; %bb.170:
	v_dual_mov_b32 v16, v15 :: v_dual_mov_b32 v15, v17
	v_dual_mov_b32 v22, v5 :: v_dual_mov_b32 v21, v4
	;; [unrolled: 1-line block ×3, first 2 shown]
; %bb.171:
	s_wait_alu 0xfffe
	s_or_b32 exec_lo, exec_lo, s9
	v_mov_b32_e32 v27, v38
	v_dual_mov_b32 v17, v19 :: v_dual_mov_b32 v28, v39
	s_mov_b32 s9, exec_lo
	v_cmpx_gt_i32_e64 v19, v31
; %bb.172:
	v_mov_b32_e32 v27, v29
	v_dual_mov_b32 v17, v31 :: v_dual_mov_b32 v28, v30
	v_mov_b32_e32 v29, v38
	v_dual_mov_b32 v31, v19 :: v_dual_mov_b32 v30, v39
; %bb.173:
	s_wait_alu 0xfffe
	s_or_b32 exec_lo, exec_lo, s9
	v_dual_mov_b32 v37, v24 :: v_dual_mov_b32 v36, v23
	v_mov_b32_e32 v19, v64
	s_mov_b32 s9, exec_lo
	v_cmpx_gt_i32_e64 v20, v64
; %bb.174:
	v_dual_mov_b32 v37, v35 :: v_dual_mov_b32 v36, v34
	v_dual_mov_b32 v35, v24 :: v_dual_mov_b32 v34, v23
	;; [unrolled: 1-line block ×3, first 2 shown]
; %bb.175:
	s_wait_alu 0xfffe
	s_or_b32 exec_lo, exec_lo, s9
	v_dual_mov_b32 v33, v11 :: v_dual_mov_b32 v32, v10
	v_mov_b32_e32 v38, v53
	s_mov_b32 s9, exec_lo
	v_cmpx_gt_i32_e64 v18, v53
; %bb.176:
	v_dual_mov_b32 v33, v9 :: v_dual_mov_b32 v32, v8
	v_dual_mov_b32 v8, v10 :: v_dual_mov_b32 v9, v11
	v_mov_b32_e32 v38, v18
	v_mov_b32_e32 v18, v53
; %bb.177:
	s_wait_alu 0xfffe
	s_or_b32 exec_lo, exec_lo, s9
	v_mov_b32_e32 v23, v29
	v_dual_mov_b32 v25, v31 :: v_dual_mov_b32 v24, v30
	s_mov_b32 s9, exec_lo
	v_cmpx_gt_i32_e64 v31, v16
; %bb.178:
	v_dual_mov_b32 v25, v16 :: v_dual_mov_b32 v16, v31
	v_dual_mov_b32 v24, v22 :: v_dual_mov_b32 v23, v21
	;; [unrolled: 1-line block ×3, first 2 shown]
; %bb.179:
	s_wait_alu 0xfffe
	s_or_b32 exec_lo, exec_lo, s9
	v_dual_mov_b32 v26, v17 :: v_dual_mov_b32 v29, v34
	v_mov_b32_e32 v30, v35
	s_mov_b32 s9, exec_lo
	v_cmpx_gt_i32_e64 v19, v17
; %bb.180:
	v_mov_b32_e32 v30, v28
	v_dual_mov_b32 v26, v19 :: v_dual_mov_b32 v29, v27
	v_dual_mov_b32 v27, v34 :: v_dual_mov_b32 v28, v35
	v_mov_b32_e32 v19, v17
; %bb.181:
	s_wait_alu 0xfffe
	s_or_b32 exec_lo, exec_lo, s9
	v_dual_mov_b32 v17, v38 :: v_dual_mov_b32 v34, v36
	v_mov_b32_e32 v35, v37
	s_mov_b32 s9, exec_lo
	v_cmpx_gt_i32_e64 v38, v20
; %bb.182:
	v_dual_mov_b32 v17, v20 :: v_dual_mov_b32 v20, v38
	v_dual_mov_b32 v35, v9 :: v_dual_mov_b32 v34, v8
	v_dual_mov_b32 v8, v36 :: v_dual_mov_b32 v9, v37
; %bb.183:
	s_wait_alu 0xfffe
	s_or_b32 exec_lo, exec_lo, s9
.LBB512_184:
	s_wait_alu 0xfffe
	s_or_b32 exec_lo, exec_lo, s8
	v_and_b32_e32 v10, 0xffffff00, v51
	v_or_b32_e32 v31, 8, v49
	v_and_b32_e32 v37, 8, v49
	v_and_b32_e32 v64, 0xf0, v49
	s_mov_b32 s8, exec_lo
	v_sub_nc_u32_e64 v36, 0x800, v10 clamp
	v_lshlrev_b32_e32 v11, 2, v10
	s_delay_alu instid0(VALU_DEP_2) | instskip(NEXT) | instid1(VALU_DEP_2)
	v_min_u32_e32 v52, v36, v31
	v_add_nc_u32_e32 v10, v11, v11
	v_min_u32_e32 v65, v36, v37
	s_delay_alu instid0(VALU_DEP_3) | instskip(NEXT) | instid1(VALU_DEP_3)
	v_add_nc_u32_e32 v31, 8, v52
	v_lshl_add_u32 v51, v49, 3, v10
	v_sub_nc_u32_e32 v55, v52, v64
	s_delay_alu instid0(VALU_DEP_3) | instskip(SKIP_1) | instid1(VALU_DEP_4)
	v_min_u32_e32 v53, v36, v31
	v_lshl_or_b32 v31, v49, 2, v11
	v_add_nc_u32_e32 v37, 0x2000, v51
	v_add_nc_u32_e32 v38, 0x2010, v51
	;; [unrolled: 1-line block ×3, first 2 shown]
	v_sub_nc_u32_e32 v54, v53, v52
	v_min_u32_e32 v66, v65, v55
	v_add_nc_u32_e32 v51, 0x2030, v51
	v_lshl_or_b32 v55, v64, 2, v11
	s_wait_loadcnt_dscnt 0x0
	ds_store_2addr_b64 v37, v[4:5], v[21:22] offset1:1
	ds_store_2addr_b64 v38, v[23:24], v[27:28] offset1:1
	v_sub_nc_u32_e64 v54, v65, v54 clamp
	ds_store_2addr_b64 v31, v[15:16], v[25:26] offset1:1
	ds_store_2addr_b64 v31, v[19:20], v[17:18] offset0:2 offset1:3
	ds_store_2addr_b64 v39, v[29:30], v[34:35] offset1:1
	ds_store_2addr_b64 v51, v[8:9], v[32:33] offset1:1
	; wave barrier
	v_cmpx_lt_u32_e64 v54, v66
	s_cbranch_execz .LBB512_188
; %bb.185:
	v_lshlrev_b32_e32 v67, 2, v52
	v_lshlrev_b32_e32 v68, 2, v65
	s_mov_b32 s9, 0
	s_delay_alu instid0(VALU_DEP_1)
	v_add3_u32 v67, v11, v67, v68
.LBB512_186:                            ; =>This Inner Loop Header: Depth=1
	v_add_nc_u32_e32 v68, v66, v54
	s_delay_alu instid0(VALU_DEP_1) | instskip(NEXT) | instid1(VALU_DEP_1)
	v_lshrrev_b32_e32 v68, 1, v68
	v_not_b32_e32 v69, v68
	v_lshl_add_u32 v70, v68, 2, v55
	v_add_nc_u32_e32 v71, 1, v68
	s_delay_alu instid0(VALU_DEP_3)
	v_lshl_add_u32 v69, v69, 2, v67
	ds_load_b32 v70, v70
	ds_load_b32 v69, v69
	s_wait_dscnt 0x0
	v_cmp_gt_i32_e64 s7, v69, v70
	s_wait_alu 0xf1ff
	s_delay_alu instid0(VALU_DEP_1) | instskip(SKIP_1) | instid1(VALU_DEP_1)
	v_cndmask_b32_e64 v66, v66, v68, s7
	v_cndmask_b32_e64 v54, v71, v54, s7
	v_cmp_ge_u32_e64 s7, v54, v66
	s_wait_alu 0xfffe
	s_or_b32 s9, s7, s9
	s_wait_alu 0xfffe
	s_and_not1_b32 exec_lo, exec_lo, s9
	s_cbranch_execnz .LBB512_186
; %bb.187:
	s_or_b32 exec_lo, exec_lo, s9
.LBB512_188:
	s_wait_alu 0xfffe
	s_or_b32 exec_lo, exec_lo, s8
	v_add_nc_u32_e32 v66, v52, v65
	v_add_nc_u32_e32 v65, v54, v64
	s_delay_alu instid0(VALU_DEP_2) | instskip(NEXT) | instid1(VALU_DEP_2)
	v_sub_nc_u32_e32 v64, v66, v54
	v_cmp_le_u32_e64 s7, v65, v52
	s_delay_alu instid0(VALU_DEP_2)
	v_cmp_le_u32_e64 s8, v64, v53
	s_or_b32 s7, s7, s8
	s_wait_alu 0xfffe
	s_and_saveexec_b32 s18, s7
	s_cbranch_execz .LBB512_194
; %bb.189:
	v_cmp_lt_u32_e64 s7, v65, v52
                                        ; implicit-def: $vgpr15
	s_and_saveexec_b32 s8, s7
; %bb.190:
	v_lshl_add_u32 v4, v54, 2, v55
	ds_load_b32 v15, v4
; %bb.191:
	s_wait_alu 0xfffe
	s_or_b32 exec_lo, exec_lo, s8
	v_cmp_ge_u32_e64 s8, v64, v53
	s_mov_b32 s10, exec_lo
                                        ; implicit-def: $vgpr16
	v_cmpx_lt_u32_e64 v64, v53
; %bb.192:
	v_lshl_add_u32 v4, v64, 2, v11
	ds_load_b32 v16, v4
; %bb.193:
	s_wait_alu 0xfffe
	s_or_b32 exec_lo, exec_lo, s10
	s_wait_dscnt 0x0
	v_cmp_le_i32_e64 s9, v16, v15
	s_and_b32 s7, s7, s9
	s_wait_alu 0xfffe
	s_or_b32 s7, s8, s7
	s_wait_alu 0xfffe
	v_cndmask_b32_e64 v4, v64, v65, s7
	v_cndmask_b32_e64 v5, v53, v52, s7
	s_delay_alu instid0(VALU_DEP_2) | instskip(NEXT) | instid1(VALU_DEP_2)
	v_add_nc_u32_e32 v8, 1, v4
	v_add_nc_u32_e32 v5, -1, v5
	v_lshl_add_u32 v4, v4, 3, v10
	s_delay_alu instid0(VALU_DEP_3) | instskip(NEXT) | instid1(VALU_DEP_3)
	v_cndmask_b32_e64 v9, v65, v8, s7
	v_min_u32_e32 v5, v8, v5
	s_delay_alu instid0(VALU_DEP_2) | instskip(NEXT) | instid1(VALU_DEP_2)
	v_cmp_lt_u32_e64 s8, v9, v52
	v_lshl_add_u32 v5, v5, 2, v11
	ds_load_b32 v5, v5
	s_wait_dscnt 0x0
	v_cndmask_b32_e64 v17, v5, v16, s7
	v_cndmask_b32_e64 v18, v15, v5, s7
	;; [unrolled: 1-line block ×4, first 2 shown]
	s_delay_alu instid0(VALU_DEP_3) | instskip(NEXT) | instid1(VALU_DEP_3)
	v_cmp_le_i32_e64 s9, v17, v18
	v_cmp_ge_u32_e64 s10, v5, v53
	s_and_b32 s8, s8, s9
	s_wait_alu 0xfffe
	s_or_b32 s8, s10, s8
	s_wait_alu 0xfffe
	v_cndmask_b32_e64 v8, v5, v9, s8
	v_cndmask_b32_e64 v19, v53, v52, s8
	;; [unrolled: 1-line block ×3, first 2 shown]
	s_delay_alu instid0(VALU_DEP_3) | instskip(NEXT) | instid1(VALU_DEP_3)
	v_add_nc_u32_e32 v20, 1, v8
	v_add_nc_u32_e32 v19, -1, v19
	v_lshl_add_u32 v8, v8, 3, v10
	s_delay_alu instid0(VALU_DEP_3) | instskip(NEXT) | instid1(VALU_DEP_3)
	v_cndmask_b32_e64 v9, v9, v20, s8
	v_min_u32_e32 v19, v20, v19
	v_cndmask_b32_e64 v5, v20, v5, s8
	s_delay_alu instid0(VALU_DEP_3) | instskip(NEXT) | instid1(VALU_DEP_3)
	v_cmp_lt_u32_e64 s9, v9, v52
	v_lshl_add_u32 v19, v19, 2, v11
	s_delay_alu instid0(VALU_DEP_3) | instskip(SKIP_4) | instid1(VALU_DEP_1)
	v_cmp_ge_u32_e64 s11, v5, v53
	ds_load_b32 v19, v19
	s_wait_dscnt 0x0
	v_cndmask_b32_e64 v25, v19, v17, s8
	v_cndmask_b32_e64 v19, v18, v19, s8
	v_cmp_le_i32_e64 s10, v25, v19
	s_and_b32 s9, s9, s10
	s_wait_alu 0xfffe
	s_or_b32 s9, s11, s9
	s_wait_alu 0xfffe
	v_cndmask_b32_e64 v20, v5, v9, s9
	v_cndmask_b32_e64 v21, v53, v52, s9
	s_delay_alu instid0(VALU_DEP_2) | instskip(NEXT) | instid1(VALU_DEP_2)
	v_add_nc_u32_e32 v22, 1, v20
	v_add_nc_u32_e32 v21, -1, v21
	v_lshl_add_u32 v20, v20, 3, v10
	s_delay_alu instid0(VALU_DEP_3) | instskip(NEXT) | instid1(VALU_DEP_3)
	v_cndmask_b32_e64 v9, v9, v22, s9
	v_min_u32_e32 v21, v22, v21
	v_cndmask_b32_e64 v5, v22, v5, s9
	s_delay_alu instid0(VALU_DEP_3) | instskip(NEXT) | instid1(VALU_DEP_3)
	v_cmp_lt_u32_e64 s10, v9, v52
	v_lshl_add_u32 v21, v21, 2, v11
	s_delay_alu instid0(VALU_DEP_3)
	v_cmp_ge_u32_e64 s12, v5, v53
	ds_load_b32 v21, v21
	s_wait_dscnt 0x0
	v_cndmask_b32_e64 v26, v21, v25, s9
	v_cndmask_b32_e64 v54, v19, v21, s9
	;; [unrolled: 1-line block ×3, first 2 shown]
	s_delay_alu instid0(VALU_DEP_2)
	v_cmp_le_i32_e64 s11, v26, v54
	s_and_b32 s10, s10, s11
	s_wait_alu 0xfffe
	s_or_b32 s10, s12, s10
	s_wait_alu 0xfffe
	v_cndmask_b32_e64 v27, v5, v9, s10
	v_cndmask_b32_e64 v21, v53, v52, s10
	s_delay_alu instid0(VALU_DEP_2) | instskip(NEXT) | instid1(VALU_DEP_2)
	v_add_nc_u32_e32 v22, 1, v27
	v_add_nc_u32_e32 v21, -1, v21
	s_delay_alu instid0(VALU_DEP_2) | instskip(NEXT) | instid1(VALU_DEP_2)
	v_cndmask_b32_e64 v9, v9, v22, s10
	v_min_u32_e32 v21, v22, v21
	v_cndmask_b32_e64 v5, v22, v5, s10
	s_delay_alu instid0(VALU_DEP_3) | instskip(NEXT) | instid1(VALU_DEP_3)
	v_cmp_lt_u32_e64 s11, v9, v52
	v_lshl_add_u32 v21, v21, 2, v11
	s_delay_alu instid0(VALU_DEP_3)
	v_cmp_ge_u32_e64 s13, v5, v53
	ds_load_b32 v21, v21
	s_wait_dscnt 0x0
	v_cndmask_b32_e64 v55, v21, v26, s10
	v_cndmask_b32_e64 v64, v54, v21, s10
	v_cndmask_b32_e64 v26, v26, v54, s10
	s_delay_alu instid0(VALU_DEP_2)
	v_cmp_le_i32_e64 s12, v55, v64
	s_and_b32 s11, s11, s12
	s_wait_alu 0xfffe
	s_or_b32 s11, s13, s11
	s_wait_alu 0xfffe
	v_cndmask_b32_e64 v28, v5, v9, s11
	v_cndmask_b32_e64 v21, v53, v52, s11
	;; [unrolled: 1-line block ×3, first 2 shown]
	s_delay_alu instid0(VALU_DEP_3) | instskip(NEXT) | instid1(VALU_DEP_3)
	v_add_nc_u32_e32 v22, 1, v28
	v_add_nc_u32_e32 v21, -1, v21
	s_delay_alu instid0(VALU_DEP_2) | instskip(NEXT) | instid1(VALU_DEP_2)
	v_cndmask_b32_e64 v9, v9, v22, s11
	v_min_u32_e32 v21, v22, v21
	v_cndmask_b32_e64 v5, v22, v5, s11
	s_delay_alu instid0(VALU_DEP_3) | instskip(NEXT) | instid1(VALU_DEP_3)
	v_cmp_lt_u32_e64 s12, v9, v52
	v_lshl_add_u32 v21, v21, 2, v11
	s_delay_alu instid0(VALU_DEP_3) | instskip(SKIP_4) | instid1(VALU_DEP_1)
	v_cmp_ge_u32_e64 s14, v5, v53
	ds_load_b32 v21, v21
	s_wait_dscnt 0x0
	v_cndmask_b32_e64 v65, v21, v55, s11
	v_cndmask_b32_e64 v66, v64, v21, s11
	v_cmp_le_i32_e64 s13, v65, v66
	s_and_b32 s12, s12, s13
	s_wait_alu 0xfffe
	s_or_b32 s12, s14, s12
	s_wait_alu 0xfffe
	v_cndmask_b32_e64 v29, v5, v9, s12
	v_cndmask_b32_e64 v21, v53, v52, s12
	s_delay_alu instid0(VALU_DEP_2) | instskip(NEXT) | instid1(VALU_DEP_2)
	v_add_nc_u32_e32 v22, 1, v29
	v_add_nc_u32_e32 v21, -1, v21
	s_delay_alu instid0(VALU_DEP_2) | instskip(NEXT) | instid1(VALU_DEP_2)
	v_cndmask_b32_e64 v9, v9, v22, s12
	v_min_u32_e32 v21, v22, v21
	v_cndmask_b32_e64 v5, v22, v5, s12
	s_delay_alu instid0(VALU_DEP_3) | instskip(NEXT) | instid1(VALU_DEP_3)
	v_cmp_lt_u32_e64 s13, v9, v52
	v_lshl_add_u32 v21, v21, 2, v11
	s_delay_alu instid0(VALU_DEP_3) | instskip(SKIP_4) | instid1(VALU_DEP_1)
	v_cmp_ge_u32_e64 s15, v5, v53
	ds_load_b32 v21, v21
	s_wait_dscnt 0x0
	v_cndmask_b32_e64 v67, v21, v65, s12
	v_cndmask_b32_e64 v68, v66, v21, s12
	v_cmp_le_i32_e64 s14, v67, v68
	s_and_b32 s13, s13, s14
	s_wait_alu 0xfffe
	s_or_b32 s13, s15, s13
	s_wait_alu 0xfffe
	v_cndmask_b32_e64 v30, v5, v9, s13
	v_cndmask_b32_e64 v21, v53, v52, s13
	;; [unrolled: 1-line block ×3, first 2 shown]
	s_delay_alu instid0(VALU_DEP_3) | instskip(NEXT) | instid1(VALU_DEP_3)
	v_add_nc_u32_e32 v22, 1, v30
	v_add_nc_u32_e32 v21, -1, v21
	v_lshl_add_u32 v33, v30, 3, v10
	s_delay_alu instid0(VALU_DEP_3) | instskip(NEXT) | instid1(VALU_DEP_3)
	v_cndmask_b32_e64 v9, v9, v22, s13
	v_min_u32_e32 v21, v22, v21
	v_cndmask_b32_e64 v32, v22, v5, s13
	s_delay_alu instid0(VALU_DEP_3) | instskip(NEXT) | instid1(VALU_DEP_3)
	v_cmp_lt_u32_e64 s14, v9, v52
	v_lshl_add_u32 v21, v21, 2, v11
	s_delay_alu instid0(VALU_DEP_3)
	v_cmp_ge_u32_e64 s16, v32, v53
	ds_load_b32 v21, v21
	s_wait_dscnt 0x0
	v_cndmask_b32_e64 v69, v21, v67, s13
	v_cndmask_b32_e64 v70, v68, v21, s13
	ds_load_b64 v[4:5], v4 offset:8192
	ds_load_b64 v[21:22], v8 offset:8192
	;; [unrolled: 1-line block ×3, first 2 shown]
	v_lshl_add_u32 v20, v28, 3, v10
	v_cmp_le_i32_e64 s15, v69, v70
	s_and_b32 s14, s14, s15
	s_wait_alu 0xfffe
	s_or_b32 s14, s16, s14
	s_wait_alu 0xfffe
	v_cndmask_b32_e64 v8, v32, v9, s14
	v_lshl_add_u32 v9, v27, 3, v10
	v_lshl_add_u32 v32, v29, 3, v10
	v_cndmask_b32_e64 v18, v69, v70, s14
	s_delay_alu instid0(VALU_DEP_4)
	v_lshl_add_u32 v52, v8, 3, v10
	ds_load_b64 v[27:28], v9 offset:8192
	ds_load_b64 v[29:30], v20 offset:8192
	ds_load_b64 v[34:35], v32 offset:8192
	ds_load_b64 v[8:9], v33 offset:8192
	ds_load_b64 v[32:33], v52 offset:8192
	v_cndmask_b32_e64 v20, v65, v66, s12
.LBB512_194:
	s_wait_alu 0xfffe
	s_or_b32 exec_lo, exec_lo, s18
	v_and_b32_e32 v64, 0xe0, v49
	v_and_b32_e32 v54, 24, v49
	s_mov_b32 s8, exec_lo
	; wave barrier
	s_delay_alu instid0(VALU_DEP_2) | instskip(NEXT) | instid1(VALU_DEP_2)
	v_or_b32_e32 v52, 16, v64
	v_min_u32_e32 v65, v36, v54
	s_wait_dscnt 0x6
	ds_store_2addr_b64 v37, v[4:5], v[21:22] offset1:1
	s_wait_dscnt 0x5
	ds_store_2addr_b64 v38, v[23:24], v[27:28] offset1:1
	ds_store_2addr_b64 v31, v[15:16], v[25:26] offset1:1
	ds_store_2addr_b64 v31, v[19:20], v[17:18] offset0:2 offset1:3
	s_wait_dscnt 0x6
	ds_store_2addr_b64 v39, v[29:30], v[34:35] offset1:1
	s_wait_dscnt 0x5
	ds_store_2addr_b64 v51, v[8:9], v[32:33] offset1:1
	v_min_u32_e32 v52, v36, v52
	; wave barrier
	s_delay_alu instid0(VALU_DEP_1) | instskip(SKIP_1) | instid1(VALU_DEP_2)
	v_add_nc_u32_e32 v53, 16, v52
	v_sub_nc_u32_e32 v54, v52, v64
	v_min_u32_e32 v53, v36, v53
	s_delay_alu instid0(VALU_DEP_2) | instskip(NEXT) | instid1(VALU_DEP_2)
	v_min_u32_e32 v66, v65, v54
	v_sub_nc_u32_e32 v55, v53, v52
	s_delay_alu instid0(VALU_DEP_1) | instskip(SKIP_1) | instid1(VALU_DEP_2)
	v_sub_nc_u32_e64 v54, v65, v55 clamp
	v_lshl_add_u32 v55, v64, 2, v11
	v_cmpx_lt_u32_e64 v54, v66
	s_cbranch_execz .LBB512_198
; %bb.195:
	v_lshlrev_b32_e32 v67, 2, v52
	v_lshlrev_b32_e32 v68, 2, v65
	s_mov_b32 s9, 0
	s_delay_alu instid0(VALU_DEP_1)
	v_add3_u32 v67, v11, v67, v68
.LBB512_196:                            ; =>This Inner Loop Header: Depth=1
	v_add_nc_u32_e32 v68, v66, v54
	s_delay_alu instid0(VALU_DEP_1) | instskip(NEXT) | instid1(VALU_DEP_1)
	v_lshrrev_b32_e32 v68, 1, v68
	v_not_b32_e32 v69, v68
	v_lshl_add_u32 v70, v68, 2, v55
	v_add_nc_u32_e32 v71, 1, v68
	s_delay_alu instid0(VALU_DEP_3)
	v_lshl_add_u32 v69, v69, 2, v67
	ds_load_b32 v70, v70
	ds_load_b32 v69, v69
	s_wait_dscnt 0x0
	v_cmp_gt_i32_e64 s7, v69, v70
	s_wait_alu 0xf1ff
	s_delay_alu instid0(VALU_DEP_1) | instskip(SKIP_1) | instid1(VALU_DEP_1)
	v_cndmask_b32_e64 v66, v66, v68, s7
	v_cndmask_b32_e64 v54, v71, v54, s7
	v_cmp_ge_u32_e64 s7, v54, v66
	s_wait_alu 0xfffe
	s_or_b32 s9, s7, s9
	s_wait_alu 0xfffe
	s_and_not1_b32 exec_lo, exec_lo, s9
	s_cbranch_execnz .LBB512_196
; %bb.197:
	s_or_b32 exec_lo, exec_lo, s9
.LBB512_198:
	s_wait_alu 0xfffe
	s_or_b32 exec_lo, exec_lo, s8
	v_add_nc_u32_e32 v66, v52, v65
	v_add_nc_u32_e32 v65, v54, v64
	s_delay_alu instid0(VALU_DEP_2) | instskip(NEXT) | instid1(VALU_DEP_2)
	v_sub_nc_u32_e32 v64, v66, v54
	v_cmp_le_u32_e64 s7, v65, v52
	s_delay_alu instid0(VALU_DEP_2)
	v_cmp_le_u32_e64 s8, v64, v53
	s_or_b32 s7, s7, s8
	s_wait_alu 0xfffe
	s_and_saveexec_b32 s18, s7
	s_cbranch_execz .LBB512_204
; %bb.199:
	v_cmp_lt_u32_e64 s7, v65, v52
                                        ; implicit-def: $vgpr15
	s_and_saveexec_b32 s8, s7
; %bb.200:
	v_lshl_add_u32 v4, v54, 2, v55
	ds_load_b32 v15, v4
; %bb.201:
	s_wait_alu 0xfffe
	s_or_b32 exec_lo, exec_lo, s8
	v_cmp_ge_u32_e64 s8, v64, v53
	s_mov_b32 s10, exec_lo
                                        ; implicit-def: $vgpr16
	v_cmpx_lt_u32_e64 v64, v53
; %bb.202:
	v_lshl_add_u32 v4, v64, 2, v11
	ds_load_b32 v16, v4
; %bb.203:
	s_wait_alu 0xfffe
	s_or_b32 exec_lo, exec_lo, s10
	s_wait_dscnt 0x0
	v_cmp_le_i32_e64 s9, v16, v15
	s_and_b32 s7, s7, s9
	s_wait_alu 0xfffe
	s_or_b32 s7, s8, s7
	s_wait_alu 0xfffe
	v_cndmask_b32_e64 v4, v64, v65, s7
	v_cndmask_b32_e64 v5, v53, v52, s7
	s_delay_alu instid0(VALU_DEP_2) | instskip(NEXT) | instid1(VALU_DEP_2)
	v_add_nc_u32_e32 v8, 1, v4
	v_add_nc_u32_e32 v5, -1, v5
	v_lshl_add_u32 v4, v4, 3, v10
	s_delay_alu instid0(VALU_DEP_3) | instskip(NEXT) | instid1(VALU_DEP_3)
	v_cndmask_b32_e64 v9, v65, v8, s7
	v_min_u32_e32 v5, v8, v5
	s_delay_alu instid0(VALU_DEP_2) | instskip(NEXT) | instid1(VALU_DEP_2)
	v_cmp_lt_u32_e64 s8, v9, v52
	v_lshl_add_u32 v5, v5, 2, v11
	ds_load_b32 v5, v5
	s_wait_dscnt 0x0
	v_cndmask_b32_e64 v17, v5, v16, s7
	v_cndmask_b32_e64 v18, v15, v5, s7
	;; [unrolled: 1-line block ×4, first 2 shown]
	s_delay_alu instid0(VALU_DEP_3) | instskip(NEXT) | instid1(VALU_DEP_3)
	v_cmp_le_i32_e64 s9, v17, v18
	v_cmp_ge_u32_e64 s10, v5, v53
	s_and_b32 s8, s8, s9
	s_wait_alu 0xfffe
	s_or_b32 s8, s10, s8
	s_wait_alu 0xfffe
	v_cndmask_b32_e64 v8, v5, v9, s8
	v_cndmask_b32_e64 v19, v53, v52, s8
	;; [unrolled: 1-line block ×3, first 2 shown]
	s_delay_alu instid0(VALU_DEP_3) | instskip(NEXT) | instid1(VALU_DEP_3)
	v_add_nc_u32_e32 v20, 1, v8
	v_add_nc_u32_e32 v19, -1, v19
	v_lshl_add_u32 v8, v8, 3, v10
	s_delay_alu instid0(VALU_DEP_3) | instskip(NEXT) | instid1(VALU_DEP_3)
	v_cndmask_b32_e64 v9, v9, v20, s8
	v_min_u32_e32 v19, v20, v19
	v_cndmask_b32_e64 v5, v20, v5, s8
	s_delay_alu instid0(VALU_DEP_3) | instskip(NEXT) | instid1(VALU_DEP_3)
	v_cmp_lt_u32_e64 s9, v9, v52
	v_lshl_add_u32 v19, v19, 2, v11
	s_delay_alu instid0(VALU_DEP_3) | instskip(SKIP_4) | instid1(VALU_DEP_1)
	v_cmp_ge_u32_e64 s11, v5, v53
	ds_load_b32 v19, v19
	s_wait_dscnt 0x0
	v_cndmask_b32_e64 v25, v19, v17, s8
	v_cndmask_b32_e64 v19, v18, v19, s8
	v_cmp_le_i32_e64 s10, v25, v19
	s_and_b32 s9, s9, s10
	s_wait_alu 0xfffe
	s_or_b32 s9, s11, s9
	s_wait_alu 0xfffe
	v_cndmask_b32_e64 v20, v5, v9, s9
	v_cndmask_b32_e64 v21, v53, v52, s9
	s_delay_alu instid0(VALU_DEP_2) | instskip(NEXT) | instid1(VALU_DEP_2)
	v_add_nc_u32_e32 v22, 1, v20
	v_add_nc_u32_e32 v21, -1, v21
	v_lshl_add_u32 v20, v20, 3, v10
	s_delay_alu instid0(VALU_DEP_3) | instskip(NEXT) | instid1(VALU_DEP_3)
	v_cndmask_b32_e64 v9, v9, v22, s9
	v_min_u32_e32 v21, v22, v21
	v_cndmask_b32_e64 v5, v22, v5, s9
	s_delay_alu instid0(VALU_DEP_3) | instskip(NEXT) | instid1(VALU_DEP_3)
	v_cmp_lt_u32_e64 s10, v9, v52
	v_lshl_add_u32 v21, v21, 2, v11
	s_delay_alu instid0(VALU_DEP_3)
	v_cmp_ge_u32_e64 s12, v5, v53
	ds_load_b32 v21, v21
	s_wait_dscnt 0x0
	v_cndmask_b32_e64 v26, v21, v25, s9
	v_cndmask_b32_e64 v54, v19, v21, s9
	;; [unrolled: 1-line block ×3, first 2 shown]
	s_delay_alu instid0(VALU_DEP_2)
	v_cmp_le_i32_e64 s11, v26, v54
	s_and_b32 s10, s10, s11
	s_wait_alu 0xfffe
	s_or_b32 s10, s12, s10
	s_wait_alu 0xfffe
	v_cndmask_b32_e64 v27, v5, v9, s10
	v_cndmask_b32_e64 v21, v53, v52, s10
	s_delay_alu instid0(VALU_DEP_2) | instskip(NEXT) | instid1(VALU_DEP_2)
	v_add_nc_u32_e32 v22, 1, v27
	v_add_nc_u32_e32 v21, -1, v21
	s_delay_alu instid0(VALU_DEP_2) | instskip(NEXT) | instid1(VALU_DEP_2)
	v_cndmask_b32_e64 v9, v9, v22, s10
	v_min_u32_e32 v21, v22, v21
	v_cndmask_b32_e64 v5, v22, v5, s10
	s_delay_alu instid0(VALU_DEP_3) | instskip(NEXT) | instid1(VALU_DEP_3)
	v_cmp_lt_u32_e64 s11, v9, v52
	v_lshl_add_u32 v21, v21, 2, v11
	s_delay_alu instid0(VALU_DEP_3)
	v_cmp_ge_u32_e64 s13, v5, v53
	ds_load_b32 v21, v21
	s_wait_dscnt 0x0
	v_cndmask_b32_e64 v55, v21, v26, s10
	v_cndmask_b32_e64 v64, v54, v21, s10
	;; [unrolled: 1-line block ×3, first 2 shown]
	s_delay_alu instid0(VALU_DEP_2)
	v_cmp_le_i32_e64 s12, v55, v64
	s_and_b32 s11, s11, s12
	s_wait_alu 0xfffe
	s_or_b32 s11, s13, s11
	s_wait_alu 0xfffe
	v_cndmask_b32_e64 v28, v5, v9, s11
	v_cndmask_b32_e64 v21, v53, v52, s11
	;; [unrolled: 1-line block ×3, first 2 shown]
	s_delay_alu instid0(VALU_DEP_3) | instskip(NEXT) | instid1(VALU_DEP_3)
	v_add_nc_u32_e32 v22, 1, v28
	v_add_nc_u32_e32 v21, -1, v21
	s_delay_alu instid0(VALU_DEP_2) | instskip(NEXT) | instid1(VALU_DEP_2)
	v_cndmask_b32_e64 v9, v9, v22, s11
	v_min_u32_e32 v21, v22, v21
	v_cndmask_b32_e64 v5, v22, v5, s11
	s_delay_alu instid0(VALU_DEP_3) | instskip(NEXT) | instid1(VALU_DEP_3)
	v_cmp_lt_u32_e64 s12, v9, v52
	v_lshl_add_u32 v21, v21, 2, v11
	s_delay_alu instid0(VALU_DEP_3) | instskip(SKIP_4) | instid1(VALU_DEP_1)
	v_cmp_ge_u32_e64 s14, v5, v53
	ds_load_b32 v21, v21
	s_wait_dscnt 0x0
	v_cndmask_b32_e64 v65, v21, v55, s11
	v_cndmask_b32_e64 v66, v64, v21, s11
	v_cmp_le_i32_e64 s13, v65, v66
	s_and_b32 s12, s12, s13
	s_wait_alu 0xfffe
	s_or_b32 s12, s14, s12
	s_wait_alu 0xfffe
	v_cndmask_b32_e64 v29, v5, v9, s12
	v_cndmask_b32_e64 v21, v53, v52, s12
	s_delay_alu instid0(VALU_DEP_2) | instskip(NEXT) | instid1(VALU_DEP_2)
	v_add_nc_u32_e32 v22, 1, v29
	v_add_nc_u32_e32 v21, -1, v21
	s_delay_alu instid0(VALU_DEP_2) | instskip(NEXT) | instid1(VALU_DEP_2)
	v_cndmask_b32_e64 v9, v9, v22, s12
	v_min_u32_e32 v21, v22, v21
	v_cndmask_b32_e64 v5, v22, v5, s12
	s_delay_alu instid0(VALU_DEP_3) | instskip(NEXT) | instid1(VALU_DEP_3)
	v_cmp_lt_u32_e64 s13, v9, v52
	v_lshl_add_u32 v21, v21, 2, v11
	s_delay_alu instid0(VALU_DEP_3) | instskip(SKIP_4) | instid1(VALU_DEP_1)
	v_cmp_ge_u32_e64 s15, v5, v53
	ds_load_b32 v21, v21
	s_wait_dscnt 0x0
	v_cndmask_b32_e64 v67, v21, v65, s12
	v_cndmask_b32_e64 v68, v66, v21, s12
	v_cmp_le_i32_e64 s14, v67, v68
	s_and_b32 s13, s13, s14
	s_wait_alu 0xfffe
	s_or_b32 s13, s15, s13
	s_wait_alu 0xfffe
	v_cndmask_b32_e64 v30, v5, v9, s13
	v_cndmask_b32_e64 v21, v53, v52, s13
	;; [unrolled: 1-line block ×3, first 2 shown]
	s_delay_alu instid0(VALU_DEP_3) | instskip(NEXT) | instid1(VALU_DEP_3)
	v_add_nc_u32_e32 v22, 1, v30
	v_add_nc_u32_e32 v21, -1, v21
	v_lshl_add_u32 v33, v30, 3, v10
	s_delay_alu instid0(VALU_DEP_3) | instskip(NEXT) | instid1(VALU_DEP_3)
	v_cndmask_b32_e64 v9, v9, v22, s13
	v_min_u32_e32 v21, v22, v21
	v_cndmask_b32_e64 v32, v22, v5, s13
	s_delay_alu instid0(VALU_DEP_3) | instskip(NEXT) | instid1(VALU_DEP_3)
	v_cmp_lt_u32_e64 s14, v9, v52
	v_lshl_add_u32 v21, v21, 2, v11
	s_delay_alu instid0(VALU_DEP_3)
	v_cmp_ge_u32_e64 s16, v32, v53
	ds_load_b32 v21, v21
	s_wait_dscnt 0x0
	v_cndmask_b32_e64 v69, v21, v67, s13
	v_cndmask_b32_e64 v70, v68, v21, s13
	ds_load_b64 v[4:5], v4 offset:8192
	ds_load_b64 v[21:22], v8 offset:8192
	;; [unrolled: 1-line block ×3, first 2 shown]
	v_lshl_add_u32 v20, v28, 3, v10
	v_cmp_le_i32_e64 s15, v69, v70
	s_and_b32 s14, s14, s15
	s_wait_alu 0xfffe
	s_or_b32 s14, s16, s14
	s_wait_alu 0xfffe
	v_cndmask_b32_e64 v8, v32, v9, s14
	v_lshl_add_u32 v9, v27, 3, v10
	v_lshl_add_u32 v32, v29, 3, v10
	v_cndmask_b32_e64 v18, v69, v70, s14
	s_delay_alu instid0(VALU_DEP_4)
	v_lshl_add_u32 v52, v8, 3, v10
	ds_load_b64 v[27:28], v9 offset:8192
	ds_load_b64 v[29:30], v20 offset:8192
	;; [unrolled: 1-line block ×5, first 2 shown]
	v_cndmask_b32_e64 v20, v65, v66, s12
.LBB512_204:
	s_wait_alu 0xfffe
	s_or_b32 exec_lo, exec_lo, s18
	v_and_b32_e32 v64, 0xc0, v49
	v_and_b32_e32 v54, 56, v49
	s_mov_b32 s8, exec_lo
	; wave barrier
	s_delay_alu instid0(VALU_DEP_2) | instskip(NEXT) | instid1(VALU_DEP_2)
	v_or_b32_e32 v52, 32, v64
	v_min_u32_e32 v65, v36, v54
	s_wait_dscnt 0x6
	ds_store_2addr_b64 v37, v[4:5], v[21:22] offset1:1
	s_wait_dscnt 0x5
	ds_store_2addr_b64 v38, v[23:24], v[27:28] offset1:1
	ds_store_2addr_b64 v31, v[15:16], v[25:26] offset1:1
	ds_store_2addr_b64 v31, v[19:20], v[17:18] offset0:2 offset1:3
	s_wait_dscnt 0x6
	ds_store_2addr_b64 v39, v[29:30], v[34:35] offset1:1
	s_wait_dscnt 0x5
	ds_store_2addr_b64 v51, v[8:9], v[32:33] offset1:1
	v_min_u32_e32 v52, v36, v52
	; wave barrier
	s_delay_alu instid0(VALU_DEP_1) | instskip(SKIP_1) | instid1(VALU_DEP_2)
	v_add_nc_u32_e32 v53, 32, v52
	v_sub_nc_u32_e32 v54, v52, v64
	v_min_u32_e32 v53, v36, v53
	s_delay_alu instid0(VALU_DEP_2) | instskip(NEXT) | instid1(VALU_DEP_2)
	v_min_u32_e32 v66, v65, v54
	v_sub_nc_u32_e32 v55, v53, v52
	s_delay_alu instid0(VALU_DEP_1) | instskip(SKIP_1) | instid1(VALU_DEP_2)
	v_sub_nc_u32_e64 v54, v65, v55 clamp
	v_lshl_add_u32 v55, v64, 2, v11
	v_cmpx_lt_u32_e64 v54, v66
	s_cbranch_execz .LBB512_208
; %bb.205:
	v_lshlrev_b32_e32 v67, 2, v52
	v_lshlrev_b32_e32 v68, 2, v65
	s_mov_b32 s9, 0
	s_delay_alu instid0(VALU_DEP_1)
	v_add3_u32 v67, v11, v67, v68
.LBB512_206:                            ; =>This Inner Loop Header: Depth=1
	v_add_nc_u32_e32 v68, v66, v54
	s_delay_alu instid0(VALU_DEP_1) | instskip(NEXT) | instid1(VALU_DEP_1)
	v_lshrrev_b32_e32 v68, 1, v68
	v_not_b32_e32 v69, v68
	v_lshl_add_u32 v70, v68, 2, v55
	v_add_nc_u32_e32 v71, 1, v68
	s_delay_alu instid0(VALU_DEP_3)
	v_lshl_add_u32 v69, v69, 2, v67
	ds_load_b32 v70, v70
	ds_load_b32 v69, v69
	s_wait_dscnt 0x0
	v_cmp_gt_i32_e64 s7, v69, v70
	s_wait_alu 0xf1ff
	s_delay_alu instid0(VALU_DEP_1) | instskip(SKIP_1) | instid1(VALU_DEP_1)
	v_cndmask_b32_e64 v66, v66, v68, s7
	v_cndmask_b32_e64 v54, v71, v54, s7
	v_cmp_ge_u32_e64 s7, v54, v66
	s_wait_alu 0xfffe
	s_or_b32 s9, s7, s9
	s_wait_alu 0xfffe
	s_and_not1_b32 exec_lo, exec_lo, s9
	s_cbranch_execnz .LBB512_206
; %bb.207:
	s_or_b32 exec_lo, exec_lo, s9
.LBB512_208:
	s_wait_alu 0xfffe
	s_or_b32 exec_lo, exec_lo, s8
	v_add_nc_u32_e32 v66, v52, v65
	v_add_nc_u32_e32 v65, v54, v64
	s_delay_alu instid0(VALU_DEP_2) | instskip(NEXT) | instid1(VALU_DEP_2)
	v_sub_nc_u32_e32 v64, v66, v54
	v_cmp_le_u32_e64 s7, v65, v52
	s_delay_alu instid0(VALU_DEP_2)
	v_cmp_le_u32_e64 s8, v64, v53
	s_or_b32 s7, s7, s8
	s_wait_alu 0xfffe
	s_and_saveexec_b32 s18, s7
	s_cbranch_execz .LBB512_214
; %bb.209:
	v_cmp_lt_u32_e64 s7, v65, v52
                                        ; implicit-def: $vgpr15
	s_and_saveexec_b32 s8, s7
; %bb.210:
	v_lshl_add_u32 v4, v54, 2, v55
	ds_load_b32 v15, v4
; %bb.211:
	s_wait_alu 0xfffe
	s_or_b32 exec_lo, exec_lo, s8
	v_cmp_ge_u32_e64 s8, v64, v53
	s_mov_b32 s10, exec_lo
                                        ; implicit-def: $vgpr16
	v_cmpx_lt_u32_e64 v64, v53
; %bb.212:
	v_lshl_add_u32 v4, v64, 2, v11
	ds_load_b32 v16, v4
; %bb.213:
	s_wait_alu 0xfffe
	s_or_b32 exec_lo, exec_lo, s10
	s_wait_dscnt 0x0
	v_cmp_le_i32_e64 s9, v16, v15
	s_and_b32 s7, s7, s9
	s_wait_alu 0xfffe
	s_or_b32 s7, s8, s7
	s_wait_alu 0xfffe
	v_cndmask_b32_e64 v4, v64, v65, s7
	v_cndmask_b32_e64 v5, v53, v52, s7
	s_delay_alu instid0(VALU_DEP_2) | instskip(NEXT) | instid1(VALU_DEP_2)
	v_add_nc_u32_e32 v8, 1, v4
	v_add_nc_u32_e32 v5, -1, v5
	v_lshl_add_u32 v4, v4, 3, v10
	s_delay_alu instid0(VALU_DEP_3) | instskip(NEXT) | instid1(VALU_DEP_3)
	v_cndmask_b32_e64 v9, v65, v8, s7
	v_min_u32_e32 v5, v8, v5
	s_delay_alu instid0(VALU_DEP_2) | instskip(NEXT) | instid1(VALU_DEP_2)
	v_cmp_lt_u32_e64 s8, v9, v52
	v_lshl_add_u32 v5, v5, 2, v11
	ds_load_b32 v5, v5
	s_wait_dscnt 0x0
	v_cndmask_b32_e64 v17, v5, v16, s7
	v_cndmask_b32_e64 v18, v15, v5, s7
	;; [unrolled: 1-line block ×4, first 2 shown]
	s_delay_alu instid0(VALU_DEP_3) | instskip(NEXT) | instid1(VALU_DEP_3)
	v_cmp_le_i32_e64 s9, v17, v18
	v_cmp_ge_u32_e64 s10, v5, v53
	s_and_b32 s8, s8, s9
	s_wait_alu 0xfffe
	s_or_b32 s8, s10, s8
	s_wait_alu 0xfffe
	v_cndmask_b32_e64 v8, v5, v9, s8
	v_cndmask_b32_e64 v19, v53, v52, s8
	;; [unrolled: 1-line block ×3, first 2 shown]
	s_delay_alu instid0(VALU_DEP_3) | instskip(NEXT) | instid1(VALU_DEP_3)
	v_add_nc_u32_e32 v20, 1, v8
	v_add_nc_u32_e32 v19, -1, v19
	v_lshl_add_u32 v8, v8, 3, v10
	s_delay_alu instid0(VALU_DEP_3) | instskip(NEXT) | instid1(VALU_DEP_3)
	v_cndmask_b32_e64 v9, v9, v20, s8
	v_min_u32_e32 v19, v20, v19
	v_cndmask_b32_e64 v5, v20, v5, s8
	s_delay_alu instid0(VALU_DEP_3) | instskip(NEXT) | instid1(VALU_DEP_3)
	v_cmp_lt_u32_e64 s9, v9, v52
	v_lshl_add_u32 v19, v19, 2, v11
	s_delay_alu instid0(VALU_DEP_3) | instskip(SKIP_4) | instid1(VALU_DEP_1)
	v_cmp_ge_u32_e64 s11, v5, v53
	ds_load_b32 v19, v19
	s_wait_dscnt 0x0
	v_cndmask_b32_e64 v25, v19, v17, s8
	v_cndmask_b32_e64 v19, v18, v19, s8
	v_cmp_le_i32_e64 s10, v25, v19
	s_and_b32 s9, s9, s10
	s_wait_alu 0xfffe
	s_or_b32 s9, s11, s9
	s_wait_alu 0xfffe
	v_cndmask_b32_e64 v20, v5, v9, s9
	v_cndmask_b32_e64 v21, v53, v52, s9
	s_delay_alu instid0(VALU_DEP_2) | instskip(NEXT) | instid1(VALU_DEP_2)
	v_add_nc_u32_e32 v22, 1, v20
	v_add_nc_u32_e32 v21, -1, v21
	v_lshl_add_u32 v20, v20, 3, v10
	s_delay_alu instid0(VALU_DEP_3) | instskip(NEXT) | instid1(VALU_DEP_3)
	v_cndmask_b32_e64 v9, v9, v22, s9
	v_min_u32_e32 v21, v22, v21
	v_cndmask_b32_e64 v5, v22, v5, s9
	s_delay_alu instid0(VALU_DEP_3) | instskip(NEXT) | instid1(VALU_DEP_3)
	v_cmp_lt_u32_e64 s10, v9, v52
	v_lshl_add_u32 v21, v21, 2, v11
	s_delay_alu instid0(VALU_DEP_3)
	v_cmp_ge_u32_e64 s12, v5, v53
	ds_load_b32 v21, v21
	s_wait_dscnt 0x0
	v_cndmask_b32_e64 v26, v21, v25, s9
	v_cndmask_b32_e64 v54, v19, v21, s9
	;; [unrolled: 1-line block ×3, first 2 shown]
	s_delay_alu instid0(VALU_DEP_2)
	v_cmp_le_i32_e64 s11, v26, v54
	s_and_b32 s10, s10, s11
	s_wait_alu 0xfffe
	s_or_b32 s10, s12, s10
	s_wait_alu 0xfffe
	v_cndmask_b32_e64 v27, v5, v9, s10
	v_cndmask_b32_e64 v21, v53, v52, s10
	s_delay_alu instid0(VALU_DEP_2) | instskip(NEXT) | instid1(VALU_DEP_2)
	v_add_nc_u32_e32 v22, 1, v27
	v_add_nc_u32_e32 v21, -1, v21
	s_delay_alu instid0(VALU_DEP_2) | instskip(NEXT) | instid1(VALU_DEP_2)
	v_cndmask_b32_e64 v9, v9, v22, s10
	v_min_u32_e32 v21, v22, v21
	v_cndmask_b32_e64 v5, v22, v5, s10
	s_delay_alu instid0(VALU_DEP_3) | instskip(NEXT) | instid1(VALU_DEP_3)
	v_cmp_lt_u32_e64 s11, v9, v52
	v_lshl_add_u32 v21, v21, 2, v11
	s_delay_alu instid0(VALU_DEP_3)
	v_cmp_ge_u32_e64 s13, v5, v53
	ds_load_b32 v21, v21
	s_wait_dscnt 0x0
	v_cndmask_b32_e64 v55, v21, v26, s10
	v_cndmask_b32_e64 v64, v54, v21, s10
	v_cndmask_b32_e64 v26, v26, v54, s10
	s_delay_alu instid0(VALU_DEP_2)
	v_cmp_le_i32_e64 s12, v55, v64
	s_and_b32 s11, s11, s12
	s_wait_alu 0xfffe
	s_or_b32 s11, s13, s11
	s_wait_alu 0xfffe
	v_cndmask_b32_e64 v28, v5, v9, s11
	v_cndmask_b32_e64 v21, v53, v52, s11
	;; [unrolled: 1-line block ×3, first 2 shown]
	s_delay_alu instid0(VALU_DEP_3) | instskip(NEXT) | instid1(VALU_DEP_3)
	v_add_nc_u32_e32 v22, 1, v28
	v_add_nc_u32_e32 v21, -1, v21
	s_delay_alu instid0(VALU_DEP_2) | instskip(NEXT) | instid1(VALU_DEP_2)
	v_cndmask_b32_e64 v9, v9, v22, s11
	v_min_u32_e32 v21, v22, v21
	v_cndmask_b32_e64 v5, v22, v5, s11
	s_delay_alu instid0(VALU_DEP_3) | instskip(NEXT) | instid1(VALU_DEP_3)
	v_cmp_lt_u32_e64 s12, v9, v52
	v_lshl_add_u32 v21, v21, 2, v11
	s_delay_alu instid0(VALU_DEP_3) | instskip(SKIP_4) | instid1(VALU_DEP_1)
	v_cmp_ge_u32_e64 s14, v5, v53
	ds_load_b32 v21, v21
	s_wait_dscnt 0x0
	v_cndmask_b32_e64 v65, v21, v55, s11
	v_cndmask_b32_e64 v66, v64, v21, s11
	v_cmp_le_i32_e64 s13, v65, v66
	s_and_b32 s12, s12, s13
	s_wait_alu 0xfffe
	s_or_b32 s12, s14, s12
	s_wait_alu 0xfffe
	v_cndmask_b32_e64 v29, v5, v9, s12
	v_cndmask_b32_e64 v21, v53, v52, s12
	s_delay_alu instid0(VALU_DEP_2) | instskip(NEXT) | instid1(VALU_DEP_2)
	v_add_nc_u32_e32 v22, 1, v29
	v_add_nc_u32_e32 v21, -1, v21
	s_delay_alu instid0(VALU_DEP_2) | instskip(NEXT) | instid1(VALU_DEP_2)
	v_cndmask_b32_e64 v9, v9, v22, s12
	v_min_u32_e32 v21, v22, v21
	v_cndmask_b32_e64 v5, v22, v5, s12
	s_delay_alu instid0(VALU_DEP_3) | instskip(NEXT) | instid1(VALU_DEP_3)
	v_cmp_lt_u32_e64 s13, v9, v52
	v_lshl_add_u32 v21, v21, 2, v11
	s_delay_alu instid0(VALU_DEP_3) | instskip(SKIP_4) | instid1(VALU_DEP_1)
	v_cmp_ge_u32_e64 s15, v5, v53
	ds_load_b32 v21, v21
	s_wait_dscnt 0x0
	v_cndmask_b32_e64 v67, v21, v65, s12
	v_cndmask_b32_e64 v68, v66, v21, s12
	v_cmp_le_i32_e64 s14, v67, v68
	s_and_b32 s13, s13, s14
	s_wait_alu 0xfffe
	s_or_b32 s13, s15, s13
	s_wait_alu 0xfffe
	v_cndmask_b32_e64 v30, v5, v9, s13
	v_cndmask_b32_e64 v21, v53, v52, s13
	v_cndmask_b32_e64 v17, v67, v68, s13
	s_delay_alu instid0(VALU_DEP_3) | instskip(NEXT) | instid1(VALU_DEP_3)
	v_add_nc_u32_e32 v22, 1, v30
	v_add_nc_u32_e32 v21, -1, v21
	v_lshl_add_u32 v33, v30, 3, v10
	s_delay_alu instid0(VALU_DEP_3) | instskip(NEXT) | instid1(VALU_DEP_3)
	v_cndmask_b32_e64 v9, v9, v22, s13
	v_min_u32_e32 v21, v22, v21
	v_cndmask_b32_e64 v32, v22, v5, s13
	s_delay_alu instid0(VALU_DEP_3) | instskip(NEXT) | instid1(VALU_DEP_3)
	v_cmp_lt_u32_e64 s14, v9, v52
	v_lshl_add_u32 v21, v21, 2, v11
	s_delay_alu instid0(VALU_DEP_3)
	v_cmp_ge_u32_e64 s16, v32, v53
	ds_load_b32 v21, v21
	s_wait_dscnt 0x0
	v_cndmask_b32_e64 v69, v21, v67, s13
	v_cndmask_b32_e64 v70, v68, v21, s13
	ds_load_b64 v[4:5], v4 offset:8192
	ds_load_b64 v[21:22], v8 offset:8192
	;; [unrolled: 1-line block ×3, first 2 shown]
	v_lshl_add_u32 v20, v28, 3, v10
	v_cmp_le_i32_e64 s15, v69, v70
	s_and_b32 s14, s14, s15
	s_wait_alu 0xfffe
	s_or_b32 s14, s16, s14
	s_wait_alu 0xfffe
	v_cndmask_b32_e64 v8, v32, v9, s14
	v_lshl_add_u32 v9, v27, 3, v10
	v_lshl_add_u32 v32, v29, 3, v10
	v_cndmask_b32_e64 v18, v69, v70, s14
	s_delay_alu instid0(VALU_DEP_4)
	v_lshl_add_u32 v52, v8, 3, v10
	ds_load_b64 v[27:28], v9 offset:8192
	ds_load_b64 v[29:30], v20 offset:8192
	;; [unrolled: 1-line block ×5, first 2 shown]
	v_cndmask_b32_e64 v20, v65, v66, s12
.LBB512_214:
	s_wait_alu 0xfffe
	s_or_b32 exec_lo, exec_lo, s18
	v_and_b32_e32 v53, 0x80, v49
	v_min_u32_e32 v50, v36, v50
	; wave barrier
	s_wait_dscnt 0x6
	ds_store_2addr_b64 v37, v[4:5], v[21:22] offset1:1
	s_wait_dscnt 0x5
	ds_store_2addr_b64 v38, v[23:24], v[27:28] offset1:1
	ds_store_2addr_b64 v31, v[15:16], v[25:26] offset1:1
	ds_store_2addr_b64 v31, v[19:20], v[17:18] offset0:2 offset1:3
	v_or_b32_e32 v49, 64, v53
	v_lshl_add_u32 v31, v53, 2, v11
	s_mov_b32 s8, exec_lo
	s_wait_dscnt 0x6
	ds_store_2addr_b64 v39, v[29:30], v[34:35] offset1:1
	s_wait_dscnt 0x5
	ds_store_2addr_b64 v51, v[8:9], v[32:33] offset1:1
	v_min_u32_e32 v52, v36, v49
	; wave barrier
	s_delay_alu instid0(VALU_DEP_1) | instskip(NEXT) | instid1(VALU_DEP_1)
	v_add_nc_u32_e32 v49, 64, v52
	v_min_u32_e32 v49, v36, v49
	v_sub_nc_u32_e32 v36, v52, v53
	s_delay_alu instid0(VALU_DEP_2) | instskip(NEXT) | instid1(VALU_DEP_2)
	v_sub_nc_u32_e32 v55, v49, v52
	v_min_u32_e32 v54, v50, v36
	s_delay_alu instid0(VALU_DEP_2) | instskip(NEXT) | instid1(VALU_DEP_1)
	v_sub_nc_u32_e64 v36, v50, v55 clamp
	v_cmpx_lt_u32_e64 v36, v54
	s_cbranch_execz .LBB512_218
; %bb.215:
	v_lshlrev_b32_e32 v37, 2, v52
	v_lshlrev_b32_e32 v38, 2, v50
	s_mov_b32 s9, 0
	s_delay_alu instid0(VALU_DEP_1)
	v_add3_u32 v37, v11, v37, v38
.LBB512_216:                            ; =>This Inner Loop Header: Depth=1
	v_add_nc_u32_e32 v38, v54, v36
	s_delay_alu instid0(VALU_DEP_1) | instskip(NEXT) | instid1(VALU_DEP_1)
	v_lshrrev_b32_e32 v38, 1, v38
	v_not_b32_e32 v39, v38
	v_lshl_add_u32 v51, v38, 2, v31
	v_add_nc_u32_e32 v55, 1, v38
	s_delay_alu instid0(VALU_DEP_3)
	v_lshl_add_u32 v39, v39, 2, v37
	ds_load_b32 v51, v51
	ds_load_b32 v39, v39
	s_wait_dscnt 0x0
	v_cmp_gt_i32_e64 s7, v39, v51
	s_wait_alu 0xf1ff
	s_delay_alu instid0(VALU_DEP_1) | instskip(SKIP_1) | instid1(VALU_DEP_1)
	v_cndmask_b32_e64 v54, v54, v38, s7
	v_cndmask_b32_e64 v36, v55, v36, s7
	v_cmp_ge_u32_e64 s7, v36, v54
	s_wait_alu 0xfffe
	s_or_b32 s9, s7, s9
	s_wait_alu 0xfffe
	s_and_not1_b32 exec_lo, exec_lo, s9
	s_cbranch_execnz .LBB512_216
; %bb.217:
	s_or_b32 exec_lo, exec_lo, s9
.LBB512_218:
	s_wait_alu 0xfffe
	s_or_b32 exec_lo, exec_lo, s8
	v_add_nc_u32_e32 v37, v52, v50
	v_add_nc_u32_e32 v38, v36, v53
	s_delay_alu instid0(VALU_DEP_2) | instskip(NEXT) | instid1(VALU_DEP_2)
	v_sub_nc_u32_e32 v37, v37, v36
	v_cmp_le_u32_e64 s7, v38, v52
	s_delay_alu instid0(VALU_DEP_2)
	v_cmp_le_u32_e64 s8, v37, v49
	s_or_b32 s7, s7, s8
	s_wait_alu 0xfffe
	s_and_saveexec_b32 s18, s7
	s_cbranch_execz .LBB512_224
; %bb.219:
	v_cmp_lt_u32_e64 s7, v38, v52
                                        ; implicit-def: $vgpr15
	s_and_saveexec_b32 s8, s7
; %bb.220:
	v_lshl_add_u32 v4, v36, 2, v31
	ds_load_b32 v15, v4
; %bb.221:
	s_wait_alu 0xfffe
	s_or_b32 exec_lo, exec_lo, s8
	v_cmp_ge_u32_e64 s8, v37, v49
	s_mov_b32 s10, exec_lo
                                        ; implicit-def: $vgpr16
	v_cmpx_lt_u32_e64 v37, v49
; %bb.222:
	v_lshl_add_u32 v4, v37, 2, v11
	ds_load_b32 v16, v4
; %bb.223:
	s_wait_alu 0xfffe
	s_or_b32 exec_lo, exec_lo, s10
	s_wait_dscnt 0x0
	v_cmp_le_i32_e64 s9, v16, v15
	s_and_b32 s7, s7, s9
	s_wait_alu 0xfffe
	s_or_b32 s7, s8, s7
	s_wait_alu 0xfffe
	v_cndmask_b32_e64 v4, v37, v38, s7
	v_cndmask_b32_e64 v5, v49, v52, s7
	s_delay_alu instid0(VALU_DEP_2) | instskip(NEXT) | instid1(VALU_DEP_2)
	v_add_nc_u32_e32 v8, 1, v4
	v_add_nc_u32_e32 v5, -1, v5
	v_lshl_add_u32 v4, v4, 3, v10
	s_delay_alu instid0(VALU_DEP_3) | instskip(NEXT) | instid1(VALU_DEP_3)
	v_cndmask_b32_e64 v9, v38, v8, s7
	v_min_u32_e32 v5, v8, v5
	s_delay_alu instid0(VALU_DEP_2) | instskip(NEXT) | instid1(VALU_DEP_2)
	v_cmp_lt_u32_e64 s8, v9, v52
	v_lshl_add_u32 v5, v5, 2, v11
	ds_load_b32 v5, v5
	s_wait_dscnt 0x0
	v_cndmask_b32_e64 v17, v5, v16, s7
	v_cndmask_b32_e64 v18, v15, v5, s7
	;; [unrolled: 1-line block ×4, first 2 shown]
	s_delay_alu instid0(VALU_DEP_3) | instskip(NEXT) | instid1(VALU_DEP_3)
	v_cmp_le_i32_e64 s9, v17, v18
	v_cmp_ge_u32_e64 s10, v5, v49
	s_and_b32 s8, s8, s9
	s_wait_alu 0xfffe
	s_or_b32 s8, s10, s8
	s_wait_alu 0xfffe
	v_cndmask_b32_e64 v8, v5, v9, s8
	v_cndmask_b32_e64 v19, v49, v52, s8
	;; [unrolled: 1-line block ×3, first 2 shown]
	s_delay_alu instid0(VALU_DEP_3) | instskip(NEXT) | instid1(VALU_DEP_3)
	v_add_nc_u32_e32 v20, 1, v8
	v_add_nc_u32_e32 v19, -1, v19
	v_lshl_add_u32 v8, v8, 3, v10
	s_delay_alu instid0(VALU_DEP_3) | instskip(NEXT) | instid1(VALU_DEP_3)
	v_cndmask_b32_e64 v9, v9, v20, s8
	v_min_u32_e32 v19, v20, v19
	v_cndmask_b32_e64 v5, v20, v5, s8
	s_delay_alu instid0(VALU_DEP_3) | instskip(NEXT) | instid1(VALU_DEP_3)
	v_cmp_lt_u32_e64 s9, v9, v52
	v_lshl_add_u32 v19, v19, 2, v11
	s_delay_alu instid0(VALU_DEP_3) | instskip(SKIP_4) | instid1(VALU_DEP_1)
	v_cmp_ge_u32_e64 s11, v5, v49
	ds_load_b32 v19, v19
	s_wait_dscnt 0x0
	v_cndmask_b32_e64 v25, v19, v17, s8
	v_cndmask_b32_e64 v19, v18, v19, s8
	v_cmp_le_i32_e64 s10, v25, v19
	s_and_b32 s9, s9, s10
	s_wait_alu 0xfffe
	s_or_b32 s9, s11, s9
	s_wait_alu 0xfffe
	v_cndmask_b32_e64 v20, v5, v9, s9
	v_cndmask_b32_e64 v21, v49, v52, s9
	s_delay_alu instid0(VALU_DEP_2) | instskip(NEXT) | instid1(VALU_DEP_2)
	v_add_nc_u32_e32 v22, 1, v20
	v_add_nc_u32_e32 v21, -1, v21
	v_lshl_add_u32 v20, v20, 3, v10
	s_delay_alu instid0(VALU_DEP_3) | instskip(NEXT) | instid1(VALU_DEP_3)
	v_cndmask_b32_e64 v9, v9, v22, s9
	v_min_u32_e32 v21, v22, v21
	v_cndmask_b32_e64 v5, v22, v5, s9
	s_delay_alu instid0(VALU_DEP_3) | instskip(NEXT) | instid1(VALU_DEP_3)
	v_cmp_lt_u32_e64 s10, v9, v52
	v_lshl_add_u32 v21, v21, 2, v11
	s_delay_alu instid0(VALU_DEP_3)
	v_cmp_ge_u32_e64 s12, v5, v49
	ds_load_b32 v21, v21
	s_wait_dscnt 0x0
	v_cndmask_b32_e64 v26, v21, v25, s9
	v_cndmask_b32_e64 v31, v19, v21, s9
	v_cndmask_b32_e64 v25, v25, v19, s9
	s_delay_alu instid0(VALU_DEP_2)
	v_cmp_le_i32_e64 s11, v26, v31
	s_and_b32 s10, s10, s11
	s_wait_alu 0xfffe
	s_or_b32 s10, s12, s10
	s_wait_alu 0xfffe
	v_cndmask_b32_e64 v27, v5, v9, s10
	v_cndmask_b32_e64 v21, v49, v52, s10
	s_delay_alu instid0(VALU_DEP_2) | instskip(NEXT) | instid1(VALU_DEP_2)
	v_add_nc_u32_e32 v22, 1, v27
	v_add_nc_u32_e32 v21, -1, v21
	s_delay_alu instid0(VALU_DEP_2) | instskip(NEXT) | instid1(VALU_DEP_2)
	v_cndmask_b32_e64 v9, v9, v22, s10
	v_min_u32_e32 v21, v22, v21
	v_cndmask_b32_e64 v5, v22, v5, s10
	s_delay_alu instid0(VALU_DEP_3) | instskip(NEXT) | instid1(VALU_DEP_3)
	v_cmp_lt_u32_e64 s11, v9, v52
	v_lshl_add_u32 v21, v21, 2, v11
	s_delay_alu instid0(VALU_DEP_3)
	v_cmp_ge_u32_e64 s13, v5, v49
	ds_load_b32 v21, v21
	s_wait_dscnt 0x0
	v_cndmask_b32_e64 v36, v21, v26, s10
	v_cndmask_b32_e64 v37, v31, v21, s10
	;; [unrolled: 1-line block ×3, first 2 shown]
	s_delay_alu instid0(VALU_DEP_2)
	v_cmp_le_i32_e64 s12, v36, v37
	s_and_b32 s11, s11, s12
	s_wait_alu 0xfffe
	s_or_b32 s11, s13, s11
	s_wait_alu 0xfffe
	v_cndmask_b32_e64 v28, v5, v9, s11
	v_cndmask_b32_e64 v21, v49, v52, s11
	;; [unrolled: 1-line block ×3, first 2 shown]
	s_delay_alu instid0(VALU_DEP_3) | instskip(NEXT) | instid1(VALU_DEP_3)
	v_add_nc_u32_e32 v22, 1, v28
	v_add_nc_u32_e32 v21, -1, v21
	s_delay_alu instid0(VALU_DEP_2) | instskip(NEXT) | instid1(VALU_DEP_2)
	v_cndmask_b32_e64 v9, v9, v22, s11
	v_min_u32_e32 v21, v22, v21
	v_cndmask_b32_e64 v5, v22, v5, s11
	s_delay_alu instid0(VALU_DEP_3) | instskip(NEXT) | instid1(VALU_DEP_3)
	v_cmp_lt_u32_e64 s12, v9, v52
	v_lshl_add_u32 v21, v21, 2, v11
	s_delay_alu instid0(VALU_DEP_3) | instskip(SKIP_4) | instid1(VALU_DEP_1)
	v_cmp_ge_u32_e64 s14, v5, v49
	ds_load_b32 v21, v21
	s_wait_dscnt 0x0
	v_cndmask_b32_e64 v38, v21, v36, s11
	v_cndmask_b32_e64 v39, v37, v21, s11
	v_cmp_le_i32_e64 s13, v38, v39
	s_and_b32 s12, s12, s13
	s_wait_alu 0xfffe
	s_or_b32 s12, s14, s12
	s_wait_alu 0xfffe
	v_cndmask_b32_e64 v29, v5, v9, s12
	v_cndmask_b32_e64 v21, v49, v52, s12
	s_delay_alu instid0(VALU_DEP_2) | instskip(NEXT) | instid1(VALU_DEP_2)
	v_add_nc_u32_e32 v22, 1, v29
	v_add_nc_u32_e32 v21, -1, v21
	s_delay_alu instid0(VALU_DEP_2) | instskip(NEXT) | instid1(VALU_DEP_2)
	v_cndmask_b32_e64 v9, v9, v22, s12
	v_min_u32_e32 v21, v22, v21
	v_cndmask_b32_e64 v5, v22, v5, s12
	s_delay_alu instid0(VALU_DEP_3) | instskip(NEXT) | instid1(VALU_DEP_3)
	v_cmp_lt_u32_e64 s13, v9, v52
	v_lshl_add_u32 v21, v21, 2, v11
	s_delay_alu instid0(VALU_DEP_3) | instskip(SKIP_4) | instid1(VALU_DEP_1)
	v_cmp_ge_u32_e64 s15, v5, v49
	ds_load_b32 v21, v21
	s_wait_dscnt 0x0
	v_cndmask_b32_e64 v50, v21, v38, s12
	v_cndmask_b32_e64 v51, v39, v21, s12
	v_cmp_le_i32_e64 s14, v50, v51
	s_and_b32 s13, s13, s14
	s_wait_alu 0xfffe
	s_or_b32 s13, s15, s13
	s_wait_alu 0xfffe
	v_cndmask_b32_e64 v30, v5, v9, s13
	v_cndmask_b32_e64 v21, v49, v52, s13
	;; [unrolled: 1-line block ×3, first 2 shown]
	s_delay_alu instid0(VALU_DEP_3) | instskip(NEXT) | instid1(VALU_DEP_3)
	v_add_nc_u32_e32 v22, 1, v30
	v_add_nc_u32_e32 v21, -1, v21
	v_lshl_add_u32 v33, v30, 3, v10
	s_delay_alu instid0(VALU_DEP_3) | instskip(NEXT) | instid1(VALU_DEP_3)
	v_cndmask_b32_e64 v9, v9, v22, s13
	v_min_u32_e32 v21, v22, v21
	v_cndmask_b32_e64 v32, v22, v5, s13
	s_delay_alu instid0(VALU_DEP_3) | instskip(NEXT) | instid1(VALU_DEP_3)
	v_cmp_lt_u32_e64 s14, v9, v52
	v_lshl_add_u32 v11, v21, 2, v11
	s_delay_alu instid0(VALU_DEP_3)
	v_cmp_ge_u32_e64 s16, v32, v49
	ds_load_b32 v11, v11
	ds_load_b64 v[4:5], v4 offset:8192
	ds_load_b64 v[21:22], v8 offset:8192
	;; [unrolled: 1-line block ×3, first 2 shown]
	v_lshl_add_u32 v20, v28, 3, v10
	s_wait_dscnt 0x3
	v_cndmask_b32_e64 v53, v11, v50, s13
	v_cndmask_b32_e64 v11, v51, v11, s13
	s_delay_alu instid0(VALU_DEP_1)
	v_cmp_le_i32_e64 s15, v53, v11
	s_and_b32 s14, s14, s15
	s_wait_alu 0xfffe
	s_or_b32 s14, s16, s14
	s_wait_alu 0xfffe
	v_cndmask_b32_e64 v8, v32, v9, s14
	v_lshl_add_u32 v9, v27, 3, v10
	v_lshl_add_u32 v32, v29, 3, v10
	v_cndmask_b32_e64 v18, v53, v11, s14
	s_delay_alu instid0(VALU_DEP_4)
	v_lshl_add_u32 v10, v8, 3, v10
	ds_load_b64 v[27:28], v9 offset:8192
	ds_load_b64 v[29:30], v20 offset:8192
	;; [unrolled: 1-line block ×5, first 2 shown]
	v_cndmask_b32_e64 v20, v38, v39, s12
.LBB512_224:
	s_wait_alu 0xfffe
	s_or_b32 exec_lo, exec_lo, s18
	; wave barrier
	s_wait_storecnt_dscnt 0x0
	s_barrier_signal -1
	s_barrier_wait -1
.LBB512_225:
	s_wait_alu 0xfffe
	s_or_b32 exec_lo, exec_lo, s17
	v_add_co_u32 v2, s7, v2, v13
	s_wait_alu 0xf1ff
	v_add_co_ci_u32_e64 v3, null, v3, v14, s7
	s_wait_storecnt 0x0
	s_wait_loadcnt_dscnt 0x0
	global_inv scope:SCOPE_SE
	v_add_co_u32 v2, s7, v2, v48
	s_wait_alu 0xf1ff
	v_add_co_ci_u32_e64 v3, null, 0, v3, s7
	; wave barrier
	s_and_saveexec_b32 s7, vcc_lo
	s_cbranch_execnz .LBB512_250
; %bb.226:
	s_wait_alu 0xfffe
	s_or_b32 exec_lo, exec_lo, s7
	s_and_saveexec_b32 s7, s0
	s_cbranch_execnz .LBB512_251
.LBB512_227:
	s_wait_alu 0xfffe
	s_or_b32 exec_lo, exec_lo, s7
	s_and_saveexec_b32 s7, s1
	s_cbranch_execnz .LBB512_252
.LBB512_228:
	s_wait_alu 0xfffe
	s_or_b32 exec_lo, exec_lo, s7
	s_and_saveexec_b32 s7, s2
	s_cbranch_execnz .LBB512_253
.LBB512_229:
	s_wait_alu 0xfffe
	s_or_b32 exec_lo, exec_lo, s7
	s_and_saveexec_b32 s7, s3
	s_cbranch_execnz .LBB512_254
.LBB512_230:
	s_wait_alu 0xfffe
	s_or_b32 exec_lo, exec_lo, s7
	s_and_saveexec_b32 s7, s4
	s_cbranch_execnz .LBB512_255
.LBB512_231:
	s_wait_alu 0xfffe
	s_or_b32 exec_lo, exec_lo, s7
	s_and_saveexec_b32 s7, s5
	s_cbranch_execnz .LBB512_256
.LBB512_232:
	s_wait_alu 0xfffe
	s_or_b32 exec_lo, exec_lo, s7
	s_and_saveexec_b32 s7, s6
	s_cbranch_execz .LBB512_234
.LBB512_233:
	flat_store_b32 v[2:3], v18 offset:28
.LBB512_234:
	s_wait_alu 0xfffe
	s_or_b32 exec_lo, exec_lo, s7
	v_add_co_u32 v0, s7, v6, v0
	s_wait_alu 0xf1ff
	v_add_co_ci_u32_e64 v1, null, v7, v1, s7
	s_delay_alu instid0(VALU_DEP_2) | instskip(SKIP_1) | instid1(VALU_DEP_2)
	v_add_co_u32 v0, s7, v0, v12
	s_wait_alu 0xf1ff
	v_add_co_ci_u32_e64 v1, null, 0, v1, s7
	; wave barrier
	s_and_saveexec_b32 s7, vcc_lo
	s_cbranch_execnz .LBB512_257
; %bb.235:
	s_wait_alu 0xfffe
	s_or_b32 exec_lo, exec_lo, s7
	s_and_saveexec_b32 s7, s0
	s_cbranch_execnz .LBB512_258
.LBB512_236:
	s_wait_alu 0xfffe
	s_or_b32 exec_lo, exec_lo, s7
	s_and_saveexec_b32 s0, s1
	s_cbranch_execnz .LBB512_259
.LBB512_237:
	s_wait_alu 0xfffe
	s_or_b32 exec_lo, exec_lo, s0
	s_and_saveexec_b32 s0, s2
	s_cbranch_execnz .LBB512_260
.LBB512_238:
	s_wait_alu 0xfffe
	s_or_b32 exec_lo, exec_lo, s0
	s_and_saveexec_b32 s0, s3
	s_cbranch_execnz .LBB512_261
.LBB512_239:
	s_wait_alu 0xfffe
	s_or_b32 exec_lo, exec_lo, s0
	s_and_saveexec_b32 s0, s4
	s_cbranch_execnz .LBB512_262
.LBB512_240:
	s_wait_alu 0xfffe
	s_or_b32 exec_lo, exec_lo, s0
	s_and_saveexec_b32 s0, s5
	s_cbranch_execnz .LBB512_263
.LBB512_241:
	s_wait_alu 0xfffe
	s_or_b32 exec_lo, exec_lo, s0
	s_and_saveexec_b32 s0, s6
	s_cbranch_execnz .LBB512_264
.LBB512_242:
	s_wait_alu 0xfffe
	s_or_b32 exec_lo, exec_lo, s0
	s_wait_loadcnt_dscnt 0x0
	s_setpc_b64 s[30:31]
.LBB512_243:
	flat_load_b64 v[4:5], v[36:37]
	s_wait_alu 0xfffe
	s_or_b32 exec_lo, exec_lo, s7
	s_and_saveexec_b32 s7, s0
                                        ; implicit-def: $vgpr21_vgpr22
	s_cbranch_execz .LBB512_18
.LBB512_244:
	flat_load_b64 v[21:22], v[36:37] offset:8
	s_wait_alu 0xfffe
	s_or_b32 exec_lo, exec_lo, s7
                                        ; implicit-def: $vgpr23_vgpr24
	s_and_saveexec_b32 s7, s1
	s_cbranch_execz .LBB512_19
.LBB512_245:
	flat_load_b64 v[23:24], v[36:37] offset:16
	s_wait_alu 0xfffe
	s_or_b32 exec_lo, exec_lo, s7
	s_and_saveexec_b32 s7, s2
                                        ; implicit-def: $vgpr27_vgpr28
	s_cbranch_execz .LBB512_20
.LBB512_246:
	flat_load_b64 v[27:28], v[36:37] offset:24
	s_wait_alu 0xfffe
	s_or_b32 exec_lo, exec_lo, s7
                                        ; implicit-def: $vgpr29_vgpr30
	s_and_saveexec_b32 s7, s3
	s_cbranch_execz .LBB512_21
.LBB512_247:
	flat_load_b64 v[29:30], v[36:37] offset:32
	s_wait_alu 0xfffe
	s_or_b32 exec_lo, exec_lo, s7
	s_and_saveexec_b32 s7, s4
                                        ; implicit-def: $vgpr34_vgpr35
	s_cbranch_execz .LBB512_22
.LBB512_248:
	flat_load_b64 v[34:35], v[36:37] offset:40
	s_wait_alu 0xfffe
	s_or_b32 exec_lo, exec_lo, s7
                                        ; implicit-def: $vgpr8_vgpr9
	s_and_saveexec_b32 s7, s5
	s_cbranch_execz .LBB512_23
.LBB512_249:
	flat_load_b64 v[8:9], v[36:37] offset:48
	s_wait_alu 0xfffe
	s_or_b32 exec_lo, exec_lo, s7
	s_and_saveexec_b32 s7, s6
                                        ; implicit-def: $vgpr32_vgpr33
	s_cbranch_execnz .LBB512_24
	s_branch .LBB512_25
.LBB512_250:
	flat_store_b32 v[2:3], v15
	s_wait_alu 0xfffe
	s_or_b32 exec_lo, exec_lo, s7
	s_and_saveexec_b32 s7, s0
	s_cbranch_execz .LBB512_227
.LBB512_251:
	flat_store_b32 v[2:3], v16 offset:4
	s_wait_alu 0xfffe
	s_or_b32 exec_lo, exec_lo, s7
	s_and_saveexec_b32 s7, s1
	s_cbranch_execz .LBB512_228
.LBB512_252:
	flat_store_b32 v[2:3], v25 offset:8
	s_wait_alu 0xfffe
	s_or_b32 exec_lo, exec_lo, s7
	s_and_saveexec_b32 s7, s2
	s_cbranch_execz .LBB512_229
.LBB512_253:
	flat_store_b32 v[2:3], v26 offset:12
	s_wait_alu 0xfffe
	s_or_b32 exec_lo, exec_lo, s7
	s_and_saveexec_b32 s7, s3
	s_cbranch_execz .LBB512_230
.LBB512_254:
	flat_store_b32 v[2:3], v19 offset:16
	s_wait_alu 0xfffe
	s_or_b32 exec_lo, exec_lo, s7
	s_and_saveexec_b32 s7, s4
	s_cbranch_execz .LBB512_231
.LBB512_255:
	flat_store_b32 v[2:3], v20 offset:20
	s_wait_alu 0xfffe
	s_or_b32 exec_lo, exec_lo, s7
	s_and_saveexec_b32 s7, s5
	s_cbranch_execz .LBB512_232
.LBB512_256:
	flat_store_b32 v[2:3], v17 offset:24
	s_wait_alu 0xfffe
	s_or_b32 exec_lo, exec_lo, s7
	s_and_saveexec_b32 s7, s6
	s_cbranch_execnz .LBB512_233
	s_branch .LBB512_234
.LBB512_257:
	flat_store_b64 v[0:1], v[4:5]
	s_wait_alu 0xfffe
	s_or_b32 exec_lo, exec_lo, s7
	s_and_saveexec_b32 s7, s0
	s_cbranch_execz .LBB512_236
.LBB512_258:
	flat_store_b64 v[0:1], v[21:22] offset:8
	s_wait_alu 0xfffe
	s_or_b32 exec_lo, exec_lo, s7
	s_and_saveexec_b32 s0, s1
	s_cbranch_execz .LBB512_237
.LBB512_259:
	flat_store_b64 v[0:1], v[23:24] offset:16
	s_wait_alu 0xfffe
	s_or_b32 exec_lo, exec_lo, s0
	s_and_saveexec_b32 s0, s2
	s_cbranch_execz .LBB512_238
.LBB512_260:
	flat_store_b64 v[0:1], v[27:28] offset:24
	s_wait_alu 0xfffe
	s_or_b32 exec_lo, exec_lo, s0
	s_and_saveexec_b32 s0, s3
	s_cbranch_execz .LBB512_239
.LBB512_261:
	flat_store_b64 v[0:1], v[29:30] offset:32
	s_wait_alu 0xfffe
	s_or_b32 exec_lo, exec_lo, s0
	s_and_saveexec_b32 s0, s4
	s_cbranch_execz .LBB512_240
.LBB512_262:
	flat_store_b64 v[0:1], v[34:35] offset:40
	s_wait_alu 0xfffe
	s_or_b32 exec_lo, exec_lo, s0
	s_and_saveexec_b32 s0, s5
	s_cbranch_execz .LBB512_241
.LBB512_263:
	flat_store_b64 v[0:1], v[8:9] offset:48
	s_wait_alu 0xfffe
	s_or_b32 exec_lo, exec_lo, s0
	s_and_saveexec_b32 s0, s6
	s_cbranch_execz .LBB512_242
.LBB512_264:
	flat_store_b64 v[0:1], v[32:33] offset:56
	s_wait_alu 0xfffe
	s_or_b32 exec_lo, exec_lo, s0
	s_wait_loadcnt_dscnt 0x0
	s_setpc_b64 s[30:31]
.Lfunc_end512:
	.size	_ZN7rocprim17ROCPRIM_400000_NS6detail26segmented_warp_sort_helperINS1_20WarpSortHelperConfigILj16ELj8ELj256EEEilLi256ELb1EvE4sortIPKiPiPKlPlEEvT_T0_T1_T2_jjjjRNS5_12storage_typeE, .Lfunc_end512-_ZN7rocprim17ROCPRIM_400000_NS6detail26segmented_warp_sort_helperINS1_20WarpSortHelperConfigILj16ELj8ELj256EEEilLi256ELb1EvE4sortIPKiPiPKlPlEEvT_T0_T1_T2_jjjjRNS5_12storage_typeE
                                        ; -- End function
	.set .L_ZN7rocprim17ROCPRIM_400000_NS6detail26segmented_warp_sort_helperINS1_20WarpSortHelperConfigILj16ELj8ELj256EEEilLi256ELb1EvE4sortIPKiPiPKlPlEEvT_T0_T1_T2_jjjjRNS5_12storage_typeE.num_vgpr, 81
	.set .L_ZN7rocprim17ROCPRIM_400000_NS6detail26segmented_warp_sort_helperINS1_20WarpSortHelperConfigILj16ELj8ELj256EEEilLi256ELb1EvE4sortIPKiPiPKlPlEEvT_T0_T1_T2_jjjjRNS5_12storage_typeE.num_agpr, 0
	.set .L_ZN7rocprim17ROCPRIM_400000_NS6detail26segmented_warp_sort_helperINS1_20WarpSortHelperConfigILj16ELj8ELj256EEEilLi256ELb1EvE4sortIPKiPiPKlPlEEvT_T0_T1_T2_jjjjRNS5_12storage_typeE.numbered_sgpr, 32
	.set .L_ZN7rocprim17ROCPRIM_400000_NS6detail26segmented_warp_sort_helperINS1_20WarpSortHelperConfigILj16ELj8ELj256EEEilLi256ELb1EvE4sortIPKiPiPKlPlEEvT_T0_T1_T2_jjjjRNS5_12storage_typeE.num_named_barrier, 0
	.set .L_ZN7rocprim17ROCPRIM_400000_NS6detail26segmented_warp_sort_helperINS1_20WarpSortHelperConfigILj16ELj8ELj256EEEilLi256ELb1EvE4sortIPKiPiPKlPlEEvT_T0_T1_T2_jjjjRNS5_12storage_typeE.private_seg_size, 0
	.set .L_ZN7rocprim17ROCPRIM_400000_NS6detail26segmented_warp_sort_helperINS1_20WarpSortHelperConfigILj16ELj8ELj256EEEilLi256ELb1EvE4sortIPKiPiPKlPlEEvT_T0_T1_T2_jjjjRNS5_12storage_typeE.uses_vcc, 1
	.set .L_ZN7rocprim17ROCPRIM_400000_NS6detail26segmented_warp_sort_helperINS1_20WarpSortHelperConfigILj16ELj8ELj256EEEilLi256ELb1EvE4sortIPKiPiPKlPlEEvT_T0_T1_T2_jjjjRNS5_12storage_typeE.uses_flat_scratch, 0
	.set .L_ZN7rocprim17ROCPRIM_400000_NS6detail26segmented_warp_sort_helperINS1_20WarpSortHelperConfigILj16ELj8ELj256EEEilLi256ELb1EvE4sortIPKiPiPKlPlEEvT_T0_T1_T2_jjjjRNS5_12storage_typeE.has_dyn_sized_stack, 0
	.set .L_ZN7rocprim17ROCPRIM_400000_NS6detail26segmented_warp_sort_helperINS1_20WarpSortHelperConfigILj16ELj8ELj256EEEilLi256ELb1EvE4sortIPKiPiPKlPlEEvT_T0_T1_T2_jjjjRNS5_12storage_typeE.has_recursion, 0
	.set .L_ZN7rocprim17ROCPRIM_400000_NS6detail26segmented_warp_sort_helperINS1_20WarpSortHelperConfigILj16ELj8ELj256EEEilLi256ELb1EvE4sortIPKiPiPKlPlEEvT_T0_T1_T2_jjjjRNS5_12storage_typeE.has_indirect_call, 0
	.section	.AMDGPU.csdata,"",@progbits
; Function info:
; codeLenInByte = 19256
; TotalNumSgprs: 34
; NumVgprs: 81
; ScratchSize: 0
; MemoryBound: 0
	.section	.text._ZN7rocprim17ROCPRIM_400000_NS6detail17trampoline_kernelINS0_14default_configENS1_36segmented_radix_sort_config_selectorIilEEZNS1_25segmented_radix_sort_implIS3_Lb1EPKiPiPKlPlN2at6native12_GLOBAL__N_18offset_tEEE10hipError_tPvRmT1_PNSt15iterator_traitsISK_E10value_typeET2_T3_PNSL_ISQ_E10value_typeET4_jRbjT5_SW_jjP12ihipStream_tbEUlT_E0_NS1_11comp_targetILNS1_3genE10ELNS1_11target_archE1201ELNS1_3gpuE5ELNS1_3repE0EEENS1_60segmented_radix_sort_warp_sort_medium_config_static_selectorELNS0_4arch9wavefront6targetE0EEEvSK_,"axG",@progbits,_ZN7rocprim17ROCPRIM_400000_NS6detail17trampoline_kernelINS0_14default_configENS1_36segmented_radix_sort_config_selectorIilEEZNS1_25segmented_radix_sort_implIS3_Lb1EPKiPiPKlPlN2at6native12_GLOBAL__N_18offset_tEEE10hipError_tPvRmT1_PNSt15iterator_traitsISK_E10value_typeET2_T3_PNSL_ISQ_E10value_typeET4_jRbjT5_SW_jjP12ihipStream_tbEUlT_E0_NS1_11comp_targetILNS1_3genE10ELNS1_11target_archE1201ELNS1_3gpuE5ELNS1_3repE0EEENS1_60segmented_radix_sort_warp_sort_medium_config_static_selectorELNS0_4arch9wavefront6targetE0EEEvSK_,comdat
	.globl	_ZN7rocprim17ROCPRIM_400000_NS6detail17trampoline_kernelINS0_14default_configENS1_36segmented_radix_sort_config_selectorIilEEZNS1_25segmented_radix_sort_implIS3_Lb1EPKiPiPKlPlN2at6native12_GLOBAL__N_18offset_tEEE10hipError_tPvRmT1_PNSt15iterator_traitsISK_E10value_typeET2_T3_PNSL_ISQ_E10value_typeET4_jRbjT5_SW_jjP12ihipStream_tbEUlT_E0_NS1_11comp_targetILNS1_3genE10ELNS1_11target_archE1201ELNS1_3gpuE5ELNS1_3repE0EEENS1_60segmented_radix_sort_warp_sort_medium_config_static_selectorELNS0_4arch9wavefront6targetE0EEEvSK_ ; -- Begin function _ZN7rocprim17ROCPRIM_400000_NS6detail17trampoline_kernelINS0_14default_configENS1_36segmented_radix_sort_config_selectorIilEEZNS1_25segmented_radix_sort_implIS3_Lb1EPKiPiPKlPlN2at6native12_GLOBAL__N_18offset_tEEE10hipError_tPvRmT1_PNSt15iterator_traitsISK_E10value_typeET2_T3_PNSL_ISQ_E10value_typeET4_jRbjT5_SW_jjP12ihipStream_tbEUlT_E0_NS1_11comp_targetILNS1_3genE10ELNS1_11target_archE1201ELNS1_3gpuE5ELNS1_3repE0EEENS1_60segmented_radix_sort_warp_sort_medium_config_static_selectorELNS0_4arch9wavefront6targetE0EEEvSK_
	.p2align	8
	.type	_ZN7rocprim17ROCPRIM_400000_NS6detail17trampoline_kernelINS0_14default_configENS1_36segmented_radix_sort_config_selectorIilEEZNS1_25segmented_radix_sort_implIS3_Lb1EPKiPiPKlPlN2at6native12_GLOBAL__N_18offset_tEEE10hipError_tPvRmT1_PNSt15iterator_traitsISK_E10value_typeET2_T3_PNSL_ISQ_E10value_typeET4_jRbjT5_SW_jjP12ihipStream_tbEUlT_E0_NS1_11comp_targetILNS1_3genE10ELNS1_11target_archE1201ELNS1_3gpuE5ELNS1_3repE0EEENS1_60segmented_radix_sort_warp_sort_medium_config_static_selectorELNS0_4arch9wavefront6targetE0EEEvSK_,@function
_ZN7rocprim17ROCPRIM_400000_NS6detail17trampoline_kernelINS0_14default_configENS1_36segmented_radix_sort_config_selectorIilEEZNS1_25segmented_radix_sort_implIS3_Lb1EPKiPiPKlPlN2at6native12_GLOBAL__N_18offset_tEEE10hipError_tPvRmT1_PNSt15iterator_traitsISK_E10value_typeET2_T3_PNSL_ISQ_E10value_typeET4_jRbjT5_SW_jjP12ihipStream_tbEUlT_E0_NS1_11comp_targetILNS1_3genE10ELNS1_11target_archE1201ELNS1_3gpuE5ELNS1_3repE0EEENS1_60segmented_radix_sort_warp_sort_medium_config_static_selectorELNS0_4arch9wavefront6targetE0EEEvSK_: ; @_ZN7rocprim17ROCPRIM_400000_NS6detail17trampoline_kernelINS0_14default_configENS1_36segmented_radix_sort_config_selectorIilEEZNS1_25segmented_radix_sort_implIS3_Lb1EPKiPiPKlPlN2at6native12_GLOBAL__N_18offset_tEEE10hipError_tPvRmT1_PNSt15iterator_traitsISK_E10value_typeET2_T3_PNSL_ISQ_E10value_typeET4_jRbjT5_SW_jjP12ihipStream_tbEUlT_E0_NS1_11comp_targetILNS1_3genE10ELNS1_11target_archE1201ELNS1_3gpuE5ELNS1_3repE0EEENS1_60segmented_radix_sort_warp_sort_medium_config_static_selectorELNS0_4arch9wavefront6targetE0EEEvSK_
; %bb.0:
	s_load_b32 s2, s[0:1], 0x64
	v_bfe_u32 v1, v0, 10, 10
	v_bfe_u32 v2, v0, 20, 10
	s_mov_b32 s32, 0
	s_wait_kmcnt 0x0
	s_lshr_b32 s3, s2, 16
	s_and_b32 s2, s2, 0xffff
	v_mad_u32_u24 v2, v2, s3, v1
	v_and_b32_e32 v1, 0x3ff, v0
	s_load_b32 s3, s[0:1], 0x34
	s_delay_alu instid0(VALU_DEP_1) | instskip(SKIP_2) | instid1(VALU_DEP_1)
	v_mad_co_u64_u32 v[1:2], null, v2, s2, v[1:2]
	s_mov_b32 s2, exec_lo
	v_lshrrev_b32_e32 v1, 4, v1
	v_lshl_add_u32 v1, ttmp9, 4, v1
	s_wait_kmcnt 0x0
	s_delay_alu instid0(VALU_DEP_1)
	v_cmpx_gt_u32_e64 s3, v1
	s_cbranch_execz .LBB513_6
; %bb.1:
	s_clause 0x1
	s_load_b64 s[2:3], s[0:1], 0x38
	s_load_b128 s[4:7], s[0:1], 0x40
	v_mov_b32_e32 v2, 0
	s_delay_alu instid0(VALU_DEP_1) | instskip(SKIP_1) | instid1(VALU_DEP_1)
	v_lshlrev_b64_e32 v[1:2], 2, v[1:2]
	s_wait_kmcnt 0x0
	v_add_co_u32 v1, vcc_lo, s2, v1
	s_delay_alu instid0(VALU_DEP_1) | instskip(SKIP_4) | instid1(VALU_DEP_2)
	v_add_co_ci_u32_e64 v2, null, s3, v2, vcc_lo
	global_load_b32 v1, v[1:2], off
	s_wait_loadcnt 0x0
	v_add_nc_u32_e32 v2, s5, v1
	v_add_nc_u32_e32 v1, s7, v1
	v_mul_lo_u32 v40, v2, s4
	s_delay_alu instid0(VALU_DEP_2) | instskip(NEXT) | instid1(VALU_DEP_1)
	v_mul_lo_u32 v41, v1, s6
	v_cmp_gt_u32_e32 vcc_lo, v41, v40
	s_and_b32 exec_lo, exec_lo, vcc_lo
	s_cbranch_execz .LBB513_6
; %bb.2:
	s_clause 0x3
	s_load_b32 s2, s[0:1], 0x30
	s_load_b128 s[24:27], s[0:1], 0x20
	s_load_b256 s[36:43], s[0:1], 0x0
	s_load_b64 s[28:29], s[0:1], 0x50
	s_add_nc_u64 s[22:23], s[0:1], 0x58
	s_wait_kmcnt 0x0
	s_bitcmp0_b32 s2, 0
	s_mov_b32 s2, -1
	s_cbranch_scc0 .LBB513_4
; %bb.3:
	v_dual_mov_b32 v31, v0 :: v_dual_mov_b32 v42, v0
	v_dual_mov_b32 v0, s36 :: v_dual_mov_b32 v1, s37
	;; [unrolled: 1-line block ×7, first 2 shown]
	s_getpc_b64 s[0:1]
	s_wait_alu 0xfffe
	s_sext_i32_i16 s1, s1
	s_add_co_u32 s0, s0, _ZN7rocprim17ROCPRIM_400000_NS6detail26segmented_warp_sort_helperINS1_20WarpSortHelperConfigILj16ELj8ELj256EEEilLi256ELb1EvE4sortIPKiPiPKlPlEEvT_T0_T1_T2_jjjjRNS5_12storage_typeE@rel32@lo+12
	s_wait_alu 0xfffe
	s_add_co_ci_u32 s1, s1, _ZN7rocprim17ROCPRIM_400000_NS6detail26segmented_warp_sort_helperINS1_20WarpSortHelperConfigILj16ELj8ELj256EEEilLi256ELb1EvE4sortIPKiPiPKlPlEEvT_T0_T1_T2_jjjjRNS5_12storage_typeE@rel32@hi+24
	s_mov_b64 s[8:9], s[22:23]
	s_wait_alu 0xfffe
	s_swappc_b64 s[30:31], s[0:1]
	v_mov_b32_e32 v0, v42
	s_mov_b32 s2, 0
.LBB513_4:
	s_wait_alu 0xfffe
	s_and_not1_b32 vcc_lo, exec_lo, s2
	s_wait_alu 0xfffe
	s_cbranch_vccnz .LBB513_6
; %bb.5:
	v_dual_mov_b32 v31, v0 :: v_dual_mov_b32 v0, s36
	v_dual_mov_b32 v1, s37 :: v_dual_mov_b32 v2, s40
	;; [unrolled: 1-line block ×6, first 2 shown]
	v_mov_b32_e32 v11, s29
	s_getpc_b64 s[0:1]
	s_wait_alu 0xfffe
	s_sext_i32_i16 s1, s1
	s_add_co_u32 s0, s0, _ZN7rocprim17ROCPRIM_400000_NS6detail26segmented_warp_sort_helperINS1_20WarpSortHelperConfigILj16ELj8ELj256EEEilLi256ELb1EvE4sortIPKiPiPKlPlEEvT_T0_T1_T2_jjjjRNS5_12storage_typeE@rel32@lo+12
	s_wait_alu 0xfffe
	s_add_co_ci_u32 s1, s1, _ZN7rocprim17ROCPRIM_400000_NS6detail26segmented_warp_sort_helperINS1_20WarpSortHelperConfigILj16ELj8ELj256EEEilLi256ELb1EvE4sortIPKiPiPKlPlEEvT_T0_T1_T2_jjjjRNS5_12storage_typeE@rel32@hi+24
	s_mov_b64 s[8:9], s[22:23]
	s_wait_alu 0xfffe
	s_swappc_b64 s[30:31], s[0:1]
.LBB513_6:
	s_endpgm
	.section	.rodata,"a",@progbits
	.p2align	6, 0x0
	.amdhsa_kernel _ZN7rocprim17ROCPRIM_400000_NS6detail17trampoline_kernelINS0_14default_configENS1_36segmented_radix_sort_config_selectorIilEEZNS1_25segmented_radix_sort_implIS3_Lb1EPKiPiPKlPlN2at6native12_GLOBAL__N_18offset_tEEE10hipError_tPvRmT1_PNSt15iterator_traitsISK_E10value_typeET2_T3_PNSL_ISQ_E10value_typeET4_jRbjT5_SW_jjP12ihipStream_tbEUlT_E0_NS1_11comp_targetILNS1_3genE10ELNS1_11target_archE1201ELNS1_3gpuE5ELNS1_3repE0EEENS1_60segmented_radix_sort_warp_sort_medium_config_static_selectorELNS0_4arch9wavefront6targetE0EEEvSK_
		.amdhsa_group_segment_fixed_size 24576
		.amdhsa_private_segment_fixed_size 0
		.amdhsa_kernarg_size 344
		.amdhsa_user_sgpr_count 2
		.amdhsa_user_sgpr_dispatch_ptr 0
		.amdhsa_user_sgpr_queue_ptr 0
		.amdhsa_user_sgpr_kernarg_segment_ptr 1
		.amdhsa_user_sgpr_dispatch_id 0
		.amdhsa_user_sgpr_private_segment_size 0
		.amdhsa_wavefront_size32 1
		.amdhsa_uses_dynamic_stack 0
		.amdhsa_enable_private_segment 0
		.amdhsa_system_sgpr_workgroup_id_x 1
		.amdhsa_system_sgpr_workgroup_id_y 1
		.amdhsa_system_sgpr_workgroup_id_z 0
		.amdhsa_system_sgpr_workgroup_info 0
		.amdhsa_system_vgpr_workitem_id 2
		.amdhsa_next_free_vgpr 121
		.amdhsa_next_free_sgpr 44
		.amdhsa_reserve_vcc 1
		.amdhsa_float_round_mode_32 0
		.amdhsa_float_round_mode_16_64 0
		.amdhsa_float_denorm_mode_32 3
		.amdhsa_float_denorm_mode_16_64 3
		.amdhsa_fp16_overflow 0
		.amdhsa_workgroup_processor_mode 1
		.amdhsa_memory_ordered 1
		.amdhsa_forward_progress 1
		.amdhsa_inst_pref_size 4
		.amdhsa_round_robin_scheduling 0
		.amdhsa_exception_fp_ieee_invalid_op 0
		.amdhsa_exception_fp_denorm_src 0
		.amdhsa_exception_fp_ieee_div_zero 0
		.amdhsa_exception_fp_ieee_overflow 0
		.amdhsa_exception_fp_ieee_underflow 0
		.amdhsa_exception_fp_ieee_inexact 0
		.amdhsa_exception_int_div_zero 0
	.end_amdhsa_kernel
	.section	.text._ZN7rocprim17ROCPRIM_400000_NS6detail17trampoline_kernelINS0_14default_configENS1_36segmented_radix_sort_config_selectorIilEEZNS1_25segmented_radix_sort_implIS3_Lb1EPKiPiPKlPlN2at6native12_GLOBAL__N_18offset_tEEE10hipError_tPvRmT1_PNSt15iterator_traitsISK_E10value_typeET2_T3_PNSL_ISQ_E10value_typeET4_jRbjT5_SW_jjP12ihipStream_tbEUlT_E0_NS1_11comp_targetILNS1_3genE10ELNS1_11target_archE1201ELNS1_3gpuE5ELNS1_3repE0EEENS1_60segmented_radix_sort_warp_sort_medium_config_static_selectorELNS0_4arch9wavefront6targetE0EEEvSK_,"axG",@progbits,_ZN7rocprim17ROCPRIM_400000_NS6detail17trampoline_kernelINS0_14default_configENS1_36segmented_radix_sort_config_selectorIilEEZNS1_25segmented_radix_sort_implIS3_Lb1EPKiPiPKlPlN2at6native12_GLOBAL__N_18offset_tEEE10hipError_tPvRmT1_PNSt15iterator_traitsISK_E10value_typeET2_T3_PNSL_ISQ_E10value_typeET4_jRbjT5_SW_jjP12ihipStream_tbEUlT_E0_NS1_11comp_targetILNS1_3genE10ELNS1_11target_archE1201ELNS1_3gpuE5ELNS1_3repE0EEENS1_60segmented_radix_sort_warp_sort_medium_config_static_selectorELNS0_4arch9wavefront6targetE0EEEvSK_,comdat
.Lfunc_end513:
	.size	_ZN7rocprim17ROCPRIM_400000_NS6detail17trampoline_kernelINS0_14default_configENS1_36segmented_radix_sort_config_selectorIilEEZNS1_25segmented_radix_sort_implIS3_Lb1EPKiPiPKlPlN2at6native12_GLOBAL__N_18offset_tEEE10hipError_tPvRmT1_PNSt15iterator_traitsISK_E10value_typeET2_T3_PNSL_ISQ_E10value_typeET4_jRbjT5_SW_jjP12ihipStream_tbEUlT_E0_NS1_11comp_targetILNS1_3genE10ELNS1_11target_archE1201ELNS1_3gpuE5ELNS1_3repE0EEENS1_60segmented_radix_sort_warp_sort_medium_config_static_selectorELNS0_4arch9wavefront6targetE0EEEvSK_, .Lfunc_end513-_ZN7rocprim17ROCPRIM_400000_NS6detail17trampoline_kernelINS0_14default_configENS1_36segmented_radix_sort_config_selectorIilEEZNS1_25segmented_radix_sort_implIS3_Lb1EPKiPiPKlPlN2at6native12_GLOBAL__N_18offset_tEEE10hipError_tPvRmT1_PNSt15iterator_traitsISK_E10value_typeET2_T3_PNSL_ISQ_E10value_typeET4_jRbjT5_SW_jjP12ihipStream_tbEUlT_E0_NS1_11comp_targetILNS1_3genE10ELNS1_11target_archE1201ELNS1_3gpuE5ELNS1_3repE0EEENS1_60segmented_radix_sort_warp_sort_medium_config_static_selectorELNS0_4arch9wavefront6targetE0EEEvSK_
                                        ; -- End function
	.set _ZN7rocprim17ROCPRIM_400000_NS6detail17trampoline_kernelINS0_14default_configENS1_36segmented_radix_sort_config_selectorIilEEZNS1_25segmented_radix_sort_implIS3_Lb1EPKiPiPKlPlN2at6native12_GLOBAL__N_18offset_tEEE10hipError_tPvRmT1_PNSt15iterator_traitsISK_E10value_typeET2_T3_PNSL_ISQ_E10value_typeET4_jRbjT5_SW_jjP12ihipStream_tbEUlT_E0_NS1_11comp_targetILNS1_3genE10ELNS1_11target_archE1201ELNS1_3gpuE5ELNS1_3repE0EEENS1_60segmented_radix_sort_warp_sort_medium_config_static_selectorELNS0_4arch9wavefront6targetE0EEEvSK_.num_vgpr, max(43, .L_ZN7rocprim17ROCPRIM_400000_NS6detail26segmented_warp_sort_helperINS1_20WarpSortHelperConfigILj16ELj8ELj256EEEilLi256ELb1EvE4sortIPKiPiPKlPlEEvT_T0_T1_T2_jjjjRNS5_12storage_typeE.num_vgpr)
	.set _ZN7rocprim17ROCPRIM_400000_NS6detail17trampoline_kernelINS0_14default_configENS1_36segmented_radix_sort_config_selectorIilEEZNS1_25segmented_radix_sort_implIS3_Lb1EPKiPiPKlPlN2at6native12_GLOBAL__N_18offset_tEEE10hipError_tPvRmT1_PNSt15iterator_traitsISK_E10value_typeET2_T3_PNSL_ISQ_E10value_typeET4_jRbjT5_SW_jjP12ihipStream_tbEUlT_E0_NS1_11comp_targetILNS1_3genE10ELNS1_11target_archE1201ELNS1_3gpuE5ELNS1_3repE0EEENS1_60segmented_radix_sort_warp_sort_medium_config_static_selectorELNS0_4arch9wavefront6targetE0EEEvSK_.num_agpr, max(0, .L_ZN7rocprim17ROCPRIM_400000_NS6detail26segmented_warp_sort_helperINS1_20WarpSortHelperConfigILj16ELj8ELj256EEEilLi256ELb1EvE4sortIPKiPiPKlPlEEvT_T0_T1_T2_jjjjRNS5_12storage_typeE.num_agpr)
	.set _ZN7rocprim17ROCPRIM_400000_NS6detail17trampoline_kernelINS0_14default_configENS1_36segmented_radix_sort_config_selectorIilEEZNS1_25segmented_radix_sort_implIS3_Lb1EPKiPiPKlPlN2at6native12_GLOBAL__N_18offset_tEEE10hipError_tPvRmT1_PNSt15iterator_traitsISK_E10value_typeET2_T3_PNSL_ISQ_E10value_typeET4_jRbjT5_SW_jjP12ihipStream_tbEUlT_E0_NS1_11comp_targetILNS1_3genE10ELNS1_11target_archE1201ELNS1_3gpuE5ELNS1_3repE0EEENS1_60segmented_radix_sort_warp_sort_medium_config_static_selectorELNS0_4arch9wavefront6targetE0EEEvSK_.numbered_sgpr, max(44, .L_ZN7rocprim17ROCPRIM_400000_NS6detail26segmented_warp_sort_helperINS1_20WarpSortHelperConfigILj16ELj8ELj256EEEilLi256ELb1EvE4sortIPKiPiPKlPlEEvT_T0_T1_T2_jjjjRNS5_12storage_typeE.numbered_sgpr)
	.set _ZN7rocprim17ROCPRIM_400000_NS6detail17trampoline_kernelINS0_14default_configENS1_36segmented_radix_sort_config_selectorIilEEZNS1_25segmented_radix_sort_implIS3_Lb1EPKiPiPKlPlN2at6native12_GLOBAL__N_18offset_tEEE10hipError_tPvRmT1_PNSt15iterator_traitsISK_E10value_typeET2_T3_PNSL_ISQ_E10value_typeET4_jRbjT5_SW_jjP12ihipStream_tbEUlT_E0_NS1_11comp_targetILNS1_3genE10ELNS1_11target_archE1201ELNS1_3gpuE5ELNS1_3repE0EEENS1_60segmented_radix_sort_warp_sort_medium_config_static_selectorELNS0_4arch9wavefront6targetE0EEEvSK_.num_named_barrier, max(0, .L_ZN7rocprim17ROCPRIM_400000_NS6detail26segmented_warp_sort_helperINS1_20WarpSortHelperConfigILj16ELj8ELj256EEEilLi256ELb1EvE4sortIPKiPiPKlPlEEvT_T0_T1_T2_jjjjRNS5_12storage_typeE.num_named_barrier)
	.set _ZN7rocprim17ROCPRIM_400000_NS6detail17trampoline_kernelINS0_14default_configENS1_36segmented_radix_sort_config_selectorIilEEZNS1_25segmented_radix_sort_implIS3_Lb1EPKiPiPKlPlN2at6native12_GLOBAL__N_18offset_tEEE10hipError_tPvRmT1_PNSt15iterator_traitsISK_E10value_typeET2_T3_PNSL_ISQ_E10value_typeET4_jRbjT5_SW_jjP12ihipStream_tbEUlT_E0_NS1_11comp_targetILNS1_3genE10ELNS1_11target_archE1201ELNS1_3gpuE5ELNS1_3repE0EEENS1_60segmented_radix_sort_warp_sort_medium_config_static_selectorELNS0_4arch9wavefront6targetE0EEEvSK_.private_seg_size, 0+max(.L_ZN7rocprim17ROCPRIM_400000_NS6detail26segmented_warp_sort_helperINS1_20WarpSortHelperConfigILj16ELj8ELj256EEEilLi256ELb1EvE4sortIPKiPiPKlPlEEvT_T0_T1_T2_jjjjRNS5_12storage_typeE.private_seg_size)
	.set _ZN7rocprim17ROCPRIM_400000_NS6detail17trampoline_kernelINS0_14default_configENS1_36segmented_radix_sort_config_selectorIilEEZNS1_25segmented_radix_sort_implIS3_Lb1EPKiPiPKlPlN2at6native12_GLOBAL__N_18offset_tEEE10hipError_tPvRmT1_PNSt15iterator_traitsISK_E10value_typeET2_T3_PNSL_ISQ_E10value_typeET4_jRbjT5_SW_jjP12ihipStream_tbEUlT_E0_NS1_11comp_targetILNS1_3genE10ELNS1_11target_archE1201ELNS1_3gpuE5ELNS1_3repE0EEENS1_60segmented_radix_sort_warp_sort_medium_config_static_selectorELNS0_4arch9wavefront6targetE0EEEvSK_.uses_vcc, or(1, .L_ZN7rocprim17ROCPRIM_400000_NS6detail26segmented_warp_sort_helperINS1_20WarpSortHelperConfigILj16ELj8ELj256EEEilLi256ELb1EvE4sortIPKiPiPKlPlEEvT_T0_T1_T2_jjjjRNS5_12storage_typeE.uses_vcc)
	.set _ZN7rocprim17ROCPRIM_400000_NS6detail17trampoline_kernelINS0_14default_configENS1_36segmented_radix_sort_config_selectorIilEEZNS1_25segmented_radix_sort_implIS3_Lb1EPKiPiPKlPlN2at6native12_GLOBAL__N_18offset_tEEE10hipError_tPvRmT1_PNSt15iterator_traitsISK_E10value_typeET2_T3_PNSL_ISQ_E10value_typeET4_jRbjT5_SW_jjP12ihipStream_tbEUlT_E0_NS1_11comp_targetILNS1_3genE10ELNS1_11target_archE1201ELNS1_3gpuE5ELNS1_3repE0EEENS1_60segmented_radix_sort_warp_sort_medium_config_static_selectorELNS0_4arch9wavefront6targetE0EEEvSK_.uses_flat_scratch, or(0, .L_ZN7rocprim17ROCPRIM_400000_NS6detail26segmented_warp_sort_helperINS1_20WarpSortHelperConfigILj16ELj8ELj256EEEilLi256ELb1EvE4sortIPKiPiPKlPlEEvT_T0_T1_T2_jjjjRNS5_12storage_typeE.uses_flat_scratch)
	.set _ZN7rocprim17ROCPRIM_400000_NS6detail17trampoline_kernelINS0_14default_configENS1_36segmented_radix_sort_config_selectorIilEEZNS1_25segmented_radix_sort_implIS3_Lb1EPKiPiPKlPlN2at6native12_GLOBAL__N_18offset_tEEE10hipError_tPvRmT1_PNSt15iterator_traitsISK_E10value_typeET2_T3_PNSL_ISQ_E10value_typeET4_jRbjT5_SW_jjP12ihipStream_tbEUlT_E0_NS1_11comp_targetILNS1_3genE10ELNS1_11target_archE1201ELNS1_3gpuE5ELNS1_3repE0EEENS1_60segmented_radix_sort_warp_sort_medium_config_static_selectorELNS0_4arch9wavefront6targetE0EEEvSK_.has_dyn_sized_stack, or(0, .L_ZN7rocprim17ROCPRIM_400000_NS6detail26segmented_warp_sort_helperINS1_20WarpSortHelperConfigILj16ELj8ELj256EEEilLi256ELb1EvE4sortIPKiPiPKlPlEEvT_T0_T1_T2_jjjjRNS5_12storage_typeE.has_dyn_sized_stack)
	.set _ZN7rocprim17ROCPRIM_400000_NS6detail17trampoline_kernelINS0_14default_configENS1_36segmented_radix_sort_config_selectorIilEEZNS1_25segmented_radix_sort_implIS3_Lb1EPKiPiPKlPlN2at6native12_GLOBAL__N_18offset_tEEE10hipError_tPvRmT1_PNSt15iterator_traitsISK_E10value_typeET2_T3_PNSL_ISQ_E10value_typeET4_jRbjT5_SW_jjP12ihipStream_tbEUlT_E0_NS1_11comp_targetILNS1_3genE10ELNS1_11target_archE1201ELNS1_3gpuE5ELNS1_3repE0EEENS1_60segmented_radix_sort_warp_sort_medium_config_static_selectorELNS0_4arch9wavefront6targetE0EEEvSK_.has_recursion, or(0, .L_ZN7rocprim17ROCPRIM_400000_NS6detail26segmented_warp_sort_helperINS1_20WarpSortHelperConfigILj16ELj8ELj256EEEilLi256ELb1EvE4sortIPKiPiPKlPlEEvT_T0_T1_T2_jjjjRNS5_12storage_typeE.has_recursion)
	.set _ZN7rocprim17ROCPRIM_400000_NS6detail17trampoline_kernelINS0_14default_configENS1_36segmented_radix_sort_config_selectorIilEEZNS1_25segmented_radix_sort_implIS3_Lb1EPKiPiPKlPlN2at6native12_GLOBAL__N_18offset_tEEE10hipError_tPvRmT1_PNSt15iterator_traitsISK_E10value_typeET2_T3_PNSL_ISQ_E10value_typeET4_jRbjT5_SW_jjP12ihipStream_tbEUlT_E0_NS1_11comp_targetILNS1_3genE10ELNS1_11target_archE1201ELNS1_3gpuE5ELNS1_3repE0EEENS1_60segmented_radix_sort_warp_sort_medium_config_static_selectorELNS0_4arch9wavefront6targetE0EEEvSK_.has_indirect_call, or(0, .L_ZN7rocprim17ROCPRIM_400000_NS6detail26segmented_warp_sort_helperINS1_20WarpSortHelperConfigILj16ELj8ELj256EEEilLi256ELb1EvE4sortIPKiPiPKlPlEEvT_T0_T1_T2_jjjjRNS5_12storage_typeE.has_indirect_call)
	.section	.AMDGPU.csdata,"",@progbits
; Kernel info:
; codeLenInByte = 512
; TotalNumSgprs: 46
; NumVgprs: 81
; ScratchSize: 0
; MemoryBound: 0
; FloatMode: 240
; IeeeMode: 1
; LDSByteSize: 24576 bytes/workgroup (compile time only)
; SGPRBlocks: 0
; VGPRBlocks: 15
; NumSGPRsForWavesPerEU: 46
; NumVGPRsForWavesPerEU: 121
; Occupancy: 10
; WaveLimiterHint : 0
; COMPUTE_PGM_RSRC2:SCRATCH_EN: 0
; COMPUTE_PGM_RSRC2:USER_SGPR: 2
; COMPUTE_PGM_RSRC2:TRAP_HANDLER: 0
; COMPUTE_PGM_RSRC2:TGID_X_EN: 1
; COMPUTE_PGM_RSRC2:TGID_Y_EN: 1
; COMPUTE_PGM_RSRC2:TGID_Z_EN: 0
; COMPUTE_PGM_RSRC2:TIDIG_COMP_CNT: 2
	.section	.text._ZN7rocprim17ROCPRIM_400000_NS6detail17trampoline_kernelINS0_14default_configENS1_36segmented_radix_sort_config_selectorIilEEZNS1_25segmented_radix_sort_implIS3_Lb1EPKiPiPKlPlN2at6native12_GLOBAL__N_18offset_tEEE10hipError_tPvRmT1_PNSt15iterator_traitsISK_E10value_typeET2_T3_PNSL_ISQ_E10value_typeET4_jRbjT5_SW_jjP12ihipStream_tbEUlT_E0_NS1_11comp_targetILNS1_3genE10ELNS1_11target_archE1200ELNS1_3gpuE4ELNS1_3repE0EEENS1_60segmented_radix_sort_warp_sort_medium_config_static_selectorELNS0_4arch9wavefront6targetE0EEEvSK_,"axG",@progbits,_ZN7rocprim17ROCPRIM_400000_NS6detail17trampoline_kernelINS0_14default_configENS1_36segmented_radix_sort_config_selectorIilEEZNS1_25segmented_radix_sort_implIS3_Lb1EPKiPiPKlPlN2at6native12_GLOBAL__N_18offset_tEEE10hipError_tPvRmT1_PNSt15iterator_traitsISK_E10value_typeET2_T3_PNSL_ISQ_E10value_typeET4_jRbjT5_SW_jjP12ihipStream_tbEUlT_E0_NS1_11comp_targetILNS1_3genE10ELNS1_11target_archE1200ELNS1_3gpuE4ELNS1_3repE0EEENS1_60segmented_radix_sort_warp_sort_medium_config_static_selectorELNS0_4arch9wavefront6targetE0EEEvSK_,comdat
	.globl	_ZN7rocprim17ROCPRIM_400000_NS6detail17trampoline_kernelINS0_14default_configENS1_36segmented_radix_sort_config_selectorIilEEZNS1_25segmented_radix_sort_implIS3_Lb1EPKiPiPKlPlN2at6native12_GLOBAL__N_18offset_tEEE10hipError_tPvRmT1_PNSt15iterator_traitsISK_E10value_typeET2_T3_PNSL_ISQ_E10value_typeET4_jRbjT5_SW_jjP12ihipStream_tbEUlT_E0_NS1_11comp_targetILNS1_3genE10ELNS1_11target_archE1200ELNS1_3gpuE4ELNS1_3repE0EEENS1_60segmented_radix_sort_warp_sort_medium_config_static_selectorELNS0_4arch9wavefront6targetE0EEEvSK_ ; -- Begin function _ZN7rocprim17ROCPRIM_400000_NS6detail17trampoline_kernelINS0_14default_configENS1_36segmented_radix_sort_config_selectorIilEEZNS1_25segmented_radix_sort_implIS3_Lb1EPKiPiPKlPlN2at6native12_GLOBAL__N_18offset_tEEE10hipError_tPvRmT1_PNSt15iterator_traitsISK_E10value_typeET2_T3_PNSL_ISQ_E10value_typeET4_jRbjT5_SW_jjP12ihipStream_tbEUlT_E0_NS1_11comp_targetILNS1_3genE10ELNS1_11target_archE1200ELNS1_3gpuE4ELNS1_3repE0EEENS1_60segmented_radix_sort_warp_sort_medium_config_static_selectorELNS0_4arch9wavefront6targetE0EEEvSK_
	.p2align	8
	.type	_ZN7rocprim17ROCPRIM_400000_NS6detail17trampoline_kernelINS0_14default_configENS1_36segmented_radix_sort_config_selectorIilEEZNS1_25segmented_radix_sort_implIS3_Lb1EPKiPiPKlPlN2at6native12_GLOBAL__N_18offset_tEEE10hipError_tPvRmT1_PNSt15iterator_traitsISK_E10value_typeET2_T3_PNSL_ISQ_E10value_typeET4_jRbjT5_SW_jjP12ihipStream_tbEUlT_E0_NS1_11comp_targetILNS1_3genE10ELNS1_11target_archE1200ELNS1_3gpuE4ELNS1_3repE0EEENS1_60segmented_radix_sort_warp_sort_medium_config_static_selectorELNS0_4arch9wavefront6targetE0EEEvSK_,@function
_ZN7rocprim17ROCPRIM_400000_NS6detail17trampoline_kernelINS0_14default_configENS1_36segmented_radix_sort_config_selectorIilEEZNS1_25segmented_radix_sort_implIS3_Lb1EPKiPiPKlPlN2at6native12_GLOBAL__N_18offset_tEEE10hipError_tPvRmT1_PNSt15iterator_traitsISK_E10value_typeET2_T3_PNSL_ISQ_E10value_typeET4_jRbjT5_SW_jjP12ihipStream_tbEUlT_E0_NS1_11comp_targetILNS1_3genE10ELNS1_11target_archE1200ELNS1_3gpuE4ELNS1_3repE0EEENS1_60segmented_radix_sort_warp_sort_medium_config_static_selectorELNS0_4arch9wavefront6targetE0EEEvSK_: ; @_ZN7rocprim17ROCPRIM_400000_NS6detail17trampoline_kernelINS0_14default_configENS1_36segmented_radix_sort_config_selectorIilEEZNS1_25segmented_radix_sort_implIS3_Lb1EPKiPiPKlPlN2at6native12_GLOBAL__N_18offset_tEEE10hipError_tPvRmT1_PNSt15iterator_traitsISK_E10value_typeET2_T3_PNSL_ISQ_E10value_typeET4_jRbjT5_SW_jjP12ihipStream_tbEUlT_E0_NS1_11comp_targetILNS1_3genE10ELNS1_11target_archE1200ELNS1_3gpuE4ELNS1_3repE0EEENS1_60segmented_radix_sort_warp_sort_medium_config_static_selectorELNS0_4arch9wavefront6targetE0EEEvSK_
; %bb.0:
	.section	.rodata,"a",@progbits
	.p2align	6, 0x0
	.amdhsa_kernel _ZN7rocprim17ROCPRIM_400000_NS6detail17trampoline_kernelINS0_14default_configENS1_36segmented_radix_sort_config_selectorIilEEZNS1_25segmented_radix_sort_implIS3_Lb1EPKiPiPKlPlN2at6native12_GLOBAL__N_18offset_tEEE10hipError_tPvRmT1_PNSt15iterator_traitsISK_E10value_typeET2_T3_PNSL_ISQ_E10value_typeET4_jRbjT5_SW_jjP12ihipStream_tbEUlT_E0_NS1_11comp_targetILNS1_3genE10ELNS1_11target_archE1200ELNS1_3gpuE4ELNS1_3repE0EEENS1_60segmented_radix_sort_warp_sort_medium_config_static_selectorELNS0_4arch9wavefront6targetE0EEEvSK_
		.amdhsa_group_segment_fixed_size 0
		.amdhsa_private_segment_fixed_size 0
		.amdhsa_kernarg_size 88
		.amdhsa_user_sgpr_count 2
		.amdhsa_user_sgpr_dispatch_ptr 0
		.amdhsa_user_sgpr_queue_ptr 0
		.amdhsa_user_sgpr_kernarg_segment_ptr 1
		.amdhsa_user_sgpr_dispatch_id 0
		.amdhsa_user_sgpr_private_segment_size 0
		.amdhsa_wavefront_size32 1
		.amdhsa_uses_dynamic_stack 0
		.amdhsa_enable_private_segment 0
		.amdhsa_system_sgpr_workgroup_id_x 1
		.amdhsa_system_sgpr_workgroup_id_y 0
		.amdhsa_system_sgpr_workgroup_id_z 0
		.amdhsa_system_sgpr_workgroup_info 0
		.amdhsa_system_vgpr_workitem_id 0
		.amdhsa_next_free_vgpr 1
		.amdhsa_next_free_sgpr 1
		.amdhsa_reserve_vcc 0
		.amdhsa_float_round_mode_32 0
		.amdhsa_float_round_mode_16_64 0
		.amdhsa_float_denorm_mode_32 3
		.amdhsa_float_denorm_mode_16_64 3
		.amdhsa_fp16_overflow 0
		.amdhsa_workgroup_processor_mode 1
		.amdhsa_memory_ordered 1
		.amdhsa_forward_progress 1
		.amdhsa_inst_pref_size 0
		.amdhsa_round_robin_scheduling 0
		.amdhsa_exception_fp_ieee_invalid_op 0
		.amdhsa_exception_fp_denorm_src 0
		.amdhsa_exception_fp_ieee_div_zero 0
		.amdhsa_exception_fp_ieee_overflow 0
		.amdhsa_exception_fp_ieee_underflow 0
		.amdhsa_exception_fp_ieee_inexact 0
		.amdhsa_exception_int_div_zero 0
	.end_amdhsa_kernel
	.section	.text._ZN7rocprim17ROCPRIM_400000_NS6detail17trampoline_kernelINS0_14default_configENS1_36segmented_radix_sort_config_selectorIilEEZNS1_25segmented_radix_sort_implIS3_Lb1EPKiPiPKlPlN2at6native12_GLOBAL__N_18offset_tEEE10hipError_tPvRmT1_PNSt15iterator_traitsISK_E10value_typeET2_T3_PNSL_ISQ_E10value_typeET4_jRbjT5_SW_jjP12ihipStream_tbEUlT_E0_NS1_11comp_targetILNS1_3genE10ELNS1_11target_archE1200ELNS1_3gpuE4ELNS1_3repE0EEENS1_60segmented_radix_sort_warp_sort_medium_config_static_selectorELNS0_4arch9wavefront6targetE0EEEvSK_,"axG",@progbits,_ZN7rocprim17ROCPRIM_400000_NS6detail17trampoline_kernelINS0_14default_configENS1_36segmented_radix_sort_config_selectorIilEEZNS1_25segmented_radix_sort_implIS3_Lb1EPKiPiPKlPlN2at6native12_GLOBAL__N_18offset_tEEE10hipError_tPvRmT1_PNSt15iterator_traitsISK_E10value_typeET2_T3_PNSL_ISQ_E10value_typeET4_jRbjT5_SW_jjP12ihipStream_tbEUlT_E0_NS1_11comp_targetILNS1_3genE10ELNS1_11target_archE1200ELNS1_3gpuE4ELNS1_3repE0EEENS1_60segmented_radix_sort_warp_sort_medium_config_static_selectorELNS0_4arch9wavefront6targetE0EEEvSK_,comdat
.Lfunc_end514:
	.size	_ZN7rocprim17ROCPRIM_400000_NS6detail17trampoline_kernelINS0_14default_configENS1_36segmented_radix_sort_config_selectorIilEEZNS1_25segmented_radix_sort_implIS3_Lb1EPKiPiPKlPlN2at6native12_GLOBAL__N_18offset_tEEE10hipError_tPvRmT1_PNSt15iterator_traitsISK_E10value_typeET2_T3_PNSL_ISQ_E10value_typeET4_jRbjT5_SW_jjP12ihipStream_tbEUlT_E0_NS1_11comp_targetILNS1_3genE10ELNS1_11target_archE1200ELNS1_3gpuE4ELNS1_3repE0EEENS1_60segmented_radix_sort_warp_sort_medium_config_static_selectorELNS0_4arch9wavefront6targetE0EEEvSK_, .Lfunc_end514-_ZN7rocprim17ROCPRIM_400000_NS6detail17trampoline_kernelINS0_14default_configENS1_36segmented_radix_sort_config_selectorIilEEZNS1_25segmented_radix_sort_implIS3_Lb1EPKiPiPKlPlN2at6native12_GLOBAL__N_18offset_tEEE10hipError_tPvRmT1_PNSt15iterator_traitsISK_E10value_typeET2_T3_PNSL_ISQ_E10value_typeET4_jRbjT5_SW_jjP12ihipStream_tbEUlT_E0_NS1_11comp_targetILNS1_3genE10ELNS1_11target_archE1200ELNS1_3gpuE4ELNS1_3repE0EEENS1_60segmented_radix_sort_warp_sort_medium_config_static_selectorELNS0_4arch9wavefront6targetE0EEEvSK_
                                        ; -- End function
	.set _ZN7rocprim17ROCPRIM_400000_NS6detail17trampoline_kernelINS0_14default_configENS1_36segmented_radix_sort_config_selectorIilEEZNS1_25segmented_radix_sort_implIS3_Lb1EPKiPiPKlPlN2at6native12_GLOBAL__N_18offset_tEEE10hipError_tPvRmT1_PNSt15iterator_traitsISK_E10value_typeET2_T3_PNSL_ISQ_E10value_typeET4_jRbjT5_SW_jjP12ihipStream_tbEUlT_E0_NS1_11comp_targetILNS1_3genE10ELNS1_11target_archE1200ELNS1_3gpuE4ELNS1_3repE0EEENS1_60segmented_radix_sort_warp_sort_medium_config_static_selectorELNS0_4arch9wavefront6targetE0EEEvSK_.num_vgpr, 0
	.set _ZN7rocprim17ROCPRIM_400000_NS6detail17trampoline_kernelINS0_14default_configENS1_36segmented_radix_sort_config_selectorIilEEZNS1_25segmented_radix_sort_implIS3_Lb1EPKiPiPKlPlN2at6native12_GLOBAL__N_18offset_tEEE10hipError_tPvRmT1_PNSt15iterator_traitsISK_E10value_typeET2_T3_PNSL_ISQ_E10value_typeET4_jRbjT5_SW_jjP12ihipStream_tbEUlT_E0_NS1_11comp_targetILNS1_3genE10ELNS1_11target_archE1200ELNS1_3gpuE4ELNS1_3repE0EEENS1_60segmented_radix_sort_warp_sort_medium_config_static_selectorELNS0_4arch9wavefront6targetE0EEEvSK_.num_agpr, 0
	.set _ZN7rocprim17ROCPRIM_400000_NS6detail17trampoline_kernelINS0_14default_configENS1_36segmented_radix_sort_config_selectorIilEEZNS1_25segmented_radix_sort_implIS3_Lb1EPKiPiPKlPlN2at6native12_GLOBAL__N_18offset_tEEE10hipError_tPvRmT1_PNSt15iterator_traitsISK_E10value_typeET2_T3_PNSL_ISQ_E10value_typeET4_jRbjT5_SW_jjP12ihipStream_tbEUlT_E0_NS1_11comp_targetILNS1_3genE10ELNS1_11target_archE1200ELNS1_3gpuE4ELNS1_3repE0EEENS1_60segmented_radix_sort_warp_sort_medium_config_static_selectorELNS0_4arch9wavefront6targetE0EEEvSK_.numbered_sgpr, 0
	.set _ZN7rocprim17ROCPRIM_400000_NS6detail17trampoline_kernelINS0_14default_configENS1_36segmented_radix_sort_config_selectorIilEEZNS1_25segmented_radix_sort_implIS3_Lb1EPKiPiPKlPlN2at6native12_GLOBAL__N_18offset_tEEE10hipError_tPvRmT1_PNSt15iterator_traitsISK_E10value_typeET2_T3_PNSL_ISQ_E10value_typeET4_jRbjT5_SW_jjP12ihipStream_tbEUlT_E0_NS1_11comp_targetILNS1_3genE10ELNS1_11target_archE1200ELNS1_3gpuE4ELNS1_3repE0EEENS1_60segmented_radix_sort_warp_sort_medium_config_static_selectorELNS0_4arch9wavefront6targetE0EEEvSK_.num_named_barrier, 0
	.set _ZN7rocprim17ROCPRIM_400000_NS6detail17trampoline_kernelINS0_14default_configENS1_36segmented_radix_sort_config_selectorIilEEZNS1_25segmented_radix_sort_implIS3_Lb1EPKiPiPKlPlN2at6native12_GLOBAL__N_18offset_tEEE10hipError_tPvRmT1_PNSt15iterator_traitsISK_E10value_typeET2_T3_PNSL_ISQ_E10value_typeET4_jRbjT5_SW_jjP12ihipStream_tbEUlT_E0_NS1_11comp_targetILNS1_3genE10ELNS1_11target_archE1200ELNS1_3gpuE4ELNS1_3repE0EEENS1_60segmented_radix_sort_warp_sort_medium_config_static_selectorELNS0_4arch9wavefront6targetE0EEEvSK_.private_seg_size, 0
	.set _ZN7rocprim17ROCPRIM_400000_NS6detail17trampoline_kernelINS0_14default_configENS1_36segmented_radix_sort_config_selectorIilEEZNS1_25segmented_radix_sort_implIS3_Lb1EPKiPiPKlPlN2at6native12_GLOBAL__N_18offset_tEEE10hipError_tPvRmT1_PNSt15iterator_traitsISK_E10value_typeET2_T3_PNSL_ISQ_E10value_typeET4_jRbjT5_SW_jjP12ihipStream_tbEUlT_E0_NS1_11comp_targetILNS1_3genE10ELNS1_11target_archE1200ELNS1_3gpuE4ELNS1_3repE0EEENS1_60segmented_radix_sort_warp_sort_medium_config_static_selectorELNS0_4arch9wavefront6targetE0EEEvSK_.uses_vcc, 0
	.set _ZN7rocprim17ROCPRIM_400000_NS6detail17trampoline_kernelINS0_14default_configENS1_36segmented_radix_sort_config_selectorIilEEZNS1_25segmented_radix_sort_implIS3_Lb1EPKiPiPKlPlN2at6native12_GLOBAL__N_18offset_tEEE10hipError_tPvRmT1_PNSt15iterator_traitsISK_E10value_typeET2_T3_PNSL_ISQ_E10value_typeET4_jRbjT5_SW_jjP12ihipStream_tbEUlT_E0_NS1_11comp_targetILNS1_3genE10ELNS1_11target_archE1200ELNS1_3gpuE4ELNS1_3repE0EEENS1_60segmented_radix_sort_warp_sort_medium_config_static_selectorELNS0_4arch9wavefront6targetE0EEEvSK_.uses_flat_scratch, 0
	.set _ZN7rocprim17ROCPRIM_400000_NS6detail17trampoline_kernelINS0_14default_configENS1_36segmented_radix_sort_config_selectorIilEEZNS1_25segmented_radix_sort_implIS3_Lb1EPKiPiPKlPlN2at6native12_GLOBAL__N_18offset_tEEE10hipError_tPvRmT1_PNSt15iterator_traitsISK_E10value_typeET2_T3_PNSL_ISQ_E10value_typeET4_jRbjT5_SW_jjP12ihipStream_tbEUlT_E0_NS1_11comp_targetILNS1_3genE10ELNS1_11target_archE1200ELNS1_3gpuE4ELNS1_3repE0EEENS1_60segmented_radix_sort_warp_sort_medium_config_static_selectorELNS0_4arch9wavefront6targetE0EEEvSK_.has_dyn_sized_stack, 0
	.set _ZN7rocprim17ROCPRIM_400000_NS6detail17trampoline_kernelINS0_14default_configENS1_36segmented_radix_sort_config_selectorIilEEZNS1_25segmented_radix_sort_implIS3_Lb1EPKiPiPKlPlN2at6native12_GLOBAL__N_18offset_tEEE10hipError_tPvRmT1_PNSt15iterator_traitsISK_E10value_typeET2_T3_PNSL_ISQ_E10value_typeET4_jRbjT5_SW_jjP12ihipStream_tbEUlT_E0_NS1_11comp_targetILNS1_3genE10ELNS1_11target_archE1200ELNS1_3gpuE4ELNS1_3repE0EEENS1_60segmented_radix_sort_warp_sort_medium_config_static_selectorELNS0_4arch9wavefront6targetE0EEEvSK_.has_recursion, 0
	.set _ZN7rocprim17ROCPRIM_400000_NS6detail17trampoline_kernelINS0_14default_configENS1_36segmented_radix_sort_config_selectorIilEEZNS1_25segmented_radix_sort_implIS3_Lb1EPKiPiPKlPlN2at6native12_GLOBAL__N_18offset_tEEE10hipError_tPvRmT1_PNSt15iterator_traitsISK_E10value_typeET2_T3_PNSL_ISQ_E10value_typeET4_jRbjT5_SW_jjP12ihipStream_tbEUlT_E0_NS1_11comp_targetILNS1_3genE10ELNS1_11target_archE1200ELNS1_3gpuE4ELNS1_3repE0EEENS1_60segmented_radix_sort_warp_sort_medium_config_static_selectorELNS0_4arch9wavefront6targetE0EEEvSK_.has_indirect_call, 0
	.section	.AMDGPU.csdata,"",@progbits
; Kernel info:
; codeLenInByte = 0
; TotalNumSgprs: 0
; NumVgprs: 0
; ScratchSize: 0
; MemoryBound: 0
; FloatMode: 240
; IeeeMode: 1
; LDSByteSize: 0 bytes/workgroup (compile time only)
; SGPRBlocks: 0
; VGPRBlocks: 0
; NumSGPRsForWavesPerEU: 1
; NumVGPRsForWavesPerEU: 1
; Occupancy: 16
; WaveLimiterHint : 0
; COMPUTE_PGM_RSRC2:SCRATCH_EN: 0
; COMPUTE_PGM_RSRC2:USER_SGPR: 2
; COMPUTE_PGM_RSRC2:TRAP_HANDLER: 0
; COMPUTE_PGM_RSRC2:TGID_X_EN: 1
; COMPUTE_PGM_RSRC2:TGID_Y_EN: 0
; COMPUTE_PGM_RSRC2:TGID_Z_EN: 0
; COMPUTE_PGM_RSRC2:TIDIG_COMP_CNT: 0
	.section	.text._ZN7rocprim17ROCPRIM_400000_NS6detail17trampoline_kernelINS0_14default_configENS1_36segmented_radix_sort_config_selectorIilEEZNS1_25segmented_radix_sort_implIS3_Lb1EPKiPiPKlPlN2at6native12_GLOBAL__N_18offset_tEEE10hipError_tPvRmT1_PNSt15iterator_traitsISK_E10value_typeET2_T3_PNSL_ISQ_E10value_typeET4_jRbjT5_SW_jjP12ihipStream_tbEUlT_E0_NS1_11comp_targetILNS1_3genE9ELNS1_11target_archE1100ELNS1_3gpuE3ELNS1_3repE0EEENS1_60segmented_radix_sort_warp_sort_medium_config_static_selectorELNS0_4arch9wavefront6targetE0EEEvSK_,"axG",@progbits,_ZN7rocprim17ROCPRIM_400000_NS6detail17trampoline_kernelINS0_14default_configENS1_36segmented_radix_sort_config_selectorIilEEZNS1_25segmented_radix_sort_implIS3_Lb1EPKiPiPKlPlN2at6native12_GLOBAL__N_18offset_tEEE10hipError_tPvRmT1_PNSt15iterator_traitsISK_E10value_typeET2_T3_PNSL_ISQ_E10value_typeET4_jRbjT5_SW_jjP12ihipStream_tbEUlT_E0_NS1_11comp_targetILNS1_3genE9ELNS1_11target_archE1100ELNS1_3gpuE3ELNS1_3repE0EEENS1_60segmented_radix_sort_warp_sort_medium_config_static_selectorELNS0_4arch9wavefront6targetE0EEEvSK_,comdat
	.globl	_ZN7rocprim17ROCPRIM_400000_NS6detail17trampoline_kernelINS0_14default_configENS1_36segmented_radix_sort_config_selectorIilEEZNS1_25segmented_radix_sort_implIS3_Lb1EPKiPiPKlPlN2at6native12_GLOBAL__N_18offset_tEEE10hipError_tPvRmT1_PNSt15iterator_traitsISK_E10value_typeET2_T3_PNSL_ISQ_E10value_typeET4_jRbjT5_SW_jjP12ihipStream_tbEUlT_E0_NS1_11comp_targetILNS1_3genE9ELNS1_11target_archE1100ELNS1_3gpuE3ELNS1_3repE0EEENS1_60segmented_radix_sort_warp_sort_medium_config_static_selectorELNS0_4arch9wavefront6targetE0EEEvSK_ ; -- Begin function _ZN7rocprim17ROCPRIM_400000_NS6detail17trampoline_kernelINS0_14default_configENS1_36segmented_radix_sort_config_selectorIilEEZNS1_25segmented_radix_sort_implIS3_Lb1EPKiPiPKlPlN2at6native12_GLOBAL__N_18offset_tEEE10hipError_tPvRmT1_PNSt15iterator_traitsISK_E10value_typeET2_T3_PNSL_ISQ_E10value_typeET4_jRbjT5_SW_jjP12ihipStream_tbEUlT_E0_NS1_11comp_targetILNS1_3genE9ELNS1_11target_archE1100ELNS1_3gpuE3ELNS1_3repE0EEENS1_60segmented_radix_sort_warp_sort_medium_config_static_selectorELNS0_4arch9wavefront6targetE0EEEvSK_
	.p2align	8
	.type	_ZN7rocprim17ROCPRIM_400000_NS6detail17trampoline_kernelINS0_14default_configENS1_36segmented_radix_sort_config_selectorIilEEZNS1_25segmented_radix_sort_implIS3_Lb1EPKiPiPKlPlN2at6native12_GLOBAL__N_18offset_tEEE10hipError_tPvRmT1_PNSt15iterator_traitsISK_E10value_typeET2_T3_PNSL_ISQ_E10value_typeET4_jRbjT5_SW_jjP12ihipStream_tbEUlT_E0_NS1_11comp_targetILNS1_3genE9ELNS1_11target_archE1100ELNS1_3gpuE3ELNS1_3repE0EEENS1_60segmented_radix_sort_warp_sort_medium_config_static_selectorELNS0_4arch9wavefront6targetE0EEEvSK_,@function
_ZN7rocprim17ROCPRIM_400000_NS6detail17trampoline_kernelINS0_14default_configENS1_36segmented_radix_sort_config_selectorIilEEZNS1_25segmented_radix_sort_implIS3_Lb1EPKiPiPKlPlN2at6native12_GLOBAL__N_18offset_tEEE10hipError_tPvRmT1_PNSt15iterator_traitsISK_E10value_typeET2_T3_PNSL_ISQ_E10value_typeET4_jRbjT5_SW_jjP12ihipStream_tbEUlT_E0_NS1_11comp_targetILNS1_3genE9ELNS1_11target_archE1100ELNS1_3gpuE3ELNS1_3repE0EEENS1_60segmented_radix_sort_warp_sort_medium_config_static_selectorELNS0_4arch9wavefront6targetE0EEEvSK_: ; @_ZN7rocprim17ROCPRIM_400000_NS6detail17trampoline_kernelINS0_14default_configENS1_36segmented_radix_sort_config_selectorIilEEZNS1_25segmented_radix_sort_implIS3_Lb1EPKiPiPKlPlN2at6native12_GLOBAL__N_18offset_tEEE10hipError_tPvRmT1_PNSt15iterator_traitsISK_E10value_typeET2_T3_PNSL_ISQ_E10value_typeET4_jRbjT5_SW_jjP12ihipStream_tbEUlT_E0_NS1_11comp_targetILNS1_3genE9ELNS1_11target_archE1100ELNS1_3gpuE3ELNS1_3repE0EEENS1_60segmented_radix_sort_warp_sort_medium_config_static_selectorELNS0_4arch9wavefront6targetE0EEEvSK_
; %bb.0:
	.section	.rodata,"a",@progbits
	.p2align	6, 0x0
	.amdhsa_kernel _ZN7rocprim17ROCPRIM_400000_NS6detail17trampoline_kernelINS0_14default_configENS1_36segmented_radix_sort_config_selectorIilEEZNS1_25segmented_radix_sort_implIS3_Lb1EPKiPiPKlPlN2at6native12_GLOBAL__N_18offset_tEEE10hipError_tPvRmT1_PNSt15iterator_traitsISK_E10value_typeET2_T3_PNSL_ISQ_E10value_typeET4_jRbjT5_SW_jjP12ihipStream_tbEUlT_E0_NS1_11comp_targetILNS1_3genE9ELNS1_11target_archE1100ELNS1_3gpuE3ELNS1_3repE0EEENS1_60segmented_radix_sort_warp_sort_medium_config_static_selectorELNS0_4arch9wavefront6targetE0EEEvSK_
		.amdhsa_group_segment_fixed_size 0
		.amdhsa_private_segment_fixed_size 0
		.amdhsa_kernarg_size 88
		.amdhsa_user_sgpr_count 2
		.amdhsa_user_sgpr_dispatch_ptr 0
		.amdhsa_user_sgpr_queue_ptr 0
		.amdhsa_user_sgpr_kernarg_segment_ptr 1
		.amdhsa_user_sgpr_dispatch_id 0
		.amdhsa_user_sgpr_private_segment_size 0
		.amdhsa_wavefront_size32 1
		.amdhsa_uses_dynamic_stack 0
		.amdhsa_enable_private_segment 0
		.amdhsa_system_sgpr_workgroup_id_x 1
		.amdhsa_system_sgpr_workgroup_id_y 0
		.amdhsa_system_sgpr_workgroup_id_z 0
		.amdhsa_system_sgpr_workgroup_info 0
		.amdhsa_system_vgpr_workitem_id 0
		.amdhsa_next_free_vgpr 1
		.amdhsa_next_free_sgpr 1
		.amdhsa_reserve_vcc 0
		.amdhsa_float_round_mode_32 0
		.amdhsa_float_round_mode_16_64 0
		.amdhsa_float_denorm_mode_32 3
		.amdhsa_float_denorm_mode_16_64 3
		.amdhsa_fp16_overflow 0
		.amdhsa_workgroup_processor_mode 1
		.amdhsa_memory_ordered 1
		.amdhsa_forward_progress 1
		.amdhsa_inst_pref_size 0
		.amdhsa_round_robin_scheduling 0
		.amdhsa_exception_fp_ieee_invalid_op 0
		.amdhsa_exception_fp_denorm_src 0
		.amdhsa_exception_fp_ieee_div_zero 0
		.amdhsa_exception_fp_ieee_overflow 0
		.amdhsa_exception_fp_ieee_underflow 0
		.amdhsa_exception_fp_ieee_inexact 0
		.amdhsa_exception_int_div_zero 0
	.end_amdhsa_kernel
	.section	.text._ZN7rocprim17ROCPRIM_400000_NS6detail17trampoline_kernelINS0_14default_configENS1_36segmented_radix_sort_config_selectorIilEEZNS1_25segmented_radix_sort_implIS3_Lb1EPKiPiPKlPlN2at6native12_GLOBAL__N_18offset_tEEE10hipError_tPvRmT1_PNSt15iterator_traitsISK_E10value_typeET2_T3_PNSL_ISQ_E10value_typeET4_jRbjT5_SW_jjP12ihipStream_tbEUlT_E0_NS1_11comp_targetILNS1_3genE9ELNS1_11target_archE1100ELNS1_3gpuE3ELNS1_3repE0EEENS1_60segmented_radix_sort_warp_sort_medium_config_static_selectorELNS0_4arch9wavefront6targetE0EEEvSK_,"axG",@progbits,_ZN7rocprim17ROCPRIM_400000_NS6detail17trampoline_kernelINS0_14default_configENS1_36segmented_radix_sort_config_selectorIilEEZNS1_25segmented_radix_sort_implIS3_Lb1EPKiPiPKlPlN2at6native12_GLOBAL__N_18offset_tEEE10hipError_tPvRmT1_PNSt15iterator_traitsISK_E10value_typeET2_T3_PNSL_ISQ_E10value_typeET4_jRbjT5_SW_jjP12ihipStream_tbEUlT_E0_NS1_11comp_targetILNS1_3genE9ELNS1_11target_archE1100ELNS1_3gpuE3ELNS1_3repE0EEENS1_60segmented_radix_sort_warp_sort_medium_config_static_selectorELNS0_4arch9wavefront6targetE0EEEvSK_,comdat
.Lfunc_end515:
	.size	_ZN7rocprim17ROCPRIM_400000_NS6detail17trampoline_kernelINS0_14default_configENS1_36segmented_radix_sort_config_selectorIilEEZNS1_25segmented_radix_sort_implIS3_Lb1EPKiPiPKlPlN2at6native12_GLOBAL__N_18offset_tEEE10hipError_tPvRmT1_PNSt15iterator_traitsISK_E10value_typeET2_T3_PNSL_ISQ_E10value_typeET4_jRbjT5_SW_jjP12ihipStream_tbEUlT_E0_NS1_11comp_targetILNS1_3genE9ELNS1_11target_archE1100ELNS1_3gpuE3ELNS1_3repE0EEENS1_60segmented_radix_sort_warp_sort_medium_config_static_selectorELNS0_4arch9wavefront6targetE0EEEvSK_, .Lfunc_end515-_ZN7rocprim17ROCPRIM_400000_NS6detail17trampoline_kernelINS0_14default_configENS1_36segmented_radix_sort_config_selectorIilEEZNS1_25segmented_radix_sort_implIS3_Lb1EPKiPiPKlPlN2at6native12_GLOBAL__N_18offset_tEEE10hipError_tPvRmT1_PNSt15iterator_traitsISK_E10value_typeET2_T3_PNSL_ISQ_E10value_typeET4_jRbjT5_SW_jjP12ihipStream_tbEUlT_E0_NS1_11comp_targetILNS1_3genE9ELNS1_11target_archE1100ELNS1_3gpuE3ELNS1_3repE0EEENS1_60segmented_radix_sort_warp_sort_medium_config_static_selectorELNS0_4arch9wavefront6targetE0EEEvSK_
                                        ; -- End function
	.set _ZN7rocprim17ROCPRIM_400000_NS6detail17trampoline_kernelINS0_14default_configENS1_36segmented_radix_sort_config_selectorIilEEZNS1_25segmented_radix_sort_implIS3_Lb1EPKiPiPKlPlN2at6native12_GLOBAL__N_18offset_tEEE10hipError_tPvRmT1_PNSt15iterator_traitsISK_E10value_typeET2_T3_PNSL_ISQ_E10value_typeET4_jRbjT5_SW_jjP12ihipStream_tbEUlT_E0_NS1_11comp_targetILNS1_3genE9ELNS1_11target_archE1100ELNS1_3gpuE3ELNS1_3repE0EEENS1_60segmented_radix_sort_warp_sort_medium_config_static_selectorELNS0_4arch9wavefront6targetE0EEEvSK_.num_vgpr, 0
	.set _ZN7rocprim17ROCPRIM_400000_NS6detail17trampoline_kernelINS0_14default_configENS1_36segmented_radix_sort_config_selectorIilEEZNS1_25segmented_radix_sort_implIS3_Lb1EPKiPiPKlPlN2at6native12_GLOBAL__N_18offset_tEEE10hipError_tPvRmT1_PNSt15iterator_traitsISK_E10value_typeET2_T3_PNSL_ISQ_E10value_typeET4_jRbjT5_SW_jjP12ihipStream_tbEUlT_E0_NS1_11comp_targetILNS1_3genE9ELNS1_11target_archE1100ELNS1_3gpuE3ELNS1_3repE0EEENS1_60segmented_radix_sort_warp_sort_medium_config_static_selectorELNS0_4arch9wavefront6targetE0EEEvSK_.num_agpr, 0
	.set _ZN7rocprim17ROCPRIM_400000_NS6detail17trampoline_kernelINS0_14default_configENS1_36segmented_radix_sort_config_selectorIilEEZNS1_25segmented_radix_sort_implIS3_Lb1EPKiPiPKlPlN2at6native12_GLOBAL__N_18offset_tEEE10hipError_tPvRmT1_PNSt15iterator_traitsISK_E10value_typeET2_T3_PNSL_ISQ_E10value_typeET4_jRbjT5_SW_jjP12ihipStream_tbEUlT_E0_NS1_11comp_targetILNS1_3genE9ELNS1_11target_archE1100ELNS1_3gpuE3ELNS1_3repE0EEENS1_60segmented_radix_sort_warp_sort_medium_config_static_selectorELNS0_4arch9wavefront6targetE0EEEvSK_.numbered_sgpr, 0
	.set _ZN7rocprim17ROCPRIM_400000_NS6detail17trampoline_kernelINS0_14default_configENS1_36segmented_radix_sort_config_selectorIilEEZNS1_25segmented_radix_sort_implIS3_Lb1EPKiPiPKlPlN2at6native12_GLOBAL__N_18offset_tEEE10hipError_tPvRmT1_PNSt15iterator_traitsISK_E10value_typeET2_T3_PNSL_ISQ_E10value_typeET4_jRbjT5_SW_jjP12ihipStream_tbEUlT_E0_NS1_11comp_targetILNS1_3genE9ELNS1_11target_archE1100ELNS1_3gpuE3ELNS1_3repE0EEENS1_60segmented_radix_sort_warp_sort_medium_config_static_selectorELNS0_4arch9wavefront6targetE0EEEvSK_.num_named_barrier, 0
	.set _ZN7rocprim17ROCPRIM_400000_NS6detail17trampoline_kernelINS0_14default_configENS1_36segmented_radix_sort_config_selectorIilEEZNS1_25segmented_radix_sort_implIS3_Lb1EPKiPiPKlPlN2at6native12_GLOBAL__N_18offset_tEEE10hipError_tPvRmT1_PNSt15iterator_traitsISK_E10value_typeET2_T3_PNSL_ISQ_E10value_typeET4_jRbjT5_SW_jjP12ihipStream_tbEUlT_E0_NS1_11comp_targetILNS1_3genE9ELNS1_11target_archE1100ELNS1_3gpuE3ELNS1_3repE0EEENS1_60segmented_radix_sort_warp_sort_medium_config_static_selectorELNS0_4arch9wavefront6targetE0EEEvSK_.private_seg_size, 0
	.set _ZN7rocprim17ROCPRIM_400000_NS6detail17trampoline_kernelINS0_14default_configENS1_36segmented_radix_sort_config_selectorIilEEZNS1_25segmented_radix_sort_implIS3_Lb1EPKiPiPKlPlN2at6native12_GLOBAL__N_18offset_tEEE10hipError_tPvRmT1_PNSt15iterator_traitsISK_E10value_typeET2_T3_PNSL_ISQ_E10value_typeET4_jRbjT5_SW_jjP12ihipStream_tbEUlT_E0_NS1_11comp_targetILNS1_3genE9ELNS1_11target_archE1100ELNS1_3gpuE3ELNS1_3repE0EEENS1_60segmented_radix_sort_warp_sort_medium_config_static_selectorELNS0_4arch9wavefront6targetE0EEEvSK_.uses_vcc, 0
	.set _ZN7rocprim17ROCPRIM_400000_NS6detail17trampoline_kernelINS0_14default_configENS1_36segmented_radix_sort_config_selectorIilEEZNS1_25segmented_radix_sort_implIS3_Lb1EPKiPiPKlPlN2at6native12_GLOBAL__N_18offset_tEEE10hipError_tPvRmT1_PNSt15iterator_traitsISK_E10value_typeET2_T3_PNSL_ISQ_E10value_typeET4_jRbjT5_SW_jjP12ihipStream_tbEUlT_E0_NS1_11comp_targetILNS1_3genE9ELNS1_11target_archE1100ELNS1_3gpuE3ELNS1_3repE0EEENS1_60segmented_radix_sort_warp_sort_medium_config_static_selectorELNS0_4arch9wavefront6targetE0EEEvSK_.uses_flat_scratch, 0
	.set _ZN7rocprim17ROCPRIM_400000_NS6detail17trampoline_kernelINS0_14default_configENS1_36segmented_radix_sort_config_selectorIilEEZNS1_25segmented_radix_sort_implIS3_Lb1EPKiPiPKlPlN2at6native12_GLOBAL__N_18offset_tEEE10hipError_tPvRmT1_PNSt15iterator_traitsISK_E10value_typeET2_T3_PNSL_ISQ_E10value_typeET4_jRbjT5_SW_jjP12ihipStream_tbEUlT_E0_NS1_11comp_targetILNS1_3genE9ELNS1_11target_archE1100ELNS1_3gpuE3ELNS1_3repE0EEENS1_60segmented_radix_sort_warp_sort_medium_config_static_selectorELNS0_4arch9wavefront6targetE0EEEvSK_.has_dyn_sized_stack, 0
	.set _ZN7rocprim17ROCPRIM_400000_NS6detail17trampoline_kernelINS0_14default_configENS1_36segmented_radix_sort_config_selectorIilEEZNS1_25segmented_radix_sort_implIS3_Lb1EPKiPiPKlPlN2at6native12_GLOBAL__N_18offset_tEEE10hipError_tPvRmT1_PNSt15iterator_traitsISK_E10value_typeET2_T3_PNSL_ISQ_E10value_typeET4_jRbjT5_SW_jjP12ihipStream_tbEUlT_E0_NS1_11comp_targetILNS1_3genE9ELNS1_11target_archE1100ELNS1_3gpuE3ELNS1_3repE0EEENS1_60segmented_radix_sort_warp_sort_medium_config_static_selectorELNS0_4arch9wavefront6targetE0EEEvSK_.has_recursion, 0
	.set _ZN7rocprim17ROCPRIM_400000_NS6detail17trampoline_kernelINS0_14default_configENS1_36segmented_radix_sort_config_selectorIilEEZNS1_25segmented_radix_sort_implIS3_Lb1EPKiPiPKlPlN2at6native12_GLOBAL__N_18offset_tEEE10hipError_tPvRmT1_PNSt15iterator_traitsISK_E10value_typeET2_T3_PNSL_ISQ_E10value_typeET4_jRbjT5_SW_jjP12ihipStream_tbEUlT_E0_NS1_11comp_targetILNS1_3genE9ELNS1_11target_archE1100ELNS1_3gpuE3ELNS1_3repE0EEENS1_60segmented_radix_sort_warp_sort_medium_config_static_selectorELNS0_4arch9wavefront6targetE0EEEvSK_.has_indirect_call, 0
	.section	.AMDGPU.csdata,"",@progbits
; Kernel info:
; codeLenInByte = 0
; TotalNumSgprs: 0
; NumVgprs: 0
; ScratchSize: 0
; MemoryBound: 0
; FloatMode: 240
; IeeeMode: 1
; LDSByteSize: 0 bytes/workgroup (compile time only)
; SGPRBlocks: 0
; VGPRBlocks: 0
; NumSGPRsForWavesPerEU: 1
; NumVGPRsForWavesPerEU: 1
; Occupancy: 16
; WaveLimiterHint : 0
; COMPUTE_PGM_RSRC2:SCRATCH_EN: 0
; COMPUTE_PGM_RSRC2:USER_SGPR: 2
; COMPUTE_PGM_RSRC2:TRAP_HANDLER: 0
; COMPUTE_PGM_RSRC2:TGID_X_EN: 1
; COMPUTE_PGM_RSRC2:TGID_Y_EN: 0
; COMPUTE_PGM_RSRC2:TGID_Z_EN: 0
; COMPUTE_PGM_RSRC2:TIDIG_COMP_CNT: 0
	.section	.text._ZN7rocprim17ROCPRIM_400000_NS6detail17trampoline_kernelINS0_14default_configENS1_36segmented_radix_sort_config_selectorIilEEZNS1_25segmented_radix_sort_implIS3_Lb1EPKiPiPKlPlN2at6native12_GLOBAL__N_18offset_tEEE10hipError_tPvRmT1_PNSt15iterator_traitsISK_E10value_typeET2_T3_PNSL_ISQ_E10value_typeET4_jRbjT5_SW_jjP12ihipStream_tbEUlT_E0_NS1_11comp_targetILNS1_3genE8ELNS1_11target_archE1030ELNS1_3gpuE2ELNS1_3repE0EEENS1_60segmented_radix_sort_warp_sort_medium_config_static_selectorELNS0_4arch9wavefront6targetE0EEEvSK_,"axG",@progbits,_ZN7rocprim17ROCPRIM_400000_NS6detail17trampoline_kernelINS0_14default_configENS1_36segmented_radix_sort_config_selectorIilEEZNS1_25segmented_radix_sort_implIS3_Lb1EPKiPiPKlPlN2at6native12_GLOBAL__N_18offset_tEEE10hipError_tPvRmT1_PNSt15iterator_traitsISK_E10value_typeET2_T3_PNSL_ISQ_E10value_typeET4_jRbjT5_SW_jjP12ihipStream_tbEUlT_E0_NS1_11comp_targetILNS1_3genE8ELNS1_11target_archE1030ELNS1_3gpuE2ELNS1_3repE0EEENS1_60segmented_radix_sort_warp_sort_medium_config_static_selectorELNS0_4arch9wavefront6targetE0EEEvSK_,comdat
	.globl	_ZN7rocprim17ROCPRIM_400000_NS6detail17trampoline_kernelINS0_14default_configENS1_36segmented_radix_sort_config_selectorIilEEZNS1_25segmented_radix_sort_implIS3_Lb1EPKiPiPKlPlN2at6native12_GLOBAL__N_18offset_tEEE10hipError_tPvRmT1_PNSt15iterator_traitsISK_E10value_typeET2_T3_PNSL_ISQ_E10value_typeET4_jRbjT5_SW_jjP12ihipStream_tbEUlT_E0_NS1_11comp_targetILNS1_3genE8ELNS1_11target_archE1030ELNS1_3gpuE2ELNS1_3repE0EEENS1_60segmented_radix_sort_warp_sort_medium_config_static_selectorELNS0_4arch9wavefront6targetE0EEEvSK_ ; -- Begin function _ZN7rocprim17ROCPRIM_400000_NS6detail17trampoline_kernelINS0_14default_configENS1_36segmented_radix_sort_config_selectorIilEEZNS1_25segmented_radix_sort_implIS3_Lb1EPKiPiPKlPlN2at6native12_GLOBAL__N_18offset_tEEE10hipError_tPvRmT1_PNSt15iterator_traitsISK_E10value_typeET2_T3_PNSL_ISQ_E10value_typeET4_jRbjT5_SW_jjP12ihipStream_tbEUlT_E0_NS1_11comp_targetILNS1_3genE8ELNS1_11target_archE1030ELNS1_3gpuE2ELNS1_3repE0EEENS1_60segmented_radix_sort_warp_sort_medium_config_static_selectorELNS0_4arch9wavefront6targetE0EEEvSK_
	.p2align	8
	.type	_ZN7rocprim17ROCPRIM_400000_NS6detail17trampoline_kernelINS0_14default_configENS1_36segmented_radix_sort_config_selectorIilEEZNS1_25segmented_radix_sort_implIS3_Lb1EPKiPiPKlPlN2at6native12_GLOBAL__N_18offset_tEEE10hipError_tPvRmT1_PNSt15iterator_traitsISK_E10value_typeET2_T3_PNSL_ISQ_E10value_typeET4_jRbjT5_SW_jjP12ihipStream_tbEUlT_E0_NS1_11comp_targetILNS1_3genE8ELNS1_11target_archE1030ELNS1_3gpuE2ELNS1_3repE0EEENS1_60segmented_radix_sort_warp_sort_medium_config_static_selectorELNS0_4arch9wavefront6targetE0EEEvSK_,@function
_ZN7rocprim17ROCPRIM_400000_NS6detail17trampoline_kernelINS0_14default_configENS1_36segmented_radix_sort_config_selectorIilEEZNS1_25segmented_radix_sort_implIS3_Lb1EPKiPiPKlPlN2at6native12_GLOBAL__N_18offset_tEEE10hipError_tPvRmT1_PNSt15iterator_traitsISK_E10value_typeET2_T3_PNSL_ISQ_E10value_typeET4_jRbjT5_SW_jjP12ihipStream_tbEUlT_E0_NS1_11comp_targetILNS1_3genE8ELNS1_11target_archE1030ELNS1_3gpuE2ELNS1_3repE0EEENS1_60segmented_radix_sort_warp_sort_medium_config_static_selectorELNS0_4arch9wavefront6targetE0EEEvSK_: ; @_ZN7rocprim17ROCPRIM_400000_NS6detail17trampoline_kernelINS0_14default_configENS1_36segmented_radix_sort_config_selectorIilEEZNS1_25segmented_radix_sort_implIS3_Lb1EPKiPiPKlPlN2at6native12_GLOBAL__N_18offset_tEEE10hipError_tPvRmT1_PNSt15iterator_traitsISK_E10value_typeET2_T3_PNSL_ISQ_E10value_typeET4_jRbjT5_SW_jjP12ihipStream_tbEUlT_E0_NS1_11comp_targetILNS1_3genE8ELNS1_11target_archE1030ELNS1_3gpuE2ELNS1_3repE0EEENS1_60segmented_radix_sort_warp_sort_medium_config_static_selectorELNS0_4arch9wavefront6targetE0EEEvSK_
; %bb.0:
	.section	.rodata,"a",@progbits
	.p2align	6, 0x0
	.amdhsa_kernel _ZN7rocprim17ROCPRIM_400000_NS6detail17trampoline_kernelINS0_14default_configENS1_36segmented_radix_sort_config_selectorIilEEZNS1_25segmented_radix_sort_implIS3_Lb1EPKiPiPKlPlN2at6native12_GLOBAL__N_18offset_tEEE10hipError_tPvRmT1_PNSt15iterator_traitsISK_E10value_typeET2_T3_PNSL_ISQ_E10value_typeET4_jRbjT5_SW_jjP12ihipStream_tbEUlT_E0_NS1_11comp_targetILNS1_3genE8ELNS1_11target_archE1030ELNS1_3gpuE2ELNS1_3repE0EEENS1_60segmented_radix_sort_warp_sort_medium_config_static_selectorELNS0_4arch9wavefront6targetE0EEEvSK_
		.amdhsa_group_segment_fixed_size 0
		.amdhsa_private_segment_fixed_size 0
		.amdhsa_kernarg_size 88
		.amdhsa_user_sgpr_count 2
		.amdhsa_user_sgpr_dispatch_ptr 0
		.amdhsa_user_sgpr_queue_ptr 0
		.amdhsa_user_sgpr_kernarg_segment_ptr 1
		.amdhsa_user_sgpr_dispatch_id 0
		.amdhsa_user_sgpr_private_segment_size 0
		.amdhsa_wavefront_size32 1
		.amdhsa_uses_dynamic_stack 0
		.amdhsa_enable_private_segment 0
		.amdhsa_system_sgpr_workgroup_id_x 1
		.amdhsa_system_sgpr_workgroup_id_y 0
		.amdhsa_system_sgpr_workgroup_id_z 0
		.amdhsa_system_sgpr_workgroup_info 0
		.amdhsa_system_vgpr_workitem_id 0
		.amdhsa_next_free_vgpr 1
		.amdhsa_next_free_sgpr 1
		.amdhsa_reserve_vcc 0
		.amdhsa_float_round_mode_32 0
		.amdhsa_float_round_mode_16_64 0
		.amdhsa_float_denorm_mode_32 3
		.amdhsa_float_denorm_mode_16_64 3
		.amdhsa_fp16_overflow 0
		.amdhsa_workgroup_processor_mode 1
		.amdhsa_memory_ordered 1
		.amdhsa_forward_progress 1
		.amdhsa_inst_pref_size 0
		.amdhsa_round_robin_scheduling 0
		.amdhsa_exception_fp_ieee_invalid_op 0
		.amdhsa_exception_fp_denorm_src 0
		.amdhsa_exception_fp_ieee_div_zero 0
		.amdhsa_exception_fp_ieee_overflow 0
		.amdhsa_exception_fp_ieee_underflow 0
		.amdhsa_exception_fp_ieee_inexact 0
		.amdhsa_exception_int_div_zero 0
	.end_amdhsa_kernel
	.section	.text._ZN7rocprim17ROCPRIM_400000_NS6detail17trampoline_kernelINS0_14default_configENS1_36segmented_radix_sort_config_selectorIilEEZNS1_25segmented_radix_sort_implIS3_Lb1EPKiPiPKlPlN2at6native12_GLOBAL__N_18offset_tEEE10hipError_tPvRmT1_PNSt15iterator_traitsISK_E10value_typeET2_T3_PNSL_ISQ_E10value_typeET4_jRbjT5_SW_jjP12ihipStream_tbEUlT_E0_NS1_11comp_targetILNS1_3genE8ELNS1_11target_archE1030ELNS1_3gpuE2ELNS1_3repE0EEENS1_60segmented_radix_sort_warp_sort_medium_config_static_selectorELNS0_4arch9wavefront6targetE0EEEvSK_,"axG",@progbits,_ZN7rocprim17ROCPRIM_400000_NS6detail17trampoline_kernelINS0_14default_configENS1_36segmented_radix_sort_config_selectorIilEEZNS1_25segmented_radix_sort_implIS3_Lb1EPKiPiPKlPlN2at6native12_GLOBAL__N_18offset_tEEE10hipError_tPvRmT1_PNSt15iterator_traitsISK_E10value_typeET2_T3_PNSL_ISQ_E10value_typeET4_jRbjT5_SW_jjP12ihipStream_tbEUlT_E0_NS1_11comp_targetILNS1_3genE8ELNS1_11target_archE1030ELNS1_3gpuE2ELNS1_3repE0EEENS1_60segmented_radix_sort_warp_sort_medium_config_static_selectorELNS0_4arch9wavefront6targetE0EEEvSK_,comdat
.Lfunc_end516:
	.size	_ZN7rocprim17ROCPRIM_400000_NS6detail17trampoline_kernelINS0_14default_configENS1_36segmented_radix_sort_config_selectorIilEEZNS1_25segmented_radix_sort_implIS3_Lb1EPKiPiPKlPlN2at6native12_GLOBAL__N_18offset_tEEE10hipError_tPvRmT1_PNSt15iterator_traitsISK_E10value_typeET2_T3_PNSL_ISQ_E10value_typeET4_jRbjT5_SW_jjP12ihipStream_tbEUlT_E0_NS1_11comp_targetILNS1_3genE8ELNS1_11target_archE1030ELNS1_3gpuE2ELNS1_3repE0EEENS1_60segmented_radix_sort_warp_sort_medium_config_static_selectorELNS0_4arch9wavefront6targetE0EEEvSK_, .Lfunc_end516-_ZN7rocprim17ROCPRIM_400000_NS6detail17trampoline_kernelINS0_14default_configENS1_36segmented_radix_sort_config_selectorIilEEZNS1_25segmented_radix_sort_implIS3_Lb1EPKiPiPKlPlN2at6native12_GLOBAL__N_18offset_tEEE10hipError_tPvRmT1_PNSt15iterator_traitsISK_E10value_typeET2_T3_PNSL_ISQ_E10value_typeET4_jRbjT5_SW_jjP12ihipStream_tbEUlT_E0_NS1_11comp_targetILNS1_3genE8ELNS1_11target_archE1030ELNS1_3gpuE2ELNS1_3repE0EEENS1_60segmented_radix_sort_warp_sort_medium_config_static_selectorELNS0_4arch9wavefront6targetE0EEEvSK_
                                        ; -- End function
	.set _ZN7rocprim17ROCPRIM_400000_NS6detail17trampoline_kernelINS0_14default_configENS1_36segmented_radix_sort_config_selectorIilEEZNS1_25segmented_radix_sort_implIS3_Lb1EPKiPiPKlPlN2at6native12_GLOBAL__N_18offset_tEEE10hipError_tPvRmT1_PNSt15iterator_traitsISK_E10value_typeET2_T3_PNSL_ISQ_E10value_typeET4_jRbjT5_SW_jjP12ihipStream_tbEUlT_E0_NS1_11comp_targetILNS1_3genE8ELNS1_11target_archE1030ELNS1_3gpuE2ELNS1_3repE0EEENS1_60segmented_radix_sort_warp_sort_medium_config_static_selectorELNS0_4arch9wavefront6targetE0EEEvSK_.num_vgpr, 0
	.set _ZN7rocprim17ROCPRIM_400000_NS6detail17trampoline_kernelINS0_14default_configENS1_36segmented_radix_sort_config_selectorIilEEZNS1_25segmented_radix_sort_implIS3_Lb1EPKiPiPKlPlN2at6native12_GLOBAL__N_18offset_tEEE10hipError_tPvRmT1_PNSt15iterator_traitsISK_E10value_typeET2_T3_PNSL_ISQ_E10value_typeET4_jRbjT5_SW_jjP12ihipStream_tbEUlT_E0_NS1_11comp_targetILNS1_3genE8ELNS1_11target_archE1030ELNS1_3gpuE2ELNS1_3repE0EEENS1_60segmented_radix_sort_warp_sort_medium_config_static_selectorELNS0_4arch9wavefront6targetE0EEEvSK_.num_agpr, 0
	.set _ZN7rocprim17ROCPRIM_400000_NS6detail17trampoline_kernelINS0_14default_configENS1_36segmented_radix_sort_config_selectorIilEEZNS1_25segmented_radix_sort_implIS3_Lb1EPKiPiPKlPlN2at6native12_GLOBAL__N_18offset_tEEE10hipError_tPvRmT1_PNSt15iterator_traitsISK_E10value_typeET2_T3_PNSL_ISQ_E10value_typeET4_jRbjT5_SW_jjP12ihipStream_tbEUlT_E0_NS1_11comp_targetILNS1_3genE8ELNS1_11target_archE1030ELNS1_3gpuE2ELNS1_3repE0EEENS1_60segmented_radix_sort_warp_sort_medium_config_static_selectorELNS0_4arch9wavefront6targetE0EEEvSK_.numbered_sgpr, 0
	.set _ZN7rocprim17ROCPRIM_400000_NS6detail17trampoline_kernelINS0_14default_configENS1_36segmented_radix_sort_config_selectorIilEEZNS1_25segmented_radix_sort_implIS3_Lb1EPKiPiPKlPlN2at6native12_GLOBAL__N_18offset_tEEE10hipError_tPvRmT1_PNSt15iterator_traitsISK_E10value_typeET2_T3_PNSL_ISQ_E10value_typeET4_jRbjT5_SW_jjP12ihipStream_tbEUlT_E0_NS1_11comp_targetILNS1_3genE8ELNS1_11target_archE1030ELNS1_3gpuE2ELNS1_3repE0EEENS1_60segmented_radix_sort_warp_sort_medium_config_static_selectorELNS0_4arch9wavefront6targetE0EEEvSK_.num_named_barrier, 0
	.set _ZN7rocprim17ROCPRIM_400000_NS6detail17trampoline_kernelINS0_14default_configENS1_36segmented_radix_sort_config_selectorIilEEZNS1_25segmented_radix_sort_implIS3_Lb1EPKiPiPKlPlN2at6native12_GLOBAL__N_18offset_tEEE10hipError_tPvRmT1_PNSt15iterator_traitsISK_E10value_typeET2_T3_PNSL_ISQ_E10value_typeET4_jRbjT5_SW_jjP12ihipStream_tbEUlT_E0_NS1_11comp_targetILNS1_3genE8ELNS1_11target_archE1030ELNS1_3gpuE2ELNS1_3repE0EEENS1_60segmented_radix_sort_warp_sort_medium_config_static_selectorELNS0_4arch9wavefront6targetE0EEEvSK_.private_seg_size, 0
	.set _ZN7rocprim17ROCPRIM_400000_NS6detail17trampoline_kernelINS0_14default_configENS1_36segmented_radix_sort_config_selectorIilEEZNS1_25segmented_radix_sort_implIS3_Lb1EPKiPiPKlPlN2at6native12_GLOBAL__N_18offset_tEEE10hipError_tPvRmT1_PNSt15iterator_traitsISK_E10value_typeET2_T3_PNSL_ISQ_E10value_typeET4_jRbjT5_SW_jjP12ihipStream_tbEUlT_E0_NS1_11comp_targetILNS1_3genE8ELNS1_11target_archE1030ELNS1_3gpuE2ELNS1_3repE0EEENS1_60segmented_radix_sort_warp_sort_medium_config_static_selectorELNS0_4arch9wavefront6targetE0EEEvSK_.uses_vcc, 0
	.set _ZN7rocprim17ROCPRIM_400000_NS6detail17trampoline_kernelINS0_14default_configENS1_36segmented_radix_sort_config_selectorIilEEZNS1_25segmented_radix_sort_implIS3_Lb1EPKiPiPKlPlN2at6native12_GLOBAL__N_18offset_tEEE10hipError_tPvRmT1_PNSt15iterator_traitsISK_E10value_typeET2_T3_PNSL_ISQ_E10value_typeET4_jRbjT5_SW_jjP12ihipStream_tbEUlT_E0_NS1_11comp_targetILNS1_3genE8ELNS1_11target_archE1030ELNS1_3gpuE2ELNS1_3repE0EEENS1_60segmented_radix_sort_warp_sort_medium_config_static_selectorELNS0_4arch9wavefront6targetE0EEEvSK_.uses_flat_scratch, 0
	.set _ZN7rocprim17ROCPRIM_400000_NS6detail17trampoline_kernelINS0_14default_configENS1_36segmented_radix_sort_config_selectorIilEEZNS1_25segmented_radix_sort_implIS3_Lb1EPKiPiPKlPlN2at6native12_GLOBAL__N_18offset_tEEE10hipError_tPvRmT1_PNSt15iterator_traitsISK_E10value_typeET2_T3_PNSL_ISQ_E10value_typeET4_jRbjT5_SW_jjP12ihipStream_tbEUlT_E0_NS1_11comp_targetILNS1_3genE8ELNS1_11target_archE1030ELNS1_3gpuE2ELNS1_3repE0EEENS1_60segmented_radix_sort_warp_sort_medium_config_static_selectorELNS0_4arch9wavefront6targetE0EEEvSK_.has_dyn_sized_stack, 0
	.set _ZN7rocprim17ROCPRIM_400000_NS6detail17trampoline_kernelINS0_14default_configENS1_36segmented_radix_sort_config_selectorIilEEZNS1_25segmented_radix_sort_implIS3_Lb1EPKiPiPKlPlN2at6native12_GLOBAL__N_18offset_tEEE10hipError_tPvRmT1_PNSt15iterator_traitsISK_E10value_typeET2_T3_PNSL_ISQ_E10value_typeET4_jRbjT5_SW_jjP12ihipStream_tbEUlT_E0_NS1_11comp_targetILNS1_3genE8ELNS1_11target_archE1030ELNS1_3gpuE2ELNS1_3repE0EEENS1_60segmented_radix_sort_warp_sort_medium_config_static_selectorELNS0_4arch9wavefront6targetE0EEEvSK_.has_recursion, 0
	.set _ZN7rocprim17ROCPRIM_400000_NS6detail17trampoline_kernelINS0_14default_configENS1_36segmented_radix_sort_config_selectorIilEEZNS1_25segmented_radix_sort_implIS3_Lb1EPKiPiPKlPlN2at6native12_GLOBAL__N_18offset_tEEE10hipError_tPvRmT1_PNSt15iterator_traitsISK_E10value_typeET2_T3_PNSL_ISQ_E10value_typeET4_jRbjT5_SW_jjP12ihipStream_tbEUlT_E0_NS1_11comp_targetILNS1_3genE8ELNS1_11target_archE1030ELNS1_3gpuE2ELNS1_3repE0EEENS1_60segmented_radix_sort_warp_sort_medium_config_static_selectorELNS0_4arch9wavefront6targetE0EEEvSK_.has_indirect_call, 0
	.section	.AMDGPU.csdata,"",@progbits
; Kernel info:
; codeLenInByte = 0
; TotalNumSgprs: 0
; NumVgprs: 0
; ScratchSize: 0
; MemoryBound: 0
; FloatMode: 240
; IeeeMode: 1
; LDSByteSize: 0 bytes/workgroup (compile time only)
; SGPRBlocks: 0
; VGPRBlocks: 0
; NumSGPRsForWavesPerEU: 1
; NumVGPRsForWavesPerEU: 1
; Occupancy: 16
; WaveLimiterHint : 0
; COMPUTE_PGM_RSRC2:SCRATCH_EN: 0
; COMPUTE_PGM_RSRC2:USER_SGPR: 2
; COMPUTE_PGM_RSRC2:TRAP_HANDLER: 0
; COMPUTE_PGM_RSRC2:TGID_X_EN: 1
; COMPUTE_PGM_RSRC2:TGID_Y_EN: 0
; COMPUTE_PGM_RSRC2:TGID_Z_EN: 0
; COMPUTE_PGM_RSRC2:TIDIG_COMP_CNT: 0
	.section	.text._ZN7rocprim17ROCPRIM_400000_NS6detail17trampoline_kernelINS0_14default_configENS1_36segmented_radix_sort_config_selectorIilEEZNS1_25segmented_radix_sort_implIS3_Lb1EPKiPiPKlPlN2at6native12_GLOBAL__N_18offset_tEEE10hipError_tPvRmT1_PNSt15iterator_traitsISK_E10value_typeET2_T3_PNSL_ISQ_E10value_typeET4_jRbjT5_SW_jjP12ihipStream_tbEUlT_E1_NS1_11comp_targetILNS1_3genE0ELNS1_11target_archE4294967295ELNS1_3gpuE0ELNS1_3repE0EEENS1_59segmented_radix_sort_warp_sort_small_config_static_selectorELNS0_4arch9wavefront6targetE0EEEvSK_,"axG",@progbits,_ZN7rocprim17ROCPRIM_400000_NS6detail17trampoline_kernelINS0_14default_configENS1_36segmented_radix_sort_config_selectorIilEEZNS1_25segmented_radix_sort_implIS3_Lb1EPKiPiPKlPlN2at6native12_GLOBAL__N_18offset_tEEE10hipError_tPvRmT1_PNSt15iterator_traitsISK_E10value_typeET2_T3_PNSL_ISQ_E10value_typeET4_jRbjT5_SW_jjP12ihipStream_tbEUlT_E1_NS1_11comp_targetILNS1_3genE0ELNS1_11target_archE4294967295ELNS1_3gpuE0ELNS1_3repE0EEENS1_59segmented_radix_sort_warp_sort_small_config_static_selectorELNS0_4arch9wavefront6targetE0EEEvSK_,comdat
	.globl	_ZN7rocprim17ROCPRIM_400000_NS6detail17trampoline_kernelINS0_14default_configENS1_36segmented_radix_sort_config_selectorIilEEZNS1_25segmented_radix_sort_implIS3_Lb1EPKiPiPKlPlN2at6native12_GLOBAL__N_18offset_tEEE10hipError_tPvRmT1_PNSt15iterator_traitsISK_E10value_typeET2_T3_PNSL_ISQ_E10value_typeET4_jRbjT5_SW_jjP12ihipStream_tbEUlT_E1_NS1_11comp_targetILNS1_3genE0ELNS1_11target_archE4294967295ELNS1_3gpuE0ELNS1_3repE0EEENS1_59segmented_radix_sort_warp_sort_small_config_static_selectorELNS0_4arch9wavefront6targetE0EEEvSK_ ; -- Begin function _ZN7rocprim17ROCPRIM_400000_NS6detail17trampoline_kernelINS0_14default_configENS1_36segmented_radix_sort_config_selectorIilEEZNS1_25segmented_radix_sort_implIS3_Lb1EPKiPiPKlPlN2at6native12_GLOBAL__N_18offset_tEEE10hipError_tPvRmT1_PNSt15iterator_traitsISK_E10value_typeET2_T3_PNSL_ISQ_E10value_typeET4_jRbjT5_SW_jjP12ihipStream_tbEUlT_E1_NS1_11comp_targetILNS1_3genE0ELNS1_11target_archE4294967295ELNS1_3gpuE0ELNS1_3repE0EEENS1_59segmented_radix_sort_warp_sort_small_config_static_selectorELNS0_4arch9wavefront6targetE0EEEvSK_
	.p2align	8
	.type	_ZN7rocprim17ROCPRIM_400000_NS6detail17trampoline_kernelINS0_14default_configENS1_36segmented_radix_sort_config_selectorIilEEZNS1_25segmented_radix_sort_implIS3_Lb1EPKiPiPKlPlN2at6native12_GLOBAL__N_18offset_tEEE10hipError_tPvRmT1_PNSt15iterator_traitsISK_E10value_typeET2_T3_PNSL_ISQ_E10value_typeET4_jRbjT5_SW_jjP12ihipStream_tbEUlT_E1_NS1_11comp_targetILNS1_3genE0ELNS1_11target_archE4294967295ELNS1_3gpuE0ELNS1_3repE0EEENS1_59segmented_radix_sort_warp_sort_small_config_static_selectorELNS0_4arch9wavefront6targetE0EEEvSK_,@function
_ZN7rocprim17ROCPRIM_400000_NS6detail17trampoline_kernelINS0_14default_configENS1_36segmented_radix_sort_config_selectorIilEEZNS1_25segmented_radix_sort_implIS3_Lb1EPKiPiPKlPlN2at6native12_GLOBAL__N_18offset_tEEE10hipError_tPvRmT1_PNSt15iterator_traitsISK_E10value_typeET2_T3_PNSL_ISQ_E10value_typeET4_jRbjT5_SW_jjP12ihipStream_tbEUlT_E1_NS1_11comp_targetILNS1_3genE0ELNS1_11target_archE4294967295ELNS1_3gpuE0ELNS1_3repE0EEENS1_59segmented_radix_sort_warp_sort_small_config_static_selectorELNS0_4arch9wavefront6targetE0EEEvSK_: ; @_ZN7rocprim17ROCPRIM_400000_NS6detail17trampoline_kernelINS0_14default_configENS1_36segmented_radix_sort_config_selectorIilEEZNS1_25segmented_radix_sort_implIS3_Lb1EPKiPiPKlPlN2at6native12_GLOBAL__N_18offset_tEEE10hipError_tPvRmT1_PNSt15iterator_traitsISK_E10value_typeET2_T3_PNSL_ISQ_E10value_typeET4_jRbjT5_SW_jjP12ihipStream_tbEUlT_E1_NS1_11comp_targetILNS1_3genE0ELNS1_11target_archE4294967295ELNS1_3gpuE0ELNS1_3repE0EEENS1_59segmented_radix_sort_warp_sort_small_config_static_selectorELNS0_4arch9wavefront6targetE0EEEvSK_
; %bb.0:
	.section	.rodata,"a",@progbits
	.p2align	6, 0x0
	.amdhsa_kernel _ZN7rocprim17ROCPRIM_400000_NS6detail17trampoline_kernelINS0_14default_configENS1_36segmented_radix_sort_config_selectorIilEEZNS1_25segmented_radix_sort_implIS3_Lb1EPKiPiPKlPlN2at6native12_GLOBAL__N_18offset_tEEE10hipError_tPvRmT1_PNSt15iterator_traitsISK_E10value_typeET2_T3_PNSL_ISQ_E10value_typeET4_jRbjT5_SW_jjP12ihipStream_tbEUlT_E1_NS1_11comp_targetILNS1_3genE0ELNS1_11target_archE4294967295ELNS1_3gpuE0ELNS1_3repE0EEENS1_59segmented_radix_sort_warp_sort_small_config_static_selectorELNS0_4arch9wavefront6targetE0EEEvSK_
		.amdhsa_group_segment_fixed_size 0
		.amdhsa_private_segment_fixed_size 0
		.amdhsa_kernarg_size 88
		.amdhsa_user_sgpr_count 2
		.amdhsa_user_sgpr_dispatch_ptr 0
		.amdhsa_user_sgpr_queue_ptr 0
		.amdhsa_user_sgpr_kernarg_segment_ptr 1
		.amdhsa_user_sgpr_dispatch_id 0
		.amdhsa_user_sgpr_private_segment_size 0
		.amdhsa_wavefront_size32 1
		.amdhsa_uses_dynamic_stack 0
		.amdhsa_enable_private_segment 0
		.amdhsa_system_sgpr_workgroup_id_x 1
		.amdhsa_system_sgpr_workgroup_id_y 0
		.amdhsa_system_sgpr_workgroup_id_z 0
		.amdhsa_system_sgpr_workgroup_info 0
		.amdhsa_system_vgpr_workitem_id 0
		.amdhsa_next_free_vgpr 1
		.amdhsa_next_free_sgpr 1
		.amdhsa_reserve_vcc 0
		.amdhsa_float_round_mode_32 0
		.amdhsa_float_round_mode_16_64 0
		.amdhsa_float_denorm_mode_32 3
		.amdhsa_float_denorm_mode_16_64 3
		.amdhsa_fp16_overflow 0
		.amdhsa_workgroup_processor_mode 1
		.amdhsa_memory_ordered 1
		.amdhsa_forward_progress 1
		.amdhsa_inst_pref_size 0
		.amdhsa_round_robin_scheduling 0
		.amdhsa_exception_fp_ieee_invalid_op 0
		.amdhsa_exception_fp_denorm_src 0
		.amdhsa_exception_fp_ieee_div_zero 0
		.amdhsa_exception_fp_ieee_overflow 0
		.amdhsa_exception_fp_ieee_underflow 0
		.amdhsa_exception_fp_ieee_inexact 0
		.amdhsa_exception_int_div_zero 0
	.end_amdhsa_kernel
	.section	.text._ZN7rocprim17ROCPRIM_400000_NS6detail17trampoline_kernelINS0_14default_configENS1_36segmented_radix_sort_config_selectorIilEEZNS1_25segmented_radix_sort_implIS3_Lb1EPKiPiPKlPlN2at6native12_GLOBAL__N_18offset_tEEE10hipError_tPvRmT1_PNSt15iterator_traitsISK_E10value_typeET2_T3_PNSL_ISQ_E10value_typeET4_jRbjT5_SW_jjP12ihipStream_tbEUlT_E1_NS1_11comp_targetILNS1_3genE0ELNS1_11target_archE4294967295ELNS1_3gpuE0ELNS1_3repE0EEENS1_59segmented_radix_sort_warp_sort_small_config_static_selectorELNS0_4arch9wavefront6targetE0EEEvSK_,"axG",@progbits,_ZN7rocprim17ROCPRIM_400000_NS6detail17trampoline_kernelINS0_14default_configENS1_36segmented_radix_sort_config_selectorIilEEZNS1_25segmented_radix_sort_implIS3_Lb1EPKiPiPKlPlN2at6native12_GLOBAL__N_18offset_tEEE10hipError_tPvRmT1_PNSt15iterator_traitsISK_E10value_typeET2_T3_PNSL_ISQ_E10value_typeET4_jRbjT5_SW_jjP12ihipStream_tbEUlT_E1_NS1_11comp_targetILNS1_3genE0ELNS1_11target_archE4294967295ELNS1_3gpuE0ELNS1_3repE0EEENS1_59segmented_radix_sort_warp_sort_small_config_static_selectorELNS0_4arch9wavefront6targetE0EEEvSK_,comdat
.Lfunc_end517:
	.size	_ZN7rocprim17ROCPRIM_400000_NS6detail17trampoline_kernelINS0_14default_configENS1_36segmented_radix_sort_config_selectorIilEEZNS1_25segmented_radix_sort_implIS3_Lb1EPKiPiPKlPlN2at6native12_GLOBAL__N_18offset_tEEE10hipError_tPvRmT1_PNSt15iterator_traitsISK_E10value_typeET2_T3_PNSL_ISQ_E10value_typeET4_jRbjT5_SW_jjP12ihipStream_tbEUlT_E1_NS1_11comp_targetILNS1_3genE0ELNS1_11target_archE4294967295ELNS1_3gpuE0ELNS1_3repE0EEENS1_59segmented_radix_sort_warp_sort_small_config_static_selectorELNS0_4arch9wavefront6targetE0EEEvSK_, .Lfunc_end517-_ZN7rocprim17ROCPRIM_400000_NS6detail17trampoline_kernelINS0_14default_configENS1_36segmented_radix_sort_config_selectorIilEEZNS1_25segmented_radix_sort_implIS3_Lb1EPKiPiPKlPlN2at6native12_GLOBAL__N_18offset_tEEE10hipError_tPvRmT1_PNSt15iterator_traitsISK_E10value_typeET2_T3_PNSL_ISQ_E10value_typeET4_jRbjT5_SW_jjP12ihipStream_tbEUlT_E1_NS1_11comp_targetILNS1_3genE0ELNS1_11target_archE4294967295ELNS1_3gpuE0ELNS1_3repE0EEENS1_59segmented_radix_sort_warp_sort_small_config_static_selectorELNS0_4arch9wavefront6targetE0EEEvSK_
                                        ; -- End function
	.set _ZN7rocprim17ROCPRIM_400000_NS6detail17trampoline_kernelINS0_14default_configENS1_36segmented_radix_sort_config_selectorIilEEZNS1_25segmented_radix_sort_implIS3_Lb1EPKiPiPKlPlN2at6native12_GLOBAL__N_18offset_tEEE10hipError_tPvRmT1_PNSt15iterator_traitsISK_E10value_typeET2_T3_PNSL_ISQ_E10value_typeET4_jRbjT5_SW_jjP12ihipStream_tbEUlT_E1_NS1_11comp_targetILNS1_3genE0ELNS1_11target_archE4294967295ELNS1_3gpuE0ELNS1_3repE0EEENS1_59segmented_radix_sort_warp_sort_small_config_static_selectorELNS0_4arch9wavefront6targetE0EEEvSK_.num_vgpr, 0
	.set _ZN7rocprim17ROCPRIM_400000_NS6detail17trampoline_kernelINS0_14default_configENS1_36segmented_radix_sort_config_selectorIilEEZNS1_25segmented_radix_sort_implIS3_Lb1EPKiPiPKlPlN2at6native12_GLOBAL__N_18offset_tEEE10hipError_tPvRmT1_PNSt15iterator_traitsISK_E10value_typeET2_T3_PNSL_ISQ_E10value_typeET4_jRbjT5_SW_jjP12ihipStream_tbEUlT_E1_NS1_11comp_targetILNS1_3genE0ELNS1_11target_archE4294967295ELNS1_3gpuE0ELNS1_3repE0EEENS1_59segmented_radix_sort_warp_sort_small_config_static_selectorELNS0_4arch9wavefront6targetE0EEEvSK_.num_agpr, 0
	.set _ZN7rocprim17ROCPRIM_400000_NS6detail17trampoline_kernelINS0_14default_configENS1_36segmented_radix_sort_config_selectorIilEEZNS1_25segmented_radix_sort_implIS3_Lb1EPKiPiPKlPlN2at6native12_GLOBAL__N_18offset_tEEE10hipError_tPvRmT1_PNSt15iterator_traitsISK_E10value_typeET2_T3_PNSL_ISQ_E10value_typeET4_jRbjT5_SW_jjP12ihipStream_tbEUlT_E1_NS1_11comp_targetILNS1_3genE0ELNS1_11target_archE4294967295ELNS1_3gpuE0ELNS1_3repE0EEENS1_59segmented_radix_sort_warp_sort_small_config_static_selectorELNS0_4arch9wavefront6targetE0EEEvSK_.numbered_sgpr, 0
	.set _ZN7rocprim17ROCPRIM_400000_NS6detail17trampoline_kernelINS0_14default_configENS1_36segmented_radix_sort_config_selectorIilEEZNS1_25segmented_radix_sort_implIS3_Lb1EPKiPiPKlPlN2at6native12_GLOBAL__N_18offset_tEEE10hipError_tPvRmT1_PNSt15iterator_traitsISK_E10value_typeET2_T3_PNSL_ISQ_E10value_typeET4_jRbjT5_SW_jjP12ihipStream_tbEUlT_E1_NS1_11comp_targetILNS1_3genE0ELNS1_11target_archE4294967295ELNS1_3gpuE0ELNS1_3repE0EEENS1_59segmented_radix_sort_warp_sort_small_config_static_selectorELNS0_4arch9wavefront6targetE0EEEvSK_.num_named_barrier, 0
	.set _ZN7rocprim17ROCPRIM_400000_NS6detail17trampoline_kernelINS0_14default_configENS1_36segmented_radix_sort_config_selectorIilEEZNS1_25segmented_radix_sort_implIS3_Lb1EPKiPiPKlPlN2at6native12_GLOBAL__N_18offset_tEEE10hipError_tPvRmT1_PNSt15iterator_traitsISK_E10value_typeET2_T3_PNSL_ISQ_E10value_typeET4_jRbjT5_SW_jjP12ihipStream_tbEUlT_E1_NS1_11comp_targetILNS1_3genE0ELNS1_11target_archE4294967295ELNS1_3gpuE0ELNS1_3repE0EEENS1_59segmented_radix_sort_warp_sort_small_config_static_selectorELNS0_4arch9wavefront6targetE0EEEvSK_.private_seg_size, 0
	.set _ZN7rocprim17ROCPRIM_400000_NS6detail17trampoline_kernelINS0_14default_configENS1_36segmented_radix_sort_config_selectorIilEEZNS1_25segmented_radix_sort_implIS3_Lb1EPKiPiPKlPlN2at6native12_GLOBAL__N_18offset_tEEE10hipError_tPvRmT1_PNSt15iterator_traitsISK_E10value_typeET2_T3_PNSL_ISQ_E10value_typeET4_jRbjT5_SW_jjP12ihipStream_tbEUlT_E1_NS1_11comp_targetILNS1_3genE0ELNS1_11target_archE4294967295ELNS1_3gpuE0ELNS1_3repE0EEENS1_59segmented_radix_sort_warp_sort_small_config_static_selectorELNS0_4arch9wavefront6targetE0EEEvSK_.uses_vcc, 0
	.set _ZN7rocprim17ROCPRIM_400000_NS6detail17trampoline_kernelINS0_14default_configENS1_36segmented_radix_sort_config_selectorIilEEZNS1_25segmented_radix_sort_implIS3_Lb1EPKiPiPKlPlN2at6native12_GLOBAL__N_18offset_tEEE10hipError_tPvRmT1_PNSt15iterator_traitsISK_E10value_typeET2_T3_PNSL_ISQ_E10value_typeET4_jRbjT5_SW_jjP12ihipStream_tbEUlT_E1_NS1_11comp_targetILNS1_3genE0ELNS1_11target_archE4294967295ELNS1_3gpuE0ELNS1_3repE0EEENS1_59segmented_radix_sort_warp_sort_small_config_static_selectorELNS0_4arch9wavefront6targetE0EEEvSK_.uses_flat_scratch, 0
	.set _ZN7rocprim17ROCPRIM_400000_NS6detail17trampoline_kernelINS0_14default_configENS1_36segmented_radix_sort_config_selectorIilEEZNS1_25segmented_radix_sort_implIS3_Lb1EPKiPiPKlPlN2at6native12_GLOBAL__N_18offset_tEEE10hipError_tPvRmT1_PNSt15iterator_traitsISK_E10value_typeET2_T3_PNSL_ISQ_E10value_typeET4_jRbjT5_SW_jjP12ihipStream_tbEUlT_E1_NS1_11comp_targetILNS1_3genE0ELNS1_11target_archE4294967295ELNS1_3gpuE0ELNS1_3repE0EEENS1_59segmented_radix_sort_warp_sort_small_config_static_selectorELNS0_4arch9wavefront6targetE0EEEvSK_.has_dyn_sized_stack, 0
	.set _ZN7rocprim17ROCPRIM_400000_NS6detail17trampoline_kernelINS0_14default_configENS1_36segmented_radix_sort_config_selectorIilEEZNS1_25segmented_radix_sort_implIS3_Lb1EPKiPiPKlPlN2at6native12_GLOBAL__N_18offset_tEEE10hipError_tPvRmT1_PNSt15iterator_traitsISK_E10value_typeET2_T3_PNSL_ISQ_E10value_typeET4_jRbjT5_SW_jjP12ihipStream_tbEUlT_E1_NS1_11comp_targetILNS1_3genE0ELNS1_11target_archE4294967295ELNS1_3gpuE0ELNS1_3repE0EEENS1_59segmented_radix_sort_warp_sort_small_config_static_selectorELNS0_4arch9wavefront6targetE0EEEvSK_.has_recursion, 0
	.set _ZN7rocprim17ROCPRIM_400000_NS6detail17trampoline_kernelINS0_14default_configENS1_36segmented_radix_sort_config_selectorIilEEZNS1_25segmented_radix_sort_implIS3_Lb1EPKiPiPKlPlN2at6native12_GLOBAL__N_18offset_tEEE10hipError_tPvRmT1_PNSt15iterator_traitsISK_E10value_typeET2_T3_PNSL_ISQ_E10value_typeET4_jRbjT5_SW_jjP12ihipStream_tbEUlT_E1_NS1_11comp_targetILNS1_3genE0ELNS1_11target_archE4294967295ELNS1_3gpuE0ELNS1_3repE0EEENS1_59segmented_radix_sort_warp_sort_small_config_static_selectorELNS0_4arch9wavefront6targetE0EEEvSK_.has_indirect_call, 0
	.section	.AMDGPU.csdata,"",@progbits
; Kernel info:
; codeLenInByte = 0
; TotalNumSgprs: 0
; NumVgprs: 0
; ScratchSize: 0
; MemoryBound: 0
; FloatMode: 240
; IeeeMode: 1
; LDSByteSize: 0 bytes/workgroup (compile time only)
; SGPRBlocks: 0
; VGPRBlocks: 0
; NumSGPRsForWavesPerEU: 1
; NumVGPRsForWavesPerEU: 1
; Occupancy: 16
; WaveLimiterHint : 0
; COMPUTE_PGM_RSRC2:SCRATCH_EN: 0
; COMPUTE_PGM_RSRC2:USER_SGPR: 2
; COMPUTE_PGM_RSRC2:TRAP_HANDLER: 0
; COMPUTE_PGM_RSRC2:TGID_X_EN: 1
; COMPUTE_PGM_RSRC2:TGID_Y_EN: 0
; COMPUTE_PGM_RSRC2:TGID_Z_EN: 0
; COMPUTE_PGM_RSRC2:TIDIG_COMP_CNT: 0
	.section	.text._ZN7rocprim17ROCPRIM_400000_NS6detail17trampoline_kernelINS0_14default_configENS1_36segmented_radix_sort_config_selectorIilEEZNS1_25segmented_radix_sort_implIS3_Lb1EPKiPiPKlPlN2at6native12_GLOBAL__N_18offset_tEEE10hipError_tPvRmT1_PNSt15iterator_traitsISK_E10value_typeET2_T3_PNSL_ISQ_E10value_typeET4_jRbjT5_SW_jjP12ihipStream_tbEUlT_E1_NS1_11comp_targetILNS1_3genE5ELNS1_11target_archE942ELNS1_3gpuE9ELNS1_3repE0EEENS1_59segmented_radix_sort_warp_sort_small_config_static_selectorELNS0_4arch9wavefront6targetE0EEEvSK_,"axG",@progbits,_ZN7rocprim17ROCPRIM_400000_NS6detail17trampoline_kernelINS0_14default_configENS1_36segmented_radix_sort_config_selectorIilEEZNS1_25segmented_radix_sort_implIS3_Lb1EPKiPiPKlPlN2at6native12_GLOBAL__N_18offset_tEEE10hipError_tPvRmT1_PNSt15iterator_traitsISK_E10value_typeET2_T3_PNSL_ISQ_E10value_typeET4_jRbjT5_SW_jjP12ihipStream_tbEUlT_E1_NS1_11comp_targetILNS1_3genE5ELNS1_11target_archE942ELNS1_3gpuE9ELNS1_3repE0EEENS1_59segmented_radix_sort_warp_sort_small_config_static_selectorELNS0_4arch9wavefront6targetE0EEEvSK_,comdat
	.globl	_ZN7rocprim17ROCPRIM_400000_NS6detail17trampoline_kernelINS0_14default_configENS1_36segmented_radix_sort_config_selectorIilEEZNS1_25segmented_radix_sort_implIS3_Lb1EPKiPiPKlPlN2at6native12_GLOBAL__N_18offset_tEEE10hipError_tPvRmT1_PNSt15iterator_traitsISK_E10value_typeET2_T3_PNSL_ISQ_E10value_typeET4_jRbjT5_SW_jjP12ihipStream_tbEUlT_E1_NS1_11comp_targetILNS1_3genE5ELNS1_11target_archE942ELNS1_3gpuE9ELNS1_3repE0EEENS1_59segmented_radix_sort_warp_sort_small_config_static_selectorELNS0_4arch9wavefront6targetE0EEEvSK_ ; -- Begin function _ZN7rocprim17ROCPRIM_400000_NS6detail17trampoline_kernelINS0_14default_configENS1_36segmented_radix_sort_config_selectorIilEEZNS1_25segmented_radix_sort_implIS3_Lb1EPKiPiPKlPlN2at6native12_GLOBAL__N_18offset_tEEE10hipError_tPvRmT1_PNSt15iterator_traitsISK_E10value_typeET2_T3_PNSL_ISQ_E10value_typeET4_jRbjT5_SW_jjP12ihipStream_tbEUlT_E1_NS1_11comp_targetILNS1_3genE5ELNS1_11target_archE942ELNS1_3gpuE9ELNS1_3repE0EEENS1_59segmented_radix_sort_warp_sort_small_config_static_selectorELNS0_4arch9wavefront6targetE0EEEvSK_
	.p2align	8
	.type	_ZN7rocprim17ROCPRIM_400000_NS6detail17trampoline_kernelINS0_14default_configENS1_36segmented_radix_sort_config_selectorIilEEZNS1_25segmented_radix_sort_implIS3_Lb1EPKiPiPKlPlN2at6native12_GLOBAL__N_18offset_tEEE10hipError_tPvRmT1_PNSt15iterator_traitsISK_E10value_typeET2_T3_PNSL_ISQ_E10value_typeET4_jRbjT5_SW_jjP12ihipStream_tbEUlT_E1_NS1_11comp_targetILNS1_3genE5ELNS1_11target_archE942ELNS1_3gpuE9ELNS1_3repE0EEENS1_59segmented_radix_sort_warp_sort_small_config_static_selectorELNS0_4arch9wavefront6targetE0EEEvSK_,@function
_ZN7rocprim17ROCPRIM_400000_NS6detail17trampoline_kernelINS0_14default_configENS1_36segmented_radix_sort_config_selectorIilEEZNS1_25segmented_radix_sort_implIS3_Lb1EPKiPiPKlPlN2at6native12_GLOBAL__N_18offset_tEEE10hipError_tPvRmT1_PNSt15iterator_traitsISK_E10value_typeET2_T3_PNSL_ISQ_E10value_typeET4_jRbjT5_SW_jjP12ihipStream_tbEUlT_E1_NS1_11comp_targetILNS1_3genE5ELNS1_11target_archE942ELNS1_3gpuE9ELNS1_3repE0EEENS1_59segmented_radix_sort_warp_sort_small_config_static_selectorELNS0_4arch9wavefront6targetE0EEEvSK_: ; @_ZN7rocprim17ROCPRIM_400000_NS6detail17trampoline_kernelINS0_14default_configENS1_36segmented_radix_sort_config_selectorIilEEZNS1_25segmented_radix_sort_implIS3_Lb1EPKiPiPKlPlN2at6native12_GLOBAL__N_18offset_tEEE10hipError_tPvRmT1_PNSt15iterator_traitsISK_E10value_typeET2_T3_PNSL_ISQ_E10value_typeET4_jRbjT5_SW_jjP12ihipStream_tbEUlT_E1_NS1_11comp_targetILNS1_3genE5ELNS1_11target_archE942ELNS1_3gpuE9ELNS1_3repE0EEENS1_59segmented_radix_sort_warp_sort_small_config_static_selectorELNS0_4arch9wavefront6targetE0EEEvSK_
; %bb.0:
	.section	.rodata,"a",@progbits
	.p2align	6, 0x0
	.amdhsa_kernel _ZN7rocprim17ROCPRIM_400000_NS6detail17trampoline_kernelINS0_14default_configENS1_36segmented_radix_sort_config_selectorIilEEZNS1_25segmented_radix_sort_implIS3_Lb1EPKiPiPKlPlN2at6native12_GLOBAL__N_18offset_tEEE10hipError_tPvRmT1_PNSt15iterator_traitsISK_E10value_typeET2_T3_PNSL_ISQ_E10value_typeET4_jRbjT5_SW_jjP12ihipStream_tbEUlT_E1_NS1_11comp_targetILNS1_3genE5ELNS1_11target_archE942ELNS1_3gpuE9ELNS1_3repE0EEENS1_59segmented_radix_sort_warp_sort_small_config_static_selectorELNS0_4arch9wavefront6targetE0EEEvSK_
		.amdhsa_group_segment_fixed_size 0
		.amdhsa_private_segment_fixed_size 0
		.amdhsa_kernarg_size 88
		.amdhsa_user_sgpr_count 2
		.amdhsa_user_sgpr_dispatch_ptr 0
		.amdhsa_user_sgpr_queue_ptr 0
		.amdhsa_user_sgpr_kernarg_segment_ptr 1
		.amdhsa_user_sgpr_dispatch_id 0
		.amdhsa_user_sgpr_private_segment_size 0
		.amdhsa_wavefront_size32 1
		.amdhsa_uses_dynamic_stack 0
		.amdhsa_enable_private_segment 0
		.amdhsa_system_sgpr_workgroup_id_x 1
		.amdhsa_system_sgpr_workgroup_id_y 0
		.amdhsa_system_sgpr_workgroup_id_z 0
		.amdhsa_system_sgpr_workgroup_info 0
		.amdhsa_system_vgpr_workitem_id 0
		.amdhsa_next_free_vgpr 1
		.amdhsa_next_free_sgpr 1
		.amdhsa_reserve_vcc 0
		.amdhsa_float_round_mode_32 0
		.amdhsa_float_round_mode_16_64 0
		.amdhsa_float_denorm_mode_32 3
		.amdhsa_float_denorm_mode_16_64 3
		.amdhsa_fp16_overflow 0
		.amdhsa_workgroup_processor_mode 1
		.amdhsa_memory_ordered 1
		.amdhsa_forward_progress 1
		.amdhsa_inst_pref_size 0
		.amdhsa_round_robin_scheduling 0
		.amdhsa_exception_fp_ieee_invalid_op 0
		.amdhsa_exception_fp_denorm_src 0
		.amdhsa_exception_fp_ieee_div_zero 0
		.amdhsa_exception_fp_ieee_overflow 0
		.amdhsa_exception_fp_ieee_underflow 0
		.amdhsa_exception_fp_ieee_inexact 0
		.amdhsa_exception_int_div_zero 0
	.end_amdhsa_kernel
	.section	.text._ZN7rocprim17ROCPRIM_400000_NS6detail17trampoline_kernelINS0_14default_configENS1_36segmented_radix_sort_config_selectorIilEEZNS1_25segmented_radix_sort_implIS3_Lb1EPKiPiPKlPlN2at6native12_GLOBAL__N_18offset_tEEE10hipError_tPvRmT1_PNSt15iterator_traitsISK_E10value_typeET2_T3_PNSL_ISQ_E10value_typeET4_jRbjT5_SW_jjP12ihipStream_tbEUlT_E1_NS1_11comp_targetILNS1_3genE5ELNS1_11target_archE942ELNS1_3gpuE9ELNS1_3repE0EEENS1_59segmented_radix_sort_warp_sort_small_config_static_selectorELNS0_4arch9wavefront6targetE0EEEvSK_,"axG",@progbits,_ZN7rocprim17ROCPRIM_400000_NS6detail17trampoline_kernelINS0_14default_configENS1_36segmented_radix_sort_config_selectorIilEEZNS1_25segmented_radix_sort_implIS3_Lb1EPKiPiPKlPlN2at6native12_GLOBAL__N_18offset_tEEE10hipError_tPvRmT1_PNSt15iterator_traitsISK_E10value_typeET2_T3_PNSL_ISQ_E10value_typeET4_jRbjT5_SW_jjP12ihipStream_tbEUlT_E1_NS1_11comp_targetILNS1_3genE5ELNS1_11target_archE942ELNS1_3gpuE9ELNS1_3repE0EEENS1_59segmented_radix_sort_warp_sort_small_config_static_selectorELNS0_4arch9wavefront6targetE0EEEvSK_,comdat
.Lfunc_end518:
	.size	_ZN7rocprim17ROCPRIM_400000_NS6detail17trampoline_kernelINS0_14default_configENS1_36segmented_radix_sort_config_selectorIilEEZNS1_25segmented_radix_sort_implIS3_Lb1EPKiPiPKlPlN2at6native12_GLOBAL__N_18offset_tEEE10hipError_tPvRmT1_PNSt15iterator_traitsISK_E10value_typeET2_T3_PNSL_ISQ_E10value_typeET4_jRbjT5_SW_jjP12ihipStream_tbEUlT_E1_NS1_11comp_targetILNS1_3genE5ELNS1_11target_archE942ELNS1_3gpuE9ELNS1_3repE0EEENS1_59segmented_radix_sort_warp_sort_small_config_static_selectorELNS0_4arch9wavefront6targetE0EEEvSK_, .Lfunc_end518-_ZN7rocprim17ROCPRIM_400000_NS6detail17trampoline_kernelINS0_14default_configENS1_36segmented_radix_sort_config_selectorIilEEZNS1_25segmented_radix_sort_implIS3_Lb1EPKiPiPKlPlN2at6native12_GLOBAL__N_18offset_tEEE10hipError_tPvRmT1_PNSt15iterator_traitsISK_E10value_typeET2_T3_PNSL_ISQ_E10value_typeET4_jRbjT5_SW_jjP12ihipStream_tbEUlT_E1_NS1_11comp_targetILNS1_3genE5ELNS1_11target_archE942ELNS1_3gpuE9ELNS1_3repE0EEENS1_59segmented_radix_sort_warp_sort_small_config_static_selectorELNS0_4arch9wavefront6targetE0EEEvSK_
                                        ; -- End function
	.set _ZN7rocprim17ROCPRIM_400000_NS6detail17trampoline_kernelINS0_14default_configENS1_36segmented_radix_sort_config_selectorIilEEZNS1_25segmented_radix_sort_implIS3_Lb1EPKiPiPKlPlN2at6native12_GLOBAL__N_18offset_tEEE10hipError_tPvRmT1_PNSt15iterator_traitsISK_E10value_typeET2_T3_PNSL_ISQ_E10value_typeET4_jRbjT5_SW_jjP12ihipStream_tbEUlT_E1_NS1_11comp_targetILNS1_3genE5ELNS1_11target_archE942ELNS1_3gpuE9ELNS1_3repE0EEENS1_59segmented_radix_sort_warp_sort_small_config_static_selectorELNS0_4arch9wavefront6targetE0EEEvSK_.num_vgpr, 0
	.set _ZN7rocprim17ROCPRIM_400000_NS6detail17trampoline_kernelINS0_14default_configENS1_36segmented_radix_sort_config_selectorIilEEZNS1_25segmented_radix_sort_implIS3_Lb1EPKiPiPKlPlN2at6native12_GLOBAL__N_18offset_tEEE10hipError_tPvRmT1_PNSt15iterator_traitsISK_E10value_typeET2_T3_PNSL_ISQ_E10value_typeET4_jRbjT5_SW_jjP12ihipStream_tbEUlT_E1_NS1_11comp_targetILNS1_3genE5ELNS1_11target_archE942ELNS1_3gpuE9ELNS1_3repE0EEENS1_59segmented_radix_sort_warp_sort_small_config_static_selectorELNS0_4arch9wavefront6targetE0EEEvSK_.num_agpr, 0
	.set _ZN7rocprim17ROCPRIM_400000_NS6detail17trampoline_kernelINS0_14default_configENS1_36segmented_radix_sort_config_selectorIilEEZNS1_25segmented_radix_sort_implIS3_Lb1EPKiPiPKlPlN2at6native12_GLOBAL__N_18offset_tEEE10hipError_tPvRmT1_PNSt15iterator_traitsISK_E10value_typeET2_T3_PNSL_ISQ_E10value_typeET4_jRbjT5_SW_jjP12ihipStream_tbEUlT_E1_NS1_11comp_targetILNS1_3genE5ELNS1_11target_archE942ELNS1_3gpuE9ELNS1_3repE0EEENS1_59segmented_radix_sort_warp_sort_small_config_static_selectorELNS0_4arch9wavefront6targetE0EEEvSK_.numbered_sgpr, 0
	.set _ZN7rocprim17ROCPRIM_400000_NS6detail17trampoline_kernelINS0_14default_configENS1_36segmented_radix_sort_config_selectorIilEEZNS1_25segmented_radix_sort_implIS3_Lb1EPKiPiPKlPlN2at6native12_GLOBAL__N_18offset_tEEE10hipError_tPvRmT1_PNSt15iterator_traitsISK_E10value_typeET2_T3_PNSL_ISQ_E10value_typeET4_jRbjT5_SW_jjP12ihipStream_tbEUlT_E1_NS1_11comp_targetILNS1_3genE5ELNS1_11target_archE942ELNS1_3gpuE9ELNS1_3repE0EEENS1_59segmented_radix_sort_warp_sort_small_config_static_selectorELNS0_4arch9wavefront6targetE0EEEvSK_.num_named_barrier, 0
	.set _ZN7rocprim17ROCPRIM_400000_NS6detail17trampoline_kernelINS0_14default_configENS1_36segmented_radix_sort_config_selectorIilEEZNS1_25segmented_radix_sort_implIS3_Lb1EPKiPiPKlPlN2at6native12_GLOBAL__N_18offset_tEEE10hipError_tPvRmT1_PNSt15iterator_traitsISK_E10value_typeET2_T3_PNSL_ISQ_E10value_typeET4_jRbjT5_SW_jjP12ihipStream_tbEUlT_E1_NS1_11comp_targetILNS1_3genE5ELNS1_11target_archE942ELNS1_3gpuE9ELNS1_3repE0EEENS1_59segmented_radix_sort_warp_sort_small_config_static_selectorELNS0_4arch9wavefront6targetE0EEEvSK_.private_seg_size, 0
	.set _ZN7rocprim17ROCPRIM_400000_NS6detail17trampoline_kernelINS0_14default_configENS1_36segmented_radix_sort_config_selectorIilEEZNS1_25segmented_radix_sort_implIS3_Lb1EPKiPiPKlPlN2at6native12_GLOBAL__N_18offset_tEEE10hipError_tPvRmT1_PNSt15iterator_traitsISK_E10value_typeET2_T3_PNSL_ISQ_E10value_typeET4_jRbjT5_SW_jjP12ihipStream_tbEUlT_E1_NS1_11comp_targetILNS1_3genE5ELNS1_11target_archE942ELNS1_3gpuE9ELNS1_3repE0EEENS1_59segmented_radix_sort_warp_sort_small_config_static_selectorELNS0_4arch9wavefront6targetE0EEEvSK_.uses_vcc, 0
	.set _ZN7rocprim17ROCPRIM_400000_NS6detail17trampoline_kernelINS0_14default_configENS1_36segmented_radix_sort_config_selectorIilEEZNS1_25segmented_radix_sort_implIS3_Lb1EPKiPiPKlPlN2at6native12_GLOBAL__N_18offset_tEEE10hipError_tPvRmT1_PNSt15iterator_traitsISK_E10value_typeET2_T3_PNSL_ISQ_E10value_typeET4_jRbjT5_SW_jjP12ihipStream_tbEUlT_E1_NS1_11comp_targetILNS1_3genE5ELNS1_11target_archE942ELNS1_3gpuE9ELNS1_3repE0EEENS1_59segmented_radix_sort_warp_sort_small_config_static_selectorELNS0_4arch9wavefront6targetE0EEEvSK_.uses_flat_scratch, 0
	.set _ZN7rocprim17ROCPRIM_400000_NS6detail17trampoline_kernelINS0_14default_configENS1_36segmented_radix_sort_config_selectorIilEEZNS1_25segmented_radix_sort_implIS3_Lb1EPKiPiPKlPlN2at6native12_GLOBAL__N_18offset_tEEE10hipError_tPvRmT1_PNSt15iterator_traitsISK_E10value_typeET2_T3_PNSL_ISQ_E10value_typeET4_jRbjT5_SW_jjP12ihipStream_tbEUlT_E1_NS1_11comp_targetILNS1_3genE5ELNS1_11target_archE942ELNS1_3gpuE9ELNS1_3repE0EEENS1_59segmented_radix_sort_warp_sort_small_config_static_selectorELNS0_4arch9wavefront6targetE0EEEvSK_.has_dyn_sized_stack, 0
	.set _ZN7rocprim17ROCPRIM_400000_NS6detail17trampoline_kernelINS0_14default_configENS1_36segmented_radix_sort_config_selectorIilEEZNS1_25segmented_radix_sort_implIS3_Lb1EPKiPiPKlPlN2at6native12_GLOBAL__N_18offset_tEEE10hipError_tPvRmT1_PNSt15iterator_traitsISK_E10value_typeET2_T3_PNSL_ISQ_E10value_typeET4_jRbjT5_SW_jjP12ihipStream_tbEUlT_E1_NS1_11comp_targetILNS1_3genE5ELNS1_11target_archE942ELNS1_3gpuE9ELNS1_3repE0EEENS1_59segmented_radix_sort_warp_sort_small_config_static_selectorELNS0_4arch9wavefront6targetE0EEEvSK_.has_recursion, 0
	.set _ZN7rocprim17ROCPRIM_400000_NS6detail17trampoline_kernelINS0_14default_configENS1_36segmented_radix_sort_config_selectorIilEEZNS1_25segmented_radix_sort_implIS3_Lb1EPKiPiPKlPlN2at6native12_GLOBAL__N_18offset_tEEE10hipError_tPvRmT1_PNSt15iterator_traitsISK_E10value_typeET2_T3_PNSL_ISQ_E10value_typeET4_jRbjT5_SW_jjP12ihipStream_tbEUlT_E1_NS1_11comp_targetILNS1_3genE5ELNS1_11target_archE942ELNS1_3gpuE9ELNS1_3repE0EEENS1_59segmented_radix_sort_warp_sort_small_config_static_selectorELNS0_4arch9wavefront6targetE0EEEvSK_.has_indirect_call, 0
	.section	.AMDGPU.csdata,"",@progbits
; Kernel info:
; codeLenInByte = 0
; TotalNumSgprs: 0
; NumVgprs: 0
; ScratchSize: 0
; MemoryBound: 0
; FloatMode: 240
; IeeeMode: 1
; LDSByteSize: 0 bytes/workgroup (compile time only)
; SGPRBlocks: 0
; VGPRBlocks: 0
; NumSGPRsForWavesPerEU: 1
; NumVGPRsForWavesPerEU: 1
; Occupancy: 16
; WaveLimiterHint : 0
; COMPUTE_PGM_RSRC2:SCRATCH_EN: 0
; COMPUTE_PGM_RSRC2:USER_SGPR: 2
; COMPUTE_PGM_RSRC2:TRAP_HANDLER: 0
; COMPUTE_PGM_RSRC2:TGID_X_EN: 1
; COMPUTE_PGM_RSRC2:TGID_Y_EN: 0
; COMPUTE_PGM_RSRC2:TGID_Z_EN: 0
; COMPUTE_PGM_RSRC2:TIDIG_COMP_CNT: 0
	.section	.text._ZN7rocprim17ROCPRIM_400000_NS6detail17trampoline_kernelINS0_14default_configENS1_36segmented_radix_sort_config_selectorIilEEZNS1_25segmented_radix_sort_implIS3_Lb1EPKiPiPKlPlN2at6native12_GLOBAL__N_18offset_tEEE10hipError_tPvRmT1_PNSt15iterator_traitsISK_E10value_typeET2_T3_PNSL_ISQ_E10value_typeET4_jRbjT5_SW_jjP12ihipStream_tbEUlT_E1_NS1_11comp_targetILNS1_3genE4ELNS1_11target_archE910ELNS1_3gpuE8ELNS1_3repE0EEENS1_59segmented_radix_sort_warp_sort_small_config_static_selectorELNS0_4arch9wavefront6targetE0EEEvSK_,"axG",@progbits,_ZN7rocprim17ROCPRIM_400000_NS6detail17trampoline_kernelINS0_14default_configENS1_36segmented_radix_sort_config_selectorIilEEZNS1_25segmented_radix_sort_implIS3_Lb1EPKiPiPKlPlN2at6native12_GLOBAL__N_18offset_tEEE10hipError_tPvRmT1_PNSt15iterator_traitsISK_E10value_typeET2_T3_PNSL_ISQ_E10value_typeET4_jRbjT5_SW_jjP12ihipStream_tbEUlT_E1_NS1_11comp_targetILNS1_3genE4ELNS1_11target_archE910ELNS1_3gpuE8ELNS1_3repE0EEENS1_59segmented_radix_sort_warp_sort_small_config_static_selectorELNS0_4arch9wavefront6targetE0EEEvSK_,comdat
	.globl	_ZN7rocprim17ROCPRIM_400000_NS6detail17trampoline_kernelINS0_14default_configENS1_36segmented_radix_sort_config_selectorIilEEZNS1_25segmented_radix_sort_implIS3_Lb1EPKiPiPKlPlN2at6native12_GLOBAL__N_18offset_tEEE10hipError_tPvRmT1_PNSt15iterator_traitsISK_E10value_typeET2_T3_PNSL_ISQ_E10value_typeET4_jRbjT5_SW_jjP12ihipStream_tbEUlT_E1_NS1_11comp_targetILNS1_3genE4ELNS1_11target_archE910ELNS1_3gpuE8ELNS1_3repE0EEENS1_59segmented_radix_sort_warp_sort_small_config_static_selectorELNS0_4arch9wavefront6targetE0EEEvSK_ ; -- Begin function _ZN7rocprim17ROCPRIM_400000_NS6detail17trampoline_kernelINS0_14default_configENS1_36segmented_radix_sort_config_selectorIilEEZNS1_25segmented_radix_sort_implIS3_Lb1EPKiPiPKlPlN2at6native12_GLOBAL__N_18offset_tEEE10hipError_tPvRmT1_PNSt15iterator_traitsISK_E10value_typeET2_T3_PNSL_ISQ_E10value_typeET4_jRbjT5_SW_jjP12ihipStream_tbEUlT_E1_NS1_11comp_targetILNS1_3genE4ELNS1_11target_archE910ELNS1_3gpuE8ELNS1_3repE0EEENS1_59segmented_radix_sort_warp_sort_small_config_static_selectorELNS0_4arch9wavefront6targetE0EEEvSK_
	.p2align	8
	.type	_ZN7rocprim17ROCPRIM_400000_NS6detail17trampoline_kernelINS0_14default_configENS1_36segmented_radix_sort_config_selectorIilEEZNS1_25segmented_radix_sort_implIS3_Lb1EPKiPiPKlPlN2at6native12_GLOBAL__N_18offset_tEEE10hipError_tPvRmT1_PNSt15iterator_traitsISK_E10value_typeET2_T3_PNSL_ISQ_E10value_typeET4_jRbjT5_SW_jjP12ihipStream_tbEUlT_E1_NS1_11comp_targetILNS1_3genE4ELNS1_11target_archE910ELNS1_3gpuE8ELNS1_3repE0EEENS1_59segmented_radix_sort_warp_sort_small_config_static_selectorELNS0_4arch9wavefront6targetE0EEEvSK_,@function
_ZN7rocprim17ROCPRIM_400000_NS6detail17trampoline_kernelINS0_14default_configENS1_36segmented_radix_sort_config_selectorIilEEZNS1_25segmented_radix_sort_implIS3_Lb1EPKiPiPKlPlN2at6native12_GLOBAL__N_18offset_tEEE10hipError_tPvRmT1_PNSt15iterator_traitsISK_E10value_typeET2_T3_PNSL_ISQ_E10value_typeET4_jRbjT5_SW_jjP12ihipStream_tbEUlT_E1_NS1_11comp_targetILNS1_3genE4ELNS1_11target_archE910ELNS1_3gpuE8ELNS1_3repE0EEENS1_59segmented_radix_sort_warp_sort_small_config_static_selectorELNS0_4arch9wavefront6targetE0EEEvSK_: ; @_ZN7rocprim17ROCPRIM_400000_NS6detail17trampoline_kernelINS0_14default_configENS1_36segmented_radix_sort_config_selectorIilEEZNS1_25segmented_radix_sort_implIS3_Lb1EPKiPiPKlPlN2at6native12_GLOBAL__N_18offset_tEEE10hipError_tPvRmT1_PNSt15iterator_traitsISK_E10value_typeET2_T3_PNSL_ISQ_E10value_typeET4_jRbjT5_SW_jjP12ihipStream_tbEUlT_E1_NS1_11comp_targetILNS1_3genE4ELNS1_11target_archE910ELNS1_3gpuE8ELNS1_3repE0EEENS1_59segmented_radix_sort_warp_sort_small_config_static_selectorELNS0_4arch9wavefront6targetE0EEEvSK_
; %bb.0:
	.section	.rodata,"a",@progbits
	.p2align	6, 0x0
	.amdhsa_kernel _ZN7rocprim17ROCPRIM_400000_NS6detail17trampoline_kernelINS0_14default_configENS1_36segmented_radix_sort_config_selectorIilEEZNS1_25segmented_radix_sort_implIS3_Lb1EPKiPiPKlPlN2at6native12_GLOBAL__N_18offset_tEEE10hipError_tPvRmT1_PNSt15iterator_traitsISK_E10value_typeET2_T3_PNSL_ISQ_E10value_typeET4_jRbjT5_SW_jjP12ihipStream_tbEUlT_E1_NS1_11comp_targetILNS1_3genE4ELNS1_11target_archE910ELNS1_3gpuE8ELNS1_3repE0EEENS1_59segmented_radix_sort_warp_sort_small_config_static_selectorELNS0_4arch9wavefront6targetE0EEEvSK_
		.amdhsa_group_segment_fixed_size 0
		.amdhsa_private_segment_fixed_size 0
		.amdhsa_kernarg_size 88
		.amdhsa_user_sgpr_count 2
		.amdhsa_user_sgpr_dispatch_ptr 0
		.amdhsa_user_sgpr_queue_ptr 0
		.amdhsa_user_sgpr_kernarg_segment_ptr 1
		.amdhsa_user_sgpr_dispatch_id 0
		.amdhsa_user_sgpr_private_segment_size 0
		.amdhsa_wavefront_size32 1
		.amdhsa_uses_dynamic_stack 0
		.amdhsa_enable_private_segment 0
		.amdhsa_system_sgpr_workgroup_id_x 1
		.amdhsa_system_sgpr_workgroup_id_y 0
		.amdhsa_system_sgpr_workgroup_id_z 0
		.amdhsa_system_sgpr_workgroup_info 0
		.amdhsa_system_vgpr_workitem_id 0
		.amdhsa_next_free_vgpr 1
		.amdhsa_next_free_sgpr 1
		.amdhsa_reserve_vcc 0
		.amdhsa_float_round_mode_32 0
		.amdhsa_float_round_mode_16_64 0
		.amdhsa_float_denorm_mode_32 3
		.amdhsa_float_denorm_mode_16_64 3
		.amdhsa_fp16_overflow 0
		.amdhsa_workgroup_processor_mode 1
		.amdhsa_memory_ordered 1
		.amdhsa_forward_progress 1
		.amdhsa_inst_pref_size 0
		.amdhsa_round_robin_scheduling 0
		.amdhsa_exception_fp_ieee_invalid_op 0
		.amdhsa_exception_fp_denorm_src 0
		.amdhsa_exception_fp_ieee_div_zero 0
		.amdhsa_exception_fp_ieee_overflow 0
		.amdhsa_exception_fp_ieee_underflow 0
		.amdhsa_exception_fp_ieee_inexact 0
		.amdhsa_exception_int_div_zero 0
	.end_amdhsa_kernel
	.section	.text._ZN7rocprim17ROCPRIM_400000_NS6detail17trampoline_kernelINS0_14default_configENS1_36segmented_radix_sort_config_selectorIilEEZNS1_25segmented_radix_sort_implIS3_Lb1EPKiPiPKlPlN2at6native12_GLOBAL__N_18offset_tEEE10hipError_tPvRmT1_PNSt15iterator_traitsISK_E10value_typeET2_T3_PNSL_ISQ_E10value_typeET4_jRbjT5_SW_jjP12ihipStream_tbEUlT_E1_NS1_11comp_targetILNS1_3genE4ELNS1_11target_archE910ELNS1_3gpuE8ELNS1_3repE0EEENS1_59segmented_radix_sort_warp_sort_small_config_static_selectorELNS0_4arch9wavefront6targetE0EEEvSK_,"axG",@progbits,_ZN7rocprim17ROCPRIM_400000_NS6detail17trampoline_kernelINS0_14default_configENS1_36segmented_radix_sort_config_selectorIilEEZNS1_25segmented_radix_sort_implIS3_Lb1EPKiPiPKlPlN2at6native12_GLOBAL__N_18offset_tEEE10hipError_tPvRmT1_PNSt15iterator_traitsISK_E10value_typeET2_T3_PNSL_ISQ_E10value_typeET4_jRbjT5_SW_jjP12ihipStream_tbEUlT_E1_NS1_11comp_targetILNS1_3genE4ELNS1_11target_archE910ELNS1_3gpuE8ELNS1_3repE0EEENS1_59segmented_radix_sort_warp_sort_small_config_static_selectorELNS0_4arch9wavefront6targetE0EEEvSK_,comdat
.Lfunc_end519:
	.size	_ZN7rocprim17ROCPRIM_400000_NS6detail17trampoline_kernelINS0_14default_configENS1_36segmented_radix_sort_config_selectorIilEEZNS1_25segmented_radix_sort_implIS3_Lb1EPKiPiPKlPlN2at6native12_GLOBAL__N_18offset_tEEE10hipError_tPvRmT1_PNSt15iterator_traitsISK_E10value_typeET2_T3_PNSL_ISQ_E10value_typeET4_jRbjT5_SW_jjP12ihipStream_tbEUlT_E1_NS1_11comp_targetILNS1_3genE4ELNS1_11target_archE910ELNS1_3gpuE8ELNS1_3repE0EEENS1_59segmented_radix_sort_warp_sort_small_config_static_selectorELNS0_4arch9wavefront6targetE0EEEvSK_, .Lfunc_end519-_ZN7rocprim17ROCPRIM_400000_NS6detail17trampoline_kernelINS0_14default_configENS1_36segmented_radix_sort_config_selectorIilEEZNS1_25segmented_radix_sort_implIS3_Lb1EPKiPiPKlPlN2at6native12_GLOBAL__N_18offset_tEEE10hipError_tPvRmT1_PNSt15iterator_traitsISK_E10value_typeET2_T3_PNSL_ISQ_E10value_typeET4_jRbjT5_SW_jjP12ihipStream_tbEUlT_E1_NS1_11comp_targetILNS1_3genE4ELNS1_11target_archE910ELNS1_3gpuE8ELNS1_3repE0EEENS1_59segmented_radix_sort_warp_sort_small_config_static_selectorELNS0_4arch9wavefront6targetE0EEEvSK_
                                        ; -- End function
	.set _ZN7rocprim17ROCPRIM_400000_NS6detail17trampoline_kernelINS0_14default_configENS1_36segmented_radix_sort_config_selectorIilEEZNS1_25segmented_radix_sort_implIS3_Lb1EPKiPiPKlPlN2at6native12_GLOBAL__N_18offset_tEEE10hipError_tPvRmT1_PNSt15iterator_traitsISK_E10value_typeET2_T3_PNSL_ISQ_E10value_typeET4_jRbjT5_SW_jjP12ihipStream_tbEUlT_E1_NS1_11comp_targetILNS1_3genE4ELNS1_11target_archE910ELNS1_3gpuE8ELNS1_3repE0EEENS1_59segmented_radix_sort_warp_sort_small_config_static_selectorELNS0_4arch9wavefront6targetE0EEEvSK_.num_vgpr, 0
	.set _ZN7rocprim17ROCPRIM_400000_NS6detail17trampoline_kernelINS0_14default_configENS1_36segmented_radix_sort_config_selectorIilEEZNS1_25segmented_radix_sort_implIS3_Lb1EPKiPiPKlPlN2at6native12_GLOBAL__N_18offset_tEEE10hipError_tPvRmT1_PNSt15iterator_traitsISK_E10value_typeET2_T3_PNSL_ISQ_E10value_typeET4_jRbjT5_SW_jjP12ihipStream_tbEUlT_E1_NS1_11comp_targetILNS1_3genE4ELNS1_11target_archE910ELNS1_3gpuE8ELNS1_3repE0EEENS1_59segmented_radix_sort_warp_sort_small_config_static_selectorELNS0_4arch9wavefront6targetE0EEEvSK_.num_agpr, 0
	.set _ZN7rocprim17ROCPRIM_400000_NS6detail17trampoline_kernelINS0_14default_configENS1_36segmented_radix_sort_config_selectorIilEEZNS1_25segmented_radix_sort_implIS3_Lb1EPKiPiPKlPlN2at6native12_GLOBAL__N_18offset_tEEE10hipError_tPvRmT1_PNSt15iterator_traitsISK_E10value_typeET2_T3_PNSL_ISQ_E10value_typeET4_jRbjT5_SW_jjP12ihipStream_tbEUlT_E1_NS1_11comp_targetILNS1_3genE4ELNS1_11target_archE910ELNS1_3gpuE8ELNS1_3repE0EEENS1_59segmented_radix_sort_warp_sort_small_config_static_selectorELNS0_4arch9wavefront6targetE0EEEvSK_.numbered_sgpr, 0
	.set _ZN7rocprim17ROCPRIM_400000_NS6detail17trampoline_kernelINS0_14default_configENS1_36segmented_radix_sort_config_selectorIilEEZNS1_25segmented_radix_sort_implIS3_Lb1EPKiPiPKlPlN2at6native12_GLOBAL__N_18offset_tEEE10hipError_tPvRmT1_PNSt15iterator_traitsISK_E10value_typeET2_T3_PNSL_ISQ_E10value_typeET4_jRbjT5_SW_jjP12ihipStream_tbEUlT_E1_NS1_11comp_targetILNS1_3genE4ELNS1_11target_archE910ELNS1_3gpuE8ELNS1_3repE0EEENS1_59segmented_radix_sort_warp_sort_small_config_static_selectorELNS0_4arch9wavefront6targetE0EEEvSK_.num_named_barrier, 0
	.set _ZN7rocprim17ROCPRIM_400000_NS6detail17trampoline_kernelINS0_14default_configENS1_36segmented_radix_sort_config_selectorIilEEZNS1_25segmented_radix_sort_implIS3_Lb1EPKiPiPKlPlN2at6native12_GLOBAL__N_18offset_tEEE10hipError_tPvRmT1_PNSt15iterator_traitsISK_E10value_typeET2_T3_PNSL_ISQ_E10value_typeET4_jRbjT5_SW_jjP12ihipStream_tbEUlT_E1_NS1_11comp_targetILNS1_3genE4ELNS1_11target_archE910ELNS1_3gpuE8ELNS1_3repE0EEENS1_59segmented_radix_sort_warp_sort_small_config_static_selectorELNS0_4arch9wavefront6targetE0EEEvSK_.private_seg_size, 0
	.set _ZN7rocprim17ROCPRIM_400000_NS6detail17trampoline_kernelINS0_14default_configENS1_36segmented_radix_sort_config_selectorIilEEZNS1_25segmented_radix_sort_implIS3_Lb1EPKiPiPKlPlN2at6native12_GLOBAL__N_18offset_tEEE10hipError_tPvRmT1_PNSt15iterator_traitsISK_E10value_typeET2_T3_PNSL_ISQ_E10value_typeET4_jRbjT5_SW_jjP12ihipStream_tbEUlT_E1_NS1_11comp_targetILNS1_3genE4ELNS1_11target_archE910ELNS1_3gpuE8ELNS1_3repE0EEENS1_59segmented_radix_sort_warp_sort_small_config_static_selectorELNS0_4arch9wavefront6targetE0EEEvSK_.uses_vcc, 0
	.set _ZN7rocprim17ROCPRIM_400000_NS6detail17trampoline_kernelINS0_14default_configENS1_36segmented_radix_sort_config_selectorIilEEZNS1_25segmented_radix_sort_implIS3_Lb1EPKiPiPKlPlN2at6native12_GLOBAL__N_18offset_tEEE10hipError_tPvRmT1_PNSt15iterator_traitsISK_E10value_typeET2_T3_PNSL_ISQ_E10value_typeET4_jRbjT5_SW_jjP12ihipStream_tbEUlT_E1_NS1_11comp_targetILNS1_3genE4ELNS1_11target_archE910ELNS1_3gpuE8ELNS1_3repE0EEENS1_59segmented_radix_sort_warp_sort_small_config_static_selectorELNS0_4arch9wavefront6targetE0EEEvSK_.uses_flat_scratch, 0
	.set _ZN7rocprim17ROCPRIM_400000_NS6detail17trampoline_kernelINS0_14default_configENS1_36segmented_radix_sort_config_selectorIilEEZNS1_25segmented_radix_sort_implIS3_Lb1EPKiPiPKlPlN2at6native12_GLOBAL__N_18offset_tEEE10hipError_tPvRmT1_PNSt15iterator_traitsISK_E10value_typeET2_T3_PNSL_ISQ_E10value_typeET4_jRbjT5_SW_jjP12ihipStream_tbEUlT_E1_NS1_11comp_targetILNS1_3genE4ELNS1_11target_archE910ELNS1_3gpuE8ELNS1_3repE0EEENS1_59segmented_radix_sort_warp_sort_small_config_static_selectorELNS0_4arch9wavefront6targetE0EEEvSK_.has_dyn_sized_stack, 0
	.set _ZN7rocprim17ROCPRIM_400000_NS6detail17trampoline_kernelINS0_14default_configENS1_36segmented_radix_sort_config_selectorIilEEZNS1_25segmented_radix_sort_implIS3_Lb1EPKiPiPKlPlN2at6native12_GLOBAL__N_18offset_tEEE10hipError_tPvRmT1_PNSt15iterator_traitsISK_E10value_typeET2_T3_PNSL_ISQ_E10value_typeET4_jRbjT5_SW_jjP12ihipStream_tbEUlT_E1_NS1_11comp_targetILNS1_3genE4ELNS1_11target_archE910ELNS1_3gpuE8ELNS1_3repE0EEENS1_59segmented_radix_sort_warp_sort_small_config_static_selectorELNS0_4arch9wavefront6targetE0EEEvSK_.has_recursion, 0
	.set _ZN7rocprim17ROCPRIM_400000_NS6detail17trampoline_kernelINS0_14default_configENS1_36segmented_radix_sort_config_selectorIilEEZNS1_25segmented_radix_sort_implIS3_Lb1EPKiPiPKlPlN2at6native12_GLOBAL__N_18offset_tEEE10hipError_tPvRmT1_PNSt15iterator_traitsISK_E10value_typeET2_T3_PNSL_ISQ_E10value_typeET4_jRbjT5_SW_jjP12ihipStream_tbEUlT_E1_NS1_11comp_targetILNS1_3genE4ELNS1_11target_archE910ELNS1_3gpuE8ELNS1_3repE0EEENS1_59segmented_radix_sort_warp_sort_small_config_static_selectorELNS0_4arch9wavefront6targetE0EEEvSK_.has_indirect_call, 0
	.section	.AMDGPU.csdata,"",@progbits
; Kernel info:
; codeLenInByte = 0
; TotalNumSgprs: 0
; NumVgprs: 0
; ScratchSize: 0
; MemoryBound: 0
; FloatMode: 240
; IeeeMode: 1
; LDSByteSize: 0 bytes/workgroup (compile time only)
; SGPRBlocks: 0
; VGPRBlocks: 0
; NumSGPRsForWavesPerEU: 1
; NumVGPRsForWavesPerEU: 1
; Occupancy: 16
; WaveLimiterHint : 0
; COMPUTE_PGM_RSRC2:SCRATCH_EN: 0
; COMPUTE_PGM_RSRC2:USER_SGPR: 2
; COMPUTE_PGM_RSRC2:TRAP_HANDLER: 0
; COMPUTE_PGM_RSRC2:TGID_X_EN: 1
; COMPUTE_PGM_RSRC2:TGID_Y_EN: 0
; COMPUTE_PGM_RSRC2:TGID_Z_EN: 0
; COMPUTE_PGM_RSRC2:TIDIG_COMP_CNT: 0
	.section	.text._ZN7rocprim17ROCPRIM_400000_NS6detail17trampoline_kernelINS0_14default_configENS1_36segmented_radix_sort_config_selectorIilEEZNS1_25segmented_radix_sort_implIS3_Lb1EPKiPiPKlPlN2at6native12_GLOBAL__N_18offset_tEEE10hipError_tPvRmT1_PNSt15iterator_traitsISK_E10value_typeET2_T3_PNSL_ISQ_E10value_typeET4_jRbjT5_SW_jjP12ihipStream_tbEUlT_E1_NS1_11comp_targetILNS1_3genE3ELNS1_11target_archE908ELNS1_3gpuE7ELNS1_3repE0EEENS1_59segmented_radix_sort_warp_sort_small_config_static_selectorELNS0_4arch9wavefront6targetE0EEEvSK_,"axG",@progbits,_ZN7rocprim17ROCPRIM_400000_NS6detail17trampoline_kernelINS0_14default_configENS1_36segmented_radix_sort_config_selectorIilEEZNS1_25segmented_radix_sort_implIS3_Lb1EPKiPiPKlPlN2at6native12_GLOBAL__N_18offset_tEEE10hipError_tPvRmT1_PNSt15iterator_traitsISK_E10value_typeET2_T3_PNSL_ISQ_E10value_typeET4_jRbjT5_SW_jjP12ihipStream_tbEUlT_E1_NS1_11comp_targetILNS1_3genE3ELNS1_11target_archE908ELNS1_3gpuE7ELNS1_3repE0EEENS1_59segmented_radix_sort_warp_sort_small_config_static_selectorELNS0_4arch9wavefront6targetE0EEEvSK_,comdat
	.globl	_ZN7rocprim17ROCPRIM_400000_NS6detail17trampoline_kernelINS0_14default_configENS1_36segmented_radix_sort_config_selectorIilEEZNS1_25segmented_radix_sort_implIS3_Lb1EPKiPiPKlPlN2at6native12_GLOBAL__N_18offset_tEEE10hipError_tPvRmT1_PNSt15iterator_traitsISK_E10value_typeET2_T3_PNSL_ISQ_E10value_typeET4_jRbjT5_SW_jjP12ihipStream_tbEUlT_E1_NS1_11comp_targetILNS1_3genE3ELNS1_11target_archE908ELNS1_3gpuE7ELNS1_3repE0EEENS1_59segmented_radix_sort_warp_sort_small_config_static_selectorELNS0_4arch9wavefront6targetE0EEEvSK_ ; -- Begin function _ZN7rocprim17ROCPRIM_400000_NS6detail17trampoline_kernelINS0_14default_configENS1_36segmented_radix_sort_config_selectorIilEEZNS1_25segmented_radix_sort_implIS3_Lb1EPKiPiPKlPlN2at6native12_GLOBAL__N_18offset_tEEE10hipError_tPvRmT1_PNSt15iterator_traitsISK_E10value_typeET2_T3_PNSL_ISQ_E10value_typeET4_jRbjT5_SW_jjP12ihipStream_tbEUlT_E1_NS1_11comp_targetILNS1_3genE3ELNS1_11target_archE908ELNS1_3gpuE7ELNS1_3repE0EEENS1_59segmented_radix_sort_warp_sort_small_config_static_selectorELNS0_4arch9wavefront6targetE0EEEvSK_
	.p2align	8
	.type	_ZN7rocprim17ROCPRIM_400000_NS6detail17trampoline_kernelINS0_14default_configENS1_36segmented_radix_sort_config_selectorIilEEZNS1_25segmented_radix_sort_implIS3_Lb1EPKiPiPKlPlN2at6native12_GLOBAL__N_18offset_tEEE10hipError_tPvRmT1_PNSt15iterator_traitsISK_E10value_typeET2_T3_PNSL_ISQ_E10value_typeET4_jRbjT5_SW_jjP12ihipStream_tbEUlT_E1_NS1_11comp_targetILNS1_3genE3ELNS1_11target_archE908ELNS1_3gpuE7ELNS1_3repE0EEENS1_59segmented_radix_sort_warp_sort_small_config_static_selectorELNS0_4arch9wavefront6targetE0EEEvSK_,@function
_ZN7rocprim17ROCPRIM_400000_NS6detail17trampoline_kernelINS0_14default_configENS1_36segmented_radix_sort_config_selectorIilEEZNS1_25segmented_radix_sort_implIS3_Lb1EPKiPiPKlPlN2at6native12_GLOBAL__N_18offset_tEEE10hipError_tPvRmT1_PNSt15iterator_traitsISK_E10value_typeET2_T3_PNSL_ISQ_E10value_typeET4_jRbjT5_SW_jjP12ihipStream_tbEUlT_E1_NS1_11comp_targetILNS1_3genE3ELNS1_11target_archE908ELNS1_3gpuE7ELNS1_3repE0EEENS1_59segmented_radix_sort_warp_sort_small_config_static_selectorELNS0_4arch9wavefront6targetE0EEEvSK_: ; @_ZN7rocprim17ROCPRIM_400000_NS6detail17trampoline_kernelINS0_14default_configENS1_36segmented_radix_sort_config_selectorIilEEZNS1_25segmented_radix_sort_implIS3_Lb1EPKiPiPKlPlN2at6native12_GLOBAL__N_18offset_tEEE10hipError_tPvRmT1_PNSt15iterator_traitsISK_E10value_typeET2_T3_PNSL_ISQ_E10value_typeET4_jRbjT5_SW_jjP12ihipStream_tbEUlT_E1_NS1_11comp_targetILNS1_3genE3ELNS1_11target_archE908ELNS1_3gpuE7ELNS1_3repE0EEENS1_59segmented_radix_sort_warp_sort_small_config_static_selectorELNS0_4arch9wavefront6targetE0EEEvSK_
; %bb.0:
	.section	.rodata,"a",@progbits
	.p2align	6, 0x0
	.amdhsa_kernel _ZN7rocprim17ROCPRIM_400000_NS6detail17trampoline_kernelINS0_14default_configENS1_36segmented_radix_sort_config_selectorIilEEZNS1_25segmented_radix_sort_implIS3_Lb1EPKiPiPKlPlN2at6native12_GLOBAL__N_18offset_tEEE10hipError_tPvRmT1_PNSt15iterator_traitsISK_E10value_typeET2_T3_PNSL_ISQ_E10value_typeET4_jRbjT5_SW_jjP12ihipStream_tbEUlT_E1_NS1_11comp_targetILNS1_3genE3ELNS1_11target_archE908ELNS1_3gpuE7ELNS1_3repE0EEENS1_59segmented_radix_sort_warp_sort_small_config_static_selectorELNS0_4arch9wavefront6targetE0EEEvSK_
		.amdhsa_group_segment_fixed_size 0
		.amdhsa_private_segment_fixed_size 0
		.amdhsa_kernarg_size 88
		.amdhsa_user_sgpr_count 2
		.amdhsa_user_sgpr_dispatch_ptr 0
		.amdhsa_user_sgpr_queue_ptr 0
		.amdhsa_user_sgpr_kernarg_segment_ptr 1
		.amdhsa_user_sgpr_dispatch_id 0
		.amdhsa_user_sgpr_private_segment_size 0
		.amdhsa_wavefront_size32 1
		.amdhsa_uses_dynamic_stack 0
		.amdhsa_enable_private_segment 0
		.amdhsa_system_sgpr_workgroup_id_x 1
		.amdhsa_system_sgpr_workgroup_id_y 0
		.amdhsa_system_sgpr_workgroup_id_z 0
		.amdhsa_system_sgpr_workgroup_info 0
		.amdhsa_system_vgpr_workitem_id 0
		.amdhsa_next_free_vgpr 1
		.amdhsa_next_free_sgpr 1
		.amdhsa_reserve_vcc 0
		.amdhsa_float_round_mode_32 0
		.amdhsa_float_round_mode_16_64 0
		.amdhsa_float_denorm_mode_32 3
		.amdhsa_float_denorm_mode_16_64 3
		.amdhsa_fp16_overflow 0
		.amdhsa_workgroup_processor_mode 1
		.amdhsa_memory_ordered 1
		.amdhsa_forward_progress 1
		.amdhsa_inst_pref_size 0
		.amdhsa_round_robin_scheduling 0
		.amdhsa_exception_fp_ieee_invalid_op 0
		.amdhsa_exception_fp_denorm_src 0
		.amdhsa_exception_fp_ieee_div_zero 0
		.amdhsa_exception_fp_ieee_overflow 0
		.amdhsa_exception_fp_ieee_underflow 0
		.amdhsa_exception_fp_ieee_inexact 0
		.amdhsa_exception_int_div_zero 0
	.end_amdhsa_kernel
	.section	.text._ZN7rocprim17ROCPRIM_400000_NS6detail17trampoline_kernelINS0_14default_configENS1_36segmented_radix_sort_config_selectorIilEEZNS1_25segmented_radix_sort_implIS3_Lb1EPKiPiPKlPlN2at6native12_GLOBAL__N_18offset_tEEE10hipError_tPvRmT1_PNSt15iterator_traitsISK_E10value_typeET2_T3_PNSL_ISQ_E10value_typeET4_jRbjT5_SW_jjP12ihipStream_tbEUlT_E1_NS1_11comp_targetILNS1_3genE3ELNS1_11target_archE908ELNS1_3gpuE7ELNS1_3repE0EEENS1_59segmented_radix_sort_warp_sort_small_config_static_selectorELNS0_4arch9wavefront6targetE0EEEvSK_,"axG",@progbits,_ZN7rocprim17ROCPRIM_400000_NS6detail17trampoline_kernelINS0_14default_configENS1_36segmented_radix_sort_config_selectorIilEEZNS1_25segmented_radix_sort_implIS3_Lb1EPKiPiPKlPlN2at6native12_GLOBAL__N_18offset_tEEE10hipError_tPvRmT1_PNSt15iterator_traitsISK_E10value_typeET2_T3_PNSL_ISQ_E10value_typeET4_jRbjT5_SW_jjP12ihipStream_tbEUlT_E1_NS1_11comp_targetILNS1_3genE3ELNS1_11target_archE908ELNS1_3gpuE7ELNS1_3repE0EEENS1_59segmented_radix_sort_warp_sort_small_config_static_selectorELNS0_4arch9wavefront6targetE0EEEvSK_,comdat
.Lfunc_end520:
	.size	_ZN7rocprim17ROCPRIM_400000_NS6detail17trampoline_kernelINS0_14default_configENS1_36segmented_radix_sort_config_selectorIilEEZNS1_25segmented_radix_sort_implIS3_Lb1EPKiPiPKlPlN2at6native12_GLOBAL__N_18offset_tEEE10hipError_tPvRmT1_PNSt15iterator_traitsISK_E10value_typeET2_T3_PNSL_ISQ_E10value_typeET4_jRbjT5_SW_jjP12ihipStream_tbEUlT_E1_NS1_11comp_targetILNS1_3genE3ELNS1_11target_archE908ELNS1_3gpuE7ELNS1_3repE0EEENS1_59segmented_radix_sort_warp_sort_small_config_static_selectorELNS0_4arch9wavefront6targetE0EEEvSK_, .Lfunc_end520-_ZN7rocprim17ROCPRIM_400000_NS6detail17trampoline_kernelINS0_14default_configENS1_36segmented_radix_sort_config_selectorIilEEZNS1_25segmented_radix_sort_implIS3_Lb1EPKiPiPKlPlN2at6native12_GLOBAL__N_18offset_tEEE10hipError_tPvRmT1_PNSt15iterator_traitsISK_E10value_typeET2_T3_PNSL_ISQ_E10value_typeET4_jRbjT5_SW_jjP12ihipStream_tbEUlT_E1_NS1_11comp_targetILNS1_3genE3ELNS1_11target_archE908ELNS1_3gpuE7ELNS1_3repE0EEENS1_59segmented_radix_sort_warp_sort_small_config_static_selectorELNS0_4arch9wavefront6targetE0EEEvSK_
                                        ; -- End function
	.set _ZN7rocprim17ROCPRIM_400000_NS6detail17trampoline_kernelINS0_14default_configENS1_36segmented_radix_sort_config_selectorIilEEZNS1_25segmented_radix_sort_implIS3_Lb1EPKiPiPKlPlN2at6native12_GLOBAL__N_18offset_tEEE10hipError_tPvRmT1_PNSt15iterator_traitsISK_E10value_typeET2_T3_PNSL_ISQ_E10value_typeET4_jRbjT5_SW_jjP12ihipStream_tbEUlT_E1_NS1_11comp_targetILNS1_3genE3ELNS1_11target_archE908ELNS1_3gpuE7ELNS1_3repE0EEENS1_59segmented_radix_sort_warp_sort_small_config_static_selectorELNS0_4arch9wavefront6targetE0EEEvSK_.num_vgpr, 0
	.set _ZN7rocprim17ROCPRIM_400000_NS6detail17trampoline_kernelINS0_14default_configENS1_36segmented_radix_sort_config_selectorIilEEZNS1_25segmented_radix_sort_implIS3_Lb1EPKiPiPKlPlN2at6native12_GLOBAL__N_18offset_tEEE10hipError_tPvRmT1_PNSt15iterator_traitsISK_E10value_typeET2_T3_PNSL_ISQ_E10value_typeET4_jRbjT5_SW_jjP12ihipStream_tbEUlT_E1_NS1_11comp_targetILNS1_3genE3ELNS1_11target_archE908ELNS1_3gpuE7ELNS1_3repE0EEENS1_59segmented_radix_sort_warp_sort_small_config_static_selectorELNS0_4arch9wavefront6targetE0EEEvSK_.num_agpr, 0
	.set _ZN7rocprim17ROCPRIM_400000_NS6detail17trampoline_kernelINS0_14default_configENS1_36segmented_radix_sort_config_selectorIilEEZNS1_25segmented_radix_sort_implIS3_Lb1EPKiPiPKlPlN2at6native12_GLOBAL__N_18offset_tEEE10hipError_tPvRmT1_PNSt15iterator_traitsISK_E10value_typeET2_T3_PNSL_ISQ_E10value_typeET4_jRbjT5_SW_jjP12ihipStream_tbEUlT_E1_NS1_11comp_targetILNS1_3genE3ELNS1_11target_archE908ELNS1_3gpuE7ELNS1_3repE0EEENS1_59segmented_radix_sort_warp_sort_small_config_static_selectorELNS0_4arch9wavefront6targetE0EEEvSK_.numbered_sgpr, 0
	.set _ZN7rocprim17ROCPRIM_400000_NS6detail17trampoline_kernelINS0_14default_configENS1_36segmented_radix_sort_config_selectorIilEEZNS1_25segmented_radix_sort_implIS3_Lb1EPKiPiPKlPlN2at6native12_GLOBAL__N_18offset_tEEE10hipError_tPvRmT1_PNSt15iterator_traitsISK_E10value_typeET2_T3_PNSL_ISQ_E10value_typeET4_jRbjT5_SW_jjP12ihipStream_tbEUlT_E1_NS1_11comp_targetILNS1_3genE3ELNS1_11target_archE908ELNS1_3gpuE7ELNS1_3repE0EEENS1_59segmented_radix_sort_warp_sort_small_config_static_selectorELNS0_4arch9wavefront6targetE0EEEvSK_.num_named_barrier, 0
	.set _ZN7rocprim17ROCPRIM_400000_NS6detail17trampoline_kernelINS0_14default_configENS1_36segmented_radix_sort_config_selectorIilEEZNS1_25segmented_radix_sort_implIS3_Lb1EPKiPiPKlPlN2at6native12_GLOBAL__N_18offset_tEEE10hipError_tPvRmT1_PNSt15iterator_traitsISK_E10value_typeET2_T3_PNSL_ISQ_E10value_typeET4_jRbjT5_SW_jjP12ihipStream_tbEUlT_E1_NS1_11comp_targetILNS1_3genE3ELNS1_11target_archE908ELNS1_3gpuE7ELNS1_3repE0EEENS1_59segmented_radix_sort_warp_sort_small_config_static_selectorELNS0_4arch9wavefront6targetE0EEEvSK_.private_seg_size, 0
	.set _ZN7rocprim17ROCPRIM_400000_NS6detail17trampoline_kernelINS0_14default_configENS1_36segmented_radix_sort_config_selectorIilEEZNS1_25segmented_radix_sort_implIS3_Lb1EPKiPiPKlPlN2at6native12_GLOBAL__N_18offset_tEEE10hipError_tPvRmT1_PNSt15iterator_traitsISK_E10value_typeET2_T3_PNSL_ISQ_E10value_typeET4_jRbjT5_SW_jjP12ihipStream_tbEUlT_E1_NS1_11comp_targetILNS1_3genE3ELNS1_11target_archE908ELNS1_3gpuE7ELNS1_3repE0EEENS1_59segmented_radix_sort_warp_sort_small_config_static_selectorELNS0_4arch9wavefront6targetE0EEEvSK_.uses_vcc, 0
	.set _ZN7rocprim17ROCPRIM_400000_NS6detail17trampoline_kernelINS0_14default_configENS1_36segmented_radix_sort_config_selectorIilEEZNS1_25segmented_radix_sort_implIS3_Lb1EPKiPiPKlPlN2at6native12_GLOBAL__N_18offset_tEEE10hipError_tPvRmT1_PNSt15iterator_traitsISK_E10value_typeET2_T3_PNSL_ISQ_E10value_typeET4_jRbjT5_SW_jjP12ihipStream_tbEUlT_E1_NS1_11comp_targetILNS1_3genE3ELNS1_11target_archE908ELNS1_3gpuE7ELNS1_3repE0EEENS1_59segmented_radix_sort_warp_sort_small_config_static_selectorELNS0_4arch9wavefront6targetE0EEEvSK_.uses_flat_scratch, 0
	.set _ZN7rocprim17ROCPRIM_400000_NS6detail17trampoline_kernelINS0_14default_configENS1_36segmented_radix_sort_config_selectorIilEEZNS1_25segmented_radix_sort_implIS3_Lb1EPKiPiPKlPlN2at6native12_GLOBAL__N_18offset_tEEE10hipError_tPvRmT1_PNSt15iterator_traitsISK_E10value_typeET2_T3_PNSL_ISQ_E10value_typeET4_jRbjT5_SW_jjP12ihipStream_tbEUlT_E1_NS1_11comp_targetILNS1_3genE3ELNS1_11target_archE908ELNS1_3gpuE7ELNS1_3repE0EEENS1_59segmented_radix_sort_warp_sort_small_config_static_selectorELNS0_4arch9wavefront6targetE0EEEvSK_.has_dyn_sized_stack, 0
	.set _ZN7rocprim17ROCPRIM_400000_NS6detail17trampoline_kernelINS0_14default_configENS1_36segmented_radix_sort_config_selectorIilEEZNS1_25segmented_radix_sort_implIS3_Lb1EPKiPiPKlPlN2at6native12_GLOBAL__N_18offset_tEEE10hipError_tPvRmT1_PNSt15iterator_traitsISK_E10value_typeET2_T3_PNSL_ISQ_E10value_typeET4_jRbjT5_SW_jjP12ihipStream_tbEUlT_E1_NS1_11comp_targetILNS1_3genE3ELNS1_11target_archE908ELNS1_3gpuE7ELNS1_3repE0EEENS1_59segmented_radix_sort_warp_sort_small_config_static_selectorELNS0_4arch9wavefront6targetE0EEEvSK_.has_recursion, 0
	.set _ZN7rocprim17ROCPRIM_400000_NS6detail17trampoline_kernelINS0_14default_configENS1_36segmented_radix_sort_config_selectorIilEEZNS1_25segmented_radix_sort_implIS3_Lb1EPKiPiPKlPlN2at6native12_GLOBAL__N_18offset_tEEE10hipError_tPvRmT1_PNSt15iterator_traitsISK_E10value_typeET2_T3_PNSL_ISQ_E10value_typeET4_jRbjT5_SW_jjP12ihipStream_tbEUlT_E1_NS1_11comp_targetILNS1_3genE3ELNS1_11target_archE908ELNS1_3gpuE7ELNS1_3repE0EEENS1_59segmented_radix_sort_warp_sort_small_config_static_selectorELNS0_4arch9wavefront6targetE0EEEvSK_.has_indirect_call, 0
	.section	.AMDGPU.csdata,"",@progbits
; Kernel info:
; codeLenInByte = 0
; TotalNumSgprs: 0
; NumVgprs: 0
; ScratchSize: 0
; MemoryBound: 0
; FloatMode: 240
; IeeeMode: 1
; LDSByteSize: 0 bytes/workgroup (compile time only)
; SGPRBlocks: 0
; VGPRBlocks: 0
; NumSGPRsForWavesPerEU: 1
; NumVGPRsForWavesPerEU: 1
; Occupancy: 16
; WaveLimiterHint : 0
; COMPUTE_PGM_RSRC2:SCRATCH_EN: 0
; COMPUTE_PGM_RSRC2:USER_SGPR: 2
; COMPUTE_PGM_RSRC2:TRAP_HANDLER: 0
; COMPUTE_PGM_RSRC2:TGID_X_EN: 1
; COMPUTE_PGM_RSRC2:TGID_Y_EN: 0
; COMPUTE_PGM_RSRC2:TGID_Z_EN: 0
; COMPUTE_PGM_RSRC2:TIDIG_COMP_CNT: 0
	.section	.text._ZN7rocprim17ROCPRIM_400000_NS6detail17trampoline_kernelINS0_14default_configENS1_36segmented_radix_sort_config_selectorIilEEZNS1_25segmented_radix_sort_implIS3_Lb1EPKiPiPKlPlN2at6native12_GLOBAL__N_18offset_tEEE10hipError_tPvRmT1_PNSt15iterator_traitsISK_E10value_typeET2_T3_PNSL_ISQ_E10value_typeET4_jRbjT5_SW_jjP12ihipStream_tbEUlT_E1_NS1_11comp_targetILNS1_3genE2ELNS1_11target_archE906ELNS1_3gpuE6ELNS1_3repE0EEENS1_59segmented_radix_sort_warp_sort_small_config_static_selectorELNS0_4arch9wavefront6targetE0EEEvSK_,"axG",@progbits,_ZN7rocprim17ROCPRIM_400000_NS6detail17trampoline_kernelINS0_14default_configENS1_36segmented_radix_sort_config_selectorIilEEZNS1_25segmented_radix_sort_implIS3_Lb1EPKiPiPKlPlN2at6native12_GLOBAL__N_18offset_tEEE10hipError_tPvRmT1_PNSt15iterator_traitsISK_E10value_typeET2_T3_PNSL_ISQ_E10value_typeET4_jRbjT5_SW_jjP12ihipStream_tbEUlT_E1_NS1_11comp_targetILNS1_3genE2ELNS1_11target_archE906ELNS1_3gpuE6ELNS1_3repE0EEENS1_59segmented_radix_sort_warp_sort_small_config_static_selectorELNS0_4arch9wavefront6targetE0EEEvSK_,comdat
	.globl	_ZN7rocprim17ROCPRIM_400000_NS6detail17trampoline_kernelINS0_14default_configENS1_36segmented_radix_sort_config_selectorIilEEZNS1_25segmented_radix_sort_implIS3_Lb1EPKiPiPKlPlN2at6native12_GLOBAL__N_18offset_tEEE10hipError_tPvRmT1_PNSt15iterator_traitsISK_E10value_typeET2_T3_PNSL_ISQ_E10value_typeET4_jRbjT5_SW_jjP12ihipStream_tbEUlT_E1_NS1_11comp_targetILNS1_3genE2ELNS1_11target_archE906ELNS1_3gpuE6ELNS1_3repE0EEENS1_59segmented_radix_sort_warp_sort_small_config_static_selectorELNS0_4arch9wavefront6targetE0EEEvSK_ ; -- Begin function _ZN7rocprim17ROCPRIM_400000_NS6detail17trampoline_kernelINS0_14default_configENS1_36segmented_radix_sort_config_selectorIilEEZNS1_25segmented_radix_sort_implIS3_Lb1EPKiPiPKlPlN2at6native12_GLOBAL__N_18offset_tEEE10hipError_tPvRmT1_PNSt15iterator_traitsISK_E10value_typeET2_T3_PNSL_ISQ_E10value_typeET4_jRbjT5_SW_jjP12ihipStream_tbEUlT_E1_NS1_11comp_targetILNS1_3genE2ELNS1_11target_archE906ELNS1_3gpuE6ELNS1_3repE0EEENS1_59segmented_radix_sort_warp_sort_small_config_static_selectorELNS0_4arch9wavefront6targetE0EEEvSK_
	.p2align	8
	.type	_ZN7rocprim17ROCPRIM_400000_NS6detail17trampoline_kernelINS0_14default_configENS1_36segmented_radix_sort_config_selectorIilEEZNS1_25segmented_radix_sort_implIS3_Lb1EPKiPiPKlPlN2at6native12_GLOBAL__N_18offset_tEEE10hipError_tPvRmT1_PNSt15iterator_traitsISK_E10value_typeET2_T3_PNSL_ISQ_E10value_typeET4_jRbjT5_SW_jjP12ihipStream_tbEUlT_E1_NS1_11comp_targetILNS1_3genE2ELNS1_11target_archE906ELNS1_3gpuE6ELNS1_3repE0EEENS1_59segmented_radix_sort_warp_sort_small_config_static_selectorELNS0_4arch9wavefront6targetE0EEEvSK_,@function
_ZN7rocprim17ROCPRIM_400000_NS6detail17trampoline_kernelINS0_14default_configENS1_36segmented_radix_sort_config_selectorIilEEZNS1_25segmented_radix_sort_implIS3_Lb1EPKiPiPKlPlN2at6native12_GLOBAL__N_18offset_tEEE10hipError_tPvRmT1_PNSt15iterator_traitsISK_E10value_typeET2_T3_PNSL_ISQ_E10value_typeET4_jRbjT5_SW_jjP12ihipStream_tbEUlT_E1_NS1_11comp_targetILNS1_3genE2ELNS1_11target_archE906ELNS1_3gpuE6ELNS1_3repE0EEENS1_59segmented_radix_sort_warp_sort_small_config_static_selectorELNS0_4arch9wavefront6targetE0EEEvSK_: ; @_ZN7rocprim17ROCPRIM_400000_NS6detail17trampoline_kernelINS0_14default_configENS1_36segmented_radix_sort_config_selectorIilEEZNS1_25segmented_radix_sort_implIS3_Lb1EPKiPiPKlPlN2at6native12_GLOBAL__N_18offset_tEEE10hipError_tPvRmT1_PNSt15iterator_traitsISK_E10value_typeET2_T3_PNSL_ISQ_E10value_typeET4_jRbjT5_SW_jjP12ihipStream_tbEUlT_E1_NS1_11comp_targetILNS1_3genE2ELNS1_11target_archE906ELNS1_3gpuE6ELNS1_3repE0EEENS1_59segmented_radix_sort_warp_sort_small_config_static_selectorELNS0_4arch9wavefront6targetE0EEEvSK_
; %bb.0:
	.section	.rodata,"a",@progbits
	.p2align	6, 0x0
	.amdhsa_kernel _ZN7rocprim17ROCPRIM_400000_NS6detail17trampoline_kernelINS0_14default_configENS1_36segmented_radix_sort_config_selectorIilEEZNS1_25segmented_radix_sort_implIS3_Lb1EPKiPiPKlPlN2at6native12_GLOBAL__N_18offset_tEEE10hipError_tPvRmT1_PNSt15iterator_traitsISK_E10value_typeET2_T3_PNSL_ISQ_E10value_typeET4_jRbjT5_SW_jjP12ihipStream_tbEUlT_E1_NS1_11comp_targetILNS1_3genE2ELNS1_11target_archE906ELNS1_3gpuE6ELNS1_3repE0EEENS1_59segmented_radix_sort_warp_sort_small_config_static_selectorELNS0_4arch9wavefront6targetE0EEEvSK_
		.amdhsa_group_segment_fixed_size 0
		.amdhsa_private_segment_fixed_size 0
		.amdhsa_kernarg_size 88
		.amdhsa_user_sgpr_count 2
		.amdhsa_user_sgpr_dispatch_ptr 0
		.amdhsa_user_sgpr_queue_ptr 0
		.amdhsa_user_sgpr_kernarg_segment_ptr 1
		.amdhsa_user_sgpr_dispatch_id 0
		.amdhsa_user_sgpr_private_segment_size 0
		.amdhsa_wavefront_size32 1
		.amdhsa_uses_dynamic_stack 0
		.amdhsa_enable_private_segment 0
		.amdhsa_system_sgpr_workgroup_id_x 1
		.amdhsa_system_sgpr_workgroup_id_y 0
		.amdhsa_system_sgpr_workgroup_id_z 0
		.amdhsa_system_sgpr_workgroup_info 0
		.amdhsa_system_vgpr_workitem_id 0
		.amdhsa_next_free_vgpr 1
		.amdhsa_next_free_sgpr 1
		.amdhsa_reserve_vcc 0
		.amdhsa_float_round_mode_32 0
		.amdhsa_float_round_mode_16_64 0
		.amdhsa_float_denorm_mode_32 3
		.amdhsa_float_denorm_mode_16_64 3
		.amdhsa_fp16_overflow 0
		.amdhsa_workgroup_processor_mode 1
		.amdhsa_memory_ordered 1
		.amdhsa_forward_progress 1
		.amdhsa_inst_pref_size 0
		.amdhsa_round_robin_scheduling 0
		.amdhsa_exception_fp_ieee_invalid_op 0
		.amdhsa_exception_fp_denorm_src 0
		.amdhsa_exception_fp_ieee_div_zero 0
		.amdhsa_exception_fp_ieee_overflow 0
		.amdhsa_exception_fp_ieee_underflow 0
		.amdhsa_exception_fp_ieee_inexact 0
		.amdhsa_exception_int_div_zero 0
	.end_amdhsa_kernel
	.section	.text._ZN7rocprim17ROCPRIM_400000_NS6detail17trampoline_kernelINS0_14default_configENS1_36segmented_radix_sort_config_selectorIilEEZNS1_25segmented_radix_sort_implIS3_Lb1EPKiPiPKlPlN2at6native12_GLOBAL__N_18offset_tEEE10hipError_tPvRmT1_PNSt15iterator_traitsISK_E10value_typeET2_T3_PNSL_ISQ_E10value_typeET4_jRbjT5_SW_jjP12ihipStream_tbEUlT_E1_NS1_11comp_targetILNS1_3genE2ELNS1_11target_archE906ELNS1_3gpuE6ELNS1_3repE0EEENS1_59segmented_radix_sort_warp_sort_small_config_static_selectorELNS0_4arch9wavefront6targetE0EEEvSK_,"axG",@progbits,_ZN7rocprim17ROCPRIM_400000_NS6detail17trampoline_kernelINS0_14default_configENS1_36segmented_radix_sort_config_selectorIilEEZNS1_25segmented_radix_sort_implIS3_Lb1EPKiPiPKlPlN2at6native12_GLOBAL__N_18offset_tEEE10hipError_tPvRmT1_PNSt15iterator_traitsISK_E10value_typeET2_T3_PNSL_ISQ_E10value_typeET4_jRbjT5_SW_jjP12ihipStream_tbEUlT_E1_NS1_11comp_targetILNS1_3genE2ELNS1_11target_archE906ELNS1_3gpuE6ELNS1_3repE0EEENS1_59segmented_radix_sort_warp_sort_small_config_static_selectorELNS0_4arch9wavefront6targetE0EEEvSK_,comdat
.Lfunc_end521:
	.size	_ZN7rocprim17ROCPRIM_400000_NS6detail17trampoline_kernelINS0_14default_configENS1_36segmented_radix_sort_config_selectorIilEEZNS1_25segmented_radix_sort_implIS3_Lb1EPKiPiPKlPlN2at6native12_GLOBAL__N_18offset_tEEE10hipError_tPvRmT1_PNSt15iterator_traitsISK_E10value_typeET2_T3_PNSL_ISQ_E10value_typeET4_jRbjT5_SW_jjP12ihipStream_tbEUlT_E1_NS1_11comp_targetILNS1_3genE2ELNS1_11target_archE906ELNS1_3gpuE6ELNS1_3repE0EEENS1_59segmented_radix_sort_warp_sort_small_config_static_selectorELNS0_4arch9wavefront6targetE0EEEvSK_, .Lfunc_end521-_ZN7rocprim17ROCPRIM_400000_NS6detail17trampoline_kernelINS0_14default_configENS1_36segmented_radix_sort_config_selectorIilEEZNS1_25segmented_radix_sort_implIS3_Lb1EPKiPiPKlPlN2at6native12_GLOBAL__N_18offset_tEEE10hipError_tPvRmT1_PNSt15iterator_traitsISK_E10value_typeET2_T3_PNSL_ISQ_E10value_typeET4_jRbjT5_SW_jjP12ihipStream_tbEUlT_E1_NS1_11comp_targetILNS1_3genE2ELNS1_11target_archE906ELNS1_3gpuE6ELNS1_3repE0EEENS1_59segmented_radix_sort_warp_sort_small_config_static_selectorELNS0_4arch9wavefront6targetE0EEEvSK_
                                        ; -- End function
	.set _ZN7rocprim17ROCPRIM_400000_NS6detail17trampoline_kernelINS0_14default_configENS1_36segmented_radix_sort_config_selectorIilEEZNS1_25segmented_radix_sort_implIS3_Lb1EPKiPiPKlPlN2at6native12_GLOBAL__N_18offset_tEEE10hipError_tPvRmT1_PNSt15iterator_traitsISK_E10value_typeET2_T3_PNSL_ISQ_E10value_typeET4_jRbjT5_SW_jjP12ihipStream_tbEUlT_E1_NS1_11comp_targetILNS1_3genE2ELNS1_11target_archE906ELNS1_3gpuE6ELNS1_3repE0EEENS1_59segmented_radix_sort_warp_sort_small_config_static_selectorELNS0_4arch9wavefront6targetE0EEEvSK_.num_vgpr, 0
	.set _ZN7rocprim17ROCPRIM_400000_NS6detail17trampoline_kernelINS0_14default_configENS1_36segmented_radix_sort_config_selectorIilEEZNS1_25segmented_radix_sort_implIS3_Lb1EPKiPiPKlPlN2at6native12_GLOBAL__N_18offset_tEEE10hipError_tPvRmT1_PNSt15iterator_traitsISK_E10value_typeET2_T3_PNSL_ISQ_E10value_typeET4_jRbjT5_SW_jjP12ihipStream_tbEUlT_E1_NS1_11comp_targetILNS1_3genE2ELNS1_11target_archE906ELNS1_3gpuE6ELNS1_3repE0EEENS1_59segmented_radix_sort_warp_sort_small_config_static_selectorELNS0_4arch9wavefront6targetE0EEEvSK_.num_agpr, 0
	.set _ZN7rocprim17ROCPRIM_400000_NS6detail17trampoline_kernelINS0_14default_configENS1_36segmented_radix_sort_config_selectorIilEEZNS1_25segmented_radix_sort_implIS3_Lb1EPKiPiPKlPlN2at6native12_GLOBAL__N_18offset_tEEE10hipError_tPvRmT1_PNSt15iterator_traitsISK_E10value_typeET2_T3_PNSL_ISQ_E10value_typeET4_jRbjT5_SW_jjP12ihipStream_tbEUlT_E1_NS1_11comp_targetILNS1_3genE2ELNS1_11target_archE906ELNS1_3gpuE6ELNS1_3repE0EEENS1_59segmented_radix_sort_warp_sort_small_config_static_selectorELNS0_4arch9wavefront6targetE0EEEvSK_.numbered_sgpr, 0
	.set _ZN7rocprim17ROCPRIM_400000_NS6detail17trampoline_kernelINS0_14default_configENS1_36segmented_radix_sort_config_selectorIilEEZNS1_25segmented_radix_sort_implIS3_Lb1EPKiPiPKlPlN2at6native12_GLOBAL__N_18offset_tEEE10hipError_tPvRmT1_PNSt15iterator_traitsISK_E10value_typeET2_T3_PNSL_ISQ_E10value_typeET4_jRbjT5_SW_jjP12ihipStream_tbEUlT_E1_NS1_11comp_targetILNS1_3genE2ELNS1_11target_archE906ELNS1_3gpuE6ELNS1_3repE0EEENS1_59segmented_radix_sort_warp_sort_small_config_static_selectorELNS0_4arch9wavefront6targetE0EEEvSK_.num_named_barrier, 0
	.set _ZN7rocprim17ROCPRIM_400000_NS6detail17trampoline_kernelINS0_14default_configENS1_36segmented_radix_sort_config_selectorIilEEZNS1_25segmented_radix_sort_implIS3_Lb1EPKiPiPKlPlN2at6native12_GLOBAL__N_18offset_tEEE10hipError_tPvRmT1_PNSt15iterator_traitsISK_E10value_typeET2_T3_PNSL_ISQ_E10value_typeET4_jRbjT5_SW_jjP12ihipStream_tbEUlT_E1_NS1_11comp_targetILNS1_3genE2ELNS1_11target_archE906ELNS1_3gpuE6ELNS1_3repE0EEENS1_59segmented_radix_sort_warp_sort_small_config_static_selectorELNS0_4arch9wavefront6targetE0EEEvSK_.private_seg_size, 0
	.set _ZN7rocprim17ROCPRIM_400000_NS6detail17trampoline_kernelINS0_14default_configENS1_36segmented_radix_sort_config_selectorIilEEZNS1_25segmented_radix_sort_implIS3_Lb1EPKiPiPKlPlN2at6native12_GLOBAL__N_18offset_tEEE10hipError_tPvRmT1_PNSt15iterator_traitsISK_E10value_typeET2_T3_PNSL_ISQ_E10value_typeET4_jRbjT5_SW_jjP12ihipStream_tbEUlT_E1_NS1_11comp_targetILNS1_3genE2ELNS1_11target_archE906ELNS1_3gpuE6ELNS1_3repE0EEENS1_59segmented_radix_sort_warp_sort_small_config_static_selectorELNS0_4arch9wavefront6targetE0EEEvSK_.uses_vcc, 0
	.set _ZN7rocprim17ROCPRIM_400000_NS6detail17trampoline_kernelINS0_14default_configENS1_36segmented_radix_sort_config_selectorIilEEZNS1_25segmented_radix_sort_implIS3_Lb1EPKiPiPKlPlN2at6native12_GLOBAL__N_18offset_tEEE10hipError_tPvRmT1_PNSt15iterator_traitsISK_E10value_typeET2_T3_PNSL_ISQ_E10value_typeET4_jRbjT5_SW_jjP12ihipStream_tbEUlT_E1_NS1_11comp_targetILNS1_3genE2ELNS1_11target_archE906ELNS1_3gpuE6ELNS1_3repE0EEENS1_59segmented_radix_sort_warp_sort_small_config_static_selectorELNS0_4arch9wavefront6targetE0EEEvSK_.uses_flat_scratch, 0
	.set _ZN7rocprim17ROCPRIM_400000_NS6detail17trampoline_kernelINS0_14default_configENS1_36segmented_radix_sort_config_selectorIilEEZNS1_25segmented_radix_sort_implIS3_Lb1EPKiPiPKlPlN2at6native12_GLOBAL__N_18offset_tEEE10hipError_tPvRmT1_PNSt15iterator_traitsISK_E10value_typeET2_T3_PNSL_ISQ_E10value_typeET4_jRbjT5_SW_jjP12ihipStream_tbEUlT_E1_NS1_11comp_targetILNS1_3genE2ELNS1_11target_archE906ELNS1_3gpuE6ELNS1_3repE0EEENS1_59segmented_radix_sort_warp_sort_small_config_static_selectorELNS0_4arch9wavefront6targetE0EEEvSK_.has_dyn_sized_stack, 0
	.set _ZN7rocprim17ROCPRIM_400000_NS6detail17trampoline_kernelINS0_14default_configENS1_36segmented_radix_sort_config_selectorIilEEZNS1_25segmented_radix_sort_implIS3_Lb1EPKiPiPKlPlN2at6native12_GLOBAL__N_18offset_tEEE10hipError_tPvRmT1_PNSt15iterator_traitsISK_E10value_typeET2_T3_PNSL_ISQ_E10value_typeET4_jRbjT5_SW_jjP12ihipStream_tbEUlT_E1_NS1_11comp_targetILNS1_3genE2ELNS1_11target_archE906ELNS1_3gpuE6ELNS1_3repE0EEENS1_59segmented_radix_sort_warp_sort_small_config_static_selectorELNS0_4arch9wavefront6targetE0EEEvSK_.has_recursion, 0
	.set _ZN7rocprim17ROCPRIM_400000_NS6detail17trampoline_kernelINS0_14default_configENS1_36segmented_radix_sort_config_selectorIilEEZNS1_25segmented_radix_sort_implIS3_Lb1EPKiPiPKlPlN2at6native12_GLOBAL__N_18offset_tEEE10hipError_tPvRmT1_PNSt15iterator_traitsISK_E10value_typeET2_T3_PNSL_ISQ_E10value_typeET4_jRbjT5_SW_jjP12ihipStream_tbEUlT_E1_NS1_11comp_targetILNS1_3genE2ELNS1_11target_archE906ELNS1_3gpuE6ELNS1_3repE0EEENS1_59segmented_radix_sort_warp_sort_small_config_static_selectorELNS0_4arch9wavefront6targetE0EEEvSK_.has_indirect_call, 0
	.section	.AMDGPU.csdata,"",@progbits
; Kernel info:
; codeLenInByte = 0
; TotalNumSgprs: 0
; NumVgprs: 0
; ScratchSize: 0
; MemoryBound: 0
; FloatMode: 240
; IeeeMode: 1
; LDSByteSize: 0 bytes/workgroup (compile time only)
; SGPRBlocks: 0
; VGPRBlocks: 0
; NumSGPRsForWavesPerEU: 1
; NumVGPRsForWavesPerEU: 1
; Occupancy: 16
; WaveLimiterHint : 0
; COMPUTE_PGM_RSRC2:SCRATCH_EN: 0
; COMPUTE_PGM_RSRC2:USER_SGPR: 2
; COMPUTE_PGM_RSRC2:TRAP_HANDLER: 0
; COMPUTE_PGM_RSRC2:TGID_X_EN: 1
; COMPUTE_PGM_RSRC2:TGID_Y_EN: 0
; COMPUTE_PGM_RSRC2:TGID_Z_EN: 0
; COMPUTE_PGM_RSRC2:TIDIG_COMP_CNT: 0
	.text
	.p2align	2                               ; -- Begin function _ZN7rocprim17ROCPRIM_400000_NS6detail26segmented_warp_sort_helperINS1_20WarpSortHelperConfigILj8ELj4ELj256EEEilLi256ELb1EvE4sortIPKiPiPKlPlEEvT_T0_T1_T2_jjjjRNS5_12storage_typeE
	.type	_ZN7rocprim17ROCPRIM_400000_NS6detail26segmented_warp_sort_helperINS1_20WarpSortHelperConfigILj8ELj4ELj256EEEilLi256ELb1EvE4sortIPKiPiPKlPlEEvT_T0_T1_T2_jjjjRNS5_12storage_typeE,@function
_ZN7rocprim17ROCPRIM_400000_NS6detail26segmented_warp_sort_helperINS1_20WarpSortHelperConfigILj8ELj4ELj256EEEilLi256ELb1EvE4sortIPKiPiPKlPlEEvT_T0_T1_T2_jjjjRNS5_12storage_typeE: ; @_ZN7rocprim17ROCPRIM_400000_NS6detail26segmented_warp_sort_helperINS1_20WarpSortHelperConfigILj8ELj4ELj256EEEilLi256ELb1EvE4sortIPKiPiPKlPlEEvT_T0_T1_T2_jjjjRNS5_12storage_typeE
; %bb.0:
	s_wait_loadcnt_dscnt 0x0
	s_wait_expcnt 0x0
	s_wait_samplecnt 0x0
	s_wait_bvhcnt 0x0
	s_wait_kmcnt 0x0
	v_mov_b32_e32 v13, v9
	v_mbcnt_lo_u32_b32 v9, -1, 0
	v_bfrev_b32_e32 v38, 1
	v_bfrev_b32_e32 v48, 1
	s_delay_alu instid0(VALU_DEP_3) | instskip(NEXT) | instid1(VALU_DEP_1)
	v_lshlrev_b32_e32 v37, 2, v9
	v_dual_mov_b32 v9, 0 :: v_dual_and_b32 v36, 28, v37
	v_sub_nc_u32_e32 v13, v13, v8
	s_delay_alu instid0(VALU_DEP_2) | instskip(NEXT) | instid1(VALU_DEP_3)
	v_lshlrev_b32_e32 v34, 2, v36
	v_lshlrev_b64_e32 v[29:30], 2, v[8:9]
	s_delay_alu instid0(VALU_DEP_1) | instskip(SKIP_1) | instid1(VALU_DEP_2)
	v_add_co_u32 v0, vcc_lo, v0, v29
	s_wait_alu 0xfffd
	v_add_co_ci_u32_e64 v1, null, v1, v30, vcc_lo
	s_delay_alu instid0(VALU_DEP_2) | instskip(SKIP_1) | instid1(VALU_DEP_2)
	v_add_co_u32 v0, vcc_lo, v0, v34
	s_wait_alu 0xfffd
	v_add_co_ci_u32_e64 v1, null, 0, v1, vcc_lo
	v_cmp_lt_u32_e32 vcc_lo, v36, v13
	s_and_saveexec_b32 s0, vcc_lo
	s_cbranch_execz .LBB522_2
; %bb.1:
	flat_load_b32 v48, v[0:1]
.LBB522_2:
	s_wait_alu 0xfffe
	s_or_b32 exec_lo, exec_lo, s0
	v_or_b32_e32 v14, 1, v36
	s_delay_alu instid0(VALU_DEP_1)
	v_cmp_lt_u32_e64 s0, v14, v13
	s_and_saveexec_b32 s1, s0
	s_cbranch_execz .LBB522_4
; %bb.3:
	flat_load_b32 v38, v[0:1] offset:4
.LBB522_4:
	s_wait_alu 0xfffe
	s_or_b32 exec_lo, exec_lo, s1
	v_or_b32_e32 v14, 2, v36
	v_bfrev_b32_e32 v39, 1
	v_bfrev_b32_e32 v23, 1
	s_delay_alu instid0(VALU_DEP_3)
	v_cmp_lt_u32_e64 s1, v14, v13
	s_and_saveexec_b32 s2, s1
	s_cbranch_execz .LBB522_6
; %bb.5:
	flat_load_b32 v23, v[0:1] offset:8
.LBB522_6:
	s_wait_alu 0xfffe
	s_or_b32 exec_lo, exec_lo, s2
	v_or_b32_e32 v14, 3, v36
	s_delay_alu instid0(VALU_DEP_1)
	v_cmp_lt_u32_e64 s2, v14, v13
	s_and_saveexec_b32 s3, s2
	s_cbranch_execz .LBB522_8
; %bb.7:
	flat_load_b32 v39, v[0:1] offset:12
.LBB522_8:
	s_wait_alu 0xfffe
	s_or_b32 exec_lo, exec_lo, s3
	v_lshlrev_b64_e32 v[0:1], 3, v[8:9]
	v_dual_mov_b32 v8, 0 :: v_dual_lshlrev_b32 v35, 3, v36
	v_mov_b32_e32 v9, 0
	; wave barrier
	s_delay_alu instid0(VALU_DEP_3) | instskip(SKIP_1) | instid1(VALU_DEP_4)
	v_add_co_u32 v13, s3, v4, v0
	s_wait_alu 0xf1ff
	v_add_co_ci_u32_e64 v14, null, v5, v1, s3
	v_mov_b32_e32 v4, 0
	s_delay_alu instid0(VALU_DEP_3)
	v_add_co_u32 v15, s3, v13, v35
	v_mov_b32_e32 v5, 0
	s_wait_alu 0xf1ff
	v_add_co_ci_u32_e64 v16, null, 0, v14, s3
	s_and_saveexec_b32 s3, vcc_lo
	s_cbranch_execz .LBB522_10
; %bb.9:
	flat_load_b64 v[4:5], v[15:16]
.LBB522_10:
	s_wait_alu 0xfffe
	s_or_b32 exec_lo, exec_lo, s3
	s_mov_b32 s3, 0
	s_wait_alu 0xfffe
	v_dual_mov_b32 v17, s3 :: v_dual_mov_b32 v18, s3
	v_dual_mov_b32 v21, s3 :: v_dual_mov_b32 v22, s3
	;; [unrolled: 1-line block ×3, first 2 shown]
	s_and_saveexec_b32 s4, s0
	s_cbranch_execz .LBB522_12
; %bb.11:
	flat_load_b64 v[17:18], v[15:16] offset:8
	v_dual_mov_b32 v21, s3 :: v_dual_mov_b32 v22, s3
	v_dual_mov_b32 v32, s3 :: v_dual_mov_b32 v33, s3
	s_wait_loadcnt_dscnt 0x0
	v_dual_mov_b32 v8, v17 :: v_dual_mov_b32 v9, v18
.LBB522_12:
	s_wait_alu 0xfffe
	s_or_b32 exec_lo, exec_lo, s4
	v_mov_b32_e32 v19, 0
	v_dual_mov_b32 v20, 0 :: v_dual_mov_b32 v13, 0
	v_mov_b32_e32 v14, 0
	s_and_saveexec_b32 s3, s1
	s_cbranch_execz .LBB522_14
; %bb.13:
	flat_load_b64 v[21:22], v[15:16] offset:16
	s_mov_b32 s4, 0
	s_wait_alu 0xfffe
	v_dual_mov_b32 v32, s4 :: v_dual_mov_b32 v33, s4
	s_wait_loadcnt_dscnt 0x0
	v_dual_mov_b32 v13, v21 :: v_dual_mov_b32 v14, v22
.LBB522_14:
	s_wait_alu 0xfffe
	s_or_b32 exec_lo, exec_lo, s3
	s_and_saveexec_b32 s3, s2
	s_cbranch_execz .LBB522_16
; %bb.15:
	flat_load_b64 v[32:33], v[15:16] offset:24
	s_wait_loadcnt_dscnt 0x0
	v_dual_mov_b32 v19, v32 :: v_dual_mov_b32 v20, v33
.LBB522_16:
	s_wait_alu 0xfffe
	s_or_b32 exec_lo, exec_lo, s3
	v_cmp_ne_u32_e64 s3, 0, v10
	v_cmp_ne_u32_e64 s4, 32, v11
	v_bfe_u32 v16, v31, 10, 10
	v_bfe_u32 v24, v31, 20, 10
	v_and_b32_e32 v15, 0x3ff, v31
	s_mov_b32 s5, 0
	s_or_b32 s3, s3, s4
	; wave barrier
	s_wait_alu 0xfffe
	s_and_saveexec_b32 s4, s3
	s_wait_alu 0xfffe
	s_xor_b32 s11, exec_lo, s4
	s_cbranch_execz .LBB522_60
; %bb.17:
	s_load_b64 s[6:7], s[8:9], 0x0
	s_and_b32 s3, ttmp7, 0xffff
	v_lshlrev_b32_e64 v10, v10, -1
	s_wait_kmcnt 0x0
	s_wait_alu 0xfffe
	s_cmp_lt_u32 s3, s7
	s_cselect_b32 s4, 14, 20
	s_cmp_lt_u32 ttmp9, s6
	s_wait_alu 0xfffe
	s_add_nc_u64 s[12:13], s[8:9], s[4:5]
	s_cselect_b32 s4, 12, 18
	s_load_u16 s3, s[12:13], 0x0
	s_add_nc_u64 s[4:5], s[8:9], s[4:5]
	s_load_u16 s4, s[4:5], 0x0
	s_mov_b32 s5, exec_lo
	s_wait_kmcnt 0x0
	v_mad_u32_u24 v16, v24, s3, v16
	v_lshlrev_b32_e64 v24, v11, -1
	s_delay_alu instid0(VALU_DEP_2) | instskip(NEXT) | instid1(VALU_DEP_2)
	v_mul_lo_u32 v16, v16, s4
	v_xor_b32_e32 v10, v24, v10
	s_delay_alu instid0(VALU_DEP_2) | instskip(NEXT) | instid1(VALU_DEP_1)
	v_add_lshl_u32 v11, v16, v15, 2
	v_cmpx_gt_u32_e32 0x400, v11
	s_cbranch_execz .LBB522_29
; %bb.18:
	s_wait_loadcnt_dscnt 0x0
	v_and_b32_e32 v13, v38, v10
	v_dual_mov_b32 v31, v23 :: v_dual_and_b32 v14, v48, v10
	v_and_b32_e32 v8, v23, v10
	v_and_b32_e32 v9, v39, v10
	s_mov_b32 s6, exec_lo
	s_delay_alu instid0(VALU_DEP_3) | instskip(SKIP_1) | instid1(VALU_DEP_1)
	v_cmp_gt_u32_e64 s3, v13, v14
	s_wait_alu 0xf1ff
	v_cndmask_b32_e64 v16, v18, v5, s3
	v_cndmask_b32_e64 v15, v17, v4, s3
	;; [unrolled: 1-line block ×4, first 2 shown]
	v_dual_mov_b32 v17, v21 :: v_dual_mov_b32 v18, v22
	v_cmpx_gt_u32_e64 v9, v8
; %bb.19:
	v_mov_b32_e32 v17, v32
	v_dual_mov_b32 v31, v39 :: v_dual_mov_b32 v8, v9
	v_dual_mov_b32 v39, v23 :: v_dual_mov_b32 v18, v33
	;; [unrolled: 1-line block ×3, first 2 shown]
; %bb.20:
	s_wait_alu 0xfffe
	s_or_b32 exec_lo, exec_lo, s6
	v_cndmask_b32_e64 v5, v38, v48, s3
                                        ; implicit-def: $vgpr49
	s_delay_alu instid0(VALU_DEP_2) | instskip(SKIP_2) | instid1(VALU_DEP_4)
	v_mov_b32_e32 v19, v32
	v_mov_b32_e32 v28, v20
	v_dual_mov_b32 v22, v14 :: v_dual_mov_b32 v21, v13
	v_and_b32_e32 v4, v5, v10
	v_dual_mov_b32 v26, v18 :: v_dual_mov_b32 v25, v17
	v_dual_mov_b32 v24, v16 :: v_dual_mov_b32 v23, v15
	s_delay_alu instid0(VALU_DEP_3)
	v_cmp_le_u32_e64 s4, v8, v4
	v_mov_b32_e32 v27, v19
	s_and_saveexec_b32 s6, s4
	s_wait_alu 0xfffe
	s_xor_b32 s4, exec_lo, s6
; %bb.21:
	v_and_b32_e32 v49, v31, v10
                                        ; implicit-def: $vgpr21_vgpr22_vgpr23_vgpr24_vgpr25_vgpr26_vgpr27_vgpr28
                                        ; implicit-def: $vgpr8
; %bb.22:
	s_wait_alu 0xfffe
	s_or_saveexec_b32 s4, s4
	v_mov_b32_e32 v20, v33
	v_mov_b32_e32 v24, v5
	s_wait_alu 0xfffe
	s_xor_b32 exec_lo, exec_lo, s4
	s_cbranch_execz .LBB522_24
; %bb.23:
	v_dual_mov_b32 v23, v17 :: v_dual_mov_b32 v24, v18
	v_dual_mov_b32 v25, v15 :: v_dual_mov_b32 v26, v16
	;; [unrolled: 1-line block ×4, first 2 shown]
	s_delay_alu instid0(VALU_DEP_4) | instskip(NEXT) | instid1(VALU_DEP_4)
	v_dual_mov_b32 v15, v23 :: v_dual_mov_b32 v16, v24
	v_dual_mov_b32 v17, v25 :: v_dual_mov_b32 v18, v26
	s_delay_alu instid0(VALU_DEP_4)
	v_dual_mov_b32 v19, v27 :: v_dual_mov_b32 v20, v28
	v_dual_mov_b32 v49, v4 :: v_dual_mov_b32 v24, v31
	;; [unrolled: 1-line block ×3, first 2 shown]
.LBB522_24:
	s_or_b32 exec_lo, exec_lo, s4
	v_cndmask_b32_e64 v21, v48, v38, s3
	v_and_b32_e32 v22, v39, v10
	s_mov_b32 s6, exec_lo
	s_delay_alu instid0(VALU_DEP_2) | instskip(NEXT) | instid1(VALU_DEP_1)
	v_and_b32_e32 v5, v21, v10
	v_cmp_gt_u32_e64 s3, v4, v5
	s_wait_alu 0xf1ff
	s_delay_alu instid0(VALU_DEP_1)
	v_cndmask_b32_e64 v9, v16, v14, s3
	v_cndmask_b32_e64 v8, v15, v13, s3
	;; [unrolled: 1-line block ×4, first 2 shown]
	v_mov_b32_e32 v15, v31
	v_cmpx_gt_u32_e64 v22, v49
; %bb.25:
	v_dual_mov_b32 v13, v17 :: v_dual_mov_b32 v14, v18
	v_mov_b32_e32 v17, v19
	v_dual_mov_b32 v15, v39 :: v_dual_mov_b32 v18, v20
	s_delay_alu instid0(VALU_DEP_3)
	v_dual_mov_b32 v39, v31 :: v_dual_mov_b32 v20, v14
	v_mov_b32_e32 v49, v22
	v_mov_b32_e32 v19, v13
; %bb.26:
	s_wait_alu 0xfffe
	s_or_b32 exec_lo, exec_lo, s6
	v_cndmask_b32_e64 v38, v24, v21, s3
	s_mov_b32 s6, exec_lo
	v_dual_mov_b32 v13, v17 :: v_dual_mov_b32 v14, v18
	s_delay_alu instid0(VALU_DEP_2) | instskip(NEXT) | instid1(VALU_DEP_1)
	v_dual_mov_b32 v23, v15 :: v_dual_and_b32 v16, v38, v10
	v_cmpx_gt_u32_e64 v49, v16
; %bb.27:
	v_dual_mov_b32 v14, v9 :: v_dual_mov_b32 v13, v8
	v_dual_mov_b32 v8, v17 :: v_dual_mov_b32 v9, v18
	;; [unrolled: 1-line block ×3, first 2 shown]
; %bb.28:
	s_wait_alu 0xfffe
	s_or_b32 exec_lo, exec_lo, s6
	v_cndmask_b32_e64 v48, v21, v24, s3
.LBB522_29:
	s_wait_alu 0xfffe
	s_or_b32 exec_lo, exec_lo, s5
	v_dual_mov_b32 v17, 0 :: v_dual_and_b32 v16, 0xffffff80, v11
	v_or_b32_e32 v11, 4, v37
	v_and_b32_e32 v18, 4, v37
	v_and_b32_e32 v31, 0x78, v37
	s_delay_alu instid0(VALU_DEP_4) | instskip(SKIP_2) | instid1(VALU_DEP_2)
	v_sub_nc_u32_e64 v15, 0x400, v16 clamp
	v_lshlrev_b64_e32 v[16:17], 2, v[16:17]
	s_mov_b32 s4, exec_lo
	v_min_u32_e32 v27, v15, v11
	v_min_u32_e32 v32, v15, v18
	s_delay_alu instid0(VALU_DEP_3) | instskip(NEXT) | instid1(VALU_DEP_3)
	v_add_co_u32 v12, null, v12, v16
	v_add_nc_u32_e32 v17, 4, v27
	v_sub_nc_u32_e32 v21, v27, v31
	s_delay_alu instid0(VALU_DEP_3) | instskip(SKIP_1) | instid1(VALU_DEP_4)
	v_add_co_u32 v11, null, v12, v16
	v_lshl_add_u32 v16, v37, 2, v12
	v_min_u32_e32 v28, v15, v17
	s_delay_alu instid0(VALU_DEP_3) | instskip(NEXT) | instid1(VALU_DEP_2)
	v_lshl_add_u32 v18, v37, 3, v11
	v_sub_nc_u32_e32 v17, v28, v27
	s_delay_alu instid0(VALU_DEP_2)
	v_add_nc_u32_e32 v22, 0x1000, v18
	s_wait_loadcnt_dscnt 0x0
	ds_store_2addr_b32 v16, v48, v38 offset1:1
	ds_store_2addr_b64 v22, v[4:5], v[8:9] offset1:1
	ds_store_2addr_b32 v16, v23, v39 offset0:2 offset1:3
	ds_store_2addr_b64 v22, v[13:14], v[19:20] offset0:2 offset1:3
	v_sub_nc_u32_e64 v33, v32, v17 clamp
	v_min_u32_e32 v17, v32, v21
	; wave barrier
	s_delay_alu instid0(VALU_DEP_1)
	v_cmpx_lt_u32_e64 v33, v17
	s_cbranch_execz .LBB522_33
; %bb.30:
	v_lshlrev_b32_e32 v21, 2, v31
	v_lshlrev_b32_e32 v22, 2, v27
	s_mov_b32 s5, 0
	s_delay_alu instid0(VALU_DEP_2) | instskip(NEXT) | instid1(VALU_DEP_2)
	v_add_co_u32 v21, null, v12, v21
	v_add_co_u32 v22, null, v12, v22
.LBB522_31:                             ; =>This Inner Loop Header: Depth=1
	v_add_nc_u32_e32 v24, v17, v33
	s_delay_alu instid0(VALU_DEP_1) | instskip(NEXT) | instid1(VALU_DEP_1)
	v_lshrrev_b32_e32 v24, 1, v24
	v_xad_u32 v25, v24, -1, v32
	v_lshl_add_u32 v26, v24, 2, v21
	v_add_nc_u32_e32 v49, 1, v24
	s_delay_alu instid0(VALU_DEP_3)
	v_lshl_add_u32 v25, v25, 2, v22
	ds_load_b32 v26, v26
	ds_load_b32 v25, v25
	s_wait_dscnt 0x1
	v_and_b32_e32 v26, v26, v10
	s_wait_dscnt 0x0
	v_and_b32_e32 v25, v25, v10
	s_delay_alu instid0(VALU_DEP_1) | instskip(SKIP_1) | instid1(VALU_DEP_1)
	v_cmp_gt_u32_e64 s3, v25, v26
	s_wait_alu 0xf1ff
	v_cndmask_b32_e64 v17, v17, v24, s3
	v_cndmask_b32_e64 v33, v49, v33, s3
	s_delay_alu instid0(VALU_DEP_1)
	v_cmp_ge_u32_e64 s3, v33, v17
	s_wait_alu 0xfffe
	s_or_b32 s5, s3, s5
	s_wait_alu 0xfffe
	s_and_not1_b32 exec_lo, exec_lo, s5
	s_cbranch_execnz .LBB522_31
; %bb.32:
	s_or_b32 exec_lo, exec_lo, s5
.LBB522_33:
	s_wait_alu 0xfffe
	s_or_b32 exec_lo, exec_lo, s4
	v_add_nc_u32_e32 v32, v27, v32
	v_add_nc_u32_e32 v49, v33, v31
	;; [unrolled: 1-line block ×5, first 2 shown]
	v_sub_nc_u32_e32 v32, v32, v33
	v_cmp_le_u32_e64 s3, v49, v27
	v_add_nc_u32_e32 v24, 8, v16
	v_add_nc_u32_e32 v25, 0x1010, v18
	;; [unrolled: 1-line block ×3, first 2 shown]
	v_cmp_le_u32_e64 s4, v32, v28
	v_add_nc_u32_e32 v18, 0x1018, v18
	s_or_b32 s3, s3, s4
	s_wait_alu 0xfffe
	s_and_saveexec_b32 s12, s3
	s_cbranch_execz .LBB522_39
; %bb.34:
	v_cmp_lt_u32_e64 s3, v49, v27
                                        ; implicit-def: $vgpr23
	s_and_saveexec_b32 s4, s3
; %bb.35:
	v_lshl_add_u32 v4, v49, 2, v12
	ds_load_b32 v23, v4
; %bb.36:
	s_wait_alu 0xfffe
	s_or_b32 exec_lo, exec_lo, s4
	v_cmp_ge_u32_e64 s4, v32, v28
	s_mov_b32 s6, exec_lo
                                        ; implicit-def: $vgpr31
	v_cmpx_lt_u32_e64 v32, v28
; %bb.37:
	v_lshl_add_u32 v4, v32, 2, v12
	ds_load_b32 v31, v4
; %bb.38:
	s_wait_alu 0xfffe
	s_or_b32 exec_lo, exec_lo, s6
	s_wait_dscnt 0x0
	v_and_b32_e32 v4, v31, v10
	v_and_b32_e32 v5, v23, v10
	s_delay_alu instid0(VALU_DEP_1)
	v_cmp_le_u32_e64 s5, v4, v5
	s_and_b32 s3, s3, s5
	s_wait_alu 0xfffe
	s_or_b32 s3, s4, s3
	s_wait_alu 0xfffe
	v_cndmask_b32_e64 v4, v32, v49, s3
	v_cndmask_b32_e64 v5, v28, v27, s3
	;; [unrolled: 1-line block ×3, first 2 shown]
	s_delay_alu instid0(VALU_DEP_3) | instskip(NEXT) | instid1(VALU_DEP_3)
	v_add_nc_u32_e32 v8, 1, v4
	v_add_nc_u32_e32 v5, -1, v5
	v_lshl_add_u32 v4, v4, 3, v11
	s_delay_alu instid0(VALU_DEP_2) | instskip(NEXT) | instid1(VALU_DEP_1)
	v_min_u32_e32 v5, v8, v5
	v_lshl_add_u32 v5, v5, 2, v12
	ds_load_b32 v5, v5
	s_wait_dscnt 0x0
	v_cndmask_b32_e64 v33, v5, v31, s3
	v_cndmask_b32_e64 v38, v23, v5, s3
	;; [unrolled: 1-line block ×4, first 2 shown]
	s_delay_alu instid0(VALU_DEP_4) | instskip(NEXT) | instid1(VALU_DEP_4)
	v_and_b32_e32 v9, v33, v10
	v_and_b32_e32 v13, v38, v10
	s_delay_alu instid0(VALU_DEP_4) | instskip(NEXT) | instid1(VALU_DEP_4)
	v_cmp_lt_u32_e64 s4, v5, v27
	v_cmp_ge_u32_e64 s6, v8, v28
	s_delay_alu instid0(VALU_DEP_3)
	v_cmp_le_u32_e64 s5, v9, v13
	s_and_b32 s4, s4, s5
	s_wait_alu 0xfffe
	s_or_b32 s4, s6, s4
	s_wait_alu 0xfffe
	v_cndmask_b32_e64 v9, v8, v5, s4
	v_cndmask_b32_e64 v13, v28, v27, s4
	s_delay_alu instid0(VALU_DEP_2) | instskip(NEXT) | instid1(VALU_DEP_2)
	v_add_nc_u32_e32 v14, 1, v9
	v_add_nc_u32_e32 v13, -1, v13
	s_delay_alu instid0(VALU_DEP_2) | instskip(NEXT) | instid1(VALU_DEP_2)
	v_cndmask_b32_e64 v5, v5, v14, s4
	v_min_u32_e32 v13, v14, v13
	v_cndmask_b32_e64 v8, v14, v8, s4
	s_delay_alu instid0(VALU_DEP_3) | instskip(NEXT) | instid1(VALU_DEP_3)
	v_cmp_lt_u32_e64 s5, v5, v27
	v_lshl_add_u32 v13, v13, 2, v12
	s_delay_alu instid0(VALU_DEP_3)
	v_cmp_ge_u32_e64 s7, v8, v28
	ds_load_b32 v13, v13
	s_wait_dscnt 0x0
	v_cndmask_b32_e64 v32, v13, v33, s4
	v_cndmask_b32_e64 v39, v38, v13, s4
	;; [unrolled: 1-line block ×3, first 2 shown]
	s_delay_alu instid0(VALU_DEP_3) | instskip(NEXT) | instid1(VALU_DEP_3)
	v_and_b32_e32 v13, v32, v10
	v_and_b32_e32 v19, v39, v10
	s_delay_alu instid0(VALU_DEP_1)
	v_cmp_le_u32_e64 s6, v13, v19
	s_and_b32 s5, s5, s6
	s_wait_alu 0xfffe
	s_or_b32 s5, s7, s5
	s_wait_alu 0xfffe
	v_cndmask_b32_e64 v13, v8, v5, s5
	v_cndmask_b32_e64 v14, v28, v27, s5
	;; [unrolled: 1-line block ×3, first 2 shown]
	s_delay_alu instid0(VALU_DEP_3) | instskip(NEXT) | instid1(VALU_DEP_3)
	v_add_nc_u32_e32 v19, 1, v13
	v_add_nc_u32_e32 v14, -1, v14
	v_lshl_add_u32 v13, v13, 3, v11
	s_delay_alu instid0(VALU_DEP_3) | instskip(NEXT) | instid1(VALU_DEP_3)
	v_cndmask_b32_e64 v5, v5, v19, s5
	v_min_u32_e32 v14, v19, v14
	v_cndmask_b32_e64 v8, v19, v8, s5
	s_delay_alu instid0(VALU_DEP_3) | instskip(NEXT) | instid1(VALU_DEP_3)
	v_cmp_lt_u32_e64 s6, v5, v27
	v_lshl_add_u32 v14, v14, 2, v12
	s_delay_alu instid0(VALU_DEP_3) | instskip(SKIP_4) | instid1(VALU_DEP_2)
	v_cmp_ge_u32_e64 s10, v8, v28
	ds_load_b32 v14, v14
	s_wait_dscnt 0x0
	v_cndmask_b32_e64 v49, v14, v32, s5
	v_cndmask_b32_e64 v50, v39, v14, s5
	v_and_b32_e32 v14, v49, v10
	s_delay_alu instid0(VALU_DEP_2) | instskip(NEXT) | instid1(VALU_DEP_1)
	v_and_b32_e32 v20, v50, v10
	v_cmp_le_u32_e64 s7, v14, v20
	s_and_b32 s6, s6, s7
	s_wait_alu 0xfffe
	s_or_b32 s6, s10, s6
	s_wait_alu 0xfffe
	v_cndmask_b32_e64 v5, v8, v5, s6
	v_lshl_add_u32 v8, v9, 3, v11
	v_cndmask_b32_e64 v39, v49, v50, s6
	s_delay_alu instid0(VALU_DEP_3)
	v_lshl_add_u32 v19, v5, 3, v11
	ds_load_b64 v[4:5], v4 offset:4096
	ds_load_b64 v[8:9], v8 offset:4096
	;; [unrolled: 1-line block ×4, first 2 shown]
.LBB522_39:
	s_wait_alu 0xfffe
	s_or_b32 exec_lo, exec_lo, s12
	v_and_b32_e32 v31, 0x70, v37
	v_and_b32_e32 v32, 12, v37
	s_mov_b32 s4, exec_lo
	; wave barrier
	s_delay_alu instid0(VALU_DEP_2) | instskip(NEXT) | instid1(VALU_DEP_2)
	v_or_b32_e32 v27, 8, v31
	v_min_u32_e32 v32, v15, v32
	ds_store_b32 v16, v48
	s_wait_dscnt 0x4
	ds_store_b64 v26, v[4:5]
	ds_store_b32 v21, v38
	s_wait_dscnt 0x5
	ds_store_b64 v22, v[8:9]
	;; [unrolled: 3-line block ×4, first 2 shown]
	v_min_u32_e32 v27, v15, v27
	; wave barrier
	s_delay_alu instid0(VALU_DEP_1) | instskip(SKIP_1) | instid1(VALU_DEP_2)
	v_add_nc_u32_e32 v28, 8, v27
	v_sub_nc_u32_e32 v49, v27, v31
	v_min_u32_e32 v28, v15, v28
	s_delay_alu instid0(VALU_DEP_2) | instskip(NEXT) | instid1(VALU_DEP_2)
	v_min_u32_e32 v49, v32, v49
	v_sub_nc_u32_e32 v33, v28, v27
	s_delay_alu instid0(VALU_DEP_1) | instskip(NEXT) | instid1(VALU_DEP_1)
	v_sub_nc_u32_e64 v33, v32, v33 clamp
	v_cmpx_lt_u32_e64 v33, v49
	s_cbranch_execz .LBB522_43
; %bb.40:
	v_lshlrev_b32_e32 v50, 2, v31
	v_lshlrev_b32_e32 v51, 2, v27
	s_mov_b32 s5, 0
	s_delay_alu instid0(VALU_DEP_2) | instskip(NEXT) | instid1(VALU_DEP_2)
	v_add_co_u32 v50, null, v12, v50
	v_add_co_u32 v51, null, v12, v51
.LBB522_41:                             ; =>This Inner Loop Header: Depth=1
	v_add_nc_u32_e32 v52, v49, v33
	s_delay_alu instid0(VALU_DEP_1) | instskip(NEXT) | instid1(VALU_DEP_1)
	v_lshrrev_b32_e32 v52, 1, v52
	v_xad_u32 v53, v52, -1, v32
	v_lshl_add_u32 v54, v52, 2, v50
	v_add_nc_u32_e32 v55, 1, v52
	s_delay_alu instid0(VALU_DEP_3)
	v_lshl_add_u32 v53, v53, 2, v51
	ds_load_b32 v54, v54
	ds_load_b32 v53, v53
	s_wait_dscnt 0x1
	v_and_b32_e32 v54, v54, v10
	s_wait_dscnt 0x0
	v_and_b32_e32 v53, v53, v10
	s_delay_alu instid0(VALU_DEP_1) | instskip(SKIP_1) | instid1(VALU_DEP_1)
	v_cmp_gt_u32_e64 s3, v53, v54
	s_wait_alu 0xf1ff
	v_cndmask_b32_e64 v49, v49, v52, s3
	v_cndmask_b32_e64 v33, v55, v33, s3
	s_delay_alu instid0(VALU_DEP_1)
	v_cmp_ge_u32_e64 s3, v33, v49
	s_wait_alu 0xfffe
	s_or_b32 s5, s3, s5
	s_wait_alu 0xfffe
	s_and_not1_b32 exec_lo, exec_lo, s5
	s_cbranch_execnz .LBB522_41
; %bb.42:
	s_or_b32 exec_lo, exec_lo, s5
.LBB522_43:
	s_wait_alu 0xfffe
	s_or_b32 exec_lo, exec_lo, s4
	v_add_nc_u32_e32 v32, v27, v32
	v_add_nc_u32_e32 v49, v33, v31
	s_delay_alu instid0(VALU_DEP_2) | instskip(NEXT) | instid1(VALU_DEP_2)
	v_sub_nc_u32_e32 v32, v32, v33
	v_cmp_le_u32_e64 s3, v49, v27
	s_delay_alu instid0(VALU_DEP_2)
	v_cmp_le_u32_e64 s4, v32, v28
	s_or_b32 s3, s3, s4
	s_wait_alu 0xfffe
	s_and_saveexec_b32 s12, s3
	s_cbranch_execz .LBB522_49
; %bb.44:
	v_cmp_lt_u32_e64 s3, v49, v27
                                        ; implicit-def: $vgpr23
	s_and_saveexec_b32 s4, s3
; %bb.45:
	v_lshl_add_u32 v4, v49, 2, v12
	ds_load_b32 v23, v4
; %bb.46:
	s_wait_alu 0xfffe
	s_or_b32 exec_lo, exec_lo, s4
	v_cmp_ge_u32_e64 s4, v32, v28
	s_mov_b32 s6, exec_lo
                                        ; implicit-def: $vgpr31
	v_cmpx_lt_u32_e64 v32, v28
; %bb.47:
	v_lshl_add_u32 v4, v32, 2, v12
	ds_load_b32 v31, v4
; %bb.48:
	s_wait_alu 0xfffe
	s_or_b32 exec_lo, exec_lo, s6
	s_wait_dscnt 0x0
	v_and_b32_e32 v4, v31, v10
	v_and_b32_e32 v5, v23, v10
	s_delay_alu instid0(VALU_DEP_1)
	v_cmp_le_u32_e64 s5, v4, v5
	s_and_b32 s3, s3, s5
	s_wait_alu 0xfffe
	s_or_b32 s3, s4, s3
	s_wait_alu 0xfffe
	v_cndmask_b32_e64 v4, v32, v49, s3
	v_cndmask_b32_e64 v5, v28, v27, s3
	v_cndmask_b32_e64 v48, v31, v23, s3
	s_delay_alu instid0(VALU_DEP_3) | instskip(NEXT) | instid1(VALU_DEP_3)
	v_add_nc_u32_e32 v8, 1, v4
	v_add_nc_u32_e32 v5, -1, v5
	v_lshl_add_u32 v4, v4, 3, v11
	s_delay_alu instid0(VALU_DEP_2) | instskip(NEXT) | instid1(VALU_DEP_1)
	v_min_u32_e32 v5, v8, v5
	v_lshl_add_u32 v5, v5, 2, v12
	ds_load_b32 v5, v5
	s_wait_dscnt 0x0
	v_cndmask_b32_e64 v33, v5, v31, s3
	v_cndmask_b32_e64 v38, v23, v5, s3
	;; [unrolled: 1-line block ×4, first 2 shown]
	s_delay_alu instid0(VALU_DEP_4) | instskip(NEXT) | instid1(VALU_DEP_4)
	v_and_b32_e32 v9, v33, v10
	v_and_b32_e32 v13, v38, v10
	s_delay_alu instid0(VALU_DEP_4) | instskip(NEXT) | instid1(VALU_DEP_4)
	v_cmp_lt_u32_e64 s4, v5, v27
	v_cmp_ge_u32_e64 s6, v8, v28
	s_delay_alu instid0(VALU_DEP_3)
	v_cmp_le_u32_e64 s5, v9, v13
	s_and_b32 s4, s4, s5
	s_wait_alu 0xfffe
	s_or_b32 s4, s6, s4
	s_wait_alu 0xfffe
	v_cndmask_b32_e64 v9, v8, v5, s4
	v_cndmask_b32_e64 v13, v28, v27, s4
	s_delay_alu instid0(VALU_DEP_2) | instskip(NEXT) | instid1(VALU_DEP_2)
	v_add_nc_u32_e32 v14, 1, v9
	v_add_nc_u32_e32 v13, -1, v13
	s_delay_alu instid0(VALU_DEP_2) | instskip(NEXT) | instid1(VALU_DEP_2)
	v_cndmask_b32_e64 v5, v5, v14, s4
	v_min_u32_e32 v13, v14, v13
	v_cndmask_b32_e64 v8, v14, v8, s4
	s_delay_alu instid0(VALU_DEP_3) | instskip(NEXT) | instid1(VALU_DEP_3)
	v_cmp_lt_u32_e64 s5, v5, v27
	v_lshl_add_u32 v13, v13, 2, v12
	s_delay_alu instid0(VALU_DEP_3)
	v_cmp_ge_u32_e64 s7, v8, v28
	ds_load_b32 v13, v13
	s_wait_dscnt 0x0
	v_cndmask_b32_e64 v32, v13, v33, s4
	v_cndmask_b32_e64 v39, v38, v13, s4
	;; [unrolled: 1-line block ×3, first 2 shown]
	s_delay_alu instid0(VALU_DEP_3) | instskip(NEXT) | instid1(VALU_DEP_3)
	v_and_b32_e32 v13, v32, v10
	v_and_b32_e32 v19, v39, v10
	s_delay_alu instid0(VALU_DEP_1)
	v_cmp_le_u32_e64 s6, v13, v19
	s_and_b32 s5, s5, s6
	s_wait_alu 0xfffe
	s_or_b32 s5, s7, s5
	s_wait_alu 0xfffe
	v_cndmask_b32_e64 v13, v8, v5, s5
	v_cndmask_b32_e64 v14, v28, v27, s5
	;; [unrolled: 1-line block ×3, first 2 shown]
	s_delay_alu instid0(VALU_DEP_3) | instskip(NEXT) | instid1(VALU_DEP_3)
	v_add_nc_u32_e32 v19, 1, v13
	v_add_nc_u32_e32 v14, -1, v14
	v_lshl_add_u32 v13, v13, 3, v11
	s_delay_alu instid0(VALU_DEP_3) | instskip(NEXT) | instid1(VALU_DEP_3)
	v_cndmask_b32_e64 v5, v5, v19, s5
	v_min_u32_e32 v14, v19, v14
	v_cndmask_b32_e64 v8, v19, v8, s5
	s_delay_alu instid0(VALU_DEP_3) | instskip(NEXT) | instid1(VALU_DEP_3)
	v_cmp_lt_u32_e64 s6, v5, v27
	v_lshl_add_u32 v14, v14, 2, v12
	s_delay_alu instid0(VALU_DEP_3) | instskip(SKIP_4) | instid1(VALU_DEP_2)
	v_cmp_ge_u32_e64 s10, v8, v28
	ds_load_b32 v14, v14
	s_wait_dscnt 0x0
	v_cndmask_b32_e64 v49, v14, v32, s5
	v_cndmask_b32_e64 v50, v39, v14, s5
	v_and_b32_e32 v14, v49, v10
	s_delay_alu instid0(VALU_DEP_2) | instskip(NEXT) | instid1(VALU_DEP_1)
	v_and_b32_e32 v20, v50, v10
	v_cmp_le_u32_e64 s7, v14, v20
	s_and_b32 s6, s6, s7
	s_wait_alu 0xfffe
	s_or_b32 s6, s10, s6
	s_wait_alu 0xfffe
	v_cndmask_b32_e64 v5, v8, v5, s6
	v_lshl_add_u32 v8, v9, 3, v11
	v_cndmask_b32_e64 v39, v49, v50, s6
	s_delay_alu instid0(VALU_DEP_3)
	v_lshl_add_u32 v19, v5, 3, v11
	ds_load_b64 v[4:5], v4 offset:4096
	ds_load_b64 v[8:9], v8 offset:4096
	;; [unrolled: 1-line block ×4, first 2 shown]
.LBB522_49:
	s_wait_alu 0xfffe
	s_or_b32 exec_lo, exec_lo, s12
	v_and_b32_e32 v31, 0x60, v37
	; wave barrier
	ds_store_b32 v16, v48
	s_wait_dscnt 0x4
	ds_store_b64 v26, v[4:5]
	s_mov_b32 s4, exec_lo
	v_or_b32_e32 v27, 16, v31
	ds_store_b32 v21, v38
	s_wait_dscnt 0x5
	ds_store_b64 v22, v[8:9]
	ds_store_b32 v24, v23
	s_wait_dscnt 0x6
	ds_store_b64 v25, v[13:14]
	;; [unrolled: 3-line block ×3, first 2 shown]
	; wave barrier
	v_min_u32_e32 v27, v15, v27
	s_delay_alu instid0(VALU_DEP_1) | instskip(SKIP_1) | instid1(VALU_DEP_2)
	v_add_nc_u32_e32 v28, 16, v27
	v_sub_nc_u32_e32 v33, v27, v31
	v_min_u32_e32 v28, v15, v28
	v_min_u32_e32 v15, v15, v36
	s_delay_alu instid0(VALU_DEP_2) | instskip(NEXT) | instid1(VALU_DEP_2)
	v_sub_nc_u32_e32 v32, v28, v27
	v_min_u32_e32 v26, v15, v33
	s_delay_alu instid0(VALU_DEP_2) | instskip(NEXT) | instid1(VALU_DEP_1)
	v_sub_nc_u32_e64 v16, v15, v32 clamp
	v_cmpx_lt_u32_e64 v16, v26
	s_cbranch_execz .LBB522_53
; %bb.50:
	v_lshlrev_b32_e32 v17, 2, v31
	v_lshlrev_b32_e32 v18, 2, v27
	s_mov_b32 s5, 0
	s_delay_alu instid0(VALU_DEP_2) | instskip(NEXT) | instid1(VALU_DEP_2)
	v_add_co_u32 v17, null, v12, v17
	v_add_co_u32 v18, null, v12, v18
.LBB522_51:                             ; =>This Inner Loop Header: Depth=1
	v_add_nc_u32_e32 v21, v26, v16
	s_delay_alu instid0(VALU_DEP_1) | instskip(NEXT) | instid1(VALU_DEP_1)
	v_lshrrev_b32_e32 v21, 1, v21
	v_xad_u32 v22, v21, -1, v15
	v_lshl_add_u32 v24, v21, 2, v17
	v_add_nc_u32_e32 v25, 1, v21
	s_delay_alu instid0(VALU_DEP_3)
	v_lshl_add_u32 v22, v22, 2, v18
	ds_load_b32 v24, v24
	ds_load_b32 v22, v22
	s_wait_dscnt 0x1
	v_and_b32_e32 v24, v24, v10
	s_wait_dscnt 0x0
	v_and_b32_e32 v22, v22, v10
	s_delay_alu instid0(VALU_DEP_1) | instskip(SKIP_1) | instid1(VALU_DEP_1)
	v_cmp_gt_u32_e64 s3, v22, v24
	s_wait_alu 0xf1ff
	v_cndmask_b32_e64 v26, v26, v21, s3
	v_cndmask_b32_e64 v16, v25, v16, s3
	s_delay_alu instid0(VALU_DEP_1)
	v_cmp_ge_u32_e64 s3, v16, v26
	s_wait_alu 0xfffe
	s_or_b32 s5, s3, s5
	s_wait_alu 0xfffe
	s_and_not1_b32 exec_lo, exec_lo, s5
	s_cbranch_execnz .LBB522_51
; %bb.52:
	s_or_b32 exec_lo, exec_lo, s5
.LBB522_53:
	s_wait_alu 0xfffe
	s_or_b32 exec_lo, exec_lo, s4
	v_add_nc_u32_e32 v15, v27, v15
	v_add_nc_u32_e32 v18, v16, v31
	s_delay_alu instid0(VALU_DEP_2) | instskip(NEXT) | instid1(VALU_DEP_2)
	v_sub_nc_u32_e32 v17, v15, v16
	v_cmp_le_u32_e64 s3, v18, v27
	s_delay_alu instid0(VALU_DEP_2)
	v_cmp_le_u32_e64 s4, v17, v28
	s_or_b32 s3, s3, s4
	s_wait_alu 0xfffe
	s_and_saveexec_b32 s12, s3
	s_cbranch_execz .LBB522_59
; %bb.54:
	v_cmp_lt_u32_e64 s3, v18, v27
                                        ; implicit-def: $vgpr15
	s_and_saveexec_b32 s4, s3
; %bb.55:
	v_lshl_add_u32 v4, v18, 2, v12
	ds_load_b32 v15, v4
; %bb.56:
	s_wait_alu 0xfffe
	s_or_b32 exec_lo, exec_lo, s4
	v_cmp_ge_u32_e64 s4, v17, v28
	s_mov_b32 s6, exec_lo
                                        ; implicit-def: $vgpr16
	v_cmpx_lt_u32_e64 v17, v28
; %bb.57:
	v_lshl_add_u32 v4, v17, 2, v12
	ds_load_b32 v16, v4
; %bb.58:
	s_wait_alu 0xfffe
	s_or_b32 exec_lo, exec_lo, s6
	s_wait_dscnt 0x0
	v_and_b32_e32 v4, v16, v10
	v_and_b32_e32 v5, v15, v10
	s_delay_alu instid0(VALU_DEP_1)
	v_cmp_le_u32_e64 s5, v4, v5
	s_and_b32 s3, s3, s5
	s_wait_alu 0xfffe
	s_or_b32 s3, s4, s3
	s_wait_alu 0xfffe
	v_cndmask_b32_e64 v4, v17, v18, s3
	v_cndmask_b32_e64 v5, v28, v27, s3
	;; [unrolled: 1-line block ×3, first 2 shown]
	s_delay_alu instid0(VALU_DEP_3) | instskip(NEXT) | instid1(VALU_DEP_3)
	v_add_nc_u32_e32 v8, 1, v4
	v_add_nc_u32_e32 v5, -1, v5
	v_lshl_add_u32 v4, v4, 3, v11
	s_delay_alu instid0(VALU_DEP_2) | instskip(NEXT) | instid1(VALU_DEP_1)
	v_min_u32_e32 v5, v8, v5
	v_lshl_add_u32 v5, v5, 2, v12
	ds_load_b32 v5, v5
	s_wait_dscnt 0x0
	v_cndmask_b32_e64 v21, v5, v16, s3
	v_cndmask_b32_e64 v22, v15, v5, s3
	;; [unrolled: 1-line block ×4, first 2 shown]
	s_delay_alu instid0(VALU_DEP_4) | instskip(NEXT) | instid1(VALU_DEP_4)
	v_and_b32_e32 v9, v21, v10
	v_and_b32_e32 v13, v22, v10
	s_delay_alu instid0(VALU_DEP_4) | instskip(NEXT) | instid1(VALU_DEP_4)
	v_cmp_lt_u32_e64 s4, v5, v27
	v_cmp_ge_u32_e64 s6, v8, v28
	s_delay_alu instid0(VALU_DEP_3)
	v_cmp_le_u32_e64 s5, v9, v13
	s_and_b32 s4, s4, s5
	s_wait_alu 0xfffe
	s_or_b32 s4, s6, s4
	s_wait_alu 0xfffe
	v_cndmask_b32_e64 v9, v8, v5, s4
	v_cndmask_b32_e64 v13, v28, v27, s4
	;; [unrolled: 1-line block ×3, first 2 shown]
	s_delay_alu instid0(VALU_DEP_3) | instskip(NEXT) | instid1(VALU_DEP_3)
	v_add_nc_u32_e32 v14, 1, v9
	v_add_nc_u32_e32 v13, -1, v13
	s_delay_alu instid0(VALU_DEP_2) | instskip(NEXT) | instid1(VALU_DEP_2)
	v_cndmask_b32_e64 v5, v5, v14, s4
	v_min_u32_e32 v13, v14, v13
	v_cndmask_b32_e64 v8, v14, v8, s4
	s_delay_alu instid0(VALU_DEP_3) | instskip(NEXT) | instid1(VALU_DEP_3)
	v_cmp_lt_u32_e64 s5, v5, v27
	v_lshl_add_u32 v13, v13, 2, v12
	s_delay_alu instid0(VALU_DEP_3) | instskip(SKIP_4) | instid1(VALU_DEP_2)
	v_cmp_ge_u32_e64 s7, v8, v28
	ds_load_b32 v13, v13
	s_wait_dscnt 0x0
	v_cndmask_b32_e64 v17, v13, v21, s4
	v_cndmask_b32_e64 v18, v22, v13, s4
	v_and_b32_e32 v13, v17, v10
	s_delay_alu instid0(VALU_DEP_2) | instskip(NEXT) | instid1(VALU_DEP_1)
	v_and_b32_e32 v19, v18, v10
	v_cmp_le_u32_e64 s6, v13, v19
	s_and_b32 s5, s5, s6
	s_wait_alu 0xfffe
	s_or_b32 s5, s7, s5
	s_wait_alu 0xfffe
	v_cndmask_b32_e64 v13, v8, v5, s5
	v_cndmask_b32_e64 v14, v28, v27, s5
	;; [unrolled: 1-line block ×3, first 2 shown]
	s_delay_alu instid0(VALU_DEP_3) | instskip(NEXT) | instid1(VALU_DEP_3)
	v_add_nc_u32_e32 v19, 1, v13
	v_add_nc_u32_e32 v14, -1, v14
	s_delay_alu instid0(VALU_DEP_2) | instskip(NEXT) | instid1(VALU_DEP_2)
	v_cndmask_b32_e64 v5, v5, v19, s5
	v_min_u32_e32 v14, v19, v14
	v_cndmask_b32_e64 v8, v19, v8, s5
	s_delay_alu instid0(VALU_DEP_3) | instskip(NEXT) | instid1(VALU_DEP_3)
	v_cmp_lt_u32_e64 s6, v5, v27
	v_lshl_add_u32 v12, v14, 2, v12
	s_delay_alu instid0(VALU_DEP_3) | instskip(SKIP_4) | instid1(VALU_DEP_2)
	v_cmp_ge_u32_e64 s10, v8, v28
	ds_load_b32 v12, v12
	s_wait_dscnt 0x0
	v_cndmask_b32_e64 v24, v12, v17, s5
	v_cndmask_b32_e64 v12, v18, v12, s5
	v_and_b32_e32 v14, v24, v10
	s_delay_alu instid0(VALU_DEP_2) | instskip(NEXT) | instid1(VALU_DEP_1)
	v_and_b32_e32 v10, v12, v10
	v_cmp_le_u32_e64 s7, v14, v10
	v_lshl_add_u32 v10, v13, 3, v11
	s_and_b32 s6, s6, s7
	s_wait_alu 0xfffe
	s_or_b32 s6, s10, s6
	s_wait_alu 0xfffe
	v_cndmask_b32_e64 v5, v8, v5, s6
	v_lshl_add_u32 v8, v9, 3, v11
	v_cndmask_b32_e64 v39, v24, v12, s6
	s_delay_alu instid0(VALU_DEP_3)
	v_lshl_add_u32 v11, v5, 3, v11
	ds_load_b64 v[4:5], v4 offset:4096
	ds_load_b64 v[8:9], v8 offset:4096
	;; [unrolled: 1-line block ×4, first 2 shown]
.LBB522_59:
	s_wait_alu 0xfffe
	s_or_b32 exec_lo, exec_lo, s12
	; wave barrier
	s_wait_storecnt_dscnt 0x0
	s_barrier_signal -1
	s_barrier_wait -1
                                        ; implicit-def: $vgpr37
                                        ; implicit-def: $vgpr12
                                        ; implicit-def: $vgpr36
                                        ; implicit-def: $vgpr16
                                        ; implicit-def: $vgpr24
                                        ; implicit-def: $vgpr15
                                        ; implicit-def: $vgpr32_vgpr33
                                        ; implicit-def: $vgpr21_vgpr22
                                        ; implicit-def: $vgpr17_vgpr18
.LBB522_60:
	s_wait_alu 0xfffe
	s_and_not1_saveexec_b32 s10, s11
	s_cbranch_execz .LBB522_96
; %bb.61:
	s_load_b64 s[4:5], s[8:9], 0x0
	s_and_b32 s3, ttmp7, 0xffff
	s_mov_b32 s7, 0
	s_wait_kmcnt 0x0
	s_wait_alu 0xfffe
	s_cmp_lt_u32 s3, s5
	s_cselect_b32 s6, 14, 20
	s_cmp_lt_u32 ttmp9, s4
	s_wait_alu 0xfffe
	s_add_nc_u64 s[12:13], s[8:9], s[6:7]
	s_cselect_b32 s6, 12, 18
	s_load_u16 s3, s[12:13], 0x0
	s_add_nc_u64 s[4:5], s[8:9], s[6:7]
	s_mov_b32 s6, exec_lo
	s_load_u16 s4, s[4:5], 0x0
	s_wait_kmcnt 0x0
	v_mad_u32_u24 v10, v24, s3, v16
	s_delay_alu instid0(VALU_DEP_1) | instskip(NEXT) | instid1(VALU_DEP_1)
	v_mul_lo_u32 v10, v10, s4
	v_add_lshl_u32 v10, v10, v15, 2
	s_delay_alu instid0(VALU_DEP_1)
	v_cmpx_gt_u32_e32 0x400, v10
	s_cbranch_execz .LBB522_65
; %bb.62:
	s_wait_loadcnt_dscnt 0x0
	v_cmp_gt_i32_e64 s3, v38, v48
	v_min_i32_e32 v8, v38, v48
	v_cmp_gt_i32_e64 s4, v39, v23
	v_max_i32_e32 v14, v39, v23
	v_min_i32_e32 v15, v39, v23
	v_max_i32_e32 v11, v38, v48
	s_wait_alu 0xf1ff
	v_cndmask_b32_e64 v13, v4, v17, s3
	v_cndmask_b32_e64 v9, v5, v18, s3
	;; [unrolled: 1-line block ×7, first 2 shown]
	v_cmp_gt_i32_e64 s5, v14, v8
	v_cndmask_b32_e64 v21, v33, v22, s4
	v_min_i32_e32 v17, v14, v8
	v_cmp_lt_i32_e64 s4, v8, v15
	v_max_i32_e32 v16, v14, v8
	s_wait_alu 0xf1ff
	v_cndmask_b32_e64 v22, v19, v4, s5
	v_cndmask_b32_e64 v20, v5, v18, s5
	v_cmp_gt_i32_e64 s3, v14, v11
	v_cndmask_b32_e64 v14, v4, v19, s5
	v_cndmask_b32_e64 v23, v18, v5, s5
	;; [unrolled: 1-line block ×4, first 2 shown]
	s_wait_alu 0xf1ff
	v_cndmask_b32_e64 v38, v16, v11, s3
	v_cndmask_b32_e64 v5, v9, v20, s3
	;; [unrolled: 1-line block ×8, first 2 shown]
	v_mov_b32_e32 v23, v18
	s_mov_b32 s7, exec_lo
	v_cmpx_gt_i32_e64 v18, v38
; %bb.63:
	s_delay_alu instid0(VALU_DEP_3) | instskip(SKIP_2) | instid1(VALU_DEP_3)
	v_dual_mov_b32 v22, v14 :: v_dual_mov_b32 v21, v13
	v_dual_mov_b32 v14, v9 :: v_dual_mov_b32 v13, v8
	;; [unrolled: 1-line block ×4, first 2 shown]
; %bb.64:
	s_wait_alu 0xfffe
	s_or_b32 exec_lo, exec_lo, s7
	v_cndmask_b32_e64 v48, v11, v16, s3
	v_cndmask_b32_e64 v39, v15, v17, s4
.LBB522_65:
	s_or_b32 exec_lo, exec_lo, s6
	v_dual_mov_b32 v11, 0 :: v_dual_and_b32 v10, 0xffffff80, v10
	v_or_b32_e32 v16, 4, v37
	v_and_b32_e32 v28, 0x78, v37
	s_mov_b32 s4, exec_lo
	s_delay_alu instid0(VALU_DEP_3) | instskip(SKIP_1) | instid1(VALU_DEP_2)
	v_sub_nc_u32_e64 v15, 0x400, v10 clamp
	v_lshlrev_b64_e32 v[10:11], 2, v[10:11]
	v_min_u32_e32 v26, v15, v16
	v_and_b32_e32 v16, 4, v37
	s_delay_alu instid0(VALU_DEP_3) | instskip(NEXT) | instid1(VALU_DEP_3)
	v_add_co_u32 v11, null, v12, v10
	v_add_nc_u32_e32 v12, 4, v26
	s_delay_alu instid0(VALU_DEP_3) | instskip(NEXT) | instid1(VALU_DEP_3)
	v_min_u32_e32 v31, v15, v16
	v_add_co_u32 v10, null, v11, v10
	v_sub_nc_u32_e32 v18, v26, v28
	s_delay_alu instid0(VALU_DEP_4) | instskip(SKIP_1) | instid1(VALU_DEP_4)
	v_min_u32_e32 v27, v15, v12
	v_lshl_add_u32 v12, v37, 2, v11
	v_lshl_add_u32 v17, v37, 3, v10
	s_delay_alu instid0(VALU_DEP_3) | instskip(NEXT) | instid1(VALU_DEP_2)
	v_sub_nc_u32_e32 v16, v27, v26
	v_add_nc_u32_e32 v21, 0x1000, v17
	s_wait_loadcnt_dscnt 0x0
	ds_store_2addr_b32 v12, v48, v38 offset1:1
	ds_store_2addr_b64 v21, v[4:5], v[8:9] offset1:1
	ds_store_2addr_b32 v12, v23, v39 offset0:2 offset1:3
	ds_store_2addr_b64 v21, v[13:14], v[19:20] offset0:2 offset1:3
	v_sub_nc_u32_e64 v32, v31, v16 clamp
	v_min_u32_e32 v16, v31, v18
	; wave barrier
	s_delay_alu instid0(VALU_DEP_1)
	v_cmpx_lt_u32_e64 v32, v16
	s_cbranch_execz .LBB522_69
; %bb.66:
	v_lshlrev_b32_e32 v18, 2, v28
	v_lshlrev_b32_e32 v21, 2, v26
	s_mov_b32 s5, 0
	s_delay_alu instid0(VALU_DEP_2) | instskip(NEXT) | instid1(VALU_DEP_2)
	v_add_co_u32 v18, null, v11, v18
	v_add_co_u32 v21, null, v11, v21
.LBB522_67:                             ; =>This Inner Loop Header: Depth=1
	v_add_nc_u32_e32 v22, v16, v32
	s_delay_alu instid0(VALU_DEP_1) | instskip(NEXT) | instid1(VALU_DEP_1)
	v_lshrrev_b32_e32 v22, 1, v22
	v_xad_u32 v24, v22, -1, v31
	v_lshl_add_u32 v25, v22, 2, v18
	v_add_nc_u32_e32 v33, 1, v22
	s_delay_alu instid0(VALU_DEP_3)
	v_lshl_add_u32 v24, v24, 2, v21
	ds_load_b32 v25, v25
	ds_load_b32 v24, v24
	s_wait_dscnt 0x0
	v_cmp_gt_i32_e64 s3, v24, v25
	s_wait_alu 0xf1ff
	s_delay_alu instid0(VALU_DEP_1) | instskip(SKIP_1) | instid1(VALU_DEP_1)
	v_cndmask_b32_e64 v16, v16, v22, s3
	v_cndmask_b32_e64 v32, v33, v32, s3
	v_cmp_ge_u32_e64 s3, v32, v16
	s_wait_alu 0xfffe
	s_or_b32 s5, s3, s5
	s_wait_alu 0xfffe
	s_and_not1_b32 exec_lo, exec_lo, s5
	s_cbranch_execnz .LBB522_67
; %bb.68:
	s_or_b32 exec_lo, exec_lo, s5
.LBB522_69:
	s_wait_alu 0xfffe
	s_or_b32 exec_lo, exec_lo, s4
	v_add_nc_u32_e32 v31, v26, v31
	v_add_nc_u32_e32 v33, v32, v28
	v_add_nc_u32_e32 v25, 0x1000, v17
	v_add_nc_u32_e32 v18, 4, v12
	v_add_nc_u32_e32 v21, 0x1008, v17
	v_sub_nc_u32_e32 v31, v31, v32
	v_cmp_le_u32_e64 s3, v33, v26
	v_add_nc_u32_e32 v22, 8, v12
	v_add_nc_u32_e32 v24, 0x1010, v17
	;; [unrolled: 1-line block ×3, first 2 shown]
	v_cmp_le_u32_e64 s4, v31, v27
	v_add_nc_u32_e32 v17, 0x1018, v17
	s_or_b32 s3, s3, s4
	s_wait_alu 0xfffe
	s_and_saveexec_b32 s9, s3
	s_cbranch_execz .LBB522_75
; %bb.70:
	v_cmp_lt_u32_e64 s3, v33, v26
                                        ; implicit-def: $vgpr23
	s_and_saveexec_b32 s4, s3
; %bb.71:
	v_lshl_add_u32 v4, v33, 2, v11
	ds_load_b32 v23, v4
; %bb.72:
	s_wait_alu 0xfffe
	s_or_b32 exec_lo, exec_lo, s4
	v_cmp_ge_u32_e64 s4, v31, v27
	s_mov_b32 s6, exec_lo
                                        ; implicit-def: $vgpr28
	v_cmpx_lt_u32_e64 v31, v27
; %bb.73:
	v_lshl_add_u32 v4, v31, 2, v11
	ds_load_b32 v28, v4
; %bb.74:
	s_wait_alu 0xfffe
	s_or_b32 exec_lo, exec_lo, s6
	s_wait_dscnt 0x0
	v_cmp_le_i32_e64 s5, v28, v23
	s_and_b32 s3, s3, s5
	s_wait_alu 0xfffe
	s_or_b32 s3, s4, s3
	s_wait_alu 0xfffe
	v_cndmask_b32_e64 v4, v31, v33, s3
	v_cndmask_b32_e64 v5, v27, v26, s3
	;; [unrolled: 1-line block ×3, first 2 shown]
	s_delay_alu instid0(VALU_DEP_3) | instskip(NEXT) | instid1(VALU_DEP_3)
	v_add_nc_u32_e32 v8, 1, v4
	v_add_nc_u32_e32 v5, -1, v5
	v_lshl_add_u32 v4, v4, 3, v10
	s_delay_alu instid0(VALU_DEP_3) | instskip(NEXT) | instid1(VALU_DEP_3)
	v_cndmask_b32_e64 v9, v33, v8, s3
	v_min_u32_e32 v5, v8, v5
	s_delay_alu instid0(VALU_DEP_2) | instskip(NEXT) | instid1(VALU_DEP_2)
	v_cmp_lt_u32_e64 s4, v9, v26
	v_lshl_add_u32 v5, v5, 2, v11
	ds_load_b32 v5, v5
	s_wait_dscnt 0x0
	v_cndmask_b32_e64 v32, v5, v28, s3
	v_cndmask_b32_e64 v33, v23, v5, s3
	;; [unrolled: 1-line block ×3, first 2 shown]
	s_delay_alu instid0(VALU_DEP_2) | instskip(NEXT) | instid1(VALU_DEP_2)
	v_cmp_le_i32_e64 s5, v32, v33
	v_cmp_ge_u32_e64 s6, v5, v27
	s_and_b32 s4, s4, s5
	s_wait_alu 0xfffe
	s_or_b32 s4, s6, s4
	s_wait_alu 0xfffe
	v_cndmask_b32_e64 v8, v5, v9, s4
	v_cndmask_b32_e64 v13, v27, v26, s4
	;; [unrolled: 1-line block ×3, first 2 shown]
	s_delay_alu instid0(VALU_DEP_3) | instskip(NEXT) | instid1(VALU_DEP_3)
	v_add_nc_u32_e32 v14, 1, v8
	v_add_nc_u32_e32 v13, -1, v13
	v_lshl_add_u32 v8, v8, 3, v10
	s_delay_alu instid0(VALU_DEP_3) | instskip(NEXT) | instid1(VALU_DEP_3)
	v_cndmask_b32_e64 v9, v9, v14, s4
	v_min_u32_e32 v13, v14, v13
	v_cndmask_b32_e64 v5, v14, v5, s4
	s_delay_alu instid0(VALU_DEP_3) | instskip(NEXT) | instid1(VALU_DEP_3)
	v_cmp_lt_u32_e64 s5, v9, v26
	v_lshl_add_u32 v13, v13, 2, v11
	s_delay_alu instid0(VALU_DEP_3) | instskip(SKIP_4) | instid1(VALU_DEP_1)
	v_cmp_ge_u32_e64 s7, v5, v27
	ds_load_b32 v13, v13
	s_wait_dscnt 0x0
	v_cndmask_b32_e64 v31, v13, v32, s4
	v_cndmask_b32_e64 v39, v33, v13, s4
	v_cmp_le_i32_e64 s6, v31, v39
	s_and_b32 s5, s5, s6
	s_wait_alu 0xfffe
	s_or_b32 s5, s7, s5
	s_wait_alu 0xfffe
	v_cndmask_b32_e64 v13, v5, v9, s5
	v_cndmask_b32_e64 v14, v27, v26, s5
	;; [unrolled: 1-line block ×3, first 2 shown]
	s_delay_alu instid0(VALU_DEP_3) | instskip(NEXT) | instid1(VALU_DEP_3)
	v_add_nc_u32_e32 v19, 1, v13
	v_add_nc_u32_e32 v14, -1, v14
	v_lshl_add_u32 v13, v13, 3, v10
	s_delay_alu instid0(VALU_DEP_3) | instskip(NEXT) | instid1(VALU_DEP_3)
	v_cndmask_b32_e64 v9, v9, v19, s5
	v_min_u32_e32 v14, v19, v14
	v_cndmask_b32_e64 v5, v19, v5, s5
	s_delay_alu instid0(VALU_DEP_3) | instskip(NEXT) | instid1(VALU_DEP_3)
	v_cmp_lt_u32_e64 s6, v9, v26
	v_lshl_add_u32 v14, v14, 2, v11
	s_delay_alu instid0(VALU_DEP_3) | instskip(SKIP_4) | instid1(VALU_DEP_1)
	v_cmp_ge_u32_e64 s8, v5, v27
	ds_load_b32 v14, v14
	s_wait_dscnt 0x0
	v_cndmask_b32_e64 v49, v14, v31, s5
	v_cndmask_b32_e64 v50, v39, v14, s5
	v_cmp_le_i32_e64 s7, v49, v50
	s_and_b32 s6, s6, s7
	s_wait_alu 0xfffe
	s_or_b32 s6, s8, s6
	s_wait_alu 0xfffe
	v_cndmask_b32_e64 v5, v5, v9, s6
	v_cndmask_b32_e64 v39, v49, v50, s6
	s_delay_alu instid0(VALU_DEP_2)
	v_lshl_add_u32 v19, v5, 3, v10
	ds_load_b64 v[4:5], v4 offset:4096
	ds_load_b64 v[8:9], v8 offset:4096
	;; [unrolled: 1-line block ×4, first 2 shown]
.LBB522_75:
	s_wait_alu 0xfffe
	s_or_b32 exec_lo, exec_lo, s9
	v_and_b32_e32 v28, 0x70, v37
	v_and_b32_e32 v31, 12, v37
	s_mov_b32 s4, exec_lo
	; wave barrier
	s_delay_alu instid0(VALU_DEP_2) | instskip(NEXT) | instid1(VALU_DEP_2)
	v_or_b32_e32 v26, 8, v28
	v_min_u32_e32 v31, v15, v31
	ds_store_b32 v12, v48
	s_wait_dscnt 0x4
	ds_store_b64 v25, v[4:5]
	ds_store_b32 v18, v38
	s_wait_dscnt 0x5
	ds_store_b64 v21, v[8:9]
	;; [unrolled: 3-line block ×4, first 2 shown]
	v_min_u32_e32 v26, v15, v26
	; wave barrier
	s_delay_alu instid0(VALU_DEP_1) | instskip(SKIP_1) | instid1(VALU_DEP_2)
	v_add_nc_u32_e32 v27, 8, v26
	v_sub_nc_u32_e32 v33, v26, v28
	v_min_u32_e32 v27, v15, v27
	s_delay_alu instid0(VALU_DEP_2) | instskip(NEXT) | instid1(VALU_DEP_2)
	v_min_u32_e32 v33, v31, v33
	v_sub_nc_u32_e32 v32, v27, v26
	s_delay_alu instid0(VALU_DEP_1) | instskip(NEXT) | instid1(VALU_DEP_1)
	v_sub_nc_u32_e64 v32, v31, v32 clamp
	v_cmpx_lt_u32_e64 v32, v33
	s_cbranch_execz .LBB522_79
; %bb.76:
	v_lshlrev_b32_e32 v49, 2, v28
	v_lshlrev_b32_e32 v50, 2, v26
	s_mov_b32 s5, 0
	s_delay_alu instid0(VALU_DEP_2) | instskip(NEXT) | instid1(VALU_DEP_2)
	v_add_co_u32 v49, null, v11, v49
	v_add_co_u32 v50, null, v11, v50
.LBB522_77:                             ; =>This Inner Loop Header: Depth=1
	v_add_nc_u32_e32 v51, v33, v32
	s_delay_alu instid0(VALU_DEP_1) | instskip(NEXT) | instid1(VALU_DEP_1)
	v_lshrrev_b32_e32 v51, 1, v51
	v_xad_u32 v52, v51, -1, v31
	v_lshl_add_u32 v53, v51, 2, v49
	v_add_nc_u32_e32 v54, 1, v51
	s_delay_alu instid0(VALU_DEP_3)
	v_lshl_add_u32 v52, v52, 2, v50
	ds_load_b32 v53, v53
	ds_load_b32 v52, v52
	s_wait_dscnt 0x0
	v_cmp_gt_i32_e64 s3, v52, v53
	s_wait_alu 0xf1ff
	s_delay_alu instid0(VALU_DEP_1) | instskip(SKIP_1) | instid1(VALU_DEP_1)
	v_cndmask_b32_e64 v33, v33, v51, s3
	v_cndmask_b32_e64 v32, v54, v32, s3
	v_cmp_ge_u32_e64 s3, v32, v33
	s_wait_alu 0xfffe
	s_or_b32 s5, s3, s5
	s_wait_alu 0xfffe
	s_and_not1_b32 exec_lo, exec_lo, s5
	s_cbranch_execnz .LBB522_77
; %bb.78:
	s_or_b32 exec_lo, exec_lo, s5
.LBB522_79:
	s_wait_alu 0xfffe
	s_or_b32 exec_lo, exec_lo, s4
	v_add_nc_u32_e32 v31, v26, v31
	v_add_nc_u32_e32 v33, v32, v28
	s_delay_alu instid0(VALU_DEP_2) | instskip(NEXT) | instid1(VALU_DEP_2)
	v_sub_nc_u32_e32 v31, v31, v32
	v_cmp_le_u32_e64 s3, v33, v26
	s_delay_alu instid0(VALU_DEP_2)
	v_cmp_le_u32_e64 s4, v31, v27
	s_or_b32 s3, s3, s4
	s_wait_alu 0xfffe
	s_and_saveexec_b32 s9, s3
	s_cbranch_execz .LBB522_85
; %bb.80:
	v_cmp_lt_u32_e64 s3, v33, v26
                                        ; implicit-def: $vgpr23
	s_and_saveexec_b32 s4, s3
; %bb.81:
	v_lshl_add_u32 v4, v33, 2, v11
	ds_load_b32 v23, v4
; %bb.82:
	s_wait_alu 0xfffe
	s_or_b32 exec_lo, exec_lo, s4
	v_cmp_ge_u32_e64 s4, v31, v27
	s_mov_b32 s6, exec_lo
                                        ; implicit-def: $vgpr28
	v_cmpx_lt_u32_e64 v31, v27
; %bb.83:
	v_lshl_add_u32 v4, v31, 2, v11
	ds_load_b32 v28, v4
; %bb.84:
	s_wait_alu 0xfffe
	s_or_b32 exec_lo, exec_lo, s6
	s_wait_dscnt 0x0
	v_cmp_le_i32_e64 s5, v28, v23
	s_and_b32 s3, s3, s5
	s_wait_alu 0xfffe
	s_or_b32 s3, s4, s3
	s_wait_alu 0xfffe
	v_cndmask_b32_e64 v4, v31, v33, s3
	v_cndmask_b32_e64 v5, v27, v26, s3
	;; [unrolled: 1-line block ×3, first 2 shown]
	s_delay_alu instid0(VALU_DEP_3) | instskip(NEXT) | instid1(VALU_DEP_3)
	v_add_nc_u32_e32 v8, 1, v4
	v_add_nc_u32_e32 v5, -1, v5
	v_lshl_add_u32 v4, v4, 3, v10
	s_delay_alu instid0(VALU_DEP_3) | instskip(NEXT) | instid1(VALU_DEP_3)
	v_cndmask_b32_e64 v9, v33, v8, s3
	v_min_u32_e32 v5, v8, v5
	s_delay_alu instid0(VALU_DEP_2) | instskip(NEXT) | instid1(VALU_DEP_2)
	v_cmp_lt_u32_e64 s4, v9, v26
	v_lshl_add_u32 v5, v5, 2, v11
	ds_load_b32 v5, v5
	s_wait_dscnt 0x0
	v_cndmask_b32_e64 v32, v5, v28, s3
	v_cndmask_b32_e64 v33, v23, v5, s3
	;; [unrolled: 1-line block ×3, first 2 shown]
	s_delay_alu instid0(VALU_DEP_2) | instskip(NEXT) | instid1(VALU_DEP_2)
	v_cmp_le_i32_e64 s5, v32, v33
	v_cmp_ge_u32_e64 s6, v5, v27
	s_and_b32 s4, s4, s5
	s_wait_alu 0xfffe
	s_or_b32 s4, s6, s4
	s_wait_alu 0xfffe
	v_cndmask_b32_e64 v8, v5, v9, s4
	v_cndmask_b32_e64 v13, v27, v26, s4
	;; [unrolled: 1-line block ×3, first 2 shown]
	s_delay_alu instid0(VALU_DEP_3) | instskip(NEXT) | instid1(VALU_DEP_3)
	v_add_nc_u32_e32 v14, 1, v8
	v_add_nc_u32_e32 v13, -1, v13
	v_lshl_add_u32 v8, v8, 3, v10
	s_delay_alu instid0(VALU_DEP_3) | instskip(NEXT) | instid1(VALU_DEP_3)
	v_cndmask_b32_e64 v9, v9, v14, s4
	v_min_u32_e32 v13, v14, v13
	v_cndmask_b32_e64 v5, v14, v5, s4
	s_delay_alu instid0(VALU_DEP_3) | instskip(NEXT) | instid1(VALU_DEP_3)
	v_cmp_lt_u32_e64 s5, v9, v26
	v_lshl_add_u32 v13, v13, 2, v11
	s_delay_alu instid0(VALU_DEP_3) | instskip(SKIP_4) | instid1(VALU_DEP_1)
	v_cmp_ge_u32_e64 s7, v5, v27
	ds_load_b32 v13, v13
	s_wait_dscnt 0x0
	v_cndmask_b32_e64 v31, v13, v32, s4
	v_cndmask_b32_e64 v39, v33, v13, s4
	v_cmp_le_i32_e64 s6, v31, v39
	s_and_b32 s5, s5, s6
	s_wait_alu 0xfffe
	s_or_b32 s5, s7, s5
	s_wait_alu 0xfffe
	v_cndmask_b32_e64 v13, v5, v9, s5
	v_cndmask_b32_e64 v14, v27, v26, s5
	v_cndmask_b32_e64 v23, v31, v39, s5
	s_delay_alu instid0(VALU_DEP_3) | instskip(NEXT) | instid1(VALU_DEP_3)
	v_add_nc_u32_e32 v19, 1, v13
	v_add_nc_u32_e32 v14, -1, v14
	v_lshl_add_u32 v13, v13, 3, v10
	s_delay_alu instid0(VALU_DEP_3) | instskip(NEXT) | instid1(VALU_DEP_3)
	v_cndmask_b32_e64 v9, v9, v19, s5
	v_min_u32_e32 v14, v19, v14
	v_cndmask_b32_e64 v5, v19, v5, s5
	s_delay_alu instid0(VALU_DEP_3) | instskip(NEXT) | instid1(VALU_DEP_3)
	v_cmp_lt_u32_e64 s6, v9, v26
	v_lshl_add_u32 v14, v14, 2, v11
	s_delay_alu instid0(VALU_DEP_3) | instskip(SKIP_4) | instid1(VALU_DEP_1)
	v_cmp_ge_u32_e64 s8, v5, v27
	ds_load_b32 v14, v14
	s_wait_dscnt 0x0
	v_cndmask_b32_e64 v49, v14, v31, s5
	v_cndmask_b32_e64 v50, v39, v14, s5
	v_cmp_le_i32_e64 s7, v49, v50
	s_and_b32 s6, s6, s7
	s_wait_alu 0xfffe
	s_or_b32 s6, s8, s6
	s_wait_alu 0xfffe
	v_cndmask_b32_e64 v5, v5, v9, s6
	v_cndmask_b32_e64 v39, v49, v50, s6
	s_delay_alu instid0(VALU_DEP_2)
	v_lshl_add_u32 v19, v5, 3, v10
	ds_load_b64 v[4:5], v4 offset:4096
	ds_load_b64 v[8:9], v8 offset:4096
	;; [unrolled: 1-line block ×4, first 2 shown]
.LBB522_85:
	s_wait_alu 0xfffe
	s_or_b32 exec_lo, exec_lo, s9
	v_and_b32_e32 v28, 0x60, v37
	; wave barrier
	ds_store_b32 v12, v48
	s_wait_dscnt 0x4
	ds_store_b64 v25, v[4:5]
	s_mov_b32 s4, exec_lo
	v_or_b32_e32 v26, 16, v28
	ds_store_b32 v18, v38
	s_wait_dscnt 0x5
	ds_store_b64 v21, v[8:9]
	ds_store_b32 v22, v23
	s_wait_dscnt 0x6
	ds_store_b64 v24, v[13:14]
	;; [unrolled: 3-line block ×3, first 2 shown]
	; wave barrier
	v_min_u32_e32 v26, v15, v26
	s_delay_alu instid0(VALU_DEP_1) | instskip(SKIP_1) | instid1(VALU_DEP_2)
	v_add_nc_u32_e32 v27, 16, v26
	v_sub_nc_u32_e32 v32, v26, v28
	v_min_u32_e32 v27, v15, v27
	v_min_u32_e32 v15, v15, v36
	s_delay_alu instid0(VALU_DEP_2) | instskip(NEXT) | instid1(VALU_DEP_2)
	v_sub_nc_u32_e32 v31, v27, v26
	v_min_u32_e32 v25, v15, v32
	s_delay_alu instid0(VALU_DEP_2) | instskip(NEXT) | instid1(VALU_DEP_1)
	v_sub_nc_u32_e64 v12, v15, v31 clamp
	v_cmpx_lt_u32_e64 v12, v25
	s_cbranch_execz .LBB522_89
; %bb.86:
	v_lshlrev_b32_e32 v16, 2, v28
	v_lshlrev_b32_e32 v17, 2, v26
	s_mov_b32 s5, 0
	s_delay_alu instid0(VALU_DEP_2) | instskip(NEXT) | instid1(VALU_DEP_2)
	v_add_co_u32 v16, null, v11, v16
	v_add_co_u32 v17, null, v11, v17
.LBB522_87:                             ; =>This Inner Loop Header: Depth=1
	v_add_nc_u32_e32 v18, v25, v12
	s_delay_alu instid0(VALU_DEP_1) | instskip(NEXT) | instid1(VALU_DEP_1)
	v_lshrrev_b32_e32 v18, 1, v18
	v_xad_u32 v21, v18, -1, v15
	v_lshl_add_u32 v22, v18, 2, v16
	v_add_nc_u32_e32 v24, 1, v18
	s_delay_alu instid0(VALU_DEP_3)
	v_lshl_add_u32 v21, v21, 2, v17
	ds_load_b32 v22, v22
	ds_load_b32 v21, v21
	s_wait_dscnt 0x0
	v_cmp_gt_i32_e64 s3, v21, v22
	s_wait_alu 0xf1ff
	s_delay_alu instid0(VALU_DEP_1) | instskip(SKIP_1) | instid1(VALU_DEP_1)
	v_cndmask_b32_e64 v25, v25, v18, s3
	v_cndmask_b32_e64 v12, v24, v12, s3
	v_cmp_ge_u32_e64 s3, v12, v25
	s_wait_alu 0xfffe
	s_or_b32 s5, s3, s5
	s_wait_alu 0xfffe
	s_and_not1_b32 exec_lo, exec_lo, s5
	s_cbranch_execnz .LBB522_87
; %bb.88:
	s_or_b32 exec_lo, exec_lo, s5
.LBB522_89:
	s_wait_alu 0xfffe
	s_or_b32 exec_lo, exec_lo, s4
	v_add_nc_u32_e32 v15, v26, v15
	v_add_nc_u32_e32 v17, v12, v28
	s_delay_alu instid0(VALU_DEP_2) | instskip(NEXT) | instid1(VALU_DEP_2)
	v_sub_nc_u32_e32 v16, v15, v12
	v_cmp_le_u32_e64 s3, v17, v26
	s_delay_alu instid0(VALU_DEP_2)
	v_cmp_le_u32_e64 s4, v16, v27
	s_or_b32 s3, s3, s4
	s_wait_alu 0xfffe
	s_and_saveexec_b32 s9, s3
	s_cbranch_execz .LBB522_95
; %bb.90:
	v_cmp_lt_u32_e64 s3, v17, v26
                                        ; implicit-def: $vgpr12
	s_and_saveexec_b32 s4, s3
; %bb.91:
	v_lshl_add_u32 v4, v17, 2, v11
	ds_load_b32 v12, v4
; %bb.92:
	s_wait_alu 0xfffe
	s_or_b32 exec_lo, exec_lo, s4
	v_cmp_ge_u32_e64 s4, v16, v27
	s_mov_b32 s6, exec_lo
                                        ; implicit-def: $vgpr15
	v_cmpx_lt_u32_e64 v16, v27
; %bb.93:
	v_lshl_add_u32 v4, v16, 2, v11
	ds_load_b32 v15, v4
; %bb.94:
	s_wait_alu 0xfffe
	s_or_b32 exec_lo, exec_lo, s6
	s_wait_dscnt 0x0
	v_cmp_le_i32_e64 s5, v15, v12
	s_and_b32 s3, s3, s5
	s_wait_alu 0xfffe
	s_or_b32 s3, s4, s3
	s_wait_alu 0xfffe
	v_cndmask_b32_e64 v4, v16, v17, s3
	v_cndmask_b32_e64 v5, v27, v26, s3
	;; [unrolled: 1-line block ×3, first 2 shown]
	s_delay_alu instid0(VALU_DEP_3) | instskip(NEXT) | instid1(VALU_DEP_3)
	v_add_nc_u32_e32 v8, 1, v4
	v_add_nc_u32_e32 v5, -1, v5
	v_lshl_add_u32 v4, v4, 3, v10
	s_delay_alu instid0(VALU_DEP_3) | instskip(NEXT) | instid1(VALU_DEP_3)
	v_cndmask_b32_e64 v9, v17, v8, s3
	v_min_u32_e32 v5, v8, v5
	s_delay_alu instid0(VALU_DEP_2) | instskip(NEXT) | instid1(VALU_DEP_2)
	v_cmp_lt_u32_e64 s4, v9, v26
	v_lshl_add_u32 v5, v5, 2, v11
	ds_load_b32 v5, v5
	s_wait_dscnt 0x0
	v_cndmask_b32_e64 v17, v5, v15, s3
	v_cndmask_b32_e64 v18, v12, v5, s3
	;; [unrolled: 1-line block ×3, first 2 shown]
	s_delay_alu instid0(VALU_DEP_2) | instskip(NEXT) | instid1(VALU_DEP_2)
	v_cmp_le_i32_e64 s5, v17, v18
	v_cmp_ge_u32_e64 s6, v5, v27
	s_and_b32 s4, s4, s5
	s_wait_alu 0xfffe
	s_or_b32 s4, s6, s4
	s_wait_alu 0xfffe
	v_cndmask_b32_e64 v8, v5, v9, s4
	v_cndmask_b32_e64 v13, v27, v26, s4
	;; [unrolled: 1-line block ×3, first 2 shown]
	s_delay_alu instid0(VALU_DEP_3) | instskip(NEXT) | instid1(VALU_DEP_3)
	v_add_nc_u32_e32 v14, 1, v8
	v_add_nc_u32_e32 v13, -1, v13
	v_lshl_add_u32 v8, v8, 3, v10
	s_delay_alu instid0(VALU_DEP_3) | instskip(NEXT) | instid1(VALU_DEP_3)
	v_cndmask_b32_e64 v9, v9, v14, s4
	v_min_u32_e32 v13, v14, v13
	v_cndmask_b32_e64 v5, v14, v5, s4
	s_delay_alu instid0(VALU_DEP_3) | instskip(NEXT) | instid1(VALU_DEP_3)
	v_cmp_lt_u32_e64 s5, v9, v26
	v_lshl_add_u32 v13, v13, 2, v11
	s_delay_alu instid0(VALU_DEP_3) | instskip(SKIP_4) | instid1(VALU_DEP_1)
	v_cmp_ge_u32_e64 s7, v5, v27
	ds_load_b32 v13, v13
	s_wait_dscnt 0x0
	v_cndmask_b32_e64 v16, v13, v17, s4
	v_cndmask_b32_e64 v21, v18, v13, s4
	v_cmp_le_i32_e64 s6, v16, v21
	s_and_b32 s5, s5, s6
	s_wait_alu 0xfffe
	s_or_b32 s5, s7, s5
	s_wait_alu 0xfffe
	v_cndmask_b32_e64 v13, v5, v9, s5
	v_cndmask_b32_e64 v14, v27, v26, s5
	;; [unrolled: 1-line block ×3, first 2 shown]
	s_delay_alu instid0(VALU_DEP_3) | instskip(NEXT) | instid1(VALU_DEP_3)
	v_add_nc_u32_e32 v19, 1, v13
	v_add_nc_u32_e32 v14, -1, v14
	v_lshl_add_u32 v13, v13, 3, v10
	s_delay_alu instid0(VALU_DEP_3) | instskip(NEXT) | instid1(VALU_DEP_3)
	v_cndmask_b32_e64 v9, v9, v19, s5
	v_min_u32_e32 v14, v19, v14
	v_cndmask_b32_e64 v5, v19, v5, s5
	s_delay_alu instid0(VALU_DEP_3) | instskip(NEXT) | instid1(VALU_DEP_3)
	v_cmp_lt_u32_e64 s6, v9, v26
	v_lshl_add_u32 v11, v14, 2, v11
	s_delay_alu instid0(VALU_DEP_3) | instskip(SKIP_4) | instid1(VALU_DEP_1)
	v_cmp_ge_u32_e64 s8, v5, v27
	ds_load_b32 v11, v11
	s_wait_dscnt 0x0
	v_cndmask_b32_e64 v22, v11, v16, s5
	v_cndmask_b32_e64 v11, v21, v11, s5
	v_cmp_le_i32_e64 s7, v22, v11
	s_and_b32 s6, s6, s7
	s_wait_alu 0xfffe
	s_or_b32 s6, s8, s6
	s_wait_alu 0xfffe
	v_cndmask_b32_e64 v5, v5, v9, s6
	v_cndmask_b32_e64 v39, v22, v11, s6
	s_delay_alu instid0(VALU_DEP_2)
	v_lshl_add_u32 v10, v5, 3, v10
	ds_load_b64 v[4:5], v4 offset:4096
	ds_load_b64 v[8:9], v8 offset:4096
	;; [unrolled: 1-line block ×4, first 2 shown]
.LBB522_95:
	s_wait_alu 0xfffe
	s_or_b32 exec_lo, exec_lo, s9
	; wave barrier
	s_wait_storecnt_dscnt 0x0
	s_barrier_signal -1
	s_barrier_wait -1
.LBB522_96:
	s_wait_alu 0xfffe
	s_or_b32 exec_lo, exec_lo, s10
	v_add_co_u32 v2, s3, v2, v29
	s_wait_alu 0xf1ff
	v_add_co_ci_u32_e64 v3, null, v3, v30, s3
	s_wait_storecnt 0x0
	s_wait_loadcnt_dscnt 0x0
	global_inv scope:SCOPE_SE
	v_add_co_u32 v2, s3, v2, v34
	s_wait_alu 0xf1ff
	v_add_co_ci_u32_e64 v3, null, 0, v3, s3
	; wave barrier
	s_and_saveexec_b32 s3, vcc_lo
	s_cbranch_execnz .LBB522_106
; %bb.97:
	s_wait_alu 0xfffe
	s_or_b32 exec_lo, exec_lo, s3
	s_and_saveexec_b32 s3, s0
	s_cbranch_execnz .LBB522_107
.LBB522_98:
	s_wait_alu 0xfffe
	s_or_b32 exec_lo, exec_lo, s3
	s_and_saveexec_b32 s3, s1
	s_cbranch_execnz .LBB522_108
.LBB522_99:
	s_wait_alu 0xfffe
	s_or_b32 exec_lo, exec_lo, s3
	s_and_saveexec_b32 s3, s2
	s_cbranch_execz .LBB522_101
.LBB522_100:
	flat_store_b32 v[2:3], v39 offset:12
.LBB522_101:
	s_wait_alu 0xfffe
	s_or_b32 exec_lo, exec_lo, s3
	v_add_co_u32 v0, s3, v6, v0
	s_wait_alu 0xf1ff
	v_add_co_ci_u32_e64 v1, null, v7, v1, s3
	s_delay_alu instid0(VALU_DEP_2) | instskip(SKIP_1) | instid1(VALU_DEP_2)
	v_add_co_u32 v0, s3, v0, v35
	s_wait_alu 0xf1ff
	v_add_co_ci_u32_e64 v1, null, 0, v1, s3
	; wave barrier
	s_and_saveexec_b32 s3, vcc_lo
	s_cbranch_execnz .LBB522_109
; %bb.102:
	s_wait_alu 0xfffe
	s_or_b32 exec_lo, exec_lo, s3
	s_and_saveexec_b32 s3, s0
	s_cbranch_execnz .LBB522_110
.LBB522_103:
	s_wait_alu 0xfffe
	s_or_b32 exec_lo, exec_lo, s3
	s_and_saveexec_b32 s0, s1
	s_cbranch_execnz .LBB522_111
.LBB522_104:
	s_wait_alu 0xfffe
	s_or_b32 exec_lo, exec_lo, s0
	s_and_saveexec_b32 s0, s2
	s_cbranch_execnz .LBB522_112
.LBB522_105:
	s_wait_alu 0xfffe
	s_or_b32 exec_lo, exec_lo, s0
	s_wait_loadcnt_dscnt 0x0
	s_setpc_b64 s[30:31]
.LBB522_106:
	flat_store_b32 v[2:3], v48
	s_wait_alu 0xfffe
	s_or_b32 exec_lo, exec_lo, s3
	s_and_saveexec_b32 s3, s0
	s_cbranch_execz .LBB522_98
.LBB522_107:
	flat_store_b32 v[2:3], v38 offset:4
	s_wait_alu 0xfffe
	s_or_b32 exec_lo, exec_lo, s3
	s_and_saveexec_b32 s3, s1
	s_cbranch_execz .LBB522_99
.LBB522_108:
	flat_store_b32 v[2:3], v23 offset:8
	s_wait_alu 0xfffe
	s_or_b32 exec_lo, exec_lo, s3
	s_and_saveexec_b32 s3, s2
	s_cbranch_execnz .LBB522_100
	s_branch .LBB522_101
.LBB522_109:
	flat_store_b64 v[0:1], v[4:5]
	s_wait_alu 0xfffe
	s_or_b32 exec_lo, exec_lo, s3
	s_and_saveexec_b32 s3, s0
	s_cbranch_execz .LBB522_103
.LBB522_110:
	flat_store_b64 v[0:1], v[8:9] offset:8
	s_wait_alu 0xfffe
	s_or_b32 exec_lo, exec_lo, s3
	s_and_saveexec_b32 s0, s1
	s_cbranch_execz .LBB522_104
.LBB522_111:
	flat_store_b64 v[0:1], v[13:14] offset:16
	s_wait_alu 0xfffe
	s_or_b32 exec_lo, exec_lo, s0
	s_and_saveexec_b32 s0, s2
	s_cbranch_execz .LBB522_105
.LBB522_112:
	flat_store_b64 v[0:1], v[19:20] offset:24
	s_wait_alu 0xfffe
	s_or_b32 exec_lo, exec_lo, s0
	s_wait_loadcnt_dscnt 0x0
	s_setpc_b64 s[30:31]
.Lfunc_end522:
	.size	_ZN7rocprim17ROCPRIM_400000_NS6detail26segmented_warp_sort_helperINS1_20WarpSortHelperConfigILj8ELj4ELj256EEEilLi256ELb1EvE4sortIPKiPiPKlPlEEvT_T0_T1_T2_jjjjRNS5_12storage_typeE, .Lfunc_end522-_ZN7rocprim17ROCPRIM_400000_NS6detail26segmented_warp_sort_helperINS1_20WarpSortHelperConfigILj8ELj4ELj256EEEilLi256ELb1EvE4sortIPKiPiPKlPlEEvT_T0_T1_T2_jjjjRNS5_12storage_typeE
                                        ; -- End function
	.set .L_ZN7rocprim17ROCPRIM_400000_NS6detail26segmented_warp_sort_helperINS1_20WarpSortHelperConfigILj8ELj4ELj256EEEilLi256ELb1EvE4sortIPKiPiPKlPlEEvT_T0_T1_T2_jjjjRNS5_12storage_typeE.num_vgpr, 56
	.set .L_ZN7rocprim17ROCPRIM_400000_NS6detail26segmented_warp_sort_helperINS1_20WarpSortHelperConfigILj8ELj4ELj256EEEilLi256ELb1EvE4sortIPKiPiPKlPlEEvT_T0_T1_T2_jjjjRNS5_12storage_typeE.num_agpr, 0
	.set .L_ZN7rocprim17ROCPRIM_400000_NS6detail26segmented_warp_sort_helperINS1_20WarpSortHelperConfigILj8ELj4ELj256EEEilLi256ELb1EvE4sortIPKiPiPKlPlEEvT_T0_T1_T2_jjjjRNS5_12storage_typeE.numbered_sgpr, 32
	.set .L_ZN7rocprim17ROCPRIM_400000_NS6detail26segmented_warp_sort_helperINS1_20WarpSortHelperConfigILj8ELj4ELj256EEEilLi256ELb1EvE4sortIPKiPiPKlPlEEvT_T0_T1_T2_jjjjRNS5_12storage_typeE.num_named_barrier, 0
	.set .L_ZN7rocprim17ROCPRIM_400000_NS6detail26segmented_warp_sort_helperINS1_20WarpSortHelperConfigILj8ELj4ELj256EEEilLi256ELb1EvE4sortIPKiPiPKlPlEEvT_T0_T1_T2_jjjjRNS5_12storage_typeE.private_seg_size, 0
	.set .L_ZN7rocprim17ROCPRIM_400000_NS6detail26segmented_warp_sort_helperINS1_20WarpSortHelperConfigILj8ELj4ELj256EEEilLi256ELb1EvE4sortIPKiPiPKlPlEEvT_T0_T1_T2_jjjjRNS5_12storage_typeE.uses_vcc, 1
	.set .L_ZN7rocprim17ROCPRIM_400000_NS6detail26segmented_warp_sort_helperINS1_20WarpSortHelperConfigILj8ELj4ELj256EEEilLi256ELb1EvE4sortIPKiPiPKlPlEEvT_T0_T1_T2_jjjjRNS5_12storage_typeE.uses_flat_scratch, 0
	.set .L_ZN7rocprim17ROCPRIM_400000_NS6detail26segmented_warp_sort_helperINS1_20WarpSortHelperConfigILj8ELj4ELj256EEEilLi256ELb1EvE4sortIPKiPiPKlPlEEvT_T0_T1_T2_jjjjRNS5_12storage_typeE.has_dyn_sized_stack, 0
	.set .L_ZN7rocprim17ROCPRIM_400000_NS6detail26segmented_warp_sort_helperINS1_20WarpSortHelperConfigILj8ELj4ELj256EEEilLi256ELb1EvE4sortIPKiPiPKlPlEEvT_T0_T1_T2_jjjjRNS5_12storage_typeE.has_recursion, 0
	.set .L_ZN7rocprim17ROCPRIM_400000_NS6detail26segmented_warp_sort_helperINS1_20WarpSortHelperConfigILj8ELj4ELj256EEEilLi256ELb1EvE4sortIPKiPiPKlPlEEvT_T0_T1_T2_jjjjRNS5_12storage_typeE.has_indirect_call, 0
	.section	.AMDGPU.csdata,"",@progbits
; Function info:
; codeLenInByte = 8712
; TotalNumSgprs: 34
; NumVgprs: 56
; ScratchSize: 0
; MemoryBound: 1
	.section	.text._ZN7rocprim17ROCPRIM_400000_NS6detail17trampoline_kernelINS0_14default_configENS1_36segmented_radix_sort_config_selectorIilEEZNS1_25segmented_radix_sort_implIS3_Lb1EPKiPiPKlPlN2at6native12_GLOBAL__N_18offset_tEEE10hipError_tPvRmT1_PNSt15iterator_traitsISK_E10value_typeET2_T3_PNSL_ISQ_E10value_typeET4_jRbjT5_SW_jjP12ihipStream_tbEUlT_E1_NS1_11comp_targetILNS1_3genE10ELNS1_11target_archE1201ELNS1_3gpuE5ELNS1_3repE0EEENS1_59segmented_radix_sort_warp_sort_small_config_static_selectorELNS0_4arch9wavefront6targetE0EEEvSK_,"axG",@progbits,_ZN7rocprim17ROCPRIM_400000_NS6detail17trampoline_kernelINS0_14default_configENS1_36segmented_radix_sort_config_selectorIilEEZNS1_25segmented_radix_sort_implIS3_Lb1EPKiPiPKlPlN2at6native12_GLOBAL__N_18offset_tEEE10hipError_tPvRmT1_PNSt15iterator_traitsISK_E10value_typeET2_T3_PNSL_ISQ_E10value_typeET4_jRbjT5_SW_jjP12ihipStream_tbEUlT_E1_NS1_11comp_targetILNS1_3genE10ELNS1_11target_archE1201ELNS1_3gpuE5ELNS1_3repE0EEENS1_59segmented_radix_sort_warp_sort_small_config_static_selectorELNS0_4arch9wavefront6targetE0EEEvSK_,comdat
	.globl	_ZN7rocprim17ROCPRIM_400000_NS6detail17trampoline_kernelINS0_14default_configENS1_36segmented_radix_sort_config_selectorIilEEZNS1_25segmented_radix_sort_implIS3_Lb1EPKiPiPKlPlN2at6native12_GLOBAL__N_18offset_tEEE10hipError_tPvRmT1_PNSt15iterator_traitsISK_E10value_typeET2_T3_PNSL_ISQ_E10value_typeET4_jRbjT5_SW_jjP12ihipStream_tbEUlT_E1_NS1_11comp_targetILNS1_3genE10ELNS1_11target_archE1201ELNS1_3gpuE5ELNS1_3repE0EEENS1_59segmented_radix_sort_warp_sort_small_config_static_selectorELNS0_4arch9wavefront6targetE0EEEvSK_ ; -- Begin function _ZN7rocprim17ROCPRIM_400000_NS6detail17trampoline_kernelINS0_14default_configENS1_36segmented_radix_sort_config_selectorIilEEZNS1_25segmented_radix_sort_implIS3_Lb1EPKiPiPKlPlN2at6native12_GLOBAL__N_18offset_tEEE10hipError_tPvRmT1_PNSt15iterator_traitsISK_E10value_typeET2_T3_PNSL_ISQ_E10value_typeET4_jRbjT5_SW_jjP12ihipStream_tbEUlT_E1_NS1_11comp_targetILNS1_3genE10ELNS1_11target_archE1201ELNS1_3gpuE5ELNS1_3repE0EEENS1_59segmented_radix_sort_warp_sort_small_config_static_selectorELNS0_4arch9wavefront6targetE0EEEvSK_
	.p2align	8
	.type	_ZN7rocprim17ROCPRIM_400000_NS6detail17trampoline_kernelINS0_14default_configENS1_36segmented_radix_sort_config_selectorIilEEZNS1_25segmented_radix_sort_implIS3_Lb1EPKiPiPKlPlN2at6native12_GLOBAL__N_18offset_tEEE10hipError_tPvRmT1_PNSt15iterator_traitsISK_E10value_typeET2_T3_PNSL_ISQ_E10value_typeET4_jRbjT5_SW_jjP12ihipStream_tbEUlT_E1_NS1_11comp_targetILNS1_3genE10ELNS1_11target_archE1201ELNS1_3gpuE5ELNS1_3repE0EEENS1_59segmented_radix_sort_warp_sort_small_config_static_selectorELNS0_4arch9wavefront6targetE0EEEvSK_,@function
_ZN7rocprim17ROCPRIM_400000_NS6detail17trampoline_kernelINS0_14default_configENS1_36segmented_radix_sort_config_selectorIilEEZNS1_25segmented_radix_sort_implIS3_Lb1EPKiPiPKlPlN2at6native12_GLOBAL__N_18offset_tEEE10hipError_tPvRmT1_PNSt15iterator_traitsISK_E10value_typeET2_T3_PNSL_ISQ_E10value_typeET4_jRbjT5_SW_jjP12ihipStream_tbEUlT_E1_NS1_11comp_targetILNS1_3genE10ELNS1_11target_archE1201ELNS1_3gpuE5ELNS1_3repE0EEENS1_59segmented_radix_sort_warp_sort_small_config_static_selectorELNS0_4arch9wavefront6targetE0EEEvSK_: ; @_ZN7rocprim17ROCPRIM_400000_NS6detail17trampoline_kernelINS0_14default_configENS1_36segmented_radix_sort_config_selectorIilEEZNS1_25segmented_radix_sort_implIS3_Lb1EPKiPiPKlPlN2at6native12_GLOBAL__N_18offset_tEEE10hipError_tPvRmT1_PNSt15iterator_traitsISK_E10value_typeET2_T3_PNSL_ISQ_E10value_typeET4_jRbjT5_SW_jjP12ihipStream_tbEUlT_E1_NS1_11comp_targetILNS1_3genE10ELNS1_11target_archE1201ELNS1_3gpuE5ELNS1_3repE0EEENS1_59segmented_radix_sort_warp_sort_small_config_static_selectorELNS0_4arch9wavefront6targetE0EEEvSK_
; %bb.0:
	s_load_b32 s2, s[0:1], 0x64
	v_bfe_u32 v1, v0, 10, 10
	v_bfe_u32 v2, v0, 20, 10
	s_mov_b32 s32, 0
	s_wait_kmcnt 0x0
	s_lshr_b32 s3, s2, 16
	s_and_b32 s2, s2, 0xffff
	v_mad_u32_u24 v2, v2, s3, v1
	v_and_b32_e32 v1, 0x3ff, v0
	s_load_b32 s3, s[0:1], 0x34
	s_delay_alu instid0(VALU_DEP_1) | instskip(SKIP_2) | instid1(VALU_DEP_1)
	v_mad_co_u64_u32 v[1:2], null, v2, s2, v[1:2]
	s_mov_b32 s2, exec_lo
	v_lshrrev_b32_e32 v1, 3, v1
	v_lshl_add_u32 v1, ttmp9, 5, v1
	s_wait_kmcnt 0x0
	s_delay_alu instid0(VALU_DEP_1)
	v_cmpx_gt_u32_e64 s3, v1
	s_cbranch_execz .LBB523_6
; %bb.1:
	s_clause 0x1
	s_load_b64 s[2:3], s[0:1], 0x38
	s_load_b128 s[4:7], s[0:1], 0x40
	v_mov_b32_e32 v2, 0
	s_delay_alu instid0(VALU_DEP_1) | instskip(SKIP_1) | instid1(VALU_DEP_1)
	v_lshlrev_b64_e32 v[1:2], 2, v[1:2]
	s_wait_kmcnt 0x0
	v_sub_co_u32 v1, vcc_lo, s2, v1
	s_delay_alu instid0(VALU_DEP_1) | instskip(SKIP_4) | instid1(VALU_DEP_2)
	v_sub_co_ci_u32_e64 v2, null, s3, v2, vcc_lo
	global_load_b32 v1, v[1:2], off offset:-4
	s_wait_loadcnt 0x0
	v_add_nc_u32_e32 v2, s5, v1
	v_add_nc_u32_e32 v1, s7, v1
	v_mul_lo_u32 v40, v2, s4
	s_delay_alu instid0(VALU_DEP_2) | instskip(NEXT) | instid1(VALU_DEP_1)
	v_mul_lo_u32 v41, v1, s6
	v_cmp_gt_u32_e32 vcc_lo, v41, v40
	s_and_b32 exec_lo, exec_lo, vcc_lo
	s_cbranch_execz .LBB523_6
; %bb.2:
	s_clause 0x3
	s_load_b32 s2, s[0:1], 0x30
	s_load_b128 s[24:27], s[0:1], 0x20
	s_load_b256 s[16:23], s[0:1], 0x0
	s_load_b64 s[28:29], s[0:1], 0x50
	s_add_nc_u64 s[14:15], s[0:1], 0x58
	s_wait_kmcnt 0x0
	s_bitcmp0_b32 s2, 0
	s_mov_b32 s2, -1
	s_cbranch_scc0 .LBB523_4
; %bb.3:
	s_mov_b64 s[0:1], src_shared_base
	v_dual_mov_b32 v31, v0 :: v_dual_mov_b32 v42, v0
	v_dual_mov_b32 v0, s16 :: v_dual_mov_b32 v1, s17
	;; [unrolled: 1-line block ×7, first 2 shown]
	s_wait_alu 0xfffe
	v_dual_mov_b32 v12, 0 :: v_dual_mov_b32 v13, s1
	s_getpc_b64 s[2:3]
	s_wait_alu 0xfffe
	s_sext_i32_i16 s3, s3
	s_add_co_u32 s2, s2, _ZN7rocprim17ROCPRIM_400000_NS6detail26segmented_warp_sort_helperINS1_20WarpSortHelperConfigILj8ELj4ELj256EEEilLi256ELb1EvE4sortIPKiPiPKlPlEEvT_T0_T1_T2_jjjjRNS5_12storage_typeE@rel32@lo+12
	s_wait_alu 0xfffe
	s_add_co_ci_u32 s3, s3, _ZN7rocprim17ROCPRIM_400000_NS6detail26segmented_warp_sort_helperINS1_20WarpSortHelperConfigILj8ELj4ELj256EEEilLi256ELb1EvE4sortIPKiPiPKlPlEEvT_T0_T1_T2_jjjjRNS5_12storage_typeE@rel32@hi+24
	s_mov_b64 s[8:9], s[14:15]
	s_wait_alu 0xfffe
	s_swappc_b64 s[30:31], s[2:3]
	v_mov_b32_e32 v0, v42
	s_mov_b32 s2, 0
.LBB523_4:
	s_wait_alu 0xfffe
	s_and_not1_b32 vcc_lo, exec_lo, s2
	s_wait_alu 0xfffe
	s_cbranch_vccnz .LBB523_6
; %bb.5:
	s_mov_b64 s[0:1], src_shared_base
	v_dual_mov_b32 v31, v0 :: v_dual_mov_b32 v0, s16
	v_dual_mov_b32 v1, s17 :: v_dual_mov_b32 v2, s20
	;; [unrolled: 1-line block ×7, first 2 shown]
	s_wait_alu 0xfffe
	v_mov_b32_e32 v13, s1
	s_getpc_b64 s[2:3]
	s_wait_alu 0xfffe
	s_sext_i32_i16 s3, s3
	s_add_co_u32 s2, s2, _ZN7rocprim17ROCPRIM_400000_NS6detail26segmented_warp_sort_helperINS1_20WarpSortHelperConfigILj8ELj4ELj256EEEilLi256ELb1EvE4sortIPKiPiPKlPlEEvT_T0_T1_T2_jjjjRNS5_12storage_typeE@rel32@lo+12
	s_wait_alu 0xfffe
	s_add_co_ci_u32 s3, s3, _ZN7rocprim17ROCPRIM_400000_NS6detail26segmented_warp_sort_helperINS1_20WarpSortHelperConfigILj8ELj4ELj256EEEilLi256ELb1EvE4sortIPKiPiPKlPlEEvT_T0_T1_T2_jjjjRNS5_12storage_typeE@rel32@hi+24
	s_mov_b64 s[8:9], s[14:15]
	s_wait_alu 0xfffe
	s_swappc_b64 s[30:31], s[2:3]
.LBB523_6:
	s_endpgm
	.section	.rodata,"a",@progbits
	.p2align	6, 0x0
	.amdhsa_kernel _ZN7rocprim17ROCPRIM_400000_NS6detail17trampoline_kernelINS0_14default_configENS1_36segmented_radix_sort_config_selectorIilEEZNS1_25segmented_radix_sort_implIS3_Lb1EPKiPiPKlPlN2at6native12_GLOBAL__N_18offset_tEEE10hipError_tPvRmT1_PNSt15iterator_traitsISK_E10value_typeET2_T3_PNSL_ISQ_E10value_typeET4_jRbjT5_SW_jjP12ihipStream_tbEUlT_E1_NS1_11comp_targetILNS1_3genE10ELNS1_11target_archE1201ELNS1_3gpuE5ELNS1_3repE0EEENS1_59segmented_radix_sort_warp_sort_small_config_static_selectorELNS0_4arch9wavefront6targetE0EEEvSK_
		.amdhsa_group_segment_fixed_size 12288
		.amdhsa_private_segment_fixed_size 0
		.amdhsa_kernarg_size 344
		.amdhsa_user_sgpr_count 2
		.amdhsa_user_sgpr_dispatch_ptr 0
		.amdhsa_user_sgpr_queue_ptr 0
		.amdhsa_user_sgpr_kernarg_segment_ptr 1
		.amdhsa_user_sgpr_dispatch_id 0
		.amdhsa_user_sgpr_private_segment_size 0
		.amdhsa_wavefront_size32 1
		.amdhsa_uses_dynamic_stack 0
		.amdhsa_enable_private_segment 0
		.amdhsa_system_sgpr_workgroup_id_x 1
		.amdhsa_system_sgpr_workgroup_id_y 1
		.amdhsa_system_sgpr_workgroup_id_z 0
		.amdhsa_system_sgpr_workgroup_info 0
		.amdhsa_system_vgpr_workitem_id 2
		.amdhsa_next_free_vgpr 56
		.amdhsa_next_free_sgpr 33
		.amdhsa_reserve_vcc 1
		.amdhsa_float_round_mode_32 0
		.amdhsa_float_round_mode_16_64 0
		.amdhsa_float_denorm_mode_32 3
		.amdhsa_float_denorm_mode_16_64 3
		.amdhsa_fp16_overflow 0
		.amdhsa_workgroup_processor_mode 1
		.amdhsa_memory_ordered 1
		.amdhsa_forward_progress 1
		.amdhsa_inst_pref_size 5
		.amdhsa_round_robin_scheduling 0
		.amdhsa_exception_fp_ieee_invalid_op 0
		.amdhsa_exception_fp_denorm_src 0
		.amdhsa_exception_fp_ieee_div_zero 0
		.amdhsa_exception_fp_ieee_overflow 0
		.amdhsa_exception_fp_ieee_underflow 0
		.amdhsa_exception_fp_ieee_inexact 0
		.amdhsa_exception_int_div_zero 0
	.end_amdhsa_kernel
	.section	.text._ZN7rocprim17ROCPRIM_400000_NS6detail17trampoline_kernelINS0_14default_configENS1_36segmented_radix_sort_config_selectorIilEEZNS1_25segmented_radix_sort_implIS3_Lb1EPKiPiPKlPlN2at6native12_GLOBAL__N_18offset_tEEE10hipError_tPvRmT1_PNSt15iterator_traitsISK_E10value_typeET2_T3_PNSL_ISQ_E10value_typeET4_jRbjT5_SW_jjP12ihipStream_tbEUlT_E1_NS1_11comp_targetILNS1_3genE10ELNS1_11target_archE1201ELNS1_3gpuE5ELNS1_3repE0EEENS1_59segmented_radix_sort_warp_sort_small_config_static_selectorELNS0_4arch9wavefront6targetE0EEEvSK_,"axG",@progbits,_ZN7rocprim17ROCPRIM_400000_NS6detail17trampoline_kernelINS0_14default_configENS1_36segmented_radix_sort_config_selectorIilEEZNS1_25segmented_radix_sort_implIS3_Lb1EPKiPiPKlPlN2at6native12_GLOBAL__N_18offset_tEEE10hipError_tPvRmT1_PNSt15iterator_traitsISK_E10value_typeET2_T3_PNSL_ISQ_E10value_typeET4_jRbjT5_SW_jjP12ihipStream_tbEUlT_E1_NS1_11comp_targetILNS1_3genE10ELNS1_11target_archE1201ELNS1_3gpuE5ELNS1_3repE0EEENS1_59segmented_radix_sort_warp_sort_small_config_static_selectorELNS0_4arch9wavefront6targetE0EEEvSK_,comdat
.Lfunc_end523:
	.size	_ZN7rocprim17ROCPRIM_400000_NS6detail17trampoline_kernelINS0_14default_configENS1_36segmented_radix_sort_config_selectorIilEEZNS1_25segmented_radix_sort_implIS3_Lb1EPKiPiPKlPlN2at6native12_GLOBAL__N_18offset_tEEE10hipError_tPvRmT1_PNSt15iterator_traitsISK_E10value_typeET2_T3_PNSL_ISQ_E10value_typeET4_jRbjT5_SW_jjP12ihipStream_tbEUlT_E1_NS1_11comp_targetILNS1_3genE10ELNS1_11target_archE1201ELNS1_3gpuE5ELNS1_3repE0EEENS1_59segmented_radix_sort_warp_sort_small_config_static_selectorELNS0_4arch9wavefront6targetE0EEEvSK_, .Lfunc_end523-_ZN7rocprim17ROCPRIM_400000_NS6detail17trampoline_kernelINS0_14default_configENS1_36segmented_radix_sort_config_selectorIilEEZNS1_25segmented_radix_sort_implIS3_Lb1EPKiPiPKlPlN2at6native12_GLOBAL__N_18offset_tEEE10hipError_tPvRmT1_PNSt15iterator_traitsISK_E10value_typeET2_T3_PNSL_ISQ_E10value_typeET4_jRbjT5_SW_jjP12ihipStream_tbEUlT_E1_NS1_11comp_targetILNS1_3genE10ELNS1_11target_archE1201ELNS1_3gpuE5ELNS1_3repE0EEENS1_59segmented_radix_sort_warp_sort_small_config_static_selectorELNS0_4arch9wavefront6targetE0EEEvSK_
                                        ; -- End function
	.set _ZN7rocprim17ROCPRIM_400000_NS6detail17trampoline_kernelINS0_14default_configENS1_36segmented_radix_sort_config_selectorIilEEZNS1_25segmented_radix_sort_implIS3_Lb1EPKiPiPKlPlN2at6native12_GLOBAL__N_18offset_tEEE10hipError_tPvRmT1_PNSt15iterator_traitsISK_E10value_typeET2_T3_PNSL_ISQ_E10value_typeET4_jRbjT5_SW_jjP12ihipStream_tbEUlT_E1_NS1_11comp_targetILNS1_3genE10ELNS1_11target_archE1201ELNS1_3gpuE5ELNS1_3repE0EEENS1_59segmented_radix_sort_warp_sort_small_config_static_selectorELNS0_4arch9wavefront6targetE0EEEvSK_.num_vgpr, max(43, .L_ZN7rocprim17ROCPRIM_400000_NS6detail26segmented_warp_sort_helperINS1_20WarpSortHelperConfigILj8ELj4ELj256EEEilLi256ELb1EvE4sortIPKiPiPKlPlEEvT_T0_T1_T2_jjjjRNS5_12storage_typeE.num_vgpr)
	.set _ZN7rocprim17ROCPRIM_400000_NS6detail17trampoline_kernelINS0_14default_configENS1_36segmented_radix_sort_config_selectorIilEEZNS1_25segmented_radix_sort_implIS3_Lb1EPKiPiPKlPlN2at6native12_GLOBAL__N_18offset_tEEE10hipError_tPvRmT1_PNSt15iterator_traitsISK_E10value_typeET2_T3_PNSL_ISQ_E10value_typeET4_jRbjT5_SW_jjP12ihipStream_tbEUlT_E1_NS1_11comp_targetILNS1_3genE10ELNS1_11target_archE1201ELNS1_3gpuE5ELNS1_3repE0EEENS1_59segmented_radix_sort_warp_sort_small_config_static_selectorELNS0_4arch9wavefront6targetE0EEEvSK_.num_agpr, max(0, .L_ZN7rocprim17ROCPRIM_400000_NS6detail26segmented_warp_sort_helperINS1_20WarpSortHelperConfigILj8ELj4ELj256EEEilLi256ELb1EvE4sortIPKiPiPKlPlEEvT_T0_T1_T2_jjjjRNS5_12storage_typeE.num_agpr)
	.set _ZN7rocprim17ROCPRIM_400000_NS6detail17trampoline_kernelINS0_14default_configENS1_36segmented_radix_sort_config_selectorIilEEZNS1_25segmented_radix_sort_implIS3_Lb1EPKiPiPKlPlN2at6native12_GLOBAL__N_18offset_tEEE10hipError_tPvRmT1_PNSt15iterator_traitsISK_E10value_typeET2_T3_PNSL_ISQ_E10value_typeET4_jRbjT5_SW_jjP12ihipStream_tbEUlT_E1_NS1_11comp_targetILNS1_3genE10ELNS1_11target_archE1201ELNS1_3gpuE5ELNS1_3repE0EEENS1_59segmented_radix_sort_warp_sort_small_config_static_selectorELNS0_4arch9wavefront6targetE0EEEvSK_.numbered_sgpr, max(33, .L_ZN7rocprim17ROCPRIM_400000_NS6detail26segmented_warp_sort_helperINS1_20WarpSortHelperConfigILj8ELj4ELj256EEEilLi256ELb1EvE4sortIPKiPiPKlPlEEvT_T0_T1_T2_jjjjRNS5_12storage_typeE.numbered_sgpr)
	.set _ZN7rocprim17ROCPRIM_400000_NS6detail17trampoline_kernelINS0_14default_configENS1_36segmented_radix_sort_config_selectorIilEEZNS1_25segmented_radix_sort_implIS3_Lb1EPKiPiPKlPlN2at6native12_GLOBAL__N_18offset_tEEE10hipError_tPvRmT1_PNSt15iterator_traitsISK_E10value_typeET2_T3_PNSL_ISQ_E10value_typeET4_jRbjT5_SW_jjP12ihipStream_tbEUlT_E1_NS1_11comp_targetILNS1_3genE10ELNS1_11target_archE1201ELNS1_3gpuE5ELNS1_3repE0EEENS1_59segmented_radix_sort_warp_sort_small_config_static_selectorELNS0_4arch9wavefront6targetE0EEEvSK_.num_named_barrier, max(0, .L_ZN7rocprim17ROCPRIM_400000_NS6detail26segmented_warp_sort_helperINS1_20WarpSortHelperConfigILj8ELj4ELj256EEEilLi256ELb1EvE4sortIPKiPiPKlPlEEvT_T0_T1_T2_jjjjRNS5_12storage_typeE.num_named_barrier)
	.set _ZN7rocprim17ROCPRIM_400000_NS6detail17trampoline_kernelINS0_14default_configENS1_36segmented_radix_sort_config_selectorIilEEZNS1_25segmented_radix_sort_implIS3_Lb1EPKiPiPKlPlN2at6native12_GLOBAL__N_18offset_tEEE10hipError_tPvRmT1_PNSt15iterator_traitsISK_E10value_typeET2_T3_PNSL_ISQ_E10value_typeET4_jRbjT5_SW_jjP12ihipStream_tbEUlT_E1_NS1_11comp_targetILNS1_3genE10ELNS1_11target_archE1201ELNS1_3gpuE5ELNS1_3repE0EEENS1_59segmented_radix_sort_warp_sort_small_config_static_selectorELNS0_4arch9wavefront6targetE0EEEvSK_.private_seg_size, 0+max(.L_ZN7rocprim17ROCPRIM_400000_NS6detail26segmented_warp_sort_helperINS1_20WarpSortHelperConfigILj8ELj4ELj256EEEilLi256ELb1EvE4sortIPKiPiPKlPlEEvT_T0_T1_T2_jjjjRNS5_12storage_typeE.private_seg_size)
	.set _ZN7rocprim17ROCPRIM_400000_NS6detail17trampoline_kernelINS0_14default_configENS1_36segmented_radix_sort_config_selectorIilEEZNS1_25segmented_radix_sort_implIS3_Lb1EPKiPiPKlPlN2at6native12_GLOBAL__N_18offset_tEEE10hipError_tPvRmT1_PNSt15iterator_traitsISK_E10value_typeET2_T3_PNSL_ISQ_E10value_typeET4_jRbjT5_SW_jjP12ihipStream_tbEUlT_E1_NS1_11comp_targetILNS1_3genE10ELNS1_11target_archE1201ELNS1_3gpuE5ELNS1_3repE0EEENS1_59segmented_radix_sort_warp_sort_small_config_static_selectorELNS0_4arch9wavefront6targetE0EEEvSK_.uses_vcc, or(1, .L_ZN7rocprim17ROCPRIM_400000_NS6detail26segmented_warp_sort_helperINS1_20WarpSortHelperConfigILj8ELj4ELj256EEEilLi256ELb1EvE4sortIPKiPiPKlPlEEvT_T0_T1_T2_jjjjRNS5_12storage_typeE.uses_vcc)
	.set _ZN7rocprim17ROCPRIM_400000_NS6detail17trampoline_kernelINS0_14default_configENS1_36segmented_radix_sort_config_selectorIilEEZNS1_25segmented_radix_sort_implIS3_Lb1EPKiPiPKlPlN2at6native12_GLOBAL__N_18offset_tEEE10hipError_tPvRmT1_PNSt15iterator_traitsISK_E10value_typeET2_T3_PNSL_ISQ_E10value_typeET4_jRbjT5_SW_jjP12ihipStream_tbEUlT_E1_NS1_11comp_targetILNS1_3genE10ELNS1_11target_archE1201ELNS1_3gpuE5ELNS1_3repE0EEENS1_59segmented_radix_sort_warp_sort_small_config_static_selectorELNS0_4arch9wavefront6targetE0EEEvSK_.uses_flat_scratch, or(0, .L_ZN7rocprim17ROCPRIM_400000_NS6detail26segmented_warp_sort_helperINS1_20WarpSortHelperConfigILj8ELj4ELj256EEEilLi256ELb1EvE4sortIPKiPiPKlPlEEvT_T0_T1_T2_jjjjRNS5_12storage_typeE.uses_flat_scratch)
	.set _ZN7rocprim17ROCPRIM_400000_NS6detail17trampoline_kernelINS0_14default_configENS1_36segmented_radix_sort_config_selectorIilEEZNS1_25segmented_radix_sort_implIS3_Lb1EPKiPiPKlPlN2at6native12_GLOBAL__N_18offset_tEEE10hipError_tPvRmT1_PNSt15iterator_traitsISK_E10value_typeET2_T3_PNSL_ISQ_E10value_typeET4_jRbjT5_SW_jjP12ihipStream_tbEUlT_E1_NS1_11comp_targetILNS1_3genE10ELNS1_11target_archE1201ELNS1_3gpuE5ELNS1_3repE0EEENS1_59segmented_radix_sort_warp_sort_small_config_static_selectorELNS0_4arch9wavefront6targetE0EEEvSK_.has_dyn_sized_stack, or(0, .L_ZN7rocprim17ROCPRIM_400000_NS6detail26segmented_warp_sort_helperINS1_20WarpSortHelperConfigILj8ELj4ELj256EEEilLi256ELb1EvE4sortIPKiPiPKlPlEEvT_T0_T1_T2_jjjjRNS5_12storage_typeE.has_dyn_sized_stack)
	.set _ZN7rocprim17ROCPRIM_400000_NS6detail17trampoline_kernelINS0_14default_configENS1_36segmented_radix_sort_config_selectorIilEEZNS1_25segmented_radix_sort_implIS3_Lb1EPKiPiPKlPlN2at6native12_GLOBAL__N_18offset_tEEE10hipError_tPvRmT1_PNSt15iterator_traitsISK_E10value_typeET2_T3_PNSL_ISQ_E10value_typeET4_jRbjT5_SW_jjP12ihipStream_tbEUlT_E1_NS1_11comp_targetILNS1_3genE10ELNS1_11target_archE1201ELNS1_3gpuE5ELNS1_3repE0EEENS1_59segmented_radix_sort_warp_sort_small_config_static_selectorELNS0_4arch9wavefront6targetE0EEEvSK_.has_recursion, or(0, .L_ZN7rocprim17ROCPRIM_400000_NS6detail26segmented_warp_sort_helperINS1_20WarpSortHelperConfigILj8ELj4ELj256EEEilLi256ELb1EvE4sortIPKiPiPKlPlEEvT_T0_T1_T2_jjjjRNS5_12storage_typeE.has_recursion)
	.set _ZN7rocprim17ROCPRIM_400000_NS6detail17trampoline_kernelINS0_14default_configENS1_36segmented_radix_sort_config_selectorIilEEZNS1_25segmented_radix_sort_implIS3_Lb1EPKiPiPKlPlN2at6native12_GLOBAL__N_18offset_tEEE10hipError_tPvRmT1_PNSt15iterator_traitsISK_E10value_typeET2_T3_PNSL_ISQ_E10value_typeET4_jRbjT5_SW_jjP12ihipStream_tbEUlT_E1_NS1_11comp_targetILNS1_3genE10ELNS1_11target_archE1201ELNS1_3gpuE5ELNS1_3repE0EEENS1_59segmented_radix_sort_warp_sort_small_config_static_selectorELNS0_4arch9wavefront6targetE0EEEvSK_.has_indirect_call, or(0, .L_ZN7rocprim17ROCPRIM_400000_NS6detail26segmented_warp_sort_helperINS1_20WarpSortHelperConfigILj8ELj4ELj256EEEilLi256ELb1EvE4sortIPKiPiPKlPlEEvT_T0_T1_T2_jjjjRNS5_12storage_typeE.has_indirect_call)
	.section	.AMDGPU.csdata,"",@progbits
; Kernel info:
; codeLenInByte = 544
; TotalNumSgprs: 35
; NumVgprs: 56
; ScratchSize: 0
; MemoryBound: 0
; FloatMode: 240
; IeeeMode: 1
; LDSByteSize: 12288 bytes/workgroup (compile time only)
; SGPRBlocks: 0
; VGPRBlocks: 6
; NumSGPRsForWavesPerEU: 35
; NumVGPRsForWavesPerEU: 56
; Occupancy: 16
; WaveLimiterHint : 0
; COMPUTE_PGM_RSRC2:SCRATCH_EN: 0
; COMPUTE_PGM_RSRC2:USER_SGPR: 2
; COMPUTE_PGM_RSRC2:TRAP_HANDLER: 0
; COMPUTE_PGM_RSRC2:TGID_X_EN: 1
; COMPUTE_PGM_RSRC2:TGID_Y_EN: 1
; COMPUTE_PGM_RSRC2:TGID_Z_EN: 0
; COMPUTE_PGM_RSRC2:TIDIG_COMP_CNT: 2
	.section	.text._ZN7rocprim17ROCPRIM_400000_NS6detail17trampoline_kernelINS0_14default_configENS1_36segmented_radix_sort_config_selectorIilEEZNS1_25segmented_radix_sort_implIS3_Lb1EPKiPiPKlPlN2at6native12_GLOBAL__N_18offset_tEEE10hipError_tPvRmT1_PNSt15iterator_traitsISK_E10value_typeET2_T3_PNSL_ISQ_E10value_typeET4_jRbjT5_SW_jjP12ihipStream_tbEUlT_E1_NS1_11comp_targetILNS1_3genE10ELNS1_11target_archE1200ELNS1_3gpuE4ELNS1_3repE0EEENS1_59segmented_radix_sort_warp_sort_small_config_static_selectorELNS0_4arch9wavefront6targetE0EEEvSK_,"axG",@progbits,_ZN7rocprim17ROCPRIM_400000_NS6detail17trampoline_kernelINS0_14default_configENS1_36segmented_radix_sort_config_selectorIilEEZNS1_25segmented_radix_sort_implIS3_Lb1EPKiPiPKlPlN2at6native12_GLOBAL__N_18offset_tEEE10hipError_tPvRmT1_PNSt15iterator_traitsISK_E10value_typeET2_T3_PNSL_ISQ_E10value_typeET4_jRbjT5_SW_jjP12ihipStream_tbEUlT_E1_NS1_11comp_targetILNS1_3genE10ELNS1_11target_archE1200ELNS1_3gpuE4ELNS1_3repE0EEENS1_59segmented_radix_sort_warp_sort_small_config_static_selectorELNS0_4arch9wavefront6targetE0EEEvSK_,comdat
	.globl	_ZN7rocprim17ROCPRIM_400000_NS6detail17trampoline_kernelINS0_14default_configENS1_36segmented_radix_sort_config_selectorIilEEZNS1_25segmented_radix_sort_implIS3_Lb1EPKiPiPKlPlN2at6native12_GLOBAL__N_18offset_tEEE10hipError_tPvRmT1_PNSt15iterator_traitsISK_E10value_typeET2_T3_PNSL_ISQ_E10value_typeET4_jRbjT5_SW_jjP12ihipStream_tbEUlT_E1_NS1_11comp_targetILNS1_3genE10ELNS1_11target_archE1200ELNS1_3gpuE4ELNS1_3repE0EEENS1_59segmented_radix_sort_warp_sort_small_config_static_selectorELNS0_4arch9wavefront6targetE0EEEvSK_ ; -- Begin function _ZN7rocprim17ROCPRIM_400000_NS6detail17trampoline_kernelINS0_14default_configENS1_36segmented_radix_sort_config_selectorIilEEZNS1_25segmented_radix_sort_implIS3_Lb1EPKiPiPKlPlN2at6native12_GLOBAL__N_18offset_tEEE10hipError_tPvRmT1_PNSt15iterator_traitsISK_E10value_typeET2_T3_PNSL_ISQ_E10value_typeET4_jRbjT5_SW_jjP12ihipStream_tbEUlT_E1_NS1_11comp_targetILNS1_3genE10ELNS1_11target_archE1200ELNS1_3gpuE4ELNS1_3repE0EEENS1_59segmented_radix_sort_warp_sort_small_config_static_selectorELNS0_4arch9wavefront6targetE0EEEvSK_
	.p2align	8
	.type	_ZN7rocprim17ROCPRIM_400000_NS6detail17trampoline_kernelINS0_14default_configENS1_36segmented_radix_sort_config_selectorIilEEZNS1_25segmented_radix_sort_implIS3_Lb1EPKiPiPKlPlN2at6native12_GLOBAL__N_18offset_tEEE10hipError_tPvRmT1_PNSt15iterator_traitsISK_E10value_typeET2_T3_PNSL_ISQ_E10value_typeET4_jRbjT5_SW_jjP12ihipStream_tbEUlT_E1_NS1_11comp_targetILNS1_3genE10ELNS1_11target_archE1200ELNS1_3gpuE4ELNS1_3repE0EEENS1_59segmented_radix_sort_warp_sort_small_config_static_selectorELNS0_4arch9wavefront6targetE0EEEvSK_,@function
_ZN7rocprim17ROCPRIM_400000_NS6detail17trampoline_kernelINS0_14default_configENS1_36segmented_radix_sort_config_selectorIilEEZNS1_25segmented_radix_sort_implIS3_Lb1EPKiPiPKlPlN2at6native12_GLOBAL__N_18offset_tEEE10hipError_tPvRmT1_PNSt15iterator_traitsISK_E10value_typeET2_T3_PNSL_ISQ_E10value_typeET4_jRbjT5_SW_jjP12ihipStream_tbEUlT_E1_NS1_11comp_targetILNS1_3genE10ELNS1_11target_archE1200ELNS1_3gpuE4ELNS1_3repE0EEENS1_59segmented_radix_sort_warp_sort_small_config_static_selectorELNS0_4arch9wavefront6targetE0EEEvSK_: ; @_ZN7rocprim17ROCPRIM_400000_NS6detail17trampoline_kernelINS0_14default_configENS1_36segmented_radix_sort_config_selectorIilEEZNS1_25segmented_radix_sort_implIS3_Lb1EPKiPiPKlPlN2at6native12_GLOBAL__N_18offset_tEEE10hipError_tPvRmT1_PNSt15iterator_traitsISK_E10value_typeET2_T3_PNSL_ISQ_E10value_typeET4_jRbjT5_SW_jjP12ihipStream_tbEUlT_E1_NS1_11comp_targetILNS1_3genE10ELNS1_11target_archE1200ELNS1_3gpuE4ELNS1_3repE0EEENS1_59segmented_radix_sort_warp_sort_small_config_static_selectorELNS0_4arch9wavefront6targetE0EEEvSK_
; %bb.0:
	.section	.rodata,"a",@progbits
	.p2align	6, 0x0
	.amdhsa_kernel _ZN7rocprim17ROCPRIM_400000_NS6detail17trampoline_kernelINS0_14default_configENS1_36segmented_radix_sort_config_selectorIilEEZNS1_25segmented_radix_sort_implIS3_Lb1EPKiPiPKlPlN2at6native12_GLOBAL__N_18offset_tEEE10hipError_tPvRmT1_PNSt15iterator_traitsISK_E10value_typeET2_T3_PNSL_ISQ_E10value_typeET4_jRbjT5_SW_jjP12ihipStream_tbEUlT_E1_NS1_11comp_targetILNS1_3genE10ELNS1_11target_archE1200ELNS1_3gpuE4ELNS1_3repE0EEENS1_59segmented_radix_sort_warp_sort_small_config_static_selectorELNS0_4arch9wavefront6targetE0EEEvSK_
		.amdhsa_group_segment_fixed_size 0
		.amdhsa_private_segment_fixed_size 0
		.amdhsa_kernarg_size 88
		.amdhsa_user_sgpr_count 2
		.amdhsa_user_sgpr_dispatch_ptr 0
		.amdhsa_user_sgpr_queue_ptr 0
		.amdhsa_user_sgpr_kernarg_segment_ptr 1
		.amdhsa_user_sgpr_dispatch_id 0
		.amdhsa_user_sgpr_private_segment_size 0
		.amdhsa_wavefront_size32 1
		.amdhsa_uses_dynamic_stack 0
		.amdhsa_enable_private_segment 0
		.amdhsa_system_sgpr_workgroup_id_x 1
		.amdhsa_system_sgpr_workgroup_id_y 0
		.amdhsa_system_sgpr_workgroup_id_z 0
		.amdhsa_system_sgpr_workgroup_info 0
		.amdhsa_system_vgpr_workitem_id 0
		.amdhsa_next_free_vgpr 1
		.amdhsa_next_free_sgpr 1
		.amdhsa_reserve_vcc 0
		.amdhsa_float_round_mode_32 0
		.amdhsa_float_round_mode_16_64 0
		.amdhsa_float_denorm_mode_32 3
		.amdhsa_float_denorm_mode_16_64 3
		.amdhsa_fp16_overflow 0
		.amdhsa_workgroup_processor_mode 1
		.amdhsa_memory_ordered 1
		.amdhsa_forward_progress 1
		.amdhsa_inst_pref_size 0
		.amdhsa_round_robin_scheduling 0
		.amdhsa_exception_fp_ieee_invalid_op 0
		.amdhsa_exception_fp_denorm_src 0
		.amdhsa_exception_fp_ieee_div_zero 0
		.amdhsa_exception_fp_ieee_overflow 0
		.amdhsa_exception_fp_ieee_underflow 0
		.amdhsa_exception_fp_ieee_inexact 0
		.amdhsa_exception_int_div_zero 0
	.end_amdhsa_kernel
	.section	.text._ZN7rocprim17ROCPRIM_400000_NS6detail17trampoline_kernelINS0_14default_configENS1_36segmented_radix_sort_config_selectorIilEEZNS1_25segmented_radix_sort_implIS3_Lb1EPKiPiPKlPlN2at6native12_GLOBAL__N_18offset_tEEE10hipError_tPvRmT1_PNSt15iterator_traitsISK_E10value_typeET2_T3_PNSL_ISQ_E10value_typeET4_jRbjT5_SW_jjP12ihipStream_tbEUlT_E1_NS1_11comp_targetILNS1_3genE10ELNS1_11target_archE1200ELNS1_3gpuE4ELNS1_3repE0EEENS1_59segmented_radix_sort_warp_sort_small_config_static_selectorELNS0_4arch9wavefront6targetE0EEEvSK_,"axG",@progbits,_ZN7rocprim17ROCPRIM_400000_NS6detail17trampoline_kernelINS0_14default_configENS1_36segmented_radix_sort_config_selectorIilEEZNS1_25segmented_radix_sort_implIS3_Lb1EPKiPiPKlPlN2at6native12_GLOBAL__N_18offset_tEEE10hipError_tPvRmT1_PNSt15iterator_traitsISK_E10value_typeET2_T3_PNSL_ISQ_E10value_typeET4_jRbjT5_SW_jjP12ihipStream_tbEUlT_E1_NS1_11comp_targetILNS1_3genE10ELNS1_11target_archE1200ELNS1_3gpuE4ELNS1_3repE0EEENS1_59segmented_radix_sort_warp_sort_small_config_static_selectorELNS0_4arch9wavefront6targetE0EEEvSK_,comdat
.Lfunc_end524:
	.size	_ZN7rocprim17ROCPRIM_400000_NS6detail17trampoline_kernelINS0_14default_configENS1_36segmented_radix_sort_config_selectorIilEEZNS1_25segmented_radix_sort_implIS3_Lb1EPKiPiPKlPlN2at6native12_GLOBAL__N_18offset_tEEE10hipError_tPvRmT1_PNSt15iterator_traitsISK_E10value_typeET2_T3_PNSL_ISQ_E10value_typeET4_jRbjT5_SW_jjP12ihipStream_tbEUlT_E1_NS1_11comp_targetILNS1_3genE10ELNS1_11target_archE1200ELNS1_3gpuE4ELNS1_3repE0EEENS1_59segmented_radix_sort_warp_sort_small_config_static_selectorELNS0_4arch9wavefront6targetE0EEEvSK_, .Lfunc_end524-_ZN7rocprim17ROCPRIM_400000_NS6detail17trampoline_kernelINS0_14default_configENS1_36segmented_radix_sort_config_selectorIilEEZNS1_25segmented_radix_sort_implIS3_Lb1EPKiPiPKlPlN2at6native12_GLOBAL__N_18offset_tEEE10hipError_tPvRmT1_PNSt15iterator_traitsISK_E10value_typeET2_T3_PNSL_ISQ_E10value_typeET4_jRbjT5_SW_jjP12ihipStream_tbEUlT_E1_NS1_11comp_targetILNS1_3genE10ELNS1_11target_archE1200ELNS1_3gpuE4ELNS1_3repE0EEENS1_59segmented_radix_sort_warp_sort_small_config_static_selectorELNS0_4arch9wavefront6targetE0EEEvSK_
                                        ; -- End function
	.set _ZN7rocprim17ROCPRIM_400000_NS6detail17trampoline_kernelINS0_14default_configENS1_36segmented_radix_sort_config_selectorIilEEZNS1_25segmented_radix_sort_implIS3_Lb1EPKiPiPKlPlN2at6native12_GLOBAL__N_18offset_tEEE10hipError_tPvRmT1_PNSt15iterator_traitsISK_E10value_typeET2_T3_PNSL_ISQ_E10value_typeET4_jRbjT5_SW_jjP12ihipStream_tbEUlT_E1_NS1_11comp_targetILNS1_3genE10ELNS1_11target_archE1200ELNS1_3gpuE4ELNS1_3repE0EEENS1_59segmented_radix_sort_warp_sort_small_config_static_selectorELNS0_4arch9wavefront6targetE0EEEvSK_.num_vgpr, 0
	.set _ZN7rocprim17ROCPRIM_400000_NS6detail17trampoline_kernelINS0_14default_configENS1_36segmented_radix_sort_config_selectorIilEEZNS1_25segmented_radix_sort_implIS3_Lb1EPKiPiPKlPlN2at6native12_GLOBAL__N_18offset_tEEE10hipError_tPvRmT1_PNSt15iterator_traitsISK_E10value_typeET2_T3_PNSL_ISQ_E10value_typeET4_jRbjT5_SW_jjP12ihipStream_tbEUlT_E1_NS1_11comp_targetILNS1_3genE10ELNS1_11target_archE1200ELNS1_3gpuE4ELNS1_3repE0EEENS1_59segmented_radix_sort_warp_sort_small_config_static_selectorELNS0_4arch9wavefront6targetE0EEEvSK_.num_agpr, 0
	.set _ZN7rocprim17ROCPRIM_400000_NS6detail17trampoline_kernelINS0_14default_configENS1_36segmented_radix_sort_config_selectorIilEEZNS1_25segmented_radix_sort_implIS3_Lb1EPKiPiPKlPlN2at6native12_GLOBAL__N_18offset_tEEE10hipError_tPvRmT1_PNSt15iterator_traitsISK_E10value_typeET2_T3_PNSL_ISQ_E10value_typeET4_jRbjT5_SW_jjP12ihipStream_tbEUlT_E1_NS1_11comp_targetILNS1_3genE10ELNS1_11target_archE1200ELNS1_3gpuE4ELNS1_3repE0EEENS1_59segmented_radix_sort_warp_sort_small_config_static_selectorELNS0_4arch9wavefront6targetE0EEEvSK_.numbered_sgpr, 0
	.set _ZN7rocprim17ROCPRIM_400000_NS6detail17trampoline_kernelINS0_14default_configENS1_36segmented_radix_sort_config_selectorIilEEZNS1_25segmented_radix_sort_implIS3_Lb1EPKiPiPKlPlN2at6native12_GLOBAL__N_18offset_tEEE10hipError_tPvRmT1_PNSt15iterator_traitsISK_E10value_typeET2_T3_PNSL_ISQ_E10value_typeET4_jRbjT5_SW_jjP12ihipStream_tbEUlT_E1_NS1_11comp_targetILNS1_3genE10ELNS1_11target_archE1200ELNS1_3gpuE4ELNS1_3repE0EEENS1_59segmented_radix_sort_warp_sort_small_config_static_selectorELNS0_4arch9wavefront6targetE0EEEvSK_.num_named_barrier, 0
	.set _ZN7rocprim17ROCPRIM_400000_NS6detail17trampoline_kernelINS0_14default_configENS1_36segmented_radix_sort_config_selectorIilEEZNS1_25segmented_radix_sort_implIS3_Lb1EPKiPiPKlPlN2at6native12_GLOBAL__N_18offset_tEEE10hipError_tPvRmT1_PNSt15iterator_traitsISK_E10value_typeET2_T3_PNSL_ISQ_E10value_typeET4_jRbjT5_SW_jjP12ihipStream_tbEUlT_E1_NS1_11comp_targetILNS1_3genE10ELNS1_11target_archE1200ELNS1_3gpuE4ELNS1_3repE0EEENS1_59segmented_radix_sort_warp_sort_small_config_static_selectorELNS0_4arch9wavefront6targetE0EEEvSK_.private_seg_size, 0
	.set _ZN7rocprim17ROCPRIM_400000_NS6detail17trampoline_kernelINS0_14default_configENS1_36segmented_radix_sort_config_selectorIilEEZNS1_25segmented_radix_sort_implIS3_Lb1EPKiPiPKlPlN2at6native12_GLOBAL__N_18offset_tEEE10hipError_tPvRmT1_PNSt15iterator_traitsISK_E10value_typeET2_T3_PNSL_ISQ_E10value_typeET4_jRbjT5_SW_jjP12ihipStream_tbEUlT_E1_NS1_11comp_targetILNS1_3genE10ELNS1_11target_archE1200ELNS1_3gpuE4ELNS1_3repE0EEENS1_59segmented_radix_sort_warp_sort_small_config_static_selectorELNS0_4arch9wavefront6targetE0EEEvSK_.uses_vcc, 0
	.set _ZN7rocprim17ROCPRIM_400000_NS6detail17trampoline_kernelINS0_14default_configENS1_36segmented_radix_sort_config_selectorIilEEZNS1_25segmented_radix_sort_implIS3_Lb1EPKiPiPKlPlN2at6native12_GLOBAL__N_18offset_tEEE10hipError_tPvRmT1_PNSt15iterator_traitsISK_E10value_typeET2_T3_PNSL_ISQ_E10value_typeET4_jRbjT5_SW_jjP12ihipStream_tbEUlT_E1_NS1_11comp_targetILNS1_3genE10ELNS1_11target_archE1200ELNS1_3gpuE4ELNS1_3repE0EEENS1_59segmented_radix_sort_warp_sort_small_config_static_selectorELNS0_4arch9wavefront6targetE0EEEvSK_.uses_flat_scratch, 0
	.set _ZN7rocprim17ROCPRIM_400000_NS6detail17trampoline_kernelINS0_14default_configENS1_36segmented_radix_sort_config_selectorIilEEZNS1_25segmented_radix_sort_implIS3_Lb1EPKiPiPKlPlN2at6native12_GLOBAL__N_18offset_tEEE10hipError_tPvRmT1_PNSt15iterator_traitsISK_E10value_typeET2_T3_PNSL_ISQ_E10value_typeET4_jRbjT5_SW_jjP12ihipStream_tbEUlT_E1_NS1_11comp_targetILNS1_3genE10ELNS1_11target_archE1200ELNS1_3gpuE4ELNS1_3repE0EEENS1_59segmented_radix_sort_warp_sort_small_config_static_selectorELNS0_4arch9wavefront6targetE0EEEvSK_.has_dyn_sized_stack, 0
	.set _ZN7rocprim17ROCPRIM_400000_NS6detail17trampoline_kernelINS0_14default_configENS1_36segmented_radix_sort_config_selectorIilEEZNS1_25segmented_radix_sort_implIS3_Lb1EPKiPiPKlPlN2at6native12_GLOBAL__N_18offset_tEEE10hipError_tPvRmT1_PNSt15iterator_traitsISK_E10value_typeET2_T3_PNSL_ISQ_E10value_typeET4_jRbjT5_SW_jjP12ihipStream_tbEUlT_E1_NS1_11comp_targetILNS1_3genE10ELNS1_11target_archE1200ELNS1_3gpuE4ELNS1_3repE0EEENS1_59segmented_radix_sort_warp_sort_small_config_static_selectorELNS0_4arch9wavefront6targetE0EEEvSK_.has_recursion, 0
	.set _ZN7rocprim17ROCPRIM_400000_NS6detail17trampoline_kernelINS0_14default_configENS1_36segmented_radix_sort_config_selectorIilEEZNS1_25segmented_radix_sort_implIS3_Lb1EPKiPiPKlPlN2at6native12_GLOBAL__N_18offset_tEEE10hipError_tPvRmT1_PNSt15iterator_traitsISK_E10value_typeET2_T3_PNSL_ISQ_E10value_typeET4_jRbjT5_SW_jjP12ihipStream_tbEUlT_E1_NS1_11comp_targetILNS1_3genE10ELNS1_11target_archE1200ELNS1_3gpuE4ELNS1_3repE0EEENS1_59segmented_radix_sort_warp_sort_small_config_static_selectorELNS0_4arch9wavefront6targetE0EEEvSK_.has_indirect_call, 0
	.section	.AMDGPU.csdata,"",@progbits
; Kernel info:
; codeLenInByte = 0
; TotalNumSgprs: 0
; NumVgprs: 0
; ScratchSize: 0
; MemoryBound: 0
; FloatMode: 240
; IeeeMode: 1
; LDSByteSize: 0 bytes/workgroup (compile time only)
; SGPRBlocks: 0
; VGPRBlocks: 0
; NumSGPRsForWavesPerEU: 1
; NumVGPRsForWavesPerEU: 1
; Occupancy: 16
; WaveLimiterHint : 0
; COMPUTE_PGM_RSRC2:SCRATCH_EN: 0
; COMPUTE_PGM_RSRC2:USER_SGPR: 2
; COMPUTE_PGM_RSRC2:TRAP_HANDLER: 0
; COMPUTE_PGM_RSRC2:TGID_X_EN: 1
; COMPUTE_PGM_RSRC2:TGID_Y_EN: 0
; COMPUTE_PGM_RSRC2:TGID_Z_EN: 0
; COMPUTE_PGM_RSRC2:TIDIG_COMP_CNT: 0
	.section	.text._ZN7rocprim17ROCPRIM_400000_NS6detail17trampoline_kernelINS0_14default_configENS1_36segmented_radix_sort_config_selectorIilEEZNS1_25segmented_radix_sort_implIS3_Lb1EPKiPiPKlPlN2at6native12_GLOBAL__N_18offset_tEEE10hipError_tPvRmT1_PNSt15iterator_traitsISK_E10value_typeET2_T3_PNSL_ISQ_E10value_typeET4_jRbjT5_SW_jjP12ihipStream_tbEUlT_E1_NS1_11comp_targetILNS1_3genE9ELNS1_11target_archE1100ELNS1_3gpuE3ELNS1_3repE0EEENS1_59segmented_radix_sort_warp_sort_small_config_static_selectorELNS0_4arch9wavefront6targetE0EEEvSK_,"axG",@progbits,_ZN7rocprim17ROCPRIM_400000_NS6detail17trampoline_kernelINS0_14default_configENS1_36segmented_radix_sort_config_selectorIilEEZNS1_25segmented_radix_sort_implIS3_Lb1EPKiPiPKlPlN2at6native12_GLOBAL__N_18offset_tEEE10hipError_tPvRmT1_PNSt15iterator_traitsISK_E10value_typeET2_T3_PNSL_ISQ_E10value_typeET4_jRbjT5_SW_jjP12ihipStream_tbEUlT_E1_NS1_11comp_targetILNS1_3genE9ELNS1_11target_archE1100ELNS1_3gpuE3ELNS1_3repE0EEENS1_59segmented_radix_sort_warp_sort_small_config_static_selectorELNS0_4arch9wavefront6targetE0EEEvSK_,comdat
	.globl	_ZN7rocprim17ROCPRIM_400000_NS6detail17trampoline_kernelINS0_14default_configENS1_36segmented_radix_sort_config_selectorIilEEZNS1_25segmented_radix_sort_implIS3_Lb1EPKiPiPKlPlN2at6native12_GLOBAL__N_18offset_tEEE10hipError_tPvRmT1_PNSt15iterator_traitsISK_E10value_typeET2_T3_PNSL_ISQ_E10value_typeET4_jRbjT5_SW_jjP12ihipStream_tbEUlT_E1_NS1_11comp_targetILNS1_3genE9ELNS1_11target_archE1100ELNS1_3gpuE3ELNS1_3repE0EEENS1_59segmented_radix_sort_warp_sort_small_config_static_selectorELNS0_4arch9wavefront6targetE0EEEvSK_ ; -- Begin function _ZN7rocprim17ROCPRIM_400000_NS6detail17trampoline_kernelINS0_14default_configENS1_36segmented_radix_sort_config_selectorIilEEZNS1_25segmented_radix_sort_implIS3_Lb1EPKiPiPKlPlN2at6native12_GLOBAL__N_18offset_tEEE10hipError_tPvRmT1_PNSt15iterator_traitsISK_E10value_typeET2_T3_PNSL_ISQ_E10value_typeET4_jRbjT5_SW_jjP12ihipStream_tbEUlT_E1_NS1_11comp_targetILNS1_3genE9ELNS1_11target_archE1100ELNS1_3gpuE3ELNS1_3repE0EEENS1_59segmented_radix_sort_warp_sort_small_config_static_selectorELNS0_4arch9wavefront6targetE0EEEvSK_
	.p2align	8
	.type	_ZN7rocprim17ROCPRIM_400000_NS6detail17trampoline_kernelINS0_14default_configENS1_36segmented_radix_sort_config_selectorIilEEZNS1_25segmented_radix_sort_implIS3_Lb1EPKiPiPKlPlN2at6native12_GLOBAL__N_18offset_tEEE10hipError_tPvRmT1_PNSt15iterator_traitsISK_E10value_typeET2_T3_PNSL_ISQ_E10value_typeET4_jRbjT5_SW_jjP12ihipStream_tbEUlT_E1_NS1_11comp_targetILNS1_3genE9ELNS1_11target_archE1100ELNS1_3gpuE3ELNS1_3repE0EEENS1_59segmented_radix_sort_warp_sort_small_config_static_selectorELNS0_4arch9wavefront6targetE0EEEvSK_,@function
_ZN7rocprim17ROCPRIM_400000_NS6detail17trampoline_kernelINS0_14default_configENS1_36segmented_radix_sort_config_selectorIilEEZNS1_25segmented_radix_sort_implIS3_Lb1EPKiPiPKlPlN2at6native12_GLOBAL__N_18offset_tEEE10hipError_tPvRmT1_PNSt15iterator_traitsISK_E10value_typeET2_T3_PNSL_ISQ_E10value_typeET4_jRbjT5_SW_jjP12ihipStream_tbEUlT_E1_NS1_11comp_targetILNS1_3genE9ELNS1_11target_archE1100ELNS1_3gpuE3ELNS1_3repE0EEENS1_59segmented_radix_sort_warp_sort_small_config_static_selectorELNS0_4arch9wavefront6targetE0EEEvSK_: ; @_ZN7rocprim17ROCPRIM_400000_NS6detail17trampoline_kernelINS0_14default_configENS1_36segmented_radix_sort_config_selectorIilEEZNS1_25segmented_radix_sort_implIS3_Lb1EPKiPiPKlPlN2at6native12_GLOBAL__N_18offset_tEEE10hipError_tPvRmT1_PNSt15iterator_traitsISK_E10value_typeET2_T3_PNSL_ISQ_E10value_typeET4_jRbjT5_SW_jjP12ihipStream_tbEUlT_E1_NS1_11comp_targetILNS1_3genE9ELNS1_11target_archE1100ELNS1_3gpuE3ELNS1_3repE0EEENS1_59segmented_radix_sort_warp_sort_small_config_static_selectorELNS0_4arch9wavefront6targetE0EEEvSK_
; %bb.0:
	.section	.rodata,"a",@progbits
	.p2align	6, 0x0
	.amdhsa_kernel _ZN7rocprim17ROCPRIM_400000_NS6detail17trampoline_kernelINS0_14default_configENS1_36segmented_radix_sort_config_selectorIilEEZNS1_25segmented_radix_sort_implIS3_Lb1EPKiPiPKlPlN2at6native12_GLOBAL__N_18offset_tEEE10hipError_tPvRmT1_PNSt15iterator_traitsISK_E10value_typeET2_T3_PNSL_ISQ_E10value_typeET4_jRbjT5_SW_jjP12ihipStream_tbEUlT_E1_NS1_11comp_targetILNS1_3genE9ELNS1_11target_archE1100ELNS1_3gpuE3ELNS1_3repE0EEENS1_59segmented_radix_sort_warp_sort_small_config_static_selectorELNS0_4arch9wavefront6targetE0EEEvSK_
		.amdhsa_group_segment_fixed_size 0
		.amdhsa_private_segment_fixed_size 0
		.amdhsa_kernarg_size 88
		.amdhsa_user_sgpr_count 2
		.amdhsa_user_sgpr_dispatch_ptr 0
		.amdhsa_user_sgpr_queue_ptr 0
		.amdhsa_user_sgpr_kernarg_segment_ptr 1
		.amdhsa_user_sgpr_dispatch_id 0
		.amdhsa_user_sgpr_private_segment_size 0
		.amdhsa_wavefront_size32 1
		.amdhsa_uses_dynamic_stack 0
		.amdhsa_enable_private_segment 0
		.amdhsa_system_sgpr_workgroup_id_x 1
		.amdhsa_system_sgpr_workgroup_id_y 0
		.amdhsa_system_sgpr_workgroup_id_z 0
		.amdhsa_system_sgpr_workgroup_info 0
		.amdhsa_system_vgpr_workitem_id 0
		.amdhsa_next_free_vgpr 1
		.amdhsa_next_free_sgpr 1
		.amdhsa_reserve_vcc 0
		.amdhsa_float_round_mode_32 0
		.amdhsa_float_round_mode_16_64 0
		.amdhsa_float_denorm_mode_32 3
		.amdhsa_float_denorm_mode_16_64 3
		.amdhsa_fp16_overflow 0
		.amdhsa_workgroup_processor_mode 1
		.amdhsa_memory_ordered 1
		.amdhsa_forward_progress 1
		.amdhsa_inst_pref_size 0
		.amdhsa_round_robin_scheduling 0
		.amdhsa_exception_fp_ieee_invalid_op 0
		.amdhsa_exception_fp_denorm_src 0
		.amdhsa_exception_fp_ieee_div_zero 0
		.amdhsa_exception_fp_ieee_overflow 0
		.amdhsa_exception_fp_ieee_underflow 0
		.amdhsa_exception_fp_ieee_inexact 0
		.amdhsa_exception_int_div_zero 0
	.end_amdhsa_kernel
	.section	.text._ZN7rocprim17ROCPRIM_400000_NS6detail17trampoline_kernelINS0_14default_configENS1_36segmented_radix_sort_config_selectorIilEEZNS1_25segmented_radix_sort_implIS3_Lb1EPKiPiPKlPlN2at6native12_GLOBAL__N_18offset_tEEE10hipError_tPvRmT1_PNSt15iterator_traitsISK_E10value_typeET2_T3_PNSL_ISQ_E10value_typeET4_jRbjT5_SW_jjP12ihipStream_tbEUlT_E1_NS1_11comp_targetILNS1_3genE9ELNS1_11target_archE1100ELNS1_3gpuE3ELNS1_3repE0EEENS1_59segmented_radix_sort_warp_sort_small_config_static_selectorELNS0_4arch9wavefront6targetE0EEEvSK_,"axG",@progbits,_ZN7rocprim17ROCPRIM_400000_NS6detail17trampoline_kernelINS0_14default_configENS1_36segmented_radix_sort_config_selectorIilEEZNS1_25segmented_radix_sort_implIS3_Lb1EPKiPiPKlPlN2at6native12_GLOBAL__N_18offset_tEEE10hipError_tPvRmT1_PNSt15iterator_traitsISK_E10value_typeET2_T3_PNSL_ISQ_E10value_typeET4_jRbjT5_SW_jjP12ihipStream_tbEUlT_E1_NS1_11comp_targetILNS1_3genE9ELNS1_11target_archE1100ELNS1_3gpuE3ELNS1_3repE0EEENS1_59segmented_radix_sort_warp_sort_small_config_static_selectorELNS0_4arch9wavefront6targetE0EEEvSK_,comdat
.Lfunc_end525:
	.size	_ZN7rocprim17ROCPRIM_400000_NS6detail17trampoline_kernelINS0_14default_configENS1_36segmented_radix_sort_config_selectorIilEEZNS1_25segmented_radix_sort_implIS3_Lb1EPKiPiPKlPlN2at6native12_GLOBAL__N_18offset_tEEE10hipError_tPvRmT1_PNSt15iterator_traitsISK_E10value_typeET2_T3_PNSL_ISQ_E10value_typeET4_jRbjT5_SW_jjP12ihipStream_tbEUlT_E1_NS1_11comp_targetILNS1_3genE9ELNS1_11target_archE1100ELNS1_3gpuE3ELNS1_3repE0EEENS1_59segmented_radix_sort_warp_sort_small_config_static_selectorELNS0_4arch9wavefront6targetE0EEEvSK_, .Lfunc_end525-_ZN7rocprim17ROCPRIM_400000_NS6detail17trampoline_kernelINS0_14default_configENS1_36segmented_radix_sort_config_selectorIilEEZNS1_25segmented_radix_sort_implIS3_Lb1EPKiPiPKlPlN2at6native12_GLOBAL__N_18offset_tEEE10hipError_tPvRmT1_PNSt15iterator_traitsISK_E10value_typeET2_T3_PNSL_ISQ_E10value_typeET4_jRbjT5_SW_jjP12ihipStream_tbEUlT_E1_NS1_11comp_targetILNS1_3genE9ELNS1_11target_archE1100ELNS1_3gpuE3ELNS1_3repE0EEENS1_59segmented_radix_sort_warp_sort_small_config_static_selectorELNS0_4arch9wavefront6targetE0EEEvSK_
                                        ; -- End function
	.set _ZN7rocprim17ROCPRIM_400000_NS6detail17trampoline_kernelINS0_14default_configENS1_36segmented_radix_sort_config_selectorIilEEZNS1_25segmented_radix_sort_implIS3_Lb1EPKiPiPKlPlN2at6native12_GLOBAL__N_18offset_tEEE10hipError_tPvRmT1_PNSt15iterator_traitsISK_E10value_typeET2_T3_PNSL_ISQ_E10value_typeET4_jRbjT5_SW_jjP12ihipStream_tbEUlT_E1_NS1_11comp_targetILNS1_3genE9ELNS1_11target_archE1100ELNS1_3gpuE3ELNS1_3repE0EEENS1_59segmented_radix_sort_warp_sort_small_config_static_selectorELNS0_4arch9wavefront6targetE0EEEvSK_.num_vgpr, 0
	.set _ZN7rocprim17ROCPRIM_400000_NS6detail17trampoline_kernelINS0_14default_configENS1_36segmented_radix_sort_config_selectorIilEEZNS1_25segmented_radix_sort_implIS3_Lb1EPKiPiPKlPlN2at6native12_GLOBAL__N_18offset_tEEE10hipError_tPvRmT1_PNSt15iterator_traitsISK_E10value_typeET2_T3_PNSL_ISQ_E10value_typeET4_jRbjT5_SW_jjP12ihipStream_tbEUlT_E1_NS1_11comp_targetILNS1_3genE9ELNS1_11target_archE1100ELNS1_3gpuE3ELNS1_3repE0EEENS1_59segmented_radix_sort_warp_sort_small_config_static_selectorELNS0_4arch9wavefront6targetE0EEEvSK_.num_agpr, 0
	.set _ZN7rocprim17ROCPRIM_400000_NS6detail17trampoline_kernelINS0_14default_configENS1_36segmented_radix_sort_config_selectorIilEEZNS1_25segmented_radix_sort_implIS3_Lb1EPKiPiPKlPlN2at6native12_GLOBAL__N_18offset_tEEE10hipError_tPvRmT1_PNSt15iterator_traitsISK_E10value_typeET2_T3_PNSL_ISQ_E10value_typeET4_jRbjT5_SW_jjP12ihipStream_tbEUlT_E1_NS1_11comp_targetILNS1_3genE9ELNS1_11target_archE1100ELNS1_3gpuE3ELNS1_3repE0EEENS1_59segmented_radix_sort_warp_sort_small_config_static_selectorELNS0_4arch9wavefront6targetE0EEEvSK_.numbered_sgpr, 0
	.set _ZN7rocprim17ROCPRIM_400000_NS6detail17trampoline_kernelINS0_14default_configENS1_36segmented_radix_sort_config_selectorIilEEZNS1_25segmented_radix_sort_implIS3_Lb1EPKiPiPKlPlN2at6native12_GLOBAL__N_18offset_tEEE10hipError_tPvRmT1_PNSt15iterator_traitsISK_E10value_typeET2_T3_PNSL_ISQ_E10value_typeET4_jRbjT5_SW_jjP12ihipStream_tbEUlT_E1_NS1_11comp_targetILNS1_3genE9ELNS1_11target_archE1100ELNS1_3gpuE3ELNS1_3repE0EEENS1_59segmented_radix_sort_warp_sort_small_config_static_selectorELNS0_4arch9wavefront6targetE0EEEvSK_.num_named_barrier, 0
	.set _ZN7rocprim17ROCPRIM_400000_NS6detail17trampoline_kernelINS0_14default_configENS1_36segmented_radix_sort_config_selectorIilEEZNS1_25segmented_radix_sort_implIS3_Lb1EPKiPiPKlPlN2at6native12_GLOBAL__N_18offset_tEEE10hipError_tPvRmT1_PNSt15iterator_traitsISK_E10value_typeET2_T3_PNSL_ISQ_E10value_typeET4_jRbjT5_SW_jjP12ihipStream_tbEUlT_E1_NS1_11comp_targetILNS1_3genE9ELNS1_11target_archE1100ELNS1_3gpuE3ELNS1_3repE0EEENS1_59segmented_radix_sort_warp_sort_small_config_static_selectorELNS0_4arch9wavefront6targetE0EEEvSK_.private_seg_size, 0
	.set _ZN7rocprim17ROCPRIM_400000_NS6detail17trampoline_kernelINS0_14default_configENS1_36segmented_radix_sort_config_selectorIilEEZNS1_25segmented_radix_sort_implIS3_Lb1EPKiPiPKlPlN2at6native12_GLOBAL__N_18offset_tEEE10hipError_tPvRmT1_PNSt15iterator_traitsISK_E10value_typeET2_T3_PNSL_ISQ_E10value_typeET4_jRbjT5_SW_jjP12ihipStream_tbEUlT_E1_NS1_11comp_targetILNS1_3genE9ELNS1_11target_archE1100ELNS1_3gpuE3ELNS1_3repE0EEENS1_59segmented_radix_sort_warp_sort_small_config_static_selectorELNS0_4arch9wavefront6targetE0EEEvSK_.uses_vcc, 0
	.set _ZN7rocprim17ROCPRIM_400000_NS6detail17trampoline_kernelINS0_14default_configENS1_36segmented_radix_sort_config_selectorIilEEZNS1_25segmented_radix_sort_implIS3_Lb1EPKiPiPKlPlN2at6native12_GLOBAL__N_18offset_tEEE10hipError_tPvRmT1_PNSt15iterator_traitsISK_E10value_typeET2_T3_PNSL_ISQ_E10value_typeET4_jRbjT5_SW_jjP12ihipStream_tbEUlT_E1_NS1_11comp_targetILNS1_3genE9ELNS1_11target_archE1100ELNS1_3gpuE3ELNS1_3repE0EEENS1_59segmented_radix_sort_warp_sort_small_config_static_selectorELNS0_4arch9wavefront6targetE0EEEvSK_.uses_flat_scratch, 0
	.set _ZN7rocprim17ROCPRIM_400000_NS6detail17trampoline_kernelINS0_14default_configENS1_36segmented_radix_sort_config_selectorIilEEZNS1_25segmented_radix_sort_implIS3_Lb1EPKiPiPKlPlN2at6native12_GLOBAL__N_18offset_tEEE10hipError_tPvRmT1_PNSt15iterator_traitsISK_E10value_typeET2_T3_PNSL_ISQ_E10value_typeET4_jRbjT5_SW_jjP12ihipStream_tbEUlT_E1_NS1_11comp_targetILNS1_3genE9ELNS1_11target_archE1100ELNS1_3gpuE3ELNS1_3repE0EEENS1_59segmented_radix_sort_warp_sort_small_config_static_selectorELNS0_4arch9wavefront6targetE0EEEvSK_.has_dyn_sized_stack, 0
	.set _ZN7rocprim17ROCPRIM_400000_NS6detail17trampoline_kernelINS0_14default_configENS1_36segmented_radix_sort_config_selectorIilEEZNS1_25segmented_radix_sort_implIS3_Lb1EPKiPiPKlPlN2at6native12_GLOBAL__N_18offset_tEEE10hipError_tPvRmT1_PNSt15iterator_traitsISK_E10value_typeET2_T3_PNSL_ISQ_E10value_typeET4_jRbjT5_SW_jjP12ihipStream_tbEUlT_E1_NS1_11comp_targetILNS1_3genE9ELNS1_11target_archE1100ELNS1_3gpuE3ELNS1_3repE0EEENS1_59segmented_radix_sort_warp_sort_small_config_static_selectorELNS0_4arch9wavefront6targetE0EEEvSK_.has_recursion, 0
	.set _ZN7rocprim17ROCPRIM_400000_NS6detail17trampoline_kernelINS0_14default_configENS1_36segmented_radix_sort_config_selectorIilEEZNS1_25segmented_radix_sort_implIS3_Lb1EPKiPiPKlPlN2at6native12_GLOBAL__N_18offset_tEEE10hipError_tPvRmT1_PNSt15iterator_traitsISK_E10value_typeET2_T3_PNSL_ISQ_E10value_typeET4_jRbjT5_SW_jjP12ihipStream_tbEUlT_E1_NS1_11comp_targetILNS1_3genE9ELNS1_11target_archE1100ELNS1_3gpuE3ELNS1_3repE0EEENS1_59segmented_radix_sort_warp_sort_small_config_static_selectorELNS0_4arch9wavefront6targetE0EEEvSK_.has_indirect_call, 0
	.section	.AMDGPU.csdata,"",@progbits
; Kernel info:
; codeLenInByte = 0
; TotalNumSgprs: 0
; NumVgprs: 0
; ScratchSize: 0
; MemoryBound: 0
; FloatMode: 240
; IeeeMode: 1
; LDSByteSize: 0 bytes/workgroup (compile time only)
; SGPRBlocks: 0
; VGPRBlocks: 0
; NumSGPRsForWavesPerEU: 1
; NumVGPRsForWavesPerEU: 1
; Occupancy: 16
; WaveLimiterHint : 0
; COMPUTE_PGM_RSRC2:SCRATCH_EN: 0
; COMPUTE_PGM_RSRC2:USER_SGPR: 2
; COMPUTE_PGM_RSRC2:TRAP_HANDLER: 0
; COMPUTE_PGM_RSRC2:TGID_X_EN: 1
; COMPUTE_PGM_RSRC2:TGID_Y_EN: 0
; COMPUTE_PGM_RSRC2:TGID_Z_EN: 0
; COMPUTE_PGM_RSRC2:TIDIG_COMP_CNT: 0
	.section	.text._ZN7rocprim17ROCPRIM_400000_NS6detail17trampoline_kernelINS0_14default_configENS1_36segmented_radix_sort_config_selectorIilEEZNS1_25segmented_radix_sort_implIS3_Lb1EPKiPiPKlPlN2at6native12_GLOBAL__N_18offset_tEEE10hipError_tPvRmT1_PNSt15iterator_traitsISK_E10value_typeET2_T3_PNSL_ISQ_E10value_typeET4_jRbjT5_SW_jjP12ihipStream_tbEUlT_E1_NS1_11comp_targetILNS1_3genE8ELNS1_11target_archE1030ELNS1_3gpuE2ELNS1_3repE0EEENS1_59segmented_radix_sort_warp_sort_small_config_static_selectorELNS0_4arch9wavefront6targetE0EEEvSK_,"axG",@progbits,_ZN7rocprim17ROCPRIM_400000_NS6detail17trampoline_kernelINS0_14default_configENS1_36segmented_radix_sort_config_selectorIilEEZNS1_25segmented_radix_sort_implIS3_Lb1EPKiPiPKlPlN2at6native12_GLOBAL__N_18offset_tEEE10hipError_tPvRmT1_PNSt15iterator_traitsISK_E10value_typeET2_T3_PNSL_ISQ_E10value_typeET4_jRbjT5_SW_jjP12ihipStream_tbEUlT_E1_NS1_11comp_targetILNS1_3genE8ELNS1_11target_archE1030ELNS1_3gpuE2ELNS1_3repE0EEENS1_59segmented_radix_sort_warp_sort_small_config_static_selectorELNS0_4arch9wavefront6targetE0EEEvSK_,comdat
	.globl	_ZN7rocprim17ROCPRIM_400000_NS6detail17trampoline_kernelINS0_14default_configENS1_36segmented_radix_sort_config_selectorIilEEZNS1_25segmented_radix_sort_implIS3_Lb1EPKiPiPKlPlN2at6native12_GLOBAL__N_18offset_tEEE10hipError_tPvRmT1_PNSt15iterator_traitsISK_E10value_typeET2_T3_PNSL_ISQ_E10value_typeET4_jRbjT5_SW_jjP12ihipStream_tbEUlT_E1_NS1_11comp_targetILNS1_3genE8ELNS1_11target_archE1030ELNS1_3gpuE2ELNS1_3repE0EEENS1_59segmented_radix_sort_warp_sort_small_config_static_selectorELNS0_4arch9wavefront6targetE0EEEvSK_ ; -- Begin function _ZN7rocprim17ROCPRIM_400000_NS6detail17trampoline_kernelINS0_14default_configENS1_36segmented_radix_sort_config_selectorIilEEZNS1_25segmented_radix_sort_implIS3_Lb1EPKiPiPKlPlN2at6native12_GLOBAL__N_18offset_tEEE10hipError_tPvRmT1_PNSt15iterator_traitsISK_E10value_typeET2_T3_PNSL_ISQ_E10value_typeET4_jRbjT5_SW_jjP12ihipStream_tbEUlT_E1_NS1_11comp_targetILNS1_3genE8ELNS1_11target_archE1030ELNS1_3gpuE2ELNS1_3repE0EEENS1_59segmented_radix_sort_warp_sort_small_config_static_selectorELNS0_4arch9wavefront6targetE0EEEvSK_
	.p2align	8
	.type	_ZN7rocprim17ROCPRIM_400000_NS6detail17trampoline_kernelINS0_14default_configENS1_36segmented_radix_sort_config_selectorIilEEZNS1_25segmented_radix_sort_implIS3_Lb1EPKiPiPKlPlN2at6native12_GLOBAL__N_18offset_tEEE10hipError_tPvRmT1_PNSt15iterator_traitsISK_E10value_typeET2_T3_PNSL_ISQ_E10value_typeET4_jRbjT5_SW_jjP12ihipStream_tbEUlT_E1_NS1_11comp_targetILNS1_3genE8ELNS1_11target_archE1030ELNS1_3gpuE2ELNS1_3repE0EEENS1_59segmented_radix_sort_warp_sort_small_config_static_selectorELNS0_4arch9wavefront6targetE0EEEvSK_,@function
_ZN7rocprim17ROCPRIM_400000_NS6detail17trampoline_kernelINS0_14default_configENS1_36segmented_radix_sort_config_selectorIilEEZNS1_25segmented_radix_sort_implIS3_Lb1EPKiPiPKlPlN2at6native12_GLOBAL__N_18offset_tEEE10hipError_tPvRmT1_PNSt15iterator_traitsISK_E10value_typeET2_T3_PNSL_ISQ_E10value_typeET4_jRbjT5_SW_jjP12ihipStream_tbEUlT_E1_NS1_11comp_targetILNS1_3genE8ELNS1_11target_archE1030ELNS1_3gpuE2ELNS1_3repE0EEENS1_59segmented_radix_sort_warp_sort_small_config_static_selectorELNS0_4arch9wavefront6targetE0EEEvSK_: ; @_ZN7rocprim17ROCPRIM_400000_NS6detail17trampoline_kernelINS0_14default_configENS1_36segmented_radix_sort_config_selectorIilEEZNS1_25segmented_radix_sort_implIS3_Lb1EPKiPiPKlPlN2at6native12_GLOBAL__N_18offset_tEEE10hipError_tPvRmT1_PNSt15iterator_traitsISK_E10value_typeET2_T3_PNSL_ISQ_E10value_typeET4_jRbjT5_SW_jjP12ihipStream_tbEUlT_E1_NS1_11comp_targetILNS1_3genE8ELNS1_11target_archE1030ELNS1_3gpuE2ELNS1_3repE0EEENS1_59segmented_radix_sort_warp_sort_small_config_static_selectorELNS0_4arch9wavefront6targetE0EEEvSK_
; %bb.0:
	.section	.rodata,"a",@progbits
	.p2align	6, 0x0
	.amdhsa_kernel _ZN7rocprim17ROCPRIM_400000_NS6detail17trampoline_kernelINS0_14default_configENS1_36segmented_radix_sort_config_selectorIilEEZNS1_25segmented_radix_sort_implIS3_Lb1EPKiPiPKlPlN2at6native12_GLOBAL__N_18offset_tEEE10hipError_tPvRmT1_PNSt15iterator_traitsISK_E10value_typeET2_T3_PNSL_ISQ_E10value_typeET4_jRbjT5_SW_jjP12ihipStream_tbEUlT_E1_NS1_11comp_targetILNS1_3genE8ELNS1_11target_archE1030ELNS1_3gpuE2ELNS1_3repE0EEENS1_59segmented_radix_sort_warp_sort_small_config_static_selectorELNS0_4arch9wavefront6targetE0EEEvSK_
		.amdhsa_group_segment_fixed_size 0
		.amdhsa_private_segment_fixed_size 0
		.amdhsa_kernarg_size 88
		.amdhsa_user_sgpr_count 2
		.amdhsa_user_sgpr_dispatch_ptr 0
		.amdhsa_user_sgpr_queue_ptr 0
		.amdhsa_user_sgpr_kernarg_segment_ptr 1
		.amdhsa_user_sgpr_dispatch_id 0
		.amdhsa_user_sgpr_private_segment_size 0
		.amdhsa_wavefront_size32 1
		.amdhsa_uses_dynamic_stack 0
		.amdhsa_enable_private_segment 0
		.amdhsa_system_sgpr_workgroup_id_x 1
		.amdhsa_system_sgpr_workgroup_id_y 0
		.amdhsa_system_sgpr_workgroup_id_z 0
		.amdhsa_system_sgpr_workgroup_info 0
		.amdhsa_system_vgpr_workitem_id 0
		.amdhsa_next_free_vgpr 1
		.amdhsa_next_free_sgpr 1
		.amdhsa_reserve_vcc 0
		.amdhsa_float_round_mode_32 0
		.amdhsa_float_round_mode_16_64 0
		.amdhsa_float_denorm_mode_32 3
		.amdhsa_float_denorm_mode_16_64 3
		.amdhsa_fp16_overflow 0
		.amdhsa_workgroup_processor_mode 1
		.amdhsa_memory_ordered 1
		.amdhsa_forward_progress 1
		.amdhsa_inst_pref_size 0
		.amdhsa_round_robin_scheduling 0
		.amdhsa_exception_fp_ieee_invalid_op 0
		.amdhsa_exception_fp_denorm_src 0
		.amdhsa_exception_fp_ieee_div_zero 0
		.amdhsa_exception_fp_ieee_overflow 0
		.amdhsa_exception_fp_ieee_underflow 0
		.amdhsa_exception_fp_ieee_inexact 0
		.amdhsa_exception_int_div_zero 0
	.end_amdhsa_kernel
	.section	.text._ZN7rocprim17ROCPRIM_400000_NS6detail17trampoline_kernelINS0_14default_configENS1_36segmented_radix_sort_config_selectorIilEEZNS1_25segmented_radix_sort_implIS3_Lb1EPKiPiPKlPlN2at6native12_GLOBAL__N_18offset_tEEE10hipError_tPvRmT1_PNSt15iterator_traitsISK_E10value_typeET2_T3_PNSL_ISQ_E10value_typeET4_jRbjT5_SW_jjP12ihipStream_tbEUlT_E1_NS1_11comp_targetILNS1_3genE8ELNS1_11target_archE1030ELNS1_3gpuE2ELNS1_3repE0EEENS1_59segmented_radix_sort_warp_sort_small_config_static_selectorELNS0_4arch9wavefront6targetE0EEEvSK_,"axG",@progbits,_ZN7rocprim17ROCPRIM_400000_NS6detail17trampoline_kernelINS0_14default_configENS1_36segmented_radix_sort_config_selectorIilEEZNS1_25segmented_radix_sort_implIS3_Lb1EPKiPiPKlPlN2at6native12_GLOBAL__N_18offset_tEEE10hipError_tPvRmT1_PNSt15iterator_traitsISK_E10value_typeET2_T3_PNSL_ISQ_E10value_typeET4_jRbjT5_SW_jjP12ihipStream_tbEUlT_E1_NS1_11comp_targetILNS1_3genE8ELNS1_11target_archE1030ELNS1_3gpuE2ELNS1_3repE0EEENS1_59segmented_radix_sort_warp_sort_small_config_static_selectorELNS0_4arch9wavefront6targetE0EEEvSK_,comdat
.Lfunc_end526:
	.size	_ZN7rocprim17ROCPRIM_400000_NS6detail17trampoline_kernelINS0_14default_configENS1_36segmented_radix_sort_config_selectorIilEEZNS1_25segmented_radix_sort_implIS3_Lb1EPKiPiPKlPlN2at6native12_GLOBAL__N_18offset_tEEE10hipError_tPvRmT1_PNSt15iterator_traitsISK_E10value_typeET2_T3_PNSL_ISQ_E10value_typeET4_jRbjT5_SW_jjP12ihipStream_tbEUlT_E1_NS1_11comp_targetILNS1_3genE8ELNS1_11target_archE1030ELNS1_3gpuE2ELNS1_3repE0EEENS1_59segmented_radix_sort_warp_sort_small_config_static_selectorELNS0_4arch9wavefront6targetE0EEEvSK_, .Lfunc_end526-_ZN7rocprim17ROCPRIM_400000_NS6detail17trampoline_kernelINS0_14default_configENS1_36segmented_radix_sort_config_selectorIilEEZNS1_25segmented_radix_sort_implIS3_Lb1EPKiPiPKlPlN2at6native12_GLOBAL__N_18offset_tEEE10hipError_tPvRmT1_PNSt15iterator_traitsISK_E10value_typeET2_T3_PNSL_ISQ_E10value_typeET4_jRbjT5_SW_jjP12ihipStream_tbEUlT_E1_NS1_11comp_targetILNS1_3genE8ELNS1_11target_archE1030ELNS1_3gpuE2ELNS1_3repE0EEENS1_59segmented_radix_sort_warp_sort_small_config_static_selectorELNS0_4arch9wavefront6targetE0EEEvSK_
                                        ; -- End function
	.set _ZN7rocprim17ROCPRIM_400000_NS6detail17trampoline_kernelINS0_14default_configENS1_36segmented_radix_sort_config_selectorIilEEZNS1_25segmented_radix_sort_implIS3_Lb1EPKiPiPKlPlN2at6native12_GLOBAL__N_18offset_tEEE10hipError_tPvRmT1_PNSt15iterator_traitsISK_E10value_typeET2_T3_PNSL_ISQ_E10value_typeET4_jRbjT5_SW_jjP12ihipStream_tbEUlT_E1_NS1_11comp_targetILNS1_3genE8ELNS1_11target_archE1030ELNS1_3gpuE2ELNS1_3repE0EEENS1_59segmented_radix_sort_warp_sort_small_config_static_selectorELNS0_4arch9wavefront6targetE0EEEvSK_.num_vgpr, 0
	.set _ZN7rocprim17ROCPRIM_400000_NS6detail17trampoline_kernelINS0_14default_configENS1_36segmented_radix_sort_config_selectorIilEEZNS1_25segmented_radix_sort_implIS3_Lb1EPKiPiPKlPlN2at6native12_GLOBAL__N_18offset_tEEE10hipError_tPvRmT1_PNSt15iterator_traitsISK_E10value_typeET2_T3_PNSL_ISQ_E10value_typeET4_jRbjT5_SW_jjP12ihipStream_tbEUlT_E1_NS1_11comp_targetILNS1_3genE8ELNS1_11target_archE1030ELNS1_3gpuE2ELNS1_3repE0EEENS1_59segmented_radix_sort_warp_sort_small_config_static_selectorELNS0_4arch9wavefront6targetE0EEEvSK_.num_agpr, 0
	.set _ZN7rocprim17ROCPRIM_400000_NS6detail17trampoline_kernelINS0_14default_configENS1_36segmented_radix_sort_config_selectorIilEEZNS1_25segmented_radix_sort_implIS3_Lb1EPKiPiPKlPlN2at6native12_GLOBAL__N_18offset_tEEE10hipError_tPvRmT1_PNSt15iterator_traitsISK_E10value_typeET2_T3_PNSL_ISQ_E10value_typeET4_jRbjT5_SW_jjP12ihipStream_tbEUlT_E1_NS1_11comp_targetILNS1_3genE8ELNS1_11target_archE1030ELNS1_3gpuE2ELNS1_3repE0EEENS1_59segmented_radix_sort_warp_sort_small_config_static_selectorELNS0_4arch9wavefront6targetE0EEEvSK_.numbered_sgpr, 0
	.set _ZN7rocprim17ROCPRIM_400000_NS6detail17trampoline_kernelINS0_14default_configENS1_36segmented_radix_sort_config_selectorIilEEZNS1_25segmented_radix_sort_implIS3_Lb1EPKiPiPKlPlN2at6native12_GLOBAL__N_18offset_tEEE10hipError_tPvRmT1_PNSt15iterator_traitsISK_E10value_typeET2_T3_PNSL_ISQ_E10value_typeET4_jRbjT5_SW_jjP12ihipStream_tbEUlT_E1_NS1_11comp_targetILNS1_3genE8ELNS1_11target_archE1030ELNS1_3gpuE2ELNS1_3repE0EEENS1_59segmented_radix_sort_warp_sort_small_config_static_selectorELNS0_4arch9wavefront6targetE0EEEvSK_.num_named_barrier, 0
	.set _ZN7rocprim17ROCPRIM_400000_NS6detail17trampoline_kernelINS0_14default_configENS1_36segmented_radix_sort_config_selectorIilEEZNS1_25segmented_radix_sort_implIS3_Lb1EPKiPiPKlPlN2at6native12_GLOBAL__N_18offset_tEEE10hipError_tPvRmT1_PNSt15iterator_traitsISK_E10value_typeET2_T3_PNSL_ISQ_E10value_typeET4_jRbjT5_SW_jjP12ihipStream_tbEUlT_E1_NS1_11comp_targetILNS1_3genE8ELNS1_11target_archE1030ELNS1_3gpuE2ELNS1_3repE0EEENS1_59segmented_radix_sort_warp_sort_small_config_static_selectorELNS0_4arch9wavefront6targetE0EEEvSK_.private_seg_size, 0
	.set _ZN7rocprim17ROCPRIM_400000_NS6detail17trampoline_kernelINS0_14default_configENS1_36segmented_radix_sort_config_selectorIilEEZNS1_25segmented_radix_sort_implIS3_Lb1EPKiPiPKlPlN2at6native12_GLOBAL__N_18offset_tEEE10hipError_tPvRmT1_PNSt15iterator_traitsISK_E10value_typeET2_T3_PNSL_ISQ_E10value_typeET4_jRbjT5_SW_jjP12ihipStream_tbEUlT_E1_NS1_11comp_targetILNS1_3genE8ELNS1_11target_archE1030ELNS1_3gpuE2ELNS1_3repE0EEENS1_59segmented_radix_sort_warp_sort_small_config_static_selectorELNS0_4arch9wavefront6targetE0EEEvSK_.uses_vcc, 0
	.set _ZN7rocprim17ROCPRIM_400000_NS6detail17trampoline_kernelINS0_14default_configENS1_36segmented_radix_sort_config_selectorIilEEZNS1_25segmented_radix_sort_implIS3_Lb1EPKiPiPKlPlN2at6native12_GLOBAL__N_18offset_tEEE10hipError_tPvRmT1_PNSt15iterator_traitsISK_E10value_typeET2_T3_PNSL_ISQ_E10value_typeET4_jRbjT5_SW_jjP12ihipStream_tbEUlT_E1_NS1_11comp_targetILNS1_3genE8ELNS1_11target_archE1030ELNS1_3gpuE2ELNS1_3repE0EEENS1_59segmented_radix_sort_warp_sort_small_config_static_selectorELNS0_4arch9wavefront6targetE0EEEvSK_.uses_flat_scratch, 0
	.set _ZN7rocprim17ROCPRIM_400000_NS6detail17trampoline_kernelINS0_14default_configENS1_36segmented_radix_sort_config_selectorIilEEZNS1_25segmented_radix_sort_implIS3_Lb1EPKiPiPKlPlN2at6native12_GLOBAL__N_18offset_tEEE10hipError_tPvRmT1_PNSt15iterator_traitsISK_E10value_typeET2_T3_PNSL_ISQ_E10value_typeET4_jRbjT5_SW_jjP12ihipStream_tbEUlT_E1_NS1_11comp_targetILNS1_3genE8ELNS1_11target_archE1030ELNS1_3gpuE2ELNS1_3repE0EEENS1_59segmented_radix_sort_warp_sort_small_config_static_selectorELNS0_4arch9wavefront6targetE0EEEvSK_.has_dyn_sized_stack, 0
	.set _ZN7rocprim17ROCPRIM_400000_NS6detail17trampoline_kernelINS0_14default_configENS1_36segmented_radix_sort_config_selectorIilEEZNS1_25segmented_radix_sort_implIS3_Lb1EPKiPiPKlPlN2at6native12_GLOBAL__N_18offset_tEEE10hipError_tPvRmT1_PNSt15iterator_traitsISK_E10value_typeET2_T3_PNSL_ISQ_E10value_typeET4_jRbjT5_SW_jjP12ihipStream_tbEUlT_E1_NS1_11comp_targetILNS1_3genE8ELNS1_11target_archE1030ELNS1_3gpuE2ELNS1_3repE0EEENS1_59segmented_radix_sort_warp_sort_small_config_static_selectorELNS0_4arch9wavefront6targetE0EEEvSK_.has_recursion, 0
	.set _ZN7rocprim17ROCPRIM_400000_NS6detail17trampoline_kernelINS0_14default_configENS1_36segmented_radix_sort_config_selectorIilEEZNS1_25segmented_radix_sort_implIS3_Lb1EPKiPiPKlPlN2at6native12_GLOBAL__N_18offset_tEEE10hipError_tPvRmT1_PNSt15iterator_traitsISK_E10value_typeET2_T3_PNSL_ISQ_E10value_typeET4_jRbjT5_SW_jjP12ihipStream_tbEUlT_E1_NS1_11comp_targetILNS1_3genE8ELNS1_11target_archE1030ELNS1_3gpuE2ELNS1_3repE0EEENS1_59segmented_radix_sort_warp_sort_small_config_static_selectorELNS0_4arch9wavefront6targetE0EEEvSK_.has_indirect_call, 0
	.section	.AMDGPU.csdata,"",@progbits
; Kernel info:
; codeLenInByte = 0
; TotalNumSgprs: 0
; NumVgprs: 0
; ScratchSize: 0
; MemoryBound: 0
; FloatMode: 240
; IeeeMode: 1
; LDSByteSize: 0 bytes/workgroup (compile time only)
; SGPRBlocks: 0
; VGPRBlocks: 0
; NumSGPRsForWavesPerEU: 1
; NumVGPRsForWavesPerEU: 1
; Occupancy: 16
; WaveLimiterHint : 0
; COMPUTE_PGM_RSRC2:SCRATCH_EN: 0
; COMPUTE_PGM_RSRC2:USER_SGPR: 2
; COMPUTE_PGM_RSRC2:TRAP_HANDLER: 0
; COMPUTE_PGM_RSRC2:TGID_X_EN: 1
; COMPUTE_PGM_RSRC2:TGID_Y_EN: 0
; COMPUTE_PGM_RSRC2:TGID_Z_EN: 0
; COMPUTE_PGM_RSRC2:TIDIG_COMP_CNT: 0
	.section	.text._ZN7rocprim17ROCPRIM_400000_NS6detail17trampoline_kernelINS0_14default_configENS1_36segmented_radix_sort_config_selectorIilEEZNS1_25segmented_radix_sort_implIS3_Lb1EPKiPiPKlPlN2at6native12_GLOBAL__N_18offset_tEEE10hipError_tPvRmT1_PNSt15iterator_traitsISK_E10value_typeET2_T3_PNSL_ISQ_E10value_typeET4_jRbjT5_SW_jjP12ihipStream_tbEUlT_E2_NS1_11comp_targetILNS1_3genE0ELNS1_11target_archE4294967295ELNS1_3gpuE0ELNS1_3repE0EEENS1_30default_config_static_selectorELNS0_4arch9wavefront6targetE0EEEvSK_,"axG",@progbits,_ZN7rocprim17ROCPRIM_400000_NS6detail17trampoline_kernelINS0_14default_configENS1_36segmented_radix_sort_config_selectorIilEEZNS1_25segmented_radix_sort_implIS3_Lb1EPKiPiPKlPlN2at6native12_GLOBAL__N_18offset_tEEE10hipError_tPvRmT1_PNSt15iterator_traitsISK_E10value_typeET2_T3_PNSL_ISQ_E10value_typeET4_jRbjT5_SW_jjP12ihipStream_tbEUlT_E2_NS1_11comp_targetILNS1_3genE0ELNS1_11target_archE4294967295ELNS1_3gpuE0ELNS1_3repE0EEENS1_30default_config_static_selectorELNS0_4arch9wavefront6targetE0EEEvSK_,comdat
	.globl	_ZN7rocprim17ROCPRIM_400000_NS6detail17trampoline_kernelINS0_14default_configENS1_36segmented_radix_sort_config_selectorIilEEZNS1_25segmented_radix_sort_implIS3_Lb1EPKiPiPKlPlN2at6native12_GLOBAL__N_18offset_tEEE10hipError_tPvRmT1_PNSt15iterator_traitsISK_E10value_typeET2_T3_PNSL_ISQ_E10value_typeET4_jRbjT5_SW_jjP12ihipStream_tbEUlT_E2_NS1_11comp_targetILNS1_3genE0ELNS1_11target_archE4294967295ELNS1_3gpuE0ELNS1_3repE0EEENS1_30default_config_static_selectorELNS0_4arch9wavefront6targetE0EEEvSK_ ; -- Begin function _ZN7rocprim17ROCPRIM_400000_NS6detail17trampoline_kernelINS0_14default_configENS1_36segmented_radix_sort_config_selectorIilEEZNS1_25segmented_radix_sort_implIS3_Lb1EPKiPiPKlPlN2at6native12_GLOBAL__N_18offset_tEEE10hipError_tPvRmT1_PNSt15iterator_traitsISK_E10value_typeET2_T3_PNSL_ISQ_E10value_typeET4_jRbjT5_SW_jjP12ihipStream_tbEUlT_E2_NS1_11comp_targetILNS1_3genE0ELNS1_11target_archE4294967295ELNS1_3gpuE0ELNS1_3repE0EEENS1_30default_config_static_selectorELNS0_4arch9wavefront6targetE0EEEvSK_
	.p2align	8
	.type	_ZN7rocprim17ROCPRIM_400000_NS6detail17trampoline_kernelINS0_14default_configENS1_36segmented_radix_sort_config_selectorIilEEZNS1_25segmented_radix_sort_implIS3_Lb1EPKiPiPKlPlN2at6native12_GLOBAL__N_18offset_tEEE10hipError_tPvRmT1_PNSt15iterator_traitsISK_E10value_typeET2_T3_PNSL_ISQ_E10value_typeET4_jRbjT5_SW_jjP12ihipStream_tbEUlT_E2_NS1_11comp_targetILNS1_3genE0ELNS1_11target_archE4294967295ELNS1_3gpuE0ELNS1_3repE0EEENS1_30default_config_static_selectorELNS0_4arch9wavefront6targetE0EEEvSK_,@function
_ZN7rocprim17ROCPRIM_400000_NS6detail17trampoline_kernelINS0_14default_configENS1_36segmented_radix_sort_config_selectorIilEEZNS1_25segmented_radix_sort_implIS3_Lb1EPKiPiPKlPlN2at6native12_GLOBAL__N_18offset_tEEE10hipError_tPvRmT1_PNSt15iterator_traitsISK_E10value_typeET2_T3_PNSL_ISQ_E10value_typeET4_jRbjT5_SW_jjP12ihipStream_tbEUlT_E2_NS1_11comp_targetILNS1_3genE0ELNS1_11target_archE4294967295ELNS1_3gpuE0ELNS1_3repE0EEENS1_30default_config_static_selectorELNS0_4arch9wavefront6targetE0EEEvSK_: ; @_ZN7rocprim17ROCPRIM_400000_NS6detail17trampoline_kernelINS0_14default_configENS1_36segmented_radix_sort_config_selectorIilEEZNS1_25segmented_radix_sort_implIS3_Lb1EPKiPiPKlPlN2at6native12_GLOBAL__N_18offset_tEEE10hipError_tPvRmT1_PNSt15iterator_traitsISK_E10value_typeET2_T3_PNSL_ISQ_E10value_typeET4_jRbjT5_SW_jjP12ihipStream_tbEUlT_E2_NS1_11comp_targetILNS1_3genE0ELNS1_11target_archE4294967295ELNS1_3gpuE0ELNS1_3repE0EEENS1_30default_config_static_selectorELNS0_4arch9wavefront6targetE0EEEvSK_
; %bb.0:
	.section	.rodata,"a",@progbits
	.p2align	6, 0x0
	.amdhsa_kernel _ZN7rocprim17ROCPRIM_400000_NS6detail17trampoline_kernelINS0_14default_configENS1_36segmented_radix_sort_config_selectorIilEEZNS1_25segmented_radix_sort_implIS3_Lb1EPKiPiPKlPlN2at6native12_GLOBAL__N_18offset_tEEE10hipError_tPvRmT1_PNSt15iterator_traitsISK_E10value_typeET2_T3_PNSL_ISQ_E10value_typeET4_jRbjT5_SW_jjP12ihipStream_tbEUlT_E2_NS1_11comp_targetILNS1_3genE0ELNS1_11target_archE4294967295ELNS1_3gpuE0ELNS1_3repE0EEENS1_30default_config_static_selectorELNS0_4arch9wavefront6targetE0EEEvSK_
		.amdhsa_group_segment_fixed_size 0
		.amdhsa_private_segment_fixed_size 0
		.amdhsa_kernarg_size 80
		.amdhsa_user_sgpr_count 2
		.amdhsa_user_sgpr_dispatch_ptr 0
		.amdhsa_user_sgpr_queue_ptr 0
		.amdhsa_user_sgpr_kernarg_segment_ptr 1
		.amdhsa_user_sgpr_dispatch_id 0
		.amdhsa_user_sgpr_private_segment_size 0
		.amdhsa_wavefront_size32 1
		.amdhsa_uses_dynamic_stack 0
		.amdhsa_enable_private_segment 0
		.amdhsa_system_sgpr_workgroup_id_x 1
		.amdhsa_system_sgpr_workgroup_id_y 0
		.amdhsa_system_sgpr_workgroup_id_z 0
		.amdhsa_system_sgpr_workgroup_info 0
		.amdhsa_system_vgpr_workitem_id 0
		.amdhsa_next_free_vgpr 1
		.amdhsa_next_free_sgpr 1
		.amdhsa_reserve_vcc 0
		.amdhsa_float_round_mode_32 0
		.amdhsa_float_round_mode_16_64 0
		.amdhsa_float_denorm_mode_32 3
		.amdhsa_float_denorm_mode_16_64 3
		.amdhsa_fp16_overflow 0
		.amdhsa_workgroup_processor_mode 1
		.amdhsa_memory_ordered 1
		.amdhsa_forward_progress 1
		.amdhsa_inst_pref_size 0
		.amdhsa_round_robin_scheduling 0
		.amdhsa_exception_fp_ieee_invalid_op 0
		.amdhsa_exception_fp_denorm_src 0
		.amdhsa_exception_fp_ieee_div_zero 0
		.amdhsa_exception_fp_ieee_overflow 0
		.amdhsa_exception_fp_ieee_underflow 0
		.amdhsa_exception_fp_ieee_inexact 0
		.amdhsa_exception_int_div_zero 0
	.end_amdhsa_kernel
	.section	.text._ZN7rocprim17ROCPRIM_400000_NS6detail17trampoline_kernelINS0_14default_configENS1_36segmented_radix_sort_config_selectorIilEEZNS1_25segmented_radix_sort_implIS3_Lb1EPKiPiPKlPlN2at6native12_GLOBAL__N_18offset_tEEE10hipError_tPvRmT1_PNSt15iterator_traitsISK_E10value_typeET2_T3_PNSL_ISQ_E10value_typeET4_jRbjT5_SW_jjP12ihipStream_tbEUlT_E2_NS1_11comp_targetILNS1_3genE0ELNS1_11target_archE4294967295ELNS1_3gpuE0ELNS1_3repE0EEENS1_30default_config_static_selectorELNS0_4arch9wavefront6targetE0EEEvSK_,"axG",@progbits,_ZN7rocprim17ROCPRIM_400000_NS6detail17trampoline_kernelINS0_14default_configENS1_36segmented_radix_sort_config_selectorIilEEZNS1_25segmented_radix_sort_implIS3_Lb1EPKiPiPKlPlN2at6native12_GLOBAL__N_18offset_tEEE10hipError_tPvRmT1_PNSt15iterator_traitsISK_E10value_typeET2_T3_PNSL_ISQ_E10value_typeET4_jRbjT5_SW_jjP12ihipStream_tbEUlT_E2_NS1_11comp_targetILNS1_3genE0ELNS1_11target_archE4294967295ELNS1_3gpuE0ELNS1_3repE0EEENS1_30default_config_static_selectorELNS0_4arch9wavefront6targetE0EEEvSK_,comdat
.Lfunc_end527:
	.size	_ZN7rocprim17ROCPRIM_400000_NS6detail17trampoline_kernelINS0_14default_configENS1_36segmented_radix_sort_config_selectorIilEEZNS1_25segmented_radix_sort_implIS3_Lb1EPKiPiPKlPlN2at6native12_GLOBAL__N_18offset_tEEE10hipError_tPvRmT1_PNSt15iterator_traitsISK_E10value_typeET2_T3_PNSL_ISQ_E10value_typeET4_jRbjT5_SW_jjP12ihipStream_tbEUlT_E2_NS1_11comp_targetILNS1_3genE0ELNS1_11target_archE4294967295ELNS1_3gpuE0ELNS1_3repE0EEENS1_30default_config_static_selectorELNS0_4arch9wavefront6targetE0EEEvSK_, .Lfunc_end527-_ZN7rocprim17ROCPRIM_400000_NS6detail17trampoline_kernelINS0_14default_configENS1_36segmented_radix_sort_config_selectorIilEEZNS1_25segmented_radix_sort_implIS3_Lb1EPKiPiPKlPlN2at6native12_GLOBAL__N_18offset_tEEE10hipError_tPvRmT1_PNSt15iterator_traitsISK_E10value_typeET2_T3_PNSL_ISQ_E10value_typeET4_jRbjT5_SW_jjP12ihipStream_tbEUlT_E2_NS1_11comp_targetILNS1_3genE0ELNS1_11target_archE4294967295ELNS1_3gpuE0ELNS1_3repE0EEENS1_30default_config_static_selectorELNS0_4arch9wavefront6targetE0EEEvSK_
                                        ; -- End function
	.set _ZN7rocprim17ROCPRIM_400000_NS6detail17trampoline_kernelINS0_14default_configENS1_36segmented_radix_sort_config_selectorIilEEZNS1_25segmented_radix_sort_implIS3_Lb1EPKiPiPKlPlN2at6native12_GLOBAL__N_18offset_tEEE10hipError_tPvRmT1_PNSt15iterator_traitsISK_E10value_typeET2_T3_PNSL_ISQ_E10value_typeET4_jRbjT5_SW_jjP12ihipStream_tbEUlT_E2_NS1_11comp_targetILNS1_3genE0ELNS1_11target_archE4294967295ELNS1_3gpuE0ELNS1_3repE0EEENS1_30default_config_static_selectorELNS0_4arch9wavefront6targetE0EEEvSK_.num_vgpr, 0
	.set _ZN7rocprim17ROCPRIM_400000_NS6detail17trampoline_kernelINS0_14default_configENS1_36segmented_radix_sort_config_selectorIilEEZNS1_25segmented_radix_sort_implIS3_Lb1EPKiPiPKlPlN2at6native12_GLOBAL__N_18offset_tEEE10hipError_tPvRmT1_PNSt15iterator_traitsISK_E10value_typeET2_T3_PNSL_ISQ_E10value_typeET4_jRbjT5_SW_jjP12ihipStream_tbEUlT_E2_NS1_11comp_targetILNS1_3genE0ELNS1_11target_archE4294967295ELNS1_3gpuE0ELNS1_3repE0EEENS1_30default_config_static_selectorELNS0_4arch9wavefront6targetE0EEEvSK_.num_agpr, 0
	.set _ZN7rocprim17ROCPRIM_400000_NS6detail17trampoline_kernelINS0_14default_configENS1_36segmented_radix_sort_config_selectorIilEEZNS1_25segmented_radix_sort_implIS3_Lb1EPKiPiPKlPlN2at6native12_GLOBAL__N_18offset_tEEE10hipError_tPvRmT1_PNSt15iterator_traitsISK_E10value_typeET2_T3_PNSL_ISQ_E10value_typeET4_jRbjT5_SW_jjP12ihipStream_tbEUlT_E2_NS1_11comp_targetILNS1_3genE0ELNS1_11target_archE4294967295ELNS1_3gpuE0ELNS1_3repE0EEENS1_30default_config_static_selectorELNS0_4arch9wavefront6targetE0EEEvSK_.numbered_sgpr, 0
	.set _ZN7rocprim17ROCPRIM_400000_NS6detail17trampoline_kernelINS0_14default_configENS1_36segmented_radix_sort_config_selectorIilEEZNS1_25segmented_radix_sort_implIS3_Lb1EPKiPiPKlPlN2at6native12_GLOBAL__N_18offset_tEEE10hipError_tPvRmT1_PNSt15iterator_traitsISK_E10value_typeET2_T3_PNSL_ISQ_E10value_typeET4_jRbjT5_SW_jjP12ihipStream_tbEUlT_E2_NS1_11comp_targetILNS1_3genE0ELNS1_11target_archE4294967295ELNS1_3gpuE0ELNS1_3repE0EEENS1_30default_config_static_selectorELNS0_4arch9wavefront6targetE0EEEvSK_.num_named_barrier, 0
	.set _ZN7rocprim17ROCPRIM_400000_NS6detail17trampoline_kernelINS0_14default_configENS1_36segmented_radix_sort_config_selectorIilEEZNS1_25segmented_radix_sort_implIS3_Lb1EPKiPiPKlPlN2at6native12_GLOBAL__N_18offset_tEEE10hipError_tPvRmT1_PNSt15iterator_traitsISK_E10value_typeET2_T3_PNSL_ISQ_E10value_typeET4_jRbjT5_SW_jjP12ihipStream_tbEUlT_E2_NS1_11comp_targetILNS1_3genE0ELNS1_11target_archE4294967295ELNS1_3gpuE0ELNS1_3repE0EEENS1_30default_config_static_selectorELNS0_4arch9wavefront6targetE0EEEvSK_.private_seg_size, 0
	.set _ZN7rocprim17ROCPRIM_400000_NS6detail17trampoline_kernelINS0_14default_configENS1_36segmented_radix_sort_config_selectorIilEEZNS1_25segmented_radix_sort_implIS3_Lb1EPKiPiPKlPlN2at6native12_GLOBAL__N_18offset_tEEE10hipError_tPvRmT1_PNSt15iterator_traitsISK_E10value_typeET2_T3_PNSL_ISQ_E10value_typeET4_jRbjT5_SW_jjP12ihipStream_tbEUlT_E2_NS1_11comp_targetILNS1_3genE0ELNS1_11target_archE4294967295ELNS1_3gpuE0ELNS1_3repE0EEENS1_30default_config_static_selectorELNS0_4arch9wavefront6targetE0EEEvSK_.uses_vcc, 0
	.set _ZN7rocprim17ROCPRIM_400000_NS6detail17trampoline_kernelINS0_14default_configENS1_36segmented_radix_sort_config_selectorIilEEZNS1_25segmented_radix_sort_implIS3_Lb1EPKiPiPKlPlN2at6native12_GLOBAL__N_18offset_tEEE10hipError_tPvRmT1_PNSt15iterator_traitsISK_E10value_typeET2_T3_PNSL_ISQ_E10value_typeET4_jRbjT5_SW_jjP12ihipStream_tbEUlT_E2_NS1_11comp_targetILNS1_3genE0ELNS1_11target_archE4294967295ELNS1_3gpuE0ELNS1_3repE0EEENS1_30default_config_static_selectorELNS0_4arch9wavefront6targetE0EEEvSK_.uses_flat_scratch, 0
	.set _ZN7rocprim17ROCPRIM_400000_NS6detail17trampoline_kernelINS0_14default_configENS1_36segmented_radix_sort_config_selectorIilEEZNS1_25segmented_radix_sort_implIS3_Lb1EPKiPiPKlPlN2at6native12_GLOBAL__N_18offset_tEEE10hipError_tPvRmT1_PNSt15iterator_traitsISK_E10value_typeET2_T3_PNSL_ISQ_E10value_typeET4_jRbjT5_SW_jjP12ihipStream_tbEUlT_E2_NS1_11comp_targetILNS1_3genE0ELNS1_11target_archE4294967295ELNS1_3gpuE0ELNS1_3repE0EEENS1_30default_config_static_selectorELNS0_4arch9wavefront6targetE0EEEvSK_.has_dyn_sized_stack, 0
	.set _ZN7rocprim17ROCPRIM_400000_NS6detail17trampoline_kernelINS0_14default_configENS1_36segmented_radix_sort_config_selectorIilEEZNS1_25segmented_radix_sort_implIS3_Lb1EPKiPiPKlPlN2at6native12_GLOBAL__N_18offset_tEEE10hipError_tPvRmT1_PNSt15iterator_traitsISK_E10value_typeET2_T3_PNSL_ISQ_E10value_typeET4_jRbjT5_SW_jjP12ihipStream_tbEUlT_E2_NS1_11comp_targetILNS1_3genE0ELNS1_11target_archE4294967295ELNS1_3gpuE0ELNS1_3repE0EEENS1_30default_config_static_selectorELNS0_4arch9wavefront6targetE0EEEvSK_.has_recursion, 0
	.set _ZN7rocprim17ROCPRIM_400000_NS6detail17trampoline_kernelINS0_14default_configENS1_36segmented_radix_sort_config_selectorIilEEZNS1_25segmented_radix_sort_implIS3_Lb1EPKiPiPKlPlN2at6native12_GLOBAL__N_18offset_tEEE10hipError_tPvRmT1_PNSt15iterator_traitsISK_E10value_typeET2_T3_PNSL_ISQ_E10value_typeET4_jRbjT5_SW_jjP12ihipStream_tbEUlT_E2_NS1_11comp_targetILNS1_3genE0ELNS1_11target_archE4294967295ELNS1_3gpuE0ELNS1_3repE0EEENS1_30default_config_static_selectorELNS0_4arch9wavefront6targetE0EEEvSK_.has_indirect_call, 0
	.section	.AMDGPU.csdata,"",@progbits
; Kernel info:
; codeLenInByte = 0
; TotalNumSgprs: 0
; NumVgprs: 0
; ScratchSize: 0
; MemoryBound: 0
; FloatMode: 240
; IeeeMode: 1
; LDSByteSize: 0 bytes/workgroup (compile time only)
; SGPRBlocks: 0
; VGPRBlocks: 0
; NumSGPRsForWavesPerEU: 1
; NumVGPRsForWavesPerEU: 1
; Occupancy: 16
; WaveLimiterHint : 0
; COMPUTE_PGM_RSRC2:SCRATCH_EN: 0
; COMPUTE_PGM_RSRC2:USER_SGPR: 2
; COMPUTE_PGM_RSRC2:TRAP_HANDLER: 0
; COMPUTE_PGM_RSRC2:TGID_X_EN: 1
; COMPUTE_PGM_RSRC2:TGID_Y_EN: 0
; COMPUTE_PGM_RSRC2:TGID_Z_EN: 0
; COMPUTE_PGM_RSRC2:TIDIG_COMP_CNT: 0
	.section	.text._ZN7rocprim17ROCPRIM_400000_NS6detail17trampoline_kernelINS0_14default_configENS1_36segmented_radix_sort_config_selectorIilEEZNS1_25segmented_radix_sort_implIS3_Lb1EPKiPiPKlPlN2at6native12_GLOBAL__N_18offset_tEEE10hipError_tPvRmT1_PNSt15iterator_traitsISK_E10value_typeET2_T3_PNSL_ISQ_E10value_typeET4_jRbjT5_SW_jjP12ihipStream_tbEUlT_E2_NS1_11comp_targetILNS1_3genE5ELNS1_11target_archE942ELNS1_3gpuE9ELNS1_3repE0EEENS1_30default_config_static_selectorELNS0_4arch9wavefront6targetE0EEEvSK_,"axG",@progbits,_ZN7rocprim17ROCPRIM_400000_NS6detail17trampoline_kernelINS0_14default_configENS1_36segmented_radix_sort_config_selectorIilEEZNS1_25segmented_radix_sort_implIS3_Lb1EPKiPiPKlPlN2at6native12_GLOBAL__N_18offset_tEEE10hipError_tPvRmT1_PNSt15iterator_traitsISK_E10value_typeET2_T3_PNSL_ISQ_E10value_typeET4_jRbjT5_SW_jjP12ihipStream_tbEUlT_E2_NS1_11comp_targetILNS1_3genE5ELNS1_11target_archE942ELNS1_3gpuE9ELNS1_3repE0EEENS1_30default_config_static_selectorELNS0_4arch9wavefront6targetE0EEEvSK_,comdat
	.globl	_ZN7rocprim17ROCPRIM_400000_NS6detail17trampoline_kernelINS0_14default_configENS1_36segmented_radix_sort_config_selectorIilEEZNS1_25segmented_radix_sort_implIS3_Lb1EPKiPiPKlPlN2at6native12_GLOBAL__N_18offset_tEEE10hipError_tPvRmT1_PNSt15iterator_traitsISK_E10value_typeET2_T3_PNSL_ISQ_E10value_typeET4_jRbjT5_SW_jjP12ihipStream_tbEUlT_E2_NS1_11comp_targetILNS1_3genE5ELNS1_11target_archE942ELNS1_3gpuE9ELNS1_3repE0EEENS1_30default_config_static_selectorELNS0_4arch9wavefront6targetE0EEEvSK_ ; -- Begin function _ZN7rocprim17ROCPRIM_400000_NS6detail17trampoline_kernelINS0_14default_configENS1_36segmented_radix_sort_config_selectorIilEEZNS1_25segmented_radix_sort_implIS3_Lb1EPKiPiPKlPlN2at6native12_GLOBAL__N_18offset_tEEE10hipError_tPvRmT1_PNSt15iterator_traitsISK_E10value_typeET2_T3_PNSL_ISQ_E10value_typeET4_jRbjT5_SW_jjP12ihipStream_tbEUlT_E2_NS1_11comp_targetILNS1_3genE5ELNS1_11target_archE942ELNS1_3gpuE9ELNS1_3repE0EEENS1_30default_config_static_selectorELNS0_4arch9wavefront6targetE0EEEvSK_
	.p2align	8
	.type	_ZN7rocprim17ROCPRIM_400000_NS6detail17trampoline_kernelINS0_14default_configENS1_36segmented_radix_sort_config_selectorIilEEZNS1_25segmented_radix_sort_implIS3_Lb1EPKiPiPKlPlN2at6native12_GLOBAL__N_18offset_tEEE10hipError_tPvRmT1_PNSt15iterator_traitsISK_E10value_typeET2_T3_PNSL_ISQ_E10value_typeET4_jRbjT5_SW_jjP12ihipStream_tbEUlT_E2_NS1_11comp_targetILNS1_3genE5ELNS1_11target_archE942ELNS1_3gpuE9ELNS1_3repE0EEENS1_30default_config_static_selectorELNS0_4arch9wavefront6targetE0EEEvSK_,@function
_ZN7rocprim17ROCPRIM_400000_NS6detail17trampoline_kernelINS0_14default_configENS1_36segmented_radix_sort_config_selectorIilEEZNS1_25segmented_radix_sort_implIS3_Lb1EPKiPiPKlPlN2at6native12_GLOBAL__N_18offset_tEEE10hipError_tPvRmT1_PNSt15iterator_traitsISK_E10value_typeET2_T3_PNSL_ISQ_E10value_typeET4_jRbjT5_SW_jjP12ihipStream_tbEUlT_E2_NS1_11comp_targetILNS1_3genE5ELNS1_11target_archE942ELNS1_3gpuE9ELNS1_3repE0EEENS1_30default_config_static_selectorELNS0_4arch9wavefront6targetE0EEEvSK_: ; @_ZN7rocprim17ROCPRIM_400000_NS6detail17trampoline_kernelINS0_14default_configENS1_36segmented_radix_sort_config_selectorIilEEZNS1_25segmented_radix_sort_implIS3_Lb1EPKiPiPKlPlN2at6native12_GLOBAL__N_18offset_tEEE10hipError_tPvRmT1_PNSt15iterator_traitsISK_E10value_typeET2_T3_PNSL_ISQ_E10value_typeET4_jRbjT5_SW_jjP12ihipStream_tbEUlT_E2_NS1_11comp_targetILNS1_3genE5ELNS1_11target_archE942ELNS1_3gpuE9ELNS1_3repE0EEENS1_30default_config_static_selectorELNS0_4arch9wavefront6targetE0EEEvSK_
; %bb.0:
	.section	.rodata,"a",@progbits
	.p2align	6, 0x0
	.amdhsa_kernel _ZN7rocprim17ROCPRIM_400000_NS6detail17trampoline_kernelINS0_14default_configENS1_36segmented_radix_sort_config_selectorIilEEZNS1_25segmented_radix_sort_implIS3_Lb1EPKiPiPKlPlN2at6native12_GLOBAL__N_18offset_tEEE10hipError_tPvRmT1_PNSt15iterator_traitsISK_E10value_typeET2_T3_PNSL_ISQ_E10value_typeET4_jRbjT5_SW_jjP12ihipStream_tbEUlT_E2_NS1_11comp_targetILNS1_3genE5ELNS1_11target_archE942ELNS1_3gpuE9ELNS1_3repE0EEENS1_30default_config_static_selectorELNS0_4arch9wavefront6targetE0EEEvSK_
		.amdhsa_group_segment_fixed_size 0
		.amdhsa_private_segment_fixed_size 0
		.amdhsa_kernarg_size 80
		.amdhsa_user_sgpr_count 2
		.amdhsa_user_sgpr_dispatch_ptr 0
		.amdhsa_user_sgpr_queue_ptr 0
		.amdhsa_user_sgpr_kernarg_segment_ptr 1
		.amdhsa_user_sgpr_dispatch_id 0
		.amdhsa_user_sgpr_private_segment_size 0
		.amdhsa_wavefront_size32 1
		.amdhsa_uses_dynamic_stack 0
		.amdhsa_enable_private_segment 0
		.amdhsa_system_sgpr_workgroup_id_x 1
		.amdhsa_system_sgpr_workgroup_id_y 0
		.amdhsa_system_sgpr_workgroup_id_z 0
		.amdhsa_system_sgpr_workgroup_info 0
		.amdhsa_system_vgpr_workitem_id 0
		.amdhsa_next_free_vgpr 1
		.amdhsa_next_free_sgpr 1
		.amdhsa_reserve_vcc 0
		.amdhsa_float_round_mode_32 0
		.amdhsa_float_round_mode_16_64 0
		.amdhsa_float_denorm_mode_32 3
		.amdhsa_float_denorm_mode_16_64 3
		.amdhsa_fp16_overflow 0
		.amdhsa_workgroup_processor_mode 1
		.amdhsa_memory_ordered 1
		.amdhsa_forward_progress 1
		.amdhsa_inst_pref_size 0
		.amdhsa_round_robin_scheduling 0
		.amdhsa_exception_fp_ieee_invalid_op 0
		.amdhsa_exception_fp_denorm_src 0
		.amdhsa_exception_fp_ieee_div_zero 0
		.amdhsa_exception_fp_ieee_overflow 0
		.amdhsa_exception_fp_ieee_underflow 0
		.amdhsa_exception_fp_ieee_inexact 0
		.amdhsa_exception_int_div_zero 0
	.end_amdhsa_kernel
	.section	.text._ZN7rocprim17ROCPRIM_400000_NS6detail17trampoline_kernelINS0_14default_configENS1_36segmented_radix_sort_config_selectorIilEEZNS1_25segmented_radix_sort_implIS3_Lb1EPKiPiPKlPlN2at6native12_GLOBAL__N_18offset_tEEE10hipError_tPvRmT1_PNSt15iterator_traitsISK_E10value_typeET2_T3_PNSL_ISQ_E10value_typeET4_jRbjT5_SW_jjP12ihipStream_tbEUlT_E2_NS1_11comp_targetILNS1_3genE5ELNS1_11target_archE942ELNS1_3gpuE9ELNS1_3repE0EEENS1_30default_config_static_selectorELNS0_4arch9wavefront6targetE0EEEvSK_,"axG",@progbits,_ZN7rocprim17ROCPRIM_400000_NS6detail17trampoline_kernelINS0_14default_configENS1_36segmented_radix_sort_config_selectorIilEEZNS1_25segmented_radix_sort_implIS3_Lb1EPKiPiPKlPlN2at6native12_GLOBAL__N_18offset_tEEE10hipError_tPvRmT1_PNSt15iterator_traitsISK_E10value_typeET2_T3_PNSL_ISQ_E10value_typeET4_jRbjT5_SW_jjP12ihipStream_tbEUlT_E2_NS1_11comp_targetILNS1_3genE5ELNS1_11target_archE942ELNS1_3gpuE9ELNS1_3repE0EEENS1_30default_config_static_selectorELNS0_4arch9wavefront6targetE0EEEvSK_,comdat
.Lfunc_end528:
	.size	_ZN7rocprim17ROCPRIM_400000_NS6detail17trampoline_kernelINS0_14default_configENS1_36segmented_radix_sort_config_selectorIilEEZNS1_25segmented_radix_sort_implIS3_Lb1EPKiPiPKlPlN2at6native12_GLOBAL__N_18offset_tEEE10hipError_tPvRmT1_PNSt15iterator_traitsISK_E10value_typeET2_T3_PNSL_ISQ_E10value_typeET4_jRbjT5_SW_jjP12ihipStream_tbEUlT_E2_NS1_11comp_targetILNS1_3genE5ELNS1_11target_archE942ELNS1_3gpuE9ELNS1_3repE0EEENS1_30default_config_static_selectorELNS0_4arch9wavefront6targetE0EEEvSK_, .Lfunc_end528-_ZN7rocprim17ROCPRIM_400000_NS6detail17trampoline_kernelINS0_14default_configENS1_36segmented_radix_sort_config_selectorIilEEZNS1_25segmented_radix_sort_implIS3_Lb1EPKiPiPKlPlN2at6native12_GLOBAL__N_18offset_tEEE10hipError_tPvRmT1_PNSt15iterator_traitsISK_E10value_typeET2_T3_PNSL_ISQ_E10value_typeET4_jRbjT5_SW_jjP12ihipStream_tbEUlT_E2_NS1_11comp_targetILNS1_3genE5ELNS1_11target_archE942ELNS1_3gpuE9ELNS1_3repE0EEENS1_30default_config_static_selectorELNS0_4arch9wavefront6targetE0EEEvSK_
                                        ; -- End function
	.set _ZN7rocprim17ROCPRIM_400000_NS6detail17trampoline_kernelINS0_14default_configENS1_36segmented_radix_sort_config_selectorIilEEZNS1_25segmented_radix_sort_implIS3_Lb1EPKiPiPKlPlN2at6native12_GLOBAL__N_18offset_tEEE10hipError_tPvRmT1_PNSt15iterator_traitsISK_E10value_typeET2_T3_PNSL_ISQ_E10value_typeET4_jRbjT5_SW_jjP12ihipStream_tbEUlT_E2_NS1_11comp_targetILNS1_3genE5ELNS1_11target_archE942ELNS1_3gpuE9ELNS1_3repE0EEENS1_30default_config_static_selectorELNS0_4arch9wavefront6targetE0EEEvSK_.num_vgpr, 0
	.set _ZN7rocprim17ROCPRIM_400000_NS6detail17trampoline_kernelINS0_14default_configENS1_36segmented_radix_sort_config_selectorIilEEZNS1_25segmented_radix_sort_implIS3_Lb1EPKiPiPKlPlN2at6native12_GLOBAL__N_18offset_tEEE10hipError_tPvRmT1_PNSt15iterator_traitsISK_E10value_typeET2_T3_PNSL_ISQ_E10value_typeET4_jRbjT5_SW_jjP12ihipStream_tbEUlT_E2_NS1_11comp_targetILNS1_3genE5ELNS1_11target_archE942ELNS1_3gpuE9ELNS1_3repE0EEENS1_30default_config_static_selectorELNS0_4arch9wavefront6targetE0EEEvSK_.num_agpr, 0
	.set _ZN7rocprim17ROCPRIM_400000_NS6detail17trampoline_kernelINS0_14default_configENS1_36segmented_radix_sort_config_selectorIilEEZNS1_25segmented_radix_sort_implIS3_Lb1EPKiPiPKlPlN2at6native12_GLOBAL__N_18offset_tEEE10hipError_tPvRmT1_PNSt15iterator_traitsISK_E10value_typeET2_T3_PNSL_ISQ_E10value_typeET4_jRbjT5_SW_jjP12ihipStream_tbEUlT_E2_NS1_11comp_targetILNS1_3genE5ELNS1_11target_archE942ELNS1_3gpuE9ELNS1_3repE0EEENS1_30default_config_static_selectorELNS0_4arch9wavefront6targetE0EEEvSK_.numbered_sgpr, 0
	.set _ZN7rocprim17ROCPRIM_400000_NS6detail17trampoline_kernelINS0_14default_configENS1_36segmented_radix_sort_config_selectorIilEEZNS1_25segmented_radix_sort_implIS3_Lb1EPKiPiPKlPlN2at6native12_GLOBAL__N_18offset_tEEE10hipError_tPvRmT1_PNSt15iterator_traitsISK_E10value_typeET2_T3_PNSL_ISQ_E10value_typeET4_jRbjT5_SW_jjP12ihipStream_tbEUlT_E2_NS1_11comp_targetILNS1_3genE5ELNS1_11target_archE942ELNS1_3gpuE9ELNS1_3repE0EEENS1_30default_config_static_selectorELNS0_4arch9wavefront6targetE0EEEvSK_.num_named_barrier, 0
	.set _ZN7rocprim17ROCPRIM_400000_NS6detail17trampoline_kernelINS0_14default_configENS1_36segmented_radix_sort_config_selectorIilEEZNS1_25segmented_radix_sort_implIS3_Lb1EPKiPiPKlPlN2at6native12_GLOBAL__N_18offset_tEEE10hipError_tPvRmT1_PNSt15iterator_traitsISK_E10value_typeET2_T3_PNSL_ISQ_E10value_typeET4_jRbjT5_SW_jjP12ihipStream_tbEUlT_E2_NS1_11comp_targetILNS1_3genE5ELNS1_11target_archE942ELNS1_3gpuE9ELNS1_3repE0EEENS1_30default_config_static_selectorELNS0_4arch9wavefront6targetE0EEEvSK_.private_seg_size, 0
	.set _ZN7rocprim17ROCPRIM_400000_NS6detail17trampoline_kernelINS0_14default_configENS1_36segmented_radix_sort_config_selectorIilEEZNS1_25segmented_radix_sort_implIS3_Lb1EPKiPiPKlPlN2at6native12_GLOBAL__N_18offset_tEEE10hipError_tPvRmT1_PNSt15iterator_traitsISK_E10value_typeET2_T3_PNSL_ISQ_E10value_typeET4_jRbjT5_SW_jjP12ihipStream_tbEUlT_E2_NS1_11comp_targetILNS1_3genE5ELNS1_11target_archE942ELNS1_3gpuE9ELNS1_3repE0EEENS1_30default_config_static_selectorELNS0_4arch9wavefront6targetE0EEEvSK_.uses_vcc, 0
	.set _ZN7rocprim17ROCPRIM_400000_NS6detail17trampoline_kernelINS0_14default_configENS1_36segmented_radix_sort_config_selectorIilEEZNS1_25segmented_radix_sort_implIS3_Lb1EPKiPiPKlPlN2at6native12_GLOBAL__N_18offset_tEEE10hipError_tPvRmT1_PNSt15iterator_traitsISK_E10value_typeET2_T3_PNSL_ISQ_E10value_typeET4_jRbjT5_SW_jjP12ihipStream_tbEUlT_E2_NS1_11comp_targetILNS1_3genE5ELNS1_11target_archE942ELNS1_3gpuE9ELNS1_3repE0EEENS1_30default_config_static_selectorELNS0_4arch9wavefront6targetE0EEEvSK_.uses_flat_scratch, 0
	.set _ZN7rocprim17ROCPRIM_400000_NS6detail17trampoline_kernelINS0_14default_configENS1_36segmented_radix_sort_config_selectorIilEEZNS1_25segmented_radix_sort_implIS3_Lb1EPKiPiPKlPlN2at6native12_GLOBAL__N_18offset_tEEE10hipError_tPvRmT1_PNSt15iterator_traitsISK_E10value_typeET2_T3_PNSL_ISQ_E10value_typeET4_jRbjT5_SW_jjP12ihipStream_tbEUlT_E2_NS1_11comp_targetILNS1_3genE5ELNS1_11target_archE942ELNS1_3gpuE9ELNS1_3repE0EEENS1_30default_config_static_selectorELNS0_4arch9wavefront6targetE0EEEvSK_.has_dyn_sized_stack, 0
	.set _ZN7rocprim17ROCPRIM_400000_NS6detail17trampoline_kernelINS0_14default_configENS1_36segmented_radix_sort_config_selectorIilEEZNS1_25segmented_radix_sort_implIS3_Lb1EPKiPiPKlPlN2at6native12_GLOBAL__N_18offset_tEEE10hipError_tPvRmT1_PNSt15iterator_traitsISK_E10value_typeET2_T3_PNSL_ISQ_E10value_typeET4_jRbjT5_SW_jjP12ihipStream_tbEUlT_E2_NS1_11comp_targetILNS1_3genE5ELNS1_11target_archE942ELNS1_3gpuE9ELNS1_3repE0EEENS1_30default_config_static_selectorELNS0_4arch9wavefront6targetE0EEEvSK_.has_recursion, 0
	.set _ZN7rocprim17ROCPRIM_400000_NS6detail17trampoline_kernelINS0_14default_configENS1_36segmented_radix_sort_config_selectorIilEEZNS1_25segmented_radix_sort_implIS3_Lb1EPKiPiPKlPlN2at6native12_GLOBAL__N_18offset_tEEE10hipError_tPvRmT1_PNSt15iterator_traitsISK_E10value_typeET2_T3_PNSL_ISQ_E10value_typeET4_jRbjT5_SW_jjP12ihipStream_tbEUlT_E2_NS1_11comp_targetILNS1_3genE5ELNS1_11target_archE942ELNS1_3gpuE9ELNS1_3repE0EEENS1_30default_config_static_selectorELNS0_4arch9wavefront6targetE0EEEvSK_.has_indirect_call, 0
	.section	.AMDGPU.csdata,"",@progbits
; Kernel info:
; codeLenInByte = 0
; TotalNumSgprs: 0
; NumVgprs: 0
; ScratchSize: 0
; MemoryBound: 0
; FloatMode: 240
; IeeeMode: 1
; LDSByteSize: 0 bytes/workgroup (compile time only)
; SGPRBlocks: 0
; VGPRBlocks: 0
; NumSGPRsForWavesPerEU: 1
; NumVGPRsForWavesPerEU: 1
; Occupancy: 16
; WaveLimiterHint : 0
; COMPUTE_PGM_RSRC2:SCRATCH_EN: 0
; COMPUTE_PGM_RSRC2:USER_SGPR: 2
; COMPUTE_PGM_RSRC2:TRAP_HANDLER: 0
; COMPUTE_PGM_RSRC2:TGID_X_EN: 1
; COMPUTE_PGM_RSRC2:TGID_Y_EN: 0
; COMPUTE_PGM_RSRC2:TGID_Z_EN: 0
; COMPUTE_PGM_RSRC2:TIDIG_COMP_CNT: 0
	.section	.text._ZN7rocprim17ROCPRIM_400000_NS6detail17trampoline_kernelINS0_14default_configENS1_36segmented_radix_sort_config_selectorIilEEZNS1_25segmented_radix_sort_implIS3_Lb1EPKiPiPKlPlN2at6native12_GLOBAL__N_18offset_tEEE10hipError_tPvRmT1_PNSt15iterator_traitsISK_E10value_typeET2_T3_PNSL_ISQ_E10value_typeET4_jRbjT5_SW_jjP12ihipStream_tbEUlT_E2_NS1_11comp_targetILNS1_3genE4ELNS1_11target_archE910ELNS1_3gpuE8ELNS1_3repE0EEENS1_30default_config_static_selectorELNS0_4arch9wavefront6targetE0EEEvSK_,"axG",@progbits,_ZN7rocprim17ROCPRIM_400000_NS6detail17trampoline_kernelINS0_14default_configENS1_36segmented_radix_sort_config_selectorIilEEZNS1_25segmented_radix_sort_implIS3_Lb1EPKiPiPKlPlN2at6native12_GLOBAL__N_18offset_tEEE10hipError_tPvRmT1_PNSt15iterator_traitsISK_E10value_typeET2_T3_PNSL_ISQ_E10value_typeET4_jRbjT5_SW_jjP12ihipStream_tbEUlT_E2_NS1_11comp_targetILNS1_3genE4ELNS1_11target_archE910ELNS1_3gpuE8ELNS1_3repE0EEENS1_30default_config_static_selectorELNS0_4arch9wavefront6targetE0EEEvSK_,comdat
	.globl	_ZN7rocprim17ROCPRIM_400000_NS6detail17trampoline_kernelINS0_14default_configENS1_36segmented_radix_sort_config_selectorIilEEZNS1_25segmented_radix_sort_implIS3_Lb1EPKiPiPKlPlN2at6native12_GLOBAL__N_18offset_tEEE10hipError_tPvRmT1_PNSt15iterator_traitsISK_E10value_typeET2_T3_PNSL_ISQ_E10value_typeET4_jRbjT5_SW_jjP12ihipStream_tbEUlT_E2_NS1_11comp_targetILNS1_3genE4ELNS1_11target_archE910ELNS1_3gpuE8ELNS1_3repE0EEENS1_30default_config_static_selectorELNS0_4arch9wavefront6targetE0EEEvSK_ ; -- Begin function _ZN7rocprim17ROCPRIM_400000_NS6detail17trampoline_kernelINS0_14default_configENS1_36segmented_radix_sort_config_selectorIilEEZNS1_25segmented_radix_sort_implIS3_Lb1EPKiPiPKlPlN2at6native12_GLOBAL__N_18offset_tEEE10hipError_tPvRmT1_PNSt15iterator_traitsISK_E10value_typeET2_T3_PNSL_ISQ_E10value_typeET4_jRbjT5_SW_jjP12ihipStream_tbEUlT_E2_NS1_11comp_targetILNS1_3genE4ELNS1_11target_archE910ELNS1_3gpuE8ELNS1_3repE0EEENS1_30default_config_static_selectorELNS0_4arch9wavefront6targetE0EEEvSK_
	.p2align	8
	.type	_ZN7rocprim17ROCPRIM_400000_NS6detail17trampoline_kernelINS0_14default_configENS1_36segmented_radix_sort_config_selectorIilEEZNS1_25segmented_radix_sort_implIS3_Lb1EPKiPiPKlPlN2at6native12_GLOBAL__N_18offset_tEEE10hipError_tPvRmT1_PNSt15iterator_traitsISK_E10value_typeET2_T3_PNSL_ISQ_E10value_typeET4_jRbjT5_SW_jjP12ihipStream_tbEUlT_E2_NS1_11comp_targetILNS1_3genE4ELNS1_11target_archE910ELNS1_3gpuE8ELNS1_3repE0EEENS1_30default_config_static_selectorELNS0_4arch9wavefront6targetE0EEEvSK_,@function
_ZN7rocprim17ROCPRIM_400000_NS6detail17trampoline_kernelINS0_14default_configENS1_36segmented_radix_sort_config_selectorIilEEZNS1_25segmented_radix_sort_implIS3_Lb1EPKiPiPKlPlN2at6native12_GLOBAL__N_18offset_tEEE10hipError_tPvRmT1_PNSt15iterator_traitsISK_E10value_typeET2_T3_PNSL_ISQ_E10value_typeET4_jRbjT5_SW_jjP12ihipStream_tbEUlT_E2_NS1_11comp_targetILNS1_3genE4ELNS1_11target_archE910ELNS1_3gpuE8ELNS1_3repE0EEENS1_30default_config_static_selectorELNS0_4arch9wavefront6targetE0EEEvSK_: ; @_ZN7rocprim17ROCPRIM_400000_NS6detail17trampoline_kernelINS0_14default_configENS1_36segmented_radix_sort_config_selectorIilEEZNS1_25segmented_radix_sort_implIS3_Lb1EPKiPiPKlPlN2at6native12_GLOBAL__N_18offset_tEEE10hipError_tPvRmT1_PNSt15iterator_traitsISK_E10value_typeET2_T3_PNSL_ISQ_E10value_typeET4_jRbjT5_SW_jjP12ihipStream_tbEUlT_E2_NS1_11comp_targetILNS1_3genE4ELNS1_11target_archE910ELNS1_3gpuE8ELNS1_3repE0EEENS1_30default_config_static_selectorELNS0_4arch9wavefront6targetE0EEEvSK_
; %bb.0:
	.section	.rodata,"a",@progbits
	.p2align	6, 0x0
	.amdhsa_kernel _ZN7rocprim17ROCPRIM_400000_NS6detail17trampoline_kernelINS0_14default_configENS1_36segmented_radix_sort_config_selectorIilEEZNS1_25segmented_radix_sort_implIS3_Lb1EPKiPiPKlPlN2at6native12_GLOBAL__N_18offset_tEEE10hipError_tPvRmT1_PNSt15iterator_traitsISK_E10value_typeET2_T3_PNSL_ISQ_E10value_typeET4_jRbjT5_SW_jjP12ihipStream_tbEUlT_E2_NS1_11comp_targetILNS1_3genE4ELNS1_11target_archE910ELNS1_3gpuE8ELNS1_3repE0EEENS1_30default_config_static_selectorELNS0_4arch9wavefront6targetE0EEEvSK_
		.amdhsa_group_segment_fixed_size 0
		.amdhsa_private_segment_fixed_size 0
		.amdhsa_kernarg_size 80
		.amdhsa_user_sgpr_count 2
		.amdhsa_user_sgpr_dispatch_ptr 0
		.amdhsa_user_sgpr_queue_ptr 0
		.amdhsa_user_sgpr_kernarg_segment_ptr 1
		.amdhsa_user_sgpr_dispatch_id 0
		.amdhsa_user_sgpr_private_segment_size 0
		.amdhsa_wavefront_size32 1
		.amdhsa_uses_dynamic_stack 0
		.amdhsa_enable_private_segment 0
		.amdhsa_system_sgpr_workgroup_id_x 1
		.amdhsa_system_sgpr_workgroup_id_y 0
		.amdhsa_system_sgpr_workgroup_id_z 0
		.amdhsa_system_sgpr_workgroup_info 0
		.amdhsa_system_vgpr_workitem_id 0
		.amdhsa_next_free_vgpr 1
		.amdhsa_next_free_sgpr 1
		.amdhsa_reserve_vcc 0
		.amdhsa_float_round_mode_32 0
		.amdhsa_float_round_mode_16_64 0
		.amdhsa_float_denorm_mode_32 3
		.amdhsa_float_denorm_mode_16_64 3
		.amdhsa_fp16_overflow 0
		.amdhsa_workgroup_processor_mode 1
		.amdhsa_memory_ordered 1
		.amdhsa_forward_progress 1
		.amdhsa_inst_pref_size 0
		.amdhsa_round_robin_scheduling 0
		.amdhsa_exception_fp_ieee_invalid_op 0
		.amdhsa_exception_fp_denorm_src 0
		.amdhsa_exception_fp_ieee_div_zero 0
		.amdhsa_exception_fp_ieee_overflow 0
		.amdhsa_exception_fp_ieee_underflow 0
		.amdhsa_exception_fp_ieee_inexact 0
		.amdhsa_exception_int_div_zero 0
	.end_amdhsa_kernel
	.section	.text._ZN7rocprim17ROCPRIM_400000_NS6detail17trampoline_kernelINS0_14default_configENS1_36segmented_radix_sort_config_selectorIilEEZNS1_25segmented_radix_sort_implIS3_Lb1EPKiPiPKlPlN2at6native12_GLOBAL__N_18offset_tEEE10hipError_tPvRmT1_PNSt15iterator_traitsISK_E10value_typeET2_T3_PNSL_ISQ_E10value_typeET4_jRbjT5_SW_jjP12ihipStream_tbEUlT_E2_NS1_11comp_targetILNS1_3genE4ELNS1_11target_archE910ELNS1_3gpuE8ELNS1_3repE0EEENS1_30default_config_static_selectorELNS0_4arch9wavefront6targetE0EEEvSK_,"axG",@progbits,_ZN7rocprim17ROCPRIM_400000_NS6detail17trampoline_kernelINS0_14default_configENS1_36segmented_radix_sort_config_selectorIilEEZNS1_25segmented_radix_sort_implIS3_Lb1EPKiPiPKlPlN2at6native12_GLOBAL__N_18offset_tEEE10hipError_tPvRmT1_PNSt15iterator_traitsISK_E10value_typeET2_T3_PNSL_ISQ_E10value_typeET4_jRbjT5_SW_jjP12ihipStream_tbEUlT_E2_NS1_11comp_targetILNS1_3genE4ELNS1_11target_archE910ELNS1_3gpuE8ELNS1_3repE0EEENS1_30default_config_static_selectorELNS0_4arch9wavefront6targetE0EEEvSK_,comdat
.Lfunc_end529:
	.size	_ZN7rocprim17ROCPRIM_400000_NS6detail17trampoline_kernelINS0_14default_configENS1_36segmented_radix_sort_config_selectorIilEEZNS1_25segmented_radix_sort_implIS3_Lb1EPKiPiPKlPlN2at6native12_GLOBAL__N_18offset_tEEE10hipError_tPvRmT1_PNSt15iterator_traitsISK_E10value_typeET2_T3_PNSL_ISQ_E10value_typeET4_jRbjT5_SW_jjP12ihipStream_tbEUlT_E2_NS1_11comp_targetILNS1_3genE4ELNS1_11target_archE910ELNS1_3gpuE8ELNS1_3repE0EEENS1_30default_config_static_selectorELNS0_4arch9wavefront6targetE0EEEvSK_, .Lfunc_end529-_ZN7rocprim17ROCPRIM_400000_NS6detail17trampoline_kernelINS0_14default_configENS1_36segmented_radix_sort_config_selectorIilEEZNS1_25segmented_radix_sort_implIS3_Lb1EPKiPiPKlPlN2at6native12_GLOBAL__N_18offset_tEEE10hipError_tPvRmT1_PNSt15iterator_traitsISK_E10value_typeET2_T3_PNSL_ISQ_E10value_typeET4_jRbjT5_SW_jjP12ihipStream_tbEUlT_E2_NS1_11comp_targetILNS1_3genE4ELNS1_11target_archE910ELNS1_3gpuE8ELNS1_3repE0EEENS1_30default_config_static_selectorELNS0_4arch9wavefront6targetE0EEEvSK_
                                        ; -- End function
	.set _ZN7rocprim17ROCPRIM_400000_NS6detail17trampoline_kernelINS0_14default_configENS1_36segmented_radix_sort_config_selectorIilEEZNS1_25segmented_radix_sort_implIS3_Lb1EPKiPiPKlPlN2at6native12_GLOBAL__N_18offset_tEEE10hipError_tPvRmT1_PNSt15iterator_traitsISK_E10value_typeET2_T3_PNSL_ISQ_E10value_typeET4_jRbjT5_SW_jjP12ihipStream_tbEUlT_E2_NS1_11comp_targetILNS1_3genE4ELNS1_11target_archE910ELNS1_3gpuE8ELNS1_3repE0EEENS1_30default_config_static_selectorELNS0_4arch9wavefront6targetE0EEEvSK_.num_vgpr, 0
	.set _ZN7rocprim17ROCPRIM_400000_NS6detail17trampoline_kernelINS0_14default_configENS1_36segmented_radix_sort_config_selectorIilEEZNS1_25segmented_radix_sort_implIS3_Lb1EPKiPiPKlPlN2at6native12_GLOBAL__N_18offset_tEEE10hipError_tPvRmT1_PNSt15iterator_traitsISK_E10value_typeET2_T3_PNSL_ISQ_E10value_typeET4_jRbjT5_SW_jjP12ihipStream_tbEUlT_E2_NS1_11comp_targetILNS1_3genE4ELNS1_11target_archE910ELNS1_3gpuE8ELNS1_3repE0EEENS1_30default_config_static_selectorELNS0_4arch9wavefront6targetE0EEEvSK_.num_agpr, 0
	.set _ZN7rocprim17ROCPRIM_400000_NS6detail17trampoline_kernelINS0_14default_configENS1_36segmented_radix_sort_config_selectorIilEEZNS1_25segmented_radix_sort_implIS3_Lb1EPKiPiPKlPlN2at6native12_GLOBAL__N_18offset_tEEE10hipError_tPvRmT1_PNSt15iterator_traitsISK_E10value_typeET2_T3_PNSL_ISQ_E10value_typeET4_jRbjT5_SW_jjP12ihipStream_tbEUlT_E2_NS1_11comp_targetILNS1_3genE4ELNS1_11target_archE910ELNS1_3gpuE8ELNS1_3repE0EEENS1_30default_config_static_selectorELNS0_4arch9wavefront6targetE0EEEvSK_.numbered_sgpr, 0
	.set _ZN7rocprim17ROCPRIM_400000_NS6detail17trampoline_kernelINS0_14default_configENS1_36segmented_radix_sort_config_selectorIilEEZNS1_25segmented_radix_sort_implIS3_Lb1EPKiPiPKlPlN2at6native12_GLOBAL__N_18offset_tEEE10hipError_tPvRmT1_PNSt15iterator_traitsISK_E10value_typeET2_T3_PNSL_ISQ_E10value_typeET4_jRbjT5_SW_jjP12ihipStream_tbEUlT_E2_NS1_11comp_targetILNS1_3genE4ELNS1_11target_archE910ELNS1_3gpuE8ELNS1_3repE0EEENS1_30default_config_static_selectorELNS0_4arch9wavefront6targetE0EEEvSK_.num_named_barrier, 0
	.set _ZN7rocprim17ROCPRIM_400000_NS6detail17trampoline_kernelINS0_14default_configENS1_36segmented_radix_sort_config_selectorIilEEZNS1_25segmented_radix_sort_implIS3_Lb1EPKiPiPKlPlN2at6native12_GLOBAL__N_18offset_tEEE10hipError_tPvRmT1_PNSt15iterator_traitsISK_E10value_typeET2_T3_PNSL_ISQ_E10value_typeET4_jRbjT5_SW_jjP12ihipStream_tbEUlT_E2_NS1_11comp_targetILNS1_3genE4ELNS1_11target_archE910ELNS1_3gpuE8ELNS1_3repE0EEENS1_30default_config_static_selectorELNS0_4arch9wavefront6targetE0EEEvSK_.private_seg_size, 0
	.set _ZN7rocprim17ROCPRIM_400000_NS6detail17trampoline_kernelINS0_14default_configENS1_36segmented_radix_sort_config_selectorIilEEZNS1_25segmented_radix_sort_implIS3_Lb1EPKiPiPKlPlN2at6native12_GLOBAL__N_18offset_tEEE10hipError_tPvRmT1_PNSt15iterator_traitsISK_E10value_typeET2_T3_PNSL_ISQ_E10value_typeET4_jRbjT5_SW_jjP12ihipStream_tbEUlT_E2_NS1_11comp_targetILNS1_3genE4ELNS1_11target_archE910ELNS1_3gpuE8ELNS1_3repE0EEENS1_30default_config_static_selectorELNS0_4arch9wavefront6targetE0EEEvSK_.uses_vcc, 0
	.set _ZN7rocprim17ROCPRIM_400000_NS6detail17trampoline_kernelINS0_14default_configENS1_36segmented_radix_sort_config_selectorIilEEZNS1_25segmented_radix_sort_implIS3_Lb1EPKiPiPKlPlN2at6native12_GLOBAL__N_18offset_tEEE10hipError_tPvRmT1_PNSt15iterator_traitsISK_E10value_typeET2_T3_PNSL_ISQ_E10value_typeET4_jRbjT5_SW_jjP12ihipStream_tbEUlT_E2_NS1_11comp_targetILNS1_3genE4ELNS1_11target_archE910ELNS1_3gpuE8ELNS1_3repE0EEENS1_30default_config_static_selectorELNS0_4arch9wavefront6targetE0EEEvSK_.uses_flat_scratch, 0
	.set _ZN7rocprim17ROCPRIM_400000_NS6detail17trampoline_kernelINS0_14default_configENS1_36segmented_radix_sort_config_selectorIilEEZNS1_25segmented_radix_sort_implIS3_Lb1EPKiPiPKlPlN2at6native12_GLOBAL__N_18offset_tEEE10hipError_tPvRmT1_PNSt15iterator_traitsISK_E10value_typeET2_T3_PNSL_ISQ_E10value_typeET4_jRbjT5_SW_jjP12ihipStream_tbEUlT_E2_NS1_11comp_targetILNS1_3genE4ELNS1_11target_archE910ELNS1_3gpuE8ELNS1_3repE0EEENS1_30default_config_static_selectorELNS0_4arch9wavefront6targetE0EEEvSK_.has_dyn_sized_stack, 0
	.set _ZN7rocprim17ROCPRIM_400000_NS6detail17trampoline_kernelINS0_14default_configENS1_36segmented_radix_sort_config_selectorIilEEZNS1_25segmented_radix_sort_implIS3_Lb1EPKiPiPKlPlN2at6native12_GLOBAL__N_18offset_tEEE10hipError_tPvRmT1_PNSt15iterator_traitsISK_E10value_typeET2_T3_PNSL_ISQ_E10value_typeET4_jRbjT5_SW_jjP12ihipStream_tbEUlT_E2_NS1_11comp_targetILNS1_3genE4ELNS1_11target_archE910ELNS1_3gpuE8ELNS1_3repE0EEENS1_30default_config_static_selectorELNS0_4arch9wavefront6targetE0EEEvSK_.has_recursion, 0
	.set _ZN7rocprim17ROCPRIM_400000_NS6detail17trampoline_kernelINS0_14default_configENS1_36segmented_radix_sort_config_selectorIilEEZNS1_25segmented_radix_sort_implIS3_Lb1EPKiPiPKlPlN2at6native12_GLOBAL__N_18offset_tEEE10hipError_tPvRmT1_PNSt15iterator_traitsISK_E10value_typeET2_T3_PNSL_ISQ_E10value_typeET4_jRbjT5_SW_jjP12ihipStream_tbEUlT_E2_NS1_11comp_targetILNS1_3genE4ELNS1_11target_archE910ELNS1_3gpuE8ELNS1_3repE0EEENS1_30default_config_static_selectorELNS0_4arch9wavefront6targetE0EEEvSK_.has_indirect_call, 0
	.section	.AMDGPU.csdata,"",@progbits
; Kernel info:
; codeLenInByte = 0
; TotalNumSgprs: 0
; NumVgprs: 0
; ScratchSize: 0
; MemoryBound: 0
; FloatMode: 240
; IeeeMode: 1
; LDSByteSize: 0 bytes/workgroup (compile time only)
; SGPRBlocks: 0
; VGPRBlocks: 0
; NumSGPRsForWavesPerEU: 1
; NumVGPRsForWavesPerEU: 1
; Occupancy: 16
; WaveLimiterHint : 0
; COMPUTE_PGM_RSRC2:SCRATCH_EN: 0
; COMPUTE_PGM_RSRC2:USER_SGPR: 2
; COMPUTE_PGM_RSRC2:TRAP_HANDLER: 0
; COMPUTE_PGM_RSRC2:TGID_X_EN: 1
; COMPUTE_PGM_RSRC2:TGID_Y_EN: 0
; COMPUTE_PGM_RSRC2:TGID_Z_EN: 0
; COMPUTE_PGM_RSRC2:TIDIG_COMP_CNT: 0
	.section	.text._ZN7rocprim17ROCPRIM_400000_NS6detail17trampoline_kernelINS0_14default_configENS1_36segmented_radix_sort_config_selectorIilEEZNS1_25segmented_radix_sort_implIS3_Lb1EPKiPiPKlPlN2at6native12_GLOBAL__N_18offset_tEEE10hipError_tPvRmT1_PNSt15iterator_traitsISK_E10value_typeET2_T3_PNSL_ISQ_E10value_typeET4_jRbjT5_SW_jjP12ihipStream_tbEUlT_E2_NS1_11comp_targetILNS1_3genE3ELNS1_11target_archE908ELNS1_3gpuE7ELNS1_3repE0EEENS1_30default_config_static_selectorELNS0_4arch9wavefront6targetE0EEEvSK_,"axG",@progbits,_ZN7rocprim17ROCPRIM_400000_NS6detail17trampoline_kernelINS0_14default_configENS1_36segmented_radix_sort_config_selectorIilEEZNS1_25segmented_radix_sort_implIS3_Lb1EPKiPiPKlPlN2at6native12_GLOBAL__N_18offset_tEEE10hipError_tPvRmT1_PNSt15iterator_traitsISK_E10value_typeET2_T3_PNSL_ISQ_E10value_typeET4_jRbjT5_SW_jjP12ihipStream_tbEUlT_E2_NS1_11comp_targetILNS1_3genE3ELNS1_11target_archE908ELNS1_3gpuE7ELNS1_3repE0EEENS1_30default_config_static_selectorELNS0_4arch9wavefront6targetE0EEEvSK_,comdat
	.globl	_ZN7rocprim17ROCPRIM_400000_NS6detail17trampoline_kernelINS0_14default_configENS1_36segmented_radix_sort_config_selectorIilEEZNS1_25segmented_radix_sort_implIS3_Lb1EPKiPiPKlPlN2at6native12_GLOBAL__N_18offset_tEEE10hipError_tPvRmT1_PNSt15iterator_traitsISK_E10value_typeET2_T3_PNSL_ISQ_E10value_typeET4_jRbjT5_SW_jjP12ihipStream_tbEUlT_E2_NS1_11comp_targetILNS1_3genE3ELNS1_11target_archE908ELNS1_3gpuE7ELNS1_3repE0EEENS1_30default_config_static_selectorELNS0_4arch9wavefront6targetE0EEEvSK_ ; -- Begin function _ZN7rocprim17ROCPRIM_400000_NS6detail17trampoline_kernelINS0_14default_configENS1_36segmented_radix_sort_config_selectorIilEEZNS1_25segmented_radix_sort_implIS3_Lb1EPKiPiPKlPlN2at6native12_GLOBAL__N_18offset_tEEE10hipError_tPvRmT1_PNSt15iterator_traitsISK_E10value_typeET2_T3_PNSL_ISQ_E10value_typeET4_jRbjT5_SW_jjP12ihipStream_tbEUlT_E2_NS1_11comp_targetILNS1_3genE3ELNS1_11target_archE908ELNS1_3gpuE7ELNS1_3repE0EEENS1_30default_config_static_selectorELNS0_4arch9wavefront6targetE0EEEvSK_
	.p2align	8
	.type	_ZN7rocprim17ROCPRIM_400000_NS6detail17trampoline_kernelINS0_14default_configENS1_36segmented_radix_sort_config_selectorIilEEZNS1_25segmented_radix_sort_implIS3_Lb1EPKiPiPKlPlN2at6native12_GLOBAL__N_18offset_tEEE10hipError_tPvRmT1_PNSt15iterator_traitsISK_E10value_typeET2_T3_PNSL_ISQ_E10value_typeET4_jRbjT5_SW_jjP12ihipStream_tbEUlT_E2_NS1_11comp_targetILNS1_3genE3ELNS1_11target_archE908ELNS1_3gpuE7ELNS1_3repE0EEENS1_30default_config_static_selectorELNS0_4arch9wavefront6targetE0EEEvSK_,@function
_ZN7rocprim17ROCPRIM_400000_NS6detail17trampoline_kernelINS0_14default_configENS1_36segmented_radix_sort_config_selectorIilEEZNS1_25segmented_radix_sort_implIS3_Lb1EPKiPiPKlPlN2at6native12_GLOBAL__N_18offset_tEEE10hipError_tPvRmT1_PNSt15iterator_traitsISK_E10value_typeET2_T3_PNSL_ISQ_E10value_typeET4_jRbjT5_SW_jjP12ihipStream_tbEUlT_E2_NS1_11comp_targetILNS1_3genE3ELNS1_11target_archE908ELNS1_3gpuE7ELNS1_3repE0EEENS1_30default_config_static_selectorELNS0_4arch9wavefront6targetE0EEEvSK_: ; @_ZN7rocprim17ROCPRIM_400000_NS6detail17trampoline_kernelINS0_14default_configENS1_36segmented_radix_sort_config_selectorIilEEZNS1_25segmented_radix_sort_implIS3_Lb1EPKiPiPKlPlN2at6native12_GLOBAL__N_18offset_tEEE10hipError_tPvRmT1_PNSt15iterator_traitsISK_E10value_typeET2_T3_PNSL_ISQ_E10value_typeET4_jRbjT5_SW_jjP12ihipStream_tbEUlT_E2_NS1_11comp_targetILNS1_3genE3ELNS1_11target_archE908ELNS1_3gpuE7ELNS1_3repE0EEENS1_30default_config_static_selectorELNS0_4arch9wavefront6targetE0EEEvSK_
; %bb.0:
	.section	.rodata,"a",@progbits
	.p2align	6, 0x0
	.amdhsa_kernel _ZN7rocprim17ROCPRIM_400000_NS6detail17trampoline_kernelINS0_14default_configENS1_36segmented_radix_sort_config_selectorIilEEZNS1_25segmented_radix_sort_implIS3_Lb1EPKiPiPKlPlN2at6native12_GLOBAL__N_18offset_tEEE10hipError_tPvRmT1_PNSt15iterator_traitsISK_E10value_typeET2_T3_PNSL_ISQ_E10value_typeET4_jRbjT5_SW_jjP12ihipStream_tbEUlT_E2_NS1_11comp_targetILNS1_3genE3ELNS1_11target_archE908ELNS1_3gpuE7ELNS1_3repE0EEENS1_30default_config_static_selectorELNS0_4arch9wavefront6targetE0EEEvSK_
		.amdhsa_group_segment_fixed_size 0
		.amdhsa_private_segment_fixed_size 0
		.amdhsa_kernarg_size 80
		.amdhsa_user_sgpr_count 2
		.amdhsa_user_sgpr_dispatch_ptr 0
		.amdhsa_user_sgpr_queue_ptr 0
		.amdhsa_user_sgpr_kernarg_segment_ptr 1
		.amdhsa_user_sgpr_dispatch_id 0
		.amdhsa_user_sgpr_private_segment_size 0
		.amdhsa_wavefront_size32 1
		.amdhsa_uses_dynamic_stack 0
		.amdhsa_enable_private_segment 0
		.amdhsa_system_sgpr_workgroup_id_x 1
		.amdhsa_system_sgpr_workgroup_id_y 0
		.amdhsa_system_sgpr_workgroup_id_z 0
		.amdhsa_system_sgpr_workgroup_info 0
		.amdhsa_system_vgpr_workitem_id 0
		.amdhsa_next_free_vgpr 1
		.amdhsa_next_free_sgpr 1
		.amdhsa_reserve_vcc 0
		.amdhsa_float_round_mode_32 0
		.amdhsa_float_round_mode_16_64 0
		.amdhsa_float_denorm_mode_32 3
		.amdhsa_float_denorm_mode_16_64 3
		.amdhsa_fp16_overflow 0
		.amdhsa_workgroup_processor_mode 1
		.amdhsa_memory_ordered 1
		.amdhsa_forward_progress 1
		.amdhsa_inst_pref_size 0
		.amdhsa_round_robin_scheduling 0
		.amdhsa_exception_fp_ieee_invalid_op 0
		.amdhsa_exception_fp_denorm_src 0
		.amdhsa_exception_fp_ieee_div_zero 0
		.amdhsa_exception_fp_ieee_overflow 0
		.amdhsa_exception_fp_ieee_underflow 0
		.amdhsa_exception_fp_ieee_inexact 0
		.amdhsa_exception_int_div_zero 0
	.end_amdhsa_kernel
	.section	.text._ZN7rocprim17ROCPRIM_400000_NS6detail17trampoline_kernelINS0_14default_configENS1_36segmented_radix_sort_config_selectorIilEEZNS1_25segmented_radix_sort_implIS3_Lb1EPKiPiPKlPlN2at6native12_GLOBAL__N_18offset_tEEE10hipError_tPvRmT1_PNSt15iterator_traitsISK_E10value_typeET2_T3_PNSL_ISQ_E10value_typeET4_jRbjT5_SW_jjP12ihipStream_tbEUlT_E2_NS1_11comp_targetILNS1_3genE3ELNS1_11target_archE908ELNS1_3gpuE7ELNS1_3repE0EEENS1_30default_config_static_selectorELNS0_4arch9wavefront6targetE0EEEvSK_,"axG",@progbits,_ZN7rocprim17ROCPRIM_400000_NS6detail17trampoline_kernelINS0_14default_configENS1_36segmented_radix_sort_config_selectorIilEEZNS1_25segmented_radix_sort_implIS3_Lb1EPKiPiPKlPlN2at6native12_GLOBAL__N_18offset_tEEE10hipError_tPvRmT1_PNSt15iterator_traitsISK_E10value_typeET2_T3_PNSL_ISQ_E10value_typeET4_jRbjT5_SW_jjP12ihipStream_tbEUlT_E2_NS1_11comp_targetILNS1_3genE3ELNS1_11target_archE908ELNS1_3gpuE7ELNS1_3repE0EEENS1_30default_config_static_selectorELNS0_4arch9wavefront6targetE0EEEvSK_,comdat
.Lfunc_end530:
	.size	_ZN7rocprim17ROCPRIM_400000_NS6detail17trampoline_kernelINS0_14default_configENS1_36segmented_radix_sort_config_selectorIilEEZNS1_25segmented_radix_sort_implIS3_Lb1EPKiPiPKlPlN2at6native12_GLOBAL__N_18offset_tEEE10hipError_tPvRmT1_PNSt15iterator_traitsISK_E10value_typeET2_T3_PNSL_ISQ_E10value_typeET4_jRbjT5_SW_jjP12ihipStream_tbEUlT_E2_NS1_11comp_targetILNS1_3genE3ELNS1_11target_archE908ELNS1_3gpuE7ELNS1_3repE0EEENS1_30default_config_static_selectorELNS0_4arch9wavefront6targetE0EEEvSK_, .Lfunc_end530-_ZN7rocprim17ROCPRIM_400000_NS6detail17trampoline_kernelINS0_14default_configENS1_36segmented_radix_sort_config_selectorIilEEZNS1_25segmented_radix_sort_implIS3_Lb1EPKiPiPKlPlN2at6native12_GLOBAL__N_18offset_tEEE10hipError_tPvRmT1_PNSt15iterator_traitsISK_E10value_typeET2_T3_PNSL_ISQ_E10value_typeET4_jRbjT5_SW_jjP12ihipStream_tbEUlT_E2_NS1_11comp_targetILNS1_3genE3ELNS1_11target_archE908ELNS1_3gpuE7ELNS1_3repE0EEENS1_30default_config_static_selectorELNS0_4arch9wavefront6targetE0EEEvSK_
                                        ; -- End function
	.set _ZN7rocprim17ROCPRIM_400000_NS6detail17trampoline_kernelINS0_14default_configENS1_36segmented_radix_sort_config_selectorIilEEZNS1_25segmented_radix_sort_implIS3_Lb1EPKiPiPKlPlN2at6native12_GLOBAL__N_18offset_tEEE10hipError_tPvRmT1_PNSt15iterator_traitsISK_E10value_typeET2_T3_PNSL_ISQ_E10value_typeET4_jRbjT5_SW_jjP12ihipStream_tbEUlT_E2_NS1_11comp_targetILNS1_3genE3ELNS1_11target_archE908ELNS1_3gpuE7ELNS1_3repE0EEENS1_30default_config_static_selectorELNS0_4arch9wavefront6targetE0EEEvSK_.num_vgpr, 0
	.set _ZN7rocprim17ROCPRIM_400000_NS6detail17trampoline_kernelINS0_14default_configENS1_36segmented_radix_sort_config_selectorIilEEZNS1_25segmented_radix_sort_implIS3_Lb1EPKiPiPKlPlN2at6native12_GLOBAL__N_18offset_tEEE10hipError_tPvRmT1_PNSt15iterator_traitsISK_E10value_typeET2_T3_PNSL_ISQ_E10value_typeET4_jRbjT5_SW_jjP12ihipStream_tbEUlT_E2_NS1_11comp_targetILNS1_3genE3ELNS1_11target_archE908ELNS1_3gpuE7ELNS1_3repE0EEENS1_30default_config_static_selectorELNS0_4arch9wavefront6targetE0EEEvSK_.num_agpr, 0
	.set _ZN7rocprim17ROCPRIM_400000_NS6detail17trampoline_kernelINS0_14default_configENS1_36segmented_radix_sort_config_selectorIilEEZNS1_25segmented_radix_sort_implIS3_Lb1EPKiPiPKlPlN2at6native12_GLOBAL__N_18offset_tEEE10hipError_tPvRmT1_PNSt15iterator_traitsISK_E10value_typeET2_T3_PNSL_ISQ_E10value_typeET4_jRbjT5_SW_jjP12ihipStream_tbEUlT_E2_NS1_11comp_targetILNS1_3genE3ELNS1_11target_archE908ELNS1_3gpuE7ELNS1_3repE0EEENS1_30default_config_static_selectorELNS0_4arch9wavefront6targetE0EEEvSK_.numbered_sgpr, 0
	.set _ZN7rocprim17ROCPRIM_400000_NS6detail17trampoline_kernelINS0_14default_configENS1_36segmented_radix_sort_config_selectorIilEEZNS1_25segmented_radix_sort_implIS3_Lb1EPKiPiPKlPlN2at6native12_GLOBAL__N_18offset_tEEE10hipError_tPvRmT1_PNSt15iterator_traitsISK_E10value_typeET2_T3_PNSL_ISQ_E10value_typeET4_jRbjT5_SW_jjP12ihipStream_tbEUlT_E2_NS1_11comp_targetILNS1_3genE3ELNS1_11target_archE908ELNS1_3gpuE7ELNS1_3repE0EEENS1_30default_config_static_selectorELNS0_4arch9wavefront6targetE0EEEvSK_.num_named_barrier, 0
	.set _ZN7rocprim17ROCPRIM_400000_NS6detail17trampoline_kernelINS0_14default_configENS1_36segmented_radix_sort_config_selectorIilEEZNS1_25segmented_radix_sort_implIS3_Lb1EPKiPiPKlPlN2at6native12_GLOBAL__N_18offset_tEEE10hipError_tPvRmT1_PNSt15iterator_traitsISK_E10value_typeET2_T3_PNSL_ISQ_E10value_typeET4_jRbjT5_SW_jjP12ihipStream_tbEUlT_E2_NS1_11comp_targetILNS1_3genE3ELNS1_11target_archE908ELNS1_3gpuE7ELNS1_3repE0EEENS1_30default_config_static_selectorELNS0_4arch9wavefront6targetE0EEEvSK_.private_seg_size, 0
	.set _ZN7rocprim17ROCPRIM_400000_NS6detail17trampoline_kernelINS0_14default_configENS1_36segmented_radix_sort_config_selectorIilEEZNS1_25segmented_radix_sort_implIS3_Lb1EPKiPiPKlPlN2at6native12_GLOBAL__N_18offset_tEEE10hipError_tPvRmT1_PNSt15iterator_traitsISK_E10value_typeET2_T3_PNSL_ISQ_E10value_typeET4_jRbjT5_SW_jjP12ihipStream_tbEUlT_E2_NS1_11comp_targetILNS1_3genE3ELNS1_11target_archE908ELNS1_3gpuE7ELNS1_3repE0EEENS1_30default_config_static_selectorELNS0_4arch9wavefront6targetE0EEEvSK_.uses_vcc, 0
	.set _ZN7rocprim17ROCPRIM_400000_NS6detail17trampoline_kernelINS0_14default_configENS1_36segmented_radix_sort_config_selectorIilEEZNS1_25segmented_radix_sort_implIS3_Lb1EPKiPiPKlPlN2at6native12_GLOBAL__N_18offset_tEEE10hipError_tPvRmT1_PNSt15iterator_traitsISK_E10value_typeET2_T3_PNSL_ISQ_E10value_typeET4_jRbjT5_SW_jjP12ihipStream_tbEUlT_E2_NS1_11comp_targetILNS1_3genE3ELNS1_11target_archE908ELNS1_3gpuE7ELNS1_3repE0EEENS1_30default_config_static_selectorELNS0_4arch9wavefront6targetE0EEEvSK_.uses_flat_scratch, 0
	.set _ZN7rocprim17ROCPRIM_400000_NS6detail17trampoline_kernelINS0_14default_configENS1_36segmented_radix_sort_config_selectorIilEEZNS1_25segmented_radix_sort_implIS3_Lb1EPKiPiPKlPlN2at6native12_GLOBAL__N_18offset_tEEE10hipError_tPvRmT1_PNSt15iterator_traitsISK_E10value_typeET2_T3_PNSL_ISQ_E10value_typeET4_jRbjT5_SW_jjP12ihipStream_tbEUlT_E2_NS1_11comp_targetILNS1_3genE3ELNS1_11target_archE908ELNS1_3gpuE7ELNS1_3repE0EEENS1_30default_config_static_selectorELNS0_4arch9wavefront6targetE0EEEvSK_.has_dyn_sized_stack, 0
	.set _ZN7rocprim17ROCPRIM_400000_NS6detail17trampoline_kernelINS0_14default_configENS1_36segmented_radix_sort_config_selectorIilEEZNS1_25segmented_radix_sort_implIS3_Lb1EPKiPiPKlPlN2at6native12_GLOBAL__N_18offset_tEEE10hipError_tPvRmT1_PNSt15iterator_traitsISK_E10value_typeET2_T3_PNSL_ISQ_E10value_typeET4_jRbjT5_SW_jjP12ihipStream_tbEUlT_E2_NS1_11comp_targetILNS1_3genE3ELNS1_11target_archE908ELNS1_3gpuE7ELNS1_3repE0EEENS1_30default_config_static_selectorELNS0_4arch9wavefront6targetE0EEEvSK_.has_recursion, 0
	.set _ZN7rocprim17ROCPRIM_400000_NS6detail17trampoline_kernelINS0_14default_configENS1_36segmented_radix_sort_config_selectorIilEEZNS1_25segmented_radix_sort_implIS3_Lb1EPKiPiPKlPlN2at6native12_GLOBAL__N_18offset_tEEE10hipError_tPvRmT1_PNSt15iterator_traitsISK_E10value_typeET2_T3_PNSL_ISQ_E10value_typeET4_jRbjT5_SW_jjP12ihipStream_tbEUlT_E2_NS1_11comp_targetILNS1_3genE3ELNS1_11target_archE908ELNS1_3gpuE7ELNS1_3repE0EEENS1_30default_config_static_selectorELNS0_4arch9wavefront6targetE0EEEvSK_.has_indirect_call, 0
	.section	.AMDGPU.csdata,"",@progbits
; Kernel info:
; codeLenInByte = 0
; TotalNumSgprs: 0
; NumVgprs: 0
; ScratchSize: 0
; MemoryBound: 0
; FloatMode: 240
; IeeeMode: 1
; LDSByteSize: 0 bytes/workgroup (compile time only)
; SGPRBlocks: 0
; VGPRBlocks: 0
; NumSGPRsForWavesPerEU: 1
; NumVGPRsForWavesPerEU: 1
; Occupancy: 16
; WaveLimiterHint : 0
; COMPUTE_PGM_RSRC2:SCRATCH_EN: 0
; COMPUTE_PGM_RSRC2:USER_SGPR: 2
; COMPUTE_PGM_RSRC2:TRAP_HANDLER: 0
; COMPUTE_PGM_RSRC2:TGID_X_EN: 1
; COMPUTE_PGM_RSRC2:TGID_Y_EN: 0
; COMPUTE_PGM_RSRC2:TGID_Z_EN: 0
; COMPUTE_PGM_RSRC2:TIDIG_COMP_CNT: 0
	.section	.text._ZN7rocprim17ROCPRIM_400000_NS6detail17trampoline_kernelINS0_14default_configENS1_36segmented_radix_sort_config_selectorIilEEZNS1_25segmented_radix_sort_implIS3_Lb1EPKiPiPKlPlN2at6native12_GLOBAL__N_18offset_tEEE10hipError_tPvRmT1_PNSt15iterator_traitsISK_E10value_typeET2_T3_PNSL_ISQ_E10value_typeET4_jRbjT5_SW_jjP12ihipStream_tbEUlT_E2_NS1_11comp_targetILNS1_3genE2ELNS1_11target_archE906ELNS1_3gpuE6ELNS1_3repE0EEENS1_30default_config_static_selectorELNS0_4arch9wavefront6targetE0EEEvSK_,"axG",@progbits,_ZN7rocprim17ROCPRIM_400000_NS6detail17trampoline_kernelINS0_14default_configENS1_36segmented_radix_sort_config_selectorIilEEZNS1_25segmented_radix_sort_implIS3_Lb1EPKiPiPKlPlN2at6native12_GLOBAL__N_18offset_tEEE10hipError_tPvRmT1_PNSt15iterator_traitsISK_E10value_typeET2_T3_PNSL_ISQ_E10value_typeET4_jRbjT5_SW_jjP12ihipStream_tbEUlT_E2_NS1_11comp_targetILNS1_3genE2ELNS1_11target_archE906ELNS1_3gpuE6ELNS1_3repE0EEENS1_30default_config_static_selectorELNS0_4arch9wavefront6targetE0EEEvSK_,comdat
	.globl	_ZN7rocprim17ROCPRIM_400000_NS6detail17trampoline_kernelINS0_14default_configENS1_36segmented_radix_sort_config_selectorIilEEZNS1_25segmented_radix_sort_implIS3_Lb1EPKiPiPKlPlN2at6native12_GLOBAL__N_18offset_tEEE10hipError_tPvRmT1_PNSt15iterator_traitsISK_E10value_typeET2_T3_PNSL_ISQ_E10value_typeET4_jRbjT5_SW_jjP12ihipStream_tbEUlT_E2_NS1_11comp_targetILNS1_3genE2ELNS1_11target_archE906ELNS1_3gpuE6ELNS1_3repE0EEENS1_30default_config_static_selectorELNS0_4arch9wavefront6targetE0EEEvSK_ ; -- Begin function _ZN7rocprim17ROCPRIM_400000_NS6detail17trampoline_kernelINS0_14default_configENS1_36segmented_radix_sort_config_selectorIilEEZNS1_25segmented_radix_sort_implIS3_Lb1EPKiPiPKlPlN2at6native12_GLOBAL__N_18offset_tEEE10hipError_tPvRmT1_PNSt15iterator_traitsISK_E10value_typeET2_T3_PNSL_ISQ_E10value_typeET4_jRbjT5_SW_jjP12ihipStream_tbEUlT_E2_NS1_11comp_targetILNS1_3genE2ELNS1_11target_archE906ELNS1_3gpuE6ELNS1_3repE0EEENS1_30default_config_static_selectorELNS0_4arch9wavefront6targetE0EEEvSK_
	.p2align	8
	.type	_ZN7rocprim17ROCPRIM_400000_NS6detail17trampoline_kernelINS0_14default_configENS1_36segmented_radix_sort_config_selectorIilEEZNS1_25segmented_radix_sort_implIS3_Lb1EPKiPiPKlPlN2at6native12_GLOBAL__N_18offset_tEEE10hipError_tPvRmT1_PNSt15iterator_traitsISK_E10value_typeET2_T3_PNSL_ISQ_E10value_typeET4_jRbjT5_SW_jjP12ihipStream_tbEUlT_E2_NS1_11comp_targetILNS1_3genE2ELNS1_11target_archE906ELNS1_3gpuE6ELNS1_3repE0EEENS1_30default_config_static_selectorELNS0_4arch9wavefront6targetE0EEEvSK_,@function
_ZN7rocprim17ROCPRIM_400000_NS6detail17trampoline_kernelINS0_14default_configENS1_36segmented_radix_sort_config_selectorIilEEZNS1_25segmented_radix_sort_implIS3_Lb1EPKiPiPKlPlN2at6native12_GLOBAL__N_18offset_tEEE10hipError_tPvRmT1_PNSt15iterator_traitsISK_E10value_typeET2_T3_PNSL_ISQ_E10value_typeET4_jRbjT5_SW_jjP12ihipStream_tbEUlT_E2_NS1_11comp_targetILNS1_3genE2ELNS1_11target_archE906ELNS1_3gpuE6ELNS1_3repE0EEENS1_30default_config_static_selectorELNS0_4arch9wavefront6targetE0EEEvSK_: ; @_ZN7rocprim17ROCPRIM_400000_NS6detail17trampoline_kernelINS0_14default_configENS1_36segmented_radix_sort_config_selectorIilEEZNS1_25segmented_radix_sort_implIS3_Lb1EPKiPiPKlPlN2at6native12_GLOBAL__N_18offset_tEEE10hipError_tPvRmT1_PNSt15iterator_traitsISK_E10value_typeET2_T3_PNSL_ISQ_E10value_typeET4_jRbjT5_SW_jjP12ihipStream_tbEUlT_E2_NS1_11comp_targetILNS1_3genE2ELNS1_11target_archE906ELNS1_3gpuE6ELNS1_3repE0EEENS1_30default_config_static_selectorELNS0_4arch9wavefront6targetE0EEEvSK_
; %bb.0:
	.section	.rodata,"a",@progbits
	.p2align	6, 0x0
	.amdhsa_kernel _ZN7rocprim17ROCPRIM_400000_NS6detail17trampoline_kernelINS0_14default_configENS1_36segmented_radix_sort_config_selectorIilEEZNS1_25segmented_radix_sort_implIS3_Lb1EPKiPiPKlPlN2at6native12_GLOBAL__N_18offset_tEEE10hipError_tPvRmT1_PNSt15iterator_traitsISK_E10value_typeET2_T3_PNSL_ISQ_E10value_typeET4_jRbjT5_SW_jjP12ihipStream_tbEUlT_E2_NS1_11comp_targetILNS1_3genE2ELNS1_11target_archE906ELNS1_3gpuE6ELNS1_3repE0EEENS1_30default_config_static_selectorELNS0_4arch9wavefront6targetE0EEEvSK_
		.amdhsa_group_segment_fixed_size 0
		.amdhsa_private_segment_fixed_size 0
		.amdhsa_kernarg_size 80
		.amdhsa_user_sgpr_count 2
		.amdhsa_user_sgpr_dispatch_ptr 0
		.amdhsa_user_sgpr_queue_ptr 0
		.amdhsa_user_sgpr_kernarg_segment_ptr 1
		.amdhsa_user_sgpr_dispatch_id 0
		.amdhsa_user_sgpr_private_segment_size 0
		.amdhsa_wavefront_size32 1
		.amdhsa_uses_dynamic_stack 0
		.amdhsa_enable_private_segment 0
		.amdhsa_system_sgpr_workgroup_id_x 1
		.amdhsa_system_sgpr_workgroup_id_y 0
		.amdhsa_system_sgpr_workgroup_id_z 0
		.amdhsa_system_sgpr_workgroup_info 0
		.amdhsa_system_vgpr_workitem_id 0
		.amdhsa_next_free_vgpr 1
		.amdhsa_next_free_sgpr 1
		.amdhsa_reserve_vcc 0
		.amdhsa_float_round_mode_32 0
		.amdhsa_float_round_mode_16_64 0
		.amdhsa_float_denorm_mode_32 3
		.amdhsa_float_denorm_mode_16_64 3
		.amdhsa_fp16_overflow 0
		.amdhsa_workgroup_processor_mode 1
		.amdhsa_memory_ordered 1
		.amdhsa_forward_progress 1
		.amdhsa_inst_pref_size 0
		.amdhsa_round_robin_scheduling 0
		.amdhsa_exception_fp_ieee_invalid_op 0
		.amdhsa_exception_fp_denorm_src 0
		.amdhsa_exception_fp_ieee_div_zero 0
		.amdhsa_exception_fp_ieee_overflow 0
		.amdhsa_exception_fp_ieee_underflow 0
		.amdhsa_exception_fp_ieee_inexact 0
		.amdhsa_exception_int_div_zero 0
	.end_amdhsa_kernel
	.section	.text._ZN7rocprim17ROCPRIM_400000_NS6detail17trampoline_kernelINS0_14default_configENS1_36segmented_radix_sort_config_selectorIilEEZNS1_25segmented_radix_sort_implIS3_Lb1EPKiPiPKlPlN2at6native12_GLOBAL__N_18offset_tEEE10hipError_tPvRmT1_PNSt15iterator_traitsISK_E10value_typeET2_T3_PNSL_ISQ_E10value_typeET4_jRbjT5_SW_jjP12ihipStream_tbEUlT_E2_NS1_11comp_targetILNS1_3genE2ELNS1_11target_archE906ELNS1_3gpuE6ELNS1_3repE0EEENS1_30default_config_static_selectorELNS0_4arch9wavefront6targetE0EEEvSK_,"axG",@progbits,_ZN7rocprim17ROCPRIM_400000_NS6detail17trampoline_kernelINS0_14default_configENS1_36segmented_radix_sort_config_selectorIilEEZNS1_25segmented_radix_sort_implIS3_Lb1EPKiPiPKlPlN2at6native12_GLOBAL__N_18offset_tEEE10hipError_tPvRmT1_PNSt15iterator_traitsISK_E10value_typeET2_T3_PNSL_ISQ_E10value_typeET4_jRbjT5_SW_jjP12ihipStream_tbEUlT_E2_NS1_11comp_targetILNS1_3genE2ELNS1_11target_archE906ELNS1_3gpuE6ELNS1_3repE0EEENS1_30default_config_static_selectorELNS0_4arch9wavefront6targetE0EEEvSK_,comdat
.Lfunc_end531:
	.size	_ZN7rocprim17ROCPRIM_400000_NS6detail17trampoline_kernelINS0_14default_configENS1_36segmented_radix_sort_config_selectorIilEEZNS1_25segmented_radix_sort_implIS3_Lb1EPKiPiPKlPlN2at6native12_GLOBAL__N_18offset_tEEE10hipError_tPvRmT1_PNSt15iterator_traitsISK_E10value_typeET2_T3_PNSL_ISQ_E10value_typeET4_jRbjT5_SW_jjP12ihipStream_tbEUlT_E2_NS1_11comp_targetILNS1_3genE2ELNS1_11target_archE906ELNS1_3gpuE6ELNS1_3repE0EEENS1_30default_config_static_selectorELNS0_4arch9wavefront6targetE0EEEvSK_, .Lfunc_end531-_ZN7rocprim17ROCPRIM_400000_NS6detail17trampoline_kernelINS0_14default_configENS1_36segmented_radix_sort_config_selectorIilEEZNS1_25segmented_radix_sort_implIS3_Lb1EPKiPiPKlPlN2at6native12_GLOBAL__N_18offset_tEEE10hipError_tPvRmT1_PNSt15iterator_traitsISK_E10value_typeET2_T3_PNSL_ISQ_E10value_typeET4_jRbjT5_SW_jjP12ihipStream_tbEUlT_E2_NS1_11comp_targetILNS1_3genE2ELNS1_11target_archE906ELNS1_3gpuE6ELNS1_3repE0EEENS1_30default_config_static_selectorELNS0_4arch9wavefront6targetE0EEEvSK_
                                        ; -- End function
	.set _ZN7rocprim17ROCPRIM_400000_NS6detail17trampoline_kernelINS0_14default_configENS1_36segmented_radix_sort_config_selectorIilEEZNS1_25segmented_radix_sort_implIS3_Lb1EPKiPiPKlPlN2at6native12_GLOBAL__N_18offset_tEEE10hipError_tPvRmT1_PNSt15iterator_traitsISK_E10value_typeET2_T3_PNSL_ISQ_E10value_typeET4_jRbjT5_SW_jjP12ihipStream_tbEUlT_E2_NS1_11comp_targetILNS1_3genE2ELNS1_11target_archE906ELNS1_3gpuE6ELNS1_3repE0EEENS1_30default_config_static_selectorELNS0_4arch9wavefront6targetE0EEEvSK_.num_vgpr, 0
	.set _ZN7rocprim17ROCPRIM_400000_NS6detail17trampoline_kernelINS0_14default_configENS1_36segmented_radix_sort_config_selectorIilEEZNS1_25segmented_radix_sort_implIS3_Lb1EPKiPiPKlPlN2at6native12_GLOBAL__N_18offset_tEEE10hipError_tPvRmT1_PNSt15iterator_traitsISK_E10value_typeET2_T3_PNSL_ISQ_E10value_typeET4_jRbjT5_SW_jjP12ihipStream_tbEUlT_E2_NS1_11comp_targetILNS1_3genE2ELNS1_11target_archE906ELNS1_3gpuE6ELNS1_3repE0EEENS1_30default_config_static_selectorELNS0_4arch9wavefront6targetE0EEEvSK_.num_agpr, 0
	.set _ZN7rocprim17ROCPRIM_400000_NS6detail17trampoline_kernelINS0_14default_configENS1_36segmented_radix_sort_config_selectorIilEEZNS1_25segmented_radix_sort_implIS3_Lb1EPKiPiPKlPlN2at6native12_GLOBAL__N_18offset_tEEE10hipError_tPvRmT1_PNSt15iterator_traitsISK_E10value_typeET2_T3_PNSL_ISQ_E10value_typeET4_jRbjT5_SW_jjP12ihipStream_tbEUlT_E2_NS1_11comp_targetILNS1_3genE2ELNS1_11target_archE906ELNS1_3gpuE6ELNS1_3repE0EEENS1_30default_config_static_selectorELNS0_4arch9wavefront6targetE0EEEvSK_.numbered_sgpr, 0
	.set _ZN7rocprim17ROCPRIM_400000_NS6detail17trampoline_kernelINS0_14default_configENS1_36segmented_radix_sort_config_selectorIilEEZNS1_25segmented_radix_sort_implIS3_Lb1EPKiPiPKlPlN2at6native12_GLOBAL__N_18offset_tEEE10hipError_tPvRmT1_PNSt15iterator_traitsISK_E10value_typeET2_T3_PNSL_ISQ_E10value_typeET4_jRbjT5_SW_jjP12ihipStream_tbEUlT_E2_NS1_11comp_targetILNS1_3genE2ELNS1_11target_archE906ELNS1_3gpuE6ELNS1_3repE0EEENS1_30default_config_static_selectorELNS0_4arch9wavefront6targetE0EEEvSK_.num_named_barrier, 0
	.set _ZN7rocprim17ROCPRIM_400000_NS6detail17trampoline_kernelINS0_14default_configENS1_36segmented_radix_sort_config_selectorIilEEZNS1_25segmented_radix_sort_implIS3_Lb1EPKiPiPKlPlN2at6native12_GLOBAL__N_18offset_tEEE10hipError_tPvRmT1_PNSt15iterator_traitsISK_E10value_typeET2_T3_PNSL_ISQ_E10value_typeET4_jRbjT5_SW_jjP12ihipStream_tbEUlT_E2_NS1_11comp_targetILNS1_3genE2ELNS1_11target_archE906ELNS1_3gpuE6ELNS1_3repE0EEENS1_30default_config_static_selectorELNS0_4arch9wavefront6targetE0EEEvSK_.private_seg_size, 0
	.set _ZN7rocprim17ROCPRIM_400000_NS6detail17trampoline_kernelINS0_14default_configENS1_36segmented_radix_sort_config_selectorIilEEZNS1_25segmented_radix_sort_implIS3_Lb1EPKiPiPKlPlN2at6native12_GLOBAL__N_18offset_tEEE10hipError_tPvRmT1_PNSt15iterator_traitsISK_E10value_typeET2_T3_PNSL_ISQ_E10value_typeET4_jRbjT5_SW_jjP12ihipStream_tbEUlT_E2_NS1_11comp_targetILNS1_3genE2ELNS1_11target_archE906ELNS1_3gpuE6ELNS1_3repE0EEENS1_30default_config_static_selectorELNS0_4arch9wavefront6targetE0EEEvSK_.uses_vcc, 0
	.set _ZN7rocprim17ROCPRIM_400000_NS6detail17trampoline_kernelINS0_14default_configENS1_36segmented_radix_sort_config_selectorIilEEZNS1_25segmented_radix_sort_implIS3_Lb1EPKiPiPKlPlN2at6native12_GLOBAL__N_18offset_tEEE10hipError_tPvRmT1_PNSt15iterator_traitsISK_E10value_typeET2_T3_PNSL_ISQ_E10value_typeET4_jRbjT5_SW_jjP12ihipStream_tbEUlT_E2_NS1_11comp_targetILNS1_3genE2ELNS1_11target_archE906ELNS1_3gpuE6ELNS1_3repE0EEENS1_30default_config_static_selectorELNS0_4arch9wavefront6targetE0EEEvSK_.uses_flat_scratch, 0
	.set _ZN7rocprim17ROCPRIM_400000_NS6detail17trampoline_kernelINS0_14default_configENS1_36segmented_radix_sort_config_selectorIilEEZNS1_25segmented_radix_sort_implIS3_Lb1EPKiPiPKlPlN2at6native12_GLOBAL__N_18offset_tEEE10hipError_tPvRmT1_PNSt15iterator_traitsISK_E10value_typeET2_T3_PNSL_ISQ_E10value_typeET4_jRbjT5_SW_jjP12ihipStream_tbEUlT_E2_NS1_11comp_targetILNS1_3genE2ELNS1_11target_archE906ELNS1_3gpuE6ELNS1_3repE0EEENS1_30default_config_static_selectorELNS0_4arch9wavefront6targetE0EEEvSK_.has_dyn_sized_stack, 0
	.set _ZN7rocprim17ROCPRIM_400000_NS6detail17trampoline_kernelINS0_14default_configENS1_36segmented_radix_sort_config_selectorIilEEZNS1_25segmented_radix_sort_implIS3_Lb1EPKiPiPKlPlN2at6native12_GLOBAL__N_18offset_tEEE10hipError_tPvRmT1_PNSt15iterator_traitsISK_E10value_typeET2_T3_PNSL_ISQ_E10value_typeET4_jRbjT5_SW_jjP12ihipStream_tbEUlT_E2_NS1_11comp_targetILNS1_3genE2ELNS1_11target_archE906ELNS1_3gpuE6ELNS1_3repE0EEENS1_30default_config_static_selectorELNS0_4arch9wavefront6targetE0EEEvSK_.has_recursion, 0
	.set _ZN7rocprim17ROCPRIM_400000_NS6detail17trampoline_kernelINS0_14default_configENS1_36segmented_radix_sort_config_selectorIilEEZNS1_25segmented_radix_sort_implIS3_Lb1EPKiPiPKlPlN2at6native12_GLOBAL__N_18offset_tEEE10hipError_tPvRmT1_PNSt15iterator_traitsISK_E10value_typeET2_T3_PNSL_ISQ_E10value_typeET4_jRbjT5_SW_jjP12ihipStream_tbEUlT_E2_NS1_11comp_targetILNS1_3genE2ELNS1_11target_archE906ELNS1_3gpuE6ELNS1_3repE0EEENS1_30default_config_static_selectorELNS0_4arch9wavefront6targetE0EEEvSK_.has_indirect_call, 0
	.section	.AMDGPU.csdata,"",@progbits
; Kernel info:
; codeLenInByte = 0
; TotalNumSgprs: 0
; NumVgprs: 0
; ScratchSize: 0
; MemoryBound: 0
; FloatMode: 240
; IeeeMode: 1
; LDSByteSize: 0 bytes/workgroup (compile time only)
; SGPRBlocks: 0
; VGPRBlocks: 0
; NumSGPRsForWavesPerEU: 1
; NumVGPRsForWavesPerEU: 1
; Occupancy: 16
; WaveLimiterHint : 0
; COMPUTE_PGM_RSRC2:SCRATCH_EN: 0
; COMPUTE_PGM_RSRC2:USER_SGPR: 2
; COMPUTE_PGM_RSRC2:TRAP_HANDLER: 0
; COMPUTE_PGM_RSRC2:TGID_X_EN: 1
; COMPUTE_PGM_RSRC2:TGID_Y_EN: 0
; COMPUTE_PGM_RSRC2:TGID_Z_EN: 0
; COMPUTE_PGM_RSRC2:TIDIG_COMP_CNT: 0
	.section	.text._ZN7rocprim17ROCPRIM_400000_NS6detail17trampoline_kernelINS0_14default_configENS1_36segmented_radix_sort_config_selectorIilEEZNS1_25segmented_radix_sort_implIS3_Lb1EPKiPiPKlPlN2at6native12_GLOBAL__N_18offset_tEEE10hipError_tPvRmT1_PNSt15iterator_traitsISK_E10value_typeET2_T3_PNSL_ISQ_E10value_typeET4_jRbjT5_SW_jjP12ihipStream_tbEUlT_E2_NS1_11comp_targetILNS1_3genE10ELNS1_11target_archE1201ELNS1_3gpuE5ELNS1_3repE0EEENS1_30default_config_static_selectorELNS0_4arch9wavefront6targetE0EEEvSK_,"axG",@progbits,_ZN7rocprim17ROCPRIM_400000_NS6detail17trampoline_kernelINS0_14default_configENS1_36segmented_radix_sort_config_selectorIilEEZNS1_25segmented_radix_sort_implIS3_Lb1EPKiPiPKlPlN2at6native12_GLOBAL__N_18offset_tEEE10hipError_tPvRmT1_PNSt15iterator_traitsISK_E10value_typeET2_T3_PNSL_ISQ_E10value_typeET4_jRbjT5_SW_jjP12ihipStream_tbEUlT_E2_NS1_11comp_targetILNS1_3genE10ELNS1_11target_archE1201ELNS1_3gpuE5ELNS1_3repE0EEENS1_30default_config_static_selectorELNS0_4arch9wavefront6targetE0EEEvSK_,comdat
	.globl	_ZN7rocprim17ROCPRIM_400000_NS6detail17trampoline_kernelINS0_14default_configENS1_36segmented_radix_sort_config_selectorIilEEZNS1_25segmented_radix_sort_implIS3_Lb1EPKiPiPKlPlN2at6native12_GLOBAL__N_18offset_tEEE10hipError_tPvRmT1_PNSt15iterator_traitsISK_E10value_typeET2_T3_PNSL_ISQ_E10value_typeET4_jRbjT5_SW_jjP12ihipStream_tbEUlT_E2_NS1_11comp_targetILNS1_3genE10ELNS1_11target_archE1201ELNS1_3gpuE5ELNS1_3repE0EEENS1_30default_config_static_selectorELNS0_4arch9wavefront6targetE0EEEvSK_ ; -- Begin function _ZN7rocprim17ROCPRIM_400000_NS6detail17trampoline_kernelINS0_14default_configENS1_36segmented_radix_sort_config_selectorIilEEZNS1_25segmented_radix_sort_implIS3_Lb1EPKiPiPKlPlN2at6native12_GLOBAL__N_18offset_tEEE10hipError_tPvRmT1_PNSt15iterator_traitsISK_E10value_typeET2_T3_PNSL_ISQ_E10value_typeET4_jRbjT5_SW_jjP12ihipStream_tbEUlT_E2_NS1_11comp_targetILNS1_3genE10ELNS1_11target_archE1201ELNS1_3gpuE5ELNS1_3repE0EEENS1_30default_config_static_selectorELNS0_4arch9wavefront6targetE0EEEvSK_
	.p2align	8
	.type	_ZN7rocprim17ROCPRIM_400000_NS6detail17trampoline_kernelINS0_14default_configENS1_36segmented_radix_sort_config_selectorIilEEZNS1_25segmented_radix_sort_implIS3_Lb1EPKiPiPKlPlN2at6native12_GLOBAL__N_18offset_tEEE10hipError_tPvRmT1_PNSt15iterator_traitsISK_E10value_typeET2_T3_PNSL_ISQ_E10value_typeET4_jRbjT5_SW_jjP12ihipStream_tbEUlT_E2_NS1_11comp_targetILNS1_3genE10ELNS1_11target_archE1201ELNS1_3gpuE5ELNS1_3repE0EEENS1_30default_config_static_selectorELNS0_4arch9wavefront6targetE0EEEvSK_,@function
_ZN7rocprim17ROCPRIM_400000_NS6detail17trampoline_kernelINS0_14default_configENS1_36segmented_radix_sort_config_selectorIilEEZNS1_25segmented_radix_sort_implIS3_Lb1EPKiPiPKlPlN2at6native12_GLOBAL__N_18offset_tEEE10hipError_tPvRmT1_PNSt15iterator_traitsISK_E10value_typeET2_T3_PNSL_ISQ_E10value_typeET4_jRbjT5_SW_jjP12ihipStream_tbEUlT_E2_NS1_11comp_targetILNS1_3genE10ELNS1_11target_archE1201ELNS1_3gpuE5ELNS1_3repE0EEENS1_30default_config_static_selectorELNS0_4arch9wavefront6targetE0EEEvSK_: ; @_ZN7rocprim17ROCPRIM_400000_NS6detail17trampoline_kernelINS0_14default_configENS1_36segmented_radix_sort_config_selectorIilEEZNS1_25segmented_radix_sort_implIS3_Lb1EPKiPiPKlPlN2at6native12_GLOBAL__N_18offset_tEEE10hipError_tPvRmT1_PNSt15iterator_traitsISK_E10value_typeET2_T3_PNSL_ISQ_E10value_typeET4_jRbjT5_SW_jjP12ihipStream_tbEUlT_E2_NS1_11comp_targetILNS1_3genE10ELNS1_11target_archE1201ELNS1_3gpuE5ELNS1_3repE0EEENS1_30default_config_static_selectorELNS0_4arch9wavefront6targetE0EEEvSK_
; %bb.0:
	s_load_b128 s[4:7], s[0:1], 0x34
	s_mov_b32 s32, 0
	s_wait_kmcnt 0x0
	s_add_co_i32 s33, s5, ttmp9
	s_add_co_i32 s51, s7, ttmp9
	s_mul_i32 s33, s33, s4
	s_mul_i32 s51, s51, s6
	s_delay_alu instid0(SALU_CYCLE_1)
	s_cmp_le_u32 s51, s33
	s_cbranch_scc1 .LBB532_1190
; %bb.1:
	s_clause 0x3
	s_load_b32 s2, s[0:1], 0x30
	s_load_b128 s[44:47], s[0:1], 0x20
	s_load_b96 s[48:50], s[0:1], 0x44
	s_load_b256 s[36:43], s[0:1], 0x0
	s_wait_kmcnt 0x0
	s_bitcmp1_b32 s2, 0
	s_mov_b32 s2, -1
	s_cselect_b32 s52, -1, 0
	s_sub_co_i32 s53, s51, s33
	s_delay_alu instid0(SALU_CYCLE_1)
	s_cmp_lt_u32 s53, 0x1001
	s_cbranch_scc0 .LBB532_15
; %bb.2:
	s_cmp_lt_u32 s53, 33
	s_cbranch_scc0 .LBB532_9
; %bb.3:
	s_load_b32 s2, s[0:1], 0x5c
	v_bfe_u32 v1, v0, 10, 10
	v_bfe_u32 v2, v0, 20, 10
	s_mov_b32 s16, exec_lo
	s_wait_kmcnt 0x0
	s_lshr_b32 s3, s2, 16
	s_and_b32 s2, s2, 0xffff
	v_mad_u32_u24 v2, v2, s3, v1
	v_and_b32_e32 v1, 0x3ff, v0
	s_delay_alu instid0(VALU_DEP_1) | instskip(NEXT) | instid1(VALU_DEP_1)
	v_mad_co_u64_u32 v[1:2], null, v2, s2, v[1:2]
	v_cmpx_gt_u32_e32 8, v1
	s_cbranch_execz .LBB532_8
; %bb.4:
	v_cndmask_b32_e64 v1, 0, 1, s52
	s_and_b32 s2, s48, 1
	s_wait_alu 0xfffe
	s_delay_alu instid0(VALU_DEP_1)
	v_cmp_ne_u32_e32 vcc_lo, s2, v1
	s_mov_b32 s2, -1
	s_cbranch_vccnz .LBB532_6
; %bb.5:
	s_mov_b64 s[2:3], src_shared_base
	v_dual_mov_b32 v31, v0 :: v_dual_mov_b32 v40, v0
	v_dual_mov_b32 v0, s36 :: v_dual_mov_b32 v1, s37
	;; [unrolled: 1-line block ×7, first 2 shown]
	s_wait_alu 0xfffe
	v_dual_mov_b32 v12, 0 :: v_dual_mov_b32 v13, s3
	s_add_nc_u64 s[8:9], s[0:1], 0x50
	s_getpc_b64 s[4:5]
	s_sext_i32_i16 s5, s5
	s_add_co_u32 s4, s4, _ZN7rocprim17ROCPRIM_400000_NS6detail26segmented_warp_sort_helperINS1_20WarpSortHelperConfigILj8ELj4ELj256EEEilLi256ELb1EvE4sortIPKiPiPKlPlEEvT_T0_T1_T2_jjjjRNS5_12storage_typeE@rel32@lo+8
	s_add_co_ci_u32 s5, s5, _ZN7rocprim17ROCPRIM_400000_NS6detail26segmented_warp_sort_helperINS1_20WarpSortHelperConfigILj8ELj4ELj256EEEilLi256ELb1EvE4sortIPKiPiPKlPlEEvT_T0_T1_T2_jjjjRNS5_12storage_typeE@rel32@hi+16
	s_mov_b64 s[14:15], s[0:1]
	s_swappc_b64 s[30:31], s[4:5]
	v_mov_b32_e32 v0, v40
	s_mov_b64 s[0:1], s[14:15]
	s_mov_b32 s2, 0
.LBB532_6:
	s_wait_alu 0xfffe
	s_and_not1_b32 vcc_lo, exec_lo, s2
	s_wait_alu 0xfffe
	s_cbranch_vccnz .LBB532_8
; %bb.7:
	s_mov_b64 s[2:3], src_shared_base
	v_dual_mov_b32 v31, v0 :: v_dual_mov_b32 v40, v0
	v_dual_mov_b32 v0, s36 :: v_dual_mov_b32 v1, s37
	;; [unrolled: 1-line block ×7, first 2 shown]
	s_wait_alu 0xfffe
	v_dual_mov_b32 v12, 0 :: v_dual_mov_b32 v13, s3
	s_add_nc_u64 s[8:9], s[0:1], 0x50
	s_getpc_b64 s[4:5]
	s_wait_alu 0xfffe
	s_sext_i32_i16 s5, s5
	s_add_co_u32 s4, s4, _ZN7rocprim17ROCPRIM_400000_NS6detail26segmented_warp_sort_helperINS1_20WarpSortHelperConfigILj8ELj4ELj256EEEilLi256ELb1EvE4sortIPKiPiPKlPlEEvT_T0_T1_T2_jjjjRNS5_12storage_typeE@rel32@lo+12
	s_wait_alu 0xfffe
	s_add_co_ci_u32 s5, s5, _ZN7rocprim17ROCPRIM_400000_NS6detail26segmented_warp_sort_helperINS1_20WarpSortHelperConfigILj8ELj4ELj256EEEilLi256ELb1EvE4sortIPKiPiPKlPlEEvT_T0_T1_T2_jjjjRNS5_12storage_typeE@rel32@hi+24
	s_mov_b64 s[14:15], s[0:1]
	s_wait_alu 0xfffe
	s_swappc_b64 s[30:31], s[4:5]
	v_mov_b32_e32 v0, v40
	s_mov_b64 s[0:1], s[14:15]
.LBB532_8:
	s_or_b32 exec_lo, exec_lo, s16
	s_mov_b32 s2, 0
.LBB532_9:
	s_wait_alu 0xfffe
	s_and_not1_b32 vcc_lo, exec_lo, s2
	s_wait_alu 0xfffe
	s_cbranch_vccnz .LBB532_14
; %bb.10:
	v_cndmask_b32_e64 v1, 0, 1, s52
	s_and_b32 s2, s48, 1
	s_wait_alu 0xfffe
	s_delay_alu instid0(VALU_DEP_1)
	v_cmp_ne_u32_e32 vcc_lo, s2, v1
	s_mov_b32 s2, -1
	s_cbranch_vccnz .LBB532_12
; %bb.11:
	s_mov_b64 s[2:3], src_shared_base
	v_dual_mov_b32 v31, v0 :: v_dual_mov_b32 v40, v0
	v_dual_mov_b32 v0, s36 :: v_dual_mov_b32 v1, s37
	;; [unrolled: 1-line block ×7, first 2 shown]
	s_wait_alu 0xfffe
	v_dual_mov_b32 v12, 0 :: v_dual_mov_b32 v13, s3
	s_add_nc_u64 s[8:9], s[0:1], 0x50
	s_getpc_b64 s[4:5]
	s_wait_alu 0xfffe
	s_sext_i32_i16 s5, s5
	s_add_co_u32 s4, s4, _ZN7rocprim17ROCPRIM_400000_NS6detail40segmented_radix_sort_single_block_helperIilLj256ELj16ELb1EE4sortIPKiPiPKlPlEEbT_T0_T1_T2_jjjjRNS3_12storage_typeE@rel32@lo+12
	s_wait_alu 0xfffe
	s_add_co_ci_u32 s5, s5, _ZN7rocprim17ROCPRIM_400000_NS6detail40segmented_radix_sort_single_block_helperIilLj256ELj16ELb1EE4sortIPKiPiPKlPlEEbT_T0_T1_T2_jjjjRNS3_12storage_typeE@rel32@hi+24
	s_mov_b64 s[22:23], s[0:1]
	s_wait_alu 0xfffe
	s_swappc_b64 s[30:31], s[4:5]
	v_mov_b32_e32 v0, v40
	s_mov_b64 s[0:1], s[22:23]
	s_mov_b32 s2, 0
.LBB532_12:
	s_wait_alu 0xfffe
	s_and_not1_b32 vcc_lo, exec_lo, s2
	s_wait_alu 0xfffe
	s_cbranch_vccnz .LBB532_14
; %bb.13:
	s_mov_b64 s[2:3], src_shared_base
	v_dual_mov_b32 v31, v0 :: v_dual_mov_b32 v40, v0
	v_dual_mov_b32 v0, s36 :: v_dual_mov_b32 v1, s37
	;; [unrolled: 1-line block ×7, first 2 shown]
	s_wait_alu 0xfffe
	v_dual_mov_b32 v12, 0 :: v_dual_mov_b32 v13, s3
	s_add_nc_u64 s[8:9], s[0:1], 0x50
	s_getpc_b64 s[4:5]
	s_wait_alu 0xfffe
	s_sext_i32_i16 s5, s5
	s_add_co_u32 s4, s4, _ZN7rocprim17ROCPRIM_400000_NS6detail40segmented_radix_sort_single_block_helperIilLj256ELj16ELb1EE4sortIPKiPiPKlPlEEbT_T0_T1_T2_jjjjRNS3_12storage_typeE@rel32@lo+12
	s_wait_alu 0xfffe
	s_add_co_ci_u32 s5, s5, _ZN7rocprim17ROCPRIM_400000_NS6detail40segmented_radix_sort_single_block_helperIilLj256ELj16ELb1EE4sortIPKiPiPKlPlEEbT_T0_T1_T2_jjjjRNS3_12storage_typeE@rel32@hi+24
	s_mov_b64 s[22:23], s[0:1]
	s_wait_alu 0xfffe
	s_swappc_b64 s[30:31], s[4:5]
	v_mov_b32_e32 v0, v40
	s_mov_b64 s[0:1], s[22:23]
.LBB532_14:
	s_mov_b32 s2, 0
.LBB532_15:
	s_wait_alu 0xfffe
	s_and_not1_b32 vcc_lo, exec_lo, s2
	s_wait_alu 0xfffe
	s_cbranch_vccnz .LBB532_1190
; %bb.16:
	s_cmp_ge_u32 s49, s50
	s_cbranch_scc1 .LBB532_1190
; %bb.17:
	v_dual_mov_b32 v84, 1 :: v_dual_and_b32 v1, 0x3ff, v0
	v_dual_mov_b32 v3, 0 :: v_dual_and_b32 v2, 3, v0
	v_lshrrev_b32_e32 v4, 3, v0
	s_delay_alu instid0(VALU_DEP_3)
	v_lshlrev_b32_e32 v44, 2, v1
	v_mbcnt_lo_u32_b32 v81, -1, 0
	v_or_b32_e32 v45, 0x100, v1
	v_lshlrev_b32_e32 v62, 2, v2
	v_or_b32_e32 v2, 31, v1
	v_and_b32_e32 v63, 28, v4
	v_lshlrev_b32_e32 v4, 4, v1
	v_mad_u32_u24 v64, v1, 12, v44
	v_lshlrev_b32_e32 v91, 3, v81
	v_cmp_eq_u32_e64 s3, v1, v2
	v_lshlrev_b32_e32 v2, 5, v1
	v_and_b32_e32 v4, 0xe00, v4
	v_mad_u32_u24 v67, v1, 20, v64
	v_lshlrev_b32_e32 v107, 2, v81
	v_add_co_u32 v48, s2, s40, v44
	s_delay_alu instid0(VALU_DEP_4) | instskip(NEXT) | instid1(VALU_DEP_4)
	v_lshlrev_b32_e32 v5, 2, v4
	v_sub_nc_u32_e32 v70, v67, v2
	v_lshlrev_b32_e32 v2, 3, v4
	v_or_b32_e32 v88, v81, v4
	v_or_b32_e32 v46, 0x200, v1
	;; [unrolled: 1-line block ×3, first 2 shown]
	s_wait_alu 0xf1ff
	v_add_co_ci_u32_e64 v49, null, s41, 0, s2
	v_add_co_u32 v6, s8, s46, v2
	s_wait_alu 0xf1ff
	v_add_co_ci_u32_e64 v7, null, s47, 0, s8
	v_add_co_u32 v8, s8, s40, v5
	;; [unrolled: 3-line block ×7, first 2 shown]
	v_add_co_u32 v109, vcc_lo, v6, v91
	s_wait_alu 0xf1ff
	v_add_co_ci_u32_e64 v80, null, s43, 0, s8
	v_add_co_u32 v82, s8, s36, v5
	s_wait_alu 0xfffd
	v_add_co_ci_u32_e64 v110, null, 0, v7, vcc_lo
	v_add_co_u32 v111, vcc_lo, v8, v107
	v_or_b32_e32 v50, 0x400, v1
	v_or_b32_e32 v51, 0x500, v1
	;; [unrolled: 1-line block ×12, first 2 shown]
	v_cmp_gt_u32_e64 s2, 0x100, v1
	v_or_b32_e32 v65, 0x8400, v63
	v_cmp_gt_u32_e64 s4, 8, v1
	v_add_nc_u32_e32 v66, 0x8400, v44
	v_cmp_lt_u32_e64 s5, 31, v1
	v_add_nc_u32_e32 v68, 0x83fc, v63
	v_bfe_u32 v69, v0, 20, 10
	v_bfe_u32 v0, v0, 10, 10
	v_cmp_eq_u32_e64 s6, 0, v1
	v_cmp_ne_u32_e64 s7, 0xff, v1
	s_wait_alu 0xf1ff
	v_add_co_ci_u32_e64 v83, null, s37, 0, s8
	v_and_b32_e32 v85, 15, v81
	v_bfe_i32 v86, v81, 4, 1
	v_and_b32_e32 v87, 16, v81
	v_and_b32_e32 v89, 7, v81
	v_sub_co_u32 v90, s8, v81, 1
	v_or_b32_e32 v92, 32, v88
	v_or_b32_e32 v93, 64, v88
	;; [unrolled: 1-line block ×15, first 2 shown]
	v_lshlrev_b32_e32 v108, 2, v1
	s_wait_alu 0xfffd
	v_add_co_ci_u32_e64 v112, null, 0, v9, vcc_lo
	s_add_nc_u64 s[34:35], s[0:1], 0x50
	s_mov_b32 s43, 0
	s_mov_b32 s31, s49
	s_branch .LBB532_20
.LBB532_18:                             ;   in Loop: Header=BB532_20 Depth=1
	s_wait_loadcnt_dscnt 0x0
	s_barrier_signal -1
	s_barrier_wait -1
.LBB532_19:                             ;   in Loop: Header=BB532_20 Depth=1
	s_add_co_i32 s31, s31, 8
	global_inv scope:SCOPE_SE
	s_wait_alu 0xfffe
	s_cmp_ge_u32 s31, s50
	s_cbranch_scc1 .LBB532_1190
.LBB532_20:                             ; =>This Loop Header: Depth=1
                                        ;     Child Loop BB532_24 Depth 2
                                        ;     Child Loop BB532_104 Depth 2
	;; [unrolled: 1-line block ×8, first 2 shown]
	s_wait_alu 0xfffe
	s_sub_co_i32 s0, s50, s31
	s_xor_b32 s52, s52, -1
	s_wait_alu 0xfffe
	s_min_u32 s0, s0, 8
	ds_store_2addr_stride64_b32 v44, v3, v3 offset1:4
	s_wait_alu 0xfffe
	s_lshl_b32 s0, -1, s0
	ds_store_2addr_stride64_b32 v44, v3, v3 offset0:8 offset1:12
	s_wait_alu 0xfffe
	s_not_b32 s48, s0
	s_cmp_lg_u32 s31, s49
	s_mov_b32 s0, -1
	s_wait_storecnt_dscnt 0x0
	s_cbranch_scc0 .LBB532_606
; %bb.21:                               ;   in Loop: Header=BB532_20 Depth=1
	s_and_b32 vcc_lo, exec_lo, s52
	s_wait_alu 0xfffe
	s_cbranch_vccz .LBB532_313
; %bb.22:                               ;   in Loop: Header=BB532_20 Depth=1
	s_mov_b32 s9, s53
	s_mov_b32 s42, s33
	s_barrier_signal -1
	s_barrier_wait -1
	global_inv scope:SCOPE_SE
                                        ; implicit-def: $vgpr2
                                        ; implicit-def: $vgpr4
                                        ; implicit-def: $vgpr5
                                        ; implicit-def: $vgpr6
                                        ; implicit-def: $vgpr7
                                        ; implicit-def: $vgpr8
                                        ; implicit-def: $vgpr9
                                        ; implicit-def: $vgpr10
                                        ; implicit-def: $vgpr11
                                        ; implicit-def: $vgpr12
                                        ; implicit-def: $vgpr13
                                        ; implicit-def: $vgpr14
                                        ; implicit-def: $vgpr15
                                        ; implicit-def: $vgpr16
                                        ; implicit-def: $vgpr17
                                        ; implicit-def: $vgpr18
	s_branch .LBB532_24
.LBB532_23:                             ;   in Loop: Header=BB532_24 Depth=2
	s_wait_alu 0xfffe
	s_or_b32 exec_lo, exec_lo, s0
	s_addk_co_i32 s9, 0xf000
	s_cmp_ge_u32 s10, s51
	s_mov_b32 s42, s10
	s_cbranch_scc1 .LBB532_92
.LBB532_24:                             ;   Parent Loop BB532_20 Depth=1
                                        ; =>  This Inner Loop Header: Depth=2
	s_wait_alu 0xfffe
	s_add_co_i32 s10, s42, 0x1000
	s_mov_b32 s0, -1
	s_wait_alu 0xfffe
	s_cmp_gt_u32 s10, s51
                                        ; implicit-def: $vgpr19
                                        ; implicit-def: $vgpr20
                                        ; implicit-def: $vgpr21
                                        ; implicit-def: $vgpr22
                                        ; implicit-def: $vgpr23
                                        ; implicit-def: $vgpr24
                                        ; implicit-def: $vgpr25
                                        ; implicit-def: $vgpr26
                                        ; implicit-def: $vgpr27
                                        ; implicit-def: $vgpr28
                                        ; implicit-def: $vgpr29
                                        ; implicit-def: $vgpr30
                                        ; implicit-def: $vgpr31
                                        ; implicit-def: $vgpr32
                                        ; implicit-def: $vgpr33
                                        ; implicit-def: $vgpr34
	s_cbranch_scc1 .LBB532_26
; %bb.25:                               ;   in Loop: Header=BB532_24 Depth=2
	s_lshl_b64 s[0:1], s[42:43], 2
	s_wait_alu 0xfffe
	v_add_co_u32 v34, vcc_lo, v48, s0
	s_wait_alu 0xfffd
	v_add_co_ci_u32_e64 v35, null, s1, v49, vcc_lo
	s_mov_b32 s0, 0
	s_clause 0xf
	global_load_b32 v19, v[34:35], off
	global_load_b32 v20, v[34:35], off offset:1024
	global_load_b32 v21, v[34:35], off offset:2048
	;; [unrolled: 1-line block ×15, first 2 shown]
.LBB532_26:                             ;   in Loop: Header=BB532_24 Depth=2
	s_wait_alu 0xfffe
	s_and_not1_b32 vcc_lo, exec_lo, s0
	s_movk_i32 s0, 0x1000
	s_wait_alu 0xfffe
	s_cbranch_vccnz .LBB532_45
; %bb.27:                               ;   in Loop: Header=BB532_24 Depth=2
	s_lshl_b64 s[0:1], s[42:43], 2
	s_mov_b32 s11, exec_lo
	s_wait_alu 0xfffe
	s_add_nc_u64 s[0:1], s[40:41], s[0:1]
	v_cmpx_gt_u32_e64 s9, v1
	s_cbranch_execnz .LBB532_77
; %bb.28:                               ;   in Loop: Header=BB532_24 Depth=2
	s_or_b32 exec_lo, exec_lo, s11
	s_delay_alu instid0(SALU_CYCLE_1)
	s_mov_b32 s11, exec_lo
	v_cmpx_gt_u32_e64 s9, v45
	s_cbranch_execnz .LBB532_78
.LBB532_29:                             ;   in Loop: Header=BB532_24 Depth=2
	s_wait_alu 0xfffe
	s_or_b32 exec_lo, exec_lo, s11
	s_delay_alu instid0(SALU_CYCLE_1)
	s_mov_b32 s11, exec_lo
	v_cmpx_gt_u32_e64 s9, v46
	s_cbranch_execnz .LBB532_79
.LBB532_30:                             ;   in Loop: Header=BB532_24 Depth=2
	s_wait_alu 0xfffe
	s_or_b32 exec_lo, exec_lo, s11
	s_delay_alu instid0(SALU_CYCLE_1)
	s_mov_b32 s11, exec_lo
	v_cmpx_gt_u32_e64 s9, v47
	s_cbranch_execnz .LBB532_80
.LBB532_31:                             ;   in Loop: Header=BB532_24 Depth=2
	s_wait_alu 0xfffe
	s_or_b32 exec_lo, exec_lo, s11
	s_delay_alu instid0(SALU_CYCLE_1)
	s_mov_b32 s11, exec_lo
	v_cmpx_gt_u32_e64 s9, v50
	s_cbranch_execnz .LBB532_81
.LBB532_32:                             ;   in Loop: Header=BB532_24 Depth=2
	s_wait_alu 0xfffe
	s_or_b32 exec_lo, exec_lo, s11
	s_delay_alu instid0(SALU_CYCLE_1)
	s_mov_b32 s11, exec_lo
	v_cmpx_gt_u32_e64 s9, v51
	s_cbranch_execnz .LBB532_82
.LBB532_33:                             ;   in Loop: Header=BB532_24 Depth=2
	s_wait_alu 0xfffe
	s_or_b32 exec_lo, exec_lo, s11
	s_delay_alu instid0(SALU_CYCLE_1)
	s_mov_b32 s11, exec_lo
	v_cmpx_gt_u32_e64 s9, v52
	s_cbranch_execnz .LBB532_83
.LBB532_34:                             ;   in Loop: Header=BB532_24 Depth=2
	s_wait_alu 0xfffe
	s_or_b32 exec_lo, exec_lo, s11
	s_delay_alu instid0(SALU_CYCLE_1)
	s_mov_b32 s11, exec_lo
	v_cmpx_gt_u32_e64 s9, v53
	s_cbranch_execnz .LBB532_84
.LBB532_35:                             ;   in Loop: Header=BB532_24 Depth=2
	s_wait_alu 0xfffe
	s_or_b32 exec_lo, exec_lo, s11
	s_delay_alu instid0(SALU_CYCLE_1)
	s_mov_b32 s11, exec_lo
	v_cmpx_gt_u32_e64 s9, v54
	s_cbranch_execnz .LBB532_85
.LBB532_36:                             ;   in Loop: Header=BB532_24 Depth=2
	s_wait_alu 0xfffe
	s_or_b32 exec_lo, exec_lo, s11
	s_delay_alu instid0(SALU_CYCLE_1)
	s_mov_b32 s11, exec_lo
	v_cmpx_gt_u32_e64 s9, v55
	s_cbranch_execnz .LBB532_86
.LBB532_37:                             ;   in Loop: Header=BB532_24 Depth=2
	s_wait_alu 0xfffe
	s_or_b32 exec_lo, exec_lo, s11
	s_delay_alu instid0(SALU_CYCLE_1)
	s_mov_b32 s11, exec_lo
	v_cmpx_gt_u32_e64 s9, v56
	s_cbranch_execnz .LBB532_87
.LBB532_38:                             ;   in Loop: Header=BB532_24 Depth=2
	s_wait_alu 0xfffe
	s_or_b32 exec_lo, exec_lo, s11
	s_delay_alu instid0(SALU_CYCLE_1)
	s_mov_b32 s11, exec_lo
	v_cmpx_gt_u32_e64 s9, v57
	s_cbranch_execnz .LBB532_88
.LBB532_39:                             ;   in Loop: Header=BB532_24 Depth=2
	s_wait_alu 0xfffe
	s_or_b32 exec_lo, exec_lo, s11
	s_delay_alu instid0(SALU_CYCLE_1)
	s_mov_b32 s11, exec_lo
	v_cmpx_gt_u32_e64 s9, v58
	s_cbranch_execnz .LBB532_89
.LBB532_40:                             ;   in Loop: Header=BB532_24 Depth=2
	s_wait_alu 0xfffe
	s_or_b32 exec_lo, exec_lo, s11
	s_delay_alu instid0(SALU_CYCLE_1)
	s_mov_b32 s11, exec_lo
	v_cmpx_gt_u32_e64 s9, v59
	s_cbranch_execnz .LBB532_90
.LBB532_41:                             ;   in Loop: Header=BB532_24 Depth=2
	s_wait_alu 0xfffe
	s_or_b32 exec_lo, exec_lo, s11
	s_delay_alu instid0(SALU_CYCLE_1)
	s_mov_b32 s11, exec_lo
	v_cmpx_gt_u32_e64 s9, v60
	s_cbranch_execnz .LBB532_91
.LBB532_42:                             ;   in Loop: Header=BB532_24 Depth=2
	s_wait_alu 0xfffe
	s_or_b32 exec_lo, exec_lo, s11
	s_delay_alu instid0(SALU_CYCLE_1)
	s_mov_b32 s11, exec_lo
	v_cmpx_gt_u32_e64 s9, v61
	s_cbranch_execz .LBB532_44
.LBB532_43:                             ;   in Loop: Header=BB532_24 Depth=2
	global_load_b32 v2, v108, s[0:1] offset:15360
.LBB532_44:                             ;   in Loop: Header=BB532_24 Depth=2
	s_wait_alu 0xfffe
	s_or_b32 exec_lo, exec_lo, s11
	s_wait_loadcnt 0x0
	v_dual_mov_b32 v19, v18 :: v_dual_mov_b32 v20, v17
	v_dual_mov_b32 v21, v16 :: v_dual_mov_b32 v22, v15
	;; [unrolled: 1-line block ×8, first 2 shown]
	s_mov_b32 s0, s9
.LBB532_45:                             ;   in Loop: Header=BB532_24 Depth=2
	s_wait_loadcnt 0x0
	s_delay_alu instid0(VALU_DEP_1) | instskip(NEXT) | instid1(VALU_DEP_2)
	v_dual_mov_b32 v2, v34 :: v_dual_mov_b32 v5, v32
	v_dual_mov_b32 v4, v33 :: v_dual_mov_b32 v7, v30
	;; [unrolled: 1-line block ×7, first 2 shown]
	v_mov_b32_e32 v16, v21
	v_mov_b32_e32 v18, v19
	s_mov_b32 s1, exec_lo
	s_wait_alu 0xfffe
	v_cmpx_gt_u32_e64 s0, v1
	s_cbranch_execnz .LBB532_61
; %bb.46:                               ;   in Loop: Header=BB532_24 Depth=2
	s_or_b32 exec_lo, exec_lo, s1
	s_delay_alu instid0(SALU_CYCLE_1)
	s_mov_b32 s1, exec_lo
	v_cmpx_gt_u32_e64 s0, v45
	s_cbranch_execnz .LBB532_62
.LBB532_47:                             ;   in Loop: Header=BB532_24 Depth=2
	s_wait_alu 0xfffe
	s_or_b32 exec_lo, exec_lo, s1
	s_delay_alu instid0(SALU_CYCLE_1)
	s_mov_b32 s1, exec_lo
	v_cmpx_gt_u32_e64 s0, v46
	s_cbranch_execnz .LBB532_63
.LBB532_48:                             ;   in Loop: Header=BB532_24 Depth=2
	s_wait_alu 0xfffe
	s_or_b32 exec_lo, exec_lo, s1
	s_delay_alu instid0(SALU_CYCLE_1)
	s_mov_b32 s1, exec_lo
	v_cmpx_gt_u32_e64 s0, v47
	s_cbranch_execnz .LBB532_64
.LBB532_49:                             ;   in Loop: Header=BB532_24 Depth=2
	s_wait_alu 0xfffe
	s_or_b32 exec_lo, exec_lo, s1
	s_delay_alu instid0(SALU_CYCLE_1)
	s_mov_b32 s1, exec_lo
	v_cmpx_gt_u32_e64 s0, v50
	s_cbranch_execnz .LBB532_65
.LBB532_50:                             ;   in Loop: Header=BB532_24 Depth=2
	s_wait_alu 0xfffe
	s_or_b32 exec_lo, exec_lo, s1
	s_delay_alu instid0(SALU_CYCLE_1)
	s_mov_b32 s1, exec_lo
	v_cmpx_gt_u32_e64 s0, v51
	s_cbranch_execnz .LBB532_66
.LBB532_51:                             ;   in Loop: Header=BB532_24 Depth=2
	s_wait_alu 0xfffe
	s_or_b32 exec_lo, exec_lo, s1
	s_delay_alu instid0(SALU_CYCLE_1)
	s_mov_b32 s1, exec_lo
	v_cmpx_gt_u32_e64 s0, v52
	s_cbranch_execnz .LBB532_67
.LBB532_52:                             ;   in Loop: Header=BB532_24 Depth=2
	s_wait_alu 0xfffe
	s_or_b32 exec_lo, exec_lo, s1
	s_delay_alu instid0(SALU_CYCLE_1)
	s_mov_b32 s1, exec_lo
	v_cmpx_gt_u32_e64 s0, v53
	s_cbranch_execnz .LBB532_68
.LBB532_53:                             ;   in Loop: Header=BB532_24 Depth=2
	s_wait_alu 0xfffe
	s_or_b32 exec_lo, exec_lo, s1
	s_delay_alu instid0(SALU_CYCLE_1)
	s_mov_b32 s1, exec_lo
	v_cmpx_gt_u32_e64 s0, v54
	s_cbranch_execnz .LBB532_69
.LBB532_54:                             ;   in Loop: Header=BB532_24 Depth=2
	s_wait_alu 0xfffe
	s_or_b32 exec_lo, exec_lo, s1
	s_delay_alu instid0(SALU_CYCLE_1)
	s_mov_b32 s1, exec_lo
	v_cmpx_gt_u32_e64 s0, v55
	s_cbranch_execnz .LBB532_70
.LBB532_55:                             ;   in Loop: Header=BB532_24 Depth=2
	s_wait_alu 0xfffe
	s_or_b32 exec_lo, exec_lo, s1
	s_delay_alu instid0(SALU_CYCLE_1)
	s_mov_b32 s1, exec_lo
	v_cmpx_gt_u32_e64 s0, v56
	s_cbranch_execnz .LBB532_71
.LBB532_56:                             ;   in Loop: Header=BB532_24 Depth=2
	s_wait_alu 0xfffe
	s_or_b32 exec_lo, exec_lo, s1
	s_delay_alu instid0(SALU_CYCLE_1)
	s_mov_b32 s1, exec_lo
	v_cmpx_gt_u32_e64 s0, v57
	s_cbranch_execnz .LBB532_72
.LBB532_57:                             ;   in Loop: Header=BB532_24 Depth=2
	s_wait_alu 0xfffe
	s_or_b32 exec_lo, exec_lo, s1
	s_delay_alu instid0(SALU_CYCLE_1)
	s_mov_b32 s1, exec_lo
	v_cmpx_gt_u32_e64 s0, v58
	s_cbranch_execnz .LBB532_73
.LBB532_58:                             ;   in Loop: Header=BB532_24 Depth=2
	s_wait_alu 0xfffe
	s_or_b32 exec_lo, exec_lo, s1
	s_delay_alu instid0(SALU_CYCLE_1)
	s_mov_b32 s1, exec_lo
	v_cmpx_gt_u32_e64 s0, v59
	s_cbranch_execnz .LBB532_74
.LBB532_59:                             ;   in Loop: Header=BB532_24 Depth=2
	s_wait_alu 0xfffe
	s_or_b32 exec_lo, exec_lo, s1
	s_delay_alu instid0(SALU_CYCLE_1)
	s_mov_b32 s1, exec_lo
	v_cmpx_gt_u32_e64 s0, v60
	s_cbranch_execnz .LBB532_75
.LBB532_60:                             ;   in Loop: Header=BB532_24 Depth=2
	s_wait_alu 0xfffe
	s_or_b32 exec_lo, exec_lo, s1
	v_cmp_gt_u32_e32 vcc_lo, s0, v61
	s_and_saveexec_b32 s0, vcc_lo
	s_cbranch_execz .LBB532_23
	s_branch .LBB532_76
.LBB532_61:                             ;   in Loop: Header=BB532_24 Depth=2
	v_xor_b32_e32 v19, 0x7fffffff, v18
	s_delay_alu instid0(VALU_DEP_1) | instskip(NEXT) | instid1(VALU_DEP_1)
	v_lshrrev_b32_e32 v19, s31, v19
	v_and_b32_e32 v19, s48, v19
	s_delay_alu instid0(VALU_DEP_1) | instskip(SKIP_2) | instid1(SALU_CYCLE_1)
	v_lshl_or_b32 v19, v19, 4, v62
	ds_add_u32 v19, v84
	s_or_b32 exec_lo, exec_lo, s1
	s_mov_b32 s1, exec_lo
	v_cmpx_gt_u32_e64 s0, v45
	s_cbranch_execz .LBB532_47
.LBB532_62:                             ;   in Loop: Header=BB532_24 Depth=2
	v_xor_b32_e32 v19, 0x7fffffff, v17
	s_delay_alu instid0(VALU_DEP_1) | instskip(NEXT) | instid1(VALU_DEP_1)
	v_lshrrev_b32_e32 v19, s31, v19
	v_and_b32_e32 v19, s48, v19
	s_delay_alu instid0(VALU_DEP_1) | instskip(SKIP_3) | instid1(SALU_CYCLE_1)
	v_lshl_or_b32 v19, v19, 4, v62
	ds_add_u32 v19, v84
	s_wait_alu 0xfffe
	s_or_b32 exec_lo, exec_lo, s1
	s_mov_b32 s1, exec_lo
	v_cmpx_gt_u32_e64 s0, v46
	s_cbranch_execz .LBB532_48
.LBB532_63:                             ;   in Loop: Header=BB532_24 Depth=2
	v_xor_b32_e32 v19, 0x7fffffff, v16
	s_delay_alu instid0(VALU_DEP_1) | instskip(NEXT) | instid1(VALU_DEP_1)
	v_lshrrev_b32_e32 v19, s31, v19
	v_and_b32_e32 v19, s48, v19
	s_delay_alu instid0(VALU_DEP_1) | instskip(SKIP_3) | instid1(SALU_CYCLE_1)
	v_lshl_or_b32 v19, v19, 4, v62
	ds_add_u32 v19, v84
	s_wait_alu 0xfffe
	s_or_b32 exec_lo, exec_lo, s1
	s_mov_b32 s1, exec_lo
	v_cmpx_gt_u32_e64 s0, v47
	s_cbranch_execz .LBB532_49
.LBB532_64:                             ;   in Loop: Header=BB532_24 Depth=2
	v_xor_b32_e32 v19, 0x7fffffff, v15
	s_delay_alu instid0(VALU_DEP_1) | instskip(NEXT) | instid1(VALU_DEP_1)
	v_lshrrev_b32_e32 v19, s31, v19
	v_and_b32_e32 v19, s48, v19
	s_delay_alu instid0(VALU_DEP_1) | instskip(SKIP_3) | instid1(SALU_CYCLE_1)
	v_lshl_or_b32 v19, v19, 4, v62
	ds_add_u32 v19, v84
	s_wait_alu 0xfffe
	s_or_b32 exec_lo, exec_lo, s1
	s_mov_b32 s1, exec_lo
	v_cmpx_gt_u32_e64 s0, v50
	s_cbranch_execz .LBB532_50
.LBB532_65:                             ;   in Loop: Header=BB532_24 Depth=2
	v_xor_b32_e32 v19, 0x7fffffff, v14
	s_delay_alu instid0(VALU_DEP_1) | instskip(NEXT) | instid1(VALU_DEP_1)
	v_lshrrev_b32_e32 v19, s31, v19
	v_and_b32_e32 v19, s48, v19
	s_delay_alu instid0(VALU_DEP_1) | instskip(SKIP_3) | instid1(SALU_CYCLE_1)
	v_lshl_or_b32 v19, v19, 4, v62
	ds_add_u32 v19, v84
	s_wait_alu 0xfffe
	s_or_b32 exec_lo, exec_lo, s1
	s_mov_b32 s1, exec_lo
	v_cmpx_gt_u32_e64 s0, v51
	s_cbranch_execz .LBB532_51
.LBB532_66:                             ;   in Loop: Header=BB532_24 Depth=2
	v_xor_b32_e32 v19, 0x7fffffff, v13
	s_delay_alu instid0(VALU_DEP_1) | instskip(NEXT) | instid1(VALU_DEP_1)
	v_lshrrev_b32_e32 v19, s31, v19
	v_and_b32_e32 v19, s48, v19
	s_delay_alu instid0(VALU_DEP_1) | instskip(SKIP_3) | instid1(SALU_CYCLE_1)
	v_lshl_or_b32 v19, v19, 4, v62
	ds_add_u32 v19, v84
	s_wait_alu 0xfffe
	s_or_b32 exec_lo, exec_lo, s1
	s_mov_b32 s1, exec_lo
	v_cmpx_gt_u32_e64 s0, v52
	s_cbranch_execz .LBB532_52
.LBB532_67:                             ;   in Loop: Header=BB532_24 Depth=2
	v_xor_b32_e32 v19, 0x7fffffff, v12
	s_delay_alu instid0(VALU_DEP_1) | instskip(NEXT) | instid1(VALU_DEP_1)
	v_lshrrev_b32_e32 v19, s31, v19
	v_and_b32_e32 v19, s48, v19
	s_delay_alu instid0(VALU_DEP_1) | instskip(SKIP_3) | instid1(SALU_CYCLE_1)
	v_lshl_or_b32 v19, v19, 4, v62
	ds_add_u32 v19, v84
	s_wait_alu 0xfffe
	s_or_b32 exec_lo, exec_lo, s1
	s_mov_b32 s1, exec_lo
	v_cmpx_gt_u32_e64 s0, v53
	s_cbranch_execz .LBB532_53
.LBB532_68:                             ;   in Loop: Header=BB532_24 Depth=2
	v_xor_b32_e32 v19, 0x7fffffff, v11
	s_delay_alu instid0(VALU_DEP_1) | instskip(NEXT) | instid1(VALU_DEP_1)
	v_lshrrev_b32_e32 v19, s31, v19
	v_and_b32_e32 v19, s48, v19
	s_delay_alu instid0(VALU_DEP_1) | instskip(SKIP_3) | instid1(SALU_CYCLE_1)
	v_lshl_or_b32 v19, v19, 4, v62
	ds_add_u32 v19, v84
	s_wait_alu 0xfffe
	s_or_b32 exec_lo, exec_lo, s1
	s_mov_b32 s1, exec_lo
	v_cmpx_gt_u32_e64 s0, v54
	s_cbranch_execz .LBB532_54
.LBB532_69:                             ;   in Loop: Header=BB532_24 Depth=2
	v_xor_b32_e32 v19, 0x7fffffff, v10
	s_delay_alu instid0(VALU_DEP_1) | instskip(NEXT) | instid1(VALU_DEP_1)
	v_lshrrev_b32_e32 v19, s31, v19
	v_and_b32_e32 v19, s48, v19
	s_delay_alu instid0(VALU_DEP_1) | instskip(SKIP_3) | instid1(SALU_CYCLE_1)
	v_lshl_or_b32 v19, v19, 4, v62
	ds_add_u32 v19, v84
	s_wait_alu 0xfffe
	s_or_b32 exec_lo, exec_lo, s1
	s_mov_b32 s1, exec_lo
	v_cmpx_gt_u32_e64 s0, v55
	s_cbranch_execz .LBB532_55
.LBB532_70:                             ;   in Loop: Header=BB532_24 Depth=2
	v_xor_b32_e32 v19, 0x7fffffff, v9
	s_delay_alu instid0(VALU_DEP_1) | instskip(NEXT) | instid1(VALU_DEP_1)
	v_lshrrev_b32_e32 v19, s31, v19
	v_and_b32_e32 v19, s48, v19
	s_delay_alu instid0(VALU_DEP_1) | instskip(SKIP_3) | instid1(SALU_CYCLE_1)
	v_lshl_or_b32 v19, v19, 4, v62
	ds_add_u32 v19, v84
	s_wait_alu 0xfffe
	s_or_b32 exec_lo, exec_lo, s1
	s_mov_b32 s1, exec_lo
	v_cmpx_gt_u32_e64 s0, v56
	s_cbranch_execz .LBB532_56
.LBB532_71:                             ;   in Loop: Header=BB532_24 Depth=2
	v_xor_b32_e32 v19, 0x7fffffff, v8
	s_delay_alu instid0(VALU_DEP_1) | instskip(NEXT) | instid1(VALU_DEP_1)
	v_lshrrev_b32_e32 v19, s31, v19
	v_and_b32_e32 v19, s48, v19
	s_delay_alu instid0(VALU_DEP_1) | instskip(SKIP_3) | instid1(SALU_CYCLE_1)
	v_lshl_or_b32 v19, v19, 4, v62
	ds_add_u32 v19, v84
	s_wait_alu 0xfffe
	s_or_b32 exec_lo, exec_lo, s1
	s_mov_b32 s1, exec_lo
	v_cmpx_gt_u32_e64 s0, v57
	s_cbranch_execz .LBB532_57
.LBB532_72:                             ;   in Loop: Header=BB532_24 Depth=2
	v_xor_b32_e32 v19, 0x7fffffff, v7
	s_delay_alu instid0(VALU_DEP_1) | instskip(NEXT) | instid1(VALU_DEP_1)
	v_lshrrev_b32_e32 v19, s31, v19
	v_and_b32_e32 v19, s48, v19
	s_delay_alu instid0(VALU_DEP_1) | instskip(SKIP_3) | instid1(SALU_CYCLE_1)
	v_lshl_or_b32 v19, v19, 4, v62
	ds_add_u32 v19, v84
	s_wait_alu 0xfffe
	s_or_b32 exec_lo, exec_lo, s1
	s_mov_b32 s1, exec_lo
	v_cmpx_gt_u32_e64 s0, v58
	s_cbranch_execz .LBB532_58
.LBB532_73:                             ;   in Loop: Header=BB532_24 Depth=2
	v_xor_b32_e32 v19, 0x7fffffff, v6
	s_delay_alu instid0(VALU_DEP_1) | instskip(NEXT) | instid1(VALU_DEP_1)
	v_lshrrev_b32_e32 v19, s31, v19
	v_and_b32_e32 v19, s48, v19
	s_delay_alu instid0(VALU_DEP_1) | instskip(SKIP_3) | instid1(SALU_CYCLE_1)
	v_lshl_or_b32 v19, v19, 4, v62
	ds_add_u32 v19, v84
	s_wait_alu 0xfffe
	s_or_b32 exec_lo, exec_lo, s1
	s_mov_b32 s1, exec_lo
	v_cmpx_gt_u32_e64 s0, v59
	s_cbranch_execz .LBB532_59
.LBB532_74:                             ;   in Loop: Header=BB532_24 Depth=2
	v_xor_b32_e32 v19, 0x7fffffff, v5
	s_delay_alu instid0(VALU_DEP_1) | instskip(NEXT) | instid1(VALU_DEP_1)
	v_lshrrev_b32_e32 v19, s31, v19
	v_and_b32_e32 v19, s48, v19
	s_delay_alu instid0(VALU_DEP_1) | instskip(SKIP_3) | instid1(SALU_CYCLE_1)
	v_lshl_or_b32 v19, v19, 4, v62
	ds_add_u32 v19, v84
	s_wait_alu 0xfffe
	s_or_b32 exec_lo, exec_lo, s1
	s_mov_b32 s1, exec_lo
	v_cmpx_gt_u32_e64 s0, v60
	s_cbranch_execz .LBB532_60
.LBB532_75:                             ;   in Loop: Header=BB532_24 Depth=2
	v_xor_b32_e32 v19, 0x7fffffff, v4
	s_delay_alu instid0(VALU_DEP_1) | instskip(NEXT) | instid1(VALU_DEP_1)
	v_lshrrev_b32_e32 v19, s31, v19
	v_and_b32_e32 v19, s48, v19
	s_delay_alu instid0(VALU_DEP_1)
	v_lshl_or_b32 v19, v19, 4, v62
	ds_add_u32 v19, v84
	s_wait_alu 0xfffe
	s_or_b32 exec_lo, exec_lo, s1
	v_cmp_gt_u32_e32 vcc_lo, s0, v61
	s_and_saveexec_b32 s0, vcc_lo
	s_cbranch_execz .LBB532_23
.LBB532_76:                             ;   in Loop: Header=BB532_24 Depth=2
	v_xor_b32_e32 v19, 0x7fffffff, v2
	s_delay_alu instid0(VALU_DEP_1) | instskip(NEXT) | instid1(VALU_DEP_1)
	v_lshrrev_b32_e32 v19, s31, v19
	v_and_b32_e32 v19, s48, v19
	s_delay_alu instid0(VALU_DEP_1)
	v_lshl_or_b32 v19, v19, 4, v62
	ds_add_u32 v19, v84
	s_branch .LBB532_23
.LBB532_77:                             ;   in Loop: Header=BB532_24 Depth=2
	global_load_b32 v18, v108, s[0:1]
	s_or_b32 exec_lo, exec_lo, s11
	s_delay_alu instid0(SALU_CYCLE_1)
	s_mov_b32 s11, exec_lo
	v_cmpx_gt_u32_e64 s9, v45
	s_cbranch_execz .LBB532_29
.LBB532_78:                             ;   in Loop: Header=BB532_24 Depth=2
	global_load_b32 v17, v108, s[0:1] offset:1024
	s_wait_alu 0xfffe
	s_or_b32 exec_lo, exec_lo, s11
	s_delay_alu instid0(SALU_CYCLE_1)
	s_mov_b32 s11, exec_lo
	v_cmpx_gt_u32_e64 s9, v46
	s_cbranch_execz .LBB532_30
.LBB532_79:                             ;   in Loop: Header=BB532_24 Depth=2
	global_load_b32 v16, v108, s[0:1] offset:2048
	s_wait_alu 0xfffe
	s_or_b32 exec_lo, exec_lo, s11
	s_delay_alu instid0(SALU_CYCLE_1)
	s_mov_b32 s11, exec_lo
	v_cmpx_gt_u32_e64 s9, v47
	s_cbranch_execz .LBB532_31
.LBB532_80:                             ;   in Loop: Header=BB532_24 Depth=2
	global_load_b32 v15, v108, s[0:1] offset:3072
	s_wait_alu 0xfffe
	s_or_b32 exec_lo, exec_lo, s11
	s_delay_alu instid0(SALU_CYCLE_1)
	s_mov_b32 s11, exec_lo
	v_cmpx_gt_u32_e64 s9, v50
	s_cbranch_execz .LBB532_32
.LBB532_81:                             ;   in Loop: Header=BB532_24 Depth=2
	global_load_b32 v14, v108, s[0:1] offset:4096
	s_wait_alu 0xfffe
	s_or_b32 exec_lo, exec_lo, s11
	s_delay_alu instid0(SALU_CYCLE_1)
	s_mov_b32 s11, exec_lo
	v_cmpx_gt_u32_e64 s9, v51
	s_cbranch_execz .LBB532_33
.LBB532_82:                             ;   in Loop: Header=BB532_24 Depth=2
	global_load_b32 v13, v108, s[0:1] offset:5120
	s_wait_alu 0xfffe
	s_or_b32 exec_lo, exec_lo, s11
	s_delay_alu instid0(SALU_CYCLE_1)
	s_mov_b32 s11, exec_lo
	v_cmpx_gt_u32_e64 s9, v52
	s_cbranch_execz .LBB532_34
.LBB532_83:                             ;   in Loop: Header=BB532_24 Depth=2
	global_load_b32 v12, v108, s[0:1] offset:6144
	s_wait_alu 0xfffe
	s_or_b32 exec_lo, exec_lo, s11
	s_delay_alu instid0(SALU_CYCLE_1)
	s_mov_b32 s11, exec_lo
	v_cmpx_gt_u32_e64 s9, v53
	s_cbranch_execz .LBB532_35
.LBB532_84:                             ;   in Loop: Header=BB532_24 Depth=2
	global_load_b32 v11, v108, s[0:1] offset:7168
	s_wait_alu 0xfffe
	s_or_b32 exec_lo, exec_lo, s11
	s_delay_alu instid0(SALU_CYCLE_1)
	s_mov_b32 s11, exec_lo
	v_cmpx_gt_u32_e64 s9, v54
	s_cbranch_execz .LBB532_36
.LBB532_85:                             ;   in Loop: Header=BB532_24 Depth=2
	global_load_b32 v10, v108, s[0:1] offset:8192
	s_wait_alu 0xfffe
	s_or_b32 exec_lo, exec_lo, s11
	s_delay_alu instid0(SALU_CYCLE_1)
	s_mov_b32 s11, exec_lo
	v_cmpx_gt_u32_e64 s9, v55
	s_cbranch_execz .LBB532_37
.LBB532_86:                             ;   in Loop: Header=BB532_24 Depth=2
	global_load_b32 v9, v108, s[0:1] offset:9216
	s_wait_alu 0xfffe
	s_or_b32 exec_lo, exec_lo, s11
	s_delay_alu instid0(SALU_CYCLE_1)
	s_mov_b32 s11, exec_lo
	v_cmpx_gt_u32_e64 s9, v56
	s_cbranch_execz .LBB532_38
.LBB532_87:                             ;   in Loop: Header=BB532_24 Depth=2
	global_load_b32 v8, v108, s[0:1] offset:10240
	s_wait_alu 0xfffe
	s_or_b32 exec_lo, exec_lo, s11
	s_delay_alu instid0(SALU_CYCLE_1)
	s_mov_b32 s11, exec_lo
	v_cmpx_gt_u32_e64 s9, v57
	s_cbranch_execz .LBB532_39
.LBB532_88:                             ;   in Loop: Header=BB532_24 Depth=2
	global_load_b32 v7, v108, s[0:1] offset:11264
	s_wait_alu 0xfffe
	s_or_b32 exec_lo, exec_lo, s11
	s_delay_alu instid0(SALU_CYCLE_1)
	s_mov_b32 s11, exec_lo
	v_cmpx_gt_u32_e64 s9, v58
	s_cbranch_execz .LBB532_40
.LBB532_89:                             ;   in Loop: Header=BB532_24 Depth=2
	global_load_b32 v6, v108, s[0:1] offset:12288
	s_wait_alu 0xfffe
	s_or_b32 exec_lo, exec_lo, s11
	s_delay_alu instid0(SALU_CYCLE_1)
	s_mov_b32 s11, exec_lo
	v_cmpx_gt_u32_e64 s9, v59
	s_cbranch_execz .LBB532_41
.LBB532_90:                             ;   in Loop: Header=BB532_24 Depth=2
	global_load_b32 v5, v108, s[0:1] offset:13312
	s_wait_alu 0xfffe
	s_or_b32 exec_lo, exec_lo, s11
	s_delay_alu instid0(SALU_CYCLE_1)
	s_mov_b32 s11, exec_lo
	v_cmpx_gt_u32_e64 s9, v60
	s_cbranch_execz .LBB532_42
.LBB532_91:                             ;   in Loop: Header=BB532_24 Depth=2
	global_load_b32 v4, v108, s[0:1] offset:14336
	s_wait_alu 0xfffe
	s_or_b32 exec_lo, exec_lo, s11
	s_delay_alu instid0(SALU_CYCLE_1)
	s_mov_b32 s11, exec_lo
	v_cmpx_gt_u32_e64 s9, v61
	s_cbranch_execnz .LBB532_43
	s_branch .LBB532_44
.LBB532_92:                             ;   in Loop: Header=BB532_20 Depth=1
	v_mov_b32_e32 v2, 0
	s_wait_dscnt 0x0
	s_barrier_signal -1
	s_barrier_wait -1
	global_inv scope:SCOPE_SE
	s_and_saveexec_b32 s0, s2
	s_cbranch_execz .LBB532_94
; %bb.93:                               ;   in Loop: Header=BB532_20 Depth=1
	ds_load_2addr_b64 v[4:7], v64 offset1:1
	s_wait_dscnt 0x0
	v_add_nc_u32_e32 v2, v5, v4
	s_delay_alu instid0(VALU_DEP_1)
	v_add3_u32 v2, v2, v6, v7
.LBB532_94:                             ;   in Loop: Header=BB532_20 Depth=1
	s_wait_alu 0xfffe
	s_or_b32 exec_lo, exec_lo, s0
	s_delay_alu instid0(VALU_DEP_1)
	v_mov_b32_dpp v4, v2 row_shr:1 row_mask:0xf bank_mask:0xf
	v_cmp_eq_u32_e64 s0, 0, v85
	v_cmp_lt_u32_e64 s1, 1, v85
	v_cmp_lt_u32_e64 s9, 3, v85
	v_cmp_lt_u32_e64 s10, 7, v85
	v_cmp_eq_u32_e64 s11, 0, v87
	s_wait_alu 0xf1ff
	v_cndmask_b32_e64 v4, v4, 0, s0
	s_delay_alu instid0(VALU_DEP_1) | instskip(NEXT) | instid1(VALU_DEP_1)
	v_add_nc_u32_e32 v2, v4, v2
	v_mov_b32_dpp v4, v2 row_shr:2 row_mask:0xf bank_mask:0xf
	s_delay_alu instid0(VALU_DEP_1) | instskip(NEXT) | instid1(VALU_DEP_1)
	v_cndmask_b32_e64 v4, 0, v4, s1
	v_add_nc_u32_e32 v2, v2, v4
	s_delay_alu instid0(VALU_DEP_1) | instskip(NEXT) | instid1(VALU_DEP_1)
	v_mov_b32_dpp v4, v2 row_shr:4 row_mask:0xf bank_mask:0xf
	v_cndmask_b32_e64 v4, 0, v4, s9
	s_delay_alu instid0(VALU_DEP_1) | instskip(NEXT) | instid1(VALU_DEP_1)
	v_add_nc_u32_e32 v2, v2, v4
	v_mov_b32_dpp v4, v2 row_shr:8 row_mask:0xf bank_mask:0xf
	s_delay_alu instid0(VALU_DEP_1) | instskip(NEXT) | instid1(VALU_DEP_1)
	v_cndmask_b32_e64 v4, 0, v4, s10
	v_add_nc_u32_e32 v2, v2, v4
	ds_swizzle_b32 v4, v2 offset:swizzle(BROADCAST,32,15)
	s_wait_dscnt 0x0
	v_and_b32_e32 v4, v86, v4
	s_delay_alu instid0(VALU_DEP_1)
	v_add_nc_u32_e32 v2, v2, v4
	s_and_saveexec_b32 s12, s3
; %bb.95:                               ;   in Loop: Header=BB532_20 Depth=1
	ds_store_b32 v65, v2
; %bb.96:                               ;   in Loop: Header=BB532_20 Depth=1
	s_wait_alu 0xfffe
	s_or_b32 exec_lo, exec_lo, s12
	s_wait_loadcnt_dscnt 0x0
	s_barrier_signal -1
	s_barrier_wait -1
	global_inv scope:SCOPE_SE
	s_and_saveexec_b32 s12, s4
	s_cbranch_execz .LBB532_98
; %bb.97:                               ;   in Loop: Header=BB532_20 Depth=1
	ds_load_b32 v4, v66
	v_cmp_ne_u32_e32 vcc_lo, 0, v89
	s_wait_dscnt 0x0
	v_mov_b32_dpp v5, v4 row_shr:1 row_mask:0xf bank_mask:0xf
	s_wait_alu 0xfffd
	s_delay_alu instid0(VALU_DEP_1) | instskip(SKIP_1) | instid1(VALU_DEP_2)
	v_cndmask_b32_e32 v5, 0, v5, vcc_lo
	v_cmp_lt_u32_e32 vcc_lo, 1, v89
	v_add_nc_u32_e32 v4, v5, v4
	s_delay_alu instid0(VALU_DEP_1) | instskip(SKIP_1) | instid1(VALU_DEP_1)
	v_mov_b32_dpp v5, v4 row_shr:2 row_mask:0xf bank_mask:0xf
	s_wait_alu 0xfffd
	v_cndmask_b32_e32 v5, 0, v5, vcc_lo
	v_cmp_lt_u32_e32 vcc_lo, 3, v89
	s_delay_alu instid0(VALU_DEP_2) | instskip(NEXT) | instid1(VALU_DEP_1)
	v_add_nc_u32_e32 v4, v4, v5
	v_mov_b32_dpp v5, v4 row_shr:4 row_mask:0xf bank_mask:0xf
	s_wait_alu 0xfffd
	s_delay_alu instid0(VALU_DEP_1) | instskip(NEXT) | instid1(VALU_DEP_1)
	v_cndmask_b32_e32 v5, 0, v5, vcc_lo
	v_add_nc_u32_e32 v4, v4, v5
	ds_store_b32 v66, v4
.LBB532_98:                             ;   in Loop: Header=BB532_20 Depth=1
	s_wait_alu 0xfffe
	s_or_b32 exec_lo, exec_lo, s12
	v_mov_b32_e32 v4, 0
	s_wait_loadcnt_dscnt 0x0
	s_barrier_signal -1
	s_barrier_wait -1
	global_inv scope:SCOPE_SE
	s_and_saveexec_b32 s12, s5
; %bb.99:                               ;   in Loop: Header=BB532_20 Depth=1
	ds_load_b32 v4, v68
; %bb.100:                              ;   in Loop: Header=BB532_20 Depth=1
	s_wait_alu 0xfffe
	s_or_b32 exec_lo, exec_lo, s12
	v_cmp_gt_i32_e32 vcc_lo, 0, v90
	s_wait_loadcnt_dscnt 0x0
	s_barrier_signal -1
	s_barrier_wait -1
	global_inv scope:SCOPE_SE
	s_wait_alu 0xfffd
	v_dual_cndmask_b32 v5, v90, v81 :: v_dual_add_nc_u32 v2, v4, v2
	s_delay_alu instid0(VALU_DEP_1)
	v_lshlrev_b32_e32 v113, 2, v5
	ds_bpermute_b32 v2, v113, v2
	s_and_saveexec_b32 s12, s2
	s_cbranch_execz .LBB532_102
; %bb.101:                              ;   in Loop: Header=BB532_20 Depth=1
	s_wait_dscnt 0x0
	v_cndmask_b32_e64 v2, v2, v4, s8
	s_delay_alu instid0(VALU_DEP_1)
	v_add_nc_u32_e32 v2, s33, v2
	ds_store_b32 v44, v2
.LBB532_102:                            ;   in Loop: Header=BB532_20 Depth=1
	s_wait_alu 0xfffe
	s_or_b32 exec_lo, exec_lo, s12
	s_clause 0x1
	s_load_b32 s12, s[34:35], 0x4
	s_load_b32 s14, s[34:35], 0xc
	s_mov_b32 s54, s53
                                        ; implicit-def: $vgpr6_vgpr7
                                        ; implicit-def: $vgpr8_vgpr9
                                        ; implicit-def: $vgpr10_vgpr11
                                        ; implicit-def: $vgpr12_vgpr13
                                        ; implicit-def: $vgpr14_vgpr15
                                        ; implicit-def: $vgpr16_vgpr17
                                        ; implicit-def: $vgpr18_vgpr19
                                        ; implicit-def: $vgpr20_vgpr21
                                        ; implicit-def: $vgpr22_vgpr23
                                        ; implicit-def: $vgpr24_vgpr25
                                        ; implicit-def: $vgpr26_vgpr27
                                        ; implicit-def: $vgpr28_vgpr29
                                        ; implicit-def: $vgpr30_vgpr31
                                        ; implicit-def: $vgpr32_vgpr33
                                        ; implicit-def: $vgpr34_vgpr35
                                        ; implicit-def: $vgpr115
                                        ; implicit-def: $vgpr116
                                        ; implicit-def: $vgpr117
                                        ; implicit-def: $vgpr118
                                        ; implicit-def: $vgpr119
                                        ; implicit-def: $vgpr120
                                        ; implicit-def: $vgpr121
                                        ; implicit-def: $vgpr122
                                        ; implicit-def: $vgpr123
                                        ; implicit-def: $vgpr124
                                        ; implicit-def: $vgpr125
                                        ; implicit-def: $vgpr126
                                        ; implicit-def: $vgpr127
                                        ; implicit-def: $vgpr128
                                        ; implicit-def: $vgpr129
                                        ; implicit-def: $vgpr130
	s_wait_kmcnt 0x0
	s_cmp_lt_u32 ttmp7, s12
	s_cselect_b32 s42, 14, 20
	s_wait_alu 0xfffe
	s_add_nc_u64 s[12:13], s[34:35], s[42:43]
	s_mov_b32 s42, s33
	s_load_u16 s12, s[12:13], 0x0
	v_cmp_lt_u32_e64 s13, 1, v89
	s_wait_dscnt 0x0
	s_wait_kmcnt 0x0
	v_mad_u32_u24 v2, v69, s12, v0
	s_and_b32 s12, s14, 0xffff
	v_cmp_lt_u32_e64 s14, 3, v89
	s_wait_alu 0xfffe
	s_delay_alu instid0(VALU_DEP_2) | instskip(SKIP_1) | instid1(VALU_DEP_2)
	v_mad_co_u64_u32 v[4:5], null, v2, s12, v[1:2]
	v_cmp_eq_u32_e64 s12, 0, v89
	v_lshrrev_b32_e32 v2, 3, v4
                                        ; implicit-def: $vgpr4_vgpr5
	s_delay_alu instid0(VALU_DEP_1)
	v_and_b32_e32 v114, 0x1ffffffc, v2
	s_branch .LBB532_104
.LBB532_103:                            ;   in Loop: Header=BB532_104 Depth=2
	s_wait_alu 0xfffe
	s_or_b32 exec_lo, exec_lo, s15
	s_addk_co_i32 s54, 0xf000
	s_cmp_lt_u32 s55, s51
	s_mov_b32 s42, s55
	s_cbranch_scc0 .LBB532_312
.LBB532_104:                            ;   Parent Loop BB532_20 Depth=1
                                        ; =>  This Inner Loop Header: Depth=2
	s_wait_alu 0xfffe
	s_add_co_i32 s55, s42, 0x1000
	s_wait_alu 0xfffe
	s_cmp_gt_u32 s55, s51
	s_cbranch_scc1 .LBB532_106
; %bb.105:                              ;   in Loop: Header=BB532_104 Depth=2
	s_lshl_b64 s[16:17], s[42:43], 2
	s_mov_b32 s15, -1
	s_wait_alu 0xfffe
	v_add_co_u32 v36, vcc_lo, v111, s16
	s_wait_alu 0xfffd
	v_add_co_ci_u32_e64 v37, null, s17, v112, vcc_lo
	s_clause 0xe
	global_load_b32 v132, v[36:37], off
	global_load_b32 v133, v[36:37], off offset:128
	global_load_b32 v140, v[36:37], off offset:256
	global_load_b32 v144, v[36:37], off offset:384
	global_load_b32 v148, v[36:37], off offset:512
	global_load_b32 v152, v[36:37], off offset:640
	global_load_b32 v156, v[36:37], off offset:768
	global_load_b32 v160, v[36:37], off offset:896
	global_load_b32 v163, v[36:37], off offset:1024
	global_load_b32 v43, v[36:37], off offset:1152
	global_load_b32 v42, v[36:37], off offset:1280
	global_load_b32 v41, v[36:37], off offset:1408
	global_load_b32 v40, v[36:37], off offset:1536
	global_load_b32 v39, v[36:37], off offset:1664
	global_load_b32 v38, v[36:37], off offset:1792
	s_movk_i32 s16, 0x1000
	s_cbranch_execz .LBB532_107
	s_branch .LBB532_138
.LBB532_106:                            ;   in Loop: Header=BB532_104 Depth=2
	s_mov_b32 s15, 0
                                        ; implicit-def: $vgpr132
                                        ; implicit-def: $vgpr133
                                        ; implicit-def: $vgpr140
                                        ; implicit-def: $vgpr144
                                        ; implicit-def: $vgpr148
                                        ; implicit-def: $vgpr152
                                        ; implicit-def: $vgpr156
                                        ; implicit-def: $vgpr160
                                        ; implicit-def: $vgpr163
                                        ; implicit-def: $vgpr43
                                        ; implicit-def: $vgpr42
                                        ; implicit-def: $vgpr41
                                        ; implicit-def: $vgpr40
                                        ; implicit-def: $vgpr39
                                        ; implicit-def: $vgpr38
	s_movk_i32 s16, 0x1000
.LBB532_107:                            ;   in Loop: Header=BB532_104 Depth=2
	s_lshl_b64 s[16:17], s[42:43], 2
	s_wait_loadcnt 0xd
	v_bfrev_b32_e32 v133, 1
	s_wait_alu 0xfffe
	v_add_co_u32 v36, vcc_lo, v111, s16
	s_wait_alu 0xfffd
	v_add_co_ci_u32_e64 v37, null, s17, v112, vcc_lo
	v_bfrev_b32_e32 v132, 1
	s_mov_b32 s15, exec_lo
	v_cmpx_gt_u32_e64 s54, v88
	s_cbranch_execz .LBB532_109
; %bb.108:                              ;   in Loop: Header=BB532_104 Depth=2
	global_load_b32 v132, v[36:37], off
.LBB532_109:                            ;   in Loop: Header=BB532_104 Depth=2
	s_wait_alu 0xfffe
	s_or_b32 exec_lo, exec_lo, s15
	s_delay_alu instid0(SALU_CYCLE_1)
	s_mov_b32 s15, exec_lo
	v_cmpx_gt_u32_e64 s54, v92
	s_cbranch_execz .LBB532_111
; %bb.110:                              ;   in Loop: Header=BB532_104 Depth=2
	global_load_b32 v133, v[36:37], off offset:128
.LBB532_111:                            ;   in Loop: Header=BB532_104 Depth=2
	s_wait_alu 0xfffe
	s_or_b32 exec_lo, exec_lo, s15
	s_wait_loadcnt 0xb
	v_bfrev_b32_e32 v144, 1
	v_bfrev_b32_e32 v140, 1
	s_mov_b32 s15, exec_lo
	v_cmpx_gt_u32_e64 s54, v93
	s_cbranch_execz .LBB532_113
; %bb.112:                              ;   in Loop: Header=BB532_104 Depth=2
	global_load_b32 v140, v[36:37], off offset:256
.LBB532_113:                            ;   in Loop: Header=BB532_104 Depth=2
	s_wait_alu 0xfffe
	s_or_b32 exec_lo, exec_lo, s15
	s_delay_alu instid0(SALU_CYCLE_1)
	s_mov_b32 s15, exec_lo
	v_cmpx_gt_u32_e64 s54, v94
	s_cbranch_execz .LBB532_115
; %bb.114:                              ;   in Loop: Header=BB532_104 Depth=2
	global_load_b32 v144, v[36:37], off offset:384
.LBB532_115:                            ;   in Loop: Header=BB532_104 Depth=2
	s_wait_alu 0xfffe
	s_or_b32 exec_lo, exec_lo, s15
	s_wait_loadcnt 0x9
	v_bfrev_b32_e32 v152, 1
	v_bfrev_b32_e32 v148, 1
	s_mov_b32 s15, exec_lo
	v_cmpx_gt_u32_e64 s54, v95
	s_cbranch_execz .LBB532_117
; %bb.116:                              ;   in Loop: Header=BB532_104 Depth=2
	global_load_b32 v148, v[36:37], off offset:512
.LBB532_117:                            ;   in Loop: Header=BB532_104 Depth=2
	s_wait_alu 0xfffe
	s_or_b32 exec_lo, exec_lo, s15
	s_delay_alu instid0(SALU_CYCLE_1)
	s_mov_b32 s15, exec_lo
	v_cmpx_gt_u32_e64 s54, v96
	s_cbranch_execz .LBB532_119
; %bb.118:                              ;   in Loop: Header=BB532_104 Depth=2
	global_load_b32 v152, v[36:37], off offset:640
.LBB532_119:                            ;   in Loop: Header=BB532_104 Depth=2
	s_wait_alu 0xfffe
	s_or_b32 exec_lo, exec_lo, s15
	s_wait_loadcnt 0x7
	v_bfrev_b32_e32 v160, 1
	v_bfrev_b32_e32 v156, 1
	s_mov_b32 s15, exec_lo
	v_cmpx_gt_u32_e64 s54, v97
	s_cbranch_execz .LBB532_121
; %bb.120:                              ;   in Loop: Header=BB532_104 Depth=2
	global_load_b32 v156, v[36:37], off offset:768
.LBB532_121:                            ;   in Loop: Header=BB532_104 Depth=2
	s_wait_alu 0xfffe
	s_or_b32 exec_lo, exec_lo, s15
	s_delay_alu instid0(SALU_CYCLE_1)
	s_mov_b32 s15, exec_lo
	v_cmpx_gt_u32_e64 s54, v98
	s_cbranch_execz .LBB532_123
; %bb.122:                              ;   in Loop: Header=BB532_104 Depth=2
	global_load_b32 v160, v[36:37], off offset:896
.LBB532_123:                            ;   in Loop: Header=BB532_104 Depth=2
	s_wait_alu 0xfffe
	s_or_b32 exec_lo, exec_lo, s15
	s_wait_loadcnt 0x5
	v_bfrev_b32_e32 v43, 1
	v_bfrev_b32_e32 v163, 1
	s_mov_b32 s15, exec_lo
	v_cmpx_gt_u32_e64 s54, v99
	s_cbranch_execz .LBB532_125
; %bb.124:                              ;   in Loop: Header=BB532_104 Depth=2
	global_load_b32 v163, v[36:37], off offset:1024
.LBB532_125:                            ;   in Loop: Header=BB532_104 Depth=2
	s_wait_alu 0xfffe
	s_or_b32 exec_lo, exec_lo, s15
	s_delay_alu instid0(SALU_CYCLE_1)
	s_mov_b32 s15, exec_lo
	v_cmpx_gt_u32_e64 s54, v100
	s_cbranch_execz .LBB532_127
; %bb.126:                              ;   in Loop: Header=BB532_104 Depth=2
	global_load_b32 v43, v[36:37], off offset:1152
.LBB532_127:                            ;   in Loop: Header=BB532_104 Depth=2
	s_wait_alu 0xfffe
	s_or_b32 exec_lo, exec_lo, s15
	s_wait_loadcnt 0x3
	v_bfrev_b32_e32 v41, 1
	v_bfrev_b32_e32 v42, 1
	s_mov_b32 s15, exec_lo
	v_cmpx_gt_u32_e64 s54, v101
	s_cbranch_execz .LBB532_129
; %bb.128:                              ;   in Loop: Header=BB532_104 Depth=2
	global_load_b32 v42, v[36:37], off offset:1280
.LBB532_129:                            ;   in Loop: Header=BB532_104 Depth=2
	s_wait_alu 0xfffe
	s_or_b32 exec_lo, exec_lo, s15
	s_delay_alu instid0(SALU_CYCLE_1)
	s_mov_b32 s15, exec_lo
	v_cmpx_gt_u32_e64 s54, v102
	s_cbranch_execz .LBB532_131
; %bb.130:                              ;   in Loop: Header=BB532_104 Depth=2
	global_load_b32 v41, v[36:37], off offset:1408
.LBB532_131:                            ;   in Loop: Header=BB532_104 Depth=2
	s_wait_alu 0xfffe
	s_or_b32 exec_lo, exec_lo, s15
	s_wait_loadcnt 0x1
	v_bfrev_b32_e32 v39, 1
	v_bfrev_b32_e32 v40, 1
	s_mov_b32 s15, exec_lo
	v_cmpx_gt_u32_e64 s54, v103
	s_cbranch_execz .LBB532_133
; %bb.132:                              ;   in Loop: Header=BB532_104 Depth=2
	global_load_b32 v40, v[36:37], off offset:1536
.LBB532_133:                            ;   in Loop: Header=BB532_104 Depth=2
	s_wait_alu 0xfffe
	s_or_b32 exec_lo, exec_lo, s15
	s_delay_alu instid0(SALU_CYCLE_1)
	s_mov_b32 s15, exec_lo
	v_cmpx_gt_u32_e64 s54, v104
	s_cbranch_execz .LBB532_135
; %bb.134:                              ;   in Loop: Header=BB532_104 Depth=2
	global_load_b32 v39, v[36:37], off offset:1664
.LBB532_135:                            ;   in Loop: Header=BB532_104 Depth=2
	s_wait_alu 0xfffe
	s_or_b32 exec_lo, exec_lo, s15
	s_wait_loadcnt 0x0
	v_bfrev_b32_e32 v38, 1
	s_mov_b32 s15, exec_lo
	v_cmpx_gt_u32_e64 s54, v105
	s_cbranch_execz .LBB532_137
; %bb.136:                              ;   in Loop: Header=BB532_104 Depth=2
	global_load_b32 v38, v[36:37], off offset:1792
.LBB532_137:                            ;   in Loop: Header=BB532_104 Depth=2
	s_wait_alu 0xfffe
	s_or_b32 exec_lo, exec_lo, s15
	v_cmp_gt_u32_e64 s15, s54, v106
	s_sub_co_i32 s16, s51, s42
.LBB532_138:                            ;   in Loop: Header=BB532_104 Depth=2
	v_dual_mov_b32 v2, -1 :: v_dual_mov_b32 v131, s54
	s_and_saveexec_b32 s17, s15
	s_cbranch_execz .LBB532_140
; %bb.139:                              ;   in Loop: Header=BB532_104 Depth=2
	s_lshl_b64 s[18:19], s[42:43], 2
	s_wait_alu 0xfffe
	v_mov_b32_e32 v131, s16
	v_add_co_u32 v36, vcc_lo, v111, s18
	s_wait_alu 0xfffd
	v_add_co_ci_u32_e64 v37, null, s19, v112, vcc_lo
	global_load_b32 v2, v[36:37], off offset:1920
	s_wait_loadcnt 0x0
	v_xor_b32_e32 v2, 0x7fffffff, v2
.LBB532_140:                            ;   in Loop: Header=BB532_104 Depth=2
	s_wait_alu 0xfffe
	s_or_b32 exec_lo, exec_lo, s17
	s_wait_loadcnt 0xe
	v_xor_b32_e32 v132, 0x7fffffff, v132
	s_delay_alu instid0(VALU_DEP_1) | instskip(NEXT) | instid1(VALU_DEP_1)
	v_lshrrev_b32_e32 v36, s31, v132
	v_and_b32_e32 v37, s48, v36
	s_delay_alu instid0(VALU_DEP_1)
	v_and_b32_e32 v36, 1, v37
	v_lshlrev_b32_e32 v134, 30, v37
	v_lshlrev_b32_e32 v135, 29, v37
	;; [unrolled: 1-line block ×4, first 2 shown]
	v_add_co_u32 v36, s15, v36, -1
	s_wait_alu 0xf1ff
	v_cndmask_b32_e64 v137, 0, 1, s15
	v_not_b32_e32 v142, v134
	v_cmp_gt_i32_e64 s15, 0, v134
	v_not_b32_e32 v134, v135
	v_lshlrev_b32_e32 v139, 26, v37
	v_cmp_ne_u32_e32 vcc_lo, 0, v137
	v_ashrrev_i32_e32 v142, 31, v142
	v_lshlrev_b32_e32 v141, 25, v37
	v_ashrrev_i32_e32 v134, 31, v134
	v_lshlrev_b32_e32 v137, 24, v37
	s_wait_alu 0xfffd
	v_xor_b32_e32 v36, vcc_lo, v36
	v_cmp_gt_i32_e32 vcc_lo, 0, v135
	v_not_b32_e32 v135, v136
	s_wait_alu 0xf1ff
	v_xor_b32_e32 v142, s15, v142
	v_cmp_gt_i32_e64 s15, 0, v136
	v_and_b32_e32 v36, exec_lo, v36
	v_not_b32_e32 v136, v138
	v_ashrrev_i32_e32 v135, 31, v135
	s_wait_alu 0xfffd
	v_xor_b32_e32 v134, vcc_lo, v134
	v_cmp_gt_i32_e32 vcc_lo, 0, v138
	v_and_b32_e32 v36, v36, v142
	v_not_b32_e32 v138, v139
	v_ashrrev_i32_e32 v136, 31, v136
	s_wait_alu 0xf1ff
	v_xor_b32_e32 v135, s15, v135
	v_cmp_gt_i32_e64 s15, 0, v139
	v_and_b32_e32 v36, v36, v134
	v_not_b32_e32 v134, v141
	v_ashrrev_i32_e32 v138, 31, v138
	s_wait_alu 0xfffd
	v_xor_b32_e32 v136, vcc_lo, v136
	v_cmp_gt_i32_e32 vcc_lo, 0, v141
	v_and_b32_e32 v36, v36, v135
	v_not_b32_e32 v135, v137
	v_ashrrev_i32_e32 v134, 31, v134
	s_wait_alu 0xf1ff
	v_xor_b32_e32 v138, s15, v138
	v_cmp_gt_i32_e64 s15, 0, v137
	v_and_b32_e32 v36, v36, v136
	v_ashrrev_i32_e32 v135, 31, v135
	s_wait_alu 0xfffd
	v_xor_b32_e32 v134, vcc_lo, v134
	v_mul_u32_u24_e32 v37, 36, v37
	v_add_nc_u32_e32 v137, 0x428, v67
	v_and_b32_e32 v36, v36, v138
	s_wait_alu 0xf1ff
	v_xor_b32_e32 v136, s15, v135
	v_add_nc_u32_e32 v135, 0x438, v67
	v_add_nc_u32_e32 v138, 0x430, v67
	;; [unrolled: 1-line block ×3, first 2 shown]
	v_and_b32_e32 v36, v36, v134
	ds_store_2addr_b32 v135, v3, v3 offset1:1
	v_and_b32_e32 v36, v36, v136
	v_add_nc_u32_e32 v136, 0x420, v67
	ds_store_2addr_b32 v136, v3, v3 offset1:1
	ds_store_2addr_b32 v137, v3, v3 offset1:1
	;; [unrolled: 1-line block ×3, first 2 shown]
	ds_store_b32 v67, v3 offset:1088
	v_mbcnt_lo_u32_b32 v134, v36, 0
	v_cmp_ne_u32_e64 s15, 0, v36
	s_wait_loadcnt_dscnt 0x0
	s_barrier_signal -1
	s_barrier_wait -1
	v_cmp_eq_u32_e32 vcc_lo, 0, v134
	global_inv scope:SCOPE_SE
	; wave barrier
	s_and_b32 s16, s15, vcc_lo
	s_wait_alu 0xfffe
	s_and_saveexec_b32 s15, s16
; %bb.141:                              ;   in Loop: Header=BB532_104 Depth=2
	v_bcnt_u32_b32 v36, v36, 0
	ds_store_b32 v139, v36 offset:1056
; %bb.142:                              ;   in Loop: Header=BB532_104 Depth=2
	s_wait_alu 0xfffe
	s_or_b32 exec_lo, exec_lo, s15
	v_xor_b32_e32 v133, 0x7fffffff, v133
	; wave barrier
	s_delay_alu instid0(VALU_DEP_1) | instskip(NEXT) | instid1(VALU_DEP_1)
	v_lshrrev_b32_e32 v36, s31, v133
	v_and_b32_e32 v37, s48, v36
	s_delay_alu instid0(VALU_DEP_1)
	v_and_b32_e32 v36, 1, v37
	v_lshlrev_b32_e32 v141, 30, v37
	v_lshlrev_b32_e32 v142, 29, v37
	v_lshlrev_b32_e32 v143, 28, v37
	v_lshlrev_b32_e32 v146, 27, v37
	v_add_co_u32 v36, s15, v36, -1
	s_wait_alu 0xf1ff
	v_cndmask_b32_e64 v145, 0, 1, s15
	v_not_b32_e32 v150, v141
	v_cmp_gt_i32_e64 s15, 0, v141
	v_not_b32_e32 v141, v142
	v_lshlrev_b32_e32 v147, 26, v37
	v_cmp_ne_u32_e32 vcc_lo, 0, v145
	v_ashrrev_i32_e32 v150, 31, v150
	v_lshlrev_b32_e32 v149, 25, v37
	v_ashrrev_i32_e32 v141, 31, v141
	v_lshlrev_b32_e32 v145, 24, v37
	s_wait_alu 0xfffd
	v_xor_b32_e32 v36, vcc_lo, v36
	v_cmp_gt_i32_e32 vcc_lo, 0, v142
	v_not_b32_e32 v142, v143
	s_wait_alu 0xf1ff
	v_xor_b32_e32 v150, s15, v150
	v_cmp_gt_i32_e64 s15, 0, v143
	v_and_b32_e32 v36, exec_lo, v36
	v_not_b32_e32 v143, v146
	v_ashrrev_i32_e32 v142, 31, v142
	s_wait_alu 0xfffd
	v_xor_b32_e32 v141, vcc_lo, v141
	v_cmp_gt_i32_e32 vcc_lo, 0, v146
	v_and_b32_e32 v36, v36, v150
	v_not_b32_e32 v146, v147
	v_ashrrev_i32_e32 v143, 31, v143
	s_wait_alu 0xf1ff
	v_xor_b32_e32 v142, s15, v142
	v_cmp_gt_i32_e64 s15, 0, v147
	v_and_b32_e32 v36, v36, v141
	v_not_b32_e32 v141, v149
	v_ashrrev_i32_e32 v146, 31, v146
	s_wait_alu 0xfffd
	v_xor_b32_e32 v143, vcc_lo, v143
	v_cmp_gt_i32_e32 vcc_lo, 0, v149
	v_and_b32_e32 v36, v36, v142
	v_not_b32_e32 v142, v145
	v_ashrrev_i32_e32 v141, 31, v141
	s_wait_alu 0xf1ff
	v_xor_b32_e32 v146, s15, v146
	v_cmp_gt_i32_e64 s15, 0, v145
	v_and_b32_e32 v36, v36, v143
	v_ashrrev_i32_e32 v142, 31, v142
	s_wait_alu 0xfffd
	v_xor_b32_e32 v141, vcc_lo, v141
	v_mad_u32_u24 v143, v37, 36, v114
	v_mul_u32_u24_e32 v37, 36, v37
	v_and_b32_e32 v36, v36, v146
	s_wait_alu 0xf1ff
	v_xor_b32_e32 v142, s15, v142
	s_delay_alu instid0(VALU_DEP_2) | instskip(SKIP_3) | instid1(VALU_DEP_1)
	v_and_b32_e32 v36, v36, v141
	ds_load_b32 v141, v143 offset:1056
	v_add_nc_u32_e32 v143, v114, v37
	; wave barrier
	v_and_b32_e32 v36, v36, v142
	v_mbcnt_lo_u32_b32 v142, v36, 0
	v_cmp_ne_u32_e64 s15, 0, v36
	s_delay_alu instid0(VALU_DEP_2)
	v_cmp_eq_u32_e32 vcc_lo, 0, v142
	s_and_b32 s16, s15, vcc_lo
	s_wait_alu 0xfffe
	s_and_saveexec_b32 s15, s16
	s_cbranch_execz .LBB532_144
; %bb.143:                              ;   in Loop: Header=BB532_104 Depth=2
	s_wait_dscnt 0x0
	v_bcnt_u32_b32 v36, v36, v141
	ds_store_b32 v143, v36 offset:1056
.LBB532_144:                            ;   in Loop: Header=BB532_104 Depth=2
	s_wait_alu 0xfffe
	s_or_b32 exec_lo, exec_lo, s15
	v_xor_b32_e32 v140, 0x7fffffff, v140
	; wave barrier
	s_delay_alu instid0(VALU_DEP_1) | instskip(NEXT) | instid1(VALU_DEP_1)
	v_lshrrev_b32_e32 v36, s31, v140
	v_and_b32_e32 v37, s48, v36
	s_delay_alu instid0(VALU_DEP_1)
	v_and_b32_e32 v36, 1, v37
	v_lshlrev_b32_e32 v145, 30, v37
	v_lshlrev_b32_e32 v146, 29, v37
	;; [unrolled: 1-line block ×4, first 2 shown]
	v_add_co_u32 v36, s15, v36, -1
	s_wait_alu 0xf1ff
	v_cndmask_b32_e64 v149, 0, 1, s15
	v_not_b32_e32 v154, v145
	v_cmp_gt_i32_e64 s15, 0, v145
	v_not_b32_e32 v145, v146
	v_lshlrev_b32_e32 v151, 26, v37
	v_cmp_ne_u32_e32 vcc_lo, 0, v149
	v_ashrrev_i32_e32 v154, 31, v154
	v_lshlrev_b32_e32 v153, 25, v37
	v_ashrrev_i32_e32 v145, 31, v145
	v_lshlrev_b32_e32 v149, 24, v37
	s_wait_alu 0xfffd
	v_xor_b32_e32 v36, vcc_lo, v36
	v_cmp_gt_i32_e32 vcc_lo, 0, v146
	v_not_b32_e32 v146, v147
	s_wait_alu 0xf1ff
	v_xor_b32_e32 v154, s15, v154
	v_cmp_gt_i32_e64 s15, 0, v147
	v_and_b32_e32 v36, exec_lo, v36
	v_not_b32_e32 v147, v150
	v_ashrrev_i32_e32 v146, 31, v146
	s_wait_alu 0xfffd
	v_xor_b32_e32 v145, vcc_lo, v145
	v_cmp_gt_i32_e32 vcc_lo, 0, v150
	v_and_b32_e32 v36, v36, v154
	v_not_b32_e32 v150, v151
	v_ashrrev_i32_e32 v147, 31, v147
	s_wait_alu 0xf1ff
	v_xor_b32_e32 v146, s15, v146
	v_cmp_gt_i32_e64 s15, 0, v151
	v_and_b32_e32 v36, v36, v145
	v_not_b32_e32 v145, v153
	v_ashrrev_i32_e32 v150, 31, v150
	s_wait_alu 0xfffd
	v_xor_b32_e32 v147, vcc_lo, v147
	v_cmp_gt_i32_e32 vcc_lo, 0, v153
	v_and_b32_e32 v36, v36, v146
	v_not_b32_e32 v146, v149
	v_ashrrev_i32_e32 v145, 31, v145
	s_wait_alu 0xf1ff
	v_xor_b32_e32 v150, s15, v150
	v_cmp_gt_i32_e64 s15, 0, v149
	v_and_b32_e32 v36, v36, v147
	v_ashrrev_i32_e32 v146, 31, v146
	s_wait_alu 0xfffd
	v_xor_b32_e32 v145, vcc_lo, v145
	v_mad_u32_u24 v147, v37, 36, v114
	v_mul_u32_u24_e32 v37, 36, v37
	v_and_b32_e32 v36, v36, v150
	s_wait_alu 0xf1ff
	v_xor_b32_e32 v146, s15, v146
	s_delay_alu instid0(VALU_DEP_2) | instskip(SKIP_3) | instid1(VALU_DEP_1)
	v_and_b32_e32 v36, v36, v145
	ds_load_b32 v145, v147 offset:1056
	v_add_nc_u32_e32 v147, v114, v37
	; wave barrier
	v_and_b32_e32 v36, v36, v146
	v_mbcnt_lo_u32_b32 v146, v36, 0
	v_cmp_ne_u32_e64 s15, 0, v36
	s_delay_alu instid0(VALU_DEP_2)
	v_cmp_eq_u32_e32 vcc_lo, 0, v146
	s_and_b32 s16, s15, vcc_lo
	s_wait_alu 0xfffe
	s_and_saveexec_b32 s15, s16
	s_cbranch_execz .LBB532_146
; %bb.145:                              ;   in Loop: Header=BB532_104 Depth=2
	s_wait_dscnt 0x0
	v_bcnt_u32_b32 v36, v36, v145
	ds_store_b32 v147, v36 offset:1056
.LBB532_146:                            ;   in Loop: Header=BB532_104 Depth=2
	s_wait_alu 0xfffe
	s_or_b32 exec_lo, exec_lo, s15
	v_xor_b32_e32 v144, 0x7fffffff, v144
	; wave barrier
	s_delay_alu instid0(VALU_DEP_1) | instskip(NEXT) | instid1(VALU_DEP_1)
	v_lshrrev_b32_e32 v36, s31, v144
	v_and_b32_e32 v37, s48, v36
	s_delay_alu instid0(VALU_DEP_1)
	v_and_b32_e32 v36, 1, v37
	v_lshlrev_b32_e32 v149, 30, v37
	v_lshlrev_b32_e32 v150, 29, v37
	;; [unrolled: 1-line block ×4, first 2 shown]
	v_add_co_u32 v36, s15, v36, -1
	s_wait_alu 0xf1ff
	v_cndmask_b32_e64 v153, 0, 1, s15
	v_not_b32_e32 v158, v149
	v_cmp_gt_i32_e64 s15, 0, v149
	v_not_b32_e32 v149, v150
	v_lshlrev_b32_e32 v155, 26, v37
	v_cmp_ne_u32_e32 vcc_lo, 0, v153
	v_ashrrev_i32_e32 v158, 31, v158
	v_lshlrev_b32_e32 v157, 25, v37
	v_ashrrev_i32_e32 v149, 31, v149
	v_lshlrev_b32_e32 v153, 24, v37
	s_wait_alu 0xfffd
	v_xor_b32_e32 v36, vcc_lo, v36
	v_cmp_gt_i32_e32 vcc_lo, 0, v150
	v_not_b32_e32 v150, v151
	s_wait_alu 0xf1ff
	v_xor_b32_e32 v158, s15, v158
	v_cmp_gt_i32_e64 s15, 0, v151
	v_and_b32_e32 v36, exec_lo, v36
	v_not_b32_e32 v151, v154
	v_ashrrev_i32_e32 v150, 31, v150
	s_wait_alu 0xfffd
	v_xor_b32_e32 v149, vcc_lo, v149
	v_cmp_gt_i32_e32 vcc_lo, 0, v154
	v_and_b32_e32 v36, v36, v158
	v_not_b32_e32 v154, v155
	v_ashrrev_i32_e32 v151, 31, v151
	s_wait_alu 0xf1ff
	v_xor_b32_e32 v150, s15, v150
	v_cmp_gt_i32_e64 s15, 0, v155
	v_and_b32_e32 v36, v36, v149
	v_not_b32_e32 v149, v157
	v_ashrrev_i32_e32 v154, 31, v154
	s_wait_alu 0xfffd
	v_xor_b32_e32 v151, vcc_lo, v151
	v_cmp_gt_i32_e32 vcc_lo, 0, v157
	v_and_b32_e32 v36, v36, v150
	v_not_b32_e32 v150, v153
	v_ashrrev_i32_e32 v149, 31, v149
	s_wait_alu 0xf1ff
	v_xor_b32_e32 v154, s15, v154
	v_cmp_gt_i32_e64 s15, 0, v153
	v_and_b32_e32 v36, v36, v151
	v_ashrrev_i32_e32 v150, 31, v150
	s_wait_alu 0xfffd
	v_xor_b32_e32 v149, vcc_lo, v149
	v_mad_u32_u24 v151, v37, 36, v114
	v_mul_u32_u24_e32 v37, 36, v37
	v_and_b32_e32 v36, v36, v154
	s_wait_alu 0xf1ff
	v_xor_b32_e32 v150, s15, v150
	s_delay_alu instid0(VALU_DEP_2) | instskip(SKIP_3) | instid1(VALU_DEP_1)
	v_and_b32_e32 v36, v36, v149
	ds_load_b32 v149, v151 offset:1056
	v_add_nc_u32_e32 v151, v114, v37
	; wave barrier
	v_and_b32_e32 v36, v36, v150
	v_mbcnt_lo_u32_b32 v150, v36, 0
	v_cmp_ne_u32_e64 s15, 0, v36
	s_delay_alu instid0(VALU_DEP_2)
	v_cmp_eq_u32_e32 vcc_lo, 0, v150
	s_and_b32 s16, s15, vcc_lo
	s_wait_alu 0xfffe
	s_and_saveexec_b32 s15, s16
	s_cbranch_execz .LBB532_148
; %bb.147:                              ;   in Loop: Header=BB532_104 Depth=2
	s_wait_dscnt 0x0
	v_bcnt_u32_b32 v36, v36, v149
	ds_store_b32 v151, v36 offset:1056
.LBB532_148:                            ;   in Loop: Header=BB532_104 Depth=2
	s_wait_alu 0xfffe
	s_or_b32 exec_lo, exec_lo, s15
	v_xor_b32_e32 v148, 0x7fffffff, v148
	; wave barrier
	s_delay_alu instid0(VALU_DEP_1) | instskip(NEXT) | instid1(VALU_DEP_1)
	v_lshrrev_b32_e32 v36, s31, v148
	v_and_b32_e32 v37, s48, v36
	s_delay_alu instid0(VALU_DEP_1)
	v_and_b32_e32 v36, 1, v37
	v_lshlrev_b32_e32 v153, 30, v37
	v_lshlrev_b32_e32 v154, 29, v37
	;; [unrolled: 1-line block ×4, first 2 shown]
	v_add_co_u32 v36, s15, v36, -1
	s_wait_alu 0xf1ff
	v_cndmask_b32_e64 v157, 0, 1, s15
	v_not_b32_e32 v162, v153
	v_cmp_gt_i32_e64 s15, 0, v153
	v_not_b32_e32 v153, v154
	v_lshlrev_b32_e32 v159, 26, v37
	v_cmp_ne_u32_e32 vcc_lo, 0, v157
	v_ashrrev_i32_e32 v162, 31, v162
	v_lshlrev_b32_e32 v161, 25, v37
	v_ashrrev_i32_e32 v153, 31, v153
	v_lshlrev_b32_e32 v157, 24, v37
	s_wait_alu 0xfffd
	v_xor_b32_e32 v36, vcc_lo, v36
	v_cmp_gt_i32_e32 vcc_lo, 0, v154
	v_not_b32_e32 v154, v155
	s_wait_alu 0xf1ff
	v_xor_b32_e32 v162, s15, v162
	v_cmp_gt_i32_e64 s15, 0, v155
	v_and_b32_e32 v36, exec_lo, v36
	v_not_b32_e32 v155, v158
	v_ashrrev_i32_e32 v154, 31, v154
	s_wait_alu 0xfffd
	v_xor_b32_e32 v153, vcc_lo, v153
	v_cmp_gt_i32_e32 vcc_lo, 0, v158
	v_and_b32_e32 v36, v36, v162
	v_not_b32_e32 v158, v159
	v_ashrrev_i32_e32 v155, 31, v155
	s_wait_alu 0xf1ff
	v_xor_b32_e32 v154, s15, v154
	v_cmp_gt_i32_e64 s15, 0, v159
	v_and_b32_e32 v36, v36, v153
	v_not_b32_e32 v153, v161
	v_ashrrev_i32_e32 v158, 31, v158
	s_wait_alu 0xfffd
	v_xor_b32_e32 v155, vcc_lo, v155
	v_cmp_gt_i32_e32 vcc_lo, 0, v161
	v_and_b32_e32 v36, v36, v154
	v_not_b32_e32 v154, v157
	v_ashrrev_i32_e32 v153, 31, v153
	s_wait_alu 0xf1ff
	v_xor_b32_e32 v158, s15, v158
	v_cmp_gt_i32_e64 s15, 0, v157
	v_and_b32_e32 v36, v36, v155
	v_ashrrev_i32_e32 v154, 31, v154
	s_wait_alu 0xfffd
	v_xor_b32_e32 v153, vcc_lo, v153
	v_mad_u32_u24 v155, v37, 36, v114
	v_mul_u32_u24_e32 v37, 36, v37
	v_and_b32_e32 v36, v36, v158
	s_wait_alu 0xf1ff
	v_xor_b32_e32 v154, s15, v154
	s_delay_alu instid0(VALU_DEP_2) | instskip(SKIP_3) | instid1(VALU_DEP_1)
	v_and_b32_e32 v36, v36, v153
	ds_load_b32 v153, v155 offset:1056
	v_add_nc_u32_e32 v155, v114, v37
	; wave barrier
	v_and_b32_e32 v36, v36, v154
	v_mbcnt_lo_u32_b32 v154, v36, 0
	v_cmp_ne_u32_e64 s15, 0, v36
	s_delay_alu instid0(VALU_DEP_2)
	v_cmp_eq_u32_e32 vcc_lo, 0, v154
	s_and_b32 s16, s15, vcc_lo
	s_wait_alu 0xfffe
	s_and_saveexec_b32 s15, s16
	s_cbranch_execz .LBB532_150
; %bb.149:                              ;   in Loop: Header=BB532_104 Depth=2
	s_wait_dscnt 0x0
	v_bcnt_u32_b32 v36, v36, v153
	ds_store_b32 v155, v36 offset:1056
.LBB532_150:                            ;   in Loop: Header=BB532_104 Depth=2
	s_wait_alu 0xfffe
	s_or_b32 exec_lo, exec_lo, s15
	v_xor_b32_e32 v152, 0x7fffffff, v152
	; wave barrier
	s_delay_alu instid0(VALU_DEP_1) | instskip(NEXT) | instid1(VALU_DEP_1)
	v_lshrrev_b32_e32 v36, s31, v152
	v_and_b32_e32 v37, s48, v36
	s_delay_alu instid0(VALU_DEP_1)
	v_and_b32_e32 v36, 1, v37
	v_lshlrev_b32_e32 v157, 30, v37
	v_lshlrev_b32_e32 v158, 29, v37
	;; [unrolled: 1-line block ×4, first 2 shown]
	v_add_co_u32 v36, s15, v36, -1
	s_wait_alu 0xf1ff
	v_cndmask_b32_e64 v161, 0, 1, s15
	v_not_b32_e32 v166, v157
	v_cmp_gt_i32_e64 s15, 0, v157
	v_not_b32_e32 v157, v158
	v_lshlrev_b32_e32 v164, 26, v37
	v_cmp_ne_u32_e32 vcc_lo, 0, v161
	v_ashrrev_i32_e32 v166, 31, v166
	v_lshlrev_b32_e32 v165, 25, v37
	v_ashrrev_i32_e32 v157, 31, v157
	v_lshlrev_b32_e32 v161, 24, v37
	s_wait_alu 0xfffd
	v_xor_b32_e32 v36, vcc_lo, v36
	v_cmp_gt_i32_e32 vcc_lo, 0, v158
	v_not_b32_e32 v158, v159
	s_wait_alu 0xf1ff
	v_xor_b32_e32 v166, s15, v166
	v_cmp_gt_i32_e64 s15, 0, v159
	v_and_b32_e32 v36, exec_lo, v36
	v_not_b32_e32 v159, v162
	v_ashrrev_i32_e32 v158, 31, v158
	s_wait_alu 0xfffd
	v_xor_b32_e32 v157, vcc_lo, v157
	v_cmp_gt_i32_e32 vcc_lo, 0, v162
	v_and_b32_e32 v36, v36, v166
	v_not_b32_e32 v162, v164
	v_ashrrev_i32_e32 v159, 31, v159
	s_wait_alu 0xf1ff
	v_xor_b32_e32 v158, s15, v158
	v_cmp_gt_i32_e64 s15, 0, v164
	v_and_b32_e32 v36, v36, v157
	v_not_b32_e32 v157, v165
	v_ashrrev_i32_e32 v162, 31, v162
	s_wait_alu 0xfffd
	v_xor_b32_e32 v159, vcc_lo, v159
	v_cmp_gt_i32_e32 vcc_lo, 0, v165
	v_and_b32_e32 v36, v36, v158
	v_not_b32_e32 v158, v161
	v_ashrrev_i32_e32 v157, 31, v157
	s_wait_alu 0xf1ff
	v_xor_b32_e32 v162, s15, v162
	v_cmp_gt_i32_e64 s15, 0, v161
	v_and_b32_e32 v36, v36, v159
	v_ashrrev_i32_e32 v158, 31, v158
	s_wait_alu 0xfffd
	v_xor_b32_e32 v157, vcc_lo, v157
	v_mad_u32_u24 v159, v37, 36, v114
	v_mul_u32_u24_e32 v37, 36, v37
	v_and_b32_e32 v36, v36, v162
	s_wait_alu 0xf1ff
	v_xor_b32_e32 v158, s15, v158
	s_delay_alu instid0(VALU_DEP_2) | instskip(SKIP_3) | instid1(VALU_DEP_1)
	v_and_b32_e32 v36, v36, v157
	ds_load_b32 v157, v159 offset:1056
	v_add_nc_u32_e32 v159, v114, v37
	; wave barrier
	v_and_b32_e32 v36, v36, v158
	v_mbcnt_lo_u32_b32 v158, v36, 0
	v_cmp_ne_u32_e64 s15, 0, v36
	s_delay_alu instid0(VALU_DEP_2)
	v_cmp_eq_u32_e32 vcc_lo, 0, v158
	s_and_b32 s16, s15, vcc_lo
	s_wait_alu 0xfffe
	s_and_saveexec_b32 s15, s16
	s_cbranch_execz .LBB532_152
; %bb.151:                              ;   in Loop: Header=BB532_104 Depth=2
	s_wait_dscnt 0x0
	v_bcnt_u32_b32 v36, v36, v157
	ds_store_b32 v159, v36 offset:1056
.LBB532_152:                            ;   in Loop: Header=BB532_104 Depth=2
	s_wait_alu 0xfffe
	s_or_b32 exec_lo, exec_lo, s15
	v_xor_b32_e32 v156, 0x7fffffff, v156
	; wave barrier
	s_delay_alu instid0(VALU_DEP_1) | instskip(NEXT) | instid1(VALU_DEP_1)
	v_lshrrev_b32_e32 v36, s31, v156
	v_and_b32_e32 v37, s48, v36
	s_delay_alu instid0(VALU_DEP_1)
	v_and_b32_e32 v36, 1, v37
	v_lshlrev_b32_e32 v161, 30, v37
	v_lshlrev_b32_e32 v162, 29, v37
	;; [unrolled: 1-line block ×4, first 2 shown]
	v_add_co_u32 v36, s15, v36, -1
	s_wait_alu 0xf1ff
	v_cndmask_b32_e64 v165, 0, 1, s15
	v_not_b32_e32 v169, v161
	v_cmp_gt_i32_e64 s15, 0, v161
	v_not_b32_e32 v161, v162
	v_lshlrev_b32_e32 v167, 26, v37
	v_cmp_ne_u32_e32 vcc_lo, 0, v165
	v_ashrrev_i32_e32 v169, 31, v169
	v_lshlrev_b32_e32 v168, 25, v37
	v_ashrrev_i32_e32 v161, 31, v161
	v_lshlrev_b32_e32 v165, 24, v37
	s_wait_alu 0xfffd
	v_xor_b32_e32 v36, vcc_lo, v36
	v_cmp_gt_i32_e32 vcc_lo, 0, v162
	v_not_b32_e32 v162, v164
	s_wait_alu 0xf1ff
	v_xor_b32_e32 v169, s15, v169
	v_cmp_gt_i32_e64 s15, 0, v164
	v_and_b32_e32 v36, exec_lo, v36
	v_not_b32_e32 v164, v166
	v_ashrrev_i32_e32 v162, 31, v162
	s_wait_alu 0xfffd
	v_xor_b32_e32 v161, vcc_lo, v161
	v_cmp_gt_i32_e32 vcc_lo, 0, v166
	v_and_b32_e32 v36, v36, v169
	v_not_b32_e32 v166, v167
	v_ashrrev_i32_e32 v164, 31, v164
	s_wait_alu 0xf1ff
	v_xor_b32_e32 v162, s15, v162
	v_cmp_gt_i32_e64 s15, 0, v167
	v_and_b32_e32 v36, v36, v161
	v_not_b32_e32 v161, v168
	v_ashrrev_i32_e32 v166, 31, v166
	s_wait_alu 0xfffd
	v_xor_b32_e32 v164, vcc_lo, v164
	v_cmp_gt_i32_e32 vcc_lo, 0, v168
	v_and_b32_e32 v36, v36, v162
	v_not_b32_e32 v162, v165
	v_ashrrev_i32_e32 v161, 31, v161
	s_wait_alu 0xf1ff
	v_xor_b32_e32 v166, s15, v166
	v_cmp_gt_i32_e64 s15, 0, v165
	v_and_b32_e32 v36, v36, v164
	v_ashrrev_i32_e32 v162, 31, v162
	s_wait_alu 0xfffd
	v_xor_b32_e32 v161, vcc_lo, v161
	v_mad_u32_u24 v164, v37, 36, v114
	v_mul_u32_u24_e32 v37, 36, v37
	v_and_b32_e32 v36, v36, v166
	s_wait_alu 0xf1ff
	v_xor_b32_e32 v162, s15, v162
	s_delay_alu instid0(VALU_DEP_2) | instskip(SKIP_3) | instid1(VALU_DEP_1)
	v_and_b32_e32 v36, v36, v161
	ds_load_b32 v161, v164 offset:1056
	v_add_nc_u32_e32 v164, v114, v37
	; wave barrier
	v_and_b32_e32 v36, v36, v162
	v_mbcnt_lo_u32_b32 v162, v36, 0
	v_cmp_ne_u32_e64 s15, 0, v36
	s_delay_alu instid0(VALU_DEP_2)
	v_cmp_eq_u32_e32 vcc_lo, 0, v162
	s_and_b32 s16, s15, vcc_lo
	s_wait_alu 0xfffe
	s_and_saveexec_b32 s15, s16
	s_cbranch_execz .LBB532_154
; %bb.153:                              ;   in Loop: Header=BB532_104 Depth=2
	s_wait_dscnt 0x0
	v_bcnt_u32_b32 v36, v36, v161
	ds_store_b32 v164, v36 offset:1056
.LBB532_154:                            ;   in Loop: Header=BB532_104 Depth=2
	s_wait_alu 0xfffe
	s_or_b32 exec_lo, exec_lo, s15
	v_xor_b32_e32 v160, 0x7fffffff, v160
	; wave barrier
	s_delay_alu instid0(VALU_DEP_1) | instskip(NEXT) | instid1(VALU_DEP_1)
	v_lshrrev_b32_e32 v36, s31, v160
	v_and_b32_e32 v37, s48, v36
	s_delay_alu instid0(VALU_DEP_1)
	v_and_b32_e32 v36, 1, v37
	v_lshlrev_b32_e32 v165, 30, v37
	v_lshlrev_b32_e32 v166, 29, v37
	;; [unrolled: 1-line block ×4, first 2 shown]
	v_add_co_u32 v36, s15, v36, -1
	s_wait_alu 0xf1ff
	v_cndmask_b32_e64 v168, 0, 1, s15
	v_not_b32_e32 v172, v165
	v_cmp_gt_i32_e64 s15, 0, v165
	v_not_b32_e32 v165, v166
	v_lshlrev_b32_e32 v170, 26, v37
	v_cmp_ne_u32_e32 vcc_lo, 0, v168
	v_ashrrev_i32_e32 v172, 31, v172
	v_lshlrev_b32_e32 v171, 25, v37
	v_ashrrev_i32_e32 v165, 31, v165
	v_lshlrev_b32_e32 v168, 24, v37
	s_wait_alu 0xfffd
	v_xor_b32_e32 v36, vcc_lo, v36
	v_cmp_gt_i32_e32 vcc_lo, 0, v166
	v_not_b32_e32 v166, v167
	s_wait_alu 0xf1ff
	v_xor_b32_e32 v172, s15, v172
	v_cmp_gt_i32_e64 s15, 0, v167
	v_and_b32_e32 v36, exec_lo, v36
	v_not_b32_e32 v167, v169
	v_ashrrev_i32_e32 v166, 31, v166
	s_wait_alu 0xfffd
	v_xor_b32_e32 v165, vcc_lo, v165
	v_cmp_gt_i32_e32 vcc_lo, 0, v169
	v_and_b32_e32 v36, v36, v172
	v_not_b32_e32 v169, v170
	v_ashrrev_i32_e32 v167, 31, v167
	s_wait_alu 0xf1ff
	v_xor_b32_e32 v166, s15, v166
	v_cmp_gt_i32_e64 s15, 0, v170
	v_and_b32_e32 v36, v36, v165
	v_not_b32_e32 v165, v171
	v_ashrrev_i32_e32 v169, 31, v169
	s_wait_alu 0xfffd
	v_xor_b32_e32 v167, vcc_lo, v167
	v_cmp_gt_i32_e32 vcc_lo, 0, v171
	v_and_b32_e32 v36, v36, v166
	v_not_b32_e32 v166, v168
	v_ashrrev_i32_e32 v165, 31, v165
	s_wait_alu 0xf1ff
	v_xor_b32_e32 v169, s15, v169
	v_cmp_gt_i32_e64 s15, 0, v168
	v_and_b32_e32 v36, v36, v167
	v_ashrrev_i32_e32 v166, 31, v166
	s_wait_alu 0xfffd
	v_xor_b32_e32 v165, vcc_lo, v165
	v_mad_u32_u24 v167, v37, 36, v114
	v_mul_u32_u24_e32 v37, 36, v37
	v_and_b32_e32 v36, v36, v169
	s_wait_alu 0xf1ff
	v_xor_b32_e32 v166, s15, v166
	s_delay_alu instid0(VALU_DEP_2) | instskip(SKIP_3) | instid1(VALU_DEP_1)
	v_and_b32_e32 v36, v36, v165
	ds_load_b32 v165, v167 offset:1056
	v_add_nc_u32_e32 v167, v114, v37
	; wave barrier
	v_and_b32_e32 v36, v36, v166
	v_mbcnt_lo_u32_b32 v166, v36, 0
	v_cmp_ne_u32_e64 s15, 0, v36
	s_delay_alu instid0(VALU_DEP_2)
	v_cmp_eq_u32_e32 vcc_lo, 0, v166
	s_and_b32 s16, s15, vcc_lo
	s_wait_alu 0xfffe
	s_and_saveexec_b32 s15, s16
	s_cbranch_execz .LBB532_156
; %bb.155:                              ;   in Loop: Header=BB532_104 Depth=2
	s_wait_dscnt 0x0
	v_bcnt_u32_b32 v36, v36, v165
	ds_store_b32 v167, v36 offset:1056
.LBB532_156:                            ;   in Loop: Header=BB532_104 Depth=2
	s_wait_alu 0xfffe
	s_or_b32 exec_lo, exec_lo, s15
	v_xor_b32_e32 v163, 0x7fffffff, v163
	; wave barrier
	s_delay_alu instid0(VALU_DEP_1) | instskip(NEXT) | instid1(VALU_DEP_1)
	v_lshrrev_b32_e32 v36, s31, v163
	v_and_b32_e32 v37, s48, v36
	s_delay_alu instid0(VALU_DEP_1)
	v_and_b32_e32 v36, 1, v37
	v_lshlrev_b32_e32 v168, 30, v37
	v_lshlrev_b32_e32 v169, 29, v37
	;; [unrolled: 1-line block ×4, first 2 shown]
	v_add_co_u32 v36, s15, v36, -1
	s_wait_alu 0xf1ff
	v_cndmask_b32_e64 v171, 0, 1, s15
	v_not_b32_e32 v175, v168
	v_cmp_gt_i32_e64 s15, 0, v168
	v_not_b32_e32 v168, v169
	v_lshlrev_b32_e32 v173, 26, v37
	v_cmp_ne_u32_e32 vcc_lo, 0, v171
	v_ashrrev_i32_e32 v175, 31, v175
	v_lshlrev_b32_e32 v174, 25, v37
	v_ashrrev_i32_e32 v168, 31, v168
	v_lshlrev_b32_e32 v171, 24, v37
	s_wait_alu 0xfffd
	v_xor_b32_e32 v36, vcc_lo, v36
	v_cmp_gt_i32_e32 vcc_lo, 0, v169
	v_not_b32_e32 v169, v170
	s_wait_alu 0xf1ff
	v_xor_b32_e32 v175, s15, v175
	v_cmp_gt_i32_e64 s15, 0, v170
	v_and_b32_e32 v36, exec_lo, v36
	v_not_b32_e32 v170, v172
	v_ashrrev_i32_e32 v169, 31, v169
	s_wait_alu 0xfffd
	v_xor_b32_e32 v168, vcc_lo, v168
	v_cmp_gt_i32_e32 vcc_lo, 0, v172
	v_and_b32_e32 v36, v36, v175
	v_not_b32_e32 v172, v173
	v_ashrrev_i32_e32 v170, 31, v170
	s_wait_alu 0xf1ff
	v_xor_b32_e32 v169, s15, v169
	v_cmp_gt_i32_e64 s15, 0, v173
	v_and_b32_e32 v36, v36, v168
	v_not_b32_e32 v168, v174
	v_ashrrev_i32_e32 v172, 31, v172
	s_wait_alu 0xfffd
	v_xor_b32_e32 v170, vcc_lo, v170
	v_cmp_gt_i32_e32 vcc_lo, 0, v174
	v_and_b32_e32 v36, v36, v169
	v_not_b32_e32 v169, v171
	v_ashrrev_i32_e32 v168, 31, v168
	s_wait_alu 0xf1ff
	v_xor_b32_e32 v172, s15, v172
	v_cmp_gt_i32_e64 s15, 0, v171
	v_and_b32_e32 v36, v36, v170
	v_ashrrev_i32_e32 v169, 31, v169
	s_wait_alu 0xfffd
	v_xor_b32_e32 v168, vcc_lo, v168
	v_mad_u32_u24 v170, v37, 36, v114
	v_mul_u32_u24_e32 v37, 36, v37
	v_and_b32_e32 v36, v36, v172
	s_wait_alu 0xf1ff
	v_xor_b32_e32 v171, s15, v169
	ds_load_b32 v169, v170 offset:1056
	v_and_b32_e32 v36, v36, v168
	; wave barrier
	s_delay_alu instid0(VALU_DEP_1) | instskip(SKIP_1) | instid1(VALU_DEP_2)
	v_and_b32_e32 v36, v36, v171
	v_add_nc_u32_e32 v171, v114, v37
	v_mbcnt_lo_u32_b32 v170, v36, 0
	v_cmp_ne_u32_e64 s15, 0, v36
	s_delay_alu instid0(VALU_DEP_2)
	v_cmp_eq_u32_e32 vcc_lo, 0, v170
	s_and_b32 s16, s15, vcc_lo
	s_wait_alu 0xfffe
	s_and_saveexec_b32 s15, s16
	s_cbranch_execz .LBB532_158
; %bb.157:                              ;   in Loop: Header=BB532_104 Depth=2
	s_wait_dscnt 0x0
	v_bcnt_u32_b32 v36, v36, v169
	ds_store_b32 v171, v36 offset:1056
.LBB532_158:                            ;   in Loop: Header=BB532_104 Depth=2
	s_wait_alu 0xfffe
	s_or_b32 exec_lo, exec_lo, s15
	v_xor_b32_e32 v168, 0x7fffffff, v43
	; wave barrier
	s_delay_alu instid0(VALU_DEP_1) | instskip(NEXT) | instid1(VALU_DEP_1)
	v_lshrrev_b32_e32 v36, s31, v168
	v_and_b32_e32 v37, s48, v36
	s_delay_alu instid0(VALU_DEP_1)
	v_and_b32_e32 v36, 1, v37
	v_lshlrev_b32_e32 v43, 30, v37
	v_lshlrev_b32_e32 v172, 29, v37
	;; [unrolled: 1-line block ×4, first 2 shown]
	v_add_co_u32 v36, s15, v36, -1
	s_wait_alu 0xf1ff
	v_cndmask_b32_e64 v174, 0, 1, s15
	v_not_b32_e32 v178, v43
	v_cmp_gt_i32_e64 s15, 0, v43
	v_not_b32_e32 v43, v172
	v_lshlrev_b32_e32 v176, 26, v37
	v_cmp_ne_u32_e32 vcc_lo, 0, v174
	v_ashrrev_i32_e32 v178, 31, v178
	v_lshlrev_b32_e32 v177, 25, v37
	v_ashrrev_i32_e32 v43, 31, v43
	v_lshlrev_b32_e32 v174, 24, v37
	s_wait_alu 0xfffd
	v_xor_b32_e32 v36, vcc_lo, v36
	v_cmp_gt_i32_e32 vcc_lo, 0, v172
	v_not_b32_e32 v172, v173
	s_wait_alu 0xf1ff
	v_xor_b32_e32 v178, s15, v178
	v_cmp_gt_i32_e64 s15, 0, v173
	v_and_b32_e32 v36, exec_lo, v36
	v_not_b32_e32 v173, v175
	v_ashrrev_i32_e32 v172, 31, v172
	s_wait_alu 0xfffd
	v_xor_b32_e32 v43, vcc_lo, v43
	v_cmp_gt_i32_e32 vcc_lo, 0, v175
	v_and_b32_e32 v36, v36, v178
	v_not_b32_e32 v175, v176
	v_ashrrev_i32_e32 v173, 31, v173
	s_wait_alu 0xf1ff
	v_xor_b32_e32 v172, s15, v172
	v_cmp_gt_i32_e64 s15, 0, v176
	v_and_b32_e32 v36, v36, v43
	v_not_b32_e32 v43, v177
	v_ashrrev_i32_e32 v175, 31, v175
	s_wait_alu 0xfffd
	v_xor_b32_e32 v173, vcc_lo, v173
	v_cmp_gt_i32_e32 vcc_lo, 0, v177
	v_and_b32_e32 v36, v36, v172
	v_not_b32_e32 v172, v174
	v_ashrrev_i32_e32 v43, 31, v43
	s_wait_alu 0xf1ff
	v_xor_b32_e32 v175, s15, v175
	v_cmp_gt_i32_e64 s15, 0, v174
	v_and_b32_e32 v36, v36, v173
	v_ashrrev_i32_e32 v172, 31, v172
	s_wait_alu 0xfffd
	v_xor_b32_e32 v43, vcc_lo, v43
	v_mad_u32_u24 v173, v37, 36, v114
	v_mul_u32_u24_e32 v37, 36, v37
	v_and_b32_e32 v36, v36, v175
	s_wait_alu 0xf1ff
	v_xor_b32_e32 v172, s15, v172
	ds_load_b32 v173, v173 offset:1056
	v_add_nc_u32_e32 v175, v114, v37
	v_and_b32_e32 v36, v36, v43
	; wave barrier
	s_delay_alu instid0(VALU_DEP_1) | instskip(NEXT) | instid1(VALU_DEP_1)
	v_and_b32_e32 v36, v36, v172
	v_mbcnt_lo_u32_b32 v174, v36, 0
	v_cmp_ne_u32_e64 s15, 0, v36
	s_delay_alu instid0(VALU_DEP_2)
	v_cmp_eq_u32_e32 vcc_lo, 0, v174
	s_and_b32 s16, s15, vcc_lo
	s_wait_alu 0xfffe
	s_and_saveexec_b32 s15, s16
	s_cbranch_execz .LBB532_160
; %bb.159:                              ;   in Loop: Header=BB532_104 Depth=2
	s_wait_dscnt 0x0
	v_bcnt_u32_b32 v36, v36, v173
	ds_store_b32 v175, v36 offset:1056
.LBB532_160:                            ;   in Loop: Header=BB532_104 Depth=2
	s_wait_alu 0xfffe
	s_or_b32 exec_lo, exec_lo, s15
	v_xor_b32_e32 v172, 0x7fffffff, v42
	; wave barrier
	s_delay_alu instid0(VALU_DEP_1) | instskip(NEXT) | instid1(VALU_DEP_1)
	v_lshrrev_b32_e32 v36, s31, v172
	v_and_b32_e32 v37, s48, v36
	s_delay_alu instid0(VALU_DEP_1)
	v_and_b32_e32 v36, 1, v37
	v_lshlrev_b32_e32 v42, 30, v37
	v_lshlrev_b32_e32 v43, 29, v37
	;; [unrolled: 1-line block ×4, first 2 shown]
	v_add_co_u32 v36, s15, v36, -1
	s_wait_alu 0xf1ff
	v_cndmask_b32_e64 v177, 0, 1, s15
	v_not_b32_e32 v181, v42
	v_cmp_gt_i32_e64 s15, 0, v42
	v_not_b32_e32 v42, v43
	v_lshlrev_b32_e32 v179, 26, v37
	v_cmp_ne_u32_e32 vcc_lo, 0, v177
	v_ashrrev_i32_e32 v181, 31, v181
	v_lshlrev_b32_e32 v180, 25, v37
	v_ashrrev_i32_e32 v42, 31, v42
	v_lshlrev_b32_e32 v177, 24, v37
	s_wait_alu 0xfffd
	v_xor_b32_e32 v36, vcc_lo, v36
	v_cmp_gt_i32_e32 vcc_lo, 0, v43
	v_not_b32_e32 v43, v176
	s_wait_alu 0xf1ff
	v_xor_b32_e32 v181, s15, v181
	v_cmp_gt_i32_e64 s15, 0, v176
	v_and_b32_e32 v36, exec_lo, v36
	v_not_b32_e32 v176, v178
	v_ashrrev_i32_e32 v43, 31, v43
	s_wait_alu 0xfffd
	v_xor_b32_e32 v42, vcc_lo, v42
	v_cmp_gt_i32_e32 vcc_lo, 0, v178
	v_and_b32_e32 v36, v36, v181
	v_not_b32_e32 v178, v179
	v_ashrrev_i32_e32 v176, 31, v176
	s_wait_alu 0xf1ff
	v_xor_b32_e32 v43, s15, v43
	v_cmp_gt_i32_e64 s15, 0, v179
	v_and_b32_e32 v36, v36, v42
	v_not_b32_e32 v42, v180
	v_ashrrev_i32_e32 v178, 31, v178
	s_wait_alu 0xfffd
	v_xor_b32_e32 v176, vcc_lo, v176
	v_cmp_gt_i32_e32 vcc_lo, 0, v180
	v_and_b32_e32 v36, v36, v43
	v_not_b32_e32 v43, v177
	v_ashrrev_i32_e32 v42, 31, v42
	s_wait_alu 0xf1ff
	v_xor_b32_e32 v178, s15, v178
	v_cmp_gt_i32_e64 s15, 0, v177
	v_and_b32_e32 v36, v36, v176
	v_ashrrev_i32_e32 v43, 31, v43
	s_wait_alu 0xfffd
	v_xor_b32_e32 v42, vcc_lo, v42
	v_mad_u32_u24 v176, v37, 36, v114
	v_mul_u32_u24_e32 v37, 36, v37
	v_and_b32_e32 v36, v36, v178
	s_wait_alu 0xf1ff
	v_xor_b32_e32 v43, s15, v43
	ds_load_b32 v177, v176 offset:1056
	v_add_nc_u32_e32 v179, v114, v37
	v_and_b32_e32 v36, v36, v42
	; wave barrier
	s_delay_alu instid0(VALU_DEP_1) | instskip(NEXT) | instid1(VALU_DEP_1)
	v_and_b32_e32 v36, v36, v43
	v_mbcnt_lo_u32_b32 v178, v36, 0
	v_cmp_ne_u32_e64 s15, 0, v36
	s_delay_alu instid0(VALU_DEP_2)
	v_cmp_eq_u32_e32 vcc_lo, 0, v178
	s_and_b32 s16, s15, vcc_lo
	s_wait_alu 0xfffe
	s_and_saveexec_b32 s15, s16
	s_cbranch_execz .LBB532_162
; %bb.161:                              ;   in Loop: Header=BB532_104 Depth=2
	s_wait_dscnt 0x0
	v_bcnt_u32_b32 v36, v36, v177
	ds_store_b32 v179, v36 offset:1056
.LBB532_162:                            ;   in Loop: Header=BB532_104 Depth=2
	s_wait_alu 0xfffe
	s_or_b32 exec_lo, exec_lo, s15
	v_xor_b32_e32 v176, 0x7fffffff, v41
	; wave barrier
	s_delay_alu instid0(VALU_DEP_1) | instskip(NEXT) | instid1(VALU_DEP_1)
	v_lshrrev_b32_e32 v36, s31, v176
	v_and_b32_e32 v37, s48, v36
	s_delay_alu instid0(VALU_DEP_1)
	v_and_b32_e32 v36, 1, v37
	v_lshlrev_b32_e32 v41, 30, v37
	v_lshlrev_b32_e32 v42, 29, v37
	;; [unrolled: 1-line block ×4, first 2 shown]
	v_add_co_u32 v36, s15, v36, -1
	s_wait_alu 0xf1ff
	v_cndmask_b32_e64 v180, 0, 1, s15
	v_not_b32_e32 v184, v41
	v_cmp_gt_i32_e64 s15, 0, v41
	v_not_b32_e32 v41, v42
	v_lshlrev_b32_e32 v182, 26, v37
	v_cmp_ne_u32_e32 vcc_lo, 0, v180
	v_ashrrev_i32_e32 v184, 31, v184
	v_lshlrev_b32_e32 v183, 25, v37
	v_ashrrev_i32_e32 v41, 31, v41
	v_lshlrev_b32_e32 v180, 24, v37
	s_wait_alu 0xfffd
	v_xor_b32_e32 v36, vcc_lo, v36
	v_cmp_gt_i32_e32 vcc_lo, 0, v42
	v_not_b32_e32 v42, v43
	s_wait_alu 0xf1ff
	v_xor_b32_e32 v184, s15, v184
	v_cmp_gt_i32_e64 s15, 0, v43
	v_and_b32_e32 v36, exec_lo, v36
	v_not_b32_e32 v43, v181
	v_ashrrev_i32_e32 v42, 31, v42
	s_wait_alu 0xfffd
	v_xor_b32_e32 v41, vcc_lo, v41
	v_cmp_gt_i32_e32 vcc_lo, 0, v181
	v_and_b32_e32 v36, v36, v184
	v_not_b32_e32 v181, v182
	v_ashrrev_i32_e32 v43, 31, v43
	s_wait_alu 0xf1ff
	v_xor_b32_e32 v42, s15, v42
	v_cmp_gt_i32_e64 s15, 0, v182
	v_and_b32_e32 v36, v36, v41
	v_not_b32_e32 v41, v183
	v_ashrrev_i32_e32 v181, 31, v181
	s_wait_alu 0xfffd
	v_xor_b32_e32 v43, vcc_lo, v43
	v_cmp_gt_i32_e32 vcc_lo, 0, v183
	v_and_b32_e32 v36, v36, v42
	v_not_b32_e32 v42, v180
	v_ashrrev_i32_e32 v41, 31, v41
	s_wait_alu 0xf1ff
	v_xor_b32_e32 v181, s15, v181
	v_cmp_gt_i32_e64 s15, 0, v180
	v_and_b32_e32 v36, v36, v43
	v_ashrrev_i32_e32 v42, 31, v42
	s_wait_alu 0xfffd
	v_xor_b32_e32 v41, vcc_lo, v41
	v_mad_u32_u24 v43, v37, 36, v114
	v_mul_u32_u24_e32 v37, 36, v37
	v_and_b32_e32 v36, v36, v181
	s_wait_alu 0xf1ff
	v_xor_b32_e32 v42, s15, v42
	ds_load_b32 v181, v43 offset:1056
	v_add_nc_u32_e32 v183, v114, v37
	v_and_b32_e32 v36, v36, v41
	; wave barrier
	s_delay_alu instid0(VALU_DEP_1) | instskip(NEXT) | instid1(VALU_DEP_1)
	v_and_b32_e32 v36, v36, v42
	v_mbcnt_lo_u32_b32 v182, v36, 0
	v_cmp_ne_u32_e64 s15, 0, v36
	s_delay_alu instid0(VALU_DEP_2)
	v_cmp_eq_u32_e32 vcc_lo, 0, v182
	s_and_b32 s16, s15, vcc_lo
	s_wait_alu 0xfffe
	s_and_saveexec_b32 s15, s16
	s_cbranch_execz .LBB532_164
; %bb.163:                              ;   in Loop: Header=BB532_104 Depth=2
	s_wait_dscnt 0x0
	v_bcnt_u32_b32 v36, v36, v181
	ds_store_b32 v183, v36 offset:1056
.LBB532_164:                            ;   in Loop: Header=BB532_104 Depth=2
	s_wait_alu 0xfffe
	s_or_b32 exec_lo, exec_lo, s15
	v_xor_b32_e32 v180, 0x7fffffff, v40
	; wave barrier
	s_delay_alu instid0(VALU_DEP_1) | instskip(NEXT) | instid1(VALU_DEP_1)
	v_lshrrev_b32_e32 v36, s31, v180
	v_and_b32_e32 v37, s48, v36
	s_delay_alu instid0(VALU_DEP_1)
	v_and_b32_e32 v36, 1, v37
	v_lshlrev_b32_e32 v40, 30, v37
	v_lshlrev_b32_e32 v41, 29, v37
	;; [unrolled: 1-line block ×4, first 2 shown]
	v_add_co_u32 v36, s15, v36, -1
	s_wait_alu 0xf1ff
	v_cndmask_b32_e64 v43, 0, 1, s15
	v_not_b32_e32 v187, v40
	v_cmp_gt_i32_e64 s15, 0, v40
	v_not_b32_e32 v40, v41
	v_lshlrev_b32_e32 v185, 26, v37
	v_cmp_ne_u32_e32 vcc_lo, 0, v43
	v_ashrrev_i32_e32 v187, 31, v187
	v_lshlrev_b32_e32 v186, 25, v37
	v_ashrrev_i32_e32 v40, 31, v40
	v_lshlrev_b32_e32 v43, 24, v37
	s_wait_alu 0xfffd
	v_xor_b32_e32 v36, vcc_lo, v36
	v_cmp_gt_i32_e32 vcc_lo, 0, v41
	v_not_b32_e32 v41, v42
	s_wait_alu 0xf1ff
	v_xor_b32_e32 v187, s15, v187
	v_cmp_gt_i32_e64 s15, 0, v42
	v_and_b32_e32 v36, exec_lo, v36
	v_not_b32_e32 v42, v184
	v_ashrrev_i32_e32 v41, 31, v41
	s_wait_alu 0xfffd
	v_xor_b32_e32 v40, vcc_lo, v40
	v_cmp_gt_i32_e32 vcc_lo, 0, v184
	v_and_b32_e32 v36, v36, v187
	v_not_b32_e32 v184, v185
	v_ashrrev_i32_e32 v42, 31, v42
	s_wait_alu 0xf1ff
	v_xor_b32_e32 v41, s15, v41
	v_cmp_gt_i32_e64 s15, 0, v185
	v_and_b32_e32 v36, v36, v40
	v_not_b32_e32 v40, v186
	v_ashrrev_i32_e32 v184, 31, v184
	s_wait_alu 0xfffd
	v_xor_b32_e32 v42, vcc_lo, v42
	v_cmp_gt_i32_e32 vcc_lo, 0, v186
	v_and_b32_e32 v36, v36, v41
	v_not_b32_e32 v41, v43
	v_ashrrev_i32_e32 v40, 31, v40
	s_wait_alu 0xf1ff
	v_xor_b32_e32 v184, s15, v184
	v_cmp_gt_i32_e64 s15, 0, v43
	v_and_b32_e32 v36, v36, v42
	v_ashrrev_i32_e32 v41, 31, v41
	s_wait_alu 0xfffd
	v_xor_b32_e32 v40, vcc_lo, v40
	v_mad_u32_u24 v42, v37, 36, v114
	v_mul_u32_u24_e32 v37, 36, v37
	v_and_b32_e32 v36, v36, v184
	s_wait_alu 0xf1ff
	v_xor_b32_e32 v41, s15, v41
	ds_load_b32 v185, v42 offset:1056
	v_add_nc_u32_e32 v187, v114, v37
	v_and_b32_e32 v36, v36, v40
	; wave barrier
	s_delay_alu instid0(VALU_DEP_1) | instskip(NEXT) | instid1(VALU_DEP_1)
	v_and_b32_e32 v36, v36, v41
	v_mbcnt_lo_u32_b32 v186, v36, 0
	v_cmp_ne_u32_e64 s15, 0, v36
	s_delay_alu instid0(VALU_DEP_2)
	v_cmp_eq_u32_e32 vcc_lo, 0, v186
	s_and_b32 s16, s15, vcc_lo
	s_wait_alu 0xfffe
	s_and_saveexec_b32 s15, s16
	s_cbranch_execz .LBB532_166
; %bb.165:                              ;   in Loop: Header=BB532_104 Depth=2
	s_wait_dscnt 0x0
	v_bcnt_u32_b32 v36, v36, v185
	ds_store_b32 v187, v36 offset:1056
.LBB532_166:                            ;   in Loop: Header=BB532_104 Depth=2
	s_wait_alu 0xfffe
	s_or_b32 exec_lo, exec_lo, s15
	v_xor_b32_e32 v184, 0x7fffffff, v39
	; wave barrier
	s_delay_alu instid0(VALU_DEP_1) | instskip(NEXT) | instid1(VALU_DEP_1)
	v_lshrrev_b32_e32 v36, s31, v184
	v_and_b32_e32 v37, s48, v36
	s_delay_alu instid0(VALU_DEP_1)
	v_and_b32_e32 v36, 1, v37
	v_lshlrev_b32_e32 v39, 30, v37
	v_lshlrev_b32_e32 v40, 29, v37
	v_lshlrev_b32_e32 v41, 28, v37
	v_lshlrev_b32_e32 v43, 27, v37
	v_add_co_u32 v36, s15, v36, -1
	s_wait_alu 0xf1ff
	v_cndmask_b32_e64 v42, 0, 1, s15
	v_not_b32_e32 v190, v39
	v_cmp_gt_i32_e64 s15, 0, v39
	v_not_b32_e32 v39, v40
	v_lshlrev_b32_e32 v188, 26, v37
	v_cmp_ne_u32_e32 vcc_lo, 0, v42
	v_ashrrev_i32_e32 v190, 31, v190
	v_lshlrev_b32_e32 v189, 25, v37
	v_ashrrev_i32_e32 v39, 31, v39
	v_lshlrev_b32_e32 v42, 24, v37
	s_wait_alu 0xfffd
	v_xor_b32_e32 v36, vcc_lo, v36
	v_cmp_gt_i32_e32 vcc_lo, 0, v40
	v_not_b32_e32 v40, v41
	s_wait_alu 0xf1ff
	v_xor_b32_e32 v190, s15, v190
	v_cmp_gt_i32_e64 s15, 0, v41
	v_and_b32_e32 v36, exec_lo, v36
	v_not_b32_e32 v41, v43
	v_ashrrev_i32_e32 v40, 31, v40
	s_wait_alu 0xfffd
	v_xor_b32_e32 v39, vcc_lo, v39
	v_cmp_gt_i32_e32 vcc_lo, 0, v43
	v_and_b32_e32 v36, v36, v190
	v_not_b32_e32 v43, v188
	v_ashrrev_i32_e32 v41, 31, v41
	s_wait_alu 0xf1ff
	v_xor_b32_e32 v40, s15, v40
	v_cmp_gt_i32_e64 s15, 0, v188
	v_and_b32_e32 v36, v36, v39
	v_not_b32_e32 v39, v189
	v_ashrrev_i32_e32 v43, 31, v43
	s_wait_alu 0xfffd
	v_xor_b32_e32 v41, vcc_lo, v41
	v_cmp_gt_i32_e32 vcc_lo, 0, v189
	v_and_b32_e32 v36, v36, v40
	v_not_b32_e32 v40, v42
	v_ashrrev_i32_e32 v39, 31, v39
	s_wait_alu 0xf1ff
	v_xor_b32_e32 v43, s15, v43
	v_cmp_gt_i32_e64 s15, 0, v42
	v_and_b32_e32 v36, v36, v41
	v_ashrrev_i32_e32 v40, 31, v40
	s_wait_alu 0xfffd
	v_xor_b32_e32 v39, vcc_lo, v39
	v_mad_u32_u24 v41, v37, 36, v114
	v_mul_u32_u24_e32 v37, 36, v37
	v_and_b32_e32 v36, v36, v43
	s_wait_alu 0xf1ff
	v_xor_b32_e32 v40, s15, v40
	ds_load_b32 v189, v41 offset:1056
	v_add_nc_u32_e32 v191, v114, v37
	v_and_b32_e32 v36, v36, v39
	; wave barrier
	s_delay_alu instid0(VALU_DEP_1) | instskip(NEXT) | instid1(VALU_DEP_1)
	v_and_b32_e32 v36, v36, v40
	v_mbcnt_lo_u32_b32 v190, v36, 0
	v_cmp_ne_u32_e64 s15, 0, v36
	s_delay_alu instid0(VALU_DEP_2)
	v_cmp_eq_u32_e32 vcc_lo, 0, v190
	s_and_b32 s16, s15, vcc_lo
	s_wait_alu 0xfffe
	s_and_saveexec_b32 s15, s16
	s_cbranch_execz .LBB532_168
; %bb.167:                              ;   in Loop: Header=BB532_104 Depth=2
	s_wait_dscnt 0x0
	v_bcnt_u32_b32 v36, v36, v189
	ds_store_b32 v191, v36 offset:1056
.LBB532_168:                            ;   in Loop: Header=BB532_104 Depth=2
	s_wait_alu 0xfffe
	s_or_b32 exec_lo, exec_lo, s15
	v_xor_b32_e32 v188, 0x7fffffff, v38
	; wave barrier
	s_delay_alu instid0(VALU_DEP_1) | instskip(NEXT) | instid1(VALU_DEP_1)
	v_lshrrev_b32_e32 v36, s31, v188
	v_and_b32_e32 v37, s48, v36
	s_delay_alu instid0(VALU_DEP_1)
	v_and_b32_e32 v36, 1, v37
	v_lshlrev_b32_e32 v38, 30, v37
	v_lshlrev_b32_e32 v39, 29, v37
	;; [unrolled: 1-line block ×4, first 2 shown]
	v_add_co_u32 v36, s15, v36, -1
	s_wait_alu 0xf1ff
	v_cndmask_b32_e64 v41, 0, 1, s15
	v_not_b32_e32 v193, v38
	v_cmp_gt_i32_e64 s15, 0, v38
	v_not_b32_e32 v38, v39
	v_lshlrev_b32_e32 v43, 26, v37
	v_cmp_ne_u32_e32 vcc_lo, 0, v41
	v_ashrrev_i32_e32 v193, 31, v193
	v_lshlrev_b32_e32 v192, 25, v37
	v_ashrrev_i32_e32 v38, 31, v38
	v_lshlrev_b32_e32 v41, 24, v37
	s_wait_alu 0xfffd
	v_xor_b32_e32 v36, vcc_lo, v36
	v_cmp_gt_i32_e32 vcc_lo, 0, v39
	v_not_b32_e32 v39, v40
	s_wait_alu 0xf1ff
	v_xor_b32_e32 v193, s15, v193
	v_cmp_gt_i32_e64 s15, 0, v40
	v_and_b32_e32 v36, exec_lo, v36
	v_not_b32_e32 v40, v42
	v_ashrrev_i32_e32 v39, 31, v39
	s_wait_alu 0xfffd
	v_xor_b32_e32 v38, vcc_lo, v38
	v_cmp_gt_i32_e32 vcc_lo, 0, v42
	v_and_b32_e32 v36, v36, v193
	v_not_b32_e32 v42, v43
	v_ashrrev_i32_e32 v40, 31, v40
	s_wait_alu 0xf1ff
	v_xor_b32_e32 v39, s15, v39
	v_cmp_gt_i32_e64 s15, 0, v43
	v_and_b32_e32 v36, v36, v38
	v_not_b32_e32 v38, v192
	v_ashrrev_i32_e32 v42, 31, v42
	s_wait_alu 0xfffd
	v_xor_b32_e32 v40, vcc_lo, v40
	v_cmp_gt_i32_e32 vcc_lo, 0, v192
	v_and_b32_e32 v36, v36, v39
	v_not_b32_e32 v39, v41
	v_ashrrev_i32_e32 v38, 31, v38
	s_wait_alu 0xf1ff
	v_xor_b32_e32 v42, s15, v42
	v_cmp_gt_i32_e64 s15, 0, v41
	v_and_b32_e32 v36, v36, v40
	v_ashrrev_i32_e32 v39, 31, v39
	s_wait_alu 0xfffd
	v_xor_b32_e32 v38, vcc_lo, v38
	v_mad_u32_u24 v40, v37, 36, v114
	v_mul_u32_u24_e32 v37, 36, v37
	v_and_b32_e32 v36, v36, v42
	s_wait_alu 0xf1ff
	v_xor_b32_e32 v39, s15, v39
	ds_load_b32 v192, v40 offset:1056
	v_add_nc_u32_e32 v194, v114, v37
	v_and_b32_e32 v36, v36, v38
	; wave barrier
	s_delay_alu instid0(VALU_DEP_1) | instskip(NEXT) | instid1(VALU_DEP_1)
	v_and_b32_e32 v36, v36, v39
	v_mbcnt_lo_u32_b32 v193, v36, 0
	v_cmp_ne_u32_e64 s15, 0, v36
	s_delay_alu instid0(VALU_DEP_2)
	v_cmp_eq_u32_e32 vcc_lo, 0, v193
	s_and_b32 s16, s15, vcc_lo
	s_wait_alu 0xfffe
	s_and_saveexec_b32 s15, s16
	s_cbranch_execz .LBB532_170
; %bb.169:                              ;   in Loop: Header=BB532_104 Depth=2
	s_wait_dscnt 0x0
	v_bcnt_u32_b32 v36, v36, v192
	ds_store_b32 v194, v36 offset:1056
.LBB532_170:                            ;   in Loop: Header=BB532_104 Depth=2
	s_wait_alu 0xfffe
	s_or_b32 exec_lo, exec_lo, s15
	v_lshrrev_b32_e32 v36, s31, v2
	; wave barrier
	s_delay_alu instid0(VALU_DEP_1) | instskip(NEXT) | instid1(VALU_DEP_1)
	v_and_b32_e32 v37, s48, v36
	v_and_b32_e32 v36, 1, v37
	v_lshlrev_b32_e32 v38, 30, v37
	v_lshlrev_b32_e32 v39, 29, v37
	;; [unrolled: 1-line block ×4, first 2 shown]
	v_add_co_u32 v36, s15, v36, -1
	s_wait_alu 0xf1ff
	v_cndmask_b32_e64 v41, 0, 1, s15
	v_not_b32_e32 v196, v38
	v_cmp_gt_i32_e64 s15, 0, v38
	v_not_b32_e32 v38, v39
	v_lshlrev_b32_e32 v43, 26, v37
	v_cmp_ne_u32_e32 vcc_lo, 0, v41
	v_ashrrev_i32_e32 v196, 31, v196
	v_lshlrev_b32_e32 v195, 25, v37
	v_ashrrev_i32_e32 v38, 31, v38
	v_lshlrev_b32_e32 v41, 24, v37
	s_wait_alu 0xfffd
	v_xor_b32_e32 v36, vcc_lo, v36
	v_cmp_gt_i32_e32 vcc_lo, 0, v39
	v_not_b32_e32 v39, v40
	s_wait_alu 0xf1ff
	v_xor_b32_e32 v196, s15, v196
	v_cmp_gt_i32_e64 s15, 0, v40
	v_and_b32_e32 v36, exec_lo, v36
	v_not_b32_e32 v40, v42
	v_ashrrev_i32_e32 v39, 31, v39
	s_wait_alu 0xfffd
	v_xor_b32_e32 v38, vcc_lo, v38
	v_cmp_gt_i32_e32 vcc_lo, 0, v42
	v_and_b32_e32 v36, v36, v196
	v_not_b32_e32 v42, v43
	v_ashrrev_i32_e32 v40, 31, v40
	s_wait_alu 0xf1ff
	v_xor_b32_e32 v39, s15, v39
	v_cmp_gt_i32_e64 s15, 0, v43
	v_and_b32_e32 v36, v36, v38
	v_not_b32_e32 v38, v195
	v_ashrrev_i32_e32 v42, 31, v42
	s_wait_alu 0xfffd
	v_xor_b32_e32 v40, vcc_lo, v40
	v_cmp_gt_i32_e32 vcc_lo, 0, v195
	v_and_b32_e32 v36, v36, v39
	v_not_b32_e32 v39, v41
	v_ashrrev_i32_e32 v38, 31, v38
	s_wait_alu 0xf1ff
	v_xor_b32_e32 v42, s15, v42
	v_cmp_gt_i32_e64 s15, 0, v41
	v_and_b32_e32 v36, v36, v40
	v_ashrrev_i32_e32 v39, 31, v39
	s_wait_alu 0xfffd
	v_xor_b32_e32 v38, vcc_lo, v38
	v_mad_u32_u24 v40, v37, 36, v114
	v_mul_u32_u24_e32 v37, 36, v37
	v_and_b32_e32 v36, v36, v42
	s_wait_alu 0xf1ff
	v_xor_b32_e32 v39, s15, v39
	ds_load_b32 v195, v40 offset:1056
	v_add_nc_u32_e32 v197, v114, v37
	v_and_b32_e32 v36, v36, v38
	; wave barrier
	s_delay_alu instid0(VALU_DEP_1) | instskip(NEXT) | instid1(VALU_DEP_1)
	v_and_b32_e32 v36, v36, v39
	v_mbcnt_lo_u32_b32 v196, v36, 0
	v_cmp_ne_u32_e64 s15, 0, v36
	s_delay_alu instid0(VALU_DEP_2)
	v_cmp_eq_u32_e32 vcc_lo, 0, v196
	s_and_b32 s16, s15, vcc_lo
	s_wait_alu 0xfffe
	s_and_saveexec_b32 s15, s16
	s_cbranch_execz .LBB532_172
; %bb.171:                              ;   in Loop: Header=BB532_104 Depth=2
	s_wait_dscnt 0x0
	v_bcnt_u32_b32 v36, v36, v195
	ds_store_b32 v197, v36 offset:1056
.LBB532_172:                            ;   in Loop: Header=BB532_104 Depth=2
	s_wait_alu 0xfffe
	s_or_b32 exec_lo, exec_lo, s15
	; wave barrier
	s_wait_loadcnt_dscnt 0x0
	s_barrier_signal -1
	s_barrier_wait -1
	global_inv scope:SCOPE_SE
	ds_load_2addr_b32 v[42:43], v136 offset1:1
	ds_load_2addr_b32 v[40:41], v137 offset1:1
	;; [unrolled: 1-line block ×4, first 2 shown]
	ds_load_b32 v198, v67 offset:1088
	s_wait_dscnt 0x3
	v_add3_u32 v199, v43, v42, v40
	s_wait_dscnt 0x2
	s_delay_alu instid0(VALU_DEP_1) | instskip(SKIP_1) | instid1(VALU_DEP_1)
	v_add3_u32 v199, v199, v41, v38
	s_wait_dscnt 0x1
	v_add3_u32 v199, v199, v39, v36
	s_wait_dscnt 0x0
	s_delay_alu instid0(VALU_DEP_1) | instskip(NEXT) | instid1(VALU_DEP_1)
	v_add3_u32 v198, v199, v37, v198
	v_mov_b32_dpp v199, v198 row_shr:1 row_mask:0xf bank_mask:0xf
	s_delay_alu instid0(VALU_DEP_1) | instskip(NEXT) | instid1(VALU_DEP_1)
	v_cndmask_b32_e64 v199, v199, 0, s0
	v_add_nc_u32_e32 v198, v199, v198
	s_delay_alu instid0(VALU_DEP_1) | instskip(NEXT) | instid1(VALU_DEP_1)
	v_mov_b32_dpp v199, v198 row_shr:2 row_mask:0xf bank_mask:0xf
	v_cndmask_b32_e64 v199, 0, v199, s1
	s_delay_alu instid0(VALU_DEP_1) | instskip(NEXT) | instid1(VALU_DEP_1)
	v_add_nc_u32_e32 v198, v198, v199
	v_mov_b32_dpp v199, v198 row_shr:4 row_mask:0xf bank_mask:0xf
	s_delay_alu instid0(VALU_DEP_1) | instskip(NEXT) | instid1(VALU_DEP_1)
	v_cndmask_b32_e64 v199, 0, v199, s9
	v_add_nc_u32_e32 v198, v198, v199
	s_delay_alu instid0(VALU_DEP_1) | instskip(NEXT) | instid1(VALU_DEP_1)
	v_mov_b32_dpp v199, v198 row_shr:8 row_mask:0xf bank_mask:0xf
	v_cndmask_b32_e64 v199, 0, v199, s10
	s_delay_alu instid0(VALU_DEP_1) | instskip(SKIP_3) | instid1(VALU_DEP_1)
	v_add_nc_u32_e32 v198, v198, v199
	ds_swizzle_b32 v199, v198 offset:swizzle(BROADCAST,32,15)
	s_wait_dscnt 0x0
	v_cndmask_b32_e64 v199, v199, 0, s11
	v_add_nc_u32_e32 v198, v198, v199
	s_and_saveexec_b32 s15, s3
; %bb.173:                              ;   in Loop: Header=BB532_104 Depth=2
	ds_store_b32 v63, v198 offset:1024
; %bb.174:                              ;   in Loop: Header=BB532_104 Depth=2
	s_wait_alu 0xfffe
	s_or_b32 exec_lo, exec_lo, s15
	s_wait_loadcnt_dscnt 0x0
	s_barrier_signal -1
	s_barrier_wait -1
	global_inv scope:SCOPE_SE
	s_and_saveexec_b32 s15, s4
	s_cbranch_execz .LBB532_176
; %bb.175:                              ;   in Loop: Header=BB532_104 Depth=2
	ds_load_b32 v199, v70 offset:1024
	s_wait_dscnt 0x0
	v_mov_b32_dpp v200, v199 row_shr:1 row_mask:0xf bank_mask:0xf
	s_delay_alu instid0(VALU_DEP_1) | instskip(NEXT) | instid1(VALU_DEP_1)
	v_cndmask_b32_e64 v200, v200, 0, s12
	v_add_nc_u32_e32 v199, v200, v199
	s_delay_alu instid0(VALU_DEP_1) | instskip(NEXT) | instid1(VALU_DEP_1)
	v_mov_b32_dpp v200, v199 row_shr:2 row_mask:0xf bank_mask:0xf
	v_cndmask_b32_e64 v200, 0, v200, s13
	s_delay_alu instid0(VALU_DEP_1) | instskip(NEXT) | instid1(VALU_DEP_1)
	v_add_nc_u32_e32 v199, v199, v200
	v_mov_b32_dpp v200, v199 row_shr:4 row_mask:0xf bank_mask:0xf
	s_delay_alu instid0(VALU_DEP_1) | instskip(NEXT) | instid1(VALU_DEP_1)
	v_cndmask_b32_e64 v200, 0, v200, s14
	v_add_nc_u32_e32 v199, v199, v200
	ds_store_b32 v70, v199 offset:1024
.LBB532_176:                            ;   in Loop: Header=BB532_104 Depth=2
	s_wait_alu 0xfffe
	s_or_b32 exec_lo, exec_lo, s15
	v_mov_b32_e32 v199, 0
	s_wait_loadcnt_dscnt 0x0
	s_barrier_signal -1
	s_barrier_wait -1
	global_inv scope:SCOPE_SE
	s_and_saveexec_b32 s15, s5
; %bb.177:                              ;   in Loop: Header=BB532_104 Depth=2
	ds_load_b32 v199, v63 offset:1020
; %bb.178:                              ;   in Loop: Header=BB532_104 Depth=2
	s_wait_alu 0xfffe
	s_or_b32 exec_lo, exec_lo, s15
	s_wait_dscnt 0x0
	v_add_nc_u32_e32 v198, v199, v198
	ds_bpermute_b32 v198, v113, v198
	s_wait_dscnt 0x0
	v_cndmask_b32_e64 v198, v198, v199, s8
	s_delay_alu instid0(VALU_DEP_1) | instskip(NEXT) | instid1(VALU_DEP_1)
	v_cndmask_b32_e64 v198, v198, 0, s6
	v_add_nc_u32_e32 v42, v198, v42
	s_delay_alu instid0(VALU_DEP_1) | instskip(NEXT) | instid1(VALU_DEP_1)
	v_add_nc_u32_e32 v43, v42, v43
	v_add_nc_u32_e32 v40, v43, v40
	s_delay_alu instid0(VALU_DEP_1) | instskip(NEXT) | instid1(VALU_DEP_1)
	v_add_nc_u32_e32 v41, v40, v41
	;; [unrolled: 3-line block ×3, first 2 shown]
	v_add_nc_u32_e32 v36, v39, v36
	s_delay_alu instid0(VALU_DEP_1)
	v_add_nc_u32_e32 v37, v36, v37
	ds_store_2addr_b32 v135, v39, v36 offset1:1
	ds_store_2addr_b32 v136, v198, v42 offset1:1
	;; [unrolled: 1-line block ×4, first 2 shown]
	ds_store_b32 v67, v37 offset:1088
	s_wait_loadcnt_dscnt 0x0
	s_barrier_signal -1
	s_barrier_wait -1
	global_inv scope:SCOPE_SE
	ds_load_b32 v39, v139 offset:1056
	ds_load_b32 v41, v143 offset:1056
	ds_load_b32 v42, v147 offset:1056
	ds_load_b32 v43, v151 offset:1056
	ds_load_b32 v135, v155 offset:1056
	ds_load_b32 v136, v159 offset:1056
	ds_load_b32 v137, v164 offset:1056
	ds_load_b32 v159, v167 offset:1056
	ds_load_b32 v164, v171 offset:1056
	ds_load_b32 v167, v175 offset:1056
	ds_load_b32 v171, v179 offset:1056
	ds_load_b32 v175, v183 offset:1056
	ds_load_b32 v36, v187 offset:1056
	ds_load_b32 v37, v191 offset:1056
	ds_load_b32 v40, v194 offset:1056
	ds_load_b32 v155, v197 offset:1056
	ds_load_b32 v138, v67 offset:1056
	v_mov_b32_e32 v38, 0x1000
	s_and_saveexec_b32 s15, s7
; %bb.179:                              ;   in Loop: Header=BB532_104 Depth=2
	ds_load_b32 v38, v67 offset:1092
; %bb.180:                              ;   in Loop: Header=BB532_104 Depth=2
	s_wait_alu 0xfffe
	s_or_b32 exec_lo, exec_lo, s15
	s_wait_loadcnt_dscnt 0x0
	s_barrier_signal -1
	s_barrier_wait -1
	global_inv scope:SCOPE_SE
	s_and_saveexec_b32 s15, s2
	s_cbranch_execz .LBB532_182
; %bb.181:                              ;   in Loop: Header=BB532_104 Depth=2
	ds_load_b32 v139, v44
	s_wait_dscnt 0x0
	v_sub_nc_u32_e32 v138, v139, v138
	ds_store_b32 v44, v138
.LBB532_182:                            ;   in Loop: Header=BB532_104 Depth=2
	s_wait_alu 0xfffe
	s_or_b32 exec_lo, exec_lo, s15
	v_add_nc_u32_e32 v151, v39, v134
	v_add3_u32 v147, v142, v141, v41
	v_add3_u32 v143, v146, v145, v42
	;; [unrolled: 1-line block ×4, first 2 shown]
	v_lshlrev_b32_e32 v145, 2, v151
	v_add3_u32 v139, v158, v157, v136
	v_add3_u32 v138, v162, v161, v137
	;; [unrolled: 1-line block ×3, first 2 shown]
	v_lshlrev_b32_e32 v36, 2, v147
	v_add3_u32 v137, v166, v165, v159
	v_add3_u32 v42, v190, v189, v37
	v_lshlrev_b32_e32 v37, 2, v143
	v_add3_u32 v136, v170, v169, v164
	ds_store_b32 v145, v132 offset:1024
	v_lshlrev_b32_e32 v132, 2, v142
	v_add3_u32 v135, v174, v173, v167
	v_lshlrev_b32_e32 v145, 2, v141
	v_add3_u32 v134, v178, v177, v171
	;; [unrolled: 2-line block ×3, first 2 shown]
	ds_store_b32 v36, v133 offset:1024
	ds_store_b32 v37, v140 offset:1024
	;; [unrolled: 1-line block ×5, first 2 shown]
	v_lshlrev_b32_e32 v36, 2, v138
	v_lshlrev_b32_e32 v37, 2, v137
	;; [unrolled: 1-line block ×3, first 2 shown]
	v_add3_u32 v41, v193, v192, v40
	v_lshlrev_b32_e32 v133, 2, v135
	v_add3_u32 v40, v196, v195, v155
	v_lshlrev_b32_e32 v140, 2, v134
	ds_store_b32 v36, v156 offset:1024
	ds_store_b32 v37, v160 offset:1024
	;; [unrolled: 1-line block ×5, first 2 shown]
	v_lshlrev_b32_e32 v36, 2, v39
	v_cmp_lt_u32_e32 vcc_lo, v1, v131
	v_lshlrev_b32_e32 v37, 2, v43
	v_lshlrev_b32_e32 v132, 2, v42
	;; [unrolled: 1-line block ×4, first 2 shown]
	ds_store_b32 v36, v176 offset:1024
	ds_store_b32 v37, v180 offset:1024
	ds_store_b32 v132, v184 offset:1024
	ds_store_b32 v133, v188 offset:1024
	ds_store_b32 v140, v2 offset:1024
	s_wait_loadcnt_dscnt 0x0
	s_barrier_signal -1
	s_barrier_wait -1
	global_inv scope:SCOPE_SE
	s_and_saveexec_b32 s16, vcc_lo
	s_cbranch_execnz .LBB532_251
; %bb.183:                              ;   in Loop: Header=BB532_104 Depth=2
	s_wait_alu 0xfffe
	s_or_b32 exec_lo, exec_lo, s16
	v_cmp_lt_u32_e64 s15, v45, v131
	s_and_saveexec_b32 s17, s15
	s_cbranch_execnz .LBB532_252
.LBB532_184:                            ;   in Loop: Header=BB532_104 Depth=2
	s_wait_alu 0xfffe
	s_or_b32 exec_lo, exec_lo, s17
	v_cmp_lt_u32_e64 s16, v46, v131
	s_and_saveexec_b32 s18, s16
	s_cbranch_execnz .LBB532_253
.LBB532_185:                            ;   in Loop: Header=BB532_104 Depth=2
	s_wait_alu 0xfffe
	s_or_b32 exec_lo, exec_lo, s18
	v_cmp_lt_u32_e64 s17, v47, v131
	s_and_saveexec_b32 s19, s17
	s_cbranch_execnz .LBB532_254
.LBB532_186:                            ;   in Loop: Header=BB532_104 Depth=2
	s_wait_alu 0xfffe
	s_or_b32 exec_lo, exec_lo, s19
	v_cmp_lt_u32_e64 s18, v50, v131
	s_and_saveexec_b32 s20, s18
	s_cbranch_execnz .LBB532_255
.LBB532_187:                            ;   in Loop: Header=BB532_104 Depth=2
	s_wait_alu 0xfffe
	s_or_b32 exec_lo, exec_lo, s20
	v_cmp_lt_u32_e64 s19, v51, v131
	s_and_saveexec_b32 s21, s19
	s_cbranch_execnz .LBB532_256
.LBB532_188:                            ;   in Loop: Header=BB532_104 Depth=2
	s_wait_alu 0xfffe
	s_or_b32 exec_lo, exec_lo, s21
	v_cmp_lt_u32_e64 s20, v52, v131
	s_and_saveexec_b32 s22, s20
	s_cbranch_execnz .LBB532_257
.LBB532_189:                            ;   in Loop: Header=BB532_104 Depth=2
	s_wait_alu 0xfffe
	s_or_b32 exec_lo, exec_lo, s22
	v_cmp_lt_u32_e64 s21, v53, v131
	s_and_saveexec_b32 s23, s21
	s_cbranch_execnz .LBB532_258
.LBB532_190:                            ;   in Loop: Header=BB532_104 Depth=2
	s_wait_alu 0xfffe
	s_or_b32 exec_lo, exec_lo, s23
	v_cmp_lt_u32_e64 s22, v54, v131
	s_and_saveexec_b32 s24, s22
	s_cbranch_execnz .LBB532_259
.LBB532_191:                            ;   in Loop: Header=BB532_104 Depth=2
	s_wait_alu 0xfffe
	s_or_b32 exec_lo, exec_lo, s24
	v_cmp_lt_u32_e64 s23, v55, v131
	s_and_saveexec_b32 s25, s23
	s_cbranch_execnz .LBB532_260
.LBB532_192:                            ;   in Loop: Header=BB532_104 Depth=2
	s_wait_alu 0xfffe
	s_or_b32 exec_lo, exec_lo, s25
	v_cmp_lt_u32_e64 s24, v56, v131
	s_and_saveexec_b32 s26, s24
	s_cbranch_execnz .LBB532_261
.LBB532_193:                            ;   in Loop: Header=BB532_104 Depth=2
	s_wait_alu 0xfffe
	s_or_b32 exec_lo, exec_lo, s26
	v_cmp_lt_u32_e64 s25, v57, v131
	s_and_saveexec_b32 s27, s25
	s_cbranch_execnz .LBB532_262
.LBB532_194:                            ;   in Loop: Header=BB532_104 Depth=2
	s_wait_alu 0xfffe
	s_or_b32 exec_lo, exec_lo, s27
	v_cmp_lt_u32_e64 s26, v58, v131
	s_and_saveexec_b32 s28, s26
	s_cbranch_execnz .LBB532_263
.LBB532_195:                            ;   in Loop: Header=BB532_104 Depth=2
	s_wait_alu 0xfffe
	s_or_b32 exec_lo, exec_lo, s28
	v_cmp_lt_u32_e64 s27, v59, v131
	s_and_saveexec_b32 s29, s27
	s_cbranch_execnz .LBB532_264
.LBB532_196:                            ;   in Loop: Header=BB532_104 Depth=2
	s_wait_alu 0xfffe
	s_or_b32 exec_lo, exec_lo, s29
	v_cmp_lt_u32_e64 s28, v60, v131
	s_and_saveexec_b32 s30, s28
	s_cbranch_execnz .LBB532_265
.LBB532_197:                            ;   in Loop: Header=BB532_104 Depth=2
	s_wait_alu 0xfffe
	s_or_b32 exec_lo, exec_lo, s30
	v_cmp_lt_u32_e64 s29, v61, v131
	s_and_saveexec_b32 s56, s29
	s_cbranch_execz .LBB532_199
.LBB532_198:                            ;   in Loop: Header=BB532_104 Depth=2
	ds_load_b32 v132, v70 offset:16384
	s_wait_dscnt 0x0
	v_lshrrev_b32_e32 v2, s31, v132
	s_delay_alu instid0(VALU_DEP_1) | instskip(NEXT) | instid1(VALU_DEP_1)
	v_and_b32_e32 v2, s48, v2
	v_lshlrev_b32_e32 v2, 2, v2
	ds_load_b32 v2, v2
	s_wait_dscnt 0x0
	v_add_nc_u32_e32 v2, v2, v61
	s_delay_alu instid0(VALU_DEP_1) | instskip(SKIP_1) | instid1(VALU_DEP_2)
	v_lshlrev_b64_e32 v[36:37], 2, v[2:3]
	v_xor_b32_e32 v2, 0x7fffffff, v132
	v_add_co_u32 v36, s30, s38, v36
	s_wait_alu 0xf1ff
	s_delay_alu instid0(VALU_DEP_3)
	v_add_co_ci_u32_e64 v37, null, s39, v37, s30
	global_store_b32 v[36:37], v2, off
.LBB532_199:                            ;   in Loop: Header=BB532_104 Depth=2
	s_wait_alu 0xfffe
	s_or_b32 exec_lo, exec_lo, s56
	s_lshl_b64 s[56:57], s[42:43], 3
	s_wait_alu 0xfffe
	v_add_co_u32 v36, s30, v109, s56
	s_wait_alu 0xf1ff
	v_add_co_ci_u32_e64 v37, null, s57, v110, s30
	v_cmp_lt_u32_e64 s30, v88, v131
	s_and_saveexec_b32 s42, s30
	s_wait_alu 0xfffe
	s_xor_b32 s30, exec_lo, s42
	s_cbranch_execnz .LBB532_266
; %bb.200:                              ;   in Loop: Header=BB532_104 Depth=2
	s_wait_alu 0xfffe
	s_or_b32 exec_lo, exec_lo, s30
	s_delay_alu instid0(SALU_CYCLE_1)
	s_mov_b32 s42, exec_lo
	v_cmpx_lt_u32_e64 v92, v131
	s_cbranch_execnz .LBB532_267
.LBB532_201:                            ;   in Loop: Header=BB532_104 Depth=2
	s_wait_alu 0xfffe
	s_or_b32 exec_lo, exec_lo, s42
	s_delay_alu instid0(SALU_CYCLE_1)
	s_mov_b32 s42, exec_lo
	v_cmpx_lt_u32_e64 v93, v131
	s_cbranch_execnz .LBB532_268
.LBB532_202:                            ;   in Loop: Header=BB532_104 Depth=2
	s_wait_alu 0xfffe
	s_or_b32 exec_lo, exec_lo, s42
	s_delay_alu instid0(SALU_CYCLE_1)
	s_mov_b32 s42, exec_lo
	v_cmpx_lt_u32_e64 v94, v131
	s_cbranch_execnz .LBB532_269
.LBB532_203:                            ;   in Loop: Header=BB532_104 Depth=2
	s_wait_alu 0xfffe
	s_or_b32 exec_lo, exec_lo, s42
	s_delay_alu instid0(SALU_CYCLE_1)
	s_mov_b32 s42, exec_lo
	v_cmpx_lt_u32_e64 v95, v131
	s_cbranch_execnz .LBB532_270
.LBB532_204:                            ;   in Loop: Header=BB532_104 Depth=2
	s_wait_alu 0xfffe
	s_or_b32 exec_lo, exec_lo, s42
	s_delay_alu instid0(SALU_CYCLE_1)
	s_mov_b32 s42, exec_lo
	v_cmpx_lt_u32_e64 v96, v131
	s_cbranch_execnz .LBB532_271
.LBB532_205:                            ;   in Loop: Header=BB532_104 Depth=2
	s_wait_alu 0xfffe
	s_or_b32 exec_lo, exec_lo, s42
	s_delay_alu instid0(SALU_CYCLE_1)
	s_mov_b32 s42, exec_lo
	v_cmpx_lt_u32_e64 v97, v131
	s_cbranch_execnz .LBB532_272
.LBB532_206:                            ;   in Loop: Header=BB532_104 Depth=2
	s_wait_alu 0xfffe
	s_or_b32 exec_lo, exec_lo, s42
	s_delay_alu instid0(SALU_CYCLE_1)
	s_mov_b32 s42, exec_lo
	v_cmpx_lt_u32_e64 v98, v131
	s_cbranch_execnz .LBB532_273
.LBB532_207:                            ;   in Loop: Header=BB532_104 Depth=2
	s_wait_alu 0xfffe
	s_or_b32 exec_lo, exec_lo, s42
	s_delay_alu instid0(SALU_CYCLE_1)
	s_mov_b32 s42, exec_lo
	v_cmpx_lt_u32_e64 v99, v131
	s_cbranch_execnz .LBB532_274
.LBB532_208:                            ;   in Loop: Header=BB532_104 Depth=2
	s_wait_alu 0xfffe
	s_or_b32 exec_lo, exec_lo, s42
	s_delay_alu instid0(SALU_CYCLE_1)
	s_mov_b32 s42, exec_lo
	v_cmpx_lt_u32_e64 v100, v131
	s_cbranch_execnz .LBB532_275
.LBB532_209:                            ;   in Loop: Header=BB532_104 Depth=2
	s_wait_alu 0xfffe
	s_or_b32 exec_lo, exec_lo, s42
	s_delay_alu instid0(SALU_CYCLE_1)
	s_mov_b32 s42, exec_lo
	v_cmpx_lt_u32_e64 v101, v131
	s_cbranch_execnz .LBB532_276
.LBB532_210:                            ;   in Loop: Header=BB532_104 Depth=2
	s_wait_alu 0xfffe
	s_or_b32 exec_lo, exec_lo, s42
	s_delay_alu instid0(SALU_CYCLE_1)
	s_mov_b32 s42, exec_lo
	v_cmpx_lt_u32_e64 v102, v131
	s_cbranch_execnz .LBB532_277
.LBB532_211:                            ;   in Loop: Header=BB532_104 Depth=2
	s_wait_alu 0xfffe
	s_or_b32 exec_lo, exec_lo, s42
	s_delay_alu instid0(SALU_CYCLE_1)
	s_mov_b32 s42, exec_lo
	v_cmpx_lt_u32_e64 v103, v131
	s_cbranch_execnz .LBB532_278
.LBB532_212:                            ;   in Loop: Header=BB532_104 Depth=2
	s_wait_alu 0xfffe
	s_or_b32 exec_lo, exec_lo, s42
	s_delay_alu instid0(SALU_CYCLE_1)
	s_mov_b32 s42, exec_lo
	v_cmpx_lt_u32_e64 v104, v131
	s_cbranch_execnz .LBB532_279
.LBB532_213:                            ;   in Loop: Header=BB532_104 Depth=2
	s_wait_alu 0xfffe
	s_or_b32 exec_lo, exec_lo, s42
	s_delay_alu instid0(SALU_CYCLE_1)
	s_mov_b32 s42, exec_lo
	v_cmpx_lt_u32_e64 v105, v131
	s_cbranch_execnz .LBB532_280
.LBB532_214:                            ;   in Loop: Header=BB532_104 Depth=2
	s_wait_alu 0xfffe
	s_or_b32 exec_lo, exec_lo, s42
	s_delay_alu instid0(SALU_CYCLE_1)
	s_mov_b32 s42, exec_lo
	v_cmpx_lt_u32_e64 v106, v131
	s_cbranch_execnz .LBB532_281
.LBB532_215:                            ;   in Loop: Header=BB532_104 Depth=2
	s_wait_alu 0xfffe
	s_or_b32 exec_lo, exec_lo, s42
	s_and_saveexec_b32 s30, vcc_lo
	s_cbranch_execnz .LBB532_282
.LBB532_216:                            ;   in Loop: Header=BB532_104 Depth=2
	s_wait_alu 0xfffe
	s_or_b32 exec_lo, exec_lo, s30
	s_and_saveexec_b32 s30, s15
	s_cbranch_execnz .LBB532_283
.LBB532_217:                            ;   in Loop: Header=BB532_104 Depth=2
	s_wait_alu 0xfffe
	s_or_b32 exec_lo, exec_lo, s30
	s_and_saveexec_b32 s30, s16
	s_cbranch_execnz .LBB532_284
.LBB532_218:                            ;   in Loop: Header=BB532_104 Depth=2
	s_wait_alu 0xfffe
	s_or_b32 exec_lo, exec_lo, s30
	s_and_saveexec_b32 s30, s17
	s_cbranch_execnz .LBB532_285
.LBB532_219:                            ;   in Loop: Header=BB532_104 Depth=2
	s_wait_alu 0xfffe
	s_or_b32 exec_lo, exec_lo, s30
	s_and_saveexec_b32 s30, s18
	s_cbranch_execnz .LBB532_286
.LBB532_220:                            ;   in Loop: Header=BB532_104 Depth=2
	s_wait_alu 0xfffe
	s_or_b32 exec_lo, exec_lo, s30
	s_and_saveexec_b32 s30, s19
	s_cbranch_execnz .LBB532_287
.LBB532_221:                            ;   in Loop: Header=BB532_104 Depth=2
	s_wait_alu 0xfffe
	s_or_b32 exec_lo, exec_lo, s30
	s_and_saveexec_b32 s30, s20
	s_cbranch_execnz .LBB532_288
.LBB532_222:                            ;   in Loop: Header=BB532_104 Depth=2
	s_wait_alu 0xfffe
	s_or_b32 exec_lo, exec_lo, s30
	s_and_saveexec_b32 s30, s21
	s_cbranch_execnz .LBB532_289
.LBB532_223:                            ;   in Loop: Header=BB532_104 Depth=2
	s_wait_alu 0xfffe
	s_or_b32 exec_lo, exec_lo, s30
	s_and_saveexec_b32 s30, s22
	s_cbranch_execnz .LBB532_290
.LBB532_224:                            ;   in Loop: Header=BB532_104 Depth=2
	s_wait_alu 0xfffe
	s_or_b32 exec_lo, exec_lo, s30
	s_and_saveexec_b32 s30, s23
	s_cbranch_execnz .LBB532_291
.LBB532_225:                            ;   in Loop: Header=BB532_104 Depth=2
	s_wait_alu 0xfffe
	s_or_b32 exec_lo, exec_lo, s30
	s_and_saveexec_b32 s30, s24
	s_cbranch_execnz .LBB532_292
.LBB532_226:                            ;   in Loop: Header=BB532_104 Depth=2
	s_wait_alu 0xfffe
	s_or_b32 exec_lo, exec_lo, s30
	s_and_saveexec_b32 s30, s25
	s_cbranch_execnz .LBB532_293
.LBB532_227:                            ;   in Loop: Header=BB532_104 Depth=2
	s_wait_alu 0xfffe
	s_or_b32 exec_lo, exec_lo, s30
	s_and_saveexec_b32 s30, s26
	s_cbranch_execnz .LBB532_294
.LBB532_228:                            ;   in Loop: Header=BB532_104 Depth=2
	s_wait_alu 0xfffe
	s_or_b32 exec_lo, exec_lo, s30
	s_and_saveexec_b32 s30, s27
	s_cbranch_execnz .LBB532_295
.LBB532_229:                            ;   in Loop: Header=BB532_104 Depth=2
	s_wait_alu 0xfffe
	s_or_b32 exec_lo, exec_lo, s30
	s_and_saveexec_b32 s30, s28
	s_cbranch_execnz .LBB532_296
.LBB532_230:                            ;   in Loop: Header=BB532_104 Depth=2
	s_wait_alu 0xfffe
	s_or_b32 exec_lo, exec_lo, s30
	s_and_saveexec_b32 s30, s29
	s_cbranch_execz .LBB532_232
.LBB532_231:                            ;   in Loop: Header=BB532_104 Depth=2
	ds_load_b32 v2, v70 offset:16384
	s_wait_dscnt 0x0
	v_lshrrev_b32_e32 v2, s31, v2
	s_delay_alu instid0(VALU_DEP_1)
	v_and_b32_e32 v115, s48, v2
.LBB532_232:                            ;   in Loop: Header=BB532_104 Depth=2
	s_wait_alu 0xfffe
	s_or_b32 exec_lo, exec_lo, s30
	v_lshlrev_b32_e32 v2, 3, v151
	s_wait_loadcnt 0x0
	s_wait_storecnt 0x0
	s_barrier_signal -1
	s_barrier_wait -1
	global_inv scope:SCOPE_SE
	ds_store_b64 v2, v[34:35] offset:1024
	v_lshlrev_b32_e32 v2, 3, v147
	v_lshlrev_b32_e32 v36, 3, v143
	v_lshlrev_b32_e32 v37, 3, v142
	v_lshlrev_b32_e32 v131, 3, v141
	v_lshlrev_b32_e32 v132, 3, v139
	ds_store_b64 v2, v[32:33] offset:1024
	ds_store_b64 v36, v[30:31] offset:1024
	ds_store_b64 v37, v[28:29] offset:1024
	ds_store_b64 v131, v[26:27] offset:1024
	ds_store_b64 v132, v[24:25] offset:1024
	v_lshlrev_b32_e32 v2, 3, v138
	v_lshlrev_b32_e32 v36, 3, v137
	v_lshlrev_b32_e32 v37, 3, v136
	v_lshlrev_b32_e32 v131, 3, v135
	v_lshlrev_b32_e32 v132, 3, v134
	ds_store_b64 v2, v[22:23] offset:1024
	ds_store_b64 v36, v[20:21] offset:1024
	ds_store_b64 v37, v[18:19] offset:1024
	ds_store_b64 v131, v[16:17] offset:1024
	;; [unrolled: 10-line block ×3, first 2 shown]
	ds_store_b64 v40, v[4:5] offset:1024
	s_wait_loadcnt_dscnt 0x0
	s_barrier_signal -1
	s_barrier_wait -1
	global_inv scope:SCOPE_SE
	s_and_saveexec_b32 s30, vcc_lo
	s_cbranch_execnz .LBB532_297
; %bb.233:                              ;   in Loop: Header=BB532_104 Depth=2
	s_wait_alu 0xfffe
	s_or_b32 exec_lo, exec_lo, s30
	s_and_saveexec_b32 s30, s15
	s_cbranch_execnz .LBB532_298
.LBB532_234:                            ;   in Loop: Header=BB532_104 Depth=2
	s_wait_alu 0xfffe
	s_or_b32 exec_lo, exec_lo, s30
	s_and_saveexec_b32 s15, s16
	s_cbranch_execnz .LBB532_299
.LBB532_235:                            ;   in Loop: Header=BB532_104 Depth=2
	s_wait_alu 0xfffe
	s_or_b32 exec_lo, exec_lo, s15
	s_and_saveexec_b32 s15, s17
	s_cbranch_execnz .LBB532_300
.LBB532_236:                            ;   in Loop: Header=BB532_104 Depth=2
	s_wait_alu 0xfffe
	s_or_b32 exec_lo, exec_lo, s15
	s_and_saveexec_b32 s15, s18
	s_cbranch_execnz .LBB532_301
.LBB532_237:                            ;   in Loop: Header=BB532_104 Depth=2
	s_wait_alu 0xfffe
	s_or_b32 exec_lo, exec_lo, s15
	s_and_saveexec_b32 s15, s19
	s_cbranch_execnz .LBB532_302
.LBB532_238:                            ;   in Loop: Header=BB532_104 Depth=2
	s_wait_alu 0xfffe
	s_or_b32 exec_lo, exec_lo, s15
	s_and_saveexec_b32 s15, s20
	s_cbranch_execnz .LBB532_303
.LBB532_239:                            ;   in Loop: Header=BB532_104 Depth=2
	s_wait_alu 0xfffe
	s_or_b32 exec_lo, exec_lo, s15
	s_and_saveexec_b32 s15, s21
	s_cbranch_execnz .LBB532_304
.LBB532_240:                            ;   in Loop: Header=BB532_104 Depth=2
	s_wait_alu 0xfffe
	s_or_b32 exec_lo, exec_lo, s15
	s_and_saveexec_b32 s15, s22
	s_cbranch_execnz .LBB532_305
.LBB532_241:                            ;   in Loop: Header=BB532_104 Depth=2
	s_wait_alu 0xfffe
	s_or_b32 exec_lo, exec_lo, s15
	s_and_saveexec_b32 s15, s23
	s_cbranch_execnz .LBB532_306
.LBB532_242:                            ;   in Loop: Header=BB532_104 Depth=2
	s_wait_alu 0xfffe
	s_or_b32 exec_lo, exec_lo, s15
	s_and_saveexec_b32 s15, s24
	s_cbranch_execnz .LBB532_307
.LBB532_243:                            ;   in Loop: Header=BB532_104 Depth=2
	s_wait_alu 0xfffe
	s_or_b32 exec_lo, exec_lo, s15
	s_and_saveexec_b32 s15, s25
	s_cbranch_execnz .LBB532_308
.LBB532_244:                            ;   in Loop: Header=BB532_104 Depth=2
	s_wait_alu 0xfffe
	s_or_b32 exec_lo, exec_lo, s15
	s_and_saveexec_b32 s15, s26
	s_cbranch_execnz .LBB532_309
.LBB532_245:                            ;   in Loop: Header=BB532_104 Depth=2
	s_wait_alu 0xfffe
	s_or_b32 exec_lo, exec_lo, s15
	s_and_saveexec_b32 s15, s27
	s_cbranch_execnz .LBB532_310
.LBB532_246:                            ;   in Loop: Header=BB532_104 Depth=2
	s_wait_alu 0xfffe
	s_or_b32 exec_lo, exec_lo, s15
	s_and_saveexec_b32 s15, s28
	s_cbranch_execnz .LBB532_311
.LBB532_247:                            ;   in Loop: Header=BB532_104 Depth=2
	s_wait_alu 0xfffe
	s_or_b32 exec_lo, exec_lo, s15
	s_and_saveexec_b32 s15, s29
	s_cbranch_execz .LBB532_249
.LBB532_248:                            ;   in Loop: Header=BB532_104 Depth=2
	v_lshlrev_b32_e32 v2, 2, v115
	v_add_nc_u32_e32 v36, v70, v44
	ds_load_b32 v2, v2
	ds_load_b64 v[36:37], v36 offset:31744
	s_wait_dscnt 0x1
	v_add_nc_u32_e32 v2, v2, v61
	s_delay_alu instid0(VALU_DEP_1) | instskip(NEXT) | instid1(VALU_DEP_1)
	v_lshlrev_b64_e32 v[39:40], 3, v[2:3]
	v_add_co_u32 v39, vcc_lo, s44, v39
	s_wait_alu 0xfffd
	s_delay_alu instid0(VALU_DEP_2)
	v_add_co_ci_u32_e64 v40, null, s45, v40, vcc_lo
	s_wait_dscnt 0x0
	global_store_b64 v[39:40], v[36:37], off
.LBB532_249:                            ;   in Loop: Header=BB532_104 Depth=2
	s_wait_alu 0xfffe
	s_or_b32 exec_lo, exec_lo, s15
	s_wait_loadcnt 0x0
	s_wait_storecnt 0x0
	s_barrier_signal -1
	s_barrier_wait -1
	global_inv scope:SCOPE_SE
	s_and_saveexec_b32 s15, s2
	s_cbranch_execz .LBB532_103
; %bb.250:                              ;   in Loop: Header=BB532_104 Depth=2
	ds_load_b32 v2, v44
	s_wait_dscnt 0x0
	v_add_nc_u32_e32 v2, v2, v38
	ds_store_b32 v44, v2
	s_branch .LBB532_103
.LBB532_251:                            ;   in Loop: Header=BB532_104 Depth=2
	ds_load_b32 v132, v70 offset:1024
	s_wait_dscnt 0x0
	v_lshrrev_b32_e32 v2, s31, v132
	s_delay_alu instid0(VALU_DEP_1) | instskip(NEXT) | instid1(VALU_DEP_1)
	v_and_b32_e32 v2, s48, v2
	v_lshlrev_b32_e32 v2, 2, v2
	ds_load_b32 v2, v2
	s_wait_dscnt 0x0
	v_add_nc_u32_e32 v2, v2, v1
	s_delay_alu instid0(VALU_DEP_1) | instskip(SKIP_1) | instid1(VALU_DEP_2)
	v_lshlrev_b64_e32 v[36:37], 2, v[2:3]
	v_xor_b32_e32 v2, 0x7fffffff, v132
	v_add_co_u32 v36, s15, s38, v36
	s_wait_alu 0xf1ff
	s_delay_alu instid0(VALU_DEP_3)
	v_add_co_ci_u32_e64 v37, null, s39, v37, s15
	global_store_b32 v[36:37], v2, off
	s_wait_alu 0xfffe
	s_or_b32 exec_lo, exec_lo, s16
	v_cmp_lt_u32_e64 s15, v45, v131
	s_and_saveexec_b32 s17, s15
	s_cbranch_execz .LBB532_184
.LBB532_252:                            ;   in Loop: Header=BB532_104 Depth=2
	ds_load_b32 v132, v70 offset:2048
	s_wait_dscnt 0x0
	v_lshrrev_b32_e32 v2, s31, v132
	s_delay_alu instid0(VALU_DEP_1) | instskip(NEXT) | instid1(VALU_DEP_1)
	v_and_b32_e32 v2, s48, v2
	v_lshlrev_b32_e32 v2, 2, v2
	ds_load_b32 v2, v2
	s_wait_dscnt 0x0
	v_add_nc_u32_e32 v2, v2, v45
	s_delay_alu instid0(VALU_DEP_1) | instskip(SKIP_1) | instid1(VALU_DEP_2)
	v_lshlrev_b64_e32 v[36:37], 2, v[2:3]
	v_xor_b32_e32 v2, 0x7fffffff, v132
	v_add_co_u32 v36, s16, s38, v36
	s_wait_alu 0xf1ff
	s_delay_alu instid0(VALU_DEP_3)
	v_add_co_ci_u32_e64 v37, null, s39, v37, s16
	global_store_b32 v[36:37], v2, off
	s_wait_alu 0xfffe
	s_or_b32 exec_lo, exec_lo, s17
	v_cmp_lt_u32_e64 s16, v46, v131
	s_and_saveexec_b32 s18, s16
	s_cbranch_execz .LBB532_185
.LBB532_253:                            ;   in Loop: Header=BB532_104 Depth=2
	ds_load_b32 v132, v70 offset:3072
	s_wait_dscnt 0x0
	v_lshrrev_b32_e32 v2, s31, v132
	s_delay_alu instid0(VALU_DEP_1) | instskip(NEXT) | instid1(VALU_DEP_1)
	v_and_b32_e32 v2, s48, v2
	v_lshlrev_b32_e32 v2, 2, v2
	ds_load_b32 v2, v2
	s_wait_dscnt 0x0
	v_add_nc_u32_e32 v2, v2, v46
	s_delay_alu instid0(VALU_DEP_1) | instskip(SKIP_1) | instid1(VALU_DEP_2)
	v_lshlrev_b64_e32 v[36:37], 2, v[2:3]
	v_xor_b32_e32 v2, 0x7fffffff, v132
	v_add_co_u32 v36, s17, s38, v36
	s_wait_alu 0xf1ff
	s_delay_alu instid0(VALU_DEP_3)
	v_add_co_ci_u32_e64 v37, null, s39, v37, s17
	global_store_b32 v[36:37], v2, off
	s_wait_alu 0xfffe
	s_or_b32 exec_lo, exec_lo, s18
	v_cmp_lt_u32_e64 s17, v47, v131
	s_and_saveexec_b32 s19, s17
	s_cbranch_execz .LBB532_186
.LBB532_254:                            ;   in Loop: Header=BB532_104 Depth=2
	ds_load_b32 v132, v70 offset:4096
	s_wait_dscnt 0x0
	v_lshrrev_b32_e32 v2, s31, v132
	s_delay_alu instid0(VALU_DEP_1) | instskip(NEXT) | instid1(VALU_DEP_1)
	v_and_b32_e32 v2, s48, v2
	v_lshlrev_b32_e32 v2, 2, v2
	ds_load_b32 v2, v2
	s_wait_dscnt 0x0
	v_add_nc_u32_e32 v2, v2, v47
	s_delay_alu instid0(VALU_DEP_1) | instskip(SKIP_1) | instid1(VALU_DEP_2)
	v_lshlrev_b64_e32 v[36:37], 2, v[2:3]
	v_xor_b32_e32 v2, 0x7fffffff, v132
	v_add_co_u32 v36, s18, s38, v36
	s_wait_alu 0xf1ff
	s_delay_alu instid0(VALU_DEP_3)
	v_add_co_ci_u32_e64 v37, null, s39, v37, s18
	global_store_b32 v[36:37], v2, off
	s_wait_alu 0xfffe
	s_or_b32 exec_lo, exec_lo, s19
	v_cmp_lt_u32_e64 s18, v50, v131
	s_and_saveexec_b32 s20, s18
	s_cbranch_execz .LBB532_187
.LBB532_255:                            ;   in Loop: Header=BB532_104 Depth=2
	ds_load_b32 v132, v70 offset:5120
	s_wait_dscnt 0x0
	v_lshrrev_b32_e32 v2, s31, v132
	s_delay_alu instid0(VALU_DEP_1) | instskip(NEXT) | instid1(VALU_DEP_1)
	v_and_b32_e32 v2, s48, v2
	v_lshlrev_b32_e32 v2, 2, v2
	ds_load_b32 v2, v2
	s_wait_dscnt 0x0
	v_add_nc_u32_e32 v2, v2, v50
	s_delay_alu instid0(VALU_DEP_1) | instskip(SKIP_1) | instid1(VALU_DEP_2)
	v_lshlrev_b64_e32 v[36:37], 2, v[2:3]
	v_xor_b32_e32 v2, 0x7fffffff, v132
	v_add_co_u32 v36, s19, s38, v36
	s_wait_alu 0xf1ff
	s_delay_alu instid0(VALU_DEP_3)
	v_add_co_ci_u32_e64 v37, null, s39, v37, s19
	global_store_b32 v[36:37], v2, off
	s_wait_alu 0xfffe
	s_or_b32 exec_lo, exec_lo, s20
	v_cmp_lt_u32_e64 s19, v51, v131
	s_and_saveexec_b32 s21, s19
	s_cbranch_execz .LBB532_188
.LBB532_256:                            ;   in Loop: Header=BB532_104 Depth=2
	ds_load_b32 v132, v70 offset:6144
	s_wait_dscnt 0x0
	v_lshrrev_b32_e32 v2, s31, v132
	s_delay_alu instid0(VALU_DEP_1) | instskip(NEXT) | instid1(VALU_DEP_1)
	v_and_b32_e32 v2, s48, v2
	v_lshlrev_b32_e32 v2, 2, v2
	ds_load_b32 v2, v2
	s_wait_dscnt 0x0
	v_add_nc_u32_e32 v2, v2, v51
	s_delay_alu instid0(VALU_DEP_1) | instskip(SKIP_1) | instid1(VALU_DEP_2)
	v_lshlrev_b64_e32 v[36:37], 2, v[2:3]
	v_xor_b32_e32 v2, 0x7fffffff, v132
	v_add_co_u32 v36, s20, s38, v36
	s_wait_alu 0xf1ff
	s_delay_alu instid0(VALU_DEP_3)
	v_add_co_ci_u32_e64 v37, null, s39, v37, s20
	global_store_b32 v[36:37], v2, off
	s_wait_alu 0xfffe
	s_or_b32 exec_lo, exec_lo, s21
	v_cmp_lt_u32_e64 s20, v52, v131
	s_and_saveexec_b32 s22, s20
	s_cbranch_execz .LBB532_189
.LBB532_257:                            ;   in Loop: Header=BB532_104 Depth=2
	ds_load_b32 v132, v70 offset:7168
	s_wait_dscnt 0x0
	v_lshrrev_b32_e32 v2, s31, v132
	s_delay_alu instid0(VALU_DEP_1) | instskip(NEXT) | instid1(VALU_DEP_1)
	v_and_b32_e32 v2, s48, v2
	v_lshlrev_b32_e32 v2, 2, v2
	ds_load_b32 v2, v2
	s_wait_dscnt 0x0
	v_add_nc_u32_e32 v2, v2, v52
	s_delay_alu instid0(VALU_DEP_1) | instskip(SKIP_1) | instid1(VALU_DEP_2)
	v_lshlrev_b64_e32 v[36:37], 2, v[2:3]
	v_xor_b32_e32 v2, 0x7fffffff, v132
	v_add_co_u32 v36, s21, s38, v36
	s_wait_alu 0xf1ff
	s_delay_alu instid0(VALU_DEP_3)
	v_add_co_ci_u32_e64 v37, null, s39, v37, s21
	global_store_b32 v[36:37], v2, off
	s_wait_alu 0xfffe
	s_or_b32 exec_lo, exec_lo, s22
	v_cmp_lt_u32_e64 s21, v53, v131
	s_and_saveexec_b32 s23, s21
	s_cbranch_execz .LBB532_190
.LBB532_258:                            ;   in Loop: Header=BB532_104 Depth=2
	ds_load_b32 v132, v70 offset:8192
	s_wait_dscnt 0x0
	v_lshrrev_b32_e32 v2, s31, v132
	s_delay_alu instid0(VALU_DEP_1) | instskip(NEXT) | instid1(VALU_DEP_1)
	v_and_b32_e32 v2, s48, v2
	v_lshlrev_b32_e32 v2, 2, v2
	ds_load_b32 v2, v2
	s_wait_dscnt 0x0
	v_add_nc_u32_e32 v2, v2, v53
	s_delay_alu instid0(VALU_DEP_1) | instskip(SKIP_1) | instid1(VALU_DEP_2)
	v_lshlrev_b64_e32 v[36:37], 2, v[2:3]
	v_xor_b32_e32 v2, 0x7fffffff, v132
	v_add_co_u32 v36, s22, s38, v36
	s_wait_alu 0xf1ff
	s_delay_alu instid0(VALU_DEP_3)
	v_add_co_ci_u32_e64 v37, null, s39, v37, s22
	global_store_b32 v[36:37], v2, off
	s_wait_alu 0xfffe
	s_or_b32 exec_lo, exec_lo, s23
	v_cmp_lt_u32_e64 s22, v54, v131
	s_and_saveexec_b32 s24, s22
	s_cbranch_execz .LBB532_191
.LBB532_259:                            ;   in Loop: Header=BB532_104 Depth=2
	ds_load_b32 v132, v70 offset:9216
	s_wait_dscnt 0x0
	v_lshrrev_b32_e32 v2, s31, v132
	s_delay_alu instid0(VALU_DEP_1) | instskip(NEXT) | instid1(VALU_DEP_1)
	v_and_b32_e32 v2, s48, v2
	v_lshlrev_b32_e32 v2, 2, v2
	ds_load_b32 v2, v2
	s_wait_dscnt 0x0
	v_add_nc_u32_e32 v2, v2, v54
	s_delay_alu instid0(VALU_DEP_1) | instskip(SKIP_1) | instid1(VALU_DEP_2)
	v_lshlrev_b64_e32 v[36:37], 2, v[2:3]
	v_xor_b32_e32 v2, 0x7fffffff, v132
	v_add_co_u32 v36, s23, s38, v36
	s_wait_alu 0xf1ff
	s_delay_alu instid0(VALU_DEP_3)
	v_add_co_ci_u32_e64 v37, null, s39, v37, s23
	global_store_b32 v[36:37], v2, off
	s_wait_alu 0xfffe
	s_or_b32 exec_lo, exec_lo, s24
	v_cmp_lt_u32_e64 s23, v55, v131
	s_and_saveexec_b32 s25, s23
	s_cbranch_execz .LBB532_192
.LBB532_260:                            ;   in Loop: Header=BB532_104 Depth=2
	ds_load_b32 v132, v70 offset:10240
	s_wait_dscnt 0x0
	v_lshrrev_b32_e32 v2, s31, v132
	s_delay_alu instid0(VALU_DEP_1) | instskip(NEXT) | instid1(VALU_DEP_1)
	v_and_b32_e32 v2, s48, v2
	v_lshlrev_b32_e32 v2, 2, v2
	ds_load_b32 v2, v2
	s_wait_dscnt 0x0
	v_add_nc_u32_e32 v2, v2, v55
	s_delay_alu instid0(VALU_DEP_1) | instskip(SKIP_1) | instid1(VALU_DEP_2)
	v_lshlrev_b64_e32 v[36:37], 2, v[2:3]
	v_xor_b32_e32 v2, 0x7fffffff, v132
	v_add_co_u32 v36, s24, s38, v36
	s_wait_alu 0xf1ff
	s_delay_alu instid0(VALU_DEP_3)
	v_add_co_ci_u32_e64 v37, null, s39, v37, s24
	global_store_b32 v[36:37], v2, off
	s_wait_alu 0xfffe
	s_or_b32 exec_lo, exec_lo, s25
	v_cmp_lt_u32_e64 s24, v56, v131
	s_and_saveexec_b32 s26, s24
	s_cbranch_execz .LBB532_193
.LBB532_261:                            ;   in Loop: Header=BB532_104 Depth=2
	ds_load_b32 v132, v70 offset:11264
	s_wait_dscnt 0x0
	v_lshrrev_b32_e32 v2, s31, v132
	s_delay_alu instid0(VALU_DEP_1) | instskip(NEXT) | instid1(VALU_DEP_1)
	v_and_b32_e32 v2, s48, v2
	v_lshlrev_b32_e32 v2, 2, v2
	ds_load_b32 v2, v2
	s_wait_dscnt 0x0
	v_add_nc_u32_e32 v2, v2, v56
	s_delay_alu instid0(VALU_DEP_1) | instskip(SKIP_1) | instid1(VALU_DEP_2)
	v_lshlrev_b64_e32 v[36:37], 2, v[2:3]
	v_xor_b32_e32 v2, 0x7fffffff, v132
	v_add_co_u32 v36, s25, s38, v36
	s_wait_alu 0xf1ff
	s_delay_alu instid0(VALU_DEP_3)
	v_add_co_ci_u32_e64 v37, null, s39, v37, s25
	global_store_b32 v[36:37], v2, off
	s_wait_alu 0xfffe
	s_or_b32 exec_lo, exec_lo, s26
	v_cmp_lt_u32_e64 s25, v57, v131
	s_and_saveexec_b32 s27, s25
	s_cbranch_execz .LBB532_194
.LBB532_262:                            ;   in Loop: Header=BB532_104 Depth=2
	ds_load_b32 v132, v70 offset:12288
	s_wait_dscnt 0x0
	v_lshrrev_b32_e32 v2, s31, v132
	s_delay_alu instid0(VALU_DEP_1) | instskip(NEXT) | instid1(VALU_DEP_1)
	v_and_b32_e32 v2, s48, v2
	v_lshlrev_b32_e32 v2, 2, v2
	ds_load_b32 v2, v2
	s_wait_dscnt 0x0
	v_add_nc_u32_e32 v2, v2, v57
	s_delay_alu instid0(VALU_DEP_1) | instskip(SKIP_1) | instid1(VALU_DEP_2)
	v_lshlrev_b64_e32 v[36:37], 2, v[2:3]
	v_xor_b32_e32 v2, 0x7fffffff, v132
	v_add_co_u32 v36, s26, s38, v36
	s_wait_alu 0xf1ff
	s_delay_alu instid0(VALU_DEP_3)
	v_add_co_ci_u32_e64 v37, null, s39, v37, s26
	global_store_b32 v[36:37], v2, off
	s_wait_alu 0xfffe
	s_or_b32 exec_lo, exec_lo, s27
	v_cmp_lt_u32_e64 s26, v58, v131
	s_and_saveexec_b32 s28, s26
	s_cbranch_execz .LBB532_195
.LBB532_263:                            ;   in Loop: Header=BB532_104 Depth=2
	ds_load_b32 v132, v70 offset:13312
	s_wait_dscnt 0x0
	v_lshrrev_b32_e32 v2, s31, v132
	s_delay_alu instid0(VALU_DEP_1) | instskip(NEXT) | instid1(VALU_DEP_1)
	v_and_b32_e32 v2, s48, v2
	v_lshlrev_b32_e32 v2, 2, v2
	ds_load_b32 v2, v2
	s_wait_dscnt 0x0
	v_add_nc_u32_e32 v2, v2, v58
	s_delay_alu instid0(VALU_DEP_1) | instskip(SKIP_1) | instid1(VALU_DEP_2)
	v_lshlrev_b64_e32 v[36:37], 2, v[2:3]
	v_xor_b32_e32 v2, 0x7fffffff, v132
	v_add_co_u32 v36, s27, s38, v36
	s_wait_alu 0xf1ff
	s_delay_alu instid0(VALU_DEP_3)
	v_add_co_ci_u32_e64 v37, null, s39, v37, s27
	global_store_b32 v[36:37], v2, off
	s_wait_alu 0xfffe
	s_or_b32 exec_lo, exec_lo, s28
	v_cmp_lt_u32_e64 s27, v59, v131
	s_and_saveexec_b32 s29, s27
	s_cbranch_execz .LBB532_196
.LBB532_264:                            ;   in Loop: Header=BB532_104 Depth=2
	ds_load_b32 v132, v70 offset:14336
	s_wait_dscnt 0x0
	v_lshrrev_b32_e32 v2, s31, v132
	s_delay_alu instid0(VALU_DEP_1) | instskip(NEXT) | instid1(VALU_DEP_1)
	v_and_b32_e32 v2, s48, v2
	v_lshlrev_b32_e32 v2, 2, v2
	ds_load_b32 v2, v2
	s_wait_dscnt 0x0
	v_add_nc_u32_e32 v2, v2, v59
	s_delay_alu instid0(VALU_DEP_1) | instskip(SKIP_1) | instid1(VALU_DEP_2)
	v_lshlrev_b64_e32 v[36:37], 2, v[2:3]
	v_xor_b32_e32 v2, 0x7fffffff, v132
	v_add_co_u32 v36, s28, s38, v36
	s_wait_alu 0xf1ff
	s_delay_alu instid0(VALU_DEP_3)
	v_add_co_ci_u32_e64 v37, null, s39, v37, s28
	global_store_b32 v[36:37], v2, off
	s_wait_alu 0xfffe
	s_or_b32 exec_lo, exec_lo, s29
	v_cmp_lt_u32_e64 s28, v60, v131
	s_and_saveexec_b32 s30, s28
	s_cbranch_execz .LBB532_197
.LBB532_265:                            ;   in Loop: Header=BB532_104 Depth=2
	ds_load_b32 v132, v70 offset:15360
	s_wait_dscnt 0x0
	v_lshrrev_b32_e32 v2, s31, v132
	s_delay_alu instid0(VALU_DEP_1) | instskip(NEXT) | instid1(VALU_DEP_1)
	v_and_b32_e32 v2, s48, v2
	v_lshlrev_b32_e32 v2, 2, v2
	ds_load_b32 v2, v2
	s_wait_dscnt 0x0
	v_add_nc_u32_e32 v2, v2, v60
	s_delay_alu instid0(VALU_DEP_1) | instskip(SKIP_1) | instid1(VALU_DEP_2)
	v_lshlrev_b64_e32 v[36:37], 2, v[2:3]
	v_xor_b32_e32 v2, 0x7fffffff, v132
	v_add_co_u32 v36, s29, s38, v36
	s_wait_alu 0xf1ff
	s_delay_alu instid0(VALU_DEP_3)
	v_add_co_ci_u32_e64 v37, null, s39, v37, s29
	global_store_b32 v[36:37], v2, off
	s_wait_alu 0xfffe
	s_or_b32 exec_lo, exec_lo, s30
	v_cmp_lt_u32_e64 s29, v61, v131
	s_and_saveexec_b32 s56, s29
	s_cbranch_execnz .LBB532_198
	s_branch .LBB532_199
.LBB532_266:                            ;   in Loop: Header=BB532_104 Depth=2
	global_load_b64 v[34:35], v[36:37], off
	s_wait_alu 0xfffe
	s_or_b32 exec_lo, exec_lo, s30
	s_delay_alu instid0(SALU_CYCLE_1)
	s_mov_b32 s42, exec_lo
	v_cmpx_lt_u32_e64 v92, v131
	s_cbranch_execz .LBB532_201
.LBB532_267:                            ;   in Loop: Header=BB532_104 Depth=2
	global_load_b64 v[32:33], v[36:37], off offset:256
	s_wait_alu 0xfffe
	s_or_b32 exec_lo, exec_lo, s42
	s_delay_alu instid0(SALU_CYCLE_1)
	s_mov_b32 s42, exec_lo
	v_cmpx_lt_u32_e64 v93, v131
	s_cbranch_execz .LBB532_202
.LBB532_268:                            ;   in Loop: Header=BB532_104 Depth=2
	global_load_b64 v[30:31], v[36:37], off offset:512
	s_wait_alu 0xfffe
	s_or_b32 exec_lo, exec_lo, s42
	s_delay_alu instid0(SALU_CYCLE_1)
	s_mov_b32 s42, exec_lo
	v_cmpx_lt_u32_e64 v94, v131
	s_cbranch_execz .LBB532_203
.LBB532_269:                            ;   in Loop: Header=BB532_104 Depth=2
	global_load_b64 v[28:29], v[36:37], off offset:768
	s_wait_alu 0xfffe
	s_or_b32 exec_lo, exec_lo, s42
	s_delay_alu instid0(SALU_CYCLE_1)
	s_mov_b32 s42, exec_lo
	v_cmpx_lt_u32_e64 v95, v131
	s_cbranch_execz .LBB532_204
.LBB532_270:                            ;   in Loop: Header=BB532_104 Depth=2
	global_load_b64 v[26:27], v[36:37], off offset:1024
	s_wait_alu 0xfffe
	s_or_b32 exec_lo, exec_lo, s42
	s_delay_alu instid0(SALU_CYCLE_1)
	s_mov_b32 s42, exec_lo
	v_cmpx_lt_u32_e64 v96, v131
	s_cbranch_execz .LBB532_205
.LBB532_271:                            ;   in Loop: Header=BB532_104 Depth=2
	global_load_b64 v[24:25], v[36:37], off offset:1280
	s_wait_alu 0xfffe
	s_or_b32 exec_lo, exec_lo, s42
	s_delay_alu instid0(SALU_CYCLE_1)
	s_mov_b32 s42, exec_lo
	v_cmpx_lt_u32_e64 v97, v131
	s_cbranch_execz .LBB532_206
.LBB532_272:                            ;   in Loop: Header=BB532_104 Depth=2
	global_load_b64 v[22:23], v[36:37], off offset:1536
	s_wait_alu 0xfffe
	s_or_b32 exec_lo, exec_lo, s42
	s_delay_alu instid0(SALU_CYCLE_1)
	s_mov_b32 s42, exec_lo
	v_cmpx_lt_u32_e64 v98, v131
	s_cbranch_execz .LBB532_207
.LBB532_273:                            ;   in Loop: Header=BB532_104 Depth=2
	global_load_b64 v[20:21], v[36:37], off offset:1792
	s_wait_alu 0xfffe
	s_or_b32 exec_lo, exec_lo, s42
	s_delay_alu instid0(SALU_CYCLE_1)
	s_mov_b32 s42, exec_lo
	v_cmpx_lt_u32_e64 v99, v131
	s_cbranch_execz .LBB532_208
.LBB532_274:                            ;   in Loop: Header=BB532_104 Depth=2
	global_load_b64 v[18:19], v[36:37], off offset:2048
	s_wait_alu 0xfffe
	s_or_b32 exec_lo, exec_lo, s42
	s_delay_alu instid0(SALU_CYCLE_1)
	s_mov_b32 s42, exec_lo
	v_cmpx_lt_u32_e64 v100, v131
	s_cbranch_execz .LBB532_209
.LBB532_275:                            ;   in Loop: Header=BB532_104 Depth=2
	global_load_b64 v[16:17], v[36:37], off offset:2304
	s_wait_alu 0xfffe
	s_or_b32 exec_lo, exec_lo, s42
	s_delay_alu instid0(SALU_CYCLE_1)
	s_mov_b32 s42, exec_lo
	v_cmpx_lt_u32_e64 v101, v131
	s_cbranch_execz .LBB532_210
.LBB532_276:                            ;   in Loop: Header=BB532_104 Depth=2
	global_load_b64 v[14:15], v[36:37], off offset:2560
	s_wait_alu 0xfffe
	s_or_b32 exec_lo, exec_lo, s42
	s_delay_alu instid0(SALU_CYCLE_1)
	s_mov_b32 s42, exec_lo
	v_cmpx_lt_u32_e64 v102, v131
	s_cbranch_execz .LBB532_211
.LBB532_277:                            ;   in Loop: Header=BB532_104 Depth=2
	global_load_b64 v[12:13], v[36:37], off offset:2816
	s_wait_alu 0xfffe
	s_or_b32 exec_lo, exec_lo, s42
	s_delay_alu instid0(SALU_CYCLE_1)
	s_mov_b32 s42, exec_lo
	v_cmpx_lt_u32_e64 v103, v131
	s_cbranch_execz .LBB532_212
.LBB532_278:                            ;   in Loop: Header=BB532_104 Depth=2
	global_load_b64 v[10:11], v[36:37], off offset:3072
	s_wait_alu 0xfffe
	s_or_b32 exec_lo, exec_lo, s42
	s_delay_alu instid0(SALU_CYCLE_1)
	s_mov_b32 s42, exec_lo
	v_cmpx_lt_u32_e64 v104, v131
	s_cbranch_execz .LBB532_213
.LBB532_279:                            ;   in Loop: Header=BB532_104 Depth=2
	global_load_b64 v[8:9], v[36:37], off offset:3328
	s_wait_alu 0xfffe
	s_or_b32 exec_lo, exec_lo, s42
	s_delay_alu instid0(SALU_CYCLE_1)
	s_mov_b32 s42, exec_lo
	v_cmpx_lt_u32_e64 v105, v131
	s_cbranch_execz .LBB532_214
.LBB532_280:                            ;   in Loop: Header=BB532_104 Depth=2
	global_load_b64 v[6:7], v[36:37], off offset:3584
	s_wait_alu 0xfffe
	s_or_b32 exec_lo, exec_lo, s42
	s_delay_alu instid0(SALU_CYCLE_1)
	s_mov_b32 s42, exec_lo
	v_cmpx_lt_u32_e64 v106, v131
	s_cbranch_execz .LBB532_215
.LBB532_281:                            ;   in Loop: Header=BB532_104 Depth=2
	global_load_b64 v[4:5], v[36:37], off offset:3840
	s_wait_alu 0xfffe
	s_or_b32 exec_lo, exec_lo, s42
	s_and_saveexec_b32 s30, vcc_lo
	s_cbranch_execz .LBB532_216
.LBB532_282:                            ;   in Loop: Header=BB532_104 Depth=2
	ds_load_b32 v2, v70 offset:1024
	s_wait_dscnt 0x0
	v_lshrrev_b32_e32 v2, s31, v2
	s_delay_alu instid0(VALU_DEP_1)
	v_and_b32_e32 v130, s48, v2
	s_wait_alu 0xfffe
	s_or_b32 exec_lo, exec_lo, s30
	s_and_saveexec_b32 s30, s15
	s_cbranch_execz .LBB532_217
.LBB532_283:                            ;   in Loop: Header=BB532_104 Depth=2
	ds_load_b32 v2, v70 offset:2048
	s_wait_dscnt 0x0
	v_lshrrev_b32_e32 v2, s31, v2
	s_delay_alu instid0(VALU_DEP_1)
	v_and_b32_e32 v129, s48, v2
	s_wait_alu 0xfffe
	s_or_b32 exec_lo, exec_lo, s30
	s_and_saveexec_b32 s30, s16
	s_cbranch_execz .LBB532_218
.LBB532_284:                            ;   in Loop: Header=BB532_104 Depth=2
	ds_load_b32 v2, v70 offset:3072
	s_wait_dscnt 0x0
	v_lshrrev_b32_e32 v2, s31, v2
	s_delay_alu instid0(VALU_DEP_1)
	v_and_b32_e32 v128, s48, v2
	s_wait_alu 0xfffe
	s_or_b32 exec_lo, exec_lo, s30
	s_and_saveexec_b32 s30, s17
	s_cbranch_execz .LBB532_219
.LBB532_285:                            ;   in Loop: Header=BB532_104 Depth=2
	ds_load_b32 v2, v70 offset:4096
	s_wait_dscnt 0x0
	v_lshrrev_b32_e32 v2, s31, v2
	s_delay_alu instid0(VALU_DEP_1)
	v_and_b32_e32 v127, s48, v2
	s_wait_alu 0xfffe
	s_or_b32 exec_lo, exec_lo, s30
	s_and_saveexec_b32 s30, s18
	s_cbranch_execz .LBB532_220
.LBB532_286:                            ;   in Loop: Header=BB532_104 Depth=2
	ds_load_b32 v2, v70 offset:5120
	s_wait_dscnt 0x0
	v_lshrrev_b32_e32 v2, s31, v2
	s_delay_alu instid0(VALU_DEP_1)
	v_and_b32_e32 v126, s48, v2
	s_wait_alu 0xfffe
	s_or_b32 exec_lo, exec_lo, s30
	s_and_saveexec_b32 s30, s19
	s_cbranch_execz .LBB532_221
.LBB532_287:                            ;   in Loop: Header=BB532_104 Depth=2
	ds_load_b32 v2, v70 offset:6144
	s_wait_dscnt 0x0
	v_lshrrev_b32_e32 v2, s31, v2
	s_delay_alu instid0(VALU_DEP_1)
	v_and_b32_e32 v125, s48, v2
	s_wait_alu 0xfffe
	s_or_b32 exec_lo, exec_lo, s30
	s_and_saveexec_b32 s30, s20
	s_cbranch_execz .LBB532_222
.LBB532_288:                            ;   in Loop: Header=BB532_104 Depth=2
	ds_load_b32 v2, v70 offset:7168
	s_wait_dscnt 0x0
	v_lshrrev_b32_e32 v2, s31, v2
	s_delay_alu instid0(VALU_DEP_1)
	v_and_b32_e32 v124, s48, v2
	s_wait_alu 0xfffe
	s_or_b32 exec_lo, exec_lo, s30
	s_and_saveexec_b32 s30, s21
	s_cbranch_execz .LBB532_223
.LBB532_289:                            ;   in Loop: Header=BB532_104 Depth=2
	ds_load_b32 v2, v70 offset:8192
	s_wait_dscnt 0x0
	v_lshrrev_b32_e32 v2, s31, v2
	s_delay_alu instid0(VALU_DEP_1)
	v_and_b32_e32 v123, s48, v2
	s_wait_alu 0xfffe
	s_or_b32 exec_lo, exec_lo, s30
	s_and_saveexec_b32 s30, s22
	s_cbranch_execz .LBB532_224
.LBB532_290:                            ;   in Loop: Header=BB532_104 Depth=2
	ds_load_b32 v2, v70 offset:9216
	s_wait_dscnt 0x0
	v_lshrrev_b32_e32 v2, s31, v2
	s_delay_alu instid0(VALU_DEP_1)
	v_and_b32_e32 v122, s48, v2
	s_wait_alu 0xfffe
	s_or_b32 exec_lo, exec_lo, s30
	s_and_saveexec_b32 s30, s23
	s_cbranch_execz .LBB532_225
.LBB532_291:                            ;   in Loop: Header=BB532_104 Depth=2
	ds_load_b32 v2, v70 offset:10240
	s_wait_dscnt 0x0
	v_lshrrev_b32_e32 v2, s31, v2
	s_delay_alu instid0(VALU_DEP_1)
	v_and_b32_e32 v121, s48, v2
	s_wait_alu 0xfffe
	s_or_b32 exec_lo, exec_lo, s30
	s_and_saveexec_b32 s30, s24
	s_cbranch_execz .LBB532_226
.LBB532_292:                            ;   in Loop: Header=BB532_104 Depth=2
	ds_load_b32 v2, v70 offset:11264
	s_wait_dscnt 0x0
	v_lshrrev_b32_e32 v2, s31, v2
	s_delay_alu instid0(VALU_DEP_1)
	v_and_b32_e32 v120, s48, v2
	s_wait_alu 0xfffe
	s_or_b32 exec_lo, exec_lo, s30
	s_and_saveexec_b32 s30, s25
	s_cbranch_execz .LBB532_227
.LBB532_293:                            ;   in Loop: Header=BB532_104 Depth=2
	ds_load_b32 v2, v70 offset:12288
	s_wait_dscnt 0x0
	v_lshrrev_b32_e32 v2, s31, v2
	s_delay_alu instid0(VALU_DEP_1)
	v_and_b32_e32 v119, s48, v2
	s_wait_alu 0xfffe
	s_or_b32 exec_lo, exec_lo, s30
	s_and_saveexec_b32 s30, s26
	s_cbranch_execz .LBB532_228
.LBB532_294:                            ;   in Loop: Header=BB532_104 Depth=2
	ds_load_b32 v2, v70 offset:13312
	s_wait_dscnt 0x0
	v_lshrrev_b32_e32 v2, s31, v2
	s_delay_alu instid0(VALU_DEP_1)
	v_and_b32_e32 v118, s48, v2
	s_wait_alu 0xfffe
	s_or_b32 exec_lo, exec_lo, s30
	s_and_saveexec_b32 s30, s27
	s_cbranch_execz .LBB532_229
.LBB532_295:                            ;   in Loop: Header=BB532_104 Depth=2
	ds_load_b32 v2, v70 offset:14336
	s_wait_dscnt 0x0
	v_lshrrev_b32_e32 v2, s31, v2
	s_delay_alu instid0(VALU_DEP_1)
	v_and_b32_e32 v117, s48, v2
	s_wait_alu 0xfffe
	s_or_b32 exec_lo, exec_lo, s30
	s_and_saveexec_b32 s30, s28
	s_cbranch_execz .LBB532_230
.LBB532_296:                            ;   in Loop: Header=BB532_104 Depth=2
	ds_load_b32 v2, v70 offset:15360
	s_wait_dscnt 0x0
	v_lshrrev_b32_e32 v2, s31, v2
	s_delay_alu instid0(VALU_DEP_1)
	v_and_b32_e32 v116, s48, v2
	s_wait_alu 0xfffe
	s_or_b32 exec_lo, exec_lo, s30
	s_and_saveexec_b32 s30, s29
	s_cbranch_execnz .LBB532_231
	s_branch .LBB532_232
.LBB532_297:                            ;   in Loop: Header=BB532_104 Depth=2
	v_lshlrev_b32_e32 v2, 2, v130
	v_add_nc_u32_e32 v36, v70, v44
	ds_load_b32 v2, v2
	ds_load_b64 v[36:37], v36 offset:1024
	s_wait_dscnt 0x1
	v_add_nc_u32_e32 v2, v2, v1
	s_delay_alu instid0(VALU_DEP_1) | instskip(NEXT) | instid1(VALU_DEP_1)
	v_lshlrev_b64_e32 v[39:40], 3, v[2:3]
	v_add_co_u32 v39, vcc_lo, s44, v39
	s_wait_alu 0xfffd
	s_delay_alu instid0(VALU_DEP_2)
	v_add_co_ci_u32_e64 v40, null, s45, v40, vcc_lo
	s_wait_dscnt 0x0
	global_store_b64 v[39:40], v[36:37], off
	s_wait_alu 0xfffe
	s_or_b32 exec_lo, exec_lo, s30
	s_and_saveexec_b32 s30, s15
	s_cbranch_execz .LBB532_234
.LBB532_298:                            ;   in Loop: Header=BB532_104 Depth=2
	v_lshlrev_b32_e32 v2, 2, v129
	v_add_nc_u32_e32 v36, v70, v44
	ds_load_b32 v2, v2
	ds_load_b64 v[36:37], v36 offset:3072
	s_wait_dscnt 0x1
	v_add_nc_u32_e32 v2, v2, v45
	s_delay_alu instid0(VALU_DEP_1) | instskip(NEXT) | instid1(VALU_DEP_1)
	v_lshlrev_b64_e32 v[39:40], 3, v[2:3]
	v_add_co_u32 v39, vcc_lo, s44, v39
	s_wait_alu 0xfffd
	s_delay_alu instid0(VALU_DEP_2)
	v_add_co_ci_u32_e64 v40, null, s45, v40, vcc_lo
	s_wait_dscnt 0x0
	global_store_b64 v[39:40], v[36:37], off
	s_wait_alu 0xfffe
	s_or_b32 exec_lo, exec_lo, s30
	s_and_saveexec_b32 s15, s16
	s_cbranch_execz .LBB532_235
.LBB532_299:                            ;   in Loop: Header=BB532_104 Depth=2
	v_lshlrev_b32_e32 v2, 2, v128
	v_add_nc_u32_e32 v36, v70, v44
	ds_load_b32 v2, v2
	ds_load_b64 v[36:37], v36 offset:5120
	s_wait_dscnt 0x1
	v_add_nc_u32_e32 v2, v2, v46
	s_delay_alu instid0(VALU_DEP_1) | instskip(NEXT) | instid1(VALU_DEP_1)
	v_lshlrev_b64_e32 v[39:40], 3, v[2:3]
	v_add_co_u32 v39, vcc_lo, s44, v39
	s_wait_alu 0xfffd
	s_delay_alu instid0(VALU_DEP_2)
	v_add_co_ci_u32_e64 v40, null, s45, v40, vcc_lo
	s_wait_dscnt 0x0
	global_store_b64 v[39:40], v[36:37], off
	s_wait_alu 0xfffe
	s_or_b32 exec_lo, exec_lo, s15
	s_and_saveexec_b32 s15, s17
	s_cbranch_execz .LBB532_236
.LBB532_300:                            ;   in Loop: Header=BB532_104 Depth=2
	v_lshlrev_b32_e32 v2, 2, v127
	v_add_nc_u32_e32 v36, v70, v44
	ds_load_b32 v2, v2
	ds_load_b64 v[36:37], v36 offset:7168
	s_wait_dscnt 0x1
	v_add_nc_u32_e32 v2, v2, v47
	s_delay_alu instid0(VALU_DEP_1) | instskip(NEXT) | instid1(VALU_DEP_1)
	v_lshlrev_b64_e32 v[39:40], 3, v[2:3]
	v_add_co_u32 v39, vcc_lo, s44, v39
	s_wait_alu 0xfffd
	s_delay_alu instid0(VALU_DEP_2)
	v_add_co_ci_u32_e64 v40, null, s45, v40, vcc_lo
	s_wait_dscnt 0x0
	global_store_b64 v[39:40], v[36:37], off
	s_wait_alu 0xfffe
	s_or_b32 exec_lo, exec_lo, s15
	s_and_saveexec_b32 s15, s18
	s_cbranch_execz .LBB532_237
.LBB532_301:                            ;   in Loop: Header=BB532_104 Depth=2
	v_lshlrev_b32_e32 v2, 2, v126
	v_add_nc_u32_e32 v36, v70, v44
	ds_load_b32 v2, v2
	ds_load_b64 v[36:37], v36 offset:9216
	s_wait_dscnt 0x1
	v_add_nc_u32_e32 v2, v2, v50
	s_delay_alu instid0(VALU_DEP_1) | instskip(NEXT) | instid1(VALU_DEP_1)
	v_lshlrev_b64_e32 v[39:40], 3, v[2:3]
	v_add_co_u32 v39, vcc_lo, s44, v39
	s_wait_alu 0xfffd
	s_delay_alu instid0(VALU_DEP_2)
	v_add_co_ci_u32_e64 v40, null, s45, v40, vcc_lo
	s_wait_dscnt 0x0
	global_store_b64 v[39:40], v[36:37], off
	s_wait_alu 0xfffe
	s_or_b32 exec_lo, exec_lo, s15
	s_and_saveexec_b32 s15, s19
	s_cbranch_execz .LBB532_238
.LBB532_302:                            ;   in Loop: Header=BB532_104 Depth=2
	v_lshlrev_b32_e32 v2, 2, v125
	v_add_nc_u32_e32 v36, v70, v44
	ds_load_b32 v2, v2
	ds_load_b64 v[36:37], v36 offset:11264
	s_wait_dscnt 0x1
	v_add_nc_u32_e32 v2, v2, v51
	s_delay_alu instid0(VALU_DEP_1) | instskip(NEXT) | instid1(VALU_DEP_1)
	v_lshlrev_b64_e32 v[39:40], 3, v[2:3]
	v_add_co_u32 v39, vcc_lo, s44, v39
	s_wait_alu 0xfffd
	s_delay_alu instid0(VALU_DEP_2)
	v_add_co_ci_u32_e64 v40, null, s45, v40, vcc_lo
	s_wait_dscnt 0x0
	global_store_b64 v[39:40], v[36:37], off
	s_wait_alu 0xfffe
	s_or_b32 exec_lo, exec_lo, s15
	s_and_saveexec_b32 s15, s20
	s_cbranch_execz .LBB532_239
.LBB532_303:                            ;   in Loop: Header=BB532_104 Depth=2
	v_lshlrev_b32_e32 v2, 2, v124
	v_add_nc_u32_e32 v36, v70, v44
	ds_load_b32 v2, v2
	ds_load_b64 v[36:37], v36 offset:13312
	s_wait_dscnt 0x1
	v_add_nc_u32_e32 v2, v2, v52
	s_delay_alu instid0(VALU_DEP_1) | instskip(NEXT) | instid1(VALU_DEP_1)
	v_lshlrev_b64_e32 v[39:40], 3, v[2:3]
	v_add_co_u32 v39, vcc_lo, s44, v39
	s_wait_alu 0xfffd
	s_delay_alu instid0(VALU_DEP_2)
	v_add_co_ci_u32_e64 v40, null, s45, v40, vcc_lo
	s_wait_dscnt 0x0
	global_store_b64 v[39:40], v[36:37], off
	s_wait_alu 0xfffe
	s_or_b32 exec_lo, exec_lo, s15
	s_and_saveexec_b32 s15, s21
	s_cbranch_execz .LBB532_240
.LBB532_304:                            ;   in Loop: Header=BB532_104 Depth=2
	v_lshlrev_b32_e32 v2, 2, v123
	v_add_nc_u32_e32 v36, v70, v44
	ds_load_b32 v2, v2
	ds_load_b64 v[36:37], v36 offset:15360
	s_wait_dscnt 0x1
	v_add_nc_u32_e32 v2, v2, v53
	s_delay_alu instid0(VALU_DEP_1) | instskip(NEXT) | instid1(VALU_DEP_1)
	v_lshlrev_b64_e32 v[39:40], 3, v[2:3]
	v_add_co_u32 v39, vcc_lo, s44, v39
	s_wait_alu 0xfffd
	s_delay_alu instid0(VALU_DEP_2)
	v_add_co_ci_u32_e64 v40, null, s45, v40, vcc_lo
	s_wait_dscnt 0x0
	global_store_b64 v[39:40], v[36:37], off
	s_wait_alu 0xfffe
	s_or_b32 exec_lo, exec_lo, s15
	s_and_saveexec_b32 s15, s22
	s_cbranch_execz .LBB532_241
.LBB532_305:                            ;   in Loop: Header=BB532_104 Depth=2
	v_lshlrev_b32_e32 v2, 2, v122
	v_add_nc_u32_e32 v36, v70, v44
	ds_load_b32 v2, v2
	ds_load_b64 v[36:37], v36 offset:17408
	s_wait_dscnt 0x1
	v_add_nc_u32_e32 v2, v2, v54
	s_delay_alu instid0(VALU_DEP_1) | instskip(NEXT) | instid1(VALU_DEP_1)
	v_lshlrev_b64_e32 v[39:40], 3, v[2:3]
	v_add_co_u32 v39, vcc_lo, s44, v39
	s_wait_alu 0xfffd
	s_delay_alu instid0(VALU_DEP_2)
	v_add_co_ci_u32_e64 v40, null, s45, v40, vcc_lo
	s_wait_dscnt 0x0
	global_store_b64 v[39:40], v[36:37], off
	s_wait_alu 0xfffe
	s_or_b32 exec_lo, exec_lo, s15
	s_and_saveexec_b32 s15, s23
	s_cbranch_execz .LBB532_242
.LBB532_306:                            ;   in Loop: Header=BB532_104 Depth=2
	v_lshlrev_b32_e32 v2, 2, v121
	v_add_nc_u32_e32 v36, v70, v44
	ds_load_b32 v2, v2
	ds_load_b64 v[36:37], v36 offset:19456
	s_wait_dscnt 0x1
	v_add_nc_u32_e32 v2, v2, v55
	s_delay_alu instid0(VALU_DEP_1) | instskip(NEXT) | instid1(VALU_DEP_1)
	v_lshlrev_b64_e32 v[39:40], 3, v[2:3]
	v_add_co_u32 v39, vcc_lo, s44, v39
	s_wait_alu 0xfffd
	s_delay_alu instid0(VALU_DEP_2)
	v_add_co_ci_u32_e64 v40, null, s45, v40, vcc_lo
	s_wait_dscnt 0x0
	global_store_b64 v[39:40], v[36:37], off
	s_wait_alu 0xfffe
	s_or_b32 exec_lo, exec_lo, s15
	s_and_saveexec_b32 s15, s24
	s_cbranch_execz .LBB532_243
.LBB532_307:                            ;   in Loop: Header=BB532_104 Depth=2
	v_lshlrev_b32_e32 v2, 2, v120
	v_add_nc_u32_e32 v36, v70, v44
	ds_load_b32 v2, v2
	ds_load_b64 v[36:37], v36 offset:21504
	s_wait_dscnt 0x1
	v_add_nc_u32_e32 v2, v2, v56
	s_delay_alu instid0(VALU_DEP_1) | instskip(NEXT) | instid1(VALU_DEP_1)
	v_lshlrev_b64_e32 v[39:40], 3, v[2:3]
	v_add_co_u32 v39, vcc_lo, s44, v39
	s_wait_alu 0xfffd
	s_delay_alu instid0(VALU_DEP_2)
	v_add_co_ci_u32_e64 v40, null, s45, v40, vcc_lo
	s_wait_dscnt 0x0
	global_store_b64 v[39:40], v[36:37], off
	s_wait_alu 0xfffe
	s_or_b32 exec_lo, exec_lo, s15
	s_and_saveexec_b32 s15, s25
	s_cbranch_execz .LBB532_244
.LBB532_308:                            ;   in Loop: Header=BB532_104 Depth=2
	v_lshlrev_b32_e32 v2, 2, v119
	v_add_nc_u32_e32 v36, v70, v44
	ds_load_b32 v2, v2
	ds_load_b64 v[36:37], v36 offset:23552
	s_wait_dscnt 0x1
	v_add_nc_u32_e32 v2, v2, v57
	s_delay_alu instid0(VALU_DEP_1) | instskip(NEXT) | instid1(VALU_DEP_1)
	v_lshlrev_b64_e32 v[39:40], 3, v[2:3]
	v_add_co_u32 v39, vcc_lo, s44, v39
	s_wait_alu 0xfffd
	s_delay_alu instid0(VALU_DEP_2)
	v_add_co_ci_u32_e64 v40, null, s45, v40, vcc_lo
	s_wait_dscnt 0x0
	global_store_b64 v[39:40], v[36:37], off
	s_wait_alu 0xfffe
	s_or_b32 exec_lo, exec_lo, s15
	s_and_saveexec_b32 s15, s26
	s_cbranch_execz .LBB532_245
.LBB532_309:                            ;   in Loop: Header=BB532_104 Depth=2
	v_lshlrev_b32_e32 v2, 2, v118
	v_add_nc_u32_e32 v36, v70, v44
	ds_load_b32 v2, v2
	ds_load_b64 v[36:37], v36 offset:25600
	s_wait_dscnt 0x1
	v_add_nc_u32_e32 v2, v2, v58
	s_delay_alu instid0(VALU_DEP_1) | instskip(NEXT) | instid1(VALU_DEP_1)
	v_lshlrev_b64_e32 v[39:40], 3, v[2:3]
	v_add_co_u32 v39, vcc_lo, s44, v39
	s_wait_alu 0xfffd
	s_delay_alu instid0(VALU_DEP_2)
	v_add_co_ci_u32_e64 v40, null, s45, v40, vcc_lo
	s_wait_dscnt 0x0
	global_store_b64 v[39:40], v[36:37], off
	s_wait_alu 0xfffe
	s_or_b32 exec_lo, exec_lo, s15
	s_and_saveexec_b32 s15, s27
	s_cbranch_execz .LBB532_246
.LBB532_310:                            ;   in Loop: Header=BB532_104 Depth=2
	v_lshlrev_b32_e32 v2, 2, v117
	v_add_nc_u32_e32 v36, v70, v44
	ds_load_b32 v2, v2
	ds_load_b64 v[36:37], v36 offset:27648
	s_wait_dscnt 0x1
	v_add_nc_u32_e32 v2, v2, v59
	s_delay_alu instid0(VALU_DEP_1) | instskip(NEXT) | instid1(VALU_DEP_1)
	v_lshlrev_b64_e32 v[39:40], 3, v[2:3]
	v_add_co_u32 v39, vcc_lo, s44, v39
	s_wait_alu 0xfffd
	s_delay_alu instid0(VALU_DEP_2)
	v_add_co_ci_u32_e64 v40, null, s45, v40, vcc_lo
	s_wait_dscnt 0x0
	global_store_b64 v[39:40], v[36:37], off
	s_wait_alu 0xfffe
	s_or_b32 exec_lo, exec_lo, s15
	s_and_saveexec_b32 s15, s28
	s_cbranch_execz .LBB532_247
.LBB532_311:                            ;   in Loop: Header=BB532_104 Depth=2
	v_lshlrev_b32_e32 v2, 2, v116
	v_add_nc_u32_e32 v36, v70, v44
	ds_load_b32 v2, v2
	ds_load_b64 v[36:37], v36 offset:29696
	s_wait_dscnt 0x1
	v_add_nc_u32_e32 v2, v2, v60
	s_delay_alu instid0(VALU_DEP_1) | instskip(NEXT) | instid1(VALU_DEP_1)
	v_lshlrev_b64_e32 v[39:40], 3, v[2:3]
	v_add_co_u32 v39, vcc_lo, s44, v39
	s_wait_alu 0xfffd
	s_delay_alu instid0(VALU_DEP_2)
	v_add_co_ci_u32_e64 v40, null, s45, v40, vcc_lo
	s_wait_dscnt 0x0
	global_store_b64 v[39:40], v[36:37], off
	s_wait_alu 0xfffe
	s_or_b32 exec_lo, exec_lo, s15
	s_and_saveexec_b32 s15, s29
	s_cbranch_execnz .LBB532_248
	s_branch .LBB532_249
.LBB532_312:                            ;   in Loop: Header=BB532_20 Depth=1
	s_wait_loadcnt_dscnt 0x0
	s_barrier_signal -1
	s_mov_b32 s0, 0
	s_barrier_wait -1
.LBB532_313:                            ;   in Loop: Header=BB532_20 Depth=1
	s_wait_alu 0xfffe
	s_and_b32 vcc_lo, exec_lo, s0
	s_wait_alu 0xfffe
	s_cbranch_vccz .LBB532_605
; %bb.314:                              ;   in Loop: Header=BB532_20 Depth=1
	s_mov_b32 s9, s53
	s_mov_b32 s42, s33
	s_barrier_signal -1
	s_barrier_wait -1
	global_inv scope:SCOPE_SE
                                        ; implicit-def: $vgpr2
                                        ; implicit-def: $vgpr4
                                        ; implicit-def: $vgpr5
                                        ; implicit-def: $vgpr6
                                        ; implicit-def: $vgpr7
                                        ; implicit-def: $vgpr8
                                        ; implicit-def: $vgpr9
                                        ; implicit-def: $vgpr10
                                        ; implicit-def: $vgpr11
                                        ; implicit-def: $vgpr12
                                        ; implicit-def: $vgpr13
                                        ; implicit-def: $vgpr14
                                        ; implicit-def: $vgpr15
                                        ; implicit-def: $vgpr16
                                        ; implicit-def: $vgpr17
                                        ; implicit-def: $vgpr18
	s_branch .LBB532_316
.LBB532_315:                            ;   in Loop: Header=BB532_316 Depth=2
	s_wait_alu 0xfffe
	s_or_b32 exec_lo, exec_lo, s0
	s_addk_co_i32 s9, 0xf000
	s_cmp_ge_u32 s10, s51
	s_mov_b32 s42, s10
	s_cbranch_scc1 .LBB532_384
.LBB532_316:                            ;   Parent Loop BB532_20 Depth=1
                                        ; =>  This Inner Loop Header: Depth=2
	s_wait_alu 0xfffe
	s_add_co_i32 s10, s42, 0x1000
	s_mov_b32 s0, -1
	s_wait_alu 0xfffe
	s_cmp_gt_u32 s10, s51
                                        ; implicit-def: $vgpr19
                                        ; implicit-def: $vgpr20
                                        ; implicit-def: $vgpr21
                                        ; implicit-def: $vgpr22
                                        ; implicit-def: $vgpr23
                                        ; implicit-def: $vgpr24
                                        ; implicit-def: $vgpr25
                                        ; implicit-def: $vgpr26
                                        ; implicit-def: $vgpr27
                                        ; implicit-def: $vgpr28
                                        ; implicit-def: $vgpr29
                                        ; implicit-def: $vgpr30
                                        ; implicit-def: $vgpr31
                                        ; implicit-def: $vgpr32
                                        ; implicit-def: $vgpr33
                                        ; implicit-def: $vgpr34
	s_cbranch_scc1 .LBB532_318
; %bb.317:                              ;   in Loop: Header=BB532_316 Depth=2
	s_lshl_b64 s[0:1], s[42:43], 2
	s_wait_alu 0xfffe
	v_add_co_u32 v34, vcc_lo, v71, s0
	s_wait_alu 0xfffd
	v_add_co_ci_u32_e64 v35, null, s1, v72, vcc_lo
	s_mov_b32 s0, 0
	s_clause 0xf
	global_load_b32 v19, v[34:35], off
	global_load_b32 v20, v[34:35], off offset:1024
	global_load_b32 v21, v[34:35], off offset:2048
	;; [unrolled: 1-line block ×15, first 2 shown]
.LBB532_318:                            ;   in Loop: Header=BB532_316 Depth=2
	s_wait_alu 0xfffe
	s_and_not1_b32 vcc_lo, exec_lo, s0
	s_movk_i32 s0, 0x1000
	s_wait_alu 0xfffe
	s_cbranch_vccnz .LBB532_337
; %bb.319:                              ;   in Loop: Header=BB532_316 Depth=2
	s_lshl_b64 s[0:1], s[42:43], 2
	s_mov_b32 s11, exec_lo
	s_wait_alu 0xfffe
	s_add_nc_u64 s[0:1], s[38:39], s[0:1]
	v_cmpx_gt_u32_e64 s9, v1
	s_cbranch_execnz .LBB532_369
; %bb.320:                              ;   in Loop: Header=BB532_316 Depth=2
	s_or_b32 exec_lo, exec_lo, s11
	s_delay_alu instid0(SALU_CYCLE_1)
	s_mov_b32 s11, exec_lo
	v_cmpx_gt_u32_e64 s9, v45
	s_cbranch_execnz .LBB532_370
.LBB532_321:                            ;   in Loop: Header=BB532_316 Depth=2
	s_wait_alu 0xfffe
	s_or_b32 exec_lo, exec_lo, s11
	s_delay_alu instid0(SALU_CYCLE_1)
	s_mov_b32 s11, exec_lo
	v_cmpx_gt_u32_e64 s9, v46
	s_cbranch_execnz .LBB532_371
.LBB532_322:                            ;   in Loop: Header=BB532_316 Depth=2
	s_wait_alu 0xfffe
	s_or_b32 exec_lo, exec_lo, s11
	s_delay_alu instid0(SALU_CYCLE_1)
	s_mov_b32 s11, exec_lo
	v_cmpx_gt_u32_e64 s9, v47
	s_cbranch_execnz .LBB532_372
.LBB532_323:                            ;   in Loop: Header=BB532_316 Depth=2
	s_wait_alu 0xfffe
	s_or_b32 exec_lo, exec_lo, s11
	s_delay_alu instid0(SALU_CYCLE_1)
	s_mov_b32 s11, exec_lo
	v_cmpx_gt_u32_e64 s9, v50
	s_cbranch_execnz .LBB532_373
.LBB532_324:                            ;   in Loop: Header=BB532_316 Depth=2
	s_wait_alu 0xfffe
	s_or_b32 exec_lo, exec_lo, s11
	s_delay_alu instid0(SALU_CYCLE_1)
	s_mov_b32 s11, exec_lo
	v_cmpx_gt_u32_e64 s9, v51
	s_cbranch_execnz .LBB532_374
.LBB532_325:                            ;   in Loop: Header=BB532_316 Depth=2
	s_wait_alu 0xfffe
	s_or_b32 exec_lo, exec_lo, s11
	s_delay_alu instid0(SALU_CYCLE_1)
	s_mov_b32 s11, exec_lo
	v_cmpx_gt_u32_e64 s9, v52
	s_cbranch_execnz .LBB532_375
.LBB532_326:                            ;   in Loop: Header=BB532_316 Depth=2
	s_wait_alu 0xfffe
	s_or_b32 exec_lo, exec_lo, s11
	s_delay_alu instid0(SALU_CYCLE_1)
	s_mov_b32 s11, exec_lo
	v_cmpx_gt_u32_e64 s9, v53
	s_cbranch_execnz .LBB532_376
.LBB532_327:                            ;   in Loop: Header=BB532_316 Depth=2
	s_wait_alu 0xfffe
	s_or_b32 exec_lo, exec_lo, s11
	s_delay_alu instid0(SALU_CYCLE_1)
	s_mov_b32 s11, exec_lo
	v_cmpx_gt_u32_e64 s9, v54
	s_cbranch_execnz .LBB532_377
.LBB532_328:                            ;   in Loop: Header=BB532_316 Depth=2
	s_wait_alu 0xfffe
	s_or_b32 exec_lo, exec_lo, s11
	s_delay_alu instid0(SALU_CYCLE_1)
	s_mov_b32 s11, exec_lo
	v_cmpx_gt_u32_e64 s9, v55
	s_cbranch_execnz .LBB532_378
.LBB532_329:                            ;   in Loop: Header=BB532_316 Depth=2
	s_wait_alu 0xfffe
	s_or_b32 exec_lo, exec_lo, s11
	s_delay_alu instid0(SALU_CYCLE_1)
	s_mov_b32 s11, exec_lo
	v_cmpx_gt_u32_e64 s9, v56
	s_cbranch_execnz .LBB532_379
.LBB532_330:                            ;   in Loop: Header=BB532_316 Depth=2
	s_wait_alu 0xfffe
	s_or_b32 exec_lo, exec_lo, s11
	s_delay_alu instid0(SALU_CYCLE_1)
	s_mov_b32 s11, exec_lo
	v_cmpx_gt_u32_e64 s9, v57
	s_cbranch_execnz .LBB532_380
.LBB532_331:                            ;   in Loop: Header=BB532_316 Depth=2
	s_wait_alu 0xfffe
	s_or_b32 exec_lo, exec_lo, s11
	s_delay_alu instid0(SALU_CYCLE_1)
	s_mov_b32 s11, exec_lo
	v_cmpx_gt_u32_e64 s9, v58
	s_cbranch_execnz .LBB532_381
.LBB532_332:                            ;   in Loop: Header=BB532_316 Depth=2
	s_wait_alu 0xfffe
	s_or_b32 exec_lo, exec_lo, s11
	s_delay_alu instid0(SALU_CYCLE_1)
	s_mov_b32 s11, exec_lo
	v_cmpx_gt_u32_e64 s9, v59
	s_cbranch_execnz .LBB532_382
.LBB532_333:                            ;   in Loop: Header=BB532_316 Depth=2
	s_wait_alu 0xfffe
	s_or_b32 exec_lo, exec_lo, s11
	s_delay_alu instid0(SALU_CYCLE_1)
	s_mov_b32 s11, exec_lo
	v_cmpx_gt_u32_e64 s9, v60
	s_cbranch_execnz .LBB532_383
.LBB532_334:                            ;   in Loop: Header=BB532_316 Depth=2
	s_wait_alu 0xfffe
	s_or_b32 exec_lo, exec_lo, s11
	s_delay_alu instid0(SALU_CYCLE_1)
	s_mov_b32 s11, exec_lo
	v_cmpx_gt_u32_e64 s9, v61
	s_cbranch_execz .LBB532_336
.LBB532_335:                            ;   in Loop: Header=BB532_316 Depth=2
	global_load_b32 v2, v108, s[0:1] offset:15360
.LBB532_336:                            ;   in Loop: Header=BB532_316 Depth=2
	s_wait_alu 0xfffe
	s_or_b32 exec_lo, exec_lo, s11
	s_wait_loadcnt 0x0
	v_dual_mov_b32 v19, v18 :: v_dual_mov_b32 v20, v17
	v_dual_mov_b32 v21, v16 :: v_dual_mov_b32 v22, v15
	;; [unrolled: 1-line block ×8, first 2 shown]
	s_mov_b32 s0, s9
.LBB532_337:                            ;   in Loop: Header=BB532_316 Depth=2
	s_wait_loadcnt 0x0
	s_delay_alu instid0(VALU_DEP_1) | instskip(NEXT) | instid1(VALU_DEP_2)
	v_dual_mov_b32 v2, v34 :: v_dual_mov_b32 v5, v32
	v_dual_mov_b32 v4, v33 :: v_dual_mov_b32 v7, v30
	;; [unrolled: 1-line block ×7, first 2 shown]
	v_mov_b32_e32 v16, v21
	v_mov_b32_e32 v18, v19
	s_mov_b32 s1, exec_lo
	s_wait_alu 0xfffe
	v_cmpx_gt_u32_e64 s0, v1
	s_cbranch_execnz .LBB532_353
; %bb.338:                              ;   in Loop: Header=BB532_316 Depth=2
	s_or_b32 exec_lo, exec_lo, s1
	s_delay_alu instid0(SALU_CYCLE_1)
	s_mov_b32 s1, exec_lo
	v_cmpx_gt_u32_e64 s0, v45
	s_cbranch_execnz .LBB532_354
.LBB532_339:                            ;   in Loop: Header=BB532_316 Depth=2
	s_wait_alu 0xfffe
	s_or_b32 exec_lo, exec_lo, s1
	s_delay_alu instid0(SALU_CYCLE_1)
	s_mov_b32 s1, exec_lo
	v_cmpx_gt_u32_e64 s0, v46
	s_cbranch_execnz .LBB532_355
.LBB532_340:                            ;   in Loop: Header=BB532_316 Depth=2
	s_wait_alu 0xfffe
	s_or_b32 exec_lo, exec_lo, s1
	s_delay_alu instid0(SALU_CYCLE_1)
	s_mov_b32 s1, exec_lo
	v_cmpx_gt_u32_e64 s0, v47
	s_cbranch_execnz .LBB532_356
.LBB532_341:                            ;   in Loop: Header=BB532_316 Depth=2
	s_wait_alu 0xfffe
	s_or_b32 exec_lo, exec_lo, s1
	s_delay_alu instid0(SALU_CYCLE_1)
	s_mov_b32 s1, exec_lo
	v_cmpx_gt_u32_e64 s0, v50
	s_cbranch_execnz .LBB532_357
.LBB532_342:                            ;   in Loop: Header=BB532_316 Depth=2
	s_wait_alu 0xfffe
	s_or_b32 exec_lo, exec_lo, s1
	s_delay_alu instid0(SALU_CYCLE_1)
	s_mov_b32 s1, exec_lo
	v_cmpx_gt_u32_e64 s0, v51
	s_cbranch_execnz .LBB532_358
.LBB532_343:                            ;   in Loop: Header=BB532_316 Depth=2
	s_wait_alu 0xfffe
	s_or_b32 exec_lo, exec_lo, s1
	s_delay_alu instid0(SALU_CYCLE_1)
	s_mov_b32 s1, exec_lo
	v_cmpx_gt_u32_e64 s0, v52
	s_cbranch_execnz .LBB532_359
.LBB532_344:                            ;   in Loop: Header=BB532_316 Depth=2
	s_wait_alu 0xfffe
	s_or_b32 exec_lo, exec_lo, s1
	s_delay_alu instid0(SALU_CYCLE_1)
	s_mov_b32 s1, exec_lo
	v_cmpx_gt_u32_e64 s0, v53
	s_cbranch_execnz .LBB532_360
.LBB532_345:                            ;   in Loop: Header=BB532_316 Depth=2
	s_wait_alu 0xfffe
	s_or_b32 exec_lo, exec_lo, s1
	s_delay_alu instid0(SALU_CYCLE_1)
	s_mov_b32 s1, exec_lo
	v_cmpx_gt_u32_e64 s0, v54
	s_cbranch_execnz .LBB532_361
.LBB532_346:                            ;   in Loop: Header=BB532_316 Depth=2
	s_wait_alu 0xfffe
	s_or_b32 exec_lo, exec_lo, s1
	s_delay_alu instid0(SALU_CYCLE_1)
	s_mov_b32 s1, exec_lo
	v_cmpx_gt_u32_e64 s0, v55
	s_cbranch_execnz .LBB532_362
.LBB532_347:                            ;   in Loop: Header=BB532_316 Depth=2
	s_wait_alu 0xfffe
	s_or_b32 exec_lo, exec_lo, s1
	s_delay_alu instid0(SALU_CYCLE_1)
	s_mov_b32 s1, exec_lo
	v_cmpx_gt_u32_e64 s0, v56
	s_cbranch_execnz .LBB532_363
.LBB532_348:                            ;   in Loop: Header=BB532_316 Depth=2
	s_wait_alu 0xfffe
	s_or_b32 exec_lo, exec_lo, s1
	s_delay_alu instid0(SALU_CYCLE_1)
	s_mov_b32 s1, exec_lo
	v_cmpx_gt_u32_e64 s0, v57
	s_cbranch_execnz .LBB532_364
.LBB532_349:                            ;   in Loop: Header=BB532_316 Depth=2
	s_wait_alu 0xfffe
	s_or_b32 exec_lo, exec_lo, s1
	s_delay_alu instid0(SALU_CYCLE_1)
	s_mov_b32 s1, exec_lo
	v_cmpx_gt_u32_e64 s0, v58
	s_cbranch_execnz .LBB532_365
.LBB532_350:                            ;   in Loop: Header=BB532_316 Depth=2
	s_wait_alu 0xfffe
	s_or_b32 exec_lo, exec_lo, s1
	s_delay_alu instid0(SALU_CYCLE_1)
	s_mov_b32 s1, exec_lo
	v_cmpx_gt_u32_e64 s0, v59
	s_cbranch_execnz .LBB532_366
.LBB532_351:                            ;   in Loop: Header=BB532_316 Depth=2
	s_wait_alu 0xfffe
	s_or_b32 exec_lo, exec_lo, s1
	s_delay_alu instid0(SALU_CYCLE_1)
	s_mov_b32 s1, exec_lo
	v_cmpx_gt_u32_e64 s0, v60
	s_cbranch_execnz .LBB532_367
.LBB532_352:                            ;   in Loop: Header=BB532_316 Depth=2
	s_wait_alu 0xfffe
	s_or_b32 exec_lo, exec_lo, s1
	v_cmp_gt_u32_e32 vcc_lo, s0, v61
	s_and_saveexec_b32 s0, vcc_lo
	s_cbranch_execz .LBB532_315
	s_branch .LBB532_368
.LBB532_353:                            ;   in Loop: Header=BB532_316 Depth=2
	v_xor_b32_e32 v19, 0x7fffffff, v18
	s_delay_alu instid0(VALU_DEP_1) | instskip(NEXT) | instid1(VALU_DEP_1)
	v_lshrrev_b32_e32 v19, s31, v19
	v_and_b32_e32 v19, s48, v19
	s_delay_alu instid0(VALU_DEP_1) | instskip(SKIP_2) | instid1(SALU_CYCLE_1)
	v_lshl_or_b32 v19, v19, 4, v62
	ds_add_u32 v19, v84
	s_or_b32 exec_lo, exec_lo, s1
	s_mov_b32 s1, exec_lo
	v_cmpx_gt_u32_e64 s0, v45
	s_cbranch_execz .LBB532_339
.LBB532_354:                            ;   in Loop: Header=BB532_316 Depth=2
	v_xor_b32_e32 v19, 0x7fffffff, v17
	s_delay_alu instid0(VALU_DEP_1) | instskip(NEXT) | instid1(VALU_DEP_1)
	v_lshrrev_b32_e32 v19, s31, v19
	v_and_b32_e32 v19, s48, v19
	s_delay_alu instid0(VALU_DEP_1) | instskip(SKIP_3) | instid1(SALU_CYCLE_1)
	v_lshl_or_b32 v19, v19, 4, v62
	ds_add_u32 v19, v84
	s_wait_alu 0xfffe
	s_or_b32 exec_lo, exec_lo, s1
	s_mov_b32 s1, exec_lo
	v_cmpx_gt_u32_e64 s0, v46
	s_cbranch_execz .LBB532_340
.LBB532_355:                            ;   in Loop: Header=BB532_316 Depth=2
	v_xor_b32_e32 v19, 0x7fffffff, v16
	s_delay_alu instid0(VALU_DEP_1) | instskip(NEXT) | instid1(VALU_DEP_1)
	v_lshrrev_b32_e32 v19, s31, v19
	v_and_b32_e32 v19, s48, v19
	s_delay_alu instid0(VALU_DEP_1) | instskip(SKIP_3) | instid1(SALU_CYCLE_1)
	v_lshl_or_b32 v19, v19, 4, v62
	ds_add_u32 v19, v84
	s_wait_alu 0xfffe
	s_or_b32 exec_lo, exec_lo, s1
	s_mov_b32 s1, exec_lo
	v_cmpx_gt_u32_e64 s0, v47
	s_cbranch_execz .LBB532_341
.LBB532_356:                            ;   in Loop: Header=BB532_316 Depth=2
	v_xor_b32_e32 v19, 0x7fffffff, v15
	s_delay_alu instid0(VALU_DEP_1) | instskip(NEXT) | instid1(VALU_DEP_1)
	v_lshrrev_b32_e32 v19, s31, v19
	v_and_b32_e32 v19, s48, v19
	s_delay_alu instid0(VALU_DEP_1) | instskip(SKIP_3) | instid1(SALU_CYCLE_1)
	v_lshl_or_b32 v19, v19, 4, v62
	ds_add_u32 v19, v84
	s_wait_alu 0xfffe
	s_or_b32 exec_lo, exec_lo, s1
	s_mov_b32 s1, exec_lo
	v_cmpx_gt_u32_e64 s0, v50
	s_cbranch_execz .LBB532_342
.LBB532_357:                            ;   in Loop: Header=BB532_316 Depth=2
	v_xor_b32_e32 v19, 0x7fffffff, v14
	s_delay_alu instid0(VALU_DEP_1) | instskip(NEXT) | instid1(VALU_DEP_1)
	v_lshrrev_b32_e32 v19, s31, v19
	v_and_b32_e32 v19, s48, v19
	s_delay_alu instid0(VALU_DEP_1) | instskip(SKIP_3) | instid1(SALU_CYCLE_1)
	v_lshl_or_b32 v19, v19, 4, v62
	ds_add_u32 v19, v84
	s_wait_alu 0xfffe
	s_or_b32 exec_lo, exec_lo, s1
	s_mov_b32 s1, exec_lo
	v_cmpx_gt_u32_e64 s0, v51
	s_cbranch_execz .LBB532_343
.LBB532_358:                            ;   in Loop: Header=BB532_316 Depth=2
	v_xor_b32_e32 v19, 0x7fffffff, v13
	s_delay_alu instid0(VALU_DEP_1) | instskip(NEXT) | instid1(VALU_DEP_1)
	v_lshrrev_b32_e32 v19, s31, v19
	v_and_b32_e32 v19, s48, v19
	s_delay_alu instid0(VALU_DEP_1) | instskip(SKIP_3) | instid1(SALU_CYCLE_1)
	v_lshl_or_b32 v19, v19, 4, v62
	ds_add_u32 v19, v84
	s_wait_alu 0xfffe
	s_or_b32 exec_lo, exec_lo, s1
	s_mov_b32 s1, exec_lo
	v_cmpx_gt_u32_e64 s0, v52
	s_cbranch_execz .LBB532_344
.LBB532_359:                            ;   in Loop: Header=BB532_316 Depth=2
	v_xor_b32_e32 v19, 0x7fffffff, v12
	s_delay_alu instid0(VALU_DEP_1) | instskip(NEXT) | instid1(VALU_DEP_1)
	v_lshrrev_b32_e32 v19, s31, v19
	v_and_b32_e32 v19, s48, v19
	s_delay_alu instid0(VALU_DEP_1) | instskip(SKIP_3) | instid1(SALU_CYCLE_1)
	v_lshl_or_b32 v19, v19, 4, v62
	ds_add_u32 v19, v84
	s_wait_alu 0xfffe
	s_or_b32 exec_lo, exec_lo, s1
	s_mov_b32 s1, exec_lo
	v_cmpx_gt_u32_e64 s0, v53
	s_cbranch_execz .LBB532_345
.LBB532_360:                            ;   in Loop: Header=BB532_316 Depth=2
	v_xor_b32_e32 v19, 0x7fffffff, v11
	s_delay_alu instid0(VALU_DEP_1) | instskip(NEXT) | instid1(VALU_DEP_1)
	v_lshrrev_b32_e32 v19, s31, v19
	v_and_b32_e32 v19, s48, v19
	s_delay_alu instid0(VALU_DEP_1) | instskip(SKIP_3) | instid1(SALU_CYCLE_1)
	v_lshl_or_b32 v19, v19, 4, v62
	ds_add_u32 v19, v84
	s_wait_alu 0xfffe
	s_or_b32 exec_lo, exec_lo, s1
	s_mov_b32 s1, exec_lo
	v_cmpx_gt_u32_e64 s0, v54
	s_cbranch_execz .LBB532_346
.LBB532_361:                            ;   in Loop: Header=BB532_316 Depth=2
	v_xor_b32_e32 v19, 0x7fffffff, v10
	s_delay_alu instid0(VALU_DEP_1) | instskip(NEXT) | instid1(VALU_DEP_1)
	v_lshrrev_b32_e32 v19, s31, v19
	v_and_b32_e32 v19, s48, v19
	s_delay_alu instid0(VALU_DEP_1) | instskip(SKIP_3) | instid1(SALU_CYCLE_1)
	v_lshl_or_b32 v19, v19, 4, v62
	ds_add_u32 v19, v84
	s_wait_alu 0xfffe
	s_or_b32 exec_lo, exec_lo, s1
	s_mov_b32 s1, exec_lo
	v_cmpx_gt_u32_e64 s0, v55
	s_cbranch_execz .LBB532_347
.LBB532_362:                            ;   in Loop: Header=BB532_316 Depth=2
	v_xor_b32_e32 v19, 0x7fffffff, v9
	s_delay_alu instid0(VALU_DEP_1) | instskip(NEXT) | instid1(VALU_DEP_1)
	v_lshrrev_b32_e32 v19, s31, v19
	v_and_b32_e32 v19, s48, v19
	s_delay_alu instid0(VALU_DEP_1) | instskip(SKIP_3) | instid1(SALU_CYCLE_1)
	v_lshl_or_b32 v19, v19, 4, v62
	ds_add_u32 v19, v84
	s_wait_alu 0xfffe
	s_or_b32 exec_lo, exec_lo, s1
	s_mov_b32 s1, exec_lo
	v_cmpx_gt_u32_e64 s0, v56
	s_cbranch_execz .LBB532_348
.LBB532_363:                            ;   in Loop: Header=BB532_316 Depth=2
	v_xor_b32_e32 v19, 0x7fffffff, v8
	s_delay_alu instid0(VALU_DEP_1) | instskip(NEXT) | instid1(VALU_DEP_1)
	v_lshrrev_b32_e32 v19, s31, v19
	v_and_b32_e32 v19, s48, v19
	s_delay_alu instid0(VALU_DEP_1) | instskip(SKIP_3) | instid1(SALU_CYCLE_1)
	v_lshl_or_b32 v19, v19, 4, v62
	ds_add_u32 v19, v84
	s_wait_alu 0xfffe
	s_or_b32 exec_lo, exec_lo, s1
	s_mov_b32 s1, exec_lo
	v_cmpx_gt_u32_e64 s0, v57
	s_cbranch_execz .LBB532_349
.LBB532_364:                            ;   in Loop: Header=BB532_316 Depth=2
	v_xor_b32_e32 v19, 0x7fffffff, v7
	s_delay_alu instid0(VALU_DEP_1) | instskip(NEXT) | instid1(VALU_DEP_1)
	v_lshrrev_b32_e32 v19, s31, v19
	v_and_b32_e32 v19, s48, v19
	s_delay_alu instid0(VALU_DEP_1) | instskip(SKIP_3) | instid1(SALU_CYCLE_1)
	v_lshl_or_b32 v19, v19, 4, v62
	ds_add_u32 v19, v84
	s_wait_alu 0xfffe
	s_or_b32 exec_lo, exec_lo, s1
	s_mov_b32 s1, exec_lo
	v_cmpx_gt_u32_e64 s0, v58
	s_cbranch_execz .LBB532_350
.LBB532_365:                            ;   in Loop: Header=BB532_316 Depth=2
	v_xor_b32_e32 v19, 0x7fffffff, v6
	s_delay_alu instid0(VALU_DEP_1) | instskip(NEXT) | instid1(VALU_DEP_1)
	v_lshrrev_b32_e32 v19, s31, v19
	v_and_b32_e32 v19, s48, v19
	s_delay_alu instid0(VALU_DEP_1) | instskip(SKIP_3) | instid1(SALU_CYCLE_1)
	v_lshl_or_b32 v19, v19, 4, v62
	ds_add_u32 v19, v84
	s_wait_alu 0xfffe
	s_or_b32 exec_lo, exec_lo, s1
	s_mov_b32 s1, exec_lo
	v_cmpx_gt_u32_e64 s0, v59
	s_cbranch_execz .LBB532_351
.LBB532_366:                            ;   in Loop: Header=BB532_316 Depth=2
	v_xor_b32_e32 v19, 0x7fffffff, v5
	s_delay_alu instid0(VALU_DEP_1) | instskip(NEXT) | instid1(VALU_DEP_1)
	v_lshrrev_b32_e32 v19, s31, v19
	v_and_b32_e32 v19, s48, v19
	s_delay_alu instid0(VALU_DEP_1) | instskip(SKIP_3) | instid1(SALU_CYCLE_1)
	v_lshl_or_b32 v19, v19, 4, v62
	ds_add_u32 v19, v84
	s_wait_alu 0xfffe
	s_or_b32 exec_lo, exec_lo, s1
	s_mov_b32 s1, exec_lo
	v_cmpx_gt_u32_e64 s0, v60
	s_cbranch_execz .LBB532_352
.LBB532_367:                            ;   in Loop: Header=BB532_316 Depth=2
	v_xor_b32_e32 v19, 0x7fffffff, v4
	s_delay_alu instid0(VALU_DEP_1) | instskip(NEXT) | instid1(VALU_DEP_1)
	v_lshrrev_b32_e32 v19, s31, v19
	v_and_b32_e32 v19, s48, v19
	s_delay_alu instid0(VALU_DEP_1)
	v_lshl_or_b32 v19, v19, 4, v62
	ds_add_u32 v19, v84
	s_wait_alu 0xfffe
	s_or_b32 exec_lo, exec_lo, s1
	v_cmp_gt_u32_e32 vcc_lo, s0, v61
	s_and_saveexec_b32 s0, vcc_lo
	s_cbranch_execz .LBB532_315
.LBB532_368:                            ;   in Loop: Header=BB532_316 Depth=2
	v_xor_b32_e32 v19, 0x7fffffff, v2
	s_delay_alu instid0(VALU_DEP_1) | instskip(NEXT) | instid1(VALU_DEP_1)
	v_lshrrev_b32_e32 v19, s31, v19
	v_and_b32_e32 v19, s48, v19
	s_delay_alu instid0(VALU_DEP_1)
	v_lshl_or_b32 v19, v19, 4, v62
	ds_add_u32 v19, v84
	s_branch .LBB532_315
.LBB532_369:                            ;   in Loop: Header=BB532_316 Depth=2
	global_load_b32 v18, v108, s[0:1]
	s_or_b32 exec_lo, exec_lo, s11
	s_delay_alu instid0(SALU_CYCLE_1)
	s_mov_b32 s11, exec_lo
	v_cmpx_gt_u32_e64 s9, v45
	s_cbranch_execz .LBB532_321
.LBB532_370:                            ;   in Loop: Header=BB532_316 Depth=2
	global_load_b32 v17, v108, s[0:1] offset:1024
	s_wait_alu 0xfffe
	s_or_b32 exec_lo, exec_lo, s11
	s_delay_alu instid0(SALU_CYCLE_1)
	s_mov_b32 s11, exec_lo
	v_cmpx_gt_u32_e64 s9, v46
	s_cbranch_execz .LBB532_322
.LBB532_371:                            ;   in Loop: Header=BB532_316 Depth=2
	global_load_b32 v16, v108, s[0:1] offset:2048
	s_wait_alu 0xfffe
	s_or_b32 exec_lo, exec_lo, s11
	s_delay_alu instid0(SALU_CYCLE_1)
	s_mov_b32 s11, exec_lo
	v_cmpx_gt_u32_e64 s9, v47
	s_cbranch_execz .LBB532_323
.LBB532_372:                            ;   in Loop: Header=BB532_316 Depth=2
	global_load_b32 v15, v108, s[0:1] offset:3072
	s_wait_alu 0xfffe
	s_or_b32 exec_lo, exec_lo, s11
	s_delay_alu instid0(SALU_CYCLE_1)
	s_mov_b32 s11, exec_lo
	v_cmpx_gt_u32_e64 s9, v50
	s_cbranch_execz .LBB532_324
.LBB532_373:                            ;   in Loop: Header=BB532_316 Depth=2
	global_load_b32 v14, v108, s[0:1] offset:4096
	s_wait_alu 0xfffe
	s_or_b32 exec_lo, exec_lo, s11
	s_delay_alu instid0(SALU_CYCLE_1)
	s_mov_b32 s11, exec_lo
	v_cmpx_gt_u32_e64 s9, v51
	s_cbranch_execz .LBB532_325
.LBB532_374:                            ;   in Loop: Header=BB532_316 Depth=2
	global_load_b32 v13, v108, s[0:1] offset:5120
	s_wait_alu 0xfffe
	s_or_b32 exec_lo, exec_lo, s11
	s_delay_alu instid0(SALU_CYCLE_1)
	s_mov_b32 s11, exec_lo
	v_cmpx_gt_u32_e64 s9, v52
	s_cbranch_execz .LBB532_326
.LBB532_375:                            ;   in Loop: Header=BB532_316 Depth=2
	global_load_b32 v12, v108, s[0:1] offset:6144
	s_wait_alu 0xfffe
	s_or_b32 exec_lo, exec_lo, s11
	s_delay_alu instid0(SALU_CYCLE_1)
	s_mov_b32 s11, exec_lo
	v_cmpx_gt_u32_e64 s9, v53
	s_cbranch_execz .LBB532_327
.LBB532_376:                            ;   in Loop: Header=BB532_316 Depth=2
	global_load_b32 v11, v108, s[0:1] offset:7168
	s_wait_alu 0xfffe
	s_or_b32 exec_lo, exec_lo, s11
	s_delay_alu instid0(SALU_CYCLE_1)
	s_mov_b32 s11, exec_lo
	v_cmpx_gt_u32_e64 s9, v54
	s_cbranch_execz .LBB532_328
.LBB532_377:                            ;   in Loop: Header=BB532_316 Depth=2
	global_load_b32 v10, v108, s[0:1] offset:8192
	s_wait_alu 0xfffe
	s_or_b32 exec_lo, exec_lo, s11
	s_delay_alu instid0(SALU_CYCLE_1)
	s_mov_b32 s11, exec_lo
	v_cmpx_gt_u32_e64 s9, v55
	s_cbranch_execz .LBB532_329
.LBB532_378:                            ;   in Loop: Header=BB532_316 Depth=2
	global_load_b32 v9, v108, s[0:1] offset:9216
	s_wait_alu 0xfffe
	s_or_b32 exec_lo, exec_lo, s11
	s_delay_alu instid0(SALU_CYCLE_1)
	s_mov_b32 s11, exec_lo
	v_cmpx_gt_u32_e64 s9, v56
	s_cbranch_execz .LBB532_330
.LBB532_379:                            ;   in Loop: Header=BB532_316 Depth=2
	global_load_b32 v8, v108, s[0:1] offset:10240
	s_wait_alu 0xfffe
	s_or_b32 exec_lo, exec_lo, s11
	s_delay_alu instid0(SALU_CYCLE_1)
	s_mov_b32 s11, exec_lo
	v_cmpx_gt_u32_e64 s9, v57
	s_cbranch_execz .LBB532_331
.LBB532_380:                            ;   in Loop: Header=BB532_316 Depth=2
	global_load_b32 v7, v108, s[0:1] offset:11264
	s_wait_alu 0xfffe
	s_or_b32 exec_lo, exec_lo, s11
	s_delay_alu instid0(SALU_CYCLE_1)
	s_mov_b32 s11, exec_lo
	v_cmpx_gt_u32_e64 s9, v58
	s_cbranch_execz .LBB532_332
.LBB532_381:                            ;   in Loop: Header=BB532_316 Depth=2
	global_load_b32 v6, v108, s[0:1] offset:12288
	s_wait_alu 0xfffe
	s_or_b32 exec_lo, exec_lo, s11
	s_delay_alu instid0(SALU_CYCLE_1)
	s_mov_b32 s11, exec_lo
	v_cmpx_gt_u32_e64 s9, v59
	s_cbranch_execz .LBB532_333
.LBB532_382:                            ;   in Loop: Header=BB532_316 Depth=2
	global_load_b32 v5, v108, s[0:1] offset:13312
	s_wait_alu 0xfffe
	s_or_b32 exec_lo, exec_lo, s11
	s_delay_alu instid0(SALU_CYCLE_1)
	s_mov_b32 s11, exec_lo
	v_cmpx_gt_u32_e64 s9, v60
	s_cbranch_execz .LBB532_334
.LBB532_383:                            ;   in Loop: Header=BB532_316 Depth=2
	global_load_b32 v4, v108, s[0:1] offset:14336
	s_wait_alu 0xfffe
	s_or_b32 exec_lo, exec_lo, s11
	s_delay_alu instid0(SALU_CYCLE_1)
	s_mov_b32 s11, exec_lo
	v_cmpx_gt_u32_e64 s9, v61
	s_cbranch_execnz .LBB532_335
	s_branch .LBB532_336
.LBB532_384:                            ;   in Loop: Header=BB532_20 Depth=1
	v_mov_b32_e32 v2, 0
	s_wait_dscnt 0x0
	s_barrier_signal -1
	s_barrier_wait -1
	global_inv scope:SCOPE_SE
	s_and_saveexec_b32 s0, s2
	s_cbranch_execz .LBB532_386
; %bb.385:                              ;   in Loop: Header=BB532_20 Depth=1
	ds_load_2addr_b64 v[4:7], v64 offset1:1
	s_wait_dscnt 0x0
	v_add_nc_u32_e32 v2, v5, v4
	s_delay_alu instid0(VALU_DEP_1)
	v_add3_u32 v2, v2, v6, v7
.LBB532_386:                            ;   in Loop: Header=BB532_20 Depth=1
	s_wait_alu 0xfffe
	s_or_b32 exec_lo, exec_lo, s0
	s_delay_alu instid0(VALU_DEP_1)
	v_mov_b32_dpp v4, v2 row_shr:1 row_mask:0xf bank_mask:0xf
	v_cmp_eq_u32_e64 s0, 0, v85
	v_cmp_lt_u32_e64 s1, 1, v85
	v_cmp_lt_u32_e64 s9, 3, v85
	;; [unrolled: 1-line block ×3, first 2 shown]
	v_cmp_eq_u32_e64 s11, 0, v87
	s_wait_alu 0xf1ff
	v_cndmask_b32_e64 v4, v4, 0, s0
	s_delay_alu instid0(VALU_DEP_1) | instskip(NEXT) | instid1(VALU_DEP_1)
	v_add_nc_u32_e32 v2, v4, v2
	v_mov_b32_dpp v4, v2 row_shr:2 row_mask:0xf bank_mask:0xf
	s_delay_alu instid0(VALU_DEP_1) | instskip(NEXT) | instid1(VALU_DEP_1)
	v_cndmask_b32_e64 v4, 0, v4, s1
	v_add_nc_u32_e32 v2, v2, v4
	s_delay_alu instid0(VALU_DEP_1) | instskip(NEXT) | instid1(VALU_DEP_1)
	v_mov_b32_dpp v4, v2 row_shr:4 row_mask:0xf bank_mask:0xf
	v_cndmask_b32_e64 v4, 0, v4, s9
	s_delay_alu instid0(VALU_DEP_1) | instskip(NEXT) | instid1(VALU_DEP_1)
	v_add_nc_u32_e32 v2, v2, v4
	v_mov_b32_dpp v4, v2 row_shr:8 row_mask:0xf bank_mask:0xf
	s_delay_alu instid0(VALU_DEP_1) | instskip(NEXT) | instid1(VALU_DEP_1)
	v_cndmask_b32_e64 v4, 0, v4, s10
	v_add_nc_u32_e32 v2, v2, v4
	ds_swizzle_b32 v4, v2 offset:swizzle(BROADCAST,32,15)
	s_wait_dscnt 0x0
	v_and_b32_e32 v4, v86, v4
	s_delay_alu instid0(VALU_DEP_1)
	v_add_nc_u32_e32 v2, v2, v4
	s_and_saveexec_b32 s12, s3
; %bb.387:                              ;   in Loop: Header=BB532_20 Depth=1
	ds_store_b32 v65, v2
; %bb.388:                              ;   in Loop: Header=BB532_20 Depth=1
	s_wait_alu 0xfffe
	s_or_b32 exec_lo, exec_lo, s12
	s_wait_loadcnt_dscnt 0x0
	s_barrier_signal -1
	s_barrier_wait -1
	global_inv scope:SCOPE_SE
	s_and_saveexec_b32 s12, s4
	s_cbranch_execz .LBB532_390
; %bb.389:                              ;   in Loop: Header=BB532_20 Depth=1
	ds_load_b32 v4, v66
	v_cmp_ne_u32_e32 vcc_lo, 0, v89
	s_wait_dscnt 0x0
	v_mov_b32_dpp v5, v4 row_shr:1 row_mask:0xf bank_mask:0xf
	s_wait_alu 0xfffd
	s_delay_alu instid0(VALU_DEP_1) | instskip(SKIP_1) | instid1(VALU_DEP_2)
	v_cndmask_b32_e32 v5, 0, v5, vcc_lo
	v_cmp_lt_u32_e32 vcc_lo, 1, v89
	v_add_nc_u32_e32 v4, v5, v4
	s_delay_alu instid0(VALU_DEP_1) | instskip(SKIP_1) | instid1(VALU_DEP_1)
	v_mov_b32_dpp v5, v4 row_shr:2 row_mask:0xf bank_mask:0xf
	s_wait_alu 0xfffd
	v_cndmask_b32_e32 v5, 0, v5, vcc_lo
	v_cmp_lt_u32_e32 vcc_lo, 3, v89
	s_delay_alu instid0(VALU_DEP_2) | instskip(NEXT) | instid1(VALU_DEP_1)
	v_add_nc_u32_e32 v4, v4, v5
	v_mov_b32_dpp v5, v4 row_shr:4 row_mask:0xf bank_mask:0xf
	s_wait_alu 0xfffd
	s_delay_alu instid0(VALU_DEP_1) | instskip(NEXT) | instid1(VALU_DEP_1)
	v_cndmask_b32_e32 v5, 0, v5, vcc_lo
	v_add_nc_u32_e32 v4, v4, v5
	ds_store_b32 v66, v4
.LBB532_390:                            ;   in Loop: Header=BB532_20 Depth=1
	s_wait_alu 0xfffe
	s_or_b32 exec_lo, exec_lo, s12
	v_mov_b32_e32 v4, 0
	s_wait_loadcnt_dscnt 0x0
	s_barrier_signal -1
	s_barrier_wait -1
	global_inv scope:SCOPE_SE
	s_and_saveexec_b32 s12, s5
; %bb.391:                              ;   in Loop: Header=BB532_20 Depth=1
	ds_load_b32 v4, v68
; %bb.392:                              ;   in Loop: Header=BB532_20 Depth=1
	s_wait_alu 0xfffe
	s_or_b32 exec_lo, exec_lo, s12
	v_cmp_gt_i32_e32 vcc_lo, 0, v90
	s_wait_loadcnt_dscnt 0x0
	s_barrier_signal -1
	s_barrier_wait -1
	global_inv scope:SCOPE_SE
	s_wait_alu 0xfffd
	v_dual_cndmask_b32 v5, v90, v81 :: v_dual_add_nc_u32 v2, v4, v2
	s_delay_alu instid0(VALU_DEP_1)
	v_lshlrev_b32_e32 v113, 2, v5
	ds_bpermute_b32 v2, v113, v2
	s_and_saveexec_b32 s12, s2
	s_cbranch_execz .LBB532_394
; %bb.393:                              ;   in Loop: Header=BB532_20 Depth=1
	s_wait_dscnt 0x0
	v_cndmask_b32_e64 v2, v2, v4, s8
	s_delay_alu instid0(VALU_DEP_1)
	v_add_nc_u32_e32 v2, s33, v2
	ds_store_b32 v44, v2
.LBB532_394:                            ;   in Loop: Header=BB532_20 Depth=1
	s_wait_alu 0xfffe
	s_or_b32 exec_lo, exec_lo, s12
	s_load_b64 s[12:13], s[34:35], 0x0
	v_add_co_u32 v114, vcc_lo, v73, v91
	s_wait_alu 0xfffd
	v_add_co_ci_u32_e64 v115, null, 0, v74, vcc_lo
	v_add_co_u32 v116, vcc_lo, v75, v107
	s_wait_alu 0xfffd
	v_add_co_ci_u32_e64 v117, null, 0, v76, vcc_lo
	s_mov_b32 s54, s53
                                        ; implicit-def: $vgpr6_vgpr7
                                        ; implicit-def: $vgpr8_vgpr9
                                        ; implicit-def: $vgpr10_vgpr11
                                        ; implicit-def: $vgpr12_vgpr13
                                        ; implicit-def: $vgpr14_vgpr15
                                        ; implicit-def: $vgpr16_vgpr17
                                        ; implicit-def: $vgpr18_vgpr19
                                        ; implicit-def: $vgpr20_vgpr21
                                        ; implicit-def: $vgpr22_vgpr23
                                        ; implicit-def: $vgpr24_vgpr25
                                        ; implicit-def: $vgpr26_vgpr27
                                        ; implicit-def: $vgpr28_vgpr29
                                        ; implicit-def: $vgpr30_vgpr31
                                        ; implicit-def: $vgpr32_vgpr33
                                        ; implicit-def: $vgpr34_vgpr35
                                        ; implicit-def: $vgpr119
                                        ; implicit-def: $vgpr120
                                        ; implicit-def: $vgpr121
                                        ; implicit-def: $vgpr122
                                        ; implicit-def: $vgpr123
                                        ; implicit-def: $vgpr124
                                        ; implicit-def: $vgpr125
                                        ; implicit-def: $vgpr126
                                        ; implicit-def: $vgpr127
                                        ; implicit-def: $vgpr128
                                        ; implicit-def: $vgpr129
                                        ; implicit-def: $vgpr130
                                        ; implicit-def: $vgpr131
                                        ; implicit-def: $vgpr132
                                        ; implicit-def: $vgpr133
                                        ; implicit-def: $vgpr134
	s_wait_kmcnt 0x0
	s_cmp_lt_u32 ttmp7, s13
	s_cselect_b32 s42, 14, 20
	s_cmp_lt_u32 ttmp9, s12
	s_wait_alu 0xfffe
	s_add_nc_u64 s[14:15], s[34:35], s[42:43]
	s_cselect_b32 s42, 12, 18
	s_load_u16 s14, s[14:15], 0x0
	s_add_nc_u64 s[12:13], s[34:35], s[42:43]
	s_mov_b32 s42, s33
	s_load_u16 s12, s[12:13], 0x0
	v_cmp_lt_u32_e64 s13, 1, v89
	s_wait_dscnt 0x0
	s_wait_kmcnt 0x0
	v_mad_u32_u24 v2, v69, s14, v0
	v_cmp_lt_u32_e64 s14, 3, v89
	s_delay_alu instid0(VALU_DEP_2) | instskip(SKIP_1) | instid1(VALU_DEP_2)
	v_mad_co_u64_u32 v[4:5], null, v2, s12, v[1:2]
	v_cmp_eq_u32_e64 s12, 0, v89
	v_lshrrev_b32_e32 v2, 3, v4
                                        ; implicit-def: $vgpr4_vgpr5
	s_delay_alu instid0(VALU_DEP_1)
	v_and_b32_e32 v118, 0x1ffffffc, v2
	s_branch .LBB532_396
.LBB532_395:                            ;   in Loop: Header=BB532_396 Depth=2
	s_wait_alu 0xfffe
	s_or_b32 exec_lo, exec_lo, s15
	s_addk_co_i32 s54, 0xf000
	s_cmp_lt_u32 s55, s51
	s_mov_b32 s42, s55
	s_cbranch_scc0 .LBB532_604
.LBB532_396:                            ;   Parent Loop BB532_20 Depth=1
                                        ; =>  This Inner Loop Header: Depth=2
	s_wait_alu 0xfffe
	s_add_co_i32 s55, s42, 0x1000
	s_wait_alu 0xfffe
	s_cmp_gt_u32 s55, s51
	s_cbranch_scc1 .LBB532_398
; %bb.397:                              ;   in Loop: Header=BB532_396 Depth=2
	s_lshl_b64 s[16:17], s[42:43], 2
	s_mov_b32 s15, -1
	s_wait_alu 0xfffe
	v_add_co_u32 v36, vcc_lo, v116, s16
	s_wait_alu 0xfffd
	v_add_co_ci_u32_e64 v37, null, s17, v117, vcc_lo
	s_clause 0xe
	global_load_b32 v136, v[36:37], off
	global_load_b32 v137, v[36:37], off offset:128
	global_load_b32 v144, v[36:37], off offset:256
	;; [unrolled: 1-line block ×14, first 2 shown]
	s_movk_i32 s16, 0x1000
	s_cbranch_execz .LBB532_399
	s_branch .LBB532_430
.LBB532_398:                            ;   in Loop: Header=BB532_396 Depth=2
	s_mov_b32 s15, 0
                                        ; implicit-def: $vgpr136
                                        ; implicit-def: $vgpr137
                                        ; implicit-def: $vgpr144
                                        ; implicit-def: $vgpr148
                                        ; implicit-def: $vgpr152
                                        ; implicit-def: $vgpr156
                                        ; implicit-def: $vgpr160
                                        ; implicit-def: $vgpr164
                                        ; implicit-def: $vgpr167
                                        ; implicit-def: $vgpr43
                                        ; implicit-def: $vgpr42
                                        ; implicit-def: $vgpr41
                                        ; implicit-def: $vgpr40
                                        ; implicit-def: $vgpr39
                                        ; implicit-def: $vgpr38
	s_movk_i32 s16, 0x1000
.LBB532_399:                            ;   in Loop: Header=BB532_396 Depth=2
	s_lshl_b64 s[16:17], s[42:43], 2
	s_wait_loadcnt 0xd
	v_bfrev_b32_e32 v137, 1
	s_wait_alu 0xfffe
	v_add_co_u32 v36, vcc_lo, v116, s16
	s_wait_alu 0xfffd
	v_add_co_ci_u32_e64 v37, null, s17, v117, vcc_lo
	v_bfrev_b32_e32 v136, 1
	s_mov_b32 s15, exec_lo
	v_cmpx_gt_u32_e64 s54, v88
	s_cbranch_execz .LBB532_401
; %bb.400:                              ;   in Loop: Header=BB532_396 Depth=2
	global_load_b32 v136, v[36:37], off
.LBB532_401:                            ;   in Loop: Header=BB532_396 Depth=2
	s_wait_alu 0xfffe
	s_or_b32 exec_lo, exec_lo, s15
	s_delay_alu instid0(SALU_CYCLE_1)
	s_mov_b32 s15, exec_lo
	v_cmpx_gt_u32_e64 s54, v92
	s_cbranch_execz .LBB532_403
; %bb.402:                              ;   in Loop: Header=BB532_396 Depth=2
	global_load_b32 v137, v[36:37], off offset:128
.LBB532_403:                            ;   in Loop: Header=BB532_396 Depth=2
	s_wait_alu 0xfffe
	s_or_b32 exec_lo, exec_lo, s15
	s_wait_loadcnt 0xb
	v_bfrev_b32_e32 v148, 1
	v_bfrev_b32_e32 v144, 1
	s_mov_b32 s15, exec_lo
	v_cmpx_gt_u32_e64 s54, v93
	s_cbranch_execz .LBB532_405
; %bb.404:                              ;   in Loop: Header=BB532_396 Depth=2
	global_load_b32 v144, v[36:37], off offset:256
.LBB532_405:                            ;   in Loop: Header=BB532_396 Depth=2
	s_wait_alu 0xfffe
	s_or_b32 exec_lo, exec_lo, s15
	s_delay_alu instid0(SALU_CYCLE_1)
	s_mov_b32 s15, exec_lo
	v_cmpx_gt_u32_e64 s54, v94
	s_cbranch_execz .LBB532_407
; %bb.406:                              ;   in Loop: Header=BB532_396 Depth=2
	global_load_b32 v148, v[36:37], off offset:384
.LBB532_407:                            ;   in Loop: Header=BB532_396 Depth=2
	s_wait_alu 0xfffe
	s_or_b32 exec_lo, exec_lo, s15
	s_wait_loadcnt 0x9
	v_bfrev_b32_e32 v156, 1
	v_bfrev_b32_e32 v152, 1
	s_mov_b32 s15, exec_lo
	v_cmpx_gt_u32_e64 s54, v95
	s_cbranch_execz .LBB532_409
; %bb.408:                              ;   in Loop: Header=BB532_396 Depth=2
	global_load_b32 v152, v[36:37], off offset:512
.LBB532_409:                            ;   in Loop: Header=BB532_396 Depth=2
	;; [unrolled: 20-line block ×6, first 2 shown]
	s_wait_alu 0xfffe
	s_or_b32 exec_lo, exec_lo, s15
	s_delay_alu instid0(SALU_CYCLE_1)
	s_mov_b32 s15, exec_lo
	v_cmpx_gt_u32_e64 s54, v104
	s_cbranch_execz .LBB532_427
; %bb.426:                              ;   in Loop: Header=BB532_396 Depth=2
	global_load_b32 v39, v[36:37], off offset:1664
.LBB532_427:                            ;   in Loop: Header=BB532_396 Depth=2
	s_wait_alu 0xfffe
	s_or_b32 exec_lo, exec_lo, s15
	s_wait_loadcnt 0x0
	v_bfrev_b32_e32 v38, 1
	s_mov_b32 s15, exec_lo
	v_cmpx_gt_u32_e64 s54, v105
	s_cbranch_execz .LBB532_429
; %bb.428:                              ;   in Loop: Header=BB532_396 Depth=2
	global_load_b32 v38, v[36:37], off offset:1792
.LBB532_429:                            ;   in Loop: Header=BB532_396 Depth=2
	s_wait_alu 0xfffe
	s_or_b32 exec_lo, exec_lo, s15
	v_cmp_gt_u32_e64 s15, s54, v106
	s_sub_co_i32 s16, s51, s42
.LBB532_430:                            ;   in Loop: Header=BB532_396 Depth=2
	v_dual_mov_b32 v2, -1 :: v_dual_mov_b32 v135, s54
	s_and_saveexec_b32 s17, s15
	s_cbranch_execz .LBB532_432
; %bb.431:                              ;   in Loop: Header=BB532_396 Depth=2
	s_lshl_b64 s[18:19], s[42:43], 2
	s_wait_alu 0xfffe
	v_mov_b32_e32 v135, s16
	v_add_co_u32 v36, vcc_lo, v116, s18
	s_wait_alu 0xfffd
	v_add_co_ci_u32_e64 v37, null, s19, v117, vcc_lo
	global_load_b32 v2, v[36:37], off offset:1920
	s_wait_loadcnt 0x0
	v_xor_b32_e32 v2, 0x7fffffff, v2
.LBB532_432:                            ;   in Loop: Header=BB532_396 Depth=2
	s_wait_alu 0xfffe
	s_or_b32 exec_lo, exec_lo, s17
	s_wait_loadcnt 0xe
	v_xor_b32_e32 v136, 0x7fffffff, v136
	s_delay_alu instid0(VALU_DEP_1) | instskip(NEXT) | instid1(VALU_DEP_1)
	v_lshrrev_b32_e32 v36, s31, v136
	v_and_b32_e32 v37, s48, v36
	s_delay_alu instid0(VALU_DEP_1)
	v_and_b32_e32 v36, 1, v37
	v_lshlrev_b32_e32 v138, 30, v37
	v_lshlrev_b32_e32 v139, 29, v37
	;; [unrolled: 1-line block ×4, first 2 shown]
	v_add_co_u32 v36, s15, v36, -1
	s_wait_alu 0xf1ff
	v_cndmask_b32_e64 v141, 0, 1, s15
	v_not_b32_e32 v146, v138
	v_cmp_gt_i32_e64 s15, 0, v138
	v_not_b32_e32 v138, v139
	v_lshlrev_b32_e32 v143, 26, v37
	v_cmp_ne_u32_e32 vcc_lo, 0, v141
	v_ashrrev_i32_e32 v146, 31, v146
	v_lshlrev_b32_e32 v145, 25, v37
	v_ashrrev_i32_e32 v138, 31, v138
	v_lshlrev_b32_e32 v141, 24, v37
	s_wait_alu 0xfffd
	v_xor_b32_e32 v36, vcc_lo, v36
	v_cmp_gt_i32_e32 vcc_lo, 0, v139
	v_not_b32_e32 v139, v140
	s_wait_alu 0xf1ff
	v_xor_b32_e32 v146, s15, v146
	v_cmp_gt_i32_e64 s15, 0, v140
	v_and_b32_e32 v36, exec_lo, v36
	v_not_b32_e32 v140, v142
	v_ashrrev_i32_e32 v139, 31, v139
	s_wait_alu 0xfffd
	v_xor_b32_e32 v138, vcc_lo, v138
	v_cmp_gt_i32_e32 vcc_lo, 0, v142
	v_and_b32_e32 v36, v36, v146
	v_not_b32_e32 v142, v143
	v_ashrrev_i32_e32 v140, 31, v140
	s_wait_alu 0xf1ff
	v_xor_b32_e32 v139, s15, v139
	v_cmp_gt_i32_e64 s15, 0, v143
	v_and_b32_e32 v36, v36, v138
	v_not_b32_e32 v138, v145
	v_ashrrev_i32_e32 v142, 31, v142
	s_wait_alu 0xfffd
	v_xor_b32_e32 v140, vcc_lo, v140
	v_cmp_gt_i32_e32 vcc_lo, 0, v145
	v_and_b32_e32 v36, v36, v139
	v_not_b32_e32 v139, v141
	v_ashrrev_i32_e32 v138, 31, v138
	s_wait_alu 0xf1ff
	v_xor_b32_e32 v142, s15, v142
	v_cmp_gt_i32_e64 s15, 0, v141
	v_and_b32_e32 v36, v36, v140
	v_ashrrev_i32_e32 v139, 31, v139
	s_wait_alu 0xfffd
	v_xor_b32_e32 v138, vcc_lo, v138
	v_mul_u32_u24_e32 v37, 36, v37
	v_add_nc_u32_e32 v141, 0x428, v67
	v_and_b32_e32 v36, v36, v142
	s_wait_alu 0xf1ff
	v_xor_b32_e32 v140, s15, v139
	v_add_nc_u32_e32 v139, 0x438, v67
	v_add_nc_u32_e32 v142, 0x430, v67
	;; [unrolled: 1-line block ×3, first 2 shown]
	v_and_b32_e32 v36, v36, v138
	ds_store_2addr_b32 v139, v3, v3 offset1:1
	v_and_b32_e32 v36, v36, v140
	v_add_nc_u32_e32 v140, 0x420, v67
	ds_store_2addr_b32 v140, v3, v3 offset1:1
	ds_store_2addr_b32 v141, v3, v3 offset1:1
	;; [unrolled: 1-line block ×3, first 2 shown]
	ds_store_b32 v67, v3 offset:1088
	v_mbcnt_lo_u32_b32 v138, v36, 0
	v_cmp_ne_u32_e64 s15, 0, v36
	s_wait_loadcnt_dscnt 0x0
	s_barrier_signal -1
	s_barrier_wait -1
	v_cmp_eq_u32_e32 vcc_lo, 0, v138
	global_inv scope:SCOPE_SE
	; wave barrier
	s_and_b32 s16, s15, vcc_lo
	s_wait_alu 0xfffe
	s_and_saveexec_b32 s15, s16
; %bb.433:                              ;   in Loop: Header=BB532_396 Depth=2
	v_bcnt_u32_b32 v36, v36, 0
	ds_store_b32 v143, v36 offset:1056
; %bb.434:                              ;   in Loop: Header=BB532_396 Depth=2
	s_wait_alu 0xfffe
	s_or_b32 exec_lo, exec_lo, s15
	v_xor_b32_e32 v137, 0x7fffffff, v137
	; wave barrier
	s_delay_alu instid0(VALU_DEP_1) | instskip(NEXT) | instid1(VALU_DEP_1)
	v_lshrrev_b32_e32 v36, s31, v137
	v_and_b32_e32 v37, s48, v36
	s_delay_alu instid0(VALU_DEP_1)
	v_and_b32_e32 v36, 1, v37
	v_lshlrev_b32_e32 v145, 30, v37
	v_lshlrev_b32_e32 v146, 29, v37
	;; [unrolled: 1-line block ×4, first 2 shown]
	v_add_co_u32 v36, s15, v36, -1
	s_wait_alu 0xf1ff
	v_cndmask_b32_e64 v149, 0, 1, s15
	v_not_b32_e32 v154, v145
	v_cmp_gt_i32_e64 s15, 0, v145
	v_not_b32_e32 v145, v146
	v_lshlrev_b32_e32 v151, 26, v37
	v_cmp_ne_u32_e32 vcc_lo, 0, v149
	v_ashrrev_i32_e32 v154, 31, v154
	v_lshlrev_b32_e32 v153, 25, v37
	v_ashrrev_i32_e32 v145, 31, v145
	v_lshlrev_b32_e32 v149, 24, v37
	s_wait_alu 0xfffd
	v_xor_b32_e32 v36, vcc_lo, v36
	v_cmp_gt_i32_e32 vcc_lo, 0, v146
	v_not_b32_e32 v146, v147
	s_wait_alu 0xf1ff
	v_xor_b32_e32 v154, s15, v154
	v_cmp_gt_i32_e64 s15, 0, v147
	v_and_b32_e32 v36, exec_lo, v36
	v_not_b32_e32 v147, v150
	v_ashrrev_i32_e32 v146, 31, v146
	s_wait_alu 0xfffd
	v_xor_b32_e32 v145, vcc_lo, v145
	v_cmp_gt_i32_e32 vcc_lo, 0, v150
	v_and_b32_e32 v36, v36, v154
	v_not_b32_e32 v150, v151
	v_ashrrev_i32_e32 v147, 31, v147
	s_wait_alu 0xf1ff
	v_xor_b32_e32 v146, s15, v146
	v_cmp_gt_i32_e64 s15, 0, v151
	v_and_b32_e32 v36, v36, v145
	v_not_b32_e32 v145, v153
	v_ashrrev_i32_e32 v150, 31, v150
	s_wait_alu 0xfffd
	v_xor_b32_e32 v147, vcc_lo, v147
	v_cmp_gt_i32_e32 vcc_lo, 0, v153
	v_and_b32_e32 v36, v36, v146
	v_not_b32_e32 v146, v149
	v_ashrrev_i32_e32 v145, 31, v145
	s_wait_alu 0xf1ff
	v_xor_b32_e32 v150, s15, v150
	v_cmp_gt_i32_e64 s15, 0, v149
	v_and_b32_e32 v36, v36, v147
	v_ashrrev_i32_e32 v146, 31, v146
	s_wait_alu 0xfffd
	v_xor_b32_e32 v145, vcc_lo, v145
	v_mad_u32_u24 v147, v37, 36, v118
	v_mul_u32_u24_e32 v37, 36, v37
	v_and_b32_e32 v36, v36, v150
	s_wait_alu 0xf1ff
	v_xor_b32_e32 v146, s15, v146
	s_delay_alu instid0(VALU_DEP_2) | instskip(SKIP_3) | instid1(VALU_DEP_1)
	v_and_b32_e32 v36, v36, v145
	ds_load_b32 v145, v147 offset:1056
	v_add_nc_u32_e32 v147, v118, v37
	; wave barrier
	v_and_b32_e32 v36, v36, v146
	v_mbcnt_lo_u32_b32 v146, v36, 0
	v_cmp_ne_u32_e64 s15, 0, v36
	s_delay_alu instid0(VALU_DEP_2)
	v_cmp_eq_u32_e32 vcc_lo, 0, v146
	s_and_b32 s16, s15, vcc_lo
	s_wait_alu 0xfffe
	s_and_saveexec_b32 s15, s16
	s_cbranch_execz .LBB532_436
; %bb.435:                              ;   in Loop: Header=BB532_396 Depth=2
	s_wait_dscnt 0x0
	v_bcnt_u32_b32 v36, v36, v145
	ds_store_b32 v147, v36 offset:1056
.LBB532_436:                            ;   in Loop: Header=BB532_396 Depth=2
	s_wait_alu 0xfffe
	s_or_b32 exec_lo, exec_lo, s15
	v_xor_b32_e32 v144, 0x7fffffff, v144
	; wave barrier
	s_delay_alu instid0(VALU_DEP_1) | instskip(NEXT) | instid1(VALU_DEP_1)
	v_lshrrev_b32_e32 v36, s31, v144
	v_and_b32_e32 v37, s48, v36
	s_delay_alu instid0(VALU_DEP_1)
	v_and_b32_e32 v36, 1, v37
	v_lshlrev_b32_e32 v149, 30, v37
	v_lshlrev_b32_e32 v150, 29, v37
	;; [unrolled: 1-line block ×4, first 2 shown]
	v_add_co_u32 v36, s15, v36, -1
	s_wait_alu 0xf1ff
	v_cndmask_b32_e64 v153, 0, 1, s15
	v_not_b32_e32 v158, v149
	v_cmp_gt_i32_e64 s15, 0, v149
	v_not_b32_e32 v149, v150
	v_lshlrev_b32_e32 v155, 26, v37
	v_cmp_ne_u32_e32 vcc_lo, 0, v153
	v_ashrrev_i32_e32 v158, 31, v158
	v_lshlrev_b32_e32 v157, 25, v37
	v_ashrrev_i32_e32 v149, 31, v149
	v_lshlrev_b32_e32 v153, 24, v37
	s_wait_alu 0xfffd
	v_xor_b32_e32 v36, vcc_lo, v36
	v_cmp_gt_i32_e32 vcc_lo, 0, v150
	v_not_b32_e32 v150, v151
	s_wait_alu 0xf1ff
	v_xor_b32_e32 v158, s15, v158
	v_cmp_gt_i32_e64 s15, 0, v151
	v_and_b32_e32 v36, exec_lo, v36
	v_not_b32_e32 v151, v154
	v_ashrrev_i32_e32 v150, 31, v150
	s_wait_alu 0xfffd
	v_xor_b32_e32 v149, vcc_lo, v149
	v_cmp_gt_i32_e32 vcc_lo, 0, v154
	v_and_b32_e32 v36, v36, v158
	v_not_b32_e32 v154, v155
	v_ashrrev_i32_e32 v151, 31, v151
	s_wait_alu 0xf1ff
	v_xor_b32_e32 v150, s15, v150
	v_cmp_gt_i32_e64 s15, 0, v155
	v_and_b32_e32 v36, v36, v149
	v_not_b32_e32 v149, v157
	v_ashrrev_i32_e32 v154, 31, v154
	s_wait_alu 0xfffd
	v_xor_b32_e32 v151, vcc_lo, v151
	v_cmp_gt_i32_e32 vcc_lo, 0, v157
	v_and_b32_e32 v36, v36, v150
	v_not_b32_e32 v150, v153
	v_ashrrev_i32_e32 v149, 31, v149
	s_wait_alu 0xf1ff
	v_xor_b32_e32 v154, s15, v154
	v_cmp_gt_i32_e64 s15, 0, v153
	v_and_b32_e32 v36, v36, v151
	v_ashrrev_i32_e32 v150, 31, v150
	s_wait_alu 0xfffd
	v_xor_b32_e32 v149, vcc_lo, v149
	v_mad_u32_u24 v151, v37, 36, v118
	v_mul_u32_u24_e32 v37, 36, v37
	v_and_b32_e32 v36, v36, v154
	s_wait_alu 0xf1ff
	v_xor_b32_e32 v150, s15, v150
	s_delay_alu instid0(VALU_DEP_2) | instskip(SKIP_3) | instid1(VALU_DEP_1)
	v_and_b32_e32 v36, v36, v149
	ds_load_b32 v149, v151 offset:1056
	v_add_nc_u32_e32 v151, v118, v37
	; wave barrier
	v_and_b32_e32 v36, v36, v150
	v_mbcnt_lo_u32_b32 v150, v36, 0
	v_cmp_ne_u32_e64 s15, 0, v36
	s_delay_alu instid0(VALU_DEP_2)
	v_cmp_eq_u32_e32 vcc_lo, 0, v150
	s_and_b32 s16, s15, vcc_lo
	s_wait_alu 0xfffe
	s_and_saveexec_b32 s15, s16
	s_cbranch_execz .LBB532_438
; %bb.437:                              ;   in Loop: Header=BB532_396 Depth=2
	s_wait_dscnt 0x0
	v_bcnt_u32_b32 v36, v36, v149
	ds_store_b32 v151, v36 offset:1056
.LBB532_438:                            ;   in Loop: Header=BB532_396 Depth=2
	s_wait_alu 0xfffe
	s_or_b32 exec_lo, exec_lo, s15
	v_xor_b32_e32 v148, 0x7fffffff, v148
	; wave barrier
	s_delay_alu instid0(VALU_DEP_1) | instskip(NEXT) | instid1(VALU_DEP_1)
	v_lshrrev_b32_e32 v36, s31, v148
	v_and_b32_e32 v37, s48, v36
	s_delay_alu instid0(VALU_DEP_1)
	v_and_b32_e32 v36, 1, v37
	v_lshlrev_b32_e32 v153, 30, v37
	v_lshlrev_b32_e32 v154, 29, v37
	;; [unrolled: 1-line block ×4, first 2 shown]
	v_add_co_u32 v36, s15, v36, -1
	s_wait_alu 0xf1ff
	v_cndmask_b32_e64 v157, 0, 1, s15
	v_not_b32_e32 v162, v153
	v_cmp_gt_i32_e64 s15, 0, v153
	v_not_b32_e32 v153, v154
	v_lshlrev_b32_e32 v159, 26, v37
	v_cmp_ne_u32_e32 vcc_lo, 0, v157
	v_ashrrev_i32_e32 v162, 31, v162
	v_lshlrev_b32_e32 v161, 25, v37
	v_ashrrev_i32_e32 v153, 31, v153
	v_lshlrev_b32_e32 v157, 24, v37
	s_wait_alu 0xfffd
	v_xor_b32_e32 v36, vcc_lo, v36
	v_cmp_gt_i32_e32 vcc_lo, 0, v154
	v_not_b32_e32 v154, v155
	s_wait_alu 0xf1ff
	v_xor_b32_e32 v162, s15, v162
	v_cmp_gt_i32_e64 s15, 0, v155
	v_and_b32_e32 v36, exec_lo, v36
	v_not_b32_e32 v155, v158
	v_ashrrev_i32_e32 v154, 31, v154
	s_wait_alu 0xfffd
	v_xor_b32_e32 v153, vcc_lo, v153
	v_cmp_gt_i32_e32 vcc_lo, 0, v158
	v_and_b32_e32 v36, v36, v162
	v_not_b32_e32 v158, v159
	v_ashrrev_i32_e32 v155, 31, v155
	s_wait_alu 0xf1ff
	v_xor_b32_e32 v154, s15, v154
	v_cmp_gt_i32_e64 s15, 0, v159
	v_and_b32_e32 v36, v36, v153
	v_not_b32_e32 v153, v161
	v_ashrrev_i32_e32 v158, 31, v158
	s_wait_alu 0xfffd
	v_xor_b32_e32 v155, vcc_lo, v155
	v_cmp_gt_i32_e32 vcc_lo, 0, v161
	v_and_b32_e32 v36, v36, v154
	v_not_b32_e32 v154, v157
	v_ashrrev_i32_e32 v153, 31, v153
	s_wait_alu 0xf1ff
	v_xor_b32_e32 v158, s15, v158
	v_cmp_gt_i32_e64 s15, 0, v157
	v_and_b32_e32 v36, v36, v155
	v_ashrrev_i32_e32 v154, 31, v154
	s_wait_alu 0xfffd
	v_xor_b32_e32 v153, vcc_lo, v153
	v_mad_u32_u24 v155, v37, 36, v118
	v_mul_u32_u24_e32 v37, 36, v37
	v_and_b32_e32 v36, v36, v158
	s_wait_alu 0xf1ff
	v_xor_b32_e32 v154, s15, v154
	s_delay_alu instid0(VALU_DEP_2) | instskip(SKIP_3) | instid1(VALU_DEP_1)
	v_and_b32_e32 v36, v36, v153
	ds_load_b32 v153, v155 offset:1056
	v_add_nc_u32_e32 v155, v118, v37
	; wave barrier
	v_and_b32_e32 v36, v36, v154
	v_mbcnt_lo_u32_b32 v154, v36, 0
	v_cmp_ne_u32_e64 s15, 0, v36
	s_delay_alu instid0(VALU_DEP_2)
	v_cmp_eq_u32_e32 vcc_lo, 0, v154
	s_and_b32 s16, s15, vcc_lo
	s_wait_alu 0xfffe
	s_and_saveexec_b32 s15, s16
	s_cbranch_execz .LBB532_440
; %bb.439:                              ;   in Loop: Header=BB532_396 Depth=2
	s_wait_dscnt 0x0
	v_bcnt_u32_b32 v36, v36, v153
	ds_store_b32 v155, v36 offset:1056
.LBB532_440:                            ;   in Loop: Header=BB532_396 Depth=2
	s_wait_alu 0xfffe
	s_or_b32 exec_lo, exec_lo, s15
	v_xor_b32_e32 v152, 0x7fffffff, v152
	; wave barrier
	s_delay_alu instid0(VALU_DEP_1) | instskip(NEXT) | instid1(VALU_DEP_1)
	v_lshrrev_b32_e32 v36, s31, v152
	v_and_b32_e32 v37, s48, v36
	s_delay_alu instid0(VALU_DEP_1)
	v_and_b32_e32 v36, 1, v37
	v_lshlrev_b32_e32 v157, 30, v37
	v_lshlrev_b32_e32 v158, 29, v37
	;; [unrolled: 1-line block ×4, first 2 shown]
	v_add_co_u32 v36, s15, v36, -1
	s_wait_alu 0xf1ff
	v_cndmask_b32_e64 v161, 0, 1, s15
	v_not_b32_e32 v166, v157
	v_cmp_gt_i32_e64 s15, 0, v157
	v_not_b32_e32 v157, v158
	v_lshlrev_b32_e32 v163, 26, v37
	v_cmp_ne_u32_e32 vcc_lo, 0, v161
	v_ashrrev_i32_e32 v166, 31, v166
	v_lshlrev_b32_e32 v165, 25, v37
	v_ashrrev_i32_e32 v157, 31, v157
	v_lshlrev_b32_e32 v161, 24, v37
	s_wait_alu 0xfffd
	v_xor_b32_e32 v36, vcc_lo, v36
	v_cmp_gt_i32_e32 vcc_lo, 0, v158
	v_not_b32_e32 v158, v159
	s_wait_alu 0xf1ff
	v_xor_b32_e32 v166, s15, v166
	v_cmp_gt_i32_e64 s15, 0, v159
	v_and_b32_e32 v36, exec_lo, v36
	v_not_b32_e32 v159, v162
	v_ashrrev_i32_e32 v158, 31, v158
	s_wait_alu 0xfffd
	v_xor_b32_e32 v157, vcc_lo, v157
	v_cmp_gt_i32_e32 vcc_lo, 0, v162
	v_and_b32_e32 v36, v36, v166
	v_not_b32_e32 v162, v163
	v_ashrrev_i32_e32 v159, 31, v159
	s_wait_alu 0xf1ff
	v_xor_b32_e32 v158, s15, v158
	v_cmp_gt_i32_e64 s15, 0, v163
	v_and_b32_e32 v36, v36, v157
	v_not_b32_e32 v157, v165
	v_ashrrev_i32_e32 v162, 31, v162
	s_wait_alu 0xfffd
	v_xor_b32_e32 v159, vcc_lo, v159
	v_cmp_gt_i32_e32 vcc_lo, 0, v165
	v_and_b32_e32 v36, v36, v158
	v_not_b32_e32 v158, v161
	v_ashrrev_i32_e32 v157, 31, v157
	s_wait_alu 0xf1ff
	v_xor_b32_e32 v162, s15, v162
	v_cmp_gt_i32_e64 s15, 0, v161
	v_and_b32_e32 v36, v36, v159
	v_ashrrev_i32_e32 v158, 31, v158
	s_wait_alu 0xfffd
	v_xor_b32_e32 v157, vcc_lo, v157
	v_mad_u32_u24 v159, v37, 36, v118
	v_mul_u32_u24_e32 v37, 36, v37
	v_and_b32_e32 v36, v36, v162
	s_wait_alu 0xf1ff
	v_xor_b32_e32 v158, s15, v158
	s_delay_alu instid0(VALU_DEP_2) | instskip(SKIP_3) | instid1(VALU_DEP_1)
	v_and_b32_e32 v36, v36, v157
	ds_load_b32 v157, v159 offset:1056
	v_add_nc_u32_e32 v159, v118, v37
	; wave barrier
	v_and_b32_e32 v36, v36, v158
	v_mbcnt_lo_u32_b32 v158, v36, 0
	v_cmp_ne_u32_e64 s15, 0, v36
	s_delay_alu instid0(VALU_DEP_2)
	v_cmp_eq_u32_e32 vcc_lo, 0, v158
	s_and_b32 s16, s15, vcc_lo
	s_wait_alu 0xfffe
	s_and_saveexec_b32 s15, s16
	s_cbranch_execz .LBB532_442
; %bb.441:                              ;   in Loop: Header=BB532_396 Depth=2
	s_wait_dscnt 0x0
	v_bcnt_u32_b32 v36, v36, v157
	ds_store_b32 v159, v36 offset:1056
.LBB532_442:                            ;   in Loop: Header=BB532_396 Depth=2
	s_wait_alu 0xfffe
	s_or_b32 exec_lo, exec_lo, s15
	v_xor_b32_e32 v156, 0x7fffffff, v156
	; wave barrier
	s_delay_alu instid0(VALU_DEP_1) | instskip(NEXT) | instid1(VALU_DEP_1)
	v_lshrrev_b32_e32 v36, s31, v156
	v_and_b32_e32 v37, s48, v36
	s_delay_alu instid0(VALU_DEP_1)
	v_and_b32_e32 v36, 1, v37
	v_lshlrev_b32_e32 v161, 30, v37
	v_lshlrev_b32_e32 v162, 29, v37
	;; [unrolled: 1-line block ×4, first 2 shown]
	v_add_co_u32 v36, s15, v36, -1
	s_wait_alu 0xf1ff
	v_cndmask_b32_e64 v165, 0, 1, s15
	v_not_b32_e32 v170, v161
	v_cmp_gt_i32_e64 s15, 0, v161
	v_not_b32_e32 v161, v162
	v_lshlrev_b32_e32 v168, 26, v37
	v_cmp_ne_u32_e32 vcc_lo, 0, v165
	v_ashrrev_i32_e32 v170, 31, v170
	v_lshlrev_b32_e32 v169, 25, v37
	v_ashrrev_i32_e32 v161, 31, v161
	v_lshlrev_b32_e32 v165, 24, v37
	s_wait_alu 0xfffd
	v_xor_b32_e32 v36, vcc_lo, v36
	v_cmp_gt_i32_e32 vcc_lo, 0, v162
	v_not_b32_e32 v162, v163
	s_wait_alu 0xf1ff
	v_xor_b32_e32 v170, s15, v170
	v_cmp_gt_i32_e64 s15, 0, v163
	v_and_b32_e32 v36, exec_lo, v36
	v_not_b32_e32 v163, v166
	v_ashrrev_i32_e32 v162, 31, v162
	s_wait_alu 0xfffd
	v_xor_b32_e32 v161, vcc_lo, v161
	v_cmp_gt_i32_e32 vcc_lo, 0, v166
	v_and_b32_e32 v36, v36, v170
	v_not_b32_e32 v166, v168
	v_ashrrev_i32_e32 v163, 31, v163
	s_wait_alu 0xf1ff
	v_xor_b32_e32 v162, s15, v162
	v_cmp_gt_i32_e64 s15, 0, v168
	v_and_b32_e32 v36, v36, v161
	v_not_b32_e32 v161, v169
	v_ashrrev_i32_e32 v166, 31, v166
	s_wait_alu 0xfffd
	v_xor_b32_e32 v163, vcc_lo, v163
	v_cmp_gt_i32_e32 vcc_lo, 0, v169
	v_and_b32_e32 v36, v36, v162
	v_not_b32_e32 v162, v165
	v_ashrrev_i32_e32 v161, 31, v161
	s_wait_alu 0xf1ff
	v_xor_b32_e32 v166, s15, v166
	v_cmp_gt_i32_e64 s15, 0, v165
	v_and_b32_e32 v36, v36, v163
	v_ashrrev_i32_e32 v162, 31, v162
	s_wait_alu 0xfffd
	v_xor_b32_e32 v161, vcc_lo, v161
	v_mad_u32_u24 v163, v37, 36, v118
	v_mul_u32_u24_e32 v37, 36, v37
	v_and_b32_e32 v36, v36, v166
	s_wait_alu 0xf1ff
	v_xor_b32_e32 v162, s15, v162
	s_delay_alu instid0(VALU_DEP_2) | instskip(SKIP_3) | instid1(VALU_DEP_1)
	v_and_b32_e32 v36, v36, v161
	ds_load_b32 v161, v163 offset:1056
	v_add_nc_u32_e32 v163, v118, v37
	; wave barrier
	v_and_b32_e32 v36, v36, v162
	v_mbcnt_lo_u32_b32 v162, v36, 0
	v_cmp_ne_u32_e64 s15, 0, v36
	s_delay_alu instid0(VALU_DEP_2)
	v_cmp_eq_u32_e32 vcc_lo, 0, v162
	s_and_b32 s16, s15, vcc_lo
	s_wait_alu 0xfffe
	s_and_saveexec_b32 s15, s16
	s_cbranch_execz .LBB532_444
; %bb.443:                              ;   in Loop: Header=BB532_396 Depth=2
	s_wait_dscnt 0x0
	v_bcnt_u32_b32 v36, v36, v161
	ds_store_b32 v163, v36 offset:1056
.LBB532_444:                            ;   in Loop: Header=BB532_396 Depth=2
	s_wait_alu 0xfffe
	s_or_b32 exec_lo, exec_lo, s15
	v_xor_b32_e32 v160, 0x7fffffff, v160
	; wave barrier
	s_delay_alu instid0(VALU_DEP_1) | instskip(NEXT) | instid1(VALU_DEP_1)
	v_lshrrev_b32_e32 v36, s31, v160
	v_and_b32_e32 v37, s48, v36
	s_delay_alu instid0(VALU_DEP_1)
	v_and_b32_e32 v36, 1, v37
	v_lshlrev_b32_e32 v165, 30, v37
	v_lshlrev_b32_e32 v166, 29, v37
	;; [unrolled: 1-line block ×4, first 2 shown]
	v_add_co_u32 v36, s15, v36, -1
	s_wait_alu 0xf1ff
	v_cndmask_b32_e64 v169, 0, 1, s15
	v_not_b32_e32 v173, v165
	v_cmp_gt_i32_e64 s15, 0, v165
	v_not_b32_e32 v165, v166
	v_lshlrev_b32_e32 v171, 26, v37
	v_cmp_ne_u32_e32 vcc_lo, 0, v169
	v_ashrrev_i32_e32 v173, 31, v173
	v_lshlrev_b32_e32 v172, 25, v37
	v_ashrrev_i32_e32 v165, 31, v165
	v_lshlrev_b32_e32 v169, 24, v37
	s_wait_alu 0xfffd
	v_xor_b32_e32 v36, vcc_lo, v36
	v_cmp_gt_i32_e32 vcc_lo, 0, v166
	v_not_b32_e32 v166, v168
	s_wait_alu 0xf1ff
	v_xor_b32_e32 v173, s15, v173
	v_cmp_gt_i32_e64 s15, 0, v168
	v_and_b32_e32 v36, exec_lo, v36
	v_not_b32_e32 v168, v170
	v_ashrrev_i32_e32 v166, 31, v166
	s_wait_alu 0xfffd
	v_xor_b32_e32 v165, vcc_lo, v165
	v_cmp_gt_i32_e32 vcc_lo, 0, v170
	v_and_b32_e32 v36, v36, v173
	v_not_b32_e32 v170, v171
	v_ashrrev_i32_e32 v168, 31, v168
	s_wait_alu 0xf1ff
	v_xor_b32_e32 v166, s15, v166
	v_cmp_gt_i32_e64 s15, 0, v171
	v_and_b32_e32 v36, v36, v165
	v_not_b32_e32 v165, v172
	v_ashrrev_i32_e32 v170, 31, v170
	s_wait_alu 0xfffd
	v_xor_b32_e32 v168, vcc_lo, v168
	v_cmp_gt_i32_e32 vcc_lo, 0, v172
	v_and_b32_e32 v36, v36, v166
	v_not_b32_e32 v166, v169
	v_ashrrev_i32_e32 v165, 31, v165
	s_wait_alu 0xf1ff
	v_xor_b32_e32 v170, s15, v170
	v_cmp_gt_i32_e64 s15, 0, v169
	v_and_b32_e32 v36, v36, v168
	v_ashrrev_i32_e32 v166, 31, v166
	s_wait_alu 0xfffd
	v_xor_b32_e32 v165, vcc_lo, v165
	v_mad_u32_u24 v168, v37, 36, v118
	v_mul_u32_u24_e32 v37, 36, v37
	v_and_b32_e32 v36, v36, v170
	s_wait_alu 0xf1ff
	v_xor_b32_e32 v166, s15, v166
	s_delay_alu instid0(VALU_DEP_2) | instskip(SKIP_3) | instid1(VALU_DEP_1)
	v_and_b32_e32 v36, v36, v165
	ds_load_b32 v165, v168 offset:1056
	v_add_nc_u32_e32 v168, v118, v37
	; wave barrier
	v_and_b32_e32 v36, v36, v166
	v_mbcnt_lo_u32_b32 v166, v36, 0
	v_cmp_ne_u32_e64 s15, 0, v36
	s_delay_alu instid0(VALU_DEP_2)
	v_cmp_eq_u32_e32 vcc_lo, 0, v166
	s_and_b32 s16, s15, vcc_lo
	s_wait_alu 0xfffe
	s_and_saveexec_b32 s15, s16
	s_cbranch_execz .LBB532_446
; %bb.445:                              ;   in Loop: Header=BB532_396 Depth=2
	s_wait_dscnt 0x0
	v_bcnt_u32_b32 v36, v36, v165
	ds_store_b32 v168, v36 offset:1056
.LBB532_446:                            ;   in Loop: Header=BB532_396 Depth=2
	s_wait_alu 0xfffe
	s_or_b32 exec_lo, exec_lo, s15
	v_xor_b32_e32 v164, 0x7fffffff, v164
	; wave barrier
	s_delay_alu instid0(VALU_DEP_1) | instskip(NEXT) | instid1(VALU_DEP_1)
	v_lshrrev_b32_e32 v36, s31, v164
	v_and_b32_e32 v37, s48, v36
	s_delay_alu instid0(VALU_DEP_1)
	v_and_b32_e32 v36, 1, v37
	v_lshlrev_b32_e32 v169, 30, v37
	v_lshlrev_b32_e32 v170, 29, v37
	;; [unrolled: 1-line block ×4, first 2 shown]
	v_add_co_u32 v36, s15, v36, -1
	s_wait_alu 0xf1ff
	v_cndmask_b32_e64 v172, 0, 1, s15
	v_not_b32_e32 v176, v169
	v_cmp_gt_i32_e64 s15, 0, v169
	v_not_b32_e32 v169, v170
	v_lshlrev_b32_e32 v174, 26, v37
	v_cmp_ne_u32_e32 vcc_lo, 0, v172
	v_ashrrev_i32_e32 v176, 31, v176
	v_lshlrev_b32_e32 v175, 25, v37
	v_ashrrev_i32_e32 v169, 31, v169
	v_lshlrev_b32_e32 v172, 24, v37
	s_wait_alu 0xfffd
	v_xor_b32_e32 v36, vcc_lo, v36
	v_cmp_gt_i32_e32 vcc_lo, 0, v170
	v_not_b32_e32 v170, v171
	s_wait_alu 0xf1ff
	v_xor_b32_e32 v176, s15, v176
	v_cmp_gt_i32_e64 s15, 0, v171
	v_and_b32_e32 v36, exec_lo, v36
	v_not_b32_e32 v171, v173
	v_ashrrev_i32_e32 v170, 31, v170
	s_wait_alu 0xfffd
	v_xor_b32_e32 v169, vcc_lo, v169
	v_cmp_gt_i32_e32 vcc_lo, 0, v173
	v_and_b32_e32 v36, v36, v176
	v_not_b32_e32 v173, v174
	v_ashrrev_i32_e32 v171, 31, v171
	s_wait_alu 0xf1ff
	v_xor_b32_e32 v170, s15, v170
	v_cmp_gt_i32_e64 s15, 0, v174
	v_and_b32_e32 v36, v36, v169
	v_not_b32_e32 v169, v175
	v_ashrrev_i32_e32 v173, 31, v173
	s_wait_alu 0xfffd
	v_xor_b32_e32 v171, vcc_lo, v171
	v_cmp_gt_i32_e32 vcc_lo, 0, v175
	v_and_b32_e32 v36, v36, v170
	v_not_b32_e32 v170, v172
	v_ashrrev_i32_e32 v169, 31, v169
	s_wait_alu 0xf1ff
	v_xor_b32_e32 v173, s15, v173
	v_cmp_gt_i32_e64 s15, 0, v172
	v_and_b32_e32 v36, v36, v171
	v_ashrrev_i32_e32 v170, 31, v170
	s_wait_alu 0xfffd
	v_xor_b32_e32 v169, vcc_lo, v169
	v_mad_u32_u24 v171, v37, 36, v118
	v_mul_u32_u24_e32 v37, 36, v37
	v_and_b32_e32 v36, v36, v173
	s_wait_alu 0xf1ff
	v_xor_b32_e32 v170, s15, v170
	s_delay_alu instid0(VALU_DEP_2) | instskip(SKIP_3) | instid1(VALU_DEP_1)
	v_and_b32_e32 v36, v36, v169
	ds_load_b32 v169, v171 offset:1056
	v_add_nc_u32_e32 v171, v118, v37
	; wave barrier
	v_and_b32_e32 v36, v36, v170
	v_mbcnt_lo_u32_b32 v170, v36, 0
	v_cmp_ne_u32_e64 s15, 0, v36
	s_delay_alu instid0(VALU_DEP_2)
	v_cmp_eq_u32_e32 vcc_lo, 0, v170
	s_and_b32 s16, s15, vcc_lo
	s_wait_alu 0xfffe
	s_and_saveexec_b32 s15, s16
	s_cbranch_execz .LBB532_448
; %bb.447:                              ;   in Loop: Header=BB532_396 Depth=2
	s_wait_dscnt 0x0
	v_bcnt_u32_b32 v36, v36, v169
	ds_store_b32 v171, v36 offset:1056
.LBB532_448:                            ;   in Loop: Header=BB532_396 Depth=2
	s_wait_alu 0xfffe
	s_or_b32 exec_lo, exec_lo, s15
	v_xor_b32_e32 v167, 0x7fffffff, v167
	; wave barrier
	s_delay_alu instid0(VALU_DEP_1) | instskip(NEXT) | instid1(VALU_DEP_1)
	v_lshrrev_b32_e32 v36, s31, v167
	v_and_b32_e32 v37, s48, v36
	s_delay_alu instid0(VALU_DEP_1)
	v_and_b32_e32 v36, 1, v37
	v_lshlrev_b32_e32 v172, 30, v37
	v_lshlrev_b32_e32 v173, 29, v37
	v_lshlrev_b32_e32 v174, 28, v37
	v_lshlrev_b32_e32 v176, 27, v37
	v_add_co_u32 v36, s15, v36, -1
	s_wait_alu 0xf1ff
	v_cndmask_b32_e64 v175, 0, 1, s15
	v_not_b32_e32 v179, v172
	v_cmp_gt_i32_e64 s15, 0, v172
	v_not_b32_e32 v172, v173
	v_lshlrev_b32_e32 v177, 26, v37
	v_cmp_ne_u32_e32 vcc_lo, 0, v175
	v_ashrrev_i32_e32 v179, 31, v179
	v_lshlrev_b32_e32 v178, 25, v37
	v_ashrrev_i32_e32 v172, 31, v172
	v_lshlrev_b32_e32 v175, 24, v37
	s_wait_alu 0xfffd
	v_xor_b32_e32 v36, vcc_lo, v36
	v_cmp_gt_i32_e32 vcc_lo, 0, v173
	v_not_b32_e32 v173, v174
	s_wait_alu 0xf1ff
	v_xor_b32_e32 v179, s15, v179
	v_cmp_gt_i32_e64 s15, 0, v174
	v_and_b32_e32 v36, exec_lo, v36
	v_not_b32_e32 v174, v176
	v_ashrrev_i32_e32 v173, 31, v173
	s_wait_alu 0xfffd
	v_xor_b32_e32 v172, vcc_lo, v172
	v_cmp_gt_i32_e32 vcc_lo, 0, v176
	v_and_b32_e32 v36, v36, v179
	v_not_b32_e32 v176, v177
	v_ashrrev_i32_e32 v174, 31, v174
	s_wait_alu 0xf1ff
	v_xor_b32_e32 v173, s15, v173
	v_cmp_gt_i32_e64 s15, 0, v177
	v_and_b32_e32 v36, v36, v172
	v_not_b32_e32 v172, v178
	v_ashrrev_i32_e32 v176, 31, v176
	s_wait_alu 0xfffd
	v_xor_b32_e32 v174, vcc_lo, v174
	v_cmp_gt_i32_e32 vcc_lo, 0, v178
	v_and_b32_e32 v36, v36, v173
	v_not_b32_e32 v173, v175
	v_ashrrev_i32_e32 v172, 31, v172
	s_wait_alu 0xf1ff
	v_xor_b32_e32 v176, s15, v176
	v_cmp_gt_i32_e64 s15, 0, v175
	v_and_b32_e32 v36, v36, v174
	v_ashrrev_i32_e32 v173, 31, v173
	s_wait_alu 0xfffd
	v_xor_b32_e32 v172, vcc_lo, v172
	v_mad_u32_u24 v174, v37, 36, v118
	v_mul_u32_u24_e32 v37, 36, v37
	v_and_b32_e32 v36, v36, v176
	s_wait_alu 0xf1ff
	v_xor_b32_e32 v175, s15, v173
	ds_load_b32 v173, v174 offset:1056
	v_and_b32_e32 v36, v36, v172
	; wave barrier
	s_delay_alu instid0(VALU_DEP_1) | instskip(SKIP_1) | instid1(VALU_DEP_2)
	v_and_b32_e32 v36, v36, v175
	v_add_nc_u32_e32 v175, v118, v37
	v_mbcnt_lo_u32_b32 v174, v36, 0
	v_cmp_ne_u32_e64 s15, 0, v36
	s_delay_alu instid0(VALU_DEP_2)
	v_cmp_eq_u32_e32 vcc_lo, 0, v174
	s_and_b32 s16, s15, vcc_lo
	s_wait_alu 0xfffe
	s_and_saveexec_b32 s15, s16
	s_cbranch_execz .LBB532_450
; %bb.449:                              ;   in Loop: Header=BB532_396 Depth=2
	s_wait_dscnt 0x0
	v_bcnt_u32_b32 v36, v36, v173
	ds_store_b32 v175, v36 offset:1056
.LBB532_450:                            ;   in Loop: Header=BB532_396 Depth=2
	s_wait_alu 0xfffe
	s_or_b32 exec_lo, exec_lo, s15
	v_xor_b32_e32 v172, 0x7fffffff, v43
	; wave barrier
	s_delay_alu instid0(VALU_DEP_1) | instskip(NEXT) | instid1(VALU_DEP_1)
	v_lshrrev_b32_e32 v36, s31, v172
	v_and_b32_e32 v37, s48, v36
	s_delay_alu instid0(VALU_DEP_1)
	v_and_b32_e32 v36, 1, v37
	v_lshlrev_b32_e32 v43, 30, v37
	v_lshlrev_b32_e32 v176, 29, v37
	;; [unrolled: 1-line block ×4, first 2 shown]
	v_add_co_u32 v36, s15, v36, -1
	s_wait_alu 0xf1ff
	v_cndmask_b32_e64 v178, 0, 1, s15
	v_not_b32_e32 v182, v43
	v_cmp_gt_i32_e64 s15, 0, v43
	v_not_b32_e32 v43, v176
	v_lshlrev_b32_e32 v180, 26, v37
	v_cmp_ne_u32_e32 vcc_lo, 0, v178
	v_ashrrev_i32_e32 v182, 31, v182
	v_lshlrev_b32_e32 v181, 25, v37
	v_ashrrev_i32_e32 v43, 31, v43
	v_lshlrev_b32_e32 v178, 24, v37
	s_wait_alu 0xfffd
	v_xor_b32_e32 v36, vcc_lo, v36
	v_cmp_gt_i32_e32 vcc_lo, 0, v176
	v_not_b32_e32 v176, v177
	s_wait_alu 0xf1ff
	v_xor_b32_e32 v182, s15, v182
	v_cmp_gt_i32_e64 s15, 0, v177
	v_and_b32_e32 v36, exec_lo, v36
	v_not_b32_e32 v177, v179
	v_ashrrev_i32_e32 v176, 31, v176
	s_wait_alu 0xfffd
	v_xor_b32_e32 v43, vcc_lo, v43
	v_cmp_gt_i32_e32 vcc_lo, 0, v179
	v_and_b32_e32 v36, v36, v182
	v_not_b32_e32 v179, v180
	v_ashrrev_i32_e32 v177, 31, v177
	s_wait_alu 0xf1ff
	v_xor_b32_e32 v176, s15, v176
	v_cmp_gt_i32_e64 s15, 0, v180
	v_and_b32_e32 v36, v36, v43
	v_not_b32_e32 v43, v181
	v_ashrrev_i32_e32 v179, 31, v179
	s_wait_alu 0xfffd
	v_xor_b32_e32 v177, vcc_lo, v177
	v_cmp_gt_i32_e32 vcc_lo, 0, v181
	v_and_b32_e32 v36, v36, v176
	v_not_b32_e32 v176, v178
	v_ashrrev_i32_e32 v43, 31, v43
	s_wait_alu 0xf1ff
	v_xor_b32_e32 v179, s15, v179
	v_cmp_gt_i32_e64 s15, 0, v178
	v_and_b32_e32 v36, v36, v177
	v_ashrrev_i32_e32 v176, 31, v176
	s_wait_alu 0xfffd
	v_xor_b32_e32 v43, vcc_lo, v43
	v_mad_u32_u24 v177, v37, 36, v118
	v_mul_u32_u24_e32 v37, 36, v37
	v_and_b32_e32 v36, v36, v179
	s_wait_alu 0xf1ff
	v_xor_b32_e32 v176, s15, v176
	ds_load_b32 v177, v177 offset:1056
	v_add_nc_u32_e32 v179, v118, v37
	v_and_b32_e32 v36, v36, v43
	; wave barrier
	s_delay_alu instid0(VALU_DEP_1) | instskip(NEXT) | instid1(VALU_DEP_1)
	v_and_b32_e32 v36, v36, v176
	v_mbcnt_lo_u32_b32 v178, v36, 0
	v_cmp_ne_u32_e64 s15, 0, v36
	s_delay_alu instid0(VALU_DEP_2)
	v_cmp_eq_u32_e32 vcc_lo, 0, v178
	s_and_b32 s16, s15, vcc_lo
	s_wait_alu 0xfffe
	s_and_saveexec_b32 s15, s16
	s_cbranch_execz .LBB532_452
; %bb.451:                              ;   in Loop: Header=BB532_396 Depth=2
	s_wait_dscnt 0x0
	v_bcnt_u32_b32 v36, v36, v177
	ds_store_b32 v179, v36 offset:1056
.LBB532_452:                            ;   in Loop: Header=BB532_396 Depth=2
	s_wait_alu 0xfffe
	s_or_b32 exec_lo, exec_lo, s15
	v_xor_b32_e32 v176, 0x7fffffff, v42
	; wave barrier
	s_delay_alu instid0(VALU_DEP_1) | instskip(NEXT) | instid1(VALU_DEP_1)
	v_lshrrev_b32_e32 v36, s31, v176
	v_and_b32_e32 v37, s48, v36
	s_delay_alu instid0(VALU_DEP_1)
	v_and_b32_e32 v36, 1, v37
	v_lshlrev_b32_e32 v42, 30, v37
	v_lshlrev_b32_e32 v43, 29, v37
	;; [unrolled: 1-line block ×4, first 2 shown]
	v_add_co_u32 v36, s15, v36, -1
	s_wait_alu 0xf1ff
	v_cndmask_b32_e64 v181, 0, 1, s15
	v_not_b32_e32 v185, v42
	v_cmp_gt_i32_e64 s15, 0, v42
	v_not_b32_e32 v42, v43
	v_lshlrev_b32_e32 v183, 26, v37
	v_cmp_ne_u32_e32 vcc_lo, 0, v181
	v_ashrrev_i32_e32 v185, 31, v185
	v_lshlrev_b32_e32 v184, 25, v37
	v_ashrrev_i32_e32 v42, 31, v42
	v_lshlrev_b32_e32 v181, 24, v37
	s_wait_alu 0xfffd
	v_xor_b32_e32 v36, vcc_lo, v36
	v_cmp_gt_i32_e32 vcc_lo, 0, v43
	v_not_b32_e32 v43, v180
	s_wait_alu 0xf1ff
	v_xor_b32_e32 v185, s15, v185
	v_cmp_gt_i32_e64 s15, 0, v180
	v_and_b32_e32 v36, exec_lo, v36
	v_not_b32_e32 v180, v182
	v_ashrrev_i32_e32 v43, 31, v43
	s_wait_alu 0xfffd
	v_xor_b32_e32 v42, vcc_lo, v42
	v_cmp_gt_i32_e32 vcc_lo, 0, v182
	v_and_b32_e32 v36, v36, v185
	v_not_b32_e32 v182, v183
	v_ashrrev_i32_e32 v180, 31, v180
	s_wait_alu 0xf1ff
	v_xor_b32_e32 v43, s15, v43
	v_cmp_gt_i32_e64 s15, 0, v183
	v_and_b32_e32 v36, v36, v42
	v_not_b32_e32 v42, v184
	v_ashrrev_i32_e32 v182, 31, v182
	s_wait_alu 0xfffd
	v_xor_b32_e32 v180, vcc_lo, v180
	v_cmp_gt_i32_e32 vcc_lo, 0, v184
	v_and_b32_e32 v36, v36, v43
	v_not_b32_e32 v43, v181
	v_ashrrev_i32_e32 v42, 31, v42
	s_wait_alu 0xf1ff
	v_xor_b32_e32 v182, s15, v182
	v_cmp_gt_i32_e64 s15, 0, v181
	v_and_b32_e32 v36, v36, v180
	v_ashrrev_i32_e32 v43, 31, v43
	s_wait_alu 0xfffd
	v_xor_b32_e32 v42, vcc_lo, v42
	v_mad_u32_u24 v180, v37, 36, v118
	v_mul_u32_u24_e32 v37, 36, v37
	v_and_b32_e32 v36, v36, v182
	s_wait_alu 0xf1ff
	v_xor_b32_e32 v43, s15, v43
	ds_load_b32 v181, v180 offset:1056
	v_add_nc_u32_e32 v183, v118, v37
	v_and_b32_e32 v36, v36, v42
	; wave barrier
	s_delay_alu instid0(VALU_DEP_1) | instskip(NEXT) | instid1(VALU_DEP_1)
	v_and_b32_e32 v36, v36, v43
	v_mbcnt_lo_u32_b32 v182, v36, 0
	v_cmp_ne_u32_e64 s15, 0, v36
	s_delay_alu instid0(VALU_DEP_2)
	v_cmp_eq_u32_e32 vcc_lo, 0, v182
	s_and_b32 s16, s15, vcc_lo
	s_wait_alu 0xfffe
	s_and_saveexec_b32 s15, s16
	s_cbranch_execz .LBB532_454
; %bb.453:                              ;   in Loop: Header=BB532_396 Depth=2
	s_wait_dscnt 0x0
	v_bcnt_u32_b32 v36, v36, v181
	ds_store_b32 v183, v36 offset:1056
.LBB532_454:                            ;   in Loop: Header=BB532_396 Depth=2
	s_wait_alu 0xfffe
	s_or_b32 exec_lo, exec_lo, s15
	v_xor_b32_e32 v180, 0x7fffffff, v41
	; wave barrier
	s_delay_alu instid0(VALU_DEP_1) | instskip(NEXT) | instid1(VALU_DEP_1)
	v_lshrrev_b32_e32 v36, s31, v180
	v_and_b32_e32 v37, s48, v36
	s_delay_alu instid0(VALU_DEP_1)
	v_and_b32_e32 v36, 1, v37
	v_lshlrev_b32_e32 v41, 30, v37
	v_lshlrev_b32_e32 v42, 29, v37
	;; [unrolled: 1-line block ×4, first 2 shown]
	v_add_co_u32 v36, s15, v36, -1
	s_wait_alu 0xf1ff
	v_cndmask_b32_e64 v184, 0, 1, s15
	v_not_b32_e32 v188, v41
	v_cmp_gt_i32_e64 s15, 0, v41
	v_not_b32_e32 v41, v42
	v_lshlrev_b32_e32 v186, 26, v37
	v_cmp_ne_u32_e32 vcc_lo, 0, v184
	v_ashrrev_i32_e32 v188, 31, v188
	v_lshlrev_b32_e32 v187, 25, v37
	v_ashrrev_i32_e32 v41, 31, v41
	v_lshlrev_b32_e32 v184, 24, v37
	s_wait_alu 0xfffd
	v_xor_b32_e32 v36, vcc_lo, v36
	v_cmp_gt_i32_e32 vcc_lo, 0, v42
	v_not_b32_e32 v42, v43
	s_wait_alu 0xf1ff
	v_xor_b32_e32 v188, s15, v188
	v_cmp_gt_i32_e64 s15, 0, v43
	v_and_b32_e32 v36, exec_lo, v36
	v_not_b32_e32 v43, v185
	v_ashrrev_i32_e32 v42, 31, v42
	s_wait_alu 0xfffd
	v_xor_b32_e32 v41, vcc_lo, v41
	v_cmp_gt_i32_e32 vcc_lo, 0, v185
	v_and_b32_e32 v36, v36, v188
	v_not_b32_e32 v185, v186
	v_ashrrev_i32_e32 v43, 31, v43
	s_wait_alu 0xf1ff
	v_xor_b32_e32 v42, s15, v42
	v_cmp_gt_i32_e64 s15, 0, v186
	v_and_b32_e32 v36, v36, v41
	v_not_b32_e32 v41, v187
	v_ashrrev_i32_e32 v185, 31, v185
	s_wait_alu 0xfffd
	v_xor_b32_e32 v43, vcc_lo, v43
	v_cmp_gt_i32_e32 vcc_lo, 0, v187
	v_and_b32_e32 v36, v36, v42
	v_not_b32_e32 v42, v184
	v_ashrrev_i32_e32 v41, 31, v41
	s_wait_alu 0xf1ff
	v_xor_b32_e32 v185, s15, v185
	v_cmp_gt_i32_e64 s15, 0, v184
	v_and_b32_e32 v36, v36, v43
	v_ashrrev_i32_e32 v42, 31, v42
	s_wait_alu 0xfffd
	v_xor_b32_e32 v41, vcc_lo, v41
	v_mad_u32_u24 v43, v37, 36, v118
	v_mul_u32_u24_e32 v37, 36, v37
	v_and_b32_e32 v36, v36, v185
	s_wait_alu 0xf1ff
	v_xor_b32_e32 v42, s15, v42
	ds_load_b32 v185, v43 offset:1056
	v_add_nc_u32_e32 v187, v118, v37
	v_and_b32_e32 v36, v36, v41
	; wave barrier
	s_delay_alu instid0(VALU_DEP_1) | instskip(NEXT) | instid1(VALU_DEP_1)
	v_and_b32_e32 v36, v36, v42
	v_mbcnt_lo_u32_b32 v186, v36, 0
	v_cmp_ne_u32_e64 s15, 0, v36
	s_delay_alu instid0(VALU_DEP_2)
	v_cmp_eq_u32_e32 vcc_lo, 0, v186
	s_and_b32 s16, s15, vcc_lo
	s_wait_alu 0xfffe
	s_and_saveexec_b32 s15, s16
	s_cbranch_execz .LBB532_456
; %bb.455:                              ;   in Loop: Header=BB532_396 Depth=2
	s_wait_dscnt 0x0
	v_bcnt_u32_b32 v36, v36, v185
	ds_store_b32 v187, v36 offset:1056
.LBB532_456:                            ;   in Loop: Header=BB532_396 Depth=2
	s_wait_alu 0xfffe
	s_or_b32 exec_lo, exec_lo, s15
	v_xor_b32_e32 v184, 0x7fffffff, v40
	; wave barrier
	s_delay_alu instid0(VALU_DEP_1) | instskip(NEXT) | instid1(VALU_DEP_1)
	v_lshrrev_b32_e32 v36, s31, v184
	v_and_b32_e32 v37, s48, v36
	s_delay_alu instid0(VALU_DEP_1)
	v_and_b32_e32 v36, 1, v37
	v_lshlrev_b32_e32 v40, 30, v37
	v_lshlrev_b32_e32 v41, 29, v37
	;; [unrolled: 1-line block ×4, first 2 shown]
	v_add_co_u32 v36, s15, v36, -1
	s_wait_alu 0xf1ff
	v_cndmask_b32_e64 v43, 0, 1, s15
	v_not_b32_e32 v191, v40
	v_cmp_gt_i32_e64 s15, 0, v40
	v_not_b32_e32 v40, v41
	v_lshlrev_b32_e32 v189, 26, v37
	v_cmp_ne_u32_e32 vcc_lo, 0, v43
	v_ashrrev_i32_e32 v191, 31, v191
	v_lshlrev_b32_e32 v190, 25, v37
	v_ashrrev_i32_e32 v40, 31, v40
	v_lshlrev_b32_e32 v43, 24, v37
	s_wait_alu 0xfffd
	v_xor_b32_e32 v36, vcc_lo, v36
	v_cmp_gt_i32_e32 vcc_lo, 0, v41
	v_not_b32_e32 v41, v42
	s_wait_alu 0xf1ff
	v_xor_b32_e32 v191, s15, v191
	v_cmp_gt_i32_e64 s15, 0, v42
	v_and_b32_e32 v36, exec_lo, v36
	v_not_b32_e32 v42, v188
	v_ashrrev_i32_e32 v41, 31, v41
	s_wait_alu 0xfffd
	v_xor_b32_e32 v40, vcc_lo, v40
	v_cmp_gt_i32_e32 vcc_lo, 0, v188
	v_and_b32_e32 v36, v36, v191
	v_not_b32_e32 v188, v189
	v_ashrrev_i32_e32 v42, 31, v42
	s_wait_alu 0xf1ff
	v_xor_b32_e32 v41, s15, v41
	v_cmp_gt_i32_e64 s15, 0, v189
	v_and_b32_e32 v36, v36, v40
	v_not_b32_e32 v40, v190
	v_ashrrev_i32_e32 v188, 31, v188
	s_wait_alu 0xfffd
	v_xor_b32_e32 v42, vcc_lo, v42
	v_cmp_gt_i32_e32 vcc_lo, 0, v190
	v_and_b32_e32 v36, v36, v41
	v_not_b32_e32 v41, v43
	v_ashrrev_i32_e32 v40, 31, v40
	s_wait_alu 0xf1ff
	v_xor_b32_e32 v188, s15, v188
	v_cmp_gt_i32_e64 s15, 0, v43
	v_and_b32_e32 v36, v36, v42
	v_ashrrev_i32_e32 v41, 31, v41
	s_wait_alu 0xfffd
	v_xor_b32_e32 v40, vcc_lo, v40
	v_mad_u32_u24 v42, v37, 36, v118
	v_mul_u32_u24_e32 v37, 36, v37
	v_and_b32_e32 v36, v36, v188
	s_wait_alu 0xf1ff
	v_xor_b32_e32 v41, s15, v41
	ds_load_b32 v189, v42 offset:1056
	v_add_nc_u32_e32 v191, v118, v37
	v_and_b32_e32 v36, v36, v40
	; wave barrier
	s_delay_alu instid0(VALU_DEP_1) | instskip(NEXT) | instid1(VALU_DEP_1)
	v_and_b32_e32 v36, v36, v41
	v_mbcnt_lo_u32_b32 v190, v36, 0
	v_cmp_ne_u32_e64 s15, 0, v36
	s_delay_alu instid0(VALU_DEP_2)
	v_cmp_eq_u32_e32 vcc_lo, 0, v190
	s_and_b32 s16, s15, vcc_lo
	s_wait_alu 0xfffe
	s_and_saveexec_b32 s15, s16
	s_cbranch_execz .LBB532_458
; %bb.457:                              ;   in Loop: Header=BB532_396 Depth=2
	s_wait_dscnt 0x0
	v_bcnt_u32_b32 v36, v36, v189
	ds_store_b32 v191, v36 offset:1056
.LBB532_458:                            ;   in Loop: Header=BB532_396 Depth=2
	s_wait_alu 0xfffe
	s_or_b32 exec_lo, exec_lo, s15
	v_xor_b32_e32 v188, 0x7fffffff, v39
	; wave barrier
	s_delay_alu instid0(VALU_DEP_1) | instskip(NEXT) | instid1(VALU_DEP_1)
	v_lshrrev_b32_e32 v36, s31, v188
	v_and_b32_e32 v37, s48, v36
	s_delay_alu instid0(VALU_DEP_1)
	v_and_b32_e32 v36, 1, v37
	v_lshlrev_b32_e32 v39, 30, v37
	v_lshlrev_b32_e32 v40, 29, v37
	;; [unrolled: 1-line block ×4, first 2 shown]
	v_add_co_u32 v36, s15, v36, -1
	s_wait_alu 0xf1ff
	v_cndmask_b32_e64 v42, 0, 1, s15
	v_not_b32_e32 v194, v39
	v_cmp_gt_i32_e64 s15, 0, v39
	v_not_b32_e32 v39, v40
	v_lshlrev_b32_e32 v192, 26, v37
	v_cmp_ne_u32_e32 vcc_lo, 0, v42
	v_ashrrev_i32_e32 v194, 31, v194
	v_lshlrev_b32_e32 v193, 25, v37
	v_ashrrev_i32_e32 v39, 31, v39
	v_lshlrev_b32_e32 v42, 24, v37
	s_wait_alu 0xfffd
	v_xor_b32_e32 v36, vcc_lo, v36
	v_cmp_gt_i32_e32 vcc_lo, 0, v40
	v_not_b32_e32 v40, v41
	s_wait_alu 0xf1ff
	v_xor_b32_e32 v194, s15, v194
	v_cmp_gt_i32_e64 s15, 0, v41
	v_and_b32_e32 v36, exec_lo, v36
	v_not_b32_e32 v41, v43
	v_ashrrev_i32_e32 v40, 31, v40
	s_wait_alu 0xfffd
	v_xor_b32_e32 v39, vcc_lo, v39
	v_cmp_gt_i32_e32 vcc_lo, 0, v43
	v_and_b32_e32 v36, v36, v194
	v_not_b32_e32 v43, v192
	v_ashrrev_i32_e32 v41, 31, v41
	s_wait_alu 0xf1ff
	v_xor_b32_e32 v40, s15, v40
	v_cmp_gt_i32_e64 s15, 0, v192
	v_and_b32_e32 v36, v36, v39
	v_not_b32_e32 v39, v193
	v_ashrrev_i32_e32 v43, 31, v43
	s_wait_alu 0xfffd
	v_xor_b32_e32 v41, vcc_lo, v41
	v_cmp_gt_i32_e32 vcc_lo, 0, v193
	v_and_b32_e32 v36, v36, v40
	v_not_b32_e32 v40, v42
	v_ashrrev_i32_e32 v39, 31, v39
	s_wait_alu 0xf1ff
	v_xor_b32_e32 v43, s15, v43
	v_cmp_gt_i32_e64 s15, 0, v42
	v_and_b32_e32 v36, v36, v41
	v_ashrrev_i32_e32 v40, 31, v40
	s_wait_alu 0xfffd
	v_xor_b32_e32 v39, vcc_lo, v39
	v_mad_u32_u24 v41, v37, 36, v118
	v_mul_u32_u24_e32 v37, 36, v37
	v_and_b32_e32 v36, v36, v43
	s_wait_alu 0xf1ff
	v_xor_b32_e32 v40, s15, v40
	ds_load_b32 v193, v41 offset:1056
	v_add_nc_u32_e32 v195, v118, v37
	v_and_b32_e32 v36, v36, v39
	; wave barrier
	s_delay_alu instid0(VALU_DEP_1) | instskip(NEXT) | instid1(VALU_DEP_1)
	v_and_b32_e32 v36, v36, v40
	v_mbcnt_lo_u32_b32 v194, v36, 0
	v_cmp_ne_u32_e64 s15, 0, v36
	s_delay_alu instid0(VALU_DEP_2)
	v_cmp_eq_u32_e32 vcc_lo, 0, v194
	s_and_b32 s16, s15, vcc_lo
	s_wait_alu 0xfffe
	s_and_saveexec_b32 s15, s16
	s_cbranch_execz .LBB532_460
; %bb.459:                              ;   in Loop: Header=BB532_396 Depth=2
	s_wait_dscnt 0x0
	v_bcnt_u32_b32 v36, v36, v193
	ds_store_b32 v195, v36 offset:1056
.LBB532_460:                            ;   in Loop: Header=BB532_396 Depth=2
	s_wait_alu 0xfffe
	s_or_b32 exec_lo, exec_lo, s15
	v_xor_b32_e32 v192, 0x7fffffff, v38
	; wave barrier
	s_delay_alu instid0(VALU_DEP_1) | instskip(NEXT) | instid1(VALU_DEP_1)
	v_lshrrev_b32_e32 v36, s31, v192
	v_and_b32_e32 v37, s48, v36
	s_delay_alu instid0(VALU_DEP_1)
	v_and_b32_e32 v36, 1, v37
	v_lshlrev_b32_e32 v38, 30, v37
	v_lshlrev_b32_e32 v39, 29, v37
	;; [unrolled: 1-line block ×4, first 2 shown]
	v_add_co_u32 v36, s15, v36, -1
	s_wait_alu 0xf1ff
	v_cndmask_b32_e64 v41, 0, 1, s15
	v_not_b32_e32 v197, v38
	v_cmp_gt_i32_e64 s15, 0, v38
	v_not_b32_e32 v38, v39
	v_lshlrev_b32_e32 v43, 26, v37
	v_cmp_ne_u32_e32 vcc_lo, 0, v41
	v_ashrrev_i32_e32 v197, 31, v197
	v_lshlrev_b32_e32 v196, 25, v37
	v_ashrrev_i32_e32 v38, 31, v38
	v_lshlrev_b32_e32 v41, 24, v37
	s_wait_alu 0xfffd
	v_xor_b32_e32 v36, vcc_lo, v36
	v_cmp_gt_i32_e32 vcc_lo, 0, v39
	v_not_b32_e32 v39, v40
	s_wait_alu 0xf1ff
	v_xor_b32_e32 v197, s15, v197
	v_cmp_gt_i32_e64 s15, 0, v40
	v_and_b32_e32 v36, exec_lo, v36
	v_not_b32_e32 v40, v42
	v_ashrrev_i32_e32 v39, 31, v39
	s_wait_alu 0xfffd
	v_xor_b32_e32 v38, vcc_lo, v38
	v_cmp_gt_i32_e32 vcc_lo, 0, v42
	v_and_b32_e32 v36, v36, v197
	v_not_b32_e32 v42, v43
	v_ashrrev_i32_e32 v40, 31, v40
	s_wait_alu 0xf1ff
	v_xor_b32_e32 v39, s15, v39
	v_cmp_gt_i32_e64 s15, 0, v43
	v_and_b32_e32 v36, v36, v38
	v_not_b32_e32 v38, v196
	v_ashrrev_i32_e32 v42, 31, v42
	s_wait_alu 0xfffd
	v_xor_b32_e32 v40, vcc_lo, v40
	v_cmp_gt_i32_e32 vcc_lo, 0, v196
	v_and_b32_e32 v36, v36, v39
	v_not_b32_e32 v39, v41
	v_ashrrev_i32_e32 v38, 31, v38
	s_wait_alu 0xf1ff
	v_xor_b32_e32 v42, s15, v42
	v_cmp_gt_i32_e64 s15, 0, v41
	v_and_b32_e32 v36, v36, v40
	v_ashrrev_i32_e32 v39, 31, v39
	s_wait_alu 0xfffd
	v_xor_b32_e32 v38, vcc_lo, v38
	v_mad_u32_u24 v40, v37, 36, v118
	v_mul_u32_u24_e32 v37, 36, v37
	v_and_b32_e32 v36, v36, v42
	s_wait_alu 0xf1ff
	v_xor_b32_e32 v39, s15, v39
	ds_load_b32 v196, v40 offset:1056
	v_add_nc_u32_e32 v198, v118, v37
	v_and_b32_e32 v36, v36, v38
	; wave barrier
	s_delay_alu instid0(VALU_DEP_1) | instskip(NEXT) | instid1(VALU_DEP_1)
	v_and_b32_e32 v36, v36, v39
	v_mbcnt_lo_u32_b32 v197, v36, 0
	v_cmp_ne_u32_e64 s15, 0, v36
	s_delay_alu instid0(VALU_DEP_2)
	v_cmp_eq_u32_e32 vcc_lo, 0, v197
	s_and_b32 s16, s15, vcc_lo
	s_wait_alu 0xfffe
	s_and_saveexec_b32 s15, s16
	s_cbranch_execz .LBB532_462
; %bb.461:                              ;   in Loop: Header=BB532_396 Depth=2
	s_wait_dscnt 0x0
	v_bcnt_u32_b32 v36, v36, v196
	ds_store_b32 v198, v36 offset:1056
.LBB532_462:                            ;   in Loop: Header=BB532_396 Depth=2
	s_wait_alu 0xfffe
	s_or_b32 exec_lo, exec_lo, s15
	v_lshrrev_b32_e32 v36, s31, v2
	; wave barrier
	s_delay_alu instid0(VALU_DEP_1) | instskip(NEXT) | instid1(VALU_DEP_1)
	v_and_b32_e32 v37, s48, v36
	v_and_b32_e32 v36, 1, v37
	v_lshlrev_b32_e32 v38, 30, v37
	v_lshlrev_b32_e32 v39, 29, v37
	;; [unrolled: 1-line block ×4, first 2 shown]
	v_add_co_u32 v36, s15, v36, -1
	s_wait_alu 0xf1ff
	v_cndmask_b32_e64 v41, 0, 1, s15
	v_not_b32_e32 v200, v38
	v_cmp_gt_i32_e64 s15, 0, v38
	v_not_b32_e32 v38, v39
	v_lshlrev_b32_e32 v43, 26, v37
	v_cmp_ne_u32_e32 vcc_lo, 0, v41
	v_ashrrev_i32_e32 v200, 31, v200
	v_lshlrev_b32_e32 v199, 25, v37
	v_ashrrev_i32_e32 v38, 31, v38
	v_lshlrev_b32_e32 v41, 24, v37
	s_wait_alu 0xfffd
	v_xor_b32_e32 v36, vcc_lo, v36
	v_cmp_gt_i32_e32 vcc_lo, 0, v39
	v_not_b32_e32 v39, v40
	s_wait_alu 0xf1ff
	v_xor_b32_e32 v200, s15, v200
	v_cmp_gt_i32_e64 s15, 0, v40
	v_and_b32_e32 v36, exec_lo, v36
	v_not_b32_e32 v40, v42
	v_ashrrev_i32_e32 v39, 31, v39
	s_wait_alu 0xfffd
	v_xor_b32_e32 v38, vcc_lo, v38
	v_cmp_gt_i32_e32 vcc_lo, 0, v42
	v_and_b32_e32 v36, v36, v200
	v_not_b32_e32 v42, v43
	v_ashrrev_i32_e32 v40, 31, v40
	s_wait_alu 0xf1ff
	v_xor_b32_e32 v39, s15, v39
	v_cmp_gt_i32_e64 s15, 0, v43
	v_and_b32_e32 v36, v36, v38
	v_not_b32_e32 v38, v199
	v_ashrrev_i32_e32 v42, 31, v42
	s_wait_alu 0xfffd
	v_xor_b32_e32 v40, vcc_lo, v40
	v_cmp_gt_i32_e32 vcc_lo, 0, v199
	v_and_b32_e32 v36, v36, v39
	v_not_b32_e32 v39, v41
	v_ashrrev_i32_e32 v38, 31, v38
	s_wait_alu 0xf1ff
	v_xor_b32_e32 v42, s15, v42
	v_cmp_gt_i32_e64 s15, 0, v41
	v_and_b32_e32 v36, v36, v40
	v_ashrrev_i32_e32 v39, 31, v39
	s_wait_alu 0xfffd
	v_xor_b32_e32 v38, vcc_lo, v38
	v_mad_u32_u24 v40, v37, 36, v118
	v_mul_u32_u24_e32 v37, 36, v37
	v_and_b32_e32 v36, v36, v42
	s_wait_alu 0xf1ff
	v_xor_b32_e32 v39, s15, v39
	ds_load_b32 v199, v40 offset:1056
	v_add_nc_u32_e32 v201, v118, v37
	v_and_b32_e32 v36, v36, v38
	; wave barrier
	s_delay_alu instid0(VALU_DEP_1) | instskip(NEXT) | instid1(VALU_DEP_1)
	v_and_b32_e32 v36, v36, v39
	v_mbcnt_lo_u32_b32 v200, v36, 0
	v_cmp_ne_u32_e64 s15, 0, v36
	s_delay_alu instid0(VALU_DEP_2)
	v_cmp_eq_u32_e32 vcc_lo, 0, v200
	s_and_b32 s16, s15, vcc_lo
	s_wait_alu 0xfffe
	s_and_saveexec_b32 s15, s16
	s_cbranch_execz .LBB532_464
; %bb.463:                              ;   in Loop: Header=BB532_396 Depth=2
	s_wait_dscnt 0x0
	v_bcnt_u32_b32 v36, v36, v199
	ds_store_b32 v201, v36 offset:1056
.LBB532_464:                            ;   in Loop: Header=BB532_396 Depth=2
	s_wait_alu 0xfffe
	s_or_b32 exec_lo, exec_lo, s15
	; wave barrier
	s_wait_loadcnt_dscnt 0x0
	s_barrier_signal -1
	s_barrier_wait -1
	global_inv scope:SCOPE_SE
	ds_load_2addr_b32 v[42:43], v140 offset1:1
	ds_load_2addr_b32 v[40:41], v141 offset1:1
	;; [unrolled: 1-line block ×4, first 2 shown]
	ds_load_b32 v202, v67 offset:1088
	s_wait_dscnt 0x3
	v_add3_u32 v203, v43, v42, v40
	s_wait_dscnt 0x2
	s_delay_alu instid0(VALU_DEP_1) | instskip(SKIP_1) | instid1(VALU_DEP_1)
	v_add3_u32 v203, v203, v41, v38
	s_wait_dscnt 0x1
	v_add3_u32 v203, v203, v39, v36
	s_wait_dscnt 0x0
	s_delay_alu instid0(VALU_DEP_1) | instskip(NEXT) | instid1(VALU_DEP_1)
	v_add3_u32 v202, v203, v37, v202
	v_mov_b32_dpp v203, v202 row_shr:1 row_mask:0xf bank_mask:0xf
	s_delay_alu instid0(VALU_DEP_1) | instskip(NEXT) | instid1(VALU_DEP_1)
	v_cndmask_b32_e64 v203, v203, 0, s0
	v_add_nc_u32_e32 v202, v203, v202
	s_delay_alu instid0(VALU_DEP_1) | instskip(NEXT) | instid1(VALU_DEP_1)
	v_mov_b32_dpp v203, v202 row_shr:2 row_mask:0xf bank_mask:0xf
	v_cndmask_b32_e64 v203, 0, v203, s1
	s_delay_alu instid0(VALU_DEP_1) | instskip(NEXT) | instid1(VALU_DEP_1)
	v_add_nc_u32_e32 v202, v202, v203
	v_mov_b32_dpp v203, v202 row_shr:4 row_mask:0xf bank_mask:0xf
	s_delay_alu instid0(VALU_DEP_1) | instskip(NEXT) | instid1(VALU_DEP_1)
	v_cndmask_b32_e64 v203, 0, v203, s9
	v_add_nc_u32_e32 v202, v202, v203
	s_delay_alu instid0(VALU_DEP_1) | instskip(NEXT) | instid1(VALU_DEP_1)
	v_mov_b32_dpp v203, v202 row_shr:8 row_mask:0xf bank_mask:0xf
	v_cndmask_b32_e64 v203, 0, v203, s10
	s_delay_alu instid0(VALU_DEP_1) | instskip(SKIP_3) | instid1(VALU_DEP_1)
	v_add_nc_u32_e32 v202, v202, v203
	ds_swizzle_b32 v203, v202 offset:swizzle(BROADCAST,32,15)
	s_wait_dscnt 0x0
	v_cndmask_b32_e64 v203, v203, 0, s11
	v_add_nc_u32_e32 v202, v202, v203
	s_and_saveexec_b32 s15, s3
; %bb.465:                              ;   in Loop: Header=BB532_396 Depth=2
	ds_store_b32 v63, v202 offset:1024
; %bb.466:                              ;   in Loop: Header=BB532_396 Depth=2
	s_wait_alu 0xfffe
	s_or_b32 exec_lo, exec_lo, s15
	s_wait_loadcnt_dscnt 0x0
	s_barrier_signal -1
	s_barrier_wait -1
	global_inv scope:SCOPE_SE
	s_and_saveexec_b32 s15, s4
	s_cbranch_execz .LBB532_468
; %bb.467:                              ;   in Loop: Header=BB532_396 Depth=2
	ds_load_b32 v203, v70 offset:1024
	s_wait_dscnt 0x0
	v_mov_b32_dpp v204, v203 row_shr:1 row_mask:0xf bank_mask:0xf
	s_delay_alu instid0(VALU_DEP_1) | instskip(NEXT) | instid1(VALU_DEP_1)
	v_cndmask_b32_e64 v204, v204, 0, s12
	v_add_nc_u32_e32 v203, v204, v203
	s_delay_alu instid0(VALU_DEP_1) | instskip(NEXT) | instid1(VALU_DEP_1)
	v_mov_b32_dpp v204, v203 row_shr:2 row_mask:0xf bank_mask:0xf
	v_cndmask_b32_e64 v204, 0, v204, s13
	s_delay_alu instid0(VALU_DEP_1) | instskip(NEXT) | instid1(VALU_DEP_1)
	v_add_nc_u32_e32 v203, v203, v204
	v_mov_b32_dpp v204, v203 row_shr:4 row_mask:0xf bank_mask:0xf
	s_delay_alu instid0(VALU_DEP_1) | instskip(NEXT) | instid1(VALU_DEP_1)
	v_cndmask_b32_e64 v204, 0, v204, s14
	v_add_nc_u32_e32 v203, v203, v204
	ds_store_b32 v70, v203 offset:1024
.LBB532_468:                            ;   in Loop: Header=BB532_396 Depth=2
	s_wait_alu 0xfffe
	s_or_b32 exec_lo, exec_lo, s15
	v_mov_b32_e32 v203, 0
	s_wait_loadcnt_dscnt 0x0
	s_barrier_signal -1
	s_barrier_wait -1
	global_inv scope:SCOPE_SE
	s_and_saveexec_b32 s15, s5
; %bb.469:                              ;   in Loop: Header=BB532_396 Depth=2
	ds_load_b32 v203, v63 offset:1020
; %bb.470:                              ;   in Loop: Header=BB532_396 Depth=2
	s_wait_alu 0xfffe
	s_or_b32 exec_lo, exec_lo, s15
	s_wait_dscnt 0x0
	v_add_nc_u32_e32 v202, v203, v202
	ds_bpermute_b32 v202, v113, v202
	s_wait_dscnt 0x0
	v_cndmask_b32_e64 v202, v202, v203, s8
	s_delay_alu instid0(VALU_DEP_1) | instskip(NEXT) | instid1(VALU_DEP_1)
	v_cndmask_b32_e64 v202, v202, 0, s6
	v_add_nc_u32_e32 v42, v202, v42
	s_delay_alu instid0(VALU_DEP_1) | instskip(NEXT) | instid1(VALU_DEP_1)
	v_add_nc_u32_e32 v43, v42, v43
	v_add_nc_u32_e32 v40, v43, v40
	s_delay_alu instid0(VALU_DEP_1) | instskip(NEXT) | instid1(VALU_DEP_1)
	v_add_nc_u32_e32 v41, v40, v41
	;; [unrolled: 3-line block ×3, first 2 shown]
	v_add_nc_u32_e32 v36, v39, v36
	s_delay_alu instid0(VALU_DEP_1)
	v_add_nc_u32_e32 v37, v36, v37
	ds_store_2addr_b32 v139, v39, v36 offset1:1
	ds_store_2addr_b32 v140, v202, v42 offset1:1
	;; [unrolled: 1-line block ×4, first 2 shown]
	ds_store_b32 v67, v37 offset:1088
	s_wait_loadcnt_dscnt 0x0
	s_barrier_signal -1
	s_barrier_wait -1
	global_inv scope:SCOPE_SE
	ds_load_b32 v39, v143 offset:1056
	ds_load_b32 v41, v147 offset:1056
	;; [unrolled: 1-line block ×17, first 2 shown]
	v_mov_b32_e32 v38, 0x1000
	s_and_saveexec_b32 s15, s7
; %bb.471:                              ;   in Loop: Header=BB532_396 Depth=2
	ds_load_b32 v38, v67 offset:1092
; %bb.472:                              ;   in Loop: Header=BB532_396 Depth=2
	s_wait_alu 0xfffe
	s_or_b32 exec_lo, exec_lo, s15
	s_wait_loadcnt_dscnt 0x0
	s_barrier_signal -1
	s_barrier_wait -1
	global_inv scope:SCOPE_SE
	s_and_saveexec_b32 s15, s2
	s_cbranch_execz .LBB532_474
; %bb.473:                              ;   in Loop: Header=BB532_396 Depth=2
	ds_load_b32 v143, v44
	s_wait_dscnt 0x0
	v_sub_nc_u32_e32 v142, v143, v142
	ds_store_b32 v44, v142
.LBB532_474:                            ;   in Loop: Header=BB532_396 Depth=2
	s_wait_alu 0xfffe
	s_or_b32 exec_lo, exec_lo, s15
	v_add_nc_u32_e32 v155, v39, v138
	v_add3_u32 v151, v146, v145, v41
	v_add3_u32 v147, v150, v149, v42
	;; [unrolled: 1-line block ×4, first 2 shown]
	v_lshlrev_b32_e32 v149, 2, v155
	v_add3_u32 v143, v162, v161, v140
	v_add3_u32 v142, v166, v165, v141
	;; [unrolled: 1-line block ×3, first 2 shown]
	v_lshlrev_b32_e32 v36, 2, v151
	v_add3_u32 v141, v170, v169, v163
	v_add3_u32 v42, v194, v193, v37
	v_lshlrev_b32_e32 v37, 2, v147
	v_add3_u32 v140, v174, v173, v168
	ds_store_b32 v149, v136 offset:1024
	v_lshlrev_b32_e32 v136, 2, v146
	v_add3_u32 v139, v178, v177, v171
	v_lshlrev_b32_e32 v149, 2, v145
	v_add3_u32 v138, v182, v181, v175
	;; [unrolled: 2-line block ×3, first 2 shown]
	ds_store_b32 v36, v137 offset:1024
	ds_store_b32 v37, v144 offset:1024
	;; [unrolled: 1-line block ×5, first 2 shown]
	v_lshlrev_b32_e32 v36, 2, v142
	v_lshlrev_b32_e32 v37, 2, v141
	;; [unrolled: 1-line block ×3, first 2 shown]
	v_add3_u32 v41, v197, v196, v40
	v_lshlrev_b32_e32 v137, 2, v139
	v_add3_u32 v40, v200, v199, v159
	v_lshlrev_b32_e32 v144, 2, v138
	ds_store_b32 v36, v160 offset:1024
	ds_store_b32 v37, v164 offset:1024
	;; [unrolled: 1-line block ×5, first 2 shown]
	v_lshlrev_b32_e32 v36, 2, v39
	v_cmp_lt_u32_e32 vcc_lo, v1, v135
	v_lshlrev_b32_e32 v37, 2, v43
	v_lshlrev_b32_e32 v136, 2, v42
	v_lshlrev_b32_e32 v137, 2, v41
	v_lshlrev_b32_e32 v144, 2, v40
	ds_store_b32 v36, v180 offset:1024
	ds_store_b32 v37, v184 offset:1024
	ds_store_b32 v136, v188 offset:1024
	ds_store_b32 v137, v192 offset:1024
	ds_store_b32 v144, v2 offset:1024
	s_wait_loadcnt_dscnt 0x0
	s_barrier_signal -1
	s_barrier_wait -1
	global_inv scope:SCOPE_SE
	s_and_saveexec_b32 s16, vcc_lo
	s_cbranch_execnz .LBB532_543
; %bb.475:                              ;   in Loop: Header=BB532_396 Depth=2
	s_wait_alu 0xfffe
	s_or_b32 exec_lo, exec_lo, s16
	v_cmp_lt_u32_e64 s15, v45, v135
	s_and_saveexec_b32 s17, s15
	s_cbranch_execnz .LBB532_544
.LBB532_476:                            ;   in Loop: Header=BB532_396 Depth=2
	s_wait_alu 0xfffe
	s_or_b32 exec_lo, exec_lo, s17
	v_cmp_lt_u32_e64 s16, v46, v135
	s_and_saveexec_b32 s18, s16
	s_cbranch_execnz .LBB532_545
.LBB532_477:                            ;   in Loop: Header=BB532_396 Depth=2
	s_wait_alu 0xfffe
	s_or_b32 exec_lo, exec_lo, s18
	v_cmp_lt_u32_e64 s17, v47, v135
	s_and_saveexec_b32 s19, s17
	s_cbranch_execnz .LBB532_546
.LBB532_478:                            ;   in Loop: Header=BB532_396 Depth=2
	s_wait_alu 0xfffe
	s_or_b32 exec_lo, exec_lo, s19
	v_cmp_lt_u32_e64 s18, v50, v135
	s_and_saveexec_b32 s20, s18
	s_cbranch_execnz .LBB532_547
.LBB532_479:                            ;   in Loop: Header=BB532_396 Depth=2
	s_wait_alu 0xfffe
	s_or_b32 exec_lo, exec_lo, s20
	v_cmp_lt_u32_e64 s19, v51, v135
	s_and_saveexec_b32 s21, s19
	s_cbranch_execnz .LBB532_548
.LBB532_480:                            ;   in Loop: Header=BB532_396 Depth=2
	s_wait_alu 0xfffe
	s_or_b32 exec_lo, exec_lo, s21
	v_cmp_lt_u32_e64 s20, v52, v135
	s_and_saveexec_b32 s22, s20
	s_cbranch_execnz .LBB532_549
.LBB532_481:                            ;   in Loop: Header=BB532_396 Depth=2
	s_wait_alu 0xfffe
	s_or_b32 exec_lo, exec_lo, s22
	v_cmp_lt_u32_e64 s21, v53, v135
	s_and_saveexec_b32 s23, s21
	s_cbranch_execnz .LBB532_550
.LBB532_482:                            ;   in Loop: Header=BB532_396 Depth=2
	s_wait_alu 0xfffe
	s_or_b32 exec_lo, exec_lo, s23
	v_cmp_lt_u32_e64 s22, v54, v135
	s_and_saveexec_b32 s24, s22
	s_cbranch_execnz .LBB532_551
.LBB532_483:                            ;   in Loop: Header=BB532_396 Depth=2
	s_wait_alu 0xfffe
	s_or_b32 exec_lo, exec_lo, s24
	v_cmp_lt_u32_e64 s23, v55, v135
	s_and_saveexec_b32 s25, s23
	s_cbranch_execnz .LBB532_552
.LBB532_484:                            ;   in Loop: Header=BB532_396 Depth=2
	s_wait_alu 0xfffe
	s_or_b32 exec_lo, exec_lo, s25
	v_cmp_lt_u32_e64 s24, v56, v135
	s_and_saveexec_b32 s26, s24
	s_cbranch_execnz .LBB532_553
.LBB532_485:                            ;   in Loop: Header=BB532_396 Depth=2
	s_wait_alu 0xfffe
	s_or_b32 exec_lo, exec_lo, s26
	v_cmp_lt_u32_e64 s25, v57, v135
	s_and_saveexec_b32 s27, s25
	s_cbranch_execnz .LBB532_554
.LBB532_486:                            ;   in Loop: Header=BB532_396 Depth=2
	s_wait_alu 0xfffe
	s_or_b32 exec_lo, exec_lo, s27
	v_cmp_lt_u32_e64 s26, v58, v135
	s_and_saveexec_b32 s28, s26
	s_cbranch_execnz .LBB532_555
.LBB532_487:                            ;   in Loop: Header=BB532_396 Depth=2
	s_wait_alu 0xfffe
	s_or_b32 exec_lo, exec_lo, s28
	v_cmp_lt_u32_e64 s27, v59, v135
	s_and_saveexec_b32 s29, s27
	s_cbranch_execnz .LBB532_556
.LBB532_488:                            ;   in Loop: Header=BB532_396 Depth=2
	s_wait_alu 0xfffe
	s_or_b32 exec_lo, exec_lo, s29
	v_cmp_lt_u32_e64 s28, v60, v135
	s_and_saveexec_b32 s30, s28
	s_cbranch_execnz .LBB532_557
.LBB532_489:                            ;   in Loop: Header=BB532_396 Depth=2
	s_wait_alu 0xfffe
	s_or_b32 exec_lo, exec_lo, s30
	v_cmp_lt_u32_e64 s29, v61, v135
	s_and_saveexec_b32 s56, s29
	s_cbranch_execz .LBB532_491
.LBB532_490:                            ;   in Loop: Header=BB532_396 Depth=2
	ds_load_b32 v136, v70 offset:16384
	s_wait_dscnt 0x0
	v_lshrrev_b32_e32 v2, s31, v136
	s_delay_alu instid0(VALU_DEP_1) | instskip(NEXT) | instid1(VALU_DEP_1)
	v_and_b32_e32 v2, s48, v2
	v_lshlrev_b32_e32 v2, 2, v2
	ds_load_b32 v2, v2
	s_wait_dscnt 0x0
	v_add_nc_u32_e32 v2, v2, v61
	s_delay_alu instid0(VALU_DEP_1) | instskip(SKIP_1) | instid1(VALU_DEP_2)
	v_lshlrev_b64_e32 v[36:37], 2, v[2:3]
	v_xor_b32_e32 v2, 0x7fffffff, v136
	v_add_co_u32 v36, s30, s40, v36
	s_wait_alu 0xf1ff
	s_delay_alu instid0(VALU_DEP_3)
	v_add_co_ci_u32_e64 v37, null, s41, v37, s30
	global_store_b32 v[36:37], v2, off
.LBB532_491:                            ;   in Loop: Header=BB532_396 Depth=2
	s_wait_alu 0xfffe
	s_or_b32 exec_lo, exec_lo, s56
	s_lshl_b64 s[56:57], s[42:43], 3
	s_wait_alu 0xfffe
	v_add_co_u32 v36, s30, v114, s56
	s_wait_alu 0xf1ff
	v_add_co_ci_u32_e64 v37, null, s57, v115, s30
	v_cmp_lt_u32_e64 s30, v88, v135
	s_and_saveexec_b32 s42, s30
	s_wait_alu 0xfffe
	s_xor_b32 s30, exec_lo, s42
	s_cbranch_execnz .LBB532_558
; %bb.492:                              ;   in Loop: Header=BB532_396 Depth=2
	s_wait_alu 0xfffe
	s_or_b32 exec_lo, exec_lo, s30
	s_delay_alu instid0(SALU_CYCLE_1)
	s_mov_b32 s42, exec_lo
	v_cmpx_lt_u32_e64 v92, v135
	s_cbranch_execnz .LBB532_559
.LBB532_493:                            ;   in Loop: Header=BB532_396 Depth=2
	s_wait_alu 0xfffe
	s_or_b32 exec_lo, exec_lo, s42
	s_delay_alu instid0(SALU_CYCLE_1)
	s_mov_b32 s42, exec_lo
	v_cmpx_lt_u32_e64 v93, v135
	s_cbranch_execnz .LBB532_560
.LBB532_494:                            ;   in Loop: Header=BB532_396 Depth=2
	s_wait_alu 0xfffe
	s_or_b32 exec_lo, exec_lo, s42
	s_delay_alu instid0(SALU_CYCLE_1)
	s_mov_b32 s42, exec_lo
	v_cmpx_lt_u32_e64 v94, v135
	s_cbranch_execnz .LBB532_561
.LBB532_495:                            ;   in Loop: Header=BB532_396 Depth=2
	s_wait_alu 0xfffe
	s_or_b32 exec_lo, exec_lo, s42
	s_delay_alu instid0(SALU_CYCLE_1)
	s_mov_b32 s42, exec_lo
	v_cmpx_lt_u32_e64 v95, v135
	s_cbranch_execnz .LBB532_562
.LBB532_496:                            ;   in Loop: Header=BB532_396 Depth=2
	s_wait_alu 0xfffe
	s_or_b32 exec_lo, exec_lo, s42
	s_delay_alu instid0(SALU_CYCLE_1)
	s_mov_b32 s42, exec_lo
	v_cmpx_lt_u32_e64 v96, v135
	s_cbranch_execnz .LBB532_563
.LBB532_497:                            ;   in Loop: Header=BB532_396 Depth=2
	s_wait_alu 0xfffe
	s_or_b32 exec_lo, exec_lo, s42
	s_delay_alu instid0(SALU_CYCLE_1)
	s_mov_b32 s42, exec_lo
	v_cmpx_lt_u32_e64 v97, v135
	s_cbranch_execnz .LBB532_564
.LBB532_498:                            ;   in Loop: Header=BB532_396 Depth=2
	s_wait_alu 0xfffe
	s_or_b32 exec_lo, exec_lo, s42
	s_delay_alu instid0(SALU_CYCLE_1)
	s_mov_b32 s42, exec_lo
	v_cmpx_lt_u32_e64 v98, v135
	s_cbranch_execnz .LBB532_565
.LBB532_499:                            ;   in Loop: Header=BB532_396 Depth=2
	s_wait_alu 0xfffe
	s_or_b32 exec_lo, exec_lo, s42
	s_delay_alu instid0(SALU_CYCLE_1)
	s_mov_b32 s42, exec_lo
	v_cmpx_lt_u32_e64 v99, v135
	s_cbranch_execnz .LBB532_566
.LBB532_500:                            ;   in Loop: Header=BB532_396 Depth=2
	s_wait_alu 0xfffe
	s_or_b32 exec_lo, exec_lo, s42
	s_delay_alu instid0(SALU_CYCLE_1)
	s_mov_b32 s42, exec_lo
	v_cmpx_lt_u32_e64 v100, v135
	s_cbranch_execnz .LBB532_567
.LBB532_501:                            ;   in Loop: Header=BB532_396 Depth=2
	s_wait_alu 0xfffe
	s_or_b32 exec_lo, exec_lo, s42
	s_delay_alu instid0(SALU_CYCLE_1)
	s_mov_b32 s42, exec_lo
	v_cmpx_lt_u32_e64 v101, v135
	s_cbranch_execnz .LBB532_568
.LBB532_502:                            ;   in Loop: Header=BB532_396 Depth=2
	s_wait_alu 0xfffe
	s_or_b32 exec_lo, exec_lo, s42
	s_delay_alu instid0(SALU_CYCLE_1)
	s_mov_b32 s42, exec_lo
	v_cmpx_lt_u32_e64 v102, v135
	s_cbranch_execnz .LBB532_569
.LBB532_503:                            ;   in Loop: Header=BB532_396 Depth=2
	s_wait_alu 0xfffe
	s_or_b32 exec_lo, exec_lo, s42
	s_delay_alu instid0(SALU_CYCLE_1)
	s_mov_b32 s42, exec_lo
	v_cmpx_lt_u32_e64 v103, v135
	s_cbranch_execnz .LBB532_570
.LBB532_504:                            ;   in Loop: Header=BB532_396 Depth=2
	s_wait_alu 0xfffe
	s_or_b32 exec_lo, exec_lo, s42
	s_delay_alu instid0(SALU_CYCLE_1)
	s_mov_b32 s42, exec_lo
	v_cmpx_lt_u32_e64 v104, v135
	s_cbranch_execnz .LBB532_571
.LBB532_505:                            ;   in Loop: Header=BB532_396 Depth=2
	s_wait_alu 0xfffe
	s_or_b32 exec_lo, exec_lo, s42
	s_delay_alu instid0(SALU_CYCLE_1)
	s_mov_b32 s42, exec_lo
	v_cmpx_lt_u32_e64 v105, v135
	s_cbranch_execnz .LBB532_572
.LBB532_506:                            ;   in Loop: Header=BB532_396 Depth=2
	s_wait_alu 0xfffe
	s_or_b32 exec_lo, exec_lo, s42
	s_delay_alu instid0(SALU_CYCLE_1)
	s_mov_b32 s42, exec_lo
	v_cmpx_lt_u32_e64 v106, v135
	s_cbranch_execnz .LBB532_573
.LBB532_507:                            ;   in Loop: Header=BB532_396 Depth=2
	s_wait_alu 0xfffe
	s_or_b32 exec_lo, exec_lo, s42
	s_and_saveexec_b32 s30, vcc_lo
	s_cbranch_execnz .LBB532_574
.LBB532_508:                            ;   in Loop: Header=BB532_396 Depth=2
	s_wait_alu 0xfffe
	s_or_b32 exec_lo, exec_lo, s30
	s_and_saveexec_b32 s30, s15
	s_cbranch_execnz .LBB532_575
.LBB532_509:                            ;   in Loop: Header=BB532_396 Depth=2
	s_wait_alu 0xfffe
	s_or_b32 exec_lo, exec_lo, s30
	s_and_saveexec_b32 s30, s16
	s_cbranch_execnz .LBB532_576
.LBB532_510:                            ;   in Loop: Header=BB532_396 Depth=2
	s_wait_alu 0xfffe
	s_or_b32 exec_lo, exec_lo, s30
	s_and_saveexec_b32 s30, s17
	s_cbranch_execnz .LBB532_577
.LBB532_511:                            ;   in Loop: Header=BB532_396 Depth=2
	s_wait_alu 0xfffe
	s_or_b32 exec_lo, exec_lo, s30
	s_and_saveexec_b32 s30, s18
	s_cbranch_execnz .LBB532_578
.LBB532_512:                            ;   in Loop: Header=BB532_396 Depth=2
	s_wait_alu 0xfffe
	s_or_b32 exec_lo, exec_lo, s30
	s_and_saveexec_b32 s30, s19
	s_cbranch_execnz .LBB532_579
.LBB532_513:                            ;   in Loop: Header=BB532_396 Depth=2
	s_wait_alu 0xfffe
	s_or_b32 exec_lo, exec_lo, s30
	s_and_saveexec_b32 s30, s20
	s_cbranch_execnz .LBB532_580
.LBB532_514:                            ;   in Loop: Header=BB532_396 Depth=2
	s_wait_alu 0xfffe
	s_or_b32 exec_lo, exec_lo, s30
	s_and_saveexec_b32 s30, s21
	s_cbranch_execnz .LBB532_581
.LBB532_515:                            ;   in Loop: Header=BB532_396 Depth=2
	s_wait_alu 0xfffe
	s_or_b32 exec_lo, exec_lo, s30
	s_and_saveexec_b32 s30, s22
	s_cbranch_execnz .LBB532_582
.LBB532_516:                            ;   in Loop: Header=BB532_396 Depth=2
	s_wait_alu 0xfffe
	s_or_b32 exec_lo, exec_lo, s30
	s_and_saveexec_b32 s30, s23
	s_cbranch_execnz .LBB532_583
.LBB532_517:                            ;   in Loop: Header=BB532_396 Depth=2
	s_wait_alu 0xfffe
	s_or_b32 exec_lo, exec_lo, s30
	s_and_saveexec_b32 s30, s24
	s_cbranch_execnz .LBB532_584
.LBB532_518:                            ;   in Loop: Header=BB532_396 Depth=2
	s_wait_alu 0xfffe
	s_or_b32 exec_lo, exec_lo, s30
	s_and_saveexec_b32 s30, s25
	s_cbranch_execnz .LBB532_585
.LBB532_519:                            ;   in Loop: Header=BB532_396 Depth=2
	s_wait_alu 0xfffe
	s_or_b32 exec_lo, exec_lo, s30
	s_and_saveexec_b32 s30, s26
	s_cbranch_execnz .LBB532_586
.LBB532_520:                            ;   in Loop: Header=BB532_396 Depth=2
	s_wait_alu 0xfffe
	s_or_b32 exec_lo, exec_lo, s30
	s_and_saveexec_b32 s30, s27
	s_cbranch_execnz .LBB532_587
.LBB532_521:                            ;   in Loop: Header=BB532_396 Depth=2
	s_wait_alu 0xfffe
	s_or_b32 exec_lo, exec_lo, s30
	s_and_saveexec_b32 s30, s28
	s_cbranch_execnz .LBB532_588
.LBB532_522:                            ;   in Loop: Header=BB532_396 Depth=2
	s_wait_alu 0xfffe
	s_or_b32 exec_lo, exec_lo, s30
	s_and_saveexec_b32 s30, s29
	s_cbranch_execz .LBB532_524
.LBB532_523:                            ;   in Loop: Header=BB532_396 Depth=2
	ds_load_b32 v2, v70 offset:16384
	s_wait_dscnt 0x0
	v_lshrrev_b32_e32 v2, s31, v2
	s_delay_alu instid0(VALU_DEP_1)
	v_and_b32_e32 v119, s48, v2
.LBB532_524:                            ;   in Loop: Header=BB532_396 Depth=2
	s_wait_alu 0xfffe
	s_or_b32 exec_lo, exec_lo, s30
	v_lshlrev_b32_e32 v2, 3, v155
	s_wait_loadcnt 0x0
	s_wait_storecnt 0x0
	s_barrier_signal -1
	s_barrier_wait -1
	global_inv scope:SCOPE_SE
	ds_store_b64 v2, v[34:35] offset:1024
	v_lshlrev_b32_e32 v2, 3, v151
	v_lshlrev_b32_e32 v36, 3, v147
	v_lshlrev_b32_e32 v37, 3, v146
	v_lshlrev_b32_e32 v135, 3, v145
	v_lshlrev_b32_e32 v136, 3, v143
	ds_store_b64 v2, v[32:33] offset:1024
	ds_store_b64 v36, v[30:31] offset:1024
	ds_store_b64 v37, v[28:29] offset:1024
	ds_store_b64 v135, v[26:27] offset:1024
	ds_store_b64 v136, v[24:25] offset:1024
	v_lshlrev_b32_e32 v2, 3, v142
	v_lshlrev_b32_e32 v36, 3, v141
	v_lshlrev_b32_e32 v37, 3, v140
	v_lshlrev_b32_e32 v135, 3, v139
	v_lshlrev_b32_e32 v136, 3, v138
	ds_store_b64 v2, v[22:23] offset:1024
	ds_store_b64 v36, v[20:21] offset:1024
	ds_store_b64 v37, v[18:19] offset:1024
	ds_store_b64 v135, v[16:17] offset:1024
	;; [unrolled: 10-line block ×3, first 2 shown]
	ds_store_b64 v40, v[4:5] offset:1024
	s_wait_loadcnt_dscnt 0x0
	s_barrier_signal -1
	s_barrier_wait -1
	global_inv scope:SCOPE_SE
	s_and_saveexec_b32 s30, vcc_lo
	s_cbranch_execnz .LBB532_589
; %bb.525:                              ;   in Loop: Header=BB532_396 Depth=2
	s_wait_alu 0xfffe
	s_or_b32 exec_lo, exec_lo, s30
	s_and_saveexec_b32 s30, s15
	s_cbranch_execnz .LBB532_590
.LBB532_526:                            ;   in Loop: Header=BB532_396 Depth=2
	s_wait_alu 0xfffe
	s_or_b32 exec_lo, exec_lo, s30
	s_and_saveexec_b32 s15, s16
	s_cbranch_execnz .LBB532_591
.LBB532_527:                            ;   in Loop: Header=BB532_396 Depth=2
	s_wait_alu 0xfffe
	s_or_b32 exec_lo, exec_lo, s15
	s_and_saveexec_b32 s15, s17
	s_cbranch_execnz .LBB532_592
.LBB532_528:                            ;   in Loop: Header=BB532_396 Depth=2
	s_wait_alu 0xfffe
	s_or_b32 exec_lo, exec_lo, s15
	s_and_saveexec_b32 s15, s18
	s_cbranch_execnz .LBB532_593
.LBB532_529:                            ;   in Loop: Header=BB532_396 Depth=2
	s_wait_alu 0xfffe
	s_or_b32 exec_lo, exec_lo, s15
	s_and_saveexec_b32 s15, s19
	s_cbranch_execnz .LBB532_594
.LBB532_530:                            ;   in Loop: Header=BB532_396 Depth=2
	s_wait_alu 0xfffe
	s_or_b32 exec_lo, exec_lo, s15
	s_and_saveexec_b32 s15, s20
	s_cbranch_execnz .LBB532_595
.LBB532_531:                            ;   in Loop: Header=BB532_396 Depth=2
	s_wait_alu 0xfffe
	s_or_b32 exec_lo, exec_lo, s15
	s_and_saveexec_b32 s15, s21
	s_cbranch_execnz .LBB532_596
.LBB532_532:                            ;   in Loop: Header=BB532_396 Depth=2
	s_wait_alu 0xfffe
	s_or_b32 exec_lo, exec_lo, s15
	s_and_saveexec_b32 s15, s22
	s_cbranch_execnz .LBB532_597
.LBB532_533:                            ;   in Loop: Header=BB532_396 Depth=2
	s_wait_alu 0xfffe
	s_or_b32 exec_lo, exec_lo, s15
	s_and_saveexec_b32 s15, s23
	s_cbranch_execnz .LBB532_598
.LBB532_534:                            ;   in Loop: Header=BB532_396 Depth=2
	s_wait_alu 0xfffe
	s_or_b32 exec_lo, exec_lo, s15
	s_and_saveexec_b32 s15, s24
	s_cbranch_execnz .LBB532_599
.LBB532_535:                            ;   in Loop: Header=BB532_396 Depth=2
	s_wait_alu 0xfffe
	s_or_b32 exec_lo, exec_lo, s15
	s_and_saveexec_b32 s15, s25
	s_cbranch_execnz .LBB532_600
.LBB532_536:                            ;   in Loop: Header=BB532_396 Depth=2
	s_wait_alu 0xfffe
	s_or_b32 exec_lo, exec_lo, s15
	s_and_saveexec_b32 s15, s26
	s_cbranch_execnz .LBB532_601
.LBB532_537:                            ;   in Loop: Header=BB532_396 Depth=2
	s_wait_alu 0xfffe
	s_or_b32 exec_lo, exec_lo, s15
	s_and_saveexec_b32 s15, s27
	s_cbranch_execnz .LBB532_602
.LBB532_538:                            ;   in Loop: Header=BB532_396 Depth=2
	s_wait_alu 0xfffe
	s_or_b32 exec_lo, exec_lo, s15
	s_and_saveexec_b32 s15, s28
	s_cbranch_execnz .LBB532_603
.LBB532_539:                            ;   in Loop: Header=BB532_396 Depth=2
	s_wait_alu 0xfffe
	s_or_b32 exec_lo, exec_lo, s15
	s_and_saveexec_b32 s15, s29
	s_cbranch_execz .LBB532_541
.LBB532_540:                            ;   in Loop: Header=BB532_396 Depth=2
	v_lshlrev_b32_e32 v2, 2, v119
	v_add_nc_u32_e32 v36, v70, v44
	ds_load_b32 v2, v2
	ds_load_b64 v[36:37], v36 offset:31744
	s_wait_dscnt 0x1
	v_add_nc_u32_e32 v2, v2, v61
	s_delay_alu instid0(VALU_DEP_1) | instskip(NEXT) | instid1(VALU_DEP_1)
	v_lshlrev_b64_e32 v[39:40], 3, v[2:3]
	v_add_co_u32 v39, vcc_lo, s46, v39
	s_wait_alu 0xfffd
	s_delay_alu instid0(VALU_DEP_2)
	v_add_co_ci_u32_e64 v40, null, s47, v40, vcc_lo
	s_wait_dscnt 0x0
	global_store_b64 v[39:40], v[36:37], off
.LBB532_541:                            ;   in Loop: Header=BB532_396 Depth=2
	s_wait_alu 0xfffe
	s_or_b32 exec_lo, exec_lo, s15
	s_wait_loadcnt 0x0
	s_wait_storecnt 0x0
	s_barrier_signal -1
	s_barrier_wait -1
	global_inv scope:SCOPE_SE
	s_and_saveexec_b32 s15, s2
	s_cbranch_execz .LBB532_395
; %bb.542:                              ;   in Loop: Header=BB532_396 Depth=2
	ds_load_b32 v2, v44
	s_wait_dscnt 0x0
	v_add_nc_u32_e32 v2, v2, v38
	ds_store_b32 v44, v2
	s_branch .LBB532_395
.LBB532_543:                            ;   in Loop: Header=BB532_396 Depth=2
	ds_load_b32 v136, v70 offset:1024
	s_wait_dscnt 0x0
	v_lshrrev_b32_e32 v2, s31, v136
	s_delay_alu instid0(VALU_DEP_1) | instskip(NEXT) | instid1(VALU_DEP_1)
	v_and_b32_e32 v2, s48, v2
	v_lshlrev_b32_e32 v2, 2, v2
	ds_load_b32 v2, v2
	s_wait_dscnt 0x0
	v_add_nc_u32_e32 v2, v2, v1
	s_delay_alu instid0(VALU_DEP_1) | instskip(SKIP_1) | instid1(VALU_DEP_2)
	v_lshlrev_b64_e32 v[36:37], 2, v[2:3]
	v_xor_b32_e32 v2, 0x7fffffff, v136
	v_add_co_u32 v36, s15, s40, v36
	s_wait_alu 0xf1ff
	s_delay_alu instid0(VALU_DEP_3)
	v_add_co_ci_u32_e64 v37, null, s41, v37, s15
	global_store_b32 v[36:37], v2, off
	s_wait_alu 0xfffe
	s_or_b32 exec_lo, exec_lo, s16
	v_cmp_lt_u32_e64 s15, v45, v135
	s_and_saveexec_b32 s17, s15
	s_cbranch_execz .LBB532_476
.LBB532_544:                            ;   in Loop: Header=BB532_396 Depth=2
	ds_load_b32 v136, v70 offset:2048
	s_wait_dscnt 0x0
	v_lshrrev_b32_e32 v2, s31, v136
	s_delay_alu instid0(VALU_DEP_1) | instskip(NEXT) | instid1(VALU_DEP_1)
	v_and_b32_e32 v2, s48, v2
	v_lshlrev_b32_e32 v2, 2, v2
	ds_load_b32 v2, v2
	s_wait_dscnt 0x0
	v_add_nc_u32_e32 v2, v2, v45
	s_delay_alu instid0(VALU_DEP_1) | instskip(SKIP_1) | instid1(VALU_DEP_2)
	v_lshlrev_b64_e32 v[36:37], 2, v[2:3]
	v_xor_b32_e32 v2, 0x7fffffff, v136
	v_add_co_u32 v36, s16, s40, v36
	s_wait_alu 0xf1ff
	s_delay_alu instid0(VALU_DEP_3)
	v_add_co_ci_u32_e64 v37, null, s41, v37, s16
	global_store_b32 v[36:37], v2, off
	s_wait_alu 0xfffe
	s_or_b32 exec_lo, exec_lo, s17
	v_cmp_lt_u32_e64 s16, v46, v135
	s_and_saveexec_b32 s18, s16
	s_cbranch_execz .LBB532_477
.LBB532_545:                            ;   in Loop: Header=BB532_396 Depth=2
	ds_load_b32 v136, v70 offset:3072
	s_wait_dscnt 0x0
	v_lshrrev_b32_e32 v2, s31, v136
	s_delay_alu instid0(VALU_DEP_1) | instskip(NEXT) | instid1(VALU_DEP_1)
	v_and_b32_e32 v2, s48, v2
	v_lshlrev_b32_e32 v2, 2, v2
	ds_load_b32 v2, v2
	s_wait_dscnt 0x0
	v_add_nc_u32_e32 v2, v2, v46
	s_delay_alu instid0(VALU_DEP_1) | instskip(SKIP_1) | instid1(VALU_DEP_2)
	v_lshlrev_b64_e32 v[36:37], 2, v[2:3]
	v_xor_b32_e32 v2, 0x7fffffff, v136
	v_add_co_u32 v36, s17, s40, v36
	s_wait_alu 0xf1ff
	s_delay_alu instid0(VALU_DEP_3)
	v_add_co_ci_u32_e64 v37, null, s41, v37, s17
	global_store_b32 v[36:37], v2, off
	s_wait_alu 0xfffe
	s_or_b32 exec_lo, exec_lo, s18
	v_cmp_lt_u32_e64 s17, v47, v135
	s_and_saveexec_b32 s19, s17
	s_cbranch_execz .LBB532_478
.LBB532_546:                            ;   in Loop: Header=BB532_396 Depth=2
	ds_load_b32 v136, v70 offset:4096
	s_wait_dscnt 0x0
	v_lshrrev_b32_e32 v2, s31, v136
	s_delay_alu instid0(VALU_DEP_1) | instskip(NEXT) | instid1(VALU_DEP_1)
	v_and_b32_e32 v2, s48, v2
	v_lshlrev_b32_e32 v2, 2, v2
	ds_load_b32 v2, v2
	s_wait_dscnt 0x0
	v_add_nc_u32_e32 v2, v2, v47
	s_delay_alu instid0(VALU_DEP_1) | instskip(SKIP_1) | instid1(VALU_DEP_2)
	v_lshlrev_b64_e32 v[36:37], 2, v[2:3]
	v_xor_b32_e32 v2, 0x7fffffff, v136
	v_add_co_u32 v36, s18, s40, v36
	s_wait_alu 0xf1ff
	s_delay_alu instid0(VALU_DEP_3)
	v_add_co_ci_u32_e64 v37, null, s41, v37, s18
	global_store_b32 v[36:37], v2, off
	s_wait_alu 0xfffe
	s_or_b32 exec_lo, exec_lo, s19
	v_cmp_lt_u32_e64 s18, v50, v135
	s_and_saveexec_b32 s20, s18
	s_cbranch_execz .LBB532_479
.LBB532_547:                            ;   in Loop: Header=BB532_396 Depth=2
	ds_load_b32 v136, v70 offset:5120
	s_wait_dscnt 0x0
	v_lshrrev_b32_e32 v2, s31, v136
	s_delay_alu instid0(VALU_DEP_1) | instskip(NEXT) | instid1(VALU_DEP_1)
	v_and_b32_e32 v2, s48, v2
	v_lshlrev_b32_e32 v2, 2, v2
	ds_load_b32 v2, v2
	s_wait_dscnt 0x0
	v_add_nc_u32_e32 v2, v2, v50
	s_delay_alu instid0(VALU_DEP_1) | instskip(SKIP_1) | instid1(VALU_DEP_2)
	v_lshlrev_b64_e32 v[36:37], 2, v[2:3]
	v_xor_b32_e32 v2, 0x7fffffff, v136
	v_add_co_u32 v36, s19, s40, v36
	s_wait_alu 0xf1ff
	s_delay_alu instid0(VALU_DEP_3)
	v_add_co_ci_u32_e64 v37, null, s41, v37, s19
	global_store_b32 v[36:37], v2, off
	s_wait_alu 0xfffe
	s_or_b32 exec_lo, exec_lo, s20
	v_cmp_lt_u32_e64 s19, v51, v135
	s_and_saveexec_b32 s21, s19
	s_cbranch_execz .LBB532_480
.LBB532_548:                            ;   in Loop: Header=BB532_396 Depth=2
	ds_load_b32 v136, v70 offset:6144
	s_wait_dscnt 0x0
	v_lshrrev_b32_e32 v2, s31, v136
	s_delay_alu instid0(VALU_DEP_1) | instskip(NEXT) | instid1(VALU_DEP_1)
	v_and_b32_e32 v2, s48, v2
	v_lshlrev_b32_e32 v2, 2, v2
	ds_load_b32 v2, v2
	s_wait_dscnt 0x0
	v_add_nc_u32_e32 v2, v2, v51
	s_delay_alu instid0(VALU_DEP_1) | instskip(SKIP_1) | instid1(VALU_DEP_2)
	v_lshlrev_b64_e32 v[36:37], 2, v[2:3]
	v_xor_b32_e32 v2, 0x7fffffff, v136
	v_add_co_u32 v36, s20, s40, v36
	s_wait_alu 0xf1ff
	s_delay_alu instid0(VALU_DEP_3)
	v_add_co_ci_u32_e64 v37, null, s41, v37, s20
	global_store_b32 v[36:37], v2, off
	s_wait_alu 0xfffe
	s_or_b32 exec_lo, exec_lo, s21
	v_cmp_lt_u32_e64 s20, v52, v135
	s_and_saveexec_b32 s22, s20
	s_cbranch_execz .LBB532_481
.LBB532_549:                            ;   in Loop: Header=BB532_396 Depth=2
	ds_load_b32 v136, v70 offset:7168
	s_wait_dscnt 0x0
	v_lshrrev_b32_e32 v2, s31, v136
	s_delay_alu instid0(VALU_DEP_1) | instskip(NEXT) | instid1(VALU_DEP_1)
	v_and_b32_e32 v2, s48, v2
	v_lshlrev_b32_e32 v2, 2, v2
	ds_load_b32 v2, v2
	s_wait_dscnt 0x0
	v_add_nc_u32_e32 v2, v2, v52
	s_delay_alu instid0(VALU_DEP_1) | instskip(SKIP_1) | instid1(VALU_DEP_2)
	v_lshlrev_b64_e32 v[36:37], 2, v[2:3]
	v_xor_b32_e32 v2, 0x7fffffff, v136
	v_add_co_u32 v36, s21, s40, v36
	s_wait_alu 0xf1ff
	s_delay_alu instid0(VALU_DEP_3)
	v_add_co_ci_u32_e64 v37, null, s41, v37, s21
	global_store_b32 v[36:37], v2, off
	s_wait_alu 0xfffe
	s_or_b32 exec_lo, exec_lo, s22
	v_cmp_lt_u32_e64 s21, v53, v135
	s_and_saveexec_b32 s23, s21
	s_cbranch_execz .LBB532_482
.LBB532_550:                            ;   in Loop: Header=BB532_396 Depth=2
	ds_load_b32 v136, v70 offset:8192
	s_wait_dscnt 0x0
	v_lshrrev_b32_e32 v2, s31, v136
	s_delay_alu instid0(VALU_DEP_1) | instskip(NEXT) | instid1(VALU_DEP_1)
	v_and_b32_e32 v2, s48, v2
	v_lshlrev_b32_e32 v2, 2, v2
	ds_load_b32 v2, v2
	s_wait_dscnt 0x0
	v_add_nc_u32_e32 v2, v2, v53
	s_delay_alu instid0(VALU_DEP_1) | instskip(SKIP_1) | instid1(VALU_DEP_2)
	v_lshlrev_b64_e32 v[36:37], 2, v[2:3]
	v_xor_b32_e32 v2, 0x7fffffff, v136
	v_add_co_u32 v36, s22, s40, v36
	s_wait_alu 0xf1ff
	s_delay_alu instid0(VALU_DEP_3)
	v_add_co_ci_u32_e64 v37, null, s41, v37, s22
	global_store_b32 v[36:37], v2, off
	s_wait_alu 0xfffe
	s_or_b32 exec_lo, exec_lo, s23
	v_cmp_lt_u32_e64 s22, v54, v135
	s_and_saveexec_b32 s24, s22
	s_cbranch_execz .LBB532_483
.LBB532_551:                            ;   in Loop: Header=BB532_396 Depth=2
	ds_load_b32 v136, v70 offset:9216
	s_wait_dscnt 0x0
	v_lshrrev_b32_e32 v2, s31, v136
	s_delay_alu instid0(VALU_DEP_1) | instskip(NEXT) | instid1(VALU_DEP_1)
	v_and_b32_e32 v2, s48, v2
	v_lshlrev_b32_e32 v2, 2, v2
	ds_load_b32 v2, v2
	s_wait_dscnt 0x0
	v_add_nc_u32_e32 v2, v2, v54
	s_delay_alu instid0(VALU_DEP_1) | instskip(SKIP_1) | instid1(VALU_DEP_2)
	v_lshlrev_b64_e32 v[36:37], 2, v[2:3]
	v_xor_b32_e32 v2, 0x7fffffff, v136
	v_add_co_u32 v36, s23, s40, v36
	s_wait_alu 0xf1ff
	s_delay_alu instid0(VALU_DEP_3)
	v_add_co_ci_u32_e64 v37, null, s41, v37, s23
	global_store_b32 v[36:37], v2, off
	s_wait_alu 0xfffe
	s_or_b32 exec_lo, exec_lo, s24
	v_cmp_lt_u32_e64 s23, v55, v135
	s_and_saveexec_b32 s25, s23
	s_cbranch_execz .LBB532_484
.LBB532_552:                            ;   in Loop: Header=BB532_396 Depth=2
	ds_load_b32 v136, v70 offset:10240
	s_wait_dscnt 0x0
	v_lshrrev_b32_e32 v2, s31, v136
	s_delay_alu instid0(VALU_DEP_1) | instskip(NEXT) | instid1(VALU_DEP_1)
	v_and_b32_e32 v2, s48, v2
	v_lshlrev_b32_e32 v2, 2, v2
	ds_load_b32 v2, v2
	s_wait_dscnt 0x0
	v_add_nc_u32_e32 v2, v2, v55
	s_delay_alu instid0(VALU_DEP_1) | instskip(SKIP_1) | instid1(VALU_DEP_2)
	v_lshlrev_b64_e32 v[36:37], 2, v[2:3]
	v_xor_b32_e32 v2, 0x7fffffff, v136
	v_add_co_u32 v36, s24, s40, v36
	s_wait_alu 0xf1ff
	s_delay_alu instid0(VALU_DEP_3)
	v_add_co_ci_u32_e64 v37, null, s41, v37, s24
	global_store_b32 v[36:37], v2, off
	s_wait_alu 0xfffe
	s_or_b32 exec_lo, exec_lo, s25
	v_cmp_lt_u32_e64 s24, v56, v135
	s_and_saveexec_b32 s26, s24
	s_cbranch_execz .LBB532_485
.LBB532_553:                            ;   in Loop: Header=BB532_396 Depth=2
	ds_load_b32 v136, v70 offset:11264
	s_wait_dscnt 0x0
	v_lshrrev_b32_e32 v2, s31, v136
	s_delay_alu instid0(VALU_DEP_1) | instskip(NEXT) | instid1(VALU_DEP_1)
	v_and_b32_e32 v2, s48, v2
	v_lshlrev_b32_e32 v2, 2, v2
	ds_load_b32 v2, v2
	s_wait_dscnt 0x0
	v_add_nc_u32_e32 v2, v2, v56
	s_delay_alu instid0(VALU_DEP_1) | instskip(SKIP_1) | instid1(VALU_DEP_2)
	v_lshlrev_b64_e32 v[36:37], 2, v[2:3]
	v_xor_b32_e32 v2, 0x7fffffff, v136
	v_add_co_u32 v36, s25, s40, v36
	s_wait_alu 0xf1ff
	s_delay_alu instid0(VALU_DEP_3)
	v_add_co_ci_u32_e64 v37, null, s41, v37, s25
	global_store_b32 v[36:37], v2, off
	s_wait_alu 0xfffe
	s_or_b32 exec_lo, exec_lo, s26
	v_cmp_lt_u32_e64 s25, v57, v135
	s_and_saveexec_b32 s27, s25
	s_cbranch_execz .LBB532_486
.LBB532_554:                            ;   in Loop: Header=BB532_396 Depth=2
	ds_load_b32 v136, v70 offset:12288
	s_wait_dscnt 0x0
	v_lshrrev_b32_e32 v2, s31, v136
	s_delay_alu instid0(VALU_DEP_1) | instskip(NEXT) | instid1(VALU_DEP_1)
	v_and_b32_e32 v2, s48, v2
	v_lshlrev_b32_e32 v2, 2, v2
	ds_load_b32 v2, v2
	s_wait_dscnt 0x0
	v_add_nc_u32_e32 v2, v2, v57
	s_delay_alu instid0(VALU_DEP_1) | instskip(SKIP_1) | instid1(VALU_DEP_2)
	v_lshlrev_b64_e32 v[36:37], 2, v[2:3]
	v_xor_b32_e32 v2, 0x7fffffff, v136
	v_add_co_u32 v36, s26, s40, v36
	s_wait_alu 0xf1ff
	s_delay_alu instid0(VALU_DEP_3)
	v_add_co_ci_u32_e64 v37, null, s41, v37, s26
	global_store_b32 v[36:37], v2, off
	s_wait_alu 0xfffe
	s_or_b32 exec_lo, exec_lo, s27
	v_cmp_lt_u32_e64 s26, v58, v135
	s_and_saveexec_b32 s28, s26
	s_cbranch_execz .LBB532_487
.LBB532_555:                            ;   in Loop: Header=BB532_396 Depth=2
	ds_load_b32 v136, v70 offset:13312
	s_wait_dscnt 0x0
	v_lshrrev_b32_e32 v2, s31, v136
	s_delay_alu instid0(VALU_DEP_1) | instskip(NEXT) | instid1(VALU_DEP_1)
	v_and_b32_e32 v2, s48, v2
	v_lshlrev_b32_e32 v2, 2, v2
	ds_load_b32 v2, v2
	s_wait_dscnt 0x0
	v_add_nc_u32_e32 v2, v2, v58
	s_delay_alu instid0(VALU_DEP_1) | instskip(SKIP_1) | instid1(VALU_DEP_2)
	v_lshlrev_b64_e32 v[36:37], 2, v[2:3]
	v_xor_b32_e32 v2, 0x7fffffff, v136
	v_add_co_u32 v36, s27, s40, v36
	s_wait_alu 0xf1ff
	s_delay_alu instid0(VALU_DEP_3)
	v_add_co_ci_u32_e64 v37, null, s41, v37, s27
	global_store_b32 v[36:37], v2, off
	s_wait_alu 0xfffe
	s_or_b32 exec_lo, exec_lo, s28
	v_cmp_lt_u32_e64 s27, v59, v135
	s_and_saveexec_b32 s29, s27
	s_cbranch_execz .LBB532_488
.LBB532_556:                            ;   in Loop: Header=BB532_396 Depth=2
	ds_load_b32 v136, v70 offset:14336
	s_wait_dscnt 0x0
	v_lshrrev_b32_e32 v2, s31, v136
	s_delay_alu instid0(VALU_DEP_1) | instskip(NEXT) | instid1(VALU_DEP_1)
	v_and_b32_e32 v2, s48, v2
	v_lshlrev_b32_e32 v2, 2, v2
	ds_load_b32 v2, v2
	s_wait_dscnt 0x0
	v_add_nc_u32_e32 v2, v2, v59
	s_delay_alu instid0(VALU_DEP_1) | instskip(SKIP_1) | instid1(VALU_DEP_2)
	v_lshlrev_b64_e32 v[36:37], 2, v[2:3]
	v_xor_b32_e32 v2, 0x7fffffff, v136
	v_add_co_u32 v36, s28, s40, v36
	s_wait_alu 0xf1ff
	s_delay_alu instid0(VALU_DEP_3)
	v_add_co_ci_u32_e64 v37, null, s41, v37, s28
	global_store_b32 v[36:37], v2, off
	s_wait_alu 0xfffe
	s_or_b32 exec_lo, exec_lo, s29
	v_cmp_lt_u32_e64 s28, v60, v135
	s_and_saveexec_b32 s30, s28
	s_cbranch_execz .LBB532_489
.LBB532_557:                            ;   in Loop: Header=BB532_396 Depth=2
	ds_load_b32 v136, v70 offset:15360
	s_wait_dscnt 0x0
	v_lshrrev_b32_e32 v2, s31, v136
	s_delay_alu instid0(VALU_DEP_1) | instskip(NEXT) | instid1(VALU_DEP_1)
	v_and_b32_e32 v2, s48, v2
	v_lshlrev_b32_e32 v2, 2, v2
	ds_load_b32 v2, v2
	s_wait_dscnt 0x0
	v_add_nc_u32_e32 v2, v2, v60
	s_delay_alu instid0(VALU_DEP_1) | instskip(SKIP_1) | instid1(VALU_DEP_2)
	v_lshlrev_b64_e32 v[36:37], 2, v[2:3]
	v_xor_b32_e32 v2, 0x7fffffff, v136
	v_add_co_u32 v36, s29, s40, v36
	s_wait_alu 0xf1ff
	s_delay_alu instid0(VALU_DEP_3)
	v_add_co_ci_u32_e64 v37, null, s41, v37, s29
	global_store_b32 v[36:37], v2, off
	s_wait_alu 0xfffe
	s_or_b32 exec_lo, exec_lo, s30
	v_cmp_lt_u32_e64 s29, v61, v135
	s_and_saveexec_b32 s56, s29
	s_cbranch_execnz .LBB532_490
	s_branch .LBB532_491
.LBB532_558:                            ;   in Loop: Header=BB532_396 Depth=2
	global_load_b64 v[34:35], v[36:37], off
	s_wait_alu 0xfffe
	s_or_b32 exec_lo, exec_lo, s30
	s_delay_alu instid0(SALU_CYCLE_1)
	s_mov_b32 s42, exec_lo
	v_cmpx_lt_u32_e64 v92, v135
	s_cbranch_execz .LBB532_493
.LBB532_559:                            ;   in Loop: Header=BB532_396 Depth=2
	global_load_b64 v[32:33], v[36:37], off offset:256
	s_wait_alu 0xfffe
	s_or_b32 exec_lo, exec_lo, s42
	s_delay_alu instid0(SALU_CYCLE_1)
	s_mov_b32 s42, exec_lo
	v_cmpx_lt_u32_e64 v93, v135
	s_cbranch_execz .LBB532_494
.LBB532_560:                            ;   in Loop: Header=BB532_396 Depth=2
	global_load_b64 v[30:31], v[36:37], off offset:512
	s_wait_alu 0xfffe
	s_or_b32 exec_lo, exec_lo, s42
	s_delay_alu instid0(SALU_CYCLE_1)
	s_mov_b32 s42, exec_lo
	v_cmpx_lt_u32_e64 v94, v135
	s_cbranch_execz .LBB532_495
.LBB532_561:                            ;   in Loop: Header=BB532_396 Depth=2
	global_load_b64 v[28:29], v[36:37], off offset:768
	s_wait_alu 0xfffe
	s_or_b32 exec_lo, exec_lo, s42
	s_delay_alu instid0(SALU_CYCLE_1)
	s_mov_b32 s42, exec_lo
	v_cmpx_lt_u32_e64 v95, v135
	s_cbranch_execz .LBB532_496
.LBB532_562:                            ;   in Loop: Header=BB532_396 Depth=2
	global_load_b64 v[26:27], v[36:37], off offset:1024
	s_wait_alu 0xfffe
	s_or_b32 exec_lo, exec_lo, s42
	s_delay_alu instid0(SALU_CYCLE_1)
	s_mov_b32 s42, exec_lo
	v_cmpx_lt_u32_e64 v96, v135
	s_cbranch_execz .LBB532_497
.LBB532_563:                            ;   in Loop: Header=BB532_396 Depth=2
	global_load_b64 v[24:25], v[36:37], off offset:1280
	s_wait_alu 0xfffe
	s_or_b32 exec_lo, exec_lo, s42
	s_delay_alu instid0(SALU_CYCLE_1)
	s_mov_b32 s42, exec_lo
	v_cmpx_lt_u32_e64 v97, v135
	s_cbranch_execz .LBB532_498
.LBB532_564:                            ;   in Loop: Header=BB532_396 Depth=2
	global_load_b64 v[22:23], v[36:37], off offset:1536
	s_wait_alu 0xfffe
	s_or_b32 exec_lo, exec_lo, s42
	s_delay_alu instid0(SALU_CYCLE_1)
	s_mov_b32 s42, exec_lo
	v_cmpx_lt_u32_e64 v98, v135
	s_cbranch_execz .LBB532_499
.LBB532_565:                            ;   in Loop: Header=BB532_396 Depth=2
	global_load_b64 v[20:21], v[36:37], off offset:1792
	s_wait_alu 0xfffe
	s_or_b32 exec_lo, exec_lo, s42
	s_delay_alu instid0(SALU_CYCLE_1)
	s_mov_b32 s42, exec_lo
	v_cmpx_lt_u32_e64 v99, v135
	s_cbranch_execz .LBB532_500
.LBB532_566:                            ;   in Loop: Header=BB532_396 Depth=2
	global_load_b64 v[18:19], v[36:37], off offset:2048
	s_wait_alu 0xfffe
	s_or_b32 exec_lo, exec_lo, s42
	s_delay_alu instid0(SALU_CYCLE_1)
	s_mov_b32 s42, exec_lo
	v_cmpx_lt_u32_e64 v100, v135
	s_cbranch_execz .LBB532_501
.LBB532_567:                            ;   in Loop: Header=BB532_396 Depth=2
	global_load_b64 v[16:17], v[36:37], off offset:2304
	s_wait_alu 0xfffe
	s_or_b32 exec_lo, exec_lo, s42
	s_delay_alu instid0(SALU_CYCLE_1)
	s_mov_b32 s42, exec_lo
	v_cmpx_lt_u32_e64 v101, v135
	s_cbranch_execz .LBB532_502
.LBB532_568:                            ;   in Loop: Header=BB532_396 Depth=2
	global_load_b64 v[14:15], v[36:37], off offset:2560
	s_wait_alu 0xfffe
	s_or_b32 exec_lo, exec_lo, s42
	s_delay_alu instid0(SALU_CYCLE_1)
	s_mov_b32 s42, exec_lo
	v_cmpx_lt_u32_e64 v102, v135
	s_cbranch_execz .LBB532_503
.LBB532_569:                            ;   in Loop: Header=BB532_396 Depth=2
	global_load_b64 v[12:13], v[36:37], off offset:2816
	s_wait_alu 0xfffe
	s_or_b32 exec_lo, exec_lo, s42
	s_delay_alu instid0(SALU_CYCLE_1)
	s_mov_b32 s42, exec_lo
	v_cmpx_lt_u32_e64 v103, v135
	s_cbranch_execz .LBB532_504
.LBB532_570:                            ;   in Loop: Header=BB532_396 Depth=2
	global_load_b64 v[10:11], v[36:37], off offset:3072
	s_wait_alu 0xfffe
	s_or_b32 exec_lo, exec_lo, s42
	s_delay_alu instid0(SALU_CYCLE_1)
	s_mov_b32 s42, exec_lo
	v_cmpx_lt_u32_e64 v104, v135
	s_cbranch_execz .LBB532_505
.LBB532_571:                            ;   in Loop: Header=BB532_396 Depth=2
	global_load_b64 v[8:9], v[36:37], off offset:3328
	s_wait_alu 0xfffe
	s_or_b32 exec_lo, exec_lo, s42
	s_delay_alu instid0(SALU_CYCLE_1)
	s_mov_b32 s42, exec_lo
	v_cmpx_lt_u32_e64 v105, v135
	s_cbranch_execz .LBB532_506
.LBB532_572:                            ;   in Loop: Header=BB532_396 Depth=2
	global_load_b64 v[6:7], v[36:37], off offset:3584
	s_wait_alu 0xfffe
	s_or_b32 exec_lo, exec_lo, s42
	s_delay_alu instid0(SALU_CYCLE_1)
	s_mov_b32 s42, exec_lo
	v_cmpx_lt_u32_e64 v106, v135
	s_cbranch_execz .LBB532_507
.LBB532_573:                            ;   in Loop: Header=BB532_396 Depth=2
	global_load_b64 v[4:5], v[36:37], off offset:3840
	s_wait_alu 0xfffe
	s_or_b32 exec_lo, exec_lo, s42
	s_and_saveexec_b32 s30, vcc_lo
	s_cbranch_execz .LBB532_508
.LBB532_574:                            ;   in Loop: Header=BB532_396 Depth=2
	ds_load_b32 v2, v70 offset:1024
	s_wait_dscnt 0x0
	v_lshrrev_b32_e32 v2, s31, v2
	s_delay_alu instid0(VALU_DEP_1)
	v_and_b32_e32 v134, s48, v2
	s_wait_alu 0xfffe
	s_or_b32 exec_lo, exec_lo, s30
	s_and_saveexec_b32 s30, s15
	s_cbranch_execz .LBB532_509
.LBB532_575:                            ;   in Loop: Header=BB532_396 Depth=2
	ds_load_b32 v2, v70 offset:2048
	s_wait_dscnt 0x0
	v_lshrrev_b32_e32 v2, s31, v2
	s_delay_alu instid0(VALU_DEP_1)
	v_and_b32_e32 v133, s48, v2
	s_wait_alu 0xfffe
	s_or_b32 exec_lo, exec_lo, s30
	s_and_saveexec_b32 s30, s16
	s_cbranch_execz .LBB532_510
.LBB532_576:                            ;   in Loop: Header=BB532_396 Depth=2
	ds_load_b32 v2, v70 offset:3072
	s_wait_dscnt 0x0
	v_lshrrev_b32_e32 v2, s31, v2
	s_delay_alu instid0(VALU_DEP_1)
	v_and_b32_e32 v132, s48, v2
	s_wait_alu 0xfffe
	s_or_b32 exec_lo, exec_lo, s30
	s_and_saveexec_b32 s30, s17
	s_cbranch_execz .LBB532_511
.LBB532_577:                            ;   in Loop: Header=BB532_396 Depth=2
	ds_load_b32 v2, v70 offset:4096
	s_wait_dscnt 0x0
	v_lshrrev_b32_e32 v2, s31, v2
	s_delay_alu instid0(VALU_DEP_1)
	v_and_b32_e32 v131, s48, v2
	s_wait_alu 0xfffe
	s_or_b32 exec_lo, exec_lo, s30
	s_and_saveexec_b32 s30, s18
	s_cbranch_execz .LBB532_512
.LBB532_578:                            ;   in Loop: Header=BB532_396 Depth=2
	ds_load_b32 v2, v70 offset:5120
	s_wait_dscnt 0x0
	v_lshrrev_b32_e32 v2, s31, v2
	s_delay_alu instid0(VALU_DEP_1)
	v_and_b32_e32 v130, s48, v2
	s_wait_alu 0xfffe
	s_or_b32 exec_lo, exec_lo, s30
	s_and_saveexec_b32 s30, s19
	s_cbranch_execz .LBB532_513
.LBB532_579:                            ;   in Loop: Header=BB532_396 Depth=2
	ds_load_b32 v2, v70 offset:6144
	s_wait_dscnt 0x0
	v_lshrrev_b32_e32 v2, s31, v2
	s_delay_alu instid0(VALU_DEP_1)
	v_and_b32_e32 v129, s48, v2
	s_wait_alu 0xfffe
	s_or_b32 exec_lo, exec_lo, s30
	s_and_saveexec_b32 s30, s20
	s_cbranch_execz .LBB532_514
.LBB532_580:                            ;   in Loop: Header=BB532_396 Depth=2
	ds_load_b32 v2, v70 offset:7168
	s_wait_dscnt 0x0
	v_lshrrev_b32_e32 v2, s31, v2
	s_delay_alu instid0(VALU_DEP_1)
	v_and_b32_e32 v128, s48, v2
	s_wait_alu 0xfffe
	s_or_b32 exec_lo, exec_lo, s30
	s_and_saveexec_b32 s30, s21
	s_cbranch_execz .LBB532_515
.LBB532_581:                            ;   in Loop: Header=BB532_396 Depth=2
	ds_load_b32 v2, v70 offset:8192
	s_wait_dscnt 0x0
	v_lshrrev_b32_e32 v2, s31, v2
	s_delay_alu instid0(VALU_DEP_1)
	v_and_b32_e32 v127, s48, v2
	s_wait_alu 0xfffe
	s_or_b32 exec_lo, exec_lo, s30
	s_and_saveexec_b32 s30, s22
	s_cbranch_execz .LBB532_516
.LBB532_582:                            ;   in Loop: Header=BB532_396 Depth=2
	ds_load_b32 v2, v70 offset:9216
	s_wait_dscnt 0x0
	v_lshrrev_b32_e32 v2, s31, v2
	s_delay_alu instid0(VALU_DEP_1)
	v_and_b32_e32 v126, s48, v2
	s_wait_alu 0xfffe
	s_or_b32 exec_lo, exec_lo, s30
	s_and_saveexec_b32 s30, s23
	s_cbranch_execz .LBB532_517
.LBB532_583:                            ;   in Loop: Header=BB532_396 Depth=2
	ds_load_b32 v2, v70 offset:10240
	s_wait_dscnt 0x0
	v_lshrrev_b32_e32 v2, s31, v2
	s_delay_alu instid0(VALU_DEP_1)
	v_and_b32_e32 v125, s48, v2
	s_wait_alu 0xfffe
	s_or_b32 exec_lo, exec_lo, s30
	s_and_saveexec_b32 s30, s24
	s_cbranch_execz .LBB532_518
.LBB532_584:                            ;   in Loop: Header=BB532_396 Depth=2
	ds_load_b32 v2, v70 offset:11264
	s_wait_dscnt 0x0
	v_lshrrev_b32_e32 v2, s31, v2
	s_delay_alu instid0(VALU_DEP_1)
	v_and_b32_e32 v124, s48, v2
	s_wait_alu 0xfffe
	s_or_b32 exec_lo, exec_lo, s30
	s_and_saveexec_b32 s30, s25
	s_cbranch_execz .LBB532_519
.LBB532_585:                            ;   in Loop: Header=BB532_396 Depth=2
	ds_load_b32 v2, v70 offset:12288
	s_wait_dscnt 0x0
	v_lshrrev_b32_e32 v2, s31, v2
	s_delay_alu instid0(VALU_DEP_1)
	v_and_b32_e32 v123, s48, v2
	s_wait_alu 0xfffe
	s_or_b32 exec_lo, exec_lo, s30
	s_and_saveexec_b32 s30, s26
	s_cbranch_execz .LBB532_520
.LBB532_586:                            ;   in Loop: Header=BB532_396 Depth=2
	ds_load_b32 v2, v70 offset:13312
	s_wait_dscnt 0x0
	v_lshrrev_b32_e32 v2, s31, v2
	s_delay_alu instid0(VALU_DEP_1)
	v_and_b32_e32 v122, s48, v2
	s_wait_alu 0xfffe
	s_or_b32 exec_lo, exec_lo, s30
	s_and_saveexec_b32 s30, s27
	s_cbranch_execz .LBB532_521
.LBB532_587:                            ;   in Loop: Header=BB532_396 Depth=2
	ds_load_b32 v2, v70 offset:14336
	s_wait_dscnt 0x0
	v_lshrrev_b32_e32 v2, s31, v2
	s_delay_alu instid0(VALU_DEP_1)
	v_and_b32_e32 v121, s48, v2
	s_wait_alu 0xfffe
	s_or_b32 exec_lo, exec_lo, s30
	s_and_saveexec_b32 s30, s28
	s_cbranch_execz .LBB532_522
.LBB532_588:                            ;   in Loop: Header=BB532_396 Depth=2
	ds_load_b32 v2, v70 offset:15360
	s_wait_dscnt 0x0
	v_lshrrev_b32_e32 v2, s31, v2
	s_delay_alu instid0(VALU_DEP_1)
	v_and_b32_e32 v120, s48, v2
	s_wait_alu 0xfffe
	s_or_b32 exec_lo, exec_lo, s30
	s_and_saveexec_b32 s30, s29
	s_cbranch_execnz .LBB532_523
	s_branch .LBB532_524
.LBB532_589:                            ;   in Loop: Header=BB532_396 Depth=2
	v_lshlrev_b32_e32 v2, 2, v134
	v_add_nc_u32_e32 v36, v70, v44
	ds_load_b32 v2, v2
	ds_load_b64 v[36:37], v36 offset:1024
	s_wait_dscnt 0x1
	v_add_nc_u32_e32 v2, v2, v1
	s_delay_alu instid0(VALU_DEP_1) | instskip(NEXT) | instid1(VALU_DEP_1)
	v_lshlrev_b64_e32 v[39:40], 3, v[2:3]
	v_add_co_u32 v39, vcc_lo, s46, v39
	s_wait_alu 0xfffd
	s_delay_alu instid0(VALU_DEP_2)
	v_add_co_ci_u32_e64 v40, null, s47, v40, vcc_lo
	s_wait_dscnt 0x0
	global_store_b64 v[39:40], v[36:37], off
	s_wait_alu 0xfffe
	s_or_b32 exec_lo, exec_lo, s30
	s_and_saveexec_b32 s30, s15
	s_cbranch_execz .LBB532_526
.LBB532_590:                            ;   in Loop: Header=BB532_396 Depth=2
	v_lshlrev_b32_e32 v2, 2, v133
	v_add_nc_u32_e32 v36, v70, v44
	ds_load_b32 v2, v2
	ds_load_b64 v[36:37], v36 offset:3072
	s_wait_dscnt 0x1
	v_add_nc_u32_e32 v2, v2, v45
	s_delay_alu instid0(VALU_DEP_1) | instskip(NEXT) | instid1(VALU_DEP_1)
	v_lshlrev_b64_e32 v[39:40], 3, v[2:3]
	v_add_co_u32 v39, vcc_lo, s46, v39
	s_wait_alu 0xfffd
	s_delay_alu instid0(VALU_DEP_2)
	v_add_co_ci_u32_e64 v40, null, s47, v40, vcc_lo
	s_wait_dscnt 0x0
	global_store_b64 v[39:40], v[36:37], off
	s_wait_alu 0xfffe
	s_or_b32 exec_lo, exec_lo, s30
	s_and_saveexec_b32 s15, s16
	s_cbranch_execz .LBB532_527
.LBB532_591:                            ;   in Loop: Header=BB532_396 Depth=2
	v_lshlrev_b32_e32 v2, 2, v132
	v_add_nc_u32_e32 v36, v70, v44
	ds_load_b32 v2, v2
	ds_load_b64 v[36:37], v36 offset:5120
	s_wait_dscnt 0x1
	v_add_nc_u32_e32 v2, v2, v46
	s_delay_alu instid0(VALU_DEP_1) | instskip(NEXT) | instid1(VALU_DEP_1)
	v_lshlrev_b64_e32 v[39:40], 3, v[2:3]
	v_add_co_u32 v39, vcc_lo, s46, v39
	s_wait_alu 0xfffd
	s_delay_alu instid0(VALU_DEP_2)
	v_add_co_ci_u32_e64 v40, null, s47, v40, vcc_lo
	s_wait_dscnt 0x0
	global_store_b64 v[39:40], v[36:37], off
	s_wait_alu 0xfffe
	s_or_b32 exec_lo, exec_lo, s15
	s_and_saveexec_b32 s15, s17
	s_cbranch_execz .LBB532_528
.LBB532_592:                            ;   in Loop: Header=BB532_396 Depth=2
	v_lshlrev_b32_e32 v2, 2, v131
	v_add_nc_u32_e32 v36, v70, v44
	ds_load_b32 v2, v2
	ds_load_b64 v[36:37], v36 offset:7168
	s_wait_dscnt 0x1
	v_add_nc_u32_e32 v2, v2, v47
	s_delay_alu instid0(VALU_DEP_1) | instskip(NEXT) | instid1(VALU_DEP_1)
	v_lshlrev_b64_e32 v[39:40], 3, v[2:3]
	v_add_co_u32 v39, vcc_lo, s46, v39
	s_wait_alu 0xfffd
	s_delay_alu instid0(VALU_DEP_2)
	v_add_co_ci_u32_e64 v40, null, s47, v40, vcc_lo
	s_wait_dscnt 0x0
	global_store_b64 v[39:40], v[36:37], off
	s_wait_alu 0xfffe
	s_or_b32 exec_lo, exec_lo, s15
	s_and_saveexec_b32 s15, s18
	s_cbranch_execz .LBB532_529
.LBB532_593:                            ;   in Loop: Header=BB532_396 Depth=2
	v_lshlrev_b32_e32 v2, 2, v130
	v_add_nc_u32_e32 v36, v70, v44
	ds_load_b32 v2, v2
	ds_load_b64 v[36:37], v36 offset:9216
	s_wait_dscnt 0x1
	v_add_nc_u32_e32 v2, v2, v50
	s_delay_alu instid0(VALU_DEP_1) | instskip(NEXT) | instid1(VALU_DEP_1)
	v_lshlrev_b64_e32 v[39:40], 3, v[2:3]
	v_add_co_u32 v39, vcc_lo, s46, v39
	s_wait_alu 0xfffd
	s_delay_alu instid0(VALU_DEP_2)
	v_add_co_ci_u32_e64 v40, null, s47, v40, vcc_lo
	s_wait_dscnt 0x0
	global_store_b64 v[39:40], v[36:37], off
	s_wait_alu 0xfffe
	s_or_b32 exec_lo, exec_lo, s15
	s_and_saveexec_b32 s15, s19
	s_cbranch_execz .LBB532_530
.LBB532_594:                            ;   in Loop: Header=BB532_396 Depth=2
	v_lshlrev_b32_e32 v2, 2, v129
	v_add_nc_u32_e32 v36, v70, v44
	ds_load_b32 v2, v2
	ds_load_b64 v[36:37], v36 offset:11264
	s_wait_dscnt 0x1
	v_add_nc_u32_e32 v2, v2, v51
	s_delay_alu instid0(VALU_DEP_1) | instskip(NEXT) | instid1(VALU_DEP_1)
	v_lshlrev_b64_e32 v[39:40], 3, v[2:3]
	v_add_co_u32 v39, vcc_lo, s46, v39
	s_wait_alu 0xfffd
	s_delay_alu instid0(VALU_DEP_2)
	v_add_co_ci_u32_e64 v40, null, s47, v40, vcc_lo
	s_wait_dscnt 0x0
	global_store_b64 v[39:40], v[36:37], off
	s_wait_alu 0xfffe
	s_or_b32 exec_lo, exec_lo, s15
	s_and_saveexec_b32 s15, s20
	s_cbranch_execz .LBB532_531
.LBB532_595:                            ;   in Loop: Header=BB532_396 Depth=2
	v_lshlrev_b32_e32 v2, 2, v128
	v_add_nc_u32_e32 v36, v70, v44
	ds_load_b32 v2, v2
	ds_load_b64 v[36:37], v36 offset:13312
	s_wait_dscnt 0x1
	v_add_nc_u32_e32 v2, v2, v52
	s_delay_alu instid0(VALU_DEP_1) | instskip(NEXT) | instid1(VALU_DEP_1)
	v_lshlrev_b64_e32 v[39:40], 3, v[2:3]
	v_add_co_u32 v39, vcc_lo, s46, v39
	s_wait_alu 0xfffd
	s_delay_alu instid0(VALU_DEP_2)
	v_add_co_ci_u32_e64 v40, null, s47, v40, vcc_lo
	s_wait_dscnt 0x0
	global_store_b64 v[39:40], v[36:37], off
	s_wait_alu 0xfffe
	s_or_b32 exec_lo, exec_lo, s15
	s_and_saveexec_b32 s15, s21
	s_cbranch_execz .LBB532_532
.LBB532_596:                            ;   in Loop: Header=BB532_396 Depth=2
	v_lshlrev_b32_e32 v2, 2, v127
	v_add_nc_u32_e32 v36, v70, v44
	ds_load_b32 v2, v2
	ds_load_b64 v[36:37], v36 offset:15360
	s_wait_dscnt 0x1
	v_add_nc_u32_e32 v2, v2, v53
	s_delay_alu instid0(VALU_DEP_1) | instskip(NEXT) | instid1(VALU_DEP_1)
	v_lshlrev_b64_e32 v[39:40], 3, v[2:3]
	v_add_co_u32 v39, vcc_lo, s46, v39
	s_wait_alu 0xfffd
	s_delay_alu instid0(VALU_DEP_2)
	v_add_co_ci_u32_e64 v40, null, s47, v40, vcc_lo
	s_wait_dscnt 0x0
	global_store_b64 v[39:40], v[36:37], off
	s_wait_alu 0xfffe
	s_or_b32 exec_lo, exec_lo, s15
	s_and_saveexec_b32 s15, s22
	s_cbranch_execz .LBB532_533
.LBB532_597:                            ;   in Loop: Header=BB532_396 Depth=2
	v_lshlrev_b32_e32 v2, 2, v126
	v_add_nc_u32_e32 v36, v70, v44
	ds_load_b32 v2, v2
	ds_load_b64 v[36:37], v36 offset:17408
	s_wait_dscnt 0x1
	v_add_nc_u32_e32 v2, v2, v54
	s_delay_alu instid0(VALU_DEP_1) | instskip(NEXT) | instid1(VALU_DEP_1)
	v_lshlrev_b64_e32 v[39:40], 3, v[2:3]
	v_add_co_u32 v39, vcc_lo, s46, v39
	s_wait_alu 0xfffd
	s_delay_alu instid0(VALU_DEP_2)
	v_add_co_ci_u32_e64 v40, null, s47, v40, vcc_lo
	s_wait_dscnt 0x0
	global_store_b64 v[39:40], v[36:37], off
	s_wait_alu 0xfffe
	s_or_b32 exec_lo, exec_lo, s15
	s_and_saveexec_b32 s15, s23
	s_cbranch_execz .LBB532_534
.LBB532_598:                            ;   in Loop: Header=BB532_396 Depth=2
	v_lshlrev_b32_e32 v2, 2, v125
	v_add_nc_u32_e32 v36, v70, v44
	ds_load_b32 v2, v2
	ds_load_b64 v[36:37], v36 offset:19456
	s_wait_dscnt 0x1
	v_add_nc_u32_e32 v2, v2, v55
	s_delay_alu instid0(VALU_DEP_1) | instskip(NEXT) | instid1(VALU_DEP_1)
	v_lshlrev_b64_e32 v[39:40], 3, v[2:3]
	v_add_co_u32 v39, vcc_lo, s46, v39
	s_wait_alu 0xfffd
	s_delay_alu instid0(VALU_DEP_2)
	v_add_co_ci_u32_e64 v40, null, s47, v40, vcc_lo
	s_wait_dscnt 0x0
	global_store_b64 v[39:40], v[36:37], off
	s_wait_alu 0xfffe
	s_or_b32 exec_lo, exec_lo, s15
	s_and_saveexec_b32 s15, s24
	s_cbranch_execz .LBB532_535
.LBB532_599:                            ;   in Loop: Header=BB532_396 Depth=2
	v_lshlrev_b32_e32 v2, 2, v124
	v_add_nc_u32_e32 v36, v70, v44
	ds_load_b32 v2, v2
	ds_load_b64 v[36:37], v36 offset:21504
	s_wait_dscnt 0x1
	v_add_nc_u32_e32 v2, v2, v56
	s_delay_alu instid0(VALU_DEP_1) | instskip(NEXT) | instid1(VALU_DEP_1)
	v_lshlrev_b64_e32 v[39:40], 3, v[2:3]
	v_add_co_u32 v39, vcc_lo, s46, v39
	s_wait_alu 0xfffd
	s_delay_alu instid0(VALU_DEP_2)
	v_add_co_ci_u32_e64 v40, null, s47, v40, vcc_lo
	s_wait_dscnt 0x0
	global_store_b64 v[39:40], v[36:37], off
	s_wait_alu 0xfffe
	s_or_b32 exec_lo, exec_lo, s15
	s_and_saveexec_b32 s15, s25
	s_cbranch_execz .LBB532_536
.LBB532_600:                            ;   in Loop: Header=BB532_396 Depth=2
	v_lshlrev_b32_e32 v2, 2, v123
	v_add_nc_u32_e32 v36, v70, v44
	ds_load_b32 v2, v2
	ds_load_b64 v[36:37], v36 offset:23552
	s_wait_dscnt 0x1
	v_add_nc_u32_e32 v2, v2, v57
	s_delay_alu instid0(VALU_DEP_1) | instskip(NEXT) | instid1(VALU_DEP_1)
	v_lshlrev_b64_e32 v[39:40], 3, v[2:3]
	v_add_co_u32 v39, vcc_lo, s46, v39
	s_wait_alu 0xfffd
	s_delay_alu instid0(VALU_DEP_2)
	v_add_co_ci_u32_e64 v40, null, s47, v40, vcc_lo
	s_wait_dscnt 0x0
	global_store_b64 v[39:40], v[36:37], off
	s_wait_alu 0xfffe
	s_or_b32 exec_lo, exec_lo, s15
	s_and_saveexec_b32 s15, s26
	s_cbranch_execz .LBB532_537
.LBB532_601:                            ;   in Loop: Header=BB532_396 Depth=2
	v_lshlrev_b32_e32 v2, 2, v122
	v_add_nc_u32_e32 v36, v70, v44
	ds_load_b32 v2, v2
	ds_load_b64 v[36:37], v36 offset:25600
	s_wait_dscnt 0x1
	v_add_nc_u32_e32 v2, v2, v58
	s_delay_alu instid0(VALU_DEP_1) | instskip(NEXT) | instid1(VALU_DEP_1)
	v_lshlrev_b64_e32 v[39:40], 3, v[2:3]
	v_add_co_u32 v39, vcc_lo, s46, v39
	s_wait_alu 0xfffd
	s_delay_alu instid0(VALU_DEP_2)
	v_add_co_ci_u32_e64 v40, null, s47, v40, vcc_lo
	s_wait_dscnt 0x0
	global_store_b64 v[39:40], v[36:37], off
	s_wait_alu 0xfffe
	s_or_b32 exec_lo, exec_lo, s15
	s_and_saveexec_b32 s15, s27
	s_cbranch_execz .LBB532_538
.LBB532_602:                            ;   in Loop: Header=BB532_396 Depth=2
	v_lshlrev_b32_e32 v2, 2, v121
	v_add_nc_u32_e32 v36, v70, v44
	ds_load_b32 v2, v2
	ds_load_b64 v[36:37], v36 offset:27648
	s_wait_dscnt 0x1
	v_add_nc_u32_e32 v2, v2, v59
	s_delay_alu instid0(VALU_DEP_1) | instskip(NEXT) | instid1(VALU_DEP_1)
	v_lshlrev_b64_e32 v[39:40], 3, v[2:3]
	v_add_co_u32 v39, vcc_lo, s46, v39
	s_wait_alu 0xfffd
	s_delay_alu instid0(VALU_DEP_2)
	v_add_co_ci_u32_e64 v40, null, s47, v40, vcc_lo
	s_wait_dscnt 0x0
	global_store_b64 v[39:40], v[36:37], off
	s_wait_alu 0xfffe
	s_or_b32 exec_lo, exec_lo, s15
	s_and_saveexec_b32 s15, s28
	s_cbranch_execz .LBB532_539
.LBB532_603:                            ;   in Loop: Header=BB532_396 Depth=2
	v_lshlrev_b32_e32 v2, 2, v120
	v_add_nc_u32_e32 v36, v70, v44
	ds_load_b32 v2, v2
	ds_load_b64 v[36:37], v36 offset:29696
	s_wait_dscnt 0x1
	v_add_nc_u32_e32 v2, v2, v60
	s_delay_alu instid0(VALU_DEP_1) | instskip(NEXT) | instid1(VALU_DEP_1)
	v_lshlrev_b64_e32 v[39:40], 3, v[2:3]
	v_add_co_u32 v39, vcc_lo, s46, v39
	s_wait_alu 0xfffd
	s_delay_alu instid0(VALU_DEP_2)
	v_add_co_ci_u32_e64 v40, null, s47, v40, vcc_lo
	s_wait_dscnt 0x0
	global_store_b64 v[39:40], v[36:37], off
	s_wait_alu 0xfffe
	s_or_b32 exec_lo, exec_lo, s15
	s_and_saveexec_b32 s15, s29
	s_cbranch_execnz .LBB532_540
	s_branch .LBB532_541
.LBB532_604:                            ;   in Loop: Header=BB532_20 Depth=1
	s_wait_loadcnt_dscnt 0x0
	s_barrier_signal -1
	s_barrier_wait -1
.LBB532_605:                            ;   in Loop: Header=BB532_20 Depth=1
	s_mov_b32 s0, 0
.LBB532_606:                            ;   in Loop: Header=BB532_20 Depth=1
	s_wait_alu 0xfffe
	s_and_not1_b32 vcc_lo, exec_lo, s0
	s_wait_alu 0xfffe
	s_cbranch_vccnz .LBB532_19
; %bb.607:                              ;   in Loop: Header=BB532_20 Depth=1
	s_and_b32 vcc_lo, exec_lo, s52
	s_mov_b32 s0, -1
	s_wait_alu 0xfffe
	s_cbranch_vccz .LBB532_899
; %bb.608:                              ;   in Loop: Header=BB532_20 Depth=1
	s_mov_b32 s9, s53
	s_mov_b32 s42, s33
	s_barrier_signal -1
	s_barrier_wait -1
	global_inv scope:SCOPE_SE
                                        ; implicit-def: $vgpr2
                                        ; implicit-def: $vgpr4
                                        ; implicit-def: $vgpr5
                                        ; implicit-def: $vgpr6
                                        ; implicit-def: $vgpr7
                                        ; implicit-def: $vgpr8
                                        ; implicit-def: $vgpr9
                                        ; implicit-def: $vgpr10
                                        ; implicit-def: $vgpr11
                                        ; implicit-def: $vgpr12
                                        ; implicit-def: $vgpr13
                                        ; implicit-def: $vgpr14
                                        ; implicit-def: $vgpr15
                                        ; implicit-def: $vgpr16
                                        ; implicit-def: $vgpr17
                                        ; implicit-def: $vgpr18
	s_branch .LBB532_610
.LBB532_609:                            ;   in Loop: Header=BB532_610 Depth=2
	s_wait_alu 0xfffe
	s_or_b32 exec_lo, exec_lo, s0
	s_addk_co_i32 s9, 0xf000
	s_cmp_ge_u32 s10, s51
	s_mov_b32 s42, s10
	s_cbranch_scc1 .LBB532_678
.LBB532_610:                            ;   Parent Loop BB532_20 Depth=1
                                        ; =>  This Inner Loop Header: Depth=2
	s_wait_alu 0xfffe
	s_add_co_i32 s10, s42, 0x1000
	s_mov_b32 s0, -1
	s_wait_alu 0xfffe
	s_cmp_gt_u32 s10, s51
                                        ; implicit-def: $vgpr19
                                        ; implicit-def: $vgpr20
                                        ; implicit-def: $vgpr21
                                        ; implicit-def: $vgpr22
                                        ; implicit-def: $vgpr23
                                        ; implicit-def: $vgpr24
                                        ; implicit-def: $vgpr25
                                        ; implicit-def: $vgpr26
                                        ; implicit-def: $vgpr27
                                        ; implicit-def: $vgpr28
                                        ; implicit-def: $vgpr29
                                        ; implicit-def: $vgpr30
                                        ; implicit-def: $vgpr31
                                        ; implicit-def: $vgpr32
                                        ; implicit-def: $vgpr33
                                        ; implicit-def: $vgpr34
	s_cbranch_scc1 .LBB532_612
; %bb.611:                              ;   in Loop: Header=BB532_610 Depth=2
	s_lshl_b64 s[0:1], s[42:43], 2
	s_wait_alu 0xfffe
	v_add_co_u32 v34, vcc_lo, v77, s0
	s_wait_alu 0xfffd
	v_add_co_ci_u32_e64 v35, null, s1, v78, vcc_lo
	s_mov_b32 s0, 0
	s_clause 0xf
	global_load_b32 v19, v[34:35], off
	global_load_b32 v20, v[34:35], off offset:1024
	global_load_b32 v21, v[34:35], off offset:2048
	;; [unrolled: 1-line block ×15, first 2 shown]
.LBB532_612:                            ;   in Loop: Header=BB532_610 Depth=2
	s_wait_alu 0xfffe
	s_and_not1_b32 vcc_lo, exec_lo, s0
	s_movk_i32 s0, 0x1000
	s_wait_alu 0xfffe
	s_cbranch_vccnz .LBB532_631
; %bb.613:                              ;   in Loop: Header=BB532_610 Depth=2
	s_lshl_b64 s[0:1], s[42:43], 2
	s_mov_b32 s11, exec_lo
	s_wait_alu 0xfffe
	s_add_nc_u64 s[0:1], s[36:37], s[0:1]
	v_cmpx_gt_u32_e64 s9, v1
	s_cbranch_execnz .LBB532_663
; %bb.614:                              ;   in Loop: Header=BB532_610 Depth=2
	s_or_b32 exec_lo, exec_lo, s11
	s_delay_alu instid0(SALU_CYCLE_1)
	s_mov_b32 s11, exec_lo
	v_cmpx_gt_u32_e64 s9, v45
	s_cbranch_execnz .LBB532_664
.LBB532_615:                            ;   in Loop: Header=BB532_610 Depth=2
	s_wait_alu 0xfffe
	s_or_b32 exec_lo, exec_lo, s11
	s_delay_alu instid0(SALU_CYCLE_1)
	s_mov_b32 s11, exec_lo
	v_cmpx_gt_u32_e64 s9, v46
	s_cbranch_execnz .LBB532_665
.LBB532_616:                            ;   in Loop: Header=BB532_610 Depth=2
	s_wait_alu 0xfffe
	s_or_b32 exec_lo, exec_lo, s11
	s_delay_alu instid0(SALU_CYCLE_1)
	s_mov_b32 s11, exec_lo
	v_cmpx_gt_u32_e64 s9, v47
	s_cbranch_execnz .LBB532_666
.LBB532_617:                            ;   in Loop: Header=BB532_610 Depth=2
	s_wait_alu 0xfffe
	s_or_b32 exec_lo, exec_lo, s11
	s_delay_alu instid0(SALU_CYCLE_1)
	s_mov_b32 s11, exec_lo
	v_cmpx_gt_u32_e64 s9, v50
	s_cbranch_execnz .LBB532_667
.LBB532_618:                            ;   in Loop: Header=BB532_610 Depth=2
	s_wait_alu 0xfffe
	s_or_b32 exec_lo, exec_lo, s11
	s_delay_alu instid0(SALU_CYCLE_1)
	s_mov_b32 s11, exec_lo
	v_cmpx_gt_u32_e64 s9, v51
	s_cbranch_execnz .LBB532_668
.LBB532_619:                            ;   in Loop: Header=BB532_610 Depth=2
	s_wait_alu 0xfffe
	s_or_b32 exec_lo, exec_lo, s11
	s_delay_alu instid0(SALU_CYCLE_1)
	s_mov_b32 s11, exec_lo
	v_cmpx_gt_u32_e64 s9, v52
	s_cbranch_execnz .LBB532_669
.LBB532_620:                            ;   in Loop: Header=BB532_610 Depth=2
	s_wait_alu 0xfffe
	s_or_b32 exec_lo, exec_lo, s11
	s_delay_alu instid0(SALU_CYCLE_1)
	s_mov_b32 s11, exec_lo
	v_cmpx_gt_u32_e64 s9, v53
	s_cbranch_execnz .LBB532_670
.LBB532_621:                            ;   in Loop: Header=BB532_610 Depth=2
	s_wait_alu 0xfffe
	s_or_b32 exec_lo, exec_lo, s11
	s_delay_alu instid0(SALU_CYCLE_1)
	s_mov_b32 s11, exec_lo
	v_cmpx_gt_u32_e64 s9, v54
	s_cbranch_execnz .LBB532_671
.LBB532_622:                            ;   in Loop: Header=BB532_610 Depth=2
	s_wait_alu 0xfffe
	s_or_b32 exec_lo, exec_lo, s11
	s_delay_alu instid0(SALU_CYCLE_1)
	s_mov_b32 s11, exec_lo
	v_cmpx_gt_u32_e64 s9, v55
	s_cbranch_execnz .LBB532_672
.LBB532_623:                            ;   in Loop: Header=BB532_610 Depth=2
	s_wait_alu 0xfffe
	s_or_b32 exec_lo, exec_lo, s11
	s_delay_alu instid0(SALU_CYCLE_1)
	s_mov_b32 s11, exec_lo
	v_cmpx_gt_u32_e64 s9, v56
	s_cbranch_execnz .LBB532_673
.LBB532_624:                            ;   in Loop: Header=BB532_610 Depth=2
	s_wait_alu 0xfffe
	s_or_b32 exec_lo, exec_lo, s11
	s_delay_alu instid0(SALU_CYCLE_1)
	s_mov_b32 s11, exec_lo
	v_cmpx_gt_u32_e64 s9, v57
	s_cbranch_execnz .LBB532_674
.LBB532_625:                            ;   in Loop: Header=BB532_610 Depth=2
	s_wait_alu 0xfffe
	s_or_b32 exec_lo, exec_lo, s11
	s_delay_alu instid0(SALU_CYCLE_1)
	s_mov_b32 s11, exec_lo
	v_cmpx_gt_u32_e64 s9, v58
	s_cbranch_execnz .LBB532_675
.LBB532_626:                            ;   in Loop: Header=BB532_610 Depth=2
	s_wait_alu 0xfffe
	s_or_b32 exec_lo, exec_lo, s11
	s_delay_alu instid0(SALU_CYCLE_1)
	s_mov_b32 s11, exec_lo
	v_cmpx_gt_u32_e64 s9, v59
	s_cbranch_execnz .LBB532_676
.LBB532_627:                            ;   in Loop: Header=BB532_610 Depth=2
	s_wait_alu 0xfffe
	s_or_b32 exec_lo, exec_lo, s11
	s_delay_alu instid0(SALU_CYCLE_1)
	s_mov_b32 s11, exec_lo
	v_cmpx_gt_u32_e64 s9, v60
	s_cbranch_execnz .LBB532_677
.LBB532_628:                            ;   in Loop: Header=BB532_610 Depth=2
	s_wait_alu 0xfffe
	s_or_b32 exec_lo, exec_lo, s11
	s_delay_alu instid0(SALU_CYCLE_1)
	s_mov_b32 s11, exec_lo
	v_cmpx_gt_u32_e64 s9, v61
	s_cbranch_execz .LBB532_630
.LBB532_629:                            ;   in Loop: Header=BB532_610 Depth=2
	global_load_b32 v2, v108, s[0:1] offset:15360
.LBB532_630:                            ;   in Loop: Header=BB532_610 Depth=2
	s_wait_alu 0xfffe
	s_or_b32 exec_lo, exec_lo, s11
	s_wait_loadcnt 0x0
	v_dual_mov_b32 v19, v18 :: v_dual_mov_b32 v20, v17
	v_dual_mov_b32 v21, v16 :: v_dual_mov_b32 v22, v15
	;; [unrolled: 1-line block ×8, first 2 shown]
	s_mov_b32 s0, s9
.LBB532_631:                            ;   in Loop: Header=BB532_610 Depth=2
	s_wait_loadcnt 0x0
	s_delay_alu instid0(VALU_DEP_1) | instskip(NEXT) | instid1(VALU_DEP_2)
	v_dual_mov_b32 v2, v34 :: v_dual_mov_b32 v5, v32
	v_dual_mov_b32 v4, v33 :: v_dual_mov_b32 v7, v30
	;; [unrolled: 1-line block ×7, first 2 shown]
	v_mov_b32_e32 v16, v21
	v_mov_b32_e32 v18, v19
	s_mov_b32 s1, exec_lo
	s_wait_alu 0xfffe
	v_cmpx_gt_u32_e64 s0, v1
	s_cbranch_execnz .LBB532_647
; %bb.632:                              ;   in Loop: Header=BB532_610 Depth=2
	s_or_b32 exec_lo, exec_lo, s1
	s_delay_alu instid0(SALU_CYCLE_1)
	s_mov_b32 s1, exec_lo
	v_cmpx_gt_u32_e64 s0, v45
	s_cbranch_execnz .LBB532_648
.LBB532_633:                            ;   in Loop: Header=BB532_610 Depth=2
	s_wait_alu 0xfffe
	s_or_b32 exec_lo, exec_lo, s1
	s_delay_alu instid0(SALU_CYCLE_1)
	s_mov_b32 s1, exec_lo
	v_cmpx_gt_u32_e64 s0, v46
	s_cbranch_execnz .LBB532_649
.LBB532_634:                            ;   in Loop: Header=BB532_610 Depth=2
	s_wait_alu 0xfffe
	s_or_b32 exec_lo, exec_lo, s1
	s_delay_alu instid0(SALU_CYCLE_1)
	s_mov_b32 s1, exec_lo
	v_cmpx_gt_u32_e64 s0, v47
	s_cbranch_execnz .LBB532_650
.LBB532_635:                            ;   in Loop: Header=BB532_610 Depth=2
	s_wait_alu 0xfffe
	s_or_b32 exec_lo, exec_lo, s1
	s_delay_alu instid0(SALU_CYCLE_1)
	s_mov_b32 s1, exec_lo
	v_cmpx_gt_u32_e64 s0, v50
	s_cbranch_execnz .LBB532_651
.LBB532_636:                            ;   in Loop: Header=BB532_610 Depth=2
	s_wait_alu 0xfffe
	s_or_b32 exec_lo, exec_lo, s1
	s_delay_alu instid0(SALU_CYCLE_1)
	s_mov_b32 s1, exec_lo
	v_cmpx_gt_u32_e64 s0, v51
	s_cbranch_execnz .LBB532_652
.LBB532_637:                            ;   in Loop: Header=BB532_610 Depth=2
	s_wait_alu 0xfffe
	s_or_b32 exec_lo, exec_lo, s1
	s_delay_alu instid0(SALU_CYCLE_1)
	s_mov_b32 s1, exec_lo
	v_cmpx_gt_u32_e64 s0, v52
	s_cbranch_execnz .LBB532_653
.LBB532_638:                            ;   in Loop: Header=BB532_610 Depth=2
	s_wait_alu 0xfffe
	s_or_b32 exec_lo, exec_lo, s1
	s_delay_alu instid0(SALU_CYCLE_1)
	s_mov_b32 s1, exec_lo
	v_cmpx_gt_u32_e64 s0, v53
	s_cbranch_execnz .LBB532_654
.LBB532_639:                            ;   in Loop: Header=BB532_610 Depth=2
	s_wait_alu 0xfffe
	s_or_b32 exec_lo, exec_lo, s1
	s_delay_alu instid0(SALU_CYCLE_1)
	s_mov_b32 s1, exec_lo
	v_cmpx_gt_u32_e64 s0, v54
	s_cbranch_execnz .LBB532_655
.LBB532_640:                            ;   in Loop: Header=BB532_610 Depth=2
	s_wait_alu 0xfffe
	s_or_b32 exec_lo, exec_lo, s1
	s_delay_alu instid0(SALU_CYCLE_1)
	s_mov_b32 s1, exec_lo
	v_cmpx_gt_u32_e64 s0, v55
	s_cbranch_execnz .LBB532_656
.LBB532_641:                            ;   in Loop: Header=BB532_610 Depth=2
	s_wait_alu 0xfffe
	s_or_b32 exec_lo, exec_lo, s1
	s_delay_alu instid0(SALU_CYCLE_1)
	s_mov_b32 s1, exec_lo
	v_cmpx_gt_u32_e64 s0, v56
	s_cbranch_execnz .LBB532_657
.LBB532_642:                            ;   in Loop: Header=BB532_610 Depth=2
	s_wait_alu 0xfffe
	s_or_b32 exec_lo, exec_lo, s1
	s_delay_alu instid0(SALU_CYCLE_1)
	s_mov_b32 s1, exec_lo
	v_cmpx_gt_u32_e64 s0, v57
	s_cbranch_execnz .LBB532_658
.LBB532_643:                            ;   in Loop: Header=BB532_610 Depth=2
	s_wait_alu 0xfffe
	s_or_b32 exec_lo, exec_lo, s1
	s_delay_alu instid0(SALU_CYCLE_1)
	s_mov_b32 s1, exec_lo
	v_cmpx_gt_u32_e64 s0, v58
	s_cbranch_execnz .LBB532_659
.LBB532_644:                            ;   in Loop: Header=BB532_610 Depth=2
	s_wait_alu 0xfffe
	s_or_b32 exec_lo, exec_lo, s1
	s_delay_alu instid0(SALU_CYCLE_1)
	s_mov_b32 s1, exec_lo
	v_cmpx_gt_u32_e64 s0, v59
	s_cbranch_execnz .LBB532_660
.LBB532_645:                            ;   in Loop: Header=BB532_610 Depth=2
	s_wait_alu 0xfffe
	s_or_b32 exec_lo, exec_lo, s1
	s_delay_alu instid0(SALU_CYCLE_1)
	s_mov_b32 s1, exec_lo
	v_cmpx_gt_u32_e64 s0, v60
	s_cbranch_execnz .LBB532_661
.LBB532_646:                            ;   in Loop: Header=BB532_610 Depth=2
	s_wait_alu 0xfffe
	s_or_b32 exec_lo, exec_lo, s1
	v_cmp_gt_u32_e32 vcc_lo, s0, v61
	s_and_saveexec_b32 s0, vcc_lo
	s_cbranch_execz .LBB532_609
	s_branch .LBB532_662
.LBB532_647:                            ;   in Loop: Header=BB532_610 Depth=2
	v_xor_b32_e32 v19, 0x7fffffff, v18
	s_delay_alu instid0(VALU_DEP_1) | instskip(NEXT) | instid1(VALU_DEP_1)
	v_lshrrev_b32_e32 v19, s49, v19
	v_and_b32_e32 v19, s48, v19
	s_delay_alu instid0(VALU_DEP_1) | instskip(SKIP_2) | instid1(SALU_CYCLE_1)
	v_lshl_or_b32 v19, v19, 4, v62
	ds_add_u32 v19, v84
	s_or_b32 exec_lo, exec_lo, s1
	s_mov_b32 s1, exec_lo
	v_cmpx_gt_u32_e64 s0, v45
	s_cbranch_execz .LBB532_633
.LBB532_648:                            ;   in Loop: Header=BB532_610 Depth=2
	v_xor_b32_e32 v19, 0x7fffffff, v17
	s_delay_alu instid0(VALU_DEP_1) | instskip(NEXT) | instid1(VALU_DEP_1)
	v_lshrrev_b32_e32 v19, s49, v19
	v_and_b32_e32 v19, s48, v19
	s_delay_alu instid0(VALU_DEP_1) | instskip(SKIP_3) | instid1(SALU_CYCLE_1)
	v_lshl_or_b32 v19, v19, 4, v62
	ds_add_u32 v19, v84
	s_wait_alu 0xfffe
	s_or_b32 exec_lo, exec_lo, s1
	s_mov_b32 s1, exec_lo
	v_cmpx_gt_u32_e64 s0, v46
	s_cbranch_execz .LBB532_634
.LBB532_649:                            ;   in Loop: Header=BB532_610 Depth=2
	v_xor_b32_e32 v19, 0x7fffffff, v16
	s_delay_alu instid0(VALU_DEP_1) | instskip(NEXT) | instid1(VALU_DEP_1)
	v_lshrrev_b32_e32 v19, s49, v19
	v_and_b32_e32 v19, s48, v19
	s_delay_alu instid0(VALU_DEP_1) | instskip(SKIP_3) | instid1(SALU_CYCLE_1)
	v_lshl_or_b32 v19, v19, 4, v62
	ds_add_u32 v19, v84
	s_wait_alu 0xfffe
	s_or_b32 exec_lo, exec_lo, s1
	s_mov_b32 s1, exec_lo
	v_cmpx_gt_u32_e64 s0, v47
	s_cbranch_execz .LBB532_635
.LBB532_650:                            ;   in Loop: Header=BB532_610 Depth=2
	v_xor_b32_e32 v19, 0x7fffffff, v15
	s_delay_alu instid0(VALU_DEP_1) | instskip(NEXT) | instid1(VALU_DEP_1)
	v_lshrrev_b32_e32 v19, s49, v19
	v_and_b32_e32 v19, s48, v19
	s_delay_alu instid0(VALU_DEP_1) | instskip(SKIP_3) | instid1(SALU_CYCLE_1)
	v_lshl_or_b32 v19, v19, 4, v62
	ds_add_u32 v19, v84
	s_wait_alu 0xfffe
	s_or_b32 exec_lo, exec_lo, s1
	s_mov_b32 s1, exec_lo
	v_cmpx_gt_u32_e64 s0, v50
	s_cbranch_execz .LBB532_636
.LBB532_651:                            ;   in Loop: Header=BB532_610 Depth=2
	v_xor_b32_e32 v19, 0x7fffffff, v14
	s_delay_alu instid0(VALU_DEP_1) | instskip(NEXT) | instid1(VALU_DEP_1)
	v_lshrrev_b32_e32 v19, s49, v19
	v_and_b32_e32 v19, s48, v19
	s_delay_alu instid0(VALU_DEP_1) | instskip(SKIP_3) | instid1(SALU_CYCLE_1)
	v_lshl_or_b32 v19, v19, 4, v62
	ds_add_u32 v19, v84
	s_wait_alu 0xfffe
	s_or_b32 exec_lo, exec_lo, s1
	s_mov_b32 s1, exec_lo
	v_cmpx_gt_u32_e64 s0, v51
	s_cbranch_execz .LBB532_637
.LBB532_652:                            ;   in Loop: Header=BB532_610 Depth=2
	v_xor_b32_e32 v19, 0x7fffffff, v13
	s_delay_alu instid0(VALU_DEP_1) | instskip(NEXT) | instid1(VALU_DEP_1)
	v_lshrrev_b32_e32 v19, s49, v19
	v_and_b32_e32 v19, s48, v19
	s_delay_alu instid0(VALU_DEP_1) | instskip(SKIP_3) | instid1(SALU_CYCLE_1)
	v_lshl_or_b32 v19, v19, 4, v62
	ds_add_u32 v19, v84
	s_wait_alu 0xfffe
	s_or_b32 exec_lo, exec_lo, s1
	s_mov_b32 s1, exec_lo
	v_cmpx_gt_u32_e64 s0, v52
	s_cbranch_execz .LBB532_638
.LBB532_653:                            ;   in Loop: Header=BB532_610 Depth=2
	v_xor_b32_e32 v19, 0x7fffffff, v12
	s_delay_alu instid0(VALU_DEP_1) | instskip(NEXT) | instid1(VALU_DEP_1)
	v_lshrrev_b32_e32 v19, s49, v19
	v_and_b32_e32 v19, s48, v19
	s_delay_alu instid0(VALU_DEP_1) | instskip(SKIP_3) | instid1(SALU_CYCLE_1)
	v_lshl_or_b32 v19, v19, 4, v62
	ds_add_u32 v19, v84
	s_wait_alu 0xfffe
	s_or_b32 exec_lo, exec_lo, s1
	s_mov_b32 s1, exec_lo
	v_cmpx_gt_u32_e64 s0, v53
	s_cbranch_execz .LBB532_639
.LBB532_654:                            ;   in Loop: Header=BB532_610 Depth=2
	v_xor_b32_e32 v19, 0x7fffffff, v11
	s_delay_alu instid0(VALU_DEP_1) | instskip(NEXT) | instid1(VALU_DEP_1)
	v_lshrrev_b32_e32 v19, s49, v19
	v_and_b32_e32 v19, s48, v19
	s_delay_alu instid0(VALU_DEP_1) | instskip(SKIP_3) | instid1(SALU_CYCLE_1)
	v_lshl_or_b32 v19, v19, 4, v62
	ds_add_u32 v19, v84
	s_wait_alu 0xfffe
	s_or_b32 exec_lo, exec_lo, s1
	s_mov_b32 s1, exec_lo
	v_cmpx_gt_u32_e64 s0, v54
	s_cbranch_execz .LBB532_640
.LBB532_655:                            ;   in Loop: Header=BB532_610 Depth=2
	v_xor_b32_e32 v19, 0x7fffffff, v10
	s_delay_alu instid0(VALU_DEP_1) | instskip(NEXT) | instid1(VALU_DEP_1)
	v_lshrrev_b32_e32 v19, s49, v19
	v_and_b32_e32 v19, s48, v19
	s_delay_alu instid0(VALU_DEP_1) | instskip(SKIP_3) | instid1(SALU_CYCLE_1)
	v_lshl_or_b32 v19, v19, 4, v62
	ds_add_u32 v19, v84
	s_wait_alu 0xfffe
	s_or_b32 exec_lo, exec_lo, s1
	s_mov_b32 s1, exec_lo
	v_cmpx_gt_u32_e64 s0, v55
	s_cbranch_execz .LBB532_641
.LBB532_656:                            ;   in Loop: Header=BB532_610 Depth=2
	v_xor_b32_e32 v19, 0x7fffffff, v9
	s_delay_alu instid0(VALU_DEP_1) | instskip(NEXT) | instid1(VALU_DEP_1)
	v_lshrrev_b32_e32 v19, s49, v19
	v_and_b32_e32 v19, s48, v19
	s_delay_alu instid0(VALU_DEP_1) | instskip(SKIP_3) | instid1(SALU_CYCLE_1)
	v_lshl_or_b32 v19, v19, 4, v62
	ds_add_u32 v19, v84
	s_wait_alu 0xfffe
	s_or_b32 exec_lo, exec_lo, s1
	s_mov_b32 s1, exec_lo
	v_cmpx_gt_u32_e64 s0, v56
	s_cbranch_execz .LBB532_642
.LBB532_657:                            ;   in Loop: Header=BB532_610 Depth=2
	v_xor_b32_e32 v19, 0x7fffffff, v8
	s_delay_alu instid0(VALU_DEP_1) | instskip(NEXT) | instid1(VALU_DEP_1)
	v_lshrrev_b32_e32 v19, s49, v19
	v_and_b32_e32 v19, s48, v19
	s_delay_alu instid0(VALU_DEP_1) | instskip(SKIP_3) | instid1(SALU_CYCLE_1)
	v_lshl_or_b32 v19, v19, 4, v62
	ds_add_u32 v19, v84
	s_wait_alu 0xfffe
	s_or_b32 exec_lo, exec_lo, s1
	s_mov_b32 s1, exec_lo
	v_cmpx_gt_u32_e64 s0, v57
	s_cbranch_execz .LBB532_643
.LBB532_658:                            ;   in Loop: Header=BB532_610 Depth=2
	v_xor_b32_e32 v19, 0x7fffffff, v7
	s_delay_alu instid0(VALU_DEP_1) | instskip(NEXT) | instid1(VALU_DEP_1)
	v_lshrrev_b32_e32 v19, s49, v19
	v_and_b32_e32 v19, s48, v19
	s_delay_alu instid0(VALU_DEP_1) | instskip(SKIP_3) | instid1(SALU_CYCLE_1)
	v_lshl_or_b32 v19, v19, 4, v62
	ds_add_u32 v19, v84
	s_wait_alu 0xfffe
	s_or_b32 exec_lo, exec_lo, s1
	s_mov_b32 s1, exec_lo
	v_cmpx_gt_u32_e64 s0, v58
	s_cbranch_execz .LBB532_644
.LBB532_659:                            ;   in Loop: Header=BB532_610 Depth=2
	v_xor_b32_e32 v19, 0x7fffffff, v6
	s_delay_alu instid0(VALU_DEP_1) | instskip(NEXT) | instid1(VALU_DEP_1)
	v_lshrrev_b32_e32 v19, s49, v19
	v_and_b32_e32 v19, s48, v19
	s_delay_alu instid0(VALU_DEP_1) | instskip(SKIP_3) | instid1(SALU_CYCLE_1)
	v_lshl_or_b32 v19, v19, 4, v62
	ds_add_u32 v19, v84
	s_wait_alu 0xfffe
	s_or_b32 exec_lo, exec_lo, s1
	s_mov_b32 s1, exec_lo
	v_cmpx_gt_u32_e64 s0, v59
	s_cbranch_execz .LBB532_645
.LBB532_660:                            ;   in Loop: Header=BB532_610 Depth=2
	v_xor_b32_e32 v19, 0x7fffffff, v5
	s_delay_alu instid0(VALU_DEP_1) | instskip(NEXT) | instid1(VALU_DEP_1)
	v_lshrrev_b32_e32 v19, s49, v19
	v_and_b32_e32 v19, s48, v19
	s_delay_alu instid0(VALU_DEP_1) | instskip(SKIP_3) | instid1(SALU_CYCLE_1)
	v_lshl_or_b32 v19, v19, 4, v62
	ds_add_u32 v19, v84
	s_wait_alu 0xfffe
	s_or_b32 exec_lo, exec_lo, s1
	s_mov_b32 s1, exec_lo
	v_cmpx_gt_u32_e64 s0, v60
	s_cbranch_execz .LBB532_646
.LBB532_661:                            ;   in Loop: Header=BB532_610 Depth=2
	v_xor_b32_e32 v19, 0x7fffffff, v4
	s_delay_alu instid0(VALU_DEP_1) | instskip(NEXT) | instid1(VALU_DEP_1)
	v_lshrrev_b32_e32 v19, s49, v19
	v_and_b32_e32 v19, s48, v19
	s_delay_alu instid0(VALU_DEP_1)
	v_lshl_or_b32 v19, v19, 4, v62
	ds_add_u32 v19, v84
	s_wait_alu 0xfffe
	s_or_b32 exec_lo, exec_lo, s1
	v_cmp_gt_u32_e32 vcc_lo, s0, v61
	s_and_saveexec_b32 s0, vcc_lo
	s_cbranch_execz .LBB532_609
.LBB532_662:                            ;   in Loop: Header=BB532_610 Depth=2
	v_xor_b32_e32 v19, 0x7fffffff, v2
	s_delay_alu instid0(VALU_DEP_1) | instskip(NEXT) | instid1(VALU_DEP_1)
	v_lshrrev_b32_e32 v19, s49, v19
	v_and_b32_e32 v19, s48, v19
	s_delay_alu instid0(VALU_DEP_1)
	v_lshl_or_b32 v19, v19, 4, v62
	ds_add_u32 v19, v84
	s_branch .LBB532_609
.LBB532_663:                            ;   in Loop: Header=BB532_610 Depth=2
	global_load_b32 v18, v108, s[0:1]
	s_or_b32 exec_lo, exec_lo, s11
	s_delay_alu instid0(SALU_CYCLE_1)
	s_mov_b32 s11, exec_lo
	v_cmpx_gt_u32_e64 s9, v45
	s_cbranch_execz .LBB532_615
.LBB532_664:                            ;   in Loop: Header=BB532_610 Depth=2
	global_load_b32 v17, v108, s[0:1] offset:1024
	s_wait_alu 0xfffe
	s_or_b32 exec_lo, exec_lo, s11
	s_delay_alu instid0(SALU_CYCLE_1)
	s_mov_b32 s11, exec_lo
	v_cmpx_gt_u32_e64 s9, v46
	s_cbranch_execz .LBB532_616
.LBB532_665:                            ;   in Loop: Header=BB532_610 Depth=2
	global_load_b32 v16, v108, s[0:1] offset:2048
	s_wait_alu 0xfffe
	s_or_b32 exec_lo, exec_lo, s11
	s_delay_alu instid0(SALU_CYCLE_1)
	s_mov_b32 s11, exec_lo
	v_cmpx_gt_u32_e64 s9, v47
	s_cbranch_execz .LBB532_617
.LBB532_666:                            ;   in Loop: Header=BB532_610 Depth=2
	global_load_b32 v15, v108, s[0:1] offset:3072
	s_wait_alu 0xfffe
	s_or_b32 exec_lo, exec_lo, s11
	s_delay_alu instid0(SALU_CYCLE_1)
	s_mov_b32 s11, exec_lo
	v_cmpx_gt_u32_e64 s9, v50
	s_cbranch_execz .LBB532_618
.LBB532_667:                            ;   in Loop: Header=BB532_610 Depth=2
	global_load_b32 v14, v108, s[0:1] offset:4096
	s_wait_alu 0xfffe
	s_or_b32 exec_lo, exec_lo, s11
	s_delay_alu instid0(SALU_CYCLE_1)
	s_mov_b32 s11, exec_lo
	v_cmpx_gt_u32_e64 s9, v51
	s_cbranch_execz .LBB532_619
.LBB532_668:                            ;   in Loop: Header=BB532_610 Depth=2
	global_load_b32 v13, v108, s[0:1] offset:5120
	s_wait_alu 0xfffe
	s_or_b32 exec_lo, exec_lo, s11
	s_delay_alu instid0(SALU_CYCLE_1)
	s_mov_b32 s11, exec_lo
	v_cmpx_gt_u32_e64 s9, v52
	s_cbranch_execz .LBB532_620
.LBB532_669:                            ;   in Loop: Header=BB532_610 Depth=2
	global_load_b32 v12, v108, s[0:1] offset:6144
	s_wait_alu 0xfffe
	s_or_b32 exec_lo, exec_lo, s11
	s_delay_alu instid0(SALU_CYCLE_1)
	s_mov_b32 s11, exec_lo
	v_cmpx_gt_u32_e64 s9, v53
	s_cbranch_execz .LBB532_621
.LBB532_670:                            ;   in Loop: Header=BB532_610 Depth=2
	global_load_b32 v11, v108, s[0:1] offset:7168
	s_wait_alu 0xfffe
	s_or_b32 exec_lo, exec_lo, s11
	s_delay_alu instid0(SALU_CYCLE_1)
	s_mov_b32 s11, exec_lo
	v_cmpx_gt_u32_e64 s9, v54
	s_cbranch_execz .LBB532_622
.LBB532_671:                            ;   in Loop: Header=BB532_610 Depth=2
	global_load_b32 v10, v108, s[0:1] offset:8192
	s_wait_alu 0xfffe
	s_or_b32 exec_lo, exec_lo, s11
	s_delay_alu instid0(SALU_CYCLE_1)
	s_mov_b32 s11, exec_lo
	v_cmpx_gt_u32_e64 s9, v55
	s_cbranch_execz .LBB532_623
.LBB532_672:                            ;   in Loop: Header=BB532_610 Depth=2
	global_load_b32 v9, v108, s[0:1] offset:9216
	s_wait_alu 0xfffe
	s_or_b32 exec_lo, exec_lo, s11
	s_delay_alu instid0(SALU_CYCLE_1)
	s_mov_b32 s11, exec_lo
	v_cmpx_gt_u32_e64 s9, v56
	s_cbranch_execz .LBB532_624
.LBB532_673:                            ;   in Loop: Header=BB532_610 Depth=2
	global_load_b32 v8, v108, s[0:1] offset:10240
	s_wait_alu 0xfffe
	s_or_b32 exec_lo, exec_lo, s11
	s_delay_alu instid0(SALU_CYCLE_1)
	s_mov_b32 s11, exec_lo
	v_cmpx_gt_u32_e64 s9, v57
	s_cbranch_execz .LBB532_625
.LBB532_674:                            ;   in Loop: Header=BB532_610 Depth=2
	global_load_b32 v7, v108, s[0:1] offset:11264
	s_wait_alu 0xfffe
	s_or_b32 exec_lo, exec_lo, s11
	s_delay_alu instid0(SALU_CYCLE_1)
	s_mov_b32 s11, exec_lo
	v_cmpx_gt_u32_e64 s9, v58
	s_cbranch_execz .LBB532_626
.LBB532_675:                            ;   in Loop: Header=BB532_610 Depth=2
	global_load_b32 v6, v108, s[0:1] offset:12288
	s_wait_alu 0xfffe
	s_or_b32 exec_lo, exec_lo, s11
	s_delay_alu instid0(SALU_CYCLE_1)
	s_mov_b32 s11, exec_lo
	v_cmpx_gt_u32_e64 s9, v59
	s_cbranch_execz .LBB532_627
.LBB532_676:                            ;   in Loop: Header=BB532_610 Depth=2
	global_load_b32 v5, v108, s[0:1] offset:13312
	s_wait_alu 0xfffe
	s_or_b32 exec_lo, exec_lo, s11
	s_delay_alu instid0(SALU_CYCLE_1)
	s_mov_b32 s11, exec_lo
	v_cmpx_gt_u32_e64 s9, v60
	s_cbranch_execz .LBB532_628
.LBB532_677:                            ;   in Loop: Header=BB532_610 Depth=2
	global_load_b32 v4, v108, s[0:1] offset:14336
	s_wait_alu 0xfffe
	s_or_b32 exec_lo, exec_lo, s11
	s_delay_alu instid0(SALU_CYCLE_1)
	s_mov_b32 s11, exec_lo
	v_cmpx_gt_u32_e64 s9, v61
	s_cbranch_execnz .LBB532_629
	s_branch .LBB532_630
.LBB532_678:                            ;   in Loop: Header=BB532_20 Depth=1
	v_mov_b32_e32 v2, 0
	s_wait_dscnt 0x0
	s_barrier_signal -1
	s_barrier_wait -1
	global_inv scope:SCOPE_SE
	s_and_saveexec_b32 s0, s2
	s_cbranch_execz .LBB532_680
; %bb.679:                              ;   in Loop: Header=BB532_20 Depth=1
	ds_load_2addr_b64 v[4:7], v64 offset1:1
	s_wait_dscnt 0x0
	v_add_nc_u32_e32 v2, v5, v4
	s_delay_alu instid0(VALU_DEP_1)
	v_add3_u32 v2, v2, v6, v7
.LBB532_680:                            ;   in Loop: Header=BB532_20 Depth=1
	s_wait_alu 0xfffe
	s_or_b32 exec_lo, exec_lo, s0
	s_delay_alu instid0(VALU_DEP_1)
	v_mov_b32_dpp v4, v2 row_shr:1 row_mask:0xf bank_mask:0xf
	v_cmp_eq_u32_e64 s0, 0, v85
	v_cmp_lt_u32_e64 s1, 1, v85
	v_cmp_lt_u32_e64 s9, 3, v85
	;; [unrolled: 1-line block ×3, first 2 shown]
	v_cmp_eq_u32_e64 s11, 0, v87
	s_wait_alu 0xf1ff
	v_cndmask_b32_e64 v4, v4, 0, s0
	s_delay_alu instid0(VALU_DEP_1) | instskip(NEXT) | instid1(VALU_DEP_1)
	v_add_nc_u32_e32 v2, v4, v2
	v_mov_b32_dpp v4, v2 row_shr:2 row_mask:0xf bank_mask:0xf
	s_delay_alu instid0(VALU_DEP_1) | instskip(NEXT) | instid1(VALU_DEP_1)
	v_cndmask_b32_e64 v4, 0, v4, s1
	v_add_nc_u32_e32 v2, v2, v4
	s_delay_alu instid0(VALU_DEP_1) | instskip(NEXT) | instid1(VALU_DEP_1)
	v_mov_b32_dpp v4, v2 row_shr:4 row_mask:0xf bank_mask:0xf
	v_cndmask_b32_e64 v4, 0, v4, s9
	s_delay_alu instid0(VALU_DEP_1) | instskip(NEXT) | instid1(VALU_DEP_1)
	v_add_nc_u32_e32 v2, v2, v4
	v_mov_b32_dpp v4, v2 row_shr:8 row_mask:0xf bank_mask:0xf
	s_delay_alu instid0(VALU_DEP_1) | instskip(NEXT) | instid1(VALU_DEP_1)
	v_cndmask_b32_e64 v4, 0, v4, s10
	v_add_nc_u32_e32 v2, v2, v4
	ds_swizzle_b32 v4, v2 offset:swizzle(BROADCAST,32,15)
	s_wait_dscnt 0x0
	v_and_b32_e32 v4, v86, v4
	s_delay_alu instid0(VALU_DEP_1)
	v_add_nc_u32_e32 v2, v2, v4
	s_and_saveexec_b32 s12, s3
; %bb.681:                              ;   in Loop: Header=BB532_20 Depth=1
	ds_store_b32 v65, v2
; %bb.682:                              ;   in Loop: Header=BB532_20 Depth=1
	s_wait_alu 0xfffe
	s_or_b32 exec_lo, exec_lo, s12
	s_wait_loadcnt_dscnt 0x0
	s_barrier_signal -1
	s_barrier_wait -1
	global_inv scope:SCOPE_SE
	s_and_saveexec_b32 s12, s4
	s_cbranch_execz .LBB532_684
; %bb.683:                              ;   in Loop: Header=BB532_20 Depth=1
	ds_load_b32 v4, v66
	v_cmp_ne_u32_e32 vcc_lo, 0, v89
	s_wait_dscnt 0x0
	v_mov_b32_dpp v5, v4 row_shr:1 row_mask:0xf bank_mask:0xf
	s_wait_alu 0xfffd
	s_delay_alu instid0(VALU_DEP_1) | instskip(SKIP_1) | instid1(VALU_DEP_2)
	v_cndmask_b32_e32 v5, 0, v5, vcc_lo
	v_cmp_lt_u32_e32 vcc_lo, 1, v89
	v_add_nc_u32_e32 v4, v5, v4
	s_delay_alu instid0(VALU_DEP_1) | instskip(SKIP_1) | instid1(VALU_DEP_1)
	v_mov_b32_dpp v5, v4 row_shr:2 row_mask:0xf bank_mask:0xf
	s_wait_alu 0xfffd
	v_cndmask_b32_e32 v5, 0, v5, vcc_lo
	v_cmp_lt_u32_e32 vcc_lo, 3, v89
	s_delay_alu instid0(VALU_DEP_2) | instskip(NEXT) | instid1(VALU_DEP_1)
	v_add_nc_u32_e32 v4, v4, v5
	v_mov_b32_dpp v5, v4 row_shr:4 row_mask:0xf bank_mask:0xf
	s_wait_alu 0xfffd
	s_delay_alu instid0(VALU_DEP_1) | instskip(NEXT) | instid1(VALU_DEP_1)
	v_cndmask_b32_e32 v5, 0, v5, vcc_lo
	v_add_nc_u32_e32 v4, v4, v5
	ds_store_b32 v66, v4
.LBB532_684:                            ;   in Loop: Header=BB532_20 Depth=1
	s_wait_alu 0xfffe
	s_or_b32 exec_lo, exec_lo, s12
	v_mov_b32_e32 v4, 0
	s_wait_loadcnt_dscnt 0x0
	s_barrier_signal -1
	s_barrier_wait -1
	global_inv scope:SCOPE_SE
	s_and_saveexec_b32 s12, s5
; %bb.685:                              ;   in Loop: Header=BB532_20 Depth=1
	ds_load_b32 v4, v68
; %bb.686:                              ;   in Loop: Header=BB532_20 Depth=1
	s_wait_alu 0xfffe
	s_or_b32 exec_lo, exec_lo, s12
	v_cmp_gt_i32_e32 vcc_lo, 0, v90
	s_wait_loadcnt_dscnt 0x0
	s_barrier_signal -1
	s_barrier_wait -1
	global_inv scope:SCOPE_SE
	s_wait_alu 0xfffd
	v_dual_cndmask_b32 v5, v90, v81 :: v_dual_add_nc_u32 v2, v4, v2
	s_delay_alu instid0(VALU_DEP_1)
	v_lshlrev_b32_e32 v113, 2, v5
	ds_bpermute_b32 v2, v113, v2
	s_and_saveexec_b32 s12, s2
	s_cbranch_execz .LBB532_688
; %bb.687:                              ;   in Loop: Header=BB532_20 Depth=1
	s_wait_dscnt 0x0
	v_cndmask_b32_e64 v2, v2, v4, s8
	s_delay_alu instid0(VALU_DEP_1)
	v_add_nc_u32_e32 v2, s33, v2
	ds_store_b32 v44, v2
.LBB532_688:                            ;   in Loop: Header=BB532_20 Depth=1
	s_wait_alu 0xfffe
	s_or_b32 exec_lo, exec_lo, s12
	s_load_b64 s[12:13], s[34:35], 0x0
	v_add_co_u32 v114, vcc_lo, v79, v91
	s_wait_alu 0xfffd
	v_add_co_ci_u32_e64 v115, null, 0, v80, vcc_lo
	v_add_co_u32 v116, vcc_lo, v82, v107
	s_wait_alu 0xfffd
	v_add_co_ci_u32_e64 v117, null, 0, v83, vcc_lo
	s_mov_b32 s54, s53
                                        ; implicit-def: $vgpr6_vgpr7
                                        ; implicit-def: $vgpr8_vgpr9
                                        ; implicit-def: $vgpr10_vgpr11
                                        ; implicit-def: $vgpr12_vgpr13
                                        ; implicit-def: $vgpr14_vgpr15
                                        ; implicit-def: $vgpr16_vgpr17
                                        ; implicit-def: $vgpr18_vgpr19
                                        ; implicit-def: $vgpr20_vgpr21
                                        ; implicit-def: $vgpr22_vgpr23
                                        ; implicit-def: $vgpr24_vgpr25
                                        ; implicit-def: $vgpr26_vgpr27
                                        ; implicit-def: $vgpr28_vgpr29
                                        ; implicit-def: $vgpr30_vgpr31
                                        ; implicit-def: $vgpr32_vgpr33
                                        ; implicit-def: $vgpr34_vgpr35
                                        ; implicit-def: $vgpr119
                                        ; implicit-def: $vgpr120
                                        ; implicit-def: $vgpr121
                                        ; implicit-def: $vgpr122
                                        ; implicit-def: $vgpr123
                                        ; implicit-def: $vgpr124
                                        ; implicit-def: $vgpr125
                                        ; implicit-def: $vgpr126
                                        ; implicit-def: $vgpr127
                                        ; implicit-def: $vgpr128
                                        ; implicit-def: $vgpr129
                                        ; implicit-def: $vgpr130
                                        ; implicit-def: $vgpr131
                                        ; implicit-def: $vgpr132
                                        ; implicit-def: $vgpr133
                                        ; implicit-def: $vgpr134
	s_wait_kmcnt 0x0
	s_cmp_lt_u32 ttmp7, s13
	s_cselect_b32 s42, 14, 20
	s_cmp_lt_u32 ttmp9, s12
	s_wait_alu 0xfffe
	s_add_nc_u64 s[14:15], s[34:35], s[42:43]
	s_cselect_b32 s42, 12, 18
	s_load_u16 s14, s[14:15], 0x0
	s_add_nc_u64 s[12:13], s[34:35], s[42:43]
	s_mov_b32 s42, s33
	s_load_u16 s12, s[12:13], 0x0
	v_cmp_lt_u32_e64 s13, 1, v89
	s_wait_dscnt 0x0
	s_wait_kmcnt 0x0
	v_mad_u32_u24 v2, v69, s14, v0
	v_cmp_lt_u32_e64 s14, 3, v89
	s_delay_alu instid0(VALU_DEP_2) | instskip(SKIP_1) | instid1(VALU_DEP_2)
	v_mad_co_u64_u32 v[4:5], null, v2, s12, v[1:2]
	v_cmp_eq_u32_e64 s12, 0, v89
	v_lshrrev_b32_e32 v2, 3, v4
                                        ; implicit-def: $vgpr4_vgpr5
	s_delay_alu instid0(VALU_DEP_1)
	v_and_b32_e32 v118, 0x1ffffffc, v2
	s_branch .LBB532_690
.LBB532_689:                            ;   in Loop: Header=BB532_690 Depth=2
	s_wait_alu 0xfffe
	s_or_b32 exec_lo, exec_lo, s15
	s_addk_co_i32 s54, 0xf000
	s_cmp_lt_u32 s55, s51
	s_mov_b32 s42, s55
	s_cbranch_scc0 .LBB532_898
.LBB532_690:                            ;   Parent Loop BB532_20 Depth=1
                                        ; =>  This Inner Loop Header: Depth=2
	s_wait_alu 0xfffe
	s_add_co_i32 s55, s42, 0x1000
	s_wait_alu 0xfffe
	s_cmp_gt_u32 s55, s51
	s_cbranch_scc1 .LBB532_692
; %bb.691:                              ;   in Loop: Header=BB532_690 Depth=2
	s_lshl_b64 s[16:17], s[42:43], 2
	s_mov_b32 s15, -1
	s_wait_alu 0xfffe
	v_add_co_u32 v36, vcc_lo, v116, s16
	s_wait_alu 0xfffd
	v_add_co_ci_u32_e64 v37, null, s17, v117, vcc_lo
	s_clause 0xe
	global_load_b32 v136, v[36:37], off
	global_load_b32 v137, v[36:37], off offset:128
	global_load_b32 v144, v[36:37], off offset:256
	;; [unrolled: 1-line block ×14, first 2 shown]
	s_movk_i32 s16, 0x1000
	s_cbranch_execz .LBB532_693
	s_branch .LBB532_724
.LBB532_692:                            ;   in Loop: Header=BB532_690 Depth=2
	s_mov_b32 s15, 0
                                        ; implicit-def: $vgpr136
                                        ; implicit-def: $vgpr137
                                        ; implicit-def: $vgpr144
                                        ; implicit-def: $vgpr148
                                        ; implicit-def: $vgpr152
                                        ; implicit-def: $vgpr156
                                        ; implicit-def: $vgpr160
                                        ; implicit-def: $vgpr164
                                        ; implicit-def: $vgpr167
                                        ; implicit-def: $vgpr43
                                        ; implicit-def: $vgpr42
                                        ; implicit-def: $vgpr41
                                        ; implicit-def: $vgpr40
                                        ; implicit-def: $vgpr39
                                        ; implicit-def: $vgpr38
	s_movk_i32 s16, 0x1000
.LBB532_693:                            ;   in Loop: Header=BB532_690 Depth=2
	s_lshl_b64 s[16:17], s[42:43], 2
	s_wait_loadcnt 0xd
	v_bfrev_b32_e32 v137, 1
	s_wait_alu 0xfffe
	v_add_co_u32 v36, vcc_lo, v116, s16
	s_wait_alu 0xfffd
	v_add_co_ci_u32_e64 v37, null, s17, v117, vcc_lo
	v_bfrev_b32_e32 v136, 1
	s_mov_b32 s15, exec_lo
	v_cmpx_gt_u32_e64 s54, v88
	s_cbranch_execz .LBB532_695
; %bb.694:                              ;   in Loop: Header=BB532_690 Depth=2
	global_load_b32 v136, v[36:37], off
.LBB532_695:                            ;   in Loop: Header=BB532_690 Depth=2
	s_wait_alu 0xfffe
	s_or_b32 exec_lo, exec_lo, s15
	s_delay_alu instid0(SALU_CYCLE_1)
	s_mov_b32 s15, exec_lo
	v_cmpx_gt_u32_e64 s54, v92
	s_cbranch_execz .LBB532_697
; %bb.696:                              ;   in Loop: Header=BB532_690 Depth=2
	global_load_b32 v137, v[36:37], off offset:128
.LBB532_697:                            ;   in Loop: Header=BB532_690 Depth=2
	s_wait_alu 0xfffe
	s_or_b32 exec_lo, exec_lo, s15
	s_wait_loadcnt 0xb
	v_bfrev_b32_e32 v148, 1
	v_bfrev_b32_e32 v144, 1
	s_mov_b32 s15, exec_lo
	v_cmpx_gt_u32_e64 s54, v93
	s_cbranch_execz .LBB532_699
; %bb.698:                              ;   in Loop: Header=BB532_690 Depth=2
	global_load_b32 v144, v[36:37], off offset:256
.LBB532_699:                            ;   in Loop: Header=BB532_690 Depth=2
	s_wait_alu 0xfffe
	s_or_b32 exec_lo, exec_lo, s15
	s_delay_alu instid0(SALU_CYCLE_1)
	s_mov_b32 s15, exec_lo
	v_cmpx_gt_u32_e64 s54, v94
	s_cbranch_execz .LBB532_701
; %bb.700:                              ;   in Loop: Header=BB532_690 Depth=2
	global_load_b32 v148, v[36:37], off offset:384
.LBB532_701:                            ;   in Loop: Header=BB532_690 Depth=2
	s_wait_alu 0xfffe
	s_or_b32 exec_lo, exec_lo, s15
	s_wait_loadcnt 0x9
	v_bfrev_b32_e32 v156, 1
	v_bfrev_b32_e32 v152, 1
	s_mov_b32 s15, exec_lo
	v_cmpx_gt_u32_e64 s54, v95
	s_cbranch_execz .LBB532_703
; %bb.702:                              ;   in Loop: Header=BB532_690 Depth=2
	global_load_b32 v152, v[36:37], off offset:512
.LBB532_703:                            ;   in Loop: Header=BB532_690 Depth=2
	;; [unrolled: 20-line block ×6, first 2 shown]
	s_wait_alu 0xfffe
	s_or_b32 exec_lo, exec_lo, s15
	s_delay_alu instid0(SALU_CYCLE_1)
	s_mov_b32 s15, exec_lo
	v_cmpx_gt_u32_e64 s54, v104
	s_cbranch_execz .LBB532_721
; %bb.720:                              ;   in Loop: Header=BB532_690 Depth=2
	global_load_b32 v39, v[36:37], off offset:1664
.LBB532_721:                            ;   in Loop: Header=BB532_690 Depth=2
	s_wait_alu 0xfffe
	s_or_b32 exec_lo, exec_lo, s15
	s_wait_loadcnt 0x0
	v_bfrev_b32_e32 v38, 1
	s_mov_b32 s15, exec_lo
	v_cmpx_gt_u32_e64 s54, v105
	s_cbranch_execz .LBB532_723
; %bb.722:                              ;   in Loop: Header=BB532_690 Depth=2
	global_load_b32 v38, v[36:37], off offset:1792
.LBB532_723:                            ;   in Loop: Header=BB532_690 Depth=2
	s_wait_alu 0xfffe
	s_or_b32 exec_lo, exec_lo, s15
	v_cmp_gt_u32_e64 s15, s54, v106
	s_sub_co_i32 s16, s51, s42
.LBB532_724:                            ;   in Loop: Header=BB532_690 Depth=2
	v_dual_mov_b32 v2, -1 :: v_dual_mov_b32 v135, s54
	s_and_saveexec_b32 s17, s15
	s_cbranch_execz .LBB532_726
; %bb.725:                              ;   in Loop: Header=BB532_690 Depth=2
	s_lshl_b64 s[18:19], s[42:43], 2
	s_wait_alu 0xfffe
	v_mov_b32_e32 v135, s16
	v_add_co_u32 v36, vcc_lo, v116, s18
	s_wait_alu 0xfffd
	v_add_co_ci_u32_e64 v37, null, s19, v117, vcc_lo
	global_load_b32 v2, v[36:37], off offset:1920
	s_wait_loadcnt 0x0
	v_xor_b32_e32 v2, 0x7fffffff, v2
.LBB532_726:                            ;   in Loop: Header=BB532_690 Depth=2
	s_wait_alu 0xfffe
	s_or_b32 exec_lo, exec_lo, s17
	s_wait_loadcnt 0xe
	v_xor_b32_e32 v136, 0x7fffffff, v136
	s_delay_alu instid0(VALU_DEP_1) | instskip(NEXT) | instid1(VALU_DEP_1)
	v_lshrrev_b32_e32 v36, s49, v136
	v_and_b32_e32 v37, s48, v36
	s_delay_alu instid0(VALU_DEP_1)
	v_and_b32_e32 v36, 1, v37
	v_lshlrev_b32_e32 v138, 30, v37
	v_lshlrev_b32_e32 v139, 29, v37
	;; [unrolled: 1-line block ×4, first 2 shown]
	v_add_co_u32 v36, s15, v36, -1
	s_wait_alu 0xf1ff
	v_cndmask_b32_e64 v141, 0, 1, s15
	v_not_b32_e32 v146, v138
	v_cmp_gt_i32_e64 s15, 0, v138
	v_not_b32_e32 v138, v139
	v_lshlrev_b32_e32 v143, 26, v37
	v_cmp_ne_u32_e32 vcc_lo, 0, v141
	v_ashrrev_i32_e32 v146, 31, v146
	v_lshlrev_b32_e32 v145, 25, v37
	v_ashrrev_i32_e32 v138, 31, v138
	v_lshlrev_b32_e32 v141, 24, v37
	s_wait_alu 0xfffd
	v_xor_b32_e32 v36, vcc_lo, v36
	v_cmp_gt_i32_e32 vcc_lo, 0, v139
	v_not_b32_e32 v139, v140
	s_wait_alu 0xf1ff
	v_xor_b32_e32 v146, s15, v146
	v_cmp_gt_i32_e64 s15, 0, v140
	v_and_b32_e32 v36, exec_lo, v36
	v_not_b32_e32 v140, v142
	v_ashrrev_i32_e32 v139, 31, v139
	s_wait_alu 0xfffd
	v_xor_b32_e32 v138, vcc_lo, v138
	v_cmp_gt_i32_e32 vcc_lo, 0, v142
	v_and_b32_e32 v36, v36, v146
	v_not_b32_e32 v142, v143
	v_ashrrev_i32_e32 v140, 31, v140
	s_wait_alu 0xf1ff
	v_xor_b32_e32 v139, s15, v139
	v_cmp_gt_i32_e64 s15, 0, v143
	v_and_b32_e32 v36, v36, v138
	v_not_b32_e32 v138, v145
	v_ashrrev_i32_e32 v142, 31, v142
	s_wait_alu 0xfffd
	v_xor_b32_e32 v140, vcc_lo, v140
	v_cmp_gt_i32_e32 vcc_lo, 0, v145
	v_and_b32_e32 v36, v36, v139
	v_not_b32_e32 v139, v141
	v_ashrrev_i32_e32 v138, 31, v138
	s_wait_alu 0xf1ff
	v_xor_b32_e32 v142, s15, v142
	v_cmp_gt_i32_e64 s15, 0, v141
	v_and_b32_e32 v36, v36, v140
	v_ashrrev_i32_e32 v139, 31, v139
	s_wait_alu 0xfffd
	v_xor_b32_e32 v138, vcc_lo, v138
	v_mul_u32_u24_e32 v37, 36, v37
	v_add_nc_u32_e32 v141, 0x428, v67
	v_and_b32_e32 v36, v36, v142
	s_wait_alu 0xf1ff
	v_xor_b32_e32 v140, s15, v139
	v_add_nc_u32_e32 v139, 0x438, v67
	v_add_nc_u32_e32 v142, 0x430, v67
	;; [unrolled: 1-line block ×3, first 2 shown]
	v_and_b32_e32 v36, v36, v138
	ds_store_2addr_b32 v139, v3, v3 offset1:1
	v_and_b32_e32 v36, v36, v140
	v_add_nc_u32_e32 v140, 0x420, v67
	ds_store_2addr_b32 v140, v3, v3 offset1:1
	ds_store_2addr_b32 v141, v3, v3 offset1:1
	;; [unrolled: 1-line block ×3, first 2 shown]
	ds_store_b32 v67, v3 offset:1088
	v_mbcnt_lo_u32_b32 v138, v36, 0
	v_cmp_ne_u32_e64 s15, 0, v36
	s_wait_loadcnt_dscnt 0x0
	s_barrier_signal -1
	s_barrier_wait -1
	v_cmp_eq_u32_e32 vcc_lo, 0, v138
	global_inv scope:SCOPE_SE
	; wave barrier
	s_and_b32 s16, s15, vcc_lo
	s_wait_alu 0xfffe
	s_and_saveexec_b32 s15, s16
; %bb.727:                              ;   in Loop: Header=BB532_690 Depth=2
	v_bcnt_u32_b32 v36, v36, 0
	ds_store_b32 v143, v36 offset:1056
; %bb.728:                              ;   in Loop: Header=BB532_690 Depth=2
	s_wait_alu 0xfffe
	s_or_b32 exec_lo, exec_lo, s15
	v_xor_b32_e32 v137, 0x7fffffff, v137
	; wave barrier
	s_delay_alu instid0(VALU_DEP_1) | instskip(NEXT) | instid1(VALU_DEP_1)
	v_lshrrev_b32_e32 v36, s49, v137
	v_and_b32_e32 v37, s48, v36
	s_delay_alu instid0(VALU_DEP_1)
	v_and_b32_e32 v36, 1, v37
	v_lshlrev_b32_e32 v145, 30, v37
	v_lshlrev_b32_e32 v146, 29, v37
	;; [unrolled: 1-line block ×4, first 2 shown]
	v_add_co_u32 v36, s15, v36, -1
	s_wait_alu 0xf1ff
	v_cndmask_b32_e64 v149, 0, 1, s15
	v_not_b32_e32 v154, v145
	v_cmp_gt_i32_e64 s15, 0, v145
	v_not_b32_e32 v145, v146
	v_lshlrev_b32_e32 v151, 26, v37
	v_cmp_ne_u32_e32 vcc_lo, 0, v149
	v_ashrrev_i32_e32 v154, 31, v154
	v_lshlrev_b32_e32 v153, 25, v37
	v_ashrrev_i32_e32 v145, 31, v145
	v_lshlrev_b32_e32 v149, 24, v37
	s_wait_alu 0xfffd
	v_xor_b32_e32 v36, vcc_lo, v36
	v_cmp_gt_i32_e32 vcc_lo, 0, v146
	v_not_b32_e32 v146, v147
	s_wait_alu 0xf1ff
	v_xor_b32_e32 v154, s15, v154
	v_cmp_gt_i32_e64 s15, 0, v147
	v_and_b32_e32 v36, exec_lo, v36
	v_not_b32_e32 v147, v150
	v_ashrrev_i32_e32 v146, 31, v146
	s_wait_alu 0xfffd
	v_xor_b32_e32 v145, vcc_lo, v145
	v_cmp_gt_i32_e32 vcc_lo, 0, v150
	v_and_b32_e32 v36, v36, v154
	v_not_b32_e32 v150, v151
	v_ashrrev_i32_e32 v147, 31, v147
	s_wait_alu 0xf1ff
	v_xor_b32_e32 v146, s15, v146
	v_cmp_gt_i32_e64 s15, 0, v151
	v_and_b32_e32 v36, v36, v145
	v_not_b32_e32 v145, v153
	v_ashrrev_i32_e32 v150, 31, v150
	s_wait_alu 0xfffd
	v_xor_b32_e32 v147, vcc_lo, v147
	v_cmp_gt_i32_e32 vcc_lo, 0, v153
	v_and_b32_e32 v36, v36, v146
	v_not_b32_e32 v146, v149
	v_ashrrev_i32_e32 v145, 31, v145
	s_wait_alu 0xf1ff
	v_xor_b32_e32 v150, s15, v150
	v_cmp_gt_i32_e64 s15, 0, v149
	v_and_b32_e32 v36, v36, v147
	v_ashrrev_i32_e32 v146, 31, v146
	s_wait_alu 0xfffd
	v_xor_b32_e32 v145, vcc_lo, v145
	v_mad_u32_u24 v147, v37, 36, v118
	v_mul_u32_u24_e32 v37, 36, v37
	v_and_b32_e32 v36, v36, v150
	s_wait_alu 0xf1ff
	v_xor_b32_e32 v146, s15, v146
	s_delay_alu instid0(VALU_DEP_2) | instskip(SKIP_3) | instid1(VALU_DEP_1)
	v_and_b32_e32 v36, v36, v145
	ds_load_b32 v145, v147 offset:1056
	v_add_nc_u32_e32 v147, v118, v37
	; wave barrier
	v_and_b32_e32 v36, v36, v146
	v_mbcnt_lo_u32_b32 v146, v36, 0
	v_cmp_ne_u32_e64 s15, 0, v36
	s_delay_alu instid0(VALU_DEP_2)
	v_cmp_eq_u32_e32 vcc_lo, 0, v146
	s_and_b32 s16, s15, vcc_lo
	s_wait_alu 0xfffe
	s_and_saveexec_b32 s15, s16
	s_cbranch_execz .LBB532_730
; %bb.729:                              ;   in Loop: Header=BB532_690 Depth=2
	s_wait_dscnt 0x0
	v_bcnt_u32_b32 v36, v36, v145
	ds_store_b32 v147, v36 offset:1056
.LBB532_730:                            ;   in Loop: Header=BB532_690 Depth=2
	s_wait_alu 0xfffe
	s_or_b32 exec_lo, exec_lo, s15
	v_xor_b32_e32 v144, 0x7fffffff, v144
	; wave barrier
	s_delay_alu instid0(VALU_DEP_1) | instskip(NEXT) | instid1(VALU_DEP_1)
	v_lshrrev_b32_e32 v36, s49, v144
	v_and_b32_e32 v37, s48, v36
	s_delay_alu instid0(VALU_DEP_1)
	v_and_b32_e32 v36, 1, v37
	v_lshlrev_b32_e32 v149, 30, v37
	v_lshlrev_b32_e32 v150, 29, v37
	v_lshlrev_b32_e32 v151, 28, v37
	v_lshlrev_b32_e32 v154, 27, v37
	v_add_co_u32 v36, s15, v36, -1
	s_wait_alu 0xf1ff
	v_cndmask_b32_e64 v153, 0, 1, s15
	v_not_b32_e32 v158, v149
	v_cmp_gt_i32_e64 s15, 0, v149
	v_not_b32_e32 v149, v150
	v_lshlrev_b32_e32 v155, 26, v37
	v_cmp_ne_u32_e32 vcc_lo, 0, v153
	v_ashrrev_i32_e32 v158, 31, v158
	v_lshlrev_b32_e32 v157, 25, v37
	v_ashrrev_i32_e32 v149, 31, v149
	v_lshlrev_b32_e32 v153, 24, v37
	s_wait_alu 0xfffd
	v_xor_b32_e32 v36, vcc_lo, v36
	v_cmp_gt_i32_e32 vcc_lo, 0, v150
	v_not_b32_e32 v150, v151
	s_wait_alu 0xf1ff
	v_xor_b32_e32 v158, s15, v158
	v_cmp_gt_i32_e64 s15, 0, v151
	v_and_b32_e32 v36, exec_lo, v36
	v_not_b32_e32 v151, v154
	v_ashrrev_i32_e32 v150, 31, v150
	s_wait_alu 0xfffd
	v_xor_b32_e32 v149, vcc_lo, v149
	v_cmp_gt_i32_e32 vcc_lo, 0, v154
	v_and_b32_e32 v36, v36, v158
	v_not_b32_e32 v154, v155
	v_ashrrev_i32_e32 v151, 31, v151
	s_wait_alu 0xf1ff
	v_xor_b32_e32 v150, s15, v150
	v_cmp_gt_i32_e64 s15, 0, v155
	v_and_b32_e32 v36, v36, v149
	v_not_b32_e32 v149, v157
	v_ashrrev_i32_e32 v154, 31, v154
	s_wait_alu 0xfffd
	v_xor_b32_e32 v151, vcc_lo, v151
	v_cmp_gt_i32_e32 vcc_lo, 0, v157
	v_and_b32_e32 v36, v36, v150
	v_not_b32_e32 v150, v153
	v_ashrrev_i32_e32 v149, 31, v149
	s_wait_alu 0xf1ff
	v_xor_b32_e32 v154, s15, v154
	v_cmp_gt_i32_e64 s15, 0, v153
	v_and_b32_e32 v36, v36, v151
	v_ashrrev_i32_e32 v150, 31, v150
	s_wait_alu 0xfffd
	v_xor_b32_e32 v149, vcc_lo, v149
	v_mad_u32_u24 v151, v37, 36, v118
	v_mul_u32_u24_e32 v37, 36, v37
	v_and_b32_e32 v36, v36, v154
	s_wait_alu 0xf1ff
	v_xor_b32_e32 v150, s15, v150
	s_delay_alu instid0(VALU_DEP_2) | instskip(SKIP_3) | instid1(VALU_DEP_1)
	v_and_b32_e32 v36, v36, v149
	ds_load_b32 v149, v151 offset:1056
	v_add_nc_u32_e32 v151, v118, v37
	; wave barrier
	v_and_b32_e32 v36, v36, v150
	v_mbcnt_lo_u32_b32 v150, v36, 0
	v_cmp_ne_u32_e64 s15, 0, v36
	s_delay_alu instid0(VALU_DEP_2)
	v_cmp_eq_u32_e32 vcc_lo, 0, v150
	s_and_b32 s16, s15, vcc_lo
	s_wait_alu 0xfffe
	s_and_saveexec_b32 s15, s16
	s_cbranch_execz .LBB532_732
; %bb.731:                              ;   in Loop: Header=BB532_690 Depth=2
	s_wait_dscnt 0x0
	v_bcnt_u32_b32 v36, v36, v149
	ds_store_b32 v151, v36 offset:1056
.LBB532_732:                            ;   in Loop: Header=BB532_690 Depth=2
	s_wait_alu 0xfffe
	s_or_b32 exec_lo, exec_lo, s15
	v_xor_b32_e32 v148, 0x7fffffff, v148
	; wave barrier
	s_delay_alu instid0(VALU_DEP_1) | instskip(NEXT) | instid1(VALU_DEP_1)
	v_lshrrev_b32_e32 v36, s49, v148
	v_and_b32_e32 v37, s48, v36
	s_delay_alu instid0(VALU_DEP_1)
	v_and_b32_e32 v36, 1, v37
	v_lshlrev_b32_e32 v153, 30, v37
	v_lshlrev_b32_e32 v154, 29, v37
	;; [unrolled: 1-line block ×4, first 2 shown]
	v_add_co_u32 v36, s15, v36, -1
	s_wait_alu 0xf1ff
	v_cndmask_b32_e64 v157, 0, 1, s15
	v_not_b32_e32 v162, v153
	v_cmp_gt_i32_e64 s15, 0, v153
	v_not_b32_e32 v153, v154
	v_lshlrev_b32_e32 v159, 26, v37
	v_cmp_ne_u32_e32 vcc_lo, 0, v157
	v_ashrrev_i32_e32 v162, 31, v162
	v_lshlrev_b32_e32 v161, 25, v37
	v_ashrrev_i32_e32 v153, 31, v153
	v_lshlrev_b32_e32 v157, 24, v37
	s_wait_alu 0xfffd
	v_xor_b32_e32 v36, vcc_lo, v36
	v_cmp_gt_i32_e32 vcc_lo, 0, v154
	v_not_b32_e32 v154, v155
	s_wait_alu 0xf1ff
	v_xor_b32_e32 v162, s15, v162
	v_cmp_gt_i32_e64 s15, 0, v155
	v_and_b32_e32 v36, exec_lo, v36
	v_not_b32_e32 v155, v158
	v_ashrrev_i32_e32 v154, 31, v154
	s_wait_alu 0xfffd
	v_xor_b32_e32 v153, vcc_lo, v153
	v_cmp_gt_i32_e32 vcc_lo, 0, v158
	v_and_b32_e32 v36, v36, v162
	v_not_b32_e32 v158, v159
	v_ashrrev_i32_e32 v155, 31, v155
	s_wait_alu 0xf1ff
	v_xor_b32_e32 v154, s15, v154
	v_cmp_gt_i32_e64 s15, 0, v159
	v_and_b32_e32 v36, v36, v153
	v_not_b32_e32 v153, v161
	v_ashrrev_i32_e32 v158, 31, v158
	s_wait_alu 0xfffd
	v_xor_b32_e32 v155, vcc_lo, v155
	v_cmp_gt_i32_e32 vcc_lo, 0, v161
	v_and_b32_e32 v36, v36, v154
	v_not_b32_e32 v154, v157
	v_ashrrev_i32_e32 v153, 31, v153
	s_wait_alu 0xf1ff
	v_xor_b32_e32 v158, s15, v158
	v_cmp_gt_i32_e64 s15, 0, v157
	v_and_b32_e32 v36, v36, v155
	v_ashrrev_i32_e32 v154, 31, v154
	s_wait_alu 0xfffd
	v_xor_b32_e32 v153, vcc_lo, v153
	v_mad_u32_u24 v155, v37, 36, v118
	v_mul_u32_u24_e32 v37, 36, v37
	v_and_b32_e32 v36, v36, v158
	s_wait_alu 0xf1ff
	v_xor_b32_e32 v154, s15, v154
	s_delay_alu instid0(VALU_DEP_2) | instskip(SKIP_3) | instid1(VALU_DEP_1)
	v_and_b32_e32 v36, v36, v153
	ds_load_b32 v153, v155 offset:1056
	v_add_nc_u32_e32 v155, v118, v37
	; wave barrier
	v_and_b32_e32 v36, v36, v154
	v_mbcnt_lo_u32_b32 v154, v36, 0
	v_cmp_ne_u32_e64 s15, 0, v36
	s_delay_alu instid0(VALU_DEP_2)
	v_cmp_eq_u32_e32 vcc_lo, 0, v154
	s_and_b32 s16, s15, vcc_lo
	s_wait_alu 0xfffe
	s_and_saveexec_b32 s15, s16
	s_cbranch_execz .LBB532_734
; %bb.733:                              ;   in Loop: Header=BB532_690 Depth=2
	s_wait_dscnt 0x0
	v_bcnt_u32_b32 v36, v36, v153
	ds_store_b32 v155, v36 offset:1056
.LBB532_734:                            ;   in Loop: Header=BB532_690 Depth=2
	s_wait_alu 0xfffe
	s_or_b32 exec_lo, exec_lo, s15
	v_xor_b32_e32 v152, 0x7fffffff, v152
	; wave barrier
	s_delay_alu instid0(VALU_DEP_1) | instskip(NEXT) | instid1(VALU_DEP_1)
	v_lshrrev_b32_e32 v36, s49, v152
	v_and_b32_e32 v37, s48, v36
	s_delay_alu instid0(VALU_DEP_1)
	v_and_b32_e32 v36, 1, v37
	v_lshlrev_b32_e32 v157, 30, v37
	v_lshlrev_b32_e32 v158, 29, v37
	;; [unrolled: 1-line block ×4, first 2 shown]
	v_add_co_u32 v36, s15, v36, -1
	s_wait_alu 0xf1ff
	v_cndmask_b32_e64 v161, 0, 1, s15
	v_not_b32_e32 v166, v157
	v_cmp_gt_i32_e64 s15, 0, v157
	v_not_b32_e32 v157, v158
	v_lshlrev_b32_e32 v163, 26, v37
	v_cmp_ne_u32_e32 vcc_lo, 0, v161
	v_ashrrev_i32_e32 v166, 31, v166
	v_lshlrev_b32_e32 v165, 25, v37
	v_ashrrev_i32_e32 v157, 31, v157
	v_lshlrev_b32_e32 v161, 24, v37
	s_wait_alu 0xfffd
	v_xor_b32_e32 v36, vcc_lo, v36
	v_cmp_gt_i32_e32 vcc_lo, 0, v158
	v_not_b32_e32 v158, v159
	s_wait_alu 0xf1ff
	v_xor_b32_e32 v166, s15, v166
	v_cmp_gt_i32_e64 s15, 0, v159
	v_and_b32_e32 v36, exec_lo, v36
	v_not_b32_e32 v159, v162
	v_ashrrev_i32_e32 v158, 31, v158
	s_wait_alu 0xfffd
	v_xor_b32_e32 v157, vcc_lo, v157
	v_cmp_gt_i32_e32 vcc_lo, 0, v162
	v_and_b32_e32 v36, v36, v166
	v_not_b32_e32 v162, v163
	v_ashrrev_i32_e32 v159, 31, v159
	s_wait_alu 0xf1ff
	v_xor_b32_e32 v158, s15, v158
	v_cmp_gt_i32_e64 s15, 0, v163
	v_and_b32_e32 v36, v36, v157
	v_not_b32_e32 v157, v165
	v_ashrrev_i32_e32 v162, 31, v162
	s_wait_alu 0xfffd
	v_xor_b32_e32 v159, vcc_lo, v159
	v_cmp_gt_i32_e32 vcc_lo, 0, v165
	v_and_b32_e32 v36, v36, v158
	v_not_b32_e32 v158, v161
	v_ashrrev_i32_e32 v157, 31, v157
	s_wait_alu 0xf1ff
	v_xor_b32_e32 v162, s15, v162
	v_cmp_gt_i32_e64 s15, 0, v161
	v_and_b32_e32 v36, v36, v159
	v_ashrrev_i32_e32 v158, 31, v158
	s_wait_alu 0xfffd
	v_xor_b32_e32 v157, vcc_lo, v157
	v_mad_u32_u24 v159, v37, 36, v118
	v_mul_u32_u24_e32 v37, 36, v37
	v_and_b32_e32 v36, v36, v162
	s_wait_alu 0xf1ff
	v_xor_b32_e32 v158, s15, v158
	s_delay_alu instid0(VALU_DEP_2) | instskip(SKIP_3) | instid1(VALU_DEP_1)
	v_and_b32_e32 v36, v36, v157
	ds_load_b32 v157, v159 offset:1056
	v_add_nc_u32_e32 v159, v118, v37
	; wave barrier
	v_and_b32_e32 v36, v36, v158
	v_mbcnt_lo_u32_b32 v158, v36, 0
	v_cmp_ne_u32_e64 s15, 0, v36
	s_delay_alu instid0(VALU_DEP_2)
	v_cmp_eq_u32_e32 vcc_lo, 0, v158
	s_and_b32 s16, s15, vcc_lo
	s_wait_alu 0xfffe
	s_and_saveexec_b32 s15, s16
	s_cbranch_execz .LBB532_736
; %bb.735:                              ;   in Loop: Header=BB532_690 Depth=2
	s_wait_dscnt 0x0
	v_bcnt_u32_b32 v36, v36, v157
	ds_store_b32 v159, v36 offset:1056
.LBB532_736:                            ;   in Loop: Header=BB532_690 Depth=2
	s_wait_alu 0xfffe
	s_or_b32 exec_lo, exec_lo, s15
	v_xor_b32_e32 v156, 0x7fffffff, v156
	; wave barrier
	s_delay_alu instid0(VALU_DEP_1) | instskip(NEXT) | instid1(VALU_DEP_1)
	v_lshrrev_b32_e32 v36, s49, v156
	v_and_b32_e32 v37, s48, v36
	s_delay_alu instid0(VALU_DEP_1)
	v_and_b32_e32 v36, 1, v37
	v_lshlrev_b32_e32 v161, 30, v37
	v_lshlrev_b32_e32 v162, 29, v37
	;; [unrolled: 1-line block ×4, first 2 shown]
	v_add_co_u32 v36, s15, v36, -1
	s_wait_alu 0xf1ff
	v_cndmask_b32_e64 v165, 0, 1, s15
	v_not_b32_e32 v170, v161
	v_cmp_gt_i32_e64 s15, 0, v161
	v_not_b32_e32 v161, v162
	v_lshlrev_b32_e32 v168, 26, v37
	v_cmp_ne_u32_e32 vcc_lo, 0, v165
	v_ashrrev_i32_e32 v170, 31, v170
	v_lshlrev_b32_e32 v169, 25, v37
	v_ashrrev_i32_e32 v161, 31, v161
	v_lshlrev_b32_e32 v165, 24, v37
	s_wait_alu 0xfffd
	v_xor_b32_e32 v36, vcc_lo, v36
	v_cmp_gt_i32_e32 vcc_lo, 0, v162
	v_not_b32_e32 v162, v163
	s_wait_alu 0xf1ff
	v_xor_b32_e32 v170, s15, v170
	v_cmp_gt_i32_e64 s15, 0, v163
	v_and_b32_e32 v36, exec_lo, v36
	v_not_b32_e32 v163, v166
	v_ashrrev_i32_e32 v162, 31, v162
	s_wait_alu 0xfffd
	v_xor_b32_e32 v161, vcc_lo, v161
	v_cmp_gt_i32_e32 vcc_lo, 0, v166
	v_and_b32_e32 v36, v36, v170
	v_not_b32_e32 v166, v168
	v_ashrrev_i32_e32 v163, 31, v163
	s_wait_alu 0xf1ff
	v_xor_b32_e32 v162, s15, v162
	v_cmp_gt_i32_e64 s15, 0, v168
	v_and_b32_e32 v36, v36, v161
	v_not_b32_e32 v161, v169
	v_ashrrev_i32_e32 v166, 31, v166
	s_wait_alu 0xfffd
	v_xor_b32_e32 v163, vcc_lo, v163
	v_cmp_gt_i32_e32 vcc_lo, 0, v169
	v_and_b32_e32 v36, v36, v162
	v_not_b32_e32 v162, v165
	v_ashrrev_i32_e32 v161, 31, v161
	s_wait_alu 0xf1ff
	v_xor_b32_e32 v166, s15, v166
	v_cmp_gt_i32_e64 s15, 0, v165
	v_and_b32_e32 v36, v36, v163
	v_ashrrev_i32_e32 v162, 31, v162
	s_wait_alu 0xfffd
	v_xor_b32_e32 v161, vcc_lo, v161
	v_mad_u32_u24 v163, v37, 36, v118
	v_mul_u32_u24_e32 v37, 36, v37
	v_and_b32_e32 v36, v36, v166
	s_wait_alu 0xf1ff
	v_xor_b32_e32 v162, s15, v162
	s_delay_alu instid0(VALU_DEP_2) | instskip(SKIP_3) | instid1(VALU_DEP_1)
	v_and_b32_e32 v36, v36, v161
	ds_load_b32 v161, v163 offset:1056
	v_add_nc_u32_e32 v163, v118, v37
	; wave barrier
	v_and_b32_e32 v36, v36, v162
	v_mbcnt_lo_u32_b32 v162, v36, 0
	v_cmp_ne_u32_e64 s15, 0, v36
	s_delay_alu instid0(VALU_DEP_2)
	v_cmp_eq_u32_e32 vcc_lo, 0, v162
	s_and_b32 s16, s15, vcc_lo
	s_wait_alu 0xfffe
	s_and_saveexec_b32 s15, s16
	s_cbranch_execz .LBB532_738
; %bb.737:                              ;   in Loop: Header=BB532_690 Depth=2
	s_wait_dscnt 0x0
	v_bcnt_u32_b32 v36, v36, v161
	ds_store_b32 v163, v36 offset:1056
.LBB532_738:                            ;   in Loop: Header=BB532_690 Depth=2
	s_wait_alu 0xfffe
	s_or_b32 exec_lo, exec_lo, s15
	v_xor_b32_e32 v160, 0x7fffffff, v160
	; wave barrier
	s_delay_alu instid0(VALU_DEP_1) | instskip(NEXT) | instid1(VALU_DEP_1)
	v_lshrrev_b32_e32 v36, s49, v160
	v_and_b32_e32 v37, s48, v36
	s_delay_alu instid0(VALU_DEP_1)
	v_and_b32_e32 v36, 1, v37
	v_lshlrev_b32_e32 v165, 30, v37
	v_lshlrev_b32_e32 v166, 29, v37
	;; [unrolled: 1-line block ×4, first 2 shown]
	v_add_co_u32 v36, s15, v36, -1
	s_wait_alu 0xf1ff
	v_cndmask_b32_e64 v169, 0, 1, s15
	v_not_b32_e32 v173, v165
	v_cmp_gt_i32_e64 s15, 0, v165
	v_not_b32_e32 v165, v166
	v_lshlrev_b32_e32 v171, 26, v37
	v_cmp_ne_u32_e32 vcc_lo, 0, v169
	v_ashrrev_i32_e32 v173, 31, v173
	v_lshlrev_b32_e32 v172, 25, v37
	v_ashrrev_i32_e32 v165, 31, v165
	v_lshlrev_b32_e32 v169, 24, v37
	s_wait_alu 0xfffd
	v_xor_b32_e32 v36, vcc_lo, v36
	v_cmp_gt_i32_e32 vcc_lo, 0, v166
	v_not_b32_e32 v166, v168
	s_wait_alu 0xf1ff
	v_xor_b32_e32 v173, s15, v173
	v_cmp_gt_i32_e64 s15, 0, v168
	v_and_b32_e32 v36, exec_lo, v36
	v_not_b32_e32 v168, v170
	v_ashrrev_i32_e32 v166, 31, v166
	s_wait_alu 0xfffd
	v_xor_b32_e32 v165, vcc_lo, v165
	v_cmp_gt_i32_e32 vcc_lo, 0, v170
	v_and_b32_e32 v36, v36, v173
	v_not_b32_e32 v170, v171
	v_ashrrev_i32_e32 v168, 31, v168
	s_wait_alu 0xf1ff
	v_xor_b32_e32 v166, s15, v166
	v_cmp_gt_i32_e64 s15, 0, v171
	v_and_b32_e32 v36, v36, v165
	v_not_b32_e32 v165, v172
	v_ashrrev_i32_e32 v170, 31, v170
	s_wait_alu 0xfffd
	v_xor_b32_e32 v168, vcc_lo, v168
	v_cmp_gt_i32_e32 vcc_lo, 0, v172
	v_and_b32_e32 v36, v36, v166
	v_not_b32_e32 v166, v169
	v_ashrrev_i32_e32 v165, 31, v165
	s_wait_alu 0xf1ff
	v_xor_b32_e32 v170, s15, v170
	v_cmp_gt_i32_e64 s15, 0, v169
	v_and_b32_e32 v36, v36, v168
	v_ashrrev_i32_e32 v166, 31, v166
	s_wait_alu 0xfffd
	v_xor_b32_e32 v165, vcc_lo, v165
	v_mad_u32_u24 v168, v37, 36, v118
	v_mul_u32_u24_e32 v37, 36, v37
	v_and_b32_e32 v36, v36, v170
	s_wait_alu 0xf1ff
	v_xor_b32_e32 v166, s15, v166
	s_delay_alu instid0(VALU_DEP_2) | instskip(SKIP_3) | instid1(VALU_DEP_1)
	v_and_b32_e32 v36, v36, v165
	ds_load_b32 v165, v168 offset:1056
	v_add_nc_u32_e32 v168, v118, v37
	; wave barrier
	v_and_b32_e32 v36, v36, v166
	v_mbcnt_lo_u32_b32 v166, v36, 0
	v_cmp_ne_u32_e64 s15, 0, v36
	s_delay_alu instid0(VALU_DEP_2)
	v_cmp_eq_u32_e32 vcc_lo, 0, v166
	s_and_b32 s16, s15, vcc_lo
	s_wait_alu 0xfffe
	s_and_saveexec_b32 s15, s16
	s_cbranch_execz .LBB532_740
; %bb.739:                              ;   in Loop: Header=BB532_690 Depth=2
	s_wait_dscnt 0x0
	v_bcnt_u32_b32 v36, v36, v165
	ds_store_b32 v168, v36 offset:1056
.LBB532_740:                            ;   in Loop: Header=BB532_690 Depth=2
	s_wait_alu 0xfffe
	s_or_b32 exec_lo, exec_lo, s15
	v_xor_b32_e32 v164, 0x7fffffff, v164
	; wave barrier
	s_delay_alu instid0(VALU_DEP_1) | instskip(NEXT) | instid1(VALU_DEP_1)
	v_lshrrev_b32_e32 v36, s49, v164
	v_and_b32_e32 v37, s48, v36
	s_delay_alu instid0(VALU_DEP_1)
	v_and_b32_e32 v36, 1, v37
	v_lshlrev_b32_e32 v169, 30, v37
	v_lshlrev_b32_e32 v170, 29, v37
	;; [unrolled: 1-line block ×4, first 2 shown]
	v_add_co_u32 v36, s15, v36, -1
	s_wait_alu 0xf1ff
	v_cndmask_b32_e64 v172, 0, 1, s15
	v_not_b32_e32 v176, v169
	v_cmp_gt_i32_e64 s15, 0, v169
	v_not_b32_e32 v169, v170
	v_lshlrev_b32_e32 v174, 26, v37
	v_cmp_ne_u32_e32 vcc_lo, 0, v172
	v_ashrrev_i32_e32 v176, 31, v176
	v_lshlrev_b32_e32 v175, 25, v37
	v_ashrrev_i32_e32 v169, 31, v169
	v_lshlrev_b32_e32 v172, 24, v37
	s_wait_alu 0xfffd
	v_xor_b32_e32 v36, vcc_lo, v36
	v_cmp_gt_i32_e32 vcc_lo, 0, v170
	v_not_b32_e32 v170, v171
	s_wait_alu 0xf1ff
	v_xor_b32_e32 v176, s15, v176
	v_cmp_gt_i32_e64 s15, 0, v171
	v_and_b32_e32 v36, exec_lo, v36
	v_not_b32_e32 v171, v173
	v_ashrrev_i32_e32 v170, 31, v170
	s_wait_alu 0xfffd
	v_xor_b32_e32 v169, vcc_lo, v169
	v_cmp_gt_i32_e32 vcc_lo, 0, v173
	v_and_b32_e32 v36, v36, v176
	v_not_b32_e32 v173, v174
	v_ashrrev_i32_e32 v171, 31, v171
	s_wait_alu 0xf1ff
	v_xor_b32_e32 v170, s15, v170
	v_cmp_gt_i32_e64 s15, 0, v174
	v_and_b32_e32 v36, v36, v169
	v_not_b32_e32 v169, v175
	v_ashrrev_i32_e32 v173, 31, v173
	s_wait_alu 0xfffd
	v_xor_b32_e32 v171, vcc_lo, v171
	v_cmp_gt_i32_e32 vcc_lo, 0, v175
	v_and_b32_e32 v36, v36, v170
	v_not_b32_e32 v170, v172
	v_ashrrev_i32_e32 v169, 31, v169
	s_wait_alu 0xf1ff
	v_xor_b32_e32 v173, s15, v173
	v_cmp_gt_i32_e64 s15, 0, v172
	v_and_b32_e32 v36, v36, v171
	v_ashrrev_i32_e32 v170, 31, v170
	s_wait_alu 0xfffd
	v_xor_b32_e32 v169, vcc_lo, v169
	v_mad_u32_u24 v171, v37, 36, v118
	v_mul_u32_u24_e32 v37, 36, v37
	v_and_b32_e32 v36, v36, v173
	s_wait_alu 0xf1ff
	v_xor_b32_e32 v170, s15, v170
	s_delay_alu instid0(VALU_DEP_2) | instskip(SKIP_3) | instid1(VALU_DEP_1)
	v_and_b32_e32 v36, v36, v169
	ds_load_b32 v169, v171 offset:1056
	v_add_nc_u32_e32 v171, v118, v37
	; wave barrier
	v_and_b32_e32 v36, v36, v170
	v_mbcnt_lo_u32_b32 v170, v36, 0
	v_cmp_ne_u32_e64 s15, 0, v36
	s_delay_alu instid0(VALU_DEP_2)
	v_cmp_eq_u32_e32 vcc_lo, 0, v170
	s_and_b32 s16, s15, vcc_lo
	s_wait_alu 0xfffe
	s_and_saveexec_b32 s15, s16
	s_cbranch_execz .LBB532_742
; %bb.741:                              ;   in Loop: Header=BB532_690 Depth=2
	s_wait_dscnt 0x0
	v_bcnt_u32_b32 v36, v36, v169
	ds_store_b32 v171, v36 offset:1056
.LBB532_742:                            ;   in Loop: Header=BB532_690 Depth=2
	s_wait_alu 0xfffe
	s_or_b32 exec_lo, exec_lo, s15
	v_xor_b32_e32 v167, 0x7fffffff, v167
	; wave barrier
	s_delay_alu instid0(VALU_DEP_1) | instskip(NEXT) | instid1(VALU_DEP_1)
	v_lshrrev_b32_e32 v36, s49, v167
	v_and_b32_e32 v37, s48, v36
	s_delay_alu instid0(VALU_DEP_1)
	v_and_b32_e32 v36, 1, v37
	v_lshlrev_b32_e32 v172, 30, v37
	v_lshlrev_b32_e32 v173, 29, v37
	;; [unrolled: 1-line block ×4, first 2 shown]
	v_add_co_u32 v36, s15, v36, -1
	s_wait_alu 0xf1ff
	v_cndmask_b32_e64 v175, 0, 1, s15
	v_not_b32_e32 v179, v172
	v_cmp_gt_i32_e64 s15, 0, v172
	v_not_b32_e32 v172, v173
	v_lshlrev_b32_e32 v177, 26, v37
	v_cmp_ne_u32_e32 vcc_lo, 0, v175
	v_ashrrev_i32_e32 v179, 31, v179
	v_lshlrev_b32_e32 v178, 25, v37
	v_ashrrev_i32_e32 v172, 31, v172
	v_lshlrev_b32_e32 v175, 24, v37
	s_wait_alu 0xfffd
	v_xor_b32_e32 v36, vcc_lo, v36
	v_cmp_gt_i32_e32 vcc_lo, 0, v173
	v_not_b32_e32 v173, v174
	s_wait_alu 0xf1ff
	v_xor_b32_e32 v179, s15, v179
	v_cmp_gt_i32_e64 s15, 0, v174
	v_and_b32_e32 v36, exec_lo, v36
	v_not_b32_e32 v174, v176
	v_ashrrev_i32_e32 v173, 31, v173
	s_wait_alu 0xfffd
	v_xor_b32_e32 v172, vcc_lo, v172
	v_cmp_gt_i32_e32 vcc_lo, 0, v176
	v_and_b32_e32 v36, v36, v179
	v_not_b32_e32 v176, v177
	v_ashrrev_i32_e32 v174, 31, v174
	s_wait_alu 0xf1ff
	v_xor_b32_e32 v173, s15, v173
	v_cmp_gt_i32_e64 s15, 0, v177
	v_and_b32_e32 v36, v36, v172
	v_not_b32_e32 v172, v178
	v_ashrrev_i32_e32 v176, 31, v176
	s_wait_alu 0xfffd
	v_xor_b32_e32 v174, vcc_lo, v174
	v_cmp_gt_i32_e32 vcc_lo, 0, v178
	v_and_b32_e32 v36, v36, v173
	v_not_b32_e32 v173, v175
	v_ashrrev_i32_e32 v172, 31, v172
	s_wait_alu 0xf1ff
	v_xor_b32_e32 v176, s15, v176
	v_cmp_gt_i32_e64 s15, 0, v175
	v_and_b32_e32 v36, v36, v174
	v_ashrrev_i32_e32 v173, 31, v173
	s_wait_alu 0xfffd
	v_xor_b32_e32 v172, vcc_lo, v172
	v_mad_u32_u24 v174, v37, 36, v118
	v_mul_u32_u24_e32 v37, 36, v37
	v_and_b32_e32 v36, v36, v176
	s_wait_alu 0xf1ff
	v_xor_b32_e32 v175, s15, v173
	ds_load_b32 v173, v174 offset:1056
	v_and_b32_e32 v36, v36, v172
	; wave barrier
	s_delay_alu instid0(VALU_DEP_1) | instskip(SKIP_1) | instid1(VALU_DEP_2)
	v_and_b32_e32 v36, v36, v175
	v_add_nc_u32_e32 v175, v118, v37
	v_mbcnt_lo_u32_b32 v174, v36, 0
	v_cmp_ne_u32_e64 s15, 0, v36
	s_delay_alu instid0(VALU_DEP_2)
	v_cmp_eq_u32_e32 vcc_lo, 0, v174
	s_and_b32 s16, s15, vcc_lo
	s_wait_alu 0xfffe
	s_and_saveexec_b32 s15, s16
	s_cbranch_execz .LBB532_744
; %bb.743:                              ;   in Loop: Header=BB532_690 Depth=2
	s_wait_dscnt 0x0
	v_bcnt_u32_b32 v36, v36, v173
	ds_store_b32 v175, v36 offset:1056
.LBB532_744:                            ;   in Loop: Header=BB532_690 Depth=2
	s_wait_alu 0xfffe
	s_or_b32 exec_lo, exec_lo, s15
	v_xor_b32_e32 v172, 0x7fffffff, v43
	; wave barrier
	s_delay_alu instid0(VALU_DEP_1) | instskip(NEXT) | instid1(VALU_DEP_1)
	v_lshrrev_b32_e32 v36, s49, v172
	v_and_b32_e32 v37, s48, v36
	s_delay_alu instid0(VALU_DEP_1)
	v_and_b32_e32 v36, 1, v37
	v_lshlrev_b32_e32 v43, 30, v37
	v_lshlrev_b32_e32 v176, 29, v37
	;; [unrolled: 1-line block ×4, first 2 shown]
	v_add_co_u32 v36, s15, v36, -1
	s_wait_alu 0xf1ff
	v_cndmask_b32_e64 v178, 0, 1, s15
	v_not_b32_e32 v182, v43
	v_cmp_gt_i32_e64 s15, 0, v43
	v_not_b32_e32 v43, v176
	v_lshlrev_b32_e32 v180, 26, v37
	v_cmp_ne_u32_e32 vcc_lo, 0, v178
	v_ashrrev_i32_e32 v182, 31, v182
	v_lshlrev_b32_e32 v181, 25, v37
	v_ashrrev_i32_e32 v43, 31, v43
	v_lshlrev_b32_e32 v178, 24, v37
	s_wait_alu 0xfffd
	v_xor_b32_e32 v36, vcc_lo, v36
	v_cmp_gt_i32_e32 vcc_lo, 0, v176
	v_not_b32_e32 v176, v177
	s_wait_alu 0xf1ff
	v_xor_b32_e32 v182, s15, v182
	v_cmp_gt_i32_e64 s15, 0, v177
	v_and_b32_e32 v36, exec_lo, v36
	v_not_b32_e32 v177, v179
	v_ashrrev_i32_e32 v176, 31, v176
	s_wait_alu 0xfffd
	v_xor_b32_e32 v43, vcc_lo, v43
	v_cmp_gt_i32_e32 vcc_lo, 0, v179
	v_and_b32_e32 v36, v36, v182
	v_not_b32_e32 v179, v180
	v_ashrrev_i32_e32 v177, 31, v177
	s_wait_alu 0xf1ff
	v_xor_b32_e32 v176, s15, v176
	v_cmp_gt_i32_e64 s15, 0, v180
	v_and_b32_e32 v36, v36, v43
	v_not_b32_e32 v43, v181
	v_ashrrev_i32_e32 v179, 31, v179
	s_wait_alu 0xfffd
	v_xor_b32_e32 v177, vcc_lo, v177
	v_cmp_gt_i32_e32 vcc_lo, 0, v181
	v_and_b32_e32 v36, v36, v176
	v_not_b32_e32 v176, v178
	v_ashrrev_i32_e32 v43, 31, v43
	s_wait_alu 0xf1ff
	v_xor_b32_e32 v179, s15, v179
	v_cmp_gt_i32_e64 s15, 0, v178
	v_and_b32_e32 v36, v36, v177
	v_ashrrev_i32_e32 v176, 31, v176
	s_wait_alu 0xfffd
	v_xor_b32_e32 v43, vcc_lo, v43
	v_mad_u32_u24 v177, v37, 36, v118
	v_mul_u32_u24_e32 v37, 36, v37
	v_and_b32_e32 v36, v36, v179
	s_wait_alu 0xf1ff
	v_xor_b32_e32 v176, s15, v176
	ds_load_b32 v177, v177 offset:1056
	v_add_nc_u32_e32 v179, v118, v37
	v_and_b32_e32 v36, v36, v43
	; wave barrier
	s_delay_alu instid0(VALU_DEP_1) | instskip(NEXT) | instid1(VALU_DEP_1)
	v_and_b32_e32 v36, v36, v176
	v_mbcnt_lo_u32_b32 v178, v36, 0
	v_cmp_ne_u32_e64 s15, 0, v36
	s_delay_alu instid0(VALU_DEP_2)
	v_cmp_eq_u32_e32 vcc_lo, 0, v178
	s_and_b32 s16, s15, vcc_lo
	s_wait_alu 0xfffe
	s_and_saveexec_b32 s15, s16
	s_cbranch_execz .LBB532_746
; %bb.745:                              ;   in Loop: Header=BB532_690 Depth=2
	s_wait_dscnt 0x0
	v_bcnt_u32_b32 v36, v36, v177
	ds_store_b32 v179, v36 offset:1056
.LBB532_746:                            ;   in Loop: Header=BB532_690 Depth=2
	s_wait_alu 0xfffe
	s_or_b32 exec_lo, exec_lo, s15
	v_xor_b32_e32 v176, 0x7fffffff, v42
	; wave barrier
	s_delay_alu instid0(VALU_DEP_1) | instskip(NEXT) | instid1(VALU_DEP_1)
	v_lshrrev_b32_e32 v36, s49, v176
	v_and_b32_e32 v37, s48, v36
	s_delay_alu instid0(VALU_DEP_1)
	v_and_b32_e32 v36, 1, v37
	v_lshlrev_b32_e32 v42, 30, v37
	v_lshlrev_b32_e32 v43, 29, v37
	;; [unrolled: 1-line block ×4, first 2 shown]
	v_add_co_u32 v36, s15, v36, -1
	s_wait_alu 0xf1ff
	v_cndmask_b32_e64 v181, 0, 1, s15
	v_not_b32_e32 v185, v42
	v_cmp_gt_i32_e64 s15, 0, v42
	v_not_b32_e32 v42, v43
	v_lshlrev_b32_e32 v183, 26, v37
	v_cmp_ne_u32_e32 vcc_lo, 0, v181
	v_ashrrev_i32_e32 v185, 31, v185
	v_lshlrev_b32_e32 v184, 25, v37
	v_ashrrev_i32_e32 v42, 31, v42
	v_lshlrev_b32_e32 v181, 24, v37
	s_wait_alu 0xfffd
	v_xor_b32_e32 v36, vcc_lo, v36
	v_cmp_gt_i32_e32 vcc_lo, 0, v43
	v_not_b32_e32 v43, v180
	s_wait_alu 0xf1ff
	v_xor_b32_e32 v185, s15, v185
	v_cmp_gt_i32_e64 s15, 0, v180
	v_and_b32_e32 v36, exec_lo, v36
	v_not_b32_e32 v180, v182
	v_ashrrev_i32_e32 v43, 31, v43
	s_wait_alu 0xfffd
	v_xor_b32_e32 v42, vcc_lo, v42
	v_cmp_gt_i32_e32 vcc_lo, 0, v182
	v_and_b32_e32 v36, v36, v185
	v_not_b32_e32 v182, v183
	v_ashrrev_i32_e32 v180, 31, v180
	s_wait_alu 0xf1ff
	v_xor_b32_e32 v43, s15, v43
	v_cmp_gt_i32_e64 s15, 0, v183
	v_and_b32_e32 v36, v36, v42
	v_not_b32_e32 v42, v184
	v_ashrrev_i32_e32 v182, 31, v182
	s_wait_alu 0xfffd
	v_xor_b32_e32 v180, vcc_lo, v180
	v_cmp_gt_i32_e32 vcc_lo, 0, v184
	v_and_b32_e32 v36, v36, v43
	v_not_b32_e32 v43, v181
	v_ashrrev_i32_e32 v42, 31, v42
	s_wait_alu 0xf1ff
	v_xor_b32_e32 v182, s15, v182
	v_cmp_gt_i32_e64 s15, 0, v181
	v_and_b32_e32 v36, v36, v180
	v_ashrrev_i32_e32 v43, 31, v43
	s_wait_alu 0xfffd
	v_xor_b32_e32 v42, vcc_lo, v42
	v_mad_u32_u24 v180, v37, 36, v118
	v_mul_u32_u24_e32 v37, 36, v37
	v_and_b32_e32 v36, v36, v182
	s_wait_alu 0xf1ff
	v_xor_b32_e32 v43, s15, v43
	ds_load_b32 v181, v180 offset:1056
	v_add_nc_u32_e32 v183, v118, v37
	v_and_b32_e32 v36, v36, v42
	; wave barrier
	s_delay_alu instid0(VALU_DEP_1) | instskip(NEXT) | instid1(VALU_DEP_1)
	v_and_b32_e32 v36, v36, v43
	v_mbcnt_lo_u32_b32 v182, v36, 0
	v_cmp_ne_u32_e64 s15, 0, v36
	s_delay_alu instid0(VALU_DEP_2)
	v_cmp_eq_u32_e32 vcc_lo, 0, v182
	s_and_b32 s16, s15, vcc_lo
	s_wait_alu 0xfffe
	s_and_saveexec_b32 s15, s16
	s_cbranch_execz .LBB532_748
; %bb.747:                              ;   in Loop: Header=BB532_690 Depth=2
	s_wait_dscnt 0x0
	v_bcnt_u32_b32 v36, v36, v181
	ds_store_b32 v183, v36 offset:1056
.LBB532_748:                            ;   in Loop: Header=BB532_690 Depth=2
	s_wait_alu 0xfffe
	s_or_b32 exec_lo, exec_lo, s15
	v_xor_b32_e32 v180, 0x7fffffff, v41
	; wave barrier
	s_delay_alu instid0(VALU_DEP_1) | instskip(NEXT) | instid1(VALU_DEP_1)
	v_lshrrev_b32_e32 v36, s49, v180
	v_and_b32_e32 v37, s48, v36
	s_delay_alu instid0(VALU_DEP_1)
	v_and_b32_e32 v36, 1, v37
	v_lshlrev_b32_e32 v41, 30, v37
	v_lshlrev_b32_e32 v42, 29, v37
	;; [unrolled: 1-line block ×4, first 2 shown]
	v_add_co_u32 v36, s15, v36, -1
	s_wait_alu 0xf1ff
	v_cndmask_b32_e64 v184, 0, 1, s15
	v_not_b32_e32 v188, v41
	v_cmp_gt_i32_e64 s15, 0, v41
	v_not_b32_e32 v41, v42
	v_lshlrev_b32_e32 v186, 26, v37
	v_cmp_ne_u32_e32 vcc_lo, 0, v184
	v_ashrrev_i32_e32 v188, 31, v188
	v_lshlrev_b32_e32 v187, 25, v37
	v_ashrrev_i32_e32 v41, 31, v41
	v_lshlrev_b32_e32 v184, 24, v37
	s_wait_alu 0xfffd
	v_xor_b32_e32 v36, vcc_lo, v36
	v_cmp_gt_i32_e32 vcc_lo, 0, v42
	v_not_b32_e32 v42, v43
	s_wait_alu 0xf1ff
	v_xor_b32_e32 v188, s15, v188
	v_cmp_gt_i32_e64 s15, 0, v43
	v_and_b32_e32 v36, exec_lo, v36
	v_not_b32_e32 v43, v185
	v_ashrrev_i32_e32 v42, 31, v42
	s_wait_alu 0xfffd
	v_xor_b32_e32 v41, vcc_lo, v41
	v_cmp_gt_i32_e32 vcc_lo, 0, v185
	v_and_b32_e32 v36, v36, v188
	v_not_b32_e32 v185, v186
	v_ashrrev_i32_e32 v43, 31, v43
	s_wait_alu 0xf1ff
	v_xor_b32_e32 v42, s15, v42
	v_cmp_gt_i32_e64 s15, 0, v186
	v_and_b32_e32 v36, v36, v41
	v_not_b32_e32 v41, v187
	v_ashrrev_i32_e32 v185, 31, v185
	s_wait_alu 0xfffd
	v_xor_b32_e32 v43, vcc_lo, v43
	v_cmp_gt_i32_e32 vcc_lo, 0, v187
	v_and_b32_e32 v36, v36, v42
	v_not_b32_e32 v42, v184
	v_ashrrev_i32_e32 v41, 31, v41
	s_wait_alu 0xf1ff
	v_xor_b32_e32 v185, s15, v185
	v_cmp_gt_i32_e64 s15, 0, v184
	v_and_b32_e32 v36, v36, v43
	v_ashrrev_i32_e32 v42, 31, v42
	s_wait_alu 0xfffd
	v_xor_b32_e32 v41, vcc_lo, v41
	v_mad_u32_u24 v43, v37, 36, v118
	v_mul_u32_u24_e32 v37, 36, v37
	v_and_b32_e32 v36, v36, v185
	s_wait_alu 0xf1ff
	v_xor_b32_e32 v42, s15, v42
	ds_load_b32 v185, v43 offset:1056
	v_add_nc_u32_e32 v187, v118, v37
	v_and_b32_e32 v36, v36, v41
	; wave barrier
	s_delay_alu instid0(VALU_DEP_1) | instskip(NEXT) | instid1(VALU_DEP_1)
	v_and_b32_e32 v36, v36, v42
	v_mbcnt_lo_u32_b32 v186, v36, 0
	v_cmp_ne_u32_e64 s15, 0, v36
	s_delay_alu instid0(VALU_DEP_2)
	v_cmp_eq_u32_e32 vcc_lo, 0, v186
	s_and_b32 s16, s15, vcc_lo
	s_wait_alu 0xfffe
	s_and_saveexec_b32 s15, s16
	s_cbranch_execz .LBB532_750
; %bb.749:                              ;   in Loop: Header=BB532_690 Depth=2
	s_wait_dscnt 0x0
	v_bcnt_u32_b32 v36, v36, v185
	ds_store_b32 v187, v36 offset:1056
.LBB532_750:                            ;   in Loop: Header=BB532_690 Depth=2
	s_wait_alu 0xfffe
	s_or_b32 exec_lo, exec_lo, s15
	v_xor_b32_e32 v184, 0x7fffffff, v40
	; wave barrier
	s_delay_alu instid0(VALU_DEP_1) | instskip(NEXT) | instid1(VALU_DEP_1)
	v_lshrrev_b32_e32 v36, s49, v184
	v_and_b32_e32 v37, s48, v36
	s_delay_alu instid0(VALU_DEP_1)
	v_and_b32_e32 v36, 1, v37
	v_lshlrev_b32_e32 v40, 30, v37
	v_lshlrev_b32_e32 v41, 29, v37
	;; [unrolled: 1-line block ×4, first 2 shown]
	v_add_co_u32 v36, s15, v36, -1
	s_wait_alu 0xf1ff
	v_cndmask_b32_e64 v43, 0, 1, s15
	v_not_b32_e32 v191, v40
	v_cmp_gt_i32_e64 s15, 0, v40
	v_not_b32_e32 v40, v41
	v_lshlrev_b32_e32 v189, 26, v37
	v_cmp_ne_u32_e32 vcc_lo, 0, v43
	v_ashrrev_i32_e32 v191, 31, v191
	v_lshlrev_b32_e32 v190, 25, v37
	v_ashrrev_i32_e32 v40, 31, v40
	v_lshlrev_b32_e32 v43, 24, v37
	s_wait_alu 0xfffd
	v_xor_b32_e32 v36, vcc_lo, v36
	v_cmp_gt_i32_e32 vcc_lo, 0, v41
	v_not_b32_e32 v41, v42
	s_wait_alu 0xf1ff
	v_xor_b32_e32 v191, s15, v191
	v_cmp_gt_i32_e64 s15, 0, v42
	v_and_b32_e32 v36, exec_lo, v36
	v_not_b32_e32 v42, v188
	v_ashrrev_i32_e32 v41, 31, v41
	s_wait_alu 0xfffd
	v_xor_b32_e32 v40, vcc_lo, v40
	v_cmp_gt_i32_e32 vcc_lo, 0, v188
	v_and_b32_e32 v36, v36, v191
	v_not_b32_e32 v188, v189
	v_ashrrev_i32_e32 v42, 31, v42
	s_wait_alu 0xf1ff
	v_xor_b32_e32 v41, s15, v41
	v_cmp_gt_i32_e64 s15, 0, v189
	v_and_b32_e32 v36, v36, v40
	v_not_b32_e32 v40, v190
	v_ashrrev_i32_e32 v188, 31, v188
	s_wait_alu 0xfffd
	v_xor_b32_e32 v42, vcc_lo, v42
	v_cmp_gt_i32_e32 vcc_lo, 0, v190
	v_and_b32_e32 v36, v36, v41
	v_not_b32_e32 v41, v43
	v_ashrrev_i32_e32 v40, 31, v40
	s_wait_alu 0xf1ff
	v_xor_b32_e32 v188, s15, v188
	v_cmp_gt_i32_e64 s15, 0, v43
	v_and_b32_e32 v36, v36, v42
	v_ashrrev_i32_e32 v41, 31, v41
	s_wait_alu 0xfffd
	v_xor_b32_e32 v40, vcc_lo, v40
	v_mad_u32_u24 v42, v37, 36, v118
	v_mul_u32_u24_e32 v37, 36, v37
	v_and_b32_e32 v36, v36, v188
	s_wait_alu 0xf1ff
	v_xor_b32_e32 v41, s15, v41
	ds_load_b32 v189, v42 offset:1056
	v_add_nc_u32_e32 v191, v118, v37
	v_and_b32_e32 v36, v36, v40
	; wave barrier
	s_delay_alu instid0(VALU_DEP_1) | instskip(NEXT) | instid1(VALU_DEP_1)
	v_and_b32_e32 v36, v36, v41
	v_mbcnt_lo_u32_b32 v190, v36, 0
	v_cmp_ne_u32_e64 s15, 0, v36
	s_delay_alu instid0(VALU_DEP_2)
	v_cmp_eq_u32_e32 vcc_lo, 0, v190
	s_and_b32 s16, s15, vcc_lo
	s_wait_alu 0xfffe
	s_and_saveexec_b32 s15, s16
	s_cbranch_execz .LBB532_752
; %bb.751:                              ;   in Loop: Header=BB532_690 Depth=2
	s_wait_dscnt 0x0
	v_bcnt_u32_b32 v36, v36, v189
	ds_store_b32 v191, v36 offset:1056
.LBB532_752:                            ;   in Loop: Header=BB532_690 Depth=2
	s_wait_alu 0xfffe
	s_or_b32 exec_lo, exec_lo, s15
	v_xor_b32_e32 v188, 0x7fffffff, v39
	; wave barrier
	s_delay_alu instid0(VALU_DEP_1) | instskip(NEXT) | instid1(VALU_DEP_1)
	v_lshrrev_b32_e32 v36, s49, v188
	v_and_b32_e32 v37, s48, v36
	s_delay_alu instid0(VALU_DEP_1)
	v_and_b32_e32 v36, 1, v37
	v_lshlrev_b32_e32 v39, 30, v37
	v_lshlrev_b32_e32 v40, 29, v37
	;; [unrolled: 1-line block ×4, first 2 shown]
	v_add_co_u32 v36, s15, v36, -1
	s_wait_alu 0xf1ff
	v_cndmask_b32_e64 v42, 0, 1, s15
	v_not_b32_e32 v194, v39
	v_cmp_gt_i32_e64 s15, 0, v39
	v_not_b32_e32 v39, v40
	v_lshlrev_b32_e32 v192, 26, v37
	v_cmp_ne_u32_e32 vcc_lo, 0, v42
	v_ashrrev_i32_e32 v194, 31, v194
	v_lshlrev_b32_e32 v193, 25, v37
	v_ashrrev_i32_e32 v39, 31, v39
	v_lshlrev_b32_e32 v42, 24, v37
	s_wait_alu 0xfffd
	v_xor_b32_e32 v36, vcc_lo, v36
	v_cmp_gt_i32_e32 vcc_lo, 0, v40
	v_not_b32_e32 v40, v41
	s_wait_alu 0xf1ff
	v_xor_b32_e32 v194, s15, v194
	v_cmp_gt_i32_e64 s15, 0, v41
	v_and_b32_e32 v36, exec_lo, v36
	v_not_b32_e32 v41, v43
	v_ashrrev_i32_e32 v40, 31, v40
	s_wait_alu 0xfffd
	v_xor_b32_e32 v39, vcc_lo, v39
	v_cmp_gt_i32_e32 vcc_lo, 0, v43
	v_and_b32_e32 v36, v36, v194
	v_not_b32_e32 v43, v192
	v_ashrrev_i32_e32 v41, 31, v41
	s_wait_alu 0xf1ff
	v_xor_b32_e32 v40, s15, v40
	v_cmp_gt_i32_e64 s15, 0, v192
	v_and_b32_e32 v36, v36, v39
	v_not_b32_e32 v39, v193
	v_ashrrev_i32_e32 v43, 31, v43
	s_wait_alu 0xfffd
	v_xor_b32_e32 v41, vcc_lo, v41
	v_cmp_gt_i32_e32 vcc_lo, 0, v193
	v_and_b32_e32 v36, v36, v40
	v_not_b32_e32 v40, v42
	v_ashrrev_i32_e32 v39, 31, v39
	s_wait_alu 0xf1ff
	v_xor_b32_e32 v43, s15, v43
	v_cmp_gt_i32_e64 s15, 0, v42
	v_and_b32_e32 v36, v36, v41
	v_ashrrev_i32_e32 v40, 31, v40
	s_wait_alu 0xfffd
	v_xor_b32_e32 v39, vcc_lo, v39
	v_mad_u32_u24 v41, v37, 36, v118
	v_mul_u32_u24_e32 v37, 36, v37
	v_and_b32_e32 v36, v36, v43
	s_wait_alu 0xf1ff
	v_xor_b32_e32 v40, s15, v40
	ds_load_b32 v193, v41 offset:1056
	v_add_nc_u32_e32 v195, v118, v37
	v_and_b32_e32 v36, v36, v39
	; wave barrier
	s_delay_alu instid0(VALU_DEP_1) | instskip(NEXT) | instid1(VALU_DEP_1)
	v_and_b32_e32 v36, v36, v40
	v_mbcnt_lo_u32_b32 v194, v36, 0
	v_cmp_ne_u32_e64 s15, 0, v36
	s_delay_alu instid0(VALU_DEP_2)
	v_cmp_eq_u32_e32 vcc_lo, 0, v194
	s_and_b32 s16, s15, vcc_lo
	s_wait_alu 0xfffe
	s_and_saveexec_b32 s15, s16
	s_cbranch_execz .LBB532_754
; %bb.753:                              ;   in Loop: Header=BB532_690 Depth=2
	s_wait_dscnt 0x0
	v_bcnt_u32_b32 v36, v36, v193
	ds_store_b32 v195, v36 offset:1056
.LBB532_754:                            ;   in Loop: Header=BB532_690 Depth=2
	s_wait_alu 0xfffe
	s_or_b32 exec_lo, exec_lo, s15
	v_xor_b32_e32 v192, 0x7fffffff, v38
	; wave barrier
	s_delay_alu instid0(VALU_DEP_1) | instskip(NEXT) | instid1(VALU_DEP_1)
	v_lshrrev_b32_e32 v36, s49, v192
	v_and_b32_e32 v37, s48, v36
	s_delay_alu instid0(VALU_DEP_1)
	v_and_b32_e32 v36, 1, v37
	v_lshlrev_b32_e32 v38, 30, v37
	v_lshlrev_b32_e32 v39, 29, v37
	v_lshlrev_b32_e32 v40, 28, v37
	v_lshlrev_b32_e32 v42, 27, v37
	v_add_co_u32 v36, s15, v36, -1
	s_wait_alu 0xf1ff
	v_cndmask_b32_e64 v41, 0, 1, s15
	v_not_b32_e32 v197, v38
	v_cmp_gt_i32_e64 s15, 0, v38
	v_not_b32_e32 v38, v39
	v_lshlrev_b32_e32 v43, 26, v37
	v_cmp_ne_u32_e32 vcc_lo, 0, v41
	v_ashrrev_i32_e32 v197, 31, v197
	v_lshlrev_b32_e32 v196, 25, v37
	v_ashrrev_i32_e32 v38, 31, v38
	v_lshlrev_b32_e32 v41, 24, v37
	s_wait_alu 0xfffd
	v_xor_b32_e32 v36, vcc_lo, v36
	v_cmp_gt_i32_e32 vcc_lo, 0, v39
	v_not_b32_e32 v39, v40
	s_wait_alu 0xf1ff
	v_xor_b32_e32 v197, s15, v197
	v_cmp_gt_i32_e64 s15, 0, v40
	v_and_b32_e32 v36, exec_lo, v36
	v_not_b32_e32 v40, v42
	v_ashrrev_i32_e32 v39, 31, v39
	s_wait_alu 0xfffd
	v_xor_b32_e32 v38, vcc_lo, v38
	v_cmp_gt_i32_e32 vcc_lo, 0, v42
	v_and_b32_e32 v36, v36, v197
	v_not_b32_e32 v42, v43
	v_ashrrev_i32_e32 v40, 31, v40
	s_wait_alu 0xf1ff
	v_xor_b32_e32 v39, s15, v39
	v_cmp_gt_i32_e64 s15, 0, v43
	v_and_b32_e32 v36, v36, v38
	v_not_b32_e32 v38, v196
	v_ashrrev_i32_e32 v42, 31, v42
	s_wait_alu 0xfffd
	v_xor_b32_e32 v40, vcc_lo, v40
	v_cmp_gt_i32_e32 vcc_lo, 0, v196
	v_and_b32_e32 v36, v36, v39
	v_not_b32_e32 v39, v41
	v_ashrrev_i32_e32 v38, 31, v38
	s_wait_alu 0xf1ff
	v_xor_b32_e32 v42, s15, v42
	v_cmp_gt_i32_e64 s15, 0, v41
	v_and_b32_e32 v36, v36, v40
	v_ashrrev_i32_e32 v39, 31, v39
	s_wait_alu 0xfffd
	v_xor_b32_e32 v38, vcc_lo, v38
	v_mad_u32_u24 v40, v37, 36, v118
	v_mul_u32_u24_e32 v37, 36, v37
	v_and_b32_e32 v36, v36, v42
	s_wait_alu 0xf1ff
	v_xor_b32_e32 v39, s15, v39
	ds_load_b32 v196, v40 offset:1056
	v_add_nc_u32_e32 v198, v118, v37
	v_and_b32_e32 v36, v36, v38
	; wave barrier
	s_delay_alu instid0(VALU_DEP_1) | instskip(NEXT) | instid1(VALU_DEP_1)
	v_and_b32_e32 v36, v36, v39
	v_mbcnt_lo_u32_b32 v197, v36, 0
	v_cmp_ne_u32_e64 s15, 0, v36
	s_delay_alu instid0(VALU_DEP_2)
	v_cmp_eq_u32_e32 vcc_lo, 0, v197
	s_and_b32 s16, s15, vcc_lo
	s_wait_alu 0xfffe
	s_and_saveexec_b32 s15, s16
	s_cbranch_execz .LBB532_756
; %bb.755:                              ;   in Loop: Header=BB532_690 Depth=2
	s_wait_dscnt 0x0
	v_bcnt_u32_b32 v36, v36, v196
	ds_store_b32 v198, v36 offset:1056
.LBB532_756:                            ;   in Loop: Header=BB532_690 Depth=2
	s_wait_alu 0xfffe
	s_or_b32 exec_lo, exec_lo, s15
	v_lshrrev_b32_e32 v36, s49, v2
	; wave barrier
	s_delay_alu instid0(VALU_DEP_1) | instskip(NEXT) | instid1(VALU_DEP_1)
	v_and_b32_e32 v37, s48, v36
	v_and_b32_e32 v36, 1, v37
	v_lshlrev_b32_e32 v38, 30, v37
	v_lshlrev_b32_e32 v39, 29, v37
	;; [unrolled: 1-line block ×4, first 2 shown]
	v_add_co_u32 v36, s15, v36, -1
	s_wait_alu 0xf1ff
	v_cndmask_b32_e64 v41, 0, 1, s15
	v_not_b32_e32 v200, v38
	v_cmp_gt_i32_e64 s15, 0, v38
	v_not_b32_e32 v38, v39
	v_lshlrev_b32_e32 v43, 26, v37
	v_cmp_ne_u32_e32 vcc_lo, 0, v41
	v_ashrrev_i32_e32 v200, 31, v200
	v_lshlrev_b32_e32 v199, 25, v37
	v_ashrrev_i32_e32 v38, 31, v38
	v_lshlrev_b32_e32 v41, 24, v37
	s_wait_alu 0xfffd
	v_xor_b32_e32 v36, vcc_lo, v36
	v_cmp_gt_i32_e32 vcc_lo, 0, v39
	v_not_b32_e32 v39, v40
	s_wait_alu 0xf1ff
	v_xor_b32_e32 v200, s15, v200
	v_cmp_gt_i32_e64 s15, 0, v40
	v_and_b32_e32 v36, exec_lo, v36
	v_not_b32_e32 v40, v42
	v_ashrrev_i32_e32 v39, 31, v39
	s_wait_alu 0xfffd
	v_xor_b32_e32 v38, vcc_lo, v38
	v_cmp_gt_i32_e32 vcc_lo, 0, v42
	v_and_b32_e32 v36, v36, v200
	v_not_b32_e32 v42, v43
	v_ashrrev_i32_e32 v40, 31, v40
	s_wait_alu 0xf1ff
	v_xor_b32_e32 v39, s15, v39
	v_cmp_gt_i32_e64 s15, 0, v43
	v_and_b32_e32 v36, v36, v38
	v_not_b32_e32 v38, v199
	v_ashrrev_i32_e32 v42, 31, v42
	s_wait_alu 0xfffd
	v_xor_b32_e32 v40, vcc_lo, v40
	v_cmp_gt_i32_e32 vcc_lo, 0, v199
	v_and_b32_e32 v36, v36, v39
	v_not_b32_e32 v39, v41
	v_ashrrev_i32_e32 v38, 31, v38
	s_wait_alu 0xf1ff
	v_xor_b32_e32 v42, s15, v42
	v_cmp_gt_i32_e64 s15, 0, v41
	v_and_b32_e32 v36, v36, v40
	v_ashrrev_i32_e32 v39, 31, v39
	s_wait_alu 0xfffd
	v_xor_b32_e32 v38, vcc_lo, v38
	v_mad_u32_u24 v40, v37, 36, v118
	v_mul_u32_u24_e32 v37, 36, v37
	v_and_b32_e32 v36, v36, v42
	s_wait_alu 0xf1ff
	v_xor_b32_e32 v39, s15, v39
	ds_load_b32 v199, v40 offset:1056
	v_add_nc_u32_e32 v201, v118, v37
	v_and_b32_e32 v36, v36, v38
	; wave barrier
	s_delay_alu instid0(VALU_DEP_1) | instskip(NEXT) | instid1(VALU_DEP_1)
	v_and_b32_e32 v36, v36, v39
	v_mbcnt_lo_u32_b32 v200, v36, 0
	v_cmp_ne_u32_e64 s15, 0, v36
	s_delay_alu instid0(VALU_DEP_2)
	v_cmp_eq_u32_e32 vcc_lo, 0, v200
	s_and_b32 s16, s15, vcc_lo
	s_wait_alu 0xfffe
	s_and_saveexec_b32 s15, s16
	s_cbranch_execz .LBB532_758
; %bb.757:                              ;   in Loop: Header=BB532_690 Depth=2
	s_wait_dscnt 0x0
	v_bcnt_u32_b32 v36, v36, v199
	ds_store_b32 v201, v36 offset:1056
.LBB532_758:                            ;   in Loop: Header=BB532_690 Depth=2
	s_wait_alu 0xfffe
	s_or_b32 exec_lo, exec_lo, s15
	; wave barrier
	s_wait_loadcnt_dscnt 0x0
	s_barrier_signal -1
	s_barrier_wait -1
	global_inv scope:SCOPE_SE
	ds_load_2addr_b32 v[42:43], v140 offset1:1
	ds_load_2addr_b32 v[40:41], v141 offset1:1
	;; [unrolled: 1-line block ×4, first 2 shown]
	ds_load_b32 v202, v67 offset:1088
	s_wait_dscnt 0x3
	v_add3_u32 v203, v43, v42, v40
	s_wait_dscnt 0x2
	s_delay_alu instid0(VALU_DEP_1) | instskip(SKIP_1) | instid1(VALU_DEP_1)
	v_add3_u32 v203, v203, v41, v38
	s_wait_dscnt 0x1
	v_add3_u32 v203, v203, v39, v36
	s_wait_dscnt 0x0
	s_delay_alu instid0(VALU_DEP_1) | instskip(NEXT) | instid1(VALU_DEP_1)
	v_add3_u32 v202, v203, v37, v202
	v_mov_b32_dpp v203, v202 row_shr:1 row_mask:0xf bank_mask:0xf
	s_delay_alu instid0(VALU_DEP_1) | instskip(NEXT) | instid1(VALU_DEP_1)
	v_cndmask_b32_e64 v203, v203, 0, s0
	v_add_nc_u32_e32 v202, v203, v202
	s_delay_alu instid0(VALU_DEP_1) | instskip(NEXT) | instid1(VALU_DEP_1)
	v_mov_b32_dpp v203, v202 row_shr:2 row_mask:0xf bank_mask:0xf
	v_cndmask_b32_e64 v203, 0, v203, s1
	s_delay_alu instid0(VALU_DEP_1) | instskip(NEXT) | instid1(VALU_DEP_1)
	v_add_nc_u32_e32 v202, v202, v203
	v_mov_b32_dpp v203, v202 row_shr:4 row_mask:0xf bank_mask:0xf
	s_delay_alu instid0(VALU_DEP_1) | instskip(NEXT) | instid1(VALU_DEP_1)
	v_cndmask_b32_e64 v203, 0, v203, s9
	v_add_nc_u32_e32 v202, v202, v203
	s_delay_alu instid0(VALU_DEP_1) | instskip(NEXT) | instid1(VALU_DEP_1)
	v_mov_b32_dpp v203, v202 row_shr:8 row_mask:0xf bank_mask:0xf
	v_cndmask_b32_e64 v203, 0, v203, s10
	s_delay_alu instid0(VALU_DEP_1) | instskip(SKIP_3) | instid1(VALU_DEP_1)
	v_add_nc_u32_e32 v202, v202, v203
	ds_swizzle_b32 v203, v202 offset:swizzle(BROADCAST,32,15)
	s_wait_dscnt 0x0
	v_cndmask_b32_e64 v203, v203, 0, s11
	v_add_nc_u32_e32 v202, v202, v203
	s_and_saveexec_b32 s15, s3
; %bb.759:                              ;   in Loop: Header=BB532_690 Depth=2
	ds_store_b32 v63, v202 offset:1024
; %bb.760:                              ;   in Loop: Header=BB532_690 Depth=2
	s_wait_alu 0xfffe
	s_or_b32 exec_lo, exec_lo, s15
	s_wait_loadcnt_dscnt 0x0
	s_barrier_signal -1
	s_barrier_wait -1
	global_inv scope:SCOPE_SE
	s_and_saveexec_b32 s15, s4
	s_cbranch_execz .LBB532_762
; %bb.761:                              ;   in Loop: Header=BB532_690 Depth=2
	ds_load_b32 v203, v70 offset:1024
	s_wait_dscnt 0x0
	v_mov_b32_dpp v204, v203 row_shr:1 row_mask:0xf bank_mask:0xf
	s_delay_alu instid0(VALU_DEP_1) | instskip(NEXT) | instid1(VALU_DEP_1)
	v_cndmask_b32_e64 v204, v204, 0, s12
	v_add_nc_u32_e32 v203, v204, v203
	s_delay_alu instid0(VALU_DEP_1) | instskip(NEXT) | instid1(VALU_DEP_1)
	v_mov_b32_dpp v204, v203 row_shr:2 row_mask:0xf bank_mask:0xf
	v_cndmask_b32_e64 v204, 0, v204, s13
	s_delay_alu instid0(VALU_DEP_1) | instskip(NEXT) | instid1(VALU_DEP_1)
	v_add_nc_u32_e32 v203, v203, v204
	v_mov_b32_dpp v204, v203 row_shr:4 row_mask:0xf bank_mask:0xf
	s_delay_alu instid0(VALU_DEP_1) | instskip(NEXT) | instid1(VALU_DEP_1)
	v_cndmask_b32_e64 v204, 0, v204, s14
	v_add_nc_u32_e32 v203, v203, v204
	ds_store_b32 v70, v203 offset:1024
.LBB532_762:                            ;   in Loop: Header=BB532_690 Depth=2
	s_wait_alu 0xfffe
	s_or_b32 exec_lo, exec_lo, s15
	v_mov_b32_e32 v203, 0
	s_wait_loadcnt_dscnt 0x0
	s_barrier_signal -1
	s_barrier_wait -1
	global_inv scope:SCOPE_SE
	s_and_saveexec_b32 s15, s5
; %bb.763:                              ;   in Loop: Header=BB532_690 Depth=2
	ds_load_b32 v203, v63 offset:1020
; %bb.764:                              ;   in Loop: Header=BB532_690 Depth=2
	s_wait_alu 0xfffe
	s_or_b32 exec_lo, exec_lo, s15
	s_wait_dscnt 0x0
	v_add_nc_u32_e32 v202, v203, v202
	ds_bpermute_b32 v202, v113, v202
	s_wait_dscnt 0x0
	v_cndmask_b32_e64 v202, v202, v203, s8
	s_delay_alu instid0(VALU_DEP_1) | instskip(NEXT) | instid1(VALU_DEP_1)
	v_cndmask_b32_e64 v202, v202, 0, s6
	v_add_nc_u32_e32 v42, v202, v42
	s_delay_alu instid0(VALU_DEP_1) | instskip(NEXT) | instid1(VALU_DEP_1)
	v_add_nc_u32_e32 v43, v42, v43
	v_add_nc_u32_e32 v40, v43, v40
	s_delay_alu instid0(VALU_DEP_1) | instskip(NEXT) | instid1(VALU_DEP_1)
	v_add_nc_u32_e32 v41, v40, v41
	;; [unrolled: 3-line block ×3, first 2 shown]
	v_add_nc_u32_e32 v36, v39, v36
	s_delay_alu instid0(VALU_DEP_1)
	v_add_nc_u32_e32 v37, v36, v37
	ds_store_2addr_b32 v139, v39, v36 offset1:1
	ds_store_2addr_b32 v140, v202, v42 offset1:1
	;; [unrolled: 1-line block ×4, first 2 shown]
	ds_store_b32 v67, v37 offset:1088
	s_wait_loadcnt_dscnt 0x0
	s_barrier_signal -1
	s_barrier_wait -1
	global_inv scope:SCOPE_SE
	ds_load_b32 v39, v143 offset:1056
	ds_load_b32 v41, v147 offset:1056
	;; [unrolled: 1-line block ×17, first 2 shown]
	v_mov_b32_e32 v38, 0x1000
	s_and_saveexec_b32 s15, s7
; %bb.765:                              ;   in Loop: Header=BB532_690 Depth=2
	ds_load_b32 v38, v67 offset:1092
; %bb.766:                              ;   in Loop: Header=BB532_690 Depth=2
	s_wait_alu 0xfffe
	s_or_b32 exec_lo, exec_lo, s15
	s_wait_loadcnt_dscnt 0x0
	s_barrier_signal -1
	s_barrier_wait -1
	global_inv scope:SCOPE_SE
	s_and_saveexec_b32 s15, s2
	s_cbranch_execz .LBB532_768
; %bb.767:                              ;   in Loop: Header=BB532_690 Depth=2
	ds_load_b32 v143, v44
	s_wait_dscnt 0x0
	v_sub_nc_u32_e32 v142, v143, v142
	ds_store_b32 v44, v142
.LBB532_768:                            ;   in Loop: Header=BB532_690 Depth=2
	s_wait_alu 0xfffe
	s_or_b32 exec_lo, exec_lo, s15
	v_add_nc_u32_e32 v155, v39, v138
	v_add3_u32 v151, v146, v145, v41
	v_add3_u32 v147, v150, v149, v42
	;; [unrolled: 1-line block ×4, first 2 shown]
	v_lshlrev_b32_e32 v149, 2, v155
	v_add3_u32 v143, v162, v161, v140
	v_add3_u32 v142, v166, v165, v141
	;; [unrolled: 1-line block ×3, first 2 shown]
	v_lshlrev_b32_e32 v36, 2, v151
	v_add3_u32 v141, v170, v169, v163
	v_add3_u32 v42, v194, v193, v37
	v_lshlrev_b32_e32 v37, 2, v147
	v_add3_u32 v140, v174, v173, v168
	ds_store_b32 v149, v136 offset:1024
	v_lshlrev_b32_e32 v136, 2, v146
	v_add3_u32 v139, v178, v177, v171
	v_lshlrev_b32_e32 v149, 2, v145
	v_add3_u32 v138, v182, v181, v175
	;; [unrolled: 2-line block ×3, first 2 shown]
	ds_store_b32 v36, v137 offset:1024
	ds_store_b32 v37, v144 offset:1024
	;; [unrolled: 1-line block ×5, first 2 shown]
	v_lshlrev_b32_e32 v36, 2, v142
	v_lshlrev_b32_e32 v37, 2, v141
	;; [unrolled: 1-line block ×3, first 2 shown]
	v_add3_u32 v41, v197, v196, v40
	v_lshlrev_b32_e32 v137, 2, v139
	v_add3_u32 v40, v200, v199, v159
	v_lshlrev_b32_e32 v144, 2, v138
	ds_store_b32 v36, v160 offset:1024
	ds_store_b32 v37, v164 offset:1024
	;; [unrolled: 1-line block ×5, first 2 shown]
	v_lshlrev_b32_e32 v36, 2, v39
	v_cmp_lt_u32_e32 vcc_lo, v1, v135
	v_lshlrev_b32_e32 v37, 2, v43
	v_lshlrev_b32_e32 v136, 2, v42
	;; [unrolled: 1-line block ×4, first 2 shown]
	ds_store_b32 v36, v180 offset:1024
	ds_store_b32 v37, v184 offset:1024
	;; [unrolled: 1-line block ×5, first 2 shown]
	s_wait_loadcnt_dscnt 0x0
	s_barrier_signal -1
	s_barrier_wait -1
	global_inv scope:SCOPE_SE
	s_and_saveexec_b32 s16, vcc_lo
	s_cbranch_execnz .LBB532_837
; %bb.769:                              ;   in Loop: Header=BB532_690 Depth=2
	s_wait_alu 0xfffe
	s_or_b32 exec_lo, exec_lo, s16
	v_cmp_lt_u32_e64 s15, v45, v135
	s_and_saveexec_b32 s17, s15
	s_cbranch_execnz .LBB532_838
.LBB532_770:                            ;   in Loop: Header=BB532_690 Depth=2
	s_wait_alu 0xfffe
	s_or_b32 exec_lo, exec_lo, s17
	v_cmp_lt_u32_e64 s16, v46, v135
	s_and_saveexec_b32 s18, s16
	s_cbranch_execnz .LBB532_839
.LBB532_771:                            ;   in Loop: Header=BB532_690 Depth=2
	s_wait_alu 0xfffe
	s_or_b32 exec_lo, exec_lo, s18
	v_cmp_lt_u32_e64 s17, v47, v135
	s_and_saveexec_b32 s19, s17
	s_cbranch_execnz .LBB532_840
.LBB532_772:                            ;   in Loop: Header=BB532_690 Depth=2
	s_wait_alu 0xfffe
	s_or_b32 exec_lo, exec_lo, s19
	v_cmp_lt_u32_e64 s18, v50, v135
	s_and_saveexec_b32 s20, s18
	s_cbranch_execnz .LBB532_841
.LBB532_773:                            ;   in Loop: Header=BB532_690 Depth=2
	s_wait_alu 0xfffe
	s_or_b32 exec_lo, exec_lo, s20
	v_cmp_lt_u32_e64 s19, v51, v135
	s_and_saveexec_b32 s21, s19
	s_cbranch_execnz .LBB532_842
.LBB532_774:                            ;   in Loop: Header=BB532_690 Depth=2
	s_wait_alu 0xfffe
	s_or_b32 exec_lo, exec_lo, s21
	v_cmp_lt_u32_e64 s20, v52, v135
	s_and_saveexec_b32 s22, s20
	s_cbranch_execnz .LBB532_843
.LBB532_775:                            ;   in Loop: Header=BB532_690 Depth=2
	s_wait_alu 0xfffe
	s_or_b32 exec_lo, exec_lo, s22
	v_cmp_lt_u32_e64 s21, v53, v135
	s_and_saveexec_b32 s23, s21
	s_cbranch_execnz .LBB532_844
.LBB532_776:                            ;   in Loop: Header=BB532_690 Depth=2
	s_wait_alu 0xfffe
	s_or_b32 exec_lo, exec_lo, s23
	v_cmp_lt_u32_e64 s22, v54, v135
	s_and_saveexec_b32 s24, s22
	s_cbranch_execnz .LBB532_845
.LBB532_777:                            ;   in Loop: Header=BB532_690 Depth=2
	s_wait_alu 0xfffe
	s_or_b32 exec_lo, exec_lo, s24
	v_cmp_lt_u32_e64 s23, v55, v135
	s_and_saveexec_b32 s25, s23
	s_cbranch_execnz .LBB532_846
.LBB532_778:                            ;   in Loop: Header=BB532_690 Depth=2
	s_wait_alu 0xfffe
	s_or_b32 exec_lo, exec_lo, s25
	v_cmp_lt_u32_e64 s24, v56, v135
	s_and_saveexec_b32 s26, s24
	s_cbranch_execnz .LBB532_847
.LBB532_779:                            ;   in Loop: Header=BB532_690 Depth=2
	s_wait_alu 0xfffe
	s_or_b32 exec_lo, exec_lo, s26
	v_cmp_lt_u32_e64 s25, v57, v135
	s_and_saveexec_b32 s27, s25
	s_cbranch_execnz .LBB532_848
.LBB532_780:                            ;   in Loop: Header=BB532_690 Depth=2
	s_wait_alu 0xfffe
	s_or_b32 exec_lo, exec_lo, s27
	v_cmp_lt_u32_e64 s26, v58, v135
	s_and_saveexec_b32 s28, s26
	s_cbranch_execnz .LBB532_849
.LBB532_781:                            ;   in Loop: Header=BB532_690 Depth=2
	s_wait_alu 0xfffe
	s_or_b32 exec_lo, exec_lo, s28
	v_cmp_lt_u32_e64 s27, v59, v135
	s_and_saveexec_b32 s29, s27
	s_cbranch_execnz .LBB532_850
.LBB532_782:                            ;   in Loop: Header=BB532_690 Depth=2
	s_wait_alu 0xfffe
	s_or_b32 exec_lo, exec_lo, s29
	v_cmp_lt_u32_e64 s28, v60, v135
	s_and_saveexec_b32 s30, s28
	s_cbranch_execnz .LBB532_851
.LBB532_783:                            ;   in Loop: Header=BB532_690 Depth=2
	s_wait_alu 0xfffe
	s_or_b32 exec_lo, exec_lo, s30
	v_cmp_lt_u32_e64 s29, v61, v135
	s_and_saveexec_b32 s56, s29
	s_cbranch_execz .LBB532_785
.LBB532_784:                            ;   in Loop: Header=BB532_690 Depth=2
	ds_load_b32 v136, v70 offset:16384
	s_wait_dscnt 0x0
	v_lshrrev_b32_e32 v2, s49, v136
	s_delay_alu instid0(VALU_DEP_1) | instskip(NEXT) | instid1(VALU_DEP_1)
	v_and_b32_e32 v2, s48, v2
	v_lshlrev_b32_e32 v2, 2, v2
	ds_load_b32 v2, v2
	s_wait_dscnt 0x0
	v_add_nc_u32_e32 v2, v2, v61
	s_delay_alu instid0(VALU_DEP_1) | instskip(SKIP_1) | instid1(VALU_DEP_2)
	v_lshlrev_b64_e32 v[36:37], 2, v[2:3]
	v_xor_b32_e32 v2, 0x7fffffff, v136
	v_add_co_u32 v36, s30, s38, v36
	s_wait_alu 0xf1ff
	s_delay_alu instid0(VALU_DEP_3)
	v_add_co_ci_u32_e64 v37, null, s39, v37, s30
	global_store_b32 v[36:37], v2, off
.LBB532_785:                            ;   in Loop: Header=BB532_690 Depth=2
	s_wait_alu 0xfffe
	s_or_b32 exec_lo, exec_lo, s56
	s_lshl_b64 s[56:57], s[42:43], 3
	s_wait_alu 0xfffe
	v_add_co_u32 v36, s30, v114, s56
	s_wait_alu 0xf1ff
	v_add_co_ci_u32_e64 v37, null, s57, v115, s30
	v_cmp_lt_u32_e64 s30, v88, v135
	s_and_saveexec_b32 s42, s30
	s_wait_alu 0xfffe
	s_xor_b32 s30, exec_lo, s42
	s_cbranch_execnz .LBB532_852
; %bb.786:                              ;   in Loop: Header=BB532_690 Depth=2
	s_wait_alu 0xfffe
	s_or_b32 exec_lo, exec_lo, s30
	s_delay_alu instid0(SALU_CYCLE_1)
	s_mov_b32 s42, exec_lo
	v_cmpx_lt_u32_e64 v92, v135
	s_cbranch_execnz .LBB532_853
.LBB532_787:                            ;   in Loop: Header=BB532_690 Depth=2
	s_wait_alu 0xfffe
	s_or_b32 exec_lo, exec_lo, s42
	s_delay_alu instid0(SALU_CYCLE_1)
	s_mov_b32 s42, exec_lo
	v_cmpx_lt_u32_e64 v93, v135
	s_cbranch_execnz .LBB532_854
.LBB532_788:                            ;   in Loop: Header=BB532_690 Depth=2
	s_wait_alu 0xfffe
	s_or_b32 exec_lo, exec_lo, s42
	s_delay_alu instid0(SALU_CYCLE_1)
	s_mov_b32 s42, exec_lo
	v_cmpx_lt_u32_e64 v94, v135
	s_cbranch_execnz .LBB532_855
.LBB532_789:                            ;   in Loop: Header=BB532_690 Depth=2
	s_wait_alu 0xfffe
	s_or_b32 exec_lo, exec_lo, s42
	s_delay_alu instid0(SALU_CYCLE_1)
	s_mov_b32 s42, exec_lo
	v_cmpx_lt_u32_e64 v95, v135
	s_cbranch_execnz .LBB532_856
.LBB532_790:                            ;   in Loop: Header=BB532_690 Depth=2
	s_wait_alu 0xfffe
	s_or_b32 exec_lo, exec_lo, s42
	s_delay_alu instid0(SALU_CYCLE_1)
	s_mov_b32 s42, exec_lo
	v_cmpx_lt_u32_e64 v96, v135
	s_cbranch_execnz .LBB532_857
.LBB532_791:                            ;   in Loop: Header=BB532_690 Depth=2
	s_wait_alu 0xfffe
	s_or_b32 exec_lo, exec_lo, s42
	s_delay_alu instid0(SALU_CYCLE_1)
	s_mov_b32 s42, exec_lo
	v_cmpx_lt_u32_e64 v97, v135
	s_cbranch_execnz .LBB532_858
.LBB532_792:                            ;   in Loop: Header=BB532_690 Depth=2
	s_wait_alu 0xfffe
	s_or_b32 exec_lo, exec_lo, s42
	s_delay_alu instid0(SALU_CYCLE_1)
	s_mov_b32 s42, exec_lo
	v_cmpx_lt_u32_e64 v98, v135
	s_cbranch_execnz .LBB532_859
.LBB532_793:                            ;   in Loop: Header=BB532_690 Depth=2
	s_wait_alu 0xfffe
	s_or_b32 exec_lo, exec_lo, s42
	s_delay_alu instid0(SALU_CYCLE_1)
	s_mov_b32 s42, exec_lo
	v_cmpx_lt_u32_e64 v99, v135
	s_cbranch_execnz .LBB532_860
.LBB532_794:                            ;   in Loop: Header=BB532_690 Depth=2
	s_wait_alu 0xfffe
	s_or_b32 exec_lo, exec_lo, s42
	s_delay_alu instid0(SALU_CYCLE_1)
	s_mov_b32 s42, exec_lo
	v_cmpx_lt_u32_e64 v100, v135
	s_cbranch_execnz .LBB532_861
.LBB532_795:                            ;   in Loop: Header=BB532_690 Depth=2
	s_wait_alu 0xfffe
	s_or_b32 exec_lo, exec_lo, s42
	s_delay_alu instid0(SALU_CYCLE_1)
	s_mov_b32 s42, exec_lo
	v_cmpx_lt_u32_e64 v101, v135
	s_cbranch_execnz .LBB532_862
.LBB532_796:                            ;   in Loop: Header=BB532_690 Depth=2
	s_wait_alu 0xfffe
	s_or_b32 exec_lo, exec_lo, s42
	s_delay_alu instid0(SALU_CYCLE_1)
	s_mov_b32 s42, exec_lo
	v_cmpx_lt_u32_e64 v102, v135
	s_cbranch_execnz .LBB532_863
.LBB532_797:                            ;   in Loop: Header=BB532_690 Depth=2
	s_wait_alu 0xfffe
	s_or_b32 exec_lo, exec_lo, s42
	s_delay_alu instid0(SALU_CYCLE_1)
	s_mov_b32 s42, exec_lo
	v_cmpx_lt_u32_e64 v103, v135
	s_cbranch_execnz .LBB532_864
.LBB532_798:                            ;   in Loop: Header=BB532_690 Depth=2
	s_wait_alu 0xfffe
	s_or_b32 exec_lo, exec_lo, s42
	s_delay_alu instid0(SALU_CYCLE_1)
	s_mov_b32 s42, exec_lo
	v_cmpx_lt_u32_e64 v104, v135
	s_cbranch_execnz .LBB532_865
.LBB532_799:                            ;   in Loop: Header=BB532_690 Depth=2
	s_wait_alu 0xfffe
	s_or_b32 exec_lo, exec_lo, s42
	s_delay_alu instid0(SALU_CYCLE_1)
	s_mov_b32 s42, exec_lo
	v_cmpx_lt_u32_e64 v105, v135
	s_cbranch_execnz .LBB532_866
.LBB532_800:                            ;   in Loop: Header=BB532_690 Depth=2
	s_wait_alu 0xfffe
	s_or_b32 exec_lo, exec_lo, s42
	s_delay_alu instid0(SALU_CYCLE_1)
	s_mov_b32 s42, exec_lo
	v_cmpx_lt_u32_e64 v106, v135
	s_cbranch_execnz .LBB532_867
.LBB532_801:                            ;   in Loop: Header=BB532_690 Depth=2
	s_wait_alu 0xfffe
	s_or_b32 exec_lo, exec_lo, s42
	s_and_saveexec_b32 s30, vcc_lo
	s_cbranch_execnz .LBB532_868
.LBB532_802:                            ;   in Loop: Header=BB532_690 Depth=2
	s_wait_alu 0xfffe
	s_or_b32 exec_lo, exec_lo, s30
	s_and_saveexec_b32 s30, s15
	s_cbranch_execnz .LBB532_869
.LBB532_803:                            ;   in Loop: Header=BB532_690 Depth=2
	s_wait_alu 0xfffe
	s_or_b32 exec_lo, exec_lo, s30
	s_and_saveexec_b32 s30, s16
	s_cbranch_execnz .LBB532_870
.LBB532_804:                            ;   in Loop: Header=BB532_690 Depth=2
	s_wait_alu 0xfffe
	s_or_b32 exec_lo, exec_lo, s30
	s_and_saveexec_b32 s30, s17
	s_cbranch_execnz .LBB532_871
.LBB532_805:                            ;   in Loop: Header=BB532_690 Depth=2
	s_wait_alu 0xfffe
	s_or_b32 exec_lo, exec_lo, s30
	s_and_saveexec_b32 s30, s18
	s_cbranch_execnz .LBB532_872
.LBB532_806:                            ;   in Loop: Header=BB532_690 Depth=2
	s_wait_alu 0xfffe
	s_or_b32 exec_lo, exec_lo, s30
	s_and_saveexec_b32 s30, s19
	s_cbranch_execnz .LBB532_873
.LBB532_807:                            ;   in Loop: Header=BB532_690 Depth=2
	s_wait_alu 0xfffe
	s_or_b32 exec_lo, exec_lo, s30
	s_and_saveexec_b32 s30, s20
	s_cbranch_execnz .LBB532_874
.LBB532_808:                            ;   in Loop: Header=BB532_690 Depth=2
	s_wait_alu 0xfffe
	s_or_b32 exec_lo, exec_lo, s30
	s_and_saveexec_b32 s30, s21
	s_cbranch_execnz .LBB532_875
.LBB532_809:                            ;   in Loop: Header=BB532_690 Depth=2
	s_wait_alu 0xfffe
	s_or_b32 exec_lo, exec_lo, s30
	s_and_saveexec_b32 s30, s22
	s_cbranch_execnz .LBB532_876
.LBB532_810:                            ;   in Loop: Header=BB532_690 Depth=2
	s_wait_alu 0xfffe
	s_or_b32 exec_lo, exec_lo, s30
	s_and_saveexec_b32 s30, s23
	s_cbranch_execnz .LBB532_877
.LBB532_811:                            ;   in Loop: Header=BB532_690 Depth=2
	s_wait_alu 0xfffe
	s_or_b32 exec_lo, exec_lo, s30
	s_and_saveexec_b32 s30, s24
	s_cbranch_execnz .LBB532_878
.LBB532_812:                            ;   in Loop: Header=BB532_690 Depth=2
	s_wait_alu 0xfffe
	s_or_b32 exec_lo, exec_lo, s30
	s_and_saveexec_b32 s30, s25
	s_cbranch_execnz .LBB532_879
.LBB532_813:                            ;   in Loop: Header=BB532_690 Depth=2
	s_wait_alu 0xfffe
	s_or_b32 exec_lo, exec_lo, s30
	s_and_saveexec_b32 s30, s26
	s_cbranch_execnz .LBB532_880
.LBB532_814:                            ;   in Loop: Header=BB532_690 Depth=2
	s_wait_alu 0xfffe
	s_or_b32 exec_lo, exec_lo, s30
	s_and_saveexec_b32 s30, s27
	s_cbranch_execnz .LBB532_881
.LBB532_815:                            ;   in Loop: Header=BB532_690 Depth=2
	s_wait_alu 0xfffe
	s_or_b32 exec_lo, exec_lo, s30
	s_and_saveexec_b32 s30, s28
	s_cbranch_execnz .LBB532_882
.LBB532_816:                            ;   in Loop: Header=BB532_690 Depth=2
	s_wait_alu 0xfffe
	s_or_b32 exec_lo, exec_lo, s30
	s_and_saveexec_b32 s30, s29
	s_cbranch_execz .LBB532_818
.LBB532_817:                            ;   in Loop: Header=BB532_690 Depth=2
	ds_load_b32 v2, v70 offset:16384
	s_wait_dscnt 0x0
	v_lshrrev_b32_e32 v2, s49, v2
	s_delay_alu instid0(VALU_DEP_1)
	v_and_b32_e32 v119, s48, v2
.LBB532_818:                            ;   in Loop: Header=BB532_690 Depth=2
	s_wait_alu 0xfffe
	s_or_b32 exec_lo, exec_lo, s30
	v_lshlrev_b32_e32 v2, 3, v155
	s_wait_loadcnt 0x0
	s_wait_storecnt 0x0
	s_barrier_signal -1
	s_barrier_wait -1
	global_inv scope:SCOPE_SE
	ds_store_b64 v2, v[34:35] offset:1024
	v_lshlrev_b32_e32 v2, 3, v151
	v_lshlrev_b32_e32 v36, 3, v147
	v_lshlrev_b32_e32 v37, 3, v146
	v_lshlrev_b32_e32 v135, 3, v145
	v_lshlrev_b32_e32 v136, 3, v143
	ds_store_b64 v2, v[32:33] offset:1024
	ds_store_b64 v36, v[30:31] offset:1024
	ds_store_b64 v37, v[28:29] offset:1024
	ds_store_b64 v135, v[26:27] offset:1024
	ds_store_b64 v136, v[24:25] offset:1024
	v_lshlrev_b32_e32 v2, 3, v142
	v_lshlrev_b32_e32 v36, 3, v141
	v_lshlrev_b32_e32 v37, 3, v140
	v_lshlrev_b32_e32 v135, 3, v139
	v_lshlrev_b32_e32 v136, 3, v138
	ds_store_b64 v2, v[22:23] offset:1024
	ds_store_b64 v36, v[20:21] offset:1024
	ds_store_b64 v37, v[18:19] offset:1024
	ds_store_b64 v135, v[16:17] offset:1024
	ds_store_b64 v136, v[14:15] offset:1024
	v_lshlrev_b32_e32 v2, 3, v39
	v_lshlrev_b32_e32 v36, 3, v43
	v_lshlrev_b32_e32 v37, 3, v42
	v_lshlrev_b32_e32 v39, 3, v41
	v_lshlrev_b32_e32 v40, 3, v40
	ds_store_b64 v2, v[12:13] offset:1024
	ds_store_b64 v36, v[10:11] offset:1024
	ds_store_b64 v37, v[8:9] offset:1024
	ds_store_b64 v39, v[6:7] offset:1024
	ds_store_b64 v40, v[4:5] offset:1024
	s_wait_loadcnt_dscnt 0x0
	s_barrier_signal -1
	s_barrier_wait -1
	global_inv scope:SCOPE_SE
	s_and_saveexec_b32 s30, vcc_lo
	s_cbranch_execnz .LBB532_883
; %bb.819:                              ;   in Loop: Header=BB532_690 Depth=2
	s_wait_alu 0xfffe
	s_or_b32 exec_lo, exec_lo, s30
	s_and_saveexec_b32 s30, s15
	s_cbranch_execnz .LBB532_884
.LBB532_820:                            ;   in Loop: Header=BB532_690 Depth=2
	s_wait_alu 0xfffe
	s_or_b32 exec_lo, exec_lo, s30
	s_and_saveexec_b32 s15, s16
	s_cbranch_execnz .LBB532_885
.LBB532_821:                            ;   in Loop: Header=BB532_690 Depth=2
	s_wait_alu 0xfffe
	s_or_b32 exec_lo, exec_lo, s15
	s_and_saveexec_b32 s15, s17
	s_cbranch_execnz .LBB532_886
.LBB532_822:                            ;   in Loop: Header=BB532_690 Depth=2
	s_wait_alu 0xfffe
	s_or_b32 exec_lo, exec_lo, s15
	s_and_saveexec_b32 s15, s18
	s_cbranch_execnz .LBB532_887
.LBB532_823:                            ;   in Loop: Header=BB532_690 Depth=2
	s_wait_alu 0xfffe
	s_or_b32 exec_lo, exec_lo, s15
	s_and_saveexec_b32 s15, s19
	s_cbranch_execnz .LBB532_888
.LBB532_824:                            ;   in Loop: Header=BB532_690 Depth=2
	s_wait_alu 0xfffe
	s_or_b32 exec_lo, exec_lo, s15
	s_and_saveexec_b32 s15, s20
	s_cbranch_execnz .LBB532_889
.LBB532_825:                            ;   in Loop: Header=BB532_690 Depth=2
	s_wait_alu 0xfffe
	s_or_b32 exec_lo, exec_lo, s15
	s_and_saveexec_b32 s15, s21
	s_cbranch_execnz .LBB532_890
.LBB532_826:                            ;   in Loop: Header=BB532_690 Depth=2
	s_wait_alu 0xfffe
	s_or_b32 exec_lo, exec_lo, s15
	s_and_saveexec_b32 s15, s22
	s_cbranch_execnz .LBB532_891
.LBB532_827:                            ;   in Loop: Header=BB532_690 Depth=2
	s_wait_alu 0xfffe
	s_or_b32 exec_lo, exec_lo, s15
	s_and_saveexec_b32 s15, s23
	s_cbranch_execnz .LBB532_892
.LBB532_828:                            ;   in Loop: Header=BB532_690 Depth=2
	s_wait_alu 0xfffe
	s_or_b32 exec_lo, exec_lo, s15
	s_and_saveexec_b32 s15, s24
	s_cbranch_execnz .LBB532_893
.LBB532_829:                            ;   in Loop: Header=BB532_690 Depth=2
	s_wait_alu 0xfffe
	s_or_b32 exec_lo, exec_lo, s15
	s_and_saveexec_b32 s15, s25
	s_cbranch_execnz .LBB532_894
.LBB532_830:                            ;   in Loop: Header=BB532_690 Depth=2
	s_wait_alu 0xfffe
	s_or_b32 exec_lo, exec_lo, s15
	s_and_saveexec_b32 s15, s26
	s_cbranch_execnz .LBB532_895
.LBB532_831:                            ;   in Loop: Header=BB532_690 Depth=2
	s_wait_alu 0xfffe
	s_or_b32 exec_lo, exec_lo, s15
	s_and_saveexec_b32 s15, s27
	s_cbranch_execnz .LBB532_896
.LBB532_832:                            ;   in Loop: Header=BB532_690 Depth=2
	s_wait_alu 0xfffe
	s_or_b32 exec_lo, exec_lo, s15
	s_and_saveexec_b32 s15, s28
	s_cbranch_execnz .LBB532_897
.LBB532_833:                            ;   in Loop: Header=BB532_690 Depth=2
	s_wait_alu 0xfffe
	s_or_b32 exec_lo, exec_lo, s15
	s_and_saveexec_b32 s15, s29
	s_cbranch_execz .LBB532_835
.LBB532_834:                            ;   in Loop: Header=BB532_690 Depth=2
	v_lshlrev_b32_e32 v2, 2, v119
	v_add_nc_u32_e32 v36, v70, v44
	ds_load_b32 v2, v2
	ds_load_b64 v[36:37], v36 offset:31744
	s_wait_dscnt 0x1
	v_add_nc_u32_e32 v2, v2, v61
	s_delay_alu instid0(VALU_DEP_1) | instskip(NEXT) | instid1(VALU_DEP_1)
	v_lshlrev_b64_e32 v[39:40], 3, v[2:3]
	v_add_co_u32 v39, vcc_lo, s44, v39
	s_wait_alu 0xfffd
	s_delay_alu instid0(VALU_DEP_2)
	v_add_co_ci_u32_e64 v40, null, s45, v40, vcc_lo
	s_wait_dscnt 0x0
	global_store_b64 v[39:40], v[36:37], off
.LBB532_835:                            ;   in Loop: Header=BB532_690 Depth=2
	s_wait_alu 0xfffe
	s_or_b32 exec_lo, exec_lo, s15
	s_wait_loadcnt 0x0
	s_wait_storecnt 0x0
	s_barrier_signal -1
	s_barrier_wait -1
	global_inv scope:SCOPE_SE
	s_and_saveexec_b32 s15, s2
	s_cbranch_execz .LBB532_689
; %bb.836:                              ;   in Loop: Header=BB532_690 Depth=2
	ds_load_b32 v2, v44
	s_wait_dscnt 0x0
	v_add_nc_u32_e32 v2, v2, v38
	ds_store_b32 v44, v2
	s_branch .LBB532_689
.LBB532_837:                            ;   in Loop: Header=BB532_690 Depth=2
	ds_load_b32 v136, v70 offset:1024
	s_wait_dscnt 0x0
	v_lshrrev_b32_e32 v2, s49, v136
	s_delay_alu instid0(VALU_DEP_1) | instskip(NEXT) | instid1(VALU_DEP_1)
	v_and_b32_e32 v2, s48, v2
	v_lshlrev_b32_e32 v2, 2, v2
	ds_load_b32 v2, v2
	s_wait_dscnt 0x0
	v_add_nc_u32_e32 v2, v2, v1
	s_delay_alu instid0(VALU_DEP_1) | instskip(SKIP_1) | instid1(VALU_DEP_2)
	v_lshlrev_b64_e32 v[36:37], 2, v[2:3]
	v_xor_b32_e32 v2, 0x7fffffff, v136
	v_add_co_u32 v36, s15, s38, v36
	s_wait_alu 0xf1ff
	s_delay_alu instid0(VALU_DEP_3)
	v_add_co_ci_u32_e64 v37, null, s39, v37, s15
	global_store_b32 v[36:37], v2, off
	s_wait_alu 0xfffe
	s_or_b32 exec_lo, exec_lo, s16
	v_cmp_lt_u32_e64 s15, v45, v135
	s_and_saveexec_b32 s17, s15
	s_cbranch_execz .LBB532_770
.LBB532_838:                            ;   in Loop: Header=BB532_690 Depth=2
	ds_load_b32 v136, v70 offset:2048
	s_wait_dscnt 0x0
	v_lshrrev_b32_e32 v2, s49, v136
	s_delay_alu instid0(VALU_DEP_1) | instskip(NEXT) | instid1(VALU_DEP_1)
	v_and_b32_e32 v2, s48, v2
	v_lshlrev_b32_e32 v2, 2, v2
	ds_load_b32 v2, v2
	s_wait_dscnt 0x0
	v_add_nc_u32_e32 v2, v2, v45
	s_delay_alu instid0(VALU_DEP_1) | instskip(SKIP_1) | instid1(VALU_DEP_2)
	v_lshlrev_b64_e32 v[36:37], 2, v[2:3]
	v_xor_b32_e32 v2, 0x7fffffff, v136
	v_add_co_u32 v36, s16, s38, v36
	s_wait_alu 0xf1ff
	s_delay_alu instid0(VALU_DEP_3)
	v_add_co_ci_u32_e64 v37, null, s39, v37, s16
	global_store_b32 v[36:37], v2, off
	s_wait_alu 0xfffe
	s_or_b32 exec_lo, exec_lo, s17
	v_cmp_lt_u32_e64 s16, v46, v135
	s_and_saveexec_b32 s18, s16
	s_cbranch_execz .LBB532_771
.LBB532_839:                            ;   in Loop: Header=BB532_690 Depth=2
	ds_load_b32 v136, v70 offset:3072
	s_wait_dscnt 0x0
	v_lshrrev_b32_e32 v2, s49, v136
	s_delay_alu instid0(VALU_DEP_1) | instskip(NEXT) | instid1(VALU_DEP_1)
	v_and_b32_e32 v2, s48, v2
	v_lshlrev_b32_e32 v2, 2, v2
	ds_load_b32 v2, v2
	s_wait_dscnt 0x0
	v_add_nc_u32_e32 v2, v2, v46
	s_delay_alu instid0(VALU_DEP_1) | instskip(SKIP_1) | instid1(VALU_DEP_2)
	v_lshlrev_b64_e32 v[36:37], 2, v[2:3]
	v_xor_b32_e32 v2, 0x7fffffff, v136
	v_add_co_u32 v36, s17, s38, v36
	s_wait_alu 0xf1ff
	s_delay_alu instid0(VALU_DEP_3)
	v_add_co_ci_u32_e64 v37, null, s39, v37, s17
	global_store_b32 v[36:37], v2, off
	s_wait_alu 0xfffe
	s_or_b32 exec_lo, exec_lo, s18
	v_cmp_lt_u32_e64 s17, v47, v135
	s_and_saveexec_b32 s19, s17
	s_cbranch_execz .LBB532_772
.LBB532_840:                            ;   in Loop: Header=BB532_690 Depth=2
	ds_load_b32 v136, v70 offset:4096
	s_wait_dscnt 0x0
	v_lshrrev_b32_e32 v2, s49, v136
	s_delay_alu instid0(VALU_DEP_1) | instskip(NEXT) | instid1(VALU_DEP_1)
	v_and_b32_e32 v2, s48, v2
	v_lshlrev_b32_e32 v2, 2, v2
	ds_load_b32 v2, v2
	s_wait_dscnt 0x0
	v_add_nc_u32_e32 v2, v2, v47
	s_delay_alu instid0(VALU_DEP_1) | instskip(SKIP_1) | instid1(VALU_DEP_2)
	v_lshlrev_b64_e32 v[36:37], 2, v[2:3]
	v_xor_b32_e32 v2, 0x7fffffff, v136
	v_add_co_u32 v36, s18, s38, v36
	s_wait_alu 0xf1ff
	s_delay_alu instid0(VALU_DEP_3)
	v_add_co_ci_u32_e64 v37, null, s39, v37, s18
	global_store_b32 v[36:37], v2, off
	s_wait_alu 0xfffe
	s_or_b32 exec_lo, exec_lo, s19
	v_cmp_lt_u32_e64 s18, v50, v135
	s_and_saveexec_b32 s20, s18
	s_cbranch_execz .LBB532_773
.LBB532_841:                            ;   in Loop: Header=BB532_690 Depth=2
	ds_load_b32 v136, v70 offset:5120
	s_wait_dscnt 0x0
	v_lshrrev_b32_e32 v2, s49, v136
	s_delay_alu instid0(VALU_DEP_1) | instskip(NEXT) | instid1(VALU_DEP_1)
	v_and_b32_e32 v2, s48, v2
	v_lshlrev_b32_e32 v2, 2, v2
	ds_load_b32 v2, v2
	s_wait_dscnt 0x0
	v_add_nc_u32_e32 v2, v2, v50
	s_delay_alu instid0(VALU_DEP_1) | instskip(SKIP_1) | instid1(VALU_DEP_2)
	v_lshlrev_b64_e32 v[36:37], 2, v[2:3]
	v_xor_b32_e32 v2, 0x7fffffff, v136
	v_add_co_u32 v36, s19, s38, v36
	s_wait_alu 0xf1ff
	s_delay_alu instid0(VALU_DEP_3)
	v_add_co_ci_u32_e64 v37, null, s39, v37, s19
	global_store_b32 v[36:37], v2, off
	s_wait_alu 0xfffe
	s_or_b32 exec_lo, exec_lo, s20
	v_cmp_lt_u32_e64 s19, v51, v135
	s_and_saveexec_b32 s21, s19
	s_cbranch_execz .LBB532_774
.LBB532_842:                            ;   in Loop: Header=BB532_690 Depth=2
	ds_load_b32 v136, v70 offset:6144
	s_wait_dscnt 0x0
	v_lshrrev_b32_e32 v2, s49, v136
	s_delay_alu instid0(VALU_DEP_1) | instskip(NEXT) | instid1(VALU_DEP_1)
	v_and_b32_e32 v2, s48, v2
	v_lshlrev_b32_e32 v2, 2, v2
	ds_load_b32 v2, v2
	s_wait_dscnt 0x0
	v_add_nc_u32_e32 v2, v2, v51
	s_delay_alu instid0(VALU_DEP_1) | instskip(SKIP_1) | instid1(VALU_DEP_2)
	v_lshlrev_b64_e32 v[36:37], 2, v[2:3]
	v_xor_b32_e32 v2, 0x7fffffff, v136
	v_add_co_u32 v36, s20, s38, v36
	s_wait_alu 0xf1ff
	s_delay_alu instid0(VALU_DEP_3)
	v_add_co_ci_u32_e64 v37, null, s39, v37, s20
	global_store_b32 v[36:37], v2, off
	s_wait_alu 0xfffe
	s_or_b32 exec_lo, exec_lo, s21
	v_cmp_lt_u32_e64 s20, v52, v135
	s_and_saveexec_b32 s22, s20
	s_cbranch_execz .LBB532_775
.LBB532_843:                            ;   in Loop: Header=BB532_690 Depth=2
	ds_load_b32 v136, v70 offset:7168
	s_wait_dscnt 0x0
	v_lshrrev_b32_e32 v2, s49, v136
	s_delay_alu instid0(VALU_DEP_1) | instskip(NEXT) | instid1(VALU_DEP_1)
	v_and_b32_e32 v2, s48, v2
	v_lshlrev_b32_e32 v2, 2, v2
	ds_load_b32 v2, v2
	s_wait_dscnt 0x0
	v_add_nc_u32_e32 v2, v2, v52
	s_delay_alu instid0(VALU_DEP_1) | instskip(SKIP_1) | instid1(VALU_DEP_2)
	v_lshlrev_b64_e32 v[36:37], 2, v[2:3]
	v_xor_b32_e32 v2, 0x7fffffff, v136
	v_add_co_u32 v36, s21, s38, v36
	s_wait_alu 0xf1ff
	s_delay_alu instid0(VALU_DEP_3)
	v_add_co_ci_u32_e64 v37, null, s39, v37, s21
	global_store_b32 v[36:37], v2, off
	s_wait_alu 0xfffe
	s_or_b32 exec_lo, exec_lo, s22
	v_cmp_lt_u32_e64 s21, v53, v135
	s_and_saveexec_b32 s23, s21
	s_cbranch_execz .LBB532_776
.LBB532_844:                            ;   in Loop: Header=BB532_690 Depth=2
	ds_load_b32 v136, v70 offset:8192
	s_wait_dscnt 0x0
	v_lshrrev_b32_e32 v2, s49, v136
	s_delay_alu instid0(VALU_DEP_1) | instskip(NEXT) | instid1(VALU_DEP_1)
	v_and_b32_e32 v2, s48, v2
	v_lshlrev_b32_e32 v2, 2, v2
	ds_load_b32 v2, v2
	s_wait_dscnt 0x0
	v_add_nc_u32_e32 v2, v2, v53
	s_delay_alu instid0(VALU_DEP_1) | instskip(SKIP_1) | instid1(VALU_DEP_2)
	v_lshlrev_b64_e32 v[36:37], 2, v[2:3]
	v_xor_b32_e32 v2, 0x7fffffff, v136
	v_add_co_u32 v36, s22, s38, v36
	s_wait_alu 0xf1ff
	s_delay_alu instid0(VALU_DEP_3)
	v_add_co_ci_u32_e64 v37, null, s39, v37, s22
	global_store_b32 v[36:37], v2, off
	s_wait_alu 0xfffe
	s_or_b32 exec_lo, exec_lo, s23
	v_cmp_lt_u32_e64 s22, v54, v135
	s_and_saveexec_b32 s24, s22
	s_cbranch_execz .LBB532_777
.LBB532_845:                            ;   in Loop: Header=BB532_690 Depth=2
	ds_load_b32 v136, v70 offset:9216
	s_wait_dscnt 0x0
	v_lshrrev_b32_e32 v2, s49, v136
	s_delay_alu instid0(VALU_DEP_1) | instskip(NEXT) | instid1(VALU_DEP_1)
	v_and_b32_e32 v2, s48, v2
	v_lshlrev_b32_e32 v2, 2, v2
	ds_load_b32 v2, v2
	s_wait_dscnt 0x0
	v_add_nc_u32_e32 v2, v2, v54
	s_delay_alu instid0(VALU_DEP_1) | instskip(SKIP_1) | instid1(VALU_DEP_2)
	v_lshlrev_b64_e32 v[36:37], 2, v[2:3]
	v_xor_b32_e32 v2, 0x7fffffff, v136
	v_add_co_u32 v36, s23, s38, v36
	s_wait_alu 0xf1ff
	s_delay_alu instid0(VALU_DEP_3)
	v_add_co_ci_u32_e64 v37, null, s39, v37, s23
	global_store_b32 v[36:37], v2, off
	s_wait_alu 0xfffe
	s_or_b32 exec_lo, exec_lo, s24
	v_cmp_lt_u32_e64 s23, v55, v135
	s_and_saveexec_b32 s25, s23
	s_cbranch_execz .LBB532_778
.LBB532_846:                            ;   in Loop: Header=BB532_690 Depth=2
	ds_load_b32 v136, v70 offset:10240
	s_wait_dscnt 0x0
	v_lshrrev_b32_e32 v2, s49, v136
	s_delay_alu instid0(VALU_DEP_1) | instskip(NEXT) | instid1(VALU_DEP_1)
	v_and_b32_e32 v2, s48, v2
	v_lshlrev_b32_e32 v2, 2, v2
	ds_load_b32 v2, v2
	s_wait_dscnt 0x0
	v_add_nc_u32_e32 v2, v2, v55
	s_delay_alu instid0(VALU_DEP_1) | instskip(SKIP_1) | instid1(VALU_DEP_2)
	v_lshlrev_b64_e32 v[36:37], 2, v[2:3]
	v_xor_b32_e32 v2, 0x7fffffff, v136
	v_add_co_u32 v36, s24, s38, v36
	s_wait_alu 0xf1ff
	s_delay_alu instid0(VALU_DEP_3)
	v_add_co_ci_u32_e64 v37, null, s39, v37, s24
	global_store_b32 v[36:37], v2, off
	s_wait_alu 0xfffe
	s_or_b32 exec_lo, exec_lo, s25
	v_cmp_lt_u32_e64 s24, v56, v135
	s_and_saveexec_b32 s26, s24
	s_cbranch_execz .LBB532_779
.LBB532_847:                            ;   in Loop: Header=BB532_690 Depth=2
	ds_load_b32 v136, v70 offset:11264
	s_wait_dscnt 0x0
	v_lshrrev_b32_e32 v2, s49, v136
	s_delay_alu instid0(VALU_DEP_1) | instskip(NEXT) | instid1(VALU_DEP_1)
	v_and_b32_e32 v2, s48, v2
	v_lshlrev_b32_e32 v2, 2, v2
	ds_load_b32 v2, v2
	s_wait_dscnt 0x0
	v_add_nc_u32_e32 v2, v2, v56
	s_delay_alu instid0(VALU_DEP_1) | instskip(SKIP_1) | instid1(VALU_DEP_2)
	v_lshlrev_b64_e32 v[36:37], 2, v[2:3]
	v_xor_b32_e32 v2, 0x7fffffff, v136
	v_add_co_u32 v36, s25, s38, v36
	s_wait_alu 0xf1ff
	s_delay_alu instid0(VALU_DEP_3)
	v_add_co_ci_u32_e64 v37, null, s39, v37, s25
	global_store_b32 v[36:37], v2, off
	s_wait_alu 0xfffe
	s_or_b32 exec_lo, exec_lo, s26
	v_cmp_lt_u32_e64 s25, v57, v135
	s_and_saveexec_b32 s27, s25
	s_cbranch_execz .LBB532_780
.LBB532_848:                            ;   in Loop: Header=BB532_690 Depth=2
	ds_load_b32 v136, v70 offset:12288
	s_wait_dscnt 0x0
	v_lshrrev_b32_e32 v2, s49, v136
	s_delay_alu instid0(VALU_DEP_1) | instskip(NEXT) | instid1(VALU_DEP_1)
	v_and_b32_e32 v2, s48, v2
	v_lshlrev_b32_e32 v2, 2, v2
	ds_load_b32 v2, v2
	s_wait_dscnt 0x0
	v_add_nc_u32_e32 v2, v2, v57
	s_delay_alu instid0(VALU_DEP_1) | instskip(SKIP_1) | instid1(VALU_DEP_2)
	v_lshlrev_b64_e32 v[36:37], 2, v[2:3]
	v_xor_b32_e32 v2, 0x7fffffff, v136
	v_add_co_u32 v36, s26, s38, v36
	s_wait_alu 0xf1ff
	s_delay_alu instid0(VALU_DEP_3)
	v_add_co_ci_u32_e64 v37, null, s39, v37, s26
	global_store_b32 v[36:37], v2, off
	s_wait_alu 0xfffe
	s_or_b32 exec_lo, exec_lo, s27
	v_cmp_lt_u32_e64 s26, v58, v135
	s_and_saveexec_b32 s28, s26
	s_cbranch_execz .LBB532_781
.LBB532_849:                            ;   in Loop: Header=BB532_690 Depth=2
	ds_load_b32 v136, v70 offset:13312
	s_wait_dscnt 0x0
	v_lshrrev_b32_e32 v2, s49, v136
	s_delay_alu instid0(VALU_DEP_1) | instskip(NEXT) | instid1(VALU_DEP_1)
	v_and_b32_e32 v2, s48, v2
	v_lshlrev_b32_e32 v2, 2, v2
	ds_load_b32 v2, v2
	s_wait_dscnt 0x0
	v_add_nc_u32_e32 v2, v2, v58
	s_delay_alu instid0(VALU_DEP_1) | instskip(SKIP_1) | instid1(VALU_DEP_2)
	v_lshlrev_b64_e32 v[36:37], 2, v[2:3]
	v_xor_b32_e32 v2, 0x7fffffff, v136
	v_add_co_u32 v36, s27, s38, v36
	s_wait_alu 0xf1ff
	s_delay_alu instid0(VALU_DEP_3)
	v_add_co_ci_u32_e64 v37, null, s39, v37, s27
	global_store_b32 v[36:37], v2, off
	s_wait_alu 0xfffe
	s_or_b32 exec_lo, exec_lo, s28
	v_cmp_lt_u32_e64 s27, v59, v135
	s_and_saveexec_b32 s29, s27
	s_cbranch_execz .LBB532_782
.LBB532_850:                            ;   in Loop: Header=BB532_690 Depth=2
	ds_load_b32 v136, v70 offset:14336
	s_wait_dscnt 0x0
	v_lshrrev_b32_e32 v2, s49, v136
	s_delay_alu instid0(VALU_DEP_1) | instskip(NEXT) | instid1(VALU_DEP_1)
	v_and_b32_e32 v2, s48, v2
	v_lshlrev_b32_e32 v2, 2, v2
	ds_load_b32 v2, v2
	s_wait_dscnt 0x0
	v_add_nc_u32_e32 v2, v2, v59
	s_delay_alu instid0(VALU_DEP_1) | instskip(SKIP_1) | instid1(VALU_DEP_2)
	v_lshlrev_b64_e32 v[36:37], 2, v[2:3]
	v_xor_b32_e32 v2, 0x7fffffff, v136
	v_add_co_u32 v36, s28, s38, v36
	s_wait_alu 0xf1ff
	s_delay_alu instid0(VALU_DEP_3)
	v_add_co_ci_u32_e64 v37, null, s39, v37, s28
	global_store_b32 v[36:37], v2, off
	s_wait_alu 0xfffe
	s_or_b32 exec_lo, exec_lo, s29
	v_cmp_lt_u32_e64 s28, v60, v135
	s_and_saveexec_b32 s30, s28
	s_cbranch_execz .LBB532_783
.LBB532_851:                            ;   in Loop: Header=BB532_690 Depth=2
	ds_load_b32 v136, v70 offset:15360
	s_wait_dscnt 0x0
	v_lshrrev_b32_e32 v2, s49, v136
	s_delay_alu instid0(VALU_DEP_1) | instskip(NEXT) | instid1(VALU_DEP_1)
	v_and_b32_e32 v2, s48, v2
	v_lshlrev_b32_e32 v2, 2, v2
	ds_load_b32 v2, v2
	s_wait_dscnt 0x0
	v_add_nc_u32_e32 v2, v2, v60
	s_delay_alu instid0(VALU_DEP_1) | instskip(SKIP_1) | instid1(VALU_DEP_2)
	v_lshlrev_b64_e32 v[36:37], 2, v[2:3]
	v_xor_b32_e32 v2, 0x7fffffff, v136
	v_add_co_u32 v36, s29, s38, v36
	s_wait_alu 0xf1ff
	s_delay_alu instid0(VALU_DEP_3)
	v_add_co_ci_u32_e64 v37, null, s39, v37, s29
	global_store_b32 v[36:37], v2, off
	s_wait_alu 0xfffe
	s_or_b32 exec_lo, exec_lo, s30
	v_cmp_lt_u32_e64 s29, v61, v135
	s_and_saveexec_b32 s56, s29
	s_cbranch_execnz .LBB532_784
	s_branch .LBB532_785
.LBB532_852:                            ;   in Loop: Header=BB532_690 Depth=2
	global_load_b64 v[34:35], v[36:37], off
	s_wait_alu 0xfffe
	s_or_b32 exec_lo, exec_lo, s30
	s_delay_alu instid0(SALU_CYCLE_1)
	s_mov_b32 s42, exec_lo
	v_cmpx_lt_u32_e64 v92, v135
	s_cbranch_execz .LBB532_787
.LBB532_853:                            ;   in Loop: Header=BB532_690 Depth=2
	global_load_b64 v[32:33], v[36:37], off offset:256
	s_wait_alu 0xfffe
	s_or_b32 exec_lo, exec_lo, s42
	s_delay_alu instid0(SALU_CYCLE_1)
	s_mov_b32 s42, exec_lo
	v_cmpx_lt_u32_e64 v93, v135
	s_cbranch_execz .LBB532_788
.LBB532_854:                            ;   in Loop: Header=BB532_690 Depth=2
	global_load_b64 v[30:31], v[36:37], off offset:512
	s_wait_alu 0xfffe
	s_or_b32 exec_lo, exec_lo, s42
	s_delay_alu instid0(SALU_CYCLE_1)
	s_mov_b32 s42, exec_lo
	v_cmpx_lt_u32_e64 v94, v135
	s_cbranch_execz .LBB532_789
.LBB532_855:                            ;   in Loop: Header=BB532_690 Depth=2
	global_load_b64 v[28:29], v[36:37], off offset:768
	s_wait_alu 0xfffe
	s_or_b32 exec_lo, exec_lo, s42
	s_delay_alu instid0(SALU_CYCLE_1)
	s_mov_b32 s42, exec_lo
	v_cmpx_lt_u32_e64 v95, v135
	s_cbranch_execz .LBB532_790
.LBB532_856:                            ;   in Loop: Header=BB532_690 Depth=2
	global_load_b64 v[26:27], v[36:37], off offset:1024
	s_wait_alu 0xfffe
	s_or_b32 exec_lo, exec_lo, s42
	s_delay_alu instid0(SALU_CYCLE_1)
	s_mov_b32 s42, exec_lo
	v_cmpx_lt_u32_e64 v96, v135
	s_cbranch_execz .LBB532_791
.LBB532_857:                            ;   in Loop: Header=BB532_690 Depth=2
	global_load_b64 v[24:25], v[36:37], off offset:1280
	s_wait_alu 0xfffe
	s_or_b32 exec_lo, exec_lo, s42
	s_delay_alu instid0(SALU_CYCLE_1)
	s_mov_b32 s42, exec_lo
	v_cmpx_lt_u32_e64 v97, v135
	s_cbranch_execz .LBB532_792
.LBB532_858:                            ;   in Loop: Header=BB532_690 Depth=2
	global_load_b64 v[22:23], v[36:37], off offset:1536
	s_wait_alu 0xfffe
	s_or_b32 exec_lo, exec_lo, s42
	s_delay_alu instid0(SALU_CYCLE_1)
	s_mov_b32 s42, exec_lo
	v_cmpx_lt_u32_e64 v98, v135
	s_cbranch_execz .LBB532_793
.LBB532_859:                            ;   in Loop: Header=BB532_690 Depth=2
	global_load_b64 v[20:21], v[36:37], off offset:1792
	s_wait_alu 0xfffe
	s_or_b32 exec_lo, exec_lo, s42
	s_delay_alu instid0(SALU_CYCLE_1)
	s_mov_b32 s42, exec_lo
	v_cmpx_lt_u32_e64 v99, v135
	s_cbranch_execz .LBB532_794
.LBB532_860:                            ;   in Loop: Header=BB532_690 Depth=2
	global_load_b64 v[18:19], v[36:37], off offset:2048
	s_wait_alu 0xfffe
	s_or_b32 exec_lo, exec_lo, s42
	s_delay_alu instid0(SALU_CYCLE_1)
	s_mov_b32 s42, exec_lo
	v_cmpx_lt_u32_e64 v100, v135
	s_cbranch_execz .LBB532_795
.LBB532_861:                            ;   in Loop: Header=BB532_690 Depth=2
	global_load_b64 v[16:17], v[36:37], off offset:2304
	s_wait_alu 0xfffe
	s_or_b32 exec_lo, exec_lo, s42
	s_delay_alu instid0(SALU_CYCLE_1)
	s_mov_b32 s42, exec_lo
	v_cmpx_lt_u32_e64 v101, v135
	s_cbranch_execz .LBB532_796
.LBB532_862:                            ;   in Loop: Header=BB532_690 Depth=2
	global_load_b64 v[14:15], v[36:37], off offset:2560
	s_wait_alu 0xfffe
	s_or_b32 exec_lo, exec_lo, s42
	s_delay_alu instid0(SALU_CYCLE_1)
	s_mov_b32 s42, exec_lo
	v_cmpx_lt_u32_e64 v102, v135
	s_cbranch_execz .LBB532_797
.LBB532_863:                            ;   in Loop: Header=BB532_690 Depth=2
	global_load_b64 v[12:13], v[36:37], off offset:2816
	s_wait_alu 0xfffe
	s_or_b32 exec_lo, exec_lo, s42
	s_delay_alu instid0(SALU_CYCLE_1)
	s_mov_b32 s42, exec_lo
	v_cmpx_lt_u32_e64 v103, v135
	s_cbranch_execz .LBB532_798
.LBB532_864:                            ;   in Loop: Header=BB532_690 Depth=2
	global_load_b64 v[10:11], v[36:37], off offset:3072
	s_wait_alu 0xfffe
	s_or_b32 exec_lo, exec_lo, s42
	s_delay_alu instid0(SALU_CYCLE_1)
	s_mov_b32 s42, exec_lo
	v_cmpx_lt_u32_e64 v104, v135
	s_cbranch_execz .LBB532_799
.LBB532_865:                            ;   in Loop: Header=BB532_690 Depth=2
	global_load_b64 v[8:9], v[36:37], off offset:3328
	s_wait_alu 0xfffe
	s_or_b32 exec_lo, exec_lo, s42
	s_delay_alu instid0(SALU_CYCLE_1)
	s_mov_b32 s42, exec_lo
	v_cmpx_lt_u32_e64 v105, v135
	s_cbranch_execz .LBB532_800
.LBB532_866:                            ;   in Loop: Header=BB532_690 Depth=2
	global_load_b64 v[6:7], v[36:37], off offset:3584
	s_wait_alu 0xfffe
	s_or_b32 exec_lo, exec_lo, s42
	s_delay_alu instid0(SALU_CYCLE_1)
	s_mov_b32 s42, exec_lo
	v_cmpx_lt_u32_e64 v106, v135
	s_cbranch_execz .LBB532_801
.LBB532_867:                            ;   in Loop: Header=BB532_690 Depth=2
	global_load_b64 v[4:5], v[36:37], off offset:3840
	s_wait_alu 0xfffe
	s_or_b32 exec_lo, exec_lo, s42
	s_and_saveexec_b32 s30, vcc_lo
	s_cbranch_execz .LBB532_802
.LBB532_868:                            ;   in Loop: Header=BB532_690 Depth=2
	ds_load_b32 v2, v70 offset:1024
	s_wait_dscnt 0x0
	v_lshrrev_b32_e32 v2, s49, v2
	s_delay_alu instid0(VALU_DEP_1)
	v_and_b32_e32 v134, s48, v2
	s_wait_alu 0xfffe
	s_or_b32 exec_lo, exec_lo, s30
	s_and_saveexec_b32 s30, s15
	s_cbranch_execz .LBB532_803
.LBB532_869:                            ;   in Loop: Header=BB532_690 Depth=2
	ds_load_b32 v2, v70 offset:2048
	s_wait_dscnt 0x0
	v_lshrrev_b32_e32 v2, s49, v2
	s_delay_alu instid0(VALU_DEP_1)
	v_and_b32_e32 v133, s48, v2
	s_wait_alu 0xfffe
	s_or_b32 exec_lo, exec_lo, s30
	s_and_saveexec_b32 s30, s16
	s_cbranch_execz .LBB532_804
.LBB532_870:                            ;   in Loop: Header=BB532_690 Depth=2
	ds_load_b32 v2, v70 offset:3072
	s_wait_dscnt 0x0
	v_lshrrev_b32_e32 v2, s49, v2
	s_delay_alu instid0(VALU_DEP_1)
	v_and_b32_e32 v132, s48, v2
	s_wait_alu 0xfffe
	s_or_b32 exec_lo, exec_lo, s30
	s_and_saveexec_b32 s30, s17
	s_cbranch_execz .LBB532_805
.LBB532_871:                            ;   in Loop: Header=BB532_690 Depth=2
	ds_load_b32 v2, v70 offset:4096
	s_wait_dscnt 0x0
	v_lshrrev_b32_e32 v2, s49, v2
	s_delay_alu instid0(VALU_DEP_1)
	v_and_b32_e32 v131, s48, v2
	s_wait_alu 0xfffe
	s_or_b32 exec_lo, exec_lo, s30
	s_and_saveexec_b32 s30, s18
	s_cbranch_execz .LBB532_806
.LBB532_872:                            ;   in Loop: Header=BB532_690 Depth=2
	ds_load_b32 v2, v70 offset:5120
	s_wait_dscnt 0x0
	v_lshrrev_b32_e32 v2, s49, v2
	s_delay_alu instid0(VALU_DEP_1)
	v_and_b32_e32 v130, s48, v2
	s_wait_alu 0xfffe
	s_or_b32 exec_lo, exec_lo, s30
	s_and_saveexec_b32 s30, s19
	s_cbranch_execz .LBB532_807
.LBB532_873:                            ;   in Loop: Header=BB532_690 Depth=2
	ds_load_b32 v2, v70 offset:6144
	s_wait_dscnt 0x0
	v_lshrrev_b32_e32 v2, s49, v2
	s_delay_alu instid0(VALU_DEP_1)
	v_and_b32_e32 v129, s48, v2
	s_wait_alu 0xfffe
	s_or_b32 exec_lo, exec_lo, s30
	s_and_saveexec_b32 s30, s20
	s_cbranch_execz .LBB532_808
.LBB532_874:                            ;   in Loop: Header=BB532_690 Depth=2
	ds_load_b32 v2, v70 offset:7168
	s_wait_dscnt 0x0
	v_lshrrev_b32_e32 v2, s49, v2
	s_delay_alu instid0(VALU_DEP_1)
	v_and_b32_e32 v128, s48, v2
	s_wait_alu 0xfffe
	s_or_b32 exec_lo, exec_lo, s30
	s_and_saveexec_b32 s30, s21
	s_cbranch_execz .LBB532_809
.LBB532_875:                            ;   in Loop: Header=BB532_690 Depth=2
	ds_load_b32 v2, v70 offset:8192
	s_wait_dscnt 0x0
	v_lshrrev_b32_e32 v2, s49, v2
	s_delay_alu instid0(VALU_DEP_1)
	v_and_b32_e32 v127, s48, v2
	s_wait_alu 0xfffe
	s_or_b32 exec_lo, exec_lo, s30
	s_and_saveexec_b32 s30, s22
	s_cbranch_execz .LBB532_810
.LBB532_876:                            ;   in Loop: Header=BB532_690 Depth=2
	ds_load_b32 v2, v70 offset:9216
	s_wait_dscnt 0x0
	v_lshrrev_b32_e32 v2, s49, v2
	s_delay_alu instid0(VALU_DEP_1)
	v_and_b32_e32 v126, s48, v2
	s_wait_alu 0xfffe
	s_or_b32 exec_lo, exec_lo, s30
	s_and_saveexec_b32 s30, s23
	s_cbranch_execz .LBB532_811
.LBB532_877:                            ;   in Loop: Header=BB532_690 Depth=2
	ds_load_b32 v2, v70 offset:10240
	s_wait_dscnt 0x0
	v_lshrrev_b32_e32 v2, s49, v2
	s_delay_alu instid0(VALU_DEP_1)
	v_and_b32_e32 v125, s48, v2
	s_wait_alu 0xfffe
	s_or_b32 exec_lo, exec_lo, s30
	s_and_saveexec_b32 s30, s24
	s_cbranch_execz .LBB532_812
.LBB532_878:                            ;   in Loop: Header=BB532_690 Depth=2
	ds_load_b32 v2, v70 offset:11264
	s_wait_dscnt 0x0
	v_lshrrev_b32_e32 v2, s49, v2
	s_delay_alu instid0(VALU_DEP_1)
	v_and_b32_e32 v124, s48, v2
	s_wait_alu 0xfffe
	s_or_b32 exec_lo, exec_lo, s30
	s_and_saveexec_b32 s30, s25
	s_cbranch_execz .LBB532_813
.LBB532_879:                            ;   in Loop: Header=BB532_690 Depth=2
	ds_load_b32 v2, v70 offset:12288
	s_wait_dscnt 0x0
	v_lshrrev_b32_e32 v2, s49, v2
	s_delay_alu instid0(VALU_DEP_1)
	v_and_b32_e32 v123, s48, v2
	s_wait_alu 0xfffe
	s_or_b32 exec_lo, exec_lo, s30
	s_and_saveexec_b32 s30, s26
	s_cbranch_execz .LBB532_814
.LBB532_880:                            ;   in Loop: Header=BB532_690 Depth=2
	ds_load_b32 v2, v70 offset:13312
	s_wait_dscnt 0x0
	v_lshrrev_b32_e32 v2, s49, v2
	s_delay_alu instid0(VALU_DEP_1)
	v_and_b32_e32 v122, s48, v2
	s_wait_alu 0xfffe
	s_or_b32 exec_lo, exec_lo, s30
	s_and_saveexec_b32 s30, s27
	s_cbranch_execz .LBB532_815
.LBB532_881:                            ;   in Loop: Header=BB532_690 Depth=2
	ds_load_b32 v2, v70 offset:14336
	s_wait_dscnt 0x0
	v_lshrrev_b32_e32 v2, s49, v2
	s_delay_alu instid0(VALU_DEP_1)
	v_and_b32_e32 v121, s48, v2
	s_wait_alu 0xfffe
	s_or_b32 exec_lo, exec_lo, s30
	s_and_saveexec_b32 s30, s28
	s_cbranch_execz .LBB532_816
.LBB532_882:                            ;   in Loop: Header=BB532_690 Depth=2
	ds_load_b32 v2, v70 offset:15360
	s_wait_dscnt 0x0
	v_lshrrev_b32_e32 v2, s49, v2
	s_delay_alu instid0(VALU_DEP_1)
	v_and_b32_e32 v120, s48, v2
	s_wait_alu 0xfffe
	s_or_b32 exec_lo, exec_lo, s30
	s_and_saveexec_b32 s30, s29
	s_cbranch_execnz .LBB532_817
	s_branch .LBB532_818
.LBB532_883:                            ;   in Loop: Header=BB532_690 Depth=2
	v_lshlrev_b32_e32 v2, 2, v134
	v_add_nc_u32_e32 v36, v70, v44
	ds_load_b32 v2, v2
	ds_load_b64 v[36:37], v36 offset:1024
	s_wait_dscnt 0x1
	v_add_nc_u32_e32 v2, v2, v1
	s_delay_alu instid0(VALU_DEP_1) | instskip(NEXT) | instid1(VALU_DEP_1)
	v_lshlrev_b64_e32 v[39:40], 3, v[2:3]
	v_add_co_u32 v39, vcc_lo, s44, v39
	s_wait_alu 0xfffd
	s_delay_alu instid0(VALU_DEP_2)
	v_add_co_ci_u32_e64 v40, null, s45, v40, vcc_lo
	s_wait_dscnt 0x0
	global_store_b64 v[39:40], v[36:37], off
	s_wait_alu 0xfffe
	s_or_b32 exec_lo, exec_lo, s30
	s_and_saveexec_b32 s30, s15
	s_cbranch_execz .LBB532_820
.LBB532_884:                            ;   in Loop: Header=BB532_690 Depth=2
	v_lshlrev_b32_e32 v2, 2, v133
	v_add_nc_u32_e32 v36, v70, v44
	ds_load_b32 v2, v2
	ds_load_b64 v[36:37], v36 offset:3072
	s_wait_dscnt 0x1
	v_add_nc_u32_e32 v2, v2, v45
	s_delay_alu instid0(VALU_DEP_1) | instskip(NEXT) | instid1(VALU_DEP_1)
	v_lshlrev_b64_e32 v[39:40], 3, v[2:3]
	v_add_co_u32 v39, vcc_lo, s44, v39
	s_wait_alu 0xfffd
	s_delay_alu instid0(VALU_DEP_2)
	v_add_co_ci_u32_e64 v40, null, s45, v40, vcc_lo
	s_wait_dscnt 0x0
	global_store_b64 v[39:40], v[36:37], off
	s_wait_alu 0xfffe
	s_or_b32 exec_lo, exec_lo, s30
	s_and_saveexec_b32 s15, s16
	s_cbranch_execz .LBB532_821
.LBB532_885:                            ;   in Loop: Header=BB532_690 Depth=2
	v_lshlrev_b32_e32 v2, 2, v132
	v_add_nc_u32_e32 v36, v70, v44
	ds_load_b32 v2, v2
	ds_load_b64 v[36:37], v36 offset:5120
	s_wait_dscnt 0x1
	v_add_nc_u32_e32 v2, v2, v46
	s_delay_alu instid0(VALU_DEP_1) | instskip(NEXT) | instid1(VALU_DEP_1)
	v_lshlrev_b64_e32 v[39:40], 3, v[2:3]
	v_add_co_u32 v39, vcc_lo, s44, v39
	s_wait_alu 0xfffd
	s_delay_alu instid0(VALU_DEP_2)
	v_add_co_ci_u32_e64 v40, null, s45, v40, vcc_lo
	s_wait_dscnt 0x0
	global_store_b64 v[39:40], v[36:37], off
	s_wait_alu 0xfffe
	s_or_b32 exec_lo, exec_lo, s15
	s_and_saveexec_b32 s15, s17
	s_cbranch_execz .LBB532_822
.LBB532_886:                            ;   in Loop: Header=BB532_690 Depth=2
	v_lshlrev_b32_e32 v2, 2, v131
	v_add_nc_u32_e32 v36, v70, v44
	ds_load_b32 v2, v2
	ds_load_b64 v[36:37], v36 offset:7168
	s_wait_dscnt 0x1
	v_add_nc_u32_e32 v2, v2, v47
	s_delay_alu instid0(VALU_DEP_1) | instskip(NEXT) | instid1(VALU_DEP_1)
	v_lshlrev_b64_e32 v[39:40], 3, v[2:3]
	v_add_co_u32 v39, vcc_lo, s44, v39
	s_wait_alu 0xfffd
	s_delay_alu instid0(VALU_DEP_2)
	v_add_co_ci_u32_e64 v40, null, s45, v40, vcc_lo
	s_wait_dscnt 0x0
	global_store_b64 v[39:40], v[36:37], off
	s_wait_alu 0xfffe
	s_or_b32 exec_lo, exec_lo, s15
	s_and_saveexec_b32 s15, s18
	s_cbranch_execz .LBB532_823
.LBB532_887:                            ;   in Loop: Header=BB532_690 Depth=2
	v_lshlrev_b32_e32 v2, 2, v130
	v_add_nc_u32_e32 v36, v70, v44
	ds_load_b32 v2, v2
	ds_load_b64 v[36:37], v36 offset:9216
	s_wait_dscnt 0x1
	v_add_nc_u32_e32 v2, v2, v50
	s_delay_alu instid0(VALU_DEP_1) | instskip(NEXT) | instid1(VALU_DEP_1)
	v_lshlrev_b64_e32 v[39:40], 3, v[2:3]
	v_add_co_u32 v39, vcc_lo, s44, v39
	s_wait_alu 0xfffd
	s_delay_alu instid0(VALU_DEP_2)
	v_add_co_ci_u32_e64 v40, null, s45, v40, vcc_lo
	s_wait_dscnt 0x0
	global_store_b64 v[39:40], v[36:37], off
	s_wait_alu 0xfffe
	s_or_b32 exec_lo, exec_lo, s15
	s_and_saveexec_b32 s15, s19
	s_cbranch_execz .LBB532_824
.LBB532_888:                            ;   in Loop: Header=BB532_690 Depth=2
	v_lshlrev_b32_e32 v2, 2, v129
	v_add_nc_u32_e32 v36, v70, v44
	ds_load_b32 v2, v2
	ds_load_b64 v[36:37], v36 offset:11264
	s_wait_dscnt 0x1
	v_add_nc_u32_e32 v2, v2, v51
	s_delay_alu instid0(VALU_DEP_1) | instskip(NEXT) | instid1(VALU_DEP_1)
	v_lshlrev_b64_e32 v[39:40], 3, v[2:3]
	v_add_co_u32 v39, vcc_lo, s44, v39
	s_wait_alu 0xfffd
	s_delay_alu instid0(VALU_DEP_2)
	v_add_co_ci_u32_e64 v40, null, s45, v40, vcc_lo
	s_wait_dscnt 0x0
	global_store_b64 v[39:40], v[36:37], off
	s_wait_alu 0xfffe
	s_or_b32 exec_lo, exec_lo, s15
	s_and_saveexec_b32 s15, s20
	s_cbranch_execz .LBB532_825
.LBB532_889:                            ;   in Loop: Header=BB532_690 Depth=2
	v_lshlrev_b32_e32 v2, 2, v128
	v_add_nc_u32_e32 v36, v70, v44
	ds_load_b32 v2, v2
	ds_load_b64 v[36:37], v36 offset:13312
	s_wait_dscnt 0x1
	v_add_nc_u32_e32 v2, v2, v52
	s_delay_alu instid0(VALU_DEP_1) | instskip(NEXT) | instid1(VALU_DEP_1)
	v_lshlrev_b64_e32 v[39:40], 3, v[2:3]
	v_add_co_u32 v39, vcc_lo, s44, v39
	s_wait_alu 0xfffd
	s_delay_alu instid0(VALU_DEP_2)
	v_add_co_ci_u32_e64 v40, null, s45, v40, vcc_lo
	s_wait_dscnt 0x0
	global_store_b64 v[39:40], v[36:37], off
	s_wait_alu 0xfffe
	s_or_b32 exec_lo, exec_lo, s15
	s_and_saveexec_b32 s15, s21
	s_cbranch_execz .LBB532_826
.LBB532_890:                            ;   in Loop: Header=BB532_690 Depth=2
	v_lshlrev_b32_e32 v2, 2, v127
	v_add_nc_u32_e32 v36, v70, v44
	ds_load_b32 v2, v2
	ds_load_b64 v[36:37], v36 offset:15360
	s_wait_dscnt 0x1
	v_add_nc_u32_e32 v2, v2, v53
	s_delay_alu instid0(VALU_DEP_1) | instskip(NEXT) | instid1(VALU_DEP_1)
	v_lshlrev_b64_e32 v[39:40], 3, v[2:3]
	v_add_co_u32 v39, vcc_lo, s44, v39
	s_wait_alu 0xfffd
	s_delay_alu instid0(VALU_DEP_2)
	v_add_co_ci_u32_e64 v40, null, s45, v40, vcc_lo
	s_wait_dscnt 0x0
	global_store_b64 v[39:40], v[36:37], off
	s_wait_alu 0xfffe
	s_or_b32 exec_lo, exec_lo, s15
	s_and_saveexec_b32 s15, s22
	s_cbranch_execz .LBB532_827
.LBB532_891:                            ;   in Loop: Header=BB532_690 Depth=2
	v_lshlrev_b32_e32 v2, 2, v126
	v_add_nc_u32_e32 v36, v70, v44
	ds_load_b32 v2, v2
	ds_load_b64 v[36:37], v36 offset:17408
	s_wait_dscnt 0x1
	v_add_nc_u32_e32 v2, v2, v54
	s_delay_alu instid0(VALU_DEP_1) | instskip(NEXT) | instid1(VALU_DEP_1)
	v_lshlrev_b64_e32 v[39:40], 3, v[2:3]
	v_add_co_u32 v39, vcc_lo, s44, v39
	s_wait_alu 0xfffd
	s_delay_alu instid0(VALU_DEP_2)
	v_add_co_ci_u32_e64 v40, null, s45, v40, vcc_lo
	s_wait_dscnt 0x0
	global_store_b64 v[39:40], v[36:37], off
	s_wait_alu 0xfffe
	s_or_b32 exec_lo, exec_lo, s15
	s_and_saveexec_b32 s15, s23
	s_cbranch_execz .LBB532_828
.LBB532_892:                            ;   in Loop: Header=BB532_690 Depth=2
	v_lshlrev_b32_e32 v2, 2, v125
	v_add_nc_u32_e32 v36, v70, v44
	ds_load_b32 v2, v2
	ds_load_b64 v[36:37], v36 offset:19456
	s_wait_dscnt 0x1
	v_add_nc_u32_e32 v2, v2, v55
	s_delay_alu instid0(VALU_DEP_1) | instskip(NEXT) | instid1(VALU_DEP_1)
	v_lshlrev_b64_e32 v[39:40], 3, v[2:3]
	v_add_co_u32 v39, vcc_lo, s44, v39
	s_wait_alu 0xfffd
	s_delay_alu instid0(VALU_DEP_2)
	v_add_co_ci_u32_e64 v40, null, s45, v40, vcc_lo
	s_wait_dscnt 0x0
	global_store_b64 v[39:40], v[36:37], off
	s_wait_alu 0xfffe
	s_or_b32 exec_lo, exec_lo, s15
	s_and_saveexec_b32 s15, s24
	s_cbranch_execz .LBB532_829
.LBB532_893:                            ;   in Loop: Header=BB532_690 Depth=2
	v_lshlrev_b32_e32 v2, 2, v124
	v_add_nc_u32_e32 v36, v70, v44
	ds_load_b32 v2, v2
	ds_load_b64 v[36:37], v36 offset:21504
	s_wait_dscnt 0x1
	v_add_nc_u32_e32 v2, v2, v56
	s_delay_alu instid0(VALU_DEP_1) | instskip(NEXT) | instid1(VALU_DEP_1)
	v_lshlrev_b64_e32 v[39:40], 3, v[2:3]
	v_add_co_u32 v39, vcc_lo, s44, v39
	s_wait_alu 0xfffd
	s_delay_alu instid0(VALU_DEP_2)
	v_add_co_ci_u32_e64 v40, null, s45, v40, vcc_lo
	s_wait_dscnt 0x0
	global_store_b64 v[39:40], v[36:37], off
	s_wait_alu 0xfffe
	s_or_b32 exec_lo, exec_lo, s15
	s_and_saveexec_b32 s15, s25
	s_cbranch_execz .LBB532_830
.LBB532_894:                            ;   in Loop: Header=BB532_690 Depth=2
	v_lshlrev_b32_e32 v2, 2, v123
	v_add_nc_u32_e32 v36, v70, v44
	ds_load_b32 v2, v2
	ds_load_b64 v[36:37], v36 offset:23552
	s_wait_dscnt 0x1
	v_add_nc_u32_e32 v2, v2, v57
	s_delay_alu instid0(VALU_DEP_1) | instskip(NEXT) | instid1(VALU_DEP_1)
	v_lshlrev_b64_e32 v[39:40], 3, v[2:3]
	v_add_co_u32 v39, vcc_lo, s44, v39
	s_wait_alu 0xfffd
	s_delay_alu instid0(VALU_DEP_2)
	v_add_co_ci_u32_e64 v40, null, s45, v40, vcc_lo
	s_wait_dscnt 0x0
	global_store_b64 v[39:40], v[36:37], off
	s_wait_alu 0xfffe
	s_or_b32 exec_lo, exec_lo, s15
	s_and_saveexec_b32 s15, s26
	s_cbranch_execz .LBB532_831
.LBB532_895:                            ;   in Loop: Header=BB532_690 Depth=2
	v_lshlrev_b32_e32 v2, 2, v122
	v_add_nc_u32_e32 v36, v70, v44
	ds_load_b32 v2, v2
	ds_load_b64 v[36:37], v36 offset:25600
	s_wait_dscnt 0x1
	v_add_nc_u32_e32 v2, v2, v58
	s_delay_alu instid0(VALU_DEP_1) | instskip(NEXT) | instid1(VALU_DEP_1)
	v_lshlrev_b64_e32 v[39:40], 3, v[2:3]
	v_add_co_u32 v39, vcc_lo, s44, v39
	s_wait_alu 0xfffd
	s_delay_alu instid0(VALU_DEP_2)
	v_add_co_ci_u32_e64 v40, null, s45, v40, vcc_lo
	s_wait_dscnt 0x0
	global_store_b64 v[39:40], v[36:37], off
	s_wait_alu 0xfffe
	s_or_b32 exec_lo, exec_lo, s15
	s_and_saveexec_b32 s15, s27
	s_cbranch_execz .LBB532_832
.LBB532_896:                            ;   in Loop: Header=BB532_690 Depth=2
	v_lshlrev_b32_e32 v2, 2, v121
	v_add_nc_u32_e32 v36, v70, v44
	ds_load_b32 v2, v2
	ds_load_b64 v[36:37], v36 offset:27648
	s_wait_dscnt 0x1
	v_add_nc_u32_e32 v2, v2, v59
	s_delay_alu instid0(VALU_DEP_1) | instskip(NEXT) | instid1(VALU_DEP_1)
	v_lshlrev_b64_e32 v[39:40], 3, v[2:3]
	v_add_co_u32 v39, vcc_lo, s44, v39
	s_wait_alu 0xfffd
	s_delay_alu instid0(VALU_DEP_2)
	v_add_co_ci_u32_e64 v40, null, s45, v40, vcc_lo
	s_wait_dscnt 0x0
	global_store_b64 v[39:40], v[36:37], off
	s_wait_alu 0xfffe
	s_or_b32 exec_lo, exec_lo, s15
	s_and_saveexec_b32 s15, s28
	s_cbranch_execz .LBB532_833
.LBB532_897:                            ;   in Loop: Header=BB532_690 Depth=2
	v_lshlrev_b32_e32 v2, 2, v120
	v_add_nc_u32_e32 v36, v70, v44
	ds_load_b32 v2, v2
	ds_load_b64 v[36:37], v36 offset:29696
	s_wait_dscnt 0x1
	v_add_nc_u32_e32 v2, v2, v60
	s_delay_alu instid0(VALU_DEP_1) | instskip(NEXT) | instid1(VALU_DEP_1)
	v_lshlrev_b64_e32 v[39:40], 3, v[2:3]
	v_add_co_u32 v39, vcc_lo, s44, v39
	s_wait_alu 0xfffd
	s_delay_alu instid0(VALU_DEP_2)
	v_add_co_ci_u32_e64 v40, null, s45, v40, vcc_lo
	s_wait_dscnt 0x0
	global_store_b64 v[39:40], v[36:37], off
	s_wait_alu 0xfffe
	s_or_b32 exec_lo, exec_lo, s15
	s_and_saveexec_b32 s15, s29
	s_cbranch_execnz .LBB532_834
	s_branch .LBB532_835
.LBB532_898:                            ;   in Loop: Header=BB532_20 Depth=1
	s_wait_loadcnt_dscnt 0x0
	s_barrier_signal -1
	s_mov_b32 s0, 0
	s_barrier_wait -1
.LBB532_899:                            ;   in Loop: Header=BB532_20 Depth=1
	s_wait_alu 0xfffe
	s_and_b32 vcc_lo, exec_lo, s0
	s_wait_alu 0xfffe
	s_cbranch_vccz .LBB532_19
; %bb.900:                              ;   in Loop: Header=BB532_20 Depth=1
	s_mov_b32 s9, s53
	s_mov_b32 s42, s33
	s_barrier_signal -1
	s_barrier_wait -1
	global_inv scope:SCOPE_SE
                                        ; implicit-def: $vgpr2
                                        ; implicit-def: $vgpr4
                                        ; implicit-def: $vgpr5
                                        ; implicit-def: $vgpr6
                                        ; implicit-def: $vgpr7
                                        ; implicit-def: $vgpr8
                                        ; implicit-def: $vgpr9
                                        ; implicit-def: $vgpr10
                                        ; implicit-def: $vgpr11
                                        ; implicit-def: $vgpr12
                                        ; implicit-def: $vgpr13
                                        ; implicit-def: $vgpr14
                                        ; implicit-def: $vgpr15
                                        ; implicit-def: $vgpr16
                                        ; implicit-def: $vgpr17
                                        ; implicit-def: $vgpr18
	s_branch .LBB532_902
.LBB532_901:                            ;   in Loop: Header=BB532_902 Depth=2
	s_wait_alu 0xfffe
	s_or_b32 exec_lo, exec_lo, s0
	s_addk_co_i32 s9, 0xf000
	s_cmp_ge_u32 s10, s51
	s_mov_b32 s42, s10
	s_cbranch_scc1 .LBB532_970
.LBB532_902:                            ;   Parent Loop BB532_20 Depth=1
                                        ; =>  This Inner Loop Header: Depth=2
	s_wait_alu 0xfffe
	s_add_co_i32 s10, s42, 0x1000
	s_mov_b32 s0, -1
	s_wait_alu 0xfffe
	s_cmp_gt_u32 s10, s51
                                        ; implicit-def: $vgpr19
                                        ; implicit-def: $vgpr20
                                        ; implicit-def: $vgpr21
                                        ; implicit-def: $vgpr22
                                        ; implicit-def: $vgpr23
                                        ; implicit-def: $vgpr24
                                        ; implicit-def: $vgpr25
                                        ; implicit-def: $vgpr26
                                        ; implicit-def: $vgpr27
                                        ; implicit-def: $vgpr28
                                        ; implicit-def: $vgpr29
                                        ; implicit-def: $vgpr30
                                        ; implicit-def: $vgpr31
                                        ; implicit-def: $vgpr32
                                        ; implicit-def: $vgpr33
                                        ; implicit-def: $vgpr34
	s_cbranch_scc1 .LBB532_904
; %bb.903:                              ;   in Loop: Header=BB532_902 Depth=2
	s_lshl_b64 s[0:1], s[42:43], 2
	s_wait_alu 0xfffe
	v_add_co_u32 v34, vcc_lo, v77, s0
	s_wait_alu 0xfffd
	v_add_co_ci_u32_e64 v35, null, s1, v78, vcc_lo
	s_mov_b32 s0, 0
	s_clause 0xf
	global_load_b32 v19, v[34:35], off
	global_load_b32 v20, v[34:35], off offset:1024
	global_load_b32 v21, v[34:35], off offset:2048
	;; [unrolled: 1-line block ×15, first 2 shown]
.LBB532_904:                            ;   in Loop: Header=BB532_902 Depth=2
	s_wait_alu 0xfffe
	s_and_not1_b32 vcc_lo, exec_lo, s0
	s_movk_i32 s0, 0x1000
	s_wait_alu 0xfffe
	s_cbranch_vccnz .LBB532_923
; %bb.905:                              ;   in Loop: Header=BB532_902 Depth=2
	s_lshl_b64 s[0:1], s[42:43], 2
	s_mov_b32 s11, exec_lo
	s_wait_alu 0xfffe
	s_add_nc_u64 s[0:1], s[36:37], s[0:1]
	v_cmpx_gt_u32_e64 s9, v1
	s_cbranch_execnz .LBB532_955
; %bb.906:                              ;   in Loop: Header=BB532_902 Depth=2
	s_or_b32 exec_lo, exec_lo, s11
	s_delay_alu instid0(SALU_CYCLE_1)
	s_mov_b32 s11, exec_lo
	v_cmpx_gt_u32_e64 s9, v45
	s_cbranch_execnz .LBB532_956
.LBB532_907:                            ;   in Loop: Header=BB532_902 Depth=2
	s_wait_alu 0xfffe
	s_or_b32 exec_lo, exec_lo, s11
	s_delay_alu instid0(SALU_CYCLE_1)
	s_mov_b32 s11, exec_lo
	v_cmpx_gt_u32_e64 s9, v46
	s_cbranch_execnz .LBB532_957
.LBB532_908:                            ;   in Loop: Header=BB532_902 Depth=2
	s_wait_alu 0xfffe
	s_or_b32 exec_lo, exec_lo, s11
	s_delay_alu instid0(SALU_CYCLE_1)
	s_mov_b32 s11, exec_lo
	v_cmpx_gt_u32_e64 s9, v47
	s_cbranch_execnz .LBB532_958
.LBB532_909:                            ;   in Loop: Header=BB532_902 Depth=2
	s_wait_alu 0xfffe
	s_or_b32 exec_lo, exec_lo, s11
	s_delay_alu instid0(SALU_CYCLE_1)
	s_mov_b32 s11, exec_lo
	v_cmpx_gt_u32_e64 s9, v50
	s_cbranch_execnz .LBB532_959
.LBB532_910:                            ;   in Loop: Header=BB532_902 Depth=2
	s_wait_alu 0xfffe
	s_or_b32 exec_lo, exec_lo, s11
	s_delay_alu instid0(SALU_CYCLE_1)
	s_mov_b32 s11, exec_lo
	v_cmpx_gt_u32_e64 s9, v51
	s_cbranch_execnz .LBB532_960
.LBB532_911:                            ;   in Loop: Header=BB532_902 Depth=2
	s_wait_alu 0xfffe
	s_or_b32 exec_lo, exec_lo, s11
	s_delay_alu instid0(SALU_CYCLE_1)
	s_mov_b32 s11, exec_lo
	v_cmpx_gt_u32_e64 s9, v52
	s_cbranch_execnz .LBB532_961
.LBB532_912:                            ;   in Loop: Header=BB532_902 Depth=2
	s_wait_alu 0xfffe
	s_or_b32 exec_lo, exec_lo, s11
	s_delay_alu instid0(SALU_CYCLE_1)
	s_mov_b32 s11, exec_lo
	v_cmpx_gt_u32_e64 s9, v53
	s_cbranch_execnz .LBB532_962
.LBB532_913:                            ;   in Loop: Header=BB532_902 Depth=2
	s_wait_alu 0xfffe
	s_or_b32 exec_lo, exec_lo, s11
	s_delay_alu instid0(SALU_CYCLE_1)
	s_mov_b32 s11, exec_lo
	v_cmpx_gt_u32_e64 s9, v54
	s_cbranch_execnz .LBB532_963
.LBB532_914:                            ;   in Loop: Header=BB532_902 Depth=2
	s_wait_alu 0xfffe
	s_or_b32 exec_lo, exec_lo, s11
	s_delay_alu instid0(SALU_CYCLE_1)
	s_mov_b32 s11, exec_lo
	v_cmpx_gt_u32_e64 s9, v55
	s_cbranch_execnz .LBB532_964
.LBB532_915:                            ;   in Loop: Header=BB532_902 Depth=2
	s_wait_alu 0xfffe
	s_or_b32 exec_lo, exec_lo, s11
	s_delay_alu instid0(SALU_CYCLE_1)
	s_mov_b32 s11, exec_lo
	v_cmpx_gt_u32_e64 s9, v56
	s_cbranch_execnz .LBB532_965
.LBB532_916:                            ;   in Loop: Header=BB532_902 Depth=2
	s_wait_alu 0xfffe
	s_or_b32 exec_lo, exec_lo, s11
	s_delay_alu instid0(SALU_CYCLE_1)
	s_mov_b32 s11, exec_lo
	v_cmpx_gt_u32_e64 s9, v57
	s_cbranch_execnz .LBB532_966
.LBB532_917:                            ;   in Loop: Header=BB532_902 Depth=2
	s_wait_alu 0xfffe
	s_or_b32 exec_lo, exec_lo, s11
	s_delay_alu instid0(SALU_CYCLE_1)
	s_mov_b32 s11, exec_lo
	v_cmpx_gt_u32_e64 s9, v58
	s_cbranch_execnz .LBB532_967
.LBB532_918:                            ;   in Loop: Header=BB532_902 Depth=2
	s_wait_alu 0xfffe
	s_or_b32 exec_lo, exec_lo, s11
	s_delay_alu instid0(SALU_CYCLE_1)
	s_mov_b32 s11, exec_lo
	v_cmpx_gt_u32_e64 s9, v59
	s_cbranch_execnz .LBB532_968
.LBB532_919:                            ;   in Loop: Header=BB532_902 Depth=2
	s_wait_alu 0xfffe
	s_or_b32 exec_lo, exec_lo, s11
	s_delay_alu instid0(SALU_CYCLE_1)
	s_mov_b32 s11, exec_lo
	v_cmpx_gt_u32_e64 s9, v60
	s_cbranch_execnz .LBB532_969
.LBB532_920:                            ;   in Loop: Header=BB532_902 Depth=2
	s_wait_alu 0xfffe
	s_or_b32 exec_lo, exec_lo, s11
	s_delay_alu instid0(SALU_CYCLE_1)
	s_mov_b32 s11, exec_lo
	v_cmpx_gt_u32_e64 s9, v61
	s_cbranch_execz .LBB532_922
.LBB532_921:                            ;   in Loop: Header=BB532_902 Depth=2
	global_load_b32 v2, v108, s[0:1] offset:15360
.LBB532_922:                            ;   in Loop: Header=BB532_902 Depth=2
	s_wait_alu 0xfffe
	s_or_b32 exec_lo, exec_lo, s11
	s_wait_loadcnt 0x0
	v_dual_mov_b32 v19, v18 :: v_dual_mov_b32 v20, v17
	v_dual_mov_b32 v21, v16 :: v_dual_mov_b32 v22, v15
	;; [unrolled: 1-line block ×8, first 2 shown]
	s_mov_b32 s0, s9
.LBB532_923:                            ;   in Loop: Header=BB532_902 Depth=2
	s_wait_loadcnt 0x0
	s_delay_alu instid0(VALU_DEP_1) | instskip(NEXT) | instid1(VALU_DEP_2)
	v_dual_mov_b32 v2, v34 :: v_dual_mov_b32 v5, v32
	v_dual_mov_b32 v4, v33 :: v_dual_mov_b32 v7, v30
	;; [unrolled: 1-line block ×7, first 2 shown]
	v_mov_b32_e32 v16, v21
	v_mov_b32_e32 v18, v19
	s_mov_b32 s1, exec_lo
	s_wait_alu 0xfffe
	v_cmpx_gt_u32_e64 s0, v1
	s_cbranch_execnz .LBB532_939
; %bb.924:                              ;   in Loop: Header=BB532_902 Depth=2
	s_or_b32 exec_lo, exec_lo, s1
	s_delay_alu instid0(SALU_CYCLE_1)
	s_mov_b32 s1, exec_lo
	v_cmpx_gt_u32_e64 s0, v45
	s_cbranch_execnz .LBB532_940
.LBB532_925:                            ;   in Loop: Header=BB532_902 Depth=2
	s_wait_alu 0xfffe
	s_or_b32 exec_lo, exec_lo, s1
	s_delay_alu instid0(SALU_CYCLE_1)
	s_mov_b32 s1, exec_lo
	v_cmpx_gt_u32_e64 s0, v46
	s_cbranch_execnz .LBB532_941
.LBB532_926:                            ;   in Loop: Header=BB532_902 Depth=2
	s_wait_alu 0xfffe
	s_or_b32 exec_lo, exec_lo, s1
	s_delay_alu instid0(SALU_CYCLE_1)
	s_mov_b32 s1, exec_lo
	v_cmpx_gt_u32_e64 s0, v47
	s_cbranch_execnz .LBB532_942
.LBB532_927:                            ;   in Loop: Header=BB532_902 Depth=2
	s_wait_alu 0xfffe
	s_or_b32 exec_lo, exec_lo, s1
	s_delay_alu instid0(SALU_CYCLE_1)
	s_mov_b32 s1, exec_lo
	v_cmpx_gt_u32_e64 s0, v50
	s_cbranch_execnz .LBB532_943
.LBB532_928:                            ;   in Loop: Header=BB532_902 Depth=2
	s_wait_alu 0xfffe
	s_or_b32 exec_lo, exec_lo, s1
	s_delay_alu instid0(SALU_CYCLE_1)
	s_mov_b32 s1, exec_lo
	v_cmpx_gt_u32_e64 s0, v51
	s_cbranch_execnz .LBB532_944
.LBB532_929:                            ;   in Loop: Header=BB532_902 Depth=2
	s_wait_alu 0xfffe
	s_or_b32 exec_lo, exec_lo, s1
	s_delay_alu instid0(SALU_CYCLE_1)
	s_mov_b32 s1, exec_lo
	v_cmpx_gt_u32_e64 s0, v52
	s_cbranch_execnz .LBB532_945
.LBB532_930:                            ;   in Loop: Header=BB532_902 Depth=2
	s_wait_alu 0xfffe
	s_or_b32 exec_lo, exec_lo, s1
	s_delay_alu instid0(SALU_CYCLE_1)
	s_mov_b32 s1, exec_lo
	v_cmpx_gt_u32_e64 s0, v53
	s_cbranch_execnz .LBB532_946
.LBB532_931:                            ;   in Loop: Header=BB532_902 Depth=2
	s_wait_alu 0xfffe
	s_or_b32 exec_lo, exec_lo, s1
	s_delay_alu instid0(SALU_CYCLE_1)
	s_mov_b32 s1, exec_lo
	v_cmpx_gt_u32_e64 s0, v54
	s_cbranch_execnz .LBB532_947
.LBB532_932:                            ;   in Loop: Header=BB532_902 Depth=2
	s_wait_alu 0xfffe
	s_or_b32 exec_lo, exec_lo, s1
	s_delay_alu instid0(SALU_CYCLE_1)
	s_mov_b32 s1, exec_lo
	v_cmpx_gt_u32_e64 s0, v55
	s_cbranch_execnz .LBB532_948
.LBB532_933:                            ;   in Loop: Header=BB532_902 Depth=2
	s_wait_alu 0xfffe
	s_or_b32 exec_lo, exec_lo, s1
	s_delay_alu instid0(SALU_CYCLE_1)
	s_mov_b32 s1, exec_lo
	v_cmpx_gt_u32_e64 s0, v56
	s_cbranch_execnz .LBB532_949
.LBB532_934:                            ;   in Loop: Header=BB532_902 Depth=2
	s_wait_alu 0xfffe
	s_or_b32 exec_lo, exec_lo, s1
	s_delay_alu instid0(SALU_CYCLE_1)
	s_mov_b32 s1, exec_lo
	v_cmpx_gt_u32_e64 s0, v57
	s_cbranch_execnz .LBB532_950
.LBB532_935:                            ;   in Loop: Header=BB532_902 Depth=2
	s_wait_alu 0xfffe
	s_or_b32 exec_lo, exec_lo, s1
	s_delay_alu instid0(SALU_CYCLE_1)
	s_mov_b32 s1, exec_lo
	v_cmpx_gt_u32_e64 s0, v58
	s_cbranch_execnz .LBB532_951
.LBB532_936:                            ;   in Loop: Header=BB532_902 Depth=2
	s_wait_alu 0xfffe
	s_or_b32 exec_lo, exec_lo, s1
	s_delay_alu instid0(SALU_CYCLE_1)
	s_mov_b32 s1, exec_lo
	v_cmpx_gt_u32_e64 s0, v59
	s_cbranch_execnz .LBB532_952
.LBB532_937:                            ;   in Loop: Header=BB532_902 Depth=2
	s_wait_alu 0xfffe
	s_or_b32 exec_lo, exec_lo, s1
	s_delay_alu instid0(SALU_CYCLE_1)
	s_mov_b32 s1, exec_lo
	v_cmpx_gt_u32_e64 s0, v60
	s_cbranch_execnz .LBB532_953
.LBB532_938:                            ;   in Loop: Header=BB532_902 Depth=2
	s_wait_alu 0xfffe
	s_or_b32 exec_lo, exec_lo, s1
	v_cmp_gt_u32_e32 vcc_lo, s0, v61
	s_and_saveexec_b32 s0, vcc_lo
	s_cbranch_execz .LBB532_901
	s_branch .LBB532_954
.LBB532_939:                            ;   in Loop: Header=BB532_902 Depth=2
	v_xor_b32_e32 v19, 0x7fffffff, v18
	s_delay_alu instid0(VALU_DEP_1) | instskip(NEXT) | instid1(VALU_DEP_1)
	v_lshrrev_b32_e32 v19, s49, v19
	v_and_b32_e32 v19, s48, v19
	s_delay_alu instid0(VALU_DEP_1) | instskip(SKIP_2) | instid1(SALU_CYCLE_1)
	v_lshl_or_b32 v19, v19, 4, v62
	ds_add_u32 v19, v84
	s_or_b32 exec_lo, exec_lo, s1
	s_mov_b32 s1, exec_lo
	v_cmpx_gt_u32_e64 s0, v45
	s_cbranch_execz .LBB532_925
.LBB532_940:                            ;   in Loop: Header=BB532_902 Depth=2
	v_xor_b32_e32 v19, 0x7fffffff, v17
	s_delay_alu instid0(VALU_DEP_1) | instskip(NEXT) | instid1(VALU_DEP_1)
	v_lshrrev_b32_e32 v19, s49, v19
	v_and_b32_e32 v19, s48, v19
	s_delay_alu instid0(VALU_DEP_1) | instskip(SKIP_3) | instid1(SALU_CYCLE_1)
	v_lshl_or_b32 v19, v19, 4, v62
	ds_add_u32 v19, v84
	s_wait_alu 0xfffe
	s_or_b32 exec_lo, exec_lo, s1
	s_mov_b32 s1, exec_lo
	v_cmpx_gt_u32_e64 s0, v46
	s_cbranch_execz .LBB532_926
.LBB532_941:                            ;   in Loop: Header=BB532_902 Depth=2
	v_xor_b32_e32 v19, 0x7fffffff, v16
	s_delay_alu instid0(VALU_DEP_1) | instskip(NEXT) | instid1(VALU_DEP_1)
	v_lshrrev_b32_e32 v19, s49, v19
	v_and_b32_e32 v19, s48, v19
	s_delay_alu instid0(VALU_DEP_1) | instskip(SKIP_3) | instid1(SALU_CYCLE_1)
	v_lshl_or_b32 v19, v19, 4, v62
	ds_add_u32 v19, v84
	s_wait_alu 0xfffe
	s_or_b32 exec_lo, exec_lo, s1
	s_mov_b32 s1, exec_lo
	v_cmpx_gt_u32_e64 s0, v47
	s_cbranch_execz .LBB532_927
.LBB532_942:                            ;   in Loop: Header=BB532_902 Depth=2
	v_xor_b32_e32 v19, 0x7fffffff, v15
	s_delay_alu instid0(VALU_DEP_1) | instskip(NEXT) | instid1(VALU_DEP_1)
	v_lshrrev_b32_e32 v19, s49, v19
	v_and_b32_e32 v19, s48, v19
	s_delay_alu instid0(VALU_DEP_1) | instskip(SKIP_3) | instid1(SALU_CYCLE_1)
	v_lshl_or_b32 v19, v19, 4, v62
	ds_add_u32 v19, v84
	s_wait_alu 0xfffe
	s_or_b32 exec_lo, exec_lo, s1
	s_mov_b32 s1, exec_lo
	v_cmpx_gt_u32_e64 s0, v50
	s_cbranch_execz .LBB532_928
.LBB532_943:                            ;   in Loop: Header=BB532_902 Depth=2
	v_xor_b32_e32 v19, 0x7fffffff, v14
	s_delay_alu instid0(VALU_DEP_1) | instskip(NEXT) | instid1(VALU_DEP_1)
	v_lshrrev_b32_e32 v19, s49, v19
	v_and_b32_e32 v19, s48, v19
	s_delay_alu instid0(VALU_DEP_1) | instskip(SKIP_3) | instid1(SALU_CYCLE_1)
	v_lshl_or_b32 v19, v19, 4, v62
	ds_add_u32 v19, v84
	s_wait_alu 0xfffe
	s_or_b32 exec_lo, exec_lo, s1
	s_mov_b32 s1, exec_lo
	v_cmpx_gt_u32_e64 s0, v51
	s_cbranch_execz .LBB532_929
.LBB532_944:                            ;   in Loop: Header=BB532_902 Depth=2
	v_xor_b32_e32 v19, 0x7fffffff, v13
	s_delay_alu instid0(VALU_DEP_1) | instskip(NEXT) | instid1(VALU_DEP_1)
	v_lshrrev_b32_e32 v19, s49, v19
	v_and_b32_e32 v19, s48, v19
	s_delay_alu instid0(VALU_DEP_1) | instskip(SKIP_3) | instid1(SALU_CYCLE_1)
	v_lshl_or_b32 v19, v19, 4, v62
	ds_add_u32 v19, v84
	s_wait_alu 0xfffe
	s_or_b32 exec_lo, exec_lo, s1
	s_mov_b32 s1, exec_lo
	v_cmpx_gt_u32_e64 s0, v52
	s_cbranch_execz .LBB532_930
.LBB532_945:                            ;   in Loop: Header=BB532_902 Depth=2
	v_xor_b32_e32 v19, 0x7fffffff, v12
	s_delay_alu instid0(VALU_DEP_1) | instskip(NEXT) | instid1(VALU_DEP_1)
	v_lshrrev_b32_e32 v19, s49, v19
	v_and_b32_e32 v19, s48, v19
	s_delay_alu instid0(VALU_DEP_1) | instskip(SKIP_3) | instid1(SALU_CYCLE_1)
	v_lshl_or_b32 v19, v19, 4, v62
	ds_add_u32 v19, v84
	s_wait_alu 0xfffe
	s_or_b32 exec_lo, exec_lo, s1
	s_mov_b32 s1, exec_lo
	v_cmpx_gt_u32_e64 s0, v53
	s_cbranch_execz .LBB532_931
.LBB532_946:                            ;   in Loop: Header=BB532_902 Depth=2
	v_xor_b32_e32 v19, 0x7fffffff, v11
	s_delay_alu instid0(VALU_DEP_1) | instskip(NEXT) | instid1(VALU_DEP_1)
	v_lshrrev_b32_e32 v19, s49, v19
	v_and_b32_e32 v19, s48, v19
	s_delay_alu instid0(VALU_DEP_1) | instskip(SKIP_3) | instid1(SALU_CYCLE_1)
	v_lshl_or_b32 v19, v19, 4, v62
	ds_add_u32 v19, v84
	s_wait_alu 0xfffe
	s_or_b32 exec_lo, exec_lo, s1
	s_mov_b32 s1, exec_lo
	v_cmpx_gt_u32_e64 s0, v54
	s_cbranch_execz .LBB532_932
.LBB532_947:                            ;   in Loop: Header=BB532_902 Depth=2
	v_xor_b32_e32 v19, 0x7fffffff, v10
	s_delay_alu instid0(VALU_DEP_1) | instskip(NEXT) | instid1(VALU_DEP_1)
	v_lshrrev_b32_e32 v19, s49, v19
	v_and_b32_e32 v19, s48, v19
	s_delay_alu instid0(VALU_DEP_1) | instskip(SKIP_3) | instid1(SALU_CYCLE_1)
	v_lshl_or_b32 v19, v19, 4, v62
	ds_add_u32 v19, v84
	s_wait_alu 0xfffe
	s_or_b32 exec_lo, exec_lo, s1
	s_mov_b32 s1, exec_lo
	v_cmpx_gt_u32_e64 s0, v55
	s_cbranch_execz .LBB532_933
.LBB532_948:                            ;   in Loop: Header=BB532_902 Depth=2
	v_xor_b32_e32 v19, 0x7fffffff, v9
	s_delay_alu instid0(VALU_DEP_1) | instskip(NEXT) | instid1(VALU_DEP_1)
	v_lshrrev_b32_e32 v19, s49, v19
	v_and_b32_e32 v19, s48, v19
	s_delay_alu instid0(VALU_DEP_1) | instskip(SKIP_3) | instid1(SALU_CYCLE_1)
	v_lshl_or_b32 v19, v19, 4, v62
	ds_add_u32 v19, v84
	s_wait_alu 0xfffe
	s_or_b32 exec_lo, exec_lo, s1
	s_mov_b32 s1, exec_lo
	v_cmpx_gt_u32_e64 s0, v56
	s_cbranch_execz .LBB532_934
.LBB532_949:                            ;   in Loop: Header=BB532_902 Depth=2
	v_xor_b32_e32 v19, 0x7fffffff, v8
	s_delay_alu instid0(VALU_DEP_1) | instskip(NEXT) | instid1(VALU_DEP_1)
	v_lshrrev_b32_e32 v19, s49, v19
	v_and_b32_e32 v19, s48, v19
	s_delay_alu instid0(VALU_DEP_1) | instskip(SKIP_3) | instid1(SALU_CYCLE_1)
	v_lshl_or_b32 v19, v19, 4, v62
	ds_add_u32 v19, v84
	s_wait_alu 0xfffe
	s_or_b32 exec_lo, exec_lo, s1
	s_mov_b32 s1, exec_lo
	v_cmpx_gt_u32_e64 s0, v57
	s_cbranch_execz .LBB532_935
.LBB532_950:                            ;   in Loop: Header=BB532_902 Depth=2
	v_xor_b32_e32 v19, 0x7fffffff, v7
	s_delay_alu instid0(VALU_DEP_1) | instskip(NEXT) | instid1(VALU_DEP_1)
	v_lshrrev_b32_e32 v19, s49, v19
	v_and_b32_e32 v19, s48, v19
	s_delay_alu instid0(VALU_DEP_1) | instskip(SKIP_3) | instid1(SALU_CYCLE_1)
	v_lshl_or_b32 v19, v19, 4, v62
	ds_add_u32 v19, v84
	s_wait_alu 0xfffe
	s_or_b32 exec_lo, exec_lo, s1
	s_mov_b32 s1, exec_lo
	v_cmpx_gt_u32_e64 s0, v58
	s_cbranch_execz .LBB532_936
.LBB532_951:                            ;   in Loop: Header=BB532_902 Depth=2
	v_xor_b32_e32 v19, 0x7fffffff, v6
	s_delay_alu instid0(VALU_DEP_1) | instskip(NEXT) | instid1(VALU_DEP_1)
	v_lshrrev_b32_e32 v19, s49, v19
	v_and_b32_e32 v19, s48, v19
	s_delay_alu instid0(VALU_DEP_1) | instskip(SKIP_3) | instid1(SALU_CYCLE_1)
	v_lshl_or_b32 v19, v19, 4, v62
	ds_add_u32 v19, v84
	s_wait_alu 0xfffe
	s_or_b32 exec_lo, exec_lo, s1
	s_mov_b32 s1, exec_lo
	v_cmpx_gt_u32_e64 s0, v59
	s_cbranch_execz .LBB532_937
.LBB532_952:                            ;   in Loop: Header=BB532_902 Depth=2
	v_xor_b32_e32 v19, 0x7fffffff, v5
	s_delay_alu instid0(VALU_DEP_1) | instskip(NEXT) | instid1(VALU_DEP_1)
	v_lshrrev_b32_e32 v19, s49, v19
	v_and_b32_e32 v19, s48, v19
	s_delay_alu instid0(VALU_DEP_1) | instskip(SKIP_3) | instid1(SALU_CYCLE_1)
	v_lshl_or_b32 v19, v19, 4, v62
	ds_add_u32 v19, v84
	s_wait_alu 0xfffe
	s_or_b32 exec_lo, exec_lo, s1
	s_mov_b32 s1, exec_lo
	v_cmpx_gt_u32_e64 s0, v60
	s_cbranch_execz .LBB532_938
.LBB532_953:                            ;   in Loop: Header=BB532_902 Depth=2
	v_xor_b32_e32 v19, 0x7fffffff, v4
	s_delay_alu instid0(VALU_DEP_1) | instskip(NEXT) | instid1(VALU_DEP_1)
	v_lshrrev_b32_e32 v19, s49, v19
	v_and_b32_e32 v19, s48, v19
	s_delay_alu instid0(VALU_DEP_1)
	v_lshl_or_b32 v19, v19, 4, v62
	ds_add_u32 v19, v84
	s_wait_alu 0xfffe
	s_or_b32 exec_lo, exec_lo, s1
	v_cmp_gt_u32_e32 vcc_lo, s0, v61
	s_and_saveexec_b32 s0, vcc_lo
	s_cbranch_execz .LBB532_901
.LBB532_954:                            ;   in Loop: Header=BB532_902 Depth=2
	v_xor_b32_e32 v19, 0x7fffffff, v2
	s_delay_alu instid0(VALU_DEP_1) | instskip(NEXT) | instid1(VALU_DEP_1)
	v_lshrrev_b32_e32 v19, s49, v19
	v_and_b32_e32 v19, s48, v19
	s_delay_alu instid0(VALU_DEP_1)
	v_lshl_or_b32 v19, v19, 4, v62
	ds_add_u32 v19, v84
	s_branch .LBB532_901
.LBB532_955:                            ;   in Loop: Header=BB532_902 Depth=2
	global_load_b32 v18, v108, s[0:1]
	s_or_b32 exec_lo, exec_lo, s11
	s_delay_alu instid0(SALU_CYCLE_1)
	s_mov_b32 s11, exec_lo
	v_cmpx_gt_u32_e64 s9, v45
	s_cbranch_execz .LBB532_907
.LBB532_956:                            ;   in Loop: Header=BB532_902 Depth=2
	global_load_b32 v17, v108, s[0:1] offset:1024
	s_wait_alu 0xfffe
	s_or_b32 exec_lo, exec_lo, s11
	s_delay_alu instid0(SALU_CYCLE_1)
	s_mov_b32 s11, exec_lo
	v_cmpx_gt_u32_e64 s9, v46
	s_cbranch_execz .LBB532_908
.LBB532_957:                            ;   in Loop: Header=BB532_902 Depth=2
	global_load_b32 v16, v108, s[0:1] offset:2048
	s_wait_alu 0xfffe
	s_or_b32 exec_lo, exec_lo, s11
	s_delay_alu instid0(SALU_CYCLE_1)
	s_mov_b32 s11, exec_lo
	v_cmpx_gt_u32_e64 s9, v47
	s_cbranch_execz .LBB532_909
.LBB532_958:                            ;   in Loop: Header=BB532_902 Depth=2
	global_load_b32 v15, v108, s[0:1] offset:3072
	s_wait_alu 0xfffe
	s_or_b32 exec_lo, exec_lo, s11
	s_delay_alu instid0(SALU_CYCLE_1)
	s_mov_b32 s11, exec_lo
	v_cmpx_gt_u32_e64 s9, v50
	s_cbranch_execz .LBB532_910
.LBB532_959:                            ;   in Loop: Header=BB532_902 Depth=2
	global_load_b32 v14, v108, s[0:1] offset:4096
	s_wait_alu 0xfffe
	s_or_b32 exec_lo, exec_lo, s11
	s_delay_alu instid0(SALU_CYCLE_1)
	s_mov_b32 s11, exec_lo
	v_cmpx_gt_u32_e64 s9, v51
	s_cbranch_execz .LBB532_911
.LBB532_960:                            ;   in Loop: Header=BB532_902 Depth=2
	global_load_b32 v13, v108, s[0:1] offset:5120
	s_wait_alu 0xfffe
	s_or_b32 exec_lo, exec_lo, s11
	s_delay_alu instid0(SALU_CYCLE_1)
	s_mov_b32 s11, exec_lo
	v_cmpx_gt_u32_e64 s9, v52
	s_cbranch_execz .LBB532_912
.LBB532_961:                            ;   in Loop: Header=BB532_902 Depth=2
	global_load_b32 v12, v108, s[0:1] offset:6144
	s_wait_alu 0xfffe
	s_or_b32 exec_lo, exec_lo, s11
	s_delay_alu instid0(SALU_CYCLE_1)
	s_mov_b32 s11, exec_lo
	v_cmpx_gt_u32_e64 s9, v53
	s_cbranch_execz .LBB532_913
.LBB532_962:                            ;   in Loop: Header=BB532_902 Depth=2
	global_load_b32 v11, v108, s[0:1] offset:7168
	s_wait_alu 0xfffe
	s_or_b32 exec_lo, exec_lo, s11
	s_delay_alu instid0(SALU_CYCLE_1)
	s_mov_b32 s11, exec_lo
	v_cmpx_gt_u32_e64 s9, v54
	s_cbranch_execz .LBB532_914
.LBB532_963:                            ;   in Loop: Header=BB532_902 Depth=2
	global_load_b32 v10, v108, s[0:1] offset:8192
	s_wait_alu 0xfffe
	s_or_b32 exec_lo, exec_lo, s11
	s_delay_alu instid0(SALU_CYCLE_1)
	s_mov_b32 s11, exec_lo
	v_cmpx_gt_u32_e64 s9, v55
	s_cbranch_execz .LBB532_915
.LBB532_964:                            ;   in Loop: Header=BB532_902 Depth=2
	global_load_b32 v9, v108, s[0:1] offset:9216
	s_wait_alu 0xfffe
	s_or_b32 exec_lo, exec_lo, s11
	s_delay_alu instid0(SALU_CYCLE_1)
	s_mov_b32 s11, exec_lo
	v_cmpx_gt_u32_e64 s9, v56
	s_cbranch_execz .LBB532_916
.LBB532_965:                            ;   in Loop: Header=BB532_902 Depth=2
	global_load_b32 v8, v108, s[0:1] offset:10240
	s_wait_alu 0xfffe
	s_or_b32 exec_lo, exec_lo, s11
	s_delay_alu instid0(SALU_CYCLE_1)
	s_mov_b32 s11, exec_lo
	v_cmpx_gt_u32_e64 s9, v57
	s_cbranch_execz .LBB532_917
.LBB532_966:                            ;   in Loop: Header=BB532_902 Depth=2
	global_load_b32 v7, v108, s[0:1] offset:11264
	s_wait_alu 0xfffe
	s_or_b32 exec_lo, exec_lo, s11
	s_delay_alu instid0(SALU_CYCLE_1)
	s_mov_b32 s11, exec_lo
	v_cmpx_gt_u32_e64 s9, v58
	s_cbranch_execz .LBB532_918
.LBB532_967:                            ;   in Loop: Header=BB532_902 Depth=2
	global_load_b32 v6, v108, s[0:1] offset:12288
	s_wait_alu 0xfffe
	s_or_b32 exec_lo, exec_lo, s11
	s_delay_alu instid0(SALU_CYCLE_1)
	s_mov_b32 s11, exec_lo
	v_cmpx_gt_u32_e64 s9, v59
	s_cbranch_execz .LBB532_919
.LBB532_968:                            ;   in Loop: Header=BB532_902 Depth=2
	global_load_b32 v5, v108, s[0:1] offset:13312
	s_wait_alu 0xfffe
	s_or_b32 exec_lo, exec_lo, s11
	s_delay_alu instid0(SALU_CYCLE_1)
	s_mov_b32 s11, exec_lo
	v_cmpx_gt_u32_e64 s9, v60
	s_cbranch_execz .LBB532_920
.LBB532_969:                            ;   in Loop: Header=BB532_902 Depth=2
	global_load_b32 v4, v108, s[0:1] offset:14336
	s_wait_alu 0xfffe
	s_or_b32 exec_lo, exec_lo, s11
	s_delay_alu instid0(SALU_CYCLE_1)
	s_mov_b32 s11, exec_lo
	v_cmpx_gt_u32_e64 s9, v61
	s_cbranch_execnz .LBB532_921
	s_branch .LBB532_922
.LBB532_970:                            ;   in Loop: Header=BB532_20 Depth=1
	v_mov_b32_e32 v2, 0
	s_wait_dscnt 0x0
	s_barrier_signal -1
	s_barrier_wait -1
	global_inv scope:SCOPE_SE
	s_and_saveexec_b32 s0, s2
	s_cbranch_execz .LBB532_972
; %bb.971:                              ;   in Loop: Header=BB532_20 Depth=1
	ds_load_2addr_b64 v[4:7], v64 offset1:1
	s_wait_dscnt 0x0
	v_add_nc_u32_e32 v2, v5, v4
	s_delay_alu instid0(VALU_DEP_1)
	v_add3_u32 v2, v2, v6, v7
.LBB532_972:                            ;   in Loop: Header=BB532_20 Depth=1
	s_wait_alu 0xfffe
	s_or_b32 exec_lo, exec_lo, s0
	s_delay_alu instid0(VALU_DEP_1)
	v_mov_b32_dpp v4, v2 row_shr:1 row_mask:0xf bank_mask:0xf
	v_cmp_eq_u32_e64 s0, 0, v85
	v_cmp_lt_u32_e64 s1, 1, v85
	v_cmp_lt_u32_e64 s9, 3, v85
	;; [unrolled: 1-line block ×3, first 2 shown]
	v_cmp_eq_u32_e64 s11, 0, v87
	s_wait_alu 0xf1ff
	v_cndmask_b32_e64 v4, v4, 0, s0
	s_delay_alu instid0(VALU_DEP_1) | instskip(NEXT) | instid1(VALU_DEP_1)
	v_add_nc_u32_e32 v2, v4, v2
	v_mov_b32_dpp v4, v2 row_shr:2 row_mask:0xf bank_mask:0xf
	s_delay_alu instid0(VALU_DEP_1) | instskip(NEXT) | instid1(VALU_DEP_1)
	v_cndmask_b32_e64 v4, 0, v4, s1
	v_add_nc_u32_e32 v2, v2, v4
	s_delay_alu instid0(VALU_DEP_1) | instskip(NEXT) | instid1(VALU_DEP_1)
	v_mov_b32_dpp v4, v2 row_shr:4 row_mask:0xf bank_mask:0xf
	v_cndmask_b32_e64 v4, 0, v4, s9
	s_delay_alu instid0(VALU_DEP_1) | instskip(NEXT) | instid1(VALU_DEP_1)
	v_add_nc_u32_e32 v2, v2, v4
	v_mov_b32_dpp v4, v2 row_shr:8 row_mask:0xf bank_mask:0xf
	s_delay_alu instid0(VALU_DEP_1) | instskip(NEXT) | instid1(VALU_DEP_1)
	v_cndmask_b32_e64 v4, 0, v4, s10
	v_add_nc_u32_e32 v2, v2, v4
	ds_swizzle_b32 v4, v2 offset:swizzle(BROADCAST,32,15)
	s_wait_dscnt 0x0
	v_and_b32_e32 v4, v86, v4
	s_delay_alu instid0(VALU_DEP_1)
	v_add_nc_u32_e32 v2, v2, v4
	s_and_saveexec_b32 s12, s3
; %bb.973:                              ;   in Loop: Header=BB532_20 Depth=1
	ds_store_b32 v65, v2
; %bb.974:                              ;   in Loop: Header=BB532_20 Depth=1
	s_wait_alu 0xfffe
	s_or_b32 exec_lo, exec_lo, s12
	s_wait_loadcnt_dscnt 0x0
	s_barrier_signal -1
	s_barrier_wait -1
	global_inv scope:SCOPE_SE
	s_and_saveexec_b32 s12, s4
	s_cbranch_execz .LBB532_976
; %bb.975:                              ;   in Loop: Header=BB532_20 Depth=1
	ds_load_b32 v4, v66
	v_cmp_ne_u32_e32 vcc_lo, 0, v89
	s_wait_dscnt 0x0
	v_mov_b32_dpp v5, v4 row_shr:1 row_mask:0xf bank_mask:0xf
	s_wait_alu 0xfffd
	s_delay_alu instid0(VALU_DEP_1) | instskip(SKIP_1) | instid1(VALU_DEP_2)
	v_cndmask_b32_e32 v5, 0, v5, vcc_lo
	v_cmp_lt_u32_e32 vcc_lo, 1, v89
	v_add_nc_u32_e32 v4, v5, v4
	s_delay_alu instid0(VALU_DEP_1) | instskip(SKIP_1) | instid1(VALU_DEP_1)
	v_mov_b32_dpp v5, v4 row_shr:2 row_mask:0xf bank_mask:0xf
	s_wait_alu 0xfffd
	v_cndmask_b32_e32 v5, 0, v5, vcc_lo
	v_cmp_lt_u32_e32 vcc_lo, 3, v89
	s_delay_alu instid0(VALU_DEP_2) | instskip(NEXT) | instid1(VALU_DEP_1)
	v_add_nc_u32_e32 v4, v4, v5
	v_mov_b32_dpp v5, v4 row_shr:4 row_mask:0xf bank_mask:0xf
	s_wait_alu 0xfffd
	s_delay_alu instid0(VALU_DEP_1) | instskip(NEXT) | instid1(VALU_DEP_1)
	v_cndmask_b32_e32 v5, 0, v5, vcc_lo
	v_add_nc_u32_e32 v4, v4, v5
	ds_store_b32 v66, v4
.LBB532_976:                            ;   in Loop: Header=BB532_20 Depth=1
	s_wait_alu 0xfffe
	s_or_b32 exec_lo, exec_lo, s12
	v_mov_b32_e32 v4, 0
	s_wait_loadcnt_dscnt 0x0
	s_barrier_signal -1
	s_barrier_wait -1
	global_inv scope:SCOPE_SE
	s_and_saveexec_b32 s12, s5
; %bb.977:                              ;   in Loop: Header=BB532_20 Depth=1
	ds_load_b32 v4, v68
; %bb.978:                              ;   in Loop: Header=BB532_20 Depth=1
	s_wait_alu 0xfffe
	s_or_b32 exec_lo, exec_lo, s12
	v_cmp_gt_i32_e32 vcc_lo, 0, v90
	s_wait_loadcnt_dscnt 0x0
	s_barrier_signal -1
	s_barrier_wait -1
	global_inv scope:SCOPE_SE
	s_wait_alu 0xfffd
	v_dual_cndmask_b32 v5, v90, v81 :: v_dual_add_nc_u32 v2, v4, v2
	s_delay_alu instid0(VALU_DEP_1)
	v_lshlrev_b32_e32 v113, 2, v5
	ds_bpermute_b32 v2, v113, v2
	s_and_saveexec_b32 s12, s2
	s_cbranch_execz .LBB532_980
; %bb.979:                              ;   in Loop: Header=BB532_20 Depth=1
	s_wait_dscnt 0x0
	v_cndmask_b32_e64 v2, v2, v4, s8
	s_delay_alu instid0(VALU_DEP_1)
	v_add_nc_u32_e32 v2, s33, v2
	ds_store_b32 v44, v2
.LBB532_980:                            ;   in Loop: Header=BB532_20 Depth=1
	s_wait_alu 0xfffe
	s_or_b32 exec_lo, exec_lo, s12
	s_load_b64 s[12:13], s[34:35], 0x0
	v_add_co_u32 v114, vcc_lo, v79, v91
	s_wait_alu 0xfffd
	v_add_co_ci_u32_e64 v115, null, 0, v80, vcc_lo
	v_add_co_u32 v116, vcc_lo, v82, v107
	s_wait_alu 0xfffd
	v_add_co_ci_u32_e64 v117, null, 0, v83, vcc_lo
	s_mov_b32 s54, s53
                                        ; implicit-def: $vgpr6_vgpr7
                                        ; implicit-def: $vgpr8_vgpr9
                                        ; implicit-def: $vgpr10_vgpr11
                                        ; implicit-def: $vgpr12_vgpr13
                                        ; implicit-def: $vgpr14_vgpr15
                                        ; implicit-def: $vgpr16_vgpr17
                                        ; implicit-def: $vgpr18_vgpr19
                                        ; implicit-def: $vgpr20_vgpr21
                                        ; implicit-def: $vgpr22_vgpr23
                                        ; implicit-def: $vgpr24_vgpr25
                                        ; implicit-def: $vgpr26_vgpr27
                                        ; implicit-def: $vgpr28_vgpr29
                                        ; implicit-def: $vgpr30_vgpr31
                                        ; implicit-def: $vgpr32_vgpr33
                                        ; implicit-def: $vgpr34_vgpr35
                                        ; implicit-def: $vgpr119
                                        ; implicit-def: $vgpr120
                                        ; implicit-def: $vgpr121
                                        ; implicit-def: $vgpr122
                                        ; implicit-def: $vgpr123
                                        ; implicit-def: $vgpr124
                                        ; implicit-def: $vgpr125
                                        ; implicit-def: $vgpr126
                                        ; implicit-def: $vgpr127
                                        ; implicit-def: $vgpr128
                                        ; implicit-def: $vgpr129
                                        ; implicit-def: $vgpr130
                                        ; implicit-def: $vgpr131
                                        ; implicit-def: $vgpr132
                                        ; implicit-def: $vgpr133
                                        ; implicit-def: $vgpr134
	s_wait_kmcnt 0x0
	s_cmp_lt_u32 ttmp7, s13
	s_cselect_b32 s42, 14, 20
	s_cmp_lt_u32 ttmp9, s12
	s_wait_alu 0xfffe
	s_add_nc_u64 s[14:15], s[34:35], s[42:43]
	s_cselect_b32 s42, 12, 18
	s_load_u16 s14, s[14:15], 0x0
	s_add_nc_u64 s[12:13], s[34:35], s[42:43]
	s_mov_b32 s42, s33
	s_load_u16 s12, s[12:13], 0x0
	v_cmp_lt_u32_e64 s13, 1, v89
	s_wait_dscnt 0x0
	s_wait_kmcnt 0x0
	v_mad_u32_u24 v2, v69, s14, v0
	v_cmp_lt_u32_e64 s14, 3, v89
	s_delay_alu instid0(VALU_DEP_2) | instskip(SKIP_1) | instid1(VALU_DEP_2)
	v_mad_co_u64_u32 v[4:5], null, v2, s12, v[1:2]
	v_cmp_eq_u32_e64 s12, 0, v89
	v_lshrrev_b32_e32 v2, 3, v4
                                        ; implicit-def: $vgpr4_vgpr5
	s_delay_alu instid0(VALU_DEP_1)
	v_and_b32_e32 v118, 0x1ffffffc, v2
	s_branch .LBB532_982
.LBB532_981:                            ;   in Loop: Header=BB532_982 Depth=2
	s_wait_alu 0xfffe
	s_or_b32 exec_lo, exec_lo, s15
	s_addk_co_i32 s54, 0xf000
	s_cmp_lt_u32 s55, s51
	s_mov_b32 s42, s55
	s_cbranch_scc0 .LBB532_18
.LBB532_982:                            ;   Parent Loop BB532_20 Depth=1
                                        ; =>  This Inner Loop Header: Depth=2
	s_wait_alu 0xfffe
	s_add_co_i32 s55, s42, 0x1000
	s_wait_alu 0xfffe
	s_cmp_gt_u32 s55, s51
	s_cbranch_scc1 .LBB532_984
; %bb.983:                              ;   in Loop: Header=BB532_982 Depth=2
	s_lshl_b64 s[16:17], s[42:43], 2
	s_mov_b32 s15, -1
	s_wait_alu 0xfffe
	v_add_co_u32 v36, vcc_lo, v116, s16
	s_wait_alu 0xfffd
	v_add_co_ci_u32_e64 v37, null, s17, v117, vcc_lo
	s_clause 0xe
	global_load_b32 v136, v[36:37], off
	global_load_b32 v137, v[36:37], off offset:128
	global_load_b32 v144, v[36:37], off offset:256
	;; [unrolled: 1-line block ×14, first 2 shown]
	s_movk_i32 s16, 0x1000
	s_cbranch_execz .LBB532_985
	s_branch .LBB532_1016
.LBB532_984:                            ;   in Loop: Header=BB532_982 Depth=2
	s_mov_b32 s15, 0
                                        ; implicit-def: $vgpr136
                                        ; implicit-def: $vgpr137
                                        ; implicit-def: $vgpr144
                                        ; implicit-def: $vgpr148
                                        ; implicit-def: $vgpr152
                                        ; implicit-def: $vgpr156
                                        ; implicit-def: $vgpr160
                                        ; implicit-def: $vgpr164
                                        ; implicit-def: $vgpr167
                                        ; implicit-def: $vgpr43
                                        ; implicit-def: $vgpr42
                                        ; implicit-def: $vgpr41
                                        ; implicit-def: $vgpr40
                                        ; implicit-def: $vgpr39
                                        ; implicit-def: $vgpr38
	s_movk_i32 s16, 0x1000
.LBB532_985:                            ;   in Loop: Header=BB532_982 Depth=2
	s_lshl_b64 s[16:17], s[42:43], 2
	s_wait_loadcnt 0xd
	v_bfrev_b32_e32 v137, 1
	s_wait_alu 0xfffe
	v_add_co_u32 v36, vcc_lo, v116, s16
	s_wait_alu 0xfffd
	v_add_co_ci_u32_e64 v37, null, s17, v117, vcc_lo
	v_bfrev_b32_e32 v136, 1
	s_mov_b32 s15, exec_lo
	v_cmpx_gt_u32_e64 s54, v88
	s_cbranch_execz .LBB532_987
; %bb.986:                              ;   in Loop: Header=BB532_982 Depth=2
	global_load_b32 v136, v[36:37], off
.LBB532_987:                            ;   in Loop: Header=BB532_982 Depth=2
	s_wait_alu 0xfffe
	s_or_b32 exec_lo, exec_lo, s15
	s_delay_alu instid0(SALU_CYCLE_1)
	s_mov_b32 s15, exec_lo
	v_cmpx_gt_u32_e64 s54, v92
	s_cbranch_execz .LBB532_989
; %bb.988:                              ;   in Loop: Header=BB532_982 Depth=2
	global_load_b32 v137, v[36:37], off offset:128
.LBB532_989:                            ;   in Loop: Header=BB532_982 Depth=2
	s_wait_alu 0xfffe
	s_or_b32 exec_lo, exec_lo, s15
	s_wait_loadcnt 0xb
	v_bfrev_b32_e32 v148, 1
	v_bfrev_b32_e32 v144, 1
	s_mov_b32 s15, exec_lo
	v_cmpx_gt_u32_e64 s54, v93
	s_cbranch_execz .LBB532_991
; %bb.990:                              ;   in Loop: Header=BB532_982 Depth=2
	global_load_b32 v144, v[36:37], off offset:256
.LBB532_991:                            ;   in Loop: Header=BB532_982 Depth=2
	s_wait_alu 0xfffe
	s_or_b32 exec_lo, exec_lo, s15
	s_delay_alu instid0(SALU_CYCLE_1)
	s_mov_b32 s15, exec_lo
	v_cmpx_gt_u32_e64 s54, v94
	s_cbranch_execz .LBB532_993
; %bb.992:                              ;   in Loop: Header=BB532_982 Depth=2
	global_load_b32 v148, v[36:37], off offset:384
.LBB532_993:                            ;   in Loop: Header=BB532_982 Depth=2
	s_wait_alu 0xfffe
	s_or_b32 exec_lo, exec_lo, s15
	s_wait_loadcnt 0x9
	v_bfrev_b32_e32 v156, 1
	v_bfrev_b32_e32 v152, 1
	s_mov_b32 s15, exec_lo
	v_cmpx_gt_u32_e64 s54, v95
	s_cbranch_execz .LBB532_995
; %bb.994:                              ;   in Loop: Header=BB532_982 Depth=2
	global_load_b32 v152, v[36:37], off offset:512
.LBB532_995:                            ;   in Loop: Header=BB532_982 Depth=2
	;; [unrolled: 20-line block ×3, first 2 shown]
	s_wait_alu 0xfffe
	s_or_b32 exec_lo, exec_lo, s15
	s_delay_alu instid0(SALU_CYCLE_1)
	s_mov_b32 s15, exec_lo
	v_cmpx_gt_u32_e64 s54, v98
	s_cbranch_execz .LBB532_1001
; %bb.1000:                             ;   in Loop: Header=BB532_982 Depth=2
	global_load_b32 v164, v[36:37], off offset:896
.LBB532_1001:                           ;   in Loop: Header=BB532_982 Depth=2
	s_wait_alu 0xfffe
	s_or_b32 exec_lo, exec_lo, s15
	s_wait_loadcnt 0x5
	v_bfrev_b32_e32 v43, 1
	v_bfrev_b32_e32 v167, 1
	s_mov_b32 s15, exec_lo
	v_cmpx_gt_u32_e64 s54, v99
	s_cbranch_execz .LBB532_1003
; %bb.1002:                             ;   in Loop: Header=BB532_982 Depth=2
	global_load_b32 v167, v[36:37], off offset:1024
.LBB532_1003:                           ;   in Loop: Header=BB532_982 Depth=2
	s_wait_alu 0xfffe
	s_or_b32 exec_lo, exec_lo, s15
	s_delay_alu instid0(SALU_CYCLE_1)
	s_mov_b32 s15, exec_lo
	v_cmpx_gt_u32_e64 s54, v100
	s_cbranch_execz .LBB532_1005
; %bb.1004:                             ;   in Loop: Header=BB532_982 Depth=2
	global_load_b32 v43, v[36:37], off offset:1152
.LBB532_1005:                           ;   in Loop: Header=BB532_982 Depth=2
	s_wait_alu 0xfffe
	s_or_b32 exec_lo, exec_lo, s15
	s_wait_loadcnt 0x3
	v_bfrev_b32_e32 v41, 1
	v_bfrev_b32_e32 v42, 1
	s_mov_b32 s15, exec_lo
	v_cmpx_gt_u32_e64 s54, v101
	s_cbranch_execz .LBB532_1007
; %bb.1006:                             ;   in Loop: Header=BB532_982 Depth=2
	global_load_b32 v42, v[36:37], off offset:1280
.LBB532_1007:                           ;   in Loop: Header=BB532_982 Depth=2
	;; [unrolled: 20-line block ×3, first 2 shown]
	s_wait_alu 0xfffe
	s_or_b32 exec_lo, exec_lo, s15
	s_delay_alu instid0(SALU_CYCLE_1)
	s_mov_b32 s15, exec_lo
	v_cmpx_gt_u32_e64 s54, v104
	s_cbranch_execz .LBB532_1013
; %bb.1012:                             ;   in Loop: Header=BB532_982 Depth=2
	global_load_b32 v39, v[36:37], off offset:1664
.LBB532_1013:                           ;   in Loop: Header=BB532_982 Depth=2
	s_wait_alu 0xfffe
	s_or_b32 exec_lo, exec_lo, s15
	s_wait_loadcnt 0x0
	v_bfrev_b32_e32 v38, 1
	s_mov_b32 s15, exec_lo
	v_cmpx_gt_u32_e64 s54, v105
	s_cbranch_execz .LBB532_1015
; %bb.1014:                             ;   in Loop: Header=BB532_982 Depth=2
	global_load_b32 v38, v[36:37], off offset:1792
.LBB532_1015:                           ;   in Loop: Header=BB532_982 Depth=2
	s_wait_alu 0xfffe
	s_or_b32 exec_lo, exec_lo, s15
	v_cmp_gt_u32_e64 s15, s54, v106
	s_sub_co_i32 s16, s51, s42
.LBB532_1016:                           ;   in Loop: Header=BB532_982 Depth=2
	v_dual_mov_b32 v2, -1 :: v_dual_mov_b32 v135, s54
	s_and_saveexec_b32 s17, s15
	s_cbranch_execz .LBB532_1018
; %bb.1017:                             ;   in Loop: Header=BB532_982 Depth=2
	s_lshl_b64 s[18:19], s[42:43], 2
	s_wait_alu 0xfffe
	v_mov_b32_e32 v135, s16
	v_add_co_u32 v36, vcc_lo, v116, s18
	s_wait_alu 0xfffd
	v_add_co_ci_u32_e64 v37, null, s19, v117, vcc_lo
	global_load_b32 v2, v[36:37], off offset:1920
	s_wait_loadcnt 0x0
	v_xor_b32_e32 v2, 0x7fffffff, v2
.LBB532_1018:                           ;   in Loop: Header=BB532_982 Depth=2
	s_wait_alu 0xfffe
	s_or_b32 exec_lo, exec_lo, s17
	s_wait_loadcnt 0xe
	v_xor_b32_e32 v136, 0x7fffffff, v136
	s_delay_alu instid0(VALU_DEP_1) | instskip(NEXT) | instid1(VALU_DEP_1)
	v_lshrrev_b32_e32 v36, s49, v136
	v_and_b32_e32 v37, s48, v36
	s_delay_alu instid0(VALU_DEP_1)
	v_and_b32_e32 v36, 1, v37
	v_lshlrev_b32_e32 v138, 30, v37
	v_lshlrev_b32_e32 v139, 29, v37
	;; [unrolled: 1-line block ×4, first 2 shown]
	v_add_co_u32 v36, s15, v36, -1
	s_wait_alu 0xf1ff
	v_cndmask_b32_e64 v141, 0, 1, s15
	v_not_b32_e32 v146, v138
	v_cmp_gt_i32_e64 s15, 0, v138
	v_not_b32_e32 v138, v139
	v_lshlrev_b32_e32 v143, 26, v37
	v_cmp_ne_u32_e32 vcc_lo, 0, v141
	v_ashrrev_i32_e32 v146, 31, v146
	v_lshlrev_b32_e32 v145, 25, v37
	v_ashrrev_i32_e32 v138, 31, v138
	v_lshlrev_b32_e32 v141, 24, v37
	s_wait_alu 0xfffd
	v_xor_b32_e32 v36, vcc_lo, v36
	v_cmp_gt_i32_e32 vcc_lo, 0, v139
	v_not_b32_e32 v139, v140
	s_wait_alu 0xf1ff
	v_xor_b32_e32 v146, s15, v146
	v_cmp_gt_i32_e64 s15, 0, v140
	v_and_b32_e32 v36, exec_lo, v36
	v_not_b32_e32 v140, v142
	v_ashrrev_i32_e32 v139, 31, v139
	s_wait_alu 0xfffd
	v_xor_b32_e32 v138, vcc_lo, v138
	v_cmp_gt_i32_e32 vcc_lo, 0, v142
	v_and_b32_e32 v36, v36, v146
	v_not_b32_e32 v142, v143
	v_ashrrev_i32_e32 v140, 31, v140
	s_wait_alu 0xf1ff
	v_xor_b32_e32 v139, s15, v139
	v_cmp_gt_i32_e64 s15, 0, v143
	v_and_b32_e32 v36, v36, v138
	v_not_b32_e32 v138, v145
	v_ashrrev_i32_e32 v142, 31, v142
	s_wait_alu 0xfffd
	v_xor_b32_e32 v140, vcc_lo, v140
	v_cmp_gt_i32_e32 vcc_lo, 0, v145
	v_and_b32_e32 v36, v36, v139
	v_not_b32_e32 v139, v141
	v_ashrrev_i32_e32 v138, 31, v138
	s_wait_alu 0xf1ff
	v_xor_b32_e32 v142, s15, v142
	v_cmp_gt_i32_e64 s15, 0, v141
	v_and_b32_e32 v36, v36, v140
	v_ashrrev_i32_e32 v139, 31, v139
	s_wait_alu 0xfffd
	v_xor_b32_e32 v138, vcc_lo, v138
	v_mul_u32_u24_e32 v37, 36, v37
	v_add_nc_u32_e32 v141, 0x428, v67
	v_and_b32_e32 v36, v36, v142
	s_wait_alu 0xf1ff
	v_xor_b32_e32 v140, s15, v139
	v_add_nc_u32_e32 v139, 0x438, v67
	v_add_nc_u32_e32 v142, 0x430, v67
	;; [unrolled: 1-line block ×3, first 2 shown]
	v_and_b32_e32 v36, v36, v138
	ds_store_2addr_b32 v139, v3, v3 offset1:1
	v_and_b32_e32 v36, v36, v140
	v_add_nc_u32_e32 v140, 0x420, v67
	ds_store_2addr_b32 v140, v3, v3 offset1:1
	ds_store_2addr_b32 v141, v3, v3 offset1:1
	;; [unrolled: 1-line block ×3, first 2 shown]
	ds_store_b32 v67, v3 offset:1088
	v_mbcnt_lo_u32_b32 v138, v36, 0
	v_cmp_ne_u32_e64 s15, 0, v36
	s_wait_loadcnt_dscnt 0x0
	s_barrier_signal -1
	s_barrier_wait -1
	v_cmp_eq_u32_e32 vcc_lo, 0, v138
	global_inv scope:SCOPE_SE
	; wave barrier
	s_and_b32 s16, s15, vcc_lo
	s_wait_alu 0xfffe
	s_and_saveexec_b32 s15, s16
; %bb.1019:                             ;   in Loop: Header=BB532_982 Depth=2
	v_bcnt_u32_b32 v36, v36, 0
	ds_store_b32 v143, v36 offset:1056
; %bb.1020:                             ;   in Loop: Header=BB532_982 Depth=2
	s_wait_alu 0xfffe
	s_or_b32 exec_lo, exec_lo, s15
	v_xor_b32_e32 v137, 0x7fffffff, v137
	; wave barrier
	s_delay_alu instid0(VALU_DEP_1) | instskip(NEXT) | instid1(VALU_DEP_1)
	v_lshrrev_b32_e32 v36, s49, v137
	v_and_b32_e32 v37, s48, v36
	s_delay_alu instid0(VALU_DEP_1)
	v_and_b32_e32 v36, 1, v37
	v_lshlrev_b32_e32 v145, 30, v37
	v_lshlrev_b32_e32 v146, 29, v37
	v_lshlrev_b32_e32 v147, 28, v37
	v_lshlrev_b32_e32 v150, 27, v37
	v_add_co_u32 v36, s15, v36, -1
	s_wait_alu 0xf1ff
	v_cndmask_b32_e64 v149, 0, 1, s15
	v_not_b32_e32 v154, v145
	v_cmp_gt_i32_e64 s15, 0, v145
	v_not_b32_e32 v145, v146
	v_lshlrev_b32_e32 v151, 26, v37
	v_cmp_ne_u32_e32 vcc_lo, 0, v149
	v_ashrrev_i32_e32 v154, 31, v154
	v_lshlrev_b32_e32 v153, 25, v37
	v_ashrrev_i32_e32 v145, 31, v145
	v_lshlrev_b32_e32 v149, 24, v37
	s_wait_alu 0xfffd
	v_xor_b32_e32 v36, vcc_lo, v36
	v_cmp_gt_i32_e32 vcc_lo, 0, v146
	v_not_b32_e32 v146, v147
	s_wait_alu 0xf1ff
	v_xor_b32_e32 v154, s15, v154
	v_cmp_gt_i32_e64 s15, 0, v147
	v_and_b32_e32 v36, exec_lo, v36
	v_not_b32_e32 v147, v150
	v_ashrrev_i32_e32 v146, 31, v146
	s_wait_alu 0xfffd
	v_xor_b32_e32 v145, vcc_lo, v145
	v_cmp_gt_i32_e32 vcc_lo, 0, v150
	v_and_b32_e32 v36, v36, v154
	v_not_b32_e32 v150, v151
	v_ashrrev_i32_e32 v147, 31, v147
	s_wait_alu 0xf1ff
	v_xor_b32_e32 v146, s15, v146
	v_cmp_gt_i32_e64 s15, 0, v151
	v_and_b32_e32 v36, v36, v145
	v_not_b32_e32 v145, v153
	v_ashrrev_i32_e32 v150, 31, v150
	s_wait_alu 0xfffd
	v_xor_b32_e32 v147, vcc_lo, v147
	v_cmp_gt_i32_e32 vcc_lo, 0, v153
	v_and_b32_e32 v36, v36, v146
	v_not_b32_e32 v146, v149
	v_ashrrev_i32_e32 v145, 31, v145
	s_wait_alu 0xf1ff
	v_xor_b32_e32 v150, s15, v150
	v_cmp_gt_i32_e64 s15, 0, v149
	v_and_b32_e32 v36, v36, v147
	v_ashrrev_i32_e32 v146, 31, v146
	s_wait_alu 0xfffd
	v_xor_b32_e32 v145, vcc_lo, v145
	v_mad_u32_u24 v147, v37, 36, v118
	v_mul_u32_u24_e32 v37, 36, v37
	v_and_b32_e32 v36, v36, v150
	s_wait_alu 0xf1ff
	v_xor_b32_e32 v146, s15, v146
	s_delay_alu instid0(VALU_DEP_2) | instskip(SKIP_3) | instid1(VALU_DEP_1)
	v_and_b32_e32 v36, v36, v145
	ds_load_b32 v145, v147 offset:1056
	v_add_nc_u32_e32 v147, v118, v37
	; wave barrier
	v_and_b32_e32 v36, v36, v146
	v_mbcnt_lo_u32_b32 v146, v36, 0
	v_cmp_ne_u32_e64 s15, 0, v36
	s_delay_alu instid0(VALU_DEP_2)
	v_cmp_eq_u32_e32 vcc_lo, 0, v146
	s_and_b32 s16, s15, vcc_lo
	s_wait_alu 0xfffe
	s_and_saveexec_b32 s15, s16
	s_cbranch_execz .LBB532_1022
; %bb.1021:                             ;   in Loop: Header=BB532_982 Depth=2
	s_wait_dscnt 0x0
	v_bcnt_u32_b32 v36, v36, v145
	ds_store_b32 v147, v36 offset:1056
.LBB532_1022:                           ;   in Loop: Header=BB532_982 Depth=2
	s_wait_alu 0xfffe
	s_or_b32 exec_lo, exec_lo, s15
	v_xor_b32_e32 v144, 0x7fffffff, v144
	; wave barrier
	s_delay_alu instid0(VALU_DEP_1) | instskip(NEXT) | instid1(VALU_DEP_1)
	v_lshrrev_b32_e32 v36, s49, v144
	v_and_b32_e32 v37, s48, v36
	s_delay_alu instid0(VALU_DEP_1)
	v_and_b32_e32 v36, 1, v37
	v_lshlrev_b32_e32 v149, 30, v37
	v_lshlrev_b32_e32 v150, 29, v37
	;; [unrolled: 1-line block ×4, first 2 shown]
	v_add_co_u32 v36, s15, v36, -1
	s_wait_alu 0xf1ff
	v_cndmask_b32_e64 v153, 0, 1, s15
	v_not_b32_e32 v158, v149
	v_cmp_gt_i32_e64 s15, 0, v149
	v_not_b32_e32 v149, v150
	v_lshlrev_b32_e32 v155, 26, v37
	v_cmp_ne_u32_e32 vcc_lo, 0, v153
	v_ashrrev_i32_e32 v158, 31, v158
	v_lshlrev_b32_e32 v157, 25, v37
	v_ashrrev_i32_e32 v149, 31, v149
	v_lshlrev_b32_e32 v153, 24, v37
	s_wait_alu 0xfffd
	v_xor_b32_e32 v36, vcc_lo, v36
	v_cmp_gt_i32_e32 vcc_lo, 0, v150
	v_not_b32_e32 v150, v151
	s_wait_alu 0xf1ff
	v_xor_b32_e32 v158, s15, v158
	v_cmp_gt_i32_e64 s15, 0, v151
	v_and_b32_e32 v36, exec_lo, v36
	v_not_b32_e32 v151, v154
	v_ashrrev_i32_e32 v150, 31, v150
	s_wait_alu 0xfffd
	v_xor_b32_e32 v149, vcc_lo, v149
	v_cmp_gt_i32_e32 vcc_lo, 0, v154
	v_and_b32_e32 v36, v36, v158
	v_not_b32_e32 v154, v155
	v_ashrrev_i32_e32 v151, 31, v151
	s_wait_alu 0xf1ff
	v_xor_b32_e32 v150, s15, v150
	v_cmp_gt_i32_e64 s15, 0, v155
	v_and_b32_e32 v36, v36, v149
	v_not_b32_e32 v149, v157
	v_ashrrev_i32_e32 v154, 31, v154
	s_wait_alu 0xfffd
	v_xor_b32_e32 v151, vcc_lo, v151
	v_cmp_gt_i32_e32 vcc_lo, 0, v157
	v_and_b32_e32 v36, v36, v150
	v_not_b32_e32 v150, v153
	v_ashrrev_i32_e32 v149, 31, v149
	s_wait_alu 0xf1ff
	v_xor_b32_e32 v154, s15, v154
	v_cmp_gt_i32_e64 s15, 0, v153
	v_and_b32_e32 v36, v36, v151
	v_ashrrev_i32_e32 v150, 31, v150
	s_wait_alu 0xfffd
	v_xor_b32_e32 v149, vcc_lo, v149
	v_mad_u32_u24 v151, v37, 36, v118
	v_mul_u32_u24_e32 v37, 36, v37
	v_and_b32_e32 v36, v36, v154
	s_wait_alu 0xf1ff
	v_xor_b32_e32 v150, s15, v150
	s_delay_alu instid0(VALU_DEP_2) | instskip(SKIP_3) | instid1(VALU_DEP_1)
	v_and_b32_e32 v36, v36, v149
	ds_load_b32 v149, v151 offset:1056
	v_add_nc_u32_e32 v151, v118, v37
	; wave barrier
	v_and_b32_e32 v36, v36, v150
	v_mbcnt_lo_u32_b32 v150, v36, 0
	v_cmp_ne_u32_e64 s15, 0, v36
	s_delay_alu instid0(VALU_DEP_2)
	v_cmp_eq_u32_e32 vcc_lo, 0, v150
	s_and_b32 s16, s15, vcc_lo
	s_wait_alu 0xfffe
	s_and_saveexec_b32 s15, s16
	s_cbranch_execz .LBB532_1024
; %bb.1023:                             ;   in Loop: Header=BB532_982 Depth=2
	s_wait_dscnt 0x0
	v_bcnt_u32_b32 v36, v36, v149
	ds_store_b32 v151, v36 offset:1056
.LBB532_1024:                           ;   in Loop: Header=BB532_982 Depth=2
	s_wait_alu 0xfffe
	s_or_b32 exec_lo, exec_lo, s15
	v_xor_b32_e32 v148, 0x7fffffff, v148
	; wave barrier
	s_delay_alu instid0(VALU_DEP_1) | instskip(NEXT) | instid1(VALU_DEP_1)
	v_lshrrev_b32_e32 v36, s49, v148
	v_and_b32_e32 v37, s48, v36
	s_delay_alu instid0(VALU_DEP_1)
	v_and_b32_e32 v36, 1, v37
	v_lshlrev_b32_e32 v153, 30, v37
	v_lshlrev_b32_e32 v154, 29, v37
	;; [unrolled: 1-line block ×4, first 2 shown]
	v_add_co_u32 v36, s15, v36, -1
	s_wait_alu 0xf1ff
	v_cndmask_b32_e64 v157, 0, 1, s15
	v_not_b32_e32 v162, v153
	v_cmp_gt_i32_e64 s15, 0, v153
	v_not_b32_e32 v153, v154
	v_lshlrev_b32_e32 v159, 26, v37
	v_cmp_ne_u32_e32 vcc_lo, 0, v157
	v_ashrrev_i32_e32 v162, 31, v162
	v_lshlrev_b32_e32 v161, 25, v37
	v_ashrrev_i32_e32 v153, 31, v153
	v_lshlrev_b32_e32 v157, 24, v37
	s_wait_alu 0xfffd
	v_xor_b32_e32 v36, vcc_lo, v36
	v_cmp_gt_i32_e32 vcc_lo, 0, v154
	v_not_b32_e32 v154, v155
	s_wait_alu 0xf1ff
	v_xor_b32_e32 v162, s15, v162
	v_cmp_gt_i32_e64 s15, 0, v155
	v_and_b32_e32 v36, exec_lo, v36
	v_not_b32_e32 v155, v158
	v_ashrrev_i32_e32 v154, 31, v154
	s_wait_alu 0xfffd
	v_xor_b32_e32 v153, vcc_lo, v153
	v_cmp_gt_i32_e32 vcc_lo, 0, v158
	v_and_b32_e32 v36, v36, v162
	v_not_b32_e32 v158, v159
	v_ashrrev_i32_e32 v155, 31, v155
	s_wait_alu 0xf1ff
	v_xor_b32_e32 v154, s15, v154
	v_cmp_gt_i32_e64 s15, 0, v159
	v_and_b32_e32 v36, v36, v153
	v_not_b32_e32 v153, v161
	v_ashrrev_i32_e32 v158, 31, v158
	s_wait_alu 0xfffd
	v_xor_b32_e32 v155, vcc_lo, v155
	v_cmp_gt_i32_e32 vcc_lo, 0, v161
	v_and_b32_e32 v36, v36, v154
	v_not_b32_e32 v154, v157
	v_ashrrev_i32_e32 v153, 31, v153
	s_wait_alu 0xf1ff
	v_xor_b32_e32 v158, s15, v158
	v_cmp_gt_i32_e64 s15, 0, v157
	v_and_b32_e32 v36, v36, v155
	v_ashrrev_i32_e32 v154, 31, v154
	s_wait_alu 0xfffd
	v_xor_b32_e32 v153, vcc_lo, v153
	v_mad_u32_u24 v155, v37, 36, v118
	v_mul_u32_u24_e32 v37, 36, v37
	v_and_b32_e32 v36, v36, v158
	s_wait_alu 0xf1ff
	v_xor_b32_e32 v154, s15, v154
	s_delay_alu instid0(VALU_DEP_2) | instskip(SKIP_3) | instid1(VALU_DEP_1)
	v_and_b32_e32 v36, v36, v153
	ds_load_b32 v153, v155 offset:1056
	v_add_nc_u32_e32 v155, v118, v37
	; wave barrier
	v_and_b32_e32 v36, v36, v154
	v_mbcnt_lo_u32_b32 v154, v36, 0
	v_cmp_ne_u32_e64 s15, 0, v36
	s_delay_alu instid0(VALU_DEP_2)
	v_cmp_eq_u32_e32 vcc_lo, 0, v154
	s_and_b32 s16, s15, vcc_lo
	s_wait_alu 0xfffe
	s_and_saveexec_b32 s15, s16
	s_cbranch_execz .LBB532_1026
; %bb.1025:                             ;   in Loop: Header=BB532_982 Depth=2
	s_wait_dscnt 0x0
	v_bcnt_u32_b32 v36, v36, v153
	ds_store_b32 v155, v36 offset:1056
.LBB532_1026:                           ;   in Loop: Header=BB532_982 Depth=2
	s_wait_alu 0xfffe
	s_or_b32 exec_lo, exec_lo, s15
	v_xor_b32_e32 v152, 0x7fffffff, v152
	; wave barrier
	s_delay_alu instid0(VALU_DEP_1) | instskip(NEXT) | instid1(VALU_DEP_1)
	v_lshrrev_b32_e32 v36, s49, v152
	v_and_b32_e32 v37, s48, v36
	s_delay_alu instid0(VALU_DEP_1)
	v_and_b32_e32 v36, 1, v37
	v_lshlrev_b32_e32 v157, 30, v37
	v_lshlrev_b32_e32 v158, 29, v37
	;; [unrolled: 1-line block ×4, first 2 shown]
	v_add_co_u32 v36, s15, v36, -1
	s_wait_alu 0xf1ff
	v_cndmask_b32_e64 v161, 0, 1, s15
	v_not_b32_e32 v166, v157
	v_cmp_gt_i32_e64 s15, 0, v157
	v_not_b32_e32 v157, v158
	v_lshlrev_b32_e32 v163, 26, v37
	v_cmp_ne_u32_e32 vcc_lo, 0, v161
	v_ashrrev_i32_e32 v166, 31, v166
	v_lshlrev_b32_e32 v165, 25, v37
	v_ashrrev_i32_e32 v157, 31, v157
	v_lshlrev_b32_e32 v161, 24, v37
	s_wait_alu 0xfffd
	v_xor_b32_e32 v36, vcc_lo, v36
	v_cmp_gt_i32_e32 vcc_lo, 0, v158
	v_not_b32_e32 v158, v159
	s_wait_alu 0xf1ff
	v_xor_b32_e32 v166, s15, v166
	v_cmp_gt_i32_e64 s15, 0, v159
	v_and_b32_e32 v36, exec_lo, v36
	v_not_b32_e32 v159, v162
	v_ashrrev_i32_e32 v158, 31, v158
	s_wait_alu 0xfffd
	v_xor_b32_e32 v157, vcc_lo, v157
	v_cmp_gt_i32_e32 vcc_lo, 0, v162
	v_and_b32_e32 v36, v36, v166
	v_not_b32_e32 v162, v163
	v_ashrrev_i32_e32 v159, 31, v159
	s_wait_alu 0xf1ff
	v_xor_b32_e32 v158, s15, v158
	v_cmp_gt_i32_e64 s15, 0, v163
	v_and_b32_e32 v36, v36, v157
	v_not_b32_e32 v157, v165
	v_ashrrev_i32_e32 v162, 31, v162
	s_wait_alu 0xfffd
	v_xor_b32_e32 v159, vcc_lo, v159
	v_cmp_gt_i32_e32 vcc_lo, 0, v165
	v_and_b32_e32 v36, v36, v158
	v_not_b32_e32 v158, v161
	v_ashrrev_i32_e32 v157, 31, v157
	s_wait_alu 0xf1ff
	v_xor_b32_e32 v162, s15, v162
	v_cmp_gt_i32_e64 s15, 0, v161
	v_and_b32_e32 v36, v36, v159
	v_ashrrev_i32_e32 v158, 31, v158
	s_wait_alu 0xfffd
	v_xor_b32_e32 v157, vcc_lo, v157
	v_mad_u32_u24 v159, v37, 36, v118
	v_mul_u32_u24_e32 v37, 36, v37
	v_and_b32_e32 v36, v36, v162
	s_wait_alu 0xf1ff
	v_xor_b32_e32 v158, s15, v158
	s_delay_alu instid0(VALU_DEP_2) | instskip(SKIP_3) | instid1(VALU_DEP_1)
	v_and_b32_e32 v36, v36, v157
	ds_load_b32 v157, v159 offset:1056
	v_add_nc_u32_e32 v159, v118, v37
	; wave barrier
	v_and_b32_e32 v36, v36, v158
	v_mbcnt_lo_u32_b32 v158, v36, 0
	v_cmp_ne_u32_e64 s15, 0, v36
	s_delay_alu instid0(VALU_DEP_2)
	v_cmp_eq_u32_e32 vcc_lo, 0, v158
	s_and_b32 s16, s15, vcc_lo
	s_wait_alu 0xfffe
	s_and_saveexec_b32 s15, s16
	s_cbranch_execz .LBB532_1028
; %bb.1027:                             ;   in Loop: Header=BB532_982 Depth=2
	s_wait_dscnt 0x0
	v_bcnt_u32_b32 v36, v36, v157
	ds_store_b32 v159, v36 offset:1056
.LBB532_1028:                           ;   in Loop: Header=BB532_982 Depth=2
	s_wait_alu 0xfffe
	s_or_b32 exec_lo, exec_lo, s15
	v_xor_b32_e32 v156, 0x7fffffff, v156
	; wave barrier
	s_delay_alu instid0(VALU_DEP_1) | instskip(NEXT) | instid1(VALU_DEP_1)
	v_lshrrev_b32_e32 v36, s49, v156
	v_and_b32_e32 v37, s48, v36
	s_delay_alu instid0(VALU_DEP_1)
	v_and_b32_e32 v36, 1, v37
	v_lshlrev_b32_e32 v161, 30, v37
	v_lshlrev_b32_e32 v162, 29, v37
	;; [unrolled: 1-line block ×4, first 2 shown]
	v_add_co_u32 v36, s15, v36, -1
	s_wait_alu 0xf1ff
	v_cndmask_b32_e64 v165, 0, 1, s15
	v_not_b32_e32 v170, v161
	v_cmp_gt_i32_e64 s15, 0, v161
	v_not_b32_e32 v161, v162
	v_lshlrev_b32_e32 v168, 26, v37
	v_cmp_ne_u32_e32 vcc_lo, 0, v165
	v_ashrrev_i32_e32 v170, 31, v170
	v_lshlrev_b32_e32 v169, 25, v37
	v_ashrrev_i32_e32 v161, 31, v161
	v_lshlrev_b32_e32 v165, 24, v37
	s_wait_alu 0xfffd
	v_xor_b32_e32 v36, vcc_lo, v36
	v_cmp_gt_i32_e32 vcc_lo, 0, v162
	v_not_b32_e32 v162, v163
	s_wait_alu 0xf1ff
	v_xor_b32_e32 v170, s15, v170
	v_cmp_gt_i32_e64 s15, 0, v163
	v_and_b32_e32 v36, exec_lo, v36
	v_not_b32_e32 v163, v166
	v_ashrrev_i32_e32 v162, 31, v162
	s_wait_alu 0xfffd
	v_xor_b32_e32 v161, vcc_lo, v161
	v_cmp_gt_i32_e32 vcc_lo, 0, v166
	v_and_b32_e32 v36, v36, v170
	v_not_b32_e32 v166, v168
	v_ashrrev_i32_e32 v163, 31, v163
	s_wait_alu 0xf1ff
	v_xor_b32_e32 v162, s15, v162
	v_cmp_gt_i32_e64 s15, 0, v168
	v_and_b32_e32 v36, v36, v161
	v_not_b32_e32 v161, v169
	v_ashrrev_i32_e32 v166, 31, v166
	s_wait_alu 0xfffd
	v_xor_b32_e32 v163, vcc_lo, v163
	v_cmp_gt_i32_e32 vcc_lo, 0, v169
	v_and_b32_e32 v36, v36, v162
	v_not_b32_e32 v162, v165
	v_ashrrev_i32_e32 v161, 31, v161
	s_wait_alu 0xf1ff
	v_xor_b32_e32 v166, s15, v166
	v_cmp_gt_i32_e64 s15, 0, v165
	v_and_b32_e32 v36, v36, v163
	v_ashrrev_i32_e32 v162, 31, v162
	s_wait_alu 0xfffd
	v_xor_b32_e32 v161, vcc_lo, v161
	v_mad_u32_u24 v163, v37, 36, v118
	v_mul_u32_u24_e32 v37, 36, v37
	v_and_b32_e32 v36, v36, v166
	s_wait_alu 0xf1ff
	v_xor_b32_e32 v162, s15, v162
	s_delay_alu instid0(VALU_DEP_2) | instskip(SKIP_3) | instid1(VALU_DEP_1)
	v_and_b32_e32 v36, v36, v161
	ds_load_b32 v161, v163 offset:1056
	v_add_nc_u32_e32 v163, v118, v37
	; wave barrier
	v_and_b32_e32 v36, v36, v162
	v_mbcnt_lo_u32_b32 v162, v36, 0
	v_cmp_ne_u32_e64 s15, 0, v36
	s_delay_alu instid0(VALU_DEP_2)
	v_cmp_eq_u32_e32 vcc_lo, 0, v162
	s_and_b32 s16, s15, vcc_lo
	s_wait_alu 0xfffe
	s_and_saveexec_b32 s15, s16
	s_cbranch_execz .LBB532_1030
; %bb.1029:                             ;   in Loop: Header=BB532_982 Depth=2
	s_wait_dscnt 0x0
	v_bcnt_u32_b32 v36, v36, v161
	ds_store_b32 v163, v36 offset:1056
.LBB532_1030:                           ;   in Loop: Header=BB532_982 Depth=2
	s_wait_alu 0xfffe
	s_or_b32 exec_lo, exec_lo, s15
	v_xor_b32_e32 v160, 0x7fffffff, v160
	; wave barrier
	s_delay_alu instid0(VALU_DEP_1) | instskip(NEXT) | instid1(VALU_DEP_1)
	v_lshrrev_b32_e32 v36, s49, v160
	v_and_b32_e32 v37, s48, v36
	s_delay_alu instid0(VALU_DEP_1)
	v_and_b32_e32 v36, 1, v37
	v_lshlrev_b32_e32 v165, 30, v37
	v_lshlrev_b32_e32 v166, 29, v37
	;; [unrolled: 1-line block ×4, first 2 shown]
	v_add_co_u32 v36, s15, v36, -1
	s_wait_alu 0xf1ff
	v_cndmask_b32_e64 v169, 0, 1, s15
	v_not_b32_e32 v173, v165
	v_cmp_gt_i32_e64 s15, 0, v165
	v_not_b32_e32 v165, v166
	v_lshlrev_b32_e32 v171, 26, v37
	v_cmp_ne_u32_e32 vcc_lo, 0, v169
	v_ashrrev_i32_e32 v173, 31, v173
	v_lshlrev_b32_e32 v172, 25, v37
	v_ashrrev_i32_e32 v165, 31, v165
	v_lshlrev_b32_e32 v169, 24, v37
	s_wait_alu 0xfffd
	v_xor_b32_e32 v36, vcc_lo, v36
	v_cmp_gt_i32_e32 vcc_lo, 0, v166
	v_not_b32_e32 v166, v168
	s_wait_alu 0xf1ff
	v_xor_b32_e32 v173, s15, v173
	v_cmp_gt_i32_e64 s15, 0, v168
	v_and_b32_e32 v36, exec_lo, v36
	v_not_b32_e32 v168, v170
	v_ashrrev_i32_e32 v166, 31, v166
	s_wait_alu 0xfffd
	v_xor_b32_e32 v165, vcc_lo, v165
	v_cmp_gt_i32_e32 vcc_lo, 0, v170
	v_and_b32_e32 v36, v36, v173
	v_not_b32_e32 v170, v171
	v_ashrrev_i32_e32 v168, 31, v168
	s_wait_alu 0xf1ff
	v_xor_b32_e32 v166, s15, v166
	v_cmp_gt_i32_e64 s15, 0, v171
	v_and_b32_e32 v36, v36, v165
	v_not_b32_e32 v165, v172
	v_ashrrev_i32_e32 v170, 31, v170
	s_wait_alu 0xfffd
	v_xor_b32_e32 v168, vcc_lo, v168
	v_cmp_gt_i32_e32 vcc_lo, 0, v172
	v_and_b32_e32 v36, v36, v166
	v_not_b32_e32 v166, v169
	v_ashrrev_i32_e32 v165, 31, v165
	s_wait_alu 0xf1ff
	v_xor_b32_e32 v170, s15, v170
	v_cmp_gt_i32_e64 s15, 0, v169
	v_and_b32_e32 v36, v36, v168
	v_ashrrev_i32_e32 v166, 31, v166
	s_wait_alu 0xfffd
	v_xor_b32_e32 v165, vcc_lo, v165
	v_mad_u32_u24 v168, v37, 36, v118
	v_mul_u32_u24_e32 v37, 36, v37
	v_and_b32_e32 v36, v36, v170
	s_wait_alu 0xf1ff
	v_xor_b32_e32 v166, s15, v166
	s_delay_alu instid0(VALU_DEP_2) | instskip(SKIP_3) | instid1(VALU_DEP_1)
	v_and_b32_e32 v36, v36, v165
	ds_load_b32 v165, v168 offset:1056
	v_add_nc_u32_e32 v168, v118, v37
	; wave barrier
	v_and_b32_e32 v36, v36, v166
	v_mbcnt_lo_u32_b32 v166, v36, 0
	v_cmp_ne_u32_e64 s15, 0, v36
	s_delay_alu instid0(VALU_DEP_2)
	v_cmp_eq_u32_e32 vcc_lo, 0, v166
	s_and_b32 s16, s15, vcc_lo
	s_wait_alu 0xfffe
	s_and_saveexec_b32 s15, s16
	s_cbranch_execz .LBB532_1032
; %bb.1031:                             ;   in Loop: Header=BB532_982 Depth=2
	s_wait_dscnt 0x0
	v_bcnt_u32_b32 v36, v36, v165
	ds_store_b32 v168, v36 offset:1056
.LBB532_1032:                           ;   in Loop: Header=BB532_982 Depth=2
	s_wait_alu 0xfffe
	s_or_b32 exec_lo, exec_lo, s15
	v_xor_b32_e32 v164, 0x7fffffff, v164
	; wave barrier
	s_delay_alu instid0(VALU_DEP_1) | instskip(NEXT) | instid1(VALU_DEP_1)
	v_lshrrev_b32_e32 v36, s49, v164
	v_and_b32_e32 v37, s48, v36
	s_delay_alu instid0(VALU_DEP_1)
	v_and_b32_e32 v36, 1, v37
	v_lshlrev_b32_e32 v169, 30, v37
	v_lshlrev_b32_e32 v170, 29, v37
	;; [unrolled: 1-line block ×4, first 2 shown]
	v_add_co_u32 v36, s15, v36, -1
	s_wait_alu 0xf1ff
	v_cndmask_b32_e64 v172, 0, 1, s15
	v_not_b32_e32 v176, v169
	v_cmp_gt_i32_e64 s15, 0, v169
	v_not_b32_e32 v169, v170
	v_lshlrev_b32_e32 v174, 26, v37
	v_cmp_ne_u32_e32 vcc_lo, 0, v172
	v_ashrrev_i32_e32 v176, 31, v176
	v_lshlrev_b32_e32 v175, 25, v37
	v_ashrrev_i32_e32 v169, 31, v169
	v_lshlrev_b32_e32 v172, 24, v37
	s_wait_alu 0xfffd
	v_xor_b32_e32 v36, vcc_lo, v36
	v_cmp_gt_i32_e32 vcc_lo, 0, v170
	v_not_b32_e32 v170, v171
	s_wait_alu 0xf1ff
	v_xor_b32_e32 v176, s15, v176
	v_cmp_gt_i32_e64 s15, 0, v171
	v_and_b32_e32 v36, exec_lo, v36
	v_not_b32_e32 v171, v173
	v_ashrrev_i32_e32 v170, 31, v170
	s_wait_alu 0xfffd
	v_xor_b32_e32 v169, vcc_lo, v169
	v_cmp_gt_i32_e32 vcc_lo, 0, v173
	v_and_b32_e32 v36, v36, v176
	v_not_b32_e32 v173, v174
	v_ashrrev_i32_e32 v171, 31, v171
	s_wait_alu 0xf1ff
	v_xor_b32_e32 v170, s15, v170
	v_cmp_gt_i32_e64 s15, 0, v174
	v_and_b32_e32 v36, v36, v169
	v_not_b32_e32 v169, v175
	v_ashrrev_i32_e32 v173, 31, v173
	s_wait_alu 0xfffd
	v_xor_b32_e32 v171, vcc_lo, v171
	v_cmp_gt_i32_e32 vcc_lo, 0, v175
	v_and_b32_e32 v36, v36, v170
	v_not_b32_e32 v170, v172
	v_ashrrev_i32_e32 v169, 31, v169
	s_wait_alu 0xf1ff
	v_xor_b32_e32 v173, s15, v173
	v_cmp_gt_i32_e64 s15, 0, v172
	v_and_b32_e32 v36, v36, v171
	v_ashrrev_i32_e32 v170, 31, v170
	s_wait_alu 0xfffd
	v_xor_b32_e32 v169, vcc_lo, v169
	v_mad_u32_u24 v171, v37, 36, v118
	v_mul_u32_u24_e32 v37, 36, v37
	v_and_b32_e32 v36, v36, v173
	s_wait_alu 0xf1ff
	v_xor_b32_e32 v170, s15, v170
	s_delay_alu instid0(VALU_DEP_2) | instskip(SKIP_3) | instid1(VALU_DEP_1)
	v_and_b32_e32 v36, v36, v169
	ds_load_b32 v169, v171 offset:1056
	v_add_nc_u32_e32 v171, v118, v37
	; wave barrier
	v_and_b32_e32 v36, v36, v170
	v_mbcnt_lo_u32_b32 v170, v36, 0
	v_cmp_ne_u32_e64 s15, 0, v36
	s_delay_alu instid0(VALU_DEP_2)
	v_cmp_eq_u32_e32 vcc_lo, 0, v170
	s_and_b32 s16, s15, vcc_lo
	s_wait_alu 0xfffe
	s_and_saveexec_b32 s15, s16
	s_cbranch_execz .LBB532_1034
; %bb.1033:                             ;   in Loop: Header=BB532_982 Depth=2
	s_wait_dscnt 0x0
	v_bcnt_u32_b32 v36, v36, v169
	ds_store_b32 v171, v36 offset:1056
.LBB532_1034:                           ;   in Loop: Header=BB532_982 Depth=2
	s_wait_alu 0xfffe
	s_or_b32 exec_lo, exec_lo, s15
	v_xor_b32_e32 v167, 0x7fffffff, v167
	; wave barrier
	s_delay_alu instid0(VALU_DEP_1) | instskip(NEXT) | instid1(VALU_DEP_1)
	v_lshrrev_b32_e32 v36, s49, v167
	v_and_b32_e32 v37, s48, v36
	s_delay_alu instid0(VALU_DEP_1)
	v_and_b32_e32 v36, 1, v37
	v_lshlrev_b32_e32 v172, 30, v37
	v_lshlrev_b32_e32 v173, 29, v37
	;; [unrolled: 1-line block ×4, first 2 shown]
	v_add_co_u32 v36, s15, v36, -1
	s_wait_alu 0xf1ff
	v_cndmask_b32_e64 v175, 0, 1, s15
	v_not_b32_e32 v179, v172
	v_cmp_gt_i32_e64 s15, 0, v172
	v_not_b32_e32 v172, v173
	v_lshlrev_b32_e32 v177, 26, v37
	v_cmp_ne_u32_e32 vcc_lo, 0, v175
	v_ashrrev_i32_e32 v179, 31, v179
	v_lshlrev_b32_e32 v178, 25, v37
	v_ashrrev_i32_e32 v172, 31, v172
	v_lshlrev_b32_e32 v175, 24, v37
	s_wait_alu 0xfffd
	v_xor_b32_e32 v36, vcc_lo, v36
	v_cmp_gt_i32_e32 vcc_lo, 0, v173
	v_not_b32_e32 v173, v174
	s_wait_alu 0xf1ff
	v_xor_b32_e32 v179, s15, v179
	v_cmp_gt_i32_e64 s15, 0, v174
	v_and_b32_e32 v36, exec_lo, v36
	v_not_b32_e32 v174, v176
	v_ashrrev_i32_e32 v173, 31, v173
	s_wait_alu 0xfffd
	v_xor_b32_e32 v172, vcc_lo, v172
	v_cmp_gt_i32_e32 vcc_lo, 0, v176
	v_and_b32_e32 v36, v36, v179
	v_not_b32_e32 v176, v177
	v_ashrrev_i32_e32 v174, 31, v174
	s_wait_alu 0xf1ff
	v_xor_b32_e32 v173, s15, v173
	v_cmp_gt_i32_e64 s15, 0, v177
	v_and_b32_e32 v36, v36, v172
	v_not_b32_e32 v172, v178
	v_ashrrev_i32_e32 v176, 31, v176
	s_wait_alu 0xfffd
	v_xor_b32_e32 v174, vcc_lo, v174
	v_cmp_gt_i32_e32 vcc_lo, 0, v178
	v_and_b32_e32 v36, v36, v173
	v_not_b32_e32 v173, v175
	v_ashrrev_i32_e32 v172, 31, v172
	s_wait_alu 0xf1ff
	v_xor_b32_e32 v176, s15, v176
	v_cmp_gt_i32_e64 s15, 0, v175
	v_and_b32_e32 v36, v36, v174
	v_ashrrev_i32_e32 v173, 31, v173
	s_wait_alu 0xfffd
	v_xor_b32_e32 v172, vcc_lo, v172
	v_mad_u32_u24 v174, v37, 36, v118
	v_mul_u32_u24_e32 v37, 36, v37
	v_and_b32_e32 v36, v36, v176
	s_wait_alu 0xf1ff
	v_xor_b32_e32 v175, s15, v173
	ds_load_b32 v173, v174 offset:1056
	v_and_b32_e32 v36, v36, v172
	; wave barrier
	s_delay_alu instid0(VALU_DEP_1) | instskip(SKIP_1) | instid1(VALU_DEP_2)
	v_and_b32_e32 v36, v36, v175
	v_add_nc_u32_e32 v175, v118, v37
	v_mbcnt_lo_u32_b32 v174, v36, 0
	v_cmp_ne_u32_e64 s15, 0, v36
	s_delay_alu instid0(VALU_DEP_2)
	v_cmp_eq_u32_e32 vcc_lo, 0, v174
	s_and_b32 s16, s15, vcc_lo
	s_wait_alu 0xfffe
	s_and_saveexec_b32 s15, s16
	s_cbranch_execz .LBB532_1036
; %bb.1035:                             ;   in Loop: Header=BB532_982 Depth=2
	s_wait_dscnt 0x0
	v_bcnt_u32_b32 v36, v36, v173
	ds_store_b32 v175, v36 offset:1056
.LBB532_1036:                           ;   in Loop: Header=BB532_982 Depth=2
	s_wait_alu 0xfffe
	s_or_b32 exec_lo, exec_lo, s15
	v_xor_b32_e32 v172, 0x7fffffff, v43
	; wave barrier
	s_delay_alu instid0(VALU_DEP_1) | instskip(NEXT) | instid1(VALU_DEP_1)
	v_lshrrev_b32_e32 v36, s49, v172
	v_and_b32_e32 v37, s48, v36
	s_delay_alu instid0(VALU_DEP_1)
	v_and_b32_e32 v36, 1, v37
	v_lshlrev_b32_e32 v43, 30, v37
	v_lshlrev_b32_e32 v176, 29, v37
	;; [unrolled: 1-line block ×4, first 2 shown]
	v_add_co_u32 v36, s15, v36, -1
	s_wait_alu 0xf1ff
	v_cndmask_b32_e64 v178, 0, 1, s15
	v_not_b32_e32 v182, v43
	v_cmp_gt_i32_e64 s15, 0, v43
	v_not_b32_e32 v43, v176
	v_lshlrev_b32_e32 v180, 26, v37
	v_cmp_ne_u32_e32 vcc_lo, 0, v178
	v_ashrrev_i32_e32 v182, 31, v182
	v_lshlrev_b32_e32 v181, 25, v37
	v_ashrrev_i32_e32 v43, 31, v43
	v_lshlrev_b32_e32 v178, 24, v37
	s_wait_alu 0xfffd
	v_xor_b32_e32 v36, vcc_lo, v36
	v_cmp_gt_i32_e32 vcc_lo, 0, v176
	v_not_b32_e32 v176, v177
	s_wait_alu 0xf1ff
	v_xor_b32_e32 v182, s15, v182
	v_cmp_gt_i32_e64 s15, 0, v177
	v_and_b32_e32 v36, exec_lo, v36
	v_not_b32_e32 v177, v179
	v_ashrrev_i32_e32 v176, 31, v176
	s_wait_alu 0xfffd
	v_xor_b32_e32 v43, vcc_lo, v43
	v_cmp_gt_i32_e32 vcc_lo, 0, v179
	v_and_b32_e32 v36, v36, v182
	v_not_b32_e32 v179, v180
	v_ashrrev_i32_e32 v177, 31, v177
	s_wait_alu 0xf1ff
	v_xor_b32_e32 v176, s15, v176
	v_cmp_gt_i32_e64 s15, 0, v180
	v_and_b32_e32 v36, v36, v43
	v_not_b32_e32 v43, v181
	v_ashrrev_i32_e32 v179, 31, v179
	s_wait_alu 0xfffd
	v_xor_b32_e32 v177, vcc_lo, v177
	v_cmp_gt_i32_e32 vcc_lo, 0, v181
	v_and_b32_e32 v36, v36, v176
	v_not_b32_e32 v176, v178
	v_ashrrev_i32_e32 v43, 31, v43
	s_wait_alu 0xf1ff
	v_xor_b32_e32 v179, s15, v179
	v_cmp_gt_i32_e64 s15, 0, v178
	v_and_b32_e32 v36, v36, v177
	v_ashrrev_i32_e32 v176, 31, v176
	s_wait_alu 0xfffd
	v_xor_b32_e32 v43, vcc_lo, v43
	v_mad_u32_u24 v177, v37, 36, v118
	v_mul_u32_u24_e32 v37, 36, v37
	v_and_b32_e32 v36, v36, v179
	s_wait_alu 0xf1ff
	v_xor_b32_e32 v176, s15, v176
	ds_load_b32 v177, v177 offset:1056
	v_add_nc_u32_e32 v179, v118, v37
	v_and_b32_e32 v36, v36, v43
	; wave barrier
	s_delay_alu instid0(VALU_DEP_1) | instskip(NEXT) | instid1(VALU_DEP_1)
	v_and_b32_e32 v36, v36, v176
	v_mbcnt_lo_u32_b32 v178, v36, 0
	v_cmp_ne_u32_e64 s15, 0, v36
	s_delay_alu instid0(VALU_DEP_2)
	v_cmp_eq_u32_e32 vcc_lo, 0, v178
	s_and_b32 s16, s15, vcc_lo
	s_wait_alu 0xfffe
	s_and_saveexec_b32 s15, s16
	s_cbranch_execz .LBB532_1038
; %bb.1037:                             ;   in Loop: Header=BB532_982 Depth=2
	s_wait_dscnt 0x0
	v_bcnt_u32_b32 v36, v36, v177
	ds_store_b32 v179, v36 offset:1056
.LBB532_1038:                           ;   in Loop: Header=BB532_982 Depth=2
	s_wait_alu 0xfffe
	s_or_b32 exec_lo, exec_lo, s15
	v_xor_b32_e32 v176, 0x7fffffff, v42
	; wave barrier
	s_delay_alu instid0(VALU_DEP_1) | instskip(NEXT) | instid1(VALU_DEP_1)
	v_lshrrev_b32_e32 v36, s49, v176
	v_and_b32_e32 v37, s48, v36
	s_delay_alu instid0(VALU_DEP_1)
	v_and_b32_e32 v36, 1, v37
	v_lshlrev_b32_e32 v42, 30, v37
	v_lshlrev_b32_e32 v43, 29, v37
	;; [unrolled: 1-line block ×4, first 2 shown]
	v_add_co_u32 v36, s15, v36, -1
	s_wait_alu 0xf1ff
	v_cndmask_b32_e64 v181, 0, 1, s15
	v_not_b32_e32 v185, v42
	v_cmp_gt_i32_e64 s15, 0, v42
	v_not_b32_e32 v42, v43
	v_lshlrev_b32_e32 v183, 26, v37
	v_cmp_ne_u32_e32 vcc_lo, 0, v181
	v_ashrrev_i32_e32 v185, 31, v185
	v_lshlrev_b32_e32 v184, 25, v37
	v_ashrrev_i32_e32 v42, 31, v42
	v_lshlrev_b32_e32 v181, 24, v37
	s_wait_alu 0xfffd
	v_xor_b32_e32 v36, vcc_lo, v36
	v_cmp_gt_i32_e32 vcc_lo, 0, v43
	v_not_b32_e32 v43, v180
	s_wait_alu 0xf1ff
	v_xor_b32_e32 v185, s15, v185
	v_cmp_gt_i32_e64 s15, 0, v180
	v_and_b32_e32 v36, exec_lo, v36
	v_not_b32_e32 v180, v182
	v_ashrrev_i32_e32 v43, 31, v43
	s_wait_alu 0xfffd
	v_xor_b32_e32 v42, vcc_lo, v42
	v_cmp_gt_i32_e32 vcc_lo, 0, v182
	v_and_b32_e32 v36, v36, v185
	v_not_b32_e32 v182, v183
	v_ashrrev_i32_e32 v180, 31, v180
	s_wait_alu 0xf1ff
	v_xor_b32_e32 v43, s15, v43
	v_cmp_gt_i32_e64 s15, 0, v183
	v_and_b32_e32 v36, v36, v42
	v_not_b32_e32 v42, v184
	v_ashrrev_i32_e32 v182, 31, v182
	s_wait_alu 0xfffd
	v_xor_b32_e32 v180, vcc_lo, v180
	v_cmp_gt_i32_e32 vcc_lo, 0, v184
	v_and_b32_e32 v36, v36, v43
	v_not_b32_e32 v43, v181
	v_ashrrev_i32_e32 v42, 31, v42
	s_wait_alu 0xf1ff
	v_xor_b32_e32 v182, s15, v182
	v_cmp_gt_i32_e64 s15, 0, v181
	v_and_b32_e32 v36, v36, v180
	v_ashrrev_i32_e32 v43, 31, v43
	s_wait_alu 0xfffd
	v_xor_b32_e32 v42, vcc_lo, v42
	v_mad_u32_u24 v180, v37, 36, v118
	v_mul_u32_u24_e32 v37, 36, v37
	v_and_b32_e32 v36, v36, v182
	s_wait_alu 0xf1ff
	v_xor_b32_e32 v43, s15, v43
	ds_load_b32 v181, v180 offset:1056
	v_add_nc_u32_e32 v183, v118, v37
	v_and_b32_e32 v36, v36, v42
	; wave barrier
	s_delay_alu instid0(VALU_DEP_1) | instskip(NEXT) | instid1(VALU_DEP_1)
	v_and_b32_e32 v36, v36, v43
	v_mbcnt_lo_u32_b32 v182, v36, 0
	v_cmp_ne_u32_e64 s15, 0, v36
	s_delay_alu instid0(VALU_DEP_2)
	v_cmp_eq_u32_e32 vcc_lo, 0, v182
	s_and_b32 s16, s15, vcc_lo
	s_wait_alu 0xfffe
	s_and_saveexec_b32 s15, s16
	s_cbranch_execz .LBB532_1040
; %bb.1039:                             ;   in Loop: Header=BB532_982 Depth=2
	s_wait_dscnt 0x0
	v_bcnt_u32_b32 v36, v36, v181
	ds_store_b32 v183, v36 offset:1056
.LBB532_1040:                           ;   in Loop: Header=BB532_982 Depth=2
	s_wait_alu 0xfffe
	s_or_b32 exec_lo, exec_lo, s15
	v_xor_b32_e32 v180, 0x7fffffff, v41
	; wave barrier
	s_delay_alu instid0(VALU_DEP_1) | instskip(NEXT) | instid1(VALU_DEP_1)
	v_lshrrev_b32_e32 v36, s49, v180
	v_and_b32_e32 v37, s48, v36
	s_delay_alu instid0(VALU_DEP_1)
	v_and_b32_e32 v36, 1, v37
	v_lshlrev_b32_e32 v41, 30, v37
	v_lshlrev_b32_e32 v42, 29, v37
	;; [unrolled: 1-line block ×4, first 2 shown]
	v_add_co_u32 v36, s15, v36, -1
	s_wait_alu 0xf1ff
	v_cndmask_b32_e64 v184, 0, 1, s15
	v_not_b32_e32 v188, v41
	v_cmp_gt_i32_e64 s15, 0, v41
	v_not_b32_e32 v41, v42
	v_lshlrev_b32_e32 v186, 26, v37
	v_cmp_ne_u32_e32 vcc_lo, 0, v184
	v_ashrrev_i32_e32 v188, 31, v188
	v_lshlrev_b32_e32 v187, 25, v37
	v_ashrrev_i32_e32 v41, 31, v41
	v_lshlrev_b32_e32 v184, 24, v37
	s_wait_alu 0xfffd
	v_xor_b32_e32 v36, vcc_lo, v36
	v_cmp_gt_i32_e32 vcc_lo, 0, v42
	v_not_b32_e32 v42, v43
	s_wait_alu 0xf1ff
	v_xor_b32_e32 v188, s15, v188
	v_cmp_gt_i32_e64 s15, 0, v43
	v_and_b32_e32 v36, exec_lo, v36
	v_not_b32_e32 v43, v185
	v_ashrrev_i32_e32 v42, 31, v42
	s_wait_alu 0xfffd
	v_xor_b32_e32 v41, vcc_lo, v41
	v_cmp_gt_i32_e32 vcc_lo, 0, v185
	v_and_b32_e32 v36, v36, v188
	v_not_b32_e32 v185, v186
	v_ashrrev_i32_e32 v43, 31, v43
	s_wait_alu 0xf1ff
	v_xor_b32_e32 v42, s15, v42
	v_cmp_gt_i32_e64 s15, 0, v186
	v_and_b32_e32 v36, v36, v41
	v_not_b32_e32 v41, v187
	v_ashrrev_i32_e32 v185, 31, v185
	s_wait_alu 0xfffd
	v_xor_b32_e32 v43, vcc_lo, v43
	v_cmp_gt_i32_e32 vcc_lo, 0, v187
	v_and_b32_e32 v36, v36, v42
	v_not_b32_e32 v42, v184
	v_ashrrev_i32_e32 v41, 31, v41
	s_wait_alu 0xf1ff
	v_xor_b32_e32 v185, s15, v185
	v_cmp_gt_i32_e64 s15, 0, v184
	v_and_b32_e32 v36, v36, v43
	v_ashrrev_i32_e32 v42, 31, v42
	s_wait_alu 0xfffd
	v_xor_b32_e32 v41, vcc_lo, v41
	v_mad_u32_u24 v43, v37, 36, v118
	v_mul_u32_u24_e32 v37, 36, v37
	v_and_b32_e32 v36, v36, v185
	s_wait_alu 0xf1ff
	v_xor_b32_e32 v42, s15, v42
	ds_load_b32 v185, v43 offset:1056
	v_add_nc_u32_e32 v187, v118, v37
	v_and_b32_e32 v36, v36, v41
	; wave barrier
	s_delay_alu instid0(VALU_DEP_1) | instskip(NEXT) | instid1(VALU_DEP_1)
	v_and_b32_e32 v36, v36, v42
	v_mbcnt_lo_u32_b32 v186, v36, 0
	v_cmp_ne_u32_e64 s15, 0, v36
	s_delay_alu instid0(VALU_DEP_2)
	v_cmp_eq_u32_e32 vcc_lo, 0, v186
	s_and_b32 s16, s15, vcc_lo
	s_wait_alu 0xfffe
	s_and_saveexec_b32 s15, s16
	s_cbranch_execz .LBB532_1042
; %bb.1041:                             ;   in Loop: Header=BB532_982 Depth=2
	s_wait_dscnt 0x0
	v_bcnt_u32_b32 v36, v36, v185
	ds_store_b32 v187, v36 offset:1056
.LBB532_1042:                           ;   in Loop: Header=BB532_982 Depth=2
	s_wait_alu 0xfffe
	s_or_b32 exec_lo, exec_lo, s15
	v_xor_b32_e32 v184, 0x7fffffff, v40
	; wave barrier
	s_delay_alu instid0(VALU_DEP_1) | instskip(NEXT) | instid1(VALU_DEP_1)
	v_lshrrev_b32_e32 v36, s49, v184
	v_and_b32_e32 v37, s48, v36
	s_delay_alu instid0(VALU_DEP_1)
	v_and_b32_e32 v36, 1, v37
	v_lshlrev_b32_e32 v40, 30, v37
	v_lshlrev_b32_e32 v41, 29, v37
	;; [unrolled: 1-line block ×4, first 2 shown]
	v_add_co_u32 v36, s15, v36, -1
	s_wait_alu 0xf1ff
	v_cndmask_b32_e64 v43, 0, 1, s15
	v_not_b32_e32 v191, v40
	v_cmp_gt_i32_e64 s15, 0, v40
	v_not_b32_e32 v40, v41
	v_lshlrev_b32_e32 v189, 26, v37
	v_cmp_ne_u32_e32 vcc_lo, 0, v43
	v_ashrrev_i32_e32 v191, 31, v191
	v_lshlrev_b32_e32 v190, 25, v37
	v_ashrrev_i32_e32 v40, 31, v40
	v_lshlrev_b32_e32 v43, 24, v37
	s_wait_alu 0xfffd
	v_xor_b32_e32 v36, vcc_lo, v36
	v_cmp_gt_i32_e32 vcc_lo, 0, v41
	v_not_b32_e32 v41, v42
	s_wait_alu 0xf1ff
	v_xor_b32_e32 v191, s15, v191
	v_cmp_gt_i32_e64 s15, 0, v42
	v_and_b32_e32 v36, exec_lo, v36
	v_not_b32_e32 v42, v188
	v_ashrrev_i32_e32 v41, 31, v41
	s_wait_alu 0xfffd
	v_xor_b32_e32 v40, vcc_lo, v40
	v_cmp_gt_i32_e32 vcc_lo, 0, v188
	v_and_b32_e32 v36, v36, v191
	v_not_b32_e32 v188, v189
	v_ashrrev_i32_e32 v42, 31, v42
	s_wait_alu 0xf1ff
	v_xor_b32_e32 v41, s15, v41
	v_cmp_gt_i32_e64 s15, 0, v189
	v_and_b32_e32 v36, v36, v40
	v_not_b32_e32 v40, v190
	v_ashrrev_i32_e32 v188, 31, v188
	s_wait_alu 0xfffd
	v_xor_b32_e32 v42, vcc_lo, v42
	v_cmp_gt_i32_e32 vcc_lo, 0, v190
	v_and_b32_e32 v36, v36, v41
	v_not_b32_e32 v41, v43
	v_ashrrev_i32_e32 v40, 31, v40
	s_wait_alu 0xf1ff
	v_xor_b32_e32 v188, s15, v188
	v_cmp_gt_i32_e64 s15, 0, v43
	v_and_b32_e32 v36, v36, v42
	v_ashrrev_i32_e32 v41, 31, v41
	s_wait_alu 0xfffd
	v_xor_b32_e32 v40, vcc_lo, v40
	v_mad_u32_u24 v42, v37, 36, v118
	v_mul_u32_u24_e32 v37, 36, v37
	v_and_b32_e32 v36, v36, v188
	s_wait_alu 0xf1ff
	v_xor_b32_e32 v41, s15, v41
	ds_load_b32 v189, v42 offset:1056
	v_add_nc_u32_e32 v191, v118, v37
	v_and_b32_e32 v36, v36, v40
	; wave barrier
	s_delay_alu instid0(VALU_DEP_1) | instskip(NEXT) | instid1(VALU_DEP_1)
	v_and_b32_e32 v36, v36, v41
	v_mbcnt_lo_u32_b32 v190, v36, 0
	v_cmp_ne_u32_e64 s15, 0, v36
	s_delay_alu instid0(VALU_DEP_2)
	v_cmp_eq_u32_e32 vcc_lo, 0, v190
	s_and_b32 s16, s15, vcc_lo
	s_wait_alu 0xfffe
	s_and_saveexec_b32 s15, s16
	s_cbranch_execz .LBB532_1044
; %bb.1043:                             ;   in Loop: Header=BB532_982 Depth=2
	s_wait_dscnt 0x0
	v_bcnt_u32_b32 v36, v36, v189
	ds_store_b32 v191, v36 offset:1056
.LBB532_1044:                           ;   in Loop: Header=BB532_982 Depth=2
	s_wait_alu 0xfffe
	s_or_b32 exec_lo, exec_lo, s15
	v_xor_b32_e32 v188, 0x7fffffff, v39
	; wave barrier
	s_delay_alu instid0(VALU_DEP_1) | instskip(NEXT) | instid1(VALU_DEP_1)
	v_lshrrev_b32_e32 v36, s49, v188
	v_and_b32_e32 v37, s48, v36
	s_delay_alu instid0(VALU_DEP_1)
	v_and_b32_e32 v36, 1, v37
	v_lshlrev_b32_e32 v39, 30, v37
	v_lshlrev_b32_e32 v40, 29, v37
	;; [unrolled: 1-line block ×4, first 2 shown]
	v_add_co_u32 v36, s15, v36, -1
	s_wait_alu 0xf1ff
	v_cndmask_b32_e64 v42, 0, 1, s15
	v_not_b32_e32 v194, v39
	v_cmp_gt_i32_e64 s15, 0, v39
	v_not_b32_e32 v39, v40
	v_lshlrev_b32_e32 v192, 26, v37
	v_cmp_ne_u32_e32 vcc_lo, 0, v42
	v_ashrrev_i32_e32 v194, 31, v194
	v_lshlrev_b32_e32 v193, 25, v37
	v_ashrrev_i32_e32 v39, 31, v39
	v_lshlrev_b32_e32 v42, 24, v37
	s_wait_alu 0xfffd
	v_xor_b32_e32 v36, vcc_lo, v36
	v_cmp_gt_i32_e32 vcc_lo, 0, v40
	v_not_b32_e32 v40, v41
	s_wait_alu 0xf1ff
	v_xor_b32_e32 v194, s15, v194
	v_cmp_gt_i32_e64 s15, 0, v41
	v_and_b32_e32 v36, exec_lo, v36
	v_not_b32_e32 v41, v43
	v_ashrrev_i32_e32 v40, 31, v40
	s_wait_alu 0xfffd
	v_xor_b32_e32 v39, vcc_lo, v39
	v_cmp_gt_i32_e32 vcc_lo, 0, v43
	v_and_b32_e32 v36, v36, v194
	v_not_b32_e32 v43, v192
	v_ashrrev_i32_e32 v41, 31, v41
	s_wait_alu 0xf1ff
	v_xor_b32_e32 v40, s15, v40
	v_cmp_gt_i32_e64 s15, 0, v192
	v_and_b32_e32 v36, v36, v39
	v_not_b32_e32 v39, v193
	v_ashrrev_i32_e32 v43, 31, v43
	s_wait_alu 0xfffd
	v_xor_b32_e32 v41, vcc_lo, v41
	v_cmp_gt_i32_e32 vcc_lo, 0, v193
	v_and_b32_e32 v36, v36, v40
	v_not_b32_e32 v40, v42
	v_ashrrev_i32_e32 v39, 31, v39
	s_wait_alu 0xf1ff
	v_xor_b32_e32 v43, s15, v43
	v_cmp_gt_i32_e64 s15, 0, v42
	v_and_b32_e32 v36, v36, v41
	v_ashrrev_i32_e32 v40, 31, v40
	s_wait_alu 0xfffd
	v_xor_b32_e32 v39, vcc_lo, v39
	v_mad_u32_u24 v41, v37, 36, v118
	v_mul_u32_u24_e32 v37, 36, v37
	v_and_b32_e32 v36, v36, v43
	s_wait_alu 0xf1ff
	v_xor_b32_e32 v40, s15, v40
	ds_load_b32 v193, v41 offset:1056
	v_add_nc_u32_e32 v195, v118, v37
	v_and_b32_e32 v36, v36, v39
	; wave barrier
	s_delay_alu instid0(VALU_DEP_1) | instskip(NEXT) | instid1(VALU_DEP_1)
	v_and_b32_e32 v36, v36, v40
	v_mbcnt_lo_u32_b32 v194, v36, 0
	v_cmp_ne_u32_e64 s15, 0, v36
	s_delay_alu instid0(VALU_DEP_2)
	v_cmp_eq_u32_e32 vcc_lo, 0, v194
	s_and_b32 s16, s15, vcc_lo
	s_wait_alu 0xfffe
	s_and_saveexec_b32 s15, s16
	s_cbranch_execz .LBB532_1046
; %bb.1045:                             ;   in Loop: Header=BB532_982 Depth=2
	s_wait_dscnt 0x0
	v_bcnt_u32_b32 v36, v36, v193
	ds_store_b32 v195, v36 offset:1056
.LBB532_1046:                           ;   in Loop: Header=BB532_982 Depth=2
	s_wait_alu 0xfffe
	s_or_b32 exec_lo, exec_lo, s15
	v_xor_b32_e32 v192, 0x7fffffff, v38
	; wave barrier
	s_delay_alu instid0(VALU_DEP_1) | instskip(NEXT) | instid1(VALU_DEP_1)
	v_lshrrev_b32_e32 v36, s49, v192
	v_and_b32_e32 v37, s48, v36
	s_delay_alu instid0(VALU_DEP_1)
	v_and_b32_e32 v36, 1, v37
	v_lshlrev_b32_e32 v38, 30, v37
	v_lshlrev_b32_e32 v39, 29, v37
	;; [unrolled: 1-line block ×4, first 2 shown]
	v_add_co_u32 v36, s15, v36, -1
	s_wait_alu 0xf1ff
	v_cndmask_b32_e64 v41, 0, 1, s15
	v_not_b32_e32 v197, v38
	v_cmp_gt_i32_e64 s15, 0, v38
	v_not_b32_e32 v38, v39
	v_lshlrev_b32_e32 v43, 26, v37
	v_cmp_ne_u32_e32 vcc_lo, 0, v41
	v_ashrrev_i32_e32 v197, 31, v197
	v_lshlrev_b32_e32 v196, 25, v37
	v_ashrrev_i32_e32 v38, 31, v38
	v_lshlrev_b32_e32 v41, 24, v37
	s_wait_alu 0xfffd
	v_xor_b32_e32 v36, vcc_lo, v36
	v_cmp_gt_i32_e32 vcc_lo, 0, v39
	v_not_b32_e32 v39, v40
	s_wait_alu 0xf1ff
	v_xor_b32_e32 v197, s15, v197
	v_cmp_gt_i32_e64 s15, 0, v40
	v_and_b32_e32 v36, exec_lo, v36
	v_not_b32_e32 v40, v42
	v_ashrrev_i32_e32 v39, 31, v39
	s_wait_alu 0xfffd
	v_xor_b32_e32 v38, vcc_lo, v38
	v_cmp_gt_i32_e32 vcc_lo, 0, v42
	v_and_b32_e32 v36, v36, v197
	v_not_b32_e32 v42, v43
	v_ashrrev_i32_e32 v40, 31, v40
	s_wait_alu 0xf1ff
	v_xor_b32_e32 v39, s15, v39
	v_cmp_gt_i32_e64 s15, 0, v43
	v_and_b32_e32 v36, v36, v38
	v_not_b32_e32 v38, v196
	v_ashrrev_i32_e32 v42, 31, v42
	s_wait_alu 0xfffd
	v_xor_b32_e32 v40, vcc_lo, v40
	v_cmp_gt_i32_e32 vcc_lo, 0, v196
	v_and_b32_e32 v36, v36, v39
	v_not_b32_e32 v39, v41
	v_ashrrev_i32_e32 v38, 31, v38
	s_wait_alu 0xf1ff
	v_xor_b32_e32 v42, s15, v42
	v_cmp_gt_i32_e64 s15, 0, v41
	v_and_b32_e32 v36, v36, v40
	v_ashrrev_i32_e32 v39, 31, v39
	s_wait_alu 0xfffd
	v_xor_b32_e32 v38, vcc_lo, v38
	v_mad_u32_u24 v40, v37, 36, v118
	v_mul_u32_u24_e32 v37, 36, v37
	v_and_b32_e32 v36, v36, v42
	s_wait_alu 0xf1ff
	v_xor_b32_e32 v39, s15, v39
	ds_load_b32 v196, v40 offset:1056
	v_add_nc_u32_e32 v198, v118, v37
	v_and_b32_e32 v36, v36, v38
	; wave barrier
	s_delay_alu instid0(VALU_DEP_1) | instskip(NEXT) | instid1(VALU_DEP_1)
	v_and_b32_e32 v36, v36, v39
	v_mbcnt_lo_u32_b32 v197, v36, 0
	v_cmp_ne_u32_e64 s15, 0, v36
	s_delay_alu instid0(VALU_DEP_2)
	v_cmp_eq_u32_e32 vcc_lo, 0, v197
	s_and_b32 s16, s15, vcc_lo
	s_wait_alu 0xfffe
	s_and_saveexec_b32 s15, s16
	s_cbranch_execz .LBB532_1048
; %bb.1047:                             ;   in Loop: Header=BB532_982 Depth=2
	s_wait_dscnt 0x0
	v_bcnt_u32_b32 v36, v36, v196
	ds_store_b32 v198, v36 offset:1056
.LBB532_1048:                           ;   in Loop: Header=BB532_982 Depth=2
	s_wait_alu 0xfffe
	s_or_b32 exec_lo, exec_lo, s15
	v_lshrrev_b32_e32 v36, s49, v2
	; wave barrier
	s_delay_alu instid0(VALU_DEP_1) | instskip(NEXT) | instid1(VALU_DEP_1)
	v_and_b32_e32 v37, s48, v36
	v_and_b32_e32 v36, 1, v37
	v_lshlrev_b32_e32 v38, 30, v37
	v_lshlrev_b32_e32 v39, 29, v37
	v_lshlrev_b32_e32 v40, 28, v37
	v_lshlrev_b32_e32 v42, 27, v37
	v_add_co_u32 v36, s15, v36, -1
	s_wait_alu 0xf1ff
	v_cndmask_b32_e64 v41, 0, 1, s15
	v_not_b32_e32 v200, v38
	v_cmp_gt_i32_e64 s15, 0, v38
	v_not_b32_e32 v38, v39
	v_lshlrev_b32_e32 v43, 26, v37
	v_cmp_ne_u32_e32 vcc_lo, 0, v41
	v_ashrrev_i32_e32 v200, 31, v200
	v_lshlrev_b32_e32 v199, 25, v37
	v_ashrrev_i32_e32 v38, 31, v38
	v_lshlrev_b32_e32 v41, 24, v37
	s_wait_alu 0xfffd
	v_xor_b32_e32 v36, vcc_lo, v36
	v_cmp_gt_i32_e32 vcc_lo, 0, v39
	v_not_b32_e32 v39, v40
	s_wait_alu 0xf1ff
	v_xor_b32_e32 v200, s15, v200
	v_cmp_gt_i32_e64 s15, 0, v40
	v_and_b32_e32 v36, exec_lo, v36
	v_not_b32_e32 v40, v42
	v_ashrrev_i32_e32 v39, 31, v39
	s_wait_alu 0xfffd
	v_xor_b32_e32 v38, vcc_lo, v38
	v_cmp_gt_i32_e32 vcc_lo, 0, v42
	v_and_b32_e32 v36, v36, v200
	v_not_b32_e32 v42, v43
	v_ashrrev_i32_e32 v40, 31, v40
	s_wait_alu 0xf1ff
	v_xor_b32_e32 v39, s15, v39
	v_cmp_gt_i32_e64 s15, 0, v43
	v_and_b32_e32 v36, v36, v38
	v_not_b32_e32 v38, v199
	v_ashrrev_i32_e32 v42, 31, v42
	s_wait_alu 0xfffd
	v_xor_b32_e32 v40, vcc_lo, v40
	v_cmp_gt_i32_e32 vcc_lo, 0, v199
	v_and_b32_e32 v36, v36, v39
	v_not_b32_e32 v39, v41
	v_ashrrev_i32_e32 v38, 31, v38
	s_wait_alu 0xf1ff
	v_xor_b32_e32 v42, s15, v42
	v_cmp_gt_i32_e64 s15, 0, v41
	v_and_b32_e32 v36, v36, v40
	v_ashrrev_i32_e32 v39, 31, v39
	s_wait_alu 0xfffd
	v_xor_b32_e32 v38, vcc_lo, v38
	v_mad_u32_u24 v40, v37, 36, v118
	v_mul_u32_u24_e32 v37, 36, v37
	v_and_b32_e32 v36, v36, v42
	s_wait_alu 0xf1ff
	v_xor_b32_e32 v39, s15, v39
	ds_load_b32 v199, v40 offset:1056
	v_add_nc_u32_e32 v201, v118, v37
	v_and_b32_e32 v36, v36, v38
	; wave barrier
	s_delay_alu instid0(VALU_DEP_1) | instskip(NEXT) | instid1(VALU_DEP_1)
	v_and_b32_e32 v36, v36, v39
	v_mbcnt_lo_u32_b32 v200, v36, 0
	v_cmp_ne_u32_e64 s15, 0, v36
	s_delay_alu instid0(VALU_DEP_2)
	v_cmp_eq_u32_e32 vcc_lo, 0, v200
	s_and_b32 s16, s15, vcc_lo
	s_wait_alu 0xfffe
	s_and_saveexec_b32 s15, s16
	s_cbranch_execz .LBB532_1050
; %bb.1049:                             ;   in Loop: Header=BB532_982 Depth=2
	s_wait_dscnt 0x0
	v_bcnt_u32_b32 v36, v36, v199
	ds_store_b32 v201, v36 offset:1056
.LBB532_1050:                           ;   in Loop: Header=BB532_982 Depth=2
	s_wait_alu 0xfffe
	s_or_b32 exec_lo, exec_lo, s15
	; wave barrier
	s_wait_loadcnt_dscnt 0x0
	s_barrier_signal -1
	s_barrier_wait -1
	global_inv scope:SCOPE_SE
	ds_load_2addr_b32 v[42:43], v140 offset1:1
	ds_load_2addr_b32 v[40:41], v141 offset1:1
	;; [unrolled: 1-line block ×4, first 2 shown]
	ds_load_b32 v202, v67 offset:1088
	s_wait_dscnt 0x3
	v_add3_u32 v203, v43, v42, v40
	s_wait_dscnt 0x2
	s_delay_alu instid0(VALU_DEP_1) | instskip(SKIP_1) | instid1(VALU_DEP_1)
	v_add3_u32 v203, v203, v41, v38
	s_wait_dscnt 0x1
	v_add3_u32 v203, v203, v39, v36
	s_wait_dscnt 0x0
	s_delay_alu instid0(VALU_DEP_1) | instskip(NEXT) | instid1(VALU_DEP_1)
	v_add3_u32 v202, v203, v37, v202
	v_mov_b32_dpp v203, v202 row_shr:1 row_mask:0xf bank_mask:0xf
	s_delay_alu instid0(VALU_DEP_1) | instskip(NEXT) | instid1(VALU_DEP_1)
	v_cndmask_b32_e64 v203, v203, 0, s0
	v_add_nc_u32_e32 v202, v203, v202
	s_delay_alu instid0(VALU_DEP_1) | instskip(NEXT) | instid1(VALU_DEP_1)
	v_mov_b32_dpp v203, v202 row_shr:2 row_mask:0xf bank_mask:0xf
	v_cndmask_b32_e64 v203, 0, v203, s1
	s_delay_alu instid0(VALU_DEP_1) | instskip(NEXT) | instid1(VALU_DEP_1)
	v_add_nc_u32_e32 v202, v202, v203
	v_mov_b32_dpp v203, v202 row_shr:4 row_mask:0xf bank_mask:0xf
	s_delay_alu instid0(VALU_DEP_1) | instskip(NEXT) | instid1(VALU_DEP_1)
	v_cndmask_b32_e64 v203, 0, v203, s9
	v_add_nc_u32_e32 v202, v202, v203
	s_delay_alu instid0(VALU_DEP_1) | instskip(NEXT) | instid1(VALU_DEP_1)
	v_mov_b32_dpp v203, v202 row_shr:8 row_mask:0xf bank_mask:0xf
	v_cndmask_b32_e64 v203, 0, v203, s10
	s_delay_alu instid0(VALU_DEP_1) | instskip(SKIP_3) | instid1(VALU_DEP_1)
	v_add_nc_u32_e32 v202, v202, v203
	ds_swizzle_b32 v203, v202 offset:swizzle(BROADCAST,32,15)
	s_wait_dscnt 0x0
	v_cndmask_b32_e64 v203, v203, 0, s11
	v_add_nc_u32_e32 v202, v202, v203
	s_and_saveexec_b32 s15, s3
; %bb.1051:                             ;   in Loop: Header=BB532_982 Depth=2
	ds_store_b32 v63, v202 offset:1024
; %bb.1052:                             ;   in Loop: Header=BB532_982 Depth=2
	s_wait_alu 0xfffe
	s_or_b32 exec_lo, exec_lo, s15
	s_wait_loadcnt_dscnt 0x0
	s_barrier_signal -1
	s_barrier_wait -1
	global_inv scope:SCOPE_SE
	s_and_saveexec_b32 s15, s4
	s_cbranch_execz .LBB532_1054
; %bb.1053:                             ;   in Loop: Header=BB532_982 Depth=2
	ds_load_b32 v203, v70 offset:1024
	s_wait_dscnt 0x0
	v_mov_b32_dpp v204, v203 row_shr:1 row_mask:0xf bank_mask:0xf
	s_delay_alu instid0(VALU_DEP_1) | instskip(NEXT) | instid1(VALU_DEP_1)
	v_cndmask_b32_e64 v204, v204, 0, s12
	v_add_nc_u32_e32 v203, v204, v203
	s_delay_alu instid0(VALU_DEP_1) | instskip(NEXT) | instid1(VALU_DEP_1)
	v_mov_b32_dpp v204, v203 row_shr:2 row_mask:0xf bank_mask:0xf
	v_cndmask_b32_e64 v204, 0, v204, s13
	s_delay_alu instid0(VALU_DEP_1) | instskip(NEXT) | instid1(VALU_DEP_1)
	v_add_nc_u32_e32 v203, v203, v204
	v_mov_b32_dpp v204, v203 row_shr:4 row_mask:0xf bank_mask:0xf
	s_delay_alu instid0(VALU_DEP_1) | instskip(NEXT) | instid1(VALU_DEP_1)
	v_cndmask_b32_e64 v204, 0, v204, s14
	v_add_nc_u32_e32 v203, v203, v204
	ds_store_b32 v70, v203 offset:1024
.LBB532_1054:                           ;   in Loop: Header=BB532_982 Depth=2
	s_wait_alu 0xfffe
	s_or_b32 exec_lo, exec_lo, s15
	v_mov_b32_e32 v203, 0
	s_wait_loadcnt_dscnt 0x0
	s_barrier_signal -1
	s_barrier_wait -1
	global_inv scope:SCOPE_SE
	s_and_saveexec_b32 s15, s5
; %bb.1055:                             ;   in Loop: Header=BB532_982 Depth=2
	ds_load_b32 v203, v63 offset:1020
; %bb.1056:                             ;   in Loop: Header=BB532_982 Depth=2
	s_wait_alu 0xfffe
	s_or_b32 exec_lo, exec_lo, s15
	s_wait_dscnt 0x0
	v_add_nc_u32_e32 v202, v203, v202
	ds_bpermute_b32 v202, v113, v202
	s_wait_dscnt 0x0
	v_cndmask_b32_e64 v202, v202, v203, s8
	s_delay_alu instid0(VALU_DEP_1) | instskip(NEXT) | instid1(VALU_DEP_1)
	v_cndmask_b32_e64 v202, v202, 0, s6
	v_add_nc_u32_e32 v42, v202, v42
	s_delay_alu instid0(VALU_DEP_1) | instskip(NEXT) | instid1(VALU_DEP_1)
	v_add_nc_u32_e32 v43, v42, v43
	v_add_nc_u32_e32 v40, v43, v40
	s_delay_alu instid0(VALU_DEP_1) | instskip(NEXT) | instid1(VALU_DEP_1)
	v_add_nc_u32_e32 v41, v40, v41
	v_add_nc_u32_e32 v38, v41, v38
	s_delay_alu instid0(VALU_DEP_1) | instskip(NEXT) | instid1(VALU_DEP_1)
	v_add_nc_u32_e32 v39, v38, v39
	v_add_nc_u32_e32 v36, v39, v36
	s_delay_alu instid0(VALU_DEP_1)
	v_add_nc_u32_e32 v37, v36, v37
	ds_store_2addr_b32 v139, v39, v36 offset1:1
	ds_store_2addr_b32 v140, v202, v42 offset1:1
	;; [unrolled: 1-line block ×4, first 2 shown]
	ds_store_b32 v67, v37 offset:1088
	s_wait_loadcnt_dscnt 0x0
	s_barrier_signal -1
	s_barrier_wait -1
	global_inv scope:SCOPE_SE
	ds_load_b32 v39, v143 offset:1056
	ds_load_b32 v41, v147 offset:1056
	;; [unrolled: 1-line block ×17, first 2 shown]
	v_mov_b32_e32 v38, 0x1000
	s_and_saveexec_b32 s15, s7
; %bb.1057:                             ;   in Loop: Header=BB532_982 Depth=2
	ds_load_b32 v38, v67 offset:1092
; %bb.1058:                             ;   in Loop: Header=BB532_982 Depth=2
	s_wait_alu 0xfffe
	s_or_b32 exec_lo, exec_lo, s15
	s_wait_loadcnt_dscnt 0x0
	s_barrier_signal -1
	s_barrier_wait -1
	global_inv scope:SCOPE_SE
	s_and_saveexec_b32 s15, s2
	s_cbranch_execz .LBB532_1060
; %bb.1059:                             ;   in Loop: Header=BB532_982 Depth=2
	ds_load_b32 v143, v44
	s_wait_dscnt 0x0
	v_sub_nc_u32_e32 v142, v143, v142
	ds_store_b32 v44, v142
.LBB532_1060:                           ;   in Loop: Header=BB532_982 Depth=2
	s_wait_alu 0xfffe
	s_or_b32 exec_lo, exec_lo, s15
	v_add_nc_u32_e32 v155, v39, v138
	v_add3_u32 v151, v146, v145, v41
	v_add3_u32 v147, v150, v149, v42
	;; [unrolled: 1-line block ×4, first 2 shown]
	v_lshlrev_b32_e32 v149, 2, v155
	v_add3_u32 v143, v162, v161, v140
	v_add3_u32 v142, v166, v165, v141
	;; [unrolled: 1-line block ×3, first 2 shown]
	v_lshlrev_b32_e32 v36, 2, v151
	v_add3_u32 v141, v170, v169, v163
	v_add3_u32 v42, v194, v193, v37
	v_lshlrev_b32_e32 v37, 2, v147
	v_add3_u32 v140, v174, v173, v168
	ds_store_b32 v149, v136 offset:1024
	v_lshlrev_b32_e32 v136, 2, v146
	v_add3_u32 v139, v178, v177, v171
	v_lshlrev_b32_e32 v149, 2, v145
	v_add3_u32 v138, v182, v181, v175
	;; [unrolled: 2-line block ×3, first 2 shown]
	ds_store_b32 v36, v137 offset:1024
	ds_store_b32 v37, v144 offset:1024
	;; [unrolled: 1-line block ×5, first 2 shown]
	v_lshlrev_b32_e32 v36, 2, v142
	v_lshlrev_b32_e32 v37, 2, v141
	v_lshlrev_b32_e32 v136, 2, v140
	v_add3_u32 v41, v197, v196, v40
	v_lshlrev_b32_e32 v137, 2, v139
	v_add3_u32 v40, v200, v199, v159
	v_lshlrev_b32_e32 v144, 2, v138
	ds_store_b32 v36, v160 offset:1024
	ds_store_b32 v37, v164 offset:1024
	ds_store_b32 v136, v167 offset:1024
	ds_store_b32 v137, v172 offset:1024
	ds_store_b32 v144, v176 offset:1024
	v_lshlrev_b32_e32 v36, 2, v39
	v_cmp_lt_u32_e32 vcc_lo, v1, v135
	v_lshlrev_b32_e32 v37, 2, v43
	v_lshlrev_b32_e32 v136, 2, v42
	;; [unrolled: 1-line block ×4, first 2 shown]
	ds_store_b32 v36, v180 offset:1024
	ds_store_b32 v37, v184 offset:1024
	;; [unrolled: 1-line block ×5, first 2 shown]
	s_wait_loadcnt_dscnt 0x0
	s_barrier_signal -1
	s_barrier_wait -1
	global_inv scope:SCOPE_SE
	s_and_saveexec_b32 s16, vcc_lo
	s_cbranch_execnz .LBB532_1129
; %bb.1061:                             ;   in Loop: Header=BB532_982 Depth=2
	s_wait_alu 0xfffe
	s_or_b32 exec_lo, exec_lo, s16
	v_cmp_lt_u32_e64 s15, v45, v135
	s_and_saveexec_b32 s17, s15
	s_cbranch_execnz .LBB532_1130
.LBB532_1062:                           ;   in Loop: Header=BB532_982 Depth=2
	s_wait_alu 0xfffe
	s_or_b32 exec_lo, exec_lo, s17
	v_cmp_lt_u32_e64 s16, v46, v135
	s_and_saveexec_b32 s18, s16
	s_cbranch_execnz .LBB532_1131
.LBB532_1063:                           ;   in Loop: Header=BB532_982 Depth=2
	s_wait_alu 0xfffe
	s_or_b32 exec_lo, exec_lo, s18
	v_cmp_lt_u32_e64 s17, v47, v135
	s_and_saveexec_b32 s19, s17
	s_cbranch_execnz .LBB532_1132
.LBB532_1064:                           ;   in Loop: Header=BB532_982 Depth=2
	s_wait_alu 0xfffe
	s_or_b32 exec_lo, exec_lo, s19
	v_cmp_lt_u32_e64 s18, v50, v135
	s_and_saveexec_b32 s20, s18
	s_cbranch_execnz .LBB532_1133
.LBB532_1065:                           ;   in Loop: Header=BB532_982 Depth=2
	s_wait_alu 0xfffe
	s_or_b32 exec_lo, exec_lo, s20
	v_cmp_lt_u32_e64 s19, v51, v135
	s_and_saveexec_b32 s21, s19
	s_cbranch_execnz .LBB532_1134
.LBB532_1066:                           ;   in Loop: Header=BB532_982 Depth=2
	s_wait_alu 0xfffe
	s_or_b32 exec_lo, exec_lo, s21
	v_cmp_lt_u32_e64 s20, v52, v135
	s_and_saveexec_b32 s22, s20
	s_cbranch_execnz .LBB532_1135
.LBB532_1067:                           ;   in Loop: Header=BB532_982 Depth=2
	s_wait_alu 0xfffe
	s_or_b32 exec_lo, exec_lo, s22
	v_cmp_lt_u32_e64 s21, v53, v135
	s_and_saveexec_b32 s23, s21
	s_cbranch_execnz .LBB532_1136
.LBB532_1068:                           ;   in Loop: Header=BB532_982 Depth=2
	s_wait_alu 0xfffe
	s_or_b32 exec_lo, exec_lo, s23
	v_cmp_lt_u32_e64 s22, v54, v135
	s_and_saveexec_b32 s24, s22
	s_cbranch_execnz .LBB532_1137
.LBB532_1069:                           ;   in Loop: Header=BB532_982 Depth=2
	s_wait_alu 0xfffe
	s_or_b32 exec_lo, exec_lo, s24
	v_cmp_lt_u32_e64 s23, v55, v135
	s_and_saveexec_b32 s25, s23
	s_cbranch_execnz .LBB532_1138
.LBB532_1070:                           ;   in Loop: Header=BB532_982 Depth=2
	s_wait_alu 0xfffe
	s_or_b32 exec_lo, exec_lo, s25
	v_cmp_lt_u32_e64 s24, v56, v135
	s_and_saveexec_b32 s26, s24
	s_cbranch_execnz .LBB532_1139
.LBB532_1071:                           ;   in Loop: Header=BB532_982 Depth=2
	s_wait_alu 0xfffe
	s_or_b32 exec_lo, exec_lo, s26
	v_cmp_lt_u32_e64 s25, v57, v135
	s_and_saveexec_b32 s27, s25
	s_cbranch_execnz .LBB532_1140
.LBB532_1072:                           ;   in Loop: Header=BB532_982 Depth=2
	s_wait_alu 0xfffe
	s_or_b32 exec_lo, exec_lo, s27
	v_cmp_lt_u32_e64 s26, v58, v135
	s_and_saveexec_b32 s28, s26
	s_cbranch_execnz .LBB532_1141
.LBB532_1073:                           ;   in Loop: Header=BB532_982 Depth=2
	s_wait_alu 0xfffe
	s_or_b32 exec_lo, exec_lo, s28
	v_cmp_lt_u32_e64 s27, v59, v135
	s_and_saveexec_b32 s29, s27
	s_cbranch_execnz .LBB532_1142
.LBB532_1074:                           ;   in Loop: Header=BB532_982 Depth=2
	s_wait_alu 0xfffe
	s_or_b32 exec_lo, exec_lo, s29
	v_cmp_lt_u32_e64 s28, v60, v135
	s_and_saveexec_b32 s30, s28
	s_cbranch_execnz .LBB532_1143
.LBB532_1075:                           ;   in Loop: Header=BB532_982 Depth=2
	s_wait_alu 0xfffe
	s_or_b32 exec_lo, exec_lo, s30
	v_cmp_lt_u32_e64 s29, v61, v135
	s_and_saveexec_b32 s56, s29
	s_cbranch_execz .LBB532_1077
.LBB532_1076:                           ;   in Loop: Header=BB532_982 Depth=2
	ds_load_b32 v136, v70 offset:16384
	s_wait_dscnt 0x0
	v_lshrrev_b32_e32 v2, s49, v136
	s_delay_alu instid0(VALU_DEP_1) | instskip(NEXT) | instid1(VALU_DEP_1)
	v_and_b32_e32 v2, s48, v2
	v_lshlrev_b32_e32 v2, 2, v2
	ds_load_b32 v2, v2
	s_wait_dscnt 0x0
	v_add_nc_u32_e32 v2, v2, v61
	s_delay_alu instid0(VALU_DEP_1) | instskip(SKIP_1) | instid1(VALU_DEP_2)
	v_lshlrev_b64_e32 v[36:37], 2, v[2:3]
	v_xor_b32_e32 v2, 0x7fffffff, v136
	v_add_co_u32 v36, s30, s40, v36
	s_wait_alu 0xf1ff
	s_delay_alu instid0(VALU_DEP_3)
	v_add_co_ci_u32_e64 v37, null, s41, v37, s30
	global_store_b32 v[36:37], v2, off
.LBB532_1077:                           ;   in Loop: Header=BB532_982 Depth=2
	s_wait_alu 0xfffe
	s_or_b32 exec_lo, exec_lo, s56
	s_lshl_b64 s[56:57], s[42:43], 3
	s_wait_alu 0xfffe
	v_add_co_u32 v36, s30, v114, s56
	s_wait_alu 0xf1ff
	v_add_co_ci_u32_e64 v37, null, s57, v115, s30
	v_cmp_lt_u32_e64 s30, v88, v135
	s_and_saveexec_b32 s42, s30
	s_wait_alu 0xfffe
	s_xor_b32 s30, exec_lo, s42
	s_cbranch_execnz .LBB532_1144
; %bb.1078:                             ;   in Loop: Header=BB532_982 Depth=2
	s_wait_alu 0xfffe
	s_or_b32 exec_lo, exec_lo, s30
	s_delay_alu instid0(SALU_CYCLE_1)
	s_mov_b32 s42, exec_lo
	v_cmpx_lt_u32_e64 v92, v135
	s_cbranch_execnz .LBB532_1145
.LBB532_1079:                           ;   in Loop: Header=BB532_982 Depth=2
	s_wait_alu 0xfffe
	s_or_b32 exec_lo, exec_lo, s42
	s_delay_alu instid0(SALU_CYCLE_1)
	s_mov_b32 s42, exec_lo
	v_cmpx_lt_u32_e64 v93, v135
	s_cbranch_execnz .LBB532_1146
.LBB532_1080:                           ;   in Loop: Header=BB532_982 Depth=2
	s_wait_alu 0xfffe
	s_or_b32 exec_lo, exec_lo, s42
	s_delay_alu instid0(SALU_CYCLE_1)
	s_mov_b32 s42, exec_lo
	v_cmpx_lt_u32_e64 v94, v135
	s_cbranch_execnz .LBB532_1147
.LBB532_1081:                           ;   in Loop: Header=BB532_982 Depth=2
	s_wait_alu 0xfffe
	s_or_b32 exec_lo, exec_lo, s42
	s_delay_alu instid0(SALU_CYCLE_1)
	s_mov_b32 s42, exec_lo
	v_cmpx_lt_u32_e64 v95, v135
	s_cbranch_execnz .LBB532_1148
.LBB532_1082:                           ;   in Loop: Header=BB532_982 Depth=2
	s_wait_alu 0xfffe
	s_or_b32 exec_lo, exec_lo, s42
	s_delay_alu instid0(SALU_CYCLE_1)
	s_mov_b32 s42, exec_lo
	v_cmpx_lt_u32_e64 v96, v135
	s_cbranch_execnz .LBB532_1149
.LBB532_1083:                           ;   in Loop: Header=BB532_982 Depth=2
	s_wait_alu 0xfffe
	s_or_b32 exec_lo, exec_lo, s42
	s_delay_alu instid0(SALU_CYCLE_1)
	s_mov_b32 s42, exec_lo
	v_cmpx_lt_u32_e64 v97, v135
	s_cbranch_execnz .LBB532_1150
.LBB532_1084:                           ;   in Loop: Header=BB532_982 Depth=2
	s_wait_alu 0xfffe
	s_or_b32 exec_lo, exec_lo, s42
	s_delay_alu instid0(SALU_CYCLE_1)
	s_mov_b32 s42, exec_lo
	v_cmpx_lt_u32_e64 v98, v135
	s_cbranch_execnz .LBB532_1151
.LBB532_1085:                           ;   in Loop: Header=BB532_982 Depth=2
	s_wait_alu 0xfffe
	s_or_b32 exec_lo, exec_lo, s42
	s_delay_alu instid0(SALU_CYCLE_1)
	s_mov_b32 s42, exec_lo
	v_cmpx_lt_u32_e64 v99, v135
	s_cbranch_execnz .LBB532_1152
.LBB532_1086:                           ;   in Loop: Header=BB532_982 Depth=2
	s_wait_alu 0xfffe
	s_or_b32 exec_lo, exec_lo, s42
	s_delay_alu instid0(SALU_CYCLE_1)
	s_mov_b32 s42, exec_lo
	v_cmpx_lt_u32_e64 v100, v135
	s_cbranch_execnz .LBB532_1153
.LBB532_1087:                           ;   in Loop: Header=BB532_982 Depth=2
	s_wait_alu 0xfffe
	s_or_b32 exec_lo, exec_lo, s42
	s_delay_alu instid0(SALU_CYCLE_1)
	s_mov_b32 s42, exec_lo
	v_cmpx_lt_u32_e64 v101, v135
	s_cbranch_execnz .LBB532_1154
.LBB532_1088:                           ;   in Loop: Header=BB532_982 Depth=2
	s_wait_alu 0xfffe
	s_or_b32 exec_lo, exec_lo, s42
	s_delay_alu instid0(SALU_CYCLE_1)
	s_mov_b32 s42, exec_lo
	v_cmpx_lt_u32_e64 v102, v135
	s_cbranch_execnz .LBB532_1155
.LBB532_1089:                           ;   in Loop: Header=BB532_982 Depth=2
	s_wait_alu 0xfffe
	s_or_b32 exec_lo, exec_lo, s42
	s_delay_alu instid0(SALU_CYCLE_1)
	s_mov_b32 s42, exec_lo
	v_cmpx_lt_u32_e64 v103, v135
	s_cbranch_execnz .LBB532_1156
.LBB532_1090:                           ;   in Loop: Header=BB532_982 Depth=2
	s_wait_alu 0xfffe
	s_or_b32 exec_lo, exec_lo, s42
	s_delay_alu instid0(SALU_CYCLE_1)
	s_mov_b32 s42, exec_lo
	v_cmpx_lt_u32_e64 v104, v135
	s_cbranch_execnz .LBB532_1157
.LBB532_1091:                           ;   in Loop: Header=BB532_982 Depth=2
	s_wait_alu 0xfffe
	s_or_b32 exec_lo, exec_lo, s42
	s_delay_alu instid0(SALU_CYCLE_1)
	s_mov_b32 s42, exec_lo
	v_cmpx_lt_u32_e64 v105, v135
	s_cbranch_execnz .LBB532_1158
.LBB532_1092:                           ;   in Loop: Header=BB532_982 Depth=2
	s_wait_alu 0xfffe
	s_or_b32 exec_lo, exec_lo, s42
	s_delay_alu instid0(SALU_CYCLE_1)
	s_mov_b32 s42, exec_lo
	v_cmpx_lt_u32_e64 v106, v135
	s_cbranch_execnz .LBB532_1159
.LBB532_1093:                           ;   in Loop: Header=BB532_982 Depth=2
	s_wait_alu 0xfffe
	s_or_b32 exec_lo, exec_lo, s42
	s_and_saveexec_b32 s30, vcc_lo
	s_cbranch_execnz .LBB532_1160
.LBB532_1094:                           ;   in Loop: Header=BB532_982 Depth=2
	s_wait_alu 0xfffe
	s_or_b32 exec_lo, exec_lo, s30
	s_and_saveexec_b32 s30, s15
	s_cbranch_execnz .LBB532_1161
.LBB532_1095:                           ;   in Loop: Header=BB532_982 Depth=2
	s_wait_alu 0xfffe
	s_or_b32 exec_lo, exec_lo, s30
	s_and_saveexec_b32 s30, s16
	s_cbranch_execnz .LBB532_1162
.LBB532_1096:                           ;   in Loop: Header=BB532_982 Depth=2
	s_wait_alu 0xfffe
	s_or_b32 exec_lo, exec_lo, s30
	s_and_saveexec_b32 s30, s17
	s_cbranch_execnz .LBB532_1163
.LBB532_1097:                           ;   in Loop: Header=BB532_982 Depth=2
	s_wait_alu 0xfffe
	s_or_b32 exec_lo, exec_lo, s30
	s_and_saveexec_b32 s30, s18
	s_cbranch_execnz .LBB532_1164
.LBB532_1098:                           ;   in Loop: Header=BB532_982 Depth=2
	s_wait_alu 0xfffe
	s_or_b32 exec_lo, exec_lo, s30
	s_and_saveexec_b32 s30, s19
	s_cbranch_execnz .LBB532_1165
.LBB532_1099:                           ;   in Loop: Header=BB532_982 Depth=2
	s_wait_alu 0xfffe
	s_or_b32 exec_lo, exec_lo, s30
	s_and_saveexec_b32 s30, s20
	s_cbranch_execnz .LBB532_1166
.LBB532_1100:                           ;   in Loop: Header=BB532_982 Depth=2
	s_wait_alu 0xfffe
	s_or_b32 exec_lo, exec_lo, s30
	s_and_saveexec_b32 s30, s21
	s_cbranch_execnz .LBB532_1167
.LBB532_1101:                           ;   in Loop: Header=BB532_982 Depth=2
	s_wait_alu 0xfffe
	s_or_b32 exec_lo, exec_lo, s30
	s_and_saveexec_b32 s30, s22
	s_cbranch_execnz .LBB532_1168
.LBB532_1102:                           ;   in Loop: Header=BB532_982 Depth=2
	s_wait_alu 0xfffe
	s_or_b32 exec_lo, exec_lo, s30
	s_and_saveexec_b32 s30, s23
	s_cbranch_execnz .LBB532_1169
.LBB532_1103:                           ;   in Loop: Header=BB532_982 Depth=2
	s_wait_alu 0xfffe
	s_or_b32 exec_lo, exec_lo, s30
	s_and_saveexec_b32 s30, s24
	s_cbranch_execnz .LBB532_1170
.LBB532_1104:                           ;   in Loop: Header=BB532_982 Depth=2
	s_wait_alu 0xfffe
	s_or_b32 exec_lo, exec_lo, s30
	s_and_saveexec_b32 s30, s25
	s_cbranch_execnz .LBB532_1171
.LBB532_1105:                           ;   in Loop: Header=BB532_982 Depth=2
	s_wait_alu 0xfffe
	s_or_b32 exec_lo, exec_lo, s30
	s_and_saveexec_b32 s30, s26
	s_cbranch_execnz .LBB532_1172
.LBB532_1106:                           ;   in Loop: Header=BB532_982 Depth=2
	s_wait_alu 0xfffe
	s_or_b32 exec_lo, exec_lo, s30
	s_and_saveexec_b32 s30, s27
	s_cbranch_execnz .LBB532_1173
.LBB532_1107:                           ;   in Loop: Header=BB532_982 Depth=2
	s_wait_alu 0xfffe
	s_or_b32 exec_lo, exec_lo, s30
	s_and_saveexec_b32 s30, s28
	s_cbranch_execnz .LBB532_1174
.LBB532_1108:                           ;   in Loop: Header=BB532_982 Depth=2
	s_wait_alu 0xfffe
	s_or_b32 exec_lo, exec_lo, s30
	s_and_saveexec_b32 s30, s29
	s_cbranch_execz .LBB532_1110
.LBB532_1109:                           ;   in Loop: Header=BB532_982 Depth=2
	ds_load_b32 v2, v70 offset:16384
	s_wait_dscnt 0x0
	v_lshrrev_b32_e32 v2, s49, v2
	s_delay_alu instid0(VALU_DEP_1)
	v_and_b32_e32 v119, s48, v2
.LBB532_1110:                           ;   in Loop: Header=BB532_982 Depth=2
	s_wait_alu 0xfffe
	s_or_b32 exec_lo, exec_lo, s30
	v_lshlrev_b32_e32 v2, 3, v155
	s_wait_loadcnt 0x0
	s_wait_storecnt 0x0
	s_barrier_signal -1
	s_barrier_wait -1
	global_inv scope:SCOPE_SE
	ds_store_b64 v2, v[34:35] offset:1024
	v_lshlrev_b32_e32 v2, 3, v151
	v_lshlrev_b32_e32 v36, 3, v147
	v_lshlrev_b32_e32 v37, 3, v146
	v_lshlrev_b32_e32 v135, 3, v145
	v_lshlrev_b32_e32 v136, 3, v143
	ds_store_b64 v2, v[32:33] offset:1024
	ds_store_b64 v36, v[30:31] offset:1024
	ds_store_b64 v37, v[28:29] offset:1024
	ds_store_b64 v135, v[26:27] offset:1024
	ds_store_b64 v136, v[24:25] offset:1024
	v_lshlrev_b32_e32 v2, 3, v142
	v_lshlrev_b32_e32 v36, 3, v141
	v_lshlrev_b32_e32 v37, 3, v140
	v_lshlrev_b32_e32 v135, 3, v139
	v_lshlrev_b32_e32 v136, 3, v138
	ds_store_b64 v2, v[22:23] offset:1024
	ds_store_b64 v36, v[20:21] offset:1024
	ds_store_b64 v37, v[18:19] offset:1024
	ds_store_b64 v135, v[16:17] offset:1024
	;; [unrolled: 10-line block ×3, first 2 shown]
	ds_store_b64 v40, v[4:5] offset:1024
	v_add_nc_u32_e32 v36, v70, v44
	s_wait_loadcnt_dscnt 0x0
	s_barrier_signal -1
	s_barrier_wait -1
	global_inv scope:SCOPE_SE
	s_and_saveexec_b32 s30, vcc_lo
	s_cbranch_execnz .LBB532_1175
; %bb.1111:                             ;   in Loop: Header=BB532_982 Depth=2
	s_wait_alu 0xfffe
	s_or_b32 exec_lo, exec_lo, s30
	s_and_saveexec_b32 s30, s15
	s_cbranch_execnz .LBB532_1176
.LBB532_1112:                           ;   in Loop: Header=BB532_982 Depth=2
	s_wait_alu 0xfffe
	s_or_b32 exec_lo, exec_lo, s30
	s_and_saveexec_b32 s15, s16
	s_cbranch_execnz .LBB532_1177
.LBB532_1113:                           ;   in Loop: Header=BB532_982 Depth=2
	s_wait_alu 0xfffe
	s_or_b32 exec_lo, exec_lo, s15
	s_and_saveexec_b32 s15, s17
	s_cbranch_execnz .LBB532_1178
.LBB532_1114:                           ;   in Loop: Header=BB532_982 Depth=2
	s_wait_alu 0xfffe
	s_or_b32 exec_lo, exec_lo, s15
	s_and_saveexec_b32 s15, s18
	s_cbranch_execnz .LBB532_1179
.LBB532_1115:                           ;   in Loop: Header=BB532_982 Depth=2
	s_wait_alu 0xfffe
	s_or_b32 exec_lo, exec_lo, s15
	s_and_saveexec_b32 s15, s19
	s_cbranch_execnz .LBB532_1180
.LBB532_1116:                           ;   in Loop: Header=BB532_982 Depth=2
	s_wait_alu 0xfffe
	s_or_b32 exec_lo, exec_lo, s15
	s_and_saveexec_b32 s15, s20
	s_cbranch_execnz .LBB532_1181
.LBB532_1117:                           ;   in Loop: Header=BB532_982 Depth=2
	s_wait_alu 0xfffe
	s_or_b32 exec_lo, exec_lo, s15
	s_and_saveexec_b32 s15, s21
	s_cbranch_execnz .LBB532_1182
.LBB532_1118:                           ;   in Loop: Header=BB532_982 Depth=2
	s_wait_alu 0xfffe
	s_or_b32 exec_lo, exec_lo, s15
	s_and_saveexec_b32 s15, s22
	s_cbranch_execnz .LBB532_1183
.LBB532_1119:                           ;   in Loop: Header=BB532_982 Depth=2
	s_wait_alu 0xfffe
	s_or_b32 exec_lo, exec_lo, s15
	s_and_saveexec_b32 s15, s23
	s_cbranch_execnz .LBB532_1184
.LBB532_1120:                           ;   in Loop: Header=BB532_982 Depth=2
	s_wait_alu 0xfffe
	s_or_b32 exec_lo, exec_lo, s15
	s_and_saveexec_b32 s15, s24
	s_cbranch_execnz .LBB532_1185
.LBB532_1121:                           ;   in Loop: Header=BB532_982 Depth=2
	s_wait_alu 0xfffe
	s_or_b32 exec_lo, exec_lo, s15
	s_and_saveexec_b32 s15, s25
	s_cbranch_execnz .LBB532_1186
.LBB532_1122:                           ;   in Loop: Header=BB532_982 Depth=2
	s_wait_alu 0xfffe
	s_or_b32 exec_lo, exec_lo, s15
	s_and_saveexec_b32 s15, s26
	s_cbranch_execnz .LBB532_1187
.LBB532_1123:                           ;   in Loop: Header=BB532_982 Depth=2
	s_wait_alu 0xfffe
	s_or_b32 exec_lo, exec_lo, s15
	s_and_saveexec_b32 s15, s27
	s_cbranch_execnz .LBB532_1188
.LBB532_1124:                           ;   in Loop: Header=BB532_982 Depth=2
	s_wait_alu 0xfffe
	s_or_b32 exec_lo, exec_lo, s15
	s_and_saveexec_b32 s15, s28
	s_cbranch_execnz .LBB532_1189
.LBB532_1125:                           ;   in Loop: Header=BB532_982 Depth=2
	s_wait_alu 0xfffe
	s_or_b32 exec_lo, exec_lo, s15
	s_and_saveexec_b32 s15, s29
	s_cbranch_execz .LBB532_1127
.LBB532_1126:                           ;   in Loop: Header=BB532_982 Depth=2
	v_lshlrev_b32_e32 v2, 2, v119
	ds_load_b32 v2, v2
	ds_load_b64 v[36:37], v36 offset:31744
	s_wait_dscnt 0x1
	v_add_nc_u32_e32 v2, v2, v61
	s_delay_alu instid0(VALU_DEP_1) | instskip(NEXT) | instid1(VALU_DEP_1)
	v_lshlrev_b64_e32 v[39:40], 3, v[2:3]
	v_add_co_u32 v39, vcc_lo, s46, v39
	s_wait_alu 0xfffd
	s_delay_alu instid0(VALU_DEP_2)
	v_add_co_ci_u32_e64 v40, null, s47, v40, vcc_lo
	s_wait_dscnt 0x0
	global_store_b64 v[39:40], v[36:37], off
.LBB532_1127:                           ;   in Loop: Header=BB532_982 Depth=2
	s_wait_alu 0xfffe
	s_or_b32 exec_lo, exec_lo, s15
	s_wait_loadcnt 0x0
	s_wait_storecnt 0x0
	s_barrier_signal -1
	s_barrier_wait -1
	global_inv scope:SCOPE_SE
	s_and_saveexec_b32 s15, s2
	s_cbranch_execz .LBB532_981
; %bb.1128:                             ;   in Loop: Header=BB532_982 Depth=2
	ds_load_b32 v2, v44
	s_wait_dscnt 0x0
	v_add_nc_u32_e32 v2, v2, v38
	ds_store_b32 v44, v2
	s_branch .LBB532_981
.LBB532_1129:                           ;   in Loop: Header=BB532_982 Depth=2
	ds_load_b32 v136, v70 offset:1024
	s_wait_dscnt 0x0
	v_lshrrev_b32_e32 v2, s49, v136
	s_delay_alu instid0(VALU_DEP_1) | instskip(NEXT) | instid1(VALU_DEP_1)
	v_and_b32_e32 v2, s48, v2
	v_lshlrev_b32_e32 v2, 2, v2
	ds_load_b32 v2, v2
	s_wait_dscnt 0x0
	v_add_nc_u32_e32 v2, v2, v1
	s_delay_alu instid0(VALU_DEP_1) | instskip(SKIP_1) | instid1(VALU_DEP_2)
	v_lshlrev_b64_e32 v[36:37], 2, v[2:3]
	v_xor_b32_e32 v2, 0x7fffffff, v136
	v_add_co_u32 v36, s15, s40, v36
	s_wait_alu 0xf1ff
	s_delay_alu instid0(VALU_DEP_3)
	v_add_co_ci_u32_e64 v37, null, s41, v37, s15
	global_store_b32 v[36:37], v2, off
	s_wait_alu 0xfffe
	s_or_b32 exec_lo, exec_lo, s16
	v_cmp_lt_u32_e64 s15, v45, v135
	s_and_saveexec_b32 s17, s15
	s_cbranch_execz .LBB532_1062
.LBB532_1130:                           ;   in Loop: Header=BB532_982 Depth=2
	ds_load_b32 v136, v70 offset:2048
	s_wait_dscnt 0x0
	v_lshrrev_b32_e32 v2, s49, v136
	s_delay_alu instid0(VALU_DEP_1) | instskip(NEXT) | instid1(VALU_DEP_1)
	v_and_b32_e32 v2, s48, v2
	v_lshlrev_b32_e32 v2, 2, v2
	ds_load_b32 v2, v2
	s_wait_dscnt 0x0
	v_add_nc_u32_e32 v2, v2, v45
	s_delay_alu instid0(VALU_DEP_1) | instskip(SKIP_1) | instid1(VALU_DEP_2)
	v_lshlrev_b64_e32 v[36:37], 2, v[2:3]
	v_xor_b32_e32 v2, 0x7fffffff, v136
	v_add_co_u32 v36, s16, s40, v36
	s_wait_alu 0xf1ff
	s_delay_alu instid0(VALU_DEP_3)
	v_add_co_ci_u32_e64 v37, null, s41, v37, s16
	global_store_b32 v[36:37], v2, off
	s_wait_alu 0xfffe
	s_or_b32 exec_lo, exec_lo, s17
	v_cmp_lt_u32_e64 s16, v46, v135
	s_and_saveexec_b32 s18, s16
	s_cbranch_execz .LBB532_1063
.LBB532_1131:                           ;   in Loop: Header=BB532_982 Depth=2
	ds_load_b32 v136, v70 offset:3072
	s_wait_dscnt 0x0
	v_lshrrev_b32_e32 v2, s49, v136
	s_delay_alu instid0(VALU_DEP_1) | instskip(NEXT) | instid1(VALU_DEP_1)
	v_and_b32_e32 v2, s48, v2
	v_lshlrev_b32_e32 v2, 2, v2
	ds_load_b32 v2, v2
	s_wait_dscnt 0x0
	v_add_nc_u32_e32 v2, v2, v46
	s_delay_alu instid0(VALU_DEP_1) | instskip(SKIP_1) | instid1(VALU_DEP_2)
	v_lshlrev_b64_e32 v[36:37], 2, v[2:3]
	v_xor_b32_e32 v2, 0x7fffffff, v136
	v_add_co_u32 v36, s17, s40, v36
	s_wait_alu 0xf1ff
	s_delay_alu instid0(VALU_DEP_3)
	v_add_co_ci_u32_e64 v37, null, s41, v37, s17
	global_store_b32 v[36:37], v2, off
	s_wait_alu 0xfffe
	s_or_b32 exec_lo, exec_lo, s18
	v_cmp_lt_u32_e64 s17, v47, v135
	s_and_saveexec_b32 s19, s17
	s_cbranch_execz .LBB532_1064
.LBB532_1132:                           ;   in Loop: Header=BB532_982 Depth=2
	ds_load_b32 v136, v70 offset:4096
	s_wait_dscnt 0x0
	v_lshrrev_b32_e32 v2, s49, v136
	s_delay_alu instid0(VALU_DEP_1) | instskip(NEXT) | instid1(VALU_DEP_1)
	v_and_b32_e32 v2, s48, v2
	v_lshlrev_b32_e32 v2, 2, v2
	ds_load_b32 v2, v2
	s_wait_dscnt 0x0
	v_add_nc_u32_e32 v2, v2, v47
	s_delay_alu instid0(VALU_DEP_1) | instskip(SKIP_1) | instid1(VALU_DEP_2)
	v_lshlrev_b64_e32 v[36:37], 2, v[2:3]
	v_xor_b32_e32 v2, 0x7fffffff, v136
	v_add_co_u32 v36, s18, s40, v36
	s_wait_alu 0xf1ff
	s_delay_alu instid0(VALU_DEP_3)
	v_add_co_ci_u32_e64 v37, null, s41, v37, s18
	global_store_b32 v[36:37], v2, off
	s_wait_alu 0xfffe
	s_or_b32 exec_lo, exec_lo, s19
	v_cmp_lt_u32_e64 s18, v50, v135
	s_and_saveexec_b32 s20, s18
	s_cbranch_execz .LBB532_1065
.LBB532_1133:                           ;   in Loop: Header=BB532_982 Depth=2
	ds_load_b32 v136, v70 offset:5120
	s_wait_dscnt 0x0
	v_lshrrev_b32_e32 v2, s49, v136
	s_delay_alu instid0(VALU_DEP_1) | instskip(NEXT) | instid1(VALU_DEP_1)
	v_and_b32_e32 v2, s48, v2
	v_lshlrev_b32_e32 v2, 2, v2
	ds_load_b32 v2, v2
	s_wait_dscnt 0x0
	v_add_nc_u32_e32 v2, v2, v50
	s_delay_alu instid0(VALU_DEP_1) | instskip(SKIP_1) | instid1(VALU_DEP_2)
	v_lshlrev_b64_e32 v[36:37], 2, v[2:3]
	v_xor_b32_e32 v2, 0x7fffffff, v136
	v_add_co_u32 v36, s19, s40, v36
	s_wait_alu 0xf1ff
	s_delay_alu instid0(VALU_DEP_3)
	v_add_co_ci_u32_e64 v37, null, s41, v37, s19
	global_store_b32 v[36:37], v2, off
	s_wait_alu 0xfffe
	s_or_b32 exec_lo, exec_lo, s20
	v_cmp_lt_u32_e64 s19, v51, v135
	s_and_saveexec_b32 s21, s19
	s_cbranch_execz .LBB532_1066
.LBB532_1134:                           ;   in Loop: Header=BB532_982 Depth=2
	ds_load_b32 v136, v70 offset:6144
	s_wait_dscnt 0x0
	v_lshrrev_b32_e32 v2, s49, v136
	s_delay_alu instid0(VALU_DEP_1) | instskip(NEXT) | instid1(VALU_DEP_1)
	v_and_b32_e32 v2, s48, v2
	v_lshlrev_b32_e32 v2, 2, v2
	ds_load_b32 v2, v2
	s_wait_dscnt 0x0
	v_add_nc_u32_e32 v2, v2, v51
	s_delay_alu instid0(VALU_DEP_1) | instskip(SKIP_1) | instid1(VALU_DEP_2)
	v_lshlrev_b64_e32 v[36:37], 2, v[2:3]
	v_xor_b32_e32 v2, 0x7fffffff, v136
	v_add_co_u32 v36, s20, s40, v36
	s_wait_alu 0xf1ff
	s_delay_alu instid0(VALU_DEP_3)
	v_add_co_ci_u32_e64 v37, null, s41, v37, s20
	global_store_b32 v[36:37], v2, off
	s_wait_alu 0xfffe
	s_or_b32 exec_lo, exec_lo, s21
	v_cmp_lt_u32_e64 s20, v52, v135
	s_and_saveexec_b32 s22, s20
	s_cbranch_execz .LBB532_1067
.LBB532_1135:                           ;   in Loop: Header=BB532_982 Depth=2
	ds_load_b32 v136, v70 offset:7168
	s_wait_dscnt 0x0
	v_lshrrev_b32_e32 v2, s49, v136
	s_delay_alu instid0(VALU_DEP_1) | instskip(NEXT) | instid1(VALU_DEP_1)
	v_and_b32_e32 v2, s48, v2
	v_lshlrev_b32_e32 v2, 2, v2
	ds_load_b32 v2, v2
	s_wait_dscnt 0x0
	v_add_nc_u32_e32 v2, v2, v52
	s_delay_alu instid0(VALU_DEP_1) | instskip(SKIP_1) | instid1(VALU_DEP_2)
	v_lshlrev_b64_e32 v[36:37], 2, v[2:3]
	v_xor_b32_e32 v2, 0x7fffffff, v136
	v_add_co_u32 v36, s21, s40, v36
	s_wait_alu 0xf1ff
	s_delay_alu instid0(VALU_DEP_3)
	v_add_co_ci_u32_e64 v37, null, s41, v37, s21
	global_store_b32 v[36:37], v2, off
	s_wait_alu 0xfffe
	s_or_b32 exec_lo, exec_lo, s22
	v_cmp_lt_u32_e64 s21, v53, v135
	s_and_saveexec_b32 s23, s21
	s_cbranch_execz .LBB532_1068
.LBB532_1136:                           ;   in Loop: Header=BB532_982 Depth=2
	ds_load_b32 v136, v70 offset:8192
	s_wait_dscnt 0x0
	v_lshrrev_b32_e32 v2, s49, v136
	s_delay_alu instid0(VALU_DEP_1) | instskip(NEXT) | instid1(VALU_DEP_1)
	v_and_b32_e32 v2, s48, v2
	v_lshlrev_b32_e32 v2, 2, v2
	ds_load_b32 v2, v2
	s_wait_dscnt 0x0
	v_add_nc_u32_e32 v2, v2, v53
	s_delay_alu instid0(VALU_DEP_1) | instskip(SKIP_1) | instid1(VALU_DEP_2)
	v_lshlrev_b64_e32 v[36:37], 2, v[2:3]
	v_xor_b32_e32 v2, 0x7fffffff, v136
	v_add_co_u32 v36, s22, s40, v36
	s_wait_alu 0xf1ff
	s_delay_alu instid0(VALU_DEP_3)
	v_add_co_ci_u32_e64 v37, null, s41, v37, s22
	global_store_b32 v[36:37], v2, off
	s_wait_alu 0xfffe
	s_or_b32 exec_lo, exec_lo, s23
	v_cmp_lt_u32_e64 s22, v54, v135
	s_and_saveexec_b32 s24, s22
	s_cbranch_execz .LBB532_1069
.LBB532_1137:                           ;   in Loop: Header=BB532_982 Depth=2
	ds_load_b32 v136, v70 offset:9216
	s_wait_dscnt 0x0
	v_lshrrev_b32_e32 v2, s49, v136
	s_delay_alu instid0(VALU_DEP_1) | instskip(NEXT) | instid1(VALU_DEP_1)
	v_and_b32_e32 v2, s48, v2
	v_lshlrev_b32_e32 v2, 2, v2
	ds_load_b32 v2, v2
	s_wait_dscnt 0x0
	v_add_nc_u32_e32 v2, v2, v54
	s_delay_alu instid0(VALU_DEP_1) | instskip(SKIP_1) | instid1(VALU_DEP_2)
	v_lshlrev_b64_e32 v[36:37], 2, v[2:3]
	v_xor_b32_e32 v2, 0x7fffffff, v136
	v_add_co_u32 v36, s23, s40, v36
	s_wait_alu 0xf1ff
	s_delay_alu instid0(VALU_DEP_3)
	v_add_co_ci_u32_e64 v37, null, s41, v37, s23
	global_store_b32 v[36:37], v2, off
	s_wait_alu 0xfffe
	s_or_b32 exec_lo, exec_lo, s24
	v_cmp_lt_u32_e64 s23, v55, v135
	s_and_saveexec_b32 s25, s23
	s_cbranch_execz .LBB532_1070
.LBB532_1138:                           ;   in Loop: Header=BB532_982 Depth=2
	ds_load_b32 v136, v70 offset:10240
	s_wait_dscnt 0x0
	v_lshrrev_b32_e32 v2, s49, v136
	s_delay_alu instid0(VALU_DEP_1) | instskip(NEXT) | instid1(VALU_DEP_1)
	v_and_b32_e32 v2, s48, v2
	v_lshlrev_b32_e32 v2, 2, v2
	ds_load_b32 v2, v2
	s_wait_dscnt 0x0
	v_add_nc_u32_e32 v2, v2, v55
	s_delay_alu instid0(VALU_DEP_1) | instskip(SKIP_1) | instid1(VALU_DEP_2)
	v_lshlrev_b64_e32 v[36:37], 2, v[2:3]
	v_xor_b32_e32 v2, 0x7fffffff, v136
	v_add_co_u32 v36, s24, s40, v36
	s_wait_alu 0xf1ff
	s_delay_alu instid0(VALU_DEP_3)
	v_add_co_ci_u32_e64 v37, null, s41, v37, s24
	global_store_b32 v[36:37], v2, off
	s_wait_alu 0xfffe
	s_or_b32 exec_lo, exec_lo, s25
	v_cmp_lt_u32_e64 s24, v56, v135
	s_and_saveexec_b32 s26, s24
	s_cbranch_execz .LBB532_1071
.LBB532_1139:                           ;   in Loop: Header=BB532_982 Depth=2
	ds_load_b32 v136, v70 offset:11264
	s_wait_dscnt 0x0
	v_lshrrev_b32_e32 v2, s49, v136
	s_delay_alu instid0(VALU_DEP_1) | instskip(NEXT) | instid1(VALU_DEP_1)
	v_and_b32_e32 v2, s48, v2
	v_lshlrev_b32_e32 v2, 2, v2
	ds_load_b32 v2, v2
	s_wait_dscnt 0x0
	v_add_nc_u32_e32 v2, v2, v56
	s_delay_alu instid0(VALU_DEP_1) | instskip(SKIP_1) | instid1(VALU_DEP_2)
	v_lshlrev_b64_e32 v[36:37], 2, v[2:3]
	v_xor_b32_e32 v2, 0x7fffffff, v136
	v_add_co_u32 v36, s25, s40, v36
	s_wait_alu 0xf1ff
	s_delay_alu instid0(VALU_DEP_3)
	v_add_co_ci_u32_e64 v37, null, s41, v37, s25
	global_store_b32 v[36:37], v2, off
	s_wait_alu 0xfffe
	s_or_b32 exec_lo, exec_lo, s26
	v_cmp_lt_u32_e64 s25, v57, v135
	s_and_saveexec_b32 s27, s25
	s_cbranch_execz .LBB532_1072
.LBB532_1140:                           ;   in Loop: Header=BB532_982 Depth=2
	ds_load_b32 v136, v70 offset:12288
	s_wait_dscnt 0x0
	v_lshrrev_b32_e32 v2, s49, v136
	s_delay_alu instid0(VALU_DEP_1) | instskip(NEXT) | instid1(VALU_DEP_1)
	v_and_b32_e32 v2, s48, v2
	v_lshlrev_b32_e32 v2, 2, v2
	ds_load_b32 v2, v2
	s_wait_dscnt 0x0
	v_add_nc_u32_e32 v2, v2, v57
	s_delay_alu instid0(VALU_DEP_1) | instskip(SKIP_1) | instid1(VALU_DEP_2)
	v_lshlrev_b64_e32 v[36:37], 2, v[2:3]
	v_xor_b32_e32 v2, 0x7fffffff, v136
	v_add_co_u32 v36, s26, s40, v36
	s_wait_alu 0xf1ff
	s_delay_alu instid0(VALU_DEP_3)
	v_add_co_ci_u32_e64 v37, null, s41, v37, s26
	global_store_b32 v[36:37], v2, off
	s_wait_alu 0xfffe
	s_or_b32 exec_lo, exec_lo, s27
	v_cmp_lt_u32_e64 s26, v58, v135
	s_and_saveexec_b32 s28, s26
	s_cbranch_execz .LBB532_1073
.LBB532_1141:                           ;   in Loop: Header=BB532_982 Depth=2
	ds_load_b32 v136, v70 offset:13312
	s_wait_dscnt 0x0
	v_lshrrev_b32_e32 v2, s49, v136
	s_delay_alu instid0(VALU_DEP_1) | instskip(NEXT) | instid1(VALU_DEP_1)
	v_and_b32_e32 v2, s48, v2
	v_lshlrev_b32_e32 v2, 2, v2
	ds_load_b32 v2, v2
	s_wait_dscnt 0x0
	v_add_nc_u32_e32 v2, v2, v58
	s_delay_alu instid0(VALU_DEP_1) | instskip(SKIP_1) | instid1(VALU_DEP_2)
	v_lshlrev_b64_e32 v[36:37], 2, v[2:3]
	v_xor_b32_e32 v2, 0x7fffffff, v136
	v_add_co_u32 v36, s27, s40, v36
	s_wait_alu 0xf1ff
	s_delay_alu instid0(VALU_DEP_3)
	v_add_co_ci_u32_e64 v37, null, s41, v37, s27
	global_store_b32 v[36:37], v2, off
	s_wait_alu 0xfffe
	s_or_b32 exec_lo, exec_lo, s28
	v_cmp_lt_u32_e64 s27, v59, v135
	s_and_saveexec_b32 s29, s27
	s_cbranch_execz .LBB532_1074
.LBB532_1142:                           ;   in Loop: Header=BB532_982 Depth=2
	ds_load_b32 v136, v70 offset:14336
	s_wait_dscnt 0x0
	v_lshrrev_b32_e32 v2, s49, v136
	s_delay_alu instid0(VALU_DEP_1) | instskip(NEXT) | instid1(VALU_DEP_1)
	v_and_b32_e32 v2, s48, v2
	v_lshlrev_b32_e32 v2, 2, v2
	ds_load_b32 v2, v2
	s_wait_dscnt 0x0
	v_add_nc_u32_e32 v2, v2, v59
	s_delay_alu instid0(VALU_DEP_1) | instskip(SKIP_1) | instid1(VALU_DEP_2)
	v_lshlrev_b64_e32 v[36:37], 2, v[2:3]
	v_xor_b32_e32 v2, 0x7fffffff, v136
	v_add_co_u32 v36, s28, s40, v36
	s_wait_alu 0xf1ff
	s_delay_alu instid0(VALU_DEP_3)
	v_add_co_ci_u32_e64 v37, null, s41, v37, s28
	global_store_b32 v[36:37], v2, off
	s_wait_alu 0xfffe
	s_or_b32 exec_lo, exec_lo, s29
	v_cmp_lt_u32_e64 s28, v60, v135
	s_and_saveexec_b32 s30, s28
	s_cbranch_execz .LBB532_1075
.LBB532_1143:                           ;   in Loop: Header=BB532_982 Depth=2
	ds_load_b32 v136, v70 offset:15360
	s_wait_dscnt 0x0
	v_lshrrev_b32_e32 v2, s49, v136
	s_delay_alu instid0(VALU_DEP_1) | instskip(NEXT) | instid1(VALU_DEP_1)
	v_and_b32_e32 v2, s48, v2
	v_lshlrev_b32_e32 v2, 2, v2
	ds_load_b32 v2, v2
	s_wait_dscnt 0x0
	v_add_nc_u32_e32 v2, v2, v60
	s_delay_alu instid0(VALU_DEP_1) | instskip(SKIP_1) | instid1(VALU_DEP_2)
	v_lshlrev_b64_e32 v[36:37], 2, v[2:3]
	v_xor_b32_e32 v2, 0x7fffffff, v136
	v_add_co_u32 v36, s29, s40, v36
	s_wait_alu 0xf1ff
	s_delay_alu instid0(VALU_DEP_3)
	v_add_co_ci_u32_e64 v37, null, s41, v37, s29
	global_store_b32 v[36:37], v2, off
	s_wait_alu 0xfffe
	s_or_b32 exec_lo, exec_lo, s30
	v_cmp_lt_u32_e64 s29, v61, v135
	s_and_saveexec_b32 s56, s29
	s_cbranch_execnz .LBB532_1076
	s_branch .LBB532_1077
.LBB532_1144:                           ;   in Loop: Header=BB532_982 Depth=2
	global_load_b64 v[34:35], v[36:37], off
	s_wait_alu 0xfffe
	s_or_b32 exec_lo, exec_lo, s30
	s_delay_alu instid0(SALU_CYCLE_1)
	s_mov_b32 s42, exec_lo
	v_cmpx_lt_u32_e64 v92, v135
	s_cbranch_execz .LBB532_1079
.LBB532_1145:                           ;   in Loop: Header=BB532_982 Depth=2
	global_load_b64 v[32:33], v[36:37], off offset:256
	s_wait_alu 0xfffe
	s_or_b32 exec_lo, exec_lo, s42
	s_delay_alu instid0(SALU_CYCLE_1)
	s_mov_b32 s42, exec_lo
	v_cmpx_lt_u32_e64 v93, v135
	s_cbranch_execz .LBB532_1080
.LBB532_1146:                           ;   in Loop: Header=BB532_982 Depth=2
	global_load_b64 v[30:31], v[36:37], off offset:512
	s_wait_alu 0xfffe
	s_or_b32 exec_lo, exec_lo, s42
	s_delay_alu instid0(SALU_CYCLE_1)
	s_mov_b32 s42, exec_lo
	v_cmpx_lt_u32_e64 v94, v135
	s_cbranch_execz .LBB532_1081
.LBB532_1147:                           ;   in Loop: Header=BB532_982 Depth=2
	global_load_b64 v[28:29], v[36:37], off offset:768
	s_wait_alu 0xfffe
	s_or_b32 exec_lo, exec_lo, s42
	s_delay_alu instid0(SALU_CYCLE_1)
	s_mov_b32 s42, exec_lo
	v_cmpx_lt_u32_e64 v95, v135
	s_cbranch_execz .LBB532_1082
.LBB532_1148:                           ;   in Loop: Header=BB532_982 Depth=2
	global_load_b64 v[26:27], v[36:37], off offset:1024
	s_wait_alu 0xfffe
	s_or_b32 exec_lo, exec_lo, s42
	s_delay_alu instid0(SALU_CYCLE_1)
	s_mov_b32 s42, exec_lo
	v_cmpx_lt_u32_e64 v96, v135
	s_cbranch_execz .LBB532_1083
.LBB532_1149:                           ;   in Loop: Header=BB532_982 Depth=2
	global_load_b64 v[24:25], v[36:37], off offset:1280
	s_wait_alu 0xfffe
	s_or_b32 exec_lo, exec_lo, s42
	s_delay_alu instid0(SALU_CYCLE_1)
	s_mov_b32 s42, exec_lo
	v_cmpx_lt_u32_e64 v97, v135
	s_cbranch_execz .LBB532_1084
.LBB532_1150:                           ;   in Loop: Header=BB532_982 Depth=2
	global_load_b64 v[22:23], v[36:37], off offset:1536
	s_wait_alu 0xfffe
	s_or_b32 exec_lo, exec_lo, s42
	s_delay_alu instid0(SALU_CYCLE_1)
	s_mov_b32 s42, exec_lo
	v_cmpx_lt_u32_e64 v98, v135
	s_cbranch_execz .LBB532_1085
.LBB532_1151:                           ;   in Loop: Header=BB532_982 Depth=2
	global_load_b64 v[20:21], v[36:37], off offset:1792
	s_wait_alu 0xfffe
	s_or_b32 exec_lo, exec_lo, s42
	s_delay_alu instid0(SALU_CYCLE_1)
	s_mov_b32 s42, exec_lo
	v_cmpx_lt_u32_e64 v99, v135
	s_cbranch_execz .LBB532_1086
.LBB532_1152:                           ;   in Loop: Header=BB532_982 Depth=2
	global_load_b64 v[18:19], v[36:37], off offset:2048
	s_wait_alu 0xfffe
	s_or_b32 exec_lo, exec_lo, s42
	s_delay_alu instid0(SALU_CYCLE_1)
	s_mov_b32 s42, exec_lo
	v_cmpx_lt_u32_e64 v100, v135
	s_cbranch_execz .LBB532_1087
.LBB532_1153:                           ;   in Loop: Header=BB532_982 Depth=2
	global_load_b64 v[16:17], v[36:37], off offset:2304
	s_wait_alu 0xfffe
	s_or_b32 exec_lo, exec_lo, s42
	s_delay_alu instid0(SALU_CYCLE_1)
	s_mov_b32 s42, exec_lo
	v_cmpx_lt_u32_e64 v101, v135
	s_cbranch_execz .LBB532_1088
.LBB532_1154:                           ;   in Loop: Header=BB532_982 Depth=2
	global_load_b64 v[14:15], v[36:37], off offset:2560
	s_wait_alu 0xfffe
	s_or_b32 exec_lo, exec_lo, s42
	s_delay_alu instid0(SALU_CYCLE_1)
	s_mov_b32 s42, exec_lo
	v_cmpx_lt_u32_e64 v102, v135
	s_cbranch_execz .LBB532_1089
.LBB532_1155:                           ;   in Loop: Header=BB532_982 Depth=2
	global_load_b64 v[12:13], v[36:37], off offset:2816
	s_wait_alu 0xfffe
	s_or_b32 exec_lo, exec_lo, s42
	s_delay_alu instid0(SALU_CYCLE_1)
	s_mov_b32 s42, exec_lo
	v_cmpx_lt_u32_e64 v103, v135
	s_cbranch_execz .LBB532_1090
.LBB532_1156:                           ;   in Loop: Header=BB532_982 Depth=2
	global_load_b64 v[10:11], v[36:37], off offset:3072
	s_wait_alu 0xfffe
	s_or_b32 exec_lo, exec_lo, s42
	s_delay_alu instid0(SALU_CYCLE_1)
	s_mov_b32 s42, exec_lo
	v_cmpx_lt_u32_e64 v104, v135
	s_cbranch_execz .LBB532_1091
.LBB532_1157:                           ;   in Loop: Header=BB532_982 Depth=2
	global_load_b64 v[8:9], v[36:37], off offset:3328
	s_wait_alu 0xfffe
	s_or_b32 exec_lo, exec_lo, s42
	s_delay_alu instid0(SALU_CYCLE_1)
	s_mov_b32 s42, exec_lo
	v_cmpx_lt_u32_e64 v105, v135
	s_cbranch_execz .LBB532_1092
.LBB532_1158:                           ;   in Loop: Header=BB532_982 Depth=2
	global_load_b64 v[6:7], v[36:37], off offset:3584
	s_wait_alu 0xfffe
	s_or_b32 exec_lo, exec_lo, s42
	s_delay_alu instid0(SALU_CYCLE_1)
	s_mov_b32 s42, exec_lo
	v_cmpx_lt_u32_e64 v106, v135
	s_cbranch_execz .LBB532_1093
.LBB532_1159:                           ;   in Loop: Header=BB532_982 Depth=2
	global_load_b64 v[4:5], v[36:37], off offset:3840
	s_wait_alu 0xfffe
	s_or_b32 exec_lo, exec_lo, s42
	s_and_saveexec_b32 s30, vcc_lo
	s_cbranch_execz .LBB532_1094
.LBB532_1160:                           ;   in Loop: Header=BB532_982 Depth=2
	ds_load_b32 v2, v70 offset:1024
	s_wait_dscnt 0x0
	v_lshrrev_b32_e32 v2, s49, v2
	s_delay_alu instid0(VALU_DEP_1)
	v_and_b32_e32 v134, s48, v2
	s_wait_alu 0xfffe
	s_or_b32 exec_lo, exec_lo, s30
	s_and_saveexec_b32 s30, s15
	s_cbranch_execz .LBB532_1095
.LBB532_1161:                           ;   in Loop: Header=BB532_982 Depth=2
	ds_load_b32 v2, v70 offset:2048
	s_wait_dscnt 0x0
	v_lshrrev_b32_e32 v2, s49, v2
	s_delay_alu instid0(VALU_DEP_1)
	v_and_b32_e32 v133, s48, v2
	s_wait_alu 0xfffe
	s_or_b32 exec_lo, exec_lo, s30
	s_and_saveexec_b32 s30, s16
	s_cbranch_execz .LBB532_1096
.LBB532_1162:                           ;   in Loop: Header=BB532_982 Depth=2
	ds_load_b32 v2, v70 offset:3072
	s_wait_dscnt 0x0
	v_lshrrev_b32_e32 v2, s49, v2
	s_delay_alu instid0(VALU_DEP_1)
	v_and_b32_e32 v132, s48, v2
	s_wait_alu 0xfffe
	s_or_b32 exec_lo, exec_lo, s30
	s_and_saveexec_b32 s30, s17
	s_cbranch_execz .LBB532_1097
.LBB532_1163:                           ;   in Loop: Header=BB532_982 Depth=2
	ds_load_b32 v2, v70 offset:4096
	s_wait_dscnt 0x0
	v_lshrrev_b32_e32 v2, s49, v2
	s_delay_alu instid0(VALU_DEP_1)
	v_and_b32_e32 v131, s48, v2
	s_wait_alu 0xfffe
	s_or_b32 exec_lo, exec_lo, s30
	s_and_saveexec_b32 s30, s18
	s_cbranch_execz .LBB532_1098
.LBB532_1164:                           ;   in Loop: Header=BB532_982 Depth=2
	ds_load_b32 v2, v70 offset:5120
	s_wait_dscnt 0x0
	v_lshrrev_b32_e32 v2, s49, v2
	s_delay_alu instid0(VALU_DEP_1)
	v_and_b32_e32 v130, s48, v2
	s_wait_alu 0xfffe
	s_or_b32 exec_lo, exec_lo, s30
	s_and_saveexec_b32 s30, s19
	s_cbranch_execz .LBB532_1099
.LBB532_1165:                           ;   in Loop: Header=BB532_982 Depth=2
	ds_load_b32 v2, v70 offset:6144
	s_wait_dscnt 0x0
	v_lshrrev_b32_e32 v2, s49, v2
	s_delay_alu instid0(VALU_DEP_1)
	v_and_b32_e32 v129, s48, v2
	s_wait_alu 0xfffe
	s_or_b32 exec_lo, exec_lo, s30
	s_and_saveexec_b32 s30, s20
	s_cbranch_execz .LBB532_1100
.LBB532_1166:                           ;   in Loop: Header=BB532_982 Depth=2
	ds_load_b32 v2, v70 offset:7168
	s_wait_dscnt 0x0
	v_lshrrev_b32_e32 v2, s49, v2
	s_delay_alu instid0(VALU_DEP_1)
	v_and_b32_e32 v128, s48, v2
	s_wait_alu 0xfffe
	s_or_b32 exec_lo, exec_lo, s30
	s_and_saveexec_b32 s30, s21
	s_cbranch_execz .LBB532_1101
.LBB532_1167:                           ;   in Loop: Header=BB532_982 Depth=2
	ds_load_b32 v2, v70 offset:8192
	s_wait_dscnt 0x0
	v_lshrrev_b32_e32 v2, s49, v2
	s_delay_alu instid0(VALU_DEP_1)
	v_and_b32_e32 v127, s48, v2
	s_wait_alu 0xfffe
	s_or_b32 exec_lo, exec_lo, s30
	s_and_saveexec_b32 s30, s22
	s_cbranch_execz .LBB532_1102
.LBB532_1168:                           ;   in Loop: Header=BB532_982 Depth=2
	ds_load_b32 v2, v70 offset:9216
	s_wait_dscnt 0x0
	v_lshrrev_b32_e32 v2, s49, v2
	s_delay_alu instid0(VALU_DEP_1)
	v_and_b32_e32 v126, s48, v2
	s_wait_alu 0xfffe
	s_or_b32 exec_lo, exec_lo, s30
	s_and_saveexec_b32 s30, s23
	s_cbranch_execz .LBB532_1103
.LBB532_1169:                           ;   in Loop: Header=BB532_982 Depth=2
	ds_load_b32 v2, v70 offset:10240
	s_wait_dscnt 0x0
	v_lshrrev_b32_e32 v2, s49, v2
	s_delay_alu instid0(VALU_DEP_1)
	v_and_b32_e32 v125, s48, v2
	s_wait_alu 0xfffe
	s_or_b32 exec_lo, exec_lo, s30
	s_and_saveexec_b32 s30, s24
	s_cbranch_execz .LBB532_1104
.LBB532_1170:                           ;   in Loop: Header=BB532_982 Depth=2
	ds_load_b32 v2, v70 offset:11264
	s_wait_dscnt 0x0
	v_lshrrev_b32_e32 v2, s49, v2
	s_delay_alu instid0(VALU_DEP_1)
	v_and_b32_e32 v124, s48, v2
	s_wait_alu 0xfffe
	s_or_b32 exec_lo, exec_lo, s30
	s_and_saveexec_b32 s30, s25
	s_cbranch_execz .LBB532_1105
.LBB532_1171:                           ;   in Loop: Header=BB532_982 Depth=2
	ds_load_b32 v2, v70 offset:12288
	s_wait_dscnt 0x0
	v_lshrrev_b32_e32 v2, s49, v2
	s_delay_alu instid0(VALU_DEP_1)
	v_and_b32_e32 v123, s48, v2
	s_wait_alu 0xfffe
	s_or_b32 exec_lo, exec_lo, s30
	s_and_saveexec_b32 s30, s26
	s_cbranch_execz .LBB532_1106
.LBB532_1172:                           ;   in Loop: Header=BB532_982 Depth=2
	ds_load_b32 v2, v70 offset:13312
	s_wait_dscnt 0x0
	v_lshrrev_b32_e32 v2, s49, v2
	s_delay_alu instid0(VALU_DEP_1)
	v_and_b32_e32 v122, s48, v2
	s_wait_alu 0xfffe
	s_or_b32 exec_lo, exec_lo, s30
	s_and_saveexec_b32 s30, s27
	s_cbranch_execz .LBB532_1107
.LBB532_1173:                           ;   in Loop: Header=BB532_982 Depth=2
	ds_load_b32 v2, v70 offset:14336
	s_wait_dscnt 0x0
	v_lshrrev_b32_e32 v2, s49, v2
	s_delay_alu instid0(VALU_DEP_1)
	v_and_b32_e32 v121, s48, v2
	s_wait_alu 0xfffe
	s_or_b32 exec_lo, exec_lo, s30
	s_and_saveexec_b32 s30, s28
	s_cbranch_execz .LBB532_1108
.LBB532_1174:                           ;   in Loop: Header=BB532_982 Depth=2
	ds_load_b32 v2, v70 offset:15360
	s_wait_dscnt 0x0
	v_lshrrev_b32_e32 v2, s49, v2
	s_delay_alu instid0(VALU_DEP_1)
	v_and_b32_e32 v120, s48, v2
	s_wait_alu 0xfffe
	s_or_b32 exec_lo, exec_lo, s30
	s_and_saveexec_b32 s30, s29
	s_cbranch_execnz .LBB532_1109
	s_branch .LBB532_1110
.LBB532_1175:                           ;   in Loop: Header=BB532_982 Depth=2
	v_lshlrev_b32_e32 v2, 2, v134
	ds_load_b32 v2, v2
	ds_load_b64 v[39:40], v36 offset:1024
	s_wait_dscnt 0x1
	v_add_nc_u32_e32 v2, v2, v1
	s_delay_alu instid0(VALU_DEP_1) | instskip(NEXT) | instid1(VALU_DEP_1)
	v_lshlrev_b64_e32 v[41:42], 3, v[2:3]
	v_add_co_u32 v41, vcc_lo, s46, v41
	s_wait_alu 0xfffd
	s_delay_alu instid0(VALU_DEP_2)
	v_add_co_ci_u32_e64 v42, null, s47, v42, vcc_lo
	s_wait_dscnt 0x0
	global_store_b64 v[41:42], v[39:40], off
	s_wait_alu 0xfffe
	s_or_b32 exec_lo, exec_lo, s30
	s_and_saveexec_b32 s30, s15
	s_cbranch_execz .LBB532_1112
.LBB532_1176:                           ;   in Loop: Header=BB532_982 Depth=2
	v_lshlrev_b32_e32 v2, 2, v133
	ds_load_b32 v2, v2
	ds_load_b64 v[39:40], v36 offset:3072
	s_wait_dscnt 0x1
	v_add_nc_u32_e32 v2, v2, v45
	s_delay_alu instid0(VALU_DEP_1) | instskip(NEXT) | instid1(VALU_DEP_1)
	v_lshlrev_b64_e32 v[41:42], 3, v[2:3]
	v_add_co_u32 v41, vcc_lo, s46, v41
	s_wait_alu 0xfffd
	s_delay_alu instid0(VALU_DEP_2)
	v_add_co_ci_u32_e64 v42, null, s47, v42, vcc_lo
	s_wait_dscnt 0x0
	global_store_b64 v[41:42], v[39:40], off
	s_wait_alu 0xfffe
	s_or_b32 exec_lo, exec_lo, s30
	s_and_saveexec_b32 s15, s16
	s_cbranch_execz .LBB532_1113
.LBB532_1177:                           ;   in Loop: Header=BB532_982 Depth=2
	v_lshlrev_b32_e32 v2, 2, v132
	ds_load_b32 v2, v2
	ds_load_b64 v[39:40], v36 offset:5120
	s_wait_dscnt 0x1
	v_add_nc_u32_e32 v2, v2, v46
	s_delay_alu instid0(VALU_DEP_1) | instskip(NEXT) | instid1(VALU_DEP_1)
	v_lshlrev_b64_e32 v[41:42], 3, v[2:3]
	v_add_co_u32 v41, vcc_lo, s46, v41
	s_wait_alu 0xfffd
	s_delay_alu instid0(VALU_DEP_2)
	v_add_co_ci_u32_e64 v42, null, s47, v42, vcc_lo
	s_wait_dscnt 0x0
	global_store_b64 v[41:42], v[39:40], off
	s_wait_alu 0xfffe
	s_or_b32 exec_lo, exec_lo, s15
	s_and_saveexec_b32 s15, s17
	s_cbranch_execz .LBB532_1114
.LBB532_1178:                           ;   in Loop: Header=BB532_982 Depth=2
	v_lshlrev_b32_e32 v2, 2, v131
	ds_load_b32 v2, v2
	ds_load_b64 v[39:40], v36 offset:7168
	s_wait_dscnt 0x1
	v_add_nc_u32_e32 v2, v2, v47
	s_delay_alu instid0(VALU_DEP_1) | instskip(NEXT) | instid1(VALU_DEP_1)
	v_lshlrev_b64_e32 v[41:42], 3, v[2:3]
	v_add_co_u32 v41, vcc_lo, s46, v41
	s_wait_alu 0xfffd
	s_delay_alu instid0(VALU_DEP_2)
	v_add_co_ci_u32_e64 v42, null, s47, v42, vcc_lo
	s_wait_dscnt 0x0
	global_store_b64 v[41:42], v[39:40], off
	s_wait_alu 0xfffe
	s_or_b32 exec_lo, exec_lo, s15
	s_and_saveexec_b32 s15, s18
	s_cbranch_execz .LBB532_1115
.LBB532_1179:                           ;   in Loop: Header=BB532_982 Depth=2
	v_lshlrev_b32_e32 v2, 2, v130
	ds_load_b32 v2, v2
	ds_load_b64 v[39:40], v36 offset:9216
	s_wait_dscnt 0x1
	v_add_nc_u32_e32 v2, v2, v50
	s_delay_alu instid0(VALU_DEP_1) | instskip(NEXT) | instid1(VALU_DEP_1)
	v_lshlrev_b64_e32 v[41:42], 3, v[2:3]
	v_add_co_u32 v41, vcc_lo, s46, v41
	s_wait_alu 0xfffd
	s_delay_alu instid0(VALU_DEP_2)
	v_add_co_ci_u32_e64 v42, null, s47, v42, vcc_lo
	s_wait_dscnt 0x0
	global_store_b64 v[41:42], v[39:40], off
	s_wait_alu 0xfffe
	s_or_b32 exec_lo, exec_lo, s15
	s_and_saveexec_b32 s15, s19
	s_cbranch_execz .LBB532_1116
.LBB532_1180:                           ;   in Loop: Header=BB532_982 Depth=2
	v_lshlrev_b32_e32 v2, 2, v129
	ds_load_b32 v2, v2
	ds_load_b64 v[39:40], v36 offset:11264
	s_wait_dscnt 0x1
	v_add_nc_u32_e32 v2, v2, v51
	s_delay_alu instid0(VALU_DEP_1) | instskip(NEXT) | instid1(VALU_DEP_1)
	v_lshlrev_b64_e32 v[41:42], 3, v[2:3]
	v_add_co_u32 v41, vcc_lo, s46, v41
	s_wait_alu 0xfffd
	s_delay_alu instid0(VALU_DEP_2)
	v_add_co_ci_u32_e64 v42, null, s47, v42, vcc_lo
	s_wait_dscnt 0x0
	global_store_b64 v[41:42], v[39:40], off
	s_wait_alu 0xfffe
	s_or_b32 exec_lo, exec_lo, s15
	s_and_saveexec_b32 s15, s20
	s_cbranch_execz .LBB532_1117
.LBB532_1181:                           ;   in Loop: Header=BB532_982 Depth=2
	v_lshlrev_b32_e32 v2, 2, v128
	ds_load_b32 v2, v2
	ds_load_b64 v[39:40], v36 offset:13312
	s_wait_dscnt 0x1
	v_add_nc_u32_e32 v2, v2, v52
	s_delay_alu instid0(VALU_DEP_1) | instskip(NEXT) | instid1(VALU_DEP_1)
	v_lshlrev_b64_e32 v[41:42], 3, v[2:3]
	v_add_co_u32 v41, vcc_lo, s46, v41
	s_wait_alu 0xfffd
	s_delay_alu instid0(VALU_DEP_2)
	v_add_co_ci_u32_e64 v42, null, s47, v42, vcc_lo
	s_wait_dscnt 0x0
	global_store_b64 v[41:42], v[39:40], off
	s_wait_alu 0xfffe
	s_or_b32 exec_lo, exec_lo, s15
	s_and_saveexec_b32 s15, s21
	s_cbranch_execz .LBB532_1118
.LBB532_1182:                           ;   in Loop: Header=BB532_982 Depth=2
	v_lshlrev_b32_e32 v2, 2, v127
	ds_load_b32 v2, v2
	ds_load_b64 v[39:40], v36 offset:15360
	s_wait_dscnt 0x1
	v_add_nc_u32_e32 v2, v2, v53
	s_delay_alu instid0(VALU_DEP_1) | instskip(NEXT) | instid1(VALU_DEP_1)
	v_lshlrev_b64_e32 v[41:42], 3, v[2:3]
	v_add_co_u32 v41, vcc_lo, s46, v41
	s_wait_alu 0xfffd
	s_delay_alu instid0(VALU_DEP_2)
	v_add_co_ci_u32_e64 v42, null, s47, v42, vcc_lo
	s_wait_dscnt 0x0
	global_store_b64 v[41:42], v[39:40], off
	s_wait_alu 0xfffe
	s_or_b32 exec_lo, exec_lo, s15
	s_and_saveexec_b32 s15, s22
	s_cbranch_execz .LBB532_1119
.LBB532_1183:                           ;   in Loop: Header=BB532_982 Depth=2
	v_lshlrev_b32_e32 v2, 2, v126
	ds_load_b32 v2, v2
	ds_load_b64 v[39:40], v36 offset:17408
	s_wait_dscnt 0x1
	v_add_nc_u32_e32 v2, v2, v54
	s_delay_alu instid0(VALU_DEP_1) | instskip(NEXT) | instid1(VALU_DEP_1)
	v_lshlrev_b64_e32 v[41:42], 3, v[2:3]
	v_add_co_u32 v41, vcc_lo, s46, v41
	s_wait_alu 0xfffd
	s_delay_alu instid0(VALU_DEP_2)
	v_add_co_ci_u32_e64 v42, null, s47, v42, vcc_lo
	s_wait_dscnt 0x0
	global_store_b64 v[41:42], v[39:40], off
	s_wait_alu 0xfffe
	s_or_b32 exec_lo, exec_lo, s15
	s_and_saveexec_b32 s15, s23
	s_cbranch_execz .LBB532_1120
.LBB532_1184:                           ;   in Loop: Header=BB532_982 Depth=2
	v_lshlrev_b32_e32 v2, 2, v125
	ds_load_b32 v2, v2
	ds_load_b64 v[39:40], v36 offset:19456
	s_wait_dscnt 0x1
	v_add_nc_u32_e32 v2, v2, v55
	s_delay_alu instid0(VALU_DEP_1) | instskip(NEXT) | instid1(VALU_DEP_1)
	v_lshlrev_b64_e32 v[41:42], 3, v[2:3]
	v_add_co_u32 v41, vcc_lo, s46, v41
	s_wait_alu 0xfffd
	s_delay_alu instid0(VALU_DEP_2)
	v_add_co_ci_u32_e64 v42, null, s47, v42, vcc_lo
	s_wait_dscnt 0x0
	global_store_b64 v[41:42], v[39:40], off
	s_wait_alu 0xfffe
	s_or_b32 exec_lo, exec_lo, s15
	s_and_saveexec_b32 s15, s24
	s_cbranch_execz .LBB532_1121
.LBB532_1185:                           ;   in Loop: Header=BB532_982 Depth=2
	v_lshlrev_b32_e32 v2, 2, v124
	ds_load_b32 v2, v2
	ds_load_b64 v[39:40], v36 offset:21504
	s_wait_dscnt 0x1
	v_add_nc_u32_e32 v2, v2, v56
	s_delay_alu instid0(VALU_DEP_1) | instskip(NEXT) | instid1(VALU_DEP_1)
	v_lshlrev_b64_e32 v[41:42], 3, v[2:3]
	v_add_co_u32 v41, vcc_lo, s46, v41
	s_wait_alu 0xfffd
	s_delay_alu instid0(VALU_DEP_2)
	v_add_co_ci_u32_e64 v42, null, s47, v42, vcc_lo
	s_wait_dscnt 0x0
	global_store_b64 v[41:42], v[39:40], off
	s_wait_alu 0xfffe
	s_or_b32 exec_lo, exec_lo, s15
	s_and_saveexec_b32 s15, s25
	s_cbranch_execz .LBB532_1122
.LBB532_1186:                           ;   in Loop: Header=BB532_982 Depth=2
	v_lshlrev_b32_e32 v2, 2, v123
	ds_load_b32 v2, v2
	ds_load_b64 v[39:40], v36 offset:23552
	s_wait_dscnt 0x1
	v_add_nc_u32_e32 v2, v2, v57
	s_delay_alu instid0(VALU_DEP_1) | instskip(NEXT) | instid1(VALU_DEP_1)
	v_lshlrev_b64_e32 v[41:42], 3, v[2:3]
	v_add_co_u32 v41, vcc_lo, s46, v41
	s_wait_alu 0xfffd
	s_delay_alu instid0(VALU_DEP_2)
	v_add_co_ci_u32_e64 v42, null, s47, v42, vcc_lo
	s_wait_dscnt 0x0
	global_store_b64 v[41:42], v[39:40], off
	s_wait_alu 0xfffe
	s_or_b32 exec_lo, exec_lo, s15
	s_and_saveexec_b32 s15, s26
	s_cbranch_execz .LBB532_1123
.LBB532_1187:                           ;   in Loop: Header=BB532_982 Depth=2
	v_lshlrev_b32_e32 v2, 2, v122
	ds_load_b32 v2, v2
	ds_load_b64 v[39:40], v36 offset:25600
	s_wait_dscnt 0x1
	v_add_nc_u32_e32 v2, v2, v58
	s_delay_alu instid0(VALU_DEP_1) | instskip(NEXT) | instid1(VALU_DEP_1)
	v_lshlrev_b64_e32 v[41:42], 3, v[2:3]
	v_add_co_u32 v41, vcc_lo, s46, v41
	s_wait_alu 0xfffd
	s_delay_alu instid0(VALU_DEP_2)
	v_add_co_ci_u32_e64 v42, null, s47, v42, vcc_lo
	s_wait_dscnt 0x0
	global_store_b64 v[41:42], v[39:40], off
	s_wait_alu 0xfffe
	s_or_b32 exec_lo, exec_lo, s15
	s_and_saveexec_b32 s15, s27
	s_cbranch_execz .LBB532_1124
.LBB532_1188:                           ;   in Loop: Header=BB532_982 Depth=2
	v_lshlrev_b32_e32 v2, 2, v121
	ds_load_b32 v2, v2
	ds_load_b64 v[39:40], v36 offset:27648
	s_wait_dscnt 0x1
	v_add_nc_u32_e32 v2, v2, v59
	s_delay_alu instid0(VALU_DEP_1) | instskip(NEXT) | instid1(VALU_DEP_1)
	v_lshlrev_b64_e32 v[41:42], 3, v[2:3]
	v_add_co_u32 v41, vcc_lo, s46, v41
	s_wait_alu 0xfffd
	s_delay_alu instid0(VALU_DEP_2)
	v_add_co_ci_u32_e64 v42, null, s47, v42, vcc_lo
	s_wait_dscnt 0x0
	global_store_b64 v[41:42], v[39:40], off
	s_wait_alu 0xfffe
	s_or_b32 exec_lo, exec_lo, s15
	s_and_saveexec_b32 s15, s28
	s_cbranch_execz .LBB532_1125
.LBB532_1189:                           ;   in Loop: Header=BB532_982 Depth=2
	v_lshlrev_b32_e32 v2, 2, v120
	ds_load_b32 v2, v2
	ds_load_b64 v[39:40], v36 offset:29696
	s_wait_dscnt 0x1
	v_add_nc_u32_e32 v2, v2, v60
	s_delay_alu instid0(VALU_DEP_1) | instskip(NEXT) | instid1(VALU_DEP_1)
	v_lshlrev_b64_e32 v[41:42], 3, v[2:3]
	v_add_co_u32 v41, vcc_lo, s46, v41
	s_wait_alu 0xfffd
	s_delay_alu instid0(VALU_DEP_2)
	v_add_co_ci_u32_e64 v42, null, s47, v42, vcc_lo
	s_wait_dscnt 0x0
	global_store_b64 v[41:42], v[39:40], off
	s_wait_alu 0xfffe
	s_or_b32 exec_lo, exec_lo, s15
	s_and_saveexec_b32 s15, s29
	s_cbranch_execnz .LBB532_1126
	s_branch .LBB532_1127
.LBB532_1190:
	s_endpgm
	.section	.rodata,"a",@progbits
	.p2align	6, 0x0
	.amdhsa_kernel _ZN7rocprim17ROCPRIM_400000_NS6detail17trampoline_kernelINS0_14default_configENS1_36segmented_radix_sort_config_selectorIilEEZNS1_25segmented_radix_sort_implIS3_Lb1EPKiPiPKlPlN2at6native12_GLOBAL__N_18offset_tEEE10hipError_tPvRmT1_PNSt15iterator_traitsISK_E10value_typeET2_T3_PNSL_ISQ_E10value_typeET4_jRbjT5_SW_jjP12ihipStream_tbEUlT_E2_NS1_11comp_targetILNS1_3genE10ELNS1_11target_archE1201ELNS1_3gpuE5ELNS1_3repE0EEENS1_30default_config_static_selectorELNS0_4arch9wavefront6targetE0EEEvSK_
		.amdhsa_group_segment_fixed_size 33824
		.amdhsa_private_segment_fixed_size 100
		.amdhsa_kernarg_size 336
		.amdhsa_user_sgpr_count 2
		.amdhsa_user_sgpr_dispatch_ptr 0
		.amdhsa_user_sgpr_queue_ptr 0
		.amdhsa_user_sgpr_kernarg_segment_ptr 1
		.amdhsa_user_sgpr_dispatch_id 0
		.amdhsa_user_sgpr_private_segment_size 0
		.amdhsa_wavefront_size32 1
		.amdhsa_uses_dynamic_stack 0
		.amdhsa_enable_private_segment 1
		.amdhsa_system_sgpr_workgroup_id_x 1
		.amdhsa_system_sgpr_workgroup_id_y 1
		.amdhsa_system_sgpr_workgroup_id_z 0
		.amdhsa_system_sgpr_workgroup_info 0
		.amdhsa_system_vgpr_workitem_id 2
		.amdhsa_next_free_vgpr 248
		.amdhsa_next_free_sgpr 58
		.amdhsa_reserve_vcc 1
		.amdhsa_float_round_mode_32 0
		.amdhsa_float_round_mode_16_64 0
		.amdhsa_float_denorm_mode_32 3
		.amdhsa_float_denorm_mode_16_64 3
		.amdhsa_fp16_overflow 0
		.amdhsa_workgroup_processor_mode 1
		.amdhsa_memory_ordered 1
		.amdhsa_forward_progress 1
		.amdhsa_inst_pref_size 255
		.amdhsa_round_robin_scheduling 0
		.amdhsa_exception_fp_ieee_invalid_op 0
		.amdhsa_exception_fp_denorm_src 0
		.amdhsa_exception_fp_ieee_div_zero 0
		.amdhsa_exception_fp_ieee_overflow 0
		.amdhsa_exception_fp_ieee_underflow 0
		.amdhsa_exception_fp_ieee_inexact 0
		.amdhsa_exception_int_div_zero 0
	.end_amdhsa_kernel
	.section	.text._ZN7rocprim17ROCPRIM_400000_NS6detail17trampoline_kernelINS0_14default_configENS1_36segmented_radix_sort_config_selectorIilEEZNS1_25segmented_radix_sort_implIS3_Lb1EPKiPiPKlPlN2at6native12_GLOBAL__N_18offset_tEEE10hipError_tPvRmT1_PNSt15iterator_traitsISK_E10value_typeET2_T3_PNSL_ISQ_E10value_typeET4_jRbjT5_SW_jjP12ihipStream_tbEUlT_E2_NS1_11comp_targetILNS1_3genE10ELNS1_11target_archE1201ELNS1_3gpuE5ELNS1_3repE0EEENS1_30default_config_static_selectorELNS0_4arch9wavefront6targetE0EEEvSK_,"axG",@progbits,_ZN7rocprim17ROCPRIM_400000_NS6detail17trampoline_kernelINS0_14default_configENS1_36segmented_radix_sort_config_selectorIilEEZNS1_25segmented_radix_sort_implIS3_Lb1EPKiPiPKlPlN2at6native12_GLOBAL__N_18offset_tEEE10hipError_tPvRmT1_PNSt15iterator_traitsISK_E10value_typeET2_T3_PNSL_ISQ_E10value_typeET4_jRbjT5_SW_jjP12ihipStream_tbEUlT_E2_NS1_11comp_targetILNS1_3genE10ELNS1_11target_archE1201ELNS1_3gpuE5ELNS1_3repE0EEENS1_30default_config_static_selectorELNS0_4arch9wavefront6targetE0EEEvSK_,comdat
.Lfunc_end532:
	.size	_ZN7rocprim17ROCPRIM_400000_NS6detail17trampoline_kernelINS0_14default_configENS1_36segmented_radix_sort_config_selectorIilEEZNS1_25segmented_radix_sort_implIS3_Lb1EPKiPiPKlPlN2at6native12_GLOBAL__N_18offset_tEEE10hipError_tPvRmT1_PNSt15iterator_traitsISK_E10value_typeET2_T3_PNSL_ISQ_E10value_typeET4_jRbjT5_SW_jjP12ihipStream_tbEUlT_E2_NS1_11comp_targetILNS1_3genE10ELNS1_11target_archE1201ELNS1_3gpuE5ELNS1_3repE0EEENS1_30default_config_static_selectorELNS0_4arch9wavefront6targetE0EEEvSK_, .Lfunc_end532-_ZN7rocprim17ROCPRIM_400000_NS6detail17trampoline_kernelINS0_14default_configENS1_36segmented_radix_sort_config_selectorIilEEZNS1_25segmented_radix_sort_implIS3_Lb1EPKiPiPKlPlN2at6native12_GLOBAL__N_18offset_tEEE10hipError_tPvRmT1_PNSt15iterator_traitsISK_E10value_typeET2_T3_PNSL_ISQ_E10value_typeET4_jRbjT5_SW_jjP12ihipStream_tbEUlT_E2_NS1_11comp_targetILNS1_3genE10ELNS1_11target_archE1201ELNS1_3gpuE5ELNS1_3repE0EEENS1_30default_config_static_selectorELNS0_4arch9wavefront6targetE0EEEvSK_
                                        ; -- End function
	.set _ZN7rocprim17ROCPRIM_400000_NS6detail17trampoline_kernelINS0_14default_configENS1_36segmented_radix_sort_config_selectorIilEEZNS1_25segmented_radix_sort_implIS3_Lb1EPKiPiPKlPlN2at6native12_GLOBAL__N_18offset_tEEE10hipError_tPvRmT1_PNSt15iterator_traitsISK_E10value_typeET2_T3_PNSL_ISQ_E10value_typeET4_jRbjT5_SW_jjP12ihipStream_tbEUlT_E2_NS1_11comp_targetILNS1_3genE10ELNS1_11target_archE1201ELNS1_3gpuE5ELNS1_3repE0EEENS1_30default_config_static_selectorELNS0_4arch9wavefront6targetE0EEEvSK_.num_vgpr, max(205, .L_ZN7rocprim17ROCPRIM_400000_NS6detail26segmented_warp_sort_helperINS1_20WarpSortHelperConfigILj8ELj4ELj256EEEilLi256ELb1EvE4sortIPKiPiPKlPlEEvT_T0_T1_T2_jjjjRNS5_12storage_typeE.num_vgpr, .L_ZN7rocprim17ROCPRIM_400000_NS6detail40segmented_radix_sort_single_block_helperIilLj256ELj16ELb1EE4sortIPKiPiPKlPlEEbT_T0_T1_T2_jjjjRNS3_12storage_typeE.num_vgpr)
	.set _ZN7rocprim17ROCPRIM_400000_NS6detail17trampoline_kernelINS0_14default_configENS1_36segmented_radix_sort_config_selectorIilEEZNS1_25segmented_radix_sort_implIS3_Lb1EPKiPiPKlPlN2at6native12_GLOBAL__N_18offset_tEEE10hipError_tPvRmT1_PNSt15iterator_traitsISK_E10value_typeET2_T3_PNSL_ISQ_E10value_typeET4_jRbjT5_SW_jjP12ihipStream_tbEUlT_E2_NS1_11comp_targetILNS1_3genE10ELNS1_11target_archE1201ELNS1_3gpuE5ELNS1_3repE0EEENS1_30default_config_static_selectorELNS0_4arch9wavefront6targetE0EEEvSK_.num_agpr, max(0, .L_ZN7rocprim17ROCPRIM_400000_NS6detail26segmented_warp_sort_helperINS1_20WarpSortHelperConfigILj8ELj4ELj256EEEilLi256ELb1EvE4sortIPKiPiPKlPlEEvT_T0_T1_T2_jjjjRNS5_12storage_typeE.num_agpr, .L_ZN7rocprim17ROCPRIM_400000_NS6detail40segmented_radix_sort_single_block_helperIilLj256ELj16ELb1EE4sortIPKiPiPKlPlEEbT_T0_T1_T2_jjjjRNS3_12storage_typeE.num_agpr)
	.set _ZN7rocprim17ROCPRIM_400000_NS6detail17trampoline_kernelINS0_14default_configENS1_36segmented_radix_sort_config_selectorIilEEZNS1_25segmented_radix_sort_implIS3_Lb1EPKiPiPKlPlN2at6native12_GLOBAL__N_18offset_tEEE10hipError_tPvRmT1_PNSt15iterator_traitsISK_E10value_typeET2_T3_PNSL_ISQ_E10value_typeET4_jRbjT5_SW_jjP12ihipStream_tbEUlT_E2_NS1_11comp_targetILNS1_3genE10ELNS1_11target_archE1201ELNS1_3gpuE5ELNS1_3repE0EEENS1_30default_config_static_selectorELNS0_4arch9wavefront6targetE0EEEvSK_.numbered_sgpr, max(58, .L_ZN7rocprim17ROCPRIM_400000_NS6detail26segmented_warp_sort_helperINS1_20WarpSortHelperConfigILj8ELj4ELj256EEEilLi256ELb1EvE4sortIPKiPiPKlPlEEvT_T0_T1_T2_jjjjRNS5_12storage_typeE.numbered_sgpr, .L_ZN7rocprim17ROCPRIM_400000_NS6detail40segmented_radix_sort_single_block_helperIilLj256ELj16ELb1EE4sortIPKiPiPKlPlEEbT_T0_T1_T2_jjjjRNS3_12storage_typeE.numbered_sgpr)
	.set _ZN7rocprim17ROCPRIM_400000_NS6detail17trampoline_kernelINS0_14default_configENS1_36segmented_radix_sort_config_selectorIilEEZNS1_25segmented_radix_sort_implIS3_Lb1EPKiPiPKlPlN2at6native12_GLOBAL__N_18offset_tEEE10hipError_tPvRmT1_PNSt15iterator_traitsISK_E10value_typeET2_T3_PNSL_ISQ_E10value_typeET4_jRbjT5_SW_jjP12ihipStream_tbEUlT_E2_NS1_11comp_targetILNS1_3genE10ELNS1_11target_archE1201ELNS1_3gpuE5ELNS1_3repE0EEENS1_30default_config_static_selectorELNS0_4arch9wavefront6targetE0EEEvSK_.num_named_barrier, max(0, .L_ZN7rocprim17ROCPRIM_400000_NS6detail26segmented_warp_sort_helperINS1_20WarpSortHelperConfigILj8ELj4ELj256EEEilLi256ELb1EvE4sortIPKiPiPKlPlEEvT_T0_T1_T2_jjjjRNS5_12storage_typeE.num_named_barrier, .L_ZN7rocprim17ROCPRIM_400000_NS6detail40segmented_radix_sort_single_block_helperIilLj256ELj16ELb1EE4sortIPKiPiPKlPlEEbT_T0_T1_T2_jjjjRNS3_12storage_typeE.num_named_barrier)
	.set _ZN7rocprim17ROCPRIM_400000_NS6detail17trampoline_kernelINS0_14default_configENS1_36segmented_radix_sort_config_selectorIilEEZNS1_25segmented_radix_sort_implIS3_Lb1EPKiPiPKlPlN2at6native12_GLOBAL__N_18offset_tEEE10hipError_tPvRmT1_PNSt15iterator_traitsISK_E10value_typeET2_T3_PNSL_ISQ_E10value_typeET4_jRbjT5_SW_jjP12ihipStream_tbEUlT_E2_NS1_11comp_targetILNS1_3genE10ELNS1_11target_archE1201ELNS1_3gpuE5ELNS1_3repE0EEENS1_30default_config_static_selectorELNS0_4arch9wavefront6targetE0EEEvSK_.private_seg_size, 0+max(.L_ZN7rocprim17ROCPRIM_400000_NS6detail26segmented_warp_sort_helperINS1_20WarpSortHelperConfigILj8ELj4ELj256EEEilLi256ELb1EvE4sortIPKiPiPKlPlEEvT_T0_T1_T2_jjjjRNS5_12storage_typeE.private_seg_size, .L_ZN7rocprim17ROCPRIM_400000_NS6detail40segmented_radix_sort_single_block_helperIilLj256ELj16ELb1EE4sortIPKiPiPKlPlEEbT_T0_T1_T2_jjjjRNS3_12storage_typeE.private_seg_size)
	.set _ZN7rocprim17ROCPRIM_400000_NS6detail17trampoline_kernelINS0_14default_configENS1_36segmented_radix_sort_config_selectorIilEEZNS1_25segmented_radix_sort_implIS3_Lb1EPKiPiPKlPlN2at6native12_GLOBAL__N_18offset_tEEE10hipError_tPvRmT1_PNSt15iterator_traitsISK_E10value_typeET2_T3_PNSL_ISQ_E10value_typeET4_jRbjT5_SW_jjP12ihipStream_tbEUlT_E2_NS1_11comp_targetILNS1_3genE10ELNS1_11target_archE1201ELNS1_3gpuE5ELNS1_3repE0EEENS1_30default_config_static_selectorELNS0_4arch9wavefront6targetE0EEEvSK_.uses_vcc, or(1, .L_ZN7rocprim17ROCPRIM_400000_NS6detail26segmented_warp_sort_helperINS1_20WarpSortHelperConfigILj8ELj4ELj256EEEilLi256ELb1EvE4sortIPKiPiPKlPlEEvT_T0_T1_T2_jjjjRNS5_12storage_typeE.uses_vcc, .L_ZN7rocprim17ROCPRIM_400000_NS6detail40segmented_radix_sort_single_block_helperIilLj256ELj16ELb1EE4sortIPKiPiPKlPlEEbT_T0_T1_T2_jjjjRNS3_12storage_typeE.uses_vcc)
	.set _ZN7rocprim17ROCPRIM_400000_NS6detail17trampoline_kernelINS0_14default_configENS1_36segmented_radix_sort_config_selectorIilEEZNS1_25segmented_radix_sort_implIS3_Lb1EPKiPiPKlPlN2at6native12_GLOBAL__N_18offset_tEEE10hipError_tPvRmT1_PNSt15iterator_traitsISK_E10value_typeET2_T3_PNSL_ISQ_E10value_typeET4_jRbjT5_SW_jjP12ihipStream_tbEUlT_E2_NS1_11comp_targetILNS1_3genE10ELNS1_11target_archE1201ELNS1_3gpuE5ELNS1_3repE0EEENS1_30default_config_static_selectorELNS0_4arch9wavefront6targetE0EEEvSK_.uses_flat_scratch, or(0, .L_ZN7rocprim17ROCPRIM_400000_NS6detail26segmented_warp_sort_helperINS1_20WarpSortHelperConfigILj8ELj4ELj256EEEilLi256ELb1EvE4sortIPKiPiPKlPlEEvT_T0_T1_T2_jjjjRNS5_12storage_typeE.uses_flat_scratch, .L_ZN7rocprim17ROCPRIM_400000_NS6detail40segmented_radix_sort_single_block_helperIilLj256ELj16ELb1EE4sortIPKiPiPKlPlEEbT_T0_T1_T2_jjjjRNS3_12storage_typeE.uses_flat_scratch)
	.set _ZN7rocprim17ROCPRIM_400000_NS6detail17trampoline_kernelINS0_14default_configENS1_36segmented_radix_sort_config_selectorIilEEZNS1_25segmented_radix_sort_implIS3_Lb1EPKiPiPKlPlN2at6native12_GLOBAL__N_18offset_tEEE10hipError_tPvRmT1_PNSt15iterator_traitsISK_E10value_typeET2_T3_PNSL_ISQ_E10value_typeET4_jRbjT5_SW_jjP12ihipStream_tbEUlT_E2_NS1_11comp_targetILNS1_3genE10ELNS1_11target_archE1201ELNS1_3gpuE5ELNS1_3repE0EEENS1_30default_config_static_selectorELNS0_4arch9wavefront6targetE0EEEvSK_.has_dyn_sized_stack, or(0, .L_ZN7rocprim17ROCPRIM_400000_NS6detail26segmented_warp_sort_helperINS1_20WarpSortHelperConfigILj8ELj4ELj256EEEilLi256ELb1EvE4sortIPKiPiPKlPlEEvT_T0_T1_T2_jjjjRNS5_12storage_typeE.has_dyn_sized_stack, .L_ZN7rocprim17ROCPRIM_400000_NS6detail40segmented_radix_sort_single_block_helperIilLj256ELj16ELb1EE4sortIPKiPiPKlPlEEbT_T0_T1_T2_jjjjRNS3_12storage_typeE.has_dyn_sized_stack)
	.set _ZN7rocprim17ROCPRIM_400000_NS6detail17trampoline_kernelINS0_14default_configENS1_36segmented_radix_sort_config_selectorIilEEZNS1_25segmented_radix_sort_implIS3_Lb1EPKiPiPKlPlN2at6native12_GLOBAL__N_18offset_tEEE10hipError_tPvRmT1_PNSt15iterator_traitsISK_E10value_typeET2_T3_PNSL_ISQ_E10value_typeET4_jRbjT5_SW_jjP12ihipStream_tbEUlT_E2_NS1_11comp_targetILNS1_3genE10ELNS1_11target_archE1201ELNS1_3gpuE5ELNS1_3repE0EEENS1_30default_config_static_selectorELNS0_4arch9wavefront6targetE0EEEvSK_.has_recursion, or(0, .L_ZN7rocprim17ROCPRIM_400000_NS6detail26segmented_warp_sort_helperINS1_20WarpSortHelperConfigILj8ELj4ELj256EEEilLi256ELb1EvE4sortIPKiPiPKlPlEEvT_T0_T1_T2_jjjjRNS5_12storage_typeE.has_recursion, .L_ZN7rocprim17ROCPRIM_400000_NS6detail40segmented_radix_sort_single_block_helperIilLj256ELj16ELb1EE4sortIPKiPiPKlPlEEbT_T0_T1_T2_jjjjRNS3_12storage_typeE.has_recursion)
	.set _ZN7rocprim17ROCPRIM_400000_NS6detail17trampoline_kernelINS0_14default_configENS1_36segmented_radix_sort_config_selectorIilEEZNS1_25segmented_radix_sort_implIS3_Lb1EPKiPiPKlPlN2at6native12_GLOBAL__N_18offset_tEEE10hipError_tPvRmT1_PNSt15iterator_traitsISK_E10value_typeET2_T3_PNSL_ISQ_E10value_typeET4_jRbjT5_SW_jjP12ihipStream_tbEUlT_E2_NS1_11comp_targetILNS1_3genE10ELNS1_11target_archE1201ELNS1_3gpuE5ELNS1_3repE0EEENS1_30default_config_static_selectorELNS0_4arch9wavefront6targetE0EEEvSK_.has_indirect_call, or(0, .L_ZN7rocprim17ROCPRIM_400000_NS6detail26segmented_warp_sort_helperINS1_20WarpSortHelperConfigILj8ELj4ELj256EEEilLi256ELb1EvE4sortIPKiPiPKlPlEEvT_T0_T1_T2_jjjjRNS5_12storage_typeE.has_indirect_call, .L_ZN7rocprim17ROCPRIM_400000_NS6detail40segmented_radix_sort_single_block_helperIilLj256ELj16ELb1EE4sortIPKiPiPKlPlEEbT_T0_T1_T2_jjjjRNS3_12storage_typeE.has_indirect_call)
	.section	.AMDGPU.csdata,"",@progbits
; Kernel info:
; codeLenInByte = 74960
; TotalNumSgprs: 60
; NumVgprs: 248
; ScratchSize: 100
; MemoryBound: 0
; FloatMode: 240
; IeeeMode: 1
; LDSByteSize: 33824 bytes/workgroup (compile time only)
; SGPRBlocks: 0
; VGPRBlocks: 30
; NumSGPRsForWavesPerEU: 60
; NumVGPRsForWavesPerEU: 248
; Occupancy: 5
; WaveLimiterHint : 1
; COMPUTE_PGM_RSRC2:SCRATCH_EN: 1
; COMPUTE_PGM_RSRC2:USER_SGPR: 2
; COMPUTE_PGM_RSRC2:TRAP_HANDLER: 0
; COMPUTE_PGM_RSRC2:TGID_X_EN: 1
; COMPUTE_PGM_RSRC2:TGID_Y_EN: 1
; COMPUTE_PGM_RSRC2:TGID_Z_EN: 0
; COMPUTE_PGM_RSRC2:TIDIG_COMP_CNT: 2
	.section	.text._ZN7rocprim17ROCPRIM_400000_NS6detail17trampoline_kernelINS0_14default_configENS1_36segmented_radix_sort_config_selectorIilEEZNS1_25segmented_radix_sort_implIS3_Lb1EPKiPiPKlPlN2at6native12_GLOBAL__N_18offset_tEEE10hipError_tPvRmT1_PNSt15iterator_traitsISK_E10value_typeET2_T3_PNSL_ISQ_E10value_typeET4_jRbjT5_SW_jjP12ihipStream_tbEUlT_E2_NS1_11comp_targetILNS1_3genE10ELNS1_11target_archE1200ELNS1_3gpuE4ELNS1_3repE0EEENS1_30default_config_static_selectorELNS0_4arch9wavefront6targetE0EEEvSK_,"axG",@progbits,_ZN7rocprim17ROCPRIM_400000_NS6detail17trampoline_kernelINS0_14default_configENS1_36segmented_radix_sort_config_selectorIilEEZNS1_25segmented_radix_sort_implIS3_Lb1EPKiPiPKlPlN2at6native12_GLOBAL__N_18offset_tEEE10hipError_tPvRmT1_PNSt15iterator_traitsISK_E10value_typeET2_T3_PNSL_ISQ_E10value_typeET4_jRbjT5_SW_jjP12ihipStream_tbEUlT_E2_NS1_11comp_targetILNS1_3genE10ELNS1_11target_archE1200ELNS1_3gpuE4ELNS1_3repE0EEENS1_30default_config_static_selectorELNS0_4arch9wavefront6targetE0EEEvSK_,comdat
	.globl	_ZN7rocprim17ROCPRIM_400000_NS6detail17trampoline_kernelINS0_14default_configENS1_36segmented_radix_sort_config_selectorIilEEZNS1_25segmented_radix_sort_implIS3_Lb1EPKiPiPKlPlN2at6native12_GLOBAL__N_18offset_tEEE10hipError_tPvRmT1_PNSt15iterator_traitsISK_E10value_typeET2_T3_PNSL_ISQ_E10value_typeET4_jRbjT5_SW_jjP12ihipStream_tbEUlT_E2_NS1_11comp_targetILNS1_3genE10ELNS1_11target_archE1200ELNS1_3gpuE4ELNS1_3repE0EEENS1_30default_config_static_selectorELNS0_4arch9wavefront6targetE0EEEvSK_ ; -- Begin function _ZN7rocprim17ROCPRIM_400000_NS6detail17trampoline_kernelINS0_14default_configENS1_36segmented_radix_sort_config_selectorIilEEZNS1_25segmented_radix_sort_implIS3_Lb1EPKiPiPKlPlN2at6native12_GLOBAL__N_18offset_tEEE10hipError_tPvRmT1_PNSt15iterator_traitsISK_E10value_typeET2_T3_PNSL_ISQ_E10value_typeET4_jRbjT5_SW_jjP12ihipStream_tbEUlT_E2_NS1_11comp_targetILNS1_3genE10ELNS1_11target_archE1200ELNS1_3gpuE4ELNS1_3repE0EEENS1_30default_config_static_selectorELNS0_4arch9wavefront6targetE0EEEvSK_
	.p2align	8
	.type	_ZN7rocprim17ROCPRIM_400000_NS6detail17trampoline_kernelINS0_14default_configENS1_36segmented_radix_sort_config_selectorIilEEZNS1_25segmented_radix_sort_implIS3_Lb1EPKiPiPKlPlN2at6native12_GLOBAL__N_18offset_tEEE10hipError_tPvRmT1_PNSt15iterator_traitsISK_E10value_typeET2_T3_PNSL_ISQ_E10value_typeET4_jRbjT5_SW_jjP12ihipStream_tbEUlT_E2_NS1_11comp_targetILNS1_3genE10ELNS1_11target_archE1200ELNS1_3gpuE4ELNS1_3repE0EEENS1_30default_config_static_selectorELNS0_4arch9wavefront6targetE0EEEvSK_,@function
_ZN7rocprim17ROCPRIM_400000_NS6detail17trampoline_kernelINS0_14default_configENS1_36segmented_radix_sort_config_selectorIilEEZNS1_25segmented_radix_sort_implIS3_Lb1EPKiPiPKlPlN2at6native12_GLOBAL__N_18offset_tEEE10hipError_tPvRmT1_PNSt15iterator_traitsISK_E10value_typeET2_T3_PNSL_ISQ_E10value_typeET4_jRbjT5_SW_jjP12ihipStream_tbEUlT_E2_NS1_11comp_targetILNS1_3genE10ELNS1_11target_archE1200ELNS1_3gpuE4ELNS1_3repE0EEENS1_30default_config_static_selectorELNS0_4arch9wavefront6targetE0EEEvSK_: ; @_ZN7rocprim17ROCPRIM_400000_NS6detail17trampoline_kernelINS0_14default_configENS1_36segmented_radix_sort_config_selectorIilEEZNS1_25segmented_radix_sort_implIS3_Lb1EPKiPiPKlPlN2at6native12_GLOBAL__N_18offset_tEEE10hipError_tPvRmT1_PNSt15iterator_traitsISK_E10value_typeET2_T3_PNSL_ISQ_E10value_typeET4_jRbjT5_SW_jjP12ihipStream_tbEUlT_E2_NS1_11comp_targetILNS1_3genE10ELNS1_11target_archE1200ELNS1_3gpuE4ELNS1_3repE0EEENS1_30default_config_static_selectorELNS0_4arch9wavefront6targetE0EEEvSK_
; %bb.0:
	.section	.rodata,"a",@progbits
	.p2align	6, 0x0
	.amdhsa_kernel _ZN7rocprim17ROCPRIM_400000_NS6detail17trampoline_kernelINS0_14default_configENS1_36segmented_radix_sort_config_selectorIilEEZNS1_25segmented_radix_sort_implIS3_Lb1EPKiPiPKlPlN2at6native12_GLOBAL__N_18offset_tEEE10hipError_tPvRmT1_PNSt15iterator_traitsISK_E10value_typeET2_T3_PNSL_ISQ_E10value_typeET4_jRbjT5_SW_jjP12ihipStream_tbEUlT_E2_NS1_11comp_targetILNS1_3genE10ELNS1_11target_archE1200ELNS1_3gpuE4ELNS1_3repE0EEENS1_30default_config_static_selectorELNS0_4arch9wavefront6targetE0EEEvSK_
		.amdhsa_group_segment_fixed_size 0
		.amdhsa_private_segment_fixed_size 0
		.amdhsa_kernarg_size 80
		.amdhsa_user_sgpr_count 2
		.amdhsa_user_sgpr_dispatch_ptr 0
		.amdhsa_user_sgpr_queue_ptr 0
		.amdhsa_user_sgpr_kernarg_segment_ptr 1
		.amdhsa_user_sgpr_dispatch_id 0
		.amdhsa_user_sgpr_private_segment_size 0
		.amdhsa_wavefront_size32 1
		.amdhsa_uses_dynamic_stack 0
		.amdhsa_enable_private_segment 0
		.amdhsa_system_sgpr_workgroup_id_x 1
		.amdhsa_system_sgpr_workgroup_id_y 0
		.amdhsa_system_sgpr_workgroup_id_z 0
		.amdhsa_system_sgpr_workgroup_info 0
		.amdhsa_system_vgpr_workitem_id 0
		.amdhsa_next_free_vgpr 1
		.amdhsa_next_free_sgpr 1
		.amdhsa_reserve_vcc 0
		.amdhsa_float_round_mode_32 0
		.amdhsa_float_round_mode_16_64 0
		.amdhsa_float_denorm_mode_32 3
		.amdhsa_float_denorm_mode_16_64 3
		.amdhsa_fp16_overflow 0
		.amdhsa_workgroup_processor_mode 1
		.amdhsa_memory_ordered 1
		.amdhsa_forward_progress 1
		.amdhsa_inst_pref_size 0
		.amdhsa_round_robin_scheduling 0
		.amdhsa_exception_fp_ieee_invalid_op 0
		.amdhsa_exception_fp_denorm_src 0
		.amdhsa_exception_fp_ieee_div_zero 0
		.amdhsa_exception_fp_ieee_overflow 0
		.amdhsa_exception_fp_ieee_underflow 0
		.amdhsa_exception_fp_ieee_inexact 0
		.amdhsa_exception_int_div_zero 0
	.end_amdhsa_kernel
	.section	.text._ZN7rocprim17ROCPRIM_400000_NS6detail17trampoline_kernelINS0_14default_configENS1_36segmented_radix_sort_config_selectorIilEEZNS1_25segmented_radix_sort_implIS3_Lb1EPKiPiPKlPlN2at6native12_GLOBAL__N_18offset_tEEE10hipError_tPvRmT1_PNSt15iterator_traitsISK_E10value_typeET2_T3_PNSL_ISQ_E10value_typeET4_jRbjT5_SW_jjP12ihipStream_tbEUlT_E2_NS1_11comp_targetILNS1_3genE10ELNS1_11target_archE1200ELNS1_3gpuE4ELNS1_3repE0EEENS1_30default_config_static_selectorELNS0_4arch9wavefront6targetE0EEEvSK_,"axG",@progbits,_ZN7rocprim17ROCPRIM_400000_NS6detail17trampoline_kernelINS0_14default_configENS1_36segmented_radix_sort_config_selectorIilEEZNS1_25segmented_radix_sort_implIS3_Lb1EPKiPiPKlPlN2at6native12_GLOBAL__N_18offset_tEEE10hipError_tPvRmT1_PNSt15iterator_traitsISK_E10value_typeET2_T3_PNSL_ISQ_E10value_typeET4_jRbjT5_SW_jjP12ihipStream_tbEUlT_E2_NS1_11comp_targetILNS1_3genE10ELNS1_11target_archE1200ELNS1_3gpuE4ELNS1_3repE0EEENS1_30default_config_static_selectorELNS0_4arch9wavefront6targetE0EEEvSK_,comdat
.Lfunc_end533:
	.size	_ZN7rocprim17ROCPRIM_400000_NS6detail17trampoline_kernelINS0_14default_configENS1_36segmented_radix_sort_config_selectorIilEEZNS1_25segmented_radix_sort_implIS3_Lb1EPKiPiPKlPlN2at6native12_GLOBAL__N_18offset_tEEE10hipError_tPvRmT1_PNSt15iterator_traitsISK_E10value_typeET2_T3_PNSL_ISQ_E10value_typeET4_jRbjT5_SW_jjP12ihipStream_tbEUlT_E2_NS1_11comp_targetILNS1_3genE10ELNS1_11target_archE1200ELNS1_3gpuE4ELNS1_3repE0EEENS1_30default_config_static_selectorELNS0_4arch9wavefront6targetE0EEEvSK_, .Lfunc_end533-_ZN7rocprim17ROCPRIM_400000_NS6detail17trampoline_kernelINS0_14default_configENS1_36segmented_radix_sort_config_selectorIilEEZNS1_25segmented_radix_sort_implIS3_Lb1EPKiPiPKlPlN2at6native12_GLOBAL__N_18offset_tEEE10hipError_tPvRmT1_PNSt15iterator_traitsISK_E10value_typeET2_T3_PNSL_ISQ_E10value_typeET4_jRbjT5_SW_jjP12ihipStream_tbEUlT_E2_NS1_11comp_targetILNS1_3genE10ELNS1_11target_archE1200ELNS1_3gpuE4ELNS1_3repE0EEENS1_30default_config_static_selectorELNS0_4arch9wavefront6targetE0EEEvSK_
                                        ; -- End function
	.set _ZN7rocprim17ROCPRIM_400000_NS6detail17trampoline_kernelINS0_14default_configENS1_36segmented_radix_sort_config_selectorIilEEZNS1_25segmented_radix_sort_implIS3_Lb1EPKiPiPKlPlN2at6native12_GLOBAL__N_18offset_tEEE10hipError_tPvRmT1_PNSt15iterator_traitsISK_E10value_typeET2_T3_PNSL_ISQ_E10value_typeET4_jRbjT5_SW_jjP12ihipStream_tbEUlT_E2_NS1_11comp_targetILNS1_3genE10ELNS1_11target_archE1200ELNS1_3gpuE4ELNS1_3repE0EEENS1_30default_config_static_selectorELNS0_4arch9wavefront6targetE0EEEvSK_.num_vgpr, 0
	.set _ZN7rocprim17ROCPRIM_400000_NS6detail17trampoline_kernelINS0_14default_configENS1_36segmented_radix_sort_config_selectorIilEEZNS1_25segmented_radix_sort_implIS3_Lb1EPKiPiPKlPlN2at6native12_GLOBAL__N_18offset_tEEE10hipError_tPvRmT1_PNSt15iterator_traitsISK_E10value_typeET2_T3_PNSL_ISQ_E10value_typeET4_jRbjT5_SW_jjP12ihipStream_tbEUlT_E2_NS1_11comp_targetILNS1_3genE10ELNS1_11target_archE1200ELNS1_3gpuE4ELNS1_3repE0EEENS1_30default_config_static_selectorELNS0_4arch9wavefront6targetE0EEEvSK_.num_agpr, 0
	.set _ZN7rocprim17ROCPRIM_400000_NS6detail17trampoline_kernelINS0_14default_configENS1_36segmented_radix_sort_config_selectorIilEEZNS1_25segmented_radix_sort_implIS3_Lb1EPKiPiPKlPlN2at6native12_GLOBAL__N_18offset_tEEE10hipError_tPvRmT1_PNSt15iterator_traitsISK_E10value_typeET2_T3_PNSL_ISQ_E10value_typeET4_jRbjT5_SW_jjP12ihipStream_tbEUlT_E2_NS1_11comp_targetILNS1_3genE10ELNS1_11target_archE1200ELNS1_3gpuE4ELNS1_3repE0EEENS1_30default_config_static_selectorELNS0_4arch9wavefront6targetE0EEEvSK_.numbered_sgpr, 0
	.set _ZN7rocprim17ROCPRIM_400000_NS6detail17trampoline_kernelINS0_14default_configENS1_36segmented_radix_sort_config_selectorIilEEZNS1_25segmented_radix_sort_implIS3_Lb1EPKiPiPKlPlN2at6native12_GLOBAL__N_18offset_tEEE10hipError_tPvRmT1_PNSt15iterator_traitsISK_E10value_typeET2_T3_PNSL_ISQ_E10value_typeET4_jRbjT5_SW_jjP12ihipStream_tbEUlT_E2_NS1_11comp_targetILNS1_3genE10ELNS1_11target_archE1200ELNS1_3gpuE4ELNS1_3repE0EEENS1_30default_config_static_selectorELNS0_4arch9wavefront6targetE0EEEvSK_.num_named_barrier, 0
	.set _ZN7rocprim17ROCPRIM_400000_NS6detail17trampoline_kernelINS0_14default_configENS1_36segmented_radix_sort_config_selectorIilEEZNS1_25segmented_radix_sort_implIS3_Lb1EPKiPiPKlPlN2at6native12_GLOBAL__N_18offset_tEEE10hipError_tPvRmT1_PNSt15iterator_traitsISK_E10value_typeET2_T3_PNSL_ISQ_E10value_typeET4_jRbjT5_SW_jjP12ihipStream_tbEUlT_E2_NS1_11comp_targetILNS1_3genE10ELNS1_11target_archE1200ELNS1_3gpuE4ELNS1_3repE0EEENS1_30default_config_static_selectorELNS0_4arch9wavefront6targetE0EEEvSK_.private_seg_size, 0
	.set _ZN7rocprim17ROCPRIM_400000_NS6detail17trampoline_kernelINS0_14default_configENS1_36segmented_radix_sort_config_selectorIilEEZNS1_25segmented_radix_sort_implIS3_Lb1EPKiPiPKlPlN2at6native12_GLOBAL__N_18offset_tEEE10hipError_tPvRmT1_PNSt15iterator_traitsISK_E10value_typeET2_T3_PNSL_ISQ_E10value_typeET4_jRbjT5_SW_jjP12ihipStream_tbEUlT_E2_NS1_11comp_targetILNS1_3genE10ELNS1_11target_archE1200ELNS1_3gpuE4ELNS1_3repE0EEENS1_30default_config_static_selectorELNS0_4arch9wavefront6targetE0EEEvSK_.uses_vcc, 0
	.set _ZN7rocprim17ROCPRIM_400000_NS6detail17trampoline_kernelINS0_14default_configENS1_36segmented_radix_sort_config_selectorIilEEZNS1_25segmented_radix_sort_implIS3_Lb1EPKiPiPKlPlN2at6native12_GLOBAL__N_18offset_tEEE10hipError_tPvRmT1_PNSt15iterator_traitsISK_E10value_typeET2_T3_PNSL_ISQ_E10value_typeET4_jRbjT5_SW_jjP12ihipStream_tbEUlT_E2_NS1_11comp_targetILNS1_3genE10ELNS1_11target_archE1200ELNS1_3gpuE4ELNS1_3repE0EEENS1_30default_config_static_selectorELNS0_4arch9wavefront6targetE0EEEvSK_.uses_flat_scratch, 0
	.set _ZN7rocprim17ROCPRIM_400000_NS6detail17trampoline_kernelINS0_14default_configENS1_36segmented_radix_sort_config_selectorIilEEZNS1_25segmented_radix_sort_implIS3_Lb1EPKiPiPKlPlN2at6native12_GLOBAL__N_18offset_tEEE10hipError_tPvRmT1_PNSt15iterator_traitsISK_E10value_typeET2_T3_PNSL_ISQ_E10value_typeET4_jRbjT5_SW_jjP12ihipStream_tbEUlT_E2_NS1_11comp_targetILNS1_3genE10ELNS1_11target_archE1200ELNS1_3gpuE4ELNS1_3repE0EEENS1_30default_config_static_selectorELNS0_4arch9wavefront6targetE0EEEvSK_.has_dyn_sized_stack, 0
	.set _ZN7rocprim17ROCPRIM_400000_NS6detail17trampoline_kernelINS0_14default_configENS1_36segmented_radix_sort_config_selectorIilEEZNS1_25segmented_radix_sort_implIS3_Lb1EPKiPiPKlPlN2at6native12_GLOBAL__N_18offset_tEEE10hipError_tPvRmT1_PNSt15iterator_traitsISK_E10value_typeET2_T3_PNSL_ISQ_E10value_typeET4_jRbjT5_SW_jjP12ihipStream_tbEUlT_E2_NS1_11comp_targetILNS1_3genE10ELNS1_11target_archE1200ELNS1_3gpuE4ELNS1_3repE0EEENS1_30default_config_static_selectorELNS0_4arch9wavefront6targetE0EEEvSK_.has_recursion, 0
	.set _ZN7rocprim17ROCPRIM_400000_NS6detail17trampoline_kernelINS0_14default_configENS1_36segmented_radix_sort_config_selectorIilEEZNS1_25segmented_radix_sort_implIS3_Lb1EPKiPiPKlPlN2at6native12_GLOBAL__N_18offset_tEEE10hipError_tPvRmT1_PNSt15iterator_traitsISK_E10value_typeET2_T3_PNSL_ISQ_E10value_typeET4_jRbjT5_SW_jjP12ihipStream_tbEUlT_E2_NS1_11comp_targetILNS1_3genE10ELNS1_11target_archE1200ELNS1_3gpuE4ELNS1_3repE0EEENS1_30default_config_static_selectorELNS0_4arch9wavefront6targetE0EEEvSK_.has_indirect_call, 0
	.section	.AMDGPU.csdata,"",@progbits
; Kernel info:
; codeLenInByte = 0
; TotalNumSgprs: 0
; NumVgprs: 0
; ScratchSize: 0
; MemoryBound: 0
; FloatMode: 240
; IeeeMode: 1
; LDSByteSize: 0 bytes/workgroup (compile time only)
; SGPRBlocks: 0
; VGPRBlocks: 0
; NumSGPRsForWavesPerEU: 1
; NumVGPRsForWavesPerEU: 1
; Occupancy: 16
; WaveLimiterHint : 0
; COMPUTE_PGM_RSRC2:SCRATCH_EN: 0
; COMPUTE_PGM_RSRC2:USER_SGPR: 2
; COMPUTE_PGM_RSRC2:TRAP_HANDLER: 0
; COMPUTE_PGM_RSRC2:TGID_X_EN: 1
; COMPUTE_PGM_RSRC2:TGID_Y_EN: 0
; COMPUTE_PGM_RSRC2:TGID_Z_EN: 0
; COMPUTE_PGM_RSRC2:TIDIG_COMP_CNT: 0
	.section	.text._ZN7rocprim17ROCPRIM_400000_NS6detail17trampoline_kernelINS0_14default_configENS1_36segmented_radix_sort_config_selectorIilEEZNS1_25segmented_radix_sort_implIS3_Lb1EPKiPiPKlPlN2at6native12_GLOBAL__N_18offset_tEEE10hipError_tPvRmT1_PNSt15iterator_traitsISK_E10value_typeET2_T3_PNSL_ISQ_E10value_typeET4_jRbjT5_SW_jjP12ihipStream_tbEUlT_E2_NS1_11comp_targetILNS1_3genE9ELNS1_11target_archE1100ELNS1_3gpuE3ELNS1_3repE0EEENS1_30default_config_static_selectorELNS0_4arch9wavefront6targetE0EEEvSK_,"axG",@progbits,_ZN7rocprim17ROCPRIM_400000_NS6detail17trampoline_kernelINS0_14default_configENS1_36segmented_radix_sort_config_selectorIilEEZNS1_25segmented_radix_sort_implIS3_Lb1EPKiPiPKlPlN2at6native12_GLOBAL__N_18offset_tEEE10hipError_tPvRmT1_PNSt15iterator_traitsISK_E10value_typeET2_T3_PNSL_ISQ_E10value_typeET4_jRbjT5_SW_jjP12ihipStream_tbEUlT_E2_NS1_11comp_targetILNS1_3genE9ELNS1_11target_archE1100ELNS1_3gpuE3ELNS1_3repE0EEENS1_30default_config_static_selectorELNS0_4arch9wavefront6targetE0EEEvSK_,comdat
	.globl	_ZN7rocprim17ROCPRIM_400000_NS6detail17trampoline_kernelINS0_14default_configENS1_36segmented_radix_sort_config_selectorIilEEZNS1_25segmented_radix_sort_implIS3_Lb1EPKiPiPKlPlN2at6native12_GLOBAL__N_18offset_tEEE10hipError_tPvRmT1_PNSt15iterator_traitsISK_E10value_typeET2_T3_PNSL_ISQ_E10value_typeET4_jRbjT5_SW_jjP12ihipStream_tbEUlT_E2_NS1_11comp_targetILNS1_3genE9ELNS1_11target_archE1100ELNS1_3gpuE3ELNS1_3repE0EEENS1_30default_config_static_selectorELNS0_4arch9wavefront6targetE0EEEvSK_ ; -- Begin function _ZN7rocprim17ROCPRIM_400000_NS6detail17trampoline_kernelINS0_14default_configENS1_36segmented_radix_sort_config_selectorIilEEZNS1_25segmented_radix_sort_implIS3_Lb1EPKiPiPKlPlN2at6native12_GLOBAL__N_18offset_tEEE10hipError_tPvRmT1_PNSt15iterator_traitsISK_E10value_typeET2_T3_PNSL_ISQ_E10value_typeET4_jRbjT5_SW_jjP12ihipStream_tbEUlT_E2_NS1_11comp_targetILNS1_3genE9ELNS1_11target_archE1100ELNS1_3gpuE3ELNS1_3repE0EEENS1_30default_config_static_selectorELNS0_4arch9wavefront6targetE0EEEvSK_
	.p2align	8
	.type	_ZN7rocprim17ROCPRIM_400000_NS6detail17trampoline_kernelINS0_14default_configENS1_36segmented_radix_sort_config_selectorIilEEZNS1_25segmented_radix_sort_implIS3_Lb1EPKiPiPKlPlN2at6native12_GLOBAL__N_18offset_tEEE10hipError_tPvRmT1_PNSt15iterator_traitsISK_E10value_typeET2_T3_PNSL_ISQ_E10value_typeET4_jRbjT5_SW_jjP12ihipStream_tbEUlT_E2_NS1_11comp_targetILNS1_3genE9ELNS1_11target_archE1100ELNS1_3gpuE3ELNS1_3repE0EEENS1_30default_config_static_selectorELNS0_4arch9wavefront6targetE0EEEvSK_,@function
_ZN7rocprim17ROCPRIM_400000_NS6detail17trampoline_kernelINS0_14default_configENS1_36segmented_radix_sort_config_selectorIilEEZNS1_25segmented_radix_sort_implIS3_Lb1EPKiPiPKlPlN2at6native12_GLOBAL__N_18offset_tEEE10hipError_tPvRmT1_PNSt15iterator_traitsISK_E10value_typeET2_T3_PNSL_ISQ_E10value_typeET4_jRbjT5_SW_jjP12ihipStream_tbEUlT_E2_NS1_11comp_targetILNS1_3genE9ELNS1_11target_archE1100ELNS1_3gpuE3ELNS1_3repE0EEENS1_30default_config_static_selectorELNS0_4arch9wavefront6targetE0EEEvSK_: ; @_ZN7rocprim17ROCPRIM_400000_NS6detail17trampoline_kernelINS0_14default_configENS1_36segmented_radix_sort_config_selectorIilEEZNS1_25segmented_radix_sort_implIS3_Lb1EPKiPiPKlPlN2at6native12_GLOBAL__N_18offset_tEEE10hipError_tPvRmT1_PNSt15iterator_traitsISK_E10value_typeET2_T3_PNSL_ISQ_E10value_typeET4_jRbjT5_SW_jjP12ihipStream_tbEUlT_E2_NS1_11comp_targetILNS1_3genE9ELNS1_11target_archE1100ELNS1_3gpuE3ELNS1_3repE0EEENS1_30default_config_static_selectorELNS0_4arch9wavefront6targetE0EEEvSK_
; %bb.0:
	.section	.rodata,"a",@progbits
	.p2align	6, 0x0
	.amdhsa_kernel _ZN7rocprim17ROCPRIM_400000_NS6detail17trampoline_kernelINS0_14default_configENS1_36segmented_radix_sort_config_selectorIilEEZNS1_25segmented_radix_sort_implIS3_Lb1EPKiPiPKlPlN2at6native12_GLOBAL__N_18offset_tEEE10hipError_tPvRmT1_PNSt15iterator_traitsISK_E10value_typeET2_T3_PNSL_ISQ_E10value_typeET4_jRbjT5_SW_jjP12ihipStream_tbEUlT_E2_NS1_11comp_targetILNS1_3genE9ELNS1_11target_archE1100ELNS1_3gpuE3ELNS1_3repE0EEENS1_30default_config_static_selectorELNS0_4arch9wavefront6targetE0EEEvSK_
		.amdhsa_group_segment_fixed_size 0
		.amdhsa_private_segment_fixed_size 0
		.amdhsa_kernarg_size 80
		.amdhsa_user_sgpr_count 2
		.amdhsa_user_sgpr_dispatch_ptr 0
		.amdhsa_user_sgpr_queue_ptr 0
		.amdhsa_user_sgpr_kernarg_segment_ptr 1
		.amdhsa_user_sgpr_dispatch_id 0
		.amdhsa_user_sgpr_private_segment_size 0
		.amdhsa_wavefront_size32 1
		.amdhsa_uses_dynamic_stack 0
		.amdhsa_enable_private_segment 0
		.amdhsa_system_sgpr_workgroup_id_x 1
		.amdhsa_system_sgpr_workgroup_id_y 0
		.amdhsa_system_sgpr_workgroup_id_z 0
		.amdhsa_system_sgpr_workgroup_info 0
		.amdhsa_system_vgpr_workitem_id 0
		.amdhsa_next_free_vgpr 1
		.amdhsa_next_free_sgpr 1
		.amdhsa_reserve_vcc 0
		.amdhsa_float_round_mode_32 0
		.amdhsa_float_round_mode_16_64 0
		.amdhsa_float_denorm_mode_32 3
		.amdhsa_float_denorm_mode_16_64 3
		.amdhsa_fp16_overflow 0
		.amdhsa_workgroup_processor_mode 1
		.amdhsa_memory_ordered 1
		.amdhsa_forward_progress 1
		.amdhsa_inst_pref_size 0
		.amdhsa_round_robin_scheduling 0
		.amdhsa_exception_fp_ieee_invalid_op 0
		.amdhsa_exception_fp_denorm_src 0
		.amdhsa_exception_fp_ieee_div_zero 0
		.amdhsa_exception_fp_ieee_overflow 0
		.amdhsa_exception_fp_ieee_underflow 0
		.amdhsa_exception_fp_ieee_inexact 0
		.amdhsa_exception_int_div_zero 0
	.end_amdhsa_kernel
	.section	.text._ZN7rocprim17ROCPRIM_400000_NS6detail17trampoline_kernelINS0_14default_configENS1_36segmented_radix_sort_config_selectorIilEEZNS1_25segmented_radix_sort_implIS3_Lb1EPKiPiPKlPlN2at6native12_GLOBAL__N_18offset_tEEE10hipError_tPvRmT1_PNSt15iterator_traitsISK_E10value_typeET2_T3_PNSL_ISQ_E10value_typeET4_jRbjT5_SW_jjP12ihipStream_tbEUlT_E2_NS1_11comp_targetILNS1_3genE9ELNS1_11target_archE1100ELNS1_3gpuE3ELNS1_3repE0EEENS1_30default_config_static_selectorELNS0_4arch9wavefront6targetE0EEEvSK_,"axG",@progbits,_ZN7rocprim17ROCPRIM_400000_NS6detail17trampoline_kernelINS0_14default_configENS1_36segmented_radix_sort_config_selectorIilEEZNS1_25segmented_radix_sort_implIS3_Lb1EPKiPiPKlPlN2at6native12_GLOBAL__N_18offset_tEEE10hipError_tPvRmT1_PNSt15iterator_traitsISK_E10value_typeET2_T3_PNSL_ISQ_E10value_typeET4_jRbjT5_SW_jjP12ihipStream_tbEUlT_E2_NS1_11comp_targetILNS1_3genE9ELNS1_11target_archE1100ELNS1_3gpuE3ELNS1_3repE0EEENS1_30default_config_static_selectorELNS0_4arch9wavefront6targetE0EEEvSK_,comdat
.Lfunc_end534:
	.size	_ZN7rocprim17ROCPRIM_400000_NS6detail17trampoline_kernelINS0_14default_configENS1_36segmented_radix_sort_config_selectorIilEEZNS1_25segmented_radix_sort_implIS3_Lb1EPKiPiPKlPlN2at6native12_GLOBAL__N_18offset_tEEE10hipError_tPvRmT1_PNSt15iterator_traitsISK_E10value_typeET2_T3_PNSL_ISQ_E10value_typeET4_jRbjT5_SW_jjP12ihipStream_tbEUlT_E2_NS1_11comp_targetILNS1_3genE9ELNS1_11target_archE1100ELNS1_3gpuE3ELNS1_3repE0EEENS1_30default_config_static_selectorELNS0_4arch9wavefront6targetE0EEEvSK_, .Lfunc_end534-_ZN7rocprim17ROCPRIM_400000_NS6detail17trampoline_kernelINS0_14default_configENS1_36segmented_radix_sort_config_selectorIilEEZNS1_25segmented_radix_sort_implIS3_Lb1EPKiPiPKlPlN2at6native12_GLOBAL__N_18offset_tEEE10hipError_tPvRmT1_PNSt15iterator_traitsISK_E10value_typeET2_T3_PNSL_ISQ_E10value_typeET4_jRbjT5_SW_jjP12ihipStream_tbEUlT_E2_NS1_11comp_targetILNS1_3genE9ELNS1_11target_archE1100ELNS1_3gpuE3ELNS1_3repE0EEENS1_30default_config_static_selectorELNS0_4arch9wavefront6targetE0EEEvSK_
                                        ; -- End function
	.set _ZN7rocprim17ROCPRIM_400000_NS6detail17trampoline_kernelINS0_14default_configENS1_36segmented_radix_sort_config_selectorIilEEZNS1_25segmented_radix_sort_implIS3_Lb1EPKiPiPKlPlN2at6native12_GLOBAL__N_18offset_tEEE10hipError_tPvRmT1_PNSt15iterator_traitsISK_E10value_typeET2_T3_PNSL_ISQ_E10value_typeET4_jRbjT5_SW_jjP12ihipStream_tbEUlT_E2_NS1_11comp_targetILNS1_3genE9ELNS1_11target_archE1100ELNS1_3gpuE3ELNS1_3repE0EEENS1_30default_config_static_selectorELNS0_4arch9wavefront6targetE0EEEvSK_.num_vgpr, 0
	.set _ZN7rocprim17ROCPRIM_400000_NS6detail17trampoline_kernelINS0_14default_configENS1_36segmented_radix_sort_config_selectorIilEEZNS1_25segmented_radix_sort_implIS3_Lb1EPKiPiPKlPlN2at6native12_GLOBAL__N_18offset_tEEE10hipError_tPvRmT1_PNSt15iterator_traitsISK_E10value_typeET2_T3_PNSL_ISQ_E10value_typeET4_jRbjT5_SW_jjP12ihipStream_tbEUlT_E2_NS1_11comp_targetILNS1_3genE9ELNS1_11target_archE1100ELNS1_3gpuE3ELNS1_3repE0EEENS1_30default_config_static_selectorELNS0_4arch9wavefront6targetE0EEEvSK_.num_agpr, 0
	.set _ZN7rocprim17ROCPRIM_400000_NS6detail17trampoline_kernelINS0_14default_configENS1_36segmented_radix_sort_config_selectorIilEEZNS1_25segmented_radix_sort_implIS3_Lb1EPKiPiPKlPlN2at6native12_GLOBAL__N_18offset_tEEE10hipError_tPvRmT1_PNSt15iterator_traitsISK_E10value_typeET2_T3_PNSL_ISQ_E10value_typeET4_jRbjT5_SW_jjP12ihipStream_tbEUlT_E2_NS1_11comp_targetILNS1_3genE9ELNS1_11target_archE1100ELNS1_3gpuE3ELNS1_3repE0EEENS1_30default_config_static_selectorELNS0_4arch9wavefront6targetE0EEEvSK_.numbered_sgpr, 0
	.set _ZN7rocprim17ROCPRIM_400000_NS6detail17trampoline_kernelINS0_14default_configENS1_36segmented_radix_sort_config_selectorIilEEZNS1_25segmented_radix_sort_implIS3_Lb1EPKiPiPKlPlN2at6native12_GLOBAL__N_18offset_tEEE10hipError_tPvRmT1_PNSt15iterator_traitsISK_E10value_typeET2_T3_PNSL_ISQ_E10value_typeET4_jRbjT5_SW_jjP12ihipStream_tbEUlT_E2_NS1_11comp_targetILNS1_3genE9ELNS1_11target_archE1100ELNS1_3gpuE3ELNS1_3repE0EEENS1_30default_config_static_selectorELNS0_4arch9wavefront6targetE0EEEvSK_.num_named_barrier, 0
	.set _ZN7rocprim17ROCPRIM_400000_NS6detail17trampoline_kernelINS0_14default_configENS1_36segmented_radix_sort_config_selectorIilEEZNS1_25segmented_radix_sort_implIS3_Lb1EPKiPiPKlPlN2at6native12_GLOBAL__N_18offset_tEEE10hipError_tPvRmT1_PNSt15iterator_traitsISK_E10value_typeET2_T3_PNSL_ISQ_E10value_typeET4_jRbjT5_SW_jjP12ihipStream_tbEUlT_E2_NS1_11comp_targetILNS1_3genE9ELNS1_11target_archE1100ELNS1_3gpuE3ELNS1_3repE0EEENS1_30default_config_static_selectorELNS0_4arch9wavefront6targetE0EEEvSK_.private_seg_size, 0
	.set _ZN7rocprim17ROCPRIM_400000_NS6detail17trampoline_kernelINS0_14default_configENS1_36segmented_radix_sort_config_selectorIilEEZNS1_25segmented_radix_sort_implIS3_Lb1EPKiPiPKlPlN2at6native12_GLOBAL__N_18offset_tEEE10hipError_tPvRmT1_PNSt15iterator_traitsISK_E10value_typeET2_T3_PNSL_ISQ_E10value_typeET4_jRbjT5_SW_jjP12ihipStream_tbEUlT_E2_NS1_11comp_targetILNS1_3genE9ELNS1_11target_archE1100ELNS1_3gpuE3ELNS1_3repE0EEENS1_30default_config_static_selectorELNS0_4arch9wavefront6targetE0EEEvSK_.uses_vcc, 0
	.set _ZN7rocprim17ROCPRIM_400000_NS6detail17trampoline_kernelINS0_14default_configENS1_36segmented_radix_sort_config_selectorIilEEZNS1_25segmented_radix_sort_implIS3_Lb1EPKiPiPKlPlN2at6native12_GLOBAL__N_18offset_tEEE10hipError_tPvRmT1_PNSt15iterator_traitsISK_E10value_typeET2_T3_PNSL_ISQ_E10value_typeET4_jRbjT5_SW_jjP12ihipStream_tbEUlT_E2_NS1_11comp_targetILNS1_3genE9ELNS1_11target_archE1100ELNS1_3gpuE3ELNS1_3repE0EEENS1_30default_config_static_selectorELNS0_4arch9wavefront6targetE0EEEvSK_.uses_flat_scratch, 0
	.set _ZN7rocprim17ROCPRIM_400000_NS6detail17trampoline_kernelINS0_14default_configENS1_36segmented_radix_sort_config_selectorIilEEZNS1_25segmented_radix_sort_implIS3_Lb1EPKiPiPKlPlN2at6native12_GLOBAL__N_18offset_tEEE10hipError_tPvRmT1_PNSt15iterator_traitsISK_E10value_typeET2_T3_PNSL_ISQ_E10value_typeET4_jRbjT5_SW_jjP12ihipStream_tbEUlT_E2_NS1_11comp_targetILNS1_3genE9ELNS1_11target_archE1100ELNS1_3gpuE3ELNS1_3repE0EEENS1_30default_config_static_selectorELNS0_4arch9wavefront6targetE0EEEvSK_.has_dyn_sized_stack, 0
	.set _ZN7rocprim17ROCPRIM_400000_NS6detail17trampoline_kernelINS0_14default_configENS1_36segmented_radix_sort_config_selectorIilEEZNS1_25segmented_radix_sort_implIS3_Lb1EPKiPiPKlPlN2at6native12_GLOBAL__N_18offset_tEEE10hipError_tPvRmT1_PNSt15iterator_traitsISK_E10value_typeET2_T3_PNSL_ISQ_E10value_typeET4_jRbjT5_SW_jjP12ihipStream_tbEUlT_E2_NS1_11comp_targetILNS1_3genE9ELNS1_11target_archE1100ELNS1_3gpuE3ELNS1_3repE0EEENS1_30default_config_static_selectorELNS0_4arch9wavefront6targetE0EEEvSK_.has_recursion, 0
	.set _ZN7rocprim17ROCPRIM_400000_NS6detail17trampoline_kernelINS0_14default_configENS1_36segmented_radix_sort_config_selectorIilEEZNS1_25segmented_radix_sort_implIS3_Lb1EPKiPiPKlPlN2at6native12_GLOBAL__N_18offset_tEEE10hipError_tPvRmT1_PNSt15iterator_traitsISK_E10value_typeET2_T3_PNSL_ISQ_E10value_typeET4_jRbjT5_SW_jjP12ihipStream_tbEUlT_E2_NS1_11comp_targetILNS1_3genE9ELNS1_11target_archE1100ELNS1_3gpuE3ELNS1_3repE0EEENS1_30default_config_static_selectorELNS0_4arch9wavefront6targetE0EEEvSK_.has_indirect_call, 0
	.section	.AMDGPU.csdata,"",@progbits
; Kernel info:
; codeLenInByte = 0
; TotalNumSgprs: 0
; NumVgprs: 0
; ScratchSize: 0
; MemoryBound: 0
; FloatMode: 240
; IeeeMode: 1
; LDSByteSize: 0 bytes/workgroup (compile time only)
; SGPRBlocks: 0
; VGPRBlocks: 0
; NumSGPRsForWavesPerEU: 1
; NumVGPRsForWavesPerEU: 1
; Occupancy: 16
; WaveLimiterHint : 0
; COMPUTE_PGM_RSRC2:SCRATCH_EN: 0
; COMPUTE_PGM_RSRC2:USER_SGPR: 2
; COMPUTE_PGM_RSRC2:TRAP_HANDLER: 0
; COMPUTE_PGM_RSRC2:TGID_X_EN: 1
; COMPUTE_PGM_RSRC2:TGID_Y_EN: 0
; COMPUTE_PGM_RSRC2:TGID_Z_EN: 0
; COMPUTE_PGM_RSRC2:TIDIG_COMP_CNT: 0
	.section	.text._ZN7rocprim17ROCPRIM_400000_NS6detail17trampoline_kernelINS0_14default_configENS1_36segmented_radix_sort_config_selectorIilEEZNS1_25segmented_radix_sort_implIS3_Lb1EPKiPiPKlPlN2at6native12_GLOBAL__N_18offset_tEEE10hipError_tPvRmT1_PNSt15iterator_traitsISK_E10value_typeET2_T3_PNSL_ISQ_E10value_typeET4_jRbjT5_SW_jjP12ihipStream_tbEUlT_E2_NS1_11comp_targetILNS1_3genE8ELNS1_11target_archE1030ELNS1_3gpuE2ELNS1_3repE0EEENS1_30default_config_static_selectorELNS0_4arch9wavefront6targetE0EEEvSK_,"axG",@progbits,_ZN7rocprim17ROCPRIM_400000_NS6detail17trampoline_kernelINS0_14default_configENS1_36segmented_radix_sort_config_selectorIilEEZNS1_25segmented_radix_sort_implIS3_Lb1EPKiPiPKlPlN2at6native12_GLOBAL__N_18offset_tEEE10hipError_tPvRmT1_PNSt15iterator_traitsISK_E10value_typeET2_T3_PNSL_ISQ_E10value_typeET4_jRbjT5_SW_jjP12ihipStream_tbEUlT_E2_NS1_11comp_targetILNS1_3genE8ELNS1_11target_archE1030ELNS1_3gpuE2ELNS1_3repE0EEENS1_30default_config_static_selectorELNS0_4arch9wavefront6targetE0EEEvSK_,comdat
	.globl	_ZN7rocprim17ROCPRIM_400000_NS6detail17trampoline_kernelINS0_14default_configENS1_36segmented_radix_sort_config_selectorIilEEZNS1_25segmented_radix_sort_implIS3_Lb1EPKiPiPKlPlN2at6native12_GLOBAL__N_18offset_tEEE10hipError_tPvRmT1_PNSt15iterator_traitsISK_E10value_typeET2_T3_PNSL_ISQ_E10value_typeET4_jRbjT5_SW_jjP12ihipStream_tbEUlT_E2_NS1_11comp_targetILNS1_3genE8ELNS1_11target_archE1030ELNS1_3gpuE2ELNS1_3repE0EEENS1_30default_config_static_selectorELNS0_4arch9wavefront6targetE0EEEvSK_ ; -- Begin function _ZN7rocprim17ROCPRIM_400000_NS6detail17trampoline_kernelINS0_14default_configENS1_36segmented_radix_sort_config_selectorIilEEZNS1_25segmented_radix_sort_implIS3_Lb1EPKiPiPKlPlN2at6native12_GLOBAL__N_18offset_tEEE10hipError_tPvRmT1_PNSt15iterator_traitsISK_E10value_typeET2_T3_PNSL_ISQ_E10value_typeET4_jRbjT5_SW_jjP12ihipStream_tbEUlT_E2_NS1_11comp_targetILNS1_3genE8ELNS1_11target_archE1030ELNS1_3gpuE2ELNS1_3repE0EEENS1_30default_config_static_selectorELNS0_4arch9wavefront6targetE0EEEvSK_
	.p2align	8
	.type	_ZN7rocprim17ROCPRIM_400000_NS6detail17trampoline_kernelINS0_14default_configENS1_36segmented_radix_sort_config_selectorIilEEZNS1_25segmented_radix_sort_implIS3_Lb1EPKiPiPKlPlN2at6native12_GLOBAL__N_18offset_tEEE10hipError_tPvRmT1_PNSt15iterator_traitsISK_E10value_typeET2_T3_PNSL_ISQ_E10value_typeET4_jRbjT5_SW_jjP12ihipStream_tbEUlT_E2_NS1_11comp_targetILNS1_3genE8ELNS1_11target_archE1030ELNS1_3gpuE2ELNS1_3repE0EEENS1_30default_config_static_selectorELNS0_4arch9wavefront6targetE0EEEvSK_,@function
_ZN7rocprim17ROCPRIM_400000_NS6detail17trampoline_kernelINS0_14default_configENS1_36segmented_radix_sort_config_selectorIilEEZNS1_25segmented_radix_sort_implIS3_Lb1EPKiPiPKlPlN2at6native12_GLOBAL__N_18offset_tEEE10hipError_tPvRmT1_PNSt15iterator_traitsISK_E10value_typeET2_T3_PNSL_ISQ_E10value_typeET4_jRbjT5_SW_jjP12ihipStream_tbEUlT_E2_NS1_11comp_targetILNS1_3genE8ELNS1_11target_archE1030ELNS1_3gpuE2ELNS1_3repE0EEENS1_30default_config_static_selectorELNS0_4arch9wavefront6targetE0EEEvSK_: ; @_ZN7rocprim17ROCPRIM_400000_NS6detail17trampoline_kernelINS0_14default_configENS1_36segmented_radix_sort_config_selectorIilEEZNS1_25segmented_radix_sort_implIS3_Lb1EPKiPiPKlPlN2at6native12_GLOBAL__N_18offset_tEEE10hipError_tPvRmT1_PNSt15iterator_traitsISK_E10value_typeET2_T3_PNSL_ISQ_E10value_typeET4_jRbjT5_SW_jjP12ihipStream_tbEUlT_E2_NS1_11comp_targetILNS1_3genE8ELNS1_11target_archE1030ELNS1_3gpuE2ELNS1_3repE0EEENS1_30default_config_static_selectorELNS0_4arch9wavefront6targetE0EEEvSK_
; %bb.0:
	.section	.rodata,"a",@progbits
	.p2align	6, 0x0
	.amdhsa_kernel _ZN7rocprim17ROCPRIM_400000_NS6detail17trampoline_kernelINS0_14default_configENS1_36segmented_radix_sort_config_selectorIilEEZNS1_25segmented_radix_sort_implIS3_Lb1EPKiPiPKlPlN2at6native12_GLOBAL__N_18offset_tEEE10hipError_tPvRmT1_PNSt15iterator_traitsISK_E10value_typeET2_T3_PNSL_ISQ_E10value_typeET4_jRbjT5_SW_jjP12ihipStream_tbEUlT_E2_NS1_11comp_targetILNS1_3genE8ELNS1_11target_archE1030ELNS1_3gpuE2ELNS1_3repE0EEENS1_30default_config_static_selectorELNS0_4arch9wavefront6targetE0EEEvSK_
		.amdhsa_group_segment_fixed_size 0
		.amdhsa_private_segment_fixed_size 0
		.amdhsa_kernarg_size 80
		.amdhsa_user_sgpr_count 2
		.amdhsa_user_sgpr_dispatch_ptr 0
		.amdhsa_user_sgpr_queue_ptr 0
		.amdhsa_user_sgpr_kernarg_segment_ptr 1
		.amdhsa_user_sgpr_dispatch_id 0
		.amdhsa_user_sgpr_private_segment_size 0
		.amdhsa_wavefront_size32 1
		.amdhsa_uses_dynamic_stack 0
		.amdhsa_enable_private_segment 0
		.amdhsa_system_sgpr_workgroup_id_x 1
		.amdhsa_system_sgpr_workgroup_id_y 0
		.amdhsa_system_sgpr_workgroup_id_z 0
		.amdhsa_system_sgpr_workgroup_info 0
		.amdhsa_system_vgpr_workitem_id 0
		.amdhsa_next_free_vgpr 1
		.amdhsa_next_free_sgpr 1
		.amdhsa_reserve_vcc 0
		.amdhsa_float_round_mode_32 0
		.amdhsa_float_round_mode_16_64 0
		.amdhsa_float_denorm_mode_32 3
		.amdhsa_float_denorm_mode_16_64 3
		.amdhsa_fp16_overflow 0
		.amdhsa_workgroup_processor_mode 1
		.amdhsa_memory_ordered 1
		.amdhsa_forward_progress 1
		.amdhsa_inst_pref_size 0
		.amdhsa_round_robin_scheduling 0
		.amdhsa_exception_fp_ieee_invalid_op 0
		.amdhsa_exception_fp_denorm_src 0
		.amdhsa_exception_fp_ieee_div_zero 0
		.amdhsa_exception_fp_ieee_overflow 0
		.amdhsa_exception_fp_ieee_underflow 0
		.amdhsa_exception_fp_ieee_inexact 0
		.amdhsa_exception_int_div_zero 0
	.end_amdhsa_kernel
	.section	.text._ZN7rocprim17ROCPRIM_400000_NS6detail17trampoline_kernelINS0_14default_configENS1_36segmented_radix_sort_config_selectorIilEEZNS1_25segmented_radix_sort_implIS3_Lb1EPKiPiPKlPlN2at6native12_GLOBAL__N_18offset_tEEE10hipError_tPvRmT1_PNSt15iterator_traitsISK_E10value_typeET2_T3_PNSL_ISQ_E10value_typeET4_jRbjT5_SW_jjP12ihipStream_tbEUlT_E2_NS1_11comp_targetILNS1_3genE8ELNS1_11target_archE1030ELNS1_3gpuE2ELNS1_3repE0EEENS1_30default_config_static_selectorELNS0_4arch9wavefront6targetE0EEEvSK_,"axG",@progbits,_ZN7rocprim17ROCPRIM_400000_NS6detail17trampoline_kernelINS0_14default_configENS1_36segmented_radix_sort_config_selectorIilEEZNS1_25segmented_radix_sort_implIS3_Lb1EPKiPiPKlPlN2at6native12_GLOBAL__N_18offset_tEEE10hipError_tPvRmT1_PNSt15iterator_traitsISK_E10value_typeET2_T3_PNSL_ISQ_E10value_typeET4_jRbjT5_SW_jjP12ihipStream_tbEUlT_E2_NS1_11comp_targetILNS1_3genE8ELNS1_11target_archE1030ELNS1_3gpuE2ELNS1_3repE0EEENS1_30default_config_static_selectorELNS0_4arch9wavefront6targetE0EEEvSK_,comdat
.Lfunc_end535:
	.size	_ZN7rocprim17ROCPRIM_400000_NS6detail17trampoline_kernelINS0_14default_configENS1_36segmented_radix_sort_config_selectorIilEEZNS1_25segmented_radix_sort_implIS3_Lb1EPKiPiPKlPlN2at6native12_GLOBAL__N_18offset_tEEE10hipError_tPvRmT1_PNSt15iterator_traitsISK_E10value_typeET2_T3_PNSL_ISQ_E10value_typeET4_jRbjT5_SW_jjP12ihipStream_tbEUlT_E2_NS1_11comp_targetILNS1_3genE8ELNS1_11target_archE1030ELNS1_3gpuE2ELNS1_3repE0EEENS1_30default_config_static_selectorELNS0_4arch9wavefront6targetE0EEEvSK_, .Lfunc_end535-_ZN7rocprim17ROCPRIM_400000_NS6detail17trampoline_kernelINS0_14default_configENS1_36segmented_radix_sort_config_selectorIilEEZNS1_25segmented_radix_sort_implIS3_Lb1EPKiPiPKlPlN2at6native12_GLOBAL__N_18offset_tEEE10hipError_tPvRmT1_PNSt15iterator_traitsISK_E10value_typeET2_T3_PNSL_ISQ_E10value_typeET4_jRbjT5_SW_jjP12ihipStream_tbEUlT_E2_NS1_11comp_targetILNS1_3genE8ELNS1_11target_archE1030ELNS1_3gpuE2ELNS1_3repE0EEENS1_30default_config_static_selectorELNS0_4arch9wavefront6targetE0EEEvSK_
                                        ; -- End function
	.set _ZN7rocprim17ROCPRIM_400000_NS6detail17trampoline_kernelINS0_14default_configENS1_36segmented_radix_sort_config_selectorIilEEZNS1_25segmented_radix_sort_implIS3_Lb1EPKiPiPKlPlN2at6native12_GLOBAL__N_18offset_tEEE10hipError_tPvRmT1_PNSt15iterator_traitsISK_E10value_typeET2_T3_PNSL_ISQ_E10value_typeET4_jRbjT5_SW_jjP12ihipStream_tbEUlT_E2_NS1_11comp_targetILNS1_3genE8ELNS1_11target_archE1030ELNS1_3gpuE2ELNS1_3repE0EEENS1_30default_config_static_selectorELNS0_4arch9wavefront6targetE0EEEvSK_.num_vgpr, 0
	.set _ZN7rocprim17ROCPRIM_400000_NS6detail17trampoline_kernelINS0_14default_configENS1_36segmented_radix_sort_config_selectorIilEEZNS1_25segmented_radix_sort_implIS3_Lb1EPKiPiPKlPlN2at6native12_GLOBAL__N_18offset_tEEE10hipError_tPvRmT1_PNSt15iterator_traitsISK_E10value_typeET2_T3_PNSL_ISQ_E10value_typeET4_jRbjT5_SW_jjP12ihipStream_tbEUlT_E2_NS1_11comp_targetILNS1_3genE8ELNS1_11target_archE1030ELNS1_3gpuE2ELNS1_3repE0EEENS1_30default_config_static_selectorELNS0_4arch9wavefront6targetE0EEEvSK_.num_agpr, 0
	.set _ZN7rocprim17ROCPRIM_400000_NS6detail17trampoline_kernelINS0_14default_configENS1_36segmented_radix_sort_config_selectorIilEEZNS1_25segmented_radix_sort_implIS3_Lb1EPKiPiPKlPlN2at6native12_GLOBAL__N_18offset_tEEE10hipError_tPvRmT1_PNSt15iterator_traitsISK_E10value_typeET2_T3_PNSL_ISQ_E10value_typeET4_jRbjT5_SW_jjP12ihipStream_tbEUlT_E2_NS1_11comp_targetILNS1_3genE8ELNS1_11target_archE1030ELNS1_3gpuE2ELNS1_3repE0EEENS1_30default_config_static_selectorELNS0_4arch9wavefront6targetE0EEEvSK_.numbered_sgpr, 0
	.set _ZN7rocprim17ROCPRIM_400000_NS6detail17trampoline_kernelINS0_14default_configENS1_36segmented_radix_sort_config_selectorIilEEZNS1_25segmented_radix_sort_implIS3_Lb1EPKiPiPKlPlN2at6native12_GLOBAL__N_18offset_tEEE10hipError_tPvRmT1_PNSt15iterator_traitsISK_E10value_typeET2_T3_PNSL_ISQ_E10value_typeET4_jRbjT5_SW_jjP12ihipStream_tbEUlT_E2_NS1_11comp_targetILNS1_3genE8ELNS1_11target_archE1030ELNS1_3gpuE2ELNS1_3repE0EEENS1_30default_config_static_selectorELNS0_4arch9wavefront6targetE0EEEvSK_.num_named_barrier, 0
	.set _ZN7rocprim17ROCPRIM_400000_NS6detail17trampoline_kernelINS0_14default_configENS1_36segmented_radix_sort_config_selectorIilEEZNS1_25segmented_radix_sort_implIS3_Lb1EPKiPiPKlPlN2at6native12_GLOBAL__N_18offset_tEEE10hipError_tPvRmT1_PNSt15iterator_traitsISK_E10value_typeET2_T3_PNSL_ISQ_E10value_typeET4_jRbjT5_SW_jjP12ihipStream_tbEUlT_E2_NS1_11comp_targetILNS1_3genE8ELNS1_11target_archE1030ELNS1_3gpuE2ELNS1_3repE0EEENS1_30default_config_static_selectorELNS0_4arch9wavefront6targetE0EEEvSK_.private_seg_size, 0
	.set _ZN7rocprim17ROCPRIM_400000_NS6detail17trampoline_kernelINS0_14default_configENS1_36segmented_radix_sort_config_selectorIilEEZNS1_25segmented_radix_sort_implIS3_Lb1EPKiPiPKlPlN2at6native12_GLOBAL__N_18offset_tEEE10hipError_tPvRmT1_PNSt15iterator_traitsISK_E10value_typeET2_T3_PNSL_ISQ_E10value_typeET4_jRbjT5_SW_jjP12ihipStream_tbEUlT_E2_NS1_11comp_targetILNS1_3genE8ELNS1_11target_archE1030ELNS1_3gpuE2ELNS1_3repE0EEENS1_30default_config_static_selectorELNS0_4arch9wavefront6targetE0EEEvSK_.uses_vcc, 0
	.set _ZN7rocprim17ROCPRIM_400000_NS6detail17trampoline_kernelINS0_14default_configENS1_36segmented_radix_sort_config_selectorIilEEZNS1_25segmented_radix_sort_implIS3_Lb1EPKiPiPKlPlN2at6native12_GLOBAL__N_18offset_tEEE10hipError_tPvRmT1_PNSt15iterator_traitsISK_E10value_typeET2_T3_PNSL_ISQ_E10value_typeET4_jRbjT5_SW_jjP12ihipStream_tbEUlT_E2_NS1_11comp_targetILNS1_3genE8ELNS1_11target_archE1030ELNS1_3gpuE2ELNS1_3repE0EEENS1_30default_config_static_selectorELNS0_4arch9wavefront6targetE0EEEvSK_.uses_flat_scratch, 0
	.set _ZN7rocprim17ROCPRIM_400000_NS6detail17trampoline_kernelINS0_14default_configENS1_36segmented_radix_sort_config_selectorIilEEZNS1_25segmented_radix_sort_implIS3_Lb1EPKiPiPKlPlN2at6native12_GLOBAL__N_18offset_tEEE10hipError_tPvRmT1_PNSt15iterator_traitsISK_E10value_typeET2_T3_PNSL_ISQ_E10value_typeET4_jRbjT5_SW_jjP12ihipStream_tbEUlT_E2_NS1_11comp_targetILNS1_3genE8ELNS1_11target_archE1030ELNS1_3gpuE2ELNS1_3repE0EEENS1_30default_config_static_selectorELNS0_4arch9wavefront6targetE0EEEvSK_.has_dyn_sized_stack, 0
	.set _ZN7rocprim17ROCPRIM_400000_NS6detail17trampoline_kernelINS0_14default_configENS1_36segmented_radix_sort_config_selectorIilEEZNS1_25segmented_radix_sort_implIS3_Lb1EPKiPiPKlPlN2at6native12_GLOBAL__N_18offset_tEEE10hipError_tPvRmT1_PNSt15iterator_traitsISK_E10value_typeET2_T3_PNSL_ISQ_E10value_typeET4_jRbjT5_SW_jjP12ihipStream_tbEUlT_E2_NS1_11comp_targetILNS1_3genE8ELNS1_11target_archE1030ELNS1_3gpuE2ELNS1_3repE0EEENS1_30default_config_static_selectorELNS0_4arch9wavefront6targetE0EEEvSK_.has_recursion, 0
	.set _ZN7rocprim17ROCPRIM_400000_NS6detail17trampoline_kernelINS0_14default_configENS1_36segmented_radix_sort_config_selectorIilEEZNS1_25segmented_radix_sort_implIS3_Lb1EPKiPiPKlPlN2at6native12_GLOBAL__N_18offset_tEEE10hipError_tPvRmT1_PNSt15iterator_traitsISK_E10value_typeET2_T3_PNSL_ISQ_E10value_typeET4_jRbjT5_SW_jjP12ihipStream_tbEUlT_E2_NS1_11comp_targetILNS1_3genE8ELNS1_11target_archE1030ELNS1_3gpuE2ELNS1_3repE0EEENS1_30default_config_static_selectorELNS0_4arch9wavefront6targetE0EEEvSK_.has_indirect_call, 0
	.section	.AMDGPU.csdata,"",@progbits
; Kernel info:
; codeLenInByte = 0
; TotalNumSgprs: 0
; NumVgprs: 0
; ScratchSize: 0
; MemoryBound: 0
; FloatMode: 240
; IeeeMode: 1
; LDSByteSize: 0 bytes/workgroup (compile time only)
; SGPRBlocks: 0
; VGPRBlocks: 0
; NumSGPRsForWavesPerEU: 1
; NumVGPRsForWavesPerEU: 1
; Occupancy: 16
; WaveLimiterHint : 0
; COMPUTE_PGM_RSRC2:SCRATCH_EN: 0
; COMPUTE_PGM_RSRC2:USER_SGPR: 2
; COMPUTE_PGM_RSRC2:TRAP_HANDLER: 0
; COMPUTE_PGM_RSRC2:TGID_X_EN: 1
; COMPUTE_PGM_RSRC2:TGID_Y_EN: 0
; COMPUTE_PGM_RSRC2:TGID_Z_EN: 0
; COMPUTE_PGM_RSRC2:TIDIG_COMP_CNT: 0
	.section	.text._ZN7rocprim17ROCPRIM_400000_NS6detail17trampoline_kernelINS0_13select_configILj256ELj13ELNS0_17block_load_methodE3ELS4_3ELS4_3ELNS0_20block_scan_algorithmE0ELj4294967295EEENS1_25partition_config_selectorILNS1_17partition_subalgoE4EjNS0_10empty_typeEbEEZZNS1_14partition_implILS8_4ELb0ES6_15HIP_vector_typeIjLj2EENS0_17counting_iteratorIjlEEPS9_SG_NS0_5tupleIJPjSI_NS0_16reverse_iteratorISI_EEEEENSH_IJSG_SG_SG_EEES9_SI_JZNS1_25segmented_radix_sort_implINS0_14default_configELb0EPKiPiPKlPlN2at6native12_GLOBAL__N_18offset_tEEE10hipError_tPvRmT1_PNSt15iterator_traitsIS12_E10value_typeET2_T3_PNS13_IS18_E10value_typeET4_jRbjT5_S1E_jjP12ihipStream_tbEUljE_ZNSN_ISO_Lb0ESQ_SR_ST_SU_SY_EESZ_S10_S11_S12_S16_S17_S18_S1B_S1C_jS1D_jS1E_S1E_jjS1G_bEUljE0_EEESZ_S10_S11_S18_S1C_S1E_T6_T7_T9_mT8_S1G_bDpT10_ENKUlT_T0_E_clISt17integral_constantIbLb0EES1U_EEDaS1P_S1Q_EUlS1P_E_NS1_11comp_targetILNS1_3genE0ELNS1_11target_archE4294967295ELNS1_3gpuE0ELNS1_3repE0EEENS1_30default_config_static_selectorELNS0_4arch9wavefront6targetE0EEEvS12_,"axG",@progbits,_ZN7rocprim17ROCPRIM_400000_NS6detail17trampoline_kernelINS0_13select_configILj256ELj13ELNS0_17block_load_methodE3ELS4_3ELS4_3ELNS0_20block_scan_algorithmE0ELj4294967295EEENS1_25partition_config_selectorILNS1_17partition_subalgoE4EjNS0_10empty_typeEbEEZZNS1_14partition_implILS8_4ELb0ES6_15HIP_vector_typeIjLj2EENS0_17counting_iteratorIjlEEPS9_SG_NS0_5tupleIJPjSI_NS0_16reverse_iteratorISI_EEEEENSH_IJSG_SG_SG_EEES9_SI_JZNS1_25segmented_radix_sort_implINS0_14default_configELb0EPKiPiPKlPlN2at6native12_GLOBAL__N_18offset_tEEE10hipError_tPvRmT1_PNSt15iterator_traitsIS12_E10value_typeET2_T3_PNS13_IS18_E10value_typeET4_jRbjT5_S1E_jjP12ihipStream_tbEUljE_ZNSN_ISO_Lb0ESQ_SR_ST_SU_SY_EESZ_S10_S11_S12_S16_S17_S18_S1B_S1C_jS1D_jS1E_S1E_jjS1G_bEUljE0_EEESZ_S10_S11_S18_S1C_S1E_T6_T7_T9_mT8_S1G_bDpT10_ENKUlT_T0_E_clISt17integral_constantIbLb0EES1U_EEDaS1P_S1Q_EUlS1P_E_NS1_11comp_targetILNS1_3genE0ELNS1_11target_archE4294967295ELNS1_3gpuE0ELNS1_3repE0EEENS1_30default_config_static_selectorELNS0_4arch9wavefront6targetE0EEEvS12_,comdat
	.globl	_ZN7rocprim17ROCPRIM_400000_NS6detail17trampoline_kernelINS0_13select_configILj256ELj13ELNS0_17block_load_methodE3ELS4_3ELS4_3ELNS0_20block_scan_algorithmE0ELj4294967295EEENS1_25partition_config_selectorILNS1_17partition_subalgoE4EjNS0_10empty_typeEbEEZZNS1_14partition_implILS8_4ELb0ES6_15HIP_vector_typeIjLj2EENS0_17counting_iteratorIjlEEPS9_SG_NS0_5tupleIJPjSI_NS0_16reverse_iteratorISI_EEEEENSH_IJSG_SG_SG_EEES9_SI_JZNS1_25segmented_radix_sort_implINS0_14default_configELb0EPKiPiPKlPlN2at6native12_GLOBAL__N_18offset_tEEE10hipError_tPvRmT1_PNSt15iterator_traitsIS12_E10value_typeET2_T3_PNS13_IS18_E10value_typeET4_jRbjT5_S1E_jjP12ihipStream_tbEUljE_ZNSN_ISO_Lb0ESQ_SR_ST_SU_SY_EESZ_S10_S11_S12_S16_S17_S18_S1B_S1C_jS1D_jS1E_S1E_jjS1G_bEUljE0_EEESZ_S10_S11_S18_S1C_S1E_T6_T7_T9_mT8_S1G_bDpT10_ENKUlT_T0_E_clISt17integral_constantIbLb0EES1U_EEDaS1P_S1Q_EUlS1P_E_NS1_11comp_targetILNS1_3genE0ELNS1_11target_archE4294967295ELNS1_3gpuE0ELNS1_3repE0EEENS1_30default_config_static_selectorELNS0_4arch9wavefront6targetE0EEEvS12_ ; -- Begin function _ZN7rocprim17ROCPRIM_400000_NS6detail17trampoline_kernelINS0_13select_configILj256ELj13ELNS0_17block_load_methodE3ELS4_3ELS4_3ELNS0_20block_scan_algorithmE0ELj4294967295EEENS1_25partition_config_selectorILNS1_17partition_subalgoE4EjNS0_10empty_typeEbEEZZNS1_14partition_implILS8_4ELb0ES6_15HIP_vector_typeIjLj2EENS0_17counting_iteratorIjlEEPS9_SG_NS0_5tupleIJPjSI_NS0_16reverse_iteratorISI_EEEEENSH_IJSG_SG_SG_EEES9_SI_JZNS1_25segmented_radix_sort_implINS0_14default_configELb0EPKiPiPKlPlN2at6native12_GLOBAL__N_18offset_tEEE10hipError_tPvRmT1_PNSt15iterator_traitsIS12_E10value_typeET2_T3_PNS13_IS18_E10value_typeET4_jRbjT5_S1E_jjP12ihipStream_tbEUljE_ZNSN_ISO_Lb0ESQ_SR_ST_SU_SY_EESZ_S10_S11_S12_S16_S17_S18_S1B_S1C_jS1D_jS1E_S1E_jjS1G_bEUljE0_EEESZ_S10_S11_S18_S1C_S1E_T6_T7_T9_mT8_S1G_bDpT10_ENKUlT_T0_E_clISt17integral_constantIbLb0EES1U_EEDaS1P_S1Q_EUlS1P_E_NS1_11comp_targetILNS1_3genE0ELNS1_11target_archE4294967295ELNS1_3gpuE0ELNS1_3repE0EEENS1_30default_config_static_selectorELNS0_4arch9wavefront6targetE0EEEvS12_
	.p2align	8
	.type	_ZN7rocprim17ROCPRIM_400000_NS6detail17trampoline_kernelINS0_13select_configILj256ELj13ELNS0_17block_load_methodE3ELS4_3ELS4_3ELNS0_20block_scan_algorithmE0ELj4294967295EEENS1_25partition_config_selectorILNS1_17partition_subalgoE4EjNS0_10empty_typeEbEEZZNS1_14partition_implILS8_4ELb0ES6_15HIP_vector_typeIjLj2EENS0_17counting_iteratorIjlEEPS9_SG_NS0_5tupleIJPjSI_NS0_16reverse_iteratorISI_EEEEENSH_IJSG_SG_SG_EEES9_SI_JZNS1_25segmented_radix_sort_implINS0_14default_configELb0EPKiPiPKlPlN2at6native12_GLOBAL__N_18offset_tEEE10hipError_tPvRmT1_PNSt15iterator_traitsIS12_E10value_typeET2_T3_PNS13_IS18_E10value_typeET4_jRbjT5_S1E_jjP12ihipStream_tbEUljE_ZNSN_ISO_Lb0ESQ_SR_ST_SU_SY_EESZ_S10_S11_S12_S16_S17_S18_S1B_S1C_jS1D_jS1E_S1E_jjS1G_bEUljE0_EEESZ_S10_S11_S18_S1C_S1E_T6_T7_T9_mT8_S1G_bDpT10_ENKUlT_T0_E_clISt17integral_constantIbLb0EES1U_EEDaS1P_S1Q_EUlS1P_E_NS1_11comp_targetILNS1_3genE0ELNS1_11target_archE4294967295ELNS1_3gpuE0ELNS1_3repE0EEENS1_30default_config_static_selectorELNS0_4arch9wavefront6targetE0EEEvS12_,@function
_ZN7rocprim17ROCPRIM_400000_NS6detail17trampoline_kernelINS0_13select_configILj256ELj13ELNS0_17block_load_methodE3ELS4_3ELS4_3ELNS0_20block_scan_algorithmE0ELj4294967295EEENS1_25partition_config_selectorILNS1_17partition_subalgoE4EjNS0_10empty_typeEbEEZZNS1_14partition_implILS8_4ELb0ES6_15HIP_vector_typeIjLj2EENS0_17counting_iteratorIjlEEPS9_SG_NS0_5tupleIJPjSI_NS0_16reverse_iteratorISI_EEEEENSH_IJSG_SG_SG_EEES9_SI_JZNS1_25segmented_radix_sort_implINS0_14default_configELb0EPKiPiPKlPlN2at6native12_GLOBAL__N_18offset_tEEE10hipError_tPvRmT1_PNSt15iterator_traitsIS12_E10value_typeET2_T3_PNS13_IS18_E10value_typeET4_jRbjT5_S1E_jjP12ihipStream_tbEUljE_ZNSN_ISO_Lb0ESQ_SR_ST_SU_SY_EESZ_S10_S11_S12_S16_S17_S18_S1B_S1C_jS1D_jS1E_S1E_jjS1G_bEUljE0_EEESZ_S10_S11_S18_S1C_S1E_T6_T7_T9_mT8_S1G_bDpT10_ENKUlT_T0_E_clISt17integral_constantIbLb0EES1U_EEDaS1P_S1Q_EUlS1P_E_NS1_11comp_targetILNS1_3genE0ELNS1_11target_archE4294967295ELNS1_3gpuE0ELNS1_3repE0EEENS1_30default_config_static_selectorELNS0_4arch9wavefront6targetE0EEEvS12_: ; @_ZN7rocprim17ROCPRIM_400000_NS6detail17trampoline_kernelINS0_13select_configILj256ELj13ELNS0_17block_load_methodE3ELS4_3ELS4_3ELNS0_20block_scan_algorithmE0ELj4294967295EEENS1_25partition_config_selectorILNS1_17partition_subalgoE4EjNS0_10empty_typeEbEEZZNS1_14partition_implILS8_4ELb0ES6_15HIP_vector_typeIjLj2EENS0_17counting_iteratorIjlEEPS9_SG_NS0_5tupleIJPjSI_NS0_16reverse_iteratorISI_EEEEENSH_IJSG_SG_SG_EEES9_SI_JZNS1_25segmented_radix_sort_implINS0_14default_configELb0EPKiPiPKlPlN2at6native12_GLOBAL__N_18offset_tEEE10hipError_tPvRmT1_PNSt15iterator_traitsIS12_E10value_typeET2_T3_PNS13_IS18_E10value_typeET4_jRbjT5_S1E_jjP12ihipStream_tbEUljE_ZNSN_ISO_Lb0ESQ_SR_ST_SU_SY_EESZ_S10_S11_S12_S16_S17_S18_S1B_S1C_jS1D_jS1E_S1E_jjS1G_bEUljE0_EEESZ_S10_S11_S18_S1C_S1E_T6_T7_T9_mT8_S1G_bDpT10_ENKUlT_T0_E_clISt17integral_constantIbLb0EES1U_EEDaS1P_S1Q_EUlS1P_E_NS1_11comp_targetILNS1_3genE0ELNS1_11target_archE4294967295ELNS1_3gpuE0ELNS1_3repE0EEENS1_30default_config_static_selectorELNS0_4arch9wavefront6targetE0EEEvS12_
; %bb.0:
	.section	.rodata,"a",@progbits
	.p2align	6, 0x0
	.amdhsa_kernel _ZN7rocprim17ROCPRIM_400000_NS6detail17trampoline_kernelINS0_13select_configILj256ELj13ELNS0_17block_load_methodE3ELS4_3ELS4_3ELNS0_20block_scan_algorithmE0ELj4294967295EEENS1_25partition_config_selectorILNS1_17partition_subalgoE4EjNS0_10empty_typeEbEEZZNS1_14partition_implILS8_4ELb0ES6_15HIP_vector_typeIjLj2EENS0_17counting_iteratorIjlEEPS9_SG_NS0_5tupleIJPjSI_NS0_16reverse_iteratorISI_EEEEENSH_IJSG_SG_SG_EEES9_SI_JZNS1_25segmented_radix_sort_implINS0_14default_configELb0EPKiPiPKlPlN2at6native12_GLOBAL__N_18offset_tEEE10hipError_tPvRmT1_PNSt15iterator_traitsIS12_E10value_typeET2_T3_PNS13_IS18_E10value_typeET4_jRbjT5_S1E_jjP12ihipStream_tbEUljE_ZNSN_ISO_Lb0ESQ_SR_ST_SU_SY_EESZ_S10_S11_S12_S16_S17_S18_S1B_S1C_jS1D_jS1E_S1E_jjS1G_bEUljE0_EEESZ_S10_S11_S18_S1C_S1E_T6_T7_T9_mT8_S1G_bDpT10_ENKUlT_T0_E_clISt17integral_constantIbLb0EES1U_EEDaS1P_S1Q_EUlS1P_E_NS1_11comp_targetILNS1_3genE0ELNS1_11target_archE4294967295ELNS1_3gpuE0ELNS1_3repE0EEENS1_30default_config_static_selectorELNS0_4arch9wavefront6targetE0EEEvS12_
		.amdhsa_group_segment_fixed_size 0
		.amdhsa_private_segment_fixed_size 0
		.amdhsa_kernarg_size 176
		.amdhsa_user_sgpr_count 2
		.amdhsa_user_sgpr_dispatch_ptr 0
		.amdhsa_user_sgpr_queue_ptr 0
		.amdhsa_user_sgpr_kernarg_segment_ptr 1
		.amdhsa_user_sgpr_dispatch_id 0
		.amdhsa_user_sgpr_private_segment_size 0
		.amdhsa_wavefront_size32 1
		.amdhsa_uses_dynamic_stack 0
		.amdhsa_enable_private_segment 0
		.amdhsa_system_sgpr_workgroup_id_x 1
		.amdhsa_system_sgpr_workgroup_id_y 0
		.amdhsa_system_sgpr_workgroup_id_z 0
		.amdhsa_system_sgpr_workgroup_info 0
		.amdhsa_system_vgpr_workitem_id 0
		.amdhsa_next_free_vgpr 1
		.amdhsa_next_free_sgpr 1
		.amdhsa_reserve_vcc 0
		.amdhsa_float_round_mode_32 0
		.amdhsa_float_round_mode_16_64 0
		.amdhsa_float_denorm_mode_32 3
		.amdhsa_float_denorm_mode_16_64 3
		.amdhsa_fp16_overflow 0
		.amdhsa_workgroup_processor_mode 1
		.amdhsa_memory_ordered 1
		.amdhsa_forward_progress 1
		.amdhsa_inst_pref_size 0
		.amdhsa_round_robin_scheduling 0
		.amdhsa_exception_fp_ieee_invalid_op 0
		.amdhsa_exception_fp_denorm_src 0
		.amdhsa_exception_fp_ieee_div_zero 0
		.amdhsa_exception_fp_ieee_overflow 0
		.amdhsa_exception_fp_ieee_underflow 0
		.amdhsa_exception_fp_ieee_inexact 0
		.amdhsa_exception_int_div_zero 0
	.end_amdhsa_kernel
	.section	.text._ZN7rocprim17ROCPRIM_400000_NS6detail17trampoline_kernelINS0_13select_configILj256ELj13ELNS0_17block_load_methodE3ELS4_3ELS4_3ELNS0_20block_scan_algorithmE0ELj4294967295EEENS1_25partition_config_selectorILNS1_17partition_subalgoE4EjNS0_10empty_typeEbEEZZNS1_14partition_implILS8_4ELb0ES6_15HIP_vector_typeIjLj2EENS0_17counting_iteratorIjlEEPS9_SG_NS0_5tupleIJPjSI_NS0_16reverse_iteratorISI_EEEEENSH_IJSG_SG_SG_EEES9_SI_JZNS1_25segmented_radix_sort_implINS0_14default_configELb0EPKiPiPKlPlN2at6native12_GLOBAL__N_18offset_tEEE10hipError_tPvRmT1_PNSt15iterator_traitsIS12_E10value_typeET2_T3_PNS13_IS18_E10value_typeET4_jRbjT5_S1E_jjP12ihipStream_tbEUljE_ZNSN_ISO_Lb0ESQ_SR_ST_SU_SY_EESZ_S10_S11_S12_S16_S17_S18_S1B_S1C_jS1D_jS1E_S1E_jjS1G_bEUljE0_EEESZ_S10_S11_S18_S1C_S1E_T6_T7_T9_mT8_S1G_bDpT10_ENKUlT_T0_E_clISt17integral_constantIbLb0EES1U_EEDaS1P_S1Q_EUlS1P_E_NS1_11comp_targetILNS1_3genE0ELNS1_11target_archE4294967295ELNS1_3gpuE0ELNS1_3repE0EEENS1_30default_config_static_selectorELNS0_4arch9wavefront6targetE0EEEvS12_,"axG",@progbits,_ZN7rocprim17ROCPRIM_400000_NS6detail17trampoline_kernelINS0_13select_configILj256ELj13ELNS0_17block_load_methodE3ELS4_3ELS4_3ELNS0_20block_scan_algorithmE0ELj4294967295EEENS1_25partition_config_selectorILNS1_17partition_subalgoE4EjNS0_10empty_typeEbEEZZNS1_14partition_implILS8_4ELb0ES6_15HIP_vector_typeIjLj2EENS0_17counting_iteratorIjlEEPS9_SG_NS0_5tupleIJPjSI_NS0_16reverse_iteratorISI_EEEEENSH_IJSG_SG_SG_EEES9_SI_JZNS1_25segmented_radix_sort_implINS0_14default_configELb0EPKiPiPKlPlN2at6native12_GLOBAL__N_18offset_tEEE10hipError_tPvRmT1_PNSt15iterator_traitsIS12_E10value_typeET2_T3_PNS13_IS18_E10value_typeET4_jRbjT5_S1E_jjP12ihipStream_tbEUljE_ZNSN_ISO_Lb0ESQ_SR_ST_SU_SY_EESZ_S10_S11_S12_S16_S17_S18_S1B_S1C_jS1D_jS1E_S1E_jjS1G_bEUljE0_EEESZ_S10_S11_S18_S1C_S1E_T6_T7_T9_mT8_S1G_bDpT10_ENKUlT_T0_E_clISt17integral_constantIbLb0EES1U_EEDaS1P_S1Q_EUlS1P_E_NS1_11comp_targetILNS1_3genE0ELNS1_11target_archE4294967295ELNS1_3gpuE0ELNS1_3repE0EEENS1_30default_config_static_selectorELNS0_4arch9wavefront6targetE0EEEvS12_,comdat
.Lfunc_end536:
	.size	_ZN7rocprim17ROCPRIM_400000_NS6detail17trampoline_kernelINS0_13select_configILj256ELj13ELNS0_17block_load_methodE3ELS4_3ELS4_3ELNS0_20block_scan_algorithmE0ELj4294967295EEENS1_25partition_config_selectorILNS1_17partition_subalgoE4EjNS0_10empty_typeEbEEZZNS1_14partition_implILS8_4ELb0ES6_15HIP_vector_typeIjLj2EENS0_17counting_iteratorIjlEEPS9_SG_NS0_5tupleIJPjSI_NS0_16reverse_iteratorISI_EEEEENSH_IJSG_SG_SG_EEES9_SI_JZNS1_25segmented_radix_sort_implINS0_14default_configELb0EPKiPiPKlPlN2at6native12_GLOBAL__N_18offset_tEEE10hipError_tPvRmT1_PNSt15iterator_traitsIS12_E10value_typeET2_T3_PNS13_IS18_E10value_typeET4_jRbjT5_S1E_jjP12ihipStream_tbEUljE_ZNSN_ISO_Lb0ESQ_SR_ST_SU_SY_EESZ_S10_S11_S12_S16_S17_S18_S1B_S1C_jS1D_jS1E_S1E_jjS1G_bEUljE0_EEESZ_S10_S11_S18_S1C_S1E_T6_T7_T9_mT8_S1G_bDpT10_ENKUlT_T0_E_clISt17integral_constantIbLb0EES1U_EEDaS1P_S1Q_EUlS1P_E_NS1_11comp_targetILNS1_3genE0ELNS1_11target_archE4294967295ELNS1_3gpuE0ELNS1_3repE0EEENS1_30default_config_static_selectorELNS0_4arch9wavefront6targetE0EEEvS12_, .Lfunc_end536-_ZN7rocprim17ROCPRIM_400000_NS6detail17trampoline_kernelINS0_13select_configILj256ELj13ELNS0_17block_load_methodE3ELS4_3ELS4_3ELNS0_20block_scan_algorithmE0ELj4294967295EEENS1_25partition_config_selectorILNS1_17partition_subalgoE4EjNS0_10empty_typeEbEEZZNS1_14partition_implILS8_4ELb0ES6_15HIP_vector_typeIjLj2EENS0_17counting_iteratorIjlEEPS9_SG_NS0_5tupleIJPjSI_NS0_16reverse_iteratorISI_EEEEENSH_IJSG_SG_SG_EEES9_SI_JZNS1_25segmented_radix_sort_implINS0_14default_configELb0EPKiPiPKlPlN2at6native12_GLOBAL__N_18offset_tEEE10hipError_tPvRmT1_PNSt15iterator_traitsIS12_E10value_typeET2_T3_PNS13_IS18_E10value_typeET4_jRbjT5_S1E_jjP12ihipStream_tbEUljE_ZNSN_ISO_Lb0ESQ_SR_ST_SU_SY_EESZ_S10_S11_S12_S16_S17_S18_S1B_S1C_jS1D_jS1E_S1E_jjS1G_bEUljE0_EEESZ_S10_S11_S18_S1C_S1E_T6_T7_T9_mT8_S1G_bDpT10_ENKUlT_T0_E_clISt17integral_constantIbLb0EES1U_EEDaS1P_S1Q_EUlS1P_E_NS1_11comp_targetILNS1_3genE0ELNS1_11target_archE4294967295ELNS1_3gpuE0ELNS1_3repE0EEENS1_30default_config_static_selectorELNS0_4arch9wavefront6targetE0EEEvS12_
                                        ; -- End function
	.set _ZN7rocprim17ROCPRIM_400000_NS6detail17trampoline_kernelINS0_13select_configILj256ELj13ELNS0_17block_load_methodE3ELS4_3ELS4_3ELNS0_20block_scan_algorithmE0ELj4294967295EEENS1_25partition_config_selectorILNS1_17partition_subalgoE4EjNS0_10empty_typeEbEEZZNS1_14partition_implILS8_4ELb0ES6_15HIP_vector_typeIjLj2EENS0_17counting_iteratorIjlEEPS9_SG_NS0_5tupleIJPjSI_NS0_16reverse_iteratorISI_EEEEENSH_IJSG_SG_SG_EEES9_SI_JZNS1_25segmented_radix_sort_implINS0_14default_configELb0EPKiPiPKlPlN2at6native12_GLOBAL__N_18offset_tEEE10hipError_tPvRmT1_PNSt15iterator_traitsIS12_E10value_typeET2_T3_PNS13_IS18_E10value_typeET4_jRbjT5_S1E_jjP12ihipStream_tbEUljE_ZNSN_ISO_Lb0ESQ_SR_ST_SU_SY_EESZ_S10_S11_S12_S16_S17_S18_S1B_S1C_jS1D_jS1E_S1E_jjS1G_bEUljE0_EEESZ_S10_S11_S18_S1C_S1E_T6_T7_T9_mT8_S1G_bDpT10_ENKUlT_T0_E_clISt17integral_constantIbLb0EES1U_EEDaS1P_S1Q_EUlS1P_E_NS1_11comp_targetILNS1_3genE0ELNS1_11target_archE4294967295ELNS1_3gpuE0ELNS1_3repE0EEENS1_30default_config_static_selectorELNS0_4arch9wavefront6targetE0EEEvS12_.num_vgpr, 0
	.set _ZN7rocprim17ROCPRIM_400000_NS6detail17trampoline_kernelINS0_13select_configILj256ELj13ELNS0_17block_load_methodE3ELS4_3ELS4_3ELNS0_20block_scan_algorithmE0ELj4294967295EEENS1_25partition_config_selectorILNS1_17partition_subalgoE4EjNS0_10empty_typeEbEEZZNS1_14partition_implILS8_4ELb0ES6_15HIP_vector_typeIjLj2EENS0_17counting_iteratorIjlEEPS9_SG_NS0_5tupleIJPjSI_NS0_16reverse_iteratorISI_EEEEENSH_IJSG_SG_SG_EEES9_SI_JZNS1_25segmented_radix_sort_implINS0_14default_configELb0EPKiPiPKlPlN2at6native12_GLOBAL__N_18offset_tEEE10hipError_tPvRmT1_PNSt15iterator_traitsIS12_E10value_typeET2_T3_PNS13_IS18_E10value_typeET4_jRbjT5_S1E_jjP12ihipStream_tbEUljE_ZNSN_ISO_Lb0ESQ_SR_ST_SU_SY_EESZ_S10_S11_S12_S16_S17_S18_S1B_S1C_jS1D_jS1E_S1E_jjS1G_bEUljE0_EEESZ_S10_S11_S18_S1C_S1E_T6_T7_T9_mT8_S1G_bDpT10_ENKUlT_T0_E_clISt17integral_constantIbLb0EES1U_EEDaS1P_S1Q_EUlS1P_E_NS1_11comp_targetILNS1_3genE0ELNS1_11target_archE4294967295ELNS1_3gpuE0ELNS1_3repE0EEENS1_30default_config_static_selectorELNS0_4arch9wavefront6targetE0EEEvS12_.num_agpr, 0
	.set _ZN7rocprim17ROCPRIM_400000_NS6detail17trampoline_kernelINS0_13select_configILj256ELj13ELNS0_17block_load_methodE3ELS4_3ELS4_3ELNS0_20block_scan_algorithmE0ELj4294967295EEENS1_25partition_config_selectorILNS1_17partition_subalgoE4EjNS0_10empty_typeEbEEZZNS1_14partition_implILS8_4ELb0ES6_15HIP_vector_typeIjLj2EENS0_17counting_iteratorIjlEEPS9_SG_NS0_5tupleIJPjSI_NS0_16reverse_iteratorISI_EEEEENSH_IJSG_SG_SG_EEES9_SI_JZNS1_25segmented_radix_sort_implINS0_14default_configELb0EPKiPiPKlPlN2at6native12_GLOBAL__N_18offset_tEEE10hipError_tPvRmT1_PNSt15iterator_traitsIS12_E10value_typeET2_T3_PNS13_IS18_E10value_typeET4_jRbjT5_S1E_jjP12ihipStream_tbEUljE_ZNSN_ISO_Lb0ESQ_SR_ST_SU_SY_EESZ_S10_S11_S12_S16_S17_S18_S1B_S1C_jS1D_jS1E_S1E_jjS1G_bEUljE0_EEESZ_S10_S11_S18_S1C_S1E_T6_T7_T9_mT8_S1G_bDpT10_ENKUlT_T0_E_clISt17integral_constantIbLb0EES1U_EEDaS1P_S1Q_EUlS1P_E_NS1_11comp_targetILNS1_3genE0ELNS1_11target_archE4294967295ELNS1_3gpuE0ELNS1_3repE0EEENS1_30default_config_static_selectorELNS0_4arch9wavefront6targetE0EEEvS12_.numbered_sgpr, 0
	.set _ZN7rocprim17ROCPRIM_400000_NS6detail17trampoline_kernelINS0_13select_configILj256ELj13ELNS0_17block_load_methodE3ELS4_3ELS4_3ELNS0_20block_scan_algorithmE0ELj4294967295EEENS1_25partition_config_selectorILNS1_17partition_subalgoE4EjNS0_10empty_typeEbEEZZNS1_14partition_implILS8_4ELb0ES6_15HIP_vector_typeIjLj2EENS0_17counting_iteratorIjlEEPS9_SG_NS0_5tupleIJPjSI_NS0_16reverse_iteratorISI_EEEEENSH_IJSG_SG_SG_EEES9_SI_JZNS1_25segmented_radix_sort_implINS0_14default_configELb0EPKiPiPKlPlN2at6native12_GLOBAL__N_18offset_tEEE10hipError_tPvRmT1_PNSt15iterator_traitsIS12_E10value_typeET2_T3_PNS13_IS18_E10value_typeET4_jRbjT5_S1E_jjP12ihipStream_tbEUljE_ZNSN_ISO_Lb0ESQ_SR_ST_SU_SY_EESZ_S10_S11_S12_S16_S17_S18_S1B_S1C_jS1D_jS1E_S1E_jjS1G_bEUljE0_EEESZ_S10_S11_S18_S1C_S1E_T6_T7_T9_mT8_S1G_bDpT10_ENKUlT_T0_E_clISt17integral_constantIbLb0EES1U_EEDaS1P_S1Q_EUlS1P_E_NS1_11comp_targetILNS1_3genE0ELNS1_11target_archE4294967295ELNS1_3gpuE0ELNS1_3repE0EEENS1_30default_config_static_selectorELNS0_4arch9wavefront6targetE0EEEvS12_.num_named_barrier, 0
	.set _ZN7rocprim17ROCPRIM_400000_NS6detail17trampoline_kernelINS0_13select_configILj256ELj13ELNS0_17block_load_methodE3ELS4_3ELS4_3ELNS0_20block_scan_algorithmE0ELj4294967295EEENS1_25partition_config_selectorILNS1_17partition_subalgoE4EjNS0_10empty_typeEbEEZZNS1_14partition_implILS8_4ELb0ES6_15HIP_vector_typeIjLj2EENS0_17counting_iteratorIjlEEPS9_SG_NS0_5tupleIJPjSI_NS0_16reverse_iteratorISI_EEEEENSH_IJSG_SG_SG_EEES9_SI_JZNS1_25segmented_radix_sort_implINS0_14default_configELb0EPKiPiPKlPlN2at6native12_GLOBAL__N_18offset_tEEE10hipError_tPvRmT1_PNSt15iterator_traitsIS12_E10value_typeET2_T3_PNS13_IS18_E10value_typeET4_jRbjT5_S1E_jjP12ihipStream_tbEUljE_ZNSN_ISO_Lb0ESQ_SR_ST_SU_SY_EESZ_S10_S11_S12_S16_S17_S18_S1B_S1C_jS1D_jS1E_S1E_jjS1G_bEUljE0_EEESZ_S10_S11_S18_S1C_S1E_T6_T7_T9_mT8_S1G_bDpT10_ENKUlT_T0_E_clISt17integral_constantIbLb0EES1U_EEDaS1P_S1Q_EUlS1P_E_NS1_11comp_targetILNS1_3genE0ELNS1_11target_archE4294967295ELNS1_3gpuE0ELNS1_3repE0EEENS1_30default_config_static_selectorELNS0_4arch9wavefront6targetE0EEEvS12_.private_seg_size, 0
	.set _ZN7rocprim17ROCPRIM_400000_NS6detail17trampoline_kernelINS0_13select_configILj256ELj13ELNS0_17block_load_methodE3ELS4_3ELS4_3ELNS0_20block_scan_algorithmE0ELj4294967295EEENS1_25partition_config_selectorILNS1_17partition_subalgoE4EjNS0_10empty_typeEbEEZZNS1_14partition_implILS8_4ELb0ES6_15HIP_vector_typeIjLj2EENS0_17counting_iteratorIjlEEPS9_SG_NS0_5tupleIJPjSI_NS0_16reverse_iteratorISI_EEEEENSH_IJSG_SG_SG_EEES9_SI_JZNS1_25segmented_radix_sort_implINS0_14default_configELb0EPKiPiPKlPlN2at6native12_GLOBAL__N_18offset_tEEE10hipError_tPvRmT1_PNSt15iterator_traitsIS12_E10value_typeET2_T3_PNS13_IS18_E10value_typeET4_jRbjT5_S1E_jjP12ihipStream_tbEUljE_ZNSN_ISO_Lb0ESQ_SR_ST_SU_SY_EESZ_S10_S11_S12_S16_S17_S18_S1B_S1C_jS1D_jS1E_S1E_jjS1G_bEUljE0_EEESZ_S10_S11_S18_S1C_S1E_T6_T7_T9_mT8_S1G_bDpT10_ENKUlT_T0_E_clISt17integral_constantIbLb0EES1U_EEDaS1P_S1Q_EUlS1P_E_NS1_11comp_targetILNS1_3genE0ELNS1_11target_archE4294967295ELNS1_3gpuE0ELNS1_3repE0EEENS1_30default_config_static_selectorELNS0_4arch9wavefront6targetE0EEEvS12_.uses_vcc, 0
	.set _ZN7rocprim17ROCPRIM_400000_NS6detail17trampoline_kernelINS0_13select_configILj256ELj13ELNS0_17block_load_methodE3ELS4_3ELS4_3ELNS0_20block_scan_algorithmE0ELj4294967295EEENS1_25partition_config_selectorILNS1_17partition_subalgoE4EjNS0_10empty_typeEbEEZZNS1_14partition_implILS8_4ELb0ES6_15HIP_vector_typeIjLj2EENS0_17counting_iteratorIjlEEPS9_SG_NS0_5tupleIJPjSI_NS0_16reverse_iteratorISI_EEEEENSH_IJSG_SG_SG_EEES9_SI_JZNS1_25segmented_radix_sort_implINS0_14default_configELb0EPKiPiPKlPlN2at6native12_GLOBAL__N_18offset_tEEE10hipError_tPvRmT1_PNSt15iterator_traitsIS12_E10value_typeET2_T3_PNS13_IS18_E10value_typeET4_jRbjT5_S1E_jjP12ihipStream_tbEUljE_ZNSN_ISO_Lb0ESQ_SR_ST_SU_SY_EESZ_S10_S11_S12_S16_S17_S18_S1B_S1C_jS1D_jS1E_S1E_jjS1G_bEUljE0_EEESZ_S10_S11_S18_S1C_S1E_T6_T7_T9_mT8_S1G_bDpT10_ENKUlT_T0_E_clISt17integral_constantIbLb0EES1U_EEDaS1P_S1Q_EUlS1P_E_NS1_11comp_targetILNS1_3genE0ELNS1_11target_archE4294967295ELNS1_3gpuE0ELNS1_3repE0EEENS1_30default_config_static_selectorELNS0_4arch9wavefront6targetE0EEEvS12_.uses_flat_scratch, 0
	.set _ZN7rocprim17ROCPRIM_400000_NS6detail17trampoline_kernelINS0_13select_configILj256ELj13ELNS0_17block_load_methodE3ELS4_3ELS4_3ELNS0_20block_scan_algorithmE0ELj4294967295EEENS1_25partition_config_selectorILNS1_17partition_subalgoE4EjNS0_10empty_typeEbEEZZNS1_14partition_implILS8_4ELb0ES6_15HIP_vector_typeIjLj2EENS0_17counting_iteratorIjlEEPS9_SG_NS0_5tupleIJPjSI_NS0_16reverse_iteratorISI_EEEEENSH_IJSG_SG_SG_EEES9_SI_JZNS1_25segmented_radix_sort_implINS0_14default_configELb0EPKiPiPKlPlN2at6native12_GLOBAL__N_18offset_tEEE10hipError_tPvRmT1_PNSt15iterator_traitsIS12_E10value_typeET2_T3_PNS13_IS18_E10value_typeET4_jRbjT5_S1E_jjP12ihipStream_tbEUljE_ZNSN_ISO_Lb0ESQ_SR_ST_SU_SY_EESZ_S10_S11_S12_S16_S17_S18_S1B_S1C_jS1D_jS1E_S1E_jjS1G_bEUljE0_EEESZ_S10_S11_S18_S1C_S1E_T6_T7_T9_mT8_S1G_bDpT10_ENKUlT_T0_E_clISt17integral_constantIbLb0EES1U_EEDaS1P_S1Q_EUlS1P_E_NS1_11comp_targetILNS1_3genE0ELNS1_11target_archE4294967295ELNS1_3gpuE0ELNS1_3repE0EEENS1_30default_config_static_selectorELNS0_4arch9wavefront6targetE0EEEvS12_.has_dyn_sized_stack, 0
	.set _ZN7rocprim17ROCPRIM_400000_NS6detail17trampoline_kernelINS0_13select_configILj256ELj13ELNS0_17block_load_methodE3ELS4_3ELS4_3ELNS0_20block_scan_algorithmE0ELj4294967295EEENS1_25partition_config_selectorILNS1_17partition_subalgoE4EjNS0_10empty_typeEbEEZZNS1_14partition_implILS8_4ELb0ES6_15HIP_vector_typeIjLj2EENS0_17counting_iteratorIjlEEPS9_SG_NS0_5tupleIJPjSI_NS0_16reverse_iteratorISI_EEEEENSH_IJSG_SG_SG_EEES9_SI_JZNS1_25segmented_radix_sort_implINS0_14default_configELb0EPKiPiPKlPlN2at6native12_GLOBAL__N_18offset_tEEE10hipError_tPvRmT1_PNSt15iterator_traitsIS12_E10value_typeET2_T3_PNS13_IS18_E10value_typeET4_jRbjT5_S1E_jjP12ihipStream_tbEUljE_ZNSN_ISO_Lb0ESQ_SR_ST_SU_SY_EESZ_S10_S11_S12_S16_S17_S18_S1B_S1C_jS1D_jS1E_S1E_jjS1G_bEUljE0_EEESZ_S10_S11_S18_S1C_S1E_T6_T7_T9_mT8_S1G_bDpT10_ENKUlT_T0_E_clISt17integral_constantIbLb0EES1U_EEDaS1P_S1Q_EUlS1P_E_NS1_11comp_targetILNS1_3genE0ELNS1_11target_archE4294967295ELNS1_3gpuE0ELNS1_3repE0EEENS1_30default_config_static_selectorELNS0_4arch9wavefront6targetE0EEEvS12_.has_recursion, 0
	.set _ZN7rocprim17ROCPRIM_400000_NS6detail17trampoline_kernelINS0_13select_configILj256ELj13ELNS0_17block_load_methodE3ELS4_3ELS4_3ELNS0_20block_scan_algorithmE0ELj4294967295EEENS1_25partition_config_selectorILNS1_17partition_subalgoE4EjNS0_10empty_typeEbEEZZNS1_14partition_implILS8_4ELb0ES6_15HIP_vector_typeIjLj2EENS0_17counting_iteratorIjlEEPS9_SG_NS0_5tupleIJPjSI_NS0_16reverse_iteratorISI_EEEEENSH_IJSG_SG_SG_EEES9_SI_JZNS1_25segmented_radix_sort_implINS0_14default_configELb0EPKiPiPKlPlN2at6native12_GLOBAL__N_18offset_tEEE10hipError_tPvRmT1_PNSt15iterator_traitsIS12_E10value_typeET2_T3_PNS13_IS18_E10value_typeET4_jRbjT5_S1E_jjP12ihipStream_tbEUljE_ZNSN_ISO_Lb0ESQ_SR_ST_SU_SY_EESZ_S10_S11_S12_S16_S17_S18_S1B_S1C_jS1D_jS1E_S1E_jjS1G_bEUljE0_EEESZ_S10_S11_S18_S1C_S1E_T6_T7_T9_mT8_S1G_bDpT10_ENKUlT_T0_E_clISt17integral_constantIbLb0EES1U_EEDaS1P_S1Q_EUlS1P_E_NS1_11comp_targetILNS1_3genE0ELNS1_11target_archE4294967295ELNS1_3gpuE0ELNS1_3repE0EEENS1_30default_config_static_selectorELNS0_4arch9wavefront6targetE0EEEvS12_.has_indirect_call, 0
	.section	.AMDGPU.csdata,"",@progbits
; Kernel info:
; codeLenInByte = 0
; TotalNumSgprs: 0
; NumVgprs: 0
; ScratchSize: 0
; MemoryBound: 0
; FloatMode: 240
; IeeeMode: 1
; LDSByteSize: 0 bytes/workgroup (compile time only)
; SGPRBlocks: 0
; VGPRBlocks: 0
; NumSGPRsForWavesPerEU: 1
; NumVGPRsForWavesPerEU: 1
; Occupancy: 16
; WaveLimiterHint : 0
; COMPUTE_PGM_RSRC2:SCRATCH_EN: 0
; COMPUTE_PGM_RSRC2:USER_SGPR: 2
; COMPUTE_PGM_RSRC2:TRAP_HANDLER: 0
; COMPUTE_PGM_RSRC2:TGID_X_EN: 1
; COMPUTE_PGM_RSRC2:TGID_Y_EN: 0
; COMPUTE_PGM_RSRC2:TGID_Z_EN: 0
; COMPUTE_PGM_RSRC2:TIDIG_COMP_CNT: 0
	.section	.text._ZN7rocprim17ROCPRIM_400000_NS6detail17trampoline_kernelINS0_13select_configILj256ELj13ELNS0_17block_load_methodE3ELS4_3ELS4_3ELNS0_20block_scan_algorithmE0ELj4294967295EEENS1_25partition_config_selectorILNS1_17partition_subalgoE4EjNS0_10empty_typeEbEEZZNS1_14partition_implILS8_4ELb0ES6_15HIP_vector_typeIjLj2EENS0_17counting_iteratorIjlEEPS9_SG_NS0_5tupleIJPjSI_NS0_16reverse_iteratorISI_EEEEENSH_IJSG_SG_SG_EEES9_SI_JZNS1_25segmented_radix_sort_implINS0_14default_configELb0EPKiPiPKlPlN2at6native12_GLOBAL__N_18offset_tEEE10hipError_tPvRmT1_PNSt15iterator_traitsIS12_E10value_typeET2_T3_PNS13_IS18_E10value_typeET4_jRbjT5_S1E_jjP12ihipStream_tbEUljE_ZNSN_ISO_Lb0ESQ_SR_ST_SU_SY_EESZ_S10_S11_S12_S16_S17_S18_S1B_S1C_jS1D_jS1E_S1E_jjS1G_bEUljE0_EEESZ_S10_S11_S18_S1C_S1E_T6_T7_T9_mT8_S1G_bDpT10_ENKUlT_T0_E_clISt17integral_constantIbLb0EES1U_EEDaS1P_S1Q_EUlS1P_E_NS1_11comp_targetILNS1_3genE5ELNS1_11target_archE942ELNS1_3gpuE9ELNS1_3repE0EEENS1_30default_config_static_selectorELNS0_4arch9wavefront6targetE0EEEvS12_,"axG",@progbits,_ZN7rocprim17ROCPRIM_400000_NS6detail17trampoline_kernelINS0_13select_configILj256ELj13ELNS0_17block_load_methodE3ELS4_3ELS4_3ELNS0_20block_scan_algorithmE0ELj4294967295EEENS1_25partition_config_selectorILNS1_17partition_subalgoE4EjNS0_10empty_typeEbEEZZNS1_14partition_implILS8_4ELb0ES6_15HIP_vector_typeIjLj2EENS0_17counting_iteratorIjlEEPS9_SG_NS0_5tupleIJPjSI_NS0_16reverse_iteratorISI_EEEEENSH_IJSG_SG_SG_EEES9_SI_JZNS1_25segmented_radix_sort_implINS0_14default_configELb0EPKiPiPKlPlN2at6native12_GLOBAL__N_18offset_tEEE10hipError_tPvRmT1_PNSt15iterator_traitsIS12_E10value_typeET2_T3_PNS13_IS18_E10value_typeET4_jRbjT5_S1E_jjP12ihipStream_tbEUljE_ZNSN_ISO_Lb0ESQ_SR_ST_SU_SY_EESZ_S10_S11_S12_S16_S17_S18_S1B_S1C_jS1D_jS1E_S1E_jjS1G_bEUljE0_EEESZ_S10_S11_S18_S1C_S1E_T6_T7_T9_mT8_S1G_bDpT10_ENKUlT_T0_E_clISt17integral_constantIbLb0EES1U_EEDaS1P_S1Q_EUlS1P_E_NS1_11comp_targetILNS1_3genE5ELNS1_11target_archE942ELNS1_3gpuE9ELNS1_3repE0EEENS1_30default_config_static_selectorELNS0_4arch9wavefront6targetE0EEEvS12_,comdat
	.globl	_ZN7rocprim17ROCPRIM_400000_NS6detail17trampoline_kernelINS0_13select_configILj256ELj13ELNS0_17block_load_methodE3ELS4_3ELS4_3ELNS0_20block_scan_algorithmE0ELj4294967295EEENS1_25partition_config_selectorILNS1_17partition_subalgoE4EjNS0_10empty_typeEbEEZZNS1_14partition_implILS8_4ELb0ES6_15HIP_vector_typeIjLj2EENS0_17counting_iteratorIjlEEPS9_SG_NS0_5tupleIJPjSI_NS0_16reverse_iteratorISI_EEEEENSH_IJSG_SG_SG_EEES9_SI_JZNS1_25segmented_radix_sort_implINS0_14default_configELb0EPKiPiPKlPlN2at6native12_GLOBAL__N_18offset_tEEE10hipError_tPvRmT1_PNSt15iterator_traitsIS12_E10value_typeET2_T3_PNS13_IS18_E10value_typeET4_jRbjT5_S1E_jjP12ihipStream_tbEUljE_ZNSN_ISO_Lb0ESQ_SR_ST_SU_SY_EESZ_S10_S11_S12_S16_S17_S18_S1B_S1C_jS1D_jS1E_S1E_jjS1G_bEUljE0_EEESZ_S10_S11_S18_S1C_S1E_T6_T7_T9_mT8_S1G_bDpT10_ENKUlT_T0_E_clISt17integral_constantIbLb0EES1U_EEDaS1P_S1Q_EUlS1P_E_NS1_11comp_targetILNS1_3genE5ELNS1_11target_archE942ELNS1_3gpuE9ELNS1_3repE0EEENS1_30default_config_static_selectorELNS0_4arch9wavefront6targetE0EEEvS12_ ; -- Begin function _ZN7rocprim17ROCPRIM_400000_NS6detail17trampoline_kernelINS0_13select_configILj256ELj13ELNS0_17block_load_methodE3ELS4_3ELS4_3ELNS0_20block_scan_algorithmE0ELj4294967295EEENS1_25partition_config_selectorILNS1_17partition_subalgoE4EjNS0_10empty_typeEbEEZZNS1_14partition_implILS8_4ELb0ES6_15HIP_vector_typeIjLj2EENS0_17counting_iteratorIjlEEPS9_SG_NS0_5tupleIJPjSI_NS0_16reverse_iteratorISI_EEEEENSH_IJSG_SG_SG_EEES9_SI_JZNS1_25segmented_radix_sort_implINS0_14default_configELb0EPKiPiPKlPlN2at6native12_GLOBAL__N_18offset_tEEE10hipError_tPvRmT1_PNSt15iterator_traitsIS12_E10value_typeET2_T3_PNS13_IS18_E10value_typeET4_jRbjT5_S1E_jjP12ihipStream_tbEUljE_ZNSN_ISO_Lb0ESQ_SR_ST_SU_SY_EESZ_S10_S11_S12_S16_S17_S18_S1B_S1C_jS1D_jS1E_S1E_jjS1G_bEUljE0_EEESZ_S10_S11_S18_S1C_S1E_T6_T7_T9_mT8_S1G_bDpT10_ENKUlT_T0_E_clISt17integral_constantIbLb0EES1U_EEDaS1P_S1Q_EUlS1P_E_NS1_11comp_targetILNS1_3genE5ELNS1_11target_archE942ELNS1_3gpuE9ELNS1_3repE0EEENS1_30default_config_static_selectorELNS0_4arch9wavefront6targetE0EEEvS12_
	.p2align	8
	.type	_ZN7rocprim17ROCPRIM_400000_NS6detail17trampoline_kernelINS0_13select_configILj256ELj13ELNS0_17block_load_methodE3ELS4_3ELS4_3ELNS0_20block_scan_algorithmE0ELj4294967295EEENS1_25partition_config_selectorILNS1_17partition_subalgoE4EjNS0_10empty_typeEbEEZZNS1_14partition_implILS8_4ELb0ES6_15HIP_vector_typeIjLj2EENS0_17counting_iteratorIjlEEPS9_SG_NS0_5tupleIJPjSI_NS0_16reverse_iteratorISI_EEEEENSH_IJSG_SG_SG_EEES9_SI_JZNS1_25segmented_radix_sort_implINS0_14default_configELb0EPKiPiPKlPlN2at6native12_GLOBAL__N_18offset_tEEE10hipError_tPvRmT1_PNSt15iterator_traitsIS12_E10value_typeET2_T3_PNS13_IS18_E10value_typeET4_jRbjT5_S1E_jjP12ihipStream_tbEUljE_ZNSN_ISO_Lb0ESQ_SR_ST_SU_SY_EESZ_S10_S11_S12_S16_S17_S18_S1B_S1C_jS1D_jS1E_S1E_jjS1G_bEUljE0_EEESZ_S10_S11_S18_S1C_S1E_T6_T7_T9_mT8_S1G_bDpT10_ENKUlT_T0_E_clISt17integral_constantIbLb0EES1U_EEDaS1P_S1Q_EUlS1P_E_NS1_11comp_targetILNS1_3genE5ELNS1_11target_archE942ELNS1_3gpuE9ELNS1_3repE0EEENS1_30default_config_static_selectorELNS0_4arch9wavefront6targetE0EEEvS12_,@function
_ZN7rocprim17ROCPRIM_400000_NS6detail17trampoline_kernelINS0_13select_configILj256ELj13ELNS0_17block_load_methodE3ELS4_3ELS4_3ELNS0_20block_scan_algorithmE0ELj4294967295EEENS1_25partition_config_selectorILNS1_17partition_subalgoE4EjNS0_10empty_typeEbEEZZNS1_14partition_implILS8_4ELb0ES6_15HIP_vector_typeIjLj2EENS0_17counting_iteratorIjlEEPS9_SG_NS0_5tupleIJPjSI_NS0_16reverse_iteratorISI_EEEEENSH_IJSG_SG_SG_EEES9_SI_JZNS1_25segmented_radix_sort_implINS0_14default_configELb0EPKiPiPKlPlN2at6native12_GLOBAL__N_18offset_tEEE10hipError_tPvRmT1_PNSt15iterator_traitsIS12_E10value_typeET2_T3_PNS13_IS18_E10value_typeET4_jRbjT5_S1E_jjP12ihipStream_tbEUljE_ZNSN_ISO_Lb0ESQ_SR_ST_SU_SY_EESZ_S10_S11_S12_S16_S17_S18_S1B_S1C_jS1D_jS1E_S1E_jjS1G_bEUljE0_EEESZ_S10_S11_S18_S1C_S1E_T6_T7_T9_mT8_S1G_bDpT10_ENKUlT_T0_E_clISt17integral_constantIbLb0EES1U_EEDaS1P_S1Q_EUlS1P_E_NS1_11comp_targetILNS1_3genE5ELNS1_11target_archE942ELNS1_3gpuE9ELNS1_3repE0EEENS1_30default_config_static_selectorELNS0_4arch9wavefront6targetE0EEEvS12_: ; @_ZN7rocprim17ROCPRIM_400000_NS6detail17trampoline_kernelINS0_13select_configILj256ELj13ELNS0_17block_load_methodE3ELS4_3ELS4_3ELNS0_20block_scan_algorithmE0ELj4294967295EEENS1_25partition_config_selectorILNS1_17partition_subalgoE4EjNS0_10empty_typeEbEEZZNS1_14partition_implILS8_4ELb0ES6_15HIP_vector_typeIjLj2EENS0_17counting_iteratorIjlEEPS9_SG_NS0_5tupleIJPjSI_NS0_16reverse_iteratorISI_EEEEENSH_IJSG_SG_SG_EEES9_SI_JZNS1_25segmented_radix_sort_implINS0_14default_configELb0EPKiPiPKlPlN2at6native12_GLOBAL__N_18offset_tEEE10hipError_tPvRmT1_PNSt15iterator_traitsIS12_E10value_typeET2_T3_PNS13_IS18_E10value_typeET4_jRbjT5_S1E_jjP12ihipStream_tbEUljE_ZNSN_ISO_Lb0ESQ_SR_ST_SU_SY_EESZ_S10_S11_S12_S16_S17_S18_S1B_S1C_jS1D_jS1E_S1E_jjS1G_bEUljE0_EEESZ_S10_S11_S18_S1C_S1E_T6_T7_T9_mT8_S1G_bDpT10_ENKUlT_T0_E_clISt17integral_constantIbLb0EES1U_EEDaS1P_S1Q_EUlS1P_E_NS1_11comp_targetILNS1_3genE5ELNS1_11target_archE942ELNS1_3gpuE9ELNS1_3repE0EEENS1_30default_config_static_selectorELNS0_4arch9wavefront6targetE0EEEvS12_
; %bb.0:
	.section	.rodata,"a",@progbits
	.p2align	6, 0x0
	.amdhsa_kernel _ZN7rocprim17ROCPRIM_400000_NS6detail17trampoline_kernelINS0_13select_configILj256ELj13ELNS0_17block_load_methodE3ELS4_3ELS4_3ELNS0_20block_scan_algorithmE0ELj4294967295EEENS1_25partition_config_selectorILNS1_17partition_subalgoE4EjNS0_10empty_typeEbEEZZNS1_14partition_implILS8_4ELb0ES6_15HIP_vector_typeIjLj2EENS0_17counting_iteratorIjlEEPS9_SG_NS0_5tupleIJPjSI_NS0_16reverse_iteratorISI_EEEEENSH_IJSG_SG_SG_EEES9_SI_JZNS1_25segmented_radix_sort_implINS0_14default_configELb0EPKiPiPKlPlN2at6native12_GLOBAL__N_18offset_tEEE10hipError_tPvRmT1_PNSt15iterator_traitsIS12_E10value_typeET2_T3_PNS13_IS18_E10value_typeET4_jRbjT5_S1E_jjP12ihipStream_tbEUljE_ZNSN_ISO_Lb0ESQ_SR_ST_SU_SY_EESZ_S10_S11_S12_S16_S17_S18_S1B_S1C_jS1D_jS1E_S1E_jjS1G_bEUljE0_EEESZ_S10_S11_S18_S1C_S1E_T6_T7_T9_mT8_S1G_bDpT10_ENKUlT_T0_E_clISt17integral_constantIbLb0EES1U_EEDaS1P_S1Q_EUlS1P_E_NS1_11comp_targetILNS1_3genE5ELNS1_11target_archE942ELNS1_3gpuE9ELNS1_3repE0EEENS1_30default_config_static_selectorELNS0_4arch9wavefront6targetE0EEEvS12_
		.amdhsa_group_segment_fixed_size 0
		.amdhsa_private_segment_fixed_size 0
		.amdhsa_kernarg_size 176
		.amdhsa_user_sgpr_count 2
		.amdhsa_user_sgpr_dispatch_ptr 0
		.amdhsa_user_sgpr_queue_ptr 0
		.amdhsa_user_sgpr_kernarg_segment_ptr 1
		.amdhsa_user_sgpr_dispatch_id 0
		.amdhsa_user_sgpr_private_segment_size 0
		.amdhsa_wavefront_size32 1
		.amdhsa_uses_dynamic_stack 0
		.amdhsa_enable_private_segment 0
		.amdhsa_system_sgpr_workgroup_id_x 1
		.amdhsa_system_sgpr_workgroup_id_y 0
		.amdhsa_system_sgpr_workgroup_id_z 0
		.amdhsa_system_sgpr_workgroup_info 0
		.amdhsa_system_vgpr_workitem_id 0
		.amdhsa_next_free_vgpr 1
		.amdhsa_next_free_sgpr 1
		.amdhsa_reserve_vcc 0
		.amdhsa_float_round_mode_32 0
		.amdhsa_float_round_mode_16_64 0
		.amdhsa_float_denorm_mode_32 3
		.amdhsa_float_denorm_mode_16_64 3
		.amdhsa_fp16_overflow 0
		.amdhsa_workgroup_processor_mode 1
		.amdhsa_memory_ordered 1
		.amdhsa_forward_progress 1
		.amdhsa_inst_pref_size 0
		.amdhsa_round_robin_scheduling 0
		.amdhsa_exception_fp_ieee_invalid_op 0
		.amdhsa_exception_fp_denorm_src 0
		.amdhsa_exception_fp_ieee_div_zero 0
		.amdhsa_exception_fp_ieee_overflow 0
		.amdhsa_exception_fp_ieee_underflow 0
		.amdhsa_exception_fp_ieee_inexact 0
		.amdhsa_exception_int_div_zero 0
	.end_amdhsa_kernel
	.section	.text._ZN7rocprim17ROCPRIM_400000_NS6detail17trampoline_kernelINS0_13select_configILj256ELj13ELNS0_17block_load_methodE3ELS4_3ELS4_3ELNS0_20block_scan_algorithmE0ELj4294967295EEENS1_25partition_config_selectorILNS1_17partition_subalgoE4EjNS0_10empty_typeEbEEZZNS1_14partition_implILS8_4ELb0ES6_15HIP_vector_typeIjLj2EENS0_17counting_iteratorIjlEEPS9_SG_NS0_5tupleIJPjSI_NS0_16reverse_iteratorISI_EEEEENSH_IJSG_SG_SG_EEES9_SI_JZNS1_25segmented_radix_sort_implINS0_14default_configELb0EPKiPiPKlPlN2at6native12_GLOBAL__N_18offset_tEEE10hipError_tPvRmT1_PNSt15iterator_traitsIS12_E10value_typeET2_T3_PNS13_IS18_E10value_typeET4_jRbjT5_S1E_jjP12ihipStream_tbEUljE_ZNSN_ISO_Lb0ESQ_SR_ST_SU_SY_EESZ_S10_S11_S12_S16_S17_S18_S1B_S1C_jS1D_jS1E_S1E_jjS1G_bEUljE0_EEESZ_S10_S11_S18_S1C_S1E_T6_T7_T9_mT8_S1G_bDpT10_ENKUlT_T0_E_clISt17integral_constantIbLb0EES1U_EEDaS1P_S1Q_EUlS1P_E_NS1_11comp_targetILNS1_3genE5ELNS1_11target_archE942ELNS1_3gpuE9ELNS1_3repE0EEENS1_30default_config_static_selectorELNS0_4arch9wavefront6targetE0EEEvS12_,"axG",@progbits,_ZN7rocprim17ROCPRIM_400000_NS6detail17trampoline_kernelINS0_13select_configILj256ELj13ELNS0_17block_load_methodE3ELS4_3ELS4_3ELNS0_20block_scan_algorithmE0ELj4294967295EEENS1_25partition_config_selectorILNS1_17partition_subalgoE4EjNS0_10empty_typeEbEEZZNS1_14partition_implILS8_4ELb0ES6_15HIP_vector_typeIjLj2EENS0_17counting_iteratorIjlEEPS9_SG_NS0_5tupleIJPjSI_NS0_16reverse_iteratorISI_EEEEENSH_IJSG_SG_SG_EEES9_SI_JZNS1_25segmented_radix_sort_implINS0_14default_configELb0EPKiPiPKlPlN2at6native12_GLOBAL__N_18offset_tEEE10hipError_tPvRmT1_PNSt15iterator_traitsIS12_E10value_typeET2_T3_PNS13_IS18_E10value_typeET4_jRbjT5_S1E_jjP12ihipStream_tbEUljE_ZNSN_ISO_Lb0ESQ_SR_ST_SU_SY_EESZ_S10_S11_S12_S16_S17_S18_S1B_S1C_jS1D_jS1E_S1E_jjS1G_bEUljE0_EEESZ_S10_S11_S18_S1C_S1E_T6_T7_T9_mT8_S1G_bDpT10_ENKUlT_T0_E_clISt17integral_constantIbLb0EES1U_EEDaS1P_S1Q_EUlS1P_E_NS1_11comp_targetILNS1_3genE5ELNS1_11target_archE942ELNS1_3gpuE9ELNS1_3repE0EEENS1_30default_config_static_selectorELNS0_4arch9wavefront6targetE0EEEvS12_,comdat
.Lfunc_end537:
	.size	_ZN7rocprim17ROCPRIM_400000_NS6detail17trampoline_kernelINS0_13select_configILj256ELj13ELNS0_17block_load_methodE3ELS4_3ELS4_3ELNS0_20block_scan_algorithmE0ELj4294967295EEENS1_25partition_config_selectorILNS1_17partition_subalgoE4EjNS0_10empty_typeEbEEZZNS1_14partition_implILS8_4ELb0ES6_15HIP_vector_typeIjLj2EENS0_17counting_iteratorIjlEEPS9_SG_NS0_5tupleIJPjSI_NS0_16reverse_iteratorISI_EEEEENSH_IJSG_SG_SG_EEES9_SI_JZNS1_25segmented_radix_sort_implINS0_14default_configELb0EPKiPiPKlPlN2at6native12_GLOBAL__N_18offset_tEEE10hipError_tPvRmT1_PNSt15iterator_traitsIS12_E10value_typeET2_T3_PNS13_IS18_E10value_typeET4_jRbjT5_S1E_jjP12ihipStream_tbEUljE_ZNSN_ISO_Lb0ESQ_SR_ST_SU_SY_EESZ_S10_S11_S12_S16_S17_S18_S1B_S1C_jS1D_jS1E_S1E_jjS1G_bEUljE0_EEESZ_S10_S11_S18_S1C_S1E_T6_T7_T9_mT8_S1G_bDpT10_ENKUlT_T0_E_clISt17integral_constantIbLb0EES1U_EEDaS1P_S1Q_EUlS1P_E_NS1_11comp_targetILNS1_3genE5ELNS1_11target_archE942ELNS1_3gpuE9ELNS1_3repE0EEENS1_30default_config_static_selectorELNS0_4arch9wavefront6targetE0EEEvS12_, .Lfunc_end537-_ZN7rocprim17ROCPRIM_400000_NS6detail17trampoline_kernelINS0_13select_configILj256ELj13ELNS0_17block_load_methodE3ELS4_3ELS4_3ELNS0_20block_scan_algorithmE0ELj4294967295EEENS1_25partition_config_selectorILNS1_17partition_subalgoE4EjNS0_10empty_typeEbEEZZNS1_14partition_implILS8_4ELb0ES6_15HIP_vector_typeIjLj2EENS0_17counting_iteratorIjlEEPS9_SG_NS0_5tupleIJPjSI_NS0_16reverse_iteratorISI_EEEEENSH_IJSG_SG_SG_EEES9_SI_JZNS1_25segmented_radix_sort_implINS0_14default_configELb0EPKiPiPKlPlN2at6native12_GLOBAL__N_18offset_tEEE10hipError_tPvRmT1_PNSt15iterator_traitsIS12_E10value_typeET2_T3_PNS13_IS18_E10value_typeET4_jRbjT5_S1E_jjP12ihipStream_tbEUljE_ZNSN_ISO_Lb0ESQ_SR_ST_SU_SY_EESZ_S10_S11_S12_S16_S17_S18_S1B_S1C_jS1D_jS1E_S1E_jjS1G_bEUljE0_EEESZ_S10_S11_S18_S1C_S1E_T6_T7_T9_mT8_S1G_bDpT10_ENKUlT_T0_E_clISt17integral_constantIbLb0EES1U_EEDaS1P_S1Q_EUlS1P_E_NS1_11comp_targetILNS1_3genE5ELNS1_11target_archE942ELNS1_3gpuE9ELNS1_3repE0EEENS1_30default_config_static_selectorELNS0_4arch9wavefront6targetE0EEEvS12_
                                        ; -- End function
	.set _ZN7rocprim17ROCPRIM_400000_NS6detail17trampoline_kernelINS0_13select_configILj256ELj13ELNS0_17block_load_methodE3ELS4_3ELS4_3ELNS0_20block_scan_algorithmE0ELj4294967295EEENS1_25partition_config_selectorILNS1_17partition_subalgoE4EjNS0_10empty_typeEbEEZZNS1_14partition_implILS8_4ELb0ES6_15HIP_vector_typeIjLj2EENS0_17counting_iteratorIjlEEPS9_SG_NS0_5tupleIJPjSI_NS0_16reverse_iteratorISI_EEEEENSH_IJSG_SG_SG_EEES9_SI_JZNS1_25segmented_radix_sort_implINS0_14default_configELb0EPKiPiPKlPlN2at6native12_GLOBAL__N_18offset_tEEE10hipError_tPvRmT1_PNSt15iterator_traitsIS12_E10value_typeET2_T3_PNS13_IS18_E10value_typeET4_jRbjT5_S1E_jjP12ihipStream_tbEUljE_ZNSN_ISO_Lb0ESQ_SR_ST_SU_SY_EESZ_S10_S11_S12_S16_S17_S18_S1B_S1C_jS1D_jS1E_S1E_jjS1G_bEUljE0_EEESZ_S10_S11_S18_S1C_S1E_T6_T7_T9_mT8_S1G_bDpT10_ENKUlT_T0_E_clISt17integral_constantIbLb0EES1U_EEDaS1P_S1Q_EUlS1P_E_NS1_11comp_targetILNS1_3genE5ELNS1_11target_archE942ELNS1_3gpuE9ELNS1_3repE0EEENS1_30default_config_static_selectorELNS0_4arch9wavefront6targetE0EEEvS12_.num_vgpr, 0
	.set _ZN7rocprim17ROCPRIM_400000_NS6detail17trampoline_kernelINS0_13select_configILj256ELj13ELNS0_17block_load_methodE3ELS4_3ELS4_3ELNS0_20block_scan_algorithmE0ELj4294967295EEENS1_25partition_config_selectorILNS1_17partition_subalgoE4EjNS0_10empty_typeEbEEZZNS1_14partition_implILS8_4ELb0ES6_15HIP_vector_typeIjLj2EENS0_17counting_iteratorIjlEEPS9_SG_NS0_5tupleIJPjSI_NS0_16reverse_iteratorISI_EEEEENSH_IJSG_SG_SG_EEES9_SI_JZNS1_25segmented_radix_sort_implINS0_14default_configELb0EPKiPiPKlPlN2at6native12_GLOBAL__N_18offset_tEEE10hipError_tPvRmT1_PNSt15iterator_traitsIS12_E10value_typeET2_T3_PNS13_IS18_E10value_typeET4_jRbjT5_S1E_jjP12ihipStream_tbEUljE_ZNSN_ISO_Lb0ESQ_SR_ST_SU_SY_EESZ_S10_S11_S12_S16_S17_S18_S1B_S1C_jS1D_jS1E_S1E_jjS1G_bEUljE0_EEESZ_S10_S11_S18_S1C_S1E_T6_T7_T9_mT8_S1G_bDpT10_ENKUlT_T0_E_clISt17integral_constantIbLb0EES1U_EEDaS1P_S1Q_EUlS1P_E_NS1_11comp_targetILNS1_3genE5ELNS1_11target_archE942ELNS1_3gpuE9ELNS1_3repE0EEENS1_30default_config_static_selectorELNS0_4arch9wavefront6targetE0EEEvS12_.num_agpr, 0
	.set _ZN7rocprim17ROCPRIM_400000_NS6detail17trampoline_kernelINS0_13select_configILj256ELj13ELNS0_17block_load_methodE3ELS4_3ELS4_3ELNS0_20block_scan_algorithmE0ELj4294967295EEENS1_25partition_config_selectorILNS1_17partition_subalgoE4EjNS0_10empty_typeEbEEZZNS1_14partition_implILS8_4ELb0ES6_15HIP_vector_typeIjLj2EENS0_17counting_iteratorIjlEEPS9_SG_NS0_5tupleIJPjSI_NS0_16reverse_iteratorISI_EEEEENSH_IJSG_SG_SG_EEES9_SI_JZNS1_25segmented_radix_sort_implINS0_14default_configELb0EPKiPiPKlPlN2at6native12_GLOBAL__N_18offset_tEEE10hipError_tPvRmT1_PNSt15iterator_traitsIS12_E10value_typeET2_T3_PNS13_IS18_E10value_typeET4_jRbjT5_S1E_jjP12ihipStream_tbEUljE_ZNSN_ISO_Lb0ESQ_SR_ST_SU_SY_EESZ_S10_S11_S12_S16_S17_S18_S1B_S1C_jS1D_jS1E_S1E_jjS1G_bEUljE0_EEESZ_S10_S11_S18_S1C_S1E_T6_T7_T9_mT8_S1G_bDpT10_ENKUlT_T0_E_clISt17integral_constantIbLb0EES1U_EEDaS1P_S1Q_EUlS1P_E_NS1_11comp_targetILNS1_3genE5ELNS1_11target_archE942ELNS1_3gpuE9ELNS1_3repE0EEENS1_30default_config_static_selectorELNS0_4arch9wavefront6targetE0EEEvS12_.numbered_sgpr, 0
	.set _ZN7rocprim17ROCPRIM_400000_NS6detail17trampoline_kernelINS0_13select_configILj256ELj13ELNS0_17block_load_methodE3ELS4_3ELS4_3ELNS0_20block_scan_algorithmE0ELj4294967295EEENS1_25partition_config_selectorILNS1_17partition_subalgoE4EjNS0_10empty_typeEbEEZZNS1_14partition_implILS8_4ELb0ES6_15HIP_vector_typeIjLj2EENS0_17counting_iteratorIjlEEPS9_SG_NS0_5tupleIJPjSI_NS0_16reverse_iteratorISI_EEEEENSH_IJSG_SG_SG_EEES9_SI_JZNS1_25segmented_radix_sort_implINS0_14default_configELb0EPKiPiPKlPlN2at6native12_GLOBAL__N_18offset_tEEE10hipError_tPvRmT1_PNSt15iterator_traitsIS12_E10value_typeET2_T3_PNS13_IS18_E10value_typeET4_jRbjT5_S1E_jjP12ihipStream_tbEUljE_ZNSN_ISO_Lb0ESQ_SR_ST_SU_SY_EESZ_S10_S11_S12_S16_S17_S18_S1B_S1C_jS1D_jS1E_S1E_jjS1G_bEUljE0_EEESZ_S10_S11_S18_S1C_S1E_T6_T7_T9_mT8_S1G_bDpT10_ENKUlT_T0_E_clISt17integral_constantIbLb0EES1U_EEDaS1P_S1Q_EUlS1P_E_NS1_11comp_targetILNS1_3genE5ELNS1_11target_archE942ELNS1_3gpuE9ELNS1_3repE0EEENS1_30default_config_static_selectorELNS0_4arch9wavefront6targetE0EEEvS12_.num_named_barrier, 0
	.set _ZN7rocprim17ROCPRIM_400000_NS6detail17trampoline_kernelINS0_13select_configILj256ELj13ELNS0_17block_load_methodE3ELS4_3ELS4_3ELNS0_20block_scan_algorithmE0ELj4294967295EEENS1_25partition_config_selectorILNS1_17partition_subalgoE4EjNS0_10empty_typeEbEEZZNS1_14partition_implILS8_4ELb0ES6_15HIP_vector_typeIjLj2EENS0_17counting_iteratorIjlEEPS9_SG_NS0_5tupleIJPjSI_NS0_16reverse_iteratorISI_EEEEENSH_IJSG_SG_SG_EEES9_SI_JZNS1_25segmented_radix_sort_implINS0_14default_configELb0EPKiPiPKlPlN2at6native12_GLOBAL__N_18offset_tEEE10hipError_tPvRmT1_PNSt15iterator_traitsIS12_E10value_typeET2_T3_PNS13_IS18_E10value_typeET4_jRbjT5_S1E_jjP12ihipStream_tbEUljE_ZNSN_ISO_Lb0ESQ_SR_ST_SU_SY_EESZ_S10_S11_S12_S16_S17_S18_S1B_S1C_jS1D_jS1E_S1E_jjS1G_bEUljE0_EEESZ_S10_S11_S18_S1C_S1E_T6_T7_T9_mT8_S1G_bDpT10_ENKUlT_T0_E_clISt17integral_constantIbLb0EES1U_EEDaS1P_S1Q_EUlS1P_E_NS1_11comp_targetILNS1_3genE5ELNS1_11target_archE942ELNS1_3gpuE9ELNS1_3repE0EEENS1_30default_config_static_selectorELNS0_4arch9wavefront6targetE0EEEvS12_.private_seg_size, 0
	.set _ZN7rocprim17ROCPRIM_400000_NS6detail17trampoline_kernelINS0_13select_configILj256ELj13ELNS0_17block_load_methodE3ELS4_3ELS4_3ELNS0_20block_scan_algorithmE0ELj4294967295EEENS1_25partition_config_selectorILNS1_17partition_subalgoE4EjNS0_10empty_typeEbEEZZNS1_14partition_implILS8_4ELb0ES6_15HIP_vector_typeIjLj2EENS0_17counting_iteratorIjlEEPS9_SG_NS0_5tupleIJPjSI_NS0_16reverse_iteratorISI_EEEEENSH_IJSG_SG_SG_EEES9_SI_JZNS1_25segmented_radix_sort_implINS0_14default_configELb0EPKiPiPKlPlN2at6native12_GLOBAL__N_18offset_tEEE10hipError_tPvRmT1_PNSt15iterator_traitsIS12_E10value_typeET2_T3_PNS13_IS18_E10value_typeET4_jRbjT5_S1E_jjP12ihipStream_tbEUljE_ZNSN_ISO_Lb0ESQ_SR_ST_SU_SY_EESZ_S10_S11_S12_S16_S17_S18_S1B_S1C_jS1D_jS1E_S1E_jjS1G_bEUljE0_EEESZ_S10_S11_S18_S1C_S1E_T6_T7_T9_mT8_S1G_bDpT10_ENKUlT_T0_E_clISt17integral_constantIbLb0EES1U_EEDaS1P_S1Q_EUlS1P_E_NS1_11comp_targetILNS1_3genE5ELNS1_11target_archE942ELNS1_3gpuE9ELNS1_3repE0EEENS1_30default_config_static_selectorELNS0_4arch9wavefront6targetE0EEEvS12_.uses_vcc, 0
	.set _ZN7rocprim17ROCPRIM_400000_NS6detail17trampoline_kernelINS0_13select_configILj256ELj13ELNS0_17block_load_methodE3ELS4_3ELS4_3ELNS0_20block_scan_algorithmE0ELj4294967295EEENS1_25partition_config_selectorILNS1_17partition_subalgoE4EjNS0_10empty_typeEbEEZZNS1_14partition_implILS8_4ELb0ES6_15HIP_vector_typeIjLj2EENS0_17counting_iteratorIjlEEPS9_SG_NS0_5tupleIJPjSI_NS0_16reverse_iteratorISI_EEEEENSH_IJSG_SG_SG_EEES9_SI_JZNS1_25segmented_radix_sort_implINS0_14default_configELb0EPKiPiPKlPlN2at6native12_GLOBAL__N_18offset_tEEE10hipError_tPvRmT1_PNSt15iterator_traitsIS12_E10value_typeET2_T3_PNS13_IS18_E10value_typeET4_jRbjT5_S1E_jjP12ihipStream_tbEUljE_ZNSN_ISO_Lb0ESQ_SR_ST_SU_SY_EESZ_S10_S11_S12_S16_S17_S18_S1B_S1C_jS1D_jS1E_S1E_jjS1G_bEUljE0_EEESZ_S10_S11_S18_S1C_S1E_T6_T7_T9_mT8_S1G_bDpT10_ENKUlT_T0_E_clISt17integral_constantIbLb0EES1U_EEDaS1P_S1Q_EUlS1P_E_NS1_11comp_targetILNS1_3genE5ELNS1_11target_archE942ELNS1_3gpuE9ELNS1_3repE0EEENS1_30default_config_static_selectorELNS0_4arch9wavefront6targetE0EEEvS12_.uses_flat_scratch, 0
	.set _ZN7rocprim17ROCPRIM_400000_NS6detail17trampoline_kernelINS0_13select_configILj256ELj13ELNS0_17block_load_methodE3ELS4_3ELS4_3ELNS0_20block_scan_algorithmE0ELj4294967295EEENS1_25partition_config_selectorILNS1_17partition_subalgoE4EjNS0_10empty_typeEbEEZZNS1_14partition_implILS8_4ELb0ES6_15HIP_vector_typeIjLj2EENS0_17counting_iteratorIjlEEPS9_SG_NS0_5tupleIJPjSI_NS0_16reverse_iteratorISI_EEEEENSH_IJSG_SG_SG_EEES9_SI_JZNS1_25segmented_radix_sort_implINS0_14default_configELb0EPKiPiPKlPlN2at6native12_GLOBAL__N_18offset_tEEE10hipError_tPvRmT1_PNSt15iterator_traitsIS12_E10value_typeET2_T3_PNS13_IS18_E10value_typeET4_jRbjT5_S1E_jjP12ihipStream_tbEUljE_ZNSN_ISO_Lb0ESQ_SR_ST_SU_SY_EESZ_S10_S11_S12_S16_S17_S18_S1B_S1C_jS1D_jS1E_S1E_jjS1G_bEUljE0_EEESZ_S10_S11_S18_S1C_S1E_T6_T7_T9_mT8_S1G_bDpT10_ENKUlT_T0_E_clISt17integral_constantIbLb0EES1U_EEDaS1P_S1Q_EUlS1P_E_NS1_11comp_targetILNS1_3genE5ELNS1_11target_archE942ELNS1_3gpuE9ELNS1_3repE0EEENS1_30default_config_static_selectorELNS0_4arch9wavefront6targetE0EEEvS12_.has_dyn_sized_stack, 0
	.set _ZN7rocprim17ROCPRIM_400000_NS6detail17trampoline_kernelINS0_13select_configILj256ELj13ELNS0_17block_load_methodE3ELS4_3ELS4_3ELNS0_20block_scan_algorithmE0ELj4294967295EEENS1_25partition_config_selectorILNS1_17partition_subalgoE4EjNS0_10empty_typeEbEEZZNS1_14partition_implILS8_4ELb0ES6_15HIP_vector_typeIjLj2EENS0_17counting_iteratorIjlEEPS9_SG_NS0_5tupleIJPjSI_NS0_16reverse_iteratorISI_EEEEENSH_IJSG_SG_SG_EEES9_SI_JZNS1_25segmented_radix_sort_implINS0_14default_configELb0EPKiPiPKlPlN2at6native12_GLOBAL__N_18offset_tEEE10hipError_tPvRmT1_PNSt15iterator_traitsIS12_E10value_typeET2_T3_PNS13_IS18_E10value_typeET4_jRbjT5_S1E_jjP12ihipStream_tbEUljE_ZNSN_ISO_Lb0ESQ_SR_ST_SU_SY_EESZ_S10_S11_S12_S16_S17_S18_S1B_S1C_jS1D_jS1E_S1E_jjS1G_bEUljE0_EEESZ_S10_S11_S18_S1C_S1E_T6_T7_T9_mT8_S1G_bDpT10_ENKUlT_T0_E_clISt17integral_constantIbLb0EES1U_EEDaS1P_S1Q_EUlS1P_E_NS1_11comp_targetILNS1_3genE5ELNS1_11target_archE942ELNS1_3gpuE9ELNS1_3repE0EEENS1_30default_config_static_selectorELNS0_4arch9wavefront6targetE0EEEvS12_.has_recursion, 0
	.set _ZN7rocprim17ROCPRIM_400000_NS6detail17trampoline_kernelINS0_13select_configILj256ELj13ELNS0_17block_load_methodE3ELS4_3ELS4_3ELNS0_20block_scan_algorithmE0ELj4294967295EEENS1_25partition_config_selectorILNS1_17partition_subalgoE4EjNS0_10empty_typeEbEEZZNS1_14partition_implILS8_4ELb0ES6_15HIP_vector_typeIjLj2EENS0_17counting_iteratorIjlEEPS9_SG_NS0_5tupleIJPjSI_NS0_16reverse_iteratorISI_EEEEENSH_IJSG_SG_SG_EEES9_SI_JZNS1_25segmented_radix_sort_implINS0_14default_configELb0EPKiPiPKlPlN2at6native12_GLOBAL__N_18offset_tEEE10hipError_tPvRmT1_PNSt15iterator_traitsIS12_E10value_typeET2_T3_PNS13_IS18_E10value_typeET4_jRbjT5_S1E_jjP12ihipStream_tbEUljE_ZNSN_ISO_Lb0ESQ_SR_ST_SU_SY_EESZ_S10_S11_S12_S16_S17_S18_S1B_S1C_jS1D_jS1E_S1E_jjS1G_bEUljE0_EEESZ_S10_S11_S18_S1C_S1E_T6_T7_T9_mT8_S1G_bDpT10_ENKUlT_T0_E_clISt17integral_constantIbLb0EES1U_EEDaS1P_S1Q_EUlS1P_E_NS1_11comp_targetILNS1_3genE5ELNS1_11target_archE942ELNS1_3gpuE9ELNS1_3repE0EEENS1_30default_config_static_selectorELNS0_4arch9wavefront6targetE0EEEvS12_.has_indirect_call, 0
	.section	.AMDGPU.csdata,"",@progbits
; Kernel info:
; codeLenInByte = 0
; TotalNumSgprs: 0
; NumVgprs: 0
; ScratchSize: 0
; MemoryBound: 0
; FloatMode: 240
; IeeeMode: 1
; LDSByteSize: 0 bytes/workgroup (compile time only)
; SGPRBlocks: 0
; VGPRBlocks: 0
; NumSGPRsForWavesPerEU: 1
; NumVGPRsForWavesPerEU: 1
; Occupancy: 16
; WaveLimiterHint : 0
; COMPUTE_PGM_RSRC2:SCRATCH_EN: 0
; COMPUTE_PGM_RSRC2:USER_SGPR: 2
; COMPUTE_PGM_RSRC2:TRAP_HANDLER: 0
; COMPUTE_PGM_RSRC2:TGID_X_EN: 1
; COMPUTE_PGM_RSRC2:TGID_Y_EN: 0
; COMPUTE_PGM_RSRC2:TGID_Z_EN: 0
; COMPUTE_PGM_RSRC2:TIDIG_COMP_CNT: 0
	.section	.text._ZN7rocprim17ROCPRIM_400000_NS6detail17trampoline_kernelINS0_13select_configILj256ELj13ELNS0_17block_load_methodE3ELS4_3ELS4_3ELNS0_20block_scan_algorithmE0ELj4294967295EEENS1_25partition_config_selectorILNS1_17partition_subalgoE4EjNS0_10empty_typeEbEEZZNS1_14partition_implILS8_4ELb0ES6_15HIP_vector_typeIjLj2EENS0_17counting_iteratorIjlEEPS9_SG_NS0_5tupleIJPjSI_NS0_16reverse_iteratorISI_EEEEENSH_IJSG_SG_SG_EEES9_SI_JZNS1_25segmented_radix_sort_implINS0_14default_configELb0EPKiPiPKlPlN2at6native12_GLOBAL__N_18offset_tEEE10hipError_tPvRmT1_PNSt15iterator_traitsIS12_E10value_typeET2_T3_PNS13_IS18_E10value_typeET4_jRbjT5_S1E_jjP12ihipStream_tbEUljE_ZNSN_ISO_Lb0ESQ_SR_ST_SU_SY_EESZ_S10_S11_S12_S16_S17_S18_S1B_S1C_jS1D_jS1E_S1E_jjS1G_bEUljE0_EEESZ_S10_S11_S18_S1C_S1E_T6_T7_T9_mT8_S1G_bDpT10_ENKUlT_T0_E_clISt17integral_constantIbLb0EES1U_EEDaS1P_S1Q_EUlS1P_E_NS1_11comp_targetILNS1_3genE4ELNS1_11target_archE910ELNS1_3gpuE8ELNS1_3repE0EEENS1_30default_config_static_selectorELNS0_4arch9wavefront6targetE0EEEvS12_,"axG",@progbits,_ZN7rocprim17ROCPRIM_400000_NS6detail17trampoline_kernelINS0_13select_configILj256ELj13ELNS0_17block_load_methodE3ELS4_3ELS4_3ELNS0_20block_scan_algorithmE0ELj4294967295EEENS1_25partition_config_selectorILNS1_17partition_subalgoE4EjNS0_10empty_typeEbEEZZNS1_14partition_implILS8_4ELb0ES6_15HIP_vector_typeIjLj2EENS0_17counting_iteratorIjlEEPS9_SG_NS0_5tupleIJPjSI_NS0_16reverse_iteratorISI_EEEEENSH_IJSG_SG_SG_EEES9_SI_JZNS1_25segmented_radix_sort_implINS0_14default_configELb0EPKiPiPKlPlN2at6native12_GLOBAL__N_18offset_tEEE10hipError_tPvRmT1_PNSt15iterator_traitsIS12_E10value_typeET2_T3_PNS13_IS18_E10value_typeET4_jRbjT5_S1E_jjP12ihipStream_tbEUljE_ZNSN_ISO_Lb0ESQ_SR_ST_SU_SY_EESZ_S10_S11_S12_S16_S17_S18_S1B_S1C_jS1D_jS1E_S1E_jjS1G_bEUljE0_EEESZ_S10_S11_S18_S1C_S1E_T6_T7_T9_mT8_S1G_bDpT10_ENKUlT_T0_E_clISt17integral_constantIbLb0EES1U_EEDaS1P_S1Q_EUlS1P_E_NS1_11comp_targetILNS1_3genE4ELNS1_11target_archE910ELNS1_3gpuE8ELNS1_3repE0EEENS1_30default_config_static_selectorELNS0_4arch9wavefront6targetE0EEEvS12_,comdat
	.globl	_ZN7rocprim17ROCPRIM_400000_NS6detail17trampoline_kernelINS0_13select_configILj256ELj13ELNS0_17block_load_methodE3ELS4_3ELS4_3ELNS0_20block_scan_algorithmE0ELj4294967295EEENS1_25partition_config_selectorILNS1_17partition_subalgoE4EjNS0_10empty_typeEbEEZZNS1_14partition_implILS8_4ELb0ES6_15HIP_vector_typeIjLj2EENS0_17counting_iteratorIjlEEPS9_SG_NS0_5tupleIJPjSI_NS0_16reverse_iteratorISI_EEEEENSH_IJSG_SG_SG_EEES9_SI_JZNS1_25segmented_radix_sort_implINS0_14default_configELb0EPKiPiPKlPlN2at6native12_GLOBAL__N_18offset_tEEE10hipError_tPvRmT1_PNSt15iterator_traitsIS12_E10value_typeET2_T3_PNS13_IS18_E10value_typeET4_jRbjT5_S1E_jjP12ihipStream_tbEUljE_ZNSN_ISO_Lb0ESQ_SR_ST_SU_SY_EESZ_S10_S11_S12_S16_S17_S18_S1B_S1C_jS1D_jS1E_S1E_jjS1G_bEUljE0_EEESZ_S10_S11_S18_S1C_S1E_T6_T7_T9_mT8_S1G_bDpT10_ENKUlT_T0_E_clISt17integral_constantIbLb0EES1U_EEDaS1P_S1Q_EUlS1P_E_NS1_11comp_targetILNS1_3genE4ELNS1_11target_archE910ELNS1_3gpuE8ELNS1_3repE0EEENS1_30default_config_static_selectorELNS0_4arch9wavefront6targetE0EEEvS12_ ; -- Begin function _ZN7rocprim17ROCPRIM_400000_NS6detail17trampoline_kernelINS0_13select_configILj256ELj13ELNS0_17block_load_methodE3ELS4_3ELS4_3ELNS0_20block_scan_algorithmE0ELj4294967295EEENS1_25partition_config_selectorILNS1_17partition_subalgoE4EjNS0_10empty_typeEbEEZZNS1_14partition_implILS8_4ELb0ES6_15HIP_vector_typeIjLj2EENS0_17counting_iteratorIjlEEPS9_SG_NS0_5tupleIJPjSI_NS0_16reverse_iteratorISI_EEEEENSH_IJSG_SG_SG_EEES9_SI_JZNS1_25segmented_radix_sort_implINS0_14default_configELb0EPKiPiPKlPlN2at6native12_GLOBAL__N_18offset_tEEE10hipError_tPvRmT1_PNSt15iterator_traitsIS12_E10value_typeET2_T3_PNS13_IS18_E10value_typeET4_jRbjT5_S1E_jjP12ihipStream_tbEUljE_ZNSN_ISO_Lb0ESQ_SR_ST_SU_SY_EESZ_S10_S11_S12_S16_S17_S18_S1B_S1C_jS1D_jS1E_S1E_jjS1G_bEUljE0_EEESZ_S10_S11_S18_S1C_S1E_T6_T7_T9_mT8_S1G_bDpT10_ENKUlT_T0_E_clISt17integral_constantIbLb0EES1U_EEDaS1P_S1Q_EUlS1P_E_NS1_11comp_targetILNS1_3genE4ELNS1_11target_archE910ELNS1_3gpuE8ELNS1_3repE0EEENS1_30default_config_static_selectorELNS0_4arch9wavefront6targetE0EEEvS12_
	.p2align	8
	.type	_ZN7rocprim17ROCPRIM_400000_NS6detail17trampoline_kernelINS0_13select_configILj256ELj13ELNS0_17block_load_methodE3ELS4_3ELS4_3ELNS0_20block_scan_algorithmE0ELj4294967295EEENS1_25partition_config_selectorILNS1_17partition_subalgoE4EjNS0_10empty_typeEbEEZZNS1_14partition_implILS8_4ELb0ES6_15HIP_vector_typeIjLj2EENS0_17counting_iteratorIjlEEPS9_SG_NS0_5tupleIJPjSI_NS0_16reverse_iteratorISI_EEEEENSH_IJSG_SG_SG_EEES9_SI_JZNS1_25segmented_radix_sort_implINS0_14default_configELb0EPKiPiPKlPlN2at6native12_GLOBAL__N_18offset_tEEE10hipError_tPvRmT1_PNSt15iterator_traitsIS12_E10value_typeET2_T3_PNS13_IS18_E10value_typeET4_jRbjT5_S1E_jjP12ihipStream_tbEUljE_ZNSN_ISO_Lb0ESQ_SR_ST_SU_SY_EESZ_S10_S11_S12_S16_S17_S18_S1B_S1C_jS1D_jS1E_S1E_jjS1G_bEUljE0_EEESZ_S10_S11_S18_S1C_S1E_T6_T7_T9_mT8_S1G_bDpT10_ENKUlT_T0_E_clISt17integral_constantIbLb0EES1U_EEDaS1P_S1Q_EUlS1P_E_NS1_11comp_targetILNS1_3genE4ELNS1_11target_archE910ELNS1_3gpuE8ELNS1_3repE0EEENS1_30default_config_static_selectorELNS0_4arch9wavefront6targetE0EEEvS12_,@function
_ZN7rocprim17ROCPRIM_400000_NS6detail17trampoline_kernelINS0_13select_configILj256ELj13ELNS0_17block_load_methodE3ELS4_3ELS4_3ELNS0_20block_scan_algorithmE0ELj4294967295EEENS1_25partition_config_selectorILNS1_17partition_subalgoE4EjNS0_10empty_typeEbEEZZNS1_14partition_implILS8_4ELb0ES6_15HIP_vector_typeIjLj2EENS0_17counting_iteratorIjlEEPS9_SG_NS0_5tupleIJPjSI_NS0_16reverse_iteratorISI_EEEEENSH_IJSG_SG_SG_EEES9_SI_JZNS1_25segmented_radix_sort_implINS0_14default_configELb0EPKiPiPKlPlN2at6native12_GLOBAL__N_18offset_tEEE10hipError_tPvRmT1_PNSt15iterator_traitsIS12_E10value_typeET2_T3_PNS13_IS18_E10value_typeET4_jRbjT5_S1E_jjP12ihipStream_tbEUljE_ZNSN_ISO_Lb0ESQ_SR_ST_SU_SY_EESZ_S10_S11_S12_S16_S17_S18_S1B_S1C_jS1D_jS1E_S1E_jjS1G_bEUljE0_EEESZ_S10_S11_S18_S1C_S1E_T6_T7_T9_mT8_S1G_bDpT10_ENKUlT_T0_E_clISt17integral_constantIbLb0EES1U_EEDaS1P_S1Q_EUlS1P_E_NS1_11comp_targetILNS1_3genE4ELNS1_11target_archE910ELNS1_3gpuE8ELNS1_3repE0EEENS1_30default_config_static_selectorELNS0_4arch9wavefront6targetE0EEEvS12_: ; @_ZN7rocprim17ROCPRIM_400000_NS6detail17trampoline_kernelINS0_13select_configILj256ELj13ELNS0_17block_load_methodE3ELS4_3ELS4_3ELNS0_20block_scan_algorithmE0ELj4294967295EEENS1_25partition_config_selectorILNS1_17partition_subalgoE4EjNS0_10empty_typeEbEEZZNS1_14partition_implILS8_4ELb0ES6_15HIP_vector_typeIjLj2EENS0_17counting_iteratorIjlEEPS9_SG_NS0_5tupleIJPjSI_NS0_16reverse_iteratorISI_EEEEENSH_IJSG_SG_SG_EEES9_SI_JZNS1_25segmented_radix_sort_implINS0_14default_configELb0EPKiPiPKlPlN2at6native12_GLOBAL__N_18offset_tEEE10hipError_tPvRmT1_PNSt15iterator_traitsIS12_E10value_typeET2_T3_PNS13_IS18_E10value_typeET4_jRbjT5_S1E_jjP12ihipStream_tbEUljE_ZNSN_ISO_Lb0ESQ_SR_ST_SU_SY_EESZ_S10_S11_S12_S16_S17_S18_S1B_S1C_jS1D_jS1E_S1E_jjS1G_bEUljE0_EEESZ_S10_S11_S18_S1C_S1E_T6_T7_T9_mT8_S1G_bDpT10_ENKUlT_T0_E_clISt17integral_constantIbLb0EES1U_EEDaS1P_S1Q_EUlS1P_E_NS1_11comp_targetILNS1_3genE4ELNS1_11target_archE910ELNS1_3gpuE8ELNS1_3repE0EEENS1_30default_config_static_selectorELNS0_4arch9wavefront6targetE0EEEvS12_
; %bb.0:
	.section	.rodata,"a",@progbits
	.p2align	6, 0x0
	.amdhsa_kernel _ZN7rocprim17ROCPRIM_400000_NS6detail17trampoline_kernelINS0_13select_configILj256ELj13ELNS0_17block_load_methodE3ELS4_3ELS4_3ELNS0_20block_scan_algorithmE0ELj4294967295EEENS1_25partition_config_selectorILNS1_17partition_subalgoE4EjNS0_10empty_typeEbEEZZNS1_14partition_implILS8_4ELb0ES6_15HIP_vector_typeIjLj2EENS0_17counting_iteratorIjlEEPS9_SG_NS0_5tupleIJPjSI_NS0_16reverse_iteratorISI_EEEEENSH_IJSG_SG_SG_EEES9_SI_JZNS1_25segmented_radix_sort_implINS0_14default_configELb0EPKiPiPKlPlN2at6native12_GLOBAL__N_18offset_tEEE10hipError_tPvRmT1_PNSt15iterator_traitsIS12_E10value_typeET2_T3_PNS13_IS18_E10value_typeET4_jRbjT5_S1E_jjP12ihipStream_tbEUljE_ZNSN_ISO_Lb0ESQ_SR_ST_SU_SY_EESZ_S10_S11_S12_S16_S17_S18_S1B_S1C_jS1D_jS1E_S1E_jjS1G_bEUljE0_EEESZ_S10_S11_S18_S1C_S1E_T6_T7_T9_mT8_S1G_bDpT10_ENKUlT_T0_E_clISt17integral_constantIbLb0EES1U_EEDaS1P_S1Q_EUlS1P_E_NS1_11comp_targetILNS1_3genE4ELNS1_11target_archE910ELNS1_3gpuE8ELNS1_3repE0EEENS1_30default_config_static_selectorELNS0_4arch9wavefront6targetE0EEEvS12_
		.amdhsa_group_segment_fixed_size 0
		.amdhsa_private_segment_fixed_size 0
		.amdhsa_kernarg_size 176
		.amdhsa_user_sgpr_count 2
		.amdhsa_user_sgpr_dispatch_ptr 0
		.amdhsa_user_sgpr_queue_ptr 0
		.amdhsa_user_sgpr_kernarg_segment_ptr 1
		.amdhsa_user_sgpr_dispatch_id 0
		.amdhsa_user_sgpr_private_segment_size 0
		.amdhsa_wavefront_size32 1
		.amdhsa_uses_dynamic_stack 0
		.amdhsa_enable_private_segment 0
		.amdhsa_system_sgpr_workgroup_id_x 1
		.amdhsa_system_sgpr_workgroup_id_y 0
		.amdhsa_system_sgpr_workgroup_id_z 0
		.amdhsa_system_sgpr_workgroup_info 0
		.amdhsa_system_vgpr_workitem_id 0
		.amdhsa_next_free_vgpr 1
		.amdhsa_next_free_sgpr 1
		.amdhsa_reserve_vcc 0
		.amdhsa_float_round_mode_32 0
		.amdhsa_float_round_mode_16_64 0
		.amdhsa_float_denorm_mode_32 3
		.amdhsa_float_denorm_mode_16_64 3
		.amdhsa_fp16_overflow 0
		.amdhsa_workgroup_processor_mode 1
		.amdhsa_memory_ordered 1
		.amdhsa_forward_progress 1
		.amdhsa_inst_pref_size 0
		.amdhsa_round_robin_scheduling 0
		.amdhsa_exception_fp_ieee_invalid_op 0
		.amdhsa_exception_fp_denorm_src 0
		.amdhsa_exception_fp_ieee_div_zero 0
		.amdhsa_exception_fp_ieee_overflow 0
		.amdhsa_exception_fp_ieee_underflow 0
		.amdhsa_exception_fp_ieee_inexact 0
		.amdhsa_exception_int_div_zero 0
	.end_amdhsa_kernel
	.section	.text._ZN7rocprim17ROCPRIM_400000_NS6detail17trampoline_kernelINS0_13select_configILj256ELj13ELNS0_17block_load_methodE3ELS4_3ELS4_3ELNS0_20block_scan_algorithmE0ELj4294967295EEENS1_25partition_config_selectorILNS1_17partition_subalgoE4EjNS0_10empty_typeEbEEZZNS1_14partition_implILS8_4ELb0ES6_15HIP_vector_typeIjLj2EENS0_17counting_iteratorIjlEEPS9_SG_NS0_5tupleIJPjSI_NS0_16reverse_iteratorISI_EEEEENSH_IJSG_SG_SG_EEES9_SI_JZNS1_25segmented_radix_sort_implINS0_14default_configELb0EPKiPiPKlPlN2at6native12_GLOBAL__N_18offset_tEEE10hipError_tPvRmT1_PNSt15iterator_traitsIS12_E10value_typeET2_T3_PNS13_IS18_E10value_typeET4_jRbjT5_S1E_jjP12ihipStream_tbEUljE_ZNSN_ISO_Lb0ESQ_SR_ST_SU_SY_EESZ_S10_S11_S12_S16_S17_S18_S1B_S1C_jS1D_jS1E_S1E_jjS1G_bEUljE0_EEESZ_S10_S11_S18_S1C_S1E_T6_T7_T9_mT8_S1G_bDpT10_ENKUlT_T0_E_clISt17integral_constantIbLb0EES1U_EEDaS1P_S1Q_EUlS1P_E_NS1_11comp_targetILNS1_3genE4ELNS1_11target_archE910ELNS1_3gpuE8ELNS1_3repE0EEENS1_30default_config_static_selectorELNS0_4arch9wavefront6targetE0EEEvS12_,"axG",@progbits,_ZN7rocprim17ROCPRIM_400000_NS6detail17trampoline_kernelINS0_13select_configILj256ELj13ELNS0_17block_load_methodE3ELS4_3ELS4_3ELNS0_20block_scan_algorithmE0ELj4294967295EEENS1_25partition_config_selectorILNS1_17partition_subalgoE4EjNS0_10empty_typeEbEEZZNS1_14partition_implILS8_4ELb0ES6_15HIP_vector_typeIjLj2EENS0_17counting_iteratorIjlEEPS9_SG_NS0_5tupleIJPjSI_NS0_16reverse_iteratorISI_EEEEENSH_IJSG_SG_SG_EEES9_SI_JZNS1_25segmented_radix_sort_implINS0_14default_configELb0EPKiPiPKlPlN2at6native12_GLOBAL__N_18offset_tEEE10hipError_tPvRmT1_PNSt15iterator_traitsIS12_E10value_typeET2_T3_PNS13_IS18_E10value_typeET4_jRbjT5_S1E_jjP12ihipStream_tbEUljE_ZNSN_ISO_Lb0ESQ_SR_ST_SU_SY_EESZ_S10_S11_S12_S16_S17_S18_S1B_S1C_jS1D_jS1E_S1E_jjS1G_bEUljE0_EEESZ_S10_S11_S18_S1C_S1E_T6_T7_T9_mT8_S1G_bDpT10_ENKUlT_T0_E_clISt17integral_constantIbLb0EES1U_EEDaS1P_S1Q_EUlS1P_E_NS1_11comp_targetILNS1_3genE4ELNS1_11target_archE910ELNS1_3gpuE8ELNS1_3repE0EEENS1_30default_config_static_selectorELNS0_4arch9wavefront6targetE0EEEvS12_,comdat
.Lfunc_end538:
	.size	_ZN7rocprim17ROCPRIM_400000_NS6detail17trampoline_kernelINS0_13select_configILj256ELj13ELNS0_17block_load_methodE3ELS4_3ELS4_3ELNS0_20block_scan_algorithmE0ELj4294967295EEENS1_25partition_config_selectorILNS1_17partition_subalgoE4EjNS0_10empty_typeEbEEZZNS1_14partition_implILS8_4ELb0ES6_15HIP_vector_typeIjLj2EENS0_17counting_iteratorIjlEEPS9_SG_NS0_5tupleIJPjSI_NS0_16reverse_iteratorISI_EEEEENSH_IJSG_SG_SG_EEES9_SI_JZNS1_25segmented_radix_sort_implINS0_14default_configELb0EPKiPiPKlPlN2at6native12_GLOBAL__N_18offset_tEEE10hipError_tPvRmT1_PNSt15iterator_traitsIS12_E10value_typeET2_T3_PNS13_IS18_E10value_typeET4_jRbjT5_S1E_jjP12ihipStream_tbEUljE_ZNSN_ISO_Lb0ESQ_SR_ST_SU_SY_EESZ_S10_S11_S12_S16_S17_S18_S1B_S1C_jS1D_jS1E_S1E_jjS1G_bEUljE0_EEESZ_S10_S11_S18_S1C_S1E_T6_T7_T9_mT8_S1G_bDpT10_ENKUlT_T0_E_clISt17integral_constantIbLb0EES1U_EEDaS1P_S1Q_EUlS1P_E_NS1_11comp_targetILNS1_3genE4ELNS1_11target_archE910ELNS1_3gpuE8ELNS1_3repE0EEENS1_30default_config_static_selectorELNS0_4arch9wavefront6targetE0EEEvS12_, .Lfunc_end538-_ZN7rocprim17ROCPRIM_400000_NS6detail17trampoline_kernelINS0_13select_configILj256ELj13ELNS0_17block_load_methodE3ELS4_3ELS4_3ELNS0_20block_scan_algorithmE0ELj4294967295EEENS1_25partition_config_selectorILNS1_17partition_subalgoE4EjNS0_10empty_typeEbEEZZNS1_14partition_implILS8_4ELb0ES6_15HIP_vector_typeIjLj2EENS0_17counting_iteratorIjlEEPS9_SG_NS0_5tupleIJPjSI_NS0_16reverse_iteratorISI_EEEEENSH_IJSG_SG_SG_EEES9_SI_JZNS1_25segmented_radix_sort_implINS0_14default_configELb0EPKiPiPKlPlN2at6native12_GLOBAL__N_18offset_tEEE10hipError_tPvRmT1_PNSt15iterator_traitsIS12_E10value_typeET2_T3_PNS13_IS18_E10value_typeET4_jRbjT5_S1E_jjP12ihipStream_tbEUljE_ZNSN_ISO_Lb0ESQ_SR_ST_SU_SY_EESZ_S10_S11_S12_S16_S17_S18_S1B_S1C_jS1D_jS1E_S1E_jjS1G_bEUljE0_EEESZ_S10_S11_S18_S1C_S1E_T6_T7_T9_mT8_S1G_bDpT10_ENKUlT_T0_E_clISt17integral_constantIbLb0EES1U_EEDaS1P_S1Q_EUlS1P_E_NS1_11comp_targetILNS1_3genE4ELNS1_11target_archE910ELNS1_3gpuE8ELNS1_3repE0EEENS1_30default_config_static_selectorELNS0_4arch9wavefront6targetE0EEEvS12_
                                        ; -- End function
	.set _ZN7rocprim17ROCPRIM_400000_NS6detail17trampoline_kernelINS0_13select_configILj256ELj13ELNS0_17block_load_methodE3ELS4_3ELS4_3ELNS0_20block_scan_algorithmE0ELj4294967295EEENS1_25partition_config_selectorILNS1_17partition_subalgoE4EjNS0_10empty_typeEbEEZZNS1_14partition_implILS8_4ELb0ES6_15HIP_vector_typeIjLj2EENS0_17counting_iteratorIjlEEPS9_SG_NS0_5tupleIJPjSI_NS0_16reverse_iteratorISI_EEEEENSH_IJSG_SG_SG_EEES9_SI_JZNS1_25segmented_radix_sort_implINS0_14default_configELb0EPKiPiPKlPlN2at6native12_GLOBAL__N_18offset_tEEE10hipError_tPvRmT1_PNSt15iterator_traitsIS12_E10value_typeET2_T3_PNS13_IS18_E10value_typeET4_jRbjT5_S1E_jjP12ihipStream_tbEUljE_ZNSN_ISO_Lb0ESQ_SR_ST_SU_SY_EESZ_S10_S11_S12_S16_S17_S18_S1B_S1C_jS1D_jS1E_S1E_jjS1G_bEUljE0_EEESZ_S10_S11_S18_S1C_S1E_T6_T7_T9_mT8_S1G_bDpT10_ENKUlT_T0_E_clISt17integral_constantIbLb0EES1U_EEDaS1P_S1Q_EUlS1P_E_NS1_11comp_targetILNS1_3genE4ELNS1_11target_archE910ELNS1_3gpuE8ELNS1_3repE0EEENS1_30default_config_static_selectorELNS0_4arch9wavefront6targetE0EEEvS12_.num_vgpr, 0
	.set _ZN7rocprim17ROCPRIM_400000_NS6detail17trampoline_kernelINS0_13select_configILj256ELj13ELNS0_17block_load_methodE3ELS4_3ELS4_3ELNS0_20block_scan_algorithmE0ELj4294967295EEENS1_25partition_config_selectorILNS1_17partition_subalgoE4EjNS0_10empty_typeEbEEZZNS1_14partition_implILS8_4ELb0ES6_15HIP_vector_typeIjLj2EENS0_17counting_iteratorIjlEEPS9_SG_NS0_5tupleIJPjSI_NS0_16reverse_iteratorISI_EEEEENSH_IJSG_SG_SG_EEES9_SI_JZNS1_25segmented_radix_sort_implINS0_14default_configELb0EPKiPiPKlPlN2at6native12_GLOBAL__N_18offset_tEEE10hipError_tPvRmT1_PNSt15iterator_traitsIS12_E10value_typeET2_T3_PNS13_IS18_E10value_typeET4_jRbjT5_S1E_jjP12ihipStream_tbEUljE_ZNSN_ISO_Lb0ESQ_SR_ST_SU_SY_EESZ_S10_S11_S12_S16_S17_S18_S1B_S1C_jS1D_jS1E_S1E_jjS1G_bEUljE0_EEESZ_S10_S11_S18_S1C_S1E_T6_T7_T9_mT8_S1G_bDpT10_ENKUlT_T0_E_clISt17integral_constantIbLb0EES1U_EEDaS1P_S1Q_EUlS1P_E_NS1_11comp_targetILNS1_3genE4ELNS1_11target_archE910ELNS1_3gpuE8ELNS1_3repE0EEENS1_30default_config_static_selectorELNS0_4arch9wavefront6targetE0EEEvS12_.num_agpr, 0
	.set _ZN7rocprim17ROCPRIM_400000_NS6detail17trampoline_kernelINS0_13select_configILj256ELj13ELNS0_17block_load_methodE3ELS4_3ELS4_3ELNS0_20block_scan_algorithmE0ELj4294967295EEENS1_25partition_config_selectorILNS1_17partition_subalgoE4EjNS0_10empty_typeEbEEZZNS1_14partition_implILS8_4ELb0ES6_15HIP_vector_typeIjLj2EENS0_17counting_iteratorIjlEEPS9_SG_NS0_5tupleIJPjSI_NS0_16reverse_iteratorISI_EEEEENSH_IJSG_SG_SG_EEES9_SI_JZNS1_25segmented_radix_sort_implINS0_14default_configELb0EPKiPiPKlPlN2at6native12_GLOBAL__N_18offset_tEEE10hipError_tPvRmT1_PNSt15iterator_traitsIS12_E10value_typeET2_T3_PNS13_IS18_E10value_typeET4_jRbjT5_S1E_jjP12ihipStream_tbEUljE_ZNSN_ISO_Lb0ESQ_SR_ST_SU_SY_EESZ_S10_S11_S12_S16_S17_S18_S1B_S1C_jS1D_jS1E_S1E_jjS1G_bEUljE0_EEESZ_S10_S11_S18_S1C_S1E_T6_T7_T9_mT8_S1G_bDpT10_ENKUlT_T0_E_clISt17integral_constantIbLb0EES1U_EEDaS1P_S1Q_EUlS1P_E_NS1_11comp_targetILNS1_3genE4ELNS1_11target_archE910ELNS1_3gpuE8ELNS1_3repE0EEENS1_30default_config_static_selectorELNS0_4arch9wavefront6targetE0EEEvS12_.numbered_sgpr, 0
	.set _ZN7rocprim17ROCPRIM_400000_NS6detail17trampoline_kernelINS0_13select_configILj256ELj13ELNS0_17block_load_methodE3ELS4_3ELS4_3ELNS0_20block_scan_algorithmE0ELj4294967295EEENS1_25partition_config_selectorILNS1_17partition_subalgoE4EjNS0_10empty_typeEbEEZZNS1_14partition_implILS8_4ELb0ES6_15HIP_vector_typeIjLj2EENS0_17counting_iteratorIjlEEPS9_SG_NS0_5tupleIJPjSI_NS0_16reverse_iteratorISI_EEEEENSH_IJSG_SG_SG_EEES9_SI_JZNS1_25segmented_radix_sort_implINS0_14default_configELb0EPKiPiPKlPlN2at6native12_GLOBAL__N_18offset_tEEE10hipError_tPvRmT1_PNSt15iterator_traitsIS12_E10value_typeET2_T3_PNS13_IS18_E10value_typeET4_jRbjT5_S1E_jjP12ihipStream_tbEUljE_ZNSN_ISO_Lb0ESQ_SR_ST_SU_SY_EESZ_S10_S11_S12_S16_S17_S18_S1B_S1C_jS1D_jS1E_S1E_jjS1G_bEUljE0_EEESZ_S10_S11_S18_S1C_S1E_T6_T7_T9_mT8_S1G_bDpT10_ENKUlT_T0_E_clISt17integral_constantIbLb0EES1U_EEDaS1P_S1Q_EUlS1P_E_NS1_11comp_targetILNS1_3genE4ELNS1_11target_archE910ELNS1_3gpuE8ELNS1_3repE0EEENS1_30default_config_static_selectorELNS0_4arch9wavefront6targetE0EEEvS12_.num_named_barrier, 0
	.set _ZN7rocprim17ROCPRIM_400000_NS6detail17trampoline_kernelINS0_13select_configILj256ELj13ELNS0_17block_load_methodE3ELS4_3ELS4_3ELNS0_20block_scan_algorithmE0ELj4294967295EEENS1_25partition_config_selectorILNS1_17partition_subalgoE4EjNS0_10empty_typeEbEEZZNS1_14partition_implILS8_4ELb0ES6_15HIP_vector_typeIjLj2EENS0_17counting_iteratorIjlEEPS9_SG_NS0_5tupleIJPjSI_NS0_16reverse_iteratorISI_EEEEENSH_IJSG_SG_SG_EEES9_SI_JZNS1_25segmented_radix_sort_implINS0_14default_configELb0EPKiPiPKlPlN2at6native12_GLOBAL__N_18offset_tEEE10hipError_tPvRmT1_PNSt15iterator_traitsIS12_E10value_typeET2_T3_PNS13_IS18_E10value_typeET4_jRbjT5_S1E_jjP12ihipStream_tbEUljE_ZNSN_ISO_Lb0ESQ_SR_ST_SU_SY_EESZ_S10_S11_S12_S16_S17_S18_S1B_S1C_jS1D_jS1E_S1E_jjS1G_bEUljE0_EEESZ_S10_S11_S18_S1C_S1E_T6_T7_T9_mT8_S1G_bDpT10_ENKUlT_T0_E_clISt17integral_constantIbLb0EES1U_EEDaS1P_S1Q_EUlS1P_E_NS1_11comp_targetILNS1_3genE4ELNS1_11target_archE910ELNS1_3gpuE8ELNS1_3repE0EEENS1_30default_config_static_selectorELNS0_4arch9wavefront6targetE0EEEvS12_.private_seg_size, 0
	.set _ZN7rocprim17ROCPRIM_400000_NS6detail17trampoline_kernelINS0_13select_configILj256ELj13ELNS0_17block_load_methodE3ELS4_3ELS4_3ELNS0_20block_scan_algorithmE0ELj4294967295EEENS1_25partition_config_selectorILNS1_17partition_subalgoE4EjNS0_10empty_typeEbEEZZNS1_14partition_implILS8_4ELb0ES6_15HIP_vector_typeIjLj2EENS0_17counting_iteratorIjlEEPS9_SG_NS0_5tupleIJPjSI_NS0_16reverse_iteratorISI_EEEEENSH_IJSG_SG_SG_EEES9_SI_JZNS1_25segmented_radix_sort_implINS0_14default_configELb0EPKiPiPKlPlN2at6native12_GLOBAL__N_18offset_tEEE10hipError_tPvRmT1_PNSt15iterator_traitsIS12_E10value_typeET2_T3_PNS13_IS18_E10value_typeET4_jRbjT5_S1E_jjP12ihipStream_tbEUljE_ZNSN_ISO_Lb0ESQ_SR_ST_SU_SY_EESZ_S10_S11_S12_S16_S17_S18_S1B_S1C_jS1D_jS1E_S1E_jjS1G_bEUljE0_EEESZ_S10_S11_S18_S1C_S1E_T6_T7_T9_mT8_S1G_bDpT10_ENKUlT_T0_E_clISt17integral_constantIbLb0EES1U_EEDaS1P_S1Q_EUlS1P_E_NS1_11comp_targetILNS1_3genE4ELNS1_11target_archE910ELNS1_3gpuE8ELNS1_3repE0EEENS1_30default_config_static_selectorELNS0_4arch9wavefront6targetE0EEEvS12_.uses_vcc, 0
	.set _ZN7rocprim17ROCPRIM_400000_NS6detail17trampoline_kernelINS0_13select_configILj256ELj13ELNS0_17block_load_methodE3ELS4_3ELS4_3ELNS0_20block_scan_algorithmE0ELj4294967295EEENS1_25partition_config_selectorILNS1_17partition_subalgoE4EjNS0_10empty_typeEbEEZZNS1_14partition_implILS8_4ELb0ES6_15HIP_vector_typeIjLj2EENS0_17counting_iteratorIjlEEPS9_SG_NS0_5tupleIJPjSI_NS0_16reverse_iteratorISI_EEEEENSH_IJSG_SG_SG_EEES9_SI_JZNS1_25segmented_radix_sort_implINS0_14default_configELb0EPKiPiPKlPlN2at6native12_GLOBAL__N_18offset_tEEE10hipError_tPvRmT1_PNSt15iterator_traitsIS12_E10value_typeET2_T3_PNS13_IS18_E10value_typeET4_jRbjT5_S1E_jjP12ihipStream_tbEUljE_ZNSN_ISO_Lb0ESQ_SR_ST_SU_SY_EESZ_S10_S11_S12_S16_S17_S18_S1B_S1C_jS1D_jS1E_S1E_jjS1G_bEUljE0_EEESZ_S10_S11_S18_S1C_S1E_T6_T7_T9_mT8_S1G_bDpT10_ENKUlT_T0_E_clISt17integral_constantIbLb0EES1U_EEDaS1P_S1Q_EUlS1P_E_NS1_11comp_targetILNS1_3genE4ELNS1_11target_archE910ELNS1_3gpuE8ELNS1_3repE0EEENS1_30default_config_static_selectorELNS0_4arch9wavefront6targetE0EEEvS12_.uses_flat_scratch, 0
	.set _ZN7rocprim17ROCPRIM_400000_NS6detail17trampoline_kernelINS0_13select_configILj256ELj13ELNS0_17block_load_methodE3ELS4_3ELS4_3ELNS0_20block_scan_algorithmE0ELj4294967295EEENS1_25partition_config_selectorILNS1_17partition_subalgoE4EjNS0_10empty_typeEbEEZZNS1_14partition_implILS8_4ELb0ES6_15HIP_vector_typeIjLj2EENS0_17counting_iteratorIjlEEPS9_SG_NS0_5tupleIJPjSI_NS0_16reverse_iteratorISI_EEEEENSH_IJSG_SG_SG_EEES9_SI_JZNS1_25segmented_radix_sort_implINS0_14default_configELb0EPKiPiPKlPlN2at6native12_GLOBAL__N_18offset_tEEE10hipError_tPvRmT1_PNSt15iterator_traitsIS12_E10value_typeET2_T3_PNS13_IS18_E10value_typeET4_jRbjT5_S1E_jjP12ihipStream_tbEUljE_ZNSN_ISO_Lb0ESQ_SR_ST_SU_SY_EESZ_S10_S11_S12_S16_S17_S18_S1B_S1C_jS1D_jS1E_S1E_jjS1G_bEUljE0_EEESZ_S10_S11_S18_S1C_S1E_T6_T7_T9_mT8_S1G_bDpT10_ENKUlT_T0_E_clISt17integral_constantIbLb0EES1U_EEDaS1P_S1Q_EUlS1P_E_NS1_11comp_targetILNS1_3genE4ELNS1_11target_archE910ELNS1_3gpuE8ELNS1_3repE0EEENS1_30default_config_static_selectorELNS0_4arch9wavefront6targetE0EEEvS12_.has_dyn_sized_stack, 0
	.set _ZN7rocprim17ROCPRIM_400000_NS6detail17trampoline_kernelINS0_13select_configILj256ELj13ELNS0_17block_load_methodE3ELS4_3ELS4_3ELNS0_20block_scan_algorithmE0ELj4294967295EEENS1_25partition_config_selectorILNS1_17partition_subalgoE4EjNS0_10empty_typeEbEEZZNS1_14partition_implILS8_4ELb0ES6_15HIP_vector_typeIjLj2EENS0_17counting_iteratorIjlEEPS9_SG_NS0_5tupleIJPjSI_NS0_16reverse_iteratorISI_EEEEENSH_IJSG_SG_SG_EEES9_SI_JZNS1_25segmented_radix_sort_implINS0_14default_configELb0EPKiPiPKlPlN2at6native12_GLOBAL__N_18offset_tEEE10hipError_tPvRmT1_PNSt15iterator_traitsIS12_E10value_typeET2_T3_PNS13_IS18_E10value_typeET4_jRbjT5_S1E_jjP12ihipStream_tbEUljE_ZNSN_ISO_Lb0ESQ_SR_ST_SU_SY_EESZ_S10_S11_S12_S16_S17_S18_S1B_S1C_jS1D_jS1E_S1E_jjS1G_bEUljE0_EEESZ_S10_S11_S18_S1C_S1E_T6_T7_T9_mT8_S1G_bDpT10_ENKUlT_T0_E_clISt17integral_constantIbLb0EES1U_EEDaS1P_S1Q_EUlS1P_E_NS1_11comp_targetILNS1_3genE4ELNS1_11target_archE910ELNS1_3gpuE8ELNS1_3repE0EEENS1_30default_config_static_selectorELNS0_4arch9wavefront6targetE0EEEvS12_.has_recursion, 0
	.set _ZN7rocprim17ROCPRIM_400000_NS6detail17trampoline_kernelINS0_13select_configILj256ELj13ELNS0_17block_load_methodE3ELS4_3ELS4_3ELNS0_20block_scan_algorithmE0ELj4294967295EEENS1_25partition_config_selectorILNS1_17partition_subalgoE4EjNS0_10empty_typeEbEEZZNS1_14partition_implILS8_4ELb0ES6_15HIP_vector_typeIjLj2EENS0_17counting_iteratorIjlEEPS9_SG_NS0_5tupleIJPjSI_NS0_16reverse_iteratorISI_EEEEENSH_IJSG_SG_SG_EEES9_SI_JZNS1_25segmented_radix_sort_implINS0_14default_configELb0EPKiPiPKlPlN2at6native12_GLOBAL__N_18offset_tEEE10hipError_tPvRmT1_PNSt15iterator_traitsIS12_E10value_typeET2_T3_PNS13_IS18_E10value_typeET4_jRbjT5_S1E_jjP12ihipStream_tbEUljE_ZNSN_ISO_Lb0ESQ_SR_ST_SU_SY_EESZ_S10_S11_S12_S16_S17_S18_S1B_S1C_jS1D_jS1E_S1E_jjS1G_bEUljE0_EEESZ_S10_S11_S18_S1C_S1E_T6_T7_T9_mT8_S1G_bDpT10_ENKUlT_T0_E_clISt17integral_constantIbLb0EES1U_EEDaS1P_S1Q_EUlS1P_E_NS1_11comp_targetILNS1_3genE4ELNS1_11target_archE910ELNS1_3gpuE8ELNS1_3repE0EEENS1_30default_config_static_selectorELNS0_4arch9wavefront6targetE0EEEvS12_.has_indirect_call, 0
	.section	.AMDGPU.csdata,"",@progbits
; Kernel info:
; codeLenInByte = 0
; TotalNumSgprs: 0
; NumVgprs: 0
; ScratchSize: 0
; MemoryBound: 0
; FloatMode: 240
; IeeeMode: 1
; LDSByteSize: 0 bytes/workgroup (compile time only)
; SGPRBlocks: 0
; VGPRBlocks: 0
; NumSGPRsForWavesPerEU: 1
; NumVGPRsForWavesPerEU: 1
; Occupancy: 16
; WaveLimiterHint : 0
; COMPUTE_PGM_RSRC2:SCRATCH_EN: 0
; COMPUTE_PGM_RSRC2:USER_SGPR: 2
; COMPUTE_PGM_RSRC2:TRAP_HANDLER: 0
; COMPUTE_PGM_RSRC2:TGID_X_EN: 1
; COMPUTE_PGM_RSRC2:TGID_Y_EN: 0
; COMPUTE_PGM_RSRC2:TGID_Z_EN: 0
; COMPUTE_PGM_RSRC2:TIDIG_COMP_CNT: 0
	.section	.text._ZN7rocprim17ROCPRIM_400000_NS6detail17trampoline_kernelINS0_13select_configILj256ELj13ELNS0_17block_load_methodE3ELS4_3ELS4_3ELNS0_20block_scan_algorithmE0ELj4294967295EEENS1_25partition_config_selectorILNS1_17partition_subalgoE4EjNS0_10empty_typeEbEEZZNS1_14partition_implILS8_4ELb0ES6_15HIP_vector_typeIjLj2EENS0_17counting_iteratorIjlEEPS9_SG_NS0_5tupleIJPjSI_NS0_16reverse_iteratorISI_EEEEENSH_IJSG_SG_SG_EEES9_SI_JZNS1_25segmented_radix_sort_implINS0_14default_configELb0EPKiPiPKlPlN2at6native12_GLOBAL__N_18offset_tEEE10hipError_tPvRmT1_PNSt15iterator_traitsIS12_E10value_typeET2_T3_PNS13_IS18_E10value_typeET4_jRbjT5_S1E_jjP12ihipStream_tbEUljE_ZNSN_ISO_Lb0ESQ_SR_ST_SU_SY_EESZ_S10_S11_S12_S16_S17_S18_S1B_S1C_jS1D_jS1E_S1E_jjS1G_bEUljE0_EEESZ_S10_S11_S18_S1C_S1E_T6_T7_T9_mT8_S1G_bDpT10_ENKUlT_T0_E_clISt17integral_constantIbLb0EES1U_EEDaS1P_S1Q_EUlS1P_E_NS1_11comp_targetILNS1_3genE3ELNS1_11target_archE908ELNS1_3gpuE7ELNS1_3repE0EEENS1_30default_config_static_selectorELNS0_4arch9wavefront6targetE0EEEvS12_,"axG",@progbits,_ZN7rocprim17ROCPRIM_400000_NS6detail17trampoline_kernelINS0_13select_configILj256ELj13ELNS0_17block_load_methodE3ELS4_3ELS4_3ELNS0_20block_scan_algorithmE0ELj4294967295EEENS1_25partition_config_selectorILNS1_17partition_subalgoE4EjNS0_10empty_typeEbEEZZNS1_14partition_implILS8_4ELb0ES6_15HIP_vector_typeIjLj2EENS0_17counting_iteratorIjlEEPS9_SG_NS0_5tupleIJPjSI_NS0_16reverse_iteratorISI_EEEEENSH_IJSG_SG_SG_EEES9_SI_JZNS1_25segmented_radix_sort_implINS0_14default_configELb0EPKiPiPKlPlN2at6native12_GLOBAL__N_18offset_tEEE10hipError_tPvRmT1_PNSt15iterator_traitsIS12_E10value_typeET2_T3_PNS13_IS18_E10value_typeET4_jRbjT5_S1E_jjP12ihipStream_tbEUljE_ZNSN_ISO_Lb0ESQ_SR_ST_SU_SY_EESZ_S10_S11_S12_S16_S17_S18_S1B_S1C_jS1D_jS1E_S1E_jjS1G_bEUljE0_EEESZ_S10_S11_S18_S1C_S1E_T6_T7_T9_mT8_S1G_bDpT10_ENKUlT_T0_E_clISt17integral_constantIbLb0EES1U_EEDaS1P_S1Q_EUlS1P_E_NS1_11comp_targetILNS1_3genE3ELNS1_11target_archE908ELNS1_3gpuE7ELNS1_3repE0EEENS1_30default_config_static_selectorELNS0_4arch9wavefront6targetE0EEEvS12_,comdat
	.globl	_ZN7rocprim17ROCPRIM_400000_NS6detail17trampoline_kernelINS0_13select_configILj256ELj13ELNS0_17block_load_methodE3ELS4_3ELS4_3ELNS0_20block_scan_algorithmE0ELj4294967295EEENS1_25partition_config_selectorILNS1_17partition_subalgoE4EjNS0_10empty_typeEbEEZZNS1_14partition_implILS8_4ELb0ES6_15HIP_vector_typeIjLj2EENS0_17counting_iteratorIjlEEPS9_SG_NS0_5tupleIJPjSI_NS0_16reverse_iteratorISI_EEEEENSH_IJSG_SG_SG_EEES9_SI_JZNS1_25segmented_radix_sort_implINS0_14default_configELb0EPKiPiPKlPlN2at6native12_GLOBAL__N_18offset_tEEE10hipError_tPvRmT1_PNSt15iterator_traitsIS12_E10value_typeET2_T3_PNS13_IS18_E10value_typeET4_jRbjT5_S1E_jjP12ihipStream_tbEUljE_ZNSN_ISO_Lb0ESQ_SR_ST_SU_SY_EESZ_S10_S11_S12_S16_S17_S18_S1B_S1C_jS1D_jS1E_S1E_jjS1G_bEUljE0_EEESZ_S10_S11_S18_S1C_S1E_T6_T7_T9_mT8_S1G_bDpT10_ENKUlT_T0_E_clISt17integral_constantIbLb0EES1U_EEDaS1P_S1Q_EUlS1P_E_NS1_11comp_targetILNS1_3genE3ELNS1_11target_archE908ELNS1_3gpuE7ELNS1_3repE0EEENS1_30default_config_static_selectorELNS0_4arch9wavefront6targetE0EEEvS12_ ; -- Begin function _ZN7rocprim17ROCPRIM_400000_NS6detail17trampoline_kernelINS0_13select_configILj256ELj13ELNS0_17block_load_methodE3ELS4_3ELS4_3ELNS0_20block_scan_algorithmE0ELj4294967295EEENS1_25partition_config_selectorILNS1_17partition_subalgoE4EjNS0_10empty_typeEbEEZZNS1_14partition_implILS8_4ELb0ES6_15HIP_vector_typeIjLj2EENS0_17counting_iteratorIjlEEPS9_SG_NS0_5tupleIJPjSI_NS0_16reverse_iteratorISI_EEEEENSH_IJSG_SG_SG_EEES9_SI_JZNS1_25segmented_radix_sort_implINS0_14default_configELb0EPKiPiPKlPlN2at6native12_GLOBAL__N_18offset_tEEE10hipError_tPvRmT1_PNSt15iterator_traitsIS12_E10value_typeET2_T3_PNS13_IS18_E10value_typeET4_jRbjT5_S1E_jjP12ihipStream_tbEUljE_ZNSN_ISO_Lb0ESQ_SR_ST_SU_SY_EESZ_S10_S11_S12_S16_S17_S18_S1B_S1C_jS1D_jS1E_S1E_jjS1G_bEUljE0_EEESZ_S10_S11_S18_S1C_S1E_T6_T7_T9_mT8_S1G_bDpT10_ENKUlT_T0_E_clISt17integral_constantIbLb0EES1U_EEDaS1P_S1Q_EUlS1P_E_NS1_11comp_targetILNS1_3genE3ELNS1_11target_archE908ELNS1_3gpuE7ELNS1_3repE0EEENS1_30default_config_static_selectorELNS0_4arch9wavefront6targetE0EEEvS12_
	.p2align	8
	.type	_ZN7rocprim17ROCPRIM_400000_NS6detail17trampoline_kernelINS0_13select_configILj256ELj13ELNS0_17block_load_methodE3ELS4_3ELS4_3ELNS0_20block_scan_algorithmE0ELj4294967295EEENS1_25partition_config_selectorILNS1_17partition_subalgoE4EjNS0_10empty_typeEbEEZZNS1_14partition_implILS8_4ELb0ES6_15HIP_vector_typeIjLj2EENS0_17counting_iteratorIjlEEPS9_SG_NS0_5tupleIJPjSI_NS0_16reverse_iteratorISI_EEEEENSH_IJSG_SG_SG_EEES9_SI_JZNS1_25segmented_radix_sort_implINS0_14default_configELb0EPKiPiPKlPlN2at6native12_GLOBAL__N_18offset_tEEE10hipError_tPvRmT1_PNSt15iterator_traitsIS12_E10value_typeET2_T3_PNS13_IS18_E10value_typeET4_jRbjT5_S1E_jjP12ihipStream_tbEUljE_ZNSN_ISO_Lb0ESQ_SR_ST_SU_SY_EESZ_S10_S11_S12_S16_S17_S18_S1B_S1C_jS1D_jS1E_S1E_jjS1G_bEUljE0_EEESZ_S10_S11_S18_S1C_S1E_T6_T7_T9_mT8_S1G_bDpT10_ENKUlT_T0_E_clISt17integral_constantIbLb0EES1U_EEDaS1P_S1Q_EUlS1P_E_NS1_11comp_targetILNS1_3genE3ELNS1_11target_archE908ELNS1_3gpuE7ELNS1_3repE0EEENS1_30default_config_static_selectorELNS0_4arch9wavefront6targetE0EEEvS12_,@function
_ZN7rocprim17ROCPRIM_400000_NS6detail17trampoline_kernelINS0_13select_configILj256ELj13ELNS0_17block_load_methodE3ELS4_3ELS4_3ELNS0_20block_scan_algorithmE0ELj4294967295EEENS1_25partition_config_selectorILNS1_17partition_subalgoE4EjNS0_10empty_typeEbEEZZNS1_14partition_implILS8_4ELb0ES6_15HIP_vector_typeIjLj2EENS0_17counting_iteratorIjlEEPS9_SG_NS0_5tupleIJPjSI_NS0_16reverse_iteratorISI_EEEEENSH_IJSG_SG_SG_EEES9_SI_JZNS1_25segmented_radix_sort_implINS0_14default_configELb0EPKiPiPKlPlN2at6native12_GLOBAL__N_18offset_tEEE10hipError_tPvRmT1_PNSt15iterator_traitsIS12_E10value_typeET2_T3_PNS13_IS18_E10value_typeET4_jRbjT5_S1E_jjP12ihipStream_tbEUljE_ZNSN_ISO_Lb0ESQ_SR_ST_SU_SY_EESZ_S10_S11_S12_S16_S17_S18_S1B_S1C_jS1D_jS1E_S1E_jjS1G_bEUljE0_EEESZ_S10_S11_S18_S1C_S1E_T6_T7_T9_mT8_S1G_bDpT10_ENKUlT_T0_E_clISt17integral_constantIbLb0EES1U_EEDaS1P_S1Q_EUlS1P_E_NS1_11comp_targetILNS1_3genE3ELNS1_11target_archE908ELNS1_3gpuE7ELNS1_3repE0EEENS1_30default_config_static_selectorELNS0_4arch9wavefront6targetE0EEEvS12_: ; @_ZN7rocprim17ROCPRIM_400000_NS6detail17trampoline_kernelINS0_13select_configILj256ELj13ELNS0_17block_load_methodE3ELS4_3ELS4_3ELNS0_20block_scan_algorithmE0ELj4294967295EEENS1_25partition_config_selectorILNS1_17partition_subalgoE4EjNS0_10empty_typeEbEEZZNS1_14partition_implILS8_4ELb0ES6_15HIP_vector_typeIjLj2EENS0_17counting_iteratorIjlEEPS9_SG_NS0_5tupleIJPjSI_NS0_16reverse_iteratorISI_EEEEENSH_IJSG_SG_SG_EEES9_SI_JZNS1_25segmented_radix_sort_implINS0_14default_configELb0EPKiPiPKlPlN2at6native12_GLOBAL__N_18offset_tEEE10hipError_tPvRmT1_PNSt15iterator_traitsIS12_E10value_typeET2_T3_PNS13_IS18_E10value_typeET4_jRbjT5_S1E_jjP12ihipStream_tbEUljE_ZNSN_ISO_Lb0ESQ_SR_ST_SU_SY_EESZ_S10_S11_S12_S16_S17_S18_S1B_S1C_jS1D_jS1E_S1E_jjS1G_bEUljE0_EEESZ_S10_S11_S18_S1C_S1E_T6_T7_T9_mT8_S1G_bDpT10_ENKUlT_T0_E_clISt17integral_constantIbLb0EES1U_EEDaS1P_S1Q_EUlS1P_E_NS1_11comp_targetILNS1_3genE3ELNS1_11target_archE908ELNS1_3gpuE7ELNS1_3repE0EEENS1_30default_config_static_selectorELNS0_4arch9wavefront6targetE0EEEvS12_
; %bb.0:
	.section	.rodata,"a",@progbits
	.p2align	6, 0x0
	.amdhsa_kernel _ZN7rocprim17ROCPRIM_400000_NS6detail17trampoline_kernelINS0_13select_configILj256ELj13ELNS0_17block_load_methodE3ELS4_3ELS4_3ELNS0_20block_scan_algorithmE0ELj4294967295EEENS1_25partition_config_selectorILNS1_17partition_subalgoE4EjNS0_10empty_typeEbEEZZNS1_14partition_implILS8_4ELb0ES6_15HIP_vector_typeIjLj2EENS0_17counting_iteratorIjlEEPS9_SG_NS0_5tupleIJPjSI_NS0_16reverse_iteratorISI_EEEEENSH_IJSG_SG_SG_EEES9_SI_JZNS1_25segmented_radix_sort_implINS0_14default_configELb0EPKiPiPKlPlN2at6native12_GLOBAL__N_18offset_tEEE10hipError_tPvRmT1_PNSt15iterator_traitsIS12_E10value_typeET2_T3_PNS13_IS18_E10value_typeET4_jRbjT5_S1E_jjP12ihipStream_tbEUljE_ZNSN_ISO_Lb0ESQ_SR_ST_SU_SY_EESZ_S10_S11_S12_S16_S17_S18_S1B_S1C_jS1D_jS1E_S1E_jjS1G_bEUljE0_EEESZ_S10_S11_S18_S1C_S1E_T6_T7_T9_mT8_S1G_bDpT10_ENKUlT_T0_E_clISt17integral_constantIbLb0EES1U_EEDaS1P_S1Q_EUlS1P_E_NS1_11comp_targetILNS1_3genE3ELNS1_11target_archE908ELNS1_3gpuE7ELNS1_3repE0EEENS1_30default_config_static_selectorELNS0_4arch9wavefront6targetE0EEEvS12_
		.amdhsa_group_segment_fixed_size 0
		.amdhsa_private_segment_fixed_size 0
		.amdhsa_kernarg_size 176
		.amdhsa_user_sgpr_count 2
		.amdhsa_user_sgpr_dispatch_ptr 0
		.amdhsa_user_sgpr_queue_ptr 0
		.amdhsa_user_sgpr_kernarg_segment_ptr 1
		.amdhsa_user_sgpr_dispatch_id 0
		.amdhsa_user_sgpr_private_segment_size 0
		.amdhsa_wavefront_size32 1
		.amdhsa_uses_dynamic_stack 0
		.amdhsa_enable_private_segment 0
		.amdhsa_system_sgpr_workgroup_id_x 1
		.amdhsa_system_sgpr_workgroup_id_y 0
		.amdhsa_system_sgpr_workgroup_id_z 0
		.amdhsa_system_sgpr_workgroup_info 0
		.amdhsa_system_vgpr_workitem_id 0
		.amdhsa_next_free_vgpr 1
		.amdhsa_next_free_sgpr 1
		.amdhsa_reserve_vcc 0
		.amdhsa_float_round_mode_32 0
		.amdhsa_float_round_mode_16_64 0
		.amdhsa_float_denorm_mode_32 3
		.amdhsa_float_denorm_mode_16_64 3
		.amdhsa_fp16_overflow 0
		.amdhsa_workgroup_processor_mode 1
		.amdhsa_memory_ordered 1
		.amdhsa_forward_progress 1
		.amdhsa_inst_pref_size 0
		.amdhsa_round_robin_scheduling 0
		.amdhsa_exception_fp_ieee_invalid_op 0
		.amdhsa_exception_fp_denorm_src 0
		.amdhsa_exception_fp_ieee_div_zero 0
		.amdhsa_exception_fp_ieee_overflow 0
		.amdhsa_exception_fp_ieee_underflow 0
		.amdhsa_exception_fp_ieee_inexact 0
		.amdhsa_exception_int_div_zero 0
	.end_amdhsa_kernel
	.section	.text._ZN7rocprim17ROCPRIM_400000_NS6detail17trampoline_kernelINS0_13select_configILj256ELj13ELNS0_17block_load_methodE3ELS4_3ELS4_3ELNS0_20block_scan_algorithmE0ELj4294967295EEENS1_25partition_config_selectorILNS1_17partition_subalgoE4EjNS0_10empty_typeEbEEZZNS1_14partition_implILS8_4ELb0ES6_15HIP_vector_typeIjLj2EENS0_17counting_iteratorIjlEEPS9_SG_NS0_5tupleIJPjSI_NS0_16reverse_iteratorISI_EEEEENSH_IJSG_SG_SG_EEES9_SI_JZNS1_25segmented_radix_sort_implINS0_14default_configELb0EPKiPiPKlPlN2at6native12_GLOBAL__N_18offset_tEEE10hipError_tPvRmT1_PNSt15iterator_traitsIS12_E10value_typeET2_T3_PNS13_IS18_E10value_typeET4_jRbjT5_S1E_jjP12ihipStream_tbEUljE_ZNSN_ISO_Lb0ESQ_SR_ST_SU_SY_EESZ_S10_S11_S12_S16_S17_S18_S1B_S1C_jS1D_jS1E_S1E_jjS1G_bEUljE0_EEESZ_S10_S11_S18_S1C_S1E_T6_T7_T9_mT8_S1G_bDpT10_ENKUlT_T0_E_clISt17integral_constantIbLb0EES1U_EEDaS1P_S1Q_EUlS1P_E_NS1_11comp_targetILNS1_3genE3ELNS1_11target_archE908ELNS1_3gpuE7ELNS1_3repE0EEENS1_30default_config_static_selectorELNS0_4arch9wavefront6targetE0EEEvS12_,"axG",@progbits,_ZN7rocprim17ROCPRIM_400000_NS6detail17trampoline_kernelINS0_13select_configILj256ELj13ELNS0_17block_load_methodE3ELS4_3ELS4_3ELNS0_20block_scan_algorithmE0ELj4294967295EEENS1_25partition_config_selectorILNS1_17partition_subalgoE4EjNS0_10empty_typeEbEEZZNS1_14partition_implILS8_4ELb0ES6_15HIP_vector_typeIjLj2EENS0_17counting_iteratorIjlEEPS9_SG_NS0_5tupleIJPjSI_NS0_16reverse_iteratorISI_EEEEENSH_IJSG_SG_SG_EEES9_SI_JZNS1_25segmented_radix_sort_implINS0_14default_configELb0EPKiPiPKlPlN2at6native12_GLOBAL__N_18offset_tEEE10hipError_tPvRmT1_PNSt15iterator_traitsIS12_E10value_typeET2_T3_PNS13_IS18_E10value_typeET4_jRbjT5_S1E_jjP12ihipStream_tbEUljE_ZNSN_ISO_Lb0ESQ_SR_ST_SU_SY_EESZ_S10_S11_S12_S16_S17_S18_S1B_S1C_jS1D_jS1E_S1E_jjS1G_bEUljE0_EEESZ_S10_S11_S18_S1C_S1E_T6_T7_T9_mT8_S1G_bDpT10_ENKUlT_T0_E_clISt17integral_constantIbLb0EES1U_EEDaS1P_S1Q_EUlS1P_E_NS1_11comp_targetILNS1_3genE3ELNS1_11target_archE908ELNS1_3gpuE7ELNS1_3repE0EEENS1_30default_config_static_selectorELNS0_4arch9wavefront6targetE0EEEvS12_,comdat
.Lfunc_end539:
	.size	_ZN7rocprim17ROCPRIM_400000_NS6detail17trampoline_kernelINS0_13select_configILj256ELj13ELNS0_17block_load_methodE3ELS4_3ELS4_3ELNS0_20block_scan_algorithmE0ELj4294967295EEENS1_25partition_config_selectorILNS1_17partition_subalgoE4EjNS0_10empty_typeEbEEZZNS1_14partition_implILS8_4ELb0ES6_15HIP_vector_typeIjLj2EENS0_17counting_iteratorIjlEEPS9_SG_NS0_5tupleIJPjSI_NS0_16reverse_iteratorISI_EEEEENSH_IJSG_SG_SG_EEES9_SI_JZNS1_25segmented_radix_sort_implINS0_14default_configELb0EPKiPiPKlPlN2at6native12_GLOBAL__N_18offset_tEEE10hipError_tPvRmT1_PNSt15iterator_traitsIS12_E10value_typeET2_T3_PNS13_IS18_E10value_typeET4_jRbjT5_S1E_jjP12ihipStream_tbEUljE_ZNSN_ISO_Lb0ESQ_SR_ST_SU_SY_EESZ_S10_S11_S12_S16_S17_S18_S1B_S1C_jS1D_jS1E_S1E_jjS1G_bEUljE0_EEESZ_S10_S11_S18_S1C_S1E_T6_T7_T9_mT8_S1G_bDpT10_ENKUlT_T0_E_clISt17integral_constantIbLb0EES1U_EEDaS1P_S1Q_EUlS1P_E_NS1_11comp_targetILNS1_3genE3ELNS1_11target_archE908ELNS1_3gpuE7ELNS1_3repE0EEENS1_30default_config_static_selectorELNS0_4arch9wavefront6targetE0EEEvS12_, .Lfunc_end539-_ZN7rocprim17ROCPRIM_400000_NS6detail17trampoline_kernelINS0_13select_configILj256ELj13ELNS0_17block_load_methodE3ELS4_3ELS4_3ELNS0_20block_scan_algorithmE0ELj4294967295EEENS1_25partition_config_selectorILNS1_17partition_subalgoE4EjNS0_10empty_typeEbEEZZNS1_14partition_implILS8_4ELb0ES6_15HIP_vector_typeIjLj2EENS0_17counting_iteratorIjlEEPS9_SG_NS0_5tupleIJPjSI_NS0_16reverse_iteratorISI_EEEEENSH_IJSG_SG_SG_EEES9_SI_JZNS1_25segmented_radix_sort_implINS0_14default_configELb0EPKiPiPKlPlN2at6native12_GLOBAL__N_18offset_tEEE10hipError_tPvRmT1_PNSt15iterator_traitsIS12_E10value_typeET2_T3_PNS13_IS18_E10value_typeET4_jRbjT5_S1E_jjP12ihipStream_tbEUljE_ZNSN_ISO_Lb0ESQ_SR_ST_SU_SY_EESZ_S10_S11_S12_S16_S17_S18_S1B_S1C_jS1D_jS1E_S1E_jjS1G_bEUljE0_EEESZ_S10_S11_S18_S1C_S1E_T6_T7_T9_mT8_S1G_bDpT10_ENKUlT_T0_E_clISt17integral_constantIbLb0EES1U_EEDaS1P_S1Q_EUlS1P_E_NS1_11comp_targetILNS1_3genE3ELNS1_11target_archE908ELNS1_3gpuE7ELNS1_3repE0EEENS1_30default_config_static_selectorELNS0_4arch9wavefront6targetE0EEEvS12_
                                        ; -- End function
	.set _ZN7rocprim17ROCPRIM_400000_NS6detail17trampoline_kernelINS0_13select_configILj256ELj13ELNS0_17block_load_methodE3ELS4_3ELS4_3ELNS0_20block_scan_algorithmE0ELj4294967295EEENS1_25partition_config_selectorILNS1_17partition_subalgoE4EjNS0_10empty_typeEbEEZZNS1_14partition_implILS8_4ELb0ES6_15HIP_vector_typeIjLj2EENS0_17counting_iteratorIjlEEPS9_SG_NS0_5tupleIJPjSI_NS0_16reverse_iteratorISI_EEEEENSH_IJSG_SG_SG_EEES9_SI_JZNS1_25segmented_radix_sort_implINS0_14default_configELb0EPKiPiPKlPlN2at6native12_GLOBAL__N_18offset_tEEE10hipError_tPvRmT1_PNSt15iterator_traitsIS12_E10value_typeET2_T3_PNS13_IS18_E10value_typeET4_jRbjT5_S1E_jjP12ihipStream_tbEUljE_ZNSN_ISO_Lb0ESQ_SR_ST_SU_SY_EESZ_S10_S11_S12_S16_S17_S18_S1B_S1C_jS1D_jS1E_S1E_jjS1G_bEUljE0_EEESZ_S10_S11_S18_S1C_S1E_T6_T7_T9_mT8_S1G_bDpT10_ENKUlT_T0_E_clISt17integral_constantIbLb0EES1U_EEDaS1P_S1Q_EUlS1P_E_NS1_11comp_targetILNS1_3genE3ELNS1_11target_archE908ELNS1_3gpuE7ELNS1_3repE0EEENS1_30default_config_static_selectorELNS0_4arch9wavefront6targetE0EEEvS12_.num_vgpr, 0
	.set _ZN7rocprim17ROCPRIM_400000_NS6detail17trampoline_kernelINS0_13select_configILj256ELj13ELNS0_17block_load_methodE3ELS4_3ELS4_3ELNS0_20block_scan_algorithmE0ELj4294967295EEENS1_25partition_config_selectorILNS1_17partition_subalgoE4EjNS0_10empty_typeEbEEZZNS1_14partition_implILS8_4ELb0ES6_15HIP_vector_typeIjLj2EENS0_17counting_iteratorIjlEEPS9_SG_NS0_5tupleIJPjSI_NS0_16reverse_iteratorISI_EEEEENSH_IJSG_SG_SG_EEES9_SI_JZNS1_25segmented_radix_sort_implINS0_14default_configELb0EPKiPiPKlPlN2at6native12_GLOBAL__N_18offset_tEEE10hipError_tPvRmT1_PNSt15iterator_traitsIS12_E10value_typeET2_T3_PNS13_IS18_E10value_typeET4_jRbjT5_S1E_jjP12ihipStream_tbEUljE_ZNSN_ISO_Lb0ESQ_SR_ST_SU_SY_EESZ_S10_S11_S12_S16_S17_S18_S1B_S1C_jS1D_jS1E_S1E_jjS1G_bEUljE0_EEESZ_S10_S11_S18_S1C_S1E_T6_T7_T9_mT8_S1G_bDpT10_ENKUlT_T0_E_clISt17integral_constantIbLb0EES1U_EEDaS1P_S1Q_EUlS1P_E_NS1_11comp_targetILNS1_3genE3ELNS1_11target_archE908ELNS1_3gpuE7ELNS1_3repE0EEENS1_30default_config_static_selectorELNS0_4arch9wavefront6targetE0EEEvS12_.num_agpr, 0
	.set _ZN7rocprim17ROCPRIM_400000_NS6detail17trampoline_kernelINS0_13select_configILj256ELj13ELNS0_17block_load_methodE3ELS4_3ELS4_3ELNS0_20block_scan_algorithmE0ELj4294967295EEENS1_25partition_config_selectorILNS1_17partition_subalgoE4EjNS0_10empty_typeEbEEZZNS1_14partition_implILS8_4ELb0ES6_15HIP_vector_typeIjLj2EENS0_17counting_iteratorIjlEEPS9_SG_NS0_5tupleIJPjSI_NS0_16reverse_iteratorISI_EEEEENSH_IJSG_SG_SG_EEES9_SI_JZNS1_25segmented_radix_sort_implINS0_14default_configELb0EPKiPiPKlPlN2at6native12_GLOBAL__N_18offset_tEEE10hipError_tPvRmT1_PNSt15iterator_traitsIS12_E10value_typeET2_T3_PNS13_IS18_E10value_typeET4_jRbjT5_S1E_jjP12ihipStream_tbEUljE_ZNSN_ISO_Lb0ESQ_SR_ST_SU_SY_EESZ_S10_S11_S12_S16_S17_S18_S1B_S1C_jS1D_jS1E_S1E_jjS1G_bEUljE0_EEESZ_S10_S11_S18_S1C_S1E_T6_T7_T9_mT8_S1G_bDpT10_ENKUlT_T0_E_clISt17integral_constantIbLb0EES1U_EEDaS1P_S1Q_EUlS1P_E_NS1_11comp_targetILNS1_3genE3ELNS1_11target_archE908ELNS1_3gpuE7ELNS1_3repE0EEENS1_30default_config_static_selectorELNS0_4arch9wavefront6targetE0EEEvS12_.numbered_sgpr, 0
	.set _ZN7rocprim17ROCPRIM_400000_NS6detail17trampoline_kernelINS0_13select_configILj256ELj13ELNS0_17block_load_methodE3ELS4_3ELS4_3ELNS0_20block_scan_algorithmE0ELj4294967295EEENS1_25partition_config_selectorILNS1_17partition_subalgoE4EjNS0_10empty_typeEbEEZZNS1_14partition_implILS8_4ELb0ES6_15HIP_vector_typeIjLj2EENS0_17counting_iteratorIjlEEPS9_SG_NS0_5tupleIJPjSI_NS0_16reverse_iteratorISI_EEEEENSH_IJSG_SG_SG_EEES9_SI_JZNS1_25segmented_radix_sort_implINS0_14default_configELb0EPKiPiPKlPlN2at6native12_GLOBAL__N_18offset_tEEE10hipError_tPvRmT1_PNSt15iterator_traitsIS12_E10value_typeET2_T3_PNS13_IS18_E10value_typeET4_jRbjT5_S1E_jjP12ihipStream_tbEUljE_ZNSN_ISO_Lb0ESQ_SR_ST_SU_SY_EESZ_S10_S11_S12_S16_S17_S18_S1B_S1C_jS1D_jS1E_S1E_jjS1G_bEUljE0_EEESZ_S10_S11_S18_S1C_S1E_T6_T7_T9_mT8_S1G_bDpT10_ENKUlT_T0_E_clISt17integral_constantIbLb0EES1U_EEDaS1P_S1Q_EUlS1P_E_NS1_11comp_targetILNS1_3genE3ELNS1_11target_archE908ELNS1_3gpuE7ELNS1_3repE0EEENS1_30default_config_static_selectorELNS0_4arch9wavefront6targetE0EEEvS12_.num_named_barrier, 0
	.set _ZN7rocprim17ROCPRIM_400000_NS6detail17trampoline_kernelINS0_13select_configILj256ELj13ELNS0_17block_load_methodE3ELS4_3ELS4_3ELNS0_20block_scan_algorithmE0ELj4294967295EEENS1_25partition_config_selectorILNS1_17partition_subalgoE4EjNS0_10empty_typeEbEEZZNS1_14partition_implILS8_4ELb0ES6_15HIP_vector_typeIjLj2EENS0_17counting_iteratorIjlEEPS9_SG_NS0_5tupleIJPjSI_NS0_16reverse_iteratorISI_EEEEENSH_IJSG_SG_SG_EEES9_SI_JZNS1_25segmented_radix_sort_implINS0_14default_configELb0EPKiPiPKlPlN2at6native12_GLOBAL__N_18offset_tEEE10hipError_tPvRmT1_PNSt15iterator_traitsIS12_E10value_typeET2_T3_PNS13_IS18_E10value_typeET4_jRbjT5_S1E_jjP12ihipStream_tbEUljE_ZNSN_ISO_Lb0ESQ_SR_ST_SU_SY_EESZ_S10_S11_S12_S16_S17_S18_S1B_S1C_jS1D_jS1E_S1E_jjS1G_bEUljE0_EEESZ_S10_S11_S18_S1C_S1E_T6_T7_T9_mT8_S1G_bDpT10_ENKUlT_T0_E_clISt17integral_constantIbLb0EES1U_EEDaS1P_S1Q_EUlS1P_E_NS1_11comp_targetILNS1_3genE3ELNS1_11target_archE908ELNS1_3gpuE7ELNS1_3repE0EEENS1_30default_config_static_selectorELNS0_4arch9wavefront6targetE0EEEvS12_.private_seg_size, 0
	.set _ZN7rocprim17ROCPRIM_400000_NS6detail17trampoline_kernelINS0_13select_configILj256ELj13ELNS0_17block_load_methodE3ELS4_3ELS4_3ELNS0_20block_scan_algorithmE0ELj4294967295EEENS1_25partition_config_selectorILNS1_17partition_subalgoE4EjNS0_10empty_typeEbEEZZNS1_14partition_implILS8_4ELb0ES6_15HIP_vector_typeIjLj2EENS0_17counting_iteratorIjlEEPS9_SG_NS0_5tupleIJPjSI_NS0_16reverse_iteratorISI_EEEEENSH_IJSG_SG_SG_EEES9_SI_JZNS1_25segmented_radix_sort_implINS0_14default_configELb0EPKiPiPKlPlN2at6native12_GLOBAL__N_18offset_tEEE10hipError_tPvRmT1_PNSt15iterator_traitsIS12_E10value_typeET2_T3_PNS13_IS18_E10value_typeET4_jRbjT5_S1E_jjP12ihipStream_tbEUljE_ZNSN_ISO_Lb0ESQ_SR_ST_SU_SY_EESZ_S10_S11_S12_S16_S17_S18_S1B_S1C_jS1D_jS1E_S1E_jjS1G_bEUljE0_EEESZ_S10_S11_S18_S1C_S1E_T6_T7_T9_mT8_S1G_bDpT10_ENKUlT_T0_E_clISt17integral_constantIbLb0EES1U_EEDaS1P_S1Q_EUlS1P_E_NS1_11comp_targetILNS1_3genE3ELNS1_11target_archE908ELNS1_3gpuE7ELNS1_3repE0EEENS1_30default_config_static_selectorELNS0_4arch9wavefront6targetE0EEEvS12_.uses_vcc, 0
	.set _ZN7rocprim17ROCPRIM_400000_NS6detail17trampoline_kernelINS0_13select_configILj256ELj13ELNS0_17block_load_methodE3ELS4_3ELS4_3ELNS0_20block_scan_algorithmE0ELj4294967295EEENS1_25partition_config_selectorILNS1_17partition_subalgoE4EjNS0_10empty_typeEbEEZZNS1_14partition_implILS8_4ELb0ES6_15HIP_vector_typeIjLj2EENS0_17counting_iteratorIjlEEPS9_SG_NS0_5tupleIJPjSI_NS0_16reverse_iteratorISI_EEEEENSH_IJSG_SG_SG_EEES9_SI_JZNS1_25segmented_radix_sort_implINS0_14default_configELb0EPKiPiPKlPlN2at6native12_GLOBAL__N_18offset_tEEE10hipError_tPvRmT1_PNSt15iterator_traitsIS12_E10value_typeET2_T3_PNS13_IS18_E10value_typeET4_jRbjT5_S1E_jjP12ihipStream_tbEUljE_ZNSN_ISO_Lb0ESQ_SR_ST_SU_SY_EESZ_S10_S11_S12_S16_S17_S18_S1B_S1C_jS1D_jS1E_S1E_jjS1G_bEUljE0_EEESZ_S10_S11_S18_S1C_S1E_T6_T7_T9_mT8_S1G_bDpT10_ENKUlT_T0_E_clISt17integral_constantIbLb0EES1U_EEDaS1P_S1Q_EUlS1P_E_NS1_11comp_targetILNS1_3genE3ELNS1_11target_archE908ELNS1_3gpuE7ELNS1_3repE0EEENS1_30default_config_static_selectorELNS0_4arch9wavefront6targetE0EEEvS12_.uses_flat_scratch, 0
	.set _ZN7rocprim17ROCPRIM_400000_NS6detail17trampoline_kernelINS0_13select_configILj256ELj13ELNS0_17block_load_methodE3ELS4_3ELS4_3ELNS0_20block_scan_algorithmE0ELj4294967295EEENS1_25partition_config_selectorILNS1_17partition_subalgoE4EjNS0_10empty_typeEbEEZZNS1_14partition_implILS8_4ELb0ES6_15HIP_vector_typeIjLj2EENS0_17counting_iteratorIjlEEPS9_SG_NS0_5tupleIJPjSI_NS0_16reverse_iteratorISI_EEEEENSH_IJSG_SG_SG_EEES9_SI_JZNS1_25segmented_radix_sort_implINS0_14default_configELb0EPKiPiPKlPlN2at6native12_GLOBAL__N_18offset_tEEE10hipError_tPvRmT1_PNSt15iterator_traitsIS12_E10value_typeET2_T3_PNS13_IS18_E10value_typeET4_jRbjT5_S1E_jjP12ihipStream_tbEUljE_ZNSN_ISO_Lb0ESQ_SR_ST_SU_SY_EESZ_S10_S11_S12_S16_S17_S18_S1B_S1C_jS1D_jS1E_S1E_jjS1G_bEUljE0_EEESZ_S10_S11_S18_S1C_S1E_T6_T7_T9_mT8_S1G_bDpT10_ENKUlT_T0_E_clISt17integral_constantIbLb0EES1U_EEDaS1P_S1Q_EUlS1P_E_NS1_11comp_targetILNS1_3genE3ELNS1_11target_archE908ELNS1_3gpuE7ELNS1_3repE0EEENS1_30default_config_static_selectorELNS0_4arch9wavefront6targetE0EEEvS12_.has_dyn_sized_stack, 0
	.set _ZN7rocprim17ROCPRIM_400000_NS6detail17trampoline_kernelINS0_13select_configILj256ELj13ELNS0_17block_load_methodE3ELS4_3ELS4_3ELNS0_20block_scan_algorithmE0ELj4294967295EEENS1_25partition_config_selectorILNS1_17partition_subalgoE4EjNS0_10empty_typeEbEEZZNS1_14partition_implILS8_4ELb0ES6_15HIP_vector_typeIjLj2EENS0_17counting_iteratorIjlEEPS9_SG_NS0_5tupleIJPjSI_NS0_16reverse_iteratorISI_EEEEENSH_IJSG_SG_SG_EEES9_SI_JZNS1_25segmented_radix_sort_implINS0_14default_configELb0EPKiPiPKlPlN2at6native12_GLOBAL__N_18offset_tEEE10hipError_tPvRmT1_PNSt15iterator_traitsIS12_E10value_typeET2_T3_PNS13_IS18_E10value_typeET4_jRbjT5_S1E_jjP12ihipStream_tbEUljE_ZNSN_ISO_Lb0ESQ_SR_ST_SU_SY_EESZ_S10_S11_S12_S16_S17_S18_S1B_S1C_jS1D_jS1E_S1E_jjS1G_bEUljE0_EEESZ_S10_S11_S18_S1C_S1E_T6_T7_T9_mT8_S1G_bDpT10_ENKUlT_T0_E_clISt17integral_constantIbLb0EES1U_EEDaS1P_S1Q_EUlS1P_E_NS1_11comp_targetILNS1_3genE3ELNS1_11target_archE908ELNS1_3gpuE7ELNS1_3repE0EEENS1_30default_config_static_selectorELNS0_4arch9wavefront6targetE0EEEvS12_.has_recursion, 0
	.set _ZN7rocprim17ROCPRIM_400000_NS6detail17trampoline_kernelINS0_13select_configILj256ELj13ELNS0_17block_load_methodE3ELS4_3ELS4_3ELNS0_20block_scan_algorithmE0ELj4294967295EEENS1_25partition_config_selectorILNS1_17partition_subalgoE4EjNS0_10empty_typeEbEEZZNS1_14partition_implILS8_4ELb0ES6_15HIP_vector_typeIjLj2EENS0_17counting_iteratorIjlEEPS9_SG_NS0_5tupleIJPjSI_NS0_16reverse_iteratorISI_EEEEENSH_IJSG_SG_SG_EEES9_SI_JZNS1_25segmented_radix_sort_implINS0_14default_configELb0EPKiPiPKlPlN2at6native12_GLOBAL__N_18offset_tEEE10hipError_tPvRmT1_PNSt15iterator_traitsIS12_E10value_typeET2_T3_PNS13_IS18_E10value_typeET4_jRbjT5_S1E_jjP12ihipStream_tbEUljE_ZNSN_ISO_Lb0ESQ_SR_ST_SU_SY_EESZ_S10_S11_S12_S16_S17_S18_S1B_S1C_jS1D_jS1E_S1E_jjS1G_bEUljE0_EEESZ_S10_S11_S18_S1C_S1E_T6_T7_T9_mT8_S1G_bDpT10_ENKUlT_T0_E_clISt17integral_constantIbLb0EES1U_EEDaS1P_S1Q_EUlS1P_E_NS1_11comp_targetILNS1_3genE3ELNS1_11target_archE908ELNS1_3gpuE7ELNS1_3repE0EEENS1_30default_config_static_selectorELNS0_4arch9wavefront6targetE0EEEvS12_.has_indirect_call, 0
	.section	.AMDGPU.csdata,"",@progbits
; Kernel info:
; codeLenInByte = 0
; TotalNumSgprs: 0
; NumVgprs: 0
; ScratchSize: 0
; MemoryBound: 0
; FloatMode: 240
; IeeeMode: 1
; LDSByteSize: 0 bytes/workgroup (compile time only)
; SGPRBlocks: 0
; VGPRBlocks: 0
; NumSGPRsForWavesPerEU: 1
; NumVGPRsForWavesPerEU: 1
; Occupancy: 16
; WaveLimiterHint : 0
; COMPUTE_PGM_RSRC2:SCRATCH_EN: 0
; COMPUTE_PGM_RSRC2:USER_SGPR: 2
; COMPUTE_PGM_RSRC2:TRAP_HANDLER: 0
; COMPUTE_PGM_RSRC2:TGID_X_EN: 1
; COMPUTE_PGM_RSRC2:TGID_Y_EN: 0
; COMPUTE_PGM_RSRC2:TGID_Z_EN: 0
; COMPUTE_PGM_RSRC2:TIDIG_COMP_CNT: 0
	.section	.text._ZN7rocprim17ROCPRIM_400000_NS6detail17trampoline_kernelINS0_13select_configILj256ELj13ELNS0_17block_load_methodE3ELS4_3ELS4_3ELNS0_20block_scan_algorithmE0ELj4294967295EEENS1_25partition_config_selectorILNS1_17partition_subalgoE4EjNS0_10empty_typeEbEEZZNS1_14partition_implILS8_4ELb0ES6_15HIP_vector_typeIjLj2EENS0_17counting_iteratorIjlEEPS9_SG_NS0_5tupleIJPjSI_NS0_16reverse_iteratorISI_EEEEENSH_IJSG_SG_SG_EEES9_SI_JZNS1_25segmented_radix_sort_implINS0_14default_configELb0EPKiPiPKlPlN2at6native12_GLOBAL__N_18offset_tEEE10hipError_tPvRmT1_PNSt15iterator_traitsIS12_E10value_typeET2_T3_PNS13_IS18_E10value_typeET4_jRbjT5_S1E_jjP12ihipStream_tbEUljE_ZNSN_ISO_Lb0ESQ_SR_ST_SU_SY_EESZ_S10_S11_S12_S16_S17_S18_S1B_S1C_jS1D_jS1E_S1E_jjS1G_bEUljE0_EEESZ_S10_S11_S18_S1C_S1E_T6_T7_T9_mT8_S1G_bDpT10_ENKUlT_T0_E_clISt17integral_constantIbLb0EES1U_EEDaS1P_S1Q_EUlS1P_E_NS1_11comp_targetILNS1_3genE2ELNS1_11target_archE906ELNS1_3gpuE6ELNS1_3repE0EEENS1_30default_config_static_selectorELNS0_4arch9wavefront6targetE0EEEvS12_,"axG",@progbits,_ZN7rocprim17ROCPRIM_400000_NS6detail17trampoline_kernelINS0_13select_configILj256ELj13ELNS0_17block_load_methodE3ELS4_3ELS4_3ELNS0_20block_scan_algorithmE0ELj4294967295EEENS1_25partition_config_selectorILNS1_17partition_subalgoE4EjNS0_10empty_typeEbEEZZNS1_14partition_implILS8_4ELb0ES6_15HIP_vector_typeIjLj2EENS0_17counting_iteratorIjlEEPS9_SG_NS0_5tupleIJPjSI_NS0_16reverse_iteratorISI_EEEEENSH_IJSG_SG_SG_EEES9_SI_JZNS1_25segmented_radix_sort_implINS0_14default_configELb0EPKiPiPKlPlN2at6native12_GLOBAL__N_18offset_tEEE10hipError_tPvRmT1_PNSt15iterator_traitsIS12_E10value_typeET2_T3_PNS13_IS18_E10value_typeET4_jRbjT5_S1E_jjP12ihipStream_tbEUljE_ZNSN_ISO_Lb0ESQ_SR_ST_SU_SY_EESZ_S10_S11_S12_S16_S17_S18_S1B_S1C_jS1D_jS1E_S1E_jjS1G_bEUljE0_EEESZ_S10_S11_S18_S1C_S1E_T6_T7_T9_mT8_S1G_bDpT10_ENKUlT_T0_E_clISt17integral_constantIbLb0EES1U_EEDaS1P_S1Q_EUlS1P_E_NS1_11comp_targetILNS1_3genE2ELNS1_11target_archE906ELNS1_3gpuE6ELNS1_3repE0EEENS1_30default_config_static_selectorELNS0_4arch9wavefront6targetE0EEEvS12_,comdat
	.globl	_ZN7rocprim17ROCPRIM_400000_NS6detail17trampoline_kernelINS0_13select_configILj256ELj13ELNS0_17block_load_methodE3ELS4_3ELS4_3ELNS0_20block_scan_algorithmE0ELj4294967295EEENS1_25partition_config_selectorILNS1_17partition_subalgoE4EjNS0_10empty_typeEbEEZZNS1_14partition_implILS8_4ELb0ES6_15HIP_vector_typeIjLj2EENS0_17counting_iteratorIjlEEPS9_SG_NS0_5tupleIJPjSI_NS0_16reverse_iteratorISI_EEEEENSH_IJSG_SG_SG_EEES9_SI_JZNS1_25segmented_radix_sort_implINS0_14default_configELb0EPKiPiPKlPlN2at6native12_GLOBAL__N_18offset_tEEE10hipError_tPvRmT1_PNSt15iterator_traitsIS12_E10value_typeET2_T3_PNS13_IS18_E10value_typeET4_jRbjT5_S1E_jjP12ihipStream_tbEUljE_ZNSN_ISO_Lb0ESQ_SR_ST_SU_SY_EESZ_S10_S11_S12_S16_S17_S18_S1B_S1C_jS1D_jS1E_S1E_jjS1G_bEUljE0_EEESZ_S10_S11_S18_S1C_S1E_T6_T7_T9_mT8_S1G_bDpT10_ENKUlT_T0_E_clISt17integral_constantIbLb0EES1U_EEDaS1P_S1Q_EUlS1P_E_NS1_11comp_targetILNS1_3genE2ELNS1_11target_archE906ELNS1_3gpuE6ELNS1_3repE0EEENS1_30default_config_static_selectorELNS0_4arch9wavefront6targetE0EEEvS12_ ; -- Begin function _ZN7rocprim17ROCPRIM_400000_NS6detail17trampoline_kernelINS0_13select_configILj256ELj13ELNS0_17block_load_methodE3ELS4_3ELS4_3ELNS0_20block_scan_algorithmE0ELj4294967295EEENS1_25partition_config_selectorILNS1_17partition_subalgoE4EjNS0_10empty_typeEbEEZZNS1_14partition_implILS8_4ELb0ES6_15HIP_vector_typeIjLj2EENS0_17counting_iteratorIjlEEPS9_SG_NS0_5tupleIJPjSI_NS0_16reverse_iteratorISI_EEEEENSH_IJSG_SG_SG_EEES9_SI_JZNS1_25segmented_radix_sort_implINS0_14default_configELb0EPKiPiPKlPlN2at6native12_GLOBAL__N_18offset_tEEE10hipError_tPvRmT1_PNSt15iterator_traitsIS12_E10value_typeET2_T3_PNS13_IS18_E10value_typeET4_jRbjT5_S1E_jjP12ihipStream_tbEUljE_ZNSN_ISO_Lb0ESQ_SR_ST_SU_SY_EESZ_S10_S11_S12_S16_S17_S18_S1B_S1C_jS1D_jS1E_S1E_jjS1G_bEUljE0_EEESZ_S10_S11_S18_S1C_S1E_T6_T7_T9_mT8_S1G_bDpT10_ENKUlT_T0_E_clISt17integral_constantIbLb0EES1U_EEDaS1P_S1Q_EUlS1P_E_NS1_11comp_targetILNS1_3genE2ELNS1_11target_archE906ELNS1_3gpuE6ELNS1_3repE0EEENS1_30default_config_static_selectorELNS0_4arch9wavefront6targetE0EEEvS12_
	.p2align	8
	.type	_ZN7rocprim17ROCPRIM_400000_NS6detail17trampoline_kernelINS0_13select_configILj256ELj13ELNS0_17block_load_methodE3ELS4_3ELS4_3ELNS0_20block_scan_algorithmE0ELj4294967295EEENS1_25partition_config_selectorILNS1_17partition_subalgoE4EjNS0_10empty_typeEbEEZZNS1_14partition_implILS8_4ELb0ES6_15HIP_vector_typeIjLj2EENS0_17counting_iteratorIjlEEPS9_SG_NS0_5tupleIJPjSI_NS0_16reverse_iteratorISI_EEEEENSH_IJSG_SG_SG_EEES9_SI_JZNS1_25segmented_radix_sort_implINS0_14default_configELb0EPKiPiPKlPlN2at6native12_GLOBAL__N_18offset_tEEE10hipError_tPvRmT1_PNSt15iterator_traitsIS12_E10value_typeET2_T3_PNS13_IS18_E10value_typeET4_jRbjT5_S1E_jjP12ihipStream_tbEUljE_ZNSN_ISO_Lb0ESQ_SR_ST_SU_SY_EESZ_S10_S11_S12_S16_S17_S18_S1B_S1C_jS1D_jS1E_S1E_jjS1G_bEUljE0_EEESZ_S10_S11_S18_S1C_S1E_T6_T7_T9_mT8_S1G_bDpT10_ENKUlT_T0_E_clISt17integral_constantIbLb0EES1U_EEDaS1P_S1Q_EUlS1P_E_NS1_11comp_targetILNS1_3genE2ELNS1_11target_archE906ELNS1_3gpuE6ELNS1_3repE0EEENS1_30default_config_static_selectorELNS0_4arch9wavefront6targetE0EEEvS12_,@function
_ZN7rocprim17ROCPRIM_400000_NS6detail17trampoline_kernelINS0_13select_configILj256ELj13ELNS0_17block_load_methodE3ELS4_3ELS4_3ELNS0_20block_scan_algorithmE0ELj4294967295EEENS1_25partition_config_selectorILNS1_17partition_subalgoE4EjNS0_10empty_typeEbEEZZNS1_14partition_implILS8_4ELb0ES6_15HIP_vector_typeIjLj2EENS0_17counting_iteratorIjlEEPS9_SG_NS0_5tupleIJPjSI_NS0_16reverse_iteratorISI_EEEEENSH_IJSG_SG_SG_EEES9_SI_JZNS1_25segmented_radix_sort_implINS0_14default_configELb0EPKiPiPKlPlN2at6native12_GLOBAL__N_18offset_tEEE10hipError_tPvRmT1_PNSt15iterator_traitsIS12_E10value_typeET2_T3_PNS13_IS18_E10value_typeET4_jRbjT5_S1E_jjP12ihipStream_tbEUljE_ZNSN_ISO_Lb0ESQ_SR_ST_SU_SY_EESZ_S10_S11_S12_S16_S17_S18_S1B_S1C_jS1D_jS1E_S1E_jjS1G_bEUljE0_EEESZ_S10_S11_S18_S1C_S1E_T6_T7_T9_mT8_S1G_bDpT10_ENKUlT_T0_E_clISt17integral_constantIbLb0EES1U_EEDaS1P_S1Q_EUlS1P_E_NS1_11comp_targetILNS1_3genE2ELNS1_11target_archE906ELNS1_3gpuE6ELNS1_3repE0EEENS1_30default_config_static_selectorELNS0_4arch9wavefront6targetE0EEEvS12_: ; @_ZN7rocprim17ROCPRIM_400000_NS6detail17trampoline_kernelINS0_13select_configILj256ELj13ELNS0_17block_load_methodE3ELS4_3ELS4_3ELNS0_20block_scan_algorithmE0ELj4294967295EEENS1_25partition_config_selectorILNS1_17partition_subalgoE4EjNS0_10empty_typeEbEEZZNS1_14partition_implILS8_4ELb0ES6_15HIP_vector_typeIjLj2EENS0_17counting_iteratorIjlEEPS9_SG_NS0_5tupleIJPjSI_NS0_16reverse_iteratorISI_EEEEENSH_IJSG_SG_SG_EEES9_SI_JZNS1_25segmented_radix_sort_implINS0_14default_configELb0EPKiPiPKlPlN2at6native12_GLOBAL__N_18offset_tEEE10hipError_tPvRmT1_PNSt15iterator_traitsIS12_E10value_typeET2_T3_PNS13_IS18_E10value_typeET4_jRbjT5_S1E_jjP12ihipStream_tbEUljE_ZNSN_ISO_Lb0ESQ_SR_ST_SU_SY_EESZ_S10_S11_S12_S16_S17_S18_S1B_S1C_jS1D_jS1E_S1E_jjS1G_bEUljE0_EEESZ_S10_S11_S18_S1C_S1E_T6_T7_T9_mT8_S1G_bDpT10_ENKUlT_T0_E_clISt17integral_constantIbLb0EES1U_EEDaS1P_S1Q_EUlS1P_E_NS1_11comp_targetILNS1_3genE2ELNS1_11target_archE906ELNS1_3gpuE6ELNS1_3repE0EEENS1_30default_config_static_selectorELNS0_4arch9wavefront6targetE0EEEvS12_
; %bb.0:
	.section	.rodata,"a",@progbits
	.p2align	6, 0x0
	.amdhsa_kernel _ZN7rocprim17ROCPRIM_400000_NS6detail17trampoline_kernelINS0_13select_configILj256ELj13ELNS0_17block_load_methodE3ELS4_3ELS4_3ELNS0_20block_scan_algorithmE0ELj4294967295EEENS1_25partition_config_selectorILNS1_17partition_subalgoE4EjNS0_10empty_typeEbEEZZNS1_14partition_implILS8_4ELb0ES6_15HIP_vector_typeIjLj2EENS0_17counting_iteratorIjlEEPS9_SG_NS0_5tupleIJPjSI_NS0_16reverse_iteratorISI_EEEEENSH_IJSG_SG_SG_EEES9_SI_JZNS1_25segmented_radix_sort_implINS0_14default_configELb0EPKiPiPKlPlN2at6native12_GLOBAL__N_18offset_tEEE10hipError_tPvRmT1_PNSt15iterator_traitsIS12_E10value_typeET2_T3_PNS13_IS18_E10value_typeET4_jRbjT5_S1E_jjP12ihipStream_tbEUljE_ZNSN_ISO_Lb0ESQ_SR_ST_SU_SY_EESZ_S10_S11_S12_S16_S17_S18_S1B_S1C_jS1D_jS1E_S1E_jjS1G_bEUljE0_EEESZ_S10_S11_S18_S1C_S1E_T6_T7_T9_mT8_S1G_bDpT10_ENKUlT_T0_E_clISt17integral_constantIbLb0EES1U_EEDaS1P_S1Q_EUlS1P_E_NS1_11comp_targetILNS1_3genE2ELNS1_11target_archE906ELNS1_3gpuE6ELNS1_3repE0EEENS1_30default_config_static_selectorELNS0_4arch9wavefront6targetE0EEEvS12_
		.amdhsa_group_segment_fixed_size 0
		.amdhsa_private_segment_fixed_size 0
		.amdhsa_kernarg_size 176
		.amdhsa_user_sgpr_count 2
		.amdhsa_user_sgpr_dispatch_ptr 0
		.amdhsa_user_sgpr_queue_ptr 0
		.amdhsa_user_sgpr_kernarg_segment_ptr 1
		.amdhsa_user_sgpr_dispatch_id 0
		.amdhsa_user_sgpr_private_segment_size 0
		.amdhsa_wavefront_size32 1
		.amdhsa_uses_dynamic_stack 0
		.amdhsa_enable_private_segment 0
		.amdhsa_system_sgpr_workgroup_id_x 1
		.amdhsa_system_sgpr_workgroup_id_y 0
		.amdhsa_system_sgpr_workgroup_id_z 0
		.amdhsa_system_sgpr_workgroup_info 0
		.amdhsa_system_vgpr_workitem_id 0
		.amdhsa_next_free_vgpr 1
		.amdhsa_next_free_sgpr 1
		.amdhsa_reserve_vcc 0
		.amdhsa_float_round_mode_32 0
		.amdhsa_float_round_mode_16_64 0
		.amdhsa_float_denorm_mode_32 3
		.amdhsa_float_denorm_mode_16_64 3
		.amdhsa_fp16_overflow 0
		.amdhsa_workgroup_processor_mode 1
		.amdhsa_memory_ordered 1
		.amdhsa_forward_progress 1
		.amdhsa_inst_pref_size 0
		.amdhsa_round_robin_scheduling 0
		.amdhsa_exception_fp_ieee_invalid_op 0
		.amdhsa_exception_fp_denorm_src 0
		.amdhsa_exception_fp_ieee_div_zero 0
		.amdhsa_exception_fp_ieee_overflow 0
		.amdhsa_exception_fp_ieee_underflow 0
		.amdhsa_exception_fp_ieee_inexact 0
		.amdhsa_exception_int_div_zero 0
	.end_amdhsa_kernel
	.section	.text._ZN7rocprim17ROCPRIM_400000_NS6detail17trampoline_kernelINS0_13select_configILj256ELj13ELNS0_17block_load_methodE3ELS4_3ELS4_3ELNS0_20block_scan_algorithmE0ELj4294967295EEENS1_25partition_config_selectorILNS1_17partition_subalgoE4EjNS0_10empty_typeEbEEZZNS1_14partition_implILS8_4ELb0ES6_15HIP_vector_typeIjLj2EENS0_17counting_iteratorIjlEEPS9_SG_NS0_5tupleIJPjSI_NS0_16reverse_iteratorISI_EEEEENSH_IJSG_SG_SG_EEES9_SI_JZNS1_25segmented_radix_sort_implINS0_14default_configELb0EPKiPiPKlPlN2at6native12_GLOBAL__N_18offset_tEEE10hipError_tPvRmT1_PNSt15iterator_traitsIS12_E10value_typeET2_T3_PNS13_IS18_E10value_typeET4_jRbjT5_S1E_jjP12ihipStream_tbEUljE_ZNSN_ISO_Lb0ESQ_SR_ST_SU_SY_EESZ_S10_S11_S12_S16_S17_S18_S1B_S1C_jS1D_jS1E_S1E_jjS1G_bEUljE0_EEESZ_S10_S11_S18_S1C_S1E_T6_T7_T9_mT8_S1G_bDpT10_ENKUlT_T0_E_clISt17integral_constantIbLb0EES1U_EEDaS1P_S1Q_EUlS1P_E_NS1_11comp_targetILNS1_3genE2ELNS1_11target_archE906ELNS1_3gpuE6ELNS1_3repE0EEENS1_30default_config_static_selectorELNS0_4arch9wavefront6targetE0EEEvS12_,"axG",@progbits,_ZN7rocprim17ROCPRIM_400000_NS6detail17trampoline_kernelINS0_13select_configILj256ELj13ELNS0_17block_load_methodE3ELS4_3ELS4_3ELNS0_20block_scan_algorithmE0ELj4294967295EEENS1_25partition_config_selectorILNS1_17partition_subalgoE4EjNS0_10empty_typeEbEEZZNS1_14partition_implILS8_4ELb0ES6_15HIP_vector_typeIjLj2EENS0_17counting_iteratorIjlEEPS9_SG_NS0_5tupleIJPjSI_NS0_16reverse_iteratorISI_EEEEENSH_IJSG_SG_SG_EEES9_SI_JZNS1_25segmented_radix_sort_implINS0_14default_configELb0EPKiPiPKlPlN2at6native12_GLOBAL__N_18offset_tEEE10hipError_tPvRmT1_PNSt15iterator_traitsIS12_E10value_typeET2_T3_PNS13_IS18_E10value_typeET4_jRbjT5_S1E_jjP12ihipStream_tbEUljE_ZNSN_ISO_Lb0ESQ_SR_ST_SU_SY_EESZ_S10_S11_S12_S16_S17_S18_S1B_S1C_jS1D_jS1E_S1E_jjS1G_bEUljE0_EEESZ_S10_S11_S18_S1C_S1E_T6_T7_T9_mT8_S1G_bDpT10_ENKUlT_T0_E_clISt17integral_constantIbLb0EES1U_EEDaS1P_S1Q_EUlS1P_E_NS1_11comp_targetILNS1_3genE2ELNS1_11target_archE906ELNS1_3gpuE6ELNS1_3repE0EEENS1_30default_config_static_selectorELNS0_4arch9wavefront6targetE0EEEvS12_,comdat
.Lfunc_end540:
	.size	_ZN7rocprim17ROCPRIM_400000_NS6detail17trampoline_kernelINS0_13select_configILj256ELj13ELNS0_17block_load_methodE3ELS4_3ELS4_3ELNS0_20block_scan_algorithmE0ELj4294967295EEENS1_25partition_config_selectorILNS1_17partition_subalgoE4EjNS0_10empty_typeEbEEZZNS1_14partition_implILS8_4ELb0ES6_15HIP_vector_typeIjLj2EENS0_17counting_iteratorIjlEEPS9_SG_NS0_5tupleIJPjSI_NS0_16reverse_iteratorISI_EEEEENSH_IJSG_SG_SG_EEES9_SI_JZNS1_25segmented_radix_sort_implINS0_14default_configELb0EPKiPiPKlPlN2at6native12_GLOBAL__N_18offset_tEEE10hipError_tPvRmT1_PNSt15iterator_traitsIS12_E10value_typeET2_T3_PNS13_IS18_E10value_typeET4_jRbjT5_S1E_jjP12ihipStream_tbEUljE_ZNSN_ISO_Lb0ESQ_SR_ST_SU_SY_EESZ_S10_S11_S12_S16_S17_S18_S1B_S1C_jS1D_jS1E_S1E_jjS1G_bEUljE0_EEESZ_S10_S11_S18_S1C_S1E_T6_T7_T9_mT8_S1G_bDpT10_ENKUlT_T0_E_clISt17integral_constantIbLb0EES1U_EEDaS1P_S1Q_EUlS1P_E_NS1_11comp_targetILNS1_3genE2ELNS1_11target_archE906ELNS1_3gpuE6ELNS1_3repE0EEENS1_30default_config_static_selectorELNS0_4arch9wavefront6targetE0EEEvS12_, .Lfunc_end540-_ZN7rocprim17ROCPRIM_400000_NS6detail17trampoline_kernelINS0_13select_configILj256ELj13ELNS0_17block_load_methodE3ELS4_3ELS4_3ELNS0_20block_scan_algorithmE0ELj4294967295EEENS1_25partition_config_selectorILNS1_17partition_subalgoE4EjNS0_10empty_typeEbEEZZNS1_14partition_implILS8_4ELb0ES6_15HIP_vector_typeIjLj2EENS0_17counting_iteratorIjlEEPS9_SG_NS0_5tupleIJPjSI_NS0_16reverse_iteratorISI_EEEEENSH_IJSG_SG_SG_EEES9_SI_JZNS1_25segmented_radix_sort_implINS0_14default_configELb0EPKiPiPKlPlN2at6native12_GLOBAL__N_18offset_tEEE10hipError_tPvRmT1_PNSt15iterator_traitsIS12_E10value_typeET2_T3_PNS13_IS18_E10value_typeET4_jRbjT5_S1E_jjP12ihipStream_tbEUljE_ZNSN_ISO_Lb0ESQ_SR_ST_SU_SY_EESZ_S10_S11_S12_S16_S17_S18_S1B_S1C_jS1D_jS1E_S1E_jjS1G_bEUljE0_EEESZ_S10_S11_S18_S1C_S1E_T6_T7_T9_mT8_S1G_bDpT10_ENKUlT_T0_E_clISt17integral_constantIbLb0EES1U_EEDaS1P_S1Q_EUlS1P_E_NS1_11comp_targetILNS1_3genE2ELNS1_11target_archE906ELNS1_3gpuE6ELNS1_3repE0EEENS1_30default_config_static_selectorELNS0_4arch9wavefront6targetE0EEEvS12_
                                        ; -- End function
	.set _ZN7rocprim17ROCPRIM_400000_NS6detail17trampoline_kernelINS0_13select_configILj256ELj13ELNS0_17block_load_methodE3ELS4_3ELS4_3ELNS0_20block_scan_algorithmE0ELj4294967295EEENS1_25partition_config_selectorILNS1_17partition_subalgoE4EjNS0_10empty_typeEbEEZZNS1_14partition_implILS8_4ELb0ES6_15HIP_vector_typeIjLj2EENS0_17counting_iteratorIjlEEPS9_SG_NS0_5tupleIJPjSI_NS0_16reverse_iteratorISI_EEEEENSH_IJSG_SG_SG_EEES9_SI_JZNS1_25segmented_radix_sort_implINS0_14default_configELb0EPKiPiPKlPlN2at6native12_GLOBAL__N_18offset_tEEE10hipError_tPvRmT1_PNSt15iterator_traitsIS12_E10value_typeET2_T3_PNS13_IS18_E10value_typeET4_jRbjT5_S1E_jjP12ihipStream_tbEUljE_ZNSN_ISO_Lb0ESQ_SR_ST_SU_SY_EESZ_S10_S11_S12_S16_S17_S18_S1B_S1C_jS1D_jS1E_S1E_jjS1G_bEUljE0_EEESZ_S10_S11_S18_S1C_S1E_T6_T7_T9_mT8_S1G_bDpT10_ENKUlT_T0_E_clISt17integral_constantIbLb0EES1U_EEDaS1P_S1Q_EUlS1P_E_NS1_11comp_targetILNS1_3genE2ELNS1_11target_archE906ELNS1_3gpuE6ELNS1_3repE0EEENS1_30default_config_static_selectorELNS0_4arch9wavefront6targetE0EEEvS12_.num_vgpr, 0
	.set _ZN7rocprim17ROCPRIM_400000_NS6detail17trampoline_kernelINS0_13select_configILj256ELj13ELNS0_17block_load_methodE3ELS4_3ELS4_3ELNS0_20block_scan_algorithmE0ELj4294967295EEENS1_25partition_config_selectorILNS1_17partition_subalgoE4EjNS0_10empty_typeEbEEZZNS1_14partition_implILS8_4ELb0ES6_15HIP_vector_typeIjLj2EENS0_17counting_iteratorIjlEEPS9_SG_NS0_5tupleIJPjSI_NS0_16reverse_iteratorISI_EEEEENSH_IJSG_SG_SG_EEES9_SI_JZNS1_25segmented_radix_sort_implINS0_14default_configELb0EPKiPiPKlPlN2at6native12_GLOBAL__N_18offset_tEEE10hipError_tPvRmT1_PNSt15iterator_traitsIS12_E10value_typeET2_T3_PNS13_IS18_E10value_typeET4_jRbjT5_S1E_jjP12ihipStream_tbEUljE_ZNSN_ISO_Lb0ESQ_SR_ST_SU_SY_EESZ_S10_S11_S12_S16_S17_S18_S1B_S1C_jS1D_jS1E_S1E_jjS1G_bEUljE0_EEESZ_S10_S11_S18_S1C_S1E_T6_T7_T9_mT8_S1G_bDpT10_ENKUlT_T0_E_clISt17integral_constantIbLb0EES1U_EEDaS1P_S1Q_EUlS1P_E_NS1_11comp_targetILNS1_3genE2ELNS1_11target_archE906ELNS1_3gpuE6ELNS1_3repE0EEENS1_30default_config_static_selectorELNS0_4arch9wavefront6targetE0EEEvS12_.num_agpr, 0
	.set _ZN7rocprim17ROCPRIM_400000_NS6detail17trampoline_kernelINS0_13select_configILj256ELj13ELNS0_17block_load_methodE3ELS4_3ELS4_3ELNS0_20block_scan_algorithmE0ELj4294967295EEENS1_25partition_config_selectorILNS1_17partition_subalgoE4EjNS0_10empty_typeEbEEZZNS1_14partition_implILS8_4ELb0ES6_15HIP_vector_typeIjLj2EENS0_17counting_iteratorIjlEEPS9_SG_NS0_5tupleIJPjSI_NS0_16reverse_iteratorISI_EEEEENSH_IJSG_SG_SG_EEES9_SI_JZNS1_25segmented_radix_sort_implINS0_14default_configELb0EPKiPiPKlPlN2at6native12_GLOBAL__N_18offset_tEEE10hipError_tPvRmT1_PNSt15iterator_traitsIS12_E10value_typeET2_T3_PNS13_IS18_E10value_typeET4_jRbjT5_S1E_jjP12ihipStream_tbEUljE_ZNSN_ISO_Lb0ESQ_SR_ST_SU_SY_EESZ_S10_S11_S12_S16_S17_S18_S1B_S1C_jS1D_jS1E_S1E_jjS1G_bEUljE0_EEESZ_S10_S11_S18_S1C_S1E_T6_T7_T9_mT8_S1G_bDpT10_ENKUlT_T0_E_clISt17integral_constantIbLb0EES1U_EEDaS1P_S1Q_EUlS1P_E_NS1_11comp_targetILNS1_3genE2ELNS1_11target_archE906ELNS1_3gpuE6ELNS1_3repE0EEENS1_30default_config_static_selectorELNS0_4arch9wavefront6targetE0EEEvS12_.numbered_sgpr, 0
	.set _ZN7rocprim17ROCPRIM_400000_NS6detail17trampoline_kernelINS0_13select_configILj256ELj13ELNS0_17block_load_methodE3ELS4_3ELS4_3ELNS0_20block_scan_algorithmE0ELj4294967295EEENS1_25partition_config_selectorILNS1_17partition_subalgoE4EjNS0_10empty_typeEbEEZZNS1_14partition_implILS8_4ELb0ES6_15HIP_vector_typeIjLj2EENS0_17counting_iteratorIjlEEPS9_SG_NS0_5tupleIJPjSI_NS0_16reverse_iteratorISI_EEEEENSH_IJSG_SG_SG_EEES9_SI_JZNS1_25segmented_radix_sort_implINS0_14default_configELb0EPKiPiPKlPlN2at6native12_GLOBAL__N_18offset_tEEE10hipError_tPvRmT1_PNSt15iterator_traitsIS12_E10value_typeET2_T3_PNS13_IS18_E10value_typeET4_jRbjT5_S1E_jjP12ihipStream_tbEUljE_ZNSN_ISO_Lb0ESQ_SR_ST_SU_SY_EESZ_S10_S11_S12_S16_S17_S18_S1B_S1C_jS1D_jS1E_S1E_jjS1G_bEUljE0_EEESZ_S10_S11_S18_S1C_S1E_T6_T7_T9_mT8_S1G_bDpT10_ENKUlT_T0_E_clISt17integral_constantIbLb0EES1U_EEDaS1P_S1Q_EUlS1P_E_NS1_11comp_targetILNS1_3genE2ELNS1_11target_archE906ELNS1_3gpuE6ELNS1_3repE0EEENS1_30default_config_static_selectorELNS0_4arch9wavefront6targetE0EEEvS12_.num_named_barrier, 0
	.set _ZN7rocprim17ROCPRIM_400000_NS6detail17trampoline_kernelINS0_13select_configILj256ELj13ELNS0_17block_load_methodE3ELS4_3ELS4_3ELNS0_20block_scan_algorithmE0ELj4294967295EEENS1_25partition_config_selectorILNS1_17partition_subalgoE4EjNS0_10empty_typeEbEEZZNS1_14partition_implILS8_4ELb0ES6_15HIP_vector_typeIjLj2EENS0_17counting_iteratorIjlEEPS9_SG_NS0_5tupleIJPjSI_NS0_16reverse_iteratorISI_EEEEENSH_IJSG_SG_SG_EEES9_SI_JZNS1_25segmented_radix_sort_implINS0_14default_configELb0EPKiPiPKlPlN2at6native12_GLOBAL__N_18offset_tEEE10hipError_tPvRmT1_PNSt15iterator_traitsIS12_E10value_typeET2_T3_PNS13_IS18_E10value_typeET4_jRbjT5_S1E_jjP12ihipStream_tbEUljE_ZNSN_ISO_Lb0ESQ_SR_ST_SU_SY_EESZ_S10_S11_S12_S16_S17_S18_S1B_S1C_jS1D_jS1E_S1E_jjS1G_bEUljE0_EEESZ_S10_S11_S18_S1C_S1E_T6_T7_T9_mT8_S1G_bDpT10_ENKUlT_T0_E_clISt17integral_constantIbLb0EES1U_EEDaS1P_S1Q_EUlS1P_E_NS1_11comp_targetILNS1_3genE2ELNS1_11target_archE906ELNS1_3gpuE6ELNS1_3repE0EEENS1_30default_config_static_selectorELNS0_4arch9wavefront6targetE0EEEvS12_.private_seg_size, 0
	.set _ZN7rocprim17ROCPRIM_400000_NS6detail17trampoline_kernelINS0_13select_configILj256ELj13ELNS0_17block_load_methodE3ELS4_3ELS4_3ELNS0_20block_scan_algorithmE0ELj4294967295EEENS1_25partition_config_selectorILNS1_17partition_subalgoE4EjNS0_10empty_typeEbEEZZNS1_14partition_implILS8_4ELb0ES6_15HIP_vector_typeIjLj2EENS0_17counting_iteratorIjlEEPS9_SG_NS0_5tupleIJPjSI_NS0_16reverse_iteratorISI_EEEEENSH_IJSG_SG_SG_EEES9_SI_JZNS1_25segmented_radix_sort_implINS0_14default_configELb0EPKiPiPKlPlN2at6native12_GLOBAL__N_18offset_tEEE10hipError_tPvRmT1_PNSt15iterator_traitsIS12_E10value_typeET2_T3_PNS13_IS18_E10value_typeET4_jRbjT5_S1E_jjP12ihipStream_tbEUljE_ZNSN_ISO_Lb0ESQ_SR_ST_SU_SY_EESZ_S10_S11_S12_S16_S17_S18_S1B_S1C_jS1D_jS1E_S1E_jjS1G_bEUljE0_EEESZ_S10_S11_S18_S1C_S1E_T6_T7_T9_mT8_S1G_bDpT10_ENKUlT_T0_E_clISt17integral_constantIbLb0EES1U_EEDaS1P_S1Q_EUlS1P_E_NS1_11comp_targetILNS1_3genE2ELNS1_11target_archE906ELNS1_3gpuE6ELNS1_3repE0EEENS1_30default_config_static_selectorELNS0_4arch9wavefront6targetE0EEEvS12_.uses_vcc, 0
	.set _ZN7rocprim17ROCPRIM_400000_NS6detail17trampoline_kernelINS0_13select_configILj256ELj13ELNS0_17block_load_methodE3ELS4_3ELS4_3ELNS0_20block_scan_algorithmE0ELj4294967295EEENS1_25partition_config_selectorILNS1_17partition_subalgoE4EjNS0_10empty_typeEbEEZZNS1_14partition_implILS8_4ELb0ES6_15HIP_vector_typeIjLj2EENS0_17counting_iteratorIjlEEPS9_SG_NS0_5tupleIJPjSI_NS0_16reverse_iteratorISI_EEEEENSH_IJSG_SG_SG_EEES9_SI_JZNS1_25segmented_radix_sort_implINS0_14default_configELb0EPKiPiPKlPlN2at6native12_GLOBAL__N_18offset_tEEE10hipError_tPvRmT1_PNSt15iterator_traitsIS12_E10value_typeET2_T3_PNS13_IS18_E10value_typeET4_jRbjT5_S1E_jjP12ihipStream_tbEUljE_ZNSN_ISO_Lb0ESQ_SR_ST_SU_SY_EESZ_S10_S11_S12_S16_S17_S18_S1B_S1C_jS1D_jS1E_S1E_jjS1G_bEUljE0_EEESZ_S10_S11_S18_S1C_S1E_T6_T7_T9_mT8_S1G_bDpT10_ENKUlT_T0_E_clISt17integral_constantIbLb0EES1U_EEDaS1P_S1Q_EUlS1P_E_NS1_11comp_targetILNS1_3genE2ELNS1_11target_archE906ELNS1_3gpuE6ELNS1_3repE0EEENS1_30default_config_static_selectorELNS0_4arch9wavefront6targetE0EEEvS12_.uses_flat_scratch, 0
	.set _ZN7rocprim17ROCPRIM_400000_NS6detail17trampoline_kernelINS0_13select_configILj256ELj13ELNS0_17block_load_methodE3ELS4_3ELS4_3ELNS0_20block_scan_algorithmE0ELj4294967295EEENS1_25partition_config_selectorILNS1_17partition_subalgoE4EjNS0_10empty_typeEbEEZZNS1_14partition_implILS8_4ELb0ES6_15HIP_vector_typeIjLj2EENS0_17counting_iteratorIjlEEPS9_SG_NS0_5tupleIJPjSI_NS0_16reverse_iteratorISI_EEEEENSH_IJSG_SG_SG_EEES9_SI_JZNS1_25segmented_radix_sort_implINS0_14default_configELb0EPKiPiPKlPlN2at6native12_GLOBAL__N_18offset_tEEE10hipError_tPvRmT1_PNSt15iterator_traitsIS12_E10value_typeET2_T3_PNS13_IS18_E10value_typeET4_jRbjT5_S1E_jjP12ihipStream_tbEUljE_ZNSN_ISO_Lb0ESQ_SR_ST_SU_SY_EESZ_S10_S11_S12_S16_S17_S18_S1B_S1C_jS1D_jS1E_S1E_jjS1G_bEUljE0_EEESZ_S10_S11_S18_S1C_S1E_T6_T7_T9_mT8_S1G_bDpT10_ENKUlT_T0_E_clISt17integral_constantIbLb0EES1U_EEDaS1P_S1Q_EUlS1P_E_NS1_11comp_targetILNS1_3genE2ELNS1_11target_archE906ELNS1_3gpuE6ELNS1_3repE0EEENS1_30default_config_static_selectorELNS0_4arch9wavefront6targetE0EEEvS12_.has_dyn_sized_stack, 0
	.set _ZN7rocprim17ROCPRIM_400000_NS6detail17trampoline_kernelINS0_13select_configILj256ELj13ELNS0_17block_load_methodE3ELS4_3ELS4_3ELNS0_20block_scan_algorithmE0ELj4294967295EEENS1_25partition_config_selectorILNS1_17partition_subalgoE4EjNS0_10empty_typeEbEEZZNS1_14partition_implILS8_4ELb0ES6_15HIP_vector_typeIjLj2EENS0_17counting_iteratorIjlEEPS9_SG_NS0_5tupleIJPjSI_NS0_16reverse_iteratorISI_EEEEENSH_IJSG_SG_SG_EEES9_SI_JZNS1_25segmented_radix_sort_implINS0_14default_configELb0EPKiPiPKlPlN2at6native12_GLOBAL__N_18offset_tEEE10hipError_tPvRmT1_PNSt15iterator_traitsIS12_E10value_typeET2_T3_PNS13_IS18_E10value_typeET4_jRbjT5_S1E_jjP12ihipStream_tbEUljE_ZNSN_ISO_Lb0ESQ_SR_ST_SU_SY_EESZ_S10_S11_S12_S16_S17_S18_S1B_S1C_jS1D_jS1E_S1E_jjS1G_bEUljE0_EEESZ_S10_S11_S18_S1C_S1E_T6_T7_T9_mT8_S1G_bDpT10_ENKUlT_T0_E_clISt17integral_constantIbLb0EES1U_EEDaS1P_S1Q_EUlS1P_E_NS1_11comp_targetILNS1_3genE2ELNS1_11target_archE906ELNS1_3gpuE6ELNS1_3repE0EEENS1_30default_config_static_selectorELNS0_4arch9wavefront6targetE0EEEvS12_.has_recursion, 0
	.set _ZN7rocprim17ROCPRIM_400000_NS6detail17trampoline_kernelINS0_13select_configILj256ELj13ELNS0_17block_load_methodE3ELS4_3ELS4_3ELNS0_20block_scan_algorithmE0ELj4294967295EEENS1_25partition_config_selectorILNS1_17partition_subalgoE4EjNS0_10empty_typeEbEEZZNS1_14partition_implILS8_4ELb0ES6_15HIP_vector_typeIjLj2EENS0_17counting_iteratorIjlEEPS9_SG_NS0_5tupleIJPjSI_NS0_16reverse_iteratorISI_EEEEENSH_IJSG_SG_SG_EEES9_SI_JZNS1_25segmented_radix_sort_implINS0_14default_configELb0EPKiPiPKlPlN2at6native12_GLOBAL__N_18offset_tEEE10hipError_tPvRmT1_PNSt15iterator_traitsIS12_E10value_typeET2_T3_PNS13_IS18_E10value_typeET4_jRbjT5_S1E_jjP12ihipStream_tbEUljE_ZNSN_ISO_Lb0ESQ_SR_ST_SU_SY_EESZ_S10_S11_S12_S16_S17_S18_S1B_S1C_jS1D_jS1E_S1E_jjS1G_bEUljE0_EEESZ_S10_S11_S18_S1C_S1E_T6_T7_T9_mT8_S1G_bDpT10_ENKUlT_T0_E_clISt17integral_constantIbLb0EES1U_EEDaS1P_S1Q_EUlS1P_E_NS1_11comp_targetILNS1_3genE2ELNS1_11target_archE906ELNS1_3gpuE6ELNS1_3repE0EEENS1_30default_config_static_selectorELNS0_4arch9wavefront6targetE0EEEvS12_.has_indirect_call, 0
	.section	.AMDGPU.csdata,"",@progbits
; Kernel info:
; codeLenInByte = 0
; TotalNumSgprs: 0
; NumVgprs: 0
; ScratchSize: 0
; MemoryBound: 0
; FloatMode: 240
; IeeeMode: 1
; LDSByteSize: 0 bytes/workgroup (compile time only)
; SGPRBlocks: 0
; VGPRBlocks: 0
; NumSGPRsForWavesPerEU: 1
; NumVGPRsForWavesPerEU: 1
; Occupancy: 16
; WaveLimiterHint : 0
; COMPUTE_PGM_RSRC2:SCRATCH_EN: 0
; COMPUTE_PGM_RSRC2:USER_SGPR: 2
; COMPUTE_PGM_RSRC2:TRAP_HANDLER: 0
; COMPUTE_PGM_RSRC2:TGID_X_EN: 1
; COMPUTE_PGM_RSRC2:TGID_Y_EN: 0
; COMPUTE_PGM_RSRC2:TGID_Z_EN: 0
; COMPUTE_PGM_RSRC2:TIDIG_COMP_CNT: 0
	.section	.text._ZN7rocprim17ROCPRIM_400000_NS6detail17trampoline_kernelINS0_13select_configILj256ELj13ELNS0_17block_load_methodE3ELS4_3ELS4_3ELNS0_20block_scan_algorithmE0ELj4294967295EEENS1_25partition_config_selectorILNS1_17partition_subalgoE4EjNS0_10empty_typeEbEEZZNS1_14partition_implILS8_4ELb0ES6_15HIP_vector_typeIjLj2EENS0_17counting_iteratorIjlEEPS9_SG_NS0_5tupleIJPjSI_NS0_16reverse_iteratorISI_EEEEENSH_IJSG_SG_SG_EEES9_SI_JZNS1_25segmented_radix_sort_implINS0_14default_configELb0EPKiPiPKlPlN2at6native12_GLOBAL__N_18offset_tEEE10hipError_tPvRmT1_PNSt15iterator_traitsIS12_E10value_typeET2_T3_PNS13_IS18_E10value_typeET4_jRbjT5_S1E_jjP12ihipStream_tbEUljE_ZNSN_ISO_Lb0ESQ_SR_ST_SU_SY_EESZ_S10_S11_S12_S16_S17_S18_S1B_S1C_jS1D_jS1E_S1E_jjS1G_bEUljE0_EEESZ_S10_S11_S18_S1C_S1E_T6_T7_T9_mT8_S1G_bDpT10_ENKUlT_T0_E_clISt17integral_constantIbLb0EES1U_EEDaS1P_S1Q_EUlS1P_E_NS1_11comp_targetILNS1_3genE10ELNS1_11target_archE1200ELNS1_3gpuE4ELNS1_3repE0EEENS1_30default_config_static_selectorELNS0_4arch9wavefront6targetE0EEEvS12_,"axG",@progbits,_ZN7rocprim17ROCPRIM_400000_NS6detail17trampoline_kernelINS0_13select_configILj256ELj13ELNS0_17block_load_methodE3ELS4_3ELS4_3ELNS0_20block_scan_algorithmE0ELj4294967295EEENS1_25partition_config_selectorILNS1_17partition_subalgoE4EjNS0_10empty_typeEbEEZZNS1_14partition_implILS8_4ELb0ES6_15HIP_vector_typeIjLj2EENS0_17counting_iteratorIjlEEPS9_SG_NS0_5tupleIJPjSI_NS0_16reverse_iteratorISI_EEEEENSH_IJSG_SG_SG_EEES9_SI_JZNS1_25segmented_radix_sort_implINS0_14default_configELb0EPKiPiPKlPlN2at6native12_GLOBAL__N_18offset_tEEE10hipError_tPvRmT1_PNSt15iterator_traitsIS12_E10value_typeET2_T3_PNS13_IS18_E10value_typeET4_jRbjT5_S1E_jjP12ihipStream_tbEUljE_ZNSN_ISO_Lb0ESQ_SR_ST_SU_SY_EESZ_S10_S11_S12_S16_S17_S18_S1B_S1C_jS1D_jS1E_S1E_jjS1G_bEUljE0_EEESZ_S10_S11_S18_S1C_S1E_T6_T7_T9_mT8_S1G_bDpT10_ENKUlT_T0_E_clISt17integral_constantIbLb0EES1U_EEDaS1P_S1Q_EUlS1P_E_NS1_11comp_targetILNS1_3genE10ELNS1_11target_archE1200ELNS1_3gpuE4ELNS1_3repE0EEENS1_30default_config_static_selectorELNS0_4arch9wavefront6targetE0EEEvS12_,comdat
	.globl	_ZN7rocprim17ROCPRIM_400000_NS6detail17trampoline_kernelINS0_13select_configILj256ELj13ELNS0_17block_load_methodE3ELS4_3ELS4_3ELNS0_20block_scan_algorithmE0ELj4294967295EEENS1_25partition_config_selectorILNS1_17partition_subalgoE4EjNS0_10empty_typeEbEEZZNS1_14partition_implILS8_4ELb0ES6_15HIP_vector_typeIjLj2EENS0_17counting_iteratorIjlEEPS9_SG_NS0_5tupleIJPjSI_NS0_16reverse_iteratorISI_EEEEENSH_IJSG_SG_SG_EEES9_SI_JZNS1_25segmented_radix_sort_implINS0_14default_configELb0EPKiPiPKlPlN2at6native12_GLOBAL__N_18offset_tEEE10hipError_tPvRmT1_PNSt15iterator_traitsIS12_E10value_typeET2_T3_PNS13_IS18_E10value_typeET4_jRbjT5_S1E_jjP12ihipStream_tbEUljE_ZNSN_ISO_Lb0ESQ_SR_ST_SU_SY_EESZ_S10_S11_S12_S16_S17_S18_S1B_S1C_jS1D_jS1E_S1E_jjS1G_bEUljE0_EEESZ_S10_S11_S18_S1C_S1E_T6_T7_T9_mT8_S1G_bDpT10_ENKUlT_T0_E_clISt17integral_constantIbLb0EES1U_EEDaS1P_S1Q_EUlS1P_E_NS1_11comp_targetILNS1_3genE10ELNS1_11target_archE1200ELNS1_3gpuE4ELNS1_3repE0EEENS1_30default_config_static_selectorELNS0_4arch9wavefront6targetE0EEEvS12_ ; -- Begin function _ZN7rocprim17ROCPRIM_400000_NS6detail17trampoline_kernelINS0_13select_configILj256ELj13ELNS0_17block_load_methodE3ELS4_3ELS4_3ELNS0_20block_scan_algorithmE0ELj4294967295EEENS1_25partition_config_selectorILNS1_17partition_subalgoE4EjNS0_10empty_typeEbEEZZNS1_14partition_implILS8_4ELb0ES6_15HIP_vector_typeIjLj2EENS0_17counting_iteratorIjlEEPS9_SG_NS0_5tupleIJPjSI_NS0_16reverse_iteratorISI_EEEEENSH_IJSG_SG_SG_EEES9_SI_JZNS1_25segmented_radix_sort_implINS0_14default_configELb0EPKiPiPKlPlN2at6native12_GLOBAL__N_18offset_tEEE10hipError_tPvRmT1_PNSt15iterator_traitsIS12_E10value_typeET2_T3_PNS13_IS18_E10value_typeET4_jRbjT5_S1E_jjP12ihipStream_tbEUljE_ZNSN_ISO_Lb0ESQ_SR_ST_SU_SY_EESZ_S10_S11_S12_S16_S17_S18_S1B_S1C_jS1D_jS1E_S1E_jjS1G_bEUljE0_EEESZ_S10_S11_S18_S1C_S1E_T6_T7_T9_mT8_S1G_bDpT10_ENKUlT_T0_E_clISt17integral_constantIbLb0EES1U_EEDaS1P_S1Q_EUlS1P_E_NS1_11comp_targetILNS1_3genE10ELNS1_11target_archE1200ELNS1_3gpuE4ELNS1_3repE0EEENS1_30default_config_static_selectorELNS0_4arch9wavefront6targetE0EEEvS12_
	.p2align	8
	.type	_ZN7rocprim17ROCPRIM_400000_NS6detail17trampoline_kernelINS0_13select_configILj256ELj13ELNS0_17block_load_methodE3ELS4_3ELS4_3ELNS0_20block_scan_algorithmE0ELj4294967295EEENS1_25partition_config_selectorILNS1_17partition_subalgoE4EjNS0_10empty_typeEbEEZZNS1_14partition_implILS8_4ELb0ES6_15HIP_vector_typeIjLj2EENS0_17counting_iteratorIjlEEPS9_SG_NS0_5tupleIJPjSI_NS0_16reverse_iteratorISI_EEEEENSH_IJSG_SG_SG_EEES9_SI_JZNS1_25segmented_radix_sort_implINS0_14default_configELb0EPKiPiPKlPlN2at6native12_GLOBAL__N_18offset_tEEE10hipError_tPvRmT1_PNSt15iterator_traitsIS12_E10value_typeET2_T3_PNS13_IS18_E10value_typeET4_jRbjT5_S1E_jjP12ihipStream_tbEUljE_ZNSN_ISO_Lb0ESQ_SR_ST_SU_SY_EESZ_S10_S11_S12_S16_S17_S18_S1B_S1C_jS1D_jS1E_S1E_jjS1G_bEUljE0_EEESZ_S10_S11_S18_S1C_S1E_T6_T7_T9_mT8_S1G_bDpT10_ENKUlT_T0_E_clISt17integral_constantIbLb0EES1U_EEDaS1P_S1Q_EUlS1P_E_NS1_11comp_targetILNS1_3genE10ELNS1_11target_archE1200ELNS1_3gpuE4ELNS1_3repE0EEENS1_30default_config_static_selectorELNS0_4arch9wavefront6targetE0EEEvS12_,@function
_ZN7rocprim17ROCPRIM_400000_NS6detail17trampoline_kernelINS0_13select_configILj256ELj13ELNS0_17block_load_methodE3ELS4_3ELS4_3ELNS0_20block_scan_algorithmE0ELj4294967295EEENS1_25partition_config_selectorILNS1_17partition_subalgoE4EjNS0_10empty_typeEbEEZZNS1_14partition_implILS8_4ELb0ES6_15HIP_vector_typeIjLj2EENS0_17counting_iteratorIjlEEPS9_SG_NS0_5tupleIJPjSI_NS0_16reverse_iteratorISI_EEEEENSH_IJSG_SG_SG_EEES9_SI_JZNS1_25segmented_radix_sort_implINS0_14default_configELb0EPKiPiPKlPlN2at6native12_GLOBAL__N_18offset_tEEE10hipError_tPvRmT1_PNSt15iterator_traitsIS12_E10value_typeET2_T3_PNS13_IS18_E10value_typeET4_jRbjT5_S1E_jjP12ihipStream_tbEUljE_ZNSN_ISO_Lb0ESQ_SR_ST_SU_SY_EESZ_S10_S11_S12_S16_S17_S18_S1B_S1C_jS1D_jS1E_S1E_jjS1G_bEUljE0_EEESZ_S10_S11_S18_S1C_S1E_T6_T7_T9_mT8_S1G_bDpT10_ENKUlT_T0_E_clISt17integral_constantIbLb0EES1U_EEDaS1P_S1Q_EUlS1P_E_NS1_11comp_targetILNS1_3genE10ELNS1_11target_archE1200ELNS1_3gpuE4ELNS1_3repE0EEENS1_30default_config_static_selectorELNS0_4arch9wavefront6targetE0EEEvS12_: ; @_ZN7rocprim17ROCPRIM_400000_NS6detail17trampoline_kernelINS0_13select_configILj256ELj13ELNS0_17block_load_methodE3ELS4_3ELS4_3ELNS0_20block_scan_algorithmE0ELj4294967295EEENS1_25partition_config_selectorILNS1_17partition_subalgoE4EjNS0_10empty_typeEbEEZZNS1_14partition_implILS8_4ELb0ES6_15HIP_vector_typeIjLj2EENS0_17counting_iteratorIjlEEPS9_SG_NS0_5tupleIJPjSI_NS0_16reverse_iteratorISI_EEEEENSH_IJSG_SG_SG_EEES9_SI_JZNS1_25segmented_radix_sort_implINS0_14default_configELb0EPKiPiPKlPlN2at6native12_GLOBAL__N_18offset_tEEE10hipError_tPvRmT1_PNSt15iterator_traitsIS12_E10value_typeET2_T3_PNS13_IS18_E10value_typeET4_jRbjT5_S1E_jjP12ihipStream_tbEUljE_ZNSN_ISO_Lb0ESQ_SR_ST_SU_SY_EESZ_S10_S11_S12_S16_S17_S18_S1B_S1C_jS1D_jS1E_S1E_jjS1G_bEUljE0_EEESZ_S10_S11_S18_S1C_S1E_T6_T7_T9_mT8_S1G_bDpT10_ENKUlT_T0_E_clISt17integral_constantIbLb0EES1U_EEDaS1P_S1Q_EUlS1P_E_NS1_11comp_targetILNS1_3genE10ELNS1_11target_archE1200ELNS1_3gpuE4ELNS1_3repE0EEENS1_30default_config_static_selectorELNS0_4arch9wavefront6targetE0EEEvS12_
; %bb.0:
	s_clause 0x6
	s_load_b32 s6, s[0:1], 0x80
	s_load_b128 s[24:27], s[0:1], 0x58
	s_load_b64 s[34:35], s[0:1], 0x10
	s_load_b64 s[2:3], s[0:1], 0x68
	s_load_b32 s7, s[0:1], 0x8
	s_load_b64 s[42:43], s[0:1], 0xa8
	s_load_b256 s[16:23], s[0:1], 0x88
	s_mov_b32 s5, 0
	s_mul_i32 s40, ttmp9, 0xd00
	s_wait_kmcnt 0x0
	s_mul_i32 s4, s6, 0xd00
	s_load_b128 s[28:31], s[26:27], 0x0
	s_add_co_i32 s8, s4, s34
	s_add_co_i32 s6, s6, -1
	s_sub_co_i32 s33, s2, s8
	s_add_nc_u64 s[4:5], s[34:35], s[4:5]
	s_addk_co_i32 s33, 0xd00
	s_cmp_eq_u32 ttmp9, s6
	v_cmp_gt_u64_e64 s2, s[2:3], s[4:5]
	s_cselect_b32 s15, -1, 0
	s_cmp_lg_u32 ttmp9, s6
	s_mov_b32 s5, -1
	s_cselect_b32 s3, -1, 0
	s_add_co_i32 s4, s7, s40
	s_wait_alu 0xfffe
	s_or_b32 s3, s3, s2
	s_add_co_i32 s4, s4, s34
	s_wait_alu 0xfffe
	s_and_b32 vcc_lo, exec_lo, s3
	v_add_nc_u32_e32 v1, s4, v0
	s_cbranch_vccz .LBB541_2
; %bb.1:
	s_delay_alu instid0(VALU_DEP_1)
	v_add_nc_u32_e32 v2, 0x100, v1
	v_lshlrev_b32_e32 v10, 2, v0
	v_add_nc_u32_e32 v3, 0x200, v1
	v_add_nc_u32_e32 v4, 0x300, v1
	;; [unrolled: 1-line block ×11, first 2 shown]
	ds_store_2addr_stride64_b32 v10, v1, v2 offset1:4
	ds_store_2addr_stride64_b32 v10, v3, v4 offset0:8 offset1:12
	ds_store_2addr_stride64_b32 v10, v5, v6 offset0:16 offset1:20
	;; [unrolled: 1-line block ×5, first 2 shown]
	ds_store_b32 v10, v14 offset:12288
	s_wait_dscnt 0x0
	s_barrier_signal -1
	s_mov_b32 s5, 0
	s_barrier_wait -1
.LBB541_2:
	v_cmp_gt_u32_e64 s2, s33, v0
	v_or_b32_e32 v38, 0x100, v0
	v_or_b32_e32 v37, 0x200, v0
	;; [unrolled: 1-line block ×12, first 2 shown]
	s_wait_alu 0xfffe
	s_and_not1_b32 vcc_lo, exec_lo, s5
	s_cbranch_vccnz .LBB541_4
; %bb.3:
	v_cmp_gt_u32_e32 vcc_lo, s33, v38
	v_add_nc_u32_e32 v3, s4, v37
	v_add_nc_u32_e32 v2, s4, v38
	v_cndmask_b32_e64 v1, 0, v1, s2
	v_lshlrev_b32_e32 v14, 2, v0
	s_delay_alu instid0(VALU_DEP_3)
	v_cndmask_b32_e32 v2, 0, v2, vcc_lo
	v_cmp_gt_u32_e32 vcc_lo, s33, v37
	s_wait_alu 0xfffd
	v_cndmask_b32_e32 v3, 0, v3, vcc_lo
	v_cmp_gt_u32_e32 vcc_lo, s33, v36
	v_add_nc_u32_e32 v5, s4, v35
	v_add_nc_u32_e32 v4, s4, v36
	s_wait_alu 0xfffd
	s_delay_alu instid0(VALU_DEP_1)
	v_cndmask_b32_e32 v4, 0, v4, vcc_lo
	v_cmp_gt_u32_e32 vcc_lo, s33, v35
	s_wait_alu 0xfffd
	v_cndmask_b32_e32 v5, 0, v5, vcc_lo
	v_cmp_gt_u32_e32 vcc_lo, s33, v34
	v_add_nc_u32_e32 v7, s4, v33
	v_add_nc_u32_e32 v6, s4, v34
	s_wait_alu 0xfffd
	s_delay_alu instid0(VALU_DEP_1)
	;; [unrolled: 9-line block ×5, first 2 shown]
	v_cndmask_b32_e32 v12, 0, v12, vcc_lo
	v_cmp_gt_u32_e32 vcc_lo, s33, v27
	s_wait_alu 0xfffd
	v_cndmask_b32_e32 v13, 0, v13, vcc_lo
	ds_store_2addr_stride64_b32 v14, v1, v2 offset1:4
	ds_store_2addr_stride64_b32 v14, v3, v4 offset0:8 offset1:12
	ds_store_2addr_stride64_b32 v14, v5, v6 offset0:16 offset1:20
	;; [unrolled: 1-line block ×5, first 2 shown]
	ds_store_b32 v14, v13 offset:12288
	s_wait_dscnt 0x0
	s_barrier_signal -1
	s_barrier_wait -1
.LBB541_4:
	v_mul_u32_u24_e32 v41, 13, v0
	s_clause 0x1
	s_load_b128 s[36:39], s[0:1], 0x28
	s_load_b64 s[26:27], s[0:1], 0x38
	global_inv scope:SCOPE_SE
	v_cndmask_b32_e64 v39, 0, 1, s3
	s_and_not1_b32 vcc_lo, exec_lo, s3
	v_lshlrev_b32_e32 v1, 2, v41
	ds_load_2addr_b32 v[19:20], v1 offset1:1
	ds_load_2addr_b32 v[17:18], v1 offset0:2 offset1:3
	ds_load_2addr_b32 v[15:16], v1 offset0:4 offset1:5
	;; [unrolled: 1-line block ×5, first 2 shown]
	ds_load_b32 v40, v1 offset:48
	s_wait_loadcnt_dscnt 0x0
	s_barrier_signal -1
	s_barrier_wait -1
	global_inv scope:SCOPE_SE
	s_wait_alu 0xfffe
	s_cbranch_vccnz .LBB541_32
; %bb.5:
	v_add_nc_u32_e32 v1, s17, v19
	v_add_nc_u32_e32 v2, s19, v19
	s_mov_b32 s44, 0
	s_mov_b32 s41, 0
	s_mov_b32 s3, exec_lo
	v_mul_lo_u32 v1, v1, s16
	v_mul_lo_u32 v2, v2, s18
	s_delay_alu instid0(VALU_DEP_1) | instskip(NEXT) | instid1(VALU_DEP_1)
	v_sub_nc_u32_e32 v1, v1, v2
	v_cmp_lt_u32_e32 vcc_lo, s20, v1
	v_cmpx_ge_u32_e64 s20, v1
	s_cbranch_execz .LBB541_7
; %bb.6:
	v_add_nc_u32_e32 v1, s22, v19
	v_add_nc_u32_e32 v2, s42, v19
	s_delay_alu instid0(VALU_DEP_2) | instskip(NEXT) | instid1(VALU_DEP_2)
	v_mul_lo_u32 v1, v1, s21
	v_mul_lo_u32 v2, v2, s23
	s_delay_alu instid0(VALU_DEP_1) | instskip(NEXT) | instid1(VALU_DEP_1)
	v_sub_nc_u32_e32 v1, v1, v2
	v_cmp_lt_u32_e64 s2, s43, v1
	s_and_b32 s41, s2, exec_lo
.LBB541_7:
	s_wait_alu 0xfffe
	s_or_b32 exec_lo, exec_lo, s3
	v_add_nc_u32_e32 v1, s17, v20
	v_add_nc_u32_e32 v2, s19, v20
	s_mov_b32 s4, exec_lo
	s_delay_alu instid0(VALU_DEP_2) | instskip(NEXT) | instid1(VALU_DEP_2)
	v_mul_lo_u32 v1, v1, s16
	v_mul_lo_u32 v2, v2, s18
	s_delay_alu instid0(VALU_DEP_1) | instskip(NEXT) | instid1(VALU_DEP_1)
	v_sub_nc_u32_e32 v1, v1, v2
	v_cmp_lt_u32_e64 s2, s20, v1
	v_cmpx_ge_u32_e64 s20, v1
	s_cbranch_execz .LBB541_9
; %bb.8:
	v_add_nc_u32_e32 v1, s22, v20
	v_add_nc_u32_e32 v2, s42, v20
	s_delay_alu instid0(VALU_DEP_2) | instskip(NEXT) | instid1(VALU_DEP_2)
	v_mul_lo_u32 v1, v1, s21
	v_mul_lo_u32 v2, v2, s23
	s_delay_alu instid0(VALU_DEP_1) | instskip(NEXT) | instid1(VALU_DEP_1)
	v_sub_nc_u32_e32 v1, v1, v2
	v_cmp_lt_u32_e64 s3, s43, v1
	s_and_b32 s44, s3, exec_lo
.LBB541_9:
	s_wait_alu 0xfffe
	s_or_b32 exec_lo, exec_lo, s4
	v_add_nc_u32_e32 v1, s17, v17
	v_add_nc_u32_e32 v2, s19, v17
	s_mov_b32 s46, 0
	s_mov_b32 s45, 0
	s_mov_b32 s5, exec_lo
	v_mul_lo_u32 v1, v1, s16
	v_mul_lo_u32 v2, v2, s18
	s_delay_alu instid0(VALU_DEP_1) | instskip(NEXT) | instid1(VALU_DEP_1)
	v_sub_nc_u32_e32 v1, v1, v2
	v_cmp_lt_u32_e64 s3, s20, v1
	v_cmpx_ge_u32_e64 s20, v1
	s_cbranch_execz .LBB541_11
; %bb.10:
	v_add_nc_u32_e32 v1, s22, v17
	v_add_nc_u32_e32 v2, s42, v17
	s_delay_alu instid0(VALU_DEP_2) | instskip(NEXT) | instid1(VALU_DEP_2)
	v_mul_lo_u32 v1, v1, s21
	v_mul_lo_u32 v2, v2, s23
	s_delay_alu instid0(VALU_DEP_1) | instskip(NEXT) | instid1(VALU_DEP_1)
	v_sub_nc_u32_e32 v1, v1, v2
	v_cmp_lt_u32_e64 s4, s43, v1
	s_and_b32 s45, s4, exec_lo
.LBB541_11:
	s_wait_alu 0xfffe
	s_or_b32 exec_lo, exec_lo, s5
	v_add_nc_u32_e32 v1, s17, v18
	v_add_nc_u32_e32 v2, s19, v18
	s_mov_b32 s6, exec_lo
	s_delay_alu instid0(VALU_DEP_2) | instskip(NEXT) | instid1(VALU_DEP_2)
	v_mul_lo_u32 v1, v1, s16
	v_mul_lo_u32 v2, v2, s18
	s_delay_alu instid0(VALU_DEP_1) | instskip(NEXT) | instid1(VALU_DEP_1)
	v_sub_nc_u32_e32 v1, v1, v2
	v_cmp_lt_u32_e64 s4, s20, v1
	v_cmpx_ge_u32_e64 s20, v1
	s_cbranch_execz .LBB541_13
; %bb.12:
	v_add_nc_u32_e32 v1, s22, v18
	v_add_nc_u32_e32 v2, s42, v18
	s_delay_alu instid0(VALU_DEP_2) | instskip(NEXT) | instid1(VALU_DEP_2)
	v_mul_lo_u32 v1, v1, s21
	v_mul_lo_u32 v2, v2, s23
	s_delay_alu instid0(VALU_DEP_1) | instskip(NEXT) | instid1(VALU_DEP_1)
	v_sub_nc_u32_e32 v1, v1, v2
	v_cmp_lt_u32_e64 s5, s43, v1
	s_and_b32 s46, s5, exec_lo
.LBB541_13:
	s_or_b32 exec_lo, exec_lo, s6
	v_add_nc_u32_e32 v1, s17, v15
	v_add_nc_u32_e32 v2, s19, v15
	s_mov_b32 s48, 0
	s_mov_b32 s47, 0
	s_mov_b32 s7, exec_lo
	v_mul_lo_u32 v1, v1, s16
	v_mul_lo_u32 v2, v2, s18
	s_delay_alu instid0(VALU_DEP_1) | instskip(NEXT) | instid1(VALU_DEP_1)
	v_sub_nc_u32_e32 v1, v1, v2
	v_cmp_lt_u32_e64 s5, s20, v1
	v_cmpx_ge_u32_e64 s20, v1
	s_cbranch_execz .LBB541_15
; %bb.14:
	v_add_nc_u32_e32 v1, s22, v15
	v_add_nc_u32_e32 v2, s42, v15
	s_delay_alu instid0(VALU_DEP_2) | instskip(NEXT) | instid1(VALU_DEP_2)
	v_mul_lo_u32 v1, v1, s21
	v_mul_lo_u32 v2, v2, s23
	s_delay_alu instid0(VALU_DEP_1) | instskip(NEXT) | instid1(VALU_DEP_1)
	v_sub_nc_u32_e32 v1, v1, v2
	v_cmp_lt_u32_e64 s6, s43, v1
	s_and_b32 s47, s6, exec_lo
.LBB541_15:
	s_or_b32 exec_lo, exec_lo, s7
	v_add_nc_u32_e32 v1, s17, v16
	v_add_nc_u32_e32 v2, s19, v16
	s_mov_b32 s8, exec_lo
	s_delay_alu instid0(VALU_DEP_2) | instskip(NEXT) | instid1(VALU_DEP_2)
	v_mul_lo_u32 v1, v1, s16
	v_mul_lo_u32 v2, v2, s18
	s_delay_alu instid0(VALU_DEP_1) | instskip(NEXT) | instid1(VALU_DEP_1)
	v_sub_nc_u32_e32 v1, v1, v2
	v_cmp_lt_u32_e64 s6, s20, v1
	v_cmpx_ge_u32_e64 s20, v1
	s_cbranch_execz .LBB541_17
; %bb.16:
	v_add_nc_u32_e32 v1, s22, v16
	v_add_nc_u32_e32 v2, s42, v16
	s_delay_alu instid0(VALU_DEP_2) | instskip(NEXT) | instid1(VALU_DEP_2)
	v_mul_lo_u32 v1, v1, s21
	v_mul_lo_u32 v2, v2, s23
	s_delay_alu instid0(VALU_DEP_1) | instskip(NEXT) | instid1(VALU_DEP_1)
	v_sub_nc_u32_e32 v1, v1, v2
	v_cmp_lt_u32_e64 s7, s43, v1
	s_and_b32 s48, s7, exec_lo
.LBB541_17:
	s_or_b32 exec_lo, exec_lo, s8
	v_add_nc_u32_e32 v1, s17, v13
	v_add_nc_u32_e32 v2, s19, v13
	s_mov_b32 s50, 0
	s_mov_b32 s49, 0
	s_mov_b32 s9, exec_lo
	v_mul_lo_u32 v1, v1, s16
	v_mul_lo_u32 v2, v2, s18
	s_delay_alu instid0(VALU_DEP_1) | instskip(NEXT) | instid1(VALU_DEP_1)
	v_sub_nc_u32_e32 v1, v1, v2
	v_cmp_lt_u32_e64 s7, s20, v1
	v_cmpx_ge_u32_e64 s20, v1
	s_cbranch_execz .LBB541_19
; %bb.18:
	v_add_nc_u32_e32 v1, s22, v13
	v_add_nc_u32_e32 v2, s42, v13
	s_delay_alu instid0(VALU_DEP_2) | instskip(NEXT) | instid1(VALU_DEP_2)
	v_mul_lo_u32 v1, v1, s21
	v_mul_lo_u32 v2, v2, s23
	s_delay_alu instid0(VALU_DEP_1) | instskip(NEXT) | instid1(VALU_DEP_1)
	v_sub_nc_u32_e32 v1, v1, v2
	v_cmp_lt_u32_e64 s8, s43, v1
	s_and_b32 s49, s8, exec_lo
.LBB541_19:
	s_or_b32 exec_lo, exec_lo, s9
	v_add_nc_u32_e32 v1, s17, v14
	v_add_nc_u32_e32 v2, s19, v14
	s_mov_b32 s10, exec_lo
	s_delay_alu instid0(VALU_DEP_2) | instskip(NEXT) | instid1(VALU_DEP_2)
	v_mul_lo_u32 v1, v1, s16
	v_mul_lo_u32 v2, v2, s18
	s_delay_alu instid0(VALU_DEP_1) | instskip(NEXT) | instid1(VALU_DEP_1)
	v_sub_nc_u32_e32 v1, v1, v2
	v_cmp_lt_u32_e64 s8, s20, v1
	v_cmpx_ge_u32_e64 s20, v1
	s_cbranch_execz .LBB541_21
; %bb.20:
	v_add_nc_u32_e32 v1, s22, v14
	v_add_nc_u32_e32 v2, s42, v14
	s_delay_alu instid0(VALU_DEP_2) | instskip(NEXT) | instid1(VALU_DEP_2)
	v_mul_lo_u32 v1, v1, s21
	v_mul_lo_u32 v2, v2, s23
	s_delay_alu instid0(VALU_DEP_1) | instskip(NEXT) | instid1(VALU_DEP_1)
	v_sub_nc_u32_e32 v1, v1, v2
	v_cmp_lt_u32_e64 s9, s43, v1
	s_and_b32 s50, s9, exec_lo
.LBB541_21:
	s_or_b32 exec_lo, exec_lo, s10
	v_add_nc_u32_e32 v1, s17, v11
	v_add_nc_u32_e32 v2, s19, v11
	s_mov_b32 s53, 0
	s_mov_b32 s52, 0
	s_mov_b32 s11, exec_lo
	v_mul_lo_u32 v1, v1, s16
	v_mul_lo_u32 v2, v2, s18
	s_delay_alu instid0(VALU_DEP_1) | instskip(NEXT) | instid1(VALU_DEP_1)
	v_sub_nc_u32_e32 v1, v1, v2
	v_cmp_lt_u32_e64 s9, s20, v1
	v_cmpx_ge_u32_e64 s20, v1
	s_cbranch_execz .LBB541_23
; %bb.22:
	v_add_nc_u32_e32 v1, s22, v11
	v_add_nc_u32_e32 v2, s42, v11
	s_delay_alu instid0(VALU_DEP_2) | instskip(NEXT) | instid1(VALU_DEP_2)
	v_mul_lo_u32 v1, v1, s21
	v_mul_lo_u32 v2, v2, s23
	s_delay_alu instid0(VALU_DEP_1) | instskip(NEXT) | instid1(VALU_DEP_1)
	v_sub_nc_u32_e32 v1, v1, v2
	v_cmp_lt_u32_e64 s10, s43, v1
	s_and_b32 s52, s10, exec_lo
.LBB541_23:
	s_or_b32 exec_lo, exec_lo, s11
	v_add_nc_u32_e32 v1, s17, v12
	v_add_nc_u32_e32 v2, s19, v12
	s_mov_b32 s12, exec_lo
	s_delay_alu instid0(VALU_DEP_2) | instskip(NEXT) | instid1(VALU_DEP_2)
	v_mul_lo_u32 v1, v1, s16
	v_mul_lo_u32 v2, v2, s18
	s_delay_alu instid0(VALU_DEP_1) | instskip(NEXT) | instid1(VALU_DEP_1)
	v_sub_nc_u32_e32 v1, v1, v2
	v_cmp_lt_u32_e64 s10, s20, v1
	v_cmpx_ge_u32_e64 s20, v1
	s_cbranch_execz .LBB541_25
; %bb.24:
	v_add_nc_u32_e32 v1, s22, v12
	v_add_nc_u32_e32 v2, s42, v12
	s_delay_alu instid0(VALU_DEP_2) | instskip(NEXT) | instid1(VALU_DEP_2)
	v_mul_lo_u32 v1, v1, s21
	v_mul_lo_u32 v2, v2, s23
	s_delay_alu instid0(VALU_DEP_1) | instskip(NEXT) | instid1(VALU_DEP_1)
	v_sub_nc_u32_e32 v1, v1, v2
	v_cmp_lt_u32_e64 s11, s43, v1
	s_and_b32 s53, s11, exec_lo
.LBB541_25:
	s_or_b32 exec_lo, exec_lo, s12
	v_add_nc_u32_e32 v1, s17, v9
	v_add_nc_u32_e32 v2, s19, v9
	s_mov_b32 s54, 0
	s_mov_b32 s55, 0
	s_mov_b32 s13, exec_lo
	v_mul_lo_u32 v1, v1, s16
	v_mul_lo_u32 v2, v2, s18
	s_delay_alu instid0(VALU_DEP_1) | instskip(NEXT) | instid1(VALU_DEP_1)
	v_sub_nc_u32_e32 v1, v1, v2
	v_cmp_lt_u32_e64 s11, s20, v1
	v_cmpx_ge_u32_e64 s20, v1
	s_cbranch_execz .LBB541_27
; %bb.26:
	v_add_nc_u32_e32 v1, s22, v9
	v_add_nc_u32_e32 v2, s42, v9
	s_delay_alu instid0(VALU_DEP_2) | instskip(NEXT) | instid1(VALU_DEP_2)
	v_mul_lo_u32 v1, v1, s21
	v_mul_lo_u32 v2, v2, s23
	s_delay_alu instid0(VALU_DEP_1) | instskip(NEXT) | instid1(VALU_DEP_1)
	v_sub_nc_u32_e32 v1, v1, v2
	v_cmp_lt_u32_e64 s12, s43, v1
	s_and_b32 s55, s12, exec_lo
.LBB541_27:
	s_or_b32 exec_lo, exec_lo, s13
	v_add_nc_u32_e32 v1, s17, v10
	v_add_nc_u32_e32 v2, s19, v10
	s_mov_b32 s14, exec_lo
	s_delay_alu instid0(VALU_DEP_2) | instskip(NEXT) | instid1(VALU_DEP_2)
	v_mul_lo_u32 v1, v1, s16
	v_mul_lo_u32 v2, v2, s18
	s_delay_alu instid0(VALU_DEP_1) | instskip(NEXT) | instid1(VALU_DEP_1)
	v_sub_nc_u32_e32 v1, v1, v2
	v_cmp_lt_u32_e64 s13, s20, v1
	v_cmpx_ge_u32_e64 s20, v1
	s_cbranch_execz .LBB541_29
; %bb.28:
	v_add_nc_u32_e32 v1, s22, v10
	v_add_nc_u32_e32 v2, s42, v10
	s_delay_alu instid0(VALU_DEP_2) | instskip(NEXT) | instid1(VALU_DEP_2)
	v_mul_lo_u32 v1, v1, s21
	v_mul_lo_u32 v2, v2, s23
	s_delay_alu instid0(VALU_DEP_1) | instskip(NEXT) | instid1(VALU_DEP_1)
	v_sub_nc_u32_e32 v1, v1, v2
	v_cmp_lt_u32_e64 s12, s43, v1
	s_and_b32 s54, s12, exec_lo
.LBB541_29:
	s_or_b32 exec_lo, exec_lo, s14
	v_add_nc_u32_e32 v1, s17, v40
	v_add_nc_u32_e32 v2, s19, v40
	s_mov_b32 s51, 0
	s_mov_b32 s56, 0
	s_mov_b32 s57, exec_lo
	v_mul_lo_u32 v1, v1, s16
	v_mul_lo_u32 v2, v2, s18
	s_delay_alu instid0(VALU_DEP_1) | instskip(NEXT) | instid1(VALU_DEP_1)
	v_sub_nc_u32_e32 v1, v1, v2
	v_cmp_lt_u32_e64 s12, s20, v1
	v_cmpx_ge_u32_e64 s20, v1
	s_cbranch_execz .LBB541_31
; %bb.30:
	v_add_nc_u32_e32 v1, s22, v40
	v_add_nc_u32_e32 v2, s42, v40
	s_delay_alu instid0(VALU_DEP_2) | instskip(NEXT) | instid1(VALU_DEP_2)
	v_mul_lo_u32 v1, v1, s21
	v_mul_lo_u32 v2, v2, s23
	s_delay_alu instid0(VALU_DEP_1) | instskip(NEXT) | instid1(VALU_DEP_1)
	v_sub_nc_u32_e32 v1, v1, v2
	v_cmp_lt_u32_e64 s14, s43, v1
	s_and_b32 s56, s14, exec_lo
.LBB541_31:
	s_or_b32 exec_lo, exec_lo, s57
	v_cndmask_b32_e64 v2, 0, 1, s2
	s_wait_alu 0xf1ff
	v_cndmask_b32_e64 v4, 0, 1, s4
	s_wait_alu 0xfffd
	v_cndmask_b32_e64 v1, 0, 1, vcc_lo
	v_cndmask_b32_e64 v3, 0, 1, s3
	v_cndmask_b32_e64 v6, 0, 1, s6
	v_lshlrev_b16 v2, 8, v2
	v_lshlrev_b16 v4, 8, v4
	v_cndmask_b32_e64 v8, 0, 1, s8
	v_cndmask_b32_e64 v22, 0, 1, s10
	;; [unrolled: 1-line block ×3, first 2 shown]
	v_or_b32_e32 v1, v1, v2
	v_or_b32_e32 v2, v3, v4
	v_cndmask_b32_e64 v51, 0, 1, s41
	v_cndmask_b32_e64 v5, 0, 1, s5
	;; [unrolled: 1-line block ×3, first 2 shown]
	v_and_b32_e32 v1, 0xffff, v1
	v_lshlrev_b32_e32 v2, 16, v2
	v_cndmask_b32_e64 v21, 0, 1, s9
	v_cndmask_b32_e64 v23, 0, 1, s11
	;; [unrolled: 1-line block ×8, first 2 shown]
	v_or_b32_e32 v42, v1, v2
	v_lshlrev_b16 v1, 8, v6
	v_lshlrev_b16 v2, 8, v8
	;; [unrolled: 1-line block ×5, first 2 shown]
	v_cndmask_b32_e64 v26, 0, 1, s53
	v_cndmask_b32_e64 v44, 0, 1, s50
	;; [unrolled: 1-line block ×5, first 2 shown]
	v_or_b32_e32 v1, v5, v1
	v_or_b32_e32 v2, v7, v2
	;; [unrolled: 1-line block ×5, first 2 shown]
	v_lshlrev_b16 v4, 8, v4
	v_lshlrev_b16 v8, 8, v49
	;; [unrolled: 1-line block ×5, first 2 shown]
	v_or_b32_e32 v4, v50, v4
	v_or_b32_e32 v3, v3, v8
	;; [unrolled: 1-line block ×5, first 2 shown]
	v_and_b32_e32 v1, 0xffff, v1
	v_lshlrev_b32_e32 v2, 16, v2
	v_and_b32_e32 v5, 0xffff, v5
	v_lshlrev_b32_e32 v6, 16, v6
	;; [unrolled: 2-line block ×5, first 2 shown]
	v_cndmask_b32_e64 v45, 0, 1, s54
	v_cndmask_b32_e64 v48, 0, 1, s56
	v_or_b32_e32 v44, v1, v2
	v_or_b32_e32 v47, v5, v6
	;; [unrolled: 1-line block ×5, first 2 shown]
	s_load_b64 s[4:5], s[0:1], 0x78
	s_and_b32 vcc_lo, exec_lo, s51
	s_wait_alu 0xfffe
	s_cbranch_vccnz .LBB541_33
	s_branch .LBB541_110
.LBB541_32:
                                        ; implicit-def: $vgpr48
                                        ; implicit-def: $vgpr45
                                        ; implicit-def: $vgpr46
                                        ; implicit-def: $vgpr43
                                        ; implicit-def: $vgpr49
                                        ; implicit-def: $vgpr47
                                        ; implicit-def: $vgpr44
                                        ; implicit-def: $vgpr42
	s_load_b64 s[4:5], s[0:1], 0x78
	s_cbranch_execz .LBB541_110
.LBB541_33:
	v_dual_mov_b32 v2, 0 :: v_dual_mov_b32 v1, 0
	s_mov_b32 s1, exec_lo
	v_cmpx_gt_u32_e64 s33, v41
	s_cbranch_execz .LBB541_37
; %bb.34:
	v_add_nc_u32_e32 v1, s17, v19
	v_add_nc_u32_e32 v2, s19, v19
	s_mov_b32 s3, 0
	s_mov_b32 s2, exec_lo
	s_delay_alu instid0(VALU_DEP_2) | instskip(NEXT) | instid1(VALU_DEP_2)
	v_mul_lo_u32 v1, v1, s16
	v_mul_lo_u32 v2, v2, s18
	s_delay_alu instid0(VALU_DEP_1) | instskip(NEXT) | instid1(VALU_DEP_1)
	v_sub_nc_u32_e32 v1, v1, v2
	v_cmp_lt_u32_e32 vcc_lo, s20, v1
	v_cmpx_ge_u32_e64 s20, v1
	s_cbranch_execz .LBB541_36
; %bb.35:
	v_add_nc_u32_e32 v1, s22, v19
	v_add_nc_u32_e32 v2, s42, v19
	s_delay_alu instid0(VALU_DEP_2) | instskip(NEXT) | instid1(VALU_DEP_2)
	v_mul_lo_u32 v1, v1, s21
	v_mul_lo_u32 v2, v2, s23
	s_delay_alu instid0(VALU_DEP_1) | instskip(NEXT) | instid1(VALU_DEP_1)
	v_sub_nc_u32_e32 v1, v1, v2
	v_cmp_lt_u32_e64 s0, s43, v1
	s_and_b32 s3, s0, exec_lo
.LBB541_36:
	s_wait_alu 0xfffe
	s_or_b32 exec_lo, exec_lo, s2
	v_cndmask_b32_e64 v2, 0, 1, s3
	s_wait_alu 0xfffd
	v_cndmask_b32_e64 v1, 0, 1, vcc_lo
.LBB541_37:
	s_or_b32 exec_lo, exec_lo, s1
	s_delay_alu instid0(VALU_DEP_2) | instskip(SKIP_1) | instid1(VALU_DEP_3)
	v_lshlrev_b16 v2, 8, v2
	v_add_nc_u32_e32 v3, 1, v41
	v_and_b32_e32 v6, 0xff, v1
	v_lshlrev_b16 v1, 8, 0
                                        ; implicit-def: $vgpr5
                                        ; implicit-def: $vgpr8
                                        ; implicit-def: $vgpr4
	s_delay_alu instid0(VALU_DEP_4) | instskip(NEXT) | instid1(VALU_DEP_4)
	v_and_b32_e32 v2, 0xffff, v2
	v_cmp_le_u32_e32 vcc_lo, s33, v3
                                        ; implicit-def: $vgpr3
	s_delay_alu instid0(VALU_DEP_2) | instskip(SKIP_2) | instid1(SALU_CYCLE_1)
	v_lshrrev_b32_e32 v21, 8, v2
	v_and_b32_e32 v7, 0xff, v2
                                        ; implicit-def: $vgpr2
	s_and_saveexec_b32 s0, vcc_lo
	s_xor_b32 s0, exec_lo, s0
	s_cbranch_execz .LBB541_39
; %bb.38:
	v_lshlrev_b16 v2, 8, v21
	v_and_b32_e32 v4, 0xffff, v1
                                        ; implicit-def: $vgpr21
	v_mov_b32_e32 v5, 0
	s_delay_alu instid0(VALU_DEP_3) | instskip(SKIP_1) | instid1(VALU_DEP_2)
	v_or_b32_e32 v3, v7, v2
	v_mov_b32_e32 v2, 0
                                        ; implicit-def: $vgpr7
	v_and_b32_e32 v8, 0xffff, v3
	v_and_b32_e32 v3, 0xffff, v1
                                        ; implicit-def: $vgpr1
.LBB541_39:
	s_and_not1_saveexec_b32 s1, s0
	s_cbranch_execz .LBB541_43
; %bb.40:
	v_add_nc_u32_e32 v2, s17, v20
	v_add_nc_u32_e32 v3, s19, v20
	s_mov_b32 s2, 0
	s_mov_b32 s3, exec_lo
	s_delay_alu instid0(VALU_DEP_2) | instskip(NEXT) | instid1(VALU_DEP_2)
	v_mul_lo_u32 v2, v2, s16
	v_mul_lo_u32 v3, v3, s18
	s_delay_alu instid0(VALU_DEP_1) | instskip(NEXT) | instid1(VALU_DEP_1)
	v_sub_nc_u32_e32 v2, v2, v3
	v_cmp_lt_u32_e32 vcc_lo, s20, v2
	v_cmpx_ge_u32_e64 s20, v2
	s_cbranch_execz .LBB541_42
; %bb.41:
	v_add_nc_u32_e32 v2, s22, v20
	v_add_nc_u32_e32 v3, s42, v20
	s_delay_alu instid0(VALU_DEP_2) | instskip(NEXT) | instid1(VALU_DEP_2)
	v_mul_lo_u32 v2, v2, s21
	v_mul_lo_u32 v3, v3, s23
	s_delay_alu instid0(VALU_DEP_1) | instskip(NEXT) | instid1(VALU_DEP_1)
	v_sub_nc_u32_e32 v2, v2, v3
	v_cmp_lt_u32_e64 s0, s43, v2
	s_and_b32 s2, s0, exec_lo
.LBB541_42:
	s_wait_alu 0xfffe
	s_or_b32 exec_lo, exec_lo, s3
	s_wait_alu 0xfffd
	v_cndmask_b32_e64 v2, 0, 1, vcc_lo
	v_lshlrev_b16 v3, 8, v21
	v_dual_mov_b32 v5, 0 :: v_dual_and_b32 v4, 0xffff, v1
	s_delay_alu instid0(VALU_DEP_3) | instskip(NEXT) | instid1(VALU_DEP_3)
	v_lshlrev_b16 v2, 8, v2
	v_or_b32_e32 v3, v7, v3
	v_cndmask_b32_e64 v7, 0, 1, s2
	s_delay_alu instid0(VALU_DEP_3) | instskip(NEXT) | instid1(VALU_DEP_3)
	v_or_b32_e32 v6, v6, v2
	v_dual_mov_b32 v2, 0 :: v_dual_and_b32 v3, 0xffff, v3
	s_delay_alu instid0(VALU_DEP_2) | instskip(NEXT) | instid1(VALU_DEP_2)
	v_and_b32_e32 v6, 0xffff, v6
	v_lshl_or_b32 v8, v7, 16, v3
	v_and_b32_e32 v3, 0xffff, v1
.LBB541_43:
	s_or_b32 exec_lo, exec_lo, s1
	v_add_nc_u32_e32 v1, 2, v41
	v_and_b32_e32 v21, 0xff, v6
	v_lshrrev_b32_e32 v22, 8, v6
                                        ; implicit-def: $vgpr7
	s_delay_alu instid0(VALU_DEP_3) | instskip(SKIP_1) | instid1(SALU_CYCLE_1)
	v_cmp_le_u32_e32 vcc_lo, s33, v1
                                        ; implicit-def: $vgpr1
	s_and_saveexec_b32 s0, vcc_lo
	s_xor_b32 s0, exec_lo, s0
	s_cbranch_execz .LBB541_45
; %bb.44:
	v_lshlrev_b16 v1, 8, v22
	v_perm_b32 v4, v4, v4, 0x3060504
                                        ; implicit-def: $vgpr22
	s_delay_alu instid0(VALU_DEP_2) | instskip(SKIP_1) | instid1(VALU_DEP_2)
	v_or_b32_e32 v1, v21, v1
	v_and_b32_e32 v21, 0xff0000, v8
	v_and_b32_e32 v1, 0xffff, v1
	s_delay_alu instid0(VALU_DEP_1) | instskip(NEXT) | instid1(VALU_DEP_3)
	v_and_or_b32 v7, 0xff000000, v6, v1
	v_perm_b32 v1, v8, v21, 0x3020504
                                        ; implicit-def: $vgpr21
                                        ; implicit-def: $vgpr6
                                        ; implicit-def: $vgpr8
.LBB541_45:
	s_and_not1_saveexec_b32 s1, s0
	s_cbranch_execz .LBB541_49
; %bb.46:
	v_add_nc_u32_e32 v1, s17, v17
	v_add_nc_u32_e32 v7, s19, v17
	s_mov_b32 s2, 0
	s_mov_b32 s3, exec_lo
	s_delay_alu instid0(VALU_DEP_2) | instskip(NEXT) | instid1(VALU_DEP_2)
	v_mul_lo_u32 v1, v1, s16
	v_mul_lo_u32 v7, v7, s18
	s_delay_alu instid0(VALU_DEP_1) | instskip(NEXT) | instid1(VALU_DEP_1)
	v_sub_nc_u32_e32 v1, v1, v7
	v_cmp_lt_u32_e32 vcc_lo, s20, v1
	v_cmpx_ge_u32_e64 s20, v1
	s_cbranch_execz .LBB541_48
; %bb.47:
	v_add_nc_u32_e32 v1, s22, v17
	v_add_nc_u32_e32 v7, s42, v17
	s_delay_alu instid0(VALU_DEP_2) | instskip(NEXT) | instid1(VALU_DEP_2)
	v_mul_lo_u32 v1, v1, s21
	v_mul_lo_u32 v7, v7, s23
	s_delay_alu instid0(VALU_DEP_1) | instskip(NEXT) | instid1(VALU_DEP_1)
	v_sub_nc_u32_e32 v1, v1, v7
	v_cmp_lt_u32_e64 s0, s43, v1
	s_and_b32 s2, s0, exec_lo
.LBB541_48:
	s_wait_alu 0xfffe
	s_or_b32 exec_lo, exec_lo, s3
	v_lshrrev_b32_e32 v6, 24, v6
	v_cndmask_b32_e64 v7, 0, 1, s2
	v_lshrrev_b32_e32 v23, 8, v8
	v_lshrrev_b32_e32 v24, 16, v8
	s_wait_alu 0xfffd
	v_cndmask_b32_e64 v1, 0, 1, vcc_lo
	v_lshlrev_b16 v22, 8, v22
	v_lshlrev_b16 v6, 8, v6
	v_and_b32_e32 v8, 0xff, v8
	v_lshlrev_b16 v23, 8, v23
	v_lshlrev_b16 v7, 8, v7
	v_and_b32_e32 v24, 0xff, v24
	v_or_b32_e32 v21, v21, v22
	v_or_b32_e32 v1, v1, v6
	;; [unrolled: 1-line block ×3, first 2 shown]
	s_delay_alu instid0(VALU_DEP_4) | instskip(NEXT) | instid1(VALU_DEP_4)
	v_or_b32_e32 v7, v24, v7
	v_and_b32_e32 v8, 0xffff, v21
	s_delay_alu instid0(VALU_DEP_4) | instskip(NEXT) | instid1(VALU_DEP_4)
	v_lshlrev_b32_e32 v1, 16, v1
	v_and_b32_e32 v6, 0xffff, v6
	s_delay_alu instid0(VALU_DEP_4) | instskip(NEXT) | instid1(VALU_DEP_3)
	v_lshlrev_b32_e32 v21, 16, v7
	v_or_b32_e32 v7, v8, v1
	s_delay_alu instid0(VALU_DEP_2)
	v_or_b32_e32 v1, v6, v21
.LBB541_49:
	s_or_b32 exec_lo, exec_lo, s1
	v_add_nc_u32_e32 v6, 3, v41
	v_lshrrev_b32_e32 v8, 24, v5
	v_lshrrev_b32_e32 v21, 16, v5
	v_lshrrev_b32_e32 v5, 8, v5
                                        ; implicit-def: $vgpr42
	s_delay_alu instid0(VALU_DEP_4) | instskip(SKIP_1) | instid1(SALU_CYCLE_1)
	v_cmp_le_u32_e32 vcc_lo, s33, v6
                                        ; implicit-def: $vgpr6
	s_and_saveexec_b32 s0, vcc_lo
	s_xor_b32 s0, exec_lo, s0
	s_cbranch_execz .LBB541_51
; %bb.50:
	v_lshlrev_b16 v6, 8, v8
	v_and_b32_e32 v8, 0xff, v21
	v_lshlrev_b16 v5, 8, v5
	v_perm_b32 v4, v4, v4, 0x3060504
	v_perm_b32 v3, v3, v3, 0x3060504
                                        ; implicit-def: $vgpr21
	s_delay_alu instid0(VALU_DEP_4) | instskip(SKIP_2) | instid1(VALU_DEP_3)
	v_or_b32_e32 v6, v8, v6
	v_and_b32_e32 v8, 0xff0000, v7
	v_and_b32_e32 v5, 0xffff, v5
	v_lshlrev_b32_e32 v6, 16, v6
	s_delay_alu instid0(VALU_DEP_3) | instskip(NEXT) | instid1(VALU_DEP_2)
	v_perm_b32 v42, v7, v8, 0x3020504
                                        ; implicit-def: $vgpr7
                                        ; implicit-def: $vgpr8
	v_or_b32_e32 v6, v5, v6
                                        ; implicit-def: $vgpr5
.LBB541_51:
	s_and_not1_saveexec_b32 s1, s0
	s_cbranch_execz .LBB541_55
; %bb.52:
	v_add_nc_u32_e32 v6, s17, v18
	v_add_nc_u32_e32 v22, s19, v18
	s_mov_b32 s2, 0
	s_mov_b32 s3, exec_lo
	s_delay_alu instid0(VALU_DEP_2) | instskip(NEXT) | instid1(VALU_DEP_2)
	v_mul_lo_u32 v6, v6, s16
	v_mul_lo_u32 v22, v22, s18
	s_delay_alu instid0(VALU_DEP_1) | instskip(NEXT) | instid1(VALU_DEP_1)
	v_sub_nc_u32_e32 v6, v6, v22
	v_cmp_lt_u32_e32 vcc_lo, s20, v6
	v_cmpx_ge_u32_e64 s20, v6
	s_cbranch_execz .LBB541_54
; %bb.53:
	v_add_nc_u32_e32 v6, s22, v18
	v_add_nc_u32_e32 v22, s42, v18
	s_delay_alu instid0(VALU_DEP_2) | instskip(NEXT) | instid1(VALU_DEP_2)
	v_mul_lo_u32 v6, v6, s21
	v_mul_lo_u32 v22, v22, s23
	s_delay_alu instid0(VALU_DEP_1) | instskip(NEXT) | instid1(VALU_DEP_1)
	v_sub_nc_u32_e32 v6, v6, v22
	v_cmp_lt_u32_e64 s0, s43, v6
	s_and_b32 s2, s0, exec_lo
.LBB541_54:
	s_wait_alu 0xfffe
	s_or_b32 exec_lo, exec_lo, s3
	v_lshrrev_b32_e32 v6, 8, v7
	s_wait_alu 0xfffd
	v_cndmask_b32_e64 v22, 0, 1, vcc_lo
	v_lshrrev_b32_e32 v23, 16, v7
	v_cndmask_b32_e64 v24, 0, 1, s2
	v_and_b32_e32 v7, 0xff, v7
	v_lshlrev_b16 v6, 8, v6
	v_lshlrev_b16 v22, 8, v22
	v_and_b32_e32 v23, 0xff, v23
	v_lshlrev_b16 v8, 8, v8
	v_and_b32_e32 v21, 0xff, v21
	v_lshlrev_b16 v5, 8, v5
	v_or_b32_e32 v6, v7, v6
	v_or_b32_e32 v7, v23, v22
	s_delay_alu instid0(VALU_DEP_4) | instskip(NEXT) | instid1(VALU_DEP_4)
	v_or_b32_e32 v8, v21, v8
	v_or_b32_e32 v5, v24, v5
	s_delay_alu instid0(VALU_DEP_4) | instskip(NEXT) | instid1(VALU_DEP_4)
	v_and_b32_e32 v6, 0xffff, v6
	v_lshlrev_b32_e32 v7, 16, v7
	s_delay_alu instid0(VALU_DEP_4) | instskip(NEXT) | instid1(VALU_DEP_4)
	v_lshlrev_b32_e32 v8, 16, v8
	v_and_b32_e32 v5, 0xffff, v5
	s_delay_alu instid0(VALU_DEP_3) | instskip(NEXT) | instid1(VALU_DEP_2)
	v_or_b32_e32 v42, v6, v7
	v_or_b32_e32 v6, v5, v8
.LBB541_55:
	s_or_b32 exec_lo, exec_lo, s1
	v_add_nc_u32_e32 v5, 4, v41
	v_lshrrev_b32_e32 v21, 8, v4
	v_lshrrev_b32_e32 v22, 16, v4
	;; [unrolled: 1-line block ×4, first 2 shown]
	v_cmp_le_u32_e32 vcc_lo, s33, v5
	v_lshrrev_b32_e32 v8, 16, v6
                                        ; implicit-def: $vgpr4
                                        ; implicit-def: $vgpr5
	s_and_saveexec_b32 s0, vcc_lo
	s_delay_alu instid0(SALU_CYCLE_1)
	s_xor_b32 s0, exec_lo, s0
	s_cbranch_execz .LBB541_57
; %bb.56:
	v_lshlrev_b16 v4, 8, v23
	v_and_b32_e32 v5, 0xff, v22
	v_lshlrev_b16 v21, 8, v21
	v_lshlrev_b16 v7, 8, v7
	v_and_b32_e32 v8, 0xff, v8
	v_perm_b32 v3, v3, v3, 0x3060504
	v_or_b32_e32 v4, v5, v4
	v_and_b32_e32 v5, 0xffff, v21
                                        ; implicit-def: $vgpr21
                                        ; implicit-def: $vgpr22
                                        ; implicit-def: $vgpr23
	s_delay_alu instid0(VALU_DEP_4) | instskip(NEXT) | instid1(VALU_DEP_3)
	v_or_b32_e32 v7, v8, v7
	v_lshlrev_b32_e32 v8, 16, v4
	s_delay_alu instid0(VALU_DEP_2) | instskip(NEXT) | instid1(VALU_DEP_2)
	v_perm_b32 v4, v7, v6, 0x5040c00
                                        ; implicit-def: $vgpr6
                                        ; implicit-def: $vgpr7
	v_or_b32_e32 v5, v5, v8
                                        ; implicit-def: $vgpr8
.LBB541_57:
	s_and_not1_saveexec_b32 s1, s0
	s_cbranch_execz .LBB541_61
; %bb.58:
	v_add_nc_u32_e32 v4, s17, v15
	v_add_nc_u32_e32 v5, s19, v15
	s_mov_b32 s2, 0
	s_mov_b32 s3, exec_lo
	s_delay_alu instid0(VALU_DEP_2) | instskip(NEXT) | instid1(VALU_DEP_2)
	v_mul_lo_u32 v4, v4, s16
	v_mul_lo_u32 v5, v5, s18
	s_delay_alu instid0(VALU_DEP_1) | instskip(NEXT) | instid1(VALU_DEP_1)
	v_sub_nc_u32_e32 v4, v4, v5
	v_cmp_lt_u32_e32 vcc_lo, s20, v4
	v_cmpx_ge_u32_e64 s20, v4
	s_cbranch_execz .LBB541_60
; %bb.59:
	v_add_nc_u32_e32 v4, s22, v15
	v_add_nc_u32_e32 v5, s42, v15
	s_delay_alu instid0(VALU_DEP_2) | instskip(NEXT) | instid1(VALU_DEP_2)
	v_mul_lo_u32 v4, v4, s21
	v_mul_lo_u32 v5, v5, s23
	s_delay_alu instid0(VALU_DEP_1) | instskip(NEXT) | instid1(VALU_DEP_1)
	v_sub_nc_u32_e32 v4, v4, v5
	v_cmp_lt_u32_e64 s0, s43, v4
	s_and_b32 s2, s0, exec_lo
.LBB541_60:
	s_wait_alu 0xfffe
	s_or_b32 exec_lo, exec_lo, s3
	v_cndmask_b32_e64 v4, 0, 1, s2
	s_wait_alu 0xfffd
	v_cndmask_b32_e64 v5, 0, 1, vcc_lo
	v_lshlrev_b16 v23, 8, v23
	v_and_b32_e32 v22, 0xff, v22
	v_lshlrev_b16 v21, 8, v21
	v_lshlrev_b16 v4, 8, v4
	v_and_b32_e32 v6, 0xff, v6
	v_lshlrev_b16 v7, 8, v7
	v_and_b32_e32 v8, 0xff, v8
	v_or_b32_e32 v22, v22, v23
	v_or_b32_e32 v5, v5, v21
	;; [unrolled: 1-line block ×3, first 2 shown]
	s_delay_alu instid0(VALU_DEP_4) | instskip(NEXT) | instid1(VALU_DEP_4)
	v_or_b32_e32 v6, v8, v7
	v_lshlrev_b32_e32 v7, 16, v22
	s_delay_alu instid0(VALU_DEP_4) | instskip(NEXT) | instid1(VALU_DEP_4)
	v_and_b32_e32 v5, 0xffff, v5
	v_and_b32_e32 v4, 0xffff, v4
	s_delay_alu instid0(VALU_DEP_4) | instskip(NEXT) | instid1(VALU_DEP_3)
	v_lshlrev_b32_e32 v6, 16, v6
	v_or_b32_e32 v5, v5, v7
	s_delay_alu instid0(VALU_DEP_2)
	v_or_b32_e32 v4, v4, v6
.LBB541_61:
	s_or_b32 exec_lo, exec_lo, s1
	v_add_nc_u32_e32 v6, 5, v41
	s_delay_alu instid0(VALU_DEP_2)
	v_lshrrev_b32_e32 v21, 16, v5
	v_lshrrev_b32_e32 v23, 24, v5
	v_and_b32_e32 v8, 0xff, v4
	v_lshrrev_b32_e32 v22, 8, v4
	v_cmp_le_u32_e32 vcc_lo, s33, v6
                                        ; implicit-def: $vgpr6
                                        ; implicit-def: $vgpr7
	s_and_saveexec_b32 s0, vcc_lo
	s_delay_alu instid0(SALU_CYCLE_1)
	s_xor_b32 s0, exec_lo, s0
	s_cbranch_execz .LBB541_63
; %bb.62:
	v_lshlrev_b16 v6, 8, v22
	v_lshlrev_b16 v7, 8, v23
	v_and_b32_e32 v21, 0xff, v21
	v_perm_b32 v3, v3, v3, 0x3060504
                                        ; implicit-def: $vgpr23
                                        ; implicit-def: $vgpr22
	s_delay_alu instid0(VALU_DEP_4) | instskip(NEXT) | instid1(VALU_DEP_3)
	v_or_b32_e32 v6, v8, v6
                                        ; implicit-def: $vgpr8
	v_or_b32_e32 v7, v21, v7
                                        ; implicit-def: $vgpr21
	s_delay_alu instid0(VALU_DEP_2) | instskip(NEXT) | instid1(VALU_DEP_2)
	v_and_b32_e32 v6, 0xffff, v6
	v_perm_b32 v7, v7, v5, 0x5040c00
                                        ; implicit-def: $vgpr5
	s_delay_alu instid0(VALU_DEP_2)
	v_and_or_b32 v6, 0xff000000, v4, v6
                                        ; implicit-def: $vgpr4
.LBB541_63:
	s_and_not1_saveexec_b32 s1, s0
	s_cbranch_execz .LBB541_67
; %bb.64:
	v_add_nc_u32_e32 v6, s17, v16
	v_add_nc_u32_e32 v7, s19, v16
	s_mov_b32 s2, 0
	s_mov_b32 s3, exec_lo
	s_delay_alu instid0(VALU_DEP_2) | instskip(NEXT) | instid1(VALU_DEP_2)
	v_mul_lo_u32 v6, v6, s16
	v_mul_lo_u32 v7, v7, s18
	s_delay_alu instid0(VALU_DEP_1) | instskip(NEXT) | instid1(VALU_DEP_1)
	v_sub_nc_u32_e32 v6, v6, v7
	v_cmp_lt_u32_e32 vcc_lo, s20, v6
	v_cmpx_ge_u32_e64 s20, v6
	s_cbranch_execz .LBB541_66
; %bb.65:
	v_add_nc_u32_e32 v6, s22, v16
	v_add_nc_u32_e32 v7, s42, v16
	s_delay_alu instid0(VALU_DEP_2) | instskip(NEXT) | instid1(VALU_DEP_2)
	v_mul_lo_u32 v6, v6, s21
	v_mul_lo_u32 v7, v7, s23
	s_delay_alu instid0(VALU_DEP_1) | instskip(NEXT) | instid1(VALU_DEP_1)
	v_sub_nc_u32_e32 v6, v6, v7
	v_cmp_lt_u32_e64 s0, s43, v6
	s_and_b32 s2, s0, exec_lo
.LBB541_66:
	s_wait_alu 0xfffe
	s_or_b32 exec_lo, exec_lo, s3
	s_wait_alu 0xfffd
	v_cndmask_b32_e64 v6, 0, 1, vcc_lo
	v_lshrrev_b32_e32 v4, 24, v4
	v_cndmask_b32_e64 v7, 0, 1, s2
	v_lshlrev_b16 v23, 8, v23
	v_and_b32_e32 v21, 0xff, v21
	v_lshlrev_b16 v6, 8, v6
	v_lshlrev_b16 v22, 8, v22
	v_and_b32_e32 v5, 0xff, v5
	v_lshlrev_b16 v4, 8, v4
	v_or_b32_e32 v21, v21, v23
	s_delay_alu instid0(VALU_DEP_4) | instskip(NEXT) | instid1(VALU_DEP_4)
	v_or_b32_e32 v8, v8, v22
	v_or_b32_e32 v5, v5, v6
	s_delay_alu instid0(VALU_DEP_4) | instskip(NEXT) | instid1(VALU_DEP_4)
	v_or_b32_e32 v4, v7, v4
	v_lshlrev_b32_e32 v6, 16, v21
	s_delay_alu instid0(VALU_DEP_4) | instskip(NEXT) | instid1(VALU_DEP_4)
	v_and_b32_e32 v8, 0xffff, v8
	v_and_b32_e32 v5, 0xffff, v5
	s_delay_alu instid0(VALU_DEP_4) | instskip(NEXT) | instid1(VALU_DEP_2)
	v_lshlrev_b32_e32 v4, 16, v4
	v_or_b32_e32 v7, v5, v6
	s_delay_alu instid0(VALU_DEP_2)
	v_or_b32_e32 v6, v8, v4
.LBB541_67:
	s_or_b32 exec_lo, exec_lo, s1
	v_add_nc_u32_e32 v4, 6, v41
	s_delay_alu instid0(VALU_DEP_3) | instskip(NEXT) | instid1(VALU_DEP_2)
	v_lshrrev_b32_e32 v8, 8, v7
                                        ; implicit-def: $vgpr43
                                        ; implicit-def: $vgpr5
	v_cmp_le_u32_e32 vcc_lo, s33, v4
	v_and_b32_e32 v4, 0xff, v7
	s_and_saveexec_b32 s0, vcc_lo
	s_delay_alu instid0(SALU_CYCLE_1)
	s_xor_b32 s0, exec_lo, s0
	s_cbranch_execz .LBB541_69
; %bb.68:
	v_lshlrev_b16 v5, 8, v8
	v_perm_b32 v3, v3, v3, 0x3060504
                                        ; implicit-def: $vgpr8
	s_delay_alu instid0(VALU_DEP_2) | instskip(SKIP_1) | instid1(VALU_DEP_2)
	v_or_b32_e32 v4, v4, v5
	v_and_b32_e32 v5, 0xff0000, v6
	v_and_b32_e32 v4, 0xffff, v4
	s_delay_alu instid0(VALU_DEP_2) | instskip(NEXT) | instid1(VALU_DEP_2)
	v_perm_b32 v43, v6, v5, 0x3020504
                                        ; implicit-def: $vgpr6
	v_and_or_b32 v5, 0xff000000, v7, v4
                                        ; implicit-def: $vgpr4
                                        ; implicit-def: $vgpr7
.LBB541_69:
	s_and_not1_saveexec_b32 s1, s0
	s_cbranch_execz .LBB541_73
; %bb.70:
	v_add_nc_u32_e32 v5, s17, v13
	v_add_nc_u32_e32 v21, s19, v13
	s_mov_b32 s2, 0
	s_mov_b32 s3, exec_lo
	s_delay_alu instid0(VALU_DEP_2) | instskip(NEXT) | instid1(VALU_DEP_2)
	v_mul_lo_u32 v5, v5, s16
	v_mul_lo_u32 v21, v21, s18
	s_delay_alu instid0(VALU_DEP_1) | instskip(NEXT) | instid1(VALU_DEP_1)
	v_sub_nc_u32_e32 v5, v5, v21
	v_cmp_lt_u32_e32 vcc_lo, s20, v5
	v_cmpx_ge_u32_e64 s20, v5
	s_cbranch_execz .LBB541_72
; %bb.71:
	v_add_nc_u32_e32 v5, s22, v13
	v_add_nc_u32_e32 v21, s42, v13
	s_delay_alu instid0(VALU_DEP_2) | instskip(NEXT) | instid1(VALU_DEP_2)
	v_mul_lo_u32 v5, v5, s21
	v_mul_lo_u32 v21, v21, s23
	s_delay_alu instid0(VALU_DEP_1) | instskip(NEXT) | instid1(VALU_DEP_1)
	v_sub_nc_u32_e32 v5, v5, v21
	v_cmp_lt_u32_e64 s0, s43, v5
	s_and_b32 s2, s0, exec_lo
.LBB541_72:
	s_wait_alu 0xfffe
	s_or_b32 exec_lo, exec_lo, s3
	v_lshrrev_b32_e32 v7, 24, v7
	v_cndmask_b32_e64 v21, 0, 1, s2
	v_lshrrev_b32_e32 v22, 8, v6
	v_lshrrev_b32_e32 v23, 16, v6
	s_wait_alu 0xfffd
	v_cndmask_b32_e64 v5, 0, 1, vcc_lo
	v_lshlrev_b16 v8, 8, v8
	v_lshlrev_b16 v7, 8, v7
	v_and_b32_e32 v6, 0xff, v6
	v_lshlrev_b16 v22, 8, v22
	v_lshlrev_b16 v21, 8, v21
	v_and_b32_e32 v23, 0xff, v23
	v_or_b32_e32 v4, v4, v8
	v_or_b32_e32 v5, v5, v7
	v_or_b32_e32 v6, v6, v22
	s_delay_alu instid0(VALU_DEP_4) | instskip(NEXT) | instid1(VALU_DEP_4)
	v_or_b32_e32 v7, v23, v21
	v_and_b32_e32 v4, 0xffff, v4
	s_delay_alu instid0(VALU_DEP_4) | instskip(NEXT) | instid1(VALU_DEP_4)
	v_lshlrev_b32_e32 v5, 16, v5
	v_and_b32_e32 v6, 0xffff, v6
	s_delay_alu instid0(VALU_DEP_4) | instskip(NEXT) | instid1(VALU_DEP_3)
	v_lshlrev_b32_e32 v7, 16, v7
	v_or_b32_e32 v5, v4, v5
	s_delay_alu instid0(VALU_DEP_2)
	v_or_b32_e32 v43, v6, v7
.LBB541_73:
	s_or_b32 exec_lo, exec_lo, s1
	v_add_nc_u32_e32 v4, 7, v41
	v_lshrrev_b32_e32 v6, 8, v3
	v_lshrrev_b32_e32 v7, 16, v3
	;; [unrolled: 1-line block ×3, first 2 shown]
                                        ; implicit-def: $vgpr44
	s_delay_alu instid0(VALU_DEP_4) | instskip(SKIP_1) | instid1(SALU_CYCLE_1)
	v_cmp_le_u32_e32 vcc_lo, s33, v4
                                        ; implicit-def: $vgpr4
	s_and_saveexec_b32 s0, vcc_lo
	s_xor_b32 s0, exec_lo, s0
	s_cbranch_execz .LBB541_75
; %bb.74:
	v_lshlrev_b16 v3, 8, v3
	v_and_b32_e32 v4, 0xff, v7
                                        ; implicit-def: $vgpr7
	s_delay_alu instid0(VALU_DEP_1) | instskip(SKIP_2) | instid1(VALU_DEP_3)
	v_or_b32_e32 v3, v4, v3
	v_lshlrev_b16 v4, 8, v6
	v_and_b32_e32 v6, 0xff0000, v5
	v_lshlrev_b32_e32 v3, 16, v3
	s_delay_alu instid0(VALU_DEP_3) | instskip(NEXT) | instid1(VALU_DEP_3)
	v_and_b32_e32 v4, 0xffff, v4
	v_perm_b32 v44, v5, v6, 0x3020504
                                        ; implicit-def: $vgpr5
                                        ; implicit-def: $vgpr6
	s_delay_alu instid0(VALU_DEP_2)
	v_or_b32_e32 v4, v4, v3
                                        ; implicit-def: $vgpr3
.LBB541_75:
	s_and_not1_saveexec_b32 s1, s0
	s_cbranch_execz .LBB541_79
; %bb.76:
	v_add_nc_u32_e32 v4, s17, v14
	v_add_nc_u32_e32 v8, s19, v14
	s_mov_b32 s2, 0
	s_mov_b32 s3, exec_lo
	s_delay_alu instid0(VALU_DEP_2) | instskip(NEXT) | instid1(VALU_DEP_2)
	v_mul_lo_u32 v4, v4, s16
	v_mul_lo_u32 v8, v8, s18
	s_delay_alu instid0(VALU_DEP_1) | instskip(NEXT) | instid1(VALU_DEP_1)
	v_sub_nc_u32_e32 v4, v4, v8
	v_cmp_lt_u32_e32 vcc_lo, s20, v4
	v_cmpx_ge_u32_e64 s20, v4
	s_cbranch_execz .LBB541_78
; %bb.77:
	v_add_nc_u32_e32 v4, s22, v14
	v_add_nc_u32_e32 v8, s42, v14
	s_delay_alu instid0(VALU_DEP_2) | instskip(NEXT) | instid1(VALU_DEP_2)
	v_mul_lo_u32 v4, v4, s21
	v_mul_lo_u32 v8, v8, s23
	s_delay_alu instid0(VALU_DEP_1) | instskip(NEXT) | instid1(VALU_DEP_1)
	v_sub_nc_u32_e32 v4, v4, v8
	v_cmp_lt_u32_e64 s0, s43, v4
	s_and_b32 s2, s0, exec_lo
.LBB541_78:
	s_wait_alu 0xfffe
	s_or_b32 exec_lo, exec_lo, s3
	v_lshrrev_b32_e32 v4, 8, v5
	s_wait_alu 0xfffd
	v_cndmask_b32_e64 v8, 0, 1, vcc_lo
	v_lshrrev_b32_e32 v21, 16, v5
	v_cndmask_b32_e64 v22, 0, 1, s2
	v_and_b32_e32 v5, 0xff, v5
	v_lshlrev_b16 v4, 8, v4
	v_lshlrev_b16 v8, 8, v8
	v_and_b32_e32 v21, 0xff, v21
	v_lshlrev_b16 v3, 8, v3
	v_and_b32_e32 v7, 0xff, v7
	v_lshlrev_b16 v6, 8, v6
	v_or_b32_e32 v4, v5, v4
	v_or_b32_e32 v5, v21, v8
	s_delay_alu instid0(VALU_DEP_4) | instskip(NEXT) | instid1(VALU_DEP_4)
	v_or_b32_e32 v3, v7, v3
	v_or_b32_e32 v6, v22, v6
	s_delay_alu instid0(VALU_DEP_4) | instskip(NEXT) | instid1(VALU_DEP_4)
	v_and_b32_e32 v4, 0xffff, v4
	v_lshlrev_b32_e32 v5, 16, v5
	s_delay_alu instid0(VALU_DEP_4) | instskip(NEXT) | instid1(VALU_DEP_4)
	v_lshlrev_b32_e32 v3, 16, v3
	v_and_b32_e32 v6, 0xffff, v6
	s_delay_alu instid0(VALU_DEP_3) | instskip(NEXT) | instid1(VALU_DEP_2)
	v_or_b32_e32 v44, v4, v5
	v_or_b32_e32 v4, v6, v3
.LBB541_79:
	s_or_b32 exec_lo, exec_lo, s1
	v_add_nc_u32_e32 v3, 8, v41
	s_delay_alu instid0(VALU_DEP_2)
	v_lshrrev_b32_e32 v5, 16, v4
	v_lshrrev_b32_e32 v6, 24, v4
	;; [unrolled: 1-line block ×4, first 2 shown]
	v_cmp_le_u32_e32 vcc_lo, s33, v3
	v_lshrrev_b32_e32 v7, 8, v2
                                        ; implicit-def: $vgpr2
                                        ; implicit-def: $vgpr3
	s_and_saveexec_b32 s0, vcc_lo
	s_delay_alu instid0(SALU_CYCLE_1)
	s_xor_b32 s0, exec_lo, s0
	s_cbranch_execz .LBB541_81
; %bb.80:
	v_lshlrev_b16 v2, 8, v8
	v_and_b32_e32 v3, 0xff, v21
	v_lshlrev_b16 v7, 8, v7
	v_lshlrev_b16 v6, 8, v6
	v_perm_b32 v1, v1, v1, 0x3060504
                                        ; implicit-def: $vgpr8
                                        ; implicit-def: $vgpr21
	s_delay_alu instid0(VALU_DEP_4) | instskip(SKIP_2) | instid1(VALU_DEP_3)
	v_or_b32_e32 v2, v3, v2
	v_and_b32_e32 v3, 0xff, v5
	v_and_b32_e32 v5, 0xffff, v7
                                        ; implicit-def: $vgpr7
	v_lshlrev_b32_e32 v2, 16, v2
	s_delay_alu instid0(VALU_DEP_3) | instskip(NEXT) | instid1(VALU_DEP_2)
	v_or_b32_e32 v6, v3, v6
	v_or_b32_e32 v3, v5, v2
	s_delay_alu instid0(VALU_DEP_2)
	v_perm_b32 v2, v6, v4, 0x5040c00
                                        ; implicit-def: $vgpr4
                                        ; implicit-def: $vgpr5
                                        ; implicit-def: $vgpr6
.LBB541_81:
	s_and_not1_saveexec_b32 s1, s0
	s_cbranch_execz .LBB541_85
; %bb.82:
	v_add_nc_u32_e32 v2, s17, v11
	v_add_nc_u32_e32 v3, s19, v11
	s_mov_b32 s2, 0
	s_mov_b32 s3, exec_lo
	s_delay_alu instid0(VALU_DEP_2) | instskip(NEXT) | instid1(VALU_DEP_2)
	v_mul_lo_u32 v2, v2, s16
	v_mul_lo_u32 v3, v3, s18
	s_delay_alu instid0(VALU_DEP_1) | instskip(NEXT) | instid1(VALU_DEP_1)
	v_sub_nc_u32_e32 v2, v2, v3
	v_cmp_lt_u32_e32 vcc_lo, s20, v2
	v_cmpx_ge_u32_e64 s20, v2
	s_cbranch_execz .LBB541_84
; %bb.83:
	v_add_nc_u32_e32 v2, s22, v11
	v_add_nc_u32_e32 v3, s42, v11
	s_delay_alu instid0(VALU_DEP_2) | instskip(NEXT) | instid1(VALU_DEP_2)
	v_mul_lo_u32 v2, v2, s21
	v_mul_lo_u32 v3, v3, s23
	s_delay_alu instid0(VALU_DEP_1) | instskip(NEXT) | instid1(VALU_DEP_1)
	v_sub_nc_u32_e32 v2, v2, v3
	v_cmp_lt_u32_e64 s0, s43, v2
	s_and_b32 s2, s0, exec_lo
.LBB541_84:
	s_wait_alu 0xfffe
	s_or_b32 exec_lo, exec_lo, s3
	v_cndmask_b32_e64 v2, 0, 1, s2
	s_wait_alu 0xfffd
	v_cndmask_b32_e64 v3, 0, 1, vcc_lo
	v_lshlrev_b16 v8, 8, v8
	v_and_b32_e32 v21, 0xff, v21
	v_lshlrev_b16 v7, 8, v7
	v_lshlrev_b16 v2, 8, v2
	v_and_b32_e32 v4, 0xff, v4
	v_lshlrev_b16 v6, 8, v6
	v_and_b32_e32 v5, 0xff, v5
	v_or_b32_e32 v8, v21, v8
	v_or_b32_e32 v3, v3, v7
	;; [unrolled: 1-line block ×3, first 2 shown]
	s_delay_alu instid0(VALU_DEP_4) | instskip(NEXT) | instid1(VALU_DEP_4)
	v_or_b32_e32 v4, v5, v6
	v_lshlrev_b32_e32 v5, 16, v8
	s_delay_alu instid0(VALU_DEP_4) | instskip(NEXT) | instid1(VALU_DEP_4)
	v_and_b32_e32 v3, 0xffff, v3
	v_and_b32_e32 v2, 0xffff, v2
	s_delay_alu instid0(VALU_DEP_4) | instskip(NEXT) | instid1(VALU_DEP_3)
	v_lshlrev_b32_e32 v4, 16, v4
	v_or_b32_e32 v3, v3, v5
	s_delay_alu instid0(VALU_DEP_2)
	v_or_b32_e32 v2, v2, v4
.LBB541_85:
	s_or_b32 exec_lo, exec_lo, s1
	v_add_nc_u32_e32 v4, 9, v41
	s_delay_alu instid0(VALU_DEP_2)
	v_lshrrev_b32_e32 v6, 8, v2
	v_lshrrev_b32_e32 v21, 24, v3
	v_lshrrev_b32_e32 v8, 16, v3
	v_and_b32_e32 v7, 0xff, v2
	v_cmp_le_u32_e32 vcc_lo, s33, v4
                                        ; implicit-def: $vgpr4
                                        ; implicit-def: $vgpr5
	s_and_saveexec_b32 s0, vcc_lo
	s_delay_alu instid0(SALU_CYCLE_1)
	s_xor_b32 s0, exec_lo, s0
	s_cbranch_execz .LBB541_87
; %bb.86:
	v_lshlrev_b16 v4, 8, v6
	v_lshlrev_b16 v5, 8, v21
	v_and_b32_e32 v6, 0xff, v8
	v_perm_b32 v1, v1, v1, 0x3060504
                                        ; implicit-def: $vgpr21
                                        ; implicit-def: $vgpr8
	s_delay_alu instid0(VALU_DEP_4) | instskip(NEXT) | instid1(VALU_DEP_3)
	v_or_b32_e32 v4, v7, v4
                                        ; implicit-def: $vgpr7
	v_or_b32_e32 v5, v6, v5
                                        ; implicit-def: $vgpr6
	s_delay_alu instid0(VALU_DEP_2) | instskip(NEXT) | instid1(VALU_DEP_2)
	v_and_b32_e32 v4, 0xffff, v4
	v_perm_b32 v5, v5, v3, 0x5040c00
                                        ; implicit-def: $vgpr3
	s_delay_alu instid0(VALU_DEP_2)
	v_and_or_b32 v4, 0xff000000, v2, v4
                                        ; implicit-def: $vgpr2
.LBB541_87:
	s_and_not1_saveexec_b32 s1, s0
	s_cbranch_execz .LBB541_91
; %bb.88:
	v_add_nc_u32_e32 v4, s17, v12
	v_add_nc_u32_e32 v5, s19, v12
	s_mov_b32 s2, 0
	s_mov_b32 s3, exec_lo
	s_delay_alu instid0(VALU_DEP_2) | instskip(NEXT) | instid1(VALU_DEP_2)
	v_mul_lo_u32 v4, v4, s16
	v_mul_lo_u32 v5, v5, s18
	s_delay_alu instid0(VALU_DEP_1) | instskip(NEXT) | instid1(VALU_DEP_1)
	v_sub_nc_u32_e32 v4, v4, v5
	v_cmp_lt_u32_e32 vcc_lo, s20, v4
	v_cmpx_ge_u32_e64 s20, v4
	s_cbranch_execz .LBB541_90
; %bb.89:
	v_add_nc_u32_e32 v4, s22, v12
	v_add_nc_u32_e32 v5, s42, v12
	s_delay_alu instid0(VALU_DEP_2) | instskip(NEXT) | instid1(VALU_DEP_2)
	v_mul_lo_u32 v4, v4, s21
	v_mul_lo_u32 v5, v5, s23
	s_delay_alu instid0(VALU_DEP_1) | instskip(NEXT) | instid1(VALU_DEP_1)
	v_sub_nc_u32_e32 v4, v4, v5
	v_cmp_lt_u32_e64 s0, s43, v4
	s_and_b32 s2, s0, exec_lo
.LBB541_90:
	s_wait_alu 0xfffe
	s_or_b32 exec_lo, exec_lo, s3
	s_wait_alu 0xfffd
	v_cndmask_b32_e64 v4, 0, 1, vcc_lo
	v_lshrrev_b32_e32 v2, 24, v2
	v_cndmask_b32_e64 v5, 0, 1, s2
	v_lshlrev_b16 v21, 8, v21
	v_and_b32_e32 v8, 0xff, v8
	v_lshlrev_b16 v4, 8, v4
	v_lshlrev_b16 v6, 8, v6
	v_and_b32_e32 v3, 0xff, v3
	v_lshlrev_b16 v2, 8, v2
	v_or_b32_e32 v8, v8, v21
	s_delay_alu instid0(VALU_DEP_4) | instskip(NEXT) | instid1(VALU_DEP_4)
	v_or_b32_e32 v6, v7, v6
	v_or_b32_e32 v3, v3, v4
	s_delay_alu instid0(VALU_DEP_4) | instskip(NEXT) | instid1(VALU_DEP_4)
	v_or_b32_e32 v2, v5, v2
	v_lshlrev_b32_e32 v4, 16, v8
	s_delay_alu instid0(VALU_DEP_4) | instskip(NEXT) | instid1(VALU_DEP_4)
	v_and_b32_e32 v6, 0xffff, v6
	v_and_b32_e32 v3, 0xffff, v3
	s_delay_alu instid0(VALU_DEP_4) | instskip(NEXT) | instid1(VALU_DEP_2)
	v_lshlrev_b32_e32 v2, 16, v2
	v_or_b32_e32 v5, v3, v4
	s_delay_alu instid0(VALU_DEP_2)
	v_or_b32_e32 v4, v6, v2
.LBB541_91:
	s_or_b32 exec_lo, exec_lo, s1
	v_add_nc_u32_e32 v2, 10, v41
	s_delay_alu instid0(VALU_DEP_3) | instskip(SKIP_1) | instid1(VALU_DEP_3)
	v_and_b32_e32 v3, 0xff, v5
	v_lshrrev_b32_e32 v6, 8, v5
                                        ; implicit-def: $vgpr46
	v_cmp_le_u32_e32 vcc_lo, s33, v2
                                        ; implicit-def: $vgpr2
	s_and_saveexec_b32 s0, vcc_lo
	s_delay_alu instid0(SALU_CYCLE_1)
	s_xor_b32 s0, exec_lo, s0
	s_cbranch_execz .LBB541_93
; %bb.92:
	v_lshlrev_b16 v2, 8, v6
	v_perm_b32 v1, v1, v1, 0x3060504
                                        ; implicit-def: $vgpr6
	s_delay_alu instid0(VALU_DEP_2) | instskip(SKIP_1) | instid1(VALU_DEP_2)
	v_or_b32_e32 v2, v3, v2
	v_and_b32_e32 v3, 0xff0000, v4
	v_and_b32_e32 v2, 0xffff, v2
	s_delay_alu instid0(VALU_DEP_2) | instskip(NEXT) | instid1(VALU_DEP_2)
	v_perm_b32 v46, v4, v3, 0x3020504
                                        ; implicit-def: $vgpr3
                                        ; implicit-def: $vgpr4
	v_and_or_b32 v2, 0xff000000, v5, v2
                                        ; implicit-def: $vgpr5
.LBB541_93:
	s_and_not1_saveexec_b32 s1, s0
	s_cbranch_execz .LBB541_97
; %bb.94:
	v_add_nc_u32_e32 v2, s17, v9
	v_add_nc_u32_e32 v7, s19, v9
	s_mov_b32 s2, 0
	s_mov_b32 s3, exec_lo
	s_delay_alu instid0(VALU_DEP_2) | instskip(NEXT) | instid1(VALU_DEP_2)
	v_mul_lo_u32 v2, v2, s16
	v_mul_lo_u32 v7, v7, s18
	s_delay_alu instid0(VALU_DEP_1) | instskip(NEXT) | instid1(VALU_DEP_1)
	v_sub_nc_u32_e32 v2, v2, v7
	v_cmp_lt_u32_e32 vcc_lo, s20, v2
	v_cmpx_ge_u32_e64 s20, v2
	s_cbranch_execz .LBB541_96
; %bb.95:
	v_add_nc_u32_e32 v2, s22, v9
	v_add_nc_u32_e32 v7, s42, v9
	s_delay_alu instid0(VALU_DEP_2) | instskip(NEXT) | instid1(VALU_DEP_2)
	v_mul_lo_u32 v2, v2, s21
	v_mul_lo_u32 v7, v7, s23
	s_delay_alu instid0(VALU_DEP_1) | instskip(NEXT) | instid1(VALU_DEP_1)
	v_sub_nc_u32_e32 v2, v2, v7
	v_cmp_lt_u32_e64 s0, s43, v2
	s_and_b32 s2, s0, exec_lo
.LBB541_96:
	s_wait_alu 0xfffe
	s_or_b32 exec_lo, exec_lo, s3
	v_lshrrev_b32_e32 v5, 24, v5
	v_cndmask_b32_e64 v7, 0, 1, s2
	v_lshrrev_b32_e32 v8, 8, v4
	v_lshrrev_b32_e32 v21, 16, v4
	s_wait_alu 0xfffd
	v_cndmask_b32_e64 v2, 0, 1, vcc_lo
	v_lshlrev_b16 v6, 8, v6
	v_lshlrev_b16 v5, 8, v5
	v_and_b32_e32 v4, 0xff, v4
	v_lshlrev_b16 v8, 8, v8
	v_lshlrev_b16 v7, 8, v7
	v_and_b32_e32 v21, 0xff, v21
	v_or_b32_e32 v3, v3, v6
	v_or_b32_e32 v2, v2, v5
	;; [unrolled: 1-line block ×3, first 2 shown]
	s_delay_alu instid0(VALU_DEP_4) | instskip(NEXT) | instid1(VALU_DEP_4)
	v_or_b32_e32 v5, v21, v7
	v_and_b32_e32 v3, 0xffff, v3
	s_delay_alu instid0(VALU_DEP_4) | instskip(NEXT) | instid1(VALU_DEP_4)
	v_lshlrev_b32_e32 v2, 16, v2
	v_and_b32_e32 v4, 0xffff, v4
	s_delay_alu instid0(VALU_DEP_4) | instskip(NEXT) | instid1(VALU_DEP_3)
	v_lshlrev_b32_e32 v5, 16, v5
	v_or_b32_e32 v2, v3, v2
	s_delay_alu instid0(VALU_DEP_2)
	v_or_b32_e32 v46, v4, v5
.LBB541_97:
	s_or_b32 exec_lo, exec_lo, s1
	v_add_nc_u32_e32 v3, 11, v41
	v_mov_b32_e32 v45, 0
	s_mov_b32 s0, exec_lo
                                        ; implicit-def: $vgpr47
	s_delay_alu instid0(VALU_DEP_2)
	v_cmpx_le_u32_e64 s33, v3
	s_xor_b32 s0, exec_lo, s0
; %bb.98:
	v_and_b32_e32 v3, 0xff0000, v2
	v_perm_b32 v1, v1, v1, 0x3060504
	s_delay_alu instid0(VALU_DEP_2)
	v_perm_b32 v47, v2, v3, 0x3020504
                                        ; implicit-def: $vgpr2
; %bb.99:
	s_and_not1_saveexec_b32 s1, s0
	s_cbranch_execz .LBB541_103
; %bb.100:
	v_add_nc_u32_e32 v3, s17, v10
	v_add_nc_u32_e32 v4, s19, v10
	s_mov_b32 s2, 0
	s_mov_b32 s3, exec_lo
	s_delay_alu instid0(VALU_DEP_2) | instskip(NEXT) | instid1(VALU_DEP_2)
	v_mul_lo_u32 v3, v3, s16
	v_mul_lo_u32 v4, v4, s18
	s_delay_alu instid0(VALU_DEP_1) | instskip(NEXT) | instid1(VALU_DEP_1)
	v_sub_nc_u32_e32 v3, v3, v4
	v_cmp_lt_u32_e32 vcc_lo, s20, v3
	v_cmpx_ge_u32_e64 s20, v3
	s_cbranch_execz .LBB541_102
; %bb.101:
	v_add_nc_u32_e32 v3, s22, v10
	v_add_nc_u32_e32 v4, s42, v10
	s_delay_alu instid0(VALU_DEP_2) | instskip(NEXT) | instid1(VALU_DEP_2)
	v_mul_lo_u32 v3, v3, s21
	v_mul_lo_u32 v4, v4, s23
	s_delay_alu instid0(VALU_DEP_1) | instskip(NEXT) | instid1(VALU_DEP_1)
	v_sub_nc_u32_e32 v3, v3, v4
	v_cmp_lt_u32_e64 s0, s43, v3
	s_and_b32 s2, s0, exec_lo
.LBB541_102:
	s_wait_alu 0xfffe
	s_or_b32 exec_lo, exec_lo, s3
	v_lshrrev_b32_e32 v3, 8, v2
	s_wait_alu 0xfffd
	v_cndmask_b32_e64 v4, 0, 1, vcc_lo
	v_lshrrev_b32_e32 v5, 16, v2
	v_and_b32_e32 v2, 0xff, v2
	v_cndmask_b32_e64 v45, 0, 1, s2
	v_lshlrev_b16 v3, 8, v3
	v_lshlrev_b16 v4, 8, v4
	v_and_b32_e32 v5, 0xff, v5
	s_delay_alu instid0(VALU_DEP_3) | instskip(NEXT) | instid1(VALU_DEP_2)
	v_or_b32_e32 v2, v2, v3
	v_or_b32_e32 v3, v5, v4
	s_delay_alu instid0(VALU_DEP_2) | instskip(NEXT) | instid1(VALU_DEP_2)
	v_and_b32_e32 v2, 0xffff, v2
	v_lshlrev_b32_e32 v3, 16, v3
	s_delay_alu instid0(VALU_DEP_1)
	v_or_b32_e32 v47, v2, v3
.LBB541_103:
	s_or_b32 exec_lo, exec_lo, s1
	v_add_nc_u32_e32 v4, 12, v41
	v_lshrrev_b32_e32 v2, 8, v1
	v_lshrrev_b32_e32 v3, 16, v1
	;; [unrolled: 1-line block ×3, first 2 shown]
	s_mov_b32 s0, exec_lo
                                        ; implicit-def: $vgpr49
	v_cmpx_le_u32_e64 s33, v4
	s_xor_b32 s0, exec_lo, s0
	s_cbranch_execz .LBB541_105
; %bb.104:
	v_lshlrev_b16 v1, 8, v1
	v_and_b32_e32 v3, 0xff, v3
	v_lshlrev_b16 v2, 8, v2
	s_delay_alu instid0(VALU_DEP_2) | instskip(NEXT) | instid1(VALU_DEP_2)
	v_or_b32_e32 v1, v3, v1
	v_and_b32_e32 v2, 0xffff, v2
                                        ; implicit-def: $vgpr3
	s_delay_alu instid0(VALU_DEP_2) | instskip(NEXT) | instid1(VALU_DEP_1)
	v_lshlrev_b32_e32 v1, 16, v1
	v_or_b32_e32 v49, v2, v1
                                        ; implicit-def: $vgpr1
                                        ; implicit-def: $vgpr2
.LBB541_105:
	s_or_saveexec_b32 s1, s0
	v_mov_b32_e32 v48, 0
	s_xor_b32 exec_lo, exec_lo, s1
	s_cbranch_execz .LBB541_109
; %bb.106:
	v_add_nc_u32_e32 v4, s17, v40
	v_add_nc_u32_e32 v5, s19, v40
	s_mov_b32 s2, 0
	s_mov_b32 s3, exec_lo
	s_delay_alu instid0(VALU_DEP_2) | instskip(NEXT) | instid1(VALU_DEP_2)
	v_mul_lo_u32 v4, v4, s16
	v_mul_lo_u32 v5, v5, s18
	s_delay_alu instid0(VALU_DEP_1) | instskip(NEXT) | instid1(VALU_DEP_1)
	v_sub_nc_u32_e32 v4, v4, v5
	v_cmp_lt_u32_e32 vcc_lo, s20, v4
	v_cmpx_ge_u32_e64 s20, v4
	s_cbranch_execz .LBB541_108
; %bb.107:
	v_add_nc_u32_e32 v4, s22, v40
	v_add_nc_u32_e32 v5, s42, v40
	s_delay_alu instid0(VALU_DEP_2) | instskip(NEXT) | instid1(VALU_DEP_2)
	v_mul_lo_u32 v4, v4, s21
	v_mul_lo_u32 v5, v5, s23
	s_delay_alu instid0(VALU_DEP_1) | instskip(NEXT) | instid1(VALU_DEP_1)
	v_sub_nc_u32_e32 v4, v4, v5
	v_cmp_lt_u32_e64 s0, s43, v4
	s_and_b32 s2, s0, exec_lo
.LBB541_108:
	s_wait_alu 0xfffe
	s_or_b32 exec_lo, exec_lo, s3
	s_wait_alu 0xfffd
	v_cndmask_b32_e64 v4, 0, 1, vcc_lo
	v_lshlrev_b16 v1, 8, v1
	v_and_b32_e32 v3, 0xff, v3
	v_lshlrev_b16 v2, 8, v2
	v_cndmask_b32_e64 v48, 0, 1, s2
	s_delay_alu instid0(VALU_DEP_3) | instskip(NEXT) | instid1(VALU_DEP_3)
	v_or_b32_e32 v1, v3, v1
	v_or_b32_e32 v2, v4, v2
	s_delay_alu instid0(VALU_DEP_2) | instskip(NEXT) | instid1(VALU_DEP_2)
	v_lshlrev_b32_e32 v1, 16, v1
	v_and_b32_e32 v2, 0xffff, v2
	s_delay_alu instid0(VALU_DEP_1)
	v_or_b32_e32 v49, v2, v1
.LBB541_109:
	s_or_b32 exec_lo, exec_lo, s1
.LBB541_110:
	v_and_b32_e32 v72, 0xff, v42
	s_delay_alu instid0(VALU_DEP_2)
	v_bfe_u32 v73, v49, 8, 8
	v_bfe_u32 v70, v42, 8, 8
	v_bfe_u32 v71, v49, 16, 8
	v_bfe_u32 v69, v42, 16, 8
	v_lshrrev_b32_e32 v55, 24, v49
	v_lshrrev_b32_e32 v54, 24, v42
	v_and_b32_e32 v68, 0xff, v43
	v_and_b32_e32 v66, 0xff, v44
	v_bfe_u32 v67, v43, 8, 8
	v_add3_u32 v1, v70, v72, v69
	v_add3_u32 v2, v71, v73, v55
	v_bfe_u32 v64, v44, 8, 8
	v_bfe_u32 v65, v43, 16, 8
	;; [unrolled: 1-line block ×3, first 2 shown]
	v_lshrrev_b32_e32 v53, 24, v43
	v_add3_u32 v1, v1, v54, v66
	v_add3_u32 v2, v2, v68, v67
	v_lshrrev_b32_e32 v52, 24, v44
	v_and_b32_e32 v63, 0xff, v46
	v_and_b32_e32 v61, 0xff, v47
	v_bfe_u32 v62, v46, 8, 8
	v_add3_u32 v1, v1, v64, v59
	v_add3_u32 v2, v2, v65, v53
	v_bfe_u32 v58, v47, 8, 8
	v_bfe_u32 v60, v46, 16, 8
	;; [unrolled: 1-line block ×3, first 2 shown]
	v_lshrrev_b32_e32 v51, 24, v46
	v_add3_u32 v1, v1, v52, v61
	v_add3_u32 v2, v2, v63, v62
	v_mbcnt_lo_u32_b32 v74, -1, 0
	v_lshrrev_b32_e32 v50, 24, v47
	v_and_b32_e32 v57, 0xff, v45
	v_and_b32_e32 v3, 0xff, v49
	;; [unrolled: 1-line block ×3, first 2 shown]
	v_add3_u32 v1, v1, v58, v56
	v_add3_u32 v2, v2, v60, v51
	v_and_b32_e32 v76, 15, v74
	v_and_b32_e32 v78, 16, v74
	v_lshrrev_b32_e32 v75, 5, v0
	v_add3_u32 v79, v1, v50, v3
	v_add3_u32 v80, v2, v57, v4
	v_cmp_eq_u32_e64 s1, 0, v76
	v_cmp_lt_u32_e64 s0, 1, v76
	v_cmp_lt_u32_e64 s2, 3, v76
	v_or_b32_e32 v77, 31, v0
	s_cmp_lg_u32 ttmp9, 0
	s_mov_b32 s3, -1
	v_cmp_lt_u32_e32 vcc_lo, 7, v76
	s_cbranch_scc0 .LBB541_131
; %bb.111:
	v_mov_b32_dpp v2, v79 row_shr:1 row_mask:0xf bank_mask:0xf
	v_mov_b32_dpp v1, v80 row_shr:1 row_mask:0xf bank_mask:0xf
	s_mov_b32 s3, exec_lo
	s_delay_alu instid0(VALU_DEP_2) | instskip(NEXT) | instid1(VALU_DEP_2)
	v_add_nc_u32_e32 v2, v2, v79
	v_add_nc_u32_e32 v1, v1, v80
	s_delay_alu instid0(VALU_DEP_2) | instskip(NEXT) | instid1(VALU_DEP_2)
	v_cndmask_b32_e64 v2, v2, v79, s1
	v_cndmask_b32_e64 v1, v1, v80, s1
	s_delay_alu instid0(VALU_DEP_2) | instskip(NEXT) | instid1(VALU_DEP_2)
	v_mov_b32_dpp v4, v2 row_shr:2 row_mask:0xf bank_mask:0xf
	v_mov_b32_dpp v3, v1 row_shr:2 row_mask:0xf bank_mask:0xf
	s_delay_alu instid0(VALU_DEP_2) | instskip(NEXT) | instid1(VALU_DEP_1)
	v_add_nc_u32_e32 v4, v2, v4
	v_cndmask_b32_e64 v2, v2, v4, s0
	s_delay_alu instid0(VALU_DEP_1) | instskip(NEXT) | instid1(VALU_DEP_1)
	v_mov_b32_dpp v4, v2 row_shr:4 row_mask:0xf bank_mask:0xf
	v_add_nc_u32_e32 v4, v2, v4
	s_wait_alu 0xf1ff
	s_delay_alu instid0(VALU_DEP_1) | instskip(NEXT) | instid1(VALU_DEP_1)
	v_cndmask_b32_e64 v2, v2, v4, s2
	v_mov_b32_dpp v4, v2 row_shr:8 row_mask:0xf bank_mask:0xf
	s_delay_alu instid0(VALU_DEP_1) | instskip(SKIP_1) | instid1(VALU_DEP_1)
	v_add_nc_u32_e32 v4, v2, v4
	s_wait_alu 0xfffd
	v_dual_cndmask_b32 v2, v2, v4 :: v_dual_add_nc_u32 v3, v1, v3
	s_delay_alu instid0(VALU_DEP_1) | instskip(SKIP_2) | instid1(VALU_DEP_1)
	v_cndmask_b32_e64 v1, v1, v3, s0
	ds_swizzle_b32 v4, v2 offset:swizzle(BROADCAST,32,15)
	v_mov_b32_dpp v3, v1 row_shr:4 row_mask:0xf bank_mask:0xf
	v_add_nc_u32_e32 v3, v1, v3
	s_delay_alu instid0(VALU_DEP_1) | instskip(NEXT) | instid1(VALU_DEP_1)
	v_cndmask_b32_e64 v1, v1, v3, s2
	v_mov_b32_dpp v3, v1 row_shr:8 row_mask:0xf bank_mask:0xf
	s_wait_dscnt 0x0
	v_add_nc_u32_e32 v4, v2, v4
	s_delay_alu instid0(VALU_DEP_2) | instskip(NEXT) | instid1(VALU_DEP_1)
	v_add_nc_u32_e32 v3, v1, v3
	v_cndmask_b32_e32 v1, v1, v3, vcc_lo
	v_cmp_eq_u32_e32 vcc_lo, 0, v78
	ds_swizzle_b32 v3, v1 offset:swizzle(BROADCAST,32,15)
	s_wait_dscnt 0x0
	v_add_nc_u32_e32 v3, v1, v3
	v_cmpx_eq_u32_e64 v0, v77
; %bb.112:
	s_wait_alu 0xfffd
	s_delay_alu instid0(VALU_DEP_2)
	v_dual_cndmask_b32 v6, v3, v1 :: v_dual_lshlrev_b32 v7, 3, v75
	v_cndmask_b32_e32 v5, v4, v2, vcc_lo
	ds_store_b64 v7, v[5:6]
; %bb.113:
	s_wait_alu 0xfffe
	s_or_b32 exec_lo, exec_lo, s3
	s_delay_alu instid0(SALU_CYCLE_1)
	s_mov_b32 s3, exec_lo
	s_wait_loadcnt_dscnt 0x0
	s_barrier_signal -1
	s_barrier_wait -1
	global_inv scope:SCOPE_SE
	v_cmpx_gt_u32_e32 8, v0
	s_cbranch_execz .LBB541_115
; %bb.114:
	v_lshlrev_b32_e32 v7, 3, v0
	v_and_b32_e32 v22, 7, v74
	ds_load_b64 v[5:6], v7
	v_cmp_eq_u32_e64 s2, 0, v22
	s_wait_dscnt 0x0
	v_mov_b32_dpp v8, v5 row_shr:1 row_mask:0xf bank_mask:0xf
	v_mov_b32_dpp v21, v6 row_shr:1 row_mask:0xf bank_mask:0xf
	s_delay_alu instid0(VALU_DEP_2) | instskip(NEXT) | instid1(VALU_DEP_2)
	v_add_nc_u32_e32 v8, v8, v5
	v_add_nc_u32_e32 v21, v21, v6
	s_wait_alu 0xf1ff
	s_delay_alu instid0(VALU_DEP_2) | instskip(NEXT) | instid1(VALU_DEP_2)
	v_cndmask_b32_e64 v5, v8, v5, s2
	v_cndmask_b32_e64 v6, v21, v6, s2
	v_cmp_lt_u32_e64 s2, 1, v22
	s_delay_alu instid0(VALU_DEP_3) | instskip(NEXT) | instid1(VALU_DEP_3)
	v_mov_b32_dpp v8, v5 row_shr:2 row_mask:0xf bank_mask:0xf
	v_mov_b32_dpp v21, v6 row_shr:2 row_mask:0xf bank_mask:0xf
	s_delay_alu instid0(VALU_DEP_2) | instskip(NEXT) | instid1(VALU_DEP_2)
	v_add_nc_u32_e32 v8, v5, v8
	v_add_nc_u32_e32 v21, v6, v21
	s_wait_alu 0xf1ff
	s_delay_alu instid0(VALU_DEP_2) | instskip(NEXT) | instid1(VALU_DEP_2)
	v_cndmask_b32_e64 v5, v5, v8, s2
	v_cndmask_b32_e64 v6, v6, v21, s2
	v_cmp_lt_u32_e64 s2, 3, v22
	s_delay_alu instid0(VALU_DEP_3) | instskip(NEXT) | instid1(VALU_DEP_3)
	v_mov_b32_dpp v8, v5 row_shr:4 row_mask:0xf bank_mask:0xf
	v_mov_b32_dpp v21, v6 row_shr:4 row_mask:0xf bank_mask:0xf
	s_wait_alu 0xf1ff
	s_delay_alu instid0(VALU_DEP_2) | instskip(NEXT) | instid1(VALU_DEP_2)
	v_cndmask_b32_e64 v8, 0, v8, s2
	v_cndmask_b32_e64 v21, 0, v21, s2
	s_delay_alu instid0(VALU_DEP_2) | instskip(NEXT) | instid1(VALU_DEP_2)
	v_add_nc_u32_e32 v5, v8, v5
	v_add_nc_u32_e32 v6, v21, v6
	ds_store_b64 v7, v[5:6]
.LBB541_115:
	s_wait_alu 0xfffe
	s_or_b32 exec_lo, exec_lo, s3
	v_dual_cndmask_b32 v1, v3, v1 :: v_dual_cndmask_b32 v2, v4, v2
	s_mov_b32 s3, exec_lo
	v_cmp_gt_u32_e32 vcc_lo, 32, v0
	s_wait_loadcnt_dscnt 0x0
	s_barrier_signal -1
	s_barrier_wait -1
	global_inv scope:SCOPE_SE
                                        ; implicit-def: $vgpr21
	v_cmpx_lt_u32_e32 31, v0
	s_cbranch_execz .LBB541_117
; %bb.116:
	v_lshl_add_u32 v3, v75, 3, -8
	ds_load_b64 v[21:22], v3
	s_wait_dscnt 0x0
	v_add_nc_u32_e32 v1, v22, v1
	v_add_nc_u32_e32 v2, v21, v2
.LBB541_117:
	s_wait_alu 0xfffe
	s_or_b32 exec_lo, exec_lo, s3
	v_sub_co_u32 v3, s2, v74, 1
	s_delay_alu instid0(VALU_DEP_1) | instskip(SKIP_1) | instid1(VALU_DEP_1)
	v_cmp_gt_i32_e64 s3, 0, v3
	s_wait_alu 0xf1ff
	v_cndmask_b32_e64 v3, v3, v74, s3
	s_delay_alu instid0(VALU_DEP_1)
	v_lshlrev_b32_e32 v3, 2, v3
	ds_bpermute_b32 v81, v3, v2
	ds_bpermute_b32 v82, v3, v1
	s_and_saveexec_b32 s3, vcc_lo
	s_cbranch_execz .LBB541_136
; %bb.118:
	v_mov_b32_e32 v4, 0
	ds_load_b64 v[1:2], v4 offset:56
	s_and_saveexec_b32 s6, s2
	s_cbranch_execz .LBB541_120
; %bb.119:
	s_add_co_i32 s8, ttmp9, 32
	s_mov_b32 s9, 0
	s_wait_alu 0xfffe
	s_lshl_b64 s[8:9], s[8:9], 4
	s_wait_kmcnt 0x0
	s_wait_alu 0xfffe
	s_add_nc_u64 s[8:9], s[4:5], s[8:9]
	v_mov_b32_e32 v3, 1
	s_wait_alu 0xfffe
	v_dual_mov_b32 v5, s8 :: v_dual_mov_b32 v6, s9
	s_wait_dscnt 0x0
	;;#ASMSTART
	global_store_b128 v[5:6], v[1:4] off scope:SCOPE_DEV	
s_wait_storecnt 0x0
	;;#ASMEND
.LBB541_120:
	s_wait_alu 0xfffe
	s_or_b32 exec_lo, exec_lo, s6
	v_xad_u32 v23, v74, -1, ttmp9
	s_mov_b32 s7, 0
	s_mov_b32 s6, exec_lo
	s_delay_alu instid0(VALU_DEP_1) | instskip(NEXT) | instid1(VALU_DEP_1)
	v_add_nc_u32_e32 v3, 32, v23
	v_lshlrev_b64_e32 v[3:4], 4, v[3:4]
	s_wait_kmcnt 0x0
	s_delay_alu instid0(VALU_DEP_1) | instskip(SKIP_1) | instid1(VALU_DEP_2)
	v_add_co_u32 v3, vcc_lo, s4, v3
	s_wait_alu 0xfffd
	v_add_co_ci_u32_e64 v4, null, s5, v4, vcc_lo
	;;#ASMSTART
	global_load_b128 v[5:8], v[3:4] off scope:SCOPE_DEV	
s_wait_loadcnt 0x0
	;;#ASMEND
	v_and_b32_e32 v8, 0xff, v7
	s_delay_alu instid0(VALU_DEP_1)
	v_cmpx_eq_u16_e32 0, v8
	s_cbranch_execz .LBB541_123
.LBB541_121:                            ; =>This Inner Loop Header: Depth=1
	;;#ASMSTART
	global_load_b128 v[5:8], v[3:4] off scope:SCOPE_DEV	
s_wait_loadcnt 0x0
	;;#ASMEND
	v_and_b32_e32 v8, 0xff, v7
	s_delay_alu instid0(VALU_DEP_1)
	v_cmp_ne_u16_e32 vcc_lo, 0, v8
	s_wait_alu 0xfffe
	s_or_b32 s7, vcc_lo, s7
	s_wait_alu 0xfffe
	s_and_not1_b32 exec_lo, exec_lo, s7
	s_cbranch_execnz .LBB541_121
; %bb.122:
	s_or_b32 exec_lo, exec_lo, s7
.LBB541_123:
	s_wait_alu 0xfffe
	s_or_b32 exec_lo, exec_lo, s6
	v_cmp_ne_u32_e32 vcc_lo, 31, v74
	v_lshlrev_b32_e64 v84, v74, -1
	v_add_nc_u32_e32 v86, 2, v74
	v_add_nc_u32_e32 v88, 4, v74
	;; [unrolled: 1-line block ×3, first 2 shown]
	s_wait_alu 0xfffd
	v_add_co_ci_u32_e64 v3, null, 0, v74, vcc_lo
	v_lshl_or_b32 v91, v74, 2, 64
	v_add_nc_u32_e32 v92, 16, v74
	s_delay_alu instid0(VALU_DEP_3)
	v_lshlrev_b32_e32 v83, 2, v3
	v_and_b32_e32 v3, 0xff, v7
	ds_bpermute_b32 v4, v83, v6
	v_cmp_eq_u16_e32 vcc_lo, 2, v3
	s_wait_alu 0xfffd
	v_and_b32_e32 v8, vcc_lo, v84
	v_cmp_gt_u32_e32 vcc_lo, 30, v74
	s_delay_alu instid0(VALU_DEP_2) | instskip(SKIP_2) | instid1(VALU_DEP_2)
	v_or_b32_e32 v8, 0x80000000, v8
	s_wait_alu 0xfffd
	v_cndmask_b32_e64 v24, 0, 2, vcc_lo
	v_ctz_i32_b32_e32 v8, v8
	s_delay_alu instid0(VALU_DEP_2) | instskip(SKIP_2) | instid1(VALU_DEP_3)
	v_add_lshl_u32 v85, v24, v74, 2
	s_wait_dscnt 0x0
	v_add_nc_u32_e32 v4, v4, v6
	v_cmp_lt_u32_e32 vcc_lo, v74, v8
	s_wait_alu 0xfffd
	s_delay_alu instid0(VALU_DEP_2) | instskip(SKIP_3) | instid1(VALU_DEP_1)
	v_cndmask_b32_e32 v4, v6, v4, vcc_lo
	ds_bpermute_b32 v3, v83, v5
	s_wait_dscnt 0x0
	v_add_nc_u32_e32 v3, v3, v5
	v_cndmask_b32_e32 v3, v5, v3, vcc_lo
	ds_bpermute_b32 v5, v85, v4
	v_cmp_gt_u32_e32 vcc_lo, 28, v74
	ds_bpermute_b32 v6, v85, v3
	s_wait_alu 0xfffd
	v_cndmask_b32_e64 v24, 0, 4, vcc_lo
	v_cmp_gt_u32_e32 vcc_lo, v86, v8
	s_delay_alu instid0(VALU_DEP_2)
	v_add_lshl_u32 v87, v24, v74, 2
	s_wait_dscnt 0x1
	v_add_nc_u32_e32 v5, v4, v5
	s_wait_dscnt 0x0
	v_add_nc_u32_e32 v6, v3, v6
	s_wait_alu 0xfffd
	s_delay_alu instid0(VALU_DEP_1)
	v_dual_cndmask_b32 v4, v5, v4 :: v_dual_cndmask_b32 v3, v6, v3
	ds_bpermute_b32 v5, v87, v4
	v_cmp_gt_u32_e32 vcc_lo, 24, v74
	ds_bpermute_b32 v6, v87, v3
	s_wait_alu 0xfffd
	v_cndmask_b32_e64 v24, 0, 8, vcc_lo
	v_cmp_gt_u32_e32 vcc_lo, v88, v8
	s_delay_alu instid0(VALU_DEP_2)
	v_add_lshl_u32 v89, v24, v74, 2
	s_wait_dscnt 0x1
	v_dual_mov_b32 v24, 0 :: v_dual_add_nc_u32 v5, v4, v5
	s_wait_dscnt 0x0
	v_add_nc_u32_e32 v6, v3, v6
	s_wait_alu 0xfffd
	s_delay_alu instid0(VALU_DEP_1)
	v_dual_cndmask_b32 v4, v5, v4 :: v_dual_cndmask_b32 v3, v6, v3
	ds_bpermute_b32 v5, v89, v4
	v_cmp_gt_u32_e32 vcc_lo, v90, v8
	ds_bpermute_b32 v6, v89, v3
	s_wait_dscnt 0x1
	v_add_nc_u32_e32 v5, v4, v5
	s_wait_dscnt 0x0
	v_add_nc_u32_e32 v6, v3, v6
	s_wait_alu 0xfffd
	s_delay_alu instid0(VALU_DEP_1)
	v_dual_cndmask_b32 v4, v5, v4 :: v_dual_cndmask_b32 v3, v6, v3
	ds_bpermute_b32 v6, v91, v4
	v_cmp_le_u32_e32 vcc_lo, v92, v8
	ds_bpermute_b32 v5, v91, v3
	s_wait_dscnt 0x0
	s_wait_alu 0xfffd
	v_dual_cndmask_b32 v6, 0, v6 :: v_dual_cndmask_b32 v5, 0, v5
	s_delay_alu instid0(VALU_DEP_1) | instskip(NEXT) | instid1(VALU_DEP_2)
	v_add_nc_u32_e32 v6, v6, v4
	v_add_nc_u32_e32 v5, v5, v3
	s_branch .LBB541_127
.LBB541_124:                            ;   in Loop: Header=BB541_127 Depth=1
	s_or_b32 exec_lo, exec_lo, s7
.LBB541_125:                            ;   in Loop: Header=BB541_127 Depth=1
	s_wait_alu 0xfffe
	s_or_b32 exec_lo, exec_lo, s6
	ds_bpermute_b32 v8, v83, v5
	ds_bpermute_b32 v25, v83, v6
	v_subrev_nc_u32_e32 v23, 32, v23
	s_mov_b32 s6, 0
	s_wait_dscnt 0x1
	v_add_nc_u32_e32 v8, v8, v5
	v_and_b32_e32 v26, 0xff, v7
	s_wait_dscnt 0x0
	v_add_nc_u32_e32 v25, v25, v6
	s_delay_alu instid0(VALU_DEP_2) | instskip(SKIP_2) | instid1(VALU_DEP_1)
	v_cmp_eq_u16_e32 vcc_lo, 2, v26
	s_wait_alu 0xfffd
	v_and_or_b32 v26, vcc_lo, v84, 0x80000000
	v_ctz_i32_b32_e32 v26, v26
	s_delay_alu instid0(VALU_DEP_1)
	v_cmp_lt_u32_e32 vcc_lo, v74, v26
	s_wait_alu 0xfffd
	v_dual_cndmask_b32 v6, v6, v25 :: v_dual_cndmask_b32 v5, v5, v8
	v_cmp_gt_u32_e32 vcc_lo, v86, v26
	ds_bpermute_b32 v25, v85, v6
	ds_bpermute_b32 v8, v85, v5
	s_wait_dscnt 0x1
	v_add_nc_u32_e32 v25, v6, v25
	s_wait_dscnt 0x0
	v_add_nc_u32_e32 v8, v5, v8
	s_wait_alu 0xfffd
	s_delay_alu instid0(VALU_DEP_1)
	v_dual_cndmask_b32 v6, v25, v6 :: v_dual_cndmask_b32 v5, v8, v5
	v_cmp_gt_u32_e32 vcc_lo, v88, v26
	ds_bpermute_b32 v25, v87, v6
	ds_bpermute_b32 v8, v87, v5
	s_wait_dscnt 0x1
	v_add_nc_u32_e32 v25, v6, v25
	s_wait_dscnt 0x0
	v_add_nc_u32_e32 v8, v5, v8
	s_wait_alu 0xfffd
	s_delay_alu instid0(VALU_DEP_1)
	;; [unrolled: 10-line block ×3, first 2 shown]
	v_dual_cndmask_b32 v6, v25, v6 :: v_dual_cndmask_b32 v5, v8, v5
	v_cmp_le_u32_e32 vcc_lo, v92, v26
	ds_bpermute_b32 v25, v91, v6
	ds_bpermute_b32 v8, v91, v5
	s_wait_dscnt 0x0
	s_wait_alu 0xfffd
	v_dual_cndmask_b32 v25, 0, v25 :: v_dual_cndmask_b32 v8, 0, v8
	s_delay_alu instid0(VALU_DEP_1) | instskip(NEXT) | instid1(VALU_DEP_2)
	v_add3_u32 v6, v6, v4, v25
	v_add3_u32 v5, v5, v3, v8
.LBB541_126:                            ;   in Loop: Header=BB541_127 Depth=1
	s_wait_alu 0xfffe
	s_and_b32 vcc_lo, exec_lo, s6
	s_wait_alu 0xfffe
	s_cbranch_vccnz .LBB541_132
.LBB541_127:                            ; =>This Loop Header: Depth=1
                                        ;     Child Loop BB541_130 Depth 2
	v_and_b32_e32 v3, 0xff, v7
	s_mov_b32 s6, -1
                                        ; implicit-def: $vgpr7
	s_delay_alu instid0(VALU_DEP_1)
	v_cmp_ne_u16_e32 vcc_lo, 2, v3
	v_dual_mov_b32 v3, v5 :: v_dual_mov_b32 v4, v6
                                        ; implicit-def: $vgpr5_vgpr6
	s_cmp_lg_u32 vcc_lo, exec_lo
	s_cbranch_scc1 .LBB541_126
; %bb.128:                              ;   in Loop: Header=BB541_127 Depth=1
	v_lshlrev_b64_e32 v[5:6], 4, v[23:24]
	s_mov_b32 s6, exec_lo
	s_delay_alu instid0(VALU_DEP_1) | instskip(SKIP_1) | instid1(VALU_DEP_2)
	v_add_co_u32 v25, vcc_lo, s4, v5
	s_wait_alu 0xfffd
	v_add_co_ci_u32_e64 v26, null, s5, v6, vcc_lo
	;;#ASMSTART
	global_load_b128 v[5:8], v[25:26] off scope:SCOPE_DEV	
s_wait_loadcnt 0x0
	;;#ASMEND
	v_and_b32_e32 v8, 0xff, v7
	s_delay_alu instid0(VALU_DEP_1)
	v_cmpx_eq_u16_e32 0, v8
	s_cbranch_execz .LBB541_125
; %bb.129:                              ;   in Loop: Header=BB541_127 Depth=1
	s_mov_b32 s7, 0
.LBB541_130:                            ;   Parent Loop BB541_127 Depth=1
                                        ; =>  This Inner Loop Header: Depth=2
	;;#ASMSTART
	global_load_b128 v[5:8], v[25:26] off scope:SCOPE_DEV	
s_wait_loadcnt 0x0
	;;#ASMEND
	v_and_b32_e32 v8, 0xff, v7
	s_delay_alu instid0(VALU_DEP_1)
	v_cmp_ne_u16_e32 vcc_lo, 0, v8
	s_wait_alu 0xfffe
	s_or_b32 s7, vcc_lo, s7
	s_wait_alu 0xfffe
	s_and_not1_b32 exec_lo, exec_lo, s7
	s_cbranch_execnz .LBB541_130
	s_branch .LBB541_124
.LBB541_131:
                                        ; implicit-def: $vgpr81
                                        ; implicit-def: $vgpr3
                                        ; implicit-def: $vgpr82
	s_wait_alu 0xfffe
	s_and_b32 vcc_lo, exec_lo, s3
	s_wait_alu 0xfffe
	s_cbranch_vccnz .LBB541_137
	s_branch .LBB541_146
.LBB541_132:
	s_and_saveexec_b32 s6, s2
	s_cbranch_execnz .LBB541_374
; %bb.133:
	s_wait_alu 0xfffe
	s_or_b32 exec_lo, exec_lo, s6
	s_and_saveexec_b32 s6, s2
	s_cbranch_execnz .LBB541_375
.LBB541_134:
	s_wait_alu 0xfffe
	s_or_b32 exec_lo, exec_lo, s6
	v_cmp_eq_u32_e32 vcc_lo, 0, v0
	s_and_b32 exec_lo, exec_lo, vcc_lo
.LBB541_135:
	v_mov_b32_e32 v1, 0
	ds_store_b64 v1, v[3:4] offset:56
.LBB541_136:
	s_wait_alu 0xfffe
	s_or_b32 exec_lo, exec_lo, s3
	s_wait_dscnt 0x0
	v_cndmask_b32_e64 v8, v82, v22, s2
	v_mov_b32_e32 v1, 0
	s_wait_loadcnt 0x0
	s_barrier_signal -1
	s_barrier_wait -1
	global_inv scope:SCOPE_SE
	ds_load_b64 v[5:6], v1 offset:56
	s_wait_loadcnt_dscnt 0x0
	s_barrier_signal -1
	s_barrier_wait -1
	global_inv scope:SCOPE_SE
	v_cndmask_b32_e64 v7, v81, v21, s2
	v_cmp_eq_u32_e32 vcc_lo, 0, v0
	v_add_nc_u32_e32 v8, v6, v8
	ds_load_b128 v[1:4], v1 offset:13312
	v_add_nc_u32_e32 v7, v5, v7
	s_wait_alu 0xfffd
	s_delay_alu instid0(VALU_DEP_1)
	v_dual_cndmask_b32 v81, v8, v6 :: v_dual_cndmask_b32 v82, v7, v5
	s_branch .LBB541_146
.LBB541_137:
	s_wait_dscnt 0x0
	v_mov_b32_dpp v2, v80 row_shr:1 row_mask:0xf bank_mask:0xf
	v_cmp_lt_u32_e32 vcc_lo, 3, v76
	v_mov_b32_dpp v1, v79 row_shr:1 row_mask:0xf bank_mask:0xf
	s_delay_alu instid0(VALU_DEP_3) | instskip(NEXT) | instid1(VALU_DEP_1)
	v_add_nc_u32_e32 v2, v2, v80
	v_cndmask_b32_e64 v2, v2, v80, s1
	s_delay_alu instid0(VALU_DEP_1) | instskip(NEXT) | instid1(VALU_DEP_1)
	v_mov_b32_dpp v4, v2 row_shr:2 row_mask:0xf bank_mask:0xf
	v_add_nc_u32_e32 v4, v2, v4
	s_delay_alu instid0(VALU_DEP_1) | instskip(NEXT) | instid1(VALU_DEP_1)
	v_cndmask_b32_e64 v2, v2, v4, s0
	v_mov_b32_dpp v4, v2 row_shr:4 row_mask:0xf bank_mask:0xf
	s_delay_alu instid0(VALU_DEP_1) | instskip(SKIP_1) | instid1(VALU_DEP_1)
	v_add_nc_u32_e32 v4, v2, v4
	s_wait_alu 0xfffd
	v_dual_cndmask_b32 v2, v2, v4 :: v_dual_add_nc_u32 v1, v1, v79
	s_delay_alu instid0(VALU_DEP_1) | instskip(SKIP_1) | instid1(VALU_DEP_2)
	v_cndmask_b32_e64 v1, v1, v79, s1
	s_mov_b32 s1, exec_lo
	v_mov_b32_dpp v4, v2 row_shr:8 row_mask:0xf bank_mask:0xf
	s_delay_alu instid0(VALU_DEP_2) | instskip(NEXT) | instid1(VALU_DEP_1)
	v_mov_b32_dpp v3, v1 row_shr:2 row_mask:0xf bank_mask:0xf
	v_add_nc_u32_e32 v3, v1, v3
	s_delay_alu instid0(VALU_DEP_1) | instskip(NEXT) | instid1(VALU_DEP_1)
	v_cndmask_b32_e64 v1, v1, v3, s0
	v_mov_b32_dpp v3, v1 row_shr:4 row_mask:0xf bank_mask:0xf
	s_delay_alu instid0(VALU_DEP_1) | instskip(NEXT) | instid1(VALU_DEP_1)
	v_add_nc_u32_e32 v3, v1, v3
	v_cndmask_b32_e32 v3, v1, v3, vcc_lo
	v_cmp_lt_u32_e32 vcc_lo, 7, v76
	s_delay_alu instid0(VALU_DEP_2) | instskip(NEXT) | instid1(VALU_DEP_1)
	v_mov_b32_dpp v1, v3 row_shr:8 row_mask:0xf bank_mask:0xf
	v_add_nc_u32_e32 v5, v3, v1
	v_add_nc_u32_e32 v1, v2, v4
	s_wait_alu 0xfffd
	s_delay_alu instid0(VALU_DEP_1) | instskip(NEXT) | instid1(VALU_DEP_3)
	v_cndmask_b32_e32 v1, v2, v1, vcc_lo
	v_cndmask_b32_e32 v2, v3, v5, vcc_lo
	v_cmp_eq_u32_e32 vcc_lo, 0, v78
	ds_swizzle_b32 v3, v1 offset:swizzle(BROADCAST,32,15)
	ds_swizzle_b32 v4, v2 offset:swizzle(BROADCAST,32,15)
	s_wait_dscnt 0x1
	v_add_nc_u32_e32 v3, v1, v3
	s_wait_dscnt 0x0
	v_add_nc_u32_e32 v4, v2, v4
	v_cmpx_eq_u32_e64 v0, v77
; %bb.138:
	s_wait_alu 0xfffd
	s_delay_alu instid0(VALU_DEP_2)
	v_dual_cndmask_b32 v5, v4, v2 :: v_dual_cndmask_b32 v6, v3, v1
	v_lshlrev_b32_e32 v7, 3, v75
	ds_store_b64 v7, v[5:6]
; %bb.139:
	s_wait_alu 0xfffe
	s_or_b32 exec_lo, exec_lo, s1
	s_delay_alu instid0(SALU_CYCLE_1)
	s_mov_b32 s1, exec_lo
	s_wait_loadcnt_dscnt 0x0
	s_barrier_signal -1
	s_barrier_wait -1
	global_inv scope:SCOPE_SE
	v_cmpx_gt_u32_e32 8, v0
	s_cbranch_execz .LBB541_141
; %bb.140:
	v_lshlrev_b32_e32 v7, 3, v0
	v_and_b32_e32 v22, 7, v74
	ds_load_b64 v[5:6], v7
	v_cmp_eq_u32_e64 s0, 0, v22
	s_wait_dscnt 0x0
	v_mov_b32_dpp v8, v5 row_shr:1 row_mask:0xf bank_mask:0xf
	v_mov_b32_dpp v21, v6 row_shr:1 row_mask:0xf bank_mask:0xf
	s_delay_alu instid0(VALU_DEP_2) | instskip(NEXT) | instid1(VALU_DEP_2)
	v_add_nc_u32_e32 v8, v8, v5
	v_add_nc_u32_e32 v21, v21, v6
	s_wait_alu 0xf1ff
	s_delay_alu instid0(VALU_DEP_2) | instskip(NEXT) | instid1(VALU_DEP_2)
	v_cndmask_b32_e64 v5, v8, v5, s0
	v_cndmask_b32_e64 v6, v21, v6, s0
	v_cmp_lt_u32_e64 s0, 1, v22
	s_delay_alu instid0(VALU_DEP_3) | instskip(NEXT) | instid1(VALU_DEP_3)
	v_mov_b32_dpp v8, v5 row_shr:2 row_mask:0xf bank_mask:0xf
	v_mov_b32_dpp v21, v6 row_shr:2 row_mask:0xf bank_mask:0xf
	s_delay_alu instid0(VALU_DEP_2) | instskip(NEXT) | instid1(VALU_DEP_2)
	v_add_nc_u32_e32 v8, v5, v8
	v_add_nc_u32_e32 v21, v6, v21
	s_wait_alu 0xf1ff
	s_delay_alu instid0(VALU_DEP_2) | instskip(NEXT) | instid1(VALU_DEP_2)
	v_cndmask_b32_e64 v5, v5, v8, s0
	v_cndmask_b32_e64 v6, v6, v21, s0
	v_cmp_lt_u32_e64 s0, 3, v22
	s_delay_alu instid0(VALU_DEP_3) | instskip(NEXT) | instid1(VALU_DEP_3)
	v_mov_b32_dpp v8, v5 row_shr:4 row_mask:0xf bank_mask:0xf
	v_mov_b32_dpp v21, v6 row_shr:4 row_mask:0xf bank_mask:0xf
	s_wait_alu 0xf1ff
	s_delay_alu instid0(VALU_DEP_2) | instskip(NEXT) | instid1(VALU_DEP_2)
	v_cndmask_b32_e64 v8, 0, v8, s0
	v_cndmask_b32_e64 v21, 0, v21, s0
	s_delay_alu instid0(VALU_DEP_2) | instskip(NEXT) | instid1(VALU_DEP_2)
	v_add_nc_u32_e32 v5, v8, v5
	v_add_nc_u32_e32 v6, v21, v6
	ds_store_b64 v7, v[5:6]
.LBB541_141:
	s_wait_alu 0xfffe
	s_or_b32 exec_lo, exec_lo, s1
	v_dual_mov_b32 v7, 0 :: v_dual_mov_b32 v6, 0
	v_mov_b32_e32 v5, 0
	s_mov_b32 s1, exec_lo
	s_wait_loadcnt_dscnt 0x0
	s_barrier_signal -1
	s_barrier_wait -1
	global_inv scope:SCOPE_SE
	v_cmpx_lt_u32_e32 31, v0
; %bb.142:
	v_lshl_add_u32 v5, v75, 3, -8
	ds_load_b64 v[5:6], v5
; %bb.143:
	s_wait_alu 0xfffe
	s_or_b32 exec_lo, exec_lo, s1
	v_sub_co_u32 v8, s0, v74, 1
	v_dual_cndmask_b32 v2, v4, v2 :: v_dual_cndmask_b32 v1, v3, v1
	v_cmp_eq_u32_e32 vcc_lo, 0, v0
	s_delay_alu instid0(VALU_DEP_3) | instskip(SKIP_1) | instid1(VALU_DEP_3)
	v_cmp_gt_i32_e64 s1, 0, v8
	s_wait_dscnt 0x0
	v_add_nc_u32_e32 v2, v5, v2
	v_add_nc_u32_e32 v1, v6, v1
	s_wait_alu 0xf1ff
	v_cndmask_b32_e64 v4, v8, v74, s1
	s_delay_alu instid0(VALU_DEP_1)
	v_lshlrev_b32_e32 v3, 2, v4
	ds_bpermute_b32 v8, v3, v2
	ds_bpermute_b32 v21, v3, v1
	ds_load_b64 v[1:2], v7 offset:56
	s_and_saveexec_b32 s1, vcc_lo
	s_cbranch_execz .LBB541_145
; %bb.144:
	s_wait_kmcnt 0x0
	s_add_nc_u64 s[2:3], s[4:5], 0x200
	v_dual_mov_b32 v3, 2 :: v_dual_mov_b32 v4, 0
	s_wait_alu 0xfffe
	v_dual_mov_b32 v23, s3 :: v_dual_mov_b32 v22, s2
	s_wait_dscnt 0x0
	;;#ASMSTART
	global_store_b128 v[22:23], v[1:4] off scope:SCOPE_DEV	
s_wait_storecnt 0x0
	;;#ASMEND
.LBB541_145:
	s_wait_alu 0xfffe
	s_or_b32 exec_lo, exec_lo, s1
	s_wait_dscnt 0x1
	v_cndmask_b32_e64 v3, v21, v6, s0
	v_cndmask_b32_e64 v5, v8, v5, s0
	v_mov_b32_e32 v4, 0
	s_wait_loadcnt_dscnt 0x0
	s_barrier_signal -1
	v_cndmask_b32_e64 v81, v3, 0, vcc_lo
	v_cndmask_b32_e64 v82, v5, 0, vcc_lo
	v_mov_b32_e32 v3, 0
	s_barrier_wait -1
	global_inv scope:SCOPE_SE
.LBB541_146:
	v_lshrrev_b32_e32 v77, 8, v49
	s_delay_alu instid0(VALU_DEP_2)
	v_add_nc_u32_e32 v73, v81, v73
	s_wait_dscnt 0x0
	v_sub_nc_u32_e32 v81, v81, v4
	v_lshlrev_b32_e32 v84, 1, v1
	v_lshrrev_b32_e32 v75, 16, v49
	v_and_b32_e32 v77, 1, v77
	v_add_nc_u32_e32 v71, v73, v71
	v_add_nc_u32_e32 v81, v81, v1
	v_add3_u32 v87, v84, v2, v41
	v_and_b32_e32 v75, 1, v75
	v_cmp_eq_u32_e32 vcc_lo, 1, v77
	v_add_nc_u32_e32 v72, v82, v72
	v_sub_nc_u32_e32 v82, v82, v3
	v_sub_nc_u32_e32 v73, v73, v4
	v_lshrrev_b32_e32 v76, 8, v42
	v_lshrrev_b32_e32 v74, 16, v42
	v_and_b32_e32 v42, 1, v42
	v_add_nc_u32_e32 v41, v82, v81
	v_add_nc_u32_e32 v73, v73, v1
	v_and_b32_e32 v76, 1, v76
	s_wait_kmcnt 0x0
	v_add_co_u32 v5, s0, s28, v3
	v_sub_nc_u32_e32 v41, v87, v41
	s_wait_alu 0xf1ff
	v_add_co_ci_u32_e64 v6, null, s29, 0, s0
	v_sub_co_u32 v80, s0, s30, v1
	s_wait_alu 0xfffd
	v_cndmask_b32_e32 v41, v41, v81, vcc_lo
	v_cmp_eq_u32_e32 vcc_lo, 1, v75
	v_add_nc_u32_e32 v78, v71, v55
	v_sub_nc_u32_e32 v71, v71, v4
	s_wait_alu 0xf1ff
	v_sub_co_ci_u32_e64 v83, null, s31, 0, s0
	v_and_b32_e32 v55, 1, v55
	v_and_b32_e32 v74, 1, v74
	v_add_nc_u32_e32 v71, v71, v1
	v_add_nc_u32_e32 v70, v72, v70
	v_sub_nc_u32_e32 v72, v72, v3
	v_lshrrev_b32_e32 v26, 8, v43
	v_lshrrev_b32_e32 v25, 16, v43
	v_and_b32_e32 v43, 1, v43
	v_lshrrev_b32_e32 v23, 16, v44
	v_add_nc_u32_e32 v88, v73, v72
	v_and_b32_e32 v26, 1, v26
	v_lshrrev_b32_e32 v24, 8, v44
	v_and_b32_e32 v44, 1, v44
	v_lshrrev_b32_e32 v8, 16, v46
	v_sub_nc_u32_e32 v88, v87, v88
	v_lshrrev_b32_e32 v22, 8, v46
	v_and_b32_e32 v24, 1, v24
	v_lshrrev_b32_e32 v21, 8, v47
	v_and_b32_e32 v8, 1, v8
	v_add_nc_u32_e32 v88, 1, v88
	v_and_b32_e32 v22, 1, v22
	v_lshrrev_b32_e32 v7, 16, v47
	s_mov_b32 s41, 0
	s_wait_alu 0xfffd
	v_cndmask_b32_e32 v73, v88, v73, vcc_lo
	v_cmp_eq_u32_e32 vcc_lo, 1, v42
	v_add_nc_u32_e32 v68, v78, v68
	v_and_b32_e32 v7, 1, v7
	s_wait_alu 0xfffd
	v_cndmask_b32_e32 v81, v41, v82, vcc_lo
	v_cmp_eq_u32_e32 vcc_lo, 1, v76
	v_add_nc_u32_e32 v69, v70, v69
	v_sub_nc_u32_e32 v70, v70, v3
	v_sub_nc_u32_e32 v76, v78, v4
	s_wait_alu 0xfffd
	v_dual_cndmask_b32 v72, v73, v72 :: v_dual_add_nc_u32 v67, v68, v67
	v_add_co_u32 v41, vcc_lo, v80, v4
	v_add_nc_u32_e32 v75, v71, v70
	s_wait_alu 0xfffd
	v_add_co_ci_u32_e64 v42, null, 0, v83, vcc_lo
	v_cmp_eq_u32_e32 vcc_lo, 1, v55
	v_add_nc_u32_e32 v79, v69, v54
	v_sub_nc_u32_e32 v73, v87, v75
	v_sub_nc_u32_e32 v69, v69, v3
	;; [unrolled: 1-line block ×3, first 2 shown]
	v_lshlrev_b32_e32 v75, 2, v81
	v_lshlrev_b32_e32 v72, 2, v72
	v_add_nc_u32_e32 v73, 2, v73
	ds_store_b32 v75, v19
	ds_store_b32 v72, v20
	s_wait_alu 0xfffd
	v_dual_cndmask_b32 v55, v73, v71 :: v_dual_add_nc_u32 v68, v68, v1
	v_add_nc_u32_e32 v71, v76, v1
	v_cmp_eq_u32_e32 vcc_lo, 1, v74
	v_and_b32_e32 v54, 1, v54
	s_delay_alu instid0(VALU_DEP_3) | instskip(SKIP_4) | instid1(VALU_DEP_3)
	v_add_nc_u32_e32 v73, v69, v71
	s_wait_alu 0xfffd
	v_cndmask_b32_e32 v55, v55, v70, vcc_lo
	v_sub_nc_u32_e32 v70, v79, v3
	v_cmp_eq_u32_e32 vcc_lo, 1, v43
	v_lshlrev_b32_e32 v19, 2, v55
	s_delay_alu instid0(VALU_DEP_3)
	v_add_nc_u32_e32 v20, v70, v68
	v_sub_nc_u32_e32 v55, v87, v73
	ds_store_b32 v19, v17
	v_sub_nc_u32_e32 v20, v87, v20
	v_add_nc_u32_e32 v55, 3, v55
	v_and_b32_e32 v19, 1, v25
	s_wait_alu 0xfffd
	s_delay_alu instid0(VALU_DEP_2) | instskip(SKIP_2) | instid1(VALU_DEP_2)
	v_dual_cndmask_b32 v43, v55, v71 :: v_dual_add_nc_u32 v20, 4, v20
	v_cmp_eq_u32_e32 vcc_lo, 1, v26
	s_wait_alu 0xfffd
	v_cndmask_b32_e32 v20, v20, v68, vcc_lo
	v_cmp_eq_u32_e32 vcc_lo, 1, v54
	s_wait_alu 0xfffd
	v_cndmask_b32_e32 v26, v43, v69, vcc_lo
	v_cmp_eq_u32_e32 vcc_lo, 1, v44
	v_add_nc_u32_e32 v65, v67, v65
	v_sub_nc_u32_e32 v67, v67, v4
	s_delay_alu instid0(VALU_DEP_4)
	v_lshlrev_b32_e32 v17, 2, v26
	s_wait_alu 0xfffd
	v_cndmask_b32_e32 v20, v20, v70, vcc_lo
	v_cmp_eq_u32_e32 vcc_lo, 1, v19
	v_add_nc_u32_e32 v67, v67, v1
	v_add_nc_u32_e32 v66, v79, v66
	;; [unrolled: 1-line block ×3, first 2 shown]
	v_sub_nc_u32_e32 v26, v65, v4
	v_lshlrev_b32_e32 v20, 2, v20
	ds_store_b32 v17, v18
	ds_store_b32 v20, v15
	v_add_nc_u32_e32 v64, v66, v64
	v_sub_nc_u32_e32 v66, v66, v3
	v_add_nc_u32_e32 v26, v26, v1
	v_add_nc_u32_e32 v63, v85, v63
	v_and_b32_e32 v20, 1, v53
	s_delay_alu instid0(VALU_DEP_4) | instskip(NEXT) | instid1(VALU_DEP_1)
	v_add_nc_u32_e32 v55, v66, v67
	v_sub_nc_u32_e32 v43, v87, v55
	s_delay_alu instid0(VALU_DEP_1) | instskip(SKIP_2) | instid1(VALU_DEP_2)
	v_add_nc_u32_e32 v25, 5, v43
	v_sub_nc_u32_e32 v43, v85, v4
	s_wait_alu 0xfffd
	v_cndmask_b32_e32 v19, v25, v67, vcc_lo
	v_cmp_eq_u32_e32 vcc_lo, 1, v24
	s_delay_alu instid0(VALU_DEP_3) | instskip(SKIP_1) | instid1(VALU_DEP_3)
	v_add_nc_u32_e32 v43, v43, v1
	s_wait_alu 0xfffd
	v_cndmask_b32_e32 v19, v19, v66, vcc_lo
	v_add_nc_u32_e32 v59, v64, v59
	v_sub_nc_u32_e32 v25, v64, v3
	v_cmp_eq_u32_e32 vcc_lo, 1, v20
	v_and_b32_e32 v20, 1, v52
	v_lshlrev_b32_e32 v15, 2, v19
	v_sub_nc_u32_e32 v24, v59, v3
	v_add_nc_u32_e32 v44, v25, v26
	v_add_nc_u32_e32 v86, v59, v52
	v_and_b32_e32 v19, 1, v23
	v_sub_nc_u32_e32 v23, v63, v4
	v_add_nc_u32_e32 v17, v24, v43
	v_sub_nc_u32_e32 v18, v87, v44
	v_and_b32_e32 v44, 1, v46
	v_sub_nc_u32_e32 v46, v86, v3
	v_add_nc_u32_e32 v23, v23, v1
	v_sub_nc_u32_e32 v17, v87, v17
	v_add_nc_u32_e32 v18, 6, v18
	v_add_nc_u32_e32 v61, v86, v61
	s_wait_alu 0xfffd
	s_delay_alu instid0(VALU_DEP_2)
	v_dual_cndmask_b32 v18, v18, v26 :: v_dual_add_nc_u32 v17, 7, v17
	v_cmp_eq_u32_e32 vcc_lo, 1, v44
	v_add_nc_u32_e32 v26, v46, v23
	v_add_nc_u32_e32 v58, v61, v58
	s_wait_alu 0xfffd
	v_cndmask_b32_e32 v17, v17, v43, vcc_lo
	v_cmp_eq_u32_e32 vcc_lo, 1, v19
	v_sub_nc_u32_e32 v19, v87, v26
	s_wait_alu 0xfffd
	v_cndmask_b32_e32 v18, v18, v25, vcc_lo
	v_cmp_eq_u32_e32 vcc_lo, 1, v20
	v_add_nc_u32_e32 v62, v63, v62
	v_add_nc_u32_e32 v19, 8, v19
	v_sub_nc_u32_e32 v25, v61, v3
	s_wait_alu 0xfffd
	v_dual_cndmask_b32 v17, v17, v24 :: v_dual_lshlrev_b32 v18, 2, v18
	v_sub_nc_u32_e32 v20, v62, v4
	v_and_b32_e32 v24, 1, v47
	v_cmp_eq_u32_e32 vcc_lo, 1, v22
	s_delay_alu instid0(VALU_DEP_4) | instskip(NEXT) | instid1(VALU_DEP_4)
	v_lshlrev_b32_e32 v17, 2, v17
	v_add_nc_u32_e32 v20, v20, v1
	ds_store_b32 v15, v16
	ds_store_b32 v18, v13
	;; [unrolled: 1-line block ×3, first 2 shown]
	s_wait_alu 0xfffd
	v_cndmask_b32_e32 v19, v19, v23, vcc_lo
	v_cmp_eq_u32_e32 vcc_lo, 1, v24
	v_add_nc_u32_e32 v60, v62, v60
	v_add_nc_u32_e32 v22, v25, v20
	v_sub_nc_u32_e32 v17, v58, v3
	v_and_b32_e32 v15, 1, v21
	s_wait_alu 0xfffd
	v_cndmask_b32_e32 v19, v19, v46, vcc_lo
	v_sub_nc_u32_e32 v16, v60, v4
	v_sub_nc_u32_e32 v13, v87, v22
	v_cmp_eq_u32_e32 vcc_lo, 1, v8
	v_add_nc_u32_e32 v89, v60, v51
	v_lshlrev_b32_e32 v14, 2, v19
	v_add_nc_u32_e32 v16, v16, v1
	v_add_nc_u32_e32 v13, 9, v13
	s_delay_alu instid0(VALU_DEP_4)
	v_sub_nc_u32_e32 v18, v89, v4
	ds_store_b32 v14, v11
	v_add_nc_u32_e32 v19, v17, v16
	s_wait_alu 0xfffd
	v_cndmask_b32_e32 v8, v13, v20, vcc_lo
	v_cmp_eq_u32_e32 vcc_lo, 1, v15
	v_and_b32_e32 v15, 1, v51
	v_and_b32_e32 v20, 1, v45
	v_sub_nc_u32_e32 v14, v87, v19
	v_add_nc_u32_e32 v18, v18, v1
	s_wait_alu 0xfffd
	v_cndmask_b32_e32 v8, v8, v25, vcc_lo
	v_cmp_eq_u32_e32 vcc_lo, 1, v15
	v_add_nc_u32_e32 v57, v89, v57
	v_add_nc_u32_e32 v14, 10, v14
	v_and_b32_e32 v15, 1, v50
	v_lshlrev_b32_e32 v8, 2, v8
	s_delay_alu instid0(VALU_DEP_4)
	v_sub_nc_u32_e32 v19, v57, v4
	s_wait_alu 0xfffd
	v_cndmask_b32_e32 v14, v14, v16, vcc_lo
	v_cmp_eq_u32_e32 vcc_lo, 1, v20
	v_add_nc_u32_e32 v56, v58, v56
	v_add_nc_u32_e32 v19, v19, v1
	s_delay_alu instid0(VALU_DEP_2) | instskip(NEXT) | instid1(VALU_DEP_1)
	v_sub_nc_u32_e32 v13, v56, v3
	v_add_nc_u32_e32 v11, v13, v18
	s_delay_alu instid0(VALU_DEP_1) | instskip(NEXT) | instid1(VALU_DEP_1)
	v_sub_nc_u32_e32 v11, v87, v11
	v_add_nc_u32_e32 v11, 11, v11
	s_wait_alu 0xfffd
	s_delay_alu instid0(VALU_DEP_1) | instskip(SKIP_2) | instid1(VALU_DEP_2)
	v_cndmask_b32_e32 v11, v11, v18, vcc_lo
	v_add_nc_u32_e32 v77, v56, v50
	v_cmp_eq_u32_e32 vcc_lo, 1, v7
	v_sub_nc_u32_e32 v3, v77, v3
	s_wait_alu 0xfffd
	v_cndmask_b32_e32 v7, v14, v17, vcc_lo
	v_cmp_eq_u32_e32 vcc_lo, 1, v15
	v_and_b32_e32 v15, 1, v49
	v_add_nc_u32_e32 v16, v3, v19
	s_delay_alu instid0(VALU_DEP_4) | instskip(SKIP_4) | instid1(VALU_DEP_3)
	v_lshlrev_b32_e32 v7, 2, v7
	s_wait_alu 0xfffd
	v_cndmask_b32_e32 v11, v11, v13, vcc_lo
	v_and_b32_e32 v13, 1, v48
	v_sub_nc_u32_e32 v14, v87, v16
	v_lshlrev_b32_e32 v11, 2, v11
	s_delay_alu instid0(VALU_DEP_3)
	v_cmp_eq_u32_e32 vcc_lo, 1, v13
	ds_store_b32 v8, v12
	ds_store_b32 v7, v9
	;; [unrolled: 1-line block ×3, first 2 shown]
	v_add_nc_u32_e32 v14, 12, v14
	v_add_co_u32 v7, s0, v2, v84
	s_wait_alu 0xf1ff
	v_add_co_ci_u32_e64 v8, null, 0, 0, s0
	s_wait_alu 0xfffd
	v_cndmask_b32_e32 v13, v14, v19, vcc_lo
	v_cmp_eq_u32_e32 vcc_lo, 1, v15
	s_wait_alu 0xfffe
	s_add_nc_u64 s[0:1], s[34:35], s[40:41]
	v_lshlrev_b64_e32 v[9:10], 2, v[5:6]
	v_add_nc_u32_e32 v12, v1, v2
	s_wait_alu 0xfffd
	v_cndmask_b32_e32 v3, v13, v3, vcc_lo
	v_add_co_u32 v7, vcc_lo, v7, v41
	s_wait_alu 0xfffd
	v_add_co_ci_u32_e64 v8, null, v8, v42, vcc_lo
	s_delay_alu instid0(VALU_DEP_3)
	v_lshlrev_b32_e32 v3, 2, v3
	ds_store_b32 v3, v40
	v_add_co_u32 v3, vcc_lo, v7, v5
	s_wait_alu 0xfffd
	v_add_co_ci_u32_e64 v7, null, v8, v6, vcc_lo
	s_wait_loadcnt_dscnt 0x0
	s_wait_alu 0xfffe
	v_sub_co_u32 v3, vcc_lo, s0, v3
	s_wait_alu 0xfffd
	v_sub_co_ci_u32_e64 v11, null, s1, v7, vcc_lo
	v_lshlrev_b64_e32 v[7:8], 2, v[41:42]
	v_add_co_u32 v9, s0, s36, v9
	s_wait_alu 0xf1ff
	v_add_co_ci_u32_e64 v10, null, s37, v10, s0
	s_mov_b32 s0, -1
	v_add_co_u32 v7, vcc_lo, s38, v7
	s_wait_alu 0xfffd
	v_add_co_ci_u32_e64 v8, null, s39, v8, vcc_lo
	v_cmp_ne_u32_e32 vcc_lo, 1, v39
	s_barrier_signal -1
	s_barrier_wait -1
	global_inv scope:SCOPE_SE
	s_cbranch_vccz .LBB541_150
; %bb.147:
	s_wait_alu 0xfffe
	s_and_b32 vcc_lo, exec_lo, s0
	s_wait_alu 0xfffe
	s_cbranch_vccnz .LBB541_255
.LBB541_148:
	v_cmp_eq_u32_e32 vcc_lo, 0, v0
	s_and_b32 s0, vcc_lo, s15
	s_wait_alu 0xfffe
	s_and_saveexec_b32 s1, s0
	s_cbranch_execnz .LBB541_373
.LBB541_149:
	s_endpgm
.LBB541_150:
	s_mov_b32 s0, exec_lo
	v_cmpx_ge_u32_e64 v0, v1
	s_wait_alu 0xfffe
	s_xor_b32 s0, exec_lo, s0
	s_cbranch_execz .LBB541_156
; %bb.151:
	s_mov_b32 s1, exec_lo
	v_cmpx_ge_u32_e64 v0, v12
	s_wait_alu 0xfffe
	s_xor_b32 s1, exec_lo, s1
	s_cbranch_execz .LBB541_153
; %bb.152:
	v_lshlrev_b32_e32 v13, 2, v0
	ds_load_b32 v15, v13
	v_add_co_u32 v13, vcc_lo, v3, v0
	s_wait_alu 0xfffd
	v_add_co_ci_u32_e64 v14, null, 0, v11, vcc_lo
	s_delay_alu instid0(VALU_DEP_1) | instskip(NEXT) | instid1(VALU_DEP_1)
	v_lshlrev_b64_e32 v[13:14], 2, v[13:14]
	v_sub_co_u32 v13, vcc_lo, s26, v13
	s_wait_alu 0xfffd
	s_delay_alu instid0(VALU_DEP_2)
	v_sub_co_ci_u32_e64 v14, null, s27, v14, vcc_lo
	s_wait_dscnt 0x0
	global_store_b32 v[13:14], v15, off offset:-4
.LBB541_153:
	s_wait_alu 0xfffe
	s_and_not1_saveexec_b32 s1, s1
	s_cbranch_execz .LBB541_155
; %bb.154:
	v_lshlrev_b32_e32 v13, 2, v0
	v_readfirstlane_b32 s2, v7
	v_readfirstlane_b32 s3, v8
	ds_load_b32 v14, v13
	s_wait_dscnt 0x0
	global_store_b32 v13, v14, s[2:3]
.LBB541_155:
	s_wait_alu 0xfffe
	s_or_b32 exec_lo, exec_lo, s1
.LBB541_156:
	s_wait_alu 0xfffe
	s_and_not1_saveexec_b32 s0, s0
	s_cbranch_execz .LBB541_158
; %bb.157:
	v_lshlrev_b32_e32 v13, 2, v0
	v_readfirstlane_b32 s2, v9
	v_readfirstlane_b32 s3, v10
	ds_load_b32 v14, v13
	s_wait_dscnt 0x0
	global_store_b32 v13, v14, s[2:3]
.LBB541_158:
	s_wait_alu 0xfffe
	s_or_b32 exec_lo, exec_lo, s0
	s_delay_alu instid0(SALU_CYCLE_1)
	s_mov_b32 s0, exec_lo
	v_cmpx_ge_u32_e64 v38, v1
	s_wait_alu 0xfffe
	s_xor_b32 s0, exec_lo, s0
	s_cbranch_execz .LBB541_164
; %bb.159:
	s_mov_b32 s1, exec_lo
	v_cmpx_ge_u32_e64 v38, v12
	s_wait_alu 0xfffe
	s_xor_b32 s1, exec_lo, s1
	s_cbranch_execz .LBB541_161
; %bb.160:
	v_lshlrev_b32_e32 v13, 2, v0
	ds_load_b32 v15, v13 offset:1024
	v_add_co_u32 v13, vcc_lo, v3, v0
	s_wait_alu 0xfffd
	v_add_co_ci_u32_e64 v14, null, 0, v11, vcc_lo
	s_delay_alu instid0(VALU_DEP_1) | instskip(NEXT) | instid1(VALU_DEP_1)
	v_lshlrev_b64_e32 v[13:14], 2, v[13:14]
	v_sub_co_u32 v13, vcc_lo, s26, v13
	s_wait_alu 0xfffd
	s_delay_alu instid0(VALU_DEP_2)
	v_sub_co_ci_u32_e64 v14, null, s27, v14, vcc_lo
	s_wait_dscnt 0x0
	global_store_b32 v[13:14], v15, off offset:-1028
.LBB541_161:
	s_wait_alu 0xfffe
	s_and_not1_saveexec_b32 s1, s1
	s_cbranch_execz .LBB541_163
; %bb.162:
	v_lshlrev_b32_e32 v13, 2, v0
	v_readfirstlane_b32 s2, v7
	v_readfirstlane_b32 s3, v8
	ds_load_b32 v14, v13 offset:1024
	s_wait_dscnt 0x0
	global_store_b32 v13, v14, s[2:3] offset:1024
.LBB541_163:
	s_wait_alu 0xfffe
	s_or_b32 exec_lo, exec_lo, s1
.LBB541_164:
	s_wait_alu 0xfffe
	s_and_not1_saveexec_b32 s0, s0
	s_cbranch_execz .LBB541_166
; %bb.165:
	v_lshlrev_b32_e32 v13, 2, v0
	v_readfirstlane_b32 s2, v9
	v_readfirstlane_b32 s3, v10
	ds_load_b32 v14, v13 offset:1024
	s_wait_dscnt 0x0
	global_store_b32 v13, v14, s[2:3] offset:1024
.LBB541_166:
	s_wait_alu 0xfffe
	s_or_b32 exec_lo, exec_lo, s0
	s_delay_alu instid0(SALU_CYCLE_1)
	s_mov_b32 s0, exec_lo
	v_cmpx_ge_u32_e64 v37, v1
	s_wait_alu 0xfffe
	s_xor_b32 s0, exec_lo, s0
	s_cbranch_execz .LBB541_172
; %bb.167:
	s_mov_b32 s1, exec_lo
	v_cmpx_ge_u32_e64 v37, v12
	s_wait_alu 0xfffe
	s_xor_b32 s1, exec_lo, s1
	s_cbranch_execz .LBB541_169
; %bb.168:
	v_lshlrev_b32_e32 v13, 2, v0
	ds_load_b32 v15, v13 offset:2048
	v_add_co_u32 v13, vcc_lo, v3, v0
	s_wait_alu 0xfffd
	v_add_co_ci_u32_e64 v14, null, 0, v11, vcc_lo
	s_delay_alu instid0(VALU_DEP_1) | instskip(NEXT) | instid1(VALU_DEP_1)
	v_lshlrev_b64_e32 v[13:14], 2, v[13:14]
	v_sub_co_u32 v13, vcc_lo, s26, v13
	s_wait_alu 0xfffd
	s_delay_alu instid0(VALU_DEP_2)
	v_sub_co_ci_u32_e64 v14, null, s27, v14, vcc_lo
	s_wait_dscnt 0x0
	global_store_b32 v[13:14], v15, off offset:-2052
.LBB541_169:
	s_wait_alu 0xfffe
	s_and_not1_saveexec_b32 s1, s1
	s_cbranch_execz .LBB541_171
; %bb.170:
	v_lshlrev_b32_e32 v13, 2, v0
	v_readfirstlane_b32 s2, v7
	v_readfirstlane_b32 s3, v8
	ds_load_b32 v14, v13 offset:2048
	s_wait_dscnt 0x0
	global_store_b32 v13, v14, s[2:3] offset:2048
.LBB541_171:
	s_wait_alu 0xfffe
	s_or_b32 exec_lo, exec_lo, s1
.LBB541_172:
	s_wait_alu 0xfffe
	s_and_not1_saveexec_b32 s0, s0
	s_cbranch_execz .LBB541_174
; %bb.173:
	v_lshlrev_b32_e32 v13, 2, v0
	v_readfirstlane_b32 s2, v9
	v_readfirstlane_b32 s3, v10
	ds_load_b32 v14, v13 offset:2048
	s_wait_dscnt 0x0
	global_store_b32 v13, v14, s[2:3] offset:2048
.LBB541_174:
	s_wait_alu 0xfffe
	s_or_b32 exec_lo, exec_lo, s0
	s_delay_alu instid0(SALU_CYCLE_1)
	s_mov_b32 s0, exec_lo
	v_cmpx_ge_u32_e64 v36, v1
	s_wait_alu 0xfffe
	s_xor_b32 s0, exec_lo, s0
	s_cbranch_execz .LBB541_180
; %bb.175:
	s_mov_b32 s1, exec_lo
	v_cmpx_ge_u32_e64 v36, v12
	s_wait_alu 0xfffe
	s_xor_b32 s1, exec_lo, s1
	s_cbranch_execz .LBB541_177
; %bb.176:
	v_lshlrev_b32_e32 v13, 2, v0
	ds_load_b32 v15, v13 offset:3072
	v_add_co_u32 v13, vcc_lo, v3, v0
	s_wait_alu 0xfffd
	v_add_co_ci_u32_e64 v14, null, 0, v11, vcc_lo
	s_delay_alu instid0(VALU_DEP_1) | instskip(NEXT) | instid1(VALU_DEP_1)
	v_lshlrev_b64_e32 v[13:14], 2, v[13:14]
	v_sub_co_u32 v13, vcc_lo, s26, v13
	s_wait_alu 0xfffd
	s_delay_alu instid0(VALU_DEP_2)
	v_sub_co_ci_u32_e64 v14, null, s27, v14, vcc_lo
	s_wait_dscnt 0x0
	global_store_b32 v[13:14], v15, off offset:-3076
.LBB541_177:
	s_wait_alu 0xfffe
	s_and_not1_saveexec_b32 s1, s1
	s_cbranch_execz .LBB541_179
; %bb.178:
	v_lshlrev_b32_e32 v13, 2, v0
	v_readfirstlane_b32 s2, v7
	v_readfirstlane_b32 s3, v8
	ds_load_b32 v14, v13 offset:3072
	s_wait_dscnt 0x0
	global_store_b32 v13, v14, s[2:3] offset:3072
.LBB541_179:
	s_wait_alu 0xfffe
	s_or_b32 exec_lo, exec_lo, s1
.LBB541_180:
	s_wait_alu 0xfffe
	s_and_not1_saveexec_b32 s0, s0
	s_cbranch_execz .LBB541_182
; %bb.181:
	v_lshlrev_b32_e32 v13, 2, v0
	v_readfirstlane_b32 s2, v9
	v_readfirstlane_b32 s3, v10
	ds_load_b32 v14, v13 offset:3072
	s_wait_dscnt 0x0
	global_store_b32 v13, v14, s[2:3] offset:3072
.LBB541_182:
	s_wait_alu 0xfffe
	s_or_b32 exec_lo, exec_lo, s0
	s_delay_alu instid0(SALU_CYCLE_1)
	s_mov_b32 s0, exec_lo
	v_cmpx_ge_u32_e64 v35, v1
	s_wait_alu 0xfffe
	s_xor_b32 s0, exec_lo, s0
	s_cbranch_execz .LBB541_188
; %bb.183:
	s_mov_b32 s1, exec_lo
	v_cmpx_ge_u32_e64 v35, v12
	s_wait_alu 0xfffe
	s_xor_b32 s1, exec_lo, s1
	s_cbranch_execz .LBB541_185
; %bb.184:
	v_lshlrev_b32_e32 v13, 2, v0
	ds_load_b32 v15, v13 offset:4096
	v_add_co_u32 v13, vcc_lo, v3, v0
	s_wait_alu 0xfffd
	v_add_co_ci_u32_e64 v14, null, 0, v11, vcc_lo
	s_delay_alu instid0(VALU_DEP_1) | instskip(NEXT) | instid1(VALU_DEP_1)
	v_lshlrev_b64_e32 v[13:14], 2, v[13:14]
	v_sub_co_u32 v13, vcc_lo, s26, v13
	s_wait_alu 0xfffd
	s_delay_alu instid0(VALU_DEP_2)
	v_sub_co_ci_u32_e64 v14, null, s27, v14, vcc_lo
	s_wait_dscnt 0x0
	global_store_b32 v[13:14], v15, off offset:-4100
.LBB541_185:
	s_wait_alu 0xfffe
	s_and_not1_saveexec_b32 s1, s1
	s_cbranch_execz .LBB541_187
; %bb.186:
	v_lshlrev_b32_e32 v13, 2, v0
	v_readfirstlane_b32 s2, v7
	v_readfirstlane_b32 s3, v8
	ds_load_b32 v14, v13 offset:4096
	s_wait_dscnt 0x0
	global_store_b32 v13, v14, s[2:3] offset:4096
.LBB541_187:
	s_wait_alu 0xfffe
	s_or_b32 exec_lo, exec_lo, s1
.LBB541_188:
	s_wait_alu 0xfffe
	s_and_not1_saveexec_b32 s0, s0
	s_cbranch_execz .LBB541_190
; %bb.189:
	v_lshlrev_b32_e32 v13, 2, v0
	v_readfirstlane_b32 s2, v9
	v_readfirstlane_b32 s3, v10
	ds_load_b32 v14, v13 offset:4096
	s_wait_dscnt 0x0
	global_store_b32 v13, v14, s[2:3] offset:4096
.LBB541_190:
	s_wait_alu 0xfffe
	s_or_b32 exec_lo, exec_lo, s0
	s_delay_alu instid0(SALU_CYCLE_1)
	s_mov_b32 s0, exec_lo
	v_cmpx_ge_u32_e64 v34, v1
	s_wait_alu 0xfffe
	s_xor_b32 s0, exec_lo, s0
	s_cbranch_execz .LBB541_196
; %bb.191:
	s_mov_b32 s1, exec_lo
	v_cmpx_ge_u32_e64 v34, v12
	s_wait_alu 0xfffe
	s_xor_b32 s1, exec_lo, s1
	s_cbranch_execz .LBB541_193
; %bb.192:
	v_lshlrev_b32_e32 v13, 2, v0
	ds_load_b32 v15, v13 offset:5120
	v_add_co_u32 v13, vcc_lo, v3, v0
	s_wait_alu 0xfffd
	v_add_co_ci_u32_e64 v14, null, 0, v11, vcc_lo
	s_delay_alu instid0(VALU_DEP_1) | instskip(NEXT) | instid1(VALU_DEP_1)
	v_lshlrev_b64_e32 v[13:14], 2, v[13:14]
	v_sub_co_u32 v13, vcc_lo, s26, v13
	s_wait_alu 0xfffd
	s_delay_alu instid0(VALU_DEP_2)
	v_sub_co_ci_u32_e64 v14, null, s27, v14, vcc_lo
	s_wait_dscnt 0x0
	global_store_b32 v[13:14], v15, off offset:-5124
.LBB541_193:
	s_wait_alu 0xfffe
	s_and_not1_saveexec_b32 s1, s1
	s_cbranch_execz .LBB541_195
; %bb.194:
	v_lshlrev_b32_e32 v13, 2, v0
	v_readfirstlane_b32 s2, v7
	v_readfirstlane_b32 s3, v8
	ds_load_b32 v14, v13 offset:5120
	s_wait_dscnt 0x0
	global_store_b32 v13, v14, s[2:3] offset:5120
.LBB541_195:
	s_wait_alu 0xfffe
	s_or_b32 exec_lo, exec_lo, s1
.LBB541_196:
	s_wait_alu 0xfffe
	s_and_not1_saveexec_b32 s0, s0
	s_cbranch_execz .LBB541_198
; %bb.197:
	v_lshlrev_b32_e32 v13, 2, v0
	v_readfirstlane_b32 s2, v9
	v_readfirstlane_b32 s3, v10
	ds_load_b32 v14, v13 offset:5120
	s_wait_dscnt 0x0
	global_store_b32 v13, v14, s[2:3] offset:5120
.LBB541_198:
	s_wait_alu 0xfffe
	s_or_b32 exec_lo, exec_lo, s0
	s_delay_alu instid0(SALU_CYCLE_1)
	s_mov_b32 s0, exec_lo
	v_cmpx_ge_u32_e64 v33, v1
	s_wait_alu 0xfffe
	s_xor_b32 s0, exec_lo, s0
	s_cbranch_execz .LBB541_204
; %bb.199:
	s_mov_b32 s1, exec_lo
	v_cmpx_ge_u32_e64 v33, v12
	s_wait_alu 0xfffe
	s_xor_b32 s1, exec_lo, s1
	s_cbranch_execz .LBB541_201
; %bb.200:
	v_lshlrev_b32_e32 v13, 2, v0
	ds_load_b32 v15, v13 offset:6144
	v_add_co_u32 v13, vcc_lo, v3, v0
	s_wait_alu 0xfffd
	v_add_co_ci_u32_e64 v14, null, 0, v11, vcc_lo
	s_delay_alu instid0(VALU_DEP_1) | instskip(NEXT) | instid1(VALU_DEP_1)
	v_lshlrev_b64_e32 v[13:14], 2, v[13:14]
	v_sub_co_u32 v13, vcc_lo, s26, v13
	s_wait_alu 0xfffd
	s_delay_alu instid0(VALU_DEP_2)
	v_sub_co_ci_u32_e64 v14, null, s27, v14, vcc_lo
	s_wait_dscnt 0x0
	global_store_b32 v[13:14], v15, off offset:-6148
.LBB541_201:
	s_wait_alu 0xfffe
	s_and_not1_saveexec_b32 s1, s1
	s_cbranch_execz .LBB541_203
; %bb.202:
	v_lshlrev_b32_e32 v13, 2, v0
	v_readfirstlane_b32 s2, v7
	v_readfirstlane_b32 s3, v8
	ds_load_b32 v14, v13 offset:6144
	s_wait_dscnt 0x0
	global_store_b32 v13, v14, s[2:3] offset:6144
.LBB541_203:
	s_wait_alu 0xfffe
	s_or_b32 exec_lo, exec_lo, s1
.LBB541_204:
	s_wait_alu 0xfffe
	s_and_not1_saveexec_b32 s0, s0
	s_cbranch_execz .LBB541_206
; %bb.205:
	v_lshlrev_b32_e32 v13, 2, v0
	v_readfirstlane_b32 s2, v9
	v_readfirstlane_b32 s3, v10
	ds_load_b32 v14, v13 offset:6144
	s_wait_dscnt 0x0
	global_store_b32 v13, v14, s[2:3] offset:6144
.LBB541_206:
	s_wait_alu 0xfffe
	s_or_b32 exec_lo, exec_lo, s0
	s_delay_alu instid0(SALU_CYCLE_1)
	s_mov_b32 s0, exec_lo
	v_cmpx_ge_u32_e64 v32, v1
	s_wait_alu 0xfffe
	s_xor_b32 s0, exec_lo, s0
	s_cbranch_execz .LBB541_212
; %bb.207:
	s_mov_b32 s1, exec_lo
	v_cmpx_ge_u32_e64 v32, v12
	s_wait_alu 0xfffe
	s_xor_b32 s1, exec_lo, s1
	s_cbranch_execz .LBB541_209
; %bb.208:
	v_lshlrev_b32_e32 v13, 2, v0
	ds_load_b32 v15, v13 offset:7168
	v_add_co_u32 v13, vcc_lo, v3, v0
	s_wait_alu 0xfffd
	v_add_co_ci_u32_e64 v14, null, 0, v11, vcc_lo
	s_delay_alu instid0(VALU_DEP_1) | instskip(NEXT) | instid1(VALU_DEP_1)
	v_lshlrev_b64_e32 v[13:14], 2, v[13:14]
	v_sub_co_u32 v13, vcc_lo, s26, v13
	s_wait_alu 0xfffd
	s_delay_alu instid0(VALU_DEP_2)
	v_sub_co_ci_u32_e64 v14, null, s27, v14, vcc_lo
	s_wait_dscnt 0x0
	global_store_b32 v[13:14], v15, off offset:-7172
.LBB541_209:
	s_wait_alu 0xfffe
	s_and_not1_saveexec_b32 s1, s1
	s_cbranch_execz .LBB541_211
; %bb.210:
	v_lshlrev_b32_e32 v13, 2, v0
	v_readfirstlane_b32 s2, v7
	v_readfirstlane_b32 s3, v8
	ds_load_b32 v14, v13 offset:7168
	s_wait_dscnt 0x0
	global_store_b32 v13, v14, s[2:3] offset:7168
.LBB541_211:
	s_wait_alu 0xfffe
	s_or_b32 exec_lo, exec_lo, s1
.LBB541_212:
	s_wait_alu 0xfffe
	s_and_not1_saveexec_b32 s0, s0
	s_cbranch_execz .LBB541_214
; %bb.213:
	v_lshlrev_b32_e32 v13, 2, v0
	v_readfirstlane_b32 s2, v9
	v_readfirstlane_b32 s3, v10
	ds_load_b32 v14, v13 offset:7168
	s_wait_dscnt 0x0
	global_store_b32 v13, v14, s[2:3] offset:7168
.LBB541_214:
	s_wait_alu 0xfffe
	s_or_b32 exec_lo, exec_lo, s0
	s_delay_alu instid0(SALU_CYCLE_1)
	s_mov_b32 s0, exec_lo
	v_cmpx_ge_u32_e64 v31, v1
	s_wait_alu 0xfffe
	s_xor_b32 s0, exec_lo, s0
	s_cbranch_execz .LBB541_220
; %bb.215:
	s_mov_b32 s1, exec_lo
	v_cmpx_ge_u32_e64 v31, v12
	s_wait_alu 0xfffe
	s_xor_b32 s1, exec_lo, s1
	s_cbranch_execz .LBB541_217
; %bb.216:
	v_lshlrev_b32_e32 v13, 2, v0
	ds_load_b32 v15, v13 offset:8192
	v_add_co_u32 v13, vcc_lo, v3, v0
	s_wait_alu 0xfffd
	v_add_co_ci_u32_e64 v14, null, 0, v11, vcc_lo
	s_delay_alu instid0(VALU_DEP_1) | instskip(NEXT) | instid1(VALU_DEP_1)
	v_lshlrev_b64_e32 v[13:14], 2, v[13:14]
	v_sub_co_u32 v13, vcc_lo, s26, v13
	s_wait_alu 0xfffd
	s_delay_alu instid0(VALU_DEP_2)
	v_sub_co_ci_u32_e64 v14, null, s27, v14, vcc_lo
	s_wait_dscnt 0x0
	global_store_b32 v[13:14], v15, off offset:-8196
.LBB541_217:
	s_wait_alu 0xfffe
	s_and_not1_saveexec_b32 s1, s1
	s_cbranch_execz .LBB541_219
; %bb.218:
	v_lshlrev_b32_e32 v13, 2, v0
	v_readfirstlane_b32 s2, v7
	v_readfirstlane_b32 s3, v8
	ds_load_b32 v14, v13 offset:8192
	s_wait_dscnt 0x0
	global_store_b32 v13, v14, s[2:3] offset:8192
.LBB541_219:
	s_wait_alu 0xfffe
	s_or_b32 exec_lo, exec_lo, s1
.LBB541_220:
	s_wait_alu 0xfffe
	s_and_not1_saveexec_b32 s0, s0
	s_cbranch_execz .LBB541_222
; %bb.221:
	v_lshlrev_b32_e32 v13, 2, v0
	v_readfirstlane_b32 s2, v9
	v_readfirstlane_b32 s3, v10
	ds_load_b32 v14, v13 offset:8192
	s_wait_dscnt 0x0
	global_store_b32 v13, v14, s[2:3] offset:8192
.LBB541_222:
	s_wait_alu 0xfffe
	s_or_b32 exec_lo, exec_lo, s0
	s_delay_alu instid0(SALU_CYCLE_1)
	s_mov_b32 s0, exec_lo
	v_cmpx_ge_u32_e64 v30, v1
	s_wait_alu 0xfffe
	s_xor_b32 s0, exec_lo, s0
	s_cbranch_execz .LBB541_228
; %bb.223:
	s_mov_b32 s1, exec_lo
	v_cmpx_ge_u32_e64 v30, v12
	s_wait_alu 0xfffe
	s_xor_b32 s1, exec_lo, s1
	s_cbranch_execz .LBB541_225
; %bb.224:
	v_lshlrev_b32_e32 v13, 2, v0
	ds_load_b32 v15, v13 offset:9216
	v_add_co_u32 v13, vcc_lo, v3, v0
	s_wait_alu 0xfffd
	v_add_co_ci_u32_e64 v14, null, 0, v11, vcc_lo
	s_delay_alu instid0(VALU_DEP_1) | instskip(NEXT) | instid1(VALU_DEP_1)
	v_lshlrev_b64_e32 v[13:14], 2, v[13:14]
	v_sub_co_u32 v13, vcc_lo, s26, v13
	s_wait_alu 0xfffd
	s_delay_alu instid0(VALU_DEP_2)
	v_sub_co_ci_u32_e64 v14, null, s27, v14, vcc_lo
	s_wait_dscnt 0x0
	global_store_b32 v[13:14], v15, off offset:-9220
.LBB541_225:
	s_wait_alu 0xfffe
	s_and_not1_saveexec_b32 s1, s1
	s_cbranch_execz .LBB541_227
; %bb.226:
	v_lshlrev_b32_e32 v13, 2, v0
	v_readfirstlane_b32 s2, v7
	v_readfirstlane_b32 s3, v8
	ds_load_b32 v14, v13 offset:9216
	s_wait_dscnt 0x0
	global_store_b32 v13, v14, s[2:3] offset:9216
.LBB541_227:
	s_wait_alu 0xfffe
	s_or_b32 exec_lo, exec_lo, s1
.LBB541_228:
	s_wait_alu 0xfffe
	s_and_not1_saveexec_b32 s0, s0
	s_cbranch_execz .LBB541_230
; %bb.229:
	v_lshlrev_b32_e32 v13, 2, v0
	v_readfirstlane_b32 s2, v9
	v_readfirstlane_b32 s3, v10
	ds_load_b32 v14, v13 offset:9216
	s_wait_dscnt 0x0
	global_store_b32 v13, v14, s[2:3] offset:9216
.LBB541_230:
	s_wait_alu 0xfffe
	s_or_b32 exec_lo, exec_lo, s0
	s_delay_alu instid0(SALU_CYCLE_1)
	s_mov_b32 s0, exec_lo
	v_cmpx_ge_u32_e64 v29, v1
	s_wait_alu 0xfffe
	s_xor_b32 s0, exec_lo, s0
	s_cbranch_execz .LBB541_236
; %bb.231:
	s_mov_b32 s1, exec_lo
	v_cmpx_ge_u32_e64 v29, v12
	s_wait_alu 0xfffe
	s_xor_b32 s1, exec_lo, s1
	s_cbranch_execz .LBB541_233
; %bb.232:
	v_lshlrev_b32_e32 v13, 2, v0
	ds_load_b32 v15, v13 offset:10240
	v_add_co_u32 v13, vcc_lo, v3, v0
	s_wait_alu 0xfffd
	v_add_co_ci_u32_e64 v14, null, 0, v11, vcc_lo
	s_delay_alu instid0(VALU_DEP_1) | instskip(NEXT) | instid1(VALU_DEP_1)
	v_lshlrev_b64_e32 v[13:14], 2, v[13:14]
	v_sub_co_u32 v13, vcc_lo, s26, v13
	s_wait_alu 0xfffd
	s_delay_alu instid0(VALU_DEP_2)
	v_sub_co_ci_u32_e64 v14, null, s27, v14, vcc_lo
	s_wait_dscnt 0x0
	global_store_b32 v[13:14], v15, off offset:-10244
.LBB541_233:
	s_wait_alu 0xfffe
	s_and_not1_saveexec_b32 s1, s1
	s_cbranch_execz .LBB541_235
; %bb.234:
	v_lshlrev_b32_e32 v13, 2, v0
	v_readfirstlane_b32 s2, v7
	v_readfirstlane_b32 s3, v8
	ds_load_b32 v14, v13 offset:10240
	s_wait_dscnt 0x0
	global_store_b32 v13, v14, s[2:3] offset:10240
.LBB541_235:
	s_wait_alu 0xfffe
	s_or_b32 exec_lo, exec_lo, s1
.LBB541_236:
	s_wait_alu 0xfffe
	s_and_not1_saveexec_b32 s0, s0
	s_cbranch_execz .LBB541_238
; %bb.237:
	v_lshlrev_b32_e32 v13, 2, v0
	v_readfirstlane_b32 s2, v9
	v_readfirstlane_b32 s3, v10
	ds_load_b32 v14, v13 offset:10240
	s_wait_dscnt 0x0
	global_store_b32 v13, v14, s[2:3] offset:10240
.LBB541_238:
	s_wait_alu 0xfffe
	s_or_b32 exec_lo, exec_lo, s0
	s_delay_alu instid0(SALU_CYCLE_1)
	s_mov_b32 s0, exec_lo
	v_cmpx_ge_u32_e64 v28, v1
	s_wait_alu 0xfffe
	s_xor_b32 s0, exec_lo, s0
	s_cbranch_execz .LBB541_244
; %bb.239:
	s_mov_b32 s1, exec_lo
	v_cmpx_ge_u32_e64 v28, v12
	s_wait_alu 0xfffe
	s_xor_b32 s1, exec_lo, s1
	s_cbranch_execz .LBB541_241
; %bb.240:
	v_lshlrev_b32_e32 v13, 2, v0
	ds_load_b32 v15, v13 offset:11264
	v_add_co_u32 v13, vcc_lo, v3, v0
	s_wait_alu 0xfffd
	v_add_co_ci_u32_e64 v14, null, 0, v11, vcc_lo
	s_delay_alu instid0(VALU_DEP_1) | instskip(NEXT) | instid1(VALU_DEP_1)
	v_lshlrev_b64_e32 v[13:14], 2, v[13:14]
	v_sub_co_u32 v13, vcc_lo, s26, v13
	s_wait_alu 0xfffd
	s_delay_alu instid0(VALU_DEP_2)
	v_sub_co_ci_u32_e64 v14, null, s27, v14, vcc_lo
	s_wait_dscnt 0x0
	global_store_b32 v[13:14], v15, off offset:-11268
.LBB541_241:
	s_wait_alu 0xfffe
	s_and_not1_saveexec_b32 s1, s1
	s_cbranch_execz .LBB541_243
; %bb.242:
	v_lshlrev_b32_e32 v13, 2, v0
	v_readfirstlane_b32 s2, v7
	v_readfirstlane_b32 s3, v8
	ds_load_b32 v14, v13 offset:11264
	s_wait_dscnt 0x0
	global_store_b32 v13, v14, s[2:3] offset:11264
.LBB541_243:
	s_wait_alu 0xfffe
	s_or_b32 exec_lo, exec_lo, s1
.LBB541_244:
	s_wait_alu 0xfffe
	s_and_not1_saveexec_b32 s0, s0
	s_cbranch_execz .LBB541_246
; %bb.245:
	v_lshlrev_b32_e32 v13, 2, v0
	v_readfirstlane_b32 s2, v9
	v_readfirstlane_b32 s3, v10
	ds_load_b32 v14, v13 offset:11264
	s_wait_dscnt 0x0
	global_store_b32 v13, v14, s[2:3] offset:11264
.LBB541_246:
	s_wait_alu 0xfffe
	s_or_b32 exec_lo, exec_lo, s0
	s_delay_alu instid0(SALU_CYCLE_1)
	s_mov_b32 s0, exec_lo
	v_cmpx_ge_u32_e64 v27, v1
	s_wait_alu 0xfffe
	s_xor_b32 s0, exec_lo, s0
	s_cbranch_execz .LBB541_252
; %bb.247:
	s_mov_b32 s1, exec_lo
	v_cmpx_ge_u32_e64 v27, v12
	s_wait_alu 0xfffe
	s_xor_b32 s1, exec_lo, s1
	s_cbranch_execz .LBB541_249
; %bb.248:
	v_lshlrev_b32_e32 v13, 2, v0
	ds_load_b32 v15, v13 offset:12288
	v_add_co_u32 v13, vcc_lo, v3, v0
	s_wait_alu 0xfffd
	v_add_co_ci_u32_e64 v14, null, 0, v11, vcc_lo
	s_delay_alu instid0(VALU_DEP_1) | instskip(NEXT) | instid1(VALU_DEP_1)
	v_lshlrev_b64_e32 v[13:14], 2, v[13:14]
	v_sub_co_u32 v13, vcc_lo, s26, v13
	s_wait_alu 0xfffd
	s_delay_alu instid0(VALU_DEP_2)
	v_sub_co_ci_u32_e64 v14, null, s27, v14, vcc_lo
	s_wait_dscnt 0x0
	global_store_b32 v[13:14], v15, off offset:-12292
.LBB541_249:
	s_wait_alu 0xfffe
	s_and_not1_saveexec_b32 s1, s1
	s_cbranch_execz .LBB541_251
; %bb.250:
	v_lshlrev_b32_e32 v13, 2, v0
	v_readfirstlane_b32 s2, v7
	v_readfirstlane_b32 s3, v8
	ds_load_b32 v14, v13 offset:12288
	s_wait_dscnt 0x0
	global_store_b32 v13, v14, s[2:3] offset:12288
.LBB541_251:
	s_wait_alu 0xfffe
	s_or_b32 exec_lo, exec_lo, s1
.LBB541_252:
	s_wait_alu 0xfffe
	s_and_not1_saveexec_b32 s0, s0
	s_cbranch_execz .LBB541_254
; %bb.253:
	v_lshlrev_b32_e32 v13, 2, v0
	v_readfirstlane_b32 s2, v9
	v_readfirstlane_b32 s3, v10
	ds_load_b32 v14, v13 offset:12288
	s_wait_dscnt 0x0
	global_store_b32 v13, v14, s[2:3] offset:12288
.LBB541_254:
	s_wait_alu 0xfffe
	s_or_b32 exec_lo, exec_lo, s0
	s_branch .LBB541_148
.LBB541_255:
	s_mov_b32 s0, exec_lo
	v_cmpx_gt_u32_e64 s33, v0
	s_cbranch_execz .LBB541_264
; %bb.256:
	s_mov_b32 s1, exec_lo
	v_cmpx_ge_u32_e64 v0, v1
	s_wait_alu 0xfffe
	s_xor_b32 s1, exec_lo, s1
	s_cbranch_execz .LBB541_262
; %bb.257:
	s_mov_b32 s2, exec_lo
	v_cmpx_ge_u32_e64 v0, v12
	s_wait_alu 0xfffe
	s_xor_b32 s2, exec_lo, s2
	s_cbranch_execz .LBB541_259
; %bb.258:
	v_lshlrev_b32_e32 v13, 2, v0
	ds_load_b32 v15, v13
	v_add_co_u32 v13, vcc_lo, v3, v0
	s_wait_alu 0xfffd
	v_add_co_ci_u32_e64 v14, null, 0, v11, vcc_lo
	s_delay_alu instid0(VALU_DEP_1) | instskip(NEXT) | instid1(VALU_DEP_1)
	v_lshlrev_b64_e32 v[13:14], 2, v[13:14]
	v_sub_co_u32 v13, vcc_lo, s26, v13
	s_wait_alu 0xfffd
	s_delay_alu instid0(VALU_DEP_2)
	v_sub_co_ci_u32_e64 v14, null, s27, v14, vcc_lo
	s_wait_dscnt 0x0
	global_store_b32 v[13:14], v15, off offset:-4
.LBB541_259:
	s_wait_alu 0xfffe
	s_and_not1_saveexec_b32 s2, s2
	s_cbranch_execz .LBB541_261
; %bb.260:
	v_lshlrev_b32_e32 v13, 2, v0
	v_readfirstlane_b32 s4, v7
	v_readfirstlane_b32 s5, v8
	ds_load_b32 v14, v13
	s_wait_dscnt 0x0
	global_store_b32 v13, v14, s[4:5]
.LBB541_261:
	s_wait_alu 0xfffe
	s_or_b32 exec_lo, exec_lo, s2
.LBB541_262:
	s_wait_alu 0xfffe
	s_and_not1_saveexec_b32 s1, s1
	s_cbranch_execz .LBB541_264
; %bb.263:
	v_lshlrev_b32_e32 v13, 2, v0
	v_readfirstlane_b32 s2, v9
	v_readfirstlane_b32 s3, v10
	ds_load_b32 v14, v13
	s_wait_dscnt 0x0
	global_store_b32 v13, v14, s[2:3]
.LBB541_264:
	s_wait_alu 0xfffe
	s_or_b32 exec_lo, exec_lo, s0
	s_delay_alu instid0(SALU_CYCLE_1)
	s_mov_b32 s0, exec_lo
	v_cmpx_gt_u32_e64 s33, v38
	s_cbranch_execz .LBB541_273
; %bb.265:
	s_mov_b32 s1, exec_lo
	v_cmpx_ge_u32_e64 v38, v1
	s_wait_alu 0xfffe
	s_xor_b32 s1, exec_lo, s1
	s_cbranch_execz .LBB541_271
; %bb.266:
	s_mov_b32 s2, exec_lo
	v_cmpx_ge_u32_e64 v38, v12
	s_wait_alu 0xfffe
	s_xor_b32 s2, exec_lo, s2
	s_cbranch_execz .LBB541_268
; %bb.267:
	v_lshlrev_b32_e32 v13, 2, v0
	ds_load_b32 v15, v13 offset:1024
	v_add_co_u32 v13, vcc_lo, v3, v0
	s_wait_alu 0xfffd
	v_add_co_ci_u32_e64 v14, null, 0, v11, vcc_lo
	s_delay_alu instid0(VALU_DEP_1) | instskip(NEXT) | instid1(VALU_DEP_1)
	v_lshlrev_b64_e32 v[13:14], 2, v[13:14]
	v_sub_co_u32 v13, vcc_lo, s26, v13
	s_wait_alu 0xfffd
	s_delay_alu instid0(VALU_DEP_2)
	v_sub_co_ci_u32_e64 v14, null, s27, v14, vcc_lo
	s_wait_dscnt 0x0
	global_store_b32 v[13:14], v15, off offset:-1028
.LBB541_268:
	s_wait_alu 0xfffe
	s_and_not1_saveexec_b32 s2, s2
	s_cbranch_execz .LBB541_270
; %bb.269:
	v_lshlrev_b32_e32 v13, 2, v0
	v_readfirstlane_b32 s4, v7
	v_readfirstlane_b32 s5, v8
	ds_load_b32 v14, v13 offset:1024
	s_wait_dscnt 0x0
	global_store_b32 v13, v14, s[4:5] offset:1024
.LBB541_270:
	s_wait_alu 0xfffe
	s_or_b32 exec_lo, exec_lo, s2
.LBB541_271:
	s_wait_alu 0xfffe
	s_and_not1_saveexec_b32 s1, s1
	s_cbranch_execz .LBB541_273
; %bb.272:
	v_lshlrev_b32_e32 v13, 2, v0
	v_readfirstlane_b32 s2, v9
	v_readfirstlane_b32 s3, v10
	ds_load_b32 v14, v13 offset:1024
	s_wait_dscnt 0x0
	global_store_b32 v13, v14, s[2:3] offset:1024
.LBB541_273:
	s_wait_alu 0xfffe
	s_or_b32 exec_lo, exec_lo, s0
	s_delay_alu instid0(SALU_CYCLE_1)
	s_mov_b32 s0, exec_lo
	v_cmpx_gt_u32_e64 s33, v37
	s_cbranch_execz .LBB541_282
; %bb.274:
	s_mov_b32 s1, exec_lo
	v_cmpx_ge_u32_e64 v37, v1
	s_wait_alu 0xfffe
	s_xor_b32 s1, exec_lo, s1
	s_cbranch_execz .LBB541_280
; %bb.275:
	s_mov_b32 s2, exec_lo
	v_cmpx_ge_u32_e64 v37, v12
	s_wait_alu 0xfffe
	s_xor_b32 s2, exec_lo, s2
	s_cbranch_execz .LBB541_277
; %bb.276:
	v_lshlrev_b32_e32 v13, 2, v0
	ds_load_b32 v15, v13 offset:2048
	v_add_co_u32 v13, vcc_lo, v3, v0
	s_wait_alu 0xfffd
	v_add_co_ci_u32_e64 v14, null, 0, v11, vcc_lo
	s_delay_alu instid0(VALU_DEP_1) | instskip(NEXT) | instid1(VALU_DEP_1)
	v_lshlrev_b64_e32 v[13:14], 2, v[13:14]
	v_sub_co_u32 v13, vcc_lo, s26, v13
	s_wait_alu 0xfffd
	s_delay_alu instid0(VALU_DEP_2)
	v_sub_co_ci_u32_e64 v14, null, s27, v14, vcc_lo
	s_wait_dscnt 0x0
	global_store_b32 v[13:14], v15, off offset:-2052
.LBB541_277:
	s_wait_alu 0xfffe
	s_and_not1_saveexec_b32 s2, s2
	s_cbranch_execz .LBB541_279
; %bb.278:
	v_lshlrev_b32_e32 v13, 2, v0
	v_readfirstlane_b32 s4, v7
	v_readfirstlane_b32 s5, v8
	ds_load_b32 v14, v13 offset:2048
	s_wait_dscnt 0x0
	global_store_b32 v13, v14, s[4:5] offset:2048
.LBB541_279:
	s_wait_alu 0xfffe
	s_or_b32 exec_lo, exec_lo, s2
.LBB541_280:
	s_wait_alu 0xfffe
	s_and_not1_saveexec_b32 s1, s1
	s_cbranch_execz .LBB541_282
; %bb.281:
	v_lshlrev_b32_e32 v13, 2, v0
	v_readfirstlane_b32 s2, v9
	v_readfirstlane_b32 s3, v10
	ds_load_b32 v14, v13 offset:2048
	s_wait_dscnt 0x0
	global_store_b32 v13, v14, s[2:3] offset:2048
.LBB541_282:
	;; [unrolled: 58-line block ×11, first 2 shown]
	s_wait_alu 0xfffe
	s_or_b32 exec_lo, exec_lo, s0
	s_delay_alu instid0(SALU_CYCLE_1)
	s_mov_b32 s0, exec_lo
	v_cmpx_gt_u32_e64 s33, v27
	s_cbranch_execz .LBB541_372
; %bb.364:
	s_mov_b32 s1, exec_lo
	v_cmpx_ge_u32_e64 v27, v1
	s_wait_alu 0xfffe
	s_xor_b32 s1, exec_lo, s1
	s_cbranch_execz .LBB541_370
; %bb.365:
	s_mov_b32 s2, exec_lo
	v_cmpx_ge_u32_e64 v27, v12
	s_wait_alu 0xfffe
	s_xor_b32 s2, exec_lo, s2
	s_cbranch_execz .LBB541_367
; %bb.366:
	v_lshlrev_b32_e32 v7, 2, v0
	ds_load_b32 v9, v7 offset:12288
	v_add_co_u32 v7, vcc_lo, v3, v0
	s_wait_alu 0xfffd
	v_add_co_ci_u32_e64 v8, null, 0, v11, vcc_lo
	s_delay_alu instid0(VALU_DEP_1) | instskip(NEXT) | instid1(VALU_DEP_1)
	v_lshlrev_b64_e32 v[7:8], 2, v[7:8]
	v_sub_co_u32 v7, vcc_lo, s26, v7
	s_wait_alu 0xfffd
	s_delay_alu instid0(VALU_DEP_2)
	v_sub_co_ci_u32_e64 v8, null, s27, v8, vcc_lo
	s_wait_dscnt 0x0
	global_store_b32 v[7:8], v9, off offset:-12292
                                        ; implicit-def: $vgpr7_vgpr8
.LBB541_367:
	s_wait_alu 0xfffe
	s_and_not1_saveexec_b32 s2, s2
	s_cbranch_execz .LBB541_369
; %bb.368:
	v_lshlrev_b32_e32 v3, 2, v0
	v_readfirstlane_b32 s4, v7
	v_readfirstlane_b32 s5, v8
	ds_load_b32 v9, v3 offset:12288
	s_wait_dscnt 0x0
	global_store_b32 v3, v9, s[4:5] offset:12288
.LBB541_369:
	s_wait_alu 0xfffe
	s_or_b32 exec_lo, exec_lo, s2
                                        ; implicit-def: $vgpr9_vgpr10
.LBB541_370:
	s_wait_alu 0xfffe
	s_and_not1_saveexec_b32 s1, s1
	s_cbranch_execz .LBB541_372
; %bb.371:
	v_lshlrev_b32_e32 v3, 2, v0
	v_readfirstlane_b32 s2, v9
	v_readfirstlane_b32 s3, v10
	ds_load_b32 v7, v3 offset:12288
	s_wait_dscnt 0x0
	global_store_b32 v3, v7, s[2:3] offset:12288
.LBB541_372:
	s_wait_alu 0xfffe
	s_or_b32 exec_lo, exec_lo, s0
	v_cmp_eq_u32_e32 vcc_lo, 0, v0
	s_and_b32 s0, vcc_lo, s15
	s_wait_alu 0xfffe
	s_and_saveexec_b32 s1, s0
	s_cbranch_execz .LBB541_149
.LBB541_373:
	v_add_co_u32 v0, s0, s30, v2
	s_wait_alu 0xf1ff
	v_add_co_ci_u32_e64 v3, null, s31, 0, s0
	v_mov_b32_e32 v7, 0
	s_delay_alu instid0(VALU_DEP_3) | instskip(SKIP_1) | instid1(VALU_DEP_3)
	v_add_co_u32 v2, vcc_lo, v0, v4
	s_wait_alu 0xfffd
	v_add_co_ci_u32_e64 v3, null, 0, v3, vcc_lo
	v_add_co_u32 v0, vcc_lo, v5, v1
	s_wait_alu 0xfffd
	v_add_co_ci_u32_e64 v1, null, 0, v6, vcc_lo
	global_store_b128 v7, v[0:3], s[24:25]
	s_endpgm
.LBB541_374:
	s_add_co_i32 s8, ttmp9, 32
	s_mov_b32 s9, 0
	v_dual_mov_b32 v7, 2 :: v_dual_add_nc_u32 v6, v4, v2
	s_wait_alu 0xfffe
	s_lshl_b64 s[8:9], s[8:9], 4
	v_dual_mov_b32 v8, 0 :: v_dual_add_nc_u32 v5, v3, v1
	s_wait_alu 0xfffe
	s_add_nc_u64 s[8:9], s[4:5], s[8:9]
	s_wait_alu 0xfffe
	v_dual_mov_b32 v24, s9 :: v_dual_mov_b32 v23, s8
	;;#ASMSTART
	global_store_b128 v[23:24], v[5:8] off scope:SCOPE_DEV	
s_wait_storecnt 0x0
	;;#ASMEND
	s_or_b32 exec_lo, exec_lo, s6
	s_and_saveexec_b32 s6, s2
	s_cbranch_execz .LBB541_134
.LBB541_375:
	v_mov_b32_e32 v5, 0
	ds_store_b128 v5, v[1:4] offset:13312
	s_wait_alu 0xfffe
	s_or_b32 exec_lo, exec_lo, s6
	v_cmp_eq_u32_e32 vcc_lo, 0, v0
	s_and_b32 exec_lo, exec_lo, vcc_lo
	s_cbranch_execnz .LBB541_135
	s_branch .LBB541_136
	.section	.rodata,"a",@progbits
	.p2align	6, 0x0
	.amdhsa_kernel _ZN7rocprim17ROCPRIM_400000_NS6detail17trampoline_kernelINS0_13select_configILj256ELj13ELNS0_17block_load_methodE3ELS4_3ELS4_3ELNS0_20block_scan_algorithmE0ELj4294967295EEENS1_25partition_config_selectorILNS1_17partition_subalgoE4EjNS0_10empty_typeEbEEZZNS1_14partition_implILS8_4ELb0ES6_15HIP_vector_typeIjLj2EENS0_17counting_iteratorIjlEEPS9_SG_NS0_5tupleIJPjSI_NS0_16reverse_iteratorISI_EEEEENSH_IJSG_SG_SG_EEES9_SI_JZNS1_25segmented_radix_sort_implINS0_14default_configELb0EPKiPiPKlPlN2at6native12_GLOBAL__N_18offset_tEEE10hipError_tPvRmT1_PNSt15iterator_traitsIS12_E10value_typeET2_T3_PNS13_IS18_E10value_typeET4_jRbjT5_S1E_jjP12ihipStream_tbEUljE_ZNSN_ISO_Lb0ESQ_SR_ST_SU_SY_EESZ_S10_S11_S12_S16_S17_S18_S1B_S1C_jS1D_jS1E_S1E_jjS1G_bEUljE0_EEESZ_S10_S11_S18_S1C_S1E_T6_T7_T9_mT8_S1G_bDpT10_ENKUlT_T0_E_clISt17integral_constantIbLb0EES1U_EEDaS1P_S1Q_EUlS1P_E_NS1_11comp_targetILNS1_3genE10ELNS1_11target_archE1200ELNS1_3gpuE4ELNS1_3repE0EEENS1_30default_config_static_selectorELNS0_4arch9wavefront6targetE0EEEvS12_
		.amdhsa_group_segment_fixed_size 13328
		.amdhsa_private_segment_fixed_size 0
		.amdhsa_kernarg_size 176
		.amdhsa_user_sgpr_count 2
		.amdhsa_user_sgpr_dispatch_ptr 0
		.amdhsa_user_sgpr_queue_ptr 0
		.amdhsa_user_sgpr_kernarg_segment_ptr 1
		.amdhsa_user_sgpr_dispatch_id 0
		.amdhsa_user_sgpr_private_segment_size 0
		.amdhsa_wavefront_size32 1
		.amdhsa_uses_dynamic_stack 0
		.amdhsa_enable_private_segment 0
		.amdhsa_system_sgpr_workgroup_id_x 1
		.amdhsa_system_sgpr_workgroup_id_y 0
		.amdhsa_system_sgpr_workgroup_id_z 0
		.amdhsa_system_sgpr_workgroup_info 0
		.amdhsa_system_vgpr_workitem_id 0
		.amdhsa_next_free_vgpr 93
		.amdhsa_next_free_sgpr 58
		.amdhsa_reserve_vcc 1
		.amdhsa_float_round_mode_32 0
		.amdhsa_float_round_mode_16_64 0
		.amdhsa_float_denorm_mode_32 3
		.amdhsa_float_denorm_mode_16_64 3
		.amdhsa_fp16_overflow 0
		.amdhsa_workgroup_processor_mode 1
		.amdhsa_memory_ordered 1
		.amdhsa_forward_progress 1
		.amdhsa_inst_pref_size 148
		.amdhsa_round_robin_scheduling 0
		.amdhsa_exception_fp_ieee_invalid_op 0
		.amdhsa_exception_fp_denorm_src 0
		.amdhsa_exception_fp_ieee_div_zero 0
		.amdhsa_exception_fp_ieee_overflow 0
		.amdhsa_exception_fp_ieee_underflow 0
		.amdhsa_exception_fp_ieee_inexact 0
		.amdhsa_exception_int_div_zero 0
	.end_amdhsa_kernel
	.section	.text._ZN7rocprim17ROCPRIM_400000_NS6detail17trampoline_kernelINS0_13select_configILj256ELj13ELNS0_17block_load_methodE3ELS4_3ELS4_3ELNS0_20block_scan_algorithmE0ELj4294967295EEENS1_25partition_config_selectorILNS1_17partition_subalgoE4EjNS0_10empty_typeEbEEZZNS1_14partition_implILS8_4ELb0ES6_15HIP_vector_typeIjLj2EENS0_17counting_iteratorIjlEEPS9_SG_NS0_5tupleIJPjSI_NS0_16reverse_iteratorISI_EEEEENSH_IJSG_SG_SG_EEES9_SI_JZNS1_25segmented_radix_sort_implINS0_14default_configELb0EPKiPiPKlPlN2at6native12_GLOBAL__N_18offset_tEEE10hipError_tPvRmT1_PNSt15iterator_traitsIS12_E10value_typeET2_T3_PNS13_IS18_E10value_typeET4_jRbjT5_S1E_jjP12ihipStream_tbEUljE_ZNSN_ISO_Lb0ESQ_SR_ST_SU_SY_EESZ_S10_S11_S12_S16_S17_S18_S1B_S1C_jS1D_jS1E_S1E_jjS1G_bEUljE0_EEESZ_S10_S11_S18_S1C_S1E_T6_T7_T9_mT8_S1G_bDpT10_ENKUlT_T0_E_clISt17integral_constantIbLb0EES1U_EEDaS1P_S1Q_EUlS1P_E_NS1_11comp_targetILNS1_3genE10ELNS1_11target_archE1200ELNS1_3gpuE4ELNS1_3repE0EEENS1_30default_config_static_selectorELNS0_4arch9wavefront6targetE0EEEvS12_,"axG",@progbits,_ZN7rocprim17ROCPRIM_400000_NS6detail17trampoline_kernelINS0_13select_configILj256ELj13ELNS0_17block_load_methodE3ELS4_3ELS4_3ELNS0_20block_scan_algorithmE0ELj4294967295EEENS1_25partition_config_selectorILNS1_17partition_subalgoE4EjNS0_10empty_typeEbEEZZNS1_14partition_implILS8_4ELb0ES6_15HIP_vector_typeIjLj2EENS0_17counting_iteratorIjlEEPS9_SG_NS0_5tupleIJPjSI_NS0_16reverse_iteratorISI_EEEEENSH_IJSG_SG_SG_EEES9_SI_JZNS1_25segmented_radix_sort_implINS0_14default_configELb0EPKiPiPKlPlN2at6native12_GLOBAL__N_18offset_tEEE10hipError_tPvRmT1_PNSt15iterator_traitsIS12_E10value_typeET2_T3_PNS13_IS18_E10value_typeET4_jRbjT5_S1E_jjP12ihipStream_tbEUljE_ZNSN_ISO_Lb0ESQ_SR_ST_SU_SY_EESZ_S10_S11_S12_S16_S17_S18_S1B_S1C_jS1D_jS1E_S1E_jjS1G_bEUljE0_EEESZ_S10_S11_S18_S1C_S1E_T6_T7_T9_mT8_S1G_bDpT10_ENKUlT_T0_E_clISt17integral_constantIbLb0EES1U_EEDaS1P_S1Q_EUlS1P_E_NS1_11comp_targetILNS1_3genE10ELNS1_11target_archE1200ELNS1_3gpuE4ELNS1_3repE0EEENS1_30default_config_static_selectorELNS0_4arch9wavefront6targetE0EEEvS12_,comdat
.Lfunc_end541:
	.size	_ZN7rocprim17ROCPRIM_400000_NS6detail17trampoline_kernelINS0_13select_configILj256ELj13ELNS0_17block_load_methodE3ELS4_3ELS4_3ELNS0_20block_scan_algorithmE0ELj4294967295EEENS1_25partition_config_selectorILNS1_17partition_subalgoE4EjNS0_10empty_typeEbEEZZNS1_14partition_implILS8_4ELb0ES6_15HIP_vector_typeIjLj2EENS0_17counting_iteratorIjlEEPS9_SG_NS0_5tupleIJPjSI_NS0_16reverse_iteratorISI_EEEEENSH_IJSG_SG_SG_EEES9_SI_JZNS1_25segmented_radix_sort_implINS0_14default_configELb0EPKiPiPKlPlN2at6native12_GLOBAL__N_18offset_tEEE10hipError_tPvRmT1_PNSt15iterator_traitsIS12_E10value_typeET2_T3_PNS13_IS18_E10value_typeET4_jRbjT5_S1E_jjP12ihipStream_tbEUljE_ZNSN_ISO_Lb0ESQ_SR_ST_SU_SY_EESZ_S10_S11_S12_S16_S17_S18_S1B_S1C_jS1D_jS1E_S1E_jjS1G_bEUljE0_EEESZ_S10_S11_S18_S1C_S1E_T6_T7_T9_mT8_S1G_bDpT10_ENKUlT_T0_E_clISt17integral_constantIbLb0EES1U_EEDaS1P_S1Q_EUlS1P_E_NS1_11comp_targetILNS1_3genE10ELNS1_11target_archE1200ELNS1_3gpuE4ELNS1_3repE0EEENS1_30default_config_static_selectorELNS0_4arch9wavefront6targetE0EEEvS12_, .Lfunc_end541-_ZN7rocprim17ROCPRIM_400000_NS6detail17trampoline_kernelINS0_13select_configILj256ELj13ELNS0_17block_load_methodE3ELS4_3ELS4_3ELNS0_20block_scan_algorithmE0ELj4294967295EEENS1_25partition_config_selectorILNS1_17partition_subalgoE4EjNS0_10empty_typeEbEEZZNS1_14partition_implILS8_4ELb0ES6_15HIP_vector_typeIjLj2EENS0_17counting_iteratorIjlEEPS9_SG_NS0_5tupleIJPjSI_NS0_16reverse_iteratorISI_EEEEENSH_IJSG_SG_SG_EEES9_SI_JZNS1_25segmented_radix_sort_implINS0_14default_configELb0EPKiPiPKlPlN2at6native12_GLOBAL__N_18offset_tEEE10hipError_tPvRmT1_PNSt15iterator_traitsIS12_E10value_typeET2_T3_PNS13_IS18_E10value_typeET4_jRbjT5_S1E_jjP12ihipStream_tbEUljE_ZNSN_ISO_Lb0ESQ_SR_ST_SU_SY_EESZ_S10_S11_S12_S16_S17_S18_S1B_S1C_jS1D_jS1E_S1E_jjS1G_bEUljE0_EEESZ_S10_S11_S18_S1C_S1E_T6_T7_T9_mT8_S1G_bDpT10_ENKUlT_T0_E_clISt17integral_constantIbLb0EES1U_EEDaS1P_S1Q_EUlS1P_E_NS1_11comp_targetILNS1_3genE10ELNS1_11target_archE1200ELNS1_3gpuE4ELNS1_3repE0EEENS1_30default_config_static_selectorELNS0_4arch9wavefront6targetE0EEEvS12_
                                        ; -- End function
	.set _ZN7rocprim17ROCPRIM_400000_NS6detail17trampoline_kernelINS0_13select_configILj256ELj13ELNS0_17block_load_methodE3ELS4_3ELS4_3ELNS0_20block_scan_algorithmE0ELj4294967295EEENS1_25partition_config_selectorILNS1_17partition_subalgoE4EjNS0_10empty_typeEbEEZZNS1_14partition_implILS8_4ELb0ES6_15HIP_vector_typeIjLj2EENS0_17counting_iteratorIjlEEPS9_SG_NS0_5tupleIJPjSI_NS0_16reverse_iteratorISI_EEEEENSH_IJSG_SG_SG_EEES9_SI_JZNS1_25segmented_radix_sort_implINS0_14default_configELb0EPKiPiPKlPlN2at6native12_GLOBAL__N_18offset_tEEE10hipError_tPvRmT1_PNSt15iterator_traitsIS12_E10value_typeET2_T3_PNS13_IS18_E10value_typeET4_jRbjT5_S1E_jjP12ihipStream_tbEUljE_ZNSN_ISO_Lb0ESQ_SR_ST_SU_SY_EESZ_S10_S11_S12_S16_S17_S18_S1B_S1C_jS1D_jS1E_S1E_jjS1G_bEUljE0_EEESZ_S10_S11_S18_S1C_S1E_T6_T7_T9_mT8_S1G_bDpT10_ENKUlT_T0_E_clISt17integral_constantIbLb0EES1U_EEDaS1P_S1Q_EUlS1P_E_NS1_11comp_targetILNS1_3genE10ELNS1_11target_archE1200ELNS1_3gpuE4ELNS1_3repE0EEENS1_30default_config_static_selectorELNS0_4arch9wavefront6targetE0EEEvS12_.num_vgpr, 93
	.set _ZN7rocprim17ROCPRIM_400000_NS6detail17trampoline_kernelINS0_13select_configILj256ELj13ELNS0_17block_load_methodE3ELS4_3ELS4_3ELNS0_20block_scan_algorithmE0ELj4294967295EEENS1_25partition_config_selectorILNS1_17partition_subalgoE4EjNS0_10empty_typeEbEEZZNS1_14partition_implILS8_4ELb0ES6_15HIP_vector_typeIjLj2EENS0_17counting_iteratorIjlEEPS9_SG_NS0_5tupleIJPjSI_NS0_16reverse_iteratorISI_EEEEENSH_IJSG_SG_SG_EEES9_SI_JZNS1_25segmented_radix_sort_implINS0_14default_configELb0EPKiPiPKlPlN2at6native12_GLOBAL__N_18offset_tEEE10hipError_tPvRmT1_PNSt15iterator_traitsIS12_E10value_typeET2_T3_PNS13_IS18_E10value_typeET4_jRbjT5_S1E_jjP12ihipStream_tbEUljE_ZNSN_ISO_Lb0ESQ_SR_ST_SU_SY_EESZ_S10_S11_S12_S16_S17_S18_S1B_S1C_jS1D_jS1E_S1E_jjS1G_bEUljE0_EEESZ_S10_S11_S18_S1C_S1E_T6_T7_T9_mT8_S1G_bDpT10_ENKUlT_T0_E_clISt17integral_constantIbLb0EES1U_EEDaS1P_S1Q_EUlS1P_E_NS1_11comp_targetILNS1_3genE10ELNS1_11target_archE1200ELNS1_3gpuE4ELNS1_3repE0EEENS1_30default_config_static_selectorELNS0_4arch9wavefront6targetE0EEEvS12_.num_agpr, 0
	.set _ZN7rocprim17ROCPRIM_400000_NS6detail17trampoline_kernelINS0_13select_configILj256ELj13ELNS0_17block_load_methodE3ELS4_3ELS4_3ELNS0_20block_scan_algorithmE0ELj4294967295EEENS1_25partition_config_selectorILNS1_17partition_subalgoE4EjNS0_10empty_typeEbEEZZNS1_14partition_implILS8_4ELb0ES6_15HIP_vector_typeIjLj2EENS0_17counting_iteratorIjlEEPS9_SG_NS0_5tupleIJPjSI_NS0_16reverse_iteratorISI_EEEEENSH_IJSG_SG_SG_EEES9_SI_JZNS1_25segmented_radix_sort_implINS0_14default_configELb0EPKiPiPKlPlN2at6native12_GLOBAL__N_18offset_tEEE10hipError_tPvRmT1_PNSt15iterator_traitsIS12_E10value_typeET2_T3_PNS13_IS18_E10value_typeET4_jRbjT5_S1E_jjP12ihipStream_tbEUljE_ZNSN_ISO_Lb0ESQ_SR_ST_SU_SY_EESZ_S10_S11_S12_S16_S17_S18_S1B_S1C_jS1D_jS1E_S1E_jjS1G_bEUljE0_EEESZ_S10_S11_S18_S1C_S1E_T6_T7_T9_mT8_S1G_bDpT10_ENKUlT_T0_E_clISt17integral_constantIbLb0EES1U_EEDaS1P_S1Q_EUlS1P_E_NS1_11comp_targetILNS1_3genE10ELNS1_11target_archE1200ELNS1_3gpuE4ELNS1_3repE0EEENS1_30default_config_static_selectorELNS0_4arch9wavefront6targetE0EEEvS12_.numbered_sgpr, 58
	.set _ZN7rocprim17ROCPRIM_400000_NS6detail17trampoline_kernelINS0_13select_configILj256ELj13ELNS0_17block_load_methodE3ELS4_3ELS4_3ELNS0_20block_scan_algorithmE0ELj4294967295EEENS1_25partition_config_selectorILNS1_17partition_subalgoE4EjNS0_10empty_typeEbEEZZNS1_14partition_implILS8_4ELb0ES6_15HIP_vector_typeIjLj2EENS0_17counting_iteratorIjlEEPS9_SG_NS0_5tupleIJPjSI_NS0_16reverse_iteratorISI_EEEEENSH_IJSG_SG_SG_EEES9_SI_JZNS1_25segmented_radix_sort_implINS0_14default_configELb0EPKiPiPKlPlN2at6native12_GLOBAL__N_18offset_tEEE10hipError_tPvRmT1_PNSt15iterator_traitsIS12_E10value_typeET2_T3_PNS13_IS18_E10value_typeET4_jRbjT5_S1E_jjP12ihipStream_tbEUljE_ZNSN_ISO_Lb0ESQ_SR_ST_SU_SY_EESZ_S10_S11_S12_S16_S17_S18_S1B_S1C_jS1D_jS1E_S1E_jjS1G_bEUljE0_EEESZ_S10_S11_S18_S1C_S1E_T6_T7_T9_mT8_S1G_bDpT10_ENKUlT_T0_E_clISt17integral_constantIbLb0EES1U_EEDaS1P_S1Q_EUlS1P_E_NS1_11comp_targetILNS1_3genE10ELNS1_11target_archE1200ELNS1_3gpuE4ELNS1_3repE0EEENS1_30default_config_static_selectorELNS0_4arch9wavefront6targetE0EEEvS12_.num_named_barrier, 0
	.set _ZN7rocprim17ROCPRIM_400000_NS6detail17trampoline_kernelINS0_13select_configILj256ELj13ELNS0_17block_load_methodE3ELS4_3ELS4_3ELNS0_20block_scan_algorithmE0ELj4294967295EEENS1_25partition_config_selectorILNS1_17partition_subalgoE4EjNS0_10empty_typeEbEEZZNS1_14partition_implILS8_4ELb0ES6_15HIP_vector_typeIjLj2EENS0_17counting_iteratorIjlEEPS9_SG_NS0_5tupleIJPjSI_NS0_16reverse_iteratorISI_EEEEENSH_IJSG_SG_SG_EEES9_SI_JZNS1_25segmented_radix_sort_implINS0_14default_configELb0EPKiPiPKlPlN2at6native12_GLOBAL__N_18offset_tEEE10hipError_tPvRmT1_PNSt15iterator_traitsIS12_E10value_typeET2_T3_PNS13_IS18_E10value_typeET4_jRbjT5_S1E_jjP12ihipStream_tbEUljE_ZNSN_ISO_Lb0ESQ_SR_ST_SU_SY_EESZ_S10_S11_S12_S16_S17_S18_S1B_S1C_jS1D_jS1E_S1E_jjS1G_bEUljE0_EEESZ_S10_S11_S18_S1C_S1E_T6_T7_T9_mT8_S1G_bDpT10_ENKUlT_T0_E_clISt17integral_constantIbLb0EES1U_EEDaS1P_S1Q_EUlS1P_E_NS1_11comp_targetILNS1_3genE10ELNS1_11target_archE1200ELNS1_3gpuE4ELNS1_3repE0EEENS1_30default_config_static_selectorELNS0_4arch9wavefront6targetE0EEEvS12_.private_seg_size, 0
	.set _ZN7rocprim17ROCPRIM_400000_NS6detail17trampoline_kernelINS0_13select_configILj256ELj13ELNS0_17block_load_methodE3ELS4_3ELS4_3ELNS0_20block_scan_algorithmE0ELj4294967295EEENS1_25partition_config_selectorILNS1_17partition_subalgoE4EjNS0_10empty_typeEbEEZZNS1_14partition_implILS8_4ELb0ES6_15HIP_vector_typeIjLj2EENS0_17counting_iteratorIjlEEPS9_SG_NS0_5tupleIJPjSI_NS0_16reverse_iteratorISI_EEEEENSH_IJSG_SG_SG_EEES9_SI_JZNS1_25segmented_radix_sort_implINS0_14default_configELb0EPKiPiPKlPlN2at6native12_GLOBAL__N_18offset_tEEE10hipError_tPvRmT1_PNSt15iterator_traitsIS12_E10value_typeET2_T3_PNS13_IS18_E10value_typeET4_jRbjT5_S1E_jjP12ihipStream_tbEUljE_ZNSN_ISO_Lb0ESQ_SR_ST_SU_SY_EESZ_S10_S11_S12_S16_S17_S18_S1B_S1C_jS1D_jS1E_S1E_jjS1G_bEUljE0_EEESZ_S10_S11_S18_S1C_S1E_T6_T7_T9_mT8_S1G_bDpT10_ENKUlT_T0_E_clISt17integral_constantIbLb0EES1U_EEDaS1P_S1Q_EUlS1P_E_NS1_11comp_targetILNS1_3genE10ELNS1_11target_archE1200ELNS1_3gpuE4ELNS1_3repE0EEENS1_30default_config_static_selectorELNS0_4arch9wavefront6targetE0EEEvS12_.uses_vcc, 1
	.set _ZN7rocprim17ROCPRIM_400000_NS6detail17trampoline_kernelINS0_13select_configILj256ELj13ELNS0_17block_load_methodE3ELS4_3ELS4_3ELNS0_20block_scan_algorithmE0ELj4294967295EEENS1_25partition_config_selectorILNS1_17partition_subalgoE4EjNS0_10empty_typeEbEEZZNS1_14partition_implILS8_4ELb0ES6_15HIP_vector_typeIjLj2EENS0_17counting_iteratorIjlEEPS9_SG_NS0_5tupleIJPjSI_NS0_16reverse_iteratorISI_EEEEENSH_IJSG_SG_SG_EEES9_SI_JZNS1_25segmented_radix_sort_implINS0_14default_configELb0EPKiPiPKlPlN2at6native12_GLOBAL__N_18offset_tEEE10hipError_tPvRmT1_PNSt15iterator_traitsIS12_E10value_typeET2_T3_PNS13_IS18_E10value_typeET4_jRbjT5_S1E_jjP12ihipStream_tbEUljE_ZNSN_ISO_Lb0ESQ_SR_ST_SU_SY_EESZ_S10_S11_S12_S16_S17_S18_S1B_S1C_jS1D_jS1E_S1E_jjS1G_bEUljE0_EEESZ_S10_S11_S18_S1C_S1E_T6_T7_T9_mT8_S1G_bDpT10_ENKUlT_T0_E_clISt17integral_constantIbLb0EES1U_EEDaS1P_S1Q_EUlS1P_E_NS1_11comp_targetILNS1_3genE10ELNS1_11target_archE1200ELNS1_3gpuE4ELNS1_3repE0EEENS1_30default_config_static_selectorELNS0_4arch9wavefront6targetE0EEEvS12_.uses_flat_scratch, 0
	.set _ZN7rocprim17ROCPRIM_400000_NS6detail17trampoline_kernelINS0_13select_configILj256ELj13ELNS0_17block_load_methodE3ELS4_3ELS4_3ELNS0_20block_scan_algorithmE0ELj4294967295EEENS1_25partition_config_selectorILNS1_17partition_subalgoE4EjNS0_10empty_typeEbEEZZNS1_14partition_implILS8_4ELb0ES6_15HIP_vector_typeIjLj2EENS0_17counting_iteratorIjlEEPS9_SG_NS0_5tupleIJPjSI_NS0_16reverse_iteratorISI_EEEEENSH_IJSG_SG_SG_EEES9_SI_JZNS1_25segmented_radix_sort_implINS0_14default_configELb0EPKiPiPKlPlN2at6native12_GLOBAL__N_18offset_tEEE10hipError_tPvRmT1_PNSt15iterator_traitsIS12_E10value_typeET2_T3_PNS13_IS18_E10value_typeET4_jRbjT5_S1E_jjP12ihipStream_tbEUljE_ZNSN_ISO_Lb0ESQ_SR_ST_SU_SY_EESZ_S10_S11_S12_S16_S17_S18_S1B_S1C_jS1D_jS1E_S1E_jjS1G_bEUljE0_EEESZ_S10_S11_S18_S1C_S1E_T6_T7_T9_mT8_S1G_bDpT10_ENKUlT_T0_E_clISt17integral_constantIbLb0EES1U_EEDaS1P_S1Q_EUlS1P_E_NS1_11comp_targetILNS1_3genE10ELNS1_11target_archE1200ELNS1_3gpuE4ELNS1_3repE0EEENS1_30default_config_static_selectorELNS0_4arch9wavefront6targetE0EEEvS12_.has_dyn_sized_stack, 0
	.set _ZN7rocprim17ROCPRIM_400000_NS6detail17trampoline_kernelINS0_13select_configILj256ELj13ELNS0_17block_load_methodE3ELS4_3ELS4_3ELNS0_20block_scan_algorithmE0ELj4294967295EEENS1_25partition_config_selectorILNS1_17partition_subalgoE4EjNS0_10empty_typeEbEEZZNS1_14partition_implILS8_4ELb0ES6_15HIP_vector_typeIjLj2EENS0_17counting_iteratorIjlEEPS9_SG_NS0_5tupleIJPjSI_NS0_16reverse_iteratorISI_EEEEENSH_IJSG_SG_SG_EEES9_SI_JZNS1_25segmented_radix_sort_implINS0_14default_configELb0EPKiPiPKlPlN2at6native12_GLOBAL__N_18offset_tEEE10hipError_tPvRmT1_PNSt15iterator_traitsIS12_E10value_typeET2_T3_PNS13_IS18_E10value_typeET4_jRbjT5_S1E_jjP12ihipStream_tbEUljE_ZNSN_ISO_Lb0ESQ_SR_ST_SU_SY_EESZ_S10_S11_S12_S16_S17_S18_S1B_S1C_jS1D_jS1E_S1E_jjS1G_bEUljE0_EEESZ_S10_S11_S18_S1C_S1E_T6_T7_T9_mT8_S1G_bDpT10_ENKUlT_T0_E_clISt17integral_constantIbLb0EES1U_EEDaS1P_S1Q_EUlS1P_E_NS1_11comp_targetILNS1_3genE10ELNS1_11target_archE1200ELNS1_3gpuE4ELNS1_3repE0EEENS1_30default_config_static_selectorELNS0_4arch9wavefront6targetE0EEEvS12_.has_recursion, 0
	.set _ZN7rocprim17ROCPRIM_400000_NS6detail17trampoline_kernelINS0_13select_configILj256ELj13ELNS0_17block_load_methodE3ELS4_3ELS4_3ELNS0_20block_scan_algorithmE0ELj4294967295EEENS1_25partition_config_selectorILNS1_17partition_subalgoE4EjNS0_10empty_typeEbEEZZNS1_14partition_implILS8_4ELb0ES6_15HIP_vector_typeIjLj2EENS0_17counting_iteratorIjlEEPS9_SG_NS0_5tupleIJPjSI_NS0_16reverse_iteratorISI_EEEEENSH_IJSG_SG_SG_EEES9_SI_JZNS1_25segmented_radix_sort_implINS0_14default_configELb0EPKiPiPKlPlN2at6native12_GLOBAL__N_18offset_tEEE10hipError_tPvRmT1_PNSt15iterator_traitsIS12_E10value_typeET2_T3_PNS13_IS18_E10value_typeET4_jRbjT5_S1E_jjP12ihipStream_tbEUljE_ZNSN_ISO_Lb0ESQ_SR_ST_SU_SY_EESZ_S10_S11_S12_S16_S17_S18_S1B_S1C_jS1D_jS1E_S1E_jjS1G_bEUljE0_EEESZ_S10_S11_S18_S1C_S1E_T6_T7_T9_mT8_S1G_bDpT10_ENKUlT_T0_E_clISt17integral_constantIbLb0EES1U_EEDaS1P_S1Q_EUlS1P_E_NS1_11comp_targetILNS1_3genE10ELNS1_11target_archE1200ELNS1_3gpuE4ELNS1_3repE0EEENS1_30default_config_static_selectorELNS0_4arch9wavefront6targetE0EEEvS12_.has_indirect_call, 0
	.section	.AMDGPU.csdata,"",@progbits
; Kernel info:
; codeLenInByte = 18900
; TotalNumSgprs: 60
; NumVgprs: 93
; ScratchSize: 0
; MemoryBound: 0
; FloatMode: 240
; IeeeMode: 1
; LDSByteSize: 13328 bytes/workgroup (compile time only)
; SGPRBlocks: 0
; VGPRBlocks: 11
; NumSGPRsForWavesPerEU: 60
; NumVGPRsForWavesPerEU: 93
; Occupancy: 16
; WaveLimiterHint : 1
; COMPUTE_PGM_RSRC2:SCRATCH_EN: 0
; COMPUTE_PGM_RSRC2:USER_SGPR: 2
; COMPUTE_PGM_RSRC2:TRAP_HANDLER: 0
; COMPUTE_PGM_RSRC2:TGID_X_EN: 1
; COMPUTE_PGM_RSRC2:TGID_Y_EN: 0
; COMPUTE_PGM_RSRC2:TGID_Z_EN: 0
; COMPUTE_PGM_RSRC2:TIDIG_COMP_CNT: 0
	.section	.text._ZN7rocprim17ROCPRIM_400000_NS6detail17trampoline_kernelINS0_13select_configILj256ELj13ELNS0_17block_load_methodE3ELS4_3ELS4_3ELNS0_20block_scan_algorithmE0ELj4294967295EEENS1_25partition_config_selectorILNS1_17partition_subalgoE4EjNS0_10empty_typeEbEEZZNS1_14partition_implILS8_4ELb0ES6_15HIP_vector_typeIjLj2EENS0_17counting_iteratorIjlEEPS9_SG_NS0_5tupleIJPjSI_NS0_16reverse_iteratorISI_EEEEENSH_IJSG_SG_SG_EEES9_SI_JZNS1_25segmented_radix_sort_implINS0_14default_configELb0EPKiPiPKlPlN2at6native12_GLOBAL__N_18offset_tEEE10hipError_tPvRmT1_PNSt15iterator_traitsIS12_E10value_typeET2_T3_PNS13_IS18_E10value_typeET4_jRbjT5_S1E_jjP12ihipStream_tbEUljE_ZNSN_ISO_Lb0ESQ_SR_ST_SU_SY_EESZ_S10_S11_S12_S16_S17_S18_S1B_S1C_jS1D_jS1E_S1E_jjS1G_bEUljE0_EEESZ_S10_S11_S18_S1C_S1E_T6_T7_T9_mT8_S1G_bDpT10_ENKUlT_T0_E_clISt17integral_constantIbLb0EES1U_EEDaS1P_S1Q_EUlS1P_E_NS1_11comp_targetILNS1_3genE9ELNS1_11target_archE1100ELNS1_3gpuE3ELNS1_3repE0EEENS1_30default_config_static_selectorELNS0_4arch9wavefront6targetE0EEEvS12_,"axG",@progbits,_ZN7rocprim17ROCPRIM_400000_NS6detail17trampoline_kernelINS0_13select_configILj256ELj13ELNS0_17block_load_methodE3ELS4_3ELS4_3ELNS0_20block_scan_algorithmE0ELj4294967295EEENS1_25partition_config_selectorILNS1_17partition_subalgoE4EjNS0_10empty_typeEbEEZZNS1_14partition_implILS8_4ELb0ES6_15HIP_vector_typeIjLj2EENS0_17counting_iteratorIjlEEPS9_SG_NS0_5tupleIJPjSI_NS0_16reverse_iteratorISI_EEEEENSH_IJSG_SG_SG_EEES9_SI_JZNS1_25segmented_radix_sort_implINS0_14default_configELb0EPKiPiPKlPlN2at6native12_GLOBAL__N_18offset_tEEE10hipError_tPvRmT1_PNSt15iterator_traitsIS12_E10value_typeET2_T3_PNS13_IS18_E10value_typeET4_jRbjT5_S1E_jjP12ihipStream_tbEUljE_ZNSN_ISO_Lb0ESQ_SR_ST_SU_SY_EESZ_S10_S11_S12_S16_S17_S18_S1B_S1C_jS1D_jS1E_S1E_jjS1G_bEUljE0_EEESZ_S10_S11_S18_S1C_S1E_T6_T7_T9_mT8_S1G_bDpT10_ENKUlT_T0_E_clISt17integral_constantIbLb0EES1U_EEDaS1P_S1Q_EUlS1P_E_NS1_11comp_targetILNS1_3genE9ELNS1_11target_archE1100ELNS1_3gpuE3ELNS1_3repE0EEENS1_30default_config_static_selectorELNS0_4arch9wavefront6targetE0EEEvS12_,comdat
	.globl	_ZN7rocprim17ROCPRIM_400000_NS6detail17trampoline_kernelINS0_13select_configILj256ELj13ELNS0_17block_load_methodE3ELS4_3ELS4_3ELNS0_20block_scan_algorithmE0ELj4294967295EEENS1_25partition_config_selectorILNS1_17partition_subalgoE4EjNS0_10empty_typeEbEEZZNS1_14partition_implILS8_4ELb0ES6_15HIP_vector_typeIjLj2EENS0_17counting_iteratorIjlEEPS9_SG_NS0_5tupleIJPjSI_NS0_16reverse_iteratorISI_EEEEENSH_IJSG_SG_SG_EEES9_SI_JZNS1_25segmented_radix_sort_implINS0_14default_configELb0EPKiPiPKlPlN2at6native12_GLOBAL__N_18offset_tEEE10hipError_tPvRmT1_PNSt15iterator_traitsIS12_E10value_typeET2_T3_PNS13_IS18_E10value_typeET4_jRbjT5_S1E_jjP12ihipStream_tbEUljE_ZNSN_ISO_Lb0ESQ_SR_ST_SU_SY_EESZ_S10_S11_S12_S16_S17_S18_S1B_S1C_jS1D_jS1E_S1E_jjS1G_bEUljE0_EEESZ_S10_S11_S18_S1C_S1E_T6_T7_T9_mT8_S1G_bDpT10_ENKUlT_T0_E_clISt17integral_constantIbLb0EES1U_EEDaS1P_S1Q_EUlS1P_E_NS1_11comp_targetILNS1_3genE9ELNS1_11target_archE1100ELNS1_3gpuE3ELNS1_3repE0EEENS1_30default_config_static_selectorELNS0_4arch9wavefront6targetE0EEEvS12_ ; -- Begin function _ZN7rocprim17ROCPRIM_400000_NS6detail17trampoline_kernelINS0_13select_configILj256ELj13ELNS0_17block_load_methodE3ELS4_3ELS4_3ELNS0_20block_scan_algorithmE0ELj4294967295EEENS1_25partition_config_selectorILNS1_17partition_subalgoE4EjNS0_10empty_typeEbEEZZNS1_14partition_implILS8_4ELb0ES6_15HIP_vector_typeIjLj2EENS0_17counting_iteratorIjlEEPS9_SG_NS0_5tupleIJPjSI_NS0_16reverse_iteratorISI_EEEEENSH_IJSG_SG_SG_EEES9_SI_JZNS1_25segmented_radix_sort_implINS0_14default_configELb0EPKiPiPKlPlN2at6native12_GLOBAL__N_18offset_tEEE10hipError_tPvRmT1_PNSt15iterator_traitsIS12_E10value_typeET2_T3_PNS13_IS18_E10value_typeET4_jRbjT5_S1E_jjP12ihipStream_tbEUljE_ZNSN_ISO_Lb0ESQ_SR_ST_SU_SY_EESZ_S10_S11_S12_S16_S17_S18_S1B_S1C_jS1D_jS1E_S1E_jjS1G_bEUljE0_EEESZ_S10_S11_S18_S1C_S1E_T6_T7_T9_mT8_S1G_bDpT10_ENKUlT_T0_E_clISt17integral_constantIbLb0EES1U_EEDaS1P_S1Q_EUlS1P_E_NS1_11comp_targetILNS1_3genE9ELNS1_11target_archE1100ELNS1_3gpuE3ELNS1_3repE0EEENS1_30default_config_static_selectorELNS0_4arch9wavefront6targetE0EEEvS12_
	.p2align	8
	.type	_ZN7rocprim17ROCPRIM_400000_NS6detail17trampoline_kernelINS0_13select_configILj256ELj13ELNS0_17block_load_methodE3ELS4_3ELS4_3ELNS0_20block_scan_algorithmE0ELj4294967295EEENS1_25partition_config_selectorILNS1_17partition_subalgoE4EjNS0_10empty_typeEbEEZZNS1_14partition_implILS8_4ELb0ES6_15HIP_vector_typeIjLj2EENS0_17counting_iteratorIjlEEPS9_SG_NS0_5tupleIJPjSI_NS0_16reverse_iteratorISI_EEEEENSH_IJSG_SG_SG_EEES9_SI_JZNS1_25segmented_radix_sort_implINS0_14default_configELb0EPKiPiPKlPlN2at6native12_GLOBAL__N_18offset_tEEE10hipError_tPvRmT1_PNSt15iterator_traitsIS12_E10value_typeET2_T3_PNS13_IS18_E10value_typeET4_jRbjT5_S1E_jjP12ihipStream_tbEUljE_ZNSN_ISO_Lb0ESQ_SR_ST_SU_SY_EESZ_S10_S11_S12_S16_S17_S18_S1B_S1C_jS1D_jS1E_S1E_jjS1G_bEUljE0_EEESZ_S10_S11_S18_S1C_S1E_T6_T7_T9_mT8_S1G_bDpT10_ENKUlT_T0_E_clISt17integral_constantIbLb0EES1U_EEDaS1P_S1Q_EUlS1P_E_NS1_11comp_targetILNS1_3genE9ELNS1_11target_archE1100ELNS1_3gpuE3ELNS1_3repE0EEENS1_30default_config_static_selectorELNS0_4arch9wavefront6targetE0EEEvS12_,@function
_ZN7rocprim17ROCPRIM_400000_NS6detail17trampoline_kernelINS0_13select_configILj256ELj13ELNS0_17block_load_methodE3ELS4_3ELS4_3ELNS0_20block_scan_algorithmE0ELj4294967295EEENS1_25partition_config_selectorILNS1_17partition_subalgoE4EjNS0_10empty_typeEbEEZZNS1_14partition_implILS8_4ELb0ES6_15HIP_vector_typeIjLj2EENS0_17counting_iteratorIjlEEPS9_SG_NS0_5tupleIJPjSI_NS0_16reverse_iteratorISI_EEEEENSH_IJSG_SG_SG_EEES9_SI_JZNS1_25segmented_radix_sort_implINS0_14default_configELb0EPKiPiPKlPlN2at6native12_GLOBAL__N_18offset_tEEE10hipError_tPvRmT1_PNSt15iterator_traitsIS12_E10value_typeET2_T3_PNS13_IS18_E10value_typeET4_jRbjT5_S1E_jjP12ihipStream_tbEUljE_ZNSN_ISO_Lb0ESQ_SR_ST_SU_SY_EESZ_S10_S11_S12_S16_S17_S18_S1B_S1C_jS1D_jS1E_S1E_jjS1G_bEUljE0_EEESZ_S10_S11_S18_S1C_S1E_T6_T7_T9_mT8_S1G_bDpT10_ENKUlT_T0_E_clISt17integral_constantIbLb0EES1U_EEDaS1P_S1Q_EUlS1P_E_NS1_11comp_targetILNS1_3genE9ELNS1_11target_archE1100ELNS1_3gpuE3ELNS1_3repE0EEENS1_30default_config_static_selectorELNS0_4arch9wavefront6targetE0EEEvS12_: ; @_ZN7rocprim17ROCPRIM_400000_NS6detail17trampoline_kernelINS0_13select_configILj256ELj13ELNS0_17block_load_methodE3ELS4_3ELS4_3ELNS0_20block_scan_algorithmE0ELj4294967295EEENS1_25partition_config_selectorILNS1_17partition_subalgoE4EjNS0_10empty_typeEbEEZZNS1_14partition_implILS8_4ELb0ES6_15HIP_vector_typeIjLj2EENS0_17counting_iteratorIjlEEPS9_SG_NS0_5tupleIJPjSI_NS0_16reverse_iteratorISI_EEEEENSH_IJSG_SG_SG_EEES9_SI_JZNS1_25segmented_radix_sort_implINS0_14default_configELb0EPKiPiPKlPlN2at6native12_GLOBAL__N_18offset_tEEE10hipError_tPvRmT1_PNSt15iterator_traitsIS12_E10value_typeET2_T3_PNS13_IS18_E10value_typeET4_jRbjT5_S1E_jjP12ihipStream_tbEUljE_ZNSN_ISO_Lb0ESQ_SR_ST_SU_SY_EESZ_S10_S11_S12_S16_S17_S18_S1B_S1C_jS1D_jS1E_S1E_jjS1G_bEUljE0_EEESZ_S10_S11_S18_S1C_S1E_T6_T7_T9_mT8_S1G_bDpT10_ENKUlT_T0_E_clISt17integral_constantIbLb0EES1U_EEDaS1P_S1Q_EUlS1P_E_NS1_11comp_targetILNS1_3genE9ELNS1_11target_archE1100ELNS1_3gpuE3ELNS1_3repE0EEENS1_30default_config_static_selectorELNS0_4arch9wavefront6targetE0EEEvS12_
; %bb.0:
	.section	.rodata,"a",@progbits
	.p2align	6, 0x0
	.amdhsa_kernel _ZN7rocprim17ROCPRIM_400000_NS6detail17trampoline_kernelINS0_13select_configILj256ELj13ELNS0_17block_load_methodE3ELS4_3ELS4_3ELNS0_20block_scan_algorithmE0ELj4294967295EEENS1_25partition_config_selectorILNS1_17partition_subalgoE4EjNS0_10empty_typeEbEEZZNS1_14partition_implILS8_4ELb0ES6_15HIP_vector_typeIjLj2EENS0_17counting_iteratorIjlEEPS9_SG_NS0_5tupleIJPjSI_NS0_16reverse_iteratorISI_EEEEENSH_IJSG_SG_SG_EEES9_SI_JZNS1_25segmented_radix_sort_implINS0_14default_configELb0EPKiPiPKlPlN2at6native12_GLOBAL__N_18offset_tEEE10hipError_tPvRmT1_PNSt15iterator_traitsIS12_E10value_typeET2_T3_PNS13_IS18_E10value_typeET4_jRbjT5_S1E_jjP12ihipStream_tbEUljE_ZNSN_ISO_Lb0ESQ_SR_ST_SU_SY_EESZ_S10_S11_S12_S16_S17_S18_S1B_S1C_jS1D_jS1E_S1E_jjS1G_bEUljE0_EEESZ_S10_S11_S18_S1C_S1E_T6_T7_T9_mT8_S1G_bDpT10_ENKUlT_T0_E_clISt17integral_constantIbLb0EES1U_EEDaS1P_S1Q_EUlS1P_E_NS1_11comp_targetILNS1_3genE9ELNS1_11target_archE1100ELNS1_3gpuE3ELNS1_3repE0EEENS1_30default_config_static_selectorELNS0_4arch9wavefront6targetE0EEEvS12_
		.amdhsa_group_segment_fixed_size 0
		.amdhsa_private_segment_fixed_size 0
		.amdhsa_kernarg_size 176
		.amdhsa_user_sgpr_count 2
		.amdhsa_user_sgpr_dispatch_ptr 0
		.amdhsa_user_sgpr_queue_ptr 0
		.amdhsa_user_sgpr_kernarg_segment_ptr 1
		.amdhsa_user_sgpr_dispatch_id 0
		.amdhsa_user_sgpr_private_segment_size 0
		.amdhsa_wavefront_size32 1
		.amdhsa_uses_dynamic_stack 0
		.amdhsa_enable_private_segment 0
		.amdhsa_system_sgpr_workgroup_id_x 1
		.amdhsa_system_sgpr_workgroup_id_y 0
		.amdhsa_system_sgpr_workgroup_id_z 0
		.amdhsa_system_sgpr_workgroup_info 0
		.amdhsa_system_vgpr_workitem_id 0
		.amdhsa_next_free_vgpr 1
		.amdhsa_next_free_sgpr 1
		.amdhsa_reserve_vcc 0
		.amdhsa_float_round_mode_32 0
		.amdhsa_float_round_mode_16_64 0
		.amdhsa_float_denorm_mode_32 3
		.amdhsa_float_denorm_mode_16_64 3
		.amdhsa_fp16_overflow 0
		.amdhsa_workgroup_processor_mode 1
		.amdhsa_memory_ordered 1
		.amdhsa_forward_progress 1
		.amdhsa_inst_pref_size 0
		.amdhsa_round_robin_scheduling 0
		.amdhsa_exception_fp_ieee_invalid_op 0
		.amdhsa_exception_fp_denorm_src 0
		.amdhsa_exception_fp_ieee_div_zero 0
		.amdhsa_exception_fp_ieee_overflow 0
		.amdhsa_exception_fp_ieee_underflow 0
		.amdhsa_exception_fp_ieee_inexact 0
		.amdhsa_exception_int_div_zero 0
	.end_amdhsa_kernel
	.section	.text._ZN7rocprim17ROCPRIM_400000_NS6detail17trampoline_kernelINS0_13select_configILj256ELj13ELNS0_17block_load_methodE3ELS4_3ELS4_3ELNS0_20block_scan_algorithmE0ELj4294967295EEENS1_25partition_config_selectorILNS1_17partition_subalgoE4EjNS0_10empty_typeEbEEZZNS1_14partition_implILS8_4ELb0ES6_15HIP_vector_typeIjLj2EENS0_17counting_iteratorIjlEEPS9_SG_NS0_5tupleIJPjSI_NS0_16reverse_iteratorISI_EEEEENSH_IJSG_SG_SG_EEES9_SI_JZNS1_25segmented_radix_sort_implINS0_14default_configELb0EPKiPiPKlPlN2at6native12_GLOBAL__N_18offset_tEEE10hipError_tPvRmT1_PNSt15iterator_traitsIS12_E10value_typeET2_T3_PNS13_IS18_E10value_typeET4_jRbjT5_S1E_jjP12ihipStream_tbEUljE_ZNSN_ISO_Lb0ESQ_SR_ST_SU_SY_EESZ_S10_S11_S12_S16_S17_S18_S1B_S1C_jS1D_jS1E_S1E_jjS1G_bEUljE0_EEESZ_S10_S11_S18_S1C_S1E_T6_T7_T9_mT8_S1G_bDpT10_ENKUlT_T0_E_clISt17integral_constantIbLb0EES1U_EEDaS1P_S1Q_EUlS1P_E_NS1_11comp_targetILNS1_3genE9ELNS1_11target_archE1100ELNS1_3gpuE3ELNS1_3repE0EEENS1_30default_config_static_selectorELNS0_4arch9wavefront6targetE0EEEvS12_,"axG",@progbits,_ZN7rocprim17ROCPRIM_400000_NS6detail17trampoline_kernelINS0_13select_configILj256ELj13ELNS0_17block_load_methodE3ELS4_3ELS4_3ELNS0_20block_scan_algorithmE0ELj4294967295EEENS1_25partition_config_selectorILNS1_17partition_subalgoE4EjNS0_10empty_typeEbEEZZNS1_14partition_implILS8_4ELb0ES6_15HIP_vector_typeIjLj2EENS0_17counting_iteratorIjlEEPS9_SG_NS0_5tupleIJPjSI_NS0_16reverse_iteratorISI_EEEEENSH_IJSG_SG_SG_EEES9_SI_JZNS1_25segmented_radix_sort_implINS0_14default_configELb0EPKiPiPKlPlN2at6native12_GLOBAL__N_18offset_tEEE10hipError_tPvRmT1_PNSt15iterator_traitsIS12_E10value_typeET2_T3_PNS13_IS18_E10value_typeET4_jRbjT5_S1E_jjP12ihipStream_tbEUljE_ZNSN_ISO_Lb0ESQ_SR_ST_SU_SY_EESZ_S10_S11_S12_S16_S17_S18_S1B_S1C_jS1D_jS1E_S1E_jjS1G_bEUljE0_EEESZ_S10_S11_S18_S1C_S1E_T6_T7_T9_mT8_S1G_bDpT10_ENKUlT_T0_E_clISt17integral_constantIbLb0EES1U_EEDaS1P_S1Q_EUlS1P_E_NS1_11comp_targetILNS1_3genE9ELNS1_11target_archE1100ELNS1_3gpuE3ELNS1_3repE0EEENS1_30default_config_static_selectorELNS0_4arch9wavefront6targetE0EEEvS12_,comdat
.Lfunc_end542:
	.size	_ZN7rocprim17ROCPRIM_400000_NS6detail17trampoline_kernelINS0_13select_configILj256ELj13ELNS0_17block_load_methodE3ELS4_3ELS4_3ELNS0_20block_scan_algorithmE0ELj4294967295EEENS1_25partition_config_selectorILNS1_17partition_subalgoE4EjNS0_10empty_typeEbEEZZNS1_14partition_implILS8_4ELb0ES6_15HIP_vector_typeIjLj2EENS0_17counting_iteratorIjlEEPS9_SG_NS0_5tupleIJPjSI_NS0_16reverse_iteratorISI_EEEEENSH_IJSG_SG_SG_EEES9_SI_JZNS1_25segmented_radix_sort_implINS0_14default_configELb0EPKiPiPKlPlN2at6native12_GLOBAL__N_18offset_tEEE10hipError_tPvRmT1_PNSt15iterator_traitsIS12_E10value_typeET2_T3_PNS13_IS18_E10value_typeET4_jRbjT5_S1E_jjP12ihipStream_tbEUljE_ZNSN_ISO_Lb0ESQ_SR_ST_SU_SY_EESZ_S10_S11_S12_S16_S17_S18_S1B_S1C_jS1D_jS1E_S1E_jjS1G_bEUljE0_EEESZ_S10_S11_S18_S1C_S1E_T6_T7_T9_mT8_S1G_bDpT10_ENKUlT_T0_E_clISt17integral_constantIbLb0EES1U_EEDaS1P_S1Q_EUlS1P_E_NS1_11comp_targetILNS1_3genE9ELNS1_11target_archE1100ELNS1_3gpuE3ELNS1_3repE0EEENS1_30default_config_static_selectorELNS0_4arch9wavefront6targetE0EEEvS12_, .Lfunc_end542-_ZN7rocprim17ROCPRIM_400000_NS6detail17trampoline_kernelINS0_13select_configILj256ELj13ELNS0_17block_load_methodE3ELS4_3ELS4_3ELNS0_20block_scan_algorithmE0ELj4294967295EEENS1_25partition_config_selectorILNS1_17partition_subalgoE4EjNS0_10empty_typeEbEEZZNS1_14partition_implILS8_4ELb0ES6_15HIP_vector_typeIjLj2EENS0_17counting_iteratorIjlEEPS9_SG_NS0_5tupleIJPjSI_NS0_16reverse_iteratorISI_EEEEENSH_IJSG_SG_SG_EEES9_SI_JZNS1_25segmented_radix_sort_implINS0_14default_configELb0EPKiPiPKlPlN2at6native12_GLOBAL__N_18offset_tEEE10hipError_tPvRmT1_PNSt15iterator_traitsIS12_E10value_typeET2_T3_PNS13_IS18_E10value_typeET4_jRbjT5_S1E_jjP12ihipStream_tbEUljE_ZNSN_ISO_Lb0ESQ_SR_ST_SU_SY_EESZ_S10_S11_S12_S16_S17_S18_S1B_S1C_jS1D_jS1E_S1E_jjS1G_bEUljE0_EEESZ_S10_S11_S18_S1C_S1E_T6_T7_T9_mT8_S1G_bDpT10_ENKUlT_T0_E_clISt17integral_constantIbLb0EES1U_EEDaS1P_S1Q_EUlS1P_E_NS1_11comp_targetILNS1_3genE9ELNS1_11target_archE1100ELNS1_3gpuE3ELNS1_3repE0EEENS1_30default_config_static_selectorELNS0_4arch9wavefront6targetE0EEEvS12_
                                        ; -- End function
	.set _ZN7rocprim17ROCPRIM_400000_NS6detail17trampoline_kernelINS0_13select_configILj256ELj13ELNS0_17block_load_methodE3ELS4_3ELS4_3ELNS0_20block_scan_algorithmE0ELj4294967295EEENS1_25partition_config_selectorILNS1_17partition_subalgoE4EjNS0_10empty_typeEbEEZZNS1_14partition_implILS8_4ELb0ES6_15HIP_vector_typeIjLj2EENS0_17counting_iteratorIjlEEPS9_SG_NS0_5tupleIJPjSI_NS0_16reverse_iteratorISI_EEEEENSH_IJSG_SG_SG_EEES9_SI_JZNS1_25segmented_radix_sort_implINS0_14default_configELb0EPKiPiPKlPlN2at6native12_GLOBAL__N_18offset_tEEE10hipError_tPvRmT1_PNSt15iterator_traitsIS12_E10value_typeET2_T3_PNS13_IS18_E10value_typeET4_jRbjT5_S1E_jjP12ihipStream_tbEUljE_ZNSN_ISO_Lb0ESQ_SR_ST_SU_SY_EESZ_S10_S11_S12_S16_S17_S18_S1B_S1C_jS1D_jS1E_S1E_jjS1G_bEUljE0_EEESZ_S10_S11_S18_S1C_S1E_T6_T7_T9_mT8_S1G_bDpT10_ENKUlT_T0_E_clISt17integral_constantIbLb0EES1U_EEDaS1P_S1Q_EUlS1P_E_NS1_11comp_targetILNS1_3genE9ELNS1_11target_archE1100ELNS1_3gpuE3ELNS1_3repE0EEENS1_30default_config_static_selectorELNS0_4arch9wavefront6targetE0EEEvS12_.num_vgpr, 0
	.set _ZN7rocprim17ROCPRIM_400000_NS6detail17trampoline_kernelINS0_13select_configILj256ELj13ELNS0_17block_load_methodE3ELS4_3ELS4_3ELNS0_20block_scan_algorithmE0ELj4294967295EEENS1_25partition_config_selectorILNS1_17partition_subalgoE4EjNS0_10empty_typeEbEEZZNS1_14partition_implILS8_4ELb0ES6_15HIP_vector_typeIjLj2EENS0_17counting_iteratorIjlEEPS9_SG_NS0_5tupleIJPjSI_NS0_16reverse_iteratorISI_EEEEENSH_IJSG_SG_SG_EEES9_SI_JZNS1_25segmented_radix_sort_implINS0_14default_configELb0EPKiPiPKlPlN2at6native12_GLOBAL__N_18offset_tEEE10hipError_tPvRmT1_PNSt15iterator_traitsIS12_E10value_typeET2_T3_PNS13_IS18_E10value_typeET4_jRbjT5_S1E_jjP12ihipStream_tbEUljE_ZNSN_ISO_Lb0ESQ_SR_ST_SU_SY_EESZ_S10_S11_S12_S16_S17_S18_S1B_S1C_jS1D_jS1E_S1E_jjS1G_bEUljE0_EEESZ_S10_S11_S18_S1C_S1E_T6_T7_T9_mT8_S1G_bDpT10_ENKUlT_T0_E_clISt17integral_constantIbLb0EES1U_EEDaS1P_S1Q_EUlS1P_E_NS1_11comp_targetILNS1_3genE9ELNS1_11target_archE1100ELNS1_3gpuE3ELNS1_3repE0EEENS1_30default_config_static_selectorELNS0_4arch9wavefront6targetE0EEEvS12_.num_agpr, 0
	.set _ZN7rocprim17ROCPRIM_400000_NS6detail17trampoline_kernelINS0_13select_configILj256ELj13ELNS0_17block_load_methodE3ELS4_3ELS4_3ELNS0_20block_scan_algorithmE0ELj4294967295EEENS1_25partition_config_selectorILNS1_17partition_subalgoE4EjNS0_10empty_typeEbEEZZNS1_14partition_implILS8_4ELb0ES6_15HIP_vector_typeIjLj2EENS0_17counting_iteratorIjlEEPS9_SG_NS0_5tupleIJPjSI_NS0_16reverse_iteratorISI_EEEEENSH_IJSG_SG_SG_EEES9_SI_JZNS1_25segmented_radix_sort_implINS0_14default_configELb0EPKiPiPKlPlN2at6native12_GLOBAL__N_18offset_tEEE10hipError_tPvRmT1_PNSt15iterator_traitsIS12_E10value_typeET2_T3_PNS13_IS18_E10value_typeET4_jRbjT5_S1E_jjP12ihipStream_tbEUljE_ZNSN_ISO_Lb0ESQ_SR_ST_SU_SY_EESZ_S10_S11_S12_S16_S17_S18_S1B_S1C_jS1D_jS1E_S1E_jjS1G_bEUljE0_EEESZ_S10_S11_S18_S1C_S1E_T6_T7_T9_mT8_S1G_bDpT10_ENKUlT_T0_E_clISt17integral_constantIbLb0EES1U_EEDaS1P_S1Q_EUlS1P_E_NS1_11comp_targetILNS1_3genE9ELNS1_11target_archE1100ELNS1_3gpuE3ELNS1_3repE0EEENS1_30default_config_static_selectorELNS0_4arch9wavefront6targetE0EEEvS12_.numbered_sgpr, 0
	.set _ZN7rocprim17ROCPRIM_400000_NS6detail17trampoline_kernelINS0_13select_configILj256ELj13ELNS0_17block_load_methodE3ELS4_3ELS4_3ELNS0_20block_scan_algorithmE0ELj4294967295EEENS1_25partition_config_selectorILNS1_17partition_subalgoE4EjNS0_10empty_typeEbEEZZNS1_14partition_implILS8_4ELb0ES6_15HIP_vector_typeIjLj2EENS0_17counting_iteratorIjlEEPS9_SG_NS0_5tupleIJPjSI_NS0_16reverse_iteratorISI_EEEEENSH_IJSG_SG_SG_EEES9_SI_JZNS1_25segmented_radix_sort_implINS0_14default_configELb0EPKiPiPKlPlN2at6native12_GLOBAL__N_18offset_tEEE10hipError_tPvRmT1_PNSt15iterator_traitsIS12_E10value_typeET2_T3_PNS13_IS18_E10value_typeET4_jRbjT5_S1E_jjP12ihipStream_tbEUljE_ZNSN_ISO_Lb0ESQ_SR_ST_SU_SY_EESZ_S10_S11_S12_S16_S17_S18_S1B_S1C_jS1D_jS1E_S1E_jjS1G_bEUljE0_EEESZ_S10_S11_S18_S1C_S1E_T6_T7_T9_mT8_S1G_bDpT10_ENKUlT_T0_E_clISt17integral_constantIbLb0EES1U_EEDaS1P_S1Q_EUlS1P_E_NS1_11comp_targetILNS1_3genE9ELNS1_11target_archE1100ELNS1_3gpuE3ELNS1_3repE0EEENS1_30default_config_static_selectorELNS0_4arch9wavefront6targetE0EEEvS12_.num_named_barrier, 0
	.set _ZN7rocprim17ROCPRIM_400000_NS6detail17trampoline_kernelINS0_13select_configILj256ELj13ELNS0_17block_load_methodE3ELS4_3ELS4_3ELNS0_20block_scan_algorithmE0ELj4294967295EEENS1_25partition_config_selectorILNS1_17partition_subalgoE4EjNS0_10empty_typeEbEEZZNS1_14partition_implILS8_4ELb0ES6_15HIP_vector_typeIjLj2EENS0_17counting_iteratorIjlEEPS9_SG_NS0_5tupleIJPjSI_NS0_16reverse_iteratorISI_EEEEENSH_IJSG_SG_SG_EEES9_SI_JZNS1_25segmented_radix_sort_implINS0_14default_configELb0EPKiPiPKlPlN2at6native12_GLOBAL__N_18offset_tEEE10hipError_tPvRmT1_PNSt15iterator_traitsIS12_E10value_typeET2_T3_PNS13_IS18_E10value_typeET4_jRbjT5_S1E_jjP12ihipStream_tbEUljE_ZNSN_ISO_Lb0ESQ_SR_ST_SU_SY_EESZ_S10_S11_S12_S16_S17_S18_S1B_S1C_jS1D_jS1E_S1E_jjS1G_bEUljE0_EEESZ_S10_S11_S18_S1C_S1E_T6_T7_T9_mT8_S1G_bDpT10_ENKUlT_T0_E_clISt17integral_constantIbLb0EES1U_EEDaS1P_S1Q_EUlS1P_E_NS1_11comp_targetILNS1_3genE9ELNS1_11target_archE1100ELNS1_3gpuE3ELNS1_3repE0EEENS1_30default_config_static_selectorELNS0_4arch9wavefront6targetE0EEEvS12_.private_seg_size, 0
	.set _ZN7rocprim17ROCPRIM_400000_NS6detail17trampoline_kernelINS0_13select_configILj256ELj13ELNS0_17block_load_methodE3ELS4_3ELS4_3ELNS0_20block_scan_algorithmE0ELj4294967295EEENS1_25partition_config_selectorILNS1_17partition_subalgoE4EjNS0_10empty_typeEbEEZZNS1_14partition_implILS8_4ELb0ES6_15HIP_vector_typeIjLj2EENS0_17counting_iteratorIjlEEPS9_SG_NS0_5tupleIJPjSI_NS0_16reverse_iteratorISI_EEEEENSH_IJSG_SG_SG_EEES9_SI_JZNS1_25segmented_radix_sort_implINS0_14default_configELb0EPKiPiPKlPlN2at6native12_GLOBAL__N_18offset_tEEE10hipError_tPvRmT1_PNSt15iterator_traitsIS12_E10value_typeET2_T3_PNS13_IS18_E10value_typeET4_jRbjT5_S1E_jjP12ihipStream_tbEUljE_ZNSN_ISO_Lb0ESQ_SR_ST_SU_SY_EESZ_S10_S11_S12_S16_S17_S18_S1B_S1C_jS1D_jS1E_S1E_jjS1G_bEUljE0_EEESZ_S10_S11_S18_S1C_S1E_T6_T7_T9_mT8_S1G_bDpT10_ENKUlT_T0_E_clISt17integral_constantIbLb0EES1U_EEDaS1P_S1Q_EUlS1P_E_NS1_11comp_targetILNS1_3genE9ELNS1_11target_archE1100ELNS1_3gpuE3ELNS1_3repE0EEENS1_30default_config_static_selectorELNS0_4arch9wavefront6targetE0EEEvS12_.uses_vcc, 0
	.set _ZN7rocprim17ROCPRIM_400000_NS6detail17trampoline_kernelINS0_13select_configILj256ELj13ELNS0_17block_load_methodE3ELS4_3ELS4_3ELNS0_20block_scan_algorithmE0ELj4294967295EEENS1_25partition_config_selectorILNS1_17partition_subalgoE4EjNS0_10empty_typeEbEEZZNS1_14partition_implILS8_4ELb0ES6_15HIP_vector_typeIjLj2EENS0_17counting_iteratorIjlEEPS9_SG_NS0_5tupleIJPjSI_NS0_16reverse_iteratorISI_EEEEENSH_IJSG_SG_SG_EEES9_SI_JZNS1_25segmented_radix_sort_implINS0_14default_configELb0EPKiPiPKlPlN2at6native12_GLOBAL__N_18offset_tEEE10hipError_tPvRmT1_PNSt15iterator_traitsIS12_E10value_typeET2_T3_PNS13_IS18_E10value_typeET4_jRbjT5_S1E_jjP12ihipStream_tbEUljE_ZNSN_ISO_Lb0ESQ_SR_ST_SU_SY_EESZ_S10_S11_S12_S16_S17_S18_S1B_S1C_jS1D_jS1E_S1E_jjS1G_bEUljE0_EEESZ_S10_S11_S18_S1C_S1E_T6_T7_T9_mT8_S1G_bDpT10_ENKUlT_T0_E_clISt17integral_constantIbLb0EES1U_EEDaS1P_S1Q_EUlS1P_E_NS1_11comp_targetILNS1_3genE9ELNS1_11target_archE1100ELNS1_3gpuE3ELNS1_3repE0EEENS1_30default_config_static_selectorELNS0_4arch9wavefront6targetE0EEEvS12_.uses_flat_scratch, 0
	.set _ZN7rocprim17ROCPRIM_400000_NS6detail17trampoline_kernelINS0_13select_configILj256ELj13ELNS0_17block_load_methodE3ELS4_3ELS4_3ELNS0_20block_scan_algorithmE0ELj4294967295EEENS1_25partition_config_selectorILNS1_17partition_subalgoE4EjNS0_10empty_typeEbEEZZNS1_14partition_implILS8_4ELb0ES6_15HIP_vector_typeIjLj2EENS0_17counting_iteratorIjlEEPS9_SG_NS0_5tupleIJPjSI_NS0_16reverse_iteratorISI_EEEEENSH_IJSG_SG_SG_EEES9_SI_JZNS1_25segmented_radix_sort_implINS0_14default_configELb0EPKiPiPKlPlN2at6native12_GLOBAL__N_18offset_tEEE10hipError_tPvRmT1_PNSt15iterator_traitsIS12_E10value_typeET2_T3_PNS13_IS18_E10value_typeET4_jRbjT5_S1E_jjP12ihipStream_tbEUljE_ZNSN_ISO_Lb0ESQ_SR_ST_SU_SY_EESZ_S10_S11_S12_S16_S17_S18_S1B_S1C_jS1D_jS1E_S1E_jjS1G_bEUljE0_EEESZ_S10_S11_S18_S1C_S1E_T6_T7_T9_mT8_S1G_bDpT10_ENKUlT_T0_E_clISt17integral_constantIbLb0EES1U_EEDaS1P_S1Q_EUlS1P_E_NS1_11comp_targetILNS1_3genE9ELNS1_11target_archE1100ELNS1_3gpuE3ELNS1_3repE0EEENS1_30default_config_static_selectorELNS0_4arch9wavefront6targetE0EEEvS12_.has_dyn_sized_stack, 0
	.set _ZN7rocprim17ROCPRIM_400000_NS6detail17trampoline_kernelINS0_13select_configILj256ELj13ELNS0_17block_load_methodE3ELS4_3ELS4_3ELNS0_20block_scan_algorithmE0ELj4294967295EEENS1_25partition_config_selectorILNS1_17partition_subalgoE4EjNS0_10empty_typeEbEEZZNS1_14partition_implILS8_4ELb0ES6_15HIP_vector_typeIjLj2EENS0_17counting_iteratorIjlEEPS9_SG_NS0_5tupleIJPjSI_NS0_16reverse_iteratorISI_EEEEENSH_IJSG_SG_SG_EEES9_SI_JZNS1_25segmented_radix_sort_implINS0_14default_configELb0EPKiPiPKlPlN2at6native12_GLOBAL__N_18offset_tEEE10hipError_tPvRmT1_PNSt15iterator_traitsIS12_E10value_typeET2_T3_PNS13_IS18_E10value_typeET4_jRbjT5_S1E_jjP12ihipStream_tbEUljE_ZNSN_ISO_Lb0ESQ_SR_ST_SU_SY_EESZ_S10_S11_S12_S16_S17_S18_S1B_S1C_jS1D_jS1E_S1E_jjS1G_bEUljE0_EEESZ_S10_S11_S18_S1C_S1E_T6_T7_T9_mT8_S1G_bDpT10_ENKUlT_T0_E_clISt17integral_constantIbLb0EES1U_EEDaS1P_S1Q_EUlS1P_E_NS1_11comp_targetILNS1_3genE9ELNS1_11target_archE1100ELNS1_3gpuE3ELNS1_3repE0EEENS1_30default_config_static_selectorELNS0_4arch9wavefront6targetE0EEEvS12_.has_recursion, 0
	.set _ZN7rocprim17ROCPRIM_400000_NS6detail17trampoline_kernelINS0_13select_configILj256ELj13ELNS0_17block_load_methodE3ELS4_3ELS4_3ELNS0_20block_scan_algorithmE0ELj4294967295EEENS1_25partition_config_selectorILNS1_17partition_subalgoE4EjNS0_10empty_typeEbEEZZNS1_14partition_implILS8_4ELb0ES6_15HIP_vector_typeIjLj2EENS0_17counting_iteratorIjlEEPS9_SG_NS0_5tupleIJPjSI_NS0_16reverse_iteratorISI_EEEEENSH_IJSG_SG_SG_EEES9_SI_JZNS1_25segmented_radix_sort_implINS0_14default_configELb0EPKiPiPKlPlN2at6native12_GLOBAL__N_18offset_tEEE10hipError_tPvRmT1_PNSt15iterator_traitsIS12_E10value_typeET2_T3_PNS13_IS18_E10value_typeET4_jRbjT5_S1E_jjP12ihipStream_tbEUljE_ZNSN_ISO_Lb0ESQ_SR_ST_SU_SY_EESZ_S10_S11_S12_S16_S17_S18_S1B_S1C_jS1D_jS1E_S1E_jjS1G_bEUljE0_EEESZ_S10_S11_S18_S1C_S1E_T6_T7_T9_mT8_S1G_bDpT10_ENKUlT_T0_E_clISt17integral_constantIbLb0EES1U_EEDaS1P_S1Q_EUlS1P_E_NS1_11comp_targetILNS1_3genE9ELNS1_11target_archE1100ELNS1_3gpuE3ELNS1_3repE0EEENS1_30default_config_static_selectorELNS0_4arch9wavefront6targetE0EEEvS12_.has_indirect_call, 0
	.section	.AMDGPU.csdata,"",@progbits
; Kernel info:
; codeLenInByte = 0
; TotalNumSgprs: 0
; NumVgprs: 0
; ScratchSize: 0
; MemoryBound: 0
; FloatMode: 240
; IeeeMode: 1
; LDSByteSize: 0 bytes/workgroup (compile time only)
; SGPRBlocks: 0
; VGPRBlocks: 0
; NumSGPRsForWavesPerEU: 1
; NumVGPRsForWavesPerEU: 1
; Occupancy: 16
; WaveLimiterHint : 0
; COMPUTE_PGM_RSRC2:SCRATCH_EN: 0
; COMPUTE_PGM_RSRC2:USER_SGPR: 2
; COMPUTE_PGM_RSRC2:TRAP_HANDLER: 0
; COMPUTE_PGM_RSRC2:TGID_X_EN: 1
; COMPUTE_PGM_RSRC2:TGID_Y_EN: 0
; COMPUTE_PGM_RSRC2:TGID_Z_EN: 0
; COMPUTE_PGM_RSRC2:TIDIG_COMP_CNT: 0
	.section	.text._ZN7rocprim17ROCPRIM_400000_NS6detail17trampoline_kernelINS0_13select_configILj256ELj13ELNS0_17block_load_methodE3ELS4_3ELS4_3ELNS0_20block_scan_algorithmE0ELj4294967295EEENS1_25partition_config_selectorILNS1_17partition_subalgoE4EjNS0_10empty_typeEbEEZZNS1_14partition_implILS8_4ELb0ES6_15HIP_vector_typeIjLj2EENS0_17counting_iteratorIjlEEPS9_SG_NS0_5tupleIJPjSI_NS0_16reverse_iteratorISI_EEEEENSH_IJSG_SG_SG_EEES9_SI_JZNS1_25segmented_radix_sort_implINS0_14default_configELb0EPKiPiPKlPlN2at6native12_GLOBAL__N_18offset_tEEE10hipError_tPvRmT1_PNSt15iterator_traitsIS12_E10value_typeET2_T3_PNS13_IS18_E10value_typeET4_jRbjT5_S1E_jjP12ihipStream_tbEUljE_ZNSN_ISO_Lb0ESQ_SR_ST_SU_SY_EESZ_S10_S11_S12_S16_S17_S18_S1B_S1C_jS1D_jS1E_S1E_jjS1G_bEUljE0_EEESZ_S10_S11_S18_S1C_S1E_T6_T7_T9_mT8_S1G_bDpT10_ENKUlT_T0_E_clISt17integral_constantIbLb0EES1U_EEDaS1P_S1Q_EUlS1P_E_NS1_11comp_targetILNS1_3genE8ELNS1_11target_archE1030ELNS1_3gpuE2ELNS1_3repE0EEENS1_30default_config_static_selectorELNS0_4arch9wavefront6targetE0EEEvS12_,"axG",@progbits,_ZN7rocprim17ROCPRIM_400000_NS6detail17trampoline_kernelINS0_13select_configILj256ELj13ELNS0_17block_load_methodE3ELS4_3ELS4_3ELNS0_20block_scan_algorithmE0ELj4294967295EEENS1_25partition_config_selectorILNS1_17partition_subalgoE4EjNS0_10empty_typeEbEEZZNS1_14partition_implILS8_4ELb0ES6_15HIP_vector_typeIjLj2EENS0_17counting_iteratorIjlEEPS9_SG_NS0_5tupleIJPjSI_NS0_16reverse_iteratorISI_EEEEENSH_IJSG_SG_SG_EEES9_SI_JZNS1_25segmented_radix_sort_implINS0_14default_configELb0EPKiPiPKlPlN2at6native12_GLOBAL__N_18offset_tEEE10hipError_tPvRmT1_PNSt15iterator_traitsIS12_E10value_typeET2_T3_PNS13_IS18_E10value_typeET4_jRbjT5_S1E_jjP12ihipStream_tbEUljE_ZNSN_ISO_Lb0ESQ_SR_ST_SU_SY_EESZ_S10_S11_S12_S16_S17_S18_S1B_S1C_jS1D_jS1E_S1E_jjS1G_bEUljE0_EEESZ_S10_S11_S18_S1C_S1E_T6_T7_T9_mT8_S1G_bDpT10_ENKUlT_T0_E_clISt17integral_constantIbLb0EES1U_EEDaS1P_S1Q_EUlS1P_E_NS1_11comp_targetILNS1_3genE8ELNS1_11target_archE1030ELNS1_3gpuE2ELNS1_3repE0EEENS1_30default_config_static_selectorELNS0_4arch9wavefront6targetE0EEEvS12_,comdat
	.globl	_ZN7rocprim17ROCPRIM_400000_NS6detail17trampoline_kernelINS0_13select_configILj256ELj13ELNS0_17block_load_methodE3ELS4_3ELS4_3ELNS0_20block_scan_algorithmE0ELj4294967295EEENS1_25partition_config_selectorILNS1_17partition_subalgoE4EjNS0_10empty_typeEbEEZZNS1_14partition_implILS8_4ELb0ES6_15HIP_vector_typeIjLj2EENS0_17counting_iteratorIjlEEPS9_SG_NS0_5tupleIJPjSI_NS0_16reverse_iteratorISI_EEEEENSH_IJSG_SG_SG_EEES9_SI_JZNS1_25segmented_radix_sort_implINS0_14default_configELb0EPKiPiPKlPlN2at6native12_GLOBAL__N_18offset_tEEE10hipError_tPvRmT1_PNSt15iterator_traitsIS12_E10value_typeET2_T3_PNS13_IS18_E10value_typeET4_jRbjT5_S1E_jjP12ihipStream_tbEUljE_ZNSN_ISO_Lb0ESQ_SR_ST_SU_SY_EESZ_S10_S11_S12_S16_S17_S18_S1B_S1C_jS1D_jS1E_S1E_jjS1G_bEUljE0_EEESZ_S10_S11_S18_S1C_S1E_T6_T7_T9_mT8_S1G_bDpT10_ENKUlT_T0_E_clISt17integral_constantIbLb0EES1U_EEDaS1P_S1Q_EUlS1P_E_NS1_11comp_targetILNS1_3genE8ELNS1_11target_archE1030ELNS1_3gpuE2ELNS1_3repE0EEENS1_30default_config_static_selectorELNS0_4arch9wavefront6targetE0EEEvS12_ ; -- Begin function _ZN7rocprim17ROCPRIM_400000_NS6detail17trampoline_kernelINS0_13select_configILj256ELj13ELNS0_17block_load_methodE3ELS4_3ELS4_3ELNS0_20block_scan_algorithmE0ELj4294967295EEENS1_25partition_config_selectorILNS1_17partition_subalgoE4EjNS0_10empty_typeEbEEZZNS1_14partition_implILS8_4ELb0ES6_15HIP_vector_typeIjLj2EENS0_17counting_iteratorIjlEEPS9_SG_NS0_5tupleIJPjSI_NS0_16reverse_iteratorISI_EEEEENSH_IJSG_SG_SG_EEES9_SI_JZNS1_25segmented_radix_sort_implINS0_14default_configELb0EPKiPiPKlPlN2at6native12_GLOBAL__N_18offset_tEEE10hipError_tPvRmT1_PNSt15iterator_traitsIS12_E10value_typeET2_T3_PNS13_IS18_E10value_typeET4_jRbjT5_S1E_jjP12ihipStream_tbEUljE_ZNSN_ISO_Lb0ESQ_SR_ST_SU_SY_EESZ_S10_S11_S12_S16_S17_S18_S1B_S1C_jS1D_jS1E_S1E_jjS1G_bEUljE0_EEESZ_S10_S11_S18_S1C_S1E_T6_T7_T9_mT8_S1G_bDpT10_ENKUlT_T0_E_clISt17integral_constantIbLb0EES1U_EEDaS1P_S1Q_EUlS1P_E_NS1_11comp_targetILNS1_3genE8ELNS1_11target_archE1030ELNS1_3gpuE2ELNS1_3repE0EEENS1_30default_config_static_selectorELNS0_4arch9wavefront6targetE0EEEvS12_
	.p2align	8
	.type	_ZN7rocprim17ROCPRIM_400000_NS6detail17trampoline_kernelINS0_13select_configILj256ELj13ELNS0_17block_load_methodE3ELS4_3ELS4_3ELNS0_20block_scan_algorithmE0ELj4294967295EEENS1_25partition_config_selectorILNS1_17partition_subalgoE4EjNS0_10empty_typeEbEEZZNS1_14partition_implILS8_4ELb0ES6_15HIP_vector_typeIjLj2EENS0_17counting_iteratorIjlEEPS9_SG_NS0_5tupleIJPjSI_NS0_16reverse_iteratorISI_EEEEENSH_IJSG_SG_SG_EEES9_SI_JZNS1_25segmented_radix_sort_implINS0_14default_configELb0EPKiPiPKlPlN2at6native12_GLOBAL__N_18offset_tEEE10hipError_tPvRmT1_PNSt15iterator_traitsIS12_E10value_typeET2_T3_PNS13_IS18_E10value_typeET4_jRbjT5_S1E_jjP12ihipStream_tbEUljE_ZNSN_ISO_Lb0ESQ_SR_ST_SU_SY_EESZ_S10_S11_S12_S16_S17_S18_S1B_S1C_jS1D_jS1E_S1E_jjS1G_bEUljE0_EEESZ_S10_S11_S18_S1C_S1E_T6_T7_T9_mT8_S1G_bDpT10_ENKUlT_T0_E_clISt17integral_constantIbLb0EES1U_EEDaS1P_S1Q_EUlS1P_E_NS1_11comp_targetILNS1_3genE8ELNS1_11target_archE1030ELNS1_3gpuE2ELNS1_3repE0EEENS1_30default_config_static_selectorELNS0_4arch9wavefront6targetE0EEEvS12_,@function
_ZN7rocprim17ROCPRIM_400000_NS6detail17trampoline_kernelINS0_13select_configILj256ELj13ELNS0_17block_load_methodE3ELS4_3ELS4_3ELNS0_20block_scan_algorithmE0ELj4294967295EEENS1_25partition_config_selectorILNS1_17partition_subalgoE4EjNS0_10empty_typeEbEEZZNS1_14partition_implILS8_4ELb0ES6_15HIP_vector_typeIjLj2EENS0_17counting_iteratorIjlEEPS9_SG_NS0_5tupleIJPjSI_NS0_16reverse_iteratorISI_EEEEENSH_IJSG_SG_SG_EEES9_SI_JZNS1_25segmented_radix_sort_implINS0_14default_configELb0EPKiPiPKlPlN2at6native12_GLOBAL__N_18offset_tEEE10hipError_tPvRmT1_PNSt15iterator_traitsIS12_E10value_typeET2_T3_PNS13_IS18_E10value_typeET4_jRbjT5_S1E_jjP12ihipStream_tbEUljE_ZNSN_ISO_Lb0ESQ_SR_ST_SU_SY_EESZ_S10_S11_S12_S16_S17_S18_S1B_S1C_jS1D_jS1E_S1E_jjS1G_bEUljE0_EEESZ_S10_S11_S18_S1C_S1E_T6_T7_T9_mT8_S1G_bDpT10_ENKUlT_T0_E_clISt17integral_constantIbLb0EES1U_EEDaS1P_S1Q_EUlS1P_E_NS1_11comp_targetILNS1_3genE8ELNS1_11target_archE1030ELNS1_3gpuE2ELNS1_3repE0EEENS1_30default_config_static_selectorELNS0_4arch9wavefront6targetE0EEEvS12_: ; @_ZN7rocprim17ROCPRIM_400000_NS6detail17trampoline_kernelINS0_13select_configILj256ELj13ELNS0_17block_load_methodE3ELS4_3ELS4_3ELNS0_20block_scan_algorithmE0ELj4294967295EEENS1_25partition_config_selectorILNS1_17partition_subalgoE4EjNS0_10empty_typeEbEEZZNS1_14partition_implILS8_4ELb0ES6_15HIP_vector_typeIjLj2EENS0_17counting_iteratorIjlEEPS9_SG_NS0_5tupleIJPjSI_NS0_16reverse_iteratorISI_EEEEENSH_IJSG_SG_SG_EEES9_SI_JZNS1_25segmented_radix_sort_implINS0_14default_configELb0EPKiPiPKlPlN2at6native12_GLOBAL__N_18offset_tEEE10hipError_tPvRmT1_PNSt15iterator_traitsIS12_E10value_typeET2_T3_PNS13_IS18_E10value_typeET4_jRbjT5_S1E_jjP12ihipStream_tbEUljE_ZNSN_ISO_Lb0ESQ_SR_ST_SU_SY_EESZ_S10_S11_S12_S16_S17_S18_S1B_S1C_jS1D_jS1E_S1E_jjS1G_bEUljE0_EEESZ_S10_S11_S18_S1C_S1E_T6_T7_T9_mT8_S1G_bDpT10_ENKUlT_T0_E_clISt17integral_constantIbLb0EES1U_EEDaS1P_S1Q_EUlS1P_E_NS1_11comp_targetILNS1_3genE8ELNS1_11target_archE1030ELNS1_3gpuE2ELNS1_3repE0EEENS1_30default_config_static_selectorELNS0_4arch9wavefront6targetE0EEEvS12_
; %bb.0:
	.section	.rodata,"a",@progbits
	.p2align	6, 0x0
	.amdhsa_kernel _ZN7rocprim17ROCPRIM_400000_NS6detail17trampoline_kernelINS0_13select_configILj256ELj13ELNS0_17block_load_methodE3ELS4_3ELS4_3ELNS0_20block_scan_algorithmE0ELj4294967295EEENS1_25partition_config_selectorILNS1_17partition_subalgoE4EjNS0_10empty_typeEbEEZZNS1_14partition_implILS8_4ELb0ES6_15HIP_vector_typeIjLj2EENS0_17counting_iteratorIjlEEPS9_SG_NS0_5tupleIJPjSI_NS0_16reverse_iteratorISI_EEEEENSH_IJSG_SG_SG_EEES9_SI_JZNS1_25segmented_radix_sort_implINS0_14default_configELb0EPKiPiPKlPlN2at6native12_GLOBAL__N_18offset_tEEE10hipError_tPvRmT1_PNSt15iterator_traitsIS12_E10value_typeET2_T3_PNS13_IS18_E10value_typeET4_jRbjT5_S1E_jjP12ihipStream_tbEUljE_ZNSN_ISO_Lb0ESQ_SR_ST_SU_SY_EESZ_S10_S11_S12_S16_S17_S18_S1B_S1C_jS1D_jS1E_S1E_jjS1G_bEUljE0_EEESZ_S10_S11_S18_S1C_S1E_T6_T7_T9_mT8_S1G_bDpT10_ENKUlT_T0_E_clISt17integral_constantIbLb0EES1U_EEDaS1P_S1Q_EUlS1P_E_NS1_11comp_targetILNS1_3genE8ELNS1_11target_archE1030ELNS1_3gpuE2ELNS1_3repE0EEENS1_30default_config_static_selectorELNS0_4arch9wavefront6targetE0EEEvS12_
		.amdhsa_group_segment_fixed_size 0
		.amdhsa_private_segment_fixed_size 0
		.amdhsa_kernarg_size 176
		.amdhsa_user_sgpr_count 2
		.amdhsa_user_sgpr_dispatch_ptr 0
		.amdhsa_user_sgpr_queue_ptr 0
		.amdhsa_user_sgpr_kernarg_segment_ptr 1
		.amdhsa_user_sgpr_dispatch_id 0
		.amdhsa_user_sgpr_private_segment_size 0
		.amdhsa_wavefront_size32 1
		.amdhsa_uses_dynamic_stack 0
		.amdhsa_enable_private_segment 0
		.amdhsa_system_sgpr_workgroup_id_x 1
		.amdhsa_system_sgpr_workgroup_id_y 0
		.amdhsa_system_sgpr_workgroup_id_z 0
		.amdhsa_system_sgpr_workgroup_info 0
		.amdhsa_system_vgpr_workitem_id 0
		.amdhsa_next_free_vgpr 1
		.amdhsa_next_free_sgpr 1
		.amdhsa_reserve_vcc 0
		.amdhsa_float_round_mode_32 0
		.amdhsa_float_round_mode_16_64 0
		.amdhsa_float_denorm_mode_32 3
		.amdhsa_float_denorm_mode_16_64 3
		.amdhsa_fp16_overflow 0
		.amdhsa_workgroup_processor_mode 1
		.amdhsa_memory_ordered 1
		.amdhsa_forward_progress 1
		.amdhsa_inst_pref_size 0
		.amdhsa_round_robin_scheduling 0
		.amdhsa_exception_fp_ieee_invalid_op 0
		.amdhsa_exception_fp_denorm_src 0
		.amdhsa_exception_fp_ieee_div_zero 0
		.amdhsa_exception_fp_ieee_overflow 0
		.amdhsa_exception_fp_ieee_underflow 0
		.amdhsa_exception_fp_ieee_inexact 0
		.amdhsa_exception_int_div_zero 0
	.end_amdhsa_kernel
	.section	.text._ZN7rocprim17ROCPRIM_400000_NS6detail17trampoline_kernelINS0_13select_configILj256ELj13ELNS0_17block_load_methodE3ELS4_3ELS4_3ELNS0_20block_scan_algorithmE0ELj4294967295EEENS1_25partition_config_selectorILNS1_17partition_subalgoE4EjNS0_10empty_typeEbEEZZNS1_14partition_implILS8_4ELb0ES6_15HIP_vector_typeIjLj2EENS0_17counting_iteratorIjlEEPS9_SG_NS0_5tupleIJPjSI_NS0_16reverse_iteratorISI_EEEEENSH_IJSG_SG_SG_EEES9_SI_JZNS1_25segmented_radix_sort_implINS0_14default_configELb0EPKiPiPKlPlN2at6native12_GLOBAL__N_18offset_tEEE10hipError_tPvRmT1_PNSt15iterator_traitsIS12_E10value_typeET2_T3_PNS13_IS18_E10value_typeET4_jRbjT5_S1E_jjP12ihipStream_tbEUljE_ZNSN_ISO_Lb0ESQ_SR_ST_SU_SY_EESZ_S10_S11_S12_S16_S17_S18_S1B_S1C_jS1D_jS1E_S1E_jjS1G_bEUljE0_EEESZ_S10_S11_S18_S1C_S1E_T6_T7_T9_mT8_S1G_bDpT10_ENKUlT_T0_E_clISt17integral_constantIbLb0EES1U_EEDaS1P_S1Q_EUlS1P_E_NS1_11comp_targetILNS1_3genE8ELNS1_11target_archE1030ELNS1_3gpuE2ELNS1_3repE0EEENS1_30default_config_static_selectorELNS0_4arch9wavefront6targetE0EEEvS12_,"axG",@progbits,_ZN7rocprim17ROCPRIM_400000_NS6detail17trampoline_kernelINS0_13select_configILj256ELj13ELNS0_17block_load_methodE3ELS4_3ELS4_3ELNS0_20block_scan_algorithmE0ELj4294967295EEENS1_25partition_config_selectorILNS1_17partition_subalgoE4EjNS0_10empty_typeEbEEZZNS1_14partition_implILS8_4ELb0ES6_15HIP_vector_typeIjLj2EENS0_17counting_iteratorIjlEEPS9_SG_NS0_5tupleIJPjSI_NS0_16reverse_iteratorISI_EEEEENSH_IJSG_SG_SG_EEES9_SI_JZNS1_25segmented_radix_sort_implINS0_14default_configELb0EPKiPiPKlPlN2at6native12_GLOBAL__N_18offset_tEEE10hipError_tPvRmT1_PNSt15iterator_traitsIS12_E10value_typeET2_T3_PNS13_IS18_E10value_typeET4_jRbjT5_S1E_jjP12ihipStream_tbEUljE_ZNSN_ISO_Lb0ESQ_SR_ST_SU_SY_EESZ_S10_S11_S12_S16_S17_S18_S1B_S1C_jS1D_jS1E_S1E_jjS1G_bEUljE0_EEESZ_S10_S11_S18_S1C_S1E_T6_T7_T9_mT8_S1G_bDpT10_ENKUlT_T0_E_clISt17integral_constantIbLb0EES1U_EEDaS1P_S1Q_EUlS1P_E_NS1_11comp_targetILNS1_3genE8ELNS1_11target_archE1030ELNS1_3gpuE2ELNS1_3repE0EEENS1_30default_config_static_selectorELNS0_4arch9wavefront6targetE0EEEvS12_,comdat
.Lfunc_end543:
	.size	_ZN7rocprim17ROCPRIM_400000_NS6detail17trampoline_kernelINS0_13select_configILj256ELj13ELNS0_17block_load_methodE3ELS4_3ELS4_3ELNS0_20block_scan_algorithmE0ELj4294967295EEENS1_25partition_config_selectorILNS1_17partition_subalgoE4EjNS0_10empty_typeEbEEZZNS1_14partition_implILS8_4ELb0ES6_15HIP_vector_typeIjLj2EENS0_17counting_iteratorIjlEEPS9_SG_NS0_5tupleIJPjSI_NS0_16reverse_iteratorISI_EEEEENSH_IJSG_SG_SG_EEES9_SI_JZNS1_25segmented_radix_sort_implINS0_14default_configELb0EPKiPiPKlPlN2at6native12_GLOBAL__N_18offset_tEEE10hipError_tPvRmT1_PNSt15iterator_traitsIS12_E10value_typeET2_T3_PNS13_IS18_E10value_typeET4_jRbjT5_S1E_jjP12ihipStream_tbEUljE_ZNSN_ISO_Lb0ESQ_SR_ST_SU_SY_EESZ_S10_S11_S12_S16_S17_S18_S1B_S1C_jS1D_jS1E_S1E_jjS1G_bEUljE0_EEESZ_S10_S11_S18_S1C_S1E_T6_T7_T9_mT8_S1G_bDpT10_ENKUlT_T0_E_clISt17integral_constantIbLb0EES1U_EEDaS1P_S1Q_EUlS1P_E_NS1_11comp_targetILNS1_3genE8ELNS1_11target_archE1030ELNS1_3gpuE2ELNS1_3repE0EEENS1_30default_config_static_selectorELNS0_4arch9wavefront6targetE0EEEvS12_, .Lfunc_end543-_ZN7rocprim17ROCPRIM_400000_NS6detail17trampoline_kernelINS0_13select_configILj256ELj13ELNS0_17block_load_methodE3ELS4_3ELS4_3ELNS0_20block_scan_algorithmE0ELj4294967295EEENS1_25partition_config_selectorILNS1_17partition_subalgoE4EjNS0_10empty_typeEbEEZZNS1_14partition_implILS8_4ELb0ES6_15HIP_vector_typeIjLj2EENS0_17counting_iteratorIjlEEPS9_SG_NS0_5tupleIJPjSI_NS0_16reverse_iteratorISI_EEEEENSH_IJSG_SG_SG_EEES9_SI_JZNS1_25segmented_radix_sort_implINS0_14default_configELb0EPKiPiPKlPlN2at6native12_GLOBAL__N_18offset_tEEE10hipError_tPvRmT1_PNSt15iterator_traitsIS12_E10value_typeET2_T3_PNS13_IS18_E10value_typeET4_jRbjT5_S1E_jjP12ihipStream_tbEUljE_ZNSN_ISO_Lb0ESQ_SR_ST_SU_SY_EESZ_S10_S11_S12_S16_S17_S18_S1B_S1C_jS1D_jS1E_S1E_jjS1G_bEUljE0_EEESZ_S10_S11_S18_S1C_S1E_T6_T7_T9_mT8_S1G_bDpT10_ENKUlT_T0_E_clISt17integral_constantIbLb0EES1U_EEDaS1P_S1Q_EUlS1P_E_NS1_11comp_targetILNS1_3genE8ELNS1_11target_archE1030ELNS1_3gpuE2ELNS1_3repE0EEENS1_30default_config_static_selectorELNS0_4arch9wavefront6targetE0EEEvS12_
                                        ; -- End function
	.set _ZN7rocprim17ROCPRIM_400000_NS6detail17trampoline_kernelINS0_13select_configILj256ELj13ELNS0_17block_load_methodE3ELS4_3ELS4_3ELNS0_20block_scan_algorithmE0ELj4294967295EEENS1_25partition_config_selectorILNS1_17partition_subalgoE4EjNS0_10empty_typeEbEEZZNS1_14partition_implILS8_4ELb0ES6_15HIP_vector_typeIjLj2EENS0_17counting_iteratorIjlEEPS9_SG_NS0_5tupleIJPjSI_NS0_16reverse_iteratorISI_EEEEENSH_IJSG_SG_SG_EEES9_SI_JZNS1_25segmented_radix_sort_implINS0_14default_configELb0EPKiPiPKlPlN2at6native12_GLOBAL__N_18offset_tEEE10hipError_tPvRmT1_PNSt15iterator_traitsIS12_E10value_typeET2_T3_PNS13_IS18_E10value_typeET4_jRbjT5_S1E_jjP12ihipStream_tbEUljE_ZNSN_ISO_Lb0ESQ_SR_ST_SU_SY_EESZ_S10_S11_S12_S16_S17_S18_S1B_S1C_jS1D_jS1E_S1E_jjS1G_bEUljE0_EEESZ_S10_S11_S18_S1C_S1E_T6_T7_T9_mT8_S1G_bDpT10_ENKUlT_T0_E_clISt17integral_constantIbLb0EES1U_EEDaS1P_S1Q_EUlS1P_E_NS1_11comp_targetILNS1_3genE8ELNS1_11target_archE1030ELNS1_3gpuE2ELNS1_3repE0EEENS1_30default_config_static_selectorELNS0_4arch9wavefront6targetE0EEEvS12_.num_vgpr, 0
	.set _ZN7rocprim17ROCPRIM_400000_NS6detail17trampoline_kernelINS0_13select_configILj256ELj13ELNS0_17block_load_methodE3ELS4_3ELS4_3ELNS0_20block_scan_algorithmE0ELj4294967295EEENS1_25partition_config_selectorILNS1_17partition_subalgoE4EjNS0_10empty_typeEbEEZZNS1_14partition_implILS8_4ELb0ES6_15HIP_vector_typeIjLj2EENS0_17counting_iteratorIjlEEPS9_SG_NS0_5tupleIJPjSI_NS0_16reverse_iteratorISI_EEEEENSH_IJSG_SG_SG_EEES9_SI_JZNS1_25segmented_radix_sort_implINS0_14default_configELb0EPKiPiPKlPlN2at6native12_GLOBAL__N_18offset_tEEE10hipError_tPvRmT1_PNSt15iterator_traitsIS12_E10value_typeET2_T3_PNS13_IS18_E10value_typeET4_jRbjT5_S1E_jjP12ihipStream_tbEUljE_ZNSN_ISO_Lb0ESQ_SR_ST_SU_SY_EESZ_S10_S11_S12_S16_S17_S18_S1B_S1C_jS1D_jS1E_S1E_jjS1G_bEUljE0_EEESZ_S10_S11_S18_S1C_S1E_T6_T7_T9_mT8_S1G_bDpT10_ENKUlT_T0_E_clISt17integral_constantIbLb0EES1U_EEDaS1P_S1Q_EUlS1P_E_NS1_11comp_targetILNS1_3genE8ELNS1_11target_archE1030ELNS1_3gpuE2ELNS1_3repE0EEENS1_30default_config_static_selectorELNS0_4arch9wavefront6targetE0EEEvS12_.num_agpr, 0
	.set _ZN7rocprim17ROCPRIM_400000_NS6detail17trampoline_kernelINS0_13select_configILj256ELj13ELNS0_17block_load_methodE3ELS4_3ELS4_3ELNS0_20block_scan_algorithmE0ELj4294967295EEENS1_25partition_config_selectorILNS1_17partition_subalgoE4EjNS0_10empty_typeEbEEZZNS1_14partition_implILS8_4ELb0ES6_15HIP_vector_typeIjLj2EENS0_17counting_iteratorIjlEEPS9_SG_NS0_5tupleIJPjSI_NS0_16reverse_iteratorISI_EEEEENSH_IJSG_SG_SG_EEES9_SI_JZNS1_25segmented_radix_sort_implINS0_14default_configELb0EPKiPiPKlPlN2at6native12_GLOBAL__N_18offset_tEEE10hipError_tPvRmT1_PNSt15iterator_traitsIS12_E10value_typeET2_T3_PNS13_IS18_E10value_typeET4_jRbjT5_S1E_jjP12ihipStream_tbEUljE_ZNSN_ISO_Lb0ESQ_SR_ST_SU_SY_EESZ_S10_S11_S12_S16_S17_S18_S1B_S1C_jS1D_jS1E_S1E_jjS1G_bEUljE0_EEESZ_S10_S11_S18_S1C_S1E_T6_T7_T9_mT8_S1G_bDpT10_ENKUlT_T0_E_clISt17integral_constantIbLb0EES1U_EEDaS1P_S1Q_EUlS1P_E_NS1_11comp_targetILNS1_3genE8ELNS1_11target_archE1030ELNS1_3gpuE2ELNS1_3repE0EEENS1_30default_config_static_selectorELNS0_4arch9wavefront6targetE0EEEvS12_.numbered_sgpr, 0
	.set _ZN7rocprim17ROCPRIM_400000_NS6detail17trampoline_kernelINS0_13select_configILj256ELj13ELNS0_17block_load_methodE3ELS4_3ELS4_3ELNS0_20block_scan_algorithmE0ELj4294967295EEENS1_25partition_config_selectorILNS1_17partition_subalgoE4EjNS0_10empty_typeEbEEZZNS1_14partition_implILS8_4ELb0ES6_15HIP_vector_typeIjLj2EENS0_17counting_iteratorIjlEEPS9_SG_NS0_5tupleIJPjSI_NS0_16reverse_iteratorISI_EEEEENSH_IJSG_SG_SG_EEES9_SI_JZNS1_25segmented_radix_sort_implINS0_14default_configELb0EPKiPiPKlPlN2at6native12_GLOBAL__N_18offset_tEEE10hipError_tPvRmT1_PNSt15iterator_traitsIS12_E10value_typeET2_T3_PNS13_IS18_E10value_typeET4_jRbjT5_S1E_jjP12ihipStream_tbEUljE_ZNSN_ISO_Lb0ESQ_SR_ST_SU_SY_EESZ_S10_S11_S12_S16_S17_S18_S1B_S1C_jS1D_jS1E_S1E_jjS1G_bEUljE0_EEESZ_S10_S11_S18_S1C_S1E_T6_T7_T9_mT8_S1G_bDpT10_ENKUlT_T0_E_clISt17integral_constantIbLb0EES1U_EEDaS1P_S1Q_EUlS1P_E_NS1_11comp_targetILNS1_3genE8ELNS1_11target_archE1030ELNS1_3gpuE2ELNS1_3repE0EEENS1_30default_config_static_selectorELNS0_4arch9wavefront6targetE0EEEvS12_.num_named_barrier, 0
	.set _ZN7rocprim17ROCPRIM_400000_NS6detail17trampoline_kernelINS0_13select_configILj256ELj13ELNS0_17block_load_methodE3ELS4_3ELS4_3ELNS0_20block_scan_algorithmE0ELj4294967295EEENS1_25partition_config_selectorILNS1_17partition_subalgoE4EjNS0_10empty_typeEbEEZZNS1_14partition_implILS8_4ELb0ES6_15HIP_vector_typeIjLj2EENS0_17counting_iteratorIjlEEPS9_SG_NS0_5tupleIJPjSI_NS0_16reverse_iteratorISI_EEEEENSH_IJSG_SG_SG_EEES9_SI_JZNS1_25segmented_radix_sort_implINS0_14default_configELb0EPKiPiPKlPlN2at6native12_GLOBAL__N_18offset_tEEE10hipError_tPvRmT1_PNSt15iterator_traitsIS12_E10value_typeET2_T3_PNS13_IS18_E10value_typeET4_jRbjT5_S1E_jjP12ihipStream_tbEUljE_ZNSN_ISO_Lb0ESQ_SR_ST_SU_SY_EESZ_S10_S11_S12_S16_S17_S18_S1B_S1C_jS1D_jS1E_S1E_jjS1G_bEUljE0_EEESZ_S10_S11_S18_S1C_S1E_T6_T7_T9_mT8_S1G_bDpT10_ENKUlT_T0_E_clISt17integral_constantIbLb0EES1U_EEDaS1P_S1Q_EUlS1P_E_NS1_11comp_targetILNS1_3genE8ELNS1_11target_archE1030ELNS1_3gpuE2ELNS1_3repE0EEENS1_30default_config_static_selectorELNS0_4arch9wavefront6targetE0EEEvS12_.private_seg_size, 0
	.set _ZN7rocprim17ROCPRIM_400000_NS6detail17trampoline_kernelINS0_13select_configILj256ELj13ELNS0_17block_load_methodE3ELS4_3ELS4_3ELNS0_20block_scan_algorithmE0ELj4294967295EEENS1_25partition_config_selectorILNS1_17partition_subalgoE4EjNS0_10empty_typeEbEEZZNS1_14partition_implILS8_4ELb0ES6_15HIP_vector_typeIjLj2EENS0_17counting_iteratorIjlEEPS9_SG_NS0_5tupleIJPjSI_NS0_16reverse_iteratorISI_EEEEENSH_IJSG_SG_SG_EEES9_SI_JZNS1_25segmented_radix_sort_implINS0_14default_configELb0EPKiPiPKlPlN2at6native12_GLOBAL__N_18offset_tEEE10hipError_tPvRmT1_PNSt15iterator_traitsIS12_E10value_typeET2_T3_PNS13_IS18_E10value_typeET4_jRbjT5_S1E_jjP12ihipStream_tbEUljE_ZNSN_ISO_Lb0ESQ_SR_ST_SU_SY_EESZ_S10_S11_S12_S16_S17_S18_S1B_S1C_jS1D_jS1E_S1E_jjS1G_bEUljE0_EEESZ_S10_S11_S18_S1C_S1E_T6_T7_T9_mT8_S1G_bDpT10_ENKUlT_T0_E_clISt17integral_constantIbLb0EES1U_EEDaS1P_S1Q_EUlS1P_E_NS1_11comp_targetILNS1_3genE8ELNS1_11target_archE1030ELNS1_3gpuE2ELNS1_3repE0EEENS1_30default_config_static_selectorELNS0_4arch9wavefront6targetE0EEEvS12_.uses_vcc, 0
	.set _ZN7rocprim17ROCPRIM_400000_NS6detail17trampoline_kernelINS0_13select_configILj256ELj13ELNS0_17block_load_methodE3ELS4_3ELS4_3ELNS0_20block_scan_algorithmE0ELj4294967295EEENS1_25partition_config_selectorILNS1_17partition_subalgoE4EjNS0_10empty_typeEbEEZZNS1_14partition_implILS8_4ELb0ES6_15HIP_vector_typeIjLj2EENS0_17counting_iteratorIjlEEPS9_SG_NS0_5tupleIJPjSI_NS0_16reverse_iteratorISI_EEEEENSH_IJSG_SG_SG_EEES9_SI_JZNS1_25segmented_radix_sort_implINS0_14default_configELb0EPKiPiPKlPlN2at6native12_GLOBAL__N_18offset_tEEE10hipError_tPvRmT1_PNSt15iterator_traitsIS12_E10value_typeET2_T3_PNS13_IS18_E10value_typeET4_jRbjT5_S1E_jjP12ihipStream_tbEUljE_ZNSN_ISO_Lb0ESQ_SR_ST_SU_SY_EESZ_S10_S11_S12_S16_S17_S18_S1B_S1C_jS1D_jS1E_S1E_jjS1G_bEUljE0_EEESZ_S10_S11_S18_S1C_S1E_T6_T7_T9_mT8_S1G_bDpT10_ENKUlT_T0_E_clISt17integral_constantIbLb0EES1U_EEDaS1P_S1Q_EUlS1P_E_NS1_11comp_targetILNS1_3genE8ELNS1_11target_archE1030ELNS1_3gpuE2ELNS1_3repE0EEENS1_30default_config_static_selectorELNS0_4arch9wavefront6targetE0EEEvS12_.uses_flat_scratch, 0
	.set _ZN7rocprim17ROCPRIM_400000_NS6detail17trampoline_kernelINS0_13select_configILj256ELj13ELNS0_17block_load_methodE3ELS4_3ELS4_3ELNS0_20block_scan_algorithmE0ELj4294967295EEENS1_25partition_config_selectorILNS1_17partition_subalgoE4EjNS0_10empty_typeEbEEZZNS1_14partition_implILS8_4ELb0ES6_15HIP_vector_typeIjLj2EENS0_17counting_iteratorIjlEEPS9_SG_NS0_5tupleIJPjSI_NS0_16reverse_iteratorISI_EEEEENSH_IJSG_SG_SG_EEES9_SI_JZNS1_25segmented_radix_sort_implINS0_14default_configELb0EPKiPiPKlPlN2at6native12_GLOBAL__N_18offset_tEEE10hipError_tPvRmT1_PNSt15iterator_traitsIS12_E10value_typeET2_T3_PNS13_IS18_E10value_typeET4_jRbjT5_S1E_jjP12ihipStream_tbEUljE_ZNSN_ISO_Lb0ESQ_SR_ST_SU_SY_EESZ_S10_S11_S12_S16_S17_S18_S1B_S1C_jS1D_jS1E_S1E_jjS1G_bEUljE0_EEESZ_S10_S11_S18_S1C_S1E_T6_T7_T9_mT8_S1G_bDpT10_ENKUlT_T0_E_clISt17integral_constantIbLb0EES1U_EEDaS1P_S1Q_EUlS1P_E_NS1_11comp_targetILNS1_3genE8ELNS1_11target_archE1030ELNS1_3gpuE2ELNS1_3repE0EEENS1_30default_config_static_selectorELNS0_4arch9wavefront6targetE0EEEvS12_.has_dyn_sized_stack, 0
	.set _ZN7rocprim17ROCPRIM_400000_NS6detail17trampoline_kernelINS0_13select_configILj256ELj13ELNS0_17block_load_methodE3ELS4_3ELS4_3ELNS0_20block_scan_algorithmE0ELj4294967295EEENS1_25partition_config_selectorILNS1_17partition_subalgoE4EjNS0_10empty_typeEbEEZZNS1_14partition_implILS8_4ELb0ES6_15HIP_vector_typeIjLj2EENS0_17counting_iteratorIjlEEPS9_SG_NS0_5tupleIJPjSI_NS0_16reverse_iteratorISI_EEEEENSH_IJSG_SG_SG_EEES9_SI_JZNS1_25segmented_radix_sort_implINS0_14default_configELb0EPKiPiPKlPlN2at6native12_GLOBAL__N_18offset_tEEE10hipError_tPvRmT1_PNSt15iterator_traitsIS12_E10value_typeET2_T3_PNS13_IS18_E10value_typeET4_jRbjT5_S1E_jjP12ihipStream_tbEUljE_ZNSN_ISO_Lb0ESQ_SR_ST_SU_SY_EESZ_S10_S11_S12_S16_S17_S18_S1B_S1C_jS1D_jS1E_S1E_jjS1G_bEUljE0_EEESZ_S10_S11_S18_S1C_S1E_T6_T7_T9_mT8_S1G_bDpT10_ENKUlT_T0_E_clISt17integral_constantIbLb0EES1U_EEDaS1P_S1Q_EUlS1P_E_NS1_11comp_targetILNS1_3genE8ELNS1_11target_archE1030ELNS1_3gpuE2ELNS1_3repE0EEENS1_30default_config_static_selectorELNS0_4arch9wavefront6targetE0EEEvS12_.has_recursion, 0
	.set _ZN7rocprim17ROCPRIM_400000_NS6detail17trampoline_kernelINS0_13select_configILj256ELj13ELNS0_17block_load_methodE3ELS4_3ELS4_3ELNS0_20block_scan_algorithmE0ELj4294967295EEENS1_25partition_config_selectorILNS1_17partition_subalgoE4EjNS0_10empty_typeEbEEZZNS1_14partition_implILS8_4ELb0ES6_15HIP_vector_typeIjLj2EENS0_17counting_iteratorIjlEEPS9_SG_NS0_5tupleIJPjSI_NS0_16reverse_iteratorISI_EEEEENSH_IJSG_SG_SG_EEES9_SI_JZNS1_25segmented_radix_sort_implINS0_14default_configELb0EPKiPiPKlPlN2at6native12_GLOBAL__N_18offset_tEEE10hipError_tPvRmT1_PNSt15iterator_traitsIS12_E10value_typeET2_T3_PNS13_IS18_E10value_typeET4_jRbjT5_S1E_jjP12ihipStream_tbEUljE_ZNSN_ISO_Lb0ESQ_SR_ST_SU_SY_EESZ_S10_S11_S12_S16_S17_S18_S1B_S1C_jS1D_jS1E_S1E_jjS1G_bEUljE0_EEESZ_S10_S11_S18_S1C_S1E_T6_T7_T9_mT8_S1G_bDpT10_ENKUlT_T0_E_clISt17integral_constantIbLb0EES1U_EEDaS1P_S1Q_EUlS1P_E_NS1_11comp_targetILNS1_3genE8ELNS1_11target_archE1030ELNS1_3gpuE2ELNS1_3repE0EEENS1_30default_config_static_selectorELNS0_4arch9wavefront6targetE0EEEvS12_.has_indirect_call, 0
	.section	.AMDGPU.csdata,"",@progbits
; Kernel info:
; codeLenInByte = 0
; TotalNumSgprs: 0
; NumVgprs: 0
; ScratchSize: 0
; MemoryBound: 0
; FloatMode: 240
; IeeeMode: 1
; LDSByteSize: 0 bytes/workgroup (compile time only)
; SGPRBlocks: 0
; VGPRBlocks: 0
; NumSGPRsForWavesPerEU: 1
; NumVGPRsForWavesPerEU: 1
; Occupancy: 16
; WaveLimiterHint : 0
; COMPUTE_PGM_RSRC2:SCRATCH_EN: 0
; COMPUTE_PGM_RSRC2:USER_SGPR: 2
; COMPUTE_PGM_RSRC2:TRAP_HANDLER: 0
; COMPUTE_PGM_RSRC2:TGID_X_EN: 1
; COMPUTE_PGM_RSRC2:TGID_Y_EN: 0
; COMPUTE_PGM_RSRC2:TGID_Z_EN: 0
; COMPUTE_PGM_RSRC2:TIDIG_COMP_CNT: 0
	.section	.text._ZN7rocprim17ROCPRIM_400000_NS6detail17trampoline_kernelINS0_13select_configILj256ELj13ELNS0_17block_load_methodE3ELS4_3ELS4_3ELNS0_20block_scan_algorithmE0ELj4294967295EEENS1_25partition_config_selectorILNS1_17partition_subalgoE4EjNS0_10empty_typeEbEEZZNS1_14partition_implILS8_4ELb0ES6_15HIP_vector_typeIjLj2EENS0_17counting_iteratorIjlEEPS9_SG_NS0_5tupleIJPjSI_NS0_16reverse_iteratorISI_EEEEENSH_IJSG_SG_SG_EEES9_SI_JZNS1_25segmented_radix_sort_implINS0_14default_configELb0EPKiPiPKlPlN2at6native12_GLOBAL__N_18offset_tEEE10hipError_tPvRmT1_PNSt15iterator_traitsIS12_E10value_typeET2_T3_PNS13_IS18_E10value_typeET4_jRbjT5_S1E_jjP12ihipStream_tbEUljE_ZNSN_ISO_Lb0ESQ_SR_ST_SU_SY_EESZ_S10_S11_S12_S16_S17_S18_S1B_S1C_jS1D_jS1E_S1E_jjS1G_bEUljE0_EEESZ_S10_S11_S18_S1C_S1E_T6_T7_T9_mT8_S1G_bDpT10_ENKUlT_T0_E_clISt17integral_constantIbLb1EES1U_EEDaS1P_S1Q_EUlS1P_E_NS1_11comp_targetILNS1_3genE0ELNS1_11target_archE4294967295ELNS1_3gpuE0ELNS1_3repE0EEENS1_30default_config_static_selectorELNS0_4arch9wavefront6targetE0EEEvS12_,"axG",@progbits,_ZN7rocprim17ROCPRIM_400000_NS6detail17trampoline_kernelINS0_13select_configILj256ELj13ELNS0_17block_load_methodE3ELS4_3ELS4_3ELNS0_20block_scan_algorithmE0ELj4294967295EEENS1_25partition_config_selectorILNS1_17partition_subalgoE4EjNS0_10empty_typeEbEEZZNS1_14partition_implILS8_4ELb0ES6_15HIP_vector_typeIjLj2EENS0_17counting_iteratorIjlEEPS9_SG_NS0_5tupleIJPjSI_NS0_16reverse_iteratorISI_EEEEENSH_IJSG_SG_SG_EEES9_SI_JZNS1_25segmented_radix_sort_implINS0_14default_configELb0EPKiPiPKlPlN2at6native12_GLOBAL__N_18offset_tEEE10hipError_tPvRmT1_PNSt15iterator_traitsIS12_E10value_typeET2_T3_PNS13_IS18_E10value_typeET4_jRbjT5_S1E_jjP12ihipStream_tbEUljE_ZNSN_ISO_Lb0ESQ_SR_ST_SU_SY_EESZ_S10_S11_S12_S16_S17_S18_S1B_S1C_jS1D_jS1E_S1E_jjS1G_bEUljE0_EEESZ_S10_S11_S18_S1C_S1E_T6_T7_T9_mT8_S1G_bDpT10_ENKUlT_T0_E_clISt17integral_constantIbLb1EES1U_EEDaS1P_S1Q_EUlS1P_E_NS1_11comp_targetILNS1_3genE0ELNS1_11target_archE4294967295ELNS1_3gpuE0ELNS1_3repE0EEENS1_30default_config_static_selectorELNS0_4arch9wavefront6targetE0EEEvS12_,comdat
	.globl	_ZN7rocprim17ROCPRIM_400000_NS6detail17trampoline_kernelINS0_13select_configILj256ELj13ELNS0_17block_load_methodE3ELS4_3ELS4_3ELNS0_20block_scan_algorithmE0ELj4294967295EEENS1_25partition_config_selectorILNS1_17partition_subalgoE4EjNS0_10empty_typeEbEEZZNS1_14partition_implILS8_4ELb0ES6_15HIP_vector_typeIjLj2EENS0_17counting_iteratorIjlEEPS9_SG_NS0_5tupleIJPjSI_NS0_16reverse_iteratorISI_EEEEENSH_IJSG_SG_SG_EEES9_SI_JZNS1_25segmented_radix_sort_implINS0_14default_configELb0EPKiPiPKlPlN2at6native12_GLOBAL__N_18offset_tEEE10hipError_tPvRmT1_PNSt15iterator_traitsIS12_E10value_typeET2_T3_PNS13_IS18_E10value_typeET4_jRbjT5_S1E_jjP12ihipStream_tbEUljE_ZNSN_ISO_Lb0ESQ_SR_ST_SU_SY_EESZ_S10_S11_S12_S16_S17_S18_S1B_S1C_jS1D_jS1E_S1E_jjS1G_bEUljE0_EEESZ_S10_S11_S18_S1C_S1E_T6_T7_T9_mT8_S1G_bDpT10_ENKUlT_T0_E_clISt17integral_constantIbLb1EES1U_EEDaS1P_S1Q_EUlS1P_E_NS1_11comp_targetILNS1_3genE0ELNS1_11target_archE4294967295ELNS1_3gpuE0ELNS1_3repE0EEENS1_30default_config_static_selectorELNS0_4arch9wavefront6targetE0EEEvS12_ ; -- Begin function _ZN7rocprim17ROCPRIM_400000_NS6detail17trampoline_kernelINS0_13select_configILj256ELj13ELNS0_17block_load_methodE3ELS4_3ELS4_3ELNS0_20block_scan_algorithmE0ELj4294967295EEENS1_25partition_config_selectorILNS1_17partition_subalgoE4EjNS0_10empty_typeEbEEZZNS1_14partition_implILS8_4ELb0ES6_15HIP_vector_typeIjLj2EENS0_17counting_iteratorIjlEEPS9_SG_NS0_5tupleIJPjSI_NS0_16reverse_iteratorISI_EEEEENSH_IJSG_SG_SG_EEES9_SI_JZNS1_25segmented_radix_sort_implINS0_14default_configELb0EPKiPiPKlPlN2at6native12_GLOBAL__N_18offset_tEEE10hipError_tPvRmT1_PNSt15iterator_traitsIS12_E10value_typeET2_T3_PNS13_IS18_E10value_typeET4_jRbjT5_S1E_jjP12ihipStream_tbEUljE_ZNSN_ISO_Lb0ESQ_SR_ST_SU_SY_EESZ_S10_S11_S12_S16_S17_S18_S1B_S1C_jS1D_jS1E_S1E_jjS1G_bEUljE0_EEESZ_S10_S11_S18_S1C_S1E_T6_T7_T9_mT8_S1G_bDpT10_ENKUlT_T0_E_clISt17integral_constantIbLb1EES1U_EEDaS1P_S1Q_EUlS1P_E_NS1_11comp_targetILNS1_3genE0ELNS1_11target_archE4294967295ELNS1_3gpuE0ELNS1_3repE0EEENS1_30default_config_static_selectorELNS0_4arch9wavefront6targetE0EEEvS12_
	.p2align	8
	.type	_ZN7rocprim17ROCPRIM_400000_NS6detail17trampoline_kernelINS0_13select_configILj256ELj13ELNS0_17block_load_methodE3ELS4_3ELS4_3ELNS0_20block_scan_algorithmE0ELj4294967295EEENS1_25partition_config_selectorILNS1_17partition_subalgoE4EjNS0_10empty_typeEbEEZZNS1_14partition_implILS8_4ELb0ES6_15HIP_vector_typeIjLj2EENS0_17counting_iteratorIjlEEPS9_SG_NS0_5tupleIJPjSI_NS0_16reverse_iteratorISI_EEEEENSH_IJSG_SG_SG_EEES9_SI_JZNS1_25segmented_radix_sort_implINS0_14default_configELb0EPKiPiPKlPlN2at6native12_GLOBAL__N_18offset_tEEE10hipError_tPvRmT1_PNSt15iterator_traitsIS12_E10value_typeET2_T3_PNS13_IS18_E10value_typeET4_jRbjT5_S1E_jjP12ihipStream_tbEUljE_ZNSN_ISO_Lb0ESQ_SR_ST_SU_SY_EESZ_S10_S11_S12_S16_S17_S18_S1B_S1C_jS1D_jS1E_S1E_jjS1G_bEUljE0_EEESZ_S10_S11_S18_S1C_S1E_T6_T7_T9_mT8_S1G_bDpT10_ENKUlT_T0_E_clISt17integral_constantIbLb1EES1U_EEDaS1P_S1Q_EUlS1P_E_NS1_11comp_targetILNS1_3genE0ELNS1_11target_archE4294967295ELNS1_3gpuE0ELNS1_3repE0EEENS1_30default_config_static_selectorELNS0_4arch9wavefront6targetE0EEEvS12_,@function
_ZN7rocprim17ROCPRIM_400000_NS6detail17trampoline_kernelINS0_13select_configILj256ELj13ELNS0_17block_load_methodE3ELS4_3ELS4_3ELNS0_20block_scan_algorithmE0ELj4294967295EEENS1_25partition_config_selectorILNS1_17partition_subalgoE4EjNS0_10empty_typeEbEEZZNS1_14partition_implILS8_4ELb0ES6_15HIP_vector_typeIjLj2EENS0_17counting_iteratorIjlEEPS9_SG_NS0_5tupleIJPjSI_NS0_16reverse_iteratorISI_EEEEENSH_IJSG_SG_SG_EEES9_SI_JZNS1_25segmented_radix_sort_implINS0_14default_configELb0EPKiPiPKlPlN2at6native12_GLOBAL__N_18offset_tEEE10hipError_tPvRmT1_PNSt15iterator_traitsIS12_E10value_typeET2_T3_PNS13_IS18_E10value_typeET4_jRbjT5_S1E_jjP12ihipStream_tbEUljE_ZNSN_ISO_Lb0ESQ_SR_ST_SU_SY_EESZ_S10_S11_S12_S16_S17_S18_S1B_S1C_jS1D_jS1E_S1E_jjS1G_bEUljE0_EEESZ_S10_S11_S18_S1C_S1E_T6_T7_T9_mT8_S1G_bDpT10_ENKUlT_T0_E_clISt17integral_constantIbLb1EES1U_EEDaS1P_S1Q_EUlS1P_E_NS1_11comp_targetILNS1_3genE0ELNS1_11target_archE4294967295ELNS1_3gpuE0ELNS1_3repE0EEENS1_30default_config_static_selectorELNS0_4arch9wavefront6targetE0EEEvS12_: ; @_ZN7rocprim17ROCPRIM_400000_NS6detail17trampoline_kernelINS0_13select_configILj256ELj13ELNS0_17block_load_methodE3ELS4_3ELS4_3ELNS0_20block_scan_algorithmE0ELj4294967295EEENS1_25partition_config_selectorILNS1_17partition_subalgoE4EjNS0_10empty_typeEbEEZZNS1_14partition_implILS8_4ELb0ES6_15HIP_vector_typeIjLj2EENS0_17counting_iteratorIjlEEPS9_SG_NS0_5tupleIJPjSI_NS0_16reverse_iteratorISI_EEEEENSH_IJSG_SG_SG_EEES9_SI_JZNS1_25segmented_radix_sort_implINS0_14default_configELb0EPKiPiPKlPlN2at6native12_GLOBAL__N_18offset_tEEE10hipError_tPvRmT1_PNSt15iterator_traitsIS12_E10value_typeET2_T3_PNS13_IS18_E10value_typeET4_jRbjT5_S1E_jjP12ihipStream_tbEUljE_ZNSN_ISO_Lb0ESQ_SR_ST_SU_SY_EESZ_S10_S11_S12_S16_S17_S18_S1B_S1C_jS1D_jS1E_S1E_jjS1G_bEUljE0_EEESZ_S10_S11_S18_S1C_S1E_T6_T7_T9_mT8_S1G_bDpT10_ENKUlT_T0_E_clISt17integral_constantIbLb1EES1U_EEDaS1P_S1Q_EUlS1P_E_NS1_11comp_targetILNS1_3genE0ELNS1_11target_archE4294967295ELNS1_3gpuE0ELNS1_3repE0EEENS1_30default_config_static_selectorELNS0_4arch9wavefront6targetE0EEEvS12_
; %bb.0:
	.section	.rodata,"a",@progbits
	.p2align	6, 0x0
	.amdhsa_kernel _ZN7rocprim17ROCPRIM_400000_NS6detail17trampoline_kernelINS0_13select_configILj256ELj13ELNS0_17block_load_methodE3ELS4_3ELS4_3ELNS0_20block_scan_algorithmE0ELj4294967295EEENS1_25partition_config_selectorILNS1_17partition_subalgoE4EjNS0_10empty_typeEbEEZZNS1_14partition_implILS8_4ELb0ES6_15HIP_vector_typeIjLj2EENS0_17counting_iteratorIjlEEPS9_SG_NS0_5tupleIJPjSI_NS0_16reverse_iteratorISI_EEEEENSH_IJSG_SG_SG_EEES9_SI_JZNS1_25segmented_radix_sort_implINS0_14default_configELb0EPKiPiPKlPlN2at6native12_GLOBAL__N_18offset_tEEE10hipError_tPvRmT1_PNSt15iterator_traitsIS12_E10value_typeET2_T3_PNS13_IS18_E10value_typeET4_jRbjT5_S1E_jjP12ihipStream_tbEUljE_ZNSN_ISO_Lb0ESQ_SR_ST_SU_SY_EESZ_S10_S11_S12_S16_S17_S18_S1B_S1C_jS1D_jS1E_S1E_jjS1G_bEUljE0_EEESZ_S10_S11_S18_S1C_S1E_T6_T7_T9_mT8_S1G_bDpT10_ENKUlT_T0_E_clISt17integral_constantIbLb1EES1U_EEDaS1P_S1Q_EUlS1P_E_NS1_11comp_targetILNS1_3genE0ELNS1_11target_archE4294967295ELNS1_3gpuE0ELNS1_3repE0EEENS1_30default_config_static_selectorELNS0_4arch9wavefront6targetE0EEEvS12_
		.amdhsa_group_segment_fixed_size 0
		.amdhsa_private_segment_fixed_size 0
		.amdhsa_kernarg_size 184
		.amdhsa_user_sgpr_count 2
		.amdhsa_user_sgpr_dispatch_ptr 0
		.amdhsa_user_sgpr_queue_ptr 0
		.amdhsa_user_sgpr_kernarg_segment_ptr 1
		.amdhsa_user_sgpr_dispatch_id 0
		.amdhsa_user_sgpr_private_segment_size 0
		.amdhsa_wavefront_size32 1
		.amdhsa_uses_dynamic_stack 0
		.amdhsa_enable_private_segment 0
		.amdhsa_system_sgpr_workgroup_id_x 1
		.amdhsa_system_sgpr_workgroup_id_y 0
		.amdhsa_system_sgpr_workgroup_id_z 0
		.amdhsa_system_sgpr_workgroup_info 0
		.amdhsa_system_vgpr_workitem_id 0
		.amdhsa_next_free_vgpr 1
		.amdhsa_next_free_sgpr 1
		.amdhsa_reserve_vcc 0
		.amdhsa_float_round_mode_32 0
		.amdhsa_float_round_mode_16_64 0
		.amdhsa_float_denorm_mode_32 3
		.amdhsa_float_denorm_mode_16_64 3
		.amdhsa_fp16_overflow 0
		.amdhsa_workgroup_processor_mode 1
		.amdhsa_memory_ordered 1
		.amdhsa_forward_progress 1
		.amdhsa_inst_pref_size 0
		.amdhsa_round_robin_scheduling 0
		.amdhsa_exception_fp_ieee_invalid_op 0
		.amdhsa_exception_fp_denorm_src 0
		.amdhsa_exception_fp_ieee_div_zero 0
		.amdhsa_exception_fp_ieee_overflow 0
		.amdhsa_exception_fp_ieee_underflow 0
		.amdhsa_exception_fp_ieee_inexact 0
		.amdhsa_exception_int_div_zero 0
	.end_amdhsa_kernel
	.section	.text._ZN7rocprim17ROCPRIM_400000_NS6detail17trampoline_kernelINS0_13select_configILj256ELj13ELNS0_17block_load_methodE3ELS4_3ELS4_3ELNS0_20block_scan_algorithmE0ELj4294967295EEENS1_25partition_config_selectorILNS1_17partition_subalgoE4EjNS0_10empty_typeEbEEZZNS1_14partition_implILS8_4ELb0ES6_15HIP_vector_typeIjLj2EENS0_17counting_iteratorIjlEEPS9_SG_NS0_5tupleIJPjSI_NS0_16reverse_iteratorISI_EEEEENSH_IJSG_SG_SG_EEES9_SI_JZNS1_25segmented_radix_sort_implINS0_14default_configELb0EPKiPiPKlPlN2at6native12_GLOBAL__N_18offset_tEEE10hipError_tPvRmT1_PNSt15iterator_traitsIS12_E10value_typeET2_T3_PNS13_IS18_E10value_typeET4_jRbjT5_S1E_jjP12ihipStream_tbEUljE_ZNSN_ISO_Lb0ESQ_SR_ST_SU_SY_EESZ_S10_S11_S12_S16_S17_S18_S1B_S1C_jS1D_jS1E_S1E_jjS1G_bEUljE0_EEESZ_S10_S11_S18_S1C_S1E_T6_T7_T9_mT8_S1G_bDpT10_ENKUlT_T0_E_clISt17integral_constantIbLb1EES1U_EEDaS1P_S1Q_EUlS1P_E_NS1_11comp_targetILNS1_3genE0ELNS1_11target_archE4294967295ELNS1_3gpuE0ELNS1_3repE0EEENS1_30default_config_static_selectorELNS0_4arch9wavefront6targetE0EEEvS12_,"axG",@progbits,_ZN7rocprim17ROCPRIM_400000_NS6detail17trampoline_kernelINS0_13select_configILj256ELj13ELNS0_17block_load_methodE3ELS4_3ELS4_3ELNS0_20block_scan_algorithmE0ELj4294967295EEENS1_25partition_config_selectorILNS1_17partition_subalgoE4EjNS0_10empty_typeEbEEZZNS1_14partition_implILS8_4ELb0ES6_15HIP_vector_typeIjLj2EENS0_17counting_iteratorIjlEEPS9_SG_NS0_5tupleIJPjSI_NS0_16reverse_iteratorISI_EEEEENSH_IJSG_SG_SG_EEES9_SI_JZNS1_25segmented_radix_sort_implINS0_14default_configELb0EPKiPiPKlPlN2at6native12_GLOBAL__N_18offset_tEEE10hipError_tPvRmT1_PNSt15iterator_traitsIS12_E10value_typeET2_T3_PNS13_IS18_E10value_typeET4_jRbjT5_S1E_jjP12ihipStream_tbEUljE_ZNSN_ISO_Lb0ESQ_SR_ST_SU_SY_EESZ_S10_S11_S12_S16_S17_S18_S1B_S1C_jS1D_jS1E_S1E_jjS1G_bEUljE0_EEESZ_S10_S11_S18_S1C_S1E_T6_T7_T9_mT8_S1G_bDpT10_ENKUlT_T0_E_clISt17integral_constantIbLb1EES1U_EEDaS1P_S1Q_EUlS1P_E_NS1_11comp_targetILNS1_3genE0ELNS1_11target_archE4294967295ELNS1_3gpuE0ELNS1_3repE0EEENS1_30default_config_static_selectorELNS0_4arch9wavefront6targetE0EEEvS12_,comdat
.Lfunc_end544:
	.size	_ZN7rocprim17ROCPRIM_400000_NS6detail17trampoline_kernelINS0_13select_configILj256ELj13ELNS0_17block_load_methodE3ELS4_3ELS4_3ELNS0_20block_scan_algorithmE0ELj4294967295EEENS1_25partition_config_selectorILNS1_17partition_subalgoE4EjNS0_10empty_typeEbEEZZNS1_14partition_implILS8_4ELb0ES6_15HIP_vector_typeIjLj2EENS0_17counting_iteratorIjlEEPS9_SG_NS0_5tupleIJPjSI_NS0_16reverse_iteratorISI_EEEEENSH_IJSG_SG_SG_EEES9_SI_JZNS1_25segmented_radix_sort_implINS0_14default_configELb0EPKiPiPKlPlN2at6native12_GLOBAL__N_18offset_tEEE10hipError_tPvRmT1_PNSt15iterator_traitsIS12_E10value_typeET2_T3_PNS13_IS18_E10value_typeET4_jRbjT5_S1E_jjP12ihipStream_tbEUljE_ZNSN_ISO_Lb0ESQ_SR_ST_SU_SY_EESZ_S10_S11_S12_S16_S17_S18_S1B_S1C_jS1D_jS1E_S1E_jjS1G_bEUljE0_EEESZ_S10_S11_S18_S1C_S1E_T6_T7_T9_mT8_S1G_bDpT10_ENKUlT_T0_E_clISt17integral_constantIbLb1EES1U_EEDaS1P_S1Q_EUlS1P_E_NS1_11comp_targetILNS1_3genE0ELNS1_11target_archE4294967295ELNS1_3gpuE0ELNS1_3repE0EEENS1_30default_config_static_selectorELNS0_4arch9wavefront6targetE0EEEvS12_, .Lfunc_end544-_ZN7rocprim17ROCPRIM_400000_NS6detail17trampoline_kernelINS0_13select_configILj256ELj13ELNS0_17block_load_methodE3ELS4_3ELS4_3ELNS0_20block_scan_algorithmE0ELj4294967295EEENS1_25partition_config_selectorILNS1_17partition_subalgoE4EjNS0_10empty_typeEbEEZZNS1_14partition_implILS8_4ELb0ES6_15HIP_vector_typeIjLj2EENS0_17counting_iteratorIjlEEPS9_SG_NS0_5tupleIJPjSI_NS0_16reverse_iteratorISI_EEEEENSH_IJSG_SG_SG_EEES9_SI_JZNS1_25segmented_radix_sort_implINS0_14default_configELb0EPKiPiPKlPlN2at6native12_GLOBAL__N_18offset_tEEE10hipError_tPvRmT1_PNSt15iterator_traitsIS12_E10value_typeET2_T3_PNS13_IS18_E10value_typeET4_jRbjT5_S1E_jjP12ihipStream_tbEUljE_ZNSN_ISO_Lb0ESQ_SR_ST_SU_SY_EESZ_S10_S11_S12_S16_S17_S18_S1B_S1C_jS1D_jS1E_S1E_jjS1G_bEUljE0_EEESZ_S10_S11_S18_S1C_S1E_T6_T7_T9_mT8_S1G_bDpT10_ENKUlT_T0_E_clISt17integral_constantIbLb1EES1U_EEDaS1P_S1Q_EUlS1P_E_NS1_11comp_targetILNS1_3genE0ELNS1_11target_archE4294967295ELNS1_3gpuE0ELNS1_3repE0EEENS1_30default_config_static_selectorELNS0_4arch9wavefront6targetE0EEEvS12_
                                        ; -- End function
	.set _ZN7rocprim17ROCPRIM_400000_NS6detail17trampoline_kernelINS0_13select_configILj256ELj13ELNS0_17block_load_methodE3ELS4_3ELS4_3ELNS0_20block_scan_algorithmE0ELj4294967295EEENS1_25partition_config_selectorILNS1_17partition_subalgoE4EjNS0_10empty_typeEbEEZZNS1_14partition_implILS8_4ELb0ES6_15HIP_vector_typeIjLj2EENS0_17counting_iteratorIjlEEPS9_SG_NS0_5tupleIJPjSI_NS0_16reverse_iteratorISI_EEEEENSH_IJSG_SG_SG_EEES9_SI_JZNS1_25segmented_radix_sort_implINS0_14default_configELb0EPKiPiPKlPlN2at6native12_GLOBAL__N_18offset_tEEE10hipError_tPvRmT1_PNSt15iterator_traitsIS12_E10value_typeET2_T3_PNS13_IS18_E10value_typeET4_jRbjT5_S1E_jjP12ihipStream_tbEUljE_ZNSN_ISO_Lb0ESQ_SR_ST_SU_SY_EESZ_S10_S11_S12_S16_S17_S18_S1B_S1C_jS1D_jS1E_S1E_jjS1G_bEUljE0_EEESZ_S10_S11_S18_S1C_S1E_T6_T7_T9_mT8_S1G_bDpT10_ENKUlT_T0_E_clISt17integral_constantIbLb1EES1U_EEDaS1P_S1Q_EUlS1P_E_NS1_11comp_targetILNS1_3genE0ELNS1_11target_archE4294967295ELNS1_3gpuE0ELNS1_3repE0EEENS1_30default_config_static_selectorELNS0_4arch9wavefront6targetE0EEEvS12_.num_vgpr, 0
	.set _ZN7rocprim17ROCPRIM_400000_NS6detail17trampoline_kernelINS0_13select_configILj256ELj13ELNS0_17block_load_methodE3ELS4_3ELS4_3ELNS0_20block_scan_algorithmE0ELj4294967295EEENS1_25partition_config_selectorILNS1_17partition_subalgoE4EjNS0_10empty_typeEbEEZZNS1_14partition_implILS8_4ELb0ES6_15HIP_vector_typeIjLj2EENS0_17counting_iteratorIjlEEPS9_SG_NS0_5tupleIJPjSI_NS0_16reverse_iteratorISI_EEEEENSH_IJSG_SG_SG_EEES9_SI_JZNS1_25segmented_radix_sort_implINS0_14default_configELb0EPKiPiPKlPlN2at6native12_GLOBAL__N_18offset_tEEE10hipError_tPvRmT1_PNSt15iterator_traitsIS12_E10value_typeET2_T3_PNS13_IS18_E10value_typeET4_jRbjT5_S1E_jjP12ihipStream_tbEUljE_ZNSN_ISO_Lb0ESQ_SR_ST_SU_SY_EESZ_S10_S11_S12_S16_S17_S18_S1B_S1C_jS1D_jS1E_S1E_jjS1G_bEUljE0_EEESZ_S10_S11_S18_S1C_S1E_T6_T7_T9_mT8_S1G_bDpT10_ENKUlT_T0_E_clISt17integral_constantIbLb1EES1U_EEDaS1P_S1Q_EUlS1P_E_NS1_11comp_targetILNS1_3genE0ELNS1_11target_archE4294967295ELNS1_3gpuE0ELNS1_3repE0EEENS1_30default_config_static_selectorELNS0_4arch9wavefront6targetE0EEEvS12_.num_agpr, 0
	.set _ZN7rocprim17ROCPRIM_400000_NS6detail17trampoline_kernelINS0_13select_configILj256ELj13ELNS0_17block_load_methodE3ELS4_3ELS4_3ELNS0_20block_scan_algorithmE0ELj4294967295EEENS1_25partition_config_selectorILNS1_17partition_subalgoE4EjNS0_10empty_typeEbEEZZNS1_14partition_implILS8_4ELb0ES6_15HIP_vector_typeIjLj2EENS0_17counting_iteratorIjlEEPS9_SG_NS0_5tupleIJPjSI_NS0_16reverse_iteratorISI_EEEEENSH_IJSG_SG_SG_EEES9_SI_JZNS1_25segmented_radix_sort_implINS0_14default_configELb0EPKiPiPKlPlN2at6native12_GLOBAL__N_18offset_tEEE10hipError_tPvRmT1_PNSt15iterator_traitsIS12_E10value_typeET2_T3_PNS13_IS18_E10value_typeET4_jRbjT5_S1E_jjP12ihipStream_tbEUljE_ZNSN_ISO_Lb0ESQ_SR_ST_SU_SY_EESZ_S10_S11_S12_S16_S17_S18_S1B_S1C_jS1D_jS1E_S1E_jjS1G_bEUljE0_EEESZ_S10_S11_S18_S1C_S1E_T6_T7_T9_mT8_S1G_bDpT10_ENKUlT_T0_E_clISt17integral_constantIbLb1EES1U_EEDaS1P_S1Q_EUlS1P_E_NS1_11comp_targetILNS1_3genE0ELNS1_11target_archE4294967295ELNS1_3gpuE0ELNS1_3repE0EEENS1_30default_config_static_selectorELNS0_4arch9wavefront6targetE0EEEvS12_.numbered_sgpr, 0
	.set _ZN7rocprim17ROCPRIM_400000_NS6detail17trampoline_kernelINS0_13select_configILj256ELj13ELNS0_17block_load_methodE3ELS4_3ELS4_3ELNS0_20block_scan_algorithmE0ELj4294967295EEENS1_25partition_config_selectorILNS1_17partition_subalgoE4EjNS0_10empty_typeEbEEZZNS1_14partition_implILS8_4ELb0ES6_15HIP_vector_typeIjLj2EENS0_17counting_iteratorIjlEEPS9_SG_NS0_5tupleIJPjSI_NS0_16reverse_iteratorISI_EEEEENSH_IJSG_SG_SG_EEES9_SI_JZNS1_25segmented_radix_sort_implINS0_14default_configELb0EPKiPiPKlPlN2at6native12_GLOBAL__N_18offset_tEEE10hipError_tPvRmT1_PNSt15iterator_traitsIS12_E10value_typeET2_T3_PNS13_IS18_E10value_typeET4_jRbjT5_S1E_jjP12ihipStream_tbEUljE_ZNSN_ISO_Lb0ESQ_SR_ST_SU_SY_EESZ_S10_S11_S12_S16_S17_S18_S1B_S1C_jS1D_jS1E_S1E_jjS1G_bEUljE0_EEESZ_S10_S11_S18_S1C_S1E_T6_T7_T9_mT8_S1G_bDpT10_ENKUlT_T0_E_clISt17integral_constantIbLb1EES1U_EEDaS1P_S1Q_EUlS1P_E_NS1_11comp_targetILNS1_3genE0ELNS1_11target_archE4294967295ELNS1_3gpuE0ELNS1_3repE0EEENS1_30default_config_static_selectorELNS0_4arch9wavefront6targetE0EEEvS12_.num_named_barrier, 0
	.set _ZN7rocprim17ROCPRIM_400000_NS6detail17trampoline_kernelINS0_13select_configILj256ELj13ELNS0_17block_load_methodE3ELS4_3ELS4_3ELNS0_20block_scan_algorithmE0ELj4294967295EEENS1_25partition_config_selectorILNS1_17partition_subalgoE4EjNS0_10empty_typeEbEEZZNS1_14partition_implILS8_4ELb0ES6_15HIP_vector_typeIjLj2EENS0_17counting_iteratorIjlEEPS9_SG_NS0_5tupleIJPjSI_NS0_16reverse_iteratorISI_EEEEENSH_IJSG_SG_SG_EEES9_SI_JZNS1_25segmented_radix_sort_implINS0_14default_configELb0EPKiPiPKlPlN2at6native12_GLOBAL__N_18offset_tEEE10hipError_tPvRmT1_PNSt15iterator_traitsIS12_E10value_typeET2_T3_PNS13_IS18_E10value_typeET4_jRbjT5_S1E_jjP12ihipStream_tbEUljE_ZNSN_ISO_Lb0ESQ_SR_ST_SU_SY_EESZ_S10_S11_S12_S16_S17_S18_S1B_S1C_jS1D_jS1E_S1E_jjS1G_bEUljE0_EEESZ_S10_S11_S18_S1C_S1E_T6_T7_T9_mT8_S1G_bDpT10_ENKUlT_T0_E_clISt17integral_constantIbLb1EES1U_EEDaS1P_S1Q_EUlS1P_E_NS1_11comp_targetILNS1_3genE0ELNS1_11target_archE4294967295ELNS1_3gpuE0ELNS1_3repE0EEENS1_30default_config_static_selectorELNS0_4arch9wavefront6targetE0EEEvS12_.private_seg_size, 0
	.set _ZN7rocprim17ROCPRIM_400000_NS6detail17trampoline_kernelINS0_13select_configILj256ELj13ELNS0_17block_load_methodE3ELS4_3ELS4_3ELNS0_20block_scan_algorithmE0ELj4294967295EEENS1_25partition_config_selectorILNS1_17partition_subalgoE4EjNS0_10empty_typeEbEEZZNS1_14partition_implILS8_4ELb0ES6_15HIP_vector_typeIjLj2EENS0_17counting_iteratorIjlEEPS9_SG_NS0_5tupleIJPjSI_NS0_16reverse_iteratorISI_EEEEENSH_IJSG_SG_SG_EEES9_SI_JZNS1_25segmented_radix_sort_implINS0_14default_configELb0EPKiPiPKlPlN2at6native12_GLOBAL__N_18offset_tEEE10hipError_tPvRmT1_PNSt15iterator_traitsIS12_E10value_typeET2_T3_PNS13_IS18_E10value_typeET4_jRbjT5_S1E_jjP12ihipStream_tbEUljE_ZNSN_ISO_Lb0ESQ_SR_ST_SU_SY_EESZ_S10_S11_S12_S16_S17_S18_S1B_S1C_jS1D_jS1E_S1E_jjS1G_bEUljE0_EEESZ_S10_S11_S18_S1C_S1E_T6_T7_T9_mT8_S1G_bDpT10_ENKUlT_T0_E_clISt17integral_constantIbLb1EES1U_EEDaS1P_S1Q_EUlS1P_E_NS1_11comp_targetILNS1_3genE0ELNS1_11target_archE4294967295ELNS1_3gpuE0ELNS1_3repE0EEENS1_30default_config_static_selectorELNS0_4arch9wavefront6targetE0EEEvS12_.uses_vcc, 0
	.set _ZN7rocprim17ROCPRIM_400000_NS6detail17trampoline_kernelINS0_13select_configILj256ELj13ELNS0_17block_load_methodE3ELS4_3ELS4_3ELNS0_20block_scan_algorithmE0ELj4294967295EEENS1_25partition_config_selectorILNS1_17partition_subalgoE4EjNS0_10empty_typeEbEEZZNS1_14partition_implILS8_4ELb0ES6_15HIP_vector_typeIjLj2EENS0_17counting_iteratorIjlEEPS9_SG_NS0_5tupleIJPjSI_NS0_16reverse_iteratorISI_EEEEENSH_IJSG_SG_SG_EEES9_SI_JZNS1_25segmented_radix_sort_implINS0_14default_configELb0EPKiPiPKlPlN2at6native12_GLOBAL__N_18offset_tEEE10hipError_tPvRmT1_PNSt15iterator_traitsIS12_E10value_typeET2_T3_PNS13_IS18_E10value_typeET4_jRbjT5_S1E_jjP12ihipStream_tbEUljE_ZNSN_ISO_Lb0ESQ_SR_ST_SU_SY_EESZ_S10_S11_S12_S16_S17_S18_S1B_S1C_jS1D_jS1E_S1E_jjS1G_bEUljE0_EEESZ_S10_S11_S18_S1C_S1E_T6_T7_T9_mT8_S1G_bDpT10_ENKUlT_T0_E_clISt17integral_constantIbLb1EES1U_EEDaS1P_S1Q_EUlS1P_E_NS1_11comp_targetILNS1_3genE0ELNS1_11target_archE4294967295ELNS1_3gpuE0ELNS1_3repE0EEENS1_30default_config_static_selectorELNS0_4arch9wavefront6targetE0EEEvS12_.uses_flat_scratch, 0
	.set _ZN7rocprim17ROCPRIM_400000_NS6detail17trampoline_kernelINS0_13select_configILj256ELj13ELNS0_17block_load_methodE3ELS4_3ELS4_3ELNS0_20block_scan_algorithmE0ELj4294967295EEENS1_25partition_config_selectorILNS1_17partition_subalgoE4EjNS0_10empty_typeEbEEZZNS1_14partition_implILS8_4ELb0ES6_15HIP_vector_typeIjLj2EENS0_17counting_iteratorIjlEEPS9_SG_NS0_5tupleIJPjSI_NS0_16reverse_iteratorISI_EEEEENSH_IJSG_SG_SG_EEES9_SI_JZNS1_25segmented_radix_sort_implINS0_14default_configELb0EPKiPiPKlPlN2at6native12_GLOBAL__N_18offset_tEEE10hipError_tPvRmT1_PNSt15iterator_traitsIS12_E10value_typeET2_T3_PNS13_IS18_E10value_typeET4_jRbjT5_S1E_jjP12ihipStream_tbEUljE_ZNSN_ISO_Lb0ESQ_SR_ST_SU_SY_EESZ_S10_S11_S12_S16_S17_S18_S1B_S1C_jS1D_jS1E_S1E_jjS1G_bEUljE0_EEESZ_S10_S11_S18_S1C_S1E_T6_T7_T9_mT8_S1G_bDpT10_ENKUlT_T0_E_clISt17integral_constantIbLb1EES1U_EEDaS1P_S1Q_EUlS1P_E_NS1_11comp_targetILNS1_3genE0ELNS1_11target_archE4294967295ELNS1_3gpuE0ELNS1_3repE0EEENS1_30default_config_static_selectorELNS0_4arch9wavefront6targetE0EEEvS12_.has_dyn_sized_stack, 0
	.set _ZN7rocprim17ROCPRIM_400000_NS6detail17trampoline_kernelINS0_13select_configILj256ELj13ELNS0_17block_load_methodE3ELS4_3ELS4_3ELNS0_20block_scan_algorithmE0ELj4294967295EEENS1_25partition_config_selectorILNS1_17partition_subalgoE4EjNS0_10empty_typeEbEEZZNS1_14partition_implILS8_4ELb0ES6_15HIP_vector_typeIjLj2EENS0_17counting_iteratorIjlEEPS9_SG_NS0_5tupleIJPjSI_NS0_16reverse_iteratorISI_EEEEENSH_IJSG_SG_SG_EEES9_SI_JZNS1_25segmented_radix_sort_implINS0_14default_configELb0EPKiPiPKlPlN2at6native12_GLOBAL__N_18offset_tEEE10hipError_tPvRmT1_PNSt15iterator_traitsIS12_E10value_typeET2_T3_PNS13_IS18_E10value_typeET4_jRbjT5_S1E_jjP12ihipStream_tbEUljE_ZNSN_ISO_Lb0ESQ_SR_ST_SU_SY_EESZ_S10_S11_S12_S16_S17_S18_S1B_S1C_jS1D_jS1E_S1E_jjS1G_bEUljE0_EEESZ_S10_S11_S18_S1C_S1E_T6_T7_T9_mT8_S1G_bDpT10_ENKUlT_T0_E_clISt17integral_constantIbLb1EES1U_EEDaS1P_S1Q_EUlS1P_E_NS1_11comp_targetILNS1_3genE0ELNS1_11target_archE4294967295ELNS1_3gpuE0ELNS1_3repE0EEENS1_30default_config_static_selectorELNS0_4arch9wavefront6targetE0EEEvS12_.has_recursion, 0
	.set _ZN7rocprim17ROCPRIM_400000_NS6detail17trampoline_kernelINS0_13select_configILj256ELj13ELNS0_17block_load_methodE3ELS4_3ELS4_3ELNS0_20block_scan_algorithmE0ELj4294967295EEENS1_25partition_config_selectorILNS1_17partition_subalgoE4EjNS0_10empty_typeEbEEZZNS1_14partition_implILS8_4ELb0ES6_15HIP_vector_typeIjLj2EENS0_17counting_iteratorIjlEEPS9_SG_NS0_5tupleIJPjSI_NS0_16reverse_iteratorISI_EEEEENSH_IJSG_SG_SG_EEES9_SI_JZNS1_25segmented_radix_sort_implINS0_14default_configELb0EPKiPiPKlPlN2at6native12_GLOBAL__N_18offset_tEEE10hipError_tPvRmT1_PNSt15iterator_traitsIS12_E10value_typeET2_T3_PNS13_IS18_E10value_typeET4_jRbjT5_S1E_jjP12ihipStream_tbEUljE_ZNSN_ISO_Lb0ESQ_SR_ST_SU_SY_EESZ_S10_S11_S12_S16_S17_S18_S1B_S1C_jS1D_jS1E_S1E_jjS1G_bEUljE0_EEESZ_S10_S11_S18_S1C_S1E_T6_T7_T9_mT8_S1G_bDpT10_ENKUlT_T0_E_clISt17integral_constantIbLb1EES1U_EEDaS1P_S1Q_EUlS1P_E_NS1_11comp_targetILNS1_3genE0ELNS1_11target_archE4294967295ELNS1_3gpuE0ELNS1_3repE0EEENS1_30default_config_static_selectorELNS0_4arch9wavefront6targetE0EEEvS12_.has_indirect_call, 0
	.section	.AMDGPU.csdata,"",@progbits
; Kernel info:
; codeLenInByte = 0
; TotalNumSgprs: 0
; NumVgprs: 0
; ScratchSize: 0
; MemoryBound: 0
; FloatMode: 240
; IeeeMode: 1
; LDSByteSize: 0 bytes/workgroup (compile time only)
; SGPRBlocks: 0
; VGPRBlocks: 0
; NumSGPRsForWavesPerEU: 1
; NumVGPRsForWavesPerEU: 1
; Occupancy: 16
; WaveLimiterHint : 0
; COMPUTE_PGM_RSRC2:SCRATCH_EN: 0
; COMPUTE_PGM_RSRC2:USER_SGPR: 2
; COMPUTE_PGM_RSRC2:TRAP_HANDLER: 0
; COMPUTE_PGM_RSRC2:TGID_X_EN: 1
; COMPUTE_PGM_RSRC2:TGID_Y_EN: 0
; COMPUTE_PGM_RSRC2:TGID_Z_EN: 0
; COMPUTE_PGM_RSRC2:TIDIG_COMP_CNT: 0
	.section	.text._ZN7rocprim17ROCPRIM_400000_NS6detail17trampoline_kernelINS0_13select_configILj256ELj13ELNS0_17block_load_methodE3ELS4_3ELS4_3ELNS0_20block_scan_algorithmE0ELj4294967295EEENS1_25partition_config_selectorILNS1_17partition_subalgoE4EjNS0_10empty_typeEbEEZZNS1_14partition_implILS8_4ELb0ES6_15HIP_vector_typeIjLj2EENS0_17counting_iteratorIjlEEPS9_SG_NS0_5tupleIJPjSI_NS0_16reverse_iteratorISI_EEEEENSH_IJSG_SG_SG_EEES9_SI_JZNS1_25segmented_radix_sort_implINS0_14default_configELb0EPKiPiPKlPlN2at6native12_GLOBAL__N_18offset_tEEE10hipError_tPvRmT1_PNSt15iterator_traitsIS12_E10value_typeET2_T3_PNS13_IS18_E10value_typeET4_jRbjT5_S1E_jjP12ihipStream_tbEUljE_ZNSN_ISO_Lb0ESQ_SR_ST_SU_SY_EESZ_S10_S11_S12_S16_S17_S18_S1B_S1C_jS1D_jS1E_S1E_jjS1G_bEUljE0_EEESZ_S10_S11_S18_S1C_S1E_T6_T7_T9_mT8_S1G_bDpT10_ENKUlT_T0_E_clISt17integral_constantIbLb1EES1U_EEDaS1P_S1Q_EUlS1P_E_NS1_11comp_targetILNS1_3genE5ELNS1_11target_archE942ELNS1_3gpuE9ELNS1_3repE0EEENS1_30default_config_static_selectorELNS0_4arch9wavefront6targetE0EEEvS12_,"axG",@progbits,_ZN7rocprim17ROCPRIM_400000_NS6detail17trampoline_kernelINS0_13select_configILj256ELj13ELNS0_17block_load_methodE3ELS4_3ELS4_3ELNS0_20block_scan_algorithmE0ELj4294967295EEENS1_25partition_config_selectorILNS1_17partition_subalgoE4EjNS0_10empty_typeEbEEZZNS1_14partition_implILS8_4ELb0ES6_15HIP_vector_typeIjLj2EENS0_17counting_iteratorIjlEEPS9_SG_NS0_5tupleIJPjSI_NS0_16reverse_iteratorISI_EEEEENSH_IJSG_SG_SG_EEES9_SI_JZNS1_25segmented_radix_sort_implINS0_14default_configELb0EPKiPiPKlPlN2at6native12_GLOBAL__N_18offset_tEEE10hipError_tPvRmT1_PNSt15iterator_traitsIS12_E10value_typeET2_T3_PNS13_IS18_E10value_typeET4_jRbjT5_S1E_jjP12ihipStream_tbEUljE_ZNSN_ISO_Lb0ESQ_SR_ST_SU_SY_EESZ_S10_S11_S12_S16_S17_S18_S1B_S1C_jS1D_jS1E_S1E_jjS1G_bEUljE0_EEESZ_S10_S11_S18_S1C_S1E_T6_T7_T9_mT8_S1G_bDpT10_ENKUlT_T0_E_clISt17integral_constantIbLb1EES1U_EEDaS1P_S1Q_EUlS1P_E_NS1_11comp_targetILNS1_3genE5ELNS1_11target_archE942ELNS1_3gpuE9ELNS1_3repE0EEENS1_30default_config_static_selectorELNS0_4arch9wavefront6targetE0EEEvS12_,comdat
	.globl	_ZN7rocprim17ROCPRIM_400000_NS6detail17trampoline_kernelINS0_13select_configILj256ELj13ELNS0_17block_load_methodE3ELS4_3ELS4_3ELNS0_20block_scan_algorithmE0ELj4294967295EEENS1_25partition_config_selectorILNS1_17partition_subalgoE4EjNS0_10empty_typeEbEEZZNS1_14partition_implILS8_4ELb0ES6_15HIP_vector_typeIjLj2EENS0_17counting_iteratorIjlEEPS9_SG_NS0_5tupleIJPjSI_NS0_16reverse_iteratorISI_EEEEENSH_IJSG_SG_SG_EEES9_SI_JZNS1_25segmented_radix_sort_implINS0_14default_configELb0EPKiPiPKlPlN2at6native12_GLOBAL__N_18offset_tEEE10hipError_tPvRmT1_PNSt15iterator_traitsIS12_E10value_typeET2_T3_PNS13_IS18_E10value_typeET4_jRbjT5_S1E_jjP12ihipStream_tbEUljE_ZNSN_ISO_Lb0ESQ_SR_ST_SU_SY_EESZ_S10_S11_S12_S16_S17_S18_S1B_S1C_jS1D_jS1E_S1E_jjS1G_bEUljE0_EEESZ_S10_S11_S18_S1C_S1E_T6_T7_T9_mT8_S1G_bDpT10_ENKUlT_T0_E_clISt17integral_constantIbLb1EES1U_EEDaS1P_S1Q_EUlS1P_E_NS1_11comp_targetILNS1_3genE5ELNS1_11target_archE942ELNS1_3gpuE9ELNS1_3repE0EEENS1_30default_config_static_selectorELNS0_4arch9wavefront6targetE0EEEvS12_ ; -- Begin function _ZN7rocprim17ROCPRIM_400000_NS6detail17trampoline_kernelINS0_13select_configILj256ELj13ELNS0_17block_load_methodE3ELS4_3ELS4_3ELNS0_20block_scan_algorithmE0ELj4294967295EEENS1_25partition_config_selectorILNS1_17partition_subalgoE4EjNS0_10empty_typeEbEEZZNS1_14partition_implILS8_4ELb0ES6_15HIP_vector_typeIjLj2EENS0_17counting_iteratorIjlEEPS9_SG_NS0_5tupleIJPjSI_NS0_16reverse_iteratorISI_EEEEENSH_IJSG_SG_SG_EEES9_SI_JZNS1_25segmented_radix_sort_implINS0_14default_configELb0EPKiPiPKlPlN2at6native12_GLOBAL__N_18offset_tEEE10hipError_tPvRmT1_PNSt15iterator_traitsIS12_E10value_typeET2_T3_PNS13_IS18_E10value_typeET4_jRbjT5_S1E_jjP12ihipStream_tbEUljE_ZNSN_ISO_Lb0ESQ_SR_ST_SU_SY_EESZ_S10_S11_S12_S16_S17_S18_S1B_S1C_jS1D_jS1E_S1E_jjS1G_bEUljE0_EEESZ_S10_S11_S18_S1C_S1E_T6_T7_T9_mT8_S1G_bDpT10_ENKUlT_T0_E_clISt17integral_constantIbLb1EES1U_EEDaS1P_S1Q_EUlS1P_E_NS1_11comp_targetILNS1_3genE5ELNS1_11target_archE942ELNS1_3gpuE9ELNS1_3repE0EEENS1_30default_config_static_selectorELNS0_4arch9wavefront6targetE0EEEvS12_
	.p2align	8
	.type	_ZN7rocprim17ROCPRIM_400000_NS6detail17trampoline_kernelINS0_13select_configILj256ELj13ELNS0_17block_load_methodE3ELS4_3ELS4_3ELNS0_20block_scan_algorithmE0ELj4294967295EEENS1_25partition_config_selectorILNS1_17partition_subalgoE4EjNS0_10empty_typeEbEEZZNS1_14partition_implILS8_4ELb0ES6_15HIP_vector_typeIjLj2EENS0_17counting_iteratorIjlEEPS9_SG_NS0_5tupleIJPjSI_NS0_16reverse_iteratorISI_EEEEENSH_IJSG_SG_SG_EEES9_SI_JZNS1_25segmented_radix_sort_implINS0_14default_configELb0EPKiPiPKlPlN2at6native12_GLOBAL__N_18offset_tEEE10hipError_tPvRmT1_PNSt15iterator_traitsIS12_E10value_typeET2_T3_PNS13_IS18_E10value_typeET4_jRbjT5_S1E_jjP12ihipStream_tbEUljE_ZNSN_ISO_Lb0ESQ_SR_ST_SU_SY_EESZ_S10_S11_S12_S16_S17_S18_S1B_S1C_jS1D_jS1E_S1E_jjS1G_bEUljE0_EEESZ_S10_S11_S18_S1C_S1E_T6_T7_T9_mT8_S1G_bDpT10_ENKUlT_T0_E_clISt17integral_constantIbLb1EES1U_EEDaS1P_S1Q_EUlS1P_E_NS1_11comp_targetILNS1_3genE5ELNS1_11target_archE942ELNS1_3gpuE9ELNS1_3repE0EEENS1_30default_config_static_selectorELNS0_4arch9wavefront6targetE0EEEvS12_,@function
_ZN7rocprim17ROCPRIM_400000_NS6detail17trampoline_kernelINS0_13select_configILj256ELj13ELNS0_17block_load_methodE3ELS4_3ELS4_3ELNS0_20block_scan_algorithmE0ELj4294967295EEENS1_25partition_config_selectorILNS1_17partition_subalgoE4EjNS0_10empty_typeEbEEZZNS1_14partition_implILS8_4ELb0ES6_15HIP_vector_typeIjLj2EENS0_17counting_iteratorIjlEEPS9_SG_NS0_5tupleIJPjSI_NS0_16reverse_iteratorISI_EEEEENSH_IJSG_SG_SG_EEES9_SI_JZNS1_25segmented_radix_sort_implINS0_14default_configELb0EPKiPiPKlPlN2at6native12_GLOBAL__N_18offset_tEEE10hipError_tPvRmT1_PNSt15iterator_traitsIS12_E10value_typeET2_T3_PNS13_IS18_E10value_typeET4_jRbjT5_S1E_jjP12ihipStream_tbEUljE_ZNSN_ISO_Lb0ESQ_SR_ST_SU_SY_EESZ_S10_S11_S12_S16_S17_S18_S1B_S1C_jS1D_jS1E_S1E_jjS1G_bEUljE0_EEESZ_S10_S11_S18_S1C_S1E_T6_T7_T9_mT8_S1G_bDpT10_ENKUlT_T0_E_clISt17integral_constantIbLb1EES1U_EEDaS1P_S1Q_EUlS1P_E_NS1_11comp_targetILNS1_3genE5ELNS1_11target_archE942ELNS1_3gpuE9ELNS1_3repE0EEENS1_30default_config_static_selectorELNS0_4arch9wavefront6targetE0EEEvS12_: ; @_ZN7rocprim17ROCPRIM_400000_NS6detail17trampoline_kernelINS0_13select_configILj256ELj13ELNS0_17block_load_methodE3ELS4_3ELS4_3ELNS0_20block_scan_algorithmE0ELj4294967295EEENS1_25partition_config_selectorILNS1_17partition_subalgoE4EjNS0_10empty_typeEbEEZZNS1_14partition_implILS8_4ELb0ES6_15HIP_vector_typeIjLj2EENS0_17counting_iteratorIjlEEPS9_SG_NS0_5tupleIJPjSI_NS0_16reverse_iteratorISI_EEEEENSH_IJSG_SG_SG_EEES9_SI_JZNS1_25segmented_radix_sort_implINS0_14default_configELb0EPKiPiPKlPlN2at6native12_GLOBAL__N_18offset_tEEE10hipError_tPvRmT1_PNSt15iterator_traitsIS12_E10value_typeET2_T3_PNS13_IS18_E10value_typeET4_jRbjT5_S1E_jjP12ihipStream_tbEUljE_ZNSN_ISO_Lb0ESQ_SR_ST_SU_SY_EESZ_S10_S11_S12_S16_S17_S18_S1B_S1C_jS1D_jS1E_S1E_jjS1G_bEUljE0_EEESZ_S10_S11_S18_S1C_S1E_T6_T7_T9_mT8_S1G_bDpT10_ENKUlT_T0_E_clISt17integral_constantIbLb1EES1U_EEDaS1P_S1Q_EUlS1P_E_NS1_11comp_targetILNS1_3genE5ELNS1_11target_archE942ELNS1_3gpuE9ELNS1_3repE0EEENS1_30default_config_static_selectorELNS0_4arch9wavefront6targetE0EEEvS12_
; %bb.0:
	.section	.rodata,"a",@progbits
	.p2align	6, 0x0
	.amdhsa_kernel _ZN7rocprim17ROCPRIM_400000_NS6detail17trampoline_kernelINS0_13select_configILj256ELj13ELNS0_17block_load_methodE3ELS4_3ELS4_3ELNS0_20block_scan_algorithmE0ELj4294967295EEENS1_25partition_config_selectorILNS1_17partition_subalgoE4EjNS0_10empty_typeEbEEZZNS1_14partition_implILS8_4ELb0ES6_15HIP_vector_typeIjLj2EENS0_17counting_iteratorIjlEEPS9_SG_NS0_5tupleIJPjSI_NS0_16reverse_iteratorISI_EEEEENSH_IJSG_SG_SG_EEES9_SI_JZNS1_25segmented_radix_sort_implINS0_14default_configELb0EPKiPiPKlPlN2at6native12_GLOBAL__N_18offset_tEEE10hipError_tPvRmT1_PNSt15iterator_traitsIS12_E10value_typeET2_T3_PNS13_IS18_E10value_typeET4_jRbjT5_S1E_jjP12ihipStream_tbEUljE_ZNSN_ISO_Lb0ESQ_SR_ST_SU_SY_EESZ_S10_S11_S12_S16_S17_S18_S1B_S1C_jS1D_jS1E_S1E_jjS1G_bEUljE0_EEESZ_S10_S11_S18_S1C_S1E_T6_T7_T9_mT8_S1G_bDpT10_ENKUlT_T0_E_clISt17integral_constantIbLb1EES1U_EEDaS1P_S1Q_EUlS1P_E_NS1_11comp_targetILNS1_3genE5ELNS1_11target_archE942ELNS1_3gpuE9ELNS1_3repE0EEENS1_30default_config_static_selectorELNS0_4arch9wavefront6targetE0EEEvS12_
		.amdhsa_group_segment_fixed_size 0
		.amdhsa_private_segment_fixed_size 0
		.amdhsa_kernarg_size 184
		.amdhsa_user_sgpr_count 2
		.amdhsa_user_sgpr_dispatch_ptr 0
		.amdhsa_user_sgpr_queue_ptr 0
		.amdhsa_user_sgpr_kernarg_segment_ptr 1
		.amdhsa_user_sgpr_dispatch_id 0
		.amdhsa_user_sgpr_private_segment_size 0
		.amdhsa_wavefront_size32 1
		.amdhsa_uses_dynamic_stack 0
		.amdhsa_enable_private_segment 0
		.amdhsa_system_sgpr_workgroup_id_x 1
		.amdhsa_system_sgpr_workgroup_id_y 0
		.amdhsa_system_sgpr_workgroup_id_z 0
		.amdhsa_system_sgpr_workgroup_info 0
		.amdhsa_system_vgpr_workitem_id 0
		.amdhsa_next_free_vgpr 1
		.amdhsa_next_free_sgpr 1
		.amdhsa_reserve_vcc 0
		.amdhsa_float_round_mode_32 0
		.amdhsa_float_round_mode_16_64 0
		.amdhsa_float_denorm_mode_32 3
		.amdhsa_float_denorm_mode_16_64 3
		.amdhsa_fp16_overflow 0
		.amdhsa_workgroup_processor_mode 1
		.amdhsa_memory_ordered 1
		.amdhsa_forward_progress 1
		.amdhsa_inst_pref_size 0
		.amdhsa_round_robin_scheduling 0
		.amdhsa_exception_fp_ieee_invalid_op 0
		.amdhsa_exception_fp_denorm_src 0
		.amdhsa_exception_fp_ieee_div_zero 0
		.amdhsa_exception_fp_ieee_overflow 0
		.amdhsa_exception_fp_ieee_underflow 0
		.amdhsa_exception_fp_ieee_inexact 0
		.amdhsa_exception_int_div_zero 0
	.end_amdhsa_kernel
	.section	.text._ZN7rocprim17ROCPRIM_400000_NS6detail17trampoline_kernelINS0_13select_configILj256ELj13ELNS0_17block_load_methodE3ELS4_3ELS4_3ELNS0_20block_scan_algorithmE0ELj4294967295EEENS1_25partition_config_selectorILNS1_17partition_subalgoE4EjNS0_10empty_typeEbEEZZNS1_14partition_implILS8_4ELb0ES6_15HIP_vector_typeIjLj2EENS0_17counting_iteratorIjlEEPS9_SG_NS0_5tupleIJPjSI_NS0_16reverse_iteratorISI_EEEEENSH_IJSG_SG_SG_EEES9_SI_JZNS1_25segmented_radix_sort_implINS0_14default_configELb0EPKiPiPKlPlN2at6native12_GLOBAL__N_18offset_tEEE10hipError_tPvRmT1_PNSt15iterator_traitsIS12_E10value_typeET2_T3_PNS13_IS18_E10value_typeET4_jRbjT5_S1E_jjP12ihipStream_tbEUljE_ZNSN_ISO_Lb0ESQ_SR_ST_SU_SY_EESZ_S10_S11_S12_S16_S17_S18_S1B_S1C_jS1D_jS1E_S1E_jjS1G_bEUljE0_EEESZ_S10_S11_S18_S1C_S1E_T6_T7_T9_mT8_S1G_bDpT10_ENKUlT_T0_E_clISt17integral_constantIbLb1EES1U_EEDaS1P_S1Q_EUlS1P_E_NS1_11comp_targetILNS1_3genE5ELNS1_11target_archE942ELNS1_3gpuE9ELNS1_3repE0EEENS1_30default_config_static_selectorELNS0_4arch9wavefront6targetE0EEEvS12_,"axG",@progbits,_ZN7rocprim17ROCPRIM_400000_NS6detail17trampoline_kernelINS0_13select_configILj256ELj13ELNS0_17block_load_methodE3ELS4_3ELS4_3ELNS0_20block_scan_algorithmE0ELj4294967295EEENS1_25partition_config_selectorILNS1_17partition_subalgoE4EjNS0_10empty_typeEbEEZZNS1_14partition_implILS8_4ELb0ES6_15HIP_vector_typeIjLj2EENS0_17counting_iteratorIjlEEPS9_SG_NS0_5tupleIJPjSI_NS0_16reverse_iteratorISI_EEEEENSH_IJSG_SG_SG_EEES9_SI_JZNS1_25segmented_radix_sort_implINS0_14default_configELb0EPKiPiPKlPlN2at6native12_GLOBAL__N_18offset_tEEE10hipError_tPvRmT1_PNSt15iterator_traitsIS12_E10value_typeET2_T3_PNS13_IS18_E10value_typeET4_jRbjT5_S1E_jjP12ihipStream_tbEUljE_ZNSN_ISO_Lb0ESQ_SR_ST_SU_SY_EESZ_S10_S11_S12_S16_S17_S18_S1B_S1C_jS1D_jS1E_S1E_jjS1G_bEUljE0_EEESZ_S10_S11_S18_S1C_S1E_T6_T7_T9_mT8_S1G_bDpT10_ENKUlT_T0_E_clISt17integral_constantIbLb1EES1U_EEDaS1P_S1Q_EUlS1P_E_NS1_11comp_targetILNS1_3genE5ELNS1_11target_archE942ELNS1_3gpuE9ELNS1_3repE0EEENS1_30default_config_static_selectorELNS0_4arch9wavefront6targetE0EEEvS12_,comdat
.Lfunc_end545:
	.size	_ZN7rocprim17ROCPRIM_400000_NS6detail17trampoline_kernelINS0_13select_configILj256ELj13ELNS0_17block_load_methodE3ELS4_3ELS4_3ELNS0_20block_scan_algorithmE0ELj4294967295EEENS1_25partition_config_selectorILNS1_17partition_subalgoE4EjNS0_10empty_typeEbEEZZNS1_14partition_implILS8_4ELb0ES6_15HIP_vector_typeIjLj2EENS0_17counting_iteratorIjlEEPS9_SG_NS0_5tupleIJPjSI_NS0_16reverse_iteratorISI_EEEEENSH_IJSG_SG_SG_EEES9_SI_JZNS1_25segmented_radix_sort_implINS0_14default_configELb0EPKiPiPKlPlN2at6native12_GLOBAL__N_18offset_tEEE10hipError_tPvRmT1_PNSt15iterator_traitsIS12_E10value_typeET2_T3_PNS13_IS18_E10value_typeET4_jRbjT5_S1E_jjP12ihipStream_tbEUljE_ZNSN_ISO_Lb0ESQ_SR_ST_SU_SY_EESZ_S10_S11_S12_S16_S17_S18_S1B_S1C_jS1D_jS1E_S1E_jjS1G_bEUljE0_EEESZ_S10_S11_S18_S1C_S1E_T6_T7_T9_mT8_S1G_bDpT10_ENKUlT_T0_E_clISt17integral_constantIbLb1EES1U_EEDaS1P_S1Q_EUlS1P_E_NS1_11comp_targetILNS1_3genE5ELNS1_11target_archE942ELNS1_3gpuE9ELNS1_3repE0EEENS1_30default_config_static_selectorELNS0_4arch9wavefront6targetE0EEEvS12_, .Lfunc_end545-_ZN7rocprim17ROCPRIM_400000_NS6detail17trampoline_kernelINS0_13select_configILj256ELj13ELNS0_17block_load_methodE3ELS4_3ELS4_3ELNS0_20block_scan_algorithmE0ELj4294967295EEENS1_25partition_config_selectorILNS1_17partition_subalgoE4EjNS0_10empty_typeEbEEZZNS1_14partition_implILS8_4ELb0ES6_15HIP_vector_typeIjLj2EENS0_17counting_iteratorIjlEEPS9_SG_NS0_5tupleIJPjSI_NS0_16reverse_iteratorISI_EEEEENSH_IJSG_SG_SG_EEES9_SI_JZNS1_25segmented_radix_sort_implINS0_14default_configELb0EPKiPiPKlPlN2at6native12_GLOBAL__N_18offset_tEEE10hipError_tPvRmT1_PNSt15iterator_traitsIS12_E10value_typeET2_T3_PNS13_IS18_E10value_typeET4_jRbjT5_S1E_jjP12ihipStream_tbEUljE_ZNSN_ISO_Lb0ESQ_SR_ST_SU_SY_EESZ_S10_S11_S12_S16_S17_S18_S1B_S1C_jS1D_jS1E_S1E_jjS1G_bEUljE0_EEESZ_S10_S11_S18_S1C_S1E_T6_T7_T9_mT8_S1G_bDpT10_ENKUlT_T0_E_clISt17integral_constantIbLb1EES1U_EEDaS1P_S1Q_EUlS1P_E_NS1_11comp_targetILNS1_3genE5ELNS1_11target_archE942ELNS1_3gpuE9ELNS1_3repE0EEENS1_30default_config_static_selectorELNS0_4arch9wavefront6targetE0EEEvS12_
                                        ; -- End function
	.set _ZN7rocprim17ROCPRIM_400000_NS6detail17trampoline_kernelINS0_13select_configILj256ELj13ELNS0_17block_load_methodE3ELS4_3ELS4_3ELNS0_20block_scan_algorithmE0ELj4294967295EEENS1_25partition_config_selectorILNS1_17partition_subalgoE4EjNS0_10empty_typeEbEEZZNS1_14partition_implILS8_4ELb0ES6_15HIP_vector_typeIjLj2EENS0_17counting_iteratorIjlEEPS9_SG_NS0_5tupleIJPjSI_NS0_16reverse_iteratorISI_EEEEENSH_IJSG_SG_SG_EEES9_SI_JZNS1_25segmented_radix_sort_implINS0_14default_configELb0EPKiPiPKlPlN2at6native12_GLOBAL__N_18offset_tEEE10hipError_tPvRmT1_PNSt15iterator_traitsIS12_E10value_typeET2_T3_PNS13_IS18_E10value_typeET4_jRbjT5_S1E_jjP12ihipStream_tbEUljE_ZNSN_ISO_Lb0ESQ_SR_ST_SU_SY_EESZ_S10_S11_S12_S16_S17_S18_S1B_S1C_jS1D_jS1E_S1E_jjS1G_bEUljE0_EEESZ_S10_S11_S18_S1C_S1E_T6_T7_T9_mT8_S1G_bDpT10_ENKUlT_T0_E_clISt17integral_constantIbLb1EES1U_EEDaS1P_S1Q_EUlS1P_E_NS1_11comp_targetILNS1_3genE5ELNS1_11target_archE942ELNS1_3gpuE9ELNS1_3repE0EEENS1_30default_config_static_selectorELNS0_4arch9wavefront6targetE0EEEvS12_.num_vgpr, 0
	.set _ZN7rocprim17ROCPRIM_400000_NS6detail17trampoline_kernelINS0_13select_configILj256ELj13ELNS0_17block_load_methodE3ELS4_3ELS4_3ELNS0_20block_scan_algorithmE0ELj4294967295EEENS1_25partition_config_selectorILNS1_17partition_subalgoE4EjNS0_10empty_typeEbEEZZNS1_14partition_implILS8_4ELb0ES6_15HIP_vector_typeIjLj2EENS0_17counting_iteratorIjlEEPS9_SG_NS0_5tupleIJPjSI_NS0_16reverse_iteratorISI_EEEEENSH_IJSG_SG_SG_EEES9_SI_JZNS1_25segmented_radix_sort_implINS0_14default_configELb0EPKiPiPKlPlN2at6native12_GLOBAL__N_18offset_tEEE10hipError_tPvRmT1_PNSt15iterator_traitsIS12_E10value_typeET2_T3_PNS13_IS18_E10value_typeET4_jRbjT5_S1E_jjP12ihipStream_tbEUljE_ZNSN_ISO_Lb0ESQ_SR_ST_SU_SY_EESZ_S10_S11_S12_S16_S17_S18_S1B_S1C_jS1D_jS1E_S1E_jjS1G_bEUljE0_EEESZ_S10_S11_S18_S1C_S1E_T6_T7_T9_mT8_S1G_bDpT10_ENKUlT_T0_E_clISt17integral_constantIbLb1EES1U_EEDaS1P_S1Q_EUlS1P_E_NS1_11comp_targetILNS1_3genE5ELNS1_11target_archE942ELNS1_3gpuE9ELNS1_3repE0EEENS1_30default_config_static_selectorELNS0_4arch9wavefront6targetE0EEEvS12_.num_agpr, 0
	.set _ZN7rocprim17ROCPRIM_400000_NS6detail17trampoline_kernelINS0_13select_configILj256ELj13ELNS0_17block_load_methodE3ELS4_3ELS4_3ELNS0_20block_scan_algorithmE0ELj4294967295EEENS1_25partition_config_selectorILNS1_17partition_subalgoE4EjNS0_10empty_typeEbEEZZNS1_14partition_implILS8_4ELb0ES6_15HIP_vector_typeIjLj2EENS0_17counting_iteratorIjlEEPS9_SG_NS0_5tupleIJPjSI_NS0_16reverse_iteratorISI_EEEEENSH_IJSG_SG_SG_EEES9_SI_JZNS1_25segmented_radix_sort_implINS0_14default_configELb0EPKiPiPKlPlN2at6native12_GLOBAL__N_18offset_tEEE10hipError_tPvRmT1_PNSt15iterator_traitsIS12_E10value_typeET2_T3_PNS13_IS18_E10value_typeET4_jRbjT5_S1E_jjP12ihipStream_tbEUljE_ZNSN_ISO_Lb0ESQ_SR_ST_SU_SY_EESZ_S10_S11_S12_S16_S17_S18_S1B_S1C_jS1D_jS1E_S1E_jjS1G_bEUljE0_EEESZ_S10_S11_S18_S1C_S1E_T6_T7_T9_mT8_S1G_bDpT10_ENKUlT_T0_E_clISt17integral_constantIbLb1EES1U_EEDaS1P_S1Q_EUlS1P_E_NS1_11comp_targetILNS1_3genE5ELNS1_11target_archE942ELNS1_3gpuE9ELNS1_3repE0EEENS1_30default_config_static_selectorELNS0_4arch9wavefront6targetE0EEEvS12_.numbered_sgpr, 0
	.set _ZN7rocprim17ROCPRIM_400000_NS6detail17trampoline_kernelINS0_13select_configILj256ELj13ELNS0_17block_load_methodE3ELS4_3ELS4_3ELNS0_20block_scan_algorithmE0ELj4294967295EEENS1_25partition_config_selectorILNS1_17partition_subalgoE4EjNS0_10empty_typeEbEEZZNS1_14partition_implILS8_4ELb0ES6_15HIP_vector_typeIjLj2EENS0_17counting_iteratorIjlEEPS9_SG_NS0_5tupleIJPjSI_NS0_16reverse_iteratorISI_EEEEENSH_IJSG_SG_SG_EEES9_SI_JZNS1_25segmented_radix_sort_implINS0_14default_configELb0EPKiPiPKlPlN2at6native12_GLOBAL__N_18offset_tEEE10hipError_tPvRmT1_PNSt15iterator_traitsIS12_E10value_typeET2_T3_PNS13_IS18_E10value_typeET4_jRbjT5_S1E_jjP12ihipStream_tbEUljE_ZNSN_ISO_Lb0ESQ_SR_ST_SU_SY_EESZ_S10_S11_S12_S16_S17_S18_S1B_S1C_jS1D_jS1E_S1E_jjS1G_bEUljE0_EEESZ_S10_S11_S18_S1C_S1E_T6_T7_T9_mT8_S1G_bDpT10_ENKUlT_T0_E_clISt17integral_constantIbLb1EES1U_EEDaS1P_S1Q_EUlS1P_E_NS1_11comp_targetILNS1_3genE5ELNS1_11target_archE942ELNS1_3gpuE9ELNS1_3repE0EEENS1_30default_config_static_selectorELNS0_4arch9wavefront6targetE0EEEvS12_.num_named_barrier, 0
	.set _ZN7rocprim17ROCPRIM_400000_NS6detail17trampoline_kernelINS0_13select_configILj256ELj13ELNS0_17block_load_methodE3ELS4_3ELS4_3ELNS0_20block_scan_algorithmE0ELj4294967295EEENS1_25partition_config_selectorILNS1_17partition_subalgoE4EjNS0_10empty_typeEbEEZZNS1_14partition_implILS8_4ELb0ES6_15HIP_vector_typeIjLj2EENS0_17counting_iteratorIjlEEPS9_SG_NS0_5tupleIJPjSI_NS0_16reverse_iteratorISI_EEEEENSH_IJSG_SG_SG_EEES9_SI_JZNS1_25segmented_radix_sort_implINS0_14default_configELb0EPKiPiPKlPlN2at6native12_GLOBAL__N_18offset_tEEE10hipError_tPvRmT1_PNSt15iterator_traitsIS12_E10value_typeET2_T3_PNS13_IS18_E10value_typeET4_jRbjT5_S1E_jjP12ihipStream_tbEUljE_ZNSN_ISO_Lb0ESQ_SR_ST_SU_SY_EESZ_S10_S11_S12_S16_S17_S18_S1B_S1C_jS1D_jS1E_S1E_jjS1G_bEUljE0_EEESZ_S10_S11_S18_S1C_S1E_T6_T7_T9_mT8_S1G_bDpT10_ENKUlT_T0_E_clISt17integral_constantIbLb1EES1U_EEDaS1P_S1Q_EUlS1P_E_NS1_11comp_targetILNS1_3genE5ELNS1_11target_archE942ELNS1_3gpuE9ELNS1_3repE0EEENS1_30default_config_static_selectorELNS0_4arch9wavefront6targetE0EEEvS12_.private_seg_size, 0
	.set _ZN7rocprim17ROCPRIM_400000_NS6detail17trampoline_kernelINS0_13select_configILj256ELj13ELNS0_17block_load_methodE3ELS4_3ELS4_3ELNS0_20block_scan_algorithmE0ELj4294967295EEENS1_25partition_config_selectorILNS1_17partition_subalgoE4EjNS0_10empty_typeEbEEZZNS1_14partition_implILS8_4ELb0ES6_15HIP_vector_typeIjLj2EENS0_17counting_iteratorIjlEEPS9_SG_NS0_5tupleIJPjSI_NS0_16reverse_iteratorISI_EEEEENSH_IJSG_SG_SG_EEES9_SI_JZNS1_25segmented_radix_sort_implINS0_14default_configELb0EPKiPiPKlPlN2at6native12_GLOBAL__N_18offset_tEEE10hipError_tPvRmT1_PNSt15iterator_traitsIS12_E10value_typeET2_T3_PNS13_IS18_E10value_typeET4_jRbjT5_S1E_jjP12ihipStream_tbEUljE_ZNSN_ISO_Lb0ESQ_SR_ST_SU_SY_EESZ_S10_S11_S12_S16_S17_S18_S1B_S1C_jS1D_jS1E_S1E_jjS1G_bEUljE0_EEESZ_S10_S11_S18_S1C_S1E_T6_T7_T9_mT8_S1G_bDpT10_ENKUlT_T0_E_clISt17integral_constantIbLb1EES1U_EEDaS1P_S1Q_EUlS1P_E_NS1_11comp_targetILNS1_3genE5ELNS1_11target_archE942ELNS1_3gpuE9ELNS1_3repE0EEENS1_30default_config_static_selectorELNS0_4arch9wavefront6targetE0EEEvS12_.uses_vcc, 0
	.set _ZN7rocprim17ROCPRIM_400000_NS6detail17trampoline_kernelINS0_13select_configILj256ELj13ELNS0_17block_load_methodE3ELS4_3ELS4_3ELNS0_20block_scan_algorithmE0ELj4294967295EEENS1_25partition_config_selectorILNS1_17partition_subalgoE4EjNS0_10empty_typeEbEEZZNS1_14partition_implILS8_4ELb0ES6_15HIP_vector_typeIjLj2EENS0_17counting_iteratorIjlEEPS9_SG_NS0_5tupleIJPjSI_NS0_16reverse_iteratorISI_EEEEENSH_IJSG_SG_SG_EEES9_SI_JZNS1_25segmented_radix_sort_implINS0_14default_configELb0EPKiPiPKlPlN2at6native12_GLOBAL__N_18offset_tEEE10hipError_tPvRmT1_PNSt15iterator_traitsIS12_E10value_typeET2_T3_PNS13_IS18_E10value_typeET4_jRbjT5_S1E_jjP12ihipStream_tbEUljE_ZNSN_ISO_Lb0ESQ_SR_ST_SU_SY_EESZ_S10_S11_S12_S16_S17_S18_S1B_S1C_jS1D_jS1E_S1E_jjS1G_bEUljE0_EEESZ_S10_S11_S18_S1C_S1E_T6_T7_T9_mT8_S1G_bDpT10_ENKUlT_T0_E_clISt17integral_constantIbLb1EES1U_EEDaS1P_S1Q_EUlS1P_E_NS1_11comp_targetILNS1_3genE5ELNS1_11target_archE942ELNS1_3gpuE9ELNS1_3repE0EEENS1_30default_config_static_selectorELNS0_4arch9wavefront6targetE0EEEvS12_.uses_flat_scratch, 0
	.set _ZN7rocprim17ROCPRIM_400000_NS6detail17trampoline_kernelINS0_13select_configILj256ELj13ELNS0_17block_load_methodE3ELS4_3ELS4_3ELNS0_20block_scan_algorithmE0ELj4294967295EEENS1_25partition_config_selectorILNS1_17partition_subalgoE4EjNS0_10empty_typeEbEEZZNS1_14partition_implILS8_4ELb0ES6_15HIP_vector_typeIjLj2EENS0_17counting_iteratorIjlEEPS9_SG_NS0_5tupleIJPjSI_NS0_16reverse_iteratorISI_EEEEENSH_IJSG_SG_SG_EEES9_SI_JZNS1_25segmented_radix_sort_implINS0_14default_configELb0EPKiPiPKlPlN2at6native12_GLOBAL__N_18offset_tEEE10hipError_tPvRmT1_PNSt15iterator_traitsIS12_E10value_typeET2_T3_PNS13_IS18_E10value_typeET4_jRbjT5_S1E_jjP12ihipStream_tbEUljE_ZNSN_ISO_Lb0ESQ_SR_ST_SU_SY_EESZ_S10_S11_S12_S16_S17_S18_S1B_S1C_jS1D_jS1E_S1E_jjS1G_bEUljE0_EEESZ_S10_S11_S18_S1C_S1E_T6_T7_T9_mT8_S1G_bDpT10_ENKUlT_T0_E_clISt17integral_constantIbLb1EES1U_EEDaS1P_S1Q_EUlS1P_E_NS1_11comp_targetILNS1_3genE5ELNS1_11target_archE942ELNS1_3gpuE9ELNS1_3repE0EEENS1_30default_config_static_selectorELNS0_4arch9wavefront6targetE0EEEvS12_.has_dyn_sized_stack, 0
	.set _ZN7rocprim17ROCPRIM_400000_NS6detail17trampoline_kernelINS0_13select_configILj256ELj13ELNS0_17block_load_methodE3ELS4_3ELS4_3ELNS0_20block_scan_algorithmE0ELj4294967295EEENS1_25partition_config_selectorILNS1_17partition_subalgoE4EjNS0_10empty_typeEbEEZZNS1_14partition_implILS8_4ELb0ES6_15HIP_vector_typeIjLj2EENS0_17counting_iteratorIjlEEPS9_SG_NS0_5tupleIJPjSI_NS0_16reverse_iteratorISI_EEEEENSH_IJSG_SG_SG_EEES9_SI_JZNS1_25segmented_radix_sort_implINS0_14default_configELb0EPKiPiPKlPlN2at6native12_GLOBAL__N_18offset_tEEE10hipError_tPvRmT1_PNSt15iterator_traitsIS12_E10value_typeET2_T3_PNS13_IS18_E10value_typeET4_jRbjT5_S1E_jjP12ihipStream_tbEUljE_ZNSN_ISO_Lb0ESQ_SR_ST_SU_SY_EESZ_S10_S11_S12_S16_S17_S18_S1B_S1C_jS1D_jS1E_S1E_jjS1G_bEUljE0_EEESZ_S10_S11_S18_S1C_S1E_T6_T7_T9_mT8_S1G_bDpT10_ENKUlT_T0_E_clISt17integral_constantIbLb1EES1U_EEDaS1P_S1Q_EUlS1P_E_NS1_11comp_targetILNS1_3genE5ELNS1_11target_archE942ELNS1_3gpuE9ELNS1_3repE0EEENS1_30default_config_static_selectorELNS0_4arch9wavefront6targetE0EEEvS12_.has_recursion, 0
	.set _ZN7rocprim17ROCPRIM_400000_NS6detail17trampoline_kernelINS0_13select_configILj256ELj13ELNS0_17block_load_methodE3ELS4_3ELS4_3ELNS0_20block_scan_algorithmE0ELj4294967295EEENS1_25partition_config_selectorILNS1_17partition_subalgoE4EjNS0_10empty_typeEbEEZZNS1_14partition_implILS8_4ELb0ES6_15HIP_vector_typeIjLj2EENS0_17counting_iteratorIjlEEPS9_SG_NS0_5tupleIJPjSI_NS0_16reverse_iteratorISI_EEEEENSH_IJSG_SG_SG_EEES9_SI_JZNS1_25segmented_radix_sort_implINS0_14default_configELb0EPKiPiPKlPlN2at6native12_GLOBAL__N_18offset_tEEE10hipError_tPvRmT1_PNSt15iterator_traitsIS12_E10value_typeET2_T3_PNS13_IS18_E10value_typeET4_jRbjT5_S1E_jjP12ihipStream_tbEUljE_ZNSN_ISO_Lb0ESQ_SR_ST_SU_SY_EESZ_S10_S11_S12_S16_S17_S18_S1B_S1C_jS1D_jS1E_S1E_jjS1G_bEUljE0_EEESZ_S10_S11_S18_S1C_S1E_T6_T7_T9_mT8_S1G_bDpT10_ENKUlT_T0_E_clISt17integral_constantIbLb1EES1U_EEDaS1P_S1Q_EUlS1P_E_NS1_11comp_targetILNS1_3genE5ELNS1_11target_archE942ELNS1_3gpuE9ELNS1_3repE0EEENS1_30default_config_static_selectorELNS0_4arch9wavefront6targetE0EEEvS12_.has_indirect_call, 0
	.section	.AMDGPU.csdata,"",@progbits
; Kernel info:
; codeLenInByte = 0
; TotalNumSgprs: 0
; NumVgprs: 0
; ScratchSize: 0
; MemoryBound: 0
; FloatMode: 240
; IeeeMode: 1
; LDSByteSize: 0 bytes/workgroup (compile time only)
; SGPRBlocks: 0
; VGPRBlocks: 0
; NumSGPRsForWavesPerEU: 1
; NumVGPRsForWavesPerEU: 1
; Occupancy: 16
; WaveLimiterHint : 0
; COMPUTE_PGM_RSRC2:SCRATCH_EN: 0
; COMPUTE_PGM_RSRC2:USER_SGPR: 2
; COMPUTE_PGM_RSRC2:TRAP_HANDLER: 0
; COMPUTE_PGM_RSRC2:TGID_X_EN: 1
; COMPUTE_PGM_RSRC2:TGID_Y_EN: 0
; COMPUTE_PGM_RSRC2:TGID_Z_EN: 0
; COMPUTE_PGM_RSRC2:TIDIG_COMP_CNT: 0
	.section	.text._ZN7rocprim17ROCPRIM_400000_NS6detail17trampoline_kernelINS0_13select_configILj256ELj13ELNS0_17block_load_methodE3ELS4_3ELS4_3ELNS0_20block_scan_algorithmE0ELj4294967295EEENS1_25partition_config_selectorILNS1_17partition_subalgoE4EjNS0_10empty_typeEbEEZZNS1_14partition_implILS8_4ELb0ES6_15HIP_vector_typeIjLj2EENS0_17counting_iteratorIjlEEPS9_SG_NS0_5tupleIJPjSI_NS0_16reverse_iteratorISI_EEEEENSH_IJSG_SG_SG_EEES9_SI_JZNS1_25segmented_radix_sort_implINS0_14default_configELb0EPKiPiPKlPlN2at6native12_GLOBAL__N_18offset_tEEE10hipError_tPvRmT1_PNSt15iterator_traitsIS12_E10value_typeET2_T3_PNS13_IS18_E10value_typeET4_jRbjT5_S1E_jjP12ihipStream_tbEUljE_ZNSN_ISO_Lb0ESQ_SR_ST_SU_SY_EESZ_S10_S11_S12_S16_S17_S18_S1B_S1C_jS1D_jS1E_S1E_jjS1G_bEUljE0_EEESZ_S10_S11_S18_S1C_S1E_T6_T7_T9_mT8_S1G_bDpT10_ENKUlT_T0_E_clISt17integral_constantIbLb1EES1U_EEDaS1P_S1Q_EUlS1P_E_NS1_11comp_targetILNS1_3genE4ELNS1_11target_archE910ELNS1_3gpuE8ELNS1_3repE0EEENS1_30default_config_static_selectorELNS0_4arch9wavefront6targetE0EEEvS12_,"axG",@progbits,_ZN7rocprim17ROCPRIM_400000_NS6detail17trampoline_kernelINS0_13select_configILj256ELj13ELNS0_17block_load_methodE3ELS4_3ELS4_3ELNS0_20block_scan_algorithmE0ELj4294967295EEENS1_25partition_config_selectorILNS1_17partition_subalgoE4EjNS0_10empty_typeEbEEZZNS1_14partition_implILS8_4ELb0ES6_15HIP_vector_typeIjLj2EENS0_17counting_iteratorIjlEEPS9_SG_NS0_5tupleIJPjSI_NS0_16reverse_iteratorISI_EEEEENSH_IJSG_SG_SG_EEES9_SI_JZNS1_25segmented_radix_sort_implINS0_14default_configELb0EPKiPiPKlPlN2at6native12_GLOBAL__N_18offset_tEEE10hipError_tPvRmT1_PNSt15iterator_traitsIS12_E10value_typeET2_T3_PNS13_IS18_E10value_typeET4_jRbjT5_S1E_jjP12ihipStream_tbEUljE_ZNSN_ISO_Lb0ESQ_SR_ST_SU_SY_EESZ_S10_S11_S12_S16_S17_S18_S1B_S1C_jS1D_jS1E_S1E_jjS1G_bEUljE0_EEESZ_S10_S11_S18_S1C_S1E_T6_T7_T9_mT8_S1G_bDpT10_ENKUlT_T0_E_clISt17integral_constantIbLb1EES1U_EEDaS1P_S1Q_EUlS1P_E_NS1_11comp_targetILNS1_3genE4ELNS1_11target_archE910ELNS1_3gpuE8ELNS1_3repE0EEENS1_30default_config_static_selectorELNS0_4arch9wavefront6targetE0EEEvS12_,comdat
	.globl	_ZN7rocprim17ROCPRIM_400000_NS6detail17trampoline_kernelINS0_13select_configILj256ELj13ELNS0_17block_load_methodE3ELS4_3ELS4_3ELNS0_20block_scan_algorithmE0ELj4294967295EEENS1_25partition_config_selectorILNS1_17partition_subalgoE4EjNS0_10empty_typeEbEEZZNS1_14partition_implILS8_4ELb0ES6_15HIP_vector_typeIjLj2EENS0_17counting_iteratorIjlEEPS9_SG_NS0_5tupleIJPjSI_NS0_16reverse_iteratorISI_EEEEENSH_IJSG_SG_SG_EEES9_SI_JZNS1_25segmented_radix_sort_implINS0_14default_configELb0EPKiPiPKlPlN2at6native12_GLOBAL__N_18offset_tEEE10hipError_tPvRmT1_PNSt15iterator_traitsIS12_E10value_typeET2_T3_PNS13_IS18_E10value_typeET4_jRbjT5_S1E_jjP12ihipStream_tbEUljE_ZNSN_ISO_Lb0ESQ_SR_ST_SU_SY_EESZ_S10_S11_S12_S16_S17_S18_S1B_S1C_jS1D_jS1E_S1E_jjS1G_bEUljE0_EEESZ_S10_S11_S18_S1C_S1E_T6_T7_T9_mT8_S1G_bDpT10_ENKUlT_T0_E_clISt17integral_constantIbLb1EES1U_EEDaS1P_S1Q_EUlS1P_E_NS1_11comp_targetILNS1_3genE4ELNS1_11target_archE910ELNS1_3gpuE8ELNS1_3repE0EEENS1_30default_config_static_selectorELNS0_4arch9wavefront6targetE0EEEvS12_ ; -- Begin function _ZN7rocprim17ROCPRIM_400000_NS6detail17trampoline_kernelINS0_13select_configILj256ELj13ELNS0_17block_load_methodE3ELS4_3ELS4_3ELNS0_20block_scan_algorithmE0ELj4294967295EEENS1_25partition_config_selectorILNS1_17partition_subalgoE4EjNS0_10empty_typeEbEEZZNS1_14partition_implILS8_4ELb0ES6_15HIP_vector_typeIjLj2EENS0_17counting_iteratorIjlEEPS9_SG_NS0_5tupleIJPjSI_NS0_16reverse_iteratorISI_EEEEENSH_IJSG_SG_SG_EEES9_SI_JZNS1_25segmented_radix_sort_implINS0_14default_configELb0EPKiPiPKlPlN2at6native12_GLOBAL__N_18offset_tEEE10hipError_tPvRmT1_PNSt15iterator_traitsIS12_E10value_typeET2_T3_PNS13_IS18_E10value_typeET4_jRbjT5_S1E_jjP12ihipStream_tbEUljE_ZNSN_ISO_Lb0ESQ_SR_ST_SU_SY_EESZ_S10_S11_S12_S16_S17_S18_S1B_S1C_jS1D_jS1E_S1E_jjS1G_bEUljE0_EEESZ_S10_S11_S18_S1C_S1E_T6_T7_T9_mT8_S1G_bDpT10_ENKUlT_T0_E_clISt17integral_constantIbLb1EES1U_EEDaS1P_S1Q_EUlS1P_E_NS1_11comp_targetILNS1_3genE4ELNS1_11target_archE910ELNS1_3gpuE8ELNS1_3repE0EEENS1_30default_config_static_selectorELNS0_4arch9wavefront6targetE0EEEvS12_
	.p2align	8
	.type	_ZN7rocprim17ROCPRIM_400000_NS6detail17trampoline_kernelINS0_13select_configILj256ELj13ELNS0_17block_load_methodE3ELS4_3ELS4_3ELNS0_20block_scan_algorithmE0ELj4294967295EEENS1_25partition_config_selectorILNS1_17partition_subalgoE4EjNS0_10empty_typeEbEEZZNS1_14partition_implILS8_4ELb0ES6_15HIP_vector_typeIjLj2EENS0_17counting_iteratorIjlEEPS9_SG_NS0_5tupleIJPjSI_NS0_16reverse_iteratorISI_EEEEENSH_IJSG_SG_SG_EEES9_SI_JZNS1_25segmented_radix_sort_implINS0_14default_configELb0EPKiPiPKlPlN2at6native12_GLOBAL__N_18offset_tEEE10hipError_tPvRmT1_PNSt15iterator_traitsIS12_E10value_typeET2_T3_PNS13_IS18_E10value_typeET4_jRbjT5_S1E_jjP12ihipStream_tbEUljE_ZNSN_ISO_Lb0ESQ_SR_ST_SU_SY_EESZ_S10_S11_S12_S16_S17_S18_S1B_S1C_jS1D_jS1E_S1E_jjS1G_bEUljE0_EEESZ_S10_S11_S18_S1C_S1E_T6_T7_T9_mT8_S1G_bDpT10_ENKUlT_T0_E_clISt17integral_constantIbLb1EES1U_EEDaS1P_S1Q_EUlS1P_E_NS1_11comp_targetILNS1_3genE4ELNS1_11target_archE910ELNS1_3gpuE8ELNS1_3repE0EEENS1_30default_config_static_selectorELNS0_4arch9wavefront6targetE0EEEvS12_,@function
_ZN7rocprim17ROCPRIM_400000_NS6detail17trampoline_kernelINS0_13select_configILj256ELj13ELNS0_17block_load_methodE3ELS4_3ELS4_3ELNS0_20block_scan_algorithmE0ELj4294967295EEENS1_25partition_config_selectorILNS1_17partition_subalgoE4EjNS0_10empty_typeEbEEZZNS1_14partition_implILS8_4ELb0ES6_15HIP_vector_typeIjLj2EENS0_17counting_iteratorIjlEEPS9_SG_NS0_5tupleIJPjSI_NS0_16reverse_iteratorISI_EEEEENSH_IJSG_SG_SG_EEES9_SI_JZNS1_25segmented_radix_sort_implINS0_14default_configELb0EPKiPiPKlPlN2at6native12_GLOBAL__N_18offset_tEEE10hipError_tPvRmT1_PNSt15iterator_traitsIS12_E10value_typeET2_T3_PNS13_IS18_E10value_typeET4_jRbjT5_S1E_jjP12ihipStream_tbEUljE_ZNSN_ISO_Lb0ESQ_SR_ST_SU_SY_EESZ_S10_S11_S12_S16_S17_S18_S1B_S1C_jS1D_jS1E_S1E_jjS1G_bEUljE0_EEESZ_S10_S11_S18_S1C_S1E_T6_T7_T9_mT8_S1G_bDpT10_ENKUlT_T0_E_clISt17integral_constantIbLb1EES1U_EEDaS1P_S1Q_EUlS1P_E_NS1_11comp_targetILNS1_3genE4ELNS1_11target_archE910ELNS1_3gpuE8ELNS1_3repE0EEENS1_30default_config_static_selectorELNS0_4arch9wavefront6targetE0EEEvS12_: ; @_ZN7rocprim17ROCPRIM_400000_NS6detail17trampoline_kernelINS0_13select_configILj256ELj13ELNS0_17block_load_methodE3ELS4_3ELS4_3ELNS0_20block_scan_algorithmE0ELj4294967295EEENS1_25partition_config_selectorILNS1_17partition_subalgoE4EjNS0_10empty_typeEbEEZZNS1_14partition_implILS8_4ELb0ES6_15HIP_vector_typeIjLj2EENS0_17counting_iteratorIjlEEPS9_SG_NS0_5tupleIJPjSI_NS0_16reverse_iteratorISI_EEEEENSH_IJSG_SG_SG_EEES9_SI_JZNS1_25segmented_radix_sort_implINS0_14default_configELb0EPKiPiPKlPlN2at6native12_GLOBAL__N_18offset_tEEE10hipError_tPvRmT1_PNSt15iterator_traitsIS12_E10value_typeET2_T3_PNS13_IS18_E10value_typeET4_jRbjT5_S1E_jjP12ihipStream_tbEUljE_ZNSN_ISO_Lb0ESQ_SR_ST_SU_SY_EESZ_S10_S11_S12_S16_S17_S18_S1B_S1C_jS1D_jS1E_S1E_jjS1G_bEUljE0_EEESZ_S10_S11_S18_S1C_S1E_T6_T7_T9_mT8_S1G_bDpT10_ENKUlT_T0_E_clISt17integral_constantIbLb1EES1U_EEDaS1P_S1Q_EUlS1P_E_NS1_11comp_targetILNS1_3genE4ELNS1_11target_archE910ELNS1_3gpuE8ELNS1_3repE0EEENS1_30default_config_static_selectorELNS0_4arch9wavefront6targetE0EEEvS12_
; %bb.0:
	.section	.rodata,"a",@progbits
	.p2align	6, 0x0
	.amdhsa_kernel _ZN7rocprim17ROCPRIM_400000_NS6detail17trampoline_kernelINS0_13select_configILj256ELj13ELNS0_17block_load_methodE3ELS4_3ELS4_3ELNS0_20block_scan_algorithmE0ELj4294967295EEENS1_25partition_config_selectorILNS1_17partition_subalgoE4EjNS0_10empty_typeEbEEZZNS1_14partition_implILS8_4ELb0ES6_15HIP_vector_typeIjLj2EENS0_17counting_iteratorIjlEEPS9_SG_NS0_5tupleIJPjSI_NS0_16reverse_iteratorISI_EEEEENSH_IJSG_SG_SG_EEES9_SI_JZNS1_25segmented_radix_sort_implINS0_14default_configELb0EPKiPiPKlPlN2at6native12_GLOBAL__N_18offset_tEEE10hipError_tPvRmT1_PNSt15iterator_traitsIS12_E10value_typeET2_T3_PNS13_IS18_E10value_typeET4_jRbjT5_S1E_jjP12ihipStream_tbEUljE_ZNSN_ISO_Lb0ESQ_SR_ST_SU_SY_EESZ_S10_S11_S12_S16_S17_S18_S1B_S1C_jS1D_jS1E_S1E_jjS1G_bEUljE0_EEESZ_S10_S11_S18_S1C_S1E_T6_T7_T9_mT8_S1G_bDpT10_ENKUlT_T0_E_clISt17integral_constantIbLb1EES1U_EEDaS1P_S1Q_EUlS1P_E_NS1_11comp_targetILNS1_3genE4ELNS1_11target_archE910ELNS1_3gpuE8ELNS1_3repE0EEENS1_30default_config_static_selectorELNS0_4arch9wavefront6targetE0EEEvS12_
		.amdhsa_group_segment_fixed_size 0
		.amdhsa_private_segment_fixed_size 0
		.amdhsa_kernarg_size 184
		.amdhsa_user_sgpr_count 2
		.amdhsa_user_sgpr_dispatch_ptr 0
		.amdhsa_user_sgpr_queue_ptr 0
		.amdhsa_user_sgpr_kernarg_segment_ptr 1
		.amdhsa_user_sgpr_dispatch_id 0
		.amdhsa_user_sgpr_private_segment_size 0
		.amdhsa_wavefront_size32 1
		.amdhsa_uses_dynamic_stack 0
		.amdhsa_enable_private_segment 0
		.amdhsa_system_sgpr_workgroup_id_x 1
		.amdhsa_system_sgpr_workgroup_id_y 0
		.amdhsa_system_sgpr_workgroup_id_z 0
		.amdhsa_system_sgpr_workgroup_info 0
		.amdhsa_system_vgpr_workitem_id 0
		.amdhsa_next_free_vgpr 1
		.amdhsa_next_free_sgpr 1
		.amdhsa_reserve_vcc 0
		.amdhsa_float_round_mode_32 0
		.amdhsa_float_round_mode_16_64 0
		.amdhsa_float_denorm_mode_32 3
		.amdhsa_float_denorm_mode_16_64 3
		.amdhsa_fp16_overflow 0
		.amdhsa_workgroup_processor_mode 1
		.amdhsa_memory_ordered 1
		.amdhsa_forward_progress 1
		.amdhsa_inst_pref_size 0
		.amdhsa_round_robin_scheduling 0
		.amdhsa_exception_fp_ieee_invalid_op 0
		.amdhsa_exception_fp_denorm_src 0
		.amdhsa_exception_fp_ieee_div_zero 0
		.amdhsa_exception_fp_ieee_overflow 0
		.amdhsa_exception_fp_ieee_underflow 0
		.amdhsa_exception_fp_ieee_inexact 0
		.amdhsa_exception_int_div_zero 0
	.end_amdhsa_kernel
	.section	.text._ZN7rocprim17ROCPRIM_400000_NS6detail17trampoline_kernelINS0_13select_configILj256ELj13ELNS0_17block_load_methodE3ELS4_3ELS4_3ELNS0_20block_scan_algorithmE0ELj4294967295EEENS1_25partition_config_selectorILNS1_17partition_subalgoE4EjNS0_10empty_typeEbEEZZNS1_14partition_implILS8_4ELb0ES6_15HIP_vector_typeIjLj2EENS0_17counting_iteratorIjlEEPS9_SG_NS0_5tupleIJPjSI_NS0_16reverse_iteratorISI_EEEEENSH_IJSG_SG_SG_EEES9_SI_JZNS1_25segmented_radix_sort_implINS0_14default_configELb0EPKiPiPKlPlN2at6native12_GLOBAL__N_18offset_tEEE10hipError_tPvRmT1_PNSt15iterator_traitsIS12_E10value_typeET2_T3_PNS13_IS18_E10value_typeET4_jRbjT5_S1E_jjP12ihipStream_tbEUljE_ZNSN_ISO_Lb0ESQ_SR_ST_SU_SY_EESZ_S10_S11_S12_S16_S17_S18_S1B_S1C_jS1D_jS1E_S1E_jjS1G_bEUljE0_EEESZ_S10_S11_S18_S1C_S1E_T6_T7_T9_mT8_S1G_bDpT10_ENKUlT_T0_E_clISt17integral_constantIbLb1EES1U_EEDaS1P_S1Q_EUlS1P_E_NS1_11comp_targetILNS1_3genE4ELNS1_11target_archE910ELNS1_3gpuE8ELNS1_3repE0EEENS1_30default_config_static_selectorELNS0_4arch9wavefront6targetE0EEEvS12_,"axG",@progbits,_ZN7rocprim17ROCPRIM_400000_NS6detail17trampoline_kernelINS0_13select_configILj256ELj13ELNS0_17block_load_methodE3ELS4_3ELS4_3ELNS0_20block_scan_algorithmE0ELj4294967295EEENS1_25partition_config_selectorILNS1_17partition_subalgoE4EjNS0_10empty_typeEbEEZZNS1_14partition_implILS8_4ELb0ES6_15HIP_vector_typeIjLj2EENS0_17counting_iteratorIjlEEPS9_SG_NS0_5tupleIJPjSI_NS0_16reverse_iteratorISI_EEEEENSH_IJSG_SG_SG_EEES9_SI_JZNS1_25segmented_radix_sort_implINS0_14default_configELb0EPKiPiPKlPlN2at6native12_GLOBAL__N_18offset_tEEE10hipError_tPvRmT1_PNSt15iterator_traitsIS12_E10value_typeET2_T3_PNS13_IS18_E10value_typeET4_jRbjT5_S1E_jjP12ihipStream_tbEUljE_ZNSN_ISO_Lb0ESQ_SR_ST_SU_SY_EESZ_S10_S11_S12_S16_S17_S18_S1B_S1C_jS1D_jS1E_S1E_jjS1G_bEUljE0_EEESZ_S10_S11_S18_S1C_S1E_T6_T7_T9_mT8_S1G_bDpT10_ENKUlT_T0_E_clISt17integral_constantIbLb1EES1U_EEDaS1P_S1Q_EUlS1P_E_NS1_11comp_targetILNS1_3genE4ELNS1_11target_archE910ELNS1_3gpuE8ELNS1_3repE0EEENS1_30default_config_static_selectorELNS0_4arch9wavefront6targetE0EEEvS12_,comdat
.Lfunc_end546:
	.size	_ZN7rocprim17ROCPRIM_400000_NS6detail17trampoline_kernelINS0_13select_configILj256ELj13ELNS0_17block_load_methodE3ELS4_3ELS4_3ELNS0_20block_scan_algorithmE0ELj4294967295EEENS1_25partition_config_selectorILNS1_17partition_subalgoE4EjNS0_10empty_typeEbEEZZNS1_14partition_implILS8_4ELb0ES6_15HIP_vector_typeIjLj2EENS0_17counting_iteratorIjlEEPS9_SG_NS0_5tupleIJPjSI_NS0_16reverse_iteratorISI_EEEEENSH_IJSG_SG_SG_EEES9_SI_JZNS1_25segmented_radix_sort_implINS0_14default_configELb0EPKiPiPKlPlN2at6native12_GLOBAL__N_18offset_tEEE10hipError_tPvRmT1_PNSt15iterator_traitsIS12_E10value_typeET2_T3_PNS13_IS18_E10value_typeET4_jRbjT5_S1E_jjP12ihipStream_tbEUljE_ZNSN_ISO_Lb0ESQ_SR_ST_SU_SY_EESZ_S10_S11_S12_S16_S17_S18_S1B_S1C_jS1D_jS1E_S1E_jjS1G_bEUljE0_EEESZ_S10_S11_S18_S1C_S1E_T6_T7_T9_mT8_S1G_bDpT10_ENKUlT_T0_E_clISt17integral_constantIbLb1EES1U_EEDaS1P_S1Q_EUlS1P_E_NS1_11comp_targetILNS1_3genE4ELNS1_11target_archE910ELNS1_3gpuE8ELNS1_3repE0EEENS1_30default_config_static_selectorELNS0_4arch9wavefront6targetE0EEEvS12_, .Lfunc_end546-_ZN7rocprim17ROCPRIM_400000_NS6detail17trampoline_kernelINS0_13select_configILj256ELj13ELNS0_17block_load_methodE3ELS4_3ELS4_3ELNS0_20block_scan_algorithmE0ELj4294967295EEENS1_25partition_config_selectorILNS1_17partition_subalgoE4EjNS0_10empty_typeEbEEZZNS1_14partition_implILS8_4ELb0ES6_15HIP_vector_typeIjLj2EENS0_17counting_iteratorIjlEEPS9_SG_NS0_5tupleIJPjSI_NS0_16reverse_iteratorISI_EEEEENSH_IJSG_SG_SG_EEES9_SI_JZNS1_25segmented_radix_sort_implINS0_14default_configELb0EPKiPiPKlPlN2at6native12_GLOBAL__N_18offset_tEEE10hipError_tPvRmT1_PNSt15iterator_traitsIS12_E10value_typeET2_T3_PNS13_IS18_E10value_typeET4_jRbjT5_S1E_jjP12ihipStream_tbEUljE_ZNSN_ISO_Lb0ESQ_SR_ST_SU_SY_EESZ_S10_S11_S12_S16_S17_S18_S1B_S1C_jS1D_jS1E_S1E_jjS1G_bEUljE0_EEESZ_S10_S11_S18_S1C_S1E_T6_T7_T9_mT8_S1G_bDpT10_ENKUlT_T0_E_clISt17integral_constantIbLb1EES1U_EEDaS1P_S1Q_EUlS1P_E_NS1_11comp_targetILNS1_3genE4ELNS1_11target_archE910ELNS1_3gpuE8ELNS1_3repE0EEENS1_30default_config_static_selectorELNS0_4arch9wavefront6targetE0EEEvS12_
                                        ; -- End function
	.set _ZN7rocprim17ROCPRIM_400000_NS6detail17trampoline_kernelINS0_13select_configILj256ELj13ELNS0_17block_load_methodE3ELS4_3ELS4_3ELNS0_20block_scan_algorithmE0ELj4294967295EEENS1_25partition_config_selectorILNS1_17partition_subalgoE4EjNS0_10empty_typeEbEEZZNS1_14partition_implILS8_4ELb0ES6_15HIP_vector_typeIjLj2EENS0_17counting_iteratorIjlEEPS9_SG_NS0_5tupleIJPjSI_NS0_16reverse_iteratorISI_EEEEENSH_IJSG_SG_SG_EEES9_SI_JZNS1_25segmented_radix_sort_implINS0_14default_configELb0EPKiPiPKlPlN2at6native12_GLOBAL__N_18offset_tEEE10hipError_tPvRmT1_PNSt15iterator_traitsIS12_E10value_typeET2_T3_PNS13_IS18_E10value_typeET4_jRbjT5_S1E_jjP12ihipStream_tbEUljE_ZNSN_ISO_Lb0ESQ_SR_ST_SU_SY_EESZ_S10_S11_S12_S16_S17_S18_S1B_S1C_jS1D_jS1E_S1E_jjS1G_bEUljE0_EEESZ_S10_S11_S18_S1C_S1E_T6_T7_T9_mT8_S1G_bDpT10_ENKUlT_T0_E_clISt17integral_constantIbLb1EES1U_EEDaS1P_S1Q_EUlS1P_E_NS1_11comp_targetILNS1_3genE4ELNS1_11target_archE910ELNS1_3gpuE8ELNS1_3repE0EEENS1_30default_config_static_selectorELNS0_4arch9wavefront6targetE0EEEvS12_.num_vgpr, 0
	.set _ZN7rocprim17ROCPRIM_400000_NS6detail17trampoline_kernelINS0_13select_configILj256ELj13ELNS0_17block_load_methodE3ELS4_3ELS4_3ELNS0_20block_scan_algorithmE0ELj4294967295EEENS1_25partition_config_selectorILNS1_17partition_subalgoE4EjNS0_10empty_typeEbEEZZNS1_14partition_implILS8_4ELb0ES6_15HIP_vector_typeIjLj2EENS0_17counting_iteratorIjlEEPS9_SG_NS0_5tupleIJPjSI_NS0_16reverse_iteratorISI_EEEEENSH_IJSG_SG_SG_EEES9_SI_JZNS1_25segmented_radix_sort_implINS0_14default_configELb0EPKiPiPKlPlN2at6native12_GLOBAL__N_18offset_tEEE10hipError_tPvRmT1_PNSt15iterator_traitsIS12_E10value_typeET2_T3_PNS13_IS18_E10value_typeET4_jRbjT5_S1E_jjP12ihipStream_tbEUljE_ZNSN_ISO_Lb0ESQ_SR_ST_SU_SY_EESZ_S10_S11_S12_S16_S17_S18_S1B_S1C_jS1D_jS1E_S1E_jjS1G_bEUljE0_EEESZ_S10_S11_S18_S1C_S1E_T6_T7_T9_mT8_S1G_bDpT10_ENKUlT_T0_E_clISt17integral_constantIbLb1EES1U_EEDaS1P_S1Q_EUlS1P_E_NS1_11comp_targetILNS1_3genE4ELNS1_11target_archE910ELNS1_3gpuE8ELNS1_3repE0EEENS1_30default_config_static_selectorELNS0_4arch9wavefront6targetE0EEEvS12_.num_agpr, 0
	.set _ZN7rocprim17ROCPRIM_400000_NS6detail17trampoline_kernelINS0_13select_configILj256ELj13ELNS0_17block_load_methodE3ELS4_3ELS4_3ELNS0_20block_scan_algorithmE0ELj4294967295EEENS1_25partition_config_selectorILNS1_17partition_subalgoE4EjNS0_10empty_typeEbEEZZNS1_14partition_implILS8_4ELb0ES6_15HIP_vector_typeIjLj2EENS0_17counting_iteratorIjlEEPS9_SG_NS0_5tupleIJPjSI_NS0_16reverse_iteratorISI_EEEEENSH_IJSG_SG_SG_EEES9_SI_JZNS1_25segmented_radix_sort_implINS0_14default_configELb0EPKiPiPKlPlN2at6native12_GLOBAL__N_18offset_tEEE10hipError_tPvRmT1_PNSt15iterator_traitsIS12_E10value_typeET2_T3_PNS13_IS18_E10value_typeET4_jRbjT5_S1E_jjP12ihipStream_tbEUljE_ZNSN_ISO_Lb0ESQ_SR_ST_SU_SY_EESZ_S10_S11_S12_S16_S17_S18_S1B_S1C_jS1D_jS1E_S1E_jjS1G_bEUljE0_EEESZ_S10_S11_S18_S1C_S1E_T6_T7_T9_mT8_S1G_bDpT10_ENKUlT_T0_E_clISt17integral_constantIbLb1EES1U_EEDaS1P_S1Q_EUlS1P_E_NS1_11comp_targetILNS1_3genE4ELNS1_11target_archE910ELNS1_3gpuE8ELNS1_3repE0EEENS1_30default_config_static_selectorELNS0_4arch9wavefront6targetE0EEEvS12_.numbered_sgpr, 0
	.set _ZN7rocprim17ROCPRIM_400000_NS6detail17trampoline_kernelINS0_13select_configILj256ELj13ELNS0_17block_load_methodE3ELS4_3ELS4_3ELNS0_20block_scan_algorithmE0ELj4294967295EEENS1_25partition_config_selectorILNS1_17partition_subalgoE4EjNS0_10empty_typeEbEEZZNS1_14partition_implILS8_4ELb0ES6_15HIP_vector_typeIjLj2EENS0_17counting_iteratorIjlEEPS9_SG_NS0_5tupleIJPjSI_NS0_16reverse_iteratorISI_EEEEENSH_IJSG_SG_SG_EEES9_SI_JZNS1_25segmented_radix_sort_implINS0_14default_configELb0EPKiPiPKlPlN2at6native12_GLOBAL__N_18offset_tEEE10hipError_tPvRmT1_PNSt15iterator_traitsIS12_E10value_typeET2_T3_PNS13_IS18_E10value_typeET4_jRbjT5_S1E_jjP12ihipStream_tbEUljE_ZNSN_ISO_Lb0ESQ_SR_ST_SU_SY_EESZ_S10_S11_S12_S16_S17_S18_S1B_S1C_jS1D_jS1E_S1E_jjS1G_bEUljE0_EEESZ_S10_S11_S18_S1C_S1E_T6_T7_T9_mT8_S1G_bDpT10_ENKUlT_T0_E_clISt17integral_constantIbLb1EES1U_EEDaS1P_S1Q_EUlS1P_E_NS1_11comp_targetILNS1_3genE4ELNS1_11target_archE910ELNS1_3gpuE8ELNS1_3repE0EEENS1_30default_config_static_selectorELNS0_4arch9wavefront6targetE0EEEvS12_.num_named_barrier, 0
	.set _ZN7rocprim17ROCPRIM_400000_NS6detail17trampoline_kernelINS0_13select_configILj256ELj13ELNS0_17block_load_methodE3ELS4_3ELS4_3ELNS0_20block_scan_algorithmE0ELj4294967295EEENS1_25partition_config_selectorILNS1_17partition_subalgoE4EjNS0_10empty_typeEbEEZZNS1_14partition_implILS8_4ELb0ES6_15HIP_vector_typeIjLj2EENS0_17counting_iteratorIjlEEPS9_SG_NS0_5tupleIJPjSI_NS0_16reverse_iteratorISI_EEEEENSH_IJSG_SG_SG_EEES9_SI_JZNS1_25segmented_radix_sort_implINS0_14default_configELb0EPKiPiPKlPlN2at6native12_GLOBAL__N_18offset_tEEE10hipError_tPvRmT1_PNSt15iterator_traitsIS12_E10value_typeET2_T3_PNS13_IS18_E10value_typeET4_jRbjT5_S1E_jjP12ihipStream_tbEUljE_ZNSN_ISO_Lb0ESQ_SR_ST_SU_SY_EESZ_S10_S11_S12_S16_S17_S18_S1B_S1C_jS1D_jS1E_S1E_jjS1G_bEUljE0_EEESZ_S10_S11_S18_S1C_S1E_T6_T7_T9_mT8_S1G_bDpT10_ENKUlT_T0_E_clISt17integral_constantIbLb1EES1U_EEDaS1P_S1Q_EUlS1P_E_NS1_11comp_targetILNS1_3genE4ELNS1_11target_archE910ELNS1_3gpuE8ELNS1_3repE0EEENS1_30default_config_static_selectorELNS0_4arch9wavefront6targetE0EEEvS12_.private_seg_size, 0
	.set _ZN7rocprim17ROCPRIM_400000_NS6detail17trampoline_kernelINS0_13select_configILj256ELj13ELNS0_17block_load_methodE3ELS4_3ELS4_3ELNS0_20block_scan_algorithmE0ELj4294967295EEENS1_25partition_config_selectorILNS1_17partition_subalgoE4EjNS0_10empty_typeEbEEZZNS1_14partition_implILS8_4ELb0ES6_15HIP_vector_typeIjLj2EENS0_17counting_iteratorIjlEEPS9_SG_NS0_5tupleIJPjSI_NS0_16reverse_iteratorISI_EEEEENSH_IJSG_SG_SG_EEES9_SI_JZNS1_25segmented_radix_sort_implINS0_14default_configELb0EPKiPiPKlPlN2at6native12_GLOBAL__N_18offset_tEEE10hipError_tPvRmT1_PNSt15iterator_traitsIS12_E10value_typeET2_T3_PNS13_IS18_E10value_typeET4_jRbjT5_S1E_jjP12ihipStream_tbEUljE_ZNSN_ISO_Lb0ESQ_SR_ST_SU_SY_EESZ_S10_S11_S12_S16_S17_S18_S1B_S1C_jS1D_jS1E_S1E_jjS1G_bEUljE0_EEESZ_S10_S11_S18_S1C_S1E_T6_T7_T9_mT8_S1G_bDpT10_ENKUlT_T0_E_clISt17integral_constantIbLb1EES1U_EEDaS1P_S1Q_EUlS1P_E_NS1_11comp_targetILNS1_3genE4ELNS1_11target_archE910ELNS1_3gpuE8ELNS1_3repE0EEENS1_30default_config_static_selectorELNS0_4arch9wavefront6targetE0EEEvS12_.uses_vcc, 0
	.set _ZN7rocprim17ROCPRIM_400000_NS6detail17trampoline_kernelINS0_13select_configILj256ELj13ELNS0_17block_load_methodE3ELS4_3ELS4_3ELNS0_20block_scan_algorithmE0ELj4294967295EEENS1_25partition_config_selectorILNS1_17partition_subalgoE4EjNS0_10empty_typeEbEEZZNS1_14partition_implILS8_4ELb0ES6_15HIP_vector_typeIjLj2EENS0_17counting_iteratorIjlEEPS9_SG_NS0_5tupleIJPjSI_NS0_16reverse_iteratorISI_EEEEENSH_IJSG_SG_SG_EEES9_SI_JZNS1_25segmented_radix_sort_implINS0_14default_configELb0EPKiPiPKlPlN2at6native12_GLOBAL__N_18offset_tEEE10hipError_tPvRmT1_PNSt15iterator_traitsIS12_E10value_typeET2_T3_PNS13_IS18_E10value_typeET4_jRbjT5_S1E_jjP12ihipStream_tbEUljE_ZNSN_ISO_Lb0ESQ_SR_ST_SU_SY_EESZ_S10_S11_S12_S16_S17_S18_S1B_S1C_jS1D_jS1E_S1E_jjS1G_bEUljE0_EEESZ_S10_S11_S18_S1C_S1E_T6_T7_T9_mT8_S1G_bDpT10_ENKUlT_T0_E_clISt17integral_constantIbLb1EES1U_EEDaS1P_S1Q_EUlS1P_E_NS1_11comp_targetILNS1_3genE4ELNS1_11target_archE910ELNS1_3gpuE8ELNS1_3repE0EEENS1_30default_config_static_selectorELNS0_4arch9wavefront6targetE0EEEvS12_.uses_flat_scratch, 0
	.set _ZN7rocprim17ROCPRIM_400000_NS6detail17trampoline_kernelINS0_13select_configILj256ELj13ELNS0_17block_load_methodE3ELS4_3ELS4_3ELNS0_20block_scan_algorithmE0ELj4294967295EEENS1_25partition_config_selectorILNS1_17partition_subalgoE4EjNS0_10empty_typeEbEEZZNS1_14partition_implILS8_4ELb0ES6_15HIP_vector_typeIjLj2EENS0_17counting_iteratorIjlEEPS9_SG_NS0_5tupleIJPjSI_NS0_16reverse_iteratorISI_EEEEENSH_IJSG_SG_SG_EEES9_SI_JZNS1_25segmented_radix_sort_implINS0_14default_configELb0EPKiPiPKlPlN2at6native12_GLOBAL__N_18offset_tEEE10hipError_tPvRmT1_PNSt15iterator_traitsIS12_E10value_typeET2_T3_PNS13_IS18_E10value_typeET4_jRbjT5_S1E_jjP12ihipStream_tbEUljE_ZNSN_ISO_Lb0ESQ_SR_ST_SU_SY_EESZ_S10_S11_S12_S16_S17_S18_S1B_S1C_jS1D_jS1E_S1E_jjS1G_bEUljE0_EEESZ_S10_S11_S18_S1C_S1E_T6_T7_T9_mT8_S1G_bDpT10_ENKUlT_T0_E_clISt17integral_constantIbLb1EES1U_EEDaS1P_S1Q_EUlS1P_E_NS1_11comp_targetILNS1_3genE4ELNS1_11target_archE910ELNS1_3gpuE8ELNS1_3repE0EEENS1_30default_config_static_selectorELNS0_4arch9wavefront6targetE0EEEvS12_.has_dyn_sized_stack, 0
	.set _ZN7rocprim17ROCPRIM_400000_NS6detail17trampoline_kernelINS0_13select_configILj256ELj13ELNS0_17block_load_methodE3ELS4_3ELS4_3ELNS0_20block_scan_algorithmE0ELj4294967295EEENS1_25partition_config_selectorILNS1_17partition_subalgoE4EjNS0_10empty_typeEbEEZZNS1_14partition_implILS8_4ELb0ES6_15HIP_vector_typeIjLj2EENS0_17counting_iteratorIjlEEPS9_SG_NS0_5tupleIJPjSI_NS0_16reverse_iteratorISI_EEEEENSH_IJSG_SG_SG_EEES9_SI_JZNS1_25segmented_radix_sort_implINS0_14default_configELb0EPKiPiPKlPlN2at6native12_GLOBAL__N_18offset_tEEE10hipError_tPvRmT1_PNSt15iterator_traitsIS12_E10value_typeET2_T3_PNS13_IS18_E10value_typeET4_jRbjT5_S1E_jjP12ihipStream_tbEUljE_ZNSN_ISO_Lb0ESQ_SR_ST_SU_SY_EESZ_S10_S11_S12_S16_S17_S18_S1B_S1C_jS1D_jS1E_S1E_jjS1G_bEUljE0_EEESZ_S10_S11_S18_S1C_S1E_T6_T7_T9_mT8_S1G_bDpT10_ENKUlT_T0_E_clISt17integral_constantIbLb1EES1U_EEDaS1P_S1Q_EUlS1P_E_NS1_11comp_targetILNS1_3genE4ELNS1_11target_archE910ELNS1_3gpuE8ELNS1_3repE0EEENS1_30default_config_static_selectorELNS0_4arch9wavefront6targetE0EEEvS12_.has_recursion, 0
	.set _ZN7rocprim17ROCPRIM_400000_NS6detail17trampoline_kernelINS0_13select_configILj256ELj13ELNS0_17block_load_methodE3ELS4_3ELS4_3ELNS0_20block_scan_algorithmE0ELj4294967295EEENS1_25partition_config_selectorILNS1_17partition_subalgoE4EjNS0_10empty_typeEbEEZZNS1_14partition_implILS8_4ELb0ES6_15HIP_vector_typeIjLj2EENS0_17counting_iteratorIjlEEPS9_SG_NS0_5tupleIJPjSI_NS0_16reverse_iteratorISI_EEEEENSH_IJSG_SG_SG_EEES9_SI_JZNS1_25segmented_radix_sort_implINS0_14default_configELb0EPKiPiPKlPlN2at6native12_GLOBAL__N_18offset_tEEE10hipError_tPvRmT1_PNSt15iterator_traitsIS12_E10value_typeET2_T3_PNS13_IS18_E10value_typeET4_jRbjT5_S1E_jjP12ihipStream_tbEUljE_ZNSN_ISO_Lb0ESQ_SR_ST_SU_SY_EESZ_S10_S11_S12_S16_S17_S18_S1B_S1C_jS1D_jS1E_S1E_jjS1G_bEUljE0_EEESZ_S10_S11_S18_S1C_S1E_T6_T7_T9_mT8_S1G_bDpT10_ENKUlT_T0_E_clISt17integral_constantIbLb1EES1U_EEDaS1P_S1Q_EUlS1P_E_NS1_11comp_targetILNS1_3genE4ELNS1_11target_archE910ELNS1_3gpuE8ELNS1_3repE0EEENS1_30default_config_static_selectorELNS0_4arch9wavefront6targetE0EEEvS12_.has_indirect_call, 0
	.section	.AMDGPU.csdata,"",@progbits
; Kernel info:
; codeLenInByte = 0
; TotalNumSgprs: 0
; NumVgprs: 0
; ScratchSize: 0
; MemoryBound: 0
; FloatMode: 240
; IeeeMode: 1
; LDSByteSize: 0 bytes/workgroup (compile time only)
; SGPRBlocks: 0
; VGPRBlocks: 0
; NumSGPRsForWavesPerEU: 1
; NumVGPRsForWavesPerEU: 1
; Occupancy: 16
; WaveLimiterHint : 0
; COMPUTE_PGM_RSRC2:SCRATCH_EN: 0
; COMPUTE_PGM_RSRC2:USER_SGPR: 2
; COMPUTE_PGM_RSRC2:TRAP_HANDLER: 0
; COMPUTE_PGM_RSRC2:TGID_X_EN: 1
; COMPUTE_PGM_RSRC2:TGID_Y_EN: 0
; COMPUTE_PGM_RSRC2:TGID_Z_EN: 0
; COMPUTE_PGM_RSRC2:TIDIG_COMP_CNT: 0
	.section	.text._ZN7rocprim17ROCPRIM_400000_NS6detail17trampoline_kernelINS0_13select_configILj256ELj13ELNS0_17block_load_methodE3ELS4_3ELS4_3ELNS0_20block_scan_algorithmE0ELj4294967295EEENS1_25partition_config_selectorILNS1_17partition_subalgoE4EjNS0_10empty_typeEbEEZZNS1_14partition_implILS8_4ELb0ES6_15HIP_vector_typeIjLj2EENS0_17counting_iteratorIjlEEPS9_SG_NS0_5tupleIJPjSI_NS0_16reverse_iteratorISI_EEEEENSH_IJSG_SG_SG_EEES9_SI_JZNS1_25segmented_radix_sort_implINS0_14default_configELb0EPKiPiPKlPlN2at6native12_GLOBAL__N_18offset_tEEE10hipError_tPvRmT1_PNSt15iterator_traitsIS12_E10value_typeET2_T3_PNS13_IS18_E10value_typeET4_jRbjT5_S1E_jjP12ihipStream_tbEUljE_ZNSN_ISO_Lb0ESQ_SR_ST_SU_SY_EESZ_S10_S11_S12_S16_S17_S18_S1B_S1C_jS1D_jS1E_S1E_jjS1G_bEUljE0_EEESZ_S10_S11_S18_S1C_S1E_T6_T7_T9_mT8_S1G_bDpT10_ENKUlT_T0_E_clISt17integral_constantIbLb1EES1U_EEDaS1P_S1Q_EUlS1P_E_NS1_11comp_targetILNS1_3genE3ELNS1_11target_archE908ELNS1_3gpuE7ELNS1_3repE0EEENS1_30default_config_static_selectorELNS0_4arch9wavefront6targetE0EEEvS12_,"axG",@progbits,_ZN7rocprim17ROCPRIM_400000_NS6detail17trampoline_kernelINS0_13select_configILj256ELj13ELNS0_17block_load_methodE3ELS4_3ELS4_3ELNS0_20block_scan_algorithmE0ELj4294967295EEENS1_25partition_config_selectorILNS1_17partition_subalgoE4EjNS0_10empty_typeEbEEZZNS1_14partition_implILS8_4ELb0ES6_15HIP_vector_typeIjLj2EENS0_17counting_iteratorIjlEEPS9_SG_NS0_5tupleIJPjSI_NS0_16reverse_iteratorISI_EEEEENSH_IJSG_SG_SG_EEES9_SI_JZNS1_25segmented_radix_sort_implINS0_14default_configELb0EPKiPiPKlPlN2at6native12_GLOBAL__N_18offset_tEEE10hipError_tPvRmT1_PNSt15iterator_traitsIS12_E10value_typeET2_T3_PNS13_IS18_E10value_typeET4_jRbjT5_S1E_jjP12ihipStream_tbEUljE_ZNSN_ISO_Lb0ESQ_SR_ST_SU_SY_EESZ_S10_S11_S12_S16_S17_S18_S1B_S1C_jS1D_jS1E_S1E_jjS1G_bEUljE0_EEESZ_S10_S11_S18_S1C_S1E_T6_T7_T9_mT8_S1G_bDpT10_ENKUlT_T0_E_clISt17integral_constantIbLb1EES1U_EEDaS1P_S1Q_EUlS1P_E_NS1_11comp_targetILNS1_3genE3ELNS1_11target_archE908ELNS1_3gpuE7ELNS1_3repE0EEENS1_30default_config_static_selectorELNS0_4arch9wavefront6targetE0EEEvS12_,comdat
	.globl	_ZN7rocprim17ROCPRIM_400000_NS6detail17trampoline_kernelINS0_13select_configILj256ELj13ELNS0_17block_load_methodE3ELS4_3ELS4_3ELNS0_20block_scan_algorithmE0ELj4294967295EEENS1_25partition_config_selectorILNS1_17partition_subalgoE4EjNS0_10empty_typeEbEEZZNS1_14partition_implILS8_4ELb0ES6_15HIP_vector_typeIjLj2EENS0_17counting_iteratorIjlEEPS9_SG_NS0_5tupleIJPjSI_NS0_16reverse_iteratorISI_EEEEENSH_IJSG_SG_SG_EEES9_SI_JZNS1_25segmented_radix_sort_implINS0_14default_configELb0EPKiPiPKlPlN2at6native12_GLOBAL__N_18offset_tEEE10hipError_tPvRmT1_PNSt15iterator_traitsIS12_E10value_typeET2_T3_PNS13_IS18_E10value_typeET4_jRbjT5_S1E_jjP12ihipStream_tbEUljE_ZNSN_ISO_Lb0ESQ_SR_ST_SU_SY_EESZ_S10_S11_S12_S16_S17_S18_S1B_S1C_jS1D_jS1E_S1E_jjS1G_bEUljE0_EEESZ_S10_S11_S18_S1C_S1E_T6_T7_T9_mT8_S1G_bDpT10_ENKUlT_T0_E_clISt17integral_constantIbLb1EES1U_EEDaS1P_S1Q_EUlS1P_E_NS1_11comp_targetILNS1_3genE3ELNS1_11target_archE908ELNS1_3gpuE7ELNS1_3repE0EEENS1_30default_config_static_selectorELNS0_4arch9wavefront6targetE0EEEvS12_ ; -- Begin function _ZN7rocprim17ROCPRIM_400000_NS6detail17trampoline_kernelINS0_13select_configILj256ELj13ELNS0_17block_load_methodE3ELS4_3ELS4_3ELNS0_20block_scan_algorithmE0ELj4294967295EEENS1_25partition_config_selectorILNS1_17partition_subalgoE4EjNS0_10empty_typeEbEEZZNS1_14partition_implILS8_4ELb0ES6_15HIP_vector_typeIjLj2EENS0_17counting_iteratorIjlEEPS9_SG_NS0_5tupleIJPjSI_NS0_16reverse_iteratorISI_EEEEENSH_IJSG_SG_SG_EEES9_SI_JZNS1_25segmented_radix_sort_implINS0_14default_configELb0EPKiPiPKlPlN2at6native12_GLOBAL__N_18offset_tEEE10hipError_tPvRmT1_PNSt15iterator_traitsIS12_E10value_typeET2_T3_PNS13_IS18_E10value_typeET4_jRbjT5_S1E_jjP12ihipStream_tbEUljE_ZNSN_ISO_Lb0ESQ_SR_ST_SU_SY_EESZ_S10_S11_S12_S16_S17_S18_S1B_S1C_jS1D_jS1E_S1E_jjS1G_bEUljE0_EEESZ_S10_S11_S18_S1C_S1E_T6_T7_T9_mT8_S1G_bDpT10_ENKUlT_T0_E_clISt17integral_constantIbLb1EES1U_EEDaS1P_S1Q_EUlS1P_E_NS1_11comp_targetILNS1_3genE3ELNS1_11target_archE908ELNS1_3gpuE7ELNS1_3repE0EEENS1_30default_config_static_selectorELNS0_4arch9wavefront6targetE0EEEvS12_
	.p2align	8
	.type	_ZN7rocprim17ROCPRIM_400000_NS6detail17trampoline_kernelINS0_13select_configILj256ELj13ELNS0_17block_load_methodE3ELS4_3ELS4_3ELNS0_20block_scan_algorithmE0ELj4294967295EEENS1_25partition_config_selectorILNS1_17partition_subalgoE4EjNS0_10empty_typeEbEEZZNS1_14partition_implILS8_4ELb0ES6_15HIP_vector_typeIjLj2EENS0_17counting_iteratorIjlEEPS9_SG_NS0_5tupleIJPjSI_NS0_16reverse_iteratorISI_EEEEENSH_IJSG_SG_SG_EEES9_SI_JZNS1_25segmented_radix_sort_implINS0_14default_configELb0EPKiPiPKlPlN2at6native12_GLOBAL__N_18offset_tEEE10hipError_tPvRmT1_PNSt15iterator_traitsIS12_E10value_typeET2_T3_PNS13_IS18_E10value_typeET4_jRbjT5_S1E_jjP12ihipStream_tbEUljE_ZNSN_ISO_Lb0ESQ_SR_ST_SU_SY_EESZ_S10_S11_S12_S16_S17_S18_S1B_S1C_jS1D_jS1E_S1E_jjS1G_bEUljE0_EEESZ_S10_S11_S18_S1C_S1E_T6_T7_T9_mT8_S1G_bDpT10_ENKUlT_T0_E_clISt17integral_constantIbLb1EES1U_EEDaS1P_S1Q_EUlS1P_E_NS1_11comp_targetILNS1_3genE3ELNS1_11target_archE908ELNS1_3gpuE7ELNS1_3repE0EEENS1_30default_config_static_selectorELNS0_4arch9wavefront6targetE0EEEvS12_,@function
_ZN7rocprim17ROCPRIM_400000_NS6detail17trampoline_kernelINS0_13select_configILj256ELj13ELNS0_17block_load_methodE3ELS4_3ELS4_3ELNS0_20block_scan_algorithmE0ELj4294967295EEENS1_25partition_config_selectorILNS1_17partition_subalgoE4EjNS0_10empty_typeEbEEZZNS1_14partition_implILS8_4ELb0ES6_15HIP_vector_typeIjLj2EENS0_17counting_iteratorIjlEEPS9_SG_NS0_5tupleIJPjSI_NS0_16reverse_iteratorISI_EEEEENSH_IJSG_SG_SG_EEES9_SI_JZNS1_25segmented_radix_sort_implINS0_14default_configELb0EPKiPiPKlPlN2at6native12_GLOBAL__N_18offset_tEEE10hipError_tPvRmT1_PNSt15iterator_traitsIS12_E10value_typeET2_T3_PNS13_IS18_E10value_typeET4_jRbjT5_S1E_jjP12ihipStream_tbEUljE_ZNSN_ISO_Lb0ESQ_SR_ST_SU_SY_EESZ_S10_S11_S12_S16_S17_S18_S1B_S1C_jS1D_jS1E_S1E_jjS1G_bEUljE0_EEESZ_S10_S11_S18_S1C_S1E_T6_T7_T9_mT8_S1G_bDpT10_ENKUlT_T0_E_clISt17integral_constantIbLb1EES1U_EEDaS1P_S1Q_EUlS1P_E_NS1_11comp_targetILNS1_3genE3ELNS1_11target_archE908ELNS1_3gpuE7ELNS1_3repE0EEENS1_30default_config_static_selectorELNS0_4arch9wavefront6targetE0EEEvS12_: ; @_ZN7rocprim17ROCPRIM_400000_NS6detail17trampoline_kernelINS0_13select_configILj256ELj13ELNS0_17block_load_methodE3ELS4_3ELS4_3ELNS0_20block_scan_algorithmE0ELj4294967295EEENS1_25partition_config_selectorILNS1_17partition_subalgoE4EjNS0_10empty_typeEbEEZZNS1_14partition_implILS8_4ELb0ES6_15HIP_vector_typeIjLj2EENS0_17counting_iteratorIjlEEPS9_SG_NS0_5tupleIJPjSI_NS0_16reverse_iteratorISI_EEEEENSH_IJSG_SG_SG_EEES9_SI_JZNS1_25segmented_radix_sort_implINS0_14default_configELb0EPKiPiPKlPlN2at6native12_GLOBAL__N_18offset_tEEE10hipError_tPvRmT1_PNSt15iterator_traitsIS12_E10value_typeET2_T3_PNS13_IS18_E10value_typeET4_jRbjT5_S1E_jjP12ihipStream_tbEUljE_ZNSN_ISO_Lb0ESQ_SR_ST_SU_SY_EESZ_S10_S11_S12_S16_S17_S18_S1B_S1C_jS1D_jS1E_S1E_jjS1G_bEUljE0_EEESZ_S10_S11_S18_S1C_S1E_T6_T7_T9_mT8_S1G_bDpT10_ENKUlT_T0_E_clISt17integral_constantIbLb1EES1U_EEDaS1P_S1Q_EUlS1P_E_NS1_11comp_targetILNS1_3genE3ELNS1_11target_archE908ELNS1_3gpuE7ELNS1_3repE0EEENS1_30default_config_static_selectorELNS0_4arch9wavefront6targetE0EEEvS12_
; %bb.0:
	.section	.rodata,"a",@progbits
	.p2align	6, 0x0
	.amdhsa_kernel _ZN7rocprim17ROCPRIM_400000_NS6detail17trampoline_kernelINS0_13select_configILj256ELj13ELNS0_17block_load_methodE3ELS4_3ELS4_3ELNS0_20block_scan_algorithmE0ELj4294967295EEENS1_25partition_config_selectorILNS1_17partition_subalgoE4EjNS0_10empty_typeEbEEZZNS1_14partition_implILS8_4ELb0ES6_15HIP_vector_typeIjLj2EENS0_17counting_iteratorIjlEEPS9_SG_NS0_5tupleIJPjSI_NS0_16reverse_iteratorISI_EEEEENSH_IJSG_SG_SG_EEES9_SI_JZNS1_25segmented_radix_sort_implINS0_14default_configELb0EPKiPiPKlPlN2at6native12_GLOBAL__N_18offset_tEEE10hipError_tPvRmT1_PNSt15iterator_traitsIS12_E10value_typeET2_T3_PNS13_IS18_E10value_typeET4_jRbjT5_S1E_jjP12ihipStream_tbEUljE_ZNSN_ISO_Lb0ESQ_SR_ST_SU_SY_EESZ_S10_S11_S12_S16_S17_S18_S1B_S1C_jS1D_jS1E_S1E_jjS1G_bEUljE0_EEESZ_S10_S11_S18_S1C_S1E_T6_T7_T9_mT8_S1G_bDpT10_ENKUlT_T0_E_clISt17integral_constantIbLb1EES1U_EEDaS1P_S1Q_EUlS1P_E_NS1_11comp_targetILNS1_3genE3ELNS1_11target_archE908ELNS1_3gpuE7ELNS1_3repE0EEENS1_30default_config_static_selectorELNS0_4arch9wavefront6targetE0EEEvS12_
		.amdhsa_group_segment_fixed_size 0
		.amdhsa_private_segment_fixed_size 0
		.amdhsa_kernarg_size 184
		.amdhsa_user_sgpr_count 2
		.amdhsa_user_sgpr_dispatch_ptr 0
		.amdhsa_user_sgpr_queue_ptr 0
		.amdhsa_user_sgpr_kernarg_segment_ptr 1
		.amdhsa_user_sgpr_dispatch_id 0
		.amdhsa_user_sgpr_private_segment_size 0
		.amdhsa_wavefront_size32 1
		.amdhsa_uses_dynamic_stack 0
		.amdhsa_enable_private_segment 0
		.amdhsa_system_sgpr_workgroup_id_x 1
		.amdhsa_system_sgpr_workgroup_id_y 0
		.amdhsa_system_sgpr_workgroup_id_z 0
		.amdhsa_system_sgpr_workgroup_info 0
		.amdhsa_system_vgpr_workitem_id 0
		.amdhsa_next_free_vgpr 1
		.amdhsa_next_free_sgpr 1
		.amdhsa_reserve_vcc 0
		.amdhsa_float_round_mode_32 0
		.amdhsa_float_round_mode_16_64 0
		.amdhsa_float_denorm_mode_32 3
		.amdhsa_float_denorm_mode_16_64 3
		.amdhsa_fp16_overflow 0
		.amdhsa_workgroup_processor_mode 1
		.amdhsa_memory_ordered 1
		.amdhsa_forward_progress 1
		.amdhsa_inst_pref_size 0
		.amdhsa_round_robin_scheduling 0
		.amdhsa_exception_fp_ieee_invalid_op 0
		.amdhsa_exception_fp_denorm_src 0
		.amdhsa_exception_fp_ieee_div_zero 0
		.amdhsa_exception_fp_ieee_overflow 0
		.amdhsa_exception_fp_ieee_underflow 0
		.amdhsa_exception_fp_ieee_inexact 0
		.amdhsa_exception_int_div_zero 0
	.end_amdhsa_kernel
	.section	.text._ZN7rocprim17ROCPRIM_400000_NS6detail17trampoline_kernelINS0_13select_configILj256ELj13ELNS0_17block_load_methodE3ELS4_3ELS4_3ELNS0_20block_scan_algorithmE0ELj4294967295EEENS1_25partition_config_selectorILNS1_17partition_subalgoE4EjNS0_10empty_typeEbEEZZNS1_14partition_implILS8_4ELb0ES6_15HIP_vector_typeIjLj2EENS0_17counting_iteratorIjlEEPS9_SG_NS0_5tupleIJPjSI_NS0_16reverse_iteratorISI_EEEEENSH_IJSG_SG_SG_EEES9_SI_JZNS1_25segmented_radix_sort_implINS0_14default_configELb0EPKiPiPKlPlN2at6native12_GLOBAL__N_18offset_tEEE10hipError_tPvRmT1_PNSt15iterator_traitsIS12_E10value_typeET2_T3_PNS13_IS18_E10value_typeET4_jRbjT5_S1E_jjP12ihipStream_tbEUljE_ZNSN_ISO_Lb0ESQ_SR_ST_SU_SY_EESZ_S10_S11_S12_S16_S17_S18_S1B_S1C_jS1D_jS1E_S1E_jjS1G_bEUljE0_EEESZ_S10_S11_S18_S1C_S1E_T6_T7_T9_mT8_S1G_bDpT10_ENKUlT_T0_E_clISt17integral_constantIbLb1EES1U_EEDaS1P_S1Q_EUlS1P_E_NS1_11comp_targetILNS1_3genE3ELNS1_11target_archE908ELNS1_3gpuE7ELNS1_3repE0EEENS1_30default_config_static_selectorELNS0_4arch9wavefront6targetE0EEEvS12_,"axG",@progbits,_ZN7rocprim17ROCPRIM_400000_NS6detail17trampoline_kernelINS0_13select_configILj256ELj13ELNS0_17block_load_methodE3ELS4_3ELS4_3ELNS0_20block_scan_algorithmE0ELj4294967295EEENS1_25partition_config_selectorILNS1_17partition_subalgoE4EjNS0_10empty_typeEbEEZZNS1_14partition_implILS8_4ELb0ES6_15HIP_vector_typeIjLj2EENS0_17counting_iteratorIjlEEPS9_SG_NS0_5tupleIJPjSI_NS0_16reverse_iteratorISI_EEEEENSH_IJSG_SG_SG_EEES9_SI_JZNS1_25segmented_radix_sort_implINS0_14default_configELb0EPKiPiPKlPlN2at6native12_GLOBAL__N_18offset_tEEE10hipError_tPvRmT1_PNSt15iterator_traitsIS12_E10value_typeET2_T3_PNS13_IS18_E10value_typeET4_jRbjT5_S1E_jjP12ihipStream_tbEUljE_ZNSN_ISO_Lb0ESQ_SR_ST_SU_SY_EESZ_S10_S11_S12_S16_S17_S18_S1B_S1C_jS1D_jS1E_S1E_jjS1G_bEUljE0_EEESZ_S10_S11_S18_S1C_S1E_T6_T7_T9_mT8_S1G_bDpT10_ENKUlT_T0_E_clISt17integral_constantIbLb1EES1U_EEDaS1P_S1Q_EUlS1P_E_NS1_11comp_targetILNS1_3genE3ELNS1_11target_archE908ELNS1_3gpuE7ELNS1_3repE0EEENS1_30default_config_static_selectorELNS0_4arch9wavefront6targetE0EEEvS12_,comdat
.Lfunc_end547:
	.size	_ZN7rocprim17ROCPRIM_400000_NS6detail17trampoline_kernelINS0_13select_configILj256ELj13ELNS0_17block_load_methodE3ELS4_3ELS4_3ELNS0_20block_scan_algorithmE0ELj4294967295EEENS1_25partition_config_selectorILNS1_17partition_subalgoE4EjNS0_10empty_typeEbEEZZNS1_14partition_implILS8_4ELb0ES6_15HIP_vector_typeIjLj2EENS0_17counting_iteratorIjlEEPS9_SG_NS0_5tupleIJPjSI_NS0_16reverse_iteratorISI_EEEEENSH_IJSG_SG_SG_EEES9_SI_JZNS1_25segmented_radix_sort_implINS0_14default_configELb0EPKiPiPKlPlN2at6native12_GLOBAL__N_18offset_tEEE10hipError_tPvRmT1_PNSt15iterator_traitsIS12_E10value_typeET2_T3_PNS13_IS18_E10value_typeET4_jRbjT5_S1E_jjP12ihipStream_tbEUljE_ZNSN_ISO_Lb0ESQ_SR_ST_SU_SY_EESZ_S10_S11_S12_S16_S17_S18_S1B_S1C_jS1D_jS1E_S1E_jjS1G_bEUljE0_EEESZ_S10_S11_S18_S1C_S1E_T6_T7_T9_mT8_S1G_bDpT10_ENKUlT_T0_E_clISt17integral_constantIbLb1EES1U_EEDaS1P_S1Q_EUlS1P_E_NS1_11comp_targetILNS1_3genE3ELNS1_11target_archE908ELNS1_3gpuE7ELNS1_3repE0EEENS1_30default_config_static_selectorELNS0_4arch9wavefront6targetE0EEEvS12_, .Lfunc_end547-_ZN7rocprim17ROCPRIM_400000_NS6detail17trampoline_kernelINS0_13select_configILj256ELj13ELNS0_17block_load_methodE3ELS4_3ELS4_3ELNS0_20block_scan_algorithmE0ELj4294967295EEENS1_25partition_config_selectorILNS1_17partition_subalgoE4EjNS0_10empty_typeEbEEZZNS1_14partition_implILS8_4ELb0ES6_15HIP_vector_typeIjLj2EENS0_17counting_iteratorIjlEEPS9_SG_NS0_5tupleIJPjSI_NS0_16reverse_iteratorISI_EEEEENSH_IJSG_SG_SG_EEES9_SI_JZNS1_25segmented_radix_sort_implINS0_14default_configELb0EPKiPiPKlPlN2at6native12_GLOBAL__N_18offset_tEEE10hipError_tPvRmT1_PNSt15iterator_traitsIS12_E10value_typeET2_T3_PNS13_IS18_E10value_typeET4_jRbjT5_S1E_jjP12ihipStream_tbEUljE_ZNSN_ISO_Lb0ESQ_SR_ST_SU_SY_EESZ_S10_S11_S12_S16_S17_S18_S1B_S1C_jS1D_jS1E_S1E_jjS1G_bEUljE0_EEESZ_S10_S11_S18_S1C_S1E_T6_T7_T9_mT8_S1G_bDpT10_ENKUlT_T0_E_clISt17integral_constantIbLb1EES1U_EEDaS1P_S1Q_EUlS1P_E_NS1_11comp_targetILNS1_3genE3ELNS1_11target_archE908ELNS1_3gpuE7ELNS1_3repE0EEENS1_30default_config_static_selectorELNS0_4arch9wavefront6targetE0EEEvS12_
                                        ; -- End function
	.set _ZN7rocprim17ROCPRIM_400000_NS6detail17trampoline_kernelINS0_13select_configILj256ELj13ELNS0_17block_load_methodE3ELS4_3ELS4_3ELNS0_20block_scan_algorithmE0ELj4294967295EEENS1_25partition_config_selectorILNS1_17partition_subalgoE4EjNS0_10empty_typeEbEEZZNS1_14partition_implILS8_4ELb0ES6_15HIP_vector_typeIjLj2EENS0_17counting_iteratorIjlEEPS9_SG_NS0_5tupleIJPjSI_NS0_16reverse_iteratorISI_EEEEENSH_IJSG_SG_SG_EEES9_SI_JZNS1_25segmented_radix_sort_implINS0_14default_configELb0EPKiPiPKlPlN2at6native12_GLOBAL__N_18offset_tEEE10hipError_tPvRmT1_PNSt15iterator_traitsIS12_E10value_typeET2_T3_PNS13_IS18_E10value_typeET4_jRbjT5_S1E_jjP12ihipStream_tbEUljE_ZNSN_ISO_Lb0ESQ_SR_ST_SU_SY_EESZ_S10_S11_S12_S16_S17_S18_S1B_S1C_jS1D_jS1E_S1E_jjS1G_bEUljE0_EEESZ_S10_S11_S18_S1C_S1E_T6_T7_T9_mT8_S1G_bDpT10_ENKUlT_T0_E_clISt17integral_constantIbLb1EES1U_EEDaS1P_S1Q_EUlS1P_E_NS1_11comp_targetILNS1_3genE3ELNS1_11target_archE908ELNS1_3gpuE7ELNS1_3repE0EEENS1_30default_config_static_selectorELNS0_4arch9wavefront6targetE0EEEvS12_.num_vgpr, 0
	.set _ZN7rocprim17ROCPRIM_400000_NS6detail17trampoline_kernelINS0_13select_configILj256ELj13ELNS0_17block_load_methodE3ELS4_3ELS4_3ELNS0_20block_scan_algorithmE0ELj4294967295EEENS1_25partition_config_selectorILNS1_17partition_subalgoE4EjNS0_10empty_typeEbEEZZNS1_14partition_implILS8_4ELb0ES6_15HIP_vector_typeIjLj2EENS0_17counting_iteratorIjlEEPS9_SG_NS0_5tupleIJPjSI_NS0_16reverse_iteratorISI_EEEEENSH_IJSG_SG_SG_EEES9_SI_JZNS1_25segmented_radix_sort_implINS0_14default_configELb0EPKiPiPKlPlN2at6native12_GLOBAL__N_18offset_tEEE10hipError_tPvRmT1_PNSt15iterator_traitsIS12_E10value_typeET2_T3_PNS13_IS18_E10value_typeET4_jRbjT5_S1E_jjP12ihipStream_tbEUljE_ZNSN_ISO_Lb0ESQ_SR_ST_SU_SY_EESZ_S10_S11_S12_S16_S17_S18_S1B_S1C_jS1D_jS1E_S1E_jjS1G_bEUljE0_EEESZ_S10_S11_S18_S1C_S1E_T6_T7_T9_mT8_S1G_bDpT10_ENKUlT_T0_E_clISt17integral_constantIbLb1EES1U_EEDaS1P_S1Q_EUlS1P_E_NS1_11comp_targetILNS1_3genE3ELNS1_11target_archE908ELNS1_3gpuE7ELNS1_3repE0EEENS1_30default_config_static_selectorELNS0_4arch9wavefront6targetE0EEEvS12_.num_agpr, 0
	.set _ZN7rocprim17ROCPRIM_400000_NS6detail17trampoline_kernelINS0_13select_configILj256ELj13ELNS0_17block_load_methodE3ELS4_3ELS4_3ELNS0_20block_scan_algorithmE0ELj4294967295EEENS1_25partition_config_selectorILNS1_17partition_subalgoE4EjNS0_10empty_typeEbEEZZNS1_14partition_implILS8_4ELb0ES6_15HIP_vector_typeIjLj2EENS0_17counting_iteratorIjlEEPS9_SG_NS0_5tupleIJPjSI_NS0_16reverse_iteratorISI_EEEEENSH_IJSG_SG_SG_EEES9_SI_JZNS1_25segmented_radix_sort_implINS0_14default_configELb0EPKiPiPKlPlN2at6native12_GLOBAL__N_18offset_tEEE10hipError_tPvRmT1_PNSt15iterator_traitsIS12_E10value_typeET2_T3_PNS13_IS18_E10value_typeET4_jRbjT5_S1E_jjP12ihipStream_tbEUljE_ZNSN_ISO_Lb0ESQ_SR_ST_SU_SY_EESZ_S10_S11_S12_S16_S17_S18_S1B_S1C_jS1D_jS1E_S1E_jjS1G_bEUljE0_EEESZ_S10_S11_S18_S1C_S1E_T6_T7_T9_mT8_S1G_bDpT10_ENKUlT_T0_E_clISt17integral_constantIbLb1EES1U_EEDaS1P_S1Q_EUlS1P_E_NS1_11comp_targetILNS1_3genE3ELNS1_11target_archE908ELNS1_3gpuE7ELNS1_3repE0EEENS1_30default_config_static_selectorELNS0_4arch9wavefront6targetE0EEEvS12_.numbered_sgpr, 0
	.set _ZN7rocprim17ROCPRIM_400000_NS6detail17trampoline_kernelINS0_13select_configILj256ELj13ELNS0_17block_load_methodE3ELS4_3ELS4_3ELNS0_20block_scan_algorithmE0ELj4294967295EEENS1_25partition_config_selectorILNS1_17partition_subalgoE4EjNS0_10empty_typeEbEEZZNS1_14partition_implILS8_4ELb0ES6_15HIP_vector_typeIjLj2EENS0_17counting_iteratorIjlEEPS9_SG_NS0_5tupleIJPjSI_NS0_16reverse_iteratorISI_EEEEENSH_IJSG_SG_SG_EEES9_SI_JZNS1_25segmented_radix_sort_implINS0_14default_configELb0EPKiPiPKlPlN2at6native12_GLOBAL__N_18offset_tEEE10hipError_tPvRmT1_PNSt15iterator_traitsIS12_E10value_typeET2_T3_PNS13_IS18_E10value_typeET4_jRbjT5_S1E_jjP12ihipStream_tbEUljE_ZNSN_ISO_Lb0ESQ_SR_ST_SU_SY_EESZ_S10_S11_S12_S16_S17_S18_S1B_S1C_jS1D_jS1E_S1E_jjS1G_bEUljE0_EEESZ_S10_S11_S18_S1C_S1E_T6_T7_T9_mT8_S1G_bDpT10_ENKUlT_T0_E_clISt17integral_constantIbLb1EES1U_EEDaS1P_S1Q_EUlS1P_E_NS1_11comp_targetILNS1_3genE3ELNS1_11target_archE908ELNS1_3gpuE7ELNS1_3repE0EEENS1_30default_config_static_selectorELNS0_4arch9wavefront6targetE0EEEvS12_.num_named_barrier, 0
	.set _ZN7rocprim17ROCPRIM_400000_NS6detail17trampoline_kernelINS0_13select_configILj256ELj13ELNS0_17block_load_methodE3ELS4_3ELS4_3ELNS0_20block_scan_algorithmE0ELj4294967295EEENS1_25partition_config_selectorILNS1_17partition_subalgoE4EjNS0_10empty_typeEbEEZZNS1_14partition_implILS8_4ELb0ES6_15HIP_vector_typeIjLj2EENS0_17counting_iteratorIjlEEPS9_SG_NS0_5tupleIJPjSI_NS0_16reverse_iteratorISI_EEEEENSH_IJSG_SG_SG_EEES9_SI_JZNS1_25segmented_radix_sort_implINS0_14default_configELb0EPKiPiPKlPlN2at6native12_GLOBAL__N_18offset_tEEE10hipError_tPvRmT1_PNSt15iterator_traitsIS12_E10value_typeET2_T3_PNS13_IS18_E10value_typeET4_jRbjT5_S1E_jjP12ihipStream_tbEUljE_ZNSN_ISO_Lb0ESQ_SR_ST_SU_SY_EESZ_S10_S11_S12_S16_S17_S18_S1B_S1C_jS1D_jS1E_S1E_jjS1G_bEUljE0_EEESZ_S10_S11_S18_S1C_S1E_T6_T7_T9_mT8_S1G_bDpT10_ENKUlT_T0_E_clISt17integral_constantIbLb1EES1U_EEDaS1P_S1Q_EUlS1P_E_NS1_11comp_targetILNS1_3genE3ELNS1_11target_archE908ELNS1_3gpuE7ELNS1_3repE0EEENS1_30default_config_static_selectorELNS0_4arch9wavefront6targetE0EEEvS12_.private_seg_size, 0
	.set _ZN7rocprim17ROCPRIM_400000_NS6detail17trampoline_kernelINS0_13select_configILj256ELj13ELNS0_17block_load_methodE3ELS4_3ELS4_3ELNS0_20block_scan_algorithmE0ELj4294967295EEENS1_25partition_config_selectorILNS1_17partition_subalgoE4EjNS0_10empty_typeEbEEZZNS1_14partition_implILS8_4ELb0ES6_15HIP_vector_typeIjLj2EENS0_17counting_iteratorIjlEEPS9_SG_NS0_5tupleIJPjSI_NS0_16reverse_iteratorISI_EEEEENSH_IJSG_SG_SG_EEES9_SI_JZNS1_25segmented_radix_sort_implINS0_14default_configELb0EPKiPiPKlPlN2at6native12_GLOBAL__N_18offset_tEEE10hipError_tPvRmT1_PNSt15iterator_traitsIS12_E10value_typeET2_T3_PNS13_IS18_E10value_typeET4_jRbjT5_S1E_jjP12ihipStream_tbEUljE_ZNSN_ISO_Lb0ESQ_SR_ST_SU_SY_EESZ_S10_S11_S12_S16_S17_S18_S1B_S1C_jS1D_jS1E_S1E_jjS1G_bEUljE0_EEESZ_S10_S11_S18_S1C_S1E_T6_T7_T9_mT8_S1G_bDpT10_ENKUlT_T0_E_clISt17integral_constantIbLb1EES1U_EEDaS1P_S1Q_EUlS1P_E_NS1_11comp_targetILNS1_3genE3ELNS1_11target_archE908ELNS1_3gpuE7ELNS1_3repE0EEENS1_30default_config_static_selectorELNS0_4arch9wavefront6targetE0EEEvS12_.uses_vcc, 0
	.set _ZN7rocprim17ROCPRIM_400000_NS6detail17trampoline_kernelINS0_13select_configILj256ELj13ELNS0_17block_load_methodE3ELS4_3ELS4_3ELNS0_20block_scan_algorithmE0ELj4294967295EEENS1_25partition_config_selectorILNS1_17partition_subalgoE4EjNS0_10empty_typeEbEEZZNS1_14partition_implILS8_4ELb0ES6_15HIP_vector_typeIjLj2EENS0_17counting_iteratorIjlEEPS9_SG_NS0_5tupleIJPjSI_NS0_16reverse_iteratorISI_EEEEENSH_IJSG_SG_SG_EEES9_SI_JZNS1_25segmented_radix_sort_implINS0_14default_configELb0EPKiPiPKlPlN2at6native12_GLOBAL__N_18offset_tEEE10hipError_tPvRmT1_PNSt15iterator_traitsIS12_E10value_typeET2_T3_PNS13_IS18_E10value_typeET4_jRbjT5_S1E_jjP12ihipStream_tbEUljE_ZNSN_ISO_Lb0ESQ_SR_ST_SU_SY_EESZ_S10_S11_S12_S16_S17_S18_S1B_S1C_jS1D_jS1E_S1E_jjS1G_bEUljE0_EEESZ_S10_S11_S18_S1C_S1E_T6_T7_T9_mT8_S1G_bDpT10_ENKUlT_T0_E_clISt17integral_constantIbLb1EES1U_EEDaS1P_S1Q_EUlS1P_E_NS1_11comp_targetILNS1_3genE3ELNS1_11target_archE908ELNS1_3gpuE7ELNS1_3repE0EEENS1_30default_config_static_selectorELNS0_4arch9wavefront6targetE0EEEvS12_.uses_flat_scratch, 0
	.set _ZN7rocprim17ROCPRIM_400000_NS6detail17trampoline_kernelINS0_13select_configILj256ELj13ELNS0_17block_load_methodE3ELS4_3ELS4_3ELNS0_20block_scan_algorithmE0ELj4294967295EEENS1_25partition_config_selectorILNS1_17partition_subalgoE4EjNS0_10empty_typeEbEEZZNS1_14partition_implILS8_4ELb0ES6_15HIP_vector_typeIjLj2EENS0_17counting_iteratorIjlEEPS9_SG_NS0_5tupleIJPjSI_NS0_16reverse_iteratorISI_EEEEENSH_IJSG_SG_SG_EEES9_SI_JZNS1_25segmented_radix_sort_implINS0_14default_configELb0EPKiPiPKlPlN2at6native12_GLOBAL__N_18offset_tEEE10hipError_tPvRmT1_PNSt15iterator_traitsIS12_E10value_typeET2_T3_PNS13_IS18_E10value_typeET4_jRbjT5_S1E_jjP12ihipStream_tbEUljE_ZNSN_ISO_Lb0ESQ_SR_ST_SU_SY_EESZ_S10_S11_S12_S16_S17_S18_S1B_S1C_jS1D_jS1E_S1E_jjS1G_bEUljE0_EEESZ_S10_S11_S18_S1C_S1E_T6_T7_T9_mT8_S1G_bDpT10_ENKUlT_T0_E_clISt17integral_constantIbLb1EES1U_EEDaS1P_S1Q_EUlS1P_E_NS1_11comp_targetILNS1_3genE3ELNS1_11target_archE908ELNS1_3gpuE7ELNS1_3repE0EEENS1_30default_config_static_selectorELNS0_4arch9wavefront6targetE0EEEvS12_.has_dyn_sized_stack, 0
	.set _ZN7rocprim17ROCPRIM_400000_NS6detail17trampoline_kernelINS0_13select_configILj256ELj13ELNS0_17block_load_methodE3ELS4_3ELS4_3ELNS0_20block_scan_algorithmE0ELj4294967295EEENS1_25partition_config_selectorILNS1_17partition_subalgoE4EjNS0_10empty_typeEbEEZZNS1_14partition_implILS8_4ELb0ES6_15HIP_vector_typeIjLj2EENS0_17counting_iteratorIjlEEPS9_SG_NS0_5tupleIJPjSI_NS0_16reverse_iteratorISI_EEEEENSH_IJSG_SG_SG_EEES9_SI_JZNS1_25segmented_radix_sort_implINS0_14default_configELb0EPKiPiPKlPlN2at6native12_GLOBAL__N_18offset_tEEE10hipError_tPvRmT1_PNSt15iterator_traitsIS12_E10value_typeET2_T3_PNS13_IS18_E10value_typeET4_jRbjT5_S1E_jjP12ihipStream_tbEUljE_ZNSN_ISO_Lb0ESQ_SR_ST_SU_SY_EESZ_S10_S11_S12_S16_S17_S18_S1B_S1C_jS1D_jS1E_S1E_jjS1G_bEUljE0_EEESZ_S10_S11_S18_S1C_S1E_T6_T7_T9_mT8_S1G_bDpT10_ENKUlT_T0_E_clISt17integral_constantIbLb1EES1U_EEDaS1P_S1Q_EUlS1P_E_NS1_11comp_targetILNS1_3genE3ELNS1_11target_archE908ELNS1_3gpuE7ELNS1_3repE0EEENS1_30default_config_static_selectorELNS0_4arch9wavefront6targetE0EEEvS12_.has_recursion, 0
	.set _ZN7rocprim17ROCPRIM_400000_NS6detail17trampoline_kernelINS0_13select_configILj256ELj13ELNS0_17block_load_methodE3ELS4_3ELS4_3ELNS0_20block_scan_algorithmE0ELj4294967295EEENS1_25partition_config_selectorILNS1_17partition_subalgoE4EjNS0_10empty_typeEbEEZZNS1_14partition_implILS8_4ELb0ES6_15HIP_vector_typeIjLj2EENS0_17counting_iteratorIjlEEPS9_SG_NS0_5tupleIJPjSI_NS0_16reverse_iteratorISI_EEEEENSH_IJSG_SG_SG_EEES9_SI_JZNS1_25segmented_radix_sort_implINS0_14default_configELb0EPKiPiPKlPlN2at6native12_GLOBAL__N_18offset_tEEE10hipError_tPvRmT1_PNSt15iterator_traitsIS12_E10value_typeET2_T3_PNS13_IS18_E10value_typeET4_jRbjT5_S1E_jjP12ihipStream_tbEUljE_ZNSN_ISO_Lb0ESQ_SR_ST_SU_SY_EESZ_S10_S11_S12_S16_S17_S18_S1B_S1C_jS1D_jS1E_S1E_jjS1G_bEUljE0_EEESZ_S10_S11_S18_S1C_S1E_T6_T7_T9_mT8_S1G_bDpT10_ENKUlT_T0_E_clISt17integral_constantIbLb1EES1U_EEDaS1P_S1Q_EUlS1P_E_NS1_11comp_targetILNS1_3genE3ELNS1_11target_archE908ELNS1_3gpuE7ELNS1_3repE0EEENS1_30default_config_static_selectorELNS0_4arch9wavefront6targetE0EEEvS12_.has_indirect_call, 0
	.section	.AMDGPU.csdata,"",@progbits
; Kernel info:
; codeLenInByte = 0
; TotalNumSgprs: 0
; NumVgprs: 0
; ScratchSize: 0
; MemoryBound: 0
; FloatMode: 240
; IeeeMode: 1
; LDSByteSize: 0 bytes/workgroup (compile time only)
; SGPRBlocks: 0
; VGPRBlocks: 0
; NumSGPRsForWavesPerEU: 1
; NumVGPRsForWavesPerEU: 1
; Occupancy: 16
; WaveLimiterHint : 0
; COMPUTE_PGM_RSRC2:SCRATCH_EN: 0
; COMPUTE_PGM_RSRC2:USER_SGPR: 2
; COMPUTE_PGM_RSRC2:TRAP_HANDLER: 0
; COMPUTE_PGM_RSRC2:TGID_X_EN: 1
; COMPUTE_PGM_RSRC2:TGID_Y_EN: 0
; COMPUTE_PGM_RSRC2:TGID_Z_EN: 0
; COMPUTE_PGM_RSRC2:TIDIG_COMP_CNT: 0
	.section	.text._ZN7rocprim17ROCPRIM_400000_NS6detail17trampoline_kernelINS0_13select_configILj256ELj13ELNS0_17block_load_methodE3ELS4_3ELS4_3ELNS0_20block_scan_algorithmE0ELj4294967295EEENS1_25partition_config_selectorILNS1_17partition_subalgoE4EjNS0_10empty_typeEbEEZZNS1_14partition_implILS8_4ELb0ES6_15HIP_vector_typeIjLj2EENS0_17counting_iteratorIjlEEPS9_SG_NS0_5tupleIJPjSI_NS0_16reverse_iteratorISI_EEEEENSH_IJSG_SG_SG_EEES9_SI_JZNS1_25segmented_radix_sort_implINS0_14default_configELb0EPKiPiPKlPlN2at6native12_GLOBAL__N_18offset_tEEE10hipError_tPvRmT1_PNSt15iterator_traitsIS12_E10value_typeET2_T3_PNS13_IS18_E10value_typeET4_jRbjT5_S1E_jjP12ihipStream_tbEUljE_ZNSN_ISO_Lb0ESQ_SR_ST_SU_SY_EESZ_S10_S11_S12_S16_S17_S18_S1B_S1C_jS1D_jS1E_S1E_jjS1G_bEUljE0_EEESZ_S10_S11_S18_S1C_S1E_T6_T7_T9_mT8_S1G_bDpT10_ENKUlT_T0_E_clISt17integral_constantIbLb1EES1U_EEDaS1P_S1Q_EUlS1P_E_NS1_11comp_targetILNS1_3genE2ELNS1_11target_archE906ELNS1_3gpuE6ELNS1_3repE0EEENS1_30default_config_static_selectorELNS0_4arch9wavefront6targetE0EEEvS12_,"axG",@progbits,_ZN7rocprim17ROCPRIM_400000_NS6detail17trampoline_kernelINS0_13select_configILj256ELj13ELNS0_17block_load_methodE3ELS4_3ELS4_3ELNS0_20block_scan_algorithmE0ELj4294967295EEENS1_25partition_config_selectorILNS1_17partition_subalgoE4EjNS0_10empty_typeEbEEZZNS1_14partition_implILS8_4ELb0ES6_15HIP_vector_typeIjLj2EENS0_17counting_iteratorIjlEEPS9_SG_NS0_5tupleIJPjSI_NS0_16reverse_iteratorISI_EEEEENSH_IJSG_SG_SG_EEES9_SI_JZNS1_25segmented_radix_sort_implINS0_14default_configELb0EPKiPiPKlPlN2at6native12_GLOBAL__N_18offset_tEEE10hipError_tPvRmT1_PNSt15iterator_traitsIS12_E10value_typeET2_T3_PNS13_IS18_E10value_typeET4_jRbjT5_S1E_jjP12ihipStream_tbEUljE_ZNSN_ISO_Lb0ESQ_SR_ST_SU_SY_EESZ_S10_S11_S12_S16_S17_S18_S1B_S1C_jS1D_jS1E_S1E_jjS1G_bEUljE0_EEESZ_S10_S11_S18_S1C_S1E_T6_T7_T9_mT8_S1G_bDpT10_ENKUlT_T0_E_clISt17integral_constantIbLb1EES1U_EEDaS1P_S1Q_EUlS1P_E_NS1_11comp_targetILNS1_3genE2ELNS1_11target_archE906ELNS1_3gpuE6ELNS1_3repE0EEENS1_30default_config_static_selectorELNS0_4arch9wavefront6targetE0EEEvS12_,comdat
	.globl	_ZN7rocprim17ROCPRIM_400000_NS6detail17trampoline_kernelINS0_13select_configILj256ELj13ELNS0_17block_load_methodE3ELS4_3ELS4_3ELNS0_20block_scan_algorithmE0ELj4294967295EEENS1_25partition_config_selectorILNS1_17partition_subalgoE4EjNS0_10empty_typeEbEEZZNS1_14partition_implILS8_4ELb0ES6_15HIP_vector_typeIjLj2EENS0_17counting_iteratorIjlEEPS9_SG_NS0_5tupleIJPjSI_NS0_16reverse_iteratorISI_EEEEENSH_IJSG_SG_SG_EEES9_SI_JZNS1_25segmented_radix_sort_implINS0_14default_configELb0EPKiPiPKlPlN2at6native12_GLOBAL__N_18offset_tEEE10hipError_tPvRmT1_PNSt15iterator_traitsIS12_E10value_typeET2_T3_PNS13_IS18_E10value_typeET4_jRbjT5_S1E_jjP12ihipStream_tbEUljE_ZNSN_ISO_Lb0ESQ_SR_ST_SU_SY_EESZ_S10_S11_S12_S16_S17_S18_S1B_S1C_jS1D_jS1E_S1E_jjS1G_bEUljE0_EEESZ_S10_S11_S18_S1C_S1E_T6_T7_T9_mT8_S1G_bDpT10_ENKUlT_T0_E_clISt17integral_constantIbLb1EES1U_EEDaS1P_S1Q_EUlS1P_E_NS1_11comp_targetILNS1_3genE2ELNS1_11target_archE906ELNS1_3gpuE6ELNS1_3repE0EEENS1_30default_config_static_selectorELNS0_4arch9wavefront6targetE0EEEvS12_ ; -- Begin function _ZN7rocprim17ROCPRIM_400000_NS6detail17trampoline_kernelINS0_13select_configILj256ELj13ELNS0_17block_load_methodE3ELS4_3ELS4_3ELNS0_20block_scan_algorithmE0ELj4294967295EEENS1_25partition_config_selectorILNS1_17partition_subalgoE4EjNS0_10empty_typeEbEEZZNS1_14partition_implILS8_4ELb0ES6_15HIP_vector_typeIjLj2EENS0_17counting_iteratorIjlEEPS9_SG_NS0_5tupleIJPjSI_NS0_16reverse_iteratorISI_EEEEENSH_IJSG_SG_SG_EEES9_SI_JZNS1_25segmented_radix_sort_implINS0_14default_configELb0EPKiPiPKlPlN2at6native12_GLOBAL__N_18offset_tEEE10hipError_tPvRmT1_PNSt15iterator_traitsIS12_E10value_typeET2_T3_PNS13_IS18_E10value_typeET4_jRbjT5_S1E_jjP12ihipStream_tbEUljE_ZNSN_ISO_Lb0ESQ_SR_ST_SU_SY_EESZ_S10_S11_S12_S16_S17_S18_S1B_S1C_jS1D_jS1E_S1E_jjS1G_bEUljE0_EEESZ_S10_S11_S18_S1C_S1E_T6_T7_T9_mT8_S1G_bDpT10_ENKUlT_T0_E_clISt17integral_constantIbLb1EES1U_EEDaS1P_S1Q_EUlS1P_E_NS1_11comp_targetILNS1_3genE2ELNS1_11target_archE906ELNS1_3gpuE6ELNS1_3repE0EEENS1_30default_config_static_selectorELNS0_4arch9wavefront6targetE0EEEvS12_
	.p2align	8
	.type	_ZN7rocprim17ROCPRIM_400000_NS6detail17trampoline_kernelINS0_13select_configILj256ELj13ELNS0_17block_load_methodE3ELS4_3ELS4_3ELNS0_20block_scan_algorithmE0ELj4294967295EEENS1_25partition_config_selectorILNS1_17partition_subalgoE4EjNS0_10empty_typeEbEEZZNS1_14partition_implILS8_4ELb0ES6_15HIP_vector_typeIjLj2EENS0_17counting_iteratorIjlEEPS9_SG_NS0_5tupleIJPjSI_NS0_16reverse_iteratorISI_EEEEENSH_IJSG_SG_SG_EEES9_SI_JZNS1_25segmented_radix_sort_implINS0_14default_configELb0EPKiPiPKlPlN2at6native12_GLOBAL__N_18offset_tEEE10hipError_tPvRmT1_PNSt15iterator_traitsIS12_E10value_typeET2_T3_PNS13_IS18_E10value_typeET4_jRbjT5_S1E_jjP12ihipStream_tbEUljE_ZNSN_ISO_Lb0ESQ_SR_ST_SU_SY_EESZ_S10_S11_S12_S16_S17_S18_S1B_S1C_jS1D_jS1E_S1E_jjS1G_bEUljE0_EEESZ_S10_S11_S18_S1C_S1E_T6_T7_T9_mT8_S1G_bDpT10_ENKUlT_T0_E_clISt17integral_constantIbLb1EES1U_EEDaS1P_S1Q_EUlS1P_E_NS1_11comp_targetILNS1_3genE2ELNS1_11target_archE906ELNS1_3gpuE6ELNS1_3repE0EEENS1_30default_config_static_selectorELNS0_4arch9wavefront6targetE0EEEvS12_,@function
_ZN7rocprim17ROCPRIM_400000_NS6detail17trampoline_kernelINS0_13select_configILj256ELj13ELNS0_17block_load_methodE3ELS4_3ELS4_3ELNS0_20block_scan_algorithmE0ELj4294967295EEENS1_25partition_config_selectorILNS1_17partition_subalgoE4EjNS0_10empty_typeEbEEZZNS1_14partition_implILS8_4ELb0ES6_15HIP_vector_typeIjLj2EENS0_17counting_iteratorIjlEEPS9_SG_NS0_5tupleIJPjSI_NS0_16reverse_iteratorISI_EEEEENSH_IJSG_SG_SG_EEES9_SI_JZNS1_25segmented_radix_sort_implINS0_14default_configELb0EPKiPiPKlPlN2at6native12_GLOBAL__N_18offset_tEEE10hipError_tPvRmT1_PNSt15iterator_traitsIS12_E10value_typeET2_T3_PNS13_IS18_E10value_typeET4_jRbjT5_S1E_jjP12ihipStream_tbEUljE_ZNSN_ISO_Lb0ESQ_SR_ST_SU_SY_EESZ_S10_S11_S12_S16_S17_S18_S1B_S1C_jS1D_jS1E_S1E_jjS1G_bEUljE0_EEESZ_S10_S11_S18_S1C_S1E_T6_T7_T9_mT8_S1G_bDpT10_ENKUlT_T0_E_clISt17integral_constantIbLb1EES1U_EEDaS1P_S1Q_EUlS1P_E_NS1_11comp_targetILNS1_3genE2ELNS1_11target_archE906ELNS1_3gpuE6ELNS1_3repE0EEENS1_30default_config_static_selectorELNS0_4arch9wavefront6targetE0EEEvS12_: ; @_ZN7rocprim17ROCPRIM_400000_NS6detail17trampoline_kernelINS0_13select_configILj256ELj13ELNS0_17block_load_methodE3ELS4_3ELS4_3ELNS0_20block_scan_algorithmE0ELj4294967295EEENS1_25partition_config_selectorILNS1_17partition_subalgoE4EjNS0_10empty_typeEbEEZZNS1_14partition_implILS8_4ELb0ES6_15HIP_vector_typeIjLj2EENS0_17counting_iteratorIjlEEPS9_SG_NS0_5tupleIJPjSI_NS0_16reverse_iteratorISI_EEEEENSH_IJSG_SG_SG_EEES9_SI_JZNS1_25segmented_radix_sort_implINS0_14default_configELb0EPKiPiPKlPlN2at6native12_GLOBAL__N_18offset_tEEE10hipError_tPvRmT1_PNSt15iterator_traitsIS12_E10value_typeET2_T3_PNS13_IS18_E10value_typeET4_jRbjT5_S1E_jjP12ihipStream_tbEUljE_ZNSN_ISO_Lb0ESQ_SR_ST_SU_SY_EESZ_S10_S11_S12_S16_S17_S18_S1B_S1C_jS1D_jS1E_S1E_jjS1G_bEUljE0_EEESZ_S10_S11_S18_S1C_S1E_T6_T7_T9_mT8_S1G_bDpT10_ENKUlT_T0_E_clISt17integral_constantIbLb1EES1U_EEDaS1P_S1Q_EUlS1P_E_NS1_11comp_targetILNS1_3genE2ELNS1_11target_archE906ELNS1_3gpuE6ELNS1_3repE0EEENS1_30default_config_static_selectorELNS0_4arch9wavefront6targetE0EEEvS12_
; %bb.0:
	.section	.rodata,"a",@progbits
	.p2align	6, 0x0
	.amdhsa_kernel _ZN7rocprim17ROCPRIM_400000_NS6detail17trampoline_kernelINS0_13select_configILj256ELj13ELNS0_17block_load_methodE3ELS4_3ELS4_3ELNS0_20block_scan_algorithmE0ELj4294967295EEENS1_25partition_config_selectorILNS1_17partition_subalgoE4EjNS0_10empty_typeEbEEZZNS1_14partition_implILS8_4ELb0ES6_15HIP_vector_typeIjLj2EENS0_17counting_iteratorIjlEEPS9_SG_NS0_5tupleIJPjSI_NS0_16reverse_iteratorISI_EEEEENSH_IJSG_SG_SG_EEES9_SI_JZNS1_25segmented_radix_sort_implINS0_14default_configELb0EPKiPiPKlPlN2at6native12_GLOBAL__N_18offset_tEEE10hipError_tPvRmT1_PNSt15iterator_traitsIS12_E10value_typeET2_T3_PNS13_IS18_E10value_typeET4_jRbjT5_S1E_jjP12ihipStream_tbEUljE_ZNSN_ISO_Lb0ESQ_SR_ST_SU_SY_EESZ_S10_S11_S12_S16_S17_S18_S1B_S1C_jS1D_jS1E_S1E_jjS1G_bEUljE0_EEESZ_S10_S11_S18_S1C_S1E_T6_T7_T9_mT8_S1G_bDpT10_ENKUlT_T0_E_clISt17integral_constantIbLb1EES1U_EEDaS1P_S1Q_EUlS1P_E_NS1_11comp_targetILNS1_3genE2ELNS1_11target_archE906ELNS1_3gpuE6ELNS1_3repE0EEENS1_30default_config_static_selectorELNS0_4arch9wavefront6targetE0EEEvS12_
		.amdhsa_group_segment_fixed_size 0
		.amdhsa_private_segment_fixed_size 0
		.amdhsa_kernarg_size 184
		.amdhsa_user_sgpr_count 2
		.amdhsa_user_sgpr_dispatch_ptr 0
		.amdhsa_user_sgpr_queue_ptr 0
		.amdhsa_user_sgpr_kernarg_segment_ptr 1
		.amdhsa_user_sgpr_dispatch_id 0
		.amdhsa_user_sgpr_private_segment_size 0
		.amdhsa_wavefront_size32 1
		.amdhsa_uses_dynamic_stack 0
		.amdhsa_enable_private_segment 0
		.amdhsa_system_sgpr_workgroup_id_x 1
		.amdhsa_system_sgpr_workgroup_id_y 0
		.amdhsa_system_sgpr_workgroup_id_z 0
		.amdhsa_system_sgpr_workgroup_info 0
		.amdhsa_system_vgpr_workitem_id 0
		.amdhsa_next_free_vgpr 1
		.amdhsa_next_free_sgpr 1
		.amdhsa_reserve_vcc 0
		.amdhsa_float_round_mode_32 0
		.amdhsa_float_round_mode_16_64 0
		.amdhsa_float_denorm_mode_32 3
		.amdhsa_float_denorm_mode_16_64 3
		.amdhsa_fp16_overflow 0
		.amdhsa_workgroup_processor_mode 1
		.amdhsa_memory_ordered 1
		.amdhsa_forward_progress 1
		.amdhsa_inst_pref_size 0
		.amdhsa_round_robin_scheduling 0
		.amdhsa_exception_fp_ieee_invalid_op 0
		.amdhsa_exception_fp_denorm_src 0
		.amdhsa_exception_fp_ieee_div_zero 0
		.amdhsa_exception_fp_ieee_overflow 0
		.amdhsa_exception_fp_ieee_underflow 0
		.amdhsa_exception_fp_ieee_inexact 0
		.amdhsa_exception_int_div_zero 0
	.end_amdhsa_kernel
	.section	.text._ZN7rocprim17ROCPRIM_400000_NS6detail17trampoline_kernelINS0_13select_configILj256ELj13ELNS0_17block_load_methodE3ELS4_3ELS4_3ELNS0_20block_scan_algorithmE0ELj4294967295EEENS1_25partition_config_selectorILNS1_17partition_subalgoE4EjNS0_10empty_typeEbEEZZNS1_14partition_implILS8_4ELb0ES6_15HIP_vector_typeIjLj2EENS0_17counting_iteratorIjlEEPS9_SG_NS0_5tupleIJPjSI_NS0_16reverse_iteratorISI_EEEEENSH_IJSG_SG_SG_EEES9_SI_JZNS1_25segmented_radix_sort_implINS0_14default_configELb0EPKiPiPKlPlN2at6native12_GLOBAL__N_18offset_tEEE10hipError_tPvRmT1_PNSt15iterator_traitsIS12_E10value_typeET2_T3_PNS13_IS18_E10value_typeET4_jRbjT5_S1E_jjP12ihipStream_tbEUljE_ZNSN_ISO_Lb0ESQ_SR_ST_SU_SY_EESZ_S10_S11_S12_S16_S17_S18_S1B_S1C_jS1D_jS1E_S1E_jjS1G_bEUljE0_EEESZ_S10_S11_S18_S1C_S1E_T6_T7_T9_mT8_S1G_bDpT10_ENKUlT_T0_E_clISt17integral_constantIbLb1EES1U_EEDaS1P_S1Q_EUlS1P_E_NS1_11comp_targetILNS1_3genE2ELNS1_11target_archE906ELNS1_3gpuE6ELNS1_3repE0EEENS1_30default_config_static_selectorELNS0_4arch9wavefront6targetE0EEEvS12_,"axG",@progbits,_ZN7rocprim17ROCPRIM_400000_NS6detail17trampoline_kernelINS0_13select_configILj256ELj13ELNS0_17block_load_methodE3ELS4_3ELS4_3ELNS0_20block_scan_algorithmE0ELj4294967295EEENS1_25partition_config_selectorILNS1_17partition_subalgoE4EjNS0_10empty_typeEbEEZZNS1_14partition_implILS8_4ELb0ES6_15HIP_vector_typeIjLj2EENS0_17counting_iteratorIjlEEPS9_SG_NS0_5tupleIJPjSI_NS0_16reverse_iteratorISI_EEEEENSH_IJSG_SG_SG_EEES9_SI_JZNS1_25segmented_radix_sort_implINS0_14default_configELb0EPKiPiPKlPlN2at6native12_GLOBAL__N_18offset_tEEE10hipError_tPvRmT1_PNSt15iterator_traitsIS12_E10value_typeET2_T3_PNS13_IS18_E10value_typeET4_jRbjT5_S1E_jjP12ihipStream_tbEUljE_ZNSN_ISO_Lb0ESQ_SR_ST_SU_SY_EESZ_S10_S11_S12_S16_S17_S18_S1B_S1C_jS1D_jS1E_S1E_jjS1G_bEUljE0_EEESZ_S10_S11_S18_S1C_S1E_T6_T7_T9_mT8_S1G_bDpT10_ENKUlT_T0_E_clISt17integral_constantIbLb1EES1U_EEDaS1P_S1Q_EUlS1P_E_NS1_11comp_targetILNS1_3genE2ELNS1_11target_archE906ELNS1_3gpuE6ELNS1_3repE0EEENS1_30default_config_static_selectorELNS0_4arch9wavefront6targetE0EEEvS12_,comdat
.Lfunc_end548:
	.size	_ZN7rocprim17ROCPRIM_400000_NS6detail17trampoline_kernelINS0_13select_configILj256ELj13ELNS0_17block_load_methodE3ELS4_3ELS4_3ELNS0_20block_scan_algorithmE0ELj4294967295EEENS1_25partition_config_selectorILNS1_17partition_subalgoE4EjNS0_10empty_typeEbEEZZNS1_14partition_implILS8_4ELb0ES6_15HIP_vector_typeIjLj2EENS0_17counting_iteratorIjlEEPS9_SG_NS0_5tupleIJPjSI_NS0_16reverse_iteratorISI_EEEEENSH_IJSG_SG_SG_EEES9_SI_JZNS1_25segmented_radix_sort_implINS0_14default_configELb0EPKiPiPKlPlN2at6native12_GLOBAL__N_18offset_tEEE10hipError_tPvRmT1_PNSt15iterator_traitsIS12_E10value_typeET2_T3_PNS13_IS18_E10value_typeET4_jRbjT5_S1E_jjP12ihipStream_tbEUljE_ZNSN_ISO_Lb0ESQ_SR_ST_SU_SY_EESZ_S10_S11_S12_S16_S17_S18_S1B_S1C_jS1D_jS1E_S1E_jjS1G_bEUljE0_EEESZ_S10_S11_S18_S1C_S1E_T6_T7_T9_mT8_S1G_bDpT10_ENKUlT_T0_E_clISt17integral_constantIbLb1EES1U_EEDaS1P_S1Q_EUlS1P_E_NS1_11comp_targetILNS1_3genE2ELNS1_11target_archE906ELNS1_3gpuE6ELNS1_3repE0EEENS1_30default_config_static_selectorELNS0_4arch9wavefront6targetE0EEEvS12_, .Lfunc_end548-_ZN7rocprim17ROCPRIM_400000_NS6detail17trampoline_kernelINS0_13select_configILj256ELj13ELNS0_17block_load_methodE3ELS4_3ELS4_3ELNS0_20block_scan_algorithmE0ELj4294967295EEENS1_25partition_config_selectorILNS1_17partition_subalgoE4EjNS0_10empty_typeEbEEZZNS1_14partition_implILS8_4ELb0ES6_15HIP_vector_typeIjLj2EENS0_17counting_iteratorIjlEEPS9_SG_NS0_5tupleIJPjSI_NS0_16reverse_iteratorISI_EEEEENSH_IJSG_SG_SG_EEES9_SI_JZNS1_25segmented_radix_sort_implINS0_14default_configELb0EPKiPiPKlPlN2at6native12_GLOBAL__N_18offset_tEEE10hipError_tPvRmT1_PNSt15iterator_traitsIS12_E10value_typeET2_T3_PNS13_IS18_E10value_typeET4_jRbjT5_S1E_jjP12ihipStream_tbEUljE_ZNSN_ISO_Lb0ESQ_SR_ST_SU_SY_EESZ_S10_S11_S12_S16_S17_S18_S1B_S1C_jS1D_jS1E_S1E_jjS1G_bEUljE0_EEESZ_S10_S11_S18_S1C_S1E_T6_T7_T9_mT8_S1G_bDpT10_ENKUlT_T0_E_clISt17integral_constantIbLb1EES1U_EEDaS1P_S1Q_EUlS1P_E_NS1_11comp_targetILNS1_3genE2ELNS1_11target_archE906ELNS1_3gpuE6ELNS1_3repE0EEENS1_30default_config_static_selectorELNS0_4arch9wavefront6targetE0EEEvS12_
                                        ; -- End function
	.set _ZN7rocprim17ROCPRIM_400000_NS6detail17trampoline_kernelINS0_13select_configILj256ELj13ELNS0_17block_load_methodE3ELS4_3ELS4_3ELNS0_20block_scan_algorithmE0ELj4294967295EEENS1_25partition_config_selectorILNS1_17partition_subalgoE4EjNS0_10empty_typeEbEEZZNS1_14partition_implILS8_4ELb0ES6_15HIP_vector_typeIjLj2EENS0_17counting_iteratorIjlEEPS9_SG_NS0_5tupleIJPjSI_NS0_16reverse_iteratorISI_EEEEENSH_IJSG_SG_SG_EEES9_SI_JZNS1_25segmented_radix_sort_implINS0_14default_configELb0EPKiPiPKlPlN2at6native12_GLOBAL__N_18offset_tEEE10hipError_tPvRmT1_PNSt15iterator_traitsIS12_E10value_typeET2_T3_PNS13_IS18_E10value_typeET4_jRbjT5_S1E_jjP12ihipStream_tbEUljE_ZNSN_ISO_Lb0ESQ_SR_ST_SU_SY_EESZ_S10_S11_S12_S16_S17_S18_S1B_S1C_jS1D_jS1E_S1E_jjS1G_bEUljE0_EEESZ_S10_S11_S18_S1C_S1E_T6_T7_T9_mT8_S1G_bDpT10_ENKUlT_T0_E_clISt17integral_constantIbLb1EES1U_EEDaS1P_S1Q_EUlS1P_E_NS1_11comp_targetILNS1_3genE2ELNS1_11target_archE906ELNS1_3gpuE6ELNS1_3repE0EEENS1_30default_config_static_selectorELNS0_4arch9wavefront6targetE0EEEvS12_.num_vgpr, 0
	.set _ZN7rocprim17ROCPRIM_400000_NS6detail17trampoline_kernelINS0_13select_configILj256ELj13ELNS0_17block_load_methodE3ELS4_3ELS4_3ELNS0_20block_scan_algorithmE0ELj4294967295EEENS1_25partition_config_selectorILNS1_17partition_subalgoE4EjNS0_10empty_typeEbEEZZNS1_14partition_implILS8_4ELb0ES6_15HIP_vector_typeIjLj2EENS0_17counting_iteratorIjlEEPS9_SG_NS0_5tupleIJPjSI_NS0_16reverse_iteratorISI_EEEEENSH_IJSG_SG_SG_EEES9_SI_JZNS1_25segmented_radix_sort_implINS0_14default_configELb0EPKiPiPKlPlN2at6native12_GLOBAL__N_18offset_tEEE10hipError_tPvRmT1_PNSt15iterator_traitsIS12_E10value_typeET2_T3_PNS13_IS18_E10value_typeET4_jRbjT5_S1E_jjP12ihipStream_tbEUljE_ZNSN_ISO_Lb0ESQ_SR_ST_SU_SY_EESZ_S10_S11_S12_S16_S17_S18_S1B_S1C_jS1D_jS1E_S1E_jjS1G_bEUljE0_EEESZ_S10_S11_S18_S1C_S1E_T6_T7_T9_mT8_S1G_bDpT10_ENKUlT_T0_E_clISt17integral_constantIbLb1EES1U_EEDaS1P_S1Q_EUlS1P_E_NS1_11comp_targetILNS1_3genE2ELNS1_11target_archE906ELNS1_3gpuE6ELNS1_3repE0EEENS1_30default_config_static_selectorELNS0_4arch9wavefront6targetE0EEEvS12_.num_agpr, 0
	.set _ZN7rocprim17ROCPRIM_400000_NS6detail17trampoline_kernelINS0_13select_configILj256ELj13ELNS0_17block_load_methodE3ELS4_3ELS4_3ELNS0_20block_scan_algorithmE0ELj4294967295EEENS1_25partition_config_selectorILNS1_17partition_subalgoE4EjNS0_10empty_typeEbEEZZNS1_14partition_implILS8_4ELb0ES6_15HIP_vector_typeIjLj2EENS0_17counting_iteratorIjlEEPS9_SG_NS0_5tupleIJPjSI_NS0_16reverse_iteratorISI_EEEEENSH_IJSG_SG_SG_EEES9_SI_JZNS1_25segmented_radix_sort_implINS0_14default_configELb0EPKiPiPKlPlN2at6native12_GLOBAL__N_18offset_tEEE10hipError_tPvRmT1_PNSt15iterator_traitsIS12_E10value_typeET2_T3_PNS13_IS18_E10value_typeET4_jRbjT5_S1E_jjP12ihipStream_tbEUljE_ZNSN_ISO_Lb0ESQ_SR_ST_SU_SY_EESZ_S10_S11_S12_S16_S17_S18_S1B_S1C_jS1D_jS1E_S1E_jjS1G_bEUljE0_EEESZ_S10_S11_S18_S1C_S1E_T6_T7_T9_mT8_S1G_bDpT10_ENKUlT_T0_E_clISt17integral_constantIbLb1EES1U_EEDaS1P_S1Q_EUlS1P_E_NS1_11comp_targetILNS1_3genE2ELNS1_11target_archE906ELNS1_3gpuE6ELNS1_3repE0EEENS1_30default_config_static_selectorELNS0_4arch9wavefront6targetE0EEEvS12_.numbered_sgpr, 0
	.set _ZN7rocprim17ROCPRIM_400000_NS6detail17trampoline_kernelINS0_13select_configILj256ELj13ELNS0_17block_load_methodE3ELS4_3ELS4_3ELNS0_20block_scan_algorithmE0ELj4294967295EEENS1_25partition_config_selectorILNS1_17partition_subalgoE4EjNS0_10empty_typeEbEEZZNS1_14partition_implILS8_4ELb0ES6_15HIP_vector_typeIjLj2EENS0_17counting_iteratorIjlEEPS9_SG_NS0_5tupleIJPjSI_NS0_16reverse_iteratorISI_EEEEENSH_IJSG_SG_SG_EEES9_SI_JZNS1_25segmented_radix_sort_implINS0_14default_configELb0EPKiPiPKlPlN2at6native12_GLOBAL__N_18offset_tEEE10hipError_tPvRmT1_PNSt15iterator_traitsIS12_E10value_typeET2_T3_PNS13_IS18_E10value_typeET4_jRbjT5_S1E_jjP12ihipStream_tbEUljE_ZNSN_ISO_Lb0ESQ_SR_ST_SU_SY_EESZ_S10_S11_S12_S16_S17_S18_S1B_S1C_jS1D_jS1E_S1E_jjS1G_bEUljE0_EEESZ_S10_S11_S18_S1C_S1E_T6_T7_T9_mT8_S1G_bDpT10_ENKUlT_T0_E_clISt17integral_constantIbLb1EES1U_EEDaS1P_S1Q_EUlS1P_E_NS1_11comp_targetILNS1_3genE2ELNS1_11target_archE906ELNS1_3gpuE6ELNS1_3repE0EEENS1_30default_config_static_selectorELNS0_4arch9wavefront6targetE0EEEvS12_.num_named_barrier, 0
	.set _ZN7rocprim17ROCPRIM_400000_NS6detail17trampoline_kernelINS0_13select_configILj256ELj13ELNS0_17block_load_methodE3ELS4_3ELS4_3ELNS0_20block_scan_algorithmE0ELj4294967295EEENS1_25partition_config_selectorILNS1_17partition_subalgoE4EjNS0_10empty_typeEbEEZZNS1_14partition_implILS8_4ELb0ES6_15HIP_vector_typeIjLj2EENS0_17counting_iteratorIjlEEPS9_SG_NS0_5tupleIJPjSI_NS0_16reverse_iteratorISI_EEEEENSH_IJSG_SG_SG_EEES9_SI_JZNS1_25segmented_radix_sort_implINS0_14default_configELb0EPKiPiPKlPlN2at6native12_GLOBAL__N_18offset_tEEE10hipError_tPvRmT1_PNSt15iterator_traitsIS12_E10value_typeET2_T3_PNS13_IS18_E10value_typeET4_jRbjT5_S1E_jjP12ihipStream_tbEUljE_ZNSN_ISO_Lb0ESQ_SR_ST_SU_SY_EESZ_S10_S11_S12_S16_S17_S18_S1B_S1C_jS1D_jS1E_S1E_jjS1G_bEUljE0_EEESZ_S10_S11_S18_S1C_S1E_T6_T7_T9_mT8_S1G_bDpT10_ENKUlT_T0_E_clISt17integral_constantIbLb1EES1U_EEDaS1P_S1Q_EUlS1P_E_NS1_11comp_targetILNS1_3genE2ELNS1_11target_archE906ELNS1_3gpuE6ELNS1_3repE0EEENS1_30default_config_static_selectorELNS0_4arch9wavefront6targetE0EEEvS12_.private_seg_size, 0
	.set _ZN7rocprim17ROCPRIM_400000_NS6detail17trampoline_kernelINS0_13select_configILj256ELj13ELNS0_17block_load_methodE3ELS4_3ELS4_3ELNS0_20block_scan_algorithmE0ELj4294967295EEENS1_25partition_config_selectorILNS1_17partition_subalgoE4EjNS0_10empty_typeEbEEZZNS1_14partition_implILS8_4ELb0ES6_15HIP_vector_typeIjLj2EENS0_17counting_iteratorIjlEEPS9_SG_NS0_5tupleIJPjSI_NS0_16reverse_iteratorISI_EEEEENSH_IJSG_SG_SG_EEES9_SI_JZNS1_25segmented_radix_sort_implINS0_14default_configELb0EPKiPiPKlPlN2at6native12_GLOBAL__N_18offset_tEEE10hipError_tPvRmT1_PNSt15iterator_traitsIS12_E10value_typeET2_T3_PNS13_IS18_E10value_typeET4_jRbjT5_S1E_jjP12ihipStream_tbEUljE_ZNSN_ISO_Lb0ESQ_SR_ST_SU_SY_EESZ_S10_S11_S12_S16_S17_S18_S1B_S1C_jS1D_jS1E_S1E_jjS1G_bEUljE0_EEESZ_S10_S11_S18_S1C_S1E_T6_T7_T9_mT8_S1G_bDpT10_ENKUlT_T0_E_clISt17integral_constantIbLb1EES1U_EEDaS1P_S1Q_EUlS1P_E_NS1_11comp_targetILNS1_3genE2ELNS1_11target_archE906ELNS1_3gpuE6ELNS1_3repE0EEENS1_30default_config_static_selectorELNS0_4arch9wavefront6targetE0EEEvS12_.uses_vcc, 0
	.set _ZN7rocprim17ROCPRIM_400000_NS6detail17trampoline_kernelINS0_13select_configILj256ELj13ELNS0_17block_load_methodE3ELS4_3ELS4_3ELNS0_20block_scan_algorithmE0ELj4294967295EEENS1_25partition_config_selectorILNS1_17partition_subalgoE4EjNS0_10empty_typeEbEEZZNS1_14partition_implILS8_4ELb0ES6_15HIP_vector_typeIjLj2EENS0_17counting_iteratorIjlEEPS9_SG_NS0_5tupleIJPjSI_NS0_16reverse_iteratorISI_EEEEENSH_IJSG_SG_SG_EEES9_SI_JZNS1_25segmented_radix_sort_implINS0_14default_configELb0EPKiPiPKlPlN2at6native12_GLOBAL__N_18offset_tEEE10hipError_tPvRmT1_PNSt15iterator_traitsIS12_E10value_typeET2_T3_PNS13_IS18_E10value_typeET4_jRbjT5_S1E_jjP12ihipStream_tbEUljE_ZNSN_ISO_Lb0ESQ_SR_ST_SU_SY_EESZ_S10_S11_S12_S16_S17_S18_S1B_S1C_jS1D_jS1E_S1E_jjS1G_bEUljE0_EEESZ_S10_S11_S18_S1C_S1E_T6_T7_T9_mT8_S1G_bDpT10_ENKUlT_T0_E_clISt17integral_constantIbLb1EES1U_EEDaS1P_S1Q_EUlS1P_E_NS1_11comp_targetILNS1_3genE2ELNS1_11target_archE906ELNS1_3gpuE6ELNS1_3repE0EEENS1_30default_config_static_selectorELNS0_4arch9wavefront6targetE0EEEvS12_.uses_flat_scratch, 0
	.set _ZN7rocprim17ROCPRIM_400000_NS6detail17trampoline_kernelINS0_13select_configILj256ELj13ELNS0_17block_load_methodE3ELS4_3ELS4_3ELNS0_20block_scan_algorithmE0ELj4294967295EEENS1_25partition_config_selectorILNS1_17partition_subalgoE4EjNS0_10empty_typeEbEEZZNS1_14partition_implILS8_4ELb0ES6_15HIP_vector_typeIjLj2EENS0_17counting_iteratorIjlEEPS9_SG_NS0_5tupleIJPjSI_NS0_16reverse_iteratorISI_EEEEENSH_IJSG_SG_SG_EEES9_SI_JZNS1_25segmented_radix_sort_implINS0_14default_configELb0EPKiPiPKlPlN2at6native12_GLOBAL__N_18offset_tEEE10hipError_tPvRmT1_PNSt15iterator_traitsIS12_E10value_typeET2_T3_PNS13_IS18_E10value_typeET4_jRbjT5_S1E_jjP12ihipStream_tbEUljE_ZNSN_ISO_Lb0ESQ_SR_ST_SU_SY_EESZ_S10_S11_S12_S16_S17_S18_S1B_S1C_jS1D_jS1E_S1E_jjS1G_bEUljE0_EEESZ_S10_S11_S18_S1C_S1E_T6_T7_T9_mT8_S1G_bDpT10_ENKUlT_T0_E_clISt17integral_constantIbLb1EES1U_EEDaS1P_S1Q_EUlS1P_E_NS1_11comp_targetILNS1_3genE2ELNS1_11target_archE906ELNS1_3gpuE6ELNS1_3repE0EEENS1_30default_config_static_selectorELNS0_4arch9wavefront6targetE0EEEvS12_.has_dyn_sized_stack, 0
	.set _ZN7rocprim17ROCPRIM_400000_NS6detail17trampoline_kernelINS0_13select_configILj256ELj13ELNS0_17block_load_methodE3ELS4_3ELS4_3ELNS0_20block_scan_algorithmE0ELj4294967295EEENS1_25partition_config_selectorILNS1_17partition_subalgoE4EjNS0_10empty_typeEbEEZZNS1_14partition_implILS8_4ELb0ES6_15HIP_vector_typeIjLj2EENS0_17counting_iteratorIjlEEPS9_SG_NS0_5tupleIJPjSI_NS0_16reverse_iteratorISI_EEEEENSH_IJSG_SG_SG_EEES9_SI_JZNS1_25segmented_radix_sort_implINS0_14default_configELb0EPKiPiPKlPlN2at6native12_GLOBAL__N_18offset_tEEE10hipError_tPvRmT1_PNSt15iterator_traitsIS12_E10value_typeET2_T3_PNS13_IS18_E10value_typeET4_jRbjT5_S1E_jjP12ihipStream_tbEUljE_ZNSN_ISO_Lb0ESQ_SR_ST_SU_SY_EESZ_S10_S11_S12_S16_S17_S18_S1B_S1C_jS1D_jS1E_S1E_jjS1G_bEUljE0_EEESZ_S10_S11_S18_S1C_S1E_T6_T7_T9_mT8_S1G_bDpT10_ENKUlT_T0_E_clISt17integral_constantIbLb1EES1U_EEDaS1P_S1Q_EUlS1P_E_NS1_11comp_targetILNS1_3genE2ELNS1_11target_archE906ELNS1_3gpuE6ELNS1_3repE0EEENS1_30default_config_static_selectorELNS0_4arch9wavefront6targetE0EEEvS12_.has_recursion, 0
	.set _ZN7rocprim17ROCPRIM_400000_NS6detail17trampoline_kernelINS0_13select_configILj256ELj13ELNS0_17block_load_methodE3ELS4_3ELS4_3ELNS0_20block_scan_algorithmE0ELj4294967295EEENS1_25partition_config_selectorILNS1_17partition_subalgoE4EjNS0_10empty_typeEbEEZZNS1_14partition_implILS8_4ELb0ES6_15HIP_vector_typeIjLj2EENS0_17counting_iteratorIjlEEPS9_SG_NS0_5tupleIJPjSI_NS0_16reverse_iteratorISI_EEEEENSH_IJSG_SG_SG_EEES9_SI_JZNS1_25segmented_radix_sort_implINS0_14default_configELb0EPKiPiPKlPlN2at6native12_GLOBAL__N_18offset_tEEE10hipError_tPvRmT1_PNSt15iterator_traitsIS12_E10value_typeET2_T3_PNS13_IS18_E10value_typeET4_jRbjT5_S1E_jjP12ihipStream_tbEUljE_ZNSN_ISO_Lb0ESQ_SR_ST_SU_SY_EESZ_S10_S11_S12_S16_S17_S18_S1B_S1C_jS1D_jS1E_S1E_jjS1G_bEUljE0_EEESZ_S10_S11_S18_S1C_S1E_T6_T7_T9_mT8_S1G_bDpT10_ENKUlT_T0_E_clISt17integral_constantIbLb1EES1U_EEDaS1P_S1Q_EUlS1P_E_NS1_11comp_targetILNS1_3genE2ELNS1_11target_archE906ELNS1_3gpuE6ELNS1_3repE0EEENS1_30default_config_static_selectorELNS0_4arch9wavefront6targetE0EEEvS12_.has_indirect_call, 0
	.section	.AMDGPU.csdata,"",@progbits
; Kernel info:
; codeLenInByte = 0
; TotalNumSgprs: 0
; NumVgprs: 0
; ScratchSize: 0
; MemoryBound: 0
; FloatMode: 240
; IeeeMode: 1
; LDSByteSize: 0 bytes/workgroup (compile time only)
; SGPRBlocks: 0
; VGPRBlocks: 0
; NumSGPRsForWavesPerEU: 1
; NumVGPRsForWavesPerEU: 1
; Occupancy: 16
; WaveLimiterHint : 0
; COMPUTE_PGM_RSRC2:SCRATCH_EN: 0
; COMPUTE_PGM_RSRC2:USER_SGPR: 2
; COMPUTE_PGM_RSRC2:TRAP_HANDLER: 0
; COMPUTE_PGM_RSRC2:TGID_X_EN: 1
; COMPUTE_PGM_RSRC2:TGID_Y_EN: 0
; COMPUTE_PGM_RSRC2:TGID_Z_EN: 0
; COMPUTE_PGM_RSRC2:TIDIG_COMP_CNT: 0
	.section	.text._ZN7rocprim17ROCPRIM_400000_NS6detail17trampoline_kernelINS0_13select_configILj256ELj13ELNS0_17block_load_methodE3ELS4_3ELS4_3ELNS0_20block_scan_algorithmE0ELj4294967295EEENS1_25partition_config_selectorILNS1_17partition_subalgoE4EjNS0_10empty_typeEbEEZZNS1_14partition_implILS8_4ELb0ES6_15HIP_vector_typeIjLj2EENS0_17counting_iteratorIjlEEPS9_SG_NS0_5tupleIJPjSI_NS0_16reverse_iteratorISI_EEEEENSH_IJSG_SG_SG_EEES9_SI_JZNS1_25segmented_radix_sort_implINS0_14default_configELb0EPKiPiPKlPlN2at6native12_GLOBAL__N_18offset_tEEE10hipError_tPvRmT1_PNSt15iterator_traitsIS12_E10value_typeET2_T3_PNS13_IS18_E10value_typeET4_jRbjT5_S1E_jjP12ihipStream_tbEUljE_ZNSN_ISO_Lb0ESQ_SR_ST_SU_SY_EESZ_S10_S11_S12_S16_S17_S18_S1B_S1C_jS1D_jS1E_S1E_jjS1G_bEUljE0_EEESZ_S10_S11_S18_S1C_S1E_T6_T7_T9_mT8_S1G_bDpT10_ENKUlT_T0_E_clISt17integral_constantIbLb1EES1U_EEDaS1P_S1Q_EUlS1P_E_NS1_11comp_targetILNS1_3genE10ELNS1_11target_archE1200ELNS1_3gpuE4ELNS1_3repE0EEENS1_30default_config_static_selectorELNS0_4arch9wavefront6targetE0EEEvS12_,"axG",@progbits,_ZN7rocprim17ROCPRIM_400000_NS6detail17trampoline_kernelINS0_13select_configILj256ELj13ELNS0_17block_load_methodE3ELS4_3ELS4_3ELNS0_20block_scan_algorithmE0ELj4294967295EEENS1_25partition_config_selectorILNS1_17partition_subalgoE4EjNS0_10empty_typeEbEEZZNS1_14partition_implILS8_4ELb0ES6_15HIP_vector_typeIjLj2EENS0_17counting_iteratorIjlEEPS9_SG_NS0_5tupleIJPjSI_NS0_16reverse_iteratorISI_EEEEENSH_IJSG_SG_SG_EEES9_SI_JZNS1_25segmented_radix_sort_implINS0_14default_configELb0EPKiPiPKlPlN2at6native12_GLOBAL__N_18offset_tEEE10hipError_tPvRmT1_PNSt15iterator_traitsIS12_E10value_typeET2_T3_PNS13_IS18_E10value_typeET4_jRbjT5_S1E_jjP12ihipStream_tbEUljE_ZNSN_ISO_Lb0ESQ_SR_ST_SU_SY_EESZ_S10_S11_S12_S16_S17_S18_S1B_S1C_jS1D_jS1E_S1E_jjS1G_bEUljE0_EEESZ_S10_S11_S18_S1C_S1E_T6_T7_T9_mT8_S1G_bDpT10_ENKUlT_T0_E_clISt17integral_constantIbLb1EES1U_EEDaS1P_S1Q_EUlS1P_E_NS1_11comp_targetILNS1_3genE10ELNS1_11target_archE1200ELNS1_3gpuE4ELNS1_3repE0EEENS1_30default_config_static_selectorELNS0_4arch9wavefront6targetE0EEEvS12_,comdat
	.globl	_ZN7rocprim17ROCPRIM_400000_NS6detail17trampoline_kernelINS0_13select_configILj256ELj13ELNS0_17block_load_methodE3ELS4_3ELS4_3ELNS0_20block_scan_algorithmE0ELj4294967295EEENS1_25partition_config_selectorILNS1_17partition_subalgoE4EjNS0_10empty_typeEbEEZZNS1_14partition_implILS8_4ELb0ES6_15HIP_vector_typeIjLj2EENS0_17counting_iteratorIjlEEPS9_SG_NS0_5tupleIJPjSI_NS0_16reverse_iteratorISI_EEEEENSH_IJSG_SG_SG_EEES9_SI_JZNS1_25segmented_radix_sort_implINS0_14default_configELb0EPKiPiPKlPlN2at6native12_GLOBAL__N_18offset_tEEE10hipError_tPvRmT1_PNSt15iterator_traitsIS12_E10value_typeET2_T3_PNS13_IS18_E10value_typeET4_jRbjT5_S1E_jjP12ihipStream_tbEUljE_ZNSN_ISO_Lb0ESQ_SR_ST_SU_SY_EESZ_S10_S11_S12_S16_S17_S18_S1B_S1C_jS1D_jS1E_S1E_jjS1G_bEUljE0_EEESZ_S10_S11_S18_S1C_S1E_T6_T7_T9_mT8_S1G_bDpT10_ENKUlT_T0_E_clISt17integral_constantIbLb1EES1U_EEDaS1P_S1Q_EUlS1P_E_NS1_11comp_targetILNS1_3genE10ELNS1_11target_archE1200ELNS1_3gpuE4ELNS1_3repE0EEENS1_30default_config_static_selectorELNS0_4arch9wavefront6targetE0EEEvS12_ ; -- Begin function _ZN7rocprim17ROCPRIM_400000_NS6detail17trampoline_kernelINS0_13select_configILj256ELj13ELNS0_17block_load_methodE3ELS4_3ELS4_3ELNS0_20block_scan_algorithmE0ELj4294967295EEENS1_25partition_config_selectorILNS1_17partition_subalgoE4EjNS0_10empty_typeEbEEZZNS1_14partition_implILS8_4ELb0ES6_15HIP_vector_typeIjLj2EENS0_17counting_iteratorIjlEEPS9_SG_NS0_5tupleIJPjSI_NS0_16reverse_iteratorISI_EEEEENSH_IJSG_SG_SG_EEES9_SI_JZNS1_25segmented_radix_sort_implINS0_14default_configELb0EPKiPiPKlPlN2at6native12_GLOBAL__N_18offset_tEEE10hipError_tPvRmT1_PNSt15iterator_traitsIS12_E10value_typeET2_T3_PNS13_IS18_E10value_typeET4_jRbjT5_S1E_jjP12ihipStream_tbEUljE_ZNSN_ISO_Lb0ESQ_SR_ST_SU_SY_EESZ_S10_S11_S12_S16_S17_S18_S1B_S1C_jS1D_jS1E_S1E_jjS1G_bEUljE0_EEESZ_S10_S11_S18_S1C_S1E_T6_T7_T9_mT8_S1G_bDpT10_ENKUlT_T0_E_clISt17integral_constantIbLb1EES1U_EEDaS1P_S1Q_EUlS1P_E_NS1_11comp_targetILNS1_3genE10ELNS1_11target_archE1200ELNS1_3gpuE4ELNS1_3repE0EEENS1_30default_config_static_selectorELNS0_4arch9wavefront6targetE0EEEvS12_
	.p2align	8
	.type	_ZN7rocprim17ROCPRIM_400000_NS6detail17trampoline_kernelINS0_13select_configILj256ELj13ELNS0_17block_load_methodE3ELS4_3ELS4_3ELNS0_20block_scan_algorithmE0ELj4294967295EEENS1_25partition_config_selectorILNS1_17partition_subalgoE4EjNS0_10empty_typeEbEEZZNS1_14partition_implILS8_4ELb0ES6_15HIP_vector_typeIjLj2EENS0_17counting_iteratorIjlEEPS9_SG_NS0_5tupleIJPjSI_NS0_16reverse_iteratorISI_EEEEENSH_IJSG_SG_SG_EEES9_SI_JZNS1_25segmented_radix_sort_implINS0_14default_configELb0EPKiPiPKlPlN2at6native12_GLOBAL__N_18offset_tEEE10hipError_tPvRmT1_PNSt15iterator_traitsIS12_E10value_typeET2_T3_PNS13_IS18_E10value_typeET4_jRbjT5_S1E_jjP12ihipStream_tbEUljE_ZNSN_ISO_Lb0ESQ_SR_ST_SU_SY_EESZ_S10_S11_S12_S16_S17_S18_S1B_S1C_jS1D_jS1E_S1E_jjS1G_bEUljE0_EEESZ_S10_S11_S18_S1C_S1E_T6_T7_T9_mT8_S1G_bDpT10_ENKUlT_T0_E_clISt17integral_constantIbLb1EES1U_EEDaS1P_S1Q_EUlS1P_E_NS1_11comp_targetILNS1_3genE10ELNS1_11target_archE1200ELNS1_3gpuE4ELNS1_3repE0EEENS1_30default_config_static_selectorELNS0_4arch9wavefront6targetE0EEEvS12_,@function
_ZN7rocprim17ROCPRIM_400000_NS6detail17trampoline_kernelINS0_13select_configILj256ELj13ELNS0_17block_load_methodE3ELS4_3ELS4_3ELNS0_20block_scan_algorithmE0ELj4294967295EEENS1_25partition_config_selectorILNS1_17partition_subalgoE4EjNS0_10empty_typeEbEEZZNS1_14partition_implILS8_4ELb0ES6_15HIP_vector_typeIjLj2EENS0_17counting_iteratorIjlEEPS9_SG_NS0_5tupleIJPjSI_NS0_16reverse_iteratorISI_EEEEENSH_IJSG_SG_SG_EEES9_SI_JZNS1_25segmented_radix_sort_implINS0_14default_configELb0EPKiPiPKlPlN2at6native12_GLOBAL__N_18offset_tEEE10hipError_tPvRmT1_PNSt15iterator_traitsIS12_E10value_typeET2_T3_PNS13_IS18_E10value_typeET4_jRbjT5_S1E_jjP12ihipStream_tbEUljE_ZNSN_ISO_Lb0ESQ_SR_ST_SU_SY_EESZ_S10_S11_S12_S16_S17_S18_S1B_S1C_jS1D_jS1E_S1E_jjS1G_bEUljE0_EEESZ_S10_S11_S18_S1C_S1E_T6_T7_T9_mT8_S1G_bDpT10_ENKUlT_T0_E_clISt17integral_constantIbLb1EES1U_EEDaS1P_S1Q_EUlS1P_E_NS1_11comp_targetILNS1_3genE10ELNS1_11target_archE1200ELNS1_3gpuE4ELNS1_3repE0EEENS1_30default_config_static_selectorELNS0_4arch9wavefront6targetE0EEEvS12_: ; @_ZN7rocprim17ROCPRIM_400000_NS6detail17trampoline_kernelINS0_13select_configILj256ELj13ELNS0_17block_load_methodE3ELS4_3ELS4_3ELNS0_20block_scan_algorithmE0ELj4294967295EEENS1_25partition_config_selectorILNS1_17partition_subalgoE4EjNS0_10empty_typeEbEEZZNS1_14partition_implILS8_4ELb0ES6_15HIP_vector_typeIjLj2EENS0_17counting_iteratorIjlEEPS9_SG_NS0_5tupleIJPjSI_NS0_16reverse_iteratorISI_EEEEENSH_IJSG_SG_SG_EEES9_SI_JZNS1_25segmented_radix_sort_implINS0_14default_configELb0EPKiPiPKlPlN2at6native12_GLOBAL__N_18offset_tEEE10hipError_tPvRmT1_PNSt15iterator_traitsIS12_E10value_typeET2_T3_PNS13_IS18_E10value_typeET4_jRbjT5_S1E_jjP12ihipStream_tbEUljE_ZNSN_ISO_Lb0ESQ_SR_ST_SU_SY_EESZ_S10_S11_S12_S16_S17_S18_S1B_S1C_jS1D_jS1E_S1E_jjS1G_bEUljE0_EEESZ_S10_S11_S18_S1C_S1E_T6_T7_T9_mT8_S1G_bDpT10_ENKUlT_T0_E_clISt17integral_constantIbLb1EES1U_EEDaS1P_S1Q_EUlS1P_E_NS1_11comp_targetILNS1_3genE10ELNS1_11target_archE1200ELNS1_3gpuE4ELNS1_3repE0EEENS1_30default_config_static_selectorELNS0_4arch9wavefront6targetE0EEEvS12_
; %bb.0:
	s_endpgm
	.section	.rodata,"a",@progbits
	.p2align	6, 0x0
	.amdhsa_kernel _ZN7rocprim17ROCPRIM_400000_NS6detail17trampoline_kernelINS0_13select_configILj256ELj13ELNS0_17block_load_methodE3ELS4_3ELS4_3ELNS0_20block_scan_algorithmE0ELj4294967295EEENS1_25partition_config_selectorILNS1_17partition_subalgoE4EjNS0_10empty_typeEbEEZZNS1_14partition_implILS8_4ELb0ES6_15HIP_vector_typeIjLj2EENS0_17counting_iteratorIjlEEPS9_SG_NS0_5tupleIJPjSI_NS0_16reverse_iteratorISI_EEEEENSH_IJSG_SG_SG_EEES9_SI_JZNS1_25segmented_radix_sort_implINS0_14default_configELb0EPKiPiPKlPlN2at6native12_GLOBAL__N_18offset_tEEE10hipError_tPvRmT1_PNSt15iterator_traitsIS12_E10value_typeET2_T3_PNS13_IS18_E10value_typeET4_jRbjT5_S1E_jjP12ihipStream_tbEUljE_ZNSN_ISO_Lb0ESQ_SR_ST_SU_SY_EESZ_S10_S11_S12_S16_S17_S18_S1B_S1C_jS1D_jS1E_S1E_jjS1G_bEUljE0_EEESZ_S10_S11_S18_S1C_S1E_T6_T7_T9_mT8_S1G_bDpT10_ENKUlT_T0_E_clISt17integral_constantIbLb1EES1U_EEDaS1P_S1Q_EUlS1P_E_NS1_11comp_targetILNS1_3genE10ELNS1_11target_archE1200ELNS1_3gpuE4ELNS1_3repE0EEENS1_30default_config_static_selectorELNS0_4arch9wavefront6targetE0EEEvS12_
		.amdhsa_group_segment_fixed_size 0
		.amdhsa_private_segment_fixed_size 0
		.amdhsa_kernarg_size 184
		.amdhsa_user_sgpr_count 2
		.amdhsa_user_sgpr_dispatch_ptr 0
		.amdhsa_user_sgpr_queue_ptr 0
		.amdhsa_user_sgpr_kernarg_segment_ptr 1
		.amdhsa_user_sgpr_dispatch_id 0
		.amdhsa_user_sgpr_private_segment_size 0
		.amdhsa_wavefront_size32 1
		.amdhsa_uses_dynamic_stack 0
		.amdhsa_enable_private_segment 0
		.amdhsa_system_sgpr_workgroup_id_x 1
		.amdhsa_system_sgpr_workgroup_id_y 0
		.amdhsa_system_sgpr_workgroup_id_z 0
		.amdhsa_system_sgpr_workgroup_info 0
		.amdhsa_system_vgpr_workitem_id 0
		.amdhsa_next_free_vgpr 1
		.amdhsa_next_free_sgpr 1
		.amdhsa_reserve_vcc 0
		.amdhsa_float_round_mode_32 0
		.amdhsa_float_round_mode_16_64 0
		.amdhsa_float_denorm_mode_32 3
		.amdhsa_float_denorm_mode_16_64 3
		.amdhsa_fp16_overflow 0
		.amdhsa_workgroup_processor_mode 1
		.amdhsa_memory_ordered 1
		.amdhsa_forward_progress 1
		.amdhsa_inst_pref_size 1
		.amdhsa_round_robin_scheduling 0
		.amdhsa_exception_fp_ieee_invalid_op 0
		.amdhsa_exception_fp_denorm_src 0
		.amdhsa_exception_fp_ieee_div_zero 0
		.amdhsa_exception_fp_ieee_overflow 0
		.amdhsa_exception_fp_ieee_underflow 0
		.amdhsa_exception_fp_ieee_inexact 0
		.amdhsa_exception_int_div_zero 0
	.end_amdhsa_kernel
	.section	.text._ZN7rocprim17ROCPRIM_400000_NS6detail17trampoline_kernelINS0_13select_configILj256ELj13ELNS0_17block_load_methodE3ELS4_3ELS4_3ELNS0_20block_scan_algorithmE0ELj4294967295EEENS1_25partition_config_selectorILNS1_17partition_subalgoE4EjNS0_10empty_typeEbEEZZNS1_14partition_implILS8_4ELb0ES6_15HIP_vector_typeIjLj2EENS0_17counting_iteratorIjlEEPS9_SG_NS0_5tupleIJPjSI_NS0_16reverse_iteratorISI_EEEEENSH_IJSG_SG_SG_EEES9_SI_JZNS1_25segmented_radix_sort_implINS0_14default_configELb0EPKiPiPKlPlN2at6native12_GLOBAL__N_18offset_tEEE10hipError_tPvRmT1_PNSt15iterator_traitsIS12_E10value_typeET2_T3_PNS13_IS18_E10value_typeET4_jRbjT5_S1E_jjP12ihipStream_tbEUljE_ZNSN_ISO_Lb0ESQ_SR_ST_SU_SY_EESZ_S10_S11_S12_S16_S17_S18_S1B_S1C_jS1D_jS1E_S1E_jjS1G_bEUljE0_EEESZ_S10_S11_S18_S1C_S1E_T6_T7_T9_mT8_S1G_bDpT10_ENKUlT_T0_E_clISt17integral_constantIbLb1EES1U_EEDaS1P_S1Q_EUlS1P_E_NS1_11comp_targetILNS1_3genE10ELNS1_11target_archE1200ELNS1_3gpuE4ELNS1_3repE0EEENS1_30default_config_static_selectorELNS0_4arch9wavefront6targetE0EEEvS12_,"axG",@progbits,_ZN7rocprim17ROCPRIM_400000_NS6detail17trampoline_kernelINS0_13select_configILj256ELj13ELNS0_17block_load_methodE3ELS4_3ELS4_3ELNS0_20block_scan_algorithmE0ELj4294967295EEENS1_25partition_config_selectorILNS1_17partition_subalgoE4EjNS0_10empty_typeEbEEZZNS1_14partition_implILS8_4ELb0ES6_15HIP_vector_typeIjLj2EENS0_17counting_iteratorIjlEEPS9_SG_NS0_5tupleIJPjSI_NS0_16reverse_iteratorISI_EEEEENSH_IJSG_SG_SG_EEES9_SI_JZNS1_25segmented_radix_sort_implINS0_14default_configELb0EPKiPiPKlPlN2at6native12_GLOBAL__N_18offset_tEEE10hipError_tPvRmT1_PNSt15iterator_traitsIS12_E10value_typeET2_T3_PNS13_IS18_E10value_typeET4_jRbjT5_S1E_jjP12ihipStream_tbEUljE_ZNSN_ISO_Lb0ESQ_SR_ST_SU_SY_EESZ_S10_S11_S12_S16_S17_S18_S1B_S1C_jS1D_jS1E_S1E_jjS1G_bEUljE0_EEESZ_S10_S11_S18_S1C_S1E_T6_T7_T9_mT8_S1G_bDpT10_ENKUlT_T0_E_clISt17integral_constantIbLb1EES1U_EEDaS1P_S1Q_EUlS1P_E_NS1_11comp_targetILNS1_3genE10ELNS1_11target_archE1200ELNS1_3gpuE4ELNS1_3repE0EEENS1_30default_config_static_selectorELNS0_4arch9wavefront6targetE0EEEvS12_,comdat
.Lfunc_end549:
	.size	_ZN7rocprim17ROCPRIM_400000_NS6detail17trampoline_kernelINS0_13select_configILj256ELj13ELNS0_17block_load_methodE3ELS4_3ELS4_3ELNS0_20block_scan_algorithmE0ELj4294967295EEENS1_25partition_config_selectorILNS1_17partition_subalgoE4EjNS0_10empty_typeEbEEZZNS1_14partition_implILS8_4ELb0ES6_15HIP_vector_typeIjLj2EENS0_17counting_iteratorIjlEEPS9_SG_NS0_5tupleIJPjSI_NS0_16reverse_iteratorISI_EEEEENSH_IJSG_SG_SG_EEES9_SI_JZNS1_25segmented_radix_sort_implINS0_14default_configELb0EPKiPiPKlPlN2at6native12_GLOBAL__N_18offset_tEEE10hipError_tPvRmT1_PNSt15iterator_traitsIS12_E10value_typeET2_T3_PNS13_IS18_E10value_typeET4_jRbjT5_S1E_jjP12ihipStream_tbEUljE_ZNSN_ISO_Lb0ESQ_SR_ST_SU_SY_EESZ_S10_S11_S12_S16_S17_S18_S1B_S1C_jS1D_jS1E_S1E_jjS1G_bEUljE0_EEESZ_S10_S11_S18_S1C_S1E_T6_T7_T9_mT8_S1G_bDpT10_ENKUlT_T0_E_clISt17integral_constantIbLb1EES1U_EEDaS1P_S1Q_EUlS1P_E_NS1_11comp_targetILNS1_3genE10ELNS1_11target_archE1200ELNS1_3gpuE4ELNS1_3repE0EEENS1_30default_config_static_selectorELNS0_4arch9wavefront6targetE0EEEvS12_, .Lfunc_end549-_ZN7rocprim17ROCPRIM_400000_NS6detail17trampoline_kernelINS0_13select_configILj256ELj13ELNS0_17block_load_methodE3ELS4_3ELS4_3ELNS0_20block_scan_algorithmE0ELj4294967295EEENS1_25partition_config_selectorILNS1_17partition_subalgoE4EjNS0_10empty_typeEbEEZZNS1_14partition_implILS8_4ELb0ES6_15HIP_vector_typeIjLj2EENS0_17counting_iteratorIjlEEPS9_SG_NS0_5tupleIJPjSI_NS0_16reverse_iteratorISI_EEEEENSH_IJSG_SG_SG_EEES9_SI_JZNS1_25segmented_radix_sort_implINS0_14default_configELb0EPKiPiPKlPlN2at6native12_GLOBAL__N_18offset_tEEE10hipError_tPvRmT1_PNSt15iterator_traitsIS12_E10value_typeET2_T3_PNS13_IS18_E10value_typeET4_jRbjT5_S1E_jjP12ihipStream_tbEUljE_ZNSN_ISO_Lb0ESQ_SR_ST_SU_SY_EESZ_S10_S11_S12_S16_S17_S18_S1B_S1C_jS1D_jS1E_S1E_jjS1G_bEUljE0_EEESZ_S10_S11_S18_S1C_S1E_T6_T7_T9_mT8_S1G_bDpT10_ENKUlT_T0_E_clISt17integral_constantIbLb1EES1U_EEDaS1P_S1Q_EUlS1P_E_NS1_11comp_targetILNS1_3genE10ELNS1_11target_archE1200ELNS1_3gpuE4ELNS1_3repE0EEENS1_30default_config_static_selectorELNS0_4arch9wavefront6targetE0EEEvS12_
                                        ; -- End function
	.set _ZN7rocprim17ROCPRIM_400000_NS6detail17trampoline_kernelINS0_13select_configILj256ELj13ELNS0_17block_load_methodE3ELS4_3ELS4_3ELNS0_20block_scan_algorithmE0ELj4294967295EEENS1_25partition_config_selectorILNS1_17partition_subalgoE4EjNS0_10empty_typeEbEEZZNS1_14partition_implILS8_4ELb0ES6_15HIP_vector_typeIjLj2EENS0_17counting_iteratorIjlEEPS9_SG_NS0_5tupleIJPjSI_NS0_16reverse_iteratorISI_EEEEENSH_IJSG_SG_SG_EEES9_SI_JZNS1_25segmented_radix_sort_implINS0_14default_configELb0EPKiPiPKlPlN2at6native12_GLOBAL__N_18offset_tEEE10hipError_tPvRmT1_PNSt15iterator_traitsIS12_E10value_typeET2_T3_PNS13_IS18_E10value_typeET4_jRbjT5_S1E_jjP12ihipStream_tbEUljE_ZNSN_ISO_Lb0ESQ_SR_ST_SU_SY_EESZ_S10_S11_S12_S16_S17_S18_S1B_S1C_jS1D_jS1E_S1E_jjS1G_bEUljE0_EEESZ_S10_S11_S18_S1C_S1E_T6_T7_T9_mT8_S1G_bDpT10_ENKUlT_T0_E_clISt17integral_constantIbLb1EES1U_EEDaS1P_S1Q_EUlS1P_E_NS1_11comp_targetILNS1_3genE10ELNS1_11target_archE1200ELNS1_3gpuE4ELNS1_3repE0EEENS1_30default_config_static_selectorELNS0_4arch9wavefront6targetE0EEEvS12_.num_vgpr, 0
	.set _ZN7rocprim17ROCPRIM_400000_NS6detail17trampoline_kernelINS0_13select_configILj256ELj13ELNS0_17block_load_methodE3ELS4_3ELS4_3ELNS0_20block_scan_algorithmE0ELj4294967295EEENS1_25partition_config_selectorILNS1_17partition_subalgoE4EjNS0_10empty_typeEbEEZZNS1_14partition_implILS8_4ELb0ES6_15HIP_vector_typeIjLj2EENS0_17counting_iteratorIjlEEPS9_SG_NS0_5tupleIJPjSI_NS0_16reverse_iteratorISI_EEEEENSH_IJSG_SG_SG_EEES9_SI_JZNS1_25segmented_radix_sort_implINS0_14default_configELb0EPKiPiPKlPlN2at6native12_GLOBAL__N_18offset_tEEE10hipError_tPvRmT1_PNSt15iterator_traitsIS12_E10value_typeET2_T3_PNS13_IS18_E10value_typeET4_jRbjT5_S1E_jjP12ihipStream_tbEUljE_ZNSN_ISO_Lb0ESQ_SR_ST_SU_SY_EESZ_S10_S11_S12_S16_S17_S18_S1B_S1C_jS1D_jS1E_S1E_jjS1G_bEUljE0_EEESZ_S10_S11_S18_S1C_S1E_T6_T7_T9_mT8_S1G_bDpT10_ENKUlT_T0_E_clISt17integral_constantIbLb1EES1U_EEDaS1P_S1Q_EUlS1P_E_NS1_11comp_targetILNS1_3genE10ELNS1_11target_archE1200ELNS1_3gpuE4ELNS1_3repE0EEENS1_30default_config_static_selectorELNS0_4arch9wavefront6targetE0EEEvS12_.num_agpr, 0
	.set _ZN7rocprim17ROCPRIM_400000_NS6detail17trampoline_kernelINS0_13select_configILj256ELj13ELNS0_17block_load_methodE3ELS4_3ELS4_3ELNS0_20block_scan_algorithmE0ELj4294967295EEENS1_25partition_config_selectorILNS1_17partition_subalgoE4EjNS0_10empty_typeEbEEZZNS1_14partition_implILS8_4ELb0ES6_15HIP_vector_typeIjLj2EENS0_17counting_iteratorIjlEEPS9_SG_NS0_5tupleIJPjSI_NS0_16reverse_iteratorISI_EEEEENSH_IJSG_SG_SG_EEES9_SI_JZNS1_25segmented_radix_sort_implINS0_14default_configELb0EPKiPiPKlPlN2at6native12_GLOBAL__N_18offset_tEEE10hipError_tPvRmT1_PNSt15iterator_traitsIS12_E10value_typeET2_T3_PNS13_IS18_E10value_typeET4_jRbjT5_S1E_jjP12ihipStream_tbEUljE_ZNSN_ISO_Lb0ESQ_SR_ST_SU_SY_EESZ_S10_S11_S12_S16_S17_S18_S1B_S1C_jS1D_jS1E_S1E_jjS1G_bEUljE0_EEESZ_S10_S11_S18_S1C_S1E_T6_T7_T9_mT8_S1G_bDpT10_ENKUlT_T0_E_clISt17integral_constantIbLb1EES1U_EEDaS1P_S1Q_EUlS1P_E_NS1_11comp_targetILNS1_3genE10ELNS1_11target_archE1200ELNS1_3gpuE4ELNS1_3repE0EEENS1_30default_config_static_selectorELNS0_4arch9wavefront6targetE0EEEvS12_.numbered_sgpr, 0
	.set _ZN7rocprim17ROCPRIM_400000_NS6detail17trampoline_kernelINS0_13select_configILj256ELj13ELNS0_17block_load_methodE3ELS4_3ELS4_3ELNS0_20block_scan_algorithmE0ELj4294967295EEENS1_25partition_config_selectorILNS1_17partition_subalgoE4EjNS0_10empty_typeEbEEZZNS1_14partition_implILS8_4ELb0ES6_15HIP_vector_typeIjLj2EENS0_17counting_iteratorIjlEEPS9_SG_NS0_5tupleIJPjSI_NS0_16reverse_iteratorISI_EEEEENSH_IJSG_SG_SG_EEES9_SI_JZNS1_25segmented_radix_sort_implINS0_14default_configELb0EPKiPiPKlPlN2at6native12_GLOBAL__N_18offset_tEEE10hipError_tPvRmT1_PNSt15iterator_traitsIS12_E10value_typeET2_T3_PNS13_IS18_E10value_typeET4_jRbjT5_S1E_jjP12ihipStream_tbEUljE_ZNSN_ISO_Lb0ESQ_SR_ST_SU_SY_EESZ_S10_S11_S12_S16_S17_S18_S1B_S1C_jS1D_jS1E_S1E_jjS1G_bEUljE0_EEESZ_S10_S11_S18_S1C_S1E_T6_T7_T9_mT8_S1G_bDpT10_ENKUlT_T0_E_clISt17integral_constantIbLb1EES1U_EEDaS1P_S1Q_EUlS1P_E_NS1_11comp_targetILNS1_3genE10ELNS1_11target_archE1200ELNS1_3gpuE4ELNS1_3repE0EEENS1_30default_config_static_selectorELNS0_4arch9wavefront6targetE0EEEvS12_.num_named_barrier, 0
	.set _ZN7rocprim17ROCPRIM_400000_NS6detail17trampoline_kernelINS0_13select_configILj256ELj13ELNS0_17block_load_methodE3ELS4_3ELS4_3ELNS0_20block_scan_algorithmE0ELj4294967295EEENS1_25partition_config_selectorILNS1_17partition_subalgoE4EjNS0_10empty_typeEbEEZZNS1_14partition_implILS8_4ELb0ES6_15HIP_vector_typeIjLj2EENS0_17counting_iteratorIjlEEPS9_SG_NS0_5tupleIJPjSI_NS0_16reverse_iteratorISI_EEEEENSH_IJSG_SG_SG_EEES9_SI_JZNS1_25segmented_radix_sort_implINS0_14default_configELb0EPKiPiPKlPlN2at6native12_GLOBAL__N_18offset_tEEE10hipError_tPvRmT1_PNSt15iterator_traitsIS12_E10value_typeET2_T3_PNS13_IS18_E10value_typeET4_jRbjT5_S1E_jjP12ihipStream_tbEUljE_ZNSN_ISO_Lb0ESQ_SR_ST_SU_SY_EESZ_S10_S11_S12_S16_S17_S18_S1B_S1C_jS1D_jS1E_S1E_jjS1G_bEUljE0_EEESZ_S10_S11_S18_S1C_S1E_T6_T7_T9_mT8_S1G_bDpT10_ENKUlT_T0_E_clISt17integral_constantIbLb1EES1U_EEDaS1P_S1Q_EUlS1P_E_NS1_11comp_targetILNS1_3genE10ELNS1_11target_archE1200ELNS1_3gpuE4ELNS1_3repE0EEENS1_30default_config_static_selectorELNS0_4arch9wavefront6targetE0EEEvS12_.private_seg_size, 0
	.set _ZN7rocprim17ROCPRIM_400000_NS6detail17trampoline_kernelINS0_13select_configILj256ELj13ELNS0_17block_load_methodE3ELS4_3ELS4_3ELNS0_20block_scan_algorithmE0ELj4294967295EEENS1_25partition_config_selectorILNS1_17partition_subalgoE4EjNS0_10empty_typeEbEEZZNS1_14partition_implILS8_4ELb0ES6_15HIP_vector_typeIjLj2EENS0_17counting_iteratorIjlEEPS9_SG_NS0_5tupleIJPjSI_NS0_16reverse_iteratorISI_EEEEENSH_IJSG_SG_SG_EEES9_SI_JZNS1_25segmented_radix_sort_implINS0_14default_configELb0EPKiPiPKlPlN2at6native12_GLOBAL__N_18offset_tEEE10hipError_tPvRmT1_PNSt15iterator_traitsIS12_E10value_typeET2_T3_PNS13_IS18_E10value_typeET4_jRbjT5_S1E_jjP12ihipStream_tbEUljE_ZNSN_ISO_Lb0ESQ_SR_ST_SU_SY_EESZ_S10_S11_S12_S16_S17_S18_S1B_S1C_jS1D_jS1E_S1E_jjS1G_bEUljE0_EEESZ_S10_S11_S18_S1C_S1E_T6_T7_T9_mT8_S1G_bDpT10_ENKUlT_T0_E_clISt17integral_constantIbLb1EES1U_EEDaS1P_S1Q_EUlS1P_E_NS1_11comp_targetILNS1_3genE10ELNS1_11target_archE1200ELNS1_3gpuE4ELNS1_3repE0EEENS1_30default_config_static_selectorELNS0_4arch9wavefront6targetE0EEEvS12_.uses_vcc, 0
	.set _ZN7rocprim17ROCPRIM_400000_NS6detail17trampoline_kernelINS0_13select_configILj256ELj13ELNS0_17block_load_methodE3ELS4_3ELS4_3ELNS0_20block_scan_algorithmE0ELj4294967295EEENS1_25partition_config_selectorILNS1_17partition_subalgoE4EjNS0_10empty_typeEbEEZZNS1_14partition_implILS8_4ELb0ES6_15HIP_vector_typeIjLj2EENS0_17counting_iteratorIjlEEPS9_SG_NS0_5tupleIJPjSI_NS0_16reverse_iteratorISI_EEEEENSH_IJSG_SG_SG_EEES9_SI_JZNS1_25segmented_radix_sort_implINS0_14default_configELb0EPKiPiPKlPlN2at6native12_GLOBAL__N_18offset_tEEE10hipError_tPvRmT1_PNSt15iterator_traitsIS12_E10value_typeET2_T3_PNS13_IS18_E10value_typeET4_jRbjT5_S1E_jjP12ihipStream_tbEUljE_ZNSN_ISO_Lb0ESQ_SR_ST_SU_SY_EESZ_S10_S11_S12_S16_S17_S18_S1B_S1C_jS1D_jS1E_S1E_jjS1G_bEUljE0_EEESZ_S10_S11_S18_S1C_S1E_T6_T7_T9_mT8_S1G_bDpT10_ENKUlT_T0_E_clISt17integral_constantIbLb1EES1U_EEDaS1P_S1Q_EUlS1P_E_NS1_11comp_targetILNS1_3genE10ELNS1_11target_archE1200ELNS1_3gpuE4ELNS1_3repE0EEENS1_30default_config_static_selectorELNS0_4arch9wavefront6targetE0EEEvS12_.uses_flat_scratch, 0
	.set _ZN7rocprim17ROCPRIM_400000_NS6detail17trampoline_kernelINS0_13select_configILj256ELj13ELNS0_17block_load_methodE3ELS4_3ELS4_3ELNS0_20block_scan_algorithmE0ELj4294967295EEENS1_25partition_config_selectorILNS1_17partition_subalgoE4EjNS0_10empty_typeEbEEZZNS1_14partition_implILS8_4ELb0ES6_15HIP_vector_typeIjLj2EENS0_17counting_iteratorIjlEEPS9_SG_NS0_5tupleIJPjSI_NS0_16reverse_iteratorISI_EEEEENSH_IJSG_SG_SG_EEES9_SI_JZNS1_25segmented_radix_sort_implINS0_14default_configELb0EPKiPiPKlPlN2at6native12_GLOBAL__N_18offset_tEEE10hipError_tPvRmT1_PNSt15iterator_traitsIS12_E10value_typeET2_T3_PNS13_IS18_E10value_typeET4_jRbjT5_S1E_jjP12ihipStream_tbEUljE_ZNSN_ISO_Lb0ESQ_SR_ST_SU_SY_EESZ_S10_S11_S12_S16_S17_S18_S1B_S1C_jS1D_jS1E_S1E_jjS1G_bEUljE0_EEESZ_S10_S11_S18_S1C_S1E_T6_T7_T9_mT8_S1G_bDpT10_ENKUlT_T0_E_clISt17integral_constantIbLb1EES1U_EEDaS1P_S1Q_EUlS1P_E_NS1_11comp_targetILNS1_3genE10ELNS1_11target_archE1200ELNS1_3gpuE4ELNS1_3repE0EEENS1_30default_config_static_selectorELNS0_4arch9wavefront6targetE0EEEvS12_.has_dyn_sized_stack, 0
	.set _ZN7rocprim17ROCPRIM_400000_NS6detail17trampoline_kernelINS0_13select_configILj256ELj13ELNS0_17block_load_methodE3ELS4_3ELS4_3ELNS0_20block_scan_algorithmE0ELj4294967295EEENS1_25partition_config_selectorILNS1_17partition_subalgoE4EjNS0_10empty_typeEbEEZZNS1_14partition_implILS8_4ELb0ES6_15HIP_vector_typeIjLj2EENS0_17counting_iteratorIjlEEPS9_SG_NS0_5tupleIJPjSI_NS0_16reverse_iteratorISI_EEEEENSH_IJSG_SG_SG_EEES9_SI_JZNS1_25segmented_radix_sort_implINS0_14default_configELb0EPKiPiPKlPlN2at6native12_GLOBAL__N_18offset_tEEE10hipError_tPvRmT1_PNSt15iterator_traitsIS12_E10value_typeET2_T3_PNS13_IS18_E10value_typeET4_jRbjT5_S1E_jjP12ihipStream_tbEUljE_ZNSN_ISO_Lb0ESQ_SR_ST_SU_SY_EESZ_S10_S11_S12_S16_S17_S18_S1B_S1C_jS1D_jS1E_S1E_jjS1G_bEUljE0_EEESZ_S10_S11_S18_S1C_S1E_T6_T7_T9_mT8_S1G_bDpT10_ENKUlT_T0_E_clISt17integral_constantIbLb1EES1U_EEDaS1P_S1Q_EUlS1P_E_NS1_11comp_targetILNS1_3genE10ELNS1_11target_archE1200ELNS1_3gpuE4ELNS1_3repE0EEENS1_30default_config_static_selectorELNS0_4arch9wavefront6targetE0EEEvS12_.has_recursion, 0
	.set _ZN7rocprim17ROCPRIM_400000_NS6detail17trampoline_kernelINS0_13select_configILj256ELj13ELNS0_17block_load_methodE3ELS4_3ELS4_3ELNS0_20block_scan_algorithmE0ELj4294967295EEENS1_25partition_config_selectorILNS1_17partition_subalgoE4EjNS0_10empty_typeEbEEZZNS1_14partition_implILS8_4ELb0ES6_15HIP_vector_typeIjLj2EENS0_17counting_iteratorIjlEEPS9_SG_NS0_5tupleIJPjSI_NS0_16reverse_iteratorISI_EEEEENSH_IJSG_SG_SG_EEES9_SI_JZNS1_25segmented_radix_sort_implINS0_14default_configELb0EPKiPiPKlPlN2at6native12_GLOBAL__N_18offset_tEEE10hipError_tPvRmT1_PNSt15iterator_traitsIS12_E10value_typeET2_T3_PNS13_IS18_E10value_typeET4_jRbjT5_S1E_jjP12ihipStream_tbEUljE_ZNSN_ISO_Lb0ESQ_SR_ST_SU_SY_EESZ_S10_S11_S12_S16_S17_S18_S1B_S1C_jS1D_jS1E_S1E_jjS1G_bEUljE0_EEESZ_S10_S11_S18_S1C_S1E_T6_T7_T9_mT8_S1G_bDpT10_ENKUlT_T0_E_clISt17integral_constantIbLb1EES1U_EEDaS1P_S1Q_EUlS1P_E_NS1_11comp_targetILNS1_3genE10ELNS1_11target_archE1200ELNS1_3gpuE4ELNS1_3repE0EEENS1_30default_config_static_selectorELNS0_4arch9wavefront6targetE0EEEvS12_.has_indirect_call, 0
	.section	.AMDGPU.csdata,"",@progbits
; Kernel info:
; codeLenInByte = 4
; TotalNumSgprs: 0
; NumVgprs: 0
; ScratchSize: 0
; MemoryBound: 0
; FloatMode: 240
; IeeeMode: 1
; LDSByteSize: 0 bytes/workgroup (compile time only)
; SGPRBlocks: 0
; VGPRBlocks: 0
; NumSGPRsForWavesPerEU: 1
; NumVGPRsForWavesPerEU: 1
; Occupancy: 16
; WaveLimiterHint : 0
; COMPUTE_PGM_RSRC2:SCRATCH_EN: 0
; COMPUTE_PGM_RSRC2:USER_SGPR: 2
; COMPUTE_PGM_RSRC2:TRAP_HANDLER: 0
; COMPUTE_PGM_RSRC2:TGID_X_EN: 1
; COMPUTE_PGM_RSRC2:TGID_Y_EN: 0
; COMPUTE_PGM_RSRC2:TGID_Z_EN: 0
; COMPUTE_PGM_RSRC2:TIDIG_COMP_CNT: 0
	.section	.text._ZN7rocprim17ROCPRIM_400000_NS6detail17trampoline_kernelINS0_13select_configILj256ELj13ELNS0_17block_load_methodE3ELS4_3ELS4_3ELNS0_20block_scan_algorithmE0ELj4294967295EEENS1_25partition_config_selectorILNS1_17partition_subalgoE4EjNS0_10empty_typeEbEEZZNS1_14partition_implILS8_4ELb0ES6_15HIP_vector_typeIjLj2EENS0_17counting_iteratorIjlEEPS9_SG_NS0_5tupleIJPjSI_NS0_16reverse_iteratorISI_EEEEENSH_IJSG_SG_SG_EEES9_SI_JZNS1_25segmented_radix_sort_implINS0_14default_configELb0EPKiPiPKlPlN2at6native12_GLOBAL__N_18offset_tEEE10hipError_tPvRmT1_PNSt15iterator_traitsIS12_E10value_typeET2_T3_PNS13_IS18_E10value_typeET4_jRbjT5_S1E_jjP12ihipStream_tbEUljE_ZNSN_ISO_Lb0ESQ_SR_ST_SU_SY_EESZ_S10_S11_S12_S16_S17_S18_S1B_S1C_jS1D_jS1E_S1E_jjS1G_bEUljE0_EEESZ_S10_S11_S18_S1C_S1E_T6_T7_T9_mT8_S1G_bDpT10_ENKUlT_T0_E_clISt17integral_constantIbLb1EES1U_EEDaS1P_S1Q_EUlS1P_E_NS1_11comp_targetILNS1_3genE9ELNS1_11target_archE1100ELNS1_3gpuE3ELNS1_3repE0EEENS1_30default_config_static_selectorELNS0_4arch9wavefront6targetE0EEEvS12_,"axG",@progbits,_ZN7rocprim17ROCPRIM_400000_NS6detail17trampoline_kernelINS0_13select_configILj256ELj13ELNS0_17block_load_methodE3ELS4_3ELS4_3ELNS0_20block_scan_algorithmE0ELj4294967295EEENS1_25partition_config_selectorILNS1_17partition_subalgoE4EjNS0_10empty_typeEbEEZZNS1_14partition_implILS8_4ELb0ES6_15HIP_vector_typeIjLj2EENS0_17counting_iteratorIjlEEPS9_SG_NS0_5tupleIJPjSI_NS0_16reverse_iteratorISI_EEEEENSH_IJSG_SG_SG_EEES9_SI_JZNS1_25segmented_radix_sort_implINS0_14default_configELb0EPKiPiPKlPlN2at6native12_GLOBAL__N_18offset_tEEE10hipError_tPvRmT1_PNSt15iterator_traitsIS12_E10value_typeET2_T3_PNS13_IS18_E10value_typeET4_jRbjT5_S1E_jjP12ihipStream_tbEUljE_ZNSN_ISO_Lb0ESQ_SR_ST_SU_SY_EESZ_S10_S11_S12_S16_S17_S18_S1B_S1C_jS1D_jS1E_S1E_jjS1G_bEUljE0_EEESZ_S10_S11_S18_S1C_S1E_T6_T7_T9_mT8_S1G_bDpT10_ENKUlT_T0_E_clISt17integral_constantIbLb1EES1U_EEDaS1P_S1Q_EUlS1P_E_NS1_11comp_targetILNS1_3genE9ELNS1_11target_archE1100ELNS1_3gpuE3ELNS1_3repE0EEENS1_30default_config_static_selectorELNS0_4arch9wavefront6targetE0EEEvS12_,comdat
	.globl	_ZN7rocprim17ROCPRIM_400000_NS6detail17trampoline_kernelINS0_13select_configILj256ELj13ELNS0_17block_load_methodE3ELS4_3ELS4_3ELNS0_20block_scan_algorithmE0ELj4294967295EEENS1_25partition_config_selectorILNS1_17partition_subalgoE4EjNS0_10empty_typeEbEEZZNS1_14partition_implILS8_4ELb0ES6_15HIP_vector_typeIjLj2EENS0_17counting_iteratorIjlEEPS9_SG_NS0_5tupleIJPjSI_NS0_16reverse_iteratorISI_EEEEENSH_IJSG_SG_SG_EEES9_SI_JZNS1_25segmented_radix_sort_implINS0_14default_configELb0EPKiPiPKlPlN2at6native12_GLOBAL__N_18offset_tEEE10hipError_tPvRmT1_PNSt15iterator_traitsIS12_E10value_typeET2_T3_PNS13_IS18_E10value_typeET4_jRbjT5_S1E_jjP12ihipStream_tbEUljE_ZNSN_ISO_Lb0ESQ_SR_ST_SU_SY_EESZ_S10_S11_S12_S16_S17_S18_S1B_S1C_jS1D_jS1E_S1E_jjS1G_bEUljE0_EEESZ_S10_S11_S18_S1C_S1E_T6_T7_T9_mT8_S1G_bDpT10_ENKUlT_T0_E_clISt17integral_constantIbLb1EES1U_EEDaS1P_S1Q_EUlS1P_E_NS1_11comp_targetILNS1_3genE9ELNS1_11target_archE1100ELNS1_3gpuE3ELNS1_3repE0EEENS1_30default_config_static_selectorELNS0_4arch9wavefront6targetE0EEEvS12_ ; -- Begin function _ZN7rocprim17ROCPRIM_400000_NS6detail17trampoline_kernelINS0_13select_configILj256ELj13ELNS0_17block_load_methodE3ELS4_3ELS4_3ELNS0_20block_scan_algorithmE0ELj4294967295EEENS1_25partition_config_selectorILNS1_17partition_subalgoE4EjNS0_10empty_typeEbEEZZNS1_14partition_implILS8_4ELb0ES6_15HIP_vector_typeIjLj2EENS0_17counting_iteratorIjlEEPS9_SG_NS0_5tupleIJPjSI_NS0_16reverse_iteratorISI_EEEEENSH_IJSG_SG_SG_EEES9_SI_JZNS1_25segmented_radix_sort_implINS0_14default_configELb0EPKiPiPKlPlN2at6native12_GLOBAL__N_18offset_tEEE10hipError_tPvRmT1_PNSt15iterator_traitsIS12_E10value_typeET2_T3_PNS13_IS18_E10value_typeET4_jRbjT5_S1E_jjP12ihipStream_tbEUljE_ZNSN_ISO_Lb0ESQ_SR_ST_SU_SY_EESZ_S10_S11_S12_S16_S17_S18_S1B_S1C_jS1D_jS1E_S1E_jjS1G_bEUljE0_EEESZ_S10_S11_S18_S1C_S1E_T6_T7_T9_mT8_S1G_bDpT10_ENKUlT_T0_E_clISt17integral_constantIbLb1EES1U_EEDaS1P_S1Q_EUlS1P_E_NS1_11comp_targetILNS1_3genE9ELNS1_11target_archE1100ELNS1_3gpuE3ELNS1_3repE0EEENS1_30default_config_static_selectorELNS0_4arch9wavefront6targetE0EEEvS12_
	.p2align	8
	.type	_ZN7rocprim17ROCPRIM_400000_NS6detail17trampoline_kernelINS0_13select_configILj256ELj13ELNS0_17block_load_methodE3ELS4_3ELS4_3ELNS0_20block_scan_algorithmE0ELj4294967295EEENS1_25partition_config_selectorILNS1_17partition_subalgoE4EjNS0_10empty_typeEbEEZZNS1_14partition_implILS8_4ELb0ES6_15HIP_vector_typeIjLj2EENS0_17counting_iteratorIjlEEPS9_SG_NS0_5tupleIJPjSI_NS0_16reverse_iteratorISI_EEEEENSH_IJSG_SG_SG_EEES9_SI_JZNS1_25segmented_radix_sort_implINS0_14default_configELb0EPKiPiPKlPlN2at6native12_GLOBAL__N_18offset_tEEE10hipError_tPvRmT1_PNSt15iterator_traitsIS12_E10value_typeET2_T3_PNS13_IS18_E10value_typeET4_jRbjT5_S1E_jjP12ihipStream_tbEUljE_ZNSN_ISO_Lb0ESQ_SR_ST_SU_SY_EESZ_S10_S11_S12_S16_S17_S18_S1B_S1C_jS1D_jS1E_S1E_jjS1G_bEUljE0_EEESZ_S10_S11_S18_S1C_S1E_T6_T7_T9_mT8_S1G_bDpT10_ENKUlT_T0_E_clISt17integral_constantIbLb1EES1U_EEDaS1P_S1Q_EUlS1P_E_NS1_11comp_targetILNS1_3genE9ELNS1_11target_archE1100ELNS1_3gpuE3ELNS1_3repE0EEENS1_30default_config_static_selectorELNS0_4arch9wavefront6targetE0EEEvS12_,@function
_ZN7rocprim17ROCPRIM_400000_NS6detail17trampoline_kernelINS0_13select_configILj256ELj13ELNS0_17block_load_methodE3ELS4_3ELS4_3ELNS0_20block_scan_algorithmE0ELj4294967295EEENS1_25partition_config_selectorILNS1_17partition_subalgoE4EjNS0_10empty_typeEbEEZZNS1_14partition_implILS8_4ELb0ES6_15HIP_vector_typeIjLj2EENS0_17counting_iteratorIjlEEPS9_SG_NS0_5tupleIJPjSI_NS0_16reverse_iteratorISI_EEEEENSH_IJSG_SG_SG_EEES9_SI_JZNS1_25segmented_radix_sort_implINS0_14default_configELb0EPKiPiPKlPlN2at6native12_GLOBAL__N_18offset_tEEE10hipError_tPvRmT1_PNSt15iterator_traitsIS12_E10value_typeET2_T3_PNS13_IS18_E10value_typeET4_jRbjT5_S1E_jjP12ihipStream_tbEUljE_ZNSN_ISO_Lb0ESQ_SR_ST_SU_SY_EESZ_S10_S11_S12_S16_S17_S18_S1B_S1C_jS1D_jS1E_S1E_jjS1G_bEUljE0_EEESZ_S10_S11_S18_S1C_S1E_T6_T7_T9_mT8_S1G_bDpT10_ENKUlT_T0_E_clISt17integral_constantIbLb1EES1U_EEDaS1P_S1Q_EUlS1P_E_NS1_11comp_targetILNS1_3genE9ELNS1_11target_archE1100ELNS1_3gpuE3ELNS1_3repE0EEENS1_30default_config_static_selectorELNS0_4arch9wavefront6targetE0EEEvS12_: ; @_ZN7rocprim17ROCPRIM_400000_NS6detail17trampoline_kernelINS0_13select_configILj256ELj13ELNS0_17block_load_methodE3ELS4_3ELS4_3ELNS0_20block_scan_algorithmE0ELj4294967295EEENS1_25partition_config_selectorILNS1_17partition_subalgoE4EjNS0_10empty_typeEbEEZZNS1_14partition_implILS8_4ELb0ES6_15HIP_vector_typeIjLj2EENS0_17counting_iteratorIjlEEPS9_SG_NS0_5tupleIJPjSI_NS0_16reverse_iteratorISI_EEEEENSH_IJSG_SG_SG_EEES9_SI_JZNS1_25segmented_radix_sort_implINS0_14default_configELb0EPKiPiPKlPlN2at6native12_GLOBAL__N_18offset_tEEE10hipError_tPvRmT1_PNSt15iterator_traitsIS12_E10value_typeET2_T3_PNS13_IS18_E10value_typeET4_jRbjT5_S1E_jjP12ihipStream_tbEUljE_ZNSN_ISO_Lb0ESQ_SR_ST_SU_SY_EESZ_S10_S11_S12_S16_S17_S18_S1B_S1C_jS1D_jS1E_S1E_jjS1G_bEUljE0_EEESZ_S10_S11_S18_S1C_S1E_T6_T7_T9_mT8_S1G_bDpT10_ENKUlT_T0_E_clISt17integral_constantIbLb1EES1U_EEDaS1P_S1Q_EUlS1P_E_NS1_11comp_targetILNS1_3genE9ELNS1_11target_archE1100ELNS1_3gpuE3ELNS1_3repE0EEENS1_30default_config_static_selectorELNS0_4arch9wavefront6targetE0EEEvS12_
; %bb.0:
	.section	.rodata,"a",@progbits
	.p2align	6, 0x0
	.amdhsa_kernel _ZN7rocprim17ROCPRIM_400000_NS6detail17trampoline_kernelINS0_13select_configILj256ELj13ELNS0_17block_load_methodE3ELS4_3ELS4_3ELNS0_20block_scan_algorithmE0ELj4294967295EEENS1_25partition_config_selectorILNS1_17partition_subalgoE4EjNS0_10empty_typeEbEEZZNS1_14partition_implILS8_4ELb0ES6_15HIP_vector_typeIjLj2EENS0_17counting_iteratorIjlEEPS9_SG_NS0_5tupleIJPjSI_NS0_16reverse_iteratorISI_EEEEENSH_IJSG_SG_SG_EEES9_SI_JZNS1_25segmented_radix_sort_implINS0_14default_configELb0EPKiPiPKlPlN2at6native12_GLOBAL__N_18offset_tEEE10hipError_tPvRmT1_PNSt15iterator_traitsIS12_E10value_typeET2_T3_PNS13_IS18_E10value_typeET4_jRbjT5_S1E_jjP12ihipStream_tbEUljE_ZNSN_ISO_Lb0ESQ_SR_ST_SU_SY_EESZ_S10_S11_S12_S16_S17_S18_S1B_S1C_jS1D_jS1E_S1E_jjS1G_bEUljE0_EEESZ_S10_S11_S18_S1C_S1E_T6_T7_T9_mT8_S1G_bDpT10_ENKUlT_T0_E_clISt17integral_constantIbLb1EES1U_EEDaS1P_S1Q_EUlS1P_E_NS1_11comp_targetILNS1_3genE9ELNS1_11target_archE1100ELNS1_3gpuE3ELNS1_3repE0EEENS1_30default_config_static_selectorELNS0_4arch9wavefront6targetE0EEEvS12_
		.amdhsa_group_segment_fixed_size 0
		.amdhsa_private_segment_fixed_size 0
		.amdhsa_kernarg_size 184
		.amdhsa_user_sgpr_count 2
		.amdhsa_user_sgpr_dispatch_ptr 0
		.amdhsa_user_sgpr_queue_ptr 0
		.amdhsa_user_sgpr_kernarg_segment_ptr 1
		.amdhsa_user_sgpr_dispatch_id 0
		.amdhsa_user_sgpr_private_segment_size 0
		.amdhsa_wavefront_size32 1
		.amdhsa_uses_dynamic_stack 0
		.amdhsa_enable_private_segment 0
		.amdhsa_system_sgpr_workgroup_id_x 1
		.amdhsa_system_sgpr_workgroup_id_y 0
		.amdhsa_system_sgpr_workgroup_id_z 0
		.amdhsa_system_sgpr_workgroup_info 0
		.amdhsa_system_vgpr_workitem_id 0
		.amdhsa_next_free_vgpr 1
		.amdhsa_next_free_sgpr 1
		.amdhsa_reserve_vcc 0
		.amdhsa_float_round_mode_32 0
		.amdhsa_float_round_mode_16_64 0
		.amdhsa_float_denorm_mode_32 3
		.amdhsa_float_denorm_mode_16_64 3
		.amdhsa_fp16_overflow 0
		.amdhsa_workgroup_processor_mode 1
		.amdhsa_memory_ordered 1
		.amdhsa_forward_progress 1
		.amdhsa_inst_pref_size 0
		.amdhsa_round_robin_scheduling 0
		.amdhsa_exception_fp_ieee_invalid_op 0
		.amdhsa_exception_fp_denorm_src 0
		.amdhsa_exception_fp_ieee_div_zero 0
		.amdhsa_exception_fp_ieee_overflow 0
		.amdhsa_exception_fp_ieee_underflow 0
		.amdhsa_exception_fp_ieee_inexact 0
		.amdhsa_exception_int_div_zero 0
	.end_amdhsa_kernel
	.section	.text._ZN7rocprim17ROCPRIM_400000_NS6detail17trampoline_kernelINS0_13select_configILj256ELj13ELNS0_17block_load_methodE3ELS4_3ELS4_3ELNS0_20block_scan_algorithmE0ELj4294967295EEENS1_25partition_config_selectorILNS1_17partition_subalgoE4EjNS0_10empty_typeEbEEZZNS1_14partition_implILS8_4ELb0ES6_15HIP_vector_typeIjLj2EENS0_17counting_iteratorIjlEEPS9_SG_NS0_5tupleIJPjSI_NS0_16reverse_iteratorISI_EEEEENSH_IJSG_SG_SG_EEES9_SI_JZNS1_25segmented_radix_sort_implINS0_14default_configELb0EPKiPiPKlPlN2at6native12_GLOBAL__N_18offset_tEEE10hipError_tPvRmT1_PNSt15iterator_traitsIS12_E10value_typeET2_T3_PNS13_IS18_E10value_typeET4_jRbjT5_S1E_jjP12ihipStream_tbEUljE_ZNSN_ISO_Lb0ESQ_SR_ST_SU_SY_EESZ_S10_S11_S12_S16_S17_S18_S1B_S1C_jS1D_jS1E_S1E_jjS1G_bEUljE0_EEESZ_S10_S11_S18_S1C_S1E_T6_T7_T9_mT8_S1G_bDpT10_ENKUlT_T0_E_clISt17integral_constantIbLb1EES1U_EEDaS1P_S1Q_EUlS1P_E_NS1_11comp_targetILNS1_3genE9ELNS1_11target_archE1100ELNS1_3gpuE3ELNS1_3repE0EEENS1_30default_config_static_selectorELNS0_4arch9wavefront6targetE0EEEvS12_,"axG",@progbits,_ZN7rocprim17ROCPRIM_400000_NS6detail17trampoline_kernelINS0_13select_configILj256ELj13ELNS0_17block_load_methodE3ELS4_3ELS4_3ELNS0_20block_scan_algorithmE0ELj4294967295EEENS1_25partition_config_selectorILNS1_17partition_subalgoE4EjNS0_10empty_typeEbEEZZNS1_14partition_implILS8_4ELb0ES6_15HIP_vector_typeIjLj2EENS0_17counting_iteratorIjlEEPS9_SG_NS0_5tupleIJPjSI_NS0_16reverse_iteratorISI_EEEEENSH_IJSG_SG_SG_EEES9_SI_JZNS1_25segmented_radix_sort_implINS0_14default_configELb0EPKiPiPKlPlN2at6native12_GLOBAL__N_18offset_tEEE10hipError_tPvRmT1_PNSt15iterator_traitsIS12_E10value_typeET2_T3_PNS13_IS18_E10value_typeET4_jRbjT5_S1E_jjP12ihipStream_tbEUljE_ZNSN_ISO_Lb0ESQ_SR_ST_SU_SY_EESZ_S10_S11_S12_S16_S17_S18_S1B_S1C_jS1D_jS1E_S1E_jjS1G_bEUljE0_EEESZ_S10_S11_S18_S1C_S1E_T6_T7_T9_mT8_S1G_bDpT10_ENKUlT_T0_E_clISt17integral_constantIbLb1EES1U_EEDaS1P_S1Q_EUlS1P_E_NS1_11comp_targetILNS1_3genE9ELNS1_11target_archE1100ELNS1_3gpuE3ELNS1_3repE0EEENS1_30default_config_static_selectorELNS0_4arch9wavefront6targetE0EEEvS12_,comdat
.Lfunc_end550:
	.size	_ZN7rocprim17ROCPRIM_400000_NS6detail17trampoline_kernelINS0_13select_configILj256ELj13ELNS0_17block_load_methodE3ELS4_3ELS4_3ELNS0_20block_scan_algorithmE0ELj4294967295EEENS1_25partition_config_selectorILNS1_17partition_subalgoE4EjNS0_10empty_typeEbEEZZNS1_14partition_implILS8_4ELb0ES6_15HIP_vector_typeIjLj2EENS0_17counting_iteratorIjlEEPS9_SG_NS0_5tupleIJPjSI_NS0_16reverse_iteratorISI_EEEEENSH_IJSG_SG_SG_EEES9_SI_JZNS1_25segmented_radix_sort_implINS0_14default_configELb0EPKiPiPKlPlN2at6native12_GLOBAL__N_18offset_tEEE10hipError_tPvRmT1_PNSt15iterator_traitsIS12_E10value_typeET2_T3_PNS13_IS18_E10value_typeET4_jRbjT5_S1E_jjP12ihipStream_tbEUljE_ZNSN_ISO_Lb0ESQ_SR_ST_SU_SY_EESZ_S10_S11_S12_S16_S17_S18_S1B_S1C_jS1D_jS1E_S1E_jjS1G_bEUljE0_EEESZ_S10_S11_S18_S1C_S1E_T6_T7_T9_mT8_S1G_bDpT10_ENKUlT_T0_E_clISt17integral_constantIbLb1EES1U_EEDaS1P_S1Q_EUlS1P_E_NS1_11comp_targetILNS1_3genE9ELNS1_11target_archE1100ELNS1_3gpuE3ELNS1_3repE0EEENS1_30default_config_static_selectorELNS0_4arch9wavefront6targetE0EEEvS12_, .Lfunc_end550-_ZN7rocprim17ROCPRIM_400000_NS6detail17trampoline_kernelINS0_13select_configILj256ELj13ELNS0_17block_load_methodE3ELS4_3ELS4_3ELNS0_20block_scan_algorithmE0ELj4294967295EEENS1_25partition_config_selectorILNS1_17partition_subalgoE4EjNS0_10empty_typeEbEEZZNS1_14partition_implILS8_4ELb0ES6_15HIP_vector_typeIjLj2EENS0_17counting_iteratorIjlEEPS9_SG_NS0_5tupleIJPjSI_NS0_16reverse_iteratorISI_EEEEENSH_IJSG_SG_SG_EEES9_SI_JZNS1_25segmented_radix_sort_implINS0_14default_configELb0EPKiPiPKlPlN2at6native12_GLOBAL__N_18offset_tEEE10hipError_tPvRmT1_PNSt15iterator_traitsIS12_E10value_typeET2_T3_PNS13_IS18_E10value_typeET4_jRbjT5_S1E_jjP12ihipStream_tbEUljE_ZNSN_ISO_Lb0ESQ_SR_ST_SU_SY_EESZ_S10_S11_S12_S16_S17_S18_S1B_S1C_jS1D_jS1E_S1E_jjS1G_bEUljE0_EEESZ_S10_S11_S18_S1C_S1E_T6_T7_T9_mT8_S1G_bDpT10_ENKUlT_T0_E_clISt17integral_constantIbLb1EES1U_EEDaS1P_S1Q_EUlS1P_E_NS1_11comp_targetILNS1_3genE9ELNS1_11target_archE1100ELNS1_3gpuE3ELNS1_3repE0EEENS1_30default_config_static_selectorELNS0_4arch9wavefront6targetE0EEEvS12_
                                        ; -- End function
	.set _ZN7rocprim17ROCPRIM_400000_NS6detail17trampoline_kernelINS0_13select_configILj256ELj13ELNS0_17block_load_methodE3ELS4_3ELS4_3ELNS0_20block_scan_algorithmE0ELj4294967295EEENS1_25partition_config_selectorILNS1_17partition_subalgoE4EjNS0_10empty_typeEbEEZZNS1_14partition_implILS8_4ELb0ES6_15HIP_vector_typeIjLj2EENS0_17counting_iteratorIjlEEPS9_SG_NS0_5tupleIJPjSI_NS0_16reverse_iteratorISI_EEEEENSH_IJSG_SG_SG_EEES9_SI_JZNS1_25segmented_radix_sort_implINS0_14default_configELb0EPKiPiPKlPlN2at6native12_GLOBAL__N_18offset_tEEE10hipError_tPvRmT1_PNSt15iterator_traitsIS12_E10value_typeET2_T3_PNS13_IS18_E10value_typeET4_jRbjT5_S1E_jjP12ihipStream_tbEUljE_ZNSN_ISO_Lb0ESQ_SR_ST_SU_SY_EESZ_S10_S11_S12_S16_S17_S18_S1B_S1C_jS1D_jS1E_S1E_jjS1G_bEUljE0_EEESZ_S10_S11_S18_S1C_S1E_T6_T7_T9_mT8_S1G_bDpT10_ENKUlT_T0_E_clISt17integral_constantIbLb1EES1U_EEDaS1P_S1Q_EUlS1P_E_NS1_11comp_targetILNS1_3genE9ELNS1_11target_archE1100ELNS1_3gpuE3ELNS1_3repE0EEENS1_30default_config_static_selectorELNS0_4arch9wavefront6targetE0EEEvS12_.num_vgpr, 0
	.set _ZN7rocprim17ROCPRIM_400000_NS6detail17trampoline_kernelINS0_13select_configILj256ELj13ELNS0_17block_load_methodE3ELS4_3ELS4_3ELNS0_20block_scan_algorithmE0ELj4294967295EEENS1_25partition_config_selectorILNS1_17partition_subalgoE4EjNS0_10empty_typeEbEEZZNS1_14partition_implILS8_4ELb0ES6_15HIP_vector_typeIjLj2EENS0_17counting_iteratorIjlEEPS9_SG_NS0_5tupleIJPjSI_NS0_16reverse_iteratorISI_EEEEENSH_IJSG_SG_SG_EEES9_SI_JZNS1_25segmented_radix_sort_implINS0_14default_configELb0EPKiPiPKlPlN2at6native12_GLOBAL__N_18offset_tEEE10hipError_tPvRmT1_PNSt15iterator_traitsIS12_E10value_typeET2_T3_PNS13_IS18_E10value_typeET4_jRbjT5_S1E_jjP12ihipStream_tbEUljE_ZNSN_ISO_Lb0ESQ_SR_ST_SU_SY_EESZ_S10_S11_S12_S16_S17_S18_S1B_S1C_jS1D_jS1E_S1E_jjS1G_bEUljE0_EEESZ_S10_S11_S18_S1C_S1E_T6_T7_T9_mT8_S1G_bDpT10_ENKUlT_T0_E_clISt17integral_constantIbLb1EES1U_EEDaS1P_S1Q_EUlS1P_E_NS1_11comp_targetILNS1_3genE9ELNS1_11target_archE1100ELNS1_3gpuE3ELNS1_3repE0EEENS1_30default_config_static_selectorELNS0_4arch9wavefront6targetE0EEEvS12_.num_agpr, 0
	.set _ZN7rocprim17ROCPRIM_400000_NS6detail17trampoline_kernelINS0_13select_configILj256ELj13ELNS0_17block_load_methodE3ELS4_3ELS4_3ELNS0_20block_scan_algorithmE0ELj4294967295EEENS1_25partition_config_selectorILNS1_17partition_subalgoE4EjNS0_10empty_typeEbEEZZNS1_14partition_implILS8_4ELb0ES6_15HIP_vector_typeIjLj2EENS0_17counting_iteratorIjlEEPS9_SG_NS0_5tupleIJPjSI_NS0_16reverse_iteratorISI_EEEEENSH_IJSG_SG_SG_EEES9_SI_JZNS1_25segmented_radix_sort_implINS0_14default_configELb0EPKiPiPKlPlN2at6native12_GLOBAL__N_18offset_tEEE10hipError_tPvRmT1_PNSt15iterator_traitsIS12_E10value_typeET2_T3_PNS13_IS18_E10value_typeET4_jRbjT5_S1E_jjP12ihipStream_tbEUljE_ZNSN_ISO_Lb0ESQ_SR_ST_SU_SY_EESZ_S10_S11_S12_S16_S17_S18_S1B_S1C_jS1D_jS1E_S1E_jjS1G_bEUljE0_EEESZ_S10_S11_S18_S1C_S1E_T6_T7_T9_mT8_S1G_bDpT10_ENKUlT_T0_E_clISt17integral_constantIbLb1EES1U_EEDaS1P_S1Q_EUlS1P_E_NS1_11comp_targetILNS1_3genE9ELNS1_11target_archE1100ELNS1_3gpuE3ELNS1_3repE0EEENS1_30default_config_static_selectorELNS0_4arch9wavefront6targetE0EEEvS12_.numbered_sgpr, 0
	.set _ZN7rocprim17ROCPRIM_400000_NS6detail17trampoline_kernelINS0_13select_configILj256ELj13ELNS0_17block_load_methodE3ELS4_3ELS4_3ELNS0_20block_scan_algorithmE0ELj4294967295EEENS1_25partition_config_selectorILNS1_17partition_subalgoE4EjNS0_10empty_typeEbEEZZNS1_14partition_implILS8_4ELb0ES6_15HIP_vector_typeIjLj2EENS0_17counting_iteratorIjlEEPS9_SG_NS0_5tupleIJPjSI_NS0_16reverse_iteratorISI_EEEEENSH_IJSG_SG_SG_EEES9_SI_JZNS1_25segmented_radix_sort_implINS0_14default_configELb0EPKiPiPKlPlN2at6native12_GLOBAL__N_18offset_tEEE10hipError_tPvRmT1_PNSt15iterator_traitsIS12_E10value_typeET2_T3_PNS13_IS18_E10value_typeET4_jRbjT5_S1E_jjP12ihipStream_tbEUljE_ZNSN_ISO_Lb0ESQ_SR_ST_SU_SY_EESZ_S10_S11_S12_S16_S17_S18_S1B_S1C_jS1D_jS1E_S1E_jjS1G_bEUljE0_EEESZ_S10_S11_S18_S1C_S1E_T6_T7_T9_mT8_S1G_bDpT10_ENKUlT_T0_E_clISt17integral_constantIbLb1EES1U_EEDaS1P_S1Q_EUlS1P_E_NS1_11comp_targetILNS1_3genE9ELNS1_11target_archE1100ELNS1_3gpuE3ELNS1_3repE0EEENS1_30default_config_static_selectorELNS0_4arch9wavefront6targetE0EEEvS12_.num_named_barrier, 0
	.set _ZN7rocprim17ROCPRIM_400000_NS6detail17trampoline_kernelINS0_13select_configILj256ELj13ELNS0_17block_load_methodE3ELS4_3ELS4_3ELNS0_20block_scan_algorithmE0ELj4294967295EEENS1_25partition_config_selectorILNS1_17partition_subalgoE4EjNS0_10empty_typeEbEEZZNS1_14partition_implILS8_4ELb0ES6_15HIP_vector_typeIjLj2EENS0_17counting_iteratorIjlEEPS9_SG_NS0_5tupleIJPjSI_NS0_16reverse_iteratorISI_EEEEENSH_IJSG_SG_SG_EEES9_SI_JZNS1_25segmented_radix_sort_implINS0_14default_configELb0EPKiPiPKlPlN2at6native12_GLOBAL__N_18offset_tEEE10hipError_tPvRmT1_PNSt15iterator_traitsIS12_E10value_typeET2_T3_PNS13_IS18_E10value_typeET4_jRbjT5_S1E_jjP12ihipStream_tbEUljE_ZNSN_ISO_Lb0ESQ_SR_ST_SU_SY_EESZ_S10_S11_S12_S16_S17_S18_S1B_S1C_jS1D_jS1E_S1E_jjS1G_bEUljE0_EEESZ_S10_S11_S18_S1C_S1E_T6_T7_T9_mT8_S1G_bDpT10_ENKUlT_T0_E_clISt17integral_constantIbLb1EES1U_EEDaS1P_S1Q_EUlS1P_E_NS1_11comp_targetILNS1_3genE9ELNS1_11target_archE1100ELNS1_3gpuE3ELNS1_3repE0EEENS1_30default_config_static_selectorELNS0_4arch9wavefront6targetE0EEEvS12_.private_seg_size, 0
	.set _ZN7rocprim17ROCPRIM_400000_NS6detail17trampoline_kernelINS0_13select_configILj256ELj13ELNS0_17block_load_methodE3ELS4_3ELS4_3ELNS0_20block_scan_algorithmE0ELj4294967295EEENS1_25partition_config_selectorILNS1_17partition_subalgoE4EjNS0_10empty_typeEbEEZZNS1_14partition_implILS8_4ELb0ES6_15HIP_vector_typeIjLj2EENS0_17counting_iteratorIjlEEPS9_SG_NS0_5tupleIJPjSI_NS0_16reverse_iteratorISI_EEEEENSH_IJSG_SG_SG_EEES9_SI_JZNS1_25segmented_radix_sort_implINS0_14default_configELb0EPKiPiPKlPlN2at6native12_GLOBAL__N_18offset_tEEE10hipError_tPvRmT1_PNSt15iterator_traitsIS12_E10value_typeET2_T3_PNS13_IS18_E10value_typeET4_jRbjT5_S1E_jjP12ihipStream_tbEUljE_ZNSN_ISO_Lb0ESQ_SR_ST_SU_SY_EESZ_S10_S11_S12_S16_S17_S18_S1B_S1C_jS1D_jS1E_S1E_jjS1G_bEUljE0_EEESZ_S10_S11_S18_S1C_S1E_T6_T7_T9_mT8_S1G_bDpT10_ENKUlT_T0_E_clISt17integral_constantIbLb1EES1U_EEDaS1P_S1Q_EUlS1P_E_NS1_11comp_targetILNS1_3genE9ELNS1_11target_archE1100ELNS1_3gpuE3ELNS1_3repE0EEENS1_30default_config_static_selectorELNS0_4arch9wavefront6targetE0EEEvS12_.uses_vcc, 0
	.set _ZN7rocprim17ROCPRIM_400000_NS6detail17trampoline_kernelINS0_13select_configILj256ELj13ELNS0_17block_load_methodE3ELS4_3ELS4_3ELNS0_20block_scan_algorithmE0ELj4294967295EEENS1_25partition_config_selectorILNS1_17partition_subalgoE4EjNS0_10empty_typeEbEEZZNS1_14partition_implILS8_4ELb0ES6_15HIP_vector_typeIjLj2EENS0_17counting_iteratorIjlEEPS9_SG_NS0_5tupleIJPjSI_NS0_16reverse_iteratorISI_EEEEENSH_IJSG_SG_SG_EEES9_SI_JZNS1_25segmented_radix_sort_implINS0_14default_configELb0EPKiPiPKlPlN2at6native12_GLOBAL__N_18offset_tEEE10hipError_tPvRmT1_PNSt15iterator_traitsIS12_E10value_typeET2_T3_PNS13_IS18_E10value_typeET4_jRbjT5_S1E_jjP12ihipStream_tbEUljE_ZNSN_ISO_Lb0ESQ_SR_ST_SU_SY_EESZ_S10_S11_S12_S16_S17_S18_S1B_S1C_jS1D_jS1E_S1E_jjS1G_bEUljE0_EEESZ_S10_S11_S18_S1C_S1E_T6_T7_T9_mT8_S1G_bDpT10_ENKUlT_T0_E_clISt17integral_constantIbLb1EES1U_EEDaS1P_S1Q_EUlS1P_E_NS1_11comp_targetILNS1_3genE9ELNS1_11target_archE1100ELNS1_3gpuE3ELNS1_3repE0EEENS1_30default_config_static_selectorELNS0_4arch9wavefront6targetE0EEEvS12_.uses_flat_scratch, 0
	.set _ZN7rocprim17ROCPRIM_400000_NS6detail17trampoline_kernelINS0_13select_configILj256ELj13ELNS0_17block_load_methodE3ELS4_3ELS4_3ELNS0_20block_scan_algorithmE0ELj4294967295EEENS1_25partition_config_selectorILNS1_17partition_subalgoE4EjNS0_10empty_typeEbEEZZNS1_14partition_implILS8_4ELb0ES6_15HIP_vector_typeIjLj2EENS0_17counting_iteratorIjlEEPS9_SG_NS0_5tupleIJPjSI_NS0_16reverse_iteratorISI_EEEEENSH_IJSG_SG_SG_EEES9_SI_JZNS1_25segmented_radix_sort_implINS0_14default_configELb0EPKiPiPKlPlN2at6native12_GLOBAL__N_18offset_tEEE10hipError_tPvRmT1_PNSt15iterator_traitsIS12_E10value_typeET2_T3_PNS13_IS18_E10value_typeET4_jRbjT5_S1E_jjP12ihipStream_tbEUljE_ZNSN_ISO_Lb0ESQ_SR_ST_SU_SY_EESZ_S10_S11_S12_S16_S17_S18_S1B_S1C_jS1D_jS1E_S1E_jjS1G_bEUljE0_EEESZ_S10_S11_S18_S1C_S1E_T6_T7_T9_mT8_S1G_bDpT10_ENKUlT_T0_E_clISt17integral_constantIbLb1EES1U_EEDaS1P_S1Q_EUlS1P_E_NS1_11comp_targetILNS1_3genE9ELNS1_11target_archE1100ELNS1_3gpuE3ELNS1_3repE0EEENS1_30default_config_static_selectorELNS0_4arch9wavefront6targetE0EEEvS12_.has_dyn_sized_stack, 0
	.set _ZN7rocprim17ROCPRIM_400000_NS6detail17trampoline_kernelINS0_13select_configILj256ELj13ELNS0_17block_load_methodE3ELS4_3ELS4_3ELNS0_20block_scan_algorithmE0ELj4294967295EEENS1_25partition_config_selectorILNS1_17partition_subalgoE4EjNS0_10empty_typeEbEEZZNS1_14partition_implILS8_4ELb0ES6_15HIP_vector_typeIjLj2EENS0_17counting_iteratorIjlEEPS9_SG_NS0_5tupleIJPjSI_NS0_16reverse_iteratorISI_EEEEENSH_IJSG_SG_SG_EEES9_SI_JZNS1_25segmented_radix_sort_implINS0_14default_configELb0EPKiPiPKlPlN2at6native12_GLOBAL__N_18offset_tEEE10hipError_tPvRmT1_PNSt15iterator_traitsIS12_E10value_typeET2_T3_PNS13_IS18_E10value_typeET4_jRbjT5_S1E_jjP12ihipStream_tbEUljE_ZNSN_ISO_Lb0ESQ_SR_ST_SU_SY_EESZ_S10_S11_S12_S16_S17_S18_S1B_S1C_jS1D_jS1E_S1E_jjS1G_bEUljE0_EEESZ_S10_S11_S18_S1C_S1E_T6_T7_T9_mT8_S1G_bDpT10_ENKUlT_T0_E_clISt17integral_constantIbLb1EES1U_EEDaS1P_S1Q_EUlS1P_E_NS1_11comp_targetILNS1_3genE9ELNS1_11target_archE1100ELNS1_3gpuE3ELNS1_3repE0EEENS1_30default_config_static_selectorELNS0_4arch9wavefront6targetE0EEEvS12_.has_recursion, 0
	.set _ZN7rocprim17ROCPRIM_400000_NS6detail17trampoline_kernelINS0_13select_configILj256ELj13ELNS0_17block_load_methodE3ELS4_3ELS4_3ELNS0_20block_scan_algorithmE0ELj4294967295EEENS1_25partition_config_selectorILNS1_17partition_subalgoE4EjNS0_10empty_typeEbEEZZNS1_14partition_implILS8_4ELb0ES6_15HIP_vector_typeIjLj2EENS0_17counting_iteratorIjlEEPS9_SG_NS0_5tupleIJPjSI_NS0_16reverse_iteratorISI_EEEEENSH_IJSG_SG_SG_EEES9_SI_JZNS1_25segmented_radix_sort_implINS0_14default_configELb0EPKiPiPKlPlN2at6native12_GLOBAL__N_18offset_tEEE10hipError_tPvRmT1_PNSt15iterator_traitsIS12_E10value_typeET2_T3_PNS13_IS18_E10value_typeET4_jRbjT5_S1E_jjP12ihipStream_tbEUljE_ZNSN_ISO_Lb0ESQ_SR_ST_SU_SY_EESZ_S10_S11_S12_S16_S17_S18_S1B_S1C_jS1D_jS1E_S1E_jjS1G_bEUljE0_EEESZ_S10_S11_S18_S1C_S1E_T6_T7_T9_mT8_S1G_bDpT10_ENKUlT_T0_E_clISt17integral_constantIbLb1EES1U_EEDaS1P_S1Q_EUlS1P_E_NS1_11comp_targetILNS1_3genE9ELNS1_11target_archE1100ELNS1_3gpuE3ELNS1_3repE0EEENS1_30default_config_static_selectorELNS0_4arch9wavefront6targetE0EEEvS12_.has_indirect_call, 0
	.section	.AMDGPU.csdata,"",@progbits
; Kernel info:
; codeLenInByte = 0
; TotalNumSgprs: 0
; NumVgprs: 0
; ScratchSize: 0
; MemoryBound: 0
; FloatMode: 240
; IeeeMode: 1
; LDSByteSize: 0 bytes/workgroup (compile time only)
; SGPRBlocks: 0
; VGPRBlocks: 0
; NumSGPRsForWavesPerEU: 1
; NumVGPRsForWavesPerEU: 1
; Occupancy: 16
; WaveLimiterHint : 0
; COMPUTE_PGM_RSRC2:SCRATCH_EN: 0
; COMPUTE_PGM_RSRC2:USER_SGPR: 2
; COMPUTE_PGM_RSRC2:TRAP_HANDLER: 0
; COMPUTE_PGM_RSRC2:TGID_X_EN: 1
; COMPUTE_PGM_RSRC2:TGID_Y_EN: 0
; COMPUTE_PGM_RSRC2:TGID_Z_EN: 0
; COMPUTE_PGM_RSRC2:TIDIG_COMP_CNT: 0
	.section	.text._ZN7rocprim17ROCPRIM_400000_NS6detail17trampoline_kernelINS0_13select_configILj256ELj13ELNS0_17block_load_methodE3ELS4_3ELS4_3ELNS0_20block_scan_algorithmE0ELj4294967295EEENS1_25partition_config_selectorILNS1_17partition_subalgoE4EjNS0_10empty_typeEbEEZZNS1_14partition_implILS8_4ELb0ES6_15HIP_vector_typeIjLj2EENS0_17counting_iteratorIjlEEPS9_SG_NS0_5tupleIJPjSI_NS0_16reverse_iteratorISI_EEEEENSH_IJSG_SG_SG_EEES9_SI_JZNS1_25segmented_radix_sort_implINS0_14default_configELb0EPKiPiPKlPlN2at6native12_GLOBAL__N_18offset_tEEE10hipError_tPvRmT1_PNSt15iterator_traitsIS12_E10value_typeET2_T3_PNS13_IS18_E10value_typeET4_jRbjT5_S1E_jjP12ihipStream_tbEUljE_ZNSN_ISO_Lb0ESQ_SR_ST_SU_SY_EESZ_S10_S11_S12_S16_S17_S18_S1B_S1C_jS1D_jS1E_S1E_jjS1G_bEUljE0_EEESZ_S10_S11_S18_S1C_S1E_T6_T7_T9_mT8_S1G_bDpT10_ENKUlT_T0_E_clISt17integral_constantIbLb1EES1U_EEDaS1P_S1Q_EUlS1P_E_NS1_11comp_targetILNS1_3genE8ELNS1_11target_archE1030ELNS1_3gpuE2ELNS1_3repE0EEENS1_30default_config_static_selectorELNS0_4arch9wavefront6targetE0EEEvS12_,"axG",@progbits,_ZN7rocprim17ROCPRIM_400000_NS6detail17trampoline_kernelINS0_13select_configILj256ELj13ELNS0_17block_load_methodE3ELS4_3ELS4_3ELNS0_20block_scan_algorithmE0ELj4294967295EEENS1_25partition_config_selectorILNS1_17partition_subalgoE4EjNS0_10empty_typeEbEEZZNS1_14partition_implILS8_4ELb0ES6_15HIP_vector_typeIjLj2EENS0_17counting_iteratorIjlEEPS9_SG_NS0_5tupleIJPjSI_NS0_16reverse_iteratorISI_EEEEENSH_IJSG_SG_SG_EEES9_SI_JZNS1_25segmented_radix_sort_implINS0_14default_configELb0EPKiPiPKlPlN2at6native12_GLOBAL__N_18offset_tEEE10hipError_tPvRmT1_PNSt15iterator_traitsIS12_E10value_typeET2_T3_PNS13_IS18_E10value_typeET4_jRbjT5_S1E_jjP12ihipStream_tbEUljE_ZNSN_ISO_Lb0ESQ_SR_ST_SU_SY_EESZ_S10_S11_S12_S16_S17_S18_S1B_S1C_jS1D_jS1E_S1E_jjS1G_bEUljE0_EEESZ_S10_S11_S18_S1C_S1E_T6_T7_T9_mT8_S1G_bDpT10_ENKUlT_T0_E_clISt17integral_constantIbLb1EES1U_EEDaS1P_S1Q_EUlS1P_E_NS1_11comp_targetILNS1_3genE8ELNS1_11target_archE1030ELNS1_3gpuE2ELNS1_3repE0EEENS1_30default_config_static_selectorELNS0_4arch9wavefront6targetE0EEEvS12_,comdat
	.globl	_ZN7rocprim17ROCPRIM_400000_NS6detail17trampoline_kernelINS0_13select_configILj256ELj13ELNS0_17block_load_methodE3ELS4_3ELS4_3ELNS0_20block_scan_algorithmE0ELj4294967295EEENS1_25partition_config_selectorILNS1_17partition_subalgoE4EjNS0_10empty_typeEbEEZZNS1_14partition_implILS8_4ELb0ES6_15HIP_vector_typeIjLj2EENS0_17counting_iteratorIjlEEPS9_SG_NS0_5tupleIJPjSI_NS0_16reverse_iteratorISI_EEEEENSH_IJSG_SG_SG_EEES9_SI_JZNS1_25segmented_radix_sort_implINS0_14default_configELb0EPKiPiPKlPlN2at6native12_GLOBAL__N_18offset_tEEE10hipError_tPvRmT1_PNSt15iterator_traitsIS12_E10value_typeET2_T3_PNS13_IS18_E10value_typeET4_jRbjT5_S1E_jjP12ihipStream_tbEUljE_ZNSN_ISO_Lb0ESQ_SR_ST_SU_SY_EESZ_S10_S11_S12_S16_S17_S18_S1B_S1C_jS1D_jS1E_S1E_jjS1G_bEUljE0_EEESZ_S10_S11_S18_S1C_S1E_T6_T7_T9_mT8_S1G_bDpT10_ENKUlT_T0_E_clISt17integral_constantIbLb1EES1U_EEDaS1P_S1Q_EUlS1P_E_NS1_11comp_targetILNS1_3genE8ELNS1_11target_archE1030ELNS1_3gpuE2ELNS1_3repE0EEENS1_30default_config_static_selectorELNS0_4arch9wavefront6targetE0EEEvS12_ ; -- Begin function _ZN7rocprim17ROCPRIM_400000_NS6detail17trampoline_kernelINS0_13select_configILj256ELj13ELNS0_17block_load_methodE3ELS4_3ELS4_3ELNS0_20block_scan_algorithmE0ELj4294967295EEENS1_25partition_config_selectorILNS1_17partition_subalgoE4EjNS0_10empty_typeEbEEZZNS1_14partition_implILS8_4ELb0ES6_15HIP_vector_typeIjLj2EENS0_17counting_iteratorIjlEEPS9_SG_NS0_5tupleIJPjSI_NS0_16reverse_iteratorISI_EEEEENSH_IJSG_SG_SG_EEES9_SI_JZNS1_25segmented_radix_sort_implINS0_14default_configELb0EPKiPiPKlPlN2at6native12_GLOBAL__N_18offset_tEEE10hipError_tPvRmT1_PNSt15iterator_traitsIS12_E10value_typeET2_T3_PNS13_IS18_E10value_typeET4_jRbjT5_S1E_jjP12ihipStream_tbEUljE_ZNSN_ISO_Lb0ESQ_SR_ST_SU_SY_EESZ_S10_S11_S12_S16_S17_S18_S1B_S1C_jS1D_jS1E_S1E_jjS1G_bEUljE0_EEESZ_S10_S11_S18_S1C_S1E_T6_T7_T9_mT8_S1G_bDpT10_ENKUlT_T0_E_clISt17integral_constantIbLb1EES1U_EEDaS1P_S1Q_EUlS1P_E_NS1_11comp_targetILNS1_3genE8ELNS1_11target_archE1030ELNS1_3gpuE2ELNS1_3repE0EEENS1_30default_config_static_selectorELNS0_4arch9wavefront6targetE0EEEvS12_
	.p2align	8
	.type	_ZN7rocprim17ROCPRIM_400000_NS6detail17trampoline_kernelINS0_13select_configILj256ELj13ELNS0_17block_load_methodE3ELS4_3ELS4_3ELNS0_20block_scan_algorithmE0ELj4294967295EEENS1_25partition_config_selectorILNS1_17partition_subalgoE4EjNS0_10empty_typeEbEEZZNS1_14partition_implILS8_4ELb0ES6_15HIP_vector_typeIjLj2EENS0_17counting_iteratorIjlEEPS9_SG_NS0_5tupleIJPjSI_NS0_16reverse_iteratorISI_EEEEENSH_IJSG_SG_SG_EEES9_SI_JZNS1_25segmented_radix_sort_implINS0_14default_configELb0EPKiPiPKlPlN2at6native12_GLOBAL__N_18offset_tEEE10hipError_tPvRmT1_PNSt15iterator_traitsIS12_E10value_typeET2_T3_PNS13_IS18_E10value_typeET4_jRbjT5_S1E_jjP12ihipStream_tbEUljE_ZNSN_ISO_Lb0ESQ_SR_ST_SU_SY_EESZ_S10_S11_S12_S16_S17_S18_S1B_S1C_jS1D_jS1E_S1E_jjS1G_bEUljE0_EEESZ_S10_S11_S18_S1C_S1E_T6_T7_T9_mT8_S1G_bDpT10_ENKUlT_T0_E_clISt17integral_constantIbLb1EES1U_EEDaS1P_S1Q_EUlS1P_E_NS1_11comp_targetILNS1_3genE8ELNS1_11target_archE1030ELNS1_3gpuE2ELNS1_3repE0EEENS1_30default_config_static_selectorELNS0_4arch9wavefront6targetE0EEEvS12_,@function
_ZN7rocprim17ROCPRIM_400000_NS6detail17trampoline_kernelINS0_13select_configILj256ELj13ELNS0_17block_load_methodE3ELS4_3ELS4_3ELNS0_20block_scan_algorithmE0ELj4294967295EEENS1_25partition_config_selectorILNS1_17partition_subalgoE4EjNS0_10empty_typeEbEEZZNS1_14partition_implILS8_4ELb0ES6_15HIP_vector_typeIjLj2EENS0_17counting_iteratorIjlEEPS9_SG_NS0_5tupleIJPjSI_NS0_16reverse_iteratorISI_EEEEENSH_IJSG_SG_SG_EEES9_SI_JZNS1_25segmented_radix_sort_implINS0_14default_configELb0EPKiPiPKlPlN2at6native12_GLOBAL__N_18offset_tEEE10hipError_tPvRmT1_PNSt15iterator_traitsIS12_E10value_typeET2_T3_PNS13_IS18_E10value_typeET4_jRbjT5_S1E_jjP12ihipStream_tbEUljE_ZNSN_ISO_Lb0ESQ_SR_ST_SU_SY_EESZ_S10_S11_S12_S16_S17_S18_S1B_S1C_jS1D_jS1E_S1E_jjS1G_bEUljE0_EEESZ_S10_S11_S18_S1C_S1E_T6_T7_T9_mT8_S1G_bDpT10_ENKUlT_T0_E_clISt17integral_constantIbLb1EES1U_EEDaS1P_S1Q_EUlS1P_E_NS1_11comp_targetILNS1_3genE8ELNS1_11target_archE1030ELNS1_3gpuE2ELNS1_3repE0EEENS1_30default_config_static_selectorELNS0_4arch9wavefront6targetE0EEEvS12_: ; @_ZN7rocprim17ROCPRIM_400000_NS6detail17trampoline_kernelINS0_13select_configILj256ELj13ELNS0_17block_load_methodE3ELS4_3ELS4_3ELNS0_20block_scan_algorithmE0ELj4294967295EEENS1_25partition_config_selectorILNS1_17partition_subalgoE4EjNS0_10empty_typeEbEEZZNS1_14partition_implILS8_4ELb0ES6_15HIP_vector_typeIjLj2EENS0_17counting_iteratorIjlEEPS9_SG_NS0_5tupleIJPjSI_NS0_16reverse_iteratorISI_EEEEENSH_IJSG_SG_SG_EEES9_SI_JZNS1_25segmented_radix_sort_implINS0_14default_configELb0EPKiPiPKlPlN2at6native12_GLOBAL__N_18offset_tEEE10hipError_tPvRmT1_PNSt15iterator_traitsIS12_E10value_typeET2_T3_PNS13_IS18_E10value_typeET4_jRbjT5_S1E_jjP12ihipStream_tbEUljE_ZNSN_ISO_Lb0ESQ_SR_ST_SU_SY_EESZ_S10_S11_S12_S16_S17_S18_S1B_S1C_jS1D_jS1E_S1E_jjS1G_bEUljE0_EEESZ_S10_S11_S18_S1C_S1E_T6_T7_T9_mT8_S1G_bDpT10_ENKUlT_T0_E_clISt17integral_constantIbLb1EES1U_EEDaS1P_S1Q_EUlS1P_E_NS1_11comp_targetILNS1_3genE8ELNS1_11target_archE1030ELNS1_3gpuE2ELNS1_3repE0EEENS1_30default_config_static_selectorELNS0_4arch9wavefront6targetE0EEEvS12_
; %bb.0:
	.section	.rodata,"a",@progbits
	.p2align	6, 0x0
	.amdhsa_kernel _ZN7rocprim17ROCPRIM_400000_NS6detail17trampoline_kernelINS0_13select_configILj256ELj13ELNS0_17block_load_methodE3ELS4_3ELS4_3ELNS0_20block_scan_algorithmE0ELj4294967295EEENS1_25partition_config_selectorILNS1_17partition_subalgoE4EjNS0_10empty_typeEbEEZZNS1_14partition_implILS8_4ELb0ES6_15HIP_vector_typeIjLj2EENS0_17counting_iteratorIjlEEPS9_SG_NS0_5tupleIJPjSI_NS0_16reverse_iteratorISI_EEEEENSH_IJSG_SG_SG_EEES9_SI_JZNS1_25segmented_radix_sort_implINS0_14default_configELb0EPKiPiPKlPlN2at6native12_GLOBAL__N_18offset_tEEE10hipError_tPvRmT1_PNSt15iterator_traitsIS12_E10value_typeET2_T3_PNS13_IS18_E10value_typeET4_jRbjT5_S1E_jjP12ihipStream_tbEUljE_ZNSN_ISO_Lb0ESQ_SR_ST_SU_SY_EESZ_S10_S11_S12_S16_S17_S18_S1B_S1C_jS1D_jS1E_S1E_jjS1G_bEUljE0_EEESZ_S10_S11_S18_S1C_S1E_T6_T7_T9_mT8_S1G_bDpT10_ENKUlT_T0_E_clISt17integral_constantIbLb1EES1U_EEDaS1P_S1Q_EUlS1P_E_NS1_11comp_targetILNS1_3genE8ELNS1_11target_archE1030ELNS1_3gpuE2ELNS1_3repE0EEENS1_30default_config_static_selectorELNS0_4arch9wavefront6targetE0EEEvS12_
		.amdhsa_group_segment_fixed_size 0
		.amdhsa_private_segment_fixed_size 0
		.amdhsa_kernarg_size 184
		.amdhsa_user_sgpr_count 2
		.amdhsa_user_sgpr_dispatch_ptr 0
		.amdhsa_user_sgpr_queue_ptr 0
		.amdhsa_user_sgpr_kernarg_segment_ptr 1
		.amdhsa_user_sgpr_dispatch_id 0
		.amdhsa_user_sgpr_private_segment_size 0
		.amdhsa_wavefront_size32 1
		.amdhsa_uses_dynamic_stack 0
		.amdhsa_enable_private_segment 0
		.amdhsa_system_sgpr_workgroup_id_x 1
		.amdhsa_system_sgpr_workgroup_id_y 0
		.amdhsa_system_sgpr_workgroup_id_z 0
		.amdhsa_system_sgpr_workgroup_info 0
		.amdhsa_system_vgpr_workitem_id 0
		.amdhsa_next_free_vgpr 1
		.amdhsa_next_free_sgpr 1
		.amdhsa_reserve_vcc 0
		.amdhsa_float_round_mode_32 0
		.amdhsa_float_round_mode_16_64 0
		.amdhsa_float_denorm_mode_32 3
		.amdhsa_float_denorm_mode_16_64 3
		.amdhsa_fp16_overflow 0
		.amdhsa_workgroup_processor_mode 1
		.amdhsa_memory_ordered 1
		.amdhsa_forward_progress 1
		.amdhsa_inst_pref_size 0
		.amdhsa_round_robin_scheduling 0
		.amdhsa_exception_fp_ieee_invalid_op 0
		.amdhsa_exception_fp_denorm_src 0
		.amdhsa_exception_fp_ieee_div_zero 0
		.amdhsa_exception_fp_ieee_overflow 0
		.amdhsa_exception_fp_ieee_underflow 0
		.amdhsa_exception_fp_ieee_inexact 0
		.amdhsa_exception_int_div_zero 0
	.end_amdhsa_kernel
	.section	.text._ZN7rocprim17ROCPRIM_400000_NS6detail17trampoline_kernelINS0_13select_configILj256ELj13ELNS0_17block_load_methodE3ELS4_3ELS4_3ELNS0_20block_scan_algorithmE0ELj4294967295EEENS1_25partition_config_selectorILNS1_17partition_subalgoE4EjNS0_10empty_typeEbEEZZNS1_14partition_implILS8_4ELb0ES6_15HIP_vector_typeIjLj2EENS0_17counting_iteratorIjlEEPS9_SG_NS0_5tupleIJPjSI_NS0_16reverse_iteratorISI_EEEEENSH_IJSG_SG_SG_EEES9_SI_JZNS1_25segmented_radix_sort_implINS0_14default_configELb0EPKiPiPKlPlN2at6native12_GLOBAL__N_18offset_tEEE10hipError_tPvRmT1_PNSt15iterator_traitsIS12_E10value_typeET2_T3_PNS13_IS18_E10value_typeET4_jRbjT5_S1E_jjP12ihipStream_tbEUljE_ZNSN_ISO_Lb0ESQ_SR_ST_SU_SY_EESZ_S10_S11_S12_S16_S17_S18_S1B_S1C_jS1D_jS1E_S1E_jjS1G_bEUljE0_EEESZ_S10_S11_S18_S1C_S1E_T6_T7_T9_mT8_S1G_bDpT10_ENKUlT_T0_E_clISt17integral_constantIbLb1EES1U_EEDaS1P_S1Q_EUlS1P_E_NS1_11comp_targetILNS1_3genE8ELNS1_11target_archE1030ELNS1_3gpuE2ELNS1_3repE0EEENS1_30default_config_static_selectorELNS0_4arch9wavefront6targetE0EEEvS12_,"axG",@progbits,_ZN7rocprim17ROCPRIM_400000_NS6detail17trampoline_kernelINS0_13select_configILj256ELj13ELNS0_17block_load_methodE3ELS4_3ELS4_3ELNS0_20block_scan_algorithmE0ELj4294967295EEENS1_25partition_config_selectorILNS1_17partition_subalgoE4EjNS0_10empty_typeEbEEZZNS1_14partition_implILS8_4ELb0ES6_15HIP_vector_typeIjLj2EENS0_17counting_iteratorIjlEEPS9_SG_NS0_5tupleIJPjSI_NS0_16reverse_iteratorISI_EEEEENSH_IJSG_SG_SG_EEES9_SI_JZNS1_25segmented_radix_sort_implINS0_14default_configELb0EPKiPiPKlPlN2at6native12_GLOBAL__N_18offset_tEEE10hipError_tPvRmT1_PNSt15iterator_traitsIS12_E10value_typeET2_T3_PNS13_IS18_E10value_typeET4_jRbjT5_S1E_jjP12ihipStream_tbEUljE_ZNSN_ISO_Lb0ESQ_SR_ST_SU_SY_EESZ_S10_S11_S12_S16_S17_S18_S1B_S1C_jS1D_jS1E_S1E_jjS1G_bEUljE0_EEESZ_S10_S11_S18_S1C_S1E_T6_T7_T9_mT8_S1G_bDpT10_ENKUlT_T0_E_clISt17integral_constantIbLb1EES1U_EEDaS1P_S1Q_EUlS1P_E_NS1_11comp_targetILNS1_3genE8ELNS1_11target_archE1030ELNS1_3gpuE2ELNS1_3repE0EEENS1_30default_config_static_selectorELNS0_4arch9wavefront6targetE0EEEvS12_,comdat
.Lfunc_end551:
	.size	_ZN7rocprim17ROCPRIM_400000_NS6detail17trampoline_kernelINS0_13select_configILj256ELj13ELNS0_17block_load_methodE3ELS4_3ELS4_3ELNS0_20block_scan_algorithmE0ELj4294967295EEENS1_25partition_config_selectorILNS1_17partition_subalgoE4EjNS0_10empty_typeEbEEZZNS1_14partition_implILS8_4ELb0ES6_15HIP_vector_typeIjLj2EENS0_17counting_iteratorIjlEEPS9_SG_NS0_5tupleIJPjSI_NS0_16reverse_iteratorISI_EEEEENSH_IJSG_SG_SG_EEES9_SI_JZNS1_25segmented_radix_sort_implINS0_14default_configELb0EPKiPiPKlPlN2at6native12_GLOBAL__N_18offset_tEEE10hipError_tPvRmT1_PNSt15iterator_traitsIS12_E10value_typeET2_T3_PNS13_IS18_E10value_typeET4_jRbjT5_S1E_jjP12ihipStream_tbEUljE_ZNSN_ISO_Lb0ESQ_SR_ST_SU_SY_EESZ_S10_S11_S12_S16_S17_S18_S1B_S1C_jS1D_jS1E_S1E_jjS1G_bEUljE0_EEESZ_S10_S11_S18_S1C_S1E_T6_T7_T9_mT8_S1G_bDpT10_ENKUlT_T0_E_clISt17integral_constantIbLb1EES1U_EEDaS1P_S1Q_EUlS1P_E_NS1_11comp_targetILNS1_3genE8ELNS1_11target_archE1030ELNS1_3gpuE2ELNS1_3repE0EEENS1_30default_config_static_selectorELNS0_4arch9wavefront6targetE0EEEvS12_, .Lfunc_end551-_ZN7rocprim17ROCPRIM_400000_NS6detail17trampoline_kernelINS0_13select_configILj256ELj13ELNS0_17block_load_methodE3ELS4_3ELS4_3ELNS0_20block_scan_algorithmE0ELj4294967295EEENS1_25partition_config_selectorILNS1_17partition_subalgoE4EjNS0_10empty_typeEbEEZZNS1_14partition_implILS8_4ELb0ES6_15HIP_vector_typeIjLj2EENS0_17counting_iteratorIjlEEPS9_SG_NS0_5tupleIJPjSI_NS0_16reverse_iteratorISI_EEEEENSH_IJSG_SG_SG_EEES9_SI_JZNS1_25segmented_radix_sort_implINS0_14default_configELb0EPKiPiPKlPlN2at6native12_GLOBAL__N_18offset_tEEE10hipError_tPvRmT1_PNSt15iterator_traitsIS12_E10value_typeET2_T3_PNS13_IS18_E10value_typeET4_jRbjT5_S1E_jjP12ihipStream_tbEUljE_ZNSN_ISO_Lb0ESQ_SR_ST_SU_SY_EESZ_S10_S11_S12_S16_S17_S18_S1B_S1C_jS1D_jS1E_S1E_jjS1G_bEUljE0_EEESZ_S10_S11_S18_S1C_S1E_T6_T7_T9_mT8_S1G_bDpT10_ENKUlT_T0_E_clISt17integral_constantIbLb1EES1U_EEDaS1P_S1Q_EUlS1P_E_NS1_11comp_targetILNS1_3genE8ELNS1_11target_archE1030ELNS1_3gpuE2ELNS1_3repE0EEENS1_30default_config_static_selectorELNS0_4arch9wavefront6targetE0EEEvS12_
                                        ; -- End function
	.set _ZN7rocprim17ROCPRIM_400000_NS6detail17trampoline_kernelINS0_13select_configILj256ELj13ELNS0_17block_load_methodE3ELS4_3ELS4_3ELNS0_20block_scan_algorithmE0ELj4294967295EEENS1_25partition_config_selectorILNS1_17partition_subalgoE4EjNS0_10empty_typeEbEEZZNS1_14partition_implILS8_4ELb0ES6_15HIP_vector_typeIjLj2EENS0_17counting_iteratorIjlEEPS9_SG_NS0_5tupleIJPjSI_NS0_16reverse_iteratorISI_EEEEENSH_IJSG_SG_SG_EEES9_SI_JZNS1_25segmented_radix_sort_implINS0_14default_configELb0EPKiPiPKlPlN2at6native12_GLOBAL__N_18offset_tEEE10hipError_tPvRmT1_PNSt15iterator_traitsIS12_E10value_typeET2_T3_PNS13_IS18_E10value_typeET4_jRbjT5_S1E_jjP12ihipStream_tbEUljE_ZNSN_ISO_Lb0ESQ_SR_ST_SU_SY_EESZ_S10_S11_S12_S16_S17_S18_S1B_S1C_jS1D_jS1E_S1E_jjS1G_bEUljE0_EEESZ_S10_S11_S18_S1C_S1E_T6_T7_T9_mT8_S1G_bDpT10_ENKUlT_T0_E_clISt17integral_constantIbLb1EES1U_EEDaS1P_S1Q_EUlS1P_E_NS1_11comp_targetILNS1_3genE8ELNS1_11target_archE1030ELNS1_3gpuE2ELNS1_3repE0EEENS1_30default_config_static_selectorELNS0_4arch9wavefront6targetE0EEEvS12_.num_vgpr, 0
	.set _ZN7rocprim17ROCPRIM_400000_NS6detail17trampoline_kernelINS0_13select_configILj256ELj13ELNS0_17block_load_methodE3ELS4_3ELS4_3ELNS0_20block_scan_algorithmE0ELj4294967295EEENS1_25partition_config_selectorILNS1_17partition_subalgoE4EjNS0_10empty_typeEbEEZZNS1_14partition_implILS8_4ELb0ES6_15HIP_vector_typeIjLj2EENS0_17counting_iteratorIjlEEPS9_SG_NS0_5tupleIJPjSI_NS0_16reverse_iteratorISI_EEEEENSH_IJSG_SG_SG_EEES9_SI_JZNS1_25segmented_radix_sort_implINS0_14default_configELb0EPKiPiPKlPlN2at6native12_GLOBAL__N_18offset_tEEE10hipError_tPvRmT1_PNSt15iterator_traitsIS12_E10value_typeET2_T3_PNS13_IS18_E10value_typeET4_jRbjT5_S1E_jjP12ihipStream_tbEUljE_ZNSN_ISO_Lb0ESQ_SR_ST_SU_SY_EESZ_S10_S11_S12_S16_S17_S18_S1B_S1C_jS1D_jS1E_S1E_jjS1G_bEUljE0_EEESZ_S10_S11_S18_S1C_S1E_T6_T7_T9_mT8_S1G_bDpT10_ENKUlT_T0_E_clISt17integral_constantIbLb1EES1U_EEDaS1P_S1Q_EUlS1P_E_NS1_11comp_targetILNS1_3genE8ELNS1_11target_archE1030ELNS1_3gpuE2ELNS1_3repE0EEENS1_30default_config_static_selectorELNS0_4arch9wavefront6targetE0EEEvS12_.num_agpr, 0
	.set _ZN7rocprim17ROCPRIM_400000_NS6detail17trampoline_kernelINS0_13select_configILj256ELj13ELNS0_17block_load_methodE3ELS4_3ELS4_3ELNS0_20block_scan_algorithmE0ELj4294967295EEENS1_25partition_config_selectorILNS1_17partition_subalgoE4EjNS0_10empty_typeEbEEZZNS1_14partition_implILS8_4ELb0ES6_15HIP_vector_typeIjLj2EENS0_17counting_iteratorIjlEEPS9_SG_NS0_5tupleIJPjSI_NS0_16reverse_iteratorISI_EEEEENSH_IJSG_SG_SG_EEES9_SI_JZNS1_25segmented_radix_sort_implINS0_14default_configELb0EPKiPiPKlPlN2at6native12_GLOBAL__N_18offset_tEEE10hipError_tPvRmT1_PNSt15iterator_traitsIS12_E10value_typeET2_T3_PNS13_IS18_E10value_typeET4_jRbjT5_S1E_jjP12ihipStream_tbEUljE_ZNSN_ISO_Lb0ESQ_SR_ST_SU_SY_EESZ_S10_S11_S12_S16_S17_S18_S1B_S1C_jS1D_jS1E_S1E_jjS1G_bEUljE0_EEESZ_S10_S11_S18_S1C_S1E_T6_T7_T9_mT8_S1G_bDpT10_ENKUlT_T0_E_clISt17integral_constantIbLb1EES1U_EEDaS1P_S1Q_EUlS1P_E_NS1_11comp_targetILNS1_3genE8ELNS1_11target_archE1030ELNS1_3gpuE2ELNS1_3repE0EEENS1_30default_config_static_selectorELNS0_4arch9wavefront6targetE0EEEvS12_.numbered_sgpr, 0
	.set _ZN7rocprim17ROCPRIM_400000_NS6detail17trampoline_kernelINS0_13select_configILj256ELj13ELNS0_17block_load_methodE3ELS4_3ELS4_3ELNS0_20block_scan_algorithmE0ELj4294967295EEENS1_25partition_config_selectorILNS1_17partition_subalgoE4EjNS0_10empty_typeEbEEZZNS1_14partition_implILS8_4ELb0ES6_15HIP_vector_typeIjLj2EENS0_17counting_iteratorIjlEEPS9_SG_NS0_5tupleIJPjSI_NS0_16reverse_iteratorISI_EEEEENSH_IJSG_SG_SG_EEES9_SI_JZNS1_25segmented_radix_sort_implINS0_14default_configELb0EPKiPiPKlPlN2at6native12_GLOBAL__N_18offset_tEEE10hipError_tPvRmT1_PNSt15iterator_traitsIS12_E10value_typeET2_T3_PNS13_IS18_E10value_typeET4_jRbjT5_S1E_jjP12ihipStream_tbEUljE_ZNSN_ISO_Lb0ESQ_SR_ST_SU_SY_EESZ_S10_S11_S12_S16_S17_S18_S1B_S1C_jS1D_jS1E_S1E_jjS1G_bEUljE0_EEESZ_S10_S11_S18_S1C_S1E_T6_T7_T9_mT8_S1G_bDpT10_ENKUlT_T0_E_clISt17integral_constantIbLb1EES1U_EEDaS1P_S1Q_EUlS1P_E_NS1_11comp_targetILNS1_3genE8ELNS1_11target_archE1030ELNS1_3gpuE2ELNS1_3repE0EEENS1_30default_config_static_selectorELNS0_4arch9wavefront6targetE0EEEvS12_.num_named_barrier, 0
	.set _ZN7rocprim17ROCPRIM_400000_NS6detail17trampoline_kernelINS0_13select_configILj256ELj13ELNS0_17block_load_methodE3ELS4_3ELS4_3ELNS0_20block_scan_algorithmE0ELj4294967295EEENS1_25partition_config_selectorILNS1_17partition_subalgoE4EjNS0_10empty_typeEbEEZZNS1_14partition_implILS8_4ELb0ES6_15HIP_vector_typeIjLj2EENS0_17counting_iteratorIjlEEPS9_SG_NS0_5tupleIJPjSI_NS0_16reverse_iteratorISI_EEEEENSH_IJSG_SG_SG_EEES9_SI_JZNS1_25segmented_radix_sort_implINS0_14default_configELb0EPKiPiPKlPlN2at6native12_GLOBAL__N_18offset_tEEE10hipError_tPvRmT1_PNSt15iterator_traitsIS12_E10value_typeET2_T3_PNS13_IS18_E10value_typeET4_jRbjT5_S1E_jjP12ihipStream_tbEUljE_ZNSN_ISO_Lb0ESQ_SR_ST_SU_SY_EESZ_S10_S11_S12_S16_S17_S18_S1B_S1C_jS1D_jS1E_S1E_jjS1G_bEUljE0_EEESZ_S10_S11_S18_S1C_S1E_T6_T7_T9_mT8_S1G_bDpT10_ENKUlT_T0_E_clISt17integral_constantIbLb1EES1U_EEDaS1P_S1Q_EUlS1P_E_NS1_11comp_targetILNS1_3genE8ELNS1_11target_archE1030ELNS1_3gpuE2ELNS1_3repE0EEENS1_30default_config_static_selectorELNS0_4arch9wavefront6targetE0EEEvS12_.private_seg_size, 0
	.set _ZN7rocprim17ROCPRIM_400000_NS6detail17trampoline_kernelINS0_13select_configILj256ELj13ELNS0_17block_load_methodE3ELS4_3ELS4_3ELNS0_20block_scan_algorithmE0ELj4294967295EEENS1_25partition_config_selectorILNS1_17partition_subalgoE4EjNS0_10empty_typeEbEEZZNS1_14partition_implILS8_4ELb0ES6_15HIP_vector_typeIjLj2EENS0_17counting_iteratorIjlEEPS9_SG_NS0_5tupleIJPjSI_NS0_16reverse_iteratorISI_EEEEENSH_IJSG_SG_SG_EEES9_SI_JZNS1_25segmented_radix_sort_implINS0_14default_configELb0EPKiPiPKlPlN2at6native12_GLOBAL__N_18offset_tEEE10hipError_tPvRmT1_PNSt15iterator_traitsIS12_E10value_typeET2_T3_PNS13_IS18_E10value_typeET4_jRbjT5_S1E_jjP12ihipStream_tbEUljE_ZNSN_ISO_Lb0ESQ_SR_ST_SU_SY_EESZ_S10_S11_S12_S16_S17_S18_S1B_S1C_jS1D_jS1E_S1E_jjS1G_bEUljE0_EEESZ_S10_S11_S18_S1C_S1E_T6_T7_T9_mT8_S1G_bDpT10_ENKUlT_T0_E_clISt17integral_constantIbLb1EES1U_EEDaS1P_S1Q_EUlS1P_E_NS1_11comp_targetILNS1_3genE8ELNS1_11target_archE1030ELNS1_3gpuE2ELNS1_3repE0EEENS1_30default_config_static_selectorELNS0_4arch9wavefront6targetE0EEEvS12_.uses_vcc, 0
	.set _ZN7rocprim17ROCPRIM_400000_NS6detail17trampoline_kernelINS0_13select_configILj256ELj13ELNS0_17block_load_methodE3ELS4_3ELS4_3ELNS0_20block_scan_algorithmE0ELj4294967295EEENS1_25partition_config_selectorILNS1_17partition_subalgoE4EjNS0_10empty_typeEbEEZZNS1_14partition_implILS8_4ELb0ES6_15HIP_vector_typeIjLj2EENS0_17counting_iteratorIjlEEPS9_SG_NS0_5tupleIJPjSI_NS0_16reverse_iteratorISI_EEEEENSH_IJSG_SG_SG_EEES9_SI_JZNS1_25segmented_radix_sort_implINS0_14default_configELb0EPKiPiPKlPlN2at6native12_GLOBAL__N_18offset_tEEE10hipError_tPvRmT1_PNSt15iterator_traitsIS12_E10value_typeET2_T3_PNS13_IS18_E10value_typeET4_jRbjT5_S1E_jjP12ihipStream_tbEUljE_ZNSN_ISO_Lb0ESQ_SR_ST_SU_SY_EESZ_S10_S11_S12_S16_S17_S18_S1B_S1C_jS1D_jS1E_S1E_jjS1G_bEUljE0_EEESZ_S10_S11_S18_S1C_S1E_T6_T7_T9_mT8_S1G_bDpT10_ENKUlT_T0_E_clISt17integral_constantIbLb1EES1U_EEDaS1P_S1Q_EUlS1P_E_NS1_11comp_targetILNS1_3genE8ELNS1_11target_archE1030ELNS1_3gpuE2ELNS1_3repE0EEENS1_30default_config_static_selectorELNS0_4arch9wavefront6targetE0EEEvS12_.uses_flat_scratch, 0
	.set _ZN7rocprim17ROCPRIM_400000_NS6detail17trampoline_kernelINS0_13select_configILj256ELj13ELNS0_17block_load_methodE3ELS4_3ELS4_3ELNS0_20block_scan_algorithmE0ELj4294967295EEENS1_25partition_config_selectorILNS1_17partition_subalgoE4EjNS0_10empty_typeEbEEZZNS1_14partition_implILS8_4ELb0ES6_15HIP_vector_typeIjLj2EENS0_17counting_iteratorIjlEEPS9_SG_NS0_5tupleIJPjSI_NS0_16reverse_iteratorISI_EEEEENSH_IJSG_SG_SG_EEES9_SI_JZNS1_25segmented_radix_sort_implINS0_14default_configELb0EPKiPiPKlPlN2at6native12_GLOBAL__N_18offset_tEEE10hipError_tPvRmT1_PNSt15iterator_traitsIS12_E10value_typeET2_T3_PNS13_IS18_E10value_typeET4_jRbjT5_S1E_jjP12ihipStream_tbEUljE_ZNSN_ISO_Lb0ESQ_SR_ST_SU_SY_EESZ_S10_S11_S12_S16_S17_S18_S1B_S1C_jS1D_jS1E_S1E_jjS1G_bEUljE0_EEESZ_S10_S11_S18_S1C_S1E_T6_T7_T9_mT8_S1G_bDpT10_ENKUlT_T0_E_clISt17integral_constantIbLb1EES1U_EEDaS1P_S1Q_EUlS1P_E_NS1_11comp_targetILNS1_3genE8ELNS1_11target_archE1030ELNS1_3gpuE2ELNS1_3repE0EEENS1_30default_config_static_selectorELNS0_4arch9wavefront6targetE0EEEvS12_.has_dyn_sized_stack, 0
	.set _ZN7rocprim17ROCPRIM_400000_NS6detail17trampoline_kernelINS0_13select_configILj256ELj13ELNS0_17block_load_methodE3ELS4_3ELS4_3ELNS0_20block_scan_algorithmE0ELj4294967295EEENS1_25partition_config_selectorILNS1_17partition_subalgoE4EjNS0_10empty_typeEbEEZZNS1_14partition_implILS8_4ELb0ES6_15HIP_vector_typeIjLj2EENS0_17counting_iteratorIjlEEPS9_SG_NS0_5tupleIJPjSI_NS0_16reverse_iteratorISI_EEEEENSH_IJSG_SG_SG_EEES9_SI_JZNS1_25segmented_radix_sort_implINS0_14default_configELb0EPKiPiPKlPlN2at6native12_GLOBAL__N_18offset_tEEE10hipError_tPvRmT1_PNSt15iterator_traitsIS12_E10value_typeET2_T3_PNS13_IS18_E10value_typeET4_jRbjT5_S1E_jjP12ihipStream_tbEUljE_ZNSN_ISO_Lb0ESQ_SR_ST_SU_SY_EESZ_S10_S11_S12_S16_S17_S18_S1B_S1C_jS1D_jS1E_S1E_jjS1G_bEUljE0_EEESZ_S10_S11_S18_S1C_S1E_T6_T7_T9_mT8_S1G_bDpT10_ENKUlT_T0_E_clISt17integral_constantIbLb1EES1U_EEDaS1P_S1Q_EUlS1P_E_NS1_11comp_targetILNS1_3genE8ELNS1_11target_archE1030ELNS1_3gpuE2ELNS1_3repE0EEENS1_30default_config_static_selectorELNS0_4arch9wavefront6targetE0EEEvS12_.has_recursion, 0
	.set _ZN7rocprim17ROCPRIM_400000_NS6detail17trampoline_kernelINS0_13select_configILj256ELj13ELNS0_17block_load_methodE3ELS4_3ELS4_3ELNS0_20block_scan_algorithmE0ELj4294967295EEENS1_25partition_config_selectorILNS1_17partition_subalgoE4EjNS0_10empty_typeEbEEZZNS1_14partition_implILS8_4ELb0ES6_15HIP_vector_typeIjLj2EENS0_17counting_iteratorIjlEEPS9_SG_NS0_5tupleIJPjSI_NS0_16reverse_iteratorISI_EEEEENSH_IJSG_SG_SG_EEES9_SI_JZNS1_25segmented_radix_sort_implINS0_14default_configELb0EPKiPiPKlPlN2at6native12_GLOBAL__N_18offset_tEEE10hipError_tPvRmT1_PNSt15iterator_traitsIS12_E10value_typeET2_T3_PNS13_IS18_E10value_typeET4_jRbjT5_S1E_jjP12ihipStream_tbEUljE_ZNSN_ISO_Lb0ESQ_SR_ST_SU_SY_EESZ_S10_S11_S12_S16_S17_S18_S1B_S1C_jS1D_jS1E_S1E_jjS1G_bEUljE0_EEESZ_S10_S11_S18_S1C_S1E_T6_T7_T9_mT8_S1G_bDpT10_ENKUlT_T0_E_clISt17integral_constantIbLb1EES1U_EEDaS1P_S1Q_EUlS1P_E_NS1_11comp_targetILNS1_3genE8ELNS1_11target_archE1030ELNS1_3gpuE2ELNS1_3repE0EEENS1_30default_config_static_selectorELNS0_4arch9wavefront6targetE0EEEvS12_.has_indirect_call, 0
	.section	.AMDGPU.csdata,"",@progbits
; Kernel info:
; codeLenInByte = 0
; TotalNumSgprs: 0
; NumVgprs: 0
; ScratchSize: 0
; MemoryBound: 0
; FloatMode: 240
; IeeeMode: 1
; LDSByteSize: 0 bytes/workgroup (compile time only)
; SGPRBlocks: 0
; VGPRBlocks: 0
; NumSGPRsForWavesPerEU: 1
; NumVGPRsForWavesPerEU: 1
; Occupancy: 16
; WaveLimiterHint : 0
; COMPUTE_PGM_RSRC2:SCRATCH_EN: 0
; COMPUTE_PGM_RSRC2:USER_SGPR: 2
; COMPUTE_PGM_RSRC2:TRAP_HANDLER: 0
; COMPUTE_PGM_RSRC2:TGID_X_EN: 1
; COMPUTE_PGM_RSRC2:TGID_Y_EN: 0
; COMPUTE_PGM_RSRC2:TGID_Z_EN: 0
; COMPUTE_PGM_RSRC2:TIDIG_COMP_CNT: 0
	.section	.text._ZN7rocprim17ROCPRIM_400000_NS6detail17trampoline_kernelINS0_13select_configILj256ELj13ELNS0_17block_load_methodE3ELS4_3ELS4_3ELNS0_20block_scan_algorithmE0ELj4294967295EEENS1_25partition_config_selectorILNS1_17partition_subalgoE4EjNS0_10empty_typeEbEEZZNS1_14partition_implILS8_4ELb0ES6_15HIP_vector_typeIjLj2EENS0_17counting_iteratorIjlEEPS9_SG_NS0_5tupleIJPjSI_NS0_16reverse_iteratorISI_EEEEENSH_IJSG_SG_SG_EEES9_SI_JZNS1_25segmented_radix_sort_implINS0_14default_configELb0EPKiPiPKlPlN2at6native12_GLOBAL__N_18offset_tEEE10hipError_tPvRmT1_PNSt15iterator_traitsIS12_E10value_typeET2_T3_PNS13_IS18_E10value_typeET4_jRbjT5_S1E_jjP12ihipStream_tbEUljE_ZNSN_ISO_Lb0ESQ_SR_ST_SU_SY_EESZ_S10_S11_S12_S16_S17_S18_S1B_S1C_jS1D_jS1E_S1E_jjS1G_bEUljE0_EEESZ_S10_S11_S18_S1C_S1E_T6_T7_T9_mT8_S1G_bDpT10_ENKUlT_T0_E_clISt17integral_constantIbLb1EES1T_IbLb0EEEEDaS1P_S1Q_EUlS1P_E_NS1_11comp_targetILNS1_3genE0ELNS1_11target_archE4294967295ELNS1_3gpuE0ELNS1_3repE0EEENS1_30default_config_static_selectorELNS0_4arch9wavefront6targetE0EEEvS12_,"axG",@progbits,_ZN7rocprim17ROCPRIM_400000_NS6detail17trampoline_kernelINS0_13select_configILj256ELj13ELNS0_17block_load_methodE3ELS4_3ELS4_3ELNS0_20block_scan_algorithmE0ELj4294967295EEENS1_25partition_config_selectorILNS1_17partition_subalgoE4EjNS0_10empty_typeEbEEZZNS1_14partition_implILS8_4ELb0ES6_15HIP_vector_typeIjLj2EENS0_17counting_iteratorIjlEEPS9_SG_NS0_5tupleIJPjSI_NS0_16reverse_iteratorISI_EEEEENSH_IJSG_SG_SG_EEES9_SI_JZNS1_25segmented_radix_sort_implINS0_14default_configELb0EPKiPiPKlPlN2at6native12_GLOBAL__N_18offset_tEEE10hipError_tPvRmT1_PNSt15iterator_traitsIS12_E10value_typeET2_T3_PNS13_IS18_E10value_typeET4_jRbjT5_S1E_jjP12ihipStream_tbEUljE_ZNSN_ISO_Lb0ESQ_SR_ST_SU_SY_EESZ_S10_S11_S12_S16_S17_S18_S1B_S1C_jS1D_jS1E_S1E_jjS1G_bEUljE0_EEESZ_S10_S11_S18_S1C_S1E_T6_T7_T9_mT8_S1G_bDpT10_ENKUlT_T0_E_clISt17integral_constantIbLb1EES1T_IbLb0EEEEDaS1P_S1Q_EUlS1P_E_NS1_11comp_targetILNS1_3genE0ELNS1_11target_archE4294967295ELNS1_3gpuE0ELNS1_3repE0EEENS1_30default_config_static_selectorELNS0_4arch9wavefront6targetE0EEEvS12_,comdat
	.globl	_ZN7rocprim17ROCPRIM_400000_NS6detail17trampoline_kernelINS0_13select_configILj256ELj13ELNS0_17block_load_methodE3ELS4_3ELS4_3ELNS0_20block_scan_algorithmE0ELj4294967295EEENS1_25partition_config_selectorILNS1_17partition_subalgoE4EjNS0_10empty_typeEbEEZZNS1_14partition_implILS8_4ELb0ES6_15HIP_vector_typeIjLj2EENS0_17counting_iteratorIjlEEPS9_SG_NS0_5tupleIJPjSI_NS0_16reverse_iteratorISI_EEEEENSH_IJSG_SG_SG_EEES9_SI_JZNS1_25segmented_radix_sort_implINS0_14default_configELb0EPKiPiPKlPlN2at6native12_GLOBAL__N_18offset_tEEE10hipError_tPvRmT1_PNSt15iterator_traitsIS12_E10value_typeET2_T3_PNS13_IS18_E10value_typeET4_jRbjT5_S1E_jjP12ihipStream_tbEUljE_ZNSN_ISO_Lb0ESQ_SR_ST_SU_SY_EESZ_S10_S11_S12_S16_S17_S18_S1B_S1C_jS1D_jS1E_S1E_jjS1G_bEUljE0_EEESZ_S10_S11_S18_S1C_S1E_T6_T7_T9_mT8_S1G_bDpT10_ENKUlT_T0_E_clISt17integral_constantIbLb1EES1T_IbLb0EEEEDaS1P_S1Q_EUlS1P_E_NS1_11comp_targetILNS1_3genE0ELNS1_11target_archE4294967295ELNS1_3gpuE0ELNS1_3repE0EEENS1_30default_config_static_selectorELNS0_4arch9wavefront6targetE0EEEvS12_ ; -- Begin function _ZN7rocprim17ROCPRIM_400000_NS6detail17trampoline_kernelINS0_13select_configILj256ELj13ELNS0_17block_load_methodE3ELS4_3ELS4_3ELNS0_20block_scan_algorithmE0ELj4294967295EEENS1_25partition_config_selectorILNS1_17partition_subalgoE4EjNS0_10empty_typeEbEEZZNS1_14partition_implILS8_4ELb0ES6_15HIP_vector_typeIjLj2EENS0_17counting_iteratorIjlEEPS9_SG_NS0_5tupleIJPjSI_NS0_16reverse_iteratorISI_EEEEENSH_IJSG_SG_SG_EEES9_SI_JZNS1_25segmented_radix_sort_implINS0_14default_configELb0EPKiPiPKlPlN2at6native12_GLOBAL__N_18offset_tEEE10hipError_tPvRmT1_PNSt15iterator_traitsIS12_E10value_typeET2_T3_PNS13_IS18_E10value_typeET4_jRbjT5_S1E_jjP12ihipStream_tbEUljE_ZNSN_ISO_Lb0ESQ_SR_ST_SU_SY_EESZ_S10_S11_S12_S16_S17_S18_S1B_S1C_jS1D_jS1E_S1E_jjS1G_bEUljE0_EEESZ_S10_S11_S18_S1C_S1E_T6_T7_T9_mT8_S1G_bDpT10_ENKUlT_T0_E_clISt17integral_constantIbLb1EES1T_IbLb0EEEEDaS1P_S1Q_EUlS1P_E_NS1_11comp_targetILNS1_3genE0ELNS1_11target_archE4294967295ELNS1_3gpuE0ELNS1_3repE0EEENS1_30default_config_static_selectorELNS0_4arch9wavefront6targetE0EEEvS12_
	.p2align	8
	.type	_ZN7rocprim17ROCPRIM_400000_NS6detail17trampoline_kernelINS0_13select_configILj256ELj13ELNS0_17block_load_methodE3ELS4_3ELS4_3ELNS0_20block_scan_algorithmE0ELj4294967295EEENS1_25partition_config_selectorILNS1_17partition_subalgoE4EjNS0_10empty_typeEbEEZZNS1_14partition_implILS8_4ELb0ES6_15HIP_vector_typeIjLj2EENS0_17counting_iteratorIjlEEPS9_SG_NS0_5tupleIJPjSI_NS0_16reverse_iteratorISI_EEEEENSH_IJSG_SG_SG_EEES9_SI_JZNS1_25segmented_radix_sort_implINS0_14default_configELb0EPKiPiPKlPlN2at6native12_GLOBAL__N_18offset_tEEE10hipError_tPvRmT1_PNSt15iterator_traitsIS12_E10value_typeET2_T3_PNS13_IS18_E10value_typeET4_jRbjT5_S1E_jjP12ihipStream_tbEUljE_ZNSN_ISO_Lb0ESQ_SR_ST_SU_SY_EESZ_S10_S11_S12_S16_S17_S18_S1B_S1C_jS1D_jS1E_S1E_jjS1G_bEUljE0_EEESZ_S10_S11_S18_S1C_S1E_T6_T7_T9_mT8_S1G_bDpT10_ENKUlT_T0_E_clISt17integral_constantIbLb1EES1T_IbLb0EEEEDaS1P_S1Q_EUlS1P_E_NS1_11comp_targetILNS1_3genE0ELNS1_11target_archE4294967295ELNS1_3gpuE0ELNS1_3repE0EEENS1_30default_config_static_selectorELNS0_4arch9wavefront6targetE0EEEvS12_,@function
_ZN7rocprim17ROCPRIM_400000_NS6detail17trampoline_kernelINS0_13select_configILj256ELj13ELNS0_17block_load_methodE3ELS4_3ELS4_3ELNS0_20block_scan_algorithmE0ELj4294967295EEENS1_25partition_config_selectorILNS1_17partition_subalgoE4EjNS0_10empty_typeEbEEZZNS1_14partition_implILS8_4ELb0ES6_15HIP_vector_typeIjLj2EENS0_17counting_iteratorIjlEEPS9_SG_NS0_5tupleIJPjSI_NS0_16reverse_iteratorISI_EEEEENSH_IJSG_SG_SG_EEES9_SI_JZNS1_25segmented_radix_sort_implINS0_14default_configELb0EPKiPiPKlPlN2at6native12_GLOBAL__N_18offset_tEEE10hipError_tPvRmT1_PNSt15iterator_traitsIS12_E10value_typeET2_T3_PNS13_IS18_E10value_typeET4_jRbjT5_S1E_jjP12ihipStream_tbEUljE_ZNSN_ISO_Lb0ESQ_SR_ST_SU_SY_EESZ_S10_S11_S12_S16_S17_S18_S1B_S1C_jS1D_jS1E_S1E_jjS1G_bEUljE0_EEESZ_S10_S11_S18_S1C_S1E_T6_T7_T9_mT8_S1G_bDpT10_ENKUlT_T0_E_clISt17integral_constantIbLb1EES1T_IbLb0EEEEDaS1P_S1Q_EUlS1P_E_NS1_11comp_targetILNS1_3genE0ELNS1_11target_archE4294967295ELNS1_3gpuE0ELNS1_3repE0EEENS1_30default_config_static_selectorELNS0_4arch9wavefront6targetE0EEEvS12_: ; @_ZN7rocprim17ROCPRIM_400000_NS6detail17trampoline_kernelINS0_13select_configILj256ELj13ELNS0_17block_load_methodE3ELS4_3ELS4_3ELNS0_20block_scan_algorithmE0ELj4294967295EEENS1_25partition_config_selectorILNS1_17partition_subalgoE4EjNS0_10empty_typeEbEEZZNS1_14partition_implILS8_4ELb0ES6_15HIP_vector_typeIjLj2EENS0_17counting_iteratorIjlEEPS9_SG_NS0_5tupleIJPjSI_NS0_16reverse_iteratorISI_EEEEENSH_IJSG_SG_SG_EEES9_SI_JZNS1_25segmented_radix_sort_implINS0_14default_configELb0EPKiPiPKlPlN2at6native12_GLOBAL__N_18offset_tEEE10hipError_tPvRmT1_PNSt15iterator_traitsIS12_E10value_typeET2_T3_PNS13_IS18_E10value_typeET4_jRbjT5_S1E_jjP12ihipStream_tbEUljE_ZNSN_ISO_Lb0ESQ_SR_ST_SU_SY_EESZ_S10_S11_S12_S16_S17_S18_S1B_S1C_jS1D_jS1E_S1E_jjS1G_bEUljE0_EEESZ_S10_S11_S18_S1C_S1E_T6_T7_T9_mT8_S1G_bDpT10_ENKUlT_T0_E_clISt17integral_constantIbLb1EES1T_IbLb0EEEEDaS1P_S1Q_EUlS1P_E_NS1_11comp_targetILNS1_3genE0ELNS1_11target_archE4294967295ELNS1_3gpuE0ELNS1_3repE0EEENS1_30default_config_static_selectorELNS0_4arch9wavefront6targetE0EEEvS12_
; %bb.0:
	.section	.rodata,"a",@progbits
	.p2align	6, 0x0
	.amdhsa_kernel _ZN7rocprim17ROCPRIM_400000_NS6detail17trampoline_kernelINS0_13select_configILj256ELj13ELNS0_17block_load_methodE3ELS4_3ELS4_3ELNS0_20block_scan_algorithmE0ELj4294967295EEENS1_25partition_config_selectorILNS1_17partition_subalgoE4EjNS0_10empty_typeEbEEZZNS1_14partition_implILS8_4ELb0ES6_15HIP_vector_typeIjLj2EENS0_17counting_iteratorIjlEEPS9_SG_NS0_5tupleIJPjSI_NS0_16reverse_iteratorISI_EEEEENSH_IJSG_SG_SG_EEES9_SI_JZNS1_25segmented_radix_sort_implINS0_14default_configELb0EPKiPiPKlPlN2at6native12_GLOBAL__N_18offset_tEEE10hipError_tPvRmT1_PNSt15iterator_traitsIS12_E10value_typeET2_T3_PNS13_IS18_E10value_typeET4_jRbjT5_S1E_jjP12ihipStream_tbEUljE_ZNSN_ISO_Lb0ESQ_SR_ST_SU_SY_EESZ_S10_S11_S12_S16_S17_S18_S1B_S1C_jS1D_jS1E_S1E_jjS1G_bEUljE0_EEESZ_S10_S11_S18_S1C_S1E_T6_T7_T9_mT8_S1G_bDpT10_ENKUlT_T0_E_clISt17integral_constantIbLb1EES1T_IbLb0EEEEDaS1P_S1Q_EUlS1P_E_NS1_11comp_targetILNS1_3genE0ELNS1_11target_archE4294967295ELNS1_3gpuE0ELNS1_3repE0EEENS1_30default_config_static_selectorELNS0_4arch9wavefront6targetE0EEEvS12_
		.amdhsa_group_segment_fixed_size 0
		.amdhsa_private_segment_fixed_size 0
		.amdhsa_kernarg_size 176
		.amdhsa_user_sgpr_count 2
		.amdhsa_user_sgpr_dispatch_ptr 0
		.amdhsa_user_sgpr_queue_ptr 0
		.amdhsa_user_sgpr_kernarg_segment_ptr 1
		.amdhsa_user_sgpr_dispatch_id 0
		.amdhsa_user_sgpr_private_segment_size 0
		.amdhsa_wavefront_size32 1
		.amdhsa_uses_dynamic_stack 0
		.amdhsa_enable_private_segment 0
		.amdhsa_system_sgpr_workgroup_id_x 1
		.amdhsa_system_sgpr_workgroup_id_y 0
		.amdhsa_system_sgpr_workgroup_id_z 0
		.amdhsa_system_sgpr_workgroup_info 0
		.amdhsa_system_vgpr_workitem_id 0
		.amdhsa_next_free_vgpr 1
		.amdhsa_next_free_sgpr 1
		.amdhsa_reserve_vcc 0
		.amdhsa_float_round_mode_32 0
		.amdhsa_float_round_mode_16_64 0
		.amdhsa_float_denorm_mode_32 3
		.amdhsa_float_denorm_mode_16_64 3
		.amdhsa_fp16_overflow 0
		.amdhsa_workgroup_processor_mode 1
		.amdhsa_memory_ordered 1
		.amdhsa_forward_progress 1
		.amdhsa_inst_pref_size 0
		.amdhsa_round_robin_scheduling 0
		.amdhsa_exception_fp_ieee_invalid_op 0
		.amdhsa_exception_fp_denorm_src 0
		.amdhsa_exception_fp_ieee_div_zero 0
		.amdhsa_exception_fp_ieee_overflow 0
		.amdhsa_exception_fp_ieee_underflow 0
		.amdhsa_exception_fp_ieee_inexact 0
		.amdhsa_exception_int_div_zero 0
	.end_amdhsa_kernel
	.section	.text._ZN7rocprim17ROCPRIM_400000_NS6detail17trampoline_kernelINS0_13select_configILj256ELj13ELNS0_17block_load_methodE3ELS4_3ELS4_3ELNS0_20block_scan_algorithmE0ELj4294967295EEENS1_25partition_config_selectorILNS1_17partition_subalgoE4EjNS0_10empty_typeEbEEZZNS1_14partition_implILS8_4ELb0ES6_15HIP_vector_typeIjLj2EENS0_17counting_iteratorIjlEEPS9_SG_NS0_5tupleIJPjSI_NS0_16reverse_iteratorISI_EEEEENSH_IJSG_SG_SG_EEES9_SI_JZNS1_25segmented_radix_sort_implINS0_14default_configELb0EPKiPiPKlPlN2at6native12_GLOBAL__N_18offset_tEEE10hipError_tPvRmT1_PNSt15iterator_traitsIS12_E10value_typeET2_T3_PNS13_IS18_E10value_typeET4_jRbjT5_S1E_jjP12ihipStream_tbEUljE_ZNSN_ISO_Lb0ESQ_SR_ST_SU_SY_EESZ_S10_S11_S12_S16_S17_S18_S1B_S1C_jS1D_jS1E_S1E_jjS1G_bEUljE0_EEESZ_S10_S11_S18_S1C_S1E_T6_T7_T9_mT8_S1G_bDpT10_ENKUlT_T0_E_clISt17integral_constantIbLb1EES1T_IbLb0EEEEDaS1P_S1Q_EUlS1P_E_NS1_11comp_targetILNS1_3genE0ELNS1_11target_archE4294967295ELNS1_3gpuE0ELNS1_3repE0EEENS1_30default_config_static_selectorELNS0_4arch9wavefront6targetE0EEEvS12_,"axG",@progbits,_ZN7rocprim17ROCPRIM_400000_NS6detail17trampoline_kernelINS0_13select_configILj256ELj13ELNS0_17block_load_methodE3ELS4_3ELS4_3ELNS0_20block_scan_algorithmE0ELj4294967295EEENS1_25partition_config_selectorILNS1_17partition_subalgoE4EjNS0_10empty_typeEbEEZZNS1_14partition_implILS8_4ELb0ES6_15HIP_vector_typeIjLj2EENS0_17counting_iteratorIjlEEPS9_SG_NS0_5tupleIJPjSI_NS0_16reverse_iteratorISI_EEEEENSH_IJSG_SG_SG_EEES9_SI_JZNS1_25segmented_radix_sort_implINS0_14default_configELb0EPKiPiPKlPlN2at6native12_GLOBAL__N_18offset_tEEE10hipError_tPvRmT1_PNSt15iterator_traitsIS12_E10value_typeET2_T3_PNS13_IS18_E10value_typeET4_jRbjT5_S1E_jjP12ihipStream_tbEUljE_ZNSN_ISO_Lb0ESQ_SR_ST_SU_SY_EESZ_S10_S11_S12_S16_S17_S18_S1B_S1C_jS1D_jS1E_S1E_jjS1G_bEUljE0_EEESZ_S10_S11_S18_S1C_S1E_T6_T7_T9_mT8_S1G_bDpT10_ENKUlT_T0_E_clISt17integral_constantIbLb1EES1T_IbLb0EEEEDaS1P_S1Q_EUlS1P_E_NS1_11comp_targetILNS1_3genE0ELNS1_11target_archE4294967295ELNS1_3gpuE0ELNS1_3repE0EEENS1_30default_config_static_selectorELNS0_4arch9wavefront6targetE0EEEvS12_,comdat
.Lfunc_end552:
	.size	_ZN7rocprim17ROCPRIM_400000_NS6detail17trampoline_kernelINS0_13select_configILj256ELj13ELNS0_17block_load_methodE3ELS4_3ELS4_3ELNS0_20block_scan_algorithmE0ELj4294967295EEENS1_25partition_config_selectorILNS1_17partition_subalgoE4EjNS0_10empty_typeEbEEZZNS1_14partition_implILS8_4ELb0ES6_15HIP_vector_typeIjLj2EENS0_17counting_iteratorIjlEEPS9_SG_NS0_5tupleIJPjSI_NS0_16reverse_iteratorISI_EEEEENSH_IJSG_SG_SG_EEES9_SI_JZNS1_25segmented_radix_sort_implINS0_14default_configELb0EPKiPiPKlPlN2at6native12_GLOBAL__N_18offset_tEEE10hipError_tPvRmT1_PNSt15iterator_traitsIS12_E10value_typeET2_T3_PNS13_IS18_E10value_typeET4_jRbjT5_S1E_jjP12ihipStream_tbEUljE_ZNSN_ISO_Lb0ESQ_SR_ST_SU_SY_EESZ_S10_S11_S12_S16_S17_S18_S1B_S1C_jS1D_jS1E_S1E_jjS1G_bEUljE0_EEESZ_S10_S11_S18_S1C_S1E_T6_T7_T9_mT8_S1G_bDpT10_ENKUlT_T0_E_clISt17integral_constantIbLb1EES1T_IbLb0EEEEDaS1P_S1Q_EUlS1P_E_NS1_11comp_targetILNS1_3genE0ELNS1_11target_archE4294967295ELNS1_3gpuE0ELNS1_3repE0EEENS1_30default_config_static_selectorELNS0_4arch9wavefront6targetE0EEEvS12_, .Lfunc_end552-_ZN7rocprim17ROCPRIM_400000_NS6detail17trampoline_kernelINS0_13select_configILj256ELj13ELNS0_17block_load_methodE3ELS4_3ELS4_3ELNS0_20block_scan_algorithmE0ELj4294967295EEENS1_25partition_config_selectorILNS1_17partition_subalgoE4EjNS0_10empty_typeEbEEZZNS1_14partition_implILS8_4ELb0ES6_15HIP_vector_typeIjLj2EENS0_17counting_iteratorIjlEEPS9_SG_NS0_5tupleIJPjSI_NS0_16reverse_iteratorISI_EEEEENSH_IJSG_SG_SG_EEES9_SI_JZNS1_25segmented_radix_sort_implINS0_14default_configELb0EPKiPiPKlPlN2at6native12_GLOBAL__N_18offset_tEEE10hipError_tPvRmT1_PNSt15iterator_traitsIS12_E10value_typeET2_T3_PNS13_IS18_E10value_typeET4_jRbjT5_S1E_jjP12ihipStream_tbEUljE_ZNSN_ISO_Lb0ESQ_SR_ST_SU_SY_EESZ_S10_S11_S12_S16_S17_S18_S1B_S1C_jS1D_jS1E_S1E_jjS1G_bEUljE0_EEESZ_S10_S11_S18_S1C_S1E_T6_T7_T9_mT8_S1G_bDpT10_ENKUlT_T0_E_clISt17integral_constantIbLb1EES1T_IbLb0EEEEDaS1P_S1Q_EUlS1P_E_NS1_11comp_targetILNS1_3genE0ELNS1_11target_archE4294967295ELNS1_3gpuE0ELNS1_3repE0EEENS1_30default_config_static_selectorELNS0_4arch9wavefront6targetE0EEEvS12_
                                        ; -- End function
	.set _ZN7rocprim17ROCPRIM_400000_NS6detail17trampoline_kernelINS0_13select_configILj256ELj13ELNS0_17block_load_methodE3ELS4_3ELS4_3ELNS0_20block_scan_algorithmE0ELj4294967295EEENS1_25partition_config_selectorILNS1_17partition_subalgoE4EjNS0_10empty_typeEbEEZZNS1_14partition_implILS8_4ELb0ES6_15HIP_vector_typeIjLj2EENS0_17counting_iteratorIjlEEPS9_SG_NS0_5tupleIJPjSI_NS0_16reverse_iteratorISI_EEEEENSH_IJSG_SG_SG_EEES9_SI_JZNS1_25segmented_radix_sort_implINS0_14default_configELb0EPKiPiPKlPlN2at6native12_GLOBAL__N_18offset_tEEE10hipError_tPvRmT1_PNSt15iterator_traitsIS12_E10value_typeET2_T3_PNS13_IS18_E10value_typeET4_jRbjT5_S1E_jjP12ihipStream_tbEUljE_ZNSN_ISO_Lb0ESQ_SR_ST_SU_SY_EESZ_S10_S11_S12_S16_S17_S18_S1B_S1C_jS1D_jS1E_S1E_jjS1G_bEUljE0_EEESZ_S10_S11_S18_S1C_S1E_T6_T7_T9_mT8_S1G_bDpT10_ENKUlT_T0_E_clISt17integral_constantIbLb1EES1T_IbLb0EEEEDaS1P_S1Q_EUlS1P_E_NS1_11comp_targetILNS1_3genE0ELNS1_11target_archE4294967295ELNS1_3gpuE0ELNS1_3repE0EEENS1_30default_config_static_selectorELNS0_4arch9wavefront6targetE0EEEvS12_.num_vgpr, 0
	.set _ZN7rocprim17ROCPRIM_400000_NS6detail17trampoline_kernelINS0_13select_configILj256ELj13ELNS0_17block_load_methodE3ELS4_3ELS4_3ELNS0_20block_scan_algorithmE0ELj4294967295EEENS1_25partition_config_selectorILNS1_17partition_subalgoE4EjNS0_10empty_typeEbEEZZNS1_14partition_implILS8_4ELb0ES6_15HIP_vector_typeIjLj2EENS0_17counting_iteratorIjlEEPS9_SG_NS0_5tupleIJPjSI_NS0_16reverse_iteratorISI_EEEEENSH_IJSG_SG_SG_EEES9_SI_JZNS1_25segmented_radix_sort_implINS0_14default_configELb0EPKiPiPKlPlN2at6native12_GLOBAL__N_18offset_tEEE10hipError_tPvRmT1_PNSt15iterator_traitsIS12_E10value_typeET2_T3_PNS13_IS18_E10value_typeET4_jRbjT5_S1E_jjP12ihipStream_tbEUljE_ZNSN_ISO_Lb0ESQ_SR_ST_SU_SY_EESZ_S10_S11_S12_S16_S17_S18_S1B_S1C_jS1D_jS1E_S1E_jjS1G_bEUljE0_EEESZ_S10_S11_S18_S1C_S1E_T6_T7_T9_mT8_S1G_bDpT10_ENKUlT_T0_E_clISt17integral_constantIbLb1EES1T_IbLb0EEEEDaS1P_S1Q_EUlS1P_E_NS1_11comp_targetILNS1_3genE0ELNS1_11target_archE4294967295ELNS1_3gpuE0ELNS1_3repE0EEENS1_30default_config_static_selectorELNS0_4arch9wavefront6targetE0EEEvS12_.num_agpr, 0
	.set _ZN7rocprim17ROCPRIM_400000_NS6detail17trampoline_kernelINS0_13select_configILj256ELj13ELNS0_17block_load_methodE3ELS4_3ELS4_3ELNS0_20block_scan_algorithmE0ELj4294967295EEENS1_25partition_config_selectorILNS1_17partition_subalgoE4EjNS0_10empty_typeEbEEZZNS1_14partition_implILS8_4ELb0ES6_15HIP_vector_typeIjLj2EENS0_17counting_iteratorIjlEEPS9_SG_NS0_5tupleIJPjSI_NS0_16reverse_iteratorISI_EEEEENSH_IJSG_SG_SG_EEES9_SI_JZNS1_25segmented_radix_sort_implINS0_14default_configELb0EPKiPiPKlPlN2at6native12_GLOBAL__N_18offset_tEEE10hipError_tPvRmT1_PNSt15iterator_traitsIS12_E10value_typeET2_T3_PNS13_IS18_E10value_typeET4_jRbjT5_S1E_jjP12ihipStream_tbEUljE_ZNSN_ISO_Lb0ESQ_SR_ST_SU_SY_EESZ_S10_S11_S12_S16_S17_S18_S1B_S1C_jS1D_jS1E_S1E_jjS1G_bEUljE0_EEESZ_S10_S11_S18_S1C_S1E_T6_T7_T9_mT8_S1G_bDpT10_ENKUlT_T0_E_clISt17integral_constantIbLb1EES1T_IbLb0EEEEDaS1P_S1Q_EUlS1P_E_NS1_11comp_targetILNS1_3genE0ELNS1_11target_archE4294967295ELNS1_3gpuE0ELNS1_3repE0EEENS1_30default_config_static_selectorELNS0_4arch9wavefront6targetE0EEEvS12_.numbered_sgpr, 0
	.set _ZN7rocprim17ROCPRIM_400000_NS6detail17trampoline_kernelINS0_13select_configILj256ELj13ELNS0_17block_load_methodE3ELS4_3ELS4_3ELNS0_20block_scan_algorithmE0ELj4294967295EEENS1_25partition_config_selectorILNS1_17partition_subalgoE4EjNS0_10empty_typeEbEEZZNS1_14partition_implILS8_4ELb0ES6_15HIP_vector_typeIjLj2EENS0_17counting_iteratorIjlEEPS9_SG_NS0_5tupleIJPjSI_NS0_16reverse_iteratorISI_EEEEENSH_IJSG_SG_SG_EEES9_SI_JZNS1_25segmented_radix_sort_implINS0_14default_configELb0EPKiPiPKlPlN2at6native12_GLOBAL__N_18offset_tEEE10hipError_tPvRmT1_PNSt15iterator_traitsIS12_E10value_typeET2_T3_PNS13_IS18_E10value_typeET4_jRbjT5_S1E_jjP12ihipStream_tbEUljE_ZNSN_ISO_Lb0ESQ_SR_ST_SU_SY_EESZ_S10_S11_S12_S16_S17_S18_S1B_S1C_jS1D_jS1E_S1E_jjS1G_bEUljE0_EEESZ_S10_S11_S18_S1C_S1E_T6_T7_T9_mT8_S1G_bDpT10_ENKUlT_T0_E_clISt17integral_constantIbLb1EES1T_IbLb0EEEEDaS1P_S1Q_EUlS1P_E_NS1_11comp_targetILNS1_3genE0ELNS1_11target_archE4294967295ELNS1_3gpuE0ELNS1_3repE0EEENS1_30default_config_static_selectorELNS0_4arch9wavefront6targetE0EEEvS12_.num_named_barrier, 0
	.set _ZN7rocprim17ROCPRIM_400000_NS6detail17trampoline_kernelINS0_13select_configILj256ELj13ELNS0_17block_load_methodE3ELS4_3ELS4_3ELNS0_20block_scan_algorithmE0ELj4294967295EEENS1_25partition_config_selectorILNS1_17partition_subalgoE4EjNS0_10empty_typeEbEEZZNS1_14partition_implILS8_4ELb0ES6_15HIP_vector_typeIjLj2EENS0_17counting_iteratorIjlEEPS9_SG_NS0_5tupleIJPjSI_NS0_16reverse_iteratorISI_EEEEENSH_IJSG_SG_SG_EEES9_SI_JZNS1_25segmented_radix_sort_implINS0_14default_configELb0EPKiPiPKlPlN2at6native12_GLOBAL__N_18offset_tEEE10hipError_tPvRmT1_PNSt15iterator_traitsIS12_E10value_typeET2_T3_PNS13_IS18_E10value_typeET4_jRbjT5_S1E_jjP12ihipStream_tbEUljE_ZNSN_ISO_Lb0ESQ_SR_ST_SU_SY_EESZ_S10_S11_S12_S16_S17_S18_S1B_S1C_jS1D_jS1E_S1E_jjS1G_bEUljE0_EEESZ_S10_S11_S18_S1C_S1E_T6_T7_T9_mT8_S1G_bDpT10_ENKUlT_T0_E_clISt17integral_constantIbLb1EES1T_IbLb0EEEEDaS1P_S1Q_EUlS1P_E_NS1_11comp_targetILNS1_3genE0ELNS1_11target_archE4294967295ELNS1_3gpuE0ELNS1_3repE0EEENS1_30default_config_static_selectorELNS0_4arch9wavefront6targetE0EEEvS12_.private_seg_size, 0
	.set _ZN7rocprim17ROCPRIM_400000_NS6detail17trampoline_kernelINS0_13select_configILj256ELj13ELNS0_17block_load_methodE3ELS4_3ELS4_3ELNS0_20block_scan_algorithmE0ELj4294967295EEENS1_25partition_config_selectorILNS1_17partition_subalgoE4EjNS0_10empty_typeEbEEZZNS1_14partition_implILS8_4ELb0ES6_15HIP_vector_typeIjLj2EENS0_17counting_iteratorIjlEEPS9_SG_NS0_5tupleIJPjSI_NS0_16reverse_iteratorISI_EEEEENSH_IJSG_SG_SG_EEES9_SI_JZNS1_25segmented_radix_sort_implINS0_14default_configELb0EPKiPiPKlPlN2at6native12_GLOBAL__N_18offset_tEEE10hipError_tPvRmT1_PNSt15iterator_traitsIS12_E10value_typeET2_T3_PNS13_IS18_E10value_typeET4_jRbjT5_S1E_jjP12ihipStream_tbEUljE_ZNSN_ISO_Lb0ESQ_SR_ST_SU_SY_EESZ_S10_S11_S12_S16_S17_S18_S1B_S1C_jS1D_jS1E_S1E_jjS1G_bEUljE0_EEESZ_S10_S11_S18_S1C_S1E_T6_T7_T9_mT8_S1G_bDpT10_ENKUlT_T0_E_clISt17integral_constantIbLb1EES1T_IbLb0EEEEDaS1P_S1Q_EUlS1P_E_NS1_11comp_targetILNS1_3genE0ELNS1_11target_archE4294967295ELNS1_3gpuE0ELNS1_3repE0EEENS1_30default_config_static_selectorELNS0_4arch9wavefront6targetE0EEEvS12_.uses_vcc, 0
	.set _ZN7rocprim17ROCPRIM_400000_NS6detail17trampoline_kernelINS0_13select_configILj256ELj13ELNS0_17block_load_methodE3ELS4_3ELS4_3ELNS0_20block_scan_algorithmE0ELj4294967295EEENS1_25partition_config_selectorILNS1_17partition_subalgoE4EjNS0_10empty_typeEbEEZZNS1_14partition_implILS8_4ELb0ES6_15HIP_vector_typeIjLj2EENS0_17counting_iteratorIjlEEPS9_SG_NS0_5tupleIJPjSI_NS0_16reverse_iteratorISI_EEEEENSH_IJSG_SG_SG_EEES9_SI_JZNS1_25segmented_radix_sort_implINS0_14default_configELb0EPKiPiPKlPlN2at6native12_GLOBAL__N_18offset_tEEE10hipError_tPvRmT1_PNSt15iterator_traitsIS12_E10value_typeET2_T3_PNS13_IS18_E10value_typeET4_jRbjT5_S1E_jjP12ihipStream_tbEUljE_ZNSN_ISO_Lb0ESQ_SR_ST_SU_SY_EESZ_S10_S11_S12_S16_S17_S18_S1B_S1C_jS1D_jS1E_S1E_jjS1G_bEUljE0_EEESZ_S10_S11_S18_S1C_S1E_T6_T7_T9_mT8_S1G_bDpT10_ENKUlT_T0_E_clISt17integral_constantIbLb1EES1T_IbLb0EEEEDaS1P_S1Q_EUlS1P_E_NS1_11comp_targetILNS1_3genE0ELNS1_11target_archE4294967295ELNS1_3gpuE0ELNS1_3repE0EEENS1_30default_config_static_selectorELNS0_4arch9wavefront6targetE0EEEvS12_.uses_flat_scratch, 0
	.set _ZN7rocprim17ROCPRIM_400000_NS6detail17trampoline_kernelINS0_13select_configILj256ELj13ELNS0_17block_load_methodE3ELS4_3ELS4_3ELNS0_20block_scan_algorithmE0ELj4294967295EEENS1_25partition_config_selectorILNS1_17partition_subalgoE4EjNS0_10empty_typeEbEEZZNS1_14partition_implILS8_4ELb0ES6_15HIP_vector_typeIjLj2EENS0_17counting_iteratorIjlEEPS9_SG_NS0_5tupleIJPjSI_NS0_16reverse_iteratorISI_EEEEENSH_IJSG_SG_SG_EEES9_SI_JZNS1_25segmented_radix_sort_implINS0_14default_configELb0EPKiPiPKlPlN2at6native12_GLOBAL__N_18offset_tEEE10hipError_tPvRmT1_PNSt15iterator_traitsIS12_E10value_typeET2_T3_PNS13_IS18_E10value_typeET4_jRbjT5_S1E_jjP12ihipStream_tbEUljE_ZNSN_ISO_Lb0ESQ_SR_ST_SU_SY_EESZ_S10_S11_S12_S16_S17_S18_S1B_S1C_jS1D_jS1E_S1E_jjS1G_bEUljE0_EEESZ_S10_S11_S18_S1C_S1E_T6_T7_T9_mT8_S1G_bDpT10_ENKUlT_T0_E_clISt17integral_constantIbLb1EES1T_IbLb0EEEEDaS1P_S1Q_EUlS1P_E_NS1_11comp_targetILNS1_3genE0ELNS1_11target_archE4294967295ELNS1_3gpuE0ELNS1_3repE0EEENS1_30default_config_static_selectorELNS0_4arch9wavefront6targetE0EEEvS12_.has_dyn_sized_stack, 0
	.set _ZN7rocprim17ROCPRIM_400000_NS6detail17trampoline_kernelINS0_13select_configILj256ELj13ELNS0_17block_load_methodE3ELS4_3ELS4_3ELNS0_20block_scan_algorithmE0ELj4294967295EEENS1_25partition_config_selectorILNS1_17partition_subalgoE4EjNS0_10empty_typeEbEEZZNS1_14partition_implILS8_4ELb0ES6_15HIP_vector_typeIjLj2EENS0_17counting_iteratorIjlEEPS9_SG_NS0_5tupleIJPjSI_NS0_16reverse_iteratorISI_EEEEENSH_IJSG_SG_SG_EEES9_SI_JZNS1_25segmented_radix_sort_implINS0_14default_configELb0EPKiPiPKlPlN2at6native12_GLOBAL__N_18offset_tEEE10hipError_tPvRmT1_PNSt15iterator_traitsIS12_E10value_typeET2_T3_PNS13_IS18_E10value_typeET4_jRbjT5_S1E_jjP12ihipStream_tbEUljE_ZNSN_ISO_Lb0ESQ_SR_ST_SU_SY_EESZ_S10_S11_S12_S16_S17_S18_S1B_S1C_jS1D_jS1E_S1E_jjS1G_bEUljE0_EEESZ_S10_S11_S18_S1C_S1E_T6_T7_T9_mT8_S1G_bDpT10_ENKUlT_T0_E_clISt17integral_constantIbLb1EES1T_IbLb0EEEEDaS1P_S1Q_EUlS1P_E_NS1_11comp_targetILNS1_3genE0ELNS1_11target_archE4294967295ELNS1_3gpuE0ELNS1_3repE0EEENS1_30default_config_static_selectorELNS0_4arch9wavefront6targetE0EEEvS12_.has_recursion, 0
	.set _ZN7rocprim17ROCPRIM_400000_NS6detail17trampoline_kernelINS0_13select_configILj256ELj13ELNS0_17block_load_methodE3ELS4_3ELS4_3ELNS0_20block_scan_algorithmE0ELj4294967295EEENS1_25partition_config_selectorILNS1_17partition_subalgoE4EjNS0_10empty_typeEbEEZZNS1_14partition_implILS8_4ELb0ES6_15HIP_vector_typeIjLj2EENS0_17counting_iteratorIjlEEPS9_SG_NS0_5tupleIJPjSI_NS0_16reverse_iteratorISI_EEEEENSH_IJSG_SG_SG_EEES9_SI_JZNS1_25segmented_radix_sort_implINS0_14default_configELb0EPKiPiPKlPlN2at6native12_GLOBAL__N_18offset_tEEE10hipError_tPvRmT1_PNSt15iterator_traitsIS12_E10value_typeET2_T3_PNS13_IS18_E10value_typeET4_jRbjT5_S1E_jjP12ihipStream_tbEUljE_ZNSN_ISO_Lb0ESQ_SR_ST_SU_SY_EESZ_S10_S11_S12_S16_S17_S18_S1B_S1C_jS1D_jS1E_S1E_jjS1G_bEUljE0_EEESZ_S10_S11_S18_S1C_S1E_T6_T7_T9_mT8_S1G_bDpT10_ENKUlT_T0_E_clISt17integral_constantIbLb1EES1T_IbLb0EEEEDaS1P_S1Q_EUlS1P_E_NS1_11comp_targetILNS1_3genE0ELNS1_11target_archE4294967295ELNS1_3gpuE0ELNS1_3repE0EEENS1_30default_config_static_selectorELNS0_4arch9wavefront6targetE0EEEvS12_.has_indirect_call, 0
	.section	.AMDGPU.csdata,"",@progbits
; Kernel info:
; codeLenInByte = 0
; TotalNumSgprs: 0
; NumVgprs: 0
; ScratchSize: 0
; MemoryBound: 0
; FloatMode: 240
; IeeeMode: 1
; LDSByteSize: 0 bytes/workgroup (compile time only)
; SGPRBlocks: 0
; VGPRBlocks: 0
; NumSGPRsForWavesPerEU: 1
; NumVGPRsForWavesPerEU: 1
; Occupancy: 16
; WaveLimiterHint : 0
; COMPUTE_PGM_RSRC2:SCRATCH_EN: 0
; COMPUTE_PGM_RSRC2:USER_SGPR: 2
; COMPUTE_PGM_RSRC2:TRAP_HANDLER: 0
; COMPUTE_PGM_RSRC2:TGID_X_EN: 1
; COMPUTE_PGM_RSRC2:TGID_Y_EN: 0
; COMPUTE_PGM_RSRC2:TGID_Z_EN: 0
; COMPUTE_PGM_RSRC2:TIDIG_COMP_CNT: 0
	.section	.text._ZN7rocprim17ROCPRIM_400000_NS6detail17trampoline_kernelINS0_13select_configILj256ELj13ELNS0_17block_load_methodE3ELS4_3ELS4_3ELNS0_20block_scan_algorithmE0ELj4294967295EEENS1_25partition_config_selectorILNS1_17partition_subalgoE4EjNS0_10empty_typeEbEEZZNS1_14partition_implILS8_4ELb0ES6_15HIP_vector_typeIjLj2EENS0_17counting_iteratorIjlEEPS9_SG_NS0_5tupleIJPjSI_NS0_16reverse_iteratorISI_EEEEENSH_IJSG_SG_SG_EEES9_SI_JZNS1_25segmented_radix_sort_implINS0_14default_configELb0EPKiPiPKlPlN2at6native12_GLOBAL__N_18offset_tEEE10hipError_tPvRmT1_PNSt15iterator_traitsIS12_E10value_typeET2_T3_PNS13_IS18_E10value_typeET4_jRbjT5_S1E_jjP12ihipStream_tbEUljE_ZNSN_ISO_Lb0ESQ_SR_ST_SU_SY_EESZ_S10_S11_S12_S16_S17_S18_S1B_S1C_jS1D_jS1E_S1E_jjS1G_bEUljE0_EEESZ_S10_S11_S18_S1C_S1E_T6_T7_T9_mT8_S1G_bDpT10_ENKUlT_T0_E_clISt17integral_constantIbLb1EES1T_IbLb0EEEEDaS1P_S1Q_EUlS1P_E_NS1_11comp_targetILNS1_3genE5ELNS1_11target_archE942ELNS1_3gpuE9ELNS1_3repE0EEENS1_30default_config_static_selectorELNS0_4arch9wavefront6targetE0EEEvS12_,"axG",@progbits,_ZN7rocprim17ROCPRIM_400000_NS6detail17trampoline_kernelINS0_13select_configILj256ELj13ELNS0_17block_load_methodE3ELS4_3ELS4_3ELNS0_20block_scan_algorithmE0ELj4294967295EEENS1_25partition_config_selectorILNS1_17partition_subalgoE4EjNS0_10empty_typeEbEEZZNS1_14partition_implILS8_4ELb0ES6_15HIP_vector_typeIjLj2EENS0_17counting_iteratorIjlEEPS9_SG_NS0_5tupleIJPjSI_NS0_16reverse_iteratorISI_EEEEENSH_IJSG_SG_SG_EEES9_SI_JZNS1_25segmented_radix_sort_implINS0_14default_configELb0EPKiPiPKlPlN2at6native12_GLOBAL__N_18offset_tEEE10hipError_tPvRmT1_PNSt15iterator_traitsIS12_E10value_typeET2_T3_PNS13_IS18_E10value_typeET4_jRbjT5_S1E_jjP12ihipStream_tbEUljE_ZNSN_ISO_Lb0ESQ_SR_ST_SU_SY_EESZ_S10_S11_S12_S16_S17_S18_S1B_S1C_jS1D_jS1E_S1E_jjS1G_bEUljE0_EEESZ_S10_S11_S18_S1C_S1E_T6_T7_T9_mT8_S1G_bDpT10_ENKUlT_T0_E_clISt17integral_constantIbLb1EES1T_IbLb0EEEEDaS1P_S1Q_EUlS1P_E_NS1_11comp_targetILNS1_3genE5ELNS1_11target_archE942ELNS1_3gpuE9ELNS1_3repE0EEENS1_30default_config_static_selectorELNS0_4arch9wavefront6targetE0EEEvS12_,comdat
	.globl	_ZN7rocprim17ROCPRIM_400000_NS6detail17trampoline_kernelINS0_13select_configILj256ELj13ELNS0_17block_load_methodE3ELS4_3ELS4_3ELNS0_20block_scan_algorithmE0ELj4294967295EEENS1_25partition_config_selectorILNS1_17partition_subalgoE4EjNS0_10empty_typeEbEEZZNS1_14partition_implILS8_4ELb0ES6_15HIP_vector_typeIjLj2EENS0_17counting_iteratorIjlEEPS9_SG_NS0_5tupleIJPjSI_NS0_16reverse_iteratorISI_EEEEENSH_IJSG_SG_SG_EEES9_SI_JZNS1_25segmented_radix_sort_implINS0_14default_configELb0EPKiPiPKlPlN2at6native12_GLOBAL__N_18offset_tEEE10hipError_tPvRmT1_PNSt15iterator_traitsIS12_E10value_typeET2_T3_PNS13_IS18_E10value_typeET4_jRbjT5_S1E_jjP12ihipStream_tbEUljE_ZNSN_ISO_Lb0ESQ_SR_ST_SU_SY_EESZ_S10_S11_S12_S16_S17_S18_S1B_S1C_jS1D_jS1E_S1E_jjS1G_bEUljE0_EEESZ_S10_S11_S18_S1C_S1E_T6_T7_T9_mT8_S1G_bDpT10_ENKUlT_T0_E_clISt17integral_constantIbLb1EES1T_IbLb0EEEEDaS1P_S1Q_EUlS1P_E_NS1_11comp_targetILNS1_3genE5ELNS1_11target_archE942ELNS1_3gpuE9ELNS1_3repE0EEENS1_30default_config_static_selectorELNS0_4arch9wavefront6targetE0EEEvS12_ ; -- Begin function _ZN7rocprim17ROCPRIM_400000_NS6detail17trampoline_kernelINS0_13select_configILj256ELj13ELNS0_17block_load_methodE3ELS4_3ELS4_3ELNS0_20block_scan_algorithmE0ELj4294967295EEENS1_25partition_config_selectorILNS1_17partition_subalgoE4EjNS0_10empty_typeEbEEZZNS1_14partition_implILS8_4ELb0ES6_15HIP_vector_typeIjLj2EENS0_17counting_iteratorIjlEEPS9_SG_NS0_5tupleIJPjSI_NS0_16reverse_iteratorISI_EEEEENSH_IJSG_SG_SG_EEES9_SI_JZNS1_25segmented_radix_sort_implINS0_14default_configELb0EPKiPiPKlPlN2at6native12_GLOBAL__N_18offset_tEEE10hipError_tPvRmT1_PNSt15iterator_traitsIS12_E10value_typeET2_T3_PNS13_IS18_E10value_typeET4_jRbjT5_S1E_jjP12ihipStream_tbEUljE_ZNSN_ISO_Lb0ESQ_SR_ST_SU_SY_EESZ_S10_S11_S12_S16_S17_S18_S1B_S1C_jS1D_jS1E_S1E_jjS1G_bEUljE0_EEESZ_S10_S11_S18_S1C_S1E_T6_T7_T9_mT8_S1G_bDpT10_ENKUlT_T0_E_clISt17integral_constantIbLb1EES1T_IbLb0EEEEDaS1P_S1Q_EUlS1P_E_NS1_11comp_targetILNS1_3genE5ELNS1_11target_archE942ELNS1_3gpuE9ELNS1_3repE0EEENS1_30default_config_static_selectorELNS0_4arch9wavefront6targetE0EEEvS12_
	.p2align	8
	.type	_ZN7rocprim17ROCPRIM_400000_NS6detail17trampoline_kernelINS0_13select_configILj256ELj13ELNS0_17block_load_methodE3ELS4_3ELS4_3ELNS0_20block_scan_algorithmE0ELj4294967295EEENS1_25partition_config_selectorILNS1_17partition_subalgoE4EjNS0_10empty_typeEbEEZZNS1_14partition_implILS8_4ELb0ES6_15HIP_vector_typeIjLj2EENS0_17counting_iteratorIjlEEPS9_SG_NS0_5tupleIJPjSI_NS0_16reverse_iteratorISI_EEEEENSH_IJSG_SG_SG_EEES9_SI_JZNS1_25segmented_radix_sort_implINS0_14default_configELb0EPKiPiPKlPlN2at6native12_GLOBAL__N_18offset_tEEE10hipError_tPvRmT1_PNSt15iterator_traitsIS12_E10value_typeET2_T3_PNS13_IS18_E10value_typeET4_jRbjT5_S1E_jjP12ihipStream_tbEUljE_ZNSN_ISO_Lb0ESQ_SR_ST_SU_SY_EESZ_S10_S11_S12_S16_S17_S18_S1B_S1C_jS1D_jS1E_S1E_jjS1G_bEUljE0_EEESZ_S10_S11_S18_S1C_S1E_T6_T7_T9_mT8_S1G_bDpT10_ENKUlT_T0_E_clISt17integral_constantIbLb1EES1T_IbLb0EEEEDaS1P_S1Q_EUlS1P_E_NS1_11comp_targetILNS1_3genE5ELNS1_11target_archE942ELNS1_3gpuE9ELNS1_3repE0EEENS1_30default_config_static_selectorELNS0_4arch9wavefront6targetE0EEEvS12_,@function
_ZN7rocprim17ROCPRIM_400000_NS6detail17trampoline_kernelINS0_13select_configILj256ELj13ELNS0_17block_load_methodE3ELS4_3ELS4_3ELNS0_20block_scan_algorithmE0ELj4294967295EEENS1_25partition_config_selectorILNS1_17partition_subalgoE4EjNS0_10empty_typeEbEEZZNS1_14partition_implILS8_4ELb0ES6_15HIP_vector_typeIjLj2EENS0_17counting_iteratorIjlEEPS9_SG_NS0_5tupleIJPjSI_NS0_16reverse_iteratorISI_EEEEENSH_IJSG_SG_SG_EEES9_SI_JZNS1_25segmented_radix_sort_implINS0_14default_configELb0EPKiPiPKlPlN2at6native12_GLOBAL__N_18offset_tEEE10hipError_tPvRmT1_PNSt15iterator_traitsIS12_E10value_typeET2_T3_PNS13_IS18_E10value_typeET4_jRbjT5_S1E_jjP12ihipStream_tbEUljE_ZNSN_ISO_Lb0ESQ_SR_ST_SU_SY_EESZ_S10_S11_S12_S16_S17_S18_S1B_S1C_jS1D_jS1E_S1E_jjS1G_bEUljE0_EEESZ_S10_S11_S18_S1C_S1E_T6_T7_T9_mT8_S1G_bDpT10_ENKUlT_T0_E_clISt17integral_constantIbLb1EES1T_IbLb0EEEEDaS1P_S1Q_EUlS1P_E_NS1_11comp_targetILNS1_3genE5ELNS1_11target_archE942ELNS1_3gpuE9ELNS1_3repE0EEENS1_30default_config_static_selectorELNS0_4arch9wavefront6targetE0EEEvS12_: ; @_ZN7rocprim17ROCPRIM_400000_NS6detail17trampoline_kernelINS0_13select_configILj256ELj13ELNS0_17block_load_methodE3ELS4_3ELS4_3ELNS0_20block_scan_algorithmE0ELj4294967295EEENS1_25partition_config_selectorILNS1_17partition_subalgoE4EjNS0_10empty_typeEbEEZZNS1_14partition_implILS8_4ELb0ES6_15HIP_vector_typeIjLj2EENS0_17counting_iteratorIjlEEPS9_SG_NS0_5tupleIJPjSI_NS0_16reverse_iteratorISI_EEEEENSH_IJSG_SG_SG_EEES9_SI_JZNS1_25segmented_radix_sort_implINS0_14default_configELb0EPKiPiPKlPlN2at6native12_GLOBAL__N_18offset_tEEE10hipError_tPvRmT1_PNSt15iterator_traitsIS12_E10value_typeET2_T3_PNS13_IS18_E10value_typeET4_jRbjT5_S1E_jjP12ihipStream_tbEUljE_ZNSN_ISO_Lb0ESQ_SR_ST_SU_SY_EESZ_S10_S11_S12_S16_S17_S18_S1B_S1C_jS1D_jS1E_S1E_jjS1G_bEUljE0_EEESZ_S10_S11_S18_S1C_S1E_T6_T7_T9_mT8_S1G_bDpT10_ENKUlT_T0_E_clISt17integral_constantIbLb1EES1T_IbLb0EEEEDaS1P_S1Q_EUlS1P_E_NS1_11comp_targetILNS1_3genE5ELNS1_11target_archE942ELNS1_3gpuE9ELNS1_3repE0EEENS1_30default_config_static_selectorELNS0_4arch9wavefront6targetE0EEEvS12_
; %bb.0:
	.section	.rodata,"a",@progbits
	.p2align	6, 0x0
	.amdhsa_kernel _ZN7rocprim17ROCPRIM_400000_NS6detail17trampoline_kernelINS0_13select_configILj256ELj13ELNS0_17block_load_methodE3ELS4_3ELS4_3ELNS0_20block_scan_algorithmE0ELj4294967295EEENS1_25partition_config_selectorILNS1_17partition_subalgoE4EjNS0_10empty_typeEbEEZZNS1_14partition_implILS8_4ELb0ES6_15HIP_vector_typeIjLj2EENS0_17counting_iteratorIjlEEPS9_SG_NS0_5tupleIJPjSI_NS0_16reverse_iteratorISI_EEEEENSH_IJSG_SG_SG_EEES9_SI_JZNS1_25segmented_radix_sort_implINS0_14default_configELb0EPKiPiPKlPlN2at6native12_GLOBAL__N_18offset_tEEE10hipError_tPvRmT1_PNSt15iterator_traitsIS12_E10value_typeET2_T3_PNS13_IS18_E10value_typeET4_jRbjT5_S1E_jjP12ihipStream_tbEUljE_ZNSN_ISO_Lb0ESQ_SR_ST_SU_SY_EESZ_S10_S11_S12_S16_S17_S18_S1B_S1C_jS1D_jS1E_S1E_jjS1G_bEUljE0_EEESZ_S10_S11_S18_S1C_S1E_T6_T7_T9_mT8_S1G_bDpT10_ENKUlT_T0_E_clISt17integral_constantIbLb1EES1T_IbLb0EEEEDaS1P_S1Q_EUlS1P_E_NS1_11comp_targetILNS1_3genE5ELNS1_11target_archE942ELNS1_3gpuE9ELNS1_3repE0EEENS1_30default_config_static_selectorELNS0_4arch9wavefront6targetE0EEEvS12_
		.amdhsa_group_segment_fixed_size 0
		.amdhsa_private_segment_fixed_size 0
		.amdhsa_kernarg_size 176
		.amdhsa_user_sgpr_count 2
		.amdhsa_user_sgpr_dispatch_ptr 0
		.amdhsa_user_sgpr_queue_ptr 0
		.amdhsa_user_sgpr_kernarg_segment_ptr 1
		.amdhsa_user_sgpr_dispatch_id 0
		.amdhsa_user_sgpr_private_segment_size 0
		.amdhsa_wavefront_size32 1
		.amdhsa_uses_dynamic_stack 0
		.amdhsa_enable_private_segment 0
		.amdhsa_system_sgpr_workgroup_id_x 1
		.amdhsa_system_sgpr_workgroup_id_y 0
		.amdhsa_system_sgpr_workgroup_id_z 0
		.amdhsa_system_sgpr_workgroup_info 0
		.amdhsa_system_vgpr_workitem_id 0
		.amdhsa_next_free_vgpr 1
		.amdhsa_next_free_sgpr 1
		.amdhsa_reserve_vcc 0
		.amdhsa_float_round_mode_32 0
		.amdhsa_float_round_mode_16_64 0
		.amdhsa_float_denorm_mode_32 3
		.amdhsa_float_denorm_mode_16_64 3
		.amdhsa_fp16_overflow 0
		.amdhsa_workgroup_processor_mode 1
		.amdhsa_memory_ordered 1
		.amdhsa_forward_progress 1
		.amdhsa_inst_pref_size 0
		.amdhsa_round_robin_scheduling 0
		.amdhsa_exception_fp_ieee_invalid_op 0
		.amdhsa_exception_fp_denorm_src 0
		.amdhsa_exception_fp_ieee_div_zero 0
		.amdhsa_exception_fp_ieee_overflow 0
		.amdhsa_exception_fp_ieee_underflow 0
		.amdhsa_exception_fp_ieee_inexact 0
		.amdhsa_exception_int_div_zero 0
	.end_amdhsa_kernel
	.section	.text._ZN7rocprim17ROCPRIM_400000_NS6detail17trampoline_kernelINS0_13select_configILj256ELj13ELNS0_17block_load_methodE3ELS4_3ELS4_3ELNS0_20block_scan_algorithmE0ELj4294967295EEENS1_25partition_config_selectorILNS1_17partition_subalgoE4EjNS0_10empty_typeEbEEZZNS1_14partition_implILS8_4ELb0ES6_15HIP_vector_typeIjLj2EENS0_17counting_iteratorIjlEEPS9_SG_NS0_5tupleIJPjSI_NS0_16reverse_iteratorISI_EEEEENSH_IJSG_SG_SG_EEES9_SI_JZNS1_25segmented_radix_sort_implINS0_14default_configELb0EPKiPiPKlPlN2at6native12_GLOBAL__N_18offset_tEEE10hipError_tPvRmT1_PNSt15iterator_traitsIS12_E10value_typeET2_T3_PNS13_IS18_E10value_typeET4_jRbjT5_S1E_jjP12ihipStream_tbEUljE_ZNSN_ISO_Lb0ESQ_SR_ST_SU_SY_EESZ_S10_S11_S12_S16_S17_S18_S1B_S1C_jS1D_jS1E_S1E_jjS1G_bEUljE0_EEESZ_S10_S11_S18_S1C_S1E_T6_T7_T9_mT8_S1G_bDpT10_ENKUlT_T0_E_clISt17integral_constantIbLb1EES1T_IbLb0EEEEDaS1P_S1Q_EUlS1P_E_NS1_11comp_targetILNS1_3genE5ELNS1_11target_archE942ELNS1_3gpuE9ELNS1_3repE0EEENS1_30default_config_static_selectorELNS0_4arch9wavefront6targetE0EEEvS12_,"axG",@progbits,_ZN7rocprim17ROCPRIM_400000_NS6detail17trampoline_kernelINS0_13select_configILj256ELj13ELNS0_17block_load_methodE3ELS4_3ELS4_3ELNS0_20block_scan_algorithmE0ELj4294967295EEENS1_25partition_config_selectorILNS1_17partition_subalgoE4EjNS0_10empty_typeEbEEZZNS1_14partition_implILS8_4ELb0ES6_15HIP_vector_typeIjLj2EENS0_17counting_iteratorIjlEEPS9_SG_NS0_5tupleIJPjSI_NS0_16reverse_iteratorISI_EEEEENSH_IJSG_SG_SG_EEES9_SI_JZNS1_25segmented_radix_sort_implINS0_14default_configELb0EPKiPiPKlPlN2at6native12_GLOBAL__N_18offset_tEEE10hipError_tPvRmT1_PNSt15iterator_traitsIS12_E10value_typeET2_T3_PNS13_IS18_E10value_typeET4_jRbjT5_S1E_jjP12ihipStream_tbEUljE_ZNSN_ISO_Lb0ESQ_SR_ST_SU_SY_EESZ_S10_S11_S12_S16_S17_S18_S1B_S1C_jS1D_jS1E_S1E_jjS1G_bEUljE0_EEESZ_S10_S11_S18_S1C_S1E_T6_T7_T9_mT8_S1G_bDpT10_ENKUlT_T0_E_clISt17integral_constantIbLb1EES1T_IbLb0EEEEDaS1P_S1Q_EUlS1P_E_NS1_11comp_targetILNS1_3genE5ELNS1_11target_archE942ELNS1_3gpuE9ELNS1_3repE0EEENS1_30default_config_static_selectorELNS0_4arch9wavefront6targetE0EEEvS12_,comdat
.Lfunc_end553:
	.size	_ZN7rocprim17ROCPRIM_400000_NS6detail17trampoline_kernelINS0_13select_configILj256ELj13ELNS0_17block_load_methodE3ELS4_3ELS4_3ELNS0_20block_scan_algorithmE0ELj4294967295EEENS1_25partition_config_selectorILNS1_17partition_subalgoE4EjNS0_10empty_typeEbEEZZNS1_14partition_implILS8_4ELb0ES6_15HIP_vector_typeIjLj2EENS0_17counting_iteratorIjlEEPS9_SG_NS0_5tupleIJPjSI_NS0_16reverse_iteratorISI_EEEEENSH_IJSG_SG_SG_EEES9_SI_JZNS1_25segmented_radix_sort_implINS0_14default_configELb0EPKiPiPKlPlN2at6native12_GLOBAL__N_18offset_tEEE10hipError_tPvRmT1_PNSt15iterator_traitsIS12_E10value_typeET2_T3_PNS13_IS18_E10value_typeET4_jRbjT5_S1E_jjP12ihipStream_tbEUljE_ZNSN_ISO_Lb0ESQ_SR_ST_SU_SY_EESZ_S10_S11_S12_S16_S17_S18_S1B_S1C_jS1D_jS1E_S1E_jjS1G_bEUljE0_EEESZ_S10_S11_S18_S1C_S1E_T6_T7_T9_mT8_S1G_bDpT10_ENKUlT_T0_E_clISt17integral_constantIbLb1EES1T_IbLb0EEEEDaS1P_S1Q_EUlS1P_E_NS1_11comp_targetILNS1_3genE5ELNS1_11target_archE942ELNS1_3gpuE9ELNS1_3repE0EEENS1_30default_config_static_selectorELNS0_4arch9wavefront6targetE0EEEvS12_, .Lfunc_end553-_ZN7rocprim17ROCPRIM_400000_NS6detail17trampoline_kernelINS0_13select_configILj256ELj13ELNS0_17block_load_methodE3ELS4_3ELS4_3ELNS0_20block_scan_algorithmE0ELj4294967295EEENS1_25partition_config_selectorILNS1_17partition_subalgoE4EjNS0_10empty_typeEbEEZZNS1_14partition_implILS8_4ELb0ES6_15HIP_vector_typeIjLj2EENS0_17counting_iteratorIjlEEPS9_SG_NS0_5tupleIJPjSI_NS0_16reverse_iteratorISI_EEEEENSH_IJSG_SG_SG_EEES9_SI_JZNS1_25segmented_radix_sort_implINS0_14default_configELb0EPKiPiPKlPlN2at6native12_GLOBAL__N_18offset_tEEE10hipError_tPvRmT1_PNSt15iterator_traitsIS12_E10value_typeET2_T3_PNS13_IS18_E10value_typeET4_jRbjT5_S1E_jjP12ihipStream_tbEUljE_ZNSN_ISO_Lb0ESQ_SR_ST_SU_SY_EESZ_S10_S11_S12_S16_S17_S18_S1B_S1C_jS1D_jS1E_S1E_jjS1G_bEUljE0_EEESZ_S10_S11_S18_S1C_S1E_T6_T7_T9_mT8_S1G_bDpT10_ENKUlT_T0_E_clISt17integral_constantIbLb1EES1T_IbLb0EEEEDaS1P_S1Q_EUlS1P_E_NS1_11comp_targetILNS1_3genE5ELNS1_11target_archE942ELNS1_3gpuE9ELNS1_3repE0EEENS1_30default_config_static_selectorELNS0_4arch9wavefront6targetE0EEEvS12_
                                        ; -- End function
	.set _ZN7rocprim17ROCPRIM_400000_NS6detail17trampoline_kernelINS0_13select_configILj256ELj13ELNS0_17block_load_methodE3ELS4_3ELS4_3ELNS0_20block_scan_algorithmE0ELj4294967295EEENS1_25partition_config_selectorILNS1_17partition_subalgoE4EjNS0_10empty_typeEbEEZZNS1_14partition_implILS8_4ELb0ES6_15HIP_vector_typeIjLj2EENS0_17counting_iteratorIjlEEPS9_SG_NS0_5tupleIJPjSI_NS0_16reverse_iteratorISI_EEEEENSH_IJSG_SG_SG_EEES9_SI_JZNS1_25segmented_radix_sort_implINS0_14default_configELb0EPKiPiPKlPlN2at6native12_GLOBAL__N_18offset_tEEE10hipError_tPvRmT1_PNSt15iterator_traitsIS12_E10value_typeET2_T3_PNS13_IS18_E10value_typeET4_jRbjT5_S1E_jjP12ihipStream_tbEUljE_ZNSN_ISO_Lb0ESQ_SR_ST_SU_SY_EESZ_S10_S11_S12_S16_S17_S18_S1B_S1C_jS1D_jS1E_S1E_jjS1G_bEUljE0_EEESZ_S10_S11_S18_S1C_S1E_T6_T7_T9_mT8_S1G_bDpT10_ENKUlT_T0_E_clISt17integral_constantIbLb1EES1T_IbLb0EEEEDaS1P_S1Q_EUlS1P_E_NS1_11comp_targetILNS1_3genE5ELNS1_11target_archE942ELNS1_3gpuE9ELNS1_3repE0EEENS1_30default_config_static_selectorELNS0_4arch9wavefront6targetE0EEEvS12_.num_vgpr, 0
	.set _ZN7rocprim17ROCPRIM_400000_NS6detail17trampoline_kernelINS0_13select_configILj256ELj13ELNS0_17block_load_methodE3ELS4_3ELS4_3ELNS0_20block_scan_algorithmE0ELj4294967295EEENS1_25partition_config_selectorILNS1_17partition_subalgoE4EjNS0_10empty_typeEbEEZZNS1_14partition_implILS8_4ELb0ES6_15HIP_vector_typeIjLj2EENS0_17counting_iteratorIjlEEPS9_SG_NS0_5tupleIJPjSI_NS0_16reverse_iteratorISI_EEEEENSH_IJSG_SG_SG_EEES9_SI_JZNS1_25segmented_radix_sort_implINS0_14default_configELb0EPKiPiPKlPlN2at6native12_GLOBAL__N_18offset_tEEE10hipError_tPvRmT1_PNSt15iterator_traitsIS12_E10value_typeET2_T3_PNS13_IS18_E10value_typeET4_jRbjT5_S1E_jjP12ihipStream_tbEUljE_ZNSN_ISO_Lb0ESQ_SR_ST_SU_SY_EESZ_S10_S11_S12_S16_S17_S18_S1B_S1C_jS1D_jS1E_S1E_jjS1G_bEUljE0_EEESZ_S10_S11_S18_S1C_S1E_T6_T7_T9_mT8_S1G_bDpT10_ENKUlT_T0_E_clISt17integral_constantIbLb1EES1T_IbLb0EEEEDaS1P_S1Q_EUlS1P_E_NS1_11comp_targetILNS1_3genE5ELNS1_11target_archE942ELNS1_3gpuE9ELNS1_3repE0EEENS1_30default_config_static_selectorELNS0_4arch9wavefront6targetE0EEEvS12_.num_agpr, 0
	.set _ZN7rocprim17ROCPRIM_400000_NS6detail17trampoline_kernelINS0_13select_configILj256ELj13ELNS0_17block_load_methodE3ELS4_3ELS4_3ELNS0_20block_scan_algorithmE0ELj4294967295EEENS1_25partition_config_selectorILNS1_17partition_subalgoE4EjNS0_10empty_typeEbEEZZNS1_14partition_implILS8_4ELb0ES6_15HIP_vector_typeIjLj2EENS0_17counting_iteratorIjlEEPS9_SG_NS0_5tupleIJPjSI_NS0_16reverse_iteratorISI_EEEEENSH_IJSG_SG_SG_EEES9_SI_JZNS1_25segmented_radix_sort_implINS0_14default_configELb0EPKiPiPKlPlN2at6native12_GLOBAL__N_18offset_tEEE10hipError_tPvRmT1_PNSt15iterator_traitsIS12_E10value_typeET2_T3_PNS13_IS18_E10value_typeET4_jRbjT5_S1E_jjP12ihipStream_tbEUljE_ZNSN_ISO_Lb0ESQ_SR_ST_SU_SY_EESZ_S10_S11_S12_S16_S17_S18_S1B_S1C_jS1D_jS1E_S1E_jjS1G_bEUljE0_EEESZ_S10_S11_S18_S1C_S1E_T6_T7_T9_mT8_S1G_bDpT10_ENKUlT_T0_E_clISt17integral_constantIbLb1EES1T_IbLb0EEEEDaS1P_S1Q_EUlS1P_E_NS1_11comp_targetILNS1_3genE5ELNS1_11target_archE942ELNS1_3gpuE9ELNS1_3repE0EEENS1_30default_config_static_selectorELNS0_4arch9wavefront6targetE0EEEvS12_.numbered_sgpr, 0
	.set _ZN7rocprim17ROCPRIM_400000_NS6detail17trampoline_kernelINS0_13select_configILj256ELj13ELNS0_17block_load_methodE3ELS4_3ELS4_3ELNS0_20block_scan_algorithmE0ELj4294967295EEENS1_25partition_config_selectorILNS1_17partition_subalgoE4EjNS0_10empty_typeEbEEZZNS1_14partition_implILS8_4ELb0ES6_15HIP_vector_typeIjLj2EENS0_17counting_iteratorIjlEEPS9_SG_NS0_5tupleIJPjSI_NS0_16reverse_iteratorISI_EEEEENSH_IJSG_SG_SG_EEES9_SI_JZNS1_25segmented_radix_sort_implINS0_14default_configELb0EPKiPiPKlPlN2at6native12_GLOBAL__N_18offset_tEEE10hipError_tPvRmT1_PNSt15iterator_traitsIS12_E10value_typeET2_T3_PNS13_IS18_E10value_typeET4_jRbjT5_S1E_jjP12ihipStream_tbEUljE_ZNSN_ISO_Lb0ESQ_SR_ST_SU_SY_EESZ_S10_S11_S12_S16_S17_S18_S1B_S1C_jS1D_jS1E_S1E_jjS1G_bEUljE0_EEESZ_S10_S11_S18_S1C_S1E_T6_T7_T9_mT8_S1G_bDpT10_ENKUlT_T0_E_clISt17integral_constantIbLb1EES1T_IbLb0EEEEDaS1P_S1Q_EUlS1P_E_NS1_11comp_targetILNS1_3genE5ELNS1_11target_archE942ELNS1_3gpuE9ELNS1_3repE0EEENS1_30default_config_static_selectorELNS0_4arch9wavefront6targetE0EEEvS12_.num_named_barrier, 0
	.set _ZN7rocprim17ROCPRIM_400000_NS6detail17trampoline_kernelINS0_13select_configILj256ELj13ELNS0_17block_load_methodE3ELS4_3ELS4_3ELNS0_20block_scan_algorithmE0ELj4294967295EEENS1_25partition_config_selectorILNS1_17partition_subalgoE4EjNS0_10empty_typeEbEEZZNS1_14partition_implILS8_4ELb0ES6_15HIP_vector_typeIjLj2EENS0_17counting_iteratorIjlEEPS9_SG_NS0_5tupleIJPjSI_NS0_16reverse_iteratorISI_EEEEENSH_IJSG_SG_SG_EEES9_SI_JZNS1_25segmented_radix_sort_implINS0_14default_configELb0EPKiPiPKlPlN2at6native12_GLOBAL__N_18offset_tEEE10hipError_tPvRmT1_PNSt15iterator_traitsIS12_E10value_typeET2_T3_PNS13_IS18_E10value_typeET4_jRbjT5_S1E_jjP12ihipStream_tbEUljE_ZNSN_ISO_Lb0ESQ_SR_ST_SU_SY_EESZ_S10_S11_S12_S16_S17_S18_S1B_S1C_jS1D_jS1E_S1E_jjS1G_bEUljE0_EEESZ_S10_S11_S18_S1C_S1E_T6_T7_T9_mT8_S1G_bDpT10_ENKUlT_T0_E_clISt17integral_constantIbLb1EES1T_IbLb0EEEEDaS1P_S1Q_EUlS1P_E_NS1_11comp_targetILNS1_3genE5ELNS1_11target_archE942ELNS1_3gpuE9ELNS1_3repE0EEENS1_30default_config_static_selectorELNS0_4arch9wavefront6targetE0EEEvS12_.private_seg_size, 0
	.set _ZN7rocprim17ROCPRIM_400000_NS6detail17trampoline_kernelINS0_13select_configILj256ELj13ELNS0_17block_load_methodE3ELS4_3ELS4_3ELNS0_20block_scan_algorithmE0ELj4294967295EEENS1_25partition_config_selectorILNS1_17partition_subalgoE4EjNS0_10empty_typeEbEEZZNS1_14partition_implILS8_4ELb0ES6_15HIP_vector_typeIjLj2EENS0_17counting_iteratorIjlEEPS9_SG_NS0_5tupleIJPjSI_NS0_16reverse_iteratorISI_EEEEENSH_IJSG_SG_SG_EEES9_SI_JZNS1_25segmented_radix_sort_implINS0_14default_configELb0EPKiPiPKlPlN2at6native12_GLOBAL__N_18offset_tEEE10hipError_tPvRmT1_PNSt15iterator_traitsIS12_E10value_typeET2_T3_PNS13_IS18_E10value_typeET4_jRbjT5_S1E_jjP12ihipStream_tbEUljE_ZNSN_ISO_Lb0ESQ_SR_ST_SU_SY_EESZ_S10_S11_S12_S16_S17_S18_S1B_S1C_jS1D_jS1E_S1E_jjS1G_bEUljE0_EEESZ_S10_S11_S18_S1C_S1E_T6_T7_T9_mT8_S1G_bDpT10_ENKUlT_T0_E_clISt17integral_constantIbLb1EES1T_IbLb0EEEEDaS1P_S1Q_EUlS1P_E_NS1_11comp_targetILNS1_3genE5ELNS1_11target_archE942ELNS1_3gpuE9ELNS1_3repE0EEENS1_30default_config_static_selectorELNS0_4arch9wavefront6targetE0EEEvS12_.uses_vcc, 0
	.set _ZN7rocprim17ROCPRIM_400000_NS6detail17trampoline_kernelINS0_13select_configILj256ELj13ELNS0_17block_load_methodE3ELS4_3ELS4_3ELNS0_20block_scan_algorithmE0ELj4294967295EEENS1_25partition_config_selectorILNS1_17partition_subalgoE4EjNS0_10empty_typeEbEEZZNS1_14partition_implILS8_4ELb0ES6_15HIP_vector_typeIjLj2EENS0_17counting_iteratorIjlEEPS9_SG_NS0_5tupleIJPjSI_NS0_16reverse_iteratorISI_EEEEENSH_IJSG_SG_SG_EEES9_SI_JZNS1_25segmented_radix_sort_implINS0_14default_configELb0EPKiPiPKlPlN2at6native12_GLOBAL__N_18offset_tEEE10hipError_tPvRmT1_PNSt15iterator_traitsIS12_E10value_typeET2_T3_PNS13_IS18_E10value_typeET4_jRbjT5_S1E_jjP12ihipStream_tbEUljE_ZNSN_ISO_Lb0ESQ_SR_ST_SU_SY_EESZ_S10_S11_S12_S16_S17_S18_S1B_S1C_jS1D_jS1E_S1E_jjS1G_bEUljE0_EEESZ_S10_S11_S18_S1C_S1E_T6_T7_T9_mT8_S1G_bDpT10_ENKUlT_T0_E_clISt17integral_constantIbLb1EES1T_IbLb0EEEEDaS1P_S1Q_EUlS1P_E_NS1_11comp_targetILNS1_3genE5ELNS1_11target_archE942ELNS1_3gpuE9ELNS1_3repE0EEENS1_30default_config_static_selectorELNS0_4arch9wavefront6targetE0EEEvS12_.uses_flat_scratch, 0
	.set _ZN7rocprim17ROCPRIM_400000_NS6detail17trampoline_kernelINS0_13select_configILj256ELj13ELNS0_17block_load_methodE3ELS4_3ELS4_3ELNS0_20block_scan_algorithmE0ELj4294967295EEENS1_25partition_config_selectorILNS1_17partition_subalgoE4EjNS0_10empty_typeEbEEZZNS1_14partition_implILS8_4ELb0ES6_15HIP_vector_typeIjLj2EENS0_17counting_iteratorIjlEEPS9_SG_NS0_5tupleIJPjSI_NS0_16reverse_iteratorISI_EEEEENSH_IJSG_SG_SG_EEES9_SI_JZNS1_25segmented_radix_sort_implINS0_14default_configELb0EPKiPiPKlPlN2at6native12_GLOBAL__N_18offset_tEEE10hipError_tPvRmT1_PNSt15iterator_traitsIS12_E10value_typeET2_T3_PNS13_IS18_E10value_typeET4_jRbjT5_S1E_jjP12ihipStream_tbEUljE_ZNSN_ISO_Lb0ESQ_SR_ST_SU_SY_EESZ_S10_S11_S12_S16_S17_S18_S1B_S1C_jS1D_jS1E_S1E_jjS1G_bEUljE0_EEESZ_S10_S11_S18_S1C_S1E_T6_T7_T9_mT8_S1G_bDpT10_ENKUlT_T0_E_clISt17integral_constantIbLb1EES1T_IbLb0EEEEDaS1P_S1Q_EUlS1P_E_NS1_11comp_targetILNS1_3genE5ELNS1_11target_archE942ELNS1_3gpuE9ELNS1_3repE0EEENS1_30default_config_static_selectorELNS0_4arch9wavefront6targetE0EEEvS12_.has_dyn_sized_stack, 0
	.set _ZN7rocprim17ROCPRIM_400000_NS6detail17trampoline_kernelINS0_13select_configILj256ELj13ELNS0_17block_load_methodE3ELS4_3ELS4_3ELNS0_20block_scan_algorithmE0ELj4294967295EEENS1_25partition_config_selectorILNS1_17partition_subalgoE4EjNS0_10empty_typeEbEEZZNS1_14partition_implILS8_4ELb0ES6_15HIP_vector_typeIjLj2EENS0_17counting_iteratorIjlEEPS9_SG_NS0_5tupleIJPjSI_NS0_16reverse_iteratorISI_EEEEENSH_IJSG_SG_SG_EEES9_SI_JZNS1_25segmented_radix_sort_implINS0_14default_configELb0EPKiPiPKlPlN2at6native12_GLOBAL__N_18offset_tEEE10hipError_tPvRmT1_PNSt15iterator_traitsIS12_E10value_typeET2_T3_PNS13_IS18_E10value_typeET4_jRbjT5_S1E_jjP12ihipStream_tbEUljE_ZNSN_ISO_Lb0ESQ_SR_ST_SU_SY_EESZ_S10_S11_S12_S16_S17_S18_S1B_S1C_jS1D_jS1E_S1E_jjS1G_bEUljE0_EEESZ_S10_S11_S18_S1C_S1E_T6_T7_T9_mT8_S1G_bDpT10_ENKUlT_T0_E_clISt17integral_constantIbLb1EES1T_IbLb0EEEEDaS1P_S1Q_EUlS1P_E_NS1_11comp_targetILNS1_3genE5ELNS1_11target_archE942ELNS1_3gpuE9ELNS1_3repE0EEENS1_30default_config_static_selectorELNS0_4arch9wavefront6targetE0EEEvS12_.has_recursion, 0
	.set _ZN7rocprim17ROCPRIM_400000_NS6detail17trampoline_kernelINS0_13select_configILj256ELj13ELNS0_17block_load_methodE3ELS4_3ELS4_3ELNS0_20block_scan_algorithmE0ELj4294967295EEENS1_25partition_config_selectorILNS1_17partition_subalgoE4EjNS0_10empty_typeEbEEZZNS1_14partition_implILS8_4ELb0ES6_15HIP_vector_typeIjLj2EENS0_17counting_iteratorIjlEEPS9_SG_NS0_5tupleIJPjSI_NS0_16reverse_iteratorISI_EEEEENSH_IJSG_SG_SG_EEES9_SI_JZNS1_25segmented_radix_sort_implINS0_14default_configELb0EPKiPiPKlPlN2at6native12_GLOBAL__N_18offset_tEEE10hipError_tPvRmT1_PNSt15iterator_traitsIS12_E10value_typeET2_T3_PNS13_IS18_E10value_typeET4_jRbjT5_S1E_jjP12ihipStream_tbEUljE_ZNSN_ISO_Lb0ESQ_SR_ST_SU_SY_EESZ_S10_S11_S12_S16_S17_S18_S1B_S1C_jS1D_jS1E_S1E_jjS1G_bEUljE0_EEESZ_S10_S11_S18_S1C_S1E_T6_T7_T9_mT8_S1G_bDpT10_ENKUlT_T0_E_clISt17integral_constantIbLb1EES1T_IbLb0EEEEDaS1P_S1Q_EUlS1P_E_NS1_11comp_targetILNS1_3genE5ELNS1_11target_archE942ELNS1_3gpuE9ELNS1_3repE0EEENS1_30default_config_static_selectorELNS0_4arch9wavefront6targetE0EEEvS12_.has_indirect_call, 0
	.section	.AMDGPU.csdata,"",@progbits
; Kernel info:
; codeLenInByte = 0
; TotalNumSgprs: 0
; NumVgprs: 0
; ScratchSize: 0
; MemoryBound: 0
; FloatMode: 240
; IeeeMode: 1
; LDSByteSize: 0 bytes/workgroup (compile time only)
; SGPRBlocks: 0
; VGPRBlocks: 0
; NumSGPRsForWavesPerEU: 1
; NumVGPRsForWavesPerEU: 1
; Occupancy: 16
; WaveLimiterHint : 0
; COMPUTE_PGM_RSRC2:SCRATCH_EN: 0
; COMPUTE_PGM_RSRC2:USER_SGPR: 2
; COMPUTE_PGM_RSRC2:TRAP_HANDLER: 0
; COMPUTE_PGM_RSRC2:TGID_X_EN: 1
; COMPUTE_PGM_RSRC2:TGID_Y_EN: 0
; COMPUTE_PGM_RSRC2:TGID_Z_EN: 0
; COMPUTE_PGM_RSRC2:TIDIG_COMP_CNT: 0
	.section	.text._ZN7rocprim17ROCPRIM_400000_NS6detail17trampoline_kernelINS0_13select_configILj256ELj13ELNS0_17block_load_methodE3ELS4_3ELS4_3ELNS0_20block_scan_algorithmE0ELj4294967295EEENS1_25partition_config_selectorILNS1_17partition_subalgoE4EjNS0_10empty_typeEbEEZZNS1_14partition_implILS8_4ELb0ES6_15HIP_vector_typeIjLj2EENS0_17counting_iteratorIjlEEPS9_SG_NS0_5tupleIJPjSI_NS0_16reverse_iteratorISI_EEEEENSH_IJSG_SG_SG_EEES9_SI_JZNS1_25segmented_radix_sort_implINS0_14default_configELb0EPKiPiPKlPlN2at6native12_GLOBAL__N_18offset_tEEE10hipError_tPvRmT1_PNSt15iterator_traitsIS12_E10value_typeET2_T3_PNS13_IS18_E10value_typeET4_jRbjT5_S1E_jjP12ihipStream_tbEUljE_ZNSN_ISO_Lb0ESQ_SR_ST_SU_SY_EESZ_S10_S11_S12_S16_S17_S18_S1B_S1C_jS1D_jS1E_S1E_jjS1G_bEUljE0_EEESZ_S10_S11_S18_S1C_S1E_T6_T7_T9_mT8_S1G_bDpT10_ENKUlT_T0_E_clISt17integral_constantIbLb1EES1T_IbLb0EEEEDaS1P_S1Q_EUlS1P_E_NS1_11comp_targetILNS1_3genE4ELNS1_11target_archE910ELNS1_3gpuE8ELNS1_3repE0EEENS1_30default_config_static_selectorELNS0_4arch9wavefront6targetE0EEEvS12_,"axG",@progbits,_ZN7rocprim17ROCPRIM_400000_NS6detail17trampoline_kernelINS0_13select_configILj256ELj13ELNS0_17block_load_methodE3ELS4_3ELS4_3ELNS0_20block_scan_algorithmE0ELj4294967295EEENS1_25partition_config_selectorILNS1_17partition_subalgoE4EjNS0_10empty_typeEbEEZZNS1_14partition_implILS8_4ELb0ES6_15HIP_vector_typeIjLj2EENS0_17counting_iteratorIjlEEPS9_SG_NS0_5tupleIJPjSI_NS0_16reverse_iteratorISI_EEEEENSH_IJSG_SG_SG_EEES9_SI_JZNS1_25segmented_radix_sort_implINS0_14default_configELb0EPKiPiPKlPlN2at6native12_GLOBAL__N_18offset_tEEE10hipError_tPvRmT1_PNSt15iterator_traitsIS12_E10value_typeET2_T3_PNS13_IS18_E10value_typeET4_jRbjT5_S1E_jjP12ihipStream_tbEUljE_ZNSN_ISO_Lb0ESQ_SR_ST_SU_SY_EESZ_S10_S11_S12_S16_S17_S18_S1B_S1C_jS1D_jS1E_S1E_jjS1G_bEUljE0_EEESZ_S10_S11_S18_S1C_S1E_T6_T7_T9_mT8_S1G_bDpT10_ENKUlT_T0_E_clISt17integral_constantIbLb1EES1T_IbLb0EEEEDaS1P_S1Q_EUlS1P_E_NS1_11comp_targetILNS1_3genE4ELNS1_11target_archE910ELNS1_3gpuE8ELNS1_3repE0EEENS1_30default_config_static_selectorELNS0_4arch9wavefront6targetE0EEEvS12_,comdat
	.globl	_ZN7rocprim17ROCPRIM_400000_NS6detail17trampoline_kernelINS0_13select_configILj256ELj13ELNS0_17block_load_methodE3ELS4_3ELS4_3ELNS0_20block_scan_algorithmE0ELj4294967295EEENS1_25partition_config_selectorILNS1_17partition_subalgoE4EjNS0_10empty_typeEbEEZZNS1_14partition_implILS8_4ELb0ES6_15HIP_vector_typeIjLj2EENS0_17counting_iteratorIjlEEPS9_SG_NS0_5tupleIJPjSI_NS0_16reverse_iteratorISI_EEEEENSH_IJSG_SG_SG_EEES9_SI_JZNS1_25segmented_radix_sort_implINS0_14default_configELb0EPKiPiPKlPlN2at6native12_GLOBAL__N_18offset_tEEE10hipError_tPvRmT1_PNSt15iterator_traitsIS12_E10value_typeET2_T3_PNS13_IS18_E10value_typeET4_jRbjT5_S1E_jjP12ihipStream_tbEUljE_ZNSN_ISO_Lb0ESQ_SR_ST_SU_SY_EESZ_S10_S11_S12_S16_S17_S18_S1B_S1C_jS1D_jS1E_S1E_jjS1G_bEUljE0_EEESZ_S10_S11_S18_S1C_S1E_T6_T7_T9_mT8_S1G_bDpT10_ENKUlT_T0_E_clISt17integral_constantIbLb1EES1T_IbLb0EEEEDaS1P_S1Q_EUlS1P_E_NS1_11comp_targetILNS1_3genE4ELNS1_11target_archE910ELNS1_3gpuE8ELNS1_3repE0EEENS1_30default_config_static_selectorELNS0_4arch9wavefront6targetE0EEEvS12_ ; -- Begin function _ZN7rocprim17ROCPRIM_400000_NS6detail17trampoline_kernelINS0_13select_configILj256ELj13ELNS0_17block_load_methodE3ELS4_3ELS4_3ELNS0_20block_scan_algorithmE0ELj4294967295EEENS1_25partition_config_selectorILNS1_17partition_subalgoE4EjNS0_10empty_typeEbEEZZNS1_14partition_implILS8_4ELb0ES6_15HIP_vector_typeIjLj2EENS0_17counting_iteratorIjlEEPS9_SG_NS0_5tupleIJPjSI_NS0_16reverse_iteratorISI_EEEEENSH_IJSG_SG_SG_EEES9_SI_JZNS1_25segmented_radix_sort_implINS0_14default_configELb0EPKiPiPKlPlN2at6native12_GLOBAL__N_18offset_tEEE10hipError_tPvRmT1_PNSt15iterator_traitsIS12_E10value_typeET2_T3_PNS13_IS18_E10value_typeET4_jRbjT5_S1E_jjP12ihipStream_tbEUljE_ZNSN_ISO_Lb0ESQ_SR_ST_SU_SY_EESZ_S10_S11_S12_S16_S17_S18_S1B_S1C_jS1D_jS1E_S1E_jjS1G_bEUljE0_EEESZ_S10_S11_S18_S1C_S1E_T6_T7_T9_mT8_S1G_bDpT10_ENKUlT_T0_E_clISt17integral_constantIbLb1EES1T_IbLb0EEEEDaS1P_S1Q_EUlS1P_E_NS1_11comp_targetILNS1_3genE4ELNS1_11target_archE910ELNS1_3gpuE8ELNS1_3repE0EEENS1_30default_config_static_selectorELNS0_4arch9wavefront6targetE0EEEvS12_
	.p2align	8
	.type	_ZN7rocprim17ROCPRIM_400000_NS6detail17trampoline_kernelINS0_13select_configILj256ELj13ELNS0_17block_load_methodE3ELS4_3ELS4_3ELNS0_20block_scan_algorithmE0ELj4294967295EEENS1_25partition_config_selectorILNS1_17partition_subalgoE4EjNS0_10empty_typeEbEEZZNS1_14partition_implILS8_4ELb0ES6_15HIP_vector_typeIjLj2EENS0_17counting_iteratorIjlEEPS9_SG_NS0_5tupleIJPjSI_NS0_16reverse_iteratorISI_EEEEENSH_IJSG_SG_SG_EEES9_SI_JZNS1_25segmented_radix_sort_implINS0_14default_configELb0EPKiPiPKlPlN2at6native12_GLOBAL__N_18offset_tEEE10hipError_tPvRmT1_PNSt15iterator_traitsIS12_E10value_typeET2_T3_PNS13_IS18_E10value_typeET4_jRbjT5_S1E_jjP12ihipStream_tbEUljE_ZNSN_ISO_Lb0ESQ_SR_ST_SU_SY_EESZ_S10_S11_S12_S16_S17_S18_S1B_S1C_jS1D_jS1E_S1E_jjS1G_bEUljE0_EEESZ_S10_S11_S18_S1C_S1E_T6_T7_T9_mT8_S1G_bDpT10_ENKUlT_T0_E_clISt17integral_constantIbLb1EES1T_IbLb0EEEEDaS1P_S1Q_EUlS1P_E_NS1_11comp_targetILNS1_3genE4ELNS1_11target_archE910ELNS1_3gpuE8ELNS1_3repE0EEENS1_30default_config_static_selectorELNS0_4arch9wavefront6targetE0EEEvS12_,@function
_ZN7rocprim17ROCPRIM_400000_NS6detail17trampoline_kernelINS0_13select_configILj256ELj13ELNS0_17block_load_methodE3ELS4_3ELS4_3ELNS0_20block_scan_algorithmE0ELj4294967295EEENS1_25partition_config_selectorILNS1_17partition_subalgoE4EjNS0_10empty_typeEbEEZZNS1_14partition_implILS8_4ELb0ES6_15HIP_vector_typeIjLj2EENS0_17counting_iteratorIjlEEPS9_SG_NS0_5tupleIJPjSI_NS0_16reverse_iteratorISI_EEEEENSH_IJSG_SG_SG_EEES9_SI_JZNS1_25segmented_radix_sort_implINS0_14default_configELb0EPKiPiPKlPlN2at6native12_GLOBAL__N_18offset_tEEE10hipError_tPvRmT1_PNSt15iterator_traitsIS12_E10value_typeET2_T3_PNS13_IS18_E10value_typeET4_jRbjT5_S1E_jjP12ihipStream_tbEUljE_ZNSN_ISO_Lb0ESQ_SR_ST_SU_SY_EESZ_S10_S11_S12_S16_S17_S18_S1B_S1C_jS1D_jS1E_S1E_jjS1G_bEUljE0_EEESZ_S10_S11_S18_S1C_S1E_T6_T7_T9_mT8_S1G_bDpT10_ENKUlT_T0_E_clISt17integral_constantIbLb1EES1T_IbLb0EEEEDaS1P_S1Q_EUlS1P_E_NS1_11comp_targetILNS1_3genE4ELNS1_11target_archE910ELNS1_3gpuE8ELNS1_3repE0EEENS1_30default_config_static_selectorELNS0_4arch9wavefront6targetE0EEEvS12_: ; @_ZN7rocprim17ROCPRIM_400000_NS6detail17trampoline_kernelINS0_13select_configILj256ELj13ELNS0_17block_load_methodE3ELS4_3ELS4_3ELNS0_20block_scan_algorithmE0ELj4294967295EEENS1_25partition_config_selectorILNS1_17partition_subalgoE4EjNS0_10empty_typeEbEEZZNS1_14partition_implILS8_4ELb0ES6_15HIP_vector_typeIjLj2EENS0_17counting_iteratorIjlEEPS9_SG_NS0_5tupleIJPjSI_NS0_16reverse_iteratorISI_EEEEENSH_IJSG_SG_SG_EEES9_SI_JZNS1_25segmented_radix_sort_implINS0_14default_configELb0EPKiPiPKlPlN2at6native12_GLOBAL__N_18offset_tEEE10hipError_tPvRmT1_PNSt15iterator_traitsIS12_E10value_typeET2_T3_PNS13_IS18_E10value_typeET4_jRbjT5_S1E_jjP12ihipStream_tbEUljE_ZNSN_ISO_Lb0ESQ_SR_ST_SU_SY_EESZ_S10_S11_S12_S16_S17_S18_S1B_S1C_jS1D_jS1E_S1E_jjS1G_bEUljE0_EEESZ_S10_S11_S18_S1C_S1E_T6_T7_T9_mT8_S1G_bDpT10_ENKUlT_T0_E_clISt17integral_constantIbLb1EES1T_IbLb0EEEEDaS1P_S1Q_EUlS1P_E_NS1_11comp_targetILNS1_3genE4ELNS1_11target_archE910ELNS1_3gpuE8ELNS1_3repE0EEENS1_30default_config_static_selectorELNS0_4arch9wavefront6targetE0EEEvS12_
; %bb.0:
	.section	.rodata,"a",@progbits
	.p2align	6, 0x0
	.amdhsa_kernel _ZN7rocprim17ROCPRIM_400000_NS6detail17trampoline_kernelINS0_13select_configILj256ELj13ELNS0_17block_load_methodE3ELS4_3ELS4_3ELNS0_20block_scan_algorithmE0ELj4294967295EEENS1_25partition_config_selectorILNS1_17partition_subalgoE4EjNS0_10empty_typeEbEEZZNS1_14partition_implILS8_4ELb0ES6_15HIP_vector_typeIjLj2EENS0_17counting_iteratorIjlEEPS9_SG_NS0_5tupleIJPjSI_NS0_16reverse_iteratorISI_EEEEENSH_IJSG_SG_SG_EEES9_SI_JZNS1_25segmented_radix_sort_implINS0_14default_configELb0EPKiPiPKlPlN2at6native12_GLOBAL__N_18offset_tEEE10hipError_tPvRmT1_PNSt15iterator_traitsIS12_E10value_typeET2_T3_PNS13_IS18_E10value_typeET4_jRbjT5_S1E_jjP12ihipStream_tbEUljE_ZNSN_ISO_Lb0ESQ_SR_ST_SU_SY_EESZ_S10_S11_S12_S16_S17_S18_S1B_S1C_jS1D_jS1E_S1E_jjS1G_bEUljE0_EEESZ_S10_S11_S18_S1C_S1E_T6_T7_T9_mT8_S1G_bDpT10_ENKUlT_T0_E_clISt17integral_constantIbLb1EES1T_IbLb0EEEEDaS1P_S1Q_EUlS1P_E_NS1_11comp_targetILNS1_3genE4ELNS1_11target_archE910ELNS1_3gpuE8ELNS1_3repE0EEENS1_30default_config_static_selectorELNS0_4arch9wavefront6targetE0EEEvS12_
		.amdhsa_group_segment_fixed_size 0
		.amdhsa_private_segment_fixed_size 0
		.amdhsa_kernarg_size 176
		.amdhsa_user_sgpr_count 2
		.amdhsa_user_sgpr_dispatch_ptr 0
		.amdhsa_user_sgpr_queue_ptr 0
		.amdhsa_user_sgpr_kernarg_segment_ptr 1
		.amdhsa_user_sgpr_dispatch_id 0
		.amdhsa_user_sgpr_private_segment_size 0
		.amdhsa_wavefront_size32 1
		.amdhsa_uses_dynamic_stack 0
		.amdhsa_enable_private_segment 0
		.amdhsa_system_sgpr_workgroup_id_x 1
		.amdhsa_system_sgpr_workgroup_id_y 0
		.amdhsa_system_sgpr_workgroup_id_z 0
		.amdhsa_system_sgpr_workgroup_info 0
		.amdhsa_system_vgpr_workitem_id 0
		.amdhsa_next_free_vgpr 1
		.amdhsa_next_free_sgpr 1
		.amdhsa_reserve_vcc 0
		.amdhsa_float_round_mode_32 0
		.amdhsa_float_round_mode_16_64 0
		.amdhsa_float_denorm_mode_32 3
		.amdhsa_float_denorm_mode_16_64 3
		.amdhsa_fp16_overflow 0
		.amdhsa_workgroup_processor_mode 1
		.amdhsa_memory_ordered 1
		.amdhsa_forward_progress 1
		.amdhsa_inst_pref_size 0
		.amdhsa_round_robin_scheduling 0
		.amdhsa_exception_fp_ieee_invalid_op 0
		.amdhsa_exception_fp_denorm_src 0
		.amdhsa_exception_fp_ieee_div_zero 0
		.amdhsa_exception_fp_ieee_overflow 0
		.amdhsa_exception_fp_ieee_underflow 0
		.amdhsa_exception_fp_ieee_inexact 0
		.amdhsa_exception_int_div_zero 0
	.end_amdhsa_kernel
	.section	.text._ZN7rocprim17ROCPRIM_400000_NS6detail17trampoline_kernelINS0_13select_configILj256ELj13ELNS0_17block_load_methodE3ELS4_3ELS4_3ELNS0_20block_scan_algorithmE0ELj4294967295EEENS1_25partition_config_selectorILNS1_17partition_subalgoE4EjNS0_10empty_typeEbEEZZNS1_14partition_implILS8_4ELb0ES6_15HIP_vector_typeIjLj2EENS0_17counting_iteratorIjlEEPS9_SG_NS0_5tupleIJPjSI_NS0_16reverse_iteratorISI_EEEEENSH_IJSG_SG_SG_EEES9_SI_JZNS1_25segmented_radix_sort_implINS0_14default_configELb0EPKiPiPKlPlN2at6native12_GLOBAL__N_18offset_tEEE10hipError_tPvRmT1_PNSt15iterator_traitsIS12_E10value_typeET2_T3_PNS13_IS18_E10value_typeET4_jRbjT5_S1E_jjP12ihipStream_tbEUljE_ZNSN_ISO_Lb0ESQ_SR_ST_SU_SY_EESZ_S10_S11_S12_S16_S17_S18_S1B_S1C_jS1D_jS1E_S1E_jjS1G_bEUljE0_EEESZ_S10_S11_S18_S1C_S1E_T6_T7_T9_mT8_S1G_bDpT10_ENKUlT_T0_E_clISt17integral_constantIbLb1EES1T_IbLb0EEEEDaS1P_S1Q_EUlS1P_E_NS1_11comp_targetILNS1_3genE4ELNS1_11target_archE910ELNS1_3gpuE8ELNS1_3repE0EEENS1_30default_config_static_selectorELNS0_4arch9wavefront6targetE0EEEvS12_,"axG",@progbits,_ZN7rocprim17ROCPRIM_400000_NS6detail17trampoline_kernelINS0_13select_configILj256ELj13ELNS0_17block_load_methodE3ELS4_3ELS4_3ELNS0_20block_scan_algorithmE0ELj4294967295EEENS1_25partition_config_selectorILNS1_17partition_subalgoE4EjNS0_10empty_typeEbEEZZNS1_14partition_implILS8_4ELb0ES6_15HIP_vector_typeIjLj2EENS0_17counting_iteratorIjlEEPS9_SG_NS0_5tupleIJPjSI_NS0_16reverse_iteratorISI_EEEEENSH_IJSG_SG_SG_EEES9_SI_JZNS1_25segmented_radix_sort_implINS0_14default_configELb0EPKiPiPKlPlN2at6native12_GLOBAL__N_18offset_tEEE10hipError_tPvRmT1_PNSt15iterator_traitsIS12_E10value_typeET2_T3_PNS13_IS18_E10value_typeET4_jRbjT5_S1E_jjP12ihipStream_tbEUljE_ZNSN_ISO_Lb0ESQ_SR_ST_SU_SY_EESZ_S10_S11_S12_S16_S17_S18_S1B_S1C_jS1D_jS1E_S1E_jjS1G_bEUljE0_EEESZ_S10_S11_S18_S1C_S1E_T6_T7_T9_mT8_S1G_bDpT10_ENKUlT_T0_E_clISt17integral_constantIbLb1EES1T_IbLb0EEEEDaS1P_S1Q_EUlS1P_E_NS1_11comp_targetILNS1_3genE4ELNS1_11target_archE910ELNS1_3gpuE8ELNS1_3repE0EEENS1_30default_config_static_selectorELNS0_4arch9wavefront6targetE0EEEvS12_,comdat
.Lfunc_end554:
	.size	_ZN7rocprim17ROCPRIM_400000_NS6detail17trampoline_kernelINS0_13select_configILj256ELj13ELNS0_17block_load_methodE3ELS4_3ELS4_3ELNS0_20block_scan_algorithmE0ELj4294967295EEENS1_25partition_config_selectorILNS1_17partition_subalgoE4EjNS0_10empty_typeEbEEZZNS1_14partition_implILS8_4ELb0ES6_15HIP_vector_typeIjLj2EENS0_17counting_iteratorIjlEEPS9_SG_NS0_5tupleIJPjSI_NS0_16reverse_iteratorISI_EEEEENSH_IJSG_SG_SG_EEES9_SI_JZNS1_25segmented_radix_sort_implINS0_14default_configELb0EPKiPiPKlPlN2at6native12_GLOBAL__N_18offset_tEEE10hipError_tPvRmT1_PNSt15iterator_traitsIS12_E10value_typeET2_T3_PNS13_IS18_E10value_typeET4_jRbjT5_S1E_jjP12ihipStream_tbEUljE_ZNSN_ISO_Lb0ESQ_SR_ST_SU_SY_EESZ_S10_S11_S12_S16_S17_S18_S1B_S1C_jS1D_jS1E_S1E_jjS1G_bEUljE0_EEESZ_S10_S11_S18_S1C_S1E_T6_T7_T9_mT8_S1G_bDpT10_ENKUlT_T0_E_clISt17integral_constantIbLb1EES1T_IbLb0EEEEDaS1P_S1Q_EUlS1P_E_NS1_11comp_targetILNS1_3genE4ELNS1_11target_archE910ELNS1_3gpuE8ELNS1_3repE0EEENS1_30default_config_static_selectorELNS0_4arch9wavefront6targetE0EEEvS12_, .Lfunc_end554-_ZN7rocprim17ROCPRIM_400000_NS6detail17trampoline_kernelINS0_13select_configILj256ELj13ELNS0_17block_load_methodE3ELS4_3ELS4_3ELNS0_20block_scan_algorithmE0ELj4294967295EEENS1_25partition_config_selectorILNS1_17partition_subalgoE4EjNS0_10empty_typeEbEEZZNS1_14partition_implILS8_4ELb0ES6_15HIP_vector_typeIjLj2EENS0_17counting_iteratorIjlEEPS9_SG_NS0_5tupleIJPjSI_NS0_16reverse_iteratorISI_EEEEENSH_IJSG_SG_SG_EEES9_SI_JZNS1_25segmented_radix_sort_implINS0_14default_configELb0EPKiPiPKlPlN2at6native12_GLOBAL__N_18offset_tEEE10hipError_tPvRmT1_PNSt15iterator_traitsIS12_E10value_typeET2_T3_PNS13_IS18_E10value_typeET4_jRbjT5_S1E_jjP12ihipStream_tbEUljE_ZNSN_ISO_Lb0ESQ_SR_ST_SU_SY_EESZ_S10_S11_S12_S16_S17_S18_S1B_S1C_jS1D_jS1E_S1E_jjS1G_bEUljE0_EEESZ_S10_S11_S18_S1C_S1E_T6_T7_T9_mT8_S1G_bDpT10_ENKUlT_T0_E_clISt17integral_constantIbLb1EES1T_IbLb0EEEEDaS1P_S1Q_EUlS1P_E_NS1_11comp_targetILNS1_3genE4ELNS1_11target_archE910ELNS1_3gpuE8ELNS1_3repE0EEENS1_30default_config_static_selectorELNS0_4arch9wavefront6targetE0EEEvS12_
                                        ; -- End function
	.set _ZN7rocprim17ROCPRIM_400000_NS6detail17trampoline_kernelINS0_13select_configILj256ELj13ELNS0_17block_load_methodE3ELS4_3ELS4_3ELNS0_20block_scan_algorithmE0ELj4294967295EEENS1_25partition_config_selectorILNS1_17partition_subalgoE4EjNS0_10empty_typeEbEEZZNS1_14partition_implILS8_4ELb0ES6_15HIP_vector_typeIjLj2EENS0_17counting_iteratorIjlEEPS9_SG_NS0_5tupleIJPjSI_NS0_16reverse_iteratorISI_EEEEENSH_IJSG_SG_SG_EEES9_SI_JZNS1_25segmented_radix_sort_implINS0_14default_configELb0EPKiPiPKlPlN2at6native12_GLOBAL__N_18offset_tEEE10hipError_tPvRmT1_PNSt15iterator_traitsIS12_E10value_typeET2_T3_PNS13_IS18_E10value_typeET4_jRbjT5_S1E_jjP12ihipStream_tbEUljE_ZNSN_ISO_Lb0ESQ_SR_ST_SU_SY_EESZ_S10_S11_S12_S16_S17_S18_S1B_S1C_jS1D_jS1E_S1E_jjS1G_bEUljE0_EEESZ_S10_S11_S18_S1C_S1E_T6_T7_T9_mT8_S1G_bDpT10_ENKUlT_T0_E_clISt17integral_constantIbLb1EES1T_IbLb0EEEEDaS1P_S1Q_EUlS1P_E_NS1_11comp_targetILNS1_3genE4ELNS1_11target_archE910ELNS1_3gpuE8ELNS1_3repE0EEENS1_30default_config_static_selectorELNS0_4arch9wavefront6targetE0EEEvS12_.num_vgpr, 0
	.set _ZN7rocprim17ROCPRIM_400000_NS6detail17trampoline_kernelINS0_13select_configILj256ELj13ELNS0_17block_load_methodE3ELS4_3ELS4_3ELNS0_20block_scan_algorithmE0ELj4294967295EEENS1_25partition_config_selectorILNS1_17partition_subalgoE4EjNS0_10empty_typeEbEEZZNS1_14partition_implILS8_4ELb0ES6_15HIP_vector_typeIjLj2EENS0_17counting_iteratorIjlEEPS9_SG_NS0_5tupleIJPjSI_NS0_16reverse_iteratorISI_EEEEENSH_IJSG_SG_SG_EEES9_SI_JZNS1_25segmented_radix_sort_implINS0_14default_configELb0EPKiPiPKlPlN2at6native12_GLOBAL__N_18offset_tEEE10hipError_tPvRmT1_PNSt15iterator_traitsIS12_E10value_typeET2_T3_PNS13_IS18_E10value_typeET4_jRbjT5_S1E_jjP12ihipStream_tbEUljE_ZNSN_ISO_Lb0ESQ_SR_ST_SU_SY_EESZ_S10_S11_S12_S16_S17_S18_S1B_S1C_jS1D_jS1E_S1E_jjS1G_bEUljE0_EEESZ_S10_S11_S18_S1C_S1E_T6_T7_T9_mT8_S1G_bDpT10_ENKUlT_T0_E_clISt17integral_constantIbLb1EES1T_IbLb0EEEEDaS1P_S1Q_EUlS1P_E_NS1_11comp_targetILNS1_3genE4ELNS1_11target_archE910ELNS1_3gpuE8ELNS1_3repE0EEENS1_30default_config_static_selectorELNS0_4arch9wavefront6targetE0EEEvS12_.num_agpr, 0
	.set _ZN7rocprim17ROCPRIM_400000_NS6detail17trampoline_kernelINS0_13select_configILj256ELj13ELNS0_17block_load_methodE3ELS4_3ELS4_3ELNS0_20block_scan_algorithmE0ELj4294967295EEENS1_25partition_config_selectorILNS1_17partition_subalgoE4EjNS0_10empty_typeEbEEZZNS1_14partition_implILS8_4ELb0ES6_15HIP_vector_typeIjLj2EENS0_17counting_iteratorIjlEEPS9_SG_NS0_5tupleIJPjSI_NS0_16reverse_iteratorISI_EEEEENSH_IJSG_SG_SG_EEES9_SI_JZNS1_25segmented_radix_sort_implINS0_14default_configELb0EPKiPiPKlPlN2at6native12_GLOBAL__N_18offset_tEEE10hipError_tPvRmT1_PNSt15iterator_traitsIS12_E10value_typeET2_T3_PNS13_IS18_E10value_typeET4_jRbjT5_S1E_jjP12ihipStream_tbEUljE_ZNSN_ISO_Lb0ESQ_SR_ST_SU_SY_EESZ_S10_S11_S12_S16_S17_S18_S1B_S1C_jS1D_jS1E_S1E_jjS1G_bEUljE0_EEESZ_S10_S11_S18_S1C_S1E_T6_T7_T9_mT8_S1G_bDpT10_ENKUlT_T0_E_clISt17integral_constantIbLb1EES1T_IbLb0EEEEDaS1P_S1Q_EUlS1P_E_NS1_11comp_targetILNS1_3genE4ELNS1_11target_archE910ELNS1_3gpuE8ELNS1_3repE0EEENS1_30default_config_static_selectorELNS0_4arch9wavefront6targetE0EEEvS12_.numbered_sgpr, 0
	.set _ZN7rocprim17ROCPRIM_400000_NS6detail17trampoline_kernelINS0_13select_configILj256ELj13ELNS0_17block_load_methodE3ELS4_3ELS4_3ELNS0_20block_scan_algorithmE0ELj4294967295EEENS1_25partition_config_selectorILNS1_17partition_subalgoE4EjNS0_10empty_typeEbEEZZNS1_14partition_implILS8_4ELb0ES6_15HIP_vector_typeIjLj2EENS0_17counting_iteratorIjlEEPS9_SG_NS0_5tupleIJPjSI_NS0_16reverse_iteratorISI_EEEEENSH_IJSG_SG_SG_EEES9_SI_JZNS1_25segmented_radix_sort_implINS0_14default_configELb0EPKiPiPKlPlN2at6native12_GLOBAL__N_18offset_tEEE10hipError_tPvRmT1_PNSt15iterator_traitsIS12_E10value_typeET2_T3_PNS13_IS18_E10value_typeET4_jRbjT5_S1E_jjP12ihipStream_tbEUljE_ZNSN_ISO_Lb0ESQ_SR_ST_SU_SY_EESZ_S10_S11_S12_S16_S17_S18_S1B_S1C_jS1D_jS1E_S1E_jjS1G_bEUljE0_EEESZ_S10_S11_S18_S1C_S1E_T6_T7_T9_mT8_S1G_bDpT10_ENKUlT_T0_E_clISt17integral_constantIbLb1EES1T_IbLb0EEEEDaS1P_S1Q_EUlS1P_E_NS1_11comp_targetILNS1_3genE4ELNS1_11target_archE910ELNS1_3gpuE8ELNS1_3repE0EEENS1_30default_config_static_selectorELNS0_4arch9wavefront6targetE0EEEvS12_.num_named_barrier, 0
	.set _ZN7rocprim17ROCPRIM_400000_NS6detail17trampoline_kernelINS0_13select_configILj256ELj13ELNS0_17block_load_methodE3ELS4_3ELS4_3ELNS0_20block_scan_algorithmE0ELj4294967295EEENS1_25partition_config_selectorILNS1_17partition_subalgoE4EjNS0_10empty_typeEbEEZZNS1_14partition_implILS8_4ELb0ES6_15HIP_vector_typeIjLj2EENS0_17counting_iteratorIjlEEPS9_SG_NS0_5tupleIJPjSI_NS0_16reverse_iteratorISI_EEEEENSH_IJSG_SG_SG_EEES9_SI_JZNS1_25segmented_radix_sort_implINS0_14default_configELb0EPKiPiPKlPlN2at6native12_GLOBAL__N_18offset_tEEE10hipError_tPvRmT1_PNSt15iterator_traitsIS12_E10value_typeET2_T3_PNS13_IS18_E10value_typeET4_jRbjT5_S1E_jjP12ihipStream_tbEUljE_ZNSN_ISO_Lb0ESQ_SR_ST_SU_SY_EESZ_S10_S11_S12_S16_S17_S18_S1B_S1C_jS1D_jS1E_S1E_jjS1G_bEUljE0_EEESZ_S10_S11_S18_S1C_S1E_T6_T7_T9_mT8_S1G_bDpT10_ENKUlT_T0_E_clISt17integral_constantIbLb1EES1T_IbLb0EEEEDaS1P_S1Q_EUlS1P_E_NS1_11comp_targetILNS1_3genE4ELNS1_11target_archE910ELNS1_3gpuE8ELNS1_3repE0EEENS1_30default_config_static_selectorELNS0_4arch9wavefront6targetE0EEEvS12_.private_seg_size, 0
	.set _ZN7rocprim17ROCPRIM_400000_NS6detail17trampoline_kernelINS0_13select_configILj256ELj13ELNS0_17block_load_methodE3ELS4_3ELS4_3ELNS0_20block_scan_algorithmE0ELj4294967295EEENS1_25partition_config_selectorILNS1_17partition_subalgoE4EjNS0_10empty_typeEbEEZZNS1_14partition_implILS8_4ELb0ES6_15HIP_vector_typeIjLj2EENS0_17counting_iteratorIjlEEPS9_SG_NS0_5tupleIJPjSI_NS0_16reverse_iteratorISI_EEEEENSH_IJSG_SG_SG_EEES9_SI_JZNS1_25segmented_radix_sort_implINS0_14default_configELb0EPKiPiPKlPlN2at6native12_GLOBAL__N_18offset_tEEE10hipError_tPvRmT1_PNSt15iterator_traitsIS12_E10value_typeET2_T3_PNS13_IS18_E10value_typeET4_jRbjT5_S1E_jjP12ihipStream_tbEUljE_ZNSN_ISO_Lb0ESQ_SR_ST_SU_SY_EESZ_S10_S11_S12_S16_S17_S18_S1B_S1C_jS1D_jS1E_S1E_jjS1G_bEUljE0_EEESZ_S10_S11_S18_S1C_S1E_T6_T7_T9_mT8_S1G_bDpT10_ENKUlT_T0_E_clISt17integral_constantIbLb1EES1T_IbLb0EEEEDaS1P_S1Q_EUlS1P_E_NS1_11comp_targetILNS1_3genE4ELNS1_11target_archE910ELNS1_3gpuE8ELNS1_3repE0EEENS1_30default_config_static_selectorELNS0_4arch9wavefront6targetE0EEEvS12_.uses_vcc, 0
	.set _ZN7rocprim17ROCPRIM_400000_NS6detail17trampoline_kernelINS0_13select_configILj256ELj13ELNS0_17block_load_methodE3ELS4_3ELS4_3ELNS0_20block_scan_algorithmE0ELj4294967295EEENS1_25partition_config_selectorILNS1_17partition_subalgoE4EjNS0_10empty_typeEbEEZZNS1_14partition_implILS8_4ELb0ES6_15HIP_vector_typeIjLj2EENS0_17counting_iteratorIjlEEPS9_SG_NS0_5tupleIJPjSI_NS0_16reverse_iteratorISI_EEEEENSH_IJSG_SG_SG_EEES9_SI_JZNS1_25segmented_radix_sort_implINS0_14default_configELb0EPKiPiPKlPlN2at6native12_GLOBAL__N_18offset_tEEE10hipError_tPvRmT1_PNSt15iterator_traitsIS12_E10value_typeET2_T3_PNS13_IS18_E10value_typeET4_jRbjT5_S1E_jjP12ihipStream_tbEUljE_ZNSN_ISO_Lb0ESQ_SR_ST_SU_SY_EESZ_S10_S11_S12_S16_S17_S18_S1B_S1C_jS1D_jS1E_S1E_jjS1G_bEUljE0_EEESZ_S10_S11_S18_S1C_S1E_T6_T7_T9_mT8_S1G_bDpT10_ENKUlT_T0_E_clISt17integral_constantIbLb1EES1T_IbLb0EEEEDaS1P_S1Q_EUlS1P_E_NS1_11comp_targetILNS1_3genE4ELNS1_11target_archE910ELNS1_3gpuE8ELNS1_3repE0EEENS1_30default_config_static_selectorELNS0_4arch9wavefront6targetE0EEEvS12_.uses_flat_scratch, 0
	.set _ZN7rocprim17ROCPRIM_400000_NS6detail17trampoline_kernelINS0_13select_configILj256ELj13ELNS0_17block_load_methodE3ELS4_3ELS4_3ELNS0_20block_scan_algorithmE0ELj4294967295EEENS1_25partition_config_selectorILNS1_17partition_subalgoE4EjNS0_10empty_typeEbEEZZNS1_14partition_implILS8_4ELb0ES6_15HIP_vector_typeIjLj2EENS0_17counting_iteratorIjlEEPS9_SG_NS0_5tupleIJPjSI_NS0_16reverse_iteratorISI_EEEEENSH_IJSG_SG_SG_EEES9_SI_JZNS1_25segmented_radix_sort_implINS0_14default_configELb0EPKiPiPKlPlN2at6native12_GLOBAL__N_18offset_tEEE10hipError_tPvRmT1_PNSt15iterator_traitsIS12_E10value_typeET2_T3_PNS13_IS18_E10value_typeET4_jRbjT5_S1E_jjP12ihipStream_tbEUljE_ZNSN_ISO_Lb0ESQ_SR_ST_SU_SY_EESZ_S10_S11_S12_S16_S17_S18_S1B_S1C_jS1D_jS1E_S1E_jjS1G_bEUljE0_EEESZ_S10_S11_S18_S1C_S1E_T6_T7_T9_mT8_S1G_bDpT10_ENKUlT_T0_E_clISt17integral_constantIbLb1EES1T_IbLb0EEEEDaS1P_S1Q_EUlS1P_E_NS1_11comp_targetILNS1_3genE4ELNS1_11target_archE910ELNS1_3gpuE8ELNS1_3repE0EEENS1_30default_config_static_selectorELNS0_4arch9wavefront6targetE0EEEvS12_.has_dyn_sized_stack, 0
	.set _ZN7rocprim17ROCPRIM_400000_NS6detail17trampoline_kernelINS0_13select_configILj256ELj13ELNS0_17block_load_methodE3ELS4_3ELS4_3ELNS0_20block_scan_algorithmE0ELj4294967295EEENS1_25partition_config_selectorILNS1_17partition_subalgoE4EjNS0_10empty_typeEbEEZZNS1_14partition_implILS8_4ELb0ES6_15HIP_vector_typeIjLj2EENS0_17counting_iteratorIjlEEPS9_SG_NS0_5tupleIJPjSI_NS0_16reverse_iteratorISI_EEEEENSH_IJSG_SG_SG_EEES9_SI_JZNS1_25segmented_radix_sort_implINS0_14default_configELb0EPKiPiPKlPlN2at6native12_GLOBAL__N_18offset_tEEE10hipError_tPvRmT1_PNSt15iterator_traitsIS12_E10value_typeET2_T3_PNS13_IS18_E10value_typeET4_jRbjT5_S1E_jjP12ihipStream_tbEUljE_ZNSN_ISO_Lb0ESQ_SR_ST_SU_SY_EESZ_S10_S11_S12_S16_S17_S18_S1B_S1C_jS1D_jS1E_S1E_jjS1G_bEUljE0_EEESZ_S10_S11_S18_S1C_S1E_T6_T7_T9_mT8_S1G_bDpT10_ENKUlT_T0_E_clISt17integral_constantIbLb1EES1T_IbLb0EEEEDaS1P_S1Q_EUlS1P_E_NS1_11comp_targetILNS1_3genE4ELNS1_11target_archE910ELNS1_3gpuE8ELNS1_3repE0EEENS1_30default_config_static_selectorELNS0_4arch9wavefront6targetE0EEEvS12_.has_recursion, 0
	.set _ZN7rocprim17ROCPRIM_400000_NS6detail17trampoline_kernelINS0_13select_configILj256ELj13ELNS0_17block_load_methodE3ELS4_3ELS4_3ELNS0_20block_scan_algorithmE0ELj4294967295EEENS1_25partition_config_selectorILNS1_17partition_subalgoE4EjNS0_10empty_typeEbEEZZNS1_14partition_implILS8_4ELb0ES6_15HIP_vector_typeIjLj2EENS0_17counting_iteratorIjlEEPS9_SG_NS0_5tupleIJPjSI_NS0_16reverse_iteratorISI_EEEEENSH_IJSG_SG_SG_EEES9_SI_JZNS1_25segmented_radix_sort_implINS0_14default_configELb0EPKiPiPKlPlN2at6native12_GLOBAL__N_18offset_tEEE10hipError_tPvRmT1_PNSt15iterator_traitsIS12_E10value_typeET2_T3_PNS13_IS18_E10value_typeET4_jRbjT5_S1E_jjP12ihipStream_tbEUljE_ZNSN_ISO_Lb0ESQ_SR_ST_SU_SY_EESZ_S10_S11_S12_S16_S17_S18_S1B_S1C_jS1D_jS1E_S1E_jjS1G_bEUljE0_EEESZ_S10_S11_S18_S1C_S1E_T6_T7_T9_mT8_S1G_bDpT10_ENKUlT_T0_E_clISt17integral_constantIbLb1EES1T_IbLb0EEEEDaS1P_S1Q_EUlS1P_E_NS1_11comp_targetILNS1_3genE4ELNS1_11target_archE910ELNS1_3gpuE8ELNS1_3repE0EEENS1_30default_config_static_selectorELNS0_4arch9wavefront6targetE0EEEvS12_.has_indirect_call, 0
	.section	.AMDGPU.csdata,"",@progbits
; Kernel info:
; codeLenInByte = 0
; TotalNumSgprs: 0
; NumVgprs: 0
; ScratchSize: 0
; MemoryBound: 0
; FloatMode: 240
; IeeeMode: 1
; LDSByteSize: 0 bytes/workgroup (compile time only)
; SGPRBlocks: 0
; VGPRBlocks: 0
; NumSGPRsForWavesPerEU: 1
; NumVGPRsForWavesPerEU: 1
; Occupancy: 16
; WaveLimiterHint : 0
; COMPUTE_PGM_RSRC2:SCRATCH_EN: 0
; COMPUTE_PGM_RSRC2:USER_SGPR: 2
; COMPUTE_PGM_RSRC2:TRAP_HANDLER: 0
; COMPUTE_PGM_RSRC2:TGID_X_EN: 1
; COMPUTE_PGM_RSRC2:TGID_Y_EN: 0
; COMPUTE_PGM_RSRC2:TGID_Z_EN: 0
; COMPUTE_PGM_RSRC2:TIDIG_COMP_CNT: 0
	.section	.text._ZN7rocprim17ROCPRIM_400000_NS6detail17trampoline_kernelINS0_13select_configILj256ELj13ELNS0_17block_load_methodE3ELS4_3ELS4_3ELNS0_20block_scan_algorithmE0ELj4294967295EEENS1_25partition_config_selectorILNS1_17partition_subalgoE4EjNS0_10empty_typeEbEEZZNS1_14partition_implILS8_4ELb0ES6_15HIP_vector_typeIjLj2EENS0_17counting_iteratorIjlEEPS9_SG_NS0_5tupleIJPjSI_NS0_16reverse_iteratorISI_EEEEENSH_IJSG_SG_SG_EEES9_SI_JZNS1_25segmented_radix_sort_implINS0_14default_configELb0EPKiPiPKlPlN2at6native12_GLOBAL__N_18offset_tEEE10hipError_tPvRmT1_PNSt15iterator_traitsIS12_E10value_typeET2_T3_PNS13_IS18_E10value_typeET4_jRbjT5_S1E_jjP12ihipStream_tbEUljE_ZNSN_ISO_Lb0ESQ_SR_ST_SU_SY_EESZ_S10_S11_S12_S16_S17_S18_S1B_S1C_jS1D_jS1E_S1E_jjS1G_bEUljE0_EEESZ_S10_S11_S18_S1C_S1E_T6_T7_T9_mT8_S1G_bDpT10_ENKUlT_T0_E_clISt17integral_constantIbLb1EES1T_IbLb0EEEEDaS1P_S1Q_EUlS1P_E_NS1_11comp_targetILNS1_3genE3ELNS1_11target_archE908ELNS1_3gpuE7ELNS1_3repE0EEENS1_30default_config_static_selectorELNS0_4arch9wavefront6targetE0EEEvS12_,"axG",@progbits,_ZN7rocprim17ROCPRIM_400000_NS6detail17trampoline_kernelINS0_13select_configILj256ELj13ELNS0_17block_load_methodE3ELS4_3ELS4_3ELNS0_20block_scan_algorithmE0ELj4294967295EEENS1_25partition_config_selectorILNS1_17partition_subalgoE4EjNS0_10empty_typeEbEEZZNS1_14partition_implILS8_4ELb0ES6_15HIP_vector_typeIjLj2EENS0_17counting_iteratorIjlEEPS9_SG_NS0_5tupleIJPjSI_NS0_16reverse_iteratorISI_EEEEENSH_IJSG_SG_SG_EEES9_SI_JZNS1_25segmented_radix_sort_implINS0_14default_configELb0EPKiPiPKlPlN2at6native12_GLOBAL__N_18offset_tEEE10hipError_tPvRmT1_PNSt15iterator_traitsIS12_E10value_typeET2_T3_PNS13_IS18_E10value_typeET4_jRbjT5_S1E_jjP12ihipStream_tbEUljE_ZNSN_ISO_Lb0ESQ_SR_ST_SU_SY_EESZ_S10_S11_S12_S16_S17_S18_S1B_S1C_jS1D_jS1E_S1E_jjS1G_bEUljE0_EEESZ_S10_S11_S18_S1C_S1E_T6_T7_T9_mT8_S1G_bDpT10_ENKUlT_T0_E_clISt17integral_constantIbLb1EES1T_IbLb0EEEEDaS1P_S1Q_EUlS1P_E_NS1_11comp_targetILNS1_3genE3ELNS1_11target_archE908ELNS1_3gpuE7ELNS1_3repE0EEENS1_30default_config_static_selectorELNS0_4arch9wavefront6targetE0EEEvS12_,comdat
	.globl	_ZN7rocprim17ROCPRIM_400000_NS6detail17trampoline_kernelINS0_13select_configILj256ELj13ELNS0_17block_load_methodE3ELS4_3ELS4_3ELNS0_20block_scan_algorithmE0ELj4294967295EEENS1_25partition_config_selectorILNS1_17partition_subalgoE4EjNS0_10empty_typeEbEEZZNS1_14partition_implILS8_4ELb0ES6_15HIP_vector_typeIjLj2EENS0_17counting_iteratorIjlEEPS9_SG_NS0_5tupleIJPjSI_NS0_16reverse_iteratorISI_EEEEENSH_IJSG_SG_SG_EEES9_SI_JZNS1_25segmented_radix_sort_implINS0_14default_configELb0EPKiPiPKlPlN2at6native12_GLOBAL__N_18offset_tEEE10hipError_tPvRmT1_PNSt15iterator_traitsIS12_E10value_typeET2_T3_PNS13_IS18_E10value_typeET4_jRbjT5_S1E_jjP12ihipStream_tbEUljE_ZNSN_ISO_Lb0ESQ_SR_ST_SU_SY_EESZ_S10_S11_S12_S16_S17_S18_S1B_S1C_jS1D_jS1E_S1E_jjS1G_bEUljE0_EEESZ_S10_S11_S18_S1C_S1E_T6_T7_T9_mT8_S1G_bDpT10_ENKUlT_T0_E_clISt17integral_constantIbLb1EES1T_IbLb0EEEEDaS1P_S1Q_EUlS1P_E_NS1_11comp_targetILNS1_3genE3ELNS1_11target_archE908ELNS1_3gpuE7ELNS1_3repE0EEENS1_30default_config_static_selectorELNS0_4arch9wavefront6targetE0EEEvS12_ ; -- Begin function _ZN7rocprim17ROCPRIM_400000_NS6detail17trampoline_kernelINS0_13select_configILj256ELj13ELNS0_17block_load_methodE3ELS4_3ELS4_3ELNS0_20block_scan_algorithmE0ELj4294967295EEENS1_25partition_config_selectorILNS1_17partition_subalgoE4EjNS0_10empty_typeEbEEZZNS1_14partition_implILS8_4ELb0ES6_15HIP_vector_typeIjLj2EENS0_17counting_iteratorIjlEEPS9_SG_NS0_5tupleIJPjSI_NS0_16reverse_iteratorISI_EEEEENSH_IJSG_SG_SG_EEES9_SI_JZNS1_25segmented_radix_sort_implINS0_14default_configELb0EPKiPiPKlPlN2at6native12_GLOBAL__N_18offset_tEEE10hipError_tPvRmT1_PNSt15iterator_traitsIS12_E10value_typeET2_T3_PNS13_IS18_E10value_typeET4_jRbjT5_S1E_jjP12ihipStream_tbEUljE_ZNSN_ISO_Lb0ESQ_SR_ST_SU_SY_EESZ_S10_S11_S12_S16_S17_S18_S1B_S1C_jS1D_jS1E_S1E_jjS1G_bEUljE0_EEESZ_S10_S11_S18_S1C_S1E_T6_T7_T9_mT8_S1G_bDpT10_ENKUlT_T0_E_clISt17integral_constantIbLb1EES1T_IbLb0EEEEDaS1P_S1Q_EUlS1P_E_NS1_11comp_targetILNS1_3genE3ELNS1_11target_archE908ELNS1_3gpuE7ELNS1_3repE0EEENS1_30default_config_static_selectorELNS0_4arch9wavefront6targetE0EEEvS12_
	.p2align	8
	.type	_ZN7rocprim17ROCPRIM_400000_NS6detail17trampoline_kernelINS0_13select_configILj256ELj13ELNS0_17block_load_methodE3ELS4_3ELS4_3ELNS0_20block_scan_algorithmE0ELj4294967295EEENS1_25partition_config_selectorILNS1_17partition_subalgoE4EjNS0_10empty_typeEbEEZZNS1_14partition_implILS8_4ELb0ES6_15HIP_vector_typeIjLj2EENS0_17counting_iteratorIjlEEPS9_SG_NS0_5tupleIJPjSI_NS0_16reverse_iteratorISI_EEEEENSH_IJSG_SG_SG_EEES9_SI_JZNS1_25segmented_radix_sort_implINS0_14default_configELb0EPKiPiPKlPlN2at6native12_GLOBAL__N_18offset_tEEE10hipError_tPvRmT1_PNSt15iterator_traitsIS12_E10value_typeET2_T3_PNS13_IS18_E10value_typeET4_jRbjT5_S1E_jjP12ihipStream_tbEUljE_ZNSN_ISO_Lb0ESQ_SR_ST_SU_SY_EESZ_S10_S11_S12_S16_S17_S18_S1B_S1C_jS1D_jS1E_S1E_jjS1G_bEUljE0_EEESZ_S10_S11_S18_S1C_S1E_T6_T7_T9_mT8_S1G_bDpT10_ENKUlT_T0_E_clISt17integral_constantIbLb1EES1T_IbLb0EEEEDaS1P_S1Q_EUlS1P_E_NS1_11comp_targetILNS1_3genE3ELNS1_11target_archE908ELNS1_3gpuE7ELNS1_3repE0EEENS1_30default_config_static_selectorELNS0_4arch9wavefront6targetE0EEEvS12_,@function
_ZN7rocprim17ROCPRIM_400000_NS6detail17trampoline_kernelINS0_13select_configILj256ELj13ELNS0_17block_load_methodE3ELS4_3ELS4_3ELNS0_20block_scan_algorithmE0ELj4294967295EEENS1_25partition_config_selectorILNS1_17partition_subalgoE4EjNS0_10empty_typeEbEEZZNS1_14partition_implILS8_4ELb0ES6_15HIP_vector_typeIjLj2EENS0_17counting_iteratorIjlEEPS9_SG_NS0_5tupleIJPjSI_NS0_16reverse_iteratorISI_EEEEENSH_IJSG_SG_SG_EEES9_SI_JZNS1_25segmented_radix_sort_implINS0_14default_configELb0EPKiPiPKlPlN2at6native12_GLOBAL__N_18offset_tEEE10hipError_tPvRmT1_PNSt15iterator_traitsIS12_E10value_typeET2_T3_PNS13_IS18_E10value_typeET4_jRbjT5_S1E_jjP12ihipStream_tbEUljE_ZNSN_ISO_Lb0ESQ_SR_ST_SU_SY_EESZ_S10_S11_S12_S16_S17_S18_S1B_S1C_jS1D_jS1E_S1E_jjS1G_bEUljE0_EEESZ_S10_S11_S18_S1C_S1E_T6_T7_T9_mT8_S1G_bDpT10_ENKUlT_T0_E_clISt17integral_constantIbLb1EES1T_IbLb0EEEEDaS1P_S1Q_EUlS1P_E_NS1_11comp_targetILNS1_3genE3ELNS1_11target_archE908ELNS1_3gpuE7ELNS1_3repE0EEENS1_30default_config_static_selectorELNS0_4arch9wavefront6targetE0EEEvS12_: ; @_ZN7rocprim17ROCPRIM_400000_NS6detail17trampoline_kernelINS0_13select_configILj256ELj13ELNS0_17block_load_methodE3ELS4_3ELS4_3ELNS0_20block_scan_algorithmE0ELj4294967295EEENS1_25partition_config_selectorILNS1_17partition_subalgoE4EjNS0_10empty_typeEbEEZZNS1_14partition_implILS8_4ELb0ES6_15HIP_vector_typeIjLj2EENS0_17counting_iteratorIjlEEPS9_SG_NS0_5tupleIJPjSI_NS0_16reverse_iteratorISI_EEEEENSH_IJSG_SG_SG_EEES9_SI_JZNS1_25segmented_radix_sort_implINS0_14default_configELb0EPKiPiPKlPlN2at6native12_GLOBAL__N_18offset_tEEE10hipError_tPvRmT1_PNSt15iterator_traitsIS12_E10value_typeET2_T3_PNS13_IS18_E10value_typeET4_jRbjT5_S1E_jjP12ihipStream_tbEUljE_ZNSN_ISO_Lb0ESQ_SR_ST_SU_SY_EESZ_S10_S11_S12_S16_S17_S18_S1B_S1C_jS1D_jS1E_S1E_jjS1G_bEUljE0_EEESZ_S10_S11_S18_S1C_S1E_T6_T7_T9_mT8_S1G_bDpT10_ENKUlT_T0_E_clISt17integral_constantIbLb1EES1T_IbLb0EEEEDaS1P_S1Q_EUlS1P_E_NS1_11comp_targetILNS1_3genE3ELNS1_11target_archE908ELNS1_3gpuE7ELNS1_3repE0EEENS1_30default_config_static_selectorELNS0_4arch9wavefront6targetE0EEEvS12_
; %bb.0:
	.section	.rodata,"a",@progbits
	.p2align	6, 0x0
	.amdhsa_kernel _ZN7rocprim17ROCPRIM_400000_NS6detail17trampoline_kernelINS0_13select_configILj256ELj13ELNS0_17block_load_methodE3ELS4_3ELS4_3ELNS0_20block_scan_algorithmE0ELj4294967295EEENS1_25partition_config_selectorILNS1_17partition_subalgoE4EjNS0_10empty_typeEbEEZZNS1_14partition_implILS8_4ELb0ES6_15HIP_vector_typeIjLj2EENS0_17counting_iteratorIjlEEPS9_SG_NS0_5tupleIJPjSI_NS0_16reverse_iteratorISI_EEEEENSH_IJSG_SG_SG_EEES9_SI_JZNS1_25segmented_radix_sort_implINS0_14default_configELb0EPKiPiPKlPlN2at6native12_GLOBAL__N_18offset_tEEE10hipError_tPvRmT1_PNSt15iterator_traitsIS12_E10value_typeET2_T3_PNS13_IS18_E10value_typeET4_jRbjT5_S1E_jjP12ihipStream_tbEUljE_ZNSN_ISO_Lb0ESQ_SR_ST_SU_SY_EESZ_S10_S11_S12_S16_S17_S18_S1B_S1C_jS1D_jS1E_S1E_jjS1G_bEUljE0_EEESZ_S10_S11_S18_S1C_S1E_T6_T7_T9_mT8_S1G_bDpT10_ENKUlT_T0_E_clISt17integral_constantIbLb1EES1T_IbLb0EEEEDaS1P_S1Q_EUlS1P_E_NS1_11comp_targetILNS1_3genE3ELNS1_11target_archE908ELNS1_3gpuE7ELNS1_3repE0EEENS1_30default_config_static_selectorELNS0_4arch9wavefront6targetE0EEEvS12_
		.amdhsa_group_segment_fixed_size 0
		.amdhsa_private_segment_fixed_size 0
		.amdhsa_kernarg_size 176
		.amdhsa_user_sgpr_count 2
		.amdhsa_user_sgpr_dispatch_ptr 0
		.amdhsa_user_sgpr_queue_ptr 0
		.amdhsa_user_sgpr_kernarg_segment_ptr 1
		.amdhsa_user_sgpr_dispatch_id 0
		.amdhsa_user_sgpr_private_segment_size 0
		.amdhsa_wavefront_size32 1
		.amdhsa_uses_dynamic_stack 0
		.amdhsa_enable_private_segment 0
		.amdhsa_system_sgpr_workgroup_id_x 1
		.amdhsa_system_sgpr_workgroup_id_y 0
		.amdhsa_system_sgpr_workgroup_id_z 0
		.amdhsa_system_sgpr_workgroup_info 0
		.amdhsa_system_vgpr_workitem_id 0
		.amdhsa_next_free_vgpr 1
		.amdhsa_next_free_sgpr 1
		.amdhsa_reserve_vcc 0
		.amdhsa_float_round_mode_32 0
		.amdhsa_float_round_mode_16_64 0
		.amdhsa_float_denorm_mode_32 3
		.amdhsa_float_denorm_mode_16_64 3
		.amdhsa_fp16_overflow 0
		.amdhsa_workgroup_processor_mode 1
		.amdhsa_memory_ordered 1
		.amdhsa_forward_progress 1
		.amdhsa_inst_pref_size 0
		.amdhsa_round_robin_scheduling 0
		.amdhsa_exception_fp_ieee_invalid_op 0
		.amdhsa_exception_fp_denorm_src 0
		.amdhsa_exception_fp_ieee_div_zero 0
		.amdhsa_exception_fp_ieee_overflow 0
		.amdhsa_exception_fp_ieee_underflow 0
		.amdhsa_exception_fp_ieee_inexact 0
		.amdhsa_exception_int_div_zero 0
	.end_amdhsa_kernel
	.section	.text._ZN7rocprim17ROCPRIM_400000_NS6detail17trampoline_kernelINS0_13select_configILj256ELj13ELNS0_17block_load_methodE3ELS4_3ELS4_3ELNS0_20block_scan_algorithmE0ELj4294967295EEENS1_25partition_config_selectorILNS1_17partition_subalgoE4EjNS0_10empty_typeEbEEZZNS1_14partition_implILS8_4ELb0ES6_15HIP_vector_typeIjLj2EENS0_17counting_iteratorIjlEEPS9_SG_NS0_5tupleIJPjSI_NS0_16reverse_iteratorISI_EEEEENSH_IJSG_SG_SG_EEES9_SI_JZNS1_25segmented_radix_sort_implINS0_14default_configELb0EPKiPiPKlPlN2at6native12_GLOBAL__N_18offset_tEEE10hipError_tPvRmT1_PNSt15iterator_traitsIS12_E10value_typeET2_T3_PNS13_IS18_E10value_typeET4_jRbjT5_S1E_jjP12ihipStream_tbEUljE_ZNSN_ISO_Lb0ESQ_SR_ST_SU_SY_EESZ_S10_S11_S12_S16_S17_S18_S1B_S1C_jS1D_jS1E_S1E_jjS1G_bEUljE0_EEESZ_S10_S11_S18_S1C_S1E_T6_T7_T9_mT8_S1G_bDpT10_ENKUlT_T0_E_clISt17integral_constantIbLb1EES1T_IbLb0EEEEDaS1P_S1Q_EUlS1P_E_NS1_11comp_targetILNS1_3genE3ELNS1_11target_archE908ELNS1_3gpuE7ELNS1_3repE0EEENS1_30default_config_static_selectorELNS0_4arch9wavefront6targetE0EEEvS12_,"axG",@progbits,_ZN7rocprim17ROCPRIM_400000_NS6detail17trampoline_kernelINS0_13select_configILj256ELj13ELNS0_17block_load_methodE3ELS4_3ELS4_3ELNS0_20block_scan_algorithmE0ELj4294967295EEENS1_25partition_config_selectorILNS1_17partition_subalgoE4EjNS0_10empty_typeEbEEZZNS1_14partition_implILS8_4ELb0ES6_15HIP_vector_typeIjLj2EENS0_17counting_iteratorIjlEEPS9_SG_NS0_5tupleIJPjSI_NS0_16reverse_iteratorISI_EEEEENSH_IJSG_SG_SG_EEES9_SI_JZNS1_25segmented_radix_sort_implINS0_14default_configELb0EPKiPiPKlPlN2at6native12_GLOBAL__N_18offset_tEEE10hipError_tPvRmT1_PNSt15iterator_traitsIS12_E10value_typeET2_T3_PNS13_IS18_E10value_typeET4_jRbjT5_S1E_jjP12ihipStream_tbEUljE_ZNSN_ISO_Lb0ESQ_SR_ST_SU_SY_EESZ_S10_S11_S12_S16_S17_S18_S1B_S1C_jS1D_jS1E_S1E_jjS1G_bEUljE0_EEESZ_S10_S11_S18_S1C_S1E_T6_T7_T9_mT8_S1G_bDpT10_ENKUlT_T0_E_clISt17integral_constantIbLb1EES1T_IbLb0EEEEDaS1P_S1Q_EUlS1P_E_NS1_11comp_targetILNS1_3genE3ELNS1_11target_archE908ELNS1_3gpuE7ELNS1_3repE0EEENS1_30default_config_static_selectorELNS0_4arch9wavefront6targetE0EEEvS12_,comdat
.Lfunc_end555:
	.size	_ZN7rocprim17ROCPRIM_400000_NS6detail17trampoline_kernelINS0_13select_configILj256ELj13ELNS0_17block_load_methodE3ELS4_3ELS4_3ELNS0_20block_scan_algorithmE0ELj4294967295EEENS1_25partition_config_selectorILNS1_17partition_subalgoE4EjNS0_10empty_typeEbEEZZNS1_14partition_implILS8_4ELb0ES6_15HIP_vector_typeIjLj2EENS0_17counting_iteratorIjlEEPS9_SG_NS0_5tupleIJPjSI_NS0_16reverse_iteratorISI_EEEEENSH_IJSG_SG_SG_EEES9_SI_JZNS1_25segmented_radix_sort_implINS0_14default_configELb0EPKiPiPKlPlN2at6native12_GLOBAL__N_18offset_tEEE10hipError_tPvRmT1_PNSt15iterator_traitsIS12_E10value_typeET2_T3_PNS13_IS18_E10value_typeET4_jRbjT5_S1E_jjP12ihipStream_tbEUljE_ZNSN_ISO_Lb0ESQ_SR_ST_SU_SY_EESZ_S10_S11_S12_S16_S17_S18_S1B_S1C_jS1D_jS1E_S1E_jjS1G_bEUljE0_EEESZ_S10_S11_S18_S1C_S1E_T6_T7_T9_mT8_S1G_bDpT10_ENKUlT_T0_E_clISt17integral_constantIbLb1EES1T_IbLb0EEEEDaS1P_S1Q_EUlS1P_E_NS1_11comp_targetILNS1_3genE3ELNS1_11target_archE908ELNS1_3gpuE7ELNS1_3repE0EEENS1_30default_config_static_selectorELNS0_4arch9wavefront6targetE0EEEvS12_, .Lfunc_end555-_ZN7rocprim17ROCPRIM_400000_NS6detail17trampoline_kernelINS0_13select_configILj256ELj13ELNS0_17block_load_methodE3ELS4_3ELS4_3ELNS0_20block_scan_algorithmE0ELj4294967295EEENS1_25partition_config_selectorILNS1_17partition_subalgoE4EjNS0_10empty_typeEbEEZZNS1_14partition_implILS8_4ELb0ES6_15HIP_vector_typeIjLj2EENS0_17counting_iteratorIjlEEPS9_SG_NS0_5tupleIJPjSI_NS0_16reverse_iteratorISI_EEEEENSH_IJSG_SG_SG_EEES9_SI_JZNS1_25segmented_radix_sort_implINS0_14default_configELb0EPKiPiPKlPlN2at6native12_GLOBAL__N_18offset_tEEE10hipError_tPvRmT1_PNSt15iterator_traitsIS12_E10value_typeET2_T3_PNS13_IS18_E10value_typeET4_jRbjT5_S1E_jjP12ihipStream_tbEUljE_ZNSN_ISO_Lb0ESQ_SR_ST_SU_SY_EESZ_S10_S11_S12_S16_S17_S18_S1B_S1C_jS1D_jS1E_S1E_jjS1G_bEUljE0_EEESZ_S10_S11_S18_S1C_S1E_T6_T7_T9_mT8_S1G_bDpT10_ENKUlT_T0_E_clISt17integral_constantIbLb1EES1T_IbLb0EEEEDaS1P_S1Q_EUlS1P_E_NS1_11comp_targetILNS1_3genE3ELNS1_11target_archE908ELNS1_3gpuE7ELNS1_3repE0EEENS1_30default_config_static_selectorELNS0_4arch9wavefront6targetE0EEEvS12_
                                        ; -- End function
	.set _ZN7rocprim17ROCPRIM_400000_NS6detail17trampoline_kernelINS0_13select_configILj256ELj13ELNS0_17block_load_methodE3ELS4_3ELS4_3ELNS0_20block_scan_algorithmE0ELj4294967295EEENS1_25partition_config_selectorILNS1_17partition_subalgoE4EjNS0_10empty_typeEbEEZZNS1_14partition_implILS8_4ELb0ES6_15HIP_vector_typeIjLj2EENS0_17counting_iteratorIjlEEPS9_SG_NS0_5tupleIJPjSI_NS0_16reverse_iteratorISI_EEEEENSH_IJSG_SG_SG_EEES9_SI_JZNS1_25segmented_radix_sort_implINS0_14default_configELb0EPKiPiPKlPlN2at6native12_GLOBAL__N_18offset_tEEE10hipError_tPvRmT1_PNSt15iterator_traitsIS12_E10value_typeET2_T3_PNS13_IS18_E10value_typeET4_jRbjT5_S1E_jjP12ihipStream_tbEUljE_ZNSN_ISO_Lb0ESQ_SR_ST_SU_SY_EESZ_S10_S11_S12_S16_S17_S18_S1B_S1C_jS1D_jS1E_S1E_jjS1G_bEUljE0_EEESZ_S10_S11_S18_S1C_S1E_T6_T7_T9_mT8_S1G_bDpT10_ENKUlT_T0_E_clISt17integral_constantIbLb1EES1T_IbLb0EEEEDaS1P_S1Q_EUlS1P_E_NS1_11comp_targetILNS1_3genE3ELNS1_11target_archE908ELNS1_3gpuE7ELNS1_3repE0EEENS1_30default_config_static_selectorELNS0_4arch9wavefront6targetE0EEEvS12_.num_vgpr, 0
	.set _ZN7rocprim17ROCPRIM_400000_NS6detail17trampoline_kernelINS0_13select_configILj256ELj13ELNS0_17block_load_methodE3ELS4_3ELS4_3ELNS0_20block_scan_algorithmE0ELj4294967295EEENS1_25partition_config_selectorILNS1_17partition_subalgoE4EjNS0_10empty_typeEbEEZZNS1_14partition_implILS8_4ELb0ES6_15HIP_vector_typeIjLj2EENS0_17counting_iteratorIjlEEPS9_SG_NS0_5tupleIJPjSI_NS0_16reverse_iteratorISI_EEEEENSH_IJSG_SG_SG_EEES9_SI_JZNS1_25segmented_radix_sort_implINS0_14default_configELb0EPKiPiPKlPlN2at6native12_GLOBAL__N_18offset_tEEE10hipError_tPvRmT1_PNSt15iterator_traitsIS12_E10value_typeET2_T3_PNS13_IS18_E10value_typeET4_jRbjT5_S1E_jjP12ihipStream_tbEUljE_ZNSN_ISO_Lb0ESQ_SR_ST_SU_SY_EESZ_S10_S11_S12_S16_S17_S18_S1B_S1C_jS1D_jS1E_S1E_jjS1G_bEUljE0_EEESZ_S10_S11_S18_S1C_S1E_T6_T7_T9_mT8_S1G_bDpT10_ENKUlT_T0_E_clISt17integral_constantIbLb1EES1T_IbLb0EEEEDaS1P_S1Q_EUlS1P_E_NS1_11comp_targetILNS1_3genE3ELNS1_11target_archE908ELNS1_3gpuE7ELNS1_3repE0EEENS1_30default_config_static_selectorELNS0_4arch9wavefront6targetE0EEEvS12_.num_agpr, 0
	.set _ZN7rocprim17ROCPRIM_400000_NS6detail17trampoline_kernelINS0_13select_configILj256ELj13ELNS0_17block_load_methodE3ELS4_3ELS4_3ELNS0_20block_scan_algorithmE0ELj4294967295EEENS1_25partition_config_selectorILNS1_17partition_subalgoE4EjNS0_10empty_typeEbEEZZNS1_14partition_implILS8_4ELb0ES6_15HIP_vector_typeIjLj2EENS0_17counting_iteratorIjlEEPS9_SG_NS0_5tupleIJPjSI_NS0_16reverse_iteratorISI_EEEEENSH_IJSG_SG_SG_EEES9_SI_JZNS1_25segmented_radix_sort_implINS0_14default_configELb0EPKiPiPKlPlN2at6native12_GLOBAL__N_18offset_tEEE10hipError_tPvRmT1_PNSt15iterator_traitsIS12_E10value_typeET2_T3_PNS13_IS18_E10value_typeET4_jRbjT5_S1E_jjP12ihipStream_tbEUljE_ZNSN_ISO_Lb0ESQ_SR_ST_SU_SY_EESZ_S10_S11_S12_S16_S17_S18_S1B_S1C_jS1D_jS1E_S1E_jjS1G_bEUljE0_EEESZ_S10_S11_S18_S1C_S1E_T6_T7_T9_mT8_S1G_bDpT10_ENKUlT_T0_E_clISt17integral_constantIbLb1EES1T_IbLb0EEEEDaS1P_S1Q_EUlS1P_E_NS1_11comp_targetILNS1_3genE3ELNS1_11target_archE908ELNS1_3gpuE7ELNS1_3repE0EEENS1_30default_config_static_selectorELNS0_4arch9wavefront6targetE0EEEvS12_.numbered_sgpr, 0
	.set _ZN7rocprim17ROCPRIM_400000_NS6detail17trampoline_kernelINS0_13select_configILj256ELj13ELNS0_17block_load_methodE3ELS4_3ELS4_3ELNS0_20block_scan_algorithmE0ELj4294967295EEENS1_25partition_config_selectorILNS1_17partition_subalgoE4EjNS0_10empty_typeEbEEZZNS1_14partition_implILS8_4ELb0ES6_15HIP_vector_typeIjLj2EENS0_17counting_iteratorIjlEEPS9_SG_NS0_5tupleIJPjSI_NS0_16reverse_iteratorISI_EEEEENSH_IJSG_SG_SG_EEES9_SI_JZNS1_25segmented_radix_sort_implINS0_14default_configELb0EPKiPiPKlPlN2at6native12_GLOBAL__N_18offset_tEEE10hipError_tPvRmT1_PNSt15iterator_traitsIS12_E10value_typeET2_T3_PNS13_IS18_E10value_typeET4_jRbjT5_S1E_jjP12ihipStream_tbEUljE_ZNSN_ISO_Lb0ESQ_SR_ST_SU_SY_EESZ_S10_S11_S12_S16_S17_S18_S1B_S1C_jS1D_jS1E_S1E_jjS1G_bEUljE0_EEESZ_S10_S11_S18_S1C_S1E_T6_T7_T9_mT8_S1G_bDpT10_ENKUlT_T0_E_clISt17integral_constantIbLb1EES1T_IbLb0EEEEDaS1P_S1Q_EUlS1P_E_NS1_11comp_targetILNS1_3genE3ELNS1_11target_archE908ELNS1_3gpuE7ELNS1_3repE0EEENS1_30default_config_static_selectorELNS0_4arch9wavefront6targetE0EEEvS12_.num_named_barrier, 0
	.set _ZN7rocprim17ROCPRIM_400000_NS6detail17trampoline_kernelINS0_13select_configILj256ELj13ELNS0_17block_load_methodE3ELS4_3ELS4_3ELNS0_20block_scan_algorithmE0ELj4294967295EEENS1_25partition_config_selectorILNS1_17partition_subalgoE4EjNS0_10empty_typeEbEEZZNS1_14partition_implILS8_4ELb0ES6_15HIP_vector_typeIjLj2EENS0_17counting_iteratorIjlEEPS9_SG_NS0_5tupleIJPjSI_NS0_16reverse_iteratorISI_EEEEENSH_IJSG_SG_SG_EEES9_SI_JZNS1_25segmented_radix_sort_implINS0_14default_configELb0EPKiPiPKlPlN2at6native12_GLOBAL__N_18offset_tEEE10hipError_tPvRmT1_PNSt15iterator_traitsIS12_E10value_typeET2_T3_PNS13_IS18_E10value_typeET4_jRbjT5_S1E_jjP12ihipStream_tbEUljE_ZNSN_ISO_Lb0ESQ_SR_ST_SU_SY_EESZ_S10_S11_S12_S16_S17_S18_S1B_S1C_jS1D_jS1E_S1E_jjS1G_bEUljE0_EEESZ_S10_S11_S18_S1C_S1E_T6_T7_T9_mT8_S1G_bDpT10_ENKUlT_T0_E_clISt17integral_constantIbLb1EES1T_IbLb0EEEEDaS1P_S1Q_EUlS1P_E_NS1_11comp_targetILNS1_3genE3ELNS1_11target_archE908ELNS1_3gpuE7ELNS1_3repE0EEENS1_30default_config_static_selectorELNS0_4arch9wavefront6targetE0EEEvS12_.private_seg_size, 0
	.set _ZN7rocprim17ROCPRIM_400000_NS6detail17trampoline_kernelINS0_13select_configILj256ELj13ELNS0_17block_load_methodE3ELS4_3ELS4_3ELNS0_20block_scan_algorithmE0ELj4294967295EEENS1_25partition_config_selectorILNS1_17partition_subalgoE4EjNS0_10empty_typeEbEEZZNS1_14partition_implILS8_4ELb0ES6_15HIP_vector_typeIjLj2EENS0_17counting_iteratorIjlEEPS9_SG_NS0_5tupleIJPjSI_NS0_16reverse_iteratorISI_EEEEENSH_IJSG_SG_SG_EEES9_SI_JZNS1_25segmented_radix_sort_implINS0_14default_configELb0EPKiPiPKlPlN2at6native12_GLOBAL__N_18offset_tEEE10hipError_tPvRmT1_PNSt15iterator_traitsIS12_E10value_typeET2_T3_PNS13_IS18_E10value_typeET4_jRbjT5_S1E_jjP12ihipStream_tbEUljE_ZNSN_ISO_Lb0ESQ_SR_ST_SU_SY_EESZ_S10_S11_S12_S16_S17_S18_S1B_S1C_jS1D_jS1E_S1E_jjS1G_bEUljE0_EEESZ_S10_S11_S18_S1C_S1E_T6_T7_T9_mT8_S1G_bDpT10_ENKUlT_T0_E_clISt17integral_constantIbLb1EES1T_IbLb0EEEEDaS1P_S1Q_EUlS1P_E_NS1_11comp_targetILNS1_3genE3ELNS1_11target_archE908ELNS1_3gpuE7ELNS1_3repE0EEENS1_30default_config_static_selectorELNS0_4arch9wavefront6targetE0EEEvS12_.uses_vcc, 0
	.set _ZN7rocprim17ROCPRIM_400000_NS6detail17trampoline_kernelINS0_13select_configILj256ELj13ELNS0_17block_load_methodE3ELS4_3ELS4_3ELNS0_20block_scan_algorithmE0ELj4294967295EEENS1_25partition_config_selectorILNS1_17partition_subalgoE4EjNS0_10empty_typeEbEEZZNS1_14partition_implILS8_4ELb0ES6_15HIP_vector_typeIjLj2EENS0_17counting_iteratorIjlEEPS9_SG_NS0_5tupleIJPjSI_NS0_16reverse_iteratorISI_EEEEENSH_IJSG_SG_SG_EEES9_SI_JZNS1_25segmented_radix_sort_implINS0_14default_configELb0EPKiPiPKlPlN2at6native12_GLOBAL__N_18offset_tEEE10hipError_tPvRmT1_PNSt15iterator_traitsIS12_E10value_typeET2_T3_PNS13_IS18_E10value_typeET4_jRbjT5_S1E_jjP12ihipStream_tbEUljE_ZNSN_ISO_Lb0ESQ_SR_ST_SU_SY_EESZ_S10_S11_S12_S16_S17_S18_S1B_S1C_jS1D_jS1E_S1E_jjS1G_bEUljE0_EEESZ_S10_S11_S18_S1C_S1E_T6_T7_T9_mT8_S1G_bDpT10_ENKUlT_T0_E_clISt17integral_constantIbLb1EES1T_IbLb0EEEEDaS1P_S1Q_EUlS1P_E_NS1_11comp_targetILNS1_3genE3ELNS1_11target_archE908ELNS1_3gpuE7ELNS1_3repE0EEENS1_30default_config_static_selectorELNS0_4arch9wavefront6targetE0EEEvS12_.uses_flat_scratch, 0
	.set _ZN7rocprim17ROCPRIM_400000_NS6detail17trampoline_kernelINS0_13select_configILj256ELj13ELNS0_17block_load_methodE3ELS4_3ELS4_3ELNS0_20block_scan_algorithmE0ELj4294967295EEENS1_25partition_config_selectorILNS1_17partition_subalgoE4EjNS0_10empty_typeEbEEZZNS1_14partition_implILS8_4ELb0ES6_15HIP_vector_typeIjLj2EENS0_17counting_iteratorIjlEEPS9_SG_NS0_5tupleIJPjSI_NS0_16reverse_iteratorISI_EEEEENSH_IJSG_SG_SG_EEES9_SI_JZNS1_25segmented_radix_sort_implINS0_14default_configELb0EPKiPiPKlPlN2at6native12_GLOBAL__N_18offset_tEEE10hipError_tPvRmT1_PNSt15iterator_traitsIS12_E10value_typeET2_T3_PNS13_IS18_E10value_typeET4_jRbjT5_S1E_jjP12ihipStream_tbEUljE_ZNSN_ISO_Lb0ESQ_SR_ST_SU_SY_EESZ_S10_S11_S12_S16_S17_S18_S1B_S1C_jS1D_jS1E_S1E_jjS1G_bEUljE0_EEESZ_S10_S11_S18_S1C_S1E_T6_T7_T9_mT8_S1G_bDpT10_ENKUlT_T0_E_clISt17integral_constantIbLb1EES1T_IbLb0EEEEDaS1P_S1Q_EUlS1P_E_NS1_11comp_targetILNS1_3genE3ELNS1_11target_archE908ELNS1_3gpuE7ELNS1_3repE0EEENS1_30default_config_static_selectorELNS0_4arch9wavefront6targetE0EEEvS12_.has_dyn_sized_stack, 0
	.set _ZN7rocprim17ROCPRIM_400000_NS6detail17trampoline_kernelINS0_13select_configILj256ELj13ELNS0_17block_load_methodE3ELS4_3ELS4_3ELNS0_20block_scan_algorithmE0ELj4294967295EEENS1_25partition_config_selectorILNS1_17partition_subalgoE4EjNS0_10empty_typeEbEEZZNS1_14partition_implILS8_4ELb0ES6_15HIP_vector_typeIjLj2EENS0_17counting_iteratorIjlEEPS9_SG_NS0_5tupleIJPjSI_NS0_16reverse_iteratorISI_EEEEENSH_IJSG_SG_SG_EEES9_SI_JZNS1_25segmented_radix_sort_implINS0_14default_configELb0EPKiPiPKlPlN2at6native12_GLOBAL__N_18offset_tEEE10hipError_tPvRmT1_PNSt15iterator_traitsIS12_E10value_typeET2_T3_PNS13_IS18_E10value_typeET4_jRbjT5_S1E_jjP12ihipStream_tbEUljE_ZNSN_ISO_Lb0ESQ_SR_ST_SU_SY_EESZ_S10_S11_S12_S16_S17_S18_S1B_S1C_jS1D_jS1E_S1E_jjS1G_bEUljE0_EEESZ_S10_S11_S18_S1C_S1E_T6_T7_T9_mT8_S1G_bDpT10_ENKUlT_T0_E_clISt17integral_constantIbLb1EES1T_IbLb0EEEEDaS1P_S1Q_EUlS1P_E_NS1_11comp_targetILNS1_3genE3ELNS1_11target_archE908ELNS1_3gpuE7ELNS1_3repE0EEENS1_30default_config_static_selectorELNS0_4arch9wavefront6targetE0EEEvS12_.has_recursion, 0
	.set _ZN7rocprim17ROCPRIM_400000_NS6detail17trampoline_kernelINS0_13select_configILj256ELj13ELNS0_17block_load_methodE3ELS4_3ELS4_3ELNS0_20block_scan_algorithmE0ELj4294967295EEENS1_25partition_config_selectorILNS1_17partition_subalgoE4EjNS0_10empty_typeEbEEZZNS1_14partition_implILS8_4ELb0ES6_15HIP_vector_typeIjLj2EENS0_17counting_iteratorIjlEEPS9_SG_NS0_5tupleIJPjSI_NS0_16reverse_iteratorISI_EEEEENSH_IJSG_SG_SG_EEES9_SI_JZNS1_25segmented_radix_sort_implINS0_14default_configELb0EPKiPiPKlPlN2at6native12_GLOBAL__N_18offset_tEEE10hipError_tPvRmT1_PNSt15iterator_traitsIS12_E10value_typeET2_T3_PNS13_IS18_E10value_typeET4_jRbjT5_S1E_jjP12ihipStream_tbEUljE_ZNSN_ISO_Lb0ESQ_SR_ST_SU_SY_EESZ_S10_S11_S12_S16_S17_S18_S1B_S1C_jS1D_jS1E_S1E_jjS1G_bEUljE0_EEESZ_S10_S11_S18_S1C_S1E_T6_T7_T9_mT8_S1G_bDpT10_ENKUlT_T0_E_clISt17integral_constantIbLb1EES1T_IbLb0EEEEDaS1P_S1Q_EUlS1P_E_NS1_11comp_targetILNS1_3genE3ELNS1_11target_archE908ELNS1_3gpuE7ELNS1_3repE0EEENS1_30default_config_static_selectorELNS0_4arch9wavefront6targetE0EEEvS12_.has_indirect_call, 0
	.section	.AMDGPU.csdata,"",@progbits
; Kernel info:
; codeLenInByte = 0
; TotalNumSgprs: 0
; NumVgprs: 0
; ScratchSize: 0
; MemoryBound: 0
; FloatMode: 240
; IeeeMode: 1
; LDSByteSize: 0 bytes/workgroup (compile time only)
; SGPRBlocks: 0
; VGPRBlocks: 0
; NumSGPRsForWavesPerEU: 1
; NumVGPRsForWavesPerEU: 1
; Occupancy: 16
; WaveLimiterHint : 0
; COMPUTE_PGM_RSRC2:SCRATCH_EN: 0
; COMPUTE_PGM_RSRC2:USER_SGPR: 2
; COMPUTE_PGM_RSRC2:TRAP_HANDLER: 0
; COMPUTE_PGM_RSRC2:TGID_X_EN: 1
; COMPUTE_PGM_RSRC2:TGID_Y_EN: 0
; COMPUTE_PGM_RSRC2:TGID_Z_EN: 0
; COMPUTE_PGM_RSRC2:TIDIG_COMP_CNT: 0
	.section	.text._ZN7rocprim17ROCPRIM_400000_NS6detail17trampoline_kernelINS0_13select_configILj256ELj13ELNS0_17block_load_methodE3ELS4_3ELS4_3ELNS0_20block_scan_algorithmE0ELj4294967295EEENS1_25partition_config_selectorILNS1_17partition_subalgoE4EjNS0_10empty_typeEbEEZZNS1_14partition_implILS8_4ELb0ES6_15HIP_vector_typeIjLj2EENS0_17counting_iteratorIjlEEPS9_SG_NS0_5tupleIJPjSI_NS0_16reverse_iteratorISI_EEEEENSH_IJSG_SG_SG_EEES9_SI_JZNS1_25segmented_radix_sort_implINS0_14default_configELb0EPKiPiPKlPlN2at6native12_GLOBAL__N_18offset_tEEE10hipError_tPvRmT1_PNSt15iterator_traitsIS12_E10value_typeET2_T3_PNS13_IS18_E10value_typeET4_jRbjT5_S1E_jjP12ihipStream_tbEUljE_ZNSN_ISO_Lb0ESQ_SR_ST_SU_SY_EESZ_S10_S11_S12_S16_S17_S18_S1B_S1C_jS1D_jS1E_S1E_jjS1G_bEUljE0_EEESZ_S10_S11_S18_S1C_S1E_T6_T7_T9_mT8_S1G_bDpT10_ENKUlT_T0_E_clISt17integral_constantIbLb1EES1T_IbLb0EEEEDaS1P_S1Q_EUlS1P_E_NS1_11comp_targetILNS1_3genE2ELNS1_11target_archE906ELNS1_3gpuE6ELNS1_3repE0EEENS1_30default_config_static_selectorELNS0_4arch9wavefront6targetE0EEEvS12_,"axG",@progbits,_ZN7rocprim17ROCPRIM_400000_NS6detail17trampoline_kernelINS0_13select_configILj256ELj13ELNS0_17block_load_methodE3ELS4_3ELS4_3ELNS0_20block_scan_algorithmE0ELj4294967295EEENS1_25partition_config_selectorILNS1_17partition_subalgoE4EjNS0_10empty_typeEbEEZZNS1_14partition_implILS8_4ELb0ES6_15HIP_vector_typeIjLj2EENS0_17counting_iteratorIjlEEPS9_SG_NS0_5tupleIJPjSI_NS0_16reverse_iteratorISI_EEEEENSH_IJSG_SG_SG_EEES9_SI_JZNS1_25segmented_radix_sort_implINS0_14default_configELb0EPKiPiPKlPlN2at6native12_GLOBAL__N_18offset_tEEE10hipError_tPvRmT1_PNSt15iterator_traitsIS12_E10value_typeET2_T3_PNS13_IS18_E10value_typeET4_jRbjT5_S1E_jjP12ihipStream_tbEUljE_ZNSN_ISO_Lb0ESQ_SR_ST_SU_SY_EESZ_S10_S11_S12_S16_S17_S18_S1B_S1C_jS1D_jS1E_S1E_jjS1G_bEUljE0_EEESZ_S10_S11_S18_S1C_S1E_T6_T7_T9_mT8_S1G_bDpT10_ENKUlT_T0_E_clISt17integral_constantIbLb1EES1T_IbLb0EEEEDaS1P_S1Q_EUlS1P_E_NS1_11comp_targetILNS1_3genE2ELNS1_11target_archE906ELNS1_3gpuE6ELNS1_3repE0EEENS1_30default_config_static_selectorELNS0_4arch9wavefront6targetE0EEEvS12_,comdat
	.globl	_ZN7rocprim17ROCPRIM_400000_NS6detail17trampoline_kernelINS0_13select_configILj256ELj13ELNS0_17block_load_methodE3ELS4_3ELS4_3ELNS0_20block_scan_algorithmE0ELj4294967295EEENS1_25partition_config_selectorILNS1_17partition_subalgoE4EjNS0_10empty_typeEbEEZZNS1_14partition_implILS8_4ELb0ES6_15HIP_vector_typeIjLj2EENS0_17counting_iteratorIjlEEPS9_SG_NS0_5tupleIJPjSI_NS0_16reverse_iteratorISI_EEEEENSH_IJSG_SG_SG_EEES9_SI_JZNS1_25segmented_radix_sort_implINS0_14default_configELb0EPKiPiPKlPlN2at6native12_GLOBAL__N_18offset_tEEE10hipError_tPvRmT1_PNSt15iterator_traitsIS12_E10value_typeET2_T3_PNS13_IS18_E10value_typeET4_jRbjT5_S1E_jjP12ihipStream_tbEUljE_ZNSN_ISO_Lb0ESQ_SR_ST_SU_SY_EESZ_S10_S11_S12_S16_S17_S18_S1B_S1C_jS1D_jS1E_S1E_jjS1G_bEUljE0_EEESZ_S10_S11_S18_S1C_S1E_T6_T7_T9_mT8_S1G_bDpT10_ENKUlT_T0_E_clISt17integral_constantIbLb1EES1T_IbLb0EEEEDaS1P_S1Q_EUlS1P_E_NS1_11comp_targetILNS1_3genE2ELNS1_11target_archE906ELNS1_3gpuE6ELNS1_3repE0EEENS1_30default_config_static_selectorELNS0_4arch9wavefront6targetE0EEEvS12_ ; -- Begin function _ZN7rocprim17ROCPRIM_400000_NS6detail17trampoline_kernelINS0_13select_configILj256ELj13ELNS0_17block_load_methodE3ELS4_3ELS4_3ELNS0_20block_scan_algorithmE0ELj4294967295EEENS1_25partition_config_selectorILNS1_17partition_subalgoE4EjNS0_10empty_typeEbEEZZNS1_14partition_implILS8_4ELb0ES6_15HIP_vector_typeIjLj2EENS0_17counting_iteratorIjlEEPS9_SG_NS0_5tupleIJPjSI_NS0_16reverse_iteratorISI_EEEEENSH_IJSG_SG_SG_EEES9_SI_JZNS1_25segmented_radix_sort_implINS0_14default_configELb0EPKiPiPKlPlN2at6native12_GLOBAL__N_18offset_tEEE10hipError_tPvRmT1_PNSt15iterator_traitsIS12_E10value_typeET2_T3_PNS13_IS18_E10value_typeET4_jRbjT5_S1E_jjP12ihipStream_tbEUljE_ZNSN_ISO_Lb0ESQ_SR_ST_SU_SY_EESZ_S10_S11_S12_S16_S17_S18_S1B_S1C_jS1D_jS1E_S1E_jjS1G_bEUljE0_EEESZ_S10_S11_S18_S1C_S1E_T6_T7_T9_mT8_S1G_bDpT10_ENKUlT_T0_E_clISt17integral_constantIbLb1EES1T_IbLb0EEEEDaS1P_S1Q_EUlS1P_E_NS1_11comp_targetILNS1_3genE2ELNS1_11target_archE906ELNS1_3gpuE6ELNS1_3repE0EEENS1_30default_config_static_selectorELNS0_4arch9wavefront6targetE0EEEvS12_
	.p2align	8
	.type	_ZN7rocprim17ROCPRIM_400000_NS6detail17trampoline_kernelINS0_13select_configILj256ELj13ELNS0_17block_load_methodE3ELS4_3ELS4_3ELNS0_20block_scan_algorithmE0ELj4294967295EEENS1_25partition_config_selectorILNS1_17partition_subalgoE4EjNS0_10empty_typeEbEEZZNS1_14partition_implILS8_4ELb0ES6_15HIP_vector_typeIjLj2EENS0_17counting_iteratorIjlEEPS9_SG_NS0_5tupleIJPjSI_NS0_16reverse_iteratorISI_EEEEENSH_IJSG_SG_SG_EEES9_SI_JZNS1_25segmented_radix_sort_implINS0_14default_configELb0EPKiPiPKlPlN2at6native12_GLOBAL__N_18offset_tEEE10hipError_tPvRmT1_PNSt15iterator_traitsIS12_E10value_typeET2_T3_PNS13_IS18_E10value_typeET4_jRbjT5_S1E_jjP12ihipStream_tbEUljE_ZNSN_ISO_Lb0ESQ_SR_ST_SU_SY_EESZ_S10_S11_S12_S16_S17_S18_S1B_S1C_jS1D_jS1E_S1E_jjS1G_bEUljE0_EEESZ_S10_S11_S18_S1C_S1E_T6_T7_T9_mT8_S1G_bDpT10_ENKUlT_T0_E_clISt17integral_constantIbLb1EES1T_IbLb0EEEEDaS1P_S1Q_EUlS1P_E_NS1_11comp_targetILNS1_3genE2ELNS1_11target_archE906ELNS1_3gpuE6ELNS1_3repE0EEENS1_30default_config_static_selectorELNS0_4arch9wavefront6targetE0EEEvS12_,@function
_ZN7rocprim17ROCPRIM_400000_NS6detail17trampoline_kernelINS0_13select_configILj256ELj13ELNS0_17block_load_methodE3ELS4_3ELS4_3ELNS0_20block_scan_algorithmE0ELj4294967295EEENS1_25partition_config_selectorILNS1_17partition_subalgoE4EjNS0_10empty_typeEbEEZZNS1_14partition_implILS8_4ELb0ES6_15HIP_vector_typeIjLj2EENS0_17counting_iteratorIjlEEPS9_SG_NS0_5tupleIJPjSI_NS0_16reverse_iteratorISI_EEEEENSH_IJSG_SG_SG_EEES9_SI_JZNS1_25segmented_radix_sort_implINS0_14default_configELb0EPKiPiPKlPlN2at6native12_GLOBAL__N_18offset_tEEE10hipError_tPvRmT1_PNSt15iterator_traitsIS12_E10value_typeET2_T3_PNS13_IS18_E10value_typeET4_jRbjT5_S1E_jjP12ihipStream_tbEUljE_ZNSN_ISO_Lb0ESQ_SR_ST_SU_SY_EESZ_S10_S11_S12_S16_S17_S18_S1B_S1C_jS1D_jS1E_S1E_jjS1G_bEUljE0_EEESZ_S10_S11_S18_S1C_S1E_T6_T7_T9_mT8_S1G_bDpT10_ENKUlT_T0_E_clISt17integral_constantIbLb1EES1T_IbLb0EEEEDaS1P_S1Q_EUlS1P_E_NS1_11comp_targetILNS1_3genE2ELNS1_11target_archE906ELNS1_3gpuE6ELNS1_3repE0EEENS1_30default_config_static_selectorELNS0_4arch9wavefront6targetE0EEEvS12_: ; @_ZN7rocprim17ROCPRIM_400000_NS6detail17trampoline_kernelINS0_13select_configILj256ELj13ELNS0_17block_load_methodE3ELS4_3ELS4_3ELNS0_20block_scan_algorithmE0ELj4294967295EEENS1_25partition_config_selectorILNS1_17partition_subalgoE4EjNS0_10empty_typeEbEEZZNS1_14partition_implILS8_4ELb0ES6_15HIP_vector_typeIjLj2EENS0_17counting_iteratorIjlEEPS9_SG_NS0_5tupleIJPjSI_NS0_16reverse_iteratorISI_EEEEENSH_IJSG_SG_SG_EEES9_SI_JZNS1_25segmented_radix_sort_implINS0_14default_configELb0EPKiPiPKlPlN2at6native12_GLOBAL__N_18offset_tEEE10hipError_tPvRmT1_PNSt15iterator_traitsIS12_E10value_typeET2_T3_PNS13_IS18_E10value_typeET4_jRbjT5_S1E_jjP12ihipStream_tbEUljE_ZNSN_ISO_Lb0ESQ_SR_ST_SU_SY_EESZ_S10_S11_S12_S16_S17_S18_S1B_S1C_jS1D_jS1E_S1E_jjS1G_bEUljE0_EEESZ_S10_S11_S18_S1C_S1E_T6_T7_T9_mT8_S1G_bDpT10_ENKUlT_T0_E_clISt17integral_constantIbLb1EES1T_IbLb0EEEEDaS1P_S1Q_EUlS1P_E_NS1_11comp_targetILNS1_3genE2ELNS1_11target_archE906ELNS1_3gpuE6ELNS1_3repE0EEENS1_30default_config_static_selectorELNS0_4arch9wavefront6targetE0EEEvS12_
; %bb.0:
	.section	.rodata,"a",@progbits
	.p2align	6, 0x0
	.amdhsa_kernel _ZN7rocprim17ROCPRIM_400000_NS6detail17trampoline_kernelINS0_13select_configILj256ELj13ELNS0_17block_load_methodE3ELS4_3ELS4_3ELNS0_20block_scan_algorithmE0ELj4294967295EEENS1_25partition_config_selectorILNS1_17partition_subalgoE4EjNS0_10empty_typeEbEEZZNS1_14partition_implILS8_4ELb0ES6_15HIP_vector_typeIjLj2EENS0_17counting_iteratorIjlEEPS9_SG_NS0_5tupleIJPjSI_NS0_16reverse_iteratorISI_EEEEENSH_IJSG_SG_SG_EEES9_SI_JZNS1_25segmented_radix_sort_implINS0_14default_configELb0EPKiPiPKlPlN2at6native12_GLOBAL__N_18offset_tEEE10hipError_tPvRmT1_PNSt15iterator_traitsIS12_E10value_typeET2_T3_PNS13_IS18_E10value_typeET4_jRbjT5_S1E_jjP12ihipStream_tbEUljE_ZNSN_ISO_Lb0ESQ_SR_ST_SU_SY_EESZ_S10_S11_S12_S16_S17_S18_S1B_S1C_jS1D_jS1E_S1E_jjS1G_bEUljE0_EEESZ_S10_S11_S18_S1C_S1E_T6_T7_T9_mT8_S1G_bDpT10_ENKUlT_T0_E_clISt17integral_constantIbLb1EES1T_IbLb0EEEEDaS1P_S1Q_EUlS1P_E_NS1_11comp_targetILNS1_3genE2ELNS1_11target_archE906ELNS1_3gpuE6ELNS1_3repE0EEENS1_30default_config_static_selectorELNS0_4arch9wavefront6targetE0EEEvS12_
		.amdhsa_group_segment_fixed_size 0
		.amdhsa_private_segment_fixed_size 0
		.amdhsa_kernarg_size 176
		.amdhsa_user_sgpr_count 2
		.amdhsa_user_sgpr_dispatch_ptr 0
		.amdhsa_user_sgpr_queue_ptr 0
		.amdhsa_user_sgpr_kernarg_segment_ptr 1
		.amdhsa_user_sgpr_dispatch_id 0
		.amdhsa_user_sgpr_private_segment_size 0
		.amdhsa_wavefront_size32 1
		.amdhsa_uses_dynamic_stack 0
		.amdhsa_enable_private_segment 0
		.amdhsa_system_sgpr_workgroup_id_x 1
		.amdhsa_system_sgpr_workgroup_id_y 0
		.amdhsa_system_sgpr_workgroup_id_z 0
		.amdhsa_system_sgpr_workgroup_info 0
		.amdhsa_system_vgpr_workitem_id 0
		.amdhsa_next_free_vgpr 1
		.amdhsa_next_free_sgpr 1
		.amdhsa_reserve_vcc 0
		.amdhsa_float_round_mode_32 0
		.amdhsa_float_round_mode_16_64 0
		.amdhsa_float_denorm_mode_32 3
		.amdhsa_float_denorm_mode_16_64 3
		.amdhsa_fp16_overflow 0
		.amdhsa_workgroup_processor_mode 1
		.amdhsa_memory_ordered 1
		.amdhsa_forward_progress 1
		.amdhsa_inst_pref_size 0
		.amdhsa_round_robin_scheduling 0
		.amdhsa_exception_fp_ieee_invalid_op 0
		.amdhsa_exception_fp_denorm_src 0
		.amdhsa_exception_fp_ieee_div_zero 0
		.amdhsa_exception_fp_ieee_overflow 0
		.amdhsa_exception_fp_ieee_underflow 0
		.amdhsa_exception_fp_ieee_inexact 0
		.amdhsa_exception_int_div_zero 0
	.end_amdhsa_kernel
	.section	.text._ZN7rocprim17ROCPRIM_400000_NS6detail17trampoline_kernelINS0_13select_configILj256ELj13ELNS0_17block_load_methodE3ELS4_3ELS4_3ELNS0_20block_scan_algorithmE0ELj4294967295EEENS1_25partition_config_selectorILNS1_17partition_subalgoE4EjNS0_10empty_typeEbEEZZNS1_14partition_implILS8_4ELb0ES6_15HIP_vector_typeIjLj2EENS0_17counting_iteratorIjlEEPS9_SG_NS0_5tupleIJPjSI_NS0_16reverse_iteratorISI_EEEEENSH_IJSG_SG_SG_EEES9_SI_JZNS1_25segmented_radix_sort_implINS0_14default_configELb0EPKiPiPKlPlN2at6native12_GLOBAL__N_18offset_tEEE10hipError_tPvRmT1_PNSt15iterator_traitsIS12_E10value_typeET2_T3_PNS13_IS18_E10value_typeET4_jRbjT5_S1E_jjP12ihipStream_tbEUljE_ZNSN_ISO_Lb0ESQ_SR_ST_SU_SY_EESZ_S10_S11_S12_S16_S17_S18_S1B_S1C_jS1D_jS1E_S1E_jjS1G_bEUljE0_EEESZ_S10_S11_S18_S1C_S1E_T6_T7_T9_mT8_S1G_bDpT10_ENKUlT_T0_E_clISt17integral_constantIbLb1EES1T_IbLb0EEEEDaS1P_S1Q_EUlS1P_E_NS1_11comp_targetILNS1_3genE2ELNS1_11target_archE906ELNS1_3gpuE6ELNS1_3repE0EEENS1_30default_config_static_selectorELNS0_4arch9wavefront6targetE0EEEvS12_,"axG",@progbits,_ZN7rocprim17ROCPRIM_400000_NS6detail17trampoline_kernelINS0_13select_configILj256ELj13ELNS0_17block_load_methodE3ELS4_3ELS4_3ELNS0_20block_scan_algorithmE0ELj4294967295EEENS1_25partition_config_selectorILNS1_17partition_subalgoE4EjNS0_10empty_typeEbEEZZNS1_14partition_implILS8_4ELb0ES6_15HIP_vector_typeIjLj2EENS0_17counting_iteratorIjlEEPS9_SG_NS0_5tupleIJPjSI_NS0_16reverse_iteratorISI_EEEEENSH_IJSG_SG_SG_EEES9_SI_JZNS1_25segmented_radix_sort_implINS0_14default_configELb0EPKiPiPKlPlN2at6native12_GLOBAL__N_18offset_tEEE10hipError_tPvRmT1_PNSt15iterator_traitsIS12_E10value_typeET2_T3_PNS13_IS18_E10value_typeET4_jRbjT5_S1E_jjP12ihipStream_tbEUljE_ZNSN_ISO_Lb0ESQ_SR_ST_SU_SY_EESZ_S10_S11_S12_S16_S17_S18_S1B_S1C_jS1D_jS1E_S1E_jjS1G_bEUljE0_EEESZ_S10_S11_S18_S1C_S1E_T6_T7_T9_mT8_S1G_bDpT10_ENKUlT_T0_E_clISt17integral_constantIbLb1EES1T_IbLb0EEEEDaS1P_S1Q_EUlS1P_E_NS1_11comp_targetILNS1_3genE2ELNS1_11target_archE906ELNS1_3gpuE6ELNS1_3repE0EEENS1_30default_config_static_selectorELNS0_4arch9wavefront6targetE0EEEvS12_,comdat
.Lfunc_end556:
	.size	_ZN7rocprim17ROCPRIM_400000_NS6detail17trampoline_kernelINS0_13select_configILj256ELj13ELNS0_17block_load_methodE3ELS4_3ELS4_3ELNS0_20block_scan_algorithmE0ELj4294967295EEENS1_25partition_config_selectorILNS1_17partition_subalgoE4EjNS0_10empty_typeEbEEZZNS1_14partition_implILS8_4ELb0ES6_15HIP_vector_typeIjLj2EENS0_17counting_iteratorIjlEEPS9_SG_NS0_5tupleIJPjSI_NS0_16reverse_iteratorISI_EEEEENSH_IJSG_SG_SG_EEES9_SI_JZNS1_25segmented_radix_sort_implINS0_14default_configELb0EPKiPiPKlPlN2at6native12_GLOBAL__N_18offset_tEEE10hipError_tPvRmT1_PNSt15iterator_traitsIS12_E10value_typeET2_T3_PNS13_IS18_E10value_typeET4_jRbjT5_S1E_jjP12ihipStream_tbEUljE_ZNSN_ISO_Lb0ESQ_SR_ST_SU_SY_EESZ_S10_S11_S12_S16_S17_S18_S1B_S1C_jS1D_jS1E_S1E_jjS1G_bEUljE0_EEESZ_S10_S11_S18_S1C_S1E_T6_T7_T9_mT8_S1G_bDpT10_ENKUlT_T0_E_clISt17integral_constantIbLb1EES1T_IbLb0EEEEDaS1P_S1Q_EUlS1P_E_NS1_11comp_targetILNS1_3genE2ELNS1_11target_archE906ELNS1_3gpuE6ELNS1_3repE0EEENS1_30default_config_static_selectorELNS0_4arch9wavefront6targetE0EEEvS12_, .Lfunc_end556-_ZN7rocprim17ROCPRIM_400000_NS6detail17trampoline_kernelINS0_13select_configILj256ELj13ELNS0_17block_load_methodE3ELS4_3ELS4_3ELNS0_20block_scan_algorithmE0ELj4294967295EEENS1_25partition_config_selectorILNS1_17partition_subalgoE4EjNS0_10empty_typeEbEEZZNS1_14partition_implILS8_4ELb0ES6_15HIP_vector_typeIjLj2EENS0_17counting_iteratorIjlEEPS9_SG_NS0_5tupleIJPjSI_NS0_16reverse_iteratorISI_EEEEENSH_IJSG_SG_SG_EEES9_SI_JZNS1_25segmented_radix_sort_implINS0_14default_configELb0EPKiPiPKlPlN2at6native12_GLOBAL__N_18offset_tEEE10hipError_tPvRmT1_PNSt15iterator_traitsIS12_E10value_typeET2_T3_PNS13_IS18_E10value_typeET4_jRbjT5_S1E_jjP12ihipStream_tbEUljE_ZNSN_ISO_Lb0ESQ_SR_ST_SU_SY_EESZ_S10_S11_S12_S16_S17_S18_S1B_S1C_jS1D_jS1E_S1E_jjS1G_bEUljE0_EEESZ_S10_S11_S18_S1C_S1E_T6_T7_T9_mT8_S1G_bDpT10_ENKUlT_T0_E_clISt17integral_constantIbLb1EES1T_IbLb0EEEEDaS1P_S1Q_EUlS1P_E_NS1_11comp_targetILNS1_3genE2ELNS1_11target_archE906ELNS1_3gpuE6ELNS1_3repE0EEENS1_30default_config_static_selectorELNS0_4arch9wavefront6targetE0EEEvS12_
                                        ; -- End function
	.set _ZN7rocprim17ROCPRIM_400000_NS6detail17trampoline_kernelINS0_13select_configILj256ELj13ELNS0_17block_load_methodE3ELS4_3ELS4_3ELNS0_20block_scan_algorithmE0ELj4294967295EEENS1_25partition_config_selectorILNS1_17partition_subalgoE4EjNS0_10empty_typeEbEEZZNS1_14partition_implILS8_4ELb0ES6_15HIP_vector_typeIjLj2EENS0_17counting_iteratorIjlEEPS9_SG_NS0_5tupleIJPjSI_NS0_16reverse_iteratorISI_EEEEENSH_IJSG_SG_SG_EEES9_SI_JZNS1_25segmented_radix_sort_implINS0_14default_configELb0EPKiPiPKlPlN2at6native12_GLOBAL__N_18offset_tEEE10hipError_tPvRmT1_PNSt15iterator_traitsIS12_E10value_typeET2_T3_PNS13_IS18_E10value_typeET4_jRbjT5_S1E_jjP12ihipStream_tbEUljE_ZNSN_ISO_Lb0ESQ_SR_ST_SU_SY_EESZ_S10_S11_S12_S16_S17_S18_S1B_S1C_jS1D_jS1E_S1E_jjS1G_bEUljE0_EEESZ_S10_S11_S18_S1C_S1E_T6_T7_T9_mT8_S1G_bDpT10_ENKUlT_T0_E_clISt17integral_constantIbLb1EES1T_IbLb0EEEEDaS1P_S1Q_EUlS1P_E_NS1_11comp_targetILNS1_3genE2ELNS1_11target_archE906ELNS1_3gpuE6ELNS1_3repE0EEENS1_30default_config_static_selectorELNS0_4arch9wavefront6targetE0EEEvS12_.num_vgpr, 0
	.set _ZN7rocprim17ROCPRIM_400000_NS6detail17trampoline_kernelINS0_13select_configILj256ELj13ELNS0_17block_load_methodE3ELS4_3ELS4_3ELNS0_20block_scan_algorithmE0ELj4294967295EEENS1_25partition_config_selectorILNS1_17partition_subalgoE4EjNS0_10empty_typeEbEEZZNS1_14partition_implILS8_4ELb0ES6_15HIP_vector_typeIjLj2EENS0_17counting_iteratorIjlEEPS9_SG_NS0_5tupleIJPjSI_NS0_16reverse_iteratorISI_EEEEENSH_IJSG_SG_SG_EEES9_SI_JZNS1_25segmented_radix_sort_implINS0_14default_configELb0EPKiPiPKlPlN2at6native12_GLOBAL__N_18offset_tEEE10hipError_tPvRmT1_PNSt15iterator_traitsIS12_E10value_typeET2_T3_PNS13_IS18_E10value_typeET4_jRbjT5_S1E_jjP12ihipStream_tbEUljE_ZNSN_ISO_Lb0ESQ_SR_ST_SU_SY_EESZ_S10_S11_S12_S16_S17_S18_S1B_S1C_jS1D_jS1E_S1E_jjS1G_bEUljE0_EEESZ_S10_S11_S18_S1C_S1E_T6_T7_T9_mT8_S1G_bDpT10_ENKUlT_T0_E_clISt17integral_constantIbLb1EES1T_IbLb0EEEEDaS1P_S1Q_EUlS1P_E_NS1_11comp_targetILNS1_3genE2ELNS1_11target_archE906ELNS1_3gpuE6ELNS1_3repE0EEENS1_30default_config_static_selectorELNS0_4arch9wavefront6targetE0EEEvS12_.num_agpr, 0
	.set _ZN7rocprim17ROCPRIM_400000_NS6detail17trampoline_kernelINS0_13select_configILj256ELj13ELNS0_17block_load_methodE3ELS4_3ELS4_3ELNS0_20block_scan_algorithmE0ELj4294967295EEENS1_25partition_config_selectorILNS1_17partition_subalgoE4EjNS0_10empty_typeEbEEZZNS1_14partition_implILS8_4ELb0ES6_15HIP_vector_typeIjLj2EENS0_17counting_iteratorIjlEEPS9_SG_NS0_5tupleIJPjSI_NS0_16reverse_iteratorISI_EEEEENSH_IJSG_SG_SG_EEES9_SI_JZNS1_25segmented_radix_sort_implINS0_14default_configELb0EPKiPiPKlPlN2at6native12_GLOBAL__N_18offset_tEEE10hipError_tPvRmT1_PNSt15iterator_traitsIS12_E10value_typeET2_T3_PNS13_IS18_E10value_typeET4_jRbjT5_S1E_jjP12ihipStream_tbEUljE_ZNSN_ISO_Lb0ESQ_SR_ST_SU_SY_EESZ_S10_S11_S12_S16_S17_S18_S1B_S1C_jS1D_jS1E_S1E_jjS1G_bEUljE0_EEESZ_S10_S11_S18_S1C_S1E_T6_T7_T9_mT8_S1G_bDpT10_ENKUlT_T0_E_clISt17integral_constantIbLb1EES1T_IbLb0EEEEDaS1P_S1Q_EUlS1P_E_NS1_11comp_targetILNS1_3genE2ELNS1_11target_archE906ELNS1_3gpuE6ELNS1_3repE0EEENS1_30default_config_static_selectorELNS0_4arch9wavefront6targetE0EEEvS12_.numbered_sgpr, 0
	.set _ZN7rocprim17ROCPRIM_400000_NS6detail17trampoline_kernelINS0_13select_configILj256ELj13ELNS0_17block_load_methodE3ELS4_3ELS4_3ELNS0_20block_scan_algorithmE0ELj4294967295EEENS1_25partition_config_selectorILNS1_17partition_subalgoE4EjNS0_10empty_typeEbEEZZNS1_14partition_implILS8_4ELb0ES6_15HIP_vector_typeIjLj2EENS0_17counting_iteratorIjlEEPS9_SG_NS0_5tupleIJPjSI_NS0_16reverse_iteratorISI_EEEEENSH_IJSG_SG_SG_EEES9_SI_JZNS1_25segmented_radix_sort_implINS0_14default_configELb0EPKiPiPKlPlN2at6native12_GLOBAL__N_18offset_tEEE10hipError_tPvRmT1_PNSt15iterator_traitsIS12_E10value_typeET2_T3_PNS13_IS18_E10value_typeET4_jRbjT5_S1E_jjP12ihipStream_tbEUljE_ZNSN_ISO_Lb0ESQ_SR_ST_SU_SY_EESZ_S10_S11_S12_S16_S17_S18_S1B_S1C_jS1D_jS1E_S1E_jjS1G_bEUljE0_EEESZ_S10_S11_S18_S1C_S1E_T6_T7_T9_mT8_S1G_bDpT10_ENKUlT_T0_E_clISt17integral_constantIbLb1EES1T_IbLb0EEEEDaS1P_S1Q_EUlS1P_E_NS1_11comp_targetILNS1_3genE2ELNS1_11target_archE906ELNS1_3gpuE6ELNS1_3repE0EEENS1_30default_config_static_selectorELNS0_4arch9wavefront6targetE0EEEvS12_.num_named_barrier, 0
	.set _ZN7rocprim17ROCPRIM_400000_NS6detail17trampoline_kernelINS0_13select_configILj256ELj13ELNS0_17block_load_methodE3ELS4_3ELS4_3ELNS0_20block_scan_algorithmE0ELj4294967295EEENS1_25partition_config_selectorILNS1_17partition_subalgoE4EjNS0_10empty_typeEbEEZZNS1_14partition_implILS8_4ELb0ES6_15HIP_vector_typeIjLj2EENS0_17counting_iteratorIjlEEPS9_SG_NS0_5tupleIJPjSI_NS0_16reverse_iteratorISI_EEEEENSH_IJSG_SG_SG_EEES9_SI_JZNS1_25segmented_radix_sort_implINS0_14default_configELb0EPKiPiPKlPlN2at6native12_GLOBAL__N_18offset_tEEE10hipError_tPvRmT1_PNSt15iterator_traitsIS12_E10value_typeET2_T3_PNS13_IS18_E10value_typeET4_jRbjT5_S1E_jjP12ihipStream_tbEUljE_ZNSN_ISO_Lb0ESQ_SR_ST_SU_SY_EESZ_S10_S11_S12_S16_S17_S18_S1B_S1C_jS1D_jS1E_S1E_jjS1G_bEUljE0_EEESZ_S10_S11_S18_S1C_S1E_T6_T7_T9_mT8_S1G_bDpT10_ENKUlT_T0_E_clISt17integral_constantIbLb1EES1T_IbLb0EEEEDaS1P_S1Q_EUlS1P_E_NS1_11comp_targetILNS1_3genE2ELNS1_11target_archE906ELNS1_3gpuE6ELNS1_3repE0EEENS1_30default_config_static_selectorELNS0_4arch9wavefront6targetE0EEEvS12_.private_seg_size, 0
	.set _ZN7rocprim17ROCPRIM_400000_NS6detail17trampoline_kernelINS0_13select_configILj256ELj13ELNS0_17block_load_methodE3ELS4_3ELS4_3ELNS0_20block_scan_algorithmE0ELj4294967295EEENS1_25partition_config_selectorILNS1_17partition_subalgoE4EjNS0_10empty_typeEbEEZZNS1_14partition_implILS8_4ELb0ES6_15HIP_vector_typeIjLj2EENS0_17counting_iteratorIjlEEPS9_SG_NS0_5tupleIJPjSI_NS0_16reverse_iteratorISI_EEEEENSH_IJSG_SG_SG_EEES9_SI_JZNS1_25segmented_radix_sort_implINS0_14default_configELb0EPKiPiPKlPlN2at6native12_GLOBAL__N_18offset_tEEE10hipError_tPvRmT1_PNSt15iterator_traitsIS12_E10value_typeET2_T3_PNS13_IS18_E10value_typeET4_jRbjT5_S1E_jjP12ihipStream_tbEUljE_ZNSN_ISO_Lb0ESQ_SR_ST_SU_SY_EESZ_S10_S11_S12_S16_S17_S18_S1B_S1C_jS1D_jS1E_S1E_jjS1G_bEUljE0_EEESZ_S10_S11_S18_S1C_S1E_T6_T7_T9_mT8_S1G_bDpT10_ENKUlT_T0_E_clISt17integral_constantIbLb1EES1T_IbLb0EEEEDaS1P_S1Q_EUlS1P_E_NS1_11comp_targetILNS1_3genE2ELNS1_11target_archE906ELNS1_3gpuE6ELNS1_3repE0EEENS1_30default_config_static_selectorELNS0_4arch9wavefront6targetE0EEEvS12_.uses_vcc, 0
	.set _ZN7rocprim17ROCPRIM_400000_NS6detail17trampoline_kernelINS0_13select_configILj256ELj13ELNS0_17block_load_methodE3ELS4_3ELS4_3ELNS0_20block_scan_algorithmE0ELj4294967295EEENS1_25partition_config_selectorILNS1_17partition_subalgoE4EjNS0_10empty_typeEbEEZZNS1_14partition_implILS8_4ELb0ES6_15HIP_vector_typeIjLj2EENS0_17counting_iteratorIjlEEPS9_SG_NS0_5tupleIJPjSI_NS0_16reverse_iteratorISI_EEEEENSH_IJSG_SG_SG_EEES9_SI_JZNS1_25segmented_radix_sort_implINS0_14default_configELb0EPKiPiPKlPlN2at6native12_GLOBAL__N_18offset_tEEE10hipError_tPvRmT1_PNSt15iterator_traitsIS12_E10value_typeET2_T3_PNS13_IS18_E10value_typeET4_jRbjT5_S1E_jjP12ihipStream_tbEUljE_ZNSN_ISO_Lb0ESQ_SR_ST_SU_SY_EESZ_S10_S11_S12_S16_S17_S18_S1B_S1C_jS1D_jS1E_S1E_jjS1G_bEUljE0_EEESZ_S10_S11_S18_S1C_S1E_T6_T7_T9_mT8_S1G_bDpT10_ENKUlT_T0_E_clISt17integral_constantIbLb1EES1T_IbLb0EEEEDaS1P_S1Q_EUlS1P_E_NS1_11comp_targetILNS1_3genE2ELNS1_11target_archE906ELNS1_3gpuE6ELNS1_3repE0EEENS1_30default_config_static_selectorELNS0_4arch9wavefront6targetE0EEEvS12_.uses_flat_scratch, 0
	.set _ZN7rocprim17ROCPRIM_400000_NS6detail17trampoline_kernelINS0_13select_configILj256ELj13ELNS0_17block_load_methodE3ELS4_3ELS4_3ELNS0_20block_scan_algorithmE0ELj4294967295EEENS1_25partition_config_selectorILNS1_17partition_subalgoE4EjNS0_10empty_typeEbEEZZNS1_14partition_implILS8_4ELb0ES6_15HIP_vector_typeIjLj2EENS0_17counting_iteratorIjlEEPS9_SG_NS0_5tupleIJPjSI_NS0_16reverse_iteratorISI_EEEEENSH_IJSG_SG_SG_EEES9_SI_JZNS1_25segmented_radix_sort_implINS0_14default_configELb0EPKiPiPKlPlN2at6native12_GLOBAL__N_18offset_tEEE10hipError_tPvRmT1_PNSt15iterator_traitsIS12_E10value_typeET2_T3_PNS13_IS18_E10value_typeET4_jRbjT5_S1E_jjP12ihipStream_tbEUljE_ZNSN_ISO_Lb0ESQ_SR_ST_SU_SY_EESZ_S10_S11_S12_S16_S17_S18_S1B_S1C_jS1D_jS1E_S1E_jjS1G_bEUljE0_EEESZ_S10_S11_S18_S1C_S1E_T6_T7_T9_mT8_S1G_bDpT10_ENKUlT_T0_E_clISt17integral_constantIbLb1EES1T_IbLb0EEEEDaS1P_S1Q_EUlS1P_E_NS1_11comp_targetILNS1_3genE2ELNS1_11target_archE906ELNS1_3gpuE6ELNS1_3repE0EEENS1_30default_config_static_selectorELNS0_4arch9wavefront6targetE0EEEvS12_.has_dyn_sized_stack, 0
	.set _ZN7rocprim17ROCPRIM_400000_NS6detail17trampoline_kernelINS0_13select_configILj256ELj13ELNS0_17block_load_methodE3ELS4_3ELS4_3ELNS0_20block_scan_algorithmE0ELj4294967295EEENS1_25partition_config_selectorILNS1_17partition_subalgoE4EjNS0_10empty_typeEbEEZZNS1_14partition_implILS8_4ELb0ES6_15HIP_vector_typeIjLj2EENS0_17counting_iteratorIjlEEPS9_SG_NS0_5tupleIJPjSI_NS0_16reverse_iteratorISI_EEEEENSH_IJSG_SG_SG_EEES9_SI_JZNS1_25segmented_radix_sort_implINS0_14default_configELb0EPKiPiPKlPlN2at6native12_GLOBAL__N_18offset_tEEE10hipError_tPvRmT1_PNSt15iterator_traitsIS12_E10value_typeET2_T3_PNS13_IS18_E10value_typeET4_jRbjT5_S1E_jjP12ihipStream_tbEUljE_ZNSN_ISO_Lb0ESQ_SR_ST_SU_SY_EESZ_S10_S11_S12_S16_S17_S18_S1B_S1C_jS1D_jS1E_S1E_jjS1G_bEUljE0_EEESZ_S10_S11_S18_S1C_S1E_T6_T7_T9_mT8_S1G_bDpT10_ENKUlT_T0_E_clISt17integral_constantIbLb1EES1T_IbLb0EEEEDaS1P_S1Q_EUlS1P_E_NS1_11comp_targetILNS1_3genE2ELNS1_11target_archE906ELNS1_3gpuE6ELNS1_3repE0EEENS1_30default_config_static_selectorELNS0_4arch9wavefront6targetE0EEEvS12_.has_recursion, 0
	.set _ZN7rocprim17ROCPRIM_400000_NS6detail17trampoline_kernelINS0_13select_configILj256ELj13ELNS0_17block_load_methodE3ELS4_3ELS4_3ELNS0_20block_scan_algorithmE0ELj4294967295EEENS1_25partition_config_selectorILNS1_17partition_subalgoE4EjNS0_10empty_typeEbEEZZNS1_14partition_implILS8_4ELb0ES6_15HIP_vector_typeIjLj2EENS0_17counting_iteratorIjlEEPS9_SG_NS0_5tupleIJPjSI_NS0_16reverse_iteratorISI_EEEEENSH_IJSG_SG_SG_EEES9_SI_JZNS1_25segmented_radix_sort_implINS0_14default_configELb0EPKiPiPKlPlN2at6native12_GLOBAL__N_18offset_tEEE10hipError_tPvRmT1_PNSt15iterator_traitsIS12_E10value_typeET2_T3_PNS13_IS18_E10value_typeET4_jRbjT5_S1E_jjP12ihipStream_tbEUljE_ZNSN_ISO_Lb0ESQ_SR_ST_SU_SY_EESZ_S10_S11_S12_S16_S17_S18_S1B_S1C_jS1D_jS1E_S1E_jjS1G_bEUljE0_EEESZ_S10_S11_S18_S1C_S1E_T6_T7_T9_mT8_S1G_bDpT10_ENKUlT_T0_E_clISt17integral_constantIbLb1EES1T_IbLb0EEEEDaS1P_S1Q_EUlS1P_E_NS1_11comp_targetILNS1_3genE2ELNS1_11target_archE906ELNS1_3gpuE6ELNS1_3repE0EEENS1_30default_config_static_selectorELNS0_4arch9wavefront6targetE0EEEvS12_.has_indirect_call, 0
	.section	.AMDGPU.csdata,"",@progbits
; Kernel info:
; codeLenInByte = 0
; TotalNumSgprs: 0
; NumVgprs: 0
; ScratchSize: 0
; MemoryBound: 0
; FloatMode: 240
; IeeeMode: 1
; LDSByteSize: 0 bytes/workgroup (compile time only)
; SGPRBlocks: 0
; VGPRBlocks: 0
; NumSGPRsForWavesPerEU: 1
; NumVGPRsForWavesPerEU: 1
; Occupancy: 16
; WaveLimiterHint : 0
; COMPUTE_PGM_RSRC2:SCRATCH_EN: 0
; COMPUTE_PGM_RSRC2:USER_SGPR: 2
; COMPUTE_PGM_RSRC2:TRAP_HANDLER: 0
; COMPUTE_PGM_RSRC2:TGID_X_EN: 1
; COMPUTE_PGM_RSRC2:TGID_Y_EN: 0
; COMPUTE_PGM_RSRC2:TGID_Z_EN: 0
; COMPUTE_PGM_RSRC2:TIDIG_COMP_CNT: 0
	.section	.text._ZN7rocprim17ROCPRIM_400000_NS6detail17trampoline_kernelINS0_13select_configILj256ELj13ELNS0_17block_load_methodE3ELS4_3ELS4_3ELNS0_20block_scan_algorithmE0ELj4294967295EEENS1_25partition_config_selectorILNS1_17partition_subalgoE4EjNS0_10empty_typeEbEEZZNS1_14partition_implILS8_4ELb0ES6_15HIP_vector_typeIjLj2EENS0_17counting_iteratorIjlEEPS9_SG_NS0_5tupleIJPjSI_NS0_16reverse_iteratorISI_EEEEENSH_IJSG_SG_SG_EEES9_SI_JZNS1_25segmented_radix_sort_implINS0_14default_configELb0EPKiPiPKlPlN2at6native12_GLOBAL__N_18offset_tEEE10hipError_tPvRmT1_PNSt15iterator_traitsIS12_E10value_typeET2_T3_PNS13_IS18_E10value_typeET4_jRbjT5_S1E_jjP12ihipStream_tbEUljE_ZNSN_ISO_Lb0ESQ_SR_ST_SU_SY_EESZ_S10_S11_S12_S16_S17_S18_S1B_S1C_jS1D_jS1E_S1E_jjS1G_bEUljE0_EEESZ_S10_S11_S18_S1C_S1E_T6_T7_T9_mT8_S1G_bDpT10_ENKUlT_T0_E_clISt17integral_constantIbLb1EES1T_IbLb0EEEEDaS1P_S1Q_EUlS1P_E_NS1_11comp_targetILNS1_3genE10ELNS1_11target_archE1200ELNS1_3gpuE4ELNS1_3repE0EEENS1_30default_config_static_selectorELNS0_4arch9wavefront6targetE0EEEvS12_,"axG",@progbits,_ZN7rocprim17ROCPRIM_400000_NS6detail17trampoline_kernelINS0_13select_configILj256ELj13ELNS0_17block_load_methodE3ELS4_3ELS4_3ELNS0_20block_scan_algorithmE0ELj4294967295EEENS1_25partition_config_selectorILNS1_17partition_subalgoE4EjNS0_10empty_typeEbEEZZNS1_14partition_implILS8_4ELb0ES6_15HIP_vector_typeIjLj2EENS0_17counting_iteratorIjlEEPS9_SG_NS0_5tupleIJPjSI_NS0_16reverse_iteratorISI_EEEEENSH_IJSG_SG_SG_EEES9_SI_JZNS1_25segmented_radix_sort_implINS0_14default_configELb0EPKiPiPKlPlN2at6native12_GLOBAL__N_18offset_tEEE10hipError_tPvRmT1_PNSt15iterator_traitsIS12_E10value_typeET2_T3_PNS13_IS18_E10value_typeET4_jRbjT5_S1E_jjP12ihipStream_tbEUljE_ZNSN_ISO_Lb0ESQ_SR_ST_SU_SY_EESZ_S10_S11_S12_S16_S17_S18_S1B_S1C_jS1D_jS1E_S1E_jjS1G_bEUljE0_EEESZ_S10_S11_S18_S1C_S1E_T6_T7_T9_mT8_S1G_bDpT10_ENKUlT_T0_E_clISt17integral_constantIbLb1EES1T_IbLb0EEEEDaS1P_S1Q_EUlS1P_E_NS1_11comp_targetILNS1_3genE10ELNS1_11target_archE1200ELNS1_3gpuE4ELNS1_3repE0EEENS1_30default_config_static_selectorELNS0_4arch9wavefront6targetE0EEEvS12_,comdat
	.globl	_ZN7rocprim17ROCPRIM_400000_NS6detail17trampoline_kernelINS0_13select_configILj256ELj13ELNS0_17block_load_methodE3ELS4_3ELS4_3ELNS0_20block_scan_algorithmE0ELj4294967295EEENS1_25partition_config_selectorILNS1_17partition_subalgoE4EjNS0_10empty_typeEbEEZZNS1_14partition_implILS8_4ELb0ES6_15HIP_vector_typeIjLj2EENS0_17counting_iteratorIjlEEPS9_SG_NS0_5tupleIJPjSI_NS0_16reverse_iteratorISI_EEEEENSH_IJSG_SG_SG_EEES9_SI_JZNS1_25segmented_radix_sort_implINS0_14default_configELb0EPKiPiPKlPlN2at6native12_GLOBAL__N_18offset_tEEE10hipError_tPvRmT1_PNSt15iterator_traitsIS12_E10value_typeET2_T3_PNS13_IS18_E10value_typeET4_jRbjT5_S1E_jjP12ihipStream_tbEUljE_ZNSN_ISO_Lb0ESQ_SR_ST_SU_SY_EESZ_S10_S11_S12_S16_S17_S18_S1B_S1C_jS1D_jS1E_S1E_jjS1G_bEUljE0_EEESZ_S10_S11_S18_S1C_S1E_T6_T7_T9_mT8_S1G_bDpT10_ENKUlT_T0_E_clISt17integral_constantIbLb1EES1T_IbLb0EEEEDaS1P_S1Q_EUlS1P_E_NS1_11comp_targetILNS1_3genE10ELNS1_11target_archE1200ELNS1_3gpuE4ELNS1_3repE0EEENS1_30default_config_static_selectorELNS0_4arch9wavefront6targetE0EEEvS12_ ; -- Begin function _ZN7rocprim17ROCPRIM_400000_NS6detail17trampoline_kernelINS0_13select_configILj256ELj13ELNS0_17block_load_methodE3ELS4_3ELS4_3ELNS0_20block_scan_algorithmE0ELj4294967295EEENS1_25partition_config_selectorILNS1_17partition_subalgoE4EjNS0_10empty_typeEbEEZZNS1_14partition_implILS8_4ELb0ES6_15HIP_vector_typeIjLj2EENS0_17counting_iteratorIjlEEPS9_SG_NS0_5tupleIJPjSI_NS0_16reverse_iteratorISI_EEEEENSH_IJSG_SG_SG_EEES9_SI_JZNS1_25segmented_radix_sort_implINS0_14default_configELb0EPKiPiPKlPlN2at6native12_GLOBAL__N_18offset_tEEE10hipError_tPvRmT1_PNSt15iterator_traitsIS12_E10value_typeET2_T3_PNS13_IS18_E10value_typeET4_jRbjT5_S1E_jjP12ihipStream_tbEUljE_ZNSN_ISO_Lb0ESQ_SR_ST_SU_SY_EESZ_S10_S11_S12_S16_S17_S18_S1B_S1C_jS1D_jS1E_S1E_jjS1G_bEUljE0_EEESZ_S10_S11_S18_S1C_S1E_T6_T7_T9_mT8_S1G_bDpT10_ENKUlT_T0_E_clISt17integral_constantIbLb1EES1T_IbLb0EEEEDaS1P_S1Q_EUlS1P_E_NS1_11comp_targetILNS1_3genE10ELNS1_11target_archE1200ELNS1_3gpuE4ELNS1_3repE0EEENS1_30default_config_static_selectorELNS0_4arch9wavefront6targetE0EEEvS12_
	.p2align	8
	.type	_ZN7rocprim17ROCPRIM_400000_NS6detail17trampoline_kernelINS0_13select_configILj256ELj13ELNS0_17block_load_methodE3ELS4_3ELS4_3ELNS0_20block_scan_algorithmE0ELj4294967295EEENS1_25partition_config_selectorILNS1_17partition_subalgoE4EjNS0_10empty_typeEbEEZZNS1_14partition_implILS8_4ELb0ES6_15HIP_vector_typeIjLj2EENS0_17counting_iteratorIjlEEPS9_SG_NS0_5tupleIJPjSI_NS0_16reverse_iteratorISI_EEEEENSH_IJSG_SG_SG_EEES9_SI_JZNS1_25segmented_radix_sort_implINS0_14default_configELb0EPKiPiPKlPlN2at6native12_GLOBAL__N_18offset_tEEE10hipError_tPvRmT1_PNSt15iterator_traitsIS12_E10value_typeET2_T3_PNS13_IS18_E10value_typeET4_jRbjT5_S1E_jjP12ihipStream_tbEUljE_ZNSN_ISO_Lb0ESQ_SR_ST_SU_SY_EESZ_S10_S11_S12_S16_S17_S18_S1B_S1C_jS1D_jS1E_S1E_jjS1G_bEUljE0_EEESZ_S10_S11_S18_S1C_S1E_T6_T7_T9_mT8_S1G_bDpT10_ENKUlT_T0_E_clISt17integral_constantIbLb1EES1T_IbLb0EEEEDaS1P_S1Q_EUlS1P_E_NS1_11comp_targetILNS1_3genE10ELNS1_11target_archE1200ELNS1_3gpuE4ELNS1_3repE0EEENS1_30default_config_static_selectorELNS0_4arch9wavefront6targetE0EEEvS12_,@function
_ZN7rocprim17ROCPRIM_400000_NS6detail17trampoline_kernelINS0_13select_configILj256ELj13ELNS0_17block_load_methodE3ELS4_3ELS4_3ELNS0_20block_scan_algorithmE0ELj4294967295EEENS1_25partition_config_selectorILNS1_17partition_subalgoE4EjNS0_10empty_typeEbEEZZNS1_14partition_implILS8_4ELb0ES6_15HIP_vector_typeIjLj2EENS0_17counting_iteratorIjlEEPS9_SG_NS0_5tupleIJPjSI_NS0_16reverse_iteratorISI_EEEEENSH_IJSG_SG_SG_EEES9_SI_JZNS1_25segmented_radix_sort_implINS0_14default_configELb0EPKiPiPKlPlN2at6native12_GLOBAL__N_18offset_tEEE10hipError_tPvRmT1_PNSt15iterator_traitsIS12_E10value_typeET2_T3_PNS13_IS18_E10value_typeET4_jRbjT5_S1E_jjP12ihipStream_tbEUljE_ZNSN_ISO_Lb0ESQ_SR_ST_SU_SY_EESZ_S10_S11_S12_S16_S17_S18_S1B_S1C_jS1D_jS1E_S1E_jjS1G_bEUljE0_EEESZ_S10_S11_S18_S1C_S1E_T6_T7_T9_mT8_S1G_bDpT10_ENKUlT_T0_E_clISt17integral_constantIbLb1EES1T_IbLb0EEEEDaS1P_S1Q_EUlS1P_E_NS1_11comp_targetILNS1_3genE10ELNS1_11target_archE1200ELNS1_3gpuE4ELNS1_3repE0EEENS1_30default_config_static_selectorELNS0_4arch9wavefront6targetE0EEEvS12_: ; @_ZN7rocprim17ROCPRIM_400000_NS6detail17trampoline_kernelINS0_13select_configILj256ELj13ELNS0_17block_load_methodE3ELS4_3ELS4_3ELNS0_20block_scan_algorithmE0ELj4294967295EEENS1_25partition_config_selectorILNS1_17partition_subalgoE4EjNS0_10empty_typeEbEEZZNS1_14partition_implILS8_4ELb0ES6_15HIP_vector_typeIjLj2EENS0_17counting_iteratorIjlEEPS9_SG_NS0_5tupleIJPjSI_NS0_16reverse_iteratorISI_EEEEENSH_IJSG_SG_SG_EEES9_SI_JZNS1_25segmented_radix_sort_implINS0_14default_configELb0EPKiPiPKlPlN2at6native12_GLOBAL__N_18offset_tEEE10hipError_tPvRmT1_PNSt15iterator_traitsIS12_E10value_typeET2_T3_PNS13_IS18_E10value_typeET4_jRbjT5_S1E_jjP12ihipStream_tbEUljE_ZNSN_ISO_Lb0ESQ_SR_ST_SU_SY_EESZ_S10_S11_S12_S16_S17_S18_S1B_S1C_jS1D_jS1E_S1E_jjS1G_bEUljE0_EEESZ_S10_S11_S18_S1C_S1E_T6_T7_T9_mT8_S1G_bDpT10_ENKUlT_T0_E_clISt17integral_constantIbLb1EES1T_IbLb0EEEEDaS1P_S1Q_EUlS1P_E_NS1_11comp_targetILNS1_3genE10ELNS1_11target_archE1200ELNS1_3gpuE4ELNS1_3repE0EEENS1_30default_config_static_selectorELNS0_4arch9wavefront6targetE0EEEvS12_
; %bb.0:
	s_endpgm
	.section	.rodata,"a",@progbits
	.p2align	6, 0x0
	.amdhsa_kernel _ZN7rocprim17ROCPRIM_400000_NS6detail17trampoline_kernelINS0_13select_configILj256ELj13ELNS0_17block_load_methodE3ELS4_3ELS4_3ELNS0_20block_scan_algorithmE0ELj4294967295EEENS1_25partition_config_selectorILNS1_17partition_subalgoE4EjNS0_10empty_typeEbEEZZNS1_14partition_implILS8_4ELb0ES6_15HIP_vector_typeIjLj2EENS0_17counting_iteratorIjlEEPS9_SG_NS0_5tupleIJPjSI_NS0_16reverse_iteratorISI_EEEEENSH_IJSG_SG_SG_EEES9_SI_JZNS1_25segmented_radix_sort_implINS0_14default_configELb0EPKiPiPKlPlN2at6native12_GLOBAL__N_18offset_tEEE10hipError_tPvRmT1_PNSt15iterator_traitsIS12_E10value_typeET2_T3_PNS13_IS18_E10value_typeET4_jRbjT5_S1E_jjP12ihipStream_tbEUljE_ZNSN_ISO_Lb0ESQ_SR_ST_SU_SY_EESZ_S10_S11_S12_S16_S17_S18_S1B_S1C_jS1D_jS1E_S1E_jjS1G_bEUljE0_EEESZ_S10_S11_S18_S1C_S1E_T6_T7_T9_mT8_S1G_bDpT10_ENKUlT_T0_E_clISt17integral_constantIbLb1EES1T_IbLb0EEEEDaS1P_S1Q_EUlS1P_E_NS1_11comp_targetILNS1_3genE10ELNS1_11target_archE1200ELNS1_3gpuE4ELNS1_3repE0EEENS1_30default_config_static_selectorELNS0_4arch9wavefront6targetE0EEEvS12_
		.amdhsa_group_segment_fixed_size 0
		.amdhsa_private_segment_fixed_size 0
		.amdhsa_kernarg_size 176
		.amdhsa_user_sgpr_count 2
		.amdhsa_user_sgpr_dispatch_ptr 0
		.amdhsa_user_sgpr_queue_ptr 0
		.amdhsa_user_sgpr_kernarg_segment_ptr 1
		.amdhsa_user_sgpr_dispatch_id 0
		.amdhsa_user_sgpr_private_segment_size 0
		.amdhsa_wavefront_size32 1
		.amdhsa_uses_dynamic_stack 0
		.amdhsa_enable_private_segment 0
		.amdhsa_system_sgpr_workgroup_id_x 1
		.amdhsa_system_sgpr_workgroup_id_y 0
		.amdhsa_system_sgpr_workgroup_id_z 0
		.amdhsa_system_sgpr_workgroup_info 0
		.amdhsa_system_vgpr_workitem_id 0
		.amdhsa_next_free_vgpr 1
		.amdhsa_next_free_sgpr 1
		.amdhsa_reserve_vcc 0
		.amdhsa_float_round_mode_32 0
		.amdhsa_float_round_mode_16_64 0
		.amdhsa_float_denorm_mode_32 3
		.amdhsa_float_denorm_mode_16_64 3
		.amdhsa_fp16_overflow 0
		.amdhsa_workgroup_processor_mode 1
		.amdhsa_memory_ordered 1
		.amdhsa_forward_progress 1
		.amdhsa_inst_pref_size 1
		.amdhsa_round_robin_scheduling 0
		.amdhsa_exception_fp_ieee_invalid_op 0
		.amdhsa_exception_fp_denorm_src 0
		.amdhsa_exception_fp_ieee_div_zero 0
		.amdhsa_exception_fp_ieee_overflow 0
		.amdhsa_exception_fp_ieee_underflow 0
		.amdhsa_exception_fp_ieee_inexact 0
		.amdhsa_exception_int_div_zero 0
	.end_amdhsa_kernel
	.section	.text._ZN7rocprim17ROCPRIM_400000_NS6detail17trampoline_kernelINS0_13select_configILj256ELj13ELNS0_17block_load_methodE3ELS4_3ELS4_3ELNS0_20block_scan_algorithmE0ELj4294967295EEENS1_25partition_config_selectorILNS1_17partition_subalgoE4EjNS0_10empty_typeEbEEZZNS1_14partition_implILS8_4ELb0ES6_15HIP_vector_typeIjLj2EENS0_17counting_iteratorIjlEEPS9_SG_NS0_5tupleIJPjSI_NS0_16reverse_iteratorISI_EEEEENSH_IJSG_SG_SG_EEES9_SI_JZNS1_25segmented_radix_sort_implINS0_14default_configELb0EPKiPiPKlPlN2at6native12_GLOBAL__N_18offset_tEEE10hipError_tPvRmT1_PNSt15iterator_traitsIS12_E10value_typeET2_T3_PNS13_IS18_E10value_typeET4_jRbjT5_S1E_jjP12ihipStream_tbEUljE_ZNSN_ISO_Lb0ESQ_SR_ST_SU_SY_EESZ_S10_S11_S12_S16_S17_S18_S1B_S1C_jS1D_jS1E_S1E_jjS1G_bEUljE0_EEESZ_S10_S11_S18_S1C_S1E_T6_T7_T9_mT8_S1G_bDpT10_ENKUlT_T0_E_clISt17integral_constantIbLb1EES1T_IbLb0EEEEDaS1P_S1Q_EUlS1P_E_NS1_11comp_targetILNS1_3genE10ELNS1_11target_archE1200ELNS1_3gpuE4ELNS1_3repE0EEENS1_30default_config_static_selectorELNS0_4arch9wavefront6targetE0EEEvS12_,"axG",@progbits,_ZN7rocprim17ROCPRIM_400000_NS6detail17trampoline_kernelINS0_13select_configILj256ELj13ELNS0_17block_load_methodE3ELS4_3ELS4_3ELNS0_20block_scan_algorithmE0ELj4294967295EEENS1_25partition_config_selectorILNS1_17partition_subalgoE4EjNS0_10empty_typeEbEEZZNS1_14partition_implILS8_4ELb0ES6_15HIP_vector_typeIjLj2EENS0_17counting_iteratorIjlEEPS9_SG_NS0_5tupleIJPjSI_NS0_16reverse_iteratorISI_EEEEENSH_IJSG_SG_SG_EEES9_SI_JZNS1_25segmented_radix_sort_implINS0_14default_configELb0EPKiPiPKlPlN2at6native12_GLOBAL__N_18offset_tEEE10hipError_tPvRmT1_PNSt15iterator_traitsIS12_E10value_typeET2_T3_PNS13_IS18_E10value_typeET4_jRbjT5_S1E_jjP12ihipStream_tbEUljE_ZNSN_ISO_Lb0ESQ_SR_ST_SU_SY_EESZ_S10_S11_S12_S16_S17_S18_S1B_S1C_jS1D_jS1E_S1E_jjS1G_bEUljE0_EEESZ_S10_S11_S18_S1C_S1E_T6_T7_T9_mT8_S1G_bDpT10_ENKUlT_T0_E_clISt17integral_constantIbLb1EES1T_IbLb0EEEEDaS1P_S1Q_EUlS1P_E_NS1_11comp_targetILNS1_3genE10ELNS1_11target_archE1200ELNS1_3gpuE4ELNS1_3repE0EEENS1_30default_config_static_selectorELNS0_4arch9wavefront6targetE0EEEvS12_,comdat
.Lfunc_end557:
	.size	_ZN7rocprim17ROCPRIM_400000_NS6detail17trampoline_kernelINS0_13select_configILj256ELj13ELNS0_17block_load_methodE3ELS4_3ELS4_3ELNS0_20block_scan_algorithmE0ELj4294967295EEENS1_25partition_config_selectorILNS1_17partition_subalgoE4EjNS0_10empty_typeEbEEZZNS1_14partition_implILS8_4ELb0ES6_15HIP_vector_typeIjLj2EENS0_17counting_iteratorIjlEEPS9_SG_NS0_5tupleIJPjSI_NS0_16reverse_iteratorISI_EEEEENSH_IJSG_SG_SG_EEES9_SI_JZNS1_25segmented_radix_sort_implINS0_14default_configELb0EPKiPiPKlPlN2at6native12_GLOBAL__N_18offset_tEEE10hipError_tPvRmT1_PNSt15iterator_traitsIS12_E10value_typeET2_T3_PNS13_IS18_E10value_typeET4_jRbjT5_S1E_jjP12ihipStream_tbEUljE_ZNSN_ISO_Lb0ESQ_SR_ST_SU_SY_EESZ_S10_S11_S12_S16_S17_S18_S1B_S1C_jS1D_jS1E_S1E_jjS1G_bEUljE0_EEESZ_S10_S11_S18_S1C_S1E_T6_T7_T9_mT8_S1G_bDpT10_ENKUlT_T0_E_clISt17integral_constantIbLb1EES1T_IbLb0EEEEDaS1P_S1Q_EUlS1P_E_NS1_11comp_targetILNS1_3genE10ELNS1_11target_archE1200ELNS1_3gpuE4ELNS1_3repE0EEENS1_30default_config_static_selectorELNS0_4arch9wavefront6targetE0EEEvS12_, .Lfunc_end557-_ZN7rocprim17ROCPRIM_400000_NS6detail17trampoline_kernelINS0_13select_configILj256ELj13ELNS0_17block_load_methodE3ELS4_3ELS4_3ELNS0_20block_scan_algorithmE0ELj4294967295EEENS1_25partition_config_selectorILNS1_17partition_subalgoE4EjNS0_10empty_typeEbEEZZNS1_14partition_implILS8_4ELb0ES6_15HIP_vector_typeIjLj2EENS0_17counting_iteratorIjlEEPS9_SG_NS0_5tupleIJPjSI_NS0_16reverse_iteratorISI_EEEEENSH_IJSG_SG_SG_EEES9_SI_JZNS1_25segmented_radix_sort_implINS0_14default_configELb0EPKiPiPKlPlN2at6native12_GLOBAL__N_18offset_tEEE10hipError_tPvRmT1_PNSt15iterator_traitsIS12_E10value_typeET2_T3_PNS13_IS18_E10value_typeET4_jRbjT5_S1E_jjP12ihipStream_tbEUljE_ZNSN_ISO_Lb0ESQ_SR_ST_SU_SY_EESZ_S10_S11_S12_S16_S17_S18_S1B_S1C_jS1D_jS1E_S1E_jjS1G_bEUljE0_EEESZ_S10_S11_S18_S1C_S1E_T6_T7_T9_mT8_S1G_bDpT10_ENKUlT_T0_E_clISt17integral_constantIbLb1EES1T_IbLb0EEEEDaS1P_S1Q_EUlS1P_E_NS1_11comp_targetILNS1_3genE10ELNS1_11target_archE1200ELNS1_3gpuE4ELNS1_3repE0EEENS1_30default_config_static_selectorELNS0_4arch9wavefront6targetE0EEEvS12_
                                        ; -- End function
	.set _ZN7rocprim17ROCPRIM_400000_NS6detail17trampoline_kernelINS0_13select_configILj256ELj13ELNS0_17block_load_methodE3ELS4_3ELS4_3ELNS0_20block_scan_algorithmE0ELj4294967295EEENS1_25partition_config_selectorILNS1_17partition_subalgoE4EjNS0_10empty_typeEbEEZZNS1_14partition_implILS8_4ELb0ES6_15HIP_vector_typeIjLj2EENS0_17counting_iteratorIjlEEPS9_SG_NS0_5tupleIJPjSI_NS0_16reverse_iteratorISI_EEEEENSH_IJSG_SG_SG_EEES9_SI_JZNS1_25segmented_radix_sort_implINS0_14default_configELb0EPKiPiPKlPlN2at6native12_GLOBAL__N_18offset_tEEE10hipError_tPvRmT1_PNSt15iterator_traitsIS12_E10value_typeET2_T3_PNS13_IS18_E10value_typeET4_jRbjT5_S1E_jjP12ihipStream_tbEUljE_ZNSN_ISO_Lb0ESQ_SR_ST_SU_SY_EESZ_S10_S11_S12_S16_S17_S18_S1B_S1C_jS1D_jS1E_S1E_jjS1G_bEUljE0_EEESZ_S10_S11_S18_S1C_S1E_T6_T7_T9_mT8_S1G_bDpT10_ENKUlT_T0_E_clISt17integral_constantIbLb1EES1T_IbLb0EEEEDaS1P_S1Q_EUlS1P_E_NS1_11comp_targetILNS1_3genE10ELNS1_11target_archE1200ELNS1_3gpuE4ELNS1_3repE0EEENS1_30default_config_static_selectorELNS0_4arch9wavefront6targetE0EEEvS12_.num_vgpr, 0
	.set _ZN7rocprim17ROCPRIM_400000_NS6detail17trampoline_kernelINS0_13select_configILj256ELj13ELNS0_17block_load_methodE3ELS4_3ELS4_3ELNS0_20block_scan_algorithmE0ELj4294967295EEENS1_25partition_config_selectorILNS1_17partition_subalgoE4EjNS0_10empty_typeEbEEZZNS1_14partition_implILS8_4ELb0ES6_15HIP_vector_typeIjLj2EENS0_17counting_iteratorIjlEEPS9_SG_NS0_5tupleIJPjSI_NS0_16reverse_iteratorISI_EEEEENSH_IJSG_SG_SG_EEES9_SI_JZNS1_25segmented_radix_sort_implINS0_14default_configELb0EPKiPiPKlPlN2at6native12_GLOBAL__N_18offset_tEEE10hipError_tPvRmT1_PNSt15iterator_traitsIS12_E10value_typeET2_T3_PNS13_IS18_E10value_typeET4_jRbjT5_S1E_jjP12ihipStream_tbEUljE_ZNSN_ISO_Lb0ESQ_SR_ST_SU_SY_EESZ_S10_S11_S12_S16_S17_S18_S1B_S1C_jS1D_jS1E_S1E_jjS1G_bEUljE0_EEESZ_S10_S11_S18_S1C_S1E_T6_T7_T9_mT8_S1G_bDpT10_ENKUlT_T0_E_clISt17integral_constantIbLb1EES1T_IbLb0EEEEDaS1P_S1Q_EUlS1P_E_NS1_11comp_targetILNS1_3genE10ELNS1_11target_archE1200ELNS1_3gpuE4ELNS1_3repE0EEENS1_30default_config_static_selectorELNS0_4arch9wavefront6targetE0EEEvS12_.num_agpr, 0
	.set _ZN7rocprim17ROCPRIM_400000_NS6detail17trampoline_kernelINS0_13select_configILj256ELj13ELNS0_17block_load_methodE3ELS4_3ELS4_3ELNS0_20block_scan_algorithmE0ELj4294967295EEENS1_25partition_config_selectorILNS1_17partition_subalgoE4EjNS0_10empty_typeEbEEZZNS1_14partition_implILS8_4ELb0ES6_15HIP_vector_typeIjLj2EENS0_17counting_iteratorIjlEEPS9_SG_NS0_5tupleIJPjSI_NS0_16reverse_iteratorISI_EEEEENSH_IJSG_SG_SG_EEES9_SI_JZNS1_25segmented_radix_sort_implINS0_14default_configELb0EPKiPiPKlPlN2at6native12_GLOBAL__N_18offset_tEEE10hipError_tPvRmT1_PNSt15iterator_traitsIS12_E10value_typeET2_T3_PNS13_IS18_E10value_typeET4_jRbjT5_S1E_jjP12ihipStream_tbEUljE_ZNSN_ISO_Lb0ESQ_SR_ST_SU_SY_EESZ_S10_S11_S12_S16_S17_S18_S1B_S1C_jS1D_jS1E_S1E_jjS1G_bEUljE0_EEESZ_S10_S11_S18_S1C_S1E_T6_T7_T9_mT8_S1G_bDpT10_ENKUlT_T0_E_clISt17integral_constantIbLb1EES1T_IbLb0EEEEDaS1P_S1Q_EUlS1P_E_NS1_11comp_targetILNS1_3genE10ELNS1_11target_archE1200ELNS1_3gpuE4ELNS1_3repE0EEENS1_30default_config_static_selectorELNS0_4arch9wavefront6targetE0EEEvS12_.numbered_sgpr, 0
	.set _ZN7rocprim17ROCPRIM_400000_NS6detail17trampoline_kernelINS0_13select_configILj256ELj13ELNS0_17block_load_methodE3ELS4_3ELS4_3ELNS0_20block_scan_algorithmE0ELj4294967295EEENS1_25partition_config_selectorILNS1_17partition_subalgoE4EjNS0_10empty_typeEbEEZZNS1_14partition_implILS8_4ELb0ES6_15HIP_vector_typeIjLj2EENS0_17counting_iteratorIjlEEPS9_SG_NS0_5tupleIJPjSI_NS0_16reverse_iteratorISI_EEEEENSH_IJSG_SG_SG_EEES9_SI_JZNS1_25segmented_radix_sort_implINS0_14default_configELb0EPKiPiPKlPlN2at6native12_GLOBAL__N_18offset_tEEE10hipError_tPvRmT1_PNSt15iterator_traitsIS12_E10value_typeET2_T3_PNS13_IS18_E10value_typeET4_jRbjT5_S1E_jjP12ihipStream_tbEUljE_ZNSN_ISO_Lb0ESQ_SR_ST_SU_SY_EESZ_S10_S11_S12_S16_S17_S18_S1B_S1C_jS1D_jS1E_S1E_jjS1G_bEUljE0_EEESZ_S10_S11_S18_S1C_S1E_T6_T7_T9_mT8_S1G_bDpT10_ENKUlT_T0_E_clISt17integral_constantIbLb1EES1T_IbLb0EEEEDaS1P_S1Q_EUlS1P_E_NS1_11comp_targetILNS1_3genE10ELNS1_11target_archE1200ELNS1_3gpuE4ELNS1_3repE0EEENS1_30default_config_static_selectorELNS0_4arch9wavefront6targetE0EEEvS12_.num_named_barrier, 0
	.set _ZN7rocprim17ROCPRIM_400000_NS6detail17trampoline_kernelINS0_13select_configILj256ELj13ELNS0_17block_load_methodE3ELS4_3ELS4_3ELNS0_20block_scan_algorithmE0ELj4294967295EEENS1_25partition_config_selectorILNS1_17partition_subalgoE4EjNS0_10empty_typeEbEEZZNS1_14partition_implILS8_4ELb0ES6_15HIP_vector_typeIjLj2EENS0_17counting_iteratorIjlEEPS9_SG_NS0_5tupleIJPjSI_NS0_16reverse_iteratorISI_EEEEENSH_IJSG_SG_SG_EEES9_SI_JZNS1_25segmented_radix_sort_implINS0_14default_configELb0EPKiPiPKlPlN2at6native12_GLOBAL__N_18offset_tEEE10hipError_tPvRmT1_PNSt15iterator_traitsIS12_E10value_typeET2_T3_PNS13_IS18_E10value_typeET4_jRbjT5_S1E_jjP12ihipStream_tbEUljE_ZNSN_ISO_Lb0ESQ_SR_ST_SU_SY_EESZ_S10_S11_S12_S16_S17_S18_S1B_S1C_jS1D_jS1E_S1E_jjS1G_bEUljE0_EEESZ_S10_S11_S18_S1C_S1E_T6_T7_T9_mT8_S1G_bDpT10_ENKUlT_T0_E_clISt17integral_constantIbLb1EES1T_IbLb0EEEEDaS1P_S1Q_EUlS1P_E_NS1_11comp_targetILNS1_3genE10ELNS1_11target_archE1200ELNS1_3gpuE4ELNS1_3repE0EEENS1_30default_config_static_selectorELNS0_4arch9wavefront6targetE0EEEvS12_.private_seg_size, 0
	.set _ZN7rocprim17ROCPRIM_400000_NS6detail17trampoline_kernelINS0_13select_configILj256ELj13ELNS0_17block_load_methodE3ELS4_3ELS4_3ELNS0_20block_scan_algorithmE0ELj4294967295EEENS1_25partition_config_selectorILNS1_17partition_subalgoE4EjNS0_10empty_typeEbEEZZNS1_14partition_implILS8_4ELb0ES6_15HIP_vector_typeIjLj2EENS0_17counting_iteratorIjlEEPS9_SG_NS0_5tupleIJPjSI_NS0_16reverse_iteratorISI_EEEEENSH_IJSG_SG_SG_EEES9_SI_JZNS1_25segmented_radix_sort_implINS0_14default_configELb0EPKiPiPKlPlN2at6native12_GLOBAL__N_18offset_tEEE10hipError_tPvRmT1_PNSt15iterator_traitsIS12_E10value_typeET2_T3_PNS13_IS18_E10value_typeET4_jRbjT5_S1E_jjP12ihipStream_tbEUljE_ZNSN_ISO_Lb0ESQ_SR_ST_SU_SY_EESZ_S10_S11_S12_S16_S17_S18_S1B_S1C_jS1D_jS1E_S1E_jjS1G_bEUljE0_EEESZ_S10_S11_S18_S1C_S1E_T6_T7_T9_mT8_S1G_bDpT10_ENKUlT_T0_E_clISt17integral_constantIbLb1EES1T_IbLb0EEEEDaS1P_S1Q_EUlS1P_E_NS1_11comp_targetILNS1_3genE10ELNS1_11target_archE1200ELNS1_3gpuE4ELNS1_3repE0EEENS1_30default_config_static_selectorELNS0_4arch9wavefront6targetE0EEEvS12_.uses_vcc, 0
	.set _ZN7rocprim17ROCPRIM_400000_NS6detail17trampoline_kernelINS0_13select_configILj256ELj13ELNS0_17block_load_methodE3ELS4_3ELS4_3ELNS0_20block_scan_algorithmE0ELj4294967295EEENS1_25partition_config_selectorILNS1_17partition_subalgoE4EjNS0_10empty_typeEbEEZZNS1_14partition_implILS8_4ELb0ES6_15HIP_vector_typeIjLj2EENS0_17counting_iteratorIjlEEPS9_SG_NS0_5tupleIJPjSI_NS0_16reverse_iteratorISI_EEEEENSH_IJSG_SG_SG_EEES9_SI_JZNS1_25segmented_radix_sort_implINS0_14default_configELb0EPKiPiPKlPlN2at6native12_GLOBAL__N_18offset_tEEE10hipError_tPvRmT1_PNSt15iterator_traitsIS12_E10value_typeET2_T3_PNS13_IS18_E10value_typeET4_jRbjT5_S1E_jjP12ihipStream_tbEUljE_ZNSN_ISO_Lb0ESQ_SR_ST_SU_SY_EESZ_S10_S11_S12_S16_S17_S18_S1B_S1C_jS1D_jS1E_S1E_jjS1G_bEUljE0_EEESZ_S10_S11_S18_S1C_S1E_T6_T7_T9_mT8_S1G_bDpT10_ENKUlT_T0_E_clISt17integral_constantIbLb1EES1T_IbLb0EEEEDaS1P_S1Q_EUlS1P_E_NS1_11comp_targetILNS1_3genE10ELNS1_11target_archE1200ELNS1_3gpuE4ELNS1_3repE0EEENS1_30default_config_static_selectorELNS0_4arch9wavefront6targetE0EEEvS12_.uses_flat_scratch, 0
	.set _ZN7rocprim17ROCPRIM_400000_NS6detail17trampoline_kernelINS0_13select_configILj256ELj13ELNS0_17block_load_methodE3ELS4_3ELS4_3ELNS0_20block_scan_algorithmE0ELj4294967295EEENS1_25partition_config_selectorILNS1_17partition_subalgoE4EjNS0_10empty_typeEbEEZZNS1_14partition_implILS8_4ELb0ES6_15HIP_vector_typeIjLj2EENS0_17counting_iteratorIjlEEPS9_SG_NS0_5tupleIJPjSI_NS0_16reverse_iteratorISI_EEEEENSH_IJSG_SG_SG_EEES9_SI_JZNS1_25segmented_radix_sort_implINS0_14default_configELb0EPKiPiPKlPlN2at6native12_GLOBAL__N_18offset_tEEE10hipError_tPvRmT1_PNSt15iterator_traitsIS12_E10value_typeET2_T3_PNS13_IS18_E10value_typeET4_jRbjT5_S1E_jjP12ihipStream_tbEUljE_ZNSN_ISO_Lb0ESQ_SR_ST_SU_SY_EESZ_S10_S11_S12_S16_S17_S18_S1B_S1C_jS1D_jS1E_S1E_jjS1G_bEUljE0_EEESZ_S10_S11_S18_S1C_S1E_T6_T7_T9_mT8_S1G_bDpT10_ENKUlT_T0_E_clISt17integral_constantIbLb1EES1T_IbLb0EEEEDaS1P_S1Q_EUlS1P_E_NS1_11comp_targetILNS1_3genE10ELNS1_11target_archE1200ELNS1_3gpuE4ELNS1_3repE0EEENS1_30default_config_static_selectorELNS0_4arch9wavefront6targetE0EEEvS12_.has_dyn_sized_stack, 0
	.set _ZN7rocprim17ROCPRIM_400000_NS6detail17trampoline_kernelINS0_13select_configILj256ELj13ELNS0_17block_load_methodE3ELS4_3ELS4_3ELNS0_20block_scan_algorithmE0ELj4294967295EEENS1_25partition_config_selectorILNS1_17partition_subalgoE4EjNS0_10empty_typeEbEEZZNS1_14partition_implILS8_4ELb0ES6_15HIP_vector_typeIjLj2EENS0_17counting_iteratorIjlEEPS9_SG_NS0_5tupleIJPjSI_NS0_16reverse_iteratorISI_EEEEENSH_IJSG_SG_SG_EEES9_SI_JZNS1_25segmented_radix_sort_implINS0_14default_configELb0EPKiPiPKlPlN2at6native12_GLOBAL__N_18offset_tEEE10hipError_tPvRmT1_PNSt15iterator_traitsIS12_E10value_typeET2_T3_PNS13_IS18_E10value_typeET4_jRbjT5_S1E_jjP12ihipStream_tbEUljE_ZNSN_ISO_Lb0ESQ_SR_ST_SU_SY_EESZ_S10_S11_S12_S16_S17_S18_S1B_S1C_jS1D_jS1E_S1E_jjS1G_bEUljE0_EEESZ_S10_S11_S18_S1C_S1E_T6_T7_T9_mT8_S1G_bDpT10_ENKUlT_T0_E_clISt17integral_constantIbLb1EES1T_IbLb0EEEEDaS1P_S1Q_EUlS1P_E_NS1_11comp_targetILNS1_3genE10ELNS1_11target_archE1200ELNS1_3gpuE4ELNS1_3repE0EEENS1_30default_config_static_selectorELNS0_4arch9wavefront6targetE0EEEvS12_.has_recursion, 0
	.set _ZN7rocprim17ROCPRIM_400000_NS6detail17trampoline_kernelINS0_13select_configILj256ELj13ELNS0_17block_load_methodE3ELS4_3ELS4_3ELNS0_20block_scan_algorithmE0ELj4294967295EEENS1_25partition_config_selectorILNS1_17partition_subalgoE4EjNS0_10empty_typeEbEEZZNS1_14partition_implILS8_4ELb0ES6_15HIP_vector_typeIjLj2EENS0_17counting_iteratorIjlEEPS9_SG_NS0_5tupleIJPjSI_NS0_16reverse_iteratorISI_EEEEENSH_IJSG_SG_SG_EEES9_SI_JZNS1_25segmented_radix_sort_implINS0_14default_configELb0EPKiPiPKlPlN2at6native12_GLOBAL__N_18offset_tEEE10hipError_tPvRmT1_PNSt15iterator_traitsIS12_E10value_typeET2_T3_PNS13_IS18_E10value_typeET4_jRbjT5_S1E_jjP12ihipStream_tbEUljE_ZNSN_ISO_Lb0ESQ_SR_ST_SU_SY_EESZ_S10_S11_S12_S16_S17_S18_S1B_S1C_jS1D_jS1E_S1E_jjS1G_bEUljE0_EEESZ_S10_S11_S18_S1C_S1E_T6_T7_T9_mT8_S1G_bDpT10_ENKUlT_T0_E_clISt17integral_constantIbLb1EES1T_IbLb0EEEEDaS1P_S1Q_EUlS1P_E_NS1_11comp_targetILNS1_3genE10ELNS1_11target_archE1200ELNS1_3gpuE4ELNS1_3repE0EEENS1_30default_config_static_selectorELNS0_4arch9wavefront6targetE0EEEvS12_.has_indirect_call, 0
	.section	.AMDGPU.csdata,"",@progbits
; Kernel info:
; codeLenInByte = 4
; TotalNumSgprs: 0
; NumVgprs: 0
; ScratchSize: 0
; MemoryBound: 0
; FloatMode: 240
; IeeeMode: 1
; LDSByteSize: 0 bytes/workgroup (compile time only)
; SGPRBlocks: 0
; VGPRBlocks: 0
; NumSGPRsForWavesPerEU: 1
; NumVGPRsForWavesPerEU: 1
; Occupancy: 16
; WaveLimiterHint : 0
; COMPUTE_PGM_RSRC2:SCRATCH_EN: 0
; COMPUTE_PGM_RSRC2:USER_SGPR: 2
; COMPUTE_PGM_RSRC2:TRAP_HANDLER: 0
; COMPUTE_PGM_RSRC2:TGID_X_EN: 1
; COMPUTE_PGM_RSRC2:TGID_Y_EN: 0
; COMPUTE_PGM_RSRC2:TGID_Z_EN: 0
; COMPUTE_PGM_RSRC2:TIDIG_COMP_CNT: 0
	.section	.text._ZN7rocprim17ROCPRIM_400000_NS6detail17trampoline_kernelINS0_13select_configILj256ELj13ELNS0_17block_load_methodE3ELS4_3ELS4_3ELNS0_20block_scan_algorithmE0ELj4294967295EEENS1_25partition_config_selectorILNS1_17partition_subalgoE4EjNS0_10empty_typeEbEEZZNS1_14partition_implILS8_4ELb0ES6_15HIP_vector_typeIjLj2EENS0_17counting_iteratorIjlEEPS9_SG_NS0_5tupleIJPjSI_NS0_16reverse_iteratorISI_EEEEENSH_IJSG_SG_SG_EEES9_SI_JZNS1_25segmented_radix_sort_implINS0_14default_configELb0EPKiPiPKlPlN2at6native12_GLOBAL__N_18offset_tEEE10hipError_tPvRmT1_PNSt15iterator_traitsIS12_E10value_typeET2_T3_PNS13_IS18_E10value_typeET4_jRbjT5_S1E_jjP12ihipStream_tbEUljE_ZNSN_ISO_Lb0ESQ_SR_ST_SU_SY_EESZ_S10_S11_S12_S16_S17_S18_S1B_S1C_jS1D_jS1E_S1E_jjS1G_bEUljE0_EEESZ_S10_S11_S18_S1C_S1E_T6_T7_T9_mT8_S1G_bDpT10_ENKUlT_T0_E_clISt17integral_constantIbLb1EES1T_IbLb0EEEEDaS1P_S1Q_EUlS1P_E_NS1_11comp_targetILNS1_3genE9ELNS1_11target_archE1100ELNS1_3gpuE3ELNS1_3repE0EEENS1_30default_config_static_selectorELNS0_4arch9wavefront6targetE0EEEvS12_,"axG",@progbits,_ZN7rocprim17ROCPRIM_400000_NS6detail17trampoline_kernelINS0_13select_configILj256ELj13ELNS0_17block_load_methodE3ELS4_3ELS4_3ELNS0_20block_scan_algorithmE0ELj4294967295EEENS1_25partition_config_selectorILNS1_17partition_subalgoE4EjNS0_10empty_typeEbEEZZNS1_14partition_implILS8_4ELb0ES6_15HIP_vector_typeIjLj2EENS0_17counting_iteratorIjlEEPS9_SG_NS0_5tupleIJPjSI_NS0_16reverse_iteratorISI_EEEEENSH_IJSG_SG_SG_EEES9_SI_JZNS1_25segmented_radix_sort_implINS0_14default_configELb0EPKiPiPKlPlN2at6native12_GLOBAL__N_18offset_tEEE10hipError_tPvRmT1_PNSt15iterator_traitsIS12_E10value_typeET2_T3_PNS13_IS18_E10value_typeET4_jRbjT5_S1E_jjP12ihipStream_tbEUljE_ZNSN_ISO_Lb0ESQ_SR_ST_SU_SY_EESZ_S10_S11_S12_S16_S17_S18_S1B_S1C_jS1D_jS1E_S1E_jjS1G_bEUljE0_EEESZ_S10_S11_S18_S1C_S1E_T6_T7_T9_mT8_S1G_bDpT10_ENKUlT_T0_E_clISt17integral_constantIbLb1EES1T_IbLb0EEEEDaS1P_S1Q_EUlS1P_E_NS1_11comp_targetILNS1_3genE9ELNS1_11target_archE1100ELNS1_3gpuE3ELNS1_3repE0EEENS1_30default_config_static_selectorELNS0_4arch9wavefront6targetE0EEEvS12_,comdat
	.globl	_ZN7rocprim17ROCPRIM_400000_NS6detail17trampoline_kernelINS0_13select_configILj256ELj13ELNS0_17block_load_methodE3ELS4_3ELS4_3ELNS0_20block_scan_algorithmE0ELj4294967295EEENS1_25partition_config_selectorILNS1_17partition_subalgoE4EjNS0_10empty_typeEbEEZZNS1_14partition_implILS8_4ELb0ES6_15HIP_vector_typeIjLj2EENS0_17counting_iteratorIjlEEPS9_SG_NS0_5tupleIJPjSI_NS0_16reverse_iteratorISI_EEEEENSH_IJSG_SG_SG_EEES9_SI_JZNS1_25segmented_radix_sort_implINS0_14default_configELb0EPKiPiPKlPlN2at6native12_GLOBAL__N_18offset_tEEE10hipError_tPvRmT1_PNSt15iterator_traitsIS12_E10value_typeET2_T3_PNS13_IS18_E10value_typeET4_jRbjT5_S1E_jjP12ihipStream_tbEUljE_ZNSN_ISO_Lb0ESQ_SR_ST_SU_SY_EESZ_S10_S11_S12_S16_S17_S18_S1B_S1C_jS1D_jS1E_S1E_jjS1G_bEUljE0_EEESZ_S10_S11_S18_S1C_S1E_T6_T7_T9_mT8_S1G_bDpT10_ENKUlT_T0_E_clISt17integral_constantIbLb1EES1T_IbLb0EEEEDaS1P_S1Q_EUlS1P_E_NS1_11comp_targetILNS1_3genE9ELNS1_11target_archE1100ELNS1_3gpuE3ELNS1_3repE0EEENS1_30default_config_static_selectorELNS0_4arch9wavefront6targetE0EEEvS12_ ; -- Begin function _ZN7rocprim17ROCPRIM_400000_NS6detail17trampoline_kernelINS0_13select_configILj256ELj13ELNS0_17block_load_methodE3ELS4_3ELS4_3ELNS0_20block_scan_algorithmE0ELj4294967295EEENS1_25partition_config_selectorILNS1_17partition_subalgoE4EjNS0_10empty_typeEbEEZZNS1_14partition_implILS8_4ELb0ES6_15HIP_vector_typeIjLj2EENS0_17counting_iteratorIjlEEPS9_SG_NS0_5tupleIJPjSI_NS0_16reverse_iteratorISI_EEEEENSH_IJSG_SG_SG_EEES9_SI_JZNS1_25segmented_radix_sort_implINS0_14default_configELb0EPKiPiPKlPlN2at6native12_GLOBAL__N_18offset_tEEE10hipError_tPvRmT1_PNSt15iterator_traitsIS12_E10value_typeET2_T3_PNS13_IS18_E10value_typeET4_jRbjT5_S1E_jjP12ihipStream_tbEUljE_ZNSN_ISO_Lb0ESQ_SR_ST_SU_SY_EESZ_S10_S11_S12_S16_S17_S18_S1B_S1C_jS1D_jS1E_S1E_jjS1G_bEUljE0_EEESZ_S10_S11_S18_S1C_S1E_T6_T7_T9_mT8_S1G_bDpT10_ENKUlT_T0_E_clISt17integral_constantIbLb1EES1T_IbLb0EEEEDaS1P_S1Q_EUlS1P_E_NS1_11comp_targetILNS1_3genE9ELNS1_11target_archE1100ELNS1_3gpuE3ELNS1_3repE0EEENS1_30default_config_static_selectorELNS0_4arch9wavefront6targetE0EEEvS12_
	.p2align	8
	.type	_ZN7rocprim17ROCPRIM_400000_NS6detail17trampoline_kernelINS0_13select_configILj256ELj13ELNS0_17block_load_methodE3ELS4_3ELS4_3ELNS0_20block_scan_algorithmE0ELj4294967295EEENS1_25partition_config_selectorILNS1_17partition_subalgoE4EjNS0_10empty_typeEbEEZZNS1_14partition_implILS8_4ELb0ES6_15HIP_vector_typeIjLj2EENS0_17counting_iteratorIjlEEPS9_SG_NS0_5tupleIJPjSI_NS0_16reverse_iteratorISI_EEEEENSH_IJSG_SG_SG_EEES9_SI_JZNS1_25segmented_radix_sort_implINS0_14default_configELb0EPKiPiPKlPlN2at6native12_GLOBAL__N_18offset_tEEE10hipError_tPvRmT1_PNSt15iterator_traitsIS12_E10value_typeET2_T3_PNS13_IS18_E10value_typeET4_jRbjT5_S1E_jjP12ihipStream_tbEUljE_ZNSN_ISO_Lb0ESQ_SR_ST_SU_SY_EESZ_S10_S11_S12_S16_S17_S18_S1B_S1C_jS1D_jS1E_S1E_jjS1G_bEUljE0_EEESZ_S10_S11_S18_S1C_S1E_T6_T7_T9_mT8_S1G_bDpT10_ENKUlT_T0_E_clISt17integral_constantIbLb1EES1T_IbLb0EEEEDaS1P_S1Q_EUlS1P_E_NS1_11comp_targetILNS1_3genE9ELNS1_11target_archE1100ELNS1_3gpuE3ELNS1_3repE0EEENS1_30default_config_static_selectorELNS0_4arch9wavefront6targetE0EEEvS12_,@function
_ZN7rocprim17ROCPRIM_400000_NS6detail17trampoline_kernelINS0_13select_configILj256ELj13ELNS0_17block_load_methodE3ELS4_3ELS4_3ELNS0_20block_scan_algorithmE0ELj4294967295EEENS1_25partition_config_selectorILNS1_17partition_subalgoE4EjNS0_10empty_typeEbEEZZNS1_14partition_implILS8_4ELb0ES6_15HIP_vector_typeIjLj2EENS0_17counting_iteratorIjlEEPS9_SG_NS0_5tupleIJPjSI_NS0_16reverse_iteratorISI_EEEEENSH_IJSG_SG_SG_EEES9_SI_JZNS1_25segmented_radix_sort_implINS0_14default_configELb0EPKiPiPKlPlN2at6native12_GLOBAL__N_18offset_tEEE10hipError_tPvRmT1_PNSt15iterator_traitsIS12_E10value_typeET2_T3_PNS13_IS18_E10value_typeET4_jRbjT5_S1E_jjP12ihipStream_tbEUljE_ZNSN_ISO_Lb0ESQ_SR_ST_SU_SY_EESZ_S10_S11_S12_S16_S17_S18_S1B_S1C_jS1D_jS1E_S1E_jjS1G_bEUljE0_EEESZ_S10_S11_S18_S1C_S1E_T6_T7_T9_mT8_S1G_bDpT10_ENKUlT_T0_E_clISt17integral_constantIbLb1EES1T_IbLb0EEEEDaS1P_S1Q_EUlS1P_E_NS1_11comp_targetILNS1_3genE9ELNS1_11target_archE1100ELNS1_3gpuE3ELNS1_3repE0EEENS1_30default_config_static_selectorELNS0_4arch9wavefront6targetE0EEEvS12_: ; @_ZN7rocprim17ROCPRIM_400000_NS6detail17trampoline_kernelINS0_13select_configILj256ELj13ELNS0_17block_load_methodE3ELS4_3ELS4_3ELNS0_20block_scan_algorithmE0ELj4294967295EEENS1_25partition_config_selectorILNS1_17partition_subalgoE4EjNS0_10empty_typeEbEEZZNS1_14partition_implILS8_4ELb0ES6_15HIP_vector_typeIjLj2EENS0_17counting_iteratorIjlEEPS9_SG_NS0_5tupleIJPjSI_NS0_16reverse_iteratorISI_EEEEENSH_IJSG_SG_SG_EEES9_SI_JZNS1_25segmented_radix_sort_implINS0_14default_configELb0EPKiPiPKlPlN2at6native12_GLOBAL__N_18offset_tEEE10hipError_tPvRmT1_PNSt15iterator_traitsIS12_E10value_typeET2_T3_PNS13_IS18_E10value_typeET4_jRbjT5_S1E_jjP12ihipStream_tbEUljE_ZNSN_ISO_Lb0ESQ_SR_ST_SU_SY_EESZ_S10_S11_S12_S16_S17_S18_S1B_S1C_jS1D_jS1E_S1E_jjS1G_bEUljE0_EEESZ_S10_S11_S18_S1C_S1E_T6_T7_T9_mT8_S1G_bDpT10_ENKUlT_T0_E_clISt17integral_constantIbLb1EES1T_IbLb0EEEEDaS1P_S1Q_EUlS1P_E_NS1_11comp_targetILNS1_3genE9ELNS1_11target_archE1100ELNS1_3gpuE3ELNS1_3repE0EEENS1_30default_config_static_selectorELNS0_4arch9wavefront6targetE0EEEvS12_
; %bb.0:
	.section	.rodata,"a",@progbits
	.p2align	6, 0x0
	.amdhsa_kernel _ZN7rocprim17ROCPRIM_400000_NS6detail17trampoline_kernelINS0_13select_configILj256ELj13ELNS0_17block_load_methodE3ELS4_3ELS4_3ELNS0_20block_scan_algorithmE0ELj4294967295EEENS1_25partition_config_selectorILNS1_17partition_subalgoE4EjNS0_10empty_typeEbEEZZNS1_14partition_implILS8_4ELb0ES6_15HIP_vector_typeIjLj2EENS0_17counting_iteratorIjlEEPS9_SG_NS0_5tupleIJPjSI_NS0_16reverse_iteratorISI_EEEEENSH_IJSG_SG_SG_EEES9_SI_JZNS1_25segmented_radix_sort_implINS0_14default_configELb0EPKiPiPKlPlN2at6native12_GLOBAL__N_18offset_tEEE10hipError_tPvRmT1_PNSt15iterator_traitsIS12_E10value_typeET2_T3_PNS13_IS18_E10value_typeET4_jRbjT5_S1E_jjP12ihipStream_tbEUljE_ZNSN_ISO_Lb0ESQ_SR_ST_SU_SY_EESZ_S10_S11_S12_S16_S17_S18_S1B_S1C_jS1D_jS1E_S1E_jjS1G_bEUljE0_EEESZ_S10_S11_S18_S1C_S1E_T6_T7_T9_mT8_S1G_bDpT10_ENKUlT_T0_E_clISt17integral_constantIbLb1EES1T_IbLb0EEEEDaS1P_S1Q_EUlS1P_E_NS1_11comp_targetILNS1_3genE9ELNS1_11target_archE1100ELNS1_3gpuE3ELNS1_3repE0EEENS1_30default_config_static_selectorELNS0_4arch9wavefront6targetE0EEEvS12_
		.amdhsa_group_segment_fixed_size 0
		.amdhsa_private_segment_fixed_size 0
		.amdhsa_kernarg_size 176
		.amdhsa_user_sgpr_count 2
		.amdhsa_user_sgpr_dispatch_ptr 0
		.amdhsa_user_sgpr_queue_ptr 0
		.amdhsa_user_sgpr_kernarg_segment_ptr 1
		.amdhsa_user_sgpr_dispatch_id 0
		.amdhsa_user_sgpr_private_segment_size 0
		.amdhsa_wavefront_size32 1
		.amdhsa_uses_dynamic_stack 0
		.amdhsa_enable_private_segment 0
		.amdhsa_system_sgpr_workgroup_id_x 1
		.amdhsa_system_sgpr_workgroup_id_y 0
		.amdhsa_system_sgpr_workgroup_id_z 0
		.amdhsa_system_sgpr_workgroup_info 0
		.amdhsa_system_vgpr_workitem_id 0
		.amdhsa_next_free_vgpr 1
		.amdhsa_next_free_sgpr 1
		.amdhsa_reserve_vcc 0
		.amdhsa_float_round_mode_32 0
		.amdhsa_float_round_mode_16_64 0
		.amdhsa_float_denorm_mode_32 3
		.amdhsa_float_denorm_mode_16_64 3
		.amdhsa_fp16_overflow 0
		.amdhsa_workgroup_processor_mode 1
		.amdhsa_memory_ordered 1
		.amdhsa_forward_progress 1
		.amdhsa_inst_pref_size 0
		.amdhsa_round_robin_scheduling 0
		.amdhsa_exception_fp_ieee_invalid_op 0
		.amdhsa_exception_fp_denorm_src 0
		.amdhsa_exception_fp_ieee_div_zero 0
		.amdhsa_exception_fp_ieee_overflow 0
		.amdhsa_exception_fp_ieee_underflow 0
		.amdhsa_exception_fp_ieee_inexact 0
		.amdhsa_exception_int_div_zero 0
	.end_amdhsa_kernel
	.section	.text._ZN7rocprim17ROCPRIM_400000_NS6detail17trampoline_kernelINS0_13select_configILj256ELj13ELNS0_17block_load_methodE3ELS4_3ELS4_3ELNS0_20block_scan_algorithmE0ELj4294967295EEENS1_25partition_config_selectorILNS1_17partition_subalgoE4EjNS0_10empty_typeEbEEZZNS1_14partition_implILS8_4ELb0ES6_15HIP_vector_typeIjLj2EENS0_17counting_iteratorIjlEEPS9_SG_NS0_5tupleIJPjSI_NS0_16reverse_iteratorISI_EEEEENSH_IJSG_SG_SG_EEES9_SI_JZNS1_25segmented_radix_sort_implINS0_14default_configELb0EPKiPiPKlPlN2at6native12_GLOBAL__N_18offset_tEEE10hipError_tPvRmT1_PNSt15iterator_traitsIS12_E10value_typeET2_T3_PNS13_IS18_E10value_typeET4_jRbjT5_S1E_jjP12ihipStream_tbEUljE_ZNSN_ISO_Lb0ESQ_SR_ST_SU_SY_EESZ_S10_S11_S12_S16_S17_S18_S1B_S1C_jS1D_jS1E_S1E_jjS1G_bEUljE0_EEESZ_S10_S11_S18_S1C_S1E_T6_T7_T9_mT8_S1G_bDpT10_ENKUlT_T0_E_clISt17integral_constantIbLb1EES1T_IbLb0EEEEDaS1P_S1Q_EUlS1P_E_NS1_11comp_targetILNS1_3genE9ELNS1_11target_archE1100ELNS1_3gpuE3ELNS1_3repE0EEENS1_30default_config_static_selectorELNS0_4arch9wavefront6targetE0EEEvS12_,"axG",@progbits,_ZN7rocprim17ROCPRIM_400000_NS6detail17trampoline_kernelINS0_13select_configILj256ELj13ELNS0_17block_load_methodE3ELS4_3ELS4_3ELNS0_20block_scan_algorithmE0ELj4294967295EEENS1_25partition_config_selectorILNS1_17partition_subalgoE4EjNS0_10empty_typeEbEEZZNS1_14partition_implILS8_4ELb0ES6_15HIP_vector_typeIjLj2EENS0_17counting_iteratorIjlEEPS9_SG_NS0_5tupleIJPjSI_NS0_16reverse_iteratorISI_EEEEENSH_IJSG_SG_SG_EEES9_SI_JZNS1_25segmented_radix_sort_implINS0_14default_configELb0EPKiPiPKlPlN2at6native12_GLOBAL__N_18offset_tEEE10hipError_tPvRmT1_PNSt15iterator_traitsIS12_E10value_typeET2_T3_PNS13_IS18_E10value_typeET4_jRbjT5_S1E_jjP12ihipStream_tbEUljE_ZNSN_ISO_Lb0ESQ_SR_ST_SU_SY_EESZ_S10_S11_S12_S16_S17_S18_S1B_S1C_jS1D_jS1E_S1E_jjS1G_bEUljE0_EEESZ_S10_S11_S18_S1C_S1E_T6_T7_T9_mT8_S1G_bDpT10_ENKUlT_T0_E_clISt17integral_constantIbLb1EES1T_IbLb0EEEEDaS1P_S1Q_EUlS1P_E_NS1_11comp_targetILNS1_3genE9ELNS1_11target_archE1100ELNS1_3gpuE3ELNS1_3repE0EEENS1_30default_config_static_selectorELNS0_4arch9wavefront6targetE0EEEvS12_,comdat
.Lfunc_end558:
	.size	_ZN7rocprim17ROCPRIM_400000_NS6detail17trampoline_kernelINS0_13select_configILj256ELj13ELNS0_17block_load_methodE3ELS4_3ELS4_3ELNS0_20block_scan_algorithmE0ELj4294967295EEENS1_25partition_config_selectorILNS1_17partition_subalgoE4EjNS0_10empty_typeEbEEZZNS1_14partition_implILS8_4ELb0ES6_15HIP_vector_typeIjLj2EENS0_17counting_iteratorIjlEEPS9_SG_NS0_5tupleIJPjSI_NS0_16reverse_iteratorISI_EEEEENSH_IJSG_SG_SG_EEES9_SI_JZNS1_25segmented_radix_sort_implINS0_14default_configELb0EPKiPiPKlPlN2at6native12_GLOBAL__N_18offset_tEEE10hipError_tPvRmT1_PNSt15iterator_traitsIS12_E10value_typeET2_T3_PNS13_IS18_E10value_typeET4_jRbjT5_S1E_jjP12ihipStream_tbEUljE_ZNSN_ISO_Lb0ESQ_SR_ST_SU_SY_EESZ_S10_S11_S12_S16_S17_S18_S1B_S1C_jS1D_jS1E_S1E_jjS1G_bEUljE0_EEESZ_S10_S11_S18_S1C_S1E_T6_T7_T9_mT8_S1G_bDpT10_ENKUlT_T0_E_clISt17integral_constantIbLb1EES1T_IbLb0EEEEDaS1P_S1Q_EUlS1P_E_NS1_11comp_targetILNS1_3genE9ELNS1_11target_archE1100ELNS1_3gpuE3ELNS1_3repE0EEENS1_30default_config_static_selectorELNS0_4arch9wavefront6targetE0EEEvS12_, .Lfunc_end558-_ZN7rocprim17ROCPRIM_400000_NS6detail17trampoline_kernelINS0_13select_configILj256ELj13ELNS0_17block_load_methodE3ELS4_3ELS4_3ELNS0_20block_scan_algorithmE0ELj4294967295EEENS1_25partition_config_selectorILNS1_17partition_subalgoE4EjNS0_10empty_typeEbEEZZNS1_14partition_implILS8_4ELb0ES6_15HIP_vector_typeIjLj2EENS0_17counting_iteratorIjlEEPS9_SG_NS0_5tupleIJPjSI_NS0_16reverse_iteratorISI_EEEEENSH_IJSG_SG_SG_EEES9_SI_JZNS1_25segmented_radix_sort_implINS0_14default_configELb0EPKiPiPKlPlN2at6native12_GLOBAL__N_18offset_tEEE10hipError_tPvRmT1_PNSt15iterator_traitsIS12_E10value_typeET2_T3_PNS13_IS18_E10value_typeET4_jRbjT5_S1E_jjP12ihipStream_tbEUljE_ZNSN_ISO_Lb0ESQ_SR_ST_SU_SY_EESZ_S10_S11_S12_S16_S17_S18_S1B_S1C_jS1D_jS1E_S1E_jjS1G_bEUljE0_EEESZ_S10_S11_S18_S1C_S1E_T6_T7_T9_mT8_S1G_bDpT10_ENKUlT_T0_E_clISt17integral_constantIbLb1EES1T_IbLb0EEEEDaS1P_S1Q_EUlS1P_E_NS1_11comp_targetILNS1_3genE9ELNS1_11target_archE1100ELNS1_3gpuE3ELNS1_3repE0EEENS1_30default_config_static_selectorELNS0_4arch9wavefront6targetE0EEEvS12_
                                        ; -- End function
	.set _ZN7rocprim17ROCPRIM_400000_NS6detail17trampoline_kernelINS0_13select_configILj256ELj13ELNS0_17block_load_methodE3ELS4_3ELS4_3ELNS0_20block_scan_algorithmE0ELj4294967295EEENS1_25partition_config_selectorILNS1_17partition_subalgoE4EjNS0_10empty_typeEbEEZZNS1_14partition_implILS8_4ELb0ES6_15HIP_vector_typeIjLj2EENS0_17counting_iteratorIjlEEPS9_SG_NS0_5tupleIJPjSI_NS0_16reverse_iteratorISI_EEEEENSH_IJSG_SG_SG_EEES9_SI_JZNS1_25segmented_radix_sort_implINS0_14default_configELb0EPKiPiPKlPlN2at6native12_GLOBAL__N_18offset_tEEE10hipError_tPvRmT1_PNSt15iterator_traitsIS12_E10value_typeET2_T3_PNS13_IS18_E10value_typeET4_jRbjT5_S1E_jjP12ihipStream_tbEUljE_ZNSN_ISO_Lb0ESQ_SR_ST_SU_SY_EESZ_S10_S11_S12_S16_S17_S18_S1B_S1C_jS1D_jS1E_S1E_jjS1G_bEUljE0_EEESZ_S10_S11_S18_S1C_S1E_T6_T7_T9_mT8_S1G_bDpT10_ENKUlT_T0_E_clISt17integral_constantIbLb1EES1T_IbLb0EEEEDaS1P_S1Q_EUlS1P_E_NS1_11comp_targetILNS1_3genE9ELNS1_11target_archE1100ELNS1_3gpuE3ELNS1_3repE0EEENS1_30default_config_static_selectorELNS0_4arch9wavefront6targetE0EEEvS12_.num_vgpr, 0
	.set _ZN7rocprim17ROCPRIM_400000_NS6detail17trampoline_kernelINS0_13select_configILj256ELj13ELNS0_17block_load_methodE3ELS4_3ELS4_3ELNS0_20block_scan_algorithmE0ELj4294967295EEENS1_25partition_config_selectorILNS1_17partition_subalgoE4EjNS0_10empty_typeEbEEZZNS1_14partition_implILS8_4ELb0ES6_15HIP_vector_typeIjLj2EENS0_17counting_iteratorIjlEEPS9_SG_NS0_5tupleIJPjSI_NS0_16reverse_iteratorISI_EEEEENSH_IJSG_SG_SG_EEES9_SI_JZNS1_25segmented_radix_sort_implINS0_14default_configELb0EPKiPiPKlPlN2at6native12_GLOBAL__N_18offset_tEEE10hipError_tPvRmT1_PNSt15iterator_traitsIS12_E10value_typeET2_T3_PNS13_IS18_E10value_typeET4_jRbjT5_S1E_jjP12ihipStream_tbEUljE_ZNSN_ISO_Lb0ESQ_SR_ST_SU_SY_EESZ_S10_S11_S12_S16_S17_S18_S1B_S1C_jS1D_jS1E_S1E_jjS1G_bEUljE0_EEESZ_S10_S11_S18_S1C_S1E_T6_T7_T9_mT8_S1G_bDpT10_ENKUlT_T0_E_clISt17integral_constantIbLb1EES1T_IbLb0EEEEDaS1P_S1Q_EUlS1P_E_NS1_11comp_targetILNS1_3genE9ELNS1_11target_archE1100ELNS1_3gpuE3ELNS1_3repE0EEENS1_30default_config_static_selectorELNS0_4arch9wavefront6targetE0EEEvS12_.num_agpr, 0
	.set _ZN7rocprim17ROCPRIM_400000_NS6detail17trampoline_kernelINS0_13select_configILj256ELj13ELNS0_17block_load_methodE3ELS4_3ELS4_3ELNS0_20block_scan_algorithmE0ELj4294967295EEENS1_25partition_config_selectorILNS1_17partition_subalgoE4EjNS0_10empty_typeEbEEZZNS1_14partition_implILS8_4ELb0ES6_15HIP_vector_typeIjLj2EENS0_17counting_iteratorIjlEEPS9_SG_NS0_5tupleIJPjSI_NS0_16reverse_iteratorISI_EEEEENSH_IJSG_SG_SG_EEES9_SI_JZNS1_25segmented_radix_sort_implINS0_14default_configELb0EPKiPiPKlPlN2at6native12_GLOBAL__N_18offset_tEEE10hipError_tPvRmT1_PNSt15iterator_traitsIS12_E10value_typeET2_T3_PNS13_IS18_E10value_typeET4_jRbjT5_S1E_jjP12ihipStream_tbEUljE_ZNSN_ISO_Lb0ESQ_SR_ST_SU_SY_EESZ_S10_S11_S12_S16_S17_S18_S1B_S1C_jS1D_jS1E_S1E_jjS1G_bEUljE0_EEESZ_S10_S11_S18_S1C_S1E_T6_T7_T9_mT8_S1G_bDpT10_ENKUlT_T0_E_clISt17integral_constantIbLb1EES1T_IbLb0EEEEDaS1P_S1Q_EUlS1P_E_NS1_11comp_targetILNS1_3genE9ELNS1_11target_archE1100ELNS1_3gpuE3ELNS1_3repE0EEENS1_30default_config_static_selectorELNS0_4arch9wavefront6targetE0EEEvS12_.numbered_sgpr, 0
	.set _ZN7rocprim17ROCPRIM_400000_NS6detail17trampoline_kernelINS0_13select_configILj256ELj13ELNS0_17block_load_methodE3ELS4_3ELS4_3ELNS0_20block_scan_algorithmE0ELj4294967295EEENS1_25partition_config_selectorILNS1_17partition_subalgoE4EjNS0_10empty_typeEbEEZZNS1_14partition_implILS8_4ELb0ES6_15HIP_vector_typeIjLj2EENS0_17counting_iteratorIjlEEPS9_SG_NS0_5tupleIJPjSI_NS0_16reverse_iteratorISI_EEEEENSH_IJSG_SG_SG_EEES9_SI_JZNS1_25segmented_radix_sort_implINS0_14default_configELb0EPKiPiPKlPlN2at6native12_GLOBAL__N_18offset_tEEE10hipError_tPvRmT1_PNSt15iterator_traitsIS12_E10value_typeET2_T3_PNS13_IS18_E10value_typeET4_jRbjT5_S1E_jjP12ihipStream_tbEUljE_ZNSN_ISO_Lb0ESQ_SR_ST_SU_SY_EESZ_S10_S11_S12_S16_S17_S18_S1B_S1C_jS1D_jS1E_S1E_jjS1G_bEUljE0_EEESZ_S10_S11_S18_S1C_S1E_T6_T7_T9_mT8_S1G_bDpT10_ENKUlT_T0_E_clISt17integral_constantIbLb1EES1T_IbLb0EEEEDaS1P_S1Q_EUlS1P_E_NS1_11comp_targetILNS1_3genE9ELNS1_11target_archE1100ELNS1_3gpuE3ELNS1_3repE0EEENS1_30default_config_static_selectorELNS0_4arch9wavefront6targetE0EEEvS12_.num_named_barrier, 0
	.set _ZN7rocprim17ROCPRIM_400000_NS6detail17trampoline_kernelINS0_13select_configILj256ELj13ELNS0_17block_load_methodE3ELS4_3ELS4_3ELNS0_20block_scan_algorithmE0ELj4294967295EEENS1_25partition_config_selectorILNS1_17partition_subalgoE4EjNS0_10empty_typeEbEEZZNS1_14partition_implILS8_4ELb0ES6_15HIP_vector_typeIjLj2EENS0_17counting_iteratorIjlEEPS9_SG_NS0_5tupleIJPjSI_NS0_16reverse_iteratorISI_EEEEENSH_IJSG_SG_SG_EEES9_SI_JZNS1_25segmented_radix_sort_implINS0_14default_configELb0EPKiPiPKlPlN2at6native12_GLOBAL__N_18offset_tEEE10hipError_tPvRmT1_PNSt15iterator_traitsIS12_E10value_typeET2_T3_PNS13_IS18_E10value_typeET4_jRbjT5_S1E_jjP12ihipStream_tbEUljE_ZNSN_ISO_Lb0ESQ_SR_ST_SU_SY_EESZ_S10_S11_S12_S16_S17_S18_S1B_S1C_jS1D_jS1E_S1E_jjS1G_bEUljE0_EEESZ_S10_S11_S18_S1C_S1E_T6_T7_T9_mT8_S1G_bDpT10_ENKUlT_T0_E_clISt17integral_constantIbLb1EES1T_IbLb0EEEEDaS1P_S1Q_EUlS1P_E_NS1_11comp_targetILNS1_3genE9ELNS1_11target_archE1100ELNS1_3gpuE3ELNS1_3repE0EEENS1_30default_config_static_selectorELNS0_4arch9wavefront6targetE0EEEvS12_.private_seg_size, 0
	.set _ZN7rocprim17ROCPRIM_400000_NS6detail17trampoline_kernelINS0_13select_configILj256ELj13ELNS0_17block_load_methodE3ELS4_3ELS4_3ELNS0_20block_scan_algorithmE0ELj4294967295EEENS1_25partition_config_selectorILNS1_17partition_subalgoE4EjNS0_10empty_typeEbEEZZNS1_14partition_implILS8_4ELb0ES6_15HIP_vector_typeIjLj2EENS0_17counting_iteratorIjlEEPS9_SG_NS0_5tupleIJPjSI_NS0_16reverse_iteratorISI_EEEEENSH_IJSG_SG_SG_EEES9_SI_JZNS1_25segmented_radix_sort_implINS0_14default_configELb0EPKiPiPKlPlN2at6native12_GLOBAL__N_18offset_tEEE10hipError_tPvRmT1_PNSt15iterator_traitsIS12_E10value_typeET2_T3_PNS13_IS18_E10value_typeET4_jRbjT5_S1E_jjP12ihipStream_tbEUljE_ZNSN_ISO_Lb0ESQ_SR_ST_SU_SY_EESZ_S10_S11_S12_S16_S17_S18_S1B_S1C_jS1D_jS1E_S1E_jjS1G_bEUljE0_EEESZ_S10_S11_S18_S1C_S1E_T6_T7_T9_mT8_S1G_bDpT10_ENKUlT_T0_E_clISt17integral_constantIbLb1EES1T_IbLb0EEEEDaS1P_S1Q_EUlS1P_E_NS1_11comp_targetILNS1_3genE9ELNS1_11target_archE1100ELNS1_3gpuE3ELNS1_3repE0EEENS1_30default_config_static_selectorELNS0_4arch9wavefront6targetE0EEEvS12_.uses_vcc, 0
	.set _ZN7rocprim17ROCPRIM_400000_NS6detail17trampoline_kernelINS0_13select_configILj256ELj13ELNS0_17block_load_methodE3ELS4_3ELS4_3ELNS0_20block_scan_algorithmE0ELj4294967295EEENS1_25partition_config_selectorILNS1_17partition_subalgoE4EjNS0_10empty_typeEbEEZZNS1_14partition_implILS8_4ELb0ES6_15HIP_vector_typeIjLj2EENS0_17counting_iteratorIjlEEPS9_SG_NS0_5tupleIJPjSI_NS0_16reverse_iteratorISI_EEEEENSH_IJSG_SG_SG_EEES9_SI_JZNS1_25segmented_radix_sort_implINS0_14default_configELb0EPKiPiPKlPlN2at6native12_GLOBAL__N_18offset_tEEE10hipError_tPvRmT1_PNSt15iterator_traitsIS12_E10value_typeET2_T3_PNS13_IS18_E10value_typeET4_jRbjT5_S1E_jjP12ihipStream_tbEUljE_ZNSN_ISO_Lb0ESQ_SR_ST_SU_SY_EESZ_S10_S11_S12_S16_S17_S18_S1B_S1C_jS1D_jS1E_S1E_jjS1G_bEUljE0_EEESZ_S10_S11_S18_S1C_S1E_T6_T7_T9_mT8_S1G_bDpT10_ENKUlT_T0_E_clISt17integral_constantIbLb1EES1T_IbLb0EEEEDaS1P_S1Q_EUlS1P_E_NS1_11comp_targetILNS1_3genE9ELNS1_11target_archE1100ELNS1_3gpuE3ELNS1_3repE0EEENS1_30default_config_static_selectorELNS0_4arch9wavefront6targetE0EEEvS12_.uses_flat_scratch, 0
	.set _ZN7rocprim17ROCPRIM_400000_NS6detail17trampoline_kernelINS0_13select_configILj256ELj13ELNS0_17block_load_methodE3ELS4_3ELS4_3ELNS0_20block_scan_algorithmE0ELj4294967295EEENS1_25partition_config_selectorILNS1_17partition_subalgoE4EjNS0_10empty_typeEbEEZZNS1_14partition_implILS8_4ELb0ES6_15HIP_vector_typeIjLj2EENS0_17counting_iteratorIjlEEPS9_SG_NS0_5tupleIJPjSI_NS0_16reverse_iteratorISI_EEEEENSH_IJSG_SG_SG_EEES9_SI_JZNS1_25segmented_radix_sort_implINS0_14default_configELb0EPKiPiPKlPlN2at6native12_GLOBAL__N_18offset_tEEE10hipError_tPvRmT1_PNSt15iterator_traitsIS12_E10value_typeET2_T3_PNS13_IS18_E10value_typeET4_jRbjT5_S1E_jjP12ihipStream_tbEUljE_ZNSN_ISO_Lb0ESQ_SR_ST_SU_SY_EESZ_S10_S11_S12_S16_S17_S18_S1B_S1C_jS1D_jS1E_S1E_jjS1G_bEUljE0_EEESZ_S10_S11_S18_S1C_S1E_T6_T7_T9_mT8_S1G_bDpT10_ENKUlT_T0_E_clISt17integral_constantIbLb1EES1T_IbLb0EEEEDaS1P_S1Q_EUlS1P_E_NS1_11comp_targetILNS1_3genE9ELNS1_11target_archE1100ELNS1_3gpuE3ELNS1_3repE0EEENS1_30default_config_static_selectorELNS0_4arch9wavefront6targetE0EEEvS12_.has_dyn_sized_stack, 0
	.set _ZN7rocprim17ROCPRIM_400000_NS6detail17trampoline_kernelINS0_13select_configILj256ELj13ELNS0_17block_load_methodE3ELS4_3ELS4_3ELNS0_20block_scan_algorithmE0ELj4294967295EEENS1_25partition_config_selectorILNS1_17partition_subalgoE4EjNS0_10empty_typeEbEEZZNS1_14partition_implILS8_4ELb0ES6_15HIP_vector_typeIjLj2EENS0_17counting_iteratorIjlEEPS9_SG_NS0_5tupleIJPjSI_NS0_16reverse_iteratorISI_EEEEENSH_IJSG_SG_SG_EEES9_SI_JZNS1_25segmented_radix_sort_implINS0_14default_configELb0EPKiPiPKlPlN2at6native12_GLOBAL__N_18offset_tEEE10hipError_tPvRmT1_PNSt15iterator_traitsIS12_E10value_typeET2_T3_PNS13_IS18_E10value_typeET4_jRbjT5_S1E_jjP12ihipStream_tbEUljE_ZNSN_ISO_Lb0ESQ_SR_ST_SU_SY_EESZ_S10_S11_S12_S16_S17_S18_S1B_S1C_jS1D_jS1E_S1E_jjS1G_bEUljE0_EEESZ_S10_S11_S18_S1C_S1E_T6_T7_T9_mT8_S1G_bDpT10_ENKUlT_T0_E_clISt17integral_constantIbLb1EES1T_IbLb0EEEEDaS1P_S1Q_EUlS1P_E_NS1_11comp_targetILNS1_3genE9ELNS1_11target_archE1100ELNS1_3gpuE3ELNS1_3repE0EEENS1_30default_config_static_selectorELNS0_4arch9wavefront6targetE0EEEvS12_.has_recursion, 0
	.set _ZN7rocprim17ROCPRIM_400000_NS6detail17trampoline_kernelINS0_13select_configILj256ELj13ELNS0_17block_load_methodE3ELS4_3ELS4_3ELNS0_20block_scan_algorithmE0ELj4294967295EEENS1_25partition_config_selectorILNS1_17partition_subalgoE4EjNS0_10empty_typeEbEEZZNS1_14partition_implILS8_4ELb0ES6_15HIP_vector_typeIjLj2EENS0_17counting_iteratorIjlEEPS9_SG_NS0_5tupleIJPjSI_NS0_16reverse_iteratorISI_EEEEENSH_IJSG_SG_SG_EEES9_SI_JZNS1_25segmented_radix_sort_implINS0_14default_configELb0EPKiPiPKlPlN2at6native12_GLOBAL__N_18offset_tEEE10hipError_tPvRmT1_PNSt15iterator_traitsIS12_E10value_typeET2_T3_PNS13_IS18_E10value_typeET4_jRbjT5_S1E_jjP12ihipStream_tbEUljE_ZNSN_ISO_Lb0ESQ_SR_ST_SU_SY_EESZ_S10_S11_S12_S16_S17_S18_S1B_S1C_jS1D_jS1E_S1E_jjS1G_bEUljE0_EEESZ_S10_S11_S18_S1C_S1E_T6_T7_T9_mT8_S1G_bDpT10_ENKUlT_T0_E_clISt17integral_constantIbLb1EES1T_IbLb0EEEEDaS1P_S1Q_EUlS1P_E_NS1_11comp_targetILNS1_3genE9ELNS1_11target_archE1100ELNS1_3gpuE3ELNS1_3repE0EEENS1_30default_config_static_selectorELNS0_4arch9wavefront6targetE0EEEvS12_.has_indirect_call, 0
	.section	.AMDGPU.csdata,"",@progbits
; Kernel info:
; codeLenInByte = 0
; TotalNumSgprs: 0
; NumVgprs: 0
; ScratchSize: 0
; MemoryBound: 0
; FloatMode: 240
; IeeeMode: 1
; LDSByteSize: 0 bytes/workgroup (compile time only)
; SGPRBlocks: 0
; VGPRBlocks: 0
; NumSGPRsForWavesPerEU: 1
; NumVGPRsForWavesPerEU: 1
; Occupancy: 16
; WaveLimiterHint : 0
; COMPUTE_PGM_RSRC2:SCRATCH_EN: 0
; COMPUTE_PGM_RSRC2:USER_SGPR: 2
; COMPUTE_PGM_RSRC2:TRAP_HANDLER: 0
; COMPUTE_PGM_RSRC2:TGID_X_EN: 1
; COMPUTE_PGM_RSRC2:TGID_Y_EN: 0
; COMPUTE_PGM_RSRC2:TGID_Z_EN: 0
; COMPUTE_PGM_RSRC2:TIDIG_COMP_CNT: 0
	.section	.text._ZN7rocprim17ROCPRIM_400000_NS6detail17trampoline_kernelINS0_13select_configILj256ELj13ELNS0_17block_load_methodE3ELS4_3ELS4_3ELNS0_20block_scan_algorithmE0ELj4294967295EEENS1_25partition_config_selectorILNS1_17partition_subalgoE4EjNS0_10empty_typeEbEEZZNS1_14partition_implILS8_4ELb0ES6_15HIP_vector_typeIjLj2EENS0_17counting_iteratorIjlEEPS9_SG_NS0_5tupleIJPjSI_NS0_16reverse_iteratorISI_EEEEENSH_IJSG_SG_SG_EEES9_SI_JZNS1_25segmented_radix_sort_implINS0_14default_configELb0EPKiPiPKlPlN2at6native12_GLOBAL__N_18offset_tEEE10hipError_tPvRmT1_PNSt15iterator_traitsIS12_E10value_typeET2_T3_PNS13_IS18_E10value_typeET4_jRbjT5_S1E_jjP12ihipStream_tbEUljE_ZNSN_ISO_Lb0ESQ_SR_ST_SU_SY_EESZ_S10_S11_S12_S16_S17_S18_S1B_S1C_jS1D_jS1E_S1E_jjS1G_bEUljE0_EEESZ_S10_S11_S18_S1C_S1E_T6_T7_T9_mT8_S1G_bDpT10_ENKUlT_T0_E_clISt17integral_constantIbLb1EES1T_IbLb0EEEEDaS1P_S1Q_EUlS1P_E_NS1_11comp_targetILNS1_3genE8ELNS1_11target_archE1030ELNS1_3gpuE2ELNS1_3repE0EEENS1_30default_config_static_selectorELNS0_4arch9wavefront6targetE0EEEvS12_,"axG",@progbits,_ZN7rocprim17ROCPRIM_400000_NS6detail17trampoline_kernelINS0_13select_configILj256ELj13ELNS0_17block_load_methodE3ELS4_3ELS4_3ELNS0_20block_scan_algorithmE0ELj4294967295EEENS1_25partition_config_selectorILNS1_17partition_subalgoE4EjNS0_10empty_typeEbEEZZNS1_14partition_implILS8_4ELb0ES6_15HIP_vector_typeIjLj2EENS0_17counting_iteratorIjlEEPS9_SG_NS0_5tupleIJPjSI_NS0_16reverse_iteratorISI_EEEEENSH_IJSG_SG_SG_EEES9_SI_JZNS1_25segmented_radix_sort_implINS0_14default_configELb0EPKiPiPKlPlN2at6native12_GLOBAL__N_18offset_tEEE10hipError_tPvRmT1_PNSt15iterator_traitsIS12_E10value_typeET2_T3_PNS13_IS18_E10value_typeET4_jRbjT5_S1E_jjP12ihipStream_tbEUljE_ZNSN_ISO_Lb0ESQ_SR_ST_SU_SY_EESZ_S10_S11_S12_S16_S17_S18_S1B_S1C_jS1D_jS1E_S1E_jjS1G_bEUljE0_EEESZ_S10_S11_S18_S1C_S1E_T6_T7_T9_mT8_S1G_bDpT10_ENKUlT_T0_E_clISt17integral_constantIbLb1EES1T_IbLb0EEEEDaS1P_S1Q_EUlS1P_E_NS1_11comp_targetILNS1_3genE8ELNS1_11target_archE1030ELNS1_3gpuE2ELNS1_3repE0EEENS1_30default_config_static_selectorELNS0_4arch9wavefront6targetE0EEEvS12_,comdat
	.globl	_ZN7rocprim17ROCPRIM_400000_NS6detail17trampoline_kernelINS0_13select_configILj256ELj13ELNS0_17block_load_methodE3ELS4_3ELS4_3ELNS0_20block_scan_algorithmE0ELj4294967295EEENS1_25partition_config_selectorILNS1_17partition_subalgoE4EjNS0_10empty_typeEbEEZZNS1_14partition_implILS8_4ELb0ES6_15HIP_vector_typeIjLj2EENS0_17counting_iteratorIjlEEPS9_SG_NS0_5tupleIJPjSI_NS0_16reverse_iteratorISI_EEEEENSH_IJSG_SG_SG_EEES9_SI_JZNS1_25segmented_radix_sort_implINS0_14default_configELb0EPKiPiPKlPlN2at6native12_GLOBAL__N_18offset_tEEE10hipError_tPvRmT1_PNSt15iterator_traitsIS12_E10value_typeET2_T3_PNS13_IS18_E10value_typeET4_jRbjT5_S1E_jjP12ihipStream_tbEUljE_ZNSN_ISO_Lb0ESQ_SR_ST_SU_SY_EESZ_S10_S11_S12_S16_S17_S18_S1B_S1C_jS1D_jS1E_S1E_jjS1G_bEUljE0_EEESZ_S10_S11_S18_S1C_S1E_T6_T7_T9_mT8_S1G_bDpT10_ENKUlT_T0_E_clISt17integral_constantIbLb1EES1T_IbLb0EEEEDaS1P_S1Q_EUlS1P_E_NS1_11comp_targetILNS1_3genE8ELNS1_11target_archE1030ELNS1_3gpuE2ELNS1_3repE0EEENS1_30default_config_static_selectorELNS0_4arch9wavefront6targetE0EEEvS12_ ; -- Begin function _ZN7rocprim17ROCPRIM_400000_NS6detail17trampoline_kernelINS0_13select_configILj256ELj13ELNS0_17block_load_methodE3ELS4_3ELS4_3ELNS0_20block_scan_algorithmE0ELj4294967295EEENS1_25partition_config_selectorILNS1_17partition_subalgoE4EjNS0_10empty_typeEbEEZZNS1_14partition_implILS8_4ELb0ES6_15HIP_vector_typeIjLj2EENS0_17counting_iteratorIjlEEPS9_SG_NS0_5tupleIJPjSI_NS0_16reverse_iteratorISI_EEEEENSH_IJSG_SG_SG_EEES9_SI_JZNS1_25segmented_radix_sort_implINS0_14default_configELb0EPKiPiPKlPlN2at6native12_GLOBAL__N_18offset_tEEE10hipError_tPvRmT1_PNSt15iterator_traitsIS12_E10value_typeET2_T3_PNS13_IS18_E10value_typeET4_jRbjT5_S1E_jjP12ihipStream_tbEUljE_ZNSN_ISO_Lb0ESQ_SR_ST_SU_SY_EESZ_S10_S11_S12_S16_S17_S18_S1B_S1C_jS1D_jS1E_S1E_jjS1G_bEUljE0_EEESZ_S10_S11_S18_S1C_S1E_T6_T7_T9_mT8_S1G_bDpT10_ENKUlT_T0_E_clISt17integral_constantIbLb1EES1T_IbLb0EEEEDaS1P_S1Q_EUlS1P_E_NS1_11comp_targetILNS1_3genE8ELNS1_11target_archE1030ELNS1_3gpuE2ELNS1_3repE0EEENS1_30default_config_static_selectorELNS0_4arch9wavefront6targetE0EEEvS12_
	.p2align	8
	.type	_ZN7rocprim17ROCPRIM_400000_NS6detail17trampoline_kernelINS0_13select_configILj256ELj13ELNS0_17block_load_methodE3ELS4_3ELS4_3ELNS0_20block_scan_algorithmE0ELj4294967295EEENS1_25partition_config_selectorILNS1_17partition_subalgoE4EjNS0_10empty_typeEbEEZZNS1_14partition_implILS8_4ELb0ES6_15HIP_vector_typeIjLj2EENS0_17counting_iteratorIjlEEPS9_SG_NS0_5tupleIJPjSI_NS0_16reverse_iteratorISI_EEEEENSH_IJSG_SG_SG_EEES9_SI_JZNS1_25segmented_radix_sort_implINS0_14default_configELb0EPKiPiPKlPlN2at6native12_GLOBAL__N_18offset_tEEE10hipError_tPvRmT1_PNSt15iterator_traitsIS12_E10value_typeET2_T3_PNS13_IS18_E10value_typeET4_jRbjT5_S1E_jjP12ihipStream_tbEUljE_ZNSN_ISO_Lb0ESQ_SR_ST_SU_SY_EESZ_S10_S11_S12_S16_S17_S18_S1B_S1C_jS1D_jS1E_S1E_jjS1G_bEUljE0_EEESZ_S10_S11_S18_S1C_S1E_T6_T7_T9_mT8_S1G_bDpT10_ENKUlT_T0_E_clISt17integral_constantIbLb1EES1T_IbLb0EEEEDaS1P_S1Q_EUlS1P_E_NS1_11comp_targetILNS1_3genE8ELNS1_11target_archE1030ELNS1_3gpuE2ELNS1_3repE0EEENS1_30default_config_static_selectorELNS0_4arch9wavefront6targetE0EEEvS12_,@function
_ZN7rocprim17ROCPRIM_400000_NS6detail17trampoline_kernelINS0_13select_configILj256ELj13ELNS0_17block_load_methodE3ELS4_3ELS4_3ELNS0_20block_scan_algorithmE0ELj4294967295EEENS1_25partition_config_selectorILNS1_17partition_subalgoE4EjNS0_10empty_typeEbEEZZNS1_14partition_implILS8_4ELb0ES6_15HIP_vector_typeIjLj2EENS0_17counting_iteratorIjlEEPS9_SG_NS0_5tupleIJPjSI_NS0_16reverse_iteratorISI_EEEEENSH_IJSG_SG_SG_EEES9_SI_JZNS1_25segmented_radix_sort_implINS0_14default_configELb0EPKiPiPKlPlN2at6native12_GLOBAL__N_18offset_tEEE10hipError_tPvRmT1_PNSt15iterator_traitsIS12_E10value_typeET2_T3_PNS13_IS18_E10value_typeET4_jRbjT5_S1E_jjP12ihipStream_tbEUljE_ZNSN_ISO_Lb0ESQ_SR_ST_SU_SY_EESZ_S10_S11_S12_S16_S17_S18_S1B_S1C_jS1D_jS1E_S1E_jjS1G_bEUljE0_EEESZ_S10_S11_S18_S1C_S1E_T6_T7_T9_mT8_S1G_bDpT10_ENKUlT_T0_E_clISt17integral_constantIbLb1EES1T_IbLb0EEEEDaS1P_S1Q_EUlS1P_E_NS1_11comp_targetILNS1_3genE8ELNS1_11target_archE1030ELNS1_3gpuE2ELNS1_3repE0EEENS1_30default_config_static_selectorELNS0_4arch9wavefront6targetE0EEEvS12_: ; @_ZN7rocprim17ROCPRIM_400000_NS6detail17trampoline_kernelINS0_13select_configILj256ELj13ELNS0_17block_load_methodE3ELS4_3ELS4_3ELNS0_20block_scan_algorithmE0ELj4294967295EEENS1_25partition_config_selectorILNS1_17partition_subalgoE4EjNS0_10empty_typeEbEEZZNS1_14partition_implILS8_4ELb0ES6_15HIP_vector_typeIjLj2EENS0_17counting_iteratorIjlEEPS9_SG_NS0_5tupleIJPjSI_NS0_16reverse_iteratorISI_EEEEENSH_IJSG_SG_SG_EEES9_SI_JZNS1_25segmented_radix_sort_implINS0_14default_configELb0EPKiPiPKlPlN2at6native12_GLOBAL__N_18offset_tEEE10hipError_tPvRmT1_PNSt15iterator_traitsIS12_E10value_typeET2_T3_PNS13_IS18_E10value_typeET4_jRbjT5_S1E_jjP12ihipStream_tbEUljE_ZNSN_ISO_Lb0ESQ_SR_ST_SU_SY_EESZ_S10_S11_S12_S16_S17_S18_S1B_S1C_jS1D_jS1E_S1E_jjS1G_bEUljE0_EEESZ_S10_S11_S18_S1C_S1E_T6_T7_T9_mT8_S1G_bDpT10_ENKUlT_T0_E_clISt17integral_constantIbLb1EES1T_IbLb0EEEEDaS1P_S1Q_EUlS1P_E_NS1_11comp_targetILNS1_3genE8ELNS1_11target_archE1030ELNS1_3gpuE2ELNS1_3repE0EEENS1_30default_config_static_selectorELNS0_4arch9wavefront6targetE0EEEvS12_
; %bb.0:
	.section	.rodata,"a",@progbits
	.p2align	6, 0x0
	.amdhsa_kernel _ZN7rocprim17ROCPRIM_400000_NS6detail17trampoline_kernelINS0_13select_configILj256ELj13ELNS0_17block_load_methodE3ELS4_3ELS4_3ELNS0_20block_scan_algorithmE0ELj4294967295EEENS1_25partition_config_selectorILNS1_17partition_subalgoE4EjNS0_10empty_typeEbEEZZNS1_14partition_implILS8_4ELb0ES6_15HIP_vector_typeIjLj2EENS0_17counting_iteratorIjlEEPS9_SG_NS0_5tupleIJPjSI_NS0_16reverse_iteratorISI_EEEEENSH_IJSG_SG_SG_EEES9_SI_JZNS1_25segmented_radix_sort_implINS0_14default_configELb0EPKiPiPKlPlN2at6native12_GLOBAL__N_18offset_tEEE10hipError_tPvRmT1_PNSt15iterator_traitsIS12_E10value_typeET2_T3_PNS13_IS18_E10value_typeET4_jRbjT5_S1E_jjP12ihipStream_tbEUljE_ZNSN_ISO_Lb0ESQ_SR_ST_SU_SY_EESZ_S10_S11_S12_S16_S17_S18_S1B_S1C_jS1D_jS1E_S1E_jjS1G_bEUljE0_EEESZ_S10_S11_S18_S1C_S1E_T6_T7_T9_mT8_S1G_bDpT10_ENKUlT_T0_E_clISt17integral_constantIbLb1EES1T_IbLb0EEEEDaS1P_S1Q_EUlS1P_E_NS1_11comp_targetILNS1_3genE8ELNS1_11target_archE1030ELNS1_3gpuE2ELNS1_3repE0EEENS1_30default_config_static_selectorELNS0_4arch9wavefront6targetE0EEEvS12_
		.amdhsa_group_segment_fixed_size 0
		.amdhsa_private_segment_fixed_size 0
		.amdhsa_kernarg_size 176
		.amdhsa_user_sgpr_count 2
		.amdhsa_user_sgpr_dispatch_ptr 0
		.amdhsa_user_sgpr_queue_ptr 0
		.amdhsa_user_sgpr_kernarg_segment_ptr 1
		.amdhsa_user_sgpr_dispatch_id 0
		.amdhsa_user_sgpr_private_segment_size 0
		.amdhsa_wavefront_size32 1
		.amdhsa_uses_dynamic_stack 0
		.amdhsa_enable_private_segment 0
		.amdhsa_system_sgpr_workgroup_id_x 1
		.amdhsa_system_sgpr_workgroup_id_y 0
		.amdhsa_system_sgpr_workgroup_id_z 0
		.amdhsa_system_sgpr_workgroup_info 0
		.amdhsa_system_vgpr_workitem_id 0
		.amdhsa_next_free_vgpr 1
		.amdhsa_next_free_sgpr 1
		.amdhsa_reserve_vcc 0
		.amdhsa_float_round_mode_32 0
		.amdhsa_float_round_mode_16_64 0
		.amdhsa_float_denorm_mode_32 3
		.amdhsa_float_denorm_mode_16_64 3
		.amdhsa_fp16_overflow 0
		.amdhsa_workgroup_processor_mode 1
		.amdhsa_memory_ordered 1
		.amdhsa_forward_progress 1
		.amdhsa_inst_pref_size 0
		.amdhsa_round_robin_scheduling 0
		.amdhsa_exception_fp_ieee_invalid_op 0
		.amdhsa_exception_fp_denorm_src 0
		.amdhsa_exception_fp_ieee_div_zero 0
		.amdhsa_exception_fp_ieee_overflow 0
		.amdhsa_exception_fp_ieee_underflow 0
		.amdhsa_exception_fp_ieee_inexact 0
		.amdhsa_exception_int_div_zero 0
	.end_amdhsa_kernel
	.section	.text._ZN7rocprim17ROCPRIM_400000_NS6detail17trampoline_kernelINS0_13select_configILj256ELj13ELNS0_17block_load_methodE3ELS4_3ELS4_3ELNS0_20block_scan_algorithmE0ELj4294967295EEENS1_25partition_config_selectorILNS1_17partition_subalgoE4EjNS0_10empty_typeEbEEZZNS1_14partition_implILS8_4ELb0ES6_15HIP_vector_typeIjLj2EENS0_17counting_iteratorIjlEEPS9_SG_NS0_5tupleIJPjSI_NS0_16reverse_iteratorISI_EEEEENSH_IJSG_SG_SG_EEES9_SI_JZNS1_25segmented_radix_sort_implINS0_14default_configELb0EPKiPiPKlPlN2at6native12_GLOBAL__N_18offset_tEEE10hipError_tPvRmT1_PNSt15iterator_traitsIS12_E10value_typeET2_T3_PNS13_IS18_E10value_typeET4_jRbjT5_S1E_jjP12ihipStream_tbEUljE_ZNSN_ISO_Lb0ESQ_SR_ST_SU_SY_EESZ_S10_S11_S12_S16_S17_S18_S1B_S1C_jS1D_jS1E_S1E_jjS1G_bEUljE0_EEESZ_S10_S11_S18_S1C_S1E_T6_T7_T9_mT8_S1G_bDpT10_ENKUlT_T0_E_clISt17integral_constantIbLb1EES1T_IbLb0EEEEDaS1P_S1Q_EUlS1P_E_NS1_11comp_targetILNS1_3genE8ELNS1_11target_archE1030ELNS1_3gpuE2ELNS1_3repE0EEENS1_30default_config_static_selectorELNS0_4arch9wavefront6targetE0EEEvS12_,"axG",@progbits,_ZN7rocprim17ROCPRIM_400000_NS6detail17trampoline_kernelINS0_13select_configILj256ELj13ELNS0_17block_load_methodE3ELS4_3ELS4_3ELNS0_20block_scan_algorithmE0ELj4294967295EEENS1_25partition_config_selectorILNS1_17partition_subalgoE4EjNS0_10empty_typeEbEEZZNS1_14partition_implILS8_4ELb0ES6_15HIP_vector_typeIjLj2EENS0_17counting_iteratorIjlEEPS9_SG_NS0_5tupleIJPjSI_NS0_16reverse_iteratorISI_EEEEENSH_IJSG_SG_SG_EEES9_SI_JZNS1_25segmented_radix_sort_implINS0_14default_configELb0EPKiPiPKlPlN2at6native12_GLOBAL__N_18offset_tEEE10hipError_tPvRmT1_PNSt15iterator_traitsIS12_E10value_typeET2_T3_PNS13_IS18_E10value_typeET4_jRbjT5_S1E_jjP12ihipStream_tbEUljE_ZNSN_ISO_Lb0ESQ_SR_ST_SU_SY_EESZ_S10_S11_S12_S16_S17_S18_S1B_S1C_jS1D_jS1E_S1E_jjS1G_bEUljE0_EEESZ_S10_S11_S18_S1C_S1E_T6_T7_T9_mT8_S1G_bDpT10_ENKUlT_T0_E_clISt17integral_constantIbLb1EES1T_IbLb0EEEEDaS1P_S1Q_EUlS1P_E_NS1_11comp_targetILNS1_3genE8ELNS1_11target_archE1030ELNS1_3gpuE2ELNS1_3repE0EEENS1_30default_config_static_selectorELNS0_4arch9wavefront6targetE0EEEvS12_,comdat
.Lfunc_end559:
	.size	_ZN7rocprim17ROCPRIM_400000_NS6detail17trampoline_kernelINS0_13select_configILj256ELj13ELNS0_17block_load_methodE3ELS4_3ELS4_3ELNS0_20block_scan_algorithmE0ELj4294967295EEENS1_25partition_config_selectorILNS1_17partition_subalgoE4EjNS0_10empty_typeEbEEZZNS1_14partition_implILS8_4ELb0ES6_15HIP_vector_typeIjLj2EENS0_17counting_iteratorIjlEEPS9_SG_NS0_5tupleIJPjSI_NS0_16reverse_iteratorISI_EEEEENSH_IJSG_SG_SG_EEES9_SI_JZNS1_25segmented_radix_sort_implINS0_14default_configELb0EPKiPiPKlPlN2at6native12_GLOBAL__N_18offset_tEEE10hipError_tPvRmT1_PNSt15iterator_traitsIS12_E10value_typeET2_T3_PNS13_IS18_E10value_typeET4_jRbjT5_S1E_jjP12ihipStream_tbEUljE_ZNSN_ISO_Lb0ESQ_SR_ST_SU_SY_EESZ_S10_S11_S12_S16_S17_S18_S1B_S1C_jS1D_jS1E_S1E_jjS1G_bEUljE0_EEESZ_S10_S11_S18_S1C_S1E_T6_T7_T9_mT8_S1G_bDpT10_ENKUlT_T0_E_clISt17integral_constantIbLb1EES1T_IbLb0EEEEDaS1P_S1Q_EUlS1P_E_NS1_11comp_targetILNS1_3genE8ELNS1_11target_archE1030ELNS1_3gpuE2ELNS1_3repE0EEENS1_30default_config_static_selectorELNS0_4arch9wavefront6targetE0EEEvS12_, .Lfunc_end559-_ZN7rocprim17ROCPRIM_400000_NS6detail17trampoline_kernelINS0_13select_configILj256ELj13ELNS0_17block_load_methodE3ELS4_3ELS4_3ELNS0_20block_scan_algorithmE0ELj4294967295EEENS1_25partition_config_selectorILNS1_17partition_subalgoE4EjNS0_10empty_typeEbEEZZNS1_14partition_implILS8_4ELb0ES6_15HIP_vector_typeIjLj2EENS0_17counting_iteratorIjlEEPS9_SG_NS0_5tupleIJPjSI_NS0_16reverse_iteratorISI_EEEEENSH_IJSG_SG_SG_EEES9_SI_JZNS1_25segmented_radix_sort_implINS0_14default_configELb0EPKiPiPKlPlN2at6native12_GLOBAL__N_18offset_tEEE10hipError_tPvRmT1_PNSt15iterator_traitsIS12_E10value_typeET2_T3_PNS13_IS18_E10value_typeET4_jRbjT5_S1E_jjP12ihipStream_tbEUljE_ZNSN_ISO_Lb0ESQ_SR_ST_SU_SY_EESZ_S10_S11_S12_S16_S17_S18_S1B_S1C_jS1D_jS1E_S1E_jjS1G_bEUljE0_EEESZ_S10_S11_S18_S1C_S1E_T6_T7_T9_mT8_S1G_bDpT10_ENKUlT_T0_E_clISt17integral_constantIbLb1EES1T_IbLb0EEEEDaS1P_S1Q_EUlS1P_E_NS1_11comp_targetILNS1_3genE8ELNS1_11target_archE1030ELNS1_3gpuE2ELNS1_3repE0EEENS1_30default_config_static_selectorELNS0_4arch9wavefront6targetE0EEEvS12_
                                        ; -- End function
	.set _ZN7rocprim17ROCPRIM_400000_NS6detail17trampoline_kernelINS0_13select_configILj256ELj13ELNS0_17block_load_methodE3ELS4_3ELS4_3ELNS0_20block_scan_algorithmE0ELj4294967295EEENS1_25partition_config_selectorILNS1_17partition_subalgoE4EjNS0_10empty_typeEbEEZZNS1_14partition_implILS8_4ELb0ES6_15HIP_vector_typeIjLj2EENS0_17counting_iteratorIjlEEPS9_SG_NS0_5tupleIJPjSI_NS0_16reverse_iteratorISI_EEEEENSH_IJSG_SG_SG_EEES9_SI_JZNS1_25segmented_radix_sort_implINS0_14default_configELb0EPKiPiPKlPlN2at6native12_GLOBAL__N_18offset_tEEE10hipError_tPvRmT1_PNSt15iterator_traitsIS12_E10value_typeET2_T3_PNS13_IS18_E10value_typeET4_jRbjT5_S1E_jjP12ihipStream_tbEUljE_ZNSN_ISO_Lb0ESQ_SR_ST_SU_SY_EESZ_S10_S11_S12_S16_S17_S18_S1B_S1C_jS1D_jS1E_S1E_jjS1G_bEUljE0_EEESZ_S10_S11_S18_S1C_S1E_T6_T7_T9_mT8_S1G_bDpT10_ENKUlT_T0_E_clISt17integral_constantIbLb1EES1T_IbLb0EEEEDaS1P_S1Q_EUlS1P_E_NS1_11comp_targetILNS1_3genE8ELNS1_11target_archE1030ELNS1_3gpuE2ELNS1_3repE0EEENS1_30default_config_static_selectorELNS0_4arch9wavefront6targetE0EEEvS12_.num_vgpr, 0
	.set _ZN7rocprim17ROCPRIM_400000_NS6detail17trampoline_kernelINS0_13select_configILj256ELj13ELNS0_17block_load_methodE3ELS4_3ELS4_3ELNS0_20block_scan_algorithmE0ELj4294967295EEENS1_25partition_config_selectorILNS1_17partition_subalgoE4EjNS0_10empty_typeEbEEZZNS1_14partition_implILS8_4ELb0ES6_15HIP_vector_typeIjLj2EENS0_17counting_iteratorIjlEEPS9_SG_NS0_5tupleIJPjSI_NS0_16reverse_iteratorISI_EEEEENSH_IJSG_SG_SG_EEES9_SI_JZNS1_25segmented_radix_sort_implINS0_14default_configELb0EPKiPiPKlPlN2at6native12_GLOBAL__N_18offset_tEEE10hipError_tPvRmT1_PNSt15iterator_traitsIS12_E10value_typeET2_T3_PNS13_IS18_E10value_typeET4_jRbjT5_S1E_jjP12ihipStream_tbEUljE_ZNSN_ISO_Lb0ESQ_SR_ST_SU_SY_EESZ_S10_S11_S12_S16_S17_S18_S1B_S1C_jS1D_jS1E_S1E_jjS1G_bEUljE0_EEESZ_S10_S11_S18_S1C_S1E_T6_T7_T9_mT8_S1G_bDpT10_ENKUlT_T0_E_clISt17integral_constantIbLb1EES1T_IbLb0EEEEDaS1P_S1Q_EUlS1P_E_NS1_11comp_targetILNS1_3genE8ELNS1_11target_archE1030ELNS1_3gpuE2ELNS1_3repE0EEENS1_30default_config_static_selectorELNS0_4arch9wavefront6targetE0EEEvS12_.num_agpr, 0
	.set _ZN7rocprim17ROCPRIM_400000_NS6detail17trampoline_kernelINS0_13select_configILj256ELj13ELNS0_17block_load_methodE3ELS4_3ELS4_3ELNS0_20block_scan_algorithmE0ELj4294967295EEENS1_25partition_config_selectorILNS1_17partition_subalgoE4EjNS0_10empty_typeEbEEZZNS1_14partition_implILS8_4ELb0ES6_15HIP_vector_typeIjLj2EENS0_17counting_iteratorIjlEEPS9_SG_NS0_5tupleIJPjSI_NS0_16reverse_iteratorISI_EEEEENSH_IJSG_SG_SG_EEES9_SI_JZNS1_25segmented_radix_sort_implINS0_14default_configELb0EPKiPiPKlPlN2at6native12_GLOBAL__N_18offset_tEEE10hipError_tPvRmT1_PNSt15iterator_traitsIS12_E10value_typeET2_T3_PNS13_IS18_E10value_typeET4_jRbjT5_S1E_jjP12ihipStream_tbEUljE_ZNSN_ISO_Lb0ESQ_SR_ST_SU_SY_EESZ_S10_S11_S12_S16_S17_S18_S1B_S1C_jS1D_jS1E_S1E_jjS1G_bEUljE0_EEESZ_S10_S11_S18_S1C_S1E_T6_T7_T9_mT8_S1G_bDpT10_ENKUlT_T0_E_clISt17integral_constantIbLb1EES1T_IbLb0EEEEDaS1P_S1Q_EUlS1P_E_NS1_11comp_targetILNS1_3genE8ELNS1_11target_archE1030ELNS1_3gpuE2ELNS1_3repE0EEENS1_30default_config_static_selectorELNS0_4arch9wavefront6targetE0EEEvS12_.numbered_sgpr, 0
	.set _ZN7rocprim17ROCPRIM_400000_NS6detail17trampoline_kernelINS0_13select_configILj256ELj13ELNS0_17block_load_methodE3ELS4_3ELS4_3ELNS0_20block_scan_algorithmE0ELj4294967295EEENS1_25partition_config_selectorILNS1_17partition_subalgoE4EjNS0_10empty_typeEbEEZZNS1_14partition_implILS8_4ELb0ES6_15HIP_vector_typeIjLj2EENS0_17counting_iteratorIjlEEPS9_SG_NS0_5tupleIJPjSI_NS0_16reverse_iteratorISI_EEEEENSH_IJSG_SG_SG_EEES9_SI_JZNS1_25segmented_radix_sort_implINS0_14default_configELb0EPKiPiPKlPlN2at6native12_GLOBAL__N_18offset_tEEE10hipError_tPvRmT1_PNSt15iterator_traitsIS12_E10value_typeET2_T3_PNS13_IS18_E10value_typeET4_jRbjT5_S1E_jjP12ihipStream_tbEUljE_ZNSN_ISO_Lb0ESQ_SR_ST_SU_SY_EESZ_S10_S11_S12_S16_S17_S18_S1B_S1C_jS1D_jS1E_S1E_jjS1G_bEUljE0_EEESZ_S10_S11_S18_S1C_S1E_T6_T7_T9_mT8_S1G_bDpT10_ENKUlT_T0_E_clISt17integral_constantIbLb1EES1T_IbLb0EEEEDaS1P_S1Q_EUlS1P_E_NS1_11comp_targetILNS1_3genE8ELNS1_11target_archE1030ELNS1_3gpuE2ELNS1_3repE0EEENS1_30default_config_static_selectorELNS0_4arch9wavefront6targetE0EEEvS12_.num_named_barrier, 0
	.set _ZN7rocprim17ROCPRIM_400000_NS6detail17trampoline_kernelINS0_13select_configILj256ELj13ELNS0_17block_load_methodE3ELS4_3ELS4_3ELNS0_20block_scan_algorithmE0ELj4294967295EEENS1_25partition_config_selectorILNS1_17partition_subalgoE4EjNS0_10empty_typeEbEEZZNS1_14partition_implILS8_4ELb0ES6_15HIP_vector_typeIjLj2EENS0_17counting_iteratorIjlEEPS9_SG_NS0_5tupleIJPjSI_NS0_16reverse_iteratorISI_EEEEENSH_IJSG_SG_SG_EEES9_SI_JZNS1_25segmented_radix_sort_implINS0_14default_configELb0EPKiPiPKlPlN2at6native12_GLOBAL__N_18offset_tEEE10hipError_tPvRmT1_PNSt15iterator_traitsIS12_E10value_typeET2_T3_PNS13_IS18_E10value_typeET4_jRbjT5_S1E_jjP12ihipStream_tbEUljE_ZNSN_ISO_Lb0ESQ_SR_ST_SU_SY_EESZ_S10_S11_S12_S16_S17_S18_S1B_S1C_jS1D_jS1E_S1E_jjS1G_bEUljE0_EEESZ_S10_S11_S18_S1C_S1E_T6_T7_T9_mT8_S1G_bDpT10_ENKUlT_T0_E_clISt17integral_constantIbLb1EES1T_IbLb0EEEEDaS1P_S1Q_EUlS1P_E_NS1_11comp_targetILNS1_3genE8ELNS1_11target_archE1030ELNS1_3gpuE2ELNS1_3repE0EEENS1_30default_config_static_selectorELNS0_4arch9wavefront6targetE0EEEvS12_.private_seg_size, 0
	.set _ZN7rocprim17ROCPRIM_400000_NS6detail17trampoline_kernelINS0_13select_configILj256ELj13ELNS0_17block_load_methodE3ELS4_3ELS4_3ELNS0_20block_scan_algorithmE0ELj4294967295EEENS1_25partition_config_selectorILNS1_17partition_subalgoE4EjNS0_10empty_typeEbEEZZNS1_14partition_implILS8_4ELb0ES6_15HIP_vector_typeIjLj2EENS0_17counting_iteratorIjlEEPS9_SG_NS0_5tupleIJPjSI_NS0_16reverse_iteratorISI_EEEEENSH_IJSG_SG_SG_EEES9_SI_JZNS1_25segmented_radix_sort_implINS0_14default_configELb0EPKiPiPKlPlN2at6native12_GLOBAL__N_18offset_tEEE10hipError_tPvRmT1_PNSt15iterator_traitsIS12_E10value_typeET2_T3_PNS13_IS18_E10value_typeET4_jRbjT5_S1E_jjP12ihipStream_tbEUljE_ZNSN_ISO_Lb0ESQ_SR_ST_SU_SY_EESZ_S10_S11_S12_S16_S17_S18_S1B_S1C_jS1D_jS1E_S1E_jjS1G_bEUljE0_EEESZ_S10_S11_S18_S1C_S1E_T6_T7_T9_mT8_S1G_bDpT10_ENKUlT_T0_E_clISt17integral_constantIbLb1EES1T_IbLb0EEEEDaS1P_S1Q_EUlS1P_E_NS1_11comp_targetILNS1_3genE8ELNS1_11target_archE1030ELNS1_3gpuE2ELNS1_3repE0EEENS1_30default_config_static_selectorELNS0_4arch9wavefront6targetE0EEEvS12_.uses_vcc, 0
	.set _ZN7rocprim17ROCPRIM_400000_NS6detail17trampoline_kernelINS0_13select_configILj256ELj13ELNS0_17block_load_methodE3ELS4_3ELS4_3ELNS0_20block_scan_algorithmE0ELj4294967295EEENS1_25partition_config_selectorILNS1_17partition_subalgoE4EjNS0_10empty_typeEbEEZZNS1_14partition_implILS8_4ELb0ES6_15HIP_vector_typeIjLj2EENS0_17counting_iteratorIjlEEPS9_SG_NS0_5tupleIJPjSI_NS0_16reverse_iteratorISI_EEEEENSH_IJSG_SG_SG_EEES9_SI_JZNS1_25segmented_radix_sort_implINS0_14default_configELb0EPKiPiPKlPlN2at6native12_GLOBAL__N_18offset_tEEE10hipError_tPvRmT1_PNSt15iterator_traitsIS12_E10value_typeET2_T3_PNS13_IS18_E10value_typeET4_jRbjT5_S1E_jjP12ihipStream_tbEUljE_ZNSN_ISO_Lb0ESQ_SR_ST_SU_SY_EESZ_S10_S11_S12_S16_S17_S18_S1B_S1C_jS1D_jS1E_S1E_jjS1G_bEUljE0_EEESZ_S10_S11_S18_S1C_S1E_T6_T7_T9_mT8_S1G_bDpT10_ENKUlT_T0_E_clISt17integral_constantIbLb1EES1T_IbLb0EEEEDaS1P_S1Q_EUlS1P_E_NS1_11comp_targetILNS1_3genE8ELNS1_11target_archE1030ELNS1_3gpuE2ELNS1_3repE0EEENS1_30default_config_static_selectorELNS0_4arch9wavefront6targetE0EEEvS12_.uses_flat_scratch, 0
	.set _ZN7rocprim17ROCPRIM_400000_NS6detail17trampoline_kernelINS0_13select_configILj256ELj13ELNS0_17block_load_methodE3ELS4_3ELS4_3ELNS0_20block_scan_algorithmE0ELj4294967295EEENS1_25partition_config_selectorILNS1_17partition_subalgoE4EjNS0_10empty_typeEbEEZZNS1_14partition_implILS8_4ELb0ES6_15HIP_vector_typeIjLj2EENS0_17counting_iteratorIjlEEPS9_SG_NS0_5tupleIJPjSI_NS0_16reverse_iteratorISI_EEEEENSH_IJSG_SG_SG_EEES9_SI_JZNS1_25segmented_radix_sort_implINS0_14default_configELb0EPKiPiPKlPlN2at6native12_GLOBAL__N_18offset_tEEE10hipError_tPvRmT1_PNSt15iterator_traitsIS12_E10value_typeET2_T3_PNS13_IS18_E10value_typeET4_jRbjT5_S1E_jjP12ihipStream_tbEUljE_ZNSN_ISO_Lb0ESQ_SR_ST_SU_SY_EESZ_S10_S11_S12_S16_S17_S18_S1B_S1C_jS1D_jS1E_S1E_jjS1G_bEUljE0_EEESZ_S10_S11_S18_S1C_S1E_T6_T7_T9_mT8_S1G_bDpT10_ENKUlT_T0_E_clISt17integral_constantIbLb1EES1T_IbLb0EEEEDaS1P_S1Q_EUlS1P_E_NS1_11comp_targetILNS1_3genE8ELNS1_11target_archE1030ELNS1_3gpuE2ELNS1_3repE0EEENS1_30default_config_static_selectorELNS0_4arch9wavefront6targetE0EEEvS12_.has_dyn_sized_stack, 0
	.set _ZN7rocprim17ROCPRIM_400000_NS6detail17trampoline_kernelINS0_13select_configILj256ELj13ELNS0_17block_load_methodE3ELS4_3ELS4_3ELNS0_20block_scan_algorithmE0ELj4294967295EEENS1_25partition_config_selectorILNS1_17partition_subalgoE4EjNS0_10empty_typeEbEEZZNS1_14partition_implILS8_4ELb0ES6_15HIP_vector_typeIjLj2EENS0_17counting_iteratorIjlEEPS9_SG_NS0_5tupleIJPjSI_NS0_16reverse_iteratorISI_EEEEENSH_IJSG_SG_SG_EEES9_SI_JZNS1_25segmented_radix_sort_implINS0_14default_configELb0EPKiPiPKlPlN2at6native12_GLOBAL__N_18offset_tEEE10hipError_tPvRmT1_PNSt15iterator_traitsIS12_E10value_typeET2_T3_PNS13_IS18_E10value_typeET4_jRbjT5_S1E_jjP12ihipStream_tbEUljE_ZNSN_ISO_Lb0ESQ_SR_ST_SU_SY_EESZ_S10_S11_S12_S16_S17_S18_S1B_S1C_jS1D_jS1E_S1E_jjS1G_bEUljE0_EEESZ_S10_S11_S18_S1C_S1E_T6_T7_T9_mT8_S1G_bDpT10_ENKUlT_T0_E_clISt17integral_constantIbLb1EES1T_IbLb0EEEEDaS1P_S1Q_EUlS1P_E_NS1_11comp_targetILNS1_3genE8ELNS1_11target_archE1030ELNS1_3gpuE2ELNS1_3repE0EEENS1_30default_config_static_selectorELNS0_4arch9wavefront6targetE0EEEvS12_.has_recursion, 0
	.set _ZN7rocprim17ROCPRIM_400000_NS6detail17trampoline_kernelINS0_13select_configILj256ELj13ELNS0_17block_load_methodE3ELS4_3ELS4_3ELNS0_20block_scan_algorithmE0ELj4294967295EEENS1_25partition_config_selectorILNS1_17partition_subalgoE4EjNS0_10empty_typeEbEEZZNS1_14partition_implILS8_4ELb0ES6_15HIP_vector_typeIjLj2EENS0_17counting_iteratorIjlEEPS9_SG_NS0_5tupleIJPjSI_NS0_16reverse_iteratorISI_EEEEENSH_IJSG_SG_SG_EEES9_SI_JZNS1_25segmented_radix_sort_implINS0_14default_configELb0EPKiPiPKlPlN2at6native12_GLOBAL__N_18offset_tEEE10hipError_tPvRmT1_PNSt15iterator_traitsIS12_E10value_typeET2_T3_PNS13_IS18_E10value_typeET4_jRbjT5_S1E_jjP12ihipStream_tbEUljE_ZNSN_ISO_Lb0ESQ_SR_ST_SU_SY_EESZ_S10_S11_S12_S16_S17_S18_S1B_S1C_jS1D_jS1E_S1E_jjS1G_bEUljE0_EEESZ_S10_S11_S18_S1C_S1E_T6_T7_T9_mT8_S1G_bDpT10_ENKUlT_T0_E_clISt17integral_constantIbLb1EES1T_IbLb0EEEEDaS1P_S1Q_EUlS1P_E_NS1_11comp_targetILNS1_3genE8ELNS1_11target_archE1030ELNS1_3gpuE2ELNS1_3repE0EEENS1_30default_config_static_selectorELNS0_4arch9wavefront6targetE0EEEvS12_.has_indirect_call, 0
	.section	.AMDGPU.csdata,"",@progbits
; Kernel info:
; codeLenInByte = 0
; TotalNumSgprs: 0
; NumVgprs: 0
; ScratchSize: 0
; MemoryBound: 0
; FloatMode: 240
; IeeeMode: 1
; LDSByteSize: 0 bytes/workgroup (compile time only)
; SGPRBlocks: 0
; VGPRBlocks: 0
; NumSGPRsForWavesPerEU: 1
; NumVGPRsForWavesPerEU: 1
; Occupancy: 16
; WaveLimiterHint : 0
; COMPUTE_PGM_RSRC2:SCRATCH_EN: 0
; COMPUTE_PGM_RSRC2:USER_SGPR: 2
; COMPUTE_PGM_RSRC2:TRAP_HANDLER: 0
; COMPUTE_PGM_RSRC2:TGID_X_EN: 1
; COMPUTE_PGM_RSRC2:TGID_Y_EN: 0
; COMPUTE_PGM_RSRC2:TGID_Z_EN: 0
; COMPUTE_PGM_RSRC2:TIDIG_COMP_CNT: 0
	.section	.text._ZN7rocprim17ROCPRIM_400000_NS6detail17trampoline_kernelINS0_13select_configILj256ELj13ELNS0_17block_load_methodE3ELS4_3ELS4_3ELNS0_20block_scan_algorithmE0ELj4294967295EEENS1_25partition_config_selectorILNS1_17partition_subalgoE4EjNS0_10empty_typeEbEEZZNS1_14partition_implILS8_4ELb0ES6_15HIP_vector_typeIjLj2EENS0_17counting_iteratorIjlEEPS9_SG_NS0_5tupleIJPjSI_NS0_16reverse_iteratorISI_EEEEENSH_IJSG_SG_SG_EEES9_SI_JZNS1_25segmented_radix_sort_implINS0_14default_configELb0EPKiPiPKlPlN2at6native12_GLOBAL__N_18offset_tEEE10hipError_tPvRmT1_PNSt15iterator_traitsIS12_E10value_typeET2_T3_PNS13_IS18_E10value_typeET4_jRbjT5_S1E_jjP12ihipStream_tbEUljE_ZNSN_ISO_Lb0ESQ_SR_ST_SU_SY_EESZ_S10_S11_S12_S16_S17_S18_S1B_S1C_jS1D_jS1E_S1E_jjS1G_bEUljE0_EEESZ_S10_S11_S18_S1C_S1E_T6_T7_T9_mT8_S1G_bDpT10_ENKUlT_T0_E_clISt17integral_constantIbLb0EES1T_IbLb1EEEEDaS1P_S1Q_EUlS1P_E_NS1_11comp_targetILNS1_3genE0ELNS1_11target_archE4294967295ELNS1_3gpuE0ELNS1_3repE0EEENS1_30default_config_static_selectorELNS0_4arch9wavefront6targetE0EEEvS12_,"axG",@progbits,_ZN7rocprim17ROCPRIM_400000_NS6detail17trampoline_kernelINS0_13select_configILj256ELj13ELNS0_17block_load_methodE3ELS4_3ELS4_3ELNS0_20block_scan_algorithmE0ELj4294967295EEENS1_25partition_config_selectorILNS1_17partition_subalgoE4EjNS0_10empty_typeEbEEZZNS1_14partition_implILS8_4ELb0ES6_15HIP_vector_typeIjLj2EENS0_17counting_iteratorIjlEEPS9_SG_NS0_5tupleIJPjSI_NS0_16reverse_iteratorISI_EEEEENSH_IJSG_SG_SG_EEES9_SI_JZNS1_25segmented_radix_sort_implINS0_14default_configELb0EPKiPiPKlPlN2at6native12_GLOBAL__N_18offset_tEEE10hipError_tPvRmT1_PNSt15iterator_traitsIS12_E10value_typeET2_T3_PNS13_IS18_E10value_typeET4_jRbjT5_S1E_jjP12ihipStream_tbEUljE_ZNSN_ISO_Lb0ESQ_SR_ST_SU_SY_EESZ_S10_S11_S12_S16_S17_S18_S1B_S1C_jS1D_jS1E_S1E_jjS1G_bEUljE0_EEESZ_S10_S11_S18_S1C_S1E_T6_T7_T9_mT8_S1G_bDpT10_ENKUlT_T0_E_clISt17integral_constantIbLb0EES1T_IbLb1EEEEDaS1P_S1Q_EUlS1P_E_NS1_11comp_targetILNS1_3genE0ELNS1_11target_archE4294967295ELNS1_3gpuE0ELNS1_3repE0EEENS1_30default_config_static_selectorELNS0_4arch9wavefront6targetE0EEEvS12_,comdat
	.globl	_ZN7rocprim17ROCPRIM_400000_NS6detail17trampoline_kernelINS0_13select_configILj256ELj13ELNS0_17block_load_methodE3ELS4_3ELS4_3ELNS0_20block_scan_algorithmE0ELj4294967295EEENS1_25partition_config_selectorILNS1_17partition_subalgoE4EjNS0_10empty_typeEbEEZZNS1_14partition_implILS8_4ELb0ES6_15HIP_vector_typeIjLj2EENS0_17counting_iteratorIjlEEPS9_SG_NS0_5tupleIJPjSI_NS0_16reverse_iteratorISI_EEEEENSH_IJSG_SG_SG_EEES9_SI_JZNS1_25segmented_radix_sort_implINS0_14default_configELb0EPKiPiPKlPlN2at6native12_GLOBAL__N_18offset_tEEE10hipError_tPvRmT1_PNSt15iterator_traitsIS12_E10value_typeET2_T3_PNS13_IS18_E10value_typeET4_jRbjT5_S1E_jjP12ihipStream_tbEUljE_ZNSN_ISO_Lb0ESQ_SR_ST_SU_SY_EESZ_S10_S11_S12_S16_S17_S18_S1B_S1C_jS1D_jS1E_S1E_jjS1G_bEUljE0_EEESZ_S10_S11_S18_S1C_S1E_T6_T7_T9_mT8_S1G_bDpT10_ENKUlT_T0_E_clISt17integral_constantIbLb0EES1T_IbLb1EEEEDaS1P_S1Q_EUlS1P_E_NS1_11comp_targetILNS1_3genE0ELNS1_11target_archE4294967295ELNS1_3gpuE0ELNS1_3repE0EEENS1_30default_config_static_selectorELNS0_4arch9wavefront6targetE0EEEvS12_ ; -- Begin function _ZN7rocprim17ROCPRIM_400000_NS6detail17trampoline_kernelINS0_13select_configILj256ELj13ELNS0_17block_load_methodE3ELS4_3ELS4_3ELNS0_20block_scan_algorithmE0ELj4294967295EEENS1_25partition_config_selectorILNS1_17partition_subalgoE4EjNS0_10empty_typeEbEEZZNS1_14partition_implILS8_4ELb0ES6_15HIP_vector_typeIjLj2EENS0_17counting_iteratorIjlEEPS9_SG_NS0_5tupleIJPjSI_NS0_16reverse_iteratorISI_EEEEENSH_IJSG_SG_SG_EEES9_SI_JZNS1_25segmented_radix_sort_implINS0_14default_configELb0EPKiPiPKlPlN2at6native12_GLOBAL__N_18offset_tEEE10hipError_tPvRmT1_PNSt15iterator_traitsIS12_E10value_typeET2_T3_PNS13_IS18_E10value_typeET4_jRbjT5_S1E_jjP12ihipStream_tbEUljE_ZNSN_ISO_Lb0ESQ_SR_ST_SU_SY_EESZ_S10_S11_S12_S16_S17_S18_S1B_S1C_jS1D_jS1E_S1E_jjS1G_bEUljE0_EEESZ_S10_S11_S18_S1C_S1E_T6_T7_T9_mT8_S1G_bDpT10_ENKUlT_T0_E_clISt17integral_constantIbLb0EES1T_IbLb1EEEEDaS1P_S1Q_EUlS1P_E_NS1_11comp_targetILNS1_3genE0ELNS1_11target_archE4294967295ELNS1_3gpuE0ELNS1_3repE0EEENS1_30default_config_static_selectorELNS0_4arch9wavefront6targetE0EEEvS12_
	.p2align	8
	.type	_ZN7rocprim17ROCPRIM_400000_NS6detail17trampoline_kernelINS0_13select_configILj256ELj13ELNS0_17block_load_methodE3ELS4_3ELS4_3ELNS0_20block_scan_algorithmE0ELj4294967295EEENS1_25partition_config_selectorILNS1_17partition_subalgoE4EjNS0_10empty_typeEbEEZZNS1_14partition_implILS8_4ELb0ES6_15HIP_vector_typeIjLj2EENS0_17counting_iteratorIjlEEPS9_SG_NS0_5tupleIJPjSI_NS0_16reverse_iteratorISI_EEEEENSH_IJSG_SG_SG_EEES9_SI_JZNS1_25segmented_radix_sort_implINS0_14default_configELb0EPKiPiPKlPlN2at6native12_GLOBAL__N_18offset_tEEE10hipError_tPvRmT1_PNSt15iterator_traitsIS12_E10value_typeET2_T3_PNS13_IS18_E10value_typeET4_jRbjT5_S1E_jjP12ihipStream_tbEUljE_ZNSN_ISO_Lb0ESQ_SR_ST_SU_SY_EESZ_S10_S11_S12_S16_S17_S18_S1B_S1C_jS1D_jS1E_S1E_jjS1G_bEUljE0_EEESZ_S10_S11_S18_S1C_S1E_T6_T7_T9_mT8_S1G_bDpT10_ENKUlT_T0_E_clISt17integral_constantIbLb0EES1T_IbLb1EEEEDaS1P_S1Q_EUlS1P_E_NS1_11comp_targetILNS1_3genE0ELNS1_11target_archE4294967295ELNS1_3gpuE0ELNS1_3repE0EEENS1_30default_config_static_selectorELNS0_4arch9wavefront6targetE0EEEvS12_,@function
_ZN7rocprim17ROCPRIM_400000_NS6detail17trampoline_kernelINS0_13select_configILj256ELj13ELNS0_17block_load_methodE3ELS4_3ELS4_3ELNS0_20block_scan_algorithmE0ELj4294967295EEENS1_25partition_config_selectorILNS1_17partition_subalgoE4EjNS0_10empty_typeEbEEZZNS1_14partition_implILS8_4ELb0ES6_15HIP_vector_typeIjLj2EENS0_17counting_iteratorIjlEEPS9_SG_NS0_5tupleIJPjSI_NS0_16reverse_iteratorISI_EEEEENSH_IJSG_SG_SG_EEES9_SI_JZNS1_25segmented_radix_sort_implINS0_14default_configELb0EPKiPiPKlPlN2at6native12_GLOBAL__N_18offset_tEEE10hipError_tPvRmT1_PNSt15iterator_traitsIS12_E10value_typeET2_T3_PNS13_IS18_E10value_typeET4_jRbjT5_S1E_jjP12ihipStream_tbEUljE_ZNSN_ISO_Lb0ESQ_SR_ST_SU_SY_EESZ_S10_S11_S12_S16_S17_S18_S1B_S1C_jS1D_jS1E_S1E_jjS1G_bEUljE0_EEESZ_S10_S11_S18_S1C_S1E_T6_T7_T9_mT8_S1G_bDpT10_ENKUlT_T0_E_clISt17integral_constantIbLb0EES1T_IbLb1EEEEDaS1P_S1Q_EUlS1P_E_NS1_11comp_targetILNS1_3genE0ELNS1_11target_archE4294967295ELNS1_3gpuE0ELNS1_3repE0EEENS1_30default_config_static_selectorELNS0_4arch9wavefront6targetE0EEEvS12_: ; @_ZN7rocprim17ROCPRIM_400000_NS6detail17trampoline_kernelINS0_13select_configILj256ELj13ELNS0_17block_load_methodE3ELS4_3ELS4_3ELNS0_20block_scan_algorithmE0ELj4294967295EEENS1_25partition_config_selectorILNS1_17partition_subalgoE4EjNS0_10empty_typeEbEEZZNS1_14partition_implILS8_4ELb0ES6_15HIP_vector_typeIjLj2EENS0_17counting_iteratorIjlEEPS9_SG_NS0_5tupleIJPjSI_NS0_16reverse_iteratorISI_EEEEENSH_IJSG_SG_SG_EEES9_SI_JZNS1_25segmented_radix_sort_implINS0_14default_configELb0EPKiPiPKlPlN2at6native12_GLOBAL__N_18offset_tEEE10hipError_tPvRmT1_PNSt15iterator_traitsIS12_E10value_typeET2_T3_PNS13_IS18_E10value_typeET4_jRbjT5_S1E_jjP12ihipStream_tbEUljE_ZNSN_ISO_Lb0ESQ_SR_ST_SU_SY_EESZ_S10_S11_S12_S16_S17_S18_S1B_S1C_jS1D_jS1E_S1E_jjS1G_bEUljE0_EEESZ_S10_S11_S18_S1C_S1E_T6_T7_T9_mT8_S1G_bDpT10_ENKUlT_T0_E_clISt17integral_constantIbLb0EES1T_IbLb1EEEEDaS1P_S1Q_EUlS1P_E_NS1_11comp_targetILNS1_3genE0ELNS1_11target_archE4294967295ELNS1_3gpuE0ELNS1_3repE0EEENS1_30default_config_static_selectorELNS0_4arch9wavefront6targetE0EEEvS12_
; %bb.0:
	.section	.rodata,"a",@progbits
	.p2align	6, 0x0
	.amdhsa_kernel _ZN7rocprim17ROCPRIM_400000_NS6detail17trampoline_kernelINS0_13select_configILj256ELj13ELNS0_17block_load_methodE3ELS4_3ELS4_3ELNS0_20block_scan_algorithmE0ELj4294967295EEENS1_25partition_config_selectorILNS1_17partition_subalgoE4EjNS0_10empty_typeEbEEZZNS1_14partition_implILS8_4ELb0ES6_15HIP_vector_typeIjLj2EENS0_17counting_iteratorIjlEEPS9_SG_NS0_5tupleIJPjSI_NS0_16reverse_iteratorISI_EEEEENSH_IJSG_SG_SG_EEES9_SI_JZNS1_25segmented_radix_sort_implINS0_14default_configELb0EPKiPiPKlPlN2at6native12_GLOBAL__N_18offset_tEEE10hipError_tPvRmT1_PNSt15iterator_traitsIS12_E10value_typeET2_T3_PNS13_IS18_E10value_typeET4_jRbjT5_S1E_jjP12ihipStream_tbEUljE_ZNSN_ISO_Lb0ESQ_SR_ST_SU_SY_EESZ_S10_S11_S12_S16_S17_S18_S1B_S1C_jS1D_jS1E_S1E_jjS1G_bEUljE0_EEESZ_S10_S11_S18_S1C_S1E_T6_T7_T9_mT8_S1G_bDpT10_ENKUlT_T0_E_clISt17integral_constantIbLb0EES1T_IbLb1EEEEDaS1P_S1Q_EUlS1P_E_NS1_11comp_targetILNS1_3genE0ELNS1_11target_archE4294967295ELNS1_3gpuE0ELNS1_3repE0EEENS1_30default_config_static_selectorELNS0_4arch9wavefront6targetE0EEEvS12_
		.amdhsa_group_segment_fixed_size 0
		.amdhsa_private_segment_fixed_size 0
		.amdhsa_kernarg_size 184
		.amdhsa_user_sgpr_count 2
		.amdhsa_user_sgpr_dispatch_ptr 0
		.amdhsa_user_sgpr_queue_ptr 0
		.amdhsa_user_sgpr_kernarg_segment_ptr 1
		.amdhsa_user_sgpr_dispatch_id 0
		.amdhsa_user_sgpr_private_segment_size 0
		.amdhsa_wavefront_size32 1
		.amdhsa_uses_dynamic_stack 0
		.amdhsa_enable_private_segment 0
		.amdhsa_system_sgpr_workgroup_id_x 1
		.amdhsa_system_sgpr_workgroup_id_y 0
		.amdhsa_system_sgpr_workgroup_id_z 0
		.amdhsa_system_sgpr_workgroup_info 0
		.amdhsa_system_vgpr_workitem_id 0
		.amdhsa_next_free_vgpr 1
		.amdhsa_next_free_sgpr 1
		.amdhsa_reserve_vcc 0
		.amdhsa_float_round_mode_32 0
		.amdhsa_float_round_mode_16_64 0
		.amdhsa_float_denorm_mode_32 3
		.amdhsa_float_denorm_mode_16_64 3
		.amdhsa_fp16_overflow 0
		.amdhsa_workgroup_processor_mode 1
		.amdhsa_memory_ordered 1
		.amdhsa_forward_progress 1
		.amdhsa_inst_pref_size 0
		.amdhsa_round_robin_scheduling 0
		.amdhsa_exception_fp_ieee_invalid_op 0
		.amdhsa_exception_fp_denorm_src 0
		.amdhsa_exception_fp_ieee_div_zero 0
		.amdhsa_exception_fp_ieee_overflow 0
		.amdhsa_exception_fp_ieee_underflow 0
		.amdhsa_exception_fp_ieee_inexact 0
		.amdhsa_exception_int_div_zero 0
	.end_amdhsa_kernel
	.section	.text._ZN7rocprim17ROCPRIM_400000_NS6detail17trampoline_kernelINS0_13select_configILj256ELj13ELNS0_17block_load_methodE3ELS4_3ELS4_3ELNS0_20block_scan_algorithmE0ELj4294967295EEENS1_25partition_config_selectorILNS1_17partition_subalgoE4EjNS0_10empty_typeEbEEZZNS1_14partition_implILS8_4ELb0ES6_15HIP_vector_typeIjLj2EENS0_17counting_iteratorIjlEEPS9_SG_NS0_5tupleIJPjSI_NS0_16reverse_iteratorISI_EEEEENSH_IJSG_SG_SG_EEES9_SI_JZNS1_25segmented_radix_sort_implINS0_14default_configELb0EPKiPiPKlPlN2at6native12_GLOBAL__N_18offset_tEEE10hipError_tPvRmT1_PNSt15iterator_traitsIS12_E10value_typeET2_T3_PNS13_IS18_E10value_typeET4_jRbjT5_S1E_jjP12ihipStream_tbEUljE_ZNSN_ISO_Lb0ESQ_SR_ST_SU_SY_EESZ_S10_S11_S12_S16_S17_S18_S1B_S1C_jS1D_jS1E_S1E_jjS1G_bEUljE0_EEESZ_S10_S11_S18_S1C_S1E_T6_T7_T9_mT8_S1G_bDpT10_ENKUlT_T0_E_clISt17integral_constantIbLb0EES1T_IbLb1EEEEDaS1P_S1Q_EUlS1P_E_NS1_11comp_targetILNS1_3genE0ELNS1_11target_archE4294967295ELNS1_3gpuE0ELNS1_3repE0EEENS1_30default_config_static_selectorELNS0_4arch9wavefront6targetE0EEEvS12_,"axG",@progbits,_ZN7rocprim17ROCPRIM_400000_NS6detail17trampoline_kernelINS0_13select_configILj256ELj13ELNS0_17block_load_methodE3ELS4_3ELS4_3ELNS0_20block_scan_algorithmE0ELj4294967295EEENS1_25partition_config_selectorILNS1_17partition_subalgoE4EjNS0_10empty_typeEbEEZZNS1_14partition_implILS8_4ELb0ES6_15HIP_vector_typeIjLj2EENS0_17counting_iteratorIjlEEPS9_SG_NS0_5tupleIJPjSI_NS0_16reverse_iteratorISI_EEEEENSH_IJSG_SG_SG_EEES9_SI_JZNS1_25segmented_radix_sort_implINS0_14default_configELb0EPKiPiPKlPlN2at6native12_GLOBAL__N_18offset_tEEE10hipError_tPvRmT1_PNSt15iterator_traitsIS12_E10value_typeET2_T3_PNS13_IS18_E10value_typeET4_jRbjT5_S1E_jjP12ihipStream_tbEUljE_ZNSN_ISO_Lb0ESQ_SR_ST_SU_SY_EESZ_S10_S11_S12_S16_S17_S18_S1B_S1C_jS1D_jS1E_S1E_jjS1G_bEUljE0_EEESZ_S10_S11_S18_S1C_S1E_T6_T7_T9_mT8_S1G_bDpT10_ENKUlT_T0_E_clISt17integral_constantIbLb0EES1T_IbLb1EEEEDaS1P_S1Q_EUlS1P_E_NS1_11comp_targetILNS1_3genE0ELNS1_11target_archE4294967295ELNS1_3gpuE0ELNS1_3repE0EEENS1_30default_config_static_selectorELNS0_4arch9wavefront6targetE0EEEvS12_,comdat
.Lfunc_end560:
	.size	_ZN7rocprim17ROCPRIM_400000_NS6detail17trampoline_kernelINS0_13select_configILj256ELj13ELNS0_17block_load_methodE3ELS4_3ELS4_3ELNS0_20block_scan_algorithmE0ELj4294967295EEENS1_25partition_config_selectorILNS1_17partition_subalgoE4EjNS0_10empty_typeEbEEZZNS1_14partition_implILS8_4ELb0ES6_15HIP_vector_typeIjLj2EENS0_17counting_iteratorIjlEEPS9_SG_NS0_5tupleIJPjSI_NS0_16reverse_iteratorISI_EEEEENSH_IJSG_SG_SG_EEES9_SI_JZNS1_25segmented_radix_sort_implINS0_14default_configELb0EPKiPiPKlPlN2at6native12_GLOBAL__N_18offset_tEEE10hipError_tPvRmT1_PNSt15iterator_traitsIS12_E10value_typeET2_T3_PNS13_IS18_E10value_typeET4_jRbjT5_S1E_jjP12ihipStream_tbEUljE_ZNSN_ISO_Lb0ESQ_SR_ST_SU_SY_EESZ_S10_S11_S12_S16_S17_S18_S1B_S1C_jS1D_jS1E_S1E_jjS1G_bEUljE0_EEESZ_S10_S11_S18_S1C_S1E_T6_T7_T9_mT8_S1G_bDpT10_ENKUlT_T0_E_clISt17integral_constantIbLb0EES1T_IbLb1EEEEDaS1P_S1Q_EUlS1P_E_NS1_11comp_targetILNS1_3genE0ELNS1_11target_archE4294967295ELNS1_3gpuE0ELNS1_3repE0EEENS1_30default_config_static_selectorELNS0_4arch9wavefront6targetE0EEEvS12_, .Lfunc_end560-_ZN7rocprim17ROCPRIM_400000_NS6detail17trampoline_kernelINS0_13select_configILj256ELj13ELNS0_17block_load_methodE3ELS4_3ELS4_3ELNS0_20block_scan_algorithmE0ELj4294967295EEENS1_25partition_config_selectorILNS1_17partition_subalgoE4EjNS0_10empty_typeEbEEZZNS1_14partition_implILS8_4ELb0ES6_15HIP_vector_typeIjLj2EENS0_17counting_iteratorIjlEEPS9_SG_NS0_5tupleIJPjSI_NS0_16reverse_iteratorISI_EEEEENSH_IJSG_SG_SG_EEES9_SI_JZNS1_25segmented_radix_sort_implINS0_14default_configELb0EPKiPiPKlPlN2at6native12_GLOBAL__N_18offset_tEEE10hipError_tPvRmT1_PNSt15iterator_traitsIS12_E10value_typeET2_T3_PNS13_IS18_E10value_typeET4_jRbjT5_S1E_jjP12ihipStream_tbEUljE_ZNSN_ISO_Lb0ESQ_SR_ST_SU_SY_EESZ_S10_S11_S12_S16_S17_S18_S1B_S1C_jS1D_jS1E_S1E_jjS1G_bEUljE0_EEESZ_S10_S11_S18_S1C_S1E_T6_T7_T9_mT8_S1G_bDpT10_ENKUlT_T0_E_clISt17integral_constantIbLb0EES1T_IbLb1EEEEDaS1P_S1Q_EUlS1P_E_NS1_11comp_targetILNS1_3genE0ELNS1_11target_archE4294967295ELNS1_3gpuE0ELNS1_3repE0EEENS1_30default_config_static_selectorELNS0_4arch9wavefront6targetE0EEEvS12_
                                        ; -- End function
	.set _ZN7rocprim17ROCPRIM_400000_NS6detail17trampoline_kernelINS0_13select_configILj256ELj13ELNS0_17block_load_methodE3ELS4_3ELS4_3ELNS0_20block_scan_algorithmE0ELj4294967295EEENS1_25partition_config_selectorILNS1_17partition_subalgoE4EjNS0_10empty_typeEbEEZZNS1_14partition_implILS8_4ELb0ES6_15HIP_vector_typeIjLj2EENS0_17counting_iteratorIjlEEPS9_SG_NS0_5tupleIJPjSI_NS0_16reverse_iteratorISI_EEEEENSH_IJSG_SG_SG_EEES9_SI_JZNS1_25segmented_radix_sort_implINS0_14default_configELb0EPKiPiPKlPlN2at6native12_GLOBAL__N_18offset_tEEE10hipError_tPvRmT1_PNSt15iterator_traitsIS12_E10value_typeET2_T3_PNS13_IS18_E10value_typeET4_jRbjT5_S1E_jjP12ihipStream_tbEUljE_ZNSN_ISO_Lb0ESQ_SR_ST_SU_SY_EESZ_S10_S11_S12_S16_S17_S18_S1B_S1C_jS1D_jS1E_S1E_jjS1G_bEUljE0_EEESZ_S10_S11_S18_S1C_S1E_T6_T7_T9_mT8_S1G_bDpT10_ENKUlT_T0_E_clISt17integral_constantIbLb0EES1T_IbLb1EEEEDaS1P_S1Q_EUlS1P_E_NS1_11comp_targetILNS1_3genE0ELNS1_11target_archE4294967295ELNS1_3gpuE0ELNS1_3repE0EEENS1_30default_config_static_selectorELNS0_4arch9wavefront6targetE0EEEvS12_.num_vgpr, 0
	.set _ZN7rocprim17ROCPRIM_400000_NS6detail17trampoline_kernelINS0_13select_configILj256ELj13ELNS0_17block_load_methodE3ELS4_3ELS4_3ELNS0_20block_scan_algorithmE0ELj4294967295EEENS1_25partition_config_selectorILNS1_17partition_subalgoE4EjNS0_10empty_typeEbEEZZNS1_14partition_implILS8_4ELb0ES6_15HIP_vector_typeIjLj2EENS0_17counting_iteratorIjlEEPS9_SG_NS0_5tupleIJPjSI_NS0_16reverse_iteratorISI_EEEEENSH_IJSG_SG_SG_EEES9_SI_JZNS1_25segmented_radix_sort_implINS0_14default_configELb0EPKiPiPKlPlN2at6native12_GLOBAL__N_18offset_tEEE10hipError_tPvRmT1_PNSt15iterator_traitsIS12_E10value_typeET2_T3_PNS13_IS18_E10value_typeET4_jRbjT5_S1E_jjP12ihipStream_tbEUljE_ZNSN_ISO_Lb0ESQ_SR_ST_SU_SY_EESZ_S10_S11_S12_S16_S17_S18_S1B_S1C_jS1D_jS1E_S1E_jjS1G_bEUljE0_EEESZ_S10_S11_S18_S1C_S1E_T6_T7_T9_mT8_S1G_bDpT10_ENKUlT_T0_E_clISt17integral_constantIbLb0EES1T_IbLb1EEEEDaS1P_S1Q_EUlS1P_E_NS1_11comp_targetILNS1_3genE0ELNS1_11target_archE4294967295ELNS1_3gpuE0ELNS1_3repE0EEENS1_30default_config_static_selectorELNS0_4arch9wavefront6targetE0EEEvS12_.num_agpr, 0
	.set _ZN7rocprim17ROCPRIM_400000_NS6detail17trampoline_kernelINS0_13select_configILj256ELj13ELNS0_17block_load_methodE3ELS4_3ELS4_3ELNS0_20block_scan_algorithmE0ELj4294967295EEENS1_25partition_config_selectorILNS1_17partition_subalgoE4EjNS0_10empty_typeEbEEZZNS1_14partition_implILS8_4ELb0ES6_15HIP_vector_typeIjLj2EENS0_17counting_iteratorIjlEEPS9_SG_NS0_5tupleIJPjSI_NS0_16reverse_iteratorISI_EEEEENSH_IJSG_SG_SG_EEES9_SI_JZNS1_25segmented_radix_sort_implINS0_14default_configELb0EPKiPiPKlPlN2at6native12_GLOBAL__N_18offset_tEEE10hipError_tPvRmT1_PNSt15iterator_traitsIS12_E10value_typeET2_T3_PNS13_IS18_E10value_typeET4_jRbjT5_S1E_jjP12ihipStream_tbEUljE_ZNSN_ISO_Lb0ESQ_SR_ST_SU_SY_EESZ_S10_S11_S12_S16_S17_S18_S1B_S1C_jS1D_jS1E_S1E_jjS1G_bEUljE0_EEESZ_S10_S11_S18_S1C_S1E_T6_T7_T9_mT8_S1G_bDpT10_ENKUlT_T0_E_clISt17integral_constantIbLb0EES1T_IbLb1EEEEDaS1P_S1Q_EUlS1P_E_NS1_11comp_targetILNS1_3genE0ELNS1_11target_archE4294967295ELNS1_3gpuE0ELNS1_3repE0EEENS1_30default_config_static_selectorELNS0_4arch9wavefront6targetE0EEEvS12_.numbered_sgpr, 0
	.set _ZN7rocprim17ROCPRIM_400000_NS6detail17trampoline_kernelINS0_13select_configILj256ELj13ELNS0_17block_load_methodE3ELS4_3ELS4_3ELNS0_20block_scan_algorithmE0ELj4294967295EEENS1_25partition_config_selectorILNS1_17partition_subalgoE4EjNS0_10empty_typeEbEEZZNS1_14partition_implILS8_4ELb0ES6_15HIP_vector_typeIjLj2EENS0_17counting_iteratorIjlEEPS9_SG_NS0_5tupleIJPjSI_NS0_16reverse_iteratorISI_EEEEENSH_IJSG_SG_SG_EEES9_SI_JZNS1_25segmented_radix_sort_implINS0_14default_configELb0EPKiPiPKlPlN2at6native12_GLOBAL__N_18offset_tEEE10hipError_tPvRmT1_PNSt15iterator_traitsIS12_E10value_typeET2_T3_PNS13_IS18_E10value_typeET4_jRbjT5_S1E_jjP12ihipStream_tbEUljE_ZNSN_ISO_Lb0ESQ_SR_ST_SU_SY_EESZ_S10_S11_S12_S16_S17_S18_S1B_S1C_jS1D_jS1E_S1E_jjS1G_bEUljE0_EEESZ_S10_S11_S18_S1C_S1E_T6_T7_T9_mT8_S1G_bDpT10_ENKUlT_T0_E_clISt17integral_constantIbLb0EES1T_IbLb1EEEEDaS1P_S1Q_EUlS1P_E_NS1_11comp_targetILNS1_3genE0ELNS1_11target_archE4294967295ELNS1_3gpuE0ELNS1_3repE0EEENS1_30default_config_static_selectorELNS0_4arch9wavefront6targetE0EEEvS12_.num_named_barrier, 0
	.set _ZN7rocprim17ROCPRIM_400000_NS6detail17trampoline_kernelINS0_13select_configILj256ELj13ELNS0_17block_load_methodE3ELS4_3ELS4_3ELNS0_20block_scan_algorithmE0ELj4294967295EEENS1_25partition_config_selectorILNS1_17partition_subalgoE4EjNS0_10empty_typeEbEEZZNS1_14partition_implILS8_4ELb0ES6_15HIP_vector_typeIjLj2EENS0_17counting_iteratorIjlEEPS9_SG_NS0_5tupleIJPjSI_NS0_16reverse_iteratorISI_EEEEENSH_IJSG_SG_SG_EEES9_SI_JZNS1_25segmented_radix_sort_implINS0_14default_configELb0EPKiPiPKlPlN2at6native12_GLOBAL__N_18offset_tEEE10hipError_tPvRmT1_PNSt15iterator_traitsIS12_E10value_typeET2_T3_PNS13_IS18_E10value_typeET4_jRbjT5_S1E_jjP12ihipStream_tbEUljE_ZNSN_ISO_Lb0ESQ_SR_ST_SU_SY_EESZ_S10_S11_S12_S16_S17_S18_S1B_S1C_jS1D_jS1E_S1E_jjS1G_bEUljE0_EEESZ_S10_S11_S18_S1C_S1E_T6_T7_T9_mT8_S1G_bDpT10_ENKUlT_T0_E_clISt17integral_constantIbLb0EES1T_IbLb1EEEEDaS1P_S1Q_EUlS1P_E_NS1_11comp_targetILNS1_3genE0ELNS1_11target_archE4294967295ELNS1_3gpuE0ELNS1_3repE0EEENS1_30default_config_static_selectorELNS0_4arch9wavefront6targetE0EEEvS12_.private_seg_size, 0
	.set _ZN7rocprim17ROCPRIM_400000_NS6detail17trampoline_kernelINS0_13select_configILj256ELj13ELNS0_17block_load_methodE3ELS4_3ELS4_3ELNS0_20block_scan_algorithmE0ELj4294967295EEENS1_25partition_config_selectorILNS1_17partition_subalgoE4EjNS0_10empty_typeEbEEZZNS1_14partition_implILS8_4ELb0ES6_15HIP_vector_typeIjLj2EENS0_17counting_iteratorIjlEEPS9_SG_NS0_5tupleIJPjSI_NS0_16reverse_iteratorISI_EEEEENSH_IJSG_SG_SG_EEES9_SI_JZNS1_25segmented_radix_sort_implINS0_14default_configELb0EPKiPiPKlPlN2at6native12_GLOBAL__N_18offset_tEEE10hipError_tPvRmT1_PNSt15iterator_traitsIS12_E10value_typeET2_T3_PNS13_IS18_E10value_typeET4_jRbjT5_S1E_jjP12ihipStream_tbEUljE_ZNSN_ISO_Lb0ESQ_SR_ST_SU_SY_EESZ_S10_S11_S12_S16_S17_S18_S1B_S1C_jS1D_jS1E_S1E_jjS1G_bEUljE0_EEESZ_S10_S11_S18_S1C_S1E_T6_T7_T9_mT8_S1G_bDpT10_ENKUlT_T0_E_clISt17integral_constantIbLb0EES1T_IbLb1EEEEDaS1P_S1Q_EUlS1P_E_NS1_11comp_targetILNS1_3genE0ELNS1_11target_archE4294967295ELNS1_3gpuE0ELNS1_3repE0EEENS1_30default_config_static_selectorELNS0_4arch9wavefront6targetE0EEEvS12_.uses_vcc, 0
	.set _ZN7rocprim17ROCPRIM_400000_NS6detail17trampoline_kernelINS0_13select_configILj256ELj13ELNS0_17block_load_methodE3ELS4_3ELS4_3ELNS0_20block_scan_algorithmE0ELj4294967295EEENS1_25partition_config_selectorILNS1_17partition_subalgoE4EjNS0_10empty_typeEbEEZZNS1_14partition_implILS8_4ELb0ES6_15HIP_vector_typeIjLj2EENS0_17counting_iteratorIjlEEPS9_SG_NS0_5tupleIJPjSI_NS0_16reverse_iteratorISI_EEEEENSH_IJSG_SG_SG_EEES9_SI_JZNS1_25segmented_radix_sort_implINS0_14default_configELb0EPKiPiPKlPlN2at6native12_GLOBAL__N_18offset_tEEE10hipError_tPvRmT1_PNSt15iterator_traitsIS12_E10value_typeET2_T3_PNS13_IS18_E10value_typeET4_jRbjT5_S1E_jjP12ihipStream_tbEUljE_ZNSN_ISO_Lb0ESQ_SR_ST_SU_SY_EESZ_S10_S11_S12_S16_S17_S18_S1B_S1C_jS1D_jS1E_S1E_jjS1G_bEUljE0_EEESZ_S10_S11_S18_S1C_S1E_T6_T7_T9_mT8_S1G_bDpT10_ENKUlT_T0_E_clISt17integral_constantIbLb0EES1T_IbLb1EEEEDaS1P_S1Q_EUlS1P_E_NS1_11comp_targetILNS1_3genE0ELNS1_11target_archE4294967295ELNS1_3gpuE0ELNS1_3repE0EEENS1_30default_config_static_selectorELNS0_4arch9wavefront6targetE0EEEvS12_.uses_flat_scratch, 0
	.set _ZN7rocprim17ROCPRIM_400000_NS6detail17trampoline_kernelINS0_13select_configILj256ELj13ELNS0_17block_load_methodE3ELS4_3ELS4_3ELNS0_20block_scan_algorithmE0ELj4294967295EEENS1_25partition_config_selectorILNS1_17partition_subalgoE4EjNS0_10empty_typeEbEEZZNS1_14partition_implILS8_4ELb0ES6_15HIP_vector_typeIjLj2EENS0_17counting_iteratorIjlEEPS9_SG_NS0_5tupleIJPjSI_NS0_16reverse_iteratorISI_EEEEENSH_IJSG_SG_SG_EEES9_SI_JZNS1_25segmented_radix_sort_implINS0_14default_configELb0EPKiPiPKlPlN2at6native12_GLOBAL__N_18offset_tEEE10hipError_tPvRmT1_PNSt15iterator_traitsIS12_E10value_typeET2_T3_PNS13_IS18_E10value_typeET4_jRbjT5_S1E_jjP12ihipStream_tbEUljE_ZNSN_ISO_Lb0ESQ_SR_ST_SU_SY_EESZ_S10_S11_S12_S16_S17_S18_S1B_S1C_jS1D_jS1E_S1E_jjS1G_bEUljE0_EEESZ_S10_S11_S18_S1C_S1E_T6_T7_T9_mT8_S1G_bDpT10_ENKUlT_T0_E_clISt17integral_constantIbLb0EES1T_IbLb1EEEEDaS1P_S1Q_EUlS1P_E_NS1_11comp_targetILNS1_3genE0ELNS1_11target_archE4294967295ELNS1_3gpuE0ELNS1_3repE0EEENS1_30default_config_static_selectorELNS0_4arch9wavefront6targetE0EEEvS12_.has_dyn_sized_stack, 0
	.set _ZN7rocprim17ROCPRIM_400000_NS6detail17trampoline_kernelINS0_13select_configILj256ELj13ELNS0_17block_load_methodE3ELS4_3ELS4_3ELNS0_20block_scan_algorithmE0ELj4294967295EEENS1_25partition_config_selectorILNS1_17partition_subalgoE4EjNS0_10empty_typeEbEEZZNS1_14partition_implILS8_4ELb0ES6_15HIP_vector_typeIjLj2EENS0_17counting_iteratorIjlEEPS9_SG_NS0_5tupleIJPjSI_NS0_16reverse_iteratorISI_EEEEENSH_IJSG_SG_SG_EEES9_SI_JZNS1_25segmented_radix_sort_implINS0_14default_configELb0EPKiPiPKlPlN2at6native12_GLOBAL__N_18offset_tEEE10hipError_tPvRmT1_PNSt15iterator_traitsIS12_E10value_typeET2_T3_PNS13_IS18_E10value_typeET4_jRbjT5_S1E_jjP12ihipStream_tbEUljE_ZNSN_ISO_Lb0ESQ_SR_ST_SU_SY_EESZ_S10_S11_S12_S16_S17_S18_S1B_S1C_jS1D_jS1E_S1E_jjS1G_bEUljE0_EEESZ_S10_S11_S18_S1C_S1E_T6_T7_T9_mT8_S1G_bDpT10_ENKUlT_T0_E_clISt17integral_constantIbLb0EES1T_IbLb1EEEEDaS1P_S1Q_EUlS1P_E_NS1_11comp_targetILNS1_3genE0ELNS1_11target_archE4294967295ELNS1_3gpuE0ELNS1_3repE0EEENS1_30default_config_static_selectorELNS0_4arch9wavefront6targetE0EEEvS12_.has_recursion, 0
	.set _ZN7rocprim17ROCPRIM_400000_NS6detail17trampoline_kernelINS0_13select_configILj256ELj13ELNS0_17block_load_methodE3ELS4_3ELS4_3ELNS0_20block_scan_algorithmE0ELj4294967295EEENS1_25partition_config_selectorILNS1_17partition_subalgoE4EjNS0_10empty_typeEbEEZZNS1_14partition_implILS8_4ELb0ES6_15HIP_vector_typeIjLj2EENS0_17counting_iteratorIjlEEPS9_SG_NS0_5tupleIJPjSI_NS0_16reverse_iteratorISI_EEEEENSH_IJSG_SG_SG_EEES9_SI_JZNS1_25segmented_radix_sort_implINS0_14default_configELb0EPKiPiPKlPlN2at6native12_GLOBAL__N_18offset_tEEE10hipError_tPvRmT1_PNSt15iterator_traitsIS12_E10value_typeET2_T3_PNS13_IS18_E10value_typeET4_jRbjT5_S1E_jjP12ihipStream_tbEUljE_ZNSN_ISO_Lb0ESQ_SR_ST_SU_SY_EESZ_S10_S11_S12_S16_S17_S18_S1B_S1C_jS1D_jS1E_S1E_jjS1G_bEUljE0_EEESZ_S10_S11_S18_S1C_S1E_T6_T7_T9_mT8_S1G_bDpT10_ENKUlT_T0_E_clISt17integral_constantIbLb0EES1T_IbLb1EEEEDaS1P_S1Q_EUlS1P_E_NS1_11comp_targetILNS1_3genE0ELNS1_11target_archE4294967295ELNS1_3gpuE0ELNS1_3repE0EEENS1_30default_config_static_selectorELNS0_4arch9wavefront6targetE0EEEvS12_.has_indirect_call, 0
	.section	.AMDGPU.csdata,"",@progbits
; Kernel info:
; codeLenInByte = 0
; TotalNumSgprs: 0
; NumVgprs: 0
; ScratchSize: 0
; MemoryBound: 0
; FloatMode: 240
; IeeeMode: 1
; LDSByteSize: 0 bytes/workgroup (compile time only)
; SGPRBlocks: 0
; VGPRBlocks: 0
; NumSGPRsForWavesPerEU: 1
; NumVGPRsForWavesPerEU: 1
; Occupancy: 16
; WaveLimiterHint : 0
; COMPUTE_PGM_RSRC2:SCRATCH_EN: 0
; COMPUTE_PGM_RSRC2:USER_SGPR: 2
; COMPUTE_PGM_RSRC2:TRAP_HANDLER: 0
; COMPUTE_PGM_RSRC2:TGID_X_EN: 1
; COMPUTE_PGM_RSRC2:TGID_Y_EN: 0
; COMPUTE_PGM_RSRC2:TGID_Z_EN: 0
; COMPUTE_PGM_RSRC2:TIDIG_COMP_CNT: 0
	.section	.text._ZN7rocprim17ROCPRIM_400000_NS6detail17trampoline_kernelINS0_13select_configILj256ELj13ELNS0_17block_load_methodE3ELS4_3ELS4_3ELNS0_20block_scan_algorithmE0ELj4294967295EEENS1_25partition_config_selectorILNS1_17partition_subalgoE4EjNS0_10empty_typeEbEEZZNS1_14partition_implILS8_4ELb0ES6_15HIP_vector_typeIjLj2EENS0_17counting_iteratorIjlEEPS9_SG_NS0_5tupleIJPjSI_NS0_16reverse_iteratorISI_EEEEENSH_IJSG_SG_SG_EEES9_SI_JZNS1_25segmented_radix_sort_implINS0_14default_configELb0EPKiPiPKlPlN2at6native12_GLOBAL__N_18offset_tEEE10hipError_tPvRmT1_PNSt15iterator_traitsIS12_E10value_typeET2_T3_PNS13_IS18_E10value_typeET4_jRbjT5_S1E_jjP12ihipStream_tbEUljE_ZNSN_ISO_Lb0ESQ_SR_ST_SU_SY_EESZ_S10_S11_S12_S16_S17_S18_S1B_S1C_jS1D_jS1E_S1E_jjS1G_bEUljE0_EEESZ_S10_S11_S18_S1C_S1E_T6_T7_T9_mT8_S1G_bDpT10_ENKUlT_T0_E_clISt17integral_constantIbLb0EES1T_IbLb1EEEEDaS1P_S1Q_EUlS1P_E_NS1_11comp_targetILNS1_3genE5ELNS1_11target_archE942ELNS1_3gpuE9ELNS1_3repE0EEENS1_30default_config_static_selectorELNS0_4arch9wavefront6targetE0EEEvS12_,"axG",@progbits,_ZN7rocprim17ROCPRIM_400000_NS6detail17trampoline_kernelINS0_13select_configILj256ELj13ELNS0_17block_load_methodE3ELS4_3ELS4_3ELNS0_20block_scan_algorithmE0ELj4294967295EEENS1_25partition_config_selectorILNS1_17partition_subalgoE4EjNS0_10empty_typeEbEEZZNS1_14partition_implILS8_4ELb0ES6_15HIP_vector_typeIjLj2EENS0_17counting_iteratorIjlEEPS9_SG_NS0_5tupleIJPjSI_NS0_16reverse_iteratorISI_EEEEENSH_IJSG_SG_SG_EEES9_SI_JZNS1_25segmented_radix_sort_implINS0_14default_configELb0EPKiPiPKlPlN2at6native12_GLOBAL__N_18offset_tEEE10hipError_tPvRmT1_PNSt15iterator_traitsIS12_E10value_typeET2_T3_PNS13_IS18_E10value_typeET4_jRbjT5_S1E_jjP12ihipStream_tbEUljE_ZNSN_ISO_Lb0ESQ_SR_ST_SU_SY_EESZ_S10_S11_S12_S16_S17_S18_S1B_S1C_jS1D_jS1E_S1E_jjS1G_bEUljE0_EEESZ_S10_S11_S18_S1C_S1E_T6_T7_T9_mT8_S1G_bDpT10_ENKUlT_T0_E_clISt17integral_constantIbLb0EES1T_IbLb1EEEEDaS1P_S1Q_EUlS1P_E_NS1_11comp_targetILNS1_3genE5ELNS1_11target_archE942ELNS1_3gpuE9ELNS1_3repE0EEENS1_30default_config_static_selectorELNS0_4arch9wavefront6targetE0EEEvS12_,comdat
	.globl	_ZN7rocprim17ROCPRIM_400000_NS6detail17trampoline_kernelINS0_13select_configILj256ELj13ELNS0_17block_load_methodE3ELS4_3ELS4_3ELNS0_20block_scan_algorithmE0ELj4294967295EEENS1_25partition_config_selectorILNS1_17partition_subalgoE4EjNS0_10empty_typeEbEEZZNS1_14partition_implILS8_4ELb0ES6_15HIP_vector_typeIjLj2EENS0_17counting_iteratorIjlEEPS9_SG_NS0_5tupleIJPjSI_NS0_16reverse_iteratorISI_EEEEENSH_IJSG_SG_SG_EEES9_SI_JZNS1_25segmented_radix_sort_implINS0_14default_configELb0EPKiPiPKlPlN2at6native12_GLOBAL__N_18offset_tEEE10hipError_tPvRmT1_PNSt15iterator_traitsIS12_E10value_typeET2_T3_PNS13_IS18_E10value_typeET4_jRbjT5_S1E_jjP12ihipStream_tbEUljE_ZNSN_ISO_Lb0ESQ_SR_ST_SU_SY_EESZ_S10_S11_S12_S16_S17_S18_S1B_S1C_jS1D_jS1E_S1E_jjS1G_bEUljE0_EEESZ_S10_S11_S18_S1C_S1E_T6_T7_T9_mT8_S1G_bDpT10_ENKUlT_T0_E_clISt17integral_constantIbLb0EES1T_IbLb1EEEEDaS1P_S1Q_EUlS1P_E_NS1_11comp_targetILNS1_3genE5ELNS1_11target_archE942ELNS1_3gpuE9ELNS1_3repE0EEENS1_30default_config_static_selectorELNS0_4arch9wavefront6targetE0EEEvS12_ ; -- Begin function _ZN7rocprim17ROCPRIM_400000_NS6detail17trampoline_kernelINS0_13select_configILj256ELj13ELNS0_17block_load_methodE3ELS4_3ELS4_3ELNS0_20block_scan_algorithmE0ELj4294967295EEENS1_25partition_config_selectorILNS1_17partition_subalgoE4EjNS0_10empty_typeEbEEZZNS1_14partition_implILS8_4ELb0ES6_15HIP_vector_typeIjLj2EENS0_17counting_iteratorIjlEEPS9_SG_NS0_5tupleIJPjSI_NS0_16reverse_iteratorISI_EEEEENSH_IJSG_SG_SG_EEES9_SI_JZNS1_25segmented_radix_sort_implINS0_14default_configELb0EPKiPiPKlPlN2at6native12_GLOBAL__N_18offset_tEEE10hipError_tPvRmT1_PNSt15iterator_traitsIS12_E10value_typeET2_T3_PNS13_IS18_E10value_typeET4_jRbjT5_S1E_jjP12ihipStream_tbEUljE_ZNSN_ISO_Lb0ESQ_SR_ST_SU_SY_EESZ_S10_S11_S12_S16_S17_S18_S1B_S1C_jS1D_jS1E_S1E_jjS1G_bEUljE0_EEESZ_S10_S11_S18_S1C_S1E_T6_T7_T9_mT8_S1G_bDpT10_ENKUlT_T0_E_clISt17integral_constantIbLb0EES1T_IbLb1EEEEDaS1P_S1Q_EUlS1P_E_NS1_11comp_targetILNS1_3genE5ELNS1_11target_archE942ELNS1_3gpuE9ELNS1_3repE0EEENS1_30default_config_static_selectorELNS0_4arch9wavefront6targetE0EEEvS12_
	.p2align	8
	.type	_ZN7rocprim17ROCPRIM_400000_NS6detail17trampoline_kernelINS0_13select_configILj256ELj13ELNS0_17block_load_methodE3ELS4_3ELS4_3ELNS0_20block_scan_algorithmE0ELj4294967295EEENS1_25partition_config_selectorILNS1_17partition_subalgoE4EjNS0_10empty_typeEbEEZZNS1_14partition_implILS8_4ELb0ES6_15HIP_vector_typeIjLj2EENS0_17counting_iteratorIjlEEPS9_SG_NS0_5tupleIJPjSI_NS0_16reverse_iteratorISI_EEEEENSH_IJSG_SG_SG_EEES9_SI_JZNS1_25segmented_radix_sort_implINS0_14default_configELb0EPKiPiPKlPlN2at6native12_GLOBAL__N_18offset_tEEE10hipError_tPvRmT1_PNSt15iterator_traitsIS12_E10value_typeET2_T3_PNS13_IS18_E10value_typeET4_jRbjT5_S1E_jjP12ihipStream_tbEUljE_ZNSN_ISO_Lb0ESQ_SR_ST_SU_SY_EESZ_S10_S11_S12_S16_S17_S18_S1B_S1C_jS1D_jS1E_S1E_jjS1G_bEUljE0_EEESZ_S10_S11_S18_S1C_S1E_T6_T7_T9_mT8_S1G_bDpT10_ENKUlT_T0_E_clISt17integral_constantIbLb0EES1T_IbLb1EEEEDaS1P_S1Q_EUlS1P_E_NS1_11comp_targetILNS1_3genE5ELNS1_11target_archE942ELNS1_3gpuE9ELNS1_3repE0EEENS1_30default_config_static_selectorELNS0_4arch9wavefront6targetE0EEEvS12_,@function
_ZN7rocprim17ROCPRIM_400000_NS6detail17trampoline_kernelINS0_13select_configILj256ELj13ELNS0_17block_load_methodE3ELS4_3ELS4_3ELNS0_20block_scan_algorithmE0ELj4294967295EEENS1_25partition_config_selectorILNS1_17partition_subalgoE4EjNS0_10empty_typeEbEEZZNS1_14partition_implILS8_4ELb0ES6_15HIP_vector_typeIjLj2EENS0_17counting_iteratorIjlEEPS9_SG_NS0_5tupleIJPjSI_NS0_16reverse_iteratorISI_EEEEENSH_IJSG_SG_SG_EEES9_SI_JZNS1_25segmented_radix_sort_implINS0_14default_configELb0EPKiPiPKlPlN2at6native12_GLOBAL__N_18offset_tEEE10hipError_tPvRmT1_PNSt15iterator_traitsIS12_E10value_typeET2_T3_PNS13_IS18_E10value_typeET4_jRbjT5_S1E_jjP12ihipStream_tbEUljE_ZNSN_ISO_Lb0ESQ_SR_ST_SU_SY_EESZ_S10_S11_S12_S16_S17_S18_S1B_S1C_jS1D_jS1E_S1E_jjS1G_bEUljE0_EEESZ_S10_S11_S18_S1C_S1E_T6_T7_T9_mT8_S1G_bDpT10_ENKUlT_T0_E_clISt17integral_constantIbLb0EES1T_IbLb1EEEEDaS1P_S1Q_EUlS1P_E_NS1_11comp_targetILNS1_3genE5ELNS1_11target_archE942ELNS1_3gpuE9ELNS1_3repE0EEENS1_30default_config_static_selectorELNS0_4arch9wavefront6targetE0EEEvS12_: ; @_ZN7rocprim17ROCPRIM_400000_NS6detail17trampoline_kernelINS0_13select_configILj256ELj13ELNS0_17block_load_methodE3ELS4_3ELS4_3ELNS0_20block_scan_algorithmE0ELj4294967295EEENS1_25partition_config_selectorILNS1_17partition_subalgoE4EjNS0_10empty_typeEbEEZZNS1_14partition_implILS8_4ELb0ES6_15HIP_vector_typeIjLj2EENS0_17counting_iteratorIjlEEPS9_SG_NS0_5tupleIJPjSI_NS0_16reverse_iteratorISI_EEEEENSH_IJSG_SG_SG_EEES9_SI_JZNS1_25segmented_radix_sort_implINS0_14default_configELb0EPKiPiPKlPlN2at6native12_GLOBAL__N_18offset_tEEE10hipError_tPvRmT1_PNSt15iterator_traitsIS12_E10value_typeET2_T3_PNS13_IS18_E10value_typeET4_jRbjT5_S1E_jjP12ihipStream_tbEUljE_ZNSN_ISO_Lb0ESQ_SR_ST_SU_SY_EESZ_S10_S11_S12_S16_S17_S18_S1B_S1C_jS1D_jS1E_S1E_jjS1G_bEUljE0_EEESZ_S10_S11_S18_S1C_S1E_T6_T7_T9_mT8_S1G_bDpT10_ENKUlT_T0_E_clISt17integral_constantIbLb0EES1T_IbLb1EEEEDaS1P_S1Q_EUlS1P_E_NS1_11comp_targetILNS1_3genE5ELNS1_11target_archE942ELNS1_3gpuE9ELNS1_3repE0EEENS1_30default_config_static_selectorELNS0_4arch9wavefront6targetE0EEEvS12_
; %bb.0:
	.section	.rodata,"a",@progbits
	.p2align	6, 0x0
	.amdhsa_kernel _ZN7rocprim17ROCPRIM_400000_NS6detail17trampoline_kernelINS0_13select_configILj256ELj13ELNS0_17block_load_methodE3ELS4_3ELS4_3ELNS0_20block_scan_algorithmE0ELj4294967295EEENS1_25partition_config_selectorILNS1_17partition_subalgoE4EjNS0_10empty_typeEbEEZZNS1_14partition_implILS8_4ELb0ES6_15HIP_vector_typeIjLj2EENS0_17counting_iteratorIjlEEPS9_SG_NS0_5tupleIJPjSI_NS0_16reverse_iteratorISI_EEEEENSH_IJSG_SG_SG_EEES9_SI_JZNS1_25segmented_radix_sort_implINS0_14default_configELb0EPKiPiPKlPlN2at6native12_GLOBAL__N_18offset_tEEE10hipError_tPvRmT1_PNSt15iterator_traitsIS12_E10value_typeET2_T3_PNS13_IS18_E10value_typeET4_jRbjT5_S1E_jjP12ihipStream_tbEUljE_ZNSN_ISO_Lb0ESQ_SR_ST_SU_SY_EESZ_S10_S11_S12_S16_S17_S18_S1B_S1C_jS1D_jS1E_S1E_jjS1G_bEUljE0_EEESZ_S10_S11_S18_S1C_S1E_T6_T7_T9_mT8_S1G_bDpT10_ENKUlT_T0_E_clISt17integral_constantIbLb0EES1T_IbLb1EEEEDaS1P_S1Q_EUlS1P_E_NS1_11comp_targetILNS1_3genE5ELNS1_11target_archE942ELNS1_3gpuE9ELNS1_3repE0EEENS1_30default_config_static_selectorELNS0_4arch9wavefront6targetE0EEEvS12_
		.amdhsa_group_segment_fixed_size 0
		.amdhsa_private_segment_fixed_size 0
		.amdhsa_kernarg_size 184
		.amdhsa_user_sgpr_count 2
		.amdhsa_user_sgpr_dispatch_ptr 0
		.amdhsa_user_sgpr_queue_ptr 0
		.amdhsa_user_sgpr_kernarg_segment_ptr 1
		.amdhsa_user_sgpr_dispatch_id 0
		.amdhsa_user_sgpr_private_segment_size 0
		.amdhsa_wavefront_size32 1
		.amdhsa_uses_dynamic_stack 0
		.amdhsa_enable_private_segment 0
		.amdhsa_system_sgpr_workgroup_id_x 1
		.amdhsa_system_sgpr_workgroup_id_y 0
		.amdhsa_system_sgpr_workgroup_id_z 0
		.amdhsa_system_sgpr_workgroup_info 0
		.amdhsa_system_vgpr_workitem_id 0
		.amdhsa_next_free_vgpr 1
		.amdhsa_next_free_sgpr 1
		.amdhsa_reserve_vcc 0
		.amdhsa_float_round_mode_32 0
		.amdhsa_float_round_mode_16_64 0
		.amdhsa_float_denorm_mode_32 3
		.amdhsa_float_denorm_mode_16_64 3
		.amdhsa_fp16_overflow 0
		.amdhsa_workgroup_processor_mode 1
		.amdhsa_memory_ordered 1
		.amdhsa_forward_progress 1
		.amdhsa_inst_pref_size 0
		.amdhsa_round_robin_scheduling 0
		.amdhsa_exception_fp_ieee_invalid_op 0
		.amdhsa_exception_fp_denorm_src 0
		.amdhsa_exception_fp_ieee_div_zero 0
		.amdhsa_exception_fp_ieee_overflow 0
		.amdhsa_exception_fp_ieee_underflow 0
		.amdhsa_exception_fp_ieee_inexact 0
		.amdhsa_exception_int_div_zero 0
	.end_amdhsa_kernel
	.section	.text._ZN7rocprim17ROCPRIM_400000_NS6detail17trampoline_kernelINS0_13select_configILj256ELj13ELNS0_17block_load_methodE3ELS4_3ELS4_3ELNS0_20block_scan_algorithmE0ELj4294967295EEENS1_25partition_config_selectorILNS1_17partition_subalgoE4EjNS0_10empty_typeEbEEZZNS1_14partition_implILS8_4ELb0ES6_15HIP_vector_typeIjLj2EENS0_17counting_iteratorIjlEEPS9_SG_NS0_5tupleIJPjSI_NS0_16reverse_iteratorISI_EEEEENSH_IJSG_SG_SG_EEES9_SI_JZNS1_25segmented_radix_sort_implINS0_14default_configELb0EPKiPiPKlPlN2at6native12_GLOBAL__N_18offset_tEEE10hipError_tPvRmT1_PNSt15iterator_traitsIS12_E10value_typeET2_T3_PNS13_IS18_E10value_typeET4_jRbjT5_S1E_jjP12ihipStream_tbEUljE_ZNSN_ISO_Lb0ESQ_SR_ST_SU_SY_EESZ_S10_S11_S12_S16_S17_S18_S1B_S1C_jS1D_jS1E_S1E_jjS1G_bEUljE0_EEESZ_S10_S11_S18_S1C_S1E_T6_T7_T9_mT8_S1G_bDpT10_ENKUlT_T0_E_clISt17integral_constantIbLb0EES1T_IbLb1EEEEDaS1P_S1Q_EUlS1P_E_NS1_11comp_targetILNS1_3genE5ELNS1_11target_archE942ELNS1_3gpuE9ELNS1_3repE0EEENS1_30default_config_static_selectorELNS0_4arch9wavefront6targetE0EEEvS12_,"axG",@progbits,_ZN7rocprim17ROCPRIM_400000_NS6detail17trampoline_kernelINS0_13select_configILj256ELj13ELNS0_17block_load_methodE3ELS4_3ELS4_3ELNS0_20block_scan_algorithmE0ELj4294967295EEENS1_25partition_config_selectorILNS1_17partition_subalgoE4EjNS0_10empty_typeEbEEZZNS1_14partition_implILS8_4ELb0ES6_15HIP_vector_typeIjLj2EENS0_17counting_iteratorIjlEEPS9_SG_NS0_5tupleIJPjSI_NS0_16reverse_iteratorISI_EEEEENSH_IJSG_SG_SG_EEES9_SI_JZNS1_25segmented_radix_sort_implINS0_14default_configELb0EPKiPiPKlPlN2at6native12_GLOBAL__N_18offset_tEEE10hipError_tPvRmT1_PNSt15iterator_traitsIS12_E10value_typeET2_T3_PNS13_IS18_E10value_typeET4_jRbjT5_S1E_jjP12ihipStream_tbEUljE_ZNSN_ISO_Lb0ESQ_SR_ST_SU_SY_EESZ_S10_S11_S12_S16_S17_S18_S1B_S1C_jS1D_jS1E_S1E_jjS1G_bEUljE0_EEESZ_S10_S11_S18_S1C_S1E_T6_T7_T9_mT8_S1G_bDpT10_ENKUlT_T0_E_clISt17integral_constantIbLb0EES1T_IbLb1EEEEDaS1P_S1Q_EUlS1P_E_NS1_11comp_targetILNS1_3genE5ELNS1_11target_archE942ELNS1_3gpuE9ELNS1_3repE0EEENS1_30default_config_static_selectorELNS0_4arch9wavefront6targetE0EEEvS12_,comdat
.Lfunc_end561:
	.size	_ZN7rocprim17ROCPRIM_400000_NS6detail17trampoline_kernelINS0_13select_configILj256ELj13ELNS0_17block_load_methodE3ELS4_3ELS4_3ELNS0_20block_scan_algorithmE0ELj4294967295EEENS1_25partition_config_selectorILNS1_17partition_subalgoE4EjNS0_10empty_typeEbEEZZNS1_14partition_implILS8_4ELb0ES6_15HIP_vector_typeIjLj2EENS0_17counting_iteratorIjlEEPS9_SG_NS0_5tupleIJPjSI_NS0_16reverse_iteratorISI_EEEEENSH_IJSG_SG_SG_EEES9_SI_JZNS1_25segmented_radix_sort_implINS0_14default_configELb0EPKiPiPKlPlN2at6native12_GLOBAL__N_18offset_tEEE10hipError_tPvRmT1_PNSt15iterator_traitsIS12_E10value_typeET2_T3_PNS13_IS18_E10value_typeET4_jRbjT5_S1E_jjP12ihipStream_tbEUljE_ZNSN_ISO_Lb0ESQ_SR_ST_SU_SY_EESZ_S10_S11_S12_S16_S17_S18_S1B_S1C_jS1D_jS1E_S1E_jjS1G_bEUljE0_EEESZ_S10_S11_S18_S1C_S1E_T6_T7_T9_mT8_S1G_bDpT10_ENKUlT_T0_E_clISt17integral_constantIbLb0EES1T_IbLb1EEEEDaS1P_S1Q_EUlS1P_E_NS1_11comp_targetILNS1_3genE5ELNS1_11target_archE942ELNS1_3gpuE9ELNS1_3repE0EEENS1_30default_config_static_selectorELNS0_4arch9wavefront6targetE0EEEvS12_, .Lfunc_end561-_ZN7rocprim17ROCPRIM_400000_NS6detail17trampoline_kernelINS0_13select_configILj256ELj13ELNS0_17block_load_methodE3ELS4_3ELS4_3ELNS0_20block_scan_algorithmE0ELj4294967295EEENS1_25partition_config_selectorILNS1_17partition_subalgoE4EjNS0_10empty_typeEbEEZZNS1_14partition_implILS8_4ELb0ES6_15HIP_vector_typeIjLj2EENS0_17counting_iteratorIjlEEPS9_SG_NS0_5tupleIJPjSI_NS0_16reverse_iteratorISI_EEEEENSH_IJSG_SG_SG_EEES9_SI_JZNS1_25segmented_radix_sort_implINS0_14default_configELb0EPKiPiPKlPlN2at6native12_GLOBAL__N_18offset_tEEE10hipError_tPvRmT1_PNSt15iterator_traitsIS12_E10value_typeET2_T3_PNS13_IS18_E10value_typeET4_jRbjT5_S1E_jjP12ihipStream_tbEUljE_ZNSN_ISO_Lb0ESQ_SR_ST_SU_SY_EESZ_S10_S11_S12_S16_S17_S18_S1B_S1C_jS1D_jS1E_S1E_jjS1G_bEUljE0_EEESZ_S10_S11_S18_S1C_S1E_T6_T7_T9_mT8_S1G_bDpT10_ENKUlT_T0_E_clISt17integral_constantIbLb0EES1T_IbLb1EEEEDaS1P_S1Q_EUlS1P_E_NS1_11comp_targetILNS1_3genE5ELNS1_11target_archE942ELNS1_3gpuE9ELNS1_3repE0EEENS1_30default_config_static_selectorELNS0_4arch9wavefront6targetE0EEEvS12_
                                        ; -- End function
	.set _ZN7rocprim17ROCPRIM_400000_NS6detail17trampoline_kernelINS0_13select_configILj256ELj13ELNS0_17block_load_methodE3ELS4_3ELS4_3ELNS0_20block_scan_algorithmE0ELj4294967295EEENS1_25partition_config_selectorILNS1_17partition_subalgoE4EjNS0_10empty_typeEbEEZZNS1_14partition_implILS8_4ELb0ES6_15HIP_vector_typeIjLj2EENS0_17counting_iteratorIjlEEPS9_SG_NS0_5tupleIJPjSI_NS0_16reverse_iteratorISI_EEEEENSH_IJSG_SG_SG_EEES9_SI_JZNS1_25segmented_radix_sort_implINS0_14default_configELb0EPKiPiPKlPlN2at6native12_GLOBAL__N_18offset_tEEE10hipError_tPvRmT1_PNSt15iterator_traitsIS12_E10value_typeET2_T3_PNS13_IS18_E10value_typeET4_jRbjT5_S1E_jjP12ihipStream_tbEUljE_ZNSN_ISO_Lb0ESQ_SR_ST_SU_SY_EESZ_S10_S11_S12_S16_S17_S18_S1B_S1C_jS1D_jS1E_S1E_jjS1G_bEUljE0_EEESZ_S10_S11_S18_S1C_S1E_T6_T7_T9_mT8_S1G_bDpT10_ENKUlT_T0_E_clISt17integral_constantIbLb0EES1T_IbLb1EEEEDaS1P_S1Q_EUlS1P_E_NS1_11comp_targetILNS1_3genE5ELNS1_11target_archE942ELNS1_3gpuE9ELNS1_3repE0EEENS1_30default_config_static_selectorELNS0_4arch9wavefront6targetE0EEEvS12_.num_vgpr, 0
	.set _ZN7rocprim17ROCPRIM_400000_NS6detail17trampoline_kernelINS0_13select_configILj256ELj13ELNS0_17block_load_methodE3ELS4_3ELS4_3ELNS0_20block_scan_algorithmE0ELj4294967295EEENS1_25partition_config_selectorILNS1_17partition_subalgoE4EjNS0_10empty_typeEbEEZZNS1_14partition_implILS8_4ELb0ES6_15HIP_vector_typeIjLj2EENS0_17counting_iteratorIjlEEPS9_SG_NS0_5tupleIJPjSI_NS0_16reverse_iteratorISI_EEEEENSH_IJSG_SG_SG_EEES9_SI_JZNS1_25segmented_radix_sort_implINS0_14default_configELb0EPKiPiPKlPlN2at6native12_GLOBAL__N_18offset_tEEE10hipError_tPvRmT1_PNSt15iterator_traitsIS12_E10value_typeET2_T3_PNS13_IS18_E10value_typeET4_jRbjT5_S1E_jjP12ihipStream_tbEUljE_ZNSN_ISO_Lb0ESQ_SR_ST_SU_SY_EESZ_S10_S11_S12_S16_S17_S18_S1B_S1C_jS1D_jS1E_S1E_jjS1G_bEUljE0_EEESZ_S10_S11_S18_S1C_S1E_T6_T7_T9_mT8_S1G_bDpT10_ENKUlT_T0_E_clISt17integral_constantIbLb0EES1T_IbLb1EEEEDaS1P_S1Q_EUlS1P_E_NS1_11comp_targetILNS1_3genE5ELNS1_11target_archE942ELNS1_3gpuE9ELNS1_3repE0EEENS1_30default_config_static_selectorELNS0_4arch9wavefront6targetE0EEEvS12_.num_agpr, 0
	.set _ZN7rocprim17ROCPRIM_400000_NS6detail17trampoline_kernelINS0_13select_configILj256ELj13ELNS0_17block_load_methodE3ELS4_3ELS4_3ELNS0_20block_scan_algorithmE0ELj4294967295EEENS1_25partition_config_selectorILNS1_17partition_subalgoE4EjNS0_10empty_typeEbEEZZNS1_14partition_implILS8_4ELb0ES6_15HIP_vector_typeIjLj2EENS0_17counting_iteratorIjlEEPS9_SG_NS0_5tupleIJPjSI_NS0_16reverse_iteratorISI_EEEEENSH_IJSG_SG_SG_EEES9_SI_JZNS1_25segmented_radix_sort_implINS0_14default_configELb0EPKiPiPKlPlN2at6native12_GLOBAL__N_18offset_tEEE10hipError_tPvRmT1_PNSt15iterator_traitsIS12_E10value_typeET2_T3_PNS13_IS18_E10value_typeET4_jRbjT5_S1E_jjP12ihipStream_tbEUljE_ZNSN_ISO_Lb0ESQ_SR_ST_SU_SY_EESZ_S10_S11_S12_S16_S17_S18_S1B_S1C_jS1D_jS1E_S1E_jjS1G_bEUljE0_EEESZ_S10_S11_S18_S1C_S1E_T6_T7_T9_mT8_S1G_bDpT10_ENKUlT_T0_E_clISt17integral_constantIbLb0EES1T_IbLb1EEEEDaS1P_S1Q_EUlS1P_E_NS1_11comp_targetILNS1_3genE5ELNS1_11target_archE942ELNS1_3gpuE9ELNS1_3repE0EEENS1_30default_config_static_selectorELNS0_4arch9wavefront6targetE0EEEvS12_.numbered_sgpr, 0
	.set _ZN7rocprim17ROCPRIM_400000_NS6detail17trampoline_kernelINS0_13select_configILj256ELj13ELNS0_17block_load_methodE3ELS4_3ELS4_3ELNS0_20block_scan_algorithmE0ELj4294967295EEENS1_25partition_config_selectorILNS1_17partition_subalgoE4EjNS0_10empty_typeEbEEZZNS1_14partition_implILS8_4ELb0ES6_15HIP_vector_typeIjLj2EENS0_17counting_iteratorIjlEEPS9_SG_NS0_5tupleIJPjSI_NS0_16reverse_iteratorISI_EEEEENSH_IJSG_SG_SG_EEES9_SI_JZNS1_25segmented_radix_sort_implINS0_14default_configELb0EPKiPiPKlPlN2at6native12_GLOBAL__N_18offset_tEEE10hipError_tPvRmT1_PNSt15iterator_traitsIS12_E10value_typeET2_T3_PNS13_IS18_E10value_typeET4_jRbjT5_S1E_jjP12ihipStream_tbEUljE_ZNSN_ISO_Lb0ESQ_SR_ST_SU_SY_EESZ_S10_S11_S12_S16_S17_S18_S1B_S1C_jS1D_jS1E_S1E_jjS1G_bEUljE0_EEESZ_S10_S11_S18_S1C_S1E_T6_T7_T9_mT8_S1G_bDpT10_ENKUlT_T0_E_clISt17integral_constantIbLb0EES1T_IbLb1EEEEDaS1P_S1Q_EUlS1P_E_NS1_11comp_targetILNS1_3genE5ELNS1_11target_archE942ELNS1_3gpuE9ELNS1_3repE0EEENS1_30default_config_static_selectorELNS0_4arch9wavefront6targetE0EEEvS12_.num_named_barrier, 0
	.set _ZN7rocprim17ROCPRIM_400000_NS6detail17trampoline_kernelINS0_13select_configILj256ELj13ELNS0_17block_load_methodE3ELS4_3ELS4_3ELNS0_20block_scan_algorithmE0ELj4294967295EEENS1_25partition_config_selectorILNS1_17partition_subalgoE4EjNS0_10empty_typeEbEEZZNS1_14partition_implILS8_4ELb0ES6_15HIP_vector_typeIjLj2EENS0_17counting_iteratorIjlEEPS9_SG_NS0_5tupleIJPjSI_NS0_16reverse_iteratorISI_EEEEENSH_IJSG_SG_SG_EEES9_SI_JZNS1_25segmented_radix_sort_implINS0_14default_configELb0EPKiPiPKlPlN2at6native12_GLOBAL__N_18offset_tEEE10hipError_tPvRmT1_PNSt15iterator_traitsIS12_E10value_typeET2_T3_PNS13_IS18_E10value_typeET4_jRbjT5_S1E_jjP12ihipStream_tbEUljE_ZNSN_ISO_Lb0ESQ_SR_ST_SU_SY_EESZ_S10_S11_S12_S16_S17_S18_S1B_S1C_jS1D_jS1E_S1E_jjS1G_bEUljE0_EEESZ_S10_S11_S18_S1C_S1E_T6_T7_T9_mT8_S1G_bDpT10_ENKUlT_T0_E_clISt17integral_constantIbLb0EES1T_IbLb1EEEEDaS1P_S1Q_EUlS1P_E_NS1_11comp_targetILNS1_3genE5ELNS1_11target_archE942ELNS1_3gpuE9ELNS1_3repE0EEENS1_30default_config_static_selectorELNS0_4arch9wavefront6targetE0EEEvS12_.private_seg_size, 0
	.set _ZN7rocprim17ROCPRIM_400000_NS6detail17trampoline_kernelINS0_13select_configILj256ELj13ELNS0_17block_load_methodE3ELS4_3ELS4_3ELNS0_20block_scan_algorithmE0ELj4294967295EEENS1_25partition_config_selectorILNS1_17partition_subalgoE4EjNS0_10empty_typeEbEEZZNS1_14partition_implILS8_4ELb0ES6_15HIP_vector_typeIjLj2EENS0_17counting_iteratorIjlEEPS9_SG_NS0_5tupleIJPjSI_NS0_16reverse_iteratorISI_EEEEENSH_IJSG_SG_SG_EEES9_SI_JZNS1_25segmented_radix_sort_implINS0_14default_configELb0EPKiPiPKlPlN2at6native12_GLOBAL__N_18offset_tEEE10hipError_tPvRmT1_PNSt15iterator_traitsIS12_E10value_typeET2_T3_PNS13_IS18_E10value_typeET4_jRbjT5_S1E_jjP12ihipStream_tbEUljE_ZNSN_ISO_Lb0ESQ_SR_ST_SU_SY_EESZ_S10_S11_S12_S16_S17_S18_S1B_S1C_jS1D_jS1E_S1E_jjS1G_bEUljE0_EEESZ_S10_S11_S18_S1C_S1E_T6_T7_T9_mT8_S1G_bDpT10_ENKUlT_T0_E_clISt17integral_constantIbLb0EES1T_IbLb1EEEEDaS1P_S1Q_EUlS1P_E_NS1_11comp_targetILNS1_3genE5ELNS1_11target_archE942ELNS1_3gpuE9ELNS1_3repE0EEENS1_30default_config_static_selectorELNS0_4arch9wavefront6targetE0EEEvS12_.uses_vcc, 0
	.set _ZN7rocprim17ROCPRIM_400000_NS6detail17trampoline_kernelINS0_13select_configILj256ELj13ELNS0_17block_load_methodE3ELS4_3ELS4_3ELNS0_20block_scan_algorithmE0ELj4294967295EEENS1_25partition_config_selectorILNS1_17partition_subalgoE4EjNS0_10empty_typeEbEEZZNS1_14partition_implILS8_4ELb0ES6_15HIP_vector_typeIjLj2EENS0_17counting_iteratorIjlEEPS9_SG_NS0_5tupleIJPjSI_NS0_16reverse_iteratorISI_EEEEENSH_IJSG_SG_SG_EEES9_SI_JZNS1_25segmented_radix_sort_implINS0_14default_configELb0EPKiPiPKlPlN2at6native12_GLOBAL__N_18offset_tEEE10hipError_tPvRmT1_PNSt15iterator_traitsIS12_E10value_typeET2_T3_PNS13_IS18_E10value_typeET4_jRbjT5_S1E_jjP12ihipStream_tbEUljE_ZNSN_ISO_Lb0ESQ_SR_ST_SU_SY_EESZ_S10_S11_S12_S16_S17_S18_S1B_S1C_jS1D_jS1E_S1E_jjS1G_bEUljE0_EEESZ_S10_S11_S18_S1C_S1E_T6_T7_T9_mT8_S1G_bDpT10_ENKUlT_T0_E_clISt17integral_constantIbLb0EES1T_IbLb1EEEEDaS1P_S1Q_EUlS1P_E_NS1_11comp_targetILNS1_3genE5ELNS1_11target_archE942ELNS1_3gpuE9ELNS1_3repE0EEENS1_30default_config_static_selectorELNS0_4arch9wavefront6targetE0EEEvS12_.uses_flat_scratch, 0
	.set _ZN7rocprim17ROCPRIM_400000_NS6detail17trampoline_kernelINS0_13select_configILj256ELj13ELNS0_17block_load_methodE3ELS4_3ELS4_3ELNS0_20block_scan_algorithmE0ELj4294967295EEENS1_25partition_config_selectorILNS1_17partition_subalgoE4EjNS0_10empty_typeEbEEZZNS1_14partition_implILS8_4ELb0ES6_15HIP_vector_typeIjLj2EENS0_17counting_iteratorIjlEEPS9_SG_NS0_5tupleIJPjSI_NS0_16reverse_iteratorISI_EEEEENSH_IJSG_SG_SG_EEES9_SI_JZNS1_25segmented_radix_sort_implINS0_14default_configELb0EPKiPiPKlPlN2at6native12_GLOBAL__N_18offset_tEEE10hipError_tPvRmT1_PNSt15iterator_traitsIS12_E10value_typeET2_T3_PNS13_IS18_E10value_typeET4_jRbjT5_S1E_jjP12ihipStream_tbEUljE_ZNSN_ISO_Lb0ESQ_SR_ST_SU_SY_EESZ_S10_S11_S12_S16_S17_S18_S1B_S1C_jS1D_jS1E_S1E_jjS1G_bEUljE0_EEESZ_S10_S11_S18_S1C_S1E_T6_T7_T9_mT8_S1G_bDpT10_ENKUlT_T0_E_clISt17integral_constantIbLb0EES1T_IbLb1EEEEDaS1P_S1Q_EUlS1P_E_NS1_11comp_targetILNS1_3genE5ELNS1_11target_archE942ELNS1_3gpuE9ELNS1_3repE0EEENS1_30default_config_static_selectorELNS0_4arch9wavefront6targetE0EEEvS12_.has_dyn_sized_stack, 0
	.set _ZN7rocprim17ROCPRIM_400000_NS6detail17trampoline_kernelINS0_13select_configILj256ELj13ELNS0_17block_load_methodE3ELS4_3ELS4_3ELNS0_20block_scan_algorithmE0ELj4294967295EEENS1_25partition_config_selectorILNS1_17partition_subalgoE4EjNS0_10empty_typeEbEEZZNS1_14partition_implILS8_4ELb0ES6_15HIP_vector_typeIjLj2EENS0_17counting_iteratorIjlEEPS9_SG_NS0_5tupleIJPjSI_NS0_16reverse_iteratorISI_EEEEENSH_IJSG_SG_SG_EEES9_SI_JZNS1_25segmented_radix_sort_implINS0_14default_configELb0EPKiPiPKlPlN2at6native12_GLOBAL__N_18offset_tEEE10hipError_tPvRmT1_PNSt15iterator_traitsIS12_E10value_typeET2_T3_PNS13_IS18_E10value_typeET4_jRbjT5_S1E_jjP12ihipStream_tbEUljE_ZNSN_ISO_Lb0ESQ_SR_ST_SU_SY_EESZ_S10_S11_S12_S16_S17_S18_S1B_S1C_jS1D_jS1E_S1E_jjS1G_bEUljE0_EEESZ_S10_S11_S18_S1C_S1E_T6_T7_T9_mT8_S1G_bDpT10_ENKUlT_T0_E_clISt17integral_constantIbLb0EES1T_IbLb1EEEEDaS1P_S1Q_EUlS1P_E_NS1_11comp_targetILNS1_3genE5ELNS1_11target_archE942ELNS1_3gpuE9ELNS1_3repE0EEENS1_30default_config_static_selectorELNS0_4arch9wavefront6targetE0EEEvS12_.has_recursion, 0
	.set _ZN7rocprim17ROCPRIM_400000_NS6detail17trampoline_kernelINS0_13select_configILj256ELj13ELNS0_17block_load_methodE3ELS4_3ELS4_3ELNS0_20block_scan_algorithmE0ELj4294967295EEENS1_25partition_config_selectorILNS1_17partition_subalgoE4EjNS0_10empty_typeEbEEZZNS1_14partition_implILS8_4ELb0ES6_15HIP_vector_typeIjLj2EENS0_17counting_iteratorIjlEEPS9_SG_NS0_5tupleIJPjSI_NS0_16reverse_iteratorISI_EEEEENSH_IJSG_SG_SG_EEES9_SI_JZNS1_25segmented_radix_sort_implINS0_14default_configELb0EPKiPiPKlPlN2at6native12_GLOBAL__N_18offset_tEEE10hipError_tPvRmT1_PNSt15iterator_traitsIS12_E10value_typeET2_T3_PNS13_IS18_E10value_typeET4_jRbjT5_S1E_jjP12ihipStream_tbEUljE_ZNSN_ISO_Lb0ESQ_SR_ST_SU_SY_EESZ_S10_S11_S12_S16_S17_S18_S1B_S1C_jS1D_jS1E_S1E_jjS1G_bEUljE0_EEESZ_S10_S11_S18_S1C_S1E_T6_T7_T9_mT8_S1G_bDpT10_ENKUlT_T0_E_clISt17integral_constantIbLb0EES1T_IbLb1EEEEDaS1P_S1Q_EUlS1P_E_NS1_11comp_targetILNS1_3genE5ELNS1_11target_archE942ELNS1_3gpuE9ELNS1_3repE0EEENS1_30default_config_static_selectorELNS0_4arch9wavefront6targetE0EEEvS12_.has_indirect_call, 0
	.section	.AMDGPU.csdata,"",@progbits
; Kernel info:
; codeLenInByte = 0
; TotalNumSgprs: 0
; NumVgprs: 0
; ScratchSize: 0
; MemoryBound: 0
; FloatMode: 240
; IeeeMode: 1
; LDSByteSize: 0 bytes/workgroup (compile time only)
; SGPRBlocks: 0
; VGPRBlocks: 0
; NumSGPRsForWavesPerEU: 1
; NumVGPRsForWavesPerEU: 1
; Occupancy: 16
; WaveLimiterHint : 0
; COMPUTE_PGM_RSRC2:SCRATCH_EN: 0
; COMPUTE_PGM_RSRC2:USER_SGPR: 2
; COMPUTE_PGM_RSRC2:TRAP_HANDLER: 0
; COMPUTE_PGM_RSRC2:TGID_X_EN: 1
; COMPUTE_PGM_RSRC2:TGID_Y_EN: 0
; COMPUTE_PGM_RSRC2:TGID_Z_EN: 0
; COMPUTE_PGM_RSRC2:TIDIG_COMP_CNT: 0
	.section	.text._ZN7rocprim17ROCPRIM_400000_NS6detail17trampoline_kernelINS0_13select_configILj256ELj13ELNS0_17block_load_methodE3ELS4_3ELS4_3ELNS0_20block_scan_algorithmE0ELj4294967295EEENS1_25partition_config_selectorILNS1_17partition_subalgoE4EjNS0_10empty_typeEbEEZZNS1_14partition_implILS8_4ELb0ES6_15HIP_vector_typeIjLj2EENS0_17counting_iteratorIjlEEPS9_SG_NS0_5tupleIJPjSI_NS0_16reverse_iteratorISI_EEEEENSH_IJSG_SG_SG_EEES9_SI_JZNS1_25segmented_radix_sort_implINS0_14default_configELb0EPKiPiPKlPlN2at6native12_GLOBAL__N_18offset_tEEE10hipError_tPvRmT1_PNSt15iterator_traitsIS12_E10value_typeET2_T3_PNS13_IS18_E10value_typeET4_jRbjT5_S1E_jjP12ihipStream_tbEUljE_ZNSN_ISO_Lb0ESQ_SR_ST_SU_SY_EESZ_S10_S11_S12_S16_S17_S18_S1B_S1C_jS1D_jS1E_S1E_jjS1G_bEUljE0_EEESZ_S10_S11_S18_S1C_S1E_T6_T7_T9_mT8_S1G_bDpT10_ENKUlT_T0_E_clISt17integral_constantIbLb0EES1T_IbLb1EEEEDaS1P_S1Q_EUlS1P_E_NS1_11comp_targetILNS1_3genE4ELNS1_11target_archE910ELNS1_3gpuE8ELNS1_3repE0EEENS1_30default_config_static_selectorELNS0_4arch9wavefront6targetE0EEEvS12_,"axG",@progbits,_ZN7rocprim17ROCPRIM_400000_NS6detail17trampoline_kernelINS0_13select_configILj256ELj13ELNS0_17block_load_methodE3ELS4_3ELS4_3ELNS0_20block_scan_algorithmE0ELj4294967295EEENS1_25partition_config_selectorILNS1_17partition_subalgoE4EjNS0_10empty_typeEbEEZZNS1_14partition_implILS8_4ELb0ES6_15HIP_vector_typeIjLj2EENS0_17counting_iteratorIjlEEPS9_SG_NS0_5tupleIJPjSI_NS0_16reverse_iteratorISI_EEEEENSH_IJSG_SG_SG_EEES9_SI_JZNS1_25segmented_radix_sort_implINS0_14default_configELb0EPKiPiPKlPlN2at6native12_GLOBAL__N_18offset_tEEE10hipError_tPvRmT1_PNSt15iterator_traitsIS12_E10value_typeET2_T3_PNS13_IS18_E10value_typeET4_jRbjT5_S1E_jjP12ihipStream_tbEUljE_ZNSN_ISO_Lb0ESQ_SR_ST_SU_SY_EESZ_S10_S11_S12_S16_S17_S18_S1B_S1C_jS1D_jS1E_S1E_jjS1G_bEUljE0_EEESZ_S10_S11_S18_S1C_S1E_T6_T7_T9_mT8_S1G_bDpT10_ENKUlT_T0_E_clISt17integral_constantIbLb0EES1T_IbLb1EEEEDaS1P_S1Q_EUlS1P_E_NS1_11comp_targetILNS1_3genE4ELNS1_11target_archE910ELNS1_3gpuE8ELNS1_3repE0EEENS1_30default_config_static_selectorELNS0_4arch9wavefront6targetE0EEEvS12_,comdat
	.globl	_ZN7rocprim17ROCPRIM_400000_NS6detail17trampoline_kernelINS0_13select_configILj256ELj13ELNS0_17block_load_methodE3ELS4_3ELS4_3ELNS0_20block_scan_algorithmE0ELj4294967295EEENS1_25partition_config_selectorILNS1_17partition_subalgoE4EjNS0_10empty_typeEbEEZZNS1_14partition_implILS8_4ELb0ES6_15HIP_vector_typeIjLj2EENS0_17counting_iteratorIjlEEPS9_SG_NS0_5tupleIJPjSI_NS0_16reverse_iteratorISI_EEEEENSH_IJSG_SG_SG_EEES9_SI_JZNS1_25segmented_radix_sort_implINS0_14default_configELb0EPKiPiPKlPlN2at6native12_GLOBAL__N_18offset_tEEE10hipError_tPvRmT1_PNSt15iterator_traitsIS12_E10value_typeET2_T3_PNS13_IS18_E10value_typeET4_jRbjT5_S1E_jjP12ihipStream_tbEUljE_ZNSN_ISO_Lb0ESQ_SR_ST_SU_SY_EESZ_S10_S11_S12_S16_S17_S18_S1B_S1C_jS1D_jS1E_S1E_jjS1G_bEUljE0_EEESZ_S10_S11_S18_S1C_S1E_T6_T7_T9_mT8_S1G_bDpT10_ENKUlT_T0_E_clISt17integral_constantIbLb0EES1T_IbLb1EEEEDaS1P_S1Q_EUlS1P_E_NS1_11comp_targetILNS1_3genE4ELNS1_11target_archE910ELNS1_3gpuE8ELNS1_3repE0EEENS1_30default_config_static_selectorELNS0_4arch9wavefront6targetE0EEEvS12_ ; -- Begin function _ZN7rocprim17ROCPRIM_400000_NS6detail17trampoline_kernelINS0_13select_configILj256ELj13ELNS0_17block_load_methodE3ELS4_3ELS4_3ELNS0_20block_scan_algorithmE0ELj4294967295EEENS1_25partition_config_selectorILNS1_17partition_subalgoE4EjNS0_10empty_typeEbEEZZNS1_14partition_implILS8_4ELb0ES6_15HIP_vector_typeIjLj2EENS0_17counting_iteratorIjlEEPS9_SG_NS0_5tupleIJPjSI_NS0_16reverse_iteratorISI_EEEEENSH_IJSG_SG_SG_EEES9_SI_JZNS1_25segmented_radix_sort_implINS0_14default_configELb0EPKiPiPKlPlN2at6native12_GLOBAL__N_18offset_tEEE10hipError_tPvRmT1_PNSt15iterator_traitsIS12_E10value_typeET2_T3_PNS13_IS18_E10value_typeET4_jRbjT5_S1E_jjP12ihipStream_tbEUljE_ZNSN_ISO_Lb0ESQ_SR_ST_SU_SY_EESZ_S10_S11_S12_S16_S17_S18_S1B_S1C_jS1D_jS1E_S1E_jjS1G_bEUljE0_EEESZ_S10_S11_S18_S1C_S1E_T6_T7_T9_mT8_S1G_bDpT10_ENKUlT_T0_E_clISt17integral_constantIbLb0EES1T_IbLb1EEEEDaS1P_S1Q_EUlS1P_E_NS1_11comp_targetILNS1_3genE4ELNS1_11target_archE910ELNS1_3gpuE8ELNS1_3repE0EEENS1_30default_config_static_selectorELNS0_4arch9wavefront6targetE0EEEvS12_
	.p2align	8
	.type	_ZN7rocprim17ROCPRIM_400000_NS6detail17trampoline_kernelINS0_13select_configILj256ELj13ELNS0_17block_load_methodE3ELS4_3ELS4_3ELNS0_20block_scan_algorithmE0ELj4294967295EEENS1_25partition_config_selectorILNS1_17partition_subalgoE4EjNS0_10empty_typeEbEEZZNS1_14partition_implILS8_4ELb0ES6_15HIP_vector_typeIjLj2EENS0_17counting_iteratorIjlEEPS9_SG_NS0_5tupleIJPjSI_NS0_16reverse_iteratorISI_EEEEENSH_IJSG_SG_SG_EEES9_SI_JZNS1_25segmented_radix_sort_implINS0_14default_configELb0EPKiPiPKlPlN2at6native12_GLOBAL__N_18offset_tEEE10hipError_tPvRmT1_PNSt15iterator_traitsIS12_E10value_typeET2_T3_PNS13_IS18_E10value_typeET4_jRbjT5_S1E_jjP12ihipStream_tbEUljE_ZNSN_ISO_Lb0ESQ_SR_ST_SU_SY_EESZ_S10_S11_S12_S16_S17_S18_S1B_S1C_jS1D_jS1E_S1E_jjS1G_bEUljE0_EEESZ_S10_S11_S18_S1C_S1E_T6_T7_T9_mT8_S1G_bDpT10_ENKUlT_T0_E_clISt17integral_constantIbLb0EES1T_IbLb1EEEEDaS1P_S1Q_EUlS1P_E_NS1_11comp_targetILNS1_3genE4ELNS1_11target_archE910ELNS1_3gpuE8ELNS1_3repE0EEENS1_30default_config_static_selectorELNS0_4arch9wavefront6targetE0EEEvS12_,@function
_ZN7rocprim17ROCPRIM_400000_NS6detail17trampoline_kernelINS0_13select_configILj256ELj13ELNS0_17block_load_methodE3ELS4_3ELS4_3ELNS0_20block_scan_algorithmE0ELj4294967295EEENS1_25partition_config_selectorILNS1_17partition_subalgoE4EjNS0_10empty_typeEbEEZZNS1_14partition_implILS8_4ELb0ES6_15HIP_vector_typeIjLj2EENS0_17counting_iteratorIjlEEPS9_SG_NS0_5tupleIJPjSI_NS0_16reverse_iteratorISI_EEEEENSH_IJSG_SG_SG_EEES9_SI_JZNS1_25segmented_radix_sort_implINS0_14default_configELb0EPKiPiPKlPlN2at6native12_GLOBAL__N_18offset_tEEE10hipError_tPvRmT1_PNSt15iterator_traitsIS12_E10value_typeET2_T3_PNS13_IS18_E10value_typeET4_jRbjT5_S1E_jjP12ihipStream_tbEUljE_ZNSN_ISO_Lb0ESQ_SR_ST_SU_SY_EESZ_S10_S11_S12_S16_S17_S18_S1B_S1C_jS1D_jS1E_S1E_jjS1G_bEUljE0_EEESZ_S10_S11_S18_S1C_S1E_T6_T7_T9_mT8_S1G_bDpT10_ENKUlT_T0_E_clISt17integral_constantIbLb0EES1T_IbLb1EEEEDaS1P_S1Q_EUlS1P_E_NS1_11comp_targetILNS1_3genE4ELNS1_11target_archE910ELNS1_3gpuE8ELNS1_3repE0EEENS1_30default_config_static_selectorELNS0_4arch9wavefront6targetE0EEEvS12_: ; @_ZN7rocprim17ROCPRIM_400000_NS6detail17trampoline_kernelINS0_13select_configILj256ELj13ELNS0_17block_load_methodE3ELS4_3ELS4_3ELNS0_20block_scan_algorithmE0ELj4294967295EEENS1_25partition_config_selectorILNS1_17partition_subalgoE4EjNS0_10empty_typeEbEEZZNS1_14partition_implILS8_4ELb0ES6_15HIP_vector_typeIjLj2EENS0_17counting_iteratorIjlEEPS9_SG_NS0_5tupleIJPjSI_NS0_16reverse_iteratorISI_EEEEENSH_IJSG_SG_SG_EEES9_SI_JZNS1_25segmented_radix_sort_implINS0_14default_configELb0EPKiPiPKlPlN2at6native12_GLOBAL__N_18offset_tEEE10hipError_tPvRmT1_PNSt15iterator_traitsIS12_E10value_typeET2_T3_PNS13_IS18_E10value_typeET4_jRbjT5_S1E_jjP12ihipStream_tbEUljE_ZNSN_ISO_Lb0ESQ_SR_ST_SU_SY_EESZ_S10_S11_S12_S16_S17_S18_S1B_S1C_jS1D_jS1E_S1E_jjS1G_bEUljE0_EEESZ_S10_S11_S18_S1C_S1E_T6_T7_T9_mT8_S1G_bDpT10_ENKUlT_T0_E_clISt17integral_constantIbLb0EES1T_IbLb1EEEEDaS1P_S1Q_EUlS1P_E_NS1_11comp_targetILNS1_3genE4ELNS1_11target_archE910ELNS1_3gpuE8ELNS1_3repE0EEENS1_30default_config_static_selectorELNS0_4arch9wavefront6targetE0EEEvS12_
; %bb.0:
	.section	.rodata,"a",@progbits
	.p2align	6, 0x0
	.amdhsa_kernel _ZN7rocprim17ROCPRIM_400000_NS6detail17trampoline_kernelINS0_13select_configILj256ELj13ELNS0_17block_load_methodE3ELS4_3ELS4_3ELNS0_20block_scan_algorithmE0ELj4294967295EEENS1_25partition_config_selectorILNS1_17partition_subalgoE4EjNS0_10empty_typeEbEEZZNS1_14partition_implILS8_4ELb0ES6_15HIP_vector_typeIjLj2EENS0_17counting_iteratorIjlEEPS9_SG_NS0_5tupleIJPjSI_NS0_16reverse_iteratorISI_EEEEENSH_IJSG_SG_SG_EEES9_SI_JZNS1_25segmented_radix_sort_implINS0_14default_configELb0EPKiPiPKlPlN2at6native12_GLOBAL__N_18offset_tEEE10hipError_tPvRmT1_PNSt15iterator_traitsIS12_E10value_typeET2_T3_PNS13_IS18_E10value_typeET4_jRbjT5_S1E_jjP12ihipStream_tbEUljE_ZNSN_ISO_Lb0ESQ_SR_ST_SU_SY_EESZ_S10_S11_S12_S16_S17_S18_S1B_S1C_jS1D_jS1E_S1E_jjS1G_bEUljE0_EEESZ_S10_S11_S18_S1C_S1E_T6_T7_T9_mT8_S1G_bDpT10_ENKUlT_T0_E_clISt17integral_constantIbLb0EES1T_IbLb1EEEEDaS1P_S1Q_EUlS1P_E_NS1_11comp_targetILNS1_3genE4ELNS1_11target_archE910ELNS1_3gpuE8ELNS1_3repE0EEENS1_30default_config_static_selectorELNS0_4arch9wavefront6targetE0EEEvS12_
		.amdhsa_group_segment_fixed_size 0
		.amdhsa_private_segment_fixed_size 0
		.amdhsa_kernarg_size 184
		.amdhsa_user_sgpr_count 2
		.amdhsa_user_sgpr_dispatch_ptr 0
		.amdhsa_user_sgpr_queue_ptr 0
		.amdhsa_user_sgpr_kernarg_segment_ptr 1
		.amdhsa_user_sgpr_dispatch_id 0
		.amdhsa_user_sgpr_private_segment_size 0
		.amdhsa_wavefront_size32 1
		.amdhsa_uses_dynamic_stack 0
		.amdhsa_enable_private_segment 0
		.amdhsa_system_sgpr_workgroup_id_x 1
		.amdhsa_system_sgpr_workgroup_id_y 0
		.amdhsa_system_sgpr_workgroup_id_z 0
		.amdhsa_system_sgpr_workgroup_info 0
		.amdhsa_system_vgpr_workitem_id 0
		.amdhsa_next_free_vgpr 1
		.amdhsa_next_free_sgpr 1
		.amdhsa_reserve_vcc 0
		.amdhsa_float_round_mode_32 0
		.amdhsa_float_round_mode_16_64 0
		.amdhsa_float_denorm_mode_32 3
		.amdhsa_float_denorm_mode_16_64 3
		.amdhsa_fp16_overflow 0
		.amdhsa_workgroup_processor_mode 1
		.amdhsa_memory_ordered 1
		.amdhsa_forward_progress 1
		.amdhsa_inst_pref_size 0
		.amdhsa_round_robin_scheduling 0
		.amdhsa_exception_fp_ieee_invalid_op 0
		.amdhsa_exception_fp_denorm_src 0
		.amdhsa_exception_fp_ieee_div_zero 0
		.amdhsa_exception_fp_ieee_overflow 0
		.amdhsa_exception_fp_ieee_underflow 0
		.amdhsa_exception_fp_ieee_inexact 0
		.amdhsa_exception_int_div_zero 0
	.end_amdhsa_kernel
	.section	.text._ZN7rocprim17ROCPRIM_400000_NS6detail17trampoline_kernelINS0_13select_configILj256ELj13ELNS0_17block_load_methodE3ELS4_3ELS4_3ELNS0_20block_scan_algorithmE0ELj4294967295EEENS1_25partition_config_selectorILNS1_17partition_subalgoE4EjNS0_10empty_typeEbEEZZNS1_14partition_implILS8_4ELb0ES6_15HIP_vector_typeIjLj2EENS0_17counting_iteratorIjlEEPS9_SG_NS0_5tupleIJPjSI_NS0_16reverse_iteratorISI_EEEEENSH_IJSG_SG_SG_EEES9_SI_JZNS1_25segmented_radix_sort_implINS0_14default_configELb0EPKiPiPKlPlN2at6native12_GLOBAL__N_18offset_tEEE10hipError_tPvRmT1_PNSt15iterator_traitsIS12_E10value_typeET2_T3_PNS13_IS18_E10value_typeET4_jRbjT5_S1E_jjP12ihipStream_tbEUljE_ZNSN_ISO_Lb0ESQ_SR_ST_SU_SY_EESZ_S10_S11_S12_S16_S17_S18_S1B_S1C_jS1D_jS1E_S1E_jjS1G_bEUljE0_EEESZ_S10_S11_S18_S1C_S1E_T6_T7_T9_mT8_S1G_bDpT10_ENKUlT_T0_E_clISt17integral_constantIbLb0EES1T_IbLb1EEEEDaS1P_S1Q_EUlS1P_E_NS1_11comp_targetILNS1_3genE4ELNS1_11target_archE910ELNS1_3gpuE8ELNS1_3repE0EEENS1_30default_config_static_selectorELNS0_4arch9wavefront6targetE0EEEvS12_,"axG",@progbits,_ZN7rocprim17ROCPRIM_400000_NS6detail17trampoline_kernelINS0_13select_configILj256ELj13ELNS0_17block_load_methodE3ELS4_3ELS4_3ELNS0_20block_scan_algorithmE0ELj4294967295EEENS1_25partition_config_selectorILNS1_17partition_subalgoE4EjNS0_10empty_typeEbEEZZNS1_14partition_implILS8_4ELb0ES6_15HIP_vector_typeIjLj2EENS0_17counting_iteratorIjlEEPS9_SG_NS0_5tupleIJPjSI_NS0_16reverse_iteratorISI_EEEEENSH_IJSG_SG_SG_EEES9_SI_JZNS1_25segmented_radix_sort_implINS0_14default_configELb0EPKiPiPKlPlN2at6native12_GLOBAL__N_18offset_tEEE10hipError_tPvRmT1_PNSt15iterator_traitsIS12_E10value_typeET2_T3_PNS13_IS18_E10value_typeET4_jRbjT5_S1E_jjP12ihipStream_tbEUljE_ZNSN_ISO_Lb0ESQ_SR_ST_SU_SY_EESZ_S10_S11_S12_S16_S17_S18_S1B_S1C_jS1D_jS1E_S1E_jjS1G_bEUljE0_EEESZ_S10_S11_S18_S1C_S1E_T6_T7_T9_mT8_S1G_bDpT10_ENKUlT_T0_E_clISt17integral_constantIbLb0EES1T_IbLb1EEEEDaS1P_S1Q_EUlS1P_E_NS1_11comp_targetILNS1_3genE4ELNS1_11target_archE910ELNS1_3gpuE8ELNS1_3repE0EEENS1_30default_config_static_selectorELNS0_4arch9wavefront6targetE0EEEvS12_,comdat
.Lfunc_end562:
	.size	_ZN7rocprim17ROCPRIM_400000_NS6detail17trampoline_kernelINS0_13select_configILj256ELj13ELNS0_17block_load_methodE3ELS4_3ELS4_3ELNS0_20block_scan_algorithmE0ELj4294967295EEENS1_25partition_config_selectorILNS1_17partition_subalgoE4EjNS0_10empty_typeEbEEZZNS1_14partition_implILS8_4ELb0ES6_15HIP_vector_typeIjLj2EENS0_17counting_iteratorIjlEEPS9_SG_NS0_5tupleIJPjSI_NS0_16reverse_iteratorISI_EEEEENSH_IJSG_SG_SG_EEES9_SI_JZNS1_25segmented_radix_sort_implINS0_14default_configELb0EPKiPiPKlPlN2at6native12_GLOBAL__N_18offset_tEEE10hipError_tPvRmT1_PNSt15iterator_traitsIS12_E10value_typeET2_T3_PNS13_IS18_E10value_typeET4_jRbjT5_S1E_jjP12ihipStream_tbEUljE_ZNSN_ISO_Lb0ESQ_SR_ST_SU_SY_EESZ_S10_S11_S12_S16_S17_S18_S1B_S1C_jS1D_jS1E_S1E_jjS1G_bEUljE0_EEESZ_S10_S11_S18_S1C_S1E_T6_T7_T9_mT8_S1G_bDpT10_ENKUlT_T0_E_clISt17integral_constantIbLb0EES1T_IbLb1EEEEDaS1P_S1Q_EUlS1P_E_NS1_11comp_targetILNS1_3genE4ELNS1_11target_archE910ELNS1_3gpuE8ELNS1_3repE0EEENS1_30default_config_static_selectorELNS0_4arch9wavefront6targetE0EEEvS12_, .Lfunc_end562-_ZN7rocprim17ROCPRIM_400000_NS6detail17trampoline_kernelINS0_13select_configILj256ELj13ELNS0_17block_load_methodE3ELS4_3ELS4_3ELNS0_20block_scan_algorithmE0ELj4294967295EEENS1_25partition_config_selectorILNS1_17partition_subalgoE4EjNS0_10empty_typeEbEEZZNS1_14partition_implILS8_4ELb0ES6_15HIP_vector_typeIjLj2EENS0_17counting_iteratorIjlEEPS9_SG_NS0_5tupleIJPjSI_NS0_16reverse_iteratorISI_EEEEENSH_IJSG_SG_SG_EEES9_SI_JZNS1_25segmented_radix_sort_implINS0_14default_configELb0EPKiPiPKlPlN2at6native12_GLOBAL__N_18offset_tEEE10hipError_tPvRmT1_PNSt15iterator_traitsIS12_E10value_typeET2_T3_PNS13_IS18_E10value_typeET4_jRbjT5_S1E_jjP12ihipStream_tbEUljE_ZNSN_ISO_Lb0ESQ_SR_ST_SU_SY_EESZ_S10_S11_S12_S16_S17_S18_S1B_S1C_jS1D_jS1E_S1E_jjS1G_bEUljE0_EEESZ_S10_S11_S18_S1C_S1E_T6_T7_T9_mT8_S1G_bDpT10_ENKUlT_T0_E_clISt17integral_constantIbLb0EES1T_IbLb1EEEEDaS1P_S1Q_EUlS1P_E_NS1_11comp_targetILNS1_3genE4ELNS1_11target_archE910ELNS1_3gpuE8ELNS1_3repE0EEENS1_30default_config_static_selectorELNS0_4arch9wavefront6targetE0EEEvS12_
                                        ; -- End function
	.set _ZN7rocprim17ROCPRIM_400000_NS6detail17trampoline_kernelINS0_13select_configILj256ELj13ELNS0_17block_load_methodE3ELS4_3ELS4_3ELNS0_20block_scan_algorithmE0ELj4294967295EEENS1_25partition_config_selectorILNS1_17partition_subalgoE4EjNS0_10empty_typeEbEEZZNS1_14partition_implILS8_4ELb0ES6_15HIP_vector_typeIjLj2EENS0_17counting_iteratorIjlEEPS9_SG_NS0_5tupleIJPjSI_NS0_16reverse_iteratorISI_EEEEENSH_IJSG_SG_SG_EEES9_SI_JZNS1_25segmented_radix_sort_implINS0_14default_configELb0EPKiPiPKlPlN2at6native12_GLOBAL__N_18offset_tEEE10hipError_tPvRmT1_PNSt15iterator_traitsIS12_E10value_typeET2_T3_PNS13_IS18_E10value_typeET4_jRbjT5_S1E_jjP12ihipStream_tbEUljE_ZNSN_ISO_Lb0ESQ_SR_ST_SU_SY_EESZ_S10_S11_S12_S16_S17_S18_S1B_S1C_jS1D_jS1E_S1E_jjS1G_bEUljE0_EEESZ_S10_S11_S18_S1C_S1E_T6_T7_T9_mT8_S1G_bDpT10_ENKUlT_T0_E_clISt17integral_constantIbLb0EES1T_IbLb1EEEEDaS1P_S1Q_EUlS1P_E_NS1_11comp_targetILNS1_3genE4ELNS1_11target_archE910ELNS1_3gpuE8ELNS1_3repE0EEENS1_30default_config_static_selectorELNS0_4arch9wavefront6targetE0EEEvS12_.num_vgpr, 0
	.set _ZN7rocprim17ROCPRIM_400000_NS6detail17trampoline_kernelINS0_13select_configILj256ELj13ELNS0_17block_load_methodE3ELS4_3ELS4_3ELNS0_20block_scan_algorithmE0ELj4294967295EEENS1_25partition_config_selectorILNS1_17partition_subalgoE4EjNS0_10empty_typeEbEEZZNS1_14partition_implILS8_4ELb0ES6_15HIP_vector_typeIjLj2EENS0_17counting_iteratorIjlEEPS9_SG_NS0_5tupleIJPjSI_NS0_16reverse_iteratorISI_EEEEENSH_IJSG_SG_SG_EEES9_SI_JZNS1_25segmented_radix_sort_implINS0_14default_configELb0EPKiPiPKlPlN2at6native12_GLOBAL__N_18offset_tEEE10hipError_tPvRmT1_PNSt15iterator_traitsIS12_E10value_typeET2_T3_PNS13_IS18_E10value_typeET4_jRbjT5_S1E_jjP12ihipStream_tbEUljE_ZNSN_ISO_Lb0ESQ_SR_ST_SU_SY_EESZ_S10_S11_S12_S16_S17_S18_S1B_S1C_jS1D_jS1E_S1E_jjS1G_bEUljE0_EEESZ_S10_S11_S18_S1C_S1E_T6_T7_T9_mT8_S1G_bDpT10_ENKUlT_T0_E_clISt17integral_constantIbLb0EES1T_IbLb1EEEEDaS1P_S1Q_EUlS1P_E_NS1_11comp_targetILNS1_3genE4ELNS1_11target_archE910ELNS1_3gpuE8ELNS1_3repE0EEENS1_30default_config_static_selectorELNS0_4arch9wavefront6targetE0EEEvS12_.num_agpr, 0
	.set _ZN7rocprim17ROCPRIM_400000_NS6detail17trampoline_kernelINS0_13select_configILj256ELj13ELNS0_17block_load_methodE3ELS4_3ELS4_3ELNS0_20block_scan_algorithmE0ELj4294967295EEENS1_25partition_config_selectorILNS1_17partition_subalgoE4EjNS0_10empty_typeEbEEZZNS1_14partition_implILS8_4ELb0ES6_15HIP_vector_typeIjLj2EENS0_17counting_iteratorIjlEEPS9_SG_NS0_5tupleIJPjSI_NS0_16reverse_iteratorISI_EEEEENSH_IJSG_SG_SG_EEES9_SI_JZNS1_25segmented_radix_sort_implINS0_14default_configELb0EPKiPiPKlPlN2at6native12_GLOBAL__N_18offset_tEEE10hipError_tPvRmT1_PNSt15iterator_traitsIS12_E10value_typeET2_T3_PNS13_IS18_E10value_typeET4_jRbjT5_S1E_jjP12ihipStream_tbEUljE_ZNSN_ISO_Lb0ESQ_SR_ST_SU_SY_EESZ_S10_S11_S12_S16_S17_S18_S1B_S1C_jS1D_jS1E_S1E_jjS1G_bEUljE0_EEESZ_S10_S11_S18_S1C_S1E_T6_T7_T9_mT8_S1G_bDpT10_ENKUlT_T0_E_clISt17integral_constantIbLb0EES1T_IbLb1EEEEDaS1P_S1Q_EUlS1P_E_NS1_11comp_targetILNS1_3genE4ELNS1_11target_archE910ELNS1_3gpuE8ELNS1_3repE0EEENS1_30default_config_static_selectorELNS0_4arch9wavefront6targetE0EEEvS12_.numbered_sgpr, 0
	.set _ZN7rocprim17ROCPRIM_400000_NS6detail17trampoline_kernelINS0_13select_configILj256ELj13ELNS0_17block_load_methodE3ELS4_3ELS4_3ELNS0_20block_scan_algorithmE0ELj4294967295EEENS1_25partition_config_selectorILNS1_17partition_subalgoE4EjNS0_10empty_typeEbEEZZNS1_14partition_implILS8_4ELb0ES6_15HIP_vector_typeIjLj2EENS0_17counting_iteratorIjlEEPS9_SG_NS0_5tupleIJPjSI_NS0_16reverse_iteratorISI_EEEEENSH_IJSG_SG_SG_EEES9_SI_JZNS1_25segmented_radix_sort_implINS0_14default_configELb0EPKiPiPKlPlN2at6native12_GLOBAL__N_18offset_tEEE10hipError_tPvRmT1_PNSt15iterator_traitsIS12_E10value_typeET2_T3_PNS13_IS18_E10value_typeET4_jRbjT5_S1E_jjP12ihipStream_tbEUljE_ZNSN_ISO_Lb0ESQ_SR_ST_SU_SY_EESZ_S10_S11_S12_S16_S17_S18_S1B_S1C_jS1D_jS1E_S1E_jjS1G_bEUljE0_EEESZ_S10_S11_S18_S1C_S1E_T6_T7_T9_mT8_S1G_bDpT10_ENKUlT_T0_E_clISt17integral_constantIbLb0EES1T_IbLb1EEEEDaS1P_S1Q_EUlS1P_E_NS1_11comp_targetILNS1_3genE4ELNS1_11target_archE910ELNS1_3gpuE8ELNS1_3repE0EEENS1_30default_config_static_selectorELNS0_4arch9wavefront6targetE0EEEvS12_.num_named_barrier, 0
	.set _ZN7rocprim17ROCPRIM_400000_NS6detail17trampoline_kernelINS0_13select_configILj256ELj13ELNS0_17block_load_methodE3ELS4_3ELS4_3ELNS0_20block_scan_algorithmE0ELj4294967295EEENS1_25partition_config_selectorILNS1_17partition_subalgoE4EjNS0_10empty_typeEbEEZZNS1_14partition_implILS8_4ELb0ES6_15HIP_vector_typeIjLj2EENS0_17counting_iteratorIjlEEPS9_SG_NS0_5tupleIJPjSI_NS0_16reverse_iteratorISI_EEEEENSH_IJSG_SG_SG_EEES9_SI_JZNS1_25segmented_radix_sort_implINS0_14default_configELb0EPKiPiPKlPlN2at6native12_GLOBAL__N_18offset_tEEE10hipError_tPvRmT1_PNSt15iterator_traitsIS12_E10value_typeET2_T3_PNS13_IS18_E10value_typeET4_jRbjT5_S1E_jjP12ihipStream_tbEUljE_ZNSN_ISO_Lb0ESQ_SR_ST_SU_SY_EESZ_S10_S11_S12_S16_S17_S18_S1B_S1C_jS1D_jS1E_S1E_jjS1G_bEUljE0_EEESZ_S10_S11_S18_S1C_S1E_T6_T7_T9_mT8_S1G_bDpT10_ENKUlT_T0_E_clISt17integral_constantIbLb0EES1T_IbLb1EEEEDaS1P_S1Q_EUlS1P_E_NS1_11comp_targetILNS1_3genE4ELNS1_11target_archE910ELNS1_3gpuE8ELNS1_3repE0EEENS1_30default_config_static_selectorELNS0_4arch9wavefront6targetE0EEEvS12_.private_seg_size, 0
	.set _ZN7rocprim17ROCPRIM_400000_NS6detail17trampoline_kernelINS0_13select_configILj256ELj13ELNS0_17block_load_methodE3ELS4_3ELS4_3ELNS0_20block_scan_algorithmE0ELj4294967295EEENS1_25partition_config_selectorILNS1_17partition_subalgoE4EjNS0_10empty_typeEbEEZZNS1_14partition_implILS8_4ELb0ES6_15HIP_vector_typeIjLj2EENS0_17counting_iteratorIjlEEPS9_SG_NS0_5tupleIJPjSI_NS0_16reverse_iteratorISI_EEEEENSH_IJSG_SG_SG_EEES9_SI_JZNS1_25segmented_radix_sort_implINS0_14default_configELb0EPKiPiPKlPlN2at6native12_GLOBAL__N_18offset_tEEE10hipError_tPvRmT1_PNSt15iterator_traitsIS12_E10value_typeET2_T3_PNS13_IS18_E10value_typeET4_jRbjT5_S1E_jjP12ihipStream_tbEUljE_ZNSN_ISO_Lb0ESQ_SR_ST_SU_SY_EESZ_S10_S11_S12_S16_S17_S18_S1B_S1C_jS1D_jS1E_S1E_jjS1G_bEUljE0_EEESZ_S10_S11_S18_S1C_S1E_T6_T7_T9_mT8_S1G_bDpT10_ENKUlT_T0_E_clISt17integral_constantIbLb0EES1T_IbLb1EEEEDaS1P_S1Q_EUlS1P_E_NS1_11comp_targetILNS1_3genE4ELNS1_11target_archE910ELNS1_3gpuE8ELNS1_3repE0EEENS1_30default_config_static_selectorELNS0_4arch9wavefront6targetE0EEEvS12_.uses_vcc, 0
	.set _ZN7rocprim17ROCPRIM_400000_NS6detail17trampoline_kernelINS0_13select_configILj256ELj13ELNS0_17block_load_methodE3ELS4_3ELS4_3ELNS0_20block_scan_algorithmE0ELj4294967295EEENS1_25partition_config_selectorILNS1_17partition_subalgoE4EjNS0_10empty_typeEbEEZZNS1_14partition_implILS8_4ELb0ES6_15HIP_vector_typeIjLj2EENS0_17counting_iteratorIjlEEPS9_SG_NS0_5tupleIJPjSI_NS0_16reverse_iteratorISI_EEEEENSH_IJSG_SG_SG_EEES9_SI_JZNS1_25segmented_radix_sort_implINS0_14default_configELb0EPKiPiPKlPlN2at6native12_GLOBAL__N_18offset_tEEE10hipError_tPvRmT1_PNSt15iterator_traitsIS12_E10value_typeET2_T3_PNS13_IS18_E10value_typeET4_jRbjT5_S1E_jjP12ihipStream_tbEUljE_ZNSN_ISO_Lb0ESQ_SR_ST_SU_SY_EESZ_S10_S11_S12_S16_S17_S18_S1B_S1C_jS1D_jS1E_S1E_jjS1G_bEUljE0_EEESZ_S10_S11_S18_S1C_S1E_T6_T7_T9_mT8_S1G_bDpT10_ENKUlT_T0_E_clISt17integral_constantIbLb0EES1T_IbLb1EEEEDaS1P_S1Q_EUlS1P_E_NS1_11comp_targetILNS1_3genE4ELNS1_11target_archE910ELNS1_3gpuE8ELNS1_3repE0EEENS1_30default_config_static_selectorELNS0_4arch9wavefront6targetE0EEEvS12_.uses_flat_scratch, 0
	.set _ZN7rocprim17ROCPRIM_400000_NS6detail17trampoline_kernelINS0_13select_configILj256ELj13ELNS0_17block_load_methodE3ELS4_3ELS4_3ELNS0_20block_scan_algorithmE0ELj4294967295EEENS1_25partition_config_selectorILNS1_17partition_subalgoE4EjNS0_10empty_typeEbEEZZNS1_14partition_implILS8_4ELb0ES6_15HIP_vector_typeIjLj2EENS0_17counting_iteratorIjlEEPS9_SG_NS0_5tupleIJPjSI_NS0_16reverse_iteratorISI_EEEEENSH_IJSG_SG_SG_EEES9_SI_JZNS1_25segmented_radix_sort_implINS0_14default_configELb0EPKiPiPKlPlN2at6native12_GLOBAL__N_18offset_tEEE10hipError_tPvRmT1_PNSt15iterator_traitsIS12_E10value_typeET2_T3_PNS13_IS18_E10value_typeET4_jRbjT5_S1E_jjP12ihipStream_tbEUljE_ZNSN_ISO_Lb0ESQ_SR_ST_SU_SY_EESZ_S10_S11_S12_S16_S17_S18_S1B_S1C_jS1D_jS1E_S1E_jjS1G_bEUljE0_EEESZ_S10_S11_S18_S1C_S1E_T6_T7_T9_mT8_S1G_bDpT10_ENKUlT_T0_E_clISt17integral_constantIbLb0EES1T_IbLb1EEEEDaS1P_S1Q_EUlS1P_E_NS1_11comp_targetILNS1_3genE4ELNS1_11target_archE910ELNS1_3gpuE8ELNS1_3repE0EEENS1_30default_config_static_selectorELNS0_4arch9wavefront6targetE0EEEvS12_.has_dyn_sized_stack, 0
	.set _ZN7rocprim17ROCPRIM_400000_NS6detail17trampoline_kernelINS0_13select_configILj256ELj13ELNS0_17block_load_methodE3ELS4_3ELS4_3ELNS0_20block_scan_algorithmE0ELj4294967295EEENS1_25partition_config_selectorILNS1_17partition_subalgoE4EjNS0_10empty_typeEbEEZZNS1_14partition_implILS8_4ELb0ES6_15HIP_vector_typeIjLj2EENS0_17counting_iteratorIjlEEPS9_SG_NS0_5tupleIJPjSI_NS0_16reverse_iteratorISI_EEEEENSH_IJSG_SG_SG_EEES9_SI_JZNS1_25segmented_radix_sort_implINS0_14default_configELb0EPKiPiPKlPlN2at6native12_GLOBAL__N_18offset_tEEE10hipError_tPvRmT1_PNSt15iterator_traitsIS12_E10value_typeET2_T3_PNS13_IS18_E10value_typeET4_jRbjT5_S1E_jjP12ihipStream_tbEUljE_ZNSN_ISO_Lb0ESQ_SR_ST_SU_SY_EESZ_S10_S11_S12_S16_S17_S18_S1B_S1C_jS1D_jS1E_S1E_jjS1G_bEUljE0_EEESZ_S10_S11_S18_S1C_S1E_T6_T7_T9_mT8_S1G_bDpT10_ENKUlT_T0_E_clISt17integral_constantIbLb0EES1T_IbLb1EEEEDaS1P_S1Q_EUlS1P_E_NS1_11comp_targetILNS1_3genE4ELNS1_11target_archE910ELNS1_3gpuE8ELNS1_3repE0EEENS1_30default_config_static_selectorELNS0_4arch9wavefront6targetE0EEEvS12_.has_recursion, 0
	.set _ZN7rocprim17ROCPRIM_400000_NS6detail17trampoline_kernelINS0_13select_configILj256ELj13ELNS0_17block_load_methodE3ELS4_3ELS4_3ELNS0_20block_scan_algorithmE0ELj4294967295EEENS1_25partition_config_selectorILNS1_17partition_subalgoE4EjNS0_10empty_typeEbEEZZNS1_14partition_implILS8_4ELb0ES6_15HIP_vector_typeIjLj2EENS0_17counting_iteratorIjlEEPS9_SG_NS0_5tupleIJPjSI_NS0_16reverse_iteratorISI_EEEEENSH_IJSG_SG_SG_EEES9_SI_JZNS1_25segmented_radix_sort_implINS0_14default_configELb0EPKiPiPKlPlN2at6native12_GLOBAL__N_18offset_tEEE10hipError_tPvRmT1_PNSt15iterator_traitsIS12_E10value_typeET2_T3_PNS13_IS18_E10value_typeET4_jRbjT5_S1E_jjP12ihipStream_tbEUljE_ZNSN_ISO_Lb0ESQ_SR_ST_SU_SY_EESZ_S10_S11_S12_S16_S17_S18_S1B_S1C_jS1D_jS1E_S1E_jjS1G_bEUljE0_EEESZ_S10_S11_S18_S1C_S1E_T6_T7_T9_mT8_S1G_bDpT10_ENKUlT_T0_E_clISt17integral_constantIbLb0EES1T_IbLb1EEEEDaS1P_S1Q_EUlS1P_E_NS1_11comp_targetILNS1_3genE4ELNS1_11target_archE910ELNS1_3gpuE8ELNS1_3repE0EEENS1_30default_config_static_selectorELNS0_4arch9wavefront6targetE0EEEvS12_.has_indirect_call, 0
	.section	.AMDGPU.csdata,"",@progbits
; Kernel info:
; codeLenInByte = 0
; TotalNumSgprs: 0
; NumVgprs: 0
; ScratchSize: 0
; MemoryBound: 0
; FloatMode: 240
; IeeeMode: 1
; LDSByteSize: 0 bytes/workgroup (compile time only)
; SGPRBlocks: 0
; VGPRBlocks: 0
; NumSGPRsForWavesPerEU: 1
; NumVGPRsForWavesPerEU: 1
; Occupancy: 16
; WaveLimiterHint : 0
; COMPUTE_PGM_RSRC2:SCRATCH_EN: 0
; COMPUTE_PGM_RSRC2:USER_SGPR: 2
; COMPUTE_PGM_RSRC2:TRAP_HANDLER: 0
; COMPUTE_PGM_RSRC2:TGID_X_EN: 1
; COMPUTE_PGM_RSRC2:TGID_Y_EN: 0
; COMPUTE_PGM_RSRC2:TGID_Z_EN: 0
; COMPUTE_PGM_RSRC2:TIDIG_COMP_CNT: 0
	.section	.text._ZN7rocprim17ROCPRIM_400000_NS6detail17trampoline_kernelINS0_13select_configILj256ELj13ELNS0_17block_load_methodE3ELS4_3ELS4_3ELNS0_20block_scan_algorithmE0ELj4294967295EEENS1_25partition_config_selectorILNS1_17partition_subalgoE4EjNS0_10empty_typeEbEEZZNS1_14partition_implILS8_4ELb0ES6_15HIP_vector_typeIjLj2EENS0_17counting_iteratorIjlEEPS9_SG_NS0_5tupleIJPjSI_NS0_16reverse_iteratorISI_EEEEENSH_IJSG_SG_SG_EEES9_SI_JZNS1_25segmented_radix_sort_implINS0_14default_configELb0EPKiPiPKlPlN2at6native12_GLOBAL__N_18offset_tEEE10hipError_tPvRmT1_PNSt15iterator_traitsIS12_E10value_typeET2_T3_PNS13_IS18_E10value_typeET4_jRbjT5_S1E_jjP12ihipStream_tbEUljE_ZNSN_ISO_Lb0ESQ_SR_ST_SU_SY_EESZ_S10_S11_S12_S16_S17_S18_S1B_S1C_jS1D_jS1E_S1E_jjS1G_bEUljE0_EEESZ_S10_S11_S18_S1C_S1E_T6_T7_T9_mT8_S1G_bDpT10_ENKUlT_T0_E_clISt17integral_constantIbLb0EES1T_IbLb1EEEEDaS1P_S1Q_EUlS1P_E_NS1_11comp_targetILNS1_3genE3ELNS1_11target_archE908ELNS1_3gpuE7ELNS1_3repE0EEENS1_30default_config_static_selectorELNS0_4arch9wavefront6targetE0EEEvS12_,"axG",@progbits,_ZN7rocprim17ROCPRIM_400000_NS6detail17trampoline_kernelINS0_13select_configILj256ELj13ELNS0_17block_load_methodE3ELS4_3ELS4_3ELNS0_20block_scan_algorithmE0ELj4294967295EEENS1_25partition_config_selectorILNS1_17partition_subalgoE4EjNS0_10empty_typeEbEEZZNS1_14partition_implILS8_4ELb0ES6_15HIP_vector_typeIjLj2EENS0_17counting_iteratorIjlEEPS9_SG_NS0_5tupleIJPjSI_NS0_16reverse_iteratorISI_EEEEENSH_IJSG_SG_SG_EEES9_SI_JZNS1_25segmented_radix_sort_implINS0_14default_configELb0EPKiPiPKlPlN2at6native12_GLOBAL__N_18offset_tEEE10hipError_tPvRmT1_PNSt15iterator_traitsIS12_E10value_typeET2_T3_PNS13_IS18_E10value_typeET4_jRbjT5_S1E_jjP12ihipStream_tbEUljE_ZNSN_ISO_Lb0ESQ_SR_ST_SU_SY_EESZ_S10_S11_S12_S16_S17_S18_S1B_S1C_jS1D_jS1E_S1E_jjS1G_bEUljE0_EEESZ_S10_S11_S18_S1C_S1E_T6_T7_T9_mT8_S1G_bDpT10_ENKUlT_T0_E_clISt17integral_constantIbLb0EES1T_IbLb1EEEEDaS1P_S1Q_EUlS1P_E_NS1_11comp_targetILNS1_3genE3ELNS1_11target_archE908ELNS1_3gpuE7ELNS1_3repE0EEENS1_30default_config_static_selectorELNS0_4arch9wavefront6targetE0EEEvS12_,comdat
	.globl	_ZN7rocprim17ROCPRIM_400000_NS6detail17trampoline_kernelINS0_13select_configILj256ELj13ELNS0_17block_load_methodE3ELS4_3ELS4_3ELNS0_20block_scan_algorithmE0ELj4294967295EEENS1_25partition_config_selectorILNS1_17partition_subalgoE4EjNS0_10empty_typeEbEEZZNS1_14partition_implILS8_4ELb0ES6_15HIP_vector_typeIjLj2EENS0_17counting_iteratorIjlEEPS9_SG_NS0_5tupleIJPjSI_NS0_16reverse_iteratorISI_EEEEENSH_IJSG_SG_SG_EEES9_SI_JZNS1_25segmented_radix_sort_implINS0_14default_configELb0EPKiPiPKlPlN2at6native12_GLOBAL__N_18offset_tEEE10hipError_tPvRmT1_PNSt15iterator_traitsIS12_E10value_typeET2_T3_PNS13_IS18_E10value_typeET4_jRbjT5_S1E_jjP12ihipStream_tbEUljE_ZNSN_ISO_Lb0ESQ_SR_ST_SU_SY_EESZ_S10_S11_S12_S16_S17_S18_S1B_S1C_jS1D_jS1E_S1E_jjS1G_bEUljE0_EEESZ_S10_S11_S18_S1C_S1E_T6_T7_T9_mT8_S1G_bDpT10_ENKUlT_T0_E_clISt17integral_constantIbLb0EES1T_IbLb1EEEEDaS1P_S1Q_EUlS1P_E_NS1_11comp_targetILNS1_3genE3ELNS1_11target_archE908ELNS1_3gpuE7ELNS1_3repE0EEENS1_30default_config_static_selectorELNS0_4arch9wavefront6targetE0EEEvS12_ ; -- Begin function _ZN7rocprim17ROCPRIM_400000_NS6detail17trampoline_kernelINS0_13select_configILj256ELj13ELNS0_17block_load_methodE3ELS4_3ELS4_3ELNS0_20block_scan_algorithmE0ELj4294967295EEENS1_25partition_config_selectorILNS1_17partition_subalgoE4EjNS0_10empty_typeEbEEZZNS1_14partition_implILS8_4ELb0ES6_15HIP_vector_typeIjLj2EENS0_17counting_iteratorIjlEEPS9_SG_NS0_5tupleIJPjSI_NS0_16reverse_iteratorISI_EEEEENSH_IJSG_SG_SG_EEES9_SI_JZNS1_25segmented_radix_sort_implINS0_14default_configELb0EPKiPiPKlPlN2at6native12_GLOBAL__N_18offset_tEEE10hipError_tPvRmT1_PNSt15iterator_traitsIS12_E10value_typeET2_T3_PNS13_IS18_E10value_typeET4_jRbjT5_S1E_jjP12ihipStream_tbEUljE_ZNSN_ISO_Lb0ESQ_SR_ST_SU_SY_EESZ_S10_S11_S12_S16_S17_S18_S1B_S1C_jS1D_jS1E_S1E_jjS1G_bEUljE0_EEESZ_S10_S11_S18_S1C_S1E_T6_T7_T9_mT8_S1G_bDpT10_ENKUlT_T0_E_clISt17integral_constantIbLb0EES1T_IbLb1EEEEDaS1P_S1Q_EUlS1P_E_NS1_11comp_targetILNS1_3genE3ELNS1_11target_archE908ELNS1_3gpuE7ELNS1_3repE0EEENS1_30default_config_static_selectorELNS0_4arch9wavefront6targetE0EEEvS12_
	.p2align	8
	.type	_ZN7rocprim17ROCPRIM_400000_NS6detail17trampoline_kernelINS0_13select_configILj256ELj13ELNS0_17block_load_methodE3ELS4_3ELS4_3ELNS0_20block_scan_algorithmE0ELj4294967295EEENS1_25partition_config_selectorILNS1_17partition_subalgoE4EjNS0_10empty_typeEbEEZZNS1_14partition_implILS8_4ELb0ES6_15HIP_vector_typeIjLj2EENS0_17counting_iteratorIjlEEPS9_SG_NS0_5tupleIJPjSI_NS0_16reverse_iteratorISI_EEEEENSH_IJSG_SG_SG_EEES9_SI_JZNS1_25segmented_radix_sort_implINS0_14default_configELb0EPKiPiPKlPlN2at6native12_GLOBAL__N_18offset_tEEE10hipError_tPvRmT1_PNSt15iterator_traitsIS12_E10value_typeET2_T3_PNS13_IS18_E10value_typeET4_jRbjT5_S1E_jjP12ihipStream_tbEUljE_ZNSN_ISO_Lb0ESQ_SR_ST_SU_SY_EESZ_S10_S11_S12_S16_S17_S18_S1B_S1C_jS1D_jS1E_S1E_jjS1G_bEUljE0_EEESZ_S10_S11_S18_S1C_S1E_T6_T7_T9_mT8_S1G_bDpT10_ENKUlT_T0_E_clISt17integral_constantIbLb0EES1T_IbLb1EEEEDaS1P_S1Q_EUlS1P_E_NS1_11comp_targetILNS1_3genE3ELNS1_11target_archE908ELNS1_3gpuE7ELNS1_3repE0EEENS1_30default_config_static_selectorELNS0_4arch9wavefront6targetE0EEEvS12_,@function
_ZN7rocprim17ROCPRIM_400000_NS6detail17trampoline_kernelINS0_13select_configILj256ELj13ELNS0_17block_load_methodE3ELS4_3ELS4_3ELNS0_20block_scan_algorithmE0ELj4294967295EEENS1_25partition_config_selectorILNS1_17partition_subalgoE4EjNS0_10empty_typeEbEEZZNS1_14partition_implILS8_4ELb0ES6_15HIP_vector_typeIjLj2EENS0_17counting_iteratorIjlEEPS9_SG_NS0_5tupleIJPjSI_NS0_16reverse_iteratorISI_EEEEENSH_IJSG_SG_SG_EEES9_SI_JZNS1_25segmented_radix_sort_implINS0_14default_configELb0EPKiPiPKlPlN2at6native12_GLOBAL__N_18offset_tEEE10hipError_tPvRmT1_PNSt15iterator_traitsIS12_E10value_typeET2_T3_PNS13_IS18_E10value_typeET4_jRbjT5_S1E_jjP12ihipStream_tbEUljE_ZNSN_ISO_Lb0ESQ_SR_ST_SU_SY_EESZ_S10_S11_S12_S16_S17_S18_S1B_S1C_jS1D_jS1E_S1E_jjS1G_bEUljE0_EEESZ_S10_S11_S18_S1C_S1E_T6_T7_T9_mT8_S1G_bDpT10_ENKUlT_T0_E_clISt17integral_constantIbLb0EES1T_IbLb1EEEEDaS1P_S1Q_EUlS1P_E_NS1_11comp_targetILNS1_3genE3ELNS1_11target_archE908ELNS1_3gpuE7ELNS1_3repE0EEENS1_30default_config_static_selectorELNS0_4arch9wavefront6targetE0EEEvS12_: ; @_ZN7rocprim17ROCPRIM_400000_NS6detail17trampoline_kernelINS0_13select_configILj256ELj13ELNS0_17block_load_methodE3ELS4_3ELS4_3ELNS0_20block_scan_algorithmE0ELj4294967295EEENS1_25partition_config_selectorILNS1_17partition_subalgoE4EjNS0_10empty_typeEbEEZZNS1_14partition_implILS8_4ELb0ES6_15HIP_vector_typeIjLj2EENS0_17counting_iteratorIjlEEPS9_SG_NS0_5tupleIJPjSI_NS0_16reverse_iteratorISI_EEEEENSH_IJSG_SG_SG_EEES9_SI_JZNS1_25segmented_radix_sort_implINS0_14default_configELb0EPKiPiPKlPlN2at6native12_GLOBAL__N_18offset_tEEE10hipError_tPvRmT1_PNSt15iterator_traitsIS12_E10value_typeET2_T3_PNS13_IS18_E10value_typeET4_jRbjT5_S1E_jjP12ihipStream_tbEUljE_ZNSN_ISO_Lb0ESQ_SR_ST_SU_SY_EESZ_S10_S11_S12_S16_S17_S18_S1B_S1C_jS1D_jS1E_S1E_jjS1G_bEUljE0_EEESZ_S10_S11_S18_S1C_S1E_T6_T7_T9_mT8_S1G_bDpT10_ENKUlT_T0_E_clISt17integral_constantIbLb0EES1T_IbLb1EEEEDaS1P_S1Q_EUlS1P_E_NS1_11comp_targetILNS1_3genE3ELNS1_11target_archE908ELNS1_3gpuE7ELNS1_3repE0EEENS1_30default_config_static_selectorELNS0_4arch9wavefront6targetE0EEEvS12_
; %bb.0:
	.section	.rodata,"a",@progbits
	.p2align	6, 0x0
	.amdhsa_kernel _ZN7rocprim17ROCPRIM_400000_NS6detail17trampoline_kernelINS0_13select_configILj256ELj13ELNS0_17block_load_methodE3ELS4_3ELS4_3ELNS0_20block_scan_algorithmE0ELj4294967295EEENS1_25partition_config_selectorILNS1_17partition_subalgoE4EjNS0_10empty_typeEbEEZZNS1_14partition_implILS8_4ELb0ES6_15HIP_vector_typeIjLj2EENS0_17counting_iteratorIjlEEPS9_SG_NS0_5tupleIJPjSI_NS0_16reverse_iteratorISI_EEEEENSH_IJSG_SG_SG_EEES9_SI_JZNS1_25segmented_radix_sort_implINS0_14default_configELb0EPKiPiPKlPlN2at6native12_GLOBAL__N_18offset_tEEE10hipError_tPvRmT1_PNSt15iterator_traitsIS12_E10value_typeET2_T3_PNS13_IS18_E10value_typeET4_jRbjT5_S1E_jjP12ihipStream_tbEUljE_ZNSN_ISO_Lb0ESQ_SR_ST_SU_SY_EESZ_S10_S11_S12_S16_S17_S18_S1B_S1C_jS1D_jS1E_S1E_jjS1G_bEUljE0_EEESZ_S10_S11_S18_S1C_S1E_T6_T7_T9_mT8_S1G_bDpT10_ENKUlT_T0_E_clISt17integral_constantIbLb0EES1T_IbLb1EEEEDaS1P_S1Q_EUlS1P_E_NS1_11comp_targetILNS1_3genE3ELNS1_11target_archE908ELNS1_3gpuE7ELNS1_3repE0EEENS1_30default_config_static_selectorELNS0_4arch9wavefront6targetE0EEEvS12_
		.amdhsa_group_segment_fixed_size 0
		.amdhsa_private_segment_fixed_size 0
		.amdhsa_kernarg_size 184
		.amdhsa_user_sgpr_count 2
		.amdhsa_user_sgpr_dispatch_ptr 0
		.amdhsa_user_sgpr_queue_ptr 0
		.amdhsa_user_sgpr_kernarg_segment_ptr 1
		.amdhsa_user_sgpr_dispatch_id 0
		.amdhsa_user_sgpr_private_segment_size 0
		.amdhsa_wavefront_size32 1
		.amdhsa_uses_dynamic_stack 0
		.amdhsa_enable_private_segment 0
		.amdhsa_system_sgpr_workgroup_id_x 1
		.amdhsa_system_sgpr_workgroup_id_y 0
		.amdhsa_system_sgpr_workgroup_id_z 0
		.amdhsa_system_sgpr_workgroup_info 0
		.amdhsa_system_vgpr_workitem_id 0
		.amdhsa_next_free_vgpr 1
		.amdhsa_next_free_sgpr 1
		.amdhsa_reserve_vcc 0
		.amdhsa_float_round_mode_32 0
		.amdhsa_float_round_mode_16_64 0
		.amdhsa_float_denorm_mode_32 3
		.amdhsa_float_denorm_mode_16_64 3
		.amdhsa_fp16_overflow 0
		.amdhsa_workgroup_processor_mode 1
		.amdhsa_memory_ordered 1
		.amdhsa_forward_progress 1
		.amdhsa_inst_pref_size 0
		.amdhsa_round_robin_scheduling 0
		.amdhsa_exception_fp_ieee_invalid_op 0
		.amdhsa_exception_fp_denorm_src 0
		.amdhsa_exception_fp_ieee_div_zero 0
		.amdhsa_exception_fp_ieee_overflow 0
		.amdhsa_exception_fp_ieee_underflow 0
		.amdhsa_exception_fp_ieee_inexact 0
		.amdhsa_exception_int_div_zero 0
	.end_amdhsa_kernel
	.section	.text._ZN7rocprim17ROCPRIM_400000_NS6detail17trampoline_kernelINS0_13select_configILj256ELj13ELNS0_17block_load_methodE3ELS4_3ELS4_3ELNS0_20block_scan_algorithmE0ELj4294967295EEENS1_25partition_config_selectorILNS1_17partition_subalgoE4EjNS0_10empty_typeEbEEZZNS1_14partition_implILS8_4ELb0ES6_15HIP_vector_typeIjLj2EENS0_17counting_iteratorIjlEEPS9_SG_NS0_5tupleIJPjSI_NS0_16reverse_iteratorISI_EEEEENSH_IJSG_SG_SG_EEES9_SI_JZNS1_25segmented_radix_sort_implINS0_14default_configELb0EPKiPiPKlPlN2at6native12_GLOBAL__N_18offset_tEEE10hipError_tPvRmT1_PNSt15iterator_traitsIS12_E10value_typeET2_T3_PNS13_IS18_E10value_typeET4_jRbjT5_S1E_jjP12ihipStream_tbEUljE_ZNSN_ISO_Lb0ESQ_SR_ST_SU_SY_EESZ_S10_S11_S12_S16_S17_S18_S1B_S1C_jS1D_jS1E_S1E_jjS1G_bEUljE0_EEESZ_S10_S11_S18_S1C_S1E_T6_T7_T9_mT8_S1G_bDpT10_ENKUlT_T0_E_clISt17integral_constantIbLb0EES1T_IbLb1EEEEDaS1P_S1Q_EUlS1P_E_NS1_11comp_targetILNS1_3genE3ELNS1_11target_archE908ELNS1_3gpuE7ELNS1_3repE0EEENS1_30default_config_static_selectorELNS0_4arch9wavefront6targetE0EEEvS12_,"axG",@progbits,_ZN7rocprim17ROCPRIM_400000_NS6detail17trampoline_kernelINS0_13select_configILj256ELj13ELNS0_17block_load_methodE3ELS4_3ELS4_3ELNS0_20block_scan_algorithmE0ELj4294967295EEENS1_25partition_config_selectorILNS1_17partition_subalgoE4EjNS0_10empty_typeEbEEZZNS1_14partition_implILS8_4ELb0ES6_15HIP_vector_typeIjLj2EENS0_17counting_iteratorIjlEEPS9_SG_NS0_5tupleIJPjSI_NS0_16reverse_iteratorISI_EEEEENSH_IJSG_SG_SG_EEES9_SI_JZNS1_25segmented_radix_sort_implINS0_14default_configELb0EPKiPiPKlPlN2at6native12_GLOBAL__N_18offset_tEEE10hipError_tPvRmT1_PNSt15iterator_traitsIS12_E10value_typeET2_T3_PNS13_IS18_E10value_typeET4_jRbjT5_S1E_jjP12ihipStream_tbEUljE_ZNSN_ISO_Lb0ESQ_SR_ST_SU_SY_EESZ_S10_S11_S12_S16_S17_S18_S1B_S1C_jS1D_jS1E_S1E_jjS1G_bEUljE0_EEESZ_S10_S11_S18_S1C_S1E_T6_T7_T9_mT8_S1G_bDpT10_ENKUlT_T0_E_clISt17integral_constantIbLb0EES1T_IbLb1EEEEDaS1P_S1Q_EUlS1P_E_NS1_11comp_targetILNS1_3genE3ELNS1_11target_archE908ELNS1_3gpuE7ELNS1_3repE0EEENS1_30default_config_static_selectorELNS0_4arch9wavefront6targetE0EEEvS12_,comdat
.Lfunc_end563:
	.size	_ZN7rocprim17ROCPRIM_400000_NS6detail17trampoline_kernelINS0_13select_configILj256ELj13ELNS0_17block_load_methodE3ELS4_3ELS4_3ELNS0_20block_scan_algorithmE0ELj4294967295EEENS1_25partition_config_selectorILNS1_17partition_subalgoE4EjNS0_10empty_typeEbEEZZNS1_14partition_implILS8_4ELb0ES6_15HIP_vector_typeIjLj2EENS0_17counting_iteratorIjlEEPS9_SG_NS0_5tupleIJPjSI_NS0_16reverse_iteratorISI_EEEEENSH_IJSG_SG_SG_EEES9_SI_JZNS1_25segmented_radix_sort_implINS0_14default_configELb0EPKiPiPKlPlN2at6native12_GLOBAL__N_18offset_tEEE10hipError_tPvRmT1_PNSt15iterator_traitsIS12_E10value_typeET2_T3_PNS13_IS18_E10value_typeET4_jRbjT5_S1E_jjP12ihipStream_tbEUljE_ZNSN_ISO_Lb0ESQ_SR_ST_SU_SY_EESZ_S10_S11_S12_S16_S17_S18_S1B_S1C_jS1D_jS1E_S1E_jjS1G_bEUljE0_EEESZ_S10_S11_S18_S1C_S1E_T6_T7_T9_mT8_S1G_bDpT10_ENKUlT_T0_E_clISt17integral_constantIbLb0EES1T_IbLb1EEEEDaS1P_S1Q_EUlS1P_E_NS1_11comp_targetILNS1_3genE3ELNS1_11target_archE908ELNS1_3gpuE7ELNS1_3repE0EEENS1_30default_config_static_selectorELNS0_4arch9wavefront6targetE0EEEvS12_, .Lfunc_end563-_ZN7rocprim17ROCPRIM_400000_NS6detail17trampoline_kernelINS0_13select_configILj256ELj13ELNS0_17block_load_methodE3ELS4_3ELS4_3ELNS0_20block_scan_algorithmE0ELj4294967295EEENS1_25partition_config_selectorILNS1_17partition_subalgoE4EjNS0_10empty_typeEbEEZZNS1_14partition_implILS8_4ELb0ES6_15HIP_vector_typeIjLj2EENS0_17counting_iteratorIjlEEPS9_SG_NS0_5tupleIJPjSI_NS0_16reverse_iteratorISI_EEEEENSH_IJSG_SG_SG_EEES9_SI_JZNS1_25segmented_radix_sort_implINS0_14default_configELb0EPKiPiPKlPlN2at6native12_GLOBAL__N_18offset_tEEE10hipError_tPvRmT1_PNSt15iterator_traitsIS12_E10value_typeET2_T3_PNS13_IS18_E10value_typeET4_jRbjT5_S1E_jjP12ihipStream_tbEUljE_ZNSN_ISO_Lb0ESQ_SR_ST_SU_SY_EESZ_S10_S11_S12_S16_S17_S18_S1B_S1C_jS1D_jS1E_S1E_jjS1G_bEUljE0_EEESZ_S10_S11_S18_S1C_S1E_T6_T7_T9_mT8_S1G_bDpT10_ENKUlT_T0_E_clISt17integral_constantIbLb0EES1T_IbLb1EEEEDaS1P_S1Q_EUlS1P_E_NS1_11comp_targetILNS1_3genE3ELNS1_11target_archE908ELNS1_3gpuE7ELNS1_3repE0EEENS1_30default_config_static_selectorELNS0_4arch9wavefront6targetE0EEEvS12_
                                        ; -- End function
	.set _ZN7rocprim17ROCPRIM_400000_NS6detail17trampoline_kernelINS0_13select_configILj256ELj13ELNS0_17block_load_methodE3ELS4_3ELS4_3ELNS0_20block_scan_algorithmE0ELj4294967295EEENS1_25partition_config_selectorILNS1_17partition_subalgoE4EjNS0_10empty_typeEbEEZZNS1_14partition_implILS8_4ELb0ES6_15HIP_vector_typeIjLj2EENS0_17counting_iteratorIjlEEPS9_SG_NS0_5tupleIJPjSI_NS0_16reverse_iteratorISI_EEEEENSH_IJSG_SG_SG_EEES9_SI_JZNS1_25segmented_radix_sort_implINS0_14default_configELb0EPKiPiPKlPlN2at6native12_GLOBAL__N_18offset_tEEE10hipError_tPvRmT1_PNSt15iterator_traitsIS12_E10value_typeET2_T3_PNS13_IS18_E10value_typeET4_jRbjT5_S1E_jjP12ihipStream_tbEUljE_ZNSN_ISO_Lb0ESQ_SR_ST_SU_SY_EESZ_S10_S11_S12_S16_S17_S18_S1B_S1C_jS1D_jS1E_S1E_jjS1G_bEUljE0_EEESZ_S10_S11_S18_S1C_S1E_T6_T7_T9_mT8_S1G_bDpT10_ENKUlT_T0_E_clISt17integral_constantIbLb0EES1T_IbLb1EEEEDaS1P_S1Q_EUlS1P_E_NS1_11comp_targetILNS1_3genE3ELNS1_11target_archE908ELNS1_3gpuE7ELNS1_3repE0EEENS1_30default_config_static_selectorELNS0_4arch9wavefront6targetE0EEEvS12_.num_vgpr, 0
	.set _ZN7rocprim17ROCPRIM_400000_NS6detail17trampoline_kernelINS0_13select_configILj256ELj13ELNS0_17block_load_methodE3ELS4_3ELS4_3ELNS0_20block_scan_algorithmE0ELj4294967295EEENS1_25partition_config_selectorILNS1_17partition_subalgoE4EjNS0_10empty_typeEbEEZZNS1_14partition_implILS8_4ELb0ES6_15HIP_vector_typeIjLj2EENS0_17counting_iteratorIjlEEPS9_SG_NS0_5tupleIJPjSI_NS0_16reverse_iteratorISI_EEEEENSH_IJSG_SG_SG_EEES9_SI_JZNS1_25segmented_radix_sort_implINS0_14default_configELb0EPKiPiPKlPlN2at6native12_GLOBAL__N_18offset_tEEE10hipError_tPvRmT1_PNSt15iterator_traitsIS12_E10value_typeET2_T3_PNS13_IS18_E10value_typeET4_jRbjT5_S1E_jjP12ihipStream_tbEUljE_ZNSN_ISO_Lb0ESQ_SR_ST_SU_SY_EESZ_S10_S11_S12_S16_S17_S18_S1B_S1C_jS1D_jS1E_S1E_jjS1G_bEUljE0_EEESZ_S10_S11_S18_S1C_S1E_T6_T7_T9_mT8_S1G_bDpT10_ENKUlT_T0_E_clISt17integral_constantIbLb0EES1T_IbLb1EEEEDaS1P_S1Q_EUlS1P_E_NS1_11comp_targetILNS1_3genE3ELNS1_11target_archE908ELNS1_3gpuE7ELNS1_3repE0EEENS1_30default_config_static_selectorELNS0_4arch9wavefront6targetE0EEEvS12_.num_agpr, 0
	.set _ZN7rocprim17ROCPRIM_400000_NS6detail17trampoline_kernelINS0_13select_configILj256ELj13ELNS0_17block_load_methodE3ELS4_3ELS4_3ELNS0_20block_scan_algorithmE0ELj4294967295EEENS1_25partition_config_selectorILNS1_17partition_subalgoE4EjNS0_10empty_typeEbEEZZNS1_14partition_implILS8_4ELb0ES6_15HIP_vector_typeIjLj2EENS0_17counting_iteratorIjlEEPS9_SG_NS0_5tupleIJPjSI_NS0_16reverse_iteratorISI_EEEEENSH_IJSG_SG_SG_EEES9_SI_JZNS1_25segmented_radix_sort_implINS0_14default_configELb0EPKiPiPKlPlN2at6native12_GLOBAL__N_18offset_tEEE10hipError_tPvRmT1_PNSt15iterator_traitsIS12_E10value_typeET2_T3_PNS13_IS18_E10value_typeET4_jRbjT5_S1E_jjP12ihipStream_tbEUljE_ZNSN_ISO_Lb0ESQ_SR_ST_SU_SY_EESZ_S10_S11_S12_S16_S17_S18_S1B_S1C_jS1D_jS1E_S1E_jjS1G_bEUljE0_EEESZ_S10_S11_S18_S1C_S1E_T6_T7_T9_mT8_S1G_bDpT10_ENKUlT_T0_E_clISt17integral_constantIbLb0EES1T_IbLb1EEEEDaS1P_S1Q_EUlS1P_E_NS1_11comp_targetILNS1_3genE3ELNS1_11target_archE908ELNS1_3gpuE7ELNS1_3repE0EEENS1_30default_config_static_selectorELNS0_4arch9wavefront6targetE0EEEvS12_.numbered_sgpr, 0
	.set _ZN7rocprim17ROCPRIM_400000_NS6detail17trampoline_kernelINS0_13select_configILj256ELj13ELNS0_17block_load_methodE3ELS4_3ELS4_3ELNS0_20block_scan_algorithmE0ELj4294967295EEENS1_25partition_config_selectorILNS1_17partition_subalgoE4EjNS0_10empty_typeEbEEZZNS1_14partition_implILS8_4ELb0ES6_15HIP_vector_typeIjLj2EENS0_17counting_iteratorIjlEEPS9_SG_NS0_5tupleIJPjSI_NS0_16reverse_iteratorISI_EEEEENSH_IJSG_SG_SG_EEES9_SI_JZNS1_25segmented_radix_sort_implINS0_14default_configELb0EPKiPiPKlPlN2at6native12_GLOBAL__N_18offset_tEEE10hipError_tPvRmT1_PNSt15iterator_traitsIS12_E10value_typeET2_T3_PNS13_IS18_E10value_typeET4_jRbjT5_S1E_jjP12ihipStream_tbEUljE_ZNSN_ISO_Lb0ESQ_SR_ST_SU_SY_EESZ_S10_S11_S12_S16_S17_S18_S1B_S1C_jS1D_jS1E_S1E_jjS1G_bEUljE0_EEESZ_S10_S11_S18_S1C_S1E_T6_T7_T9_mT8_S1G_bDpT10_ENKUlT_T0_E_clISt17integral_constantIbLb0EES1T_IbLb1EEEEDaS1P_S1Q_EUlS1P_E_NS1_11comp_targetILNS1_3genE3ELNS1_11target_archE908ELNS1_3gpuE7ELNS1_3repE0EEENS1_30default_config_static_selectorELNS0_4arch9wavefront6targetE0EEEvS12_.num_named_barrier, 0
	.set _ZN7rocprim17ROCPRIM_400000_NS6detail17trampoline_kernelINS0_13select_configILj256ELj13ELNS0_17block_load_methodE3ELS4_3ELS4_3ELNS0_20block_scan_algorithmE0ELj4294967295EEENS1_25partition_config_selectorILNS1_17partition_subalgoE4EjNS0_10empty_typeEbEEZZNS1_14partition_implILS8_4ELb0ES6_15HIP_vector_typeIjLj2EENS0_17counting_iteratorIjlEEPS9_SG_NS0_5tupleIJPjSI_NS0_16reverse_iteratorISI_EEEEENSH_IJSG_SG_SG_EEES9_SI_JZNS1_25segmented_radix_sort_implINS0_14default_configELb0EPKiPiPKlPlN2at6native12_GLOBAL__N_18offset_tEEE10hipError_tPvRmT1_PNSt15iterator_traitsIS12_E10value_typeET2_T3_PNS13_IS18_E10value_typeET4_jRbjT5_S1E_jjP12ihipStream_tbEUljE_ZNSN_ISO_Lb0ESQ_SR_ST_SU_SY_EESZ_S10_S11_S12_S16_S17_S18_S1B_S1C_jS1D_jS1E_S1E_jjS1G_bEUljE0_EEESZ_S10_S11_S18_S1C_S1E_T6_T7_T9_mT8_S1G_bDpT10_ENKUlT_T0_E_clISt17integral_constantIbLb0EES1T_IbLb1EEEEDaS1P_S1Q_EUlS1P_E_NS1_11comp_targetILNS1_3genE3ELNS1_11target_archE908ELNS1_3gpuE7ELNS1_3repE0EEENS1_30default_config_static_selectorELNS0_4arch9wavefront6targetE0EEEvS12_.private_seg_size, 0
	.set _ZN7rocprim17ROCPRIM_400000_NS6detail17trampoline_kernelINS0_13select_configILj256ELj13ELNS0_17block_load_methodE3ELS4_3ELS4_3ELNS0_20block_scan_algorithmE0ELj4294967295EEENS1_25partition_config_selectorILNS1_17partition_subalgoE4EjNS0_10empty_typeEbEEZZNS1_14partition_implILS8_4ELb0ES6_15HIP_vector_typeIjLj2EENS0_17counting_iteratorIjlEEPS9_SG_NS0_5tupleIJPjSI_NS0_16reverse_iteratorISI_EEEEENSH_IJSG_SG_SG_EEES9_SI_JZNS1_25segmented_radix_sort_implINS0_14default_configELb0EPKiPiPKlPlN2at6native12_GLOBAL__N_18offset_tEEE10hipError_tPvRmT1_PNSt15iterator_traitsIS12_E10value_typeET2_T3_PNS13_IS18_E10value_typeET4_jRbjT5_S1E_jjP12ihipStream_tbEUljE_ZNSN_ISO_Lb0ESQ_SR_ST_SU_SY_EESZ_S10_S11_S12_S16_S17_S18_S1B_S1C_jS1D_jS1E_S1E_jjS1G_bEUljE0_EEESZ_S10_S11_S18_S1C_S1E_T6_T7_T9_mT8_S1G_bDpT10_ENKUlT_T0_E_clISt17integral_constantIbLb0EES1T_IbLb1EEEEDaS1P_S1Q_EUlS1P_E_NS1_11comp_targetILNS1_3genE3ELNS1_11target_archE908ELNS1_3gpuE7ELNS1_3repE0EEENS1_30default_config_static_selectorELNS0_4arch9wavefront6targetE0EEEvS12_.uses_vcc, 0
	.set _ZN7rocprim17ROCPRIM_400000_NS6detail17trampoline_kernelINS0_13select_configILj256ELj13ELNS0_17block_load_methodE3ELS4_3ELS4_3ELNS0_20block_scan_algorithmE0ELj4294967295EEENS1_25partition_config_selectorILNS1_17partition_subalgoE4EjNS0_10empty_typeEbEEZZNS1_14partition_implILS8_4ELb0ES6_15HIP_vector_typeIjLj2EENS0_17counting_iteratorIjlEEPS9_SG_NS0_5tupleIJPjSI_NS0_16reverse_iteratorISI_EEEEENSH_IJSG_SG_SG_EEES9_SI_JZNS1_25segmented_radix_sort_implINS0_14default_configELb0EPKiPiPKlPlN2at6native12_GLOBAL__N_18offset_tEEE10hipError_tPvRmT1_PNSt15iterator_traitsIS12_E10value_typeET2_T3_PNS13_IS18_E10value_typeET4_jRbjT5_S1E_jjP12ihipStream_tbEUljE_ZNSN_ISO_Lb0ESQ_SR_ST_SU_SY_EESZ_S10_S11_S12_S16_S17_S18_S1B_S1C_jS1D_jS1E_S1E_jjS1G_bEUljE0_EEESZ_S10_S11_S18_S1C_S1E_T6_T7_T9_mT8_S1G_bDpT10_ENKUlT_T0_E_clISt17integral_constantIbLb0EES1T_IbLb1EEEEDaS1P_S1Q_EUlS1P_E_NS1_11comp_targetILNS1_3genE3ELNS1_11target_archE908ELNS1_3gpuE7ELNS1_3repE0EEENS1_30default_config_static_selectorELNS0_4arch9wavefront6targetE0EEEvS12_.uses_flat_scratch, 0
	.set _ZN7rocprim17ROCPRIM_400000_NS6detail17trampoline_kernelINS0_13select_configILj256ELj13ELNS0_17block_load_methodE3ELS4_3ELS4_3ELNS0_20block_scan_algorithmE0ELj4294967295EEENS1_25partition_config_selectorILNS1_17partition_subalgoE4EjNS0_10empty_typeEbEEZZNS1_14partition_implILS8_4ELb0ES6_15HIP_vector_typeIjLj2EENS0_17counting_iteratorIjlEEPS9_SG_NS0_5tupleIJPjSI_NS0_16reverse_iteratorISI_EEEEENSH_IJSG_SG_SG_EEES9_SI_JZNS1_25segmented_radix_sort_implINS0_14default_configELb0EPKiPiPKlPlN2at6native12_GLOBAL__N_18offset_tEEE10hipError_tPvRmT1_PNSt15iterator_traitsIS12_E10value_typeET2_T3_PNS13_IS18_E10value_typeET4_jRbjT5_S1E_jjP12ihipStream_tbEUljE_ZNSN_ISO_Lb0ESQ_SR_ST_SU_SY_EESZ_S10_S11_S12_S16_S17_S18_S1B_S1C_jS1D_jS1E_S1E_jjS1G_bEUljE0_EEESZ_S10_S11_S18_S1C_S1E_T6_T7_T9_mT8_S1G_bDpT10_ENKUlT_T0_E_clISt17integral_constantIbLb0EES1T_IbLb1EEEEDaS1P_S1Q_EUlS1P_E_NS1_11comp_targetILNS1_3genE3ELNS1_11target_archE908ELNS1_3gpuE7ELNS1_3repE0EEENS1_30default_config_static_selectorELNS0_4arch9wavefront6targetE0EEEvS12_.has_dyn_sized_stack, 0
	.set _ZN7rocprim17ROCPRIM_400000_NS6detail17trampoline_kernelINS0_13select_configILj256ELj13ELNS0_17block_load_methodE3ELS4_3ELS4_3ELNS0_20block_scan_algorithmE0ELj4294967295EEENS1_25partition_config_selectorILNS1_17partition_subalgoE4EjNS0_10empty_typeEbEEZZNS1_14partition_implILS8_4ELb0ES6_15HIP_vector_typeIjLj2EENS0_17counting_iteratorIjlEEPS9_SG_NS0_5tupleIJPjSI_NS0_16reverse_iteratorISI_EEEEENSH_IJSG_SG_SG_EEES9_SI_JZNS1_25segmented_radix_sort_implINS0_14default_configELb0EPKiPiPKlPlN2at6native12_GLOBAL__N_18offset_tEEE10hipError_tPvRmT1_PNSt15iterator_traitsIS12_E10value_typeET2_T3_PNS13_IS18_E10value_typeET4_jRbjT5_S1E_jjP12ihipStream_tbEUljE_ZNSN_ISO_Lb0ESQ_SR_ST_SU_SY_EESZ_S10_S11_S12_S16_S17_S18_S1B_S1C_jS1D_jS1E_S1E_jjS1G_bEUljE0_EEESZ_S10_S11_S18_S1C_S1E_T6_T7_T9_mT8_S1G_bDpT10_ENKUlT_T0_E_clISt17integral_constantIbLb0EES1T_IbLb1EEEEDaS1P_S1Q_EUlS1P_E_NS1_11comp_targetILNS1_3genE3ELNS1_11target_archE908ELNS1_3gpuE7ELNS1_3repE0EEENS1_30default_config_static_selectorELNS0_4arch9wavefront6targetE0EEEvS12_.has_recursion, 0
	.set _ZN7rocprim17ROCPRIM_400000_NS6detail17trampoline_kernelINS0_13select_configILj256ELj13ELNS0_17block_load_methodE3ELS4_3ELS4_3ELNS0_20block_scan_algorithmE0ELj4294967295EEENS1_25partition_config_selectorILNS1_17partition_subalgoE4EjNS0_10empty_typeEbEEZZNS1_14partition_implILS8_4ELb0ES6_15HIP_vector_typeIjLj2EENS0_17counting_iteratorIjlEEPS9_SG_NS0_5tupleIJPjSI_NS0_16reverse_iteratorISI_EEEEENSH_IJSG_SG_SG_EEES9_SI_JZNS1_25segmented_radix_sort_implINS0_14default_configELb0EPKiPiPKlPlN2at6native12_GLOBAL__N_18offset_tEEE10hipError_tPvRmT1_PNSt15iterator_traitsIS12_E10value_typeET2_T3_PNS13_IS18_E10value_typeET4_jRbjT5_S1E_jjP12ihipStream_tbEUljE_ZNSN_ISO_Lb0ESQ_SR_ST_SU_SY_EESZ_S10_S11_S12_S16_S17_S18_S1B_S1C_jS1D_jS1E_S1E_jjS1G_bEUljE0_EEESZ_S10_S11_S18_S1C_S1E_T6_T7_T9_mT8_S1G_bDpT10_ENKUlT_T0_E_clISt17integral_constantIbLb0EES1T_IbLb1EEEEDaS1P_S1Q_EUlS1P_E_NS1_11comp_targetILNS1_3genE3ELNS1_11target_archE908ELNS1_3gpuE7ELNS1_3repE0EEENS1_30default_config_static_selectorELNS0_4arch9wavefront6targetE0EEEvS12_.has_indirect_call, 0
	.section	.AMDGPU.csdata,"",@progbits
; Kernel info:
; codeLenInByte = 0
; TotalNumSgprs: 0
; NumVgprs: 0
; ScratchSize: 0
; MemoryBound: 0
; FloatMode: 240
; IeeeMode: 1
; LDSByteSize: 0 bytes/workgroup (compile time only)
; SGPRBlocks: 0
; VGPRBlocks: 0
; NumSGPRsForWavesPerEU: 1
; NumVGPRsForWavesPerEU: 1
; Occupancy: 16
; WaveLimiterHint : 0
; COMPUTE_PGM_RSRC2:SCRATCH_EN: 0
; COMPUTE_PGM_RSRC2:USER_SGPR: 2
; COMPUTE_PGM_RSRC2:TRAP_HANDLER: 0
; COMPUTE_PGM_RSRC2:TGID_X_EN: 1
; COMPUTE_PGM_RSRC2:TGID_Y_EN: 0
; COMPUTE_PGM_RSRC2:TGID_Z_EN: 0
; COMPUTE_PGM_RSRC2:TIDIG_COMP_CNT: 0
	.section	.text._ZN7rocprim17ROCPRIM_400000_NS6detail17trampoline_kernelINS0_13select_configILj256ELj13ELNS0_17block_load_methodE3ELS4_3ELS4_3ELNS0_20block_scan_algorithmE0ELj4294967295EEENS1_25partition_config_selectorILNS1_17partition_subalgoE4EjNS0_10empty_typeEbEEZZNS1_14partition_implILS8_4ELb0ES6_15HIP_vector_typeIjLj2EENS0_17counting_iteratorIjlEEPS9_SG_NS0_5tupleIJPjSI_NS0_16reverse_iteratorISI_EEEEENSH_IJSG_SG_SG_EEES9_SI_JZNS1_25segmented_radix_sort_implINS0_14default_configELb0EPKiPiPKlPlN2at6native12_GLOBAL__N_18offset_tEEE10hipError_tPvRmT1_PNSt15iterator_traitsIS12_E10value_typeET2_T3_PNS13_IS18_E10value_typeET4_jRbjT5_S1E_jjP12ihipStream_tbEUljE_ZNSN_ISO_Lb0ESQ_SR_ST_SU_SY_EESZ_S10_S11_S12_S16_S17_S18_S1B_S1C_jS1D_jS1E_S1E_jjS1G_bEUljE0_EEESZ_S10_S11_S18_S1C_S1E_T6_T7_T9_mT8_S1G_bDpT10_ENKUlT_T0_E_clISt17integral_constantIbLb0EES1T_IbLb1EEEEDaS1P_S1Q_EUlS1P_E_NS1_11comp_targetILNS1_3genE2ELNS1_11target_archE906ELNS1_3gpuE6ELNS1_3repE0EEENS1_30default_config_static_selectorELNS0_4arch9wavefront6targetE0EEEvS12_,"axG",@progbits,_ZN7rocprim17ROCPRIM_400000_NS6detail17trampoline_kernelINS0_13select_configILj256ELj13ELNS0_17block_load_methodE3ELS4_3ELS4_3ELNS0_20block_scan_algorithmE0ELj4294967295EEENS1_25partition_config_selectorILNS1_17partition_subalgoE4EjNS0_10empty_typeEbEEZZNS1_14partition_implILS8_4ELb0ES6_15HIP_vector_typeIjLj2EENS0_17counting_iteratorIjlEEPS9_SG_NS0_5tupleIJPjSI_NS0_16reverse_iteratorISI_EEEEENSH_IJSG_SG_SG_EEES9_SI_JZNS1_25segmented_radix_sort_implINS0_14default_configELb0EPKiPiPKlPlN2at6native12_GLOBAL__N_18offset_tEEE10hipError_tPvRmT1_PNSt15iterator_traitsIS12_E10value_typeET2_T3_PNS13_IS18_E10value_typeET4_jRbjT5_S1E_jjP12ihipStream_tbEUljE_ZNSN_ISO_Lb0ESQ_SR_ST_SU_SY_EESZ_S10_S11_S12_S16_S17_S18_S1B_S1C_jS1D_jS1E_S1E_jjS1G_bEUljE0_EEESZ_S10_S11_S18_S1C_S1E_T6_T7_T9_mT8_S1G_bDpT10_ENKUlT_T0_E_clISt17integral_constantIbLb0EES1T_IbLb1EEEEDaS1P_S1Q_EUlS1P_E_NS1_11comp_targetILNS1_3genE2ELNS1_11target_archE906ELNS1_3gpuE6ELNS1_3repE0EEENS1_30default_config_static_selectorELNS0_4arch9wavefront6targetE0EEEvS12_,comdat
	.globl	_ZN7rocprim17ROCPRIM_400000_NS6detail17trampoline_kernelINS0_13select_configILj256ELj13ELNS0_17block_load_methodE3ELS4_3ELS4_3ELNS0_20block_scan_algorithmE0ELj4294967295EEENS1_25partition_config_selectorILNS1_17partition_subalgoE4EjNS0_10empty_typeEbEEZZNS1_14partition_implILS8_4ELb0ES6_15HIP_vector_typeIjLj2EENS0_17counting_iteratorIjlEEPS9_SG_NS0_5tupleIJPjSI_NS0_16reverse_iteratorISI_EEEEENSH_IJSG_SG_SG_EEES9_SI_JZNS1_25segmented_radix_sort_implINS0_14default_configELb0EPKiPiPKlPlN2at6native12_GLOBAL__N_18offset_tEEE10hipError_tPvRmT1_PNSt15iterator_traitsIS12_E10value_typeET2_T3_PNS13_IS18_E10value_typeET4_jRbjT5_S1E_jjP12ihipStream_tbEUljE_ZNSN_ISO_Lb0ESQ_SR_ST_SU_SY_EESZ_S10_S11_S12_S16_S17_S18_S1B_S1C_jS1D_jS1E_S1E_jjS1G_bEUljE0_EEESZ_S10_S11_S18_S1C_S1E_T6_T7_T9_mT8_S1G_bDpT10_ENKUlT_T0_E_clISt17integral_constantIbLb0EES1T_IbLb1EEEEDaS1P_S1Q_EUlS1P_E_NS1_11comp_targetILNS1_3genE2ELNS1_11target_archE906ELNS1_3gpuE6ELNS1_3repE0EEENS1_30default_config_static_selectorELNS0_4arch9wavefront6targetE0EEEvS12_ ; -- Begin function _ZN7rocprim17ROCPRIM_400000_NS6detail17trampoline_kernelINS0_13select_configILj256ELj13ELNS0_17block_load_methodE3ELS4_3ELS4_3ELNS0_20block_scan_algorithmE0ELj4294967295EEENS1_25partition_config_selectorILNS1_17partition_subalgoE4EjNS0_10empty_typeEbEEZZNS1_14partition_implILS8_4ELb0ES6_15HIP_vector_typeIjLj2EENS0_17counting_iteratorIjlEEPS9_SG_NS0_5tupleIJPjSI_NS0_16reverse_iteratorISI_EEEEENSH_IJSG_SG_SG_EEES9_SI_JZNS1_25segmented_radix_sort_implINS0_14default_configELb0EPKiPiPKlPlN2at6native12_GLOBAL__N_18offset_tEEE10hipError_tPvRmT1_PNSt15iterator_traitsIS12_E10value_typeET2_T3_PNS13_IS18_E10value_typeET4_jRbjT5_S1E_jjP12ihipStream_tbEUljE_ZNSN_ISO_Lb0ESQ_SR_ST_SU_SY_EESZ_S10_S11_S12_S16_S17_S18_S1B_S1C_jS1D_jS1E_S1E_jjS1G_bEUljE0_EEESZ_S10_S11_S18_S1C_S1E_T6_T7_T9_mT8_S1G_bDpT10_ENKUlT_T0_E_clISt17integral_constantIbLb0EES1T_IbLb1EEEEDaS1P_S1Q_EUlS1P_E_NS1_11comp_targetILNS1_3genE2ELNS1_11target_archE906ELNS1_3gpuE6ELNS1_3repE0EEENS1_30default_config_static_selectorELNS0_4arch9wavefront6targetE0EEEvS12_
	.p2align	8
	.type	_ZN7rocprim17ROCPRIM_400000_NS6detail17trampoline_kernelINS0_13select_configILj256ELj13ELNS0_17block_load_methodE3ELS4_3ELS4_3ELNS0_20block_scan_algorithmE0ELj4294967295EEENS1_25partition_config_selectorILNS1_17partition_subalgoE4EjNS0_10empty_typeEbEEZZNS1_14partition_implILS8_4ELb0ES6_15HIP_vector_typeIjLj2EENS0_17counting_iteratorIjlEEPS9_SG_NS0_5tupleIJPjSI_NS0_16reverse_iteratorISI_EEEEENSH_IJSG_SG_SG_EEES9_SI_JZNS1_25segmented_radix_sort_implINS0_14default_configELb0EPKiPiPKlPlN2at6native12_GLOBAL__N_18offset_tEEE10hipError_tPvRmT1_PNSt15iterator_traitsIS12_E10value_typeET2_T3_PNS13_IS18_E10value_typeET4_jRbjT5_S1E_jjP12ihipStream_tbEUljE_ZNSN_ISO_Lb0ESQ_SR_ST_SU_SY_EESZ_S10_S11_S12_S16_S17_S18_S1B_S1C_jS1D_jS1E_S1E_jjS1G_bEUljE0_EEESZ_S10_S11_S18_S1C_S1E_T6_T7_T9_mT8_S1G_bDpT10_ENKUlT_T0_E_clISt17integral_constantIbLb0EES1T_IbLb1EEEEDaS1P_S1Q_EUlS1P_E_NS1_11comp_targetILNS1_3genE2ELNS1_11target_archE906ELNS1_3gpuE6ELNS1_3repE0EEENS1_30default_config_static_selectorELNS0_4arch9wavefront6targetE0EEEvS12_,@function
_ZN7rocprim17ROCPRIM_400000_NS6detail17trampoline_kernelINS0_13select_configILj256ELj13ELNS0_17block_load_methodE3ELS4_3ELS4_3ELNS0_20block_scan_algorithmE0ELj4294967295EEENS1_25partition_config_selectorILNS1_17partition_subalgoE4EjNS0_10empty_typeEbEEZZNS1_14partition_implILS8_4ELb0ES6_15HIP_vector_typeIjLj2EENS0_17counting_iteratorIjlEEPS9_SG_NS0_5tupleIJPjSI_NS0_16reverse_iteratorISI_EEEEENSH_IJSG_SG_SG_EEES9_SI_JZNS1_25segmented_radix_sort_implINS0_14default_configELb0EPKiPiPKlPlN2at6native12_GLOBAL__N_18offset_tEEE10hipError_tPvRmT1_PNSt15iterator_traitsIS12_E10value_typeET2_T3_PNS13_IS18_E10value_typeET4_jRbjT5_S1E_jjP12ihipStream_tbEUljE_ZNSN_ISO_Lb0ESQ_SR_ST_SU_SY_EESZ_S10_S11_S12_S16_S17_S18_S1B_S1C_jS1D_jS1E_S1E_jjS1G_bEUljE0_EEESZ_S10_S11_S18_S1C_S1E_T6_T7_T9_mT8_S1G_bDpT10_ENKUlT_T0_E_clISt17integral_constantIbLb0EES1T_IbLb1EEEEDaS1P_S1Q_EUlS1P_E_NS1_11comp_targetILNS1_3genE2ELNS1_11target_archE906ELNS1_3gpuE6ELNS1_3repE0EEENS1_30default_config_static_selectorELNS0_4arch9wavefront6targetE0EEEvS12_: ; @_ZN7rocprim17ROCPRIM_400000_NS6detail17trampoline_kernelINS0_13select_configILj256ELj13ELNS0_17block_load_methodE3ELS4_3ELS4_3ELNS0_20block_scan_algorithmE0ELj4294967295EEENS1_25partition_config_selectorILNS1_17partition_subalgoE4EjNS0_10empty_typeEbEEZZNS1_14partition_implILS8_4ELb0ES6_15HIP_vector_typeIjLj2EENS0_17counting_iteratorIjlEEPS9_SG_NS0_5tupleIJPjSI_NS0_16reverse_iteratorISI_EEEEENSH_IJSG_SG_SG_EEES9_SI_JZNS1_25segmented_radix_sort_implINS0_14default_configELb0EPKiPiPKlPlN2at6native12_GLOBAL__N_18offset_tEEE10hipError_tPvRmT1_PNSt15iterator_traitsIS12_E10value_typeET2_T3_PNS13_IS18_E10value_typeET4_jRbjT5_S1E_jjP12ihipStream_tbEUljE_ZNSN_ISO_Lb0ESQ_SR_ST_SU_SY_EESZ_S10_S11_S12_S16_S17_S18_S1B_S1C_jS1D_jS1E_S1E_jjS1G_bEUljE0_EEESZ_S10_S11_S18_S1C_S1E_T6_T7_T9_mT8_S1G_bDpT10_ENKUlT_T0_E_clISt17integral_constantIbLb0EES1T_IbLb1EEEEDaS1P_S1Q_EUlS1P_E_NS1_11comp_targetILNS1_3genE2ELNS1_11target_archE906ELNS1_3gpuE6ELNS1_3repE0EEENS1_30default_config_static_selectorELNS0_4arch9wavefront6targetE0EEEvS12_
; %bb.0:
	.section	.rodata,"a",@progbits
	.p2align	6, 0x0
	.amdhsa_kernel _ZN7rocprim17ROCPRIM_400000_NS6detail17trampoline_kernelINS0_13select_configILj256ELj13ELNS0_17block_load_methodE3ELS4_3ELS4_3ELNS0_20block_scan_algorithmE0ELj4294967295EEENS1_25partition_config_selectorILNS1_17partition_subalgoE4EjNS0_10empty_typeEbEEZZNS1_14partition_implILS8_4ELb0ES6_15HIP_vector_typeIjLj2EENS0_17counting_iteratorIjlEEPS9_SG_NS0_5tupleIJPjSI_NS0_16reverse_iteratorISI_EEEEENSH_IJSG_SG_SG_EEES9_SI_JZNS1_25segmented_radix_sort_implINS0_14default_configELb0EPKiPiPKlPlN2at6native12_GLOBAL__N_18offset_tEEE10hipError_tPvRmT1_PNSt15iterator_traitsIS12_E10value_typeET2_T3_PNS13_IS18_E10value_typeET4_jRbjT5_S1E_jjP12ihipStream_tbEUljE_ZNSN_ISO_Lb0ESQ_SR_ST_SU_SY_EESZ_S10_S11_S12_S16_S17_S18_S1B_S1C_jS1D_jS1E_S1E_jjS1G_bEUljE0_EEESZ_S10_S11_S18_S1C_S1E_T6_T7_T9_mT8_S1G_bDpT10_ENKUlT_T0_E_clISt17integral_constantIbLb0EES1T_IbLb1EEEEDaS1P_S1Q_EUlS1P_E_NS1_11comp_targetILNS1_3genE2ELNS1_11target_archE906ELNS1_3gpuE6ELNS1_3repE0EEENS1_30default_config_static_selectorELNS0_4arch9wavefront6targetE0EEEvS12_
		.amdhsa_group_segment_fixed_size 0
		.amdhsa_private_segment_fixed_size 0
		.amdhsa_kernarg_size 184
		.amdhsa_user_sgpr_count 2
		.amdhsa_user_sgpr_dispatch_ptr 0
		.amdhsa_user_sgpr_queue_ptr 0
		.amdhsa_user_sgpr_kernarg_segment_ptr 1
		.amdhsa_user_sgpr_dispatch_id 0
		.amdhsa_user_sgpr_private_segment_size 0
		.amdhsa_wavefront_size32 1
		.amdhsa_uses_dynamic_stack 0
		.amdhsa_enable_private_segment 0
		.amdhsa_system_sgpr_workgroup_id_x 1
		.amdhsa_system_sgpr_workgroup_id_y 0
		.amdhsa_system_sgpr_workgroup_id_z 0
		.amdhsa_system_sgpr_workgroup_info 0
		.amdhsa_system_vgpr_workitem_id 0
		.amdhsa_next_free_vgpr 1
		.amdhsa_next_free_sgpr 1
		.amdhsa_reserve_vcc 0
		.amdhsa_float_round_mode_32 0
		.amdhsa_float_round_mode_16_64 0
		.amdhsa_float_denorm_mode_32 3
		.amdhsa_float_denorm_mode_16_64 3
		.amdhsa_fp16_overflow 0
		.amdhsa_workgroup_processor_mode 1
		.amdhsa_memory_ordered 1
		.amdhsa_forward_progress 1
		.amdhsa_inst_pref_size 0
		.amdhsa_round_robin_scheduling 0
		.amdhsa_exception_fp_ieee_invalid_op 0
		.amdhsa_exception_fp_denorm_src 0
		.amdhsa_exception_fp_ieee_div_zero 0
		.amdhsa_exception_fp_ieee_overflow 0
		.amdhsa_exception_fp_ieee_underflow 0
		.amdhsa_exception_fp_ieee_inexact 0
		.amdhsa_exception_int_div_zero 0
	.end_amdhsa_kernel
	.section	.text._ZN7rocprim17ROCPRIM_400000_NS6detail17trampoline_kernelINS0_13select_configILj256ELj13ELNS0_17block_load_methodE3ELS4_3ELS4_3ELNS0_20block_scan_algorithmE0ELj4294967295EEENS1_25partition_config_selectorILNS1_17partition_subalgoE4EjNS0_10empty_typeEbEEZZNS1_14partition_implILS8_4ELb0ES6_15HIP_vector_typeIjLj2EENS0_17counting_iteratorIjlEEPS9_SG_NS0_5tupleIJPjSI_NS0_16reverse_iteratorISI_EEEEENSH_IJSG_SG_SG_EEES9_SI_JZNS1_25segmented_radix_sort_implINS0_14default_configELb0EPKiPiPKlPlN2at6native12_GLOBAL__N_18offset_tEEE10hipError_tPvRmT1_PNSt15iterator_traitsIS12_E10value_typeET2_T3_PNS13_IS18_E10value_typeET4_jRbjT5_S1E_jjP12ihipStream_tbEUljE_ZNSN_ISO_Lb0ESQ_SR_ST_SU_SY_EESZ_S10_S11_S12_S16_S17_S18_S1B_S1C_jS1D_jS1E_S1E_jjS1G_bEUljE0_EEESZ_S10_S11_S18_S1C_S1E_T6_T7_T9_mT8_S1G_bDpT10_ENKUlT_T0_E_clISt17integral_constantIbLb0EES1T_IbLb1EEEEDaS1P_S1Q_EUlS1P_E_NS1_11comp_targetILNS1_3genE2ELNS1_11target_archE906ELNS1_3gpuE6ELNS1_3repE0EEENS1_30default_config_static_selectorELNS0_4arch9wavefront6targetE0EEEvS12_,"axG",@progbits,_ZN7rocprim17ROCPRIM_400000_NS6detail17trampoline_kernelINS0_13select_configILj256ELj13ELNS0_17block_load_methodE3ELS4_3ELS4_3ELNS0_20block_scan_algorithmE0ELj4294967295EEENS1_25partition_config_selectorILNS1_17partition_subalgoE4EjNS0_10empty_typeEbEEZZNS1_14partition_implILS8_4ELb0ES6_15HIP_vector_typeIjLj2EENS0_17counting_iteratorIjlEEPS9_SG_NS0_5tupleIJPjSI_NS0_16reverse_iteratorISI_EEEEENSH_IJSG_SG_SG_EEES9_SI_JZNS1_25segmented_radix_sort_implINS0_14default_configELb0EPKiPiPKlPlN2at6native12_GLOBAL__N_18offset_tEEE10hipError_tPvRmT1_PNSt15iterator_traitsIS12_E10value_typeET2_T3_PNS13_IS18_E10value_typeET4_jRbjT5_S1E_jjP12ihipStream_tbEUljE_ZNSN_ISO_Lb0ESQ_SR_ST_SU_SY_EESZ_S10_S11_S12_S16_S17_S18_S1B_S1C_jS1D_jS1E_S1E_jjS1G_bEUljE0_EEESZ_S10_S11_S18_S1C_S1E_T6_T7_T9_mT8_S1G_bDpT10_ENKUlT_T0_E_clISt17integral_constantIbLb0EES1T_IbLb1EEEEDaS1P_S1Q_EUlS1P_E_NS1_11comp_targetILNS1_3genE2ELNS1_11target_archE906ELNS1_3gpuE6ELNS1_3repE0EEENS1_30default_config_static_selectorELNS0_4arch9wavefront6targetE0EEEvS12_,comdat
.Lfunc_end564:
	.size	_ZN7rocprim17ROCPRIM_400000_NS6detail17trampoline_kernelINS0_13select_configILj256ELj13ELNS0_17block_load_methodE3ELS4_3ELS4_3ELNS0_20block_scan_algorithmE0ELj4294967295EEENS1_25partition_config_selectorILNS1_17partition_subalgoE4EjNS0_10empty_typeEbEEZZNS1_14partition_implILS8_4ELb0ES6_15HIP_vector_typeIjLj2EENS0_17counting_iteratorIjlEEPS9_SG_NS0_5tupleIJPjSI_NS0_16reverse_iteratorISI_EEEEENSH_IJSG_SG_SG_EEES9_SI_JZNS1_25segmented_radix_sort_implINS0_14default_configELb0EPKiPiPKlPlN2at6native12_GLOBAL__N_18offset_tEEE10hipError_tPvRmT1_PNSt15iterator_traitsIS12_E10value_typeET2_T3_PNS13_IS18_E10value_typeET4_jRbjT5_S1E_jjP12ihipStream_tbEUljE_ZNSN_ISO_Lb0ESQ_SR_ST_SU_SY_EESZ_S10_S11_S12_S16_S17_S18_S1B_S1C_jS1D_jS1E_S1E_jjS1G_bEUljE0_EEESZ_S10_S11_S18_S1C_S1E_T6_T7_T9_mT8_S1G_bDpT10_ENKUlT_T0_E_clISt17integral_constantIbLb0EES1T_IbLb1EEEEDaS1P_S1Q_EUlS1P_E_NS1_11comp_targetILNS1_3genE2ELNS1_11target_archE906ELNS1_3gpuE6ELNS1_3repE0EEENS1_30default_config_static_selectorELNS0_4arch9wavefront6targetE0EEEvS12_, .Lfunc_end564-_ZN7rocprim17ROCPRIM_400000_NS6detail17trampoline_kernelINS0_13select_configILj256ELj13ELNS0_17block_load_methodE3ELS4_3ELS4_3ELNS0_20block_scan_algorithmE0ELj4294967295EEENS1_25partition_config_selectorILNS1_17partition_subalgoE4EjNS0_10empty_typeEbEEZZNS1_14partition_implILS8_4ELb0ES6_15HIP_vector_typeIjLj2EENS0_17counting_iteratorIjlEEPS9_SG_NS0_5tupleIJPjSI_NS0_16reverse_iteratorISI_EEEEENSH_IJSG_SG_SG_EEES9_SI_JZNS1_25segmented_radix_sort_implINS0_14default_configELb0EPKiPiPKlPlN2at6native12_GLOBAL__N_18offset_tEEE10hipError_tPvRmT1_PNSt15iterator_traitsIS12_E10value_typeET2_T3_PNS13_IS18_E10value_typeET4_jRbjT5_S1E_jjP12ihipStream_tbEUljE_ZNSN_ISO_Lb0ESQ_SR_ST_SU_SY_EESZ_S10_S11_S12_S16_S17_S18_S1B_S1C_jS1D_jS1E_S1E_jjS1G_bEUljE0_EEESZ_S10_S11_S18_S1C_S1E_T6_T7_T9_mT8_S1G_bDpT10_ENKUlT_T0_E_clISt17integral_constantIbLb0EES1T_IbLb1EEEEDaS1P_S1Q_EUlS1P_E_NS1_11comp_targetILNS1_3genE2ELNS1_11target_archE906ELNS1_3gpuE6ELNS1_3repE0EEENS1_30default_config_static_selectorELNS0_4arch9wavefront6targetE0EEEvS12_
                                        ; -- End function
	.set _ZN7rocprim17ROCPRIM_400000_NS6detail17trampoline_kernelINS0_13select_configILj256ELj13ELNS0_17block_load_methodE3ELS4_3ELS4_3ELNS0_20block_scan_algorithmE0ELj4294967295EEENS1_25partition_config_selectorILNS1_17partition_subalgoE4EjNS0_10empty_typeEbEEZZNS1_14partition_implILS8_4ELb0ES6_15HIP_vector_typeIjLj2EENS0_17counting_iteratorIjlEEPS9_SG_NS0_5tupleIJPjSI_NS0_16reverse_iteratorISI_EEEEENSH_IJSG_SG_SG_EEES9_SI_JZNS1_25segmented_radix_sort_implINS0_14default_configELb0EPKiPiPKlPlN2at6native12_GLOBAL__N_18offset_tEEE10hipError_tPvRmT1_PNSt15iterator_traitsIS12_E10value_typeET2_T3_PNS13_IS18_E10value_typeET4_jRbjT5_S1E_jjP12ihipStream_tbEUljE_ZNSN_ISO_Lb0ESQ_SR_ST_SU_SY_EESZ_S10_S11_S12_S16_S17_S18_S1B_S1C_jS1D_jS1E_S1E_jjS1G_bEUljE0_EEESZ_S10_S11_S18_S1C_S1E_T6_T7_T9_mT8_S1G_bDpT10_ENKUlT_T0_E_clISt17integral_constantIbLb0EES1T_IbLb1EEEEDaS1P_S1Q_EUlS1P_E_NS1_11comp_targetILNS1_3genE2ELNS1_11target_archE906ELNS1_3gpuE6ELNS1_3repE0EEENS1_30default_config_static_selectorELNS0_4arch9wavefront6targetE0EEEvS12_.num_vgpr, 0
	.set _ZN7rocprim17ROCPRIM_400000_NS6detail17trampoline_kernelINS0_13select_configILj256ELj13ELNS0_17block_load_methodE3ELS4_3ELS4_3ELNS0_20block_scan_algorithmE0ELj4294967295EEENS1_25partition_config_selectorILNS1_17partition_subalgoE4EjNS0_10empty_typeEbEEZZNS1_14partition_implILS8_4ELb0ES6_15HIP_vector_typeIjLj2EENS0_17counting_iteratorIjlEEPS9_SG_NS0_5tupleIJPjSI_NS0_16reverse_iteratorISI_EEEEENSH_IJSG_SG_SG_EEES9_SI_JZNS1_25segmented_radix_sort_implINS0_14default_configELb0EPKiPiPKlPlN2at6native12_GLOBAL__N_18offset_tEEE10hipError_tPvRmT1_PNSt15iterator_traitsIS12_E10value_typeET2_T3_PNS13_IS18_E10value_typeET4_jRbjT5_S1E_jjP12ihipStream_tbEUljE_ZNSN_ISO_Lb0ESQ_SR_ST_SU_SY_EESZ_S10_S11_S12_S16_S17_S18_S1B_S1C_jS1D_jS1E_S1E_jjS1G_bEUljE0_EEESZ_S10_S11_S18_S1C_S1E_T6_T7_T9_mT8_S1G_bDpT10_ENKUlT_T0_E_clISt17integral_constantIbLb0EES1T_IbLb1EEEEDaS1P_S1Q_EUlS1P_E_NS1_11comp_targetILNS1_3genE2ELNS1_11target_archE906ELNS1_3gpuE6ELNS1_3repE0EEENS1_30default_config_static_selectorELNS0_4arch9wavefront6targetE0EEEvS12_.num_agpr, 0
	.set _ZN7rocprim17ROCPRIM_400000_NS6detail17trampoline_kernelINS0_13select_configILj256ELj13ELNS0_17block_load_methodE3ELS4_3ELS4_3ELNS0_20block_scan_algorithmE0ELj4294967295EEENS1_25partition_config_selectorILNS1_17partition_subalgoE4EjNS0_10empty_typeEbEEZZNS1_14partition_implILS8_4ELb0ES6_15HIP_vector_typeIjLj2EENS0_17counting_iteratorIjlEEPS9_SG_NS0_5tupleIJPjSI_NS0_16reverse_iteratorISI_EEEEENSH_IJSG_SG_SG_EEES9_SI_JZNS1_25segmented_radix_sort_implINS0_14default_configELb0EPKiPiPKlPlN2at6native12_GLOBAL__N_18offset_tEEE10hipError_tPvRmT1_PNSt15iterator_traitsIS12_E10value_typeET2_T3_PNS13_IS18_E10value_typeET4_jRbjT5_S1E_jjP12ihipStream_tbEUljE_ZNSN_ISO_Lb0ESQ_SR_ST_SU_SY_EESZ_S10_S11_S12_S16_S17_S18_S1B_S1C_jS1D_jS1E_S1E_jjS1G_bEUljE0_EEESZ_S10_S11_S18_S1C_S1E_T6_T7_T9_mT8_S1G_bDpT10_ENKUlT_T0_E_clISt17integral_constantIbLb0EES1T_IbLb1EEEEDaS1P_S1Q_EUlS1P_E_NS1_11comp_targetILNS1_3genE2ELNS1_11target_archE906ELNS1_3gpuE6ELNS1_3repE0EEENS1_30default_config_static_selectorELNS0_4arch9wavefront6targetE0EEEvS12_.numbered_sgpr, 0
	.set _ZN7rocprim17ROCPRIM_400000_NS6detail17trampoline_kernelINS0_13select_configILj256ELj13ELNS0_17block_load_methodE3ELS4_3ELS4_3ELNS0_20block_scan_algorithmE0ELj4294967295EEENS1_25partition_config_selectorILNS1_17partition_subalgoE4EjNS0_10empty_typeEbEEZZNS1_14partition_implILS8_4ELb0ES6_15HIP_vector_typeIjLj2EENS0_17counting_iteratorIjlEEPS9_SG_NS0_5tupleIJPjSI_NS0_16reverse_iteratorISI_EEEEENSH_IJSG_SG_SG_EEES9_SI_JZNS1_25segmented_radix_sort_implINS0_14default_configELb0EPKiPiPKlPlN2at6native12_GLOBAL__N_18offset_tEEE10hipError_tPvRmT1_PNSt15iterator_traitsIS12_E10value_typeET2_T3_PNS13_IS18_E10value_typeET4_jRbjT5_S1E_jjP12ihipStream_tbEUljE_ZNSN_ISO_Lb0ESQ_SR_ST_SU_SY_EESZ_S10_S11_S12_S16_S17_S18_S1B_S1C_jS1D_jS1E_S1E_jjS1G_bEUljE0_EEESZ_S10_S11_S18_S1C_S1E_T6_T7_T9_mT8_S1G_bDpT10_ENKUlT_T0_E_clISt17integral_constantIbLb0EES1T_IbLb1EEEEDaS1P_S1Q_EUlS1P_E_NS1_11comp_targetILNS1_3genE2ELNS1_11target_archE906ELNS1_3gpuE6ELNS1_3repE0EEENS1_30default_config_static_selectorELNS0_4arch9wavefront6targetE0EEEvS12_.num_named_barrier, 0
	.set _ZN7rocprim17ROCPRIM_400000_NS6detail17trampoline_kernelINS0_13select_configILj256ELj13ELNS0_17block_load_methodE3ELS4_3ELS4_3ELNS0_20block_scan_algorithmE0ELj4294967295EEENS1_25partition_config_selectorILNS1_17partition_subalgoE4EjNS0_10empty_typeEbEEZZNS1_14partition_implILS8_4ELb0ES6_15HIP_vector_typeIjLj2EENS0_17counting_iteratorIjlEEPS9_SG_NS0_5tupleIJPjSI_NS0_16reverse_iteratorISI_EEEEENSH_IJSG_SG_SG_EEES9_SI_JZNS1_25segmented_radix_sort_implINS0_14default_configELb0EPKiPiPKlPlN2at6native12_GLOBAL__N_18offset_tEEE10hipError_tPvRmT1_PNSt15iterator_traitsIS12_E10value_typeET2_T3_PNS13_IS18_E10value_typeET4_jRbjT5_S1E_jjP12ihipStream_tbEUljE_ZNSN_ISO_Lb0ESQ_SR_ST_SU_SY_EESZ_S10_S11_S12_S16_S17_S18_S1B_S1C_jS1D_jS1E_S1E_jjS1G_bEUljE0_EEESZ_S10_S11_S18_S1C_S1E_T6_T7_T9_mT8_S1G_bDpT10_ENKUlT_T0_E_clISt17integral_constantIbLb0EES1T_IbLb1EEEEDaS1P_S1Q_EUlS1P_E_NS1_11comp_targetILNS1_3genE2ELNS1_11target_archE906ELNS1_3gpuE6ELNS1_3repE0EEENS1_30default_config_static_selectorELNS0_4arch9wavefront6targetE0EEEvS12_.private_seg_size, 0
	.set _ZN7rocprim17ROCPRIM_400000_NS6detail17trampoline_kernelINS0_13select_configILj256ELj13ELNS0_17block_load_methodE3ELS4_3ELS4_3ELNS0_20block_scan_algorithmE0ELj4294967295EEENS1_25partition_config_selectorILNS1_17partition_subalgoE4EjNS0_10empty_typeEbEEZZNS1_14partition_implILS8_4ELb0ES6_15HIP_vector_typeIjLj2EENS0_17counting_iteratorIjlEEPS9_SG_NS0_5tupleIJPjSI_NS0_16reverse_iteratorISI_EEEEENSH_IJSG_SG_SG_EEES9_SI_JZNS1_25segmented_radix_sort_implINS0_14default_configELb0EPKiPiPKlPlN2at6native12_GLOBAL__N_18offset_tEEE10hipError_tPvRmT1_PNSt15iterator_traitsIS12_E10value_typeET2_T3_PNS13_IS18_E10value_typeET4_jRbjT5_S1E_jjP12ihipStream_tbEUljE_ZNSN_ISO_Lb0ESQ_SR_ST_SU_SY_EESZ_S10_S11_S12_S16_S17_S18_S1B_S1C_jS1D_jS1E_S1E_jjS1G_bEUljE0_EEESZ_S10_S11_S18_S1C_S1E_T6_T7_T9_mT8_S1G_bDpT10_ENKUlT_T0_E_clISt17integral_constantIbLb0EES1T_IbLb1EEEEDaS1P_S1Q_EUlS1P_E_NS1_11comp_targetILNS1_3genE2ELNS1_11target_archE906ELNS1_3gpuE6ELNS1_3repE0EEENS1_30default_config_static_selectorELNS0_4arch9wavefront6targetE0EEEvS12_.uses_vcc, 0
	.set _ZN7rocprim17ROCPRIM_400000_NS6detail17trampoline_kernelINS0_13select_configILj256ELj13ELNS0_17block_load_methodE3ELS4_3ELS4_3ELNS0_20block_scan_algorithmE0ELj4294967295EEENS1_25partition_config_selectorILNS1_17partition_subalgoE4EjNS0_10empty_typeEbEEZZNS1_14partition_implILS8_4ELb0ES6_15HIP_vector_typeIjLj2EENS0_17counting_iteratorIjlEEPS9_SG_NS0_5tupleIJPjSI_NS0_16reverse_iteratorISI_EEEEENSH_IJSG_SG_SG_EEES9_SI_JZNS1_25segmented_radix_sort_implINS0_14default_configELb0EPKiPiPKlPlN2at6native12_GLOBAL__N_18offset_tEEE10hipError_tPvRmT1_PNSt15iterator_traitsIS12_E10value_typeET2_T3_PNS13_IS18_E10value_typeET4_jRbjT5_S1E_jjP12ihipStream_tbEUljE_ZNSN_ISO_Lb0ESQ_SR_ST_SU_SY_EESZ_S10_S11_S12_S16_S17_S18_S1B_S1C_jS1D_jS1E_S1E_jjS1G_bEUljE0_EEESZ_S10_S11_S18_S1C_S1E_T6_T7_T9_mT8_S1G_bDpT10_ENKUlT_T0_E_clISt17integral_constantIbLb0EES1T_IbLb1EEEEDaS1P_S1Q_EUlS1P_E_NS1_11comp_targetILNS1_3genE2ELNS1_11target_archE906ELNS1_3gpuE6ELNS1_3repE0EEENS1_30default_config_static_selectorELNS0_4arch9wavefront6targetE0EEEvS12_.uses_flat_scratch, 0
	.set _ZN7rocprim17ROCPRIM_400000_NS6detail17trampoline_kernelINS0_13select_configILj256ELj13ELNS0_17block_load_methodE3ELS4_3ELS4_3ELNS0_20block_scan_algorithmE0ELj4294967295EEENS1_25partition_config_selectorILNS1_17partition_subalgoE4EjNS0_10empty_typeEbEEZZNS1_14partition_implILS8_4ELb0ES6_15HIP_vector_typeIjLj2EENS0_17counting_iteratorIjlEEPS9_SG_NS0_5tupleIJPjSI_NS0_16reverse_iteratorISI_EEEEENSH_IJSG_SG_SG_EEES9_SI_JZNS1_25segmented_radix_sort_implINS0_14default_configELb0EPKiPiPKlPlN2at6native12_GLOBAL__N_18offset_tEEE10hipError_tPvRmT1_PNSt15iterator_traitsIS12_E10value_typeET2_T3_PNS13_IS18_E10value_typeET4_jRbjT5_S1E_jjP12ihipStream_tbEUljE_ZNSN_ISO_Lb0ESQ_SR_ST_SU_SY_EESZ_S10_S11_S12_S16_S17_S18_S1B_S1C_jS1D_jS1E_S1E_jjS1G_bEUljE0_EEESZ_S10_S11_S18_S1C_S1E_T6_T7_T9_mT8_S1G_bDpT10_ENKUlT_T0_E_clISt17integral_constantIbLb0EES1T_IbLb1EEEEDaS1P_S1Q_EUlS1P_E_NS1_11comp_targetILNS1_3genE2ELNS1_11target_archE906ELNS1_3gpuE6ELNS1_3repE0EEENS1_30default_config_static_selectorELNS0_4arch9wavefront6targetE0EEEvS12_.has_dyn_sized_stack, 0
	.set _ZN7rocprim17ROCPRIM_400000_NS6detail17trampoline_kernelINS0_13select_configILj256ELj13ELNS0_17block_load_methodE3ELS4_3ELS4_3ELNS0_20block_scan_algorithmE0ELj4294967295EEENS1_25partition_config_selectorILNS1_17partition_subalgoE4EjNS0_10empty_typeEbEEZZNS1_14partition_implILS8_4ELb0ES6_15HIP_vector_typeIjLj2EENS0_17counting_iteratorIjlEEPS9_SG_NS0_5tupleIJPjSI_NS0_16reverse_iteratorISI_EEEEENSH_IJSG_SG_SG_EEES9_SI_JZNS1_25segmented_radix_sort_implINS0_14default_configELb0EPKiPiPKlPlN2at6native12_GLOBAL__N_18offset_tEEE10hipError_tPvRmT1_PNSt15iterator_traitsIS12_E10value_typeET2_T3_PNS13_IS18_E10value_typeET4_jRbjT5_S1E_jjP12ihipStream_tbEUljE_ZNSN_ISO_Lb0ESQ_SR_ST_SU_SY_EESZ_S10_S11_S12_S16_S17_S18_S1B_S1C_jS1D_jS1E_S1E_jjS1G_bEUljE0_EEESZ_S10_S11_S18_S1C_S1E_T6_T7_T9_mT8_S1G_bDpT10_ENKUlT_T0_E_clISt17integral_constantIbLb0EES1T_IbLb1EEEEDaS1P_S1Q_EUlS1P_E_NS1_11comp_targetILNS1_3genE2ELNS1_11target_archE906ELNS1_3gpuE6ELNS1_3repE0EEENS1_30default_config_static_selectorELNS0_4arch9wavefront6targetE0EEEvS12_.has_recursion, 0
	.set _ZN7rocprim17ROCPRIM_400000_NS6detail17trampoline_kernelINS0_13select_configILj256ELj13ELNS0_17block_load_methodE3ELS4_3ELS4_3ELNS0_20block_scan_algorithmE0ELj4294967295EEENS1_25partition_config_selectorILNS1_17partition_subalgoE4EjNS0_10empty_typeEbEEZZNS1_14partition_implILS8_4ELb0ES6_15HIP_vector_typeIjLj2EENS0_17counting_iteratorIjlEEPS9_SG_NS0_5tupleIJPjSI_NS0_16reverse_iteratorISI_EEEEENSH_IJSG_SG_SG_EEES9_SI_JZNS1_25segmented_radix_sort_implINS0_14default_configELb0EPKiPiPKlPlN2at6native12_GLOBAL__N_18offset_tEEE10hipError_tPvRmT1_PNSt15iterator_traitsIS12_E10value_typeET2_T3_PNS13_IS18_E10value_typeET4_jRbjT5_S1E_jjP12ihipStream_tbEUljE_ZNSN_ISO_Lb0ESQ_SR_ST_SU_SY_EESZ_S10_S11_S12_S16_S17_S18_S1B_S1C_jS1D_jS1E_S1E_jjS1G_bEUljE0_EEESZ_S10_S11_S18_S1C_S1E_T6_T7_T9_mT8_S1G_bDpT10_ENKUlT_T0_E_clISt17integral_constantIbLb0EES1T_IbLb1EEEEDaS1P_S1Q_EUlS1P_E_NS1_11comp_targetILNS1_3genE2ELNS1_11target_archE906ELNS1_3gpuE6ELNS1_3repE0EEENS1_30default_config_static_selectorELNS0_4arch9wavefront6targetE0EEEvS12_.has_indirect_call, 0
	.section	.AMDGPU.csdata,"",@progbits
; Kernel info:
; codeLenInByte = 0
; TotalNumSgprs: 0
; NumVgprs: 0
; ScratchSize: 0
; MemoryBound: 0
; FloatMode: 240
; IeeeMode: 1
; LDSByteSize: 0 bytes/workgroup (compile time only)
; SGPRBlocks: 0
; VGPRBlocks: 0
; NumSGPRsForWavesPerEU: 1
; NumVGPRsForWavesPerEU: 1
; Occupancy: 16
; WaveLimiterHint : 0
; COMPUTE_PGM_RSRC2:SCRATCH_EN: 0
; COMPUTE_PGM_RSRC2:USER_SGPR: 2
; COMPUTE_PGM_RSRC2:TRAP_HANDLER: 0
; COMPUTE_PGM_RSRC2:TGID_X_EN: 1
; COMPUTE_PGM_RSRC2:TGID_Y_EN: 0
; COMPUTE_PGM_RSRC2:TGID_Z_EN: 0
; COMPUTE_PGM_RSRC2:TIDIG_COMP_CNT: 0
	.section	.text._ZN7rocprim17ROCPRIM_400000_NS6detail17trampoline_kernelINS0_13select_configILj256ELj13ELNS0_17block_load_methodE3ELS4_3ELS4_3ELNS0_20block_scan_algorithmE0ELj4294967295EEENS1_25partition_config_selectorILNS1_17partition_subalgoE4EjNS0_10empty_typeEbEEZZNS1_14partition_implILS8_4ELb0ES6_15HIP_vector_typeIjLj2EENS0_17counting_iteratorIjlEEPS9_SG_NS0_5tupleIJPjSI_NS0_16reverse_iteratorISI_EEEEENSH_IJSG_SG_SG_EEES9_SI_JZNS1_25segmented_radix_sort_implINS0_14default_configELb0EPKiPiPKlPlN2at6native12_GLOBAL__N_18offset_tEEE10hipError_tPvRmT1_PNSt15iterator_traitsIS12_E10value_typeET2_T3_PNS13_IS18_E10value_typeET4_jRbjT5_S1E_jjP12ihipStream_tbEUljE_ZNSN_ISO_Lb0ESQ_SR_ST_SU_SY_EESZ_S10_S11_S12_S16_S17_S18_S1B_S1C_jS1D_jS1E_S1E_jjS1G_bEUljE0_EEESZ_S10_S11_S18_S1C_S1E_T6_T7_T9_mT8_S1G_bDpT10_ENKUlT_T0_E_clISt17integral_constantIbLb0EES1T_IbLb1EEEEDaS1P_S1Q_EUlS1P_E_NS1_11comp_targetILNS1_3genE10ELNS1_11target_archE1200ELNS1_3gpuE4ELNS1_3repE0EEENS1_30default_config_static_selectorELNS0_4arch9wavefront6targetE0EEEvS12_,"axG",@progbits,_ZN7rocprim17ROCPRIM_400000_NS6detail17trampoline_kernelINS0_13select_configILj256ELj13ELNS0_17block_load_methodE3ELS4_3ELS4_3ELNS0_20block_scan_algorithmE0ELj4294967295EEENS1_25partition_config_selectorILNS1_17partition_subalgoE4EjNS0_10empty_typeEbEEZZNS1_14partition_implILS8_4ELb0ES6_15HIP_vector_typeIjLj2EENS0_17counting_iteratorIjlEEPS9_SG_NS0_5tupleIJPjSI_NS0_16reverse_iteratorISI_EEEEENSH_IJSG_SG_SG_EEES9_SI_JZNS1_25segmented_radix_sort_implINS0_14default_configELb0EPKiPiPKlPlN2at6native12_GLOBAL__N_18offset_tEEE10hipError_tPvRmT1_PNSt15iterator_traitsIS12_E10value_typeET2_T3_PNS13_IS18_E10value_typeET4_jRbjT5_S1E_jjP12ihipStream_tbEUljE_ZNSN_ISO_Lb0ESQ_SR_ST_SU_SY_EESZ_S10_S11_S12_S16_S17_S18_S1B_S1C_jS1D_jS1E_S1E_jjS1G_bEUljE0_EEESZ_S10_S11_S18_S1C_S1E_T6_T7_T9_mT8_S1G_bDpT10_ENKUlT_T0_E_clISt17integral_constantIbLb0EES1T_IbLb1EEEEDaS1P_S1Q_EUlS1P_E_NS1_11comp_targetILNS1_3genE10ELNS1_11target_archE1200ELNS1_3gpuE4ELNS1_3repE0EEENS1_30default_config_static_selectorELNS0_4arch9wavefront6targetE0EEEvS12_,comdat
	.globl	_ZN7rocprim17ROCPRIM_400000_NS6detail17trampoline_kernelINS0_13select_configILj256ELj13ELNS0_17block_load_methodE3ELS4_3ELS4_3ELNS0_20block_scan_algorithmE0ELj4294967295EEENS1_25partition_config_selectorILNS1_17partition_subalgoE4EjNS0_10empty_typeEbEEZZNS1_14partition_implILS8_4ELb0ES6_15HIP_vector_typeIjLj2EENS0_17counting_iteratorIjlEEPS9_SG_NS0_5tupleIJPjSI_NS0_16reverse_iteratorISI_EEEEENSH_IJSG_SG_SG_EEES9_SI_JZNS1_25segmented_radix_sort_implINS0_14default_configELb0EPKiPiPKlPlN2at6native12_GLOBAL__N_18offset_tEEE10hipError_tPvRmT1_PNSt15iterator_traitsIS12_E10value_typeET2_T3_PNS13_IS18_E10value_typeET4_jRbjT5_S1E_jjP12ihipStream_tbEUljE_ZNSN_ISO_Lb0ESQ_SR_ST_SU_SY_EESZ_S10_S11_S12_S16_S17_S18_S1B_S1C_jS1D_jS1E_S1E_jjS1G_bEUljE0_EEESZ_S10_S11_S18_S1C_S1E_T6_T7_T9_mT8_S1G_bDpT10_ENKUlT_T0_E_clISt17integral_constantIbLb0EES1T_IbLb1EEEEDaS1P_S1Q_EUlS1P_E_NS1_11comp_targetILNS1_3genE10ELNS1_11target_archE1200ELNS1_3gpuE4ELNS1_3repE0EEENS1_30default_config_static_selectorELNS0_4arch9wavefront6targetE0EEEvS12_ ; -- Begin function _ZN7rocprim17ROCPRIM_400000_NS6detail17trampoline_kernelINS0_13select_configILj256ELj13ELNS0_17block_load_methodE3ELS4_3ELS4_3ELNS0_20block_scan_algorithmE0ELj4294967295EEENS1_25partition_config_selectorILNS1_17partition_subalgoE4EjNS0_10empty_typeEbEEZZNS1_14partition_implILS8_4ELb0ES6_15HIP_vector_typeIjLj2EENS0_17counting_iteratorIjlEEPS9_SG_NS0_5tupleIJPjSI_NS0_16reverse_iteratorISI_EEEEENSH_IJSG_SG_SG_EEES9_SI_JZNS1_25segmented_radix_sort_implINS0_14default_configELb0EPKiPiPKlPlN2at6native12_GLOBAL__N_18offset_tEEE10hipError_tPvRmT1_PNSt15iterator_traitsIS12_E10value_typeET2_T3_PNS13_IS18_E10value_typeET4_jRbjT5_S1E_jjP12ihipStream_tbEUljE_ZNSN_ISO_Lb0ESQ_SR_ST_SU_SY_EESZ_S10_S11_S12_S16_S17_S18_S1B_S1C_jS1D_jS1E_S1E_jjS1G_bEUljE0_EEESZ_S10_S11_S18_S1C_S1E_T6_T7_T9_mT8_S1G_bDpT10_ENKUlT_T0_E_clISt17integral_constantIbLb0EES1T_IbLb1EEEEDaS1P_S1Q_EUlS1P_E_NS1_11comp_targetILNS1_3genE10ELNS1_11target_archE1200ELNS1_3gpuE4ELNS1_3repE0EEENS1_30default_config_static_selectorELNS0_4arch9wavefront6targetE0EEEvS12_
	.p2align	8
	.type	_ZN7rocprim17ROCPRIM_400000_NS6detail17trampoline_kernelINS0_13select_configILj256ELj13ELNS0_17block_load_methodE3ELS4_3ELS4_3ELNS0_20block_scan_algorithmE0ELj4294967295EEENS1_25partition_config_selectorILNS1_17partition_subalgoE4EjNS0_10empty_typeEbEEZZNS1_14partition_implILS8_4ELb0ES6_15HIP_vector_typeIjLj2EENS0_17counting_iteratorIjlEEPS9_SG_NS0_5tupleIJPjSI_NS0_16reverse_iteratorISI_EEEEENSH_IJSG_SG_SG_EEES9_SI_JZNS1_25segmented_radix_sort_implINS0_14default_configELb0EPKiPiPKlPlN2at6native12_GLOBAL__N_18offset_tEEE10hipError_tPvRmT1_PNSt15iterator_traitsIS12_E10value_typeET2_T3_PNS13_IS18_E10value_typeET4_jRbjT5_S1E_jjP12ihipStream_tbEUljE_ZNSN_ISO_Lb0ESQ_SR_ST_SU_SY_EESZ_S10_S11_S12_S16_S17_S18_S1B_S1C_jS1D_jS1E_S1E_jjS1G_bEUljE0_EEESZ_S10_S11_S18_S1C_S1E_T6_T7_T9_mT8_S1G_bDpT10_ENKUlT_T0_E_clISt17integral_constantIbLb0EES1T_IbLb1EEEEDaS1P_S1Q_EUlS1P_E_NS1_11comp_targetILNS1_3genE10ELNS1_11target_archE1200ELNS1_3gpuE4ELNS1_3repE0EEENS1_30default_config_static_selectorELNS0_4arch9wavefront6targetE0EEEvS12_,@function
_ZN7rocprim17ROCPRIM_400000_NS6detail17trampoline_kernelINS0_13select_configILj256ELj13ELNS0_17block_load_methodE3ELS4_3ELS4_3ELNS0_20block_scan_algorithmE0ELj4294967295EEENS1_25partition_config_selectorILNS1_17partition_subalgoE4EjNS0_10empty_typeEbEEZZNS1_14partition_implILS8_4ELb0ES6_15HIP_vector_typeIjLj2EENS0_17counting_iteratorIjlEEPS9_SG_NS0_5tupleIJPjSI_NS0_16reverse_iteratorISI_EEEEENSH_IJSG_SG_SG_EEES9_SI_JZNS1_25segmented_radix_sort_implINS0_14default_configELb0EPKiPiPKlPlN2at6native12_GLOBAL__N_18offset_tEEE10hipError_tPvRmT1_PNSt15iterator_traitsIS12_E10value_typeET2_T3_PNS13_IS18_E10value_typeET4_jRbjT5_S1E_jjP12ihipStream_tbEUljE_ZNSN_ISO_Lb0ESQ_SR_ST_SU_SY_EESZ_S10_S11_S12_S16_S17_S18_S1B_S1C_jS1D_jS1E_S1E_jjS1G_bEUljE0_EEESZ_S10_S11_S18_S1C_S1E_T6_T7_T9_mT8_S1G_bDpT10_ENKUlT_T0_E_clISt17integral_constantIbLb0EES1T_IbLb1EEEEDaS1P_S1Q_EUlS1P_E_NS1_11comp_targetILNS1_3genE10ELNS1_11target_archE1200ELNS1_3gpuE4ELNS1_3repE0EEENS1_30default_config_static_selectorELNS0_4arch9wavefront6targetE0EEEvS12_: ; @_ZN7rocprim17ROCPRIM_400000_NS6detail17trampoline_kernelINS0_13select_configILj256ELj13ELNS0_17block_load_methodE3ELS4_3ELS4_3ELNS0_20block_scan_algorithmE0ELj4294967295EEENS1_25partition_config_selectorILNS1_17partition_subalgoE4EjNS0_10empty_typeEbEEZZNS1_14partition_implILS8_4ELb0ES6_15HIP_vector_typeIjLj2EENS0_17counting_iteratorIjlEEPS9_SG_NS0_5tupleIJPjSI_NS0_16reverse_iteratorISI_EEEEENSH_IJSG_SG_SG_EEES9_SI_JZNS1_25segmented_radix_sort_implINS0_14default_configELb0EPKiPiPKlPlN2at6native12_GLOBAL__N_18offset_tEEE10hipError_tPvRmT1_PNSt15iterator_traitsIS12_E10value_typeET2_T3_PNS13_IS18_E10value_typeET4_jRbjT5_S1E_jjP12ihipStream_tbEUljE_ZNSN_ISO_Lb0ESQ_SR_ST_SU_SY_EESZ_S10_S11_S12_S16_S17_S18_S1B_S1C_jS1D_jS1E_S1E_jjS1G_bEUljE0_EEESZ_S10_S11_S18_S1C_S1E_T6_T7_T9_mT8_S1G_bDpT10_ENKUlT_T0_E_clISt17integral_constantIbLb0EES1T_IbLb1EEEEDaS1P_S1Q_EUlS1P_E_NS1_11comp_targetILNS1_3genE10ELNS1_11target_archE1200ELNS1_3gpuE4ELNS1_3repE0EEENS1_30default_config_static_selectorELNS0_4arch9wavefront6targetE0EEEvS12_
; %bb.0:
	s_clause 0x7
	s_load_b64 s[34:35], s[0:1], 0x10
	s_load_b128 s[28:31], s[0:1], 0x28
	s_load_b64 s[14:15], s[0:1], 0x38
	s_load_b128 s[24:27], s[0:1], 0x58
	s_load_b64 s[4:5], s[0:1], 0x68
	s_load_b64 s[36:37], s[0:1], 0x78
	;; [unrolled: 1-line block ×3, first 2 shown]
	s_load_b256 s[16:23], s[0:1], 0x90
	v_cmp_eq_u32_e64 s2, 0, v0
	s_and_saveexec_b32 s3, s2
	s_cbranch_execz .LBB565_4
; %bb.1:
	s_mov_b32 s7, exec_lo
	s_mov_b32 s6, exec_lo
	v_mbcnt_lo_u32_b32 v1, s7, 0
                                        ; implicit-def: $vgpr2
	s_delay_alu instid0(VALU_DEP_1)
	v_cmpx_eq_u32_e32 0, v1
	s_cbranch_execz .LBB565_3
; %bb.2:
	s_load_b64 s[8:9], s[0:1], 0x88
	s_bcnt1_i32_b32 s7, s7
	s_wait_alu 0xfffe
	v_dual_mov_b32 v2, 0 :: v_dual_mov_b32 v3, s7
	s_wait_kmcnt 0x0
	global_atomic_add_u32 v2, v2, v3, s[8:9] th:TH_ATOMIC_RETURN scope:SCOPE_DEV
.LBB565_3:
	s_or_b32 exec_lo, exec_lo, s6
	s_wait_loadcnt 0x0
	v_readfirstlane_b32 s6, v2
	s_wait_alu 0xf1ff
	s_delay_alu instid0(VALU_DEP_1)
	v_dual_mov_b32 v2, 0 :: v_dual_add_nc_u32 v1, s6, v1
	ds_store_b32 v2, v1
.LBB565_4:
	s_or_b32 exec_lo, exec_lo, s3
	v_mov_b32_e32 v1, 0
	s_clause 0x1
	s_load_b32 s3, s[0:1], 0x8
	s_load_b32 s0, s[0:1], 0x80
	s_wait_dscnt 0x0
	s_barrier_signal -1
	s_barrier_wait -1
	global_inv scope:SCOPE_SE
	ds_load_b32 v5, v1
	s_wait_loadcnt_dscnt 0x0
	s_barrier_signal -1
	s_barrier_wait -1
	global_inv scope:SCOPE_SE
	s_wait_kmcnt 0x0
	global_load_b128 v[1:4], v1, s[26:27]
	s_mov_b32 s1, 0
	s_add_co_i32 s3, s3, s34
	s_add_co_i32 s6, s0, -1
	s_mulk_i32 s0, 0xd00
	s_delay_alu instid0(SALU_CYCLE_1)
	s_add_co_i32 s7, s0, s34
	s_add_nc_u64 s[0:1], s[34:35], s[0:1]
	v_readfirstlane_b32 s33, v5
	v_cmp_gt_u64_e64 s0, s[4:5], s[0:1]
	s_wait_alu 0xfffe
	s_sub_co_i32 s27, s4, s7
	v_cmp_ne_u32_e32 vcc_lo, s6, v5
	v_mul_lo_u32 v43, 0xd00, v5
	s_addk_co_i32 s27, 0xd00
	s_cmp_eq_u32 s33, s6
	s_mov_b32 s4, -1
	s_cselect_b32 s26, -1, 0
	s_or_b32 s1, s0, vcc_lo
	s_wait_alu 0xfffe
	s_and_b32 vcc_lo, exec_lo, s1
	s_cbranch_vccz .LBB565_6
; %bb.5:
	v_add3_u32 v5, v43, s3, v0
	v_lshlrev_b32_e32 v14, 2, v0
	s_mov_b32 s4, 0
	s_delay_alu instid0(VALU_DEP_2)
	v_add_nc_u32_e32 v6, 0x100, v5
	v_add_nc_u32_e32 v7, 0x200, v5
	;; [unrolled: 1-line block ×12, first 2 shown]
	ds_store_2addr_stride64_b32 v14, v5, v6 offset1:4
	ds_store_2addr_stride64_b32 v14, v7, v8 offset0:8 offset1:12
	ds_store_2addr_stride64_b32 v14, v9, v10 offset0:16 offset1:20
	;; [unrolled: 1-line block ×5, first 2 shown]
	ds_store_b32 v14, v18 offset:12288
	s_wait_loadcnt_dscnt 0x0
	s_barrier_signal -1
	s_barrier_wait -1
.LBB565_6:
	v_cmp_gt_u32_e64 s0, s27, v0
	v_or_b32_e32 v42, 0x100, v0
	v_or_b32_e32 v41, 0x200, v0
	;; [unrolled: 1-line block ×12, first 2 shown]
	s_wait_alu 0xfffe
	s_and_not1_b32 vcc_lo, exec_lo, s4
	s_cbranch_vccnz .LBB565_8
; %bb.7:
	v_add_nc_u32_e32 v5, s3, v43
	v_cmp_gt_u32_e32 vcc_lo, s27, v42
	s_delay_alu instid0(VALU_DEP_2) | instskip(NEXT) | instid1(VALU_DEP_1)
	v_add_nc_u32_e32 v7, v5, v42
	v_dual_cndmask_b32 v7, 0, v7 :: v_dual_add_nc_u32 v8, v5, v41
	v_cmp_gt_u32_e32 vcc_lo, s27, v41
	s_wait_alu 0xfffd
	s_delay_alu instid0(VALU_DEP_2)
	v_cndmask_b32_e32 v8, 0, v8, vcc_lo
	v_cmp_gt_u32_e32 vcc_lo, s27, v40
	v_add_nc_u32_e32 v17, v5, v32
	v_add_nc_u32_e32 v14, v5, v35
	;; [unrolled: 1-line block ×9, first 2 shown]
	s_wait_alu 0xfffd
	v_cndmask_b32_e32 v9, 0, v9, vcc_lo
	v_cmp_gt_u32_e32 vcc_lo, s27, v39
	v_cndmask_b32_e64 v6, 0, v6, s0
	s_wait_alu 0xfffd
	v_cndmask_b32_e32 v10, 0, v10, vcc_lo
	v_cmp_gt_u32_e32 vcc_lo, s27, v38
	v_add_nc_u32_e32 v12, v5, v37
	v_add_nc_u32_e32 v5, v5, v31
	s_wait_alu 0xfffd
	v_cndmask_b32_e32 v11, 0, v11, vcc_lo
	v_cmp_gt_u32_e32 vcc_lo, s27, v37
	s_wait_alu 0xfffd
	v_cndmask_b32_e32 v12, 0, v12, vcc_lo
	v_cmp_gt_u32_e32 vcc_lo, s27, v36
	;; [unrolled: 3-line block ×7, first 2 shown]
	s_wait_alu 0xfffd
	v_dual_cndmask_b32 v5, 0, v5 :: v_dual_lshlrev_b32 v18, 2, v0
	ds_store_2addr_stride64_b32 v18, v6, v7 offset1:4
	ds_store_2addr_stride64_b32 v18, v8, v9 offset0:8 offset1:12
	ds_store_2addr_stride64_b32 v18, v10, v11 offset0:16 offset1:20
	;; [unrolled: 1-line block ×5, first 2 shown]
	ds_store_b32 v18, v5 offset:12288
	s_wait_loadcnt_dscnt 0x0
	s_barrier_signal -1
	s_barrier_wait -1
.LBB565_8:
	v_mul_u32_u24_e32 v46, 13, v0
	s_wait_loadcnt 0x0
	global_inv scope:SCOPE_SE
	v_cndmask_b32_e64 v44, 0, 1, s1
	s_and_not1_b32 vcc_lo, exec_lo, s1
	v_lshlrev_b32_e32 v5, 2, v46
	ds_load_2addr_b32 v[23:24], v5 offset1:1
	ds_load_2addr_b32 v[21:22], v5 offset0:2 offset1:3
	ds_load_2addr_b32 v[19:20], v5 offset0:4 offset1:5
	;; [unrolled: 1-line block ×5, first 2 shown]
	ds_load_b32 v45, v5 offset:48
	s_wait_loadcnt_dscnt 0x0
	s_barrier_signal -1
	s_barrier_wait -1
	global_inv scope:SCOPE_SE
	s_wait_alu 0xfffe
	s_cbranch_vccnz .LBB565_36
; %bb.9:
	v_add_nc_u32_e32 v5, s17, v23
	v_add_nc_u32_e32 v6, s19, v23
	s_mov_b32 s41, 0
	s_mov_b32 s40, 0
	s_mov_b32 s1, exec_lo
	v_mul_lo_u32 v5, v5, s16
	v_mul_lo_u32 v6, v6, s18
	s_delay_alu instid0(VALU_DEP_1) | instskip(NEXT) | instid1(VALU_DEP_1)
	v_sub_nc_u32_e32 v5, v5, v6
	v_cmp_lt_u32_e32 vcc_lo, s20, v5
	v_cmpx_ge_u32_e64 s20, v5
	s_cbranch_execz .LBB565_11
; %bb.10:
	v_add_nc_u32_e32 v5, s22, v23
	v_add_nc_u32_e32 v6, s38, v23
	s_delay_alu instid0(VALU_DEP_2) | instskip(NEXT) | instid1(VALU_DEP_2)
	v_mul_lo_u32 v5, v5, s21
	v_mul_lo_u32 v6, v6, s23
	s_delay_alu instid0(VALU_DEP_1) | instskip(NEXT) | instid1(VALU_DEP_1)
	v_sub_nc_u32_e32 v5, v5, v6
	v_cmp_lt_u32_e64 s0, s39, v5
	s_and_b32 s40, s0, exec_lo
.LBB565_11:
	s_wait_alu 0xfffe
	s_or_b32 exec_lo, exec_lo, s1
	v_add_nc_u32_e32 v5, s17, v24
	v_add_nc_u32_e32 v6, s19, v24
	s_mov_b32 s3, exec_lo
	s_delay_alu instid0(VALU_DEP_2) | instskip(NEXT) | instid1(VALU_DEP_2)
	v_mul_lo_u32 v5, v5, s16
	v_mul_lo_u32 v6, v6, s18
	s_delay_alu instid0(VALU_DEP_1) | instskip(NEXT) | instid1(VALU_DEP_1)
	v_sub_nc_u32_e32 v5, v5, v6
	v_cmp_lt_u32_e64 s0, s20, v5
	v_cmpx_ge_u32_e64 s20, v5
	s_cbranch_execz .LBB565_13
; %bb.12:
	v_add_nc_u32_e32 v5, s22, v24
	v_add_nc_u32_e32 v6, s38, v24
	s_delay_alu instid0(VALU_DEP_2) | instskip(NEXT) | instid1(VALU_DEP_2)
	v_mul_lo_u32 v5, v5, s21
	v_mul_lo_u32 v6, v6, s23
	s_delay_alu instid0(VALU_DEP_1) | instskip(NEXT) | instid1(VALU_DEP_1)
	v_sub_nc_u32_e32 v5, v5, v6
	v_cmp_lt_u32_e64 s1, s39, v5
	s_and_b32 s41, s1, exec_lo
.LBB565_13:
	s_wait_alu 0xfffe
	s_or_b32 exec_lo, exec_lo, s3
	v_add_nc_u32_e32 v5, s17, v21
	v_add_nc_u32_e32 v6, s19, v21
	s_mov_b32 s43, 0
	s_mov_b32 s42, 0
	s_mov_b32 s4, exec_lo
	v_mul_lo_u32 v5, v5, s16
	v_mul_lo_u32 v6, v6, s18
	s_delay_alu instid0(VALU_DEP_1) | instskip(NEXT) | instid1(VALU_DEP_1)
	v_sub_nc_u32_e32 v5, v5, v6
	v_cmp_lt_u32_e64 s1, s20, v5
	v_cmpx_ge_u32_e64 s20, v5
	s_cbranch_execz .LBB565_15
; %bb.14:
	v_add_nc_u32_e32 v5, s22, v21
	v_add_nc_u32_e32 v6, s38, v21
	s_delay_alu instid0(VALU_DEP_2) | instskip(NEXT) | instid1(VALU_DEP_2)
	v_mul_lo_u32 v5, v5, s21
	v_mul_lo_u32 v6, v6, s23
	s_delay_alu instid0(VALU_DEP_1) | instskip(NEXT) | instid1(VALU_DEP_1)
	v_sub_nc_u32_e32 v5, v5, v6
	v_cmp_lt_u32_e64 s3, s39, v5
	s_and_b32 s42, s3, exec_lo
.LBB565_15:
	s_wait_alu 0xfffe
	s_or_b32 exec_lo, exec_lo, s4
	v_add_nc_u32_e32 v5, s17, v22
	v_add_nc_u32_e32 v6, s19, v22
	s_mov_b32 s5, exec_lo
	s_delay_alu instid0(VALU_DEP_2) | instskip(NEXT) | instid1(VALU_DEP_2)
	v_mul_lo_u32 v5, v5, s16
	v_mul_lo_u32 v6, v6, s18
	s_delay_alu instid0(VALU_DEP_1) | instskip(NEXT) | instid1(VALU_DEP_1)
	v_sub_nc_u32_e32 v5, v5, v6
	v_cmp_lt_u32_e64 s3, s20, v5
	v_cmpx_ge_u32_e64 s20, v5
	s_cbranch_execz .LBB565_17
; %bb.16:
	v_add_nc_u32_e32 v5, s22, v22
	v_add_nc_u32_e32 v6, s38, v22
	s_delay_alu instid0(VALU_DEP_2) | instskip(NEXT) | instid1(VALU_DEP_2)
	v_mul_lo_u32 v5, v5, s21
	v_mul_lo_u32 v6, v6, s23
	s_delay_alu instid0(VALU_DEP_1) | instskip(NEXT) | instid1(VALU_DEP_1)
	v_sub_nc_u32_e32 v5, v5, v6
	v_cmp_lt_u32_e64 s4, s39, v5
	s_and_b32 s43, s4, exec_lo
.LBB565_17:
	s_wait_alu 0xfffe
	s_or_b32 exec_lo, exec_lo, s5
	v_add_nc_u32_e32 v5, s17, v19
	v_add_nc_u32_e32 v6, s19, v19
	s_mov_b32 s45, 0
	s_mov_b32 s44, 0
	s_mov_b32 s6, exec_lo
	v_mul_lo_u32 v5, v5, s16
	v_mul_lo_u32 v6, v6, s18
	s_delay_alu instid0(VALU_DEP_1) | instskip(NEXT) | instid1(VALU_DEP_1)
	v_sub_nc_u32_e32 v5, v5, v6
	v_cmp_lt_u32_e64 s4, s20, v5
	;; [unrolled: 49-line block ×3, first 2 shown]
	v_cmpx_ge_u32_e64 s20, v5
	s_cbranch_execz .LBB565_23
; %bb.22:
	v_add_nc_u32_e32 v5, s22, v17
	v_add_nc_u32_e32 v6, s38, v17
	s_delay_alu instid0(VALU_DEP_2) | instskip(NEXT) | instid1(VALU_DEP_2)
	v_mul_lo_u32 v5, v5, s21
	v_mul_lo_u32 v6, v6, s23
	s_delay_alu instid0(VALU_DEP_1) | instskip(NEXT) | instid1(VALU_DEP_1)
	v_sub_nc_u32_e32 v5, v5, v6
	v_cmp_lt_u32_e64 s7, s39, v5
	s_and_b32 s46, s7, exec_lo
.LBB565_23:
	s_or_b32 exec_lo, exec_lo, s8
	v_add_nc_u32_e32 v5, s17, v18
	v_add_nc_u32_e32 v6, s19, v18
	s_mov_b32 s9, exec_lo
	s_delay_alu instid0(VALU_DEP_2) | instskip(NEXT) | instid1(VALU_DEP_2)
	v_mul_lo_u32 v5, v5, s16
	v_mul_lo_u32 v6, v6, s18
	s_delay_alu instid0(VALU_DEP_1) | instskip(NEXT) | instid1(VALU_DEP_1)
	v_sub_nc_u32_e32 v5, v5, v6
	v_cmp_lt_u32_e64 s7, s20, v5
	v_cmpx_ge_u32_e64 s20, v5
	s_cbranch_execz .LBB565_25
; %bb.24:
	v_add_nc_u32_e32 v5, s22, v18
	v_add_nc_u32_e32 v6, s38, v18
	s_delay_alu instid0(VALU_DEP_2) | instskip(NEXT) | instid1(VALU_DEP_2)
	v_mul_lo_u32 v5, v5, s21
	v_mul_lo_u32 v6, v6, s23
	s_delay_alu instid0(VALU_DEP_1) | instskip(NEXT) | instid1(VALU_DEP_1)
	v_sub_nc_u32_e32 v5, v5, v6
	v_cmp_lt_u32_e64 s8, s39, v5
	s_and_b32 s47, s8, exec_lo
.LBB565_25:
	s_or_b32 exec_lo, exec_lo, s9
	v_add_nc_u32_e32 v5, s17, v15
	v_add_nc_u32_e32 v6, s19, v15
	s_mov_b32 s50, 0
	s_mov_b32 s49, 0
	s_mov_b32 s10, exec_lo
	v_mul_lo_u32 v5, v5, s16
	v_mul_lo_u32 v6, v6, s18
	s_delay_alu instid0(VALU_DEP_1) | instskip(NEXT) | instid1(VALU_DEP_1)
	v_sub_nc_u32_e32 v5, v5, v6
	v_cmp_lt_u32_e64 s8, s20, v5
	v_cmpx_ge_u32_e64 s20, v5
	s_cbranch_execz .LBB565_27
; %bb.26:
	v_add_nc_u32_e32 v5, s22, v15
	v_add_nc_u32_e32 v6, s38, v15
	s_delay_alu instid0(VALU_DEP_2) | instskip(NEXT) | instid1(VALU_DEP_2)
	v_mul_lo_u32 v5, v5, s21
	v_mul_lo_u32 v6, v6, s23
	s_delay_alu instid0(VALU_DEP_1) | instskip(NEXT) | instid1(VALU_DEP_1)
	v_sub_nc_u32_e32 v5, v5, v6
	v_cmp_lt_u32_e64 s9, s39, v5
	s_and_b32 s49, s9, exec_lo
.LBB565_27:
	s_or_b32 exec_lo, exec_lo, s10
	v_add_nc_u32_e32 v5, s17, v16
	v_add_nc_u32_e32 v6, s19, v16
	s_mov_b32 s11, exec_lo
	s_delay_alu instid0(VALU_DEP_2) | instskip(NEXT) | instid1(VALU_DEP_2)
	v_mul_lo_u32 v5, v5, s16
	v_mul_lo_u32 v6, v6, s18
	s_delay_alu instid0(VALU_DEP_1) | instskip(NEXT) | instid1(VALU_DEP_1)
	v_sub_nc_u32_e32 v5, v5, v6
	v_cmp_lt_u32_e64 s9, s20, v5
	v_cmpx_ge_u32_e64 s20, v5
	s_cbranch_execz .LBB565_29
; %bb.28:
	v_add_nc_u32_e32 v5, s22, v16
	v_add_nc_u32_e32 v6, s38, v16
	s_delay_alu instid0(VALU_DEP_2) | instskip(NEXT) | instid1(VALU_DEP_2)
	v_mul_lo_u32 v5, v5, s21
	v_mul_lo_u32 v6, v6, s23
	s_delay_alu instid0(VALU_DEP_1) | instskip(NEXT) | instid1(VALU_DEP_1)
	v_sub_nc_u32_e32 v5, v5, v6
	v_cmp_lt_u32_e64 s10, s39, v5
	s_and_b32 s50, s10, exec_lo
.LBB565_29:
	s_or_b32 exec_lo, exec_lo, s11
	v_add_nc_u32_e32 v5, s17, v13
	v_add_nc_u32_e32 v6, s19, v13
	s_mov_b32 s51, 0
	s_mov_b32 s52, 0
	s_mov_b32 s12, exec_lo
	v_mul_lo_u32 v5, v5, s16
	v_mul_lo_u32 v6, v6, s18
	s_delay_alu instid0(VALU_DEP_1) | instskip(NEXT) | instid1(VALU_DEP_1)
	v_sub_nc_u32_e32 v5, v5, v6
	v_cmp_lt_u32_e64 s10, s20, v5
	;; [unrolled: 47-line block ×3, first 2 shown]
	v_cmpx_ge_u32_e64 s20, v5
	s_cbranch_execz .LBB565_35
; %bb.34:
	v_add_nc_u32_e32 v5, s22, v45
	v_add_nc_u32_e32 v6, s38, v45
	s_delay_alu instid0(VALU_DEP_2) | instskip(NEXT) | instid1(VALU_DEP_2)
	v_mul_lo_u32 v5, v5, s21
	v_mul_lo_u32 v6, v6, s23
	s_delay_alu instid0(VALU_DEP_1) | instskip(NEXT) | instid1(VALU_DEP_1)
	v_sub_nc_u32_e32 v5, v5, v6
	v_cmp_lt_u32_e64 s13, s39, v5
	s_and_b32 s53, s13, exec_lo
.LBB565_35:
	s_or_b32 exec_lo, exec_lo, s54
	v_cndmask_b32_e64 v6, 0, 1, s0
	v_cndmask_b32_e64 v8, 0, 1, s3
	s_wait_alu 0xfffd
	v_cndmask_b32_e64 v5, 0, 1, vcc_lo
	v_cndmask_b32_e64 v7, 0, 1, s1
	v_cndmask_b32_e64 v10, 0, 1, s5
	v_lshlrev_b16 v6, 8, v6
	v_lshlrev_b16 v8, 8, v8
	s_wait_alu 0xf1ff
	v_cndmask_b32_e64 v12, 0, 1, s7
	v_cndmask_b32_e64 v26, 0, 1, s9
	v_cndmask_b32_e64 v29, 0, 1, s12
	v_or_b32_e32 v5, v5, v6
	v_or_b32_e32 v6, v7, v8
	v_cndmask_b32_e64 v56, 0, 1, s40
	v_cndmask_b32_e64 v9, 0, 1, s4
	;; [unrolled: 1-line block ×3, first 2 shown]
	v_and_b32_e32 v5, 0xffff, v5
	v_lshlrev_b32_e32 v6, 16, v6
	v_cndmask_b32_e64 v25, 0, 1, s8
	v_cndmask_b32_e64 v27, 0, 1, s10
	;; [unrolled: 1-line block ×8, first 2 shown]
	v_or_b32_e32 v47, v5, v6
	v_lshlrev_b16 v5, 8, v10
	v_lshlrev_b16 v6, 8, v12
	;; [unrolled: 1-line block ×5, first 2 shown]
	v_cndmask_b32_e64 v30, 0, 1, s50
	v_cndmask_b32_e64 v49, 0, 1, s47
	;; [unrolled: 1-line block ×5, first 2 shown]
	v_or_b32_e32 v5, v9, v5
	v_or_b32_e32 v6, v11, v6
	;; [unrolled: 1-line block ×5, first 2 shown]
	v_lshlrev_b16 v8, 8, v8
	v_lshlrev_b16 v12, 8, v54
	;; [unrolled: 1-line block ×5, first 2 shown]
	v_or_b32_e32 v8, v55, v8
	v_or_b32_e32 v7, v7, v12
	;; [unrolled: 1-line block ×5, first 2 shown]
	v_and_b32_e32 v5, 0xffff, v5
	v_lshlrev_b32_e32 v6, 16, v6
	v_and_b32_e32 v9, 0xffff, v9
	v_lshlrev_b32_e32 v10, 16, v10
	;; [unrolled: 2-line block ×5, first 2 shown]
	v_cndmask_b32_e64 v50, 0, 1, s51
	v_cndmask_b32_e64 v53, 0, 1, s53
	v_or_b32_e32 v49, v5, v6
	v_or_b32_e32 v52, v9, v10
	;; [unrolled: 1-line block ×5, first 2 shown]
	s_and_b32 vcc_lo, exec_lo, s48
	s_wait_alu 0xfffe
	s_cbranch_vccnz .LBB565_37
	s_branch .LBB565_114
.LBB565_36:
                                        ; implicit-def: $vgpr53
                                        ; implicit-def: $vgpr50
                                        ; implicit-def: $vgpr51
                                        ; implicit-def: $vgpr48
                                        ; implicit-def: $vgpr54
                                        ; implicit-def: $vgpr52
                                        ; implicit-def: $vgpr49
                                        ; implicit-def: $vgpr47
	s_cbranch_execz .LBB565_114
.LBB565_37:
	v_dual_mov_b32 v6, 0 :: v_dual_mov_b32 v5, 0
	s_mov_b32 s1, exec_lo
	v_cmpx_gt_u32_e64 s27, v46
	s_cbranch_execz .LBB565_41
; %bb.38:
	v_add_nc_u32_e32 v5, s17, v23
	v_add_nc_u32_e32 v6, s19, v23
	s_mov_b32 s4, 0
	s_mov_b32 s3, exec_lo
	s_delay_alu instid0(VALU_DEP_2) | instskip(NEXT) | instid1(VALU_DEP_2)
	v_mul_lo_u32 v5, v5, s16
	v_mul_lo_u32 v6, v6, s18
	s_delay_alu instid0(VALU_DEP_1) | instskip(NEXT) | instid1(VALU_DEP_1)
	v_sub_nc_u32_e32 v5, v5, v6
	v_cmp_lt_u32_e32 vcc_lo, s20, v5
	v_cmpx_ge_u32_e64 s20, v5
	s_cbranch_execz .LBB565_40
; %bb.39:
	v_add_nc_u32_e32 v5, s22, v23
	v_add_nc_u32_e32 v6, s38, v23
	s_delay_alu instid0(VALU_DEP_2) | instskip(NEXT) | instid1(VALU_DEP_2)
	v_mul_lo_u32 v5, v5, s21
	v_mul_lo_u32 v6, v6, s23
	s_delay_alu instid0(VALU_DEP_1) | instskip(NEXT) | instid1(VALU_DEP_1)
	v_sub_nc_u32_e32 v5, v5, v6
	v_cmp_lt_u32_e64 s0, s39, v5
	s_and_b32 s4, s0, exec_lo
.LBB565_40:
	s_wait_alu 0xfffe
	s_or_b32 exec_lo, exec_lo, s3
	v_cndmask_b32_e64 v6, 0, 1, s4
	s_wait_alu 0xfffd
	v_cndmask_b32_e64 v5, 0, 1, vcc_lo
.LBB565_41:
	s_wait_alu 0xfffe
	s_or_b32 exec_lo, exec_lo, s1
	v_lshlrev_b16 v6, 8, v6
	v_add_nc_u32_e32 v7, 1, v46
	v_and_b32_e32 v10, 0xff, v5
	v_lshlrev_b16 v5, 8, 0
                                        ; implicit-def: $vgpr9
                                        ; implicit-def: $vgpr12
                                        ; implicit-def: $vgpr8
	s_delay_alu instid0(VALU_DEP_4) | instskip(NEXT) | instid1(VALU_DEP_4)
	v_and_b32_e32 v6, 0xffff, v6
	v_cmp_le_u32_e32 vcc_lo, s27, v7
                                        ; implicit-def: $vgpr7
	s_delay_alu instid0(VALU_DEP_2)
	v_lshrrev_b32_e32 v25, 8, v6
	v_and_b32_e32 v11, 0xff, v6
                                        ; implicit-def: $vgpr6
	s_and_saveexec_b32 s0, vcc_lo
	s_wait_alu 0xfffe
	s_xor_b32 s0, exec_lo, s0
	s_cbranch_execz .LBB565_43
; %bb.42:
	v_lshlrev_b16 v6, 8, v25
	v_and_b32_e32 v8, 0xffff, v5
                                        ; implicit-def: $vgpr25
	v_mov_b32_e32 v9, 0
	s_delay_alu instid0(VALU_DEP_3) | instskip(SKIP_1) | instid1(VALU_DEP_2)
	v_or_b32_e32 v7, v11, v6
	v_mov_b32_e32 v6, 0
                                        ; implicit-def: $vgpr11
	v_and_b32_e32 v12, 0xffff, v7
	v_and_b32_e32 v7, 0xffff, v5
                                        ; implicit-def: $vgpr5
.LBB565_43:
	s_wait_alu 0xfffe
	s_and_not1_saveexec_b32 s1, s0
	s_cbranch_execz .LBB565_47
; %bb.44:
	v_add_nc_u32_e32 v6, s17, v24
	v_add_nc_u32_e32 v7, s19, v24
	s_mov_b32 s3, 0
	s_mov_b32 s4, exec_lo
	s_delay_alu instid0(VALU_DEP_2) | instskip(NEXT) | instid1(VALU_DEP_2)
	v_mul_lo_u32 v6, v6, s16
	v_mul_lo_u32 v7, v7, s18
	s_delay_alu instid0(VALU_DEP_1) | instskip(NEXT) | instid1(VALU_DEP_1)
	v_sub_nc_u32_e32 v6, v6, v7
	v_cmp_lt_u32_e32 vcc_lo, s20, v6
	v_cmpx_ge_u32_e64 s20, v6
	s_cbranch_execz .LBB565_46
; %bb.45:
	v_add_nc_u32_e32 v6, s22, v24
	v_add_nc_u32_e32 v7, s38, v24
	s_delay_alu instid0(VALU_DEP_2) | instskip(NEXT) | instid1(VALU_DEP_2)
	v_mul_lo_u32 v6, v6, s21
	v_mul_lo_u32 v7, v7, s23
	s_delay_alu instid0(VALU_DEP_1) | instskip(NEXT) | instid1(VALU_DEP_1)
	v_sub_nc_u32_e32 v6, v6, v7
	v_cmp_lt_u32_e64 s0, s39, v6
	s_and_b32 s3, s0, exec_lo
.LBB565_46:
	s_wait_alu 0xfffe
	s_or_b32 exec_lo, exec_lo, s4
	s_wait_alu 0xfffd
	v_cndmask_b32_e64 v6, 0, 1, vcc_lo
	v_lshlrev_b16 v7, 8, v25
	v_dual_mov_b32 v9, 0 :: v_dual_and_b32 v8, 0xffff, v5
	s_delay_alu instid0(VALU_DEP_3) | instskip(NEXT) | instid1(VALU_DEP_3)
	v_lshlrev_b16 v6, 8, v6
	v_or_b32_e32 v7, v11, v7
	v_cndmask_b32_e64 v11, 0, 1, s3
	s_delay_alu instid0(VALU_DEP_3) | instskip(NEXT) | instid1(VALU_DEP_3)
	v_or_b32_e32 v10, v10, v6
	v_dual_mov_b32 v6, 0 :: v_dual_and_b32 v7, 0xffff, v7
	s_delay_alu instid0(VALU_DEP_2) | instskip(NEXT) | instid1(VALU_DEP_2)
	v_and_b32_e32 v10, 0xffff, v10
	v_lshl_or_b32 v12, v11, 16, v7
	v_and_b32_e32 v7, 0xffff, v5
.LBB565_47:
	s_wait_alu 0xfffe
	s_or_b32 exec_lo, exec_lo, s1
	v_add_nc_u32_e32 v5, 2, v46
	v_and_b32_e32 v25, 0xff, v10
	v_lshrrev_b32_e32 v26, 8, v10
                                        ; implicit-def: $vgpr11
	s_delay_alu instid0(VALU_DEP_3)
	v_cmp_le_u32_e32 vcc_lo, s27, v5
                                        ; implicit-def: $vgpr5
	s_and_saveexec_b32 s0, vcc_lo
	s_wait_alu 0xfffe
	s_xor_b32 s0, exec_lo, s0
	s_cbranch_execz .LBB565_49
; %bb.48:
	v_lshlrev_b16 v5, 8, v26
	v_perm_b32 v8, v8, v8, 0x3060504
                                        ; implicit-def: $vgpr26
	s_delay_alu instid0(VALU_DEP_2) | instskip(SKIP_1) | instid1(VALU_DEP_2)
	v_or_b32_e32 v5, v25, v5
	v_and_b32_e32 v25, 0xff0000, v12
	v_and_b32_e32 v5, 0xffff, v5
	s_delay_alu instid0(VALU_DEP_1) | instskip(NEXT) | instid1(VALU_DEP_3)
	v_and_or_b32 v11, 0xff000000, v10, v5
	v_perm_b32 v5, v12, v25, 0x3020504
                                        ; implicit-def: $vgpr25
                                        ; implicit-def: $vgpr10
                                        ; implicit-def: $vgpr12
.LBB565_49:
	s_wait_alu 0xfffe
	s_and_not1_saveexec_b32 s1, s0
	s_cbranch_execz .LBB565_53
; %bb.50:
	v_add_nc_u32_e32 v5, s17, v21
	v_add_nc_u32_e32 v11, s19, v21
	s_mov_b32 s3, 0
	s_mov_b32 s4, exec_lo
	s_delay_alu instid0(VALU_DEP_2) | instskip(NEXT) | instid1(VALU_DEP_2)
	v_mul_lo_u32 v5, v5, s16
	v_mul_lo_u32 v11, v11, s18
	s_delay_alu instid0(VALU_DEP_1) | instskip(NEXT) | instid1(VALU_DEP_1)
	v_sub_nc_u32_e32 v5, v5, v11
	v_cmp_lt_u32_e32 vcc_lo, s20, v5
	v_cmpx_ge_u32_e64 s20, v5
	s_cbranch_execz .LBB565_52
; %bb.51:
	v_add_nc_u32_e32 v5, s22, v21
	v_add_nc_u32_e32 v11, s38, v21
	s_delay_alu instid0(VALU_DEP_2) | instskip(NEXT) | instid1(VALU_DEP_2)
	v_mul_lo_u32 v5, v5, s21
	v_mul_lo_u32 v11, v11, s23
	s_delay_alu instid0(VALU_DEP_1) | instskip(NEXT) | instid1(VALU_DEP_1)
	v_sub_nc_u32_e32 v5, v5, v11
	v_cmp_lt_u32_e64 s0, s39, v5
	s_and_b32 s3, s0, exec_lo
.LBB565_52:
	s_wait_alu 0xfffe
	s_or_b32 exec_lo, exec_lo, s4
	v_lshrrev_b32_e32 v10, 24, v10
	v_cndmask_b32_e64 v11, 0, 1, s3
	v_lshrrev_b32_e32 v27, 8, v12
	v_lshrrev_b32_e32 v28, 16, v12
	s_wait_alu 0xfffd
	v_cndmask_b32_e64 v5, 0, 1, vcc_lo
	v_lshlrev_b16 v26, 8, v26
	v_lshlrev_b16 v10, 8, v10
	v_and_b32_e32 v12, 0xff, v12
	v_lshlrev_b16 v27, 8, v27
	v_lshlrev_b16 v11, 8, v11
	v_and_b32_e32 v28, 0xff, v28
	v_or_b32_e32 v25, v25, v26
	v_or_b32_e32 v5, v5, v10
	;; [unrolled: 1-line block ×3, first 2 shown]
	s_delay_alu instid0(VALU_DEP_4) | instskip(NEXT) | instid1(VALU_DEP_4)
	v_or_b32_e32 v11, v28, v11
	v_and_b32_e32 v12, 0xffff, v25
	s_delay_alu instid0(VALU_DEP_4) | instskip(NEXT) | instid1(VALU_DEP_4)
	v_lshlrev_b32_e32 v5, 16, v5
	v_and_b32_e32 v10, 0xffff, v10
	s_delay_alu instid0(VALU_DEP_4) | instskip(NEXT) | instid1(VALU_DEP_3)
	v_lshlrev_b32_e32 v25, 16, v11
	v_or_b32_e32 v11, v12, v5
	s_delay_alu instid0(VALU_DEP_2)
	v_or_b32_e32 v5, v10, v25
.LBB565_53:
	s_wait_alu 0xfffe
	s_or_b32 exec_lo, exec_lo, s1
	v_add_nc_u32_e32 v10, 3, v46
	v_lshrrev_b32_e32 v12, 24, v9
	v_lshrrev_b32_e32 v25, 16, v9
	;; [unrolled: 1-line block ×3, first 2 shown]
                                        ; implicit-def: $vgpr47
	s_delay_alu instid0(VALU_DEP_4)
	v_cmp_le_u32_e32 vcc_lo, s27, v10
                                        ; implicit-def: $vgpr10
	s_and_saveexec_b32 s0, vcc_lo
	s_wait_alu 0xfffe
	s_xor_b32 s0, exec_lo, s0
	s_cbranch_execz .LBB565_55
; %bb.54:
	v_lshlrev_b16 v10, 8, v12
	v_and_b32_e32 v12, 0xff, v25
	v_lshlrev_b16 v9, 8, v9
	v_perm_b32 v8, v8, v8, 0x3060504
	v_perm_b32 v7, v7, v7, 0x3060504
                                        ; implicit-def: $vgpr25
	s_delay_alu instid0(VALU_DEP_4) | instskip(SKIP_2) | instid1(VALU_DEP_3)
	v_or_b32_e32 v10, v12, v10
	v_and_b32_e32 v12, 0xff0000, v11
	v_and_b32_e32 v9, 0xffff, v9
	v_lshlrev_b32_e32 v10, 16, v10
	s_delay_alu instid0(VALU_DEP_3) | instskip(NEXT) | instid1(VALU_DEP_2)
	v_perm_b32 v47, v11, v12, 0x3020504
                                        ; implicit-def: $vgpr11
                                        ; implicit-def: $vgpr12
	v_or_b32_e32 v10, v9, v10
                                        ; implicit-def: $vgpr9
.LBB565_55:
	s_wait_alu 0xfffe
	s_and_not1_saveexec_b32 s1, s0
	s_cbranch_execz .LBB565_59
; %bb.56:
	v_add_nc_u32_e32 v10, s17, v22
	v_add_nc_u32_e32 v26, s19, v22
	s_mov_b32 s3, 0
	s_mov_b32 s4, exec_lo
	s_delay_alu instid0(VALU_DEP_2) | instskip(NEXT) | instid1(VALU_DEP_2)
	v_mul_lo_u32 v10, v10, s16
	v_mul_lo_u32 v26, v26, s18
	s_delay_alu instid0(VALU_DEP_1) | instskip(NEXT) | instid1(VALU_DEP_1)
	v_sub_nc_u32_e32 v10, v10, v26
	v_cmp_lt_u32_e32 vcc_lo, s20, v10
	v_cmpx_ge_u32_e64 s20, v10
	s_cbranch_execz .LBB565_58
; %bb.57:
	v_add_nc_u32_e32 v10, s22, v22
	v_add_nc_u32_e32 v26, s38, v22
	s_delay_alu instid0(VALU_DEP_2) | instskip(NEXT) | instid1(VALU_DEP_2)
	v_mul_lo_u32 v10, v10, s21
	v_mul_lo_u32 v26, v26, s23
	s_delay_alu instid0(VALU_DEP_1) | instskip(NEXT) | instid1(VALU_DEP_1)
	v_sub_nc_u32_e32 v10, v10, v26
	v_cmp_lt_u32_e64 s0, s39, v10
	s_and_b32 s3, s0, exec_lo
.LBB565_58:
	s_wait_alu 0xfffe
	s_or_b32 exec_lo, exec_lo, s4
	v_lshrrev_b32_e32 v10, 8, v11
	s_wait_alu 0xfffd
	v_cndmask_b32_e64 v26, 0, 1, vcc_lo
	v_lshrrev_b32_e32 v27, 16, v11
	v_cndmask_b32_e64 v28, 0, 1, s3
	v_and_b32_e32 v11, 0xff, v11
	v_lshlrev_b16 v10, 8, v10
	v_lshlrev_b16 v26, 8, v26
	v_and_b32_e32 v27, 0xff, v27
	v_lshlrev_b16 v12, 8, v12
	v_and_b32_e32 v25, 0xff, v25
	v_lshlrev_b16 v9, 8, v9
	v_or_b32_e32 v10, v11, v10
	v_or_b32_e32 v11, v27, v26
	s_delay_alu instid0(VALU_DEP_4) | instskip(NEXT) | instid1(VALU_DEP_4)
	v_or_b32_e32 v12, v25, v12
	v_or_b32_e32 v9, v28, v9
	s_delay_alu instid0(VALU_DEP_4) | instskip(NEXT) | instid1(VALU_DEP_4)
	v_and_b32_e32 v10, 0xffff, v10
	v_lshlrev_b32_e32 v11, 16, v11
	s_delay_alu instid0(VALU_DEP_4) | instskip(NEXT) | instid1(VALU_DEP_4)
	v_lshlrev_b32_e32 v12, 16, v12
	v_and_b32_e32 v9, 0xffff, v9
	s_delay_alu instid0(VALU_DEP_3) | instskip(NEXT) | instid1(VALU_DEP_2)
	v_or_b32_e32 v47, v10, v11
	v_or_b32_e32 v10, v9, v12
.LBB565_59:
	s_wait_alu 0xfffe
	s_or_b32 exec_lo, exec_lo, s1
	v_add_nc_u32_e32 v9, 4, v46
	v_lshrrev_b32_e32 v25, 8, v8
	v_lshrrev_b32_e32 v26, 16, v8
	;; [unrolled: 1-line block ×4, first 2 shown]
	v_cmp_le_u32_e32 vcc_lo, s27, v9
	v_lshrrev_b32_e32 v12, 16, v10
                                        ; implicit-def: $vgpr8
                                        ; implicit-def: $vgpr9
	s_and_saveexec_b32 s0, vcc_lo
	s_wait_alu 0xfffe
	s_xor_b32 s0, exec_lo, s0
	s_cbranch_execz .LBB565_61
; %bb.60:
	v_lshlrev_b16 v8, 8, v27
	v_and_b32_e32 v9, 0xff, v26
	v_lshlrev_b16 v25, 8, v25
	v_lshlrev_b16 v11, 8, v11
	v_and_b32_e32 v12, 0xff, v12
	v_perm_b32 v7, v7, v7, 0x3060504
	v_or_b32_e32 v8, v9, v8
	v_and_b32_e32 v9, 0xffff, v25
                                        ; implicit-def: $vgpr25
                                        ; implicit-def: $vgpr26
                                        ; implicit-def: $vgpr27
	s_delay_alu instid0(VALU_DEP_4) | instskip(NEXT) | instid1(VALU_DEP_3)
	v_or_b32_e32 v11, v12, v11
	v_lshlrev_b32_e32 v12, 16, v8
	s_delay_alu instid0(VALU_DEP_2) | instskip(NEXT) | instid1(VALU_DEP_2)
	v_perm_b32 v8, v11, v10, 0x5040c00
                                        ; implicit-def: $vgpr10
                                        ; implicit-def: $vgpr11
	v_or_b32_e32 v9, v9, v12
                                        ; implicit-def: $vgpr12
.LBB565_61:
	s_wait_alu 0xfffe
	s_and_not1_saveexec_b32 s1, s0
	s_cbranch_execz .LBB565_65
; %bb.62:
	v_add_nc_u32_e32 v8, s17, v19
	v_add_nc_u32_e32 v9, s19, v19
	s_mov_b32 s3, 0
	s_mov_b32 s4, exec_lo
	s_delay_alu instid0(VALU_DEP_2) | instskip(NEXT) | instid1(VALU_DEP_2)
	v_mul_lo_u32 v8, v8, s16
	v_mul_lo_u32 v9, v9, s18
	s_delay_alu instid0(VALU_DEP_1) | instskip(NEXT) | instid1(VALU_DEP_1)
	v_sub_nc_u32_e32 v8, v8, v9
	v_cmp_lt_u32_e32 vcc_lo, s20, v8
	v_cmpx_ge_u32_e64 s20, v8
	s_cbranch_execz .LBB565_64
; %bb.63:
	v_add_nc_u32_e32 v8, s22, v19
	v_add_nc_u32_e32 v9, s38, v19
	s_delay_alu instid0(VALU_DEP_2) | instskip(NEXT) | instid1(VALU_DEP_2)
	v_mul_lo_u32 v8, v8, s21
	v_mul_lo_u32 v9, v9, s23
	s_delay_alu instid0(VALU_DEP_1) | instskip(NEXT) | instid1(VALU_DEP_1)
	v_sub_nc_u32_e32 v8, v8, v9
	v_cmp_lt_u32_e64 s0, s39, v8
	s_and_b32 s3, s0, exec_lo
.LBB565_64:
	s_wait_alu 0xfffe
	s_or_b32 exec_lo, exec_lo, s4
	v_cndmask_b32_e64 v8, 0, 1, s3
	s_wait_alu 0xfffd
	v_cndmask_b32_e64 v9, 0, 1, vcc_lo
	v_lshlrev_b16 v27, 8, v27
	v_and_b32_e32 v26, 0xff, v26
	v_lshlrev_b16 v25, 8, v25
	v_lshlrev_b16 v8, 8, v8
	v_and_b32_e32 v10, 0xff, v10
	v_lshlrev_b16 v11, 8, v11
	v_and_b32_e32 v12, 0xff, v12
	v_or_b32_e32 v26, v26, v27
	v_or_b32_e32 v9, v9, v25
	;; [unrolled: 1-line block ×3, first 2 shown]
	s_delay_alu instid0(VALU_DEP_4) | instskip(NEXT) | instid1(VALU_DEP_4)
	v_or_b32_e32 v10, v12, v11
	v_lshlrev_b32_e32 v11, 16, v26
	s_delay_alu instid0(VALU_DEP_4) | instskip(NEXT) | instid1(VALU_DEP_4)
	v_and_b32_e32 v9, 0xffff, v9
	v_and_b32_e32 v8, 0xffff, v8
	s_delay_alu instid0(VALU_DEP_4) | instskip(NEXT) | instid1(VALU_DEP_3)
	v_lshlrev_b32_e32 v10, 16, v10
	v_or_b32_e32 v9, v9, v11
	s_delay_alu instid0(VALU_DEP_2)
	v_or_b32_e32 v8, v8, v10
.LBB565_65:
	s_wait_alu 0xfffe
	s_or_b32 exec_lo, exec_lo, s1
	v_add_nc_u32_e32 v10, 5, v46
	v_lshrrev_b32_e32 v25, 16, v9
	v_lshrrev_b32_e32 v27, 24, v9
	v_and_b32_e32 v12, 0xff, v8
	v_lshrrev_b32_e32 v26, 8, v8
	v_cmp_le_u32_e32 vcc_lo, s27, v10
                                        ; implicit-def: $vgpr10
                                        ; implicit-def: $vgpr11
	s_and_saveexec_b32 s0, vcc_lo
	s_wait_alu 0xfffe
	s_xor_b32 s0, exec_lo, s0
	s_cbranch_execz .LBB565_67
; %bb.66:
	v_lshlrev_b16 v10, 8, v26
	v_lshlrev_b16 v11, 8, v27
	v_and_b32_e32 v25, 0xff, v25
	v_perm_b32 v7, v7, v7, 0x3060504
                                        ; implicit-def: $vgpr27
                                        ; implicit-def: $vgpr26
	s_delay_alu instid0(VALU_DEP_4) | instskip(NEXT) | instid1(VALU_DEP_3)
	v_or_b32_e32 v10, v12, v10
                                        ; implicit-def: $vgpr12
	v_or_b32_e32 v11, v25, v11
                                        ; implicit-def: $vgpr25
	s_delay_alu instid0(VALU_DEP_2) | instskip(NEXT) | instid1(VALU_DEP_2)
	v_and_b32_e32 v10, 0xffff, v10
	v_perm_b32 v11, v11, v9, 0x5040c00
                                        ; implicit-def: $vgpr9
	s_delay_alu instid0(VALU_DEP_2)
	v_and_or_b32 v10, 0xff000000, v8, v10
                                        ; implicit-def: $vgpr8
.LBB565_67:
	s_wait_alu 0xfffe
	s_and_not1_saveexec_b32 s1, s0
	s_cbranch_execz .LBB565_71
; %bb.68:
	v_add_nc_u32_e32 v10, s17, v20
	v_add_nc_u32_e32 v11, s19, v20
	s_mov_b32 s3, 0
	s_mov_b32 s4, exec_lo
	s_delay_alu instid0(VALU_DEP_2) | instskip(NEXT) | instid1(VALU_DEP_2)
	v_mul_lo_u32 v10, v10, s16
	v_mul_lo_u32 v11, v11, s18
	s_delay_alu instid0(VALU_DEP_1) | instskip(NEXT) | instid1(VALU_DEP_1)
	v_sub_nc_u32_e32 v10, v10, v11
	v_cmp_lt_u32_e32 vcc_lo, s20, v10
	v_cmpx_ge_u32_e64 s20, v10
	s_cbranch_execz .LBB565_70
; %bb.69:
	v_add_nc_u32_e32 v10, s22, v20
	v_add_nc_u32_e32 v11, s38, v20
	s_delay_alu instid0(VALU_DEP_2) | instskip(NEXT) | instid1(VALU_DEP_2)
	v_mul_lo_u32 v10, v10, s21
	v_mul_lo_u32 v11, v11, s23
	s_delay_alu instid0(VALU_DEP_1) | instskip(NEXT) | instid1(VALU_DEP_1)
	v_sub_nc_u32_e32 v10, v10, v11
	v_cmp_lt_u32_e64 s0, s39, v10
	s_and_b32 s3, s0, exec_lo
.LBB565_70:
	s_wait_alu 0xfffe
	s_or_b32 exec_lo, exec_lo, s4
	s_wait_alu 0xfffd
	v_cndmask_b32_e64 v10, 0, 1, vcc_lo
	v_lshrrev_b32_e32 v8, 24, v8
	v_cndmask_b32_e64 v11, 0, 1, s3
	v_lshlrev_b16 v27, 8, v27
	v_and_b32_e32 v25, 0xff, v25
	v_lshlrev_b16 v10, 8, v10
	v_lshlrev_b16 v26, 8, v26
	v_and_b32_e32 v9, 0xff, v9
	v_lshlrev_b16 v8, 8, v8
	v_or_b32_e32 v25, v25, v27
	s_delay_alu instid0(VALU_DEP_4) | instskip(NEXT) | instid1(VALU_DEP_4)
	v_or_b32_e32 v12, v12, v26
	v_or_b32_e32 v9, v9, v10
	s_delay_alu instid0(VALU_DEP_4) | instskip(NEXT) | instid1(VALU_DEP_4)
	v_or_b32_e32 v8, v11, v8
	v_lshlrev_b32_e32 v10, 16, v25
	s_delay_alu instid0(VALU_DEP_4) | instskip(NEXT) | instid1(VALU_DEP_4)
	v_and_b32_e32 v12, 0xffff, v12
	v_and_b32_e32 v9, 0xffff, v9
	s_delay_alu instid0(VALU_DEP_4) | instskip(NEXT) | instid1(VALU_DEP_2)
	v_lshlrev_b32_e32 v8, 16, v8
	v_or_b32_e32 v11, v9, v10
	s_delay_alu instid0(VALU_DEP_2)
	v_or_b32_e32 v10, v12, v8
.LBB565_71:
	s_wait_alu 0xfffe
	s_or_b32 exec_lo, exec_lo, s1
	v_add_nc_u32_e32 v8, 6, v46
	v_lshrrev_b32_e32 v12, 8, v11
                                        ; implicit-def: $vgpr48
                                        ; implicit-def: $vgpr9
	s_delay_alu instid0(VALU_DEP_2)
	v_cmp_le_u32_e32 vcc_lo, s27, v8
	v_and_b32_e32 v8, 0xff, v11
	s_and_saveexec_b32 s0, vcc_lo
	s_wait_alu 0xfffe
	s_xor_b32 s0, exec_lo, s0
	s_cbranch_execz .LBB565_73
; %bb.72:
	v_lshlrev_b16 v9, 8, v12
	v_perm_b32 v7, v7, v7, 0x3060504
                                        ; implicit-def: $vgpr12
	s_delay_alu instid0(VALU_DEP_2) | instskip(SKIP_1) | instid1(VALU_DEP_2)
	v_or_b32_e32 v8, v8, v9
	v_and_b32_e32 v9, 0xff0000, v10
	v_and_b32_e32 v8, 0xffff, v8
	s_delay_alu instid0(VALU_DEP_2) | instskip(NEXT) | instid1(VALU_DEP_2)
	v_perm_b32 v48, v10, v9, 0x3020504
                                        ; implicit-def: $vgpr10
	v_and_or_b32 v9, 0xff000000, v11, v8
                                        ; implicit-def: $vgpr8
                                        ; implicit-def: $vgpr11
.LBB565_73:
	s_wait_alu 0xfffe
	s_and_not1_saveexec_b32 s1, s0
	s_cbranch_execz .LBB565_77
; %bb.74:
	v_add_nc_u32_e32 v9, s17, v17
	v_add_nc_u32_e32 v25, s19, v17
	s_mov_b32 s3, 0
	s_mov_b32 s4, exec_lo
	s_delay_alu instid0(VALU_DEP_2) | instskip(NEXT) | instid1(VALU_DEP_2)
	v_mul_lo_u32 v9, v9, s16
	v_mul_lo_u32 v25, v25, s18
	s_delay_alu instid0(VALU_DEP_1) | instskip(NEXT) | instid1(VALU_DEP_1)
	v_sub_nc_u32_e32 v9, v9, v25
	v_cmp_lt_u32_e32 vcc_lo, s20, v9
	v_cmpx_ge_u32_e64 s20, v9
	s_cbranch_execz .LBB565_76
; %bb.75:
	v_add_nc_u32_e32 v9, s22, v17
	v_add_nc_u32_e32 v25, s38, v17
	s_delay_alu instid0(VALU_DEP_2) | instskip(NEXT) | instid1(VALU_DEP_2)
	v_mul_lo_u32 v9, v9, s21
	v_mul_lo_u32 v25, v25, s23
	s_delay_alu instid0(VALU_DEP_1) | instskip(NEXT) | instid1(VALU_DEP_1)
	v_sub_nc_u32_e32 v9, v9, v25
	v_cmp_lt_u32_e64 s0, s39, v9
	s_and_b32 s3, s0, exec_lo
.LBB565_76:
	s_wait_alu 0xfffe
	s_or_b32 exec_lo, exec_lo, s4
	v_lshrrev_b32_e32 v11, 24, v11
	v_cndmask_b32_e64 v25, 0, 1, s3
	v_lshrrev_b32_e32 v26, 8, v10
	v_lshrrev_b32_e32 v27, 16, v10
	s_wait_alu 0xfffd
	v_cndmask_b32_e64 v9, 0, 1, vcc_lo
	v_lshlrev_b16 v12, 8, v12
	v_lshlrev_b16 v11, 8, v11
	v_and_b32_e32 v10, 0xff, v10
	v_lshlrev_b16 v26, 8, v26
	v_lshlrev_b16 v25, 8, v25
	v_and_b32_e32 v27, 0xff, v27
	v_or_b32_e32 v8, v8, v12
	v_or_b32_e32 v9, v9, v11
	v_or_b32_e32 v10, v10, v26
	s_delay_alu instid0(VALU_DEP_4) | instskip(NEXT) | instid1(VALU_DEP_4)
	v_or_b32_e32 v11, v27, v25
	v_and_b32_e32 v8, 0xffff, v8
	s_delay_alu instid0(VALU_DEP_4) | instskip(NEXT) | instid1(VALU_DEP_4)
	v_lshlrev_b32_e32 v9, 16, v9
	v_and_b32_e32 v10, 0xffff, v10
	s_delay_alu instid0(VALU_DEP_4) | instskip(NEXT) | instid1(VALU_DEP_3)
	v_lshlrev_b32_e32 v11, 16, v11
	v_or_b32_e32 v9, v8, v9
	s_delay_alu instid0(VALU_DEP_2)
	v_or_b32_e32 v48, v10, v11
.LBB565_77:
	s_wait_alu 0xfffe
	s_or_b32 exec_lo, exec_lo, s1
	v_add_nc_u32_e32 v8, 7, v46
	v_lshrrev_b32_e32 v10, 8, v7
	v_lshrrev_b32_e32 v11, 16, v7
	;; [unrolled: 1-line block ×3, first 2 shown]
                                        ; implicit-def: $vgpr49
	s_delay_alu instid0(VALU_DEP_4)
	v_cmp_le_u32_e32 vcc_lo, s27, v8
                                        ; implicit-def: $vgpr8
	s_and_saveexec_b32 s0, vcc_lo
	s_wait_alu 0xfffe
	s_xor_b32 s0, exec_lo, s0
	s_cbranch_execz .LBB565_79
; %bb.78:
	v_lshlrev_b16 v7, 8, v7
	v_and_b32_e32 v8, 0xff, v11
                                        ; implicit-def: $vgpr11
	s_delay_alu instid0(VALU_DEP_1) | instskip(SKIP_2) | instid1(VALU_DEP_3)
	v_or_b32_e32 v7, v8, v7
	v_lshlrev_b16 v8, 8, v10
	v_and_b32_e32 v10, 0xff0000, v9
	v_lshlrev_b32_e32 v7, 16, v7
	s_delay_alu instid0(VALU_DEP_3) | instskip(NEXT) | instid1(VALU_DEP_3)
	v_and_b32_e32 v8, 0xffff, v8
	v_perm_b32 v49, v9, v10, 0x3020504
                                        ; implicit-def: $vgpr9
                                        ; implicit-def: $vgpr10
	s_delay_alu instid0(VALU_DEP_2)
	v_or_b32_e32 v8, v8, v7
                                        ; implicit-def: $vgpr7
.LBB565_79:
	s_wait_alu 0xfffe
	s_and_not1_saveexec_b32 s1, s0
	s_cbranch_execz .LBB565_83
; %bb.80:
	v_add_nc_u32_e32 v8, s17, v18
	v_add_nc_u32_e32 v12, s19, v18
	s_mov_b32 s3, 0
	s_mov_b32 s4, exec_lo
	s_delay_alu instid0(VALU_DEP_2) | instskip(NEXT) | instid1(VALU_DEP_2)
	v_mul_lo_u32 v8, v8, s16
	v_mul_lo_u32 v12, v12, s18
	s_delay_alu instid0(VALU_DEP_1) | instskip(NEXT) | instid1(VALU_DEP_1)
	v_sub_nc_u32_e32 v8, v8, v12
	v_cmp_lt_u32_e32 vcc_lo, s20, v8
	v_cmpx_ge_u32_e64 s20, v8
	s_cbranch_execz .LBB565_82
; %bb.81:
	v_add_nc_u32_e32 v8, s22, v18
	v_add_nc_u32_e32 v12, s38, v18
	s_delay_alu instid0(VALU_DEP_2) | instskip(NEXT) | instid1(VALU_DEP_2)
	v_mul_lo_u32 v8, v8, s21
	v_mul_lo_u32 v12, v12, s23
	s_delay_alu instid0(VALU_DEP_1) | instskip(NEXT) | instid1(VALU_DEP_1)
	v_sub_nc_u32_e32 v8, v8, v12
	v_cmp_lt_u32_e64 s0, s39, v8
	s_and_b32 s3, s0, exec_lo
.LBB565_82:
	s_wait_alu 0xfffe
	s_or_b32 exec_lo, exec_lo, s4
	v_lshrrev_b32_e32 v8, 8, v9
	s_wait_alu 0xfffd
	v_cndmask_b32_e64 v12, 0, 1, vcc_lo
	v_lshrrev_b32_e32 v25, 16, v9
	v_cndmask_b32_e64 v26, 0, 1, s3
	v_and_b32_e32 v9, 0xff, v9
	v_lshlrev_b16 v8, 8, v8
	v_lshlrev_b16 v12, 8, v12
	v_and_b32_e32 v25, 0xff, v25
	v_lshlrev_b16 v7, 8, v7
	v_and_b32_e32 v11, 0xff, v11
	v_lshlrev_b16 v10, 8, v10
	v_or_b32_e32 v8, v9, v8
	v_or_b32_e32 v9, v25, v12
	s_delay_alu instid0(VALU_DEP_4) | instskip(NEXT) | instid1(VALU_DEP_4)
	v_or_b32_e32 v7, v11, v7
	v_or_b32_e32 v10, v26, v10
	s_delay_alu instid0(VALU_DEP_4) | instskip(NEXT) | instid1(VALU_DEP_4)
	v_and_b32_e32 v8, 0xffff, v8
	v_lshlrev_b32_e32 v9, 16, v9
	s_delay_alu instid0(VALU_DEP_4) | instskip(NEXT) | instid1(VALU_DEP_4)
	v_lshlrev_b32_e32 v7, 16, v7
	v_and_b32_e32 v10, 0xffff, v10
	s_delay_alu instid0(VALU_DEP_3) | instskip(NEXT) | instid1(VALU_DEP_2)
	v_or_b32_e32 v49, v8, v9
	v_or_b32_e32 v8, v10, v7
.LBB565_83:
	s_wait_alu 0xfffe
	s_or_b32 exec_lo, exec_lo, s1
	v_add_nc_u32_e32 v7, 8, v46
	s_delay_alu instid0(VALU_DEP_2)
	v_lshrrev_b32_e32 v9, 16, v8
	v_lshrrev_b32_e32 v10, 24, v8
	;; [unrolled: 1-line block ×4, first 2 shown]
	v_cmp_le_u32_e32 vcc_lo, s27, v7
	v_lshrrev_b32_e32 v11, 8, v6
                                        ; implicit-def: $vgpr6
                                        ; implicit-def: $vgpr7
	s_and_saveexec_b32 s0, vcc_lo
	s_wait_alu 0xfffe
	s_xor_b32 s0, exec_lo, s0
	s_cbranch_execz .LBB565_85
; %bb.84:
	v_lshlrev_b16 v6, 8, v12
	v_and_b32_e32 v7, 0xff, v25
	v_lshlrev_b16 v11, 8, v11
	v_lshlrev_b16 v10, 8, v10
	v_perm_b32 v5, v5, v5, 0x3060504
                                        ; implicit-def: $vgpr12
                                        ; implicit-def: $vgpr25
	s_delay_alu instid0(VALU_DEP_4) | instskip(SKIP_2) | instid1(VALU_DEP_3)
	v_or_b32_e32 v6, v7, v6
	v_and_b32_e32 v7, 0xff, v9
	v_and_b32_e32 v9, 0xffff, v11
                                        ; implicit-def: $vgpr11
	v_lshlrev_b32_e32 v6, 16, v6
	s_delay_alu instid0(VALU_DEP_3) | instskip(NEXT) | instid1(VALU_DEP_2)
	v_or_b32_e32 v10, v7, v10
	v_or_b32_e32 v7, v9, v6
	s_delay_alu instid0(VALU_DEP_2)
	v_perm_b32 v6, v10, v8, 0x5040c00
                                        ; implicit-def: $vgpr8
                                        ; implicit-def: $vgpr9
                                        ; implicit-def: $vgpr10
.LBB565_85:
	s_wait_alu 0xfffe
	s_and_not1_saveexec_b32 s1, s0
	s_cbranch_execz .LBB565_89
; %bb.86:
	v_add_nc_u32_e32 v6, s17, v15
	v_add_nc_u32_e32 v7, s19, v15
	s_mov_b32 s3, 0
	s_mov_b32 s4, exec_lo
	s_delay_alu instid0(VALU_DEP_2) | instskip(NEXT) | instid1(VALU_DEP_2)
	v_mul_lo_u32 v6, v6, s16
	v_mul_lo_u32 v7, v7, s18
	s_delay_alu instid0(VALU_DEP_1) | instskip(NEXT) | instid1(VALU_DEP_1)
	v_sub_nc_u32_e32 v6, v6, v7
	v_cmp_lt_u32_e32 vcc_lo, s20, v6
	v_cmpx_ge_u32_e64 s20, v6
	s_cbranch_execz .LBB565_88
; %bb.87:
	v_add_nc_u32_e32 v6, s22, v15
	v_add_nc_u32_e32 v7, s38, v15
	s_delay_alu instid0(VALU_DEP_2) | instskip(NEXT) | instid1(VALU_DEP_2)
	v_mul_lo_u32 v6, v6, s21
	v_mul_lo_u32 v7, v7, s23
	s_delay_alu instid0(VALU_DEP_1) | instskip(NEXT) | instid1(VALU_DEP_1)
	v_sub_nc_u32_e32 v6, v6, v7
	v_cmp_lt_u32_e64 s0, s39, v6
	s_and_b32 s3, s0, exec_lo
.LBB565_88:
	s_wait_alu 0xfffe
	s_or_b32 exec_lo, exec_lo, s4
	v_cndmask_b32_e64 v6, 0, 1, s3
	s_wait_alu 0xfffd
	v_cndmask_b32_e64 v7, 0, 1, vcc_lo
	v_lshlrev_b16 v12, 8, v12
	v_and_b32_e32 v25, 0xff, v25
	v_lshlrev_b16 v11, 8, v11
	v_lshlrev_b16 v6, 8, v6
	v_and_b32_e32 v8, 0xff, v8
	v_lshlrev_b16 v10, 8, v10
	v_and_b32_e32 v9, 0xff, v9
	v_or_b32_e32 v12, v25, v12
	v_or_b32_e32 v7, v7, v11
	;; [unrolled: 1-line block ×3, first 2 shown]
	s_delay_alu instid0(VALU_DEP_4) | instskip(NEXT) | instid1(VALU_DEP_4)
	v_or_b32_e32 v8, v9, v10
	v_lshlrev_b32_e32 v9, 16, v12
	s_delay_alu instid0(VALU_DEP_4) | instskip(NEXT) | instid1(VALU_DEP_4)
	v_and_b32_e32 v7, 0xffff, v7
	v_and_b32_e32 v6, 0xffff, v6
	s_delay_alu instid0(VALU_DEP_4) | instskip(NEXT) | instid1(VALU_DEP_3)
	v_lshlrev_b32_e32 v8, 16, v8
	v_or_b32_e32 v7, v7, v9
	s_delay_alu instid0(VALU_DEP_2)
	v_or_b32_e32 v6, v6, v8
.LBB565_89:
	s_wait_alu 0xfffe
	s_or_b32 exec_lo, exec_lo, s1
	v_add_nc_u32_e32 v8, 9, v46
	s_delay_alu instid0(VALU_DEP_2)
	v_lshrrev_b32_e32 v10, 8, v6
	v_lshrrev_b32_e32 v25, 24, v7
	v_lshrrev_b32_e32 v12, 16, v7
	v_and_b32_e32 v11, 0xff, v6
	v_cmp_le_u32_e32 vcc_lo, s27, v8
                                        ; implicit-def: $vgpr8
                                        ; implicit-def: $vgpr9
	s_and_saveexec_b32 s0, vcc_lo
	s_wait_alu 0xfffe
	s_xor_b32 s0, exec_lo, s0
	s_cbranch_execz .LBB565_91
; %bb.90:
	v_lshlrev_b16 v8, 8, v10
	v_lshlrev_b16 v9, 8, v25
	v_and_b32_e32 v10, 0xff, v12
	v_perm_b32 v5, v5, v5, 0x3060504
                                        ; implicit-def: $vgpr25
                                        ; implicit-def: $vgpr12
	s_delay_alu instid0(VALU_DEP_4) | instskip(NEXT) | instid1(VALU_DEP_3)
	v_or_b32_e32 v8, v11, v8
                                        ; implicit-def: $vgpr11
	v_or_b32_e32 v9, v10, v9
                                        ; implicit-def: $vgpr10
	s_delay_alu instid0(VALU_DEP_2) | instskip(NEXT) | instid1(VALU_DEP_2)
	v_and_b32_e32 v8, 0xffff, v8
	v_perm_b32 v9, v9, v7, 0x5040c00
                                        ; implicit-def: $vgpr7
	s_delay_alu instid0(VALU_DEP_2)
	v_and_or_b32 v8, 0xff000000, v6, v8
                                        ; implicit-def: $vgpr6
.LBB565_91:
	s_wait_alu 0xfffe
	s_and_not1_saveexec_b32 s1, s0
	s_cbranch_execz .LBB565_95
; %bb.92:
	v_add_nc_u32_e32 v8, s17, v16
	v_add_nc_u32_e32 v9, s19, v16
	s_mov_b32 s3, 0
	s_mov_b32 s4, exec_lo
	s_delay_alu instid0(VALU_DEP_2) | instskip(NEXT) | instid1(VALU_DEP_2)
	v_mul_lo_u32 v8, v8, s16
	v_mul_lo_u32 v9, v9, s18
	s_delay_alu instid0(VALU_DEP_1) | instskip(NEXT) | instid1(VALU_DEP_1)
	v_sub_nc_u32_e32 v8, v8, v9
	v_cmp_lt_u32_e32 vcc_lo, s20, v8
	v_cmpx_ge_u32_e64 s20, v8
	s_cbranch_execz .LBB565_94
; %bb.93:
	v_add_nc_u32_e32 v8, s22, v16
	v_add_nc_u32_e32 v9, s38, v16
	s_delay_alu instid0(VALU_DEP_2) | instskip(NEXT) | instid1(VALU_DEP_2)
	v_mul_lo_u32 v8, v8, s21
	v_mul_lo_u32 v9, v9, s23
	s_delay_alu instid0(VALU_DEP_1) | instskip(NEXT) | instid1(VALU_DEP_1)
	v_sub_nc_u32_e32 v8, v8, v9
	v_cmp_lt_u32_e64 s0, s39, v8
	s_and_b32 s3, s0, exec_lo
.LBB565_94:
	s_wait_alu 0xfffe
	s_or_b32 exec_lo, exec_lo, s4
	s_wait_alu 0xfffd
	v_cndmask_b32_e64 v8, 0, 1, vcc_lo
	v_lshrrev_b32_e32 v6, 24, v6
	v_cndmask_b32_e64 v9, 0, 1, s3
	v_lshlrev_b16 v25, 8, v25
	v_and_b32_e32 v12, 0xff, v12
	v_lshlrev_b16 v8, 8, v8
	v_lshlrev_b16 v10, 8, v10
	v_and_b32_e32 v7, 0xff, v7
	v_lshlrev_b16 v6, 8, v6
	v_or_b32_e32 v12, v12, v25
	s_delay_alu instid0(VALU_DEP_4) | instskip(NEXT) | instid1(VALU_DEP_4)
	v_or_b32_e32 v10, v11, v10
	v_or_b32_e32 v7, v7, v8
	s_delay_alu instid0(VALU_DEP_4) | instskip(NEXT) | instid1(VALU_DEP_4)
	v_or_b32_e32 v6, v9, v6
	v_lshlrev_b32_e32 v8, 16, v12
	s_delay_alu instid0(VALU_DEP_4) | instskip(NEXT) | instid1(VALU_DEP_4)
	v_and_b32_e32 v10, 0xffff, v10
	v_and_b32_e32 v7, 0xffff, v7
	s_delay_alu instid0(VALU_DEP_4) | instskip(NEXT) | instid1(VALU_DEP_2)
	v_lshlrev_b32_e32 v6, 16, v6
	v_or_b32_e32 v9, v7, v8
	s_delay_alu instid0(VALU_DEP_2)
	v_or_b32_e32 v8, v10, v6
.LBB565_95:
	s_wait_alu 0xfffe
	s_or_b32 exec_lo, exec_lo, s1
	v_add_nc_u32_e32 v6, 10, v46
	v_and_b32_e32 v7, 0xff, v9
	v_lshrrev_b32_e32 v10, 8, v9
                                        ; implicit-def: $vgpr51
	s_delay_alu instid0(VALU_DEP_3)
	v_cmp_le_u32_e32 vcc_lo, s27, v6
                                        ; implicit-def: $vgpr6
	s_and_saveexec_b32 s0, vcc_lo
	s_wait_alu 0xfffe
	s_xor_b32 s0, exec_lo, s0
	s_cbranch_execz .LBB565_97
; %bb.96:
	v_lshlrev_b16 v6, 8, v10
	v_perm_b32 v5, v5, v5, 0x3060504
                                        ; implicit-def: $vgpr10
	s_delay_alu instid0(VALU_DEP_2) | instskip(SKIP_1) | instid1(VALU_DEP_2)
	v_or_b32_e32 v6, v7, v6
	v_and_b32_e32 v7, 0xff0000, v8
	v_and_b32_e32 v6, 0xffff, v6
	s_delay_alu instid0(VALU_DEP_2) | instskip(NEXT) | instid1(VALU_DEP_2)
	v_perm_b32 v51, v8, v7, 0x3020504
                                        ; implicit-def: $vgpr7
                                        ; implicit-def: $vgpr8
	v_and_or_b32 v6, 0xff000000, v9, v6
                                        ; implicit-def: $vgpr9
.LBB565_97:
	s_wait_alu 0xfffe
	s_and_not1_saveexec_b32 s1, s0
	s_cbranch_execz .LBB565_101
; %bb.98:
	v_add_nc_u32_e32 v6, s17, v13
	v_add_nc_u32_e32 v11, s19, v13
	s_mov_b32 s3, 0
	s_mov_b32 s4, exec_lo
	s_delay_alu instid0(VALU_DEP_2) | instskip(NEXT) | instid1(VALU_DEP_2)
	v_mul_lo_u32 v6, v6, s16
	v_mul_lo_u32 v11, v11, s18
	s_delay_alu instid0(VALU_DEP_1) | instskip(NEXT) | instid1(VALU_DEP_1)
	v_sub_nc_u32_e32 v6, v6, v11
	v_cmp_lt_u32_e32 vcc_lo, s20, v6
	v_cmpx_ge_u32_e64 s20, v6
	s_cbranch_execz .LBB565_100
; %bb.99:
	v_add_nc_u32_e32 v6, s22, v13
	v_add_nc_u32_e32 v11, s38, v13
	s_delay_alu instid0(VALU_DEP_2) | instskip(NEXT) | instid1(VALU_DEP_2)
	v_mul_lo_u32 v6, v6, s21
	v_mul_lo_u32 v11, v11, s23
	s_delay_alu instid0(VALU_DEP_1) | instskip(NEXT) | instid1(VALU_DEP_1)
	v_sub_nc_u32_e32 v6, v6, v11
	v_cmp_lt_u32_e64 s0, s39, v6
	s_and_b32 s3, s0, exec_lo
.LBB565_100:
	s_wait_alu 0xfffe
	s_or_b32 exec_lo, exec_lo, s4
	v_lshrrev_b32_e32 v9, 24, v9
	v_cndmask_b32_e64 v11, 0, 1, s3
	v_lshrrev_b32_e32 v12, 8, v8
	v_lshrrev_b32_e32 v25, 16, v8
	s_wait_alu 0xfffd
	v_cndmask_b32_e64 v6, 0, 1, vcc_lo
	v_lshlrev_b16 v10, 8, v10
	v_lshlrev_b16 v9, 8, v9
	v_and_b32_e32 v8, 0xff, v8
	v_lshlrev_b16 v12, 8, v12
	v_lshlrev_b16 v11, 8, v11
	v_and_b32_e32 v25, 0xff, v25
	v_or_b32_e32 v7, v7, v10
	v_or_b32_e32 v6, v6, v9
	;; [unrolled: 1-line block ×3, first 2 shown]
	s_delay_alu instid0(VALU_DEP_4) | instskip(NEXT) | instid1(VALU_DEP_4)
	v_or_b32_e32 v9, v25, v11
	v_and_b32_e32 v7, 0xffff, v7
	s_delay_alu instid0(VALU_DEP_4) | instskip(NEXT) | instid1(VALU_DEP_4)
	v_lshlrev_b32_e32 v6, 16, v6
	v_and_b32_e32 v8, 0xffff, v8
	s_delay_alu instid0(VALU_DEP_4) | instskip(NEXT) | instid1(VALU_DEP_3)
	v_lshlrev_b32_e32 v9, 16, v9
	v_or_b32_e32 v6, v7, v6
	s_delay_alu instid0(VALU_DEP_2)
	v_or_b32_e32 v51, v8, v9
.LBB565_101:
	s_wait_alu 0xfffe
	s_or_b32 exec_lo, exec_lo, s1
	v_dual_mov_b32 v50, 0 :: v_dual_add_nc_u32 v7, 11, v46
	s_mov_b32 s0, exec_lo
                                        ; implicit-def: $vgpr52
	s_delay_alu instid0(VALU_DEP_1)
	v_cmpx_le_u32_e64 s27, v7
	s_wait_alu 0xfffe
	s_xor_b32 s0, exec_lo, s0
; %bb.102:
	v_and_b32_e32 v7, 0xff0000, v6
	v_perm_b32 v5, v5, v5, 0x3060504
	s_delay_alu instid0(VALU_DEP_2)
	v_perm_b32 v52, v6, v7, 0x3020504
                                        ; implicit-def: $vgpr6
; %bb.103:
	s_wait_alu 0xfffe
	s_and_not1_saveexec_b32 s1, s0
	s_cbranch_execz .LBB565_107
; %bb.104:
	v_add_nc_u32_e32 v7, s17, v14
	v_add_nc_u32_e32 v8, s19, v14
	s_mov_b32 s3, 0
	s_mov_b32 s4, exec_lo
	s_delay_alu instid0(VALU_DEP_2) | instskip(NEXT) | instid1(VALU_DEP_2)
	v_mul_lo_u32 v7, v7, s16
	v_mul_lo_u32 v8, v8, s18
	s_delay_alu instid0(VALU_DEP_1) | instskip(NEXT) | instid1(VALU_DEP_1)
	v_sub_nc_u32_e32 v7, v7, v8
	v_cmp_lt_u32_e32 vcc_lo, s20, v7
	v_cmpx_ge_u32_e64 s20, v7
	s_cbranch_execz .LBB565_106
; %bb.105:
	v_add_nc_u32_e32 v7, s22, v14
	v_add_nc_u32_e32 v8, s38, v14
	s_delay_alu instid0(VALU_DEP_2) | instskip(NEXT) | instid1(VALU_DEP_2)
	v_mul_lo_u32 v7, v7, s21
	v_mul_lo_u32 v8, v8, s23
	s_delay_alu instid0(VALU_DEP_1) | instskip(NEXT) | instid1(VALU_DEP_1)
	v_sub_nc_u32_e32 v7, v7, v8
	v_cmp_lt_u32_e64 s0, s39, v7
	s_and_b32 s3, s0, exec_lo
.LBB565_106:
	s_wait_alu 0xfffe
	s_or_b32 exec_lo, exec_lo, s4
	v_lshrrev_b32_e32 v7, 8, v6
	s_wait_alu 0xfffd
	v_cndmask_b32_e64 v8, 0, 1, vcc_lo
	v_lshrrev_b32_e32 v9, 16, v6
	v_and_b32_e32 v6, 0xff, v6
	v_cndmask_b32_e64 v50, 0, 1, s3
	v_lshlrev_b16 v7, 8, v7
	v_lshlrev_b16 v8, 8, v8
	v_and_b32_e32 v9, 0xff, v9
	s_delay_alu instid0(VALU_DEP_3) | instskip(NEXT) | instid1(VALU_DEP_2)
	v_or_b32_e32 v6, v6, v7
	v_or_b32_e32 v7, v9, v8
	s_delay_alu instid0(VALU_DEP_2) | instskip(NEXT) | instid1(VALU_DEP_2)
	v_and_b32_e32 v6, 0xffff, v6
	v_lshlrev_b32_e32 v7, 16, v7
	s_delay_alu instid0(VALU_DEP_1)
	v_or_b32_e32 v52, v6, v7
.LBB565_107:
	s_wait_alu 0xfffe
	s_or_b32 exec_lo, exec_lo, s1
	v_add_nc_u32_e32 v8, 12, v46
	v_lshrrev_b32_e32 v6, 8, v5
	v_lshrrev_b32_e32 v7, 16, v5
	;; [unrolled: 1-line block ×3, first 2 shown]
	s_mov_b32 s0, exec_lo
                                        ; implicit-def: $vgpr54
	v_cmpx_le_u32_e64 s27, v8
	s_wait_alu 0xfffe
	s_xor_b32 s0, exec_lo, s0
	s_cbranch_execz .LBB565_109
; %bb.108:
	v_lshlrev_b16 v5, 8, v5
	v_and_b32_e32 v7, 0xff, v7
	v_lshlrev_b16 v6, 8, v6
	s_delay_alu instid0(VALU_DEP_2) | instskip(NEXT) | instid1(VALU_DEP_2)
	v_or_b32_e32 v5, v7, v5
	v_and_b32_e32 v6, 0xffff, v6
                                        ; implicit-def: $vgpr7
	s_delay_alu instid0(VALU_DEP_2) | instskip(NEXT) | instid1(VALU_DEP_1)
	v_lshlrev_b32_e32 v5, 16, v5
	v_or_b32_e32 v54, v6, v5
                                        ; implicit-def: $vgpr5
                                        ; implicit-def: $vgpr6
.LBB565_109:
	s_wait_alu 0xfffe
	s_or_saveexec_b32 s1, s0
	v_mov_b32_e32 v53, 0
	s_wait_alu 0xfffe
	s_xor_b32 exec_lo, exec_lo, s1
	s_cbranch_execz .LBB565_113
; %bb.110:
	v_add_nc_u32_e32 v8, s17, v45
	v_add_nc_u32_e32 v9, s19, v45
	s_mov_b32 s3, 0
	s_mov_b32 s4, exec_lo
	s_delay_alu instid0(VALU_DEP_2) | instskip(NEXT) | instid1(VALU_DEP_2)
	v_mul_lo_u32 v8, v8, s16
	v_mul_lo_u32 v9, v9, s18
	s_delay_alu instid0(VALU_DEP_1) | instskip(NEXT) | instid1(VALU_DEP_1)
	v_sub_nc_u32_e32 v8, v8, v9
	v_cmp_lt_u32_e32 vcc_lo, s20, v8
	v_cmpx_ge_u32_e64 s20, v8
	s_cbranch_execz .LBB565_112
; %bb.111:
	v_add_nc_u32_e32 v8, s22, v45
	v_add_nc_u32_e32 v9, s38, v45
	s_delay_alu instid0(VALU_DEP_2) | instskip(NEXT) | instid1(VALU_DEP_2)
	v_mul_lo_u32 v8, v8, s21
	v_mul_lo_u32 v9, v9, s23
	s_delay_alu instid0(VALU_DEP_1) | instskip(NEXT) | instid1(VALU_DEP_1)
	v_sub_nc_u32_e32 v8, v8, v9
	v_cmp_lt_u32_e64 s0, s39, v8
	s_and_b32 s3, s0, exec_lo
.LBB565_112:
	s_wait_alu 0xfffe
	s_or_b32 exec_lo, exec_lo, s4
	s_wait_alu 0xfffd
	v_cndmask_b32_e64 v8, 0, 1, vcc_lo
	v_lshlrev_b16 v5, 8, v5
	v_and_b32_e32 v7, 0xff, v7
	v_lshlrev_b16 v6, 8, v6
	v_cndmask_b32_e64 v53, 0, 1, s3
	s_delay_alu instid0(VALU_DEP_3) | instskip(NEXT) | instid1(VALU_DEP_3)
	v_or_b32_e32 v5, v7, v5
	v_or_b32_e32 v6, v8, v6
	s_delay_alu instid0(VALU_DEP_2) | instskip(NEXT) | instid1(VALU_DEP_2)
	v_lshlrev_b32_e32 v5, 16, v5
	v_and_b32_e32 v6, 0xffff, v6
	s_delay_alu instid0(VALU_DEP_1)
	v_or_b32_e32 v54, v6, v5
.LBB565_113:
	s_or_b32 exec_lo, exec_lo, s1
.LBB565_114:
	v_and_b32_e32 v77, 0xff, v47
	s_delay_alu instid0(VALU_DEP_2)
	v_bfe_u32 v78, v54, 8, 8
	v_bfe_u32 v74, v47, 8, 8
	;; [unrolled: 1-line block ×4, first 2 shown]
	v_lshrrev_b32_e32 v60, 24, v54
	v_lshrrev_b32_e32 v59, 24, v47
	v_and_b32_e32 v73, 0xff, v48
	v_and_b32_e32 v71, 0xff, v49
	v_bfe_u32 v72, v48, 8, 8
	v_add3_u32 v5, v74, v77, v76
	v_add3_u32 v6, v75, v78, v60
	v_bfe_u32 v69, v49, 8, 8
	v_bfe_u32 v70, v48, 16, 8
	;; [unrolled: 1-line block ×3, first 2 shown]
	v_lshrrev_b32_e32 v58, 24, v48
	v_add3_u32 v5, v5, v59, v71
	v_add3_u32 v6, v6, v73, v72
	v_lshrrev_b32_e32 v57, 24, v49
	v_and_b32_e32 v68, 0xff, v51
	v_and_b32_e32 v66, 0xff, v52
	v_bfe_u32 v67, v51, 8, 8
	v_add3_u32 v5, v5, v69, v65
	v_add3_u32 v6, v6, v70, v58
	v_bfe_u32 v63, v52, 8, 8
	v_bfe_u32 v64, v51, 16, 8
	;; [unrolled: 1-line block ×3, first 2 shown]
	v_lshrrev_b32_e32 v56, 24, v51
	v_add3_u32 v5, v5, v57, v66
	v_add3_u32 v6, v6, v68, v67
	v_mbcnt_lo_u32_b32 v79, -1, 0
	v_lshrrev_b32_e32 v55, 24, v52
	v_and_b32_e32 v61, 0xff, v50
	v_and_b32_e32 v7, 0xff, v54
	;; [unrolled: 1-line block ×3, first 2 shown]
	v_add3_u32 v5, v5, v63, v62
	v_add3_u32 v6, v6, v64, v56
	v_and_b32_e32 v81, 15, v79
	v_and_b32_e32 v83, 16, v79
	v_lshrrev_b32_e32 v80, 5, v0
	v_add3_u32 v84, v5, v55, v7
	v_add3_u32 v85, v6, v61, v8
	v_cmp_eq_u32_e64 s1, 0, v81
	v_cmp_lt_u32_e64 s0, 1, v81
	v_cmp_lt_u32_e64 s3, 3, v81
	v_or_b32_e32 v82, 31, v0
	s_cmp_lg_u32 s33, 0
	s_mov_b32 s4, -1
	v_cmp_lt_u32_e32 vcc_lo, 7, v81
	s_cbranch_scc0 .LBB565_135
; %bb.115:
	v_mov_b32_dpp v6, v84 row_shr:1 row_mask:0xf bank_mask:0xf
	v_mov_b32_dpp v5, v85 row_shr:1 row_mask:0xf bank_mask:0xf
	s_mov_b32 s4, exec_lo
	s_delay_alu instid0(VALU_DEP_2) | instskip(SKIP_1) | instid1(VALU_DEP_1)
	v_add_nc_u32_e32 v6, v6, v84
	s_wait_alu 0xf1ff
	v_cndmask_b32_e64 v6, v6, v84, s1
	s_delay_alu instid0(VALU_DEP_1) | instskip(NEXT) | instid1(VALU_DEP_1)
	v_mov_b32_dpp v8, v6 row_shr:2 row_mask:0xf bank_mask:0xf
	v_add_nc_u32_e32 v8, v6, v8
	s_delay_alu instid0(VALU_DEP_1) | instskip(NEXT) | instid1(VALU_DEP_1)
	v_cndmask_b32_e64 v6, v6, v8, s0
	v_mov_b32_dpp v8, v6 row_shr:4 row_mask:0xf bank_mask:0xf
	s_delay_alu instid0(VALU_DEP_1) | instskip(NEXT) | instid1(VALU_DEP_1)
	v_add_nc_u32_e32 v8, v6, v8
	v_cndmask_b32_e64 v6, v6, v8, s3
	s_delay_alu instid0(VALU_DEP_1) | instskip(NEXT) | instid1(VALU_DEP_1)
	v_mov_b32_dpp v8, v6 row_shr:8 row_mask:0xf bank_mask:0xf
	v_add_nc_u32_e32 v8, v6, v8
	s_wait_alu 0xfffd
	s_delay_alu instid0(VALU_DEP_1) | instskip(NEXT) | instid1(VALU_DEP_1)
	v_dual_cndmask_b32 v6, v6, v8 :: v_dual_add_nc_u32 v5, v5, v85
	v_cndmask_b32_e64 v5, v5, v85, s1
	ds_swizzle_b32 v8, v6 offset:swizzle(BROADCAST,32,15)
	v_mov_b32_dpp v7, v5 row_shr:2 row_mask:0xf bank_mask:0xf
	s_delay_alu instid0(VALU_DEP_1) | instskip(NEXT) | instid1(VALU_DEP_1)
	v_add_nc_u32_e32 v7, v5, v7
	v_cndmask_b32_e64 v5, v5, v7, s0
	s_delay_alu instid0(VALU_DEP_1) | instskip(SKIP_2) | instid1(VALU_DEP_2)
	v_mov_b32_dpp v7, v5 row_shr:4 row_mask:0xf bank_mask:0xf
	s_wait_dscnt 0x0
	v_add_nc_u32_e32 v8, v6, v8
	v_add_nc_u32_e32 v7, v5, v7
	s_delay_alu instid0(VALU_DEP_1) | instskip(NEXT) | instid1(VALU_DEP_1)
	v_cndmask_b32_e64 v5, v5, v7, s3
	v_mov_b32_dpp v7, v5 row_shr:8 row_mask:0xf bank_mask:0xf
	s_delay_alu instid0(VALU_DEP_1) | instskip(NEXT) | instid1(VALU_DEP_1)
	v_add_nc_u32_e32 v7, v5, v7
	v_cndmask_b32_e32 v5, v5, v7, vcc_lo
	v_cmp_eq_u32_e32 vcc_lo, 0, v83
	ds_swizzle_b32 v7, v5 offset:swizzle(BROADCAST,32,15)
	s_wait_dscnt 0x0
	v_add_nc_u32_e32 v7, v5, v7
	v_cmpx_eq_u32_e64 v0, v82
; %bb.116:
	s_wait_alu 0xfffd
	s_delay_alu instid0(VALU_DEP_2)
	v_dual_cndmask_b32 v10, v7, v5 :: v_dual_lshlrev_b32 v11, 3, v80
	v_cndmask_b32_e32 v9, v8, v6, vcc_lo
	ds_store_b64 v11, v[9:10]
; %bb.117:
	s_wait_alu 0xfffe
	s_or_b32 exec_lo, exec_lo, s4
	s_delay_alu instid0(SALU_CYCLE_1)
	s_mov_b32 s4, exec_lo
	s_wait_loadcnt_dscnt 0x0
	s_barrier_signal -1
	s_barrier_wait -1
	global_inv scope:SCOPE_SE
	v_cmpx_gt_u32_e32 8, v0
	s_cbranch_execz .LBB565_119
; %bb.118:
	v_lshlrev_b32_e32 v11, 3, v0
	v_and_b32_e32 v26, 7, v79
	ds_load_b64 v[9:10], v11
	v_cmp_eq_u32_e64 s3, 0, v26
	s_wait_dscnt 0x0
	v_mov_b32_dpp v12, v9 row_shr:1 row_mask:0xf bank_mask:0xf
	v_mov_b32_dpp v25, v10 row_shr:1 row_mask:0xf bank_mask:0xf
	s_delay_alu instid0(VALU_DEP_2) | instskip(NEXT) | instid1(VALU_DEP_2)
	v_add_nc_u32_e32 v12, v12, v9
	v_add_nc_u32_e32 v25, v25, v10
	s_wait_alu 0xf1ff
	s_delay_alu instid0(VALU_DEP_2) | instskip(NEXT) | instid1(VALU_DEP_2)
	v_cndmask_b32_e64 v9, v12, v9, s3
	v_cndmask_b32_e64 v10, v25, v10, s3
	v_cmp_lt_u32_e64 s3, 1, v26
	s_delay_alu instid0(VALU_DEP_3) | instskip(NEXT) | instid1(VALU_DEP_3)
	v_mov_b32_dpp v12, v9 row_shr:2 row_mask:0xf bank_mask:0xf
	v_mov_b32_dpp v25, v10 row_shr:2 row_mask:0xf bank_mask:0xf
	s_delay_alu instid0(VALU_DEP_2) | instskip(NEXT) | instid1(VALU_DEP_2)
	v_add_nc_u32_e32 v12, v9, v12
	v_add_nc_u32_e32 v25, v10, v25
	s_wait_alu 0xf1ff
	s_delay_alu instid0(VALU_DEP_2) | instskip(NEXT) | instid1(VALU_DEP_2)
	v_cndmask_b32_e64 v9, v9, v12, s3
	v_cndmask_b32_e64 v10, v10, v25, s3
	v_cmp_lt_u32_e64 s3, 3, v26
	s_delay_alu instid0(VALU_DEP_3) | instskip(NEXT) | instid1(VALU_DEP_3)
	v_mov_b32_dpp v12, v9 row_shr:4 row_mask:0xf bank_mask:0xf
	v_mov_b32_dpp v25, v10 row_shr:4 row_mask:0xf bank_mask:0xf
	s_wait_alu 0xf1ff
	s_delay_alu instid0(VALU_DEP_2) | instskip(NEXT) | instid1(VALU_DEP_2)
	v_cndmask_b32_e64 v12, 0, v12, s3
	v_cndmask_b32_e64 v25, 0, v25, s3
	s_delay_alu instid0(VALU_DEP_2) | instskip(NEXT) | instid1(VALU_DEP_2)
	v_add_nc_u32_e32 v9, v12, v9
	v_add_nc_u32_e32 v10, v25, v10
	ds_store_b64 v11, v[9:10]
.LBB565_119:
	s_wait_alu 0xfffe
	s_or_b32 exec_lo, exec_lo, s4
	v_dual_cndmask_b32 v5, v7, v5 :: v_dual_cndmask_b32 v6, v8, v6
	s_mov_b32 s4, exec_lo
	v_cmp_gt_u32_e32 vcc_lo, 32, v0
	s_wait_loadcnt_dscnt 0x0
	s_barrier_signal -1
	s_barrier_wait -1
	global_inv scope:SCOPE_SE
                                        ; implicit-def: $vgpr25
	v_cmpx_lt_u32_e32 31, v0
	s_cbranch_execz .LBB565_121
; %bb.120:
	v_lshl_add_u32 v7, v80, 3, -8
	ds_load_b64 v[25:26], v7
	s_wait_dscnt 0x0
	v_add_nc_u32_e32 v5, v26, v5
	v_add_nc_u32_e32 v6, v25, v6
.LBB565_121:
	s_wait_alu 0xfffe
	s_or_b32 exec_lo, exec_lo, s4
	v_sub_co_u32 v7, s3, v79, 1
	s_delay_alu instid0(VALU_DEP_1) | instskip(SKIP_1) | instid1(VALU_DEP_1)
	v_cmp_gt_i32_e64 s4, 0, v7
	s_wait_alu 0xf1ff
	v_cndmask_b32_e64 v7, v7, v79, s4
	s_delay_alu instid0(VALU_DEP_1)
	v_lshlrev_b32_e32 v7, 2, v7
	ds_bpermute_b32 v86, v7, v6
	ds_bpermute_b32 v87, v7, v5
	s_and_saveexec_b32 s4, vcc_lo
	s_cbranch_execz .LBB565_140
; %bb.122:
	v_mov_b32_e32 v8, 0
	ds_load_b64 v[5:6], v8 offset:56
	s_and_saveexec_b32 s5, s3
	s_cbranch_execz .LBB565_124
; %bb.123:
	s_add_co_i32 s6, s33, 32
	s_mov_b32 s7, 0
	s_wait_alu 0xfffe
	s_lshl_b64 s[6:7], s[6:7], 4
	s_wait_alu 0xfffe
	s_add_nc_u64 s[6:7], s[36:37], s[6:7]
	s_wait_alu 0xfffe
	v_dual_mov_b32 v7, 1 :: v_dual_mov_b32 v10, s7
	v_mov_b32_e32 v9, s6
	s_wait_dscnt 0x0
	;;#ASMSTART
	global_store_b128 v[9:10], v[5:8] off scope:SCOPE_DEV	
s_wait_storecnt 0x0
	;;#ASMEND
.LBB565_124:
	s_wait_alu 0xfffe
	s_or_b32 exec_lo, exec_lo, s5
	v_xad_u32 v27, v79, -1, s33
	s_mov_b32 s6, 0
	s_mov_b32 s5, exec_lo
	s_delay_alu instid0(VALU_DEP_1) | instskip(NEXT) | instid1(VALU_DEP_1)
	v_add_nc_u32_e32 v7, 32, v27
	v_lshlrev_b64_e32 v[7:8], 4, v[7:8]
	s_delay_alu instid0(VALU_DEP_1) | instskip(SKIP_1) | instid1(VALU_DEP_2)
	v_add_co_u32 v7, vcc_lo, s36, v7
	s_wait_alu 0xfffd
	v_add_co_ci_u32_e64 v8, null, s37, v8, vcc_lo
	;;#ASMSTART
	global_load_b128 v[9:12], v[7:8] off scope:SCOPE_DEV	
s_wait_loadcnt 0x0
	;;#ASMEND
	v_and_b32_e32 v12, 0xff, v11
	s_delay_alu instid0(VALU_DEP_1)
	v_cmpx_eq_u16_e32 0, v12
	s_cbranch_execz .LBB565_127
.LBB565_125:                            ; =>This Inner Loop Header: Depth=1
	;;#ASMSTART
	global_load_b128 v[9:12], v[7:8] off scope:SCOPE_DEV	
s_wait_loadcnt 0x0
	;;#ASMEND
	v_and_b32_e32 v12, 0xff, v11
	s_delay_alu instid0(VALU_DEP_1)
	v_cmp_ne_u16_e32 vcc_lo, 0, v12
	s_wait_alu 0xfffe
	s_or_b32 s6, vcc_lo, s6
	s_wait_alu 0xfffe
	s_and_not1_b32 exec_lo, exec_lo, s6
	s_cbranch_execnz .LBB565_125
; %bb.126:
	s_or_b32 exec_lo, exec_lo, s6
.LBB565_127:
	s_wait_alu 0xfffe
	s_or_b32 exec_lo, exec_lo, s5
	v_cmp_ne_u32_e32 vcc_lo, 31, v79
	v_lshlrev_b32_e64 v89, v79, -1
	v_add_nc_u32_e32 v91, 2, v79
	v_add_nc_u32_e32 v93, 4, v79
	;; [unrolled: 1-line block ×3, first 2 shown]
	s_wait_alu 0xfffd
	v_add_co_ci_u32_e64 v7, null, 0, v79, vcc_lo
	v_lshl_or_b32 v96, v79, 2, 64
	v_add_nc_u32_e32 v97, 16, v79
	s_delay_alu instid0(VALU_DEP_3) | instskip(SKIP_4) | instid1(VALU_DEP_1)
	v_lshlrev_b32_e32 v88, 2, v7
	ds_bpermute_b32 v8, v88, v10
	s_wait_dscnt 0x0
	v_add_nc_u32_e32 v8, v8, v10
	v_and_b32_e32 v7, 0xff, v11
	v_cmp_eq_u16_e32 vcc_lo, 2, v7
	ds_bpermute_b32 v7, v88, v9
	s_wait_dscnt 0x0
	v_add_nc_u32_e32 v7, v7, v9
	s_wait_alu 0xfffd
	v_and_b32_e32 v12, vcc_lo, v89
	v_cmp_gt_u32_e32 vcc_lo, 30, v79
	s_delay_alu instid0(VALU_DEP_2) | instskip(SKIP_2) | instid1(VALU_DEP_2)
	v_or_b32_e32 v12, 0x80000000, v12
	s_wait_alu 0xfffd
	v_cndmask_b32_e64 v28, 0, 2, vcc_lo
	v_ctz_i32_b32_e32 v12, v12
	s_delay_alu instid0(VALU_DEP_2) | instskip(NEXT) | instid1(VALU_DEP_2)
	v_add_lshl_u32 v90, v28, v79, 2
	v_cmp_lt_u32_e32 vcc_lo, v79, v12
	s_wait_alu 0xfffd
	v_dual_cndmask_b32 v8, v10, v8 :: v_dual_cndmask_b32 v7, v9, v7
	v_cmp_gt_u32_e32 vcc_lo, 28, v79
	ds_bpermute_b32 v9, v90, v8
	ds_bpermute_b32 v10, v90, v7
	s_wait_alu 0xfffd
	v_cndmask_b32_e64 v28, 0, 4, vcc_lo
	v_cmp_gt_u32_e32 vcc_lo, v91, v12
	s_delay_alu instid0(VALU_DEP_2)
	v_add_lshl_u32 v92, v28, v79, 2
	s_wait_dscnt 0x1
	v_add_nc_u32_e32 v9, v8, v9
	s_wait_dscnt 0x0
	v_add_nc_u32_e32 v10, v7, v10
	s_wait_alu 0xfffd
	s_delay_alu instid0(VALU_DEP_1)
	v_dual_cndmask_b32 v8, v9, v8 :: v_dual_cndmask_b32 v7, v10, v7
	v_cmp_gt_u32_e32 vcc_lo, 24, v79
	ds_bpermute_b32 v9, v92, v8
	ds_bpermute_b32 v10, v92, v7
	s_wait_alu 0xfffd
	v_cndmask_b32_e64 v28, 0, 8, vcc_lo
	v_cmp_gt_u32_e32 vcc_lo, v93, v12
	s_delay_alu instid0(VALU_DEP_2)
	v_add_lshl_u32 v94, v28, v79, 2
	s_wait_dscnt 0x1
	v_dual_mov_b32 v28, 0 :: v_dual_add_nc_u32 v9, v8, v9
	s_wait_dscnt 0x0
	v_add_nc_u32_e32 v10, v7, v10
	s_wait_alu 0xfffd
	s_delay_alu instid0(VALU_DEP_1)
	v_dual_cndmask_b32 v8, v9, v8 :: v_dual_cndmask_b32 v7, v10, v7
	v_cmp_gt_u32_e32 vcc_lo, v95, v12
	ds_bpermute_b32 v9, v94, v8
	ds_bpermute_b32 v10, v94, v7
	s_wait_dscnt 0x1
	v_add_nc_u32_e32 v9, v8, v9
	s_wait_dscnt 0x0
	v_add_nc_u32_e32 v10, v7, v10
	s_wait_alu 0xfffd
	s_delay_alu instid0(VALU_DEP_1)
	v_dual_cndmask_b32 v8, v9, v8 :: v_dual_cndmask_b32 v7, v10, v7
	v_cmp_le_u32_e32 vcc_lo, v97, v12
	ds_bpermute_b32 v10, v96, v8
	ds_bpermute_b32 v9, v96, v7
	s_wait_dscnt 0x0
	s_wait_alu 0xfffd
	v_dual_cndmask_b32 v10, 0, v10 :: v_dual_cndmask_b32 v9, 0, v9
	s_delay_alu instid0(VALU_DEP_1) | instskip(NEXT) | instid1(VALU_DEP_2)
	v_add_nc_u32_e32 v10, v10, v8
	v_add_nc_u32_e32 v9, v9, v7
	s_branch .LBB565_131
.LBB565_128:                            ;   in Loop: Header=BB565_131 Depth=1
	s_or_b32 exec_lo, exec_lo, s6
.LBB565_129:                            ;   in Loop: Header=BB565_131 Depth=1
	s_wait_alu 0xfffe
	s_or_b32 exec_lo, exec_lo, s5
	ds_bpermute_b32 v12, v88, v9
	ds_bpermute_b32 v29, v88, v10
	v_subrev_nc_u32_e32 v27, 32, v27
	s_mov_b32 s5, 0
	s_wait_dscnt 0x1
	v_add_nc_u32_e32 v12, v12, v9
	v_and_b32_e32 v30, 0xff, v11
	s_wait_dscnt 0x0
	v_add_nc_u32_e32 v29, v29, v10
	s_delay_alu instid0(VALU_DEP_2) | instskip(SKIP_2) | instid1(VALU_DEP_1)
	v_cmp_eq_u16_e32 vcc_lo, 2, v30
	s_wait_alu 0xfffd
	v_and_or_b32 v30, vcc_lo, v89, 0x80000000
	v_ctz_i32_b32_e32 v30, v30
	s_delay_alu instid0(VALU_DEP_1)
	v_cmp_lt_u32_e32 vcc_lo, v79, v30
	s_wait_alu 0xfffd
	v_dual_cndmask_b32 v10, v10, v29 :: v_dual_cndmask_b32 v9, v9, v12
	v_cmp_gt_u32_e32 vcc_lo, v91, v30
	ds_bpermute_b32 v29, v90, v10
	ds_bpermute_b32 v12, v90, v9
	s_wait_dscnt 0x1
	v_add_nc_u32_e32 v29, v10, v29
	s_wait_dscnt 0x0
	v_add_nc_u32_e32 v12, v9, v12
	s_wait_alu 0xfffd
	s_delay_alu instid0(VALU_DEP_1)
	v_dual_cndmask_b32 v10, v29, v10 :: v_dual_cndmask_b32 v9, v12, v9
	v_cmp_gt_u32_e32 vcc_lo, v93, v30
	ds_bpermute_b32 v29, v92, v10
	ds_bpermute_b32 v12, v92, v9
	s_wait_dscnt 0x1
	v_add_nc_u32_e32 v29, v10, v29
	s_wait_dscnt 0x0
	v_add_nc_u32_e32 v12, v9, v12
	s_wait_alu 0xfffd
	s_delay_alu instid0(VALU_DEP_1)
	;; [unrolled: 10-line block ×3, first 2 shown]
	v_dual_cndmask_b32 v10, v29, v10 :: v_dual_cndmask_b32 v9, v12, v9
	v_cmp_le_u32_e32 vcc_lo, v97, v30
	ds_bpermute_b32 v29, v96, v10
	ds_bpermute_b32 v12, v96, v9
	s_wait_dscnt 0x0
	s_wait_alu 0xfffd
	v_dual_cndmask_b32 v29, 0, v29 :: v_dual_cndmask_b32 v12, 0, v12
	s_delay_alu instid0(VALU_DEP_1) | instskip(NEXT) | instid1(VALU_DEP_2)
	v_add3_u32 v10, v10, v8, v29
	v_add3_u32 v9, v9, v7, v12
.LBB565_130:                            ;   in Loop: Header=BB565_131 Depth=1
	s_wait_alu 0xfffe
	s_and_b32 vcc_lo, exec_lo, s5
	s_wait_alu 0xfffe
	s_cbranch_vccnz .LBB565_136
.LBB565_131:                            ; =>This Loop Header: Depth=1
                                        ;     Child Loop BB565_134 Depth 2
	v_and_b32_e32 v7, 0xff, v11
	s_mov_b32 s5, -1
                                        ; implicit-def: $vgpr11
	s_delay_alu instid0(VALU_DEP_1)
	v_cmp_ne_u16_e32 vcc_lo, 2, v7
	v_dual_mov_b32 v7, v9 :: v_dual_mov_b32 v8, v10
                                        ; implicit-def: $vgpr9_vgpr10
	s_cmp_lg_u32 vcc_lo, exec_lo
	s_cbranch_scc1 .LBB565_130
; %bb.132:                              ;   in Loop: Header=BB565_131 Depth=1
	v_lshlrev_b64_e32 v[9:10], 4, v[27:28]
	s_mov_b32 s5, exec_lo
	s_delay_alu instid0(VALU_DEP_1) | instskip(SKIP_1) | instid1(VALU_DEP_2)
	v_add_co_u32 v29, vcc_lo, s36, v9
	s_wait_alu 0xfffd
	v_add_co_ci_u32_e64 v30, null, s37, v10, vcc_lo
	;;#ASMSTART
	global_load_b128 v[9:12], v[29:30] off scope:SCOPE_DEV	
s_wait_loadcnt 0x0
	;;#ASMEND
	v_and_b32_e32 v12, 0xff, v11
	s_delay_alu instid0(VALU_DEP_1)
	v_cmpx_eq_u16_e32 0, v12
	s_cbranch_execz .LBB565_129
; %bb.133:                              ;   in Loop: Header=BB565_131 Depth=1
	s_mov_b32 s6, 0
.LBB565_134:                            ;   Parent Loop BB565_131 Depth=1
                                        ; =>  This Inner Loop Header: Depth=2
	;;#ASMSTART
	global_load_b128 v[9:12], v[29:30] off scope:SCOPE_DEV	
s_wait_loadcnt 0x0
	;;#ASMEND
	v_and_b32_e32 v12, 0xff, v11
	s_delay_alu instid0(VALU_DEP_1)
	v_cmp_ne_u16_e32 vcc_lo, 0, v12
	s_wait_alu 0xfffe
	s_or_b32 s6, vcc_lo, s6
	s_wait_alu 0xfffe
	s_and_not1_b32 exec_lo, exec_lo, s6
	s_cbranch_execnz .LBB565_134
	s_branch .LBB565_128
.LBB565_135:
                                        ; implicit-def: $vgpr29
                                        ; implicit-def: $vgpr7
                                        ; implicit-def: $vgpr86
	s_wait_alu 0xfffe
	s_and_b32 vcc_lo, exec_lo, s4
	s_wait_alu 0xfffe
	s_cbranch_vccnz .LBB565_141
	s_branch .LBB565_150
.LBB565_136:
	s_and_saveexec_b32 s5, s3
	s_cbranch_execnz .LBB565_378
; %bb.137:
	s_wait_alu 0xfffe
	s_or_b32 exec_lo, exec_lo, s5
	s_and_saveexec_b32 s5, s3
	s_cbranch_execnz .LBB565_379
.LBB565_138:
	s_wait_alu 0xfffe
	s_or_b32 exec_lo, exec_lo, s5
	s_delay_alu instid0(SALU_CYCLE_1)
	s_and_b32 exec_lo, exec_lo, s2
.LBB565_139:
	v_mov_b32_e32 v5, 0
	ds_store_b64 v5, v[7:8] offset:56
.LBB565_140:
	s_wait_alu 0xfffe
	s_or_b32 exec_lo, exec_lo, s4
	s_wait_dscnt 0x1
	v_cndmask_b32_e64 v12, v86, v25, s3
	v_mov_b32_e32 v5, 0
	s_wait_loadcnt_dscnt 0x0
	s_barrier_signal -1
	s_barrier_wait -1
	global_inv scope:SCOPE_SE
	ds_load_b64 v[9:10], v5 offset:56
	s_wait_loadcnt_dscnt 0x0
	s_barrier_signal -1
	s_barrier_wait -1
	global_inv scope:SCOPE_SE
	v_cndmask_b32_e64 v11, v87, v26, s3
	v_add_nc_u32_e32 v12, v9, v12
	ds_load_b128 v[5:8], v5 offset:13312
	v_add_nc_u32_e32 v11, v10, v11
	v_cndmask_b32_e64 v86, v12, v9, s2
	s_delay_alu instid0(VALU_DEP_2)
	v_cndmask_b32_e64 v29, v11, v10, s2
	s_branch .LBB565_150
.LBB565_141:
	s_wait_dscnt 0x0
	v_mov_b32_dpp v5, v84 row_shr:1 row_mask:0xf bank_mask:0xf
	v_cmp_lt_u32_e32 vcc_lo, 3, v81
	v_mov_b32_dpp v6, v85 row_shr:1 row_mask:0xf bank_mask:0xf
	s_delay_alu instid0(VALU_DEP_3) | instskip(NEXT) | instid1(VALU_DEP_1)
	v_add_nc_u32_e32 v5, v5, v84
	v_cndmask_b32_e64 v5, v5, v84, s1
	s_delay_alu instid0(VALU_DEP_1) | instskip(NEXT) | instid1(VALU_DEP_1)
	v_mov_b32_dpp v7, v5 row_shr:2 row_mask:0xf bank_mask:0xf
	v_add_nc_u32_e32 v7, v5, v7
	s_delay_alu instid0(VALU_DEP_1) | instskip(NEXT) | instid1(VALU_DEP_1)
	v_cndmask_b32_e64 v5, v5, v7, s0
	v_mov_b32_dpp v7, v5 row_shr:4 row_mask:0xf bank_mask:0xf
	s_delay_alu instid0(VALU_DEP_1) | instskip(SKIP_1) | instid1(VALU_DEP_1)
	v_add_nc_u32_e32 v7, v5, v7
	s_wait_alu 0xfffd
	v_dual_cndmask_b32 v7, v5, v7 :: v_dual_add_nc_u32 v6, v6, v85
	s_delay_alu instid0(VALU_DEP_1) | instskip(SKIP_1) | instid1(VALU_DEP_2)
	v_cndmask_b32_e64 v6, v6, v85, s1
	s_mov_b32 s1, exec_lo
	v_mov_b32_dpp v5, v7 row_shr:8 row_mask:0xf bank_mask:0xf
	s_delay_alu instid0(VALU_DEP_2) | instskip(NEXT) | instid1(VALU_DEP_2)
	v_mov_b32_dpp v8, v6 row_shr:2 row_mask:0xf bank_mask:0xf
	v_add_nc_u32_e32 v9, v7, v5
	s_delay_alu instid0(VALU_DEP_2) | instskip(NEXT) | instid1(VALU_DEP_1)
	v_add_nc_u32_e32 v8, v6, v8
	v_cndmask_b32_e64 v6, v6, v8, s0
	s_delay_alu instid0(VALU_DEP_1) | instskip(NEXT) | instid1(VALU_DEP_1)
	v_mov_b32_dpp v8, v6 row_shr:4 row_mask:0xf bank_mask:0xf
	v_add_nc_u32_e32 v8, v6, v8
	s_delay_alu instid0(VALU_DEP_1) | instskip(SKIP_1) | instid1(VALU_DEP_2)
	v_cndmask_b32_e32 v6, v6, v8, vcc_lo
	v_cmp_lt_u32_e32 vcc_lo, 7, v81
	v_mov_b32_dpp v8, v6 row_shr:8 row_mask:0xf bank_mask:0xf
	s_delay_alu instid0(VALU_DEP_1) | instskip(SKIP_1) | instid1(VALU_DEP_1)
	v_add_nc_u32_e32 v5, v6, v8
	s_wait_alu 0xfffd
	v_cndmask_b32_e32 v5, v6, v5, vcc_lo
	v_cndmask_b32_e32 v6, v7, v9, vcc_lo
	v_cmp_eq_u32_e32 vcc_lo, 0, v83
	ds_swizzle_b32 v7, v5 offset:swizzle(BROADCAST,32,15)
	ds_swizzle_b32 v8, v6 offset:swizzle(BROADCAST,32,15)
	s_wait_dscnt 0x1
	v_add_nc_u32_e32 v7, v5, v7
	s_wait_dscnt 0x0
	v_add_nc_u32_e32 v8, v6, v8
	v_cmpx_eq_u32_e64 v0, v82
; %bb.142:
	s_wait_alu 0xfffd
	s_delay_alu instid0(VALU_DEP_2)
	v_dual_cndmask_b32 v9, v8, v6 :: v_dual_cndmask_b32 v10, v7, v5
	v_lshlrev_b32_e32 v11, 3, v80
	ds_store_b64 v11, v[9:10]
; %bb.143:
	s_wait_alu 0xfffe
	s_or_b32 exec_lo, exec_lo, s1
	s_delay_alu instid0(SALU_CYCLE_1)
	s_mov_b32 s1, exec_lo
	s_wait_loadcnt_dscnt 0x0
	s_barrier_signal -1
	s_barrier_wait -1
	global_inv scope:SCOPE_SE
	v_cmpx_gt_u32_e32 8, v0
	s_cbranch_execz .LBB565_145
; %bb.144:
	v_lshlrev_b32_e32 v11, 3, v0
	v_and_b32_e32 v26, 7, v79
	ds_load_b64 v[9:10], v11
	v_cmp_eq_u32_e64 s0, 0, v26
	s_wait_dscnt 0x0
	v_mov_b32_dpp v12, v9 row_shr:1 row_mask:0xf bank_mask:0xf
	v_mov_b32_dpp v25, v10 row_shr:1 row_mask:0xf bank_mask:0xf
	s_delay_alu instid0(VALU_DEP_2) | instskip(NEXT) | instid1(VALU_DEP_2)
	v_add_nc_u32_e32 v12, v12, v9
	v_add_nc_u32_e32 v25, v25, v10
	s_wait_alu 0xf1ff
	s_delay_alu instid0(VALU_DEP_2) | instskip(NEXT) | instid1(VALU_DEP_2)
	v_cndmask_b32_e64 v9, v12, v9, s0
	v_cndmask_b32_e64 v10, v25, v10, s0
	v_cmp_lt_u32_e64 s0, 1, v26
	s_delay_alu instid0(VALU_DEP_3) | instskip(NEXT) | instid1(VALU_DEP_3)
	v_mov_b32_dpp v12, v9 row_shr:2 row_mask:0xf bank_mask:0xf
	v_mov_b32_dpp v25, v10 row_shr:2 row_mask:0xf bank_mask:0xf
	s_delay_alu instid0(VALU_DEP_2) | instskip(NEXT) | instid1(VALU_DEP_2)
	v_add_nc_u32_e32 v12, v9, v12
	v_add_nc_u32_e32 v25, v10, v25
	s_wait_alu 0xf1ff
	s_delay_alu instid0(VALU_DEP_2) | instskip(NEXT) | instid1(VALU_DEP_2)
	v_cndmask_b32_e64 v9, v9, v12, s0
	v_cndmask_b32_e64 v10, v10, v25, s0
	v_cmp_lt_u32_e64 s0, 3, v26
	s_delay_alu instid0(VALU_DEP_3) | instskip(NEXT) | instid1(VALU_DEP_3)
	v_mov_b32_dpp v12, v9 row_shr:4 row_mask:0xf bank_mask:0xf
	v_mov_b32_dpp v25, v10 row_shr:4 row_mask:0xf bank_mask:0xf
	s_wait_alu 0xf1ff
	s_delay_alu instid0(VALU_DEP_2) | instskip(NEXT) | instid1(VALU_DEP_2)
	v_cndmask_b32_e64 v12, 0, v12, s0
	v_cndmask_b32_e64 v25, 0, v25, s0
	s_delay_alu instid0(VALU_DEP_2) | instskip(NEXT) | instid1(VALU_DEP_2)
	v_add_nc_u32_e32 v9, v12, v9
	v_add_nc_u32_e32 v10, v25, v10
	ds_store_b64 v11, v[9:10]
.LBB565_145:
	s_wait_alu 0xfffe
	s_or_b32 exec_lo, exec_lo, s1
	v_dual_mov_b32 v11, 0 :: v_dual_mov_b32 v10, 0
	v_mov_b32_e32 v9, 0
	s_mov_b32 s1, exec_lo
	s_wait_loadcnt_dscnt 0x0
	s_barrier_signal -1
	s_barrier_wait -1
	global_inv scope:SCOPE_SE
	v_cmpx_lt_u32_e32 31, v0
; %bb.146:
	v_lshl_add_u32 v9, v80, 3, -8
	ds_load_b64 v[9:10], v9
; %bb.147:
	s_wait_alu 0xfffe
	s_or_b32 exec_lo, exec_lo, s1
	v_sub_co_u32 v12, s0, v79, 1
	v_dual_cndmask_b32 v6, v8, v6 :: v_dual_cndmask_b32 v5, v7, v5
	s_delay_alu instid0(VALU_DEP_2) | instskip(SKIP_1) | instid1(VALU_DEP_2)
	v_cmp_gt_i32_e64 s1, 0, v12
	s_wait_dscnt 0x0
	v_add_nc_u32_e32 v6, v9, v6
	s_delay_alu instid0(VALU_DEP_3) | instskip(SKIP_2) | instid1(VALU_DEP_1)
	v_add_nc_u32_e32 v5, v10, v5
	s_wait_alu 0xf1ff
	v_cndmask_b32_e64 v8, v12, v79, s1
	v_lshlrev_b32_e32 v7, 2, v8
	ds_bpermute_b32 v12, v7, v6
	ds_bpermute_b32 v25, v7, v5
	ds_load_b64 v[5:6], v11 offset:56
	s_and_saveexec_b32 s1, s2
	s_cbranch_execz .LBB565_149
; %bb.148:
	s_add_nc_u64 s[4:5], s[36:37], 0x200
	v_dual_mov_b32 v7, 2 :: v_dual_mov_b32 v8, 0
	s_wait_alu 0xfffe
	v_dual_mov_b32 v27, s5 :: v_dual_mov_b32 v26, s4
	s_wait_dscnt 0x0
	;;#ASMSTART
	global_store_b128 v[26:27], v[5:8] off scope:SCOPE_DEV	
s_wait_storecnt 0x0
	;;#ASMEND
.LBB565_149:
	s_wait_alu 0xfffe
	s_or_b32 exec_lo, exec_lo, s1
	s_wait_dscnt 0x1
	v_cndmask_b32_e64 v7, v25, v10, s0
	v_cndmask_b32_e64 v9, v12, v9, s0
	v_mov_b32_e32 v8, 0
	s_wait_loadcnt_dscnt 0x0
	s_barrier_signal -1
	v_cndmask_b32_e64 v29, v7, 0, s2
	v_cndmask_b32_e64 v86, v9, 0, s2
	v_mov_b32_e32 v7, 0
	s_barrier_wait -1
	global_inv scope:SCOPE_SE
.LBB565_150:
	v_lshrrev_b32_e32 v81, 8, v54
	s_wait_dscnt 0x0
	v_add_co_u32 v1, vcc_lo, v1, v7
	s_wait_alu 0xfffd
	v_add_co_ci_u32_e64 v2, null, 0, v2, vcc_lo
	v_and_b32_e32 v81, 1, v81
	v_sub_co_u32 v84, vcc_lo, v3, v5
	s_wait_alu 0xfffd
	v_subrev_co_ci_u32_e64 v85, null, 0, v4, vcc_lo
	s_delay_alu instid0(VALU_DEP_3)
	v_cmp_eq_u32_e32 vcc_lo, 1, v81
	v_add_nc_u32_e32 v78, v29, v78
	v_sub_nc_u32_e32 v29, v29, v8
	v_lshlrev_b32_e32 v87, 1, v5
	v_lshrrev_b32_e32 v79, 16, v54
	v_lshrrev_b32_e32 v80, 8, v47
	v_add_nc_u32_e32 v75, v78, v75
	v_sub_nc_u32_e32 v78, v78, v8
	v_add_nc_u32_e32 v29, v29, v5
	v_add3_u32 v90, v87, v6, v46
	v_and_b32_e32 v79, 1, v79
	v_lshrrev_b32_e32 v30, 16, v47
	v_add_nc_u32_e32 v78, v78, v5
	v_add_nc_u32_e32 v77, v86, v77
	v_sub_nc_u32_e32 v86, v86, v7
	v_and_b32_e32 v47, 1, v47
	v_and_b32_e32 v80, 1, v80
	;; [unrolled: 1-line block ×3, first 2 shown]
	v_add_nc_u32_e32 v74, v77, v74
	v_sub_nc_u32_e32 v77, v77, v7
	v_add_nc_u32_e32 v46, v86, v29
	v_lshrrev_b32_e32 v28, 8, v48
	v_lshrrev_b32_e32 v27, 16, v48
	v_and_b32_e32 v48, 1, v48
	v_add_nc_u32_e32 v91, v78, v77
	v_sub_nc_u32_e32 v46, v90, v46
	v_and_b32_e32 v28, 1, v28
	v_lshrrev_b32_e32 v25, 16, v49
	v_lshrrev_b32_e32 v26, 8, v49
	v_sub_nc_u32_e32 v91, v90, v91
	s_wait_alu 0xfffd
	v_cndmask_b32_e32 v29, v46, v29, vcc_lo
	v_cmp_eq_u32_e32 vcc_lo, 1, v79
	v_lshrrev_b32_e32 v12, 8, v51
	v_and_b32_e32 v26, 1, v26
	v_add_nc_u32_e32 v91, 1, v91
	v_lshrrev_b32_e32 v10, 16, v51
	v_lshrrev_b32_e32 v11, 8, v52
	v_and_b32_e32 v12, 1, v12
	v_lshrrev_b32_e32 v9, 16, v52
	s_wait_alu 0xfffd
	v_cndmask_b32_e32 v46, v91, v78, vcc_lo
	v_cmp_eq_u32_e32 vcc_lo, 1, v47
	v_add_nc_u32_e32 v82, v75, v60
	v_sub_nc_u32_e32 v75, v75, v8
	v_and_b32_e32 v60, 1, v60
	v_and_b32_e32 v10, 1, v10
	s_wait_alu 0xfffd
	v_cndmask_b32_e32 v29, v29, v86, vcc_lo
	v_cmp_eq_u32_e32 vcc_lo, 1, v80
	v_add_nc_u32_e32 v75, v75, v5
	v_sub_nc_u32_e32 v80, v82, v8
	v_and_b32_e32 v11, 1, v11
	v_lshlrev_b32_e32 v29, 2, v29
	s_wait_alu 0xfffd
	v_cndmask_b32_e32 v77, v46, v77, vcc_lo
	v_add_nc_u32_e32 v76, v74, v76
	v_sub_nc_u32_e32 v74, v74, v7
	v_add_co_u32 v46, vcc_lo, v84, v8
	s_wait_alu 0xfffd
	v_add_co_ci_u32_e64 v47, null, 0, v85, vcc_lo
	s_delay_alu instid0(VALU_DEP_3)
	v_add_nc_u32_e32 v79, v75, v74
	v_cmp_eq_u32_e32 vcc_lo, 1, v60
	v_add_nc_u32_e32 v83, v76, v59
	v_lshlrev_b32_e32 v77, 2, v77
	ds_store_b32 v29, v23
	ds_store_b32 v77, v24
	v_sub_nc_u32_e32 v79, v90, v79
	v_and_b32_e32 v9, 1, v9
	s_delay_alu instid0(VALU_DEP_2) | instskip(SKIP_1) | instid1(VALU_DEP_1)
	v_add_nc_u32_e32 v79, 2, v79
	s_wait_alu 0xfffd
	v_dual_cndmask_b32 v60, v79, v75 :: v_dual_add_nc_u32 v73, v82, v73
	s_delay_alu instid0(VALU_DEP_1)
	v_add_nc_u32_e32 v72, v73, v72
	v_sub_nc_u32_e32 v75, v76, v7
	v_sub_nc_u32_e32 v73, v73, v8
	v_add_nc_u32_e32 v76, v80, v5
	v_cmp_eq_u32_e32 vcc_lo, 1, v30
	s_wait_alu 0xfffd
	s_delay_alu instid0(VALU_DEP_3)
	v_dual_cndmask_b32 v30, v60, v74 :: v_dual_add_nc_u32 v73, v73, v5
	v_sub_nc_u32_e32 v60, v83, v7
	v_add_nc_u32_e32 v74, v75, v76
	v_cmp_eq_u32_e32 vcc_lo, 1, v48
	v_and_b32_e32 v48, 1, v49
	v_lshlrev_b32_e32 v23, 2, v30
	v_add_nc_u32_e32 v24, v60, v73
	v_sub_nc_u32_e32 v29, v90, v74
	v_and_b32_e32 v30, 1, v59
	v_sub_nc_u32_e32 v59, v72, v8
	ds_store_b32 v23, v21
	v_sub_nc_u32_e32 v24, v90, v24
	v_add_nc_u32_e32 v29, 3, v29
	v_and_b32_e32 v23, 1, v27
	v_add_nc_u32_e32 v59, v59, v5
	s_delay_alu instid0(VALU_DEP_4)
	v_add_nc_u32_e32 v24, 4, v24
	s_wait_alu 0xfffd
	v_cndmask_b32_e32 v29, v29, v76, vcc_lo
	v_cmp_eq_u32_e32 vcc_lo, 1, v28
	s_wait_alu 0xfffd
	v_dual_cndmask_b32 v24, v24, v73 :: v_dual_add_nc_u32 v71, v83, v71
	s_delay_alu instid0(VALU_DEP_1) | instskip(SKIP_2) | instid1(VALU_DEP_3)
	v_add_nc_u32_e32 v69, v71, v69
	v_sub_nc_u32_e32 v71, v71, v7
	v_cmp_eq_u32_e32 vcc_lo, 1, v30
	v_add_nc_u32_e32 v65, v69, v65
	s_delay_alu instid0(VALU_DEP_3)
	v_add_nc_u32_e32 v49, v71, v59
	s_wait_alu 0xfffd
	v_cndmask_b32_e32 v28, v29, v75, vcc_lo
	v_cmp_eq_u32_e32 vcc_lo, 1, v48
	v_add_nc_u32_e32 v89, v65, v57
	v_sub_nc_u32_e32 v29, v90, v49
	s_delay_alu instid0(VALU_DEP_4)
	v_lshlrev_b32_e32 v21, 2, v28
	s_wait_alu 0xfffd
	v_cndmask_b32_e32 v24, v24, v60, vcc_lo
	v_cmp_eq_u32_e32 vcc_lo, 1, v23
	v_sub_nc_u32_e32 v48, v89, v7
	v_add_nc_u32_e32 v27, 5, v29
	v_add_nc_u32_e32 v66, v89, v66
	v_lshlrev_b32_e32 v24, 2, v24
	ds_store_b32 v21, v22
	ds_store_b32 v24, v19
	s_wait_alu 0xfffd
	v_cndmask_b32_e32 v23, v27, v59, vcc_lo
	v_cmp_eq_u32_e32 vcc_lo, 1, v26
	v_sub_nc_u32_e32 v27, v69, v7
	v_sub_nc_u32_e32 v26, v65, v7
	v_and_b32_e32 v24, 1, v58
	v_add_nc_u32_e32 v63, v66, v63
	s_wait_alu 0xfffd
	v_dual_cndmask_b32 v23, v23, v71 :: v_dual_add_nc_u32 v70, v72, v70
	s_delay_alu instid0(VALU_DEP_3) | instskip(SKIP_1) | instid1(VALU_DEP_3)
	v_cmp_eq_u32_e32 vcc_lo, 1, v24
	v_and_b32_e32 v24, 1, v57
	v_lshlrev_b32_e32 v19, 2, v23
	s_delay_alu instid0(VALU_DEP_4) | instskip(SKIP_3) | instid1(VALU_DEP_4)
	v_add_nc_u32_e32 v88, v70, v58
	v_sub_nc_u32_e32 v28, v70, v8
	v_and_b32_e32 v23, 1, v25
	v_add_nc_u32_e32 v62, v63, v62
	v_sub_nc_u32_e32 v29, v88, v8
	s_delay_alu instid0(VALU_DEP_4) | instskip(SKIP_1) | instid1(VALU_DEP_4)
	v_add_nc_u32_e32 v28, v28, v5
	v_add_nc_u32_e32 v68, v88, v68
	;; [unrolled: 1-line block ×3, first 2 shown]
	s_delay_alu instid0(VALU_DEP_4) | instskip(NEXT) | instid1(VALU_DEP_4)
	v_add_nc_u32_e32 v29, v29, v5
	v_add_nc_u32_e32 v30, v27, v28
	s_delay_alu instid0(VALU_DEP_4) | instskip(SKIP_1) | instid1(VALU_DEP_4)
	v_sub_nc_u32_e32 v25, v68, v8
	v_add_nc_u32_e32 v67, v68, v67
	v_add_nc_u32_e32 v21, v26, v29
	s_delay_alu instid0(VALU_DEP_4)
	v_sub_nc_u32_e32 v22, v90, v30
	v_and_b32_e32 v30, 1, v51
	v_add_nc_u32_e32 v25, v25, v5
	v_add_nc_u32_e32 v64, v67, v64
	v_sub_nc_u32_e32 v21, v90, v21
	v_add_nc_u32_e32 v22, 6, v22
	s_delay_alu instid0(VALU_DEP_3) | instskip(SKIP_1) | instid1(VALU_DEP_2)
	v_add_nc_u32_e32 v92, v64, v56
	s_wait_alu 0xfffd
	v_dual_cndmask_b32 v22, v22, v28 :: v_dual_add_nc_u32 v21, 7, v21
	v_cmp_eq_u32_e32 vcc_lo, 1, v30
	v_add_nc_u32_e32 v28, v48, v25
	v_add_nc_u32_e32 v61, v92, v61
	s_wait_alu 0xfffd
	v_cndmask_b32_e32 v21, v21, v29, vcc_lo
	v_cmp_eq_u32_e32 vcc_lo, 1, v23
	v_sub_nc_u32_e32 v23, v90, v28
	s_wait_alu 0xfffd
	v_cndmask_b32_e32 v22, v22, v27, vcc_lo
	v_cmp_eq_u32_e32 vcc_lo, 1, v24
	v_sub_nc_u32_e32 v24, v67, v8
	v_add_nc_u32_e32 v23, 8, v23
	v_sub_nc_u32_e32 v27, v66, v7
	v_lshlrev_b32_e32 v22, 2, v22
	s_wait_alu 0xfffd
	v_dual_cndmask_b32 v21, v21, v26 :: v_dual_add_nc_u32 v24, v24, v5
	v_cmp_eq_u32_e32 vcc_lo, 1, v12
	v_and_b32_e32 v26, 1, v52
	s_delay_alu instid0(VALU_DEP_3)
	v_lshlrev_b32_e32 v21, 2, v21
	ds_store_b32 v19, v20
	ds_store_b32 v22, v17
	;; [unrolled: 1-line block ×3, first 2 shown]
	s_wait_alu 0xfffd
	v_cndmask_b32_e32 v12, v23, v25, vcc_lo
	v_add_nc_u32_e32 v23, v27, v24
	v_cmp_eq_u32_e32 vcc_lo, 1, v26
	v_sub_nc_u32_e32 v18, v64, v8
	v_sub_nc_u32_e32 v19, v63, v7
	;; [unrolled: 1-line block ×4, first 2 shown]
	s_wait_alu 0xfffd
	v_cndmask_b32_e32 v12, v12, v48, vcc_lo
	v_add_nc_u32_e32 v18, v18, v5
	v_cmp_eq_u32_e32 vcc_lo, 1, v10
	v_add_nc_u32_e32 v20, v20, v5
	v_add_nc_u32_e32 v17, 9, v17
	v_lshlrev_b32_e32 v12, 2, v12
	v_add_nc_u32_e32 v21, v19, v18
	v_and_b32_e32 v22, 1, v50
	s_wait_alu 0xfffd
	v_cndmask_b32_e32 v10, v17, v24, vcc_lo
	v_sub_nc_u32_e32 v17, v62, v7
	ds_store_b32 v12, v15
	v_cmp_eq_u32_e32 vcc_lo, 1, v11
	v_sub_nc_u32_e32 v12, v90, v21
	v_and_b32_e32 v15, 1, v56
	v_add_nc_u32_e32 v11, v17, v20
	v_sub_nc_u32_e32 v21, v61, v8
	s_wait_alu 0xfffd
	v_cndmask_b32_e32 v10, v10, v27, vcc_lo
	v_add_nc_u32_e32 v12, 10, v12
	v_cmp_eq_u32_e32 vcc_lo, 1, v15
	v_sub_nc_u32_e32 v11, v90, v11
	v_sub_nc_u32_e32 v7, v78, v7
	v_add_nc_u32_e32 v21, v21, v5
	s_wait_alu 0xfffd
	v_dual_cndmask_b32 v12, v12, v18 :: v_dual_and_b32 v15, 1, v55
	v_add_nc_u32_e32 v11, 11, v11
	v_cmp_eq_u32_e32 vcc_lo, 1, v22
	v_add_nc_u32_e32 v18, v7, v21
	s_wait_alu 0xfffd
	s_delay_alu instid0(VALU_DEP_3)
	v_dual_cndmask_b32 v11, v11, v20 :: v_dual_lshlrev_b32 v10, 2, v10
	v_cmp_eq_u32_e32 vcc_lo, 1, v9
	s_wait_alu 0xfffd
	v_cndmask_b32_e32 v9, v12, v19, vcc_lo
	v_cmp_eq_u32_e32 vcc_lo, 1, v15
	v_sub_nc_u32_e32 v12, v90, v18
	v_and_b32_e32 v15, 1, v53
	s_delay_alu instid0(VALU_DEP_4) | instskip(SKIP_1) | instid1(VALU_DEP_3)
	v_lshlrev_b32_e32 v9, 2, v9
	s_wait_alu 0xfffd
	v_dual_cndmask_b32 v11, v11, v17 :: v_dual_add_nc_u32 v12, 12, v12
	v_and_b32_e32 v17, 1, v54
	v_cmp_eq_u32_e32 vcc_lo, 1, v15
	s_delay_alu instid0(VALU_DEP_3)
	v_lshlrev_b32_e32 v11, 2, v11
	ds_store_b32 v10, v16
	ds_store_b32 v9, v13
	;; [unrolled: 1-line block ×3, first 2 shown]
	s_wait_alu 0xfffd
	v_cndmask_b32_e32 v12, v12, v21, vcc_lo
	v_cmp_eq_u32_e32 vcc_lo, 1, v17
	v_add_co_u32 v9, s0, v6, v87
	s_wait_alu 0xf1ff
	v_add_co_ci_u32_e64 v10, null, 0, 0, s0
	s_wait_alu 0xfffd
	v_cndmask_b32_e32 v7, v12, v7, vcc_lo
	v_add_co_u32 v9, vcc_lo, v9, v46
	s_wait_alu 0xfffd
	v_add_co_ci_u32_e64 v10, null, v10, v47, vcc_lo
	s_delay_alu instid0(VALU_DEP_3)
	v_lshlrev_b32_e32 v7, 2, v7
	v_add_co_u32 v11, s0, s34, v43
	v_add_co_u32 v9, vcc_lo, v9, v1
	s_wait_alu 0xf1ff
	v_add_co_ci_u32_e64 v12, null, s35, 0, s0
	s_wait_alu 0xfffd
	v_add_co_ci_u32_e64 v10, null, v10, v2, vcc_lo
	ds_store_b32 v7, v45
	v_sub_co_u32 v7, vcc_lo, v11, v9
	s_wait_alu 0xfffd
	v_sub_co_ci_u32_e64 v13, null, v12, v10, vcc_lo
	v_lshlrev_b64_e32 v[9:10], 2, v[46:47]
	v_lshlrev_b64_e32 v[11:12], 2, v[1:2]
	v_add_nc_u32_e32 v14, v5, v6
	s_wait_loadcnt_dscnt 0x0
	s_barrier_signal -1
	s_barrier_wait -1
	v_add_co_u32 v9, vcc_lo, s30, v9
	s_wait_alu 0xfffd
	v_add_co_ci_u32_e64 v10, null, s31, v10, vcc_lo
	v_cmp_ne_u32_e32 vcc_lo, 1, v44
	v_add_co_u32 v11, s0, s28, v11
	s_wait_alu 0xf1ff
	v_add_co_ci_u32_e64 v12, null, s29, v12, s0
	s_mov_b32 s0, -1
	global_inv scope:SCOPE_SE
	s_cbranch_vccz .LBB565_154
; %bb.151:
	s_wait_alu 0xfffe
	s_and_b32 vcc_lo, exec_lo, s0
	s_wait_alu 0xfffe
	s_cbranch_vccnz .LBB565_259
.LBB565_152:
	s_and_b32 s0, s2, s26
	s_wait_alu 0xfffe
	s_and_saveexec_b32 s1, s0
	s_cbranch_execnz .LBB565_377
.LBB565_153:
	s_nop 0
	s_sendmsg sendmsg(MSG_DEALLOC_VGPRS)
	s_endpgm
.LBB565_154:
	s_mov_b32 s0, exec_lo
	v_cmpx_ge_u32_e64 v0, v5
	s_wait_alu 0xfffe
	s_xor_b32 s0, exec_lo, s0
	s_cbranch_execz .LBB565_160
; %bb.155:
	s_mov_b32 s1, exec_lo
	v_cmpx_ge_u32_e64 v0, v14
	s_wait_alu 0xfffe
	s_xor_b32 s1, exec_lo, s1
	s_cbranch_execz .LBB565_157
; %bb.156:
	v_lshlrev_b32_e32 v15, 2, v0
	ds_load_b32 v17, v15
	v_add_co_u32 v15, vcc_lo, v7, v0
	s_wait_alu 0xfffd
	v_add_co_ci_u32_e64 v16, null, 0, v13, vcc_lo
	s_delay_alu instid0(VALU_DEP_1) | instskip(NEXT) | instid1(VALU_DEP_1)
	v_lshlrev_b64_e32 v[15:16], 2, v[15:16]
	v_sub_co_u32 v15, vcc_lo, s14, v15
	s_wait_alu 0xfffd
	s_delay_alu instid0(VALU_DEP_2)
	v_sub_co_ci_u32_e64 v16, null, s15, v16, vcc_lo
	s_wait_dscnt 0x0
	global_store_b32 v[15:16], v17, off offset:-4
.LBB565_157:
	s_wait_alu 0xfffe
	s_and_not1_saveexec_b32 s1, s1
	s_cbranch_execz .LBB565_159
; %bb.158:
	v_lshlrev_b32_e32 v15, 2, v0
	v_readfirstlane_b32 s4, v9
	v_readfirstlane_b32 s5, v10
	ds_load_b32 v16, v15
	s_wait_dscnt 0x0
	global_store_b32 v15, v16, s[4:5]
.LBB565_159:
	s_wait_alu 0xfffe
	s_or_b32 exec_lo, exec_lo, s1
.LBB565_160:
	s_wait_alu 0xfffe
	s_and_not1_saveexec_b32 s0, s0
	s_cbranch_execz .LBB565_162
; %bb.161:
	v_lshlrev_b32_e32 v15, 2, v0
	v_readfirstlane_b32 s4, v11
	v_readfirstlane_b32 s5, v12
	ds_load_b32 v16, v15
	s_wait_dscnt 0x0
	global_store_b32 v15, v16, s[4:5]
.LBB565_162:
	s_wait_alu 0xfffe
	s_or_b32 exec_lo, exec_lo, s0
	s_delay_alu instid0(SALU_CYCLE_1)
	s_mov_b32 s0, exec_lo
	v_cmpx_ge_u32_e64 v42, v5
	s_wait_alu 0xfffe
	s_xor_b32 s0, exec_lo, s0
	s_cbranch_execz .LBB565_168
; %bb.163:
	s_mov_b32 s1, exec_lo
	v_cmpx_ge_u32_e64 v42, v14
	s_wait_alu 0xfffe
	s_xor_b32 s1, exec_lo, s1
	s_cbranch_execz .LBB565_165
; %bb.164:
	v_lshlrev_b32_e32 v15, 2, v0
	ds_load_b32 v17, v15 offset:1024
	v_add_co_u32 v15, vcc_lo, v7, v0
	s_wait_alu 0xfffd
	v_add_co_ci_u32_e64 v16, null, 0, v13, vcc_lo
	s_delay_alu instid0(VALU_DEP_1) | instskip(NEXT) | instid1(VALU_DEP_1)
	v_lshlrev_b64_e32 v[15:16], 2, v[15:16]
	v_sub_co_u32 v15, vcc_lo, s14, v15
	s_wait_alu 0xfffd
	s_delay_alu instid0(VALU_DEP_2)
	v_sub_co_ci_u32_e64 v16, null, s15, v16, vcc_lo
	s_wait_dscnt 0x0
	global_store_b32 v[15:16], v17, off offset:-1028
.LBB565_165:
	s_wait_alu 0xfffe
	s_and_not1_saveexec_b32 s1, s1
	s_cbranch_execz .LBB565_167
; %bb.166:
	v_lshlrev_b32_e32 v15, 2, v0
	v_readfirstlane_b32 s4, v9
	v_readfirstlane_b32 s5, v10
	ds_load_b32 v16, v15 offset:1024
	s_wait_dscnt 0x0
	global_store_b32 v15, v16, s[4:5] offset:1024
.LBB565_167:
	s_wait_alu 0xfffe
	s_or_b32 exec_lo, exec_lo, s1
.LBB565_168:
	s_wait_alu 0xfffe
	s_and_not1_saveexec_b32 s0, s0
	s_cbranch_execz .LBB565_170
; %bb.169:
	v_lshlrev_b32_e32 v15, 2, v0
	v_readfirstlane_b32 s4, v11
	v_readfirstlane_b32 s5, v12
	ds_load_b32 v16, v15 offset:1024
	s_wait_dscnt 0x0
	global_store_b32 v15, v16, s[4:5] offset:1024
.LBB565_170:
	s_wait_alu 0xfffe
	s_or_b32 exec_lo, exec_lo, s0
	s_delay_alu instid0(SALU_CYCLE_1)
	s_mov_b32 s0, exec_lo
	v_cmpx_ge_u32_e64 v41, v5
	s_wait_alu 0xfffe
	s_xor_b32 s0, exec_lo, s0
	s_cbranch_execz .LBB565_176
; %bb.171:
	s_mov_b32 s1, exec_lo
	v_cmpx_ge_u32_e64 v41, v14
	s_wait_alu 0xfffe
	s_xor_b32 s1, exec_lo, s1
	s_cbranch_execz .LBB565_173
; %bb.172:
	v_lshlrev_b32_e32 v15, 2, v0
	ds_load_b32 v17, v15 offset:2048
	v_add_co_u32 v15, vcc_lo, v7, v0
	s_wait_alu 0xfffd
	v_add_co_ci_u32_e64 v16, null, 0, v13, vcc_lo
	s_delay_alu instid0(VALU_DEP_1) | instskip(NEXT) | instid1(VALU_DEP_1)
	v_lshlrev_b64_e32 v[15:16], 2, v[15:16]
	v_sub_co_u32 v15, vcc_lo, s14, v15
	s_wait_alu 0xfffd
	s_delay_alu instid0(VALU_DEP_2)
	v_sub_co_ci_u32_e64 v16, null, s15, v16, vcc_lo
	s_wait_dscnt 0x0
	global_store_b32 v[15:16], v17, off offset:-2052
.LBB565_173:
	s_wait_alu 0xfffe
	s_and_not1_saveexec_b32 s1, s1
	s_cbranch_execz .LBB565_175
; %bb.174:
	v_lshlrev_b32_e32 v15, 2, v0
	v_readfirstlane_b32 s4, v9
	v_readfirstlane_b32 s5, v10
	ds_load_b32 v16, v15 offset:2048
	s_wait_dscnt 0x0
	global_store_b32 v15, v16, s[4:5] offset:2048
.LBB565_175:
	s_wait_alu 0xfffe
	s_or_b32 exec_lo, exec_lo, s1
.LBB565_176:
	s_wait_alu 0xfffe
	s_and_not1_saveexec_b32 s0, s0
	s_cbranch_execz .LBB565_178
; %bb.177:
	v_lshlrev_b32_e32 v15, 2, v0
	v_readfirstlane_b32 s4, v11
	v_readfirstlane_b32 s5, v12
	ds_load_b32 v16, v15 offset:2048
	s_wait_dscnt 0x0
	global_store_b32 v15, v16, s[4:5] offset:2048
.LBB565_178:
	;; [unrolled: 54-line block ×12, first 2 shown]
	s_wait_alu 0xfffe
	s_or_b32 exec_lo, exec_lo, s0
	s_branch .LBB565_152
.LBB565_259:
	s_mov_b32 s0, exec_lo
	v_cmpx_gt_u32_e64 s27, v0
	s_cbranch_execz .LBB565_268
; %bb.260:
	s_mov_b32 s1, exec_lo
	v_cmpx_ge_u32_e64 v0, v5
	s_wait_alu 0xfffe
	s_xor_b32 s1, exec_lo, s1
	s_cbranch_execz .LBB565_266
; %bb.261:
	s_mov_b32 s3, exec_lo
	v_cmpx_ge_u32_e64 v0, v14
	s_wait_alu 0xfffe
	s_xor_b32 s3, exec_lo, s3
	s_cbranch_execz .LBB565_263
; %bb.262:
	v_lshlrev_b32_e32 v15, 2, v0
	ds_load_b32 v17, v15
	v_add_co_u32 v15, vcc_lo, v7, v0
	s_wait_alu 0xfffd
	v_add_co_ci_u32_e64 v16, null, 0, v13, vcc_lo
	s_delay_alu instid0(VALU_DEP_1) | instskip(NEXT) | instid1(VALU_DEP_1)
	v_lshlrev_b64_e32 v[15:16], 2, v[15:16]
	v_sub_co_u32 v15, vcc_lo, s14, v15
	s_wait_alu 0xfffd
	s_delay_alu instid0(VALU_DEP_2)
	v_sub_co_ci_u32_e64 v16, null, s15, v16, vcc_lo
	s_wait_dscnt 0x0
	global_store_b32 v[15:16], v17, off offset:-4
.LBB565_263:
	s_wait_alu 0xfffe
	s_and_not1_saveexec_b32 s3, s3
	s_cbranch_execz .LBB565_265
; %bb.264:
	v_lshlrev_b32_e32 v15, 2, v0
	v_readfirstlane_b32 s4, v9
	v_readfirstlane_b32 s5, v10
	ds_load_b32 v16, v15
	s_wait_dscnt 0x0
	global_store_b32 v15, v16, s[4:5]
.LBB565_265:
	s_wait_alu 0xfffe
	s_or_b32 exec_lo, exec_lo, s3
.LBB565_266:
	s_wait_alu 0xfffe
	s_and_not1_saveexec_b32 s1, s1
	s_cbranch_execz .LBB565_268
; %bb.267:
	v_lshlrev_b32_e32 v15, 2, v0
	v_readfirstlane_b32 s4, v11
	v_readfirstlane_b32 s5, v12
	ds_load_b32 v16, v15
	s_wait_dscnt 0x0
	global_store_b32 v15, v16, s[4:5]
.LBB565_268:
	s_wait_alu 0xfffe
	s_or_b32 exec_lo, exec_lo, s0
	s_delay_alu instid0(SALU_CYCLE_1)
	s_mov_b32 s0, exec_lo
	v_cmpx_gt_u32_e64 s27, v42
	s_cbranch_execz .LBB565_277
; %bb.269:
	s_mov_b32 s1, exec_lo
	v_cmpx_ge_u32_e64 v42, v5
	s_wait_alu 0xfffe
	s_xor_b32 s1, exec_lo, s1
	s_cbranch_execz .LBB565_275
; %bb.270:
	s_mov_b32 s3, exec_lo
	v_cmpx_ge_u32_e64 v42, v14
	s_wait_alu 0xfffe
	s_xor_b32 s3, exec_lo, s3
	s_cbranch_execz .LBB565_272
; %bb.271:
	v_lshlrev_b32_e32 v15, 2, v0
	ds_load_b32 v17, v15 offset:1024
	v_add_co_u32 v15, vcc_lo, v7, v0
	s_wait_alu 0xfffd
	v_add_co_ci_u32_e64 v16, null, 0, v13, vcc_lo
	s_delay_alu instid0(VALU_DEP_1) | instskip(NEXT) | instid1(VALU_DEP_1)
	v_lshlrev_b64_e32 v[15:16], 2, v[15:16]
	v_sub_co_u32 v15, vcc_lo, s14, v15
	s_wait_alu 0xfffd
	s_delay_alu instid0(VALU_DEP_2)
	v_sub_co_ci_u32_e64 v16, null, s15, v16, vcc_lo
	s_wait_dscnt 0x0
	global_store_b32 v[15:16], v17, off offset:-1028
.LBB565_272:
	s_wait_alu 0xfffe
	s_and_not1_saveexec_b32 s3, s3
	s_cbranch_execz .LBB565_274
; %bb.273:
	v_lshlrev_b32_e32 v15, 2, v0
	v_readfirstlane_b32 s4, v9
	v_readfirstlane_b32 s5, v10
	ds_load_b32 v16, v15 offset:1024
	s_wait_dscnt 0x0
	global_store_b32 v15, v16, s[4:5] offset:1024
.LBB565_274:
	s_wait_alu 0xfffe
	s_or_b32 exec_lo, exec_lo, s3
.LBB565_275:
	s_wait_alu 0xfffe
	s_and_not1_saveexec_b32 s1, s1
	s_cbranch_execz .LBB565_277
; %bb.276:
	v_lshlrev_b32_e32 v15, 2, v0
	v_readfirstlane_b32 s4, v11
	v_readfirstlane_b32 s5, v12
	ds_load_b32 v16, v15 offset:1024
	s_wait_dscnt 0x0
	global_store_b32 v15, v16, s[4:5] offset:1024
.LBB565_277:
	s_wait_alu 0xfffe
	s_or_b32 exec_lo, exec_lo, s0
	s_delay_alu instid0(SALU_CYCLE_1)
	s_mov_b32 s0, exec_lo
	v_cmpx_gt_u32_e64 s27, v41
	s_cbranch_execz .LBB565_286
; %bb.278:
	s_mov_b32 s1, exec_lo
	v_cmpx_ge_u32_e64 v41, v5
	s_wait_alu 0xfffe
	s_xor_b32 s1, exec_lo, s1
	s_cbranch_execz .LBB565_284
; %bb.279:
	s_mov_b32 s3, exec_lo
	v_cmpx_ge_u32_e64 v41, v14
	s_wait_alu 0xfffe
	s_xor_b32 s3, exec_lo, s3
	s_cbranch_execz .LBB565_281
; %bb.280:
	v_lshlrev_b32_e32 v15, 2, v0
	ds_load_b32 v17, v15 offset:2048
	v_add_co_u32 v15, vcc_lo, v7, v0
	s_wait_alu 0xfffd
	v_add_co_ci_u32_e64 v16, null, 0, v13, vcc_lo
	s_delay_alu instid0(VALU_DEP_1) | instskip(NEXT) | instid1(VALU_DEP_1)
	v_lshlrev_b64_e32 v[15:16], 2, v[15:16]
	v_sub_co_u32 v15, vcc_lo, s14, v15
	s_wait_alu 0xfffd
	s_delay_alu instid0(VALU_DEP_2)
	v_sub_co_ci_u32_e64 v16, null, s15, v16, vcc_lo
	s_wait_dscnt 0x0
	global_store_b32 v[15:16], v17, off offset:-2052
.LBB565_281:
	s_wait_alu 0xfffe
	s_and_not1_saveexec_b32 s3, s3
	s_cbranch_execz .LBB565_283
; %bb.282:
	v_lshlrev_b32_e32 v15, 2, v0
	v_readfirstlane_b32 s4, v9
	v_readfirstlane_b32 s5, v10
	ds_load_b32 v16, v15 offset:2048
	s_wait_dscnt 0x0
	global_store_b32 v15, v16, s[4:5] offset:2048
.LBB565_283:
	s_wait_alu 0xfffe
	s_or_b32 exec_lo, exec_lo, s3
.LBB565_284:
	s_wait_alu 0xfffe
	s_and_not1_saveexec_b32 s1, s1
	s_cbranch_execz .LBB565_286
; %bb.285:
	v_lshlrev_b32_e32 v15, 2, v0
	v_readfirstlane_b32 s4, v11
	v_readfirstlane_b32 s5, v12
	ds_load_b32 v16, v15 offset:2048
	s_wait_dscnt 0x0
	global_store_b32 v15, v16, s[4:5] offset:2048
.LBB565_286:
	;; [unrolled: 58-line block ×11, first 2 shown]
	s_wait_alu 0xfffe
	s_or_b32 exec_lo, exec_lo, s0
	s_delay_alu instid0(SALU_CYCLE_1)
	s_mov_b32 s0, exec_lo
	v_cmpx_gt_u32_e64 s27, v31
	s_cbranch_execz .LBB565_376
; %bb.368:
	s_mov_b32 s1, exec_lo
	v_cmpx_ge_u32_e64 v31, v5
	s_wait_alu 0xfffe
	s_xor_b32 s1, exec_lo, s1
	s_cbranch_execz .LBB565_374
; %bb.369:
	s_mov_b32 s3, exec_lo
	v_cmpx_ge_u32_e64 v31, v14
	s_wait_alu 0xfffe
	s_xor_b32 s3, exec_lo, s3
	s_cbranch_execz .LBB565_371
; %bb.370:
	v_lshlrev_b32_e32 v9, 2, v0
	ds_load_b32 v11, v9 offset:12288
	v_add_co_u32 v9, vcc_lo, v7, v0
	s_wait_alu 0xfffd
	v_add_co_ci_u32_e64 v10, null, 0, v13, vcc_lo
                                        ; implicit-def: $vgpr0
	s_delay_alu instid0(VALU_DEP_1) | instskip(NEXT) | instid1(VALU_DEP_1)
	v_lshlrev_b64_e32 v[9:10], 2, v[9:10]
	v_sub_co_u32 v9, vcc_lo, s14, v9
	s_wait_alu 0xfffd
	s_delay_alu instid0(VALU_DEP_2)
	v_sub_co_ci_u32_e64 v10, null, s15, v10, vcc_lo
	s_wait_dscnt 0x0
	global_store_b32 v[9:10], v11, off offset:-12292
                                        ; implicit-def: $vgpr9_vgpr10
.LBB565_371:
	s_wait_alu 0xfffe
	s_and_not1_saveexec_b32 s3, s3
	s_cbranch_execz .LBB565_373
; %bb.372:
	v_lshlrev_b32_e32 v0, 2, v0
	v_readfirstlane_b32 s4, v9
	v_readfirstlane_b32 s5, v10
	ds_load_b32 v7, v0 offset:12288
	s_wait_dscnt 0x0
	global_store_b32 v0, v7, s[4:5] offset:12288
.LBB565_373:
	s_wait_alu 0xfffe
	s_or_b32 exec_lo, exec_lo, s3
                                        ; implicit-def: $vgpr0
                                        ; implicit-def: $vgpr11_vgpr12
.LBB565_374:
	s_wait_alu 0xfffe
	s_and_not1_saveexec_b32 s1, s1
	s_cbranch_execz .LBB565_376
; %bb.375:
	v_lshlrev_b32_e32 v0, 2, v0
	v_readfirstlane_b32 s4, v11
	v_readfirstlane_b32 s5, v12
	ds_load_b32 v7, v0 offset:12288
	s_wait_dscnt 0x0
	global_store_b32 v0, v7, s[4:5] offset:12288
.LBB565_376:
	s_wait_alu 0xfffe
	s_or_b32 exec_lo, exec_lo, s0
	s_and_b32 s0, s2, s26
	s_wait_alu 0xfffe
	s_and_saveexec_b32 s1, s0
	s_cbranch_execz .LBB565_153
.LBB565_377:
	v_add_co_u32 v0, vcc_lo, v3, v6
	s_wait_alu 0xfffd
	v_add_co_ci_u32_e64 v4, null, 0, v4, vcc_lo
	v_mov_b32_e32 v6, 0
	s_delay_alu instid0(VALU_DEP_3) | instskip(SKIP_1) | instid1(VALU_DEP_3)
	v_add_co_u32 v3, vcc_lo, v0, v8
	s_wait_alu 0xfffd
	v_add_co_ci_u32_e64 v4, null, 0, v4, vcc_lo
	v_add_co_u32 v1, vcc_lo, v1, v5
	s_wait_alu 0xfffd
	v_add_co_ci_u32_e64 v2, null, 0, v2, vcc_lo
	global_store_b128 v6, v[1:4], s[24:25]
	s_nop 0
	s_sendmsg sendmsg(MSG_DEALLOC_VGPRS)
	s_endpgm
.LBB565_378:
	s_add_co_i32 s6, s33, 32
	s_mov_b32 s7, 0
	v_dual_mov_b32 v11, 2 :: v_dual_add_nc_u32 v10, v8, v6
	s_wait_alu 0xfffe
	s_lshl_b64 s[6:7], s[6:7], 4
	v_dual_mov_b32 v12, 0 :: v_dual_add_nc_u32 v9, v7, v5
	s_wait_alu 0xfffe
	s_add_nc_u64 s[6:7], s[36:37], s[6:7]
	s_wait_alu 0xfffe
	v_dual_mov_b32 v28, s7 :: v_dual_mov_b32 v27, s6
	;;#ASMSTART
	global_store_b128 v[27:28], v[9:12] off scope:SCOPE_DEV	
s_wait_storecnt 0x0
	;;#ASMEND
	s_or_b32 exec_lo, exec_lo, s5
	s_and_saveexec_b32 s5, s3
	s_cbranch_execz .LBB565_138
.LBB565_379:
	v_mov_b32_e32 v9, 0
	ds_store_b128 v9, v[5:8] offset:13312
	s_wait_alu 0xfffe
	s_or_b32 exec_lo, exec_lo, s5
	s_delay_alu instid0(SALU_CYCLE_1)
	s_and_b32 exec_lo, exec_lo, s2
	s_cbranch_execnz .LBB565_139
	s_branch .LBB565_140
	.section	.rodata,"a",@progbits
	.p2align	6, 0x0
	.amdhsa_kernel _ZN7rocprim17ROCPRIM_400000_NS6detail17trampoline_kernelINS0_13select_configILj256ELj13ELNS0_17block_load_methodE3ELS4_3ELS4_3ELNS0_20block_scan_algorithmE0ELj4294967295EEENS1_25partition_config_selectorILNS1_17partition_subalgoE4EjNS0_10empty_typeEbEEZZNS1_14partition_implILS8_4ELb0ES6_15HIP_vector_typeIjLj2EENS0_17counting_iteratorIjlEEPS9_SG_NS0_5tupleIJPjSI_NS0_16reverse_iteratorISI_EEEEENSH_IJSG_SG_SG_EEES9_SI_JZNS1_25segmented_radix_sort_implINS0_14default_configELb0EPKiPiPKlPlN2at6native12_GLOBAL__N_18offset_tEEE10hipError_tPvRmT1_PNSt15iterator_traitsIS12_E10value_typeET2_T3_PNS13_IS18_E10value_typeET4_jRbjT5_S1E_jjP12ihipStream_tbEUljE_ZNSN_ISO_Lb0ESQ_SR_ST_SU_SY_EESZ_S10_S11_S12_S16_S17_S18_S1B_S1C_jS1D_jS1E_S1E_jjS1G_bEUljE0_EEESZ_S10_S11_S18_S1C_S1E_T6_T7_T9_mT8_S1G_bDpT10_ENKUlT_T0_E_clISt17integral_constantIbLb0EES1T_IbLb1EEEEDaS1P_S1Q_EUlS1P_E_NS1_11comp_targetILNS1_3genE10ELNS1_11target_archE1200ELNS1_3gpuE4ELNS1_3repE0EEENS1_30default_config_static_selectorELNS0_4arch9wavefront6targetE0EEEvS12_
		.amdhsa_group_segment_fixed_size 13328
		.amdhsa_private_segment_fixed_size 0
		.amdhsa_kernarg_size 184
		.amdhsa_user_sgpr_count 2
		.amdhsa_user_sgpr_dispatch_ptr 0
		.amdhsa_user_sgpr_queue_ptr 0
		.amdhsa_user_sgpr_kernarg_segment_ptr 1
		.amdhsa_user_sgpr_dispatch_id 0
		.amdhsa_user_sgpr_private_segment_size 0
		.amdhsa_wavefront_size32 1
		.amdhsa_uses_dynamic_stack 0
		.amdhsa_enable_private_segment 0
		.amdhsa_system_sgpr_workgroup_id_x 1
		.amdhsa_system_sgpr_workgroup_id_y 0
		.amdhsa_system_sgpr_workgroup_id_z 0
		.amdhsa_system_sgpr_workgroup_info 0
		.amdhsa_system_vgpr_workitem_id 0
		.amdhsa_next_free_vgpr 98
		.amdhsa_next_free_sgpr 55
		.amdhsa_reserve_vcc 1
		.amdhsa_float_round_mode_32 0
		.amdhsa_float_round_mode_16_64 0
		.amdhsa_float_denorm_mode_32 3
		.amdhsa_float_denorm_mode_16_64 3
		.amdhsa_fp16_overflow 0
		.amdhsa_workgroup_processor_mode 1
		.amdhsa_memory_ordered 1
		.amdhsa_forward_progress 1
		.amdhsa_inst_pref_size 151
		.amdhsa_round_robin_scheduling 0
		.amdhsa_exception_fp_ieee_invalid_op 0
		.amdhsa_exception_fp_denorm_src 0
		.amdhsa_exception_fp_ieee_div_zero 0
		.amdhsa_exception_fp_ieee_overflow 0
		.amdhsa_exception_fp_ieee_underflow 0
		.amdhsa_exception_fp_ieee_inexact 0
		.amdhsa_exception_int_div_zero 0
	.end_amdhsa_kernel
	.section	.text._ZN7rocprim17ROCPRIM_400000_NS6detail17trampoline_kernelINS0_13select_configILj256ELj13ELNS0_17block_load_methodE3ELS4_3ELS4_3ELNS0_20block_scan_algorithmE0ELj4294967295EEENS1_25partition_config_selectorILNS1_17partition_subalgoE4EjNS0_10empty_typeEbEEZZNS1_14partition_implILS8_4ELb0ES6_15HIP_vector_typeIjLj2EENS0_17counting_iteratorIjlEEPS9_SG_NS0_5tupleIJPjSI_NS0_16reverse_iteratorISI_EEEEENSH_IJSG_SG_SG_EEES9_SI_JZNS1_25segmented_radix_sort_implINS0_14default_configELb0EPKiPiPKlPlN2at6native12_GLOBAL__N_18offset_tEEE10hipError_tPvRmT1_PNSt15iterator_traitsIS12_E10value_typeET2_T3_PNS13_IS18_E10value_typeET4_jRbjT5_S1E_jjP12ihipStream_tbEUljE_ZNSN_ISO_Lb0ESQ_SR_ST_SU_SY_EESZ_S10_S11_S12_S16_S17_S18_S1B_S1C_jS1D_jS1E_S1E_jjS1G_bEUljE0_EEESZ_S10_S11_S18_S1C_S1E_T6_T7_T9_mT8_S1G_bDpT10_ENKUlT_T0_E_clISt17integral_constantIbLb0EES1T_IbLb1EEEEDaS1P_S1Q_EUlS1P_E_NS1_11comp_targetILNS1_3genE10ELNS1_11target_archE1200ELNS1_3gpuE4ELNS1_3repE0EEENS1_30default_config_static_selectorELNS0_4arch9wavefront6targetE0EEEvS12_,"axG",@progbits,_ZN7rocprim17ROCPRIM_400000_NS6detail17trampoline_kernelINS0_13select_configILj256ELj13ELNS0_17block_load_methodE3ELS4_3ELS4_3ELNS0_20block_scan_algorithmE0ELj4294967295EEENS1_25partition_config_selectorILNS1_17partition_subalgoE4EjNS0_10empty_typeEbEEZZNS1_14partition_implILS8_4ELb0ES6_15HIP_vector_typeIjLj2EENS0_17counting_iteratorIjlEEPS9_SG_NS0_5tupleIJPjSI_NS0_16reverse_iteratorISI_EEEEENSH_IJSG_SG_SG_EEES9_SI_JZNS1_25segmented_radix_sort_implINS0_14default_configELb0EPKiPiPKlPlN2at6native12_GLOBAL__N_18offset_tEEE10hipError_tPvRmT1_PNSt15iterator_traitsIS12_E10value_typeET2_T3_PNS13_IS18_E10value_typeET4_jRbjT5_S1E_jjP12ihipStream_tbEUljE_ZNSN_ISO_Lb0ESQ_SR_ST_SU_SY_EESZ_S10_S11_S12_S16_S17_S18_S1B_S1C_jS1D_jS1E_S1E_jjS1G_bEUljE0_EEESZ_S10_S11_S18_S1C_S1E_T6_T7_T9_mT8_S1G_bDpT10_ENKUlT_T0_E_clISt17integral_constantIbLb0EES1T_IbLb1EEEEDaS1P_S1Q_EUlS1P_E_NS1_11comp_targetILNS1_3genE10ELNS1_11target_archE1200ELNS1_3gpuE4ELNS1_3repE0EEENS1_30default_config_static_selectorELNS0_4arch9wavefront6targetE0EEEvS12_,comdat
.Lfunc_end565:
	.size	_ZN7rocprim17ROCPRIM_400000_NS6detail17trampoline_kernelINS0_13select_configILj256ELj13ELNS0_17block_load_methodE3ELS4_3ELS4_3ELNS0_20block_scan_algorithmE0ELj4294967295EEENS1_25partition_config_selectorILNS1_17partition_subalgoE4EjNS0_10empty_typeEbEEZZNS1_14partition_implILS8_4ELb0ES6_15HIP_vector_typeIjLj2EENS0_17counting_iteratorIjlEEPS9_SG_NS0_5tupleIJPjSI_NS0_16reverse_iteratorISI_EEEEENSH_IJSG_SG_SG_EEES9_SI_JZNS1_25segmented_radix_sort_implINS0_14default_configELb0EPKiPiPKlPlN2at6native12_GLOBAL__N_18offset_tEEE10hipError_tPvRmT1_PNSt15iterator_traitsIS12_E10value_typeET2_T3_PNS13_IS18_E10value_typeET4_jRbjT5_S1E_jjP12ihipStream_tbEUljE_ZNSN_ISO_Lb0ESQ_SR_ST_SU_SY_EESZ_S10_S11_S12_S16_S17_S18_S1B_S1C_jS1D_jS1E_S1E_jjS1G_bEUljE0_EEESZ_S10_S11_S18_S1C_S1E_T6_T7_T9_mT8_S1G_bDpT10_ENKUlT_T0_E_clISt17integral_constantIbLb0EES1T_IbLb1EEEEDaS1P_S1Q_EUlS1P_E_NS1_11comp_targetILNS1_3genE10ELNS1_11target_archE1200ELNS1_3gpuE4ELNS1_3repE0EEENS1_30default_config_static_selectorELNS0_4arch9wavefront6targetE0EEEvS12_, .Lfunc_end565-_ZN7rocprim17ROCPRIM_400000_NS6detail17trampoline_kernelINS0_13select_configILj256ELj13ELNS0_17block_load_methodE3ELS4_3ELS4_3ELNS0_20block_scan_algorithmE0ELj4294967295EEENS1_25partition_config_selectorILNS1_17partition_subalgoE4EjNS0_10empty_typeEbEEZZNS1_14partition_implILS8_4ELb0ES6_15HIP_vector_typeIjLj2EENS0_17counting_iteratorIjlEEPS9_SG_NS0_5tupleIJPjSI_NS0_16reverse_iteratorISI_EEEEENSH_IJSG_SG_SG_EEES9_SI_JZNS1_25segmented_radix_sort_implINS0_14default_configELb0EPKiPiPKlPlN2at6native12_GLOBAL__N_18offset_tEEE10hipError_tPvRmT1_PNSt15iterator_traitsIS12_E10value_typeET2_T3_PNS13_IS18_E10value_typeET4_jRbjT5_S1E_jjP12ihipStream_tbEUljE_ZNSN_ISO_Lb0ESQ_SR_ST_SU_SY_EESZ_S10_S11_S12_S16_S17_S18_S1B_S1C_jS1D_jS1E_S1E_jjS1G_bEUljE0_EEESZ_S10_S11_S18_S1C_S1E_T6_T7_T9_mT8_S1G_bDpT10_ENKUlT_T0_E_clISt17integral_constantIbLb0EES1T_IbLb1EEEEDaS1P_S1Q_EUlS1P_E_NS1_11comp_targetILNS1_3genE10ELNS1_11target_archE1200ELNS1_3gpuE4ELNS1_3repE0EEENS1_30default_config_static_selectorELNS0_4arch9wavefront6targetE0EEEvS12_
                                        ; -- End function
	.set _ZN7rocprim17ROCPRIM_400000_NS6detail17trampoline_kernelINS0_13select_configILj256ELj13ELNS0_17block_load_methodE3ELS4_3ELS4_3ELNS0_20block_scan_algorithmE0ELj4294967295EEENS1_25partition_config_selectorILNS1_17partition_subalgoE4EjNS0_10empty_typeEbEEZZNS1_14partition_implILS8_4ELb0ES6_15HIP_vector_typeIjLj2EENS0_17counting_iteratorIjlEEPS9_SG_NS0_5tupleIJPjSI_NS0_16reverse_iteratorISI_EEEEENSH_IJSG_SG_SG_EEES9_SI_JZNS1_25segmented_radix_sort_implINS0_14default_configELb0EPKiPiPKlPlN2at6native12_GLOBAL__N_18offset_tEEE10hipError_tPvRmT1_PNSt15iterator_traitsIS12_E10value_typeET2_T3_PNS13_IS18_E10value_typeET4_jRbjT5_S1E_jjP12ihipStream_tbEUljE_ZNSN_ISO_Lb0ESQ_SR_ST_SU_SY_EESZ_S10_S11_S12_S16_S17_S18_S1B_S1C_jS1D_jS1E_S1E_jjS1G_bEUljE0_EEESZ_S10_S11_S18_S1C_S1E_T6_T7_T9_mT8_S1G_bDpT10_ENKUlT_T0_E_clISt17integral_constantIbLb0EES1T_IbLb1EEEEDaS1P_S1Q_EUlS1P_E_NS1_11comp_targetILNS1_3genE10ELNS1_11target_archE1200ELNS1_3gpuE4ELNS1_3repE0EEENS1_30default_config_static_selectorELNS0_4arch9wavefront6targetE0EEEvS12_.num_vgpr, 98
	.set _ZN7rocprim17ROCPRIM_400000_NS6detail17trampoline_kernelINS0_13select_configILj256ELj13ELNS0_17block_load_methodE3ELS4_3ELS4_3ELNS0_20block_scan_algorithmE0ELj4294967295EEENS1_25partition_config_selectorILNS1_17partition_subalgoE4EjNS0_10empty_typeEbEEZZNS1_14partition_implILS8_4ELb0ES6_15HIP_vector_typeIjLj2EENS0_17counting_iteratorIjlEEPS9_SG_NS0_5tupleIJPjSI_NS0_16reverse_iteratorISI_EEEEENSH_IJSG_SG_SG_EEES9_SI_JZNS1_25segmented_radix_sort_implINS0_14default_configELb0EPKiPiPKlPlN2at6native12_GLOBAL__N_18offset_tEEE10hipError_tPvRmT1_PNSt15iterator_traitsIS12_E10value_typeET2_T3_PNS13_IS18_E10value_typeET4_jRbjT5_S1E_jjP12ihipStream_tbEUljE_ZNSN_ISO_Lb0ESQ_SR_ST_SU_SY_EESZ_S10_S11_S12_S16_S17_S18_S1B_S1C_jS1D_jS1E_S1E_jjS1G_bEUljE0_EEESZ_S10_S11_S18_S1C_S1E_T6_T7_T9_mT8_S1G_bDpT10_ENKUlT_T0_E_clISt17integral_constantIbLb0EES1T_IbLb1EEEEDaS1P_S1Q_EUlS1P_E_NS1_11comp_targetILNS1_3genE10ELNS1_11target_archE1200ELNS1_3gpuE4ELNS1_3repE0EEENS1_30default_config_static_selectorELNS0_4arch9wavefront6targetE0EEEvS12_.num_agpr, 0
	.set _ZN7rocprim17ROCPRIM_400000_NS6detail17trampoline_kernelINS0_13select_configILj256ELj13ELNS0_17block_load_methodE3ELS4_3ELS4_3ELNS0_20block_scan_algorithmE0ELj4294967295EEENS1_25partition_config_selectorILNS1_17partition_subalgoE4EjNS0_10empty_typeEbEEZZNS1_14partition_implILS8_4ELb0ES6_15HIP_vector_typeIjLj2EENS0_17counting_iteratorIjlEEPS9_SG_NS0_5tupleIJPjSI_NS0_16reverse_iteratorISI_EEEEENSH_IJSG_SG_SG_EEES9_SI_JZNS1_25segmented_radix_sort_implINS0_14default_configELb0EPKiPiPKlPlN2at6native12_GLOBAL__N_18offset_tEEE10hipError_tPvRmT1_PNSt15iterator_traitsIS12_E10value_typeET2_T3_PNS13_IS18_E10value_typeET4_jRbjT5_S1E_jjP12ihipStream_tbEUljE_ZNSN_ISO_Lb0ESQ_SR_ST_SU_SY_EESZ_S10_S11_S12_S16_S17_S18_S1B_S1C_jS1D_jS1E_S1E_jjS1G_bEUljE0_EEESZ_S10_S11_S18_S1C_S1E_T6_T7_T9_mT8_S1G_bDpT10_ENKUlT_T0_E_clISt17integral_constantIbLb0EES1T_IbLb1EEEEDaS1P_S1Q_EUlS1P_E_NS1_11comp_targetILNS1_3genE10ELNS1_11target_archE1200ELNS1_3gpuE4ELNS1_3repE0EEENS1_30default_config_static_selectorELNS0_4arch9wavefront6targetE0EEEvS12_.numbered_sgpr, 55
	.set _ZN7rocprim17ROCPRIM_400000_NS6detail17trampoline_kernelINS0_13select_configILj256ELj13ELNS0_17block_load_methodE3ELS4_3ELS4_3ELNS0_20block_scan_algorithmE0ELj4294967295EEENS1_25partition_config_selectorILNS1_17partition_subalgoE4EjNS0_10empty_typeEbEEZZNS1_14partition_implILS8_4ELb0ES6_15HIP_vector_typeIjLj2EENS0_17counting_iteratorIjlEEPS9_SG_NS0_5tupleIJPjSI_NS0_16reverse_iteratorISI_EEEEENSH_IJSG_SG_SG_EEES9_SI_JZNS1_25segmented_radix_sort_implINS0_14default_configELb0EPKiPiPKlPlN2at6native12_GLOBAL__N_18offset_tEEE10hipError_tPvRmT1_PNSt15iterator_traitsIS12_E10value_typeET2_T3_PNS13_IS18_E10value_typeET4_jRbjT5_S1E_jjP12ihipStream_tbEUljE_ZNSN_ISO_Lb0ESQ_SR_ST_SU_SY_EESZ_S10_S11_S12_S16_S17_S18_S1B_S1C_jS1D_jS1E_S1E_jjS1G_bEUljE0_EEESZ_S10_S11_S18_S1C_S1E_T6_T7_T9_mT8_S1G_bDpT10_ENKUlT_T0_E_clISt17integral_constantIbLb0EES1T_IbLb1EEEEDaS1P_S1Q_EUlS1P_E_NS1_11comp_targetILNS1_3genE10ELNS1_11target_archE1200ELNS1_3gpuE4ELNS1_3repE0EEENS1_30default_config_static_selectorELNS0_4arch9wavefront6targetE0EEEvS12_.num_named_barrier, 0
	.set _ZN7rocprim17ROCPRIM_400000_NS6detail17trampoline_kernelINS0_13select_configILj256ELj13ELNS0_17block_load_methodE3ELS4_3ELS4_3ELNS0_20block_scan_algorithmE0ELj4294967295EEENS1_25partition_config_selectorILNS1_17partition_subalgoE4EjNS0_10empty_typeEbEEZZNS1_14partition_implILS8_4ELb0ES6_15HIP_vector_typeIjLj2EENS0_17counting_iteratorIjlEEPS9_SG_NS0_5tupleIJPjSI_NS0_16reverse_iteratorISI_EEEEENSH_IJSG_SG_SG_EEES9_SI_JZNS1_25segmented_radix_sort_implINS0_14default_configELb0EPKiPiPKlPlN2at6native12_GLOBAL__N_18offset_tEEE10hipError_tPvRmT1_PNSt15iterator_traitsIS12_E10value_typeET2_T3_PNS13_IS18_E10value_typeET4_jRbjT5_S1E_jjP12ihipStream_tbEUljE_ZNSN_ISO_Lb0ESQ_SR_ST_SU_SY_EESZ_S10_S11_S12_S16_S17_S18_S1B_S1C_jS1D_jS1E_S1E_jjS1G_bEUljE0_EEESZ_S10_S11_S18_S1C_S1E_T6_T7_T9_mT8_S1G_bDpT10_ENKUlT_T0_E_clISt17integral_constantIbLb0EES1T_IbLb1EEEEDaS1P_S1Q_EUlS1P_E_NS1_11comp_targetILNS1_3genE10ELNS1_11target_archE1200ELNS1_3gpuE4ELNS1_3repE0EEENS1_30default_config_static_selectorELNS0_4arch9wavefront6targetE0EEEvS12_.private_seg_size, 0
	.set _ZN7rocprim17ROCPRIM_400000_NS6detail17trampoline_kernelINS0_13select_configILj256ELj13ELNS0_17block_load_methodE3ELS4_3ELS4_3ELNS0_20block_scan_algorithmE0ELj4294967295EEENS1_25partition_config_selectorILNS1_17partition_subalgoE4EjNS0_10empty_typeEbEEZZNS1_14partition_implILS8_4ELb0ES6_15HIP_vector_typeIjLj2EENS0_17counting_iteratorIjlEEPS9_SG_NS0_5tupleIJPjSI_NS0_16reverse_iteratorISI_EEEEENSH_IJSG_SG_SG_EEES9_SI_JZNS1_25segmented_radix_sort_implINS0_14default_configELb0EPKiPiPKlPlN2at6native12_GLOBAL__N_18offset_tEEE10hipError_tPvRmT1_PNSt15iterator_traitsIS12_E10value_typeET2_T3_PNS13_IS18_E10value_typeET4_jRbjT5_S1E_jjP12ihipStream_tbEUljE_ZNSN_ISO_Lb0ESQ_SR_ST_SU_SY_EESZ_S10_S11_S12_S16_S17_S18_S1B_S1C_jS1D_jS1E_S1E_jjS1G_bEUljE0_EEESZ_S10_S11_S18_S1C_S1E_T6_T7_T9_mT8_S1G_bDpT10_ENKUlT_T0_E_clISt17integral_constantIbLb0EES1T_IbLb1EEEEDaS1P_S1Q_EUlS1P_E_NS1_11comp_targetILNS1_3genE10ELNS1_11target_archE1200ELNS1_3gpuE4ELNS1_3repE0EEENS1_30default_config_static_selectorELNS0_4arch9wavefront6targetE0EEEvS12_.uses_vcc, 1
	.set _ZN7rocprim17ROCPRIM_400000_NS6detail17trampoline_kernelINS0_13select_configILj256ELj13ELNS0_17block_load_methodE3ELS4_3ELS4_3ELNS0_20block_scan_algorithmE0ELj4294967295EEENS1_25partition_config_selectorILNS1_17partition_subalgoE4EjNS0_10empty_typeEbEEZZNS1_14partition_implILS8_4ELb0ES6_15HIP_vector_typeIjLj2EENS0_17counting_iteratorIjlEEPS9_SG_NS0_5tupleIJPjSI_NS0_16reverse_iteratorISI_EEEEENSH_IJSG_SG_SG_EEES9_SI_JZNS1_25segmented_radix_sort_implINS0_14default_configELb0EPKiPiPKlPlN2at6native12_GLOBAL__N_18offset_tEEE10hipError_tPvRmT1_PNSt15iterator_traitsIS12_E10value_typeET2_T3_PNS13_IS18_E10value_typeET4_jRbjT5_S1E_jjP12ihipStream_tbEUljE_ZNSN_ISO_Lb0ESQ_SR_ST_SU_SY_EESZ_S10_S11_S12_S16_S17_S18_S1B_S1C_jS1D_jS1E_S1E_jjS1G_bEUljE0_EEESZ_S10_S11_S18_S1C_S1E_T6_T7_T9_mT8_S1G_bDpT10_ENKUlT_T0_E_clISt17integral_constantIbLb0EES1T_IbLb1EEEEDaS1P_S1Q_EUlS1P_E_NS1_11comp_targetILNS1_3genE10ELNS1_11target_archE1200ELNS1_3gpuE4ELNS1_3repE0EEENS1_30default_config_static_selectorELNS0_4arch9wavefront6targetE0EEEvS12_.uses_flat_scratch, 0
	.set _ZN7rocprim17ROCPRIM_400000_NS6detail17trampoline_kernelINS0_13select_configILj256ELj13ELNS0_17block_load_methodE3ELS4_3ELS4_3ELNS0_20block_scan_algorithmE0ELj4294967295EEENS1_25partition_config_selectorILNS1_17partition_subalgoE4EjNS0_10empty_typeEbEEZZNS1_14partition_implILS8_4ELb0ES6_15HIP_vector_typeIjLj2EENS0_17counting_iteratorIjlEEPS9_SG_NS0_5tupleIJPjSI_NS0_16reverse_iteratorISI_EEEEENSH_IJSG_SG_SG_EEES9_SI_JZNS1_25segmented_radix_sort_implINS0_14default_configELb0EPKiPiPKlPlN2at6native12_GLOBAL__N_18offset_tEEE10hipError_tPvRmT1_PNSt15iterator_traitsIS12_E10value_typeET2_T3_PNS13_IS18_E10value_typeET4_jRbjT5_S1E_jjP12ihipStream_tbEUljE_ZNSN_ISO_Lb0ESQ_SR_ST_SU_SY_EESZ_S10_S11_S12_S16_S17_S18_S1B_S1C_jS1D_jS1E_S1E_jjS1G_bEUljE0_EEESZ_S10_S11_S18_S1C_S1E_T6_T7_T9_mT8_S1G_bDpT10_ENKUlT_T0_E_clISt17integral_constantIbLb0EES1T_IbLb1EEEEDaS1P_S1Q_EUlS1P_E_NS1_11comp_targetILNS1_3genE10ELNS1_11target_archE1200ELNS1_3gpuE4ELNS1_3repE0EEENS1_30default_config_static_selectorELNS0_4arch9wavefront6targetE0EEEvS12_.has_dyn_sized_stack, 0
	.set _ZN7rocprim17ROCPRIM_400000_NS6detail17trampoline_kernelINS0_13select_configILj256ELj13ELNS0_17block_load_methodE3ELS4_3ELS4_3ELNS0_20block_scan_algorithmE0ELj4294967295EEENS1_25partition_config_selectorILNS1_17partition_subalgoE4EjNS0_10empty_typeEbEEZZNS1_14partition_implILS8_4ELb0ES6_15HIP_vector_typeIjLj2EENS0_17counting_iteratorIjlEEPS9_SG_NS0_5tupleIJPjSI_NS0_16reverse_iteratorISI_EEEEENSH_IJSG_SG_SG_EEES9_SI_JZNS1_25segmented_radix_sort_implINS0_14default_configELb0EPKiPiPKlPlN2at6native12_GLOBAL__N_18offset_tEEE10hipError_tPvRmT1_PNSt15iterator_traitsIS12_E10value_typeET2_T3_PNS13_IS18_E10value_typeET4_jRbjT5_S1E_jjP12ihipStream_tbEUljE_ZNSN_ISO_Lb0ESQ_SR_ST_SU_SY_EESZ_S10_S11_S12_S16_S17_S18_S1B_S1C_jS1D_jS1E_S1E_jjS1G_bEUljE0_EEESZ_S10_S11_S18_S1C_S1E_T6_T7_T9_mT8_S1G_bDpT10_ENKUlT_T0_E_clISt17integral_constantIbLb0EES1T_IbLb1EEEEDaS1P_S1Q_EUlS1P_E_NS1_11comp_targetILNS1_3genE10ELNS1_11target_archE1200ELNS1_3gpuE4ELNS1_3repE0EEENS1_30default_config_static_selectorELNS0_4arch9wavefront6targetE0EEEvS12_.has_recursion, 0
	.set _ZN7rocprim17ROCPRIM_400000_NS6detail17trampoline_kernelINS0_13select_configILj256ELj13ELNS0_17block_load_methodE3ELS4_3ELS4_3ELNS0_20block_scan_algorithmE0ELj4294967295EEENS1_25partition_config_selectorILNS1_17partition_subalgoE4EjNS0_10empty_typeEbEEZZNS1_14partition_implILS8_4ELb0ES6_15HIP_vector_typeIjLj2EENS0_17counting_iteratorIjlEEPS9_SG_NS0_5tupleIJPjSI_NS0_16reverse_iteratorISI_EEEEENSH_IJSG_SG_SG_EEES9_SI_JZNS1_25segmented_radix_sort_implINS0_14default_configELb0EPKiPiPKlPlN2at6native12_GLOBAL__N_18offset_tEEE10hipError_tPvRmT1_PNSt15iterator_traitsIS12_E10value_typeET2_T3_PNS13_IS18_E10value_typeET4_jRbjT5_S1E_jjP12ihipStream_tbEUljE_ZNSN_ISO_Lb0ESQ_SR_ST_SU_SY_EESZ_S10_S11_S12_S16_S17_S18_S1B_S1C_jS1D_jS1E_S1E_jjS1G_bEUljE0_EEESZ_S10_S11_S18_S1C_S1E_T6_T7_T9_mT8_S1G_bDpT10_ENKUlT_T0_E_clISt17integral_constantIbLb0EES1T_IbLb1EEEEDaS1P_S1Q_EUlS1P_E_NS1_11comp_targetILNS1_3genE10ELNS1_11target_archE1200ELNS1_3gpuE4ELNS1_3repE0EEENS1_30default_config_static_selectorELNS0_4arch9wavefront6targetE0EEEvS12_.has_indirect_call, 0
	.section	.AMDGPU.csdata,"",@progbits
; Kernel info:
; codeLenInByte = 19208
; TotalNumSgprs: 57
; NumVgprs: 98
; ScratchSize: 0
; MemoryBound: 0
; FloatMode: 240
; IeeeMode: 1
; LDSByteSize: 13328 bytes/workgroup (compile time only)
; SGPRBlocks: 0
; VGPRBlocks: 12
; NumSGPRsForWavesPerEU: 57
; NumVGPRsForWavesPerEU: 98
; Occupancy: 12
; WaveLimiterHint : 1
; COMPUTE_PGM_RSRC2:SCRATCH_EN: 0
; COMPUTE_PGM_RSRC2:USER_SGPR: 2
; COMPUTE_PGM_RSRC2:TRAP_HANDLER: 0
; COMPUTE_PGM_RSRC2:TGID_X_EN: 1
; COMPUTE_PGM_RSRC2:TGID_Y_EN: 0
; COMPUTE_PGM_RSRC2:TGID_Z_EN: 0
; COMPUTE_PGM_RSRC2:TIDIG_COMP_CNT: 0
	.section	.text._ZN7rocprim17ROCPRIM_400000_NS6detail17trampoline_kernelINS0_13select_configILj256ELj13ELNS0_17block_load_methodE3ELS4_3ELS4_3ELNS0_20block_scan_algorithmE0ELj4294967295EEENS1_25partition_config_selectorILNS1_17partition_subalgoE4EjNS0_10empty_typeEbEEZZNS1_14partition_implILS8_4ELb0ES6_15HIP_vector_typeIjLj2EENS0_17counting_iteratorIjlEEPS9_SG_NS0_5tupleIJPjSI_NS0_16reverse_iteratorISI_EEEEENSH_IJSG_SG_SG_EEES9_SI_JZNS1_25segmented_radix_sort_implINS0_14default_configELb0EPKiPiPKlPlN2at6native12_GLOBAL__N_18offset_tEEE10hipError_tPvRmT1_PNSt15iterator_traitsIS12_E10value_typeET2_T3_PNS13_IS18_E10value_typeET4_jRbjT5_S1E_jjP12ihipStream_tbEUljE_ZNSN_ISO_Lb0ESQ_SR_ST_SU_SY_EESZ_S10_S11_S12_S16_S17_S18_S1B_S1C_jS1D_jS1E_S1E_jjS1G_bEUljE0_EEESZ_S10_S11_S18_S1C_S1E_T6_T7_T9_mT8_S1G_bDpT10_ENKUlT_T0_E_clISt17integral_constantIbLb0EES1T_IbLb1EEEEDaS1P_S1Q_EUlS1P_E_NS1_11comp_targetILNS1_3genE9ELNS1_11target_archE1100ELNS1_3gpuE3ELNS1_3repE0EEENS1_30default_config_static_selectorELNS0_4arch9wavefront6targetE0EEEvS12_,"axG",@progbits,_ZN7rocprim17ROCPRIM_400000_NS6detail17trampoline_kernelINS0_13select_configILj256ELj13ELNS0_17block_load_methodE3ELS4_3ELS4_3ELNS0_20block_scan_algorithmE0ELj4294967295EEENS1_25partition_config_selectorILNS1_17partition_subalgoE4EjNS0_10empty_typeEbEEZZNS1_14partition_implILS8_4ELb0ES6_15HIP_vector_typeIjLj2EENS0_17counting_iteratorIjlEEPS9_SG_NS0_5tupleIJPjSI_NS0_16reverse_iteratorISI_EEEEENSH_IJSG_SG_SG_EEES9_SI_JZNS1_25segmented_radix_sort_implINS0_14default_configELb0EPKiPiPKlPlN2at6native12_GLOBAL__N_18offset_tEEE10hipError_tPvRmT1_PNSt15iterator_traitsIS12_E10value_typeET2_T3_PNS13_IS18_E10value_typeET4_jRbjT5_S1E_jjP12ihipStream_tbEUljE_ZNSN_ISO_Lb0ESQ_SR_ST_SU_SY_EESZ_S10_S11_S12_S16_S17_S18_S1B_S1C_jS1D_jS1E_S1E_jjS1G_bEUljE0_EEESZ_S10_S11_S18_S1C_S1E_T6_T7_T9_mT8_S1G_bDpT10_ENKUlT_T0_E_clISt17integral_constantIbLb0EES1T_IbLb1EEEEDaS1P_S1Q_EUlS1P_E_NS1_11comp_targetILNS1_3genE9ELNS1_11target_archE1100ELNS1_3gpuE3ELNS1_3repE0EEENS1_30default_config_static_selectorELNS0_4arch9wavefront6targetE0EEEvS12_,comdat
	.globl	_ZN7rocprim17ROCPRIM_400000_NS6detail17trampoline_kernelINS0_13select_configILj256ELj13ELNS0_17block_load_methodE3ELS4_3ELS4_3ELNS0_20block_scan_algorithmE0ELj4294967295EEENS1_25partition_config_selectorILNS1_17partition_subalgoE4EjNS0_10empty_typeEbEEZZNS1_14partition_implILS8_4ELb0ES6_15HIP_vector_typeIjLj2EENS0_17counting_iteratorIjlEEPS9_SG_NS0_5tupleIJPjSI_NS0_16reverse_iteratorISI_EEEEENSH_IJSG_SG_SG_EEES9_SI_JZNS1_25segmented_radix_sort_implINS0_14default_configELb0EPKiPiPKlPlN2at6native12_GLOBAL__N_18offset_tEEE10hipError_tPvRmT1_PNSt15iterator_traitsIS12_E10value_typeET2_T3_PNS13_IS18_E10value_typeET4_jRbjT5_S1E_jjP12ihipStream_tbEUljE_ZNSN_ISO_Lb0ESQ_SR_ST_SU_SY_EESZ_S10_S11_S12_S16_S17_S18_S1B_S1C_jS1D_jS1E_S1E_jjS1G_bEUljE0_EEESZ_S10_S11_S18_S1C_S1E_T6_T7_T9_mT8_S1G_bDpT10_ENKUlT_T0_E_clISt17integral_constantIbLb0EES1T_IbLb1EEEEDaS1P_S1Q_EUlS1P_E_NS1_11comp_targetILNS1_3genE9ELNS1_11target_archE1100ELNS1_3gpuE3ELNS1_3repE0EEENS1_30default_config_static_selectorELNS0_4arch9wavefront6targetE0EEEvS12_ ; -- Begin function _ZN7rocprim17ROCPRIM_400000_NS6detail17trampoline_kernelINS0_13select_configILj256ELj13ELNS0_17block_load_methodE3ELS4_3ELS4_3ELNS0_20block_scan_algorithmE0ELj4294967295EEENS1_25partition_config_selectorILNS1_17partition_subalgoE4EjNS0_10empty_typeEbEEZZNS1_14partition_implILS8_4ELb0ES6_15HIP_vector_typeIjLj2EENS0_17counting_iteratorIjlEEPS9_SG_NS0_5tupleIJPjSI_NS0_16reverse_iteratorISI_EEEEENSH_IJSG_SG_SG_EEES9_SI_JZNS1_25segmented_radix_sort_implINS0_14default_configELb0EPKiPiPKlPlN2at6native12_GLOBAL__N_18offset_tEEE10hipError_tPvRmT1_PNSt15iterator_traitsIS12_E10value_typeET2_T3_PNS13_IS18_E10value_typeET4_jRbjT5_S1E_jjP12ihipStream_tbEUljE_ZNSN_ISO_Lb0ESQ_SR_ST_SU_SY_EESZ_S10_S11_S12_S16_S17_S18_S1B_S1C_jS1D_jS1E_S1E_jjS1G_bEUljE0_EEESZ_S10_S11_S18_S1C_S1E_T6_T7_T9_mT8_S1G_bDpT10_ENKUlT_T0_E_clISt17integral_constantIbLb0EES1T_IbLb1EEEEDaS1P_S1Q_EUlS1P_E_NS1_11comp_targetILNS1_3genE9ELNS1_11target_archE1100ELNS1_3gpuE3ELNS1_3repE0EEENS1_30default_config_static_selectorELNS0_4arch9wavefront6targetE0EEEvS12_
	.p2align	8
	.type	_ZN7rocprim17ROCPRIM_400000_NS6detail17trampoline_kernelINS0_13select_configILj256ELj13ELNS0_17block_load_methodE3ELS4_3ELS4_3ELNS0_20block_scan_algorithmE0ELj4294967295EEENS1_25partition_config_selectorILNS1_17partition_subalgoE4EjNS0_10empty_typeEbEEZZNS1_14partition_implILS8_4ELb0ES6_15HIP_vector_typeIjLj2EENS0_17counting_iteratorIjlEEPS9_SG_NS0_5tupleIJPjSI_NS0_16reverse_iteratorISI_EEEEENSH_IJSG_SG_SG_EEES9_SI_JZNS1_25segmented_radix_sort_implINS0_14default_configELb0EPKiPiPKlPlN2at6native12_GLOBAL__N_18offset_tEEE10hipError_tPvRmT1_PNSt15iterator_traitsIS12_E10value_typeET2_T3_PNS13_IS18_E10value_typeET4_jRbjT5_S1E_jjP12ihipStream_tbEUljE_ZNSN_ISO_Lb0ESQ_SR_ST_SU_SY_EESZ_S10_S11_S12_S16_S17_S18_S1B_S1C_jS1D_jS1E_S1E_jjS1G_bEUljE0_EEESZ_S10_S11_S18_S1C_S1E_T6_T7_T9_mT8_S1G_bDpT10_ENKUlT_T0_E_clISt17integral_constantIbLb0EES1T_IbLb1EEEEDaS1P_S1Q_EUlS1P_E_NS1_11comp_targetILNS1_3genE9ELNS1_11target_archE1100ELNS1_3gpuE3ELNS1_3repE0EEENS1_30default_config_static_selectorELNS0_4arch9wavefront6targetE0EEEvS12_,@function
_ZN7rocprim17ROCPRIM_400000_NS6detail17trampoline_kernelINS0_13select_configILj256ELj13ELNS0_17block_load_methodE3ELS4_3ELS4_3ELNS0_20block_scan_algorithmE0ELj4294967295EEENS1_25partition_config_selectorILNS1_17partition_subalgoE4EjNS0_10empty_typeEbEEZZNS1_14partition_implILS8_4ELb0ES6_15HIP_vector_typeIjLj2EENS0_17counting_iteratorIjlEEPS9_SG_NS0_5tupleIJPjSI_NS0_16reverse_iteratorISI_EEEEENSH_IJSG_SG_SG_EEES9_SI_JZNS1_25segmented_radix_sort_implINS0_14default_configELb0EPKiPiPKlPlN2at6native12_GLOBAL__N_18offset_tEEE10hipError_tPvRmT1_PNSt15iterator_traitsIS12_E10value_typeET2_T3_PNS13_IS18_E10value_typeET4_jRbjT5_S1E_jjP12ihipStream_tbEUljE_ZNSN_ISO_Lb0ESQ_SR_ST_SU_SY_EESZ_S10_S11_S12_S16_S17_S18_S1B_S1C_jS1D_jS1E_S1E_jjS1G_bEUljE0_EEESZ_S10_S11_S18_S1C_S1E_T6_T7_T9_mT8_S1G_bDpT10_ENKUlT_T0_E_clISt17integral_constantIbLb0EES1T_IbLb1EEEEDaS1P_S1Q_EUlS1P_E_NS1_11comp_targetILNS1_3genE9ELNS1_11target_archE1100ELNS1_3gpuE3ELNS1_3repE0EEENS1_30default_config_static_selectorELNS0_4arch9wavefront6targetE0EEEvS12_: ; @_ZN7rocprim17ROCPRIM_400000_NS6detail17trampoline_kernelINS0_13select_configILj256ELj13ELNS0_17block_load_methodE3ELS4_3ELS4_3ELNS0_20block_scan_algorithmE0ELj4294967295EEENS1_25partition_config_selectorILNS1_17partition_subalgoE4EjNS0_10empty_typeEbEEZZNS1_14partition_implILS8_4ELb0ES6_15HIP_vector_typeIjLj2EENS0_17counting_iteratorIjlEEPS9_SG_NS0_5tupleIJPjSI_NS0_16reverse_iteratorISI_EEEEENSH_IJSG_SG_SG_EEES9_SI_JZNS1_25segmented_radix_sort_implINS0_14default_configELb0EPKiPiPKlPlN2at6native12_GLOBAL__N_18offset_tEEE10hipError_tPvRmT1_PNSt15iterator_traitsIS12_E10value_typeET2_T3_PNS13_IS18_E10value_typeET4_jRbjT5_S1E_jjP12ihipStream_tbEUljE_ZNSN_ISO_Lb0ESQ_SR_ST_SU_SY_EESZ_S10_S11_S12_S16_S17_S18_S1B_S1C_jS1D_jS1E_S1E_jjS1G_bEUljE0_EEESZ_S10_S11_S18_S1C_S1E_T6_T7_T9_mT8_S1G_bDpT10_ENKUlT_T0_E_clISt17integral_constantIbLb0EES1T_IbLb1EEEEDaS1P_S1Q_EUlS1P_E_NS1_11comp_targetILNS1_3genE9ELNS1_11target_archE1100ELNS1_3gpuE3ELNS1_3repE0EEENS1_30default_config_static_selectorELNS0_4arch9wavefront6targetE0EEEvS12_
; %bb.0:
	.section	.rodata,"a",@progbits
	.p2align	6, 0x0
	.amdhsa_kernel _ZN7rocprim17ROCPRIM_400000_NS6detail17trampoline_kernelINS0_13select_configILj256ELj13ELNS0_17block_load_methodE3ELS4_3ELS4_3ELNS0_20block_scan_algorithmE0ELj4294967295EEENS1_25partition_config_selectorILNS1_17partition_subalgoE4EjNS0_10empty_typeEbEEZZNS1_14partition_implILS8_4ELb0ES6_15HIP_vector_typeIjLj2EENS0_17counting_iteratorIjlEEPS9_SG_NS0_5tupleIJPjSI_NS0_16reverse_iteratorISI_EEEEENSH_IJSG_SG_SG_EEES9_SI_JZNS1_25segmented_radix_sort_implINS0_14default_configELb0EPKiPiPKlPlN2at6native12_GLOBAL__N_18offset_tEEE10hipError_tPvRmT1_PNSt15iterator_traitsIS12_E10value_typeET2_T3_PNS13_IS18_E10value_typeET4_jRbjT5_S1E_jjP12ihipStream_tbEUljE_ZNSN_ISO_Lb0ESQ_SR_ST_SU_SY_EESZ_S10_S11_S12_S16_S17_S18_S1B_S1C_jS1D_jS1E_S1E_jjS1G_bEUljE0_EEESZ_S10_S11_S18_S1C_S1E_T6_T7_T9_mT8_S1G_bDpT10_ENKUlT_T0_E_clISt17integral_constantIbLb0EES1T_IbLb1EEEEDaS1P_S1Q_EUlS1P_E_NS1_11comp_targetILNS1_3genE9ELNS1_11target_archE1100ELNS1_3gpuE3ELNS1_3repE0EEENS1_30default_config_static_selectorELNS0_4arch9wavefront6targetE0EEEvS12_
		.amdhsa_group_segment_fixed_size 0
		.amdhsa_private_segment_fixed_size 0
		.amdhsa_kernarg_size 184
		.amdhsa_user_sgpr_count 2
		.amdhsa_user_sgpr_dispatch_ptr 0
		.amdhsa_user_sgpr_queue_ptr 0
		.amdhsa_user_sgpr_kernarg_segment_ptr 1
		.amdhsa_user_sgpr_dispatch_id 0
		.amdhsa_user_sgpr_private_segment_size 0
		.amdhsa_wavefront_size32 1
		.amdhsa_uses_dynamic_stack 0
		.amdhsa_enable_private_segment 0
		.amdhsa_system_sgpr_workgroup_id_x 1
		.amdhsa_system_sgpr_workgroup_id_y 0
		.amdhsa_system_sgpr_workgroup_id_z 0
		.amdhsa_system_sgpr_workgroup_info 0
		.amdhsa_system_vgpr_workitem_id 0
		.amdhsa_next_free_vgpr 1
		.amdhsa_next_free_sgpr 1
		.amdhsa_reserve_vcc 0
		.amdhsa_float_round_mode_32 0
		.amdhsa_float_round_mode_16_64 0
		.amdhsa_float_denorm_mode_32 3
		.amdhsa_float_denorm_mode_16_64 3
		.amdhsa_fp16_overflow 0
		.amdhsa_workgroup_processor_mode 1
		.amdhsa_memory_ordered 1
		.amdhsa_forward_progress 1
		.amdhsa_inst_pref_size 0
		.amdhsa_round_robin_scheduling 0
		.amdhsa_exception_fp_ieee_invalid_op 0
		.amdhsa_exception_fp_denorm_src 0
		.amdhsa_exception_fp_ieee_div_zero 0
		.amdhsa_exception_fp_ieee_overflow 0
		.amdhsa_exception_fp_ieee_underflow 0
		.amdhsa_exception_fp_ieee_inexact 0
		.amdhsa_exception_int_div_zero 0
	.end_amdhsa_kernel
	.section	.text._ZN7rocprim17ROCPRIM_400000_NS6detail17trampoline_kernelINS0_13select_configILj256ELj13ELNS0_17block_load_methodE3ELS4_3ELS4_3ELNS0_20block_scan_algorithmE0ELj4294967295EEENS1_25partition_config_selectorILNS1_17partition_subalgoE4EjNS0_10empty_typeEbEEZZNS1_14partition_implILS8_4ELb0ES6_15HIP_vector_typeIjLj2EENS0_17counting_iteratorIjlEEPS9_SG_NS0_5tupleIJPjSI_NS0_16reverse_iteratorISI_EEEEENSH_IJSG_SG_SG_EEES9_SI_JZNS1_25segmented_radix_sort_implINS0_14default_configELb0EPKiPiPKlPlN2at6native12_GLOBAL__N_18offset_tEEE10hipError_tPvRmT1_PNSt15iterator_traitsIS12_E10value_typeET2_T3_PNS13_IS18_E10value_typeET4_jRbjT5_S1E_jjP12ihipStream_tbEUljE_ZNSN_ISO_Lb0ESQ_SR_ST_SU_SY_EESZ_S10_S11_S12_S16_S17_S18_S1B_S1C_jS1D_jS1E_S1E_jjS1G_bEUljE0_EEESZ_S10_S11_S18_S1C_S1E_T6_T7_T9_mT8_S1G_bDpT10_ENKUlT_T0_E_clISt17integral_constantIbLb0EES1T_IbLb1EEEEDaS1P_S1Q_EUlS1P_E_NS1_11comp_targetILNS1_3genE9ELNS1_11target_archE1100ELNS1_3gpuE3ELNS1_3repE0EEENS1_30default_config_static_selectorELNS0_4arch9wavefront6targetE0EEEvS12_,"axG",@progbits,_ZN7rocprim17ROCPRIM_400000_NS6detail17trampoline_kernelINS0_13select_configILj256ELj13ELNS0_17block_load_methodE3ELS4_3ELS4_3ELNS0_20block_scan_algorithmE0ELj4294967295EEENS1_25partition_config_selectorILNS1_17partition_subalgoE4EjNS0_10empty_typeEbEEZZNS1_14partition_implILS8_4ELb0ES6_15HIP_vector_typeIjLj2EENS0_17counting_iteratorIjlEEPS9_SG_NS0_5tupleIJPjSI_NS0_16reverse_iteratorISI_EEEEENSH_IJSG_SG_SG_EEES9_SI_JZNS1_25segmented_radix_sort_implINS0_14default_configELb0EPKiPiPKlPlN2at6native12_GLOBAL__N_18offset_tEEE10hipError_tPvRmT1_PNSt15iterator_traitsIS12_E10value_typeET2_T3_PNS13_IS18_E10value_typeET4_jRbjT5_S1E_jjP12ihipStream_tbEUljE_ZNSN_ISO_Lb0ESQ_SR_ST_SU_SY_EESZ_S10_S11_S12_S16_S17_S18_S1B_S1C_jS1D_jS1E_S1E_jjS1G_bEUljE0_EEESZ_S10_S11_S18_S1C_S1E_T6_T7_T9_mT8_S1G_bDpT10_ENKUlT_T0_E_clISt17integral_constantIbLb0EES1T_IbLb1EEEEDaS1P_S1Q_EUlS1P_E_NS1_11comp_targetILNS1_3genE9ELNS1_11target_archE1100ELNS1_3gpuE3ELNS1_3repE0EEENS1_30default_config_static_selectorELNS0_4arch9wavefront6targetE0EEEvS12_,comdat
.Lfunc_end566:
	.size	_ZN7rocprim17ROCPRIM_400000_NS6detail17trampoline_kernelINS0_13select_configILj256ELj13ELNS0_17block_load_methodE3ELS4_3ELS4_3ELNS0_20block_scan_algorithmE0ELj4294967295EEENS1_25partition_config_selectorILNS1_17partition_subalgoE4EjNS0_10empty_typeEbEEZZNS1_14partition_implILS8_4ELb0ES6_15HIP_vector_typeIjLj2EENS0_17counting_iteratorIjlEEPS9_SG_NS0_5tupleIJPjSI_NS0_16reverse_iteratorISI_EEEEENSH_IJSG_SG_SG_EEES9_SI_JZNS1_25segmented_radix_sort_implINS0_14default_configELb0EPKiPiPKlPlN2at6native12_GLOBAL__N_18offset_tEEE10hipError_tPvRmT1_PNSt15iterator_traitsIS12_E10value_typeET2_T3_PNS13_IS18_E10value_typeET4_jRbjT5_S1E_jjP12ihipStream_tbEUljE_ZNSN_ISO_Lb0ESQ_SR_ST_SU_SY_EESZ_S10_S11_S12_S16_S17_S18_S1B_S1C_jS1D_jS1E_S1E_jjS1G_bEUljE0_EEESZ_S10_S11_S18_S1C_S1E_T6_T7_T9_mT8_S1G_bDpT10_ENKUlT_T0_E_clISt17integral_constantIbLb0EES1T_IbLb1EEEEDaS1P_S1Q_EUlS1P_E_NS1_11comp_targetILNS1_3genE9ELNS1_11target_archE1100ELNS1_3gpuE3ELNS1_3repE0EEENS1_30default_config_static_selectorELNS0_4arch9wavefront6targetE0EEEvS12_, .Lfunc_end566-_ZN7rocprim17ROCPRIM_400000_NS6detail17trampoline_kernelINS0_13select_configILj256ELj13ELNS0_17block_load_methodE3ELS4_3ELS4_3ELNS0_20block_scan_algorithmE0ELj4294967295EEENS1_25partition_config_selectorILNS1_17partition_subalgoE4EjNS0_10empty_typeEbEEZZNS1_14partition_implILS8_4ELb0ES6_15HIP_vector_typeIjLj2EENS0_17counting_iteratorIjlEEPS9_SG_NS0_5tupleIJPjSI_NS0_16reverse_iteratorISI_EEEEENSH_IJSG_SG_SG_EEES9_SI_JZNS1_25segmented_radix_sort_implINS0_14default_configELb0EPKiPiPKlPlN2at6native12_GLOBAL__N_18offset_tEEE10hipError_tPvRmT1_PNSt15iterator_traitsIS12_E10value_typeET2_T3_PNS13_IS18_E10value_typeET4_jRbjT5_S1E_jjP12ihipStream_tbEUljE_ZNSN_ISO_Lb0ESQ_SR_ST_SU_SY_EESZ_S10_S11_S12_S16_S17_S18_S1B_S1C_jS1D_jS1E_S1E_jjS1G_bEUljE0_EEESZ_S10_S11_S18_S1C_S1E_T6_T7_T9_mT8_S1G_bDpT10_ENKUlT_T0_E_clISt17integral_constantIbLb0EES1T_IbLb1EEEEDaS1P_S1Q_EUlS1P_E_NS1_11comp_targetILNS1_3genE9ELNS1_11target_archE1100ELNS1_3gpuE3ELNS1_3repE0EEENS1_30default_config_static_selectorELNS0_4arch9wavefront6targetE0EEEvS12_
                                        ; -- End function
	.set _ZN7rocprim17ROCPRIM_400000_NS6detail17trampoline_kernelINS0_13select_configILj256ELj13ELNS0_17block_load_methodE3ELS4_3ELS4_3ELNS0_20block_scan_algorithmE0ELj4294967295EEENS1_25partition_config_selectorILNS1_17partition_subalgoE4EjNS0_10empty_typeEbEEZZNS1_14partition_implILS8_4ELb0ES6_15HIP_vector_typeIjLj2EENS0_17counting_iteratorIjlEEPS9_SG_NS0_5tupleIJPjSI_NS0_16reverse_iteratorISI_EEEEENSH_IJSG_SG_SG_EEES9_SI_JZNS1_25segmented_radix_sort_implINS0_14default_configELb0EPKiPiPKlPlN2at6native12_GLOBAL__N_18offset_tEEE10hipError_tPvRmT1_PNSt15iterator_traitsIS12_E10value_typeET2_T3_PNS13_IS18_E10value_typeET4_jRbjT5_S1E_jjP12ihipStream_tbEUljE_ZNSN_ISO_Lb0ESQ_SR_ST_SU_SY_EESZ_S10_S11_S12_S16_S17_S18_S1B_S1C_jS1D_jS1E_S1E_jjS1G_bEUljE0_EEESZ_S10_S11_S18_S1C_S1E_T6_T7_T9_mT8_S1G_bDpT10_ENKUlT_T0_E_clISt17integral_constantIbLb0EES1T_IbLb1EEEEDaS1P_S1Q_EUlS1P_E_NS1_11comp_targetILNS1_3genE9ELNS1_11target_archE1100ELNS1_3gpuE3ELNS1_3repE0EEENS1_30default_config_static_selectorELNS0_4arch9wavefront6targetE0EEEvS12_.num_vgpr, 0
	.set _ZN7rocprim17ROCPRIM_400000_NS6detail17trampoline_kernelINS0_13select_configILj256ELj13ELNS0_17block_load_methodE3ELS4_3ELS4_3ELNS0_20block_scan_algorithmE0ELj4294967295EEENS1_25partition_config_selectorILNS1_17partition_subalgoE4EjNS0_10empty_typeEbEEZZNS1_14partition_implILS8_4ELb0ES6_15HIP_vector_typeIjLj2EENS0_17counting_iteratorIjlEEPS9_SG_NS0_5tupleIJPjSI_NS0_16reverse_iteratorISI_EEEEENSH_IJSG_SG_SG_EEES9_SI_JZNS1_25segmented_radix_sort_implINS0_14default_configELb0EPKiPiPKlPlN2at6native12_GLOBAL__N_18offset_tEEE10hipError_tPvRmT1_PNSt15iterator_traitsIS12_E10value_typeET2_T3_PNS13_IS18_E10value_typeET4_jRbjT5_S1E_jjP12ihipStream_tbEUljE_ZNSN_ISO_Lb0ESQ_SR_ST_SU_SY_EESZ_S10_S11_S12_S16_S17_S18_S1B_S1C_jS1D_jS1E_S1E_jjS1G_bEUljE0_EEESZ_S10_S11_S18_S1C_S1E_T6_T7_T9_mT8_S1G_bDpT10_ENKUlT_T0_E_clISt17integral_constantIbLb0EES1T_IbLb1EEEEDaS1P_S1Q_EUlS1P_E_NS1_11comp_targetILNS1_3genE9ELNS1_11target_archE1100ELNS1_3gpuE3ELNS1_3repE0EEENS1_30default_config_static_selectorELNS0_4arch9wavefront6targetE0EEEvS12_.num_agpr, 0
	.set _ZN7rocprim17ROCPRIM_400000_NS6detail17trampoline_kernelINS0_13select_configILj256ELj13ELNS0_17block_load_methodE3ELS4_3ELS4_3ELNS0_20block_scan_algorithmE0ELj4294967295EEENS1_25partition_config_selectorILNS1_17partition_subalgoE4EjNS0_10empty_typeEbEEZZNS1_14partition_implILS8_4ELb0ES6_15HIP_vector_typeIjLj2EENS0_17counting_iteratorIjlEEPS9_SG_NS0_5tupleIJPjSI_NS0_16reverse_iteratorISI_EEEEENSH_IJSG_SG_SG_EEES9_SI_JZNS1_25segmented_radix_sort_implINS0_14default_configELb0EPKiPiPKlPlN2at6native12_GLOBAL__N_18offset_tEEE10hipError_tPvRmT1_PNSt15iterator_traitsIS12_E10value_typeET2_T3_PNS13_IS18_E10value_typeET4_jRbjT5_S1E_jjP12ihipStream_tbEUljE_ZNSN_ISO_Lb0ESQ_SR_ST_SU_SY_EESZ_S10_S11_S12_S16_S17_S18_S1B_S1C_jS1D_jS1E_S1E_jjS1G_bEUljE0_EEESZ_S10_S11_S18_S1C_S1E_T6_T7_T9_mT8_S1G_bDpT10_ENKUlT_T0_E_clISt17integral_constantIbLb0EES1T_IbLb1EEEEDaS1P_S1Q_EUlS1P_E_NS1_11comp_targetILNS1_3genE9ELNS1_11target_archE1100ELNS1_3gpuE3ELNS1_3repE0EEENS1_30default_config_static_selectorELNS0_4arch9wavefront6targetE0EEEvS12_.numbered_sgpr, 0
	.set _ZN7rocprim17ROCPRIM_400000_NS6detail17trampoline_kernelINS0_13select_configILj256ELj13ELNS0_17block_load_methodE3ELS4_3ELS4_3ELNS0_20block_scan_algorithmE0ELj4294967295EEENS1_25partition_config_selectorILNS1_17partition_subalgoE4EjNS0_10empty_typeEbEEZZNS1_14partition_implILS8_4ELb0ES6_15HIP_vector_typeIjLj2EENS0_17counting_iteratorIjlEEPS9_SG_NS0_5tupleIJPjSI_NS0_16reverse_iteratorISI_EEEEENSH_IJSG_SG_SG_EEES9_SI_JZNS1_25segmented_radix_sort_implINS0_14default_configELb0EPKiPiPKlPlN2at6native12_GLOBAL__N_18offset_tEEE10hipError_tPvRmT1_PNSt15iterator_traitsIS12_E10value_typeET2_T3_PNS13_IS18_E10value_typeET4_jRbjT5_S1E_jjP12ihipStream_tbEUljE_ZNSN_ISO_Lb0ESQ_SR_ST_SU_SY_EESZ_S10_S11_S12_S16_S17_S18_S1B_S1C_jS1D_jS1E_S1E_jjS1G_bEUljE0_EEESZ_S10_S11_S18_S1C_S1E_T6_T7_T9_mT8_S1G_bDpT10_ENKUlT_T0_E_clISt17integral_constantIbLb0EES1T_IbLb1EEEEDaS1P_S1Q_EUlS1P_E_NS1_11comp_targetILNS1_3genE9ELNS1_11target_archE1100ELNS1_3gpuE3ELNS1_3repE0EEENS1_30default_config_static_selectorELNS0_4arch9wavefront6targetE0EEEvS12_.num_named_barrier, 0
	.set _ZN7rocprim17ROCPRIM_400000_NS6detail17trampoline_kernelINS0_13select_configILj256ELj13ELNS0_17block_load_methodE3ELS4_3ELS4_3ELNS0_20block_scan_algorithmE0ELj4294967295EEENS1_25partition_config_selectorILNS1_17partition_subalgoE4EjNS0_10empty_typeEbEEZZNS1_14partition_implILS8_4ELb0ES6_15HIP_vector_typeIjLj2EENS0_17counting_iteratorIjlEEPS9_SG_NS0_5tupleIJPjSI_NS0_16reverse_iteratorISI_EEEEENSH_IJSG_SG_SG_EEES9_SI_JZNS1_25segmented_radix_sort_implINS0_14default_configELb0EPKiPiPKlPlN2at6native12_GLOBAL__N_18offset_tEEE10hipError_tPvRmT1_PNSt15iterator_traitsIS12_E10value_typeET2_T3_PNS13_IS18_E10value_typeET4_jRbjT5_S1E_jjP12ihipStream_tbEUljE_ZNSN_ISO_Lb0ESQ_SR_ST_SU_SY_EESZ_S10_S11_S12_S16_S17_S18_S1B_S1C_jS1D_jS1E_S1E_jjS1G_bEUljE0_EEESZ_S10_S11_S18_S1C_S1E_T6_T7_T9_mT8_S1G_bDpT10_ENKUlT_T0_E_clISt17integral_constantIbLb0EES1T_IbLb1EEEEDaS1P_S1Q_EUlS1P_E_NS1_11comp_targetILNS1_3genE9ELNS1_11target_archE1100ELNS1_3gpuE3ELNS1_3repE0EEENS1_30default_config_static_selectorELNS0_4arch9wavefront6targetE0EEEvS12_.private_seg_size, 0
	.set _ZN7rocprim17ROCPRIM_400000_NS6detail17trampoline_kernelINS0_13select_configILj256ELj13ELNS0_17block_load_methodE3ELS4_3ELS4_3ELNS0_20block_scan_algorithmE0ELj4294967295EEENS1_25partition_config_selectorILNS1_17partition_subalgoE4EjNS0_10empty_typeEbEEZZNS1_14partition_implILS8_4ELb0ES6_15HIP_vector_typeIjLj2EENS0_17counting_iteratorIjlEEPS9_SG_NS0_5tupleIJPjSI_NS0_16reverse_iteratorISI_EEEEENSH_IJSG_SG_SG_EEES9_SI_JZNS1_25segmented_radix_sort_implINS0_14default_configELb0EPKiPiPKlPlN2at6native12_GLOBAL__N_18offset_tEEE10hipError_tPvRmT1_PNSt15iterator_traitsIS12_E10value_typeET2_T3_PNS13_IS18_E10value_typeET4_jRbjT5_S1E_jjP12ihipStream_tbEUljE_ZNSN_ISO_Lb0ESQ_SR_ST_SU_SY_EESZ_S10_S11_S12_S16_S17_S18_S1B_S1C_jS1D_jS1E_S1E_jjS1G_bEUljE0_EEESZ_S10_S11_S18_S1C_S1E_T6_T7_T9_mT8_S1G_bDpT10_ENKUlT_T0_E_clISt17integral_constantIbLb0EES1T_IbLb1EEEEDaS1P_S1Q_EUlS1P_E_NS1_11comp_targetILNS1_3genE9ELNS1_11target_archE1100ELNS1_3gpuE3ELNS1_3repE0EEENS1_30default_config_static_selectorELNS0_4arch9wavefront6targetE0EEEvS12_.uses_vcc, 0
	.set _ZN7rocprim17ROCPRIM_400000_NS6detail17trampoline_kernelINS0_13select_configILj256ELj13ELNS0_17block_load_methodE3ELS4_3ELS4_3ELNS0_20block_scan_algorithmE0ELj4294967295EEENS1_25partition_config_selectorILNS1_17partition_subalgoE4EjNS0_10empty_typeEbEEZZNS1_14partition_implILS8_4ELb0ES6_15HIP_vector_typeIjLj2EENS0_17counting_iteratorIjlEEPS9_SG_NS0_5tupleIJPjSI_NS0_16reverse_iteratorISI_EEEEENSH_IJSG_SG_SG_EEES9_SI_JZNS1_25segmented_radix_sort_implINS0_14default_configELb0EPKiPiPKlPlN2at6native12_GLOBAL__N_18offset_tEEE10hipError_tPvRmT1_PNSt15iterator_traitsIS12_E10value_typeET2_T3_PNS13_IS18_E10value_typeET4_jRbjT5_S1E_jjP12ihipStream_tbEUljE_ZNSN_ISO_Lb0ESQ_SR_ST_SU_SY_EESZ_S10_S11_S12_S16_S17_S18_S1B_S1C_jS1D_jS1E_S1E_jjS1G_bEUljE0_EEESZ_S10_S11_S18_S1C_S1E_T6_T7_T9_mT8_S1G_bDpT10_ENKUlT_T0_E_clISt17integral_constantIbLb0EES1T_IbLb1EEEEDaS1P_S1Q_EUlS1P_E_NS1_11comp_targetILNS1_3genE9ELNS1_11target_archE1100ELNS1_3gpuE3ELNS1_3repE0EEENS1_30default_config_static_selectorELNS0_4arch9wavefront6targetE0EEEvS12_.uses_flat_scratch, 0
	.set _ZN7rocprim17ROCPRIM_400000_NS6detail17trampoline_kernelINS0_13select_configILj256ELj13ELNS0_17block_load_methodE3ELS4_3ELS4_3ELNS0_20block_scan_algorithmE0ELj4294967295EEENS1_25partition_config_selectorILNS1_17partition_subalgoE4EjNS0_10empty_typeEbEEZZNS1_14partition_implILS8_4ELb0ES6_15HIP_vector_typeIjLj2EENS0_17counting_iteratorIjlEEPS9_SG_NS0_5tupleIJPjSI_NS0_16reverse_iteratorISI_EEEEENSH_IJSG_SG_SG_EEES9_SI_JZNS1_25segmented_radix_sort_implINS0_14default_configELb0EPKiPiPKlPlN2at6native12_GLOBAL__N_18offset_tEEE10hipError_tPvRmT1_PNSt15iterator_traitsIS12_E10value_typeET2_T3_PNS13_IS18_E10value_typeET4_jRbjT5_S1E_jjP12ihipStream_tbEUljE_ZNSN_ISO_Lb0ESQ_SR_ST_SU_SY_EESZ_S10_S11_S12_S16_S17_S18_S1B_S1C_jS1D_jS1E_S1E_jjS1G_bEUljE0_EEESZ_S10_S11_S18_S1C_S1E_T6_T7_T9_mT8_S1G_bDpT10_ENKUlT_T0_E_clISt17integral_constantIbLb0EES1T_IbLb1EEEEDaS1P_S1Q_EUlS1P_E_NS1_11comp_targetILNS1_3genE9ELNS1_11target_archE1100ELNS1_3gpuE3ELNS1_3repE0EEENS1_30default_config_static_selectorELNS0_4arch9wavefront6targetE0EEEvS12_.has_dyn_sized_stack, 0
	.set _ZN7rocprim17ROCPRIM_400000_NS6detail17trampoline_kernelINS0_13select_configILj256ELj13ELNS0_17block_load_methodE3ELS4_3ELS4_3ELNS0_20block_scan_algorithmE0ELj4294967295EEENS1_25partition_config_selectorILNS1_17partition_subalgoE4EjNS0_10empty_typeEbEEZZNS1_14partition_implILS8_4ELb0ES6_15HIP_vector_typeIjLj2EENS0_17counting_iteratorIjlEEPS9_SG_NS0_5tupleIJPjSI_NS0_16reverse_iteratorISI_EEEEENSH_IJSG_SG_SG_EEES9_SI_JZNS1_25segmented_radix_sort_implINS0_14default_configELb0EPKiPiPKlPlN2at6native12_GLOBAL__N_18offset_tEEE10hipError_tPvRmT1_PNSt15iterator_traitsIS12_E10value_typeET2_T3_PNS13_IS18_E10value_typeET4_jRbjT5_S1E_jjP12ihipStream_tbEUljE_ZNSN_ISO_Lb0ESQ_SR_ST_SU_SY_EESZ_S10_S11_S12_S16_S17_S18_S1B_S1C_jS1D_jS1E_S1E_jjS1G_bEUljE0_EEESZ_S10_S11_S18_S1C_S1E_T6_T7_T9_mT8_S1G_bDpT10_ENKUlT_T0_E_clISt17integral_constantIbLb0EES1T_IbLb1EEEEDaS1P_S1Q_EUlS1P_E_NS1_11comp_targetILNS1_3genE9ELNS1_11target_archE1100ELNS1_3gpuE3ELNS1_3repE0EEENS1_30default_config_static_selectorELNS0_4arch9wavefront6targetE0EEEvS12_.has_recursion, 0
	.set _ZN7rocprim17ROCPRIM_400000_NS6detail17trampoline_kernelINS0_13select_configILj256ELj13ELNS0_17block_load_methodE3ELS4_3ELS4_3ELNS0_20block_scan_algorithmE0ELj4294967295EEENS1_25partition_config_selectorILNS1_17partition_subalgoE4EjNS0_10empty_typeEbEEZZNS1_14partition_implILS8_4ELb0ES6_15HIP_vector_typeIjLj2EENS0_17counting_iteratorIjlEEPS9_SG_NS0_5tupleIJPjSI_NS0_16reverse_iteratorISI_EEEEENSH_IJSG_SG_SG_EEES9_SI_JZNS1_25segmented_radix_sort_implINS0_14default_configELb0EPKiPiPKlPlN2at6native12_GLOBAL__N_18offset_tEEE10hipError_tPvRmT1_PNSt15iterator_traitsIS12_E10value_typeET2_T3_PNS13_IS18_E10value_typeET4_jRbjT5_S1E_jjP12ihipStream_tbEUljE_ZNSN_ISO_Lb0ESQ_SR_ST_SU_SY_EESZ_S10_S11_S12_S16_S17_S18_S1B_S1C_jS1D_jS1E_S1E_jjS1G_bEUljE0_EEESZ_S10_S11_S18_S1C_S1E_T6_T7_T9_mT8_S1G_bDpT10_ENKUlT_T0_E_clISt17integral_constantIbLb0EES1T_IbLb1EEEEDaS1P_S1Q_EUlS1P_E_NS1_11comp_targetILNS1_3genE9ELNS1_11target_archE1100ELNS1_3gpuE3ELNS1_3repE0EEENS1_30default_config_static_selectorELNS0_4arch9wavefront6targetE0EEEvS12_.has_indirect_call, 0
	.section	.AMDGPU.csdata,"",@progbits
; Kernel info:
; codeLenInByte = 0
; TotalNumSgprs: 0
; NumVgprs: 0
; ScratchSize: 0
; MemoryBound: 0
; FloatMode: 240
; IeeeMode: 1
; LDSByteSize: 0 bytes/workgroup (compile time only)
; SGPRBlocks: 0
; VGPRBlocks: 0
; NumSGPRsForWavesPerEU: 1
; NumVGPRsForWavesPerEU: 1
; Occupancy: 16
; WaveLimiterHint : 0
; COMPUTE_PGM_RSRC2:SCRATCH_EN: 0
; COMPUTE_PGM_RSRC2:USER_SGPR: 2
; COMPUTE_PGM_RSRC2:TRAP_HANDLER: 0
; COMPUTE_PGM_RSRC2:TGID_X_EN: 1
; COMPUTE_PGM_RSRC2:TGID_Y_EN: 0
; COMPUTE_PGM_RSRC2:TGID_Z_EN: 0
; COMPUTE_PGM_RSRC2:TIDIG_COMP_CNT: 0
	.section	.text._ZN7rocprim17ROCPRIM_400000_NS6detail17trampoline_kernelINS0_13select_configILj256ELj13ELNS0_17block_load_methodE3ELS4_3ELS4_3ELNS0_20block_scan_algorithmE0ELj4294967295EEENS1_25partition_config_selectorILNS1_17partition_subalgoE4EjNS0_10empty_typeEbEEZZNS1_14partition_implILS8_4ELb0ES6_15HIP_vector_typeIjLj2EENS0_17counting_iteratorIjlEEPS9_SG_NS0_5tupleIJPjSI_NS0_16reverse_iteratorISI_EEEEENSH_IJSG_SG_SG_EEES9_SI_JZNS1_25segmented_radix_sort_implINS0_14default_configELb0EPKiPiPKlPlN2at6native12_GLOBAL__N_18offset_tEEE10hipError_tPvRmT1_PNSt15iterator_traitsIS12_E10value_typeET2_T3_PNS13_IS18_E10value_typeET4_jRbjT5_S1E_jjP12ihipStream_tbEUljE_ZNSN_ISO_Lb0ESQ_SR_ST_SU_SY_EESZ_S10_S11_S12_S16_S17_S18_S1B_S1C_jS1D_jS1E_S1E_jjS1G_bEUljE0_EEESZ_S10_S11_S18_S1C_S1E_T6_T7_T9_mT8_S1G_bDpT10_ENKUlT_T0_E_clISt17integral_constantIbLb0EES1T_IbLb1EEEEDaS1P_S1Q_EUlS1P_E_NS1_11comp_targetILNS1_3genE8ELNS1_11target_archE1030ELNS1_3gpuE2ELNS1_3repE0EEENS1_30default_config_static_selectorELNS0_4arch9wavefront6targetE0EEEvS12_,"axG",@progbits,_ZN7rocprim17ROCPRIM_400000_NS6detail17trampoline_kernelINS0_13select_configILj256ELj13ELNS0_17block_load_methodE3ELS4_3ELS4_3ELNS0_20block_scan_algorithmE0ELj4294967295EEENS1_25partition_config_selectorILNS1_17partition_subalgoE4EjNS0_10empty_typeEbEEZZNS1_14partition_implILS8_4ELb0ES6_15HIP_vector_typeIjLj2EENS0_17counting_iteratorIjlEEPS9_SG_NS0_5tupleIJPjSI_NS0_16reverse_iteratorISI_EEEEENSH_IJSG_SG_SG_EEES9_SI_JZNS1_25segmented_radix_sort_implINS0_14default_configELb0EPKiPiPKlPlN2at6native12_GLOBAL__N_18offset_tEEE10hipError_tPvRmT1_PNSt15iterator_traitsIS12_E10value_typeET2_T3_PNS13_IS18_E10value_typeET4_jRbjT5_S1E_jjP12ihipStream_tbEUljE_ZNSN_ISO_Lb0ESQ_SR_ST_SU_SY_EESZ_S10_S11_S12_S16_S17_S18_S1B_S1C_jS1D_jS1E_S1E_jjS1G_bEUljE0_EEESZ_S10_S11_S18_S1C_S1E_T6_T7_T9_mT8_S1G_bDpT10_ENKUlT_T0_E_clISt17integral_constantIbLb0EES1T_IbLb1EEEEDaS1P_S1Q_EUlS1P_E_NS1_11comp_targetILNS1_3genE8ELNS1_11target_archE1030ELNS1_3gpuE2ELNS1_3repE0EEENS1_30default_config_static_selectorELNS0_4arch9wavefront6targetE0EEEvS12_,comdat
	.globl	_ZN7rocprim17ROCPRIM_400000_NS6detail17trampoline_kernelINS0_13select_configILj256ELj13ELNS0_17block_load_methodE3ELS4_3ELS4_3ELNS0_20block_scan_algorithmE0ELj4294967295EEENS1_25partition_config_selectorILNS1_17partition_subalgoE4EjNS0_10empty_typeEbEEZZNS1_14partition_implILS8_4ELb0ES6_15HIP_vector_typeIjLj2EENS0_17counting_iteratorIjlEEPS9_SG_NS0_5tupleIJPjSI_NS0_16reverse_iteratorISI_EEEEENSH_IJSG_SG_SG_EEES9_SI_JZNS1_25segmented_radix_sort_implINS0_14default_configELb0EPKiPiPKlPlN2at6native12_GLOBAL__N_18offset_tEEE10hipError_tPvRmT1_PNSt15iterator_traitsIS12_E10value_typeET2_T3_PNS13_IS18_E10value_typeET4_jRbjT5_S1E_jjP12ihipStream_tbEUljE_ZNSN_ISO_Lb0ESQ_SR_ST_SU_SY_EESZ_S10_S11_S12_S16_S17_S18_S1B_S1C_jS1D_jS1E_S1E_jjS1G_bEUljE0_EEESZ_S10_S11_S18_S1C_S1E_T6_T7_T9_mT8_S1G_bDpT10_ENKUlT_T0_E_clISt17integral_constantIbLb0EES1T_IbLb1EEEEDaS1P_S1Q_EUlS1P_E_NS1_11comp_targetILNS1_3genE8ELNS1_11target_archE1030ELNS1_3gpuE2ELNS1_3repE0EEENS1_30default_config_static_selectorELNS0_4arch9wavefront6targetE0EEEvS12_ ; -- Begin function _ZN7rocprim17ROCPRIM_400000_NS6detail17trampoline_kernelINS0_13select_configILj256ELj13ELNS0_17block_load_methodE3ELS4_3ELS4_3ELNS0_20block_scan_algorithmE0ELj4294967295EEENS1_25partition_config_selectorILNS1_17partition_subalgoE4EjNS0_10empty_typeEbEEZZNS1_14partition_implILS8_4ELb0ES6_15HIP_vector_typeIjLj2EENS0_17counting_iteratorIjlEEPS9_SG_NS0_5tupleIJPjSI_NS0_16reverse_iteratorISI_EEEEENSH_IJSG_SG_SG_EEES9_SI_JZNS1_25segmented_radix_sort_implINS0_14default_configELb0EPKiPiPKlPlN2at6native12_GLOBAL__N_18offset_tEEE10hipError_tPvRmT1_PNSt15iterator_traitsIS12_E10value_typeET2_T3_PNS13_IS18_E10value_typeET4_jRbjT5_S1E_jjP12ihipStream_tbEUljE_ZNSN_ISO_Lb0ESQ_SR_ST_SU_SY_EESZ_S10_S11_S12_S16_S17_S18_S1B_S1C_jS1D_jS1E_S1E_jjS1G_bEUljE0_EEESZ_S10_S11_S18_S1C_S1E_T6_T7_T9_mT8_S1G_bDpT10_ENKUlT_T0_E_clISt17integral_constantIbLb0EES1T_IbLb1EEEEDaS1P_S1Q_EUlS1P_E_NS1_11comp_targetILNS1_3genE8ELNS1_11target_archE1030ELNS1_3gpuE2ELNS1_3repE0EEENS1_30default_config_static_selectorELNS0_4arch9wavefront6targetE0EEEvS12_
	.p2align	8
	.type	_ZN7rocprim17ROCPRIM_400000_NS6detail17trampoline_kernelINS0_13select_configILj256ELj13ELNS0_17block_load_methodE3ELS4_3ELS4_3ELNS0_20block_scan_algorithmE0ELj4294967295EEENS1_25partition_config_selectorILNS1_17partition_subalgoE4EjNS0_10empty_typeEbEEZZNS1_14partition_implILS8_4ELb0ES6_15HIP_vector_typeIjLj2EENS0_17counting_iteratorIjlEEPS9_SG_NS0_5tupleIJPjSI_NS0_16reverse_iteratorISI_EEEEENSH_IJSG_SG_SG_EEES9_SI_JZNS1_25segmented_radix_sort_implINS0_14default_configELb0EPKiPiPKlPlN2at6native12_GLOBAL__N_18offset_tEEE10hipError_tPvRmT1_PNSt15iterator_traitsIS12_E10value_typeET2_T3_PNS13_IS18_E10value_typeET4_jRbjT5_S1E_jjP12ihipStream_tbEUljE_ZNSN_ISO_Lb0ESQ_SR_ST_SU_SY_EESZ_S10_S11_S12_S16_S17_S18_S1B_S1C_jS1D_jS1E_S1E_jjS1G_bEUljE0_EEESZ_S10_S11_S18_S1C_S1E_T6_T7_T9_mT8_S1G_bDpT10_ENKUlT_T0_E_clISt17integral_constantIbLb0EES1T_IbLb1EEEEDaS1P_S1Q_EUlS1P_E_NS1_11comp_targetILNS1_3genE8ELNS1_11target_archE1030ELNS1_3gpuE2ELNS1_3repE0EEENS1_30default_config_static_selectorELNS0_4arch9wavefront6targetE0EEEvS12_,@function
_ZN7rocprim17ROCPRIM_400000_NS6detail17trampoline_kernelINS0_13select_configILj256ELj13ELNS0_17block_load_methodE3ELS4_3ELS4_3ELNS0_20block_scan_algorithmE0ELj4294967295EEENS1_25partition_config_selectorILNS1_17partition_subalgoE4EjNS0_10empty_typeEbEEZZNS1_14partition_implILS8_4ELb0ES6_15HIP_vector_typeIjLj2EENS0_17counting_iteratorIjlEEPS9_SG_NS0_5tupleIJPjSI_NS0_16reverse_iteratorISI_EEEEENSH_IJSG_SG_SG_EEES9_SI_JZNS1_25segmented_radix_sort_implINS0_14default_configELb0EPKiPiPKlPlN2at6native12_GLOBAL__N_18offset_tEEE10hipError_tPvRmT1_PNSt15iterator_traitsIS12_E10value_typeET2_T3_PNS13_IS18_E10value_typeET4_jRbjT5_S1E_jjP12ihipStream_tbEUljE_ZNSN_ISO_Lb0ESQ_SR_ST_SU_SY_EESZ_S10_S11_S12_S16_S17_S18_S1B_S1C_jS1D_jS1E_S1E_jjS1G_bEUljE0_EEESZ_S10_S11_S18_S1C_S1E_T6_T7_T9_mT8_S1G_bDpT10_ENKUlT_T0_E_clISt17integral_constantIbLb0EES1T_IbLb1EEEEDaS1P_S1Q_EUlS1P_E_NS1_11comp_targetILNS1_3genE8ELNS1_11target_archE1030ELNS1_3gpuE2ELNS1_3repE0EEENS1_30default_config_static_selectorELNS0_4arch9wavefront6targetE0EEEvS12_: ; @_ZN7rocprim17ROCPRIM_400000_NS6detail17trampoline_kernelINS0_13select_configILj256ELj13ELNS0_17block_load_methodE3ELS4_3ELS4_3ELNS0_20block_scan_algorithmE0ELj4294967295EEENS1_25partition_config_selectorILNS1_17partition_subalgoE4EjNS0_10empty_typeEbEEZZNS1_14partition_implILS8_4ELb0ES6_15HIP_vector_typeIjLj2EENS0_17counting_iteratorIjlEEPS9_SG_NS0_5tupleIJPjSI_NS0_16reverse_iteratorISI_EEEEENSH_IJSG_SG_SG_EEES9_SI_JZNS1_25segmented_radix_sort_implINS0_14default_configELb0EPKiPiPKlPlN2at6native12_GLOBAL__N_18offset_tEEE10hipError_tPvRmT1_PNSt15iterator_traitsIS12_E10value_typeET2_T3_PNS13_IS18_E10value_typeET4_jRbjT5_S1E_jjP12ihipStream_tbEUljE_ZNSN_ISO_Lb0ESQ_SR_ST_SU_SY_EESZ_S10_S11_S12_S16_S17_S18_S1B_S1C_jS1D_jS1E_S1E_jjS1G_bEUljE0_EEESZ_S10_S11_S18_S1C_S1E_T6_T7_T9_mT8_S1G_bDpT10_ENKUlT_T0_E_clISt17integral_constantIbLb0EES1T_IbLb1EEEEDaS1P_S1Q_EUlS1P_E_NS1_11comp_targetILNS1_3genE8ELNS1_11target_archE1030ELNS1_3gpuE2ELNS1_3repE0EEENS1_30default_config_static_selectorELNS0_4arch9wavefront6targetE0EEEvS12_
; %bb.0:
	.section	.rodata,"a",@progbits
	.p2align	6, 0x0
	.amdhsa_kernel _ZN7rocprim17ROCPRIM_400000_NS6detail17trampoline_kernelINS0_13select_configILj256ELj13ELNS0_17block_load_methodE3ELS4_3ELS4_3ELNS0_20block_scan_algorithmE0ELj4294967295EEENS1_25partition_config_selectorILNS1_17partition_subalgoE4EjNS0_10empty_typeEbEEZZNS1_14partition_implILS8_4ELb0ES6_15HIP_vector_typeIjLj2EENS0_17counting_iteratorIjlEEPS9_SG_NS0_5tupleIJPjSI_NS0_16reverse_iteratorISI_EEEEENSH_IJSG_SG_SG_EEES9_SI_JZNS1_25segmented_radix_sort_implINS0_14default_configELb0EPKiPiPKlPlN2at6native12_GLOBAL__N_18offset_tEEE10hipError_tPvRmT1_PNSt15iterator_traitsIS12_E10value_typeET2_T3_PNS13_IS18_E10value_typeET4_jRbjT5_S1E_jjP12ihipStream_tbEUljE_ZNSN_ISO_Lb0ESQ_SR_ST_SU_SY_EESZ_S10_S11_S12_S16_S17_S18_S1B_S1C_jS1D_jS1E_S1E_jjS1G_bEUljE0_EEESZ_S10_S11_S18_S1C_S1E_T6_T7_T9_mT8_S1G_bDpT10_ENKUlT_T0_E_clISt17integral_constantIbLb0EES1T_IbLb1EEEEDaS1P_S1Q_EUlS1P_E_NS1_11comp_targetILNS1_3genE8ELNS1_11target_archE1030ELNS1_3gpuE2ELNS1_3repE0EEENS1_30default_config_static_selectorELNS0_4arch9wavefront6targetE0EEEvS12_
		.amdhsa_group_segment_fixed_size 0
		.amdhsa_private_segment_fixed_size 0
		.amdhsa_kernarg_size 184
		.amdhsa_user_sgpr_count 2
		.amdhsa_user_sgpr_dispatch_ptr 0
		.amdhsa_user_sgpr_queue_ptr 0
		.amdhsa_user_sgpr_kernarg_segment_ptr 1
		.amdhsa_user_sgpr_dispatch_id 0
		.amdhsa_user_sgpr_private_segment_size 0
		.amdhsa_wavefront_size32 1
		.amdhsa_uses_dynamic_stack 0
		.amdhsa_enable_private_segment 0
		.amdhsa_system_sgpr_workgroup_id_x 1
		.amdhsa_system_sgpr_workgroup_id_y 0
		.amdhsa_system_sgpr_workgroup_id_z 0
		.amdhsa_system_sgpr_workgroup_info 0
		.amdhsa_system_vgpr_workitem_id 0
		.amdhsa_next_free_vgpr 1
		.amdhsa_next_free_sgpr 1
		.amdhsa_reserve_vcc 0
		.amdhsa_float_round_mode_32 0
		.amdhsa_float_round_mode_16_64 0
		.amdhsa_float_denorm_mode_32 3
		.amdhsa_float_denorm_mode_16_64 3
		.amdhsa_fp16_overflow 0
		.amdhsa_workgroup_processor_mode 1
		.amdhsa_memory_ordered 1
		.amdhsa_forward_progress 1
		.amdhsa_inst_pref_size 0
		.amdhsa_round_robin_scheduling 0
		.amdhsa_exception_fp_ieee_invalid_op 0
		.amdhsa_exception_fp_denorm_src 0
		.amdhsa_exception_fp_ieee_div_zero 0
		.amdhsa_exception_fp_ieee_overflow 0
		.amdhsa_exception_fp_ieee_underflow 0
		.amdhsa_exception_fp_ieee_inexact 0
		.amdhsa_exception_int_div_zero 0
	.end_amdhsa_kernel
	.section	.text._ZN7rocprim17ROCPRIM_400000_NS6detail17trampoline_kernelINS0_13select_configILj256ELj13ELNS0_17block_load_methodE3ELS4_3ELS4_3ELNS0_20block_scan_algorithmE0ELj4294967295EEENS1_25partition_config_selectorILNS1_17partition_subalgoE4EjNS0_10empty_typeEbEEZZNS1_14partition_implILS8_4ELb0ES6_15HIP_vector_typeIjLj2EENS0_17counting_iteratorIjlEEPS9_SG_NS0_5tupleIJPjSI_NS0_16reverse_iteratorISI_EEEEENSH_IJSG_SG_SG_EEES9_SI_JZNS1_25segmented_radix_sort_implINS0_14default_configELb0EPKiPiPKlPlN2at6native12_GLOBAL__N_18offset_tEEE10hipError_tPvRmT1_PNSt15iterator_traitsIS12_E10value_typeET2_T3_PNS13_IS18_E10value_typeET4_jRbjT5_S1E_jjP12ihipStream_tbEUljE_ZNSN_ISO_Lb0ESQ_SR_ST_SU_SY_EESZ_S10_S11_S12_S16_S17_S18_S1B_S1C_jS1D_jS1E_S1E_jjS1G_bEUljE0_EEESZ_S10_S11_S18_S1C_S1E_T6_T7_T9_mT8_S1G_bDpT10_ENKUlT_T0_E_clISt17integral_constantIbLb0EES1T_IbLb1EEEEDaS1P_S1Q_EUlS1P_E_NS1_11comp_targetILNS1_3genE8ELNS1_11target_archE1030ELNS1_3gpuE2ELNS1_3repE0EEENS1_30default_config_static_selectorELNS0_4arch9wavefront6targetE0EEEvS12_,"axG",@progbits,_ZN7rocprim17ROCPRIM_400000_NS6detail17trampoline_kernelINS0_13select_configILj256ELj13ELNS0_17block_load_methodE3ELS4_3ELS4_3ELNS0_20block_scan_algorithmE0ELj4294967295EEENS1_25partition_config_selectorILNS1_17partition_subalgoE4EjNS0_10empty_typeEbEEZZNS1_14partition_implILS8_4ELb0ES6_15HIP_vector_typeIjLj2EENS0_17counting_iteratorIjlEEPS9_SG_NS0_5tupleIJPjSI_NS0_16reverse_iteratorISI_EEEEENSH_IJSG_SG_SG_EEES9_SI_JZNS1_25segmented_radix_sort_implINS0_14default_configELb0EPKiPiPKlPlN2at6native12_GLOBAL__N_18offset_tEEE10hipError_tPvRmT1_PNSt15iterator_traitsIS12_E10value_typeET2_T3_PNS13_IS18_E10value_typeET4_jRbjT5_S1E_jjP12ihipStream_tbEUljE_ZNSN_ISO_Lb0ESQ_SR_ST_SU_SY_EESZ_S10_S11_S12_S16_S17_S18_S1B_S1C_jS1D_jS1E_S1E_jjS1G_bEUljE0_EEESZ_S10_S11_S18_S1C_S1E_T6_T7_T9_mT8_S1G_bDpT10_ENKUlT_T0_E_clISt17integral_constantIbLb0EES1T_IbLb1EEEEDaS1P_S1Q_EUlS1P_E_NS1_11comp_targetILNS1_3genE8ELNS1_11target_archE1030ELNS1_3gpuE2ELNS1_3repE0EEENS1_30default_config_static_selectorELNS0_4arch9wavefront6targetE0EEEvS12_,comdat
.Lfunc_end567:
	.size	_ZN7rocprim17ROCPRIM_400000_NS6detail17trampoline_kernelINS0_13select_configILj256ELj13ELNS0_17block_load_methodE3ELS4_3ELS4_3ELNS0_20block_scan_algorithmE0ELj4294967295EEENS1_25partition_config_selectorILNS1_17partition_subalgoE4EjNS0_10empty_typeEbEEZZNS1_14partition_implILS8_4ELb0ES6_15HIP_vector_typeIjLj2EENS0_17counting_iteratorIjlEEPS9_SG_NS0_5tupleIJPjSI_NS0_16reverse_iteratorISI_EEEEENSH_IJSG_SG_SG_EEES9_SI_JZNS1_25segmented_radix_sort_implINS0_14default_configELb0EPKiPiPKlPlN2at6native12_GLOBAL__N_18offset_tEEE10hipError_tPvRmT1_PNSt15iterator_traitsIS12_E10value_typeET2_T3_PNS13_IS18_E10value_typeET4_jRbjT5_S1E_jjP12ihipStream_tbEUljE_ZNSN_ISO_Lb0ESQ_SR_ST_SU_SY_EESZ_S10_S11_S12_S16_S17_S18_S1B_S1C_jS1D_jS1E_S1E_jjS1G_bEUljE0_EEESZ_S10_S11_S18_S1C_S1E_T6_T7_T9_mT8_S1G_bDpT10_ENKUlT_T0_E_clISt17integral_constantIbLb0EES1T_IbLb1EEEEDaS1P_S1Q_EUlS1P_E_NS1_11comp_targetILNS1_3genE8ELNS1_11target_archE1030ELNS1_3gpuE2ELNS1_3repE0EEENS1_30default_config_static_selectorELNS0_4arch9wavefront6targetE0EEEvS12_, .Lfunc_end567-_ZN7rocprim17ROCPRIM_400000_NS6detail17trampoline_kernelINS0_13select_configILj256ELj13ELNS0_17block_load_methodE3ELS4_3ELS4_3ELNS0_20block_scan_algorithmE0ELj4294967295EEENS1_25partition_config_selectorILNS1_17partition_subalgoE4EjNS0_10empty_typeEbEEZZNS1_14partition_implILS8_4ELb0ES6_15HIP_vector_typeIjLj2EENS0_17counting_iteratorIjlEEPS9_SG_NS0_5tupleIJPjSI_NS0_16reverse_iteratorISI_EEEEENSH_IJSG_SG_SG_EEES9_SI_JZNS1_25segmented_radix_sort_implINS0_14default_configELb0EPKiPiPKlPlN2at6native12_GLOBAL__N_18offset_tEEE10hipError_tPvRmT1_PNSt15iterator_traitsIS12_E10value_typeET2_T3_PNS13_IS18_E10value_typeET4_jRbjT5_S1E_jjP12ihipStream_tbEUljE_ZNSN_ISO_Lb0ESQ_SR_ST_SU_SY_EESZ_S10_S11_S12_S16_S17_S18_S1B_S1C_jS1D_jS1E_S1E_jjS1G_bEUljE0_EEESZ_S10_S11_S18_S1C_S1E_T6_T7_T9_mT8_S1G_bDpT10_ENKUlT_T0_E_clISt17integral_constantIbLb0EES1T_IbLb1EEEEDaS1P_S1Q_EUlS1P_E_NS1_11comp_targetILNS1_3genE8ELNS1_11target_archE1030ELNS1_3gpuE2ELNS1_3repE0EEENS1_30default_config_static_selectorELNS0_4arch9wavefront6targetE0EEEvS12_
                                        ; -- End function
	.set _ZN7rocprim17ROCPRIM_400000_NS6detail17trampoline_kernelINS0_13select_configILj256ELj13ELNS0_17block_load_methodE3ELS4_3ELS4_3ELNS0_20block_scan_algorithmE0ELj4294967295EEENS1_25partition_config_selectorILNS1_17partition_subalgoE4EjNS0_10empty_typeEbEEZZNS1_14partition_implILS8_4ELb0ES6_15HIP_vector_typeIjLj2EENS0_17counting_iteratorIjlEEPS9_SG_NS0_5tupleIJPjSI_NS0_16reverse_iteratorISI_EEEEENSH_IJSG_SG_SG_EEES9_SI_JZNS1_25segmented_radix_sort_implINS0_14default_configELb0EPKiPiPKlPlN2at6native12_GLOBAL__N_18offset_tEEE10hipError_tPvRmT1_PNSt15iterator_traitsIS12_E10value_typeET2_T3_PNS13_IS18_E10value_typeET4_jRbjT5_S1E_jjP12ihipStream_tbEUljE_ZNSN_ISO_Lb0ESQ_SR_ST_SU_SY_EESZ_S10_S11_S12_S16_S17_S18_S1B_S1C_jS1D_jS1E_S1E_jjS1G_bEUljE0_EEESZ_S10_S11_S18_S1C_S1E_T6_T7_T9_mT8_S1G_bDpT10_ENKUlT_T0_E_clISt17integral_constantIbLb0EES1T_IbLb1EEEEDaS1P_S1Q_EUlS1P_E_NS1_11comp_targetILNS1_3genE8ELNS1_11target_archE1030ELNS1_3gpuE2ELNS1_3repE0EEENS1_30default_config_static_selectorELNS0_4arch9wavefront6targetE0EEEvS12_.num_vgpr, 0
	.set _ZN7rocprim17ROCPRIM_400000_NS6detail17trampoline_kernelINS0_13select_configILj256ELj13ELNS0_17block_load_methodE3ELS4_3ELS4_3ELNS0_20block_scan_algorithmE0ELj4294967295EEENS1_25partition_config_selectorILNS1_17partition_subalgoE4EjNS0_10empty_typeEbEEZZNS1_14partition_implILS8_4ELb0ES6_15HIP_vector_typeIjLj2EENS0_17counting_iteratorIjlEEPS9_SG_NS0_5tupleIJPjSI_NS0_16reverse_iteratorISI_EEEEENSH_IJSG_SG_SG_EEES9_SI_JZNS1_25segmented_radix_sort_implINS0_14default_configELb0EPKiPiPKlPlN2at6native12_GLOBAL__N_18offset_tEEE10hipError_tPvRmT1_PNSt15iterator_traitsIS12_E10value_typeET2_T3_PNS13_IS18_E10value_typeET4_jRbjT5_S1E_jjP12ihipStream_tbEUljE_ZNSN_ISO_Lb0ESQ_SR_ST_SU_SY_EESZ_S10_S11_S12_S16_S17_S18_S1B_S1C_jS1D_jS1E_S1E_jjS1G_bEUljE0_EEESZ_S10_S11_S18_S1C_S1E_T6_T7_T9_mT8_S1G_bDpT10_ENKUlT_T0_E_clISt17integral_constantIbLb0EES1T_IbLb1EEEEDaS1P_S1Q_EUlS1P_E_NS1_11comp_targetILNS1_3genE8ELNS1_11target_archE1030ELNS1_3gpuE2ELNS1_3repE0EEENS1_30default_config_static_selectorELNS0_4arch9wavefront6targetE0EEEvS12_.num_agpr, 0
	.set _ZN7rocprim17ROCPRIM_400000_NS6detail17trampoline_kernelINS0_13select_configILj256ELj13ELNS0_17block_load_methodE3ELS4_3ELS4_3ELNS0_20block_scan_algorithmE0ELj4294967295EEENS1_25partition_config_selectorILNS1_17partition_subalgoE4EjNS0_10empty_typeEbEEZZNS1_14partition_implILS8_4ELb0ES6_15HIP_vector_typeIjLj2EENS0_17counting_iteratorIjlEEPS9_SG_NS0_5tupleIJPjSI_NS0_16reverse_iteratorISI_EEEEENSH_IJSG_SG_SG_EEES9_SI_JZNS1_25segmented_radix_sort_implINS0_14default_configELb0EPKiPiPKlPlN2at6native12_GLOBAL__N_18offset_tEEE10hipError_tPvRmT1_PNSt15iterator_traitsIS12_E10value_typeET2_T3_PNS13_IS18_E10value_typeET4_jRbjT5_S1E_jjP12ihipStream_tbEUljE_ZNSN_ISO_Lb0ESQ_SR_ST_SU_SY_EESZ_S10_S11_S12_S16_S17_S18_S1B_S1C_jS1D_jS1E_S1E_jjS1G_bEUljE0_EEESZ_S10_S11_S18_S1C_S1E_T6_T7_T9_mT8_S1G_bDpT10_ENKUlT_T0_E_clISt17integral_constantIbLb0EES1T_IbLb1EEEEDaS1P_S1Q_EUlS1P_E_NS1_11comp_targetILNS1_3genE8ELNS1_11target_archE1030ELNS1_3gpuE2ELNS1_3repE0EEENS1_30default_config_static_selectorELNS0_4arch9wavefront6targetE0EEEvS12_.numbered_sgpr, 0
	.set _ZN7rocprim17ROCPRIM_400000_NS6detail17trampoline_kernelINS0_13select_configILj256ELj13ELNS0_17block_load_methodE3ELS4_3ELS4_3ELNS0_20block_scan_algorithmE0ELj4294967295EEENS1_25partition_config_selectorILNS1_17partition_subalgoE4EjNS0_10empty_typeEbEEZZNS1_14partition_implILS8_4ELb0ES6_15HIP_vector_typeIjLj2EENS0_17counting_iteratorIjlEEPS9_SG_NS0_5tupleIJPjSI_NS0_16reverse_iteratorISI_EEEEENSH_IJSG_SG_SG_EEES9_SI_JZNS1_25segmented_radix_sort_implINS0_14default_configELb0EPKiPiPKlPlN2at6native12_GLOBAL__N_18offset_tEEE10hipError_tPvRmT1_PNSt15iterator_traitsIS12_E10value_typeET2_T3_PNS13_IS18_E10value_typeET4_jRbjT5_S1E_jjP12ihipStream_tbEUljE_ZNSN_ISO_Lb0ESQ_SR_ST_SU_SY_EESZ_S10_S11_S12_S16_S17_S18_S1B_S1C_jS1D_jS1E_S1E_jjS1G_bEUljE0_EEESZ_S10_S11_S18_S1C_S1E_T6_T7_T9_mT8_S1G_bDpT10_ENKUlT_T0_E_clISt17integral_constantIbLb0EES1T_IbLb1EEEEDaS1P_S1Q_EUlS1P_E_NS1_11comp_targetILNS1_3genE8ELNS1_11target_archE1030ELNS1_3gpuE2ELNS1_3repE0EEENS1_30default_config_static_selectorELNS0_4arch9wavefront6targetE0EEEvS12_.num_named_barrier, 0
	.set _ZN7rocprim17ROCPRIM_400000_NS6detail17trampoline_kernelINS0_13select_configILj256ELj13ELNS0_17block_load_methodE3ELS4_3ELS4_3ELNS0_20block_scan_algorithmE0ELj4294967295EEENS1_25partition_config_selectorILNS1_17partition_subalgoE4EjNS0_10empty_typeEbEEZZNS1_14partition_implILS8_4ELb0ES6_15HIP_vector_typeIjLj2EENS0_17counting_iteratorIjlEEPS9_SG_NS0_5tupleIJPjSI_NS0_16reverse_iteratorISI_EEEEENSH_IJSG_SG_SG_EEES9_SI_JZNS1_25segmented_radix_sort_implINS0_14default_configELb0EPKiPiPKlPlN2at6native12_GLOBAL__N_18offset_tEEE10hipError_tPvRmT1_PNSt15iterator_traitsIS12_E10value_typeET2_T3_PNS13_IS18_E10value_typeET4_jRbjT5_S1E_jjP12ihipStream_tbEUljE_ZNSN_ISO_Lb0ESQ_SR_ST_SU_SY_EESZ_S10_S11_S12_S16_S17_S18_S1B_S1C_jS1D_jS1E_S1E_jjS1G_bEUljE0_EEESZ_S10_S11_S18_S1C_S1E_T6_T7_T9_mT8_S1G_bDpT10_ENKUlT_T0_E_clISt17integral_constantIbLb0EES1T_IbLb1EEEEDaS1P_S1Q_EUlS1P_E_NS1_11comp_targetILNS1_3genE8ELNS1_11target_archE1030ELNS1_3gpuE2ELNS1_3repE0EEENS1_30default_config_static_selectorELNS0_4arch9wavefront6targetE0EEEvS12_.private_seg_size, 0
	.set _ZN7rocprim17ROCPRIM_400000_NS6detail17trampoline_kernelINS0_13select_configILj256ELj13ELNS0_17block_load_methodE3ELS4_3ELS4_3ELNS0_20block_scan_algorithmE0ELj4294967295EEENS1_25partition_config_selectorILNS1_17partition_subalgoE4EjNS0_10empty_typeEbEEZZNS1_14partition_implILS8_4ELb0ES6_15HIP_vector_typeIjLj2EENS0_17counting_iteratorIjlEEPS9_SG_NS0_5tupleIJPjSI_NS0_16reverse_iteratorISI_EEEEENSH_IJSG_SG_SG_EEES9_SI_JZNS1_25segmented_radix_sort_implINS0_14default_configELb0EPKiPiPKlPlN2at6native12_GLOBAL__N_18offset_tEEE10hipError_tPvRmT1_PNSt15iterator_traitsIS12_E10value_typeET2_T3_PNS13_IS18_E10value_typeET4_jRbjT5_S1E_jjP12ihipStream_tbEUljE_ZNSN_ISO_Lb0ESQ_SR_ST_SU_SY_EESZ_S10_S11_S12_S16_S17_S18_S1B_S1C_jS1D_jS1E_S1E_jjS1G_bEUljE0_EEESZ_S10_S11_S18_S1C_S1E_T6_T7_T9_mT8_S1G_bDpT10_ENKUlT_T0_E_clISt17integral_constantIbLb0EES1T_IbLb1EEEEDaS1P_S1Q_EUlS1P_E_NS1_11comp_targetILNS1_3genE8ELNS1_11target_archE1030ELNS1_3gpuE2ELNS1_3repE0EEENS1_30default_config_static_selectorELNS0_4arch9wavefront6targetE0EEEvS12_.uses_vcc, 0
	.set _ZN7rocprim17ROCPRIM_400000_NS6detail17trampoline_kernelINS0_13select_configILj256ELj13ELNS0_17block_load_methodE3ELS4_3ELS4_3ELNS0_20block_scan_algorithmE0ELj4294967295EEENS1_25partition_config_selectorILNS1_17partition_subalgoE4EjNS0_10empty_typeEbEEZZNS1_14partition_implILS8_4ELb0ES6_15HIP_vector_typeIjLj2EENS0_17counting_iteratorIjlEEPS9_SG_NS0_5tupleIJPjSI_NS0_16reverse_iteratorISI_EEEEENSH_IJSG_SG_SG_EEES9_SI_JZNS1_25segmented_radix_sort_implINS0_14default_configELb0EPKiPiPKlPlN2at6native12_GLOBAL__N_18offset_tEEE10hipError_tPvRmT1_PNSt15iterator_traitsIS12_E10value_typeET2_T3_PNS13_IS18_E10value_typeET4_jRbjT5_S1E_jjP12ihipStream_tbEUljE_ZNSN_ISO_Lb0ESQ_SR_ST_SU_SY_EESZ_S10_S11_S12_S16_S17_S18_S1B_S1C_jS1D_jS1E_S1E_jjS1G_bEUljE0_EEESZ_S10_S11_S18_S1C_S1E_T6_T7_T9_mT8_S1G_bDpT10_ENKUlT_T0_E_clISt17integral_constantIbLb0EES1T_IbLb1EEEEDaS1P_S1Q_EUlS1P_E_NS1_11comp_targetILNS1_3genE8ELNS1_11target_archE1030ELNS1_3gpuE2ELNS1_3repE0EEENS1_30default_config_static_selectorELNS0_4arch9wavefront6targetE0EEEvS12_.uses_flat_scratch, 0
	.set _ZN7rocprim17ROCPRIM_400000_NS6detail17trampoline_kernelINS0_13select_configILj256ELj13ELNS0_17block_load_methodE3ELS4_3ELS4_3ELNS0_20block_scan_algorithmE0ELj4294967295EEENS1_25partition_config_selectorILNS1_17partition_subalgoE4EjNS0_10empty_typeEbEEZZNS1_14partition_implILS8_4ELb0ES6_15HIP_vector_typeIjLj2EENS0_17counting_iteratorIjlEEPS9_SG_NS0_5tupleIJPjSI_NS0_16reverse_iteratorISI_EEEEENSH_IJSG_SG_SG_EEES9_SI_JZNS1_25segmented_radix_sort_implINS0_14default_configELb0EPKiPiPKlPlN2at6native12_GLOBAL__N_18offset_tEEE10hipError_tPvRmT1_PNSt15iterator_traitsIS12_E10value_typeET2_T3_PNS13_IS18_E10value_typeET4_jRbjT5_S1E_jjP12ihipStream_tbEUljE_ZNSN_ISO_Lb0ESQ_SR_ST_SU_SY_EESZ_S10_S11_S12_S16_S17_S18_S1B_S1C_jS1D_jS1E_S1E_jjS1G_bEUljE0_EEESZ_S10_S11_S18_S1C_S1E_T6_T7_T9_mT8_S1G_bDpT10_ENKUlT_T0_E_clISt17integral_constantIbLb0EES1T_IbLb1EEEEDaS1P_S1Q_EUlS1P_E_NS1_11comp_targetILNS1_3genE8ELNS1_11target_archE1030ELNS1_3gpuE2ELNS1_3repE0EEENS1_30default_config_static_selectorELNS0_4arch9wavefront6targetE0EEEvS12_.has_dyn_sized_stack, 0
	.set _ZN7rocprim17ROCPRIM_400000_NS6detail17trampoline_kernelINS0_13select_configILj256ELj13ELNS0_17block_load_methodE3ELS4_3ELS4_3ELNS0_20block_scan_algorithmE0ELj4294967295EEENS1_25partition_config_selectorILNS1_17partition_subalgoE4EjNS0_10empty_typeEbEEZZNS1_14partition_implILS8_4ELb0ES6_15HIP_vector_typeIjLj2EENS0_17counting_iteratorIjlEEPS9_SG_NS0_5tupleIJPjSI_NS0_16reverse_iteratorISI_EEEEENSH_IJSG_SG_SG_EEES9_SI_JZNS1_25segmented_radix_sort_implINS0_14default_configELb0EPKiPiPKlPlN2at6native12_GLOBAL__N_18offset_tEEE10hipError_tPvRmT1_PNSt15iterator_traitsIS12_E10value_typeET2_T3_PNS13_IS18_E10value_typeET4_jRbjT5_S1E_jjP12ihipStream_tbEUljE_ZNSN_ISO_Lb0ESQ_SR_ST_SU_SY_EESZ_S10_S11_S12_S16_S17_S18_S1B_S1C_jS1D_jS1E_S1E_jjS1G_bEUljE0_EEESZ_S10_S11_S18_S1C_S1E_T6_T7_T9_mT8_S1G_bDpT10_ENKUlT_T0_E_clISt17integral_constantIbLb0EES1T_IbLb1EEEEDaS1P_S1Q_EUlS1P_E_NS1_11comp_targetILNS1_3genE8ELNS1_11target_archE1030ELNS1_3gpuE2ELNS1_3repE0EEENS1_30default_config_static_selectorELNS0_4arch9wavefront6targetE0EEEvS12_.has_recursion, 0
	.set _ZN7rocprim17ROCPRIM_400000_NS6detail17trampoline_kernelINS0_13select_configILj256ELj13ELNS0_17block_load_methodE3ELS4_3ELS4_3ELNS0_20block_scan_algorithmE0ELj4294967295EEENS1_25partition_config_selectorILNS1_17partition_subalgoE4EjNS0_10empty_typeEbEEZZNS1_14partition_implILS8_4ELb0ES6_15HIP_vector_typeIjLj2EENS0_17counting_iteratorIjlEEPS9_SG_NS0_5tupleIJPjSI_NS0_16reverse_iteratorISI_EEEEENSH_IJSG_SG_SG_EEES9_SI_JZNS1_25segmented_radix_sort_implINS0_14default_configELb0EPKiPiPKlPlN2at6native12_GLOBAL__N_18offset_tEEE10hipError_tPvRmT1_PNSt15iterator_traitsIS12_E10value_typeET2_T3_PNS13_IS18_E10value_typeET4_jRbjT5_S1E_jjP12ihipStream_tbEUljE_ZNSN_ISO_Lb0ESQ_SR_ST_SU_SY_EESZ_S10_S11_S12_S16_S17_S18_S1B_S1C_jS1D_jS1E_S1E_jjS1G_bEUljE0_EEESZ_S10_S11_S18_S1C_S1E_T6_T7_T9_mT8_S1G_bDpT10_ENKUlT_T0_E_clISt17integral_constantIbLb0EES1T_IbLb1EEEEDaS1P_S1Q_EUlS1P_E_NS1_11comp_targetILNS1_3genE8ELNS1_11target_archE1030ELNS1_3gpuE2ELNS1_3repE0EEENS1_30default_config_static_selectorELNS0_4arch9wavefront6targetE0EEEvS12_.has_indirect_call, 0
	.section	.AMDGPU.csdata,"",@progbits
; Kernel info:
; codeLenInByte = 0
; TotalNumSgprs: 0
; NumVgprs: 0
; ScratchSize: 0
; MemoryBound: 0
; FloatMode: 240
; IeeeMode: 1
; LDSByteSize: 0 bytes/workgroup (compile time only)
; SGPRBlocks: 0
; VGPRBlocks: 0
; NumSGPRsForWavesPerEU: 1
; NumVGPRsForWavesPerEU: 1
; Occupancy: 16
; WaveLimiterHint : 0
; COMPUTE_PGM_RSRC2:SCRATCH_EN: 0
; COMPUTE_PGM_RSRC2:USER_SGPR: 2
; COMPUTE_PGM_RSRC2:TRAP_HANDLER: 0
; COMPUTE_PGM_RSRC2:TGID_X_EN: 1
; COMPUTE_PGM_RSRC2:TGID_Y_EN: 0
; COMPUTE_PGM_RSRC2:TGID_Z_EN: 0
; COMPUTE_PGM_RSRC2:TIDIG_COMP_CNT: 0
	.section	.text._ZN7rocprim17ROCPRIM_400000_NS6detail17trampoline_kernelINS0_13select_configILj256ELj13ELNS0_17block_load_methodE3ELS4_3ELS4_3ELNS0_20block_scan_algorithmE0ELj4294967295EEENS1_25partition_config_selectorILNS1_17partition_subalgoE3EjNS0_10empty_typeEbEEZZNS1_14partition_implILS8_3ELb0ES6_jNS0_17counting_iteratorIjlEEPS9_SE_NS0_5tupleIJPjSE_EEENSF_IJSE_SE_EEES9_SG_JZNS1_25segmented_radix_sort_implINS0_14default_configELb0EPKiPiPKlPlN2at6native12_GLOBAL__N_18offset_tEEE10hipError_tPvRmT1_PNSt15iterator_traitsISY_E10value_typeET2_T3_PNSZ_IS14_E10value_typeET4_jRbjT5_S1A_jjP12ihipStream_tbEUljE_EEESV_SW_SX_S14_S18_S1A_T6_T7_T9_mT8_S1C_bDpT10_ENKUlT_T0_E_clISt17integral_constantIbLb0EES1P_EEDaS1K_S1L_EUlS1K_E_NS1_11comp_targetILNS1_3genE0ELNS1_11target_archE4294967295ELNS1_3gpuE0ELNS1_3repE0EEENS1_30default_config_static_selectorELNS0_4arch9wavefront6targetE0EEEvSY_,"axG",@progbits,_ZN7rocprim17ROCPRIM_400000_NS6detail17trampoline_kernelINS0_13select_configILj256ELj13ELNS0_17block_load_methodE3ELS4_3ELS4_3ELNS0_20block_scan_algorithmE0ELj4294967295EEENS1_25partition_config_selectorILNS1_17partition_subalgoE3EjNS0_10empty_typeEbEEZZNS1_14partition_implILS8_3ELb0ES6_jNS0_17counting_iteratorIjlEEPS9_SE_NS0_5tupleIJPjSE_EEENSF_IJSE_SE_EEES9_SG_JZNS1_25segmented_radix_sort_implINS0_14default_configELb0EPKiPiPKlPlN2at6native12_GLOBAL__N_18offset_tEEE10hipError_tPvRmT1_PNSt15iterator_traitsISY_E10value_typeET2_T3_PNSZ_IS14_E10value_typeET4_jRbjT5_S1A_jjP12ihipStream_tbEUljE_EEESV_SW_SX_S14_S18_S1A_T6_T7_T9_mT8_S1C_bDpT10_ENKUlT_T0_E_clISt17integral_constantIbLb0EES1P_EEDaS1K_S1L_EUlS1K_E_NS1_11comp_targetILNS1_3genE0ELNS1_11target_archE4294967295ELNS1_3gpuE0ELNS1_3repE0EEENS1_30default_config_static_selectorELNS0_4arch9wavefront6targetE0EEEvSY_,comdat
	.globl	_ZN7rocprim17ROCPRIM_400000_NS6detail17trampoline_kernelINS0_13select_configILj256ELj13ELNS0_17block_load_methodE3ELS4_3ELS4_3ELNS0_20block_scan_algorithmE0ELj4294967295EEENS1_25partition_config_selectorILNS1_17partition_subalgoE3EjNS0_10empty_typeEbEEZZNS1_14partition_implILS8_3ELb0ES6_jNS0_17counting_iteratorIjlEEPS9_SE_NS0_5tupleIJPjSE_EEENSF_IJSE_SE_EEES9_SG_JZNS1_25segmented_radix_sort_implINS0_14default_configELb0EPKiPiPKlPlN2at6native12_GLOBAL__N_18offset_tEEE10hipError_tPvRmT1_PNSt15iterator_traitsISY_E10value_typeET2_T3_PNSZ_IS14_E10value_typeET4_jRbjT5_S1A_jjP12ihipStream_tbEUljE_EEESV_SW_SX_S14_S18_S1A_T6_T7_T9_mT8_S1C_bDpT10_ENKUlT_T0_E_clISt17integral_constantIbLb0EES1P_EEDaS1K_S1L_EUlS1K_E_NS1_11comp_targetILNS1_3genE0ELNS1_11target_archE4294967295ELNS1_3gpuE0ELNS1_3repE0EEENS1_30default_config_static_selectorELNS0_4arch9wavefront6targetE0EEEvSY_ ; -- Begin function _ZN7rocprim17ROCPRIM_400000_NS6detail17trampoline_kernelINS0_13select_configILj256ELj13ELNS0_17block_load_methodE3ELS4_3ELS4_3ELNS0_20block_scan_algorithmE0ELj4294967295EEENS1_25partition_config_selectorILNS1_17partition_subalgoE3EjNS0_10empty_typeEbEEZZNS1_14partition_implILS8_3ELb0ES6_jNS0_17counting_iteratorIjlEEPS9_SE_NS0_5tupleIJPjSE_EEENSF_IJSE_SE_EEES9_SG_JZNS1_25segmented_radix_sort_implINS0_14default_configELb0EPKiPiPKlPlN2at6native12_GLOBAL__N_18offset_tEEE10hipError_tPvRmT1_PNSt15iterator_traitsISY_E10value_typeET2_T3_PNSZ_IS14_E10value_typeET4_jRbjT5_S1A_jjP12ihipStream_tbEUljE_EEESV_SW_SX_S14_S18_S1A_T6_T7_T9_mT8_S1C_bDpT10_ENKUlT_T0_E_clISt17integral_constantIbLb0EES1P_EEDaS1K_S1L_EUlS1K_E_NS1_11comp_targetILNS1_3genE0ELNS1_11target_archE4294967295ELNS1_3gpuE0ELNS1_3repE0EEENS1_30default_config_static_selectorELNS0_4arch9wavefront6targetE0EEEvSY_
	.p2align	8
	.type	_ZN7rocprim17ROCPRIM_400000_NS6detail17trampoline_kernelINS0_13select_configILj256ELj13ELNS0_17block_load_methodE3ELS4_3ELS4_3ELNS0_20block_scan_algorithmE0ELj4294967295EEENS1_25partition_config_selectorILNS1_17partition_subalgoE3EjNS0_10empty_typeEbEEZZNS1_14partition_implILS8_3ELb0ES6_jNS0_17counting_iteratorIjlEEPS9_SE_NS0_5tupleIJPjSE_EEENSF_IJSE_SE_EEES9_SG_JZNS1_25segmented_radix_sort_implINS0_14default_configELb0EPKiPiPKlPlN2at6native12_GLOBAL__N_18offset_tEEE10hipError_tPvRmT1_PNSt15iterator_traitsISY_E10value_typeET2_T3_PNSZ_IS14_E10value_typeET4_jRbjT5_S1A_jjP12ihipStream_tbEUljE_EEESV_SW_SX_S14_S18_S1A_T6_T7_T9_mT8_S1C_bDpT10_ENKUlT_T0_E_clISt17integral_constantIbLb0EES1P_EEDaS1K_S1L_EUlS1K_E_NS1_11comp_targetILNS1_3genE0ELNS1_11target_archE4294967295ELNS1_3gpuE0ELNS1_3repE0EEENS1_30default_config_static_selectorELNS0_4arch9wavefront6targetE0EEEvSY_,@function
_ZN7rocprim17ROCPRIM_400000_NS6detail17trampoline_kernelINS0_13select_configILj256ELj13ELNS0_17block_load_methodE3ELS4_3ELS4_3ELNS0_20block_scan_algorithmE0ELj4294967295EEENS1_25partition_config_selectorILNS1_17partition_subalgoE3EjNS0_10empty_typeEbEEZZNS1_14partition_implILS8_3ELb0ES6_jNS0_17counting_iteratorIjlEEPS9_SE_NS0_5tupleIJPjSE_EEENSF_IJSE_SE_EEES9_SG_JZNS1_25segmented_radix_sort_implINS0_14default_configELb0EPKiPiPKlPlN2at6native12_GLOBAL__N_18offset_tEEE10hipError_tPvRmT1_PNSt15iterator_traitsISY_E10value_typeET2_T3_PNSZ_IS14_E10value_typeET4_jRbjT5_S1A_jjP12ihipStream_tbEUljE_EEESV_SW_SX_S14_S18_S1A_T6_T7_T9_mT8_S1C_bDpT10_ENKUlT_T0_E_clISt17integral_constantIbLb0EES1P_EEDaS1K_S1L_EUlS1K_E_NS1_11comp_targetILNS1_3genE0ELNS1_11target_archE4294967295ELNS1_3gpuE0ELNS1_3repE0EEENS1_30default_config_static_selectorELNS0_4arch9wavefront6targetE0EEEvSY_: ; @_ZN7rocprim17ROCPRIM_400000_NS6detail17trampoline_kernelINS0_13select_configILj256ELj13ELNS0_17block_load_methodE3ELS4_3ELS4_3ELNS0_20block_scan_algorithmE0ELj4294967295EEENS1_25partition_config_selectorILNS1_17partition_subalgoE3EjNS0_10empty_typeEbEEZZNS1_14partition_implILS8_3ELb0ES6_jNS0_17counting_iteratorIjlEEPS9_SE_NS0_5tupleIJPjSE_EEENSF_IJSE_SE_EEES9_SG_JZNS1_25segmented_radix_sort_implINS0_14default_configELb0EPKiPiPKlPlN2at6native12_GLOBAL__N_18offset_tEEE10hipError_tPvRmT1_PNSt15iterator_traitsISY_E10value_typeET2_T3_PNSZ_IS14_E10value_typeET4_jRbjT5_S1A_jjP12ihipStream_tbEUljE_EEESV_SW_SX_S14_S18_S1A_T6_T7_T9_mT8_S1C_bDpT10_ENKUlT_T0_E_clISt17integral_constantIbLb0EES1P_EEDaS1K_S1L_EUlS1K_E_NS1_11comp_targetILNS1_3genE0ELNS1_11target_archE4294967295ELNS1_3gpuE0ELNS1_3repE0EEENS1_30default_config_static_selectorELNS0_4arch9wavefront6targetE0EEEvSY_
; %bb.0:
	.section	.rodata,"a",@progbits
	.p2align	6, 0x0
	.amdhsa_kernel _ZN7rocprim17ROCPRIM_400000_NS6detail17trampoline_kernelINS0_13select_configILj256ELj13ELNS0_17block_load_methodE3ELS4_3ELS4_3ELNS0_20block_scan_algorithmE0ELj4294967295EEENS1_25partition_config_selectorILNS1_17partition_subalgoE3EjNS0_10empty_typeEbEEZZNS1_14partition_implILS8_3ELb0ES6_jNS0_17counting_iteratorIjlEEPS9_SE_NS0_5tupleIJPjSE_EEENSF_IJSE_SE_EEES9_SG_JZNS1_25segmented_radix_sort_implINS0_14default_configELb0EPKiPiPKlPlN2at6native12_GLOBAL__N_18offset_tEEE10hipError_tPvRmT1_PNSt15iterator_traitsISY_E10value_typeET2_T3_PNSZ_IS14_E10value_typeET4_jRbjT5_S1A_jjP12ihipStream_tbEUljE_EEESV_SW_SX_S14_S18_S1A_T6_T7_T9_mT8_S1C_bDpT10_ENKUlT_T0_E_clISt17integral_constantIbLb0EES1P_EEDaS1K_S1L_EUlS1K_E_NS1_11comp_targetILNS1_3genE0ELNS1_11target_archE4294967295ELNS1_3gpuE0ELNS1_3repE0EEENS1_30default_config_static_selectorELNS0_4arch9wavefront6targetE0EEEvSY_
		.amdhsa_group_segment_fixed_size 0
		.amdhsa_private_segment_fixed_size 0
		.amdhsa_kernarg_size 144
		.amdhsa_user_sgpr_count 2
		.amdhsa_user_sgpr_dispatch_ptr 0
		.amdhsa_user_sgpr_queue_ptr 0
		.amdhsa_user_sgpr_kernarg_segment_ptr 1
		.amdhsa_user_sgpr_dispatch_id 0
		.amdhsa_user_sgpr_private_segment_size 0
		.amdhsa_wavefront_size32 1
		.amdhsa_uses_dynamic_stack 0
		.amdhsa_enable_private_segment 0
		.amdhsa_system_sgpr_workgroup_id_x 1
		.amdhsa_system_sgpr_workgroup_id_y 0
		.amdhsa_system_sgpr_workgroup_id_z 0
		.amdhsa_system_sgpr_workgroup_info 0
		.amdhsa_system_vgpr_workitem_id 0
		.amdhsa_next_free_vgpr 1
		.amdhsa_next_free_sgpr 1
		.amdhsa_reserve_vcc 0
		.amdhsa_float_round_mode_32 0
		.amdhsa_float_round_mode_16_64 0
		.amdhsa_float_denorm_mode_32 3
		.amdhsa_float_denorm_mode_16_64 3
		.amdhsa_fp16_overflow 0
		.amdhsa_workgroup_processor_mode 1
		.amdhsa_memory_ordered 1
		.amdhsa_forward_progress 1
		.amdhsa_inst_pref_size 0
		.amdhsa_round_robin_scheduling 0
		.amdhsa_exception_fp_ieee_invalid_op 0
		.amdhsa_exception_fp_denorm_src 0
		.amdhsa_exception_fp_ieee_div_zero 0
		.amdhsa_exception_fp_ieee_overflow 0
		.amdhsa_exception_fp_ieee_underflow 0
		.amdhsa_exception_fp_ieee_inexact 0
		.amdhsa_exception_int_div_zero 0
	.end_amdhsa_kernel
	.section	.text._ZN7rocprim17ROCPRIM_400000_NS6detail17trampoline_kernelINS0_13select_configILj256ELj13ELNS0_17block_load_methodE3ELS4_3ELS4_3ELNS0_20block_scan_algorithmE0ELj4294967295EEENS1_25partition_config_selectorILNS1_17partition_subalgoE3EjNS0_10empty_typeEbEEZZNS1_14partition_implILS8_3ELb0ES6_jNS0_17counting_iteratorIjlEEPS9_SE_NS0_5tupleIJPjSE_EEENSF_IJSE_SE_EEES9_SG_JZNS1_25segmented_radix_sort_implINS0_14default_configELb0EPKiPiPKlPlN2at6native12_GLOBAL__N_18offset_tEEE10hipError_tPvRmT1_PNSt15iterator_traitsISY_E10value_typeET2_T3_PNSZ_IS14_E10value_typeET4_jRbjT5_S1A_jjP12ihipStream_tbEUljE_EEESV_SW_SX_S14_S18_S1A_T6_T7_T9_mT8_S1C_bDpT10_ENKUlT_T0_E_clISt17integral_constantIbLb0EES1P_EEDaS1K_S1L_EUlS1K_E_NS1_11comp_targetILNS1_3genE0ELNS1_11target_archE4294967295ELNS1_3gpuE0ELNS1_3repE0EEENS1_30default_config_static_selectorELNS0_4arch9wavefront6targetE0EEEvSY_,"axG",@progbits,_ZN7rocprim17ROCPRIM_400000_NS6detail17trampoline_kernelINS0_13select_configILj256ELj13ELNS0_17block_load_methodE3ELS4_3ELS4_3ELNS0_20block_scan_algorithmE0ELj4294967295EEENS1_25partition_config_selectorILNS1_17partition_subalgoE3EjNS0_10empty_typeEbEEZZNS1_14partition_implILS8_3ELb0ES6_jNS0_17counting_iteratorIjlEEPS9_SE_NS0_5tupleIJPjSE_EEENSF_IJSE_SE_EEES9_SG_JZNS1_25segmented_radix_sort_implINS0_14default_configELb0EPKiPiPKlPlN2at6native12_GLOBAL__N_18offset_tEEE10hipError_tPvRmT1_PNSt15iterator_traitsISY_E10value_typeET2_T3_PNSZ_IS14_E10value_typeET4_jRbjT5_S1A_jjP12ihipStream_tbEUljE_EEESV_SW_SX_S14_S18_S1A_T6_T7_T9_mT8_S1C_bDpT10_ENKUlT_T0_E_clISt17integral_constantIbLb0EES1P_EEDaS1K_S1L_EUlS1K_E_NS1_11comp_targetILNS1_3genE0ELNS1_11target_archE4294967295ELNS1_3gpuE0ELNS1_3repE0EEENS1_30default_config_static_selectorELNS0_4arch9wavefront6targetE0EEEvSY_,comdat
.Lfunc_end568:
	.size	_ZN7rocprim17ROCPRIM_400000_NS6detail17trampoline_kernelINS0_13select_configILj256ELj13ELNS0_17block_load_methodE3ELS4_3ELS4_3ELNS0_20block_scan_algorithmE0ELj4294967295EEENS1_25partition_config_selectorILNS1_17partition_subalgoE3EjNS0_10empty_typeEbEEZZNS1_14partition_implILS8_3ELb0ES6_jNS0_17counting_iteratorIjlEEPS9_SE_NS0_5tupleIJPjSE_EEENSF_IJSE_SE_EEES9_SG_JZNS1_25segmented_radix_sort_implINS0_14default_configELb0EPKiPiPKlPlN2at6native12_GLOBAL__N_18offset_tEEE10hipError_tPvRmT1_PNSt15iterator_traitsISY_E10value_typeET2_T3_PNSZ_IS14_E10value_typeET4_jRbjT5_S1A_jjP12ihipStream_tbEUljE_EEESV_SW_SX_S14_S18_S1A_T6_T7_T9_mT8_S1C_bDpT10_ENKUlT_T0_E_clISt17integral_constantIbLb0EES1P_EEDaS1K_S1L_EUlS1K_E_NS1_11comp_targetILNS1_3genE0ELNS1_11target_archE4294967295ELNS1_3gpuE0ELNS1_3repE0EEENS1_30default_config_static_selectorELNS0_4arch9wavefront6targetE0EEEvSY_, .Lfunc_end568-_ZN7rocprim17ROCPRIM_400000_NS6detail17trampoline_kernelINS0_13select_configILj256ELj13ELNS0_17block_load_methodE3ELS4_3ELS4_3ELNS0_20block_scan_algorithmE0ELj4294967295EEENS1_25partition_config_selectorILNS1_17partition_subalgoE3EjNS0_10empty_typeEbEEZZNS1_14partition_implILS8_3ELb0ES6_jNS0_17counting_iteratorIjlEEPS9_SE_NS0_5tupleIJPjSE_EEENSF_IJSE_SE_EEES9_SG_JZNS1_25segmented_radix_sort_implINS0_14default_configELb0EPKiPiPKlPlN2at6native12_GLOBAL__N_18offset_tEEE10hipError_tPvRmT1_PNSt15iterator_traitsISY_E10value_typeET2_T3_PNSZ_IS14_E10value_typeET4_jRbjT5_S1A_jjP12ihipStream_tbEUljE_EEESV_SW_SX_S14_S18_S1A_T6_T7_T9_mT8_S1C_bDpT10_ENKUlT_T0_E_clISt17integral_constantIbLb0EES1P_EEDaS1K_S1L_EUlS1K_E_NS1_11comp_targetILNS1_3genE0ELNS1_11target_archE4294967295ELNS1_3gpuE0ELNS1_3repE0EEENS1_30default_config_static_selectorELNS0_4arch9wavefront6targetE0EEEvSY_
                                        ; -- End function
	.set _ZN7rocprim17ROCPRIM_400000_NS6detail17trampoline_kernelINS0_13select_configILj256ELj13ELNS0_17block_load_methodE3ELS4_3ELS4_3ELNS0_20block_scan_algorithmE0ELj4294967295EEENS1_25partition_config_selectorILNS1_17partition_subalgoE3EjNS0_10empty_typeEbEEZZNS1_14partition_implILS8_3ELb0ES6_jNS0_17counting_iteratorIjlEEPS9_SE_NS0_5tupleIJPjSE_EEENSF_IJSE_SE_EEES9_SG_JZNS1_25segmented_radix_sort_implINS0_14default_configELb0EPKiPiPKlPlN2at6native12_GLOBAL__N_18offset_tEEE10hipError_tPvRmT1_PNSt15iterator_traitsISY_E10value_typeET2_T3_PNSZ_IS14_E10value_typeET4_jRbjT5_S1A_jjP12ihipStream_tbEUljE_EEESV_SW_SX_S14_S18_S1A_T6_T7_T9_mT8_S1C_bDpT10_ENKUlT_T0_E_clISt17integral_constantIbLb0EES1P_EEDaS1K_S1L_EUlS1K_E_NS1_11comp_targetILNS1_3genE0ELNS1_11target_archE4294967295ELNS1_3gpuE0ELNS1_3repE0EEENS1_30default_config_static_selectorELNS0_4arch9wavefront6targetE0EEEvSY_.num_vgpr, 0
	.set _ZN7rocprim17ROCPRIM_400000_NS6detail17trampoline_kernelINS0_13select_configILj256ELj13ELNS0_17block_load_methodE3ELS4_3ELS4_3ELNS0_20block_scan_algorithmE0ELj4294967295EEENS1_25partition_config_selectorILNS1_17partition_subalgoE3EjNS0_10empty_typeEbEEZZNS1_14partition_implILS8_3ELb0ES6_jNS0_17counting_iteratorIjlEEPS9_SE_NS0_5tupleIJPjSE_EEENSF_IJSE_SE_EEES9_SG_JZNS1_25segmented_radix_sort_implINS0_14default_configELb0EPKiPiPKlPlN2at6native12_GLOBAL__N_18offset_tEEE10hipError_tPvRmT1_PNSt15iterator_traitsISY_E10value_typeET2_T3_PNSZ_IS14_E10value_typeET4_jRbjT5_S1A_jjP12ihipStream_tbEUljE_EEESV_SW_SX_S14_S18_S1A_T6_T7_T9_mT8_S1C_bDpT10_ENKUlT_T0_E_clISt17integral_constantIbLb0EES1P_EEDaS1K_S1L_EUlS1K_E_NS1_11comp_targetILNS1_3genE0ELNS1_11target_archE4294967295ELNS1_3gpuE0ELNS1_3repE0EEENS1_30default_config_static_selectorELNS0_4arch9wavefront6targetE0EEEvSY_.num_agpr, 0
	.set _ZN7rocprim17ROCPRIM_400000_NS6detail17trampoline_kernelINS0_13select_configILj256ELj13ELNS0_17block_load_methodE3ELS4_3ELS4_3ELNS0_20block_scan_algorithmE0ELj4294967295EEENS1_25partition_config_selectorILNS1_17partition_subalgoE3EjNS0_10empty_typeEbEEZZNS1_14partition_implILS8_3ELb0ES6_jNS0_17counting_iteratorIjlEEPS9_SE_NS0_5tupleIJPjSE_EEENSF_IJSE_SE_EEES9_SG_JZNS1_25segmented_radix_sort_implINS0_14default_configELb0EPKiPiPKlPlN2at6native12_GLOBAL__N_18offset_tEEE10hipError_tPvRmT1_PNSt15iterator_traitsISY_E10value_typeET2_T3_PNSZ_IS14_E10value_typeET4_jRbjT5_S1A_jjP12ihipStream_tbEUljE_EEESV_SW_SX_S14_S18_S1A_T6_T7_T9_mT8_S1C_bDpT10_ENKUlT_T0_E_clISt17integral_constantIbLb0EES1P_EEDaS1K_S1L_EUlS1K_E_NS1_11comp_targetILNS1_3genE0ELNS1_11target_archE4294967295ELNS1_3gpuE0ELNS1_3repE0EEENS1_30default_config_static_selectorELNS0_4arch9wavefront6targetE0EEEvSY_.numbered_sgpr, 0
	.set _ZN7rocprim17ROCPRIM_400000_NS6detail17trampoline_kernelINS0_13select_configILj256ELj13ELNS0_17block_load_methodE3ELS4_3ELS4_3ELNS0_20block_scan_algorithmE0ELj4294967295EEENS1_25partition_config_selectorILNS1_17partition_subalgoE3EjNS0_10empty_typeEbEEZZNS1_14partition_implILS8_3ELb0ES6_jNS0_17counting_iteratorIjlEEPS9_SE_NS0_5tupleIJPjSE_EEENSF_IJSE_SE_EEES9_SG_JZNS1_25segmented_radix_sort_implINS0_14default_configELb0EPKiPiPKlPlN2at6native12_GLOBAL__N_18offset_tEEE10hipError_tPvRmT1_PNSt15iterator_traitsISY_E10value_typeET2_T3_PNSZ_IS14_E10value_typeET4_jRbjT5_S1A_jjP12ihipStream_tbEUljE_EEESV_SW_SX_S14_S18_S1A_T6_T7_T9_mT8_S1C_bDpT10_ENKUlT_T0_E_clISt17integral_constantIbLb0EES1P_EEDaS1K_S1L_EUlS1K_E_NS1_11comp_targetILNS1_3genE0ELNS1_11target_archE4294967295ELNS1_3gpuE0ELNS1_3repE0EEENS1_30default_config_static_selectorELNS0_4arch9wavefront6targetE0EEEvSY_.num_named_barrier, 0
	.set _ZN7rocprim17ROCPRIM_400000_NS6detail17trampoline_kernelINS0_13select_configILj256ELj13ELNS0_17block_load_methodE3ELS4_3ELS4_3ELNS0_20block_scan_algorithmE0ELj4294967295EEENS1_25partition_config_selectorILNS1_17partition_subalgoE3EjNS0_10empty_typeEbEEZZNS1_14partition_implILS8_3ELb0ES6_jNS0_17counting_iteratorIjlEEPS9_SE_NS0_5tupleIJPjSE_EEENSF_IJSE_SE_EEES9_SG_JZNS1_25segmented_radix_sort_implINS0_14default_configELb0EPKiPiPKlPlN2at6native12_GLOBAL__N_18offset_tEEE10hipError_tPvRmT1_PNSt15iterator_traitsISY_E10value_typeET2_T3_PNSZ_IS14_E10value_typeET4_jRbjT5_S1A_jjP12ihipStream_tbEUljE_EEESV_SW_SX_S14_S18_S1A_T6_T7_T9_mT8_S1C_bDpT10_ENKUlT_T0_E_clISt17integral_constantIbLb0EES1P_EEDaS1K_S1L_EUlS1K_E_NS1_11comp_targetILNS1_3genE0ELNS1_11target_archE4294967295ELNS1_3gpuE0ELNS1_3repE0EEENS1_30default_config_static_selectorELNS0_4arch9wavefront6targetE0EEEvSY_.private_seg_size, 0
	.set _ZN7rocprim17ROCPRIM_400000_NS6detail17trampoline_kernelINS0_13select_configILj256ELj13ELNS0_17block_load_methodE3ELS4_3ELS4_3ELNS0_20block_scan_algorithmE0ELj4294967295EEENS1_25partition_config_selectorILNS1_17partition_subalgoE3EjNS0_10empty_typeEbEEZZNS1_14partition_implILS8_3ELb0ES6_jNS0_17counting_iteratorIjlEEPS9_SE_NS0_5tupleIJPjSE_EEENSF_IJSE_SE_EEES9_SG_JZNS1_25segmented_radix_sort_implINS0_14default_configELb0EPKiPiPKlPlN2at6native12_GLOBAL__N_18offset_tEEE10hipError_tPvRmT1_PNSt15iterator_traitsISY_E10value_typeET2_T3_PNSZ_IS14_E10value_typeET4_jRbjT5_S1A_jjP12ihipStream_tbEUljE_EEESV_SW_SX_S14_S18_S1A_T6_T7_T9_mT8_S1C_bDpT10_ENKUlT_T0_E_clISt17integral_constantIbLb0EES1P_EEDaS1K_S1L_EUlS1K_E_NS1_11comp_targetILNS1_3genE0ELNS1_11target_archE4294967295ELNS1_3gpuE0ELNS1_3repE0EEENS1_30default_config_static_selectorELNS0_4arch9wavefront6targetE0EEEvSY_.uses_vcc, 0
	.set _ZN7rocprim17ROCPRIM_400000_NS6detail17trampoline_kernelINS0_13select_configILj256ELj13ELNS0_17block_load_methodE3ELS4_3ELS4_3ELNS0_20block_scan_algorithmE0ELj4294967295EEENS1_25partition_config_selectorILNS1_17partition_subalgoE3EjNS0_10empty_typeEbEEZZNS1_14partition_implILS8_3ELb0ES6_jNS0_17counting_iteratorIjlEEPS9_SE_NS0_5tupleIJPjSE_EEENSF_IJSE_SE_EEES9_SG_JZNS1_25segmented_radix_sort_implINS0_14default_configELb0EPKiPiPKlPlN2at6native12_GLOBAL__N_18offset_tEEE10hipError_tPvRmT1_PNSt15iterator_traitsISY_E10value_typeET2_T3_PNSZ_IS14_E10value_typeET4_jRbjT5_S1A_jjP12ihipStream_tbEUljE_EEESV_SW_SX_S14_S18_S1A_T6_T7_T9_mT8_S1C_bDpT10_ENKUlT_T0_E_clISt17integral_constantIbLb0EES1P_EEDaS1K_S1L_EUlS1K_E_NS1_11comp_targetILNS1_3genE0ELNS1_11target_archE4294967295ELNS1_3gpuE0ELNS1_3repE0EEENS1_30default_config_static_selectorELNS0_4arch9wavefront6targetE0EEEvSY_.uses_flat_scratch, 0
	.set _ZN7rocprim17ROCPRIM_400000_NS6detail17trampoline_kernelINS0_13select_configILj256ELj13ELNS0_17block_load_methodE3ELS4_3ELS4_3ELNS0_20block_scan_algorithmE0ELj4294967295EEENS1_25partition_config_selectorILNS1_17partition_subalgoE3EjNS0_10empty_typeEbEEZZNS1_14partition_implILS8_3ELb0ES6_jNS0_17counting_iteratorIjlEEPS9_SE_NS0_5tupleIJPjSE_EEENSF_IJSE_SE_EEES9_SG_JZNS1_25segmented_radix_sort_implINS0_14default_configELb0EPKiPiPKlPlN2at6native12_GLOBAL__N_18offset_tEEE10hipError_tPvRmT1_PNSt15iterator_traitsISY_E10value_typeET2_T3_PNSZ_IS14_E10value_typeET4_jRbjT5_S1A_jjP12ihipStream_tbEUljE_EEESV_SW_SX_S14_S18_S1A_T6_T7_T9_mT8_S1C_bDpT10_ENKUlT_T0_E_clISt17integral_constantIbLb0EES1P_EEDaS1K_S1L_EUlS1K_E_NS1_11comp_targetILNS1_3genE0ELNS1_11target_archE4294967295ELNS1_3gpuE0ELNS1_3repE0EEENS1_30default_config_static_selectorELNS0_4arch9wavefront6targetE0EEEvSY_.has_dyn_sized_stack, 0
	.set _ZN7rocprim17ROCPRIM_400000_NS6detail17trampoline_kernelINS0_13select_configILj256ELj13ELNS0_17block_load_methodE3ELS4_3ELS4_3ELNS0_20block_scan_algorithmE0ELj4294967295EEENS1_25partition_config_selectorILNS1_17partition_subalgoE3EjNS0_10empty_typeEbEEZZNS1_14partition_implILS8_3ELb0ES6_jNS0_17counting_iteratorIjlEEPS9_SE_NS0_5tupleIJPjSE_EEENSF_IJSE_SE_EEES9_SG_JZNS1_25segmented_radix_sort_implINS0_14default_configELb0EPKiPiPKlPlN2at6native12_GLOBAL__N_18offset_tEEE10hipError_tPvRmT1_PNSt15iterator_traitsISY_E10value_typeET2_T3_PNSZ_IS14_E10value_typeET4_jRbjT5_S1A_jjP12ihipStream_tbEUljE_EEESV_SW_SX_S14_S18_S1A_T6_T7_T9_mT8_S1C_bDpT10_ENKUlT_T0_E_clISt17integral_constantIbLb0EES1P_EEDaS1K_S1L_EUlS1K_E_NS1_11comp_targetILNS1_3genE0ELNS1_11target_archE4294967295ELNS1_3gpuE0ELNS1_3repE0EEENS1_30default_config_static_selectorELNS0_4arch9wavefront6targetE0EEEvSY_.has_recursion, 0
	.set _ZN7rocprim17ROCPRIM_400000_NS6detail17trampoline_kernelINS0_13select_configILj256ELj13ELNS0_17block_load_methodE3ELS4_3ELS4_3ELNS0_20block_scan_algorithmE0ELj4294967295EEENS1_25partition_config_selectorILNS1_17partition_subalgoE3EjNS0_10empty_typeEbEEZZNS1_14partition_implILS8_3ELb0ES6_jNS0_17counting_iteratorIjlEEPS9_SE_NS0_5tupleIJPjSE_EEENSF_IJSE_SE_EEES9_SG_JZNS1_25segmented_radix_sort_implINS0_14default_configELb0EPKiPiPKlPlN2at6native12_GLOBAL__N_18offset_tEEE10hipError_tPvRmT1_PNSt15iterator_traitsISY_E10value_typeET2_T3_PNSZ_IS14_E10value_typeET4_jRbjT5_S1A_jjP12ihipStream_tbEUljE_EEESV_SW_SX_S14_S18_S1A_T6_T7_T9_mT8_S1C_bDpT10_ENKUlT_T0_E_clISt17integral_constantIbLb0EES1P_EEDaS1K_S1L_EUlS1K_E_NS1_11comp_targetILNS1_3genE0ELNS1_11target_archE4294967295ELNS1_3gpuE0ELNS1_3repE0EEENS1_30default_config_static_selectorELNS0_4arch9wavefront6targetE0EEEvSY_.has_indirect_call, 0
	.section	.AMDGPU.csdata,"",@progbits
; Kernel info:
; codeLenInByte = 0
; TotalNumSgprs: 0
; NumVgprs: 0
; ScratchSize: 0
; MemoryBound: 0
; FloatMode: 240
; IeeeMode: 1
; LDSByteSize: 0 bytes/workgroup (compile time only)
; SGPRBlocks: 0
; VGPRBlocks: 0
; NumSGPRsForWavesPerEU: 1
; NumVGPRsForWavesPerEU: 1
; Occupancy: 16
; WaveLimiterHint : 0
; COMPUTE_PGM_RSRC2:SCRATCH_EN: 0
; COMPUTE_PGM_RSRC2:USER_SGPR: 2
; COMPUTE_PGM_RSRC2:TRAP_HANDLER: 0
; COMPUTE_PGM_RSRC2:TGID_X_EN: 1
; COMPUTE_PGM_RSRC2:TGID_Y_EN: 0
; COMPUTE_PGM_RSRC2:TGID_Z_EN: 0
; COMPUTE_PGM_RSRC2:TIDIG_COMP_CNT: 0
	.section	.text._ZN7rocprim17ROCPRIM_400000_NS6detail17trampoline_kernelINS0_13select_configILj256ELj13ELNS0_17block_load_methodE3ELS4_3ELS4_3ELNS0_20block_scan_algorithmE0ELj4294967295EEENS1_25partition_config_selectorILNS1_17partition_subalgoE3EjNS0_10empty_typeEbEEZZNS1_14partition_implILS8_3ELb0ES6_jNS0_17counting_iteratorIjlEEPS9_SE_NS0_5tupleIJPjSE_EEENSF_IJSE_SE_EEES9_SG_JZNS1_25segmented_radix_sort_implINS0_14default_configELb0EPKiPiPKlPlN2at6native12_GLOBAL__N_18offset_tEEE10hipError_tPvRmT1_PNSt15iterator_traitsISY_E10value_typeET2_T3_PNSZ_IS14_E10value_typeET4_jRbjT5_S1A_jjP12ihipStream_tbEUljE_EEESV_SW_SX_S14_S18_S1A_T6_T7_T9_mT8_S1C_bDpT10_ENKUlT_T0_E_clISt17integral_constantIbLb0EES1P_EEDaS1K_S1L_EUlS1K_E_NS1_11comp_targetILNS1_3genE5ELNS1_11target_archE942ELNS1_3gpuE9ELNS1_3repE0EEENS1_30default_config_static_selectorELNS0_4arch9wavefront6targetE0EEEvSY_,"axG",@progbits,_ZN7rocprim17ROCPRIM_400000_NS6detail17trampoline_kernelINS0_13select_configILj256ELj13ELNS0_17block_load_methodE3ELS4_3ELS4_3ELNS0_20block_scan_algorithmE0ELj4294967295EEENS1_25partition_config_selectorILNS1_17partition_subalgoE3EjNS0_10empty_typeEbEEZZNS1_14partition_implILS8_3ELb0ES6_jNS0_17counting_iteratorIjlEEPS9_SE_NS0_5tupleIJPjSE_EEENSF_IJSE_SE_EEES9_SG_JZNS1_25segmented_radix_sort_implINS0_14default_configELb0EPKiPiPKlPlN2at6native12_GLOBAL__N_18offset_tEEE10hipError_tPvRmT1_PNSt15iterator_traitsISY_E10value_typeET2_T3_PNSZ_IS14_E10value_typeET4_jRbjT5_S1A_jjP12ihipStream_tbEUljE_EEESV_SW_SX_S14_S18_S1A_T6_T7_T9_mT8_S1C_bDpT10_ENKUlT_T0_E_clISt17integral_constantIbLb0EES1P_EEDaS1K_S1L_EUlS1K_E_NS1_11comp_targetILNS1_3genE5ELNS1_11target_archE942ELNS1_3gpuE9ELNS1_3repE0EEENS1_30default_config_static_selectorELNS0_4arch9wavefront6targetE0EEEvSY_,comdat
	.globl	_ZN7rocprim17ROCPRIM_400000_NS6detail17trampoline_kernelINS0_13select_configILj256ELj13ELNS0_17block_load_methodE3ELS4_3ELS4_3ELNS0_20block_scan_algorithmE0ELj4294967295EEENS1_25partition_config_selectorILNS1_17partition_subalgoE3EjNS0_10empty_typeEbEEZZNS1_14partition_implILS8_3ELb0ES6_jNS0_17counting_iteratorIjlEEPS9_SE_NS0_5tupleIJPjSE_EEENSF_IJSE_SE_EEES9_SG_JZNS1_25segmented_radix_sort_implINS0_14default_configELb0EPKiPiPKlPlN2at6native12_GLOBAL__N_18offset_tEEE10hipError_tPvRmT1_PNSt15iterator_traitsISY_E10value_typeET2_T3_PNSZ_IS14_E10value_typeET4_jRbjT5_S1A_jjP12ihipStream_tbEUljE_EEESV_SW_SX_S14_S18_S1A_T6_T7_T9_mT8_S1C_bDpT10_ENKUlT_T0_E_clISt17integral_constantIbLb0EES1P_EEDaS1K_S1L_EUlS1K_E_NS1_11comp_targetILNS1_3genE5ELNS1_11target_archE942ELNS1_3gpuE9ELNS1_3repE0EEENS1_30default_config_static_selectorELNS0_4arch9wavefront6targetE0EEEvSY_ ; -- Begin function _ZN7rocprim17ROCPRIM_400000_NS6detail17trampoline_kernelINS0_13select_configILj256ELj13ELNS0_17block_load_methodE3ELS4_3ELS4_3ELNS0_20block_scan_algorithmE0ELj4294967295EEENS1_25partition_config_selectorILNS1_17partition_subalgoE3EjNS0_10empty_typeEbEEZZNS1_14partition_implILS8_3ELb0ES6_jNS0_17counting_iteratorIjlEEPS9_SE_NS0_5tupleIJPjSE_EEENSF_IJSE_SE_EEES9_SG_JZNS1_25segmented_radix_sort_implINS0_14default_configELb0EPKiPiPKlPlN2at6native12_GLOBAL__N_18offset_tEEE10hipError_tPvRmT1_PNSt15iterator_traitsISY_E10value_typeET2_T3_PNSZ_IS14_E10value_typeET4_jRbjT5_S1A_jjP12ihipStream_tbEUljE_EEESV_SW_SX_S14_S18_S1A_T6_T7_T9_mT8_S1C_bDpT10_ENKUlT_T0_E_clISt17integral_constantIbLb0EES1P_EEDaS1K_S1L_EUlS1K_E_NS1_11comp_targetILNS1_3genE5ELNS1_11target_archE942ELNS1_3gpuE9ELNS1_3repE0EEENS1_30default_config_static_selectorELNS0_4arch9wavefront6targetE0EEEvSY_
	.p2align	8
	.type	_ZN7rocprim17ROCPRIM_400000_NS6detail17trampoline_kernelINS0_13select_configILj256ELj13ELNS0_17block_load_methodE3ELS4_3ELS4_3ELNS0_20block_scan_algorithmE0ELj4294967295EEENS1_25partition_config_selectorILNS1_17partition_subalgoE3EjNS0_10empty_typeEbEEZZNS1_14partition_implILS8_3ELb0ES6_jNS0_17counting_iteratorIjlEEPS9_SE_NS0_5tupleIJPjSE_EEENSF_IJSE_SE_EEES9_SG_JZNS1_25segmented_radix_sort_implINS0_14default_configELb0EPKiPiPKlPlN2at6native12_GLOBAL__N_18offset_tEEE10hipError_tPvRmT1_PNSt15iterator_traitsISY_E10value_typeET2_T3_PNSZ_IS14_E10value_typeET4_jRbjT5_S1A_jjP12ihipStream_tbEUljE_EEESV_SW_SX_S14_S18_S1A_T6_T7_T9_mT8_S1C_bDpT10_ENKUlT_T0_E_clISt17integral_constantIbLb0EES1P_EEDaS1K_S1L_EUlS1K_E_NS1_11comp_targetILNS1_3genE5ELNS1_11target_archE942ELNS1_3gpuE9ELNS1_3repE0EEENS1_30default_config_static_selectorELNS0_4arch9wavefront6targetE0EEEvSY_,@function
_ZN7rocprim17ROCPRIM_400000_NS6detail17trampoline_kernelINS0_13select_configILj256ELj13ELNS0_17block_load_methodE3ELS4_3ELS4_3ELNS0_20block_scan_algorithmE0ELj4294967295EEENS1_25partition_config_selectorILNS1_17partition_subalgoE3EjNS0_10empty_typeEbEEZZNS1_14partition_implILS8_3ELb0ES6_jNS0_17counting_iteratorIjlEEPS9_SE_NS0_5tupleIJPjSE_EEENSF_IJSE_SE_EEES9_SG_JZNS1_25segmented_radix_sort_implINS0_14default_configELb0EPKiPiPKlPlN2at6native12_GLOBAL__N_18offset_tEEE10hipError_tPvRmT1_PNSt15iterator_traitsISY_E10value_typeET2_T3_PNSZ_IS14_E10value_typeET4_jRbjT5_S1A_jjP12ihipStream_tbEUljE_EEESV_SW_SX_S14_S18_S1A_T6_T7_T9_mT8_S1C_bDpT10_ENKUlT_T0_E_clISt17integral_constantIbLb0EES1P_EEDaS1K_S1L_EUlS1K_E_NS1_11comp_targetILNS1_3genE5ELNS1_11target_archE942ELNS1_3gpuE9ELNS1_3repE0EEENS1_30default_config_static_selectorELNS0_4arch9wavefront6targetE0EEEvSY_: ; @_ZN7rocprim17ROCPRIM_400000_NS6detail17trampoline_kernelINS0_13select_configILj256ELj13ELNS0_17block_load_methodE3ELS4_3ELS4_3ELNS0_20block_scan_algorithmE0ELj4294967295EEENS1_25partition_config_selectorILNS1_17partition_subalgoE3EjNS0_10empty_typeEbEEZZNS1_14partition_implILS8_3ELb0ES6_jNS0_17counting_iteratorIjlEEPS9_SE_NS0_5tupleIJPjSE_EEENSF_IJSE_SE_EEES9_SG_JZNS1_25segmented_radix_sort_implINS0_14default_configELb0EPKiPiPKlPlN2at6native12_GLOBAL__N_18offset_tEEE10hipError_tPvRmT1_PNSt15iterator_traitsISY_E10value_typeET2_T3_PNSZ_IS14_E10value_typeET4_jRbjT5_S1A_jjP12ihipStream_tbEUljE_EEESV_SW_SX_S14_S18_S1A_T6_T7_T9_mT8_S1C_bDpT10_ENKUlT_T0_E_clISt17integral_constantIbLb0EES1P_EEDaS1K_S1L_EUlS1K_E_NS1_11comp_targetILNS1_3genE5ELNS1_11target_archE942ELNS1_3gpuE9ELNS1_3repE0EEENS1_30default_config_static_selectorELNS0_4arch9wavefront6targetE0EEEvSY_
; %bb.0:
	.section	.rodata,"a",@progbits
	.p2align	6, 0x0
	.amdhsa_kernel _ZN7rocprim17ROCPRIM_400000_NS6detail17trampoline_kernelINS0_13select_configILj256ELj13ELNS0_17block_load_methodE3ELS4_3ELS4_3ELNS0_20block_scan_algorithmE0ELj4294967295EEENS1_25partition_config_selectorILNS1_17partition_subalgoE3EjNS0_10empty_typeEbEEZZNS1_14partition_implILS8_3ELb0ES6_jNS0_17counting_iteratorIjlEEPS9_SE_NS0_5tupleIJPjSE_EEENSF_IJSE_SE_EEES9_SG_JZNS1_25segmented_radix_sort_implINS0_14default_configELb0EPKiPiPKlPlN2at6native12_GLOBAL__N_18offset_tEEE10hipError_tPvRmT1_PNSt15iterator_traitsISY_E10value_typeET2_T3_PNSZ_IS14_E10value_typeET4_jRbjT5_S1A_jjP12ihipStream_tbEUljE_EEESV_SW_SX_S14_S18_S1A_T6_T7_T9_mT8_S1C_bDpT10_ENKUlT_T0_E_clISt17integral_constantIbLb0EES1P_EEDaS1K_S1L_EUlS1K_E_NS1_11comp_targetILNS1_3genE5ELNS1_11target_archE942ELNS1_3gpuE9ELNS1_3repE0EEENS1_30default_config_static_selectorELNS0_4arch9wavefront6targetE0EEEvSY_
		.amdhsa_group_segment_fixed_size 0
		.amdhsa_private_segment_fixed_size 0
		.amdhsa_kernarg_size 144
		.amdhsa_user_sgpr_count 2
		.amdhsa_user_sgpr_dispatch_ptr 0
		.amdhsa_user_sgpr_queue_ptr 0
		.amdhsa_user_sgpr_kernarg_segment_ptr 1
		.amdhsa_user_sgpr_dispatch_id 0
		.amdhsa_user_sgpr_private_segment_size 0
		.amdhsa_wavefront_size32 1
		.amdhsa_uses_dynamic_stack 0
		.amdhsa_enable_private_segment 0
		.amdhsa_system_sgpr_workgroup_id_x 1
		.amdhsa_system_sgpr_workgroup_id_y 0
		.amdhsa_system_sgpr_workgroup_id_z 0
		.amdhsa_system_sgpr_workgroup_info 0
		.amdhsa_system_vgpr_workitem_id 0
		.amdhsa_next_free_vgpr 1
		.amdhsa_next_free_sgpr 1
		.amdhsa_reserve_vcc 0
		.amdhsa_float_round_mode_32 0
		.amdhsa_float_round_mode_16_64 0
		.amdhsa_float_denorm_mode_32 3
		.amdhsa_float_denorm_mode_16_64 3
		.amdhsa_fp16_overflow 0
		.amdhsa_workgroup_processor_mode 1
		.amdhsa_memory_ordered 1
		.amdhsa_forward_progress 1
		.amdhsa_inst_pref_size 0
		.amdhsa_round_robin_scheduling 0
		.amdhsa_exception_fp_ieee_invalid_op 0
		.amdhsa_exception_fp_denorm_src 0
		.amdhsa_exception_fp_ieee_div_zero 0
		.amdhsa_exception_fp_ieee_overflow 0
		.amdhsa_exception_fp_ieee_underflow 0
		.amdhsa_exception_fp_ieee_inexact 0
		.amdhsa_exception_int_div_zero 0
	.end_amdhsa_kernel
	.section	.text._ZN7rocprim17ROCPRIM_400000_NS6detail17trampoline_kernelINS0_13select_configILj256ELj13ELNS0_17block_load_methodE3ELS4_3ELS4_3ELNS0_20block_scan_algorithmE0ELj4294967295EEENS1_25partition_config_selectorILNS1_17partition_subalgoE3EjNS0_10empty_typeEbEEZZNS1_14partition_implILS8_3ELb0ES6_jNS0_17counting_iteratorIjlEEPS9_SE_NS0_5tupleIJPjSE_EEENSF_IJSE_SE_EEES9_SG_JZNS1_25segmented_radix_sort_implINS0_14default_configELb0EPKiPiPKlPlN2at6native12_GLOBAL__N_18offset_tEEE10hipError_tPvRmT1_PNSt15iterator_traitsISY_E10value_typeET2_T3_PNSZ_IS14_E10value_typeET4_jRbjT5_S1A_jjP12ihipStream_tbEUljE_EEESV_SW_SX_S14_S18_S1A_T6_T7_T9_mT8_S1C_bDpT10_ENKUlT_T0_E_clISt17integral_constantIbLb0EES1P_EEDaS1K_S1L_EUlS1K_E_NS1_11comp_targetILNS1_3genE5ELNS1_11target_archE942ELNS1_3gpuE9ELNS1_3repE0EEENS1_30default_config_static_selectorELNS0_4arch9wavefront6targetE0EEEvSY_,"axG",@progbits,_ZN7rocprim17ROCPRIM_400000_NS6detail17trampoline_kernelINS0_13select_configILj256ELj13ELNS0_17block_load_methodE3ELS4_3ELS4_3ELNS0_20block_scan_algorithmE0ELj4294967295EEENS1_25partition_config_selectorILNS1_17partition_subalgoE3EjNS0_10empty_typeEbEEZZNS1_14partition_implILS8_3ELb0ES6_jNS0_17counting_iteratorIjlEEPS9_SE_NS0_5tupleIJPjSE_EEENSF_IJSE_SE_EEES9_SG_JZNS1_25segmented_radix_sort_implINS0_14default_configELb0EPKiPiPKlPlN2at6native12_GLOBAL__N_18offset_tEEE10hipError_tPvRmT1_PNSt15iterator_traitsISY_E10value_typeET2_T3_PNSZ_IS14_E10value_typeET4_jRbjT5_S1A_jjP12ihipStream_tbEUljE_EEESV_SW_SX_S14_S18_S1A_T6_T7_T9_mT8_S1C_bDpT10_ENKUlT_T0_E_clISt17integral_constantIbLb0EES1P_EEDaS1K_S1L_EUlS1K_E_NS1_11comp_targetILNS1_3genE5ELNS1_11target_archE942ELNS1_3gpuE9ELNS1_3repE0EEENS1_30default_config_static_selectorELNS0_4arch9wavefront6targetE0EEEvSY_,comdat
.Lfunc_end569:
	.size	_ZN7rocprim17ROCPRIM_400000_NS6detail17trampoline_kernelINS0_13select_configILj256ELj13ELNS0_17block_load_methodE3ELS4_3ELS4_3ELNS0_20block_scan_algorithmE0ELj4294967295EEENS1_25partition_config_selectorILNS1_17partition_subalgoE3EjNS0_10empty_typeEbEEZZNS1_14partition_implILS8_3ELb0ES6_jNS0_17counting_iteratorIjlEEPS9_SE_NS0_5tupleIJPjSE_EEENSF_IJSE_SE_EEES9_SG_JZNS1_25segmented_radix_sort_implINS0_14default_configELb0EPKiPiPKlPlN2at6native12_GLOBAL__N_18offset_tEEE10hipError_tPvRmT1_PNSt15iterator_traitsISY_E10value_typeET2_T3_PNSZ_IS14_E10value_typeET4_jRbjT5_S1A_jjP12ihipStream_tbEUljE_EEESV_SW_SX_S14_S18_S1A_T6_T7_T9_mT8_S1C_bDpT10_ENKUlT_T0_E_clISt17integral_constantIbLb0EES1P_EEDaS1K_S1L_EUlS1K_E_NS1_11comp_targetILNS1_3genE5ELNS1_11target_archE942ELNS1_3gpuE9ELNS1_3repE0EEENS1_30default_config_static_selectorELNS0_4arch9wavefront6targetE0EEEvSY_, .Lfunc_end569-_ZN7rocprim17ROCPRIM_400000_NS6detail17trampoline_kernelINS0_13select_configILj256ELj13ELNS0_17block_load_methodE3ELS4_3ELS4_3ELNS0_20block_scan_algorithmE0ELj4294967295EEENS1_25partition_config_selectorILNS1_17partition_subalgoE3EjNS0_10empty_typeEbEEZZNS1_14partition_implILS8_3ELb0ES6_jNS0_17counting_iteratorIjlEEPS9_SE_NS0_5tupleIJPjSE_EEENSF_IJSE_SE_EEES9_SG_JZNS1_25segmented_radix_sort_implINS0_14default_configELb0EPKiPiPKlPlN2at6native12_GLOBAL__N_18offset_tEEE10hipError_tPvRmT1_PNSt15iterator_traitsISY_E10value_typeET2_T3_PNSZ_IS14_E10value_typeET4_jRbjT5_S1A_jjP12ihipStream_tbEUljE_EEESV_SW_SX_S14_S18_S1A_T6_T7_T9_mT8_S1C_bDpT10_ENKUlT_T0_E_clISt17integral_constantIbLb0EES1P_EEDaS1K_S1L_EUlS1K_E_NS1_11comp_targetILNS1_3genE5ELNS1_11target_archE942ELNS1_3gpuE9ELNS1_3repE0EEENS1_30default_config_static_selectorELNS0_4arch9wavefront6targetE0EEEvSY_
                                        ; -- End function
	.set _ZN7rocprim17ROCPRIM_400000_NS6detail17trampoline_kernelINS0_13select_configILj256ELj13ELNS0_17block_load_methodE3ELS4_3ELS4_3ELNS0_20block_scan_algorithmE0ELj4294967295EEENS1_25partition_config_selectorILNS1_17partition_subalgoE3EjNS0_10empty_typeEbEEZZNS1_14partition_implILS8_3ELb0ES6_jNS0_17counting_iteratorIjlEEPS9_SE_NS0_5tupleIJPjSE_EEENSF_IJSE_SE_EEES9_SG_JZNS1_25segmented_radix_sort_implINS0_14default_configELb0EPKiPiPKlPlN2at6native12_GLOBAL__N_18offset_tEEE10hipError_tPvRmT1_PNSt15iterator_traitsISY_E10value_typeET2_T3_PNSZ_IS14_E10value_typeET4_jRbjT5_S1A_jjP12ihipStream_tbEUljE_EEESV_SW_SX_S14_S18_S1A_T6_T7_T9_mT8_S1C_bDpT10_ENKUlT_T0_E_clISt17integral_constantIbLb0EES1P_EEDaS1K_S1L_EUlS1K_E_NS1_11comp_targetILNS1_3genE5ELNS1_11target_archE942ELNS1_3gpuE9ELNS1_3repE0EEENS1_30default_config_static_selectorELNS0_4arch9wavefront6targetE0EEEvSY_.num_vgpr, 0
	.set _ZN7rocprim17ROCPRIM_400000_NS6detail17trampoline_kernelINS0_13select_configILj256ELj13ELNS0_17block_load_methodE3ELS4_3ELS4_3ELNS0_20block_scan_algorithmE0ELj4294967295EEENS1_25partition_config_selectorILNS1_17partition_subalgoE3EjNS0_10empty_typeEbEEZZNS1_14partition_implILS8_3ELb0ES6_jNS0_17counting_iteratorIjlEEPS9_SE_NS0_5tupleIJPjSE_EEENSF_IJSE_SE_EEES9_SG_JZNS1_25segmented_radix_sort_implINS0_14default_configELb0EPKiPiPKlPlN2at6native12_GLOBAL__N_18offset_tEEE10hipError_tPvRmT1_PNSt15iterator_traitsISY_E10value_typeET2_T3_PNSZ_IS14_E10value_typeET4_jRbjT5_S1A_jjP12ihipStream_tbEUljE_EEESV_SW_SX_S14_S18_S1A_T6_T7_T9_mT8_S1C_bDpT10_ENKUlT_T0_E_clISt17integral_constantIbLb0EES1P_EEDaS1K_S1L_EUlS1K_E_NS1_11comp_targetILNS1_3genE5ELNS1_11target_archE942ELNS1_3gpuE9ELNS1_3repE0EEENS1_30default_config_static_selectorELNS0_4arch9wavefront6targetE0EEEvSY_.num_agpr, 0
	.set _ZN7rocprim17ROCPRIM_400000_NS6detail17trampoline_kernelINS0_13select_configILj256ELj13ELNS0_17block_load_methodE3ELS4_3ELS4_3ELNS0_20block_scan_algorithmE0ELj4294967295EEENS1_25partition_config_selectorILNS1_17partition_subalgoE3EjNS0_10empty_typeEbEEZZNS1_14partition_implILS8_3ELb0ES6_jNS0_17counting_iteratorIjlEEPS9_SE_NS0_5tupleIJPjSE_EEENSF_IJSE_SE_EEES9_SG_JZNS1_25segmented_radix_sort_implINS0_14default_configELb0EPKiPiPKlPlN2at6native12_GLOBAL__N_18offset_tEEE10hipError_tPvRmT1_PNSt15iterator_traitsISY_E10value_typeET2_T3_PNSZ_IS14_E10value_typeET4_jRbjT5_S1A_jjP12ihipStream_tbEUljE_EEESV_SW_SX_S14_S18_S1A_T6_T7_T9_mT8_S1C_bDpT10_ENKUlT_T0_E_clISt17integral_constantIbLb0EES1P_EEDaS1K_S1L_EUlS1K_E_NS1_11comp_targetILNS1_3genE5ELNS1_11target_archE942ELNS1_3gpuE9ELNS1_3repE0EEENS1_30default_config_static_selectorELNS0_4arch9wavefront6targetE0EEEvSY_.numbered_sgpr, 0
	.set _ZN7rocprim17ROCPRIM_400000_NS6detail17trampoline_kernelINS0_13select_configILj256ELj13ELNS0_17block_load_methodE3ELS4_3ELS4_3ELNS0_20block_scan_algorithmE0ELj4294967295EEENS1_25partition_config_selectorILNS1_17partition_subalgoE3EjNS0_10empty_typeEbEEZZNS1_14partition_implILS8_3ELb0ES6_jNS0_17counting_iteratorIjlEEPS9_SE_NS0_5tupleIJPjSE_EEENSF_IJSE_SE_EEES9_SG_JZNS1_25segmented_radix_sort_implINS0_14default_configELb0EPKiPiPKlPlN2at6native12_GLOBAL__N_18offset_tEEE10hipError_tPvRmT1_PNSt15iterator_traitsISY_E10value_typeET2_T3_PNSZ_IS14_E10value_typeET4_jRbjT5_S1A_jjP12ihipStream_tbEUljE_EEESV_SW_SX_S14_S18_S1A_T6_T7_T9_mT8_S1C_bDpT10_ENKUlT_T0_E_clISt17integral_constantIbLb0EES1P_EEDaS1K_S1L_EUlS1K_E_NS1_11comp_targetILNS1_3genE5ELNS1_11target_archE942ELNS1_3gpuE9ELNS1_3repE0EEENS1_30default_config_static_selectorELNS0_4arch9wavefront6targetE0EEEvSY_.num_named_barrier, 0
	.set _ZN7rocprim17ROCPRIM_400000_NS6detail17trampoline_kernelINS0_13select_configILj256ELj13ELNS0_17block_load_methodE3ELS4_3ELS4_3ELNS0_20block_scan_algorithmE0ELj4294967295EEENS1_25partition_config_selectorILNS1_17partition_subalgoE3EjNS0_10empty_typeEbEEZZNS1_14partition_implILS8_3ELb0ES6_jNS0_17counting_iteratorIjlEEPS9_SE_NS0_5tupleIJPjSE_EEENSF_IJSE_SE_EEES9_SG_JZNS1_25segmented_radix_sort_implINS0_14default_configELb0EPKiPiPKlPlN2at6native12_GLOBAL__N_18offset_tEEE10hipError_tPvRmT1_PNSt15iterator_traitsISY_E10value_typeET2_T3_PNSZ_IS14_E10value_typeET4_jRbjT5_S1A_jjP12ihipStream_tbEUljE_EEESV_SW_SX_S14_S18_S1A_T6_T7_T9_mT8_S1C_bDpT10_ENKUlT_T0_E_clISt17integral_constantIbLb0EES1P_EEDaS1K_S1L_EUlS1K_E_NS1_11comp_targetILNS1_3genE5ELNS1_11target_archE942ELNS1_3gpuE9ELNS1_3repE0EEENS1_30default_config_static_selectorELNS0_4arch9wavefront6targetE0EEEvSY_.private_seg_size, 0
	.set _ZN7rocprim17ROCPRIM_400000_NS6detail17trampoline_kernelINS0_13select_configILj256ELj13ELNS0_17block_load_methodE3ELS4_3ELS4_3ELNS0_20block_scan_algorithmE0ELj4294967295EEENS1_25partition_config_selectorILNS1_17partition_subalgoE3EjNS0_10empty_typeEbEEZZNS1_14partition_implILS8_3ELb0ES6_jNS0_17counting_iteratorIjlEEPS9_SE_NS0_5tupleIJPjSE_EEENSF_IJSE_SE_EEES9_SG_JZNS1_25segmented_radix_sort_implINS0_14default_configELb0EPKiPiPKlPlN2at6native12_GLOBAL__N_18offset_tEEE10hipError_tPvRmT1_PNSt15iterator_traitsISY_E10value_typeET2_T3_PNSZ_IS14_E10value_typeET4_jRbjT5_S1A_jjP12ihipStream_tbEUljE_EEESV_SW_SX_S14_S18_S1A_T6_T7_T9_mT8_S1C_bDpT10_ENKUlT_T0_E_clISt17integral_constantIbLb0EES1P_EEDaS1K_S1L_EUlS1K_E_NS1_11comp_targetILNS1_3genE5ELNS1_11target_archE942ELNS1_3gpuE9ELNS1_3repE0EEENS1_30default_config_static_selectorELNS0_4arch9wavefront6targetE0EEEvSY_.uses_vcc, 0
	.set _ZN7rocprim17ROCPRIM_400000_NS6detail17trampoline_kernelINS0_13select_configILj256ELj13ELNS0_17block_load_methodE3ELS4_3ELS4_3ELNS0_20block_scan_algorithmE0ELj4294967295EEENS1_25partition_config_selectorILNS1_17partition_subalgoE3EjNS0_10empty_typeEbEEZZNS1_14partition_implILS8_3ELb0ES6_jNS0_17counting_iteratorIjlEEPS9_SE_NS0_5tupleIJPjSE_EEENSF_IJSE_SE_EEES9_SG_JZNS1_25segmented_radix_sort_implINS0_14default_configELb0EPKiPiPKlPlN2at6native12_GLOBAL__N_18offset_tEEE10hipError_tPvRmT1_PNSt15iterator_traitsISY_E10value_typeET2_T3_PNSZ_IS14_E10value_typeET4_jRbjT5_S1A_jjP12ihipStream_tbEUljE_EEESV_SW_SX_S14_S18_S1A_T6_T7_T9_mT8_S1C_bDpT10_ENKUlT_T0_E_clISt17integral_constantIbLb0EES1P_EEDaS1K_S1L_EUlS1K_E_NS1_11comp_targetILNS1_3genE5ELNS1_11target_archE942ELNS1_3gpuE9ELNS1_3repE0EEENS1_30default_config_static_selectorELNS0_4arch9wavefront6targetE0EEEvSY_.uses_flat_scratch, 0
	.set _ZN7rocprim17ROCPRIM_400000_NS6detail17trampoline_kernelINS0_13select_configILj256ELj13ELNS0_17block_load_methodE3ELS4_3ELS4_3ELNS0_20block_scan_algorithmE0ELj4294967295EEENS1_25partition_config_selectorILNS1_17partition_subalgoE3EjNS0_10empty_typeEbEEZZNS1_14partition_implILS8_3ELb0ES6_jNS0_17counting_iteratorIjlEEPS9_SE_NS0_5tupleIJPjSE_EEENSF_IJSE_SE_EEES9_SG_JZNS1_25segmented_radix_sort_implINS0_14default_configELb0EPKiPiPKlPlN2at6native12_GLOBAL__N_18offset_tEEE10hipError_tPvRmT1_PNSt15iterator_traitsISY_E10value_typeET2_T3_PNSZ_IS14_E10value_typeET4_jRbjT5_S1A_jjP12ihipStream_tbEUljE_EEESV_SW_SX_S14_S18_S1A_T6_T7_T9_mT8_S1C_bDpT10_ENKUlT_T0_E_clISt17integral_constantIbLb0EES1P_EEDaS1K_S1L_EUlS1K_E_NS1_11comp_targetILNS1_3genE5ELNS1_11target_archE942ELNS1_3gpuE9ELNS1_3repE0EEENS1_30default_config_static_selectorELNS0_4arch9wavefront6targetE0EEEvSY_.has_dyn_sized_stack, 0
	.set _ZN7rocprim17ROCPRIM_400000_NS6detail17trampoline_kernelINS0_13select_configILj256ELj13ELNS0_17block_load_methodE3ELS4_3ELS4_3ELNS0_20block_scan_algorithmE0ELj4294967295EEENS1_25partition_config_selectorILNS1_17partition_subalgoE3EjNS0_10empty_typeEbEEZZNS1_14partition_implILS8_3ELb0ES6_jNS0_17counting_iteratorIjlEEPS9_SE_NS0_5tupleIJPjSE_EEENSF_IJSE_SE_EEES9_SG_JZNS1_25segmented_radix_sort_implINS0_14default_configELb0EPKiPiPKlPlN2at6native12_GLOBAL__N_18offset_tEEE10hipError_tPvRmT1_PNSt15iterator_traitsISY_E10value_typeET2_T3_PNSZ_IS14_E10value_typeET4_jRbjT5_S1A_jjP12ihipStream_tbEUljE_EEESV_SW_SX_S14_S18_S1A_T6_T7_T9_mT8_S1C_bDpT10_ENKUlT_T0_E_clISt17integral_constantIbLb0EES1P_EEDaS1K_S1L_EUlS1K_E_NS1_11comp_targetILNS1_3genE5ELNS1_11target_archE942ELNS1_3gpuE9ELNS1_3repE0EEENS1_30default_config_static_selectorELNS0_4arch9wavefront6targetE0EEEvSY_.has_recursion, 0
	.set _ZN7rocprim17ROCPRIM_400000_NS6detail17trampoline_kernelINS0_13select_configILj256ELj13ELNS0_17block_load_methodE3ELS4_3ELS4_3ELNS0_20block_scan_algorithmE0ELj4294967295EEENS1_25partition_config_selectorILNS1_17partition_subalgoE3EjNS0_10empty_typeEbEEZZNS1_14partition_implILS8_3ELb0ES6_jNS0_17counting_iteratorIjlEEPS9_SE_NS0_5tupleIJPjSE_EEENSF_IJSE_SE_EEES9_SG_JZNS1_25segmented_radix_sort_implINS0_14default_configELb0EPKiPiPKlPlN2at6native12_GLOBAL__N_18offset_tEEE10hipError_tPvRmT1_PNSt15iterator_traitsISY_E10value_typeET2_T3_PNSZ_IS14_E10value_typeET4_jRbjT5_S1A_jjP12ihipStream_tbEUljE_EEESV_SW_SX_S14_S18_S1A_T6_T7_T9_mT8_S1C_bDpT10_ENKUlT_T0_E_clISt17integral_constantIbLb0EES1P_EEDaS1K_S1L_EUlS1K_E_NS1_11comp_targetILNS1_3genE5ELNS1_11target_archE942ELNS1_3gpuE9ELNS1_3repE0EEENS1_30default_config_static_selectorELNS0_4arch9wavefront6targetE0EEEvSY_.has_indirect_call, 0
	.section	.AMDGPU.csdata,"",@progbits
; Kernel info:
; codeLenInByte = 0
; TotalNumSgprs: 0
; NumVgprs: 0
; ScratchSize: 0
; MemoryBound: 0
; FloatMode: 240
; IeeeMode: 1
; LDSByteSize: 0 bytes/workgroup (compile time only)
; SGPRBlocks: 0
; VGPRBlocks: 0
; NumSGPRsForWavesPerEU: 1
; NumVGPRsForWavesPerEU: 1
; Occupancy: 16
; WaveLimiterHint : 0
; COMPUTE_PGM_RSRC2:SCRATCH_EN: 0
; COMPUTE_PGM_RSRC2:USER_SGPR: 2
; COMPUTE_PGM_RSRC2:TRAP_HANDLER: 0
; COMPUTE_PGM_RSRC2:TGID_X_EN: 1
; COMPUTE_PGM_RSRC2:TGID_Y_EN: 0
; COMPUTE_PGM_RSRC2:TGID_Z_EN: 0
; COMPUTE_PGM_RSRC2:TIDIG_COMP_CNT: 0
	.section	.text._ZN7rocprim17ROCPRIM_400000_NS6detail17trampoline_kernelINS0_13select_configILj256ELj13ELNS0_17block_load_methodE3ELS4_3ELS4_3ELNS0_20block_scan_algorithmE0ELj4294967295EEENS1_25partition_config_selectorILNS1_17partition_subalgoE3EjNS0_10empty_typeEbEEZZNS1_14partition_implILS8_3ELb0ES6_jNS0_17counting_iteratorIjlEEPS9_SE_NS0_5tupleIJPjSE_EEENSF_IJSE_SE_EEES9_SG_JZNS1_25segmented_radix_sort_implINS0_14default_configELb0EPKiPiPKlPlN2at6native12_GLOBAL__N_18offset_tEEE10hipError_tPvRmT1_PNSt15iterator_traitsISY_E10value_typeET2_T3_PNSZ_IS14_E10value_typeET4_jRbjT5_S1A_jjP12ihipStream_tbEUljE_EEESV_SW_SX_S14_S18_S1A_T6_T7_T9_mT8_S1C_bDpT10_ENKUlT_T0_E_clISt17integral_constantIbLb0EES1P_EEDaS1K_S1L_EUlS1K_E_NS1_11comp_targetILNS1_3genE4ELNS1_11target_archE910ELNS1_3gpuE8ELNS1_3repE0EEENS1_30default_config_static_selectorELNS0_4arch9wavefront6targetE0EEEvSY_,"axG",@progbits,_ZN7rocprim17ROCPRIM_400000_NS6detail17trampoline_kernelINS0_13select_configILj256ELj13ELNS0_17block_load_methodE3ELS4_3ELS4_3ELNS0_20block_scan_algorithmE0ELj4294967295EEENS1_25partition_config_selectorILNS1_17partition_subalgoE3EjNS0_10empty_typeEbEEZZNS1_14partition_implILS8_3ELb0ES6_jNS0_17counting_iteratorIjlEEPS9_SE_NS0_5tupleIJPjSE_EEENSF_IJSE_SE_EEES9_SG_JZNS1_25segmented_radix_sort_implINS0_14default_configELb0EPKiPiPKlPlN2at6native12_GLOBAL__N_18offset_tEEE10hipError_tPvRmT1_PNSt15iterator_traitsISY_E10value_typeET2_T3_PNSZ_IS14_E10value_typeET4_jRbjT5_S1A_jjP12ihipStream_tbEUljE_EEESV_SW_SX_S14_S18_S1A_T6_T7_T9_mT8_S1C_bDpT10_ENKUlT_T0_E_clISt17integral_constantIbLb0EES1P_EEDaS1K_S1L_EUlS1K_E_NS1_11comp_targetILNS1_3genE4ELNS1_11target_archE910ELNS1_3gpuE8ELNS1_3repE0EEENS1_30default_config_static_selectorELNS0_4arch9wavefront6targetE0EEEvSY_,comdat
	.globl	_ZN7rocprim17ROCPRIM_400000_NS6detail17trampoline_kernelINS0_13select_configILj256ELj13ELNS0_17block_load_methodE3ELS4_3ELS4_3ELNS0_20block_scan_algorithmE0ELj4294967295EEENS1_25partition_config_selectorILNS1_17partition_subalgoE3EjNS0_10empty_typeEbEEZZNS1_14partition_implILS8_3ELb0ES6_jNS0_17counting_iteratorIjlEEPS9_SE_NS0_5tupleIJPjSE_EEENSF_IJSE_SE_EEES9_SG_JZNS1_25segmented_radix_sort_implINS0_14default_configELb0EPKiPiPKlPlN2at6native12_GLOBAL__N_18offset_tEEE10hipError_tPvRmT1_PNSt15iterator_traitsISY_E10value_typeET2_T3_PNSZ_IS14_E10value_typeET4_jRbjT5_S1A_jjP12ihipStream_tbEUljE_EEESV_SW_SX_S14_S18_S1A_T6_T7_T9_mT8_S1C_bDpT10_ENKUlT_T0_E_clISt17integral_constantIbLb0EES1P_EEDaS1K_S1L_EUlS1K_E_NS1_11comp_targetILNS1_3genE4ELNS1_11target_archE910ELNS1_3gpuE8ELNS1_3repE0EEENS1_30default_config_static_selectorELNS0_4arch9wavefront6targetE0EEEvSY_ ; -- Begin function _ZN7rocprim17ROCPRIM_400000_NS6detail17trampoline_kernelINS0_13select_configILj256ELj13ELNS0_17block_load_methodE3ELS4_3ELS4_3ELNS0_20block_scan_algorithmE0ELj4294967295EEENS1_25partition_config_selectorILNS1_17partition_subalgoE3EjNS0_10empty_typeEbEEZZNS1_14partition_implILS8_3ELb0ES6_jNS0_17counting_iteratorIjlEEPS9_SE_NS0_5tupleIJPjSE_EEENSF_IJSE_SE_EEES9_SG_JZNS1_25segmented_radix_sort_implINS0_14default_configELb0EPKiPiPKlPlN2at6native12_GLOBAL__N_18offset_tEEE10hipError_tPvRmT1_PNSt15iterator_traitsISY_E10value_typeET2_T3_PNSZ_IS14_E10value_typeET4_jRbjT5_S1A_jjP12ihipStream_tbEUljE_EEESV_SW_SX_S14_S18_S1A_T6_T7_T9_mT8_S1C_bDpT10_ENKUlT_T0_E_clISt17integral_constantIbLb0EES1P_EEDaS1K_S1L_EUlS1K_E_NS1_11comp_targetILNS1_3genE4ELNS1_11target_archE910ELNS1_3gpuE8ELNS1_3repE0EEENS1_30default_config_static_selectorELNS0_4arch9wavefront6targetE0EEEvSY_
	.p2align	8
	.type	_ZN7rocprim17ROCPRIM_400000_NS6detail17trampoline_kernelINS0_13select_configILj256ELj13ELNS0_17block_load_methodE3ELS4_3ELS4_3ELNS0_20block_scan_algorithmE0ELj4294967295EEENS1_25partition_config_selectorILNS1_17partition_subalgoE3EjNS0_10empty_typeEbEEZZNS1_14partition_implILS8_3ELb0ES6_jNS0_17counting_iteratorIjlEEPS9_SE_NS0_5tupleIJPjSE_EEENSF_IJSE_SE_EEES9_SG_JZNS1_25segmented_radix_sort_implINS0_14default_configELb0EPKiPiPKlPlN2at6native12_GLOBAL__N_18offset_tEEE10hipError_tPvRmT1_PNSt15iterator_traitsISY_E10value_typeET2_T3_PNSZ_IS14_E10value_typeET4_jRbjT5_S1A_jjP12ihipStream_tbEUljE_EEESV_SW_SX_S14_S18_S1A_T6_T7_T9_mT8_S1C_bDpT10_ENKUlT_T0_E_clISt17integral_constantIbLb0EES1P_EEDaS1K_S1L_EUlS1K_E_NS1_11comp_targetILNS1_3genE4ELNS1_11target_archE910ELNS1_3gpuE8ELNS1_3repE0EEENS1_30default_config_static_selectorELNS0_4arch9wavefront6targetE0EEEvSY_,@function
_ZN7rocprim17ROCPRIM_400000_NS6detail17trampoline_kernelINS0_13select_configILj256ELj13ELNS0_17block_load_methodE3ELS4_3ELS4_3ELNS0_20block_scan_algorithmE0ELj4294967295EEENS1_25partition_config_selectorILNS1_17partition_subalgoE3EjNS0_10empty_typeEbEEZZNS1_14partition_implILS8_3ELb0ES6_jNS0_17counting_iteratorIjlEEPS9_SE_NS0_5tupleIJPjSE_EEENSF_IJSE_SE_EEES9_SG_JZNS1_25segmented_radix_sort_implINS0_14default_configELb0EPKiPiPKlPlN2at6native12_GLOBAL__N_18offset_tEEE10hipError_tPvRmT1_PNSt15iterator_traitsISY_E10value_typeET2_T3_PNSZ_IS14_E10value_typeET4_jRbjT5_S1A_jjP12ihipStream_tbEUljE_EEESV_SW_SX_S14_S18_S1A_T6_T7_T9_mT8_S1C_bDpT10_ENKUlT_T0_E_clISt17integral_constantIbLb0EES1P_EEDaS1K_S1L_EUlS1K_E_NS1_11comp_targetILNS1_3genE4ELNS1_11target_archE910ELNS1_3gpuE8ELNS1_3repE0EEENS1_30default_config_static_selectorELNS0_4arch9wavefront6targetE0EEEvSY_: ; @_ZN7rocprim17ROCPRIM_400000_NS6detail17trampoline_kernelINS0_13select_configILj256ELj13ELNS0_17block_load_methodE3ELS4_3ELS4_3ELNS0_20block_scan_algorithmE0ELj4294967295EEENS1_25partition_config_selectorILNS1_17partition_subalgoE3EjNS0_10empty_typeEbEEZZNS1_14partition_implILS8_3ELb0ES6_jNS0_17counting_iteratorIjlEEPS9_SE_NS0_5tupleIJPjSE_EEENSF_IJSE_SE_EEES9_SG_JZNS1_25segmented_radix_sort_implINS0_14default_configELb0EPKiPiPKlPlN2at6native12_GLOBAL__N_18offset_tEEE10hipError_tPvRmT1_PNSt15iterator_traitsISY_E10value_typeET2_T3_PNSZ_IS14_E10value_typeET4_jRbjT5_S1A_jjP12ihipStream_tbEUljE_EEESV_SW_SX_S14_S18_S1A_T6_T7_T9_mT8_S1C_bDpT10_ENKUlT_T0_E_clISt17integral_constantIbLb0EES1P_EEDaS1K_S1L_EUlS1K_E_NS1_11comp_targetILNS1_3genE4ELNS1_11target_archE910ELNS1_3gpuE8ELNS1_3repE0EEENS1_30default_config_static_selectorELNS0_4arch9wavefront6targetE0EEEvSY_
; %bb.0:
	.section	.rodata,"a",@progbits
	.p2align	6, 0x0
	.amdhsa_kernel _ZN7rocprim17ROCPRIM_400000_NS6detail17trampoline_kernelINS0_13select_configILj256ELj13ELNS0_17block_load_methodE3ELS4_3ELS4_3ELNS0_20block_scan_algorithmE0ELj4294967295EEENS1_25partition_config_selectorILNS1_17partition_subalgoE3EjNS0_10empty_typeEbEEZZNS1_14partition_implILS8_3ELb0ES6_jNS0_17counting_iteratorIjlEEPS9_SE_NS0_5tupleIJPjSE_EEENSF_IJSE_SE_EEES9_SG_JZNS1_25segmented_radix_sort_implINS0_14default_configELb0EPKiPiPKlPlN2at6native12_GLOBAL__N_18offset_tEEE10hipError_tPvRmT1_PNSt15iterator_traitsISY_E10value_typeET2_T3_PNSZ_IS14_E10value_typeET4_jRbjT5_S1A_jjP12ihipStream_tbEUljE_EEESV_SW_SX_S14_S18_S1A_T6_T7_T9_mT8_S1C_bDpT10_ENKUlT_T0_E_clISt17integral_constantIbLb0EES1P_EEDaS1K_S1L_EUlS1K_E_NS1_11comp_targetILNS1_3genE4ELNS1_11target_archE910ELNS1_3gpuE8ELNS1_3repE0EEENS1_30default_config_static_selectorELNS0_4arch9wavefront6targetE0EEEvSY_
		.amdhsa_group_segment_fixed_size 0
		.amdhsa_private_segment_fixed_size 0
		.amdhsa_kernarg_size 144
		.amdhsa_user_sgpr_count 2
		.amdhsa_user_sgpr_dispatch_ptr 0
		.amdhsa_user_sgpr_queue_ptr 0
		.amdhsa_user_sgpr_kernarg_segment_ptr 1
		.amdhsa_user_sgpr_dispatch_id 0
		.amdhsa_user_sgpr_private_segment_size 0
		.amdhsa_wavefront_size32 1
		.amdhsa_uses_dynamic_stack 0
		.amdhsa_enable_private_segment 0
		.amdhsa_system_sgpr_workgroup_id_x 1
		.amdhsa_system_sgpr_workgroup_id_y 0
		.amdhsa_system_sgpr_workgroup_id_z 0
		.amdhsa_system_sgpr_workgroup_info 0
		.amdhsa_system_vgpr_workitem_id 0
		.amdhsa_next_free_vgpr 1
		.amdhsa_next_free_sgpr 1
		.amdhsa_reserve_vcc 0
		.amdhsa_float_round_mode_32 0
		.amdhsa_float_round_mode_16_64 0
		.amdhsa_float_denorm_mode_32 3
		.amdhsa_float_denorm_mode_16_64 3
		.amdhsa_fp16_overflow 0
		.amdhsa_workgroup_processor_mode 1
		.amdhsa_memory_ordered 1
		.amdhsa_forward_progress 1
		.amdhsa_inst_pref_size 0
		.amdhsa_round_robin_scheduling 0
		.amdhsa_exception_fp_ieee_invalid_op 0
		.amdhsa_exception_fp_denorm_src 0
		.amdhsa_exception_fp_ieee_div_zero 0
		.amdhsa_exception_fp_ieee_overflow 0
		.amdhsa_exception_fp_ieee_underflow 0
		.amdhsa_exception_fp_ieee_inexact 0
		.amdhsa_exception_int_div_zero 0
	.end_amdhsa_kernel
	.section	.text._ZN7rocprim17ROCPRIM_400000_NS6detail17trampoline_kernelINS0_13select_configILj256ELj13ELNS0_17block_load_methodE3ELS4_3ELS4_3ELNS0_20block_scan_algorithmE0ELj4294967295EEENS1_25partition_config_selectorILNS1_17partition_subalgoE3EjNS0_10empty_typeEbEEZZNS1_14partition_implILS8_3ELb0ES6_jNS0_17counting_iteratorIjlEEPS9_SE_NS0_5tupleIJPjSE_EEENSF_IJSE_SE_EEES9_SG_JZNS1_25segmented_radix_sort_implINS0_14default_configELb0EPKiPiPKlPlN2at6native12_GLOBAL__N_18offset_tEEE10hipError_tPvRmT1_PNSt15iterator_traitsISY_E10value_typeET2_T3_PNSZ_IS14_E10value_typeET4_jRbjT5_S1A_jjP12ihipStream_tbEUljE_EEESV_SW_SX_S14_S18_S1A_T6_T7_T9_mT8_S1C_bDpT10_ENKUlT_T0_E_clISt17integral_constantIbLb0EES1P_EEDaS1K_S1L_EUlS1K_E_NS1_11comp_targetILNS1_3genE4ELNS1_11target_archE910ELNS1_3gpuE8ELNS1_3repE0EEENS1_30default_config_static_selectorELNS0_4arch9wavefront6targetE0EEEvSY_,"axG",@progbits,_ZN7rocprim17ROCPRIM_400000_NS6detail17trampoline_kernelINS0_13select_configILj256ELj13ELNS0_17block_load_methodE3ELS4_3ELS4_3ELNS0_20block_scan_algorithmE0ELj4294967295EEENS1_25partition_config_selectorILNS1_17partition_subalgoE3EjNS0_10empty_typeEbEEZZNS1_14partition_implILS8_3ELb0ES6_jNS0_17counting_iteratorIjlEEPS9_SE_NS0_5tupleIJPjSE_EEENSF_IJSE_SE_EEES9_SG_JZNS1_25segmented_radix_sort_implINS0_14default_configELb0EPKiPiPKlPlN2at6native12_GLOBAL__N_18offset_tEEE10hipError_tPvRmT1_PNSt15iterator_traitsISY_E10value_typeET2_T3_PNSZ_IS14_E10value_typeET4_jRbjT5_S1A_jjP12ihipStream_tbEUljE_EEESV_SW_SX_S14_S18_S1A_T6_T7_T9_mT8_S1C_bDpT10_ENKUlT_T0_E_clISt17integral_constantIbLb0EES1P_EEDaS1K_S1L_EUlS1K_E_NS1_11comp_targetILNS1_3genE4ELNS1_11target_archE910ELNS1_3gpuE8ELNS1_3repE0EEENS1_30default_config_static_selectorELNS0_4arch9wavefront6targetE0EEEvSY_,comdat
.Lfunc_end570:
	.size	_ZN7rocprim17ROCPRIM_400000_NS6detail17trampoline_kernelINS0_13select_configILj256ELj13ELNS0_17block_load_methodE3ELS4_3ELS4_3ELNS0_20block_scan_algorithmE0ELj4294967295EEENS1_25partition_config_selectorILNS1_17partition_subalgoE3EjNS0_10empty_typeEbEEZZNS1_14partition_implILS8_3ELb0ES6_jNS0_17counting_iteratorIjlEEPS9_SE_NS0_5tupleIJPjSE_EEENSF_IJSE_SE_EEES9_SG_JZNS1_25segmented_radix_sort_implINS0_14default_configELb0EPKiPiPKlPlN2at6native12_GLOBAL__N_18offset_tEEE10hipError_tPvRmT1_PNSt15iterator_traitsISY_E10value_typeET2_T3_PNSZ_IS14_E10value_typeET4_jRbjT5_S1A_jjP12ihipStream_tbEUljE_EEESV_SW_SX_S14_S18_S1A_T6_T7_T9_mT8_S1C_bDpT10_ENKUlT_T0_E_clISt17integral_constantIbLb0EES1P_EEDaS1K_S1L_EUlS1K_E_NS1_11comp_targetILNS1_3genE4ELNS1_11target_archE910ELNS1_3gpuE8ELNS1_3repE0EEENS1_30default_config_static_selectorELNS0_4arch9wavefront6targetE0EEEvSY_, .Lfunc_end570-_ZN7rocprim17ROCPRIM_400000_NS6detail17trampoline_kernelINS0_13select_configILj256ELj13ELNS0_17block_load_methodE3ELS4_3ELS4_3ELNS0_20block_scan_algorithmE0ELj4294967295EEENS1_25partition_config_selectorILNS1_17partition_subalgoE3EjNS0_10empty_typeEbEEZZNS1_14partition_implILS8_3ELb0ES6_jNS0_17counting_iteratorIjlEEPS9_SE_NS0_5tupleIJPjSE_EEENSF_IJSE_SE_EEES9_SG_JZNS1_25segmented_radix_sort_implINS0_14default_configELb0EPKiPiPKlPlN2at6native12_GLOBAL__N_18offset_tEEE10hipError_tPvRmT1_PNSt15iterator_traitsISY_E10value_typeET2_T3_PNSZ_IS14_E10value_typeET4_jRbjT5_S1A_jjP12ihipStream_tbEUljE_EEESV_SW_SX_S14_S18_S1A_T6_T7_T9_mT8_S1C_bDpT10_ENKUlT_T0_E_clISt17integral_constantIbLb0EES1P_EEDaS1K_S1L_EUlS1K_E_NS1_11comp_targetILNS1_3genE4ELNS1_11target_archE910ELNS1_3gpuE8ELNS1_3repE0EEENS1_30default_config_static_selectorELNS0_4arch9wavefront6targetE0EEEvSY_
                                        ; -- End function
	.set _ZN7rocprim17ROCPRIM_400000_NS6detail17trampoline_kernelINS0_13select_configILj256ELj13ELNS0_17block_load_methodE3ELS4_3ELS4_3ELNS0_20block_scan_algorithmE0ELj4294967295EEENS1_25partition_config_selectorILNS1_17partition_subalgoE3EjNS0_10empty_typeEbEEZZNS1_14partition_implILS8_3ELb0ES6_jNS0_17counting_iteratorIjlEEPS9_SE_NS0_5tupleIJPjSE_EEENSF_IJSE_SE_EEES9_SG_JZNS1_25segmented_radix_sort_implINS0_14default_configELb0EPKiPiPKlPlN2at6native12_GLOBAL__N_18offset_tEEE10hipError_tPvRmT1_PNSt15iterator_traitsISY_E10value_typeET2_T3_PNSZ_IS14_E10value_typeET4_jRbjT5_S1A_jjP12ihipStream_tbEUljE_EEESV_SW_SX_S14_S18_S1A_T6_T7_T9_mT8_S1C_bDpT10_ENKUlT_T0_E_clISt17integral_constantIbLb0EES1P_EEDaS1K_S1L_EUlS1K_E_NS1_11comp_targetILNS1_3genE4ELNS1_11target_archE910ELNS1_3gpuE8ELNS1_3repE0EEENS1_30default_config_static_selectorELNS0_4arch9wavefront6targetE0EEEvSY_.num_vgpr, 0
	.set _ZN7rocprim17ROCPRIM_400000_NS6detail17trampoline_kernelINS0_13select_configILj256ELj13ELNS0_17block_load_methodE3ELS4_3ELS4_3ELNS0_20block_scan_algorithmE0ELj4294967295EEENS1_25partition_config_selectorILNS1_17partition_subalgoE3EjNS0_10empty_typeEbEEZZNS1_14partition_implILS8_3ELb0ES6_jNS0_17counting_iteratorIjlEEPS9_SE_NS0_5tupleIJPjSE_EEENSF_IJSE_SE_EEES9_SG_JZNS1_25segmented_radix_sort_implINS0_14default_configELb0EPKiPiPKlPlN2at6native12_GLOBAL__N_18offset_tEEE10hipError_tPvRmT1_PNSt15iterator_traitsISY_E10value_typeET2_T3_PNSZ_IS14_E10value_typeET4_jRbjT5_S1A_jjP12ihipStream_tbEUljE_EEESV_SW_SX_S14_S18_S1A_T6_T7_T9_mT8_S1C_bDpT10_ENKUlT_T0_E_clISt17integral_constantIbLb0EES1P_EEDaS1K_S1L_EUlS1K_E_NS1_11comp_targetILNS1_3genE4ELNS1_11target_archE910ELNS1_3gpuE8ELNS1_3repE0EEENS1_30default_config_static_selectorELNS0_4arch9wavefront6targetE0EEEvSY_.num_agpr, 0
	.set _ZN7rocprim17ROCPRIM_400000_NS6detail17trampoline_kernelINS0_13select_configILj256ELj13ELNS0_17block_load_methodE3ELS4_3ELS4_3ELNS0_20block_scan_algorithmE0ELj4294967295EEENS1_25partition_config_selectorILNS1_17partition_subalgoE3EjNS0_10empty_typeEbEEZZNS1_14partition_implILS8_3ELb0ES6_jNS0_17counting_iteratorIjlEEPS9_SE_NS0_5tupleIJPjSE_EEENSF_IJSE_SE_EEES9_SG_JZNS1_25segmented_radix_sort_implINS0_14default_configELb0EPKiPiPKlPlN2at6native12_GLOBAL__N_18offset_tEEE10hipError_tPvRmT1_PNSt15iterator_traitsISY_E10value_typeET2_T3_PNSZ_IS14_E10value_typeET4_jRbjT5_S1A_jjP12ihipStream_tbEUljE_EEESV_SW_SX_S14_S18_S1A_T6_T7_T9_mT8_S1C_bDpT10_ENKUlT_T0_E_clISt17integral_constantIbLb0EES1P_EEDaS1K_S1L_EUlS1K_E_NS1_11comp_targetILNS1_3genE4ELNS1_11target_archE910ELNS1_3gpuE8ELNS1_3repE0EEENS1_30default_config_static_selectorELNS0_4arch9wavefront6targetE0EEEvSY_.numbered_sgpr, 0
	.set _ZN7rocprim17ROCPRIM_400000_NS6detail17trampoline_kernelINS0_13select_configILj256ELj13ELNS0_17block_load_methodE3ELS4_3ELS4_3ELNS0_20block_scan_algorithmE0ELj4294967295EEENS1_25partition_config_selectorILNS1_17partition_subalgoE3EjNS0_10empty_typeEbEEZZNS1_14partition_implILS8_3ELb0ES6_jNS0_17counting_iteratorIjlEEPS9_SE_NS0_5tupleIJPjSE_EEENSF_IJSE_SE_EEES9_SG_JZNS1_25segmented_radix_sort_implINS0_14default_configELb0EPKiPiPKlPlN2at6native12_GLOBAL__N_18offset_tEEE10hipError_tPvRmT1_PNSt15iterator_traitsISY_E10value_typeET2_T3_PNSZ_IS14_E10value_typeET4_jRbjT5_S1A_jjP12ihipStream_tbEUljE_EEESV_SW_SX_S14_S18_S1A_T6_T7_T9_mT8_S1C_bDpT10_ENKUlT_T0_E_clISt17integral_constantIbLb0EES1P_EEDaS1K_S1L_EUlS1K_E_NS1_11comp_targetILNS1_3genE4ELNS1_11target_archE910ELNS1_3gpuE8ELNS1_3repE0EEENS1_30default_config_static_selectorELNS0_4arch9wavefront6targetE0EEEvSY_.num_named_barrier, 0
	.set _ZN7rocprim17ROCPRIM_400000_NS6detail17trampoline_kernelINS0_13select_configILj256ELj13ELNS0_17block_load_methodE3ELS4_3ELS4_3ELNS0_20block_scan_algorithmE0ELj4294967295EEENS1_25partition_config_selectorILNS1_17partition_subalgoE3EjNS0_10empty_typeEbEEZZNS1_14partition_implILS8_3ELb0ES6_jNS0_17counting_iteratorIjlEEPS9_SE_NS0_5tupleIJPjSE_EEENSF_IJSE_SE_EEES9_SG_JZNS1_25segmented_radix_sort_implINS0_14default_configELb0EPKiPiPKlPlN2at6native12_GLOBAL__N_18offset_tEEE10hipError_tPvRmT1_PNSt15iterator_traitsISY_E10value_typeET2_T3_PNSZ_IS14_E10value_typeET4_jRbjT5_S1A_jjP12ihipStream_tbEUljE_EEESV_SW_SX_S14_S18_S1A_T6_T7_T9_mT8_S1C_bDpT10_ENKUlT_T0_E_clISt17integral_constantIbLb0EES1P_EEDaS1K_S1L_EUlS1K_E_NS1_11comp_targetILNS1_3genE4ELNS1_11target_archE910ELNS1_3gpuE8ELNS1_3repE0EEENS1_30default_config_static_selectorELNS0_4arch9wavefront6targetE0EEEvSY_.private_seg_size, 0
	.set _ZN7rocprim17ROCPRIM_400000_NS6detail17trampoline_kernelINS0_13select_configILj256ELj13ELNS0_17block_load_methodE3ELS4_3ELS4_3ELNS0_20block_scan_algorithmE0ELj4294967295EEENS1_25partition_config_selectorILNS1_17partition_subalgoE3EjNS0_10empty_typeEbEEZZNS1_14partition_implILS8_3ELb0ES6_jNS0_17counting_iteratorIjlEEPS9_SE_NS0_5tupleIJPjSE_EEENSF_IJSE_SE_EEES9_SG_JZNS1_25segmented_radix_sort_implINS0_14default_configELb0EPKiPiPKlPlN2at6native12_GLOBAL__N_18offset_tEEE10hipError_tPvRmT1_PNSt15iterator_traitsISY_E10value_typeET2_T3_PNSZ_IS14_E10value_typeET4_jRbjT5_S1A_jjP12ihipStream_tbEUljE_EEESV_SW_SX_S14_S18_S1A_T6_T7_T9_mT8_S1C_bDpT10_ENKUlT_T0_E_clISt17integral_constantIbLb0EES1P_EEDaS1K_S1L_EUlS1K_E_NS1_11comp_targetILNS1_3genE4ELNS1_11target_archE910ELNS1_3gpuE8ELNS1_3repE0EEENS1_30default_config_static_selectorELNS0_4arch9wavefront6targetE0EEEvSY_.uses_vcc, 0
	.set _ZN7rocprim17ROCPRIM_400000_NS6detail17trampoline_kernelINS0_13select_configILj256ELj13ELNS0_17block_load_methodE3ELS4_3ELS4_3ELNS0_20block_scan_algorithmE0ELj4294967295EEENS1_25partition_config_selectorILNS1_17partition_subalgoE3EjNS0_10empty_typeEbEEZZNS1_14partition_implILS8_3ELb0ES6_jNS0_17counting_iteratorIjlEEPS9_SE_NS0_5tupleIJPjSE_EEENSF_IJSE_SE_EEES9_SG_JZNS1_25segmented_radix_sort_implINS0_14default_configELb0EPKiPiPKlPlN2at6native12_GLOBAL__N_18offset_tEEE10hipError_tPvRmT1_PNSt15iterator_traitsISY_E10value_typeET2_T3_PNSZ_IS14_E10value_typeET4_jRbjT5_S1A_jjP12ihipStream_tbEUljE_EEESV_SW_SX_S14_S18_S1A_T6_T7_T9_mT8_S1C_bDpT10_ENKUlT_T0_E_clISt17integral_constantIbLb0EES1P_EEDaS1K_S1L_EUlS1K_E_NS1_11comp_targetILNS1_3genE4ELNS1_11target_archE910ELNS1_3gpuE8ELNS1_3repE0EEENS1_30default_config_static_selectorELNS0_4arch9wavefront6targetE0EEEvSY_.uses_flat_scratch, 0
	.set _ZN7rocprim17ROCPRIM_400000_NS6detail17trampoline_kernelINS0_13select_configILj256ELj13ELNS0_17block_load_methodE3ELS4_3ELS4_3ELNS0_20block_scan_algorithmE0ELj4294967295EEENS1_25partition_config_selectorILNS1_17partition_subalgoE3EjNS0_10empty_typeEbEEZZNS1_14partition_implILS8_3ELb0ES6_jNS0_17counting_iteratorIjlEEPS9_SE_NS0_5tupleIJPjSE_EEENSF_IJSE_SE_EEES9_SG_JZNS1_25segmented_radix_sort_implINS0_14default_configELb0EPKiPiPKlPlN2at6native12_GLOBAL__N_18offset_tEEE10hipError_tPvRmT1_PNSt15iterator_traitsISY_E10value_typeET2_T3_PNSZ_IS14_E10value_typeET4_jRbjT5_S1A_jjP12ihipStream_tbEUljE_EEESV_SW_SX_S14_S18_S1A_T6_T7_T9_mT8_S1C_bDpT10_ENKUlT_T0_E_clISt17integral_constantIbLb0EES1P_EEDaS1K_S1L_EUlS1K_E_NS1_11comp_targetILNS1_3genE4ELNS1_11target_archE910ELNS1_3gpuE8ELNS1_3repE0EEENS1_30default_config_static_selectorELNS0_4arch9wavefront6targetE0EEEvSY_.has_dyn_sized_stack, 0
	.set _ZN7rocprim17ROCPRIM_400000_NS6detail17trampoline_kernelINS0_13select_configILj256ELj13ELNS0_17block_load_methodE3ELS4_3ELS4_3ELNS0_20block_scan_algorithmE0ELj4294967295EEENS1_25partition_config_selectorILNS1_17partition_subalgoE3EjNS0_10empty_typeEbEEZZNS1_14partition_implILS8_3ELb0ES6_jNS0_17counting_iteratorIjlEEPS9_SE_NS0_5tupleIJPjSE_EEENSF_IJSE_SE_EEES9_SG_JZNS1_25segmented_radix_sort_implINS0_14default_configELb0EPKiPiPKlPlN2at6native12_GLOBAL__N_18offset_tEEE10hipError_tPvRmT1_PNSt15iterator_traitsISY_E10value_typeET2_T3_PNSZ_IS14_E10value_typeET4_jRbjT5_S1A_jjP12ihipStream_tbEUljE_EEESV_SW_SX_S14_S18_S1A_T6_T7_T9_mT8_S1C_bDpT10_ENKUlT_T0_E_clISt17integral_constantIbLb0EES1P_EEDaS1K_S1L_EUlS1K_E_NS1_11comp_targetILNS1_3genE4ELNS1_11target_archE910ELNS1_3gpuE8ELNS1_3repE0EEENS1_30default_config_static_selectorELNS0_4arch9wavefront6targetE0EEEvSY_.has_recursion, 0
	.set _ZN7rocprim17ROCPRIM_400000_NS6detail17trampoline_kernelINS0_13select_configILj256ELj13ELNS0_17block_load_methodE3ELS4_3ELS4_3ELNS0_20block_scan_algorithmE0ELj4294967295EEENS1_25partition_config_selectorILNS1_17partition_subalgoE3EjNS0_10empty_typeEbEEZZNS1_14partition_implILS8_3ELb0ES6_jNS0_17counting_iteratorIjlEEPS9_SE_NS0_5tupleIJPjSE_EEENSF_IJSE_SE_EEES9_SG_JZNS1_25segmented_radix_sort_implINS0_14default_configELb0EPKiPiPKlPlN2at6native12_GLOBAL__N_18offset_tEEE10hipError_tPvRmT1_PNSt15iterator_traitsISY_E10value_typeET2_T3_PNSZ_IS14_E10value_typeET4_jRbjT5_S1A_jjP12ihipStream_tbEUljE_EEESV_SW_SX_S14_S18_S1A_T6_T7_T9_mT8_S1C_bDpT10_ENKUlT_T0_E_clISt17integral_constantIbLb0EES1P_EEDaS1K_S1L_EUlS1K_E_NS1_11comp_targetILNS1_3genE4ELNS1_11target_archE910ELNS1_3gpuE8ELNS1_3repE0EEENS1_30default_config_static_selectorELNS0_4arch9wavefront6targetE0EEEvSY_.has_indirect_call, 0
	.section	.AMDGPU.csdata,"",@progbits
; Kernel info:
; codeLenInByte = 0
; TotalNumSgprs: 0
; NumVgprs: 0
; ScratchSize: 0
; MemoryBound: 0
; FloatMode: 240
; IeeeMode: 1
; LDSByteSize: 0 bytes/workgroup (compile time only)
; SGPRBlocks: 0
; VGPRBlocks: 0
; NumSGPRsForWavesPerEU: 1
; NumVGPRsForWavesPerEU: 1
; Occupancy: 16
; WaveLimiterHint : 0
; COMPUTE_PGM_RSRC2:SCRATCH_EN: 0
; COMPUTE_PGM_RSRC2:USER_SGPR: 2
; COMPUTE_PGM_RSRC2:TRAP_HANDLER: 0
; COMPUTE_PGM_RSRC2:TGID_X_EN: 1
; COMPUTE_PGM_RSRC2:TGID_Y_EN: 0
; COMPUTE_PGM_RSRC2:TGID_Z_EN: 0
; COMPUTE_PGM_RSRC2:TIDIG_COMP_CNT: 0
	.section	.text._ZN7rocprim17ROCPRIM_400000_NS6detail17trampoline_kernelINS0_13select_configILj256ELj13ELNS0_17block_load_methodE3ELS4_3ELS4_3ELNS0_20block_scan_algorithmE0ELj4294967295EEENS1_25partition_config_selectorILNS1_17partition_subalgoE3EjNS0_10empty_typeEbEEZZNS1_14partition_implILS8_3ELb0ES6_jNS0_17counting_iteratorIjlEEPS9_SE_NS0_5tupleIJPjSE_EEENSF_IJSE_SE_EEES9_SG_JZNS1_25segmented_radix_sort_implINS0_14default_configELb0EPKiPiPKlPlN2at6native12_GLOBAL__N_18offset_tEEE10hipError_tPvRmT1_PNSt15iterator_traitsISY_E10value_typeET2_T3_PNSZ_IS14_E10value_typeET4_jRbjT5_S1A_jjP12ihipStream_tbEUljE_EEESV_SW_SX_S14_S18_S1A_T6_T7_T9_mT8_S1C_bDpT10_ENKUlT_T0_E_clISt17integral_constantIbLb0EES1P_EEDaS1K_S1L_EUlS1K_E_NS1_11comp_targetILNS1_3genE3ELNS1_11target_archE908ELNS1_3gpuE7ELNS1_3repE0EEENS1_30default_config_static_selectorELNS0_4arch9wavefront6targetE0EEEvSY_,"axG",@progbits,_ZN7rocprim17ROCPRIM_400000_NS6detail17trampoline_kernelINS0_13select_configILj256ELj13ELNS0_17block_load_methodE3ELS4_3ELS4_3ELNS0_20block_scan_algorithmE0ELj4294967295EEENS1_25partition_config_selectorILNS1_17partition_subalgoE3EjNS0_10empty_typeEbEEZZNS1_14partition_implILS8_3ELb0ES6_jNS0_17counting_iteratorIjlEEPS9_SE_NS0_5tupleIJPjSE_EEENSF_IJSE_SE_EEES9_SG_JZNS1_25segmented_radix_sort_implINS0_14default_configELb0EPKiPiPKlPlN2at6native12_GLOBAL__N_18offset_tEEE10hipError_tPvRmT1_PNSt15iterator_traitsISY_E10value_typeET2_T3_PNSZ_IS14_E10value_typeET4_jRbjT5_S1A_jjP12ihipStream_tbEUljE_EEESV_SW_SX_S14_S18_S1A_T6_T7_T9_mT8_S1C_bDpT10_ENKUlT_T0_E_clISt17integral_constantIbLb0EES1P_EEDaS1K_S1L_EUlS1K_E_NS1_11comp_targetILNS1_3genE3ELNS1_11target_archE908ELNS1_3gpuE7ELNS1_3repE0EEENS1_30default_config_static_selectorELNS0_4arch9wavefront6targetE0EEEvSY_,comdat
	.globl	_ZN7rocprim17ROCPRIM_400000_NS6detail17trampoline_kernelINS0_13select_configILj256ELj13ELNS0_17block_load_methodE3ELS4_3ELS4_3ELNS0_20block_scan_algorithmE0ELj4294967295EEENS1_25partition_config_selectorILNS1_17partition_subalgoE3EjNS0_10empty_typeEbEEZZNS1_14partition_implILS8_3ELb0ES6_jNS0_17counting_iteratorIjlEEPS9_SE_NS0_5tupleIJPjSE_EEENSF_IJSE_SE_EEES9_SG_JZNS1_25segmented_radix_sort_implINS0_14default_configELb0EPKiPiPKlPlN2at6native12_GLOBAL__N_18offset_tEEE10hipError_tPvRmT1_PNSt15iterator_traitsISY_E10value_typeET2_T3_PNSZ_IS14_E10value_typeET4_jRbjT5_S1A_jjP12ihipStream_tbEUljE_EEESV_SW_SX_S14_S18_S1A_T6_T7_T9_mT8_S1C_bDpT10_ENKUlT_T0_E_clISt17integral_constantIbLb0EES1P_EEDaS1K_S1L_EUlS1K_E_NS1_11comp_targetILNS1_3genE3ELNS1_11target_archE908ELNS1_3gpuE7ELNS1_3repE0EEENS1_30default_config_static_selectorELNS0_4arch9wavefront6targetE0EEEvSY_ ; -- Begin function _ZN7rocprim17ROCPRIM_400000_NS6detail17trampoline_kernelINS0_13select_configILj256ELj13ELNS0_17block_load_methodE3ELS4_3ELS4_3ELNS0_20block_scan_algorithmE0ELj4294967295EEENS1_25partition_config_selectorILNS1_17partition_subalgoE3EjNS0_10empty_typeEbEEZZNS1_14partition_implILS8_3ELb0ES6_jNS0_17counting_iteratorIjlEEPS9_SE_NS0_5tupleIJPjSE_EEENSF_IJSE_SE_EEES9_SG_JZNS1_25segmented_radix_sort_implINS0_14default_configELb0EPKiPiPKlPlN2at6native12_GLOBAL__N_18offset_tEEE10hipError_tPvRmT1_PNSt15iterator_traitsISY_E10value_typeET2_T3_PNSZ_IS14_E10value_typeET4_jRbjT5_S1A_jjP12ihipStream_tbEUljE_EEESV_SW_SX_S14_S18_S1A_T6_T7_T9_mT8_S1C_bDpT10_ENKUlT_T0_E_clISt17integral_constantIbLb0EES1P_EEDaS1K_S1L_EUlS1K_E_NS1_11comp_targetILNS1_3genE3ELNS1_11target_archE908ELNS1_3gpuE7ELNS1_3repE0EEENS1_30default_config_static_selectorELNS0_4arch9wavefront6targetE0EEEvSY_
	.p2align	8
	.type	_ZN7rocprim17ROCPRIM_400000_NS6detail17trampoline_kernelINS0_13select_configILj256ELj13ELNS0_17block_load_methodE3ELS4_3ELS4_3ELNS0_20block_scan_algorithmE0ELj4294967295EEENS1_25partition_config_selectorILNS1_17partition_subalgoE3EjNS0_10empty_typeEbEEZZNS1_14partition_implILS8_3ELb0ES6_jNS0_17counting_iteratorIjlEEPS9_SE_NS0_5tupleIJPjSE_EEENSF_IJSE_SE_EEES9_SG_JZNS1_25segmented_radix_sort_implINS0_14default_configELb0EPKiPiPKlPlN2at6native12_GLOBAL__N_18offset_tEEE10hipError_tPvRmT1_PNSt15iterator_traitsISY_E10value_typeET2_T3_PNSZ_IS14_E10value_typeET4_jRbjT5_S1A_jjP12ihipStream_tbEUljE_EEESV_SW_SX_S14_S18_S1A_T6_T7_T9_mT8_S1C_bDpT10_ENKUlT_T0_E_clISt17integral_constantIbLb0EES1P_EEDaS1K_S1L_EUlS1K_E_NS1_11comp_targetILNS1_3genE3ELNS1_11target_archE908ELNS1_3gpuE7ELNS1_3repE0EEENS1_30default_config_static_selectorELNS0_4arch9wavefront6targetE0EEEvSY_,@function
_ZN7rocprim17ROCPRIM_400000_NS6detail17trampoline_kernelINS0_13select_configILj256ELj13ELNS0_17block_load_methodE3ELS4_3ELS4_3ELNS0_20block_scan_algorithmE0ELj4294967295EEENS1_25partition_config_selectorILNS1_17partition_subalgoE3EjNS0_10empty_typeEbEEZZNS1_14partition_implILS8_3ELb0ES6_jNS0_17counting_iteratorIjlEEPS9_SE_NS0_5tupleIJPjSE_EEENSF_IJSE_SE_EEES9_SG_JZNS1_25segmented_radix_sort_implINS0_14default_configELb0EPKiPiPKlPlN2at6native12_GLOBAL__N_18offset_tEEE10hipError_tPvRmT1_PNSt15iterator_traitsISY_E10value_typeET2_T3_PNSZ_IS14_E10value_typeET4_jRbjT5_S1A_jjP12ihipStream_tbEUljE_EEESV_SW_SX_S14_S18_S1A_T6_T7_T9_mT8_S1C_bDpT10_ENKUlT_T0_E_clISt17integral_constantIbLb0EES1P_EEDaS1K_S1L_EUlS1K_E_NS1_11comp_targetILNS1_3genE3ELNS1_11target_archE908ELNS1_3gpuE7ELNS1_3repE0EEENS1_30default_config_static_selectorELNS0_4arch9wavefront6targetE0EEEvSY_: ; @_ZN7rocprim17ROCPRIM_400000_NS6detail17trampoline_kernelINS0_13select_configILj256ELj13ELNS0_17block_load_methodE3ELS4_3ELS4_3ELNS0_20block_scan_algorithmE0ELj4294967295EEENS1_25partition_config_selectorILNS1_17partition_subalgoE3EjNS0_10empty_typeEbEEZZNS1_14partition_implILS8_3ELb0ES6_jNS0_17counting_iteratorIjlEEPS9_SE_NS0_5tupleIJPjSE_EEENSF_IJSE_SE_EEES9_SG_JZNS1_25segmented_radix_sort_implINS0_14default_configELb0EPKiPiPKlPlN2at6native12_GLOBAL__N_18offset_tEEE10hipError_tPvRmT1_PNSt15iterator_traitsISY_E10value_typeET2_T3_PNSZ_IS14_E10value_typeET4_jRbjT5_S1A_jjP12ihipStream_tbEUljE_EEESV_SW_SX_S14_S18_S1A_T6_T7_T9_mT8_S1C_bDpT10_ENKUlT_T0_E_clISt17integral_constantIbLb0EES1P_EEDaS1K_S1L_EUlS1K_E_NS1_11comp_targetILNS1_3genE3ELNS1_11target_archE908ELNS1_3gpuE7ELNS1_3repE0EEENS1_30default_config_static_selectorELNS0_4arch9wavefront6targetE0EEEvSY_
; %bb.0:
	.section	.rodata,"a",@progbits
	.p2align	6, 0x0
	.amdhsa_kernel _ZN7rocprim17ROCPRIM_400000_NS6detail17trampoline_kernelINS0_13select_configILj256ELj13ELNS0_17block_load_methodE3ELS4_3ELS4_3ELNS0_20block_scan_algorithmE0ELj4294967295EEENS1_25partition_config_selectorILNS1_17partition_subalgoE3EjNS0_10empty_typeEbEEZZNS1_14partition_implILS8_3ELb0ES6_jNS0_17counting_iteratorIjlEEPS9_SE_NS0_5tupleIJPjSE_EEENSF_IJSE_SE_EEES9_SG_JZNS1_25segmented_radix_sort_implINS0_14default_configELb0EPKiPiPKlPlN2at6native12_GLOBAL__N_18offset_tEEE10hipError_tPvRmT1_PNSt15iterator_traitsISY_E10value_typeET2_T3_PNSZ_IS14_E10value_typeET4_jRbjT5_S1A_jjP12ihipStream_tbEUljE_EEESV_SW_SX_S14_S18_S1A_T6_T7_T9_mT8_S1C_bDpT10_ENKUlT_T0_E_clISt17integral_constantIbLb0EES1P_EEDaS1K_S1L_EUlS1K_E_NS1_11comp_targetILNS1_3genE3ELNS1_11target_archE908ELNS1_3gpuE7ELNS1_3repE0EEENS1_30default_config_static_selectorELNS0_4arch9wavefront6targetE0EEEvSY_
		.amdhsa_group_segment_fixed_size 0
		.amdhsa_private_segment_fixed_size 0
		.amdhsa_kernarg_size 144
		.amdhsa_user_sgpr_count 2
		.amdhsa_user_sgpr_dispatch_ptr 0
		.amdhsa_user_sgpr_queue_ptr 0
		.amdhsa_user_sgpr_kernarg_segment_ptr 1
		.amdhsa_user_sgpr_dispatch_id 0
		.amdhsa_user_sgpr_private_segment_size 0
		.amdhsa_wavefront_size32 1
		.amdhsa_uses_dynamic_stack 0
		.amdhsa_enable_private_segment 0
		.amdhsa_system_sgpr_workgroup_id_x 1
		.amdhsa_system_sgpr_workgroup_id_y 0
		.amdhsa_system_sgpr_workgroup_id_z 0
		.amdhsa_system_sgpr_workgroup_info 0
		.amdhsa_system_vgpr_workitem_id 0
		.amdhsa_next_free_vgpr 1
		.amdhsa_next_free_sgpr 1
		.amdhsa_reserve_vcc 0
		.amdhsa_float_round_mode_32 0
		.amdhsa_float_round_mode_16_64 0
		.amdhsa_float_denorm_mode_32 3
		.amdhsa_float_denorm_mode_16_64 3
		.amdhsa_fp16_overflow 0
		.amdhsa_workgroup_processor_mode 1
		.amdhsa_memory_ordered 1
		.amdhsa_forward_progress 1
		.amdhsa_inst_pref_size 0
		.amdhsa_round_robin_scheduling 0
		.amdhsa_exception_fp_ieee_invalid_op 0
		.amdhsa_exception_fp_denorm_src 0
		.amdhsa_exception_fp_ieee_div_zero 0
		.amdhsa_exception_fp_ieee_overflow 0
		.amdhsa_exception_fp_ieee_underflow 0
		.amdhsa_exception_fp_ieee_inexact 0
		.amdhsa_exception_int_div_zero 0
	.end_amdhsa_kernel
	.section	.text._ZN7rocprim17ROCPRIM_400000_NS6detail17trampoline_kernelINS0_13select_configILj256ELj13ELNS0_17block_load_methodE3ELS4_3ELS4_3ELNS0_20block_scan_algorithmE0ELj4294967295EEENS1_25partition_config_selectorILNS1_17partition_subalgoE3EjNS0_10empty_typeEbEEZZNS1_14partition_implILS8_3ELb0ES6_jNS0_17counting_iteratorIjlEEPS9_SE_NS0_5tupleIJPjSE_EEENSF_IJSE_SE_EEES9_SG_JZNS1_25segmented_radix_sort_implINS0_14default_configELb0EPKiPiPKlPlN2at6native12_GLOBAL__N_18offset_tEEE10hipError_tPvRmT1_PNSt15iterator_traitsISY_E10value_typeET2_T3_PNSZ_IS14_E10value_typeET4_jRbjT5_S1A_jjP12ihipStream_tbEUljE_EEESV_SW_SX_S14_S18_S1A_T6_T7_T9_mT8_S1C_bDpT10_ENKUlT_T0_E_clISt17integral_constantIbLb0EES1P_EEDaS1K_S1L_EUlS1K_E_NS1_11comp_targetILNS1_3genE3ELNS1_11target_archE908ELNS1_3gpuE7ELNS1_3repE0EEENS1_30default_config_static_selectorELNS0_4arch9wavefront6targetE0EEEvSY_,"axG",@progbits,_ZN7rocprim17ROCPRIM_400000_NS6detail17trampoline_kernelINS0_13select_configILj256ELj13ELNS0_17block_load_methodE3ELS4_3ELS4_3ELNS0_20block_scan_algorithmE0ELj4294967295EEENS1_25partition_config_selectorILNS1_17partition_subalgoE3EjNS0_10empty_typeEbEEZZNS1_14partition_implILS8_3ELb0ES6_jNS0_17counting_iteratorIjlEEPS9_SE_NS0_5tupleIJPjSE_EEENSF_IJSE_SE_EEES9_SG_JZNS1_25segmented_radix_sort_implINS0_14default_configELb0EPKiPiPKlPlN2at6native12_GLOBAL__N_18offset_tEEE10hipError_tPvRmT1_PNSt15iterator_traitsISY_E10value_typeET2_T3_PNSZ_IS14_E10value_typeET4_jRbjT5_S1A_jjP12ihipStream_tbEUljE_EEESV_SW_SX_S14_S18_S1A_T6_T7_T9_mT8_S1C_bDpT10_ENKUlT_T0_E_clISt17integral_constantIbLb0EES1P_EEDaS1K_S1L_EUlS1K_E_NS1_11comp_targetILNS1_3genE3ELNS1_11target_archE908ELNS1_3gpuE7ELNS1_3repE0EEENS1_30default_config_static_selectorELNS0_4arch9wavefront6targetE0EEEvSY_,comdat
.Lfunc_end571:
	.size	_ZN7rocprim17ROCPRIM_400000_NS6detail17trampoline_kernelINS0_13select_configILj256ELj13ELNS0_17block_load_methodE3ELS4_3ELS4_3ELNS0_20block_scan_algorithmE0ELj4294967295EEENS1_25partition_config_selectorILNS1_17partition_subalgoE3EjNS0_10empty_typeEbEEZZNS1_14partition_implILS8_3ELb0ES6_jNS0_17counting_iteratorIjlEEPS9_SE_NS0_5tupleIJPjSE_EEENSF_IJSE_SE_EEES9_SG_JZNS1_25segmented_radix_sort_implINS0_14default_configELb0EPKiPiPKlPlN2at6native12_GLOBAL__N_18offset_tEEE10hipError_tPvRmT1_PNSt15iterator_traitsISY_E10value_typeET2_T3_PNSZ_IS14_E10value_typeET4_jRbjT5_S1A_jjP12ihipStream_tbEUljE_EEESV_SW_SX_S14_S18_S1A_T6_T7_T9_mT8_S1C_bDpT10_ENKUlT_T0_E_clISt17integral_constantIbLb0EES1P_EEDaS1K_S1L_EUlS1K_E_NS1_11comp_targetILNS1_3genE3ELNS1_11target_archE908ELNS1_3gpuE7ELNS1_3repE0EEENS1_30default_config_static_selectorELNS0_4arch9wavefront6targetE0EEEvSY_, .Lfunc_end571-_ZN7rocprim17ROCPRIM_400000_NS6detail17trampoline_kernelINS0_13select_configILj256ELj13ELNS0_17block_load_methodE3ELS4_3ELS4_3ELNS0_20block_scan_algorithmE0ELj4294967295EEENS1_25partition_config_selectorILNS1_17partition_subalgoE3EjNS0_10empty_typeEbEEZZNS1_14partition_implILS8_3ELb0ES6_jNS0_17counting_iteratorIjlEEPS9_SE_NS0_5tupleIJPjSE_EEENSF_IJSE_SE_EEES9_SG_JZNS1_25segmented_radix_sort_implINS0_14default_configELb0EPKiPiPKlPlN2at6native12_GLOBAL__N_18offset_tEEE10hipError_tPvRmT1_PNSt15iterator_traitsISY_E10value_typeET2_T3_PNSZ_IS14_E10value_typeET4_jRbjT5_S1A_jjP12ihipStream_tbEUljE_EEESV_SW_SX_S14_S18_S1A_T6_T7_T9_mT8_S1C_bDpT10_ENKUlT_T0_E_clISt17integral_constantIbLb0EES1P_EEDaS1K_S1L_EUlS1K_E_NS1_11comp_targetILNS1_3genE3ELNS1_11target_archE908ELNS1_3gpuE7ELNS1_3repE0EEENS1_30default_config_static_selectorELNS0_4arch9wavefront6targetE0EEEvSY_
                                        ; -- End function
	.set _ZN7rocprim17ROCPRIM_400000_NS6detail17trampoline_kernelINS0_13select_configILj256ELj13ELNS0_17block_load_methodE3ELS4_3ELS4_3ELNS0_20block_scan_algorithmE0ELj4294967295EEENS1_25partition_config_selectorILNS1_17partition_subalgoE3EjNS0_10empty_typeEbEEZZNS1_14partition_implILS8_3ELb0ES6_jNS0_17counting_iteratorIjlEEPS9_SE_NS0_5tupleIJPjSE_EEENSF_IJSE_SE_EEES9_SG_JZNS1_25segmented_radix_sort_implINS0_14default_configELb0EPKiPiPKlPlN2at6native12_GLOBAL__N_18offset_tEEE10hipError_tPvRmT1_PNSt15iterator_traitsISY_E10value_typeET2_T3_PNSZ_IS14_E10value_typeET4_jRbjT5_S1A_jjP12ihipStream_tbEUljE_EEESV_SW_SX_S14_S18_S1A_T6_T7_T9_mT8_S1C_bDpT10_ENKUlT_T0_E_clISt17integral_constantIbLb0EES1P_EEDaS1K_S1L_EUlS1K_E_NS1_11comp_targetILNS1_3genE3ELNS1_11target_archE908ELNS1_3gpuE7ELNS1_3repE0EEENS1_30default_config_static_selectorELNS0_4arch9wavefront6targetE0EEEvSY_.num_vgpr, 0
	.set _ZN7rocprim17ROCPRIM_400000_NS6detail17trampoline_kernelINS0_13select_configILj256ELj13ELNS0_17block_load_methodE3ELS4_3ELS4_3ELNS0_20block_scan_algorithmE0ELj4294967295EEENS1_25partition_config_selectorILNS1_17partition_subalgoE3EjNS0_10empty_typeEbEEZZNS1_14partition_implILS8_3ELb0ES6_jNS0_17counting_iteratorIjlEEPS9_SE_NS0_5tupleIJPjSE_EEENSF_IJSE_SE_EEES9_SG_JZNS1_25segmented_radix_sort_implINS0_14default_configELb0EPKiPiPKlPlN2at6native12_GLOBAL__N_18offset_tEEE10hipError_tPvRmT1_PNSt15iterator_traitsISY_E10value_typeET2_T3_PNSZ_IS14_E10value_typeET4_jRbjT5_S1A_jjP12ihipStream_tbEUljE_EEESV_SW_SX_S14_S18_S1A_T6_T7_T9_mT8_S1C_bDpT10_ENKUlT_T0_E_clISt17integral_constantIbLb0EES1P_EEDaS1K_S1L_EUlS1K_E_NS1_11comp_targetILNS1_3genE3ELNS1_11target_archE908ELNS1_3gpuE7ELNS1_3repE0EEENS1_30default_config_static_selectorELNS0_4arch9wavefront6targetE0EEEvSY_.num_agpr, 0
	.set _ZN7rocprim17ROCPRIM_400000_NS6detail17trampoline_kernelINS0_13select_configILj256ELj13ELNS0_17block_load_methodE3ELS4_3ELS4_3ELNS0_20block_scan_algorithmE0ELj4294967295EEENS1_25partition_config_selectorILNS1_17partition_subalgoE3EjNS0_10empty_typeEbEEZZNS1_14partition_implILS8_3ELb0ES6_jNS0_17counting_iteratorIjlEEPS9_SE_NS0_5tupleIJPjSE_EEENSF_IJSE_SE_EEES9_SG_JZNS1_25segmented_radix_sort_implINS0_14default_configELb0EPKiPiPKlPlN2at6native12_GLOBAL__N_18offset_tEEE10hipError_tPvRmT1_PNSt15iterator_traitsISY_E10value_typeET2_T3_PNSZ_IS14_E10value_typeET4_jRbjT5_S1A_jjP12ihipStream_tbEUljE_EEESV_SW_SX_S14_S18_S1A_T6_T7_T9_mT8_S1C_bDpT10_ENKUlT_T0_E_clISt17integral_constantIbLb0EES1P_EEDaS1K_S1L_EUlS1K_E_NS1_11comp_targetILNS1_3genE3ELNS1_11target_archE908ELNS1_3gpuE7ELNS1_3repE0EEENS1_30default_config_static_selectorELNS0_4arch9wavefront6targetE0EEEvSY_.numbered_sgpr, 0
	.set _ZN7rocprim17ROCPRIM_400000_NS6detail17trampoline_kernelINS0_13select_configILj256ELj13ELNS0_17block_load_methodE3ELS4_3ELS4_3ELNS0_20block_scan_algorithmE0ELj4294967295EEENS1_25partition_config_selectorILNS1_17partition_subalgoE3EjNS0_10empty_typeEbEEZZNS1_14partition_implILS8_3ELb0ES6_jNS0_17counting_iteratorIjlEEPS9_SE_NS0_5tupleIJPjSE_EEENSF_IJSE_SE_EEES9_SG_JZNS1_25segmented_radix_sort_implINS0_14default_configELb0EPKiPiPKlPlN2at6native12_GLOBAL__N_18offset_tEEE10hipError_tPvRmT1_PNSt15iterator_traitsISY_E10value_typeET2_T3_PNSZ_IS14_E10value_typeET4_jRbjT5_S1A_jjP12ihipStream_tbEUljE_EEESV_SW_SX_S14_S18_S1A_T6_T7_T9_mT8_S1C_bDpT10_ENKUlT_T0_E_clISt17integral_constantIbLb0EES1P_EEDaS1K_S1L_EUlS1K_E_NS1_11comp_targetILNS1_3genE3ELNS1_11target_archE908ELNS1_3gpuE7ELNS1_3repE0EEENS1_30default_config_static_selectorELNS0_4arch9wavefront6targetE0EEEvSY_.num_named_barrier, 0
	.set _ZN7rocprim17ROCPRIM_400000_NS6detail17trampoline_kernelINS0_13select_configILj256ELj13ELNS0_17block_load_methodE3ELS4_3ELS4_3ELNS0_20block_scan_algorithmE0ELj4294967295EEENS1_25partition_config_selectorILNS1_17partition_subalgoE3EjNS0_10empty_typeEbEEZZNS1_14partition_implILS8_3ELb0ES6_jNS0_17counting_iteratorIjlEEPS9_SE_NS0_5tupleIJPjSE_EEENSF_IJSE_SE_EEES9_SG_JZNS1_25segmented_radix_sort_implINS0_14default_configELb0EPKiPiPKlPlN2at6native12_GLOBAL__N_18offset_tEEE10hipError_tPvRmT1_PNSt15iterator_traitsISY_E10value_typeET2_T3_PNSZ_IS14_E10value_typeET4_jRbjT5_S1A_jjP12ihipStream_tbEUljE_EEESV_SW_SX_S14_S18_S1A_T6_T7_T9_mT8_S1C_bDpT10_ENKUlT_T0_E_clISt17integral_constantIbLb0EES1P_EEDaS1K_S1L_EUlS1K_E_NS1_11comp_targetILNS1_3genE3ELNS1_11target_archE908ELNS1_3gpuE7ELNS1_3repE0EEENS1_30default_config_static_selectorELNS0_4arch9wavefront6targetE0EEEvSY_.private_seg_size, 0
	.set _ZN7rocprim17ROCPRIM_400000_NS6detail17trampoline_kernelINS0_13select_configILj256ELj13ELNS0_17block_load_methodE3ELS4_3ELS4_3ELNS0_20block_scan_algorithmE0ELj4294967295EEENS1_25partition_config_selectorILNS1_17partition_subalgoE3EjNS0_10empty_typeEbEEZZNS1_14partition_implILS8_3ELb0ES6_jNS0_17counting_iteratorIjlEEPS9_SE_NS0_5tupleIJPjSE_EEENSF_IJSE_SE_EEES9_SG_JZNS1_25segmented_radix_sort_implINS0_14default_configELb0EPKiPiPKlPlN2at6native12_GLOBAL__N_18offset_tEEE10hipError_tPvRmT1_PNSt15iterator_traitsISY_E10value_typeET2_T3_PNSZ_IS14_E10value_typeET4_jRbjT5_S1A_jjP12ihipStream_tbEUljE_EEESV_SW_SX_S14_S18_S1A_T6_T7_T9_mT8_S1C_bDpT10_ENKUlT_T0_E_clISt17integral_constantIbLb0EES1P_EEDaS1K_S1L_EUlS1K_E_NS1_11comp_targetILNS1_3genE3ELNS1_11target_archE908ELNS1_3gpuE7ELNS1_3repE0EEENS1_30default_config_static_selectorELNS0_4arch9wavefront6targetE0EEEvSY_.uses_vcc, 0
	.set _ZN7rocprim17ROCPRIM_400000_NS6detail17trampoline_kernelINS0_13select_configILj256ELj13ELNS0_17block_load_methodE3ELS4_3ELS4_3ELNS0_20block_scan_algorithmE0ELj4294967295EEENS1_25partition_config_selectorILNS1_17partition_subalgoE3EjNS0_10empty_typeEbEEZZNS1_14partition_implILS8_3ELb0ES6_jNS0_17counting_iteratorIjlEEPS9_SE_NS0_5tupleIJPjSE_EEENSF_IJSE_SE_EEES9_SG_JZNS1_25segmented_radix_sort_implINS0_14default_configELb0EPKiPiPKlPlN2at6native12_GLOBAL__N_18offset_tEEE10hipError_tPvRmT1_PNSt15iterator_traitsISY_E10value_typeET2_T3_PNSZ_IS14_E10value_typeET4_jRbjT5_S1A_jjP12ihipStream_tbEUljE_EEESV_SW_SX_S14_S18_S1A_T6_T7_T9_mT8_S1C_bDpT10_ENKUlT_T0_E_clISt17integral_constantIbLb0EES1P_EEDaS1K_S1L_EUlS1K_E_NS1_11comp_targetILNS1_3genE3ELNS1_11target_archE908ELNS1_3gpuE7ELNS1_3repE0EEENS1_30default_config_static_selectorELNS0_4arch9wavefront6targetE0EEEvSY_.uses_flat_scratch, 0
	.set _ZN7rocprim17ROCPRIM_400000_NS6detail17trampoline_kernelINS0_13select_configILj256ELj13ELNS0_17block_load_methodE3ELS4_3ELS4_3ELNS0_20block_scan_algorithmE0ELj4294967295EEENS1_25partition_config_selectorILNS1_17partition_subalgoE3EjNS0_10empty_typeEbEEZZNS1_14partition_implILS8_3ELb0ES6_jNS0_17counting_iteratorIjlEEPS9_SE_NS0_5tupleIJPjSE_EEENSF_IJSE_SE_EEES9_SG_JZNS1_25segmented_radix_sort_implINS0_14default_configELb0EPKiPiPKlPlN2at6native12_GLOBAL__N_18offset_tEEE10hipError_tPvRmT1_PNSt15iterator_traitsISY_E10value_typeET2_T3_PNSZ_IS14_E10value_typeET4_jRbjT5_S1A_jjP12ihipStream_tbEUljE_EEESV_SW_SX_S14_S18_S1A_T6_T7_T9_mT8_S1C_bDpT10_ENKUlT_T0_E_clISt17integral_constantIbLb0EES1P_EEDaS1K_S1L_EUlS1K_E_NS1_11comp_targetILNS1_3genE3ELNS1_11target_archE908ELNS1_3gpuE7ELNS1_3repE0EEENS1_30default_config_static_selectorELNS0_4arch9wavefront6targetE0EEEvSY_.has_dyn_sized_stack, 0
	.set _ZN7rocprim17ROCPRIM_400000_NS6detail17trampoline_kernelINS0_13select_configILj256ELj13ELNS0_17block_load_methodE3ELS4_3ELS4_3ELNS0_20block_scan_algorithmE0ELj4294967295EEENS1_25partition_config_selectorILNS1_17partition_subalgoE3EjNS0_10empty_typeEbEEZZNS1_14partition_implILS8_3ELb0ES6_jNS0_17counting_iteratorIjlEEPS9_SE_NS0_5tupleIJPjSE_EEENSF_IJSE_SE_EEES9_SG_JZNS1_25segmented_radix_sort_implINS0_14default_configELb0EPKiPiPKlPlN2at6native12_GLOBAL__N_18offset_tEEE10hipError_tPvRmT1_PNSt15iterator_traitsISY_E10value_typeET2_T3_PNSZ_IS14_E10value_typeET4_jRbjT5_S1A_jjP12ihipStream_tbEUljE_EEESV_SW_SX_S14_S18_S1A_T6_T7_T9_mT8_S1C_bDpT10_ENKUlT_T0_E_clISt17integral_constantIbLb0EES1P_EEDaS1K_S1L_EUlS1K_E_NS1_11comp_targetILNS1_3genE3ELNS1_11target_archE908ELNS1_3gpuE7ELNS1_3repE0EEENS1_30default_config_static_selectorELNS0_4arch9wavefront6targetE0EEEvSY_.has_recursion, 0
	.set _ZN7rocprim17ROCPRIM_400000_NS6detail17trampoline_kernelINS0_13select_configILj256ELj13ELNS0_17block_load_methodE3ELS4_3ELS4_3ELNS0_20block_scan_algorithmE0ELj4294967295EEENS1_25partition_config_selectorILNS1_17partition_subalgoE3EjNS0_10empty_typeEbEEZZNS1_14partition_implILS8_3ELb0ES6_jNS0_17counting_iteratorIjlEEPS9_SE_NS0_5tupleIJPjSE_EEENSF_IJSE_SE_EEES9_SG_JZNS1_25segmented_radix_sort_implINS0_14default_configELb0EPKiPiPKlPlN2at6native12_GLOBAL__N_18offset_tEEE10hipError_tPvRmT1_PNSt15iterator_traitsISY_E10value_typeET2_T3_PNSZ_IS14_E10value_typeET4_jRbjT5_S1A_jjP12ihipStream_tbEUljE_EEESV_SW_SX_S14_S18_S1A_T6_T7_T9_mT8_S1C_bDpT10_ENKUlT_T0_E_clISt17integral_constantIbLb0EES1P_EEDaS1K_S1L_EUlS1K_E_NS1_11comp_targetILNS1_3genE3ELNS1_11target_archE908ELNS1_3gpuE7ELNS1_3repE0EEENS1_30default_config_static_selectorELNS0_4arch9wavefront6targetE0EEEvSY_.has_indirect_call, 0
	.section	.AMDGPU.csdata,"",@progbits
; Kernel info:
; codeLenInByte = 0
; TotalNumSgprs: 0
; NumVgprs: 0
; ScratchSize: 0
; MemoryBound: 0
; FloatMode: 240
; IeeeMode: 1
; LDSByteSize: 0 bytes/workgroup (compile time only)
; SGPRBlocks: 0
; VGPRBlocks: 0
; NumSGPRsForWavesPerEU: 1
; NumVGPRsForWavesPerEU: 1
; Occupancy: 16
; WaveLimiterHint : 0
; COMPUTE_PGM_RSRC2:SCRATCH_EN: 0
; COMPUTE_PGM_RSRC2:USER_SGPR: 2
; COMPUTE_PGM_RSRC2:TRAP_HANDLER: 0
; COMPUTE_PGM_RSRC2:TGID_X_EN: 1
; COMPUTE_PGM_RSRC2:TGID_Y_EN: 0
; COMPUTE_PGM_RSRC2:TGID_Z_EN: 0
; COMPUTE_PGM_RSRC2:TIDIG_COMP_CNT: 0
	.section	.text._ZN7rocprim17ROCPRIM_400000_NS6detail17trampoline_kernelINS0_13select_configILj256ELj13ELNS0_17block_load_methodE3ELS4_3ELS4_3ELNS0_20block_scan_algorithmE0ELj4294967295EEENS1_25partition_config_selectorILNS1_17partition_subalgoE3EjNS0_10empty_typeEbEEZZNS1_14partition_implILS8_3ELb0ES6_jNS0_17counting_iteratorIjlEEPS9_SE_NS0_5tupleIJPjSE_EEENSF_IJSE_SE_EEES9_SG_JZNS1_25segmented_radix_sort_implINS0_14default_configELb0EPKiPiPKlPlN2at6native12_GLOBAL__N_18offset_tEEE10hipError_tPvRmT1_PNSt15iterator_traitsISY_E10value_typeET2_T3_PNSZ_IS14_E10value_typeET4_jRbjT5_S1A_jjP12ihipStream_tbEUljE_EEESV_SW_SX_S14_S18_S1A_T6_T7_T9_mT8_S1C_bDpT10_ENKUlT_T0_E_clISt17integral_constantIbLb0EES1P_EEDaS1K_S1L_EUlS1K_E_NS1_11comp_targetILNS1_3genE2ELNS1_11target_archE906ELNS1_3gpuE6ELNS1_3repE0EEENS1_30default_config_static_selectorELNS0_4arch9wavefront6targetE0EEEvSY_,"axG",@progbits,_ZN7rocprim17ROCPRIM_400000_NS6detail17trampoline_kernelINS0_13select_configILj256ELj13ELNS0_17block_load_methodE3ELS4_3ELS4_3ELNS0_20block_scan_algorithmE0ELj4294967295EEENS1_25partition_config_selectorILNS1_17partition_subalgoE3EjNS0_10empty_typeEbEEZZNS1_14partition_implILS8_3ELb0ES6_jNS0_17counting_iteratorIjlEEPS9_SE_NS0_5tupleIJPjSE_EEENSF_IJSE_SE_EEES9_SG_JZNS1_25segmented_radix_sort_implINS0_14default_configELb0EPKiPiPKlPlN2at6native12_GLOBAL__N_18offset_tEEE10hipError_tPvRmT1_PNSt15iterator_traitsISY_E10value_typeET2_T3_PNSZ_IS14_E10value_typeET4_jRbjT5_S1A_jjP12ihipStream_tbEUljE_EEESV_SW_SX_S14_S18_S1A_T6_T7_T9_mT8_S1C_bDpT10_ENKUlT_T0_E_clISt17integral_constantIbLb0EES1P_EEDaS1K_S1L_EUlS1K_E_NS1_11comp_targetILNS1_3genE2ELNS1_11target_archE906ELNS1_3gpuE6ELNS1_3repE0EEENS1_30default_config_static_selectorELNS0_4arch9wavefront6targetE0EEEvSY_,comdat
	.globl	_ZN7rocprim17ROCPRIM_400000_NS6detail17trampoline_kernelINS0_13select_configILj256ELj13ELNS0_17block_load_methodE3ELS4_3ELS4_3ELNS0_20block_scan_algorithmE0ELj4294967295EEENS1_25partition_config_selectorILNS1_17partition_subalgoE3EjNS0_10empty_typeEbEEZZNS1_14partition_implILS8_3ELb0ES6_jNS0_17counting_iteratorIjlEEPS9_SE_NS0_5tupleIJPjSE_EEENSF_IJSE_SE_EEES9_SG_JZNS1_25segmented_radix_sort_implINS0_14default_configELb0EPKiPiPKlPlN2at6native12_GLOBAL__N_18offset_tEEE10hipError_tPvRmT1_PNSt15iterator_traitsISY_E10value_typeET2_T3_PNSZ_IS14_E10value_typeET4_jRbjT5_S1A_jjP12ihipStream_tbEUljE_EEESV_SW_SX_S14_S18_S1A_T6_T7_T9_mT8_S1C_bDpT10_ENKUlT_T0_E_clISt17integral_constantIbLb0EES1P_EEDaS1K_S1L_EUlS1K_E_NS1_11comp_targetILNS1_3genE2ELNS1_11target_archE906ELNS1_3gpuE6ELNS1_3repE0EEENS1_30default_config_static_selectorELNS0_4arch9wavefront6targetE0EEEvSY_ ; -- Begin function _ZN7rocprim17ROCPRIM_400000_NS6detail17trampoline_kernelINS0_13select_configILj256ELj13ELNS0_17block_load_methodE3ELS4_3ELS4_3ELNS0_20block_scan_algorithmE0ELj4294967295EEENS1_25partition_config_selectorILNS1_17partition_subalgoE3EjNS0_10empty_typeEbEEZZNS1_14partition_implILS8_3ELb0ES6_jNS0_17counting_iteratorIjlEEPS9_SE_NS0_5tupleIJPjSE_EEENSF_IJSE_SE_EEES9_SG_JZNS1_25segmented_radix_sort_implINS0_14default_configELb0EPKiPiPKlPlN2at6native12_GLOBAL__N_18offset_tEEE10hipError_tPvRmT1_PNSt15iterator_traitsISY_E10value_typeET2_T3_PNSZ_IS14_E10value_typeET4_jRbjT5_S1A_jjP12ihipStream_tbEUljE_EEESV_SW_SX_S14_S18_S1A_T6_T7_T9_mT8_S1C_bDpT10_ENKUlT_T0_E_clISt17integral_constantIbLb0EES1P_EEDaS1K_S1L_EUlS1K_E_NS1_11comp_targetILNS1_3genE2ELNS1_11target_archE906ELNS1_3gpuE6ELNS1_3repE0EEENS1_30default_config_static_selectorELNS0_4arch9wavefront6targetE0EEEvSY_
	.p2align	8
	.type	_ZN7rocprim17ROCPRIM_400000_NS6detail17trampoline_kernelINS0_13select_configILj256ELj13ELNS0_17block_load_methodE3ELS4_3ELS4_3ELNS0_20block_scan_algorithmE0ELj4294967295EEENS1_25partition_config_selectorILNS1_17partition_subalgoE3EjNS0_10empty_typeEbEEZZNS1_14partition_implILS8_3ELb0ES6_jNS0_17counting_iteratorIjlEEPS9_SE_NS0_5tupleIJPjSE_EEENSF_IJSE_SE_EEES9_SG_JZNS1_25segmented_radix_sort_implINS0_14default_configELb0EPKiPiPKlPlN2at6native12_GLOBAL__N_18offset_tEEE10hipError_tPvRmT1_PNSt15iterator_traitsISY_E10value_typeET2_T3_PNSZ_IS14_E10value_typeET4_jRbjT5_S1A_jjP12ihipStream_tbEUljE_EEESV_SW_SX_S14_S18_S1A_T6_T7_T9_mT8_S1C_bDpT10_ENKUlT_T0_E_clISt17integral_constantIbLb0EES1P_EEDaS1K_S1L_EUlS1K_E_NS1_11comp_targetILNS1_3genE2ELNS1_11target_archE906ELNS1_3gpuE6ELNS1_3repE0EEENS1_30default_config_static_selectorELNS0_4arch9wavefront6targetE0EEEvSY_,@function
_ZN7rocprim17ROCPRIM_400000_NS6detail17trampoline_kernelINS0_13select_configILj256ELj13ELNS0_17block_load_methodE3ELS4_3ELS4_3ELNS0_20block_scan_algorithmE0ELj4294967295EEENS1_25partition_config_selectorILNS1_17partition_subalgoE3EjNS0_10empty_typeEbEEZZNS1_14partition_implILS8_3ELb0ES6_jNS0_17counting_iteratorIjlEEPS9_SE_NS0_5tupleIJPjSE_EEENSF_IJSE_SE_EEES9_SG_JZNS1_25segmented_radix_sort_implINS0_14default_configELb0EPKiPiPKlPlN2at6native12_GLOBAL__N_18offset_tEEE10hipError_tPvRmT1_PNSt15iterator_traitsISY_E10value_typeET2_T3_PNSZ_IS14_E10value_typeET4_jRbjT5_S1A_jjP12ihipStream_tbEUljE_EEESV_SW_SX_S14_S18_S1A_T6_T7_T9_mT8_S1C_bDpT10_ENKUlT_T0_E_clISt17integral_constantIbLb0EES1P_EEDaS1K_S1L_EUlS1K_E_NS1_11comp_targetILNS1_3genE2ELNS1_11target_archE906ELNS1_3gpuE6ELNS1_3repE0EEENS1_30default_config_static_selectorELNS0_4arch9wavefront6targetE0EEEvSY_: ; @_ZN7rocprim17ROCPRIM_400000_NS6detail17trampoline_kernelINS0_13select_configILj256ELj13ELNS0_17block_load_methodE3ELS4_3ELS4_3ELNS0_20block_scan_algorithmE0ELj4294967295EEENS1_25partition_config_selectorILNS1_17partition_subalgoE3EjNS0_10empty_typeEbEEZZNS1_14partition_implILS8_3ELb0ES6_jNS0_17counting_iteratorIjlEEPS9_SE_NS0_5tupleIJPjSE_EEENSF_IJSE_SE_EEES9_SG_JZNS1_25segmented_radix_sort_implINS0_14default_configELb0EPKiPiPKlPlN2at6native12_GLOBAL__N_18offset_tEEE10hipError_tPvRmT1_PNSt15iterator_traitsISY_E10value_typeET2_T3_PNSZ_IS14_E10value_typeET4_jRbjT5_S1A_jjP12ihipStream_tbEUljE_EEESV_SW_SX_S14_S18_S1A_T6_T7_T9_mT8_S1C_bDpT10_ENKUlT_T0_E_clISt17integral_constantIbLb0EES1P_EEDaS1K_S1L_EUlS1K_E_NS1_11comp_targetILNS1_3genE2ELNS1_11target_archE906ELNS1_3gpuE6ELNS1_3repE0EEENS1_30default_config_static_selectorELNS0_4arch9wavefront6targetE0EEEvSY_
; %bb.0:
	.section	.rodata,"a",@progbits
	.p2align	6, 0x0
	.amdhsa_kernel _ZN7rocprim17ROCPRIM_400000_NS6detail17trampoline_kernelINS0_13select_configILj256ELj13ELNS0_17block_load_methodE3ELS4_3ELS4_3ELNS0_20block_scan_algorithmE0ELj4294967295EEENS1_25partition_config_selectorILNS1_17partition_subalgoE3EjNS0_10empty_typeEbEEZZNS1_14partition_implILS8_3ELb0ES6_jNS0_17counting_iteratorIjlEEPS9_SE_NS0_5tupleIJPjSE_EEENSF_IJSE_SE_EEES9_SG_JZNS1_25segmented_radix_sort_implINS0_14default_configELb0EPKiPiPKlPlN2at6native12_GLOBAL__N_18offset_tEEE10hipError_tPvRmT1_PNSt15iterator_traitsISY_E10value_typeET2_T3_PNSZ_IS14_E10value_typeET4_jRbjT5_S1A_jjP12ihipStream_tbEUljE_EEESV_SW_SX_S14_S18_S1A_T6_T7_T9_mT8_S1C_bDpT10_ENKUlT_T0_E_clISt17integral_constantIbLb0EES1P_EEDaS1K_S1L_EUlS1K_E_NS1_11comp_targetILNS1_3genE2ELNS1_11target_archE906ELNS1_3gpuE6ELNS1_3repE0EEENS1_30default_config_static_selectorELNS0_4arch9wavefront6targetE0EEEvSY_
		.amdhsa_group_segment_fixed_size 0
		.amdhsa_private_segment_fixed_size 0
		.amdhsa_kernarg_size 144
		.amdhsa_user_sgpr_count 2
		.amdhsa_user_sgpr_dispatch_ptr 0
		.amdhsa_user_sgpr_queue_ptr 0
		.amdhsa_user_sgpr_kernarg_segment_ptr 1
		.amdhsa_user_sgpr_dispatch_id 0
		.amdhsa_user_sgpr_private_segment_size 0
		.amdhsa_wavefront_size32 1
		.amdhsa_uses_dynamic_stack 0
		.amdhsa_enable_private_segment 0
		.amdhsa_system_sgpr_workgroup_id_x 1
		.amdhsa_system_sgpr_workgroup_id_y 0
		.amdhsa_system_sgpr_workgroup_id_z 0
		.amdhsa_system_sgpr_workgroup_info 0
		.amdhsa_system_vgpr_workitem_id 0
		.amdhsa_next_free_vgpr 1
		.amdhsa_next_free_sgpr 1
		.amdhsa_reserve_vcc 0
		.amdhsa_float_round_mode_32 0
		.amdhsa_float_round_mode_16_64 0
		.amdhsa_float_denorm_mode_32 3
		.amdhsa_float_denorm_mode_16_64 3
		.amdhsa_fp16_overflow 0
		.amdhsa_workgroup_processor_mode 1
		.amdhsa_memory_ordered 1
		.amdhsa_forward_progress 1
		.amdhsa_inst_pref_size 0
		.amdhsa_round_robin_scheduling 0
		.amdhsa_exception_fp_ieee_invalid_op 0
		.amdhsa_exception_fp_denorm_src 0
		.amdhsa_exception_fp_ieee_div_zero 0
		.amdhsa_exception_fp_ieee_overflow 0
		.amdhsa_exception_fp_ieee_underflow 0
		.amdhsa_exception_fp_ieee_inexact 0
		.amdhsa_exception_int_div_zero 0
	.end_amdhsa_kernel
	.section	.text._ZN7rocprim17ROCPRIM_400000_NS6detail17trampoline_kernelINS0_13select_configILj256ELj13ELNS0_17block_load_methodE3ELS4_3ELS4_3ELNS0_20block_scan_algorithmE0ELj4294967295EEENS1_25partition_config_selectorILNS1_17partition_subalgoE3EjNS0_10empty_typeEbEEZZNS1_14partition_implILS8_3ELb0ES6_jNS0_17counting_iteratorIjlEEPS9_SE_NS0_5tupleIJPjSE_EEENSF_IJSE_SE_EEES9_SG_JZNS1_25segmented_radix_sort_implINS0_14default_configELb0EPKiPiPKlPlN2at6native12_GLOBAL__N_18offset_tEEE10hipError_tPvRmT1_PNSt15iterator_traitsISY_E10value_typeET2_T3_PNSZ_IS14_E10value_typeET4_jRbjT5_S1A_jjP12ihipStream_tbEUljE_EEESV_SW_SX_S14_S18_S1A_T6_T7_T9_mT8_S1C_bDpT10_ENKUlT_T0_E_clISt17integral_constantIbLb0EES1P_EEDaS1K_S1L_EUlS1K_E_NS1_11comp_targetILNS1_3genE2ELNS1_11target_archE906ELNS1_3gpuE6ELNS1_3repE0EEENS1_30default_config_static_selectorELNS0_4arch9wavefront6targetE0EEEvSY_,"axG",@progbits,_ZN7rocprim17ROCPRIM_400000_NS6detail17trampoline_kernelINS0_13select_configILj256ELj13ELNS0_17block_load_methodE3ELS4_3ELS4_3ELNS0_20block_scan_algorithmE0ELj4294967295EEENS1_25partition_config_selectorILNS1_17partition_subalgoE3EjNS0_10empty_typeEbEEZZNS1_14partition_implILS8_3ELb0ES6_jNS0_17counting_iteratorIjlEEPS9_SE_NS0_5tupleIJPjSE_EEENSF_IJSE_SE_EEES9_SG_JZNS1_25segmented_radix_sort_implINS0_14default_configELb0EPKiPiPKlPlN2at6native12_GLOBAL__N_18offset_tEEE10hipError_tPvRmT1_PNSt15iterator_traitsISY_E10value_typeET2_T3_PNSZ_IS14_E10value_typeET4_jRbjT5_S1A_jjP12ihipStream_tbEUljE_EEESV_SW_SX_S14_S18_S1A_T6_T7_T9_mT8_S1C_bDpT10_ENKUlT_T0_E_clISt17integral_constantIbLb0EES1P_EEDaS1K_S1L_EUlS1K_E_NS1_11comp_targetILNS1_3genE2ELNS1_11target_archE906ELNS1_3gpuE6ELNS1_3repE0EEENS1_30default_config_static_selectorELNS0_4arch9wavefront6targetE0EEEvSY_,comdat
.Lfunc_end572:
	.size	_ZN7rocprim17ROCPRIM_400000_NS6detail17trampoline_kernelINS0_13select_configILj256ELj13ELNS0_17block_load_methodE3ELS4_3ELS4_3ELNS0_20block_scan_algorithmE0ELj4294967295EEENS1_25partition_config_selectorILNS1_17partition_subalgoE3EjNS0_10empty_typeEbEEZZNS1_14partition_implILS8_3ELb0ES6_jNS0_17counting_iteratorIjlEEPS9_SE_NS0_5tupleIJPjSE_EEENSF_IJSE_SE_EEES9_SG_JZNS1_25segmented_radix_sort_implINS0_14default_configELb0EPKiPiPKlPlN2at6native12_GLOBAL__N_18offset_tEEE10hipError_tPvRmT1_PNSt15iterator_traitsISY_E10value_typeET2_T3_PNSZ_IS14_E10value_typeET4_jRbjT5_S1A_jjP12ihipStream_tbEUljE_EEESV_SW_SX_S14_S18_S1A_T6_T7_T9_mT8_S1C_bDpT10_ENKUlT_T0_E_clISt17integral_constantIbLb0EES1P_EEDaS1K_S1L_EUlS1K_E_NS1_11comp_targetILNS1_3genE2ELNS1_11target_archE906ELNS1_3gpuE6ELNS1_3repE0EEENS1_30default_config_static_selectorELNS0_4arch9wavefront6targetE0EEEvSY_, .Lfunc_end572-_ZN7rocprim17ROCPRIM_400000_NS6detail17trampoline_kernelINS0_13select_configILj256ELj13ELNS0_17block_load_methodE3ELS4_3ELS4_3ELNS0_20block_scan_algorithmE0ELj4294967295EEENS1_25partition_config_selectorILNS1_17partition_subalgoE3EjNS0_10empty_typeEbEEZZNS1_14partition_implILS8_3ELb0ES6_jNS0_17counting_iteratorIjlEEPS9_SE_NS0_5tupleIJPjSE_EEENSF_IJSE_SE_EEES9_SG_JZNS1_25segmented_radix_sort_implINS0_14default_configELb0EPKiPiPKlPlN2at6native12_GLOBAL__N_18offset_tEEE10hipError_tPvRmT1_PNSt15iterator_traitsISY_E10value_typeET2_T3_PNSZ_IS14_E10value_typeET4_jRbjT5_S1A_jjP12ihipStream_tbEUljE_EEESV_SW_SX_S14_S18_S1A_T6_T7_T9_mT8_S1C_bDpT10_ENKUlT_T0_E_clISt17integral_constantIbLb0EES1P_EEDaS1K_S1L_EUlS1K_E_NS1_11comp_targetILNS1_3genE2ELNS1_11target_archE906ELNS1_3gpuE6ELNS1_3repE0EEENS1_30default_config_static_selectorELNS0_4arch9wavefront6targetE0EEEvSY_
                                        ; -- End function
	.set _ZN7rocprim17ROCPRIM_400000_NS6detail17trampoline_kernelINS0_13select_configILj256ELj13ELNS0_17block_load_methodE3ELS4_3ELS4_3ELNS0_20block_scan_algorithmE0ELj4294967295EEENS1_25partition_config_selectorILNS1_17partition_subalgoE3EjNS0_10empty_typeEbEEZZNS1_14partition_implILS8_3ELb0ES6_jNS0_17counting_iteratorIjlEEPS9_SE_NS0_5tupleIJPjSE_EEENSF_IJSE_SE_EEES9_SG_JZNS1_25segmented_radix_sort_implINS0_14default_configELb0EPKiPiPKlPlN2at6native12_GLOBAL__N_18offset_tEEE10hipError_tPvRmT1_PNSt15iterator_traitsISY_E10value_typeET2_T3_PNSZ_IS14_E10value_typeET4_jRbjT5_S1A_jjP12ihipStream_tbEUljE_EEESV_SW_SX_S14_S18_S1A_T6_T7_T9_mT8_S1C_bDpT10_ENKUlT_T0_E_clISt17integral_constantIbLb0EES1P_EEDaS1K_S1L_EUlS1K_E_NS1_11comp_targetILNS1_3genE2ELNS1_11target_archE906ELNS1_3gpuE6ELNS1_3repE0EEENS1_30default_config_static_selectorELNS0_4arch9wavefront6targetE0EEEvSY_.num_vgpr, 0
	.set _ZN7rocprim17ROCPRIM_400000_NS6detail17trampoline_kernelINS0_13select_configILj256ELj13ELNS0_17block_load_methodE3ELS4_3ELS4_3ELNS0_20block_scan_algorithmE0ELj4294967295EEENS1_25partition_config_selectorILNS1_17partition_subalgoE3EjNS0_10empty_typeEbEEZZNS1_14partition_implILS8_3ELb0ES6_jNS0_17counting_iteratorIjlEEPS9_SE_NS0_5tupleIJPjSE_EEENSF_IJSE_SE_EEES9_SG_JZNS1_25segmented_radix_sort_implINS0_14default_configELb0EPKiPiPKlPlN2at6native12_GLOBAL__N_18offset_tEEE10hipError_tPvRmT1_PNSt15iterator_traitsISY_E10value_typeET2_T3_PNSZ_IS14_E10value_typeET4_jRbjT5_S1A_jjP12ihipStream_tbEUljE_EEESV_SW_SX_S14_S18_S1A_T6_T7_T9_mT8_S1C_bDpT10_ENKUlT_T0_E_clISt17integral_constantIbLb0EES1P_EEDaS1K_S1L_EUlS1K_E_NS1_11comp_targetILNS1_3genE2ELNS1_11target_archE906ELNS1_3gpuE6ELNS1_3repE0EEENS1_30default_config_static_selectorELNS0_4arch9wavefront6targetE0EEEvSY_.num_agpr, 0
	.set _ZN7rocprim17ROCPRIM_400000_NS6detail17trampoline_kernelINS0_13select_configILj256ELj13ELNS0_17block_load_methodE3ELS4_3ELS4_3ELNS0_20block_scan_algorithmE0ELj4294967295EEENS1_25partition_config_selectorILNS1_17partition_subalgoE3EjNS0_10empty_typeEbEEZZNS1_14partition_implILS8_3ELb0ES6_jNS0_17counting_iteratorIjlEEPS9_SE_NS0_5tupleIJPjSE_EEENSF_IJSE_SE_EEES9_SG_JZNS1_25segmented_radix_sort_implINS0_14default_configELb0EPKiPiPKlPlN2at6native12_GLOBAL__N_18offset_tEEE10hipError_tPvRmT1_PNSt15iterator_traitsISY_E10value_typeET2_T3_PNSZ_IS14_E10value_typeET4_jRbjT5_S1A_jjP12ihipStream_tbEUljE_EEESV_SW_SX_S14_S18_S1A_T6_T7_T9_mT8_S1C_bDpT10_ENKUlT_T0_E_clISt17integral_constantIbLb0EES1P_EEDaS1K_S1L_EUlS1K_E_NS1_11comp_targetILNS1_3genE2ELNS1_11target_archE906ELNS1_3gpuE6ELNS1_3repE0EEENS1_30default_config_static_selectorELNS0_4arch9wavefront6targetE0EEEvSY_.numbered_sgpr, 0
	.set _ZN7rocprim17ROCPRIM_400000_NS6detail17trampoline_kernelINS0_13select_configILj256ELj13ELNS0_17block_load_methodE3ELS4_3ELS4_3ELNS0_20block_scan_algorithmE0ELj4294967295EEENS1_25partition_config_selectorILNS1_17partition_subalgoE3EjNS0_10empty_typeEbEEZZNS1_14partition_implILS8_3ELb0ES6_jNS0_17counting_iteratorIjlEEPS9_SE_NS0_5tupleIJPjSE_EEENSF_IJSE_SE_EEES9_SG_JZNS1_25segmented_radix_sort_implINS0_14default_configELb0EPKiPiPKlPlN2at6native12_GLOBAL__N_18offset_tEEE10hipError_tPvRmT1_PNSt15iterator_traitsISY_E10value_typeET2_T3_PNSZ_IS14_E10value_typeET4_jRbjT5_S1A_jjP12ihipStream_tbEUljE_EEESV_SW_SX_S14_S18_S1A_T6_T7_T9_mT8_S1C_bDpT10_ENKUlT_T0_E_clISt17integral_constantIbLb0EES1P_EEDaS1K_S1L_EUlS1K_E_NS1_11comp_targetILNS1_3genE2ELNS1_11target_archE906ELNS1_3gpuE6ELNS1_3repE0EEENS1_30default_config_static_selectorELNS0_4arch9wavefront6targetE0EEEvSY_.num_named_barrier, 0
	.set _ZN7rocprim17ROCPRIM_400000_NS6detail17trampoline_kernelINS0_13select_configILj256ELj13ELNS0_17block_load_methodE3ELS4_3ELS4_3ELNS0_20block_scan_algorithmE0ELj4294967295EEENS1_25partition_config_selectorILNS1_17partition_subalgoE3EjNS0_10empty_typeEbEEZZNS1_14partition_implILS8_3ELb0ES6_jNS0_17counting_iteratorIjlEEPS9_SE_NS0_5tupleIJPjSE_EEENSF_IJSE_SE_EEES9_SG_JZNS1_25segmented_radix_sort_implINS0_14default_configELb0EPKiPiPKlPlN2at6native12_GLOBAL__N_18offset_tEEE10hipError_tPvRmT1_PNSt15iterator_traitsISY_E10value_typeET2_T3_PNSZ_IS14_E10value_typeET4_jRbjT5_S1A_jjP12ihipStream_tbEUljE_EEESV_SW_SX_S14_S18_S1A_T6_T7_T9_mT8_S1C_bDpT10_ENKUlT_T0_E_clISt17integral_constantIbLb0EES1P_EEDaS1K_S1L_EUlS1K_E_NS1_11comp_targetILNS1_3genE2ELNS1_11target_archE906ELNS1_3gpuE6ELNS1_3repE0EEENS1_30default_config_static_selectorELNS0_4arch9wavefront6targetE0EEEvSY_.private_seg_size, 0
	.set _ZN7rocprim17ROCPRIM_400000_NS6detail17trampoline_kernelINS0_13select_configILj256ELj13ELNS0_17block_load_methodE3ELS4_3ELS4_3ELNS0_20block_scan_algorithmE0ELj4294967295EEENS1_25partition_config_selectorILNS1_17partition_subalgoE3EjNS0_10empty_typeEbEEZZNS1_14partition_implILS8_3ELb0ES6_jNS0_17counting_iteratorIjlEEPS9_SE_NS0_5tupleIJPjSE_EEENSF_IJSE_SE_EEES9_SG_JZNS1_25segmented_radix_sort_implINS0_14default_configELb0EPKiPiPKlPlN2at6native12_GLOBAL__N_18offset_tEEE10hipError_tPvRmT1_PNSt15iterator_traitsISY_E10value_typeET2_T3_PNSZ_IS14_E10value_typeET4_jRbjT5_S1A_jjP12ihipStream_tbEUljE_EEESV_SW_SX_S14_S18_S1A_T6_T7_T9_mT8_S1C_bDpT10_ENKUlT_T0_E_clISt17integral_constantIbLb0EES1P_EEDaS1K_S1L_EUlS1K_E_NS1_11comp_targetILNS1_3genE2ELNS1_11target_archE906ELNS1_3gpuE6ELNS1_3repE0EEENS1_30default_config_static_selectorELNS0_4arch9wavefront6targetE0EEEvSY_.uses_vcc, 0
	.set _ZN7rocprim17ROCPRIM_400000_NS6detail17trampoline_kernelINS0_13select_configILj256ELj13ELNS0_17block_load_methodE3ELS4_3ELS4_3ELNS0_20block_scan_algorithmE0ELj4294967295EEENS1_25partition_config_selectorILNS1_17partition_subalgoE3EjNS0_10empty_typeEbEEZZNS1_14partition_implILS8_3ELb0ES6_jNS0_17counting_iteratorIjlEEPS9_SE_NS0_5tupleIJPjSE_EEENSF_IJSE_SE_EEES9_SG_JZNS1_25segmented_radix_sort_implINS0_14default_configELb0EPKiPiPKlPlN2at6native12_GLOBAL__N_18offset_tEEE10hipError_tPvRmT1_PNSt15iterator_traitsISY_E10value_typeET2_T3_PNSZ_IS14_E10value_typeET4_jRbjT5_S1A_jjP12ihipStream_tbEUljE_EEESV_SW_SX_S14_S18_S1A_T6_T7_T9_mT8_S1C_bDpT10_ENKUlT_T0_E_clISt17integral_constantIbLb0EES1P_EEDaS1K_S1L_EUlS1K_E_NS1_11comp_targetILNS1_3genE2ELNS1_11target_archE906ELNS1_3gpuE6ELNS1_3repE0EEENS1_30default_config_static_selectorELNS0_4arch9wavefront6targetE0EEEvSY_.uses_flat_scratch, 0
	.set _ZN7rocprim17ROCPRIM_400000_NS6detail17trampoline_kernelINS0_13select_configILj256ELj13ELNS0_17block_load_methodE3ELS4_3ELS4_3ELNS0_20block_scan_algorithmE0ELj4294967295EEENS1_25partition_config_selectorILNS1_17partition_subalgoE3EjNS0_10empty_typeEbEEZZNS1_14partition_implILS8_3ELb0ES6_jNS0_17counting_iteratorIjlEEPS9_SE_NS0_5tupleIJPjSE_EEENSF_IJSE_SE_EEES9_SG_JZNS1_25segmented_radix_sort_implINS0_14default_configELb0EPKiPiPKlPlN2at6native12_GLOBAL__N_18offset_tEEE10hipError_tPvRmT1_PNSt15iterator_traitsISY_E10value_typeET2_T3_PNSZ_IS14_E10value_typeET4_jRbjT5_S1A_jjP12ihipStream_tbEUljE_EEESV_SW_SX_S14_S18_S1A_T6_T7_T9_mT8_S1C_bDpT10_ENKUlT_T0_E_clISt17integral_constantIbLb0EES1P_EEDaS1K_S1L_EUlS1K_E_NS1_11comp_targetILNS1_3genE2ELNS1_11target_archE906ELNS1_3gpuE6ELNS1_3repE0EEENS1_30default_config_static_selectorELNS0_4arch9wavefront6targetE0EEEvSY_.has_dyn_sized_stack, 0
	.set _ZN7rocprim17ROCPRIM_400000_NS6detail17trampoline_kernelINS0_13select_configILj256ELj13ELNS0_17block_load_methodE3ELS4_3ELS4_3ELNS0_20block_scan_algorithmE0ELj4294967295EEENS1_25partition_config_selectorILNS1_17partition_subalgoE3EjNS0_10empty_typeEbEEZZNS1_14partition_implILS8_3ELb0ES6_jNS0_17counting_iteratorIjlEEPS9_SE_NS0_5tupleIJPjSE_EEENSF_IJSE_SE_EEES9_SG_JZNS1_25segmented_radix_sort_implINS0_14default_configELb0EPKiPiPKlPlN2at6native12_GLOBAL__N_18offset_tEEE10hipError_tPvRmT1_PNSt15iterator_traitsISY_E10value_typeET2_T3_PNSZ_IS14_E10value_typeET4_jRbjT5_S1A_jjP12ihipStream_tbEUljE_EEESV_SW_SX_S14_S18_S1A_T6_T7_T9_mT8_S1C_bDpT10_ENKUlT_T0_E_clISt17integral_constantIbLb0EES1P_EEDaS1K_S1L_EUlS1K_E_NS1_11comp_targetILNS1_3genE2ELNS1_11target_archE906ELNS1_3gpuE6ELNS1_3repE0EEENS1_30default_config_static_selectorELNS0_4arch9wavefront6targetE0EEEvSY_.has_recursion, 0
	.set _ZN7rocprim17ROCPRIM_400000_NS6detail17trampoline_kernelINS0_13select_configILj256ELj13ELNS0_17block_load_methodE3ELS4_3ELS4_3ELNS0_20block_scan_algorithmE0ELj4294967295EEENS1_25partition_config_selectorILNS1_17partition_subalgoE3EjNS0_10empty_typeEbEEZZNS1_14partition_implILS8_3ELb0ES6_jNS0_17counting_iteratorIjlEEPS9_SE_NS0_5tupleIJPjSE_EEENSF_IJSE_SE_EEES9_SG_JZNS1_25segmented_radix_sort_implINS0_14default_configELb0EPKiPiPKlPlN2at6native12_GLOBAL__N_18offset_tEEE10hipError_tPvRmT1_PNSt15iterator_traitsISY_E10value_typeET2_T3_PNSZ_IS14_E10value_typeET4_jRbjT5_S1A_jjP12ihipStream_tbEUljE_EEESV_SW_SX_S14_S18_S1A_T6_T7_T9_mT8_S1C_bDpT10_ENKUlT_T0_E_clISt17integral_constantIbLb0EES1P_EEDaS1K_S1L_EUlS1K_E_NS1_11comp_targetILNS1_3genE2ELNS1_11target_archE906ELNS1_3gpuE6ELNS1_3repE0EEENS1_30default_config_static_selectorELNS0_4arch9wavefront6targetE0EEEvSY_.has_indirect_call, 0
	.section	.AMDGPU.csdata,"",@progbits
; Kernel info:
; codeLenInByte = 0
; TotalNumSgprs: 0
; NumVgprs: 0
; ScratchSize: 0
; MemoryBound: 0
; FloatMode: 240
; IeeeMode: 1
; LDSByteSize: 0 bytes/workgroup (compile time only)
; SGPRBlocks: 0
; VGPRBlocks: 0
; NumSGPRsForWavesPerEU: 1
; NumVGPRsForWavesPerEU: 1
; Occupancy: 16
; WaveLimiterHint : 0
; COMPUTE_PGM_RSRC2:SCRATCH_EN: 0
; COMPUTE_PGM_RSRC2:USER_SGPR: 2
; COMPUTE_PGM_RSRC2:TRAP_HANDLER: 0
; COMPUTE_PGM_RSRC2:TGID_X_EN: 1
; COMPUTE_PGM_RSRC2:TGID_Y_EN: 0
; COMPUTE_PGM_RSRC2:TGID_Z_EN: 0
; COMPUTE_PGM_RSRC2:TIDIG_COMP_CNT: 0
	.section	.text._ZN7rocprim17ROCPRIM_400000_NS6detail17trampoline_kernelINS0_13select_configILj256ELj13ELNS0_17block_load_methodE3ELS4_3ELS4_3ELNS0_20block_scan_algorithmE0ELj4294967295EEENS1_25partition_config_selectorILNS1_17partition_subalgoE3EjNS0_10empty_typeEbEEZZNS1_14partition_implILS8_3ELb0ES6_jNS0_17counting_iteratorIjlEEPS9_SE_NS0_5tupleIJPjSE_EEENSF_IJSE_SE_EEES9_SG_JZNS1_25segmented_radix_sort_implINS0_14default_configELb0EPKiPiPKlPlN2at6native12_GLOBAL__N_18offset_tEEE10hipError_tPvRmT1_PNSt15iterator_traitsISY_E10value_typeET2_T3_PNSZ_IS14_E10value_typeET4_jRbjT5_S1A_jjP12ihipStream_tbEUljE_EEESV_SW_SX_S14_S18_S1A_T6_T7_T9_mT8_S1C_bDpT10_ENKUlT_T0_E_clISt17integral_constantIbLb0EES1P_EEDaS1K_S1L_EUlS1K_E_NS1_11comp_targetILNS1_3genE10ELNS1_11target_archE1200ELNS1_3gpuE4ELNS1_3repE0EEENS1_30default_config_static_selectorELNS0_4arch9wavefront6targetE0EEEvSY_,"axG",@progbits,_ZN7rocprim17ROCPRIM_400000_NS6detail17trampoline_kernelINS0_13select_configILj256ELj13ELNS0_17block_load_methodE3ELS4_3ELS4_3ELNS0_20block_scan_algorithmE0ELj4294967295EEENS1_25partition_config_selectorILNS1_17partition_subalgoE3EjNS0_10empty_typeEbEEZZNS1_14partition_implILS8_3ELb0ES6_jNS0_17counting_iteratorIjlEEPS9_SE_NS0_5tupleIJPjSE_EEENSF_IJSE_SE_EEES9_SG_JZNS1_25segmented_radix_sort_implINS0_14default_configELb0EPKiPiPKlPlN2at6native12_GLOBAL__N_18offset_tEEE10hipError_tPvRmT1_PNSt15iterator_traitsISY_E10value_typeET2_T3_PNSZ_IS14_E10value_typeET4_jRbjT5_S1A_jjP12ihipStream_tbEUljE_EEESV_SW_SX_S14_S18_S1A_T6_T7_T9_mT8_S1C_bDpT10_ENKUlT_T0_E_clISt17integral_constantIbLb0EES1P_EEDaS1K_S1L_EUlS1K_E_NS1_11comp_targetILNS1_3genE10ELNS1_11target_archE1200ELNS1_3gpuE4ELNS1_3repE0EEENS1_30default_config_static_selectorELNS0_4arch9wavefront6targetE0EEEvSY_,comdat
	.globl	_ZN7rocprim17ROCPRIM_400000_NS6detail17trampoline_kernelINS0_13select_configILj256ELj13ELNS0_17block_load_methodE3ELS4_3ELS4_3ELNS0_20block_scan_algorithmE0ELj4294967295EEENS1_25partition_config_selectorILNS1_17partition_subalgoE3EjNS0_10empty_typeEbEEZZNS1_14partition_implILS8_3ELb0ES6_jNS0_17counting_iteratorIjlEEPS9_SE_NS0_5tupleIJPjSE_EEENSF_IJSE_SE_EEES9_SG_JZNS1_25segmented_radix_sort_implINS0_14default_configELb0EPKiPiPKlPlN2at6native12_GLOBAL__N_18offset_tEEE10hipError_tPvRmT1_PNSt15iterator_traitsISY_E10value_typeET2_T3_PNSZ_IS14_E10value_typeET4_jRbjT5_S1A_jjP12ihipStream_tbEUljE_EEESV_SW_SX_S14_S18_S1A_T6_T7_T9_mT8_S1C_bDpT10_ENKUlT_T0_E_clISt17integral_constantIbLb0EES1P_EEDaS1K_S1L_EUlS1K_E_NS1_11comp_targetILNS1_3genE10ELNS1_11target_archE1200ELNS1_3gpuE4ELNS1_3repE0EEENS1_30default_config_static_selectorELNS0_4arch9wavefront6targetE0EEEvSY_ ; -- Begin function _ZN7rocprim17ROCPRIM_400000_NS6detail17trampoline_kernelINS0_13select_configILj256ELj13ELNS0_17block_load_methodE3ELS4_3ELS4_3ELNS0_20block_scan_algorithmE0ELj4294967295EEENS1_25partition_config_selectorILNS1_17partition_subalgoE3EjNS0_10empty_typeEbEEZZNS1_14partition_implILS8_3ELb0ES6_jNS0_17counting_iteratorIjlEEPS9_SE_NS0_5tupleIJPjSE_EEENSF_IJSE_SE_EEES9_SG_JZNS1_25segmented_radix_sort_implINS0_14default_configELb0EPKiPiPKlPlN2at6native12_GLOBAL__N_18offset_tEEE10hipError_tPvRmT1_PNSt15iterator_traitsISY_E10value_typeET2_T3_PNSZ_IS14_E10value_typeET4_jRbjT5_S1A_jjP12ihipStream_tbEUljE_EEESV_SW_SX_S14_S18_S1A_T6_T7_T9_mT8_S1C_bDpT10_ENKUlT_T0_E_clISt17integral_constantIbLb0EES1P_EEDaS1K_S1L_EUlS1K_E_NS1_11comp_targetILNS1_3genE10ELNS1_11target_archE1200ELNS1_3gpuE4ELNS1_3repE0EEENS1_30default_config_static_selectorELNS0_4arch9wavefront6targetE0EEEvSY_
	.p2align	8
	.type	_ZN7rocprim17ROCPRIM_400000_NS6detail17trampoline_kernelINS0_13select_configILj256ELj13ELNS0_17block_load_methodE3ELS4_3ELS4_3ELNS0_20block_scan_algorithmE0ELj4294967295EEENS1_25partition_config_selectorILNS1_17partition_subalgoE3EjNS0_10empty_typeEbEEZZNS1_14partition_implILS8_3ELb0ES6_jNS0_17counting_iteratorIjlEEPS9_SE_NS0_5tupleIJPjSE_EEENSF_IJSE_SE_EEES9_SG_JZNS1_25segmented_radix_sort_implINS0_14default_configELb0EPKiPiPKlPlN2at6native12_GLOBAL__N_18offset_tEEE10hipError_tPvRmT1_PNSt15iterator_traitsISY_E10value_typeET2_T3_PNSZ_IS14_E10value_typeET4_jRbjT5_S1A_jjP12ihipStream_tbEUljE_EEESV_SW_SX_S14_S18_S1A_T6_T7_T9_mT8_S1C_bDpT10_ENKUlT_T0_E_clISt17integral_constantIbLb0EES1P_EEDaS1K_S1L_EUlS1K_E_NS1_11comp_targetILNS1_3genE10ELNS1_11target_archE1200ELNS1_3gpuE4ELNS1_3repE0EEENS1_30default_config_static_selectorELNS0_4arch9wavefront6targetE0EEEvSY_,@function
_ZN7rocprim17ROCPRIM_400000_NS6detail17trampoline_kernelINS0_13select_configILj256ELj13ELNS0_17block_load_methodE3ELS4_3ELS4_3ELNS0_20block_scan_algorithmE0ELj4294967295EEENS1_25partition_config_selectorILNS1_17partition_subalgoE3EjNS0_10empty_typeEbEEZZNS1_14partition_implILS8_3ELb0ES6_jNS0_17counting_iteratorIjlEEPS9_SE_NS0_5tupleIJPjSE_EEENSF_IJSE_SE_EEES9_SG_JZNS1_25segmented_radix_sort_implINS0_14default_configELb0EPKiPiPKlPlN2at6native12_GLOBAL__N_18offset_tEEE10hipError_tPvRmT1_PNSt15iterator_traitsISY_E10value_typeET2_T3_PNSZ_IS14_E10value_typeET4_jRbjT5_S1A_jjP12ihipStream_tbEUljE_EEESV_SW_SX_S14_S18_S1A_T6_T7_T9_mT8_S1C_bDpT10_ENKUlT_T0_E_clISt17integral_constantIbLb0EES1P_EEDaS1K_S1L_EUlS1K_E_NS1_11comp_targetILNS1_3genE10ELNS1_11target_archE1200ELNS1_3gpuE4ELNS1_3repE0EEENS1_30default_config_static_selectorELNS0_4arch9wavefront6targetE0EEEvSY_: ; @_ZN7rocprim17ROCPRIM_400000_NS6detail17trampoline_kernelINS0_13select_configILj256ELj13ELNS0_17block_load_methodE3ELS4_3ELS4_3ELNS0_20block_scan_algorithmE0ELj4294967295EEENS1_25partition_config_selectorILNS1_17partition_subalgoE3EjNS0_10empty_typeEbEEZZNS1_14partition_implILS8_3ELb0ES6_jNS0_17counting_iteratorIjlEEPS9_SE_NS0_5tupleIJPjSE_EEENSF_IJSE_SE_EEES9_SG_JZNS1_25segmented_radix_sort_implINS0_14default_configELb0EPKiPiPKlPlN2at6native12_GLOBAL__N_18offset_tEEE10hipError_tPvRmT1_PNSt15iterator_traitsISY_E10value_typeET2_T3_PNSZ_IS14_E10value_typeET4_jRbjT5_S1A_jjP12ihipStream_tbEUljE_EEESV_SW_SX_S14_S18_S1A_T6_T7_T9_mT8_S1C_bDpT10_ENKUlT_T0_E_clISt17integral_constantIbLb0EES1P_EEDaS1K_S1L_EUlS1K_E_NS1_11comp_targetILNS1_3genE10ELNS1_11target_archE1200ELNS1_3gpuE4ELNS1_3repE0EEENS1_30default_config_static_selectorELNS0_4arch9wavefront6targetE0EEEvSY_
; %bb.0:
	s_clause 0x6
	s_load_b32 s2, s[0:1], 0x70
	s_load_b128 s[8:11], s[0:1], 0x48
	s_load_b64 s[12:13], s[0:1], 0x10
	s_load_b64 s[14:15], s[0:1], 0x58
	s_load_b32 s20, s[0:1], 0x8
	s_load_b32 s3, s[0:1], 0x88
	s_load_b128 s[4:7], s[0:1], 0x78
	s_mov_b32 s17, 0
	v_lshlrev_b32_e32 v42, 2, v0
	s_wait_kmcnt 0x0
	s_mul_i32 s16, s2, 0xd00
	s_load_b64 s[18:19], s[10:11], 0x0
	s_add_co_i32 s10, s16, s12
	s_add_co_i32 s2, s2, -1
	s_sub_co_i32 s23, s14, s10
	s_add_nc_u64 s[10:11], s[12:13], s[16:17]
	s_addk_co_i32 s23, 0xd00
	s_cmp_eq_u32 ttmp9, s2
	s_mul_i32 s16, ttmp9, 0xd00
	s_cselect_b32 s22, -1, 0
	s_cmp_lg_u32 ttmp9, s2
	v_cmp_gt_u64_e64 s10, s[14:15], s[10:11]
	s_cselect_b32 s2, -1, 0
	s_add_co_i32 s11, s20, s16
	s_mov_b32 s17, -1
	s_wait_alu 0xfffe
	s_add_co_i32 s11, s11, s12
	s_wait_alu 0xfffe
	v_add_nc_u32_e32 v1, s11, v0
	s_or_b32 s10, s2, s10
	s_wait_alu 0xfffe
	s_and_b32 vcc_lo, exec_lo, s10
	s_cbranch_vccz .LBB573_2
; %bb.1:
	v_add_nc_u32_e32 v2, 0x100, v1
	v_add_nc_u32_e32 v3, 0x200, v1
	;; [unrolled: 1-line block ×12, first 2 shown]
	ds_store_2addr_stride64_b32 v42, v1, v2 offset1:4
	ds_store_2addr_stride64_b32 v42, v3, v4 offset0:8 offset1:12
	ds_store_2addr_stride64_b32 v42, v5, v6 offset0:16 offset1:20
	;; [unrolled: 1-line block ×5, first 2 shown]
	ds_store_b32 v42, v13 offset:12288
	s_wait_dscnt 0x0
	s_barrier_signal -1
	s_mov_b32 s17, 0
	s_barrier_wait -1
.LBB573_2:
	v_cmp_gt_u32_e64 s2, s23, v0
	v_or_b32_e32 v41, 0x100, v0
	v_or_b32_e32 v40, 0x200, v0
	;; [unrolled: 1-line block ×12, first 2 shown]
	s_and_not1_b32 vcc_lo, exec_lo, s17
	s_cbranch_vccnz .LBB573_4
; %bb.3:
	v_cmp_gt_u32_e32 vcc_lo, s23, v41
	v_add_nc_u32_e32 v3, s11, v40
	v_add_nc_u32_e32 v2, s11, v41
	v_cndmask_b32_e64 v1, 0, v1, s2
	s_delay_alu instid0(VALU_DEP_2)
	v_cndmask_b32_e32 v2, 0, v2, vcc_lo
	v_cmp_gt_u32_e32 vcc_lo, s23, v40
	s_wait_alu 0xfffd
	v_cndmask_b32_e32 v3, 0, v3, vcc_lo
	v_cmp_gt_u32_e32 vcc_lo, s23, v39
	v_add_nc_u32_e32 v5, s11, v38
	v_add_nc_u32_e32 v4, s11, v39
	s_wait_alu 0xfffd
	s_delay_alu instid0(VALU_DEP_1)
	v_cndmask_b32_e32 v4, 0, v4, vcc_lo
	v_cmp_gt_u32_e32 vcc_lo, s23, v38
	s_wait_alu 0xfffd
	v_cndmask_b32_e32 v5, 0, v5, vcc_lo
	v_cmp_gt_u32_e32 vcc_lo, s23, v37
	v_add_nc_u32_e32 v7, s11, v36
	v_add_nc_u32_e32 v6, s11, v37
	s_wait_alu 0xfffd
	s_delay_alu instid0(VALU_DEP_1)
	;; [unrolled: 9-line block ×5, first 2 shown]
	v_cndmask_b32_e32 v12, 0, v12, vcc_lo
	v_cmp_gt_u32_e32 vcc_lo, s23, v30
	s_wait_alu 0xfffd
	v_cndmask_b32_e32 v13, 0, v13, vcc_lo
	ds_store_2addr_stride64_b32 v42, v1, v2 offset1:4
	ds_store_2addr_stride64_b32 v42, v3, v4 offset0:8 offset1:12
	ds_store_2addr_stride64_b32 v42, v5, v6 offset0:16 offset1:20
	;; [unrolled: 1-line block ×5, first 2 shown]
	ds_store_b32 v42, v13 offset:12288
	s_wait_dscnt 0x0
	s_barrier_signal -1
	s_barrier_wait -1
.LBB573_4:
	v_mul_u32_u24_e32 v45, 13, v0
	global_inv scope:SCOPE_SE
	v_cndmask_b32_e64 v43, 0, 1, s10
	s_and_not1_b32 vcc_lo, exec_lo, s10
	v_lshlrev_b32_e32 v1, 2, v45
	ds_load_2addr_b32 v[26:27], v1 offset0:2 offset1:3
	ds_load_2addr_b32 v[22:23], v1 offset0:6 offset1:7
	;; [unrolled: 1-line block ×3, first 2 shown]
	ds_load_2addr_b32 v[28:29], v1 offset1:1
	ds_load_2addr_b32 v[18:19], v1 offset0:10 offset1:11
	ds_load_b32 v44, v1 offset:48
	ds_load_2addr_b32 v[20:21], v1 offset0:8 offset1:9
	s_wait_loadcnt_dscnt 0x0
	s_barrier_signal -1
	s_barrier_wait -1
	global_inv scope:SCOPE_SE
	s_wait_alu 0xfffe
	s_cbranch_vccnz .LBB573_6
; %bb.5:
	v_add_nc_u32_e32 v1, s5, v27
	v_add_nc_u32_e32 v2, s7, v27
	;; [unrolled: 1-line block ×5, first 2 shown]
	v_mul_lo_u32 v1, v1, s4
	v_mul_lo_u32 v2, v2, s6
	v_add_nc_u32_e32 v8, s7, v26
	v_add_nc_u32_e32 v3, s5, v29
	;; [unrolled: 1-line block ×3, first 2 shown]
	v_mul_lo_u32 v5, v5, s4
	v_mul_lo_u32 v4, v4, s4
	v_add_nc_u32_e32 v9, s5, v24
	v_mul_lo_u32 v3, v3, s4
	v_sub_nc_u32_e32 v1, v1, v2
	v_mul_lo_u32 v2, v7, s6
	v_mul_lo_u32 v7, v8, s6
	;; [unrolled: 1-line block ×3, first 2 shown]
	v_add_nc_u32_e32 v8, s5, v25
	v_add_nc_u32_e32 v10, s7, v24
	v_mul_lo_u32 v9, v9, s4
	v_cmp_lt_u32_e32 vcc_lo, s3, v1
	v_add_nc_u32_e32 v14, s7, v19
	v_sub_nc_u32_e32 v2, v4, v2
	v_sub_nc_u32_e32 v4, v5, v7
	v_add_nc_u32_e32 v5, s7, v25
	v_sub_nc_u32_e32 v3, v3, v6
	v_add_nc_u32_e32 v6, s5, v23
	v_add_nc_u32_e32 v7, s7, v23
	v_mul_lo_u32 v8, v8, s4
	v_mul_lo_u32 v5, v5, s6
	v_mul_lo_u32 v10, v10, s6
	v_mul_lo_u32 v6, v6, s4
	v_mul_lo_u32 v7, v7, s6
	s_wait_alu 0xfffd
	v_cndmask_b32_e64 v1, 0, 1, vcc_lo
	v_cmp_lt_u32_e32 vcc_lo, s3, v3
	v_mul_lo_u32 v14, v14, s6
	v_add_nc_u32_e32 v15, s7, v21
	v_sub_nc_u32_e32 v5, v8, v5
	v_add_nc_u32_e32 v8, s7, v22
	s_wait_alu 0xfffd
	v_cndmask_b32_e64 v3, 0, 1, vcc_lo
	v_sub_nc_u32_e32 v6, v6, v7
	v_mul_lo_u32 v15, v15, s6
	v_cmp_lt_u32_e32 vcc_lo, s3, v5
	v_mul_lo_u32 v7, v8, s6
	v_sub_nc_u32_e32 v8, v9, v10
	v_add_nc_u32_e32 v9, s5, v19
	v_add_nc_u32_e32 v10, s5, v21
	s_wait_alu 0xfffd
	v_cndmask_b32_e64 v5, 0, 1, vcc_lo
	v_cmp_lt_u32_e32 vcc_lo, s3, v6
	v_add_nc_u32_e32 v11, s5, v22
	v_mul_lo_u32 v9, v9, s4
	v_mul_lo_u32 v10, v10, s4
	v_add_nc_u32_e32 v12, s5, v20
	s_wait_alu 0xfffd
	v_cndmask_b32_e64 v6, 0, 1, vcc_lo
	v_mul_lo_u32 v11, v11, s4
	v_add_nc_u32_e32 v16, s7, v20
	v_lshlrev_b16 v3, 8, v3
	v_add_nc_u32_e32 v13, s5, v18
	v_sub_nc_u32_e32 v9, v9, v14
	v_sub_nc_u32_e32 v10, v10, v15
	v_add_nc_u32_e32 v17, s7, v18
	v_mul_lo_u32 v12, v12, s4
	v_mul_lo_u32 v16, v16, s6
	v_cmp_lt_u32_e32 vcc_lo, s3, v9
	v_sub_nc_u32_e32 v7, v11, v7
	v_lshrrev_b32_e32 v3, 8, v3
	v_mul_lo_u32 v11, v13, s4
	v_mul_lo_u32 v13, v17, s6
	s_wait_alu 0xfffd
	v_cndmask_b32_e64 v9, 0, 1, vcc_lo
	v_cmp_lt_u32_e32 vcc_lo, s3, v2
	v_sub_nc_u32_e32 v12, v12, v16
	v_lshlrev_b16 v3, 8, v3
	v_lshlrev_b16 v1, 8, v1
	v_lshlrev_b16 v5, 8, v5
	s_wait_alu 0xfffd
	v_cndmask_b32_e64 v2, 0, 1, vcc_lo
	v_cmp_lt_u32_e32 vcc_lo, s3, v10
	v_sub_nc_u32_e32 v11, v11, v13
	v_add_nc_u32_e32 v14, s5, v44
	v_add_nc_u32_e32 v15, s7, v44
	v_or_b32_e32 v2, v2, v3
	s_wait_alu 0xfffd
	v_cndmask_b32_e64 v10, 0, 1, vcc_lo
	v_cmp_lt_u32_e32 vcc_lo, s3, v4
	v_lshlrev_b16 v3, 8, v9
	v_lshrrev_b32_e32 v5, 8, v5
	v_lshrrev_b32_e32 v1, 8, v1
	v_lshlrev_b16 v9, 8, v10
	s_wait_alu 0xfffd
	v_cndmask_b32_e64 v4, 0, 1, vcc_lo
	v_cmp_lt_u32_e32 vcc_lo, s3, v8
	v_lshrrev_b32_e32 v3, 8, v3
	v_mul_lo_u32 v14, v14, s4
	v_lshrrev_b32_e32 v9, 8, v9
	v_mul_lo_u32 v15, v15, s6
	s_wait_alu 0xfffd
	v_cndmask_b32_e64 v8, 0, 1, vcc_lo
	v_cmp_lt_u32_e32 vcc_lo, s3, v7
	v_lshlrev_b16 v6, 8, v6
	v_lshlrev_b16 v1, 8, v1
	;; [unrolled: 1-line block ×4, first 2 shown]
	s_wait_alu 0xfffd
	v_cndmask_b32_e64 v7, 0, 1, vcc_lo
	v_cmp_lt_u32_e32 vcc_lo, s3, v12
	v_lshlrev_b16 v3, 8, v3
	v_sub_nc_u32_e32 v10, v14, v15
	v_or_b32_e32 v1, v4, v1
	v_or_b32_e32 v4, v8, v5
	s_wait_alu 0xfffd
	v_cndmask_b32_e64 v12, 0, 1, vcc_lo
	v_cmp_lt_u32_e32 vcc_lo, s3, v11
	v_or_b32_e32 v5, v7, v6
	v_and_b32_e32 v2, 0xffff, v2
	v_lshlrev_b32_e32 v1, 16, v1
	v_or_b32_e32 v6, v12, v9
	s_wait_alu 0xfffd
	v_cndmask_b32_e64 v11, 0, 1, vcc_lo
	v_and_b32_e32 v4, 0xffff, v4
	v_lshlrev_b32_e32 v5, 16, v5
	v_cmp_lt_u32_e32 vcc_lo, s3, v10
	v_and_b32_e32 v6, 0xffff, v6
	v_or_b32_e32 v3, v11, v3
	v_or_b32_e32 v51, v2, v1
	;; [unrolled: 1-line block ×3, first 2 shown]
	s_wait_alu 0xfffd
	v_cndmask_b32_e64 v46, 0, 1, vcc_lo
	v_lshlrev_b32_e32 v3, 16, v3
	s_delay_alu instid0(VALU_DEP_1)
	v_or_b32_e32 v47, v6, v3
	s_clause 0x1
	s_load_b64 s[10:11], s[0:1], 0x28
	s_load_b64 s[20:21], s[0:1], 0x68
	s_cbranch_execz .LBB573_7
	s_branch .LBB573_34
.LBB573_6:
                                        ; implicit-def: $vgpr46
                                        ; implicit-def: $vgpr47
                                        ; implicit-def: $vgpr49
                                        ; implicit-def: $vgpr51
	s_clause 0x1
	s_load_b64 s[10:11], s[0:1], 0x28
	s_load_b64 s[20:21], s[0:1], 0x68
.LBB573_7:
	v_dual_mov_b32 v2, 0 :: v_dual_mov_b32 v1, 0
	s_mov_b32 s0, exec_lo
	v_cmpx_gt_u32_e64 s23, v45
	s_cbranch_execz .LBB573_9
; %bb.8:
	v_add_nc_u32_e32 v1, s5, v28
	v_add_nc_u32_e32 v3, s7, v28
	s_delay_alu instid0(VALU_DEP_2) | instskip(NEXT) | instid1(VALU_DEP_2)
	v_mul_lo_u32 v1, v1, s4
	v_mul_lo_u32 v3, v3, s6
	s_delay_alu instid0(VALU_DEP_1) | instskip(NEXT) | instid1(VALU_DEP_1)
	v_sub_nc_u32_e32 v1, v1, v3
	v_cmp_lt_u32_e32 vcc_lo, s3, v1
	s_wait_alu 0xfffd
	v_cndmask_b32_e64 v1, 0, 1, vcc_lo
.LBB573_9:
	s_or_b32 exec_lo, exec_lo, s0
	v_add_nc_u32_e32 v3, 1, v45
	s_mov_b32 s0, exec_lo
	s_delay_alu instid0(VALU_DEP_1)
	v_cmpx_gt_u32_e64 s23, v3
	s_cbranch_execz .LBB573_11
; %bb.10:
	v_add_nc_u32_e32 v2, s5, v29
	v_add_nc_u32_e32 v3, s7, v29
	s_delay_alu instid0(VALU_DEP_2) | instskip(NEXT) | instid1(VALU_DEP_2)
	v_mul_lo_u32 v2, v2, s4
	v_mul_lo_u32 v3, v3, s6
	s_delay_alu instid0(VALU_DEP_1) | instskip(NEXT) | instid1(VALU_DEP_1)
	v_sub_nc_u32_e32 v2, v2, v3
	v_cmp_lt_u32_e32 vcc_lo, s3, v2
	s_wait_alu 0xfffd
	v_cndmask_b32_e64 v2, 0, 1, vcc_lo
.LBB573_11:
	s_or_b32 exec_lo, exec_lo, s0
	v_dual_mov_b32 v4, 0 :: v_dual_add_nc_u32 v3, 2, v45
	s_delay_alu instid0(VALU_DEP_1)
	v_cmp_gt_u32_e32 vcc_lo, s23, v3
	v_mov_b32_e32 v3, 0
	s_and_saveexec_b32 s0, vcc_lo
	s_cbranch_execz .LBB573_13
; %bb.12:
	v_add_nc_u32_e32 v3, s5, v26
	v_add_nc_u32_e32 v5, s7, v26
	s_delay_alu instid0(VALU_DEP_2) | instskip(NEXT) | instid1(VALU_DEP_2)
	v_mul_lo_u32 v3, v3, s4
	v_mul_lo_u32 v5, v5, s6
	s_delay_alu instid0(VALU_DEP_1) | instskip(NEXT) | instid1(VALU_DEP_1)
	v_sub_nc_u32_e32 v3, v3, v5
	v_cmp_lt_u32_e32 vcc_lo, s3, v3
	s_wait_alu 0xfffd
	v_cndmask_b32_e64 v3, 0, 1, vcc_lo
.LBB573_13:
	s_or_b32 exec_lo, exec_lo, s0
	v_add_nc_u32_e32 v5, 3, v45
	s_mov_b32 s0, exec_lo
	s_delay_alu instid0(VALU_DEP_1)
	v_cmpx_gt_u32_e64 s23, v5
	s_cbranch_execz .LBB573_15
; %bb.14:
	v_add_nc_u32_e32 v4, s5, v27
	v_add_nc_u32_e32 v5, s7, v27
	s_delay_alu instid0(VALU_DEP_2) | instskip(NEXT) | instid1(VALU_DEP_2)
	v_mul_lo_u32 v4, v4, s4
	v_mul_lo_u32 v5, v5, s6
	s_delay_alu instid0(VALU_DEP_1) | instskip(NEXT) | instid1(VALU_DEP_1)
	v_sub_nc_u32_e32 v4, v4, v5
	v_cmp_lt_u32_e32 vcc_lo, s3, v4
	s_wait_alu 0xfffd
	v_cndmask_b32_e64 v4, 0, 1, vcc_lo
.LBB573_15:
	s_or_b32 exec_lo, exec_lo, s0
	v_dual_mov_b32 v6, 0 :: v_dual_add_nc_u32 v5, 4, v45
	s_delay_alu instid0(VALU_DEP_1)
	v_cmp_gt_u32_e32 vcc_lo, s23, v5
	v_mov_b32_e32 v5, 0
	s_and_saveexec_b32 s0, vcc_lo
	;; [unrolled: 37-line block ×5, first 2 shown]
	s_cbranch_execz .LBB573_29
; %bb.28:
	v_add_nc_u32_e32 v11, s5, v18
	v_add_nc_u32_e32 v13, s7, v18
	s_delay_alu instid0(VALU_DEP_2) | instskip(NEXT) | instid1(VALU_DEP_2)
	v_mul_lo_u32 v11, v11, s4
	v_mul_lo_u32 v13, v13, s6
	s_delay_alu instid0(VALU_DEP_1) | instskip(NEXT) | instid1(VALU_DEP_1)
	v_sub_nc_u32_e32 v11, v11, v13
	v_cmp_lt_u32_e32 vcc_lo, s3, v11
	s_wait_alu 0xfffd
	v_cndmask_b32_e64 v11, 0, 1, vcc_lo
.LBB573_29:
	s_or_b32 exec_lo, exec_lo, s0
	v_add_nc_u32_e32 v13, 11, v45
	s_mov_b32 s0, exec_lo
	s_delay_alu instid0(VALU_DEP_1)
	v_cmpx_gt_u32_e64 s23, v13
	s_cbranch_execz .LBB573_31
; %bb.30:
	v_add_nc_u32_e32 v12, s5, v19
	v_add_nc_u32_e32 v13, s7, v19
	s_delay_alu instid0(VALU_DEP_2) | instskip(NEXT) | instid1(VALU_DEP_2)
	v_mul_lo_u32 v12, v12, s4
	v_mul_lo_u32 v13, v13, s6
	s_delay_alu instid0(VALU_DEP_1) | instskip(NEXT) | instid1(VALU_DEP_1)
	v_sub_nc_u32_e32 v12, v12, v13
	v_cmp_lt_u32_e32 vcc_lo, s3, v12
	s_wait_alu 0xfffd
	v_cndmask_b32_e64 v12, 0, 1, vcc_lo
.LBB573_31:
	s_or_b32 exec_lo, exec_lo, s0
	v_dual_mov_b32 v46, 0 :: v_dual_add_nc_u32 v13, 12, v45
	s_mov_b32 s0, exec_lo
	s_delay_alu instid0(VALU_DEP_1)
	v_cmpx_gt_u32_e64 s23, v13
	s_cbranch_execz .LBB573_33
; %bb.32:
	v_add_nc_u32_e32 v13, s5, v44
	v_add_nc_u32_e32 v14, s7, v44
	s_delay_alu instid0(VALU_DEP_2) | instskip(NEXT) | instid1(VALU_DEP_2)
	v_mul_lo_u32 v13, v13, s4
	v_mul_lo_u32 v14, v14, s6
	s_delay_alu instid0(VALU_DEP_1) | instskip(NEXT) | instid1(VALU_DEP_1)
	v_sub_nc_u32_e32 v13, v13, v14
	v_cmp_lt_u32_e32 vcc_lo, s3, v13
	s_wait_alu 0xfffd
	v_cndmask_b32_e64 v46, 0, 1, vcc_lo
.LBB573_33:
	s_or_b32 exec_lo, exec_lo, s0
	v_lshlrev_b16 v2, 8, v2
	v_lshlrev_b16 v4, 8, v4
	;; [unrolled: 1-line block ×5, first 2 shown]
	v_or_b32_e32 v1, v1, v2
	v_lshlrev_b16 v2, 8, v12
	v_or_b32_e32 v3, v3, v4
	v_or_b32_e32 v4, v5, v6
	;; [unrolled: 1-line block ×5, first 2 shown]
	v_and_b32_e32 v1, 0xffff, v1
	v_lshlrev_b32_e32 v3, 16, v3
	v_and_b32_e32 v4, 0xffff, v4
	v_lshlrev_b32_e32 v5, 16, v5
	v_and_b32_e32 v6, 0xffff, v6
	v_lshlrev_b32_e32 v2, 16, v2
	v_or_b32_e32 v51, v1, v3
	s_delay_alu instid0(VALU_DEP_4) | instskip(NEXT) | instid1(VALU_DEP_3)
	v_or_b32_e32 v49, v4, v5
	v_or_b32_e32 v47, v6, v2
.LBB573_34:
	s_delay_alu instid0(VALU_DEP_3)
	v_and_b32_e32 v53, 0xff, v51
	v_bfe_u32 v54, v51, 8, 8
	v_bfe_u32 v55, v51, 16, 8
	v_lshrrev_b32_e32 v52, 24, v51
	v_and_b32_e32 v56, 0xff, v49
	v_bfe_u32 v57, v49, 8, 8
	v_bfe_u32 v58, v49, 16, 8
	v_add3_u32 v1, v54, v53, v55
	v_lshrrev_b32_e32 v50, 24, v49
	v_and_b32_e32 v59, 0xff, v47
	v_bfe_u32 v60, v47, 8, 8
	v_mbcnt_lo_u32_b32 v62, -1, 0
	v_add3_u32 v1, v1, v52, v56
	v_bfe_u32 v61, v47, 16, 8
	v_lshrrev_b32_e32 v48, 24, v47
	v_and_b32_e32 v2, 0xff, v46
	v_and_b32_e32 v3, 15, v62
	v_add3_u32 v1, v1, v57, v58
	v_or_b32_e32 v4, 31, v0
	v_and_b32_e32 v5, 16, v62
	v_lshrrev_b32_e32 v63, 5, v0
	v_cmp_eq_u32_e64 s5, 0, v3
	v_add3_u32 v1, v1, v50, v59
	v_cmp_lt_u32_e64 s4, 1, v3
	v_cmp_lt_u32_e64 s3, 3, v3
	;; [unrolled: 1-line block ×3, first 2 shown]
	v_cmp_eq_u32_e64 s1, 0, v5
	v_add3_u32 v1, v1, v60, v61
	v_cmp_eq_u32_e64 s0, v0, v4
	s_cmp_lg_u32 ttmp9, 0
	s_mov_b32 s6, -1
	v_add3_u32 v64, v1, v48, v2
	s_cbranch_scc0 .LBB573_55
; %bb.35:
	s_delay_alu instid0(VALU_DEP_1) | instskip(SKIP_1) | instid1(VALU_DEP_1)
	v_mov_b32_dpp v1, v64 row_shr:1 row_mask:0xf bank_mask:0xf
	s_wait_alu 0xf1ff
	v_cndmask_b32_e64 v1, v1, 0, s5
	s_delay_alu instid0(VALU_DEP_1) | instskip(NEXT) | instid1(VALU_DEP_1)
	v_add_nc_u32_e32 v1, v1, v64
	v_mov_b32_dpp v2, v1 row_shr:2 row_mask:0xf bank_mask:0xf
	s_delay_alu instid0(VALU_DEP_1) | instskip(NEXT) | instid1(VALU_DEP_1)
	v_cndmask_b32_e64 v2, 0, v2, s4
	v_add_nc_u32_e32 v1, v1, v2
	s_delay_alu instid0(VALU_DEP_1) | instskip(NEXT) | instid1(VALU_DEP_1)
	v_mov_b32_dpp v2, v1 row_shr:4 row_mask:0xf bank_mask:0xf
	v_cndmask_b32_e64 v2, 0, v2, s3
	s_delay_alu instid0(VALU_DEP_1) | instskip(NEXT) | instid1(VALU_DEP_1)
	v_add_nc_u32_e32 v1, v1, v2
	v_mov_b32_dpp v2, v1 row_shr:8 row_mask:0xf bank_mask:0xf
	s_delay_alu instid0(VALU_DEP_1) | instskip(NEXT) | instid1(VALU_DEP_1)
	v_cndmask_b32_e64 v2, 0, v2, s2
	v_add_nc_u32_e32 v1, v1, v2
	ds_swizzle_b32 v2, v1 offset:swizzle(BROADCAST,32,15)
	s_wait_dscnt 0x0
	v_cndmask_b32_e64 v2, v2, 0, s1
	s_delay_alu instid0(VALU_DEP_1)
	v_add_nc_u32_e32 v1, v1, v2
	s_and_saveexec_b32 s6, s0
; %bb.36:
	v_lshlrev_b32_e32 v2, 2, v63
	ds_store_b32 v2, v1
; %bb.37:
	s_wait_alu 0xfffe
	s_or_b32 exec_lo, exec_lo, s6
	s_delay_alu instid0(SALU_CYCLE_1)
	s_mov_b32 s6, exec_lo
	s_wait_loadcnt_dscnt 0x0
	s_barrier_signal -1
	s_barrier_wait -1
	global_inv scope:SCOPE_SE
	v_cmpx_gt_u32_e32 8, v0
	s_cbranch_execz .LBB573_39
; %bb.38:
	ds_load_b32 v2, v42
	s_wait_dscnt 0x0
	v_mov_b32_dpp v4, v2 row_shr:1 row_mask:0xf bank_mask:0xf
	v_and_b32_e32 v3, 7, v62
	s_delay_alu instid0(VALU_DEP_1) | instskip(SKIP_1) | instid1(VALU_DEP_3)
	v_cmp_ne_u32_e32 vcc_lo, 0, v3
	s_wait_alu 0xfffd
	v_cndmask_b32_e32 v4, 0, v4, vcc_lo
	v_cmp_lt_u32_e32 vcc_lo, 1, v3
	s_delay_alu instid0(VALU_DEP_2) | instskip(NEXT) | instid1(VALU_DEP_1)
	v_add_nc_u32_e32 v2, v4, v2
	v_mov_b32_dpp v4, v2 row_shr:2 row_mask:0xf bank_mask:0xf
	s_wait_alu 0xfffd
	s_delay_alu instid0(VALU_DEP_1) | instskip(SKIP_1) | instid1(VALU_DEP_2)
	v_cndmask_b32_e32 v4, 0, v4, vcc_lo
	v_cmp_lt_u32_e32 vcc_lo, 3, v3
	v_add_nc_u32_e32 v2, v2, v4
	s_delay_alu instid0(VALU_DEP_1) | instskip(SKIP_1) | instid1(VALU_DEP_1)
	v_mov_b32_dpp v4, v2 row_shr:4 row_mask:0xf bank_mask:0xf
	s_wait_alu 0xfffd
	v_cndmask_b32_e32 v3, 0, v4, vcc_lo
	s_delay_alu instid0(VALU_DEP_1)
	v_add_nc_u32_e32 v2, v2, v3
	ds_store_b32 v42, v2
.LBB573_39:
	s_wait_alu 0xfffe
	s_or_b32 exec_lo, exec_lo, s6
	s_delay_alu instid0(SALU_CYCLE_1)
	s_mov_b32 s7, exec_lo
	v_cmp_gt_u32_e32 vcc_lo, 32, v0
	s_wait_loadcnt_dscnt 0x0
	s_barrier_signal -1
	s_barrier_wait -1
	global_inv scope:SCOPE_SE
                                        ; implicit-def: $vgpr9
	v_cmpx_lt_u32_e32 31, v0
	s_cbranch_execz .LBB573_41
; %bb.40:
	v_lshl_add_u32 v2, v63, 2, -4
	ds_load_b32 v9, v2
	s_wait_dscnt 0x0
	v_add_nc_u32_e32 v1, v9, v1
.LBB573_41:
	s_wait_alu 0xfffe
	s_or_b32 exec_lo, exec_lo, s7
	v_sub_co_u32 v2, s6, v62, 1
	s_delay_alu instid0(VALU_DEP_1) | instskip(SKIP_1) | instid1(VALU_DEP_1)
	v_cmp_gt_i32_e64 s7, 0, v2
	s_wait_alu 0xf1ff
	v_cndmask_b32_e64 v2, v2, v62, s7
	s_delay_alu instid0(VALU_DEP_1)
	v_lshlrev_b32_e32 v2, 2, v2
	ds_bpermute_b32 v10, v2, v1
	s_and_saveexec_b32 s7, vcc_lo
	s_cbranch_execz .LBB573_60
; %bb.42:
	v_mov_b32_e32 v5, 0
	ds_load_b32 v1, v5 offset:28
	s_and_saveexec_b32 s17, s6
	s_cbranch_execz .LBB573_44
; %bb.43:
	s_add_co_i32 s24, ttmp9, 32
	s_mov_b32 s25, 0
	v_mov_b32_e32 v2, 1
	s_lshl_b64 s[24:25], s[24:25], 3
	s_wait_kmcnt 0x0
	s_add_nc_u64 s[24:25], s[20:21], s[24:25]
	s_wait_dscnt 0x0
	global_store_b64 v5, v[1:2], s[24:25] scope:SCOPE_DEV
.LBB573_44:
	s_or_b32 exec_lo, exec_lo, s17
	v_xad_u32 v3, v62, -1, ttmp9
	s_mov_b32 s24, 0
	s_mov_b32 s17, exec_lo
	s_delay_alu instid0(VALU_DEP_1) | instskip(NEXT) | instid1(VALU_DEP_1)
	v_add_nc_u32_e32 v4, 32, v3
	v_lshlrev_b64_e32 v[4:5], 3, v[4:5]
	s_wait_kmcnt 0x0
	s_delay_alu instid0(VALU_DEP_1) | instskip(SKIP_1) | instid1(VALU_DEP_2)
	v_add_co_u32 v7, vcc_lo, s20, v4
	s_wait_alu 0xfffd
	v_add_co_ci_u32_e64 v8, null, s21, v5, vcc_lo
	global_load_b64 v[5:6], v[7:8], off scope:SCOPE_DEV
	s_wait_loadcnt 0x0
	v_and_b32_e32 v2, 0xff, v6
	s_delay_alu instid0(VALU_DEP_1)
	v_cmpx_eq_u16_e32 0, v2
	s_cbranch_execz .LBB573_47
.LBB573_45:                             ; =>This Inner Loop Header: Depth=1
	global_load_b64 v[5:6], v[7:8], off scope:SCOPE_DEV
	s_wait_loadcnt 0x0
	v_and_b32_e32 v2, 0xff, v6
	s_delay_alu instid0(VALU_DEP_1) | instskip(SKIP_1) | instid1(SALU_CYCLE_1)
	v_cmp_ne_u16_e32 vcc_lo, 0, v2
	s_or_b32 s24, vcc_lo, s24
	s_and_not1_b32 exec_lo, exec_lo, s24
	s_cbranch_execnz .LBB573_45
; %bb.46:
	s_or_b32 exec_lo, exec_lo, s24
.LBB573_47:
	s_delay_alu instid0(SALU_CYCLE_1)
	s_or_b32 exec_lo, exec_lo, s17
	v_cmp_ne_u32_e32 vcc_lo, 31, v62
	v_lshlrev_b32_e64 v12, v62, -1
	v_add_nc_u32_e32 v14, 2, v62
	v_add_nc_u32_e32 v16, 4, v62
	;; [unrolled: 1-line block ×3, first 2 shown]
	s_wait_alu 0xfffd
	v_add_co_ci_u32_e64 v2, null, 0, v62, vcc_lo
	v_lshl_or_b32 v66, v62, 2, 64
	v_add_nc_u32_e32 v67, 16, v62
	s_delay_alu instid0(VALU_DEP_3)
	v_lshlrev_b32_e32 v11, 2, v2
	v_and_b32_e32 v2, 0xff, v6
	ds_bpermute_b32 v4, v11, v5
	v_cmp_eq_u16_e32 vcc_lo, 2, v2
	s_wait_alu 0xfffd
	v_and_or_b32 v2, vcc_lo, v12, 0x80000000
	v_cmp_gt_u32_e32 vcc_lo, 30, v62
	s_delay_alu instid0(VALU_DEP_2) | instskip(SKIP_2) | instid1(VALU_DEP_2)
	v_ctz_i32_b32_e32 v2, v2
	s_wait_alu 0xfffd
	v_cndmask_b32_e64 v7, 0, 2, vcc_lo
	v_cmp_lt_u32_e32 vcc_lo, v62, v2
	s_delay_alu instid0(VALU_DEP_2) | instskip(SKIP_4) | instid1(VALU_DEP_2)
	v_add_lshl_u32 v13, v7, v62, 2
	s_wait_dscnt 0x0
	s_wait_alu 0xfffd
	v_cndmask_b32_e32 v4, 0, v4, vcc_lo
	v_cmp_gt_u32_e32 vcc_lo, 28, v62
	v_add_nc_u32_e32 v4, v4, v5
	s_wait_alu 0xfffd
	v_cndmask_b32_e64 v7, 0, 4, vcc_lo
	v_cmp_le_u32_e32 vcc_lo, v14, v2
	ds_bpermute_b32 v5, v13, v4
	v_add_lshl_u32 v15, v7, v62, 2
	s_wait_dscnt 0x0
	s_wait_alu 0xfffd
	v_cndmask_b32_e32 v5, 0, v5, vcc_lo
	v_cmp_gt_u32_e32 vcc_lo, 24, v62
	s_delay_alu instid0(VALU_DEP_2)
	v_add_nc_u32_e32 v4, v4, v5
	s_wait_alu 0xfffd
	v_cndmask_b32_e64 v7, 0, 8, vcc_lo
	v_cmp_le_u32_e32 vcc_lo, v16, v2
	ds_bpermute_b32 v5, v15, v4
	v_add_lshl_u32 v17, v7, v62, 2
	s_wait_dscnt 0x0
	s_wait_alu 0xfffd
	v_cndmask_b32_e32 v5, 0, v5, vcc_lo
	v_cmp_le_u32_e32 vcc_lo, v65, v2
	s_delay_alu instid0(VALU_DEP_2)
	v_add_nc_u32_e32 v4, v4, v5
	ds_bpermute_b32 v5, v17, v4
	s_wait_dscnt 0x0
	s_wait_alu 0xfffd
	v_cndmask_b32_e32 v5, 0, v5, vcc_lo
	v_cmp_le_u32_e32 vcc_lo, v67, v2
	s_delay_alu instid0(VALU_DEP_2) | instskip(SKIP_4) | instid1(VALU_DEP_1)
	v_add_nc_u32_e32 v4, v4, v5
	ds_bpermute_b32 v5, v66, v4
	s_wait_dscnt 0x0
	s_wait_alu 0xfffd
	v_cndmask_b32_e32 v2, 0, v5, vcc_lo
	v_dual_mov_b32 v4, 0 :: v_dual_add_nc_u32 v5, v4, v2
	s_branch .LBB573_51
.LBB573_48:                             ;   in Loop: Header=BB573_51 Depth=1
	s_or_b32 exec_lo, exec_lo, s24
.LBB573_49:                             ;   in Loop: Header=BB573_51 Depth=1
	s_delay_alu instid0(SALU_CYCLE_1) | instskip(SKIP_4) | instid1(VALU_DEP_2)
	s_or_b32 exec_lo, exec_lo, s17
	ds_bpermute_b32 v8, v11, v5
	v_and_b32_e32 v7, 0xff, v6
	v_subrev_nc_u32_e32 v3, 32, v3
	s_mov_b32 s17, 0
	v_cmp_eq_u16_e32 vcc_lo, 2, v7
	s_wait_alu 0xfffd
	v_and_or_b32 v7, vcc_lo, v12, 0x80000000
	s_delay_alu instid0(VALU_DEP_1) | instskip(NEXT) | instid1(VALU_DEP_1)
	v_ctz_i32_b32_e32 v7, v7
	v_cmp_lt_u32_e32 vcc_lo, v62, v7
	s_wait_dscnt 0x0
	s_wait_alu 0xfffd
	v_cndmask_b32_e32 v8, 0, v8, vcc_lo
	v_cmp_le_u32_e32 vcc_lo, v14, v7
	s_delay_alu instid0(VALU_DEP_2)
	v_add_nc_u32_e32 v5, v8, v5
	ds_bpermute_b32 v8, v13, v5
	s_wait_dscnt 0x0
	s_wait_alu 0xfffd
	v_cndmask_b32_e32 v8, 0, v8, vcc_lo
	v_cmp_le_u32_e32 vcc_lo, v16, v7
	s_delay_alu instid0(VALU_DEP_2)
	v_add_nc_u32_e32 v5, v5, v8
	ds_bpermute_b32 v8, v15, v5
	s_wait_dscnt 0x0
	s_wait_alu 0xfffd
	v_cndmask_b32_e32 v8, 0, v8, vcc_lo
	v_cmp_le_u32_e32 vcc_lo, v65, v7
	s_delay_alu instid0(VALU_DEP_2)
	v_add_nc_u32_e32 v5, v5, v8
	ds_bpermute_b32 v8, v17, v5
	s_wait_dscnt 0x0
	s_wait_alu 0xfffd
	v_cndmask_b32_e32 v8, 0, v8, vcc_lo
	v_cmp_le_u32_e32 vcc_lo, v67, v7
	s_delay_alu instid0(VALU_DEP_2) | instskip(SKIP_4) | instid1(VALU_DEP_1)
	v_add_nc_u32_e32 v5, v5, v8
	ds_bpermute_b32 v8, v66, v5
	s_wait_dscnt 0x0
	s_wait_alu 0xfffd
	v_cndmask_b32_e32 v7, 0, v8, vcc_lo
	v_add3_u32 v5, v7, v2, v5
.LBB573_50:                             ;   in Loop: Header=BB573_51 Depth=1
	s_and_b32 vcc_lo, exec_lo, s17
	s_wait_alu 0xfffe
	s_cbranch_vccnz .LBB573_56
.LBB573_51:                             ; =>This Loop Header: Depth=1
                                        ;     Child Loop BB573_54 Depth 2
	v_and_b32_e32 v2, 0xff, v6
	s_mov_b32 s17, -1
                                        ; implicit-def: $vgpr6
	s_delay_alu instid0(VALU_DEP_1)
	v_cmp_ne_u16_e32 vcc_lo, 2, v2
	v_mov_b32_e32 v2, v5
                                        ; implicit-def: $vgpr5
	s_cmp_lg_u32 vcc_lo, exec_lo
	s_cbranch_scc1 .LBB573_50
; %bb.52:                               ;   in Loop: Header=BB573_51 Depth=1
	v_lshlrev_b64_e32 v[5:6], 3, v[3:4]
	s_mov_b32 s17, exec_lo
	s_delay_alu instid0(VALU_DEP_1) | instskip(SKIP_1) | instid1(VALU_DEP_2)
	v_add_co_u32 v7, vcc_lo, s20, v5
	s_wait_alu 0xfffd
	v_add_co_ci_u32_e64 v8, null, s21, v6, vcc_lo
	global_load_b64 v[5:6], v[7:8], off scope:SCOPE_DEV
	s_wait_loadcnt 0x0
	v_and_b32_e32 v68, 0xff, v6
	s_delay_alu instid0(VALU_DEP_1)
	v_cmpx_eq_u16_e32 0, v68
	s_cbranch_execz .LBB573_49
; %bb.53:                               ;   in Loop: Header=BB573_51 Depth=1
	s_mov_b32 s24, 0
.LBB573_54:                             ;   Parent Loop BB573_51 Depth=1
                                        ; =>  This Inner Loop Header: Depth=2
	global_load_b64 v[5:6], v[7:8], off scope:SCOPE_DEV
	s_wait_loadcnt 0x0
	v_and_b32_e32 v68, 0xff, v6
	s_delay_alu instid0(VALU_DEP_1) | instskip(SKIP_1) | instid1(SALU_CYCLE_1)
	v_cmp_ne_u16_e32 vcc_lo, 0, v68
	s_or_b32 s24, vcc_lo, s24
	s_and_not1_b32 exec_lo, exec_lo, s24
	s_cbranch_execnz .LBB573_54
	s_branch .LBB573_48
.LBB573_55:
                                        ; implicit-def: $vgpr17
                                        ; implicit-def: $vgpr1_vgpr2_vgpr3_vgpr4_vgpr5_vgpr6_vgpr7_vgpr8_vgpr9_vgpr10_vgpr11_vgpr12_vgpr13_vgpr14_vgpr15_vgpr16
	s_wait_alu 0xfffe
	s_and_b32 vcc_lo, exec_lo, s6
	s_wait_alu 0xfffe
	s_cbranch_vccnz .LBB573_61
	s_branch .LBB573_70
.LBB573_56:
	s_and_saveexec_b32 s17, s6
	s_cbranch_execz .LBB573_58
; %bb.57:
	s_add_co_i32 s24, ttmp9, 32
	s_mov_b32 s25, 0
	v_dual_mov_b32 v4, 2 :: v_dual_add_nc_u32 v3, v2, v1
	v_mov_b32_e32 v5, 0
	s_lshl_b64 s[24:25], s[24:25], 3
	s_delay_alu instid0(SALU_CYCLE_1)
	s_add_nc_u64 s[24:25], s[20:21], s[24:25]
	global_store_b64 v5, v[3:4], s[24:25] scope:SCOPE_DEV
	ds_store_b64 v5, v[1:2] offset:13312
.LBB573_58:
	s_or_b32 exec_lo, exec_lo, s17
	v_cmp_eq_u32_e32 vcc_lo, 0, v0
	s_and_b32 exec_lo, exec_lo, vcc_lo
; %bb.59:
	v_mov_b32_e32 v1, 0
	ds_store_b32 v1, v2 offset:28
.LBB573_60:
	s_wait_alu 0xfffe
	s_or_b32 exec_lo, exec_lo, s7
	s_wait_dscnt 0x0
	v_cndmask_b32_e64 v2, v10, v9, s6
	v_cmp_ne_u32_e32 vcc_lo, 0, v0
	v_mov_b32_e32 v11, 0
	s_wait_loadcnt 0x0
	s_wait_storecnt 0x0
	s_barrier_signal -1
	s_barrier_wait -1
	global_inv scope:SCOPE_SE
	s_wait_alu 0xfffd
	v_cndmask_b32_e32 v2, 0, v2, vcc_lo
	ds_load_b32 v1, v11 offset:28
	s_wait_loadcnt_dscnt 0x0
	s_barrier_signal -1
	s_barrier_wait -1
	global_inv scope:SCOPE_SE
	ds_load_b64 v[16:17], v11 offset:13312
	v_add_nc_u32_e32 v1, v1, v2
	s_delay_alu instid0(VALU_DEP_1) | instskip(NEXT) | instid1(VALU_DEP_1)
	v_add_nc_u32_e32 v2, v1, v53
	v_add_nc_u32_e32 v3, v2, v54
	s_delay_alu instid0(VALU_DEP_1) | instskip(NEXT) | instid1(VALU_DEP_1)
	v_add_nc_u32_e32 v4, v3, v55
	;; [unrolled: 3-line block ×6, first 2 shown]
	v_add_nc_u32_e32 v13, v12, v48
	s_branch .LBB573_70
.LBB573_61:
	v_mov_b32_dpp v1, v64 row_shr:1 row_mask:0xf bank_mask:0xf
	s_delay_alu instid0(VALU_DEP_1) | instskip(NEXT) | instid1(VALU_DEP_1)
	v_cndmask_b32_e64 v1, v1, 0, s5
	v_add_nc_u32_e32 v1, v1, v64
	s_delay_alu instid0(VALU_DEP_1) | instskip(NEXT) | instid1(VALU_DEP_1)
	v_mov_b32_dpp v2, v1 row_shr:2 row_mask:0xf bank_mask:0xf
	v_cndmask_b32_e64 v2, 0, v2, s4
	s_delay_alu instid0(VALU_DEP_1) | instskip(NEXT) | instid1(VALU_DEP_1)
	v_add_nc_u32_e32 v1, v1, v2
	v_mov_b32_dpp v2, v1 row_shr:4 row_mask:0xf bank_mask:0xf
	s_delay_alu instid0(VALU_DEP_1) | instskip(NEXT) | instid1(VALU_DEP_1)
	v_cndmask_b32_e64 v2, 0, v2, s3
	v_add_nc_u32_e32 v1, v1, v2
	s_delay_alu instid0(VALU_DEP_1) | instskip(NEXT) | instid1(VALU_DEP_1)
	v_mov_b32_dpp v2, v1 row_shr:8 row_mask:0xf bank_mask:0xf
	v_cndmask_b32_e64 v2, 0, v2, s2
	s_delay_alu instid0(VALU_DEP_1) | instskip(SKIP_3) | instid1(VALU_DEP_1)
	v_add_nc_u32_e32 v1, v1, v2
	ds_swizzle_b32 v2, v1 offset:swizzle(BROADCAST,32,15)
	s_wait_dscnt 0x0
	v_cndmask_b32_e64 v2, v2, 0, s1
	v_add_nc_u32_e32 v1, v1, v2
	s_and_saveexec_b32 s1, s0
; %bb.62:
	v_lshlrev_b32_e32 v2, 2, v63
	ds_store_b32 v2, v1
; %bb.63:
	s_wait_alu 0xfffe
	s_or_b32 exec_lo, exec_lo, s1
	s_delay_alu instid0(SALU_CYCLE_1)
	s_mov_b32 s0, exec_lo
	s_wait_loadcnt_dscnt 0x0
	s_barrier_signal -1
	s_barrier_wait -1
	global_inv scope:SCOPE_SE
	v_cmpx_gt_u32_e32 8, v0
	s_cbranch_execz .LBB573_65
; %bb.64:
	ds_load_b32 v2, v42
	s_wait_dscnt 0x0
	v_mov_b32_dpp v4, v2 row_shr:1 row_mask:0xf bank_mask:0xf
	v_and_b32_e32 v3, 7, v62
	s_delay_alu instid0(VALU_DEP_1) | instskip(SKIP_1) | instid1(VALU_DEP_3)
	v_cmp_ne_u32_e32 vcc_lo, 0, v3
	s_wait_alu 0xfffd
	v_cndmask_b32_e32 v4, 0, v4, vcc_lo
	v_cmp_lt_u32_e32 vcc_lo, 1, v3
	s_delay_alu instid0(VALU_DEP_2) | instskip(NEXT) | instid1(VALU_DEP_1)
	v_add_nc_u32_e32 v2, v4, v2
	v_mov_b32_dpp v4, v2 row_shr:2 row_mask:0xf bank_mask:0xf
	s_wait_alu 0xfffd
	s_delay_alu instid0(VALU_DEP_1) | instskip(SKIP_1) | instid1(VALU_DEP_2)
	v_cndmask_b32_e32 v4, 0, v4, vcc_lo
	v_cmp_lt_u32_e32 vcc_lo, 3, v3
	v_add_nc_u32_e32 v2, v2, v4
	s_delay_alu instid0(VALU_DEP_1) | instskip(SKIP_1) | instid1(VALU_DEP_1)
	v_mov_b32_dpp v4, v2 row_shr:4 row_mask:0xf bank_mask:0xf
	s_wait_alu 0xfffd
	v_cndmask_b32_e32 v3, 0, v4, vcc_lo
	s_delay_alu instid0(VALU_DEP_1)
	v_add_nc_u32_e32 v2, v2, v3
	ds_store_b32 v42, v2
.LBB573_65:
	s_wait_alu 0xfffe
	s_or_b32 exec_lo, exec_lo, s0
	v_dual_mov_b32 v3, 0 :: v_dual_mov_b32 v2, 0
	s_mov_b32 s0, exec_lo
	s_wait_loadcnt_dscnt 0x0
	s_barrier_signal -1
	s_barrier_wait -1
	global_inv scope:SCOPE_SE
	v_cmpx_lt_u32_e32 31, v0
; %bb.66:
	v_lshl_add_u32 v2, v63, 2, -4
	ds_load_b32 v2, v2
; %bb.67:
	s_wait_alu 0xfffe
	s_or_b32 exec_lo, exec_lo, s0
	v_sub_co_u32 v4, vcc_lo, v62, 1
	s_wait_dscnt 0x0
	v_add_nc_u32_e32 v1, v2, v1
	ds_load_b32 v16, v3 offset:28
	v_cmp_gt_i32_e64 s0, 0, v4
	s_wait_alu 0xf1ff
	s_delay_alu instid0(VALU_DEP_1) | instskip(SKIP_1) | instid1(VALU_DEP_2)
	v_cndmask_b32_e64 v4, v4, v62, s0
	v_cmp_eq_u32_e64 s0, 0, v0
	v_lshlrev_b32_e32 v4, 2, v4
	ds_bpermute_b32 v1, v4, v1
	s_and_saveexec_b32 s1, s0
	s_cbranch_execz .LBB573_69
; %bb.68:
	v_mov_b32_e32 v3, 0
	v_mov_b32_e32 v17, 2
	s_wait_dscnt 0x1
	s_wait_kmcnt 0x0
	global_store_b64 v3, v[16:17], s[20:21] offset:256 scope:SCOPE_DEV
.LBB573_69:
	s_wait_alu 0xfffe
	s_or_b32 exec_lo, exec_lo, s1
	s_wait_dscnt 0x0
	s_wait_alu 0xfffd
	v_cndmask_b32_e32 v1, v1, v2, vcc_lo
	s_wait_loadcnt 0x0
	s_wait_storecnt 0x0
	s_barrier_signal -1
	s_barrier_wait -1
	global_inv scope:SCOPE_SE
	v_cndmask_b32_e64 v1, v1, 0, s0
	s_delay_alu instid0(VALU_DEP_1) | instskip(NEXT) | instid1(VALU_DEP_1)
	v_dual_mov_b32 v17, 0 :: v_dual_add_nc_u32 v2, v1, v53
	v_add_nc_u32_e32 v3, v2, v54
	s_delay_alu instid0(VALU_DEP_1) | instskip(NEXT) | instid1(VALU_DEP_1)
	v_add_nc_u32_e32 v4, v3, v55
	v_add_nc_u32_e32 v5, v4, v52
	s_delay_alu instid0(VALU_DEP_1) | instskip(NEXT) | instid1(VALU_DEP_1)
	v_add_nc_u32_e32 v6, v5, v56
	;; [unrolled: 3-line block ×5, first 2 shown]
	v_add_nc_u32_e32 v13, v12, v48
.LBB573_70:
	v_lshrrev_b32_e32 v56, 8, v51
	v_lshrrev_b32_e32 v55, 16, v51
	s_wait_dscnt 0x0
	v_sub_nc_u32_e32 v1, v1, v17
	v_and_b32_e32 v51, 1, v51
	v_sub_nc_u32_e32 v3, v3, v17
	v_add_nc_u32_e32 v45, v16, v45
	v_sub_nc_u32_e32 v2, v2, v17
	v_sub_nc_u32_e32 v4, v4, v17
	v_cmp_eq_u32_e32 vcc_lo, 1, v51
	v_and_b32_e32 v51, 1, v55
	v_sub_nc_u32_e32 v57, v45, v1
	v_and_b32_e32 v56, 1, v56
	v_sub_nc_u32_e32 v55, v45, v2
	v_lshrrev_b32_e32 v54, 8, v49
	v_lshrrev_b32_e32 v53, 16, v49
	s_wait_alu 0xfffd
	v_cndmask_b32_e32 v1, v57, v1, vcc_lo
	v_sub_nc_u32_e32 v57, v45, v3
	v_add_nc_u32_e32 v55, 1, v55
	v_cmp_eq_u32_e32 vcc_lo, 1, v56
	v_and_b32_e32 v52, 1, v52
	v_lshlrev_b32_e32 v1, 2, v1
	v_add_nc_u32_e32 v57, 2, v57
	v_lshrrev_b32_e32 v15, 8, v47
	v_lshrrev_b32_e32 v14, 16, v47
	ds_store_b32 v1, v28
	s_wait_alu 0xfffd
	v_cndmask_b32_e32 v1, v55, v2, vcc_lo
	v_cmp_eq_u32_e32 vcc_lo, 1, v51
	s_wait_alu 0xfffd
	s_delay_alu instid0(VALU_DEP_2)
	v_dual_cndmask_b32 v2, v57, v3 :: v_dual_lshlrev_b32 v1, 2, v1
	v_sub_nc_u32_e32 v58, v45, v4
	v_cmp_eq_u32_e32 vcc_lo, 1, v52
	ds_store_b32 v1, v29
	v_lshlrev_b32_e32 v2, 2, v2
	v_add_nc_u32_e32 v58, 3, v58
	s_wait_alu 0xfffd
	s_delay_alu instid0(VALU_DEP_1) | instskip(SKIP_2) | instid1(VALU_DEP_3)
	v_cndmask_b32_e32 v3, v58, v4, vcc_lo
	v_sub_nc_u32_e32 v4, v5, v17
	v_sub_nc_u32_e32 v5, v6, v17
	v_lshlrev_b32_e32 v3, 2, v3
	s_delay_alu instid0(VALU_DEP_3) | instskip(NEXT) | instid1(VALU_DEP_3)
	v_sub_nc_u32_e32 v1, v45, v4
	v_sub_nc_u32_e32 v6, v45, v5
	ds_store_b32 v2, v26
	ds_store_b32 v3, v27
	v_and_b32_e32 v2, 1, v49
	v_add_nc_u32_e32 v1, 4, v1
	v_add_nc_u32_e32 v3, 5, v6
	v_sub_nc_u32_e32 v6, v7, v17
	v_and_b32_e32 v7, 1, v54
	v_cmp_eq_u32_e32 vcc_lo, 1, v2
	v_sub_nc_u32_e32 v2, v8, v17
	s_wait_alu 0xfffd
	v_dual_cndmask_b32 v1, v1, v4 :: v_dual_and_b32 v8, 1, v50
	v_sub_nc_u32_e32 v4, v45, v6
	v_cmp_eq_u32_e32 vcc_lo, 1, v7
	v_and_b32_e32 v7, 1, v53
	s_delay_alu instid0(VALU_DEP_4)
	v_lshlrev_b32_e32 v1, 2, v1
	s_wait_alu 0xfffd
	v_dual_cndmask_b32 v3, v3, v5 :: v_dual_add_nc_u32 v4, 6, v4
	v_sub_nc_u32_e32 v5, v45, v2
	v_cmp_eq_u32_e32 vcc_lo, 1, v7
	v_sub_nc_u32_e32 v7, v13, v17
	s_delay_alu instid0(VALU_DEP_4)
	v_lshlrev_b32_e32 v3, 2, v3
	s_wait_alu 0xfffd
	v_dual_cndmask_b32 v4, v4, v6 :: v_dual_add_nc_u32 v5, 7, v5
	v_cmp_eq_u32_e32 vcc_lo, 1, v8
	v_sub_nc_u32_e32 v6, v9, v17
	ds_store_b32 v1, v24
	ds_store_b32 v3, v25
	s_wait_alu 0xfffd
	v_dual_cndmask_b32 v2, v5, v2 :: v_dual_lshlrev_b32 v3, 2, v4
	v_and_b32_e32 v5, 1, v47
	v_sub_nc_u32_e32 v1, v45, v6
	v_sub_nc_u32_e32 v4, v10, v17
	v_and_b32_e32 v10, 1, v48
	s_delay_alu instid0(VALU_DEP_4) | instskip(SKIP_2) | instid1(VALU_DEP_2)
	v_cmp_eq_u32_e32 vcc_lo, 1, v5
	v_sub_nc_u32_e32 v5, v12, v17
	v_add_nc_u32_e32 v1, 8, v1
	v_sub_nc_u32_e32 v9, v45, v5
	s_wait_alu 0xfffd
	s_delay_alu instid0(VALU_DEP_2)
	v_dual_cndmask_b32 v1, v1, v6 :: v_dual_and_b32 v6, 1, v15
	s_wait_kmcnt 0x0
	v_add_co_u32 v15, s0, s18, v17
	v_add_nc_u32_e32 v9, 11, v9
	v_lshlrev_b32_e32 v2, 2, v2
	ds_store_b32 v3, v22
	ds_store_b32 v2, v23
	v_sub_nc_u32_e32 v3, v11, v17
	v_sub_nc_u32_e32 v2, v45, v4
	v_cmp_eq_u32_e32 vcc_lo, 1, v6
	v_and_b32_e32 v11, 1, v46
	v_lshlrev_b32_e32 v1, 2, v1
	v_sub_nc_u32_e32 v8, v45, v3
	v_add_nc_u32_e32 v2, 9, v2
	s_wait_alu 0xf1ff
	v_add_co_ci_u32_e64 v17, null, s19, 0, s0
	s_delay_alu instid0(VALU_DEP_3) | instskip(SKIP_4) | instid1(VALU_DEP_3)
	v_add_nc_u32_e32 v6, 10, v8
	v_and_b32_e32 v8, 1, v14
	s_wait_alu 0xfffd
	v_cndmask_b32_e32 v2, v2, v4, vcc_lo
	v_sub_nc_u32_e32 v4, v45, v7
	v_cmp_eq_u32_e32 vcc_lo, 1, v8
	s_delay_alu instid0(VALU_DEP_3) | instskip(SKIP_1) | instid1(VALU_DEP_3)
	v_lshlrev_b32_e32 v2, 2, v2
	s_wait_alu 0xfffd
	v_dual_cndmask_b32 v3, v6, v3 :: v_dual_add_nc_u32 v4, 12, v4
	v_cmp_eq_u32_e32 vcc_lo, 1, v10
	s_delay_alu instid0(VALU_DEP_2) | instskip(SKIP_4) | instid1(VALU_DEP_2)
	v_lshlrev_b32_e32 v3, 2, v3
	s_wait_alu 0xfffd
	v_cndmask_b32_e32 v5, v9, v5, vcc_lo
	v_cmp_eq_u32_e32 vcc_lo, 1, v11
	s_wait_alu 0xfffd
	v_dual_cndmask_b32 v4, v4, v7 :: v_dual_lshlrev_b32 v5, 2, v5
	v_cmp_ne_u32_e32 vcc_lo, 1, v43
	s_delay_alu instid0(VALU_DEP_2)
	v_lshlrev_b32_e32 v4, 2, v4
	ds_store_b32 v1, v20
	ds_store_b32 v2, v21
	ds_store_b32 v3, v18
	ds_store_b32 v5, v19
	ds_store_b32 v4, v44
	s_wait_loadcnt_dscnt 0x0
	s_barrier_signal -1
	s_barrier_wait -1
	global_inv scope:SCOPE_SE
	ds_load_2addr_stride64_b32 v[11:12], v42 offset1:4
	ds_load_2addr_stride64_b32 v[9:10], v42 offset0:8 offset1:12
	ds_load_2addr_stride64_b32 v[7:8], v42 offset0:16 offset1:20
	;; [unrolled: 1-line block ×5, first 2 shown]
	ds_load_b32 v18, v42 offset:12288
	s_cbranch_vccnz .LBB573_124
; %bb.71:
	s_mov_b32 s17, 0
	v_sub_co_u32 v13, vcc_lo, v15, s12
	s_sub_nc_u64 s[0:1], s[14:15], s[16:17]
	s_wait_alu 0xfffd
	v_subrev_co_ci_u32_e64 v14, null, s13, v17, vcc_lo
	s_wait_alu 0xfffe
	v_add_co_u32 v19, s0, s0, v16
	s_wait_alu 0xf1ff
	v_add_co_ci_u32_e64 v20, null, s1, 0, s0
	s_mov_b32 s0, exec_lo
	v_add_co_u32 v19, vcc_lo, v19, v13
	s_wait_alu 0xfffd
	v_add_co_ci_u32_e64 v20, null, v20, v14, vcc_lo
                                        ; implicit-def: $vgpr13_vgpr14
	v_cmpx_ge_u32_e64 v0, v16
	s_wait_alu 0xfffe
	s_xor_b32 s0, exec_lo, s0
; %bb.72:
	v_not_b32_e32 v13, v0
	s_delay_alu instid0(VALU_DEP_1) | instskip(SKIP_2) | instid1(VALU_DEP_2)
	v_ashrrev_i32_e32 v14, 31, v13
	v_add_co_u32 v13, vcc_lo, v19, v13
	s_wait_alu 0xfffd
	v_add_co_ci_u32_e64 v14, null, v20, v14, vcc_lo
; %bb.73:
	s_wait_alu 0xfffe
	s_and_not1_saveexec_b32 s0, s0
; %bb.74:
	v_add_co_u32 v13, vcc_lo, v15, v0
	s_wait_alu 0xfffd
	v_add_co_ci_u32_e64 v14, null, 0, v17, vcc_lo
; %bb.75:
	s_wait_alu 0xfffe
	s_or_b32 exec_lo, exec_lo, s0
	s_delay_alu instid0(VALU_DEP_1) | instskip(SKIP_1) | instid1(VALU_DEP_1)
	v_lshlrev_b64_e32 v[13:14], 2, v[13:14]
	s_mov_b32 s0, exec_lo
	v_add_co_u32 v13, vcc_lo, s10, v13
	s_wait_alu 0xfffd
	s_delay_alu instid0(VALU_DEP_2)
	v_add_co_ci_u32_e64 v14, null, s11, v14, vcc_lo
	s_wait_dscnt 0x6
	global_store_b32 v[13:14], v11, off
                                        ; implicit-def: $vgpr13_vgpr14
	v_cmpx_ge_u32_e64 v41, v16
	s_wait_alu 0xfffe
	s_xor_b32 s0, exec_lo, s0
; %bb.76:
	v_xor_b32_e32 v13, 0xfffffeff, v0
	s_delay_alu instid0(VALU_DEP_1) | instskip(SKIP_2) | instid1(VALU_DEP_2)
	v_ashrrev_i32_e32 v14, 31, v13
	v_add_co_u32 v13, vcc_lo, v19, v13
	s_wait_alu 0xfffd
	v_add_co_ci_u32_e64 v14, null, v20, v14, vcc_lo
; %bb.77:
	s_wait_alu 0xfffe
	s_and_not1_saveexec_b32 s0, s0
; %bb.78:
	v_add_co_u32 v13, vcc_lo, v15, v41
	s_wait_alu 0xfffd
	v_add_co_ci_u32_e64 v14, null, 0, v17, vcc_lo
; %bb.79:
	s_wait_alu 0xfffe
	s_or_b32 exec_lo, exec_lo, s0
	s_delay_alu instid0(VALU_DEP_1) | instskip(SKIP_1) | instid1(VALU_DEP_1)
	v_lshlrev_b64_e32 v[13:14], 2, v[13:14]
	s_mov_b32 s0, exec_lo
	v_add_co_u32 v13, vcc_lo, s10, v13
	s_wait_alu 0xfffd
	s_delay_alu instid0(VALU_DEP_2)
	v_add_co_ci_u32_e64 v14, null, s11, v14, vcc_lo
	global_store_b32 v[13:14], v12, off
                                        ; implicit-def: $vgpr13_vgpr14
	v_cmpx_ge_u32_e64 v40, v16
	s_wait_alu 0xfffe
	s_xor_b32 s0, exec_lo, s0
; %bb.80:
	v_xor_b32_e32 v13, 0xfffffdff, v0
	s_delay_alu instid0(VALU_DEP_1) | instskip(SKIP_2) | instid1(VALU_DEP_2)
	v_ashrrev_i32_e32 v14, 31, v13
	v_add_co_u32 v13, vcc_lo, v19, v13
	s_wait_alu 0xfffd
	v_add_co_ci_u32_e64 v14, null, v20, v14, vcc_lo
; %bb.81:
	s_wait_alu 0xfffe
	s_and_not1_saveexec_b32 s0, s0
; %bb.82:
	v_add_co_u32 v13, vcc_lo, v15, v40
	s_wait_alu 0xfffd
	v_add_co_ci_u32_e64 v14, null, 0, v17, vcc_lo
; %bb.83:
	s_wait_alu 0xfffe
	s_or_b32 exec_lo, exec_lo, s0
	s_delay_alu instid0(VALU_DEP_1) | instskip(SKIP_1) | instid1(VALU_DEP_1)
	v_lshlrev_b64_e32 v[13:14], 2, v[13:14]
	s_mov_b32 s0, exec_lo
	v_add_co_u32 v13, vcc_lo, s10, v13
	s_wait_alu 0xfffd
	s_delay_alu instid0(VALU_DEP_2)
	v_add_co_ci_u32_e64 v14, null, s11, v14, vcc_lo
	s_wait_dscnt 0x5
	global_store_b32 v[13:14], v9, off
                                        ; implicit-def: $vgpr13_vgpr14
	v_cmpx_ge_u32_e64 v39, v16
	s_wait_alu 0xfffe
	s_xor_b32 s0, exec_lo, s0
; %bb.84:
	v_xor_b32_e32 v13, 0xfffffcff, v0
	s_delay_alu instid0(VALU_DEP_1) | instskip(SKIP_2) | instid1(VALU_DEP_2)
	v_ashrrev_i32_e32 v14, 31, v13
	v_add_co_u32 v13, vcc_lo, v19, v13
	s_wait_alu 0xfffd
	v_add_co_ci_u32_e64 v14, null, v20, v14, vcc_lo
; %bb.85:
	s_wait_alu 0xfffe
	s_and_not1_saveexec_b32 s0, s0
; %bb.86:
	v_add_co_u32 v13, vcc_lo, v15, v39
	s_wait_alu 0xfffd
	v_add_co_ci_u32_e64 v14, null, 0, v17, vcc_lo
; %bb.87:
	s_wait_alu 0xfffe
	s_or_b32 exec_lo, exec_lo, s0
	s_delay_alu instid0(VALU_DEP_1) | instskip(SKIP_1) | instid1(VALU_DEP_1)
	v_lshlrev_b64_e32 v[13:14], 2, v[13:14]
	s_mov_b32 s0, exec_lo
	v_add_co_u32 v13, vcc_lo, s10, v13
	s_wait_alu 0xfffd
	s_delay_alu instid0(VALU_DEP_2)
	v_add_co_ci_u32_e64 v14, null, s11, v14, vcc_lo
	global_store_b32 v[13:14], v10, off
                                        ; implicit-def: $vgpr13_vgpr14
	v_cmpx_ge_u32_e64 v38, v16
	s_wait_alu 0xfffe
	s_xor_b32 s0, exec_lo, s0
; %bb.88:
	v_xor_b32_e32 v13, 0xfffffbff, v0
	;; [unrolled: 59-line block ×6, first 2 shown]
	s_delay_alu instid0(VALU_DEP_1) | instskip(SKIP_2) | instid1(VALU_DEP_2)
	v_ashrrev_i32_e32 v14, 31, v13
	v_add_co_u32 v13, vcc_lo, v19, v13
	s_wait_alu 0xfffd
	v_add_co_ci_u32_e64 v14, null, v20, v14, vcc_lo
; %bb.121:
	s_wait_alu 0xfffe
	s_and_not1_saveexec_b32 s0, s0
; %bb.122:
	v_add_co_u32 v13, vcc_lo, v15, v30
	s_wait_alu 0xfffd
	v_add_co_ci_u32_e64 v14, null, 0, v17, vcc_lo
; %bb.123:
	s_wait_alu 0xfffe
	s_or_b32 exec_lo, exec_lo, s0
	s_mov_b32 s0, -1
	s_branch .LBB573_204
.LBB573_124:
	s_mov_b32 s0, 0
                                        ; implicit-def: $vgpr13_vgpr14
	s_cbranch_execz .LBB573_204
; %bb.125:
	s_mov_b32 s17, 0
	s_delay_alu instid0(SALU_CYCLE_1)
	s_add_nc_u64 s[2:3], s[12:13], s[16:17]
	s_wait_alu 0xfffe
	s_sub_nc_u64 s[2:3], s[14:15], s[2:3]
	s_wait_alu 0xfffe
	v_add_co_u32 v13, s1, s2, v16
	s_wait_alu 0xf1ff
	v_add_co_ci_u32_e64 v14, null, s3, 0, s1
	s_mov_b32 s1, exec_lo
	v_add_co_u32 v19, vcc_lo, v13, v15
	s_wait_alu 0xfffd
	v_add_co_ci_u32_e64 v20, null, v14, v17, vcc_lo
	v_cmpx_gt_u32_e64 s23, v0
	s_cbranch_execz .LBB573_161
; %bb.126:
	s_mov_b32 s2, exec_lo
                                        ; implicit-def: $vgpr13_vgpr14
	v_cmpx_ge_u32_e64 v0, v16
	s_wait_alu 0xfffe
	s_xor_b32 s2, exec_lo, s2
; %bb.127:
	v_not_b32_e32 v13, v0
	s_delay_alu instid0(VALU_DEP_1) | instskip(SKIP_2) | instid1(VALU_DEP_2)
	v_ashrrev_i32_e32 v14, 31, v13
	v_add_co_u32 v13, vcc_lo, v19, v13
	s_wait_alu 0xfffd
	v_add_co_ci_u32_e64 v14, null, v20, v14, vcc_lo
; %bb.128:
	s_wait_alu 0xfffe
	s_and_not1_saveexec_b32 s2, s2
; %bb.129:
	v_add_co_u32 v13, vcc_lo, v15, v0
	s_wait_alu 0xfffd
	v_add_co_ci_u32_e64 v14, null, 0, v17, vcc_lo
; %bb.130:
	s_wait_alu 0xfffe
	s_or_b32 exec_lo, exec_lo, s2
	s_delay_alu instid0(VALU_DEP_1) | instskip(NEXT) | instid1(VALU_DEP_1)
	v_lshlrev_b64_e32 v[13:14], 2, v[13:14]
	v_add_co_u32 v13, vcc_lo, s10, v13
	s_wait_alu 0xfffd
	s_delay_alu instid0(VALU_DEP_2) | instskip(SKIP_3) | instid1(SALU_CYCLE_1)
	v_add_co_ci_u32_e64 v14, null, s11, v14, vcc_lo
	s_wait_dscnt 0x6
	global_store_b32 v[13:14], v11, off
	s_or_b32 exec_lo, exec_lo, s1
	s_mov_b32 s1, exec_lo
	v_cmpx_gt_u32_e64 s23, v41
	s_cbranch_execnz .LBB573_162
.LBB573_131:
	s_wait_alu 0xfffe
	s_or_b32 exec_lo, exec_lo, s1
	s_delay_alu instid0(SALU_CYCLE_1)
	s_mov_b32 s1, exec_lo
	v_cmpx_gt_u32_e64 s23, v40
	s_cbranch_execz .LBB573_167
.LBB573_132:
	s_mov_b32 s2, exec_lo
                                        ; implicit-def: $vgpr11_vgpr12
	v_cmpx_ge_u32_e64 v40, v16
	s_wait_alu 0xfffe
	s_xor_b32 s2, exec_lo, s2
	s_cbranch_execz .LBB573_134
; %bb.133:
	s_wait_dscnt 0x6
	v_xor_b32_e32 v11, 0xfffffdff, v0
                                        ; implicit-def: $vgpr40
	s_delay_alu instid0(VALU_DEP_1) | instskip(SKIP_2) | instid1(VALU_DEP_2)
	v_ashrrev_i32_e32 v12, 31, v11
	v_add_co_u32 v11, vcc_lo, v19, v11
	s_wait_alu 0xfffd
	v_add_co_ci_u32_e64 v12, null, v20, v12, vcc_lo
.LBB573_134:
	s_wait_alu 0xfffe
	s_and_not1_saveexec_b32 s2, s2
	s_cbranch_execz .LBB573_136
; %bb.135:
	s_wait_dscnt 0x6
	v_add_co_u32 v11, vcc_lo, v15, v40
	s_wait_alu 0xfffd
	v_add_co_ci_u32_e64 v12, null, 0, v17, vcc_lo
.LBB573_136:
	s_wait_alu 0xfffe
	s_or_b32 exec_lo, exec_lo, s2
	s_wait_dscnt 0x6
	s_delay_alu instid0(VALU_DEP_1) | instskip(NEXT) | instid1(VALU_DEP_1)
	v_lshlrev_b64_e32 v[11:12], 2, v[11:12]
	v_add_co_u32 v11, vcc_lo, s10, v11
	s_wait_alu 0xfffd
	s_delay_alu instid0(VALU_DEP_2) | instskip(SKIP_3) | instid1(SALU_CYCLE_1)
	v_add_co_ci_u32_e64 v12, null, s11, v12, vcc_lo
	s_wait_dscnt 0x5
	global_store_b32 v[11:12], v9, off
	s_or_b32 exec_lo, exec_lo, s1
	s_mov_b32 s1, exec_lo
	v_cmpx_gt_u32_e64 s23, v39
	s_cbranch_execnz .LBB573_168
.LBB573_137:
	s_wait_alu 0xfffe
	s_or_b32 exec_lo, exec_lo, s1
	s_delay_alu instid0(SALU_CYCLE_1)
	s_mov_b32 s1, exec_lo
	v_cmpx_gt_u32_e64 s23, v38
	s_cbranch_execz .LBB573_173
.LBB573_138:
	s_mov_b32 s2, exec_lo
                                        ; implicit-def: $vgpr9_vgpr10
	v_cmpx_ge_u32_e64 v38, v16
	s_wait_alu 0xfffe
	s_xor_b32 s2, exec_lo, s2
	s_cbranch_execz .LBB573_140
; %bb.139:
	s_wait_dscnt 0x5
	v_xor_b32_e32 v9, 0xfffffbff, v0
                                        ; implicit-def: $vgpr38
	s_delay_alu instid0(VALU_DEP_1) | instskip(SKIP_2) | instid1(VALU_DEP_2)
	v_ashrrev_i32_e32 v10, 31, v9
	v_add_co_u32 v9, vcc_lo, v19, v9
	s_wait_alu 0xfffd
	v_add_co_ci_u32_e64 v10, null, v20, v10, vcc_lo
.LBB573_140:
	s_wait_alu 0xfffe
	s_and_not1_saveexec_b32 s2, s2
	s_cbranch_execz .LBB573_142
; %bb.141:
	s_wait_dscnt 0x5
	v_add_co_u32 v9, vcc_lo, v15, v38
	s_wait_alu 0xfffd
	v_add_co_ci_u32_e64 v10, null, 0, v17, vcc_lo
.LBB573_142:
	s_wait_alu 0xfffe
	s_or_b32 exec_lo, exec_lo, s2
	s_wait_dscnt 0x5
	s_delay_alu instid0(VALU_DEP_1) | instskip(NEXT) | instid1(VALU_DEP_1)
	v_lshlrev_b64_e32 v[9:10], 2, v[9:10]
	v_add_co_u32 v9, vcc_lo, s10, v9
	s_wait_alu 0xfffd
	s_delay_alu instid0(VALU_DEP_2) | instskip(SKIP_3) | instid1(SALU_CYCLE_1)
	v_add_co_ci_u32_e64 v10, null, s11, v10, vcc_lo
	s_wait_dscnt 0x4
	global_store_b32 v[9:10], v7, off
	s_or_b32 exec_lo, exec_lo, s1
	s_mov_b32 s1, exec_lo
	v_cmpx_gt_u32_e64 s23, v37
	s_cbranch_execnz .LBB573_174
.LBB573_143:
	s_wait_alu 0xfffe
	s_or_b32 exec_lo, exec_lo, s1
	s_delay_alu instid0(SALU_CYCLE_1)
	s_mov_b32 s1, exec_lo
	v_cmpx_gt_u32_e64 s23, v36
	s_cbranch_execz .LBB573_179
.LBB573_144:
	s_mov_b32 s2, exec_lo
                                        ; implicit-def: $vgpr7_vgpr8
	v_cmpx_ge_u32_e64 v36, v16
	s_wait_alu 0xfffe
	s_xor_b32 s2, exec_lo, s2
	s_cbranch_execz .LBB573_146
; %bb.145:
	s_wait_dscnt 0x4
	v_xor_b32_e32 v7, 0xfffff9ff, v0
                                        ; implicit-def: $vgpr36
	s_delay_alu instid0(VALU_DEP_1) | instskip(SKIP_2) | instid1(VALU_DEP_2)
	v_ashrrev_i32_e32 v8, 31, v7
	v_add_co_u32 v7, vcc_lo, v19, v7
	s_wait_alu 0xfffd
	v_add_co_ci_u32_e64 v8, null, v20, v8, vcc_lo
.LBB573_146:
	s_wait_alu 0xfffe
	s_and_not1_saveexec_b32 s2, s2
	s_cbranch_execz .LBB573_148
; %bb.147:
	s_wait_dscnt 0x4
	v_add_co_u32 v7, vcc_lo, v15, v36
	s_wait_alu 0xfffd
	v_add_co_ci_u32_e64 v8, null, 0, v17, vcc_lo
.LBB573_148:
	s_wait_alu 0xfffe
	s_or_b32 exec_lo, exec_lo, s2
	s_wait_dscnt 0x4
	s_delay_alu instid0(VALU_DEP_1) | instskip(NEXT) | instid1(VALU_DEP_1)
	v_lshlrev_b64_e32 v[7:8], 2, v[7:8]
	v_add_co_u32 v7, vcc_lo, s10, v7
	s_wait_alu 0xfffd
	s_delay_alu instid0(VALU_DEP_2) | instskip(SKIP_3) | instid1(SALU_CYCLE_1)
	v_add_co_ci_u32_e64 v8, null, s11, v8, vcc_lo
	s_wait_dscnt 0x3
	global_store_b32 v[7:8], v5, off
	s_or_b32 exec_lo, exec_lo, s1
	s_mov_b32 s1, exec_lo
	v_cmpx_gt_u32_e64 s23, v35
	s_cbranch_execnz .LBB573_180
.LBB573_149:
	s_wait_alu 0xfffe
	s_or_b32 exec_lo, exec_lo, s1
	s_delay_alu instid0(SALU_CYCLE_1)
	s_mov_b32 s1, exec_lo
	v_cmpx_gt_u32_e64 s23, v34
	s_cbranch_execz .LBB573_185
.LBB573_150:
	s_mov_b32 s2, exec_lo
                                        ; implicit-def: $vgpr5_vgpr6
	v_cmpx_ge_u32_e64 v34, v16
	s_wait_alu 0xfffe
	s_xor_b32 s2, exec_lo, s2
	s_cbranch_execz .LBB573_152
; %bb.151:
	s_wait_dscnt 0x3
	v_xor_b32_e32 v5, 0xfffff7ff, v0
                                        ; implicit-def: $vgpr34
	s_delay_alu instid0(VALU_DEP_1) | instskip(SKIP_2) | instid1(VALU_DEP_2)
	v_ashrrev_i32_e32 v6, 31, v5
	v_add_co_u32 v5, vcc_lo, v19, v5
	s_wait_alu 0xfffd
	v_add_co_ci_u32_e64 v6, null, v20, v6, vcc_lo
.LBB573_152:
	s_wait_alu 0xfffe
	s_and_not1_saveexec_b32 s2, s2
	s_cbranch_execz .LBB573_154
; %bb.153:
	s_wait_dscnt 0x3
	v_add_co_u32 v5, vcc_lo, v15, v34
	s_wait_alu 0xfffd
	v_add_co_ci_u32_e64 v6, null, 0, v17, vcc_lo
.LBB573_154:
	s_wait_alu 0xfffe
	s_or_b32 exec_lo, exec_lo, s2
	s_wait_dscnt 0x3
	s_delay_alu instid0(VALU_DEP_1) | instskip(NEXT) | instid1(VALU_DEP_1)
	v_lshlrev_b64_e32 v[5:6], 2, v[5:6]
	v_add_co_u32 v5, vcc_lo, s10, v5
	s_wait_alu 0xfffd
	s_delay_alu instid0(VALU_DEP_2) | instskip(SKIP_3) | instid1(SALU_CYCLE_1)
	v_add_co_ci_u32_e64 v6, null, s11, v6, vcc_lo
	s_wait_dscnt 0x2
	global_store_b32 v[5:6], v3, off
	s_or_b32 exec_lo, exec_lo, s1
	s_mov_b32 s1, exec_lo
	v_cmpx_gt_u32_e64 s23, v33
	s_cbranch_execnz .LBB573_186
.LBB573_155:
	s_wait_alu 0xfffe
	s_or_b32 exec_lo, exec_lo, s1
	s_delay_alu instid0(SALU_CYCLE_1)
	s_mov_b32 s1, exec_lo
	v_cmpx_gt_u32_e64 s23, v32
	s_cbranch_execz .LBB573_191
.LBB573_156:
	s_mov_b32 s2, exec_lo
                                        ; implicit-def: $vgpr3_vgpr4
	v_cmpx_ge_u32_e64 v32, v16
	s_wait_alu 0xfffe
	s_xor_b32 s2, exec_lo, s2
	s_cbranch_execz .LBB573_158
; %bb.157:
	s_wait_dscnt 0x2
	v_xor_b32_e32 v3, 0xfffff5ff, v0
                                        ; implicit-def: $vgpr32
	s_delay_alu instid0(VALU_DEP_1) | instskip(SKIP_2) | instid1(VALU_DEP_2)
	v_ashrrev_i32_e32 v4, 31, v3
	v_add_co_u32 v3, vcc_lo, v19, v3
	s_wait_alu 0xfffd
	v_add_co_ci_u32_e64 v4, null, v20, v4, vcc_lo
.LBB573_158:
	s_wait_alu 0xfffe
	s_and_not1_saveexec_b32 s2, s2
	s_cbranch_execz .LBB573_160
; %bb.159:
	s_wait_dscnt 0x2
	v_add_co_u32 v3, vcc_lo, v15, v32
	s_wait_alu 0xfffd
	v_add_co_ci_u32_e64 v4, null, 0, v17, vcc_lo
.LBB573_160:
	s_wait_alu 0xfffe
	s_or_b32 exec_lo, exec_lo, s2
	s_wait_dscnt 0x2
	s_delay_alu instid0(VALU_DEP_1) | instskip(NEXT) | instid1(VALU_DEP_1)
	v_lshlrev_b64_e32 v[3:4], 2, v[3:4]
	v_add_co_u32 v3, vcc_lo, s10, v3
	s_wait_alu 0xfffd
	s_delay_alu instid0(VALU_DEP_2) | instskip(SKIP_3) | instid1(SALU_CYCLE_1)
	v_add_co_ci_u32_e64 v4, null, s11, v4, vcc_lo
	s_wait_dscnt 0x1
	global_store_b32 v[3:4], v1, off
	s_or_b32 exec_lo, exec_lo, s1
	s_mov_b32 s1, exec_lo
	v_cmpx_gt_u32_e64 s23, v31
	s_cbranch_execz .LBB573_197
	s_branch .LBB573_192
.LBB573_161:
	s_wait_alu 0xfffe
	s_or_b32 exec_lo, exec_lo, s1
	s_delay_alu instid0(SALU_CYCLE_1)
	s_mov_b32 s1, exec_lo
	v_cmpx_gt_u32_e64 s23, v41
	s_cbranch_execz .LBB573_131
.LBB573_162:
	s_mov_b32 s2, exec_lo
                                        ; implicit-def: $vgpr13_vgpr14
	v_cmpx_ge_u32_e64 v41, v16
	s_wait_alu 0xfffe
	s_xor_b32 s2, exec_lo, s2
	s_cbranch_execz .LBB573_164
; %bb.163:
	s_wait_dscnt 0x6
	v_xor_b32_e32 v11, 0xfffffeff, v0
                                        ; implicit-def: $vgpr41
	s_delay_alu instid0(VALU_DEP_1) | instskip(SKIP_2) | instid1(VALU_DEP_2)
	v_ashrrev_i32_e32 v14, 31, v11
	v_add_co_u32 v13, vcc_lo, v19, v11
	s_wait_alu 0xfffd
	v_add_co_ci_u32_e64 v14, null, v20, v14, vcc_lo
.LBB573_164:
	s_wait_alu 0xfffe
	s_and_not1_saveexec_b32 s2, s2
; %bb.165:
	v_add_co_u32 v13, vcc_lo, v15, v41
	s_wait_alu 0xfffd
	v_add_co_ci_u32_e64 v14, null, 0, v17, vcc_lo
; %bb.166:
	s_wait_alu 0xfffe
	s_or_b32 exec_lo, exec_lo, s2
	s_delay_alu instid0(VALU_DEP_1) | instskip(NEXT) | instid1(VALU_DEP_1)
	v_lshlrev_b64_e32 v[13:14], 2, v[13:14]
	v_add_co_u32 v13, vcc_lo, s10, v13
	s_wait_alu 0xfffd
	s_delay_alu instid0(VALU_DEP_2) | instskip(SKIP_3) | instid1(SALU_CYCLE_1)
	v_add_co_ci_u32_e64 v14, null, s11, v14, vcc_lo
	s_wait_dscnt 0x6
	global_store_b32 v[13:14], v12, off
	s_or_b32 exec_lo, exec_lo, s1
	s_mov_b32 s1, exec_lo
	v_cmpx_gt_u32_e64 s23, v40
	s_cbranch_execnz .LBB573_132
.LBB573_167:
	s_wait_alu 0xfffe
	s_or_b32 exec_lo, exec_lo, s1
	s_delay_alu instid0(SALU_CYCLE_1)
	s_mov_b32 s1, exec_lo
	v_cmpx_gt_u32_e64 s23, v39
	s_cbranch_execz .LBB573_137
.LBB573_168:
	s_mov_b32 s2, exec_lo
                                        ; implicit-def: $vgpr11_vgpr12
	v_cmpx_ge_u32_e64 v39, v16
	s_wait_alu 0xfffe
	s_xor_b32 s2, exec_lo, s2
	s_cbranch_execz .LBB573_170
; %bb.169:
	s_wait_dscnt 0x5
	v_xor_b32_e32 v9, 0xfffffcff, v0
                                        ; implicit-def: $vgpr39
	s_delay_alu instid0(VALU_DEP_1) | instskip(SKIP_2) | instid1(VALU_DEP_2)
	v_ashrrev_i32_e32 v12, 31, v9
	v_add_co_u32 v11, vcc_lo, v19, v9
	s_wait_alu 0xfffd
	v_add_co_ci_u32_e64 v12, null, v20, v12, vcc_lo
.LBB573_170:
	s_wait_alu 0xfffe
	s_and_not1_saveexec_b32 s2, s2
	s_cbranch_execz .LBB573_172
; %bb.171:
	s_wait_dscnt 0x6
	v_add_co_u32 v11, vcc_lo, v15, v39
	s_wait_alu 0xfffd
	v_add_co_ci_u32_e64 v12, null, 0, v17, vcc_lo
.LBB573_172:
	s_wait_alu 0xfffe
	s_or_b32 exec_lo, exec_lo, s2
	s_wait_dscnt 0x6
	s_delay_alu instid0(VALU_DEP_1) | instskip(NEXT) | instid1(VALU_DEP_1)
	v_lshlrev_b64_e32 v[11:12], 2, v[11:12]
	v_add_co_u32 v11, vcc_lo, s10, v11
	s_wait_alu 0xfffd
	s_delay_alu instid0(VALU_DEP_2) | instskip(SKIP_3) | instid1(SALU_CYCLE_1)
	v_add_co_ci_u32_e64 v12, null, s11, v12, vcc_lo
	s_wait_dscnt 0x5
	global_store_b32 v[11:12], v10, off
	s_or_b32 exec_lo, exec_lo, s1
	s_mov_b32 s1, exec_lo
	v_cmpx_gt_u32_e64 s23, v38
	s_cbranch_execnz .LBB573_138
.LBB573_173:
	s_wait_alu 0xfffe
	s_or_b32 exec_lo, exec_lo, s1
	s_delay_alu instid0(SALU_CYCLE_1)
	s_mov_b32 s1, exec_lo
	v_cmpx_gt_u32_e64 s23, v37
	s_cbranch_execz .LBB573_143
.LBB573_174:
	s_mov_b32 s2, exec_lo
                                        ; implicit-def: $vgpr9_vgpr10
	v_cmpx_ge_u32_e64 v37, v16
	s_wait_alu 0xfffe
	s_xor_b32 s2, exec_lo, s2
	s_cbranch_execz .LBB573_176
; %bb.175:
	s_wait_dscnt 0x4
	v_xor_b32_e32 v7, 0xfffffaff, v0
                                        ; implicit-def: $vgpr37
	s_delay_alu instid0(VALU_DEP_1) | instskip(SKIP_2) | instid1(VALU_DEP_2)
	v_ashrrev_i32_e32 v10, 31, v7
	v_add_co_u32 v9, vcc_lo, v19, v7
	s_wait_alu 0xfffd
	v_add_co_ci_u32_e64 v10, null, v20, v10, vcc_lo
.LBB573_176:
	s_wait_alu 0xfffe
	s_and_not1_saveexec_b32 s2, s2
	s_cbranch_execz .LBB573_178
; %bb.177:
	s_wait_dscnt 0x5
	v_add_co_u32 v9, vcc_lo, v15, v37
	s_wait_alu 0xfffd
	v_add_co_ci_u32_e64 v10, null, 0, v17, vcc_lo
.LBB573_178:
	s_wait_alu 0xfffe
	s_or_b32 exec_lo, exec_lo, s2
	s_wait_dscnt 0x5
	s_delay_alu instid0(VALU_DEP_1) | instskip(NEXT) | instid1(VALU_DEP_1)
	v_lshlrev_b64_e32 v[9:10], 2, v[9:10]
	v_add_co_u32 v9, vcc_lo, s10, v9
	s_wait_alu 0xfffd
	s_delay_alu instid0(VALU_DEP_2) | instskip(SKIP_3) | instid1(SALU_CYCLE_1)
	v_add_co_ci_u32_e64 v10, null, s11, v10, vcc_lo
	s_wait_dscnt 0x4
	global_store_b32 v[9:10], v8, off
	s_or_b32 exec_lo, exec_lo, s1
	s_mov_b32 s1, exec_lo
	v_cmpx_gt_u32_e64 s23, v36
	s_cbranch_execnz .LBB573_144
.LBB573_179:
	s_wait_alu 0xfffe
	s_or_b32 exec_lo, exec_lo, s1
	s_delay_alu instid0(SALU_CYCLE_1)
	s_mov_b32 s1, exec_lo
	v_cmpx_gt_u32_e64 s23, v35
	s_cbranch_execz .LBB573_149
.LBB573_180:
	s_mov_b32 s2, exec_lo
                                        ; implicit-def: $vgpr7_vgpr8
	v_cmpx_ge_u32_e64 v35, v16
	s_wait_alu 0xfffe
	s_xor_b32 s2, exec_lo, s2
	s_cbranch_execz .LBB573_182
; %bb.181:
	s_wait_dscnt 0x3
	v_xor_b32_e32 v5, 0xfffff8ff, v0
                                        ; implicit-def: $vgpr35
	s_delay_alu instid0(VALU_DEP_1) | instskip(SKIP_2) | instid1(VALU_DEP_2)
	v_ashrrev_i32_e32 v8, 31, v5
	v_add_co_u32 v7, vcc_lo, v19, v5
	s_wait_alu 0xfffd
	v_add_co_ci_u32_e64 v8, null, v20, v8, vcc_lo
.LBB573_182:
	s_wait_alu 0xfffe
	s_and_not1_saveexec_b32 s2, s2
	s_cbranch_execz .LBB573_184
; %bb.183:
	s_wait_dscnt 0x4
	v_add_co_u32 v7, vcc_lo, v15, v35
	s_wait_alu 0xfffd
	v_add_co_ci_u32_e64 v8, null, 0, v17, vcc_lo
.LBB573_184:
	s_wait_alu 0xfffe
	s_or_b32 exec_lo, exec_lo, s2
	s_wait_dscnt 0x4
	s_delay_alu instid0(VALU_DEP_1) | instskip(NEXT) | instid1(VALU_DEP_1)
	v_lshlrev_b64_e32 v[7:8], 2, v[7:8]
	v_add_co_u32 v7, vcc_lo, s10, v7
	s_wait_alu 0xfffd
	s_delay_alu instid0(VALU_DEP_2) | instskip(SKIP_3) | instid1(SALU_CYCLE_1)
	v_add_co_ci_u32_e64 v8, null, s11, v8, vcc_lo
	s_wait_dscnt 0x3
	global_store_b32 v[7:8], v6, off
	s_or_b32 exec_lo, exec_lo, s1
	s_mov_b32 s1, exec_lo
	v_cmpx_gt_u32_e64 s23, v34
	s_cbranch_execnz .LBB573_150
.LBB573_185:
	s_wait_alu 0xfffe
	s_or_b32 exec_lo, exec_lo, s1
	s_delay_alu instid0(SALU_CYCLE_1)
	s_mov_b32 s1, exec_lo
	v_cmpx_gt_u32_e64 s23, v33
	s_cbranch_execz .LBB573_155
.LBB573_186:
	s_mov_b32 s2, exec_lo
                                        ; implicit-def: $vgpr5_vgpr6
	v_cmpx_ge_u32_e64 v33, v16
	s_wait_alu 0xfffe
	s_xor_b32 s2, exec_lo, s2
	s_cbranch_execz .LBB573_188
; %bb.187:
	s_wait_dscnt 0x2
	v_xor_b32_e32 v3, 0xfffff6ff, v0
                                        ; implicit-def: $vgpr33
	s_delay_alu instid0(VALU_DEP_1) | instskip(SKIP_2) | instid1(VALU_DEP_2)
	v_ashrrev_i32_e32 v6, 31, v3
	v_add_co_u32 v5, vcc_lo, v19, v3
	s_wait_alu 0xfffd
	v_add_co_ci_u32_e64 v6, null, v20, v6, vcc_lo
.LBB573_188:
	s_wait_alu 0xfffe
	s_and_not1_saveexec_b32 s2, s2
	s_cbranch_execz .LBB573_190
; %bb.189:
	s_wait_dscnt 0x3
	v_add_co_u32 v5, vcc_lo, v15, v33
	s_wait_alu 0xfffd
	v_add_co_ci_u32_e64 v6, null, 0, v17, vcc_lo
.LBB573_190:
	s_wait_alu 0xfffe
	s_or_b32 exec_lo, exec_lo, s2
	s_wait_dscnt 0x3
	s_delay_alu instid0(VALU_DEP_1) | instskip(NEXT) | instid1(VALU_DEP_1)
	v_lshlrev_b64_e32 v[5:6], 2, v[5:6]
	v_add_co_u32 v5, vcc_lo, s10, v5
	s_wait_alu 0xfffd
	s_delay_alu instid0(VALU_DEP_2) | instskip(SKIP_3) | instid1(SALU_CYCLE_1)
	v_add_co_ci_u32_e64 v6, null, s11, v6, vcc_lo
	s_wait_dscnt 0x2
	global_store_b32 v[5:6], v4, off
	s_or_b32 exec_lo, exec_lo, s1
	s_mov_b32 s1, exec_lo
	v_cmpx_gt_u32_e64 s23, v32
	s_cbranch_execnz .LBB573_156
.LBB573_191:
	s_wait_alu 0xfffe
	s_or_b32 exec_lo, exec_lo, s1
	s_delay_alu instid0(SALU_CYCLE_1)
	s_mov_b32 s1, exec_lo
	v_cmpx_gt_u32_e64 s23, v31
	s_cbranch_execz .LBB573_197
.LBB573_192:
	s_mov_b32 s2, exec_lo
                                        ; implicit-def: $vgpr3_vgpr4
	v_cmpx_ge_u32_e64 v31, v16
	s_wait_alu 0xfffe
	s_xor_b32 s2, exec_lo, s2
	s_cbranch_execz .LBB573_194
; %bb.193:
	s_wait_dscnt 0x1
	v_xor_b32_e32 v1, 0xfffff4ff, v0
                                        ; implicit-def: $vgpr31
	s_delay_alu instid0(VALU_DEP_1) | instskip(SKIP_2) | instid1(VALU_DEP_2)
	v_ashrrev_i32_e32 v4, 31, v1
	v_add_co_u32 v3, vcc_lo, v19, v1
	s_wait_alu 0xfffd
	v_add_co_ci_u32_e64 v4, null, v20, v4, vcc_lo
.LBB573_194:
	s_wait_alu 0xfffe
	s_and_not1_saveexec_b32 s2, s2
	s_cbranch_execz .LBB573_196
; %bb.195:
	s_wait_dscnt 0x2
	v_add_co_u32 v3, vcc_lo, v15, v31
	s_wait_alu 0xfffd
	v_add_co_ci_u32_e64 v4, null, 0, v17, vcc_lo
.LBB573_196:
	s_wait_alu 0xfffe
	s_or_b32 exec_lo, exec_lo, s2
	s_wait_dscnt 0x2
	s_delay_alu instid0(VALU_DEP_1) | instskip(NEXT) | instid1(VALU_DEP_1)
	v_lshlrev_b64_e32 v[3:4], 2, v[3:4]
	v_add_co_u32 v3, vcc_lo, s10, v3
	s_wait_alu 0xfffd
	s_delay_alu instid0(VALU_DEP_2)
	v_add_co_ci_u32_e64 v4, null, s11, v4, vcc_lo
	s_wait_dscnt 0x1
	global_store_b32 v[3:4], v2, off
.LBB573_197:
	s_wait_alu 0xfffe
	s_or_b32 exec_lo, exec_lo, s1
	s_delay_alu instid0(SALU_CYCLE_1)
	s_mov_b32 s1, exec_lo
                                        ; implicit-def: $vgpr13_vgpr14
	v_cmpx_gt_u32_e64 s23, v30
	s_cbranch_execz .LBB573_203
; %bb.198:
	s_mov_b32 s2, exec_lo
                                        ; implicit-def: $vgpr13_vgpr14
	v_cmpx_ge_u32_e64 v30, v16
	s_wait_alu 0xfffe
	s_xor_b32 s2, exec_lo, s2
	s_cbranch_execz .LBB573_200
; %bb.199:
	s_wait_dscnt 0x1
	v_xor_b32_e32 v1, 0xfffff3ff, v0
                                        ; implicit-def: $vgpr30
	s_delay_alu instid0(VALU_DEP_1) | instskip(SKIP_2) | instid1(VALU_DEP_2)
	v_ashrrev_i32_e32 v2, 31, v1
	v_add_co_u32 v13, vcc_lo, v19, v1
	s_wait_alu 0xfffd
	v_add_co_ci_u32_e64 v14, null, v20, v2, vcc_lo
.LBB573_200:
	s_wait_alu 0xfffe
	s_and_not1_saveexec_b32 s2, s2
; %bb.201:
	v_add_co_u32 v13, vcc_lo, v15, v30
	s_wait_alu 0xfffd
	v_add_co_ci_u32_e64 v14, null, 0, v17, vcc_lo
; %bb.202:
	s_wait_alu 0xfffe
	s_or_b32 exec_lo, exec_lo, s2
	s_delay_alu instid0(SALU_CYCLE_1)
	s_or_b32 s0, s0, exec_lo
.LBB573_203:
	s_wait_alu 0xfffe
	s_or_b32 exec_lo, exec_lo, s1
.LBB573_204:
	s_wait_alu 0xfffe
	s_and_saveexec_b32 s1, s0
	s_cbranch_execz .LBB573_206
; %bb.205:
	s_wait_dscnt 0x1
	v_lshlrev_b64_e32 v[1:2], 2, v[13:14]
	s_delay_alu instid0(VALU_DEP_1) | instskip(SKIP_1) | instid1(VALU_DEP_2)
	v_add_co_u32 v1, vcc_lo, s10, v1
	s_wait_alu 0xfffd
	v_add_co_ci_u32_e64 v2, null, s11, v2, vcc_lo
	s_wait_dscnt 0x0
	global_store_b32 v[1:2], v18, off
.LBB573_206:
	s_wait_alu 0xfffe
	s_or_b32 exec_lo, exec_lo, s1
	v_cmp_eq_u32_e32 vcc_lo, 0, v0
	s_and_b32 s0, vcc_lo, s22
	s_wait_alu 0xfffe
	s_and_saveexec_b32 s1, s0
	s_cbranch_execz .LBB573_208
; %bb.207:
	v_add_co_u32 v0, vcc_lo, v15, v16
	s_wait_dscnt 0x1
	v_mov_b32_e32 v2, 0
	s_wait_alu 0xfffd
	v_add_co_ci_u32_e64 v1, null, 0, v17, vcc_lo
	global_store_b64 v2, v[0:1], s[8:9]
.LBB573_208:
	s_endpgm
	.section	.rodata,"a",@progbits
	.p2align	6, 0x0
	.amdhsa_kernel _ZN7rocprim17ROCPRIM_400000_NS6detail17trampoline_kernelINS0_13select_configILj256ELj13ELNS0_17block_load_methodE3ELS4_3ELS4_3ELNS0_20block_scan_algorithmE0ELj4294967295EEENS1_25partition_config_selectorILNS1_17partition_subalgoE3EjNS0_10empty_typeEbEEZZNS1_14partition_implILS8_3ELb0ES6_jNS0_17counting_iteratorIjlEEPS9_SE_NS0_5tupleIJPjSE_EEENSF_IJSE_SE_EEES9_SG_JZNS1_25segmented_radix_sort_implINS0_14default_configELb0EPKiPiPKlPlN2at6native12_GLOBAL__N_18offset_tEEE10hipError_tPvRmT1_PNSt15iterator_traitsISY_E10value_typeET2_T3_PNSZ_IS14_E10value_typeET4_jRbjT5_S1A_jjP12ihipStream_tbEUljE_EEESV_SW_SX_S14_S18_S1A_T6_T7_T9_mT8_S1C_bDpT10_ENKUlT_T0_E_clISt17integral_constantIbLb0EES1P_EEDaS1K_S1L_EUlS1K_E_NS1_11comp_targetILNS1_3genE10ELNS1_11target_archE1200ELNS1_3gpuE4ELNS1_3repE0EEENS1_30default_config_static_selectorELNS0_4arch9wavefront6targetE0EEEvSY_
		.amdhsa_group_segment_fixed_size 13320
		.amdhsa_private_segment_fixed_size 0
		.amdhsa_kernarg_size 144
		.amdhsa_user_sgpr_count 2
		.amdhsa_user_sgpr_dispatch_ptr 0
		.amdhsa_user_sgpr_queue_ptr 0
		.amdhsa_user_sgpr_kernarg_segment_ptr 1
		.amdhsa_user_sgpr_dispatch_id 0
		.amdhsa_user_sgpr_private_segment_size 0
		.amdhsa_wavefront_size32 1
		.amdhsa_uses_dynamic_stack 0
		.amdhsa_enable_private_segment 0
		.amdhsa_system_sgpr_workgroup_id_x 1
		.amdhsa_system_sgpr_workgroup_id_y 0
		.amdhsa_system_sgpr_workgroup_id_z 0
		.amdhsa_system_sgpr_workgroup_info 0
		.amdhsa_system_vgpr_workitem_id 0
		.amdhsa_next_free_vgpr 69
		.amdhsa_next_free_sgpr 26
		.amdhsa_reserve_vcc 1
		.amdhsa_float_round_mode_32 0
		.amdhsa_float_round_mode_16_64 0
		.amdhsa_float_denorm_mode_32 3
		.amdhsa_float_denorm_mode_16_64 3
		.amdhsa_fp16_overflow 0
		.amdhsa_workgroup_processor_mode 1
		.amdhsa_memory_ordered 1
		.amdhsa_forward_progress 1
		.amdhsa_inst_pref_size 84
		.amdhsa_round_robin_scheduling 0
		.amdhsa_exception_fp_ieee_invalid_op 0
		.amdhsa_exception_fp_denorm_src 0
		.amdhsa_exception_fp_ieee_div_zero 0
		.amdhsa_exception_fp_ieee_overflow 0
		.amdhsa_exception_fp_ieee_underflow 0
		.amdhsa_exception_fp_ieee_inexact 0
		.amdhsa_exception_int_div_zero 0
	.end_amdhsa_kernel
	.section	.text._ZN7rocprim17ROCPRIM_400000_NS6detail17trampoline_kernelINS0_13select_configILj256ELj13ELNS0_17block_load_methodE3ELS4_3ELS4_3ELNS0_20block_scan_algorithmE0ELj4294967295EEENS1_25partition_config_selectorILNS1_17partition_subalgoE3EjNS0_10empty_typeEbEEZZNS1_14partition_implILS8_3ELb0ES6_jNS0_17counting_iteratorIjlEEPS9_SE_NS0_5tupleIJPjSE_EEENSF_IJSE_SE_EEES9_SG_JZNS1_25segmented_radix_sort_implINS0_14default_configELb0EPKiPiPKlPlN2at6native12_GLOBAL__N_18offset_tEEE10hipError_tPvRmT1_PNSt15iterator_traitsISY_E10value_typeET2_T3_PNSZ_IS14_E10value_typeET4_jRbjT5_S1A_jjP12ihipStream_tbEUljE_EEESV_SW_SX_S14_S18_S1A_T6_T7_T9_mT8_S1C_bDpT10_ENKUlT_T0_E_clISt17integral_constantIbLb0EES1P_EEDaS1K_S1L_EUlS1K_E_NS1_11comp_targetILNS1_3genE10ELNS1_11target_archE1200ELNS1_3gpuE4ELNS1_3repE0EEENS1_30default_config_static_selectorELNS0_4arch9wavefront6targetE0EEEvSY_,"axG",@progbits,_ZN7rocprim17ROCPRIM_400000_NS6detail17trampoline_kernelINS0_13select_configILj256ELj13ELNS0_17block_load_methodE3ELS4_3ELS4_3ELNS0_20block_scan_algorithmE0ELj4294967295EEENS1_25partition_config_selectorILNS1_17partition_subalgoE3EjNS0_10empty_typeEbEEZZNS1_14partition_implILS8_3ELb0ES6_jNS0_17counting_iteratorIjlEEPS9_SE_NS0_5tupleIJPjSE_EEENSF_IJSE_SE_EEES9_SG_JZNS1_25segmented_radix_sort_implINS0_14default_configELb0EPKiPiPKlPlN2at6native12_GLOBAL__N_18offset_tEEE10hipError_tPvRmT1_PNSt15iterator_traitsISY_E10value_typeET2_T3_PNSZ_IS14_E10value_typeET4_jRbjT5_S1A_jjP12ihipStream_tbEUljE_EEESV_SW_SX_S14_S18_S1A_T6_T7_T9_mT8_S1C_bDpT10_ENKUlT_T0_E_clISt17integral_constantIbLb0EES1P_EEDaS1K_S1L_EUlS1K_E_NS1_11comp_targetILNS1_3genE10ELNS1_11target_archE1200ELNS1_3gpuE4ELNS1_3repE0EEENS1_30default_config_static_selectorELNS0_4arch9wavefront6targetE0EEEvSY_,comdat
.Lfunc_end573:
	.size	_ZN7rocprim17ROCPRIM_400000_NS6detail17trampoline_kernelINS0_13select_configILj256ELj13ELNS0_17block_load_methodE3ELS4_3ELS4_3ELNS0_20block_scan_algorithmE0ELj4294967295EEENS1_25partition_config_selectorILNS1_17partition_subalgoE3EjNS0_10empty_typeEbEEZZNS1_14partition_implILS8_3ELb0ES6_jNS0_17counting_iteratorIjlEEPS9_SE_NS0_5tupleIJPjSE_EEENSF_IJSE_SE_EEES9_SG_JZNS1_25segmented_radix_sort_implINS0_14default_configELb0EPKiPiPKlPlN2at6native12_GLOBAL__N_18offset_tEEE10hipError_tPvRmT1_PNSt15iterator_traitsISY_E10value_typeET2_T3_PNSZ_IS14_E10value_typeET4_jRbjT5_S1A_jjP12ihipStream_tbEUljE_EEESV_SW_SX_S14_S18_S1A_T6_T7_T9_mT8_S1C_bDpT10_ENKUlT_T0_E_clISt17integral_constantIbLb0EES1P_EEDaS1K_S1L_EUlS1K_E_NS1_11comp_targetILNS1_3genE10ELNS1_11target_archE1200ELNS1_3gpuE4ELNS1_3repE0EEENS1_30default_config_static_selectorELNS0_4arch9wavefront6targetE0EEEvSY_, .Lfunc_end573-_ZN7rocprim17ROCPRIM_400000_NS6detail17trampoline_kernelINS0_13select_configILj256ELj13ELNS0_17block_load_methodE3ELS4_3ELS4_3ELNS0_20block_scan_algorithmE0ELj4294967295EEENS1_25partition_config_selectorILNS1_17partition_subalgoE3EjNS0_10empty_typeEbEEZZNS1_14partition_implILS8_3ELb0ES6_jNS0_17counting_iteratorIjlEEPS9_SE_NS0_5tupleIJPjSE_EEENSF_IJSE_SE_EEES9_SG_JZNS1_25segmented_radix_sort_implINS0_14default_configELb0EPKiPiPKlPlN2at6native12_GLOBAL__N_18offset_tEEE10hipError_tPvRmT1_PNSt15iterator_traitsISY_E10value_typeET2_T3_PNSZ_IS14_E10value_typeET4_jRbjT5_S1A_jjP12ihipStream_tbEUljE_EEESV_SW_SX_S14_S18_S1A_T6_T7_T9_mT8_S1C_bDpT10_ENKUlT_T0_E_clISt17integral_constantIbLb0EES1P_EEDaS1K_S1L_EUlS1K_E_NS1_11comp_targetILNS1_3genE10ELNS1_11target_archE1200ELNS1_3gpuE4ELNS1_3repE0EEENS1_30default_config_static_selectorELNS0_4arch9wavefront6targetE0EEEvSY_
                                        ; -- End function
	.set _ZN7rocprim17ROCPRIM_400000_NS6detail17trampoline_kernelINS0_13select_configILj256ELj13ELNS0_17block_load_methodE3ELS4_3ELS4_3ELNS0_20block_scan_algorithmE0ELj4294967295EEENS1_25partition_config_selectorILNS1_17partition_subalgoE3EjNS0_10empty_typeEbEEZZNS1_14partition_implILS8_3ELb0ES6_jNS0_17counting_iteratorIjlEEPS9_SE_NS0_5tupleIJPjSE_EEENSF_IJSE_SE_EEES9_SG_JZNS1_25segmented_radix_sort_implINS0_14default_configELb0EPKiPiPKlPlN2at6native12_GLOBAL__N_18offset_tEEE10hipError_tPvRmT1_PNSt15iterator_traitsISY_E10value_typeET2_T3_PNSZ_IS14_E10value_typeET4_jRbjT5_S1A_jjP12ihipStream_tbEUljE_EEESV_SW_SX_S14_S18_S1A_T6_T7_T9_mT8_S1C_bDpT10_ENKUlT_T0_E_clISt17integral_constantIbLb0EES1P_EEDaS1K_S1L_EUlS1K_E_NS1_11comp_targetILNS1_3genE10ELNS1_11target_archE1200ELNS1_3gpuE4ELNS1_3repE0EEENS1_30default_config_static_selectorELNS0_4arch9wavefront6targetE0EEEvSY_.num_vgpr, 69
	.set _ZN7rocprim17ROCPRIM_400000_NS6detail17trampoline_kernelINS0_13select_configILj256ELj13ELNS0_17block_load_methodE3ELS4_3ELS4_3ELNS0_20block_scan_algorithmE0ELj4294967295EEENS1_25partition_config_selectorILNS1_17partition_subalgoE3EjNS0_10empty_typeEbEEZZNS1_14partition_implILS8_3ELb0ES6_jNS0_17counting_iteratorIjlEEPS9_SE_NS0_5tupleIJPjSE_EEENSF_IJSE_SE_EEES9_SG_JZNS1_25segmented_radix_sort_implINS0_14default_configELb0EPKiPiPKlPlN2at6native12_GLOBAL__N_18offset_tEEE10hipError_tPvRmT1_PNSt15iterator_traitsISY_E10value_typeET2_T3_PNSZ_IS14_E10value_typeET4_jRbjT5_S1A_jjP12ihipStream_tbEUljE_EEESV_SW_SX_S14_S18_S1A_T6_T7_T9_mT8_S1C_bDpT10_ENKUlT_T0_E_clISt17integral_constantIbLb0EES1P_EEDaS1K_S1L_EUlS1K_E_NS1_11comp_targetILNS1_3genE10ELNS1_11target_archE1200ELNS1_3gpuE4ELNS1_3repE0EEENS1_30default_config_static_selectorELNS0_4arch9wavefront6targetE0EEEvSY_.num_agpr, 0
	.set _ZN7rocprim17ROCPRIM_400000_NS6detail17trampoline_kernelINS0_13select_configILj256ELj13ELNS0_17block_load_methodE3ELS4_3ELS4_3ELNS0_20block_scan_algorithmE0ELj4294967295EEENS1_25partition_config_selectorILNS1_17partition_subalgoE3EjNS0_10empty_typeEbEEZZNS1_14partition_implILS8_3ELb0ES6_jNS0_17counting_iteratorIjlEEPS9_SE_NS0_5tupleIJPjSE_EEENSF_IJSE_SE_EEES9_SG_JZNS1_25segmented_radix_sort_implINS0_14default_configELb0EPKiPiPKlPlN2at6native12_GLOBAL__N_18offset_tEEE10hipError_tPvRmT1_PNSt15iterator_traitsISY_E10value_typeET2_T3_PNSZ_IS14_E10value_typeET4_jRbjT5_S1A_jjP12ihipStream_tbEUljE_EEESV_SW_SX_S14_S18_S1A_T6_T7_T9_mT8_S1C_bDpT10_ENKUlT_T0_E_clISt17integral_constantIbLb0EES1P_EEDaS1K_S1L_EUlS1K_E_NS1_11comp_targetILNS1_3genE10ELNS1_11target_archE1200ELNS1_3gpuE4ELNS1_3repE0EEENS1_30default_config_static_selectorELNS0_4arch9wavefront6targetE0EEEvSY_.numbered_sgpr, 26
	.set _ZN7rocprim17ROCPRIM_400000_NS6detail17trampoline_kernelINS0_13select_configILj256ELj13ELNS0_17block_load_methodE3ELS4_3ELS4_3ELNS0_20block_scan_algorithmE0ELj4294967295EEENS1_25partition_config_selectorILNS1_17partition_subalgoE3EjNS0_10empty_typeEbEEZZNS1_14partition_implILS8_3ELb0ES6_jNS0_17counting_iteratorIjlEEPS9_SE_NS0_5tupleIJPjSE_EEENSF_IJSE_SE_EEES9_SG_JZNS1_25segmented_radix_sort_implINS0_14default_configELb0EPKiPiPKlPlN2at6native12_GLOBAL__N_18offset_tEEE10hipError_tPvRmT1_PNSt15iterator_traitsISY_E10value_typeET2_T3_PNSZ_IS14_E10value_typeET4_jRbjT5_S1A_jjP12ihipStream_tbEUljE_EEESV_SW_SX_S14_S18_S1A_T6_T7_T9_mT8_S1C_bDpT10_ENKUlT_T0_E_clISt17integral_constantIbLb0EES1P_EEDaS1K_S1L_EUlS1K_E_NS1_11comp_targetILNS1_3genE10ELNS1_11target_archE1200ELNS1_3gpuE4ELNS1_3repE0EEENS1_30default_config_static_selectorELNS0_4arch9wavefront6targetE0EEEvSY_.num_named_barrier, 0
	.set _ZN7rocprim17ROCPRIM_400000_NS6detail17trampoline_kernelINS0_13select_configILj256ELj13ELNS0_17block_load_methodE3ELS4_3ELS4_3ELNS0_20block_scan_algorithmE0ELj4294967295EEENS1_25partition_config_selectorILNS1_17partition_subalgoE3EjNS0_10empty_typeEbEEZZNS1_14partition_implILS8_3ELb0ES6_jNS0_17counting_iteratorIjlEEPS9_SE_NS0_5tupleIJPjSE_EEENSF_IJSE_SE_EEES9_SG_JZNS1_25segmented_radix_sort_implINS0_14default_configELb0EPKiPiPKlPlN2at6native12_GLOBAL__N_18offset_tEEE10hipError_tPvRmT1_PNSt15iterator_traitsISY_E10value_typeET2_T3_PNSZ_IS14_E10value_typeET4_jRbjT5_S1A_jjP12ihipStream_tbEUljE_EEESV_SW_SX_S14_S18_S1A_T6_T7_T9_mT8_S1C_bDpT10_ENKUlT_T0_E_clISt17integral_constantIbLb0EES1P_EEDaS1K_S1L_EUlS1K_E_NS1_11comp_targetILNS1_3genE10ELNS1_11target_archE1200ELNS1_3gpuE4ELNS1_3repE0EEENS1_30default_config_static_selectorELNS0_4arch9wavefront6targetE0EEEvSY_.private_seg_size, 0
	.set _ZN7rocprim17ROCPRIM_400000_NS6detail17trampoline_kernelINS0_13select_configILj256ELj13ELNS0_17block_load_methodE3ELS4_3ELS4_3ELNS0_20block_scan_algorithmE0ELj4294967295EEENS1_25partition_config_selectorILNS1_17partition_subalgoE3EjNS0_10empty_typeEbEEZZNS1_14partition_implILS8_3ELb0ES6_jNS0_17counting_iteratorIjlEEPS9_SE_NS0_5tupleIJPjSE_EEENSF_IJSE_SE_EEES9_SG_JZNS1_25segmented_radix_sort_implINS0_14default_configELb0EPKiPiPKlPlN2at6native12_GLOBAL__N_18offset_tEEE10hipError_tPvRmT1_PNSt15iterator_traitsISY_E10value_typeET2_T3_PNSZ_IS14_E10value_typeET4_jRbjT5_S1A_jjP12ihipStream_tbEUljE_EEESV_SW_SX_S14_S18_S1A_T6_T7_T9_mT8_S1C_bDpT10_ENKUlT_T0_E_clISt17integral_constantIbLb0EES1P_EEDaS1K_S1L_EUlS1K_E_NS1_11comp_targetILNS1_3genE10ELNS1_11target_archE1200ELNS1_3gpuE4ELNS1_3repE0EEENS1_30default_config_static_selectorELNS0_4arch9wavefront6targetE0EEEvSY_.uses_vcc, 1
	.set _ZN7rocprim17ROCPRIM_400000_NS6detail17trampoline_kernelINS0_13select_configILj256ELj13ELNS0_17block_load_methodE3ELS4_3ELS4_3ELNS0_20block_scan_algorithmE0ELj4294967295EEENS1_25partition_config_selectorILNS1_17partition_subalgoE3EjNS0_10empty_typeEbEEZZNS1_14partition_implILS8_3ELb0ES6_jNS0_17counting_iteratorIjlEEPS9_SE_NS0_5tupleIJPjSE_EEENSF_IJSE_SE_EEES9_SG_JZNS1_25segmented_radix_sort_implINS0_14default_configELb0EPKiPiPKlPlN2at6native12_GLOBAL__N_18offset_tEEE10hipError_tPvRmT1_PNSt15iterator_traitsISY_E10value_typeET2_T3_PNSZ_IS14_E10value_typeET4_jRbjT5_S1A_jjP12ihipStream_tbEUljE_EEESV_SW_SX_S14_S18_S1A_T6_T7_T9_mT8_S1C_bDpT10_ENKUlT_T0_E_clISt17integral_constantIbLb0EES1P_EEDaS1K_S1L_EUlS1K_E_NS1_11comp_targetILNS1_3genE10ELNS1_11target_archE1200ELNS1_3gpuE4ELNS1_3repE0EEENS1_30default_config_static_selectorELNS0_4arch9wavefront6targetE0EEEvSY_.uses_flat_scratch, 0
	.set _ZN7rocprim17ROCPRIM_400000_NS6detail17trampoline_kernelINS0_13select_configILj256ELj13ELNS0_17block_load_methodE3ELS4_3ELS4_3ELNS0_20block_scan_algorithmE0ELj4294967295EEENS1_25partition_config_selectorILNS1_17partition_subalgoE3EjNS0_10empty_typeEbEEZZNS1_14partition_implILS8_3ELb0ES6_jNS0_17counting_iteratorIjlEEPS9_SE_NS0_5tupleIJPjSE_EEENSF_IJSE_SE_EEES9_SG_JZNS1_25segmented_radix_sort_implINS0_14default_configELb0EPKiPiPKlPlN2at6native12_GLOBAL__N_18offset_tEEE10hipError_tPvRmT1_PNSt15iterator_traitsISY_E10value_typeET2_T3_PNSZ_IS14_E10value_typeET4_jRbjT5_S1A_jjP12ihipStream_tbEUljE_EEESV_SW_SX_S14_S18_S1A_T6_T7_T9_mT8_S1C_bDpT10_ENKUlT_T0_E_clISt17integral_constantIbLb0EES1P_EEDaS1K_S1L_EUlS1K_E_NS1_11comp_targetILNS1_3genE10ELNS1_11target_archE1200ELNS1_3gpuE4ELNS1_3repE0EEENS1_30default_config_static_selectorELNS0_4arch9wavefront6targetE0EEEvSY_.has_dyn_sized_stack, 0
	.set _ZN7rocprim17ROCPRIM_400000_NS6detail17trampoline_kernelINS0_13select_configILj256ELj13ELNS0_17block_load_methodE3ELS4_3ELS4_3ELNS0_20block_scan_algorithmE0ELj4294967295EEENS1_25partition_config_selectorILNS1_17partition_subalgoE3EjNS0_10empty_typeEbEEZZNS1_14partition_implILS8_3ELb0ES6_jNS0_17counting_iteratorIjlEEPS9_SE_NS0_5tupleIJPjSE_EEENSF_IJSE_SE_EEES9_SG_JZNS1_25segmented_radix_sort_implINS0_14default_configELb0EPKiPiPKlPlN2at6native12_GLOBAL__N_18offset_tEEE10hipError_tPvRmT1_PNSt15iterator_traitsISY_E10value_typeET2_T3_PNSZ_IS14_E10value_typeET4_jRbjT5_S1A_jjP12ihipStream_tbEUljE_EEESV_SW_SX_S14_S18_S1A_T6_T7_T9_mT8_S1C_bDpT10_ENKUlT_T0_E_clISt17integral_constantIbLb0EES1P_EEDaS1K_S1L_EUlS1K_E_NS1_11comp_targetILNS1_3genE10ELNS1_11target_archE1200ELNS1_3gpuE4ELNS1_3repE0EEENS1_30default_config_static_selectorELNS0_4arch9wavefront6targetE0EEEvSY_.has_recursion, 0
	.set _ZN7rocprim17ROCPRIM_400000_NS6detail17trampoline_kernelINS0_13select_configILj256ELj13ELNS0_17block_load_methodE3ELS4_3ELS4_3ELNS0_20block_scan_algorithmE0ELj4294967295EEENS1_25partition_config_selectorILNS1_17partition_subalgoE3EjNS0_10empty_typeEbEEZZNS1_14partition_implILS8_3ELb0ES6_jNS0_17counting_iteratorIjlEEPS9_SE_NS0_5tupleIJPjSE_EEENSF_IJSE_SE_EEES9_SG_JZNS1_25segmented_radix_sort_implINS0_14default_configELb0EPKiPiPKlPlN2at6native12_GLOBAL__N_18offset_tEEE10hipError_tPvRmT1_PNSt15iterator_traitsISY_E10value_typeET2_T3_PNSZ_IS14_E10value_typeET4_jRbjT5_S1A_jjP12ihipStream_tbEUljE_EEESV_SW_SX_S14_S18_S1A_T6_T7_T9_mT8_S1C_bDpT10_ENKUlT_T0_E_clISt17integral_constantIbLb0EES1P_EEDaS1K_S1L_EUlS1K_E_NS1_11comp_targetILNS1_3genE10ELNS1_11target_archE1200ELNS1_3gpuE4ELNS1_3repE0EEENS1_30default_config_static_selectorELNS0_4arch9wavefront6targetE0EEEvSY_.has_indirect_call, 0
	.section	.AMDGPU.csdata,"",@progbits
; Kernel info:
; codeLenInByte = 10676
; TotalNumSgprs: 28
; NumVgprs: 69
; ScratchSize: 0
; MemoryBound: 0
; FloatMode: 240
; IeeeMode: 1
; LDSByteSize: 13320 bytes/workgroup (compile time only)
; SGPRBlocks: 0
; VGPRBlocks: 8
; NumSGPRsForWavesPerEU: 28
; NumVGPRsForWavesPerEU: 69
; Occupancy: 16
; WaveLimiterHint : 0
; COMPUTE_PGM_RSRC2:SCRATCH_EN: 0
; COMPUTE_PGM_RSRC2:USER_SGPR: 2
; COMPUTE_PGM_RSRC2:TRAP_HANDLER: 0
; COMPUTE_PGM_RSRC2:TGID_X_EN: 1
; COMPUTE_PGM_RSRC2:TGID_Y_EN: 0
; COMPUTE_PGM_RSRC2:TGID_Z_EN: 0
; COMPUTE_PGM_RSRC2:TIDIG_COMP_CNT: 0
	.section	.text._ZN7rocprim17ROCPRIM_400000_NS6detail17trampoline_kernelINS0_13select_configILj256ELj13ELNS0_17block_load_methodE3ELS4_3ELS4_3ELNS0_20block_scan_algorithmE0ELj4294967295EEENS1_25partition_config_selectorILNS1_17partition_subalgoE3EjNS0_10empty_typeEbEEZZNS1_14partition_implILS8_3ELb0ES6_jNS0_17counting_iteratorIjlEEPS9_SE_NS0_5tupleIJPjSE_EEENSF_IJSE_SE_EEES9_SG_JZNS1_25segmented_radix_sort_implINS0_14default_configELb0EPKiPiPKlPlN2at6native12_GLOBAL__N_18offset_tEEE10hipError_tPvRmT1_PNSt15iterator_traitsISY_E10value_typeET2_T3_PNSZ_IS14_E10value_typeET4_jRbjT5_S1A_jjP12ihipStream_tbEUljE_EEESV_SW_SX_S14_S18_S1A_T6_T7_T9_mT8_S1C_bDpT10_ENKUlT_T0_E_clISt17integral_constantIbLb0EES1P_EEDaS1K_S1L_EUlS1K_E_NS1_11comp_targetILNS1_3genE9ELNS1_11target_archE1100ELNS1_3gpuE3ELNS1_3repE0EEENS1_30default_config_static_selectorELNS0_4arch9wavefront6targetE0EEEvSY_,"axG",@progbits,_ZN7rocprim17ROCPRIM_400000_NS6detail17trampoline_kernelINS0_13select_configILj256ELj13ELNS0_17block_load_methodE3ELS4_3ELS4_3ELNS0_20block_scan_algorithmE0ELj4294967295EEENS1_25partition_config_selectorILNS1_17partition_subalgoE3EjNS0_10empty_typeEbEEZZNS1_14partition_implILS8_3ELb0ES6_jNS0_17counting_iteratorIjlEEPS9_SE_NS0_5tupleIJPjSE_EEENSF_IJSE_SE_EEES9_SG_JZNS1_25segmented_radix_sort_implINS0_14default_configELb0EPKiPiPKlPlN2at6native12_GLOBAL__N_18offset_tEEE10hipError_tPvRmT1_PNSt15iterator_traitsISY_E10value_typeET2_T3_PNSZ_IS14_E10value_typeET4_jRbjT5_S1A_jjP12ihipStream_tbEUljE_EEESV_SW_SX_S14_S18_S1A_T6_T7_T9_mT8_S1C_bDpT10_ENKUlT_T0_E_clISt17integral_constantIbLb0EES1P_EEDaS1K_S1L_EUlS1K_E_NS1_11comp_targetILNS1_3genE9ELNS1_11target_archE1100ELNS1_3gpuE3ELNS1_3repE0EEENS1_30default_config_static_selectorELNS0_4arch9wavefront6targetE0EEEvSY_,comdat
	.globl	_ZN7rocprim17ROCPRIM_400000_NS6detail17trampoline_kernelINS0_13select_configILj256ELj13ELNS0_17block_load_methodE3ELS4_3ELS4_3ELNS0_20block_scan_algorithmE0ELj4294967295EEENS1_25partition_config_selectorILNS1_17partition_subalgoE3EjNS0_10empty_typeEbEEZZNS1_14partition_implILS8_3ELb0ES6_jNS0_17counting_iteratorIjlEEPS9_SE_NS0_5tupleIJPjSE_EEENSF_IJSE_SE_EEES9_SG_JZNS1_25segmented_radix_sort_implINS0_14default_configELb0EPKiPiPKlPlN2at6native12_GLOBAL__N_18offset_tEEE10hipError_tPvRmT1_PNSt15iterator_traitsISY_E10value_typeET2_T3_PNSZ_IS14_E10value_typeET4_jRbjT5_S1A_jjP12ihipStream_tbEUljE_EEESV_SW_SX_S14_S18_S1A_T6_T7_T9_mT8_S1C_bDpT10_ENKUlT_T0_E_clISt17integral_constantIbLb0EES1P_EEDaS1K_S1L_EUlS1K_E_NS1_11comp_targetILNS1_3genE9ELNS1_11target_archE1100ELNS1_3gpuE3ELNS1_3repE0EEENS1_30default_config_static_selectorELNS0_4arch9wavefront6targetE0EEEvSY_ ; -- Begin function _ZN7rocprim17ROCPRIM_400000_NS6detail17trampoline_kernelINS0_13select_configILj256ELj13ELNS0_17block_load_methodE3ELS4_3ELS4_3ELNS0_20block_scan_algorithmE0ELj4294967295EEENS1_25partition_config_selectorILNS1_17partition_subalgoE3EjNS0_10empty_typeEbEEZZNS1_14partition_implILS8_3ELb0ES6_jNS0_17counting_iteratorIjlEEPS9_SE_NS0_5tupleIJPjSE_EEENSF_IJSE_SE_EEES9_SG_JZNS1_25segmented_radix_sort_implINS0_14default_configELb0EPKiPiPKlPlN2at6native12_GLOBAL__N_18offset_tEEE10hipError_tPvRmT1_PNSt15iterator_traitsISY_E10value_typeET2_T3_PNSZ_IS14_E10value_typeET4_jRbjT5_S1A_jjP12ihipStream_tbEUljE_EEESV_SW_SX_S14_S18_S1A_T6_T7_T9_mT8_S1C_bDpT10_ENKUlT_T0_E_clISt17integral_constantIbLb0EES1P_EEDaS1K_S1L_EUlS1K_E_NS1_11comp_targetILNS1_3genE9ELNS1_11target_archE1100ELNS1_3gpuE3ELNS1_3repE0EEENS1_30default_config_static_selectorELNS0_4arch9wavefront6targetE0EEEvSY_
	.p2align	8
	.type	_ZN7rocprim17ROCPRIM_400000_NS6detail17trampoline_kernelINS0_13select_configILj256ELj13ELNS0_17block_load_methodE3ELS4_3ELS4_3ELNS0_20block_scan_algorithmE0ELj4294967295EEENS1_25partition_config_selectorILNS1_17partition_subalgoE3EjNS0_10empty_typeEbEEZZNS1_14partition_implILS8_3ELb0ES6_jNS0_17counting_iteratorIjlEEPS9_SE_NS0_5tupleIJPjSE_EEENSF_IJSE_SE_EEES9_SG_JZNS1_25segmented_radix_sort_implINS0_14default_configELb0EPKiPiPKlPlN2at6native12_GLOBAL__N_18offset_tEEE10hipError_tPvRmT1_PNSt15iterator_traitsISY_E10value_typeET2_T3_PNSZ_IS14_E10value_typeET4_jRbjT5_S1A_jjP12ihipStream_tbEUljE_EEESV_SW_SX_S14_S18_S1A_T6_T7_T9_mT8_S1C_bDpT10_ENKUlT_T0_E_clISt17integral_constantIbLb0EES1P_EEDaS1K_S1L_EUlS1K_E_NS1_11comp_targetILNS1_3genE9ELNS1_11target_archE1100ELNS1_3gpuE3ELNS1_3repE0EEENS1_30default_config_static_selectorELNS0_4arch9wavefront6targetE0EEEvSY_,@function
_ZN7rocprim17ROCPRIM_400000_NS6detail17trampoline_kernelINS0_13select_configILj256ELj13ELNS0_17block_load_methodE3ELS4_3ELS4_3ELNS0_20block_scan_algorithmE0ELj4294967295EEENS1_25partition_config_selectorILNS1_17partition_subalgoE3EjNS0_10empty_typeEbEEZZNS1_14partition_implILS8_3ELb0ES6_jNS0_17counting_iteratorIjlEEPS9_SE_NS0_5tupleIJPjSE_EEENSF_IJSE_SE_EEES9_SG_JZNS1_25segmented_radix_sort_implINS0_14default_configELb0EPKiPiPKlPlN2at6native12_GLOBAL__N_18offset_tEEE10hipError_tPvRmT1_PNSt15iterator_traitsISY_E10value_typeET2_T3_PNSZ_IS14_E10value_typeET4_jRbjT5_S1A_jjP12ihipStream_tbEUljE_EEESV_SW_SX_S14_S18_S1A_T6_T7_T9_mT8_S1C_bDpT10_ENKUlT_T0_E_clISt17integral_constantIbLb0EES1P_EEDaS1K_S1L_EUlS1K_E_NS1_11comp_targetILNS1_3genE9ELNS1_11target_archE1100ELNS1_3gpuE3ELNS1_3repE0EEENS1_30default_config_static_selectorELNS0_4arch9wavefront6targetE0EEEvSY_: ; @_ZN7rocprim17ROCPRIM_400000_NS6detail17trampoline_kernelINS0_13select_configILj256ELj13ELNS0_17block_load_methodE3ELS4_3ELS4_3ELNS0_20block_scan_algorithmE0ELj4294967295EEENS1_25partition_config_selectorILNS1_17partition_subalgoE3EjNS0_10empty_typeEbEEZZNS1_14partition_implILS8_3ELb0ES6_jNS0_17counting_iteratorIjlEEPS9_SE_NS0_5tupleIJPjSE_EEENSF_IJSE_SE_EEES9_SG_JZNS1_25segmented_radix_sort_implINS0_14default_configELb0EPKiPiPKlPlN2at6native12_GLOBAL__N_18offset_tEEE10hipError_tPvRmT1_PNSt15iterator_traitsISY_E10value_typeET2_T3_PNSZ_IS14_E10value_typeET4_jRbjT5_S1A_jjP12ihipStream_tbEUljE_EEESV_SW_SX_S14_S18_S1A_T6_T7_T9_mT8_S1C_bDpT10_ENKUlT_T0_E_clISt17integral_constantIbLb0EES1P_EEDaS1K_S1L_EUlS1K_E_NS1_11comp_targetILNS1_3genE9ELNS1_11target_archE1100ELNS1_3gpuE3ELNS1_3repE0EEENS1_30default_config_static_selectorELNS0_4arch9wavefront6targetE0EEEvSY_
; %bb.0:
	.section	.rodata,"a",@progbits
	.p2align	6, 0x0
	.amdhsa_kernel _ZN7rocprim17ROCPRIM_400000_NS6detail17trampoline_kernelINS0_13select_configILj256ELj13ELNS0_17block_load_methodE3ELS4_3ELS4_3ELNS0_20block_scan_algorithmE0ELj4294967295EEENS1_25partition_config_selectorILNS1_17partition_subalgoE3EjNS0_10empty_typeEbEEZZNS1_14partition_implILS8_3ELb0ES6_jNS0_17counting_iteratorIjlEEPS9_SE_NS0_5tupleIJPjSE_EEENSF_IJSE_SE_EEES9_SG_JZNS1_25segmented_radix_sort_implINS0_14default_configELb0EPKiPiPKlPlN2at6native12_GLOBAL__N_18offset_tEEE10hipError_tPvRmT1_PNSt15iterator_traitsISY_E10value_typeET2_T3_PNSZ_IS14_E10value_typeET4_jRbjT5_S1A_jjP12ihipStream_tbEUljE_EEESV_SW_SX_S14_S18_S1A_T6_T7_T9_mT8_S1C_bDpT10_ENKUlT_T0_E_clISt17integral_constantIbLb0EES1P_EEDaS1K_S1L_EUlS1K_E_NS1_11comp_targetILNS1_3genE9ELNS1_11target_archE1100ELNS1_3gpuE3ELNS1_3repE0EEENS1_30default_config_static_selectorELNS0_4arch9wavefront6targetE0EEEvSY_
		.amdhsa_group_segment_fixed_size 0
		.amdhsa_private_segment_fixed_size 0
		.amdhsa_kernarg_size 144
		.amdhsa_user_sgpr_count 2
		.amdhsa_user_sgpr_dispatch_ptr 0
		.amdhsa_user_sgpr_queue_ptr 0
		.amdhsa_user_sgpr_kernarg_segment_ptr 1
		.amdhsa_user_sgpr_dispatch_id 0
		.amdhsa_user_sgpr_private_segment_size 0
		.amdhsa_wavefront_size32 1
		.amdhsa_uses_dynamic_stack 0
		.amdhsa_enable_private_segment 0
		.amdhsa_system_sgpr_workgroup_id_x 1
		.amdhsa_system_sgpr_workgroup_id_y 0
		.amdhsa_system_sgpr_workgroup_id_z 0
		.amdhsa_system_sgpr_workgroup_info 0
		.amdhsa_system_vgpr_workitem_id 0
		.amdhsa_next_free_vgpr 1
		.amdhsa_next_free_sgpr 1
		.amdhsa_reserve_vcc 0
		.amdhsa_float_round_mode_32 0
		.amdhsa_float_round_mode_16_64 0
		.amdhsa_float_denorm_mode_32 3
		.amdhsa_float_denorm_mode_16_64 3
		.amdhsa_fp16_overflow 0
		.amdhsa_workgroup_processor_mode 1
		.amdhsa_memory_ordered 1
		.amdhsa_forward_progress 1
		.amdhsa_inst_pref_size 0
		.amdhsa_round_robin_scheduling 0
		.amdhsa_exception_fp_ieee_invalid_op 0
		.amdhsa_exception_fp_denorm_src 0
		.amdhsa_exception_fp_ieee_div_zero 0
		.amdhsa_exception_fp_ieee_overflow 0
		.amdhsa_exception_fp_ieee_underflow 0
		.amdhsa_exception_fp_ieee_inexact 0
		.amdhsa_exception_int_div_zero 0
	.end_amdhsa_kernel
	.section	.text._ZN7rocprim17ROCPRIM_400000_NS6detail17trampoline_kernelINS0_13select_configILj256ELj13ELNS0_17block_load_methodE3ELS4_3ELS4_3ELNS0_20block_scan_algorithmE0ELj4294967295EEENS1_25partition_config_selectorILNS1_17partition_subalgoE3EjNS0_10empty_typeEbEEZZNS1_14partition_implILS8_3ELb0ES6_jNS0_17counting_iteratorIjlEEPS9_SE_NS0_5tupleIJPjSE_EEENSF_IJSE_SE_EEES9_SG_JZNS1_25segmented_radix_sort_implINS0_14default_configELb0EPKiPiPKlPlN2at6native12_GLOBAL__N_18offset_tEEE10hipError_tPvRmT1_PNSt15iterator_traitsISY_E10value_typeET2_T3_PNSZ_IS14_E10value_typeET4_jRbjT5_S1A_jjP12ihipStream_tbEUljE_EEESV_SW_SX_S14_S18_S1A_T6_T7_T9_mT8_S1C_bDpT10_ENKUlT_T0_E_clISt17integral_constantIbLb0EES1P_EEDaS1K_S1L_EUlS1K_E_NS1_11comp_targetILNS1_3genE9ELNS1_11target_archE1100ELNS1_3gpuE3ELNS1_3repE0EEENS1_30default_config_static_selectorELNS0_4arch9wavefront6targetE0EEEvSY_,"axG",@progbits,_ZN7rocprim17ROCPRIM_400000_NS6detail17trampoline_kernelINS0_13select_configILj256ELj13ELNS0_17block_load_methodE3ELS4_3ELS4_3ELNS0_20block_scan_algorithmE0ELj4294967295EEENS1_25partition_config_selectorILNS1_17partition_subalgoE3EjNS0_10empty_typeEbEEZZNS1_14partition_implILS8_3ELb0ES6_jNS0_17counting_iteratorIjlEEPS9_SE_NS0_5tupleIJPjSE_EEENSF_IJSE_SE_EEES9_SG_JZNS1_25segmented_radix_sort_implINS0_14default_configELb0EPKiPiPKlPlN2at6native12_GLOBAL__N_18offset_tEEE10hipError_tPvRmT1_PNSt15iterator_traitsISY_E10value_typeET2_T3_PNSZ_IS14_E10value_typeET4_jRbjT5_S1A_jjP12ihipStream_tbEUljE_EEESV_SW_SX_S14_S18_S1A_T6_T7_T9_mT8_S1C_bDpT10_ENKUlT_T0_E_clISt17integral_constantIbLb0EES1P_EEDaS1K_S1L_EUlS1K_E_NS1_11comp_targetILNS1_3genE9ELNS1_11target_archE1100ELNS1_3gpuE3ELNS1_3repE0EEENS1_30default_config_static_selectorELNS0_4arch9wavefront6targetE0EEEvSY_,comdat
.Lfunc_end574:
	.size	_ZN7rocprim17ROCPRIM_400000_NS6detail17trampoline_kernelINS0_13select_configILj256ELj13ELNS0_17block_load_methodE3ELS4_3ELS4_3ELNS0_20block_scan_algorithmE0ELj4294967295EEENS1_25partition_config_selectorILNS1_17partition_subalgoE3EjNS0_10empty_typeEbEEZZNS1_14partition_implILS8_3ELb0ES6_jNS0_17counting_iteratorIjlEEPS9_SE_NS0_5tupleIJPjSE_EEENSF_IJSE_SE_EEES9_SG_JZNS1_25segmented_radix_sort_implINS0_14default_configELb0EPKiPiPKlPlN2at6native12_GLOBAL__N_18offset_tEEE10hipError_tPvRmT1_PNSt15iterator_traitsISY_E10value_typeET2_T3_PNSZ_IS14_E10value_typeET4_jRbjT5_S1A_jjP12ihipStream_tbEUljE_EEESV_SW_SX_S14_S18_S1A_T6_T7_T9_mT8_S1C_bDpT10_ENKUlT_T0_E_clISt17integral_constantIbLb0EES1P_EEDaS1K_S1L_EUlS1K_E_NS1_11comp_targetILNS1_3genE9ELNS1_11target_archE1100ELNS1_3gpuE3ELNS1_3repE0EEENS1_30default_config_static_selectorELNS0_4arch9wavefront6targetE0EEEvSY_, .Lfunc_end574-_ZN7rocprim17ROCPRIM_400000_NS6detail17trampoline_kernelINS0_13select_configILj256ELj13ELNS0_17block_load_methodE3ELS4_3ELS4_3ELNS0_20block_scan_algorithmE0ELj4294967295EEENS1_25partition_config_selectorILNS1_17partition_subalgoE3EjNS0_10empty_typeEbEEZZNS1_14partition_implILS8_3ELb0ES6_jNS0_17counting_iteratorIjlEEPS9_SE_NS0_5tupleIJPjSE_EEENSF_IJSE_SE_EEES9_SG_JZNS1_25segmented_radix_sort_implINS0_14default_configELb0EPKiPiPKlPlN2at6native12_GLOBAL__N_18offset_tEEE10hipError_tPvRmT1_PNSt15iterator_traitsISY_E10value_typeET2_T3_PNSZ_IS14_E10value_typeET4_jRbjT5_S1A_jjP12ihipStream_tbEUljE_EEESV_SW_SX_S14_S18_S1A_T6_T7_T9_mT8_S1C_bDpT10_ENKUlT_T0_E_clISt17integral_constantIbLb0EES1P_EEDaS1K_S1L_EUlS1K_E_NS1_11comp_targetILNS1_3genE9ELNS1_11target_archE1100ELNS1_3gpuE3ELNS1_3repE0EEENS1_30default_config_static_selectorELNS0_4arch9wavefront6targetE0EEEvSY_
                                        ; -- End function
	.set _ZN7rocprim17ROCPRIM_400000_NS6detail17trampoline_kernelINS0_13select_configILj256ELj13ELNS0_17block_load_methodE3ELS4_3ELS4_3ELNS0_20block_scan_algorithmE0ELj4294967295EEENS1_25partition_config_selectorILNS1_17partition_subalgoE3EjNS0_10empty_typeEbEEZZNS1_14partition_implILS8_3ELb0ES6_jNS0_17counting_iteratorIjlEEPS9_SE_NS0_5tupleIJPjSE_EEENSF_IJSE_SE_EEES9_SG_JZNS1_25segmented_radix_sort_implINS0_14default_configELb0EPKiPiPKlPlN2at6native12_GLOBAL__N_18offset_tEEE10hipError_tPvRmT1_PNSt15iterator_traitsISY_E10value_typeET2_T3_PNSZ_IS14_E10value_typeET4_jRbjT5_S1A_jjP12ihipStream_tbEUljE_EEESV_SW_SX_S14_S18_S1A_T6_T7_T9_mT8_S1C_bDpT10_ENKUlT_T0_E_clISt17integral_constantIbLb0EES1P_EEDaS1K_S1L_EUlS1K_E_NS1_11comp_targetILNS1_3genE9ELNS1_11target_archE1100ELNS1_3gpuE3ELNS1_3repE0EEENS1_30default_config_static_selectorELNS0_4arch9wavefront6targetE0EEEvSY_.num_vgpr, 0
	.set _ZN7rocprim17ROCPRIM_400000_NS6detail17trampoline_kernelINS0_13select_configILj256ELj13ELNS0_17block_load_methodE3ELS4_3ELS4_3ELNS0_20block_scan_algorithmE0ELj4294967295EEENS1_25partition_config_selectorILNS1_17partition_subalgoE3EjNS0_10empty_typeEbEEZZNS1_14partition_implILS8_3ELb0ES6_jNS0_17counting_iteratorIjlEEPS9_SE_NS0_5tupleIJPjSE_EEENSF_IJSE_SE_EEES9_SG_JZNS1_25segmented_radix_sort_implINS0_14default_configELb0EPKiPiPKlPlN2at6native12_GLOBAL__N_18offset_tEEE10hipError_tPvRmT1_PNSt15iterator_traitsISY_E10value_typeET2_T3_PNSZ_IS14_E10value_typeET4_jRbjT5_S1A_jjP12ihipStream_tbEUljE_EEESV_SW_SX_S14_S18_S1A_T6_T7_T9_mT8_S1C_bDpT10_ENKUlT_T0_E_clISt17integral_constantIbLb0EES1P_EEDaS1K_S1L_EUlS1K_E_NS1_11comp_targetILNS1_3genE9ELNS1_11target_archE1100ELNS1_3gpuE3ELNS1_3repE0EEENS1_30default_config_static_selectorELNS0_4arch9wavefront6targetE0EEEvSY_.num_agpr, 0
	.set _ZN7rocprim17ROCPRIM_400000_NS6detail17trampoline_kernelINS0_13select_configILj256ELj13ELNS0_17block_load_methodE3ELS4_3ELS4_3ELNS0_20block_scan_algorithmE0ELj4294967295EEENS1_25partition_config_selectorILNS1_17partition_subalgoE3EjNS0_10empty_typeEbEEZZNS1_14partition_implILS8_3ELb0ES6_jNS0_17counting_iteratorIjlEEPS9_SE_NS0_5tupleIJPjSE_EEENSF_IJSE_SE_EEES9_SG_JZNS1_25segmented_radix_sort_implINS0_14default_configELb0EPKiPiPKlPlN2at6native12_GLOBAL__N_18offset_tEEE10hipError_tPvRmT1_PNSt15iterator_traitsISY_E10value_typeET2_T3_PNSZ_IS14_E10value_typeET4_jRbjT5_S1A_jjP12ihipStream_tbEUljE_EEESV_SW_SX_S14_S18_S1A_T6_T7_T9_mT8_S1C_bDpT10_ENKUlT_T0_E_clISt17integral_constantIbLb0EES1P_EEDaS1K_S1L_EUlS1K_E_NS1_11comp_targetILNS1_3genE9ELNS1_11target_archE1100ELNS1_3gpuE3ELNS1_3repE0EEENS1_30default_config_static_selectorELNS0_4arch9wavefront6targetE0EEEvSY_.numbered_sgpr, 0
	.set _ZN7rocprim17ROCPRIM_400000_NS6detail17trampoline_kernelINS0_13select_configILj256ELj13ELNS0_17block_load_methodE3ELS4_3ELS4_3ELNS0_20block_scan_algorithmE0ELj4294967295EEENS1_25partition_config_selectorILNS1_17partition_subalgoE3EjNS0_10empty_typeEbEEZZNS1_14partition_implILS8_3ELb0ES6_jNS0_17counting_iteratorIjlEEPS9_SE_NS0_5tupleIJPjSE_EEENSF_IJSE_SE_EEES9_SG_JZNS1_25segmented_radix_sort_implINS0_14default_configELb0EPKiPiPKlPlN2at6native12_GLOBAL__N_18offset_tEEE10hipError_tPvRmT1_PNSt15iterator_traitsISY_E10value_typeET2_T3_PNSZ_IS14_E10value_typeET4_jRbjT5_S1A_jjP12ihipStream_tbEUljE_EEESV_SW_SX_S14_S18_S1A_T6_T7_T9_mT8_S1C_bDpT10_ENKUlT_T0_E_clISt17integral_constantIbLb0EES1P_EEDaS1K_S1L_EUlS1K_E_NS1_11comp_targetILNS1_3genE9ELNS1_11target_archE1100ELNS1_3gpuE3ELNS1_3repE0EEENS1_30default_config_static_selectorELNS0_4arch9wavefront6targetE0EEEvSY_.num_named_barrier, 0
	.set _ZN7rocprim17ROCPRIM_400000_NS6detail17trampoline_kernelINS0_13select_configILj256ELj13ELNS0_17block_load_methodE3ELS4_3ELS4_3ELNS0_20block_scan_algorithmE0ELj4294967295EEENS1_25partition_config_selectorILNS1_17partition_subalgoE3EjNS0_10empty_typeEbEEZZNS1_14partition_implILS8_3ELb0ES6_jNS0_17counting_iteratorIjlEEPS9_SE_NS0_5tupleIJPjSE_EEENSF_IJSE_SE_EEES9_SG_JZNS1_25segmented_radix_sort_implINS0_14default_configELb0EPKiPiPKlPlN2at6native12_GLOBAL__N_18offset_tEEE10hipError_tPvRmT1_PNSt15iterator_traitsISY_E10value_typeET2_T3_PNSZ_IS14_E10value_typeET4_jRbjT5_S1A_jjP12ihipStream_tbEUljE_EEESV_SW_SX_S14_S18_S1A_T6_T7_T9_mT8_S1C_bDpT10_ENKUlT_T0_E_clISt17integral_constantIbLb0EES1P_EEDaS1K_S1L_EUlS1K_E_NS1_11comp_targetILNS1_3genE9ELNS1_11target_archE1100ELNS1_3gpuE3ELNS1_3repE0EEENS1_30default_config_static_selectorELNS0_4arch9wavefront6targetE0EEEvSY_.private_seg_size, 0
	.set _ZN7rocprim17ROCPRIM_400000_NS6detail17trampoline_kernelINS0_13select_configILj256ELj13ELNS0_17block_load_methodE3ELS4_3ELS4_3ELNS0_20block_scan_algorithmE0ELj4294967295EEENS1_25partition_config_selectorILNS1_17partition_subalgoE3EjNS0_10empty_typeEbEEZZNS1_14partition_implILS8_3ELb0ES6_jNS0_17counting_iteratorIjlEEPS9_SE_NS0_5tupleIJPjSE_EEENSF_IJSE_SE_EEES9_SG_JZNS1_25segmented_radix_sort_implINS0_14default_configELb0EPKiPiPKlPlN2at6native12_GLOBAL__N_18offset_tEEE10hipError_tPvRmT1_PNSt15iterator_traitsISY_E10value_typeET2_T3_PNSZ_IS14_E10value_typeET4_jRbjT5_S1A_jjP12ihipStream_tbEUljE_EEESV_SW_SX_S14_S18_S1A_T6_T7_T9_mT8_S1C_bDpT10_ENKUlT_T0_E_clISt17integral_constantIbLb0EES1P_EEDaS1K_S1L_EUlS1K_E_NS1_11comp_targetILNS1_3genE9ELNS1_11target_archE1100ELNS1_3gpuE3ELNS1_3repE0EEENS1_30default_config_static_selectorELNS0_4arch9wavefront6targetE0EEEvSY_.uses_vcc, 0
	.set _ZN7rocprim17ROCPRIM_400000_NS6detail17trampoline_kernelINS0_13select_configILj256ELj13ELNS0_17block_load_methodE3ELS4_3ELS4_3ELNS0_20block_scan_algorithmE0ELj4294967295EEENS1_25partition_config_selectorILNS1_17partition_subalgoE3EjNS0_10empty_typeEbEEZZNS1_14partition_implILS8_3ELb0ES6_jNS0_17counting_iteratorIjlEEPS9_SE_NS0_5tupleIJPjSE_EEENSF_IJSE_SE_EEES9_SG_JZNS1_25segmented_radix_sort_implINS0_14default_configELb0EPKiPiPKlPlN2at6native12_GLOBAL__N_18offset_tEEE10hipError_tPvRmT1_PNSt15iterator_traitsISY_E10value_typeET2_T3_PNSZ_IS14_E10value_typeET4_jRbjT5_S1A_jjP12ihipStream_tbEUljE_EEESV_SW_SX_S14_S18_S1A_T6_T7_T9_mT8_S1C_bDpT10_ENKUlT_T0_E_clISt17integral_constantIbLb0EES1P_EEDaS1K_S1L_EUlS1K_E_NS1_11comp_targetILNS1_3genE9ELNS1_11target_archE1100ELNS1_3gpuE3ELNS1_3repE0EEENS1_30default_config_static_selectorELNS0_4arch9wavefront6targetE0EEEvSY_.uses_flat_scratch, 0
	.set _ZN7rocprim17ROCPRIM_400000_NS6detail17trampoline_kernelINS0_13select_configILj256ELj13ELNS0_17block_load_methodE3ELS4_3ELS4_3ELNS0_20block_scan_algorithmE0ELj4294967295EEENS1_25partition_config_selectorILNS1_17partition_subalgoE3EjNS0_10empty_typeEbEEZZNS1_14partition_implILS8_3ELb0ES6_jNS0_17counting_iteratorIjlEEPS9_SE_NS0_5tupleIJPjSE_EEENSF_IJSE_SE_EEES9_SG_JZNS1_25segmented_radix_sort_implINS0_14default_configELb0EPKiPiPKlPlN2at6native12_GLOBAL__N_18offset_tEEE10hipError_tPvRmT1_PNSt15iterator_traitsISY_E10value_typeET2_T3_PNSZ_IS14_E10value_typeET4_jRbjT5_S1A_jjP12ihipStream_tbEUljE_EEESV_SW_SX_S14_S18_S1A_T6_T7_T9_mT8_S1C_bDpT10_ENKUlT_T0_E_clISt17integral_constantIbLb0EES1P_EEDaS1K_S1L_EUlS1K_E_NS1_11comp_targetILNS1_3genE9ELNS1_11target_archE1100ELNS1_3gpuE3ELNS1_3repE0EEENS1_30default_config_static_selectorELNS0_4arch9wavefront6targetE0EEEvSY_.has_dyn_sized_stack, 0
	.set _ZN7rocprim17ROCPRIM_400000_NS6detail17trampoline_kernelINS0_13select_configILj256ELj13ELNS0_17block_load_methodE3ELS4_3ELS4_3ELNS0_20block_scan_algorithmE0ELj4294967295EEENS1_25partition_config_selectorILNS1_17partition_subalgoE3EjNS0_10empty_typeEbEEZZNS1_14partition_implILS8_3ELb0ES6_jNS0_17counting_iteratorIjlEEPS9_SE_NS0_5tupleIJPjSE_EEENSF_IJSE_SE_EEES9_SG_JZNS1_25segmented_radix_sort_implINS0_14default_configELb0EPKiPiPKlPlN2at6native12_GLOBAL__N_18offset_tEEE10hipError_tPvRmT1_PNSt15iterator_traitsISY_E10value_typeET2_T3_PNSZ_IS14_E10value_typeET4_jRbjT5_S1A_jjP12ihipStream_tbEUljE_EEESV_SW_SX_S14_S18_S1A_T6_T7_T9_mT8_S1C_bDpT10_ENKUlT_T0_E_clISt17integral_constantIbLb0EES1P_EEDaS1K_S1L_EUlS1K_E_NS1_11comp_targetILNS1_3genE9ELNS1_11target_archE1100ELNS1_3gpuE3ELNS1_3repE0EEENS1_30default_config_static_selectorELNS0_4arch9wavefront6targetE0EEEvSY_.has_recursion, 0
	.set _ZN7rocprim17ROCPRIM_400000_NS6detail17trampoline_kernelINS0_13select_configILj256ELj13ELNS0_17block_load_methodE3ELS4_3ELS4_3ELNS0_20block_scan_algorithmE0ELj4294967295EEENS1_25partition_config_selectorILNS1_17partition_subalgoE3EjNS0_10empty_typeEbEEZZNS1_14partition_implILS8_3ELb0ES6_jNS0_17counting_iteratorIjlEEPS9_SE_NS0_5tupleIJPjSE_EEENSF_IJSE_SE_EEES9_SG_JZNS1_25segmented_radix_sort_implINS0_14default_configELb0EPKiPiPKlPlN2at6native12_GLOBAL__N_18offset_tEEE10hipError_tPvRmT1_PNSt15iterator_traitsISY_E10value_typeET2_T3_PNSZ_IS14_E10value_typeET4_jRbjT5_S1A_jjP12ihipStream_tbEUljE_EEESV_SW_SX_S14_S18_S1A_T6_T7_T9_mT8_S1C_bDpT10_ENKUlT_T0_E_clISt17integral_constantIbLb0EES1P_EEDaS1K_S1L_EUlS1K_E_NS1_11comp_targetILNS1_3genE9ELNS1_11target_archE1100ELNS1_3gpuE3ELNS1_3repE0EEENS1_30default_config_static_selectorELNS0_4arch9wavefront6targetE0EEEvSY_.has_indirect_call, 0
	.section	.AMDGPU.csdata,"",@progbits
; Kernel info:
; codeLenInByte = 0
; TotalNumSgprs: 0
; NumVgprs: 0
; ScratchSize: 0
; MemoryBound: 0
; FloatMode: 240
; IeeeMode: 1
; LDSByteSize: 0 bytes/workgroup (compile time only)
; SGPRBlocks: 0
; VGPRBlocks: 0
; NumSGPRsForWavesPerEU: 1
; NumVGPRsForWavesPerEU: 1
; Occupancy: 16
; WaveLimiterHint : 0
; COMPUTE_PGM_RSRC2:SCRATCH_EN: 0
; COMPUTE_PGM_RSRC2:USER_SGPR: 2
; COMPUTE_PGM_RSRC2:TRAP_HANDLER: 0
; COMPUTE_PGM_RSRC2:TGID_X_EN: 1
; COMPUTE_PGM_RSRC2:TGID_Y_EN: 0
; COMPUTE_PGM_RSRC2:TGID_Z_EN: 0
; COMPUTE_PGM_RSRC2:TIDIG_COMP_CNT: 0
	.section	.text._ZN7rocprim17ROCPRIM_400000_NS6detail17trampoline_kernelINS0_13select_configILj256ELj13ELNS0_17block_load_methodE3ELS4_3ELS4_3ELNS0_20block_scan_algorithmE0ELj4294967295EEENS1_25partition_config_selectorILNS1_17partition_subalgoE3EjNS0_10empty_typeEbEEZZNS1_14partition_implILS8_3ELb0ES6_jNS0_17counting_iteratorIjlEEPS9_SE_NS0_5tupleIJPjSE_EEENSF_IJSE_SE_EEES9_SG_JZNS1_25segmented_radix_sort_implINS0_14default_configELb0EPKiPiPKlPlN2at6native12_GLOBAL__N_18offset_tEEE10hipError_tPvRmT1_PNSt15iterator_traitsISY_E10value_typeET2_T3_PNSZ_IS14_E10value_typeET4_jRbjT5_S1A_jjP12ihipStream_tbEUljE_EEESV_SW_SX_S14_S18_S1A_T6_T7_T9_mT8_S1C_bDpT10_ENKUlT_T0_E_clISt17integral_constantIbLb0EES1P_EEDaS1K_S1L_EUlS1K_E_NS1_11comp_targetILNS1_3genE8ELNS1_11target_archE1030ELNS1_3gpuE2ELNS1_3repE0EEENS1_30default_config_static_selectorELNS0_4arch9wavefront6targetE0EEEvSY_,"axG",@progbits,_ZN7rocprim17ROCPRIM_400000_NS6detail17trampoline_kernelINS0_13select_configILj256ELj13ELNS0_17block_load_methodE3ELS4_3ELS4_3ELNS0_20block_scan_algorithmE0ELj4294967295EEENS1_25partition_config_selectorILNS1_17partition_subalgoE3EjNS0_10empty_typeEbEEZZNS1_14partition_implILS8_3ELb0ES6_jNS0_17counting_iteratorIjlEEPS9_SE_NS0_5tupleIJPjSE_EEENSF_IJSE_SE_EEES9_SG_JZNS1_25segmented_radix_sort_implINS0_14default_configELb0EPKiPiPKlPlN2at6native12_GLOBAL__N_18offset_tEEE10hipError_tPvRmT1_PNSt15iterator_traitsISY_E10value_typeET2_T3_PNSZ_IS14_E10value_typeET4_jRbjT5_S1A_jjP12ihipStream_tbEUljE_EEESV_SW_SX_S14_S18_S1A_T6_T7_T9_mT8_S1C_bDpT10_ENKUlT_T0_E_clISt17integral_constantIbLb0EES1P_EEDaS1K_S1L_EUlS1K_E_NS1_11comp_targetILNS1_3genE8ELNS1_11target_archE1030ELNS1_3gpuE2ELNS1_3repE0EEENS1_30default_config_static_selectorELNS0_4arch9wavefront6targetE0EEEvSY_,comdat
	.globl	_ZN7rocprim17ROCPRIM_400000_NS6detail17trampoline_kernelINS0_13select_configILj256ELj13ELNS0_17block_load_methodE3ELS4_3ELS4_3ELNS0_20block_scan_algorithmE0ELj4294967295EEENS1_25partition_config_selectorILNS1_17partition_subalgoE3EjNS0_10empty_typeEbEEZZNS1_14partition_implILS8_3ELb0ES6_jNS0_17counting_iteratorIjlEEPS9_SE_NS0_5tupleIJPjSE_EEENSF_IJSE_SE_EEES9_SG_JZNS1_25segmented_radix_sort_implINS0_14default_configELb0EPKiPiPKlPlN2at6native12_GLOBAL__N_18offset_tEEE10hipError_tPvRmT1_PNSt15iterator_traitsISY_E10value_typeET2_T3_PNSZ_IS14_E10value_typeET4_jRbjT5_S1A_jjP12ihipStream_tbEUljE_EEESV_SW_SX_S14_S18_S1A_T6_T7_T9_mT8_S1C_bDpT10_ENKUlT_T0_E_clISt17integral_constantIbLb0EES1P_EEDaS1K_S1L_EUlS1K_E_NS1_11comp_targetILNS1_3genE8ELNS1_11target_archE1030ELNS1_3gpuE2ELNS1_3repE0EEENS1_30default_config_static_selectorELNS0_4arch9wavefront6targetE0EEEvSY_ ; -- Begin function _ZN7rocprim17ROCPRIM_400000_NS6detail17trampoline_kernelINS0_13select_configILj256ELj13ELNS0_17block_load_methodE3ELS4_3ELS4_3ELNS0_20block_scan_algorithmE0ELj4294967295EEENS1_25partition_config_selectorILNS1_17partition_subalgoE3EjNS0_10empty_typeEbEEZZNS1_14partition_implILS8_3ELb0ES6_jNS0_17counting_iteratorIjlEEPS9_SE_NS0_5tupleIJPjSE_EEENSF_IJSE_SE_EEES9_SG_JZNS1_25segmented_radix_sort_implINS0_14default_configELb0EPKiPiPKlPlN2at6native12_GLOBAL__N_18offset_tEEE10hipError_tPvRmT1_PNSt15iterator_traitsISY_E10value_typeET2_T3_PNSZ_IS14_E10value_typeET4_jRbjT5_S1A_jjP12ihipStream_tbEUljE_EEESV_SW_SX_S14_S18_S1A_T6_T7_T9_mT8_S1C_bDpT10_ENKUlT_T0_E_clISt17integral_constantIbLb0EES1P_EEDaS1K_S1L_EUlS1K_E_NS1_11comp_targetILNS1_3genE8ELNS1_11target_archE1030ELNS1_3gpuE2ELNS1_3repE0EEENS1_30default_config_static_selectorELNS0_4arch9wavefront6targetE0EEEvSY_
	.p2align	8
	.type	_ZN7rocprim17ROCPRIM_400000_NS6detail17trampoline_kernelINS0_13select_configILj256ELj13ELNS0_17block_load_methodE3ELS4_3ELS4_3ELNS0_20block_scan_algorithmE0ELj4294967295EEENS1_25partition_config_selectorILNS1_17partition_subalgoE3EjNS0_10empty_typeEbEEZZNS1_14partition_implILS8_3ELb0ES6_jNS0_17counting_iteratorIjlEEPS9_SE_NS0_5tupleIJPjSE_EEENSF_IJSE_SE_EEES9_SG_JZNS1_25segmented_radix_sort_implINS0_14default_configELb0EPKiPiPKlPlN2at6native12_GLOBAL__N_18offset_tEEE10hipError_tPvRmT1_PNSt15iterator_traitsISY_E10value_typeET2_T3_PNSZ_IS14_E10value_typeET4_jRbjT5_S1A_jjP12ihipStream_tbEUljE_EEESV_SW_SX_S14_S18_S1A_T6_T7_T9_mT8_S1C_bDpT10_ENKUlT_T0_E_clISt17integral_constantIbLb0EES1P_EEDaS1K_S1L_EUlS1K_E_NS1_11comp_targetILNS1_3genE8ELNS1_11target_archE1030ELNS1_3gpuE2ELNS1_3repE0EEENS1_30default_config_static_selectorELNS0_4arch9wavefront6targetE0EEEvSY_,@function
_ZN7rocprim17ROCPRIM_400000_NS6detail17trampoline_kernelINS0_13select_configILj256ELj13ELNS0_17block_load_methodE3ELS4_3ELS4_3ELNS0_20block_scan_algorithmE0ELj4294967295EEENS1_25partition_config_selectorILNS1_17partition_subalgoE3EjNS0_10empty_typeEbEEZZNS1_14partition_implILS8_3ELb0ES6_jNS0_17counting_iteratorIjlEEPS9_SE_NS0_5tupleIJPjSE_EEENSF_IJSE_SE_EEES9_SG_JZNS1_25segmented_radix_sort_implINS0_14default_configELb0EPKiPiPKlPlN2at6native12_GLOBAL__N_18offset_tEEE10hipError_tPvRmT1_PNSt15iterator_traitsISY_E10value_typeET2_T3_PNSZ_IS14_E10value_typeET4_jRbjT5_S1A_jjP12ihipStream_tbEUljE_EEESV_SW_SX_S14_S18_S1A_T6_T7_T9_mT8_S1C_bDpT10_ENKUlT_T0_E_clISt17integral_constantIbLb0EES1P_EEDaS1K_S1L_EUlS1K_E_NS1_11comp_targetILNS1_3genE8ELNS1_11target_archE1030ELNS1_3gpuE2ELNS1_3repE0EEENS1_30default_config_static_selectorELNS0_4arch9wavefront6targetE0EEEvSY_: ; @_ZN7rocprim17ROCPRIM_400000_NS6detail17trampoline_kernelINS0_13select_configILj256ELj13ELNS0_17block_load_methodE3ELS4_3ELS4_3ELNS0_20block_scan_algorithmE0ELj4294967295EEENS1_25partition_config_selectorILNS1_17partition_subalgoE3EjNS0_10empty_typeEbEEZZNS1_14partition_implILS8_3ELb0ES6_jNS0_17counting_iteratorIjlEEPS9_SE_NS0_5tupleIJPjSE_EEENSF_IJSE_SE_EEES9_SG_JZNS1_25segmented_radix_sort_implINS0_14default_configELb0EPKiPiPKlPlN2at6native12_GLOBAL__N_18offset_tEEE10hipError_tPvRmT1_PNSt15iterator_traitsISY_E10value_typeET2_T3_PNSZ_IS14_E10value_typeET4_jRbjT5_S1A_jjP12ihipStream_tbEUljE_EEESV_SW_SX_S14_S18_S1A_T6_T7_T9_mT8_S1C_bDpT10_ENKUlT_T0_E_clISt17integral_constantIbLb0EES1P_EEDaS1K_S1L_EUlS1K_E_NS1_11comp_targetILNS1_3genE8ELNS1_11target_archE1030ELNS1_3gpuE2ELNS1_3repE0EEENS1_30default_config_static_selectorELNS0_4arch9wavefront6targetE0EEEvSY_
; %bb.0:
	.section	.rodata,"a",@progbits
	.p2align	6, 0x0
	.amdhsa_kernel _ZN7rocprim17ROCPRIM_400000_NS6detail17trampoline_kernelINS0_13select_configILj256ELj13ELNS0_17block_load_methodE3ELS4_3ELS4_3ELNS0_20block_scan_algorithmE0ELj4294967295EEENS1_25partition_config_selectorILNS1_17partition_subalgoE3EjNS0_10empty_typeEbEEZZNS1_14partition_implILS8_3ELb0ES6_jNS0_17counting_iteratorIjlEEPS9_SE_NS0_5tupleIJPjSE_EEENSF_IJSE_SE_EEES9_SG_JZNS1_25segmented_radix_sort_implINS0_14default_configELb0EPKiPiPKlPlN2at6native12_GLOBAL__N_18offset_tEEE10hipError_tPvRmT1_PNSt15iterator_traitsISY_E10value_typeET2_T3_PNSZ_IS14_E10value_typeET4_jRbjT5_S1A_jjP12ihipStream_tbEUljE_EEESV_SW_SX_S14_S18_S1A_T6_T7_T9_mT8_S1C_bDpT10_ENKUlT_T0_E_clISt17integral_constantIbLb0EES1P_EEDaS1K_S1L_EUlS1K_E_NS1_11comp_targetILNS1_3genE8ELNS1_11target_archE1030ELNS1_3gpuE2ELNS1_3repE0EEENS1_30default_config_static_selectorELNS0_4arch9wavefront6targetE0EEEvSY_
		.amdhsa_group_segment_fixed_size 0
		.amdhsa_private_segment_fixed_size 0
		.amdhsa_kernarg_size 144
		.amdhsa_user_sgpr_count 2
		.amdhsa_user_sgpr_dispatch_ptr 0
		.amdhsa_user_sgpr_queue_ptr 0
		.amdhsa_user_sgpr_kernarg_segment_ptr 1
		.amdhsa_user_sgpr_dispatch_id 0
		.amdhsa_user_sgpr_private_segment_size 0
		.amdhsa_wavefront_size32 1
		.amdhsa_uses_dynamic_stack 0
		.amdhsa_enable_private_segment 0
		.amdhsa_system_sgpr_workgroup_id_x 1
		.amdhsa_system_sgpr_workgroup_id_y 0
		.amdhsa_system_sgpr_workgroup_id_z 0
		.amdhsa_system_sgpr_workgroup_info 0
		.amdhsa_system_vgpr_workitem_id 0
		.amdhsa_next_free_vgpr 1
		.amdhsa_next_free_sgpr 1
		.amdhsa_reserve_vcc 0
		.amdhsa_float_round_mode_32 0
		.amdhsa_float_round_mode_16_64 0
		.amdhsa_float_denorm_mode_32 3
		.amdhsa_float_denorm_mode_16_64 3
		.amdhsa_fp16_overflow 0
		.amdhsa_workgroup_processor_mode 1
		.amdhsa_memory_ordered 1
		.amdhsa_forward_progress 1
		.amdhsa_inst_pref_size 0
		.amdhsa_round_robin_scheduling 0
		.amdhsa_exception_fp_ieee_invalid_op 0
		.amdhsa_exception_fp_denorm_src 0
		.amdhsa_exception_fp_ieee_div_zero 0
		.amdhsa_exception_fp_ieee_overflow 0
		.amdhsa_exception_fp_ieee_underflow 0
		.amdhsa_exception_fp_ieee_inexact 0
		.amdhsa_exception_int_div_zero 0
	.end_amdhsa_kernel
	.section	.text._ZN7rocprim17ROCPRIM_400000_NS6detail17trampoline_kernelINS0_13select_configILj256ELj13ELNS0_17block_load_methodE3ELS4_3ELS4_3ELNS0_20block_scan_algorithmE0ELj4294967295EEENS1_25partition_config_selectorILNS1_17partition_subalgoE3EjNS0_10empty_typeEbEEZZNS1_14partition_implILS8_3ELb0ES6_jNS0_17counting_iteratorIjlEEPS9_SE_NS0_5tupleIJPjSE_EEENSF_IJSE_SE_EEES9_SG_JZNS1_25segmented_radix_sort_implINS0_14default_configELb0EPKiPiPKlPlN2at6native12_GLOBAL__N_18offset_tEEE10hipError_tPvRmT1_PNSt15iterator_traitsISY_E10value_typeET2_T3_PNSZ_IS14_E10value_typeET4_jRbjT5_S1A_jjP12ihipStream_tbEUljE_EEESV_SW_SX_S14_S18_S1A_T6_T7_T9_mT8_S1C_bDpT10_ENKUlT_T0_E_clISt17integral_constantIbLb0EES1P_EEDaS1K_S1L_EUlS1K_E_NS1_11comp_targetILNS1_3genE8ELNS1_11target_archE1030ELNS1_3gpuE2ELNS1_3repE0EEENS1_30default_config_static_selectorELNS0_4arch9wavefront6targetE0EEEvSY_,"axG",@progbits,_ZN7rocprim17ROCPRIM_400000_NS6detail17trampoline_kernelINS0_13select_configILj256ELj13ELNS0_17block_load_methodE3ELS4_3ELS4_3ELNS0_20block_scan_algorithmE0ELj4294967295EEENS1_25partition_config_selectorILNS1_17partition_subalgoE3EjNS0_10empty_typeEbEEZZNS1_14partition_implILS8_3ELb0ES6_jNS0_17counting_iteratorIjlEEPS9_SE_NS0_5tupleIJPjSE_EEENSF_IJSE_SE_EEES9_SG_JZNS1_25segmented_radix_sort_implINS0_14default_configELb0EPKiPiPKlPlN2at6native12_GLOBAL__N_18offset_tEEE10hipError_tPvRmT1_PNSt15iterator_traitsISY_E10value_typeET2_T3_PNSZ_IS14_E10value_typeET4_jRbjT5_S1A_jjP12ihipStream_tbEUljE_EEESV_SW_SX_S14_S18_S1A_T6_T7_T9_mT8_S1C_bDpT10_ENKUlT_T0_E_clISt17integral_constantIbLb0EES1P_EEDaS1K_S1L_EUlS1K_E_NS1_11comp_targetILNS1_3genE8ELNS1_11target_archE1030ELNS1_3gpuE2ELNS1_3repE0EEENS1_30default_config_static_selectorELNS0_4arch9wavefront6targetE0EEEvSY_,comdat
.Lfunc_end575:
	.size	_ZN7rocprim17ROCPRIM_400000_NS6detail17trampoline_kernelINS0_13select_configILj256ELj13ELNS0_17block_load_methodE3ELS4_3ELS4_3ELNS0_20block_scan_algorithmE0ELj4294967295EEENS1_25partition_config_selectorILNS1_17partition_subalgoE3EjNS0_10empty_typeEbEEZZNS1_14partition_implILS8_3ELb0ES6_jNS0_17counting_iteratorIjlEEPS9_SE_NS0_5tupleIJPjSE_EEENSF_IJSE_SE_EEES9_SG_JZNS1_25segmented_radix_sort_implINS0_14default_configELb0EPKiPiPKlPlN2at6native12_GLOBAL__N_18offset_tEEE10hipError_tPvRmT1_PNSt15iterator_traitsISY_E10value_typeET2_T3_PNSZ_IS14_E10value_typeET4_jRbjT5_S1A_jjP12ihipStream_tbEUljE_EEESV_SW_SX_S14_S18_S1A_T6_T7_T9_mT8_S1C_bDpT10_ENKUlT_T0_E_clISt17integral_constantIbLb0EES1P_EEDaS1K_S1L_EUlS1K_E_NS1_11comp_targetILNS1_3genE8ELNS1_11target_archE1030ELNS1_3gpuE2ELNS1_3repE0EEENS1_30default_config_static_selectorELNS0_4arch9wavefront6targetE0EEEvSY_, .Lfunc_end575-_ZN7rocprim17ROCPRIM_400000_NS6detail17trampoline_kernelINS0_13select_configILj256ELj13ELNS0_17block_load_methodE3ELS4_3ELS4_3ELNS0_20block_scan_algorithmE0ELj4294967295EEENS1_25partition_config_selectorILNS1_17partition_subalgoE3EjNS0_10empty_typeEbEEZZNS1_14partition_implILS8_3ELb0ES6_jNS0_17counting_iteratorIjlEEPS9_SE_NS0_5tupleIJPjSE_EEENSF_IJSE_SE_EEES9_SG_JZNS1_25segmented_radix_sort_implINS0_14default_configELb0EPKiPiPKlPlN2at6native12_GLOBAL__N_18offset_tEEE10hipError_tPvRmT1_PNSt15iterator_traitsISY_E10value_typeET2_T3_PNSZ_IS14_E10value_typeET4_jRbjT5_S1A_jjP12ihipStream_tbEUljE_EEESV_SW_SX_S14_S18_S1A_T6_T7_T9_mT8_S1C_bDpT10_ENKUlT_T0_E_clISt17integral_constantIbLb0EES1P_EEDaS1K_S1L_EUlS1K_E_NS1_11comp_targetILNS1_3genE8ELNS1_11target_archE1030ELNS1_3gpuE2ELNS1_3repE0EEENS1_30default_config_static_selectorELNS0_4arch9wavefront6targetE0EEEvSY_
                                        ; -- End function
	.set _ZN7rocprim17ROCPRIM_400000_NS6detail17trampoline_kernelINS0_13select_configILj256ELj13ELNS0_17block_load_methodE3ELS4_3ELS4_3ELNS0_20block_scan_algorithmE0ELj4294967295EEENS1_25partition_config_selectorILNS1_17partition_subalgoE3EjNS0_10empty_typeEbEEZZNS1_14partition_implILS8_3ELb0ES6_jNS0_17counting_iteratorIjlEEPS9_SE_NS0_5tupleIJPjSE_EEENSF_IJSE_SE_EEES9_SG_JZNS1_25segmented_radix_sort_implINS0_14default_configELb0EPKiPiPKlPlN2at6native12_GLOBAL__N_18offset_tEEE10hipError_tPvRmT1_PNSt15iterator_traitsISY_E10value_typeET2_T3_PNSZ_IS14_E10value_typeET4_jRbjT5_S1A_jjP12ihipStream_tbEUljE_EEESV_SW_SX_S14_S18_S1A_T6_T7_T9_mT8_S1C_bDpT10_ENKUlT_T0_E_clISt17integral_constantIbLb0EES1P_EEDaS1K_S1L_EUlS1K_E_NS1_11comp_targetILNS1_3genE8ELNS1_11target_archE1030ELNS1_3gpuE2ELNS1_3repE0EEENS1_30default_config_static_selectorELNS0_4arch9wavefront6targetE0EEEvSY_.num_vgpr, 0
	.set _ZN7rocprim17ROCPRIM_400000_NS6detail17trampoline_kernelINS0_13select_configILj256ELj13ELNS0_17block_load_methodE3ELS4_3ELS4_3ELNS0_20block_scan_algorithmE0ELj4294967295EEENS1_25partition_config_selectorILNS1_17partition_subalgoE3EjNS0_10empty_typeEbEEZZNS1_14partition_implILS8_3ELb0ES6_jNS0_17counting_iteratorIjlEEPS9_SE_NS0_5tupleIJPjSE_EEENSF_IJSE_SE_EEES9_SG_JZNS1_25segmented_radix_sort_implINS0_14default_configELb0EPKiPiPKlPlN2at6native12_GLOBAL__N_18offset_tEEE10hipError_tPvRmT1_PNSt15iterator_traitsISY_E10value_typeET2_T3_PNSZ_IS14_E10value_typeET4_jRbjT5_S1A_jjP12ihipStream_tbEUljE_EEESV_SW_SX_S14_S18_S1A_T6_T7_T9_mT8_S1C_bDpT10_ENKUlT_T0_E_clISt17integral_constantIbLb0EES1P_EEDaS1K_S1L_EUlS1K_E_NS1_11comp_targetILNS1_3genE8ELNS1_11target_archE1030ELNS1_3gpuE2ELNS1_3repE0EEENS1_30default_config_static_selectorELNS0_4arch9wavefront6targetE0EEEvSY_.num_agpr, 0
	.set _ZN7rocprim17ROCPRIM_400000_NS6detail17trampoline_kernelINS0_13select_configILj256ELj13ELNS0_17block_load_methodE3ELS4_3ELS4_3ELNS0_20block_scan_algorithmE0ELj4294967295EEENS1_25partition_config_selectorILNS1_17partition_subalgoE3EjNS0_10empty_typeEbEEZZNS1_14partition_implILS8_3ELb0ES6_jNS0_17counting_iteratorIjlEEPS9_SE_NS0_5tupleIJPjSE_EEENSF_IJSE_SE_EEES9_SG_JZNS1_25segmented_radix_sort_implINS0_14default_configELb0EPKiPiPKlPlN2at6native12_GLOBAL__N_18offset_tEEE10hipError_tPvRmT1_PNSt15iterator_traitsISY_E10value_typeET2_T3_PNSZ_IS14_E10value_typeET4_jRbjT5_S1A_jjP12ihipStream_tbEUljE_EEESV_SW_SX_S14_S18_S1A_T6_T7_T9_mT8_S1C_bDpT10_ENKUlT_T0_E_clISt17integral_constantIbLb0EES1P_EEDaS1K_S1L_EUlS1K_E_NS1_11comp_targetILNS1_3genE8ELNS1_11target_archE1030ELNS1_3gpuE2ELNS1_3repE0EEENS1_30default_config_static_selectorELNS0_4arch9wavefront6targetE0EEEvSY_.numbered_sgpr, 0
	.set _ZN7rocprim17ROCPRIM_400000_NS6detail17trampoline_kernelINS0_13select_configILj256ELj13ELNS0_17block_load_methodE3ELS4_3ELS4_3ELNS0_20block_scan_algorithmE0ELj4294967295EEENS1_25partition_config_selectorILNS1_17partition_subalgoE3EjNS0_10empty_typeEbEEZZNS1_14partition_implILS8_3ELb0ES6_jNS0_17counting_iteratorIjlEEPS9_SE_NS0_5tupleIJPjSE_EEENSF_IJSE_SE_EEES9_SG_JZNS1_25segmented_radix_sort_implINS0_14default_configELb0EPKiPiPKlPlN2at6native12_GLOBAL__N_18offset_tEEE10hipError_tPvRmT1_PNSt15iterator_traitsISY_E10value_typeET2_T3_PNSZ_IS14_E10value_typeET4_jRbjT5_S1A_jjP12ihipStream_tbEUljE_EEESV_SW_SX_S14_S18_S1A_T6_T7_T9_mT8_S1C_bDpT10_ENKUlT_T0_E_clISt17integral_constantIbLb0EES1P_EEDaS1K_S1L_EUlS1K_E_NS1_11comp_targetILNS1_3genE8ELNS1_11target_archE1030ELNS1_3gpuE2ELNS1_3repE0EEENS1_30default_config_static_selectorELNS0_4arch9wavefront6targetE0EEEvSY_.num_named_barrier, 0
	.set _ZN7rocprim17ROCPRIM_400000_NS6detail17trampoline_kernelINS0_13select_configILj256ELj13ELNS0_17block_load_methodE3ELS4_3ELS4_3ELNS0_20block_scan_algorithmE0ELj4294967295EEENS1_25partition_config_selectorILNS1_17partition_subalgoE3EjNS0_10empty_typeEbEEZZNS1_14partition_implILS8_3ELb0ES6_jNS0_17counting_iteratorIjlEEPS9_SE_NS0_5tupleIJPjSE_EEENSF_IJSE_SE_EEES9_SG_JZNS1_25segmented_radix_sort_implINS0_14default_configELb0EPKiPiPKlPlN2at6native12_GLOBAL__N_18offset_tEEE10hipError_tPvRmT1_PNSt15iterator_traitsISY_E10value_typeET2_T3_PNSZ_IS14_E10value_typeET4_jRbjT5_S1A_jjP12ihipStream_tbEUljE_EEESV_SW_SX_S14_S18_S1A_T6_T7_T9_mT8_S1C_bDpT10_ENKUlT_T0_E_clISt17integral_constantIbLb0EES1P_EEDaS1K_S1L_EUlS1K_E_NS1_11comp_targetILNS1_3genE8ELNS1_11target_archE1030ELNS1_3gpuE2ELNS1_3repE0EEENS1_30default_config_static_selectorELNS0_4arch9wavefront6targetE0EEEvSY_.private_seg_size, 0
	.set _ZN7rocprim17ROCPRIM_400000_NS6detail17trampoline_kernelINS0_13select_configILj256ELj13ELNS0_17block_load_methodE3ELS4_3ELS4_3ELNS0_20block_scan_algorithmE0ELj4294967295EEENS1_25partition_config_selectorILNS1_17partition_subalgoE3EjNS0_10empty_typeEbEEZZNS1_14partition_implILS8_3ELb0ES6_jNS0_17counting_iteratorIjlEEPS9_SE_NS0_5tupleIJPjSE_EEENSF_IJSE_SE_EEES9_SG_JZNS1_25segmented_radix_sort_implINS0_14default_configELb0EPKiPiPKlPlN2at6native12_GLOBAL__N_18offset_tEEE10hipError_tPvRmT1_PNSt15iterator_traitsISY_E10value_typeET2_T3_PNSZ_IS14_E10value_typeET4_jRbjT5_S1A_jjP12ihipStream_tbEUljE_EEESV_SW_SX_S14_S18_S1A_T6_T7_T9_mT8_S1C_bDpT10_ENKUlT_T0_E_clISt17integral_constantIbLb0EES1P_EEDaS1K_S1L_EUlS1K_E_NS1_11comp_targetILNS1_3genE8ELNS1_11target_archE1030ELNS1_3gpuE2ELNS1_3repE0EEENS1_30default_config_static_selectorELNS0_4arch9wavefront6targetE0EEEvSY_.uses_vcc, 0
	.set _ZN7rocprim17ROCPRIM_400000_NS6detail17trampoline_kernelINS0_13select_configILj256ELj13ELNS0_17block_load_methodE3ELS4_3ELS4_3ELNS0_20block_scan_algorithmE0ELj4294967295EEENS1_25partition_config_selectorILNS1_17partition_subalgoE3EjNS0_10empty_typeEbEEZZNS1_14partition_implILS8_3ELb0ES6_jNS0_17counting_iteratorIjlEEPS9_SE_NS0_5tupleIJPjSE_EEENSF_IJSE_SE_EEES9_SG_JZNS1_25segmented_radix_sort_implINS0_14default_configELb0EPKiPiPKlPlN2at6native12_GLOBAL__N_18offset_tEEE10hipError_tPvRmT1_PNSt15iterator_traitsISY_E10value_typeET2_T3_PNSZ_IS14_E10value_typeET4_jRbjT5_S1A_jjP12ihipStream_tbEUljE_EEESV_SW_SX_S14_S18_S1A_T6_T7_T9_mT8_S1C_bDpT10_ENKUlT_T0_E_clISt17integral_constantIbLb0EES1P_EEDaS1K_S1L_EUlS1K_E_NS1_11comp_targetILNS1_3genE8ELNS1_11target_archE1030ELNS1_3gpuE2ELNS1_3repE0EEENS1_30default_config_static_selectorELNS0_4arch9wavefront6targetE0EEEvSY_.uses_flat_scratch, 0
	.set _ZN7rocprim17ROCPRIM_400000_NS6detail17trampoline_kernelINS0_13select_configILj256ELj13ELNS0_17block_load_methodE3ELS4_3ELS4_3ELNS0_20block_scan_algorithmE0ELj4294967295EEENS1_25partition_config_selectorILNS1_17partition_subalgoE3EjNS0_10empty_typeEbEEZZNS1_14partition_implILS8_3ELb0ES6_jNS0_17counting_iteratorIjlEEPS9_SE_NS0_5tupleIJPjSE_EEENSF_IJSE_SE_EEES9_SG_JZNS1_25segmented_radix_sort_implINS0_14default_configELb0EPKiPiPKlPlN2at6native12_GLOBAL__N_18offset_tEEE10hipError_tPvRmT1_PNSt15iterator_traitsISY_E10value_typeET2_T3_PNSZ_IS14_E10value_typeET4_jRbjT5_S1A_jjP12ihipStream_tbEUljE_EEESV_SW_SX_S14_S18_S1A_T6_T7_T9_mT8_S1C_bDpT10_ENKUlT_T0_E_clISt17integral_constantIbLb0EES1P_EEDaS1K_S1L_EUlS1K_E_NS1_11comp_targetILNS1_3genE8ELNS1_11target_archE1030ELNS1_3gpuE2ELNS1_3repE0EEENS1_30default_config_static_selectorELNS0_4arch9wavefront6targetE0EEEvSY_.has_dyn_sized_stack, 0
	.set _ZN7rocprim17ROCPRIM_400000_NS6detail17trampoline_kernelINS0_13select_configILj256ELj13ELNS0_17block_load_methodE3ELS4_3ELS4_3ELNS0_20block_scan_algorithmE0ELj4294967295EEENS1_25partition_config_selectorILNS1_17partition_subalgoE3EjNS0_10empty_typeEbEEZZNS1_14partition_implILS8_3ELb0ES6_jNS0_17counting_iteratorIjlEEPS9_SE_NS0_5tupleIJPjSE_EEENSF_IJSE_SE_EEES9_SG_JZNS1_25segmented_radix_sort_implINS0_14default_configELb0EPKiPiPKlPlN2at6native12_GLOBAL__N_18offset_tEEE10hipError_tPvRmT1_PNSt15iterator_traitsISY_E10value_typeET2_T3_PNSZ_IS14_E10value_typeET4_jRbjT5_S1A_jjP12ihipStream_tbEUljE_EEESV_SW_SX_S14_S18_S1A_T6_T7_T9_mT8_S1C_bDpT10_ENKUlT_T0_E_clISt17integral_constantIbLb0EES1P_EEDaS1K_S1L_EUlS1K_E_NS1_11comp_targetILNS1_3genE8ELNS1_11target_archE1030ELNS1_3gpuE2ELNS1_3repE0EEENS1_30default_config_static_selectorELNS0_4arch9wavefront6targetE0EEEvSY_.has_recursion, 0
	.set _ZN7rocprim17ROCPRIM_400000_NS6detail17trampoline_kernelINS0_13select_configILj256ELj13ELNS0_17block_load_methodE3ELS4_3ELS4_3ELNS0_20block_scan_algorithmE0ELj4294967295EEENS1_25partition_config_selectorILNS1_17partition_subalgoE3EjNS0_10empty_typeEbEEZZNS1_14partition_implILS8_3ELb0ES6_jNS0_17counting_iteratorIjlEEPS9_SE_NS0_5tupleIJPjSE_EEENSF_IJSE_SE_EEES9_SG_JZNS1_25segmented_radix_sort_implINS0_14default_configELb0EPKiPiPKlPlN2at6native12_GLOBAL__N_18offset_tEEE10hipError_tPvRmT1_PNSt15iterator_traitsISY_E10value_typeET2_T3_PNSZ_IS14_E10value_typeET4_jRbjT5_S1A_jjP12ihipStream_tbEUljE_EEESV_SW_SX_S14_S18_S1A_T6_T7_T9_mT8_S1C_bDpT10_ENKUlT_T0_E_clISt17integral_constantIbLb0EES1P_EEDaS1K_S1L_EUlS1K_E_NS1_11comp_targetILNS1_3genE8ELNS1_11target_archE1030ELNS1_3gpuE2ELNS1_3repE0EEENS1_30default_config_static_selectorELNS0_4arch9wavefront6targetE0EEEvSY_.has_indirect_call, 0
	.section	.AMDGPU.csdata,"",@progbits
; Kernel info:
; codeLenInByte = 0
; TotalNumSgprs: 0
; NumVgprs: 0
; ScratchSize: 0
; MemoryBound: 0
; FloatMode: 240
; IeeeMode: 1
; LDSByteSize: 0 bytes/workgroup (compile time only)
; SGPRBlocks: 0
; VGPRBlocks: 0
; NumSGPRsForWavesPerEU: 1
; NumVGPRsForWavesPerEU: 1
; Occupancy: 16
; WaveLimiterHint : 0
; COMPUTE_PGM_RSRC2:SCRATCH_EN: 0
; COMPUTE_PGM_RSRC2:USER_SGPR: 2
; COMPUTE_PGM_RSRC2:TRAP_HANDLER: 0
; COMPUTE_PGM_RSRC2:TGID_X_EN: 1
; COMPUTE_PGM_RSRC2:TGID_Y_EN: 0
; COMPUTE_PGM_RSRC2:TGID_Z_EN: 0
; COMPUTE_PGM_RSRC2:TIDIG_COMP_CNT: 0
	.section	.text._ZN7rocprim17ROCPRIM_400000_NS6detail17trampoline_kernelINS0_13select_configILj256ELj13ELNS0_17block_load_methodE3ELS4_3ELS4_3ELNS0_20block_scan_algorithmE0ELj4294967295EEENS1_25partition_config_selectorILNS1_17partition_subalgoE3EjNS0_10empty_typeEbEEZZNS1_14partition_implILS8_3ELb0ES6_jNS0_17counting_iteratorIjlEEPS9_SE_NS0_5tupleIJPjSE_EEENSF_IJSE_SE_EEES9_SG_JZNS1_25segmented_radix_sort_implINS0_14default_configELb0EPKiPiPKlPlN2at6native12_GLOBAL__N_18offset_tEEE10hipError_tPvRmT1_PNSt15iterator_traitsISY_E10value_typeET2_T3_PNSZ_IS14_E10value_typeET4_jRbjT5_S1A_jjP12ihipStream_tbEUljE_EEESV_SW_SX_S14_S18_S1A_T6_T7_T9_mT8_S1C_bDpT10_ENKUlT_T0_E_clISt17integral_constantIbLb1EES1P_EEDaS1K_S1L_EUlS1K_E_NS1_11comp_targetILNS1_3genE0ELNS1_11target_archE4294967295ELNS1_3gpuE0ELNS1_3repE0EEENS1_30default_config_static_selectorELNS0_4arch9wavefront6targetE0EEEvSY_,"axG",@progbits,_ZN7rocprim17ROCPRIM_400000_NS6detail17trampoline_kernelINS0_13select_configILj256ELj13ELNS0_17block_load_methodE3ELS4_3ELS4_3ELNS0_20block_scan_algorithmE0ELj4294967295EEENS1_25partition_config_selectorILNS1_17partition_subalgoE3EjNS0_10empty_typeEbEEZZNS1_14partition_implILS8_3ELb0ES6_jNS0_17counting_iteratorIjlEEPS9_SE_NS0_5tupleIJPjSE_EEENSF_IJSE_SE_EEES9_SG_JZNS1_25segmented_radix_sort_implINS0_14default_configELb0EPKiPiPKlPlN2at6native12_GLOBAL__N_18offset_tEEE10hipError_tPvRmT1_PNSt15iterator_traitsISY_E10value_typeET2_T3_PNSZ_IS14_E10value_typeET4_jRbjT5_S1A_jjP12ihipStream_tbEUljE_EEESV_SW_SX_S14_S18_S1A_T6_T7_T9_mT8_S1C_bDpT10_ENKUlT_T0_E_clISt17integral_constantIbLb1EES1P_EEDaS1K_S1L_EUlS1K_E_NS1_11comp_targetILNS1_3genE0ELNS1_11target_archE4294967295ELNS1_3gpuE0ELNS1_3repE0EEENS1_30default_config_static_selectorELNS0_4arch9wavefront6targetE0EEEvSY_,comdat
	.globl	_ZN7rocprim17ROCPRIM_400000_NS6detail17trampoline_kernelINS0_13select_configILj256ELj13ELNS0_17block_load_methodE3ELS4_3ELS4_3ELNS0_20block_scan_algorithmE0ELj4294967295EEENS1_25partition_config_selectorILNS1_17partition_subalgoE3EjNS0_10empty_typeEbEEZZNS1_14partition_implILS8_3ELb0ES6_jNS0_17counting_iteratorIjlEEPS9_SE_NS0_5tupleIJPjSE_EEENSF_IJSE_SE_EEES9_SG_JZNS1_25segmented_radix_sort_implINS0_14default_configELb0EPKiPiPKlPlN2at6native12_GLOBAL__N_18offset_tEEE10hipError_tPvRmT1_PNSt15iterator_traitsISY_E10value_typeET2_T3_PNSZ_IS14_E10value_typeET4_jRbjT5_S1A_jjP12ihipStream_tbEUljE_EEESV_SW_SX_S14_S18_S1A_T6_T7_T9_mT8_S1C_bDpT10_ENKUlT_T0_E_clISt17integral_constantIbLb1EES1P_EEDaS1K_S1L_EUlS1K_E_NS1_11comp_targetILNS1_3genE0ELNS1_11target_archE4294967295ELNS1_3gpuE0ELNS1_3repE0EEENS1_30default_config_static_selectorELNS0_4arch9wavefront6targetE0EEEvSY_ ; -- Begin function _ZN7rocprim17ROCPRIM_400000_NS6detail17trampoline_kernelINS0_13select_configILj256ELj13ELNS0_17block_load_methodE3ELS4_3ELS4_3ELNS0_20block_scan_algorithmE0ELj4294967295EEENS1_25partition_config_selectorILNS1_17partition_subalgoE3EjNS0_10empty_typeEbEEZZNS1_14partition_implILS8_3ELb0ES6_jNS0_17counting_iteratorIjlEEPS9_SE_NS0_5tupleIJPjSE_EEENSF_IJSE_SE_EEES9_SG_JZNS1_25segmented_radix_sort_implINS0_14default_configELb0EPKiPiPKlPlN2at6native12_GLOBAL__N_18offset_tEEE10hipError_tPvRmT1_PNSt15iterator_traitsISY_E10value_typeET2_T3_PNSZ_IS14_E10value_typeET4_jRbjT5_S1A_jjP12ihipStream_tbEUljE_EEESV_SW_SX_S14_S18_S1A_T6_T7_T9_mT8_S1C_bDpT10_ENKUlT_T0_E_clISt17integral_constantIbLb1EES1P_EEDaS1K_S1L_EUlS1K_E_NS1_11comp_targetILNS1_3genE0ELNS1_11target_archE4294967295ELNS1_3gpuE0ELNS1_3repE0EEENS1_30default_config_static_selectorELNS0_4arch9wavefront6targetE0EEEvSY_
	.p2align	8
	.type	_ZN7rocprim17ROCPRIM_400000_NS6detail17trampoline_kernelINS0_13select_configILj256ELj13ELNS0_17block_load_methodE3ELS4_3ELS4_3ELNS0_20block_scan_algorithmE0ELj4294967295EEENS1_25partition_config_selectorILNS1_17partition_subalgoE3EjNS0_10empty_typeEbEEZZNS1_14partition_implILS8_3ELb0ES6_jNS0_17counting_iteratorIjlEEPS9_SE_NS0_5tupleIJPjSE_EEENSF_IJSE_SE_EEES9_SG_JZNS1_25segmented_radix_sort_implINS0_14default_configELb0EPKiPiPKlPlN2at6native12_GLOBAL__N_18offset_tEEE10hipError_tPvRmT1_PNSt15iterator_traitsISY_E10value_typeET2_T3_PNSZ_IS14_E10value_typeET4_jRbjT5_S1A_jjP12ihipStream_tbEUljE_EEESV_SW_SX_S14_S18_S1A_T6_T7_T9_mT8_S1C_bDpT10_ENKUlT_T0_E_clISt17integral_constantIbLb1EES1P_EEDaS1K_S1L_EUlS1K_E_NS1_11comp_targetILNS1_3genE0ELNS1_11target_archE4294967295ELNS1_3gpuE0ELNS1_3repE0EEENS1_30default_config_static_selectorELNS0_4arch9wavefront6targetE0EEEvSY_,@function
_ZN7rocprim17ROCPRIM_400000_NS6detail17trampoline_kernelINS0_13select_configILj256ELj13ELNS0_17block_load_methodE3ELS4_3ELS4_3ELNS0_20block_scan_algorithmE0ELj4294967295EEENS1_25partition_config_selectorILNS1_17partition_subalgoE3EjNS0_10empty_typeEbEEZZNS1_14partition_implILS8_3ELb0ES6_jNS0_17counting_iteratorIjlEEPS9_SE_NS0_5tupleIJPjSE_EEENSF_IJSE_SE_EEES9_SG_JZNS1_25segmented_radix_sort_implINS0_14default_configELb0EPKiPiPKlPlN2at6native12_GLOBAL__N_18offset_tEEE10hipError_tPvRmT1_PNSt15iterator_traitsISY_E10value_typeET2_T3_PNSZ_IS14_E10value_typeET4_jRbjT5_S1A_jjP12ihipStream_tbEUljE_EEESV_SW_SX_S14_S18_S1A_T6_T7_T9_mT8_S1C_bDpT10_ENKUlT_T0_E_clISt17integral_constantIbLb1EES1P_EEDaS1K_S1L_EUlS1K_E_NS1_11comp_targetILNS1_3genE0ELNS1_11target_archE4294967295ELNS1_3gpuE0ELNS1_3repE0EEENS1_30default_config_static_selectorELNS0_4arch9wavefront6targetE0EEEvSY_: ; @_ZN7rocprim17ROCPRIM_400000_NS6detail17trampoline_kernelINS0_13select_configILj256ELj13ELNS0_17block_load_methodE3ELS4_3ELS4_3ELNS0_20block_scan_algorithmE0ELj4294967295EEENS1_25partition_config_selectorILNS1_17partition_subalgoE3EjNS0_10empty_typeEbEEZZNS1_14partition_implILS8_3ELb0ES6_jNS0_17counting_iteratorIjlEEPS9_SE_NS0_5tupleIJPjSE_EEENSF_IJSE_SE_EEES9_SG_JZNS1_25segmented_radix_sort_implINS0_14default_configELb0EPKiPiPKlPlN2at6native12_GLOBAL__N_18offset_tEEE10hipError_tPvRmT1_PNSt15iterator_traitsISY_E10value_typeET2_T3_PNSZ_IS14_E10value_typeET4_jRbjT5_S1A_jjP12ihipStream_tbEUljE_EEESV_SW_SX_S14_S18_S1A_T6_T7_T9_mT8_S1C_bDpT10_ENKUlT_T0_E_clISt17integral_constantIbLb1EES1P_EEDaS1K_S1L_EUlS1K_E_NS1_11comp_targetILNS1_3genE0ELNS1_11target_archE4294967295ELNS1_3gpuE0ELNS1_3repE0EEENS1_30default_config_static_selectorELNS0_4arch9wavefront6targetE0EEEvSY_
; %bb.0:
	.section	.rodata,"a",@progbits
	.p2align	6, 0x0
	.amdhsa_kernel _ZN7rocprim17ROCPRIM_400000_NS6detail17trampoline_kernelINS0_13select_configILj256ELj13ELNS0_17block_load_methodE3ELS4_3ELS4_3ELNS0_20block_scan_algorithmE0ELj4294967295EEENS1_25partition_config_selectorILNS1_17partition_subalgoE3EjNS0_10empty_typeEbEEZZNS1_14partition_implILS8_3ELb0ES6_jNS0_17counting_iteratorIjlEEPS9_SE_NS0_5tupleIJPjSE_EEENSF_IJSE_SE_EEES9_SG_JZNS1_25segmented_radix_sort_implINS0_14default_configELb0EPKiPiPKlPlN2at6native12_GLOBAL__N_18offset_tEEE10hipError_tPvRmT1_PNSt15iterator_traitsISY_E10value_typeET2_T3_PNSZ_IS14_E10value_typeET4_jRbjT5_S1A_jjP12ihipStream_tbEUljE_EEESV_SW_SX_S14_S18_S1A_T6_T7_T9_mT8_S1C_bDpT10_ENKUlT_T0_E_clISt17integral_constantIbLb1EES1P_EEDaS1K_S1L_EUlS1K_E_NS1_11comp_targetILNS1_3genE0ELNS1_11target_archE4294967295ELNS1_3gpuE0ELNS1_3repE0EEENS1_30default_config_static_selectorELNS0_4arch9wavefront6targetE0EEEvSY_
		.amdhsa_group_segment_fixed_size 0
		.amdhsa_private_segment_fixed_size 0
		.amdhsa_kernarg_size 152
		.amdhsa_user_sgpr_count 2
		.amdhsa_user_sgpr_dispatch_ptr 0
		.amdhsa_user_sgpr_queue_ptr 0
		.amdhsa_user_sgpr_kernarg_segment_ptr 1
		.amdhsa_user_sgpr_dispatch_id 0
		.amdhsa_user_sgpr_private_segment_size 0
		.amdhsa_wavefront_size32 1
		.amdhsa_uses_dynamic_stack 0
		.amdhsa_enable_private_segment 0
		.amdhsa_system_sgpr_workgroup_id_x 1
		.amdhsa_system_sgpr_workgroup_id_y 0
		.amdhsa_system_sgpr_workgroup_id_z 0
		.amdhsa_system_sgpr_workgroup_info 0
		.amdhsa_system_vgpr_workitem_id 0
		.amdhsa_next_free_vgpr 1
		.amdhsa_next_free_sgpr 1
		.amdhsa_reserve_vcc 0
		.amdhsa_float_round_mode_32 0
		.amdhsa_float_round_mode_16_64 0
		.amdhsa_float_denorm_mode_32 3
		.amdhsa_float_denorm_mode_16_64 3
		.amdhsa_fp16_overflow 0
		.amdhsa_workgroup_processor_mode 1
		.amdhsa_memory_ordered 1
		.amdhsa_forward_progress 1
		.amdhsa_inst_pref_size 0
		.amdhsa_round_robin_scheduling 0
		.amdhsa_exception_fp_ieee_invalid_op 0
		.amdhsa_exception_fp_denorm_src 0
		.amdhsa_exception_fp_ieee_div_zero 0
		.amdhsa_exception_fp_ieee_overflow 0
		.amdhsa_exception_fp_ieee_underflow 0
		.amdhsa_exception_fp_ieee_inexact 0
		.amdhsa_exception_int_div_zero 0
	.end_amdhsa_kernel
	.section	.text._ZN7rocprim17ROCPRIM_400000_NS6detail17trampoline_kernelINS0_13select_configILj256ELj13ELNS0_17block_load_methodE3ELS4_3ELS4_3ELNS0_20block_scan_algorithmE0ELj4294967295EEENS1_25partition_config_selectorILNS1_17partition_subalgoE3EjNS0_10empty_typeEbEEZZNS1_14partition_implILS8_3ELb0ES6_jNS0_17counting_iteratorIjlEEPS9_SE_NS0_5tupleIJPjSE_EEENSF_IJSE_SE_EEES9_SG_JZNS1_25segmented_radix_sort_implINS0_14default_configELb0EPKiPiPKlPlN2at6native12_GLOBAL__N_18offset_tEEE10hipError_tPvRmT1_PNSt15iterator_traitsISY_E10value_typeET2_T3_PNSZ_IS14_E10value_typeET4_jRbjT5_S1A_jjP12ihipStream_tbEUljE_EEESV_SW_SX_S14_S18_S1A_T6_T7_T9_mT8_S1C_bDpT10_ENKUlT_T0_E_clISt17integral_constantIbLb1EES1P_EEDaS1K_S1L_EUlS1K_E_NS1_11comp_targetILNS1_3genE0ELNS1_11target_archE4294967295ELNS1_3gpuE0ELNS1_3repE0EEENS1_30default_config_static_selectorELNS0_4arch9wavefront6targetE0EEEvSY_,"axG",@progbits,_ZN7rocprim17ROCPRIM_400000_NS6detail17trampoline_kernelINS0_13select_configILj256ELj13ELNS0_17block_load_methodE3ELS4_3ELS4_3ELNS0_20block_scan_algorithmE0ELj4294967295EEENS1_25partition_config_selectorILNS1_17partition_subalgoE3EjNS0_10empty_typeEbEEZZNS1_14partition_implILS8_3ELb0ES6_jNS0_17counting_iteratorIjlEEPS9_SE_NS0_5tupleIJPjSE_EEENSF_IJSE_SE_EEES9_SG_JZNS1_25segmented_radix_sort_implINS0_14default_configELb0EPKiPiPKlPlN2at6native12_GLOBAL__N_18offset_tEEE10hipError_tPvRmT1_PNSt15iterator_traitsISY_E10value_typeET2_T3_PNSZ_IS14_E10value_typeET4_jRbjT5_S1A_jjP12ihipStream_tbEUljE_EEESV_SW_SX_S14_S18_S1A_T6_T7_T9_mT8_S1C_bDpT10_ENKUlT_T0_E_clISt17integral_constantIbLb1EES1P_EEDaS1K_S1L_EUlS1K_E_NS1_11comp_targetILNS1_3genE0ELNS1_11target_archE4294967295ELNS1_3gpuE0ELNS1_3repE0EEENS1_30default_config_static_selectorELNS0_4arch9wavefront6targetE0EEEvSY_,comdat
.Lfunc_end576:
	.size	_ZN7rocprim17ROCPRIM_400000_NS6detail17trampoline_kernelINS0_13select_configILj256ELj13ELNS0_17block_load_methodE3ELS4_3ELS4_3ELNS0_20block_scan_algorithmE0ELj4294967295EEENS1_25partition_config_selectorILNS1_17partition_subalgoE3EjNS0_10empty_typeEbEEZZNS1_14partition_implILS8_3ELb0ES6_jNS0_17counting_iteratorIjlEEPS9_SE_NS0_5tupleIJPjSE_EEENSF_IJSE_SE_EEES9_SG_JZNS1_25segmented_radix_sort_implINS0_14default_configELb0EPKiPiPKlPlN2at6native12_GLOBAL__N_18offset_tEEE10hipError_tPvRmT1_PNSt15iterator_traitsISY_E10value_typeET2_T3_PNSZ_IS14_E10value_typeET4_jRbjT5_S1A_jjP12ihipStream_tbEUljE_EEESV_SW_SX_S14_S18_S1A_T6_T7_T9_mT8_S1C_bDpT10_ENKUlT_T0_E_clISt17integral_constantIbLb1EES1P_EEDaS1K_S1L_EUlS1K_E_NS1_11comp_targetILNS1_3genE0ELNS1_11target_archE4294967295ELNS1_3gpuE0ELNS1_3repE0EEENS1_30default_config_static_selectorELNS0_4arch9wavefront6targetE0EEEvSY_, .Lfunc_end576-_ZN7rocprim17ROCPRIM_400000_NS6detail17trampoline_kernelINS0_13select_configILj256ELj13ELNS0_17block_load_methodE3ELS4_3ELS4_3ELNS0_20block_scan_algorithmE0ELj4294967295EEENS1_25partition_config_selectorILNS1_17partition_subalgoE3EjNS0_10empty_typeEbEEZZNS1_14partition_implILS8_3ELb0ES6_jNS0_17counting_iteratorIjlEEPS9_SE_NS0_5tupleIJPjSE_EEENSF_IJSE_SE_EEES9_SG_JZNS1_25segmented_radix_sort_implINS0_14default_configELb0EPKiPiPKlPlN2at6native12_GLOBAL__N_18offset_tEEE10hipError_tPvRmT1_PNSt15iterator_traitsISY_E10value_typeET2_T3_PNSZ_IS14_E10value_typeET4_jRbjT5_S1A_jjP12ihipStream_tbEUljE_EEESV_SW_SX_S14_S18_S1A_T6_T7_T9_mT8_S1C_bDpT10_ENKUlT_T0_E_clISt17integral_constantIbLb1EES1P_EEDaS1K_S1L_EUlS1K_E_NS1_11comp_targetILNS1_3genE0ELNS1_11target_archE4294967295ELNS1_3gpuE0ELNS1_3repE0EEENS1_30default_config_static_selectorELNS0_4arch9wavefront6targetE0EEEvSY_
                                        ; -- End function
	.set _ZN7rocprim17ROCPRIM_400000_NS6detail17trampoline_kernelINS0_13select_configILj256ELj13ELNS0_17block_load_methodE3ELS4_3ELS4_3ELNS0_20block_scan_algorithmE0ELj4294967295EEENS1_25partition_config_selectorILNS1_17partition_subalgoE3EjNS0_10empty_typeEbEEZZNS1_14partition_implILS8_3ELb0ES6_jNS0_17counting_iteratorIjlEEPS9_SE_NS0_5tupleIJPjSE_EEENSF_IJSE_SE_EEES9_SG_JZNS1_25segmented_radix_sort_implINS0_14default_configELb0EPKiPiPKlPlN2at6native12_GLOBAL__N_18offset_tEEE10hipError_tPvRmT1_PNSt15iterator_traitsISY_E10value_typeET2_T3_PNSZ_IS14_E10value_typeET4_jRbjT5_S1A_jjP12ihipStream_tbEUljE_EEESV_SW_SX_S14_S18_S1A_T6_T7_T9_mT8_S1C_bDpT10_ENKUlT_T0_E_clISt17integral_constantIbLb1EES1P_EEDaS1K_S1L_EUlS1K_E_NS1_11comp_targetILNS1_3genE0ELNS1_11target_archE4294967295ELNS1_3gpuE0ELNS1_3repE0EEENS1_30default_config_static_selectorELNS0_4arch9wavefront6targetE0EEEvSY_.num_vgpr, 0
	.set _ZN7rocprim17ROCPRIM_400000_NS6detail17trampoline_kernelINS0_13select_configILj256ELj13ELNS0_17block_load_methodE3ELS4_3ELS4_3ELNS0_20block_scan_algorithmE0ELj4294967295EEENS1_25partition_config_selectorILNS1_17partition_subalgoE3EjNS0_10empty_typeEbEEZZNS1_14partition_implILS8_3ELb0ES6_jNS0_17counting_iteratorIjlEEPS9_SE_NS0_5tupleIJPjSE_EEENSF_IJSE_SE_EEES9_SG_JZNS1_25segmented_radix_sort_implINS0_14default_configELb0EPKiPiPKlPlN2at6native12_GLOBAL__N_18offset_tEEE10hipError_tPvRmT1_PNSt15iterator_traitsISY_E10value_typeET2_T3_PNSZ_IS14_E10value_typeET4_jRbjT5_S1A_jjP12ihipStream_tbEUljE_EEESV_SW_SX_S14_S18_S1A_T6_T7_T9_mT8_S1C_bDpT10_ENKUlT_T0_E_clISt17integral_constantIbLb1EES1P_EEDaS1K_S1L_EUlS1K_E_NS1_11comp_targetILNS1_3genE0ELNS1_11target_archE4294967295ELNS1_3gpuE0ELNS1_3repE0EEENS1_30default_config_static_selectorELNS0_4arch9wavefront6targetE0EEEvSY_.num_agpr, 0
	.set _ZN7rocprim17ROCPRIM_400000_NS6detail17trampoline_kernelINS0_13select_configILj256ELj13ELNS0_17block_load_methodE3ELS4_3ELS4_3ELNS0_20block_scan_algorithmE0ELj4294967295EEENS1_25partition_config_selectorILNS1_17partition_subalgoE3EjNS0_10empty_typeEbEEZZNS1_14partition_implILS8_3ELb0ES6_jNS0_17counting_iteratorIjlEEPS9_SE_NS0_5tupleIJPjSE_EEENSF_IJSE_SE_EEES9_SG_JZNS1_25segmented_radix_sort_implINS0_14default_configELb0EPKiPiPKlPlN2at6native12_GLOBAL__N_18offset_tEEE10hipError_tPvRmT1_PNSt15iterator_traitsISY_E10value_typeET2_T3_PNSZ_IS14_E10value_typeET4_jRbjT5_S1A_jjP12ihipStream_tbEUljE_EEESV_SW_SX_S14_S18_S1A_T6_T7_T9_mT8_S1C_bDpT10_ENKUlT_T0_E_clISt17integral_constantIbLb1EES1P_EEDaS1K_S1L_EUlS1K_E_NS1_11comp_targetILNS1_3genE0ELNS1_11target_archE4294967295ELNS1_3gpuE0ELNS1_3repE0EEENS1_30default_config_static_selectorELNS0_4arch9wavefront6targetE0EEEvSY_.numbered_sgpr, 0
	.set _ZN7rocprim17ROCPRIM_400000_NS6detail17trampoline_kernelINS0_13select_configILj256ELj13ELNS0_17block_load_methodE3ELS4_3ELS4_3ELNS0_20block_scan_algorithmE0ELj4294967295EEENS1_25partition_config_selectorILNS1_17partition_subalgoE3EjNS0_10empty_typeEbEEZZNS1_14partition_implILS8_3ELb0ES6_jNS0_17counting_iteratorIjlEEPS9_SE_NS0_5tupleIJPjSE_EEENSF_IJSE_SE_EEES9_SG_JZNS1_25segmented_radix_sort_implINS0_14default_configELb0EPKiPiPKlPlN2at6native12_GLOBAL__N_18offset_tEEE10hipError_tPvRmT1_PNSt15iterator_traitsISY_E10value_typeET2_T3_PNSZ_IS14_E10value_typeET4_jRbjT5_S1A_jjP12ihipStream_tbEUljE_EEESV_SW_SX_S14_S18_S1A_T6_T7_T9_mT8_S1C_bDpT10_ENKUlT_T0_E_clISt17integral_constantIbLb1EES1P_EEDaS1K_S1L_EUlS1K_E_NS1_11comp_targetILNS1_3genE0ELNS1_11target_archE4294967295ELNS1_3gpuE0ELNS1_3repE0EEENS1_30default_config_static_selectorELNS0_4arch9wavefront6targetE0EEEvSY_.num_named_barrier, 0
	.set _ZN7rocprim17ROCPRIM_400000_NS6detail17trampoline_kernelINS0_13select_configILj256ELj13ELNS0_17block_load_methodE3ELS4_3ELS4_3ELNS0_20block_scan_algorithmE0ELj4294967295EEENS1_25partition_config_selectorILNS1_17partition_subalgoE3EjNS0_10empty_typeEbEEZZNS1_14partition_implILS8_3ELb0ES6_jNS0_17counting_iteratorIjlEEPS9_SE_NS0_5tupleIJPjSE_EEENSF_IJSE_SE_EEES9_SG_JZNS1_25segmented_radix_sort_implINS0_14default_configELb0EPKiPiPKlPlN2at6native12_GLOBAL__N_18offset_tEEE10hipError_tPvRmT1_PNSt15iterator_traitsISY_E10value_typeET2_T3_PNSZ_IS14_E10value_typeET4_jRbjT5_S1A_jjP12ihipStream_tbEUljE_EEESV_SW_SX_S14_S18_S1A_T6_T7_T9_mT8_S1C_bDpT10_ENKUlT_T0_E_clISt17integral_constantIbLb1EES1P_EEDaS1K_S1L_EUlS1K_E_NS1_11comp_targetILNS1_3genE0ELNS1_11target_archE4294967295ELNS1_3gpuE0ELNS1_3repE0EEENS1_30default_config_static_selectorELNS0_4arch9wavefront6targetE0EEEvSY_.private_seg_size, 0
	.set _ZN7rocprim17ROCPRIM_400000_NS6detail17trampoline_kernelINS0_13select_configILj256ELj13ELNS0_17block_load_methodE3ELS4_3ELS4_3ELNS0_20block_scan_algorithmE0ELj4294967295EEENS1_25partition_config_selectorILNS1_17partition_subalgoE3EjNS0_10empty_typeEbEEZZNS1_14partition_implILS8_3ELb0ES6_jNS0_17counting_iteratorIjlEEPS9_SE_NS0_5tupleIJPjSE_EEENSF_IJSE_SE_EEES9_SG_JZNS1_25segmented_radix_sort_implINS0_14default_configELb0EPKiPiPKlPlN2at6native12_GLOBAL__N_18offset_tEEE10hipError_tPvRmT1_PNSt15iterator_traitsISY_E10value_typeET2_T3_PNSZ_IS14_E10value_typeET4_jRbjT5_S1A_jjP12ihipStream_tbEUljE_EEESV_SW_SX_S14_S18_S1A_T6_T7_T9_mT8_S1C_bDpT10_ENKUlT_T0_E_clISt17integral_constantIbLb1EES1P_EEDaS1K_S1L_EUlS1K_E_NS1_11comp_targetILNS1_3genE0ELNS1_11target_archE4294967295ELNS1_3gpuE0ELNS1_3repE0EEENS1_30default_config_static_selectorELNS0_4arch9wavefront6targetE0EEEvSY_.uses_vcc, 0
	.set _ZN7rocprim17ROCPRIM_400000_NS6detail17trampoline_kernelINS0_13select_configILj256ELj13ELNS0_17block_load_methodE3ELS4_3ELS4_3ELNS0_20block_scan_algorithmE0ELj4294967295EEENS1_25partition_config_selectorILNS1_17partition_subalgoE3EjNS0_10empty_typeEbEEZZNS1_14partition_implILS8_3ELb0ES6_jNS0_17counting_iteratorIjlEEPS9_SE_NS0_5tupleIJPjSE_EEENSF_IJSE_SE_EEES9_SG_JZNS1_25segmented_radix_sort_implINS0_14default_configELb0EPKiPiPKlPlN2at6native12_GLOBAL__N_18offset_tEEE10hipError_tPvRmT1_PNSt15iterator_traitsISY_E10value_typeET2_T3_PNSZ_IS14_E10value_typeET4_jRbjT5_S1A_jjP12ihipStream_tbEUljE_EEESV_SW_SX_S14_S18_S1A_T6_T7_T9_mT8_S1C_bDpT10_ENKUlT_T0_E_clISt17integral_constantIbLb1EES1P_EEDaS1K_S1L_EUlS1K_E_NS1_11comp_targetILNS1_3genE0ELNS1_11target_archE4294967295ELNS1_3gpuE0ELNS1_3repE0EEENS1_30default_config_static_selectorELNS0_4arch9wavefront6targetE0EEEvSY_.uses_flat_scratch, 0
	.set _ZN7rocprim17ROCPRIM_400000_NS6detail17trampoline_kernelINS0_13select_configILj256ELj13ELNS0_17block_load_methodE3ELS4_3ELS4_3ELNS0_20block_scan_algorithmE0ELj4294967295EEENS1_25partition_config_selectorILNS1_17partition_subalgoE3EjNS0_10empty_typeEbEEZZNS1_14partition_implILS8_3ELb0ES6_jNS0_17counting_iteratorIjlEEPS9_SE_NS0_5tupleIJPjSE_EEENSF_IJSE_SE_EEES9_SG_JZNS1_25segmented_radix_sort_implINS0_14default_configELb0EPKiPiPKlPlN2at6native12_GLOBAL__N_18offset_tEEE10hipError_tPvRmT1_PNSt15iterator_traitsISY_E10value_typeET2_T3_PNSZ_IS14_E10value_typeET4_jRbjT5_S1A_jjP12ihipStream_tbEUljE_EEESV_SW_SX_S14_S18_S1A_T6_T7_T9_mT8_S1C_bDpT10_ENKUlT_T0_E_clISt17integral_constantIbLb1EES1P_EEDaS1K_S1L_EUlS1K_E_NS1_11comp_targetILNS1_3genE0ELNS1_11target_archE4294967295ELNS1_3gpuE0ELNS1_3repE0EEENS1_30default_config_static_selectorELNS0_4arch9wavefront6targetE0EEEvSY_.has_dyn_sized_stack, 0
	.set _ZN7rocprim17ROCPRIM_400000_NS6detail17trampoline_kernelINS0_13select_configILj256ELj13ELNS0_17block_load_methodE3ELS4_3ELS4_3ELNS0_20block_scan_algorithmE0ELj4294967295EEENS1_25partition_config_selectorILNS1_17partition_subalgoE3EjNS0_10empty_typeEbEEZZNS1_14partition_implILS8_3ELb0ES6_jNS0_17counting_iteratorIjlEEPS9_SE_NS0_5tupleIJPjSE_EEENSF_IJSE_SE_EEES9_SG_JZNS1_25segmented_radix_sort_implINS0_14default_configELb0EPKiPiPKlPlN2at6native12_GLOBAL__N_18offset_tEEE10hipError_tPvRmT1_PNSt15iterator_traitsISY_E10value_typeET2_T3_PNSZ_IS14_E10value_typeET4_jRbjT5_S1A_jjP12ihipStream_tbEUljE_EEESV_SW_SX_S14_S18_S1A_T6_T7_T9_mT8_S1C_bDpT10_ENKUlT_T0_E_clISt17integral_constantIbLb1EES1P_EEDaS1K_S1L_EUlS1K_E_NS1_11comp_targetILNS1_3genE0ELNS1_11target_archE4294967295ELNS1_3gpuE0ELNS1_3repE0EEENS1_30default_config_static_selectorELNS0_4arch9wavefront6targetE0EEEvSY_.has_recursion, 0
	.set _ZN7rocprim17ROCPRIM_400000_NS6detail17trampoline_kernelINS0_13select_configILj256ELj13ELNS0_17block_load_methodE3ELS4_3ELS4_3ELNS0_20block_scan_algorithmE0ELj4294967295EEENS1_25partition_config_selectorILNS1_17partition_subalgoE3EjNS0_10empty_typeEbEEZZNS1_14partition_implILS8_3ELb0ES6_jNS0_17counting_iteratorIjlEEPS9_SE_NS0_5tupleIJPjSE_EEENSF_IJSE_SE_EEES9_SG_JZNS1_25segmented_radix_sort_implINS0_14default_configELb0EPKiPiPKlPlN2at6native12_GLOBAL__N_18offset_tEEE10hipError_tPvRmT1_PNSt15iterator_traitsISY_E10value_typeET2_T3_PNSZ_IS14_E10value_typeET4_jRbjT5_S1A_jjP12ihipStream_tbEUljE_EEESV_SW_SX_S14_S18_S1A_T6_T7_T9_mT8_S1C_bDpT10_ENKUlT_T0_E_clISt17integral_constantIbLb1EES1P_EEDaS1K_S1L_EUlS1K_E_NS1_11comp_targetILNS1_3genE0ELNS1_11target_archE4294967295ELNS1_3gpuE0ELNS1_3repE0EEENS1_30default_config_static_selectorELNS0_4arch9wavefront6targetE0EEEvSY_.has_indirect_call, 0
	.section	.AMDGPU.csdata,"",@progbits
; Kernel info:
; codeLenInByte = 0
; TotalNumSgprs: 0
; NumVgprs: 0
; ScratchSize: 0
; MemoryBound: 0
; FloatMode: 240
; IeeeMode: 1
; LDSByteSize: 0 bytes/workgroup (compile time only)
; SGPRBlocks: 0
; VGPRBlocks: 0
; NumSGPRsForWavesPerEU: 1
; NumVGPRsForWavesPerEU: 1
; Occupancy: 16
; WaveLimiterHint : 0
; COMPUTE_PGM_RSRC2:SCRATCH_EN: 0
; COMPUTE_PGM_RSRC2:USER_SGPR: 2
; COMPUTE_PGM_RSRC2:TRAP_HANDLER: 0
; COMPUTE_PGM_RSRC2:TGID_X_EN: 1
; COMPUTE_PGM_RSRC2:TGID_Y_EN: 0
; COMPUTE_PGM_RSRC2:TGID_Z_EN: 0
; COMPUTE_PGM_RSRC2:TIDIG_COMP_CNT: 0
	.section	.text._ZN7rocprim17ROCPRIM_400000_NS6detail17trampoline_kernelINS0_13select_configILj256ELj13ELNS0_17block_load_methodE3ELS4_3ELS4_3ELNS0_20block_scan_algorithmE0ELj4294967295EEENS1_25partition_config_selectorILNS1_17partition_subalgoE3EjNS0_10empty_typeEbEEZZNS1_14partition_implILS8_3ELb0ES6_jNS0_17counting_iteratorIjlEEPS9_SE_NS0_5tupleIJPjSE_EEENSF_IJSE_SE_EEES9_SG_JZNS1_25segmented_radix_sort_implINS0_14default_configELb0EPKiPiPKlPlN2at6native12_GLOBAL__N_18offset_tEEE10hipError_tPvRmT1_PNSt15iterator_traitsISY_E10value_typeET2_T3_PNSZ_IS14_E10value_typeET4_jRbjT5_S1A_jjP12ihipStream_tbEUljE_EEESV_SW_SX_S14_S18_S1A_T6_T7_T9_mT8_S1C_bDpT10_ENKUlT_T0_E_clISt17integral_constantIbLb1EES1P_EEDaS1K_S1L_EUlS1K_E_NS1_11comp_targetILNS1_3genE5ELNS1_11target_archE942ELNS1_3gpuE9ELNS1_3repE0EEENS1_30default_config_static_selectorELNS0_4arch9wavefront6targetE0EEEvSY_,"axG",@progbits,_ZN7rocprim17ROCPRIM_400000_NS6detail17trampoline_kernelINS0_13select_configILj256ELj13ELNS0_17block_load_methodE3ELS4_3ELS4_3ELNS0_20block_scan_algorithmE0ELj4294967295EEENS1_25partition_config_selectorILNS1_17partition_subalgoE3EjNS0_10empty_typeEbEEZZNS1_14partition_implILS8_3ELb0ES6_jNS0_17counting_iteratorIjlEEPS9_SE_NS0_5tupleIJPjSE_EEENSF_IJSE_SE_EEES9_SG_JZNS1_25segmented_radix_sort_implINS0_14default_configELb0EPKiPiPKlPlN2at6native12_GLOBAL__N_18offset_tEEE10hipError_tPvRmT1_PNSt15iterator_traitsISY_E10value_typeET2_T3_PNSZ_IS14_E10value_typeET4_jRbjT5_S1A_jjP12ihipStream_tbEUljE_EEESV_SW_SX_S14_S18_S1A_T6_T7_T9_mT8_S1C_bDpT10_ENKUlT_T0_E_clISt17integral_constantIbLb1EES1P_EEDaS1K_S1L_EUlS1K_E_NS1_11comp_targetILNS1_3genE5ELNS1_11target_archE942ELNS1_3gpuE9ELNS1_3repE0EEENS1_30default_config_static_selectorELNS0_4arch9wavefront6targetE0EEEvSY_,comdat
	.globl	_ZN7rocprim17ROCPRIM_400000_NS6detail17trampoline_kernelINS0_13select_configILj256ELj13ELNS0_17block_load_methodE3ELS4_3ELS4_3ELNS0_20block_scan_algorithmE0ELj4294967295EEENS1_25partition_config_selectorILNS1_17partition_subalgoE3EjNS0_10empty_typeEbEEZZNS1_14partition_implILS8_3ELb0ES6_jNS0_17counting_iteratorIjlEEPS9_SE_NS0_5tupleIJPjSE_EEENSF_IJSE_SE_EEES9_SG_JZNS1_25segmented_radix_sort_implINS0_14default_configELb0EPKiPiPKlPlN2at6native12_GLOBAL__N_18offset_tEEE10hipError_tPvRmT1_PNSt15iterator_traitsISY_E10value_typeET2_T3_PNSZ_IS14_E10value_typeET4_jRbjT5_S1A_jjP12ihipStream_tbEUljE_EEESV_SW_SX_S14_S18_S1A_T6_T7_T9_mT8_S1C_bDpT10_ENKUlT_T0_E_clISt17integral_constantIbLb1EES1P_EEDaS1K_S1L_EUlS1K_E_NS1_11comp_targetILNS1_3genE5ELNS1_11target_archE942ELNS1_3gpuE9ELNS1_3repE0EEENS1_30default_config_static_selectorELNS0_4arch9wavefront6targetE0EEEvSY_ ; -- Begin function _ZN7rocprim17ROCPRIM_400000_NS6detail17trampoline_kernelINS0_13select_configILj256ELj13ELNS0_17block_load_methodE3ELS4_3ELS4_3ELNS0_20block_scan_algorithmE0ELj4294967295EEENS1_25partition_config_selectorILNS1_17partition_subalgoE3EjNS0_10empty_typeEbEEZZNS1_14partition_implILS8_3ELb0ES6_jNS0_17counting_iteratorIjlEEPS9_SE_NS0_5tupleIJPjSE_EEENSF_IJSE_SE_EEES9_SG_JZNS1_25segmented_radix_sort_implINS0_14default_configELb0EPKiPiPKlPlN2at6native12_GLOBAL__N_18offset_tEEE10hipError_tPvRmT1_PNSt15iterator_traitsISY_E10value_typeET2_T3_PNSZ_IS14_E10value_typeET4_jRbjT5_S1A_jjP12ihipStream_tbEUljE_EEESV_SW_SX_S14_S18_S1A_T6_T7_T9_mT8_S1C_bDpT10_ENKUlT_T0_E_clISt17integral_constantIbLb1EES1P_EEDaS1K_S1L_EUlS1K_E_NS1_11comp_targetILNS1_3genE5ELNS1_11target_archE942ELNS1_3gpuE9ELNS1_3repE0EEENS1_30default_config_static_selectorELNS0_4arch9wavefront6targetE0EEEvSY_
	.p2align	8
	.type	_ZN7rocprim17ROCPRIM_400000_NS6detail17trampoline_kernelINS0_13select_configILj256ELj13ELNS0_17block_load_methodE3ELS4_3ELS4_3ELNS0_20block_scan_algorithmE0ELj4294967295EEENS1_25partition_config_selectorILNS1_17partition_subalgoE3EjNS0_10empty_typeEbEEZZNS1_14partition_implILS8_3ELb0ES6_jNS0_17counting_iteratorIjlEEPS9_SE_NS0_5tupleIJPjSE_EEENSF_IJSE_SE_EEES9_SG_JZNS1_25segmented_radix_sort_implINS0_14default_configELb0EPKiPiPKlPlN2at6native12_GLOBAL__N_18offset_tEEE10hipError_tPvRmT1_PNSt15iterator_traitsISY_E10value_typeET2_T3_PNSZ_IS14_E10value_typeET4_jRbjT5_S1A_jjP12ihipStream_tbEUljE_EEESV_SW_SX_S14_S18_S1A_T6_T7_T9_mT8_S1C_bDpT10_ENKUlT_T0_E_clISt17integral_constantIbLb1EES1P_EEDaS1K_S1L_EUlS1K_E_NS1_11comp_targetILNS1_3genE5ELNS1_11target_archE942ELNS1_3gpuE9ELNS1_3repE0EEENS1_30default_config_static_selectorELNS0_4arch9wavefront6targetE0EEEvSY_,@function
_ZN7rocprim17ROCPRIM_400000_NS6detail17trampoline_kernelINS0_13select_configILj256ELj13ELNS0_17block_load_methodE3ELS4_3ELS4_3ELNS0_20block_scan_algorithmE0ELj4294967295EEENS1_25partition_config_selectorILNS1_17partition_subalgoE3EjNS0_10empty_typeEbEEZZNS1_14partition_implILS8_3ELb0ES6_jNS0_17counting_iteratorIjlEEPS9_SE_NS0_5tupleIJPjSE_EEENSF_IJSE_SE_EEES9_SG_JZNS1_25segmented_radix_sort_implINS0_14default_configELb0EPKiPiPKlPlN2at6native12_GLOBAL__N_18offset_tEEE10hipError_tPvRmT1_PNSt15iterator_traitsISY_E10value_typeET2_T3_PNSZ_IS14_E10value_typeET4_jRbjT5_S1A_jjP12ihipStream_tbEUljE_EEESV_SW_SX_S14_S18_S1A_T6_T7_T9_mT8_S1C_bDpT10_ENKUlT_T0_E_clISt17integral_constantIbLb1EES1P_EEDaS1K_S1L_EUlS1K_E_NS1_11comp_targetILNS1_3genE5ELNS1_11target_archE942ELNS1_3gpuE9ELNS1_3repE0EEENS1_30default_config_static_selectorELNS0_4arch9wavefront6targetE0EEEvSY_: ; @_ZN7rocprim17ROCPRIM_400000_NS6detail17trampoline_kernelINS0_13select_configILj256ELj13ELNS0_17block_load_methodE3ELS4_3ELS4_3ELNS0_20block_scan_algorithmE0ELj4294967295EEENS1_25partition_config_selectorILNS1_17partition_subalgoE3EjNS0_10empty_typeEbEEZZNS1_14partition_implILS8_3ELb0ES6_jNS0_17counting_iteratorIjlEEPS9_SE_NS0_5tupleIJPjSE_EEENSF_IJSE_SE_EEES9_SG_JZNS1_25segmented_radix_sort_implINS0_14default_configELb0EPKiPiPKlPlN2at6native12_GLOBAL__N_18offset_tEEE10hipError_tPvRmT1_PNSt15iterator_traitsISY_E10value_typeET2_T3_PNSZ_IS14_E10value_typeET4_jRbjT5_S1A_jjP12ihipStream_tbEUljE_EEESV_SW_SX_S14_S18_S1A_T6_T7_T9_mT8_S1C_bDpT10_ENKUlT_T0_E_clISt17integral_constantIbLb1EES1P_EEDaS1K_S1L_EUlS1K_E_NS1_11comp_targetILNS1_3genE5ELNS1_11target_archE942ELNS1_3gpuE9ELNS1_3repE0EEENS1_30default_config_static_selectorELNS0_4arch9wavefront6targetE0EEEvSY_
; %bb.0:
	.section	.rodata,"a",@progbits
	.p2align	6, 0x0
	.amdhsa_kernel _ZN7rocprim17ROCPRIM_400000_NS6detail17trampoline_kernelINS0_13select_configILj256ELj13ELNS0_17block_load_methodE3ELS4_3ELS4_3ELNS0_20block_scan_algorithmE0ELj4294967295EEENS1_25partition_config_selectorILNS1_17partition_subalgoE3EjNS0_10empty_typeEbEEZZNS1_14partition_implILS8_3ELb0ES6_jNS0_17counting_iteratorIjlEEPS9_SE_NS0_5tupleIJPjSE_EEENSF_IJSE_SE_EEES9_SG_JZNS1_25segmented_radix_sort_implINS0_14default_configELb0EPKiPiPKlPlN2at6native12_GLOBAL__N_18offset_tEEE10hipError_tPvRmT1_PNSt15iterator_traitsISY_E10value_typeET2_T3_PNSZ_IS14_E10value_typeET4_jRbjT5_S1A_jjP12ihipStream_tbEUljE_EEESV_SW_SX_S14_S18_S1A_T6_T7_T9_mT8_S1C_bDpT10_ENKUlT_T0_E_clISt17integral_constantIbLb1EES1P_EEDaS1K_S1L_EUlS1K_E_NS1_11comp_targetILNS1_3genE5ELNS1_11target_archE942ELNS1_3gpuE9ELNS1_3repE0EEENS1_30default_config_static_selectorELNS0_4arch9wavefront6targetE0EEEvSY_
		.amdhsa_group_segment_fixed_size 0
		.amdhsa_private_segment_fixed_size 0
		.amdhsa_kernarg_size 152
		.amdhsa_user_sgpr_count 2
		.amdhsa_user_sgpr_dispatch_ptr 0
		.amdhsa_user_sgpr_queue_ptr 0
		.amdhsa_user_sgpr_kernarg_segment_ptr 1
		.amdhsa_user_sgpr_dispatch_id 0
		.amdhsa_user_sgpr_private_segment_size 0
		.amdhsa_wavefront_size32 1
		.amdhsa_uses_dynamic_stack 0
		.amdhsa_enable_private_segment 0
		.amdhsa_system_sgpr_workgroup_id_x 1
		.amdhsa_system_sgpr_workgroup_id_y 0
		.amdhsa_system_sgpr_workgroup_id_z 0
		.amdhsa_system_sgpr_workgroup_info 0
		.amdhsa_system_vgpr_workitem_id 0
		.amdhsa_next_free_vgpr 1
		.amdhsa_next_free_sgpr 1
		.amdhsa_reserve_vcc 0
		.amdhsa_float_round_mode_32 0
		.amdhsa_float_round_mode_16_64 0
		.amdhsa_float_denorm_mode_32 3
		.amdhsa_float_denorm_mode_16_64 3
		.amdhsa_fp16_overflow 0
		.amdhsa_workgroup_processor_mode 1
		.amdhsa_memory_ordered 1
		.amdhsa_forward_progress 1
		.amdhsa_inst_pref_size 0
		.amdhsa_round_robin_scheduling 0
		.amdhsa_exception_fp_ieee_invalid_op 0
		.amdhsa_exception_fp_denorm_src 0
		.amdhsa_exception_fp_ieee_div_zero 0
		.amdhsa_exception_fp_ieee_overflow 0
		.amdhsa_exception_fp_ieee_underflow 0
		.amdhsa_exception_fp_ieee_inexact 0
		.amdhsa_exception_int_div_zero 0
	.end_amdhsa_kernel
	.section	.text._ZN7rocprim17ROCPRIM_400000_NS6detail17trampoline_kernelINS0_13select_configILj256ELj13ELNS0_17block_load_methodE3ELS4_3ELS4_3ELNS0_20block_scan_algorithmE0ELj4294967295EEENS1_25partition_config_selectorILNS1_17partition_subalgoE3EjNS0_10empty_typeEbEEZZNS1_14partition_implILS8_3ELb0ES6_jNS0_17counting_iteratorIjlEEPS9_SE_NS0_5tupleIJPjSE_EEENSF_IJSE_SE_EEES9_SG_JZNS1_25segmented_radix_sort_implINS0_14default_configELb0EPKiPiPKlPlN2at6native12_GLOBAL__N_18offset_tEEE10hipError_tPvRmT1_PNSt15iterator_traitsISY_E10value_typeET2_T3_PNSZ_IS14_E10value_typeET4_jRbjT5_S1A_jjP12ihipStream_tbEUljE_EEESV_SW_SX_S14_S18_S1A_T6_T7_T9_mT8_S1C_bDpT10_ENKUlT_T0_E_clISt17integral_constantIbLb1EES1P_EEDaS1K_S1L_EUlS1K_E_NS1_11comp_targetILNS1_3genE5ELNS1_11target_archE942ELNS1_3gpuE9ELNS1_3repE0EEENS1_30default_config_static_selectorELNS0_4arch9wavefront6targetE0EEEvSY_,"axG",@progbits,_ZN7rocprim17ROCPRIM_400000_NS6detail17trampoline_kernelINS0_13select_configILj256ELj13ELNS0_17block_load_methodE3ELS4_3ELS4_3ELNS0_20block_scan_algorithmE0ELj4294967295EEENS1_25partition_config_selectorILNS1_17partition_subalgoE3EjNS0_10empty_typeEbEEZZNS1_14partition_implILS8_3ELb0ES6_jNS0_17counting_iteratorIjlEEPS9_SE_NS0_5tupleIJPjSE_EEENSF_IJSE_SE_EEES9_SG_JZNS1_25segmented_radix_sort_implINS0_14default_configELb0EPKiPiPKlPlN2at6native12_GLOBAL__N_18offset_tEEE10hipError_tPvRmT1_PNSt15iterator_traitsISY_E10value_typeET2_T3_PNSZ_IS14_E10value_typeET4_jRbjT5_S1A_jjP12ihipStream_tbEUljE_EEESV_SW_SX_S14_S18_S1A_T6_T7_T9_mT8_S1C_bDpT10_ENKUlT_T0_E_clISt17integral_constantIbLb1EES1P_EEDaS1K_S1L_EUlS1K_E_NS1_11comp_targetILNS1_3genE5ELNS1_11target_archE942ELNS1_3gpuE9ELNS1_3repE0EEENS1_30default_config_static_selectorELNS0_4arch9wavefront6targetE0EEEvSY_,comdat
.Lfunc_end577:
	.size	_ZN7rocprim17ROCPRIM_400000_NS6detail17trampoline_kernelINS0_13select_configILj256ELj13ELNS0_17block_load_methodE3ELS4_3ELS4_3ELNS0_20block_scan_algorithmE0ELj4294967295EEENS1_25partition_config_selectorILNS1_17partition_subalgoE3EjNS0_10empty_typeEbEEZZNS1_14partition_implILS8_3ELb0ES6_jNS0_17counting_iteratorIjlEEPS9_SE_NS0_5tupleIJPjSE_EEENSF_IJSE_SE_EEES9_SG_JZNS1_25segmented_radix_sort_implINS0_14default_configELb0EPKiPiPKlPlN2at6native12_GLOBAL__N_18offset_tEEE10hipError_tPvRmT1_PNSt15iterator_traitsISY_E10value_typeET2_T3_PNSZ_IS14_E10value_typeET4_jRbjT5_S1A_jjP12ihipStream_tbEUljE_EEESV_SW_SX_S14_S18_S1A_T6_T7_T9_mT8_S1C_bDpT10_ENKUlT_T0_E_clISt17integral_constantIbLb1EES1P_EEDaS1K_S1L_EUlS1K_E_NS1_11comp_targetILNS1_3genE5ELNS1_11target_archE942ELNS1_3gpuE9ELNS1_3repE0EEENS1_30default_config_static_selectorELNS0_4arch9wavefront6targetE0EEEvSY_, .Lfunc_end577-_ZN7rocprim17ROCPRIM_400000_NS6detail17trampoline_kernelINS0_13select_configILj256ELj13ELNS0_17block_load_methodE3ELS4_3ELS4_3ELNS0_20block_scan_algorithmE0ELj4294967295EEENS1_25partition_config_selectorILNS1_17partition_subalgoE3EjNS0_10empty_typeEbEEZZNS1_14partition_implILS8_3ELb0ES6_jNS0_17counting_iteratorIjlEEPS9_SE_NS0_5tupleIJPjSE_EEENSF_IJSE_SE_EEES9_SG_JZNS1_25segmented_radix_sort_implINS0_14default_configELb0EPKiPiPKlPlN2at6native12_GLOBAL__N_18offset_tEEE10hipError_tPvRmT1_PNSt15iterator_traitsISY_E10value_typeET2_T3_PNSZ_IS14_E10value_typeET4_jRbjT5_S1A_jjP12ihipStream_tbEUljE_EEESV_SW_SX_S14_S18_S1A_T6_T7_T9_mT8_S1C_bDpT10_ENKUlT_T0_E_clISt17integral_constantIbLb1EES1P_EEDaS1K_S1L_EUlS1K_E_NS1_11comp_targetILNS1_3genE5ELNS1_11target_archE942ELNS1_3gpuE9ELNS1_3repE0EEENS1_30default_config_static_selectorELNS0_4arch9wavefront6targetE0EEEvSY_
                                        ; -- End function
	.set _ZN7rocprim17ROCPRIM_400000_NS6detail17trampoline_kernelINS0_13select_configILj256ELj13ELNS0_17block_load_methodE3ELS4_3ELS4_3ELNS0_20block_scan_algorithmE0ELj4294967295EEENS1_25partition_config_selectorILNS1_17partition_subalgoE3EjNS0_10empty_typeEbEEZZNS1_14partition_implILS8_3ELb0ES6_jNS0_17counting_iteratorIjlEEPS9_SE_NS0_5tupleIJPjSE_EEENSF_IJSE_SE_EEES9_SG_JZNS1_25segmented_radix_sort_implINS0_14default_configELb0EPKiPiPKlPlN2at6native12_GLOBAL__N_18offset_tEEE10hipError_tPvRmT1_PNSt15iterator_traitsISY_E10value_typeET2_T3_PNSZ_IS14_E10value_typeET4_jRbjT5_S1A_jjP12ihipStream_tbEUljE_EEESV_SW_SX_S14_S18_S1A_T6_T7_T9_mT8_S1C_bDpT10_ENKUlT_T0_E_clISt17integral_constantIbLb1EES1P_EEDaS1K_S1L_EUlS1K_E_NS1_11comp_targetILNS1_3genE5ELNS1_11target_archE942ELNS1_3gpuE9ELNS1_3repE0EEENS1_30default_config_static_selectorELNS0_4arch9wavefront6targetE0EEEvSY_.num_vgpr, 0
	.set _ZN7rocprim17ROCPRIM_400000_NS6detail17trampoline_kernelINS0_13select_configILj256ELj13ELNS0_17block_load_methodE3ELS4_3ELS4_3ELNS0_20block_scan_algorithmE0ELj4294967295EEENS1_25partition_config_selectorILNS1_17partition_subalgoE3EjNS0_10empty_typeEbEEZZNS1_14partition_implILS8_3ELb0ES6_jNS0_17counting_iteratorIjlEEPS9_SE_NS0_5tupleIJPjSE_EEENSF_IJSE_SE_EEES9_SG_JZNS1_25segmented_radix_sort_implINS0_14default_configELb0EPKiPiPKlPlN2at6native12_GLOBAL__N_18offset_tEEE10hipError_tPvRmT1_PNSt15iterator_traitsISY_E10value_typeET2_T3_PNSZ_IS14_E10value_typeET4_jRbjT5_S1A_jjP12ihipStream_tbEUljE_EEESV_SW_SX_S14_S18_S1A_T6_T7_T9_mT8_S1C_bDpT10_ENKUlT_T0_E_clISt17integral_constantIbLb1EES1P_EEDaS1K_S1L_EUlS1K_E_NS1_11comp_targetILNS1_3genE5ELNS1_11target_archE942ELNS1_3gpuE9ELNS1_3repE0EEENS1_30default_config_static_selectorELNS0_4arch9wavefront6targetE0EEEvSY_.num_agpr, 0
	.set _ZN7rocprim17ROCPRIM_400000_NS6detail17trampoline_kernelINS0_13select_configILj256ELj13ELNS0_17block_load_methodE3ELS4_3ELS4_3ELNS0_20block_scan_algorithmE0ELj4294967295EEENS1_25partition_config_selectorILNS1_17partition_subalgoE3EjNS0_10empty_typeEbEEZZNS1_14partition_implILS8_3ELb0ES6_jNS0_17counting_iteratorIjlEEPS9_SE_NS0_5tupleIJPjSE_EEENSF_IJSE_SE_EEES9_SG_JZNS1_25segmented_radix_sort_implINS0_14default_configELb0EPKiPiPKlPlN2at6native12_GLOBAL__N_18offset_tEEE10hipError_tPvRmT1_PNSt15iterator_traitsISY_E10value_typeET2_T3_PNSZ_IS14_E10value_typeET4_jRbjT5_S1A_jjP12ihipStream_tbEUljE_EEESV_SW_SX_S14_S18_S1A_T6_T7_T9_mT8_S1C_bDpT10_ENKUlT_T0_E_clISt17integral_constantIbLb1EES1P_EEDaS1K_S1L_EUlS1K_E_NS1_11comp_targetILNS1_3genE5ELNS1_11target_archE942ELNS1_3gpuE9ELNS1_3repE0EEENS1_30default_config_static_selectorELNS0_4arch9wavefront6targetE0EEEvSY_.numbered_sgpr, 0
	.set _ZN7rocprim17ROCPRIM_400000_NS6detail17trampoline_kernelINS0_13select_configILj256ELj13ELNS0_17block_load_methodE3ELS4_3ELS4_3ELNS0_20block_scan_algorithmE0ELj4294967295EEENS1_25partition_config_selectorILNS1_17partition_subalgoE3EjNS0_10empty_typeEbEEZZNS1_14partition_implILS8_3ELb0ES6_jNS0_17counting_iteratorIjlEEPS9_SE_NS0_5tupleIJPjSE_EEENSF_IJSE_SE_EEES9_SG_JZNS1_25segmented_radix_sort_implINS0_14default_configELb0EPKiPiPKlPlN2at6native12_GLOBAL__N_18offset_tEEE10hipError_tPvRmT1_PNSt15iterator_traitsISY_E10value_typeET2_T3_PNSZ_IS14_E10value_typeET4_jRbjT5_S1A_jjP12ihipStream_tbEUljE_EEESV_SW_SX_S14_S18_S1A_T6_T7_T9_mT8_S1C_bDpT10_ENKUlT_T0_E_clISt17integral_constantIbLb1EES1P_EEDaS1K_S1L_EUlS1K_E_NS1_11comp_targetILNS1_3genE5ELNS1_11target_archE942ELNS1_3gpuE9ELNS1_3repE0EEENS1_30default_config_static_selectorELNS0_4arch9wavefront6targetE0EEEvSY_.num_named_barrier, 0
	.set _ZN7rocprim17ROCPRIM_400000_NS6detail17trampoline_kernelINS0_13select_configILj256ELj13ELNS0_17block_load_methodE3ELS4_3ELS4_3ELNS0_20block_scan_algorithmE0ELj4294967295EEENS1_25partition_config_selectorILNS1_17partition_subalgoE3EjNS0_10empty_typeEbEEZZNS1_14partition_implILS8_3ELb0ES6_jNS0_17counting_iteratorIjlEEPS9_SE_NS0_5tupleIJPjSE_EEENSF_IJSE_SE_EEES9_SG_JZNS1_25segmented_radix_sort_implINS0_14default_configELb0EPKiPiPKlPlN2at6native12_GLOBAL__N_18offset_tEEE10hipError_tPvRmT1_PNSt15iterator_traitsISY_E10value_typeET2_T3_PNSZ_IS14_E10value_typeET4_jRbjT5_S1A_jjP12ihipStream_tbEUljE_EEESV_SW_SX_S14_S18_S1A_T6_T7_T9_mT8_S1C_bDpT10_ENKUlT_T0_E_clISt17integral_constantIbLb1EES1P_EEDaS1K_S1L_EUlS1K_E_NS1_11comp_targetILNS1_3genE5ELNS1_11target_archE942ELNS1_3gpuE9ELNS1_3repE0EEENS1_30default_config_static_selectorELNS0_4arch9wavefront6targetE0EEEvSY_.private_seg_size, 0
	.set _ZN7rocprim17ROCPRIM_400000_NS6detail17trampoline_kernelINS0_13select_configILj256ELj13ELNS0_17block_load_methodE3ELS4_3ELS4_3ELNS0_20block_scan_algorithmE0ELj4294967295EEENS1_25partition_config_selectorILNS1_17partition_subalgoE3EjNS0_10empty_typeEbEEZZNS1_14partition_implILS8_3ELb0ES6_jNS0_17counting_iteratorIjlEEPS9_SE_NS0_5tupleIJPjSE_EEENSF_IJSE_SE_EEES9_SG_JZNS1_25segmented_radix_sort_implINS0_14default_configELb0EPKiPiPKlPlN2at6native12_GLOBAL__N_18offset_tEEE10hipError_tPvRmT1_PNSt15iterator_traitsISY_E10value_typeET2_T3_PNSZ_IS14_E10value_typeET4_jRbjT5_S1A_jjP12ihipStream_tbEUljE_EEESV_SW_SX_S14_S18_S1A_T6_T7_T9_mT8_S1C_bDpT10_ENKUlT_T0_E_clISt17integral_constantIbLb1EES1P_EEDaS1K_S1L_EUlS1K_E_NS1_11comp_targetILNS1_3genE5ELNS1_11target_archE942ELNS1_3gpuE9ELNS1_3repE0EEENS1_30default_config_static_selectorELNS0_4arch9wavefront6targetE0EEEvSY_.uses_vcc, 0
	.set _ZN7rocprim17ROCPRIM_400000_NS6detail17trampoline_kernelINS0_13select_configILj256ELj13ELNS0_17block_load_methodE3ELS4_3ELS4_3ELNS0_20block_scan_algorithmE0ELj4294967295EEENS1_25partition_config_selectorILNS1_17partition_subalgoE3EjNS0_10empty_typeEbEEZZNS1_14partition_implILS8_3ELb0ES6_jNS0_17counting_iteratorIjlEEPS9_SE_NS0_5tupleIJPjSE_EEENSF_IJSE_SE_EEES9_SG_JZNS1_25segmented_radix_sort_implINS0_14default_configELb0EPKiPiPKlPlN2at6native12_GLOBAL__N_18offset_tEEE10hipError_tPvRmT1_PNSt15iterator_traitsISY_E10value_typeET2_T3_PNSZ_IS14_E10value_typeET4_jRbjT5_S1A_jjP12ihipStream_tbEUljE_EEESV_SW_SX_S14_S18_S1A_T6_T7_T9_mT8_S1C_bDpT10_ENKUlT_T0_E_clISt17integral_constantIbLb1EES1P_EEDaS1K_S1L_EUlS1K_E_NS1_11comp_targetILNS1_3genE5ELNS1_11target_archE942ELNS1_3gpuE9ELNS1_3repE0EEENS1_30default_config_static_selectorELNS0_4arch9wavefront6targetE0EEEvSY_.uses_flat_scratch, 0
	.set _ZN7rocprim17ROCPRIM_400000_NS6detail17trampoline_kernelINS0_13select_configILj256ELj13ELNS0_17block_load_methodE3ELS4_3ELS4_3ELNS0_20block_scan_algorithmE0ELj4294967295EEENS1_25partition_config_selectorILNS1_17partition_subalgoE3EjNS0_10empty_typeEbEEZZNS1_14partition_implILS8_3ELb0ES6_jNS0_17counting_iteratorIjlEEPS9_SE_NS0_5tupleIJPjSE_EEENSF_IJSE_SE_EEES9_SG_JZNS1_25segmented_radix_sort_implINS0_14default_configELb0EPKiPiPKlPlN2at6native12_GLOBAL__N_18offset_tEEE10hipError_tPvRmT1_PNSt15iterator_traitsISY_E10value_typeET2_T3_PNSZ_IS14_E10value_typeET4_jRbjT5_S1A_jjP12ihipStream_tbEUljE_EEESV_SW_SX_S14_S18_S1A_T6_T7_T9_mT8_S1C_bDpT10_ENKUlT_T0_E_clISt17integral_constantIbLb1EES1P_EEDaS1K_S1L_EUlS1K_E_NS1_11comp_targetILNS1_3genE5ELNS1_11target_archE942ELNS1_3gpuE9ELNS1_3repE0EEENS1_30default_config_static_selectorELNS0_4arch9wavefront6targetE0EEEvSY_.has_dyn_sized_stack, 0
	.set _ZN7rocprim17ROCPRIM_400000_NS6detail17trampoline_kernelINS0_13select_configILj256ELj13ELNS0_17block_load_methodE3ELS4_3ELS4_3ELNS0_20block_scan_algorithmE0ELj4294967295EEENS1_25partition_config_selectorILNS1_17partition_subalgoE3EjNS0_10empty_typeEbEEZZNS1_14partition_implILS8_3ELb0ES6_jNS0_17counting_iteratorIjlEEPS9_SE_NS0_5tupleIJPjSE_EEENSF_IJSE_SE_EEES9_SG_JZNS1_25segmented_radix_sort_implINS0_14default_configELb0EPKiPiPKlPlN2at6native12_GLOBAL__N_18offset_tEEE10hipError_tPvRmT1_PNSt15iterator_traitsISY_E10value_typeET2_T3_PNSZ_IS14_E10value_typeET4_jRbjT5_S1A_jjP12ihipStream_tbEUljE_EEESV_SW_SX_S14_S18_S1A_T6_T7_T9_mT8_S1C_bDpT10_ENKUlT_T0_E_clISt17integral_constantIbLb1EES1P_EEDaS1K_S1L_EUlS1K_E_NS1_11comp_targetILNS1_3genE5ELNS1_11target_archE942ELNS1_3gpuE9ELNS1_3repE0EEENS1_30default_config_static_selectorELNS0_4arch9wavefront6targetE0EEEvSY_.has_recursion, 0
	.set _ZN7rocprim17ROCPRIM_400000_NS6detail17trampoline_kernelINS0_13select_configILj256ELj13ELNS0_17block_load_methodE3ELS4_3ELS4_3ELNS0_20block_scan_algorithmE0ELj4294967295EEENS1_25partition_config_selectorILNS1_17partition_subalgoE3EjNS0_10empty_typeEbEEZZNS1_14partition_implILS8_3ELb0ES6_jNS0_17counting_iteratorIjlEEPS9_SE_NS0_5tupleIJPjSE_EEENSF_IJSE_SE_EEES9_SG_JZNS1_25segmented_radix_sort_implINS0_14default_configELb0EPKiPiPKlPlN2at6native12_GLOBAL__N_18offset_tEEE10hipError_tPvRmT1_PNSt15iterator_traitsISY_E10value_typeET2_T3_PNSZ_IS14_E10value_typeET4_jRbjT5_S1A_jjP12ihipStream_tbEUljE_EEESV_SW_SX_S14_S18_S1A_T6_T7_T9_mT8_S1C_bDpT10_ENKUlT_T0_E_clISt17integral_constantIbLb1EES1P_EEDaS1K_S1L_EUlS1K_E_NS1_11comp_targetILNS1_3genE5ELNS1_11target_archE942ELNS1_3gpuE9ELNS1_3repE0EEENS1_30default_config_static_selectorELNS0_4arch9wavefront6targetE0EEEvSY_.has_indirect_call, 0
	.section	.AMDGPU.csdata,"",@progbits
; Kernel info:
; codeLenInByte = 0
; TotalNumSgprs: 0
; NumVgprs: 0
; ScratchSize: 0
; MemoryBound: 0
; FloatMode: 240
; IeeeMode: 1
; LDSByteSize: 0 bytes/workgroup (compile time only)
; SGPRBlocks: 0
; VGPRBlocks: 0
; NumSGPRsForWavesPerEU: 1
; NumVGPRsForWavesPerEU: 1
; Occupancy: 16
; WaveLimiterHint : 0
; COMPUTE_PGM_RSRC2:SCRATCH_EN: 0
; COMPUTE_PGM_RSRC2:USER_SGPR: 2
; COMPUTE_PGM_RSRC2:TRAP_HANDLER: 0
; COMPUTE_PGM_RSRC2:TGID_X_EN: 1
; COMPUTE_PGM_RSRC2:TGID_Y_EN: 0
; COMPUTE_PGM_RSRC2:TGID_Z_EN: 0
; COMPUTE_PGM_RSRC2:TIDIG_COMP_CNT: 0
	.section	.text._ZN7rocprim17ROCPRIM_400000_NS6detail17trampoline_kernelINS0_13select_configILj256ELj13ELNS0_17block_load_methodE3ELS4_3ELS4_3ELNS0_20block_scan_algorithmE0ELj4294967295EEENS1_25partition_config_selectorILNS1_17partition_subalgoE3EjNS0_10empty_typeEbEEZZNS1_14partition_implILS8_3ELb0ES6_jNS0_17counting_iteratorIjlEEPS9_SE_NS0_5tupleIJPjSE_EEENSF_IJSE_SE_EEES9_SG_JZNS1_25segmented_radix_sort_implINS0_14default_configELb0EPKiPiPKlPlN2at6native12_GLOBAL__N_18offset_tEEE10hipError_tPvRmT1_PNSt15iterator_traitsISY_E10value_typeET2_T3_PNSZ_IS14_E10value_typeET4_jRbjT5_S1A_jjP12ihipStream_tbEUljE_EEESV_SW_SX_S14_S18_S1A_T6_T7_T9_mT8_S1C_bDpT10_ENKUlT_T0_E_clISt17integral_constantIbLb1EES1P_EEDaS1K_S1L_EUlS1K_E_NS1_11comp_targetILNS1_3genE4ELNS1_11target_archE910ELNS1_3gpuE8ELNS1_3repE0EEENS1_30default_config_static_selectorELNS0_4arch9wavefront6targetE0EEEvSY_,"axG",@progbits,_ZN7rocprim17ROCPRIM_400000_NS6detail17trampoline_kernelINS0_13select_configILj256ELj13ELNS0_17block_load_methodE3ELS4_3ELS4_3ELNS0_20block_scan_algorithmE0ELj4294967295EEENS1_25partition_config_selectorILNS1_17partition_subalgoE3EjNS0_10empty_typeEbEEZZNS1_14partition_implILS8_3ELb0ES6_jNS0_17counting_iteratorIjlEEPS9_SE_NS0_5tupleIJPjSE_EEENSF_IJSE_SE_EEES9_SG_JZNS1_25segmented_radix_sort_implINS0_14default_configELb0EPKiPiPKlPlN2at6native12_GLOBAL__N_18offset_tEEE10hipError_tPvRmT1_PNSt15iterator_traitsISY_E10value_typeET2_T3_PNSZ_IS14_E10value_typeET4_jRbjT5_S1A_jjP12ihipStream_tbEUljE_EEESV_SW_SX_S14_S18_S1A_T6_T7_T9_mT8_S1C_bDpT10_ENKUlT_T0_E_clISt17integral_constantIbLb1EES1P_EEDaS1K_S1L_EUlS1K_E_NS1_11comp_targetILNS1_3genE4ELNS1_11target_archE910ELNS1_3gpuE8ELNS1_3repE0EEENS1_30default_config_static_selectorELNS0_4arch9wavefront6targetE0EEEvSY_,comdat
	.globl	_ZN7rocprim17ROCPRIM_400000_NS6detail17trampoline_kernelINS0_13select_configILj256ELj13ELNS0_17block_load_methodE3ELS4_3ELS4_3ELNS0_20block_scan_algorithmE0ELj4294967295EEENS1_25partition_config_selectorILNS1_17partition_subalgoE3EjNS0_10empty_typeEbEEZZNS1_14partition_implILS8_3ELb0ES6_jNS0_17counting_iteratorIjlEEPS9_SE_NS0_5tupleIJPjSE_EEENSF_IJSE_SE_EEES9_SG_JZNS1_25segmented_radix_sort_implINS0_14default_configELb0EPKiPiPKlPlN2at6native12_GLOBAL__N_18offset_tEEE10hipError_tPvRmT1_PNSt15iterator_traitsISY_E10value_typeET2_T3_PNSZ_IS14_E10value_typeET4_jRbjT5_S1A_jjP12ihipStream_tbEUljE_EEESV_SW_SX_S14_S18_S1A_T6_T7_T9_mT8_S1C_bDpT10_ENKUlT_T0_E_clISt17integral_constantIbLb1EES1P_EEDaS1K_S1L_EUlS1K_E_NS1_11comp_targetILNS1_3genE4ELNS1_11target_archE910ELNS1_3gpuE8ELNS1_3repE0EEENS1_30default_config_static_selectorELNS0_4arch9wavefront6targetE0EEEvSY_ ; -- Begin function _ZN7rocprim17ROCPRIM_400000_NS6detail17trampoline_kernelINS0_13select_configILj256ELj13ELNS0_17block_load_methodE3ELS4_3ELS4_3ELNS0_20block_scan_algorithmE0ELj4294967295EEENS1_25partition_config_selectorILNS1_17partition_subalgoE3EjNS0_10empty_typeEbEEZZNS1_14partition_implILS8_3ELb0ES6_jNS0_17counting_iteratorIjlEEPS9_SE_NS0_5tupleIJPjSE_EEENSF_IJSE_SE_EEES9_SG_JZNS1_25segmented_radix_sort_implINS0_14default_configELb0EPKiPiPKlPlN2at6native12_GLOBAL__N_18offset_tEEE10hipError_tPvRmT1_PNSt15iterator_traitsISY_E10value_typeET2_T3_PNSZ_IS14_E10value_typeET4_jRbjT5_S1A_jjP12ihipStream_tbEUljE_EEESV_SW_SX_S14_S18_S1A_T6_T7_T9_mT8_S1C_bDpT10_ENKUlT_T0_E_clISt17integral_constantIbLb1EES1P_EEDaS1K_S1L_EUlS1K_E_NS1_11comp_targetILNS1_3genE4ELNS1_11target_archE910ELNS1_3gpuE8ELNS1_3repE0EEENS1_30default_config_static_selectorELNS0_4arch9wavefront6targetE0EEEvSY_
	.p2align	8
	.type	_ZN7rocprim17ROCPRIM_400000_NS6detail17trampoline_kernelINS0_13select_configILj256ELj13ELNS0_17block_load_methodE3ELS4_3ELS4_3ELNS0_20block_scan_algorithmE0ELj4294967295EEENS1_25partition_config_selectorILNS1_17partition_subalgoE3EjNS0_10empty_typeEbEEZZNS1_14partition_implILS8_3ELb0ES6_jNS0_17counting_iteratorIjlEEPS9_SE_NS0_5tupleIJPjSE_EEENSF_IJSE_SE_EEES9_SG_JZNS1_25segmented_radix_sort_implINS0_14default_configELb0EPKiPiPKlPlN2at6native12_GLOBAL__N_18offset_tEEE10hipError_tPvRmT1_PNSt15iterator_traitsISY_E10value_typeET2_T3_PNSZ_IS14_E10value_typeET4_jRbjT5_S1A_jjP12ihipStream_tbEUljE_EEESV_SW_SX_S14_S18_S1A_T6_T7_T9_mT8_S1C_bDpT10_ENKUlT_T0_E_clISt17integral_constantIbLb1EES1P_EEDaS1K_S1L_EUlS1K_E_NS1_11comp_targetILNS1_3genE4ELNS1_11target_archE910ELNS1_3gpuE8ELNS1_3repE0EEENS1_30default_config_static_selectorELNS0_4arch9wavefront6targetE0EEEvSY_,@function
_ZN7rocprim17ROCPRIM_400000_NS6detail17trampoline_kernelINS0_13select_configILj256ELj13ELNS0_17block_load_methodE3ELS4_3ELS4_3ELNS0_20block_scan_algorithmE0ELj4294967295EEENS1_25partition_config_selectorILNS1_17partition_subalgoE3EjNS0_10empty_typeEbEEZZNS1_14partition_implILS8_3ELb0ES6_jNS0_17counting_iteratorIjlEEPS9_SE_NS0_5tupleIJPjSE_EEENSF_IJSE_SE_EEES9_SG_JZNS1_25segmented_radix_sort_implINS0_14default_configELb0EPKiPiPKlPlN2at6native12_GLOBAL__N_18offset_tEEE10hipError_tPvRmT1_PNSt15iterator_traitsISY_E10value_typeET2_T3_PNSZ_IS14_E10value_typeET4_jRbjT5_S1A_jjP12ihipStream_tbEUljE_EEESV_SW_SX_S14_S18_S1A_T6_T7_T9_mT8_S1C_bDpT10_ENKUlT_T0_E_clISt17integral_constantIbLb1EES1P_EEDaS1K_S1L_EUlS1K_E_NS1_11comp_targetILNS1_3genE4ELNS1_11target_archE910ELNS1_3gpuE8ELNS1_3repE0EEENS1_30default_config_static_selectorELNS0_4arch9wavefront6targetE0EEEvSY_: ; @_ZN7rocprim17ROCPRIM_400000_NS6detail17trampoline_kernelINS0_13select_configILj256ELj13ELNS0_17block_load_methodE3ELS4_3ELS4_3ELNS0_20block_scan_algorithmE0ELj4294967295EEENS1_25partition_config_selectorILNS1_17partition_subalgoE3EjNS0_10empty_typeEbEEZZNS1_14partition_implILS8_3ELb0ES6_jNS0_17counting_iteratorIjlEEPS9_SE_NS0_5tupleIJPjSE_EEENSF_IJSE_SE_EEES9_SG_JZNS1_25segmented_radix_sort_implINS0_14default_configELb0EPKiPiPKlPlN2at6native12_GLOBAL__N_18offset_tEEE10hipError_tPvRmT1_PNSt15iterator_traitsISY_E10value_typeET2_T3_PNSZ_IS14_E10value_typeET4_jRbjT5_S1A_jjP12ihipStream_tbEUljE_EEESV_SW_SX_S14_S18_S1A_T6_T7_T9_mT8_S1C_bDpT10_ENKUlT_T0_E_clISt17integral_constantIbLb1EES1P_EEDaS1K_S1L_EUlS1K_E_NS1_11comp_targetILNS1_3genE4ELNS1_11target_archE910ELNS1_3gpuE8ELNS1_3repE0EEENS1_30default_config_static_selectorELNS0_4arch9wavefront6targetE0EEEvSY_
; %bb.0:
	.section	.rodata,"a",@progbits
	.p2align	6, 0x0
	.amdhsa_kernel _ZN7rocprim17ROCPRIM_400000_NS6detail17trampoline_kernelINS0_13select_configILj256ELj13ELNS0_17block_load_methodE3ELS4_3ELS4_3ELNS0_20block_scan_algorithmE0ELj4294967295EEENS1_25partition_config_selectorILNS1_17partition_subalgoE3EjNS0_10empty_typeEbEEZZNS1_14partition_implILS8_3ELb0ES6_jNS0_17counting_iteratorIjlEEPS9_SE_NS0_5tupleIJPjSE_EEENSF_IJSE_SE_EEES9_SG_JZNS1_25segmented_radix_sort_implINS0_14default_configELb0EPKiPiPKlPlN2at6native12_GLOBAL__N_18offset_tEEE10hipError_tPvRmT1_PNSt15iterator_traitsISY_E10value_typeET2_T3_PNSZ_IS14_E10value_typeET4_jRbjT5_S1A_jjP12ihipStream_tbEUljE_EEESV_SW_SX_S14_S18_S1A_T6_T7_T9_mT8_S1C_bDpT10_ENKUlT_T0_E_clISt17integral_constantIbLb1EES1P_EEDaS1K_S1L_EUlS1K_E_NS1_11comp_targetILNS1_3genE4ELNS1_11target_archE910ELNS1_3gpuE8ELNS1_3repE0EEENS1_30default_config_static_selectorELNS0_4arch9wavefront6targetE0EEEvSY_
		.amdhsa_group_segment_fixed_size 0
		.amdhsa_private_segment_fixed_size 0
		.amdhsa_kernarg_size 152
		.amdhsa_user_sgpr_count 2
		.amdhsa_user_sgpr_dispatch_ptr 0
		.amdhsa_user_sgpr_queue_ptr 0
		.amdhsa_user_sgpr_kernarg_segment_ptr 1
		.amdhsa_user_sgpr_dispatch_id 0
		.amdhsa_user_sgpr_private_segment_size 0
		.amdhsa_wavefront_size32 1
		.amdhsa_uses_dynamic_stack 0
		.amdhsa_enable_private_segment 0
		.amdhsa_system_sgpr_workgroup_id_x 1
		.amdhsa_system_sgpr_workgroup_id_y 0
		.amdhsa_system_sgpr_workgroup_id_z 0
		.amdhsa_system_sgpr_workgroup_info 0
		.amdhsa_system_vgpr_workitem_id 0
		.amdhsa_next_free_vgpr 1
		.amdhsa_next_free_sgpr 1
		.amdhsa_reserve_vcc 0
		.amdhsa_float_round_mode_32 0
		.amdhsa_float_round_mode_16_64 0
		.amdhsa_float_denorm_mode_32 3
		.amdhsa_float_denorm_mode_16_64 3
		.amdhsa_fp16_overflow 0
		.amdhsa_workgroup_processor_mode 1
		.amdhsa_memory_ordered 1
		.amdhsa_forward_progress 1
		.amdhsa_inst_pref_size 0
		.amdhsa_round_robin_scheduling 0
		.amdhsa_exception_fp_ieee_invalid_op 0
		.amdhsa_exception_fp_denorm_src 0
		.amdhsa_exception_fp_ieee_div_zero 0
		.amdhsa_exception_fp_ieee_overflow 0
		.amdhsa_exception_fp_ieee_underflow 0
		.amdhsa_exception_fp_ieee_inexact 0
		.amdhsa_exception_int_div_zero 0
	.end_amdhsa_kernel
	.section	.text._ZN7rocprim17ROCPRIM_400000_NS6detail17trampoline_kernelINS0_13select_configILj256ELj13ELNS0_17block_load_methodE3ELS4_3ELS4_3ELNS0_20block_scan_algorithmE0ELj4294967295EEENS1_25partition_config_selectorILNS1_17partition_subalgoE3EjNS0_10empty_typeEbEEZZNS1_14partition_implILS8_3ELb0ES6_jNS0_17counting_iteratorIjlEEPS9_SE_NS0_5tupleIJPjSE_EEENSF_IJSE_SE_EEES9_SG_JZNS1_25segmented_radix_sort_implINS0_14default_configELb0EPKiPiPKlPlN2at6native12_GLOBAL__N_18offset_tEEE10hipError_tPvRmT1_PNSt15iterator_traitsISY_E10value_typeET2_T3_PNSZ_IS14_E10value_typeET4_jRbjT5_S1A_jjP12ihipStream_tbEUljE_EEESV_SW_SX_S14_S18_S1A_T6_T7_T9_mT8_S1C_bDpT10_ENKUlT_T0_E_clISt17integral_constantIbLb1EES1P_EEDaS1K_S1L_EUlS1K_E_NS1_11comp_targetILNS1_3genE4ELNS1_11target_archE910ELNS1_3gpuE8ELNS1_3repE0EEENS1_30default_config_static_selectorELNS0_4arch9wavefront6targetE0EEEvSY_,"axG",@progbits,_ZN7rocprim17ROCPRIM_400000_NS6detail17trampoline_kernelINS0_13select_configILj256ELj13ELNS0_17block_load_methodE3ELS4_3ELS4_3ELNS0_20block_scan_algorithmE0ELj4294967295EEENS1_25partition_config_selectorILNS1_17partition_subalgoE3EjNS0_10empty_typeEbEEZZNS1_14partition_implILS8_3ELb0ES6_jNS0_17counting_iteratorIjlEEPS9_SE_NS0_5tupleIJPjSE_EEENSF_IJSE_SE_EEES9_SG_JZNS1_25segmented_radix_sort_implINS0_14default_configELb0EPKiPiPKlPlN2at6native12_GLOBAL__N_18offset_tEEE10hipError_tPvRmT1_PNSt15iterator_traitsISY_E10value_typeET2_T3_PNSZ_IS14_E10value_typeET4_jRbjT5_S1A_jjP12ihipStream_tbEUljE_EEESV_SW_SX_S14_S18_S1A_T6_T7_T9_mT8_S1C_bDpT10_ENKUlT_T0_E_clISt17integral_constantIbLb1EES1P_EEDaS1K_S1L_EUlS1K_E_NS1_11comp_targetILNS1_3genE4ELNS1_11target_archE910ELNS1_3gpuE8ELNS1_3repE0EEENS1_30default_config_static_selectorELNS0_4arch9wavefront6targetE0EEEvSY_,comdat
.Lfunc_end578:
	.size	_ZN7rocprim17ROCPRIM_400000_NS6detail17trampoline_kernelINS0_13select_configILj256ELj13ELNS0_17block_load_methodE3ELS4_3ELS4_3ELNS0_20block_scan_algorithmE0ELj4294967295EEENS1_25partition_config_selectorILNS1_17partition_subalgoE3EjNS0_10empty_typeEbEEZZNS1_14partition_implILS8_3ELb0ES6_jNS0_17counting_iteratorIjlEEPS9_SE_NS0_5tupleIJPjSE_EEENSF_IJSE_SE_EEES9_SG_JZNS1_25segmented_radix_sort_implINS0_14default_configELb0EPKiPiPKlPlN2at6native12_GLOBAL__N_18offset_tEEE10hipError_tPvRmT1_PNSt15iterator_traitsISY_E10value_typeET2_T3_PNSZ_IS14_E10value_typeET4_jRbjT5_S1A_jjP12ihipStream_tbEUljE_EEESV_SW_SX_S14_S18_S1A_T6_T7_T9_mT8_S1C_bDpT10_ENKUlT_T0_E_clISt17integral_constantIbLb1EES1P_EEDaS1K_S1L_EUlS1K_E_NS1_11comp_targetILNS1_3genE4ELNS1_11target_archE910ELNS1_3gpuE8ELNS1_3repE0EEENS1_30default_config_static_selectorELNS0_4arch9wavefront6targetE0EEEvSY_, .Lfunc_end578-_ZN7rocprim17ROCPRIM_400000_NS6detail17trampoline_kernelINS0_13select_configILj256ELj13ELNS0_17block_load_methodE3ELS4_3ELS4_3ELNS0_20block_scan_algorithmE0ELj4294967295EEENS1_25partition_config_selectorILNS1_17partition_subalgoE3EjNS0_10empty_typeEbEEZZNS1_14partition_implILS8_3ELb0ES6_jNS0_17counting_iteratorIjlEEPS9_SE_NS0_5tupleIJPjSE_EEENSF_IJSE_SE_EEES9_SG_JZNS1_25segmented_radix_sort_implINS0_14default_configELb0EPKiPiPKlPlN2at6native12_GLOBAL__N_18offset_tEEE10hipError_tPvRmT1_PNSt15iterator_traitsISY_E10value_typeET2_T3_PNSZ_IS14_E10value_typeET4_jRbjT5_S1A_jjP12ihipStream_tbEUljE_EEESV_SW_SX_S14_S18_S1A_T6_T7_T9_mT8_S1C_bDpT10_ENKUlT_T0_E_clISt17integral_constantIbLb1EES1P_EEDaS1K_S1L_EUlS1K_E_NS1_11comp_targetILNS1_3genE4ELNS1_11target_archE910ELNS1_3gpuE8ELNS1_3repE0EEENS1_30default_config_static_selectorELNS0_4arch9wavefront6targetE0EEEvSY_
                                        ; -- End function
	.set _ZN7rocprim17ROCPRIM_400000_NS6detail17trampoline_kernelINS0_13select_configILj256ELj13ELNS0_17block_load_methodE3ELS4_3ELS4_3ELNS0_20block_scan_algorithmE0ELj4294967295EEENS1_25partition_config_selectorILNS1_17partition_subalgoE3EjNS0_10empty_typeEbEEZZNS1_14partition_implILS8_3ELb0ES6_jNS0_17counting_iteratorIjlEEPS9_SE_NS0_5tupleIJPjSE_EEENSF_IJSE_SE_EEES9_SG_JZNS1_25segmented_radix_sort_implINS0_14default_configELb0EPKiPiPKlPlN2at6native12_GLOBAL__N_18offset_tEEE10hipError_tPvRmT1_PNSt15iterator_traitsISY_E10value_typeET2_T3_PNSZ_IS14_E10value_typeET4_jRbjT5_S1A_jjP12ihipStream_tbEUljE_EEESV_SW_SX_S14_S18_S1A_T6_T7_T9_mT8_S1C_bDpT10_ENKUlT_T0_E_clISt17integral_constantIbLb1EES1P_EEDaS1K_S1L_EUlS1K_E_NS1_11comp_targetILNS1_3genE4ELNS1_11target_archE910ELNS1_3gpuE8ELNS1_3repE0EEENS1_30default_config_static_selectorELNS0_4arch9wavefront6targetE0EEEvSY_.num_vgpr, 0
	.set _ZN7rocprim17ROCPRIM_400000_NS6detail17trampoline_kernelINS0_13select_configILj256ELj13ELNS0_17block_load_methodE3ELS4_3ELS4_3ELNS0_20block_scan_algorithmE0ELj4294967295EEENS1_25partition_config_selectorILNS1_17partition_subalgoE3EjNS0_10empty_typeEbEEZZNS1_14partition_implILS8_3ELb0ES6_jNS0_17counting_iteratorIjlEEPS9_SE_NS0_5tupleIJPjSE_EEENSF_IJSE_SE_EEES9_SG_JZNS1_25segmented_radix_sort_implINS0_14default_configELb0EPKiPiPKlPlN2at6native12_GLOBAL__N_18offset_tEEE10hipError_tPvRmT1_PNSt15iterator_traitsISY_E10value_typeET2_T3_PNSZ_IS14_E10value_typeET4_jRbjT5_S1A_jjP12ihipStream_tbEUljE_EEESV_SW_SX_S14_S18_S1A_T6_T7_T9_mT8_S1C_bDpT10_ENKUlT_T0_E_clISt17integral_constantIbLb1EES1P_EEDaS1K_S1L_EUlS1K_E_NS1_11comp_targetILNS1_3genE4ELNS1_11target_archE910ELNS1_3gpuE8ELNS1_3repE0EEENS1_30default_config_static_selectorELNS0_4arch9wavefront6targetE0EEEvSY_.num_agpr, 0
	.set _ZN7rocprim17ROCPRIM_400000_NS6detail17trampoline_kernelINS0_13select_configILj256ELj13ELNS0_17block_load_methodE3ELS4_3ELS4_3ELNS0_20block_scan_algorithmE0ELj4294967295EEENS1_25partition_config_selectorILNS1_17partition_subalgoE3EjNS0_10empty_typeEbEEZZNS1_14partition_implILS8_3ELb0ES6_jNS0_17counting_iteratorIjlEEPS9_SE_NS0_5tupleIJPjSE_EEENSF_IJSE_SE_EEES9_SG_JZNS1_25segmented_radix_sort_implINS0_14default_configELb0EPKiPiPKlPlN2at6native12_GLOBAL__N_18offset_tEEE10hipError_tPvRmT1_PNSt15iterator_traitsISY_E10value_typeET2_T3_PNSZ_IS14_E10value_typeET4_jRbjT5_S1A_jjP12ihipStream_tbEUljE_EEESV_SW_SX_S14_S18_S1A_T6_T7_T9_mT8_S1C_bDpT10_ENKUlT_T0_E_clISt17integral_constantIbLb1EES1P_EEDaS1K_S1L_EUlS1K_E_NS1_11comp_targetILNS1_3genE4ELNS1_11target_archE910ELNS1_3gpuE8ELNS1_3repE0EEENS1_30default_config_static_selectorELNS0_4arch9wavefront6targetE0EEEvSY_.numbered_sgpr, 0
	.set _ZN7rocprim17ROCPRIM_400000_NS6detail17trampoline_kernelINS0_13select_configILj256ELj13ELNS0_17block_load_methodE3ELS4_3ELS4_3ELNS0_20block_scan_algorithmE0ELj4294967295EEENS1_25partition_config_selectorILNS1_17partition_subalgoE3EjNS0_10empty_typeEbEEZZNS1_14partition_implILS8_3ELb0ES6_jNS0_17counting_iteratorIjlEEPS9_SE_NS0_5tupleIJPjSE_EEENSF_IJSE_SE_EEES9_SG_JZNS1_25segmented_radix_sort_implINS0_14default_configELb0EPKiPiPKlPlN2at6native12_GLOBAL__N_18offset_tEEE10hipError_tPvRmT1_PNSt15iterator_traitsISY_E10value_typeET2_T3_PNSZ_IS14_E10value_typeET4_jRbjT5_S1A_jjP12ihipStream_tbEUljE_EEESV_SW_SX_S14_S18_S1A_T6_T7_T9_mT8_S1C_bDpT10_ENKUlT_T0_E_clISt17integral_constantIbLb1EES1P_EEDaS1K_S1L_EUlS1K_E_NS1_11comp_targetILNS1_3genE4ELNS1_11target_archE910ELNS1_3gpuE8ELNS1_3repE0EEENS1_30default_config_static_selectorELNS0_4arch9wavefront6targetE0EEEvSY_.num_named_barrier, 0
	.set _ZN7rocprim17ROCPRIM_400000_NS6detail17trampoline_kernelINS0_13select_configILj256ELj13ELNS0_17block_load_methodE3ELS4_3ELS4_3ELNS0_20block_scan_algorithmE0ELj4294967295EEENS1_25partition_config_selectorILNS1_17partition_subalgoE3EjNS0_10empty_typeEbEEZZNS1_14partition_implILS8_3ELb0ES6_jNS0_17counting_iteratorIjlEEPS9_SE_NS0_5tupleIJPjSE_EEENSF_IJSE_SE_EEES9_SG_JZNS1_25segmented_radix_sort_implINS0_14default_configELb0EPKiPiPKlPlN2at6native12_GLOBAL__N_18offset_tEEE10hipError_tPvRmT1_PNSt15iterator_traitsISY_E10value_typeET2_T3_PNSZ_IS14_E10value_typeET4_jRbjT5_S1A_jjP12ihipStream_tbEUljE_EEESV_SW_SX_S14_S18_S1A_T6_T7_T9_mT8_S1C_bDpT10_ENKUlT_T0_E_clISt17integral_constantIbLb1EES1P_EEDaS1K_S1L_EUlS1K_E_NS1_11comp_targetILNS1_3genE4ELNS1_11target_archE910ELNS1_3gpuE8ELNS1_3repE0EEENS1_30default_config_static_selectorELNS0_4arch9wavefront6targetE0EEEvSY_.private_seg_size, 0
	.set _ZN7rocprim17ROCPRIM_400000_NS6detail17trampoline_kernelINS0_13select_configILj256ELj13ELNS0_17block_load_methodE3ELS4_3ELS4_3ELNS0_20block_scan_algorithmE0ELj4294967295EEENS1_25partition_config_selectorILNS1_17partition_subalgoE3EjNS0_10empty_typeEbEEZZNS1_14partition_implILS8_3ELb0ES6_jNS0_17counting_iteratorIjlEEPS9_SE_NS0_5tupleIJPjSE_EEENSF_IJSE_SE_EEES9_SG_JZNS1_25segmented_radix_sort_implINS0_14default_configELb0EPKiPiPKlPlN2at6native12_GLOBAL__N_18offset_tEEE10hipError_tPvRmT1_PNSt15iterator_traitsISY_E10value_typeET2_T3_PNSZ_IS14_E10value_typeET4_jRbjT5_S1A_jjP12ihipStream_tbEUljE_EEESV_SW_SX_S14_S18_S1A_T6_T7_T9_mT8_S1C_bDpT10_ENKUlT_T0_E_clISt17integral_constantIbLb1EES1P_EEDaS1K_S1L_EUlS1K_E_NS1_11comp_targetILNS1_3genE4ELNS1_11target_archE910ELNS1_3gpuE8ELNS1_3repE0EEENS1_30default_config_static_selectorELNS0_4arch9wavefront6targetE0EEEvSY_.uses_vcc, 0
	.set _ZN7rocprim17ROCPRIM_400000_NS6detail17trampoline_kernelINS0_13select_configILj256ELj13ELNS0_17block_load_methodE3ELS4_3ELS4_3ELNS0_20block_scan_algorithmE0ELj4294967295EEENS1_25partition_config_selectorILNS1_17partition_subalgoE3EjNS0_10empty_typeEbEEZZNS1_14partition_implILS8_3ELb0ES6_jNS0_17counting_iteratorIjlEEPS9_SE_NS0_5tupleIJPjSE_EEENSF_IJSE_SE_EEES9_SG_JZNS1_25segmented_radix_sort_implINS0_14default_configELb0EPKiPiPKlPlN2at6native12_GLOBAL__N_18offset_tEEE10hipError_tPvRmT1_PNSt15iterator_traitsISY_E10value_typeET2_T3_PNSZ_IS14_E10value_typeET4_jRbjT5_S1A_jjP12ihipStream_tbEUljE_EEESV_SW_SX_S14_S18_S1A_T6_T7_T9_mT8_S1C_bDpT10_ENKUlT_T0_E_clISt17integral_constantIbLb1EES1P_EEDaS1K_S1L_EUlS1K_E_NS1_11comp_targetILNS1_3genE4ELNS1_11target_archE910ELNS1_3gpuE8ELNS1_3repE0EEENS1_30default_config_static_selectorELNS0_4arch9wavefront6targetE0EEEvSY_.uses_flat_scratch, 0
	.set _ZN7rocprim17ROCPRIM_400000_NS6detail17trampoline_kernelINS0_13select_configILj256ELj13ELNS0_17block_load_methodE3ELS4_3ELS4_3ELNS0_20block_scan_algorithmE0ELj4294967295EEENS1_25partition_config_selectorILNS1_17partition_subalgoE3EjNS0_10empty_typeEbEEZZNS1_14partition_implILS8_3ELb0ES6_jNS0_17counting_iteratorIjlEEPS9_SE_NS0_5tupleIJPjSE_EEENSF_IJSE_SE_EEES9_SG_JZNS1_25segmented_radix_sort_implINS0_14default_configELb0EPKiPiPKlPlN2at6native12_GLOBAL__N_18offset_tEEE10hipError_tPvRmT1_PNSt15iterator_traitsISY_E10value_typeET2_T3_PNSZ_IS14_E10value_typeET4_jRbjT5_S1A_jjP12ihipStream_tbEUljE_EEESV_SW_SX_S14_S18_S1A_T6_T7_T9_mT8_S1C_bDpT10_ENKUlT_T0_E_clISt17integral_constantIbLb1EES1P_EEDaS1K_S1L_EUlS1K_E_NS1_11comp_targetILNS1_3genE4ELNS1_11target_archE910ELNS1_3gpuE8ELNS1_3repE0EEENS1_30default_config_static_selectorELNS0_4arch9wavefront6targetE0EEEvSY_.has_dyn_sized_stack, 0
	.set _ZN7rocprim17ROCPRIM_400000_NS6detail17trampoline_kernelINS0_13select_configILj256ELj13ELNS0_17block_load_methodE3ELS4_3ELS4_3ELNS0_20block_scan_algorithmE0ELj4294967295EEENS1_25partition_config_selectorILNS1_17partition_subalgoE3EjNS0_10empty_typeEbEEZZNS1_14partition_implILS8_3ELb0ES6_jNS0_17counting_iteratorIjlEEPS9_SE_NS0_5tupleIJPjSE_EEENSF_IJSE_SE_EEES9_SG_JZNS1_25segmented_radix_sort_implINS0_14default_configELb0EPKiPiPKlPlN2at6native12_GLOBAL__N_18offset_tEEE10hipError_tPvRmT1_PNSt15iterator_traitsISY_E10value_typeET2_T3_PNSZ_IS14_E10value_typeET4_jRbjT5_S1A_jjP12ihipStream_tbEUljE_EEESV_SW_SX_S14_S18_S1A_T6_T7_T9_mT8_S1C_bDpT10_ENKUlT_T0_E_clISt17integral_constantIbLb1EES1P_EEDaS1K_S1L_EUlS1K_E_NS1_11comp_targetILNS1_3genE4ELNS1_11target_archE910ELNS1_3gpuE8ELNS1_3repE0EEENS1_30default_config_static_selectorELNS0_4arch9wavefront6targetE0EEEvSY_.has_recursion, 0
	.set _ZN7rocprim17ROCPRIM_400000_NS6detail17trampoline_kernelINS0_13select_configILj256ELj13ELNS0_17block_load_methodE3ELS4_3ELS4_3ELNS0_20block_scan_algorithmE0ELj4294967295EEENS1_25partition_config_selectorILNS1_17partition_subalgoE3EjNS0_10empty_typeEbEEZZNS1_14partition_implILS8_3ELb0ES6_jNS0_17counting_iteratorIjlEEPS9_SE_NS0_5tupleIJPjSE_EEENSF_IJSE_SE_EEES9_SG_JZNS1_25segmented_radix_sort_implINS0_14default_configELb0EPKiPiPKlPlN2at6native12_GLOBAL__N_18offset_tEEE10hipError_tPvRmT1_PNSt15iterator_traitsISY_E10value_typeET2_T3_PNSZ_IS14_E10value_typeET4_jRbjT5_S1A_jjP12ihipStream_tbEUljE_EEESV_SW_SX_S14_S18_S1A_T6_T7_T9_mT8_S1C_bDpT10_ENKUlT_T0_E_clISt17integral_constantIbLb1EES1P_EEDaS1K_S1L_EUlS1K_E_NS1_11comp_targetILNS1_3genE4ELNS1_11target_archE910ELNS1_3gpuE8ELNS1_3repE0EEENS1_30default_config_static_selectorELNS0_4arch9wavefront6targetE0EEEvSY_.has_indirect_call, 0
	.section	.AMDGPU.csdata,"",@progbits
; Kernel info:
; codeLenInByte = 0
; TotalNumSgprs: 0
; NumVgprs: 0
; ScratchSize: 0
; MemoryBound: 0
; FloatMode: 240
; IeeeMode: 1
; LDSByteSize: 0 bytes/workgroup (compile time only)
; SGPRBlocks: 0
; VGPRBlocks: 0
; NumSGPRsForWavesPerEU: 1
; NumVGPRsForWavesPerEU: 1
; Occupancy: 16
; WaveLimiterHint : 0
; COMPUTE_PGM_RSRC2:SCRATCH_EN: 0
; COMPUTE_PGM_RSRC2:USER_SGPR: 2
; COMPUTE_PGM_RSRC2:TRAP_HANDLER: 0
; COMPUTE_PGM_RSRC2:TGID_X_EN: 1
; COMPUTE_PGM_RSRC2:TGID_Y_EN: 0
; COMPUTE_PGM_RSRC2:TGID_Z_EN: 0
; COMPUTE_PGM_RSRC2:TIDIG_COMP_CNT: 0
	.section	.text._ZN7rocprim17ROCPRIM_400000_NS6detail17trampoline_kernelINS0_13select_configILj256ELj13ELNS0_17block_load_methodE3ELS4_3ELS4_3ELNS0_20block_scan_algorithmE0ELj4294967295EEENS1_25partition_config_selectorILNS1_17partition_subalgoE3EjNS0_10empty_typeEbEEZZNS1_14partition_implILS8_3ELb0ES6_jNS0_17counting_iteratorIjlEEPS9_SE_NS0_5tupleIJPjSE_EEENSF_IJSE_SE_EEES9_SG_JZNS1_25segmented_radix_sort_implINS0_14default_configELb0EPKiPiPKlPlN2at6native12_GLOBAL__N_18offset_tEEE10hipError_tPvRmT1_PNSt15iterator_traitsISY_E10value_typeET2_T3_PNSZ_IS14_E10value_typeET4_jRbjT5_S1A_jjP12ihipStream_tbEUljE_EEESV_SW_SX_S14_S18_S1A_T6_T7_T9_mT8_S1C_bDpT10_ENKUlT_T0_E_clISt17integral_constantIbLb1EES1P_EEDaS1K_S1L_EUlS1K_E_NS1_11comp_targetILNS1_3genE3ELNS1_11target_archE908ELNS1_3gpuE7ELNS1_3repE0EEENS1_30default_config_static_selectorELNS0_4arch9wavefront6targetE0EEEvSY_,"axG",@progbits,_ZN7rocprim17ROCPRIM_400000_NS6detail17trampoline_kernelINS0_13select_configILj256ELj13ELNS0_17block_load_methodE3ELS4_3ELS4_3ELNS0_20block_scan_algorithmE0ELj4294967295EEENS1_25partition_config_selectorILNS1_17partition_subalgoE3EjNS0_10empty_typeEbEEZZNS1_14partition_implILS8_3ELb0ES6_jNS0_17counting_iteratorIjlEEPS9_SE_NS0_5tupleIJPjSE_EEENSF_IJSE_SE_EEES9_SG_JZNS1_25segmented_radix_sort_implINS0_14default_configELb0EPKiPiPKlPlN2at6native12_GLOBAL__N_18offset_tEEE10hipError_tPvRmT1_PNSt15iterator_traitsISY_E10value_typeET2_T3_PNSZ_IS14_E10value_typeET4_jRbjT5_S1A_jjP12ihipStream_tbEUljE_EEESV_SW_SX_S14_S18_S1A_T6_T7_T9_mT8_S1C_bDpT10_ENKUlT_T0_E_clISt17integral_constantIbLb1EES1P_EEDaS1K_S1L_EUlS1K_E_NS1_11comp_targetILNS1_3genE3ELNS1_11target_archE908ELNS1_3gpuE7ELNS1_3repE0EEENS1_30default_config_static_selectorELNS0_4arch9wavefront6targetE0EEEvSY_,comdat
	.globl	_ZN7rocprim17ROCPRIM_400000_NS6detail17trampoline_kernelINS0_13select_configILj256ELj13ELNS0_17block_load_methodE3ELS4_3ELS4_3ELNS0_20block_scan_algorithmE0ELj4294967295EEENS1_25partition_config_selectorILNS1_17partition_subalgoE3EjNS0_10empty_typeEbEEZZNS1_14partition_implILS8_3ELb0ES6_jNS0_17counting_iteratorIjlEEPS9_SE_NS0_5tupleIJPjSE_EEENSF_IJSE_SE_EEES9_SG_JZNS1_25segmented_radix_sort_implINS0_14default_configELb0EPKiPiPKlPlN2at6native12_GLOBAL__N_18offset_tEEE10hipError_tPvRmT1_PNSt15iterator_traitsISY_E10value_typeET2_T3_PNSZ_IS14_E10value_typeET4_jRbjT5_S1A_jjP12ihipStream_tbEUljE_EEESV_SW_SX_S14_S18_S1A_T6_T7_T9_mT8_S1C_bDpT10_ENKUlT_T0_E_clISt17integral_constantIbLb1EES1P_EEDaS1K_S1L_EUlS1K_E_NS1_11comp_targetILNS1_3genE3ELNS1_11target_archE908ELNS1_3gpuE7ELNS1_3repE0EEENS1_30default_config_static_selectorELNS0_4arch9wavefront6targetE0EEEvSY_ ; -- Begin function _ZN7rocprim17ROCPRIM_400000_NS6detail17trampoline_kernelINS0_13select_configILj256ELj13ELNS0_17block_load_methodE3ELS4_3ELS4_3ELNS0_20block_scan_algorithmE0ELj4294967295EEENS1_25partition_config_selectorILNS1_17partition_subalgoE3EjNS0_10empty_typeEbEEZZNS1_14partition_implILS8_3ELb0ES6_jNS0_17counting_iteratorIjlEEPS9_SE_NS0_5tupleIJPjSE_EEENSF_IJSE_SE_EEES9_SG_JZNS1_25segmented_radix_sort_implINS0_14default_configELb0EPKiPiPKlPlN2at6native12_GLOBAL__N_18offset_tEEE10hipError_tPvRmT1_PNSt15iterator_traitsISY_E10value_typeET2_T3_PNSZ_IS14_E10value_typeET4_jRbjT5_S1A_jjP12ihipStream_tbEUljE_EEESV_SW_SX_S14_S18_S1A_T6_T7_T9_mT8_S1C_bDpT10_ENKUlT_T0_E_clISt17integral_constantIbLb1EES1P_EEDaS1K_S1L_EUlS1K_E_NS1_11comp_targetILNS1_3genE3ELNS1_11target_archE908ELNS1_3gpuE7ELNS1_3repE0EEENS1_30default_config_static_selectorELNS0_4arch9wavefront6targetE0EEEvSY_
	.p2align	8
	.type	_ZN7rocprim17ROCPRIM_400000_NS6detail17trampoline_kernelINS0_13select_configILj256ELj13ELNS0_17block_load_methodE3ELS4_3ELS4_3ELNS0_20block_scan_algorithmE0ELj4294967295EEENS1_25partition_config_selectorILNS1_17partition_subalgoE3EjNS0_10empty_typeEbEEZZNS1_14partition_implILS8_3ELb0ES6_jNS0_17counting_iteratorIjlEEPS9_SE_NS0_5tupleIJPjSE_EEENSF_IJSE_SE_EEES9_SG_JZNS1_25segmented_radix_sort_implINS0_14default_configELb0EPKiPiPKlPlN2at6native12_GLOBAL__N_18offset_tEEE10hipError_tPvRmT1_PNSt15iterator_traitsISY_E10value_typeET2_T3_PNSZ_IS14_E10value_typeET4_jRbjT5_S1A_jjP12ihipStream_tbEUljE_EEESV_SW_SX_S14_S18_S1A_T6_T7_T9_mT8_S1C_bDpT10_ENKUlT_T0_E_clISt17integral_constantIbLb1EES1P_EEDaS1K_S1L_EUlS1K_E_NS1_11comp_targetILNS1_3genE3ELNS1_11target_archE908ELNS1_3gpuE7ELNS1_3repE0EEENS1_30default_config_static_selectorELNS0_4arch9wavefront6targetE0EEEvSY_,@function
_ZN7rocprim17ROCPRIM_400000_NS6detail17trampoline_kernelINS0_13select_configILj256ELj13ELNS0_17block_load_methodE3ELS4_3ELS4_3ELNS0_20block_scan_algorithmE0ELj4294967295EEENS1_25partition_config_selectorILNS1_17partition_subalgoE3EjNS0_10empty_typeEbEEZZNS1_14partition_implILS8_3ELb0ES6_jNS0_17counting_iteratorIjlEEPS9_SE_NS0_5tupleIJPjSE_EEENSF_IJSE_SE_EEES9_SG_JZNS1_25segmented_radix_sort_implINS0_14default_configELb0EPKiPiPKlPlN2at6native12_GLOBAL__N_18offset_tEEE10hipError_tPvRmT1_PNSt15iterator_traitsISY_E10value_typeET2_T3_PNSZ_IS14_E10value_typeET4_jRbjT5_S1A_jjP12ihipStream_tbEUljE_EEESV_SW_SX_S14_S18_S1A_T6_T7_T9_mT8_S1C_bDpT10_ENKUlT_T0_E_clISt17integral_constantIbLb1EES1P_EEDaS1K_S1L_EUlS1K_E_NS1_11comp_targetILNS1_3genE3ELNS1_11target_archE908ELNS1_3gpuE7ELNS1_3repE0EEENS1_30default_config_static_selectorELNS0_4arch9wavefront6targetE0EEEvSY_: ; @_ZN7rocprim17ROCPRIM_400000_NS6detail17trampoline_kernelINS0_13select_configILj256ELj13ELNS0_17block_load_methodE3ELS4_3ELS4_3ELNS0_20block_scan_algorithmE0ELj4294967295EEENS1_25partition_config_selectorILNS1_17partition_subalgoE3EjNS0_10empty_typeEbEEZZNS1_14partition_implILS8_3ELb0ES6_jNS0_17counting_iteratorIjlEEPS9_SE_NS0_5tupleIJPjSE_EEENSF_IJSE_SE_EEES9_SG_JZNS1_25segmented_radix_sort_implINS0_14default_configELb0EPKiPiPKlPlN2at6native12_GLOBAL__N_18offset_tEEE10hipError_tPvRmT1_PNSt15iterator_traitsISY_E10value_typeET2_T3_PNSZ_IS14_E10value_typeET4_jRbjT5_S1A_jjP12ihipStream_tbEUljE_EEESV_SW_SX_S14_S18_S1A_T6_T7_T9_mT8_S1C_bDpT10_ENKUlT_T0_E_clISt17integral_constantIbLb1EES1P_EEDaS1K_S1L_EUlS1K_E_NS1_11comp_targetILNS1_3genE3ELNS1_11target_archE908ELNS1_3gpuE7ELNS1_3repE0EEENS1_30default_config_static_selectorELNS0_4arch9wavefront6targetE0EEEvSY_
; %bb.0:
	.section	.rodata,"a",@progbits
	.p2align	6, 0x0
	.amdhsa_kernel _ZN7rocprim17ROCPRIM_400000_NS6detail17trampoline_kernelINS0_13select_configILj256ELj13ELNS0_17block_load_methodE3ELS4_3ELS4_3ELNS0_20block_scan_algorithmE0ELj4294967295EEENS1_25partition_config_selectorILNS1_17partition_subalgoE3EjNS0_10empty_typeEbEEZZNS1_14partition_implILS8_3ELb0ES6_jNS0_17counting_iteratorIjlEEPS9_SE_NS0_5tupleIJPjSE_EEENSF_IJSE_SE_EEES9_SG_JZNS1_25segmented_radix_sort_implINS0_14default_configELb0EPKiPiPKlPlN2at6native12_GLOBAL__N_18offset_tEEE10hipError_tPvRmT1_PNSt15iterator_traitsISY_E10value_typeET2_T3_PNSZ_IS14_E10value_typeET4_jRbjT5_S1A_jjP12ihipStream_tbEUljE_EEESV_SW_SX_S14_S18_S1A_T6_T7_T9_mT8_S1C_bDpT10_ENKUlT_T0_E_clISt17integral_constantIbLb1EES1P_EEDaS1K_S1L_EUlS1K_E_NS1_11comp_targetILNS1_3genE3ELNS1_11target_archE908ELNS1_3gpuE7ELNS1_3repE0EEENS1_30default_config_static_selectorELNS0_4arch9wavefront6targetE0EEEvSY_
		.amdhsa_group_segment_fixed_size 0
		.amdhsa_private_segment_fixed_size 0
		.amdhsa_kernarg_size 152
		.amdhsa_user_sgpr_count 2
		.amdhsa_user_sgpr_dispatch_ptr 0
		.amdhsa_user_sgpr_queue_ptr 0
		.amdhsa_user_sgpr_kernarg_segment_ptr 1
		.amdhsa_user_sgpr_dispatch_id 0
		.amdhsa_user_sgpr_private_segment_size 0
		.amdhsa_wavefront_size32 1
		.amdhsa_uses_dynamic_stack 0
		.amdhsa_enable_private_segment 0
		.amdhsa_system_sgpr_workgroup_id_x 1
		.amdhsa_system_sgpr_workgroup_id_y 0
		.amdhsa_system_sgpr_workgroup_id_z 0
		.amdhsa_system_sgpr_workgroup_info 0
		.amdhsa_system_vgpr_workitem_id 0
		.amdhsa_next_free_vgpr 1
		.amdhsa_next_free_sgpr 1
		.amdhsa_reserve_vcc 0
		.amdhsa_float_round_mode_32 0
		.amdhsa_float_round_mode_16_64 0
		.amdhsa_float_denorm_mode_32 3
		.amdhsa_float_denorm_mode_16_64 3
		.amdhsa_fp16_overflow 0
		.amdhsa_workgroup_processor_mode 1
		.amdhsa_memory_ordered 1
		.amdhsa_forward_progress 1
		.amdhsa_inst_pref_size 0
		.amdhsa_round_robin_scheduling 0
		.amdhsa_exception_fp_ieee_invalid_op 0
		.amdhsa_exception_fp_denorm_src 0
		.amdhsa_exception_fp_ieee_div_zero 0
		.amdhsa_exception_fp_ieee_overflow 0
		.amdhsa_exception_fp_ieee_underflow 0
		.amdhsa_exception_fp_ieee_inexact 0
		.amdhsa_exception_int_div_zero 0
	.end_amdhsa_kernel
	.section	.text._ZN7rocprim17ROCPRIM_400000_NS6detail17trampoline_kernelINS0_13select_configILj256ELj13ELNS0_17block_load_methodE3ELS4_3ELS4_3ELNS0_20block_scan_algorithmE0ELj4294967295EEENS1_25partition_config_selectorILNS1_17partition_subalgoE3EjNS0_10empty_typeEbEEZZNS1_14partition_implILS8_3ELb0ES6_jNS0_17counting_iteratorIjlEEPS9_SE_NS0_5tupleIJPjSE_EEENSF_IJSE_SE_EEES9_SG_JZNS1_25segmented_radix_sort_implINS0_14default_configELb0EPKiPiPKlPlN2at6native12_GLOBAL__N_18offset_tEEE10hipError_tPvRmT1_PNSt15iterator_traitsISY_E10value_typeET2_T3_PNSZ_IS14_E10value_typeET4_jRbjT5_S1A_jjP12ihipStream_tbEUljE_EEESV_SW_SX_S14_S18_S1A_T6_T7_T9_mT8_S1C_bDpT10_ENKUlT_T0_E_clISt17integral_constantIbLb1EES1P_EEDaS1K_S1L_EUlS1K_E_NS1_11comp_targetILNS1_3genE3ELNS1_11target_archE908ELNS1_3gpuE7ELNS1_3repE0EEENS1_30default_config_static_selectorELNS0_4arch9wavefront6targetE0EEEvSY_,"axG",@progbits,_ZN7rocprim17ROCPRIM_400000_NS6detail17trampoline_kernelINS0_13select_configILj256ELj13ELNS0_17block_load_methodE3ELS4_3ELS4_3ELNS0_20block_scan_algorithmE0ELj4294967295EEENS1_25partition_config_selectorILNS1_17partition_subalgoE3EjNS0_10empty_typeEbEEZZNS1_14partition_implILS8_3ELb0ES6_jNS0_17counting_iteratorIjlEEPS9_SE_NS0_5tupleIJPjSE_EEENSF_IJSE_SE_EEES9_SG_JZNS1_25segmented_radix_sort_implINS0_14default_configELb0EPKiPiPKlPlN2at6native12_GLOBAL__N_18offset_tEEE10hipError_tPvRmT1_PNSt15iterator_traitsISY_E10value_typeET2_T3_PNSZ_IS14_E10value_typeET4_jRbjT5_S1A_jjP12ihipStream_tbEUljE_EEESV_SW_SX_S14_S18_S1A_T6_T7_T9_mT8_S1C_bDpT10_ENKUlT_T0_E_clISt17integral_constantIbLb1EES1P_EEDaS1K_S1L_EUlS1K_E_NS1_11comp_targetILNS1_3genE3ELNS1_11target_archE908ELNS1_3gpuE7ELNS1_3repE0EEENS1_30default_config_static_selectorELNS0_4arch9wavefront6targetE0EEEvSY_,comdat
.Lfunc_end579:
	.size	_ZN7rocprim17ROCPRIM_400000_NS6detail17trampoline_kernelINS0_13select_configILj256ELj13ELNS0_17block_load_methodE3ELS4_3ELS4_3ELNS0_20block_scan_algorithmE0ELj4294967295EEENS1_25partition_config_selectorILNS1_17partition_subalgoE3EjNS0_10empty_typeEbEEZZNS1_14partition_implILS8_3ELb0ES6_jNS0_17counting_iteratorIjlEEPS9_SE_NS0_5tupleIJPjSE_EEENSF_IJSE_SE_EEES9_SG_JZNS1_25segmented_radix_sort_implINS0_14default_configELb0EPKiPiPKlPlN2at6native12_GLOBAL__N_18offset_tEEE10hipError_tPvRmT1_PNSt15iterator_traitsISY_E10value_typeET2_T3_PNSZ_IS14_E10value_typeET4_jRbjT5_S1A_jjP12ihipStream_tbEUljE_EEESV_SW_SX_S14_S18_S1A_T6_T7_T9_mT8_S1C_bDpT10_ENKUlT_T0_E_clISt17integral_constantIbLb1EES1P_EEDaS1K_S1L_EUlS1K_E_NS1_11comp_targetILNS1_3genE3ELNS1_11target_archE908ELNS1_3gpuE7ELNS1_3repE0EEENS1_30default_config_static_selectorELNS0_4arch9wavefront6targetE0EEEvSY_, .Lfunc_end579-_ZN7rocprim17ROCPRIM_400000_NS6detail17trampoline_kernelINS0_13select_configILj256ELj13ELNS0_17block_load_methodE3ELS4_3ELS4_3ELNS0_20block_scan_algorithmE0ELj4294967295EEENS1_25partition_config_selectorILNS1_17partition_subalgoE3EjNS0_10empty_typeEbEEZZNS1_14partition_implILS8_3ELb0ES6_jNS0_17counting_iteratorIjlEEPS9_SE_NS0_5tupleIJPjSE_EEENSF_IJSE_SE_EEES9_SG_JZNS1_25segmented_radix_sort_implINS0_14default_configELb0EPKiPiPKlPlN2at6native12_GLOBAL__N_18offset_tEEE10hipError_tPvRmT1_PNSt15iterator_traitsISY_E10value_typeET2_T3_PNSZ_IS14_E10value_typeET4_jRbjT5_S1A_jjP12ihipStream_tbEUljE_EEESV_SW_SX_S14_S18_S1A_T6_T7_T9_mT8_S1C_bDpT10_ENKUlT_T0_E_clISt17integral_constantIbLb1EES1P_EEDaS1K_S1L_EUlS1K_E_NS1_11comp_targetILNS1_3genE3ELNS1_11target_archE908ELNS1_3gpuE7ELNS1_3repE0EEENS1_30default_config_static_selectorELNS0_4arch9wavefront6targetE0EEEvSY_
                                        ; -- End function
	.set _ZN7rocprim17ROCPRIM_400000_NS6detail17trampoline_kernelINS0_13select_configILj256ELj13ELNS0_17block_load_methodE3ELS4_3ELS4_3ELNS0_20block_scan_algorithmE0ELj4294967295EEENS1_25partition_config_selectorILNS1_17partition_subalgoE3EjNS0_10empty_typeEbEEZZNS1_14partition_implILS8_3ELb0ES6_jNS0_17counting_iteratorIjlEEPS9_SE_NS0_5tupleIJPjSE_EEENSF_IJSE_SE_EEES9_SG_JZNS1_25segmented_radix_sort_implINS0_14default_configELb0EPKiPiPKlPlN2at6native12_GLOBAL__N_18offset_tEEE10hipError_tPvRmT1_PNSt15iterator_traitsISY_E10value_typeET2_T3_PNSZ_IS14_E10value_typeET4_jRbjT5_S1A_jjP12ihipStream_tbEUljE_EEESV_SW_SX_S14_S18_S1A_T6_T7_T9_mT8_S1C_bDpT10_ENKUlT_T0_E_clISt17integral_constantIbLb1EES1P_EEDaS1K_S1L_EUlS1K_E_NS1_11comp_targetILNS1_3genE3ELNS1_11target_archE908ELNS1_3gpuE7ELNS1_3repE0EEENS1_30default_config_static_selectorELNS0_4arch9wavefront6targetE0EEEvSY_.num_vgpr, 0
	.set _ZN7rocprim17ROCPRIM_400000_NS6detail17trampoline_kernelINS0_13select_configILj256ELj13ELNS0_17block_load_methodE3ELS4_3ELS4_3ELNS0_20block_scan_algorithmE0ELj4294967295EEENS1_25partition_config_selectorILNS1_17partition_subalgoE3EjNS0_10empty_typeEbEEZZNS1_14partition_implILS8_3ELb0ES6_jNS0_17counting_iteratorIjlEEPS9_SE_NS0_5tupleIJPjSE_EEENSF_IJSE_SE_EEES9_SG_JZNS1_25segmented_radix_sort_implINS0_14default_configELb0EPKiPiPKlPlN2at6native12_GLOBAL__N_18offset_tEEE10hipError_tPvRmT1_PNSt15iterator_traitsISY_E10value_typeET2_T3_PNSZ_IS14_E10value_typeET4_jRbjT5_S1A_jjP12ihipStream_tbEUljE_EEESV_SW_SX_S14_S18_S1A_T6_T7_T9_mT8_S1C_bDpT10_ENKUlT_T0_E_clISt17integral_constantIbLb1EES1P_EEDaS1K_S1L_EUlS1K_E_NS1_11comp_targetILNS1_3genE3ELNS1_11target_archE908ELNS1_3gpuE7ELNS1_3repE0EEENS1_30default_config_static_selectorELNS0_4arch9wavefront6targetE0EEEvSY_.num_agpr, 0
	.set _ZN7rocprim17ROCPRIM_400000_NS6detail17trampoline_kernelINS0_13select_configILj256ELj13ELNS0_17block_load_methodE3ELS4_3ELS4_3ELNS0_20block_scan_algorithmE0ELj4294967295EEENS1_25partition_config_selectorILNS1_17partition_subalgoE3EjNS0_10empty_typeEbEEZZNS1_14partition_implILS8_3ELb0ES6_jNS0_17counting_iteratorIjlEEPS9_SE_NS0_5tupleIJPjSE_EEENSF_IJSE_SE_EEES9_SG_JZNS1_25segmented_radix_sort_implINS0_14default_configELb0EPKiPiPKlPlN2at6native12_GLOBAL__N_18offset_tEEE10hipError_tPvRmT1_PNSt15iterator_traitsISY_E10value_typeET2_T3_PNSZ_IS14_E10value_typeET4_jRbjT5_S1A_jjP12ihipStream_tbEUljE_EEESV_SW_SX_S14_S18_S1A_T6_T7_T9_mT8_S1C_bDpT10_ENKUlT_T0_E_clISt17integral_constantIbLb1EES1P_EEDaS1K_S1L_EUlS1K_E_NS1_11comp_targetILNS1_3genE3ELNS1_11target_archE908ELNS1_3gpuE7ELNS1_3repE0EEENS1_30default_config_static_selectorELNS0_4arch9wavefront6targetE0EEEvSY_.numbered_sgpr, 0
	.set _ZN7rocprim17ROCPRIM_400000_NS6detail17trampoline_kernelINS0_13select_configILj256ELj13ELNS0_17block_load_methodE3ELS4_3ELS4_3ELNS0_20block_scan_algorithmE0ELj4294967295EEENS1_25partition_config_selectorILNS1_17partition_subalgoE3EjNS0_10empty_typeEbEEZZNS1_14partition_implILS8_3ELb0ES6_jNS0_17counting_iteratorIjlEEPS9_SE_NS0_5tupleIJPjSE_EEENSF_IJSE_SE_EEES9_SG_JZNS1_25segmented_radix_sort_implINS0_14default_configELb0EPKiPiPKlPlN2at6native12_GLOBAL__N_18offset_tEEE10hipError_tPvRmT1_PNSt15iterator_traitsISY_E10value_typeET2_T3_PNSZ_IS14_E10value_typeET4_jRbjT5_S1A_jjP12ihipStream_tbEUljE_EEESV_SW_SX_S14_S18_S1A_T6_T7_T9_mT8_S1C_bDpT10_ENKUlT_T0_E_clISt17integral_constantIbLb1EES1P_EEDaS1K_S1L_EUlS1K_E_NS1_11comp_targetILNS1_3genE3ELNS1_11target_archE908ELNS1_3gpuE7ELNS1_3repE0EEENS1_30default_config_static_selectorELNS0_4arch9wavefront6targetE0EEEvSY_.num_named_barrier, 0
	.set _ZN7rocprim17ROCPRIM_400000_NS6detail17trampoline_kernelINS0_13select_configILj256ELj13ELNS0_17block_load_methodE3ELS4_3ELS4_3ELNS0_20block_scan_algorithmE0ELj4294967295EEENS1_25partition_config_selectorILNS1_17partition_subalgoE3EjNS0_10empty_typeEbEEZZNS1_14partition_implILS8_3ELb0ES6_jNS0_17counting_iteratorIjlEEPS9_SE_NS0_5tupleIJPjSE_EEENSF_IJSE_SE_EEES9_SG_JZNS1_25segmented_radix_sort_implINS0_14default_configELb0EPKiPiPKlPlN2at6native12_GLOBAL__N_18offset_tEEE10hipError_tPvRmT1_PNSt15iterator_traitsISY_E10value_typeET2_T3_PNSZ_IS14_E10value_typeET4_jRbjT5_S1A_jjP12ihipStream_tbEUljE_EEESV_SW_SX_S14_S18_S1A_T6_T7_T9_mT8_S1C_bDpT10_ENKUlT_T0_E_clISt17integral_constantIbLb1EES1P_EEDaS1K_S1L_EUlS1K_E_NS1_11comp_targetILNS1_3genE3ELNS1_11target_archE908ELNS1_3gpuE7ELNS1_3repE0EEENS1_30default_config_static_selectorELNS0_4arch9wavefront6targetE0EEEvSY_.private_seg_size, 0
	.set _ZN7rocprim17ROCPRIM_400000_NS6detail17trampoline_kernelINS0_13select_configILj256ELj13ELNS0_17block_load_methodE3ELS4_3ELS4_3ELNS0_20block_scan_algorithmE0ELj4294967295EEENS1_25partition_config_selectorILNS1_17partition_subalgoE3EjNS0_10empty_typeEbEEZZNS1_14partition_implILS8_3ELb0ES6_jNS0_17counting_iteratorIjlEEPS9_SE_NS0_5tupleIJPjSE_EEENSF_IJSE_SE_EEES9_SG_JZNS1_25segmented_radix_sort_implINS0_14default_configELb0EPKiPiPKlPlN2at6native12_GLOBAL__N_18offset_tEEE10hipError_tPvRmT1_PNSt15iterator_traitsISY_E10value_typeET2_T3_PNSZ_IS14_E10value_typeET4_jRbjT5_S1A_jjP12ihipStream_tbEUljE_EEESV_SW_SX_S14_S18_S1A_T6_T7_T9_mT8_S1C_bDpT10_ENKUlT_T0_E_clISt17integral_constantIbLb1EES1P_EEDaS1K_S1L_EUlS1K_E_NS1_11comp_targetILNS1_3genE3ELNS1_11target_archE908ELNS1_3gpuE7ELNS1_3repE0EEENS1_30default_config_static_selectorELNS0_4arch9wavefront6targetE0EEEvSY_.uses_vcc, 0
	.set _ZN7rocprim17ROCPRIM_400000_NS6detail17trampoline_kernelINS0_13select_configILj256ELj13ELNS0_17block_load_methodE3ELS4_3ELS4_3ELNS0_20block_scan_algorithmE0ELj4294967295EEENS1_25partition_config_selectorILNS1_17partition_subalgoE3EjNS0_10empty_typeEbEEZZNS1_14partition_implILS8_3ELb0ES6_jNS0_17counting_iteratorIjlEEPS9_SE_NS0_5tupleIJPjSE_EEENSF_IJSE_SE_EEES9_SG_JZNS1_25segmented_radix_sort_implINS0_14default_configELb0EPKiPiPKlPlN2at6native12_GLOBAL__N_18offset_tEEE10hipError_tPvRmT1_PNSt15iterator_traitsISY_E10value_typeET2_T3_PNSZ_IS14_E10value_typeET4_jRbjT5_S1A_jjP12ihipStream_tbEUljE_EEESV_SW_SX_S14_S18_S1A_T6_T7_T9_mT8_S1C_bDpT10_ENKUlT_T0_E_clISt17integral_constantIbLb1EES1P_EEDaS1K_S1L_EUlS1K_E_NS1_11comp_targetILNS1_3genE3ELNS1_11target_archE908ELNS1_3gpuE7ELNS1_3repE0EEENS1_30default_config_static_selectorELNS0_4arch9wavefront6targetE0EEEvSY_.uses_flat_scratch, 0
	.set _ZN7rocprim17ROCPRIM_400000_NS6detail17trampoline_kernelINS0_13select_configILj256ELj13ELNS0_17block_load_methodE3ELS4_3ELS4_3ELNS0_20block_scan_algorithmE0ELj4294967295EEENS1_25partition_config_selectorILNS1_17partition_subalgoE3EjNS0_10empty_typeEbEEZZNS1_14partition_implILS8_3ELb0ES6_jNS0_17counting_iteratorIjlEEPS9_SE_NS0_5tupleIJPjSE_EEENSF_IJSE_SE_EEES9_SG_JZNS1_25segmented_radix_sort_implINS0_14default_configELb0EPKiPiPKlPlN2at6native12_GLOBAL__N_18offset_tEEE10hipError_tPvRmT1_PNSt15iterator_traitsISY_E10value_typeET2_T3_PNSZ_IS14_E10value_typeET4_jRbjT5_S1A_jjP12ihipStream_tbEUljE_EEESV_SW_SX_S14_S18_S1A_T6_T7_T9_mT8_S1C_bDpT10_ENKUlT_T0_E_clISt17integral_constantIbLb1EES1P_EEDaS1K_S1L_EUlS1K_E_NS1_11comp_targetILNS1_3genE3ELNS1_11target_archE908ELNS1_3gpuE7ELNS1_3repE0EEENS1_30default_config_static_selectorELNS0_4arch9wavefront6targetE0EEEvSY_.has_dyn_sized_stack, 0
	.set _ZN7rocprim17ROCPRIM_400000_NS6detail17trampoline_kernelINS0_13select_configILj256ELj13ELNS0_17block_load_methodE3ELS4_3ELS4_3ELNS0_20block_scan_algorithmE0ELj4294967295EEENS1_25partition_config_selectorILNS1_17partition_subalgoE3EjNS0_10empty_typeEbEEZZNS1_14partition_implILS8_3ELb0ES6_jNS0_17counting_iteratorIjlEEPS9_SE_NS0_5tupleIJPjSE_EEENSF_IJSE_SE_EEES9_SG_JZNS1_25segmented_radix_sort_implINS0_14default_configELb0EPKiPiPKlPlN2at6native12_GLOBAL__N_18offset_tEEE10hipError_tPvRmT1_PNSt15iterator_traitsISY_E10value_typeET2_T3_PNSZ_IS14_E10value_typeET4_jRbjT5_S1A_jjP12ihipStream_tbEUljE_EEESV_SW_SX_S14_S18_S1A_T6_T7_T9_mT8_S1C_bDpT10_ENKUlT_T0_E_clISt17integral_constantIbLb1EES1P_EEDaS1K_S1L_EUlS1K_E_NS1_11comp_targetILNS1_3genE3ELNS1_11target_archE908ELNS1_3gpuE7ELNS1_3repE0EEENS1_30default_config_static_selectorELNS0_4arch9wavefront6targetE0EEEvSY_.has_recursion, 0
	.set _ZN7rocprim17ROCPRIM_400000_NS6detail17trampoline_kernelINS0_13select_configILj256ELj13ELNS0_17block_load_methodE3ELS4_3ELS4_3ELNS0_20block_scan_algorithmE0ELj4294967295EEENS1_25partition_config_selectorILNS1_17partition_subalgoE3EjNS0_10empty_typeEbEEZZNS1_14partition_implILS8_3ELb0ES6_jNS0_17counting_iteratorIjlEEPS9_SE_NS0_5tupleIJPjSE_EEENSF_IJSE_SE_EEES9_SG_JZNS1_25segmented_radix_sort_implINS0_14default_configELb0EPKiPiPKlPlN2at6native12_GLOBAL__N_18offset_tEEE10hipError_tPvRmT1_PNSt15iterator_traitsISY_E10value_typeET2_T3_PNSZ_IS14_E10value_typeET4_jRbjT5_S1A_jjP12ihipStream_tbEUljE_EEESV_SW_SX_S14_S18_S1A_T6_T7_T9_mT8_S1C_bDpT10_ENKUlT_T0_E_clISt17integral_constantIbLb1EES1P_EEDaS1K_S1L_EUlS1K_E_NS1_11comp_targetILNS1_3genE3ELNS1_11target_archE908ELNS1_3gpuE7ELNS1_3repE0EEENS1_30default_config_static_selectorELNS0_4arch9wavefront6targetE0EEEvSY_.has_indirect_call, 0
	.section	.AMDGPU.csdata,"",@progbits
; Kernel info:
; codeLenInByte = 0
; TotalNumSgprs: 0
; NumVgprs: 0
; ScratchSize: 0
; MemoryBound: 0
; FloatMode: 240
; IeeeMode: 1
; LDSByteSize: 0 bytes/workgroup (compile time only)
; SGPRBlocks: 0
; VGPRBlocks: 0
; NumSGPRsForWavesPerEU: 1
; NumVGPRsForWavesPerEU: 1
; Occupancy: 16
; WaveLimiterHint : 0
; COMPUTE_PGM_RSRC2:SCRATCH_EN: 0
; COMPUTE_PGM_RSRC2:USER_SGPR: 2
; COMPUTE_PGM_RSRC2:TRAP_HANDLER: 0
; COMPUTE_PGM_RSRC2:TGID_X_EN: 1
; COMPUTE_PGM_RSRC2:TGID_Y_EN: 0
; COMPUTE_PGM_RSRC2:TGID_Z_EN: 0
; COMPUTE_PGM_RSRC2:TIDIG_COMP_CNT: 0
	.section	.text._ZN7rocprim17ROCPRIM_400000_NS6detail17trampoline_kernelINS0_13select_configILj256ELj13ELNS0_17block_load_methodE3ELS4_3ELS4_3ELNS0_20block_scan_algorithmE0ELj4294967295EEENS1_25partition_config_selectorILNS1_17partition_subalgoE3EjNS0_10empty_typeEbEEZZNS1_14partition_implILS8_3ELb0ES6_jNS0_17counting_iteratorIjlEEPS9_SE_NS0_5tupleIJPjSE_EEENSF_IJSE_SE_EEES9_SG_JZNS1_25segmented_radix_sort_implINS0_14default_configELb0EPKiPiPKlPlN2at6native12_GLOBAL__N_18offset_tEEE10hipError_tPvRmT1_PNSt15iterator_traitsISY_E10value_typeET2_T3_PNSZ_IS14_E10value_typeET4_jRbjT5_S1A_jjP12ihipStream_tbEUljE_EEESV_SW_SX_S14_S18_S1A_T6_T7_T9_mT8_S1C_bDpT10_ENKUlT_T0_E_clISt17integral_constantIbLb1EES1P_EEDaS1K_S1L_EUlS1K_E_NS1_11comp_targetILNS1_3genE2ELNS1_11target_archE906ELNS1_3gpuE6ELNS1_3repE0EEENS1_30default_config_static_selectorELNS0_4arch9wavefront6targetE0EEEvSY_,"axG",@progbits,_ZN7rocprim17ROCPRIM_400000_NS6detail17trampoline_kernelINS0_13select_configILj256ELj13ELNS0_17block_load_methodE3ELS4_3ELS4_3ELNS0_20block_scan_algorithmE0ELj4294967295EEENS1_25partition_config_selectorILNS1_17partition_subalgoE3EjNS0_10empty_typeEbEEZZNS1_14partition_implILS8_3ELb0ES6_jNS0_17counting_iteratorIjlEEPS9_SE_NS0_5tupleIJPjSE_EEENSF_IJSE_SE_EEES9_SG_JZNS1_25segmented_radix_sort_implINS0_14default_configELb0EPKiPiPKlPlN2at6native12_GLOBAL__N_18offset_tEEE10hipError_tPvRmT1_PNSt15iterator_traitsISY_E10value_typeET2_T3_PNSZ_IS14_E10value_typeET4_jRbjT5_S1A_jjP12ihipStream_tbEUljE_EEESV_SW_SX_S14_S18_S1A_T6_T7_T9_mT8_S1C_bDpT10_ENKUlT_T0_E_clISt17integral_constantIbLb1EES1P_EEDaS1K_S1L_EUlS1K_E_NS1_11comp_targetILNS1_3genE2ELNS1_11target_archE906ELNS1_3gpuE6ELNS1_3repE0EEENS1_30default_config_static_selectorELNS0_4arch9wavefront6targetE0EEEvSY_,comdat
	.globl	_ZN7rocprim17ROCPRIM_400000_NS6detail17trampoline_kernelINS0_13select_configILj256ELj13ELNS0_17block_load_methodE3ELS4_3ELS4_3ELNS0_20block_scan_algorithmE0ELj4294967295EEENS1_25partition_config_selectorILNS1_17partition_subalgoE3EjNS0_10empty_typeEbEEZZNS1_14partition_implILS8_3ELb0ES6_jNS0_17counting_iteratorIjlEEPS9_SE_NS0_5tupleIJPjSE_EEENSF_IJSE_SE_EEES9_SG_JZNS1_25segmented_radix_sort_implINS0_14default_configELb0EPKiPiPKlPlN2at6native12_GLOBAL__N_18offset_tEEE10hipError_tPvRmT1_PNSt15iterator_traitsISY_E10value_typeET2_T3_PNSZ_IS14_E10value_typeET4_jRbjT5_S1A_jjP12ihipStream_tbEUljE_EEESV_SW_SX_S14_S18_S1A_T6_T7_T9_mT8_S1C_bDpT10_ENKUlT_T0_E_clISt17integral_constantIbLb1EES1P_EEDaS1K_S1L_EUlS1K_E_NS1_11comp_targetILNS1_3genE2ELNS1_11target_archE906ELNS1_3gpuE6ELNS1_3repE0EEENS1_30default_config_static_selectorELNS0_4arch9wavefront6targetE0EEEvSY_ ; -- Begin function _ZN7rocprim17ROCPRIM_400000_NS6detail17trampoline_kernelINS0_13select_configILj256ELj13ELNS0_17block_load_methodE3ELS4_3ELS4_3ELNS0_20block_scan_algorithmE0ELj4294967295EEENS1_25partition_config_selectorILNS1_17partition_subalgoE3EjNS0_10empty_typeEbEEZZNS1_14partition_implILS8_3ELb0ES6_jNS0_17counting_iteratorIjlEEPS9_SE_NS0_5tupleIJPjSE_EEENSF_IJSE_SE_EEES9_SG_JZNS1_25segmented_radix_sort_implINS0_14default_configELb0EPKiPiPKlPlN2at6native12_GLOBAL__N_18offset_tEEE10hipError_tPvRmT1_PNSt15iterator_traitsISY_E10value_typeET2_T3_PNSZ_IS14_E10value_typeET4_jRbjT5_S1A_jjP12ihipStream_tbEUljE_EEESV_SW_SX_S14_S18_S1A_T6_T7_T9_mT8_S1C_bDpT10_ENKUlT_T0_E_clISt17integral_constantIbLb1EES1P_EEDaS1K_S1L_EUlS1K_E_NS1_11comp_targetILNS1_3genE2ELNS1_11target_archE906ELNS1_3gpuE6ELNS1_3repE0EEENS1_30default_config_static_selectorELNS0_4arch9wavefront6targetE0EEEvSY_
	.p2align	8
	.type	_ZN7rocprim17ROCPRIM_400000_NS6detail17trampoline_kernelINS0_13select_configILj256ELj13ELNS0_17block_load_methodE3ELS4_3ELS4_3ELNS0_20block_scan_algorithmE0ELj4294967295EEENS1_25partition_config_selectorILNS1_17partition_subalgoE3EjNS0_10empty_typeEbEEZZNS1_14partition_implILS8_3ELb0ES6_jNS0_17counting_iteratorIjlEEPS9_SE_NS0_5tupleIJPjSE_EEENSF_IJSE_SE_EEES9_SG_JZNS1_25segmented_radix_sort_implINS0_14default_configELb0EPKiPiPKlPlN2at6native12_GLOBAL__N_18offset_tEEE10hipError_tPvRmT1_PNSt15iterator_traitsISY_E10value_typeET2_T3_PNSZ_IS14_E10value_typeET4_jRbjT5_S1A_jjP12ihipStream_tbEUljE_EEESV_SW_SX_S14_S18_S1A_T6_T7_T9_mT8_S1C_bDpT10_ENKUlT_T0_E_clISt17integral_constantIbLb1EES1P_EEDaS1K_S1L_EUlS1K_E_NS1_11comp_targetILNS1_3genE2ELNS1_11target_archE906ELNS1_3gpuE6ELNS1_3repE0EEENS1_30default_config_static_selectorELNS0_4arch9wavefront6targetE0EEEvSY_,@function
_ZN7rocprim17ROCPRIM_400000_NS6detail17trampoline_kernelINS0_13select_configILj256ELj13ELNS0_17block_load_methodE3ELS4_3ELS4_3ELNS0_20block_scan_algorithmE0ELj4294967295EEENS1_25partition_config_selectorILNS1_17partition_subalgoE3EjNS0_10empty_typeEbEEZZNS1_14partition_implILS8_3ELb0ES6_jNS0_17counting_iteratorIjlEEPS9_SE_NS0_5tupleIJPjSE_EEENSF_IJSE_SE_EEES9_SG_JZNS1_25segmented_radix_sort_implINS0_14default_configELb0EPKiPiPKlPlN2at6native12_GLOBAL__N_18offset_tEEE10hipError_tPvRmT1_PNSt15iterator_traitsISY_E10value_typeET2_T3_PNSZ_IS14_E10value_typeET4_jRbjT5_S1A_jjP12ihipStream_tbEUljE_EEESV_SW_SX_S14_S18_S1A_T6_T7_T9_mT8_S1C_bDpT10_ENKUlT_T0_E_clISt17integral_constantIbLb1EES1P_EEDaS1K_S1L_EUlS1K_E_NS1_11comp_targetILNS1_3genE2ELNS1_11target_archE906ELNS1_3gpuE6ELNS1_3repE0EEENS1_30default_config_static_selectorELNS0_4arch9wavefront6targetE0EEEvSY_: ; @_ZN7rocprim17ROCPRIM_400000_NS6detail17trampoline_kernelINS0_13select_configILj256ELj13ELNS0_17block_load_methodE3ELS4_3ELS4_3ELNS0_20block_scan_algorithmE0ELj4294967295EEENS1_25partition_config_selectorILNS1_17partition_subalgoE3EjNS0_10empty_typeEbEEZZNS1_14partition_implILS8_3ELb0ES6_jNS0_17counting_iteratorIjlEEPS9_SE_NS0_5tupleIJPjSE_EEENSF_IJSE_SE_EEES9_SG_JZNS1_25segmented_radix_sort_implINS0_14default_configELb0EPKiPiPKlPlN2at6native12_GLOBAL__N_18offset_tEEE10hipError_tPvRmT1_PNSt15iterator_traitsISY_E10value_typeET2_T3_PNSZ_IS14_E10value_typeET4_jRbjT5_S1A_jjP12ihipStream_tbEUljE_EEESV_SW_SX_S14_S18_S1A_T6_T7_T9_mT8_S1C_bDpT10_ENKUlT_T0_E_clISt17integral_constantIbLb1EES1P_EEDaS1K_S1L_EUlS1K_E_NS1_11comp_targetILNS1_3genE2ELNS1_11target_archE906ELNS1_3gpuE6ELNS1_3repE0EEENS1_30default_config_static_selectorELNS0_4arch9wavefront6targetE0EEEvSY_
; %bb.0:
	.section	.rodata,"a",@progbits
	.p2align	6, 0x0
	.amdhsa_kernel _ZN7rocprim17ROCPRIM_400000_NS6detail17trampoline_kernelINS0_13select_configILj256ELj13ELNS0_17block_load_methodE3ELS4_3ELS4_3ELNS0_20block_scan_algorithmE0ELj4294967295EEENS1_25partition_config_selectorILNS1_17partition_subalgoE3EjNS0_10empty_typeEbEEZZNS1_14partition_implILS8_3ELb0ES6_jNS0_17counting_iteratorIjlEEPS9_SE_NS0_5tupleIJPjSE_EEENSF_IJSE_SE_EEES9_SG_JZNS1_25segmented_radix_sort_implINS0_14default_configELb0EPKiPiPKlPlN2at6native12_GLOBAL__N_18offset_tEEE10hipError_tPvRmT1_PNSt15iterator_traitsISY_E10value_typeET2_T3_PNSZ_IS14_E10value_typeET4_jRbjT5_S1A_jjP12ihipStream_tbEUljE_EEESV_SW_SX_S14_S18_S1A_T6_T7_T9_mT8_S1C_bDpT10_ENKUlT_T0_E_clISt17integral_constantIbLb1EES1P_EEDaS1K_S1L_EUlS1K_E_NS1_11comp_targetILNS1_3genE2ELNS1_11target_archE906ELNS1_3gpuE6ELNS1_3repE0EEENS1_30default_config_static_selectorELNS0_4arch9wavefront6targetE0EEEvSY_
		.amdhsa_group_segment_fixed_size 0
		.amdhsa_private_segment_fixed_size 0
		.amdhsa_kernarg_size 152
		.amdhsa_user_sgpr_count 2
		.amdhsa_user_sgpr_dispatch_ptr 0
		.amdhsa_user_sgpr_queue_ptr 0
		.amdhsa_user_sgpr_kernarg_segment_ptr 1
		.amdhsa_user_sgpr_dispatch_id 0
		.amdhsa_user_sgpr_private_segment_size 0
		.amdhsa_wavefront_size32 1
		.amdhsa_uses_dynamic_stack 0
		.amdhsa_enable_private_segment 0
		.amdhsa_system_sgpr_workgroup_id_x 1
		.amdhsa_system_sgpr_workgroup_id_y 0
		.amdhsa_system_sgpr_workgroup_id_z 0
		.amdhsa_system_sgpr_workgroup_info 0
		.amdhsa_system_vgpr_workitem_id 0
		.amdhsa_next_free_vgpr 1
		.amdhsa_next_free_sgpr 1
		.amdhsa_reserve_vcc 0
		.amdhsa_float_round_mode_32 0
		.amdhsa_float_round_mode_16_64 0
		.amdhsa_float_denorm_mode_32 3
		.amdhsa_float_denorm_mode_16_64 3
		.amdhsa_fp16_overflow 0
		.amdhsa_workgroup_processor_mode 1
		.amdhsa_memory_ordered 1
		.amdhsa_forward_progress 1
		.amdhsa_inst_pref_size 0
		.amdhsa_round_robin_scheduling 0
		.amdhsa_exception_fp_ieee_invalid_op 0
		.amdhsa_exception_fp_denorm_src 0
		.amdhsa_exception_fp_ieee_div_zero 0
		.amdhsa_exception_fp_ieee_overflow 0
		.amdhsa_exception_fp_ieee_underflow 0
		.amdhsa_exception_fp_ieee_inexact 0
		.amdhsa_exception_int_div_zero 0
	.end_amdhsa_kernel
	.section	.text._ZN7rocprim17ROCPRIM_400000_NS6detail17trampoline_kernelINS0_13select_configILj256ELj13ELNS0_17block_load_methodE3ELS4_3ELS4_3ELNS0_20block_scan_algorithmE0ELj4294967295EEENS1_25partition_config_selectorILNS1_17partition_subalgoE3EjNS0_10empty_typeEbEEZZNS1_14partition_implILS8_3ELb0ES6_jNS0_17counting_iteratorIjlEEPS9_SE_NS0_5tupleIJPjSE_EEENSF_IJSE_SE_EEES9_SG_JZNS1_25segmented_radix_sort_implINS0_14default_configELb0EPKiPiPKlPlN2at6native12_GLOBAL__N_18offset_tEEE10hipError_tPvRmT1_PNSt15iterator_traitsISY_E10value_typeET2_T3_PNSZ_IS14_E10value_typeET4_jRbjT5_S1A_jjP12ihipStream_tbEUljE_EEESV_SW_SX_S14_S18_S1A_T6_T7_T9_mT8_S1C_bDpT10_ENKUlT_T0_E_clISt17integral_constantIbLb1EES1P_EEDaS1K_S1L_EUlS1K_E_NS1_11comp_targetILNS1_3genE2ELNS1_11target_archE906ELNS1_3gpuE6ELNS1_3repE0EEENS1_30default_config_static_selectorELNS0_4arch9wavefront6targetE0EEEvSY_,"axG",@progbits,_ZN7rocprim17ROCPRIM_400000_NS6detail17trampoline_kernelINS0_13select_configILj256ELj13ELNS0_17block_load_methodE3ELS4_3ELS4_3ELNS0_20block_scan_algorithmE0ELj4294967295EEENS1_25partition_config_selectorILNS1_17partition_subalgoE3EjNS0_10empty_typeEbEEZZNS1_14partition_implILS8_3ELb0ES6_jNS0_17counting_iteratorIjlEEPS9_SE_NS0_5tupleIJPjSE_EEENSF_IJSE_SE_EEES9_SG_JZNS1_25segmented_radix_sort_implINS0_14default_configELb0EPKiPiPKlPlN2at6native12_GLOBAL__N_18offset_tEEE10hipError_tPvRmT1_PNSt15iterator_traitsISY_E10value_typeET2_T3_PNSZ_IS14_E10value_typeET4_jRbjT5_S1A_jjP12ihipStream_tbEUljE_EEESV_SW_SX_S14_S18_S1A_T6_T7_T9_mT8_S1C_bDpT10_ENKUlT_T0_E_clISt17integral_constantIbLb1EES1P_EEDaS1K_S1L_EUlS1K_E_NS1_11comp_targetILNS1_3genE2ELNS1_11target_archE906ELNS1_3gpuE6ELNS1_3repE0EEENS1_30default_config_static_selectorELNS0_4arch9wavefront6targetE0EEEvSY_,comdat
.Lfunc_end580:
	.size	_ZN7rocprim17ROCPRIM_400000_NS6detail17trampoline_kernelINS0_13select_configILj256ELj13ELNS0_17block_load_methodE3ELS4_3ELS4_3ELNS0_20block_scan_algorithmE0ELj4294967295EEENS1_25partition_config_selectorILNS1_17partition_subalgoE3EjNS0_10empty_typeEbEEZZNS1_14partition_implILS8_3ELb0ES6_jNS0_17counting_iteratorIjlEEPS9_SE_NS0_5tupleIJPjSE_EEENSF_IJSE_SE_EEES9_SG_JZNS1_25segmented_radix_sort_implINS0_14default_configELb0EPKiPiPKlPlN2at6native12_GLOBAL__N_18offset_tEEE10hipError_tPvRmT1_PNSt15iterator_traitsISY_E10value_typeET2_T3_PNSZ_IS14_E10value_typeET4_jRbjT5_S1A_jjP12ihipStream_tbEUljE_EEESV_SW_SX_S14_S18_S1A_T6_T7_T9_mT8_S1C_bDpT10_ENKUlT_T0_E_clISt17integral_constantIbLb1EES1P_EEDaS1K_S1L_EUlS1K_E_NS1_11comp_targetILNS1_3genE2ELNS1_11target_archE906ELNS1_3gpuE6ELNS1_3repE0EEENS1_30default_config_static_selectorELNS0_4arch9wavefront6targetE0EEEvSY_, .Lfunc_end580-_ZN7rocprim17ROCPRIM_400000_NS6detail17trampoline_kernelINS0_13select_configILj256ELj13ELNS0_17block_load_methodE3ELS4_3ELS4_3ELNS0_20block_scan_algorithmE0ELj4294967295EEENS1_25partition_config_selectorILNS1_17partition_subalgoE3EjNS0_10empty_typeEbEEZZNS1_14partition_implILS8_3ELb0ES6_jNS0_17counting_iteratorIjlEEPS9_SE_NS0_5tupleIJPjSE_EEENSF_IJSE_SE_EEES9_SG_JZNS1_25segmented_radix_sort_implINS0_14default_configELb0EPKiPiPKlPlN2at6native12_GLOBAL__N_18offset_tEEE10hipError_tPvRmT1_PNSt15iterator_traitsISY_E10value_typeET2_T3_PNSZ_IS14_E10value_typeET4_jRbjT5_S1A_jjP12ihipStream_tbEUljE_EEESV_SW_SX_S14_S18_S1A_T6_T7_T9_mT8_S1C_bDpT10_ENKUlT_T0_E_clISt17integral_constantIbLb1EES1P_EEDaS1K_S1L_EUlS1K_E_NS1_11comp_targetILNS1_3genE2ELNS1_11target_archE906ELNS1_3gpuE6ELNS1_3repE0EEENS1_30default_config_static_selectorELNS0_4arch9wavefront6targetE0EEEvSY_
                                        ; -- End function
	.set _ZN7rocprim17ROCPRIM_400000_NS6detail17trampoline_kernelINS0_13select_configILj256ELj13ELNS0_17block_load_methodE3ELS4_3ELS4_3ELNS0_20block_scan_algorithmE0ELj4294967295EEENS1_25partition_config_selectorILNS1_17partition_subalgoE3EjNS0_10empty_typeEbEEZZNS1_14partition_implILS8_3ELb0ES6_jNS0_17counting_iteratorIjlEEPS9_SE_NS0_5tupleIJPjSE_EEENSF_IJSE_SE_EEES9_SG_JZNS1_25segmented_radix_sort_implINS0_14default_configELb0EPKiPiPKlPlN2at6native12_GLOBAL__N_18offset_tEEE10hipError_tPvRmT1_PNSt15iterator_traitsISY_E10value_typeET2_T3_PNSZ_IS14_E10value_typeET4_jRbjT5_S1A_jjP12ihipStream_tbEUljE_EEESV_SW_SX_S14_S18_S1A_T6_T7_T9_mT8_S1C_bDpT10_ENKUlT_T0_E_clISt17integral_constantIbLb1EES1P_EEDaS1K_S1L_EUlS1K_E_NS1_11comp_targetILNS1_3genE2ELNS1_11target_archE906ELNS1_3gpuE6ELNS1_3repE0EEENS1_30default_config_static_selectorELNS0_4arch9wavefront6targetE0EEEvSY_.num_vgpr, 0
	.set _ZN7rocprim17ROCPRIM_400000_NS6detail17trampoline_kernelINS0_13select_configILj256ELj13ELNS0_17block_load_methodE3ELS4_3ELS4_3ELNS0_20block_scan_algorithmE0ELj4294967295EEENS1_25partition_config_selectorILNS1_17partition_subalgoE3EjNS0_10empty_typeEbEEZZNS1_14partition_implILS8_3ELb0ES6_jNS0_17counting_iteratorIjlEEPS9_SE_NS0_5tupleIJPjSE_EEENSF_IJSE_SE_EEES9_SG_JZNS1_25segmented_radix_sort_implINS0_14default_configELb0EPKiPiPKlPlN2at6native12_GLOBAL__N_18offset_tEEE10hipError_tPvRmT1_PNSt15iterator_traitsISY_E10value_typeET2_T3_PNSZ_IS14_E10value_typeET4_jRbjT5_S1A_jjP12ihipStream_tbEUljE_EEESV_SW_SX_S14_S18_S1A_T6_T7_T9_mT8_S1C_bDpT10_ENKUlT_T0_E_clISt17integral_constantIbLb1EES1P_EEDaS1K_S1L_EUlS1K_E_NS1_11comp_targetILNS1_3genE2ELNS1_11target_archE906ELNS1_3gpuE6ELNS1_3repE0EEENS1_30default_config_static_selectorELNS0_4arch9wavefront6targetE0EEEvSY_.num_agpr, 0
	.set _ZN7rocprim17ROCPRIM_400000_NS6detail17trampoline_kernelINS0_13select_configILj256ELj13ELNS0_17block_load_methodE3ELS4_3ELS4_3ELNS0_20block_scan_algorithmE0ELj4294967295EEENS1_25partition_config_selectorILNS1_17partition_subalgoE3EjNS0_10empty_typeEbEEZZNS1_14partition_implILS8_3ELb0ES6_jNS0_17counting_iteratorIjlEEPS9_SE_NS0_5tupleIJPjSE_EEENSF_IJSE_SE_EEES9_SG_JZNS1_25segmented_radix_sort_implINS0_14default_configELb0EPKiPiPKlPlN2at6native12_GLOBAL__N_18offset_tEEE10hipError_tPvRmT1_PNSt15iterator_traitsISY_E10value_typeET2_T3_PNSZ_IS14_E10value_typeET4_jRbjT5_S1A_jjP12ihipStream_tbEUljE_EEESV_SW_SX_S14_S18_S1A_T6_T7_T9_mT8_S1C_bDpT10_ENKUlT_T0_E_clISt17integral_constantIbLb1EES1P_EEDaS1K_S1L_EUlS1K_E_NS1_11comp_targetILNS1_3genE2ELNS1_11target_archE906ELNS1_3gpuE6ELNS1_3repE0EEENS1_30default_config_static_selectorELNS0_4arch9wavefront6targetE0EEEvSY_.numbered_sgpr, 0
	.set _ZN7rocprim17ROCPRIM_400000_NS6detail17trampoline_kernelINS0_13select_configILj256ELj13ELNS0_17block_load_methodE3ELS4_3ELS4_3ELNS0_20block_scan_algorithmE0ELj4294967295EEENS1_25partition_config_selectorILNS1_17partition_subalgoE3EjNS0_10empty_typeEbEEZZNS1_14partition_implILS8_3ELb0ES6_jNS0_17counting_iteratorIjlEEPS9_SE_NS0_5tupleIJPjSE_EEENSF_IJSE_SE_EEES9_SG_JZNS1_25segmented_radix_sort_implINS0_14default_configELb0EPKiPiPKlPlN2at6native12_GLOBAL__N_18offset_tEEE10hipError_tPvRmT1_PNSt15iterator_traitsISY_E10value_typeET2_T3_PNSZ_IS14_E10value_typeET4_jRbjT5_S1A_jjP12ihipStream_tbEUljE_EEESV_SW_SX_S14_S18_S1A_T6_T7_T9_mT8_S1C_bDpT10_ENKUlT_T0_E_clISt17integral_constantIbLb1EES1P_EEDaS1K_S1L_EUlS1K_E_NS1_11comp_targetILNS1_3genE2ELNS1_11target_archE906ELNS1_3gpuE6ELNS1_3repE0EEENS1_30default_config_static_selectorELNS0_4arch9wavefront6targetE0EEEvSY_.num_named_barrier, 0
	.set _ZN7rocprim17ROCPRIM_400000_NS6detail17trampoline_kernelINS0_13select_configILj256ELj13ELNS0_17block_load_methodE3ELS4_3ELS4_3ELNS0_20block_scan_algorithmE0ELj4294967295EEENS1_25partition_config_selectorILNS1_17partition_subalgoE3EjNS0_10empty_typeEbEEZZNS1_14partition_implILS8_3ELb0ES6_jNS0_17counting_iteratorIjlEEPS9_SE_NS0_5tupleIJPjSE_EEENSF_IJSE_SE_EEES9_SG_JZNS1_25segmented_radix_sort_implINS0_14default_configELb0EPKiPiPKlPlN2at6native12_GLOBAL__N_18offset_tEEE10hipError_tPvRmT1_PNSt15iterator_traitsISY_E10value_typeET2_T3_PNSZ_IS14_E10value_typeET4_jRbjT5_S1A_jjP12ihipStream_tbEUljE_EEESV_SW_SX_S14_S18_S1A_T6_T7_T9_mT8_S1C_bDpT10_ENKUlT_T0_E_clISt17integral_constantIbLb1EES1P_EEDaS1K_S1L_EUlS1K_E_NS1_11comp_targetILNS1_3genE2ELNS1_11target_archE906ELNS1_3gpuE6ELNS1_3repE0EEENS1_30default_config_static_selectorELNS0_4arch9wavefront6targetE0EEEvSY_.private_seg_size, 0
	.set _ZN7rocprim17ROCPRIM_400000_NS6detail17trampoline_kernelINS0_13select_configILj256ELj13ELNS0_17block_load_methodE3ELS4_3ELS4_3ELNS0_20block_scan_algorithmE0ELj4294967295EEENS1_25partition_config_selectorILNS1_17partition_subalgoE3EjNS0_10empty_typeEbEEZZNS1_14partition_implILS8_3ELb0ES6_jNS0_17counting_iteratorIjlEEPS9_SE_NS0_5tupleIJPjSE_EEENSF_IJSE_SE_EEES9_SG_JZNS1_25segmented_radix_sort_implINS0_14default_configELb0EPKiPiPKlPlN2at6native12_GLOBAL__N_18offset_tEEE10hipError_tPvRmT1_PNSt15iterator_traitsISY_E10value_typeET2_T3_PNSZ_IS14_E10value_typeET4_jRbjT5_S1A_jjP12ihipStream_tbEUljE_EEESV_SW_SX_S14_S18_S1A_T6_T7_T9_mT8_S1C_bDpT10_ENKUlT_T0_E_clISt17integral_constantIbLb1EES1P_EEDaS1K_S1L_EUlS1K_E_NS1_11comp_targetILNS1_3genE2ELNS1_11target_archE906ELNS1_3gpuE6ELNS1_3repE0EEENS1_30default_config_static_selectorELNS0_4arch9wavefront6targetE0EEEvSY_.uses_vcc, 0
	.set _ZN7rocprim17ROCPRIM_400000_NS6detail17trampoline_kernelINS0_13select_configILj256ELj13ELNS0_17block_load_methodE3ELS4_3ELS4_3ELNS0_20block_scan_algorithmE0ELj4294967295EEENS1_25partition_config_selectorILNS1_17partition_subalgoE3EjNS0_10empty_typeEbEEZZNS1_14partition_implILS8_3ELb0ES6_jNS0_17counting_iteratorIjlEEPS9_SE_NS0_5tupleIJPjSE_EEENSF_IJSE_SE_EEES9_SG_JZNS1_25segmented_radix_sort_implINS0_14default_configELb0EPKiPiPKlPlN2at6native12_GLOBAL__N_18offset_tEEE10hipError_tPvRmT1_PNSt15iterator_traitsISY_E10value_typeET2_T3_PNSZ_IS14_E10value_typeET4_jRbjT5_S1A_jjP12ihipStream_tbEUljE_EEESV_SW_SX_S14_S18_S1A_T6_T7_T9_mT8_S1C_bDpT10_ENKUlT_T0_E_clISt17integral_constantIbLb1EES1P_EEDaS1K_S1L_EUlS1K_E_NS1_11comp_targetILNS1_3genE2ELNS1_11target_archE906ELNS1_3gpuE6ELNS1_3repE0EEENS1_30default_config_static_selectorELNS0_4arch9wavefront6targetE0EEEvSY_.uses_flat_scratch, 0
	.set _ZN7rocprim17ROCPRIM_400000_NS6detail17trampoline_kernelINS0_13select_configILj256ELj13ELNS0_17block_load_methodE3ELS4_3ELS4_3ELNS0_20block_scan_algorithmE0ELj4294967295EEENS1_25partition_config_selectorILNS1_17partition_subalgoE3EjNS0_10empty_typeEbEEZZNS1_14partition_implILS8_3ELb0ES6_jNS0_17counting_iteratorIjlEEPS9_SE_NS0_5tupleIJPjSE_EEENSF_IJSE_SE_EEES9_SG_JZNS1_25segmented_radix_sort_implINS0_14default_configELb0EPKiPiPKlPlN2at6native12_GLOBAL__N_18offset_tEEE10hipError_tPvRmT1_PNSt15iterator_traitsISY_E10value_typeET2_T3_PNSZ_IS14_E10value_typeET4_jRbjT5_S1A_jjP12ihipStream_tbEUljE_EEESV_SW_SX_S14_S18_S1A_T6_T7_T9_mT8_S1C_bDpT10_ENKUlT_T0_E_clISt17integral_constantIbLb1EES1P_EEDaS1K_S1L_EUlS1K_E_NS1_11comp_targetILNS1_3genE2ELNS1_11target_archE906ELNS1_3gpuE6ELNS1_3repE0EEENS1_30default_config_static_selectorELNS0_4arch9wavefront6targetE0EEEvSY_.has_dyn_sized_stack, 0
	.set _ZN7rocprim17ROCPRIM_400000_NS6detail17trampoline_kernelINS0_13select_configILj256ELj13ELNS0_17block_load_methodE3ELS4_3ELS4_3ELNS0_20block_scan_algorithmE0ELj4294967295EEENS1_25partition_config_selectorILNS1_17partition_subalgoE3EjNS0_10empty_typeEbEEZZNS1_14partition_implILS8_3ELb0ES6_jNS0_17counting_iteratorIjlEEPS9_SE_NS0_5tupleIJPjSE_EEENSF_IJSE_SE_EEES9_SG_JZNS1_25segmented_radix_sort_implINS0_14default_configELb0EPKiPiPKlPlN2at6native12_GLOBAL__N_18offset_tEEE10hipError_tPvRmT1_PNSt15iterator_traitsISY_E10value_typeET2_T3_PNSZ_IS14_E10value_typeET4_jRbjT5_S1A_jjP12ihipStream_tbEUljE_EEESV_SW_SX_S14_S18_S1A_T6_T7_T9_mT8_S1C_bDpT10_ENKUlT_T0_E_clISt17integral_constantIbLb1EES1P_EEDaS1K_S1L_EUlS1K_E_NS1_11comp_targetILNS1_3genE2ELNS1_11target_archE906ELNS1_3gpuE6ELNS1_3repE0EEENS1_30default_config_static_selectorELNS0_4arch9wavefront6targetE0EEEvSY_.has_recursion, 0
	.set _ZN7rocprim17ROCPRIM_400000_NS6detail17trampoline_kernelINS0_13select_configILj256ELj13ELNS0_17block_load_methodE3ELS4_3ELS4_3ELNS0_20block_scan_algorithmE0ELj4294967295EEENS1_25partition_config_selectorILNS1_17partition_subalgoE3EjNS0_10empty_typeEbEEZZNS1_14partition_implILS8_3ELb0ES6_jNS0_17counting_iteratorIjlEEPS9_SE_NS0_5tupleIJPjSE_EEENSF_IJSE_SE_EEES9_SG_JZNS1_25segmented_radix_sort_implINS0_14default_configELb0EPKiPiPKlPlN2at6native12_GLOBAL__N_18offset_tEEE10hipError_tPvRmT1_PNSt15iterator_traitsISY_E10value_typeET2_T3_PNSZ_IS14_E10value_typeET4_jRbjT5_S1A_jjP12ihipStream_tbEUljE_EEESV_SW_SX_S14_S18_S1A_T6_T7_T9_mT8_S1C_bDpT10_ENKUlT_T0_E_clISt17integral_constantIbLb1EES1P_EEDaS1K_S1L_EUlS1K_E_NS1_11comp_targetILNS1_3genE2ELNS1_11target_archE906ELNS1_3gpuE6ELNS1_3repE0EEENS1_30default_config_static_selectorELNS0_4arch9wavefront6targetE0EEEvSY_.has_indirect_call, 0
	.section	.AMDGPU.csdata,"",@progbits
; Kernel info:
; codeLenInByte = 0
; TotalNumSgprs: 0
; NumVgprs: 0
; ScratchSize: 0
; MemoryBound: 0
; FloatMode: 240
; IeeeMode: 1
; LDSByteSize: 0 bytes/workgroup (compile time only)
; SGPRBlocks: 0
; VGPRBlocks: 0
; NumSGPRsForWavesPerEU: 1
; NumVGPRsForWavesPerEU: 1
; Occupancy: 16
; WaveLimiterHint : 0
; COMPUTE_PGM_RSRC2:SCRATCH_EN: 0
; COMPUTE_PGM_RSRC2:USER_SGPR: 2
; COMPUTE_PGM_RSRC2:TRAP_HANDLER: 0
; COMPUTE_PGM_RSRC2:TGID_X_EN: 1
; COMPUTE_PGM_RSRC2:TGID_Y_EN: 0
; COMPUTE_PGM_RSRC2:TGID_Z_EN: 0
; COMPUTE_PGM_RSRC2:TIDIG_COMP_CNT: 0
	.section	.text._ZN7rocprim17ROCPRIM_400000_NS6detail17trampoline_kernelINS0_13select_configILj256ELj13ELNS0_17block_load_methodE3ELS4_3ELS4_3ELNS0_20block_scan_algorithmE0ELj4294967295EEENS1_25partition_config_selectorILNS1_17partition_subalgoE3EjNS0_10empty_typeEbEEZZNS1_14partition_implILS8_3ELb0ES6_jNS0_17counting_iteratorIjlEEPS9_SE_NS0_5tupleIJPjSE_EEENSF_IJSE_SE_EEES9_SG_JZNS1_25segmented_radix_sort_implINS0_14default_configELb0EPKiPiPKlPlN2at6native12_GLOBAL__N_18offset_tEEE10hipError_tPvRmT1_PNSt15iterator_traitsISY_E10value_typeET2_T3_PNSZ_IS14_E10value_typeET4_jRbjT5_S1A_jjP12ihipStream_tbEUljE_EEESV_SW_SX_S14_S18_S1A_T6_T7_T9_mT8_S1C_bDpT10_ENKUlT_T0_E_clISt17integral_constantIbLb1EES1P_EEDaS1K_S1L_EUlS1K_E_NS1_11comp_targetILNS1_3genE10ELNS1_11target_archE1200ELNS1_3gpuE4ELNS1_3repE0EEENS1_30default_config_static_selectorELNS0_4arch9wavefront6targetE0EEEvSY_,"axG",@progbits,_ZN7rocprim17ROCPRIM_400000_NS6detail17trampoline_kernelINS0_13select_configILj256ELj13ELNS0_17block_load_methodE3ELS4_3ELS4_3ELNS0_20block_scan_algorithmE0ELj4294967295EEENS1_25partition_config_selectorILNS1_17partition_subalgoE3EjNS0_10empty_typeEbEEZZNS1_14partition_implILS8_3ELb0ES6_jNS0_17counting_iteratorIjlEEPS9_SE_NS0_5tupleIJPjSE_EEENSF_IJSE_SE_EEES9_SG_JZNS1_25segmented_radix_sort_implINS0_14default_configELb0EPKiPiPKlPlN2at6native12_GLOBAL__N_18offset_tEEE10hipError_tPvRmT1_PNSt15iterator_traitsISY_E10value_typeET2_T3_PNSZ_IS14_E10value_typeET4_jRbjT5_S1A_jjP12ihipStream_tbEUljE_EEESV_SW_SX_S14_S18_S1A_T6_T7_T9_mT8_S1C_bDpT10_ENKUlT_T0_E_clISt17integral_constantIbLb1EES1P_EEDaS1K_S1L_EUlS1K_E_NS1_11comp_targetILNS1_3genE10ELNS1_11target_archE1200ELNS1_3gpuE4ELNS1_3repE0EEENS1_30default_config_static_selectorELNS0_4arch9wavefront6targetE0EEEvSY_,comdat
	.globl	_ZN7rocprim17ROCPRIM_400000_NS6detail17trampoline_kernelINS0_13select_configILj256ELj13ELNS0_17block_load_methodE3ELS4_3ELS4_3ELNS0_20block_scan_algorithmE0ELj4294967295EEENS1_25partition_config_selectorILNS1_17partition_subalgoE3EjNS0_10empty_typeEbEEZZNS1_14partition_implILS8_3ELb0ES6_jNS0_17counting_iteratorIjlEEPS9_SE_NS0_5tupleIJPjSE_EEENSF_IJSE_SE_EEES9_SG_JZNS1_25segmented_radix_sort_implINS0_14default_configELb0EPKiPiPKlPlN2at6native12_GLOBAL__N_18offset_tEEE10hipError_tPvRmT1_PNSt15iterator_traitsISY_E10value_typeET2_T3_PNSZ_IS14_E10value_typeET4_jRbjT5_S1A_jjP12ihipStream_tbEUljE_EEESV_SW_SX_S14_S18_S1A_T6_T7_T9_mT8_S1C_bDpT10_ENKUlT_T0_E_clISt17integral_constantIbLb1EES1P_EEDaS1K_S1L_EUlS1K_E_NS1_11comp_targetILNS1_3genE10ELNS1_11target_archE1200ELNS1_3gpuE4ELNS1_3repE0EEENS1_30default_config_static_selectorELNS0_4arch9wavefront6targetE0EEEvSY_ ; -- Begin function _ZN7rocprim17ROCPRIM_400000_NS6detail17trampoline_kernelINS0_13select_configILj256ELj13ELNS0_17block_load_methodE3ELS4_3ELS4_3ELNS0_20block_scan_algorithmE0ELj4294967295EEENS1_25partition_config_selectorILNS1_17partition_subalgoE3EjNS0_10empty_typeEbEEZZNS1_14partition_implILS8_3ELb0ES6_jNS0_17counting_iteratorIjlEEPS9_SE_NS0_5tupleIJPjSE_EEENSF_IJSE_SE_EEES9_SG_JZNS1_25segmented_radix_sort_implINS0_14default_configELb0EPKiPiPKlPlN2at6native12_GLOBAL__N_18offset_tEEE10hipError_tPvRmT1_PNSt15iterator_traitsISY_E10value_typeET2_T3_PNSZ_IS14_E10value_typeET4_jRbjT5_S1A_jjP12ihipStream_tbEUljE_EEESV_SW_SX_S14_S18_S1A_T6_T7_T9_mT8_S1C_bDpT10_ENKUlT_T0_E_clISt17integral_constantIbLb1EES1P_EEDaS1K_S1L_EUlS1K_E_NS1_11comp_targetILNS1_3genE10ELNS1_11target_archE1200ELNS1_3gpuE4ELNS1_3repE0EEENS1_30default_config_static_selectorELNS0_4arch9wavefront6targetE0EEEvSY_
	.p2align	8
	.type	_ZN7rocprim17ROCPRIM_400000_NS6detail17trampoline_kernelINS0_13select_configILj256ELj13ELNS0_17block_load_methodE3ELS4_3ELS4_3ELNS0_20block_scan_algorithmE0ELj4294967295EEENS1_25partition_config_selectorILNS1_17partition_subalgoE3EjNS0_10empty_typeEbEEZZNS1_14partition_implILS8_3ELb0ES6_jNS0_17counting_iteratorIjlEEPS9_SE_NS0_5tupleIJPjSE_EEENSF_IJSE_SE_EEES9_SG_JZNS1_25segmented_radix_sort_implINS0_14default_configELb0EPKiPiPKlPlN2at6native12_GLOBAL__N_18offset_tEEE10hipError_tPvRmT1_PNSt15iterator_traitsISY_E10value_typeET2_T3_PNSZ_IS14_E10value_typeET4_jRbjT5_S1A_jjP12ihipStream_tbEUljE_EEESV_SW_SX_S14_S18_S1A_T6_T7_T9_mT8_S1C_bDpT10_ENKUlT_T0_E_clISt17integral_constantIbLb1EES1P_EEDaS1K_S1L_EUlS1K_E_NS1_11comp_targetILNS1_3genE10ELNS1_11target_archE1200ELNS1_3gpuE4ELNS1_3repE0EEENS1_30default_config_static_selectorELNS0_4arch9wavefront6targetE0EEEvSY_,@function
_ZN7rocprim17ROCPRIM_400000_NS6detail17trampoline_kernelINS0_13select_configILj256ELj13ELNS0_17block_load_methodE3ELS4_3ELS4_3ELNS0_20block_scan_algorithmE0ELj4294967295EEENS1_25partition_config_selectorILNS1_17partition_subalgoE3EjNS0_10empty_typeEbEEZZNS1_14partition_implILS8_3ELb0ES6_jNS0_17counting_iteratorIjlEEPS9_SE_NS0_5tupleIJPjSE_EEENSF_IJSE_SE_EEES9_SG_JZNS1_25segmented_radix_sort_implINS0_14default_configELb0EPKiPiPKlPlN2at6native12_GLOBAL__N_18offset_tEEE10hipError_tPvRmT1_PNSt15iterator_traitsISY_E10value_typeET2_T3_PNSZ_IS14_E10value_typeET4_jRbjT5_S1A_jjP12ihipStream_tbEUljE_EEESV_SW_SX_S14_S18_S1A_T6_T7_T9_mT8_S1C_bDpT10_ENKUlT_T0_E_clISt17integral_constantIbLb1EES1P_EEDaS1K_S1L_EUlS1K_E_NS1_11comp_targetILNS1_3genE10ELNS1_11target_archE1200ELNS1_3gpuE4ELNS1_3repE0EEENS1_30default_config_static_selectorELNS0_4arch9wavefront6targetE0EEEvSY_: ; @_ZN7rocprim17ROCPRIM_400000_NS6detail17trampoline_kernelINS0_13select_configILj256ELj13ELNS0_17block_load_methodE3ELS4_3ELS4_3ELNS0_20block_scan_algorithmE0ELj4294967295EEENS1_25partition_config_selectorILNS1_17partition_subalgoE3EjNS0_10empty_typeEbEEZZNS1_14partition_implILS8_3ELb0ES6_jNS0_17counting_iteratorIjlEEPS9_SE_NS0_5tupleIJPjSE_EEENSF_IJSE_SE_EEES9_SG_JZNS1_25segmented_radix_sort_implINS0_14default_configELb0EPKiPiPKlPlN2at6native12_GLOBAL__N_18offset_tEEE10hipError_tPvRmT1_PNSt15iterator_traitsISY_E10value_typeET2_T3_PNSZ_IS14_E10value_typeET4_jRbjT5_S1A_jjP12ihipStream_tbEUljE_EEESV_SW_SX_S14_S18_S1A_T6_T7_T9_mT8_S1C_bDpT10_ENKUlT_T0_E_clISt17integral_constantIbLb1EES1P_EEDaS1K_S1L_EUlS1K_E_NS1_11comp_targetILNS1_3genE10ELNS1_11target_archE1200ELNS1_3gpuE4ELNS1_3repE0EEENS1_30default_config_static_selectorELNS0_4arch9wavefront6targetE0EEEvSY_
; %bb.0:
	s_endpgm
	.section	.rodata,"a",@progbits
	.p2align	6, 0x0
	.amdhsa_kernel _ZN7rocprim17ROCPRIM_400000_NS6detail17trampoline_kernelINS0_13select_configILj256ELj13ELNS0_17block_load_methodE3ELS4_3ELS4_3ELNS0_20block_scan_algorithmE0ELj4294967295EEENS1_25partition_config_selectorILNS1_17partition_subalgoE3EjNS0_10empty_typeEbEEZZNS1_14partition_implILS8_3ELb0ES6_jNS0_17counting_iteratorIjlEEPS9_SE_NS0_5tupleIJPjSE_EEENSF_IJSE_SE_EEES9_SG_JZNS1_25segmented_radix_sort_implINS0_14default_configELb0EPKiPiPKlPlN2at6native12_GLOBAL__N_18offset_tEEE10hipError_tPvRmT1_PNSt15iterator_traitsISY_E10value_typeET2_T3_PNSZ_IS14_E10value_typeET4_jRbjT5_S1A_jjP12ihipStream_tbEUljE_EEESV_SW_SX_S14_S18_S1A_T6_T7_T9_mT8_S1C_bDpT10_ENKUlT_T0_E_clISt17integral_constantIbLb1EES1P_EEDaS1K_S1L_EUlS1K_E_NS1_11comp_targetILNS1_3genE10ELNS1_11target_archE1200ELNS1_3gpuE4ELNS1_3repE0EEENS1_30default_config_static_selectorELNS0_4arch9wavefront6targetE0EEEvSY_
		.amdhsa_group_segment_fixed_size 0
		.amdhsa_private_segment_fixed_size 0
		.amdhsa_kernarg_size 152
		.amdhsa_user_sgpr_count 2
		.amdhsa_user_sgpr_dispatch_ptr 0
		.amdhsa_user_sgpr_queue_ptr 0
		.amdhsa_user_sgpr_kernarg_segment_ptr 1
		.amdhsa_user_sgpr_dispatch_id 0
		.amdhsa_user_sgpr_private_segment_size 0
		.amdhsa_wavefront_size32 1
		.amdhsa_uses_dynamic_stack 0
		.amdhsa_enable_private_segment 0
		.amdhsa_system_sgpr_workgroup_id_x 1
		.amdhsa_system_sgpr_workgroup_id_y 0
		.amdhsa_system_sgpr_workgroup_id_z 0
		.amdhsa_system_sgpr_workgroup_info 0
		.amdhsa_system_vgpr_workitem_id 0
		.amdhsa_next_free_vgpr 1
		.amdhsa_next_free_sgpr 1
		.amdhsa_reserve_vcc 0
		.amdhsa_float_round_mode_32 0
		.amdhsa_float_round_mode_16_64 0
		.amdhsa_float_denorm_mode_32 3
		.amdhsa_float_denorm_mode_16_64 3
		.amdhsa_fp16_overflow 0
		.amdhsa_workgroup_processor_mode 1
		.amdhsa_memory_ordered 1
		.amdhsa_forward_progress 1
		.amdhsa_inst_pref_size 1
		.amdhsa_round_robin_scheduling 0
		.amdhsa_exception_fp_ieee_invalid_op 0
		.amdhsa_exception_fp_denorm_src 0
		.amdhsa_exception_fp_ieee_div_zero 0
		.amdhsa_exception_fp_ieee_overflow 0
		.amdhsa_exception_fp_ieee_underflow 0
		.amdhsa_exception_fp_ieee_inexact 0
		.amdhsa_exception_int_div_zero 0
	.end_amdhsa_kernel
	.section	.text._ZN7rocprim17ROCPRIM_400000_NS6detail17trampoline_kernelINS0_13select_configILj256ELj13ELNS0_17block_load_methodE3ELS4_3ELS4_3ELNS0_20block_scan_algorithmE0ELj4294967295EEENS1_25partition_config_selectorILNS1_17partition_subalgoE3EjNS0_10empty_typeEbEEZZNS1_14partition_implILS8_3ELb0ES6_jNS0_17counting_iteratorIjlEEPS9_SE_NS0_5tupleIJPjSE_EEENSF_IJSE_SE_EEES9_SG_JZNS1_25segmented_radix_sort_implINS0_14default_configELb0EPKiPiPKlPlN2at6native12_GLOBAL__N_18offset_tEEE10hipError_tPvRmT1_PNSt15iterator_traitsISY_E10value_typeET2_T3_PNSZ_IS14_E10value_typeET4_jRbjT5_S1A_jjP12ihipStream_tbEUljE_EEESV_SW_SX_S14_S18_S1A_T6_T7_T9_mT8_S1C_bDpT10_ENKUlT_T0_E_clISt17integral_constantIbLb1EES1P_EEDaS1K_S1L_EUlS1K_E_NS1_11comp_targetILNS1_3genE10ELNS1_11target_archE1200ELNS1_3gpuE4ELNS1_3repE0EEENS1_30default_config_static_selectorELNS0_4arch9wavefront6targetE0EEEvSY_,"axG",@progbits,_ZN7rocprim17ROCPRIM_400000_NS6detail17trampoline_kernelINS0_13select_configILj256ELj13ELNS0_17block_load_methodE3ELS4_3ELS4_3ELNS0_20block_scan_algorithmE0ELj4294967295EEENS1_25partition_config_selectorILNS1_17partition_subalgoE3EjNS0_10empty_typeEbEEZZNS1_14partition_implILS8_3ELb0ES6_jNS0_17counting_iteratorIjlEEPS9_SE_NS0_5tupleIJPjSE_EEENSF_IJSE_SE_EEES9_SG_JZNS1_25segmented_radix_sort_implINS0_14default_configELb0EPKiPiPKlPlN2at6native12_GLOBAL__N_18offset_tEEE10hipError_tPvRmT1_PNSt15iterator_traitsISY_E10value_typeET2_T3_PNSZ_IS14_E10value_typeET4_jRbjT5_S1A_jjP12ihipStream_tbEUljE_EEESV_SW_SX_S14_S18_S1A_T6_T7_T9_mT8_S1C_bDpT10_ENKUlT_T0_E_clISt17integral_constantIbLb1EES1P_EEDaS1K_S1L_EUlS1K_E_NS1_11comp_targetILNS1_3genE10ELNS1_11target_archE1200ELNS1_3gpuE4ELNS1_3repE0EEENS1_30default_config_static_selectorELNS0_4arch9wavefront6targetE0EEEvSY_,comdat
.Lfunc_end581:
	.size	_ZN7rocprim17ROCPRIM_400000_NS6detail17trampoline_kernelINS0_13select_configILj256ELj13ELNS0_17block_load_methodE3ELS4_3ELS4_3ELNS0_20block_scan_algorithmE0ELj4294967295EEENS1_25partition_config_selectorILNS1_17partition_subalgoE3EjNS0_10empty_typeEbEEZZNS1_14partition_implILS8_3ELb0ES6_jNS0_17counting_iteratorIjlEEPS9_SE_NS0_5tupleIJPjSE_EEENSF_IJSE_SE_EEES9_SG_JZNS1_25segmented_radix_sort_implINS0_14default_configELb0EPKiPiPKlPlN2at6native12_GLOBAL__N_18offset_tEEE10hipError_tPvRmT1_PNSt15iterator_traitsISY_E10value_typeET2_T3_PNSZ_IS14_E10value_typeET4_jRbjT5_S1A_jjP12ihipStream_tbEUljE_EEESV_SW_SX_S14_S18_S1A_T6_T7_T9_mT8_S1C_bDpT10_ENKUlT_T0_E_clISt17integral_constantIbLb1EES1P_EEDaS1K_S1L_EUlS1K_E_NS1_11comp_targetILNS1_3genE10ELNS1_11target_archE1200ELNS1_3gpuE4ELNS1_3repE0EEENS1_30default_config_static_selectorELNS0_4arch9wavefront6targetE0EEEvSY_, .Lfunc_end581-_ZN7rocprim17ROCPRIM_400000_NS6detail17trampoline_kernelINS0_13select_configILj256ELj13ELNS0_17block_load_methodE3ELS4_3ELS4_3ELNS0_20block_scan_algorithmE0ELj4294967295EEENS1_25partition_config_selectorILNS1_17partition_subalgoE3EjNS0_10empty_typeEbEEZZNS1_14partition_implILS8_3ELb0ES6_jNS0_17counting_iteratorIjlEEPS9_SE_NS0_5tupleIJPjSE_EEENSF_IJSE_SE_EEES9_SG_JZNS1_25segmented_radix_sort_implINS0_14default_configELb0EPKiPiPKlPlN2at6native12_GLOBAL__N_18offset_tEEE10hipError_tPvRmT1_PNSt15iterator_traitsISY_E10value_typeET2_T3_PNSZ_IS14_E10value_typeET4_jRbjT5_S1A_jjP12ihipStream_tbEUljE_EEESV_SW_SX_S14_S18_S1A_T6_T7_T9_mT8_S1C_bDpT10_ENKUlT_T0_E_clISt17integral_constantIbLb1EES1P_EEDaS1K_S1L_EUlS1K_E_NS1_11comp_targetILNS1_3genE10ELNS1_11target_archE1200ELNS1_3gpuE4ELNS1_3repE0EEENS1_30default_config_static_selectorELNS0_4arch9wavefront6targetE0EEEvSY_
                                        ; -- End function
	.set _ZN7rocprim17ROCPRIM_400000_NS6detail17trampoline_kernelINS0_13select_configILj256ELj13ELNS0_17block_load_methodE3ELS4_3ELS4_3ELNS0_20block_scan_algorithmE0ELj4294967295EEENS1_25partition_config_selectorILNS1_17partition_subalgoE3EjNS0_10empty_typeEbEEZZNS1_14partition_implILS8_3ELb0ES6_jNS0_17counting_iteratorIjlEEPS9_SE_NS0_5tupleIJPjSE_EEENSF_IJSE_SE_EEES9_SG_JZNS1_25segmented_radix_sort_implINS0_14default_configELb0EPKiPiPKlPlN2at6native12_GLOBAL__N_18offset_tEEE10hipError_tPvRmT1_PNSt15iterator_traitsISY_E10value_typeET2_T3_PNSZ_IS14_E10value_typeET4_jRbjT5_S1A_jjP12ihipStream_tbEUljE_EEESV_SW_SX_S14_S18_S1A_T6_T7_T9_mT8_S1C_bDpT10_ENKUlT_T0_E_clISt17integral_constantIbLb1EES1P_EEDaS1K_S1L_EUlS1K_E_NS1_11comp_targetILNS1_3genE10ELNS1_11target_archE1200ELNS1_3gpuE4ELNS1_3repE0EEENS1_30default_config_static_selectorELNS0_4arch9wavefront6targetE0EEEvSY_.num_vgpr, 0
	.set _ZN7rocprim17ROCPRIM_400000_NS6detail17trampoline_kernelINS0_13select_configILj256ELj13ELNS0_17block_load_methodE3ELS4_3ELS4_3ELNS0_20block_scan_algorithmE0ELj4294967295EEENS1_25partition_config_selectorILNS1_17partition_subalgoE3EjNS0_10empty_typeEbEEZZNS1_14partition_implILS8_3ELb0ES6_jNS0_17counting_iteratorIjlEEPS9_SE_NS0_5tupleIJPjSE_EEENSF_IJSE_SE_EEES9_SG_JZNS1_25segmented_radix_sort_implINS0_14default_configELb0EPKiPiPKlPlN2at6native12_GLOBAL__N_18offset_tEEE10hipError_tPvRmT1_PNSt15iterator_traitsISY_E10value_typeET2_T3_PNSZ_IS14_E10value_typeET4_jRbjT5_S1A_jjP12ihipStream_tbEUljE_EEESV_SW_SX_S14_S18_S1A_T6_T7_T9_mT8_S1C_bDpT10_ENKUlT_T0_E_clISt17integral_constantIbLb1EES1P_EEDaS1K_S1L_EUlS1K_E_NS1_11comp_targetILNS1_3genE10ELNS1_11target_archE1200ELNS1_3gpuE4ELNS1_3repE0EEENS1_30default_config_static_selectorELNS0_4arch9wavefront6targetE0EEEvSY_.num_agpr, 0
	.set _ZN7rocprim17ROCPRIM_400000_NS6detail17trampoline_kernelINS0_13select_configILj256ELj13ELNS0_17block_load_methodE3ELS4_3ELS4_3ELNS0_20block_scan_algorithmE0ELj4294967295EEENS1_25partition_config_selectorILNS1_17partition_subalgoE3EjNS0_10empty_typeEbEEZZNS1_14partition_implILS8_3ELb0ES6_jNS0_17counting_iteratorIjlEEPS9_SE_NS0_5tupleIJPjSE_EEENSF_IJSE_SE_EEES9_SG_JZNS1_25segmented_radix_sort_implINS0_14default_configELb0EPKiPiPKlPlN2at6native12_GLOBAL__N_18offset_tEEE10hipError_tPvRmT1_PNSt15iterator_traitsISY_E10value_typeET2_T3_PNSZ_IS14_E10value_typeET4_jRbjT5_S1A_jjP12ihipStream_tbEUljE_EEESV_SW_SX_S14_S18_S1A_T6_T7_T9_mT8_S1C_bDpT10_ENKUlT_T0_E_clISt17integral_constantIbLb1EES1P_EEDaS1K_S1L_EUlS1K_E_NS1_11comp_targetILNS1_3genE10ELNS1_11target_archE1200ELNS1_3gpuE4ELNS1_3repE0EEENS1_30default_config_static_selectorELNS0_4arch9wavefront6targetE0EEEvSY_.numbered_sgpr, 0
	.set _ZN7rocprim17ROCPRIM_400000_NS6detail17trampoline_kernelINS0_13select_configILj256ELj13ELNS0_17block_load_methodE3ELS4_3ELS4_3ELNS0_20block_scan_algorithmE0ELj4294967295EEENS1_25partition_config_selectorILNS1_17partition_subalgoE3EjNS0_10empty_typeEbEEZZNS1_14partition_implILS8_3ELb0ES6_jNS0_17counting_iteratorIjlEEPS9_SE_NS0_5tupleIJPjSE_EEENSF_IJSE_SE_EEES9_SG_JZNS1_25segmented_radix_sort_implINS0_14default_configELb0EPKiPiPKlPlN2at6native12_GLOBAL__N_18offset_tEEE10hipError_tPvRmT1_PNSt15iterator_traitsISY_E10value_typeET2_T3_PNSZ_IS14_E10value_typeET4_jRbjT5_S1A_jjP12ihipStream_tbEUljE_EEESV_SW_SX_S14_S18_S1A_T6_T7_T9_mT8_S1C_bDpT10_ENKUlT_T0_E_clISt17integral_constantIbLb1EES1P_EEDaS1K_S1L_EUlS1K_E_NS1_11comp_targetILNS1_3genE10ELNS1_11target_archE1200ELNS1_3gpuE4ELNS1_3repE0EEENS1_30default_config_static_selectorELNS0_4arch9wavefront6targetE0EEEvSY_.num_named_barrier, 0
	.set _ZN7rocprim17ROCPRIM_400000_NS6detail17trampoline_kernelINS0_13select_configILj256ELj13ELNS0_17block_load_methodE3ELS4_3ELS4_3ELNS0_20block_scan_algorithmE0ELj4294967295EEENS1_25partition_config_selectorILNS1_17partition_subalgoE3EjNS0_10empty_typeEbEEZZNS1_14partition_implILS8_3ELb0ES6_jNS0_17counting_iteratorIjlEEPS9_SE_NS0_5tupleIJPjSE_EEENSF_IJSE_SE_EEES9_SG_JZNS1_25segmented_radix_sort_implINS0_14default_configELb0EPKiPiPKlPlN2at6native12_GLOBAL__N_18offset_tEEE10hipError_tPvRmT1_PNSt15iterator_traitsISY_E10value_typeET2_T3_PNSZ_IS14_E10value_typeET4_jRbjT5_S1A_jjP12ihipStream_tbEUljE_EEESV_SW_SX_S14_S18_S1A_T6_T7_T9_mT8_S1C_bDpT10_ENKUlT_T0_E_clISt17integral_constantIbLb1EES1P_EEDaS1K_S1L_EUlS1K_E_NS1_11comp_targetILNS1_3genE10ELNS1_11target_archE1200ELNS1_3gpuE4ELNS1_3repE0EEENS1_30default_config_static_selectorELNS0_4arch9wavefront6targetE0EEEvSY_.private_seg_size, 0
	.set _ZN7rocprim17ROCPRIM_400000_NS6detail17trampoline_kernelINS0_13select_configILj256ELj13ELNS0_17block_load_methodE3ELS4_3ELS4_3ELNS0_20block_scan_algorithmE0ELj4294967295EEENS1_25partition_config_selectorILNS1_17partition_subalgoE3EjNS0_10empty_typeEbEEZZNS1_14partition_implILS8_3ELb0ES6_jNS0_17counting_iteratorIjlEEPS9_SE_NS0_5tupleIJPjSE_EEENSF_IJSE_SE_EEES9_SG_JZNS1_25segmented_radix_sort_implINS0_14default_configELb0EPKiPiPKlPlN2at6native12_GLOBAL__N_18offset_tEEE10hipError_tPvRmT1_PNSt15iterator_traitsISY_E10value_typeET2_T3_PNSZ_IS14_E10value_typeET4_jRbjT5_S1A_jjP12ihipStream_tbEUljE_EEESV_SW_SX_S14_S18_S1A_T6_T7_T9_mT8_S1C_bDpT10_ENKUlT_T0_E_clISt17integral_constantIbLb1EES1P_EEDaS1K_S1L_EUlS1K_E_NS1_11comp_targetILNS1_3genE10ELNS1_11target_archE1200ELNS1_3gpuE4ELNS1_3repE0EEENS1_30default_config_static_selectorELNS0_4arch9wavefront6targetE0EEEvSY_.uses_vcc, 0
	.set _ZN7rocprim17ROCPRIM_400000_NS6detail17trampoline_kernelINS0_13select_configILj256ELj13ELNS0_17block_load_methodE3ELS4_3ELS4_3ELNS0_20block_scan_algorithmE0ELj4294967295EEENS1_25partition_config_selectorILNS1_17partition_subalgoE3EjNS0_10empty_typeEbEEZZNS1_14partition_implILS8_3ELb0ES6_jNS0_17counting_iteratorIjlEEPS9_SE_NS0_5tupleIJPjSE_EEENSF_IJSE_SE_EEES9_SG_JZNS1_25segmented_radix_sort_implINS0_14default_configELb0EPKiPiPKlPlN2at6native12_GLOBAL__N_18offset_tEEE10hipError_tPvRmT1_PNSt15iterator_traitsISY_E10value_typeET2_T3_PNSZ_IS14_E10value_typeET4_jRbjT5_S1A_jjP12ihipStream_tbEUljE_EEESV_SW_SX_S14_S18_S1A_T6_T7_T9_mT8_S1C_bDpT10_ENKUlT_T0_E_clISt17integral_constantIbLb1EES1P_EEDaS1K_S1L_EUlS1K_E_NS1_11comp_targetILNS1_3genE10ELNS1_11target_archE1200ELNS1_3gpuE4ELNS1_3repE0EEENS1_30default_config_static_selectorELNS0_4arch9wavefront6targetE0EEEvSY_.uses_flat_scratch, 0
	.set _ZN7rocprim17ROCPRIM_400000_NS6detail17trampoline_kernelINS0_13select_configILj256ELj13ELNS0_17block_load_methodE3ELS4_3ELS4_3ELNS0_20block_scan_algorithmE0ELj4294967295EEENS1_25partition_config_selectorILNS1_17partition_subalgoE3EjNS0_10empty_typeEbEEZZNS1_14partition_implILS8_3ELb0ES6_jNS0_17counting_iteratorIjlEEPS9_SE_NS0_5tupleIJPjSE_EEENSF_IJSE_SE_EEES9_SG_JZNS1_25segmented_radix_sort_implINS0_14default_configELb0EPKiPiPKlPlN2at6native12_GLOBAL__N_18offset_tEEE10hipError_tPvRmT1_PNSt15iterator_traitsISY_E10value_typeET2_T3_PNSZ_IS14_E10value_typeET4_jRbjT5_S1A_jjP12ihipStream_tbEUljE_EEESV_SW_SX_S14_S18_S1A_T6_T7_T9_mT8_S1C_bDpT10_ENKUlT_T0_E_clISt17integral_constantIbLb1EES1P_EEDaS1K_S1L_EUlS1K_E_NS1_11comp_targetILNS1_3genE10ELNS1_11target_archE1200ELNS1_3gpuE4ELNS1_3repE0EEENS1_30default_config_static_selectorELNS0_4arch9wavefront6targetE0EEEvSY_.has_dyn_sized_stack, 0
	.set _ZN7rocprim17ROCPRIM_400000_NS6detail17trampoline_kernelINS0_13select_configILj256ELj13ELNS0_17block_load_methodE3ELS4_3ELS4_3ELNS0_20block_scan_algorithmE0ELj4294967295EEENS1_25partition_config_selectorILNS1_17partition_subalgoE3EjNS0_10empty_typeEbEEZZNS1_14partition_implILS8_3ELb0ES6_jNS0_17counting_iteratorIjlEEPS9_SE_NS0_5tupleIJPjSE_EEENSF_IJSE_SE_EEES9_SG_JZNS1_25segmented_radix_sort_implINS0_14default_configELb0EPKiPiPKlPlN2at6native12_GLOBAL__N_18offset_tEEE10hipError_tPvRmT1_PNSt15iterator_traitsISY_E10value_typeET2_T3_PNSZ_IS14_E10value_typeET4_jRbjT5_S1A_jjP12ihipStream_tbEUljE_EEESV_SW_SX_S14_S18_S1A_T6_T7_T9_mT8_S1C_bDpT10_ENKUlT_T0_E_clISt17integral_constantIbLb1EES1P_EEDaS1K_S1L_EUlS1K_E_NS1_11comp_targetILNS1_3genE10ELNS1_11target_archE1200ELNS1_3gpuE4ELNS1_3repE0EEENS1_30default_config_static_selectorELNS0_4arch9wavefront6targetE0EEEvSY_.has_recursion, 0
	.set _ZN7rocprim17ROCPRIM_400000_NS6detail17trampoline_kernelINS0_13select_configILj256ELj13ELNS0_17block_load_methodE3ELS4_3ELS4_3ELNS0_20block_scan_algorithmE0ELj4294967295EEENS1_25partition_config_selectorILNS1_17partition_subalgoE3EjNS0_10empty_typeEbEEZZNS1_14partition_implILS8_3ELb0ES6_jNS0_17counting_iteratorIjlEEPS9_SE_NS0_5tupleIJPjSE_EEENSF_IJSE_SE_EEES9_SG_JZNS1_25segmented_radix_sort_implINS0_14default_configELb0EPKiPiPKlPlN2at6native12_GLOBAL__N_18offset_tEEE10hipError_tPvRmT1_PNSt15iterator_traitsISY_E10value_typeET2_T3_PNSZ_IS14_E10value_typeET4_jRbjT5_S1A_jjP12ihipStream_tbEUljE_EEESV_SW_SX_S14_S18_S1A_T6_T7_T9_mT8_S1C_bDpT10_ENKUlT_T0_E_clISt17integral_constantIbLb1EES1P_EEDaS1K_S1L_EUlS1K_E_NS1_11comp_targetILNS1_3genE10ELNS1_11target_archE1200ELNS1_3gpuE4ELNS1_3repE0EEENS1_30default_config_static_selectorELNS0_4arch9wavefront6targetE0EEEvSY_.has_indirect_call, 0
	.section	.AMDGPU.csdata,"",@progbits
; Kernel info:
; codeLenInByte = 4
; TotalNumSgprs: 0
; NumVgprs: 0
; ScratchSize: 0
; MemoryBound: 0
; FloatMode: 240
; IeeeMode: 1
; LDSByteSize: 0 bytes/workgroup (compile time only)
; SGPRBlocks: 0
; VGPRBlocks: 0
; NumSGPRsForWavesPerEU: 1
; NumVGPRsForWavesPerEU: 1
; Occupancy: 16
; WaveLimiterHint : 0
; COMPUTE_PGM_RSRC2:SCRATCH_EN: 0
; COMPUTE_PGM_RSRC2:USER_SGPR: 2
; COMPUTE_PGM_RSRC2:TRAP_HANDLER: 0
; COMPUTE_PGM_RSRC2:TGID_X_EN: 1
; COMPUTE_PGM_RSRC2:TGID_Y_EN: 0
; COMPUTE_PGM_RSRC2:TGID_Z_EN: 0
; COMPUTE_PGM_RSRC2:TIDIG_COMP_CNT: 0
	.section	.text._ZN7rocprim17ROCPRIM_400000_NS6detail17trampoline_kernelINS0_13select_configILj256ELj13ELNS0_17block_load_methodE3ELS4_3ELS4_3ELNS0_20block_scan_algorithmE0ELj4294967295EEENS1_25partition_config_selectorILNS1_17partition_subalgoE3EjNS0_10empty_typeEbEEZZNS1_14partition_implILS8_3ELb0ES6_jNS0_17counting_iteratorIjlEEPS9_SE_NS0_5tupleIJPjSE_EEENSF_IJSE_SE_EEES9_SG_JZNS1_25segmented_radix_sort_implINS0_14default_configELb0EPKiPiPKlPlN2at6native12_GLOBAL__N_18offset_tEEE10hipError_tPvRmT1_PNSt15iterator_traitsISY_E10value_typeET2_T3_PNSZ_IS14_E10value_typeET4_jRbjT5_S1A_jjP12ihipStream_tbEUljE_EEESV_SW_SX_S14_S18_S1A_T6_T7_T9_mT8_S1C_bDpT10_ENKUlT_T0_E_clISt17integral_constantIbLb1EES1P_EEDaS1K_S1L_EUlS1K_E_NS1_11comp_targetILNS1_3genE9ELNS1_11target_archE1100ELNS1_3gpuE3ELNS1_3repE0EEENS1_30default_config_static_selectorELNS0_4arch9wavefront6targetE0EEEvSY_,"axG",@progbits,_ZN7rocprim17ROCPRIM_400000_NS6detail17trampoline_kernelINS0_13select_configILj256ELj13ELNS0_17block_load_methodE3ELS4_3ELS4_3ELNS0_20block_scan_algorithmE0ELj4294967295EEENS1_25partition_config_selectorILNS1_17partition_subalgoE3EjNS0_10empty_typeEbEEZZNS1_14partition_implILS8_3ELb0ES6_jNS0_17counting_iteratorIjlEEPS9_SE_NS0_5tupleIJPjSE_EEENSF_IJSE_SE_EEES9_SG_JZNS1_25segmented_radix_sort_implINS0_14default_configELb0EPKiPiPKlPlN2at6native12_GLOBAL__N_18offset_tEEE10hipError_tPvRmT1_PNSt15iterator_traitsISY_E10value_typeET2_T3_PNSZ_IS14_E10value_typeET4_jRbjT5_S1A_jjP12ihipStream_tbEUljE_EEESV_SW_SX_S14_S18_S1A_T6_T7_T9_mT8_S1C_bDpT10_ENKUlT_T0_E_clISt17integral_constantIbLb1EES1P_EEDaS1K_S1L_EUlS1K_E_NS1_11comp_targetILNS1_3genE9ELNS1_11target_archE1100ELNS1_3gpuE3ELNS1_3repE0EEENS1_30default_config_static_selectorELNS0_4arch9wavefront6targetE0EEEvSY_,comdat
	.globl	_ZN7rocprim17ROCPRIM_400000_NS6detail17trampoline_kernelINS0_13select_configILj256ELj13ELNS0_17block_load_methodE3ELS4_3ELS4_3ELNS0_20block_scan_algorithmE0ELj4294967295EEENS1_25partition_config_selectorILNS1_17partition_subalgoE3EjNS0_10empty_typeEbEEZZNS1_14partition_implILS8_3ELb0ES6_jNS0_17counting_iteratorIjlEEPS9_SE_NS0_5tupleIJPjSE_EEENSF_IJSE_SE_EEES9_SG_JZNS1_25segmented_radix_sort_implINS0_14default_configELb0EPKiPiPKlPlN2at6native12_GLOBAL__N_18offset_tEEE10hipError_tPvRmT1_PNSt15iterator_traitsISY_E10value_typeET2_T3_PNSZ_IS14_E10value_typeET4_jRbjT5_S1A_jjP12ihipStream_tbEUljE_EEESV_SW_SX_S14_S18_S1A_T6_T7_T9_mT8_S1C_bDpT10_ENKUlT_T0_E_clISt17integral_constantIbLb1EES1P_EEDaS1K_S1L_EUlS1K_E_NS1_11comp_targetILNS1_3genE9ELNS1_11target_archE1100ELNS1_3gpuE3ELNS1_3repE0EEENS1_30default_config_static_selectorELNS0_4arch9wavefront6targetE0EEEvSY_ ; -- Begin function _ZN7rocprim17ROCPRIM_400000_NS6detail17trampoline_kernelINS0_13select_configILj256ELj13ELNS0_17block_load_methodE3ELS4_3ELS4_3ELNS0_20block_scan_algorithmE0ELj4294967295EEENS1_25partition_config_selectorILNS1_17partition_subalgoE3EjNS0_10empty_typeEbEEZZNS1_14partition_implILS8_3ELb0ES6_jNS0_17counting_iteratorIjlEEPS9_SE_NS0_5tupleIJPjSE_EEENSF_IJSE_SE_EEES9_SG_JZNS1_25segmented_radix_sort_implINS0_14default_configELb0EPKiPiPKlPlN2at6native12_GLOBAL__N_18offset_tEEE10hipError_tPvRmT1_PNSt15iterator_traitsISY_E10value_typeET2_T3_PNSZ_IS14_E10value_typeET4_jRbjT5_S1A_jjP12ihipStream_tbEUljE_EEESV_SW_SX_S14_S18_S1A_T6_T7_T9_mT8_S1C_bDpT10_ENKUlT_T0_E_clISt17integral_constantIbLb1EES1P_EEDaS1K_S1L_EUlS1K_E_NS1_11comp_targetILNS1_3genE9ELNS1_11target_archE1100ELNS1_3gpuE3ELNS1_3repE0EEENS1_30default_config_static_selectorELNS0_4arch9wavefront6targetE0EEEvSY_
	.p2align	8
	.type	_ZN7rocprim17ROCPRIM_400000_NS6detail17trampoline_kernelINS0_13select_configILj256ELj13ELNS0_17block_load_methodE3ELS4_3ELS4_3ELNS0_20block_scan_algorithmE0ELj4294967295EEENS1_25partition_config_selectorILNS1_17partition_subalgoE3EjNS0_10empty_typeEbEEZZNS1_14partition_implILS8_3ELb0ES6_jNS0_17counting_iteratorIjlEEPS9_SE_NS0_5tupleIJPjSE_EEENSF_IJSE_SE_EEES9_SG_JZNS1_25segmented_radix_sort_implINS0_14default_configELb0EPKiPiPKlPlN2at6native12_GLOBAL__N_18offset_tEEE10hipError_tPvRmT1_PNSt15iterator_traitsISY_E10value_typeET2_T3_PNSZ_IS14_E10value_typeET4_jRbjT5_S1A_jjP12ihipStream_tbEUljE_EEESV_SW_SX_S14_S18_S1A_T6_T7_T9_mT8_S1C_bDpT10_ENKUlT_T0_E_clISt17integral_constantIbLb1EES1P_EEDaS1K_S1L_EUlS1K_E_NS1_11comp_targetILNS1_3genE9ELNS1_11target_archE1100ELNS1_3gpuE3ELNS1_3repE0EEENS1_30default_config_static_selectorELNS0_4arch9wavefront6targetE0EEEvSY_,@function
_ZN7rocprim17ROCPRIM_400000_NS6detail17trampoline_kernelINS0_13select_configILj256ELj13ELNS0_17block_load_methodE3ELS4_3ELS4_3ELNS0_20block_scan_algorithmE0ELj4294967295EEENS1_25partition_config_selectorILNS1_17partition_subalgoE3EjNS0_10empty_typeEbEEZZNS1_14partition_implILS8_3ELb0ES6_jNS0_17counting_iteratorIjlEEPS9_SE_NS0_5tupleIJPjSE_EEENSF_IJSE_SE_EEES9_SG_JZNS1_25segmented_radix_sort_implINS0_14default_configELb0EPKiPiPKlPlN2at6native12_GLOBAL__N_18offset_tEEE10hipError_tPvRmT1_PNSt15iterator_traitsISY_E10value_typeET2_T3_PNSZ_IS14_E10value_typeET4_jRbjT5_S1A_jjP12ihipStream_tbEUljE_EEESV_SW_SX_S14_S18_S1A_T6_T7_T9_mT8_S1C_bDpT10_ENKUlT_T0_E_clISt17integral_constantIbLb1EES1P_EEDaS1K_S1L_EUlS1K_E_NS1_11comp_targetILNS1_3genE9ELNS1_11target_archE1100ELNS1_3gpuE3ELNS1_3repE0EEENS1_30default_config_static_selectorELNS0_4arch9wavefront6targetE0EEEvSY_: ; @_ZN7rocprim17ROCPRIM_400000_NS6detail17trampoline_kernelINS0_13select_configILj256ELj13ELNS0_17block_load_methodE3ELS4_3ELS4_3ELNS0_20block_scan_algorithmE0ELj4294967295EEENS1_25partition_config_selectorILNS1_17partition_subalgoE3EjNS0_10empty_typeEbEEZZNS1_14partition_implILS8_3ELb0ES6_jNS0_17counting_iteratorIjlEEPS9_SE_NS0_5tupleIJPjSE_EEENSF_IJSE_SE_EEES9_SG_JZNS1_25segmented_radix_sort_implINS0_14default_configELb0EPKiPiPKlPlN2at6native12_GLOBAL__N_18offset_tEEE10hipError_tPvRmT1_PNSt15iterator_traitsISY_E10value_typeET2_T3_PNSZ_IS14_E10value_typeET4_jRbjT5_S1A_jjP12ihipStream_tbEUljE_EEESV_SW_SX_S14_S18_S1A_T6_T7_T9_mT8_S1C_bDpT10_ENKUlT_T0_E_clISt17integral_constantIbLb1EES1P_EEDaS1K_S1L_EUlS1K_E_NS1_11comp_targetILNS1_3genE9ELNS1_11target_archE1100ELNS1_3gpuE3ELNS1_3repE0EEENS1_30default_config_static_selectorELNS0_4arch9wavefront6targetE0EEEvSY_
; %bb.0:
	.section	.rodata,"a",@progbits
	.p2align	6, 0x0
	.amdhsa_kernel _ZN7rocprim17ROCPRIM_400000_NS6detail17trampoline_kernelINS0_13select_configILj256ELj13ELNS0_17block_load_methodE3ELS4_3ELS4_3ELNS0_20block_scan_algorithmE0ELj4294967295EEENS1_25partition_config_selectorILNS1_17partition_subalgoE3EjNS0_10empty_typeEbEEZZNS1_14partition_implILS8_3ELb0ES6_jNS0_17counting_iteratorIjlEEPS9_SE_NS0_5tupleIJPjSE_EEENSF_IJSE_SE_EEES9_SG_JZNS1_25segmented_radix_sort_implINS0_14default_configELb0EPKiPiPKlPlN2at6native12_GLOBAL__N_18offset_tEEE10hipError_tPvRmT1_PNSt15iterator_traitsISY_E10value_typeET2_T3_PNSZ_IS14_E10value_typeET4_jRbjT5_S1A_jjP12ihipStream_tbEUljE_EEESV_SW_SX_S14_S18_S1A_T6_T7_T9_mT8_S1C_bDpT10_ENKUlT_T0_E_clISt17integral_constantIbLb1EES1P_EEDaS1K_S1L_EUlS1K_E_NS1_11comp_targetILNS1_3genE9ELNS1_11target_archE1100ELNS1_3gpuE3ELNS1_3repE0EEENS1_30default_config_static_selectorELNS0_4arch9wavefront6targetE0EEEvSY_
		.amdhsa_group_segment_fixed_size 0
		.amdhsa_private_segment_fixed_size 0
		.amdhsa_kernarg_size 152
		.amdhsa_user_sgpr_count 2
		.amdhsa_user_sgpr_dispatch_ptr 0
		.amdhsa_user_sgpr_queue_ptr 0
		.amdhsa_user_sgpr_kernarg_segment_ptr 1
		.amdhsa_user_sgpr_dispatch_id 0
		.amdhsa_user_sgpr_private_segment_size 0
		.amdhsa_wavefront_size32 1
		.amdhsa_uses_dynamic_stack 0
		.amdhsa_enable_private_segment 0
		.amdhsa_system_sgpr_workgroup_id_x 1
		.amdhsa_system_sgpr_workgroup_id_y 0
		.amdhsa_system_sgpr_workgroup_id_z 0
		.amdhsa_system_sgpr_workgroup_info 0
		.amdhsa_system_vgpr_workitem_id 0
		.amdhsa_next_free_vgpr 1
		.amdhsa_next_free_sgpr 1
		.amdhsa_reserve_vcc 0
		.amdhsa_float_round_mode_32 0
		.amdhsa_float_round_mode_16_64 0
		.amdhsa_float_denorm_mode_32 3
		.amdhsa_float_denorm_mode_16_64 3
		.amdhsa_fp16_overflow 0
		.amdhsa_workgroup_processor_mode 1
		.amdhsa_memory_ordered 1
		.amdhsa_forward_progress 1
		.amdhsa_inst_pref_size 0
		.amdhsa_round_robin_scheduling 0
		.amdhsa_exception_fp_ieee_invalid_op 0
		.amdhsa_exception_fp_denorm_src 0
		.amdhsa_exception_fp_ieee_div_zero 0
		.amdhsa_exception_fp_ieee_overflow 0
		.amdhsa_exception_fp_ieee_underflow 0
		.amdhsa_exception_fp_ieee_inexact 0
		.amdhsa_exception_int_div_zero 0
	.end_amdhsa_kernel
	.section	.text._ZN7rocprim17ROCPRIM_400000_NS6detail17trampoline_kernelINS0_13select_configILj256ELj13ELNS0_17block_load_methodE3ELS4_3ELS4_3ELNS0_20block_scan_algorithmE0ELj4294967295EEENS1_25partition_config_selectorILNS1_17partition_subalgoE3EjNS0_10empty_typeEbEEZZNS1_14partition_implILS8_3ELb0ES6_jNS0_17counting_iteratorIjlEEPS9_SE_NS0_5tupleIJPjSE_EEENSF_IJSE_SE_EEES9_SG_JZNS1_25segmented_radix_sort_implINS0_14default_configELb0EPKiPiPKlPlN2at6native12_GLOBAL__N_18offset_tEEE10hipError_tPvRmT1_PNSt15iterator_traitsISY_E10value_typeET2_T3_PNSZ_IS14_E10value_typeET4_jRbjT5_S1A_jjP12ihipStream_tbEUljE_EEESV_SW_SX_S14_S18_S1A_T6_T7_T9_mT8_S1C_bDpT10_ENKUlT_T0_E_clISt17integral_constantIbLb1EES1P_EEDaS1K_S1L_EUlS1K_E_NS1_11comp_targetILNS1_3genE9ELNS1_11target_archE1100ELNS1_3gpuE3ELNS1_3repE0EEENS1_30default_config_static_selectorELNS0_4arch9wavefront6targetE0EEEvSY_,"axG",@progbits,_ZN7rocprim17ROCPRIM_400000_NS6detail17trampoline_kernelINS0_13select_configILj256ELj13ELNS0_17block_load_methodE3ELS4_3ELS4_3ELNS0_20block_scan_algorithmE0ELj4294967295EEENS1_25partition_config_selectorILNS1_17partition_subalgoE3EjNS0_10empty_typeEbEEZZNS1_14partition_implILS8_3ELb0ES6_jNS0_17counting_iteratorIjlEEPS9_SE_NS0_5tupleIJPjSE_EEENSF_IJSE_SE_EEES9_SG_JZNS1_25segmented_radix_sort_implINS0_14default_configELb0EPKiPiPKlPlN2at6native12_GLOBAL__N_18offset_tEEE10hipError_tPvRmT1_PNSt15iterator_traitsISY_E10value_typeET2_T3_PNSZ_IS14_E10value_typeET4_jRbjT5_S1A_jjP12ihipStream_tbEUljE_EEESV_SW_SX_S14_S18_S1A_T6_T7_T9_mT8_S1C_bDpT10_ENKUlT_T0_E_clISt17integral_constantIbLb1EES1P_EEDaS1K_S1L_EUlS1K_E_NS1_11comp_targetILNS1_3genE9ELNS1_11target_archE1100ELNS1_3gpuE3ELNS1_3repE0EEENS1_30default_config_static_selectorELNS0_4arch9wavefront6targetE0EEEvSY_,comdat
.Lfunc_end582:
	.size	_ZN7rocprim17ROCPRIM_400000_NS6detail17trampoline_kernelINS0_13select_configILj256ELj13ELNS0_17block_load_methodE3ELS4_3ELS4_3ELNS0_20block_scan_algorithmE0ELj4294967295EEENS1_25partition_config_selectorILNS1_17partition_subalgoE3EjNS0_10empty_typeEbEEZZNS1_14partition_implILS8_3ELb0ES6_jNS0_17counting_iteratorIjlEEPS9_SE_NS0_5tupleIJPjSE_EEENSF_IJSE_SE_EEES9_SG_JZNS1_25segmented_radix_sort_implINS0_14default_configELb0EPKiPiPKlPlN2at6native12_GLOBAL__N_18offset_tEEE10hipError_tPvRmT1_PNSt15iterator_traitsISY_E10value_typeET2_T3_PNSZ_IS14_E10value_typeET4_jRbjT5_S1A_jjP12ihipStream_tbEUljE_EEESV_SW_SX_S14_S18_S1A_T6_T7_T9_mT8_S1C_bDpT10_ENKUlT_T0_E_clISt17integral_constantIbLb1EES1P_EEDaS1K_S1L_EUlS1K_E_NS1_11comp_targetILNS1_3genE9ELNS1_11target_archE1100ELNS1_3gpuE3ELNS1_3repE0EEENS1_30default_config_static_selectorELNS0_4arch9wavefront6targetE0EEEvSY_, .Lfunc_end582-_ZN7rocprim17ROCPRIM_400000_NS6detail17trampoline_kernelINS0_13select_configILj256ELj13ELNS0_17block_load_methodE3ELS4_3ELS4_3ELNS0_20block_scan_algorithmE0ELj4294967295EEENS1_25partition_config_selectorILNS1_17partition_subalgoE3EjNS0_10empty_typeEbEEZZNS1_14partition_implILS8_3ELb0ES6_jNS0_17counting_iteratorIjlEEPS9_SE_NS0_5tupleIJPjSE_EEENSF_IJSE_SE_EEES9_SG_JZNS1_25segmented_radix_sort_implINS0_14default_configELb0EPKiPiPKlPlN2at6native12_GLOBAL__N_18offset_tEEE10hipError_tPvRmT1_PNSt15iterator_traitsISY_E10value_typeET2_T3_PNSZ_IS14_E10value_typeET4_jRbjT5_S1A_jjP12ihipStream_tbEUljE_EEESV_SW_SX_S14_S18_S1A_T6_T7_T9_mT8_S1C_bDpT10_ENKUlT_T0_E_clISt17integral_constantIbLb1EES1P_EEDaS1K_S1L_EUlS1K_E_NS1_11comp_targetILNS1_3genE9ELNS1_11target_archE1100ELNS1_3gpuE3ELNS1_3repE0EEENS1_30default_config_static_selectorELNS0_4arch9wavefront6targetE0EEEvSY_
                                        ; -- End function
	.set _ZN7rocprim17ROCPRIM_400000_NS6detail17trampoline_kernelINS0_13select_configILj256ELj13ELNS0_17block_load_methodE3ELS4_3ELS4_3ELNS0_20block_scan_algorithmE0ELj4294967295EEENS1_25partition_config_selectorILNS1_17partition_subalgoE3EjNS0_10empty_typeEbEEZZNS1_14partition_implILS8_3ELb0ES6_jNS0_17counting_iteratorIjlEEPS9_SE_NS0_5tupleIJPjSE_EEENSF_IJSE_SE_EEES9_SG_JZNS1_25segmented_radix_sort_implINS0_14default_configELb0EPKiPiPKlPlN2at6native12_GLOBAL__N_18offset_tEEE10hipError_tPvRmT1_PNSt15iterator_traitsISY_E10value_typeET2_T3_PNSZ_IS14_E10value_typeET4_jRbjT5_S1A_jjP12ihipStream_tbEUljE_EEESV_SW_SX_S14_S18_S1A_T6_T7_T9_mT8_S1C_bDpT10_ENKUlT_T0_E_clISt17integral_constantIbLb1EES1P_EEDaS1K_S1L_EUlS1K_E_NS1_11comp_targetILNS1_3genE9ELNS1_11target_archE1100ELNS1_3gpuE3ELNS1_3repE0EEENS1_30default_config_static_selectorELNS0_4arch9wavefront6targetE0EEEvSY_.num_vgpr, 0
	.set _ZN7rocprim17ROCPRIM_400000_NS6detail17trampoline_kernelINS0_13select_configILj256ELj13ELNS0_17block_load_methodE3ELS4_3ELS4_3ELNS0_20block_scan_algorithmE0ELj4294967295EEENS1_25partition_config_selectorILNS1_17partition_subalgoE3EjNS0_10empty_typeEbEEZZNS1_14partition_implILS8_3ELb0ES6_jNS0_17counting_iteratorIjlEEPS9_SE_NS0_5tupleIJPjSE_EEENSF_IJSE_SE_EEES9_SG_JZNS1_25segmented_radix_sort_implINS0_14default_configELb0EPKiPiPKlPlN2at6native12_GLOBAL__N_18offset_tEEE10hipError_tPvRmT1_PNSt15iterator_traitsISY_E10value_typeET2_T3_PNSZ_IS14_E10value_typeET4_jRbjT5_S1A_jjP12ihipStream_tbEUljE_EEESV_SW_SX_S14_S18_S1A_T6_T7_T9_mT8_S1C_bDpT10_ENKUlT_T0_E_clISt17integral_constantIbLb1EES1P_EEDaS1K_S1L_EUlS1K_E_NS1_11comp_targetILNS1_3genE9ELNS1_11target_archE1100ELNS1_3gpuE3ELNS1_3repE0EEENS1_30default_config_static_selectorELNS0_4arch9wavefront6targetE0EEEvSY_.num_agpr, 0
	.set _ZN7rocprim17ROCPRIM_400000_NS6detail17trampoline_kernelINS0_13select_configILj256ELj13ELNS0_17block_load_methodE3ELS4_3ELS4_3ELNS0_20block_scan_algorithmE0ELj4294967295EEENS1_25partition_config_selectorILNS1_17partition_subalgoE3EjNS0_10empty_typeEbEEZZNS1_14partition_implILS8_3ELb0ES6_jNS0_17counting_iteratorIjlEEPS9_SE_NS0_5tupleIJPjSE_EEENSF_IJSE_SE_EEES9_SG_JZNS1_25segmented_radix_sort_implINS0_14default_configELb0EPKiPiPKlPlN2at6native12_GLOBAL__N_18offset_tEEE10hipError_tPvRmT1_PNSt15iterator_traitsISY_E10value_typeET2_T3_PNSZ_IS14_E10value_typeET4_jRbjT5_S1A_jjP12ihipStream_tbEUljE_EEESV_SW_SX_S14_S18_S1A_T6_T7_T9_mT8_S1C_bDpT10_ENKUlT_T0_E_clISt17integral_constantIbLb1EES1P_EEDaS1K_S1L_EUlS1K_E_NS1_11comp_targetILNS1_3genE9ELNS1_11target_archE1100ELNS1_3gpuE3ELNS1_3repE0EEENS1_30default_config_static_selectorELNS0_4arch9wavefront6targetE0EEEvSY_.numbered_sgpr, 0
	.set _ZN7rocprim17ROCPRIM_400000_NS6detail17trampoline_kernelINS0_13select_configILj256ELj13ELNS0_17block_load_methodE3ELS4_3ELS4_3ELNS0_20block_scan_algorithmE0ELj4294967295EEENS1_25partition_config_selectorILNS1_17partition_subalgoE3EjNS0_10empty_typeEbEEZZNS1_14partition_implILS8_3ELb0ES6_jNS0_17counting_iteratorIjlEEPS9_SE_NS0_5tupleIJPjSE_EEENSF_IJSE_SE_EEES9_SG_JZNS1_25segmented_radix_sort_implINS0_14default_configELb0EPKiPiPKlPlN2at6native12_GLOBAL__N_18offset_tEEE10hipError_tPvRmT1_PNSt15iterator_traitsISY_E10value_typeET2_T3_PNSZ_IS14_E10value_typeET4_jRbjT5_S1A_jjP12ihipStream_tbEUljE_EEESV_SW_SX_S14_S18_S1A_T6_T7_T9_mT8_S1C_bDpT10_ENKUlT_T0_E_clISt17integral_constantIbLb1EES1P_EEDaS1K_S1L_EUlS1K_E_NS1_11comp_targetILNS1_3genE9ELNS1_11target_archE1100ELNS1_3gpuE3ELNS1_3repE0EEENS1_30default_config_static_selectorELNS0_4arch9wavefront6targetE0EEEvSY_.num_named_barrier, 0
	.set _ZN7rocprim17ROCPRIM_400000_NS6detail17trampoline_kernelINS0_13select_configILj256ELj13ELNS0_17block_load_methodE3ELS4_3ELS4_3ELNS0_20block_scan_algorithmE0ELj4294967295EEENS1_25partition_config_selectorILNS1_17partition_subalgoE3EjNS0_10empty_typeEbEEZZNS1_14partition_implILS8_3ELb0ES6_jNS0_17counting_iteratorIjlEEPS9_SE_NS0_5tupleIJPjSE_EEENSF_IJSE_SE_EEES9_SG_JZNS1_25segmented_radix_sort_implINS0_14default_configELb0EPKiPiPKlPlN2at6native12_GLOBAL__N_18offset_tEEE10hipError_tPvRmT1_PNSt15iterator_traitsISY_E10value_typeET2_T3_PNSZ_IS14_E10value_typeET4_jRbjT5_S1A_jjP12ihipStream_tbEUljE_EEESV_SW_SX_S14_S18_S1A_T6_T7_T9_mT8_S1C_bDpT10_ENKUlT_T0_E_clISt17integral_constantIbLb1EES1P_EEDaS1K_S1L_EUlS1K_E_NS1_11comp_targetILNS1_3genE9ELNS1_11target_archE1100ELNS1_3gpuE3ELNS1_3repE0EEENS1_30default_config_static_selectorELNS0_4arch9wavefront6targetE0EEEvSY_.private_seg_size, 0
	.set _ZN7rocprim17ROCPRIM_400000_NS6detail17trampoline_kernelINS0_13select_configILj256ELj13ELNS0_17block_load_methodE3ELS4_3ELS4_3ELNS0_20block_scan_algorithmE0ELj4294967295EEENS1_25partition_config_selectorILNS1_17partition_subalgoE3EjNS0_10empty_typeEbEEZZNS1_14partition_implILS8_3ELb0ES6_jNS0_17counting_iteratorIjlEEPS9_SE_NS0_5tupleIJPjSE_EEENSF_IJSE_SE_EEES9_SG_JZNS1_25segmented_radix_sort_implINS0_14default_configELb0EPKiPiPKlPlN2at6native12_GLOBAL__N_18offset_tEEE10hipError_tPvRmT1_PNSt15iterator_traitsISY_E10value_typeET2_T3_PNSZ_IS14_E10value_typeET4_jRbjT5_S1A_jjP12ihipStream_tbEUljE_EEESV_SW_SX_S14_S18_S1A_T6_T7_T9_mT8_S1C_bDpT10_ENKUlT_T0_E_clISt17integral_constantIbLb1EES1P_EEDaS1K_S1L_EUlS1K_E_NS1_11comp_targetILNS1_3genE9ELNS1_11target_archE1100ELNS1_3gpuE3ELNS1_3repE0EEENS1_30default_config_static_selectorELNS0_4arch9wavefront6targetE0EEEvSY_.uses_vcc, 0
	.set _ZN7rocprim17ROCPRIM_400000_NS6detail17trampoline_kernelINS0_13select_configILj256ELj13ELNS0_17block_load_methodE3ELS4_3ELS4_3ELNS0_20block_scan_algorithmE0ELj4294967295EEENS1_25partition_config_selectorILNS1_17partition_subalgoE3EjNS0_10empty_typeEbEEZZNS1_14partition_implILS8_3ELb0ES6_jNS0_17counting_iteratorIjlEEPS9_SE_NS0_5tupleIJPjSE_EEENSF_IJSE_SE_EEES9_SG_JZNS1_25segmented_radix_sort_implINS0_14default_configELb0EPKiPiPKlPlN2at6native12_GLOBAL__N_18offset_tEEE10hipError_tPvRmT1_PNSt15iterator_traitsISY_E10value_typeET2_T3_PNSZ_IS14_E10value_typeET4_jRbjT5_S1A_jjP12ihipStream_tbEUljE_EEESV_SW_SX_S14_S18_S1A_T6_T7_T9_mT8_S1C_bDpT10_ENKUlT_T0_E_clISt17integral_constantIbLb1EES1P_EEDaS1K_S1L_EUlS1K_E_NS1_11comp_targetILNS1_3genE9ELNS1_11target_archE1100ELNS1_3gpuE3ELNS1_3repE0EEENS1_30default_config_static_selectorELNS0_4arch9wavefront6targetE0EEEvSY_.uses_flat_scratch, 0
	.set _ZN7rocprim17ROCPRIM_400000_NS6detail17trampoline_kernelINS0_13select_configILj256ELj13ELNS0_17block_load_methodE3ELS4_3ELS4_3ELNS0_20block_scan_algorithmE0ELj4294967295EEENS1_25partition_config_selectorILNS1_17partition_subalgoE3EjNS0_10empty_typeEbEEZZNS1_14partition_implILS8_3ELb0ES6_jNS0_17counting_iteratorIjlEEPS9_SE_NS0_5tupleIJPjSE_EEENSF_IJSE_SE_EEES9_SG_JZNS1_25segmented_radix_sort_implINS0_14default_configELb0EPKiPiPKlPlN2at6native12_GLOBAL__N_18offset_tEEE10hipError_tPvRmT1_PNSt15iterator_traitsISY_E10value_typeET2_T3_PNSZ_IS14_E10value_typeET4_jRbjT5_S1A_jjP12ihipStream_tbEUljE_EEESV_SW_SX_S14_S18_S1A_T6_T7_T9_mT8_S1C_bDpT10_ENKUlT_T0_E_clISt17integral_constantIbLb1EES1P_EEDaS1K_S1L_EUlS1K_E_NS1_11comp_targetILNS1_3genE9ELNS1_11target_archE1100ELNS1_3gpuE3ELNS1_3repE0EEENS1_30default_config_static_selectorELNS0_4arch9wavefront6targetE0EEEvSY_.has_dyn_sized_stack, 0
	.set _ZN7rocprim17ROCPRIM_400000_NS6detail17trampoline_kernelINS0_13select_configILj256ELj13ELNS0_17block_load_methodE3ELS4_3ELS4_3ELNS0_20block_scan_algorithmE0ELj4294967295EEENS1_25partition_config_selectorILNS1_17partition_subalgoE3EjNS0_10empty_typeEbEEZZNS1_14partition_implILS8_3ELb0ES6_jNS0_17counting_iteratorIjlEEPS9_SE_NS0_5tupleIJPjSE_EEENSF_IJSE_SE_EEES9_SG_JZNS1_25segmented_radix_sort_implINS0_14default_configELb0EPKiPiPKlPlN2at6native12_GLOBAL__N_18offset_tEEE10hipError_tPvRmT1_PNSt15iterator_traitsISY_E10value_typeET2_T3_PNSZ_IS14_E10value_typeET4_jRbjT5_S1A_jjP12ihipStream_tbEUljE_EEESV_SW_SX_S14_S18_S1A_T6_T7_T9_mT8_S1C_bDpT10_ENKUlT_T0_E_clISt17integral_constantIbLb1EES1P_EEDaS1K_S1L_EUlS1K_E_NS1_11comp_targetILNS1_3genE9ELNS1_11target_archE1100ELNS1_3gpuE3ELNS1_3repE0EEENS1_30default_config_static_selectorELNS0_4arch9wavefront6targetE0EEEvSY_.has_recursion, 0
	.set _ZN7rocprim17ROCPRIM_400000_NS6detail17trampoline_kernelINS0_13select_configILj256ELj13ELNS0_17block_load_methodE3ELS4_3ELS4_3ELNS0_20block_scan_algorithmE0ELj4294967295EEENS1_25partition_config_selectorILNS1_17partition_subalgoE3EjNS0_10empty_typeEbEEZZNS1_14partition_implILS8_3ELb0ES6_jNS0_17counting_iteratorIjlEEPS9_SE_NS0_5tupleIJPjSE_EEENSF_IJSE_SE_EEES9_SG_JZNS1_25segmented_radix_sort_implINS0_14default_configELb0EPKiPiPKlPlN2at6native12_GLOBAL__N_18offset_tEEE10hipError_tPvRmT1_PNSt15iterator_traitsISY_E10value_typeET2_T3_PNSZ_IS14_E10value_typeET4_jRbjT5_S1A_jjP12ihipStream_tbEUljE_EEESV_SW_SX_S14_S18_S1A_T6_T7_T9_mT8_S1C_bDpT10_ENKUlT_T0_E_clISt17integral_constantIbLb1EES1P_EEDaS1K_S1L_EUlS1K_E_NS1_11comp_targetILNS1_3genE9ELNS1_11target_archE1100ELNS1_3gpuE3ELNS1_3repE0EEENS1_30default_config_static_selectorELNS0_4arch9wavefront6targetE0EEEvSY_.has_indirect_call, 0
	.section	.AMDGPU.csdata,"",@progbits
; Kernel info:
; codeLenInByte = 0
; TotalNumSgprs: 0
; NumVgprs: 0
; ScratchSize: 0
; MemoryBound: 0
; FloatMode: 240
; IeeeMode: 1
; LDSByteSize: 0 bytes/workgroup (compile time only)
; SGPRBlocks: 0
; VGPRBlocks: 0
; NumSGPRsForWavesPerEU: 1
; NumVGPRsForWavesPerEU: 1
; Occupancy: 16
; WaveLimiterHint : 0
; COMPUTE_PGM_RSRC2:SCRATCH_EN: 0
; COMPUTE_PGM_RSRC2:USER_SGPR: 2
; COMPUTE_PGM_RSRC2:TRAP_HANDLER: 0
; COMPUTE_PGM_RSRC2:TGID_X_EN: 1
; COMPUTE_PGM_RSRC2:TGID_Y_EN: 0
; COMPUTE_PGM_RSRC2:TGID_Z_EN: 0
; COMPUTE_PGM_RSRC2:TIDIG_COMP_CNT: 0
	.section	.text._ZN7rocprim17ROCPRIM_400000_NS6detail17trampoline_kernelINS0_13select_configILj256ELj13ELNS0_17block_load_methodE3ELS4_3ELS4_3ELNS0_20block_scan_algorithmE0ELj4294967295EEENS1_25partition_config_selectorILNS1_17partition_subalgoE3EjNS0_10empty_typeEbEEZZNS1_14partition_implILS8_3ELb0ES6_jNS0_17counting_iteratorIjlEEPS9_SE_NS0_5tupleIJPjSE_EEENSF_IJSE_SE_EEES9_SG_JZNS1_25segmented_radix_sort_implINS0_14default_configELb0EPKiPiPKlPlN2at6native12_GLOBAL__N_18offset_tEEE10hipError_tPvRmT1_PNSt15iterator_traitsISY_E10value_typeET2_T3_PNSZ_IS14_E10value_typeET4_jRbjT5_S1A_jjP12ihipStream_tbEUljE_EEESV_SW_SX_S14_S18_S1A_T6_T7_T9_mT8_S1C_bDpT10_ENKUlT_T0_E_clISt17integral_constantIbLb1EES1P_EEDaS1K_S1L_EUlS1K_E_NS1_11comp_targetILNS1_3genE8ELNS1_11target_archE1030ELNS1_3gpuE2ELNS1_3repE0EEENS1_30default_config_static_selectorELNS0_4arch9wavefront6targetE0EEEvSY_,"axG",@progbits,_ZN7rocprim17ROCPRIM_400000_NS6detail17trampoline_kernelINS0_13select_configILj256ELj13ELNS0_17block_load_methodE3ELS4_3ELS4_3ELNS0_20block_scan_algorithmE0ELj4294967295EEENS1_25partition_config_selectorILNS1_17partition_subalgoE3EjNS0_10empty_typeEbEEZZNS1_14partition_implILS8_3ELb0ES6_jNS0_17counting_iteratorIjlEEPS9_SE_NS0_5tupleIJPjSE_EEENSF_IJSE_SE_EEES9_SG_JZNS1_25segmented_radix_sort_implINS0_14default_configELb0EPKiPiPKlPlN2at6native12_GLOBAL__N_18offset_tEEE10hipError_tPvRmT1_PNSt15iterator_traitsISY_E10value_typeET2_T3_PNSZ_IS14_E10value_typeET4_jRbjT5_S1A_jjP12ihipStream_tbEUljE_EEESV_SW_SX_S14_S18_S1A_T6_T7_T9_mT8_S1C_bDpT10_ENKUlT_T0_E_clISt17integral_constantIbLb1EES1P_EEDaS1K_S1L_EUlS1K_E_NS1_11comp_targetILNS1_3genE8ELNS1_11target_archE1030ELNS1_3gpuE2ELNS1_3repE0EEENS1_30default_config_static_selectorELNS0_4arch9wavefront6targetE0EEEvSY_,comdat
	.globl	_ZN7rocprim17ROCPRIM_400000_NS6detail17trampoline_kernelINS0_13select_configILj256ELj13ELNS0_17block_load_methodE3ELS4_3ELS4_3ELNS0_20block_scan_algorithmE0ELj4294967295EEENS1_25partition_config_selectorILNS1_17partition_subalgoE3EjNS0_10empty_typeEbEEZZNS1_14partition_implILS8_3ELb0ES6_jNS0_17counting_iteratorIjlEEPS9_SE_NS0_5tupleIJPjSE_EEENSF_IJSE_SE_EEES9_SG_JZNS1_25segmented_radix_sort_implINS0_14default_configELb0EPKiPiPKlPlN2at6native12_GLOBAL__N_18offset_tEEE10hipError_tPvRmT1_PNSt15iterator_traitsISY_E10value_typeET2_T3_PNSZ_IS14_E10value_typeET4_jRbjT5_S1A_jjP12ihipStream_tbEUljE_EEESV_SW_SX_S14_S18_S1A_T6_T7_T9_mT8_S1C_bDpT10_ENKUlT_T0_E_clISt17integral_constantIbLb1EES1P_EEDaS1K_S1L_EUlS1K_E_NS1_11comp_targetILNS1_3genE8ELNS1_11target_archE1030ELNS1_3gpuE2ELNS1_3repE0EEENS1_30default_config_static_selectorELNS0_4arch9wavefront6targetE0EEEvSY_ ; -- Begin function _ZN7rocprim17ROCPRIM_400000_NS6detail17trampoline_kernelINS0_13select_configILj256ELj13ELNS0_17block_load_methodE3ELS4_3ELS4_3ELNS0_20block_scan_algorithmE0ELj4294967295EEENS1_25partition_config_selectorILNS1_17partition_subalgoE3EjNS0_10empty_typeEbEEZZNS1_14partition_implILS8_3ELb0ES6_jNS0_17counting_iteratorIjlEEPS9_SE_NS0_5tupleIJPjSE_EEENSF_IJSE_SE_EEES9_SG_JZNS1_25segmented_radix_sort_implINS0_14default_configELb0EPKiPiPKlPlN2at6native12_GLOBAL__N_18offset_tEEE10hipError_tPvRmT1_PNSt15iterator_traitsISY_E10value_typeET2_T3_PNSZ_IS14_E10value_typeET4_jRbjT5_S1A_jjP12ihipStream_tbEUljE_EEESV_SW_SX_S14_S18_S1A_T6_T7_T9_mT8_S1C_bDpT10_ENKUlT_T0_E_clISt17integral_constantIbLb1EES1P_EEDaS1K_S1L_EUlS1K_E_NS1_11comp_targetILNS1_3genE8ELNS1_11target_archE1030ELNS1_3gpuE2ELNS1_3repE0EEENS1_30default_config_static_selectorELNS0_4arch9wavefront6targetE0EEEvSY_
	.p2align	8
	.type	_ZN7rocprim17ROCPRIM_400000_NS6detail17trampoline_kernelINS0_13select_configILj256ELj13ELNS0_17block_load_methodE3ELS4_3ELS4_3ELNS0_20block_scan_algorithmE0ELj4294967295EEENS1_25partition_config_selectorILNS1_17partition_subalgoE3EjNS0_10empty_typeEbEEZZNS1_14partition_implILS8_3ELb0ES6_jNS0_17counting_iteratorIjlEEPS9_SE_NS0_5tupleIJPjSE_EEENSF_IJSE_SE_EEES9_SG_JZNS1_25segmented_radix_sort_implINS0_14default_configELb0EPKiPiPKlPlN2at6native12_GLOBAL__N_18offset_tEEE10hipError_tPvRmT1_PNSt15iterator_traitsISY_E10value_typeET2_T3_PNSZ_IS14_E10value_typeET4_jRbjT5_S1A_jjP12ihipStream_tbEUljE_EEESV_SW_SX_S14_S18_S1A_T6_T7_T9_mT8_S1C_bDpT10_ENKUlT_T0_E_clISt17integral_constantIbLb1EES1P_EEDaS1K_S1L_EUlS1K_E_NS1_11comp_targetILNS1_3genE8ELNS1_11target_archE1030ELNS1_3gpuE2ELNS1_3repE0EEENS1_30default_config_static_selectorELNS0_4arch9wavefront6targetE0EEEvSY_,@function
_ZN7rocprim17ROCPRIM_400000_NS6detail17trampoline_kernelINS0_13select_configILj256ELj13ELNS0_17block_load_methodE3ELS4_3ELS4_3ELNS0_20block_scan_algorithmE0ELj4294967295EEENS1_25partition_config_selectorILNS1_17partition_subalgoE3EjNS0_10empty_typeEbEEZZNS1_14partition_implILS8_3ELb0ES6_jNS0_17counting_iteratorIjlEEPS9_SE_NS0_5tupleIJPjSE_EEENSF_IJSE_SE_EEES9_SG_JZNS1_25segmented_radix_sort_implINS0_14default_configELb0EPKiPiPKlPlN2at6native12_GLOBAL__N_18offset_tEEE10hipError_tPvRmT1_PNSt15iterator_traitsISY_E10value_typeET2_T3_PNSZ_IS14_E10value_typeET4_jRbjT5_S1A_jjP12ihipStream_tbEUljE_EEESV_SW_SX_S14_S18_S1A_T6_T7_T9_mT8_S1C_bDpT10_ENKUlT_T0_E_clISt17integral_constantIbLb1EES1P_EEDaS1K_S1L_EUlS1K_E_NS1_11comp_targetILNS1_3genE8ELNS1_11target_archE1030ELNS1_3gpuE2ELNS1_3repE0EEENS1_30default_config_static_selectorELNS0_4arch9wavefront6targetE0EEEvSY_: ; @_ZN7rocprim17ROCPRIM_400000_NS6detail17trampoline_kernelINS0_13select_configILj256ELj13ELNS0_17block_load_methodE3ELS4_3ELS4_3ELNS0_20block_scan_algorithmE0ELj4294967295EEENS1_25partition_config_selectorILNS1_17partition_subalgoE3EjNS0_10empty_typeEbEEZZNS1_14partition_implILS8_3ELb0ES6_jNS0_17counting_iteratorIjlEEPS9_SE_NS0_5tupleIJPjSE_EEENSF_IJSE_SE_EEES9_SG_JZNS1_25segmented_radix_sort_implINS0_14default_configELb0EPKiPiPKlPlN2at6native12_GLOBAL__N_18offset_tEEE10hipError_tPvRmT1_PNSt15iterator_traitsISY_E10value_typeET2_T3_PNSZ_IS14_E10value_typeET4_jRbjT5_S1A_jjP12ihipStream_tbEUljE_EEESV_SW_SX_S14_S18_S1A_T6_T7_T9_mT8_S1C_bDpT10_ENKUlT_T0_E_clISt17integral_constantIbLb1EES1P_EEDaS1K_S1L_EUlS1K_E_NS1_11comp_targetILNS1_3genE8ELNS1_11target_archE1030ELNS1_3gpuE2ELNS1_3repE0EEENS1_30default_config_static_selectorELNS0_4arch9wavefront6targetE0EEEvSY_
; %bb.0:
	.section	.rodata,"a",@progbits
	.p2align	6, 0x0
	.amdhsa_kernel _ZN7rocprim17ROCPRIM_400000_NS6detail17trampoline_kernelINS0_13select_configILj256ELj13ELNS0_17block_load_methodE3ELS4_3ELS4_3ELNS0_20block_scan_algorithmE0ELj4294967295EEENS1_25partition_config_selectorILNS1_17partition_subalgoE3EjNS0_10empty_typeEbEEZZNS1_14partition_implILS8_3ELb0ES6_jNS0_17counting_iteratorIjlEEPS9_SE_NS0_5tupleIJPjSE_EEENSF_IJSE_SE_EEES9_SG_JZNS1_25segmented_radix_sort_implINS0_14default_configELb0EPKiPiPKlPlN2at6native12_GLOBAL__N_18offset_tEEE10hipError_tPvRmT1_PNSt15iterator_traitsISY_E10value_typeET2_T3_PNSZ_IS14_E10value_typeET4_jRbjT5_S1A_jjP12ihipStream_tbEUljE_EEESV_SW_SX_S14_S18_S1A_T6_T7_T9_mT8_S1C_bDpT10_ENKUlT_T0_E_clISt17integral_constantIbLb1EES1P_EEDaS1K_S1L_EUlS1K_E_NS1_11comp_targetILNS1_3genE8ELNS1_11target_archE1030ELNS1_3gpuE2ELNS1_3repE0EEENS1_30default_config_static_selectorELNS0_4arch9wavefront6targetE0EEEvSY_
		.amdhsa_group_segment_fixed_size 0
		.amdhsa_private_segment_fixed_size 0
		.amdhsa_kernarg_size 152
		.amdhsa_user_sgpr_count 2
		.amdhsa_user_sgpr_dispatch_ptr 0
		.amdhsa_user_sgpr_queue_ptr 0
		.amdhsa_user_sgpr_kernarg_segment_ptr 1
		.amdhsa_user_sgpr_dispatch_id 0
		.amdhsa_user_sgpr_private_segment_size 0
		.amdhsa_wavefront_size32 1
		.amdhsa_uses_dynamic_stack 0
		.amdhsa_enable_private_segment 0
		.amdhsa_system_sgpr_workgroup_id_x 1
		.amdhsa_system_sgpr_workgroup_id_y 0
		.amdhsa_system_sgpr_workgroup_id_z 0
		.amdhsa_system_sgpr_workgroup_info 0
		.amdhsa_system_vgpr_workitem_id 0
		.amdhsa_next_free_vgpr 1
		.amdhsa_next_free_sgpr 1
		.amdhsa_reserve_vcc 0
		.amdhsa_float_round_mode_32 0
		.amdhsa_float_round_mode_16_64 0
		.amdhsa_float_denorm_mode_32 3
		.amdhsa_float_denorm_mode_16_64 3
		.amdhsa_fp16_overflow 0
		.amdhsa_workgroup_processor_mode 1
		.amdhsa_memory_ordered 1
		.amdhsa_forward_progress 1
		.amdhsa_inst_pref_size 0
		.amdhsa_round_robin_scheduling 0
		.amdhsa_exception_fp_ieee_invalid_op 0
		.amdhsa_exception_fp_denorm_src 0
		.amdhsa_exception_fp_ieee_div_zero 0
		.amdhsa_exception_fp_ieee_overflow 0
		.amdhsa_exception_fp_ieee_underflow 0
		.amdhsa_exception_fp_ieee_inexact 0
		.amdhsa_exception_int_div_zero 0
	.end_amdhsa_kernel
	.section	.text._ZN7rocprim17ROCPRIM_400000_NS6detail17trampoline_kernelINS0_13select_configILj256ELj13ELNS0_17block_load_methodE3ELS4_3ELS4_3ELNS0_20block_scan_algorithmE0ELj4294967295EEENS1_25partition_config_selectorILNS1_17partition_subalgoE3EjNS0_10empty_typeEbEEZZNS1_14partition_implILS8_3ELb0ES6_jNS0_17counting_iteratorIjlEEPS9_SE_NS0_5tupleIJPjSE_EEENSF_IJSE_SE_EEES9_SG_JZNS1_25segmented_radix_sort_implINS0_14default_configELb0EPKiPiPKlPlN2at6native12_GLOBAL__N_18offset_tEEE10hipError_tPvRmT1_PNSt15iterator_traitsISY_E10value_typeET2_T3_PNSZ_IS14_E10value_typeET4_jRbjT5_S1A_jjP12ihipStream_tbEUljE_EEESV_SW_SX_S14_S18_S1A_T6_T7_T9_mT8_S1C_bDpT10_ENKUlT_T0_E_clISt17integral_constantIbLb1EES1P_EEDaS1K_S1L_EUlS1K_E_NS1_11comp_targetILNS1_3genE8ELNS1_11target_archE1030ELNS1_3gpuE2ELNS1_3repE0EEENS1_30default_config_static_selectorELNS0_4arch9wavefront6targetE0EEEvSY_,"axG",@progbits,_ZN7rocprim17ROCPRIM_400000_NS6detail17trampoline_kernelINS0_13select_configILj256ELj13ELNS0_17block_load_methodE3ELS4_3ELS4_3ELNS0_20block_scan_algorithmE0ELj4294967295EEENS1_25partition_config_selectorILNS1_17partition_subalgoE3EjNS0_10empty_typeEbEEZZNS1_14partition_implILS8_3ELb0ES6_jNS0_17counting_iteratorIjlEEPS9_SE_NS0_5tupleIJPjSE_EEENSF_IJSE_SE_EEES9_SG_JZNS1_25segmented_radix_sort_implINS0_14default_configELb0EPKiPiPKlPlN2at6native12_GLOBAL__N_18offset_tEEE10hipError_tPvRmT1_PNSt15iterator_traitsISY_E10value_typeET2_T3_PNSZ_IS14_E10value_typeET4_jRbjT5_S1A_jjP12ihipStream_tbEUljE_EEESV_SW_SX_S14_S18_S1A_T6_T7_T9_mT8_S1C_bDpT10_ENKUlT_T0_E_clISt17integral_constantIbLb1EES1P_EEDaS1K_S1L_EUlS1K_E_NS1_11comp_targetILNS1_3genE8ELNS1_11target_archE1030ELNS1_3gpuE2ELNS1_3repE0EEENS1_30default_config_static_selectorELNS0_4arch9wavefront6targetE0EEEvSY_,comdat
.Lfunc_end583:
	.size	_ZN7rocprim17ROCPRIM_400000_NS6detail17trampoline_kernelINS0_13select_configILj256ELj13ELNS0_17block_load_methodE3ELS4_3ELS4_3ELNS0_20block_scan_algorithmE0ELj4294967295EEENS1_25partition_config_selectorILNS1_17partition_subalgoE3EjNS0_10empty_typeEbEEZZNS1_14partition_implILS8_3ELb0ES6_jNS0_17counting_iteratorIjlEEPS9_SE_NS0_5tupleIJPjSE_EEENSF_IJSE_SE_EEES9_SG_JZNS1_25segmented_radix_sort_implINS0_14default_configELb0EPKiPiPKlPlN2at6native12_GLOBAL__N_18offset_tEEE10hipError_tPvRmT1_PNSt15iterator_traitsISY_E10value_typeET2_T3_PNSZ_IS14_E10value_typeET4_jRbjT5_S1A_jjP12ihipStream_tbEUljE_EEESV_SW_SX_S14_S18_S1A_T6_T7_T9_mT8_S1C_bDpT10_ENKUlT_T0_E_clISt17integral_constantIbLb1EES1P_EEDaS1K_S1L_EUlS1K_E_NS1_11comp_targetILNS1_3genE8ELNS1_11target_archE1030ELNS1_3gpuE2ELNS1_3repE0EEENS1_30default_config_static_selectorELNS0_4arch9wavefront6targetE0EEEvSY_, .Lfunc_end583-_ZN7rocprim17ROCPRIM_400000_NS6detail17trampoline_kernelINS0_13select_configILj256ELj13ELNS0_17block_load_methodE3ELS4_3ELS4_3ELNS0_20block_scan_algorithmE0ELj4294967295EEENS1_25partition_config_selectorILNS1_17partition_subalgoE3EjNS0_10empty_typeEbEEZZNS1_14partition_implILS8_3ELb0ES6_jNS0_17counting_iteratorIjlEEPS9_SE_NS0_5tupleIJPjSE_EEENSF_IJSE_SE_EEES9_SG_JZNS1_25segmented_radix_sort_implINS0_14default_configELb0EPKiPiPKlPlN2at6native12_GLOBAL__N_18offset_tEEE10hipError_tPvRmT1_PNSt15iterator_traitsISY_E10value_typeET2_T3_PNSZ_IS14_E10value_typeET4_jRbjT5_S1A_jjP12ihipStream_tbEUljE_EEESV_SW_SX_S14_S18_S1A_T6_T7_T9_mT8_S1C_bDpT10_ENKUlT_T0_E_clISt17integral_constantIbLb1EES1P_EEDaS1K_S1L_EUlS1K_E_NS1_11comp_targetILNS1_3genE8ELNS1_11target_archE1030ELNS1_3gpuE2ELNS1_3repE0EEENS1_30default_config_static_selectorELNS0_4arch9wavefront6targetE0EEEvSY_
                                        ; -- End function
	.set _ZN7rocprim17ROCPRIM_400000_NS6detail17trampoline_kernelINS0_13select_configILj256ELj13ELNS0_17block_load_methodE3ELS4_3ELS4_3ELNS0_20block_scan_algorithmE0ELj4294967295EEENS1_25partition_config_selectorILNS1_17partition_subalgoE3EjNS0_10empty_typeEbEEZZNS1_14partition_implILS8_3ELb0ES6_jNS0_17counting_iteratorIjlEEPS9_SE_NS0_5tupleIJPjSE_EEENSF_IJSE_SE_EEES9_SG_JZNS1_25segmented_radix_sort_implINS0_14default_configELb0EPKiPiPKlPlN2at6native12_GLOBAL__N_18offset_tEEE10hipError_tPvRmT1_PNSt15iterator_traitsISY_E10value_typeET2_T3_PNSZ_IS14_E10value_typeET4_jRbjT5_S1A_jjP12ihipStream_tbEUljE_EEESV_SW_SX_S14_S18_S1A_T6_T7_T9_mT8_S1C_bDpT10_ENKUlT_T0_E_clISt17integral_constantIbLb1EES1P_EEDaS1K_S1L_EUlS1K_E_NS1_11comp_targetILNS1_3genE8ELNS1_11target_archE1030ELNS1_3gpuE2ELNS1_3repE0EEENS1_30default_config_static_selectorELNS0_4arch9wavefront6targetE0EEEvSY_.num_vgpr, 0
	.set _ZN7rocprim17ROCPRIM_400000_NS6detail17trampoline_kernelINS0_13select_configILj256ELj13ELNS0_17block_load_methodE3ELS4_3ELS4_3ELNS0_20block_scan_algorithmE0ELj4294967295EEENS1_25partition_config_selectorILNS1_17partition_subalgoE3EjNS0_10empty_typeEbEEZZNS1_14partition_implILS8_3ELb0ES6_jNS0_17counting_iteratorIjlEEPS9_SE_NS0_5tupleIJPjSE_EEENSF_IJSE_SE_EEES9_SG_JZNS1_25segmented_radix_sort_implINS0_14default_configELb0EPKiPiPKlPlN2at6native12_GLOBAL__N_18offset_tEEE10hipError_tPvRmT1_PNSt15iterator_traitsISY_E10value_typeET2_T3_PNSZ_IS14_E10value_typeET4_jRbjT5_S1A_jjP12ihipStream_tbEUljE_EEESV_SW_SX_S14_S18_S1A_T6_T7_T9_mT8_S1C_bDpT10_ENKUlT_T0_E_clISt17integral_constantIbLb1EES1P_EEDaS1K_S1L_EUlS1K_E_NS1_11comp_targetILNS1_3genE8ELNS1_11target_archE1030ELNS1_3gpuE2ELNS1_3repE0EEENS1_30default_config_static_selectorELNS0_4arch9wavefront6targetE0EEEvSY_.num_agpr, 0
	.set _ZN7rocprim17ROCPRIM_400000_NS6detail17trampoline_kernelINS0_13select_configILj256ELj13ELNS0_17block_load_methodE3ELS4_3ELS4_3ELNS0_20block_scan_algorithmE0ELj4294967295EEENS1_25partition_config_selectorILNS1_17partition_subalgoE3EjNS0_10empty_typeEbEEZZNS1_14partition_implILS8_3ELb0ES6_jNS0_17counting_iteratorIjlEEPS9_SE_NS0_5tupleIJPjSE_EEENSF_IJSE_SE_EEES9_SG_JZNS1_25segmented_radix_sort_implINS0_14default_configELb0EPKiPiPKlPlN2at6native12_GLOBAL__N_18offset_tEEE10hipError_tPvRmT1_PNSt15iterator_traitsISY_E10value_typeET2_T3_PNSZ_IS14_E10value_typeET4_jRbjT5_S1A_jjP12ihipStream_tbEUljE_EEESV_SW_SX_S14_S18_S1A_T6_T7_T9_mT8_S1C_bDpT10_ENKUlT_T0_E_clISt17integral_constantIbLb1EES1P_EEDaS1K_S1L_EUlS1K_E_NS1_11comp_targetILNS1_3genE8ELNS1_11target_archE1030ELNS1_3gpuE2ELNS1_3repE0EEENS1_30default_config_static_selectorELNS0_4arch9wavefront6targetE0EEEvSY_.numbered_sgpr, 0
	.set _ZN7rocprim17ROCPRIM_400000_NS6detail17trampoline_kernelINS0_13select_configILj256ELj13ELNS0_17block_load_methodE3ELS4_3ELS4_3ELNS0_20block_scan_algorithmE0ELj4294967295EEENS1_25partition_config_selectorILNS1_17partition_subalgoE3EjNS0_10empty_typeEbEEZZNS1_14partition_implILS8_3ELb0ES6_jNS0_17counting_iteratorIjlEEPS9_SE_NS0_5tupleIJPjSE_EEENSF_IJSE_SE_EEES9_SG_JZNS1_25segmented_radix_sort_implINS0_14default_configELb0EPKiPiPKlPlN2at6native12_GLOBAL__N_18offset_tEEE10hipError_tPvRmT1_PNSt15iterator_traitsISY_E10value_typeET2_T3_PNSZ_IS14_E10value_typeET4_jRbjT5_S1A_jjP12ihipStream_tbEUljE_EEESV_SW_SX_S14_S18_S1A_T6_T7_T9_mT8_S1C_bDpT10_ENKUlT_T0_E_clISt17integral_constantIbLb1EES1P_EEDaS1K_S1L_EUlS1K_E_NS1_11comp_targetILNS1_3genE8ELNS1_11target_archE1030ELNS1_3gpuE2ELNS1_3repE0EEENS1_30default_config_static_selectorELNS0_4arch9wavefront6targetE0EEEvSY_.num_named_barrier, 0
	.set _ZN7rocprim17ROCPRIM_400000_NS6detail17trampoline_kernelINS0_13select_configILj256ELj13ELNS0_17block_load_methodE3ELS4_3ELS4_3ELNS0_20block_scan_algorithmE0ELj4294967295EEENS1_25partition_config_selectorILNS1_17partition_subalgoE3EjNS0_10empty_typeEbEEZZNS1_14partition_implILS8_3ELb0ES6_jNS0_17counting_iteratorIjlEEPS9_SE_NS0_5tupleIJPjSE_EEENSF_IJSE_SE_EEES9_SG_JZNS1_25segmented_radix_sort_implINS0_14default_configELb0EPKiPiPKlPlN2at6native12_GLOBAL__N_18offset_tEEE10hipError_tPvRmT1_PNSt15iterator_traitsISY_E10value_typeET2_T3_PNSZ_IS14_E10value_typeET4_jRbjT5_S1A_jjP12ihipStream_tbEUljE_EEESV_SW_SX_S14_S18_S1A_T6_T7_T9_mT8_S1C_bDpT10_ENKUlT_T0_E_clISt17integral_constantIbLb1EES1P_EEDaS1K_S1L_EUlS1K_E_NS1_11comp_targetILNS1_3genE8ELNS1_11target_archE1030ELNS1_3gpuE2ELNS1_3repE0EEENS1_30default_config_static_selectorELNS0_4arch9wavefront6targetE0EEEvSY_.private_seg_size, 0
	.set _ZN7rocprim17ROCPRIM_400000_NS6detail17trampoline_kernelINS0_13select_configILj256ELj13ELNS0_17block_load_methodE3ELS4_3ELS4_3ELNS0_20block_scan_algorithmE0ELj4294967295EEENS1_25partition_config_selectorILNS1_17partition_subalgoE3EjNS0_10empty_typeEbEEZZNS1_14partition_implILS8_3ELb0ES6_jNS0_17counting_iteratorIjlEEPS9_SE_NS0_5tupleIJPjSE_EEENSF_IJSE_SE_EEES9_SG_JZNS1_25segmented_radix_sort_implINS0_14default_configELb0EPKiPiPKlPlN2at6native12_GLOBAL__N_18offset_tEEE10hipError_tPvRmT1_PNSt15iterator_traitsISY_E10value_typeET2_T3_PNSZ_IS14_E10value_typeET4_jRbjT5_S1A_jjP12ihipStream_tbEUljE_EEESV_SW_SX_S14_S18_S1A_T6_T7_T9_mT8_S1C_bDpT10_ENKUlT_T0_E_clISt17integral_constantIbLb1EES1P_EEDaS1K_S1L_EUlS1K_E_NS1_11comp_targetILNS1_3genE8ELNS1_11target_archE1030ELNS1_3gpuE2ELNS1_3repE0EEENS1_30default_config_static_selectorELNS0_4arch9wavefront6targetE0EEEvSY_.uses_vcc, 0
	.set _ZN7rocprim17ROCPRIM_400000_NS6detail17trampoline_kernelINS0_13select_configILj256ELj13ELNS0_17block_load_methodE3ELS4_3ELS4_3ELNS0_20block_scan_algorithmE0ELj4294967295EEENS1_25partition_config_selectorILNS1_17partition_subalgoE3EjNS0_10empty_typeEbEEZZNS1_14partition_implILS8_3ELb0ES6_jNS0_17counting_iteratorIjlEEPS9_SE_NS0_5tupleIJPjSE_EEENSF_IJSE_SE_EEES9_SG_JZNS1_25segmented_radix_sort_implINS0_14default_configELb0EPKiPiPKlPlN2at6native12_GLOBAL__N_18offset_tEEE10hipError_tPvRmT1_PNSt15iterator_traitsISY_E10value_typeET2_T3_PNSZ_IS14_E10value_typeET4_jRbjT5_S1A_jjP12ihipStream_tbEUljE_EEESV_SW_SX_S14_S18_S1A_T6_T7_T9_mT8_S1C_bDpT10_ENKUlT_T0_E_clISt17integral_constantIbLb1EES1P_EEDaS1K_S1L_EUlS1K_E_NS1_11comp_targetILNS1_3genE8ELNS1_11target_archE1030ELNS1_3gpuE2ELNS1_3repE0EEENS1_30default_config_static_selectorELNS0_4arch9wavefront6targetE0EEEvSY_.uses_flat_scratch, 0
	.set _ZN7rocprim17ROCPRIM_400000_NS6detail17trampoline_kernelINS0_13select_configILj256ELj13ELNS0_17block_load_methodE3ELS4_3ELS4_3ELNS0_20block_scan_algorithmE0ELj4294967295EEENS1_25partition_config_selectorILNS1_17partition_subalgoE3EjNS0_10empty_typeEbEEZZNS1_14partition_implILS8_3ELb0ES6_jNS0_17counting_iteratorIjlEEPS9_SE_NS0_5tupleIJPjSE_EEENSF_IJSE_SE_EEES9_SG_JZNS1_25segmented_radix_sort_implINS0_14default_configELb0EPKiPiPKlPlN2at6native12_GLOBAL__N_18offset_tEEE10hipError_tPvRmT1_PNSt15iterator_traitsISY_E10value_typeET2_T3_PNSZ_IS14_E10value_typeET4_jRbjT5_S1A_jjP12ihipStream_tbEUljE_EEESV_SW_SX_S14_S18_S1A_T6_T7_T9_mT8_S1C_bDpT10_ENKUlT_T0_E_clISt17integral_constantIbLb1EES1P_EEDaS1K_S1L_EUlS1K_E_NS1_11comp_targetILNS1_3genE8ELNS1_11target_archE1030ELNS1_3gpuE2ELNS1_3repE0EEENS1_30default_config_static_selectorELNS0_4arch9wavefront6targetE0EEEvSY_.has_dyn_sized_stack, 0
	.set _ZN7rocprim17ROCPRIM_400000_NS6detail17trampoline_kernelINS0_13select_configILj256ELj13ELNS0_17block_load_methodE3ELS4_3ELS4_3ELNS0_20block_scan_algorithmE0ELj4294967295EEENS1_25partition_config_selectorILNS1_17partition_subalgoE3EjNS0_10empty_typeEbEEZZNS1_14partition_implILS8_3ELb0ES6_jNS0_17counting_iteratorIjlEEPS9_SE_NS0_5tupleIJPjSE_EEENSF_IJSE_SE_EEES9_SG_JZNS1_25segmented_radix_sort_implINS0_14default_configELb0EPKiPiPKlPlN2at6native12_GLOBAL__N_18offset_tEEE10hipError_tPvRmT1_PNSt15iterator_traitsISY_E10value_typeET2_T3_PNSZ_IS14_E10value_typeET4_jRbjT5_S1A_jjP12ihipStream_tbEUljE_EEESV_SW_SX_S14_S18_S1A_T6_T7_T9_mT8_S1C_bDpT10_ENKUlT_T0_E_clISt17integral_constantIbLb1EES1P_EEDaS1K_S1L_EUlS1K_E_NS1_11comp_targetILNS1_3genE8ELNS1_11target_archE1030ELNS1_3gpuE2ELNS1_3repE0EEENS1_30default_config_static_selectorELNS0_4arch9wavefront6targetE0EEEvSY_.has_recursion, 0
	.set _ZN7rocprim17ROCPRIM_400000_NS6detail17trampoline_kernelINS0_13select_configILj256ELj13ELNS0_17block_load_methodE3ELS4_3ELS4_3ELNS0_20block_scan_algorithmE0ELj4294967295EEENS1_25partition_config_selectorILNS1_17partition_subalgoE3EjNS0_10empty_typeEbEEZZNS1_14partition_implILS8_3ELb0ES6_jNS0_17counting_iteratorIjlEEPS9_SE_NS0_5tupleIJPjSE_EEENSF_IJSE_SE_EEES9_SG_JZNS1_25segmented_radix_sort_implINS0_14default_configELb0EPKiPiPKlPlN2at6native12_GLOBAL__N_18offset_tEEE10hipError_tPvRmT1_PNSt15iterator_traitsISY_E10value_typeET2_T3_PNSZ_IS14_E10value_typeET4_jRbjT5_S1A_jjP12ihipStream_tbEUljE_EEESV_SW_SX_S14_S18_S1A_T6_T7_T9_mT8_S1C_bDpT10_ENKUlT_T0_E_clISt17integral_constantIbLb1EES1P_EEDaS1K_S1L_EUlS1K_E_NS1_11comp_targetILNS1_3genE8ELNS1_11target_archE1030ELNS1_3gpuE2ELNS1_3repE0EEENS1_30default_config_static_selectorELNS0_4arch9wavefront6targetE0EEEvSY_.has_indirect_call, 0
	.section	.AMDGPU.csdata,"",@progbits
; Kernel info:
; codeLenInByte = 0
; TotalNumSgprs: 0
; NumVgprs: 0
; ScratchSize: 0
; MemoryBound: 0
; FloatMode: 240
; IeeeMode: 1
; LDSByteSize: 0 bytes/workgroup (compile time only)
; SGPRBlocks: 0
; VGPRBlocks: 0
; NumSGPRsForWavesPerEU: 1
; NumVGPRsForWavesPerEU: 1
; Occupancy: 16
; WaveLimiterHint : 0
; COMPUTE_PGM_RSRC2:SCRATCH_EN: 0
; COMPUTE_PGM_RSRC2:USER_SGPR: 2
; COMPUTE_PGM_RSRC2:TRAP_HANDLER: 0
; COMPUTE_PGM_RSRC2:TGID_X_EN: 1
; COMPUTE_PGM_RSRC2:TGID_Y_EN: 0
; COMPUTE_PGM_RSRC2:TGID_Z_EN: 0
; COMPUTE_PGM_RSRC2:TIDIG_COMP_CNT: 0
	.section	.text._ZN7rocprim17ROCPRIM_400000_NS6detail17trampoline_kernelINS0_13select_configILj256ELj13ELNS0_17block_load_methodE3ELS4_3ELS4_3ELNS0_20block_scan_algorithmE0ELj4294967295EEENS1_25partition_config_selectorILNS1_17partition_subalgoE3EjNS0_10empty_typeEbEEZZNS1_14partition_implILS8_3ELb0ES6_jNS0_17counting_iteratorIjlEEPS9_SE_NS0_5tupleIJPjSE_EEENSF_IJSE_SE_EEES9_SG_JZNS1_25segmented_radix_sort_implINS0_14default_configELb0EPKiPiPKlPlN2at6native12_GLOBAL__N_18offset_tEEE10hipError_tPvRmT1_PNSt15iterator_traitsISY_E10value_typeET2_T3_PNSZ_IS14_E10value_typeET4_jRbjT5_S1A_jjP12ihipStream_tbEUljE_EEESV_SW_SX_S14_S18_S1A_T6_T7_T9_mT8_S1C_bDpT10_ENKUlT_T0_E_clISt17integral_constantIbLb1EES1O_IbLb0EEEEDaS1K_S1L_EUlS1K_E_NS1_11comp_targetILNS1_3genE0ELNS1_11target_archE4294967295ELNS1_3gpuE0ELNS1_3repE0EEENS1_30default_config_static_selectorELNS0_4arch9wavefront6targetE0EEEvSY_,"axG",@progbits,_ZN7rocprim17ROCPRIM_400000_NS6detail17trampoline_kernelINS0_13select_configILj256ELj13ELNS0_17block_load_methodE3ELS4_3ELS4_3ELNS0_20block_scan_algorithmE0ELj4294967295EEENS1_25partition_config_selectorILNS1_17partition_subalgoE3EjNS0_10empty_typeEbEEZZNS1_14partition_implILS8_3ELb0ES6_jNS0_17counting_iteratorIjlEEPS9_SE_NS0_5tupleIJPjSE_EEENSF_IJSE_SE_EEES9_SG_JZNS1_25segmented_radix_sort_implINS0_14default_configELb0EPKiPiPKlPlN2at6native12_GLOBAL__N_18offset_tEEE10hipError_tPvRmT1_PNSt15iterator_traitsISY_E10value_typeET2_T3_PNSZ_IS14_E10value_typeET4_jRbjT5_S1A_jjP12ihipStream_tbEUljE_EEESV_SW_SX_S14_S18_S1A_T6_T7_T9_mT8_S1C_bDpT10_ENKUlT_T0_E_clISt17integral_constantIbLb1EES1O_IbLb0EEEEDaS1K_S1L_EUlS1K_E_NS1_11comp_targetILNS1_3genE0ELNS1_11target_archE4294967295ELNS1_3gpuE0ELNS1_3repE0EEENS1_30default_config_static_selectorELNS0_4arch9wavefront6targetE0EEEvSY_,comdat
	.globl	_ZN7rocprim17ROCPRIM_400000_NS6detail17trampoline_kernelINS0_13select_configILj256ELj13ELNS0_17block_load_methodE3ELS4_3ELS4_3ELNS0_20block_scan_algorithmE0ELj4294967295EEENS1_25partition_config_selectorILNS1_17partition_subalgoE3EjNS0_10empty_typeEbEEZZNS1_14partition_implILS8_3ELb0ES6_jNS0_17counting_iteratorIjlEEPS9_SE_NS0_5tupleIJPjSE_EEENSF_IJSE_SE_EEES9_SG_JZNS1_25segmented_radix_sort_implINS0_14default_configELb0EPKiPiPKlPlN2at6native12_GLOBAL__N_18offset_tEEE10hipError_tPvRmT1_PNSt15iterator_traitsISY_E10value_typeET2_T3_PNSZ_IS14_E10value_typeET4_jRbjT5_S1A_jjP12ihipStream_tbEUljE_EEESV_SW_SX_S14_S18_S1A_T6_T7_T9_mT8_S1C_bDpT10_ENKUlT_T0_E_clISt17integral_constantIbLb1EES1O_IbLb0EEEEDaS1K_S1L_EUlS1K_E_NS1_11comp_targetILNS1_3genE0ELNS1_11target_archE4294967295ELNS1_3gpuE0ELNS1_3repE0EEENS1_30default_config_static_selectorELNS0_4arch9wavefront6targetE0EEEvSY_ ; -- Begin function _ZN7rocprim17ROCPRIM_400000_NS6detail17trampoline_kernelINS0_13select_configILj256ELj13ELNS0_17block_load_methodE3ELS4_3ELS4_3ELNS0_20block_scan_algorithmE0ELj4294967295EEENS1_25partition_config_selectorILNS1_17partition_subalgoE3EjNS0_10empty_typeEbEEZZNS1_14partition_implILS8_3ELb0ES6_jNS0_17counting_iteratorIjlEEPS9_SE_NS0_5tupleIJPjSE_EEENSF_IJSE_SE_EEES9_SG_JZNS1_25segmented_radix_sort_implINS0_14default_configELb0EPKiPiPKlPlN2at6native12_GLOBAL__N_18offset_tEEE10hipError_tPvRmT1_PNSt15iterator_traitsISY_E10value_typeET2_T3_PNSZ_IS14_E10value_typeET4_jRbjT5_S1A_jjP12ihipStream_tbEUljE_EEESV_SW_SX_S14_S18_S1A_T6_T7_T9_mT8_S1C_bDpT10_ENKUlT_T0_E_clISt17integral_constantIbLb1EES1O_IbLb0EEEEDaS1K_S1L_EUlS1K_E_NS1_11comp_targetILNS1_3genE0ELNS1_11target_archE4294967295ELNS1_3gpuE0ELNS1_3repE0EEENS1_30default_config_static_selectorELNS0_4arch9wavefront6targetE0EEEvSY_
	.p2align	8
	.type	_ZN7rocprim17ROCPRIM_400000_NS6detail17trampoline_kernelINS0_13select_configILj256ELj13ELNS0_17block_load_methodE3ELS4_3ELS4_3ELNS0_20block_scan_algorithmE0ELj4294967295EEENS1_25partition_config_selectorILNS1_17partition_subalgoE3EjNS0_10empty_typeEbEEZZNS1_14partition_implILS8_3ELb0ES6_jNS0_17counting_iteratorIjlEEPS9_SE_NS0_5tupleIJPjSE_EEENSF_IJSE_SE_EEES9_SG_JZNS1_25segmented_radix_sort_implINS0_14default_configELb0EPKiPiPKlPlN2at6native12_GLOBAL__N_18offset_tEEE10hipError_tPvRmT1_PNSt15iterator_traitsISY_E10value_typeET2_T3_PNSZ_IS14_E10value_typeET4_jRbjT5_S1A_jjP12ihipStream_tbEUljE_EEESV_SW_SX_S14_S18_S1A_T6_T7_T9_mT8_S1C_bDpT10_ENKUlT_T0_E_clISt17integral_constantIbLb1EES1O_IbLb0EEEEDaS1K_S1L_EUlS1K_E_NS1_11comp_targetILNS1_3genE0ELNS1_11target_archE4294967295ELNS1_3gpuE0ELNS1_3repE0EEENS1_30default_config_static_selectorELNS0_4arch9wavefront6targetE0EEEvSY_,@function
_ZN7rocprim17ROCPRIM_400000_NS6detail17trampoline_kernelINS0_13select_configILj256ELj13ELNS0_17block_load_methodE3ELS4_3ELS4_3ELNS0_20block_scan_algorithmE0ELj4294967295EEENS1_25partition_config_selectorILNS1_17partition_subalgoE3EjNS0_10empty_typeEbEEZZNS1_14partition_implILS8_3ELb0ES6_jNS0_17counting_iteratorIjlEEPS9_SE_NS0_5tupleIJPjSE_EEENSF_IJSE_SE_EEES9_SG_JZNS1_25segmented_radix_sort_implINS0_14default_configELb0EPKiPiPKlPlN2at6native12_GLOBAL__N_18offset_tEEE10hipError_tPvRmT1_PNSt15iterator_traitsISY_E10value_typeET2_T3_PNSZ_IS14_E10value_typeET4_jRbjT5_S1A_jjP12ihipStream_tbEUljE_EEESV_SW_SX_S14_S18_S1A_T6_T7_T9_mT8_S1C_bDpT10_ENKUlT_T0_E_clISt17integral_constantIbLb1EES1O_IbLb0EEEEDaS1K_S1L_EUlS1K_E_NS1_11comp_targetILNS1_3genE0ELNS1_11target_archE4294967295ELNS1_3gpuE0ELNS1_3repE0EEENS1_30default_config_static_selectorELNS0_4arch9wavefront6targetE0EEEvSY_: ; @_ZN7rocprim17ROCPRIM_400000_NS6detail17trampoline_kernelINS0_13select_configILj256ELj13ELNS0_17block_load_methodE3ELS4_3ELS4_3ELNS0_20block_scan_algorithmE0ELj4294967295EEENS1_25partition_config_selectorILNS1_17partition_subalgoE3EjNS0_10empty_typeEbEEZZNS1_14partition_implILS8_3ELb0ES6_jNS0_17counting_iteratorIjlEEPS9_SE_NS0_5tupleIJPjSE_EEENSF_IJSE_SE_EEES9_SG_JZNS1_25segmented_radix_sort_implINS0_14default_configELb0EPKiPiPKlPlN2at6native12_GLOBAL__N_18offset_tEEE10hipError_tPvRmT1_PNSt15iterator_traitsISY_E10value_typeET2_T3_PNSZ_IS14_E10value_typeET4_jRbjT5_S1A_jjP12ihipStream_tbEUljE_EEESV_SW_SX_S14_S18_S1A_T6_T7_T9_mT8_S1C_bDpT10_ENKUlT_T0_E_clISt17integral_constantIbLb1EES1O_IbLb0EEEEDaS1K_S1L_EUlS1K_E_NS1_11comp_targetILNS1_3genE0ELNS1_11target_archE4294967295ELNS1_3gpuE0ELNS1_3repE0EEENS1_30default_config_static_selectorELNS0_4arch9wavefront6targetE0EEEvSY_
; %bb.0:
	.section	.rodata,"a",@progbits
	.p2align	6, 0x0
	.amdhsa_kernel _ZN7rocprim17ROCPRIM_400000_NS6detail17trampoline_kernelINS0_13select_configILj256ELj13ELNS0_17block_load_methodE3ELS4_3ELS4_3ELNS0_20block_scan_algorithmE0ELj4294967295EEENS1_25partition_config_selectorILNS1_17partition_subalgoE3EjNS0_10empty_typeEbEEZZNS1_14partition_implILS8_3ELb0ES6_jNS0_17counting_iteratorIjlEEPS9_SE_NS0_5tupleIJPjSE_EEENSF_IJSE_SE_EEES9_SG_JZNS1_25segmented_radix_sort_implINS0_14default_configELb0EPKiPiPKlPlN2at6native12_GLOBAL__N_18offset_tEEE10hipError_tPvRmT1_PNSt15iterator_traitsISY_E10value_typeET2_T3_PNSZ_IS14_E10value_typeET4_jRbjT5_S1A_jjP12ihipStream_tbEUljE_EEESV_SW_SX_S14_S18_S1A_T6_T7_T9_mT8_S1C_bDpT10_ENKUlT_T0_E_clISt17integral_constantIbLb1EES1O_IbLb0EEEEDaS1K_S1L_EUlS1K_E_NS1_11comp_targetILNS1_3genE0ELNS1_11target_archE4294967295ELNS1_3gpuE0ELNS1_3repE0EEENS1_30default_config_static_selectorELNS0_4arch9wavefront6targetE0EEEvSY_
		.amdhsa_group_segment_fixed_size 0
		.amdhsa_private_segment_fixed_size 0
		.amdhsa_kernarg_size 144
		.amdhsa_user_sgpr_count 2
		.amdhsa_user_sgpr_dispatch_ptr 0
		.amdhsa_user_sgpr_queue_ptr 0
		.amdhsa_user_sgpr_kernarg_segment_ptr 1
		.amdhsa_user_sgpr_dispatch_id 0
		.amdhsa_user_sgpr_private_segment_size 0
		.amdhsa_wavefront_size32 1
		.amdhsa_uses_dynamic_stack 0
		.amdhsa_enable_private_segment 0
		.amdhsa_system_sgpr_workgroup_id_x 1
		.amdhsa_system_sgpr_workgroup_id_y 0
		.amdhsa_system_sgpr_workgroup_id_z 0
		.amdhsa_system_sgpr_workgroup_info 0
		.amdhsa_system_vgpr_workitem_id 0
		.amdhsa_next_free_vgpr 1
		.amdhsa_next_free_sgpr 1
		.amdhsa_reserve_vcc 0
		.amdhsa_float_round_mode_32 0
		.amdhsa_float_round_mode_16_64 0
		.amdhsa_float_denorm_mode_32 3
		.amdhsa_float_denorm_mode_16_64 3
		.amdhsa_fp16_overflow 0
		.amdhsa_workgroup_processor_mode 1
		.amdhsa_memory_ordered 1
		.amdhsa_forward_progress 1
		.amdhsa_inst_pref_size 0
		.amdhsa_round_robin_scheduling 0
		.amdhsa_exception_fp_ieee_invalid_op 0
		.amdhsa_exception_fp_denorm_src 0
		.amdhsa_exception_fp_ieee_div_zero 0
		.amdhsa_exception_fp_ieee_overflow 0
		.amdhsa_exception_fp_ieee_underflow 0
		.amdhsa_exception_fp_ieee_inexact 0
		.amdhsa_exception_int_div_zero 0
	.end_amdhsa_kernel
	.section	.text._ZN7rocprim17ROCPRIM_400000_NS6detail17trampoline_kernelINS0_13select_configILj256ELj13ELNS0_17block_load_methodE3ELS4_3ELS4_3ELNS0_20block_scan_algorithmE0ELj4294967295EEENS1_25partition_config_selectorILNS1_17partition_subalgoE3EjNS0_10empty_typeEbEEZZNS1_14partition_implILS8_3ELb0ES6_jNS0_17counting_iteratorIjlEEPS9_SE_NS0_5tupleIJPjSE_EEENSF_IJSE_SE_EEES9_SG_JZNS1_25segmented_radix_sort_implINS0_14default_configELb0EPKiPiPKlPlN2at6native12_GLOBAL__N_18offset_tEEE10hipError_tPvRmT1_PNSt15iterator_traitsISY_E10value_typeET2_T3_PNSZ_IS14_E10value_typeET4_jRbjT5_S1A_jjP12ihipStream_tbEUljE_EEESV_SW_SX_S14_S18_S1A_T6_T7_T9_mT8_S1C_bDpT10_ENKUlT_T0_E_clISt17integral_constantIbLb1EES1O_IbLb0EEEEDaS1K_S1L_EUlS1K_E_NS1_11comp_targetILNS1_3genE0ELNS1_11target_archE4294967295ELNS1_3gpuE0ELNS1_3repE0EEENS1_30default_config_static_selectorELNS0_4arch9wavefront6targetE0EEEvSY_,"axG",@progbits,_ZN7rocprim17ROCPRIM_400000_NS6detail17trampoline_kernelINS0_13select_configILj256ELj13ELNS0_17block_load_methodE3ELS4_3ELS4_3ELNS0_20block_scan_algorithmE0ELj4294967295EEENS1_25partition_config_selectorILNS1_17partition_subalgoE3EjNS0_10empty_typeEbEEZZNS1_14partition_implILS8_3ELb0ES6_jNS0_17counting_iteratorIjlEEPS9_SE_NS0_5tupleIJPjSE_EEENSF_IJSE_SE_EEES9_SG_JZNS1_25segmented_radix_sort_implINS0_14default_configELb0EPKiPiPKlPlN2at6native12_GLOBAL__N_18offset_tEEE10hipError_tPvRmT1_PNSt15iterator_traitsISY_E10value_typeET2_T3_PNSZ_IS14_E10value_typeET4_jRbjT5_S1A_jjP12ihipStream_tbEUljE_EEESV_SW_SX_S14_S18_S1A_T6_T7_T9_mT8_S1C_bDpT10_ENKUlT_T0_E_clISt17integral_constantIbLb1EES1O_IbLb0EEEEDaS1K_S1L_EUlS1K_E_NS1_11comp_targetILNS1_3genE0ELNS1_11target_archE4294967295ELNS1_3gpuE0ELNS1_3repE0EEENS1_30default_config_static_selectorELNS0_4arch9wavefront6targetE0EEEvSY_,comdat
.Lfunc_end584:
	.size	_ZN7rocprim17ROCPRIM_400000_NS6detail17trampoline_kernelINS0_13select_configILj256ELj13ELNS0_17block_load_methodE3ELS4_3ELS4_3ELNS0_20block_scan_algorithmE0ELj4294967295EEENS1_25partition_config_selectorILNS1_17partition_subalgoE3EjNS0_10empty_typeEbEEZZNS1_14partition_implILS8_3ELb0ES6_jNS0_17counting_iteratorIjlEEPS9_SE_NS0_5tupleIJPjSE_EEENSF_IJSE_SE_EEES9_SG_JZNS1_25segmented_radix_sort_implINS0_14default_configELb0EPKiPiPKlPlN2at6native12_GLOBAL__N_18offset_tEEE10hipError_tPvRmT1_PNSt15iterator_traitsISY_E10value_typeET2_T3_PNSZ_IS14_E10value_typeET4_jRbjT5_S1A_jjP12ihipStream_tbEUljE_EEESV_SW_SX_S14_S18_S1A_T6_T7_T9_mT8_S1C_bDpT10_ENKUlT_T0_E_clISt17integral_constantIbLb1EES1O_IbLb0EEEEDaS1K_S1L_EUlS1K_E_NS1_11comp_targetILNS1_3genE0ELNS1_11target_archE4294967295ELNS1_3gpuE0ELNS1_3repE0EEENS1_30default_config_static_selectorELNS0_4arch9wavefront6targetE0EEEvSY_, .Lfunc_end584-_ZN7rocprim17ROCPRIM_400000_NS6detail17trampoline_kernelINS0_13select_configILj256ELj13ELNS0_17block_load_methodE3ELS4_3ELS4_3ELNS0_20block_scan_algorithmE0ELj4294967295EEENS1_25partition_config_selectorILNS1_17partition_subalgoE3EjNS0_10empty_typeEbEEZZNS1_14partition_implILS8_3ELb0ES6_jNS0_17counting_iteratorIjlEEPS9_SE_NS0_5tupleIJPjSE_EEENSF_IJSE_SE_EEES9_SG_JZNS1_25segmented_radix_sort_implINS0_14default_configELb0EPKiPiPKlPlN2at6native12_GLOBAL__N_18offset_tEEE10hipError_tPvRmT1_PNSt15iterator_traitsISY_E10value_typeET2_T3_PNSZ_IS14_E10value_typeET4_jRbjT5_S1A_jjP12ihipStream_tbEUljE_EEESV_SW_SX_S14_S18_S1A_T6_T7_T9_mT8_S1C_bDpT10_ENKUlT_T0_E_clISt17integral_constantIbLb1EES1O_IbLb0EEEEDaS1K_S1L_EUlS1K_E_NS1_11comp_targetILNS1_3genE0ELNS1_11target_archE4294967295ELNS1_3gpuE0ELNS1_3repE0EEENS1_30default_config_static_selectorELNS0_4arch9wavefront6targetE0EEEvSY_
                                        ; -- End function
	.set _ZN7rocprim17ROCPRIM_400000_NS6detail17trampoline_kernelINS0_13select_configILj256ELj13ELNS0_17block_load_methodE3ELS4_3ELS4_3ELNS0_20block_scan_algorithmE0ELj4294967295EEENS1_25partition_config_selectorILNS1_17partition_subalgoE3EjNS0_10empty_typeEbEEZZNS1_14partition_implILS8_3ELb0ES6_jNS0_17counting_iteratorIjlEEPS9_SE_NS0_5tupleIJPjSE_EEENSF_IJSE_SE_EEES9_SG_JZNS1_25segmented_radix_sort_implINS0_14default_configELb0EPKiPiPKlPlN2at6native12_GLOBAL__N_18offset_tEEE10hipError_tPvRmT1_PNSt15iterator_traitsISY_E10value_typeET2_T3_PNSZ_IS14_E10value_typeET4_jRbjT5_S1A_jjP12ihipStream_tbEUljE_EEESV_SW_SX_S14_S18_S1A_T6_T7_T9_mT8_S1C_bDpT10_ENKUlT_T0_E_clISt17integral_constantIbLb1EES1O_IbLb0EEEEDaS1K_S1L_EUlS1K_E_NS1_11comp_targetILNS1_3genE0ELNS1_11target_archE4294967295ELNS1_3gpuE0ELNS1_3repE0EEENS1_30default_config_static_selectorELNS0_4arch9wavefront6targetE0EEEvSY_.num_vgpr, 0
	.set _ZN7rocprim17ROCPRIM_400000_NS6detail17trampoline_kernelINS0_13select_configILj256ELj13ELNS0_17block_load_methodE3ELS4_3ELS4_3ELNS0_20block_scan_algorithmE0ELj4294967295EEENS1_25partition_config_selectorILNS1_17partition_subalgoE3EjNS0_10empty_typeEbEEZZNS1_14partition_implILS8_3ELb0ES6_jNS0_17counting_iteratorIjlEEPS9_SE_NS0_5tupleIJPjSE_EEENSF_IJSE_SE_EEES9_SG_JZNS1_25segmented_radix_sort_implINS0_14default_configELb0EPKiPiPKlPlN2at6native12_GLOBAL__N_18offset_tEEE10hipError_tPvRmT1_PNSt15iterator_traitsISY_E10value_typeET2_T3_PNSZ_IS14_E10value_typeET4_jRbjT5_S1A_jjP12ihipStream_tbEUljE_EEESV_SW_SX_S14_S18_S1A_T6_T7_T9_mT8_S1C_bDpT10_ENKUlT_T0_E_clISt17integral_constantIbLb1EES1O_IbLb0EEEEDaS1K_S1L_EUlS1K_E_NS1_11comp_targetILNS1_3genE0ELNS1_11target_archE4294967295ELNS1_3gpuE0ELNS1_3repE0EEENS1_30default_config_static_selectorELNS0_4arch9wavefront6targetE0EEEvSY_.num_agpr, 0
	.set _ZN7rocprim17ROCPRIM_400000_NS6detail17trampoline_kernelINS0_13select_configILj256ELj13ELNS0_17block_load_methodE3ELS4_3ELS4_3ELNS0_20block_scan_algorithmE0ELj4294967295EEENS1_25partition_config_selectorILNS1_17partition_subalgoE3EjNS0_10empty_typeEbEEZZNS1_14partition_implILS8_3ELb0ES6_jNS0_17counting_iteratorIjlEEPS9_SE_NS0_5tupleIJPjSE_EEENSF_IJSE_SE_EEES9_SG_JZNS1_25segmented_radix_sort_implINS0_14default_configELb0EPKiPiPKlPlN2at6native12_GLOBAL__N_18offset_tEEE10hipError_tPvRmT1_PNSt15iterator_traitsISY_E10value_typeET2_T3_PNSZ_IS14_E10value_typeET4_jRbjT5_S1A_jjP12ihipStream_tbEUljE_EEESV_SW_SX_S14_S18_S1A_T6_T7_T9_mT8_S1C_bDpT10_ENKUlT_T0_E_clISt17integral_constantIbLb1EES1O_IbLb0EEEEDaS1K_S1L_EUlS1K_E_NS1_11comp_targetILNS1_3genE0ELNS1_11target_archE4294967295ELNS1_3gpuE0ELNS1_3repE0EEENS1_30default_config_static_selectorELNS0_4arch9wavefront6targetE0EEEvSY_.numbered_sgpr, 0
	.set _ZN7rocprim17ROCPRIM_400000_NS6detail17trampoline_kernelINS0_13select_configILj256ELj13ELNS0_17block_load_methodE3ELS4_3ELS4_3ELNS0_20block_scan_algorithmE0ELj4294967295EEENS1_25partition_config_selectorILNS1_17partition_subalgoE3EjNS0_10empty_typeEbEEZZNS1_14partition_implILS8_3ELb0ES6_jNS0_17counting_iteratorIjlEEPS9_SE_NS0_5tupleIJPjSE_EEENSF_IJSE_SE_EEES9_SG_JZNS1_25segmented_radix_sort_implINS0_14default_configELb0EPKiPiPKlPlN2at6native12_GLOBAL__N_18offset_tEEE10hipError_tPvRmT1_PNSt15iterator_traitsISY_E10value_typeET2_T3_PNSZ_IS14_E10value_typeET4_jRbjT5_S1A_jjP12ihipStream_tbEUljE_EEESV_SW_SX_S14_S18_S1A_T6_T7_T9_mT8_S1C_bDpT10_ENKUlT_T0_E_clISt17integral_constantIbLb1EES1O_IbLb0EEEEDaS1K_S1L_EUlS1K_E_NS1_11comp_targetILNS1_3genE0ELNS1_11target_archE4294967295ELNS1_3gpuE0ELNS1_3repE0EEENS1_30default_config_static_selectorELNS0_4arch9wavefront6targetE0EEEvSY_.num_named_barrier, 0
	.set _ZN7rocprim17ROCPRIM_400000_NS6detail17trampoline_kernelINS0_13select_configILj256ELj13ELNS0_17block_load_methodE3ELS4_3ELS4_3ELNS0_20block_scan_algorithmE0ELj4294967295EEENS1_25partition_config_selectorILNS1_17partition_subalgoE3EjNS0_10empty_typeEbEEZZNS1_14partition_implILS8_3ELb0ES6_jNS0_17counting_iteratorIjlEEPS9_SE_NS0_5tupleIJPjSE_EEENSF_IJSE_SE_EEES9_SG_JZNS1_25segmented_radix_sort_implINS0_14default_configELb0EPKiPiPKlPlN2at6native12_GLOBAL__N_18offset_tEEE10hipError_tPvRmT1_PNSt15iterator_traitsISY_E10value_typeET2_T3_PNSZ_IS14_E10value_typeET4_jRbjT5_S1A_jjP12ihipStream_tbEUljE_EEESV_SW_SX_S14_S18_S1A_T6_T7_T9_mT8_S1C_bDpT10_ENKUlT_T0_E_clISt17integral_constantIbLb1EES1O_IbLb0EEEEDaS1K_S1L_EUlS1K_E_NS1_11comp_targetILNS1_3genE0ELNS1_11target_archE4294967295ELNS1_3gpuE0ELNS1_3repE0EEENS1_30default_config_static_selectorELNS0_4arch9wavefront6targetE0EEEvSY_.private_seg_size, 0
	.set _ZN7rocprim17ROCPRIM_400000_NS6detail17trampoline_kernelINS0_13select_configILj256ELj13ELNS0_17block_load_methodE3ELS4_3ELS4_3ELNS0_20block_scan_algorithmE0ELj4294967295EEENS1_25partition_config_selectorILNS1_17partition_subalgoE3EjNS0_10empty_typeEbEEZZNS1_14partition_implILS8_3ELb0ES6_jNS0_17counting_iteratorIjlEEPS9_SE_NS0_5tupleIJPjSE_EEENSF_IJSE_SE_EEES9_SG_JZNS1_25segmented_radix_sort_implINS0_14default_configELb0EPKiPiPKlPlN2at6native12_GLOBAL__N_18offset_tEEE10hipError_tPvRmT1_PNSt15iterator_traitsISY_E10value_typeET2_T3_PNSZ_IS14_E10value_typeET4_jRbjT5_S1A_jjP12ihipStream_tbEUljE_EEESV_SW_SX_S14_S18_S1A_T6_T7_T9_mT8_S1C_bDpT10_ENKUlT_T0_E_clISt17integral_constantIbLb1EES1O_IbLb0EEEEDaS1K_S1L_EUlS1K_E_NS1_11comp_targetILNS1_3genE0ELNS1_11target_archE4294967295ELNS1_3gpuE0ELNS1_3repE0EEENS1_30default_config_static_selectorELNS0_4arch9wavefront6targetE0EEEvSY_.uses_vcc, 0
	.set _ZN7rocprim17ROCPRIM_400000_NS6detail17trampoline_kernelINS0_13select_configILj256ELj13ELNS0_17block_load_methodE3ELS4_3ELS4_3ELNS0_20block_scan_algorithmE0ELj4294967295EEENS1_25partition_config_selectorILNS1_17partition_subalgoE3EjNS0_10empty_typeEbEEZZNS1_14partition_implILS8_3ELb0ES6_jNS0_17counting_iteratorIjlEEPS9_SE_NS0_5tupleIJPjSE_EEENSF_IJSE_SE_EEES9_SG_JZNS1_25segmented_radix_sort_implINS0_14default_configELb0EPKiPiPKlPlN2at6native12_GLOBAL__N_18offset_tEEE10hipError_tPvRmT1_PNSt15iterator_traitsISY_E10value_typeET2_T3_PNSZ_IS14_E10value_typeET4_jRbjT5_S1A_jjP12ihipStream_tbEUljE_EEESV_SW_SX_S14_S18_S1A_T6_T7_T9_mT8_S1C_bDpT10_ENKUlT_T0_E_clISt17integral_constantIbLb1EES1O_IbLb0EEEEDaS1K_S1L_EUlS1K_E_NS1_11comp_targetILNS1_3genE0ELNS1_11target_archE4294967295ELNS1_3gpuE0ELNS1_3repE0EEENS1_30default_config_static_selectorELNS0_4arch9wavefront6targetE0EEEvSY_.uses_flat_scratch, 0
	.set _ZN7rocprim17ROCPRIM_400000_NS6detail17trampoline_kernelINS0_13select_configILj256ELj13ELNS0_17block_load_methodE3ELS4_3ELS4_3ELNS0_20block_scan_algorithmE0ELj4294967295EEENS1_25partition_config_selectorILNS1_17partition_subalgoE3EjNS0_10empty_typeEbEEZZNS1_14partition_implILS8_3ELb0ES6_jNS0_17counting_iteratorIjlEEPS9_SE_NS0_5tupleIJPjSE_EEENSF_IJSE_SE_EEES9_SG_JZNS1_25segmented_radix_sort_implINS0_14default_configELb0EPKiPiPKlPlN2at6native12_GLOBAL__N_18offset_tEEE10hipError_tPvRmT1_PNSt15iterator_traitsISY_E10value_typeET2_T3_PNSZ_IS14_E10value_typeET4_jRbjT5_S1A_jjP12ihipStream_tbEUljE_EEESV_SW_SX_S14_S18_S1A_T6_T7_T9_mT8_S1C_bDpT10_ENKUlT_T0_E_clISt17integral_constantIbLb1EES1O_IbLb0EEEEDaS1K_S1L_EUlS1K_E_NS1_11comp_targetILNS1_3genE0ELNS1_11target_archE4294967295ELNS1_3gpuE0ELNS1_3repE0EEENS1_30default_config_static_selectorELNS0_4arch9wavefront6targetE0EEEvSY_.has_dyn_sized_stack, 0
	.set _ZN7rocprim17ROCPRIM_400000_NS6detail17trampoline_kernelINS0_13select_configILj256ELj13ELNS0_17block_load_methodE3ELS4_3ELS4_3ELNS0_20block_scan_algorithmE0ELj4294967295EEENS1_25partition_config_selectorILNS1_17partition_subalgoE3EjNS0_10empty_typeEbEEZZNS1_14partition_implILS8_3ELb0ES6_jNS0_17counting_iteratorIjlEEPS9_SE_NS0_5tupleIJPjSE_EEENSF_IJSE_SE_EEES9_SG_JZNS1_25segmented_radix_sort_implINS0_14default_configELb0EPKiPiPKlPlN2at6native12_GLOBAL__N_18offset_tEEE10hipError_tPvRmT1_PNSt15iterator_traitsISY_E10value_typeET2_T3_PNSZ_IS14_E10value_typeET4_jRbjT5_S1A_jjP12ihipStream_tbEUljE_EEESV_SW_SX_S14_S18_S1A_T6_T7_T9_mT8_S1C_bDpT10_ENKUlT_T0_E_clISt17integral_constantIbLb1EES1O_IbLb0EEEEDaS1K_S1L_EUlS1K_E_NS1_11comp_targetILNS1_3genE0ELNS1_11target_archE4294967295ELNS1_3gpuE0ELNS1_3repE0EEENS1_30default_config_static_selectorELNS0_4arch9wavefront6targetE0EEEvSY_.has_recursion, 0
	.set _ZN7rocprim17ROCPRIM_400000_NS6detail17trampoline_kernelINS0_13select_configILj256ELj13ELNS0_17block_load_methodE3ELS4_3ELS4_3ELNS0_20block_scan_algorithmE0ELj4294967295EEENS1_25partition_config_selectorILNS1_17partition_subalgoE3EjNS0_10empty_typeEbEEZZNS1_14partition_implILS8_3ELb0ES6_jNS0_17counting_iteratorIjlEEPS9_SE_NS0_5tupleIJPjSE_EEENSF_IJSE_SE_EEES9_SG_JZNS1_25segmented_radix_sort_implINS0_14default_configELb0EPKiPiPKlPlN2at6native12_GLOBAL__N_18offset_tEEE10hipError_tPvRmT1_PNSt15iterator_traitsISY_E10value_typeET2_T3_PNSZ_IS14_E10value_typeET4_jRbjT5_S1A_jjP12ihipStream_tbEUljE_EEESV_SW_SX_S14_S18_S1A_T6_T7_T9_mT8_S1C_bDpT10_ENKUlT_T0_E_clISt17integral_constantIbLb1EES1O_IbLb0EEEEDaS1K_S1L_EUlS1K_E_NS1_11comp_targetILNS1_3genE0ELNS1_11target_archE4294967295ELNS1_3gpuE0ELNS1_3repE0EEENS1_30default_config_static_selectorELNS0_4arch9wavefront6targetE0EEEvSY_.has_indirect_call, 0
	.section	.AMDGPU.csdata,"",@progbits
; Kernel info:
; codeLenInByte = 0
; TotalNumSgprs: 0
; NumVgprs: 0
; ScratchSize: 0
; MemoryBound: 0
; FloatMode: 240
; IeeeMode: 1
; LDSByteSize: 0 bytes/workgroup (compile time only)
; SGPRBlocks: 0
; VGPRBlocks: 0
; NumSGPRsForWavesPerEU: 1
; NumVGPRsForWavesPerEU: 1
; Occupancy: 16
; WaveLimiterHint : 0
; COMPUTE_PGM_RSRC2:SCRATCH_EN: 0
; COMPUTE_PGM_RSRC2:USER_SGPR: 2
; COMPUTE_PGM_RSRC2:TRAP_HANDLER: 0
; COMPUTE_PGM_RSRC2:TGID_X_EN: 1
; COMPUTE_PGM_RSRC2:TGID_Y_EN: 0
; COMPUTE_PGM_RSRC2:TGID_Z_EN: 0
; COMPUTE_PGM_RSRC2:TIDIG_COMP_CNT: 0
	.section	.text._ZN7rocprim17ROCPRIM_400000_NS6detail17trampoline_kernelINS0_13select_configILj256ELj13ELNS0_17block_load_methodE3ELS4_3ELS4_3ELNS0_20block_scan_algorithmE0ELj4294967295EEENS1_25partition_config_selectorILNS1_17partition_subalgoE3EjNS0_10empty_typeEbEEZZNS1_14partition_implILS8_3ELb0ES6_jNS0_17counting_iteratorIjlEEPS9_SE_NS0_5tupleIJPjSE_EEENSF_IJSE_SE_EEES9_SG_JZNS1_25segmented_radix_sort_implINS0_14default_configELb0EPKiPiPKlPlN2at6native12_GLOBAL__N_18offset_tEEE10hipError_tPvRmT1_PNSt15iterator_traitsISY_E10value_typeET2_T3_PNSZ_IS14_E10value_typeET4_jRbjT5_S1A_jjP12ihipStream_tbEUljE_EEESV_SW_SX_S14_S18_S1A_T6_T7_T9_mT8_S1C_bDpT10_ENKUlT_T0_E_clISt17integral_constantIbLb1EES1O_IbLb0EEEEDaS1K_S1L_EUlS1K_E_NS1_11comp_targetILNS1_3genE5ELNS1_11target_archE942ELNS1_3gpuE9ELNS1_3repE0EEENS1_30default_config_static_selectorELNS0_4arch9wavefront6targetE0EEEvSY_,"axG",@progbits,_ZN7rocprim17ROCPRIM_400000_NS6detail17trampoline_kernelINS0_13select_configILj256ELj13ELNS0_17block_load_methodE3ELS4_3ELS4_3ELNS0_20block_scan_algorithmE0ELj4294967295EEENS1_25partition_config_selectorILNS1_17partition_subalgoE3EjNS0_10empty_typeEbEEZZNS1_14partition_implILS8_3ELb0ES6_jNS0_17counting_iteratorIjlEEPS9_SE_NS0_5tupleIJPjSE_EEENSF_IJSE_SE_EEES9_SG_JZNS1_25segmented_radix_sort_implINS0_14default_configELb0EPKiPiPKlPlN2at6native12_GLOBAL__N_18offset_tEEE10hipError_tPvRmT1_PNSt15iterator_traitsISY_E10value_typeET2_T3_PNSZ_IS14_E10value_typeET4_jRbjT5_S1A_jjP12ihipStream_tbEUljE_EEESV_SW_SX_S14_S18_S1A_T6_T7_T9_mT8_S1C_bDpT10_ENKUlT_T0_E_clISt17integral_constantIbLb1EES1O_IbLb0EEEEDaS1K_S1L_EUlS1K_E_NS1_11comp_targetILNS1_3genE5ELNS1_11target_archE942ELNS1_3gpuE9ELNS1_3repE0EEENS1_30default_config_static_selectorELNS0_4arch9wavefront6targetE0EEEvSY_,comdat
	.globl	_ZN7rocprim17ROCPRIM_400000_NS6detail17trampoline_kernelINS0_13select_configILj256ELj13ELNS0_17block_load_methodE3ELS4_3ELS4_3ELNS0_20block_scan_algorithmE0ELj4294967295EEENS1_25partition_config_selectorILNS1_17partition_subalgoE3EjNS0_10empty_typeEbEEZZNS1_14partition_implILS8_3ELb0ES6_jNS0_17counting_iteratorIjlEEPS9_SE_NS0_5tupleIJPjSE_EEENSF_IJSE_SE_EEES9_SG_JZNS1_25segmented_radix_sort_implINS0_14default_configELb0EPKiPiPKlPlN2at6native12_GLOBAL__N_18offset_tEEE10hipError_tPvRmT1_PNSt15iterator_traitsISY_E10value_typeET2_T3_PNSZ_IS14_E10value_typeET4_jRbjT5_S1A_jjP12ihipStream_tbEUljE_EEESV_SW_SX_S14_S18_S1A_T6_T7_T9_mT8_S1C_bDpT10_ENKUlT_T0_E_clISt17integral_constantIbLb1EES1O_IbLb0EEEEDaS1K_S1L_EUlS1K_E_NS1_11comp_targetILNS1_3genE5ELNS1_11target_archE942ELNS1_3gpuE9ELNS1_3repE0EEENS1_30default_config_static_selectorELNS0_4arch9wavefront6targetE0EEEvSY_ ; -- Begin function _ZN7rocprim17ROCPRIM_400000_NS6detail17trampoline_kernelINS0_13select_configILj256ELj13ELNS0_17block_load_methodE3ELS4_3ELS4_3ELNS0_20block_scan_algorithmE0ELj4294967295EEENS1_25partition_config_selectorILNS1_17partition_subalgoE3EjNS0_10empty_typeEbEEZZNS1_14partition_implILS8_3ELb0ES6_jNS0_17counting_iteratorIjlEEPS9_SE_NS0_5tupleIJPjSE_EEENSF_IJSE_SE_EEES9_SG_JZNS1_25segmented_radix_sort_implINS0_14default_configELb0EPKiPiPKlPlN2at6native12_GLOBAL__N_18offset_tEEE10hipError_tPvRmT1_PNSt15iterator_traitsISY_E10value_typeET2_T3_PNSZ_IS14_E10value_typeET4_jRbjT5_S1A_jjP12ihipStream_tbEUljE_EEESV_SW_SX_S14_S18_S1A_T6_T7_T9_mT8_S1C_bDpT10_ENKUlT_T0_E_clISt17integral_constantIbLb1EES1O_IbLb0EEEEDaS1K_S1L_EUlS1K_E_NS1_11comp_targetILNS1_3genE5ELNS1_11target_archE942ELNS1_3gpuE9ELNS1_3repE0EEENS1_30default_config_static_selectorELNS0_4arch9wavefront6targetE0EEEvSY_
	.p2align	8
	.type	_ZN7rocprim17ROCPRIM_400000_NS6detail17trampoline_kernelINS0_13select_configILj256ELj13ELNS0_17block_load_methodE3ELS4_3ELS4_3ELNS0_20block_scan_algorithmE0ELj4294967295EEENS1_25partition_config_selectorILNS1_17partition_subalgoE3EjNS0_10empty_typeEbEEZZNS1_14partition_implILS8_3ELb0ES6_jNS0_17counting_iteratorIjlEEPS9_SE_NS0_5tupleIJPjSE_EEENSF_IJSE_SE_EEES9_SG_JZNS1_25segmented_radix_sort_implINS0_14default_configELb0EPKiPiPKlPlN2at6native12_GLOBAL__N_18offset_tEEE10hipError_tPvRmT1_PNSt15iterator_traitsISY_E10value_typeET2_T3_PNSZ_IS14_E10value_typeET4_jRbjT5_S1A_jjP12ihipStream_tbEUljE_EEESV_SW_SX_S14_S18_S1A_T6_T7_T9_mT8_S1C_bDpT10_ENKUlT_T0_E_clISt17integral_constantIbLb1EES1O_IbLb0EEEEDaS1K_S1L_EUlS1K_E_NS1_11comp_targetILNS1_3genE5ELNS1_11target_archE942ELNS1_3gpuE9ELNS1_3repE0EEENS1_30default_config_static_selectorELNS0_4arch9wavefront6targetE0EEEvSY_,@function
_ZN7rocprim17ROCPRIM_400000_NS6detail17trampoline_kernelINS0_13select_configILj256ELj13ELNS0_17block_load_methodE3ELS4_3ELS4_3ELNS0_20block_scan_algorithmE0ELj4294967295EEENS1_25partition_config_selectorILNS1_17partition_subalgoE3EjNS0_10empty_typeEbEEZZNS1_14partition_implILS8_3ELb0ES6_jNS0_17counting_iteratorIjlEEPS9_SE_NS0_5tupleIJPjSE_EEENSF_IJSE_SE_EEES9_SG_JZNS1_25segmented_radix_sort_implINS0_14default_configELb0EPKiPiPKlPlN2at6native12_GLOBAL__N_18offset_tEEE10hipError_tPvRmT1_PNSt15iterator_traitsISY_E10value_typeET2_T3_PNSZ_IS14_E10value_typeET4_jRbjT5_S1A_jjP12ihipStream_tbEUljE_EEESV_SW_SX_S14_S18_S1A_T6_T7_T9_mT8_S1C_bDpT10_ENKUlT_T0_E_clISt17integral_constantIbLb1EES1O_IbLb0EEEEDaS1K_S1L_EUlS1K_E_NS1_11comp_targetILNS1_3genE5ELNS1_11target_archE942ELNS1_3gpuE9ELNS1_3repE0EEENS1_30default_config_static_selectorELNS0_4arch9wavefront6targetE0EEEvSY_: ; @_ZN7rocprim17ROCPRIM_400000_NS6detail17trampoline_kernelINS0_13select_configILj256ELj13ELNS0_17block_load_methodE3ELS4_3ELS4_3ELNS0_20block_scan_algorithmE0ELj4294967295EEENS1_25partition_config_selectorILNS1_17partition_subalgoE3EjNS0_10empty_typeEbEEZZNS1_14partition_implILS8_3ELb0ES6_jNS0_17counting_iteratorIjlEEPS9_SE_NS0_5tupleIJPjSE_EEENSF_IJSE_SE_EEES9_SG_JZNS1_25segmented_radix_sort_implINS0_14default_configELb0EPKiPiPKlPlN2at6native12_GLOBAL__N_18offset_tEEE10hipError_tPvRmT1_PNSt15iterator_traitsISY_E10value_typeET2_T3_PNSZ_IS14_E10value_typeET4_jRbjT5_S1A_jjP12ihipStream_tbEUljE_EEESV_SW_SX_S14_S18_S1A_T6_T7_T9_mT8_S1C_bDpT10_ENKUlT_T0_E_clISt17integral_constantIbLb1EES1O_IbLb0EEEEDaS1K_S1L_EUlS1K_E_NS1_11comp_targetILNS1_3genE5ELNS1_11target_archE942ELNS1_3gpuE9ELNS1_3repE0EEENS1_30default_config_static_selectorELNS0_4arch9wavefront6targetE0EEEvSY_
; %bb.0:
	.section	.rodata,"a",@progbits
	.p2align	6, 0x0
	.amdhsa_kernel _ZN7rocprim17ROCPRIM_400000_NS6detail17trampoline_kernelINS0_13select_configILj256ELj13ELNS0_17block_load_methodE3ELS4_3ELS4_3ELNS0_20block_scan_algorithmE0ELj4294967295EEENS1_25partition_config_selectorILNS1_17partition_subalgoE3EjNS0_10empty_typeEbEEZZNS1_14partition_implILS8_3ELb0ES6_jNS0_17counting_iteratorIjlEEPS9_SE_NS0_5tupleIJPjSE_EEENSF_IJSE_SE_EEES9_SG_JZNS1_25segmented_radix_sort_implINS0_14default_configELb0EPKiPiPKlPlN2at6native12_GLOBAL__N_18offset_tEEE10hipError_tPvRmT1_PNSt15iterator_traitsISY_E10value_typeET2_T3_PNSZ_IS14_E10value_typeET4_jRbjT5_S1A_jjP12ihipStream_tbEUljE_EEESV_SW_SX_S14_S18_S1A_T6_T7_T9_mT8_S1C_bDpT10_ENKUlT_T0_E_clISt17integral_constantIbLb1EES1O_IbLb0EEEEDaS1K_S1L_EUlS1K_E_NS1_11comp_targetILNS1_3genE5ELNS1_11target_archE942ELNS1_3gpuE9ELNS1_3repE0EEENS1_30default_config_static_selectorELNS0_4arch9wavefront6targetE0EEEvSY_
		.amdhsa_group_segment_fixed_size 0
		.amdhsa_private_segment_fixed_size 0
		.amdhsa_kernarg_size 144
		.amdhsa_user_sgpr_count 2
		.amdhsa_user_sgpr_dispatch_ptr 0
		.amdhsa_user_sgpr_queue_ptr 0
		.amdhsa_user_sgpr_kernarg_segment_ptr 1
		.amdhsa_user_sgpr_dispatch_id 0
		.amdhsa_user_sgpr_private_segment_size 0
		.amdhsa_wavefront_size32 1
		.amdhsa_uses_dynamic_stack 0
		.amdhsa_enable_private_segment 0
		.amdhsa_system_sgpr_workgroup_id_x 1
		.amdhsa_system_sgpr_workgroup_id_y 0
		.amdhsa_system_sgpr_workgroup_id_z 0
		.amdhsa_system_sgpr_workgroup_info 0
		.amdhsa_system_vgpr_workitem_id 0
		.amdhsa_next_free_vgpr 1
		.amdhsa_next_free_sgpr 1
		.amdhsa_reserve_vcc 0
		.amdhsa_float_round_mode_32 0
		.amdhsa_float_round_mode_16_64 0
		.amdhsa_float_denorm_mode_32 3
		.amdhsa_float_denorm_mode_16_64 3
		.amdhsa_fp16_overflow 0
		.amdhsa_workgroup_processor_mode 1
		.amdhsa_memory_ordered 1
		.amdhsa_forward_progress 1
		.amdhsa_inst_pref_size 0
		.amdhsa_round_robin_scheduling 0
		.amdhsa_exception_fp_ieee_invalid_op 0
		.amdhsa_exception_fp_denorm_src 0
		.amdhsa_exception_fp_ieee_div_zero 0
		.amdhsa_exception_fp_ieee_overflow 0
		.amdhsa_exception_fp_ieee_underflow 0
		.amdhsa_exception_fp_ieee_inexact 0
		.amdhsa_exception_int_div_zero 0
	.end_amdhsa_kernel
	.section	.text._ZN7rocprim17ROCPRIM_400000_NS6detail17trampoline_kernelINS0_13select_configILj256ELj13ELNS0_17block_load_methodE3ELS4_3ELS4_3ELNS0_20block_scan_algorithmE0ELj4294967295EEENS1_25partition_config_selectorILNS1_17partition_subalgoE3EjNS0_10empty_typeEbEEZZNS1_14partition_implILS8_3ELb0ES6_jNS0_17counting_iteratorIjlEEPS9_SE_NS0_5tupleIJPjSE_EEENSF_IJSE_SE_EEES9_SG_JZNS1_25segmented_radix_sort_implINS0_14default_configELb0EPKiPiPKlPlN2at6native12_GLOBAL__N_18offset_tEEE10hipError_tPvRmT1_PNSt15iterator_traitsISY_E10value_typeET2_T3_PNSZ_IS14_E10value_typeET4_jRbjT5_S1A_jjP12ihipStream_tbEUljE_EEESV_SW_SX_S14_S18_S1A_T6_T7_T9_mT8_S1C_bDpT10_ENKUlT_T0_E_clISt17integral_constantIbLb1EES1O_IbLb0EEEEDaS1K_S1L_EUlS1K_E_NS1_11comp_targetILNS1_3genE5ELNS1_11target_archE942ELNS1_3gpuE9ELNS1_3repE0EEENS1_30default_config_static_selectorELNS0_4arch9wavefront6targetE0EEEvSY_,"axG",@progbits,_ZN7rocprim17ROCPRIM_400000_NS6detail17trampoline_kernelINS0_13select_configILj256ELj13ELNS0_17block_load_methodE3ELS4_3ELS4_3ELNS0_20block_scan_algorithmE0ELj4294967295EEENS1_25partition_config_selectorILNS1_17partition_subalgoE3EjNS0_10empty_typeEbEEZZNS1_14partition_implILS8_3ELb0ES6_jNS0_17counting_iteratorIjlEEPS9_SE_NS0_5tupleIJPjSE_EEENSF_IJSE_SE_EEES9_SG_JZNS1_25segmented_radix_sort_implINS0_14default_configELb0EPKiPiPKlPlN2at6native12_GLOBAL__N_18offset_tEEE10hipError_tPvRmT1_PNSt15iterator_traitsISY_E10value_typeET2_T3_PNSZ_IS14_E10value_typeET4_jRbjT5_S1A_jjP12ihipStream_tbEUljE_EEESV_SW_SX_S14_S18_S1A_T6_T7_T9_mT8_S1C_bDpT10_ENKUlT_T0_E_clISt17integral_constantIbLb1EES1O_IbLb0EEEEDaS1K_S1L_EUlS1K_E_NS1_11comp_targetILNS1_3genE5ELNS1_11target_archE942ELNS1_3gpuE9ELNS1_3repE0EEENS1_30default_config_static_selectorELNS0_4arch9wavefront6targetE0EEEvSY_,comdat
.Lfunc_end585:
	.size	_ZN7rocprim17ROCPRIM_400000_NS6detail17trampoline_kernelINS0_13select_configILj256ELj13ELNS0_17block_load_methodE3ELS4_3ELS4_3ELNS0_20block_scan_algorithmE0ELj4294967295EEENS1_25partition_config_selectorILNS1_17partition_subalgoE3EjNS0_10empty_typeEbEEZZNS1_14partition_implILS8_3ELb0ES6_jNS0_17counting_iteratorIjlEEPS9_SE_NS0_5tupleIJPjSE_EEENSF_IJSE_SE_EEES9_SG_JZNS1_25segmented_radix_sort_implINS0_14default_configELb0EPKiPiPKlPlN2at6native12_GLOBAL__N_18offset_tEEE10hipError_tPvRmT1_PNSt15iterator_traitsISY_E10value_typeET2_T3_PNSZ_IS14_E10value_typeET4_jRbjT5_S1A_jjP12ihipStream_tbEUljE_EEESV_SW_SX_S14_S18_S1A_T6_T7_T9_mT8_S1C_bDpT10_ENKUlT_T0_E_clISt17integral_constantIbLb1EES1O_IbLb0EEEEDaS1K_S1L_EUlS1K_E_NS1_11comp_targetILNS1_3genE5ELNS1_11target_archE942ELNS1_3gpuE9ELNS1_3repE0EEENS1_30default_config_static_selectorELNS0_4arch9wavefront6targetE0EEEvSY_, .Lfunc_end585-_ZN7rocprim17ROCPRIM_400000_NS6detail17trampoline_kernelINS0_13select_configILj256ELj13ELNS0_17block_load_methodE3ELS4_3ELS4_3ELNS0_20block_scan_algorithmE0ELj4294967295EEENS1_25partition_config_selectorILNS1_17partition_subalgoE3EjNS0_10empty_typeEbEEZZNS1_14partition_implILS8_3ELb0ES6_jNS0_17counting_iteratorIjlEEPS9_SE_NS0_5tupleIJPjSE_EEENSF_IJSE_SE_EEES9_SG_JZNS1_25segmented_radix_sort_implINS0_14default_configELb0EPKiPiPKlPlN2at6native12_GLOBAL__N_18offset_tEEE10hipError_tPvRmT1_PNSt15iterator_traitsISY_E10value_typeET2_T3_PNSZ_IS14_E10value_typeET4_jRbjT5_S1A_jjP12ihipStream_tbEUljE_EEESV_SW_SX_S14_S18_S1A_T6_T7_T9_mT8_S1C_bDpT10_ENKUlT_T0_E_clISt17integral_constantIbLb1EES1O_IbLb0EEEEDaS1K_S1L_EUlS1K_E_NS1_11comp_targetILNS1_3genE5ELNS1_11target_archE942ELNS1_3gpuE9ELNS1_3repE0EEENS1_30default_config_static_selectorELNS0_4arch9wavefront6targetE0EEEvSY_
                                        ; -- End function
	.set _ZN7rocprim17ROCPRIM_400000_NS6detail17trampoline_kernelINS0_13select_configILj256ELj13ELNS0_17block_load_methodE3ELS4_3ELS4_3ELNS0_20block_scan_algorithmE0ELj4294967295EEENS1_25partition_config_selectorILNS1_17partition_subalgoE3EjNS0_10empty_typeEbEEZZNS1_14partition_implILS8_3ELb0ES6_jNS0_17counting_iteratorIjlEEPS9_SE_NS0_5tupleIJPjSE_EEENSF_IJSE_SE_EEES9_SG_JZNS1_25segmented_radix_sort_implINS0_14default_configELb0EPKiPiPKlPlN2at6native12_GLOBAL__N_18offset_tEEE10hipError_tPvRmT1_PNSt15iterator_traitsISY_E10value_typeET2_T3_PNSZ_IS14_E10value_typeET4_jRbjT5_S1A_jjP12ihipStream_tbEUljE_EEESV_SW_SX_S14_S18_S1A_T6_T7_T9_mT8_S1C_bDpT10_ENKUlT_T0_E_clISt17integral_constantIbLb1EES1O_IbLb0EEEEDaS1K_S1L_EUlS1K_E_NS1_11comp_targetILNS1_3genE5ELNS1_11target_archE942ELNS1_3gpuE9ELNS1_3repE0EEENS1_30default_config_static_selectorELNS0_4arch9wavefront6targetE0EEEvSY_.num_vgpr, 0
	.set _ZN7rocprim17ROCPRIM_400000_NS6detail17trampoline_kernelINS0_13select_configILj256ELj13ELNS0_17block_load_methodE3ELS4_3ELS4_3ELNS0_20block_scan_algorithmE0ELj4294967295EEENS1_25partition_config_selectorILNS1_17partition_subalgoE3EjNS0_10empty_typeEbEEZZNS1_14partition_implILS8_3ELb0ES6_jNS0_17counting_iteratorIjlEEPS9_SE_NS0_5tupleIJPjSE_EEENSF_IJSE_SE_EEES9_SG_JZNS1_25segmented_radix_sort_implINS0_14default_configELb0EPKiPiPKlPlN2at6native12_GLOBAL__N_18offset_tEEE10hipError_tPvRmT1_PNSt15iterator_traitsISY_E10value_typeET2_T3_PNSZ_IS14_E10value_typeET4_jRbjT5_S1A_jjP12ihipStream_tbEUljE_EEESV_SW_SX_S14_S18_S1A_T6_T7_T9_mT8_S1C_bDpT10_ENKUlT_T0_E_clISt17integral_constantIbLb1EES1O_IbLb0EEEEDaS1K_S1L_EUlS1K_E_NS1_11comp_targetILNS1_3genE5ELNS1_11target_archE942ELNS1_3gpuE9ELNS1_3repE0EEENS1_30default_config_static_selectorELNS0_4arch9wavefront6targetE0EEEvSY_.num_agpr, 0
	.set _ZN7rocprim17ROCPRIM_400000_NS6detail17trampoline_kernelINS0_13select_configILj256ELj13ELNS0_17block_load_methodE3ELS4_3ELS4_3ELNS0_20block_scan_algorithmE0ELj4294967295EEENS1_25partition_config_selectorILNS1_17partition_subalgoE3EjNS0_10empty_typeEbEEZZNS1_14partition_implILS8_3ELb0ES6_jNS0_17counting_iteratorIjlEEPS9_SE_NS0_5tupleIJPjSE_EEENSF_IJSE_SE_EEES9_SG_JZNS1_25segmented_radix_sort_implINS0_14default_configELb0EPKiPiPKlPlN2at6native12_GLOBAL__N_18offset_tEEE10hipError_tPvRmT1_PNSt15iterator_traitsISY_E10value_typeET2_T3_PNSZ_IS14_E10value_typeET4_jRbjT5_S1A_jjP12ihipStream_tbEUljE_EEESV_SW_SX_S14_S18_S1A_T6_T7_T9_mT8_S1C_bDpT10_ENKUlT_T0_E_clISt17integral_constantIbLb1EES1O_IbLb0EEEEDaS1K_S1L_EUlS1K_E_NS1_11comp_targetILNS1_3genE5ELNS1_11target_archE942ELNS1_3gpuE9ELNS1_3repE0EEENS1_30default_config_static_selectorELNS0_4arch9wavefront6targetE0EEEvSY_.numbered_sgpr, 0
	.set _ZN7rocprim17ROCPRIM_400000_NS6detail17trampoline_kernelINS0_13select_configILj256ELj13ELNS0_17block_load_methodE3ELS4_3ELS4_3ELNS0_20block_scan_algorithmE0ELj4294967295EEENS1_25partition_config_selectorILNS1_17partition_subalgoE3EjNS0_10empty_typeEbEEZZNS1_14partition_implILS8_3ELb0ES6_jNS0_17counting_iteratorIjlEEPS9_SE_NS0_5tupleIJPjSE_EEENSF_IJSE_SE_EEES9_SG_JZNS1_25segmented_radix_sort_implINS0_14default_configELb0EPKiPiPKlPlN2at6native12_GLOBAL__N_18offset_tEEE10hipError_tPvRmT1_PNSt15iterator_traitsISY_E10value_typeET2_T3_PNSZ_IS14_E10value_typeET4_jRbjT5_S1A_jjP12ihipStream_tbEUljE_EEESV_SW_SX_S14_S18_S1A_T6_T7_T9_mT8_S1C_bDpT10_ENKUlT_T0_E_clISt17integral_constantIbLb1EES1O_IbLb0EEEEDaS1K_S1L_EUlS1K_E_NS1_11comp_targetILNS1_3genE5ELNS1_11target_archE942ELNS1_3gpuE9ELNS1_3repE0EEENS1_30default_config_static_selectorELNS0_4arch9wavefront6targetE0EEEvSY_.num_named_barrier, 0
	.set _ZN7rocprim17ROCPRIM_400000_NS6detail17trampoline_kernelINS0_13select_configILj256ELj13ELNS0_17block_load_methodE3ELS4_3ELS4_3ELNS0_20block_scan_algorithmE0ELj4294967295EEENS1_25partition_config_selectorILNS1_17partition_subalgoE3EjNS0_10empty_typeEbEEZZNS1_14partition_implILS8_3ELb0ES6_jNS0_17counting_iteratorIjlEEPS9_SE_NS0_5tupleIJPjSE_EEENSF_IJSE_SE_EEES9_SG_JZNS1_25segmented_radix_sort_implINS0_14default_configELb0EPKiPiPKlPlN2at6native12_GLOBAL__N_18offset_tEEE10hipError_tPvRmT1_PNSt15iterator_traitsISY_E10value_typeET2_T3_PNSZ_IS14_E10value_typeET4_jRbjT5_S1A_jjP12ihipStream_tbEUljE_EEESV_SW_SX_S14_S18_S1A_T6_T7_T9_mT8_S1C_bDpT10_ENKUlT_T0_E_clISt17integral_constantIbLb1EES1O_IbLb0EEEEDaS1K_S1L_EUlS1K_E_NS1_11comp_targetILNS1_3genE5ELNS1_11target_archE942ELNS1_3gpuE9ELNS1_3repE0EEENS1_30default_config_static_selectorELNS0_4arch9wavefront6targetE0EEEvSY_.private_seg_size, 0
	.set _ZN7rocprim17ROCPRIM_400000_NS6detail17trampoline_kernelINS0_13select_configILj256ELj13ELNS0_17block_load_methodE3ELS4_3ELS4_3ELNS0_20block_scan_algorithmE0ELj4294967295EEENS1_25partition_config_selectorILNS1_17partition_subalgoE3EjNS0_10empty_typeEbEEZZNS1_14partition_implILS8_3ELb0ES6_jNS0_17counting_iteratorIjlEEPS9_SE_NS0_5tupleIJPjSE_EEENSF_IJSE_SE_EEES9_SG_JZNS1_25segmented_radix_sort_implINS0_14default_configELb0EPKiPiPKlPlN2at6native12_GLOBAL__N_18offset_tEEE10hipError_tPvRmT1_PNSt15iterator_traitsISY_E10value_typeET2_T3_PNSZ_IS14_E10value_typeET4_jRbjT5_S1A_jjP12ihipStream_tbEUljE_EEESV_SW_SX_S14_S18_S1A_T6_T7_T9_mT8_S1C_bDpT10_ENKUlT_T0_E_clISt17integral_constantIbLb1EES1O_IbLb0EEEEDaS1K_S1L_EUlS1K_E_NS1_11comp_targetILNS1_3genE5ELNS1_11target_archE942ELNS1_3gpuE9ELNS1_3repE0EEENS1_30default_config_static_selectorELNS0_4arch9wavefront6targetE0EEEvSY_.uses_vcc, 0
	.set _ZN7rocprim17ROCPRIM_400000_NS6detail17trampoline_kernelINS0_13select_configILj256ELj13ELNS0_17block_load_methodE3ELS4_3ELS4_3ELNS0_20block_scan_algorithmE0ELj4294967295EEENS1_25partition_config_selectorILNS1_17partition_subalgoE3EjNS0_10empty_typeEbEEZZNS1_14partition_implILS8_3ELb0ES6_jNS0_17counting_iteratorIjlEEPS9_SE_NS0_5tupleIJPjSE_EEENSF_IJSE_SE_EEES9_SG_JZNS1_25segmented_radix_sort_implINS0_14default_configELb0EPKiPiPKlPlN2at6native12_GLOBAL__N_18offset_tEEE10hipError_tPvRmT1_PNSt15iterator_traitsISY_E10value_typeET2_T3_PNSZ_IS14_E10value_typeET4_jRbjT5_S1A_jjP12ihipStream_tbEUljE_EEESV_SW_SX_S14_S18_S1A_T6_T7_T9_mT8_S1C_bDpT10_ENKUlT_T0_E_clISt17integral_constantIbLb1EES1O_IbLb0EEEEDaS1K_S1L_EUlS1K_E_NS1_11comp_targetILNS1_3genE5ELNS1_11target_archE942ELNS1_3gpuE9ELNS1_3repE0EEENS1_30default_config_static_selectorELNS0_4arch9wavefront6targetE0EEEvSY_.uses_flat_scratch, 0
	.set _ZN7rocprim17ROCPRIM_400000_NS6detail17trampoline_kernelINS0_13select_configILj256ELj13ELNS0_17block_load_methodE3ELS4_3ELS4_3ELNS0_20block_scan_algorithmE0ELj4294967295EEENS1_25partition_config_selectorILNS1_17partition_subalgoE3EjNS0_10empty_typeEbEEZZNS1_14partition_implILS8_3ELb0ES6_jNS0_17counting_iteratorIjlEEPS9_SE_NS0_5tupleIJPjSE_EEENSF_IJSE_SE_EEES9_SG_JZNS1_25segmented_radix_sort_implINS0_14default_configELb0EPKiPiPKlPlN2at6native12_GLOBAL__N_18offset_tEEE10hipError_tPvRmT1_PNSt15iterator_traitsISY_E10value_typeET2_T3_PNSZ_IS14_E10value_typeET4_jRbjT5_S1A_jjP12ihipStream_tbEUljE_EEESV_SW_SX_S14_S18_S1A_T6_T7_T9_mT8_S1C_bDpT10_ENKUlT_T0_E_clISt17integral_constantIbLb1EES1O_IbLb0EEEEDaS1K_S1L_EUlS1K_E_NS1_11comp_targetILNS1_3genE5ELNS1_11target_archE942ELNS1_3gpuE9ELNS1_3repE0EEENS1_30default_config_static_selectorELNS0_4arch9wavefront6targetE0EEEvSY_.has_dyn_sized_stack, 0
	.set _ZN7rocprim17ROCPRIM_400000_NS6detail17trampoline_kernelINS0_13select_configILj256ELj13ELNS0_17block_load_methodE3ELS4_3ELS4_3ELNS0_20block_scan_algorithmE0ELj4294967295EEENS1_25partition_config_selectorILNS1_17partition_subalgoE3EjNS0_10empty_typeEbEEZZNS1_14partition_implILS8_3ELb0ES6_jNS0_17counting_iteratorIjlEEPS9_SE_NS0_5tupleIJPjSE_EEENSF_IJSE_SE_EEES9_SG_JZNS1_25segmented_radix_sort_implINS0_14default_configELb0EPKiPiPKlPlN2at6native12_GLOBAL__N_18offset_tEEE10hipError_tPvRmT1_PNSt15iterator_traitsISY_E10value_typeET2_T3_PNSZ_IS14_E10value_typeET4_jRbjT5_S1A_jjP12ihipStream_tbEUljE_EEESV_SW_SX_S14_S18_S1A_T6_T7_T9_mT8_S1C_bDpT10_ENKUlT_T0_E_clISt17integral_constantIbLb1EES1O_IbLb0EEEEDaS1K_S1L_EUlS1K_E_NS1_11comp_targetILNS1_3genE5ELNS1_11target_archE942ELNS1_3gpuE9ELNS1_3repE0EEENS1_30default_config_static_selectorELNS0_4arch9wavefront6targetE0EEEvSY_.has_recursion, 0
	.set _ZN7rocprim17ROCPRIM_400000_NS6detail17trampoline_kernelINS0_13select_configILj256ELj13ELNS0_17block_load_methodE3ELS4_3ELS4_3ELNS0_20block_scan_algorithmE0ELj4294967295EEENS1_25partition_config_selectorILNS1_17partition_subalgoE3EjNS0_10empty_typeEbEEZZNS1_14partition_implILS8_3ELb0ES6_jNS0_17counting_iteratorIjlEEPS9_SE_NS0_5tupleIJPjSE_EEENSF_IJSE_SE_EEES9_SG_JZNS1_25segmented_radix_sort_implINS0_14default_configELb0EPKiPiPKlPlN2at6native12_GLOBAL__N_18offset_tEEE10hipError_tPvRmT1_PNSt15iterator_traitsISY_E10value_typeET2_T3_PNSZ_IS14_E10value_typeET4_jRbjT5_S1A_jjP12ihipStream_tbEUljE_EEESV_SW_SX_S14_S18_S1A_T6_T7_T9_mT8_S1C_bDpT10_ENKUlT_T0_E_clISt17integral_constantIbLb1EES1O_IbLb0EEEEDaS1K_S1L_EUlS1K_E_NS1_11comp_targetILNS1_3genE5ELNS1_11target_archE942ELNS1_3gpuE9ELNS1_3repE0EEENS1_30default_config_static_selectorELNS0_4arch9wavefront6targetE0EEEvSY_.has_indirect_call, 0
	.section	.AMDGPU.csdata,"",@progbits
; Kernel info:
; codeLenInByte = 0
; TotalNumSgprs: 0
; NumVgprs: 0
; ScratchSize: 0
; MemoryBound: 0
; FloatMode: 240
; IeeeMode: 1
; LDSByteSize: 0 bytes/workgroup (compile time only)
; SGPRBlocks: 0
; VGPRBlocks: 0
; NumSGPRsForWavesPerEU: 1
; NumVGPRsForWavesPerEU: 1
; Occupancy: 16
; WaveLimiterHint : 0
; COMPUTE_PGM_RSRC2:SCRATCH_EN: 0
; COMPUTE_PGM_RSRC2:USER_SGPR: 2
; COMPUTE_PGM_RSRC2:TRAP_HANDLER: 0
; COMPUTE_PGM_RSRC2:TGID_X_EN: 1
; COMPUTE_PGM_RSRC2:TGID_Y_EN: 0
; COMPUTE_PGM_RSRC2:TGID_Z_EN: 0
; COMPUTE_PGM_RSRC2:TIDIG_COMP_CNT: 0
	.section	.text._ZN7rocprim17ROCPRIM_400000_NS6detail17trampoline_kernelINS0_13select_configILj256ELj13ELNS0_17block_load_methodE3ELS4_3ELS4_3ELNS0_20block_scan_algorithmE0ELj4294967295EEENS1_25partition_config_selectorILNS1_17partition_subalgoE3EjNS0_10empty_typeEbEEZZNS1_14partition_implILS8_3ELb0ES6_jNS0_17counting_iteratorIjlEEPS9_SE_NS0_5tupleIJPjSE_EEENSF_IJSE_SE_EEES9_SG_JZNS1_25segmented_radix_sort_implINS0_14default_configELb0EPKiPiPKlPlN2at6native12_GLOBAL__N_18offset_tEEE10hipError_tPvRmT1_PNSt15iterator_traitsISY_E10value_typeET2_T3_PNSZ_IS14_E10value_typeET4_jRbjT5_S1A_jjP12ihipStream_tbEUljE_EEESV_SW_SX_S14_S18_S1A_T6_T7_T9_mT8_S1C_bDpT10_ENKUlT_T0_E_clISt17integral_constantIbLb1EES1O_IbLb0EEEEDaS1K_S1L_EUlS1K_E_NS1_11comp_targetILNS1_3genE4ELNS1_11target_archE910ELNS1_3gpuE8ELNS1_3repE0EEENS1_30default_config_static_selectorELNS0_4arch9wavefront6targetE0EEEvSY_,"axG",@progbits,_ZN7rocprim17ROCPRIM_400000_NS6detail17trampoline_kernelINS0_13select_configILj256ELj13ELNS0_17block_load_methodE3ELS4_3ELS4_3ELNS0_20block_scan_algorithmE0ELj4294967295EEENS1_25partition_config_selectorILNS1_17partition_subalgoE3EjNS0_10empty_typeEbEEZZNS1_14partition_implILS8_3ELb0ES6_jNS0_17counting_iteratorIjlEEPS9_SE_NS0_5tupleIJPjSE_EEENSF_IJSE_SE_EEES9_SG_JZNS1_25segmented_radix_sort_implINS0_14default_configELb0EPKiPiPKlPlN2at6native12_GLOBAL__N_18offset_tEEE10hipError_tPvRmT1_PNSt15iterator_traitsISY_E10value_typeET2_T3_PNSZ_IS14_E10value_typeET4_jRbjT5_S1A_jjP12ihipStream_tbEUljE_EEESV_SW_SX_S14_S18_S1A_T6_T7_T9_mT8_S1C_bDpT10_ENKUlT_T0_E_clISt17integral_constantIbLb1EES1O_IbLb0EEEEDaS1K_S1L_EUlS1K_E_NS1_11comp_targetILNS1_3genE4ELNS1_11target_archE910ELNS1_3gpuE8ELNS1_3repE0EEENS1_30default_config_static_selectorELNS0_4arch9wavefront6targetE0EEEvSY_,comdat
	.globl	_ZN7rocprim17ROCPRIM_400000_NS6detail17trampoline_kernelINS0_13select_configILj256ELj13ELNS0_17block_load_methodE3ELS4_3ELS4_3ELNS0_20block_scan_algorithmE0ELj4294967295EEENS1_25partition_config_selectorILNS1_17partition_subalgoE3EjNS0_10empty_typeEbEEZZNS1_14partition_implILS8_3ELb0ES6_jNS0_17counting_iteratorIjlEEPS9_SE_NS0_5tupleIJPjSE_EEENSF_IJSE_SE_EEES9_SG_JZNS1_25segmented_radix_sort_implINS0_14default_configELb0EPKiPiPKlPlN2at6native12_GLOBAL__N_18offset_tEEE10hipError_tPvRmT1_PNSt15iterator_traitsISY_E10value_typeET2_T3_PNSZ_IS14_E10value_typeET4_jRbjT5_S1A_jjP12ihipStream_tbEUljE_EEESV_SW_SX_S14_S18_S1A_T6_T7_T9_mT8_S1C_bDpT10_ENKUlT_T0_E_clISt17integral_constantIbLb1EES1O_IbLb0EEEEDaS1K_S1L_EUlS1K_E_NS1_11comp_targetILNS1_3genE4ELNS1_11target_archE910ELNS1_3gpuE8ELNS1_3repE0EEENS1_30default_config_static_selectorELNS0_4arch9wavefront6targetE0EEEvSY_ ; -- Begin function _ZN7rocprim17ROCPRIM_400000_NS6detail17trampoline_kernelINS0_13select_configILj256ELj13ELNS0_17block_load_methodE3ELS4_3ELS4_3ELNS0_20block_scan_algorithmE0ELj4294967295EEENS1_25partition_config_selectorILNS1_17partition_subalgoE3EjNS0_10empty_typeEbEEZZNS1_14partition_implILS8_3ELb0ES6_jNS0_17counting_iteratorIjlEEPS9_SE_NS0_5tupleIJPjSE_EEENSF_IJSE_SE_EEES9_SG_JZNS1_25segmented_radix_sort_implINS0_14default_configELb0EPKiPiPKlPlN2at6native12_GLOBAL__N_18offset_tEEE10hipError_tPvRmT1_PNSt15iterator_traitsISY_E10value_typeET2_T3_PNSZ_IS14_E10value_typeET4_jRbjT5_S1A_jjP12ihipStream_tbEUljE_EEESV_SW_SX_S14_S18_S1A_T6_T7_T9_mT8_S1C_bDpT10_ENKUlT_T0_E_clISt17integral_constantIbLb1EES1O_IbLb0EEEEDaS1K_S1L_EUlS1K_E_NS1_11comp_targetILNS1_3genE4ELNS1_11target_archE910ELNS1_3gpuE8ELNS1_3repE0EEENS1_30default_config_static_selectorELNS0_4arch9wavefront6targetE0EEEvSY_
	.p2align	8
	.type	_ZN7rocprim17ROCPRIM_400000_NS6detail17trampoline_kernelINS0_13select_configILj256ELj13ELNS0_17block_load_methodE3ELS4_3ELS4_3ELNS0_20block_scan_algorithmE0ELj4294967295EEENS1_25partition_config_selectorILNS1_17partition_subalgoE3EjNS0_10empty_typeEbEEZZNS1_14partition_implILS8_3ELb0ES6_jNS0_17counting_iteratorIjlEEPS9_SE_NS0_5tupleIJPjSE_EEENSF_IJSE_SE_EEES9_SG_JZNS1_25segmented_radix_sort_implINS0_14default_configELb0EPKiPiPKlPlN2at6native12_GLOBAL__N_18offset_tEEE10hipError_tPvRmT1_PNSt15iterator_traitsISY_E10value_typeET2_T3_PNSZ_IS14_E10value_typeET4_jRbjT5_S1A_jjP12ihipStream_tbEUljE_EEESV_SW_SX_S14_S18_S1A_T6_T7_T9_mT8_S1C_bDpT10_ENKUlT_T0_E_clISt17integral_constantIbLb1EES1O_IbLb0EEEEDaS1K_S1L_EUlS1K_E_NS1_11comp_targetILNS1_3genE4ELNS1_11target_archE910ELNS1_3gpuE8ELNS1_3repE0EEENS1_30default_config_static_selectorELNS0_4arch9wavefront6targetE0EEEvSY_,@function
_ZN7rocprim17ROCPRIM_400000_NS6detail17trampoline_kernelINS0_13select_configILj256ELj13ELNS0_17block_load_methodE3ELS4_3ELS4_3ELNS0_20block_scan_algorithmE0ELj4294967295EEENS1_25partition_config_selectorILNS1_17partition_subalgoE3EjNS0_10empty_typeEbEEZZNS1_14partition_implILS8_3ELb0ES6_jNS0_17counting_iteratorIjlEEPS9_SE_NS0_5tupleIJPjSE_EEENSF_IJSE_SE_EEES9_SG_JZNS1_25segmented_radix_sort_implINS0_14default_configELb0EPKiPiPKlPlN2at6native12_GLOBAL__N_18offset_tEEE10hipError_tPvRmT1_PNSt15iterator_traitsISY_E10value_typeET2_T3_PNSZ_IS14_E10value_typeET4_jRbjT5_S1A_jjP12ihipStream_tbEUljE_EEESV_SW_SX_S14_S18_S1A_T6_T7_T9_mT8_S1C_bDpT10_ENKUlT_T0_E_clISt17integral_constantIbLb1EES1O_IbLb0EEEEDaS1K_S1L_EUlS1K_E_NS1_11comp_targetILNS1_3genE4ELNS1_11target_archE910ELNS1_3gpuE8ELNS1_3repE0EEENS1_30default_config_static_selectorELNS0_4arch9wavefront6targetE0EEEvSY_: ; @_ZN7rocprim17ROCPRIM_400000_NS6detail17trampoline_kernelINS0_13select_configILj256ELj13ELNS0_17block_load_methodE3ELS4_3ELS4_3ELNS0_20block_scan_algorithmE0ELj4294967295EEENS1_25partition_config_selectorILNS1_17partition_subalgoE3EjNS0_10empty_typeEbEEZZNS1_14partition_implILS8_3ELb0ES6_jNS0_17counting_iteratorIjlEEPS9_SE_NS0_5tupleIJPjSE_EEENSF_IJSE_SE_EEES9_SG_JZNS1_25segmented_radix_sort_implINS0_14default_configELb0EPKiPiPKlPlN2at6native12_GLOBAL__N_18offset_tEEE10hipError_tPvRmT1_PNSt15iterator_traitsISY_E10value_typeET2_T3_PNSZ_IS14_E10value_typeET4_jRbjT5_S1A_jjP12ihipStream_tbEUljE_EEESV_SW_SX_S14_S18_S1A_T6_T7_T9_mT8_S1C_bDpT10_ENKUlT_T0_E_clISt17integral_constantIbLb1EES1O_IbLb0EEEEDaS1K_S1L_EUlS1K_E_NS1_11comp_targetILNS1_3genE4ELNS1_11target_archE910ELNS1_3gpuE8ELNS1_3repE0EEENS1_30default_config_static_selectorELNS0_4arch9wavefront6targetE0EEEvSY_
; %bb.0:
	.section	.rodata,"a",@progbits
	.p2align	6, 0x0
	.amdhsa_kernel _ZN7rocprim17ROCPRIM_400000_NS6detail17trampoline_kernelINS0_13select_configILj256ELj13ELNS0_17block_load_methodE3ELS4_3ELS4_3ELNS0_20block_scan_algorithmE0ELj4294967295EEENS1_25partition_config_selectorILNS1_17partition_subalgoE3EjNS0_10empty_typeEbEEZZNS1_14partition_implILS8_3ELb0ES6_jNS0_17counting_iteratorIjlEEPS9_SE_NS0_5tupleIJPjSE_EEENSF_IJSE_SE_EEES9_SG_JZNS1_25segmented_radix_sort_implINS0_14default_configELb0EPKiPiPKlPlN2at6native12_GLOBAL__N_18offset_tEEE10hipError_tPvRmT1_PNSt15iterator_traitsISY_E10value_typeET2_T3_PNSZ_IS14_E10value_typeET4_jRbjT5_S1A_jjP12ihipStream_tbEUljE_EEESV_SW_SX_S14_S18_S1A_T6_T7_T9_mT8_S1C_bDpT10_ENKUlT_T0_E_clISt17integral_constantIbLb1EES1O_IbLb0EEEEDaS1K_S1L_EUlS1K_E_NS1_11comp_targetILNS1_3genE4ELNS1_11target_archE910ELNS1_3gpuE8ELNS1_3repE0EEENS1_30default_config_static_selectorELNS0_4arch9wavefront6targetE0EEEvSY_
		.amdhsa_group_segment_fixed_size 0
		.amdhsa_private_segment_fixed_size 0
		.amdhsa_kernarg_size 144
		.amdhsa_user_sgpr_count 2
		.amdhsa_user_sgpr_dispatch_ptr 0
		.amdhsa_user_sgpr_queue_ptr 0
		.amdhsa_user_sgpr_kernarg_segment_ptr 1
		.amdhsa_user_sgpr_dispatch_id 0
		.amdhsa_user_sgpr_private_segment_size 0
		.amdhsa_wavefront_size32 1
		.amdhsa_uses_dynamic_stack 0
		.amdhsa_enable_private_segment 0
		.amdhsa_system_sgpr_workgroup_id_x 1
		.amdhsa_system_sgpr_workgroup_id_y 0
		.amdhsa_system_sgpr_workgroup_id_z 0
		.amdhsa_system_sgpr_workgroup_info 0
		.amdhsa_system_vgpr_workitem_id 0
		.amdhsa_next_free_vgpr 1
		.amdhsa_next_free_sgpr 1
		.amdhsa_reserve_vcc 0
		.amdhsa_float_round_mode_32 0
		.amdhsa_float_round_mode_16_64 0
		.amdhsa_float_denorm_mode_32 3
		.amdhsa_float_denorm_mode_16_64 3
		.amdhsa_fp16_overflow 0
		.amdhsa_workgroup_processor_mode 1
		.amdhsa_memory_ordered 1
		.amdhsa_forward_progress 1
		.amdhsa_inst_pref_size 0
		.amdhsa_round_robin_scheduling 0
		.amdhsa_exception_fp_ieee_invalid_op 0
		.amdhsa_exception_fp_denorm_src 0
		.amdhsa_exception_fp_ieee_div_zero 0
		.amdhsa_exception_fp_ieee_overflow 0
		.amdhsa_exception_fp_ieee_underflow 0
		.amdhsa_exception_fp_ieee_inexact 0
		.amdhsa_exception_int_div_zero 0
	.end_amdhsa_kernel
	.section	.text._ZN7rocprim17ROCPRIM_400000_NS6detail17trampoline_kernelINS0_13select_configILj256ELj13ELNS0_17block_load_methodE3ELS4_3ELS4_3ELNS0_20block_scan_algorithmE0ELj4294967295EEENS1_25partition_config_selectorILNS1_17partition_subalgoE3EjNS0_10empty_typeEbEEZZNS1_14partition_implILS8_3ELb0ES6_jNS0_17counting_iteratorIjlEEPS9_SE_NS0_5tupleIJPjSE_EEENSF_IJSE_SE_EEES9_SG_JZNS1_25segmented_radix_sort_implINS0_14default_configELb0EPKiPiPKlPlN2at6native12_GLOBAL__N_18offset_tEEE10hipError_tPvRmT1_PNSt15iterator_traitsISY_E10value_typeET2_T3_PNSZ_IS14_E10value_typeET4_jRbjT5_S1A_jjP12ihipStream_tbEUljE_EEESV_SW_SX_S14_S18_S1A_T6_T7_T9_mT8_S1C_bDpT10_ENKUlT_T0_E_clISt17integral_constantIbLb1EES1O_IbLb0EEEEDaS1K_S1L_EUlS1K_E_NS1_11comp_targetILNS1_3genE4ELNS1_11target_archE910ELNS1_3gpuE8ELNS1_3repE0EEENS1_30default_config_static_selectorELNS0_4arch9wavefront6targetE0EEEvSY_,"axG",@progbits,_ZN7rocprim17ROCPRIM_400000_NS6detail17trampoline_kernelINS0_13select_configILj256ELj13ELNS0_17block_load_methodE3ELS4_3ELS4_3ELNS0_20block_scan_algorithmE0ELj4294967295EEENS1_25partition_config_selectorILNS1_17partition_subalgoE3EjNS0_10empty_typeEbEEZZNS1_14partition_implILS8_3ELb0ES6_jNS0_17counting_iteratorIjlEEPS9_SE_NS0_5tupleIJPjSE_EEENSF_IJSE_SE_EEES9_SG_JZNS1_25segmented_radix_sort_implINS0_14default_configELb0EPKiPiPKlPlN2at6native12_GLOBAL__N_18offset_tEEE10hipError_tPvRmT1_PNSt15iterator_traitsISY_E10value_typeET2_T3_PNSZ_IS14_E10value_typeET4_jRbjT5_S1A_jjP12ihipStream_tbEUljE_EEESV_SW_SX_S14_S18_S1A_T6_T7_T9_mT8_S1C_bDpT10_ENKUlT_T0_E_clISt17integral_constantIbLb1EES1O_IbLb0EEEEDaS1K_S1L_EUlS1K_E_NS1_11comp_targetILNS1_3genE4ELNS1_11target_archE910ELNS1_3gpuE8ELNS1_3repE0EEENS1_30default_config_static_selectorELNS0_4arch9wavefront6targetE0EEEvSY_,comdat
.Lfunc_end586:
	.size	_ZN7rocprim17ROCPRIM_400000_NS6detail17trampoline_kernelINS0_13select_configILj256ELj13ELNS0_17block_load_methodE3ELS4_3ELS4_3ELNS0_20block_scan_algorithmE0ELj4294967295EEENS1_25partition_config_selectorILNS1_17partition_subalgoE3EjNS0_10empty_typeEbEEZZNS1_14partition_implILS8_3ELb0ES6_jNS0_17counting_iteratorIjlEEPS9_SE_NS0_5tupleIJPjSE_EEENSF_IJSE_SE_EEES9_SG_JZNS1_25segmented_radix_sort_implINS0_14default_configELb0EPKiPiPKlPlN2at6native12_GLOBAL__N_18offset_tEEE10hipError_tPvRmT1_PNSt15iterator_traitsISY_E10value_typeET2_T3_PNSZ_IS14_E10value_typeET4_jRbjT5_S1A_jjP12ihipStream_tbEUljE_EEESV_SW_SX_S14_S18_S1A_T6_T7_T9_mT8_S1C_bDpT10_ENKUlT_T0_E_clISt17integral_constantIbLb1EES1O_IbLb0EEEEDaS1K_S1L_EUlS1K_E_NS1_11comp_targetILNS1_3genE4ELNS1_11target_archE910ELNS1_3gpuE8ELNS1_3repE0EEENS1_30default_config_static_selectorELNS0_4arch9wavefront6targetE0EEEvSY_, .Lfunc_end586-_ZN7rocprim17ROCPRIM_400000_NS6detail17trampoline_kernelINS0_13select_configILj256ELj13ELNS0_17block_load_methodE3ELS4_3ELS4_3ELNS0_20block_scan_algorithmE0ELj4294967295EEENS1_25partition_config_selectorILNS1_17partition_subalgoE3EjNS0_10empty_typeEbEEZZNS1_14partition_implILS8_3ELb0ES6_jNS0_17counting_iteratorIjlEEPS9_SE_NS0_5tupleIJPjSE_EEENSF_IJSE_SE_EEES9_SG_JZNS1_25segmented_radix_sort_implINS0_14default_configELb0EPKiPiPKlPlN2at6native12_GLOBAL__N_18offset_tEEE10hipError_tPvRmT1_PNSt15iterator_traitsISY_E10value_typeET2_T3_PNSZ_IS14_E10value_typeET4_jRbjT5_S1A_jjP12ihipStream_tbEUljE_EEESV_SW_SX_S14_S18_S1A_T6_T7_T9_mT8_S1C_bDpT10_ENKUlT_T0_E_clISt17integral_constantIbLb1EES1O_IbLb0EEEEDaS1K_S1L_EUlS1K_E_NS1_11comp_targetILNS1_3genE4ELNS1_11target_archE910ELNS1_3gpuE8ELNS1_3repE0EEENS1_30default_config_static_selectorELNS0_4arch9wavefront6targetE0EEEvSY_
                                        ; -- End function
	.set _ZN7rocprim17ROCPRIM_400000_NS6detail17trampoline_kernelINS0_13select_configILj256ELj13ELNS0_17block_load_methodE3ELS4_3ELS4_3ELNS0_20block_scan_algorithmE0ELj4294967295EEENS1_25partition_config_selectorILNS1_17partition_subalgoE3EjNS0_10empty_typeEbEEZZNS1_14partition_implILS8_3ELb0ES6_jNS0_17counting_iteratorIjlEEPS9_SE_NS0_5tupleIJPjSE_EEENSF_IJSE_SE_EEES9_SG_JZNS1_25segmented_radix_sort_implINS0_14default_configELb0EPKiPiPKlPlN2at6native12_GLOBAL__N_18offset_tEEE10hipError_tPvRmT1_PNSt15iterator_traitsISY_E10value_typeET2_T3_PNSZ_IS14_E10value_typeET4_jRbjT5_S1A_jjP12ihipStream_tbEUljE_EEESV_SW_SX_S14_S18_S1A_T6_T7_T9_mT8_S1C_bDpT10_ENKUlT_T0_E_clISt17integral_constantIbLb1EES1O_IbLb0EEEEDaS1K_S1L_EUlS1K_E_NS1_11comp_targetILNS1_3genE4ELNS1_11target_archE910ELNS1_3gpuE8ELNS1_3repE0EEENS1_30default_config_static_selectorELNS0_4arch9wavefront6targetE0EEEvSY_.num_vgpr, 0
	.set _ZN7rocprim17ROCPRIM_400000_NS6detail17trampoline_kernelINS0_13select_configILj256ELj13ELNS0_17block_load_methodE3ELS4_3ELS4_3ELNS0_20block_scan_algorithmE0ELj4294967295EEENS1_25partition_config_selectorILNS1_17partition_subalgoE3EjNS0_10empty_typeEbEEZZNS1_14partition_implILS8_3ELb0ES6_jNS0_17counting_iteratorIjlEEPS9_SE_NS0_5tupleIJPjSE_EEENSF_IJSE_SE_EEES9_SG_JZNS1_25segmented_radix_sort_implINS0_14default_configELb0EPKiPiPKlPlN2at6native12_GLOBAL__N_18offset_tEEE10hipError_tPvRmT1_PNSt15iterator_traitsISY_E10value_typeET2_T3_PNSZ_IS14_E10value_typeET4_jRbjT5_S1A_jjP12ihipStream_tbEUljE_EEESV_SW_SX_S14_S18_S1A_T6_T7_T9_mT8_S1C_bDpT10_ENKUlT_T0_E_clISt17integral_constantIbLb1EES1O_IbLb0EEEEDaS1K_S1L_EUlS1K_E_NS1_11comp_targetILNS1_3genE4ELNS1_11target_archE910ELNS1_3gpuE8ELNS1_3repE0EEENS1_30default_config_static_selectorELNS0_4arch9wavefront6targetE0EEEvSY_.num_agpr, 0
	.set _ZN7rocprim17ROCPRIM_400000_NS6detail17trampoline_kernelINS0_13select_configILj256ELj13ELNS0_17block_load_methodE3ELS4_3ELS4_3ELNS0_20block_scan_algorithmE0ELj4294967295EEENS1_25partition_config_selectorILNS1_17partition_subalgoE3EjNS0_10empty_typeEbEEZZNS1_14partition_implILS8_3ELb0ES6_jNS0_17counting_iteratorIjlEEPS9_SE_NS0_5tupleIJPjSE_EEENSF_IJSE_SE_EEES9_SG_JZNS1_25segmented_radix_sort_implINS0_14default_configELb0EPKiPiPKlPlN2at6native12_GLOBAL__N_18offset_tEEE10hipError_tPvRmT1_PNSt15iterator_traitsISY_E10value_typeET2_T3_PNSZ_IS14_E10value_typeET4_jRbjT5_S1A_jjP12ihipStream_tbEUljE_EEESV_SW_SX_S14_S18_S1A_T6_T7_T9_mT8_S1C_bDpT10_ENKUlT_T0_E_clISt17integral_constantIbLb1EES1O_IbLb0EEEEDaS1K_S1L_EUlS1K_E_NS1_11comp_targetILNS1_3genE4ELNS1_11target_archE910ELNS1_3gpuE8ELNS1_3repE0EEENS1_30default_config_static_selectorELNS0_4arch9wavefront6targetE0EEEvSY_.numbered_sgpr, 0
	.set _ZN7rocprim17ROCPRIM_400000_NS6detail17trampoline_kernelINS0_13select_configILj256ELj13ELNS0_17block_load_methodE3ELS4_3ELS4_3ELNS0_20block_scan_algorithmE0ELj4294967295EEENS1_25partition_config_selectorILNS1_17partition_subalgoE3EjNS0_10empty_typeEbEEZZNS1_14partition_implILS8_3ELb0ES6_jNS0_17counting_iteratorIjlEEPS9_SE_NS0_5tupleIJPjSE_EEENSF_IJSE_SE_EEES9_SG_JZNS1_25segmented_radix_sort_implINS0_14default_configELb0EPKiPiPKlPlN2at6native12_GLOBAL__N_18offset_tEEE10hipError_tPvRmT1_PNSt15iterator_traitsISY_E10value_typeET2_T3_PNSZ_IS14_E10value_typeET4_jRbjT5_S1A_jjP12ihipStream_tbEUljE_EEESV_SW_SX_S14_S18_S1A_T6_T7_T9_mT8_S1C_bDpT10_ENKUlT_T0_E_clISt17integral_constantIbLb1EES1O_IbLb0EEEEDaS1K_S1L_EUlS1K_E_NS1_11comp_targetILNS1_3genE4ELNS1_11target_archE910ELNS1_3gpuE8ELNS1_3repE0EEENS1_30default_config_static_selectorELNS0_4arch9wavefront6targetE0EEEvSY_.num_named_barrier, 0
	.set _ZN7rocprim17ROCPRIM_400000_NS6detail17trampoline_kernelINS0_13select_configILj256ELj13ELNS0_17block_load_methodE3ELS4_3ELS4_3ELNS0_20block_scan_algorithmE0ELj4294967295EEENS1_25partition_config_selectorILNS1_17partition_subalgoE3EjNS0_10empty_typeEbEEZZNS1_14partition_implILS8_3ELb0ES6_jNS0_17counting_iteratorIjlEEPS9_SE_NS0_5tupleIJPjSE_EEENSF_IJSE_SE_EEES9_SG_JZNS1_25segmented_radix_sort_implINS0_14default_configELb0EPKiPiPKlPlN2at6native12_GLOBAL__N_18offset_tEEE10hipError_tPvRmT1_PNSt15iterator_traitsISY_E10value_typeET2_T3_PNSZ_IS14_E10value_typeET4_jRbjT5_S1A_jjP12ihipStream_tbEUljE_EEESV_SW_SX_S14_S18_S1A_T6_T7_T9_mT8_S1C_bDpT10_ENKUlT_T0_E_clISt17integral_constantIbLb1EES1O_IbLb0EEEEDaS1K_S1L_EUlS1K_E_NS1_11comp_targetILNS1_3genE4ELNS1_11target_archE910ELNS1_3gpuE8ELNS1_3repE0EEENS1_30default_config_static_selectorELNS0_4arch9wavefront6targetE0EEEvSY_.private_seg_size, 0
	.set _ZN7rocprim17ROCPRIM_400000_NS6detail17trampoline_kernelINS0_13select_configILj256ELj13ELNS0_17block_load_methodE3ELS4_3ELS4_3ELNS0_20block_scan_algorithmE0ELj4294967295EEENS1_25partition_config_selectorILNS1_17partition_subalgoE3EjNS0_10empty_typeEbEEZZNS1_14partition_implILS8_3ELb0ES6_jNS0_17counting_iteratorIjlEEPS9_SE_NS0_5tupleIJPjSE_EEENSF_IJSE_SE_EEES9_SG_JZNS1_25segmented_radix_sort_implINS0_14default_configELb0EPKiPiPKlPlN2at6native12_GLOBAL__N_18offset_tEEE10hipError_tPvRmT1_PNSt15iterator_traitsISY_E10value_typeET2_T3_PNSZ_IS14_E10value_typeET4_jRbjT5_S1A_jjP12ihipStream_tbEUljE_EEESV_SW_SX_S14_S18_S1A_T6_T7_T9_mT8_S1C_bDpT10_ENKUlT_T0_E_clISt17integral_constantIbLb1EES1O_IbLb0EEEEDaS1K_S1L_EUlS1K_E_NS1_11comp_targetILNS1_3genE4ELNS1_11target_archE910ELNS1_3gpuE8ELNS1_3repE0EEENS1_30default_config_static_selectorELNS0_4arch9wavefront6targetE0EEEvSY_.uses_vcc, 0
	.set _ZN7rocprim17ROCPRIM_400000_NS6detail17trampoline_kernelINS0_13select_configILj256ELj13ELNS0_17block_load_methodE3ELS4_3ELS4_3ELNS0_20block_scan_algorithmE0ELj4294967295EEENS1_25partition_config_selectorILNS1_17partition_subalgoE3EjNS0_10empty_typeEbEEZZNS1_14partition_implILS8_3ELb0ES6_jNS0_17counting_iteratorIjlEEPS9_SE_NS0_5tupleIJPjSE_EEENSF_IJSE_SE_EEES9_SG_JZNS1_25segmented_radix_sort_implINS0_14default_configELb0EPKiPiPKlPlN2at6native12_GLOBAL__N_18offset_tEEE10hipError_tPvRmT1_PNSt15iterator_traitsISY_E10value_typeET2_T3_PNSZ_IS14_E10value_typeET4_jRbjT5_S1A_jjP12ihipStream_tbEUljE_EEESV_SW_SX_S14_S18_S1A_T6_T7_T9_mT8_S1C_bDpT10_ENKUlT_T0_E_clISt17integral_constantIbLb1EES1O_IbLb0EEEEDaS1K_S1L_EUlS1K_E_NS1_11comp_targetILNS1_3genE4ELNS1_11target_archE910ELNS1_3gpuE8ELNS1_3repE0EEENS1_30default_config_static_selectorELNS0_4arch9wavefront6targetE0EEEvSY_.uses_flat_scratch, 0
	.set _ZN7rocprim17ROCPRIM_400000_NS6detail17trampoline_kernelINS0_13select_configILj256ELj13ELNS0_17block_load_methodE3ELS4_3ELS4_3ELNS0_20block_scan_algorithmE0ELj4294967295EEENS1_25partition_config_selectorILNS1_17partition_subalgoE3EjNS0_10empty_typeEbEEZZNS1_14partition_implILS8_3ELb0ES6_jNS0_17counting_iteratorIjlEEPS9_SE_NS0_5tupleIJPjSE_EEENSF_IJSE_SE_EEES9_SG_JZNS1_25segmented_radix_sort_implINS0_14default_configELb0EPKiPiPKlPlN2at6native12_GLOBAL__N_18offset_tEEE10hipError_tPvRmT1_PNSt15iterator_traitsISY_E10value_typeET2_T3_PNSZ_IS14_E10value_typeET4_jRbjT5_S1A_jjP12ihipStream_tbEUljE_EEESV_SW_SX_S14_S18_S1A_T6_T7_T9_mT8_S1C_bDpT10_ENKUlT_T0_E_clISt17integral_constantIbLb1EES1O_IbLb0EEEEDaS1K_S1L_EUlS1K_E_NS1_11comp_targetILNS1_3genE4ELNS1_11target_archE910ELNS1_3gpuE8ELNS1_3repE0EEENS1_30default_config_static_selectorELNS0_4arch9wavefront6targetE0EEEvSY_.has_dyn_sized_stack, 0
	.set _ZN7rocprim17ROCPRIM_400000_NS6detail17trampoline_kernelINS0_13select_configILj256ELj13ELNS0_17block_load_methodE3ELS4_3ELS4_3ELNS0_20block_scan_algorithmE0ELj4294967295EEENS1_25partition_config_selectorILNS1_17partition_subalgoE3EjNS0_10empty_typeEbEEZZNS1_14partition_implILS8_3ELb0ES6_jNS0_17counting_iteratorIjlEEPS9_SE_NS0_5tupleIJPjSE_EEENSF_IJSE_SE_EEES9_SG_JZNS1_25segmented_radix_sort_implINS0_14default_configELb0EPKiPiPKlPlN2at6native12_GLOBAL__N_18offset_tEEE10hipError_tPvRmT1_PNSt15iterator_traitsISY_E10value_typeET2_T3_PNSZ_IS14_E10value_typeET4_jRbjT5_S1A_jjP12ihipStream_tbEUljE_EEESV_SW_SX_S14_S18_S1A_T6_T7_T9_mT8_S1C_bDpT10_ENKUlT_T0_E_clISt17integral_constantIbLb1EES1O_IbLb0EEEEDaS1K_S1L_EUlS1K_E_NS1_11comp_targetILNS1_3genE4ELNS1_11target_archE910ELNS1_3gpuE8ELNS1_3repE0EEENS1_30default_config_static_selectorELNS0_4arch9wavefront6targetE0EEEvSY_.has_recursion, 0
	.set _ZN7rocprim17ROCPRIM_400000_NS6detail17trampoline_kernelINS0_13select_configILj256ELj13ELNS0_17block_load_methodE3ELS4_3ELS4_3ELNS0_20block_scan_algorithmE0ELj4294967295EEENS1_25partition_config_selectorILNS1_17partition_subalgoE3EjNS0_10empty_typeEbEEZZNS1_14partition_implILS8_3ELb0ES6_jNS0_17counting_iteratorIjlEEPS9_SE_NS0_5tupleIJPjSE_EEENSF_IJSE_SE_EEES9_SG_JZNS1_25segmented_radix_sort_implINS0_14default_configELb0EPKiPiPKlPlN2at6native12_GLOBAL__N_18offset_tEEE10hipError_tPvRmT1_PNSt15iterator_traitsISY_E10value_typeET2_T3_PNSZ_IS14_E10value_typeET4_jRbjT5_S1A_jjP12ihipStream_tbEUljE_EEESV_SW_SX_S14_S18_S1A_T6_T7_T9_mT8_S1C_bDpT10_ENKUlT_T0_E_clISt17integral_constantIbLb1EES1O_IbLb0EEEEDaS1K_S1L_EUlS1K_E_NS1_11comp_targetILNS1_3genE4ELNS1_11target_archE910ELNS1_3gpuE8ELNS1_3repE0EEENS1_30default_config_static_selectorELNS0_4arch9wavefront6targetE0EEEvSY_.has_indirect_call, 0
	.section	.AMDGPU.csdata,"",@progbits
; Kernel info:
; codeLenInByte = 0
; TotalNumSgprs: 0
; NumVgprs: 0
; ScratchSize: 0
; MemoryBound: 0
; FloatMode: 240
; IeeeMode: 1
; LDSByteSize: 0 bytes/workgroup (compile time only)
; SGPRBlocks: 0
; VGPRBlocks: 0
; NumSGPRsForWavesPerEU: 1
; NumVGPRsForWavesPerEU: 1
; Occupancy: 16
; WaveLimiterHint : 0
; COMPUTE_PGM_RSRC2:SCRATCH_EN: 0
; COMPUTE_PGM_RSRC2:USER_SGPR: 2
; COMPUTE_PGM_RSRC2:TRAP_HANDLER: 0
; COMPUTE_PGM_RSRC2:TGID_X_EN: 1
; COMPUTE_PGM_RSRC2:TGID_Y_EN: 0
; COMPUTE_PGM_RSRC2:TGID_Z_EN: 0
; COMPUTE_PGM_RSRC2:TIDIG_COMP_CNT: 0
	.section	.text._ZN7rocprim17ROCPRIM_400000_NS6detail17trampoline_kernelINS0_13select_configILj256ELj13ELNS0_17block_load_methodE3ELS4_3ELS4_3ELNS0_20block_scan_algorithmE0ELj4294967295EEENS1_25partition_config_selectorILNS1_17partition_subalgoE3EjNS0_10empty_typeEbEEZZNS1_14partition_implILS8_3ELb0ES6_jNS0_17counting_iteratorIjlEEPS9_SE_NS0_5tupleIJPjSE_EEENSF_IJSE_SE_EEES9_SG_JZNS1_25segmented_radix_sort_implINS0_14default_configELb0EPKiPiPKlPlN2at6native12_GLOBAL__N_18offset_tEEE10hipError_tPvRmT1_PNSt15iterator_traitsISY_E10value_typeET2_T3_PNSZ_IS14_E10value_typeET4_jRbjT5_S1A_jjP12ihipStream_tbEUljE_EEESV_SW_SX_S14_S18_S1A_T6_T7_T9_mT8_S1C_bDpT10_ENKUlT_T0_E_clISt17integral_constantIbLb1EES1O_IbLb0EEEEDaS1K_S1L_EUlS1K_E_NS1_11comp_targetILNS1_3genE3ELNS1_11target_archE908ELNS1_3gpuE7ELNS1_3repE0EEENS1_30default_config_static_selectorELNS0_4arch9wavefront6targetE0EEEvSY_,"axG",@progbits,_ZN7rocprim17ROCPRIM_400000_NS6detail17trampoline_kernelINS0_13select_configILj256ELj13ELNS0_17block_load_methodE3ELS4_3ELS4_3ELNS0_20block_scan_algorithmE0ELj4294967295EEENS1_25partition_config_selectorILNS1_17partition_subalgoE3EjNS0_10empty_typeEbEEZZNS1_14partition_implILS8_3ELb0ES6_jNS0_17counting_iteratorIjlEEPS9_SE_NS0_5tupleIJPjSE_EEENSF_IJSE_SE_EEES9_SG_JZNS1_25segmented_radix_sort_implINS0_14default_configELb0EPKiPiPKlPlN2at6native12_GLOBAL__N_18offset_tEEE10hipError_tPvRmT1_PNSt15iterator_traitsISY_E10value_typeET2_T3_PNSZ_IS14_E10value_typeET4_jRbjT5_S1A_jjP12ihipStream_tbEUljE_EEESV_SW_SX_S14_S18_S1A_T6_T7_T9_mT8_S1C_bDpT10_ENKUlT_T0_E_clISt17integral_constantIbLb1EES1O_IbLb0EEEEDaS1K_S1L_EUlS1K_E_NS1_11comp_targetILNS1_3genE3ELNS1_11target_archE908ELNS1_3gpuE7ELNS1_3repE0EEENS1_30default_config_static_selectorELNS0_4arch9wavefront6targetE0EEEvSY_,comdat
	.globl	_ZN7rocprim17ROCPRIM_400000_NS6detail17trampoline_kernelINS0_13select_configILj256ELj13ELNS0_17block_load_methodE3ELS4_3ELS4_3ELNS0_20block_scan_algorithmE0ELj4294967295EEENS1_25partition_config_selectorILNS1_17partition_subalgoE3EjNS0_10empty_typeEbEEZZNS1_14partition_implILS8_3ELb0ES6_jNS0_17counting_iteratorIjlEEPS9_SE_NS0_5tupleIJPjSE_EEENSF_IJSE_SE_EEES9_SG_JZNS1_25segmented_radix_sort_implINS0_14default_configELb0EPKiPiPKlPlN2at6native12_GLOBAL__N_18offset_tEEE10hipError_tPvRmT1_PNSt15iterator_traitsISY_E10value_typeET2_T3_PNSZ_IS14_E10value_typeET4_jRbjT5_S1A_jjP12ihipStream_tbEUljE_EEESV_SW_SX_S14_S18_S1A_T6_T7_T9_mT8_S1C_bDpT10_ENKUlT_T0_E_clISt17integral_constantIbLb1EES1O_IbLb0EEEEDaS1K_S1L_EUlS1K_E_NS1_11comp_targetILNS1_3genE3ELNS1_11target_archE908ELNS1_3gpuE7ELNS1_3repE0EEENS1_30default_config_static_selectorELNS0_4arch9wavefront6targetE0EEEvSY_ ; -- Begin function _ZN7rocprim17ROCPRIM_400000_NS6detail17trampoline_kernelINS0_13select_configILj256ELj13ELNS0_17block_load_methodE3ELS4_3ELS4_3ELNS0_20block_scan_algorithmE0ELj4294967295EEENS1_25partition_config_selectorILNS1_17partition_subalgoE3EjNS0_10empty_typeEbEEZZNS1_14partition_implILS8_3ELb0ES6_jNS0_17counting_iteratorIjlEEPS9_SE_NS0_5tupleIJPjSE_EEENSF_IJSE_SE_EEES9_SG_JZNS1_25segmented_radix_sort_implINS0_14default_configELb0EPKiPiPKlPlN2at6native12_GLOBAL__N_18offset_tEEE10hipError_tPvRmT1_PNSt15iterator_traitsISY_E10value_typeET2_T3_PNSZ_IS14_E10value_typeET4_jRbjT5_S1A_jjP12ihipStream_tbEUljE_EEESV_SW_SX_S14_S18_S1A_T6_T7_T9_mT8_S1C_bDpT10_ENKUlT_T0_E_clISt17integral_constantIbLb1EES1O_IbLb0EEEEDaS1K_S1L_EUlS1K_E_NS1_11comp_targetILNS1_3genE3ELNS1_11target_archE908ELNS1_3gpuE7ELNS1_3repE0EEENS1_30default_config_static_selectorELNS0_4arch9wavefront6targetE0EEEvSY_
	.p2align	8
	.type	_ZN7rocprim17ROCPRIM_400000_NS6detail17trampoline_kernelINS0_13select_configILj256ELj13ELNS0_17block_load_methodE3ELS4_3ELS4_3ELNS0_20block_scan_algorithmE0ELj4294967295EEENS1_25partition_config_selectorILNS1_17partition_subalgoE3EjNS0_10empty_typeEbEEZZNS1_14partition_implILS8_3ELb0ES6_jNS0_17counting_iteratorIjlEEPS9_SE_NS0_5tupleIJPjSE_EEENSF_IJSE_SE_EEES9_SG_JZNS1_25segmented_radix_sort_implINS0_14default_configELb0EPKiPiPKlPlN2at6native12_GLOBAL__N_18offset_tEEE10hipError_tPvRmT1_PNSt15iterator_traitsISY_E10value_typeET2_T3_PNSZ_IS14_E10value_typeET4_jRbjT5_S1A_jjP12ihipStream_tbEUljE_EEESV_SW_SX_S14_S18_S1A_T6_T7_T9_mT8_S1C_bDpT10_ENKUlT_T0_E_clISt17integral_constantIbLb1EES1O_IbLb0EEEEDaS1K_S1L_EUlS1K_E_NS1_11comp_targetILNS1_3genE3ELNS1_11target_archE908ELNS1_3gpuE7ELNS1_3repE0EEENS1_30default_config_static_selectorELNS0_4arch9wavefront6targetE0EEEvSY_,@function
_ZN7rocprim17ROCPRIM_400000_NS6detail17trampoline_kernelINS0_13select_configILj256ELj13ELNS0_17block_load_methodE3ELS4_3ELS4_3ELNS0_20block_scan_algorithmE0ELj4294967295EEENS1_25partition_config_selectorILNS1_17partition_subalgoE3EjNS0_10empty_typeEbEEZZNS1_14partition_implILS8_3ELb0ES6_jNS0_17counting_iteratorIjlEEPS9_SE_NS0_5tupleIJPjSE_EEENSF_IJSE_SE_EEES9_SG_JZNS1_25segmented_radix_sort_implINS0_14default_configELb0EPKiPiPKlPlN2at6native12_GLOBAL__N_18offset_tEEE10hipError_tPvRmT1_PNSt15iterator_traitsISY_E10value_typeET2_T3_PNSZ_IS14_E10value_typeET4_jRbjT5_S1A_jjP12ihipStream_tbEUljE_EEESV_SW_SX_S14_S18_S1A_T6_T7_T9_mT8_S1C_bDpT10_ENKUlT_T0_E_clISt17integral_constantIbLb1EES1O_IbLb0EEEEDaS1K_S1L_EUlS1K_E_NS1_11comp_targetILNS1_3genE3ELNS1_11target_archE908ELNS1_3gpuE7ELNS1_3repE0EEENS1_30default_config_static_selectorELNS0_4arch9wavefront6targetE0EEEvSY_: ; @_ZN7rocprim17ROCPRIM_400000_NS6detail17trampoline_kernelINS0_13select_configILj256ELj13ELNS0_17block_load_methodE3ELS4_3ELS4_3ELNS0_20block_scan_algorithmE0ELj4294967295EEENS1_25partition_config_selectorILNS1_17partition_subalgoE3EjNS0_10empty_typeEbEEZZNS1_14partition_implILS8_3ELb0ES6_jNS0_17counting_iteratorIjlEEPS9_SE_NS0_5tupleIJPjSE_EEENSF_IJSE_SE_EEES9_SG_JZNS1_25segmented_radix_sort_implINS0_14default_configELb0EPKiPiPKlPlN2at6native12_GLOBAL__N_18offset_tEEE10hipError_tPvRmT1_PNSt15iterator_traitsISY_E10value_typeET2_T3_PNSZ_IS14_E10value_typeET4_jRbjT5_S1A_jjP12ihipStream_tbEUljE_EEESV_SW_SX_S14_S18_S1A_T6_T7_T9_mT8_S1C_bDpT10_ENKUlT_T0_E_clISt17integral_constantIbLb1EES1O_IbLb0EEEEDaS1K_S1L_EUlS1K_E_NS1_11comp_targetILNS1_3genE3ELNS1_11target_archE908ELNS1_3gpuE7ELNS1_3repE0EEENS1_30default_config_static_selectorELNS0_4arch9wavefront6targetE0EEEvSY_
; %bb.0:
	.section	.rodata,"a",@progbits
	.p2align	6, 0x0
	.amdhsa_kernel _ZN7rocprim17ROCPRIM_400000_NS6detail17trampoline_kernelINS0_13select_configILj256ELj13ELNS0_17block_load_methodE3ELS4_3ELS4_3ELNS0_20block_scan_algorithmE0ELj4294967295EEENS1_25partition_config_selectorILNS1_17partition_subalgoE3EjNS0_10empty_typeEbEEZZNS1_14partition_implILS8_3ELb0ES6_jNS0_17counting_iteratorIjlEEPS9_SE_NS0_5tupleIJPjSE_EEENSF_IJSE_SE_EEES9_SG_JZNS1_25segmented_radix_sort_implINS0_14default_configELb0EPKiPiPKlPlN2at6native12_GLOBAL__N_18offset_tEEE10hipError_tPvRmT1_PNSt15iterator_traitsISY_E10value_typeET2_T3_PNSZ_IS14_E10value_typeET4_jRbjT5_S1A_jjP12ihipStream_tbEUljE_EEESV_SW_SX_S14_S18_S1A_T6_T7_T9_mT8_S1C_bDpT10_ENKUlT_T0_E_clISt17integral_constantIbLb1EES1O_IbLb0EEEEDaS1K_S1L_EUlS1K_E_NS1_11comp_targetILNS1_3genE3ELNS1_11target_archE908ELNS1_3gpuE7ELNS1_3repE0EEENS1_30default_config_static_selectorELNS0_4arch9wavefront6targetE0EEEvSY_
		.amdhsa_group_segment_fixed_size 0
		.amdhsa_private_segment_fixed_size 0
		.amdhsa_kernarg_size 144
		.amdhsa_user_sgpr_count 2
		.amdhsa_user_sgpr_dispatch_ptr 0
		.amdhsa_user_sgpr_queue_ptr 0
		.amdhsa_user_sgpr_kernarg_segment_ptr 1
		.amdhsa_user_sgpr_dispatch_id 0
		.amdhsa_user_sgpr_private_segment_size 0
		.amdhsa_wavefront_size32 1
		.amdhsa_uses_dynamic_stack 0
		.amdhsa_enable_private_segment 0
		.amdhsa_system_sgpr_workgroup_id_x 1
		.amdhsa_system_sgpr_workgroup_id_y 0
		.amdhsa_system_sgpr_workgroup_id_z 0
		.amdhsa_system_sgpr_workgroup_info 0
		.amdhsa_system_vgpr_workitem_id 0
		.amdhsa_next_free_vgpr 1
		.amdhsa_next_free_sgpr 1
		.amdhsa_reserve_vcc 0
		.amdhsa_float_round_mode_32 0
		.amdhsa_float_round_mode_16_64 0
		.amdhsa_float_denorm_mode_32 3
		.amdhsa_float_denorm_mode_16_64 3
		.amdhsa_fp16_overflow 0
		.amdhsa_workgroup_processor_mode 1
		.amdhsa_memory_ordered 1
		.amdhsa_forward_progress 1
		.amdhsa_inst_pref_size 0
		.amdhsa_round_robin_scheduling 0
		.amdhsa_exception_fp_ieee_invalid_op 0
		.amdhsa_exception_fp_denorm_src 0
		.amdhsa_exception_fp_ieee_div_zero 0
		.amdhsa_exception_fp_ieee_overflow 0
		.amdhsa_exception_fp_ieee_underflow 0
		.amdhsa_exception_fp_ieee_inexact 0
		.amdhsa_exception_int_div_zero 0
	.end_amdhsa_kernel
	.section	.text._ZN7rocprim17ROCPRIM_400000_NS6detail17trampoline_kernelINS0_13select_configILj256ELj13ELNS0_17block_load_methodE3ELS4_3ELS4_3ELNS0_20block_scan_algorithmE0ELj4294967295EEENS1_25partition_config_selectorILNS1_17partition_subalgoE3EjNS0_10empty_typeEbEEZZNS1_14partition_implILS8_3ELb0ES6_jNS0_17counting_iteratorIjlEEPS9_SE_NS0_5tupleIJPjSE_EEENSF_IJSE_SE_EEES9_SG_JZNS1_25segmented_radix_sort_implINS0_14default_configELb0EPKiPiPKlPlN2at6native12_GLOBAL__N_18offset_tEEE10hipError_tPvRmT1_PNSt15iterator_traitsISY_E10value_typeET2_T3_PNSZ_IS14_E10value_typeET4_jRbjT5_S1A_jjP12ihipStream_tbEUljE_EEESV_SW_SX_S14_S18_S1A_T6_T7_T9_mT8_S1C_bDpT10_ENKUlT_T0_E_clISt17integral_constantIbLb1EES1O_IbLb0EEEEDaS1K_S1L_EUlS1K_E_NS1_11comp_targetILNS1_3genE3ELNS1_11target_archE908ELNS1_3gpuE7ELNS1_3repE0EEENS1_30default_config_static_selectorELNS0_4arch9wavefront6targetE0EEEvSY_,"axG",@progbits,_ZN7rocprim17ROCPRIM_400000_NS6detail17trampoline_kernelINS0_13select_configILj256ELj13ELNS0_17block_load_methodE3ELS4_3ELS4_3ELNS0_20block_scan_algorithmE0ELj4294967295EEENS1_25partition_config_selectorILNS1_17partition_subalgoE3EjNS0_10empty_typeEbEEZZNS1_14partition_implILS8_3ELb0ES6_jNS0_17counting_iteratorIjlEEPS9_SE_NS0_5tupleIJPjSE_EEENSF_IJSE_SE_EEES9_SG_JZNS1_25segmented_radix_sort_implINS0_14default_configELb0EPKiPiPKlPlN2at6native12_GLOBAL__N_18offset_tEEE10hipError_tPvRmT1_PNSt15iterator_traitsISY_E10value_typeET2_T3_PNSZ_IS14_E10value_typeET4_jRbjT5_S1A_jjP12ihipStream_tbEUljE_EEESV_SW_SX_S14_S18_S1A_T6_T7_T9_mT8_S1C_bDpT10_ENKUlT_T0_E_clISt17integral_constantIbLb1EES1O_IbLb0EEEEDaS1K_S1L_EUlS1K_E_NS1_11comp_targetILNS1_3genE3ELNS1_11target_archE908ELNS1_3gpuE7ELNS1_3repE0EEENS1_30default_config_static_selectorELNS0_4arch9wavefront6targetE0EEEvSY_,comdat
.Lfunc_end587:
	.size	_ZN7rocprim17ROCPRIM_400000_NS6detail17trampoline_kernelINS0_13select_configILj256ELj13ELNS0_17block_load_methodE3ELS4_3ELS4_3ELNS0_20block_scan_algorithmE0ELj4294967295EEENS1_25partition_config_selectorILNS1_17partition_subalgoE3EjNS0_10empty_typeEbEEZZNS1_14partition_implILS8_3ELb0ES6_jNS0_17counting_iteratorIjlEEPS9_SE_NS0_5tupleIJPjSE_EEENSF_IJSE_SE_EEES9_SG_JZNS1_25segmented_radix_sort_implINS0_14default_configELb0EPKiPiPKlPlN2at6native12_GLOBAL__N_18offset_tEEE10hipError_tPvRmT1_PNSt15iterator_traitsISY_E10value_typeET2_T3_PNSZ_IS14_E10value_typeET4_jRbjT5_S1A_jjP12ihipStream_tbEUljE_EEESV_SW_SX_S14_S18_S1A_T6_T7_T9_mT8_S1C_bDpT10_ENKUlT_T0_E_clISt17integral_constantIbLb1EES1O_IbLb0EEEEDaS1K_S1L_EUlS1K_E_NS1_11comp_targetILNS1_3genE3ELNS1_11target_archE908ELNS1_3gpuE7ELNS1_3repE0EEENS1_30default_config_static_selectorELNS0_4arch9wavefront6targetE0EEEvSY_, .Lfunc_end587-_ZN7rocprim17ROCPRIM_400000_NS6detail17trampoline_kernelINS0_13select_configILj256ELj13ELNS0_17block_load_methodE3ELS4_3ELS4_3ELNS0_20block_scan_algorithmE0ELj4294967295EEENS1_25partition_config_selectorILNS1_17partition_subalgoE3EjNS0_10empty_typeEbEEZZNS1_14partition_implILS8_3ELb0ES6_jNS0_17counting_iteratorIjlEEPS9_SE_NS0_5tupleIJPjSE_EEENSF_IJSE_SE_EEES9_SG_JZNS1_25segmented_radix_sort_implINS0_14default_configELb0EPKiPiPKlPlN2at6native12_GLOBAL__N_18offset_tEEE10hipError_tPvRmT1_PNSt15iterator_traitsISY_E10value_typeET2_T3_PNSZ_IS14_E10value_typeET4_jRbjT5_S1A_jjP12ihipStream_tbEUljE_EEESV_SW_SX_S14_S18_S1A_T6_T7_T9_mT8_S1C_bDpT10_ENKUlT_T0_E_clISt17integral_constantIbLb1EES1O_IbLb0EEEEDaS1K_S1L_EUlS1K_E_NS1_11comp_targetILNS1_3genE3ELNS1_11target_archE908ELNS1_3gpuE7ELNS1_3repE0EEENS1_30default_config_static_selectorELNS0_4arch9wavefront6targetE0EEEvSY_
                                        ; -- End function
	.set _ZN7rocprim17ROCPRIM_400000_NS6detail17trampoline_kernelINS0_13select_configILj256ELj13ELNS0_17block_load_methodE3ELS4_3ELS4_3ELNS0_20block_scan_algorithmE0ELj4294967295EEENS1_25partition_config_selectorILNS1_17partition_subalgoE3EjNS0_10empty_typeEbEEZZNS1_14partition_implILS8_3ELb0ES6_jNS0_17counting_iteratorIjlEEPS9_SE_NS0_5tupleIJPjSE_EEENSF_IJSE_SE_EEES9_SG_JZNS1_25segmented_radix_sort_implINS0_14default_configELb0EPKiPiPKlPlN2at6native12_GLOBAL__N_18offset_tEEE10hipError_tPvRmT1_PNSt15iterator_traitsISY_E10value_typeET2_T3_PNSZ_IS14_E10value_typeET4_jRbjT5_S1A_jjP12ihipStream_tbEUljE_EEESV_SW_SX_S14_S18_S1A_T6_T7_T9_mT8_S1C_bDpT10_ENKUlT_T0_E_clISt17integral_constantIbLb1EES1O_IbLb0EEEEDaS1K_S1L_EUlS1K_E_NS1_11comp_targetILNS1_3genE3ELNS1_11target_archE908ELNS1_3gpuE7ELNS1_3repE0EEENS1_30default_config_static_selectorELNS0_4arch9wavefront6targetE0EEEvSY_.num_vgpr, 0
	.set _ZN7rocprim17ROCPRIM_400000_NS6detail17trampoline_kernelINS0_13select_configILj256ELj13ELNS0_17block_load_methodE3ELS4_3ELS4_3ELNS0_20block_scan_algorithmE0ELj4294967295EEENS1_25partition_config_selectorILNS1_17partition_subalgoE3EjNS0_10empty_typeEbEEZZNS1_14partition_implILS8_3ELb0ES6_jNS0_17counting_iteratorIjlEEPS9_SE_NS0_5tupleIJPjSE_EEENSF_IJSE_SE_EEES9_SG_JZNS1_25segmented_radix_sort_implINS0_14default_configELb0EPKiPiPKlPlN2at6native12_GLOBAL__N_18offset_tEEE10hipError_tPvRmT1_PNSt15iterator_traitsISY_E10value_typeET2_T3_PNSZ_IS14_E10value_typeET4_jRbjT5_S1A_jjP12ihipStream_tbEUljE_EEESV_SW_SX_S14_S18_S1A_T6_T7_T9_mT8_S1C_bDpT10_ENKUlT_T0_E_clISt17integral_constantIbLb1EES1O_IbLb0EEEEDaS1K_S1L_EUlS1K_E_NS1_11comp_targetILNS1_3genE3ELNS1_11target_archE908ELNS1_3gpuE7ELNS1_3repE0EEENS1_30default_config_static_selectorELNS0_4arch9wavefront6targetE0EEEvSY_.num_agpr, 0
	.set _ZN7rocprim17ROCPRIM_400000_NS6detail17trampoline_kernelINS0_13select_configILj256ELj13ELNS0_17block_load_methodE3ELS4_3ELS4_3ELNS0_20block_scan_algorithmE0ELj4294967295EEENS1_25partition_config_selectorILNS1_17partition_subalgoE3EjNS0_10empty_typeEbEEZZNS1_14partition_implILS8_3ELb0ES6_jNS0_17counting_iteratorIjlEEPS9_SE_NS0_5tupleIJPjSE_EEENSF_IJSE_SE_EEES9_SG_JZNS1_25segmented_radix_sort_implINS0_14default_configELb0EPKiPiPKlPlN2at6native12_GLOBAL__N_18offset_tEEE10hipError_tPvRmT1_PNSt15iterator_traitsISY_E10value_typeET2_T3_PNSZ_IS14_E10value_typeET4_jRbjT5_S1A_jjP12ihipStream_tbEUljE_EEESV_SW_SX_S14_S18_S1A_T6_T7_T9_mT8_S1C_bDpT10_ENKUlT_T0_E_clISt17integral_constantIbLb1EES1O_IbLb0EEEEDaS1K_S1L_EUlS1K_E_NS1_11comp_targetILNS1_3genE3ELNS1_11target_archE908ELNS1_3gpuE7ELNS1_3repE0EEENS1_30default_config_static_selectorELNS0_4arch9wavefront6targetE0EEEvSY_.numbered_sgpr, 0
	.set _ZN7rocprim17ROCPRIM_400000_NS6detail17trampoline_kernelINS0_13select_configILj256ELj13ELNS0_17block_load_methodE3ELS4_3ELS4_3ELNS0_20block_scan_algorithmE0ELj4294967295EEENS1_25partition_config_selectorILNS1_17partition_subalgoE3EjNS0_10empty_typeEbEEZZNS1_14partition_implILS8_3ELb0ES6_jNS0_17counting_iteratorIjlEEPS9_SE_NS0_5tupleIJPjSE_EEENSF_IJSE_SE_EEES9_SG_JZNS1_25segmented_radix_sort_implINS0_14default_configELb0EPKiPiPKlPlN2at6native12_GLOBAL__N_18offset_tEEE10hipError_tPvRmT1_PNSt15iterator_traitsISY_E10value_typeET2_T3_PNSZ_IS14_E10value_typeET4_jRbjT5_S1A_jjP12ihipStream_tbEUljE_EEESV_SW_SX_S14_S18_S1A_T6_T7_T9_mT8_S1C_bDpT10_ENKUlT_T0_E_clISt17integral_constantIbLb1EES1O_IbLb0EEEEDaS1K_S1L_EUlS1K_E_NS1_11comp_targetILNS1_3genE3ELNS1_11target_archE908ELNS1_3gpuE7ELNS1_3repE0EEENS1_30default_config_static_selectorELNS0_4arch9wavefront6targetE0EEEvSY_.num_named_barrier, 0
	.set _ZN7rocprim17ROCPRIM_400000_NS6detail17trampoline_kernelINS0_13select_configILj256ELj13ELNS0_17block_load_methodE3ELS4_3ELS4_3ELNS0_20block_scan_algorithmE0ELj4294967295EEENS1_25partition_config_selectorILNS1_17partition_subalgoE3EjNS0_10empty_typeEbEEZZNS1_14partition_implILS8_3ELb0ES6_jNS0_17counting_iteratorIjlEEPS9_SE_NS0_5tupleIJPjSE_EEENSF_IJSE_SE_EEES9_SG_JZNS1_25segmented_radix_sort_implINS0_14default_configELb0EPKiPiPKlPlN2at6native12_GLOBAL__N_18offset_tEEE10hipError_tPvRmT1_PNSt15iterator_traitsISY_E10value_typeET2_T3_PNSZ_IS14_E10value_typeET4_jRbjT5_S1A_jjP12ihipStream_tbEUljE_EEESV_SW_SX_S14_S18_S1A_T6_T7_T9_mT8_S1C_bDpT10_ENKUlT_T0_E_clISt17integral_constantIbLb1EES1O_IbLb0EEEEDaS1K_S1L_EUlS1K_E_NS1_11comp_targetILNS1_3genE3ELNS1_11target_archE908ELNS1_3gpuE7ELNS1_3repE0EEENS1_30default_config_static_selectorELNS0_4arch9wavefront6targetE0EEEvSY_.private_seg_size, 0
	.set _ZN7rocprim17ROCPRIM_400000_NS6detail17trampoline_kernelINS0_13select_configILj256ELj13ELNS0_17block_load_methodE3ELS4_3ELS4_3ELNS0_20block_scan_algorithmE0ELj4294967295EEENS1_25partition_config_selectorILNS1_17partition_subalgoE3EjNS0_10empty_typeEbEEZZNS1_14partition_implILS8_3ELb0ES6_jNS0_17counting_iteratorIjlEEPS9_SE_NS0_5tupleIJPjSE_EEENSF_IJSE_SE_EEES9_SG_JZNS1_25segmented_radix_sort_implINS0_14default_configELb0EPKiPiPKlPlN2at6native12_GLOBAL__N_18offset_tEEE10hipError_tPvRmT1_PNSt15iterator_traitsISY_E10value_typeET2_T3_PNSZ_IS14_E10value_typeET4_jRbjT5_S1A_jjP12ihipStream_tbEUljE_EEESV_SW_SX_S14_S18_S1A_T6_T7_T9_mT8_S1C_bDpT10_ENKUlT_T0_E_clISt17integral_constantIbLb1EES1O_IbLb0EEEEDaS1K_S1L_EUlS1K_E_NS1_11comp_targetILNS1_3genE3ELNS1_11target_archE908ELNS1_3gpuE7ELNS1_3repE0EEENS1_30default_config_static_selectorELNS0_4arch9wavefront6targetE0EEEvSY_.uses_vcc, 0
	.set _ZN7rocprim17ROCPRIM_400000_NS6detail17trampoline_kernelINS0_13select_configILj256ELj13ELNS0_17block_load_methodE3ELS4_3ELS4_3ELNS0_20block_scan_algorithmE0ELj4294967295EEENS1_25partition_config_selectorILNS1_17partition_subalgoE3EjNS0_10empty_typeEbEEZZNS1_14partition_implILS8_3ELb0ES6_jNS0_17counting_iteratorIjlEEPS9_SE_NS0_5tupleIJPjSE_EEENSF_IJSE_SE_EEES9_SG_JZNS1_25segmented_radix_sort_implINS0_14default_configELb0EPKiPiPKlPlN2at6native12_GLOBAL__N_18offset_tEEE10hipError_tPvRmT1_PNSt15iterator_traitsISY_E10value_typeET2_T3_PNSZ_IS14_E10value_typeET4_jRbjT5_S1A_jjP12ihipStream_tbEUljE_EEESV_SW_SX_S14_S18_S1A_T6_T7_T9_mT8_S1C_bDpT10_ENKUlT_T0_E_clISt17integral_constantIbLb1EES1O_IbLb0EEEEDaS1K_S1L_EUlS1K_E_NS1_11comp_targetILNS1_3genE3ELNS1_11target_archE908ELNS1_3gpuE7ELNS1_3repE0EEENS1_30default_config_static_selectorELNS0_4arch9wavefront6targetE0EEEvSY_.uses_flat_scratch, 0
	.set _ZN7rocprim17ROCPRIM_400000_NS6detail17trampoline_kernelINS0_13select_configILj256ELj13ELNS0_17block_load_methodE3ELS4_3ELS4_3ELNS0_20block_scan_algorithmE0ELj4294967295EEENS1_25partition_config_selectorILNS1_17partition_subalgoE3EjNS0_10empty_typeEbEEZZNS1_14partition_implILS8_3ELb0ES6_jNS0_17counting_iteratorIjlEEPS9_SE_NS0_5tupleIJPjSE_EEENSF_IJSE_SE_EEES9_SG_JZNS1_25segmented_radix_sort_implINS0_14default_configELb0EPKiPiPKlPlN2at6native12_GLOBAL__N_18offset_tEEE10hipError_tPvRmT1_PNSt15iterator_traitsISY_E10value_typeET2_T3_PNSZ_IS14_E10value_typeET4_jRbjT5_S1A_jjP12ihipStream_tbEUljE_EEESV_SW_SX_S14_S18_S1A_T6_T7_T9_mT8_S1C_bDpT10_ENKUlT_T0_E_clISt17integral_constantIbLb1EES1O_IbLb0EEEEDaS1K_S1L_EUlS1K_E_NS1_11comp_targetILNS1_3genE3ELNS1_11target_archE908ELNS1_3gpuE7ELNS1_3repE0EEENS1_30default_config_static_selectorELNS0_4arch9wavefront6targetE0EEEvSY_.has_dyn_sized_stack, 0
	.set _ZN7rocprim17ROCPRIM_400000_NS6detail17trampoline_kernelINS0_13select_configILj256ELj13ELNS0_17block_load_methodE3ELS4_3ELS4_3ELNS0_20block_scan_algorithmE0ELj4294967295EEENS1_25partition_config_selectorILNS1_17partition_subalgoE3EjNS0_10empty_typeEbEEZZNS1_14partition_implILS8_3ELb0ES6_jNS0_17counting_iteratorIjlEEPS9_SE_NS0_5tupleIJPjSE_EEENSF_IJSE_SE_EEES9_SG_JZNS1_25segmented_radix_sort_implINS0_14default_configELb0EPKiPiPKlPlN2at6native12_GLOBAL__N_18offset_tEEE10hipError_tPvRmT1_PNSt15iterator_traitsISY_E10value_typeET2_T3_PNSZ_IS14_E10value_typeET4_jRbjT5_S1A_jjP12ihipStream_tbEUljE_EEESV_SW_SX_S14_S18_S1A_T6_T7_T9_mT8_S1C_bDpT10_ENKUlT_T0_E_clISt17integral_constantIbLb1EES1O_IbLb0EEEEDaS1K_S1L_EUlS1K_E_NS1_11comp_targetILNS1_3genE3ELNS1_11target_archE908ELNS1_3gpuE7ELNS1_3repE0EEENS1_30default_config_static_selectorELNS0_4arch9wavefront6targetE0EEEvSY_.has_recursion, 0
	.set _ZN7rocprim17ROCPRIM_400000_NS6detail17trampoline_kernelINS0_13select_configILj256ELj13ELNS0_17block_load_methodE3ELS4_3ELS4_3ELNS0_20block_scan_algorithmE0ELj4294967295EEENS1_25partition_config_selectorILNS1_17partition_subalgoE3EjNS0_10empty_typeEbEEZZNS1_14partition_implILS8_3ELb0ES6_jNS0_17counting_iteratorIjlEEPS9_SE_NS0_5tupleIJPjSE_EEENSF_IJSE_SE_EEES9_SG_JZNS1_25segmented_radix_sort_implINS0_14default_configELb0EPKiPiPKlPlN2at6native12_GLOBAL__N_18offset_tEEE10hipError_tPvRmT1_PNSt15iterator_traitsISY_E10value_typeET2_T3_PNSZ_IS14_E10value_typeET4_jRbjT5_S1A_jjP12ihipStream_tbEUljE_EEESV_SW_SX_S14_S18_S1A_T6_T7_T9_mT8_S1C_bDpT10_ENKUlT_T0_E_clISt17integral_constantIbLb1EES1O_IbLb0EEEEDaS1K_S1L_EUlS1K_E_NS1_11comp_targetILNS1_3genE3ELNS1_11target_archE908ELNS1_3gpuE7ELNS1_3repE0EEENS1_30default_config_static_selectorELNS0_4arch9wavefront6targetE0EEEvSY_.has_indirect_call, 0
	.section	.AMDGPU.csdata,"",@progbits
; Kernel info:
; codeLenInByte = 0
; TotalNumSgprs: 0
; NumVgprs: 0
; ScratchSize: 0
; MemoryBound: 0
; FloatMode: 240
; IeeeMode: 1
; LDSByteSize: 0 bytes/workgroup (compile time only)
; SGPRBlocks: 0
; VGPRBlocks: 0
; NumSGPRsForWavesPerEU: 1
; NumVGPRsForWavesPerEU: 1
; Occupancy: 16
; WaveLimiterHint : 0
; COMPUTE_PGM_RSRC2:SCRATCH_EN: 0
; COMPUTE_PGM_RSRC2:USER_SGPR: 2
; COMPUTE_PGM_RSRC2:TRAP_HANDLER: 0
; COMPUTE_PGM_RSRC2:TGID_X_EN: 1
; COMPUTE_PGM_RSRC2:TGID_Y_EN: 0
; COMPUTE_PGM_RSRC2:TGID_Z_EN: 0
; COMPUTE_PGM_RSRC2:TIDIG_COMP_CNT: 0
	.section	.text._ZN7rocprim17ROCPRIM_400000_NS6detail17trampoline_kernelINS0_13select_configILj256ELj13ELNS0_17block_load_methodE3ELS4_3ELS4_3ELNS0_20block_scan_algorithmE0ELj4294967295EEENS1_25partition_config_selectorILNS1_17partition_subalgoE3EjNS0_10empty_typeEbEEZZNS1_14partition_implILS8_3ELb0ES6_jNS0_17counting_iteratorIjlEEPS9_SE_NS0_5tupleIJPjSE_EEENSF_IJSE_SE_EEES9_SG_JZNS1_25segmented_radix_sort_implINS0_14default_configELb0EPKiPiPKlPlN2at6native12_GLOBAL__N_18offset_tEEE10hipError_tPvRmT1_PNSt15iterator_traitsISY_E10value_typeET2_T3_PNSZ_IS14_E10value_typeET4_jRbjT5_S1A_jjP12ihipStream_tbEUljE_EEESV_SW_SX_S14_S18_S1A_T6_T7_T9_mT8_S1C_bDpT10_ENKUlT_T0_E_clISt17integral_constantIbLb1EES1O_IbLb0EEEEDaS1K_S1L_EUlS1K_E_NS1_11comp_targetILNS1_3genE2ELNS1_11target_archE906ELNS1_3gpuE6ELNS1_3repE0EEENS1_30default_config_static_selectorELNS0_4arch9wavefront6targetE0EEEvSY_,"axG",@progbits,_ZN7rocprim17ROCPRIM_400000_NS6detail17trampoline_kernelINS0_13select_configILj256ELj13ELNS0_17block_load_methodE3ELS4_3ELS4_3ELNS0_20block_scan_algorithmE0ELj4294967295EEENS1_25partition_config_selectorILNS1_17partition_subalgoE3EjNS0_10empty_typeEbEEZZNS1_14partition_implILS8_3ELb0ES6_jNS0_17counting_iteratorIjlEEPS9_SE_NS0_5tupleIJPjSE_EEENSF_IJSE_SE_EEES9_SG_JZNS1_25segmented_radix_sort_implINS0_14default_configELb0EPKiPiPKlPlN2at6native12_GLOBAL__N_18offset_tEEE10hipError_tPvRmT1_PNSt15iterator_traitsISY_E10value_typeET2_T3_PNSZ_IS14_E10value_typeET4_jRbjT5_S1A_jjP12ihipStream_tbEUljE_EEESV_SW_SX_S14_S18_S1A_T6_T7_T9_mT8_S1C_bDpT10_ENKUlT_T0_E_clISt17integral_constantIbLb1EES1O_IbLb0EEEEDaS1K_S1L_EUlS1K_E_NS1_11comp_targetILNS1_3genE2ELNS1_11target_archE906ELNS1_3gpuE6ELNS1_3repE0EEENS1_30default_config_static_selectorELNS0_4arch9wavefront6targetE0EEEvSY_,comdat
	.globl	_ZN7rocprim17ROCPRIM_400000_NS6detail17trampoline_kernelINS0_13select_configILj256ELj13ELNS0_17block_load_methodE3ELS4_3ELS4_3ELNS0_20block_scan_algorithmE0ELj4294967295EEENS1_25partition_config_selectorILNS1_17partition_subalgoE3EjNS0_10empty_typeEbEEZZNS1_14partition_implILS8_3ELb0ES6_jNS0_17counting_iteratorIjlEEPS9_SE_NS0_5tupleIJPjSE_EEENSF_IJSE_SE_EEES9_SG_JZNS1_25segmented_radix_sort_implINS0_14default_configELb0EPKiPiPKlPlN2at6native12_GLOBAL__N_18offset_tEEE10hipError_tPvRmT1_PNSt15iterator_traitsISY_E10value_typeET2_T3_PNSZ_IS14_E10value_typeET4_jRbjT5_S1A_jjP12ihipStream_tbEUljE_EEESV_SW_SX_S14_S18_S1A_T6_T7_T9_mT8_S1C_bDpT10_ENKUlT_T0_E_clISt17integral_constantIbLb1EES1O_IbLb0EEEEDaS1K_S1L_EUlS1K_E_NS1_11comp_targetILNS1_3genE2ELNS1_11target_archE906ELNS1_3gpuE6ELNS1_3repE0EEENS1_30default_config_static_selectorELNS0_4arch9wavefront6targetE0EEEvSY_ ; -- Begin function _ZN7rocprim17ROCPRIM_400000_NS6detail17trampoline_kernelINS0_13select_configILj256ELj13ELNS0_17block_load_methodE3ELS4_3ELS4_3ELNS0_20block_scan_algorithmE0ELj4294967295EEENS1_25partition_config_selectorILNS1_17partition_subalgoE3EjNS0_10empty_typeEbEEZZNS1_14partition_implILS8_3ELb0ES6_jNS0_17counting_iteratorIjlEEPS9_SE_NS0_5tupleIJPjSE_EEENSF_IJSE_SE_EEES9_SG_JZNS1_25segmented_radix_sort_implINS0_14default_configELb0EPKiPiPKlPlN2at6native12_GLOBAL__N_18offset_tEEE10hipError_tPvRmT1_PNSt15iterator_traitsISY_E10value_typeET2_T3_PNSZ_IS14_E10value_typeET4_jRbjT5_S1A_jjP12ihipStream_tbEUljE_EEESV_SW_SX_S14_S18_S1A_T6_T7_T9_mT8_S1C_bDpT10_ENKUlT_T0_E_clISt17integral_constantIbLb1EES1O_IbLb0EEEEDaS1K_S1L_EUlS1K_E_NS1_11comp_targetILNS1_3genE2ELNS1_11target_archE906ELNS1_3gpuE6ELNS1_3repE0EEENS1_30default_config_static_selectorELNS0_4arch9wavefront6targetE0EEEvSY_
	.p2align	8
	.type	_ZN7rocprim17ROCPRIM_400000_NS6detail17trampoline_kernelINS0_13select_configILj256ELj13ELNS0_17block_load_methodE3ELS4_3ELS4_3ELNS0_20block_scan_algorithmE0ELj4294967295EEENS1_25partition_config_selectorILNS1_17partition_subalgoE3EjNS0_10empty_typeEbEEZZNS1_14partition_implILS8_3ELb0ES6_jNS0_17counting_iteratorIjlEEPS9_SE_NS0_5tupleIJPjSE_EEENSF_IJSE_SE_EEES9_SG_JZNS1_25segmented_radix_sort_implINS0_14default_configELb0EPKiPiPKlPlN2at6native12_GLOBAL__N_18offset_tEEE10hipError_tPvRmT1_PNSt15iterator_traitsISY_E10value_typeET2_T3_PNSZ_IS14_E10value_typeET4_jRbjT5_S1A_jjP12ihipStream_tbEUljE_EEESV_SW_SX_S14_S18_S1A_T6_T7_T9_mT8_S1C_bDpT10_ENKUlT_T0_E_clISt17integral_constantIbLb1EES1O_IbLb0EEEEDaS1K_S1L_EUlS1K_E_NS1_11comp_targetILNS1_3genE2ELNS1_11target_archE906ELNS1_3gpuE6ELNS1_3repE0EEENS1_30default_config_static_selectorELNS0_4arch9wavefront6targetE0EEEvSY_,@function
_ZN7rocprim17ROCPRIM_400000_NS6detail17trampoline_kernelINS0_13select_configILj256ELj13ELNS0_17block_load_methodE3ELS4_3ELS4_3ELNS0_20block_scan_algorithmE0ELj4294967295EEENS1_25partition_config_selectorILNS1_17partition_subalgoE3EjNS0_10empty_typeEbEEZZNS1_14partition_implILS8_3ELb0ES6_jNS0_17counting_iteratorIjlEEPS9_SE_NS0_5tupleIJPjSE_EEENSF_IJSE_SE_EEES9_SG_JZNS1_25segmented_radix_sort_implINS0_14default_configELb0EPKiPiPKlPlN2at6native12_GLOBAL__N_18offset_tEEE10hipError_tPvRmT1_PNSt15iterator_traitsISY_E10value_typeET2_T3_PNSZ_IS14_E10value_typeET4_jRbjT5_S1A_jjP12ihipStream_tbEUljE_EEESV_SW_SX_S14_S18_S1A_T6_T7_T9_mT8_S1C_bDpT10_ENKUlT_T0_E_clISt17integral_constantIbLb1EES1O_IbLb0EEEEDaS1K_S1L_EUlS1K_E_NS1_11comp_targetILNS1_3genE2ELNS1_11target_archE906ELNS1_3gpuE6ELNS1_3repE0EEENS1_30default_config_static_selectorELNS0_4arch9wavefront6targetE0EEEvSY_: ; @_ZN7rocprim17ROCPRIM_400000_NS6detail17trampoline_kernelINS0_13select_configILj256ELj13ELNS0_17block_load_methodE3ELS4_3ELS4_3ELNS0_20block_scan_algorithmE0ELj4294967295EEENS1_25partition_config_selectorILNS1_17partition_subalgoE3EjNS0_10empty_typeEbEEZZNS1_14partition_implILS8_3ELb0ES6_jNS0_17counting_iteratorIjlEEPS9_SE_NS0_5tupleIJPjSE_EEENSF_IJSE_SE_EEES9_SG_JZNS1_25segmented_radix_sort_implINS0_14default_configELb0EPKiPiPKlPlN2at6native12_GLOBAL__N_18offset_tEEE10hipError_tPvRmT1_PNSt15iterator_traitsISY_E10value_typeET2_T3_PNSZ_IS14_E10value_typeET4_jRbjT5_S1A_jjP12ihipStream_tbEUljE_EEESV_SW_SX_S14_S18_S1A_T6_T7_T9_mT8_S1C_bDpT10_ENKUlT_T0_E_clISt17integral_constantIbLb1EES1O_IbLb0EEEEDaS1K_S1L_EUlS1K_E_NS1_11comp_targetILNS1_3genE2ELNS1_11target_archE906ELNS1_3gpuE6ELNS1_3repE0EEENS1_30default_config_static_selectorELNS0_4arch9wavefront6targetE0EEEvSY_
; %bb.0:
	.section	.rodata,"a",@progbits
	.p2align	6, 0x0
	.amdhsa_kernel _ZN7rocprim17ROCPRIM_400000_NS6detail17trampoline_kernelINS0_13select_configILj256ELj13ELNS0_17block_load_methodE3ELS4_3ELS4_3ELNS0_20block_scan_algorithmE0ELj4294967295EEENS1_25partition_config_selectorILNS1_17partition_subalgoE3EjNS0_10empty_typeEbEEZZNS1_14partition_implILS8_3ELb0ES6_jNS0_17counting_iteratorIjlEEPS9_SE_NS0_5tupleIJPjSE_EEENSF_IJSE_SE_EEES9_SG_JZNS1_25segmented_radix_sort_implINS0_14default_configELb0EPKiPiPKlPlN2at6native12_GLOBAL__N_18offset_tEEE10hipError_tPvRmT1_PNSt15iterator_traitsISY_E10value_typeET2_T3_PNSZ_IS14_E10value_typeET4_jRbjT5_S1A_jjP12ihipStream_tbEUljE_EEESV_SW_SX_S14_S18_S1A_T6_T7_T9_mT8_S1C_bDpT10_ENKUlT_T0_E_clISt17integral_constantIbLb1EES1O_IbLb0EEEEDaS1K_S1L_EUlS1K_E_NS1_11comp_targetILNS1_3genE2ELNS1_11target_archE906ELNS1_3gpuE6ELNS1_3repE0EEENS1_30default_config_static_selectorELNS0_4arch9wavefront6targetE0EEEvSY_
		.amdhsa_group_segment_fixed_size 0
		.amdhsa_private_segment_fixed_size 0
		.amdhsa_kernarg_size 144
		.amdhsa_user_sgpr_count 2
		.amdhsa_user_sgpr_dispatch_ptr 0
		.amdhsa_user_sgpr_queue_ptr 0
		.amdhsa_user_sgpr_kernarg_segment_ptr 1
		.amdhsa_user_sgpr_dispatch_id 0
		.amdhsa_user_sgpr_private_segment_size 0
		.amdhsa_wavefront_size32 1
		.amdhsa_uses_dynamic_stack 0
		.amdhsa_enable_private_segment 0
		.amdhsa_system_sgpr_workgroup_id_x 1
		.amdhsa_system_sgpr_workgroup_id_y 0
		.amdhsa_system_sgpr_workgroup_id_z 0
		.amdhsa_system_sgpr_workgroup_info 0
		.amdhsa_system_vgpr_workitem_id 0
		.amdhsa_next_free_vgpr 1
		.amdhsa_next_free_sgpr 1
		.amdhsa_reserve_vcc 0
		.amdhsa_float_round_mode_32 0
		.amdhsa_float_round_mode_16_64 0
		.amdhsa_float_denorm_mode_32 3
		.amdhsa_float_denorm_mode_16_64 3
		.amdhsa_fp16_overflow 0
		.amdhsa_workgroup_processor_mode 1
		.amdhsa_memory_ordered 1
		.amdhsa_forward_progress 1
		.amdhsa_inst_pref_size 0
		.amdhsa_round_robin_scheduling 0
		.amdhsa_exception_fp_ieee_invalid_op 0
		.amdhsa_exception_fp_denorm_src 0
		.amdhsa_exception_fp_ieee_div_zero 0
		.amdhsa_exception_fp_ieee_overflow 0
		.amdhsa_exception_fp_ieee_underflow 0
		.amdhsa_exception_fp_ieee_inexact 0
		.amdhsa_exception_int_div_zero 0
	.end_amdhsa_kernel
	.section	.text._ZN7rocprim17ROCPRIM_400000_NS6detail17trampoline_kernelINS0_13select_configILj256ELj13ELNS0_17block_load_methodE3ELS4_3ELS4_3ELNS0_20block_scan_algorithmE0ELj4294967295EEENS1_25partition_config_selectorILNS1_17partition_subalgoE3EjNS0_10empty_typeEbEEZZNS1_14partition_implILS8_3ELb0ES6_jNS0_17counting_iteratorIjlEEPS9_SE_NS0_5tupleIJPjSE_EEENSF_IJSE_SE_EEES9_SG_JZNS1_25segmented_radix_sort_implINS0_14default_configELb0EPKiPiPKlPlN2at6native12_GLOBAL__N_18offset_tEEE10hipError_tPvRmT1_PNSt15iterator_traitsISY_E10value_typeET2_T3_PNSZ_IS14_E10value_typeET4_jRbjT5_S1A_jjP12ihipStream_tbEUljE_EEESV_SW_SX_S14_S18_S1A_T6_T7_T9_mT8_S1C_bDpT10_ENKUlT_T0_E_clISt17integral_constantIbLb1EES1O_IbLb0EEEEDaS1K_S1L_EUlS1K_E_NS1_11comp_targetILNS1_3genE2ELNS1_11target_archE906ELNS1_3gpuE6ELNS1_3repE0EEENS1_30default_config_static_selectorELNS0_4arch9wavefront6targetE0EEEvSY_,"axG",@progbits,_ZN7rocprim17ROCPRIM_400000_NS6detail17trampoline_kernelINS0_13select_configILj256ELj13ELNS0_17block_load_methodE3ELS4_3ELS4_3ELNS0_20block_scan_algorithmE0ELj4294967295EEENS1_25partition_config_selectorILNS1_17partition_subalgoE3EjNS0_10empty_typeEbEEZZNS1_14partition_implILS8_3ELb0ES6_jNS0_17counting_iteratorIjlEEPS9_SE_NS0_5tupleIJPjSE_EEENSF_IJSE_SE_EEES9_SG_JZNS1_25segmented_radix_sort_implINS0_14default_configELb0EPKiPiPKlPlN2at6native12_GLOBAL__N_18offset_tEEE10hipError_tPvRmT1_PNSt15iterator_traitsISY_E10value_typeET2_T3_PNSZ_IS14_E10value_typeET4_jRbjT5_S1A_jjP12ihipStream_tbEUljE_EEESV_SW_SX_S14_S18_S1A_T6_T7_T9_mT8_S1C_bDpT10_ENKUlT_T0_E_clISt17integral_constantIbLb1EES1O_IbLb0EEEEDaS1K_S1L_EUlS1K_E_NS1_11comp_targetILNS1_3genE2ELNS1_11target_archE906ELNS1_3gpuE6ELNS1_3repE0EEENS1_30default_config_static_selectorELNS0_4arch9wavefront6targetE0EEEvSY_,comdat
.Lfunc_end588:
	.size	_ZN7rocprim17ROCPRIM_400000_NS6detail17trampoline_kernelINS0_13select_configILj256ELj13ELNS0_17block_load_methodE3ELS4_3ELS4_3ELNS0_20block_scan_algorithmE0ELj4294967295EEENS1_25partition_config_selectorILNS1_17partition_subalgoE3EjNS0_10empty_typeEbEEZZNS1_14partition_implILS8_3ELb0ES6_jNS0_17counting_iteratorIjlEEPS9_SE_NS0_5tupleIJPjSE_EEENSF_IJSE_SE_EEES9_SG_JZNS1_25segmented_radix_sort_implINS0_14default_configELb0EPKiPiPKlPlN2at6native12_GLOBAL__N_18offset_tEEE10hipError_tPvRmT1_PNSt15iterator_traitsISY_E10value_typeET2_T3_PNSZ_IS14_E10value_typeET4_jRbjT5_S1A_jjP12ihipStream_tbEUljE_EEESV_SW_SX_S14_S18_S1A_T6_T7_T9_mT8_S1C_bDpT10_ENKUlT_T0_E_clISt17integral_constantIbLb1EES1O_IbLb0EEEEDaS1K_S1L_EUlS1K_E_NS1_11comp_targetILNS1_3genE2ELNS1_11target_archE906ELNS1_3gpuE6ELNS1_3repE0EEENS1_30default_config_static_selectorELNS0_4arch9wavefront6targetE0EEEvSY_, .Lfunc_end588-_ZN7rocprim17ROCPRIM_400000_NS6detail17trampoline_kernelINS0_13select_configILj256ELj13ELNS0_17block_load_methodE3ELS4_3ELS4_3ELNS0_20block_scan_algorithmE0ELj4294967295EEENS1_25partition_config_selectorILNS1_17partition_subalgoE3EjNS0_10empty_typeEbEEZZNS1_14partition_implILS8_3ELb0ES6_jNS0_17counting_iteratorIjlEEPS9_SE_NS0_5tupleIJPjSE_EEENSF_IJSE_SE_EEES9_SG_JZNS1_25segmented_radix_sort_implINS0_14default_configELb0EPKiPiPKlPlN2at6native12_GLOBAL__N_18offset_tEEE10hipError_tPvRmT1_PNSt15iterator_traitsISY_E10value_typeET2_T3_PNSZ_IS14_E10value_typeET4_jRbjT5_S1A_jjP12ihipStream_tbEUljE_EEESV_SW_SX_S14_S18_S1A_T6_T7_T9_mT8_S1C_bDpT10_ENKUlT_T0_E_clISt17integral_constantIbLb1EES1O_IbLb0EEEEDaS1K_S1L_EUlS1K_E_NS1_11comp_targetILNS1_3genE2ELNS1_11target_archE906ELNS1_3gpuE6ELNS1_3repE0EEENS1_30default_config_static_selectorELNS0_4arch9wavefront6targetE0EEEvSY_
                                        ; -- End function
	.set _ZN7rocprim17ROCPRIM_400000_NS6detail17trampoline_kernelINS0_13select_configILj256ELj13ELNS0_17block_load_methodE3ELS4_3ELS4_3ELNS0_20block_scan_algorithmE0ELj4294967295EEENS1_25partition_config_selectorILNS1_17partition_subalgoE3EjNS0_10empty_typeEbEEZZNS1_14partition_implILS8_3ELb0ES6_jNS0_17counting_iteratorIjlEEPS9_SE_NS0_5tupleIJPjSE_EEENSF_IJSE_SE_EEES9_SG_JZNS1_25segmented_radix_sort_implINS0_14default_configELb0EPKiPiPKlPlN2at6native12_GLOBAL__N_18offset_tEEE10hipError_tPvRmT1_PNSt15iterator_traitsISY_E10value_typeET2_T3_PNSZ_IS14_E10value_typeET4_jRbjT5_S1A_jjP12ihipStream_tbEUljE_EEESV_SW_SX_S14_S18_S1A_T6_T7_T9_mT8_S1C_bDpT10_ENKUlT_T0_E_clISt17integral_constantIbLb1EES1O_IbLb0EEEEDaS1K_S1L_EUlS1K_E_NS1_11comp_targetILNS1_3genE2ELNS1_11target_archE906ELNS1_3gpuE6ELNS1_3repE0EEENS1_30default_config_static_selectorELNS0_4arch9wavefront6targetE0EEEvSY_.num_vgpr, 0
	.set _ZN7rocprim17ROCPRIM_400000_NS6detail17trampoline_kernelINS0_13select_configILj256ELj13ELNS0_17block_load_methodE3ELS4_3ELS4_3ELNS0_20block_scan_algorithmE0ELj4294967295EEENS1_25partition_config_selectorILNS1_17partition_subalgoE3EjNS0_10empty_typeEbEEZZNS1_14partition_implILS8_3ELb0ES6_jNS0_17counting_iteratorIjlEEPS9_SE_NS0_5tupleIJPjSE_EEENSF_IJSE_SE_EEES9_SG_JZNS1_25segmented_radix_sort_implINS0_14default_configELb0EPKiPiPKlPlN2at6native12_GLOBAL__N_18offset_tEEE10hipError_tPvRmT1_PNSt15iterator_traitsISY_E10value_typeET2_T3_PNSZ_IS14_E10value_typeET4_jRbjT5_S1A_jjP12ihipStream_tbEUljE_EEESV_SW_SX_S14_S18_S1A_T6_T7_T9_mT8_S1C_bDpT10_ENKUlT_T0_E_clISt17integral_constantIbLb1EES1O_IbLb0EEEEDaS1K_S1L_EUlS1K_E_NS1_11comp_targetILNS1_3genE2ELNS1_11target_archE906ELNS1_3gpuE6ELNS1_3repE0EEENS1_30default_config_static_selectorELNS0_4arch9wavefront6targetE0EEEvSY_.num_agpr, 0
	.set _ZN7rocprim17ROCPRIM_400000_NS6detail17trampoline_kernelINS0_13select_configILj256ELj13ELNS0_17block_load_methodE3ELS4_3ELS4_3ELNS0_20block_scan_algorithmE0ELj4294967295EEENS1_25partition_config_selectorILNS1_17partition_subalgoE3EjNS0_10empty_typeEbEEZZNS1_14partition_implILS8_3ELb0ES6_jNS0_17counting_iteratorIjlEEPS9_SE_NS0_5tupleIJPjSE_EEENSF_IJSE_SE_EEES9_SG_JZNS1_25segmented_radix_sort_implINS0_14default_configELb0EPKiPiPKlPlN2at6native12_GLOBAL__N_18offset_tEEE10hipError_tPvRmT1_PNSt15iterator_traitsISY_E10value_typeET2_T3_PNSZ_IS14_E10value_typeET4_jRbjT5_S1A_jjP12ihipStream_tbEUljE_EEESV_SW_SX_S14_S18_S1A_T6_T7_T9_mT8_S1C_bDpT10_ENKUlT_T0_E_clISt17integral_constantIbLb1EES1O_IbLb0EEEEDaS1K_S1L_EUlS1K_E_NS1_11comp_targetILNS1_3genE2ELNS1_11target_archE906ELNS1_3gpuE6ELNS1_3repE0EEENS1_30default_config_static_selectorELNS0_4arch9wavefront6targetE0EEEvSY_.numbered_sgpr, 0
	.set _ZN7rocprim17ROCPRIM_400000_NS6detail17trampoline_kernelINS0_13select_configILj256ELj13ELNS0_17block_load_methodE3ELS4_3ELS4_3ELNS0_20block_scan_algorithmE0ELj4294967295EEENS1_25partition_config_selectorILNS1_17partition_subalgoE3EjNS0_10empty_typeEbEEZZNS1_14partition_implILS8_3ELb0ES6_jNS0_17counting_iteratorIjlEEPS9_SE_NS0_5tupleIJPjSE_EEENSF_IJSE_SE_EEES9_SG_JZNS1_25segmented_radix_sort_implINS0_14default_configELb0EPKiPiPKlPlN2at6native12_GLOBAL__N_18offset_tEEE10hipError_tPvRmT1_PNSt15iterator_traitsISY_E10value_typeET2_T3_PNSZ_IS14_E10value_typeET4_jRbjT5_S1A_jjP12ihipStream_tbEUljE_EEESV_SW_SX_S14_S18_S1A_T6_T7_T9_mT8_S1C_bDpT10_ENKUlT_T0_E_clISt17integral_constantIbLb1EES1O_IbLb0EEEEDaS1K_S1L_EUlS1K_E_NS1_11comp_targetILNS1_3genE2ELNS1_11target_archE906ELNS1_3gpuE6ELNS1_3repE0EEENS1_30default_config_static_selectorELNS0_4arch9wavefront6targetE0EEEvSY_.num_named_barrier, 0
	.set _ZN7rocprim17ROCPRIM_400000_NS6detail17trampoline_kernelINS0_13select_configILj256ELj13ELNS0_17block_load_methodE3ELS4_3ELS4_3ELNS0_20block_scan_algorithmE0ELj4294967295EEENS1_25partition_config_selectorILNS1_17partition_subalgoE3EjNS0_10empty_typeEbEEZZNS1_14partition_implILS8_3ELb0ES6_jNS0_17counting_iteratorIjlEEPS9_SE_NS0_5tupleIJPjSE_EEENSF_IJSE_SE_EEES9_SG_JZNS1_25segmented_radix_sort_implINS0_14default_configELb0EPKiPiPKlPlN2at6native12_GLOBAL__N_18offset_tEEE10hipError_tPvRmT1_PNSt15iterator_traitsISY_E10value_typeET2_T3_PNSZ_IS14_E10value_typeET4_jRbjT5_S1A_jjP12ihipStream_tbEUljE_EEESV_SW_SX_S14_S18_S1A_T6_T7_T9_mT8_S1C_bDpT10_ENKUlT_T0_E_clISt17integral_constantIbLb1EES1O_IbLb0EEEEDaS1K_S1L_EUlS1K_E_NS1_11comp_targetILNS1_3genE2ELNS1_11target_archE906ELNS1_3gpuE6ELNS1_3repE0EEENS1_30default_config_static_selectorELNS0_4arch9wavefront6targetE0EEEvSY_.private_seg_size, 0
	.set _ZN7rocprim17ROCPRIM_400000_NS6detail17trampoline_kernelINS0_13select_configILj256ELj13ELNS0_17block_load_methodE3ELS4_3ELS4_3ELNS0_20block_scan_algorithmE0ELj4294967295EEENS1_25partition_config_selectorILNS1_17partition_subalgoE3EjNS0_10empty_typeEbEEZZNS1_14partition_implILS8_3ELb0ES6_jNS0_17counting_iteratorIjlEEPS9_SE_NS0_5tupleIJPjSE_EEENSF_IJSE_SE_EEES9_SG_JZNS1_25segmented_radix_sort_implINS0_14default_configELb0EPKiPiPKlPlN2at6native12_GLOBAL__N_18offset_tEEE10hipError_tPvRmT1_PNSt15iterator_traitsISY_E10value_typeET2_T3_PNSZ_IS14_E10value_typeET4_jRbjT5_S1A_jjP12ihipStream_tbEUljE_EEESV_SW_SX_S14_S18_S1A_T6_T7_T9_mT8_S1C_bDpT10_ENKUlT_T0_E_clISt17integral_constantIbLb1EES1O_IbLb0EEEEDaS1K_S1L_EUlS1K_E_NS1_11comp_targetILNS1_3genE2ELNS1_11target_archE906ELNS1_3gpuE6ELNS1_3repE0EEENS1_30default_config_static_selectorELNS0_4arch9wavefront6targetE0EEEvSY_.uses_vcc, 0
	.set _ZN7rocprim17ROCPRIM_400000_NS6detail17trampoline_kernelINS0_13select_configILj256ELj13ELNS0_17block_load_methodE3ELS4_3ELS4_3ELNS0_20block_scan_algorithmE0ELj4294967295EEENS1_25partition_config_selectorILNS1_17partition_subalgoE3EjNS0_10empty_typeEbEEZZNS1_14partition_implILS8_3ELb0ES6_jNS0_17counting_iteratorIjlEEPS9_SE_NS0_5tupleIJPjSE_EEENSF_IJSE_SE_EEES9_SG_JZNS1_25segmented_radix_sort_implINS0_14default_configELb0EPKiPiPKlPlN2at6native12_GLOBAL__N_18offset_tEEE10hipError_tPvRmT1_PNSt15iterator_traitsISY_E10value_typeET2_T3_PNSZ_IS14_E10value_typeET4_jRbjT5_S1A_jjP12ihipStream_tbEUljE_EEESV_SW_SX_S14_S18_S1A_T6_T7_T9_mT8_S1C_bDpT10_ENKUlT_T0_E_clISt17integral_constantIbLb1EES1O_IbLb0EEEEDaS1K_S1L_EUlS1K_E_NS1_11comp_targetILNS1_3genE2ELNS1_11target_archE906ELNS1_3gpuE6ELNS1_3repE0EEENS1_30default_config_static_selectorELNS0_4arch9wavefront6targetE0EEEvSY_.uses_flat_scratch, 0
	.set _ZN7rocprim17ROCPRIM_400000_NS6detail17trampoline_kernelINS0_13select_configILj256ELj13ELNS0_17block_load_methodE3ELS4_3ELS4_3ELNS0_20block_scan_algorithmE0ELj4294967295EEENS1_25partition_config_selectorILNS1_17partition_subalgoE3EjNS0_10empty_typeEbEEZZNS1_14partition_implILS8_3ELb0ES6_jNS0_17counting_iteratorIjlEEPS9_SE_NS0_5tupleIJPjSE_EEENSF_IJSE_SE_EEES9_SG_JZNS1_25segmented_radix_sort_implINS0_14default_configELb0EPKiPiPKlPlN2at6native12_GLOBAL__N_18offset_tEEE10hipError_tPvRmT1_PNSt15iterator_traitsISY_E10value_typeET2_T3_PNSZ_IS14_E10value_typeET4_jRbjT5_S1A_jjP12ihipStream_tbEUljE_EEESV_SW_SX_S14_S18_S1A_T6_T7_T9_mT8_S1C_bDpT10_ENKUlT_T0_E_clISt17integral_constantIbLb1EES1O_IbLb0EEEEDaS1K_S1L_EUlS1K_E_NS1_11comp_targetILNS1_3genE2ELNS1_11target_archE906ELNS1_3gpuE6ELNS1_3repE0EEENS1_30default_config_static_selectorELNS0_4arch9wavefront6targetE0EEEvSY_.has_dyn_sized_stack, 0
	.set _ZN7rocprim17ROCPRIM_400000_NS6detail17trampoline_kernelINS0_13select_configILj256ELj13ELNS0_17block_load_methodE3ELS4_3ELS4_3ELNS0_20block_scan_algorithmE0ELj4294967295EEENS1_25partition_config_selectorILNS1_17partition_subalgoE3EjNS0_10empty_typeEbEEZZNS1_14partition_implILS8_3ELb0ES6_jNS0_17counting_iteratorIjlEEPS9_SE_NS0_5tupleIJPjSE_EEENSF_IJSE_SE_EEES9_SG_JZNS1_25segmented_radix_sort_implINS0_14default_configELb0EPKiPiPKlPlN2at6native12_GLOBAL__N_18offset_tEEE10hipError_tPvRmT1_PNSt15iterator_traitsISY_E10value_typeET2_T3_PNSZ_IS14_E10value_typeET4_jRbjT5_S1A_jjP12ihipStream_tbEUljE_EEESV_SW_SX_S14_S18_S1A_T6_T7_T9_mT8_S1C_bDpT10_ENKUlT_T0_E_clISt17integral_constantIbLb1EES1O_IbLb0EEEEDaS1K_S1L_EUlS1K_E_NS1_11comp_targetILNS1_3genE2ELNS1_11target_archE906ELNS1_3gpuE6ELNS1_3repE0EEENS1_30default_config_static_selectorELNS0_4arch9wavefront6targetE0EEEvSY_.has_recursion, 0
	.set _ZN7rocprim17ROCPRIM_400000_NS6detail17trampoline_kernelINS0_13select_configILj256ELj13ELNS0_17block_load_methodE3ELS4_3ELS4_3ELNS0_20block_scan_algorithmE0ELj4294967295EEENS1_25partition_config_selectorILNS1_17partition_subalgoE3EjNS0_10empty_typeEbEEZZNS1_14partition_implILS8_3ELb0ES6_jNS0_17counting_iteratorIjlEEPS9_SE_NS0_5tupleIJPjSE_EEENSF_IJSE_SE_EEES9_SG_JZNS1_25segmented_radix_sort_implINS0_14default_configELb0EPKiPiPKlPlN2at6native12_GLOBAL__N_18offset_tEEE10hipError_tPvRmT1_PNSt15iterator_traitsISY_E10value_typeET2_T3_PNSZ_IS14_E10value_typeET4_jRbjT5_S1A_jjP12ihipStream_tbEUljE_EEESV_SW_SX_S14_S18_S1A_T6_T7_T9_mT8_S1C_bDpT10_ENKUlT_T0_E_clISt17integral_constantIbLb1EES1O_IbLb0EEEEDaS1K_S1L_EUlS1K_E_NS1_11comp_targetILNS1_3genE2ELNS1_11target_archE906ELNS1_3gpuE6ELNS1_3repE0EEENS1_30default_config_static_selectorELNS0_4arch9wavefront6targetE0EEEvSY_.has_indirect_call, 0
	.section	.AMDGPU.csdata,"",@progbits
; Kernel info:
; codeLenInByte = 0
; TotalNumSgprs: 0
; NumVgprs: 0
; ScratchSize: 0
; MemoryBound: 0
; FloatMode: 240
; IeeeMode: 1
; LDSByteSize: 0 bytes/workgroup (compile time only)
; SGPRBlocks: 0
; VGPRBlocks: 0
; NumSGPRsForWavesPerEU: 1
; NumVGPRsForWavesPerEU: 1
; Occupancy: 16
; WaveLimiterHint : 0
; COMPUTE_PGM_RSRC2:SCRATCH_EN: 0
; COMPUTE_PGM_RSRC2:USER_SGPR: 2
; COMPUTE_PGM_RSRC2:TRAP_HANDLER: 0
; COMPUTE_PGM_RSRC2:TGID_X_EN: 1
; COMPUTE_PGM_RSRC2:TGID_Y_EN: 0
; COMPUTE_PGM_RSRC2:TGID_Z_EN: 0
; COMPUTE_PGM_RSRC2:TIDIG_COMP_CNT: 0
	.section	.text._ZN7rocprim17ROCPRIM_400000_NS6detail17trampoline_kernelINS0_13select_configILj256ELj13ELNS0_17block_load_methodE3ELS4_3ELS4_3ELNS0_20block_scan_algorithmE0ELj4294967295EEENS1_25partition_config_selectorILNS1_17partition_subalgoE3EjNS0_10empty_typeEbEEZZNS1_14partition_implILS8_3ELb0ES6_jNS0_17counting_iteratorIjlEEPS9_SE_NS0_5tupleIJPjSE_EEENSF_IJSE_SE_EEES9_SG_JZNS1_25segmented_radix_sort_implINS0_14default_configELb0EPKiPiPKlPlN2at6native12_GLOBAL__N_18offset_tEEE10hipError_tPvRmT1_PNSt15iterator_traitsISY_E10value_typeET2_T3_PNSZ_IS14_E10value_typeET4_jRbjT5_S1A_jjP12ihipStream_tbEUljE_EEESV_SW_SX_S14_S18_S1A_T6_T7_T9_mT8_S1C_bDpT10_ENKUlT_T0_E_clISt17integral_constantIbLb1EES1O_IbLb0EEEEDaS1K_S1L_EUlS1K_E_NS1_11comp_targetILNS1_3genE10ELNS1_11target_archE1200ELNS1_3gpuE4ELNS1_3repE0EEENS1_30default_config_static_selectorELNS0_4arch9wavefront6targetE0EEEvSY_,"axG",@progbits,_ZN7rocprim17ROCPRIM_400000_NS6detail17trampoline_kernelINS0_13select_configILj256ELj13ELNS0_17block_load_methodE3ELS4_3ELS4_3ELNS0_20block_scan_algorithmE0ELj4294967295EEENS1_25partition_config_selectorILNS1_17partition_subalgoE3EjNS0_10empty_typeEbEEZZNS1_14partition_implILS8_3ELb0ES6_jNS0_17counting_iteratorIjlEEPS9_SE_NS0_5tupleIJPjSE_EEENSF_IJSE_SE_EEES9_SG_JZNS1_25segmented_radix_sort_implINS0_14default_configELb0EPKiPiPKlPlN2at6native12_GLOBAL__N_18offset_tEEE10hipError_tPvRmT1_PNSt15iterator_traitsISY_E10value_typeET2_T3_PNSZ_IS14_E10value_typeET4_jRbjT5_S1A_jjP12ihipStream_tbEUljE_EEESV_SW_SX_S14_S18_S1A_T6_T7_T9_mT8_S1C_bDpT10_ENKUlT_T0_E_clISt17integral_constantIbLb1EES1O_IbLb0EEEEDaS1K_S1L_EUlS1K_E_NS1_11comp_targetILNS1_3genE10ELNS1_11target_archE1200ELNS1_3gpuE4ELNS1_3repE0EEENS1_30default_config_static_selectorELNS0_4arch9wavefront6targetE0EEEvSY_,comdat
	.globl	_ZN7rocprim17ROCPRIM_400000_NS6detail17trampoline_kernelINS0_13select_configILj256ELj13ELNS0_17block_load_methodE3ELS4_3ELS4_3ELNS0_20block_scan_algorithmE0ELj4294967295EEENS1_25partition_config_selectorILNS1_17partition_subalgoE3EjNS0_10empty_typeEbEEZZNS1_14partition_implILS8_3ELb0ES6_jNS0_17counting_iteratorIjlEEPS9_SE_NS0_5tupleIJPjSE_EEENSF_IJSE_SE_EEES9_SG_JZNS1_25segmented_radix_sort_implINS0_14default_configELb0EPKiPiPKlPlN2at6native12_GLOBAL__N_18offset_tEEE10hipError_tPvRmT1_PNSt15iterator_traitsISY_E10value_typeET2_T3_PNSZ_IS14_E10value_typeET4_jRbjT5_S1A_jjP12ihipStream_tbEUljE_EEESV_SW_SX_S14_S18_S1A_T6_T7_T9_mT8_S1C_bDpT10_ENKUlT_T0_E_clISt17integral_constantIbLb1EES1O_IbLb0EEEEDaS1K_S1L_EUlS1K_E_NS1_11comp_targetILNS1_3genE10ELNS1_11target_archE1200ELNS1_3gpuE4ELNS1_3repE0EEENS1_30default_config_static_selectorELNS0_4arch9wavefront6targetE0EEEvSY_ ; -- Begin function _ZN7rocprim17ROCPRIM_400000_NS6detail17trampoline_kernelINS0_13select_configILj256ELj13ELNS0_17block_load_methodE3ELS4_3ELS4_3ELNS0_20block_scan_algorithmE0ELj4294967295EEENS1_25partition_config_selectorILNS1_17partition_subalgoE3EjNS0_10empty_typeEbEEZZNS1_14partition_implILS8_3ELb0ES6_jNS0_17counting_iteratorIjlEEPS9_SE_NS0_5tupleIJPjSE_EEENSF_IJSE_SE_EEES9_SG_JZNS1_25segmented_radix_sort_implINS0_14default_configELb0EPKiPiPKlPlN2at6native12_GLOBAL__N_18offset_tEEE10hipError_tPvRmT1_PNSt15iterator_traitsISY_E10value_typeET2_T3_PNSZ_IS14_E10value_typeET4_jRbjT5_S1A_jjP12ihipStream_tbEUljE_EEESV_SW_SX_S14_S18_S1A_T6_T7_T9_mT8_S1C_bDpT10_ENKUlT_T0_E_clISt17integral_constantIbLb1EES1O_IbLb0EEEEDaS1K_S1L_EUlS1K_E_NS1_11comp_targetILNS1_3genE10ELNS1_11target_archE1200ELNS1_3gpuE4ELNS1_3repE0EEENS1_30default_config_static_selectorELNS0_4arch9wavefront6targetE0EEEvSY_
	.p2align	8
	.type	_ZN7rocprim17ROCPRIM_400000_NS6detail17trampoline_kernelINS0_13select_configILj256ELj13ELNS0_17block_load_methodE3ELS4_3ELS4_3ELNS0_20block_scan_algorithmE0ELj4294967295EEENS1_25partition_config_selectorILNS1_17partition_subalgoE3EjNS0_10empty_typeEbEEZZNS1_14partition_implILS8_3ELb0ES6_jNS0_17counting_iteratorIjlEEPS9_SE_NS0_5tupleIJPjSE_EEENSF_IJSE_SE_EEES9_SG_JZNS1_25segmented_radix_sort_implINS0_14default_configELb0EPKiPiPKlPlN2at6native12_GLOBAL__N_18offset_tEEE10hipError_tPvRmT1_PNSt15iterator_traitsISY_E10value_typeET2_T3_PNSZ_IS14_E10value_typeET4_jRbjT5_S1A_jjP12ihipStream_tbEUljE_EEESV_SW_SX_S14_S18_S1A_T6_T7_T9_mT8_S1C_bDpT10_ENKUlT_T0_E_clISt17integral_constantIbLb1EES1O_IbLb0EEEEDaS1K_S1L_EUlS1K_E_NS1_11comp_targetILNS1_3genE10ELNS1_11target_archE1200ELNS1_3gpuE4ELNS1_3repE0EEENS1_30default_config_static_selectorELNS0_4arch9wavefront6targetE0EEEvSY_,@function
_ZN7rocprim17ROCPRIM_400000_NS6detail17trampoline_kernelINS0_13select_configILj256ELj13ELNS0_17block_load_methodE3ELS4_3ELS4_3ELNS0_20block_scan_algorithmE0ELj4294967295EEENS1_25partition_config_selectorILNS1_17partition_subalgoE3EjNS0_10empty_typeEbEEZZNS1_14partition_implILS8_3ELb0ES6_jNS0_17counting_iteratorIjlEEPS9_SE_NS0_5tupleIJPjSE_EEENSF_IJSE_SE_EEES9_SG_JZNS1_25segmented_radix_sort_implINS0_14default_configELb0EPKiPiPKlPlN2at6native12_GLOBAL__N_18offset_tEEE10hipError_tPvRmT1_PNSt15iterator_traitsISY_E10value_typeET2_T3_PNSZ_IS14_E10value_typeET4_jRbjT5_S1A_jjP12ihipStream_tbEUljE_EEESV_SW_SX_S14_S18_S1A_T6_T7_T9_mT8_S1C_bDpT10_ENKUlT_T0_E_clISt17integral_constantIbLb1EES1O_IbLb0EEEEDaS1K_S1L_EUlS1K_E_NS1_11comp_targetILNS1_3genE10ELNS1_11target_archE1200ELNS1_3gpuE4ELNS1_3repE0EEENS1_30default_config_static_selectorELNS0_4arch9wavefront6targetE0EEEvSY_: ; @_ZN7rocprim17ROCPRIM_400000_NS6detail17trampoline_kernelINS0_13select_configILj256ELj13ELNS0_17block_load_methodE3ELS4_3ELS4_3ELNS0_20block_scan_algorithmE0ELj4294967295EEENS1_25partition_config_selectorILNS1_17partition_subalgoE3EjNS0_10empty_typeEbEEZZNS1_14partition_implILS8_3ELb0ES6_jNS0_17counting_iteratorIjlEEPS9_SE_NS0_5tupleIJPjSE_EEENSF_IJSE_SE_EEES9_SG_JZNS1_25segmented_radix_sort_implINS0_14default_configELb0EPKiPiPKlPlN2at6native12_GLOBAL__N_18offset_tEEE10hipError_tPvRmT1_PNSt15iterator_traitsISY_E10value_typeET2_T3_PNSZ_IS14_E10value_typeET4_jRbjT5_S1A_jjP12ihipStream_tbEUljE_EEESV_SW_SX_S14_S18_S1A_T6_T7_T9_mT8_S1C_bDpT10_ENKUlT_T0_E_clISt17integral_constantIbLb1EES1O_IbLb0EEEEDaS1K_S1L_EUlS1K_E_NS1_11comp_targetILNS1_3genE10ELNS1_11target_archE1200ELNS1_3gpuE4ELNS1_3repE0EEENS1_30default_config_static_selectorELNS0_4arch9wavefront6targetE0EEEvSY_
; %bb.0:
	s_endpgm
	.section	.rodata,"a",@progbits
	.p2align	6, 0x0
	.amdhsa_kernel _ZN7rocprim17ROCPRIM_400000_NS6detail17trampoline_kernelINS0_13select_configILj256ELj13ELNS0_17block_load_methodE3ELS4_3ELS4_3ELNS0_20block_scan_algorithmE0ELj4294967295EEENS1_25partition_config_selectorILNS1_17partition_subalgoE3EjNS0_10empty_typeEbEEZZNS1_14partition_implILS8_3ELb0ES6_jNS0_17counting_iteratorIjlEEPS9_SE_NS0_5tupleIJPjSE_EEENSF_IJSE_SE_EEES9_SG_JZNS1_25segmented_radix_sort_implINS0_14default_configELb0EPKiPiPKlPlN2at6native12_GLOBAL__N_18offset_tEEE10hipError_tPvRmT1_PNSt15iterator_traitsISY_E10value_typeET2_T3_PNSZ_IS14_E10value_typeET4_jRbjT5_S1A_jjP12ihipStream_tbEUljE_EEESV_SW_SX_S14_S18_S1A_T6_T7_T9_mT8_S1C_bDpT10_ENKUlT_T0_E_clISt17integral_constantIbLb1EES1O_IbLb0EEEEDaS1K_S1L_EUlS1K_E_NS1_11comp_targetILNS1_3genE10ELNS1_11target_archE1200ELNS1_3gpuE4ELNS1_3repE0EEENS1_30default_config_static_selectorELNS0_4arch9wavefront6targetE0EEEvSY_
		.amdhsa_group_segment_fixed_size 0
		.amdhsa_private_segment_fixed_size 0
		.amdhsa_kernarg_size 144
		.amdhsa_user_sgpr_count 2
		.amdhsa_user_sgpr_dispatch_ptr 0
		.amdhsa_user_sgpr_queue_ptr 0
		.amdhsa_user_sgpr_kernarg_segment_ptr 1
		.amdhsa_user_sgpr_dispatch_id 0
		.amdhsa_user_sgpr_private_segment_size 0
		.amdhsa_wavefront_size32 1
		.amdhsa_uses_dynamic_stack 0
		.amdhsa_enable_private_segment 0
		.amdhsa_system_sgpr_workgroup_id_x 1
		.amdhsa_system_sgpr_workgroup_id_y 0
		.amdhsa_system_sgpr_workgroup_id_z 0
		.amdhsa_system_sgpr_workgroup_info 0
		.amdhsa_system_vgpr_workitem_id 0
		.amdhsa_next_free_vgpr 1
		.amdhsa_next_free_sgpr 1
		.amdhsa_reserve_vcc 0
		.amdhsa_float_round_mode_32 0
		.amdhsa_float_round_mode_16_64 0
		.amdhsa_float_denorm_mode_32 3
		.amdhsa_float_denorm_mode_16_64 3
		.amdhsa_fp16_overflow 0
		.amdhsa_workgroup_processor_mode 1
		.amdhsa_memory_ordered 1
		.amdhsa_forward_progress 1
		.amdhsa_inst_pref_size 1
		.amdhsa_round_robin_scheduling 0
		.amdhsa_exception_fp_ieee_invalid_op 0
		.amdhsa_exception_fp_denorm_src 0
		.amdhsa_exception_fp_ieee_div_zero 0
		.amdhsa_exception_fp_ieee_overflow 0
		.amdhsa_exception_fp_ieee_underflow 0
		.amdhsa_exception_fp_ieee_inexact 0
		.amdhsa_exception_int_div_zero 0
	.end_amdhsa_kernel
	.section	.text._ZN7rocprim17ROCPRIM_400000_NS6detail17trampoline_kernelINS0_13select_configILj256ELj13ELNS0_17block_load_methodE3ELS4_3ELS4_3ELNS0_20block_scan_algorithmE0ELj4294967295EEENS1_25partition_config_selectorILNS1_17partition_subalgoE3EjNS0_10empty_typeEbEEZZNS1_14partition_implILS8_3ELb0ES6_jNS0_17counting_iteratorIjlEEPS9_SE_NS0_5tupleIJPjSE_EEENSF_IJSE_SE_EEES9_SG_JZNS1_25segmented_radix_sort_implINS0_14default_configELb0EPKiPiPKlPlN2at6native12_GLOBAL__N_18offset_tEEE10hipError_tPvRmT1_PNSt15iterator_traitsISY_E10value_typeET2_T3_PNSZ_IS14_E10value_typeET4_jRbjT5_S1A_jjP12ihipStream_tbEUljE_EEESV_SW_SX_S14_S18_S1A_T6_T7_T9_mT8_S1C_bDpT10_ENKUlT_T0_E_clISt17integral_constantIbLb1EES1O_IbLb0EEEEDaS1K_S1L_EUlS1K_E_NS1_11comp_targetILNS1_3genE10ELNS1_11target_archE1200ELNS1_3gpuE4ELNS1_3repE0EEENS1_30default_config_static_selectorELNS0_4arch9wavefront6targetE0EEEvSY_,"axG",@progbits,_ZN7rocprim17ROCPRIM_400000_NS6detail17trampoline_kernelINS0_13select_configILj256ELj13ELNS0_17block_load_methodE3ELS4_3ELS4_3ELNS0_20block_scan_algorithmE0ELj4294967295EEENS1_25partition_config_selectorILNS1_17partition_subalgoE3EjNS0_10empty_typeEbEEZZNS1_14partition_implILS8_3ELb0ES6_jNS0_17counting_iteratorIjlEEPS9_SE_NS0_5tupleIJPjSE_EEENSF_IJSE_SE_EEES9_SG_JZNS1_25segmented_radix_sort_implINS0_14default_configELb0EPKiPiPKlPlN2at6native12_GLOBAL__N_18offset_tEEE10hipError_tPvRmT1_PNSt15iterator_traitsISY_E10value_typeET2_T3_PNSZ_IS14_E10value_typeET4_jRbjT5_S1A_jjP12ihipStream_tbEUljE_EEESV_SW_SX_S14_S18_S1A_T6_T7_T9_mT8_S1C_bDpT10_ENKUlT_T0_E_clISt17integral_constantIbLb1EES1O_IbLb0EEEEDaS1K_S1L_EUlS1K_E_NS1_11comp_targetILNS1_3genE10ELNS1_11target_archE1200ELNS1_3gpuE4ELNS1_3repE0EEENS1_30default_config_static_selectorELNS0_4arch9wavefront6targetE0EEEvSY_,comdat
.Lfunc_end589:
	.size	_ZN7rocprim17ROCPRIM_400000_NS6detail17trampoline_kernelINS0_13select_configILj256ELj13ELNS0_17block_load_methodE3ELS4_3ELS4_3ELNS0_20block_scan_algorithmE0ELj4294967295EEENS1_25partition_config_selectorILNS1_17partition_subalgoE3EjNS0_10empty_typeEbEEZZNS1_14partition_implILS8_3ELb0ES6_jNS0_17counting_iteratorIjlEEPS9_SE_NS0_5tupleIJPjSE_EEENSF_IJSE_SE_EEES9_SG_JZNS1_25segmented_radix_sort_implINS0_14default_configELb0EPKiPiPKlPlN2at6native12_GLOBAL__N_18offset_tEEE10hipError_tPvRmT1_PNSt15iterator_traitsISY_E10value_typeET2_T3_PNSZ_IS14_E10value_typeET4_jRbjT5_S1A_jjP12ihipStream_tbEUljE_EEESV_SW_SX_S14_S18_S1A_T6_T7_T9_mT8_S1C_bDpT10_ENKUlT_T0_E_clISt17integral_constantIbLb1EES1O_IbLb0EEEEDaS1K_S1L_EUlS1K_E_NS1_11comp_targetILNS1_3genE10ELNS1_11target_archE1200ELNS1_3gpuE4ELNS1_3repE0EEENS1_30default_config_static_selectorELNS0_4arch9wavefront6targetE0EEEvSY_, .Lfunc_end589-_ZN7rocprim17ROCPRIM_400000_NS6detail17trampoline_kernelINS0_13select_configILj256ELj13ELNS0_17block_load_methodE3ELS4_3ELS4_3ELNS0_20block_scan_algorithmE0ELj4294967295EEENS1_25partition_config_selectorILNS1_17partition_subalgoE3EjNS0_10empty_typeEbEEZZNS1_14partition_implILS8_3ELb0ES6_jNS0_17counting_iteratorIjlEEPS9_SE_NS0_5tupleIJPjSE_EEENSF_IJSE_SE_EEES9_SG_JZNS1_25segmented_radix_sort_implINS0_14default_configELb0EPKiPiPKlPlN2at6native12_GLOBAL__N_18offset_tEEE10hipError_tPvRmT1_PNSt15iterator_traitsISY_E10value_typeET2_T3_PNSZ_IS14_E10value_typeET4_jRbjT5_S1A_jjP12ihipStream_tbEUljE_EEESV_SW_SX_S14_S18_S1A_T6_T7_T9_mT8_S1C_bDpT10_ENKUlT_T0_E_clISt17integral_constantIbLb1EES1O_IbLb0EEEEDaS1K_S1L_EUlS1K_E_NS1_11comp_targetILNS1_3genE10ELNS1_11target_archE1200ELNS1_3gpuE4ELNS1_3repE0EEENS1_30default_config_static_selectorELNS0_4arch9wavefront6targetE0EEEvSY_
                                        ; -- End function
	.set _ZN7rocprim17ROCPRIM_400000_NS6detail17trampoline_kernelINS0_13select_configILj256ELj13ELNS0_17block_load_methodE3ELS4_3ELS4_3ELNS0_20block_scan_algorithmE0ELj4294967295EEENS1_25partition_config_selectorILNS1_17partition_subalgoE3EjNS0_10empty_typeEbEEZZNS1_14partition_implILS8_3ELb0ES6_jNS0_17counting_iteratorIjlEEPS9_SE_NS0_5tupleIJPjSE_EEENSF_IJSE_SE_EEES9_SG_JZNS1_25segmented_radix_sort_implINS0_14default_configELb0EPKiPiPKlPlN2at6native12_GLOBAL__N_18offset_tEEE10hipError_tPvRmT1_PNSt15iterator_traitsISY_E10value_typeET2_T3_PNSZ_IS14_E10value_typeET4_jRbjT5_S1A_jjP12ihipStream_tbEUljE_EEESV_SW_SX_S14_S18_S1A_T6_T7_T9_mT8_S1C_bDpT10_ENKUlT_T0_E_clISt17integral_constantIbLb1EES1O_IbLb0EEEEDaS1K_S1L_EUlS1K_E_NS1_11comp_targetILNS1_3genE10ELNS1_11target_archE1200ELNS1_3gpuE4ELNS1_3repE0EEENS1_30default_config_static_selectorELNS0_4arch9wavefront6targetE0EEEvSY_.num_vgpr, 0
	.set _ZN7rocprim17ROCPRIM_400000_NS6detail17trampoline_kernelINS0_13select_configILj256ELj13ELNS0_17block_load_methodE3ELS4_3ELS4_3ELNS0_20block_scan_algorithmE0ELj4294967295EEENS1_25partition_config_selectorILNS1_17partition_subalgoE3EjNS0_10empty_typeEbEEZZNS1_14partition_implILS8_3ELb0ES6_jNS0_17counting_iteratorIjlEEPS9_SE_NS0_5tupleIJPjSE_EEENSF_IJSE_SE_EEES9_SG_JZNS1_25segmented_radix_sort_implINS0_14default_configELb0EPKiPiPKlPlN2at6native12_GLOBAL__N_18offset_tEEE10hipError_tPvRmT1_PNSt15iterator_traitsISY_E10value_typeET2_T3_PNSZ_IS14_E10value_typeET4_jRbjT5_S1A_jjP12ihipStream_tbEUljE_EEESV_SW_SX_S14_S18_S1A_T6_T7_T9_mT8_S1C_bDpT10_ENKUlT_T0_E_clISt17integral_constantIbLb1EES1O_IbLb0EEEEDaS1K_S1L_EUlS1K_E_NS1_11comp_targetILNS1_3genE10ELNS1_11target_archE1200ELNS1_3gpuE4ELNS1_3repE0EEENS1_30default_config_static_selectorELNS0_4arch9wavefront6targetE0EEEvSY_.num_agpr, 0
	.set _ZN7rocprim17ROCPRIM_400000_NS6detail17trampoline_kernelINS0_13select_configILj256ELj13ELNS0_17block_load_methodE3ELS4_3ELS4_3ELNS0_20block_scan_algorithmE0ELj4294967295EEENS1_25partition_config_selectorILNS1_17partition_subalgoE3EjNS0_10empty_typeEbEEZZNS1_14partition_implILS8_3ELb0ES6_jNS0_17counting_iteratorIjlEEPS9_SE_NS0_5tupleIJPjSE_EEENSF_IJSE_SE_EEES9_SG_JZNS1_25segmented_radix_sort_implINS0_14default_configELb0EPKiPiPKlPlN2at6native12_GLOBAL__N_18offset_tEEE10hipError_tPvRmT1_PNSt15iterator_traitsISY_E10value_typeET2_T3_PNSZ_IS14_E10value_typeET4_jRbjT5_S1A_jjP12ihipStream_tbEUljE_EEESV_SW_SX_S14_S18_S1A_T6_T7_T9_mT8_S1C_bDpT10_ENKUlT_T0_E_clISt17integral_constantIbLb1EES1O_IbLb0EEEEDaS1K_S1L_EUlS1K_E_NS1_11comp_targetILNS1_3genE10ELNS1_11target_archE1200ELNS1_3gpuE4ELNS1_3repE0EEENS1_30default_config_static_selectorELNS0_4arch9wavefront6targetE0EEEvSY_.numbered_sgpr, 0
	.set _ZN7rocprim17ROCPRIM_400000_NS6detail17trampoline_kernelINS0_13select_configILj256ELj13ELNS0_17block_load_methodE3ELS4_3ELS4_3ELNS0_20block_scan_algorithmE0ELj4294967295EEENS1_25partition_config_selectorILNS1_17partition_subalgoE3EjNS0_10empty_typeEbEEZZNS1_14partition_implILS8_3ELb0ES6_jNS0_17counting_iteratorIjlEEPS9_SE_NS0_5tupleIJPjSE_EEENSF_IJSE_SE_EEES9_SG_JZNS1_25segmented_radix_sort_implINS0_14default_configELb0EPKiPiPKlPlN2at6native12_GLOBAL__N_18offset_tEEE10hipError_tPvRmT1_PNSt15iterator_traitsISY_E10value_typeET2_T3_PNSZ_IS14_E10value_typeET4_jRbjT5_S1A_jjP12ihipStream_tbEUljE_EEESV_SW_SX_S14_S18_S1A_T6_T7_T9_mT8_S1C_bDpT10_ENKUlT_T0_E_clISt17integral_constantIbLb1EES1O_IbLb0EEEEDaS1K_S1L_EUlS1K_E_NS1_11comp_targetILNS1_3genE10ELNS1_11target_archE1200ELNS1_3gpuE4ELNS1_3repE0EEENS1_30default_config_static_selectorELNS0_4arch9wavefront6targetE0EEEvSY_.num_named_barrier, 0
	.set _ZN7rocprim17ROCPRIM_400000_NS6detail17trampoline_kernelINS0_13select_configILj256ELj13ELNS0_17block_load_methodE3ELS4_3ELS4_3ELNS0_20block_scan_algorithmE0ELj4294967295EEENS1_25partition_config_selectorILNS1_17partition_subalgoE3EjNS0_10empty_typeEbEEZZNS1_14partition_implILS8_3ELb0ES6_jNS0_17counting_iteratorIjlEEPS9_SE_NS0_5tupleIJPjSE_EEENSF_IJSE_SE_EEES9_SG_JZNS1_25segmented_radix_sort_implINS0_14default_configELb0EPKiPiPKlPlN2at6native12_GLOBAL__N_18offset_tEEE10hipError_tPvRmT1_PNSt15iterator_traitsISY_E10value_typeET2_T3_PNSZ_IS14_E10value_typeET4_jRbjT5_S1A_jjP12ihipStream_tbEUljE_EEESV_SW_SX_S14_S18_S1A_T6_T7_T9_mT8_S1C_bDpT10_ENKUlT_T0_E_clISt17integral_constantIbLb1EES1O_IbLb0EEEEDaS1K_S1L_EUlS1K_E_NS1_11comp_targetILNS1_3genE10ELNS1_11target_archE1200ELNS1_3gpuE4ELNS1_3repE0EEENS1_30default_config_static_selectorELNS0_4arch9wavefront6targetE0EEEvSY_.private_seg_size, 0
	.set _ZN7rocprim17ROCPRIM_400000_NS6detail17trampoline_kernelINS0_13select_configILj256ELj13ELNS0_17block_load_methodE3ELS4_3ELS4_3ELNS0_20block_scan_algorithmE0ELj4294967295EEENS1_25partition_config_selectorILNS1_17partition_subalgoE3EjNS0_10empty_typeEbEEZZNS1_14partition_implILS8_3ELb0ES6_jNS0_17counting_iteratorIjlEEPS9_SE_NS0_5tupleIJPjSE_EEENSF_IJSE_SE_EEES9_SG_JZNS1_25segmented_radix_sort_implINS0_14default_configELb0EPKiPiPKlPlN2at6native12_GLOBAL__N_18offset_tEEE10hipError_tPvRmT1_PNSt15iterator_traitsISY_E10value_typeET2_T3_PNSZ_IS14_E10value_typeET4_jRbjT5_S1A_jjP12ihipStream_tbEUljE_EEESV_SW_SX_S14_S18_S1A_T6_T7_T9_mT8_S1C_bDpT10_ENKUlT_T0_E_clISt17integral_constantIbLb1EES1O_IbLb0EEEEDaS1K_S1L_EUlS1K_E_NS1_11comp_targetILNS1_3genE10ELNS1_11target_archE1200ELNS1_3gpuE4ELNS1_3repE0EEENS1_30default_config_static_selectorELNS0_4arch9wavefront6targetE0EEEvSY_.uses_vcc, 0
	.set _ZN7rocprim17ROCPRIM_400000_NS6detail17trampoline_kernelINS0_13select_configILj256ELj13ELNS0_17block_load_methodE3ELS4_3ELS4_3ELNS0_20block_scan_algorithmE0ELj4294967295EEENS1_25partition_config_selectorILNS1_17partition_subalgoE3EjNS0_10empty_typeEbEEZZNS1_14partition_implILS8_3ELb0ES6_jNS0_17counting_iteratorIjlEEPS9_SE_NS0_5tupleIJPjSE_EEENSF_IJSE_SE_EEES9_SG_JZNS1_25segmented_radix_sort_implINS0_14default_configELb0EPKiPiPKlPlN2at6native12_GLOBAL__N_18offset_tEEE10hipError_tPvRmT1_PNSt15iterator_traitsISY_E10value_typeET2_T3_PNSZ_IS14_E10value_typeET4_jRbjT5_S1A_jjP12ihipStream_tbEUljE_EEESV_SW_SX_S14_S18_S1A_T6_T7_T9_mT8_S1C_bDpT10_ENKUlT_T0_E_clISt17integral_constantIbLb1EES1O_IbLb0EEEEDaS1K_S1L_EUlS1K_E_NS1_11comp_targetILNS1_3genE10ELNS1_11target_archE1200ELNS1_3gpuE4ELNS1_3repE0EEENS1_30default_config_static_selectorELNS0_4arch9wavefront6targetE0EEEvSY_.uses_flat_scratch, 0
	.set _ZN7rocprim17ROCPRIM_400000_NS6detail17trampoline_kernelINS0_13select_configILj256ELj13ELNS0_17block_load_methodE3ELS4_3ELS4_3ELNS0_20block_scan_algorithmE0ELj4294967295EEENS1_25partition_config_selectorILNS1_17partition_subalgoE3EjNS0_10empty_typeEbEEZZNS1_14partition_implILS8_3ELb0ES6_jNS0_17counting_iteratorIjlEEPS9_SE_NS0_5tupleIJPjSE_EEENSF_IJSE_SE_EEES9_SG_JZNS1_25segmented_radix_sort_implINS0_14default_configELb0EPKiPiPKlPlN2at6native12_GLOBAL__N_18offset_tEEE10hipError_tPvRmT1_PNSt15iterator_traitsISY_E10value_typeET2_T3_PNSZ_IS14_E10value_typeET4_jRbjT5_S1A_jjP12ihipStream_tbEUljE_EEESV_SW_SX_S14_S18_S1A_T6_T7_T9_mT8_S1C_bDpT10_ENKUlT_T0_E_clISt17integral_constantIbLb1EES1O_IbLb0EEEEDaS1K_S1L_EUlS1K_E_NS1_11comp_targetILNS1_3genE10ELNS1_11target_archE1200ELNS1_3gpuE4ELNS1_3repE0EEENS1_30default_config_static_selectorELNS0_4arch9wavefront6targetE0EEEvSY_.has_dyn_sized_stack, 0
	.set _ZN7rocprim17ROCPRIM_400000_NS6detail17trampoline_kernelINS0_13select_configILj256ELj13ELNS0_17block_load_methodE3ELS4_3ELS4_3ELNS0_20block_scan_algorithmE0ELj4294967295EEENS1_25partition_config_selectorILNS1_17partition_subalgoE3EjNS0_10empty_typeEbEEZZNS1_14partition_implILS8_3ELb0ES6_jNS0_17counting_iteratorIjlEEPS9_SE_NS0_5tupleIJPjSE_EEENSF_IJSE_SE_EEES9_SG_JZNS1_25segmented_radix_sort_implINS0_14default_configELb0EPKiPiPKlPlN2at6native12_GLOBAL__N_18offset_tEEE10hipError_tPvRmT1_PNSt15iterator_traitsISY_E10value_typeET2_T3_PNSZ_IS14_E10value_typeET4_jRbjT5_S1A_jjP12ihipStream_tbEUljE_EEESV_SW_SX_S14_S18_S1A_T6_T7_T9_mT8_S1C_bDpT10_ENKUlT_T0_E_clISt17integral_constantIbLb1EES1O_IbLb0EEEEDaS1K_S1L_EUlS1K_E_NS1_11comp_targetILNS1_3genE10ELNS1_11target_archE1200ELNS1_3gpuE4ELNS1_3repE0EEENS1_30default_config_static_selectorELNS0_4arch9wavefront6targetE0EEEvSY_.has_recursion, 0
	.set _ZN7rocprim17ROCPRIM_400000_NS6detail17trampoline_kernelINS0_13select_configILj256ELj13ELNS0_17block_load_methodE3ELS4_3ELS4_3ELNS0_20block_scan_algorithmE0ELj4294967295EEENS1_25partition_config_selectorILNS1_17partition_subalgoE3EjNS0_10empty_typeEbEEZZNS1_14partition_implILS8_3ELb0ES6_jNS0_17counting_iteratorIjlEEPS9_SE_NS0_5tupleIJPjSE_EEENSF_IJSE_SE_EEES9_SG_JZNS1_25segmented_radix_sort_implINS0_14default_configELb0EPKiPiPKlPlN2at6native12_GLOBAL__N_18offset_tEEE10hipError_tPvRmT1_PNSt15iterator_traitsISY_E10value_typeET2_T3_PNSZ_IS14_E10value_typeET4_jRbjT5_S1A_jjP12ihipStream_tbEUljE_EEESV_SW_SX_S14_S18_S1A_T6_T7_T9_mT8_S1C_bDpT10_ENKUlT_T0_E_clISt17integral_constantIbLb1EES1O_IbLb0EEEEDaS1K_S1L_EUlS1K_E_NS1_11comp_targetILNS1_3genE10ELNS1_11target_archE1200ELNS1_3gpuE4ELNS1_3repE0EEENS1_30default_config_static_selectorELNS0_4arch9wavefront6targetE0EEEvSY_.has_indirect_call, 0
	.section	.AMDGPU.csdata,"",@progbits
; Kernel info:
; codeLenInByte = 4
; TotalNumSgprs: 0
; NumVgprs: 0
; ScratchSize: 0
; MemoryBound: 0
; FloatMode: 240
; IeeeMode: 1
; LDSByteSize: 0 bytes/workgroup (compile time only)
; SGPRBlocks: 0
; VGPRBlocks: 0
; NumSGPRsForWavesPerEU: 1
; NumVGPRsForWavesPerEU: 1
; Occupancy: 16
; WaveLimiterHint : 0
; COMPUTE_PGM_RSRC2:SCRATCH_EN: 0
; COMPUTE_PGM_RSRC2:USER_SGPR: 2
; COMPUTE_PGM_RSRC2:TRAP_HANDLER: 0
; COMPUTE_PGM_RSRC2:TGID_X_EN: 1
; COMPUTE_PGM_RSRC2:TGID_Y_EN: 0
; COMPUTE_PGM_RSRC2:TGID_Z_EN: 0
; COMPUTE_PGM_RSRC2:TIDIG_COMP_CNT: 0
	.section	.text._ZN7rocprim17ROCPRIM_400000_NS6detail17trampoline_kernelINS0_13select_configILj256ELj13ELNS0_17block_load_methodE3ELS4_3ELS4_3ELNS0_20block_scan_algorithmE0ELj4294967295EEENS1_25partition_config_selectorILNS1_17partition_subalgoE3EjNS0_10empty_typeEbEEZZNS1_14partition_implILS8_3ELb0ES6_jNS0_17counting_iteratorIjlEEPS9_SE_NS0_5tupleIJPjSE_EEENSF_IJSE_SE_EEES9_SG_JZNS1_25segmented_radix_sort_implINS0_14default_configELb0EPKiPiPKlPlN2at6native12_GLOBAL__N_18offset_tEEE10hipError_tPvRmT1_PNSt15iterator_traitsISY_E10value_typeET2_T3_PNSZ_IS14_E10value_typeET4_jRbjT5_S1A_jjP12ihipStream_tbEUljE_EEESV_SW_SX_S14_S18_S1A_T6_T7_T9_mT8_S1C_bDpT10_ENKUlT_T0_E_clISt17integral_constantIbLb1EES1O_IbLb0EEEEDaS1K_S1L_EUlS1K_E_NS1_11comp_targetILNS1_3genE9ELNS1_11target_archE1100ELNS1_3gpuE3ELNS1_3repE0EEENS1_30default_config_static_selectorELNS0_4arch9wavefront6targetE0EEEvSY_,"axG",@progbits,_ZN7rocprim17ROCPRIM_400000_NS6detail17trampoline_kernelINS0_13select_configILj256ELj13ELNS0_17block_load_methodE3ELS4_3ELS4_3ELNS0_20block_scan_algorithmE0ELj4294967295EEENS1_25partition_config_selectorILNS1_17partition_subalgoE3EjNS0_10empty_typeEbEEZZNS1_14partition_implILS8_3ELb0ES6_jNS0_17counting_iteratorIjlEEPS9_SE_NS0_5tupleIJPjSE_EEENSF_IJSE_SE_EEES9_SG_JZNS1_25segmented_radix_sort_implINS0_14default_configELb0EPKiPiPKlPlN2at6native12_GLOBAL__N_18offset_tEEE10hipError_tPvRmT1_PNSt15iterator_traitsISY_E10value_typeET2_T3_PNSZ_IS14_E10value_typeET4_jRbjT5_S1A_jjP12ihipStream_tbEUljE_EEESV_SW_SX_S14_S18_S1A_T6_T7_T9_mT8_S1C_bDpT10_ENKUlT_T0_E_clISt17integral_constantIbLb1EES1O_IbLb0EEEEDaS1K_S1L_EUlS1K_E_NS1_11comp_targetILNS1_3genE9ELNS1_11target_archE1100ELNS1_3gpuE3ELNS1_3repE0EEENS1_30default_config_static_selectorELNS0_4arch9wavefront6targetE0EEEvSY_,comdat
	.globl	_ZN7rocprim17ROCPRIM_400000_NS6detail17trampoline_kernelINS0_13select_configILj256ELj13ELNS0_17block_load_methodE3ELS4_3ELS4_3ELNS0_20block_scan_algorithmE0ELj4294967295EEENS1_25partition_config_selectorILNS1_17partition_subalgoE3EjNS0_10empty_typeEbEEZZNS1_14partition_implILS8_3ELb0ES6_jNS0_17counting_iteratorIjlEEPS9_SE_NS0_5tupleIJPjSE_EEENSF_IJSE_SE_EEES9_SG_JZNS1_25segmented_radix_sort_implINS0_14default_configELb0EPKiPiPKlPlN2at6native12_GLOBAL__N_18offset_tEEE10hipError_tPvRmT1_PNSt15iterator_traitsISY_E10value_typeET2_T3_PNSZ_IS14_E10value_typeET4_jRbjT5_S1A_jjP12ihipStream_tbEUljE_EEESV_SW_SX_S14_S18_S1A_T6_T7_T9_mT8_S1C_bDpT10_ENKUlT_T0_E_clISt17integral_constantIbLb1EES1O_IbLb0EEEEDaS1K_S1L_EUlS1K_E_NS1_11comp_targetILNS1_3genE9ELNS1_11target_archE1100ELNS1_3gpuE3ELNS1_3repE0EEENS1_30default_config_static_selectorELNS0_4arch9wavefront6targetE0EEEvSY_ ; -- Begin function _ZN7rocprim17ROCPRIM_400000_NS6detail17trampoline_kernelINS0_13select_configILj256ELj13ELNS0_17block_load_methodE3ELS4_3ELS4_3ELNS0_20block_scan_algorithmE0ELj4294967295EEENS1_25partition_config_selectorILNS1_17partition_subalgoE3EjNS0_10empty_typeEbEEZZNS1_14partition_implILS8_3ELb0ES6_jNS0_17counting_iteratorIjlEEPS9_SE_NS0_5tupleIJPjSE_EEENSF_IJSE_SE_EEES9_SG_JZNS1_25segmented_radix_sort_implINS0_14default_configELb0EPKiPiPKlPlN2at6native12_GLOBAL__N_18offset_tEEE10hipError_tPvRmT1_PNSt15iterator_traitsISY_E10value_typeET2_T3_PNSZ_IS14_E10value_typeET4_jRbjT5_S1A_jjP12ihipStream_tbEUljE_EEESV_SW_SX_S14_S18_S1A_T6_T7_T9_mT8_S1C_bDpT10_ENKUlT_T0_E_clISt17integral_constantIbLb1EES1O_IbLb0EEEEDaS1K_S1L_EUlS1K_E_NS1_11comp_targetILNS1_3genE9ELNS1_11target_archE1100ELNS1_3gpuE3ELNS1_3repE0EEENS1_30default_config_static_selectorELNS0_4arch9wavefront6targetE0EEEvSY_
	.p2align	8
	.type	_ZN7rocprim17ROCPRIM_400000_NS6detail17trampoline_kernelINS0_13select_configILj256ELj13ELNS0_17block_load_methodE3ELS4_3ELS4_3ELNS0_20block_scan_algorithmE0ELj4294967295EEENS1_25partition_config_selectorILNS1_17partition_subalgoE3EjNS0_10empty_typeEbEEZZNS1_14partition_implILS8_3ELb0ES6_jNS0_17counting_iteratorIjlEEPS9_SE_NS0_5tupleIJPjSE_EEENSF_IJSE_SE_EEES9_SG_JZNS1_25segmented_radix_sort_implINS0_14default_configELb0EPKiPiPKlPlN2at6native12_GLOBAL__N_18offset_tEEE10hipError_tPvRmT1_PNSt15iterator_traitsISY_E10value_typeET2_T3_PNSZ_IS14_E10value_typeET4_jRbjT5_S1A_jjP12ihipStream_tbEUljE_EEESV_SW_SX_S14_S18_S1A_T6_T7_T9_mT8_S1C_bDpT10_ENKUlT_T0_E_clISt17integral_constantIbLb1EES1O_IbLb0EEEEDaS1K_S1L_EUlS1K_E_NS1_11comp_targetILNS1_3genE9ELNS1_11target_archE1100ELNS1_3gpuE3ELNS1_3repE0EEENS1_30default_config_static_selectorELNS0_4arch9wavefront6targetE0EEEvSY_,@function
_ZN7rocprim17ROCPRIM_400000_NS6detail17trampoline_kernelINS0_13select_configILj256ELj13ELNS0_17block_load_methodE3ELS4_3ELS4_3ELNS0_20block_scan_algorithmE0ELj4294967295EEENS1_25partition_config_selectorILNS1_17partition_subalgoE3EjNS0_10empty_typeEbEEZZNS1_14partition_implILS8_3ELb0ES6_jNS0_17counting_iteratorIjlEEPS9_SE_NS0_5tupleIJPjSE_EEENSF_IJSE_SE_EEES9_SG_JZNS1_25segmented_radix_sort_implINS0_14default_configELb0EPKiPiPKlPlN2at6native12_GLOBAL__N_18offset_tEEE10hipError_tPvRmT1_PNSt15iterator_traitsISY_E10value_typeET2_T3_PNSZ_IS14_E10value_typeET4_jRbjT5_S1A_jjP12ihipStream_tbEUljE_EEESV_SW_SX_S14_S18_S1A_T6_T7_T9_mT8_S1C_bDpT10_ENKUlT_T0_E_clISt17integral_constantIbLb1EES1O_IbLb0EEEEDaS1K_S1L_EUlS1K_E_NS1_11comp_targetILNS1_3genE9ELNS1_11target_archE1100ELNS1_3gpuE3ELNS1_3repE0EEENS1_30default_config_static_selectorELNS0_4arch9wavefront6targetE0EEEvSY_: ; @_ZN7rocprim17ROCPRIM_400000_NS6detail17trampoline_kernelINS0_13select_configILj256ELj13ELNS0_17block_load_methodE3ELS4_3ELS4_3ELNS0_20block_scan_algorithmE0ELj4294967295EEENS1_25partition_config_selectorILNS1_17partition_subalgoE3EjNS0_10empty_typeEbEEZZNS1_14partition_implILS8_3ELb0ES6_jNS0_17counting_iteratorIjlEEPS9_SE_NS0_5tupleIJPjSE_EEENSF_IJSE_SE_EEES9_SG_JZNS1_25segmented_radix_sort_implINS0_14default_configELb0EPKiPiPKlPlN2at6native12_GLOBAL__N_18offset_tEEE10hipError_tPvRmT1_PNSt15iterator_traitsISY_E10value_typeET2_T3_PNSZ_IS14_E10value_typeET4_jRbjT5_S1A_jjP12ihipStream_tbEUljE_EEESV_SW_SX_S14_S18_S1A_T6_T7_T9_mT8_S1C_bDpT10_ENKUlT_T0_E_clISt17integral_constantIbLb1EES1O_IbLb0EEEEDaS1K_S1L_EUlS1K_E_NS1_11comp_targetILNS1_3genE9ELNS1_11target_archE1100ELNS1_3gpuE3ELNS1_3repE0EEENS1_30default_config_static_selectorELNS0_4arch9wavefront6targetE0EEEvSY_
; %bb.0:
	.section	.rodata,"a",@progbits
	.p2align	6, 0x0
	.amdhsa_kernel _ZN7rocprim17ROCPRIM_400000_NS6detail17trampoline_kernelINS0_13select_configILj256ELj13ELNS0_17block_load_methodE3ELS4_3ELS4_3ELNS0_20block_scan_algorithmE0ELj4294967295EEENS1_25partition_config_selectorILNS1_17partition_subalgoE3EjNS0_10empty_typeEbEEZZNS1_14partition_implILS8_3ELb0ES6_jNS0_17counting_iteratorIjlEEPS9_SE_NS0_5tupleIJPjSE_EEENSF_IJSE_SE_EEES9_SG_JZNS1_25segmented_radix_sort_implINS0_14default_configELb0EPKiPiPKlPlN2at6native12_GLOBAL__N_18offset_tEEE10hipError_tPvRmT1_PNSt15iterator_traitsISY_E10value_typeET2_T3_PNSZ_IS14_E10value_typeET4_jRbjT5_S1A_jjP12ihipStream_tbEUljE_EEESV_SW_SX_S14_S18_S1A_T6_T7_T9_mT8_S1C_bDpT10_ENKUlT_T0_E_clISt17integral_constantIbLb1EES1O_IbLb0EEEEDaS1K_S1L_EUlS1K_E_NS1_11comp_targetILNS1_3genE9ELNS1_11target_archE1100ELNS1_3gpuE3ELNS1_3repE0EEENS1_30default_config_static_selectorELNS0_4arch9wavefront6targetE0EEEvSY_
		.amdhsa_group_segment_fixed_size 0
		.amdhsa_private_segment_fixed_size 0
		.amdhsa_kernarg_size 144
		.amdhsa_user_sgpr_count 2
		.amdhsa_user_sgpr_dispatch_ptr 0
		.amdhsa_user_sgpr_queue_ptr 0
		.amdhsa_user_sgpr_kernarg_segment_ptr 1
		.amdhsa_user_sgpr_dispatch_id 0
		.amdhsa_user_sgpr_private_segment_size 0
		.amdhsa_wavefront_size32 1
		.amdhsa_uses_dynamic_stack 0
		.amdhsa_enable_private_segment 0
		.amdhsa_system_sgpr_workgroup_id_x 1
		.amdhsa_system_sgpr_workgroup_id_y 0
		.amdhsa_system_sgpr_workgroup_id_z 0
		.amdhsa_system_sgpr_workgroup_info 0
		.amdhsa_system_vgpr_workitem_id 0
		.amdhsa_next_free_vgpr 1
		.amdhsa_next_free_sgpr 1
		.amdhsa_reserve_vcc 0
		.amdhsa_float_round_mode_32 0
		.amdhsa_float_round_mode_16_64 0
		.amdhsa_float_denorm_mode_32 3
		.amdhsa_float_denorm_mode_16_64 3
		.amdhsa_fp16_overflow 0
		.amdhsa_workgroup_processor_mode 1
		.amdhsa_memory_ordered 1
		.amdhsa_forward_progress 1
		.amdhsa_inst_pref_size 0
		.amdhsa_round_robin_scheduling 0
		.amdhsa_exception_fp_ieee_invalid_op 0
		.amdhsa_exception_fp_denorm_src 0
		.amdhsa_exception_fp_ieee_div_zero 0
		.amdhsa_exception_fp_ieee_overflow 0
		.amdhsa_exception_fp_ieee_underflow 0
		.amdhsa_exception_fp_ieee_inexact 0
		.amdhsa_exception_int_div_zero 0
	.end_amdhsa_kernel
	.section	.text._ZN7rocprim17ROCPRIM_400000_NS6detail17trampoline_kernelINS0_13select_configILj256ELj13ELNS0_17block_load_methodE3ELS4_3ELS4_3ELNS0_20block_scan_algorithmE0ELj4294967295EEENS1_25partition_config_selectorILNS1_17partition_subalgoE3EjNS0_10empty_typeEbEEZZNS1_14partition_implILS8_3ELb0ES6_jNS0_17counting_iteratorIjlEEPS9_SE_NS0_5tupleIJPjSE_EEENSF_IJSE_SE_EEES9_SG_JZNS1_25segmented_radix_sort_implINS0_14default_configELb0EPKiPiPKlPlN2at6native12_GLOBAL__N_18offset_tEEE10hipError_tPvRmT1_PNSt15iterator_traitsISY_E10value_typeET2_T3_PNSZ_IS14_E10value_typeET4_jRbjT5_S1A_jjP12ihipStream_tbEUljE_EEESV_SW_SX_S14_S18_S1A_T6_T7_T9_mT8_S1C_bDpT10_ENKUlT_T0_E_clISt17integral_constantIbLb1EES1O_IbLb0EEEEDaS1K_S1L_EUlS1K_E_NS1_11comp_targetILNS1_3genE9ELNS1_11target_archE1100ELNS1_3gpuE3ELNS1_3repE0EEENS1_30default_config_static_selectorELNS0_4arch9wavefront6targetE0EEEvSY_,"axG",@progbits,_ZN7rocprim17ROCPRIM_400000_NS6detail17trampoline_kernelINS0_13select_configILj256ELj13ELNS0_17block_load_methodE3ELS4_3ELS4_3ELNS0_20block_scan_algorithmE0ELj4294967295EEENS1_25partition_config_selectorILNS1_17partition_subalgoE3EjNS0_10empty_typeEbEEZZNS1_14partition_implILS8_3ELb0ES6_jNS0_17counting_iteratorIjlEEPS9_SE_NS0_5tupleIJPjSE_EEENSF_IJSE_SE_EEES9_SG_JZNS1_25segmented_radix_sort_implINS0_14default_configELb0EPKiPiPKlPlN2at6native12_GLOBAL__N_18offset_tEEE10hipError_tPvRmT1_PNSt15iterator_traitsISY_E10value_typeET2_T3_PNSZ_IS14_E10value_typeET4_jRbjT5_S1A_jjP12ihipStream_tbEUljE_EEESV_SW_SX_S14_S18_S1A_T6_T7_T9_mT8_S1C_bDpT10_ENKUlT_T0_E_clISt17integral_constantIbLb1EES1O_IbLb0EEEEDaS1K_S1L_EUlS1K_E_NS1_11comp_targetILNS1_3genE9ELNS1_11target_archE1100ELNS1_3gpuE3ELNS1_3repE0EEENS1_30default_config_static_selectorELNS0_4arch9wavefront6targetE0EEEvSY_,comdat
.Lfunc_end590:
	.size	_ZN7rocprim17ROCPRIM_400000_NS6detail17trampoline_kernelINS0_13select_configILj256ELj13ELNS0_17block_load_methodE3ELS4_3ELS4_3ELNS0_20block_scan_algorithmE0ELj4294967295EEENS1_25partition_config_selectorILNS1_17partition_subalgoE3EjNS0_10empty_typeEbEEZZNS1_14partition_implILS8_3ELb0ES6_jNS0_17counting_iteratorIjlEEPS9_SE_NS0_5tupleIJPjSE_EEENSF_IJSE_SE_EEES9_SG_JZNS1_25segmented_radix_sort_implINS0_14default_configELb0EPKiPiPKlPlN2at6native12_GLOBAL__N_18offset_tEEE10hipError_tPvRmT1_PNSt15iterator_traitsISY_E10value_typeET2_T3_PNSZ_IS14_E10value_typeET4_jRbjT5_S1A_jjP12ihipStream_tbEUljE_EEESV_SW_SX_S14_S18_S1A_T6_T7_T9_mT8_S1C_bDpT10_ENKUlT_T0_E_clISt17integral_constantIbLb1EES1O_IbLb0EEEEDaS1K_S1L_EUlS1K_E_NS1_11comp_targetILNS1_3genE9ELNS1_11target_archE1100ELNS1_3gpuE3ELNS1_3repE0EEENS1_30default_config_static_selectorELNS0_4arch9wavefront6targetE0EEEvSY_, .Lfunc_end590-_ZN7rocprim17ROCPRIM_400000_NS6detail17trampoline_kernelINS0_13select_configILj256ELj13ELNS0_17block_load_methodE3ELS4_3ELS4_3ELNS0_20block_scan_algorithmE0ELj4294967295EEENS1_25partition_config_selectorILNS1_17partition_subalgoE3EjNS0_10empty_typeEbEEZZNS1_14partition_implILS8_3ELb0ES6_jNS0_17counting_iteratorIjlEEPS9_SE_NS0_5tupleIJPjSE_EEENSF_IJSE_SE_EEES9_SG_JZNS1_25segmented_radix_sort_implINS0_14default_configELb0EPKiPiPKlPlN2at6native12_GLOBAL__N_18offset_tEEE10hipError_tPvRmT1_PNSt15iterator_traitsISY_E10value_typeET2_T3_PNSZ_IS14_E10value_typeET4_jRbjT5_S1A_jjP12ihipStream_tbEUljE_EEESV_SW_SX_S14_S18_S1A_T6_T7_T9_mT8_S1C_bDpT10_ENKUlT_T0_E_clISt17integral_constantIbLb1EES1O_IbLb0EEEEDaS1K_S1L_EUlS1K_E_NS1_11comp_targetILNS1_3genE9ELNS1_11target_archE1100ELNS1_3gpuE3ELNS1_3repE0EEENS1_30default_config_static_selectorELNS0_4arch9wavefront6targetE0EEEvSY_
                                        ; -- End function
	.set _ZN7rocprim17ROCPRIM_400000_NS6detail17trampoline_kernelINS0_13select_configILj256ELj13ELNS0_17block_load_methodE3ELS4_3ELS4_3ELNS0_20block_scan_algorithmE0ELj4294967295EEENS1_25partition_config_selectorILNS1_17partition_subalgoE3EjNS0_10empty_typeEbEEZZNS1_14partition_implILS8_3ELb0ES6_jNS0_17counting_iteratorIjlEEPS9_SE_NS0_5tupleIJPjSE_EEENSF_IJSE_SE_EEES9_SG_JZNS1_25segmented_radix_sort_implINS0_14default_configELb0EPKiPiPKlPlN2at6native12_GLOBAL__N_18offset_tEEE10hipError_tPvRmT1_PNSt15iterator_traitsISY_E10value_typeET2_T3_PNSZ_IS14_E10value_typeET4_jRbjT5_S1A_jjP12ihipStream_tbEUljE_EEESV_SW_SX_S14_S18_S1A_T6_T7_T9_mT8_S1C_bDpT10_ENKUlT_T0_E_clISt17integral_constantIbLb1EES1O_IbLb0EEEEDaS1K_S1L_EUlS1K_E_NS1_11comp_targetILNS1_3genE9ELNS1_11target_archE1100ELNS1_3gpuE3ELNS1_3repE0EEENS1_30default_config_static_selectorELNS0_4arch9wavefront6targetE0EEEvSY_.num_vgpr, 0
	.set _ZN7rocprim17ROCPRIM_400000_NS6detail17trampoline_kernelINS0_13select_configILj256ELj13ELNS0_17block_load_methodE3ELS4_3ELS4_3ELNS0_20block_scan_algorithmE0ELj4294967295EEENS1_25partition_config_selectorILNS1_17partition_subalgoE3EjNS0_10empty_typeEbEEZZNS1_14partition_implILS8_3ELb0ES6_jNS0_17counting_iteratorIjlEEPS9_SE_NS0_5tupleIJPjSE_EEENSF_IJSE_SE_EEES9_SG_JZNS1_25segmented_radix_sort_implINS0_14default_configELb0EPKiPiPKlPlN2at6native12_GLOBAL__N_18offset_tEEE10hipError_tPvRmT1_PNSt15iterator_traitsISY_E10value_typeET2_T3_PNSZ_IS14_E10value_typeET4_jRbjT5_S1A_jjP12ihipStream_tbEUljE_EEESV_SW_SX_S14_S18_S1A_T6_T7_T9_mT8_S1C_bDpT10_ENKUlT_T0_E_clISt17integral_constantIbLb1EES1O_IbLb0EEEEDaS1K_S1L_EUlS1K_E_NS1_11comp_targetILNS1_3genE9ELNS1_11target_archE1100ELNS1_3gpuE3ELNS1_3repE0EEENS1_30default_config_static_selectorELNS0_4arch9wavefront6targetE0EEEvSY_.num_agpr, 0
	.set _ZN7rocprim17ROCPRIM_400000_NS6detail17trampoline_kernelINS0_13select_configILj256ELj13ELNS0_17block_load_methodE3ELS4_3ELS4_3ELNS0_20block_scan_algorithmE0ELj4294967295EEENS1_25partition_config_selectorILNS1_17partition_subalgoE3EjNS0_10empty_typeEbEEZZNS1_14partition_implILS8_3ELb0ES6_jNS0_17counting_iteratorIjlEEPS9_SE_NS0_5tupleIJPjSE_EEENSF_IJSE_SE_EEES9_SG_JZNS1_25segmented_radix_sort_implINS0_14default_configELb0EPKiPiPKlPlN2at6native12_GLOBAL__N_18offset_tEEE10hipError_tPvRmT1_PNSt15iterator_traitsISY_E10value_typeET2_T3_PNSZ_IS14_E10value_typeET4_jRbjT5_S1A_jjP12ihipStream_tbEUljE_EEESV_SW_SX_S14_S18_S1A_T6_T7_T9_mT8_S1C_bDpT10_ENKUlT_T0_E_clISt17integral_constantIbLb1EES1O_IbLb0EEEEDaS1K_S1L_EUlS1K_E_NS1_11comp_targetILNS1_3genE9ELNS1_11target_archE1100ELNS1_3gpuE3ELNS1_3repE0EEENS1_30default_config_static_selectorELNS0_4arch9wavefront6targetE0EEEvSY_.numbered_sgpr, 0
	.set _ZN7rocprim17ROCPRIM_400000_NS6detail17trampoline_kernelINS0_13select_configILj256ELj13ELNS0_17block_load_methodE3ELS4_3ELS4_3ELNS0_20block_scan_algorithmE0ELj4294967295EEENS1_25partition_config_selectorILNS1_17partition_subalgoE3EjNS0_10empty_typeEbEEZZNS1_14partition_implILS8_3ELb0ES6_jNS0_17counting_iteratorIjlEEPS9_SE_NS0_5tupleIJPjSE_EEENSF_IJSE_SE_EEES9_SG_JZNS1_25segmented_radix_sort_implINS0_14default_configELb0EPKiPiPKlPlN2at6native12_GLOBAL__N_18offset_tEEE10hipError_tPvRmT1_PNSt15iterator_traitsISY_E10value_typeET2_T3_PNSZ_IS14_E10value_typeET4_jRbjT5_S1A_jjP12ihipStream_tbEUljE_EEESV_SW_SX_S14_S18_S1A_T6_T7_T9_mT8_S1C_bDpT10_ENKUlT_T0_E_clISt17integral_constantIbLb1EES1O_IbLb0EEEEDaS1K_S1L_EUlS1K_E_NS1_11comp_targetILNS1_3genE9ELNS1_11target_archE1100ELNS1_3gpuE3ELNS1_3repE0EEENS1_30default_config_static_selectorELNS0_4arch9wavefront6targetE0EEEvSY_.num_named_barrier, 0
	.set _ZN7rocprim17ROCPRIM_400000_NS6detail17trampoline_kernelINS0_13select_configILj256ELj13ELNS0_17block_load_methodE3ELS4_3ELS4_3ELNS0_20block_scan_algorithmE0ELj4294967295EEENS1_25partition_config_selectorILNS1_17partition_subalgoE3EjNS0_10empty_typeEbEEZZNS1_14partition_implILS8_3ELb0ES6_jNS0_17counting_iteratorIjlEEPS9_SE_NS0_5tupleIJPjSE_EEENSF_IJSE_SE_EEES9_SG_JZNS1_25segmented_radix_sort_implINS0_14default_configELb0EPKiPiPKlPlN2at6native12_GLOBAL__N_18offset_tEEE10hipError_tPvRmT1_PNSt15iterator_traitsISY_E10value_typeET2_T3_PNSZ_IS14_E10value_typeET4_jRbjT5_S1A_jjP12ihipStream_tbEUljE_EEESV_SW_SX_S14_S18_S1A_T6_T7_T9_mT8_S1C_bDpT10_ENKUlT_T0_E_clISt17integral_constantIbLb1EES1O_IbLb0EEEEDaS1K_S1L_EUlS1K_E_NS1_11comp_targetILNS1_3genE9ELNS1_11target_archE1100ELNS1_3gpuE3ELNS1_3repE0EEENS1_30default_config_static_selectorELNS0_4arch9wavefront6targetE0EEEvSY_.private_seg_size, 0
	.set _ZN7rocprim17ROCPRIM_400000_NS6detail17trampoline_kernelINS0_13select_configILj256ELj13ELNS0_17block_load_methodE3ELS4_3ELS4_3ELNS0_20block_scan_algorithmE0ELj4294967295EEENS1_25partition_config_selectorILNS1_17partition_subalgoE3EjNS0_10empty_typeEbEEZZNS1_14partition_implILS8_3ELb0ES6_jNS0_17counting_iteratorIjlEEPS9_SE_NS0_5tupleIJPjSE_EEENSF_IJSE_SE_EEES9_SG_JZNS1_25segmented_radix_sort_implINS0_14default_configELb0EPKiPiPKlPlN2at6native12_GLOBAL__N_18offset_tEEE10hipError_tPvRmT1_PNSt15iterator_traitsISY_E10value_typeET2_T3_PNSZ_IS14_E10value_typeET4_jRbjT5_S1A_jjP12ihipStream_tbEUljE_EEESV_SW_SX_S14_S18_S1A_T6_T7_T9_mT8_S1C_bDpT10_ENKUlT_T0_E_clISt17integral_constantIbLb1EES1O_IbLb0EEEEDaS1K_S1L_EUlS1K_E_NS1_11comp_targetILNS1_3genE9ELNS1_11target_archE1100ELNS1_3gpuE3ELNS1_3repE0EEENS1_30default_config_static_selectorELNS0_4arch9wavefront6targetE0EEEvSY_.uses_vcc, 0
	.set _ZN7rocprim17ROCPRIM_400000_NS6detail17trampoline_kernelINS0_13select_configILj256ELj13ELNS0_17block_load_methodE3ELS4_3ELS4_3ELNS0_20block_scan_algorithmE0ELj4294967295EEENS1_25partition_config_selectorILNS1_17partition_subalgoE3EjNS0_10empty_typeEbEEZZNS1_14partition_implILS8_3ELb0ES6_jNS0_17counting_iteratorIjlEEPS9_SE_NS0_5tupleIJPjSE_EEENSF_IJSE_SE_EEES9_SG_JZNS1_25segmented_radix_sort_implINS0_14default_configELb0EPKiPiPKlPlN2at6native12_GLOBAL__N_18offset_tEEE10hipError_tPvRmT1_PNSt15iterator_traitsISY_E10value_typeET2_T3_PNSZ_IS14_E10value_typeET4_jRbjT5_S1A_jjP12ihipStream_tbEUljE_EEESV_SW_SX_S14_S18_S1A_T6_T7_T9_mT8_S1C_bDpT10_ENKUlT_T0_E_clISt17integral_constantIbLb1EES1O_IbLb0EEEEDaS1K_S1L_EUlS1K_E_NS1_11comp_targetILNS1_3genE9ELNS1_11target_archE1100ELNS1_3gpuE3ELNS1_3repE0EEENS1_30default_config_static_selectorELNS0_4arch9wavefront6targetE0EEEvSY_.uses_flat_scratch, 0
	.set _ZN7rocprim17ROCPRIM_400000_NS6detail17trampoline_kernelINS0_13select_configILj256ELj13ELNS0_17block_load_methodE3ELS4_3ELS4_3ELNS0_20block_scan_algorithmE0ELj4294967295EEENS1_25partition_config_selectorILNS1_17partition_subalgoE3EjNS0_10empty_typeEbEEZZNS1_14partition_implILS8_3ELb0ES6_jNS0_17counting_iteratorIjlEEPS9_SE_NS0_5tupleIJPjSE_EEENSF_IJSE_SE_EEES9_SG_JZNS1_25segmented_radix_sort_implINS0_14default_configELb0EPKiPiPKlPlN2at6native12_GLOBAL__N_18offset_tEEE10hipError_tPvRmT1_PNSt15iterator_traitsISY_E10value_typeET2_T3_PNSZ_IS14_E10value_typeET4_jRbjT5_S1A_jjP12ihipStream_tbEUljE_EEESV_SW_SX_S14_S18_S1A_T6_T7_T9_mT8_S1C_bDpT10_ENKUlT_T0_E_clISt17integral_constantIbLb1EES1O_IbLb0EEEEDaS1K_S1L_EUlS1K_E_NS1_11comp_targetILNS1_3genE9ELNS1_11target_archE1100ELNS1_3gpuE3ELNS1_3repE0EEENS1_30default_config_static_selectorELNS0_4arch9wavefront6targetE0EEEvSY_.has_dyn_sized_stack, 0
	.set _ZN7rocprim17ROCPRIM_400000_NS6detail17trampoline_kernelINS0_13select_configILj256ELj13ELNS0_17block_load_methodE3ELS4_3ELS4_3ELNS0_20block_scan_algorithmE0ELj4294967295EEENS1_25partition_config_selectorILNS1_17partition_subalgoE3EjNS0_10empty_typeEbEEZZNS1_14partition_implILS8_3ELb0ES6_jNS0_17counting_iteratorIjlEEPS9_SE_NS0_5tupleIJPjSE_EEENSF_IJSE_SE_EEES9_SG_JZNS1_25segmented_radix_sort_implINS0_14default_configELb0EPKiPiPKlPlN2at6native12_GLOBAL__N_18offset_tEEE10hipError_tPvRmT1_PNSt15iterator_traitsISY_E10value_typeET2_T3_PNSZ_IS14_E10value_typeET4_jRbjT5_S1A_jjP12ihipStream_tbEUljE_EEESV_SW_SX_S14_S18_S1A_T6_T7_T9_mT8_S1C_bDpT10_ENKUlT_T0_E_clISt17integral_constantIbLb1EES1O_IbLb0EEEEDaS1K_S1L_EUlS1K_E_NS1_11comp_targetILNS1_3genE9ELNS1_11target_archE1100ELNS1_3gpuE3ELNS1_3repE0EEENS1_30default_config_static_selectorELNS0_4arch9wavefront6targetE0EEEvSY_.has_recursion, 0
	.set _ZN7rocprim17ROCPRIM_400000_NS6detail17trampoline_kernelINS0_13select_configILj256ELj13ELNS0_17block_load_methodE3ELS4_3ELS4_3ELNS0_20block_scan_algorithmE0ELj4294967295EEENS1_25partition_config_selectorILNS1_17partition_subalgoE3EjNS0_10empty_typeEbEEZZNS1_14partition_implILS8_3ELb0ES6_jNS0_17counting_iteratorIjlEEPS9_SE_NS0_5tupleIJPjSE_EEENSF_IJSE_SE_EEES9_SG_JZNS1_25segmented_radix_sort_implINS0_14default_configELb0EPKiPiPKlPlN2at6native12_GLOBAL__N_18offset_tEEE10hipError_tPvRmT1_PNSt15iterator_traitsISY_E10value_typeET2_T3_PNSZ_IS14_E10value_typeET4_jRbjT5_S1A_jjP12ihipStream_tbEUljE_EEESV_SW_SX_S14_S18_S1A_T6_T7_T9_mT8_S1C_bDpT10_ENKUlT_T0_E_clISt17integral_constantIbLb1EES1O_IbLb0EEEEDaS1K_S1L_EUlS1K_E_NS1_11comp_targetILNS1_3genE9ELNS1_11target_archE1100ELNS1_3gpuE3ELNS1_3repE0EEENS1_30default_config_static_selectorELNS0_4arch9wavefront6targetE0EEEvSY_.has_indirect_call, 0
	.section	.AMDGPU.csdata,"",@progbits
; Kernel info:
; codeLenInByte = 0
; TotalNumSgprs: 0
; NumVgprs: 0
; ScratchSize: 0
; MemoryBound: 0
; FloatMode: 240
; IeeeMode: 1
; LDSByteSize: 0 bytes/workgroup (compile time only)
; SGPRBlocks: 0
; VGPRBlocks: 0
; NumSGPRsForWavesPerEU: 1
; NumVGPRsForWavesPerEU: 1
; Occupancy: 16
; WaveLimiterHint : 0
; COMPUTE_PGM_RSRC2:SCRATCH_EN: 0
; COMPUTE_PGM_RSRC2:USER_SGPR: 2
; COMPUTE_PGM_RSRC2:TRAP_HANDLER: 0
; COMPUTE_PGM_RSRC2:TGID_X_EN: 1
; COMPUTE_PGM_RSRC2:TGID_Y_EN: 0
; COMPUTE_PGM_RSRC2:TGID_Z_EN: 0
; COMPUTE_PGM_RSRC2:TIDIG_COMP_CNT: 0
	.section	.text._ZN7rocprim17ROCPRIM_400000_NS6detail17trampoline_kernelINS0_13select_configILj256ELj13ELNS0_17block_load_methodE3ELS4_3ELS4_3ELNS0_20block_scan_algorithmE0ELj4294967295EEENS1_25partition_config_selectorILNS1_17partition_subalgoE3EjNS0_10empty_typeEbEEZZNS1_14partition_implILS8_3ELb0ES6_jNS0_17counting_iteratorIjlEEPS9_SE_NS0_5tupleIJPjSE_EEENSF_IJSE_SE_EEES9_SG_JZNS1_25segmented_radix_sort_implINS0_14default_configELb0EPKiPiPKlPlN2at6native12_GLOBAL__N_18offset_tEEE10hipError_tPvRmT1_PNSt15iterator_traitsISY_E10value_typeET2_T3_PNSZ_IS14_E10value_typeET4_jRbjT5_S1A_jjP12ihipStream_tbEUljE_EEESV_SW_SX_S14_S18_S1A_T6_T7_T9_mT8_S1C_bDpT10_ENKUlT_T0_E_clISt17integral_constantIbLb1EES1O_IbLb0EEEEDaS1K_S1L_EUlS1K_E_NS1_11comp_targetILNS1_3genE8ELNS1_11target_archE1030ELNS1_3gpuE2ELNS1_3repE0EEENS1_30default_config_static_selectorELNS0_4arch9wavefront6targetE0EEEvSY_,"axG",@progbits,_ZN7rocprim17ROCPRIM_400000_NS6detail17trampoline_kernelINS0_13select_configILj256ELj13ELNS0_17block_load_methodE3ELS4_3ELS4_3ELNS0_20block_scan_algorithmE0ELj4294967295EEENS1_25partition_config_selectorILNS1_17partition_subalgoE3EjNS0_10empty_typeEbEEZZNS1_14partition_implILS8_3ELb0ES6_jNS0_17counting_iteratorIjlEEPS9_SE_NS0_5tupleIJPjSE_EEENSF_IJSE_SE_EEES9_SG_JZNS1_25segmented_radix_sort_implINS0_14default_configELb0EPKiPiPKlPlN2at6native12_GLOBAL__N_18offset_tEEE10hipError_tPvRmT1_PNSt15iterator_traitsISY_E10value_typeET2_T3_PNSZ_IS14_E10value_typeET4_jRbjT5_S1A_jjP12ihipStream_tbEUljE_EEESV_SW_SX_S14_S18_S1A_T6_T7_T9_mT8_S1C_bDpT10_ENKUlT_T0_E_clISt17integral_constantIbLb1EES1O_IbLb0EEEEDaS1K_S1L_EUlS1K_E_NS1_11comp_targetILNS1_3genE8ELNS1_11target_archE1030ELNS1_3gpuE2ELNS1_3repE0EEENS1_30default_config_static_selectorELNS0_4arch9wavefront6targetE0EEEvSY_,comdat
	.globl	_ZN7rocprim17ROCPRIM_400000_NS6detail17trampoline_kernelINS0_13select_configILj256ELj13ELNS0_17block_load_methodE3ELS4_3ELS4_3ELNS0_20block_scan_algorithmE0ELj4294967295EEENS1_25partition_config_selectorILNS1_17partition_subalgoE3EjNS0_10empty_typeEbEEZZNS1_14partition_implILS8_3ELb0ES6_jNS0_17counting_iteratorIjlEEPS9_SE_NS0_5tupleIJPjSE_EEENSF_IJSE_SE_EEES9_SG_JZNS1_25segmented_radix_sort_implINS0_14default_configELb0EPKiPiPKlPlN2at6native12_GLOBAL__N_18offset_tEEE10hipError_tPvRmT1_PNSt15iterator_traitsISY_E10value_typeET2_T3_PNSZ_IS14_E10value_typeET4_jRbjT5_S1A_jjP12ihipStream_tbEUljE_EEESV_SW_SX_S14_S18_S1A_T6_T7_T9_mT8_S1C_bDpT10_ENKUlT_T0_E_clISt17integral_constantIbLb1EES1O_IbLb0EEEEDaS1K_S1L_EUlS1K_E_NS1_11comp_targetILNS1_3genE8ELNS1_11target_archE1030ELNS1_3gpuE2ELNS1_3repE0EEENS1_30default_config_static_selectorELNS0_4arch9wavefront6targetE0EEEvSY_ ; -- Begin function _ZN7rocprim17ROCPRIM_400000_NS6detail17trampoline_kernelINS0_13select_configILj256ELj13ELNS0_17block_load_methodE3ELS4_3ELS4_3ELNS0_20block_scan_algorithmE0ELj4294967295EEENS1_25partition_config_selectorILNS1_17partition_subalgoE3EjNS0_10empty_typeEbEEZZNS1_14partition_implILS8_3ELb0ES6_jNS0_17counting_iteratorIjlEEPS9_SE_NS0_5tupleIJPjSE_EEENSF_IJSE_SE_EEES9_SG_JZNS1_25segmented_radix_sort_implINS0_14default_configELb0EPKiPiPKlPlN2at6native12_GLOBAL__N_18offset_tEEE10hipError_tPvRmT1_PNSt15iterator_traitsISY_E10value_typeET2_T3_PNSZ_IS14_E10value_typeET4_jRbjT5_S1A_jjP12ihipStream_tbEUljE_EEESV_SW_SX_S14_S18_S1A_T6_T7_T9_mT8_S1C_bDpT10_ENKUlT_T0_E_clISt17integral_constantIbLb1EES1O_IbLb0EEEEDaS1K_S1L_EUlS1K_E_NS1_11comp_targetILNS1_3genE8ELNS1_11target_archE1030ELNS1_3gpuE2ELNS1_3repE0EEENS1_30default_config_static_selectorELNS0_4arch9wavefront6targetE0EEEvSY_
	.p2align	8
	.type	_ZN7rocprim17ROCPRIM_400000_NS6detail17trampoline_kernelINS0_13select_configILj256ELj13ELNS0_17block_load_methodE3ELS4_3ELS4_3ELNS0_20block_scan_algorithmE0ELj4294967295EEENS1_25partition_config_selectorILNS1_17partition_subalgoE3EjNS0_10empty_typeEbEEZZNS1_14partition_implILS8_3ELb0ES6_jNS0_17counting_iteratorIjlEEPS9_SE_NS0_5tupleIJPjSE_EEENSF_IJSE_SE_EEES9_SG_JZNS1_25segmented_radix_sort_implINS0_14default_configELb0EPKiPiPKlPlN2at6native12_GLOBAL__N_18offset_tEEE10hipError_tPvRmT1_PNSt15iterator_traitsISY_E10value_typeET2_T3_PNSZ_IS14_E10value_typeET4_jRbjT5_S1A_jjP12ihipStream_tbEUljE_EEESV_SW_SX_S14_S18_S1A_T6_T7_T9_mT8_S1C_bDpT10_ENKUlT_T0_E_clISt17integral_constantIbLb1EES1O_IbLb0EEEEDaS1K_S1L_EUlS1K_E_NS1_11comp_targetILNS1_3genE8ELNS1_11target_archE1030ELNS1_3gpuE2ELNS1_3repE0EEENS1_30default_config_static_selectorELNS0_4arch9wavefront6targetE0EEEvSY_,@function
_ZN7rocprim17ROCPRIM_400000_NS6detail17trampoline_kernelINS0_13select_configILj256ELj13ELNS0_17block_load_methodE3ELS4_3ELS4_3ELNS0_20block_scan_algorithmE0ELj4294967295EEENS1_25partition_config_selectorILNS1_17partition_subalgoE3EjNS0_10empty_typeEbEEZZNS1_14partition_implILS8_3ELb0ES6_jNS0_17counting_iteratorIjlEEPS9_SE_NS0_5tupleIJPjSE_EEENSF_IJSE_SE_EEES9_SG_JZNS1_25segmented_radix_sort_implINS0_14default_configELb0EPKiPiPKlPlN2at6native12_GLOBAL__N_18offset_tEEE10hipError_tPvRmT1_PNSt15iterator_traitsISY_E10value_typeET2_T3_PNSZ_IS14_E10value_typeET4_jRbjT5_S1A_jjP12ihipStream_tbEUljE_EEESV_SW_SX_S14_S18_S1A_T6_T7_T9_mT8_S1C_bDpT10_ENKUlT_T0_E_clISt17integral_constantIbLb1EES1O_IbLb0EEEEDaS1K_S1L_EUlS1K_E_NS1_11comp_targetILNS1_3genE8ELNS1_11target_archE1030ELNS1_3gpuE2ELNS1_3repE0EEENS1_30default_config_static_selectorELNS0_4arch9wavefront6targetE0EEEvSY_: ; @_ZN7rocprim17ROCPRIM_400000_NS6detail17trampoline_kernelINS0_13select_configILj256ELj13ELNS0_17block_load_methodE3ELS4_3ELS4_3ELNS0_20block_scan_algorithmE0ELj4294967295EEENS1_25partition_config_selectorILNS1_17partition_subalgoE3EjNS0_10empty_typeEbEEZZNS1_14partition_implILS8_3ELb0ES6_jNS0_17counting_iteratorIjlEEPS9_SE_NS0_5tupleIJPjSE_EEENSF_IJSE_SE_EEES9_SG_JZNS1_25segmented_radix_sort_implINS0_14default_configELb0EPKiPiPKlPlN2at6native12_GLOBAL__N_18offset_tEEE10hipError_tPvRmT1_PNSt15iterator_traitsISY_E10value_typeET2_T3_PNSZ_IS14_E10value_typeET4_jRbjT5_S1A_jjP12ihipStream_tbEUljE_EEESV_SW_SX_S14_S18_S1A_T6_T7_T9_mT8_S1C_bDpT10_ENKUlT_T0_E_clISt17integral_constantIbLb1EES1O_IbLb0EEEEDaS1K_S1L_EUlS1K_E_NS1_11comp_targetILNS1_3genE8ELNS1_11target_archE1030ELNS1_3gpuE2ELNS1_3repE0EEENS1_30default_config_static_selectorELNS0_4arch9wavefront6targetE0EEEvSY_
; %bb.0:
	.section	.rodata,"a",@progbits
	.p2align	6, 0x0
	.amdhsa_kernel _ZN7rocprim17ROCPRIM_400000_NS6detail17trampoline_kernelINS0_13select_configILj256ELj13ELNS0_17block_load_methodE3ELS4_3ELS4_3ELNS0_20block_scan_algorithmE0ELj4294967295EEENS1_25partition_config_selectorILNS1_17partition_subalgoE3EjNS0_10empty_typeEbEEZZNS1_14partition_implILS8_3ELb0ES6_jNS0_17counting_iteratorIjlEEPS9_SE_NS0_5tupleIJPjSE_EEENSF_IJSE_SE_EEES9_SG_JZNS1_25segmented_radix_sort_implINS0_14default_configELb0EPKiPiPKlPlN2at6native12_GLOBAL__N_18offset_tEEE10hipError_tPvRmT1_PNSt15iterator_traitsISY_E10value_typeET2_T3_PNSZ_IS14_E10value_typeET4_jRbjT5_S1A_jjP12ihipStream_tbEUljE_EEESV_SW_SX_S14_S18_S1A_T6_T7_T9_mT8_S1C_bDpT10_ENKUlT_T0_E_clISt17integral_constantIbLb1EES1O_IbLb0EEEEDaS1K_S1L_EUlS1K_E_NS1_11comp_targetILNS1_3genE8ELNS1_11target_archE1030ELNS1_3gpuE2ELNS1_3repE0EEENS1_30default_config_static_selectorELNS0_4arch9wavefront6targetE0EEEvSY_
		.amdhsa_group_segment_fixed_size 0
		.amdhsa_private_segment_fixed_size 0
		.amdhsa_kernarg_size 144
		.amdhsa_user_sgpr_count 2
		.amdhsa_user_sgpr_dispatch_ptr 0
		.amdhsa_user_sgpr_queue_ptr 0
		.amdhsa_user_sgpr_kernarg_segment_ptr 1
		.amdhsa_user_sgpr_dispatch_id 0
		.amdhsa_user_sgpr_private_segment_size 0
		.amdhsa_wavefront_size32 1
		.amdhsa_uses_dynamic_stack 0
		.amdhsa_enable_private_segment 0
		.amdhsa_system_sgpr_workgroup_id_x 1
		.amdhsa_system_sgpr_workgroup_id_y 0
		.amdhsa_system_sgpr_workgroup_id_z 0
		.amdhsa_system_sgpr_workgroup_info 0
		.amdhsa_system_vgpr_workitem_id 0
		.amdhsa_next_free_vgpr 1
		.amdhsa_next_free_sgpr 1
		.amdhsa_reserve_vcc 0
		.amdhsa_float_round_mode_32 0
		.amdhsa_float_round_mode_16_64 0
		.amdhsa_float_denorm_mode_32 3
		.amdhsa_float_denorm_mode_16_64 3
		.amdhsa_fp16_overflow 0
		.amdhsa_workgroup_processor_mode 1
		.amdhsa_memory_ordered 1
		.amdhsa_forward_progress 1
		.amdhsa_inst_pref_size 0
		.amdhsa_round_robin_scheduling 0
		.amdhsa_exception_fp_ieee_invalid_op 0
		.amdhsa_exception_fp_denorm_src 0
		.amdhsa_exception_fp_ieee_div_zero 0
		.amdhsa_exception_fp_ieee_overflow 0
		.amdhsa_exception_fp_ieee_underflow 0
		.amdhsa_exception_fp_ieee_inexact 0
		.amdhsa_exception_int_div_zero 0
	.end_amdhsa_kernel
	.section	.text._ZN7rocprim17ROCPRIM_400000_NS6detail17trampoline_kernelINS0_13select_configILj256ELj13ELNS0_17block_load_methodE3ELS4_3ELS4_3ELNS0_20block_scan_algorithmE0ELj4294967295EEENS1_25partition_config_selectorILNS1_17partition_subalgoE3EjNS0_10empty_typeEbEEZZNS1_14partition_implILS8_3ELb0ES6_jNS0_17counting_iteratorIjlEEPS9_SE_NS0_5tupleIJPjSE_EEENSF_IJSE_SE_EEES9_SG_JZNS1_25segmented_radix_sort_implINS0_14default_configELb0EPKiPiPKlPlN2at6native12_GLOBAL__N_18offset_tEEE10hipError_tPvRmT1_PNSt15iterator_traitsISY_E10value_typeET2_T3_PNSZ_IS14_E10value_typeET4_jRbjT5_S1A_jjP12ihipStream_tbEUljE_EEESV_SW_SX_S14_S18_S1A_T6_T7_T9_mT8_S1C_bDpT10_ENKUlT_T0_E_clISt17integral_constantIbLb1EES1O_IbLb0EEEEDaS1K_S1L_EUlS1K_E_NS1_11comp_targetILNS1_3genE8ELNS1_11target_archE1030ELNS1_3gpuE2ELNS1_3repE0EEENS1_30default_config_static_selectorELNS0_4arch9wavefront6targetE0EEEvSY_,"axG",@progbits,_ZN7rocprim17ROCPRIM_400000_NS6detail17trampoline_kernelINS0_13select_configILj256ELj13ELNS0_17block_load_methodE3ELS4_3ELS4_3ELNS0_20block_scan_algorithmE0ELj4294967295EEENS1_25partition_config_selectorILNS1_17partition_subalgoE3EjNS0_10empty_typeEbEEZZNS1_14partition_implILS8_3ELb0ES6_jNS0_17counting_iteratorIjlEEPS9_SE_NS0_5tupleIJPjSE_EEENSF_IJSE_SE_EEES9_SG_JZNS1_25segmented_radix_sort_implINS0_14default_configELb0EPKiPiPKlPlN2at6native12_GLOBAL__N_18offset_tEEE10hipError_tPvRmT1_PNSt15iterator_traitsISY_E10value_typeET2_T3_PNSZ_IS14_E10value_typeET4_jRbjT5_S1A_jjP12ihipStream_tbEUljE_EEESV_SW_SX_S14_S18_S1A_T6_T7_T9_mT8_S1C_bDpT10_ENKUlT_T0_E_clISt17integral_constantIbLb1EES1O_IbLb0EEEEDaS1K_S1L_EUlS1K_E_NS1_11comp_targetILNS1_3genE8ELNS1_11target_archE1030ELNS1_3gpuE2ELNS1_3repE0EEENS1_30default_config_static_selectorELNS0_4arch9wavefront6targetE0EEEvSY_,comdat
.Lfunc_end591:
	.size	_ZN7rocprim17ROCPRIM_400000_NS6detail17trampoline_kernelINS0_13select_configILj256ELj13ELNS0_17block_load_methodE3ELS4_3ELS4_3ELNS0_20block_scan_algorithmE0ELj4294967295EEENS1_25partition_config_selectorILNS1_17partition_subalgoE3EjNS0_10empty_typeEbEEZZNS1_14partition_implILS8_3ELb0ES6_jNS0_17counting_iteratorIjlEEPS9_SE_NS0_5tupleIJPjSE_EEENSF_IJSE_SE_EEES9_SG_JZNS1_25segmented_radix_sort_implINS0_14default_configELb0EPKiPiPKlPlN2at6native12_GLOBAL__N_18offset_tEEE10hipError_tPvRmT1_PNSt15iterator_traitsISY_E10value_typeET2_T3_PNSZ_IS14_E10value_typeET4_jRbjT5_S1A_jjP12ihipStream_tbEUljE_EEESV_SW_SX_S14_S18_S1A_T6_T7_T9_mT8_S1C_bDpT10_ENKUlT_T0_E_clISt17integral_constantIbLb1EES1O_IbLb0EEEEDaS1K_S1L_EUlS1K_E_NS1_11comp_targetILNS1_3genE8ELNS1_11target_archE1030ELNS1_3gpuE2ELNS1_3repE0EEENS1_30default_config_static_selectorELNS0_4arch9wavefront6targetE0EEEvSY_, .Lfunc_end591-_ZN7rocprim17ROCPRIM_400000_NS6detail17trampoline_kernelINS0_13select_configILj256ELj13ELNS0_17block_load_methodE3ELS4_3ELS4_3ELNS0_20block_scan_algorithmE0ELj4294967295EEENS1_25partition_config_selectorILNS1_17partition_subalgoE3EjNS0_10empty_typeEbEEZZNS1_14partition_implILS8_3ELb0ES6_jNS0_17counting_iteratorIjlEEPS9_SE_NS0_5tupleIJPjSE_EEENSF_IJSE_SE_EEES9_SG_JZNS1_25segmented_radix_sort_implINS0_14default_configELb0EPKiPiPKlPlN2at6native12_GLOBAL__N_18offset_tEEE10hipError_tPvRmT1_PNSt15iterator_traitsISY_E10value_typeET2_T3_PNSZ_IS14_E10value_typeET4_jRbjT5_S1A_jjP12ihipStream_tbEUljE_EEESV_SW_SX_S14_S18_S1A_T6_T7_T9_mT8_S1C_bDpT10_ENKUlT_T0_E_clISt17integral_constantIbLb1EES1O_IbLb0EEEEDaS1K_S1L_EUlS1K_E_NS1_11comp_targetILNS1_3genE8ELNS1_11target_archE1030ELNS1_3gpuE2ELNS1_3repE0EEENS1_30default_config_static_selectorELNS0_4arch9wavefront6targetE0EEEvSY_
                                        ; -- End function
	.set _ZN7rocprim17ROCPRIM_400000_NS6detail17trampoline_kernelINS0_13select_configILj256ELj13ELNS0_17block_load_methodE3ELS4_3ELS4_3ELNS0_20block_scan_algorithmE0ELj4294967295EEENS1_25partition_config_selectorILNS1_17partition_subalgoE3EjNS0_10empty_typeEbEEZZNS1_14partition_implILS8_3ELb0ES6_jNS0_17counting_iteratorIjlEEPS9_SE_NS0_5tupleIJPjSE_EEENSF_IJSE_SE_EEES9_SG_JZNS1_25segmented_radix_sort_implINS0_14default_configELb0EPKiPiPKlPlN2at6native12_GLOBAL__N_18offset_tEEE10hipError_tPvRmT1_PNSt15iterator_traitsISY_E10value_typeET2_T3_PNSZ_IS14_E10value_typeET4_jRbjT5_S1A_jjP12ihipStream_tbEUljE_EEESV_SW_SX_S14_S18_S1A_T6_T7_T9_mT8_S1C_bDpT10_ENKUlT_T0_E_clISt17integral_constantIbLb1EES1O_IbLb0EEEEDaS1K_S1L_EUlS1K_E_NS1_11comp_targetILNS1_3genE8ELNS1_11target_archE1030ELNS1_3gpuE2ELNS1_3repE0EEENS1_30default_config_static_selectorELNS0_4arch9wavefront6targetE0EEEvSY_.num_vgpr, 0
	.set _ZN7rocprim17ROCPRIM_400000_NS6detail17trampoline_kernelINS0_13select_configILj256ELj13ELNS0_17block_load_methodE3ELS4_3ELS4_3ELNS0_20block_scan_algorithmE0ELj4294967295EEENS1_25partition_config_selectorILNS1_17partition_subalgoE3EjNS0_10empty_typeEbEEZZNS1_14partition_implILS8_3ELb0ES6_jNS0_17counting_iteratorIjlEEPS9_SE_NS0_5tupleIJPjSE_EEENSF_IJSE_SE_EEES9_SG_JZNS1_25segmented_radix_sort_implINS0_14default_configELb0EPKiPiPKlPlN2at6native12_GLOBAL__N_18offset_tEEE10hipError_tPvRmT1_PNSt15iterator_traitsISY_E10value_typeET2_T3_PNSZ_IS14_E10value_typeET4_jRbjT5_S1A_jjP12ihipStream_tbEUljE_EEESV_SW_SX_S14_S18_S1A_T6_T7_T9_mT8_S1C_bDpT10_ENKUlT_T0_E_clISt17integral_constantIbLb1EES1O_IbLb0EEEEDaS1K_S1L_EUlS1K_E_NS1_11comp_targetILNS1_3genE8ELNS1_11target_archE1030ELNS1_3gpuE2ELNS1_3repE0EEENS1_30default_config_static_selectorELNS0_4arch9wavefront6targetE0EEEvSY_.num_agpr, 0
	.set _ZN7rocprim17ROCPRIM_400000_NS6detail17trampoline_kernelINS0_13select_configILj256ELj13ELNS0_17block_load_methodE3ELS4_3ELS4_3ELNS0_20block_scan_algorithmE0ELj4294967295EEENS1_25partition_config_selectorILNS1_17partition_subalgoE3EjNS0_10empty_typeEbEEZZNS1_14partition_implILS8_3ELb0ES6_jNS0_17counting_iteratorIjlEEPS9_SE_NS0_5tupleIJPjSE_EEENSF_IJSE_SE_EEES9_SG_JZNS1_25segmented_radix_sort_implINS0_14default_configELb0EPKiPiPKlPlN2at6native12_GLOBAL__N_18offset_tEEE10hipError_tPvRmT1_PNSt15iterator_traitsISY_E10value_typeET2_T3_PNSZ_IS14_E10value_typeET4_jRbjT5_S1A_jjP12ihipStream_tbEUljE_EEESV_SW_SX_S14_S18_S1A_T6_T7_T9_mT8_S1C_bDpT10_ENKUlT_T0_E_clISt17integral_constantIbLb1EES1O_IbLb0EEEEDaS1K_S1L_EUlS1K_E_NS1_11comp_targetILNS1_3genE8ELNS1_11target_archE1030ELNS1_3gpuE2ELNS1_3repE0EEENS1_30default_config_static_selectorELNS0_4arch9wavefront6targetE0EEEvSY_.numbered_sgpr, 0
	.set _ZN7rocprim17ROCPRIM_400000_NS6detail17trampoline_kernelINS0_13select_configILj256ELj13ELNS0_17block_load_methodE3ELS4_3ELS4_3ELNS0_20block_scan_algorithmE0ELj4294967295EEENS1_25partition_config_selectorILNS1_17partition_subalgoE3EjNS0_10empty_typeEbEEZZNS1_14partition_implILS8_3ELb0ES6_jNS0_17counting_iteratorIjlEEPS9_SE_NS0_5tupleIJPjSE_EEENSF_IJSE_SE_EEES9_SG_JZNS1_25segmented_radix_sort_implINS0_14default_configELb0EPKiPiPKlPlN2at6native12_GLOBAL__N_18offset_tEEE10hipError_tPvRmT1_PNSt15iterator_traitsISY_E10value_typeET2_T3_PNSZ_IS14_E10value_typeET4_jRbjT5_S1A_jjP12ihipStream_tbEUljE_EEESV_SW_SX_S14_S18_S1A_T6_T7_T9_mT8_S1C_bDpT10_ENKUlT_T0_E_clISt17integral_constantIbLb1EES1O_IbLb0EEEEDaS1K_S1L_EUlS1K_E_NS1_11comp_targetILNS1_3genE8ELNS1_11target_archE1030ELNS1_3gpuE2ELNS1_3repE0EEENS1_30default_config_static_selectorELNS0_4arch9wavefront6targetE0EEEvSY_.num_named_barrier, 0
	.set _ZN7rocprim17ROCPRIM_400000_NS6detail17trampoline_kernelINS0_13select_configILj256ELj13ELNS0_17block_load_methodE3ELS4_3ELS4_3ELNS0_20block_scan_algorithmE0ELj4294967295EEENS1_25partition_config_selectorILNS1_17partition_subalgoE3EjNS0_10empty_typeEbEEZZNS1_14partition_implILS8_3ELb0ES6_jNS0_17counting_iteratorIjlEEPS9_SE_NS0_5tupleIJPjSE_EEENSF_IJSE_SE_EEES9_SG_JZNS1_25segmented_radix_sort_implINS0_14default_configELb0EPKiPiPKlPlN2at6native12_GLOBAL__N_18offset_tEEE10hipError_tPvRmT1_PNSt15iterator_traitsISY_E10value_typeET2_T3_PNSZ_IS14_E10value_typeET4_jRbjT5_S1A_jjP12ihipStream_tbEUljE_EEESV_SW_SX_S14_S18_S1A_T6_T7_T9_mT8_S1C_bDpT10_ENKUlT_T0_E_clISt17integral_constantIbLb1EES1O_IbLb0EEEEDaS1K_S1L_EUlS1K_E_NS1_11comp_targetILNS1_3genE8ELNS1_11target_archE1030ELNS1_3gpuE2ELNS1_3repE0EEENS1_30default_config_static_selectorELNS0_4arch9wavefront6targetE0EEEvSY_.private_seg_size, 0
	.set _ZN7rocprim17ROCPRIM_400000_NS6detail17trampoline_kernelINS0_13select_configILj256ELj13ELNS0_17block_load_methodE3ELS4_3ELS4_3ELNS0_20block_scan_algorithmE0ELj4294967295EEENS1_25partition_config_selectorILNS1_17partition_subalgoE3EjNS0_10empty_typeEbEEZZNS1_14partition_implILS8_3ELb0ES6_jNS0_17counting_iteratorIjlEEPS9_SE_NS0_5tupleIJPjSE_EEENSF_IJSE_SE_EEES9_SG_JZNS1_25segmented_radix_sort_implINS0_14default_configELb0EPKiPiPKlPlN2at6native12_GLOBAL__N_18offset_tEEE10hipError_tPvRmT1_PNSt15iterator_traitsISY_E10value_typeET2_T3_PNSZ_IS14_E10value_typeET4_jRbjT5_S1A_jjP12ihipStream_tbEUljE_EEESV_SW_SX_S14_S18_S1A_T6_T7_T9_mT8_S1C_bDpT10_ENKUlT_T0_E_clISt17integral_constantIbLb1EES1O_IbLb0EEEEDaS1K_S1L_EUlS1K_E_NS1_11comp_targetILNS1_3genE8ELNS1_11target_archE1030ELNS1_3gpuE2ELNS1_3repE0EEENS1_30default_config_static_selectorELNS0_4arch9wavefront6targetE0EEEvSY_.uses_vcc, 0
	.set _ZN7rocprim17ROCPRIM_400000_NS6detail17trampoline_kernelINS0_13select_configILj256ELj13ELNS0_17block_load_methodE3ELS4_3ELS4_3ELNS0_20block_scan_algorithmE0ELj4294967295EEENS1_25partition_config_selectorILNS1_17partition_subalgoE3EjNS0_10empty_typeEbEEZZNS1_14partition_implILS8_3ELb0ES6_jNS0_17counting_iteratorIjlEEPS9_SE_NS0_5tupleIJPjSE_EEENSF_IJSE_SE_EEES9_SG_JZNS1_25segmented_radix_sort_implINS0_14default_configELb0EPKiPiPKlPlN2at6native12_GLOBAL__N_18offset_tEEE10hipError_tPvRmT1_PNSt15iterator_traitsISY_E10value_typeET2_T3_PNSZ_IS14_E10value_typeET4_jRbjT5_S1A_jjP12ihipStream_tbEUljE_EEESV_SW_SX_S14_S18_S1A_T6_T7_T9_mT8_S1C_bDpT10_ENKUlT_T0_E_clISt17integral_constantIbLb1EES1O_IbLb0EEEEDaS1K_S1L_EUlS1K_E_NS1_11comp_targetILNS1_3genE8ELNS1_11target_archE1030ELNS1_3gpuE2ELNS1_3repE0EEENS1_30default_config_static_selectorELNS0_4arch9wavefront6targetE0EEEvSY_.uses_flat_scratch, 0
	.set _ZN7rocprim17ROCPRIM_400000_NS6detail17trampoline_kernelINS0_13select_configILj256ELj13ELNS0_17block_load_methodE3ELS4_3ELS4_3ELNS0_20block_scan_algorithmE0ELj4294967295EEENS1_25partition_config_selectorILNS1_17partition_subalgoE3EjNS0_10empty_typeEbEEZZNS1_14partition_implILS8_3ELb0ES6_jNS0_17counting_iteratorIjlEEPS9_SE_NS0_5tupleIJPjSE_EEENSF_IJSE_SE_EEES9_SG_JZNS1_25segmented_radix_sort_implINS0_14default_configELb0EPKiPiPKlPlN2at6native12_GLOBAL__N_18offset_tEEE10hipError_tPvRmT1_PNSt15iterator_traitsISY_E10value_typeET2_T3_PNSZ_IS14_E10value_typeET4_jRbjT5_S1A_jjP12ihipStream_tbEUljE_EEESV_SW_SX_S14_S18_S1A_T6_T7_T9_mT8_S1C_bDpT10_ENKUlT_T0_E_clISt17integral_constantIbLb1EES1O_IbLb0EEEEDaS1K_S1L_EUlS1K_E_NS1_11comp_targetILNS1_3genE8ELNS1_11target_archE1030ELNS1_3gpuE2ELNS1_3repE0EEENS1_30default_config_static_selectorELNS0_4arch9wavefront6targetE0EEEvSY_.has_dyn_sized_stack, 0
	.set _ZN7rocprim17ROCPRIM_400000_NS6detail17trampoline_kernelINS0_13select_configILj256ELj13ELNS0_17block_load_methodE3ELS4_3ELS4_3ELNS0_20block_scan_algorithmE0ELj4294967295EEENS1_25partition_config_selectorILNS1_17partition_subalgoE3EjNS0_10empty_typeEbEEZZNS1_14partition_implILS8_3ELb0ES6_jNS0_17counting_iteratorIjlEEPS9_SE_NS0_5tupleIJPjSE_EEENSF_IJSE_SE_EEES9_SG_JZNS1_25segmented_radix_sort_implINS0_14default_configELb0EPKiPiPKlPlN2at6native12_GLOBAL__N_18offset_tEEE10hipError_tPvRmT1_PNSt15iterator_traitsISY_E10value_typeET2_T3_PNSZ_IS14_E10value_typeET4_jRbjT5_S1A_jjP12ihipStream_tbEUljE_EEESV_SW_SX_S14_S18_S1A_T6_T7_T9_mT8_S1C_bDpT10_ENKUlT_T0_E_clISt17integral_constantIbLb1EES1O_IbLb0EEEEDaS1K_S1L_EUlS1K_E_NS1_11comp_targetILNS1_3genE8ELNS1_11target_archE1030ELNS1_3gpuE2ELNS1_3repE0EEENS1_30default_config_static_selectorELNS0_4arch9wavefront6targetE0EEEvSY_.has_recursion, 0
	.set _ZN7rocprim17ROCPRIM_400000_NS6detail17trampoline_kernelINS0_13select_configILj256ELj13ELNS0_17block_load_methodE3ELS4_3ELS4_3ELNS0_20block_scan_algorithmE0ELj4294967295EEENS1_25partition_config_selectorILNS1_17partition_subalgoE3EjNS0_10empty_typeEbEEZZNS1_14partition_implILS8_3ELb0ES6_jNS0_17counting_iteratorIjlEEPS9_SE_NS0_5tupleIJPjSE_EEENSF_IJSE_SE_EEES9_SG_JZNS1_25segmented_radix_sort_implINS0_14default_configELb0EPKiPiPKlPlN2at6native12_GLOBAL__N_18offset_tEEE10hipError_tPvRmT1_PNSt15iterator_traitsISY_E10value_typeET2_T3_PNSZ_IS14_E10value_typeET4_jRbjT5_S1A_jjP12ihipStream_tbEUljE_EEESV_SW_SX_S14_S18_S1A_T6_T7_T9_mT8_S1C_bDpT10_ENKUlT_T0_E_clISt17integral_constantIbLb1EES1O_IbLb0EEEEDaS1K_S1L_EUlS1K_E_NS1_11comp_targetILNS1_3genE8ELNS1_11target_archE1030ELNS1_3gpuE2ELNS1_3repE0EEENS1_30default_config_static_selectorELNS0_4arch9wavefront6targetE0EEEvSY_.has_indirect_call, 0
	.section	.AMDGPU.csdata,"",@progbits
; Kernel info:
; codeLenInByte = 0
; TotalNumSgprs: 0
; NumVgprs: 0
; ScratchSize: 0
; MemoryBound: 0
; FloatMode: 240
; IeeeMode: 1
; LDSByteSize: 0 bytes/workgroup (compile time only)
; SGPRBlocks: 0
; VGPRBlocks: 0
; NumSGPRsForWavesPerEU: 1
; NumVGPRsForWavesPerEU: 1
; Occupancy: 16
; WaveLimiterHint : 0
; COMPUTE_PGM_RSRC2:SCRATCH_EN: 0
; COMPUTE_PGM_RSRC2:USER_SGPR: 2
; COMPUTE_PGM_RSRC2:TRAP_HANDLER: 0
; COMPUTE_PGM_RSRC2:TGID_X_EN: 1
; COMPUTE_PGM_RSRC2:TGID_Y_EN: 0
; COMPUTE_PGM_RSRC2:TGID_Z_EN: 0
; COMPUTE_PGM_RSRC2:TIDIG_COMP_CNT: 0
	.section	.text._ZN7rocprim17ROCPRIM_400000_NS6detail17trampoline_kernelINS0_13select_configILj256ELj13ELNS0_17block_load_methodE3ELS4_3ELS4_3ELNS0_20block_scan_algorithmE0ELj4294967295EEENS1_25partition_config_selectorILNS1_17partition_subalgoE3EjNS0_10empty_typeEbEEZZNS1_14partition_implILS8_3ELb0ES6_jNS0_17counting_iteratorIjlEEPS9_SE_NS0_5tupleIJPjSE_EEENSF_IJSE_SE_EEES9_SG_JZNS1_25segmented_radix_sort_implINS0_14default_configELb0EPKiPiPKlPlN2at6native12_GLOBAL__N_18offset_tEEE10hipError_tPvRmT1_PNSt15iterator_traitsISY_E10value_typeET2_T3_PNSZ_IS14_E10value_typeET4_jRbjT5_S1A_jjP12ihipStream_tbEUljE_EEESV_SW_SX_S14_S18_S1A_T6_T7_T9_mT8_S1C_bDpT10_ENKUlT_T0_E_clISt17integral_constantIbLb0EES1O_IbLb1EEEEDaS1K_S1L_EUlS1K_E_NS1_11comp_targetILNS1_3genE0ELNS1_11target_archE4294967295ELNS1_3gpuE0ELNS1_3repE0EEENS1_30default_config_static_selectorELNS0_4arch9wavefront6targetE0EEEvSY_,"axG",@progbits,_ZN7rocprim17ROCPRIM_400000_NS6detail17trampoline_kernelINS0_13select_configILj256ELj13ELNS0_17block_load_methodE3ELS4_3ELS4_3ELNS0_20block_scan_algorithmE0ELj4294967295EEENS1_25partition_config_selectorILNS1_17partition_subalgoE3EjNS0_10empty_typeEbEEZZNS1_14partition_implILS8_3ELb0ES6_jNS0_17counting_iteratorIjlEEPS9_SE_NS0_5tupleIJPjSE_EEENSF_IJSE_SE_EEES9_SG_JZNS1_25segmented_radix_sort_implINS0_14default_configELb0EPKiPiPKlPlN2at6native12_GLOBAL__N_18offset_tEEE10hipError_tPvRmT1_PNSt15iterator_traitsISY_E10value_typeET2_T3_PNSZ_IS14_E10value_typeET4_jRbjT5_S1A_jjP12ihipStream_tbEUljE_EEESV_SW_SX_S14_S18_S1A_T6_T7_T9_mT8_S1C_bDpT10_ENKUlT_T0_E_clISt17integral_constantIbLb0EES1O_IbLb1EEEEDaS1K_S1L_EUlS1K_E_NS1_11comp_targetILNS1_3genE0ELNS1_11target_archE4294967295ELNS1_3gpuE0ELNS1_3repE0EEENS1_30default_config_static_selectorELNS0_4arch9wavefront6targetE0EEEvSY_,comdat
	.globl	_ZN7rocprim17ROCPRIM_400000_NS6detail17trampoline_kernelINS0_13select_configILj256ELj13ELNS0_17block_load_methodE3ELS4_3ELS4_3ELNS0_20block_scan_algorithmE0ELj4294967295EEENS1_25partition_config_selectorILNS1_17partition_subalgoE3EjNS0_10empty_typeEbEEZZNS1_14partition_implILS8_3ELb0ES6_jNS0_17counting_iteratorIjlEEPS9_SE_NS0_5tupleIJPjSE_EEENSF_IJSE_SE_EEES9_SG_JZNS1_25segmented_radix_sort_implINS0_14default_configELb0EPKiPiPKlPlN2at6native12_GLOBAL__N_18offset_tEEE10hipError_tPvRmT1_PNSt15iterator_traitsISY_E10value_typeET2_T3_PNSZ_IS14_E10value_typeET4_jRbjT5_S1A_jjP12ihipStream_tbEUljE_EEESV_SW_SX_S14_S18_S1A_T6_T7_T9_mT8_S1C_bDpT10_ENKUlT_T0_E_clISt17integral_constantIbLb0EES1O_IbLb1EEEEDaS1K_S1L_EUlS1K_E_NS1_11comp_targetILNS1_3genE0ELNS1_11target_archE4294967295ELNS1_3gpuE0ELNS1_3repE0EEENS1_30default_config_static_selectorELNS0_4arch9wavefront6targetE0EEEvSY_ ; -- Begin function _ZN7rocprim17ROCPRIM_400000_NS6detail17trampoline_kernelINS0_13select_configILj256ELj13ELNS0_17block_load_methodE3ELS4_3ELS4_3ELNS0_20block_scan_algorithmE0ELj4294967295EEENS1_25partition_config_selectorILNS1_17partition_subalgoE3EjNS0_10empty_typeEbEEZZNS1_14partition_implILS8_3ELb0ES6_jNS0_17counting_iteratorIjlEEPS9_SE_NS0_5tupleIJPjSE_EEENSF_IJSE_SE_EEES9_SG_JZNS1_25segmented_radix_sort_implINS0_14default_configELb0EPKiPiPKlPlN2at6native12_GLOBAL__N_18offset_tEEE10hipError_tPvRmT1_PNSt15iterator_traitsISY_E10value_typeET2_T3_PNSZ_IS14_E10value_typeET4_jRbjT5_S1A_jjP12ihipStream_tbEUljE_EEESV_SW_SX_S14_S18_S1A_T6_T7_T9_mT8_S1C_bDpT10_ENKUlT_T0_E_clISt17integral_constantIbLb0EES1O_IbLb1EEEEDaS1K_S1L_EUlS1K_E_NS1_11comp_targetILNS1_3genE0ELNS1_11target_archE4294967295ELNS1_3gpuE0ELNS1_3repE0EEENS1_30default_config_static_selectorELNS0_4arch9wavefront6targetE0EEEvSY_
	.p2align	8
	.type	_ZN7rocprim17ROCPRIM_400000_NS6detail17trampoline_kernelINS0_13select_configILj256ELj13ELNS0_17block_load_methodE3ELS4_3ELS4_3ELNS0_20block_scan_algorithmE0ELj4294967295EEENS1_25partition_config_selectorILNS1_17partition_subalgoE3EjNS0_10empty_typeEbEEZZNS1_14partition_implILS8_3ELb0ES6_jNS0_17counting_iteratorIjlEEPS9_SE_NS0_5tupleIJPjSE_EEENSF_IJSE_SE_EEES9_SG_JZNS1_25segmented_radix_sort_implINS0_14default_configELb0EPKiPiPKlPlN2at6native12_GLOBAL__N_18offset_tEEE10hipError_tPvRmT1_PNSt15iterator_traitsISY_E10value_typeET2_T3_PNSZ_IS14_E10value_typeET4_jRbjT5_S1A_jjP12ihipStream_tbEUljE_EEESV_SW_SX_S14_S18_S1A_T6_T7_T9_mT8_S1C_bDpT10_ENKUlT_T0_E_clISt17integral_constantIbLb0EES1O_IbLb1EEEEDaS1K_S1L_EUlS1K_E_NS1_11comp_targetILNS1_3genE0ELNS1_11target_archE4294967295ELNS1_3gpuE0ELNS1_3repE0EEENS1_30default_config_static_selectorELNS0_4arch9wavefront6targetE0EEEvSY_,@function
_ZN7rocprim17ROCPRIM_400000_NS6detail17trampoline_kernelINS0_13select_configILj256ELj13ELNS0_17block_load_methodE3ELS4_3ELS4_3ELNS0_20block_scan_algorithmE0ELj4294967295EEENS1_25partition_config_selectorILNS1_17partition_subalgoE3EjNS0_10empty_typeEbEEZZNS1_14partition_implILS8_3ELb0ES6_jNS0_17counting_iteratorIjlEEPS9_SE_NS0_5tupleIJPjSE_EEENSF_IJSE_SE_EEES9_SG_JZNS1_25segmented_radix_sort_implINS0_14default_configELb0EPKiPiPKlPlN2at6native12_GLOBAL__N_18offset_tEEE10hipError_tPvRmT1_PNSt15iterator_traitsISY_E10value_typeET2_T3_PNSZ_IS14_E10value_typeET4_jRbjT5_S1A_jjP12ihipStream_tbEUljE_EEESV_SW_SX_S14_S18_S1A_T6_T7_T9_mT8_S1C_bDpT10_ENKUlT_T0_E_clISt17integral_constantIbLb0EES1O_IbLb1EEEEDaS1K_S1L_EUlS1K_E_NS1_11comp_targetILNS1_3genE0ELNS1_11target_archE4294967295ELNS1_3gpuE0ELNS1_3repE0EEENS1_30default_config_static_selectorELNS0_4arch9wavefront6targetE0EEEvSY_: ; @_ZN7rocprim17ROCPRIM_400000_NS6detail17trampoline_kernelINS0_13select_configILj256ELj13ELNS0_17block_load_methodE3ELS4_3ELS4_3ELNS0_20block_scan_algorithmE0ELj4294967295EEENS1_25partition_config_selectorILNS1_17partition_subalgoE3EjNS0_10empty_typeEbEEZZNS1_14partition_implILS8_3ELb0ES6_jNS0_17counting_iteratorIjlEEPS9_SE_NS0_5tupleIJPjSE_EEENSF_IJSE_SE_EEES9_SG_JZNS1_25segmented_radix_sort_implINS0_14default_configELb0EPKiPiPKlPlN2at6native12_GLOBAL__N_18offset_tEEE10hipError_tPvRmT1_PNSt15iterator_traitsISY_E10value_typeET2_T3_PNSZ_IS14_E10value_typeET4_jRbjT5_S1A_jjP12ihipStream_tbEUljE_EEESV_SW_SX_S14_S18_S1A_T6_T7_T9_mT8_S1C_bDpT10_ENKUlT_T0_E_clISt17integral_constantIbLb0EES1O_IbLb1EEEEDaS1K_S1L_EUlS1K_E_NS1_11comp_targetILNS1_3genE0ELNS1_11target_archE4294967295ELNS1_3gpuE0ELNS1_3repE0EEENS1_30default_config_static_selectorELNS0_4arch9wavefront6targetE0EEEvSY_
; %bb.0:
	.section	.rodata,"a",@progbits
	.p2align	6, 0x0
	.amdhsa_kernel _ZN7rocprim17ROCPRIM_400000_NS6detail17trampoline_kernelINS0_13select_configILj256ELj13ELNS0_17block_load_methodE3ELS4_3ELS4_3ELNS0_20block_scan_algorithmE0ELj4294967295EEENS1_25partition_config_selectorILNS1_17partition_subalgoE3EjNS0_10empty_typeEbEEZZNS1_14partition_implILS8_3ELb0ES6_jNS0_17counting_iteratorIjlEEPS9_SE_NS0_5tupleIJPjSE_EEENSF_IJSE_SE_EEES9_SG_JZNS1_25segmented_radix_sort_implINS0_14default_configELb0EPKiPiPKlPlN2at6native12_GLOBAL__N_18offset_tEEE10hipError_tPvRmT1_PNSt15iterator_traitsISY_E10value_typeET2_T3_PNSZ_IS14_E10value_typeET4_jRbjT5_S1A_jjP12ihipStream_tbEUljE_EEESV_SW_SX_S14_S18_S1A_T6_T7_T9_mT8_S1C_bDpT10_ENKUlT_T0_E_clISt17integral_constantIbLb0EES1O_IbLb1EEEEDaS1K_S1L_EUlS1K_E_NS1_11comp_targetILNS1_3genE0ELNS1_11target_archE4294967295ELNS1_3gpuE0ELNS1_3repE0EEENS1_30default_config_static_selectorELNS0_4arch9wavefront6targetE0EEEvSY_
		.amdhsa_group_segment_fixed_size 0
		.amdhsa_private_segment_fixed_size 0
		.amdhsa_kernarg_size 152
		.amdhsa_user_sgpr_count 2
		.amdhsa_user_sgpr_dispatch_ptr 0
		.amdhsa_user_sgpr_queue_ptr 0
		.amdhsa_user_sgpr_kernarg_segment_ptr 1
		.amdhsa_user_sgpr_dispatch_id 0
		.amdhsa_user_sgpr_private_segment_size 0
		.amdhsa_wavefront_size32 1
		.amdhsa_uses_dynamic_stack 0
		.amdhsa_enable_private_segment 0
		.amdhsa_system_sgpr_workgroup_id_x 1
		.amdhsa_system_sgpr_workgroup_id_y 0
		.amdhsa_system_sgpr_workgroup_id_z 0
		.amdhsa_system_sgpr_workgroup_info 0
		.amdhsa_system_vgpr_workitem_id 0
		.amdhsa_next_free_vgpr 1
		.amdhsa_next_free_sgpr 1
		.amdhsa_reserve_vcc 0
		.amdhsa_float_round_mode_32 0
		.amdhsa_float_round_mode_16_64 0
		.amdhsa_float_denorm_mode_32 3
		.amdhsa_float_denorm_mode_16_64 3
		.amdhsa_fp16_overflow 0
		.amdhsa_workgroup_processor_mode 1
		.amdhsa_memory_ordered 1
		.amdhsa_forward_progress 1
		.amdhsa_inst_pref_size 0
		.amdhsa_round_robin_scheduling 0
		.amdhsa_exception_fp_ieee_invalid_op 0
		.amdhsa_exception_fp_denorm_src 0
		.amdhsa_exception_fp_ieee_div_zero 0
		.amdhsa_exception_fp_ieee_overflow 0
		.amdhsa_exception_fp_ieee_underflow 0
		.amdhsa_exception_fp_ieee_inexact 0
		.amdhsa_exception_int_div_zero 0
	.end_amdhsa_kernel
	.section	.text._ZN7rocprim17ROCPRIM_400000_NS6detail17trampoline_kernelINS0_13select_configILj256ELj13ELNS0_17block_load_methodE3ELS4_3ELS4_3ELNS0_20block_scan_algorithmE0ELj4294967295EEENS1_25partition_config_selectorILNS1_17partition_subalgoE3EjNS0_10empty_typeEbEEZZNS1_14partition_implILS8_3ELb0ES6_jNS0_17counting_iteratorIjlEEPS9_SE_NS0_5tupleIJPjSE_EEENSF_IJSE_SE_EEES9_SG_JZNS1_25segmented_radix_sort_implINS0_14default_configELb0EPKiPiPKlPlN2at6native12_GLOBAL__N_18offset_tEEE10hipError_tPvRmT1_PNSt15iterator_traitsISY_E10value_typeET2_T3_PNSZ_IS14_E10value_typeET4_jRbjT5_S1A_jjP12ihipStream_tbEUljE_EEESV_SW_SX_S14_S18_S1A_T6_T7_T9_mT8_S1C_bDpT10_ENKUlT_T0_E_clISt17integral_constantIbLb0EES1O_IbLb1EEEEDaS1K_S1L_EUlS1K_E_NS1_11comp_targetILNS1_3genE0ELNS1_11target_archE4294967295ELNS1_3gpuE0ELNS1_3repE0EEENS1_30default_config_static_selectorELNS0_4arch9wavefront6targetE0EEEvSY_,"axG",@progbits,_ZN7rocprim17ROCPRIM_400000_NS6detail17trampoline_kernelINS0_13select_configILj256ELj13ELNS0_17block_load_methodE3ELS4_3ELS4_3ELNS0_20block_scan_algorithmE0ELj4294967295EEENS1_25partition_config_selectorILNS1_17partition_subalgoE3EjNS0_10empty_typeEbEEZZNS1_14partition_implILS8_3ELb0ES6_jNS0_17counting_iteratorIjlEEPS9_SE_NS0_5tupleIJPjSE_EEENSF_IJSE_SE_EEES9_SG_JZNS1_25segmented_radix_sort_implINS0_14default_configELb0EPKiPiPKlPlN2at6native12_GLOBAL__N_18offset_tEEE10hipError_tPvRmT1_PNSt15iterator_traitsISY_E10value_typeET2_T3_PNSZ_IS14_E10value_typeET4_jRbjT5_S1A_jjP12ihipStream_tbEUljE_EEESV_SW_SX_S14_S18_S1A_T6_T7_T9_mT8_S1C_bDpT10_ENKUlT_T0_E_clISt17integral_constantIbLb0EES1O_IbLb1EEEEDaS1K_S1L_EUlS1K_E_NS1_11comp_targetILNS1_3genE0ELNS1_11target_archE4294967295ELNS1_3gpuE0ELNS1_3repE0EEENS1_30default_config_static_selectorELNS0_4arch9wavefront6targetE0EEEvSY_,comdat
.Lfunc_end592:
	.size	_ZN7rocprim17ROCPRIM_400000_NS6detail17trampoline_kernelINS0_13select_configILj256ELj13ELNS0_17block_load_methodE3ELS4_3ELS4_3ELNS0_20block_scan_algorithmE0ELj4294967295EEENS1_25partition_config_selectorILNS1_17partition_subalgoE3EjNS0_10empty_typeEbEEZZNS1_14partition_implILS8_3ELb0ES6_jNS0_17counting_iteratorIjlEEPS9_SE_NS0_5tupleIJPjSE_EEENSF_IJSE_SE_EEES9_SG_JZNS1_25segmented_radix_sort_implINS0_14default_configELb0EPKiPiPKlPlN2at6native12_GLOBAL__N_18offset_tEEE10hipError_tPvRmT1_PNSt15iterator_traitsISY_E10value_typeET2_T3_PNSZ_IS14_E10value_typeET4_jRbjT5_S1A_jjP12ihipStream_tbEUljE_EEESV_SW_SX_S14_S18_S1A_T6_T7_T9_mT8_S1C_bDpT10_ENKUlT_T0_E_clISt17integral_constantIbLb0EES1O_IbLb1EEEEDaS1K_S1L_EUlS1K_E_NS1_11comp_targetILNS1_3genE0ELNS1_11target_archE4294967295ELNS1_3gpuE0ELNS1_3repE0EEENS1_30default_config_static_selectorELNS0_4arch9wavefront6targetE0EEEvSY_, .Lfunc_end592-_ZN7rocprim17ROCPRIM_400000_NS6detail17trampoline_kernelINS0_13select_configILj256ELj13ELNS0_17block_load_methodE3ELS4_3ELS4_3ELNS0_20block_scan_algorithmE0ELj4294967295EEENS1_25partition_config_selectorILNS1_17partition_subalgoE3EjNS0_10empty_typeEbEEZZNS1_14partition_implILS8_3ELb0ES6_jNS0_17counting_iteratorIjlEEPS9_SE_NS0_5tupleIJPjSE_EEENSF_IJSE_SE_EEES9_SG_JZNS1_25segmented_radix_sort_implINS0_14default_configELb0EPKiPiPKlPlN2at6native12_GLOBAL__N_18offset_tEEE10hipError_tPvRmT1_PNSt15iterator_traitsISY_E10value_typeET2_T3_PNSZ_IS14_E10value_typeET4_jRbjT5_S1A_jjP12ihipStream_tbEUljE_EEESV_SW_SX_S14_S18_S1A_T6_T7_T9_mT8_S1C_bDpT10_ENKUlT_T0_E_clISt17integral_constantIbLb0EES1O_IbLb1EEEEDaS1K_S1L_EUlS1K_E_NS1_11comp_targetILNS1_3genE0ELNS1_11target_archE4294967295ELNS1_3gpuE0ELNS1_3repE0EEENS1_30default_config_static_selectorELNS0_4arch9wavefront6targetE0EEEvSY_
                                        ; -- End function
	.set _ZN7rocprim17ROCPRIM_400000_NS6detail17trampoline_kernelINS0_13select_configILj256ELj13ELNS0_17block_load_methodE3ELS4_3ELS4_3ELNS0_20block_scan_algorithmE0ELj4294967295EEENS1_25partition_config_selectorILNS1_17partition_subalgoE3EjNS0_10empty_typeEbEEZZNS1_14partition_implILS8_3ELb0ES6_jNS0_17counting_iteratorIjlEEPS9_SE_NS0_5tupleIJPjSE_EEENSF_IJSE_SE_EEES9_SG_JZNS1_25segmented_radix_sort_implINS0_14default_configELb0EPKiPiPKlPlN2at6native12_GLOBAL__N_18offset_tEEE10hipError_tPvRmT1_PNSt15iterator_traitsISY_E10value_typeET2_T3_PNSZ_IS14_E10value_typeET4_jRbjT5_S1A_jjP12ihipStream_tbEUljE_EEESV_SW_SX_S14_S18_S1A_T6_T7_T9_mT8_S1C_bDpT10_ENKUlT_T0_E_clISt17integral_constantIbLb0EES1O_IbLb1EEEEDaS1K_S1L_EUlS1K_E_NS1_11comp_targetILNS1_3genE0ELNS1_11target_archE4294967295ELNS1_3gpuE0ELNS1_3repE0EEENS1_30default_config_static_selectorELNS0_4arch9wavefront6targetE0EEEvSY_.num_vgpr, 0
	.set _ZN7rocprim17ROCPRIM_400000_NS6detail17trampoline_kernelINS0_13select_configILj256ELj13ELNS0_17block_load_methodE3ELS4_3ELS4_3ELNS0_20block_scan_algorithmE0ELj4294967295EEENS1_25partition_config_selectorILNS1_17partition_subalgoE3EjNS0_10empty_typeEbEEZZNS1_14partition_implILS8_3ELb0ES6_jNS0_17counting_iteratorIjlEEPS9_SE_NS0_5tupleIJPjSE_EEENSF_IJSE_SE_EEES9_SG_JZNS1_25segmented_radix_sort_implINS0_14default_configELb0EPKiPiPKlPlN2at6native12_GLOBAL__N_18offset_tEEE10hipError_tPvRmT1_PNSt15iterator_traitsISY_E10value_typeET2_T3_PNSZ_IS14_E10value_typeET4_jRbjT5_S1A_jjP12ihipStream_tbEUljE_EEESV_SW_SX_S14_S18_S1A_T6_T7_T9_mT8_S1C_bDpT10_ENKUlT_T0_E_clISt17integral_constantIbLb0EES1O_IbLb1EEEEDaS1K_S1L_EUlS1K_E_NS1_11comp_targetILNS1_3genE0ELNS1_11target_archE4294967295ELNS1_3gpuE0ELNS1_3repE0EEENS1_30default_config_static_selectorELNS0_4arch9wavefront6targetE0EEEvSY_.num_agpr, 0
	.set _ZN7rocprim17ROCPRIM_400000_NS6detail17trampoline_kernelINS0_13select_configILj256ELj13ELNS0_17block_load_methodE3ELS4_3ELS4_3ELNS0_20block_scan_algorithmE0ELj4294967295EEENS1_25partition_config_selectorILNS1_17partition_subalgoE3EjNS0_10empty_typeEbEEZZNS1_14partition_implILS8_3ELb0ES6_jNS0_17counting_iteratorIjlEEPS9_SE_NS0_5tupleIJPjSE_EEENSF_IJSE_SE_EEES9_SG_JZNS1_25segmented_radix_sort_implINS0_14default_configELb0EPKiPiPKlPlN2at6native12_GLOBAL__N_18offset_tEEE10hipError_tPvRmT1_PNSt15iterator_traitsISY_E10value_typeET2_T3_PNSZ_IS14_E10value_typeET4_jRbjT5_S1A_jjP12ihipStream_tbEUljE_EEESV_SW_SX_S14_S18_S1A_T6_T7_T9_mT8_S1C_bDpT10_ENKUlT_T0_E_clISt17integral_constantIbLb0EES1O_IbLb1EEEEDaS1K_S1L_EUlS1K_E_NS1_11comp_targetILNS1_3genE0ELNS1_11target_archE4294967295ELNS1_3gpuE0ELNS1_3repE0EEENS1_30default_config_static_selectorELNS0_4arch9wavefront6targetE0EEEvSY_.numbered_sgpr, 0
	.set _ZN7rocprim17ROCPRIM_400000_NS6detail17trampoline_kernelINS0_13select_configILj256ELj13ELNS0_17block_load_methodE3ELS4_3ELS4_3ELNS0_20block_scan_algorithmE0ELj4294967295EEENS1_25partition_config_selectorILNS1_17partition_subalgoE3EjNS0_10empty_typeEbEEZZNS1_14partition_implILS8_3ELb0ES6_jNS0_17counting_iteratorIjlEEPS9_SE_NS0_5tupleIJPjSE_EEENSF_IJSE_SE_EEES9_SG_JZNS1_25segmented_radix_sort_implINS0_14default_configELb0EPKiPiPKlPlN2at6native12_GLOBAL__N_18offset_tEEE10hipError_tPvRmT1_PNSt15iterator_traitsISY_E10value_typeET2_T3_PNSZ_IS14_E10value_typeET4_jRbjT5_S1A_jjP12ihipStream_tbEUljE_EEESV_SW_SX_S14_S18_S1A_T6_T7_T9_mT8_S1C_bDpT10_ENKUlT_T0_E_clISt17integral_constantIbLb0EES1O_IbLb1EEEEDaS1K_S1L_EUlS1K_E_NS1_11comp_targetILNS1_3genE0ELNS1_11target_archE4294967295ELNS1_3gpuE0ELNS1_3repE0EEENS1_30default_config_static_selectorELNS0_4arch9wavefront6targetE0EEEvSY_.num_named_barrier, 0
	.set _ZN7rocprim17ROCPRIM_400000_NS6detail17trampoline_kernelINS0_13select_configILj256ELj13ELNS0_17block_load_methodE3ELS4_3ELS4_3ELNS0_20block_scan_algorithmE0ELj4294967295EEENS1_25partition_config_selectorILNS1_17partition_subalgoE3EjNS0_10empty_typeEbEEZZNS1_14partition_implILS8_3ELb0ES6_jNS0_17counting_iteratorIjlEEPS9_SE_NS0_5tupleIJPjSE_EEENSF_IJSE_SE_EEES9_SG_JZNS1_25segmented_radix_sort_implINS0_14default_configELb0EPKiPiPKlPlN2at6native12_GLOBAL__N_18offset_tEEE10hipError_tPvRmT1_PNSt15iterator_traitsISY_E10value_typeET2_T3_PNSZ_IS14_E10value_typeET4_jRbjT5_S1A_jjP12ihipStream_tbEUljE_EEESV_SW_SX_S14_S18_S1A_T6_T7_T9_mT8_S1C_bDpT10_ENKUlT_T0_E_clISt17integral_constantIbLb0EES1O_IbLb1EEEEDaS1K_S1L_EUlS1K_E_NS1_11comp_targetILNS1_3genE0ELNS1_11target_archE4294967295ELNS1_3gpuE0ELNS1_3repE0EEENS1_30default_config_static_selectorELNS0_4arch9wavefront6targetE0EEEvSY_.private_seg_size, 0
	.set _ZN7rocprim17ROCPRIM_400000_NS6detail17trampoline_kernelINS0_13select_configILj256ELj13ELNS0_17block_load_methodE3ELS4_3ELS4_3ELNS0_20block_scan_algorithmE0ELj4294967295EEENS1_25partition_config_selectorILNS1_17partition_subalgoE3EjNS0_10empty_typeEbEEZZNS1_14partition_implILS8_3ELb0ES6_jNS0_17counting_iteratorIjlEEPS9_SE_NS0_5tupleIJPjSE_EEENSF_IJSE_SE_EEES9_SG_JZNS1_25segmented_radix_sort_implINS0_14default_configELb0EPKiPiPKlPlN2at6native12_GLOBAL__N_18offset_tEEE10hipError_tPvRmT1_PNSt15iterator_traitsISY_E10value_typeET2_T3_PNSZ_IS14_E10value_typeET4_jRbjT5_S1A_jjP12ihipStream_tbEUljE_EEESV_SW_SX_S14_S18_S1A_T6_T7_T9_mT8_S1C_bDpT10_ENKUlT_T0_E_clISt17integral_constantIbLb0EES1O_IbLb1EEEEDaS1K_S1L_EUlS1K_E_NS1_11comp_targetILNS1_3genE0ELNS1_11target_archE4294967295ELNS1_3gpuE0ELNS1_3repE0EEENS1_30default_config_static_selectorELNS0_4arch9wavefront6targetE0EEEvSY_.uses_vcc, 0
	.set _ZN7rocprim17ROCPRIM_400000_NS6detail17trampoline_kernelINS0_13select_configILj256ELj13ELNS0_17block_load_methodE3ELS4_3ELS4_3ELNS0_20block_scan_algorithmE0ELj4294967295EEENS1_25partition_config_selectorILNS1_17partition_subalgoE3EjNS0_10empty_typeEbEEZZNS1_14partition_implILS8_3ELb0ES6_jNS0_17counting_iteratorIjlEEPS9_SE_NS0_5tupleIJPjSE_EEENSF_IJSE_SE_EEES9_SG_JZNS1_25segmented_radix_sort_implINS0_14default_configELb0EPKiPiPKlPlN2at6native12_GLOBAL__N_18offset_tEEE10hipError_tPvRmT1_PNSt15iterator_traitsISY_E10value_typeET2_T3_PNSZ_IS14_E10value_typeET4_jRbjT5_S1A_jjP12ihipStream_tbEUljE_EEESV_SW_SX_S14_S18_S1A_T6_T7_T9_mT8_S1C_bDpT10_ENKUlT_T0_E_clISt17integral_constantIbLb0EES1O_IbLb1EEEEDaS1K_S1L_EUlS1K_E_NS1_11comp_targetILNS1_3genE0ELNS1_11target_archE4294967295ELNS1_3gpuE0ELNS1_3repE0EEENS1_30default_config_static_selectorELNS0_4arch9wavefront6targetE0EEEvSY_.uses_flat_scratch, 0
	.set _ZN7rocprim17ROCPRIM_400000_NS6detail17trampoline_kernelINS0_13select_configILj256ELj13ELNS0_17block_load_methodE3ELS4_3ELS4_3ELNS0_20block_scan_algorithmE0ELj4294967295EEENS1_25partition_config_selectorILNS1_17partition_subalgoE3EjNS0_10empty_typeEbEEZZNS1_14partition_implILS8_3ELb0ES6_jNS0_17counting_iteratorIjlEEPS9_SE_NS0_5tupleIJPjSE_EEENSF_IJSE_SE_EEES9_SG_JZNS1_25segmented_radix_sort_implINS0_14default_configELb0EPKiPiPKlPlN2at6native12_GLOBAL__N_18offset_tEEE10hipError_tPvRmT1_PNSt15iterator_traitsISY_E10value_typeET2_T3_PNSZ_IS14_E10value_typeET4_jRbjT5_S1A_jjP12ihipStream_tbEUljE_EEESV_SW_SX_S14_S18_S1A_T6_T7_T9_mT8_S1C_bDpT10_ENKUlT_T0_E_clISt17integral_constantIbLb0EES1O_IbLb1EEEEDaS1K_S1L_EUlS1K_E_NS1_11comp_targetILNS1_3genE0ELNS1_11target_archE4294967295ELNS1_3gpuE0ELNS1_3repE0EEENS1_30default_config_static_selectorELNS0_4arch9wavefront6targetE0EEEvSY_.has_dyn_sized_stack, 0
	.set _ZN7rocprim17ROCPRIM_400000_NS6detail17trampoline_kernelINS0_13select_configILj256ELj13ELNS0_17block_load_methodE3ELS4_3ELS4_3ELNS0_20block_scan_algorithmE0ELj4294967295EEENS1_25partition_config_selectorILNS1_17partition_subalgoE3EjNS0_10empty_typeEbEEZZNS1_14partition_implILS8_3ELb0ES6_jNS0_17counting_iteratorIjlEEPS9_SE_NS0_5tupleIJPjSE_EEENSF_IJSE_SE_EEES9_SG_JZNS1_25segmented_radix_sort_implINS0_14default_configELb0EPKiPiPKlPlN2at6native12_GLOBAL__N_18offset_tEEE10hipError_tPvRmT1_PNSt15iterator_traitsISY_E10value_typeET2_T3_PNSZ_IS14_E10value_typeET4_jRbjT5_S1A_jjP12ihipStream_tbEUljE_EEESV_SW_SX_S14_S18_S1A_T6_T7_T9_mT8_S1C_bDpT10_ENKUlT_T0_E_clISt17integral_constantIbLb0EES1O_IbLb1EEEEDaS1K_S1L_EUlS1K_E_NS1_11comp_targetILNS1_3genE0ELNS1_11target_archE4294967295ELNS1_3gpuE0ELNS1_3repE0EEENS1_30default_config_static_selectorELNS0_4arch9wavefront6targetE0EEEvSY_.has_recursion, 0
	.set _ZN7rocprim17ROCPRIM_400000_NS6detail17trampoline_kernelINS0_13select_configILj256ELj13ELNS0_17block_load_methodE3ELS4_3ELS4_3ELNS0_20block_scan_algorithmE0ELj4294967295EEENS1_25partition_config_selectorILNS1_17partition_subalgoE3EjNS0_10empty_typeEbEEZZNS1_14partition_implILS8_3ELb0ES6_jNS0_17counting_iteratorIjlEEPS9_SE_NS0_5tupleIJPjSE_EEENSF_IJSE_SE_EEES9_SG_JZNS1_25segmented_radix_sort_implINS0_14default_configELb0EPKiPiPKlPlN2at6native12_GLOBAL__N_18offset_tEEE10hipError_tPvRmT1_PNSt15iterator_traitsISY_E10value_typeET2_T3_PNSZ_IS14_E10value_typeET4_jRbjT5_S1A_jjP12ihipStream_tbEUljE_EEESV_SW_SX_S14_S18_S1A_T6_T7_T9_mT8_S1C_bDpT10_ENKUlT_T0_E_clISt17integral_constantIbLb0EES1O_IbLb1EEEEDaS1K_S1L_EUlS1K_E_NS1_11comp_targetILNS1_3genE0ELNS1_11target_archE4294967295ELNS1_3gpuE0ELNS1_3repE0EEENS1_30default_config_static_selectorELNS0_4arch9wavefront6targetE0EEEvSY_.has_indirect_call, 0
	.section	.AMDGPU.csdata,"",@progbits
; Kernel info:
; codeLenInByte = 0
; TotalNumSgprs: 0
; NumVgprs: 0
; ScratchSize: 0
; MemoryBound: 0
; FloatMode: 240
; IeeeMode: 1
; LDSByteSize: 0 bytes/workgroup (compile time only)
; SGPRBlocks: 0
; VGPRBlocks: 0
; NumSGPRsForWavesPerEU: 1
; NumVGPRsForWavesPerEU: 1
; Occupancy: 16
; WaveLimiterHint : 0
; COMPUTE_PGM_RSRC2:SCRATCH_EN: 0
; COMPUTE_PGM_RSRC2:USER_SGPR: 2
; COMPUTE_PGM_RSRC2:TRAP_HANDLER: 0
; COMPUTE_PGM_RSRC2:TGID_X_EN: 1
; COMPUTE_PGM_RSRC2:TGID_Y_EN: 0
; COMPUTE_PGM_RSRC2:TGID_Z_EN: 0
; COMPUTE_PGM_RSRC2:TIDIG_COMP_CNT: 0
	.section	.text._ZN7rocprim17ROCPRIM_400000_NS6detail17trampoline_kernelINS0_13select_configILj256ELj13ELNS0_17block_load_methodE3ELS4_3ELS4_3ELNS0_20block_scan_algorithmE0ELj4294967295EEENS1_25partition_config_selectorILNS1_17partition_subalgoE3EjNS0_10empty_typeEbEEZZNS1_14partition_implILS8_3ELb0ES6_jNS0_17counting_iteratorIjlEEPS9_SE_NS0_5tupleIJPjSE_EEENSF_IJSE_SE_EEES9_SG_JZNS1_25segmented_radix_sort_implINS0_14default_configELb0EPKiPiPKlPlN2at6native12_GLOBAL__N_18offset_tEEE10hipError_tPvRmT1_PNSt15iterator_traitsISY_E10value_typeET2_T3_PNSZ_IS14_E10value_typeET4_jRbjT5_S1A_jjP12ihipStream_tbEUljE_EEESV_SW_SX_S14_S18_S1A_T6_T7_T9_mT8_S1C_bDpT10_ENKUlT_T0_E_clISt17integral_constantIbLb0EES1O_IbLb1EEEEDaS1K_S1L_EUlS1K_E_NS1_11comp_targetILNS1_3genE5ELNS1_11target_archE942ELNS1_3gpuE9ELNS1_3repE0EEENS1_30default_config_static_selectorELNS0_4arch9wavefront6targetE0EEEvSY_,"axG",@progbits,_ZN7rocprim17ROCPRIM_400000_NS6detail17trampoline_kernelINS0_13select_configILj256ELj13ELNS0_17block_load_methodE3ELS4_3ELS4_3ELNS0_20block_scan_algorithmE0ELj4294967295EEENS1_25partition_config_selectorILNS1_17partition_subalgoE3EjNS0_10empty_typeEbEEZZNS1_14partition_implILS8_3ELb0ES6_jNS0_17counting_iteratorIjlEEPS9_SE_NS0_5tupleIJPjSE_EEENSF_IJSE_SE_EEES9_SG_JZNS1_25segmented_radix_sort_implINS0_14default_configELb0EPKiPiPKlPlN2at6native12_GLOBAL__N_18offset_tEEE10hipError_tPvRmT1_PNSt15iterator_traitsISY_E10value_typeET2_T3_PNSZ_IS14_E10value_typeET4_jRbjT5_S1A_jjP12ihipStream_tbEUljE_EEESV_SW_SX_S14_S18_S1A_T6_T7_T9_mT8_S1C_bDpT10_ENKUlT_T0_E_clISt17integral_constantIbLb0EES1O_IbLb1EEEEDaS1K_S1L_EUlS1K_E_NS1_11comp_targetILNS1_3genE5ELNS1_11target_archE942ELNS1_3gpuE9ELNS1_3repE0EEENS1_30default_config_static_selectorELNS0_4arch9wavefront6targetE0EEEvSY_,comdat
	.globl	_ZN7rocprim17ROCPRIM_400000_NS6detail17trampoline_kernelINS0_13select_configILj256ELj13ELNS0_17block_load_methodE3ELS4_3ELS4_3ELNS0_20block_scan_algorithmE0ELj4294967295EEENS1_25partition_config_selectorILNS1_17partition_subalgoE3EjNS0_10empty_typeEbEEZZNS1_14partition_implILS8_3ELb0ES6_jNS0_17counting_iteratorIjlEEPS9_SE_NS0_5tupleIJPjSE_EEENSF_IJSE_SE_EEES9_SG_JZNS1_25segmented_radix_sort_implINS0_14default_configELb0EPKiPiPKlPlN2at6native12_GLOBAL__N_18offset_tEEE10hipError_tPvRmT1_PNSt15iterator_traitsISY_E10value_typeET2_T3_PNSZ_IS14_E10value_typeET4_jRbjT5_S1A_jjP12ihipStream_tbEUljE_EEESV_SW_SX_S14_S18_S1A_T6_T7_T9_mT8_S1C_bDpT10_ENKUlT_T0_E_clISt17integral_constantIbLb0EES1O_IbLb1EEEEDaS1K_S1L_EUlS1K_E_NS1_11comp_targetILNS1_3genE5ELNS1_11target_archE942ELNS1_3gpuE9ELNS1_3repE0EEENS1_30default_config_static_selectorELNS0_4arch9wavefront6targetE0EEEvSY_ ; -- Begin function _ZN7rocprim17ROCPRIM_400000_NS6detail17trampoline_kernelINS0_13select_configILj256ELj13ELNS0_17block_load_methodE3ELS4_3ELS4_3ELNS0_20block_scan_algorithmE0ELj4294967295EEENS1_25partition_config_selectorILNS1_17partition_subalgoE3EjNS0_10empty_typeEbEEZZNS1_14partition_implILS8_3ELb0ES6_jNS0_17counting_iteratorIjlEEPS9_SE_NS0_5tupleIJPjSE_EEENSF_IJSE_SE_EEES9_SG_JZNS1_25segmented_radix_sort_implINS0_14default_configELb0EPKiPiPKlPlN2at6native12_GLOBAL__N_18offset_tEEE10hipError_tPvRmT1_PNSt15iterator_traitsISY_E10value_typeET2_T3_PNSZ_IS14_E10value_typeET4_jRbjT5_S1A_jjP12ihipStream_tbEUljE_EEESV_SW_SX_S14_S18_S1A_T6_T7_T9_mT8_S1C_bDpT10_ENKUlT_T0_E_clISt17integral_constantIbLb0EES1O_IbLb1EEEEDaS1K_S1L_EUlS1K_E_NS1_11comp_targetILNS1_3genE5ELNS1_11target_archE942ELNS1_3gpuE9ELNS1_3repE0EEENS1_30default_config_static_selectorELNS0_4arch9wavefront6targetE0EEEvSY_
	.p2align	8
	.type	_ZN7rocprim17ROCPRIM_400000_NS6detail17trampoline_kernelINS0_13select_configILj256ELj13ELNS0_17block_load_methodE3ELS4_3ELS4_3ELNS0_20block_scan_algorithmE0ELj4294967295EEENS1_25partition_config_selectorILNS1_17partition_subalgoE3EjNS0_10empty_typeEbEEZZNS1_14partition_implILS8_3ELb0ES6_jNS0_17counting_iteratorIjlEEPS9_SE_NS0_5tupleIJPjSE_EEENSF_IJSE_SE_EEES9_SG_JZNS1_25segmented_radix_sort_implINS0_14default_configELb0EPKiPiPKlPlN2at6native12_GLOBAL__N_18offset_tEEE10hipError_tPvRmT1_PNSt15iterator_traitsISY_E10value_typeET2_T3_PNSZ_IS14_E10value_typeET4_jRbjT5_S1A_jjP12ihipStream_tbEUljE_EEESV_SW_SX_S14_S18_S1A_T6_T7_T9_mT8_S1C_bDpT10_ENKUlT_T0_E_clISt17integral_constantIbLb0EES1O_IbLb1EEEEDaS1K_S1L_EUlS1K_E_NS1_11comp_targetILNS1_3genE5ELNS1_11target_archE942ELNS1_3gpuE9ELNS1_3repE0EEENS1_30default_config_static_selectorELNS0_4arch9wavefront6targetE0EEEvSY_,@function
_ZN7rocprim17ROCPRIM_400000_NS6detail17trampoline_kernelINS0_13select_configILj256ELj13ELNS0_17block_load_methodE3ELS4_3ELS4_3ELNS0_20block_scan_algorithmE0ELj4294967295EEENS1_25partition_config_selectorILNS1_17partition_subalgoE3EjNS0_10empty_typeEbEEZZNS1_14partition_implILS8_3ELb0ES6_jNS0_17counting_iteratorIjlEEPS9_SE_NS0_5tupleIJPjSE_EEENSF_IJSE_SE_EEES9_SG_JZNS1_25segmented_radix_sort_implINS0_14default_configELb0EPKiPiPKlPlN2at6native12_GLOBAL__N_18offset_tEEE10hipError_tPvRmT1_PNSt15iterator_traitsISY_E10value_typeET2_T3_PNSZ_IS14_E10value_typeET4_jRbjT5_S1A_jjP12ihipStream_tbEUljE_EEESV_SW_SX_S14_S18_S1A_T6_T7_T9_mT8_S1C_bDpT10_ENKUlT_T0_E_clISt17integral_constantIbLb0EES1O_IbLb1EEEEDaS1K_S1L_EUlS1K_E_NS1_11comp_targetILNS1_3genE5ELNS1_11target_archE942ELNS1_3gpuE9ELNS1_3repE0EEENS1_30default_config_static_selectorELNS0_4arch9wavefront6targetE0EEEvSY_: ; @_ZN7rocprim17ROCPRIM_400000_NS6detail17trampoline_kernelINS0_13select_configILj256ELj13ELNS0_17block_load_methodE3ELS4_3ELS4_3ELNS0_20block_scan_algorithmE0ELj4294967295EEENS1_25partition_config_selectorILNS1_17partition_subalgoE3EjNS0_10empty_typeEbEEZZNS1_14partition_implILS8_3ELb0ES6_jNS0_17counting_iteratorIjlEEPS9_SE_NS0_5tupleIJPjSE_EEENSF_IJSE_SE_EEES9_SG_JZNS1_25segmented_radix_sort_implINS0_14default_configELb0EPKiPiPKlPlN2at6native12_GLOBAL__N_18offset_tEEE10hipError_tPvRmT1_PNSt15iterator_traitsISY_E10value_typeET2_T3_PNSZ_IS14_E10value_typeET4_jRbjT5_S1A_jjP12ihipStream_tbEUljE_EEESV_SW_SX_S14_S18_S1A_T6_T7_T9_mT8_S1C_bDpT10_ENKUlT_T0_E_clISt17integral_constantIbLb0EES1O_IbLb1EEEEDaS1K_S1L_EUlS1K_E_NS1_11comp_targetILNS1_3genE5ELNS1_11target_archE942ELNS1_3gpuE9ELNS1_3repE0EEENS1_30default_config_static_selectorELNS0_4arch9wavefront6targetE0EEEvSY_
; %bb.0:
	.section	.rodata,"a",@progbits
	.p2align	6, 0x0
	.amdhsa_kernel _ZN7rocprim17ROCPRIM_400000_NS6detail17trampoline_kernelINS0_13select_configILj256ELj13ELNS0_17block_load_methodE3ELS4_3ELS4_3ELNS0_20block_scan_algorithmE0ELj4294967295EEENS1_25partition_config_selectorILNS1_17partition_subalgoE3EjNS0_10empty_typeEbEEZZNS1_14partition_implILS8_3ELb0ES6_jNS0_17counting_iteratorIjlEEPS9_SE_NS0_5tupleIJPjSE_EEENSF_IJSE_SE_EEES9_SG_JZNS1_25segmented_radix_sort_implINS0_14default_configELb0EPKiPiPKlPlN2at6native12_GLOBAL__N_18offset_tEEE10hipError_tPvRmT1_PNSt15iterator_traitsISY_E10value_typeET2_T3_PNSZ_IS14_E10value_typeET4_jRbjT5_S1A_jjP12ihipStream_tbEUljE_EEESV_SW_SX_S14_S18_S1A_T6_T7_T9_mT8_S1C_bDpT10_ENKUlT_T0_E_clISt17integral_constantIbLb0EES1O_IbLb1EEEEDaS1K_S1L_EUlS1K_E_NS1_11comp_targetILNS1_3genE5ELNS1_11target_archE942ELNS1_3gpuE9ELNS1_3repE0EEENS1_30default_config_static_selectorELNS0_4arch9wavefront6targetE0EEEvSY_
		.amdhsa_group_segment_fixed_size 0
		.amdhsa_private_segment_fixed_size 0
		.amdhsa_kernarg_size 152
		.amdhsa_user_sgpr_count 2
		.amdhsa_user_sgpr_dispatch_ptr 0
		.amdhsa_user_sgpr_queue_ptr 0
		.amdhsa_user_sgpr_kernarg_segment_ptr 1
		.amdhsa_user_sgpr_dispatch_id 0
		.amdhsa_user_sgpr_private_segment_size 0
		.amdhsa_wavefront_size32 1
		.amdhsa_uses_dynamic_stack 0
		.amdhsa_enable_private_segment 0
		.amdhsa_system_sgpr_workgroup_id_x 1
		.amdhsa_system_sgpr_workgroup_id_y 0
		.amdhsa_system_sgpr_workgroup_id_z 0
		.amdhsa_system_sgpr_workgroup_info 0
		.amdhsa_system_vgpr_workitem_id 0
		.amdhsa_next_free_vgpr 1
		.amdhsa_next_free_sgpr 1
		.amdhsa_reserve_vcc 0
		.amdhsa_float_round_mode_32 0
		.amdhsa_float_round_mode_16_64 0
		.amdhsa_float_denorm_mode_32 3
		.amdhsa_float_denorm_mode_16_64 3
		.amdhsa_fp16_overflow 0
		.amdhsa_workgroup_processor_mode 1
		.amdhsa_memory_ordered 1
		.amdhsa_forward_progress 1
		.amdhsa_inst_pref_size 0
		.amdhsa_round_robin_scheduling 0
		.amdhsa_exception_fp_ieee_invalid_op 0
		.amdhsa_exception_fp_denorm_src 0
		.amdhsa_exception_fp_ieee_div_zero 0
		.amdhsa_exception_fp_ieee_overflow 0
		.amdhsa_exception_fp_ieee_underflow 0
		.amdhsa_exception_fp_ieee_inexact 0
		.amdhsa_exception_int_div_zero 0
	.end_amdhsa_kernel
	.section	.text._ZN7rocprim17ROCPRIM_400000_NS6detail17trampoline_kernelINS0_13select_configILj256ELj13ELNS0_17block_load_methodE3ELS4_3ELS4_3ELNS0_20block_scan_algorithmE0ELj4294967295EEENS1_25partition_config_selectorILNS1_17partition_subalgoE3EjNS0_10empty_typeEbEEZZNS1_14partition_implILS8_3ELb0ES6_jNS0_17counting_iteratorIjlEEPS9_SE_NS0_5tupleIJPjSE_EEENSF_IJSE_SE_EEES9_SG_JZNS1_25segmented_radix_sort_implINS0_14default_configELb0EPKiPiPKlPlN2at6native12_GLOBAL__N_18offset_tEEE10hipError_tPvRmT1_PNSt15iterator_traitsISY_E10value_typeET2_T3_PNSZ_IS14_E10value_typeET4_jRbjT5_S1A_jjP12ihipStream_tbEUljE_EEESV_SW_SX_S14_S18_S1A_T6_T7_T9_mT8_S1C_bDpT10_ENKUlT_T0_E_clISt17integral_constantIbLb0EES1O_IbLb1EEEEDaS1K_S1L_EUlS1K_E_NS1_11comp_targetILNS1_3genE5ELNS1_11target_archE942ELNS1_3gpuE9ELNS1_3repE0EEENS1_30default_config_static_selectorELNS0_4arch9wavefront6targetE0EEEvSY_,"axG",@progbits,_ZN7rocprim17ROCPRIM_400000_NS6detail17trampoline_kernelINS0_13select_configILj256ELj13ELNS0_17block_load_methodE3ELS4_3ELS4_3ELNS0_20block_scan_algorithmE0ELj4294967295EEENS1_25partition_config_selectorILNS1_17partition_subalgoE3EjNS0_10empty_typeEbEEZZNS1_14partition_implILS8_3ELb0ES6_jNS0_17counting_iteratorIjlEEPS9_SE_NS0_5tupleIJPjSE_EEENSF_IJSE_SE_EEES9_SG_JZNS1_25segmented_radix_sort_implINS0_14default_configELb0EPKiPiPKlPlN2at6native12_GLOBAL__N_18offset_tEEE10hipError_tPvRmT1_PNSt15iterator_traitsISY_E10value_typeET2_T3_PNSZ_IS14_E10value_typeET4_jRbjT5_S1A_jjP12ihipStream_tbEUljE_EEESV_SW_SX_S14_S18_S1A_T6_T7_T9_mT8_S1C_bDpT10_ENKUlT_T0_E_clISt17integral_constantIbLb0EES1O_IbLb1EEEEDaS1K_S1L_EUlS1K_E_NS1_11comp_targetILNS1_3genE5ELNS1_11target_archE942ELNS1_3gpuE9ELNS1_3repE0EEENS1_30default_config_static_selectorELNS0_4arch9wavefront6targetE0EEEvSY_,comdat
.Lfunc_end593:
	.size	_ZN7rocprim17ROCPRIM_400000_NS6detail17trampoline_kernelINS0_13select_configILj256ELj13ELNS0_17block_load_methodE3ELS4_3ELS4_3ELNS0_20block_scan_algorithmE0ELj4294967295EEENS1_25partition_config_selectorILNS1_17partition_subalgoE3EjNS0_10empty_typeEbEEZZNS1_14partition_implILS8_3ELb0ES6_jNS0_17counting_iteratorIjlEEPS9_SE_NS0_5tupleIJPjSE_EEENSF_IJSE_SE_EEES9_SG_JZNS1_25segmented_radix_sort_implINS0_14default_configELb0EPKiPiPKlPlN2at6native12_GLOBAL__N_18offset_tEEE10hipError_tPvRmT1_PNSt15iterator_traitsISY_E10value_typeET2_T3_PNSZ_IS14_E10value_typeET4_jRbjT5_S1A_jjP12ihipStream_tbEUljE_EEESV_SW_SX_S14_S18_S1A_T6_T7_T9_mT8_S1C_bDpT10_ENKUlT_T0_E_clISt17integral_constantIbLb0EES1O_IbLb1EEEEDaS1K_S1L_EUlS1K_E_NS1_11comp_targetILNS1_3genE5ELNS1_11target_archE942ELNS1_3gpuE9ELNS1_3repE0EEENS1_30default_config_static_selectorELNS0_4arch9wavefront6targetE0EEEvSY_, .Lfunc_end593-_ZN7rocprim17ROCPRIM_400000_NS6detail17trampoline_kernelINS0_13select_configILj256ELj13ELNS0_17block_load_methodE3ELS4_3ELS4_3ELNS0_20block_scan_algorithmE0ELj4294967295EEENS1_25partition_config_selectorILNS1_17partition_subalgoE3EjNS0_10empty_typeEbEEZZNS1_14partition_implILS8_3ELb0ES6_jNS0_17counting_iteratorIjlEEPS9_SE_NS0_5tupleIJPjSE_EEENSF_IJSE_SE_EEES9_SG_JZNS1_25segmented_radix_sort_implINS0_14default_configELb0EPKiPiPKlPlN2at6native12_GLOBAL__N_18offset_tEEE10hipError_tPvRmT1_PNSt15iterator_traitsISY_E10value_typeET2_T3_PNSZ_IS14_E10value_typeET4_jRbjT5_S1A_jjP12ihipStream_tbEUljE_EEESV_SW_SX_S14_S18_S1A_T6_T7_T9_mT8_S1C_bDpT10_ENKUlT_T0_E_clISt17integral_constantIbLb0EES1O_IbLb1EEEEDaS1K_S1L_EUlS1K_E_NS1_11comp_targetILNS1_3genE5ELNS1_11target_archE942ELNS1_3gpuE9ELNS1_3repE0EEENS1_30default_config_static_selectorELNS0_4arch9wavefront6targetE0EEEvSY_
                                        ; -- End function
	.set _ZN7rocprim17ROCPRIM_400000_NS6detail17trampoline_kernelINS0_13select_configILj256ELj13ELNS0_17block_load_methodE3ELS4_3ELS4_3ELNS0_20block_scan_algorithmE0ELj4294967295EEENS1_25partition_config_selectorILNS1_17partition_subalgoE3EjNS0_10empty_typeEbEEZZNS1_14partition_implILS8_3ELb0ES6_jNS0_17counting_iteratorIjlEEPS9_SE_NS0_5tupleIJPjSE_EEENSF_IJSE_SE_EEES9_SG_JZNS1_25segmented_radix_sort_implINS0_14default_configELb0EPKiPiPKlPlN2at6native12_GLOBAL__N_18offset_tEEE10hipError_tPvRmT1_PNSt15iterator_traitsISY_E10value_typeET2_T3_PNSZ_IS14_E10value_typeET4_jRbjT5_S1A_jjP12ihipStream_tbEUljE_EEESV_SW_SX_S14_S18_S1A_T6_T7_T9_mT8_S1C_bDpT10_ENKUlT_T0_E_clISt17integral_constantIbLb0EES1O_IbLb1EEEEDaS1K_S1L_EUlS1K_E_NS1_11comp_targetILNS1_3genE5ELNS1_11target_archE942ELNS1_3gpuE9ELNS1_3repE0EEENS1_30default_config_static_selectorELNS0_4arch9wavefront6targetE0EEEvSY_.num_vgpr, 0
	.set _ZN7rocprim17ROCPRIM_400000_NS6detail17trampoline_kernelINS0_13select_configILj256ELj13ELNS0_17block_load_methodE3ELS4_3ELS4_3ELNS0_20block_scan_algorithmE0ELj4294967295EEENS1_25partition_config_selectorILNS1_17partition_subalgoE3EjNS0_10empty_typeEbEEZZNS1_14partition_implILS8_3ELb0ES6_jNS0_17counting_iteratorIjlEEPS9_SE_NS0_5tupleIJPjSE_EEENSF_IJSE_SE_EEES9_SG_JZNS1_25segmented_radix_sort_implINS0_14default_configELb0EPKiPiPKlPlN2at6native12_GLOBAL__N_18offset_tEEE10hipError_tPvRmT1_PNSt15iterator_traitsISY_E10value_typeET2_T3_PNSZ_IS14_E10value_typeET4_jRbjT5_S1A_jjP12ihipStream_tbEUljE_EEESV_SW_SX_S14_S18_S1A_T6_T7_T9_mT8_S1C_bDpT10_ENKUlT_T0_E_clISt17integral_constantIbLb0EES1O_IbLb1EEEEDaS1K_S1L_EUlS1K_E_NS1_11comp_targetILNS1_3genE5ELNS1_11target_archE942ELNS1_3gpuE9ELNS1_3repE0EEENS1_30default_config_static_selectorELNS0_4arch9wavefront6targetE0EEEvSY_.num_agpr, 0
	.set _ZN7rocprim17ROCPRIM_400000_NS6detail17trampoline_kernelINS0_13select_configILj256ELj13ELNS0_17block_load_methodE3ELS4_3ELS4_3ELNS0_20block_scan_algorithmE0ELj4294967295EEENS1_25partition_config_selectorILNS1_17partition_subalgoE3EjNS0_10empty_typeEbEEZZNS1_14partition_implILS8_3ELb0ES6_jNS0_17counting_iteratorIjlEEPS9_SE_NS0_5tupleIJPjSE_EEENSF_IJSE_SE_EEES9_SG_JZNS1_25segmented_radix_sort_implINS0_14default_configELb0EPKiPiPKlPlN2at6native12_GLOBAL__N_18offset_tEEE10hipError_tPvRmT1_PNSt15iterator_traitsISY_E10value_typeET2_T3_PNSZ_IS14_E10value_typeET4_jRbjT5_S1A_jjP12ihipStream_tbEUljE_EEESV_SW_SX_S14_S18_S1A_T6_T7_T9_mT8_S1C_bDpT10_ENKUlT_T0_E_clISt17integral_constantIbLb0EES1O_IbLb1EEEEDaS1K_S1L_EUlS1K_E_NS1_11comp_targetILNS1_3genE5ELNS1_11target_archE942ELNS1_3gpuE9ELNS1_3repE0EEENS1_30default_config_static_selectorELNS0_4arch9wavefront6targetE0EEEvSY_.numbered_sgpr, 0
	.set _ZN7rocprim17ROCPRIM_400000_NS6detail17trampoline_kernelINS0_13select_configILj256ELj13ELNS0_17block_load_methodE3ELS4_3ELS4_3ELNS0_20block_scan_algorithmE0ELj4294967295EEENS1_25partition_config_selectorILNS1_17partition_subalgoE3EjNS0_10empty_typeEbEEZZNS1_14partition_implILS8_3ELb0ES6_jNS0_17counting_iteratorIjlEEPS9_SE_NS0_5tupleIJPjSE_EEENSF_IJSE_SE_EEES9_SG_JZNS1_25segmented_radix_sort_implINS0_14default_configELb0EPKiPiPKlPlN2at6native12_GLOBAL__N_18offset_tEEE10hipError_tPvRmT1_PNSt15iterator_traitsISY_E10value_typeET2_T3_PNSZ_IS14_E10value_typeET4_jRbjT5_S1A_jjP12ihipStream_tbEUljE_EEESV_SW_SX_S14_S18_S1A_T6_T7_T9_mT8_S1C_bDpT10_ENKUlT_T0_E_clISt17integral_constantIbLb0EES1O_IbLb1EEEEDaS1K_S1L_EUlS1K_E_NS1_11comp_targetILNS1_3genE5ELNS1_11target_archE942ELNS1_3gpuE9ELNS1_3repE0EEENS1_30default_config_static_selectorELNS0_4arch9wavefront6targetE0EEEvSY_.num_named_barrier, 0
	.set _ZN7rocprim17ROCPRIM_400000_NS6detail17trampoline_kernelINS0_13select_configILj256ELj13ELNS0_17block_load_methodE3ELS4_3ELS4_3ELNS0_20block_scan_algorithmE0ELj4294967295EEENS1_25partition_config_selectorILNS1_17partition_subalgoE3EjNS0_10empty_typeEbEEZZNS1_14partition_implILS8_3ELb0ES6_jNS0_17counting_iteratorIjlEEPS9_SE_NS0_5tupleIJPjSE_EEENSF_IJSE_SE_EEES9_SG_JZNS1_25segmented_radix_sort_implINS0_14default_configELb0EPKiPiPKlPlN2at6native12_GLOBAL__N_18offset_tEEE10hipError_tPvRmT1_PNSt15iterator_traitsISY_E10value_typeET2_T3_PNSZ_IS14_E10value_typeET4_jRbjT5_S1A_jjP12ihipStream_tbEUljE_EEESV_SW_SX_S14_S18_S1A_T6_T7_T9_mT8_S1C_bDpT10_ENKUlT_T0_E_clISt17integral_constantIbLb0EES1O_IbLb1EEEEDaS1K_S1L_EUlS1K_E_NS1_11comp_targetILNS1_3genE5ELNS1_11target_archE942ELNS1_3gpuE9ELNS1_3repE0EEENS1_30default_config_static_selectorELNS0_4arch9wavefront6targetE0EEEvSY_.private_seg_size, 0
	.set _ZN7rocprim17ROCPRIM_400000_NS6detail17trampoline_kernelINS0_13select_configILj256ELj13ELNS0_17block_load_methodE3ELS4_3ELS4_3ELNS0_20block_scan_algorithmE0ELj4294967295EEENS1_25partition_config_selectorILNS1_17partition_subalgoE3EjNS0_10empty_typeEbEEZZNS1_14partition_implILS8_3ELb0ES6_jNS0_17counting_iteratorIjlEEPS9_SE_NS0_5tupleIJPjSE_EEENSF_IJSE_SE_EEES9_SG_JZNS1_25segmented_radix_sort_implINS0_14default_configELb0EPKiPiPKlPlN2at6native12_GLOBAL__N_18offset_tEEE10hipError_tPvRmT1_PNSt15iterator_traitsISY_E10value_typeET2_T3_PNSZ_IS14_E10value_typeET4_jRbjT5_S1A_jjP12ihipStream_tbEUljE_EEESV_SW_SX_S14_S18_S1A_T6_T7_T9_mT8_S1C_bDpT10_ENKUlT_T0_E_clISt17integral_constantIbLb0EES1O_IbLb1EEEEDaS1K_S1L_EUlS1K_E_NS1_11comp_targetILNS1_3genE5ELNS1_11target_archE942ELNS1_3gpuE9ELNS1_3repE0EEENS1_30default_config_static_selectorELNS0_4arch9wavefront6targetE0EEEvSY_.uses_vcc, 0
	.set _ZN7rocprim17ROCPRIM_400000_NS6detail17trampoline_kernelINS0_13select_configILj256ELj13ELNS0_17block_load_methodE3ELS4_3ELS4_3ELNS0_20block_scan_algorithmE0ELj4294967295EEENS1_25partition_config_selectorILNS1_17partition_subalgoE3EjNS0_10empty_typeEbEEZZNS1_14partition_implILS8_3ELb0ES6_jNS0_17counting_iteratorIjlEEPS9_SE_NS0_5tupleIJPjSE_EEENSF_IJSE_SE_EEES9_SG_JZNS1_25segmented_radix_sort_implINS0_14default_configELb0EPKiPiPKlPlN2at6native12_GLOBAL__N_18offset_tEEE10hipError_tPvRmT1_PNSt15iterator_traitsISY_E10value_typeET2_T3_PNSZ_IS14_E10value_typeET4_jRbjT5_S1A_jjP12ihipStream_tbEUljE_EEESV_SW_SX_S14_S18_S1A_T6_T7_T9_mT8_S1C_bDpT10_ENKUlT_T0_E_clISt17integral_constantIbLb0EES1O_IbLb1EEEEDaS1K_S1L_EUlS1K_E_NS1_11comp_targetILNS1_3genE5ELNS1_11target_archE942ELNS1_3gpuE9ELNS1_3repE0EEENS1_30default_config_static_selectorELNS0_4arch9wavefront6targetE0EEEvSY_.uses_flat_scratch, 0
	.set _ZN7rocprim17ROCPRIM_400000_NS6detail17trampoline_kernelINS0_13select_configILj256ELj13ELNS0_17block_load_methodE3ELS4_3ELS4_3ELNS0_20block_scan_algorithmE0ELj4294967295EEENS1_25partition_config_selectorILNS1_17partition_subalgoE3EjNS0_10empty_typeEbEEZZNS1_14partition_implILS8_3ELb0ES6_jNS0_17counting_iteratorIjlEEPS9_SE_NS0_5tupleIJPjSE_EEENSF_IJSE_SE_EEES9_SG_JZNS1_25segmented_radix_sort_implINS0_14default_configELb0EPKiPiPKlPlN2at6native12_GLOBAL__N_18offset_tEEE10hipError_tPvRmT1_PNSt15iterator_traitsISY_E10value_typeET2_T3_PNSZ_IS14_E10value_typeET4_jRbjT5_S1A_jjP12ihipStream_tbEUljE_EEESV_SW_SX_S14_S18_S1A_T6_T7_T9_mT8_S1C_bDpT10_ENKUlT_T0_E_clISt17integral_constantIbLb0EES1O_IbLb1EEEEDaS1K_S1L_EUlS1K_E_NS1_11comp_targetILNS1_3genE5ELNS1_11target_archE942ELNS1_3gpuE9ELNS1_3repE0EEENS1_30default_config_static_selectorELNS0_4arch9wavefront6targetE0EEEvSY_.has_dyn_sized_stack, 0
	.set _ZN7rocprim17ROCPRIM_400000_NS6detail17trampoline_kernelINS0_13select_configILj256ELj13ELNS0_17block_load_methodE3ELS4_3ELS4_3ELNS0_20block_scan_algorithmE0ELj4294967295EEENS1_25partition_config_selectorILNS1_17partition_subalgoE3EjNS0_10empty_typeEbEEZZNS1_14partition_implILS8_3ELb0ES6_jNS0_17counting_iteratorIjlEEPS9_SE_NS0_5tupleIJPjSE_EEENSF_IJSE_SE_EEES9_SG_JZNS1_25segmented_radix_sort_implINS0_14default_configELb0EPKiPiPKlPlN2at6native12_GLOBAL__N_18offset_tEEE10hipError_tPvRmT1_PNSt15iterator_traitsISY_E10value_typeET2_T3_PNSZ_IS14_E10value_typeET4_jRbjT5_S1A_jjP12ihipStream_tbEUljE_EEESV_SW_SX_S14_S18_S1A_T6_T7_T9_mT8_S1C_bDpT10_ENKUlT_T0_E_clISt17integral_constantIbLb0EES1O_IbLb1EEEEDaS1K_S1L_EUlS1K_E_NS1_11comp_targetILNS1_3genE5ELNS1_11target_archE942ELNS1_3gpuE9ELNS1_3repE0EEENS1_30default_config_static_selectorELNS0_4arch9wavefront6targetE0EEEvSY_.has_recursion, 0
	.set _ZN7rocprim17ROCPRIM_400000_NS6detail17trampoline_kernelINS0_13select_configILj256ELj13ELNS0_17block_load_methodE3ELS4_3ELS4_3ELNS0_20block_scan_algorithmE0ELj4294967295EEENS1_25partition_config_selectorILNS1_17partition_subalgoE3EjNS0_10empty_typeEbEEZZNS1_14partition_implILS8_3ELb0ES6_jNS0_17counting_iteratorIjlEEPS9_SE_NS0_5tupleIJPjSE_EEENSF_IJSE_SE_EEES9_SG_JZNS1_25segmented_radix_sort_implINS0_14default_configELb0EPKiPiPKlPlN2at6native12_GLOBAL__N_18offset_tEEE10hipError_tPvRmT1_PNSt15iterator_traitsISY_E10value_typeET2_T3_PNSZ_IS14_E10value_typeET4_jRbjT5_S1A_jjP12ihipStream_tbEUljE_EEESV_SW_SX_S14_S18_S1A_T6_T7_T9_mT8_S1C_bDpT10_ENKUlT_T0_E_clISt17integral_constantIbLb0EES1O_IbLb1EEEEDaS1K_S1L_EUlS1K_E_NS1_11comp_targetILNS1_3genE5ELNS1_11target_archE942ELNS1_3gpuE9ELNS1_3repE0EEENS1_30default_config_static_selectorELNS0_4arch9wavefront6targetE0EEEvSY_.has_indirect_call, 0
	.section	.AMDGPU.csdata,"",@progbits
; Kernel info:
; codeLenInByte = 0
; TotalNumSgprs: 0
; NumVgprs: 0
; ScratchSize: 0
; MemoryBound: 0
; FloatMode: 240
; IeeeMode: 1
; LDSByteSize: 0 bytes/workgroup (compile time only)
; SGPRBlocks: 0
; VGPRBlocks: 0
; NumSGPRsForWavesPerEU: 1
; NumVGPRsForWavesPerEU: 1
; Occupancy: 16
; WaveLimiterHint : 0
; COMPUTE_PGM_RSRC2:SCRATCH_EN: 0
; COMPUTE_PGM_RSRC2:USER_SGPR: 2
; COMPUTE_PGM_RSRC2:TRAP_HANDLER: 0
; COMPUTE_PGM_RSRC2:TGID_X_EN: 1
; COMPUTE_PGM_RSRC2:TGID_Y_EN: 0
; COMPUTE_PGM_RSRC2:TGID_Z_EN: 0
; COMPUTE_PGM_RSRC2:TIDIG_COMP_CNT: 0
	.section	.text._ZN7rocprim17ROCPRIM_400000_NS6detail17trampoline_kernelINS0_13select_configILj256ELj13ELNS0_17block_load_methodE3ELS4_3ELS4_3ELNS0_20block_scan_algorithmE0ELj4294967295EEENS1_25partition_config_selectorILNS1_17partition_subalgoE3EjNS0_10empty_typeEbEEZZNS1_14partition_implILS8_3ELb0ES6_jNS0_17counting_iteratorIjlEEPS9_SE_NS0_5tupleIJPjSE_EEENSF_IJSE_SE_EEES9_SG_JZNS1_25segmented_radix_sort_implINS0_14default_configELb0EPKiPiPKlPlN2at6native12_GLOBAL__N_18offset_tEEE10hipError_tPvRmT1_PNSt15iterator_traitsISY_E10value_typeET2_T3_PNSZ_IS14_E10value_typeET4_jRbjT5_S1A_jjP12ihipStream_tbEUljE_EEESV_SW_SX_S14_S18_S1A_T6_T7_T9_mT8_S1C_bDpT10_ENKUlT_T0_E_clISt17integral_constantIbLb0EES1O_IbLb1EEEEDaS1K_S1L_EUlS1K_E_NS1_11comp_targetILNS1_3genE4ELNS1_11target_archE910ELNS1_3gpuE8ELNS1_3repE0EEENS1_30default_config_static_selectorELNS0_4arch9wavefront6targetE0EEEvSY_,"axG",@progbits,_ZN7rocprim17ROCPRIM_400000_NS6detail17trampoline_kernelINS0_13select_configILj256ELj13ELNS0_17block_load_methodE3ELS4_3ELS4_3ELNS0_20block_scan_algorithmE0ELj4294967295EEENS1_25partition_config_selectorILNS1_17partition_subalgoE3EjNS0_10empty_typeEbEEZZNS1_14partition_implILS8_3ELb0ES6_jNS0_17counting_iteratorIjlEEPS9_SE_NS0_5tupleIJPjSE_EEENSF_IJSE_SE_EEES9_SG_JZNS1_25segmented_radix_sort_implINS0_14default_configELb0EPKiPiPKlPlN2at6native12_GLOBAL__N_18offset_tEEE10hipError_tPvRmT1_PNSt15iterator_traitsISY_E10value_typeET2_T3_PNSZ_IS14_E10value_typeET4_jRbjT5_S1A_jjP12ihipStream_tbEUljE_EEESV_SW_SX_S14_S18_S1A_T6_T7_T9_mT8_S1C_bDpT10_ENKUlT_T0_E_clISt17integral_constantIbLb0EES1O_IbLb1EEEEDaS1K_S1L_EUlS1K_E_NS1_11comp_targetILNS1_3genE4ELNS1_11target_archE910ELNS1_3gpuE8ELNS1_3repE0EEENS1_30default_config_static_selectorELNS0_4arch9wavefront6targetE0EEEvSY_,comdat
	.globl	_ZN7rocprim17ROCPRIM_400000_NS6detail17trampoline_kernelINS0_13select_configILj256ELj13ELNS0_17block_load_methodE3ELS4_3ELS4_3ELNS0_20block_scan_algorithmE0ELj4294967295EEENS1_25partition_config_selectorILNS1_17partition_subalgoE3EjNS0_10empty_typeEbEEZZNS1_14partition_implILS8_3ELb0ES6_jNS0_17counting_iteratorIjlEEPS9_SE_NS0_5tupleIJPjSE_EEENSF_IJSE_SE_EEES9_SG_JZNS1_25segmented_radix_sort_implINS0_14default_configELb0EPKiPiPKlPlN2at6native12_GLOBAL__N_18offset_tEEE10hipError_tPvRmT1_PNSt15iterator_traitsISY_E10value_typeET2_T3_PNSZ_IS14_E10value_typeET4_jRbjT5_S1A_jjP12ihipStream_tbEUljE_EEESV_SW_SX_S14_S18_S1A_T6_T7_T9_mT8_S1C_bDpT10_ENKUlT_T0_E_clISt17integral_constantIbLb0EES1O_IbLb1EEEEDaS1K_S1L_EUlS1K_E_NS1_11comp_targetILNS1_3genE4ELNS1_11target_archE910ELNS1_3gpuE8ELNS1_3repE0EEENS1_30default_config_static_selectorELNS0_4arch9wavefront6targetE0EEEvSY_ ; -- Begin function _ZN7rocprim17ROCPRIM_400000_NS6detail17trampoline_kernelINS0_13select_configILj256ELj13ELNS0_17block_load_methodE3ELS4_3ELS4_3ELNS0_20block_scan_algorithmE0ELj4294967295EEENS1_25partition_config_selectorILNS1_17partition_subalgoE3EjNS0_10empty_typeEbEEZZNS1_14partition_implILS8_3ELb0ES6_jNS0_17counting_iteratorIjlEEPS9_SE_NS0_5tupleIJPjSE_EEENSF_IJSE_SE_EEES9_SG_JZNS1_25segmented_radix_sort_implINS0_14default_configELb0EPKiPiPKlPlN2at6native12_GLOBAL__N_18offset_tEEE10hipError_tPvRmT1_PNSt15iterator_traitsISY_E10value_typeET2_T3_PNSZ_IS14_E10value_typeET4_jRbjT5_S1A_jjP12ihipStream_tbEUljE_EEESV_SW_SX_S14_S18_S1A_T6_T7_T9_mT8_S1C_bDpT10_ENKUlT_T0_E_clISt17integral_constantIbLb0EES1O_IbLb1EEEEDaS1K_S1L_EUlS1K_E_NS1_11comp_targetILNS1_3genE4ELNS1_11target_archE910ELNS1_3gpuE8ELNS1_3repE0EEENS1_30default_config_static_selectorELNS0_4arch9wavefront6targetE0EEEvSY_
	.p2align	8
	.type	_ZN7rocprim17ROCPRIM_400000_NS6detail17trampoline_kernelINS0_13select_configILj256ELj13ELNS0_17block_load_methodE3ELS4_3ELS4_3ELNS0_20block_scan_algorithmE0ELj4294967295EEENS1_25partition_config_selectorILNS1_17partition_subalgoE3EjNS0_10empty_typeEbEEZZNS1_14partition_implILS8_3ELb0ES6_jNS0_17counting_iteratorIjlEEPS9_SE_NS0_5tupleIJPjSE_EEENSF_IJSE_SE_EEES9_SG_JZNS1_25segmented_radix_sort_implINS0_14default_configELb0EPKiPiPKlPlN2at6native12_GLOBAL__N_18offset_tEEE10hipError_tPvRmT1_PNSt15iterator_traitsISY_E10value_typeET2_T3_PNSZ_IS14_E10value_typeET4_jRbjT5_S1A_jjP12ihipStream_tbEUljE_EEESV_SW_SX_S14_S18_S1A_T6_T7_T9_mT8_S1C_bDpT10_ENKUlT_T0_E_clISt17integral_constantIbLb0EES1O_IbLb1EEEEDaS1K_S1L_EUlS1K_E_NS1_11comp_targetILNS1_3genE4ELNS1_11target_archE910ELNS1_3gpuE8ELNS1_3repE0EEENS1_30default_config_static_selectorELNS0_4arch9wavefront6targetE0EEEvSY_,@function
_ZN7rocprim17ROCPRIM_400000_NS6detail17trampoline_kernelINS0_13select_configILj256ELj13ELNS0_17block_load_methodE3ELS4_3ELS4_3ELNS0_20block_scan_algorithmE0ELj4294967295EEENS1_25partition_config_selectorILNS1_17partition_subalgoE3EjNS0_10empty_typeEbEEZZNS1_14partition_implILS8_3ELb0ES6_jNS0_17counting_iteratorIjlEEPS9_SE_NS0_5tupleIJPjSE_EEENSF_IJSE_SE_EEES9_SG_JZNS1_25segmented_radix_sort_implINS0_14default_configELb0EPKiPiPKlPlN2at6native12_GLOBAL__N_18offset_tEEE10hipError_tPvRmT1_PNSt15iterator_traitsISY_E10value_typeET2_T3_PNSZ_IS14_E10value_typeET4_jRbjT5_S1A_jjP12ihipStream_tbEUljE_EEESV_SW_SX_S14_S18_S1A_T6_T7_T9_mT8_S1C_bDpT10_ENKUlT_T0_E_clISt17integral_constantIbLb0EES1O_IbLb1EEEEDaS1K_S1L_EUlS1K_E_NS1_11comp_targetILNS1_3genE4ELNS1_11target_archE910ELNS1_3gpuE8ELNS1_3repE0EEENS1_30default_config_static_selectorELNS0_4arch9wavefront6targetE0EEEvSY_: ; @_ZN7rocprim17ROCPRIM_400000_NS6detail17trampoline_kernelINS0_13select_configILj256ELj13ELNS0_17block_load_methodE3ELS4_3ELS4_3ELNS0_20block_scan_algorithmE0ELj4294967295EEENS1_25partition_config_selectorILNS1_17partition_subalgoE3EjNS0_10empty_typeEbEEZZNS1_14partition_implILS8_3ELb0ES6_jNS0_17counting_iteratorIjlEEPS9_SE_NS0_5tupleIJPjSE_EEENSF_IJSE_SE_EEES9_SG_JZNS1_25segmented_radix_sort_implINS0_14default_configELb0EPKiPiPKlPlN2at6native12_GLOBAL__N_18offset_tEEE10hipError_tPvRmT1_PNSt15iterator_traitsISY_E10value_typeET2_T3_PNSZ_IS14_E10value_typeET4_jRbjT5_S1A_jjP12ihipStream_tbEUljE_EEESV_SW_SX_S14_S18_S1A_T6_T7_T9_mT8_S1C_bDpT10_ENKUlT_T0_E_clISt17integral_constantIbLb0EES1O_IbLb1EEEEDaS1K_S1L_EUlS1K_E_NS1_11comp_targetILNS1_3genE4ELNS1_11target_archE910ELNS1_3gpuE8ELNS1_3repE0EEENS1_30default_config_static_selectorELNS0_4arch9wavefront6targetE0EEEvSY_
; %bb.0:
	.section	.rodata,"a",@progbits
	.p2align	6, 0x0
	.amdhsa_kernel _ZN7rocprim17ROCPRIM_400000_NS6detail17trampoline_kernelINS0_13select_configILj256ELj13ELNS0_17block_load_methodE3ELS4_3ELS4_3ELNS0_20block_scan_algorithmE0ELj4294967295EEENS1_25partition_config_selectorILNS1_17partition_subalgoE3EjNS0_10empty_typeEbEEZZNS1_14partition_implILS8_3ELb0ES6_jNS0_17counting_iteratorIjlEEPS9_SE_NS0_5tupleIJPjSE_EEENSF_IJSE_SE_EEES9_SG_JZNS1_25segmented_radix_sort_implINS0_14default_configELb0EPKiPiPKlPlN2at6native12_GLOBAL__N_18offset_tEEE10hipError_tPvRmT1_PNSt15iterator_traitsISY_E10value_typeET2_T3_PNSZ_IS14_E10value_typeET4_jRbjT5_S1A_jjP12ihipStream_tbEUljE_EEESV_SW_SX_S14_S18_S1A_T6_T7_T9_mT8_S1C_bDpT10_ENKUlT_T0_E_clISt17integral_constantIbLb0EES1O_IbLb1EEEEDaS1K_S1L_EUlS1K_E_NS1_11comp_targetILNS1_3genE4ELNS1_11target_archE910ELNS1_3gpuE8ELNS1_3repE0EEENS1_30default_config_static_selectorELNS0_4arch9wavefront6targetE0EEEvSY_
		.amdhsa_group_segment_fixed_size 0
		.amdhsa_private_segment_fixed_size 0
		.amdhsa_kernarg_size 152
		.amdhsa_user_sgpr_count 2
		.amdhsa_user_sgpr_dispatch_ptr 0
		.amdhsa_user_sgpr_queue_ptr 0
		.amdhsa_user_sgpr_kernarg_segment_ptr 1
		.amdhsa_user_sgpr_dispatch_id 0
		.amdhsa_user_sgpr_private_segment_size 0
		.amdhsa_wavefront_size32 1
		.amdhsa_uses_dynamic_stack 0
		.amdhsa_enable_private_segment 0
		.amdhsa_system_sgpr_workgroup_id_x 1
		.amdhsa_system_sgpr_workgroup_id_y 0
		.amdhsa_system_sgpr_workgroup_id_z 0
		.amdhsa_system_sgpr_workgroup_info 0
		.amdhsa_system_vgpr_workitem_id 0
		.amdhsa_next_free_vgpr 1
		.amdhsa_next_free_sgpr 1
		.amdhsa_reserve_vcc 0
		.amdhsa_float_round_mode_32 0
		.amdhsa_float_round_mode_16_64 0
		.amdhsa_float_denorm_mode_32 3
		.amdhsa_float_denorm_mode_16_64 3
		.amdhsa_fp16_overflow 0
		.amdhsa_workgroup_processor_mode 1
		.amdhsa_memory_ordered 1
		.amdhsa_forward_progress 1
		.amdhsa_inst_pref_size 0
		.amdhsa_round_robin_scheduling 0
		.amdhsa_exception_fp_ieee_invalid_op 0
		.amdhsa_exception_fp_denorm_src 0
		.amdhsa_exception_fp_ieee_div_zero 0
		.amdhsa_exception_fp_ieee_overflow 0
		.amdhsa_exception_fp_ieee_underflow 0
		.amdhsa_exception_fp_ieee_inexact 0
		.amdhsa_exception_int_div_zero 0
	.end_amdhsa_kernel
	.section	.text._ZN7rocprim17ROCPRIM_400000_NS6detail17trampoline_kernelINS0_13select_configILj256ELj13ELNS0_17block_load_methodE3ELS4_3ELS4_3ELNS0_20block_scan_algorithmE0ELj4294967295EEENS1_25partition_config_selectorILNS1_17partition_subalgoE3EjNS0_10empty_typeEbEEZZNS1_14partition_implILS8_3ELb0ES6_jNS0_17counting_iteratorIjlEEPS9_SE_NS0_5tupleIJPjSE_EEENSF_IJSE_SE_EEES9_SG_JZNS1_25segmented_radix_sort_implINS0_14default_configELb0EPKiPiPKlPlN2at6native12_GLOBAL__N_18offset_tEEE10hipError_tPvRmT1_PNSt15iterator_traitsISY_E10value_typeET2_T3_PNSZ_IS14_E10value_typeET4_jRbjT5_S1A_jjP12ihipStream_tbEUljE_EEESV_SW_SX_S14_S18_S1A_T6_T7_T9_mT8_S1C_bDpT10_ENKUlT_T0_E_clISt17integral_constantIbLb0EES1O_IbLb1EEEEDaS1K_S1L_EUlS1K_E_NS1_11comp_targetILNS1_3genE4ELNS1_11target_archE910ELNS1_3gpuE8ELNS1_3repE0EEENS1_30default_config_static_selectorELNS0_4arch9wavefront6targetE0EEEvSY_,"axG",@progbits,_ZN7rocprim17ROCPRIM_400000_NS6detail17trampoline_kernelINS0_13select_configILj256ELj13ELNS0_17block_load_methodE3ELS4_3ELS4_3ELNS0_20block_scan_algorithmE0ELj4294967295EEENS1_25partition_config_selectorILNS1_17partition_subalgoE3EjNS0_10empty_typeEbEEZZNS1_14partition_implILS8_3ELb0ES6_jNS0_17counting_iteratorIjlEEPS9_SE_NS0_5tupleIJPjSE_EEENSF_IJSE_SE_EEES9_SG_JZNS1_25segmented_radix_sort_implINS0_14default_configELb0EPKiPiPKlPlN2at6native12_GLOBAL__N_18offset_tEEE10hipError_tPvRmT1_PNSt15iterator_traitsISY_E10value_typeET2_T3_PNSZ_IS14_E10value_typeET4_jRbjT5_S1A_jjP12ihipStream_tbEUljE_EEESV_SW_SX_S14_S18_S1A_T6_T7_T9_mT8_S1C_bDpT10_ENKUlT_T0_E_clISt17integral_constantIbLb0EES1O_IbLb1EEEEDaS1K_S1L_EUlS1K_E_NS1_11comp_targetILNS1_3genE4ELNS1_11target_archE910ELNS1_3gpuE8ELNS1_3repE0EEENS1_30default_config_static_selectorELNS0_4arch9wavefront6targetE0EEEvSY_,comdat
.Lfunc_end594:
	.size	_ZN7rocprim17ROCPRIM_400000_NS6detail17trampoline_kernelINS0_13select_configILj256ELj13ELNS0_17block_load_methodE3ELS4_3ELS4_3ELNS0_20block_scan_algorithmE0ELj4294967295EEENS1_25partition_config_selectorILNS1_17partition_subalgoE3EjNS0_10empty_typeEbEEZZNS1_14partition_implILS8_3ELb0ES6_jNS0_17counting_iteratorIjlEEPS9_SE_NS0_5tupleIJPjSE_EEENSF_IJSE_SE_EEES9_SG_JZNS1_25segmented_radix_sort_implINS0_14default_configELb0EPKiPiPKlPlN2at6native12_GLOBAL__N_18offset_tEEE10hipError_tPvRmT1_PNSt15iterator_traitsISY_E10value_typeET2_T3_PNSZ_IS14_E10value_typeET4_jRbjT5_S1A_jjP12ihipStream_tbEUljE_EEESV_SW_SX_S14_S18_S1A_T6_T7_T9_mT8_S1C_bDpT10_ENKUlT_T0_E_clISt17integral_constantIbLb0EES1O_IbLb1EEEEDaS1K_S1L_EUlS1K_E_NS1_11comp_targetILNS1_3genE4ELNS1_11target_archE910ELNS1_3gpuE8ELNS1_3repE0EEENS1_30default_config_static_selectorELNS0_4arch9wavefront6targetE0EEEvSY_, .Lfunc_end594-_ZN7rocprim17ROCPRIM_400000_NS6detail17trampoline_kernelINS0_13select_configILj256ELj13ELNS0_17block_load_methodE3ELS4_3ELS4_3ELNS0_20block_scan_algorithmE0ELj4294967295EEENS1_25partition_config_selectorILNS1_17partition_subalgoE3EjNS0_10empty_typeEbEEZZNS1_14partition_implILS8_3ELb0ES6_jNS0_17counting_iteratorIjlEEPS9_SE_NS0_5tupleIJPjSE_EEENSF_IJSE_SE_EEES9_SG_JZNS1_25segmented_radix_sort_implINS0_14default_configELb0EPKiPiPKlPlN2at6native12_GLOBAL__N_18offset_tEEE10hipError_tPvRmT1_PNSt15iterator_traitsISY_E10value_typeET2_T3_PNSZ_IS14_E10value_typeET4_jRbjT5_S1A_jjP12ihipStream_tbEUljE_EEESV_SW_SX_S14_S18_S1A_T6_T7_T9_mT8_S1C_bDpT10_ENKUlT_T0_E_clISt17integral_constantIbLb0EES1O_IbLb1EEEEDaS1K_S1L_EUlS1K_E_NS1_11comp_targetILNS1_3genE4ELNS1_11target_archE910ELNS1_3gpuE8ELNS1_3repE0EEENS1_30default_config_static_selectorELNS0_4arch9wavefront6targetE0EEEvSY_
                                        ; -- End function
	.set _ZN7rocprim17ROCPRIM_400000_NS6detail17trampoline_kernelINS0_13select_configILj256ELj13ELNS0_17block_load_methodE3ELS4_3ELS4_3ELNS0_20block_scan_algorithmE0ELj4294967295EEENS1_25partition_config_selectorILNS1_17partition_subalgoE3EjNS0_10empty_typeEbEEZZNS1_14partition_implILS8_3ELb0ES6_jNS0_17counting_iteratorIjlEEPS9_SE_NS0_5tupleIJPjSE_EEENSF_IJSE_SE_EEES9_SG_JZNS1_25segmented_radix_sort_implINS0_14default_configELb0EPKiPiPKlPlN2at6native12_GLOBAL__N_18offset_tEEE10hipError_tPvRmT1_PNSt15iterator_traitsISY_E10value_typeET2_T3_PNSZ_IS14_E10value_typeET4_jRbjT5_S1A_jjP12ihipStream_tbEUljE_EEESV_SW_SX_S14_S18_S1A_T6_T7_T9_mT8_S1C_bDpT10_ENKUlT_T0_E_clISt17integral_constantIbLb0EES1O_IbLb1EEEEDaS1K_S1L_EUlS1K_E_NS1_11comp_targetILNS1_3genE4ELNS1_11target_archE910ELNS1_3gpuE8ELNS1_3repE0EEENS1_30default_config_static_selectorELNS0_4arch9wavefront6targetE0EEEvSY_.num_vgpr, 0
	.set _ZN7rocprim17ROCPRIM_400000_NS6detail17trampoline_kernelINS0_13select_configILj256ELj13ELNS0_17block_load_methodE3ELS4_3ELS4_3ELNS0_20block_scan_algorithmE0ELj4294967295EEENS1_25partition_config_selectorILNS1_17partition_subalgoE3EjNS0_10empty_typeEbEEZZNS1_14partition_implILS8_3ELb0ES6_jNS0_17counting_iteratorIjlEEPS9_SE_NS0_5tupleIJPjSE_EEENSF_IJSE_SE_EEES9_SG_JZNS1_25segmented_radix_sort_implINS0_14default_configELb0EPKiPiPKlPlN2at6native12_GLOBAL__N_18offset_tEEE10hipError_tPvRmT1_PNSt15iterator_traitsISY_E10value_typeET2_T3_PNSZ_IS14_E10value_typeET4_jRbjT5_S1A_jjP12ihipStream_tbEUljE_EEESV_SW_SX_S14_S18_S1A_T6_T7_T9_mT8_S1C_bDpT10_ENKUlT_T0_E_clISt17integral_constantIbLb0EES1O_IbLb1EEEEDaS1K_S1L_EUlS1K_E_NS1_11comp_targetILNS1_3genE4ELNS1_11target_archE910ELNS1_3gpuE8ELNS1_3repE0EEENS1_30default_config_static_selectorELNS0_4arch9wavefront6targetE0EEEvSY_.num_agpr, 0
	.set _ZN7rocprim17ROCPRIM_400000_NS6detail17trampoline_kernelINS0_13select_configILj256ELj13ELNS0_17block_load_methodE3ELS4_3ELS4_3ELNS0_20block_scan_algorithmE0ELj4294967295EEENS1_25partition_config_selectorILNS1_17partition_subalgoE3EjNS0_10empty_typeEbEEZZNS1_14partition_implILS8_3ELb0ES6_jNS0_17counting_iteratorIjlEEPS9_SE_NS0_5tupleIJPjSE_EEENSF_IJSE_SE_EEES9_SG_JZNS1_25segmented_radix_sort_implINS0_14default_configELb0EPKiPiPKlPlN2at6native12_GLOBAL__N_18offset_tEEE10hipError_tPvRmT1_PNSt15iterator_traitsISY_E10value_typeET2_T3_PNSZ_IS14_E10value_typeET4_jRbjT5_S1A_jjP12ihipStream_tbEUljE_EEESV_SW_SX_S14_S18_S1A_T6_T7_T9_mT8_S1C_bDpT10_ENKUlT_T0_E_clISt17integral_constantIbLb0EES1O_IbLb1EEEEDaS1K_S1L_EUlS1K_E_NS1_11comp_targetILNS1_3genE4ELNS1_11target_archE910ELNS1_3gpuE8ELNS1_3repE0EEENS1_30default_config_static_selectorELNS0_4arch9wavefront6targetE0EEEvSY_.numbered_sgpr, 0
	.set _ZN7rocprim17ROCPRIM_400000_NS6detail17trampoline_kernelINS0_13select_configILj256ELj13ELNS0_17block_load_methodE3ELS4_3ELS4_3ELNS0_20block_scan_algorithmE0ELj4294967295EEENS1_25partition_config_selectorILNS1_17partition_subalgoE3EjNS0_10empty_typeEbEEZZNS1_14partition_implILS8_3ELb0ES6_jNS0_17counting_iteratorIjlEEPS9_SE_NS0_5tupleIJPjSE_EEENSF_IJSE_SE_EEES9_SG_JZNS1_25segmented_radix_sort_implINS0_14default_configELb0EPKiPiPKlPlN2at6native12_GLOBAL__N_18offset_tEEE10hipError_tPvRmT1_PNSt15iterator_traitsISY_E10value_typeET2_T3_PNSZ_IS14_E10value_typeET4_jRbjT5_S1A_jjP12ihipStream_tbEUljE_EEESV_SW_SX_S14_S18_S1A_T6_T7_T9_mT8_S1C_bDpT10_ENKUlT_T0_E_clISt17integral_constantIbLb0EES1O_IbLb1EEEEDaS1K_S1L_EUlS1K_E_NS1_11comp_targetILNS1_3genE4ELNS1_11target_archE910ELNS1_3gpuE8ELNS1_3repE0EEENS1_30default_config_static_selectorELNS0_4arch9wavefront6targetE0EEEvSY_.num_named_barrier, 0
	.set _ZN7rocprim17ROCPRIM_400000_NS6detail17trampoline_kernelINS0_13select_configILj256ELj13ELNS0_17block_load_methodE3ELS4_3ELS4_3ELNS0_20block_scan_algorithmE0ELj4294967295EEENS1_25partition_config_selectorILNS1_17partition_subalgoE3EjNS0_10empty_typeEbEEZZNS1_14partition_implILS8_3ELb0ES6_jNS0_17counting_iteratorIjlEEPS9_SE_NS0_5tupleIJPjSE_EEENSF_IJSE_SE_EEES9_SG_JZNS1_25segmented_radix_sort_implINS0_14default_configELb0EPKiPiPKlPlN2at6native12_GLOBAL__N_18offset_tEEE10hipError_tPvRmT1_PNSt15iterator_traitsISY_E10value_typeET2_T3_PNSZ_IS14_E10value_typeET4_jRbjT5_S1A_jjP12ihipStream_tbEUljE_EEESV_SW_SX_S14_S18_S1A_T6_T7_T9_mT8_S1C_bDpT10_ENKUlT_T0_E_clISt17integral_constantIbLb0EES1O_IbLb1EEEEDaS1K_S1L_EUlS1K_E_NS1_11comp_targetILNS1_3genE4ELNS1_11target_archE910ELNS1_3gpuE8ELNS1_3repE0EEENS1_30default_config_static_selectorELNS0_4arch9wavefront6targetE0EEEvSY_.private_seg_size, 0
	.set _ZN7rocprim17ROCPRIM_400000_NS6detail17trampoline_kernelINS0_13select_configILj256ELj13ELNS0_17block_load_methodE3ELS4_3ELS4_3ELNS0_20block_scan_algorithmE0ELj4294967295EEENS1_25partition_config_selectorILNS1_17partition_subalgoE3EjNS0_10empty_typeEbEEZZNS1_14partition_implILS8_3ELb0ES6_jNS0_17counting_iteratorIjlEEPS9_SE_NS0_5tupleIJPjSE_EEENSF_IJSE_SE_EEES9_SG_JZNS1_25segmented_radix_sort_implINS0_14default_configELb0EPKiPiPKlPlN2at6native12_GLOBAL__N_18offset_tEEE10hipError_tPvRmT1_PNSt15iterator_traitsISY_E10value_typeET2_T3_PNSZ_IS14_E10value_typeET4_jRbjT5_S1A_jjP12ihipStream_tbEUljE_EEESV_SW_SX_S14_S18_S1A_T6_T7_T9_mT8_S1C_bDpT10_ENKUlT_T0_E_clISt17integral_constantIbLb0EES1O_IbLb1EEEEDaS1K_S1L_EUlS1K_E_NS1_11comp_targetILNS1_3genE4ELNS1_11target_archE910ELNS1_3gpuE8ELNS1_3repE0EEENS1_30default_config_static_selectorELNS0_4arch9wavefront6targetE0EEEvSY_.uses_vcc, 0
	.set _ZN7rocprim17ROCPRIM_400000_NS6detail17trampoline_kernelINS0_13select_configILj256ELj13ELNS0_17block_load_methodE3ELS4_3ELS4_3ELNS0_20block_scan_algorithmE0ELj4294967295EEENS1_25partition_config_selectorILNS1_17partition_subalgoE3EjNS0_10empty_typeEbEEZZNS1_14partition_implILS8_3ELb0ES6_jNS0_17counting_iteratorIjlEEPS9_SE_NS0_5tupleIJPjSE_EEENSF_IJSE_SE_EEES9_SG_JZNS1_25segmented_radix_sort_implINS0_14default_configELb0EPKiPiPKlPlN2at6native12_GLOBAL__N_18offset_tEEE10hipError_tPvRmT1_PNSt15iterator_traitsISY_E10value_typeET2_T3_PNSZ_IS14_E10value_typeET4_jRbjT5_S1A_jjP12ihipStream_tbEUljE_EEESV_SW_SX_S14_S18_S1A_T6_T7_T9_mT8_S1C_bDpT10_ENKUlT_T0_E_clISt17integral_constantIbLb0EES1O_IbLb1EEEEDaS1K_S1L_EUlS1K_E_NS1_11comp_targetILNS1_3genE4ELNS1_11target_archE910ELNS1_3gpuE8ELNS1_3repE0EEENS1_30default_config_static_selectorELNS0_4arch9wavefront6targetE0EEEvSY_.uses_flat_scratch, 0
	.set _ZN7rocprim17ROCPRIM_400000_NS6detail17trampoline_kernelINS0_13select_configILj256ELj13ELNS0_17block_load_methodE3ELS4_3ELS4_3ELNS0_20block_scan_algorithmE0ELj4294967295EEENS1_25partition_config_selectorILNS1_17partition_subalgoE3EjNS0_10empty_typeEbEEZZNS1_14partition_implILS8_3ELb0ES6_jNS0_17counting_iteratorIjlEEPS9_SE_NS0_5tupleIJPjSE_EEENSF_IJSE_SE_EEES9_SG_JZNS1_25segmented_radix_sort_implINS0_14default_configELb0EPKiPiPKlPlN2at6native12_GLOBAL__N_18offset_tEEE10hipError_tPvRmT1_PNSt15iterator_traitsISY_E10value_typeET2_T3_PNSZ_IS14_E10value_typeET4_jRbjT5_S1A_jjP12ihipStream_tbEUljE_EEESV_SW_SX_S14_S18_S1A_T6_T7_T9_mT8_S1C_bDpT10_ENKUlT_T0_E_clISt17integral_constantIbLb0EES1O_IbLb1EEEEDaS1K_S1L_EUlS1K_E_NS1_11comp_targetILNS1_3genE4ELNS1_11target_archE910ELNS1_3gpuE8ELNS1_3repE0EEENS1_30default_config_static_selectorELNS0_4arch9wavefront6targetE0EEEvSY_.has_dyn_sized_stack, 0
	.set _ZN7rocprim17ROCPRIM_400000_NS6detail17trampoline_kernelINS0_13select_configILj256ELj13ELNS0_17block_load_methodE3ELS4_3ELS4_3ELNS0_20block_scan_algorithmE0ELj4294967295EEENS1_25partition_config_selectorILNS1_17partition_subalgoE3EjNS0_10empty_typeEbEEZZNS1_14partition_implILS8_3ELb0ES6_jNS0_17counting_iteratorIjlEEPS9_SE_NS0_5tupleIJPjSE_EEENSF_IJSE_SE_EEES9_SG_JZNS1_25segmented_radix_sort_implINS0_14default_configELb0EPKiPiPKlPlN2at6native12_GLOBAL__N_18offset_tEEE10hipError_tPvRmT1_PNSt15iterator_traitsISY_E10value_typeET2_T3_PNSZ_IS14_E10value_typeET4_jRbjT5_S1A_jjP12ihipStream_tbEUljE_EEESV_SW_SX_S14_S18_S1A_T6_T7_T9_mT8_S1C_bDpT10_ENKUlT_T0_E_clISt17integral_constantIbLb0EES1O_IbLb1EEEEDaS1K_S1L_EUlS1K_E_NS1_11comp_targetILNS1_3genE4ELNS1_11target_archE910ELNS1_3gpuE8ELNS1_3repE0EEENS1_30default_config_static_selectorELNS0_4arch9wavefront6targetE0EEEvSY_.has_recursion, 0
	.set _ZN7rocprim17ROCPRIM_400000_NS6detail17trampoline_kernelINS0_13select_configILj256ELj13ELNS0_17block_load_methodE3ELS4_3ELS4_3ELNS0_20block_scan_algorithmE0ELj4294967295EEENS1_25partition_config_selectorILNS1_17partition_subalgoE3EjNS0_10empty_typeEbEEZZNS1_14partition_implILS8_3ELb0ES6_jNS0_17counting_iteratorIjlEEPS9_SE_NS0_5tupleIJPjSE_EEENSF_IJSE_SE_EEES9_SG_JZNS1_25segmented_radix_sort_implINS0_14default_configELb0EPKiPiPKlPlN2at6native12_GLOBAL__N_18offset_tEEE10hipError_tPvRmT1_PNSt15iterator_traitsISY_E10value_typeET2_T3_PNSZ_IS14_E10value_typeET4_jRbjT5_S1A_jjP12ihipStream_tbEUljE_EEESV_SW_SX_S14_S18_S1A_T6_T7_T9_mT8_S1C_bDpT10_ENKUlT_T0_E_clISt17integral_constantIbLb0EES1O_IbLb1EEEEDaS1K_S1L_EUlS1K_E_NS1_11comp_targetILNS1_3genE4ELNS1_11target_archE910ELNS1_3gpuE8ELNS1_3repE0EEENS1_30default_config_static_selectorELNS0_4arch9wavefront6targetE0EEEvSY_.has_indirect_call, 0
	.section	.AMDGPU.csdata,"",@progbits
; Kernel info:
; codeLenInByte = 0
; TotalNumSgprs: 0
; NumVgprs: 0
; ScratchSize: 0
; MemoryBound: 0
; FloatMode: 240
; IeeeMode: 1
; LDSByteSize: 0 bytes/workgroup (compile time only)
; SGPRBlocks: 0
; VGPRBlocks: 0
; NumSGPRsForWavesPerEU: 1
; NumVGPRsForWavesPerEU: 1
; Occupancy: 16
; WaveLimiterHint : 0
; COMPUTE_PGM_RSRC2:SCRATCH_EN: 0
; COMPUTE_PGM_RSRC2:USER_SGPR: 2
; COMPUTE_PGM_RSRC2:TRAP_HANDLER: 0
; COMPUTE_PGM_RSRC2:TGID_X_EN: 1
; COMPUTE_PGM_RSRC2:TGID_Y_EN: 0
; COMPUTE_PGM_RSRC2:TGID_Z_EN: 0
; COMPUTE_PGM_RSRC2:TIDIG_COMP_CNT: 0
	.section	.text._ZN7rocprim17ROCPRIM_400000_NS6detail17trampoline_kernelINS0_13select_configILj256ELj13ELNS0_17block_load_methodE3ELS4_3ELS4_3ELNS0_20block_scan_algorithmE0ELj4294967295EEENS1_25partition_config_selectorILNS1_17partition_subalgoE3EjNS0_10empty_typeEbEEZZNS1_14partition_implILS8_3ELb0ES6_jNS0_17counting_iteratorIjlEEPS9_SE_NS0_5tupleIJPjSE_EEENSF_IJSE_SE_EEES9_SG_JZNS1_25segmented_radix_sort_implINS0_14default_configELb0EPKiPiPKlPlN2at6native12_GLOBAL__N_18offset_tEEE10hipError_tPvRmT1_PNSt15iterator_traitsISY_E10value_typeET2_T3_PNSZ_IS14_E10value_typeET4_jRbjT5_S1A_jjP12ihipStream_tbEUljE_EEESV_SW_SX_S14_S18_S1A_T6_T7_T9_mT8_S1C_bDpT10_ENKUlT_T0_E_clISt17integral_constantIbLb0EES1O_IbLb1EEEEDaS1K_S1L_EUlS1K_E_NS1_11comp_targetILNS1_3genE3ELNS1_11target_archE908ELNS1_3gpuE7ELNS1_3repE0EEENS1_30default_config_static_selectorELNS0_4arch9wavefront6targetE0EEEvSY_,"axG",@progbits,_ZN7rocprim17ROCPRIM_400000_NS6detail17trampoline_kernelINS0_13select_configILj256ELj13ELNS0_17block_load_methodE3ELS4_3ELS4_3ELNS0_20block_scan_algorithmE0ELj4294967295EEENS1_25partition_config_selectorILNS1_17partition_subalgoE3EjNS0_10empty_typeEbEEZZNS1_14partition_implILS8_3ELb0ES6_jNS0_17counting_iteratorIjlEEPS9_SE_NS0_5tupleIJPjSE_EEENSF_IJSE_SE_EEES9_SG_JZNS1_25segmented_radix_sort_implINS0_14default_configELb0EPKiPiPKlPlN2at6native12_GLOBAL__N_18offset_tEEE10hipError_tPvRmT1_PNSt15iterator_traitsISY_E10value_typeET2_T3_PNSZ_IS14_E10value_typeET4_jRbjT5_S1A_jjP12ihipStream_tbEUljE_EEESV_SW_SX_S14_S18_S1A_T6_T7_T9_mT8_S1C_bDpT10_ENKUlT_T0_E_clISt17integral_constantIbLb0EES1O_IbLb1EEEEDaS1K_S1L_EUlS1K_E_NS1_11comp_targetILNS1_3genE3ELNS1_11target_archE908ELNS1_3gpuE7ELNS1_3repE0EEENS1_30default_config_static_selectorELNS0_4arch9wavefront6targetE0EEEvSY_,comdat
	.globl	_ZN7rocprim17ROCPRIM_400000_NS6detail17trampoline_kernelINS0_13select_configILj256ELj13ELNS0_17block_load_methodE3ELS4_3ELS4_3ELNS0_20block_scan_algorithmE0ELj4294967295EEENS1_25partition_config_selectorILNS1_17partition_subalgoE3EjNS0_10empty_typeEbEEZZNS1_14partition_implILS8_3ELb0ES6_jNS0_17counting_iteratorIjlEEPS9_SE_NS0_5tupleIJPjSE_EEENSF_IJSE_SE_EEES9_SG_JZNS1_25segmented_radix_sort_implINS0_14default_configELb0EPKiPiPKlPlN2at6native12_GLOBAL__N_18offset_tEEE10hipError_tPvRmT1_PNSt15iterator_traitsISY_E10value_typeET2_T3_PNSZ_IS14_E10value_typeET4_jRbjT5_S1A_jjP12ihipStream_tbEUljE_EEESV_SW_SX_S14_S18_S1A_T6_T7_T9_mT8_S1C_bDpT10_ENKUlT_T0_E_clISt17integral_constantIbLb0EES1O_IbLb1EEEEDaS1K_S1L_EUlS1K_E_NS1_11comp_targetILNS1_3genE3ELNS1_11target_archE908ELNS1_3gpuE7ELNS1_3repE0EEENS1_30default_config_static_selectorELNS0_4arch9wavefront6targetE0EEEvSY_ ; -- Begin function _ZN7rocprim17ROCPRIM_400000_NS6detail17trampoline_kernelINS0_13select_configILj256ELj13ELNS0_17block_load_methodE3ELS4_3ELS4_3ELNS0_20block_scan_algorithmE0ELj4294967295EEENS1_25partition_config_selectorILNS1_17partition_subalgoE3EjNS0_10empty_typeEbEEZZNS1_14partition_implILS8_3ELb0ES6_jNS0_17counting_iteratorIjlEEPS9_SE_NS0_5tupleIJPjSE_EEENSF_IJSE_SE_EEES9_SG_JZNS1_25segmented_radix_sort_implINS0_14default_configELb0EPKiPiPKlPlN2at6native12_GLOBAL__N_18offset_tEEE10hipError_tPvRmT1_PNSt15iterator_traitsISY_E10value_typeET2_T3_PNSZ_IS14_E10value_typeET4_jRbjT5_S1A_jjP12ihipStream_tbEUljE_EEESV_SW_SX_S14_S18_S1A_T6_T7_T9_mT8_S1C_bDpT10_ENKUlT_T0_E_clISt17integral_constantIbLb0EES1O_IbLb1EEEEDaS1K_S1L_EUlS1K_E_NS1_11comp_targetILNS1_3genE3ELNS1_11target_archE908ELNS1_3gpuE7ELNS1_3repE0EEENS1_30default_config_static_selectorELNS0_4arch9wavefront6targetE0EEEvSY_
	.p2align	8
	.type	_ZN7rocprim17ROCPRIM_400000_NS6detail17trampoline_kernelINS0_13select_configILj256ELj13ELNS0_17block_load_methodE3ELS4_3ELS4_3ELNS0_20block_scan_algorithmE0ELj4294967295EEENS1_25partition_config_selectorILNS1_17partition_subalgoE3EjNS0_10empty_typeEbEEZZNS1_14partition_implILS8_3ELb0ES6_jNS0_17counting_iteratorIjlEEPS9_SE_NS0_5tupleIJPjSE_EEENSF_IJSE_SE_EEES9_SG_JZNS1_25segmented_radix_sort_implINS0_14default_configELb0EPKiPiPKlPlN2at6native12_GLOBAL__N_18offset_tEEE10hipError_tPvRmT1_PNSt15iterator_traitsISY_E10value_typeET2_T3_PNSZ_IS14_E10value_typeET4_jRbjT5_S1A_jjP12ihipStream_tbEUljE_EEESV_SW_SX_S14_S18_S1A_T6_T7_T9_mT8_S1C_bDpT10_ENKUlT_T0_E_clISt17integral_constantIbLb0EES1O_IbLb1EEEEDaS1K_S1L_EUlS1K_E_NS1_11comp_targetILNS1_3genE3ELNS1_11target_archE908ELNS1_3gpuE7ELNS1_3repE0EEENS1_30default_config_static_selectorELNS0_4arch9wavefront6targetE0EEEvSY_,@function
_ZN7rocprim17ROCPRIM_400000_NS6detail17trampoline_kernelINS0_13select_configILj256ELj13ELNS0_17block_load_methodE3ELS4_3ELS4_3ELNS0_20block_scan_algorithmE0ELj4294967295EEENS1_25partition_config_selectorILNS1_17partition_subalgoE3EjNS0_10empty_typeEbEEZZNS1_14partition_implILS8_3ELb0ES6_jNS0_17counting_iteratorIjlEEPS9_SE_NS0_5tupleIJPjSE_EEENSF_IJSE_SE_EEES9_SG_JZNS1_25segmented_radix_sort_implINS0_14default_configELb0EPKiPiPKlPlN2at6native12_GLOBAL__N_18offset_tEEE10hipError_tPvRmT1_PNSt15iterator_traitsISY_E10value_typeET2_T3_PNSZ_IS14_E10value_typeET4_jRbjT5_S1A_jjP12ihipStream_tbEUljE_EEESV_SW_SX_S14_S18_S1A_T6_T7_T9_mT8_S1C_bDpT10_ENKUlT_T0_E_clISt17integral_constantIbLb0EES1O_IbLb1EEEEDaS1K_S1L_EUlS1K_E_NS1_11comp_targetILNS1_3genE3ELNS1_11target_archE908ELNS1_3gpuE7ELNS1_3repE0EEENS1_30default_config_static_selectorELNS0_4arch9wavefront6targetE0EEEvSY_: ; @_ZN7rocprim17ROCPRIM_400000_NS6detail17trampoline_kernelINS0_13select_configILj256ELj13ELNS0_17block_load_methodE3ELS4_3ELS4_3ELNS0_20block_scan_algorithmE0ELj4294967295EEENS1_25partition_config_selectorILNS1_17partition_subalgoE3EjNS0_10empty_typeEbEEZZNS1_14partition_implILS8_3ELb0ES6_jNS0_17counting_iteratorIjlEEPS9_SE_NS0_5tupleIJPjSE_EEENSF_IJSE_SE_EEES9_SG_JZNS1_25segmented_radix_sort_implINS0_14default_configELb0EPKiPiPKlPlN2at6native12_GLOBAL__N_18offset_tEEE10hipError_tPvRmT1_PNSt15iterator_traitsISY_E10value_typeET2_T3_PNSZ_IS14_E10value_typeET4_jRbjT5_S1A_jjP12ihipStream_tbEUljE_EEESV_SW_SX_S14_S18_S1A_T6_T7_T9_mT8_S1C_bDpT10_ENKUlT_T0_E_clISt17integral_constantIbLb0EES1O_IbLb1EEEEDaS1K_S1L_EUlS1K_E_NS1_11comp_targetILNS1_3genE3ELNS1_11target_archE908ELNS1_3gpuE7ELNS1_3repE0EEENS1_30default_config_static_selectorELNS0_4arch9wavefront6targetE0EEEvSY_
; %bb.0:
	.section	.rodata,"a",@progbits
	.p2align	6, 0x0
	.amdhsa_kernel _ZN7rocprim17ROCPRIM_400000_NS6detail17trampoline_kernelINS0_13select_configILj256ELj13ELNS0_17block_load_methodE3ELS4_3ELS4_3ELNS0_20block_scan_algorithmE0ELj4294967295EEENS1_25partition_config_selectorILNS1_17partition_subalgoE3EjNS0_10empty_typeEbEEZZNS1_14partition_implILS8_3ELb0ES6_jNS0_17counting_iteratorIjlEEPS9_SE_NS0_5tupleIJPjSE_EEENSF_IJSE_SE_EEES9_SG_JZNS1_25segmented_radix_sort_implINS0_14default_configELb0EPKiPiPKlPlN2at6native12_GLOBAL__N_18offset_tEEE10hipError_tPvRmT1_PNSt15iterator_traitsISY_E10value_typeET2_T3_PNSZ_IS14_E10value_typeET4_jRbjT5_S1A_jjP12ihipStream_tbEUljE_EEESV_SW_SX_S14_S18_S1A_T6_T7_T9_mT8_S1C_bDpT10_ENKUlT_T0_E_clISt17integral_constantIbLb0EES1O_IbLb1EEEEDaS1K_S1L_EUlS1K_E_NS1_11comp_targetILNS1_3genE3ELNS1_11target_archE908ELNS1_3gpuE7ELNS1_3repE0EEENS1_30default_config_static_selectorELNS0_4arch9wavefront6targetE0EEEvSY_
		.amdhsa_group_segment_fixed_size 0
		.amdhsa_private_segment_fixed_size 0
		.amdhsa_kernarg_size 152
		.amdhsa_user_sgpr_count 2
		.amdhsa_user_sgpr_dispatch_ptr 0
		.amdhsa_user_sgpr_queue_ptr 0
		.amdhsa_user_sgpr_kernarg_segment_ptr 1
		.amdhsa_user_sgpr_dispatch_id 0
		.amdhsa_user_sgpr_private_segment_size 0
		.amdhsa_wavefront_size32 1
		.amdhsa_uses_dynamic_stack 0
		.amdhsa_enable_private_segment 0
		.amdhsa_system_sgpr_workgroup_id_x 1
		.amdhsa_system_sgpr_workgroup_id_y 0
		.amdhsa_system_sgpr_workgroup_id_z 0
		.amdhsa_system_sgpr_workgroup_info 0
		.amdhsa_system_vgpr_workitem_id 0
		.amdhsa_next_free_vgpr 1
		.amdhsa_next_free_sgpr 1
		.amdhsa_reserve_vcc 0
		.amdhsa_float_round_mode_32 0
		.amdhsa_float_round_mode_16_64 0
		.amdhsa_float_denorm_mode_32 3
		.amdhsa_float_denorm_mode_16_64 3
		.amdhsa_fp16_overflow 0
		.amdhsa_workgroup_processor_mode 1
		.amdhsa_memory_ordered 1
		.amdhsa_forward_progress 1
		.amdhsa_inst_pref_size 0
		.amdhsa_round_robin_scheduling 0
		.amdhsa_exception_fp_ieee_invalid_op 0
		.amdhsa_exception_fp_denorm_src 0
		.amdhsa_exception_fp_ieee_div_zero 0
		.amdhsa_exception_fp_ieee_overflow 0
		.amdhsa_exception_fp_ieee_underflow 0
		.amdhsa_exception_fp_ieee_inexact 0
		.amdhsa_exception_int_div_zero 0
	.end_amdhsa_kernel
	.section	.text._ZN7rocprim17ROCPRIM_400000_NS6detail17trampoline_kernelINS0_13select_configILj256ELj13ELNS0_17block_load_methodE3ELS4_3ELS4_3ELNS0_20block_scan_algorithmE0ELj4294967295EEENS1_25partition_config_selectorILNS1_17partition_subalgoE3EjNS0_10empty_typeEbEEZZNS1_14partition_implILS8_3ELb0ES6_jNS0_17counting_iteratorIjlEEPS9_SE_NS0_5tupleIJPjSE_EEENSF_IJSE_SE_EEES9_SG_JZNS1_25segmented_radix_sort_implINS0_14default_configELb0EPKiPiPKlPlN2at6native12_GLOBAL__N_18offset_tEEE10hipError_tPvRmT1_PNSt15iterator_traitsISY_E10value_typeET2_T3_PNSZ_IS14_E10value_typeET4_jRbjT5_S1A_jjP12ihipStream_tbEUljE_EEESV_SW_SX_S14_S18_S1A_T6_T7_T9_mT8_S1C_bDpT10_ENKUlT_T0_E_clISt17integral_constantIbLb0EES1O_IbLb1EEEEDaS1K_S1L_EUlS1K_E_NS1_11comp_targetILNS1_3genE3ELNS1_11target_archE908ELNS1_3gpuE7ELNS1_3repE0EEENS1_30default_config_static_selectorELNS0_4arch9wavefront6targetE0EEEvSY_,"axG",@progbits,_ZN7rocprim17ROCPRIM_400000_NS6detail17trampoline_kernelINS0_13select_configILj256ELj13ELNS0_17block_load_methodE3ELS4_3ELS4_3ELNS0_20block_scan_algorithmE0ELj4294967295EEENS1_25partition_config_selectorILNS1_17partition_subalgoE3EjNS0_10empty_typeEbEEZZNS1_14partition_implILS8_3ELb0ES6_jNS0_17counting_iteratorIjlEEPS9_SE_NS0_5tupleIJPjSE_EEENSF_IJSE_SE_EEES9_SG_JZNS1_25segmented_radix_sort_implINS0_14default_configELb0EPKiPiPKlPlN2at6native12_GLOBAL__N_18offset_tEEE10hipError_tPvRmT1_PNSt15iterator_traitsISY_E10value_typeET2_T3_PNSZ_IS14_E10value_typeET4_jRbjT5_S1A_jjP12ihipStream_tbEUljE_EEESV_SW_SX_S14_S18_S1A_T6_T7_T9_mT8_S1C_bDpT10_ENKUlT_T0_E_clISt17integral_constantIbLb0EES1O_IbLb1EEEEDaS1K_S1L_EUlS1K_E_NS1_11comp_targetILNS1_3genE3ELNS1_11target_archE908ELNS1_3gpuE7ELNS1_3repE0EEENS1_30default_config_static_selectorELNS0_4arch9wavefront6targetE0EEEvSY_,comdat
.Lfunc_end595:
	.size	_ZN7rocprim17ROCPRIM_400000_NS6detail17trampoline_kernelINS0_13select_configILj256ELj13ELNS0_17block_load_methodE3ELS4_3ELS4_3ELNS0_20block_scan_algorithmE0ELj4294967295EEENS1_25partition_config_selectorILNS1_17partition_subalgoE3EjNS0_10empty_typeEbEEZZNS1_14partition_implILS8_3ELb0ES6_jNS0_17counting_iteratorIjlEEPS9_SE_NS0_5tupleIJPjSE_EEENSF_IJSE_SE_EEES9_SG_JZNS1_25segmented_radix_sort_implINS0_14default_configELb0EPKiPiPKlPlN2at6native12_GLOBAL__N_18offset_tEEE10hipError_tPvRmT1_PNSt15iterator_traitsISY_E10value_typeET2_T3_PNSZ_IS14_E10value_typeET4_jRbjT5_S1A_jjP12ihipStream_tbEUljE_EEESV_SW_SX_S14_S18_S1A_T6_T7_T9_mT8_S1C_bDpT10_ENKUlT_T0_E_clISt17integral_constantIbLb0EES1O_IbLb1EEEEDaS1K_S1L_EUlS1K_E_NS1_11comp_targetILNS1_3genE3ELNS1_11target_archE908ELNS1_3gpuE7ELNS1_3repE0EEENS1_30default_config_static_selectorELNS0_4arch9wavefront6targetE0EEEvSY_, .Lfunc_end595-_ZN7rocprim17ROCPRIM_400000_NS6detail17trampoline_kernelINS0_13select_configILj256ELj13ELNS0_17block_load_methodE3ELS4_3ELS4_3ELNS0_20block_scan_algorithmE0ELj4294967295EEENS1_25partition_config_selectorILNS1_17partition_subalgoE3EjNS0_10empty_typeEbEEZZNS1_14partition_implILS8_3ELb0ES6_jNS0_17counting_iteratorIjlEEPS9_SE_NS0_5tupleIJPjSE_EEENSF_IJSE_SE_EEES9_SG_JZNS1_25segmented_radix_sort_implINS0_14default_configELb0EPKiPiPKlPlN2at6native12_GLOBAL__N_18offset_tEEE10hipError_tPvRmT1_PNSt15iterator_traitsISY_E10value_typeET2_T3_PNSZ_IS14_E10value_typeET4_jRbjT5_S1A_jjP12ihipStream_tbEUljE_EEESV_SW_SX_S14_S18_S1A_T6_T7_T9_mT8_S1C_bDpT10_ENKUlT_T0_E_clISt17integral_constantIbLb0EES1O_IbLb1EEEEDaS1K_S1L_EUlS1K_E_NS1_11comp_targetILNS1_3genE3ELNS1_11target_archE908ELNS1_3gpuE7ELNS1_3repE0EEENS1_30default_config_static_selectorELNS0_4arch9wavefront6targetE0EEEvSY_
                                        ; -- End function
	.set _ZN7rocprim17ROCPRIM_400000_NS6detail17trampoline_kernelINS0_13select_configILj256ELj13ELNS0_17block_load_methodE3ELS4_3ELS4_3ELNS0_20block_scan_algorithmE0ELj4294967295EEENS1_25partition_config_selectorILNS1_17partition_subalgoE3EjNS0_10empty_typeEbEEZZNS1_14partition_implILS8_3ELb0ES6_jNS0_17counting_iteratorIjlEEPS9_SE_NS0_5tupleIJPjSE_EEENSF_IJSE_SE_EEES9_SG_JZNS1_25segmented_radix_sort_implINS0_14default_configELb0EPKiPiPKlPlN2at6native12_GLOBAL__N_18offset_tEEE10hipError_tPvRmT1_PNSt15iterator_traitsISY_E10value_typeET2_T3_PNSZ_IS14_E10value_typeET4_jRbjT5_S1A_jjP12ihipStream_tbEUljE_EEESV_SW_SX_S14_S18_S1A_T6_T7_T9_mT8_S1C_bDpT10_ENKUlT_T0_E_clISt17integral_constantIbLb0EES1O_IbLb1EEEEDaS1K_S1L_EUlS1K_E_NS1_11comp_targetILNS1_3genE3ELNS1_11target_archE908ELNS1_3gpuE7ELNS1_3repE0EEENS1_30default_config_static_selectorELNS0_4arch9wavefront6targetE0EEEvSY_.num_vgpr, 0
	.set _ZN7rocprim17ROCPRIM_400000_NS6detail17trampoline_kernelINS0_13select_configILj256ELj13ELNS0_17block_load_methodE3ELS4_3ELS4_3ELNS0_20block_scan_algorithmE0ELj4294967295EEENS1_25partition_config_selectorILNS1_17partition_subalgoE3EjNS0_10empty_typeEbEEZZNS1_14partition_implILS8_3ELb0ES6_jNS0_17counting_iteratorIjlEEPS9_SE_NS0_5tupleIJPjSE_EEENSF_IJSE_SE_EEES9_SG_JZNS1_25segmented_radix_sort_implINS0_14default_configELb0EPKiPiPKlPlN2at6native12_GLOBAL__N_18offset_tEEE10hipError_tPvRmT1_PNSt15iterator_traitsISY_E10value_typeET2_T3_PNSZ_IS14_E10value_typeET4_jRbjT5_S1A_jjP12ihipStream_tbEUljE_EEESV_SW_SX_S14_S18_S1A_T6_T7_T9_mT8_S1C_bDpT10_ENKUlT_T0_E_clISt17integral_constantIbLb0EES1O_IbLb1EEEEDaS1K_S1L_EUlS1K_E_NS1_11comp_targetILNS1_3genE3ELNS1_11target_archE908ELNS1_3gpuE7ELNS1_3repE0EEENS1_30default_config_static_selectorELNS0_4arch9wavefront6targetE0EEEvSY_.num_agpr, 0
	.set _ZN7rocprim17ROCPRIM_400000_NS6detail17trampoline_kernelINS0_13select_configILj256ELj13ELNS0_17block_load_methodE3ELS4_3ELS4_3ELNS0_20block_scan_algorithmE0ELj4294967295EEENS1_25partition_config_selectorILNS1_17partition_subalgoE3EjNS0_10empty_typeEbEEZZNS1_14partition_implILS8_3ELb0ES6_jNS0_17counting_iteratorIjlEEPS9_SE_NS0_5tupleIJPjSE_EEENSF_IJSE_SE_EEES9_SG_JZNS1_25segmented_radix_sort_implINS0_14default_configELb0EPKiPiPKlPlN2at6native12_GLOBAL__N_18offset_tEEE10hipError_tPvRmT1_PNSt15iterator_traitsISY_E10value_typeET2_T3_PNSZ_IS14_E10value_typeET4_jRbjT5_S1A_jjP12ihipStream_tbEUljE_EEESV_SW_SX_S14_S18_S1A_T6_T7_T9_mT8_S1C_bDpT10_ENKUlT_T0_E_clISt17integral_constantIbLb0EES1O_IbLb1EEEEDaS1K_S1L_EUlS1K_E_NS1_11comp_targetILNS1_3genE3ELNS1_11target_archE908ELNS1_3gpuE7ELNS1_3repE0EEENS1_30default_config_static_selectorELNS0_4arch9wavefront6targetE0EEEvSY_.numbered_sgpr, 0
	.set _ZN7rocprim17ROCPRIM_400000_NS6detail17trampoline_kernelINS0_13select_configILj256ELj13ELNS0_17block_load_methodE3ELS4_3ELS4_3ELNS0_20block_scan_algorithmE0ELj4294967295EEENS1_25partition_config_selectorILNS1_17partition_subalgoE3EjNS0_10empty_typeEbEEZZNS1_14partition_implILS8_3ELb0ES6_jNS0_17counting_iteratorIjlEEPS9_SE_NS0_5tupleIJPjSE_EEENSF_IJSE_SE_EEES9_SG_JZNS1_25segmented_radix_sort_implINS0_14default_configELb0EPKiPiPKlPlN2at6native12_GLOBAL__N_18offset_tEEE10hipError_tPvRmT1_PNSt15iterator_traitsISY_E10value_typeET2_T3_PNSZ_IS14_E10value_typeET4_jRbjT5_S1A_jjP12ihipStream_tbEUljE_EEESV_SW_SX_S14_S18_S1A_T6_T7_T9_mT8_S1C_bDpT10_ENKUlT_T0_E_clISt17integral_constantIbLb0EES1O_IbLb1EEEEDaS1K_S1L_EUlS1K_E_NS1_11comp_targetILNS1_3genE3ELNS1_11target_archE908ELNS1_3gpuE7ELNS1_3repE0EEENS1_30default_config_static_selectorELNS0_4arch9wavefront6targetE0EEEvSY_.num_named_barrier, 0
	.set _ZN7rocprim17ROCPRIM_400000_NS6detail17trampoline_kernelINS0_13select_configILj256ELj13ELNS0_17block_load_methodE3ELS4_3ELS4_3ELNS0_20block_scan_algorithmE0ELj4294967295EEENS1_25partition_config_selectorILNS1_17partition_subalgoE3EjNS0_10empty_typeEbEEZZNS1_14partition_implILS8_3ELb0ES6_jNS0_17counting_iteratorIjlEEPS9_SE_NS0_5tupleIJPjSE_EEENSF_IJSE_SE_EEES9_SG_JZNS1_25segmented_radix_sort_implINS0_14default_configELb0EPKiPiPKlPlN2at6native12_GLOBAL__N_18offset_tEEE10hipError_tPvRmT1_PNSt15iterator_traitsISY_E10value_typeET2_T3_PNSZ_IS14_E10value_typeET4_jRbjT5_S1A_jjP12ihipStream_tbEUljE_EEESV_SW_SX_S14_S18_S1A_T6_T7_T9_mT8_S1C_bDpT10_ENKUlT_T0_E_clISt17integral_constantIbLb0EES1O_IbLb1EEEEDaS1K_S1L_EUlS1K_E_NS1_11comp_targetILNS1_3genE3ELNS1_11target_archE908ELNS1_3gpuE7ELNS1_3repE0EEENS1_30default_config_static_selectorELNS0_4arch9wavefront6targetE0EEEvSY_.private_seg_size, 0
	.set _ZN7rocprim17ROCPRIM_400000_NS6detail17trampoline_kernelINS0_13select_configILj256ELj13ELNS0_17block_load_methodE3ELS4_3ELS4_3ELNS0_20block_scan_algorithmE0ELj4294967295EEENS1_25partition_config_selectorILNS1_17partition_subalgoE3EjNS0_10empty_typeEbEEZZNS1_14partition_implILS8_3ELb0ES6_jNS0_17counting_iteratorIjlEEPS9_SE_NS0_5tupleIJPjSE_EEENSF_IJSE_SE_EEES9_SG_JZNS1_25segmented_radix_sort_implINS0_14default_configELb0EPKiPiPKlPlN2at6native12_GLOBAL__N_18offset_tEEE10hipError_tPvRmT1_PNSt15iterator_traitsISY_E10value_typeET2_T3_PNSZ_IS14_E10value_typeET4_jRbjT5_S1A_jjP12ihipStream_tbEUljE_EEESV_SW_SX_S14_S18_S1A_T6_T7_T9_mT8_S1C_bDpT10_ENKUlT_T0_E_clISt17integral_constantIbLb0EES1O_IbLb1EEEEDaS1K_S1L_EUlS1K_E_NS1_11comp_targetILNS1_3genE3ELNS1_11target_archE908ELNS1_3gpuE7ELNS1_3repE0EEENS1_30default_config_static_selectorELNS0_4arch9wavefront6targetE0EEEvSY_.uses_vcc, 0
	.set _ZN7rocprim17ROCPRIM_400000_NS6detail17trampoline_kernelINS0_13select_configILj256ELj13ELNS0_17block_load_methodE3ELS4_3ELS4_3ELNS0_20block_scan_algorithmE0ELj4294967295EEENS1_25partition_config_selectorILNS1_17partition_subalgoE3EjNS0_10empty_typeEbEEZZNS1_14partition_implILS8_3ELb0ES6_jNS0_17counting_iteratorIjlEEPS9_SE_NS0_5tupleIJPjSE_EEENSF_IJSE_SE_EEES9_SG_JZNS1_25segmented_radix_sort_implINS0_14default_configELb0EPKiPiPKlPlN2at6native12_GLOBAL__N_18offset_tEEE10hipError_tPvRmT1_PNSt15iterator_traitsISY_E10value_typeET2_T3_PNSZ_IS14_E10value_typeET4_jRbjT5_S1A_jjP12ihipStream_tbEUljE_EEESV_SW_SX_S14_S18_S1A_T6_T7_T9_mT8_S1C_bDpT10_ENKUlT_T0_E_clISt17integral_constantIbLb0EES1O_IbLb1EEEEDaS1K_S1L_EUlS1K_E_NS1_11comp_targetILNS1_3genE3ELNS1_11target_archE908ELNS1_3gpuE7ELNS1_3repE0EEENS1_30default_config_static_selectorELNS0_4arch9wavefront6targetE0EEEvSY_.uses_flat_scratch, 0
	.set _ZN7rocprim17ROCPRIM_400000_NS6detail17trampoline_kernelINS0_13select_configILj256ELj13ELNS0_17block_load_methodE3ELS4_3ELS4_3ELNS0_20block_scan_algorithmE0ELj4294967295EEENS1_25partition_config_selectorILNS1_17partition_subalgoE3EjNS0_10empty_typeEbEEZZNS1_14partition_implILS8_3ELb0ES6_jNS0_17counting_iteratorIjlEEPS9_SE_NS0_5tupleIJPjSE_EEENSF_IJSE_SE_EEES9_SG_JZNS1_25segmented_radix_sort_implINS0_14default_configELb0EPKiPiPKlPlN2at6native12_GLOBAL__N_18offset_tEEE10hipError_tPvRmT1_PNSt15iterator_traitsISY_E10value_typeET2_T3_PNSZ_IS14_E10value_typeET4_jRbjT5_S1A_jjP12ihipStream_tbEUljE_EEESV_SW_SX_S14_S18_S1A_T6_T7_T9_mT8_S1C_bDpT10_ENKUlT_T0_E_clISt17integral_constantIbLb0EES1O_IbLb1EEEEDaS1K_S1L_EUlS1K_E_NS1_11comp_targetILNS1_3genE3ELNS1_11target_archE908ELNS1_3gpuE7ELNS1_3repE0EEENS1_30default_config_static_selectorELNS0_4arch9wavefront6targetE0EEEvSY_.has_dyn_sized_stack, 0
	.set _ZN7rocprim17ROCPRIM_400000_NS6detail17trampoline_kernelINS0_13select_configILj256ELj13ELNS0_17block_load_methodE3ELS4_3ELS4_3ELNS0_20block_scan_algorithmE0ELj4294967295EEENS1_25partition_config_selectorILNS1_17partition_subalgoE3EjNS0_10empty_typeEbEEZZNS1_14partition_implILS8_3ELb0ES6_jNS0_17counting_iteratorIjlEEPS9_SE_NS0_5tupleIJPjSE_EEENSF_IJSE_SE_EEES9_SG_JZNS1_25segmented_radix_sort_implINS0_14default_configELb0EPKiPiPKlPlN2at6native12_GLOBAL__N_18offset_tEEE10hipError_tPvRmT1_PNSt15iterator_traitsISY_E10value_typeET2_T3_PNSZ_IS14_E10value_typeET4_jRbjT5_S1A_jjP12ihipStream_tbEUljE_EEESV_SW_SX_S14_S18_S1A_T6_T7_T9_mT8_S1C_bDpT10_ENKUlT_T0_E_clISt17integral_constantIbLb0EES1O_IbLb1EEEEDaS1K_S1L_EUlS1K_E_NS1_11comp_targetILNS1_3genE3ELNS1_11target_archE908ELNS1_3gpuE7ELNS1_3repE0EEENS1_30default_config_static_selectorELNS0_4arch9wavefront6targetE0EEEvSY_.has_recursion, 0
	.set _ZN7rocprim17ROCPRIM_400000_NS6detail17trampoline_kernelINS0_13select_configILj256ELj13ELNS0_17block_load_methodE3ELS4_3ELS4_3ELNS0_20block_scan_algorithmE0ELj4294967295EEENS1_25partition_config_selectorILNS1_17partition_subalgoE3EjNS0_10empty_typeEbEEZZNS1_14partition_implILS8_3ELb0ES6_jNS0_17counting_iteratorIjlEEPS9_SE_NS0_5tupleIJPjSE_EEENSF_IJSE_SE_EEES9_SG_JZNS1_25segmented_radix_sort_implINS0_14default_configELb0EPKiPiPKlPlN2at6native12_GLOBAL__N_18offset_tEEE10hipError_tPvRmT1_PNSt15iterator_traitsISY_E10value_typeET2_T3_PNSZ_IS14_E10value_typeET4_jRbjT5_S1A_jjP12ihipStream_tbEUljE_EEESV_SW_SX_S14_S18_S1A_T6_T7_T9_mT8_S1C_bDpT10_ENKUlT_T0_E_clISt17integral_constantIbLb0EES1O_IbLb1EEEEDaS1K_S1L_EUlS1K_E_NS1_11comp_targetILNS1_3genE3ELNS1_11target_archE908ELNS1_3gpuE7ELNS1_3repE0EEENS1_30default_config_static_selectorELNS0_4arch9wavefront6targetE0EEEvSY_.has_indirect_call, 0
	.section	.AMDGPU.csdata,"",@progbits
; Kernel info:
; codeLenInByte = 0
; TotalNumSgprs: 0
; NumVgprs: 0
; ScratchSize: 0
; MemoryBound: 0
; FloatMode: 240
; IeeeMode: 1
; LDSByteSize: 0 bytes/workgroup (compile time only)
; SGPRBlocks: 0
; VGPRBlocks: 0
; NumSGPRsForWavesPerEU: 1
; NumVGPRsForWavesPerEU: 1
; Occupancy: 16
; WaveLimiterHint : 0
; COMPUTE_PGM_RSRC2:SCRATCH_EN: 0
; COMPUTE_PGM_RSRC2:USER_SGPR: 2
; COMPUTE_PGM_RSRC2:TRAP_HANDLER: 0
; COMPUTE_PGM_RSRC2:TGID_X_EN: 1
; COMPUTE_PGM_RSRC2:TGID_Y_EN: 0
; COMPUTE_PGM_RSRC2:TGID_Z_EN: 0
; COMPUTE_PGM_RSRC2:TIDIG_COMP_CNT: 0
	.section	.text._ZN7rocprim17ROCPRIM_400000_NS6detail17trampoline_kernelINS0_13select_configILj256ELj13ELNS0_17block_load_methodE3ELS4_3ELS4_3ELNS0_20block_scan_algorithmE0ELj4294967295EEENS1_25partition_config_selectorILNS1_17partition_subalgoE3EjNS0_10empty_typeEbEEZZNS1_14partition_implILS8_3ELb0ES6_jNS0_17counting_iteratorIjlEEPS9_SE_NS0_5tupleIJPjSE_EEENSF_IJSE_SE_EEES9_SG_JZNS1_25segmented_radix_sort_implINS0_14default_configELb0EPKiPiPKlPlN2at6native12_GLOBAL__N_18offset_tEEE10hipError_tPvRmT1_PNSt15iterator_traitsISY_E10value_typeET2_T3_PNSZ_IS14_E10value_typeET4_jRbjT5_S1A_jjP12ihipStream_tbEUljE_EEESV_SW_SX_S14_S18_S1A_T6_T7_T9_mT8_S1C_bDpT10_ENKUlT_T0_E_clISt17integral_constantIbLb0EES1O_IbLb1EEEEDaS1K_S1L_EUlS1K_E_NS1_11comp_targetILNS1_3genE2ELNS1_11target_archE906ELNS1_3gpuE6ELNS1_3repE0EEENS1_30default_config_static_selectorELNS0_4arch9wavefront6targetE0EEEvSY_,"axG",@progbits,_ZN7rocprim17ROCPRIM_400000_NS6detail17trampoline_kernelINS0_13select_configILj256ELj13ELNS0_17block_load_methodE3ELS4_3ELS4_3ELNS0_20block_scan_algorithmE0ELj4294967295EEENS1_25partition_config_selectorILNS1_17partition_subalgoE3EjNS0_10empty_typeEbEEZZNS1_14partition_implILS8_3ELb0ES6_jNS0_17counting_iteratorIjlEEPS9_SE_NS0_5tupleIJPjSE_EEENSF_IJSE_SE_EEES9_SG_JZNS1_25segmented_radix_sort_implINS0_14default_configELb0EPKiPiPKlPlN2at6native12_GLOBAL__N_18offset_tEEE10hipError_tPvRmT1_PNSt15iterator_traitsISY_E10value_typeET2_T3_PNSZ_IS14_E10value_typeET4_jRbjT5_S1A_jjP12ihipStream_tbEUljE_EEESV_SW_SX_S14_S18_S1A_T6_T7_T9_mT8_S1C_bDpT10_ENKUlT_T0_E_clISt17integral_constantIbLb0EES1O_IbLb1EEEEDaS1K_S1L_EUlS1K_E_NS1_11comp_targetILNS1_3genE2ELNS1_11target_archE906ELNS1_3gpuE6ELNS1_3repE0EEENS1_30default_config_static_selectorELNS0_4arch9wavefront6targetE0EEEvSY_,comdat
	.globl	_ZN7rocprim17ROCPRIM_400000_NS6detail17trampoline_kernelINS0_13select_configILj256ELj13ELNS0_17block_load_methodE3ELS4_3ELS4_3ELNS0_20block_scan_algorithmE0ELj4294967295EEENS1_25partition_config_selectorILNS1_17partition_subalgoE3EjNS0_10empty_typeEbEEZZNS1_14partition_implILS8_3ELb0ES6_jNS0_17counting_iteratorIjlEEPS9_SE_NS0_5tupleIJPjSE_EEENSF_IJSE_SE_EEES9_SG_JZNS1_25segmented_radix_sort_implINS0_14default_configELb0EPKiPiPKlPlN2at6native12_GLOBAL__N_18offset_tEEE10hipError_tPvRmT1_PNSt15iterator_traitsISY_E10value_typeET2_T3_PNSZ_IS14_E10value_typeET4_jRbjT5_S1A_jjP12ihipStream_tbEUljE_EEESV_SW_SX_S14_S18_S1A_T6_T7_T9_mT8_S1C_bDpT10_ENKUlT_T0_E_clISt17integral_constantIbLb0EES1O_IbLb1EEEEDaS1K_S1L_EUlS1K_E_NS1_11comp_targetILNS1_3genE2ELNS1_11target_archE906ELNS1_3gpuE6ELNS1_3repE0EEENS1_30default_config_static_selectorELNS0_4arch9wavefront6targetE0EEEvSY_ ; -- Begin function _ZN7rocprim17ROCPRIM_400000_NS6detail17trampoline_kernelINS0_13select_configILj256ELj13ELNS0_17block_load_methodE3ELS4_3ELS4_3ELNS0_20block_scan_algorithmE0ELj4294967295EEENS1_25partition_config_selectorILNS1_17partition_subalgoE3EjNS0_10empty_typeEbEEZZNS1_14partition_implILS8_3ELb0ES6_jNS0_17counting_iteratorIjlEEPS9_SE_NS0_5tupleIJPjSE_EEENSF_IJSE_SE_EEES9_SG_JZNS1_25segmented_radix_sort_implINS0_14default_configELb0EPKiPiPKlPlN2at6native12_GLOBAL__N_18offset_tEEE10hipError_tPvRmT1_PNSt15iterator_traitsISY_E10value_typeET2_T3_PNSZ_IS14_E10value_typeET4_jRbjT5_S1A_jjP12ihipStream_tbEUljE_EEESV_SW_SX_S14_S18_S1A_T6_T7_T9_mT8_S1C_bDpT10_ENKUlT_T0_E_clISt17integral_constantIbLb0EES1O_IbLb1EEEEDaS1K_S1L_EUlS1K_E_NS1_11comp_targetILNS1_3genE2ELNS1_11target_archE906ELNS1_3gpuE6ELNS1_3repE0EEENS1_30default_config_static_selectorELNS0_4arch9wavefront6targetE0EEEvSY_
	.p2align	8
	.type	_ZN7rocprim17ROCPRIM_400000_NS6detail17trampoline_kernelINS0_13select_configILj256ELj13ELNS0_17block_load_methodE3ELS4_3ELS4_3ELNS0_20block_scan_algorithmE0ELj4294967295EEENS1_25partition_config_selectorILNS1_17partition_subalgoE3EjNS0_10empty_typeEbEEZZNS1_14partition_implILS8_3ELb0ES6_jNS0_17counting_iteratorIjlEEPS9_SE_NS0_5tupleIJPjSE_EEENSF_IJSE_SE_EEES9_SG_JZNS1_25segmented_radix_sort_implINS0_14default_configELb0EPKiPiPKlPlN2at6native12_GLOBAL__N_18offset_tEEE10hipError_tPvRmT1_PNSt15iterator_traitsISY_E10value_typeET2_T3_PNSZ_IS14_E10value_typeET4_jRbjT5_S1A_jjP12ihipStream_tbEUljE_EEESV_SW_SX_S14_S18_S1A_T6_T7_T9_mT8_S1C_bDpT10_ENKUlT_T0_E_clISt17integral_constantIbLb0EES1O_IbLb1EEEEDaS1K_S1L_EUlS1K_E_NS1_11comp_targetILNS1_3genE2ELNS1_11target_archE906ELNS1_3gpuE6ELNS1_3repE0EEENS1_30default_config_static_selectorELNS0_4arch9wavefront6targetE0EEEvSY_,@function
_ZN7rocprim17ROCPRIM_400000_NS6detail17trampoline_kernelINS0_13select_configILj256ELj13ELNS0_17block_load_methodE3ELS4_3ELS4_3ELNS0_20block_scan_algorithmE0ELj4294967295EEENS1_25partition_config_selectorILNS1_17partition_subalgoE3EjNS0_10empty_typeEbEEZZNS1_14partition_implILS8_3ELb0ES6_jNS0_17counting_iteratorIjlEEPS9_SE_NS0_5tupleIJPjSE_EEENSF_IJSE_SE_EEES9_SG_JZNS1_25segmented_radix_sort_implINS0_14default_configELb0EPKiPiPKlPlN2at6native12_GLOBAL__N_18offset_tEEE10hipError_tPvRmT1_PNSt15iterator_traitsISY_E10value_typeET2_T3_PNSZ_IS14_E10value_typeET4_jRbjT5_S1A_jjP12ihipStream_tbEUljE_EEESV_SW_SX_S14_S18_S1A_T6_T7_T9_mT8_S1C_bDpT10_ENKUlT_T0_E_clISt17integral_constantIbLb0EES1O_IbLb1EEEEDaS1K_S1L_EUlS1K_E_NS1_11comp_targetILNS1_3genE2ELNS1_11target_archE906ELNS1_3gpuE6ELNS1_3repE0EEENS1_30default_config_static_selectorELNS0_4arch9wavefront6targetE0EEEvSY_: ; @_ZN7rocprim17ROCPRIM_400000_NS6detail17trampoline_kernelINS0_13select_configILj256ELj13ELNS0_17block_load_methodE3ELS4_3ELS4_3ELNS0_20block_scan_algorithmE0ELj4294967295EEENS1_25partition_config_selectorILNS1_17partition_subalgoE3EjNS0_10empty_typeEbEEZZNS1_14partition_implILS8_3ELb0ES6_jNS0_17counting_iteratorIjlEEPS9_SE_NS0_5tupleIJPjSE_EEENSF_IJSE_SE_EEES9_SG_JZNS1_25segmented_radix_sort_implINS0_14default_configELb0EPKiPiPKlPlN2at6native12_GLOBAL__N_18offset_tEEE10hipError_tPvRmT1_PNSt15iterator_traitsISY_E10value_typeET2_T3_PNSZ_IS14_E10value_typeET4_jRbjT5_S1A_jjP12ihipStream_tbEUljE_EEESV_SW_SX_S14_S18_S1A_T6_T7_T9_mT8_S1C_bDpT10_ENKUlT_T0_E_clISt17integral_constantIbLb0EES1O_IbLb1EEEEDaS1K_S1L_EUlS1K_E_NS1_11comp_targetILNS1_3genE2ELNS1_11target_archE906ELNS1_3gpuE6ELNS1_3repE0EEENS1_30default_config_static_selectorELNS0_4arch9wavefront6targetE0EEEvSY_
; %bb.0:
	.section	.rodata,"a",@progbits
	.p2align	6, 0x0
	.amdhsa_kernel _ZN7rocprim17ROCPRIM_400000_NS6detail17trampoline_kernelINS0_13select_configILj256ELj13ELNS0_17block_load_methodE3ELS4_3ELS4_3ELNS0_20block_scan_algorithmE0ELj4294967295EEENS1_25partition_config_selectorILNS1_17partition_subalgoE3EjNS0_10empty_typeEbEEZZNS1_14partition_implILS8_3ELb0ES6_jNS0_17counting_iteratorIjlEEPS9_SE_NS0_5tupleIJPjSE_EEENSF_IJSE_SE_EEES9_SG_JZNS1_25segmented_radix_sort_implINS0_14default_configELb0EPKiPiPKlPlN2at6native12_GLOBAL__N_18offset_tEEE10hipError_tPvRmT1_PNSt15iterator_traitsISY_E10value_typeET2_T3_PNSZ_IS14_E10value_typeET4_jRbjT5_S1A_jjP12ihipStream_tbEUljE_EEESV_SW_SX_S14_S18_S1A_T6_T7_T9_mT8_S1C_bDpT10_ENKUlT_T0_E_clISt17integral_constantIbLb0EES1O_IbLb1EEEEDaS1K_S1L_EUlS1K_E_NS1_11comp_targetILNS1_3genE2ELNS1_11target_archE906ELNS1_3gpuE6ELNS1_3repE0EEENS1_30default_config_static_selectorELNS0_4arch9wavefront6targetE0EEEvSY_
		.amdhsa_group_segment_fixed_size 0
		.amdhsa_private_segment_fixed_size 0
		.amdhsa_kernarg_size 152
		.amdhsa_user_sgpr_count 2
		.amdhsa_user_sgpr_dispatch_ptr 0
		.amdhsa_user_sgpr_queue_ptr 0
		.amdhsa_user_sgpr_kernarg_segment_ptr 1
		.amdhsa_user_sgpr_dispatch_id 0
		.amdhsa_user_sgpr_private_segment_size 0
		.amdhsa_wavefront_size32 1
		.amdhsa_uses_dynamic_stack 0
		.amdhsa_enable_private_segment 0
		.amdhsa_system_sgpr_workgroup_id_x 1
		.amdhsa_system_sgpr_workgroup_id_y 0
		.amdhsa_system_sgpr_workgroup_id_z 0
		.amdhsa_system_sgpr_workgroup_info 0
		.amdhsa_system_vgpr_workitem_id 0
		.amdhsa_next_free_vgpr 1
		.amdhsa_next_free_sgpr 1
		.amdhsa_reserve_vcc 0
		.amdhsa_float_round_mode_32 0
		.amdhsa_float_round_mode_16_64 0
		.amdhsa_float_denorm_mode_32 3
		.amdhsa_float_denorm_mode_16_64 3
		.amdhsa_fp16_overflow 0
		.amdhsa_workgroup_processor_mode 1
		.amdhsa_memory_ordered 1
		.amdhsa_forward_progress 1
		.amdhsa_inst_pref_size 0
		.amdhsa_round_robin_scheduling 0
		.amdhsa_exception_fp_ieee_invalid_op 0
		.amdhsa_exception_fp_denorm_src 0
		.amdhsa_exception_fp_ieee_div_zero 0
		.amdhsa_exception_fp_ieee_overflow 0
		.amdhsa_exception_fp_ieee_underflow 0
		.amdhsa_exception_fp_ieee_inexact 0
		.amdhsa_exception_int_div_zero 0
	.end_amdhsa_kernel
	.section	.text._ZN7rocprim17ROCPRIM_400000_NS6detail17trampoline_kernelINS0_13select_configILj256ELj13ELNS0_17block_load_methodE3ELS4_3ELS4_3ELNS0_20block_scan_algorithmE0ELj4294967295EEENS1_25partition_config_selectorILNS1_17partition_subalgoE3EjNS0_10empty_typeEbEEZZNS1_14partition_implILS8_3ELb0ES6_jNS0_17counting_iteratorIjlEEPS9_SE_NS0_5tupleIJPjSE_EEENSF_IJSE_SE_EEES9_SG_JZNS1_25segmented_radix_sort_implINS0_14default_configELb0EPKiPiPKlPlN2at6native12_GLOBAL__N_18offset_tEEE10hipError_tPvRmT1_PNSt15iterator_traitsISY_E10value_typeET2_T3_PNSZ_IS14_E10value_typeET4_jRbjT5_S1A_jjP12ihipStream_tbEUljE_EEESV_SW_SX_S14_S18_S1A_T6_T7_T9_mT8_S1C_bDpT10_ENKUlT_T0_E_clISt17integral_constantIbLb0EES1O_IbLb1EEEEDaS1K_S1L_EUlS1K_E_NS1_11comp_targetILNS1_3genE2ELNS1_11target_archE906ELNS1_3gpuE6ELNS1_3repE0EEENS1_30default_config_static_selectorELNS0_4arch9wavefront6targetE0EEEvSY_,"axG",@progbits,_ZN7rocprim17ROCPRIM_400000_NS6detail17trampoline_kernelINS0_13select_configILj256ELj13ELNS0_17block_load_methodE3ELS4_3ELS4_3ELNS0_20block_scan_algorithmE0ELj4294967295EEENS1_25partition_config_selectorILNS1_17partition_subalgoE3EjNS0_10empty_typeEbEEZZNS1_14partition_implILS8_3ELb0ES6_jNS0_17counting_iteratorIjlEEPS9_SE_NS0_5tupleIJPjSE_EEENSF_IJSE_SE_EEES9_SG_JZNS1_25segmented_radix_sort_implINS0_14default_configELb0EPKiPiPKlPlN2at6native12_GLOBAL__N_18offset_tEEE10hipError_tPvRmT1_PNSt15iterator_traitsISY_E10value_typeET2_T3_PNSZ_IS14_E10value_typeET4_jRbjT5_S1A_jjP12ihipStream_tbEUljE_EEESV_SW_SX_S14_S18_S1A_T6_T7_T9_mT8_S1C_bDpT10_ENKUlT_T0_E_clISt17integral_constantIbLb0EES1O_IbLb1EEEEDaS1K_S1L_EUlS1K_E_NS1_11comp_targetILNS1_3genE2ELNS1_11target_archE906ELNS1_3gpuE6ELNS1_3repE0EEENS1_30default_config_static_selectorELNS0_4arch9wavefront6targetE0EEEvSY_,comdat
.Lfunc_end596:
	.size	_ZN7rocprim17ROCPRIM_400000_NS6detail17trampoline_kernelINS0_13select_configILj256ELj13ELNS0_17block_load_methodE3ELS4_3ELS4_3ELNS0_20block_scan_algorithmE0ELj4294967295EEENS1_25partition_config_selectorILNS1_17partition_subalgoE3EjNS0_10empty_typeEbEEZZNS1_14partition_implILS8_3ELb0ES6_jNS0_17counting_iteratorIjlEEPS9_SE_NS0_5tupleIJPjSE_EEENSF_IJSE_SE_EEES9_SG_JZNS1_25segmented_radix_sort_implINS0_14default_configELb0EPKiPiPKlPlN2at6native12_GLOBAL__N_18offset_tEEE10hipError_tPvRmT1_PNSt15iterator_traitsISY_E10value_typeET2_T3_PNSZ_IS14_E10value_typeET4_jRbjT5_S1A_jjP12ihipStream_tbEUljE_EEESV_SW_SX_S14_S18_S1A_T6_T7_T9_mT8_S1C_bDpT10_ENKUlT_T0_E_clISt17integral_constantIbLb0EES1O_IbLb1EEEEDaS1K_S1L_EUlS1K_E_NS1_11comp_targetILNS1_3genE2ELNS1_11target_archE906ELNS1_3gpuE6ELNS1_3repE0EEENS1_30default_config_static_selectorELNS0_4arch9wavefront6targetE0EEEvSY_, .Lfunc_end596-_ZN7rocprim17ROCPRIM_400000_NS6detail17trampoline_kernelINS0_13select_configILj256ELj13ELNS0_17block_load_methodE3ELS4_3ELS4_3ELNS0_20block_scan_algorithmE0ELj4294967295EEENS1_25partition_config_selectorILNS1_17partition_subalgoE3EjNS0_10empty_typeEbEEZZNS1_14partition_implILS8_3ELb0ES6_jNS0_17counting_iteratorIjlEEPS9_SE_NS0_5tupleIJPjSE_EEENSF_IJSE_SE_EEES9_SG_JZNS1_25segmented_radix_sort_implINS0_14default_configELb0EPKiPiPKlPlN2at6native12_GLOBAL__N_18offset_tEEE10hipError_tPvRmT1_PNSt15iterator_traitsISY_E10value_typeET2_T3_PNSZ_IS14_E10value_typeET4_jRbjT5_S1A_jjP12ihipStream_tbEUljE_EEESV_SW_SX_S14_S18_S1A_T6_T7_T9_mT8_S1C_bDpT10_ENKUlT_T0_E_clISt17integral_constantIbLb0EES1O_IbLb1EEEEDaS1K_S1L_EUlS1K_E_NS1_11comp_targetILNS1_3genE2ELNS1_11target_archE906ELNS1_3gpuE6ELNS1_3repE0EEENS1_30default_config_static_selectorELNS0_4arch9wavefront6targetE0EEEvSY_
                                        ; -- End function
	.set _ZN7rocprim17ROCPRIM_400000_NS6detail17trampoline_kernelINS0_13select_configILj256ELj13ELNS0_17block_load_methodE3ELS4_3ELS4_3ELNS0_20block_scan_algorithmE0ELj4294967295EEENS1_25partition_config_selectorILNS1_17partition_subalgoE3EjNS0_10empty_typeEbEEZZNS1_14partition_implILS8_3ELb0ES6_jNS0_17counting_iteratorIjlEEPS9_SE_NS0_5tupleIJPjSE_EEENSF_IJSE_SE_EEES9_SG_JZNS1_25segmented_radix_sort_implINS0_14default_configELb0EPKiPiPKlPlN2at6native12_GLOBAL__N_18offset_tEEE10hipError_tPvRmT1_PNSt15iterator_traitsISY_E10value_typeET2_T3_PNSZ_IS14_E10value_typeET4_jRbjT5_S1A_jjP12ihipStream_tbEUljE_EEESV_SW_SX_S14_S18_S1A_T6_T7_T9_mT8_S1C_bDpT10_ENKUlT_T0_E_clISt17integral_constantIbLb0EES1O_IbLb1EEEEDaS1K_S1L_EUlS1K_E_NS1_11comp_targetILNS1_3genE2ELNS1_11target_archE906ELNS1_3gpuE6ELNS1_3repE0EEENS1_30default_config_static_selectorELNS0_4arch9wavefront6targetE0EEEvSY_.num_vgpr, 0
	.set _ZN7rocprim17ROCPRIM_400000_NS6detail17trampoline_kernelINS0_13select_configILj256ELj13ELNS0_17block_load_methodE3ELS4_3ELS4_3ELNS0_20block_scan_algorithmE0ELj4294967295EEENS1_25partition_config_selectorILNS1_17partition_subalgoE3EjNS0_10empty_typeEbEEZZNS1_14partition_implILS8_3ELb0ES6_jNS0_17counting_iteratorIjlEEPS9_SE_NS0_5tupleIJPjSE_EEENSF_IJSE_SE_EEES9_SG_JZNS1_25segmented_radix_sort_implINS0_14default_configELb0EPKiPiPKlPlN2at6native12_GLOBAL__N_18offset_tEEE10hipError_tPvRmT1_PNSt15iterator_traitsISY_E10value_typeET2_T3_PNSZ_IS14_E10value_typeET4_jRbjT5_S1A_jjP12ihipStream_tbEUljE_EEESV_SW_SX_S14_S18_S1A_T6_T7_T9_mT8_S1C_bDpT10_ENKUlT_T0_E_clISt17integral_constantIbLb0EES1O_IbLb1EEEEDaS1K_S1L_EUlS1K_E_NS1_11comp_targetILNS1_3genE2ELNS1_11target_archE906ELNS1_3gpuE6ELNS1_3repE0EEENS1_30default_config_static_selectorELNS0_4arch9wavefront6targetE0EEEvSY_.num_agpr, 0
	.set _ZN7rocprim17ROCPRIM_400000_NS6detail17trampoline_kernelINS0_13select_configILj256ELj13ELNS0_17block_load_methodE3ELS4_3ELS4_3ELNS0_20block_scan_algorithmE0ELj4294967295EEENS1_25partition_config_selectorILNS1_17partition_subalgoE3EjNS0_10empty_typeEbEEZZNS1_14partition_implILS8_3ELb0ES6_jNS0_17counting_iteratorIjlEEPS9_SE_NS0_5tupleIJPjSE_EEENSF_IJSE_SE_EEES9_SG_JZNS1_25segmented_radix_sort_implINS0_14default_configELb0EPKiPiPKlPlN2at6native12_GLOBAL__N_18offset_tEEE10hipError_tPvRmT1_PNSt15iterator_traitsISY_E10value_typeET2_T3_PNSZ_IS14_E10value_typeET4_jRbjT5_S1A_jjP12ihipStream_tbEUljE_EEESV_SW_SX_S14_S18_S1A_T6_T7_T9_mT8_S1C_bDpT10_ENKUlT_T0_E_clISt17integral_constantIbLb0EES1O_IbLb1EEEEDaS1K_S1L_EUlS1K_E_NS1_11comp_targetILNS1_3genE2ELNS1_11target_archE906ELNS1_3gpuE6ELNS1_3repE0EEENS1_30default_config_static_selectorELNS0_4arch9wavefront6targetE0EEEvSY_.numbered_sgpr, 0
	.set _ZN7rocprim17ROCPRIM_400000_NS6detail17trampoline_kernelINS0_13select_configILj256ELj13ELNS0_17block_load_methodE3ELS4_3ELS4_3ELNS0_20block_scan_algorithmE0ELj4294967295EEENS1_25partition_config_selectorILNS1_17partition_subalgoE3EjNS0_10empty_typeEbEEZZNS1_14partition_implILS8_3ELb0ES6_jNS0_17counting_iteratorIjlEEPS9_SE_NS0_5tupleIJPjSE_EEENSF_IJSE_SE_EEES9_SG_JZNS1_25segmented_radix_sort_implINS0_14default_configELb0EPKiPiPKlPlN2at6native12_GLOBAL__N_18offset_tEEE10hipError_tPvRmT1_PNSt15iterator_traitsISY_E10value_typeET2_T3_PNSZ_IS14_E10value_typeET4_jRbjT5_S1A_jjP12ihipStream_tbEUljE_EEESV_SW_SX_S14_S18_S1A_T6_T7_T9_mT8_S1C_bDpT10_ENKUlT_T0_E_clISt17integral_constantIbLb0EES1O_IbLb1EEEEDaS1K_S1L_EUlS1K_E_NS1_11comp_targetILNS1_3genE2ELNS1_11target_archE906ELNS1_3gpuE6ELNS1_3repE0EEENS1_30default_config_static_selectorELNS0_4arch9wavefront6targetE0EEEvSY_.num_named_barrier, 0
	.set _ZN7rocprim17ROCPRIM_400000_NS6detail17trampoline_kernelINS0_13select_configILj256ELj13ELNS0_17block_load_methodE3ELS4_3ELS4_3ELNS0_20block_scan_algorithmE0ELj4294967295EEENS1_25partition_config_selectorILNS1_17partition_subalgoE3EjNS0_10empty_typeEbEEZZNS1_14partition_implILS8_3ELb0ES6_jNS0_17counting_iteratorIjlEEPS9_SE_NS0_5tupleIJPjSE_EEENSF_IJSE_SE_EEES9_SG_JZNS1_25segmented_radix_sort_implINS0_14default_configELb0EPKiPiPKlPlN2at6native12_GLOBAL__N_18offset_tEEE10hipError_tPvRmT1_PNSt15iterator_traitsISY_E10value_typeET2_T3_PNSZ_IS14_E10value_typeET4_jRbjT5_S1A_jjP12ihipStream_tbEUljE_EEESV_SW_SX_S14_S18_S1A_T6_T7_T9_mT8_S1C_bDpT10_ENKUlT_T0_E_clISt17integral_constantIbLb0EES1O_IbLb1EEEEDaS1K_S1L_EUlS1K_E_NS1_11comp_targetILNS1_3genE2ELNS1_11target_archE906ELNS1_3gpuE6ELNS1_3repE0EEENS1_30default_config_static_selectorELNS0_4arch9wavefront6targetE0EEEvSY_.private_seg_size, 0
	.set _ZN7rocprim17ROCPRIM_400000_NS6detail17trampoline_kernelINS0_13select_configILj256ELj13ELNS0_17block_load_methodE3ELS4_3ELS4_3ELNS0_20block_scan_algorithmE0ELj4294967295EEENS1_25partition_config_selectorILNS1_17partition_subalgoE3EjNS0_10empty_typeEbEEZZNS1_14partition_implILS8_3ELb0ES6_jNS0_17counting_iteratorIjlEEPS9_SE_NS0_5tupleIJPjSE_EEENSF_IJSE_SE_EEES9_SG_JZNS1_25segmented_radix_sort_implINS0_14default_configELb0EPKiPiPKlPlN2at6native12_GLOBAL__N_18offset_tEEE10hipError_tPvRmT1_PNSt15iterator_traitsISY_E10value_typeET2_T3_PNSZ_IS14_E10value_typeET4_jRbjT5_S1A_jjP12ihipStream_tbEUljE_EEESV_SW_SX_S14_S18_S1A_T6_T7_T9_mT8_S1C_bDpT10_ENKUlT_T0_E_clISt17integral_constantIbLb0EES1O_IbLb1EEEEDaS1K_S1L_EUlS1K_E_NS1_11comp_targetILNS1_3genE2ELNS1_11target_archE906ELNS1_3gpuE6ELNS1_3repE0EEENS1_30default_config_static_selectorELNS0_4arch9wavefront6targetE0EEEvSY_.uses_vcc, 0
	.set _ZN7rocprim17ROCPRIM_400000_NS6detail17trampoline_kernelINS0_13select_configILj256ELj13ELNS0_17block_load_methodE3ELS4_3ELS4_3ELNS0_20block_scan_algorithmE0ELj4294967295EEENS1_25partition_config_selectorILNS1_17partition_subalgoE3EjNS0_10empty_typeEbEEZZNS1_14partition_implILS8_3ELb0ES6_jNS0_17counting_iteratorIjlEEPS9_SE_NS0_5tupleIJPjSE_EEENSF_IJSE_SE_EEES9_SG_JZNS1_25segmented_radix_sort_implINS0_14default_configELb0EPKiPiPKlPlN2at6native12_GLOBAL__N_18offset_tEEE10hipError_tPvRmT1_PNSt15iterator_traitsISY_E10value_typeET2_T3_PNSZ_IS14_E10value_typeET4_jRbjT5_S1A_jjP12ihipStream_tbEUljE_EEESV_SW_SX_S14_S18_S1A_T6_T7_T9_mT8_S1C_bDpT10_ENKUlT_T0_E_clISt17integral_constantIbLb0EES1O_IbLb1EEEEDaS1K_S1L_EUlS1K_E_NS1_11comp_targetILNS1_3genE2ELNS1_11target_archE906ELNS1_3gpuE6ELNS1_3repE0EEENS1_30default_config_static_selectorELNS0_4arch9wavefront6targetE0EEEvSY_.uses_flat_scratch, 0
	.set _ZN7rocprim17ROCPRIM_400000_NS6detail17trampoline_kernelINS0_13select_configILj256ELj13ELNS0_17block_load_methodE3ELS4_3ELS4_3ELNS0_20block_scan_algorithmE0ELj4294967295EEENS1_25partition_config_selectorILNS1_17partition_subalgoE3EjNS0_10empty_typeEbEEZZNS1_14partition_implILS8_3ELb0ES6_jNS0_17counting_iteratorIjlEEPS9_SE_NS0_5tupleIJPjSE_EEENSF_IJSE_SE_EEES9_SG_JZNS1_25segmented_radix_sort_implINS0_14default_configELb0EPKiPiPKlPlN2at6native12_GLOBAL__N_18offset_tEEE10hipError_tPvRmT1_PNSt15iterator_traitsISY_E10value_typeET2_T3_PNSZ_IS14_E10value_typeET4_jRbjT5_S1A_jjP12ihipStream_tbEUljE_EEESV_SW_SX_S14_S18_S1A_T6_T7_T9_mT8_S1C_bDpT10_ENKUlT_T0_E_clISt17integral_constantIbLb0EES1O_IbLb1EEEEDaS1K_S1L_EUlS1K_E_NS1_11comp_targetILNS1_3genE2ELNS1_11target_archE906ELNS1_3gpuE6ELNS1_3repE0EEENS1_30default_config_static_selectorELNS0_4arch9wavefront6targetE0EEEvSY_.has_dyn_sized_stack, 0
	.set _ZN7rocprim17ROCPRIM_400000_NS6detail17trampoline_kernelINS0_13select_configILj256ELj13ELNS0_17block_load_methodE3ELS4_3ELS4_3ELNS0_20block_scan_algorithmE0ELj4294967295EEENS1_25partition_config_selectorILNS1_17partition_subalgoE3EjNS0_10empty_typeEbEEZZNS1_14partition_implILS8_3ELb0ES6_jNS0_17counting_iteratorIjlEEPS9_SE_NS0_5tupleIJPjSE_EEENSF_IJSE_SE_EEES9_SG_JZNS1_25segmented_radix_sort_implINS0_14default_configELb0EPKiPiPKlPlN2at6native12_GLOBAL__N_18offset_tEEE10hipError_tPvRmT1_PNSt15iterator_traitsISY_E10value_typeET2_T3_PNSZ_IS14_E10value_typeET4_jRbjT5_S1A_jjP12ihipStream_tbEUljE_EEESV_SW_SX_S14_S18_S1A_T6_T7_T9_mT8_S1C_bDpT10_ENKUlT_T0_E_clISt17integral_constantIbLb0EES1O_IbLb1EEEEDaS1K_S1L_EUlS1K_E_NS1_11comp_targetILNS1_3genE2ELNS1_11target_archE906ELNS1_3gpuE6ELNS1_3repE0EEENS1_30default_config_static_selectorELNS0_4arch9wavefront6targetE0EEEvSY_.has_recursion, 0
	.set _ZN7rocprim17ROCPRIM_400000_NS6detail17trampoline_kernelINS0_13select_configILj256ELj13ELNS0_17block_load_methodE3ELS4_3ELS4_3ELNS0_20block_scan_algorithmE0ELj4294967295EEENS1_25partition_config_selectorILNS1_17partition_subalgoE3EjNS0_10empty_typeEbEEZZNS1_14partition_implILS8_3ELb0ES6_jNS0_17counting_iteratorIjlEEPS9_SE_NS0_5tupleIJPjSE_EEENSF_IJSE_SE_EEES9_SG_JZNS1_25segmented_radix_sort_implINS0_14default_configELb0EPKiPiPKlPlN2at6native12_GLOBAL__N_18offset_tEEE10hipError_tPvRmT1_PNSt15iterator_traitsISY_E10value_typeET2_T3_PNSZ_IS14_E10value_typeET4_jRbjT5_S1A_jjP12ihipStream_tbEUljE_EEESV_SW_SX_S14_S18_S1A_T6_T7_T9_mT8_S1C_bDpT10_ENKUlT_T0_E_clISt17integral_constantIbLb0EES1O_IbLb1EEEEDaS1K_S1L_EUlS1K_E_NS1_11comp_targetILNS1_3genE2ELNS1_11target_archE906ELNS1_3gpuE6ELNS1_3repE0EEENS1_30default_config_static_selectorELNS0_4arch9wavefront6targetE0EEEvSY_.has_indirect_call, 0
	.section	.AMDGPU.csdata,"",@progbits
; Kernel info:
; codeLenInByte = 0
; TotalNumSgprs: 0
; NumVgprs: 0
; ScratchSize: 0
; MemoryBound: 0
; FloatMode: 240
; IeeeMode: 1
; LDSByteSize: 0 bytes/workgroup (compile time only)
; SGPRBlocks: 0
; VGPRBlocks: 0
; NumSGPRsForWavesPerEU: 1
; NumVGPRsForWavesPerEU: 1
; Occupancy: 16
; WaveLimiterHint : 0
; COMPUTE_PGM_RSRC2:SCRATCH_EN: 0
; COMPUTE_PGM_RSRC2:USER_SGPR: 2
; COMPUTE_PGM_RSRC2:TRAP_HANDLER: 0
; COMPUTE_PGM_RSRC2:TGID_X_EN: 1
; COMPUTE_PGM_RSRC2:TGID_Y_EN: 0
; COMPUTE_PGM_RSRC2:TGID_Z_EN: 0
; COMPUTE_PGM_RSRC2:TIDIG_COMP_CNT: 0
	.section	.text._ZN7rocprim17ROCPRIM_400000_NS6detail17trampoline_kernelINS0_13select_configILj256ELj13ELNS0_17block_load_methodE3ELS4_3ELS4_3ELNS0_20block_scan_algorithmE0ELj4294967295EEENS1_25partition_config_selectorILNS1_17partition_subalgoE3EjNS0_10empty_typeEbEEZZNS1_14partition_implILS8_3ELb0ES6_jNS0_17counting_iteratorIjlEEPS9_SE_NS0_5tupleIJPjSE_EEENSF_IJSE_SE_EEES9_SG_JZNS1_25segmented_radix_sort_implINS0_14default_configELb0EPKiPiPKlPlN2at6native12_GLOBAL__N_18offset_tEEE10hipError_tPvRmT1_PNSt15iterator_traitsISY_E10value_typeET2_T3_PNSZ_IS14_E10value_typeET4_jRbjT5_S1A_jjP12ihipStream_tbEUljE_EEESV_SW_SX_S14_S18_S1A_T6_T7_T9_mT8_S1C_bDpT10_ENKUlT_T0_E_clISt17integral_constantIbLb0EES1O_IbLb1EEEEDaS1K_S1L_EUlS1K_E_NS1_11comp_targetILNS1_3genE10ELNS1_11target_archE1200ELNS1_3gpuE4ELNS1_3repE0EEENS1_30default_config_static_selectorELNS0_4arch9wavefront6targetE0EEEvSY_,"axG",@progbits,_ZN7rocprim17ROCPRIM_400000_NS6detail17trampoline_kernelINS0_13select_configILj256ELj13ELNS0_17block_load_methodE3ELS4_3ELS4_3ELNS0_20block_scan_algorithmE0ELj4294967295EEENS1_25partition_config_selectorILNS1_17partition_subalgoE3EjNS0_10empty_typeEbEEZZNS1_14partition_implILS8_3ELb0ES6_jNS0_17counting_iteratorIjlEEPS9_SE_NS0_5tupleIJPjSE_EEENSF_IJSE_SE_EEES9_SG_JZNS1_25segmented_radix_sort_implINS0_14default_configELb0EPKiPiPKlPlN2at6native12_GLOBAL__N_18offset_tEEE10hipError_tPvRmT1_PNSt15iterator_traitsISY_E10value_typeET2_T3_PNSZ_IS14_E10value_typeET4_jRbjT5_S1A_jjP12ihipStream_tbEUljE_EEESV_SW_SX_S14_S18_S1A_T6_T7_T9_mT8_S1C_bDpT10_ENKUlT_T0_E_clISt17integral_constantIbLb0EES1O_IbLb1EEEEDaS1K_S1L_EUlS1K_E_NS1_11comp_targetILNS1_3genE10ELNS1_11target_archE1200ELNS1_3gpuE4ELNS1_3repE0EEENS1_30default_config_static_selectorELNS0_4arch9wavefront6targetE0EEEvSY_,comdat
	.globl	_ZN7rocprim17ROCPRIM_400000_NS6detail17trampoline_kernelINS0_13select_configILj256ELj13ELNS0_17block_load_methodE3ELS4_3ELS4_3ELNS0_20block_scan_algorithmE0ELj4294967295EEENS1_25partition_config_selectorILNS1_17partition_subalgoE3EjNS0_10empty_typeEbEEZZNS1_14partition_implILS8_3ELb0ES6_jNS0_17counting_iteratorIjlEEPS9_SE_NS0_5tupleIJPjSE_EEENSF_IJSE_SE_EEES9_SG_JZNS1_25segmented_radix_sort_implINS0_14default_configELb0EPKiPiPKlPlN2at6native12_GLOBAL__N_18offset_tEEE10hipError_tPvRmT1_PNSt15iterator_traitsISY_E10value_typeET2_T3_PNSZ_IS14_E10value_typeET4_jRbjT5_S1A_jjP12ihipStream_tbEUljE_EEESV_SW_SX_S14_S18_S1A_T6_T7_T9_mT8_S1C_bDpT10_ENKUlT_T0_E_clISt17integral_constantIbLb0EES1O_IbLb1EEEEDaS1K_S1L_EUlS1K_E_NS1_11comp_targetILNS1_3genE10ELNS1_11target_archE1200ELNS1_3gpuE4ELNS1_3repE0EEENS1_30default_config_static_selectorELNS0_4arch9wavefront6targetE0EEEvSY_ ; -- Begin function _ZN7rocprim17ROCPRIM_400000_NS6detail17trampoline_kernelINS0_13select_configILj256ELj13ELNS0_17block_load_methodE3ELS4_3ELS4_3ELNS0_20block_scan_algorithmE0ELj4294967295EEENS1_25partition_config_selectorILNS1_17partition_subalgoE3EjNS0_10empty_typeEbEEZZNS1_14partition_implILS8_3ELb0ES6_jNS0_17counting_iteratorIjlEEPS9_SE_NS0_5tupleIJPjSE_EEENSF_IJSE_SE_EEES9_SG_JZNS1_25segmented_radix_sort_implINS0_14default_configELb0EPKiPiPKlPlN2at6native12_GLOBAL__N_18offset_tEEE10hipError_tPvRmT1_PNSt15iterator_traitsISY_E10value_typeET2_T3_PNSZ_IS14_E10value_typeET4_jRbjT5_S1A_jjP12ihipStream_tbEUljE_EEESV_SW_SX_S14_S18_S1A_T6_T7_T9_mT8_S1C_bDpT10_ENKUlT_T0_E_clISt17integral_constantIbLb0EES1O_IbLb1EEEEDaS1K_S1L_EUlS1K_E_NS1_11comp_targetILNS1_3genE10ELNS1_11target_archE1200ELNS1_3gpuE4ELNS1_3repE0EEENS1_30default_config_static_selectorELNS0_4arch9wavefront6targetE0EEEvSY_
	.p2align	8
	.type	_ZN7rocprim17ROCPRIM_400000_NS6detail17trampoline_kernelINS0_13select_configILj256ELj13ELNS0_17block_load_methodE3ELS4_3ELS4_3ELNS0_20block_scan_algorithmE0ELj4294967295EEENS1_25partition_config_selectorILNS1_17partition_subalgoE3EjNS0_10empty_typeEbEEZZNS1_14partition_implILS8_3ELb0ES6_jNS0_17counting_iteratorIjlEEPS9_SE_NS0_5tupleIJPjSE_EEENSF_IJSE_SE_EEES9_SG_JZNS1_25segmented_radix_sort_implINS0_14default_configELb0EPKiPiPKlPlN2at6native12_GLOBAL__N_18offset_tEEE10hipError_tPvRmT1_PNSt15iterator_traitsISY_E10value_typeET2_T3_PNSZ_IS14_E10value_typeET4_jRbjT5_S1A_jjP12ihipStream_tbEUljE_EEESV_SW_SX_S14_S18_S1A_T6_T7_T9_mT8_S1C_bDpT10_ENKUlT_T0_E_clISt17integral_constantIbLb0EES1O_IbLb1EEEEDaS1K_S1L_EUlS1K_E_NS1_11comp_targetILNS1_3genE10ELNS1_11target_archE1200ELNS1_3gpuE4ELNS1_3repE0EEENS1_30default_config_static_selectorELNS0_4arch9wavefront6targetE0EEEvSY_,@function
_ZN7rocprim17ROCPRIM_400000_NS6detail17trampoline_kernelINS0_13select_configILj256ELj13ELNS0_17block_load_methodE3ELS4_3ELS4_3ELNS0_20block_scan_algorithmE0ELj4294967295EEENS1_25partition_config_selectorILNS1_17partition_subalgoE3EjNS0_10empty_typeEbEEZZNS1_14partition_implILS8_3ELb0ES6_jNS0_17counting_iteratorIjlEEPS9_SE_NS0_5tupleIJPjSE_EEENSF_IJSE_SE_EEES9_SG_JZNS1_25segmented_radix_sort_implINS0_14default_configELb0EPKiPiPKlPlN2at6native12_GLOBAL__N_18offset_tEEE10hipError_tPvRmT1_PNSt15iterator_traitsISY_E10value_typeET2_T3_PNSZ_IS14_E10value_typeET4_jRbjT5_S1A_jjP12ihipStream_tbEUljE_EEESV_SW_SX_S14_S18_S1A_T6_T7_T9_mT8_S1C_bDpT10_ENKUlT_T0_E_clISt17integral_constantIbLb0EES1O_IbLb1EEEEDaS1K_S1L_EUlS1K_E_NS1_11comp_targetILNS1_3genE10ELNS1_11target_archE1200ELNS1_3gpuE4ELNS1_3repE0EEENS1_30default_config_static_selectorELNS0_4arch9wavefront6targetE0EEEvSY_: ; @_ZN7rocprim17ROCPRIM_400000_NS6detail17trampoline_kernelINS0_13select_configILj256ELj13ELNS0_17block_load_methodE3ELS4_3ELS4_3ELNS0_20block_scan_algorithmE0ELj4294967295EEENS1_25partition_config_selectorILNS1_17partition_subalgoE3EjNS0_10empty_typeEbEEZZNS1_14partition_implILS8_3ELb0ES6_jNS0_17counting_iteratorIjlEEPS9_SE_NS0_5tupleIJPjSE_EEENSF_IJSE_SE_EEES9_SG_JZNS1_25segmented_radix_sort_implINS0_14default_configELb0EPKiPiPKlPlN2at6native12_GLOBAL__N_18offset_tEEE10hipError_tPvRmT1_PNSt15iterator_traitsISY_E10value_typeET2_T3_PNSZ_IS14_E10value_typeET4_jRbjT5_S1A_jjP12ihipStream_tbEUljE_EEESV_SW_SX_S14_S18_S1A_T6_T7_T9_mT8_S1C_bDpT10_ENKUlT_T0_E_clISt17integral_constantIbLb0EES1O_IbLb1EEEEDaS1K_S1L_EUlS1K_E_NS1_11comp_targetILNS1_3genE10ELNS1_11target_archE1200ELNS1_3gpuE4ELNS1_3repE0EEENS1_30default_config_static_selectorELNS0_4arch9wavefront6targetE0EEEvSY_
; %bb.0:
	s_clause 0x6
	s_load_b64 s[16:17], s[0:1], 0x10
	s_load_b64 s[10:11], s[0:1], 0x28
	;; [unrolled: 1-line block ×3, first 2 shown]
	s_load_b128 s[12:15], s[0:1], 0x48
	s_load_b32 s3, s[0:1], 0x90
	s_load_b64 s[20:21], s[0:1], 0x68
	s_load_b128 s[4:7], s[0:1], 0x80
	v_cmp_eq_u32_e64 s2, 0, v0
	s_and_saveexec_b32 s8, s2
	s_cbranch_execz .LBB597_4
; %bb.1:
	s_mov_b32 s22, exec_lo
	s_mov_b32 s9, exec_lo
	v_mbcnt_lo_u32_b32 v1, s22, 0
                                        ; implicit-def: $vgpr2
	s_delay_alu instid0(VALU_DEP_1)
	v_cmpx_eq_u32_e32 0, v1
	s_cbranch_execz .LBB597_3
; %bb.2:
	s_load_b64 s[24:25], s[0:1], 0x78
	s_bcnt1_i32_b32 s22, s22
	s_wait_alu 0xfffe
	v_dual_mov_b32 v2, 0 :: v_dual_mov_b32 v3, s22
	s_wait_kmcnt 0x0
	global_atomic_add_u32 v2, v2, v3, s[24:25] th:TH_ATOMIC_RETURN scope:SCOPE_DEV
.LBB597_3:
	s_or_b32 exec_lo, exec_lo, s9
	s_wait_loadcnt 0x0
	v_readfirstlane_b32 s9, v2
	s_delay_alu instid0(VALU_DEP_1)
	v_dual_mov_b32 v2, 0 :: v_dual_add_nc_u32 v1, s9, v1
	ds_store_b32 v2, v1
.LBB597_4:
	s_or_b32 exec_lo, exec_lo, s8
	v_mov_b32_e32 v1, 0
	s_clause 0x1
	s_load_b32 s8, s[0:1], 0x8
	s_load_b32 s0, s[0:1], 0x70
	s_wait_dscnt 0x0
	s_barrier_signal -1
	s_barrier_wait -1
	global_inv scope:SCOPE_SE
	ds_load_b32 v2, v1
	s_wait_loadcnt_dscnt 0x0
	s_barrier_signal -1
	s_barrier_wait -1
	global_inv scope:SCOPE_SE
	s_wait_kmcnt 0x0
	global_load_b64 v[17:18], v1, s[14:15]
	s_mov_b32 s1, 0
	v_lshlrev_b32_e32 v45, 2, v0
	s_mov_b32 s23, -1
	s_add_co_i32 s8, s8, s16
	s_add_co_i32 s9, s0, -1
	s_mulk_i32 s0, 0xd00
	s_delay_alu instid0(SALU_CYCLE_1)
	s_add_co_i32 s14, s0, s16
	s_add_nc_u64 s[0:1], s[16:17], s[0:1]
	v_readfirstlane_b32 s15, v2
	v_cmp_gt_u64_e64 s0, s[18:19], s[0:1]
	s_sub_co_i32 s22, s18, s14
	s_wait_alu 0xfffe
	v_cmp_ne_u32_e32 vcc_lo, s9, v2
	s_addk_co_i32 s22, 0xd00
	s_cmp_eq_u32 s15, s9
	s_mul_i32 s14, s15, 0xd00
	s_cselect_b32 s9, -1, 0
	s_or_b32 s1, s0, vcc_lo
	s_wait_alu 0xfffe
	s_and_b32 vcc_lo, exec_lo, s1
	s_cbranch_vccz .LBB597_6
; %bb.5:
	v_add3_u32 v1, s14, s8, v0
	s_mov_b32 s23, 0
	s_delay_alu instid0(VALU_DEP_1)
	v_add_nc_u32_e32 v2, 0x100, v1
	v_add_nc_u32_e32 v3, 0x200, v1
	;; [unrolled: 1-line block ×12, first 2 shown]
	ds_store_2addr_stride64_b32 v45, v1, v2 offset1:4
	ds_store_2addr_stride64_b32 v45, v3, v4 offset0:8 offset1:12
	ds_store_2addr_stride64_b32 v45, v5, v6 offset0:16 offset1:20
	;; [unrolled: 1-line block ×5, first 2 shown]
	ds_store_b32 v45, v13 offset:12288
	s_wait_loadcnt_dscnt 0x0
	s_barrier_signal -1
	s_barrier_wait -1
.LBB597_6:
	v_cmp_gt_u32_e64 s0, s22, v0
	v_or_b32_e32 v44, 0x100, v0
	v_or_b32_e32 v43, 0x200, v0
	;; [unrolled: 1-line block ×12, first 2 shown]
	s_wait_alu 0xfffe
	s_and_not1_b32 vcc_lo, exec_lo, s23
	s_cbranch_vccnz .LBB597_8
; %bb.7:
	s_add_co_i32 s8, s14, s8
	v_cmp_gt_u32_e32 vcc_lo, s22, v44
	s_wait_alu 0xfffe
	v_add_nc_u32_e32 v13, s8, v33
	v_add_nc_u32_e32 v12, s8, v34
	;; [unrolled: 1-line block ×12, first 2 shown]
	s_delay_alu instid0(VALU_DEP_1) | instskip(SKIP_1) | instid1(VALU_DEP_2)
	v_dual_cndmask_b32 v2, 0, v2 :: v_dual_add_nc_u32 v1, s8, v0
	v_cmp_gt_u32_e32 vcc_lo, s22, v43
	v_cndmask_b32_e64 v1, 0, v1, s0
	s_wait_alu 0xfffd
	v_cndmask_b32_e32 v3, 0, v3, vcc_lo
	v_cmp_gt_u32_e32 vcc_lo, s22, v42
	s_wait_alu 0xfffd
	v_cndmask_b32_e32 v4, 0, v4, vcc_lo
	v_cmp_gt_u32_e32 vcc_lo, s22, v41
	;; [unrolled: 3-line block ×10, first 2 shown]
	s_wait_alu 0xfffd
	v_cndmask_b32_e32 v13, 0, v13, vcc_lo
	ds_store_2addr_stride64_b32 v45, v1, v2 offset1:4
	ds_store_2addr_stride64_b32 v45, v3, v4 offset0:8 offset1:12
	ds_store_2addr_stride64_b32 v45, v5, v6 offset0:16 offset1:20
	;; [unrolled: 1-line block ×5, first 2 shown]
	ds_store_b32 v45, v13 offset:12288
	s_wait_loadcnt_dscnt 0x0
	s_barrier_signal -1
	s_barrier_wait -1
.LBB597_8:
	v_mul_u32_u24_e32 v48, 13, v0
	s_wait_loadcnt 0x0
	global_inv scope:SCOPE_SE
	v_cndmask_b32_e64 v46, 0, 1, s1
	s_and_not1_b32 vcc_lo, exec_lo, s1
	v_lshlrev_b32_e32 v1, 2, v48
	ds_load_2addr_b32 v[29:30], v1 offset0:2 offset1:3
	ds_load_2addr_b32 v[25:26], v1 offset0:6 offset1:7
	;; [unrolled: 1-line block ×3, first 2 shown]
	ds_load_2addr_b32 v[31:32], v1 offset1:1
	ds_load_2addr_b32 v[21:22], v1 offset0:10 offset1:11
	ds_load_b32 v47, v1 offset:48
	ds_load_2addr_b32 v[23:24], v1 offset0:8 offset1:9
	s_wait_loadcnt_dscnt 0x0
	s_barrier_signal -1
	s_barrier_wait -1
	global_inv scope:SCOPE_SE
	s_wait_alu 0xfffe
	s_cbranch_vccnz .LBB597_10
; %bb.9:
	v_add_nc_u32_e32 v1, s5, v30
	v_add_nc_u32_e32 v2, s7, v30
	;; [unrolled: 1-line block ×5, first 2 shown]
	v_mul_lo_u32 v1, v1, s4
	v_mul_lo_u32 v2, v2, s6
	v_add_nc_u32_e32 v8, s7, v29
	v_add_nc_u32_e32 v3, s5, v32
	;; [unrolled: 1-line block ×3, first 2 shown]
	v_mul_lo_u32 v5, v5, s4
	v_mul_lo_u32 v4, v4, s4
	v_add_nc_u32_e32 v9, s5, v27
	v_mul_lo_u32 v3, v3, s4
	v_sub_nc_u32_e32 v1, v1, v2
	v_mul_lo_u32 v2, v7, s6
	v_mul_lo_u32 v7, v8, s6
	;; [unrolled: 1-line block ×3, first 2 shown]
	v_add_nc_u32_e32 v8, s5, v28
	v_add_nc_u32_e32 v10, s7, v27
	v_mul_lo_u32 v9, v9, s4
	v_cmp_lt_u32_e32 vcc_lo, s3, v1
	v_add_nc_u32_e32 v14, s7, v22
	v_sub_nc_u32_e32 v2, v4, v2
	v_sub_nc_u32_e32 v4, v5, v7
	v_add_nc_u32_e32 v5, s7, v28
	v_sub_nc_u32_e32 v3, v3, v6
	v_add_nc_u32_e32 v6, s5, v26
	v_add_nc_u32_e32 v7, s7, v26
	v_mul_lo_u32 v8, v8, s4
	v_mul_lo_u32 v5, v5, s6
	;; [unrolled: 1-line block ×5, first 2 shown]
	s_wait_alu 0xfffd
	v_cndmask_b32_e64 v1, 0, 1, vcc_lo
	v_cmp_lt_u32_e32 vcc_lo, s3, v3
	v_mul_lo_u32 v14, v14, s6
	v_add_nc_u32_e32 v15, s7, v24
	v_sub_nc_u32_e32 v5, v8, v5
	v_add_nc_u32_e32 v8, s7, v25
	s_wait_alu 0xfffd
	v_cndmask_b32_e64 v3, 0, 1, vcc_lo
	v_sub_nc_u32_e32 v6, v6, v7
	v_mul_lo_u32 v15, v15, s6
	v_cmp_lt_u32_e32 vcc_lo, s3, v5
	v_mul_lo_u32 v7, v8, s6
	v_sub_nc_u32_e32 v8, v9, v10
	v_add_nc_u32_e32 v9, s5, v22
	v_add_nc_u32_e32 v10, s5, v24
	s_wait_alu 0xfffd
	v_cndmask_b32_e64 v5, 0, 1, vcc_lo
	v_cmp_lt_u32_e32 vcc_lo, s3, v6
	v_add_nc_u32_e32 v11, s5, v25
	v_mul_lo_u32 v9, v9, s4
	v_mul_lo_u32 v10, v10, s4
	v_add_nc_u32_e32 v12, s5, v23
	s_wait_alu 0xfffd
	v_cndmask_b32_e64 v6, 0, 1, vcc_lo
	v_mul_lo_u32 v11, v11, s4
	v_add_nc_u32_e32 v16, s7, v23
	v_lshlrev_b16 v3, 8, v3
	v_add_nc_u32_e32 v13, s5, v21
	v_sub_nc_u32_e32 v9, v9, v14
	v_sub_nc_u32_e32 v10, v10, v15
	v_add_nc_u32_e32 v19, s7, v21
	v_mul_lo_u32 v12, v12, s4
	v_mul_lo_u32 v16, v16, s6
	v_cmp_lt_u32_e32 vcc_lo, s3, v9
	v_sub_nc_u32_e32 v7, v11, v7
	v_lshrrev_b32_e32 v3, 8, v3
	v_mul_lo_u32 v11, v13, s4
	v_mul_lo_u32 v13, v19, s6
	s_wait_alu 0xfffd
	v_cndmask_b32_e64 v9, 0, 1, vcc_lo
	v_cmp_lt_u32_e32 vcc_lo, s3, v2
	v_sub_nc_u32_e32 v12, v12, v16
	v_lshlrev_b16 v3, 8, v3
	v_lshlrev_b16 v1, 8, v1
	;; [unrolled: 1-line block ×3, first 2 shown]
	s_wait_alu 0xfffd
	v_cndmask_b32_e64 v2, 0, 1, vcc_lo
	v_cmp_lt_u32_e32 vcc_lo, s3, v10
	v_sub_nc_u32_e32 v11, v11, v13
	v_add_nc_u32_e32 v14, s5, v47
	v_add_nc_u32_e32 v15, s7, v47
	v_or_b32_e32 v2, v2, v3
	s_wait_alu 0xfffd
	v_cndmask_b32_e64 v10, 0, 1, vcc_lo
	v_cmp_lt_u32_e32 vcc_lo, s3, v4
	v_lshlrev_b16 v3, 8, v9
	v_lshrrev_b32_e32 v5, 8, v5
	v_lshrrev_b32_e32 v1, 8, v1
	v_lshlrev_b16 v9, 8, v10
	s_wait_alu 0xfffd
	v_cndmask_b32_e64 v4, 0, 1, vcc_lo
	v_cmp_lt_u32_e32 vcc_lo, s3, v8
	v_lshrrev_b32_e32 v3, 8, v3
	v_mul_lo_u32 v14, v14, s4
	v_lshrrev_b32_e32 v9, 8, v9
	v_mul_lo_u32 v15, v15, s6
	s_wait_alu 0xfffd
	v_cndmask_b32_e64 v8, 0, 1, vcc_lo
	v_cmp_lt_u32_e32 vcc_lo, s3, v7
	v_lshlrev_b16 v6, 8, v6
	v_lshlrev_b16 v1, 8, v1
	;; [unrolled: 1-line block ×4, first 2 shown]
	s_wait_alu 0xfffd
	v_cndmask_b32_e64 v7, 0, 1, vcc_lo
	v_cmp_lt_u32_e32 vcc_lo, s3, v12
	v_lshlrev_b16 v3, 8, v3
	v_sub_nc_u32_e32 v10, v14, v15
	v_or_b32_e32 v1, v4, v1
	v_or_b32_e32 v4, v8, v5
	s_wait_alu 0xfffd
	v_cndmask_b32_e64 v12, 0, 1, vcc_lo
	v_cmp_lt_u32_e32 vcc_lo, s3, v11
	v_or_b32_e32 v5, v7, v6
	v_and_b32_e32 v2, 0xffff, v2
	v_lshlrev_b32_e32 v1, 16, v1
	v_or_b32_e32 v6, v12, v9
	s_wait_alu 0xfffd
	v_cndmask_b32_e64 v11, 0, 1, vcc_lo
	v_and_b32_e32 v4, 0xffff, v4
	v_lshlrev_b32_e32 v5, 16, v5
	v_cmp_lt_u32_e32 vcc_lo, s3, v10
	v_and_b32_e32 v6, 0xffff, v6
	v_or_b32_e32 v3, v11, v3
	v_or_b32_e32 v54, v2, v1
	;; [unrolled: 1-line block ×3, first 2 shown]
	s_wait_alu 0xfffd
	v_cndmask_b32_e64 v49, 0, 1, vcc_lo
	v_lshlrev_b32_e32 v3, 16, v3
	s_delay_alu instid0(VALU_DEP_1)
	v_or_b32_e32 v50, v6, v3
	s_cbranch_execz .LBB597_11
	s_branch .LBB597_38
.LBB597_10:
                                        ; implicit-def: $vgpr49
                                        ; implicit-def: $vgpr50
                                        ; implicit-def: $vgpr52
                                        ; implicit-def: $vgpr54
.LBB597_11:
	v_dual_mov_b32 v2, 0 :: v_dual_mov_b32 v1, 0
	s_mov_b32 s0, exec_lo
	v_cmpx_gt_u32_e64 s22, v48
	s_cbranch_execz .LBB597_13
; %bb.12:
	v_add_nc_u32_e32 v1, s5, v31
	v_add_nc_u32_e32 v3, s7, v31
	s_delay_alu instid0(VALU_DEP_2) | instskip(NEXT) | instid1(VALU_DEP_2)
	v_mul_lo_u32 v1, v1, s4
	v_mul_lo_u32 v3, v3, s6
	s_delay_alu instid0(VALU_DEP_1) | instskip(NEXT) | instid1(VALU_DEP_1)
	v_sub_nc_u32_e32 v1, v1, v3
	v_cmp_lt_u32_e32 vcc_lo, s3, v1
	s_wait_alu 0xfffd
	v_cndmask_b32_e64 v1, 0, 1, vcc_lo
.LBB597_13:
	s_wait_alu 0xfffe
	s_or_b32 exec_lo, exec_lo, s0
	v_add_nc_u32_e32 v3, 1, v48
	s_mov_b32 s0, exec_lo
	s_delay_alu instid0(VALU_DEP_1)
	v_cmpx_gt_u32_e64 s22, v3
	s_cbranch_execz .LBB597_15
; %bb.14:
	v_add_nc_u32_e32 v2, s5, v32
	v_add_nc_u32_e32 v3, s7, v32
	s_delay_alu instid0(VALU_DEP_2) | instskip(NEXT) | instid1(VALU_DEP_2)
	v_mul_lo_u32 v2, v2, s4
	v_mul_lo_u32 v3, v3, s6
	s_delay_alu instid0(VALU_DEP_1) | instskip(NEXT) | instid1(VALU_DEP_1)
	v_sub_nc_u32_e32 v2, v2, v3
	v_cmp_lt_u32_e32 vcc_lo, s3, v2
	s_wait_alu 0xfffd
	v_cndmask_b32_e64 v2, 0, 1, vcc_lo
.LBB597_15:
	s_wait_alu 0xfffe
	s_or_b32 exec_lo, exec_lo, s0
	v_dual_mov_b32 v4, 0 :: v_dual_add_nc_u32 v3, 2, v48
	s_delay_alu instid0(VALU_DEP_1)
	v_cmp_gt_u32_e32 vcc_lo, s22, v3
	v_mov_b32_e32 v3, 0
	s_and_saveexec_b32 s0, vcc_lo
	s_cbranch_execz .LBB597_17
; %bb.16:
	v_add_nc_u32_e32 v3, s5, v29
	v_add_nc_u32_e32 v5, s7, v29
	s_delay_alu instid0(VALU_DEP_2) | instskip(NEXT) | instid1(VALU_DEP_2)
	v_mul_lo_u32 v3, v3, s4
	v_mul_lo_u32 v5, v5, s6
	s_delay_alu instid0(VALU_DEP_1) | instskip(NEXT) | instid1(VALU_DEP_1)
	v_sub_nc_u32_e32 v3, v3, v5
	v_cmp_lt_u32_e32 vcc_lo, s3, v3
	s_wait_alu 0xfffd
	v_cndmask_b32_e64 v3, 0, 1, vcc_lo
.LBB597_17:
	s_wait_alu 0xfffe
	s_or_b32 exec_lo, exec_lo, s0
	v_add_nc_u32_e32 v5, 3, v48
	s_mov_b32 s0, exec_lo
	s_delay_alu instid0(VALU_DEP_1)
	v_cmpx_gt_u32_e64 s22, v5
	s_cbranch_execz .LBB597_19
; %bb.18:
	v_add_nc_u32_e32 v4, s5, v30
	v_add_nc_u32_e32 v5, s7, v30
	s_delay_alu instid0(VALU_DEP_2) | instskip(NEXT) | instid1(VALU_DEP_2)
	v_mul_lo_u32 v4, v4, s4
	v_mul_lo_u32 v5, v5, s6
	s_delay_alu instid0(VALU_DEP_1) | instskip(NEXT) | instid1(VALU_DEP_1)
	v_sub_nc_u32_e32 v4, v4, v5
	v_cmp_lt_u32_e32 vcc_lo, s3, v4
	s_wait_alu 0xfffd
	v_cndmask_b32_e64 v4, 0, 1, vcc_lo
.LBB597_19:
	s_wait_alu 0xfffe
	s_or_b32 exec_lo, exec_lo, s0
	v_dual_mov_b32 v6, 0 :: v_dual_add_nc_u32 v5, 4, v48
	s_delay_alu instid0(VALU_DEP_1)
	v_cmp_gt_u32_e32 vcc_lo, s22, v5
	v_mov_b32_e32 v5, 0
	s_and_saveexec_b32 s0, vcc_lo
	;; [unrolled: 39-line block ×5, first 2 shown]
	s_cbranch_execz .LBB597_33
; %bb.32:
	v_add_nc_u32_e32 v11, s5, v21
	v_add_nc_u32_e32 v13, s7, v21
	s_delay_alu instid0(VALU_DEP_2) | instskip(NEXT) | instid1(VALU_DEP_2)
	v_mul_lo_u32 v11, v11, s4
	v_mul_lo_u32 v13, v13, s6
	s_delay_alu instid0(VALU_DEP_1) | instskip(NEXT) | instid1(VALU_DEP_1)
	v_sub_nc_u32_e32 v11, v11, v13
	v_cmp_lt_u32_e32 vcc_lo, s3, v11
	s_wait_alu 0xfffd
	v_cndmask_b32_e64 v11, 0, 1, vcc_lo
.LBB597_33:
	s_wait_alu 0xfffe
	s_or_b32 exec_lo, exec_lo, s0
	v_add_nc_u32_e32 v13, 11, v48
	s_mov_b32 s0, exec_lo
	s_delay_alu instid0(VALU_DEP_1)
	v_cmpx_gt_u32_e64 s22, v13
	s_cbranch_execz .LBB597_35
; %bb.34:
	v_add_nc_u32_e32 v12, s5, v22
	v_add_nc_u32_e32 v13, s7, v22
	s_delay_alu instid0(VALU_DEP_2) | instskip(NEXT) | instid1(VALU_DEP_2)
	v_mul_lo_u32 v12, v12, s4
	v_mul_lo_u32 v13, v13, s6
	s_delay_alu instid0(VALU_DEP_1) | instskip(NEXT) | instid1(VALU_DEP_1)
	v_sub_nc_u32_e32 v12, v12, v13
	v_cmp_lt_u32_e32 vcc_lo, s3, v12
	s_wait_alu 0xfffd
	v_cndmask_b32_e64 v12, 0, 1, vcc_lo
.LBB597_35:
	s_wait_alu 0xfffe
	s_or_b32 exec_lo, exec_lo, s0
	v_add_nc_u32_e32 v13, 12, v48
	v_mov_b32_e32 v49, 0
	s_mov_b32 s0, exec_lo
	s_delay_alu instid0(VALU_DEP_2)
	v_cmpx_gt_u32_e64 s22, v13
	s_cbranch_execz .LBB597_37
; %bb.36:
	v_add_nc_u32_e32 v13, s5, v47
	v_add_nc_u32_e32 v14, s7, v47
	s_delay_alu instid0(VALU_DEP_2) | instskip(NEXT) | instid1(VALU_DEP_2)
	v_mul_lo_u32 v13, v13, s4
	v_mul_lo_u32 v14, v14, s6
	s_delay_alu instid0(VALU_DEP_1) | instskip(NEXT) | instid1(VALU_DEP_1)
	v_sub_nc_u32_e32 v13, v13, v14
	v_cmp_lt_u32_e32 vcc_lo, s3, v13
	s_wait_alu 0xfffd
	v_cndmask_b32_e64 v49, 0, 1, vcc_lo
.LBB597_37:
	s_wait_alu 0xfffe
	s_or_b32 exec_lo, exec_lo, s0
	v_lshlrev_b16 v2, 8, v2
	v_lshlrev_b16 v4, 8, v4
	;; [unrolled: 1-line block ×5, first 2 shown]
	v_or_b32_e32 v1, v1, v2
	v_lshlrev_b16 v2, 8, v12
	v_or_b32_e32 v3, v3, v4
	v_or_b32_e32 v4, v5, v6
	;; [unrolled: 1-line block ×5, first 2 shown]
	v_and_b32_e32 v1, 0xffff, v1
	v_lshlrev_b32_e32 v3, 16, v3
	v_and_b32_e32 v4, 0xffff, v4
	v_lshlrev_b32_e32 v5, 16, v5
	;; [unrolled: 2-line block ×3, first 2 shown]
	v_or_b32_e32 v54, v1, v3
	s_delay_alu instid0(VALU_DEP_4) | instskip(NEXT) | instid1(VALU_DEP_3)
	v_or_b32_e32 v52, v4, v5
	v_or_b32_e32 v50, v6, v2
.LBB597_38:
	s_delay_alu instid0(VALU_DEP_3)
	v_and_b32_e32 v56, 0xff, v54
	v_bfe_u32 v57, v54, 8, 8
	v_bfe_u32 v58, v54, 16, 8
	v_lshrrev_b32_e32 v55, 24, v54
	v_and_b32_e32 v59, 0xff, v52
	v_bfe_u32 v60, v52, 8, 8
	v_bfe_u32 v61, v52, 16, 8
	v_add3_u32 v1, v57, v56, v58
	v_lshrrev_b32_e32 v53, 24, v52
	v_and_b32_e32 v62, 0xff, v50
	v_bfe_u32 v63, v50, 8, 8
	v_mbcnt_lo_u32_b32 v65, -1, 0
	v_add3_u32 v1, v1, v55, v59
	v_bfe_u32 v64, v50, 16, 8
	v_lshrrev_b32_e32 v51, 24, v50
	v_and_b32_e32 v2, 0xff, v49
	v_and_b32_e32 v3, 15, v65
	v_add3_u32 v1, v1, v60, v61
	v_or_b32_e32 v4, 31, v0
	v_and_b32_e32 v5, 16, v65
	v_lshrrev_b32_e32 v66, 5, v0
	v_cmp_eq_u32_e64 s6, 0, v3
	v_add3_u32 v1, v1, v53, v62
	v_cmp_lt_u32_e64 s5, 1, v3
	v_cmp_lt_u32_e64 s4, 3, v3
	;; [unrolled: 1-line block ×3, first 2 shown]
	v_cmp_eq_u32_e64 s1, 0, v5
	v_add3_u32 v1, v1, v63, v64
	v_cmp_eq_u32_e64 s0, v0, v4
	s_cmp_lg_u32 s15, 0
	s_mov_b32 s7, -1
	v_add3_u32 v67, v1, v51, v2
	s_cbranch_scc0 .LBB597_59
; %bb.39:
	s_delay_alu instid0(VALU_DEP_1) | instskip(NEXT) | instid1(VALU_DEP_1)
	v_mov_b32_dpp v1, v67 row_shr:1 row_mask:0xf bank_mask:0xf
	v_cndmask_b32_e64 v1, v1, 0, s6
	s_delay_alu instid0(VALU_DEP_1) | instskip(NEXT) | instid1(VALU_DEP_1)
	v_add_nc_u32_e32 v1, v1, v67
	v_mov_b32_dpp v2, v1 row_shr:2 row_mask:0xf bank_mask:0xf
	s_delay_alu instid0(VALU_DEP_1) | instskip(NEXT) | instid1(VALU_DEP_1)
	v_cndmask_b32_e64 v2, 0, v2, s5
	v_add_nc_u32_e32 v1, v1, v2
	s_delay_alu instid0(VALU_DEP_1) | instskip(NEXT) | instid1(VALU_DEP_1)
	v_mov_b32_dpp v2, v1 row_shr:4 row_mask:0xf bank_mask:0xf
	v_cndmask_b32_e64 v2, 0, v2, s4
	s_delay_alu instid0(VALU_DEP_1) | instskip(NEXT) | instid1(VALU_DEP_1)
	v_add_nc_u32_e32 v1, v1, v2
	v_mov_b32_dpp v2, v1 row_shr:8 row_mask:0xf bank_mask:0xf
	s_delay_alu instid0(VALU_DEP_1) | instskip(NEXT) | instid1(VALU_DEP_1)
	v_cndmask_b32_e64 v2, 0, v2, s3
	v_add_nc_u32_e32 v1, v1, v2
	ds_swizzle_b32 v2, v1 offset:swizzle(BROADCAST,32,15)
	s_wait_dscnt 0x0
	v_cndmask_b32_e64 v2, v2, 0, s1
	s_delay_alu instid0(VALU_DEP_1)
	v_add_nc_u32_e32 v1, v1, v2
	s_and_saveexec_b32 s7, s0
; %bb.40:
	v_lshlrev_b32_e32 v2, 2, v66
	ds_store_b32 v2, v1
; %bb.41:
	s_wait_alu 0xfffe
	s_or_b32 exec_lo, exec_lo, s7
	s_delay_alu instid0(SALU_CYCLE_1)
	s_mov_b32 s7, exec_lo
	s_wait_loadcnt_dscnt 0x0
	s_barrier_signal -1
	s_barrier_wait -1
	global_inv scope:SCOPE_SE
	v_cmpx_gt_u32_e32 8, v0
	s_cbranch_execz .LBB597_43
; %bb.42:
	ds_load_b32 v2, v45
	s_wait_dscnt 0x0
	v_mov_b32_dpp v4, v2 row_shr:1 row_mask:0xf bank_mask:0xf
	v_and_b32_e32 v3, 7, v65
	s_delay_alu instid0(VALU_DEP_1) | instskip(SKIP_1) | instid1(VALU_DEP_3)
	v_cmp_ne_u32_e32 vcc_lo, 0, v3
	s_wait_alu 0xfffd
	v_cndmask_b32_e32 v4, 0, v4, vcc_lo
	v_cmp_lt_u32_e32 vcc_lo, 1, v3
	s_delay_alu instid0(VALU_DEP_2) | instskip(NEXT) | instid1(VALU_DEP_1)
	v_add_nc_u32_e32 v2, v4, v2
	v_mov_b32_dpp v4, v2 row_shr:2 row_mask:0xf bank_mask:0xf
	s_wait_alu 0xfffd
	s_delay_alu instid0(VALU_DEP_1) | instskip(SKIP_1) | instid1(VALU_DEP_2)
	v_cndmask_b32_e32 v4, 0, v4, vcc_lo
	v_cmp_lt_u32_e32 vcc_lo, 3, v3
	v_add_nc_u32_e32 v2, v2, v4
	s_delay_alu instid0(VALU_DEP_1) | instskip(SKIP_1) | instid1(VALU_DEP_1)
	v_mov_b32_dpp v4, v2 row_shr:4 row_mask:0xf bank_mask:0xf
	s_wait_alu 0xfffd
	v_cndmask_b32_e32 v3, 0, v4, vcc_lo
	s_delay_alu instid0(VALU_DEP_1)
	v_add_nc_u32_e32 v2, v2, v3
	ds_store_b32 v45, v2
.LBB597_43:
	s_wait_alu 0xfffe
	s_or_b32 exec_lo, exec_lo, s7
	s_delay_alu instid0(SALU_CYCLE_1)
	s_mov_b32 s8, exec_lo
	v_cmp_gt_u32_e32 vcc_lo, 32, v0
	s_wait_loadcnt_dscnt 0x0
	s_barrier_signal -1
	s_barrier_wait -1
	global_inv scope:SCOPE_SE
                                        ; implicit-def: $vgpr9
	v_cmpx_lt_u32_e32 31, v0
	s_cbranch_execz .LBB597_45
; %bb.44:
	v_lshl_add_u32 v2, v66, 2, -4
	ds_load_b32 v9, v2
	s_wait_dscnt 0x0
	v_add_nc_u32_e32 v1, v9, v1
.LBB597_45:
	s_wait_alu 0xfffe
	s_or_b32 exec_lo, exec_lo, s8
	v_sub_co_u32 v2, s7, v65, 1
	s_delay_alu instid0(VALU_DEP_1) | instskip(SKIP_1) | instid1(VALU_DEP_1)
	v_cmp_gt_i32_e64 s8, 0, v2
	s_wait_alu 0xf1ff
	v_cndmask_b32_e64 v2, v2, v65, s8
	s_delay_alu instid0(VALU_DEP_1)
	v_lshlrev_b32_e32 v2, 2, v2
	ds_bpermute_b32 v10, v2, v1
	s_and_saveexec_b32 s8, vcc_lo
	s_cbranch_execz .LBB597_64
; %bb.46:
	v_mov_b32_e32 v5, 0
	ds_load_b32 v1, v5 offset:28
	s_and_saveexec_b32 s23, s7
	s_cbranch_execz .LBB597_48
; %bb.47:
	s_add_co_i32 s24, s15, 32
	s_mov_b32 s25, 0
	v_mov_b32_e32 v2, 1
	s_lshl_b64 s[24:25], s[24:25], 3
	s_delay_alu instid0(SALU_CYCLE_1)
	s_add_nc_u64 s[24:25], s[20:21], s[24:25]
	s_wait_dscnt 0x0
	global_store_b64 v5, v[1:2], s[24:25] scope:SCOPE_DEV
.LBB597_48:
	s_wait_alu 0xfffe
	s_or_b32 exec_lo, exec_lo, s23
	v_xad_u32 v3, v65, -1, s15
	s_mov_b32 s24, 0
	s_mov_b32 s23, exec_lo
	s_delay_alu instid0(VALU_DEP_1) | instskip(NEXT) | instid1(VALU_DEP_1)
	v_add_nc_u32_e32 v4, 32, v3
	v_lshlrev_b64_e32 v[4:5], 3, v[4:5]
	s_delay_alu instid0(VALU_DEP_1) | instskip(SKIP_1) | instid1(VALU_DEP_2)
	v_add_co_u32 v7, vcc_lo, s20, v4
	s_wait_alu 0xfffd
	v_add_co_ci_u32_e64 v8, null, s21, v5, vcc_lo
	global_load_b64 v[5:6], v[7:8], off scope:SCOPE_DEV
	s_wait_loadcnt 0x0
	v_and_b32_e32 v2, 0xff, v6
	s_delay_alu instid0(VALU_DEP_1)
	v_cmpx_eq_u16_e32 0, v2
	s_cbranch_execz .LBB597_51
.LBB597_49:                             ; =>This Inner Loop Header: Depth=1
	global_load_b64 v[5:6], v[7:8], off scope:SCOPE_DEV
	s_wait_loadcnt 0x0
	v_and_b32_e32 v2, 0xff, v6
	s_delay_alu instid0(VALU_DEP_1) | instskip(SKIP_1) | instid1(SALU_CYCLE_1)
	v_cmp_ne_u16_e32 vcc_lo, 0, v2
	s_or_b32 s24, vcc_lo, s24
	s_and_not1_b32 exec_lo, exec_lo, s24
	s_cbranch_execnz .LBB597_49
; %bb.50:
	s_or_b32 exec_lo, exec_lo, s24
.LBB597_51:
	s_wait_alu 0xfffe
	s_or_b32 exec_lo, exec_lo, s23
	v_cmp_ne_u32_e32 vcc_lo, 31, v65
	v_lshlrev_b32_e64 v12, v65, -1
	v_add_nc_u32_e32 v14, 2, v65
	v_add_nc_u32_e32 v16, 4, v65
	v_add_nc_u32_e32 v20, 8, v65
	s_wait_alu 0xfffd
	v_add_co_ci_u32_e64 v2, null, 0, v65, vcc_lo
	v_lshl_or_b32 v68, v65, 2, 64
	v_add_nc_u32_e32 v69, 16, v65
	s_delay_alu instid0(VALU_DEP_3)
	v_lshlrev_b32_e32 v11, 2, v2
	v_and_b32_e32 v2, 0xff, v6
	ds_bpermute_b32 v4, v11, v5
	v_cmp_eq_u16_e32 vcc_lo, 2, v2
	s_wait_alu 0xfffd
	v_and_or_b32 v2, vcc_lo, v12, 0x80000000
	v_cmp_gt_u32_e32 vcc_lo, 30, v65
	s_delay_alu instid0(VALU_DEP_2) | instskip(SKIP_2) | instid1(VALU_DEP_2)
	v_ctz_i32_b32_e32 v2, v2
	s_wait_alu 0xfffd
	v_cndmask_b32_e64 v7, 0, 2, vcc_lo
	v_cmp_lt_u32_e32 vcc_lo, v65, v2
	s_delay_alu instid0(VALU_DEP_2) | instskip(SKIP_4) | instid1(VALU_DEP_2)
	v_add_lshl_u32 v13, v7, v65, 2
	s_wait_dscnt 0x0
	s_wait_alu 0xfffd
	v_cndmask_b32_e32 v4, 0, v4, vcc_lo
	v_cmp_gt_u32_e32 vcc_lo, 28, v65
	v_add_nc_u32_e32 v4, v4, v5
	s_wait_alu 0xfffd
	v_cndmask_b32_e64 v7, 0, 4, vcc_lo
	v_cmp_le_u32_e32 vcc_lo, v14, v2
	ds_bpermute_b32 v5, v13, v4
	v_add_lshl_u32 v15, v7, v65, 2
	s_wait_dscnt 0x0
	s_wait_alu 0xfffd
	v_cndmask_b32_e32 v5, 0, v5, vcc_lo
	v_cmp_gt_u32_e32 vcc_lo, 24, v65
	s_delay_alu instid0(VALU_DEP_2)
	v_add_nc_u32_e32 v4, v4, v5
	s_wait_alu 0xfffd
	v_cndmask_b32_e64 v7, 0, 8, vcc_lo
	v_cmp_le_u32_e32 vcc_lo, v16, v2
	ds_bpermute_b32 v5, v15, v4
	v_add_lshl_u32 v19, v7, v65, 2
	s_wait_dscnt 0x0
	s_wait_alu 0xfffd
	v_cndmask_b32_e32 v5, 0, v5, vcc_lo
	v_cmp_le_u32_e32 vcc_lo, v20, v2
	s_delay_alu instid0(VALU_DEP_2)
	v_add_nc_u32_e32 v4, v4, v5
	ds_bpermute_b32 v5, v19, v4
	s_wait_dscnt 0x0
	s_wait_alu 0xfffd
	v_cndmask_b32_e32 v5, 0, v5, vcc_lo
	v_cmp_le_u32_e32 vcc_lo, v69, v2
	s_delay_alu instid0(VALU_DEP_2) | instskip(SKIP_4) | instid1(VALU_DEP_1)
	v_add_nc_u32_e32 v4, v4, v5
	ds_bpermute_b32 v5, v68, v4
	s_wait_dscnt 0x0
	s_wait_alu 0xfffd
	v_cndmask_b32_e32 v2, 0, v5, vcc_lo
	v_dual_mov_b32 v4, 0 :: v_dual_add_nc_u32 v5, v4, v2
	s_branch .LBB597_55
.LBB597_52:                             ;   in Loop: Header=BB597_55 Depth=1
	s_or_b32 exec_lo, exec_lo, s24
.LBB597_53:                             ;   in Loop: Header=BB597_55 Depth=1
	s_wait_alu 0xfffe
	s_or_b32 exec_lo, exec_lo, s23
	ds_bpermute_b32 v8, v11, v5
	v_and_b32_e32 v7, 0xff, v6
	v_subrev_nc_u32_e32 v3, 32, v3
	s_mov_b32 s23, 0
	s_delay_alu instid0(VALU_DEP_2) | instskip(SKIP_2) | instid1(VALU_DEP_1)
	v_cmp_eq_u16_e32 vcc_lo, 2, v7
	s_wait_alu 0xfffd
	v_and_or_b32 v7, vcc_lo, v12, 0x80000000
	v_ctz_i32_b32_e32 v7, v7
	s_delay_alu instid0(VALU_DEP_1) | instskip(SKIP_4) | instid1(VALU_DEP_2)
	v_cmp_lt_u32_e32 vcc_lo, v65, v7
	s_wait_dscnt 0x0
	s_wait_alu 0xfffd
	v_cndmask_b32_e32 v8, 0, v8, vcc_lo
	v_cmp_le_u32_e32 vcc_lo, v14, v7
	v_add_nc_u32_e32 v5, v8, v5
	ds_bpermute_b32 v8, v13, v5
	s_wait_dscnt 0x0
	s_wait_alu 0xfffd
	v_cndmask_b32_e32 v8, 0, v8, vcc_lo
	v_cmp_le_u32_e32 vcc_lo, v16, v7
	s_delay_alu instid0(VALU_DEP_2)
	v_add_nc_u32_e32 v5, v5, v8
	ds_bpermute_b32 v8, v15, v5
	s_wait_dscnt 0x0
	s_wait_alu 0xfffd
	v_cndmask_b32_e32 v8, 0, v8, vcc_lo
	v_cmp_le_u32_e32 vcc_lo, v20, v7
	s_delay_alu instid0(VALU_DEP_2)
	v_add_nc_u32_e32 v5, v5, v8
	ds_bpermute_b32 v8, v19, v5
	s_wait_dscnt 0x0
	s_wait_alu 0xfffd
	v_cndmask_b32_e32 v8, 0, v8, vcc_lo
	v_cmp_le_u32_e32 vcc_lo, v69, v7
	s_delay_alu instid0(VALU_DEP_2) | instskip(SKIP_4) | instid1(VALU_DEP_1)
	v_add_nc_u32_e32 v5, v5, v8
	ds_bpermute_b32 v8, v68, v5
	s_wait_dscnt 0x0
	s_wait_alu 0xfffd
	v_cndmask_b32_e32 v7, 0, v8, vcc_lo
	v_add3_u32 v5, v7, v2, v5
.LBB597_54:                             ;   in Loop: Header=BB597_55 Depth=1
	s_wait_alu 0xfffe
	s_and_b32 vcc_lo, exec_lo, s23
	s_wait_alu 0xfffe
	s_cbranch_vccnz .LBB597_60
.LBB597_55:                             ; =>This Loop Header: Depth=1
                                        ;     Child Loop BB597_58 Depth 2
	v_and_b32_e32 v2, 0xff, v6
	s_mov_b32 s23, -1
                                        ; implicit-def: $vgpr6
	s_delay_alu instid0(VALU_DEP_1)
	v_cmp_ne_u16_e32 vcc_lo, 2, v2
	v_mov_b32_e32 v2, v5
                                        ; implicit-def: $vgpr5
	s_cmp_lg_u32 vcc_lo, exec_lo
	s_cbranch_scc1 .LBB597_54
; %bb.56:                               ;   in Loop: Header=BB597_55 Depth=1
	v_lshlrev_b64_e32 v[5:6], 3, v[3:4]
	s_mov_b32 s23, exec_lo
	s_delay_alu instid0(VALU_DEP_1) | instskip(SKIP_1) | instid1(VALU_DEP_2)
	v_add_co_u32 v7, vcc_lo, s20, v5
	s_wait_alu 0xfffd
	v_add_co_ci_u32_e64 v8, null, s21, v6, vcc_lo
	global_load_b64 v[5:6], v[7:8], off scope:SCOPE_DEV
	s_wait_loadcnt 0x0
	v_and_b32_e32 v70, 0xff, v6
	s_delay_alu instid0(VALU_DEP_1)
	v_cmpx_eq_u16_e32 0, v70
	s_cbranch_execz .LBB597_53
; %bb.57:                               ;   in Loop: Header=BB597_55 Depth=1
	s_mov_b32 s24, 0
.LBB597_58:                             ;   Parent Loop BB597_55 Depth=1
                                        ; =>  This Inner Loop Header: Depth=2
	global_load_b64 v[5:6], v[7:8], off scope:SCOPE_DEV
	s_wait_loadcnt 0x0
	v_and_b32_e32 v70, 0xff, v6
	s_delay_alu instid0(VALU_DEP_1) | instskip(SKIP_1) | instid1(SALU_CYCLE_1)
	v_cmp_ne_u16_e32 vcc_lo, 0, v70
	s_or_b32 s24, vcc_lo, s24
	s_and_not1_b32 exec_lo, exec_lo, s24
	s_cbranch_execnz .LBB597_58
	s_branch .LBB597_52
.LBB597_59:
                                        ; implicit-def: $vgpr20
                                        ; implicit-def: $vgpr1_vgpr2_vgpr3_vgpr4_vgpr5_vgpr6_vgpr7_vgpr8_vgpr9_vgpr10_vgpr11_vgpr12_vgpr13_vgpr14_vgpr15_vgpr16
	s_wait_alu 0xfffe
	s_and_b32 vcc_lo, exec_lo, s7
	s_wait_alu 0xfffe
	s_cbranch_vccnz .LBB597_65
	s_branch .LBB597_74
.LBB597_60:
	s_and_saveexec_b32 s23, s7
	s_cbranch_execz .LBB597_62
; %bb.61:
	s_add_co_i32 s24, s15, 32
	s_mov_b32 s25, 0
	v_dual_mov_b32 v4, 2 :: v_dual_add_nc_u32 v3, v2, v1
	v_mov_b32_e32 v5, 0
	s_lshl_b64 s[24:25], s[24:25], 3
	s_delay_alu instid0(SALU_CYCLE_1)
	s_add_nc_u64 s[24:25], s[20:21], s[24:25]
	global_store_b64 v5, v[3:4], s[24:25] scope:SCOPE_DEV
	ds_store_b64 v5, v[1:2] offset:13312
.LBB597_62:
	s_wait_alu 0xfffe
	s_or_b32 exec_lo, exec_lo, s23
	s_delay_alu instid0(SALU_CYCLE_1)
	s_and_b32 exec_lo, exec_lo, s2
; %bb.63:
	v_mov_b32_e32 v1, 0
	ds_store_b32 v1, v2 offset:28
.LBB597_64:
	s_wait_alu 0xfffe
	s_or_b32 exec_lo, exec_lo, s8
	v_mov_b32_e32 v11, 0
	s_wait_storecnt 0x0
	s_wait_loadcnt_dscnt 0x0
	s_barrier_signal -1
	s_barrier_wait -1
	global_inv scope:SCOPE_SE
	ds_load_b32 v1, v11 offset:28
	v_cndmask_b32_e64 v2, v10, v9, s7
	s_wait_loadcnt_dscnt 0x0
	s_barrier_signal -1
	s_barrier_wait -1
	global_inv scope:SCOPE_SE
	v_cndmask_b32_e64 v2, v2, 0, s2
	s_delay_alu instid0(VALU_DEP_1) | instskip(NEXT) | instid1(VALU_DEP_1)
	v_add_nc_u32_e32 v1, v1, v2
	v_add_nc_u32_e32 v2, v1, v56
	ds_load_b64 v[19:20], v11 offset:13312
	v_add_nc_u32_e32 v3, v2, v57
	s_delay_alu instid0(VALU_DEP_1) | instskip(NEXT) | instid1(VALU_DEP_1)
	v_add_nc_u32_e32 v4, v3, v58
	v_add_nc_u32_e32 v5, v4, v55
	s_delay_alu instid0(VALU_DEP_1) | instskip(NEXT) | instid1(VALU_DEP_1)
	v_add_nc_u32_e32 v6, v5, v59
	v_add_nc_u32_e32 v7, v6, v60
	s_delay_alu instid0(VALU_DEP_1) | instskip(NEXT) | instid1(VALU_DEP_1)
	v_add_nc_u32_e32 v8, v7, v61
	v_add_nc_u32_e32 v9, v8, v53
	s_delay_alu instid0(VALU_DEP_1) | instskip(NEXT) | instid1(VALU_DEP_1)
	v_add_nc_u32_e32 v10, v9, v62
	v_add_nc_u32_e32 v11, v10, v63
	s_delay_alu instid0(VALU_DEP_1) | instskip(NEXT) | instid1(VALU_DEP_1)
	v_add_nc_u32_e32 v12, v11, v64
	v_add_nc_u32_e32 v13, v12, v51
	s_branch .LBB597_74
.LBB597_65:
	v_mov_b32_dpp v1, v67 row_shr:1 row_mask:0xf bank_mask:0xf
	s_delay_alu instid0(VALU_DEP_1) | instskip(NEXT) | instid1(VALU_DEP_1)
	v_cndmask_b32_e64 v1, v1, 0, s6
	v_add_nc_u32_e32 v1, v1, v67
	s_delay_alu instid0(VALU_DEP_1) | instskip(NEXT) | instid1(VALU_DEP_1)
	v_mov_b32_dpp v2, v1 row_shr:2 row_mask:0xf bank_mask:0xf
	v_cndmask_b32_e64 v2, 0, v2, s5
	s_delay_alu instid0(VALU_DEP_1) | instskip(NEXT) | instid1(VALU_DEP_1)
	v_add_nc_u32_e32 v1, v1, v2
	v_mov_b32_dpp v2, v1 row_shr:4 row_mask:0xf bank_mask:0xf
	s_delay_alu instid0(VALU_DEP_1) | instskip(NEXT) | instid1(VALU_DEP_1)
	v_cndmask_b32_e64 v2, 0, v2, s4
	v_add_nc_u32_e32 v1, v1, v2
	s_delay_alu instid0(VALU_DEP_1) | instskip(NEXT) | instid1(VALU_DEP_1)
	v_mov_b32_dpp v2, v1 row_shr:8 row_mask:0xf bank_mask:0xf
	v_cndmask_b32_e64 v2, 0, v2, s3
	s_delay_alu instid0(VALU_DEP_1) | instskip(SKIP_3) | instid1(VALU_DEP_1)
	v_add_nc_u32_e32 v1, v1, v2
	ds_swizzle_b32 v2, v1 offset:swizzle(BROADCAST,32,15)
	s_wait_dscnt 0x0
	v_cndmask_b32_e64 v2, v2, 0, s1
	v_add_nc_u32_e32 v1, v1, v2
	s_and_saveexec_b32 s1, s0
; %bb.66:
	v_lshlrev_b32_e32 v2, 2, v66
	ds_store_b32 v2, v1
; %bb.67:
	s_wait_alu 0xfffe
	s_or_b32 exec_lo, exec_lo, s1
	s_delay_alu instid0(SALU_CYCLE_1)
	s_mov_b32 s0, exec_lo
	s_wait_loadcnt_dscnt 0x0
	s_barrier_signal -1
	s_barrier_wait -1
	global_inv scope:SCOPE_SE
	v_cmpx_gt_u32_e32 8, v0
	s_cbranch_execz .LBB597_69
; %bb.68:
	ds_load_b32 v2, v45
	s_wait_dscnt 0x0
	v_mov_b32_dpp v4, v2 row_shr:1 row_mask:0xf bank_mask:0xf
	v_and_b32_e32 v3, 7, v65
	s_delay_alu instid0(VALU_DEP_1) | instskip(SKIP_1) | instid1(VALU_DEP_3)
	v_cmp_ne_u32_e32 vcc_lo, 0, v3
	s_wait_alu 0xfffd
	v_cndmask_b32_e32 v4, 0, v4, vcc_lo
	v_cmp_lt_u32_e32 vcc_lo, 1, v3
	s_delay_alu instid0(VALU_DEP_2) | instskip(NEXT) | instid1(VALU_DEP_1)
	v_add_nc_u32_e32 v2, v4, v2
	v_mov_b32_dpp v4, v2 row_shr:2 row_mask:0xf bank_mask:0xf
	s_wait_alu 0xfffd
	s_delay_alu instid0(VALU_DEP_1) | instskip(SKIP_1) | instid1(VALU_DEP_2)
	v_cndmask_b32_e32 v4, 0, v4, vcc_lo
	v_cmp_lt_u32_e32 vcc_lo, 3, v3
	v_add_nc_u32_e32 v2, v2, v4
	s_delay_alu instid0(VALU_DEP_1) | instskip(SKIP_1) | instid1(VALU_DEP_1)
	v_mov_b32_dpp v4, v2 row_shr:4 row_mask:0xf bank_mask:0xf
	s_wait_alu 0xfffd
	v_cndmask_b32_e32 v3, 0, v4, vcc_lo
	s_delay_alu instid0(VALU_DEP_1)
	v_add_nc_u32_e32 v2, v2, v3
	ds_store_b32 v45, v2
.LBB597_69:
	s_wait_alu 0xfffe
	s_or_b32 exec_lo, exec_lo, s0
	v_dual_mov_b32 v3, 0 :: v_dual_mov_b32 v2, 0
	s_mov_b32 s0, exec_lo
	s_wait_loadcnt_dscnt 0x0
	s_barrier_signal -1
	s_barrier_wait -1
	global_inv scope:SCOPE_SE
	v_cmpx_lt_u32_e32 31, v0
; %bb.70:
	v_lshl_add_u32 v2, v66, 2, -4
	ds_load_b32 v2, v2
; %bb.71:
	s_wait_alu 0xfffe
	s_or_b32 exec_lo, exec_lo, s0
	v_sub_co_u32 v4, vcc_lo, v65, 1
	s_wait_dscnt 0x0
	v_add_nc_u32_e32 v1, v2, v1
	ds_load_b32 v19, v3 offset:28
	v_cmp_gt_i32_e64 s0, 0, v4
	s_wait_alu 0xf1ff
	s_delay_alu instid0(VALU_DEP_1) | instskip(NEXT) | instid1(VALU_DEP_1)
	v_cndmask_b32_e64 v4, v4, v65, s0
	v_lshlrev_b32_e32 v4, 2, v4
	ds_bpermute_b32 v1, v4, v1
	s_and_saveexec_b32 s0, s2
	s_cbranch_execz .LBB597_73
; %bb.72:
	v_dual_mov_b32 v3, 0 :: v_dual_mov_b32 v20, 2
	s_wait_dscnt 0x1
	global_store_b64 v3, v[19:20], s[20:21] offset:256 scope:SCOPE_DEV
.LBB597_73:
	s_wait_alu 0xfffe
	s_or_b32 exec_lo, exec_lo, s0
	s_wait_dscnt 0x0
	s_wait_alu 0xfffd
	v_cndmask_b32_e32 v1, v1, v2, vcc_lo
	s_wait_loadcnt 0x0
	s_wait_storecnt 0x0
	s_barrier_signal -1
	s_barrier_wait -1
	global_inv scope:SCOPE_SE
	v_cndmask_b32_e64 v1, v1, 0, s2
	v_mov_b32_e32 v20, 0
	s_delay_alu instid0(VALU_DEP_2) | instskip(NEXT) | instid1(VALU_DEP_1)
	v_add_nc_u32_e32 v2, v1, v56
	v_add_nc_u32_e32 v3, v2, v57
	s_delay_alu instid0(VALU_DEP_1) | instskip(NEXT) | instid1(VALU_DEP_1)
	v_add_nc_u32_e32 v4, v3, v58
	v_add_nc_u32_e32 v5, v4, v55
	s_delay_alu instid0(VALU_DEP_1) | instskip(NEXT) | instid1(VALU_DEP_1)
	;; [unrolled: 3-line block ×5, first 2 shown]
	v_add_nc_u32_e32 v12, v11, v64
	v_add_nc_u32_e32 v13, v12, v51
.LBB597_74:
	s_wait_dscnt 0x0
	v_sub_nc_u32_e32 v1, v1, v20
	v_sub_nc_u32_e32 v2, v2, v20
	v_add_nc_u32_e32 v48, v19, v48
	v_lshrrev_b32_e32 v58, 8, v54
	v_lshrrev_b32_e32 v57, 16, v54
	v_sub_nc_u32_e32 v4, v4, v20
	v_sub_nc_u32_e32 v3, v3, v20
	;; [unrolled: 1-line block ×3, first 2 shown]
	v_and_b32_e32 v54, 1, v54
	v_and_b32_e32 v58, 1, v58
	;; [unrolled: 1-line block ×3, first 2 shown]
	v_lshrrev_b32_e32 v56, 8, v52
	v_lshrrev_b32_e32 v16, 16, v52
	v_cmp_eq_u32_e32 vcc_lo, 1, v54
	v_and_b32_e32 v54, 1, v57
	v_sub_nc_u32_e32 v57, v48, v2
	v_lshrrev_b32_e32 v15, 8, v50
	v_lshrrev_b32_e32 v14, 16, v50
	s_wait_alu 0xfffd
	v_cndmask_b32_e32 v1, v59, v1, vcc_lo
	v_cmp_eq_u32_e32 vcc_lo, 1, v58
	v_add_nc_u32_e32 v57, 1, v57
	s_delay_alu instid0(VALU_DEP_3)
	v_lshlrev_b32_e32 v1, 2, v1
	ds_store_b32 v1, v31
	s_wait_alu 0xfffd
	v_cndmask_b32_e32 v1, v57, v2, vcc_lo
	v_sub_nc_u32_e32 v59, v48, v3
	v_sub_nc_u32_e32 v60, v48, v4
	v_cmp_eq_u32_e32 vcc_lo, 1, v54
	s_delay_alu instid0(VALU_DEP_4) | instskip(NEXT) | instid1(VALU_DEP_4)
	v_lshlrev_b32_e32 v1, 2, v1
	v_add_nc_u32_e32 v59, 2, v59
	s_delay_alu instid0(VALU_DEP_4)
	v_add_nc_u32_e32 v60, 3, v60
	ds_store_b32 v1, v32
	s_wait_alu 0xfffd
	v_cndmask_b32_e32 v2, v59, v3, vcc_lo
	v_cmp_eq_u32_e32 vcc_lo, 1, v55
	s_wait_alu 0xfffd
	s_delay_alu instid0(VALU_DEP_2) | instskip(SKIP_2) | instid1(VALU_DEP_3)
	v_dual_cndmask_b32 v3, v60, v4 :: v_dual_lshlrev_b32 v2, 2, v2
	v_sub_nc_u32_e32 v4, v5, v20
	v_sub_nc_u32_e32 v5, v6, v20
	v_lshlrev_b32_e32 v3, 2, v3
	s_delay_alu instid0(VALU_DEP_3) | instskip(NEXT) | instid1(VALU_DEP_3)
	v_sub_nc_u32_e32 v1, v48, v4
	v_sub_nc_u32_e32 v6, v48, v5
	ds_store_b32 v2, v29
	ds_store_b32 v3, v30
	v_and_b32_e32 v2, 1, v52
	v_add_nc_u32_e32 v1, 4, v1
	v_add_nc_u32_e32 v3, 5, v6
	v_sub_nc_u32_e32 v6, v7, v20
	v_and_b32_e32 v7, 1, v56
	v_cmp_eq_u32_e32 vcc_lo, 1, v2
	v_sub_nc_u32_e32 v2, v8, v20
	s_wait_alu 0xfffd
	v_dual_cndmask_b32 v1, v1, v4 :: v_dual_and_b32 v8, 1, v53
	v_sub_nc_u32_e32 v4, v48, v6
	v_cmp_eq_u32_e32 vcc_lo, 1, v7
	v_and_b32_e32 v7, 1, v16
	s_delay_alu instid0(VALU_DEP_4)
	v_lshlrev_b32_e32 v1, 2, v1
	s_wait_alu 0xfffd
	v_dual_cndmask_b32 v3, v3, v5 :: v_dual_add_nc_u32 v4, 6, v4
	v_sub_nc_u32_e32 v5, v48, v2
	v_cmp_eq_u32_e32 vcc_lo, 1, v7
	v_sub_nc_u32_e32 v7, v13, v20
	s_delay_alu instid0(VALU_DEP_4)
	v_lshlrev_b32_e32 v3, 2, v3
	s_wait_alu 0xfffd
	v_dual_cndmask_b32 v4, v4, v6 :: v_dual_add_nc_u32 v5, 7, v5
	v_cmp_eq_u32_e32 vcc_lo, 1, v8
	v_sub_nc_u32_e32 v6, v9, v20
	ds_store_b32 v1, v27
	ds_store_b32 v3, v28
	s_wait_alu 0xfffd
	v_dual_cndmask_b32 v2, v5, v2 :: v_dual_lshlrev_b32 v3, 2, v4
	v_sub_nc_u32_e32 v1, v48, v6
	v_and_b32_e32 v5, 1, v50
	v_sub_nc_u32_e32 v4, v10, v20
	v_and_b32_e32 v10, 1, v51
	v_lshlrev_b32_e32 v2, 2, v2
	v_add_nc_u32_e32 v1, 8, v1
	ds_store_b32 v3, v25
	ds_store_b32 v2, v26
	v_cmp_eq_u32_e32 vcc_lo, 1, v5
	v_sub_nc_u32_e32 v3, v11, v20
	v_sub_nc_u32_e32 v2, v48, v4
	;; [unrolled: 1-line block ×3, first 2 shown]
	v_and_b32_e32 v11, 1, v49
	s_wait_alu 0xfffd
	v_dual_cndmask_b32 v1, v1, v6 :: v_dual_and_b32 v6, 1, v15
	v_sub_nc_u32_e32 v8, v48, v3
	v_add_nc_u32_e32 v2, 9, v2
	v_sub_nc_u32_e32 v9, v48, v5
	s_delay_alu instid0(VALU_DEP_4)
	v_lshlrev_b32_e32 v1, 2, v1
	v_cmp_eq_u32_e32 vcc_lo, 1, v6
	v_add_nc_u32_e32 v6, 10, v8
	v_and_b32_e32 v8, 1, v14
	v_add_nc_u32_e32 v9, 11, v9
	v_add_co_u32 v15, s0, v17, v20
	s_wait_alu 0xfffd
	v_cndmask_b32_e32 v2, v2, v4, vcc_lo
	v_cmp_eq_u32_e32 vcc_lo, 1, v8
	v_sub_nc_u32_e32 v4, v48, v7
	s_wait_alu 0xf1ff
	v_add_co_ci_u32_e64 v16, null, 0, v18, s0
	s_wait_alu 0xfffd
	v_dual_cndmask_b32 v3, v6, v3 :: v_dual_lshlrev_b32 v2, 2, v2
	v_cmp_eq_u32_e32 vcc_lo, 1, v10
	v_add_nc_u32_e32 v4, 12, v4
	s_delay_alu instid0(VALU_DEP_3) | instskip(SKIP_4) | instid1(VALU_DEP_2)
	v_lshlrev_b32_e32 v3, 2, v3
	s_wait_alu 0xfffd
	v_cndmask_b32_e32 v5, v9, v5, vcc_lo
	v_cmp_eq_u32_e32 vcc_lo, 1, v11
	s_wait_alu 0xfffd
	v_dual_cndmask_b32 v4, v4, v7 :: v_dual_lshlrev_b32 v5, 2, v5
	v_cmp_ne_u32_e32 vcc_lo, 1, v46
	s_delay_alu instid0(VALU_DEP_2)
	v_lshlrev_b32_e32 v4, 2, v4
	ds_store_b32 v1, v23
	ds_store_b32 v2, v24
	;; [unrolled: 1-line block ×5, first 2 shown]
	s_wait_loadcnt_dscnt 0x0
	s_barrier_signal -1
	s_barrier_wait -1
	global_inv scope:SCOPE_SE
	ds_load_2addr_stride64_b32 v[11:12], v45 offset1:4
	ds_load_2addr_stride64_b32 v[9:10], v45 offset0:8 offset1:12
	ds_load_2addr_stride64_b32 v[7:8], v45 offset0:16 offset1:20
	;; [unrolled: 1-line block ×5, first 2 shown]
	ds_load_b32 v21, v45 offset:12288
	s_cbranch_vccnz .LBB597_131
; %bb.75:
	s_mov_b32 s15, 0
	v_sub_co_u32 v13, vcc_lo, v15, s16
	s_wait_alu 0xfffe
	s_sub_nc_u64 s[0:1], s[18:19], s[14:15]
	s_wait_alu 0xfffd
	v_subrev_co_ci_u32_e64 v14, null, s17, v16, vcc_lo
	s_wait_alu 0xfffe
	v_add_co_u32 v17, s0, s0, v19
	s_wait_alu 0xf1ff
	v_add_co_ci_u32_e64 v18, null, s1, 0, s0
	s_mov_b32 s0, exec_lo
	v_add_co_u32 v17, vcc_lo, v17, v13
	s_wait_alu 0xfffd
	v_add_co_ci_u32_e64 v18, null, v18, v14, vcc_lo
                                        ; implicit-def: $vgpr13_vgpr14
	v_cmpx_ge_u32_e64 v0, v19
	s_wait_alu 0xfffe
	s_xor_b32 s0, exec_lo, s0
; %bb.76:
	v_not_b32_e32 v13, v0
	s_delay_alu instid0(VALU_DEP_1) | instskip(SKIP_2) | instid1(VALU_DEP_2)
	v_ashrrev_i32_e32 v14, 31, v13
	v_add_co_u32 v13, vcc_lo, v17, v13
	s_wait_alu 0xfffd
	v_add_co_ci_u32_e64 v14, null, v18, v14, vcc_lo
; %bb.77:
	s_wait_alu 0xfffe
	s_and_not1_saveexec_b32 s0, s0
; %bb.78:
	v_add_co_u32 v13, vcc_lo, v15, v0
	s_wait_alu 0xfffd
	v_add_co_ci_u32_e64 v14, null, 0, v16, vcc_lo
; %bb.79:
	s_wait_alu 0xfffe
	s_or_b32 exec_lo, exec_lo, s0
	s_delay_alu instid0(VALU_DEP_1) | instskip(SKIP_1) | instid1(VALU_DEP_1)
	v_lshlrev_b64_e32 v[13:14], 2, v[13:14]
	s_mov_b32 s0, exec_lo
	v_add_co_u32 v13, vcc_lo, s10, v13
	s_wait_alu 0xfffd
	s_delay_alu instid0(VALU_DEP_2)
	v_add_co_ci_u32_e64 v14, null, s11, v14, vcc_lo
	s_wait_dscnt 0x6
	global_store_b32 v[13:14], v11, off
                                        ; implicit-def: $vgpr13_vgpr14
	v_cmpx_ge_u32_e64 v44, v19
	s_wait_alu 0xfffe
	s_xor_b32 s0, exec_lo, s0
; %bb.80:
	v_xor_b32_e32 v13, 0xfffffeff, v0
	s_delay_alu instid0(VALU_DEP_1) | instskip(SKIP_2) | instid1(VALU_DEP_2)
	v_ashrrev_i32_e32 v14, 31, v13
	v_add_co_u32 v13, vcc_lo, v17, v13
	s_wait_alu 0xfffd
	v_add_co_ci_u32_e64 v14, null, v18, v14, vcc_lo
; %bb.81:
	s_wait_alu 0xfffe
	s_and_not1_saveexec_b32 s0, s0
; %bb.82:
	v_add_co_u32 v13, vcc_lo, v15, v44
	s_wait_alu 0xfffd
	v_add_co_ci_u32_e64 v14, null, 0, v16, vcc_lo
; %bb.83:
	s_wait_alu 0xfffe
	s_or_b32 exec_lo, exec_lo, s0
	s_delay_alu instid0(VALU_DEP_1) | instskip(SKIP_1) | instid1(VALU_DEP_1)
	v_lshlrev_b64_e32 v[13:14], 2, v[13:14]
	s_mov_b32 s0, exec_lo
	v_add_co_u32 v13, vcc_lo, s10, v13
	s_wait_alu 0xfffd
	s_delay_alu instid0(VALU_DEP_2)
	v_add_co_ci_u32_e64 v14, null, s11, v14, vcc_lo
	global_store_b32 v[13:14], v12, off
                                        ; implicit-def: $vgpr13_vgpr14
	v_cmpx_ge_u32_e64 v43, v19
	s_wait_alu 0xfffe
	s_xor_b32 s0, exec_lo, s0
; %bb.84:
	v_xor_b32_e32 v13, 0xfffffdff, v0
	s_delay_alu instid0(VALU_DEP_1) | instskip(SKIP_2) | instid1(VALU_DEP_2)
	v_ashrrev_i32_e32 v14, 31, v13
	v_add_co_u32 v13, vcc_lo, v17, v13
	s_wait_alu 0xfffd
	v_add_co_ci_u32_e64 v14, null, v18, v14, vcc_lo
; %bb.85:
	s_wait_alu 0xfffe
	s_and_not1_saveexec_b32 s0, s0
; %bb.86:
	v_add_co_u32 v13, vcc_lo, v15, v43
	s_wait_alu 0xfffd
	v_add_co_ci_u32_e64 v14, null, 0, v16, vcc_lo
; %bb.87:
	s_wait_alu 0xfffe
	s_or_b32 exec_lo, exec_lo, s0
	s_delay_alu instid0(VALU_DEP_1) | instskip(SKIP_1) | instid1(VALU_DEP_1)
	v_lshlrev_b64_e32 v[13:14], 2, v[13:14]
	s_mov_b32 s0, exec_lo
	v_add_co_u32 v13, vcc_lo, s10, v13
	s_wait_alu 0xfffd
	s_delay_alu instid0(VALU_DEP_2)
	v_add_co_ci_u32_e64 v14, null, s11, v14, vcc_lo
	s_wait_dscnt 0x5
	global_store_b32 v[13:14], v9, off
                                        ; implicit-def: $vgpr13_vgpr14
	v_cmpx_ge_u32_e64 v42, v19
	s_wait_alu 0xfffe
	s_xor_b32 s0, exec_lo, s0
; %bb.88:
	v_xor_b32_e32 v13, 0xfffffcff, v0
	s_delay_alu instid0(VALU_DEP_1) | instskip(SKIP_2) | instid1(VALU_DEP_2)
	v_ashrrev_i32_e32 v14, 31, v13
	v_add_co_u32 v13, vcc_lo, v17, v13
	s_wait_alu 0xfffd
	v_add_co_ci_u32_e64 v14, null, v18, v14, vcc_lo
; %bb.89:
	s_wait_alu 0xfffe
	s_and_not1_saveexec_b32 s0, s0
; %bb.90:
	v_add_co_u32 v13, vcc_lo, v15, v42
	s_wait_alu 0xfffd
	v_add_co_ci_u32_e64 v14, null, 0, v16, vcc_lo
; %bb.91:
	s_wait_alu 0xfffe
	s_or_b32 exec_lo, exec_lo, s0
	s_delay_alu instid0(VALU_DEP_1) | instskip(SKIP_1) | instid1(VALU_DEP_1)
	v_lshlrev_b64_e32 v[13:14], 2, v[13:14]
	s_mov_b32 s0, exec_lo
	v_add_co_u32 v13, vcc_lo, s10, v13
	s_wait_alu 0xfffd
	s_delay_alu instid0(VALU_DEP_2)
	v_add_co_ci_u32_e64 v14, null, s11, v14, vcc_lo
	global_store_b32 v[13:14], v10, off
                                        ; implicit-def: $vgpr13_vgpr14
	v_cmpx_ge_u32_e64 v41, v19
	s_wait_alu 0xfffe
	s_xor_b32 s0, exec_lo, s0
; %bb.92:
	v_xor_b32_e32 v13, 0xfffffbff, v0
	;; [unrolled: 59-line block ×6, first 2 shown]
	s_delay_alu instid0(VALU_DEP_1) | instskip(SKIP_2) | instid1(VALU_DEP_2)
	v_ashrrev_i32_e32 v14, 31, v13
	v_add_co_u32 v13, vcc_lo, v17, v13
	s_wait_alu 0xfffd
	v_add_co_ci_u32_e64 v14, null, v18, v14, vcc_lo
; %bb.125:
	s_wait_alu 0xfffe
	s_and_not1_saveexec_b32 s0, s0
; %bb.126:
	v_add_co_u32 v13, vcc_lo, v15, v33
	s_wait_alu 0xfffd
	v_add_co_ci_u32_e64 v14, null, 0, v16, vcc_lo
; %bb.127:
	s_wait_alu 0xfffe
	s_or_b32 exec_lo, exec_lo, s0
	s_mov_b32 s0, -1
.LBB597_128:
	s_wait_alu 0xfffe
	s_and_saveexec_b32 s1, s0
	s_cbranch_execz .LBB597_211
.LBB597_129:
	s_wait_dscnt 0x1
	v_lshlrev_b64_e32 v[0:1], 2, v[13:14]
	s_delay_alu instid0(VALU_DEP_1) | instskip(SKIP_1) | instid1(VALU_DEP_2)
	v_add_co_u32 v0, vcc_lo, s10, v0
	s_wait_alu 0xfffd
	v_add_co_ci_u32_e64 v1, null, s11, v1, vcc_lo
	s_wait_dscnt 0x0
	global_store_b32 v[0:1], v21, off
	s_wait_alu 0xfffe
	s_or_b32 exec_lo, exec_lo, s1
	s_and_b32 s0, s2, s9
	s_wait_alu 0xfffe
	s_and_saveexec_b32 s1, s0
	s_cbranch_execnz .LBB597_212
.LBB597_130:
	s_endpgm
.LBB597_131:
	s_mov_b32 s0, 0
                                        ; implicit-def: $vgpr13_vgpr14
	s_cbranch_execz .LBB597_128
; %bb.132:
	s_mov_b32 s15, 0
	s_wait_alu 0xfffe
	s_add_nc_u64 s[4:5], s[16:17], s[14:15]
	s_wait_alu 0xfffe
	s_sub_nc_u64 s[4:5], s[18:19], s[4:5]
	s_wait_alu 0xfffe
	v_add_co_u32 v13, s1, s4, v19
	s_wait_alu 0xf1ff
	v_add_co_ci_u32_e64 v14, null, s5, 0, s1
	s_mov_b32 s1, exec_lo
	v_add_co_u32 v17, vcc_lo, v13, v15
	s_wait_alu 0xfffd
	v_add_co_ci_u32_e64 v18, null, v14, v16, vcc_lo
	v_cmpx_gt_u32_e64 s22, v0
	s_cbranch_execz .LBB597_168
; %bb.133:
	s_mov_b32 s3, exec_lo
                                        ; implicit-def: $vgpr13_vgpr14
	v_cmpx_ge_u32_e64 v0, v19
	s_wait_alu 0xfffe
	s_xor_b32 s3, exec_lo, s3
; %bb.134:
	v_not_b32_e32 v13, v0
	s_delay_alu instid0(VALU_DEP_1) | instskip(SKIP_2) | instid1(VALU_DEP_2)
	v_ashrrev_i32_e32 v14, 31, v13
	v_add_co_u32 v13, vcc_lo, v17, v13
	s_wait_alu 0xfffd
	v_add_co_ci_u32_e64 v14, null, v18, v14, vcc_lo
; %bb.135:
	s_wait_alu 0xfffe
	s_and_not1_saveexec_b32 s3, s3
; %bb.136:
	v_add_co_u32 v13, vcc_lo, v15, v0
	s_wait_alu 0xfffd
	v_add_co_ci_u32_e64 v14, null, 0, v16, vcc_lo
; %bb.137:
	s_wait_alu 0xfffe
	s_or_b32 exec_lo, exec_lo, s3
	s_delay_alu instid0(VALU_DEP_1) | instskip(NEXT) | instid1(VALU_DEP_1)
	v_lshlrev_b64_e32 v[13:14], 2, v[13:14]
	v_add_co_u32 v13, vcc_lo, s10, v13
	s_wait_alu 0xfffd
	s_delay_alu instid0(VALU_DEP_2) | instskip(SKIP_3) | instid1(SALU_CYCLE_1)
	v_add_co_ci_u32_e64 v14, null, s11, v14, vcc_lo
	s_wait_dscnt 0x6
	global_store_b32 v[13:14], v11, off
	s_or_b32 exec_lo, exec_lo, s1
	s_mov_b32 s1, exec_lo
	v_cmpx_gt_u32_e64 s22, v44
	s_cbranch_execnz .LBB597_169
.LBB597_138:
	s_wait_alu 0xfffe
	s_or_b32 exec_lo, exec_lo, s1
	s_delay_alu instid0(SALU_CYCLE_1)
	s_mov_b32 s1, exec_lo
	v_cmpx_gt_u32_e64 s22, v43
	s_cbranch_execz .LBB597_174
.LBB597_139:
	s_mov_b32 s3, exec_lo
                                        ; implicit-def: $vgpr11_vgpr12
	v_cmpx_ge_u32_e64 v43, v19
	s_wait_alu 0xfffe
	s_xor_b32 s3, exec_lo, s3
	s_cbranch_execz .LBB597_141
; %bb.140:
	s_wait_dscnt 0x6
	v_xor_b32_e32 v11, 0xfffffdff, v0
                                        ; implicit-def: $vgpr43
	s_delay_alu instid0(VALU_DEP_1) | instskip(SKIP_2) | instid1(VALU_DEP_2)
	v_ashrrev_i32_e32 v12, 31, v11
	v_add_co_u32 v11, vcc_lo, v17, v11
	s_wait_alu 0xfffd
	v_add_co_ci_u32_e64 v12, null, v18, v12, vcc_lo
.LBB597_141:
	s_wait_alu 0xfffe
	s_and_not1_saveexec_b32 s3, s3
	s_cbranch_execz .LBB597_143
; %bb.142:
	s_wait_dscnt 0x6
	v_add_co_u32 v11, vcc_lo, v15, v43
	s_wait_alu 0xfffd
	v_add_co_ci_u32_e64 v12, null, 0, v16, vcc_lo
.LBB597_143:
	s_wait_alu 0xfffe
	s_or_b32 exec_lo, exec_lo, s3
	s_wait_dscnt 0x6
	s_delay_alu instid0(VALU_DEP_1) | instskip(NEXT) | instid1(VALU_DEP_1)
	v_lshlrev_b64_e32 v[11:12], 2, v[11:12]
	v_add_co_u32 v11, vcc_lo, s10, v11
	s_wait_alu 0xfffd
	s_delay_alu instid0(VALU_DEP_2) | instskip(SKIP_3) | instid1(SALU_CYCLE_1)
	v_add_co_ci_u32_e64 v12, null, s11, v12, vcc_lo
	s_wait_dscnt 0x5
	global_store_b32 v[11:12], v9, off
	s_or_b32 exec_lo, exec_lo, s1
	s_mov_b32 s1, exec_lo
	v_cmpx_gt_u32_e64 s22, v42
	s_cbranch_execnz .LBB597_175
.LBB597_144:
	s_wait_alu 0xfffe
	s_or_b32 exec_lo, exec_lo, s1
	s_delay_alu instid0(SALU_CYCLE_1)
	s_mov_b32 s1, exec_lo
	v_cmpx_gt_u32_e64 s22, v41
	s_cbranch_execz .LBB597_180
.LBB597_145:
	s_mov_b32 s3, exec_lo
                                        ; implicit-def: $vgpr9_vgpr10
	v_cmpx_ge_u32_e64 v41, v19
	s_wait_alu 0xfffe
	s_xor_b32 s3, exec_lo, s3
	s_cbranch_execz .LBB597_147
; %bb.146:
	s_wait_dscnt 0x5
	v_xor_b32_e32 v9, 0xfffffbff, v0
                                        ; implicit-def: $vgpr41
	s_delay_alu instid0(VALU_DEP_1) | instskip(SKIP_2) | instid1(VALU_DEP_2)
	v_ashrrev_i32_e32 v10, 31, v9
	v_add_co_u32 v9, vcc_lo, v17, v9
	s_wait_alu 0xfffd
	v_add_co_ci_u32_e64 v10, null, v18, v10, vcc_lo
.LBB597_147:
	s_wait_alu 0xfffe
	s_and_not1_saveexec_b32 s3, s3
	s_cbranch_execz .LBB597_149
; %bb.148:
	s_wait_dscnt 0x5
	v_add_co_u32 v9, vcc_lo, v15, v41
	s_wait_alu 0xfffd
	v_add_co_ci_u32_e64 v10, null, 0, v16, vcc_lo
.LBB597_149:
	s_wait_alu 0xfffe
	s_or_b32 exec_lo, exec_lo, s3
	s_wait_dscnt 0x5
	s_delay_alu instid0(VALU_DEP_1) | instskip(NEXT) | instid1(VALU_DEP_1)
	v_lshlrev_b64_e32 v[9:10], 2, v[9:10]
	v_add_co_u32 v9, vcc_lo, s10, v9
	s_wait_alu 0xfffd
	s_delay_alu instid0(VALU_DEP_2) | instskip(SKIP_3) | instid1(SALU_CYCLE_1)
	v_add_co_ci_u32_e64 v10, null, s11, v10, vcc_lo
	s_wait_dscnt 0x4
	global_store_b32 v[9:10], v7, off
	s_or_b32 exec_lo, exec_lo, s1
	s_mov_b32 s1, exec_lo
	v_cmpx_gt_u32_e64 s22, v40
	s_cbranch_execnz .LBB597_181
.LBB597_150:
	s_wait_alu 0xfffe
	s_or_b32 exec_lo, exec_lo, s1
	s_delay_alu instid0(SALU_CYCLE_1)
	s_mov_b32 s1, exec_lo
	v_cmpx_gt_u32_e64 s22, v39
	s_cbranch_execz .LBB597_186
.LBB597_151:
	s_mov_b32 s3, exec_lo
                                        ; implicit-def: $vgpr7_vgpr8
	v_cmpx_ge_u32_e64 v39, v19
	s_wait_alu 0xfffe
	s_xor_b32 s3, exec_lo, s3
	s_cbranch_execz .LBB597_153
; %bb.152:
	s_wait_dscnt 0x4
	v_xor_b32_e32 v7, 0xfffff9ff, v0
                                        ; implicit-def: $vgpr39
	s_delay_alu instid0(VALU_DEP_1) | instskip(SKIP_2) | instid1(VALU_DEP_2)
	v_ashrrev_i32_e32 v8, 31, v7
	v_add_co_u32 v7, vcc_lo, v17, v7
	s_wait_alu 0xfffd
	v_add_co_ci_u32_e64 v8, null, v18, v8, vcc_lo
.LBB597_153:
	s_wait_alu 0xfffe
	s_and_not1_saveexec_b32 s3, s3
	s_cbranch_execz .LBB597_155
; %bb.154:
	s_wait_dscnt 0x4
	v_add_co_u32 v7, vcc_lo, v15, v39
	s_wait_alu 0xfffd
	v_add_co_ci_u32_e64 v8, null, 0, v16, vcc_lo
.LBB597_155:
	s_wait_alu 0xfffe
	s_or_b32 exec_lo, exec_lo, s3
	s_wait_dscnt 0x4
	s_delay_alu instid0(VALU_DEP_1) | instskip(NEXT) | instid1(VALU_DEP_1)
	v_lshlrev_b64_e32 v[7:8], 2, v[7:8]
	v_add_co_u32 v7, vcc_lo, s10, v7
	s_wait_alu 0xfffd
	s_delay_alu instid0(VALU_DEP_2) | instskip(SKIP_3) | instid1(SALU_CYCLE_1)
	v_add_co_ci_u32_e64 v8, null, s11, v8, vcc_lo
	s_wait_dscnt 0x3
	global_store_b32 v[7:8], v5, off
	s_or_b32 exec_lo, exec_lo, s1
	s_mov_b32 s1, exec_lo
	v_cmpx_gt_u32_e64 s22, v38
	s_cbranch_execnz .LBB597_187
.LBB597_156:
	s_wait_alu 0xfffe
	s_or_b32 exec_lo, exec_lo, s1
	s_delay_alu instid0(SALU_CYCLE_1)
	s_mov_b32 s1, exec_lo
	v_cmpx_gt_u32_e64 s22, v37
	s_cbranch_execz .LBB597_192
.LBB597_157:
	s_mov_b32 s3, exec_lo
                                        ; implicit-def: $vgpr5_vgpr6
	v_cmpx_ge_u32_e64 v37, v19
	s_wait_alu 0xfffe
	s_xor_b32 s3, exec_lo, s3
	s_cbranch_execz .LBB597_159
; %bb.158:
	s_wait_dscnt 0x3
	v_xor_b32_e32 v5, 0xfffff7ff, v0
                                        ; implicit-def: $vgpr37
	s_delay_alu instid0(VALU_DEP_1) | instskip(SKIP_2) | instid1(VALU_DEP_2)
	v_ashrrev_i32_e32 v6, 31, v5
	v_add_co_u32 v5, vcc_lo, v17, v5
	s_wait_alu 0xfffd
	v_add_co_ci_u32_e64 v6, null, v18, v6, vcc_lo
.LBB597_159:
	s_wait_alu 0xfffe
	s_and_not1_saveexec_b32 s3, s3
	s_cbranch_execz .LBB597_161
; %bb.160:
	s_wait_dscnt 0x3
	v_add_co_u32 v5, vcc_lo, v15, v37
	s_wait_alu 0xfffd
	v_add_co_ci_u32_e64 v6, null, 0, v16, vcc_lo
.LBB597_161:
	s_wait_alu 0xfffe
	s_or_b32 exec_lo, exec_lo, s3
	s_wait_dscnt 0x3
	s_delay_alu instid0(VALU_DEP_1) | instskip(NEXT) | instid1(VALU_DEP_1)
	v_lshlrev_b64_e32 v[5:6], 2, v[5:6]
	v_add_co_u32 v5, vcc_lo, s10, v5
	s_wait_alu 0xfffd
	s_delay_alu instid0(VALU_DEP_2) | instskip(SKIP_3) | instid1(SALU_CYCLE_1)
	v_add_co_ci_u32_e64 v6, null, s11, v6, vcc_lo
	s_wait_dscnt 0x2
	global_store_b32 v[5:6], v3, off
	s_or_b32 exec_lo, exec_lo, s1
	s_mov_b32 s1, exec_lo
	v_cmpx_gt_u32_e64 s22, v36
	s_cbranch_execnz .LBB597_193
.LBB597_162:
	s_wait_alu 0xfffe
	s_or_b32 exec_lo, exec_lo, s1
	s_delay_alu instid0(SALU_CYCLE_1)
	s_mov_b32 s1, exec_lo
	v_cmpx_gt_u32_e64 s22, v35
	s_cbranch_execz .LBB597_198
.LBB597_163:
	s_mov_b32 s3, exec_lo
                                        ; implicit-def: $vgpr3_vgpr4
	v_cmpx_ge_u32_e64 v35, v19
	s_wait_alu 0xfffe
	s_xor_b32 s3, exec_lo, s3
	s_cbranch_execz .LBB597_165
; %bb.164:
	s_wait_dscnt 0x2
	v_xor_b32_e32 v3, 0xfffff5ff, v0
                                        ; implicit-def: $vgpr35
	s_delay_alu instid0(VALU_DEP_1) | instskip(SKIP_2) | instid1(VALU_DEP_2)
	v_ashrrev_i32_e32 v4, 31, v3
	v_add_co_u32 v3, vcc_lo, v17, v3
	s_wait_alu 0xfffd
	v_add_co_ci_u32_e64 v4, null, v18, v4, vcc_lo
.LBB597_165:
	s_wait_alu 0xfffe
	s_and_not1_saveexec_b32 s3, s3
	s_cbranch_execz .LBB597_167
; %bb.166:
	s_wait_dscnt 0x2
	v_add_co_u32 v3, vcc_lo, v15, v35
	s_wait_alu 0xfffd
	v_add_co_ci_u32_e64 v4, null, 0, v16, vcc_lo
.LBB597_167:
	s_wait_alu 0xfffe
	s_or_b32 exec_lo, exec_lo, s3
	s_wait_dscnt 0x2
	s_delay_alu instid0(VALU_DEP_1) | instskip(NEXT) | instid1(VALU_DEP_1)
	v_lshlrev_b64_e32 v[3:4], 2, v[3:4]
	v_add_co_u32 v3, vcc_lo, s10, v3
	s_wait_alu 0xfffd
	s_delay_alu instid0(VALU_DEP_2) | instskip(SKIP_3) | instid1(SALU_CYCLE_1)
	v_add_co_ci_u32_e64 v4, null, s11, v4, vcc_lo
	s_wait_dscnt 0x1
	global_store_b32 v[3:4], v1, off
	s_or_b32 exec_lo, exec_lo, s1
	s_mov_b32 s1, exec_lo
	v_cmpx_gt_u32_e64 s22, v34
	s_cbranch_execz .LBB597_204
	s_branch .LBB597_199
.LBB597_168:
	s_wait_alu 0xfffe
	s_or_b32 exec_lo, exec_lo, s1
	s_delay_alu instid0(SALU_CYCLE_1)
	s_mov_b32 s1, exec_lo
	v_cmpx_gt_u32_e64 s22, v44
	s_cbranch_execz .LBB597_138
.LBB597_169:
	s_mov_b32 s3, exec_lo
                                        ; implicit-def: $vgpr13_vgpr14
	v_cmpx_ge_u32_e64 v44, v19
	s_wait_alu 0xfffe
	s_xor_b32 s3, exec_lo, s3
	s_cbranch_execz .LBB597_171
; %bb.170:
	s_wait_dscnt 0x6
	v_xor_b32_e32 v11, 0xfffffeff, v0
                                        ; implicit-def: $vgpr44
	s_delay_alu instid0(VALU_DEP_1) | instskip(SKIP_2) | instid1(VALU_DEP_2)
	v_ashrrev_i32_e32 v14, 31, v11
	v_add_co_u32 v13, vcc_lo, v17, v11
	s_wait_alu 0xfffd
	v_add_co_ci_u32_e64 v14, null, v18, v14, vcc_lo
.LBB597_171:
	s_wait_alu 0xfffe
	s_and_not1_saveexec_b32 s3, s3
; %bb.172:
	v_add_co_u32 v13, vcc_lo, v15, v44
	s_wait_alu 0xfffd
	v_add_co_ci_u32_e64 v14, null, 0, v16, vcc_lo
; %bb.173:
	s_wait_alu 0xfffe
	s_or_b32 exec_lo, exec_lo, s3
	s_delay_alu instid0(VALU_DEP_1) | instskip(NEXT) | instid1(VALU_DEP_1)
	v_lshlrev_b64_e32 v[13:14], 2, v[13:14]
	v_add_co_u32 v13, vcc_lo, s10, v13
	s_wait_alu 0xfffd
	s_delay_alu instid0(VALU_DEP_2) | instskip(SKIP_3) | instid1(SALU_CYCLE_1)
	v_add_co_ci_u32_e64 v14, null, s11, v14, vcc_lo
	s_wait_dscnt 0x6
	global_store_b32 v[13:14], v12, off
	s_or_b32 exec_lo, exec_lo, s1
	s_mov_b32 s1, exec_lo
	v_cmpx_gt_u32_e64 s22, v43
	s_cbranch_execnz .LBB597_139
.LBB597_174:
	s_wait_alu 0xfffe
	s_or_b32 exec_lo, exec_lo, s1
	s_delay_alu instid0(SALU_CYCLE_1)
	s_mov_b32 s1, exec_lo
	v_cmpx_gt_u32_e64 s22, v42
	s_cbranch_execz .LBB597_144
.LBB597_175:
	s_mov_b32 s3, exec_lo
                                        ; implicit-def: $vgpr11_vgpr12
	v_cmpx_ge_u32_e64 v42, v19
	s_wait_alu 0xfffe
	s_xor_b32 s3, exec_lo, s3
	s_cbranch_execz .LBB597_177
; %bb.176:
	s_wait_dscnt 0x5
	v_xor_b32_e32 v9, 0xfffffcff, v0
                                        ; implicit-def: $vgpr42
	s_delay_alu instid0(VALU_DEP_1) | instskip(SKIP_2) | instid1(VALU_DEP_2)
	v_ashrrev_i32_e32 v12, 31, v9
	v_add_co_u32 v11, vcc_lo, v17, v9
	s_wait_alu 0xfffd
	v_add_co_ci_u32_e64 v12, null, v18, v12, vcc_lo
.LBB597_177:
	s_wait_alu 0xfffe
	s_and_not1_saveexec_b32 s3, s3
	s_cbranch_execz .LBB597_179
; %bb.178:
	s_wait_dscnt 0x6
	v_add_co_u32 v11, vcc_lo, v15, v42
	s_wait_alu 0xfffd
	v_add_co_ci_u32_e64 v12, null, 0, v16, vcc_lo
.LBB597_179:
	s_wait_alu 0xfffe
	s_or_b32 exec_lo, exec_lo, s3
	s_wait_dscnt 0x6
	s_delay_alu instid0(VALU_DEP_1) | instskip(NEXT) | instid1(VALU_DEP_1)
	v_lshlrev_b64_e32 v[11:12], 2, v[11:12]
	v_add_co_u32 v11, vcc_lo, s10, v11
	s_wait_alu 0xfffd
	s_delay_alu instid0(VALU_DEP_2) | instskip(SKIP_3) | instid1(SALU_CYCLE_1)
	v_add_co_ci_u32_e64 v12, null, s11, v12, vcc_lo
	s_wait_dscnt 0x5
	global_store_b32 v[11:12], v10, off
	s_or_b32 exec_lo, exec_lo, s1
	s_mov_b32 s1, exec_lo
	v_cmpx_gt_u32_e64 s22, v41
	s_cbranch_execnz .LBB597_145
.LBB597_180:
	s_wait_alu 0xfffe
	s_or_b32 exec_lo, exec_lo, s1
	s_delay_alu instid0(SALU_CYCLE_1)
	s_mov_b32 s1, exec_lo
	v_cmpx_gt_u32_e64 s22, v40
	s_cbranch_execz .LBB597_150
.LBB597_181:
	s_mov_b32 s3, exec_lo
                                        ; implicit-def: $vgpr9_vgpr10
	v_cmpx_ge_u32_e64 v40, v19
	s_wait_alu 0xfffe
	s_xor_b32 s3, exec_lo, s3
	s_cbranch_execz .LBB597_183
; %bb.182:
	s_wait_dscnt 0x4
	v_xor_b32_e32 v7, 0xfffffaff, v0
                                        ; implicit-def: $vgpr40
	s_delay_alu instid0(VALU_DEP_1) | instskip(SKIP_2) | instid1(VALU_DEP_2)
	v_ashrrev_i32_e32 v10, 31, v7
	v_add_co_u32 v9, vcc_lo, v17, v7
	s_wait_alu 0xfffd
	v_add_co_ci_u32_e64 v10, null, v18, v10, vcc_lo
.LBB597_183:
	s_wait_alu 0xfffe
	s_and_not1_saveexec_b32 s3, s3
	s_cbranch_execz .LBB597_185
; %bb.184:
	s_wait_dscnt 0x5
	v_add_co_u32 v9, vcc_lo, v15, v40
	s_wait_alu 0xfffd
	v_add_co_ci_u32_e64 v10, null, 0, v16, vcc_lo
.LBB597_185:
	s_wait_alu 0xfffe
	s_or_b32 exec_lo, exec_lo, s3
	s_wait_dscnt 0x5
	s_delay_alu instid0(VALU_DEP_1) | instskip(NEXT) | instid1(VALU_DEP_1)
	v_lshlrev_b64_e32 v[9:10], 2, v[9:10]
	v_add_co_u32 v9, vcc_lo, s10, v9
	s_wait_alu 0xfffd
	s_delay_alu instid0(VALU_DEP_2) | instskip(SKIP_3) | instid1(SALU_CYCLE_1)
	v_add_co_ci_u32_e64 v10, null, s11, v10, vcc_lo
	s_wait_dscnt 0x4
	global_store_b32 v[9:10], v8, off
	s_or_b32 exec_lo, exec_lo, s1
	s_mov_b32 s1, exec_lo
	v_cmpx_gt_u32_e64 s22, v39
	s_cbranch_execnz .LBB597_151
.LBB597_186:
	s_wait_alu 0xfffe
	s_or_b32 exec_lo, exec_lo, s1
	s_delay_alu instid0(SALU_CYCLE_1)
	s_mov_b32 s1, exec_lo
	v_cmpx_gt_u32_e64 s22, v38
	s_cbranch_execz .LBB597_156
.LBB597_187:
	s_mov_b32 s3, exec_lo
                                        ; implicit-def: $vgpr7_vgpr8
	v_cmpx_ge_u32_e64 v38, v19
	s_wait_alu 0xfffe
	s_xor_b32 s3, exec_lo, s3
	s_cbranch_execz .LBB597_189
; %bb.188:
	s_wait_dscnt 0x3
	v_xor_b32_e32 v5, 0xfffff8ff, v0
                                        ; implicit-def: $vgpr38
	s_delay_alu instid0(VALU_DEP_1) | instskip(SKIP_2) | instid1(VALU_DEP_2)
	v_ashrrev_i32_e32 v8, 31, v5
	v_add_co_u32 v7, vcc_lo, v17, v5
	s_wait_alu 0xfffd
	v_add_co_ci_u32_e64 v8, null, v18, v8, vcc_lo
.LBB597_189:
	s_wait_alu 0xfffe
	s_and_not1_saveexec_b32 s3, s3
	s_cbranch_execz .LBB597_191
; %bb.190:
	s_wait_dscnt 0x4
	v_add_co_u32 v7, vcc_lo, v15, v38
	s_wait_alu 0xfffd
	v_add_co_ci_u32_e64 v8, null, 0, v16, vcc_lo
.LBB597_191:
	s_wait_alu 0xfffe
	s_or_b32 exec_lo, exec_lo, s3
	s_wait_dscnt 0x4
	s_delay_alu instid0(VALU_DEP_1) | instskip(NEXT) | instid1(VALU_DEP_1)
	v_lshlrev_b64_e32 v[7:8], 2, v[7:8]
	v_add_co_u32 v7, vcc_lo, s10, v7
	s_wait_alu 0xfffd
	s_delay_alu instid0(VALU_DEP_2) | instskip(SKIP_3) | instid1(SALU_CYCLE_1)
	v_add_co_ci_u32_e64 v8, null, s11, v8, vcc_lo
	s_wait_dscnt 0x3
	global_store_b32 v[7:8], v6, off
	s_or_b32 exec_lo, exec_lo, s1
	s_mov_b32 s1, exec_lo
	v_cmpx_gt_u32_e64 s22, v37
	s_cbranch_execnz .LBB597_157
.LBB597_192:
	s_wait_alu 0xfffe
	s_or_b32 exec_lo, exec_lo, s1
	s_delay_alu instid0(SALU_CYCLE_1)
	s_mov_b32 s1, exec_lo
	v_cmpx_gt_u32_e64 s22, v36
	s_cbranch_execz .LBB597_162
.LBB597_193:
	s_mov_b32 s3, exec_lo
                                        ; implicit-def: $vgpr5_vgpr6
	v_cmpx_ge_u32_e64 v36, v19
	s_wait_alu 0xfffe
	s_xor_b32 s3, exec_lo, s3
	s_cbranch_execz .LBB597_195
; %bb.194:
	s_wait_dscnt 0x2
	v_xor_b32_e32 v3, 0xfffff6ff, v0
                                        ; implicit-def: $vgpr36
	s_delay_alu instid0(VALU_DEP_1) | instskip(SKIP_2) | instid1(VALU_DEP_2)
	v_ashrrev_i32_e32 v6, 31, v3
	v_add_co_u32 v5, vcc_lo, v17, v3
	s_wait_alu 0xfffd
	v_add_co_ci_u32_e64 v6, null, v18, v6, vcc_lo
.LBB597_195:
	s_wait_alu 0xfffe
	s_and_not1_saveexec_b32 s3, s3
	s_cbranch_execz .LBB597_197
; %bb.196:
	s_wait_dscnt 0x3
	v_add_co_u32 v5, vcc_lo, v15, v36
	s_wait_alu 0xfffd
	v_add_co_ci_u32_e64 v6, null, 0, v16, vcc_lo
.LBB597_197:
	s_wait_alu 0xfffe
	s_or_b32 exec_lo, exec_lo, s3
	s_wait_dscnt 0x3
	s_delay_alu instid0(VALU_DEP_1) | instskip(NEXT) | instid1(VALU_DEP_1)
	v_lshlrev_b64_e32 v[5:6], 2, v[5:6]
	v_add_co_u32 v5, vcc_lo, s10, v5
	s_wait_alu 0xfffd
	s_delay_alu instid0(VALU_DEP_2) | instskip(SKIP_3) | instid1(SALU_CYCLE_1)
	v_add_co_ci_u32_e64 v6, null, s11, v6, vcc_lo
	s_wait_dscnt 0x2
	global_store_b32 v[5:6], v4, off
	s_or_b32 exec_lo, exec_lo, s1
	s_mov_b32 s1, exec_lo
	v_cmpx_gt_u32_e64 s22, v35
	s_cbranch_execnz .LBB597_163
.LBB597_198:
	s_wait_alu 0xfffe
	s_or_b32 exec_lo, exec_lo, s1
	s_delay_alu instid0(SALU_CYCLE_1)
	s_mov_b32 s1, exec_lo
	v_cmpx_gt_u32_e64 s22, v34
	s_cbranch_execz .LBB597_204
.LBB597_199:
	s_mov_b32 s3, exec_lo
                                        ; implicit-def: $vgpr3_vgpr4
	v_cmpx_ge_u32_e64 v34, v19
	s_wait_alu 0xfffe
	s_xor_b32 s3, exec_lo, s3
	s_cbranch_execz .LBB597_201
; %bb.200:
	s_wait_dscnt 0x1
	v_xor_b32_e32 v1, 0xfffff4ff, v0
                                        ; implicit-def: $vgpr34
	s_delay_alu instid0(VALU_DEP_1) | instskip(SKIP_2) | instid1(VALU_DEP_2)
	v_ashrrev_i32_e32 v4, 31, v1
	v_add_co_u32 v3, vcc_lo, v17, v1
	s_wait_alu 0xfffd
	v_add_co_ci_u32_e64 v4, null, v18, v4, vcc_lo
.LBB597_201:
	s_wait_alu 0xfffe
	s_and_not1_saveexec_b32 s3, s3
	s_cbranch_execz .LBB597_203
; %bb.202:
	s_wait_dscnt 0x2
	v_add_co_u32 v3, vcc_lo, v15, v34
	s_wait_alu 0xfffd
	v_add_co_ci_u32_e64 v4, null, 0, v16, vcc_lo
.LBB597_203:
	s_wait_alu 0xfffe
	s_or_b32 exec_lo, exec_lo, s3
	s_wait_dscnt 0x2
	s_delay_alu instid0(VALU_DEP_1) | instskip(NEXT) | instid1(VALU_DEP_1)
	v_lshlrev_b64_e32 v[3:4], 2, v[3:4]
	v_add_co_u32 v3, vcc_lo, s10, v3
	s_wait_alu 0xfffd
	s_delay_alu instid0(VALU_DEP_2)
	v_add_co_ci_u32_e64 v4, null, s11, v4, vcc_lo
	s_wait_dscnt 0x1
	global_store_b32 v[3:4], v2, off
.LBB597_204:
	s_wait_alu 0xfffe
	s_or_b32 exec_lo, exec_lo, s1
	s_delay_alu instid0(SALU_CYCLE_1)
	s_mov_b32 s1, exec_lo
                                        ; implicit-def: $vgpr13_vgpr14
	v_cmpx_gt_u32_e64 s22, v33
	s_cbranch_execz .LBB597_210
; %bb.205:
	s_mov_b32 s3, exec_lo
                                        ; implicit-def: $vgpr13_vgpr14
	v_cmpx_ge_u32_e64 v33, v19
	s_wait_alu 0xfffe
	s_xor_b32 s3, exec_lo, s3
	s_cbranch_execz .LBB597_207
; %bb.206:
	v_xor_b32_e32 v0, 0xfffff3ff, v0
                                        ; implicit-def: $vgpr33
	s_wait_dscnt 0x1
	s_delay_alu instid0(VALU_DEP_1) | instskip(SKIP_2) | instid1(VALU_DEP_2)
	v_ashrrev_i32_e32 v1, 31, v0
	v_add_co_u32 v13, vcc_lo, v17, v0
	s_wait_alu 0xfffd
	v_add_co_ci_u32_e64 v14, null, v18, v1, vcc_lo
.LBB597_207:
	s_wait_alu 0xfffe
	s_and_not1_saveexec_b32 s3, s3
; %bb.208:
	v_add_co_u32 v13, vcc_lo, v15, v33
	s_wait_alu 0xfffd
	v_add_co_ci_u32_e64 v14, null, 0, v16, vcc_lo
; %bb.209:
	s_wait_alu 0xfffe
	s_or_b32 exec_lo, exec_lo, s3
	s_delay_alu instid0(SALU_CYCLE_1)
	s_or_b32 s0, s0, exec_lo
.LBB597_210:
	s_wait_alu 0xfffe
	s_or_b32 exec_lo, exec_lo, s1
	s_and_saveexec_b32 s1, s0
	s_cbranch_execnz .LBB597_129
.LBB597_211:
	s_wait_alu 0xfffe
	s_or_b32 exec_lo, exec_lo, s1
	s_and_b32 s0, s2, s9
	s_wait_alu 0xfffe
	s_and_saveexec_b32 s1, s0
	s_cbranch_execz .LBB597_130
.LBB597_212:
	v_add_co_u32 v0, vcc_lo, v15, v19
	s_wait_dscnt 0x1
	v_mov_b32_e32 v2, 0
	s_wait_alu 0xfffd
	v_add_co_ci_u32_e64 v1, null, 0, v16, vcc_lo
	global_store_b64 v2, v[0:1], s[12:13]
	s_endpgm
	.section	.rodata,"a",@progbits
	.p2align	6, 0x0
	.amdhsa_kernel _ZN7rocprim17ROCPRIM_400000_NS6detail17trampoline_kernelINS0_13select_configILj256ELj13ELNS0_17block_load_methodE3ELS4_3ELS4_3ELNS0_20block_scan_algorithmE0ELj4294967295EEENS1_25partition_config_selectorILNS1_17partition_subalgoE3EjNS0_10empty_typeEbEEZZNS1_14partition_implILS8_3ELb0ES6_jNS0_17counting_iteratorIjlEEPS9_SE_NS0_5tupleIJPjSE_EEENSF_IJSE_SE_EEES9_SG_JZNS1_25segmented_radix_sort_implINS0_14default_configELb0EPKiPiPKlPlN2at6native12_GLOBAL__N_18offset_tEEE10hipError_tPvRmT1_PNSt15iterator_traitsISY_E10value_typeET2_T3_PNSZ_IS14_E10value_typeET4_jRbjT5_S1A_jjP12ihipStream_tbEUljE_EEESV_SW_SX_S14_S18_S1A_T6_T7_T9_mT8_S1C_bDpT10_ENKUlT_T0_E_clISt17integral_constantIbLb0EES1O_IbLb1EEEEDaS1K_S1L_EUlS1K_E_NS1_11comp_targetILNS1_3genE10ELNS1_11target_archE1200ELNS1_3gpuE4ELNS1_3repE0EEENS1_30default_config_static_selectorELNS0_4arch9wavefront6targetE0EEEvSY_
		.amdhsa_group_segment_fixed_size 13320
		.amdhsa_private_segment_fixed_size 0
		.amdhsa_kernarg_size 152
		.amdhsa_user_sgpr_count 2
		.amdhsa_user_sgpr_dispatch_ptr 0
		.amdhsa_user_sgpr_queue_ptr 0
		.amdhsa_user_sgpr_kernarg_segment_ptr 1
		.amdhsa_user_sgpr_dispatch_id 0
		.amdhsa_user_sgpr_private_segment_size 0
		.amdhsa_wavefront_size32 1
		.amdhsa_uses_dynamic_stack 0
		.amdhsa_enable_private_segment 0
		.amdhsa_system_sgpr_workgroup_id_x 1
		.amdhsa_system_sgpr_workgroup_id_y 0
		.amdhsa_system_sgpr_workgroup_id_z 0
		.amdhsa_system_sgpr_workgroup_info 0
		.amdhsa_system_vgpr_workitem_id 0
		.amdhsa_next_free_vgpr 71
		.amdhsa_next_free_sgpr 26
		.amdhsa_reserve_vcc 1
		.amdhsa_float_round_mode_32 0
		.amdhsa_float_round_mode_16_64 0
		.amdhsa_float_denorm_mode_32 3
		.amdhsa_float_denorm_mode_16_64 3
		.amdhsa_fp16_overflow 0
		.amdhsa_workgroup_processor_mode 1
		.amdhsa_memory_ordered 1
		.amdhsa_forward_progress 1
		.amdhsa_inst_pref_size 86
		.amdhsa_round_robin_scheduling 0
		.amdhsa_exception_fp_ieee_invalid_op 0
		.amdhsa_exception_fp_denorm_src 0
		.amdhsa_exception_fp_ieee_div_zero 0
		.amdhsa_exception_fp_ieee_overflow 0
		.amdhsa_exception_fp_ieee_underflow 0
		.amdhsa_exception_fp_ieee_inexact 0
		.amdhsa_exception_int_div_zero 0
	.end_amdhsa_kernel
	.section	.text._ZN7rocprim17ROCPRIM_400000_NS6detail17trampoline_kernelINS0_13select_configILj256ELj13ELNS0_17block_load_methodE3ELS4_3ELS4_3ELNS0_20block_scan_algorithmE0ELj4294967295EEENS1_25partition_config_selectorILNS1_17partition_subalgoE3EjNS0_10empty_typeEbEEZZNS1_14partition_implILS8_3ELb0ES6_jNS0_17counting_iteratorIjlEEPS9_SE_NS0_5tupleIJPjSE_EEENSF_IJSE_SE_EEES9_SG_JZNS1_25segmented_radix_sort_implINS0_14default_configELb0EPKiPiPKlPlN2at6native12_GLOBAL__N_18offset_tEEE10hipError_tPvRmT1_PNSt15iterator_traitsISY_E10value_typeET2_T3_PNSZ_IS14_E10value_typeET4_jRbjT5_S1A_jjP12ihipStream_tbEUljE_EEESV_SW_SX_S14_S18_S1A_T6_T7_T9_mT8_S1C_bDpT10_ENKUlT_T0_E_clISt17integral_constantIbLb0EES1O_IbLb1EEEEDaS1K_S1L_EUlS1K_E_NS1_11comp_targetILNS1_3genE10ELNS1_11target_archE1200ELNS1_3gpuE4ELNS1_3repE0EEENS1_30default_config_static_selectorELNS0_4arch9wavefront6targetE0EEEvSY_,"axG",@progbits,_ZN7rocprim17ROCPRIM_400000_NS6detail17trampoline_kernelINS0_13select_configILj256ELj13ELNS0_17block_load_methodE3ELS4_3ELS4_3ELNS0_20block_scan_algorithmE0ELj4294967295EEENS1_25partition_config_selectorILNS1_17partition_subalgoE3EjNS0_10empty_typeEbEEZZNS1_14partition_implILS8_3ELb0ES6_jNS0_17counting_iteratorIjlEEPS9_SE_NS0_5tupleIJPjSE_EEENSF_IJSE_SE_EEES9_SG_JZNS1_25segmented_radix_sort_implINS0_14default_configELb0EPKiPiPKlPlN2at6native12_GLOBAL__N_18offset_tEEE10hipError_tPvRmT1_PNSt15iterator_traitsISY_E10value_typeET2_T3_PNSZ_IS14_E10value_typeET4_jRbjT5_S1A_jjP12ihipStream_tbEUljE_EEESV_SW_SX_S14_S18_S1A_T6_T7_T9_mT8_S1C_bDpT10_ENKUlT_T0_E_clISt17integral_constantIbLb0EES1O_IbLb1EEEEDaS1K_S1L_EUlS1K_E_NS1_11comp_targetILNS1_3genE10ELNS1_11target_archE1200ELNS1_3gpuE4ELNS1_3repE0EEENS1_30default_config_static_selectorELNS0_4arch9wavefront6targetE0EEEvSY_,comdat
.Lfunc_end597:
	.size	_ZN7rocprim17ROCPRIM_400000_NS6detail17trampoline_kernelINS0_13select_configILj256ELj13ELNS0_17block_load_methodE3ELS4_3ELS4_3ELNS0_20block_scan_algorithmE0ELj4294967295EEENS1_25partition_config_selectorILNS1_17partition_subalgoE3EjNS0_10empty_typeEbEEZZNS1_14partition_implILS8_3ELb0ES6_jNS0_17counting_iteratorIjlEEPS9_SE_NS0_5tupleIJPjSE_EEENSF_IJSE_SE_EEES9_SG_JZNS1_25segmented_radix_sort_implINS0_14default_configELb0EPKiPiPKlPlN2at6native12_GLOBAL__N_18offset_tEEE10hipError_tPvRmT1_PNSt15iterator_traitsISY_E10value_typeET2_T3_PNSZ_IS14_E10value_typeET4_jRbjT5_S1A_jjP12ihipStream_tbEUljE_EEESV_SW_SX_S14_S18_S1A_T6_T7_T9_mT8_S1C_bDpT10_ENKUlT_T0_E_clISt17integral_constantIbLb0EES1O_IbLb1EEEEDaS1K_S1L_EUlS1K_E_NS1_11comp_targetILNS1_3genE10ELNS1_11target_archE1200ELNS1_3gpuE4ELNS1_3repE0EEENS1_30default_config_static_selectorELNS0_4arch9wavefront6targetE0EEEvSY_, .Lfunc_end597-_ZN7rocprim17ROCPRIM_400000_NS6detail17trampoline_kernelINS0_13select_configILj256ELj13ELNS0_17block_load_methodE3ELS4_3ELS4_3ELNS0_20block_scan_algorithmE0ELj4294967295EEENS1_25partition_config_selectorILNS1_17partition_subalgoE3EjNS0_10empty_typeEbEEZZNS1_14partition_implILS8_3ELb0ES6_jNS0_17counting_iteratorIjlEEPS9_SE_NS0_5tupleIJPjSE_EEENSF_IJSE_SE_EEES9_SG_JZNS1_25segmented_radix_sort_implINS0_14default_configELb0EPKiPiPKlPlN2at6native12_GLOBAL__N_18offset_tEEE10hipError_tPvRmT1_PNSt15iterator_traitsISY_E10value_typeET2_T3_PNSZ_IS14_E10value_typeET4_jRbjT5_S1A_jjP12ihipStream_tbEUljE_EEESV_SW_SX_S14_S18_S1A_T6_T7_T9_mT8_S1C_bDpT10_ENKUlT_T0_E_clISt17integral_constantIbLb0EES1O_IbLb1EEEEDaS1K_S1L_EUlS1K_E_NS1_11comp_targetILNS1_3genE10ELNS1_11target_archE1200ELNS1_3gpuE4ELNS1_3repE0EEENS1_30default_config_static_selectorELNS0_4arch9wavefront6targetE0EEEvSY_
                                        ; -- End function
	.set _ZN7rocprim17ROCPRIM_400000_NS6detail17trampoline_kernelINS0_13select_configILj256ELj13ELNS0_17block_load_methodE3ELS4_3ELS4_3ELNS0_20block_scan_algorithmE0ELj4294967295EEENS1_25partition_config_selectorILNS1_17partition_subalgoE3EjNS0_10empty_typeEbEEZZNS1_14partition_implILS8_3ELb0ES6_jNS0_17counting_iteratorIjlEEPS9_SE_NS0_5tupleIJPjSE_EEENSF_IJSE_SE_EEES9_SG_JZNS1_25segmented_radix_sort_implINS0_14default_configELb0EPKiPiPKlPlN2at6native12_GLOBAL__N_18offset_tEEE10hipError_tPvRmT1_PNSt15iterator_traitsISY_E10value_typeET2_T3_PNSZ_IS14_E10value_typeET4_jRbjT5_S1A_jjP12ihipStream_tbEUljE_EEESV_SW_SX_S14_S18_S1A_T6_T7_T9_mT8_S1C_bDpT10_ENKUlT_T0_E_clISt17integral_constantIbLb0EES1O_IbLb1EEEEDaS1K_S1L_EUlS1K_E_NS1_11comp_targetILNS1_3genE10ELNS1_11target_archE1200ELNS1_3gpuE4ELNS1_3repE0EEENS1_30default_config_static_selectorELNS0_4arch9wavefront6targetE0EEEvSY_.num_vgpr, 71
	.set _ZN7rocprim17ROCPRIM_400000_NS6detail17trampoline_kernelINS0_13select_configILj256ELj13ELNS0_17block_load_methodE3ELS4_3ELS4_3ELNS0_20block_scan_algorithmE0ELj4294967295EEENS1_25partition_config_selectorILNS1_17partition_subalgoE3EjNS0_10empty_typeEbEEZZNS1_14partition_implILS8_3ELb0ES6_jNS0_17counting_iteratorIjlEEPS9_SE_NS0_5tupleIJPjSE_EEENSF_IJSE_SE_EEES9_SG_JZNS1_25segmented_radix_sort_implINS0_14default_configELb0EPKiPiPKlPlN2at6native12_GLOBAL__N_18offset_tEEE10hipError_tPvRmT1_PNSt15iterator_traitsISY_E10value_typeET2_T3_PNSZ_IS14_E10value_typeET4_jRbjT5_S1A_jjP12ihipStream_tbEUljE_EEESV_SW_SX_S14_S18_S1A_T6_T7_T9_mT8_S1C_bDpT10_ENKUlT_T0_E_clISt17integral_constantIbLb0EES1O_IbLb1EEEEDaS1K_S1L_EUlS1K_E_NS1_11comp_targetILNS1_3genE10ELNS1_11target_archE1200ELNS1_3gpuE4ELNS1_3repE0EEENS1_30default_config_static_selectorELNS0_4arch9wavefront6targetE0EEEvSY_.num_agpr, 0
	.set _ZN7rocprim17ROCPRIM_400000_NS6detail17trampoline_kernelINS0_13select_configILj256ELj13ELNS0_17block_load_methodE3ELS4_3ELS4_3ELNS0_20block_scan_algorithmE0ELj4294967295EEENS1_25partition_config_selectorILNS1_17partition_subalgoE3EjNS0_10empty_typeEbEEZZNS1_14partition_implILS8_3ELb0ES6_jNS0_17counting_iteratorIjlEEPS9_SE_NS0_5tupleIJPjSE_EEENSF_IJSE_SE_EEES9_SG_JZNS1_25segmented_radix_sort_implINS0_14default_configELb0EPKiPiPKlPlN2at6native12_GLOBAL__N_18offset_tEEE10hipError_tPvRmT1_PNSt15iterator_traitsISY_E10value_typeET2_T3_PNSZ_IS14_E10value_typeET4_jRbjT5_S1A_jjP12ihipStream_tbEUljE_EEESV_SW_SX_S14_S18_S1A_T6_T7_T9_mT8_S1C_bDpT10_ENKUlT_T0_E_clISt17integral_constantIbLb0EES1O_IbLb1EEEEDaS1K_S1L_EUlS1K_E_NS1_11comp_targetILNS1_3genE10ELNS1_11target_archE1200ELNS1_3gpuE4ELNS1_3repE0EEENS1_30default_config_static_selectorELNS0_4arch9wavefront6targetE0EEEvSY_.numbered_sgpr, 26
	.set _ZN7rocprim17ROCPRIM_400000_NS6detail17trampoline_kernelINS0_13select_configILj256ELj13ELNS0_17block_load_methodE3ELS4_3ELS4_3ELNS0_20block_scan_algorithmE0ELj4294967295EEENS1_25partition_config_selectorILNS1_17partition_subalgoE3EjNS0_10empty_typeEbEEZZNS1_14partition_implILS8_3ELb0ES6_jNS0_17counting_iteratorIjlEEPS9_SE_NS0_5tupleIJPjSE_EEENSF_IJSE_SE_EEES9_SG_JZNS1_25segmented_radix_sort_implINS0_14default_configELb0EPKiPiPKlPlN2at6native12_GLOBAL__N_18offset_tEEE10hipError_tPvRmT1_PNSt15iterator_traitsISY_E10value_typeET2_T3_PNSZ_IS14_E10value_typeET4_jRbjT5_S1A_jjP12ihipStream_tbEUljE_EEESV_SW_SX_S14_S18_S1A_T6_T7_T9_mT8_S1C_bDpT10_ENKUlT_T0_E_clISt17integral_constantIbLb0EES1O_IbLb1EEEEDaS1K_S1L_EUlS1K_E_NS1_11comp_targetILNS1_3genE10ELNS1_11target_archE1200ELNS1_3gpuE4ELNS1_3repE0EEENS1_30default_config_static_selectorELNS0_4arch9wavefront6targetE0EEEvSY_.num_named_barrier, 0
	.set _ZN7rocprim17ROCPRIM_400000_NS6detail17trampoline_kernelINS0_13select_configILj256ELj13ELNS0_17block_load_methodE3ELS4_3ELS4_3ELNS0_20block_scan_algorithmE0ELj4294967295EEENS1_25partition_config_selectorILNS1_17partition_subalgoE3EjNS0_10empty_typeEbEEZZNS1_14partition_implILS8_3ELb0ES6_jNS0_17counting_iteratorIjlEEPS9_SE_NS0_5tupleIJPjSE_EEENSF_IJSE_SE_EEES9_SG_JZNS1_25segmented_radix_sort_implINS0_14default_configELb0EPKiPiPKlPlN2at6native12_GLOBAL__N_18offset_tEEE10hipError_tPvRmT1_PNSt15iterator_traitsISY_E10value_typeET2_T3_PNSZ_IS14_E10value_typeET4_jRbjT5_S1A_jjP12ihipStream_tbEUljE_EEESV_SW_SX_S14_S18_S1A_T6_T7_T9_mT8_S1C_bDpT10_ENKUlT_T0_E_clISt17integral_constantIbLb0EES1O_IbLb1EEEEDaS1K_S1L_EUlS1K_E_NS1_11comp_targetILNS1_3genE10ELNS1_11target_archE1200ELNS1_3gpuE4ELNS1_3repE0EEENS1_30default_config_static_selectorELNS0_4arch9wavefront6targetE0EEEvSY_.private_seg_size, 0
	.set _ZN7rocprim17ROCPRIM_400000_NS6detail17trampoline_kernelINS0_13select_configILj256ELj13ELNS0_17block_load_methodE3ELS4_3ELS4_3ELNS0_20block_scan_algorithmE0ELj4294967295EEENS1_25partition_config_selectorILNS1_17partition_subalgoE3EjNS0_10empty_typeEbEEZZNS1_14partition_implILS8_3ELb0ES6_jNS0_17counting_iteratorIjlEEPS9_SE_NS0_5tupleIJPjSE_EEENSF_IJSE_SE_EEES9_SG_JZNS1_25segmented_radix_sort_implINS0_14default_configELb0EPKiPiPKlPlN2at6native12_GLOBAL__N_18offset_tEEE10hipError_tPvRmT1_PNSt15iterator_traitsISY_E10value_typeET2_T3_PNSZ_IS14_E10value_typeET4_jRbjT5_S1A_jjP12ihipStream_tbEUljE_EEESV_SW_SX_S14_S18_S1A_T6_T7_T9_mT8_S1C_bDpT10_ENKUlT_T0_E_clISt17integral_constantIbLb0EES1O_IbLb1EEEEDaS1K_S1L_EUlS1K_E_NS1_11comp_targetILNS1_3genE10ELNS1_11target_archE1200ELNS1_3gpuE4ELNS1_3repE0EEENS1_30default_config_static_selectorELNS0_4arch9wavefront6targetE0EEEvSY_.uses_vcc, 1
	.set _ZN7rocprim17ROCPRIM_400000_NS6detail17trampoline_kernelINS0_13select_configILj256ELj13ELNS0_17block_load_methodE3ELS4_3ELS4_3ELNS0_20block_scan_algorithmE0ELj4294967295EEENS1_25partition_config_selectorILNS1_17partition_subalgoE3EjNS0_10empty_typeEbEEZZNS1_14partition_implILS8_3ELb0ES6_jNS0_17counting_iteratorIjlEEPS9_SE_NS0_5tupleIJPjSE_EEENSF_IJSE_SE_EEES9_SG_JZNS1_25segmented_radix_sort_implINS0_14default_configELb0EPKiPiPKlPlN2at6native12_GLOBAL__N_18offset_tEEE10hipError_tPvRmT1_PNSt15iterator_traitsISY_E10value_typeET2_T3_PNSZ_IS14_E10value_typeET4_jRbjT5_S1A_jjP12ihipStream_tbEUljE_EEESV_SW_SX_S14_S18_S1A_T6_T7_T9_mT8_S1C_bDpT10_ENKUlT_T0_E_clISt17integral_constantIbLb0EES1O_IbLb1EEEEDaS1K_S1L_EUlS1K_E_NS1_11comp_targetILNS1_3genE10ELNS1_11target_archE1200ELNS1_3gpuE4ELNS1_3repE0EEENS1_30default_config_static_selectorELNS0_4arch9wavefront6targetE0EEEvSY_.uses_flat_scratch, 0
	.set _ZN7rocprim17ROCPRIM_400000_NS6detail17trampoline_kernelINS0_13select_configILj256ELj13ELNS0_17block_load_methodE3ELS4_3ELS4_3ELNS0_20block_scan_algorithmE0ELj4294967295EEENS1_25partition_config_selectorILNS1_17partition_subalgoE3EjNS0_10empty_typeEbEEZZNS1_14partition_implILS8_3ELb0ES6_jNS0_17counting_iteratorIjlEEPS9_SE_NS0_5tupleIJPjSE_EEENSF_IJSE_SE_EEES9_SG_JZNS1_25segmented_radix_sort_implINS0_14default_configELb0EPKiPiPKlPlN2at6native12_GLOBAL__N_18offset_tEEE10hipError_tPvRmT1_PNSt15iterator_traitsISY_E10value_typeET2_T3_PNSZ_IS14_E10value_typeET4_jRbjT5_S1A_jjP12ihipStream_tbEUljE_EEESV_SW_SX_S14_S18_S1A_T6_T7_T9_mT8_S1C_bDpT10_ENKUlT_T0_E_clISt17integral_constantIbLb0EES1O_IbLb1EEEEDaS1K_S1L_EUlS1K_E_NS1_11comp_targetILNS1_3genE10ELNS1_11target_archE1200ELNS1_3gpuE4ELNS1_3repE0EEENS1_30default_config_static_selectorELNS0_4arch9wavefront6targetE0EEEvSY_.has_dyn_sized_stack, 0
	.set _ZN7rocprim17ROCPRIM_400000_NS6detail17trampoline_kernelINS0_13select_configILj256ELj13ELNS0_17block_load_methodE3ELS4_3ELS4_3ELNS0_20block_scan_algorithmE0ELj4294967295EEENS1_25partition_config_selectorILNS1_17partition_subalgoE3EjNS0_10empty_typeEbEEZZNS1_14partition_implILS8_3ELb0ES6_jNS0_17counting_iteratorIjlEEPS9_SE_NS0_5tupleIJPjSE_EEENSF_IJSE_SE_EEES9_SG_JZNS1_25segmented_radix_sort_implINS0_14default_configELb0EPKiPiPKlPlN2at6native12_GLOBAL__N_18offset_tEEE10hipError_tPvRmT1_PNSt15iterator_traitsISY_E10value_typeET2_T3_PNSZ_IS14_E10value_typeET4_jRbjT5_S1A_jjP12ihipStream_tbEUljE_EEESV_SW_SX_S14_S18_S1A_T6_T7_T9_mT8_S1C_bDpT10_ENKUlT_T0_E_clISt17integral_constantIbLb0EES1O_IbLb1EEEEDaS1K_S1L_EUlS1K_E_NS1_11comp_targetILNS1_3genE10ELNS1_11target_archE1200ELNS1_3gpuE4ELNS1_3repE0EEENS1_30default_config_static_selectorELNS0_4arch9wavefront6targetE0EEEvSY_.has_recursion, 0
	.set _ZN7rocprim17ROCPRIM_400000_NS6detail17trampoline_kernelINS0_13select_configILj256ELj13ELNS0_17block_load_methodE3ELS4_3ELS4_3ELNS0_20block_scan_algorithmE0ELj4294967295EEENS1_25partition_config_selectorILNS1_17partition_subalgoE3EjNS0_10empty_typeEbEEZZNS1_14partition_implILS8_3ELb0ES6_jNS0_17counting_iteratorIjlEEPS9_SE_NS0_5tupleIJPjSE_EEENSF_IJSE_SE_EEES9_SG_JZNS1_25segmented_radix_sort_implINS0_14default_configELb0EPKiPiPKlPlN2at6native12_GLOBAL__N_18offset_tEEE10hipError_tPvRmT1_PNSt15iterator_traitsISY_E10value_typeET2_T3_PNSZ_IS14_E10value_typeET4_jRbjT5_S1A_jjP12ihipStream_tbEUljE_EEESV_SW_SX_S14_S18_S1A_T6_T7_T9_mT8_S1C_bDpT10_ENKUlT_T0_E_clISt17integral_constantIbLb0EES1O_IbLb1EEEEDaS1K_S1L_EUlS1K_E_NS1_11comp_targetILNS1_3genE10ELNS1_11target_archE1200ELNS1_3gpuE4ELNS1_3repE0EEENS1_30default_config_static_selectorELNS0_4arch9wavefront6targetE0EEEvSY_.has_indirect_call, 0
	.section	.AMDGPU.csdata,"",@progbits
; Kernel info:
; codeLenInByte = 10900
; TotalNumSgprs: 28
; NumVgprs: 71
; ScratchSize: 0
; MemoryBound: 0
; FloatMode: 240
; IeeeMode: 1
; LDSByteSize: 13320 bytes/workgroup (compile time only)
; SGPRBlocks: 0
; VGPRBlocks: 8
; NumSGPRsForWavesPerEU: 28
; NumVGPRsForWavesPerEU: 71
; Occupancy: 16
; WaveLimiterHint : 0
; COMPUTE_PGM_RSRC2:SCRATCH_EN: 0
; COMPUTE_PGM_RSRC2:USER_SGPR: 2
; COMPUTE_PGM_RSRC2:TRAP_HANDLER: 0
; COMPUTE_PGM_RSRC2:TGID_X_EN: 1
; COMPUTE_PGM_RSRC2:TGID_Y_EN: 0
; COMPUTE_PGM_RSRC2:TGID_Z_EN: 0
; COMPUTE_PGM_RSRC2:TIDIG_COMP_CNT: 0
	.section	.text._ZN7rocprim17ROCPRIM_400000_NS6detail17trampoline_kernelINS0_13select_configILj256ELj13ELNS0_17block_load_methodE3ELS4_3ELS4_3ELNS0_20block_scan_algorithmE0ELj4294967295EEENS1_25partition_config_selectorILNS1_17partition_subalgoE3EjNS0_10empty_typeEbEEZZNS1_14partition_implILS8_3ELb0ES6_jNS0_17counting_iteratorIjlEEPS9_SE_NS0_5tupleIJPjSE_EEENSF_IJSE_SE_EEES9_SG_JZNS1_25segmented_radix_sort_implINS0_14default_configELb0EPKiPiPKlPlN2at6native12_GLOBAL__N_18offset_tEEE10hipError_tPvRmT1_PNSt15iterator_traitsISY_E10value_typeET2_T3_PNSZ_IS14_E10value_typeET4_jRbjT5_S1A_jjP12ihipStream_tbEUljE_EEESV_SW_SX_S14_S18_S1A_T6_T7_T9_mT8_S1C_bDpT10_ENKUlT_T0_E_clISt17integral_constantIbLb0EES1O_IbLb1EEEEDaS1K_S1L_EUlS1K_E_NS1_11comp_targetILNS1_3genE9ELNS1_11target_archE1100ELNS1_3gpuE3ELNS1_3repE0EEENS1_30default_config_static_selectorELNS0_4arch9wavefront6targetE0EEEvSY_,"axG",@progbits,_ZN7rocprim17ROCPRIM_400000_NS6detail17trampoline_kernelINS0_13select_configILj256ELj13ELNS0_17block_load_methodE3ELS4_3ELS4_3ELNS0_20block_scan_algorithmE0ELj4294967295EEENS1_25partition_config_selectorILNS1_17partition_subalgoE3EjNS0_10empty_typeEbEEZZNS1_14partition_implILS8_3ELb0ES6_jNS0_17counting_iteratorIjlEEPS9_SE_NS0_5tupleIJPjSE_EEENSF_IJSE_SE_EEES9_SG_JZNS1_25segmented_radix_sort_implINS0_14default_configELb0EPKiPiPKlPlN2at6native12_GLOBAL__N_18offset_tEEE10hipError_tPvRmT1_PNSt15iterator_traitsISY_E10value_typeET2_T3_PNSZ_IS14_E10value_typeET4_jRbjT5_S1A_jjP12ihipStream_tbEUljE_EEESV_SW_SX_S14_S18_S1A_T6_T7_T9_mT8_S1C_bDpT10_ENKUlT_T0_E_clISt17integral_constantIbLb0EES1O_IbLb1EEEEDaS1K_S1L_EUlS1K_E_NS1_11comp_targetILNS1_3genE9ELNS1_11target_archE1100ELNS1_3gpuE3ELNS1_3repE0EEENS1_30default_config_static_selectorELNS0_4arch9wavefront6targetE0EEEvSY_,comdat
	.globl	_ZN7rocprim17ROCPRIM_400000_NS6detail17trampoline_kernelINS0_13select_configILj256ELj13ELNS0_17block_load_methodE3ELS4_3ELS4_3ELNS0_20block_scan_algorithmE0ELj4294967295EEENS1_25partition_config_selectorILNS1_17partition_subalgoE3EjNS0_10empty_typeEbEEZZNS1_14partition_implILS8_3ELb0ES6_jNS0_17counting_iteratorIjlEEPS9_SE_NS0_5tupleIJPjSE_EEENSF_IJSE_SE_EEES9_SG_JZNS1_25segmented_radix_sort_implINS0_14default_configELb0EPKiPiPKlPlN2at6native12_GLOBAL__N_18offset_tEEE10hipError_tPvRmT1_PNSt15iterator_traitsISY_E10value_typeET2_T3_PNSZ_IS14_E10value_typeET4_jRbjT5_S1A_jjP12ihipStream_tbEUljE_EEESV_SW_SX_S14_S18_S1A_T6_T7_T9_mT8_S1C_bDpT10_ENKUlT_T0_E_clISt17integral_constantIbLb0EES1O_IbLb1EEEEDaS1K_S1L_EUlS1K_E_NS1_11comp_targetILNS1_3genE9ELNS1_11target_archE1100ELNS1_3gpuE3ELNS1_3repE0EEENS1_30default_config_static_selectorELNS0_4arch9wavefront6targetE0EEEvSY_ ; -- Begin function _ZN7rocprim17ROCPRIM_400000_NS6detail17trampoline_kernelINS0_13select_configILj256ELj13ELNS0_17block_load_methodE3ELS4_3ELS4_3ELNS0_20block_scan_algorithmE0ELj4294967295EEENS1_25partition_config_selectorILNS1_17partition_subalgoE3EjNS0_10empty_typeEbEEZZNS1_14partition_implILS8_3ELb0ES6_jNS0_17counting_iteratorIjlEEPS9_SE_NS0_5tupleIJPjSE_EEENSF_IJSE_SE_EEES9_SG_JZNS1_25segmented_radix_sort_implINS0_14default_configELb0EPKiPiPKlPlN2at6native12_GLOBAL__N_18offset_tEEE10hipError_tPvRmT1_PNSt15iterator_traitsISY_E10value_typeET2_T3_PNSZ_IS14_E10value_typeET4_jRbjT5_S1A_jjP12ihipStream_tbEUljE_EEESV_SW_SX_S14_S18_S1A_T6_T7_T9_mT8_S1C_bDpT10_ENKUlT_T0_E_clISt17integral_constantIbLb0EES1O_IbLb1EEEEDaS1K_S1L_EUlS1K_E_NS1_11comp_targetILNS1_3genE9ELNS1_11target_archE1100ELNS1_3gpuE3ELNS1_3repE0EEENS1_30default_config_static_selectorELNS0_4arch9wavefront6targetE0EEEvSY_
	.p2align	8
	.type	_ZN7rocprim17ROCPRIM_400000_NS6detail17trampoline_kernelINS0_13select_configILj256ELj13ELNS0_17block_load_methodE3ELS4_3ELS4_3ELNS0_20block_scan_algorithmE0ELj4294967295EEENS1_25partition_config_selectorILNS1_17partition_subalgoE3EjNS0_10empty_typeEbEEZZNS1_14partition_implILS8_3ELb0ES6_jNS0_17counting_iteratorIjlEEPS9_SE_NS0_5tupleIJPjSE_EEENSF_IJSE_SE_EEES9_SG_JZNS1_25segmented_radix_sort_implINS0_14default_configELb0EPKiPiPKlPlN2at6native12_GLOBAL__N_18offset_tEEE10hipError_tPvRmT1_PNSt15iterator_traitsISY_E10value_typeET2_T3_PNSZ_IS14_E10value_typeET4_jRbjT5_S1A_jjP12ihipStream_tbEUljE_EEESV_SW_SX_S14_S18_S1A_T6_T7_T9_mT8_S1C_bDpT10_ENKUlT_T0_E_clISt17integral_constantIbLb0EES1O_IbLb1EEEEDaS1K_S1L_EUlS1K_E_NS1_11comp_targetILNS1_3genE9ELNS1_11target_archE1100ELNS1_3gpuE3ELNS1_3repE0EEENS1_30default_config_static_selectorELNS0_4arch9wavefront6targetE0EEEvSY_,@function
_ZN7rocprim17ROCPRIM_400000_NS6detail17trampoline_kernelINS0_13select_configILj256ELj13ELNS0_17block_load_methodE3ELS4_3ELS4_3ELNS0_20block_scan_algorithmE0ELj4294967295EEENS1_25partition_config_selectorILNS1_17partition_subalgoE3EjNS0_10empty_typeEbEEZZNS1_14partition_implILS8_3ELb0ES6_jNS0_17counting_iteratorIjlEEPS9_SE_NS0_5tupleIJPjSE_EEENSF_IJSE_SE_EEES9_SG_JZNS1_25segmented_radix_sort_implINS0_14default_configELb0EPKiPiPKlPlN2at6native12_GLOBAL__N_18offset_tEEE10hipError_tPvRmT1_PNSt15iterator_traitsISY_E10value_typeET2_T3_PNSZ_IS14_E10value_typeET4_jRbjT5_S1A_jjP12ihipStream_tbEUljE_EEESV_SW_SX_S14_S18_S1A_T6_T7_T9_mT8_S1C_bDpT10_ENKUlT_T0_E_clISt17integral_constantIbLb0EES1O_IbLb1EEEEDaS1K_S1L_EUlS1K_E_NS1_11comp_targetILNS1_3genE9ELNS1_11target_archE1100ELNS1_3gpuE3ELNS1_3repE0EEENS1_30default_config_static_selectorELNS0_4arch9wavefront6targetE0EEEvSY_: ; @_ZN7rocprim17ROCPRIM_400000_NS6detail17trampoline_kernelINS0_13select_configILj256ELj13ELNS0_17block_load_methodE3ELS4_3ELS4_3ELNS0_20block_scan_algorithmE0ELj4294967295EEENS1_25partition_config_selectorILNS1_17partition_subalgoE3EjNS0_10empty_typeEbEEZZNS1_14partition_implILS8_3ELb0ES6_jNS0_17counting_iteratorIjlEEPS9_SE_NS0_5tupleIJPjSE_EEENSF_IJSE_SE_EEES9_SG_JZNS1_25segmented_radix_sort_implINS0_14default_configELb0EPKiPiPKlPlN2at6native12_GLOBAL__N_18offset_tEEE10hipError_tPvRmT1_PNSt15iterator_traitsISY_E10value_typeET2_T3_PNSZ_IS14_E10value_typeET4_jRbjT5_S1A_jjP12ihipStream_tbEUljE_EEESV_SW_SX_S14_S18_S1A_T6_T7_T9_mT8_S1C_bDpT10_ENKUlT_T0_E_clISt17integral_constantIbLb0EES1O_IbLb1EEEEDaS1K_S1L_EUlS1K_E_NS1_11comp_targetILNS1_3genE9ELNS1_11target_archE1100ELNS1_3gpuE3ELNS1_3repE0EEENS1_30default_config_static_selectorELNS0_4arch9wavefront6targetE0EEEvSY_
; %bb.0:
	.section	.rodata,"a",@progbits
	.p2align	6, 0x0
	.amdhsa_kernel _ZN7rocprim17ROCPRIM_400000_NS6detail17trampoline_kernelINS0_13select_configILj256ELj13ELNS0_17block_load_methodE3ELS4_3ELS4_3ELNS0_20block_scan_algorithmE0ELj4294967295EEENS1_25partition_config_selectorILNS1_17partition_subalgoE3EjNS0_10empty_typeEbEEZZNS1_14partition_implILS8_3ELb0ES6_jNS0_17counting_iteratorIjlEEPS9_SE_NS0_5tupleIJPjSE_EEENSF_IJSE_SE_EEES9_SG_JZNS1_25segmented_radix_sort_implINS0_14default_configELb0EPKiPiPKlPlN2at6native12_GLOBAL__N_18offset_tEEE10hipError_tPvRmT1_PNSt15iterator_traitsISY_E10value_typeET2_T3_PNSZ_IS14_E10value_typeET4_jRbjT5_S1A_jjP12ihipStream_tbEUljE_EEESV_SW_SX_S14_S18_S1A_T6_T7_T9_mT8_S1C_bDpT10_ENKUlT_T0_E_clISt17integral_constantIbLb0EES1O_IbLb1EEEEDaS1K_S1L_EUlS1K_E_NS1_11comp_targetILNS1_3genE9ELNS1_11target_archE1100ELNS1_3gpuE3ELNS1_3repE0EEENS1_30default_config_static_selectorELNS0_4arch9wavefront6targetE0EEEvSY_
		.amdhsa_group_segment_fixed_size 0
		.amdhsa_private_segment_fixed_size 0
		.amdhsa_kernarg_size 152
		.amdhsa_user_sgpr_count 2
		.amdhsa_user_sgpr_dispatch_ptr 0
		.amdhsa_user_sgpr_queue_ptr 0
		.amdhsa_user_sgpr_kernarg_segment_ptr 1
		.amdhsa_user_sgpr_dispatch_id 0
		.amdhsa_user_sgpr_private_segment_size 0
		.amdhsa_wavefront_size32 1
		.amdhsa_uses_dynamic_stack 0
		.amdhsa_enable_private_segment 0
		.amdhsa_system_sgpr_workgroup_id_x 1
		.amdhsa_system_sgpr_workgroup_id_y 0
		.amdhsa_system_sgpr_workgroup_id_z 0
		.amdhsa_system_sgpr_workgroup_info 0
		.amdhsa_system_vgpr_workitem_id 0
		.amdhsa_next_free_vgpr 1
		.amdhsa_next_free_sgpr 1
		.amdhsa_reserve_vcc 0
		.amdhsa_float_round_mode_32 0
		.amdhsa_float_round_mode_16_64 0
		.amdhsa_float_denorm_mode_32 3
		.amdhsa_float_denorm_mode_16_64 3
		.amdhsa_fp16_overflow 0
		.amdhsa_workgroup_processor_mode 1
		.amdhsa_memory_ordered 1
		.amdhsa_forward_progress 1
		.amdhsa_inst_pref_size 0
		.amdhsa_round_robin_scheduling 0
		.amdhsa_exception_fp_ieee_invalid_op 0
		.amdhsa_exception_fp_denorm_src 0
		.amdhsa_exception_fp_ieee_div_zero 0
		.amdhsa_exception_fp_ieee_overflow 0
		.amdhsa_exception_fp_ieee_underflow 0
		.amdhsa_exception_fp_ieee_inexact 0
		.amdhsa_exception_int_div_zero 0
	.end_amdhsa_kernel
	.section	.text._ZN7rocprim17ROCPRIM_400000_NS6detail17trampoline_kernelINS0_13select_configILj256ELj13ELNS0_17block_load_methodE3ELS4_3ELS4_3ELNS0_20block_scan_algorithmE0ELj4294967295EEENS1_25partition_config_selectorILNS1_17partition_subalgoE3EjNS0_10empty_typeEbEEZZNS1_14partition_implILS8_3ELb0ES6_jNS0_17counting_iteratorIjlEEPS9_SE_NS0_5tupleIJPjSE_EEENSF_IJSE_SE_EEES9_SG_JZNS1_25segmented_radix_sort_implINS0_14default_configELb0EPKiPiPKlPlN2at6native12_GLOBAL__N_18offset_tEEE10hipError_tPvRmT1_PNSt15iterator_traitsISY_E10value_typeET2_T3_PNSZ_IS14_E10value_typeET4_jRbjT5_S1A_jjP12ihipStream_tbEUljE_EEESV_SW_SX_S14_S18_S1A_T6_T7_T9_mT8_S1C_bDpT10_ENKUlT_T0_E_clISt17integral_constantIbLb0EES1O_IbLb1EEEEDaS1K_S1L_EUlS1K_E_NS1_11comp_targetILNS1_3genE9ELNS1_11target_archE1100ELNS1_3gpuE3ELNS1_3repE0EEENS1_30default_config_static_selectorELNS0_4arch9wavefront6targetE0EEEvSY_,"axG",@progbits,_ZN7rocprim17ROCPRIM_400000_NS6detail17trampoline_kernelINS0_13select_configILj256ELj13ELNS0_17block_load_methodE3ELS4_3ELS4_3ELNS0_20block_scan_algorithmE0ELj4294967295EEENS1_25partition_config_selectorILNS1_17partition_subalgoE3EjNS0_10empty_typeEbEEZZNS1_14partition_implILS8_3ELb0ES6_jNS0_17counting_iteratorIjlEEPS9_SE_NS0_5tupleIJPjSE_EEENSF_IJSE_SE_EEES9_SG_JZNS1_25segmented_radix_sort_implINS0_14default_configELb0EPKiPiPKlPlN2at6native12_GLOBAL__N_18offset_tEEE10hipError_tPvRmT1_PNSt15iterator_traitsISY_E10value_typeET2_T3_PNSZ_IS14_E10value_typeET4_jRbjT5_S1A_jjP12ihipStream_tbEUljE_EEESV_SW_SX_S14_S18_S1A_T6_T7_T9_mT8_S1C_bDpT10_ENKUlT_T0_E_clISt17integral_constantIbLb0EES1O_IbLb1EEEEDaS1K_S1L_EUlS1K_E_NS1_11comp_targetILNS1_3genE9ELNS1_11target_archE1100ELNS1_3gpuE3ELNS1_3repE0EEENS1_30default_config_static_selectorELNS0_4arch9wavefront6targetE0EEEvSY_,comdat
.Lfunc_end598:
	.size	_ZN7rocprim17ROCPRIM_400000_NS6detail17trampoline_kernelINS0_13select_configILj256ELj13ELNS0_17block_load_methodE3ELS4_3ELS4_3ELNS0_20block_scan_algorithmE0ELj4294967295EEENS1_25partition_config_selectorILNS1_17partition_subalgoE3EjNS0_10empty_typeEbEEZZNS1_14partition_implILS8_3ELb0ES6_jNS0_17counting_iteratorIjlEEPS9_SE_NS0_5tupleIJPjSE_EEENSF_IJSE_SE_EEES9_SG_JZNS1_25segmented_radix_sort_implINS0_14default_configELb0EPKiPiPKlPlN2at6native12_GLOBAL__N_18offset_tEEE10hipError_tPvRmT1_PNSt15iterator_traitsISY_E10value_typeET2_T3_PNSZ_IS14_E10value_typeET4_jRbjT5_S1A_jjP12ihipStream_tbEUljE_EEESV_SW_SX_S14_S18_S1A_T6_T7_T9_mT8_S1C_bDpT10_ENKUlT_T0_E_clISt17integral_constantIbLb0EES1O_IbLb1EEEEDaS1K_S1L_EUlS1K_E_NS1_11comp_targetILNS1_3genE9ELNS1_11target_archE1100ELNS1_3gpuE3ELNS1_3repE0EEENS1_30default_config_static_selectorELNS0_4arch9wavefront6targetE0EEEvSY_, .Lfunc_end598-_ZN7rocprim17ROCPRIM_400000_NS6detail17trampoline_kernelINS0_13select_configILj256ELj13ELNS0_17block_load_methodE3ELS4_3ELS4_3ELNS0_20block_scan_algorithmE0ELj4294967295EEENS1_25partition_config_selectorILNS1_17partition_subalgoE3EjNS0_10empty_typeEbEEZZNS1_14partition_implILS8_3ELb0ES6_jNS0_17counting_iteratorIjlEEPS9_SE_NS0_5tupleIJPjSE_EEENSF_IJSE_SE_EEES9_SG_JZNS1_25segmented_radix_sort_implINS0_14default_configELb0EPKiPiPKlPlN2at6native12_GLOBAL__N_18offset_tEEE10hipError_tPvRmT1_PNSt15iterator_traitsISY_E10value_typeET2_T3_PNSZ_IS14_E10value_typeET4_jRbjT5_S1A_jjP12ihipStream_tbEUljE_EEESV_SW_SX_S14_S18_S1A_T6_T7_T9_mT8_S1C_bDpT10_ENKUlT_T0_E_clISt17integral_constantIbLb0EES1O_IbLb1EEEEDaS1K_S1L_EUlS1K_E_NS1_11comp_targetILNS1_3genE9ELNS1_11target_archE1100ELNS1_3gpuE3ELNS1_3repE0EEENS1_30default_config_static_selectorELNS0_4arch9wavefront6targetE0EEEvSY_
                                        ; -- End function
	.set _ZN7rocprim17ROCPRIM_400000_NS6detail17trampoline_kernelINS0_13select_configILj256ELj13ELNS0_17block_load_methodE3ELS4_3ELS4_3ELNS0_20block_scan_algorithmE0ELj4294967295EEENS1_25partition_config_selectorILNS1_17partition_subalgoE3EjNS0_10empty_typeEbEEZZNS1_14partition_implILS8_3ELb0ES6_jNS0_17counting_iteratorIjlEEPS9_SE_NS0_5tupleIJPjSE_EEENSF_IJSE_SE_EEES9_SG_JZNS1_25segmented_radix_sort_implINS0_14default_configELb0EPKiPiPKlPlN2at6native12_GLOBAL__N_18offset_tEEE10hipError_tPvRmT1_PNSt15iterator_traitsISY_E10value_typeET2_T3_PNSZ_IS14_E10value_typeET4_jRbjT5_S1A_jjP12ihipStream_tbEUljE_EEESV_SW_SX_S14_S18_S1A_T6_T7_T9_mT8_S1C_bDpT10_ENKUlT_T0_E_clISt17integral_constantIbLb0EES1O_IbLb1EEEEDaS1K_S1L_EUlS1K_E_NS1_11comp_targetILNS1_3genE9ELNS1_11target_archE1100ELNS1_3gpuE3ELNS1_3repE0EEENS1_30default_config_static_selectorELNS0_4arch9wavefront6targetE0EEEvSY_.num_vgpr, 0
	.set _ZN7rocprim17ROCPRIM_400000_NS6detail17trampoline_kernelINS0_13select_configILj256ELj13ELNS0_17block_load_methodE3ELS4_3ELS4_3ELNS0_20block_scan_algorithmE0ELj4294967295EEENS1_25partition_config_selectorILNS1_17partition_subalgoE3EjNS0_10empty_typeEbEEZZNS1_14partition_implILS8_3ELb0ES6_jNS0_17counting_iteratorIjlEEPS9_SE_NS0_5tupleIJPjSE_EEENSF_IJSE_SE_EEES9_SG_JZNS1_25segmented_radix_sort_implINS0_14default_configELb0EPKiPiPKlPlN2at6native12_GLOBAL__N_18offset_tEEE10hipError_tPvRmT1_PNSt15iterator_traitsISY_E10value_typeET2_T3_PNSZ_IS14_E10value_typeET4_jRbjT5_S1A_jjP12ihipStream_tbEUljE_EEESV_SW_SX_S14_S18_S1A_T6_T7_T9_mT8_S1C_bDpT10_ENKUlT_T0_E_clISt17integral_constantIbLb0EES1O_IbLb1EEEEDaS1K_S1L_EUlS1K_E_NS1_11comp_targetILNS1_3genE9ELNS1_11target_archE1100ELNS1_3gpuE3ELNS1_3repE0EEENS1_30default_config_static_selectorELNS0_4arch9wavefront6targetE0EEEvSY_.num_agpr, 0
	.set _ZN7rocprim17ROCPRIM_400000_NS6detail17trampoline_kernelINS0_13select_configILj256ELj13ELNS0_17block_load_methodE3ELS4_3ELS4_3ELNS0_20block_scan_algorithmE0ELj4294967295EEENS1_25partition_config_selectorILNS1_17partition_subalgoE3EjNS0_10empty_typeEbEEZZNS1_14partition_implILS8_3ELb0ES6_jNS0_17counting_iteratorIjlEEPS9_SE_NS0_5tupleIJPjSE_EEENSF_IJSE_SE_EEES9_SG_JZNS1_25segmented_radix_sort_implINS0_14default_configELb0EPKiPiPKlPlN2at6native12_GLOBAL__N_18offset_tEEE10hipError_tPvRmT1_PNSt15iterator_traitsISY_E10value_typeET2_T3_PNSZ_IS14_E10value_typeET4_jRbjT5_S1A_jjP12ihipStream_tbEUljE_EEESV_SW_SX_S14_S18_S1A_T6_T7_T9_mT8_S1C_bDpT10_ENKUlT_T0_E_clISt17integral_constantIbLb0EES1O_IbLb1EEEEDaS1K_S1L_EUlS1K_E_NS1_11comp_targetILNS1_3genE9ELNS1_11target_archE1100ELNS1_3gpuE3ELNS1_3repE0EEENS1_30default_config_static_selectorELNS0_4arch9wavefront6targetE0EEEvSY_.numbered_sgpr, 0
	.set _ZN7rocprim17ROCPRIM_400000_NS6detail17trampoline_kernelINS0_13select_configILj256ELj13ELNS0_17block_load_methodE3ELS4_3ELS4_3ELNS0_20block_scan_algorithmE0ELj4294967295EEENS1_25partition_config_selectorILNS1_17partition_subalgoE3EjNS0_10empty_typeEbEEZZNS1_14partition_implILS8_3ELb0ES6_jNS0_17counting_iteratorIjlEEPS9_SE_NS0_5tupleIJPjSE_EEENSF_IJSE_SE_EEES9_SG_JZNS1_25segmented_radix_sort_implINS0_14default_configELb0EPKiPiPKlPlN2at6native12_GLOBAL__N_18offset_tEEE10hipError_tPvRmT1_PNSt15iterator_traitsISY_E10value_typeET2_T3_PNSZ_IS14_E10value_typeET4_jRbjT5_S1A_jjP12ihipStream_tbEUljE_EEESV_SW_SX_S14_S18_S1A_T6_T7_T9_mT8_S1C_bDpT10_ENKUlT_T0_E_clISt17integral_constantIbLb0EES1O_IbLb1EEEEDaS1K_S1L_EUlS1K_E_NS1_11comp_targetILNS1_3genE9ELNS1_11target_archE1100ELNS1_3gpuE3ELNS1_3repE0EEENS1_30default_config_static_selectorELNS0_4arch9wavefront6targetE0EEEvSY_.num_named_barrier, 0
	.set _ZN7rocprim17ROCPRIM_400000_NS6detail17trampoline_kernelINS0_13select_configILj256ELj13ELNS0_17block_load_methodE3ELS4_3ELS4_3ELNS0_20block_scan_algorithmE0ELj4294967295EEENS1_25partition_config_selectorILNS1_17partition_subalgoE3EjNS0_10empty_typeEbEEZZNS1_14partition_implILS8_3ELb0ES6_jNS0_17counting_iteratorIjlEEPS9_SE_NS0_5tupleIJPjSE_EEENSF_IJSE_SE_EEES9_SG_JZNS1_25segmented_radix_sort_implINS0_14default_configELb0EPKiPiPKlPlN2at6native12_GLOBAL__N_18offset_tEEE10hipError_tPvRmT1_PNSt15iterator_traitsISY_E10value_typeET2_T3_PNSZ_IS14_E10value_typeET4_jRbjT5_S1A_jjP12ihipStream_tbEUljE_EEESV_SW_SX_S14_S18_S1A_T6_T7_T9_mT8_S1C_bDpT10_ENKUlT_T0_E_clISt17integral_constantIbLb0EES1O_IbLb1EEEEDaS1K_S1L_EUlS1K_E_NS1_11comp_targetILNS1_3genE9ELNS1_11target_archE1100ELNS1_3gpuE3ELNS1_3repE0EEENS1_30default_config_static_selectorELNS0_4arch9wavefront6targetE0EEEvSY_.private_seg_size, 0
	.set _ZN7rocprim17ROCPRIM_400000_NS6detail17trampoline_kernelINS0_13select_configILj256ELj13ELNS0_17block_load_methodE3ELS4_3ELS4_3ELNS0_20block_scan_algorithmE0ELj4294967295EEENS1_25partition_config_selectorILNS1_17partition_subalgoE3EjNS0_10empty_typeEbEEZZNS1_14partition_implILS8_3ELb0ES6_jNS0_17counting_iteratorIjlEEPS9_SE_NS0_5tupleIJPjSE_EEENSF_IJSE_SE_EEES9_SG_JZNS1_25segmented_radix_sort_implINS0_14default_configELb0EPKiPiPKlPlN2at6native12_GLOBAL__N_18offset_tEEE10hipError_tPvRmT1_PNSt15iterator_traitsISY_E10value_typeET2_T3_PNSZ_IS14_E10value_typeET4_jRbjT5_S1A_jjP12ihipStream_tbEUljE_EEESV_SW_SX_S14_S18_S1A_T6_T7_T9_mT8_S1C_bDpT10_ENKUlT_T0_E_clISt17integral_constantIbLb0EES1O_IbLb1EEEEDaS1K_S1L_EUlS1K_E_NS1_11comp_targetILNS1_3genE9ELNS1_11target_archE1100ELNS1_3gpuE3ELNS1_3repE0EEENS1_30default_config_static_selectorELNS0_4arch9wavefront6targetE0EEEvSY_.uses_vcc, 0
	.set _ZN7rocprim17ROCPRIM_400000_NS6detail17trampoline_kernelINS0_13select_configILj256ELj13ELNS0_17block_load_methodE3ELS4_3ELS4_3ELNS0_20block_scan_algorithmE0ELj4294967295EEENS1_25partition_config_selectorILNS1_17partition_subalgoE3EjNS0_10empty_typeEbEEZZNS1_14partition_implILS8_3ELb0ES6_jNS0_17counting_iteratorIjlEEPS9_SE_NS0_5tupleIJPjSE_EEENSF_IJSE_SE_EEES9_SG_JZNS1_25segmented_radix_sort_implINS0_14default_configELb0EPKiPiPKlPlN2at6native12_GLOBAL__N_18offset_tEEE10hipError_tPvRmT1_PNSt15iterator_traitsISY_E10value_typeET2_T3_PNSZ_IS14_E10value_typeET4_jRbjT5_S1A_jjP12ihipStream_tbEUljE_EEESV_SW_SX_S14_S18_S1A_T6_T7_T9_mT8_S1C_bDpT10_ENKUlT_T0_E_clISt17integral_constantIbLb0EES1O_IbLb1EEEEDaS1K_S1L_EUlS1K_E_NS1_11comp_targetILNS1_3genE9ELNS1_11target_archE1100ELNS1_3gpuE3ELNS1_3repE0EEENS1_30default_config_static_selectorELNS0_4arch9wavefront6targetE0EEEvSY_.uses_flat_scratch, 0
	.set _ZN7rocprim17ROCPRIM_400000_NS6detail17trampoline_kernelINS0_13select_configILj256ELj13ELNS0_17block_load_methodE3ELS4_3ELS4_3ELNS0_20block_scan_algorithmE0ELj4294967295EEENS1_25partition_config_selectorILNS1_17partition_subalgoE3EjNS0_10empty_typeEbEEZZNS1_14partition_implILS8_3ELb0ES6_jNS0_17counting_iteratorIjlEEPS9_SE_NS0_5tupleIJPjSE_EEENSF_IJSE_SE_EEES9_SG_JZNS1_25segmented_radix_sort_implINS0_14default_configELb0EPKiPiPKlPlN2at6native12_GLOBAL__N_18offset_tEEE10hipError_tPvRmT1_PNSt15iterator_traitsISY_E10value_typeET2_T3_PNSZ_IS14_E10value_typeET4_jRbjT5_S1A_jjP12ihipStream_tbEUljE_EEESV_SW_SX_S14_S18_S1A_T6_T7_T9_mT8_S1C_bDpT10_ENKUlT_T0_E_clISt17integral_constantIbLb0EES1O_IbLb1EEEEDaS1K_S1L_EUlS1K_E_NS1_11comp_targetILNS1_3genE9ELNS1_11target_archE1100ELNS1_3gpuE3ELNS1_3repE0EEENS1_30default_config_static_selectorELNS0_4arch9wavefront6targetE0EEEvSY_.has_dyn_sized_stack, 0
	.set _ZN7rocprim17ROCPRIM_400000_NS6detail17trampoline_kernelINS0_13select_configILj256ELj13ELNS0_17block_load_methodE3ELS4_3ELS4_3ELNS0_20block_scan_algorithmE0ELj4294967295EEENS1_25partition_config_selectorILNS1_17partition_subalgoE3EjNS0_10empty_typeEbEEZZNS1_14partition_implILS8_3ELb0ES6_jNS0_17counting_iteratorIjlEEPS9_SE_NS0_5tupleIJPjSE_EEENSF_IJSE_SE_EEES9_SG_JZNS1_25segmented_radix_sort_implINS0_14default_configELb0EPKiPiPKlPlN2at6native12_GLOBAL__N_18offset_tEEE10hipError_tPvRmT1_PNSt15iterator_traitsISY_E10value_typeET2_T3_PNSZ_IS14_E10value_typeET4_jRbjT5_S1A_jjP12ihipStream_tbEUljE_EEESV_SW_SX_S14_S18_S1A_T6_T7_T9_mT8_S1C_bDpT10_ENKUlT_T0_E_clISt17integral_constantIbLb0EES1O_IbLb1EEEEDaS1K_S1L_EUlS1K_E_NS1_11comp_targetILNS1_3genE9ELNS1_11target_archE1100ELNS1_3gpuE3ELNS1_3repE0EEENS1_30default_config_static_selectorELNS0_4arch9wavefront6targetE0EEEvSY_.has_recursion, 0
	.set _ZN7rocprim17ROCPRIM_400000_NS6detail17trampoline_kernelINS0_13select_configILj256ELj13ELNS0_17block_load_methodE3ELS4_3ELS4_3ELNS0_20block_scan_algorithmE0ELj4294967295EEENS1_25partition_config_selectorILNS1_17partition_subalgoE3EjNS0_10empty_typeEbEEZZNS1_14partition_implILS8_3ELb0ES6_jNS0_17counting_iteratorIjlEEPS9_SE_NS0_5tupleIJPjSE_EEENSF_IJSE_SE_EEES9_SG_JZNS1_25segmented_radix_sort_implINS0_14default_configELb0EPKiPiPKlPlN2at6native12_GLOBAL__N_18offset_tEEE10hipError_tPvRmT1_PNSt15iterator_traitsISY_E10value_typeET2_T3_PNSZ_IS14_E10value_typeET4_jRbjT5_S1A_jjP12ihipStream_tbEUljE_EEESV_SW_SX_S14_S18_S1A_T6_T7_T9_mT8_S1C_bDpT10_ENKUlT_T0_E_clISt17integral_constantIbLb0EES1O_IbLb1EEEEDaS1K_S1L_EUlS1K_E_NS1_11comp_targetILNS1_3genE9ELNS1_11target_archE1100ELNS1_3gpuE3ELNS1_3repE0EEENS1_30default_config_static_selectorELNS0_4arch9wavefront6targetE0EEEvSY_.has_indirect_call, 0
	.section	.AMDGPU.csdata,"",@progbits
; Kernel info:
; codeLenInByte = 0
; TotalNumSgprs: 0
; NumVgprs: 0
; ScratchSize: 0
; MemoryBound: 0
; FloatMode: 240
; IeeeMode: 1
; LDSByteSize: 0 bytes/workgroup (compile time only)
; SGPRBlocks: 0
; VGPRBlocks: 0
; NumSGPRsForWavesPerEU: 1
; NumVGPRsForWavesPerEU: 1
; Occupancy: 16
; WaveLimiterHint : 0
; COMPUTE_PGM_RSRC2:SCRATCH_EN: 0
; COMPUTE_PGM_RSRC2:USER_SGPR: 2
; COMPUTE_PGM_RSRC2:TRAP_HANDLER: 0
; COMPUTE_PGM_RSRC2:TGID_X_EN: 1
; COMPUTE_PGM_RSRC2:TGID_Y_EN: 0
; COMPUTE_PGM_RSRC2:TGID_Z_EN: 0
; COMPUTE_PGM_RSRC2:TIDIG_COMP_CNT: 0
	.section	.text._ZN7rocprim17ROCPRIM_400000_NS6detail17trampoline_kernelINS0_13select_configILj256ELj13ELNS0_17block_load_methodE3ELS4_3ELS4_3ELNS0_20block_scan_algorithmE0ELj4294967295EEENS1_25partition_config_selectorILNS1_17partition_subalgoE3EjNS0_10empty_typeEbEEZZNS1_14partition_implILS8_3ELb0ES6_jNS0_17counting_iteratorIjlEEPS9_SE_NS0_5tupleIJPjSE_EEENSF_IJSE_SE_EEES9_SG_JZNS1_25segmented_radix_sort_implINS0_14default_configELb0EPKiPiPKlPlN2at6native12_GLOBAL__N_18offset_tEEE10hipError_tPvRmT1_PNSt15iterator_traitsISY_E10value_typeET2_T3_PNSZ_IS14_E10value_typeET4_jRbjT5_S1A_jjP12ihipStream_tbEUljE_EEESV_SW_SX_S14_S18_S1A_T6_T7_T9_mT8_S1C_bDpT10_ENKUlT_T0_E_clISt17integral_constantIbLb0EES1O_IbLb1EEEEDaS1K_S1L_EUlS1K_E_NS1_11comp_targetILNS1_3genE8ELNS1_11target_archE1030ELNS1_3gpuE2ELNS1_3repE0EEENS1_30default_config_static_selectorELNS0_4arch9wavefront6targetE0EEEvSY_,"axG",@progbits,_ZN7rocprim17ROCPRIM_400000_NS6detail17trampoline_kernelINS0_13select_configILj256ELj13ELNS0_17block_load_methodE3ELS4_3ELS4_3ELNS0_20block_scan_algorithmE0ELj4294967295EEENS1_25partition_config_selectorILNS1_17partition_subalgoE3EjNS0_10empty_typeEbEEZZNS1_14partition_implILS8_3ELb0ES6_jNS0_17counting_iteratorIjlEEPS9_SE_NS0_5tupleIJPjSE_EEENSF_IJSE_SE_EEES9_SG_JZNS1_25segmented_radix_sort_implINS0_14default_configELb0EPKiPiPKlPlN2at6native12_GLOBAL__N_18offset_tEEE10hipError_tPvRmT1_PNSt15iterator_traitsISY_E10value_typeET2_T3_PNSZ_IS14_E10value_typeET4_jRbjT5_S1A_jjP12ihipStream_tbEUljE_EEESV_SW_SX_S14_S18_S1A_T6_T7_T9_mT8_S1C_bDpT10_ENKUlT_T0_E_clISt17integral_constantIbLb0EES1O_IbLb1EEEEDaS1K_S1L_EUlS1K_E_NS1_11comp_targetILNS1_3genE8ELNS1_11target_archE1030ELNS1_3gpuE2ELNS1_3repE0EEENS1_30default_config_static_selectorELNS0_4arch9wavefront6targetE0EEEvSY_,comdat
	.globl	_ZN7rocprim17ROCPRIM_400000_NS6detail17trampoline_kernelINS0_13select_configILj256ELj13ELNS0_17block_load_methodE3ELS4_3ELS4_3ELNS0_20block_scan_algorithmE0ELj4294967295EEENS1_25partition_config_selectorILNS1_17partition_subalgoE3EjNS0_10empty_typeEbEEZZNS1_14partition_implILS8_3ELb0ES6_jNS0_17counting_iteratorIjlEEPS9_SE_NS0_5tupleIJPjSE_EEENSF_IJSE_SE_EEES9_SG_JZNS1_25segmented_radix_sort_implINS0_14default_configELb0EPKiPiPKlPlN2at6native12_GLOBAL__N_18offset_tEEE10hipError_tPvRmT1_PNSt15iterator_traitsISY_E10value_typeET2_T3_PNSZ_IS14_E10value_typeET4_jRbjT5_S1A_jjP12ihipStream_tbEUljE_EEESV_SW_SX_S14_S18_S1A_T6_T7_T9_mT8_S1C_bDpT10_ENKUlT_T0_E_clISt17integral_constantIbLb0EES1O_IbLb1EEEEDaS1K_S1L_EUlS1K_E_NS1_11comp_targetILNS1_3genE8ELNS1_11target_archE1030ELNS1_3gpuE2ELNS1_3repE0EEENS1_30default_config_static_selectorELNS0_4arch9wavefront6targetE0EEEvSY_ ; -- Begin function _ZN7rocprim17ROCPRIM_400000_NS6detail17trampoline_kernelINS0_13select_configILj256ELj13ELNS0_17block_load_methodE3ELS4_3ELS4_3ELNS0_20block_scan_algorithmE0ELj4294967295EEENS1_25partition_config_selectorILNS1_17partition_subalgoE3EjNS0_10empty_typeEbEEZZNS1_14partition_implILS8_3ELb0ES6_jNS0_17counting_iteratorIjlEEPS9_SE_NS0_5tupleIJPjSE_EEENSF_IJSE_SE_EEES9_SG_JZNS1_25segmented_radix_sort_implINS0_14default_configELb0EPKiPiPKlPlN2at6native12_GLOBAL__N_18offset_tEEE10hipError_tPvRmT1_PNSt15iterator_traitsISY_E10value_typeET2_T3_PNSZ_IS14_E10value_typeET4_jRbjT5_S1A_jjP12ihipStream_tbEUljE_EEESV_SW_SX_S14_S18_S1A_T6_T7_T9_mT8_S1C_bDpT10_ENKUlT_T0_E_clISt17integral_constantIbLb0EES1O_IbLb1EEEEDaS1K_S1L_EUlS1K_E_NS1_11comp_targetILNS1_3genE8ELNS1_11target_archE1030ELNS1_3gpuE2ELNS1_3repE0EEENS1_30default_config_static_selectorELNS0_4arch9wavefront6targetE0EEEvSY_
	.p2align	8
	.type	_ZN7rocprim17ROCPRIM_400000_NS6detail17trampoline_kernelINS0_13select_configILj256ELj13ELNS0_17block_load_methodE3ELS4_3ELS4_3ELNS0_20block_scan_algorithmE0ELj4294967295EEENS1_25partition_config_selectorILNS1_17partition_subalgoE3EjNS0_10empty_typeEbEEZZNS1_14partition_implILS8_3ELb0ES6_jNS0_17counting_iteratorIjlEEPS9_SE_NS0_5tupleIJPjSE_EEENSF_IJSE_SE_EEES9_SG_JZNS1_25segmented_radix_sort_implINS0_14default_configELb0EPKiPiPKlPlN2at6native12_GLOBAL__N_18offset_tEEE10hipError_tPvRmT1_PNSt15iterator_traitsISY_E10value_typeET2_T3_PNSZ_IS14_E10value_typeET4_jRbjT5_S1A_jjP12ihipStream_tbEUljE_EEESV_SW_SX_S14_S18_S1A_T6_T7_T9_mT8_S1C_bDpT10_ENKUlT_T0_E_clISt17integral_constantIbLb0EES1O_IbLb1EEEEDaS1K_S1L_EUlS1K_E_NS1_11comp_targetILNS1_3genE8ELNS1_11target_archE1030ELNS1_3gpuE2ELNS1_3repE0EEENS1_30default_config_static_selectorELNS0_4arch9wavefront6targetE0EEEvSY_,@function
_ZN7rocprim17ROCPRIM_400000_NS6detail17trampoline_kernelINS0_13select_configILj256ELj13ELNS0_17block_load_methodE3ELS4_3ELS4_3ELNS0_20block_scan_algorithmE0ELj4294967295EEENS1_25partition_config_selectorILNS1_17partition_subalgoE3EjNS0_10empty_typeEbEEZZNS1_14partition_implILS8_3ELb0ES6_jNS0_17counting_iteratorIjlEEPS9_SE_NS0_5tupleIJPjSE_EEENSF_IJSE_SE_EEES9_SG_JZNS1_25segmented_radix_sort_implINS0_14default_configELb0EPKiPiPKlPlN2at6native12_GLOBAL__N_18offset_tEEE10hipError_tPvRmT1_PNSt15iterator_traitsISY_E10value_typeET2_T3_PNSZ_IS14_E10value_typeET4_jRbjT5_S1A_jjP12ihipStream_tbEUljE_EEESV_SW_SX_S14_S18_S1A_T6_T7_T9_mT8_S1C_bDpT10_ENKUlT_T0_E_clISt17integral_constantIbLb0EES1O_IbLb1EEEEDaS1K_S1L_EUlS1K_E_NS1_11comp_targetILNS1_3genE8ELNS1_11target_archE1030ELNS1_3gpuE2ELNS1_3repE0EEENS1_30default_config_static_selectorELNS0_4arch9wavefront6targetE0EEEvSY_: ; @_ZN7rocprim17ROCPRIM_400000_NS6detail17trampoline_kernelINS0_13select_configILj256ELj13ELNS0_17block_load_methodE3ELS4_3ELS4_3ELNS0_20block_scan_algorithmE0ELj4294967295EEENS1_25partition_config_selectorILNS1_17partition_subalgoE3EjNS0_10empty_typeEbEEZZNS1_14partition_implILS8_3ELb0ES6_jNS0_17counting_iteratorIjlEEPS9_SE_NS0_5tupleIJPjSE_EEENSF_IJSE_SE_EEES9_SG_JZNS1_25segmented_radix_sort_implINS0_14default_configELb0EPKiPiPKlPlN2at6native12_GLOBAL__N_18offset_tEEE10hipError_tPvRmT1_PNSt15iterator_traitsISY_E10value_typeET2_T3_PNSZ_IS14_E10value_typeET4_jRbjT5_S1A_jjP12ihipStream_tbEUljE_EEESV_SW_SX_S14_S18_S1A_T6_T7_T9_mT8_S1C_bDpT10_ENKUlT_T0_E_clISt17integral_constantIbLb0EES1O_IbLb1EEEEDaS1K_S1L_EUlS1K_E_NS1_11comp_targetILNS1_3genE8ELNS1_11target_archE1030ELNS1_3gpuE2ELNS1_3repE0EEENS1_30default_config_static_selectorELNS0_4arch9wavefront6targetE0EEEvSY_
; %bb.0:
	.section	.rodata,"a",@progbits
	.p2align	6, 0x0
	.amdhsa_kernel _ZN7rocprim17ROCPRIM_400000_NS6detail17trampoline_kernelINS0_13select_configILj256ELj13ELNS0_17block_load_methodE3ELS4_3ELS4_3ELNS0_20block_scan_algorithmE0ELj4294967295EEENS1_25partition_config_selectorILNS1_17partition_subalgoE3EjNS0_10empty_typeEbEEZZNS1_14partition_implILS8_3ELb0ES6_jNS0_17counting_iteratorIjlEEPS9_SE_NS0_5tupleIJPjSE_EEENSF_IJSE_SE_EEES9_SG_JZNS1_25segmented_radix_sort_implINS0_14default_configELb0EPKiPiPKlPlN2at6native12_GLOBAL__N_18offset_tEEE10hipError_tPvRmT1_PNSt15iterator_traitsISY_E10value_typeET2_T3_PNSZ_IS14_E10value_typeET4_jRbjT5_S1A_jjP12ihipStream_tbEUljE_EEESV_SW_SX_S14_S18_S1A_T6_T7_T9_mT8_S1C_bDpT10_ENKUlT_T0_E_clISt17integral_constantIbLb0EES1O_IbLb1EEEEDaS1K_S1L_EUlS1K_E_NS1_11comp_targetILNS1_3genE8ELNS1_11target_archE1030ELNS1_3gpuE2ELNS1_3repE0EEENS1_30default_config_static_selectorELNS0_4arch9wavefront6targetE0EEEvSY_
		.amdhsa_group_segment_fixed_size 0
		.amdhsa_private_segment_fixed_size 0
		.amdhsa_kernarg_size 152
		.amdhsa_user_sgpr_count 2
		.amdhsa_user_sgpr_dispatch_ptr 0
		.amdhsa_user_sgpr_queue_ptr 0
		.amdhsa_user_sgpr_kernarg_segment_ptr 1
		.amdhsa_user_sgpr_dispatch_id 0
		.amdhsa_user_sgpr_private_segment_size 0
		.amdhsa_wavefront_size32 1
		.amdhsa_uses_dynamic_stack 0
		.amdhsa_enable_private_segment 0
		.amdhsa_system_sgpr_workgroup_id_x 1
		.amdhsa_system_sgpr_workgroup_id_y 0
		.amdhsa_system_sgpr_workgroup_id_z 0
		.amdhsa_system_sgpr_workgroup_info 0
		.amdhsa_system_vgpr_workitem_id 0
		.amdhsa_next_free_vgpr 1
		.amdhsa_next_free_sgpr 1
		.amdhsa_reserve_vcc 0
		.amdhsa_float_round_mode_32 0
		.amdhsa_float_round_mode_16_64 0
		.amdhsa_float_denorm_mode_32 3
		.amdhsa_float_denorm_mode_16_64 3
		.amdhsa_fp16_overflow 0
		.amdhsa_workgroup_processor_mode 1
		.amdhsa_memory_ordered 1
		.amdhsa_forward_progress 1
		.amdhsa_inst_pref_size 0
		.amdhsa_round_robin_scheduling 0
		.amdhsa_exception_fp_ieee_invalid_op 0
		.amdhsa_exception_fp_denorm_src 0
		.amdhsa_exception_fp_ieee_div_zero 0
		.amdhsa_exception_fp_ieee_overflow 0
		.amdhsa_exception_fp_ieee_underflow 0
		.amdhsa_exception_fp_ieee_inexact 0
		.amdhsa_exception_int_div_zero 0
	.end_amdhsa_kernel
	.section	.text._ZN7rocprim17ROCPRIM_400000_NS6detail17trampoline_kernelINS0_13select_configILj256ELj13ELNS0_17block_load_methodE3ELS4_3ELS4_3ELNS0_20block_scan_algorithmE0ELj4294967295EEENS1_25partition_config_selectorILNS1_17partition_subalgoE3EjNS0_10empty_typeEbEEZZNS1_14partition_implILS8_3ELb0ES6_jNS0_17counting_iteratorIjlEEPS9_SE_NS0_5tupleIJPjSE_EEENSF_IJSE_SE_EEES9_SG_JZNS1_25segmented_radix_sort_implINS0_14default_configELb0EPKiPiPKlPlN2at6native12_GLOBAL__N_18offset_tEEE10hipError_tPvRmT1_PNSt15iterator_traitsISY_E10value_typeET2_T3_PNSZ_IS14_E10value_typeET4_jRbjT5_S1A_jjP12ihipStream_tbEUljE_EEESV_SW_SX_S14_S18_S1A_T6_T7_T9_mT8_S1C_bDpT10_ENKUlT_T0_E_clISt17integral_constantIbLb0EES1O_IbLb1EEEEDaS1K_S1L_EUlS1K_E_NS1_11comp_targetILNS1_3genE8ELNS1_11target_archE1030ELNS1_3gpuE2ELNS1_3repE0EEENS1_30default_config_static_selectorELNS0_4arch9wavefront6targetE0EEEvSY_,"axG",@progbits,_ZN7rocprim17ROCPRIM_400000_NS6detail17trampoline_kernelINS0_13select_configILj256ELj13ELNS0_17block_load_methodE3ELS4_3ELS4_3ELNS0_20block_scan_algorithmE0ELj4294967295EEENS1_25partition_config_selectorILNS1_17partition_subalgoE3EjNS0_10empty_typeEbEEZZNS1_14partition_implILS8_3ELb0ES6_jNS0_17counting_iteratorIjlEEPS9_SE_NS0_5tupleIJPjSE_EEENSF_IJSE_SE_EEES9_SG_JZNS1_25segmented_radix_sort_implINS0_14default_configELb0EPKiPiPKlPlN2at6native12_GLOBAL__N_18offset_tEEE10hipError_tPvRmT1_PNSt15iterator_traitsISY_E10value_typeET2_T3_PNSZ_IS14_E10value_typeET4_jRbjT5_S1A_jjP12ihipStream_tbEUljE_EEESV_SW_SX_S14_S18_S1A_T6_T7_T9_mT8_S1C_bDpT10_ENKUlT_T0_E_clISt17integral_constantIbLb0EES1O_IbLb1EEEEDaS1K_S1L_EUlS1K_E_NS1_11comp_targetILNS1_3genE8ELNS1_11target_archE1030ELNS1_3gpuE2ELNS1_3repE0EEENS1_30default_config_static_selectorELNS0_4arch9wavefront6targetE0EEEvSY_,comdat
.Lfunc_end599:
	.size	_ZN7rocprim17ROCPRIM_400000_NS6detail17trampoline_kernelINS0_13select_configILj256ELj13ELNS0_17block_load_methodE3ELS4_3ELS4_3ELNS0_20block_scan_algorithmE0ELj4294967295EEENS1_25partition_config_selectorILNS1_17partition_subalgoE3EjNS0_10empty_typeEbEEZZNS1_14partition_implILS8_3ELb0ES6_jNS0_17counting_iteratorIjlEEPS9_SE_NS0_5tupleIJPjSE_EEENSF_IJSE_SE_EEES9_SG_JZNS1_25segmented_radix_sort_implINS0_14default_configELb0EPKiPiPKlPlN2at6native12_GLOBAL__N_18offset_tEEE10hipError_tPvRmT1_PNSt15iterator_traitsISY_E10value_typeET2_T3_PNSZ_IS14_E10value_typeET4_jRbjT5_S1A_jjP12ihipStream_tbEUljE_EEESV_SW_SX_S14_S18_S1A_T6_T7_T9_mT8_S1C_bDpT10_ENKUlT_T0_E_clISt17integral_constantIbLb0EES1O_IbLb1EEEEDaS1K_S1L_EUlS1K_E_NS1_11comp_targetILNS1_3genE8ELNS1_11target_archE1030ELNS1_3gpuE2ELNS1_3repE0EEENS1_30default_config_static_selectorELNS0_4arch9wavefront6targetE0EEEvSY_, .Lfunc_end599-_ZN7rocprim17ROCPRIM_400000_NS6detail17trampoline_kernelINS0_13select_configILj256ELj13ELNS0_17block_load_methodE3ELS4_3ELS4_3ELNS0_20block_scan_algorithmE0ELj4294967295EEENS1_25partition_config_selectorILNS1_17partition_subalgoE3EjNS0_10empty_typeEbEEZZNS1_14partition_implILS8_3ELb0ES6_jNS0_17counting_iteratorIjlEEPS9_SE_NS0_5tupleIJPjSE_EEENSF_IJSE_SE_EEES9_SG_JZNS1_25segmented_radix_sort_implINS0_14default_configELb0EPKiPiPKlPlN2at6native12_GLOBAL__N_18offset_tEEE10hipError_tPvRmT1_PNSt15iterator_traitsISY_E10value_typeET2_T3_PNSZ_IS14_E10value_typeET4_jRbjT5_S1A_jjP12ihipStream_tbEUljE_EEESV_SW_SX_S14_S18_S1A_T6_T7_T9_mT8_S1C_bDpT10_ENKUlT_T0_E_clISt17integral_constantIbLb0EES1O_IbLb1EEEEDaS1K_S1L_EUlS1K_E_NS1_11comp_targetILNS1_3genE8ELNS1_11target_archE1030ELNS1_3gpuE2ELNS1_3repE0EEENS1_30default_config_static_selectorELNS0_4arch9wavefront6targetE0EEEvSY_
                                        ; -- End function
	.set _ZN7rocprim17ROCPRIM_400000_NS6detail17trampoline_kernelINS0_13select_configILj256ELj13ELNS0_17block_load_methodE3ELS4_3ELS4_3ELNS0_20block_scan_algorithmE0ELj4294967295EEENS1_25partition_config_selectorILNS1_17partition_subalgoE3EjNS0_10empty_typeEbEEZZNS1_14partition_implILS8_3ELb0ES6_jNS0_17counting_iteratorIjlEEPS9_SE_NS0_5tupleIJPjSE_EEENSF_IJSE_SE_EEES9_SG_JZNS1_25segmented_radix_sort_implINS0_14default_configELb0EPKiPiPKlPlN2at6native12_GLOBAL__N_18offset_tEEE10hipError_tPvRmT1_PNSt15iterator_traitsISY_E10value_typeET2_T3_PNSZ_IS14_E10value_typeET4_jRbjT5_S1A_jjP12ihipStream_tbEUljE_EEESV_SW_SX_S14_S18_S1A_T6_T7_T9_mT8_S1C_bDpT10_ENKUlT_T0_E_clISt17integral_constantIbLb0EES1O_IbLb1EEEEDaS1K_S1L_EUlS1K_E_NS1_11comp_targetILNS1_3genE8ELNS1_11target_archE1030ELNS1_3gpuE2ELNS1_3repE0EEENS1_30default_config_static_selectorELNS0_4arch9wavefront6targetE0EEEvSY_.num_vgpr, 0
	.set _ZN7rocprim17ROCPRIM_400000_NS6detail17trampoline_kernelINS0_13select_configILj256ELj13ELNS0_17block_load_methodE3ELS4_3ELS4_3ELNS0_20block_scan_algorithmE0ELj4294967295EEENS1_25partition_config_selectorILNS1_17partition_subalgoE3EjNS0_10empty_typeEbEEZZNS1_14partition_implILS8_3ELb0ES6_jNS0_17counting_iteratorIjlEEPS9_SE_NS0_5tupleIJPjSE_EEENSF_IJSE_SE_EEES9_SG_JZNS1_25segmented_radix_sort_implINS0_14default_configELb0EPKiPiPKlPlN2at6native12_GLOBAL__N_18offset_tEEE10hipError_tPvRmT1_PNSt15iterator_traitsISY_E10value_typeET2_T3_PNSZ_IS14_E10value_typeET4_jRbjT5_S1A_jjP12ihipStream_tbEUljE_EEESV_SW_SX_S14_S18_S1A_T6_T7_T9_mT8_S1C_bDpT10_ENKUlT_T0_E_clISt17integral_constantIbLb0EES1O_IbLb1EEEEDaS1K_S1L_EUlS1K_E_NS1_11comp_targetILNS1_3genE8ELNS1_11target_archE1030ELNS1_3gpuE2ELNS1_3repE0EEENS1_30default_config_static_selectorELNS0_4arch9wavefront6targetE0EEEvSY_.num_agpr, 0
	.set _ZN7rocprim17ROCPRIM_400000_NS6detail17trampoline_kernelINS0_13select_configILj256ELj13ELNS0_17block_load_methodE3ELS4_3ELS4_3ELNS0_20block_scan_algorithmE0ELj4294967295EEENS1_25partition_config_selectorILNS1_17partition_subalgoE3EjNS0_10empty_typeEbEEZZNS1_14partition_implILS8_3ELb0ES6_jNS0_17counting_iteratorIjlEEPS9_SE_NS0_5tupleIJPjSE_EEENSF_IJSE_SE_EEES9_SG_JZNS1_25segmented_radix_sort_implINS0_14default_configELb0EPKiPiPKlPlN2at6native12_GLOBAL__N_18offset_tEEE10hipError_tPvRmT1_PNSt15iterator_traitsISY_E10value_typeET2_T3_PNSZ_IS14_E10value_typeET4_jRbjT5_S1A_jjP12ihipStream_tbEUljE_EEESV_SW_SX_S14_S18_S1A_T6_T7_T9_mT8_S1C_bDpT10_ENKUlT_T0_E_clISt17integral_constantIbLb0EES1O_IbLb1EEEEDaS1K_S1L_EUlS1K_E_NS1_11comp_targetILNS1_3genE8ELNS1_11target_archE1030ELNS1_3gpuE2ELNS1_3repE0EEENS1_30default_config_static_selectorELNS0_4arch9wavefront6targetE0EEEvSY_.numbered_sgpr, 0
	.set _ZN7rocprim17ROCPRIM_400000_NS6detail17trampoline_kernelINS0_13select_configILj256ELj13ELNS0_17block_load_methodE3ELS4_3ELS4_3ELNS0_20block_scan_algorithmE0ELj4294967295EEENS1_25partition_config_selectorILNS1_17partition_subalgoE3EjNS0_10empty_typeEbEEZZNS1_14partition_implILS8_3ELb0ES6_jNS0_17counting_iteratorIjlEEPS9_SE_NS0_5tupleIJPjSE_EEENSF_IJSE_SE_EEES9_SG_JZNS1_25segmented_radix_sort_implINS0_14default_configELb0EPKiPiPKlPlN2at6native12_GLOBAL__N_18offset_tEEE10hipError_tPvRmT1_PNSt15iterator_traitsISY_E10value_typeET2_T3_PNSZ_IS14_E10value_typeET4_jRbjT5_S1A_jjP12ihipStream_tbEUljE_EEESV_SW_SX_S14_S18_S1A_T6_T7_T9_mT8_S1C_bDpT10_ENKUlT_T0_E_clISt17integral_constantIbLb0EES1O_IbLb1EEEEDaS1K_S1L_EUlS1K_E_NS1_11comp_targetILNS1_3genE8ELNS1_11target_archE1030ELNS1_3gpuE2ELNS1_3repE0EEENS1_30default_config_static_selectorELNS0_4arch9wavefront6targetE0EEEvSY_.num_named_barrier, 0
	.set _ZN7rocprim17ROCPRIM_400000_NS6detail17trampoline_kernelINS0_13select_configILj256ELj13ELNS0_17block_load_methodE3ELS4_3ELS4_3ELNS0_20block_scan_algorithmE0ELj4294967295EEENS1_25partition_config_selectorILNS1_17partition_subalgoE3EjNS0_10empty_typeEbEEZZNS1_14partition_implILS8_3ELb0ES6_jNS0_17counting_iteratorIjlEEPS9_SE_NS0_5tupleIJPjSE_EEENSF_IJSE_SE_EEES9_SG_JZNS1_25segmented_radix_sort_implINS0_14default_configELb0EPKiPiPKlPlN2at6native12_GLOBAL__N_18offset_tEEE10hipError_tPvRmT1_PNSt15iterator_traitsISY_E10value_typeET2_T3_PNSZ_IS14_E10value_typeET4_jRbjT5_S1A_jjP12ihipStream_tbEUljE_EEESV_SW_SX_S14_S18_S1A_T6_T7_T9_mT8_S1C_bDpT10_ENKUlT_T0_E_clISt17integral_constantIbLb0EES1O_IbLb1EEEEDaS1K_S1L_EUlS1K_E_NS1_11comp_targetILNS1_3genE8ELNS1_11target_archE1030ELNS1_3gpuE2ELNS1_3repE0EEENS1_30default_config_static_selectorELNS0_4arch9wavefront6targetE0EEEvSY_.private_seg_size, 0
	.set _ZN7rocprim17ROCPRIM_400000_NS6detail17trampoline_kernelINS0_13select_configILj256ELj13ELNS0_17block_load_methodE3ELS4_3ELS4_3ELNS0_20block_scan_algorithmE0ELj4294967295EEENS1_25partition_config_selectorILNS1_17partition_subalgoE3EjNS0_10empty_typeEbEEZZNS1_14partition_implILS8_3ELb0ES6_jNS0_17counting_iteratorIjlEEPS9_SE_NS0_5tupleIJPjSE_EEENSF_IJSE_SE_EEES9_SG_JZNS1_25segmented_radix_sort_implINS0_14default_configELb0EPKiPiPKlPlN2at6native12_GLOBAL__N_18offset_tEEE10hipError_tPvRmT1_PNSt15iterator_traitsISY_E10value_typeET2_T3_PNSZ_IS14_E10value_typeET4_jRbjT5_S1A_jjP12ihipStream_tbEUljE_EEESV_SW_SX_S14_S18_S1A_T6_T7_T9_mT8_S1C_bDpT10_ENKUlT_T0_E_clISt17integral_constantIbLb0EES1O_IbLb1EEEEDaS1K_S1L_EUlS1K_E_NS1_11comp_targetILNS1_3genE8ELNS1_11target_archE1030ELNS1_3gpuE2ELNS1_3repE0EEENS1_30default_config_static_selectorELNS0_4arch9wavefront6targetE0EEEvSY_.uses_vcc, 0
	.set _ZN7rocprim17ROCPRIM_400000_NS6detail17trampoline_kernelINS0_13select_configILj256ELj13ELNS0_17block_load_methodE3ELS4_3ELS4_3ELNS0_20block_scan_algorithmE0ELj4294967295EEENS1_25partition_config_selectorILNS1_17partition_subalgoE3EjNS0_10empty_typeEbEEZZNS1_14partition_implILS8_3ELb0ES6_jNS0_17counting_iteratorIjlEEPS9_SE_NS0_5tupleIJPjSE_EEENSF_IJSE_SE_EEES9_SG_JZNS1_25segmented_radix_sort_implINS0_14default_configELb0EPKiPiPKlPlN2at6native12_GLOBAL__N_18offset_tEEE10hipError_tPvRmT1_PNSt15iterator_traitsISY_E10value_typeET2_T3_PNSZ_IS14_E10value_typeET4_jRbjT5_S1A_jjP12ihipStream_tbEUljE_EEESV_SW_SX_S14_S18_S1A_T6_T7_T9_mT8_S1C_bDpT10_ENKUlT_T0_E_clISt17integral_constantIbLb0EES1O_IbLb1EEEEDaS1K_S1L_EUlS1K_E_NS1_11comp_targetILNS1_3genE8ELNS1_11target_archE1030ELNS1_3gpuE2ELNS1_3repE0EEENS1_30default_config_static_selectorELNS0_4arch9wavefront6targetE0EEEvSY_.uses_flat_scratch, 0
	.set _ZN7rocprim17ROCPRIM_400000_NS6detail17trampoline_kernelINS0_13select_configILj256ELj13ELNS0_17block_load_methodE3ELS4_3ELS4_3ELNS0_20block_scan_algorithmE0ELj4294967295EEENS1_25partition_config_selectorILNS1_17partition_subalgoE3EjNS0_10empty_typeEbEEZZNS1_14partition_implILS8_3ELb0ES6_jNS0_17counting_iteratorIjlEEPS9_SE_NS0_5tupleIJPjSE_EEENSF_IJSE_SE_EEES9_SG_JZNS1_25segmented_radix_sort_implINS0_14default_configELb0EPKiPiPKlPlN2at6native12_GLOBAL__N_18offset_tEEE10hipError_tPvRmT1_PNSt15iterator_traitsISY_E10value_typeET2_T3_PNSZ_IS14_E10value_typeET4_jRbjT5_S1A_jjP12ihipStream_tbEUljE_EEESV_SW_SX_S14_S18_S1A_T6_T7_T9_mT8_S1C_bDpT10_ENKUlT_T0_E_clISt17integral_constantIbLb0EES1O_IbLb1EEEEDaS1K_S1L_EUlS1K_E_NS1_11comp_targetILNS1_3genE8ELNS1_11target_archE1030ELNS1_3gpuE2ELNS1_3repE0EEENS1_30default_config_static_selectorELNS0_4arch9wavefront6targetE0EEEvSY_.has_dyn_sized_stack, 0
	.set _ZN7rocprim17ROCPRIM_400000_NS6detail17trampoline_kernelINS0_13select_configILj256ELj13ELNS0_17block_load_methodE3ELS4_3ELS4_3ELNS0_20block_scan_algorithmE0ELj4294967295EEENS1_25partition_config_selectorILNS1_17partition_subalgoE3EjNS0_10empty_typeEbEEZZNS1_14partition_implILS8_3ELb0ES6_jNS0_17counting_iteratorIjlEEPS9_SE_NS0_5tupleIJPjSE_EEENSF_IJSE_SE_EEES9_SG_JZNS1_25segmented_radix_sort_implINS0_14default_configELb0EPKiPiPKlPlN2at6native12_GLOBAL__N_18offset_tEEE10hipError_tPvRmT1_PNSt15iterator_traitsISY_E10value_typeET2_T3_PNSZ_IS14_E10value_typeET4_jRbjT5_S1A_jjP12ihipStream_tbEUljE_EEESV_SW_SX_S14_S18_S1A_T6_T7_T9_mT8_S1C_bDpT10_ENKUlT_T0_E_clISt17integral_constantIbLb0EES1O_IbLb1EEEEDaS1K_S1L_EUlS1K_E_NS1_11comp_targetILNS1_3genE8ELNS1_11target_archE1030ELNS1_3gpuE2ELNS1_3repE0EEENS1_30default_config_static_selectorELNS0_4arch9wavefront6targetE0EEEvSY_.has_recursion, 0
	.set _ZN7rocprim17ROCPRIM_400000_NS6detail17trampoline_kernelINS0_13select_configILj256ELj13ELNS0_17block_load_methodE3ELS4_3ELS4_3ELNS0_20block_scan_algorithmE0ELj4294967295EEENS1_25partition_config_selectorILNS1_17partition_subalgoE3EjNS0_10empty_typeEbEEZZNS1_14partition_implILS8_3ELb0ES6_jNS0_17counting_iteratorIjlEEPS9_SE_NS0_5tupleIJPjSE_EEENSF_IJSE_SE_EEES9_SG_JZNS1_25segmented_radix_sort_implINS0_14default_configELb0EPKiPiPKlPlN2at6native12_GLOBAL__N_18offset_tEEE10hipError_tPvRmT1_PNSt15iterator_traitsISY_E10value_typeET2_T3_PNSZ_IS14_E10value_typeET4_jRbjT5_S1A_jjP12ihipStream_tbEUljE_EEESV_SW_SX_S14_S18_S1A_T6_T7_T9_mT8_S1C_bDpT10_ENKUlT_T0_E_clISt17integral_constantIbLb0EES1O_IbLb1EEEEDaS1K_S1L_EUlS1K_E_NS1_11comp_targetILNS1_3genE8ELNS1_11target_archE1030ELNS1_3gpuE2ELNS1_3repE0EEENS1_30default_config_static_selectorELNS0_4arch9wavefront6targetE0EEEvSY_.has_indirect_call, 0
	.section	.AMDGPU.csdata,"",@progbits
; Kernel info:
; codeLenInByte = 0
; TotalNumSgprs: 0
; NumVgprs: 0
; ScratchSize: 0
; MemoryBound: 0
; FloatMode: 240
; IeeeMode: 1
; LDSByteSize: 0 bytes/workgroup (compile time only)
; SGPRBlocks: 0
; VGPRBlocks: 0
; NumSGPRsForWavesPerEU: 1
; NumVGPRsForWavesPerEU: 1
; Occupancy: 16
; WaveLimiterHint : 0
; COMPUTE_PGM_RSRC2:SCRATCH_EN: 0
; COMPUTE_PGM_RSRC2:USER_SGPR: 2
; COMPUTE_PGM_RSRC2:TRAP_HANDLER: 0
; COMPUTE_PGM_RSRC2:TGID_X_EN: 1
; COMPUTE_PGM_RSRC2:TGID_Y_EN: 0
; COMPUTE_PGM_RSRC2:TGID_Z_EN: 0
; COMPUTE_PGM_RSRC2:TIDIG_COMP_CNT: 0
	.section	.text._ZN7rocprim17ROCPRIM_400000_NS6detail17trampoline_kernelINS0_14default_configENS1_36segmented_radix_sort_config_selectorIilEEZNS1_25segmented_radix_sort_implIS3_Lb0EPKiPiPKlPlN2at6native12_GLOBAL__N_18offset_tEEE10hipError_tPvRmT1_PNSt15iterator_traitsISK_E10value_typeET2_T3_PNSL_ISQ_E10value_typeET4_jRbjT5_SW_jjP12ihipStream_tbEUlT_E_NS1_11comp_targetILNS1_3genE0ELNS1_11target_archE4294967295ELNS1_3gpuE0ELNS1_3repE0EEENS1_30default_config_static_selectorELNS0_4arch9wavefront6targetE0EEEvSK_,"axG",@progbits,_ZN7rocprim17ROCPRIM_400000_NS6detail17trampoline_kernelINS0_14default_configENS1_36segmented_radix_sort_config_selectorIilEEZNS1_25segmented_radix_sort_implIS3_Lb0EPKiPiPKlPlN2at6native12_GLOBAL__N_18offset_tEEE10hipError_tPvRmT1_PNSt15iterator_traitsISK_E10value_typeET2_T3_PNSL_ISQ_E10value_typeET4_jRbjT5_SW_jjP12ihipStream_tbEUlT_E_NS1_11comp_targetILNS1_3genE0ELNS1_11target_archE4294967295ELNS1_3gpuE0ELNS1_3repE0EEENS1_30default_config_static_selectorELNS0_4arch9wavefront6targetE0EEEvSK_,comdat
	.globl	_ZN7rocprim17ROCPRIM_400000_NS6detail17trampoline_kernelINS0_14default_configENS1_36segmented_radix_sort_config_selectorIilEEZNS1_25segmented_radix_sort_implIS3_Lb0EPKiPiPKlPlN2at6native12_GLOBAL__N_18offset_tEEE10hipError_tPvRmT1_PNSt15iterator_traitsISK_E10value_typeET2_T3_PNSL_ISQ_E10value_typeET4_jRbjT5_SW_jjP12ihipStream_tbEUlT_E_NS1_11comp_targetILNS1_3genE0ELNS1_11target_archE4294967295ELNS1_3gpuE0ELNS1_3repE0EEENS1_30default_config_static_selectorELNS0_4arch9wavefront6targetE0EEEvSK_ ; -- Begin function _ZN7rocprim17ROCPRIM_400000_NS6detail17trampoline_kernelINS0_14default_configENS1_36segmented_radix_sort_config_selectorIilEEZNS1_25segmented_radix_sort_implIS3_Lb0EPKiPiPKlPlN2at6native12_GLOBAL__N_18offset_tEEE10hipError_tPvRmT1_PNSt15iterator_traitsISK_E10value_typeET2_T3_PNSL_ISQ_E10value_typeET4_jRbjT5_SW_jjP12ihipStream_tbEUlT_E_NS1_11comp_targetILNS1_3genE0ELNS1_11target_archE4294967295ELNS1_3gpuE0ELNS1_3repE0EEENS1_30default_config_static_selectorELNS0_4arch9wavefront6targetE0EEEvSK_
	.p2align	8
	.type	_ZN7rocprim17ROCPRIM_400000_NS6detail17trampoline_kernelINS0_14default_configENS1_36segmented_radix_sort_config_selectorIilEEZNS1_25segmented_radix_sort_implIS3_Lb0EPKiPiPKlPlN2at6native12_GLOBAL__N_18offset_tEEE10hipError_tPvRmT1_PNSt15iterator_traitsISK_E10value_typeET2_T3_PNSL_ISQ_E10value_typeET4_jRbjT5_SW_jjP12ihipStream_tbEUlT_E_NS1_11comp_targetILNS1_3genE0ELNS1_11target_archE4294967295ELNS1_3gpuE0ELNS1_3repE0EEENS1_30default_config_static_selectorELNS0_4arch9wavefront6targetE0EEEvSK_,@function
_ZN7rocprim17ROCPRIM_400000_NS6detail17trampoline_kernelINS0_14default_configENS1_36segmented_radix_sort_config_selectorIilEEZNS1_25segmented_radix_sort_implIS3_Lb0EPKiPiPKlPlN2at6native12_GLOBAL__N_18offset_tEEE10hipError_tPvRmT1_PNSt15iterator_traitsISK_E10value_typeET2_T3_PNSL_ISQ_E10value_typeET4_jRbjT5_SW_jjP12ihipStream_tbEUlT_E_NS1_11comp_targetILNS1_3genE0ELNS1_11target_archE4294967295ELNS1_3gpuE0ELNS1_3repE0EEENS1_30default_config_static_selectorELNS0_4arch9wavefront6targetE0EEEvSK_: ; @_ZN7rocprim17ROCPRIM_400000_NS6detail17trampoline_kernelINS0_14default_configENS1_36segmented_radix_sort_config_selectorIilEEZNS1_25segmented_radix_sort_implIS3_Lb0EPKiPiPKlPlN2at6native12_GLOBAL__N_18offset_tEEE10hipError_tPvRmT1_PNSt15iterator_traitsISK_E10value_typeET2_T3_PNSL_ISQ_E10value_typeET4_jRbjT5_SW_jjP12ihipStream_tbEUlT_E_NS1_11comp_targetILNS1_3genE0ELNS1_11target_archE4294967295ELNS1_3gpuE0ELNS1_3repE0EEENS1_30default_config_static_selectorELNS0_4arch9wavefront6targetE0EEEvSK_
; %bb.0:
	.section	.rodata,"a",@progbits
	.p2align	6, 0x0
	.amdhsa_kernel _ZN7rocprim17ROCPRIM_400000_NS6detail17trampoline_kernelINS0_14default_configENS1_36segmented_radix_sort_config_selectorIilEEZNS1_25segmented_radix_sort_implIS3_Lb0EPKiPiPKlPlN2at6native12_GLOBAL__N_18offset_tEEE10hipError_tPvRmT1_PNSt15iterator_traitsISK_E10value_typeET2_T3_PNSL_ISQ_E10value_typeET4_jRbjT5_SW_jjP12ihipStream_tbEUlT_E_NS1_11comp_targetILNS1_3genE0ELNS1_11target_archE4294967295ELNS1_3gpuE0ELNS1_3repE0EEENS1_30default_config_static_selectorELNS0_4arch9wavefront6targetE0EEEvSK_
		.amdhsa_group_segment_fixed_size 0
		.amdhsa_private_segment_fixed_size 0
		.amdhsa_kernarg_size 96
		.amdhsa_user_sgpr_count 2
		.amdhsa_user_sgpr_dispatch_ptr 0
		.amdhsa_user_sgpr_queue_ptr 0
		.amdhsa_user_sgpr_kernarg_segment_ptr 1
		.amdhsa_user_sgpr_dispatch_id 0
		.amdhsa_user_sgpr_private_segment_size 0
		.amdhsa_wavefront_size32 1
		.amdhsa_uses_dynamic_stack 0
		.amdhsa_enable_private_segment 0
		.amdhsa_system_sgpr_workgroup_id_x 1
		.amdhsa_system_sgpr_workgroup_id_y 0
		.amdhsa_system_sgpr_workgroup_id_z 0
		.amdhsa_system_sgpr_workgroup_info 0
		.amdhsa_system_vgpr_workitem_id 0
		.amdhsa_next_free_vgpr 1
		.amdhsa_next_free_sgpr 1
		.amdhsa_reserve_vcc 0
		.amdhsa_float_round_mode_32 0
		.amdhsa_float_round_mode_16_64 0
		.amdhsa_float_denorm_mode_32 3
		.amdhsa_float_denorm_mode_16_64 3
		.amdhsa_fp16_overflow 0
		.amdhsa_workgroup_processor_mode 1
		.amdhsa_memory_ordered 1
		.amdhsa_forward_progress 1
		.amdhsa_inst_pref_size 0
		.amdhsa_round_robin_scheduling 0
		.amdhsa_exception_fp_ieee_invalid_op 0
		.amdhsa_exception_fp_denorm_src 0
		.amdhsa_exception_fp_ieee_div_zero 0
		.amdhsa_exception_fp_ieee_overflow 0
		.amdhsa_exception_fp_ieee_underflow 0
		.amdhsa_exception_fp_ieee_inexact 0
		.amdhsa_exception_int_div_zero 0
	.end_amdhsa_kernel
	.section	.text._ZN7rocprim17ROCPRIM_400000_NS6detail17trampoline_kernelINS0_14default_configENS1_36segmented_radix_sort_config_selectorIilEEZNS1_25segmented_radix_sort_implIS3_Lb0EPKiPiPKlPlN2at6native12_GLOBAL__N_18offset_tEEE10hipError_tPvRmT1_PNSt15iterator_traitsISK_E10value_typeET2_T3_PNSL_ISQ_E10value_typeET4_jRbjT5_SW_jjP12ihipStream_tbEUlT_E_NS1_11comp_targetILNS1_3genE0ELNS1_11target_archE4294967295ELNS1_3gpuE0ELNS1_3repE0EEENS1_30default_config_static_selectorELNS0_4arch9wavefront6targetE0EEEvSK_,"axG",@progbits,_ZN7rocprim17ROCPRIM_400000_NS6detail17trampoline_kernelINS0_14default_configENS1_36segmented_radix_sort_config_selectorIilEEZNS1_25segmented_radix_sort_implIS3_Lb0EPKiPiPKlPlN2at6native12_GLOBAL__N_18offset_tEEE10hipError_tPvRmT1_PNSt15iterator_traitsISK_E10value_typeET2_T3_PNSL_ISQ_E10value_typeET4_jRbjT5_SW_jjP12ihipStream_tbEUlT_E_NS1_11comp_targetILNS1_3genE0ELNS1_11target_archE4294967295ELNS1_3gpuE0ELNS1_3repE0EEENS1_30default_config_static_selectorELNS0_4arch9wavefront6targetE0EEEvSK_,comdat
.Lfunc_end600:
	.size	_ZN7rocprim17ROCPRIM_400000_NS6detail17trampoline_kernelINS0_14default_configENS1_36segmented_radix_sort_config_selectorIilEEZNS1_25segmented_radix_sort_implIS3_Lb0EPKiPiPKlPlN2at6native12_GLOBAL__N_18offset_tEEE10hipError_tPvRmT1_PNSt15iterator_traitsISK_E10value_typeET2_T3_PNSL_ISQ_E10value_typeET4_jRbjT5_SW_jjP12ihipStream_tbEUlT_E_NS1_11comp_targetILNS1_3genE0ELNS1_11target_archE4294967295ELNS1_3gpuE0ELNS1_3repE0EEENS1_30default_config_static_selectorELNS0_4arch9wavefront6targetE0EEEvSK_, .Lfunc_end600-_ZN7rocprim17ROCPRIM_400000_NS6detail17trampoline_kernelINS0_14default_configENS1_36segmented_radix_sort_config_selectorIilEEZNS1_25segmented_radix_sort_implIS3_Lb0EPKiPiPKlPlN2at6native12_GLOBAL__N_18offset_tEEE10hipError_tPvRmT1_PNSt15iterator_traitsISK_E10value_typeET2_T3_PNSL_ISQ_E10value_typeET4_jRbjT5_SW_jjP12ihipStream_tbEUlT_E_NS1_11comp_targetILNS1_3genE0ELNS1_11target_archE4294967295ELNS1_3gpuE0ELNS1_3repE0EEENS1_30default_config_static_selectorELNS0_4arch9wavefront6targetE0EEEvSK_
                                        ; -- End function
	.set _ZN7rocprim17ROCPRIM_400000_NS6detail17trampoline_kernelINS0_14default_configENS1_36segmented_radix_sort_config_selectorIilEEZNS1_25segmented_radix_sort_implIS3_Lb0EPKiPiPKlPlN2at6native12_GLOBAL__N_18offset_tEEE10hipError_tPvRmT1_PNSt15iterator_traitsISK_E10value_typeET2_T3_PNSL_ISQ_E10value_typeET4_jRbjT5_SW_jjP12ihipStream_tbEUlT_E_NS1_11comp_targetILNS1_3genE0ELNS1_11target_archE4294967295ELNS1_3gpuE0ELNS1_3repE0EEENS1_30default_config_static_selectorELNS0_4arch9wavefront6targetE0EEEvSK_.num_vgpr, 0
	.set _ZN7rocprim17ROCPRIM_400000_NS6detail17trampoline_kernelINS0_14default_configENS1_36segmented_radix_sort_config_selectorIilEEZNS1_25segmented_radix_sort_implIS3_Lb0EPKiPiPKlPlN2at6native12_GLOBAL__N_18offset_tEEE10hipError_tPvRmT1_PNSt15iterator_traitsISK_E10value_typeET2_T3_PNSL_ISQ_E10value_typeET4_jRbjT5_SW_jjP12ihipStream_tbEUlT_E_NS1_11comp_targetILNS1_3genE0ELNS1_11target_archE4294967295ELNS1_3gpuE0ELNS1_3repE0EEENS1_30default_config_static_selectorELNS0_4arch9wavefront6targetE0EEEvSK_.num_agpr, 0
	.set _ZN7rocprim17ROCPRIM_400000_NS6detail17trampoline_kernelINS0_14default_configENS1_36segmented_radix_sort_config_selectorIilEEZNS1_25segmented_radix_sort_implIS3_Lb0EPKiPiPKlPlN2at6native12_GLOBAL__N_18offset_tEEE10hipError_tPvRmT1_PNSt15iterator_traitsISK_E10value_typeET2_T3_PNSL_ISQ_E10value_typeET4_jRbjT5_SW_jjP12ihipStream_tbEUlT_E_NS1_11comp_targetILNS1_3genE0ELNS1_11target_archE4294967295ELNS1_3gpuE0ELNS1_3repE0EEENS1_30default_config_static_selectorELNS0_4arch9wavefront6targetE0EEEvSK_.numbered_sgpr, 0
	.set _ZN7rocprim17ROCPRIM_400000_NS6detail17trampoline_kernelINS0_14default_configENS1_36segmented_radix_sort_config_selectorIilEEZNS1_25segmented_radix_sort_implIS3_Lb0EPKiPiPKlPlN2at6native12_GLOBAL__N_18offset_tEEE10hipError_tPvRmT1_PNSt15iterator_traitsISK_E10value_typeET2_T3_PNSL_ISQ_E10value_typeET4_jRbjT5_SW_jjP12ihipStream_tbEUlT_E_NS1_11comp_targetILNS1_3genE0ELNS1_11target_archE4294967295ELNS1_3gpuE0ELNS1_3repE0EEENS1_30default_config_static_selectorELNS0_4arch9wavefront6targetE0EEEvSK_.num_named_barrier, 0
	.set _ZN7rocprim17ROCPRIM_400000_NS6detail17trampoline_kernelINS0_14default_configENS1_36segmented_radix_sort_config_selectorIilEEZNS1_25segmented_radix_sort_implIS3_Lb0EPKiPiPKlPlN2at6native12_GLOBAL__N_18offset_tEEE10hipError_tPvRmT1_PNSt15iterator_traitsISK_E10value_typeET2_T3_PNSL_ISQ_E10value_typeET4_jRbjT5_SW_jjP12ihipStream_tbEUlT_E_NS1_11comp_targetILNS1_3genE0ELNS1_11target_archE4294967295ELNS1_3gpuE0ELNS1_3repE0EEENS1_30default_config_static_selectorELNS0_4arch9wavefront6targetE0EEEvSK_.private_seg_size, 0
	.set _ZN7rocprim17ROCPRIM_400000_NS6detail17trampoline_kernelINS0_14default_configENS1_36segmented_radix_sort_config_selectorIilEEZNS1_25segmented_radix_sort_implIS3_Lb0EPKiPiPKlPlN2at6native12_GLOBAL__N_18offset_tEEE10hipError_tPvRmT1_PNSt15iterator_traitsISK_E10value_typeET2_T3_PNSL_ISQ_E10value_typeET4_jRbjT5_SW_jjP12ihipStream_tbEUlT_E_NS1_11comp_targetILNS1_3genE0ELNS1_11target_archE4294967295ELNS1_3gpuE0ELNS1_3repE0EEENS1_30default_config_static_selectorELNS0_4arch9wavefront6targetE0EEEvSK_.uses_vcc, 0
	.set _ZN7rocprim17ROCPRIM_400000_NS6detail17trampoline_kernelINS0_14default_configENS1_36segmented_radix_sort_config_selectorIilEEZNS1_25segmented_radix_sort_implIS3_Lb0EPKiPiPKlPlN2at6native12_GLOBAL__N_18offset_tEEE10hipError_tPvRmT1_PNSt15iterator_traitsISK_E10value_typeET2_T3_PNSL_ISQ_E10value_typeET4_jRbjT5_SW_jjP12ihipStream_tbEUlT_E_NS1_11comp_targetILNS1_3genE0ELNS1_11target_archE4294967295ELNS1_3gpuE0ELNS1_3repE0EEENS1_30default_config_static_selectorELNS0_4arch9wavefront6targetE0EEEvSK_.uses_flat_scratch, 0
	.set _ZN7rocprim17ROCPRIM_400000_NS6detail17trampoline_kernelINS0_14default_configENS1_36segmented_radix_sort_config_selectorIilEEZNS1_25segmented_radix_sort_implIS3_Lb0EPKiPiPKlPlN2at6native12_GLOBAL__N_18offset_tEEE10hipError_tPvRmT1_PNSt15iterator_traitsISK_E10value_typeET2_T3_PNSL_ISQ_E10value_typeET4_jRbjT5_SW_jjP12ihipStream_tbEUlT_E_NS1_11comp_targetILNS1_3genE0ELNS1_11target_archE4294967295ELNS1_3gpuE0ELNS1_3repE0EEENS1_30default_config_static_selectorELNS0_4arch9wavefront6targetE0EEEvSK_.has_dyn_sized_stack, 0
	.set _ZN7rocprim17ROCPRIM_400000_NS6detail17trampoline_kernelINS0_14default_configENS1_36segmented_radix_sort_config_selectorIilEEZNS1_25segmented_radix_sort_implIS3_Lb0EPKiPiPKlPlN2at6native12_GLOBAL__N_18offset_tEEE10hipError_tPvRmT1_PNSt15iterator_traitsISK_E10value_typeET2_T3_PNSL_ISQ_E10value_typeET4_jRbjT5_SW_jjP12ihipStream_tbEUlT_E_NS1_11comp_targetILNS1_3genE0ELNS1_11target_archE4294967295ELNS1_3gpuE0ELNS1_3repE0EEENS1_30default_config_static_selectorELNS0_4arch9wavefront6targetE0EEEvSK_.has_recursion, 0
	.set _ZN7rocprim17ROCPRIM_400000_NS6detail17trampoline_kernelINS0_14default_configENS1_36segmented_radix_sort_config_selectorIilEEZNS1_25segmented_radix_sort_implIS3_Lb0EPKiPiPKlPlN2at6native12_GLOBAL__N_18offset_tEEE10hipError_tPvRmT1_PNSt15iterator_traitsISK_E10value_typeET2_T3_PNSL_ISQ_E10value_typeET4_jRbjT5_SW_jjP12ihipStream_tbEUlT_E_NS1_11comp_targetILNS1_3genE0ELNS1_11target_archE4294967295ELNS1_3gpuE0ELNS1_3repE0EEENS1_30default_config_static_selectorELNS0_4arch9wavefront6targetE0EEEvSK_.has_indirect_call, 0
	.section	.AMDGPU.csdata,"",@progbits
; Kernel info:
; codeLenInByte = 0
; TotalNumSgprs: 0
; NumVgprs: 0
; ScratchSize: 0
; MemoryBound: 0
; FloatMode: 240
; IeeeMode: 1
; LDSByteSize: 0 bytes/workgroup (compile time only)
; SGPRBlocks: 0
; VGPRBlocks: 0
; NumSGPRsForWavesPerEU: 1
; NumVGPRsForWavesPerEU: 1
; Occupancy: 16
; WaveLimiterHint : 0
; COMPUTE_PGM_RSRC2:SCRATCH_EN: 0
; COMPUTE_PGM_RSRC2:USER_SGPR: 2
; COMPUTE_PGM_RSRC2:TRAP_HANDLER: 0
; COMPUTE_PGM_RSRC2:TGID_X_EN: 1
; COMPUTE_PGM_RSRC2:TGID_Y_EN: 0
; COMPUTE_PGM_RSRC2:TGID_Z_EN: 0
; COMPUTE_PGM_RSRC2:TIDIG_COMP_CNT: 0
	.section	.text._ZN7rocprim17ROCPRIM_400000_NS6detail17trampoline_kernelINS0_14default_configENS1_36segmented_radix_sort_config_selectorIilEEZNS1_25segmented_radix_sort_implIS3_Lb0EPKiPiPKlPlN2at6native12_GLOBAL__N_18offset_tEEE10hipError_tPvRmT1_PNSt15iterator_traitsISK_E10value_typeET2_T3_PNSL_ISQ_E10value_typeET4_jRbjT5_SW_jjP12ihipStream_tbEUlT_E_NS1_11comp_targetILNS1_3genE5ELNS1_11target_archE942ELNS1_3gpuE9ELNS1_3repE0EEENS1_30default_config_static_selectorELNS0_4arch9wavefront6targetE0EEEvSK_,"axG",@progbits,_ZN7rocprim17ROCPRIM_400000_NS6detail17trampoline_kernelINS0_14default_configENS1_36segmented_radix_sort_config_selectorIilEEZNS1_25segmented_radix_sort_implIS3_Lb0EPKiPiPKlPlN2at6native12_GLOBAL__N_18offset_tEEE10hipError_tPvRmT1_PNSt15iterator_traitsISK_E10value_typeET2_T3_PNSL_ISQ_E10value_typeET4_jRbjT5_SW_jjP12ihipStream_tbEUlT_E_NS1_11comp_targetILNS1_3genE5ELNS1_11target_archE942ELNS1_3gpuE9ELNS1_3repE0EEENS1_30default_config_static_selectorELNS0_4arch9wavefront6targetE0EEEvSK_,comdat
	.globl	_ZN7rocprim17ROCPRIM_400000_NS6detail17trampoline_kernelINS0_14default_configENS1_36segmented_radix_sort_config_selectorIilEEZNS1_25segmented_radix_sort_implIS3_Lb0EPKiPiPKlPlN2at6native12_GLOBAL__N_18offset_tEEE10hipError_tPvRmT1_PNSt15iterator_traitsISK_E10value_typeET2_T3_PNSL_ISQ_E10value_typeET4_jRbjT5_SW_jjP12ihipStream_tbEUlT_E_NS1_11comp_targetILNS1_3genE5ELNS1_11target_archE942ELNS1_3gpuE9ELNS1_3repE0EEENS1_30default_config_static_selectorELNS0_4arch9wavefront6targetE0EEEvSK_ ; -- Begin function _ZN7rocprim17ROCPRIM_400000_NS6detail17trampoline_kernelINS0_14default_configENS1_36segmented_radix_sort_config_selectorIilEEZNS1_25segmented_radix_sort_implIS3_Lb0EPKiPiPKlPlN2at6native12_GLOBAL__N_18offset_tEEE10hipError_tPvRmT1_PNSt15iterator_traitsISK_E10value_typeET2_T3_PNSL_ISQ_E10value_typeET4_jRbjT5_SW_jjP12ihipStream_tbEUlT_E_NS1_11comp_targetILNS1_3genE5ELNS1_11target_archE942ELNS1_3gpuE9ELNS1_3repE0EEENS1_30default_config_static_selectorELNS0_4arch9wavefront6targetE0EEEvSK_
	.p2align	8
	.type	_ZN7rocprim17ROCPRIM_400000_NS6detail17trampoline_kernelINS0_14default_configENS1_36segmented_radix_sort_config_selectorIilEEZNS1_25segmented_radix_sort_implIS3_Lb0EPKiPiPKlPlN2at6native12_GLOBAL__N_18offset_tEEE10hipError_tPvRmT1_PNSt15iterator_traitsISK_E10value_typeET2_T3_PNSL_ISQ_E10value_typeET4_jRbjT5_SW_jjP12ihipStream_tbEUlT_E_NS1_11comp_targetILNS1_3genE5ELNS1_11target_archE942ELNS1_3gpuE9ELNS1_3repE0EEENS1_30default_config_static_selectorELNS0_4arch9wavefront6targetE0EEEvSK_,@function
_ZN7rocprim17ROCPRIM_400000_NS6detail17trampoline_kernelINS0_14default_configENS1_36segmented_radix_sort_config_selectorIilEEZNS1_25segmented_radix_sort_implIS3_Lb0EPKiPiPKlPlN2at6native12_GLOBAL__N_18offset_tEEE10hipError_tPvRmT1_PNSt15iterator_traitsISK_E10value_typeET2_T3_PNSL_ISQ_E10value_typeET4_jRbjT5_SW_jjP12ihipStream_tbEUlT_E_NS1_11comp_targetILNS1_3genE5ELNS1_11target_archE942ELNS1_3gpuE9ELNS1_3repE0EEENS1_30default_config_static_selectorELNS0_4arch9wavefront6targetE0EEEvSK_: ; @_ZN7rocprim17ROCPRIM_400000_NS6detail17trampoline_kernelINS0_14default_configENS1_36segmented_radix_sort_config_selectorIilEEZNS1_25segmented_radix_sort_implIS3_Lb0EPKiPiPKlPlN2at6native12_GLOBAL__N_18offset_tEEE10hipError_tPvRmT1_PNSt15iterator_traitsISK_E10value_typeET2_T3_PNSL_ISQ_E10value_typeET4_jRbjT5_SW_jjP12ihipStream_tbEUlT_E_NS1_11comp_targetILNS1_3genE5ELNS1_11target_archE942ELNS1_3gpuE9ELNS1_3repE0EEENS1_30default_config_static_selectorELNS0_4arch9wavefront6targetE0EEEvSK_
; %bb.0:
	.section	.rodata,"a",@progbits
	.p2align	6, 0x0
	.amdhsa_kernel _ZN7rocprim17ROCPRIM_400000_NS6detail17trampoline_kernelINS0_14default_configENS1_36segmented_radix_sort_config_selectorIilEEZNS1_25segmented_radix_sort_implIS3_Lb0EPKiPiPKlPlN2at6native12_GLOBAL__N_18offset_tEEE10hipError_tPvRmT1_PNSt15iterator_traitsISK_E10value_typeET2_T3_PNSL_ISQ_E10value_typeET4_jRbjT5_SW_jjP12ihipStream_tbEUlT_E_NS1_11comp_targetILNS1_3genE5ELNS1_11target_archE942ELNS1_3gpuE9ELNS1_3repE0EEENS1_30default_config_static_selectorELNS0_4arch9wavefront6targetE0EEEvSK_
		.amdhsa_group_segment_fixed_size 0
		.amdhsa_private_segment_fixed_size 0
		.amdhsa_kernarg_size 96
		.amdhsa_user_sgpr_count 2
		.amdhsa_user_sgpr_dispatch_ptr 0
		.amdhsa_user_sgpr_queue_ptr 0
		.amdhsa_user_sgpr_kernarg_segment_ptr 1
		.amdhsa_user_sgpr_dispatch_id 0
		.amdhsa_user_sgpr_private_segment_size 0
		.amdhsa_wavefront_size32 1
		.amdhsa_uses_dynamic_stack 0
		.amdhsa_enable_private_segment 0
		.amdhsa_system_sgpr_workgroup_id_x 1
		.amdhsa_system_sgpr_workgroup_id_y 0
		.amdhsa_system_sgpr_workgroup_id_z 0
		.amdhsa_system_sgpr_workgroup_info 0
		.amdhsa_system_vgpr_workitem_id 0
		.amdhsa_next_free_vgpr 1
		.amdhsa_next_free_sgpr 1
		.amdhsa_reserve_vcc 0
		.amdhsa_float_round_mode_32 0
		.amdhsa_float_round_mode_16_64 0
		.amdhsa_float_denorm_mode_32 3
		.amdhsa_float_denorm_mode_16_64 3
		.amdhsa_fp16_overflow 0
		.amdhsa_workgroup_processor_mode 1
		.amdhsa_memory_ordered 1
		.amdhsa_forward_progress 1
		.amdhsa_inst_pref_size 0
		.amdhsa_round_robin_scheduling 0
		.amdhsa_exception_fp_ieee_invalid_op 0
		.amdhsa_exception_fp_denorm_src 0
		.amdhsa_exception_fp_ieee_div_zero 0
		.amdhsa_exception_fp_ieee_overflow 0
		.amdhsa_exception_fp_ieee_underflow 0
		.amdhsa_exception_fp_ieee_inexact 0
		.amdhsa_exception_int_div_zero 0
	.end_amdhsa_kernel
	.section	.text._ZN7rocprim17ROCPRIM_400000_NS6detail17trampoline_kernelINS0_14default_configENS1_36segmented_radix_sort_config_selectorIilEEZNS1_25segmented_radix_sort_implIS3_Lb0EPKiPiPKlPlN2at6native12_GLOBAL__N_18offset_tEEE10hipError_tPvRmT1_PNSt15iterator_traitsISK_E10value_typeET2_T3_PNSL_ISQ_E10value_typeET4_jRbjT5_SW_jjP12ihipStream_tbEUlT_E_NS1_11comp_targetILNS1_3genE5ELNS1_11target_archE942ELNS1_3gpuE9ELNS1_3repE0EEENS1_30default_config_static_selectorELNS0_4arch9wavefront6targetE0EEEvSK_,"axG",@progbits,_ZN7rocprim17ROCPRIM_400000_NS6detail17trampoline_kernelINS0_14default_configENS1_36segmented_radix_sort_config_selectorIilEEZNS1_25segmented_radix_sort_implIS3_Lb0EPKiPiPKlPlN2at6native12_GLOBAL__N_18offset_tEEE10hipError_tPvRmT1_PNSt15iterator_traitsISK_E10value_typeET2_T3_PNSL_ISQ_E10value_typeET4_jRbjT5_SW_jjP12ihipStream_tbEUlT_E_NS1_11comp_targetILNS1_3genE5ELNS1_11target_archE942ELNS1_3gpuE9ELNS1_3repE0EEENS1_30default_config_static_selectorELNS0_4arch9wavefront6targetE0EEEvSK_,comdat
.Lfunc_end601:
	.size	_ZN7rocprim17ROCPRIM_400000_NS6detail17trampoline_kernelINS0_14default_configENS1_36segmented_radix_sort_config_selectorIilEEZNS1_25segmented_radix_sort_implIS3_Lb0EPKiPiPKlPlN2at6native12_GLOBAL__N_18offset_tEEE10hipError_tPvRmT1_PNSt15iterator_traitsISK_E10value_typeET2_T3_PNSL_ISQ_E10value_typeET4_jRbjT5_SW_jjP12ihipStream_tbEUlT_E_NS1_11comp_targetILNS1_3genE5ELNS1_11target_archE942ELNS1_3gpuE9ELNS1_3repE0EEENS1_30default_config_static_selectorELNS0_4arch9wavefront6targetE0EEEvSK_, .Lfunc_end601-_ZN7rocprim17ROCPRIM_400000_NS6detail17trampoline_kernelINS0_14default_configENS1_36segmented_radix_sort_config_selectorIilEEZNS1_25segmented_radix_sort_implIS3_Lb0EPKiPiPKlPlN2at6native12_GLOBAL__N_18offset_tEEE10hipError_tPvRmT1_PNSt15iterator_traitsISK_E10value_typeET2_T3_PNSL_ISQ_E10value_typeET4_jRbjT5_SW_jjP12ihipStream_tbEUlT_E_NS1_11comp_targetILNS1_3genE5ELNS1_11target_archE942ELNS1_3gpuE9ELNS1_3repE0EEENS1_30default_config_static_selectorELNS0_4arch9wavefront6targetE0EEEvSK_
                                        ; -- End function
	.set _ZN7rocprim17ROCPRIM_400000_NS6detail17trampoline_kernelINS0_14default_configENS1_36segmented_radix_sort_config_selectorIilEEZNS1_25segmented_radix_sort_implIS3_Lb0EPKiPiPKlPlN2at6native12_GLOBAL__N_18offset_tEEE10hipError_tPvRmT1_PNSt15iterator_traitsISK_E10value_typeET2_T3_PNSL_ISQ_E10value_typeET4_jRbjT5_SW_jjP12ihipStream_tbEUlT_E_NS1_11comp_targetILNS1_3genE5ELNS1_11target_archE942ELNS1_3gpuE9ELNS1_3repE0EEENS1_30default_config_static_selectorELNS0_4arch9wavefront6targetE0EEEvSK_.num_vgpr, 0
	.set _ZN7rocprim17ROCPRIM_400000_NS6detail17trampoline_kernelINS0_14default_configENS1_36segmented_radix_sort_config_selectorIilEEZNS1_25segmented_radix_sort_implIS3_Lb0EPKiPiPKlPlN2at6native12_GLOBAL__N_18offset_tEEE10hipError_tPvRmT1_PNSt15iterator_traitsISK_E10value_typeET2_T3_PNSL_ISQ_E10value_typeET4_jRbjT5_SW_jjP12ihipStream_tbEUlT_E_NS1_11comp_targetILNS1_3genE5ELNS1_11target_archE942ELNS1_3gpuE9ELNS1_3repE0EEENS1_30default_config_static_selectorELNS0_4arch9wavefront6targetE0EEEvSK_.num_agpr, 0
	.set _ZN7rocprim17ROCPRIM_400000_NS6detail17trampoline_kernelINS0_14default_configENS1_36segmented_radix_sort_config_selectorIilEEZNS1_25segmented_radix_sort_implIS3_Lb0EPKiPiPKlPlN2at6native12_GLOBAL__N_18offset_tEEE10hipError_tPvRmT1_PNSt15iterator_traitsISK_E10value_typeET2_T3_PNSL_ISQ_E10value_typeET4_jRbjT5_SW_jjP12ihipStream_tbEUlT_E_NS1_11comp_targetILNS1_3genE5ELNS1_11target_archE942ELNS1_3gpuE9ELNS1_3repE0EEENS1_30default_config_static_selectorELNS0_4arch9wavefront6targetE0EEEvSK_.numbered_sgpr, 0
	.set _ZN7rocprim17ROCPRIM_400000_NS6detail17trampoline_kernelINS0_14default_configENS1_36segmented_radix_sort_config_selectorIilEEZNS1_25segmented_radix_sort_implIS3_Lb0EPKiPiPKlPlN2at6native12_GLOBAL__N_18offset_tEEE10hipError_tPvRmT1_PNSt15iterator_traitsISK_E10value_typeET2_T3_PNSL_ISQ_E10value_typeET4_jRbjT5_SW_jjP12ihipStream_tbEUlT_E_NS1_11comp_targetILNS1_3genE5ELNS1_11target_archE942ELNS1_3gpuE9ELNS1_3repE0EEENS1_30default_config_static_selectorELNS0_4arch9wavefront6targetE0EEEvSK_.num_named_barrier, 0
	.set _ZN7rocprim17ROCPRIM_400000_NS6detail17trampoline_kernelINS0_14default_configENS1_36segmented_radix_sort_config_selectorIilEEZNS1_25segmented_radix_sort_implIS3_Lb0EPKiPiPKlPlN2at6native12_GLOBAL__N_18offset_tEEE10hipError_tPvRmT1_PNSt15iterator_traitsISK_E10value_typeET2_T3_PNSL_ISQ_E10value_typeET4_jRbjT5_SW_jjP12ihipStream_tbEUlT_E_NS1_11comp_targetILNS1_3genE5ELNS1_11target_archE942ELNS1_3gpuE9ELNS1_3repE0EEENS1_30default_config_static_selectorELNS0_4arch9wavefront6targetE0EEEvSK_.private_seg_size, 0
	.set _ZN7rocprim17ROCPRIM_400000_NS6detail17trampoline_kernelINS0_14default_configENS1_36segmented_radix_sort_config_selectorIilEEZNS1_25segmented_radix_sort_implIS3_Lb0EPKiPiPKlPlN2at6native12_GLOBAL__N_18offset_tEEE10hipError_tPvRmT1_PNSt15iterator_traitsISK_E10value_typeET2_T3_PNSL_ISQ_E10value_typeET4_jRbjT5_SW_jjP12ihipStream_tbEUlT_E_NS1_11comp_targetILNS1_3genE5ELNS1_11target_archE942ELNS1_3gpuE9ELNS1_3repE0EEENS1_30default_config_static_selectorELNS0_4arch9wavefront6targetE0EEEvSK_.uses_vcc, 0
	.set _ZN7rocprim17ROCPRIM_400000_NS6detail17trampoline_kernelINS0_14default_configENS1_36segmented_radix_sort_config_selectorIilEEZNS1_25segmented_radix_sort_implIS3_Lb0EPKiPiPKlPlN2at6native12_GLOBAL__N_18offset_tEEE10hipError_tPvRmT1_PNSt15iterator_traitsISK_E10value_typeET2_T3_PNSL_ISQ_E10value_typeET4_jRbjT5_SW_jjP12ihipStream_tbEUlT_E_NS1_11comp_targetILNS1_3genE5ELNS1_11target_archE942ELNS1_3gpuE9ELNS1_3repE0EEENS1_30default_config_static_selectorELNS0_4arch9wavefront6targetE0EEEvSK_.uses_flat_scratch, 0
	.set _ZN7rocprim17ROCPRIM_400000_NS6detail17trampoline_kernelINS0_14default_configENS1_36segmented_radix_sort_config_selectorIilEEZNS1_25segmented_radix_sort_implIS3_Lb0EPKiPiPKlPlN2at6native12_GLOBAL__N_18offset_tEEE10hipError_tPvRmT1_PNSt15iterator_traitsISK_E10value_typeET2_T3_PNSL_ISQ_E10value_typeET4_jRbjT5_SW_jjP12ihipStream_tbEUlT_E_NS1_11comp_targetILNS1_3genE5ELNS1_11target_archE942ELNS1_3gpuE9ELNS1_3repE0EEENS1_30default_config_static_selectorELNS0_4arch9wavefront6targetE0EEEvSK_.has_dyn_sized_stack, 0
	.set _ZN7rocprim17ROCPRIM_400000_NS6detail17trampoline_kernelINS0_14default_configENS1_36segmented_radix_sort_config_selectorIilEEZNS1_25segmented_radix_sort_implIS3_Lb0EPKiPiPKlPlN2at6native12_GLOBAL__N_18offset_tEEE10hipError_tPvRmT1_PNSt15iterator_traitsISK_E10value_typeET2_T3_PNSL_ISQ_E10value_typeET4_jRbjT5_SW_jjP12ihipStream_tbEUlT_E_NS1_11comp_targetILNS1_3genE5ELNS1_11target_archE942ELNS1_3gpuE9ELNS1_3repE0EEENS1_30default_config_static_selectorELNS0_4arch9wavefront6targetE0EEEvSK_.has_recursion, 0
	.set _ZN7rocprim17ROCPRIM_400000_NS6detail17trampoline_kernelINS0_14default_configENS1_36segmented_radix_sort_config_selectorIilEEZNS1_25segmented_radix_sort_implIS3_Lb0EPKiPiPKlPlN2at6native12_GLOBAL__N_18offset_tEEE10hipError_tPvRmT1_PNSt15iterator_traitsISK_E10value_typeET2_T3_PNSL_ISQ_E10value_typeET4_jRbjT5_SW_jjP12ihipStream_tbEUlT_E_NS1_11comp_targetILNS1_3genE5ELNS1_11target_archE942ELNS1_3gpuE9ELNS1_3repE0EEENS1_30default_config_static_selectorELNS0_4arch9wavefront6targetE0EEEvSK_.has_indirect_call, 0
	.section	.AMDGPU.csdata,"",@progbits
; Kernel info:
; codeLenInByte = 0
; TotalNumSgprs: 0
; NumVgprs: 0
; ScratchSize: 0
; MemoryBound: 0
; FloatMode: 240
; IeeeMode: 1
; LDSByteSize: 0 bytes/workgroup (compile time only)
; SGPRBlocks: 0
; VGPRBlocks: 0
; NumSGPRsForWavesPerEU: 1
; NumVGPRsForWavesPerEU: 1
; Occupancy: 16
; WaveLimiterHint : 0
; COMPUTE_PGM_RSRC2:SCRATCH_EN: 0
; COMPUTE_PGM_RSRC2:USER_SGPR: 2
; COMPUTE_PGM_RSRC2:TRAP_HANDLER: 0
; COMPUTE_PGM_RSRC2:TGID_X_EN: 1
; COMPUTE_PGM_RSRC2:TGID_Y_EN: 0
; COMPUTE_PGM_RSRC2:TGID_Z_EN: 0
; COMPUTE_PGM_RSRC2:TIDIG_COMP_CNT: 0
	.section	.text._ZN7rocprim17ROCPRIM_400000_NS6detail17trampoline_kernelINS0_14default_configENS1_36segmented_radix_sort_config_selectorIilEEZNS1_25segmented_radix_sort_implIS3_Lb0EPKiPiPKlPlN2at6native12_GLOBAL__N_18offset_tEEE10hipError_tPvRmT1_PNSt15iterator_traitsISK_E10value_typeET2_T3_PNSL_ISQ_E10value_typeET4_jRbjT5_SW_jjP12ihipStream_tbEUlT_E_NS1_11comp_targetILNS1_3genE4ELNS1_11target_archE910ELNS1_3gpuE8ELNS1_3repE0EEENS1_30default_config_static_selectorELNS0_4arch9wavefront6targetE0EEEvSK_,"axG",@progbits,_ZN7rocprim17ROCPRIM_400000_NS6detail17trampoline_kernelINS0_14default_configENS1_36segmented_radix_sort_config_selectorIilEEZNS1_25segmented_radix_sort_implIS3_Lb0EPKiPiPKlPlN2at6native12_GLOBAL__N_18offset_tEEE10hipError_tPvRmT1_PNSt15iterator_traitsISK_E10value_typeET2_T3_PNSL_ISQ_E10value_typeET4_jRbjT5_SW_jjP12ihipStream_tbEUlT_E_NS1_11comp_targetILNS1_3genE4ELNS1_11target_archE910ELNS1_3gpuE8ELNS1_3repE0EEENS1_30default_config_static_selectorELNS0_4arch9wavefront6targetE0EEEvSK_,comdat
	.globl	_ZN7rocprim17ROCPRIM_400000_NS6detail17trampoline_kernelINS0_14default_configENS1_36segmented_radix_sort_config_selectorIilEEZNS1_25segmented_radix_sort_implIS3_Lb0EPKiPiPKlPlN2at6native12_GLOBAL__N_18offset_tEEE10hipError_tPvRmT1_PNSt15iterator_traitsISK_E10value_typeET2_T3_PNSL_ISQ_E10value_typeET4_jRbjT5_SW_jjP12ihipStream_tbEUlT_E_NS1_11comp_targetILNS1_3genE4ELNS1_11target_archE910ELNS1_3gpuE8ELNS1_3repE0EEENS1_30default_config_static_selectorELNS0_4arch9wavefront6targetE0EEEvSK_ ; -- Begin function _ZN7rocprim17ROCPRIM_400000_NS6detail17trampoline_kernelINS0_14default_configENS1_36segmented_radix_sort_config_selectorIilEEZNS1_25segmented_radix_sort_implIS3_Lb0EPKiPiPKlPlN2at6native12_GLOBAL__N_18offset_tEEE10hipError_tPvRmT1_PNSt15iterator_traitsISK_E10value_typeET2_T3_PNSL_ISQ_E10value_typeET4_jRbjT5_SW_jjP12ihipStream_tbEUlT_E_NS1_11comp_targetILNS1_3genE4ELNS1_11target_archE910ELNS1_3gpuE8ELNS1_3repE0EEENS1_30default_config_static_selectorELNS0_4arch9wavefront6targetE0EEEvSK_
	.p2align	8
	.type	_ZN7rocprim17ROCPRIM_400000_NS6detail17trampoline_kernelINS0_14default_configENS1_36segmented_radix_sort_config_selectorIilEEZNS1_25segmented_radix_sort_implIS3_Lb0EPKiPiPKlPlN2at6native12_GLOBAL__N_18offset_tEEE10hipError_tPvRmT1_PNSt15iterator_traitsISK_E10value_typeET2_T3_PNSL_ISQ_E10value_typeET4_jRbjT5_SW_jjP12ihipStream_tbEUlT_E_NS1_11comp_targetILNS1_3genE4ELNS1_11target_archE910ELNS1_3gpuE8ELNS1_3repE0EEENS1_30default_config_static_selectorELNS0_4arch9wavefront6targetE0EEEvSK_,@function
_ZN7rocprim17ROCPRIM_400000_NS6detail17trampoline_kernelINS0_14default_configENS1_36segmented_radix_sort_config_selectorIilEEZNS1_25segmented_radix_sort_implIS3_Lb0EPKiPiPKlPlN2at6native12_GLOBAL__N_18offset_tEEE10hipError_tPvRmT1_PNSt15iterator_traitsISK_E10value_typeET2_T3_PNSL_ISQ_E10value_typeET4_jRbjT5_SW_jjP12ihipStream_tbEUlT_E_NS1_11comp_targetILNS1_3genE4ELNS1_11target_archE910ELNS1_3gpuE8ELNS1_3repE0EEENS1_30default_config_static_selectorELNS0_4arch9wavefront6targetE0EEEvSK_: ; @_ZN7rocprim17ROCPRIM_400000_NS6detail17trampoline_kernelINS0_14default_configENS1_36segmented_radix_sort_config_selectorIilEEZNS1_25segmented_radix_sort_implIS3_Lb0EPKiPiPKlPlN2at6native12_GLOBAL__N_18offset_tEEE10hipError_tPvRmT1_PNSt15iterator_traitsISK_E10value_typeET2_T3_PNSL_ISQ_E10value_typeET4_jRbjT5_SW_jjP12ihipStream_tbEUlT_E_NS1_11comp_targetILNS1_3genE4ELNS1_11target_archE910ELNS1_3gpuE8ELNS1_3repE0EEENS1_30default_config_static_selectorELNS0_4arch9wavefront6targetE0EEEvSK_
; %bb.0:
	.section	.rodata,"a",@progbits
	.p2align	6, 0x0
	.amdhsa_kernel _ZN7rocprim17ROCPRIM_400000_NS6detail17trampoline_kernelINS0_14default_configENS1_36segmented_radix_sort_config_selectorIilEEZNS1_25segmented_radix_sort_implIS3_Lb0EPKiPiPKlPlN2at6native12_GLOBAL__N_18offset_tEEE10hipError_tPvRmT1_PNSt15iterator_traitsISK_E10value_typeET2_T3_PNSL_ISQ_E10value_typeET4_jRbjT5_SW_jjP12ihipStream_tbEUlT_E_NS1_11comp_targetILNS1_3genE4ELNS1_11target_archE910ELNS1_3gpuE8ELNS1_3repE0EEENS1_30default_config_static_selectorELNS0_4arch9wavefront6targetE0EEEvSK_
		.amdhsa_group_segment_fixed_size 0
		.amdhsa_private_segment_fixed_size 0
		.amdhsa_kernarg_size 96
		.amdhsa_user_sgpr_count 2
		.amdhsa_user_sgpr_dispatch_ptr 0
		.amdhsa_user_sgpr_queue_ptr 0
		.amdhsa_user_sgpr_kernarg_segment_ptr 1
		.amdhsa_user_sgpr_dispatch_id 0
		.amdhsa_user_sgpr_private_segment_size 0
		.amdhsa_wavefront_size32 1
		.amdhsa_uses_dynamic_stack 0
		.amdhsa_enable_private_segment 0
		.amdhsa_system_sgpr_workgroup_id_x 1
		.amdhsa_system_sgpr_workgroup_id_y 0
		.amdhsa_system_sgpr_workgroup_id_z 0
		.amdhsa_system_sgpr_workgroup_info 0
		.amdhsa_system_vgpr_workitem_id 0
		.amdhsa_next_free_vgpr 1
		.amdhsa_next_free_sgpr 1
		.amdhsa_reserve_vcc 0
		.amdhsa_float_round_mode_32 0
		.amdhsa_float_round_mode_16_64 0
		.amdhsa_float_denorm_mode_32 3
		.amdhsa_float_denorm_mode_16_64 3
		.amdhsa_fp16_overflow 0
		.amdhsa_workgroup_processor_mode 1
		.amdhsa_memory_ordered 1
		.amdhsa_forward_progress 1
		.amdhsa_inst_pref_size 0
		.amdhsa_round_robin_scheduling 0
		.amdhsa_exception_fp_ieee_invalid_op 0
		.amdhsa_exception_fp_denorm_src 0
		.amdhsa_exception_fp_ieee_div_zero 0
		.amdhsa_exception_fp_ieee_overflow 0
		.amdhsa_exception_fp_ieee_underflow 0
		.amdhsa_exception_fp_ieee_inexact 0
		.amdhsa_exception_int_div_zero 0
	.end_amdhsa_kernel
	.section	.text._ZN7rocprim17ROCPRIM_400000_NS6detail17trampoline_kernelINS0_14default_configENS1_36segmented_radix_sort_config_selectorIilEEZNS1_25segmented_radix_sort_implIS3_Lb0EPKiPiPKlPlN2at6native12_GLOBAL__N_18offset_tEEE10hipError_tPvRmT1_PNSt15iterator_traitsISK_E10value_typeET2_T3_PNSL_ISQ_E10value_typeET4_jRbjT5_SW_jjP12ihipStream_tbEUlT_E_NS1_11comp_targetILNS1_3genE4ELNS1_11target_archE910ELNS1_3gpuE8ELNS1_3repE0EEENS1_30default_config_static_selectorELNS0_4arch9wavefront6targetE0EEEvSK_,"axG",@progbits,_ZN7rocprim17ROCPRIM_400000_NS6detail17trampoline_kernelINS0_14default_configENS1_36segmented_radix_sort_config_selectorIilEEZNS1_25segmented_radix_sort_implIS3_Lb0EPKiPiPKlPlN2at6native12_GLOBAL__N_18offset_tEEE10hipError_tPvRmT1_PNSt15iterator_traitsISK_E10value_typeET2_T3_PNSL_ISQ_E10value_typeET4_jRbjT5_SW_jjP12ihipStream_tbEUlT_E_NS1_11comp_targetILNS1_3genE4ELNS1_11target_archE910ELNS1_3gpuE8ELNS1_3repE0EEENS1_30default_config_static_selectorELNS0_4arch9wavefront6targetE0EEEvSK_,comdat
.Lfunc_end602:
	.size	_ZN7rocprim17ROCPRIM_400000_NS6detail17trampoline_kernelINS0_14default_configENS1_36segmented_radix_sort_config_selectorIilEEZNS1_25segmented_radix_sort_implIS3_Lb0EPKiPiPKlPlN2at6native12_GLOBAL__N_18offset_tEEE10hipError_tPvRmT1_PNSt15iterator_traitsISK_E10value_typeET2_T3_PNSL_ISQ_E10value_typeET4_jRbjT5_SW_jjP12ihipStream_tbEUlT_E_NS1_11comp_targetILNS1_3genE4ELNS1_11target_archE910ELNS1_3gpuE8ELNS1_3repE0EEENS1_30default_config_static_selectorELNS0_4arch9wavefront6targetE0EEEvSK_, .Lfunc_end602-_ZN7rocprim17ROCPRIM_400000_NS6detail17trampoline_kernelINS0_14default_configENS1_36segmented_radix_sort_config_selectorIilEEZNS1_25segmented_radix_sort_implIS3_Lb0EPKiPiPKlPlN2at6native12_GLOBAL__N_18offset_tEEE10hipError_tPvRmT1_PNSt15iterator_traitsISK_E10value_typeET2_T3_PNSL_ISQ_E10value_typeET4_jRbjT5_SW_jjP12ihipStream_tbEUlT_E_NS1_11comp_targetILNS1_3genE4ELNS1_11target_archE910ELNS1_3gpuE8ELNS1_3repE0EEENS1_30default_config_static_selectorELNS0_4arch9wavefront6targetE0EEEvSK_
                                        ; -- End function
	.set _ZN7rocprim17ROCPRIM_400000_NS6detail17trampoline_kernelINS0_14default_configENS1_36segmented_radix_sort_config_selectorIilEEZNS1_25segmented_radix_sort_implIS3_Lb0EPKiPiPKlPlN2at6native12_GLOBAL__N_18offset_tEEE10hipError_tPvRmT1_PNSt15iterator_traitsISK_E10value_typeET2_T3_PNSL_ISQ_E10value_typeET4_jRbjT5_SW_jjP12ihipStream_tbEUlT_E_NS1_11comp_targetILNS1_3genE4ELNS1_11target_archE910ELNS1_3gpuE8ELNS1_3repE0EEENS1_30default_config_static_selectorELNS0_4arch9wavefront6targetE0EEEvSK_.num_vgpr, 0
	.set _ZN7rocprim17ROCPRIM_400000_NS6detail17trampoline_kernelINS0_14default_configENS1_36segmented_radix_sort_config_selectorIilEEZNS1_25segmented_radix_sort_implIS3_Lb0EPKiPiPKlPlN2at6native12_GLOBAL__N_18offset_tEEE10hipError_tPvRmT1_PNSt15iterator_traitsISK_E10value_typeET2_T3_PNSL_ISQ_E10value_typeET4_jRbjT5_SW_jjP12ihipStream_tbEUlT_E_NS1_11comp_targetILNS1_3genE4ELNS1_11target_archE910ELNS1_3gpuE8ELNS1_3repE0EEENS1_30default_config_static_selectorELNS0_4arch9wavefront6targetE0EEEvSK_.num_agpr, 0
	.set _ZN7rocprim17ROCPRIM_400000_NS6detail17trampoline_kernelINS0_14default_configENS1_36segmented_radix_sort_config_selectorIilEEZNS1_25segmented_radix_sort_implIS3_Lb0EPKiPiPKlPlN2at6native12_GLOBAL__N_18offset_tEEE10hipError_tPvRmT1_PNSt15iterator_traitsISK_E10value_typeET2_T3_PNSL_ISQ_E10value_typeET4_jRbjT5_SW_jjP12ihipStream_tbEUlT_E_NS1_11comp_targetILNS1_3genE4ELNS1_11target_archE910ELNS1_3gpuE8ELNS1_3repE0EEENS1_30default_config_static_selectorELNS0_4arch9wavefront6targetE0EEEvSK_.numbered_sgpr, 0
	.set _ZN7rocprim17ROCPRIM_400000_NS6detail17trampoline_kernelINS0_14default_configENS1_36segmented_radix_sort_config_selectorIilEEZNS1_25segmented_radix_sort_implIS3_Lb0EPKiPiPKlPlN2at6native12_GLOBAL__N_18offset_tEEE10hipError_tPvRmT1_PNSt15iterator_traitsISK_E10value_typeET2_T3_PNSL_ISQ_E10value_typeET4_jRbjT5_SW_jjP12ihipStream_tbEUlT_E_NS1_11comp_targetILNS1_3genE4ELNS1_11target_archE910ELNS1_3gpuE8ELNS1_3repE0EEENS1_30default_config_static_selectorELNS0_4arch9wavefront6targetE0EEEvSK_.num_named_barrier, 0
	.set _ZN7rocprim17ROCPRIM_400000_NS6detail17trampoline_kernelINS0_14default_configENS1_36segmented_radix_sort_config_selectorIilEEZNS1_25segmented_radix_sort_implIS3_Lb0EPKiPiPKlPlN2at6native12_GLOBAL__N_18offset_tEEE10hipError_tPvRmT1_PNSt15iterator_traitsISK_E10value_typeET2_T3_PNSL_ISQ_E10value_typeET4_jRbjT5_SW_jjP12ihipStream_tbEUlT_E_NS1_11comp_targetILNS1_3genE4ELNS1_11target_archE910ELNS1_3gpuE8ELNS1_3repE0EEENS1_30default_config_static_selectorELNS0_4arch9wavefront6targetE0EEEvSK_.private_seg_size, 0
	.set _ZN7rocprim17ROCPRIM_400000_NS6detail17trampoline_kernelINS0_14default_configENS1_36segmented_radix_sort_config_selectorIilEEZNS1_25segmented_radix_sort_implIS3_Lb0EPKiPiPKlPlN2at6native12_GLOBAL__N_18offset_tEEE10hipError_tPvRmT1_PNSt15iterator_traitsISK_E10value_typeET2_T3_PNSL_ISQ_E10value_typeET4_jRbjT5_SW_jjP12ihipStream_tbEUlT_E_NS1_11comp_targetILNS1_3genE4ELNS1_11target_archE910ELNS1_3gpuE8ELNS1_3repE0EEENS1_30default_config_static_selectorELNS0_4arch9wavefront6targetE0EEEvSK_.uses_vcc, 0
	.set _ZN7rocprim17ROCPRIM_400000_NS6detail17trampoline_kernelINS0_14default_configENS1_36segmented_radix_sort_config_selectorIilEEZNS1_25segmented_radix_sort_implIS3_Lb0EPKiPiPKlPlN2at6native12_GLOBAL__N_18offset_tEEE10hipError_tPvRmT1_PNSt15iterator_traitsISK_E10value_typeET2_T3_PNSL_ISQ_E10value_typeET4_jRbjT5_SW_jjP12ihipStream_tbEUlT_E_NS1_11comp_targetILNS1_3genE4ELNS1_11target_archE910ELNS1_3gpuE8ELNS1_3repE0EEENS1_30default_config_static_selectorELNS0_4arch9wavefront6targetE0EEEvSK_.uses_flat_scratch, 0
	.set _ZN7rocprim17ROCPRIM_400000_NS6detail17trampoline_kernelINS0_14default_configENS1_36segmented_radix_sort_config_selectorIilEEZNS1_25segmented_radix_sort_implIS3_Lb0EPKiPiPKlPlN2at6native12_GLOBAL__N_18offset_tEEE10hipError_tPvRmT1_PNSt15iterator_traitsISK_E10value_typeET2_T3_PNSL_ISQ_E10value_typeET4_jRbjT5_SW_jjP12ihipStream_tbEUlT_E_NS1_11comp_targetILNS1_3genE4ELNS1_11target_archE910ELNS1_3gpuE8ELNS1_3repE0EEENS1_30default_config_static_selectorELNS0_4arch9wavefront6targetE0EEEvSK_.has_dyn_sized_stack, 0
	.set _ZN7rocprim17ROCPRIM_400000_NS6detail17trampoline_kernelINS0_14default_configENS1_36segmented_radix_sort_config_selectorIilEEZNS1_25segmented_radix_sort_implIS3_Lb0EPKiPiPKlPlN2at6native12_GLOBAL__N_18offset_tEEE10hipError_tPvRmT1_PNSt15iterator_traitsISK_E10value_typeET2_T3_PNSL_ISQ_E10value_typeET4_jRbjT5_SW_jjP12ihipStream_tbEUlT_E_NS1_11comp_targetILNS1_3genE4ELNS1_11target_archE910ELNS1_3gpuE8ELNS1_3repE0EEENS1_30default_config_static_selectorELNS0_4arch9wavefront6targetE0EEEvSK_.has_recursion, 0
	.set _ZN7rocprim17ROCPRIM_400000_NS6detail17trampoline_kernelINS0_14default_configENS1_36segmented_radix_sort_config_selectorIilEEZNS1_25segmented_radix_sort_implIS3_Lb0EPKiPiPKlPlN2at6native12_GLOBAL__N_18offset_tEEE10hipError_tPvRmT1_PNSt15iterator_traitsISK_E10value_typeET2_T3_PNSL_ISQ_E10value_typeET4_jRbjT5_SW_jjP12ihipStream_tbEUlT_E_NS1_11comp_targetILNS1_3genE4ELNS1_11target_archE910ELNS1_3gpuE8ELNS1_3repE0EEENS1_30default_config_static_selectorELNS0_4arch9wavefront6targetE0EEEvSK_.has_indirect_call, 0
	.section	.AMDGPU.csdata,"",@progbits
; Kernel info:
; codeLenInByte = 0
; TotalNumSgprs: 0
; NumVgprs: 0
; ScratchSize: 0
; MemoryBound: 0
; FloatMode: 240
; IeeeMode: 1
; LDSByteSize: 0 bytes/workgroup (compile time only)
; SGPRBlocks: 0
; VGPRBlocks: 0
; NumSGPRsForWavesPerEU: 1
; NumVGPRsForWavesPerEU: 1
; Occupancy: 16
; WaveLimiterHint : 0
; COMPUTE_PGM_RSRC2:SCRATCH_EN: 0
; COMPUTE_PGM_RSRC2:USER_SGPR: 2
; COMPUTE_PGM_RSRC2:TRAP_HANDLER: 0
; COMPUTE_PGM_RSRC2:TGID_X_EN: 1
; COMPUTE_PGM_RSRC2:TGID_Y_EN: 0
; COMPUTE_PGM_RSRC2:TGID_Z_EN: 0
; COMPUTE_PGM_RSRC2:TIDIG_COMP_CNT: 0
	.section	.text._ZN7rocprim17ROCPRIM_400000_NS6detail17trampoline_kernelINS0_14default_configENS1_36segmented_radix_sort_config_selectorIilEEZNS1_25segmented_radix_sort_implIS3_Lb0EPKiPiPKlPlN2at6native12_GLOBAL__N_18offset_tEEE10hipError_tPvRmT1_PNSt15iterator_traitsISK_E10value_typeET2_T3_PNSL_ISQ_E10value_typeET4_jRbjT5_SW_jjP12ihipStream_tbEUlT_E_NS1_11comp_targetILNS1_3genE3ELNS1_11target_archE908ELNS1_3gpuE7ELNS1_3repE0EEENS1_30default_config_static_selectorELNS0_4arch9wavefront6targetE0EEEvSK_,"axG",@progbits,_ZN7rocprim17ROCPRIM_400000_NS6detail17trampoline_kernelINS0_14default_configENS1_36segmented_radix_sort_config_selectorIilEEZNS1_25segmented_radix_sort_implIS3_Lb0EPKiPiPKlPlN2at6native12_GLOBAL__N_18offset_tEEE10hipError_tPvRmT1_PNSt15iterator_traitsISK_E10value_typeET2_T3_PNSL_ISQ_E10value_typeET4_jRbjT5_SW_jjP12ihipStream_tbEUlT_E_NS1_11comp_targetILNS1_3genE3ELNS1_11target_archE908ELNS1_3gpuE7ELNS1_3repE0EEENS1_30default_config_static_selectorELNS0_4arch9wavefront6targetE0EEEvSK_,comdat
	.globl	_ZN7rocprim17ROCPRIM_400000_NS6detail17trampoline_kernelINS0_14default_configENS1_36segmented_radix_sort_config_selectorIilEEZNS1_25segmented_radix_sort_implIS3_Lb0EPKiPiPKlPlN2at6native12_GLOBAL__N_18offset_tEEE10hipError_tPvRmT1_PNSt15iterator_traitsISK_E10value_typeET2_T3_PNSL_ISQ_E10value_typeET4_jRbjT5_SW_jjP12ihipStream_tbEUlT_E_NS1_11comp_targetILNS1_3genE3ELNS1_11target_archE908ELNS1_3gpuE7ELNS1_3repE0EEENS1_30default_config_static_selectorELNS0_4arch9wavefront6targetE0EEEvSK_ ; -- Begin function _ZN7rocprim17ROCPRIM_400000_NS6detail17trampoline_kernelINS0_14default_configENS1_36segmented_radix_sort_config_selectorIilEEZNS1_25segmented_radix_sort_implIS3_Lb0EPKiPiPKlPlN2at6native12_GLOBAL__N_18offset_tEEE10hipError_tPvRmT1_PNSt15iterator_traitsISK_E10value_typeET2_T3_PNSL_ISQ_E10value_typeET4_jRbjT5_SW_jjP12ihipStream_tbEUlT_E_NS1_11comp_targetILNS1_3genE3ELNS1_11target_archE908ELNS1_3gpuE7ELNS1_3repE0EEENS1_30default_config_static_selectorELNS0_4arch9wavefront6targetE0EEEvSK_
	.p2align	8
	.type	_ZN7rocprim17ROCPRIM_400000_NS6detail17trampoline_kernelINS0_14default_configENS1_36segmented_radix_sort_config_selectorIilEEZNS1_25segmented_radix_sort_implIS3_Lb0EPKiPiPKlPlN2at6native12_GLOBAL__N_18offset_tEEE10hipError_tPvRmT1_PNSt15iterator_traitsISK_E10value_typeET2_T3_PNSL_ISQ_E10value_typeET4_jRbjT5_SW_jjP12ihipStream_tbEUlT_E_NS1_11comp_targetILNS1_3genE3ELNS1_11target_archE908ELNS1_3gpuE7ELNS1_3repE0EEENS1_30default_config_static_selectorELNS0_4arch9wavefront6targetE0EEEvSK_,@function
_ZN7rocprim17ROCPRIM_400000_NS6detail17trampoline_kernelINS0_14default_configENS1_36segmented_radix_sort_config_selectorIilEEZNS1_25segmented_radix_sort_implIS3_Lb0EPKiPiPKlPlN2at6native12_GLOBAL__N_18offset_tEEE10hipError_tPvRmT1_PNSt15iterator_traitsISK_E10value_typeET2_T3_PNSL_ISQ_E10value_typeET4_jRbjT5_SW_jjP12ihipStream_tbEUlT_E_NS1_11comp_targetILNS1_3genE3ELNS1_11target_archE908ELNS1_3gpuE7ELNS1_3repE0EEENS1_30default_config_static_selectorELNS0_4arch9wavefront6targetE0EEEvSK_: ; @_ZN7rocprim17ROCPRIM_400000_NS6detail17trampoline_kernelINS0_14default_configENS1_36segmented_radix_sort_config_selectorIilEEZNS1_25segmented_radix_sort_implIS3_Lb0EPKiPiPKlPlN2at6native12_GLOBAL__N_18offset_tEEE10hipError_tPvRmT1_PNSt15iterator_traitsISK_E10value_typeET2_T3_PNSL_ISQ_E10value_typeET4_jRbjT5_SW_jjP12ihipStream_tbEUlT_E_NS1_11comp_targetILNS1_3genE3ELNS1_11target_archE908ELNS1_3gpuE7ELNS1_3repE0EEENS1_30default_config_static_selectorELNS0_4arch9wavefront6targetE0EEEvSK_
; %bb.0:
	.section	.rodata,"a",@progbits
	.p2align	6, 0x0
	.amdhsa_kernel _ZN7rocprim17ROCPRIM_400000_NS6detail17trampoline_kernelINS0_14default_configENS1_36segmented_radix_sort_config_selectorIilEEZNS1_25segmented_radix_sort_implIS3_Lb0EPKiPiPKlPlN2at6native12_GLOBAL__N_18offset_tEEE10hipError_tPvRmT1_PNSt15iterator_traitsISK_E10value_typeET2_T3_PNSL_ISQ_E10value_typeET4_jRbjT5_SW_jjP12ihipStream_tbEUlT_E_NS1_11comp_targetILNS1_3genE3ELNS1_11target_archE908ELNS1_3gpuE7ELNS1_3repE0EEENS1_30default_config_static_selectorELNS0_4arch9wavefront6targetE0EEEvSK_
		.amdhsa_group_segment_fixed_size 0
		.amdhsa_private_segment_fixed_size 0
		.amdhsa_kernarg_size 96
		.amdhsa_user_sgpr_count 2
		.amdhsa_user_sgpr_dispatch_ptr 0
		.amdhsa_user_sgpr_queue_ptr 0
		.amdhsa_user_sgpr_kernarg_segment_ptr 1
		.amdhsa_user_sgpr_dispatch_id 0
		.amdhsa_user_sgpr_private_segment_size 0
		.amdhsa_wavefront_size32 1
		.amdhsa_uses_dynamic_stack 0
		.amdhsa_enable_private_segment 0
		.amdhsa_system_sgpr_workgroup_id_x 1
		.amdhsa_system_sgpr_workgroup_id_y 0
		.amdhsa_system_sgpr_workgroup_id_z 0
		.amdhsa_system_sgpr_workgroup_info 0
		.amdhsa_system_vgpr_workitem_id 0
		.amdhsa_next_free_vgpr 1
		.amdhsa_next_free_sgpr 1
		.amdhsa_reserve_vcc 0
		.amdhsa_float_round_mode_32 0
		.amdhsa_float_round_mode_16_64 0
		.amdhsa_float_denorm_mode_32 3
		.amdhsa_float_denorm_mode_16_64 3
		.amdhsa_fp16_overflow 0
		.amdhsa_workgroup_processor_mode 1
		.amdhsa_memory_ordered 1
		.amdhsa_forward_progress 1
		.amdhsa_inst_pref_size 0
		.amdhsa_round_robin_scheduling 0
		.amdhsa_exception_fp_ieee_invalid_op 0
		.amdhsa_exception_fp_denorm_src 0
		.amdhsa_exception_fp_ieee_div_zero 0
		.amdhsa_exception_fp_ieee_overflow 0
		.amdhsa_exception_fp_ieee_underflow 0
		.amdhsa_exception_fp_ieee_inexact 0
		.amdhsa_exception_int_div_zero 0
	.end_amdhsa_kernel
	.section	.text._ZN7rocprim17ROCPRIM_400000_NS6detail17trampoline_kernelINS0_14default_configENS1_36segmented_radix_sort_config_selectorIilEEZNS1_25segmented_radix_sort_implIS3_Lb0EPKiPiPKlPlN2at6native12_GLOBAL__N_18offset_tEEE10hipError_tPvRmT1_PNSt15iterator_traitsISK_E10value_typeET2_T3_PNSL_ISQ_E10value_typeET4_jRbjT5_SW_jjP12ihipStream_tbEUlT_E_NS1_11comp_targetILNS1_3genE3ELNS1_11target_archE908ELNS1_3gpuE7ELNS1_3repE0EEENS1_30default_config_static_selectorELNS0_4arch9wavefront6targetE0EEEvSK_,"axG",@progbits,_ZN7rocprim17ROCPRIM_400000_NS6detail17trampoline_kernelINS0_14default_configENS1_36segmented_radix_sort_config_selectorIilEEZNS1_25segmented_radix_sort_implIS3_Lb0EPKiPiPKlPlN2at6native12_GLOBAL__N_18offset_tEEE10hipError_tPvRmT1_PNSt15iterator_traitsISK_E10value_typeET2_T3_PNSL_ISQ_E10value_typeET4_jRbjT5_SW_jjP12ihipStream_tbEUlT_E_NS1_11comp_targetILNS1_3genE3ELNS1_11target_archE908ELNS1_3gpuE7ELNS1_3repE0EEENS1_30default_config_static_selectorELNS0_4arch9wavefront6targetE0EEEvSK_,comdat
.Lfunc_end603:
	.size	_ZN7rocprim17ROCPRIM_400000_NS6detail17trampoline_kernelINS0_14default_configENS1_36segmented_radix_sort_config_selectorIilEEZNS1_25segmented_radix_sort_implIS3_Lb0EPKiPiPKlPlN2at6native12_GLOBAL__N_18offset_tEEE10hipError_tPvRmT1_PNSt15iterator_traitsISK_E10value_typeET2_T3_PNSL_ISQ_E10value_typeET4_jRbjT5_SW_jjP12ihipStream_tbEUlT_E_NS1_11comp_targetILNS1_3genE3ELNS1_11target_archE908ELNS1_3gpuE7ELNS1_3repE0EEENS1_30default_config_static_selectorELNS0_4arch9wavefront6targetE0EEEvSK_, .Lfunc_end603-_ZN7rocprim17ROCPRIM_400000_NS6detail17trampoline_kernelINS0_14default_configENS1_36segmented_radix_sort_config_selectorIilEEZNS1_25segmented_radix_sort_implIS3_Lb0EPKiPiPKlPlN2at6native12_GLOBAL__N_18offset_tEEE10hipError_tPvRmT1_PNSt15iterator_traitsISK_E10value_typeET2_T3_PNSL_ISQ_E10value_typeET4_jRbjT5_SW_jjP12ihipStream_tbEUlT_E_NS1_11comp_targetILNS1_3genE3ELNS1_11target_archE908ELNS1_3gpuE7ELNS1_3repE0EEENS1_30default_config_static_selectorELNS0_4arch9wavefront6targetE0EEEvSK_
                                        ; -- End function
	.set _ZN7rocprim17ROCPRIM_400000_NS6detail17trampoline_kernelINS0_14default_configENS1_36segmented_radix_sort_config_selectorIilEEZNS1_25segmented_radix_sort_implIS3_Lb0EPKiPiPKlPlN2at6native12_GLOBAL__N_18offset_tEEE10hipError_tPvRmT1_PNSt15iterator_traitsISK_E10value_typeET2_T3_PNSL_ISQ_E10value_typeET4_jRbjT5_SW_jjP12ihipStream_tbEUlT_E_NS1_11comp_targetILNS1_3genE3ELNS1_11target_archE908ELNS1_3gpuE7ELNS1_3repE0EEENS1_30default_config_static_selectorELNS0_4arch9wavefront6targetE0EEEvSK_.num_vgpr, 0
	.set _ZN7rocprim17ROCPRIM_400000_NS6detail17trampoline_kernelINS0_14default_configENS1_36segmented_radix_sort_config_selectorIilEEZNS1_25segmented_radix_sort_implIS3_Lb0EPKiPiPKlPlN2at6native12_GLOBAL__N_18offset_tEEE10hipError_tPvRmT1_PNSt15iterator_traitsISK_E10value_typeET2_T3_PNSL_ISQ_E10value_typeET4_jRbjT5_SW_jjP12ihipStream_tbEUlT_E_NS1_11comp_targetILNS1_3genE3ELNS1_11target_archE908ELNS1_3gpuE7ELNS1_3repE0EEENS1_30default_config_static_selectorELNS0_4arch9wavefront6targetE0EEEvSK_.num_agpr, 0
	.set _ZN7rocprim17ROCPRIM_400000_NS6detail17trampoline_kernelINS0_14default_configENS1_36segmented_radix_sort_config_selectorIilEEZNS1_25segmented_radix_sort_implIS3_Lb0EPKiPiPKlPlN2at6native12_GLOBAL__N_18offset_tEEE10hipError_tPvRmT1_PNSt15iterator_traitsISK_E10value_typeET2_T3_PNSL_ISQ_E10value_typeET4_jRbjT5_SW_jjP12ihipStream_tbEUlT_E_NS1_11comp_targetILNS1_3genE3ELNS1_11target_archE908ELNS1_3gpuE7ELNS1_3repE0EEENS1_30default_config_static_selectorELNS0_4arch9wavefront6targetE0EEEvSK_.numbered_sgpr, 0
	.set _ZN7rocprim17ROCPRIM_400000_NS6detail17trampoline_kernelINS0_14default_configENS1_36segmented_radix_sort_config_selectorIilEEZNS1_25segmented_radix_sort_implIS3_Lb0EPKiPiPKlPlN2at6native12_GLOBAL__N_18offset_tEEE10hipError_tPvRmT1_PNSt15iterator_traitsISK_E10value_typeET2_T3_PNSL_ISQ_E10value_typeET4_jRbjT5_SW_jjP12ihipStream_tbEUlT_E_NS1_11comp_targetILNS1_3genE3ELNS1_11target_archE908ELNS1_3gpuE7ELNS1_3repE0EEENS1_30default_config_static_selectorELNS0_4arch9wavefront6targetE0EEEvSK_.num_named_barrier, 0
	.set _ZN7rocprim17ROCPRIM_400000_NS6detail17trampoline_kernelINS0_14default_configENS1_36segmented_radix_sort_config_selectorIilEEZNS1_25segmented_radix_sort_implIS3_Lb0EPKiPiPKlPlN2at6native12_GLOBAL__N_18offset_tEEE10hipError_tPvRmT1_PNSt15iterator_traitsISK_E10value_typeET2_T3_PNSL_ISQ_E10value_typeET4_jRbjT5_SW_jjP12ihipStream_tbEUlT_E_NS1_11comp_targetILNS1_3genE3ELNS1_11target_archE908ELNS1_3gpuE7ELNS1_3repE0EEENS1_30default_config_static_selectorELNS0_4arch9wavefront6targetE0EEEvSK_.private_seg_size, 0
	.set _ZN7rocprim17ROCPRIM_400000_NS6detail17trampoline_kernelINS0_14default_configENS1_36segmented_radix_sort_config_selectorIilEEZNS1_25segmented_radix_sort_implIS3_Lb0EPKiPiPKlPlN2at6native12_GLOBAL__N_18offset_tEEE10hipError_tPvRmT1_PNSt15iterator_traitsISK_E10value_typeET2_T3_PNSL_ISQ_E10value_typeET4_jRbjT5_SW_jjP12ihipStream_tbEUlT_E_NS1_11comp_targetILNS1_3genE3ELNS1_11target_archE908ELNS1_3gpuE7ELNS1_3repE0EEENS1_30default_config_static_selectorELNS0_4arch9wavefront6targetE0EEEvSK_.uses_vcc, 0
	.set _ZN7rocprim17ROCPRIM_400000_NS6detail17trampoline_kernelINS0_14default_configENS1_36segmented_radix_sort_config_selectorIilEEZNS1_25segmented_radix_sort_implIS3_Lb0EPKiPiPKlPlN2at6native12_GLOBAL__N_18offset_tEEE10hipError_tPvRmT1_PNSt15iterator_traitsISK_E10value_typeET2_T3_PNSL_ISQ_E10value_typeET4_jRbjT5_SW_jjP12ihipStream_tbEUlT_E_NS1_11comp_targetILNS1_3genE3ELNS1_11target_archE908ELNS1_3gpuE7ELNS1_3repE0EEENS1_30default_config_static_selectorELNS0_4arch9wavefront6targetE0EEEvSK_.uses_flat_scratch, 0
	.set _ZN7rocprim17ROCPRIM_400000_NS6detail17trampoline_kernelINS0_14default_configENS1_36segmented_radix_sort_config_selectorIilEEZNS1_25segmented_radix_sort_implIS3_Lb0EPKiPiPKlPlN2at6native12_GLOBAL__N_18offset_tEEE10hipError_tPvRmT1_PNSt15iterator_traitsISK_E10value_typeET2_T3_PNSL_ISQ_E10value_typeET4_jRbjT5_SW_jjP12ihipStream_tbEUlT_E_NS1_11comp_targetILNS1_3genE3ELNS1_11target_archE908ELNS1_3gpuE7ELNS1_3repE0EEENS1_30default_config_static_selectorELNS0_4arch9wavefront6targetE0EEEvSK_.has_dyn_sized_stack, 0
	.set _ZN7rocprim17ROCPRIM_400000_NS6detail17trampoline_kernelINS0_14default_configENS1_36segmented_radix_sort_config_selectorIilEEZNS1_25segmented_radix_sort_implIS3_Lb0EPKiPiPKlPlN2at6native12_GLOBAL__N_18offset_tEEE10hipError_tPvRmT1_PNSt15iterator_traitsISK_E10value_typeET2_T3_PNSL_ISQ_E10value_typeET4_jRbjT5_SW_jjP12ihipStream_tbEUlT_E_NS1_11comp_targetILNS1_3genE3ELNS1_11target_archE908ELNS1_3gpuE7ELNS1_3repE0EEENS1_30default_config_static_selectorELNS0_4arch9wavefront6targetE0EEEvSK_.has_recursion, 0
	.set _ZN7rocprim17ROCPRIM_400000_NS6detail17trampoline_kernelINS0_14default_configENS1_36segmented_radix_sort_config_selectorIilEEZNS1_25segmented_radix_sort_implIS3_Lb0EPKiPiPKlPlN2at6native12_GLOBAL__N_18offset_tEEE10hipError_tPvRmT1_PNSt15iterator_traitsISK_E10value_typeET2_T3_PNSL_ISQ_E10value_typeET4_jRbjT5_SW_jjP12ihipStream_tbEUlT_E_NS1_11comp_targetILNS1_3genE3ELNS1_11target_archE908ELNS1_3gpuE7ELNS1_3repE0EEENS1_30default_config_static_selectorELNS0_4arch9wavefront6targetE0EEEvSK_.has_indirect_call, 0
	.section	.AMDGPU.csdata,"",@progbits
; Kernel info:
; codeLenInByte = 0
; TotalNumSgprs: 0
; NumVgprs: 0
; ScratchSize: 0
; MemoryBound: 0
; FloatMode: 240
; IeeeMode: 1
; LDSByteSize: 0 bytes/workgroup (compile time only)
; SGPRBlocks: 0
; VGPRBlocks: 0
; NumSGPRsForWavesPerEU: 1
; NumVGPRsForWavesPerEU: 1
; Occupancy: 16
; WaveLimiterHint : 0
; COMPUTE_PGM_RSRC2:SCRATCH_EN: 0
; COMPUTE_PGM_RSRC2:USER_SGPR: 2
; COMPUTE_PGM_RSRC2:TRAP_HANDLER: 0
; COMPUTE_PGM_RSRC2:TGID_X_EN: 1
; COMPUTE_PGM_RSRC2:TGID_Y_EN: 0
; COMPUTE_PGM_RSRC2:TGID_Z_EN: 0
; COMPUTE_PGM_RSRC2:TIDIG_COMP_CNT: 0
	.section	.text._ZN7rocprim17ROCPRIM_400000_NS6detail17trampoline_kernelINS0_14default_configENS1_36segmented_radix_sort_config_selectorIilEEZNS1_25segmented_radix_sort_implIS3_Lb0EPKiPiPKlPlN2at6native12_GLOBAL__N_18offset_tEEE10hipError_tPvRmT1_PNSt15iterator_traitsISK_E10value_typeET2_T3_PNSL_ISQ_E10value_typeET4_jRbjT5_SW_jjP12ihipStream_tbEUlT_E_NS1_11comp_targetILNS1_3genE2ELNS1_11target_archE906ELNS1_3gpuE6ELNS1_3repE0EEENS1_30default_config_static_selectorELNS0_4arch9wavefront6targetE0EEEvSK_,"axG",@progbits,_ZN7rocprim17ROCPRIM_400000_NS6detail17trampoline_kernelINS0_14default_configENS1_36segmented_radix_sort_config_selectorIilEEZNS1_25segmented_radix_sort_implIS3_Lb0EPKiPiPKlPlN2at6native12_GLOBAL__N_18offset_tEEE10hipError_tPvRmT1_PNSt15iterator_traitsISK_E10value_typeET2_T3_PNSL_ISQ_E10value_typeET4_jRbjT5_SW_jjP12ihipStream_tbEUlT_E_NS1_11comp_targetILNS1_3genE2ELNS1_11target_archE906ELNS1_3gpuE6ELNS1_3repE0EEENS1_30default_config_static_selectorELNS0_4arch9wavefront6targetE0EEEvSK_,comdat
	.globl	_ZN7rocprim17ROCPRIM_400000_NS6detail17trampoline_kernelINS0_14default_configENS1_36segmented_radix_sort_config_selectorIilEEZNS1_25segmented_radix_sort_implIS3_Lb0EPKiPiPKlPlN2at6native12_GLOBAL__N_18offset_tEEE10hipError_tPvRmT1_PNSt15iterator_traitsISK_E10value_typeET2_T3_PNSL_ISQ_E10value_typeET4_jRbjT5_SW_jjP12ihipStream_tbEUlT_E_NS1_11comp_targetILNS1_3genE2ELNS1_11target_archE906ELNS1_3gpuE6ELNS1_3repE0EEENS1_30default_config_static_selectorELNS0_4arch9wavefront6targetE0EEEvSK_ ; -- Begin function _ZN7rocprim17ROCPRIM_400000_NS6detail17trampoline_kernelINS0_14default_configENS1_36segmented_radix_sort_config_selectorIilEEZNS1_25segmented_radix_sort_implIS3_Lb0EPKiPiPKlPlN2at6native12_GLOBAL__N_18offset_tEEE10hipError_tPvRmT1_PNSt15iterator_traitsISK_E10value_typeET2_T3_PNSL_ISQ_E10value_typeET4_jRbjT5_SW_jjP12ihipStream_tbEUlT_E_NS1_11comp_targetILNS1_3genE2ELNS1_11target_archE906ELNS1_3gpuE6ELNS1_3repE0EEENS1_30default_config_static_selectorELNS0_4arch9wavefront6targetE0EEEvSK_
	.p2align	8
	.type	_ZN7rocprim17ROCPRIM_400000_NS6detail17trampoline_kernelINS0_14default_configENS1_36segmented_radix_sort_config_selectorIilEEZNS1_25segmented_radix_sort_implIS3_Lb0EPKiPiPKlPlN2at6native12_GLOBAL__N_18offset_tEEE10hipError_tPvRmT1_PNSt15iterator_traitsISK_E10value_typeET2_T3_PNSL_ISQ_E10value_typeET4_jRbjT5_SW_jjP12ihipStream_tbEUlT_E_NS1_11comp_targetILNS1_3genE2ELNS1_11target_archE906ELNS1_3gpuE6ELNS1_3repE0EEENS1_30default_config_static_selectorELNS0_4arch9wavefront6targetE0EEEvSK_,@function
_ZN7rocprim17ROCPRIM_400000_NS6detail17trampoline_kernelINS0_14default_configENS1_36segmented_radix_sort_config_selectorIilEEZNS1_25segmented_radix_sort_implIS3_Lb0EPKiPiPKlPlN2at6native12_GLOBAL__N_18offset_tEEE10hipError_tPvRmT1_PNSt15iterator_traitsISK_E10value_typeET2_T3_PNSL_ISQ_E10value_typeET4_jRbjT5_SW_jjP12ihipStream_tbEUlT_E_NS1_11comp_targetILNS1_3genE2ELNS1_11target_archE906ELNS1_3gpuE6ELNS1_3repE0EEENS1_30default_config_static_selectorELNS0_4arch9wavefront6targetE0EEEvSK_: ; @_ZN7rocprim17ROCPRIM_400000_NS6detail17trampoline_kernelINS0_14default_configENS1_36segmented_radix_sort_config_selectorIilEEZNS1_25segmented_radix_sort_implIS3_Lb0EPKiPiPKlPlN2at6native12_GLOBAL__N_18offset_tEEE10hipError_tPvRmT1_PNSt15iterator_traitsISK_E10value_typeET2_T3_PNSL_ISQ_E10value_typeET4_jRbjT5_SW_jjP12ihipStream_tbEUlT_E_NS1_11comp_targetILNS1_3genE2ELNS1_11target_archE906ELNS1_3gpuE6ELNS1_3repE0EEENS1_30default_config_static_selectorELNS0_4arch9wavefront6targetE0EEEvSK_
; %bb.0:
	.section	.rodata,"a",@progbits
	.p2align	6, 0x0
	.amdhsa_kernel _ZN7rocprim17ROCPRIM_400000_NS6detail17trampoline_kernelINS0_14default_configENS1_36segmented_radix_sort_config_selectorIilEEZNS1_25segmented_radix_sort_implIS3_Lb0EPKiPiPKlPlN2at6native12_GLOBAL__N_18offset_tEEE10hipError_tPvRmT1_PNSt15iterator_traitsISK_E10value_typeET2_T3_PNSL_ISQ_E10value_typeET4_jRbjT5_SW_jjP12ihipStream_tbEUlT_E_NS1_11comp_targetILNS1_3genE2ELNS1_11target_archE906ELNS1_3gpuE6ELNS1_3repE0EEENS1_30default_config_static_selectorELNS0_4arch9wavefront6targetE0EEEvSK_
		.amdhsa_group_segment_fixed_size 0
		.amdhsa_private_segment_fixed_size 0
		.amdhsa_kernarg_size 96
		.amdhsa_user_sgpr_count 2
		.amdhsa_user_sgpr_dispatch_ptr 0
		.amdhsa_user_sgpr_queue_ptr 0
		.amdhsa_user_sgpr_kernarg_segment_ptr 1
		.amdhsa_user_sgpr_dispatch_id 0
		.amdhsa_user_sgpr_private_segment_size 0
		.amdhsa_wavefront_size32 1
		.amdhsa_uses_dynamic_stack 0
		.amdhsa_enable_private_segment 0
		.amdhsa_system_sgpr_workgroup_id_x 1
		.amdhsa_system_sgpr_workgroup_id_y 0
		.amdhsa_system_sgpr_workgroup_id_z 0
		.amdhsa_system_sgpr_workgroup_info 0
		.amdhsa_system_vgpr_workitem_id 0
		.amdhsa_next_free_vgpr 1
		.amdhsa_next_free_sgpr 1
		.amdhsa_reserve_vcc 0
		.amdhsa_float_round_mode_32 0
		.amdhsa_float_round_mode_16_64 0
		.amdhsa_float_denorm_mode_32 3
		.amdhsa_float_denorm_mode_16_64 3
		.amdhsa_fp16_overflow 0
		.amdhsa_workgroup_processor_mode 1
		.amdhsa_memory_ordered 1
		.amdhsa_forward_progress 1
		.amdhsa_inst_pref_size 0
		.amdhsa_round_robin_scheduling 0
		.amdhsa_exception_fp_ieee_invalid_op 0
		.amdhsa_exception_fp_denorm_src 0
		.amdhsa_exception_fp_ieee_div_zero 0
		.amdhsa_exception_fp_ieee_overflow 0
		.amdhsa_exception_fp_ieee_underflow 0
		.amdhsa_exception_fp_ieee_inexact 0
		.amdhsa_exception_int_div_zero 0
	.end_amdhsa_kernel
	.section	.text._ZN7rocprim17ROCPRIM_400000_NS6detail17trampoline_kernelINS0_14default_configENS1_36segmented_radix_sort_config_selectorIilEEZNS1_25segmented_radix_sort_implIS3_Lb0EPKiPiPKlPlN2at6native12_GLOBAL__N_18offset_tEEE10hipError_tPvRmT1_PNSt15iterator_traitsISK_E10value_typeET2_T3_PNSL_ISQ_E10value_typeET4_jRbjT5_SW_jjP12ihipStream_tbEUlT_E_NS1_11comp_targetILNS1_3genE2ELNS1_11target_archE906ELNS1_3gpuE6ELNS1_3repE0EEENS1_30default_config_static_selectorELNS0_4arch9wavefront6targetE0EEEvSK_,"axG",@progbits,_ZN7rocprim17ROCPRIM_400000_NS6detail17trampoline_kernelINS0_14default_configENS1_36segmented_radix_sort_config_selectorIilEEZNS1_25segmented_radix_sort_implIS3_Lb0EPKiPiPKlPlN2at6native12_GLOBAL__N_18offset_tEEE10hipError_tPvRmT1_PNSt15iterator_traitsISK_E10value_typeET2_T3_PNSL_ISQ_E10value_typeET4_jRbjT5_SW_jjP12ihipStream_tbEUlT_E_NS1_11comp_targetILNS1_3genE2ELNS1_11target_archE906ELNS1_3gpuE6ELNS1_3repE0EEENS1_30default_config_static_selectorELNS0_4arch9wavefront6targetE0EEEvSK_,comdat
.Lfunc_end604:
	.size	_ZN7rocprim17ROCPRIM_400000_NS6detail17trampoline_kernelINS0_14default_configENS1_36segmented_radix_sort_config_selectorIilEEZNS1_25segmented_radix_sort_implIS3_Lb0EPKiPiPKlPlN2at6native12_GLOBAL__N_18offset_tEEE10hipError_tPvRmT1_PNSt15iterator_traitsISK_E10value_typeET2_T3_PNSL_ISQ_E10value_typeET4_jRbjT5_SW_jjP12ihipStream_tbEUlT_E_NS1_11comp_targetILNS1_3genE2ELNS1_11target_archE906ELNS1_3gpuE6ELNS1_3repE0EEENS1_30default_config_static_selectorELNS0_4arch9wavefront6targetE0EEEvSK_, .Lfunc_end604-_ZN7rocprim17ROCPRIM_400000_NS6detail17trampoline_kernelINS0_14default_configENS1_36segmented_radix_sort_config_selectorIilEEZNS1_25segmented_radix_sort_implIS3_Lb0EPKiPiPKlPlN2at6native12_GLOBAL__N_18offset_tEEE10hipError_tPvRmT1_PNSt15iterator_traitsISK_E10value_typeET2_T3_PNSL_ISQ_E10value_typeET4_jRbjT5_SW_jjP12ihipStream_tbEUlT_E_NS1_11comp_targetILNS1_3genE2ELNS1_11target_archE906ELNS1_3gpuE6ELNS1_3repE0EEENS1_30default_config_static_selectorELNS0_4arch9wavefront6targetE0EEEvSK_
                                        ; -- End function
	.set _ZN7rocprim17ROCPRIM_400000_NS6detail17trampoline_kernelINS0_14default_configENS1_36segmented_radix_sort_config_selectorIilEEZNS1_25segmented_radix_sort_implIS3_Lb0EPKiPiPKlPlN2at6native12_GLOBAL__N_18offset_tEEE10hipError_tPvRmT1_PNSt15iterator_traitsISK_E10value_typeET2_T3_PNSL_ISQ_E10value_typeET4_jRbjT5_SW_jjP12ihipStream_tbEUlT_E_NS1_11comp_targetILNS1_3genE2ELNS1_11target_archE906ELNS1_3gpuE6ELNS1_3repE0EEENS1_30default_config_static_selectorELNS0_4arch9wavefront6targetE0EEEvSK_.num_vgpr, 0
	.set _ZN7rocprim17ROCPRIM_400000_NS6detail17trampoline_kernelINS0_14default_configENS1_36segmented_radix_sort_config_selectorIilEEZNS1_25segmented_radix_sort_implIS3_Lb0EPKiPiPKlPlN2at6native12_GLOBAL__N_18offset_tEEE10hipError_tPvRmT1_PNSt15iterator_traitsISK_E10value_typeET2_T3_PNSL_ISQ_E10value_typeET4_jRbjT5_SW_jjP12ihipStream_tbEUlT_E_NS1_11comp_targetILNS1_3genE2ELNS1_11target_archE906ELNS1_3gpuE6ELNS1_3repE0EEENS1_30default_config_static_selectorELNS0_4arch9wavefront6targetE0EEEvSK_.num_agpr, 0
	.set _ZN7rocprim17ROCPRIM_400000_NS6detail17trampoline_kernelINS0_14default_configENS1_36segmented_radix_sort_config_selectorIilEEZNS1_25segmented_radix_sort_implIS3_Lb0EPKiPiPKlPlN2at6native12_GLOBAL__N_18offset_tEEE10hipError_tPvRmT1_PNSt15iterator_traitsISK_E10value_typeET2_T3_PNSL_ISQ_E10value_typeET4_jRbjT5_SW_jjP12ihipStream_tbEUlT_E_NS1_11comp_targetILNS1_3genE2ELNS1_11target_archE906ELNS1_3gpuE6ELNS1_3repE0EEENS1_30default_config_static_selectorELNS0_4arch9wavefront6targetE0EEEvSK_.numbered_sgpr, 0
	.set _ZN7rocprim17ROCPRIM_400000_NS6detail17trampoline_kernelINS0_14default_configENS1_36segmented_radix_sort_config_selectorIilEEZNS1_25segmented_radix_sort_implIS3_Lb0EPKiPiPKlPlN2at6native12_GLOBAL__N_18offset_tEEE10hipError_tPvRmT1_PNSt15iterator_traitsISK_E10value_typeET2_T3_PNSL_ISQ_E10value_typeET4_jRbjT5_SW_jjP12ihipStream_tbEUlT_E_NS1_11comp_targetILNS1_3genE2ELNS1_11target_archE906ELNS1_3gpuE6ELNS1_3repE0EEENS1_30default_config_static_selectorELNS0_4arch9wavefront6targetE0EEEvSK_.num_named_barrier, 0
	.set _ZN7rocprim17ROCPRIM_400000_NS6detail17trampoline_kernelINS0_14default_configENS1_36segmented_radix_sort_config_selectorIilEEZNS1_25segmented_radix_sort_implIS3_Lb0EPKiPiPKlPlN2at6native12_GLOBAL__N_18offset_tEEE10hipError_tPvRmT1_PNSt15iterator_traitsISK_E10value_typeET2_T3_PNSL_ISQ_E10value_typeET4_jRbjT5_SW_jjP12ihipStream_tbEUlT_E_NS1_11comp_targetILNS1_3genE2ELNS1_11target_archE906ELNS1_3gpuE6ELNS1_3repE0EEENS1_30default_config_static_selectorELNS0_4arch9wavefront6targetE0EEEvSK_.private_seg_size, 0
	.set _ZN7rocprim17ROCPRIM_400000_NS6detail17trampoline_kernelINS0_14default_configENS1_36segmented_radix_sort_config_selectorIilEEZNS1_25segmented_radix_sort_implIS3_Lb0EPKiPiPKlPlN2at6native12_GLOBAL__N_18offset_tEEE10hipError_tPvRmT1_PNSt15iterator_traitsISK_E10value_typeET2_T3_PNSL_ISQ_E10value_typeET4_jRbjT5_SW_jjP12ihipStream_tbEUlT_E_NS1_11comp_targetILNS1_3genE2ELNS1_11target_archE906ELNS1_3gpuE6ELNS1_3repE0EEENS1_30default_config_static_selectorELNS0_4arch9wavefront6targetE0EEEvSK_.uses_vcc, 0
	.set _ZN7rocprim17ROCPRIM_400000_NS6detail17trampoline_kernelINS0_14default_configENS1_36segmented_radix_sort_config_selectorIilEEZNS1_25segmented_radix_sort_implIS3_Lb0EPKiPiPKlPlN2at6native12_GLOBAL__N_18offset_tEEE10hipError_tPvRmT1_PNSt15iterator_traitsISK_E10value_typeET2_T3_PNSL_ISQ_E10value_typeET4_jRbjT5_SW_jjP12ihipStream_tbEUlT_E_NS1_11comp_targetILNS1_3genE2ELNS1_11target_archE906ELNS1_3gpuE6ELNS1_3repE0EEENS1_30default_config_static_selectorELNS0_4arch9wavefront6targetE0EEEvSK_.uses_flat_scratch, 0
	.set _ZN7rocprim17ROCPRIM_400000_NS6detail17trampoline_kernelINS0_14default_configENS1_36segmented_radix_sort_config_selectorIilEEZNS1_25segmented_radix_sort_implIS3_Lb0EPKiPiPKlPlN2at6native12_GLOBAL__N_18offset_tEEE10hipError_tPvRmT1_PNSt15iterator_traitsISK_E10value_typeET2_T3_PNSL_ISQ_E10value_typeET4_jRbjT5_SW_jjP12ihipStream_tbEUlT_E_NS1_11comp_targetILNS1_3genE2ELNS1_11target_archE906ELNS1_3gpuE6ELNS1_3repE0EEENS1_30default_config_static_selectorELNS0_4arch9wavefront6targetE0EEEvSK_.has_dyn_sized_stack, 0
	.set _ZN7rocprim17ROCPRIM_400000_NS6detail17trampoline_kernelINS0_14default_configENS1_36segmented_radix_sort_config_selectorIilEEZNS1_25segmented_radix_sort_implIS3_Lb0EPKiPiPKlPlN2at6native12_GLOBAL__N_18offset_tEEE10hipError_tPvRmT1_PNSt15iterator_traitsISK_E10value_typeET2_T3_PNSL_ISQ_E10value_typeET4_jRbjT5_SW_jjP12ihipStream_tbEUlT_E_NS1_11comp_targetILNS1_3genE2ELNS1_11target_archE906ELNS1_3gpuE6ELNS1_3repE0EEENS1_30default_config_static_selectorELNS0_4arch9wavefront6targetE0EEEvSK_.has_recursion, 0
	.set _ZN7rocprim17ROCPRIM_400000_NS6detail17trampoline_kernelINS0_14default_configENS1_36segmented_radix_sort_config_selectorIilEEZNS1_25segmented_radix_sort_implIS3_Lb0EPKiPiPKlPlN2at6native12_GLOBAL__N_18offset_tEEE10hipError_tPvRmT1_PNSt15iterator_traitsISK_E10value_typeET2_T3_PNSL_ISQ_E10value_typeET4_jRbjT5_SW_jjP12ihipStream_tbEUlT_E_NS1_11comp_targetILNS1_3genE2ELNS1_11target_archE906ELNS1_3gpuE6ELNS1_3repE0EEENS1_30default_config_static_selectorELNS0_4arch9wavefront6targetE0EEEvSK_.has_indirect_call, 0
	.section	.AMDGPU.csdata,"",@progbits
; Kernel info:
; codeLenInByte = 0
; TotalNumSgprs: 0
; NumVgprs: 0
; ScratchSize: 0
; MemoryBound: 0
; FloatMode: 240
; IeeeMode: 1
; LDSByteSize: 0 bytes/workgroup (compile time only)
; SGPRBlocks: 0
; VGPRBlocks: 0
; NumSGPRsForWavesPerEU: 1
; NumVGPRsForWavesPerEU: 1
; Occupancy: 16
; WaveLimiterHint : 0
; COMPUTE_PGM_RSRC2:SCRATCH_EN: 0
; COMPUTE_PGM_RSRC2:USER_SGPR: 2
; COMPUTE_PGM_RSRC2:TRAP_HANDLER: 0
; COMPUTE_PGM_RSRC2:TGID_X_EN: 1
; COMPUTE_PGM_RSRC2:TGID_Y_EN: 0
; COMPUTE_PGM_RSRC2:TGID_Z_EN: 0
; COMPUTE_PGM_RSRC2:TIDIG_COMP_CNT: 0
	.text
	.p2align	2                               ; -- Begin function _ZN7rocprim17ROCPRIM_400000_NS6detail40segmented_radix_sort_single_block_helperIilLj256ELj16ELb0EE4sortIPKiPiPKlPlEEbT_T0_T1_T2_jjjjRNS3_12storage_typeE
	.type	_ZN7rocprim17ROCPRIM_400000_NS6detail40segmented_radix_sort_single_block_helperIilLj256ELj16ELb0EE4sortIPKiPiPKlPlEEbT_T0_T1_T2_jjjjRNS3_12storage_typeE,@function
_ZN7rocprim17ROCPRIM_400000_NS6detail40segmented_radix_sort_single_block_helperIilLj256ELj16ELb0EE4sortIPKiPiPKlPlEEbT_T0_T1_T2_jjjjRNS3_12storage_typeE: ; @_ZN7rocprim17ROCPRIM_400000_NS6detail40segmented_radix_sort_single_block_helperIilLj256ELj16ELb0EE4sortIPKiPiPKlPlEEbT_T0_T1_T2_jjjjRNS3_12storage_typeE
; %bb.0:
	s_wait_loadcnt_dscnt 0x0
	s_wait_expcnt 0x0
	s_wait_samplecnt 0x0
	s_wait_bvhcnt 0x0
	s_wait_kmcnt 0x0
	s_clause 0x17
	scratch_store_b32 off, v40, s32 offset:92
	; meta instruction
	scratch_store_b32 off, v41, s32 offset:88
	; meta instruction
	;; [unrolled: 2-line block ×23, first 2 shown]
	scratch_store_b32 off, v79, s32
	v_sub_nc_u32_e32 v135, v9, v8
	s_mov_b32 s18, exec_lo
	s_delay_alu instid0(VALU_DEP_1)
	v_cmpx_gt_u32_e32 0x1001, v135
	s_cbranch_execz .LBB605_372
; %bb.1:
	v_bfe_u32 v9, v31, 10, 10
	v_bfe_u32 v13, v31, 20, 10
	v_and_b32_e32 v21, 0x3ff, v31
	v_mbcnt_lo_u32_b32 v96, -1, 0
	s_mov_b32 s0, exec_lo
	v_cmpx_lt_u32_e32 0x800, v135
	s_wait_alu 0xfffe
	s_xor_b32 s19, exec_lo, s0
	s_cbranch_execz .LBB605_143
; %bb.2:
	s_load_b64 s[0:1], s[8:9], 0x0
	s_and_b32 s2, ttmp7, 0xffff
	s_mov_b32 s3, 0
	v_dual_mov_b32 v113, -1 :: v_dual_lshlrev_b32 v16, 2, v96
	v_mov_b32_e32 v100, -1
	s_wait_kmcnt 0x0
	s_wait_alu 0xfffe
	s_cmp_lt_u32 s2, s1
	s_cselect_b32 s2, 14, 20
	s_cmp_lt_u32 ttmp9, s0
	s_wait_alu 0xfffe
	s_add_nc_u64 s[4:5], s[8:9], s[2:3]
	s_cselect_b32 s2, 12, 18
	s_load_u16 s4, s[4:5], 0x0
	s_add_nc_u64 s[0:1], s[8:9], s[2:3]
	s_load_u16 s0, s[0:1], 0x0
	s_wait_kmcnt 0x0
	v_mad_u32_u24 v9, v13, s4, v9
	s_delay_alu instid0(VALU_DEP_1) | instskip(SKIP_1) | instid1(VALU_DEP_1)
	v_mad_co_u64_u32 v[48:49], null, v9, s0, v[21:22]
	v_mov_b32_e32 v9, 0
	v_lshlrev_b64_e32 v[50:51], 2, v[8:9]
	s_delay_alu instid0(VALU_DEP_3) | instskip(NEXT) | instid1(VALU_DEP_2)
	v_dual_mov_b32 v14, v9 :: v_dual_lshlrev_b32 v13, 4, v48
	v_add_co_u32 v17, vcc_lo, v0, v50
	s_delay_alu instid0(VALU_DEP_2) | instskip(SKIP_1) | instid1(VALU_DEP_4)
	v_and_b32_e32 v13, 0xfffffe00, v13
	s_wait_alu 0xfffd
	v_add_co_ci_u32_e64 v18, null, v1, v51, vcc_lo
	s_delay_alu instid0(VALU_DEP_3) | instskip(NEXT) | instid1(VALU_DEP_3)
	v_add_co_u32 v16, vcc_lo, v17, v16
	v_lshlrev_b64_e32 v[0:1], 2, v[13:14]
	v_or_b32_e32 v15, v13, v96
	s_wait_alu 0xfffd
	v_add_co_ci_u32_e64 v17, null, 0, v18, vcc_lo
	s_delay_alu instid0(VALU_DEP_3) | instskip(NEXT) | instid1(VALU_DEP_3)
	v_add_co_u32 v0, s0, v16, v0
	v_cmp_lt_u32_e32 vcc_lo, v15, v135
	s_wait_alu 0xf1ff
	s_delay_alu instid0(VALU_DEP_3)
	v_add_co_ci_u32_e64 v1, null, v17, v1, s0
	s_and_saveexec_b32 s0, vcc_lo
	s_cbranch_execz .LBB605_4
; %bb.3:
	flat_load_b32 v16, v[0:1]
	s_wait_loadcnt_dscnt 0x0
	v_xor_b32_e32 v113, 0x80000000, v16
.LBB605_4:
	s_wait_alu 0xfffe
	s_or_b32 exec_lo, exec_lo, s0
	v_or_b32_e32 v16, 32, v15
	s_delay_alu instid0(VALU_DEP_1)
	v_cmp_lt_u32_e64 s0, v16, v135
	s_and_saveexec_b32 s1, s0
	s_cbranch_execz .LBB605_6
; %bb.5:
	flat_load_b32 v16, v[0:1] offset:128
	s_wait_loadcnt_dscnt 0x0
	v_xor_b32_e32 v100, 0x80000000, v16
.LBB605_6:
	s_wait_alu 0xfffe
	s_or_b32 exec_lo, exec_lo, s1
	v_or_b32_e32 v16, 64, v15
	v_mov_b32_e32 v115, -1
	v_mov_b32_e32 v117, -1
	s_delay_alu instid0(VALU_DEP_3)
	v_cmp_lt_u32_e64 s1, v16, v135
	s_and_saveexec_b32 s2, s1
	s_cbranch_execz .LBB605_8
; %bb.7:
	flat_load_b32 v16, v[0:1] offset:256
	s_wait_loadcnt_dscnt 0x0
	v_xor_b32_e32 v117, 0x80000000, v16
.LBB605_8:
	s_wait_alu 0xfffe
	s_or_b32 exec_lo, exec_lo, s2
	v_or_b32_e32 v16, 0x60, v15
	s_delay_alu instid0(VALU_DEP_1)
	v_cmp_lt_u32_e64 s2, v16, v135
	s_and_saveexec_b32 s3, s2
	s_cbranch_execz .LBB605_10
; %bb.9:
	flat_load_b32 v16, v[0:1] offset:384
	s_wait_loadcnt_dscnt 0x0
	v_xor_b32_e32 v115, 0x80000000, v16
.LBB605_10:
	s_wait_alu 0xfffe
	s_or_b32 exec_lo, exec_lo, s3
	v_or_b32_e32 v16, 0x80, v15
	v_mov_b32_e32 v119, -1
	v_mov_b32_e32 v129, -1
	s_delay_alu instid0(VALU_DEP_3)
	v_cmp_lt_u32_e64 s3, v16, v135
	s_and_saveexec_b32 s4, s3
	s_cbranch_execz .LBB605_12
; %bb.11:
	flat_load_b32 v16, v[0:1] offset:512
	s_wait_loadcnt_dscnt 0x0
	v_xor_b32_e32 v129, 0x80000000, v16
.LBB605_12:
	;; [unrolled: 26-line block ×4, first 2 shown]
	s_wait_alu 0xfffe
	s_or_b32 exec_lo, exec_lo, s10
	v_or_b32_e32 v16, 0x120, v15
	s_delay_alu instid0(VALU_DEP_1)
	v_cmp_lt_u32_e64 s10, v16, v135
	s_and_saveexec_b32 s11, s10
	s_cbranch_execz .LBB605_22
; %bb.21:
	flat_load_b32 v16, v[0:1] offset:1152
	s_wait_loadcnt_dscnt 0x0
	v_xor_b32_e32 v161, 0x80000000, v16
.LBB605_22:
	s_wait_alu 0xfffe
	s_or_b32 exec_lo, exec_lo, s11
	v_or_b32_e32 v16, 0x140, v15
	v_dual_mov_b32 v42, -1 :: v_dual_mov_b32 v43, -1
	s_delay_alu instid0(VALU_DEP_2)
	v_cmp_lt_u32_e64 s11, v16, v135
	s_and_saveexec_b32 s12, s11
	s_cbranch_execz .LBB605_24
; %bb.23:
	flat_load_b32 v16, v[0:1] offset:1280
	s_wait_loadcnt_dscnt 0x0
	v_xor_b32_e32 v43, 0x80000000, v16
.LBB605_24:
	s_wait_alu 0xfffe
	s_or_b32 exec_lo, exec_lo, s12
	v_or_b32_e32 v16, 0x160, v15
	s_delay_alu instid0(VALU_DEP_1)
	v_cmp_lt_u32_e64 s12, v16, v135
	s_and_saveexec_b32 s13, s12
	s_cbranch_execz .LBB605_26
; %bb.25:
	flat_load_b32 v16, v[0:1] offset:1408
	s_wait_loadcnt_dscnt 0x0
	v_xor_b32_e32 v42, 0x80000000, v16
.LBB605_26:
	s_wait_alu 0xfffe
	s_or_b32 exec_lo, exec_lo, s13
	v_or_b32_e32 v16, 0x180, v15
	v_dual_mov_b32 v44, -1 :: v_dual_mov_b32 v45, -1
	s_delay_alu instid0(VALU_DEP_2)
	v_cmp_lt_u32_e64 s13, v16, v135
	s_and_saveexec_b32 s14, s13
	s_cbranch_execz .LBB605_28
; %bb.27:
	flat_load_b32 v16, v[0:1] offset:1536
	s_wait_loadcnt_dscnt 0x0
	v_xor_b32_e32 v45, 0x80000000, v16
.LBB605_28:
	;; [unrolled: 25-line block ×3, first 2 shown]
	s_wait_alu 0xfffe
	s_or_b32 exec_lo, exec_lo, s16
	v_or_b32_e32 v15, 0x1e0, v15
	s_delay_alu instid0(VALU_DEP_1)
	v_cmp_lt_u32_e64 s16, v15, v135
	s_and_saveexec_b32 s17, s16
	s_cbranch_execz .LBB605_34
; %bb.33:
	flat_load_b32 v0, v[0:1] offset:1920
	s_wait_loadcnt_dscnt 0x0
	v_xor_b32_e32 v46, 0x80000000, v0
.LBB605_34:
	s_wait_alu 0xfffe
	s_or_b32 exec_lo, exec_lo, s17
	v_lshlrev_b64_e32 v[0:1], 3, v[8:9]
	v_lshlrev_b32_e32 v8, 3, v96
                                        ; implicit-def: $vgpr66_vgpr67
	s_delay_alu instid0(VALU_DEP_2) | instskip(SKIP_1) | instid1(VALU_DEP_3)
	v_add_co_u32 v9, s17, v4, v0
	s_wait_alu 0xf1ff
	v_add_co_ci_u32_e64 v15, null, v5, v1, s17
	v_lshlrev_b64_e32 v[4:5], 3, v[13:14]
	s_delay_alu instid0(VALU_DEP_3) | instskip(SKIP_1) | instid1(VALU_DEP_3)
	v_add_co_u32 v8, s17, v9, v8
	s_wait_alu 0xf1ff
	v_add_co_ci_u32_e64 v9, null, 0, v15, s17
	s_delay_alu instid0(VALU_DEP_2) | instskip(SKIP_1) | instid1(VALU_DEP_2)
	v_add_co_u32 v4, s17, v8, v4
	s_wait_alu 0xf1ff
	v_add_co_ci_u32_e64 v5, null, v9, v5, s17
	s_and_saveexec_b32 s17, vcc_lo
	s_cbranch_execnz .LBB605_196
; %bb.35:
	s_wait_alu 0xfffe
	s_or_b32 exec_lo, exec_lo, s17
                                        ; implicit-def: $vgpr64_vgpr65
	s_and_saveexec_b32 s17, s0
	s_cbranch_execnz .LBB605_197
.LBB605_36:
	s_wait_alu 0xfffe
	s_or_b32 exec_lo, exec_lo, s17
                                        ; implicit-def: $vgpr68_vgpr69
	s_and_saveexec_b32 s0, s1
	s_cbranch_execnz .LBB605_198
.LBB605_37:
	s_wait_alu 0xfffe
	s_or_b32 exec_lo, exec_lo, s0
                                        ; implicit-def: $vgpr70_vgpr71
	s_and_saveexec_b32 s0, s2
	s_cbranch_execnz .LBB605_199
.LBB605_38:
	s_wait_alu 0xfffe
	s_or_b32 exec_lo, exec_lo, s0
                                        ; implicit-def: $vgpr82_vgpr83
	s_and_saveexec_b32 s0, s3
	s_cbranch_execnz .LBB605_200
.LBB605_39:
	s_wait_alu 0xfffe
	s_or_b32 exec_lo, exec_lo, s0
                                        ; implicit-def: $vgpr80_vgpr81
	s_and_saveexec_b32 s0, s4
	s_cbranch_execnz .LBB605_201
.LBB605_40:
	s_wait_alu 0xfffe
	s_or_b32 exec_lo, exec_lo, s0
                                        ; implicit-def: $vgpr84_vgpr85
	s_and_saveexec_b32 s0, s5
	s_cbranch_execnz .LBB605_202
.LBB605_41:
	s_wait_alu 0xfffe
	s_or_b32 exec_lo, exec_lo, s0
                                        ; implicit-def: $vgpr86_vgpr87
	s_and_saveexec_b32 s0, s6
	s_cbranch_execnz .LBB605_203
.LBB605_42:
	s_wait_alu 0xfffe
	s_or_b32 exec_lo, exec_lo, s0
                                        ; implicit-def: $vgpr97_vgpr98
	s_and_saveexec_b32 s0, s7
	s_cbranch_execnz .LBB605_204
.LBB605_43:
	s_wait_alu 0xfffe
	s_or_b32 exec_lo, exec_lo, s0
                                        ; implicit-def: $vgpr102_vgpr103
	s_and_saveexec_b32 s0, s10
	s_cbranch_execnz .LBB605_205
.LBB605_44:
	s_wait_alu 0xfffe
	s_or_b32 exec_lo, exec_lo, s0
                                        ; implicit-def: $vgpr131_vgpr132
	s_and_saveexec_b32 s0, s11
	s_cbranch_execnz .LBB605_206
.LBB605_45:
	s_wait_alu 0xfffe
	s_or_b32 exec_lo, exec_lo, s0
                                        ; implicit-def: $vgpr133_vgpr134
	s_and_saveexec_b32 s0, s12
	s_cbranch_execnz .LBB605_207
.LBB605_46:
	s_wait_alu 0xfffe
	s_or_b32 exec_lo, exec_lo, s0
                                        ; implicit-def: $vgpr149_vgpr150
	s_and_saveexec_b32 s0, s13
	s_cbranch_execnz .LBB605_208
.LBB605_47:
	s_wait_alu 0xfffe
	s_or_b32 exec_lo, exec_lo, s0
                                        ; implicit-def: $vgpr165_vgpr166
	s_and_saveexec_b32 s0, s14
	s_cbranch_execnz .LBB605_209
.LBB605_48:
	s_wait_alu 0xfffe
	s_or_b32 exec_lo, exec_lo, s0
                                        ; implicit-def: $vgpr176_vgpr177
	s_and_saveexec_b32 s0, s15
	s_cbranch_execnz .LBB605_210
.LBB605_49:
	s_wait_alu 0xfffe
	s_or_b32 exec_lo, exec_lo, s0
                                        ; implicit-def: $vgpr178_vgpr179
	s_and_saveexec_b32 s0, s16
	s_cbranch_execz .LBB605_51
.LBB605_50:
	flat_load_b64 v[178:179], v[4:5] offset:3840
.LBB605_51:
	s_wait_alu 0xfffe
	s_or_b32 exec_lo, exec_lo, s0
	v_lshl_add_u32 v4, v21, 5, v12
	v_and_b32_e32 v5, 0x3e0, v21
	v_and_b32_e32 v8, 15, v96
	s_getpc_b64 s[0:1]
	s_wait_alu 0xfffe
	s_sext_i32_i16 s1, s1
	s_add_co_u32 s0, s0, _ZN7rocprim17ROCPRIM_400000_NS16block_radix_sortIiLj256ELj16ElLj1ELj1ELj8ELNS0_26block_radix_rank_algorithmE2ELNS0_18block_padding_hintE2ELNS0_4arch9wavefront6targetE0EE19radix_bits_per_passE@rel32@lo+12
	s_wait_alu 0xfffe
	s_add_co_ci_u32 s1, s1, _ZN7rocprim17ROCPRIM_400000_NS16block_radix_sortIiLj256ELj16ElLj1ELj1ELj8ELNS0_26block_radix_rank_algorithmE2ELNS0_18block_padding_hintE2ELNS0_4arch9wavefront6targetE0EE19radix_bits_per_passE@rel32@hi+24
	v_sub_co_u32 v9, s3, v96, 1
	v_add_nc_u32_e32 v49, 32, v4
	v_add_nc_u32_e32 v151, 36, v4
	;; [unrolled: 1-line block ×8, first 2 shown]
	v_min_u32_e32 v4, 0xe0, v5
	s_load_b32 s16, s[0:1], 0x0
	v_cmp_eq_u32_e32 vcc_lo, 0, v8
	v_cmp_lt_u32_e64 s0, 1, v8
	v_cmp_lt_u32_e64 s1, 3, v8
	v_or_b32_e32 v4, 31, v4
	v_cmp_lt_u32_e64 s2, 7, v8
	v_lshlrev_b32_e32 v8, 4, v21
	v_and_b32_e32 v5, 16, v96
	v_cmp_gt_i32_e64 s6, 0, v9
	v_cmp_eq_u32_e64 s5, v21, v4
	v_lshrrev_b32_e32 v193, 5, v48
	v_and_or_b32 v4, 0x3e00, v8, v96
	v_cmp_eq_u32_e64 s4, 0, v5
	v_lshrrev_b32_e32 v5, 3, v21
	s_wait_alu 0xf1ff
	v_cndmask_b32_e64 v8, v9, v96, s6
	v_and_b32_e32 v9, 7, v96
	v_lshlrev_b32_e32 v4, 2, v4
	v_cmp_gt_u32_e64 s6, 8, v21
	v_and_b32_e32 v5, 0x7c, v5
	v_lshlrev_b32_e32 v195, 2, v8
	v_lshlrev_b32_e32 v8, 2, v21
	v_add_nc_u32_e32 v196, v12, v4
	v_cmp_lt_u32_e64 s7, 31, v21
	v_cmp_eq_u32_e64 s10, 0, v21
	v_add_nc_u32_e32 v197, v12, v5
	s_delay_alu instid0(VALU_DEP_4)
	v_dual_mov_b32 v5, 0 :: v_dual_add_nc_u32 v198, v196, v4
	v_add_co_u32 v194, null, v12, v8
	v_cmp_eq_u32_e64 s11, 0, v9
	v_cmp_lt_u32_e64 s12, 1, v9
	v_cmp_lt_u32_e64 s13, 3, v9
	v_add_nc_u32_e32 v199, 0x600, v198
	v_add_nc_u32_e32 v208, 0x700, v198
	;; [unrolled: 1-line block ×10, first 2 shown]
	v_sub_nc_u32_e32 v225, v11, v10
	s_mov_b32 s17, 0
	s_wait_storecnt 0x0
	s_wait_loadcnt_dscnt 0x0
	s_barrier_signal -1
	s_barrier_wait -1
	global_inv scope:SCOPE_SE
	s_branch .LBB605_53
.LBB605_52:                             ;   in Loop: Header=BB605_53 Depth=1
	s_wait_alu 0xfffe
	s_or_b32 exec_lo, exec_lo, s15
	s_delay_alu instid0(SALU_CYCLE_1)
	s_and_b32 s14, exec_lo, s20
	s_wait_alu 0xfffe
	s_or_b32 s17, s14, s17
	s_wait_alu 0xfffe
	s_and_not1_b32 exec_lo, exec_lo, s17
	s_cbranch_execz .LBB605_93
.LBB605_53:                             ; =>This Inner Loop Header: Depth=1
	s_wait_kmcnt 0x0
	v_min_u32_e32 v4, s16, v225
	v_mov_b32_e32 v226, v113
	v_mov_b32_e32 v54, v80
	v_dual_mov_b32 v28, v68 :: v_dual_mov_b32 v29, v69
	s_delay_alu instid0(VALU_DEP_4) | instskip(SKIP_3) | instid1(VALU_DEP_4)
	v_lshlrev_b32_e64 v4, v4, -1
	v_dual_mov_b32 v55, v81 :: v_dual_mov_b32 v30, v64
	v_dual_mov_b32 v31, v65 :: v_dual_mov_b32 v8, v66
	v_mov_b32_e32 v9, v67
	v_not_b32_e32 v68, v4
	v_lshrrev_b32_e32 v4, v10, v226
	v_mov_b32_e32 v34, v84
	v_dual_mov_b32 v32, v86 :: v_dual_mov_b32 v19, v165
	v_mov_b32_e32 v52, v97
	s_delay_alu instid0(VALU_DEP_4) | instskip(SKIP_2) | instid1(VALU_DEP_3)
	v_and_b32_e32 v4, v4, v68
	v_mov_b32_e32 v230, v129
	v_dual_mov_b32 v240, v119 :: v_dual_mov_b32 v231, v147
	v_dual_mov_b32 v243, v161 :: v_dual_lshlrev_b32 v66, 30, v4
	v_and_b32_e32 v64, 1, v4
	v_lshlrev_b32_e32 v67, 29, v4
	v_dual_mov_b32 v242, v163 :: v_dual_lshlrev_b32 v69, 28, v4
	v_mov_b32_e32 v244, v43
	s_delay_alu instid0(VALU_DEP_4)
	v_add_co_u32 v64, s14, v64, -1
	s_wait_alu 0xf1ff
	v_cndmask_b32_e64 v65, 0, 1, s14
	v_mov_b32_e32 v246, v45
	v_mov_b32_e32 v38, v102
	v_dual_mov_b32 v36, v131 :: v_dual_mov_b32 v13, v133
	s_delay_alu instid0(VALU_DEP_4)
	v_cmp_ne_u32_e64 s14, 0, v65
	v_not_b32_e32 v65, v66
	v_dual_mov_b32 v22, v149 :: v_dual_mov_b32 v17, v176
	v_dual_mov_b32 v20, v166 :: v_dual_mov_b32 v15, v178
	s_wait_alu 0xf1ff
	v_xor_b32_e32 v64, s14, v64
	v_cmp_gt_i32_e64 s14, 0, v66
	v_ashrrev_i32_e32 v65, 31, v65
	v_not_b32_e32 v66, v67
	s_delay_alu instid0(VALU_DEP_4)
	v_dual_mov_b32 v245, v42 :: v_dual_and_b32 v64, exec_lo, v64
	v_mov_b32_e32 v41, v46
	s_wait_alu 0xf1ff
	v_xor_b32_e32 v65, s14, v65
	v_cmp_gt_i32_e64 s14, 0, v67
	v_ashrrev_i32_e32 v66, 31, v66
	v_not_b32_e32 v67, v69
	v_mov_b32_e32 v247, v44
	v_and_b32_e32 v64, v64, v65
	v_lshlrev_b32_e32 v65, 27, v4
	s_wait_alu 0xf1ff
	v_xor_b32_e32 v66, s14, v66
	v_cmp_gt_i32_e64 s14, 0, v69
	v_ashrrev_i32_e32 v67, 31, v67
	v_dual_mov_b32 v26, v70 :: v_dual_mov_b32 v27, v71
	v_not_b32_e32 v69, v65
	v_and_b32_e32 v64, v64, v66
	v_lshlrev_b32_e32 v66, 26, v4
	s_wait_alu 0xf1ff
	v_xor_b32_e32 v67, s14, v67
	v_cmp_gt_i32_e64 s14, 0, v65
	v_ashrrev_i32_e32 v65, 31, v69
	v_dual_mov_b32 v24, v82 :: v_dual_mov_b32 v25, v83
	v_not_b32_e32 v69, v66
	v_and_b32_e32 v64, v64, v67
	v_lshlrev_b32_e32 v67, 25, v4
	s_wait_alu 0xf1ff
	v_xor_b32_e32 v65, s14, v65
	v_cmp_gt_i32_e64 s14, 0, v66
	v_ashrrev_i32_e32 v66, 31, v69
	v_mov_b32_e32 v35, v85
	v_not_b32_e32 v69, v67
	v_and_b32_e32 v64, v64, v65
	v_lshlrev_b32_e32 v65, 24, v4
	s_wait_alu 0xf1ff
	v_xor_b32_e32 v66, s14, v66
	v_cmp_gt_i32_e64 s14, 0, v67
	v_ashrrev_i32_e32 v67, 31, v69
	v_lshl_add_u32 v4, v4, 3, v193
	v_not_b32_e32 v69, v65
	v_dual_mov_b32 v33, v87 :: v_dual_and_b32 v64, v64, v66
	s_wait_alu 0xf1ff
	v_xor_b32_e32 v66, s14, v67
	v_cmp_gt_i32_e64 s14, 0, v65
	v_ashrrev_i32_e32 v65, 31, v69
	v_mov_b32_e32 v53, v98
	s_delay_alu instid0(VALU_DEP_4)
	v_dual_mov_b32 v39, v103 :: v_dual_and_b32 v64, v64, v66
	v_lshlrev_b64_e32 v[66:67], 2, v[4:5]
	s_wait_alu 0xf1ff
	v_xor_b32_e32 v65, s14, v65
	v_dual_mov_b32 v40, v47 :: v_dual_mov_b32 v37, v132
	v_dual_mov_b32 v14, v134 :: v_dual_mov_b32 v23, v150
	s_delay_alu instid0(VALU_DEP_3) | instskip(SKIP_2) | instid1(VALU_DEP_3)
	v_and_b32_e32 v65, v64, v65
	v_add_co_u32 v64, null, v12, v66
	v_dual_mov_b32 v18, v177 :: v_dual_mov_b32 v229, v100
	v_mbcnt_lo_u32_b32 v4, v65, 0
	v_cmp_ne_u32_e64 s15, 0, v65
	v_dual_mov_b32 v16, v179 :: v_dual_mov_b32 v227, v115
	v_dual_mov_b32 v228, v117 :: v_dual_mov_b32 v241, v145
	s_delay_alu instid0(VALU_DEP_4)
	v_cmp_eq_u32_e64 s14, 0, v4
	v_add_co_u32 v64, null, v64, 32
	ds_store_b32 v49, v5
	ds_store_b32 v151, v5
	;; [unrolled: 1-line block ×4, first 2 shown]
	s_and_b32 s15, s15, s14
	ds_store_b32 v181, v5
	ds_store_b32 v182, v5
	;; [unrolled: 1-line block ×4, first 2 shown]
	s_wait_loadcnt_dscnt 0x0
	s_barrier_signal -1
	s_barrier_wait -1
	global_inv scope:SCOPE_SE
	; wave barrier
	s_wait_alu 0xfffe
	s_and_saveexec_b32 s14, s15
; %bb.54:                               ;   in Loop: Header=BB605_53 Depth=1
	v_bcnt_u32_b32 v65, v65, 0
	ds_store_b32 v64, v65
; %bb.55:                               ;   in Loop: Header=BB605_53 Depth=1
	s_wait_alu 0xfffe
	s_or_b32 exec_lo, exec_lo, s14
	v_lshrrev_b32_e32 v65, v10, v229
	; wave barrier
	s_delay_alu instid0(VALU_DEP_1) | instskip(NEXT) | instid1(VALU_DEP_1)
	v_and_b32_e32 v65, v65, v68
	v_and_b32_e32 v66, 1, v65
	v_lshlrev_b32_e32 v67, 30, v65
	v_lshlrev_b32_e32 v69, 29, v65
	;; [unrolled: 1-line block ×4, first 2 shown]
	v_add_co_u32 v66, s14, v66, -1
	s_wait_alu 0xf1ff
	v_cndmask_b32_e64 v71, 0, 1, s14
	v_not_b32_e32 v83, v67
	v_cmp_gt_i32_e64 s15, 0, v67
	v_not_b32_e32 v67, v69
	v_lshlrev_b32_e32 v81, 26, v65
	v_cmp_ne_u32_e64 s14, 0, v71
	v_ashrrev_i32_e32 v83, 31, v83
	v_lshlrev_b32_e32 v82, 25, v65
	v_ashrrev_i32_e32 v67, 31, v67
	v_lshlrev_b32_e32 v71, 24, v65
	s_wait_alu 0xf1ff
	v_xor_b32_e32 v66, s14, v66
	v_cmp_gt_i32_e64 s14, 0, v69
	v_not_b32_e32 v69, v70
	v_xor_b32_e32 v83, s15, v83
	v_cmp_gt_i32_e64 s15, 0, v70
	v_and_b32_e32 v66, exec_lo, v66
	v_not_b32_e32 v70, v80
	v_ashrrev_i32_e32 v69, 31, v69
	s_wait_alu 0xf1ff
	v_xor_b32_e32 v67, s14, v67
	v_cmp_gt_i32_e64 s14, 0, v80
	v_and_b32_e32 v66, v66, v83
	v_not_b32_e32 v80, v81
	v_ashrrev_i32_e32 v70, 31, v70
	v_xor_b32_e32 v69, s15, v69
	v_cmp_gt_i32_e64 s15, 0, v81
	v_and_b32_e32 v66, v66, v67
	v_not_b32_e32 v67, v82
	v_ashrrev_i32_e32 v80, 31, v80
	s_wait_alu 0xf1ff
	v_xor_b32_e32 v70, s14, v70
	v_cmp_gt_i32_e64 s14, 0, v82
	v_and_b32_e32 v66, v66, v69
	v_not_b32_e32 v69, v71
	v_ashrrev_i32_e32 v67, 31, v67
	v_xor_b32_e32 v80, s15, v80
	v_lshl_add_u32 v65, v65, 3, v193
	v_and_b32_e32 v66, v66, v70
	v_cmp_gt_i32_e64 s15, 0, v71
	v_ashrrev_i32_e32 v69, 31, v69
	s_wait_alu 0xf1ff
	v_xor_b32_e32 v67, s14, v67
	v_lshl_add_u32 v70, v65, 2, v12
	v_and_b32_e32 v66, v66, v80
	v_xor_b32_e32 v69, s15, v69
	ds_load_b32 v65, v70 offset:32
	v_and_b32_e32 v66, v66, v67
	v_add_nc_u32_e32 v67, 32, v70
	; wave barrier
	s_delay_alu instid0(VALU_DEP_2) | instskip(NEXT) | instid1(VALU_DEP_1)
	v_and_b32_e32 v69, v66, v69
	v_mbcnt_lo_u32_b32 v66, v69, 0
	v_cmp_ne_u32_e64 s15, 0, v69
	s_delay_alu instid0(VALU_DEP_2)
	v_cmp_eq_u32_e64 s14, 0, v66
	s_and_b32 s15, s15, s14
	s_wait_alu 0xfffe
	s_and_saveexec_b32 s14, s15
	s_cbranch_execz .LBB605_57
; %bb.56:                               ;   in Loop: Header=BB605_53 Depth=1
	s_wait_dscnt 0x0
	v_bcnt_u32_b32 v69, v69, v65
	ds_store_b32 v67, v69
.LBB605_57:                             ;   in Loop: Header=BB605_53 Depth=1
	s_wait_alu 0xfffe
	s_or_b32 exec_lo, exec_lo, s14
	v_lshrrev_b32_e32 v69, v10, v228
	; wave barrier
	s_delay_alu instid0(VALU_DEP_1) | instskip(NEXT) | instid1(VALU_DEP_1)
	v_and_b32_e32 v69, v69, v68
	v_and_b32_e32 v70, 1, v69
	v_lshlrev_b32_e32 v71, 30, v69
	v_lshlrev_b32_e32 v80, 29, v69
	;; [unrolled: 1-line block ×4, first 2 shown]
	v_add_co_u32 v70, s14, v70, -1
	s_wait_alu 0xf1ff
	v_cndmask_b32_e64 v82, 0, 1, s14
	v_not_b32_e32 v86, v71
	v_cmp_gt_i32_e64 s15, 0, v71
	v_not_b32_e32 v71, v80
	v_lshlrev_b32_e32 v84, 26, v69
	v_cmp_ne_u32_e64 s14, 0, v82
	v_ashrrev_i32_e32 v86, 31, v86
	v_lshlrev_b32_e32 v85, 25, v69
	v_ashrrev_i32_e32 v71, 31, v71
	v_lshlrev_b32_e32 v82, 24, v69
	s_wait_alu 0xf1ff
	v_xor_b32_e32 v70, s14, v70
	v_cmp_gt_i32_e64 s14, 0, v80
	v_not_b32_e32 v80, v81
	v_xor_b32_e32 v86, s15, v86
	v_cmp_gt_i32_e64 s15, 0, v81
	v_and_b32_e32 v70, exec_lo, v70
	v_not_b32_e32 v81, v83
	v_ashrrev_i32_e32 v80, 31, v80
	s_wait_alu 0xf1ff
	v_xor_b32_e32 v71, s14, v71
	v_cmp_gt_i32_e64 s14, 0, v83
	v_and_b32_e32 v70, v70, v86
	v_not_b32_e32 v83, v84
	v_ashrrev_i32_e32 v81, 31, v81
	v_xor_b32_e32 v80, s15, v80
	v_cmp_gt_i32_e64 s15, 0, v84
	v_and_b32_e32 v70, v70, v71
	v_not_b32_e32 v71, v85
	v_ashrrev_i32_e32 v83, 31, v83
	s_wait_alu 0xf1ff
	v_xor_b32_e32 v81, s14, v81
	v_cmp_gt_i32_e64 s14, 0, v85
	v_and_b32_e32 v70, v70, v80
	v_not_b32_e32 v80, v82
	v_ashrrev_i32_e32 v71, 31, v71
	v_xor_b32_e32 v83, s15, v83
	v_lshl_add_u32 v69, v69, 3, v193
	v_and_b32_e32 v70, v70, v81
	v_cmp_gt_i32_e64 s15, 0, v82
	v_ashrrev_i32_e32 v80, 31, v80
	s_wait_alu 0xf1ff
	v_xor_b32_e32 v71, s14, v71
	v_lshl_add_u32 v81, v69, 2, v12
	v_and_b32_e32 v70, v70, v83
	v_xor_b32_e32 v80, s15, v80
	ds_load_b32 v69, v81 offset:32
	v_and_b32_e32 v70, v70, v71
	v_add_nc_u32_e32 v71, 32, v81
	; wave barrier
	s_delay_alu instid0(VALU_DEP_2) | instskip(NEXT) | instid1(VALU_DEP_1)
	v_and_b32_e32 v80, v70, v80
	v_mbcnt_lo_u32_b32 v70, v80, 0
	v_cmp_ne_u32_e64 s15, 0, v80
	s_delay_alu instid0(VALU_DEP_2)
	v_cmp_eq_u32_e64 s14, 0, v70
	s_and_b32 s15, s15, s14
	s_wait_alu 0xfffe
	s_and_saveexec_b32 s14, s15
	s_cbranch_execz .LBB605_59
; %bb.58:                               ;   in Loop: Header=BB605_53 Depth=1
	s_wait_dscnt 0x0
	v_bcnt_u32_b32 v80, v80, v69
	ds_store_b32 v71, v80
.LBB605_59:                             ;   in Loop: Header=BB605_53 Depth=1
	s_wait_alu 0xfffe
	s_or_b32 exec_lo, exec_lo, s14
	v_lshrrev_b32_e32 v80, v10, v227
	; wave barrier
	s_delay_alu instid0(VALU_DEP_1) | instskip(NEXT) | instid1(VALU_DEP_1)
	v_and_b32_e32 v80, v80, v68
	v_and_b32_e32 v81, 1, v80
	v_lshlrev_b32_e32 v82, 30, v80
	v_lshlrev_b32_e32 v83, 29, v80
	;; [unrolled: 1-line block ×4, first 2 shown]
	v_add_co_u32 v81, s14, v81, -1
	s_wait_alu 0xf1ff
	v_cndmask_b32_e64 v85, 0, 1, s14
	v_not_b32_e32 v97, v82
	v_cmp_gt_i32_e64 s15, 0, v82
	v_not_b32_e32 v82, v83
	v_lshlrev_b32_e32 v87, 26, v80
	v_cmp_ne_u32_e64 s14, 0, v85
	v_ashrrev_i32_e32 v97, 31, v97
	v_lshlrev_b32_e32 v96, 25, v80
	v_ashrrev_i32_e32 v82, 31, v82
	v_lshlrev_b32_e32 v85, 24, v80
	s_wait_alu 0xf1ff
	v_xor_b32_e32 v81, s14, v81
	v_cmp_gt_i32_e64 s14, 0, v83
	v_not_b32_e32 v83, v84
	v_xor_b32_e32 v97, s15, v97
	v_cmp_gt_i32_e64 s15, 0, v84
	v_and_b32_e32 v81, exec_lo, v81
	v_not_b32_e32 v84, v86
	v_ashrrev_i32_e32 v83, 31, v83
	s_wait_alu 0xf1ff
	v_xor_b32_e32 v82, s14, v82
	v_cmp_gt_i32_e64 s14, 0, v86
	v_and_b32_e32 v81, v81, v97
	v_not_b32_e32 v86, v87
	v_ashrrev_i32_e32 v84, 31, v84
	v_xor_b32_e32 v83, s15, v83
	v_cmp_gt_i32_e64 s15, 0, v87
	v_and_b32_e32 v81, v81, v82
	v_not_b32_e32 v82, v96
	v_ashrrev_i32_e32 v86, 31, v86
	s_wait_alu 0xf1ff
	v_xor_b32_e32 v84, s14, v84
	v_cmp_gt_i32_e64 s14, 0, v96
	v_and_b32_e32 v81, v81, v83
	v_not_b32_e32 v83, v85
	v_ashrrev_i32_e32 v82, 31, v82
	v_xor_b32_e32 v86, s15, v86
	v_lshl_add_u32 v80, v80, 3, v193
	v_and_b32_e32 v81, v81, v84
	v_cmp_gt_i32_e64 s15, 0, v85
	v_ashrrev_i32_e32 v83, 31, v83
	s_wait_alu 0xf1ff
	v_xor_b32_e32 v82, s14, v82
	v_lshl_add_u32 v84, v80, 2, v12
	v_and_b32_e32 v81, v81, v86
	v_xor_b32_e32 v83, s15, v83
	ds_load_b32 v80, v84 offset:32
	v_and_b32_e32 v81, v81, v82
	v_add_nc_u32_e32 v82, 32, v84
	; wave barrier
	s_delay_alu instid0(VALU_DEP_2) | instskip(NEXT) | instid1(VALU_DEP_1)
	v_and_b32_e32 v83, v81, v83
	v_mbcnt_lo_u32_b32 v81, v83, 0
	v_cmp_ne_u32_e64 s15, 0, v83
	s_delay_alu instid0(VALU_DEP_2)
	v_cmp_eq_u32_e64 s14, 0, v81
	s_and_b32 s15, s15, s14
	s_wait_alu 0xfffe
	s_and_saveexec_b32 s14, s15
	s_cbranch_execz .LBB605_61
; %bb.60:                               ;   in Loop: Header=BB605_53 Depth=1
	s_wait_dscnt 0x0
	v_bcnt_u32_b32 v83, v83, v80
	ds_store_b32 v82, v83
.LBB605_61:                             ;   in Loop: Header=BB605_53 Depth=1
	s_wait_alu 0xfffe
	s_or_b32 exec_lo, exec_lo, s14
	v_lshrrev_b32_e32 v83, v10, v230
	; wave barrier
	s_delay_alu instid0(VALU_DEP_1) | instskip(NEXT) | instid1(VALU_DEP_1)
	v_and_b32_e32 v83, v83, v68
	v_and_b32_e32 v84, 1, v83
	v_lshlrev_b32_e32 v85, 30, v83
	v_lshlrev_b32_e32 v86, 29, v83
	;; [unrolled: 1-line block ×4, first 2 shown]
	v_add_co_u32 v84, s14, v84, -1
	s_wait_alu 0xf1ff
	v_cndmask_b32_e64 v96, 0, 1, s14
	v_not_b32_e32 v100, v85
	v_cmp_gt_i32_e64 s15, 0, v85
	v_not_b32_e32 v85, v86
	v_lshlrev_b32_e32 v98, 26, v83
	v_cmp_ne_u32_e64 s14, 0, v96
	v_ashrrev_i32_e32 v100, 31, v100
	v_lshlrev_b32_e32 v99, 25, v83
	v_ashrrev_i32_e32 v85, 31, v85
	v_lshlrev_b32_e32 v96, 24, v83
	s_wait_alu 0xf1ff
	v_xor_b32_e32 v84, s14, v84
	v_cmp_gt_i32_e64 s14, 0, v86
	v_not_b32_e32 v86, v87
	v_xor_b32_e32 v100, s15, v100
	v_cmp_gt_i32_e64 s15, 0, v87
	v_and_b32_e32 v84, exec_lo, v84
	v_not_b32_e32 v87, v97
	v_ashrrev_i32_e32 v86, 31, v86
	s_wait_alu 0xf1ff
	v_xor_b32_e32 v85, s14, v85
	v_cmp_gt_i32_e64 s14, 0, v97
	v_and_b32_e32 v84, v84, v100
	v_not_b32_e32 v97, v98
	v_ashrrev_i32_e32 v87, 31, v87
	v_xor_b32_e32 v86, s15, v86
	v_cmp_gt_i32_e64 s15, 0, v98
	v_and_b32_e32 v84, v84, v85
	v_not_b32_e32 v85, v99
	v_ashrrev_i32_e32 v97, 31, v97
	s_wait_alu 0xf1ff
	v_xor_b32_e32 v87, s14, v87
	v_cmp_gt_i32_e64 s14, 0, v99
	v_and_b32_e32 v84, v84, v86
	v_not_b32_e32 v86, v96
	v_ashrrev_i32_e32 v85, 31, v85
	v_xor_b32_e32 v97, s15, v97
	v_lshl_add_u32 v83, v83, 3, v193
	v_and_b32_e32 v84, v84, v87
	v_cmp_gt_i32_e64 s15, 0, v96
	v_ashrrev_i32_e32 v86, 31, v86
	s_wait_alu 0xf1ff
	v_xor_b32_e32 v85, s14, v85
	v_lshl_add_u32 v87, v83, 2, v12
	v_and_b32_e32 v84, v84, v97
	v_xor_b32_e32 v86, s15, v86
	ds_load_b32 v83, v87 offset:32
	v_and_b32_e32 v84, v84, v85
	v_add_nc_u32_e32 v85, 32, v87
	; wave barrier
	s_delay_alu instid0(VALU_DEP_2) | instskip(NEXT) | instid1(VALU_DEP_1)
	v_and_b32_e32 v86, v84, v86
	v_mbcnt_lo_u32_b32 v84, v86, 0
	v_cmp_ne_u32_e64 s15, 0, v86
	s_delay_alu instid0(VALU_DEP_2)
	v_cmp_eq_u32_e64 s14, 0, v84
	s_and_b32 s15, s15, s14
	s_wait_alu 0xfffe
	s_and_saveexec_b32 s14, s15
	s_cbranch_execz .LBB605_63
; %bb.62:                               ;   in Loop: Header=BB605_53 Depth=1
	s_wait_dscnt 0x0
	v_bcnt_u32_b32 v86, v86, v83
	ds_store_b32 v85, v86
.LBB605_63:                             ;   in Loop: Header=BB605_53 Depth=1
	s_wait_alu 0xfffe
	s_or_b32 exec_lo, exec_lo, s14
	v_lshrrev_b32_e32 v86, v10, v240
	; wave barrier
	s_delay_alu instid0(VALU_DEP_1) | instskip(NEXT) | instid1(VALU_DEP_1)
	v_and_b32_e32 v86, v86, v68
	v_and_b32_e32 v87, 1, v86
	v_lshlrev_b32_e32 v96, 30, v86
	v_lshlrev_b32_e32 v97, 29, v86
	;; [unrolled: 1-line block ×4, first 2 shown]
	v_add_co_u32 v87, s14, v87, -1
	s_wait_alu 0xf1ff
	v_cndmask_b32_e64 v99, 0, 1, s14
	v_not_b32_e32 v103, v96
	v_cmp_gt_i32_e64 s15, 0, v96
	v_not_b32_e32 v96, v97
	v_lshlrev_b32_e32 v101, 26, v86
	v_cmp_ne_u32_e64 s14, 0, v99
	v_ashrrev_i32_e32 v103, 31, v103
	v_lshlrev_b32_e32 v102, 25, v86
	v_ashrrev_i32_e32 v96, 31, v96
	v_lshlrev_b32_e32 v99, 24, v86
	s_wait_alu 0xf1ff
	v_xor_b32_e32 v87, s14, v87
	v_cmp_gt_i32_e64 s14, 0, v97
	v_not_b32_e32 v97, v98
	v_xor_b32_e32 v103, s15, v103
	v_cmp_gt_i32_e64 s15, 0, v98
	v_and_b32_e32 v87, exec_lo, v87
	v_not_b32_e32 v98, v100
	v_ashrrev_i32_e32 v97, 31, v97
	s_wait_alu 0xf1ff
	v_xor_b32_e32 v96, s14, v96
	v_cmp_gt_i32_e64 s14, 0, v100
	v_and_b32_e32 v87, v87, v103
	v_not_b32_e32 v100, v101
	v_ashrrev_i32_e32 v98, 31, v98
	v_xor_b32_e32 v97, s15, v97
	v_cmp_gt_i32_e64 s15, 0, v101
	v_and_b32_e32 v87, v87, v96
	v_not_b32_e32 v96, v102
	v_ashrrev_i32_e32 v100, 31, v100
	s_wait_alu 0xf1ff
	v_xor_b32_e32 v98, s14, v98
	v_cmp_gt_i32_e64 s14, 0, v102
	v_and_b32_e32 v87, v87, v97
	v_not_b32_e32 v97, v99
	v_ashrrev_i32_e32 v96, 31, v96
	v_xor_b32_e32 v100, s15, v100
	v_lshl_add_u32 v86, v86, 3, v193
	v_and_b32_e32 v87, v87, v98
	v_cmp_gt_i32_e64 s15, 0, v99
	v_ashrrev_i32_e32 v97, 31, v97
	s_wait_alu 0xf1ff
	v_xor_b32_e32 v96, s14, v96
	v_lshl_add_u32 v98, v86, 2, v12
	v_and_b32_e32 v87, v87, v100
	v_xor_b32_e32 v97, s15, v97
	ds_load_b32 v86, v98 offset:32
	v_and_b32_e32 v87, v87, v96
	v_add_nc_u32_e32 v96, 32, v98
	; wave barrier
	s_delay_alu instid0(VALU_DEP_2) | instskip(NEXT) | instid1(VALU_DEP_1)
	v_and_b32_e32 v97, v87, v97
	v_mbcnt_lo_u32_b32 v87, v97, 0
	v_cmp_ne_u32_e64 s15, 0, v97
	s_delay_alu instid0(VALU_DEP_2)
	v_cmp_eq_u32_e64 s14, 0, v87
	s_and_b32 s15, s15, s14
	s_wait_alu 0xfffe
	s_and_saveexec_b32 s14, s15
	s_cbranch_execz .LBB605_65
; %bb.64:                               ;   in Loop: Header=BB605_53 Depth=1
	s_wait_dscnt 0x0
	v_bcnt_u32_b32 v97, v97, v86
	ds_store_b32 v96, v97
.LBB605_65:                             ;   in Loop: Header=BB605_53 Depth=1
	s_wait_alu 0xfffe
	s_or_b32 exec_lo, exec_lo, s14
	v_lshrrev_b32_e32 v97, v10, v231
	; wave barrier
	s_delay_alu instid0(VALU_DEP_1) | instskip(NEXT) | instid1(VALU_DEP_1)
	v_and_b32_e32 v97, v97, v68
	v_and_b32_e32 v98, 1, v97
	v_lshlrev_b32_e32 v99, 30, v97
	v_lshlrev_b32_e32 v100, 29, v97
	;; [unrolled: 1-line block ×4, first 2 shown]
	v_add_co_u32 v98, s14, v98, -1
	s_wait_alu 0xf1ff
	v_cndmask_b32_e64 v102, 0, 1, s14
	v_not_b32_e32 v114, v99
	v_cmp_gt_i32_e64 s15, 0, v99
	v_not_b32_e32 v99, v100
	v_lshlrev_b32_e32 v112, 26, v97
	v_cmp_ne_u32_e64 s14, 0, v102
	v_ashrrev_i32_e32 v114, 31, v114
	v_lshlrev_b32_e32 v113, 25, v97
	v_ashrrev_i32_e32 v99, 31, v99
	v_lshlrev_b32_e32 v102, 24, v97
	s_wait_alu 0xf1ff
	v_xor_b32_e32 v98, s14, v98
	v_cmp_gt_i32_e64 s14, 0, v100
	v_not_b32_e32 v100, v101
	v_xor_b32_e32 v114, s15, v114
	v_cmp_gt_i32_e64 s15, 0, v101
	v_and_b32_e32 v98, exec_lo, v98
	v_not_b32_e32 v101, v103
	v_ashrrev_i32_e32 v100, 31, v100
	s_wait_alu 0xf1ff
	v_xor_b32_e32 v99, s14, v99
	v_cmp_gt_i32_e64 s14, 0, v103
	v_and_b32_e32 v98, v98, v114
	v_not_b32_e32 v103, v112
	v_ashrrev_i32_e32 v101, 31, v101
	v_xor_b32_e32 v100, s15, v100
	v_cmp_gt_i32_e64 s15, 0, v112
	v_and_b32_e32 v98, v98, v99
	v_not_b32_e32 v99, v113
	v_ashrrev_i32_e32 v103, 31, v103
	s_wait_alu 0xf1ff
	v_xor_b32_e32 v101, s14, v101
	v_cmp_gt_i32_e64 s14, 0, v113
	v_and_b32_e32 v98, v98, v100
	v_not_b32_e32 v100, v102
	v_ashrrev_i32_e32 v99, 31, v99
	v_xor_b32_e32 v103, s15, v103
	v_lshl_add_u32 v97, v97, 3, v193
	v_and_b32_e32 v98, v98, v101
	v_cmp_gt_i32_e64 s15, 0, v102
	v_ashrrev_i32_e32 v100, 31, v100
	s_wait_alu 0xf1ff
	v_xor_b32_e32 v99, s14, v99
	v_lshl_add_u32 v101, v97, 2, v12
	v_and_b32_e32 v98, v98, v103
	v_xor_b32_e32 v97, s15, v100
	s_delay_alu instid0(VALU_DEP_2) | instskip(SKIP_3) | instid1(VALU_DEP_2)
	v_and_b32_e32 v99, v98, v99
	ds_load_b32 v98, v101 offset:32
	; wave barrier
	v_and_b32_e32 v97, v99, v97
	v_add_nc_u32_e32 v99, 32, v101
	v_mbcnt_lo_u32_b32 v103, v97, 0
	v_cmp_ne_u32_e64 s15, 0, v97
	s_delay_alu instid0(VALU_DEP_2)
	v_cmp_eq_u32_e64 s14, 0, v103
	s_and_b32 s15, s15, s14
	s_wait_alu 0xfffe
	s_and_saveexec_b32 s14, s15
	s_cbranch_execz .LBB605_67
; %bb.66:                               ;   in Loop: Header=BB605_53 Depth=1
	s_wait_dscnt 0x0
	v_bcnt_u32_b32 v97, v97, v98
	ds_store_b32 v99, v97
.LBB605_67:                             ;   in Loop: Header=BB605_53 Depth=1
	s_wait_alu 0xfffe
	s_or_b32 exec_lo, exec_lo, s14
	v_lshrrev_b32_e32 v97, v10, v241
	; wave barrier
	s_delay_alu instid0(VALU_DEP_1) | instskip(NEXT) | instid1(VALU_DEP_1)
	v_and_b32_e32 v97, v97, v68
	v_and_b32_e32 v100, 1, v97
	v_lshlrev_b32_e32 v101, 30, v97
	v_lshlrev_b32_e32 v102, 29, v97
	;; [unrolled: 1-line block ×4, first 2 shown]
	v_add_co_u32 v100, s14, v100, -1
	s_wait_alu 0xf1ff
	v_cndmask_b32_e64 v113, 0, 1, s14
	v_not_b32_e32 v117, v101
	v_cmp_gt_i32_e64 s15, 0, v101
	v_not_b32_e32 v101, v102
	v_lshlrev_b32_e32 v115, 26, v97
	v_cmp_ne_u32_e64 s14, 0, v113
	v_ashrrev_i32_e32 v117, 31, v117
	v_lshlrev_b32_e32 v116, 25, v97
	v_ashrrev_i32_e32 v101, 31, v101
	v_lshlrev_b32_e32 v113, 24, v97
	s_wait_alu 0xf1ff
	v_xor_b32_e32 v100, s14, v100
	v_cmp_gt_i32_e64 s14, 0, v102
	v_not_b32_e32 v102, v112
	v_xor_b32_e32 v117, s15, v117
	v_cmp_gt_i32_e64 s15, 0, v112
	v_and_b32_e32 v100, exec_lo, v100
	v_not_b32_e32 v112, v114
	v_ashrrev_i32_e32 v102, 31, v102
	s_wait_alu 0xf1ff
	v_xor_b32_e32 v101, s14, v101
	v_cmp_gt_i32_e64 s14, 0, v114
	v_and_b32_e32 v100, v100, v117
	v_not_b32_e32 v114, v115
	v_ashrrev_i32_e32 v112, 31, v112
	v_xor_b32_e32 v102, s15, v102
	v_cmp_gt_i32_e64 s15, 0, v115
	v_and_b32_e32 v100, v100, v101
	v_not_b32_e32 v101, v116
	v_ashrrev_i32_e32 v114, 31, v114
	s_wait_alu 0xf1ff
	v_xor_b32_e32 v112, s14, v112
	v_cmp_gt_i32_e64 s14, 0, v116
	v_and_b32_e32 v100, v100, v102
	v_not_b32_e32 v102, v113
	v_ashrrev_i32_e32 v101, 31, v101
	v_xor_b32_e32 v114, s15, v114
	v_lshl_add_u32 v97, v97, 3, v193
	v_and_b32_e32 v100, v100, v112
	v_cmp_gt_i32_e64 s15, 0, v113
	v_ashrrev_i32_e32 v102, 31, v102
	s_wait_alu 0xf1ff
	v_xor_b32_e32 v101, s14, v101
	v_lshl_add_u32 v112, v97, 2, v12
	v_and_b32_e32 v100, v100, v114
	v_xor_b32_e32 v97, s15, v102
	ds_load_b32 v116, v112 offset:32
	v_and_b32_e32 v100, v100, v101
	v_add_nc_u32_e32 v101, 32, v112
	; wave barrier
	s_delay_alu instid0(VALU_DEP_2) | instskip(NEXT) | instid1(VALU_DEP_1)
	v_and_b32_e32 v97, v100, v97
	v_mbcnt_lo_u32_b32 v128, v97, 0
	v_cmp_ne_u32_e64 s15, 0, v97
	s_delay_alu instid0(VALU_DEP_2)
	v_cmp_eq_u32_e64 s14, 0, v128
	s_and_b32 s15, s15, s14
	s_wait_alu 0xfffe
	s_and_saveexec_b32 s14, s15
	s_cbranch_execz .LBB605_69
; %bb.68:                               ;   in Loop: Header=BB605_53 Depth=1
	s_wait_dscnt 0x0
	v_bcnt_u32_b32 v97, v97, v116
	ds_store_b32 v101, v97
.LBB605_69:                             ;   in Loop: Header=BB605_53 Depth=1
	s_wait_alu 0xfffe
	s_or_b32 exec_lo, exec_lo, s14
	v_lshrrev_b32_e32 v97, v10, v242
	; wave barrier
	s_delay_alu instid0(VALU_DEP_1) | instskip(NEXT) | instid1(VALU_DEP_1)
	v_and_b32_e32 v97, v97, v68
	v_and_b32_e32 v100, 1, v97
	v_lshlrev_b32_e32 v102, 30, v97
	v_lshlrev_b32_e32 v112, 29, v97
	;; [unrolled: 1-line block ×4, first 2 shown]
	v_add_co_u32 v100, s14, v100, -1
	s_wait_alu 0xf1ff
	v_cndmask_b32_e64 v114, 0, 1, s14
	v_not_b32_e32 v119, v102
	v_cmp_gt_i32_e64 s15, 0, v102
	v_not_b32_e32 v102, v112
	v_lshlrev_b32_e32 v117, 26, v97
	v_cmp_ne_u32_e64 s14, 0, v114
	v_ashrrev_i32_e32 v119, 31, v119
	v_lshlrev_b32_e32 v118, 25, v97
	v_ashrrev_i32_e32 v102, 31, v102
	v_lshlrev_b32_e32 v114, 24, v97
	s_wait_alu 0xf1ff
	v_xor_b32_e32 v100, s14, v100
	v_cmp_gt_i32_e64 s14, 0, v112
	v_not_b32_e32 v112, v113
	v_xor_b32_e32 v119, s15, v119
	v_cmp_gt_i32_e64 s15, 0, v113
	v_and_b32_e32 v100, exec_lo, v100
	v_not_b32_e32 v113, v115
	v_ashrrev_i32_e32 v112, 31, v112
	s_wait_alu 0xf1ff
	v_xor_b32_e32 v102, s14, v102
	v_cmp_gt_i32_e64 s14, 0, v115
	v_and_b32_e32 v100, v100, v119
	v_not_b32_e32 v115, v117
	v_ashrrev_i32_e32 v113, 31, v113
	v_xor_b32_e32 v112, s15, v112
	v_cmp_gt_i32_e64 s15, 0, v117
	v_and_b32_e32 v100, v100, v102
	v_not_b32_e32 v102, v118
	v_ashrrev_i32_e32 v115, 31, v115
	s_wait_alu 0xf1ff
	v_xor_b32_e32 v113, s14, v113
	v_cmp_gt_i32_e64 s14, 0, v118
	v_and_b32_e32 v100, v100, v112
	v_not_b32_e32 v112, v114
	v_ashrrev_i32_e32 v102, 31, v102
	v_xor_b32_e32 v115, s15, v115
	v_lshl_add_u32 v97, v97, 3, v193
	v_and_b32_e32 v100, v100, v113
	v_cmp_gt_i32_e64 s15, 0, v114
	v_ashrrev_i32_e32 v112, 31, v112
	s_wait_alu 0xf1ff
	v_xor_b32_e32 v102, s14, v102
	v_lshl_add_u32 v113, v97, 2, v12
	v_and_b32_e32 v100, v100, v115
	v_xor_b32_e32 v97, s15, v112
	ds_load_b32 v130, v113 offset:32
	v_and_b32_e32 v100, v100, v102
	v_add_nc_u32_e32 v112, 32, v113
	; wave barrier
	s_delay_alu instid0(VALU_DEP_2) | instskip(NEXT) | instid1(VALU_DEP_1)
	v_and_b32_e32 v97, v100, v97
	v_mbcnt_lo_u32_b32 v132, v97, 0
	v_cmp_ne_u32_e64 s15, 0, v97
	s_delay_alu instid0(VALU_DEP_2)
	v_cmp_eq_u32_e64 s14, 0, v132
	s_and_b32 s15, s15, s14
	s_wait_alu 0xfffe
	s_and_saveexec_b32 s14, s15
	s_cbranch_execz .LBB605_71
; %bb.70:                               ;   in Loop: Header=BB605_53 Depth=1
	s_wait_dscnt 0x0
	v_bcnt_u32_b32 v97, v97, v130
	ds_store_b32 v112, v97
.LBB605_71:                             ;   in Loop: Header=BB605_53 Depth=1
	s_wait_alu 0xfffe
	s_or_b32 exec_lo, exec_lo, s14
	v_lshrrev_b32_e32 v97, v10, v243
	; wave barrier
	s_delay_alu instid0(VALU_DEP_1) | instskip(NEXT) | instid1(VALU_DEP_1)
	v_and_b32_e32 v97, v97, v68
	v_and_b32_e32 v100, 1, v97
	v_lshlrev_b32_e32 v102, 30, v97
	v_lshlrev_b32_e32 v113, 29, v97
	;; [unrolled: 1-line block ×4, first 2 shown]
	v_add_co_u32 v100, s14, v100, -1
	s_wait_alu 0xf1ff
	v_cndmask_b32_e64 v115, 0, 1, s14
	v_not_b32_e32 v129, v102
	v_cmp_gt_i32_e64 s15, 0, v102
	v_not_b32_e32 v102, v113
	v_lshlrev_b32_e32 v118, 26, v97
	v_cmp_ne_u32_e64 s14, 0, v115
	v_ashrrev_i32_e32 v129, 31, v129
	v_lshlrev_b32_e32 v119, 25, v97
	v_ashrrev_i32_e32 v102, 31, v102
	v_lshlrev_b32_e32 v115, 24, v97
	s_wait_alu 0xf1ff
	v_xor_b32_e32 v100, s14, v100
	v_cmp_gt_i32_e64 s14, 0, v113
	v_not_b32_e32 v113, v114
	v_xor_b32_e32 v129, s15, v129
	v_cmp_gt_i32_e64 s15, 0, v114
	v_and_b32_e32 v100, exec_lo, v100
	v_not_b32_e32 v114, v117
	v_ashrrev_i32_e32 v113, 31, v113
	s_wait_alu 0xf1ff
	v_xor_b32_e32 v102, s14, v102
	v_cmp_gt_i32_e64 s14, 0, v117
	v_and_b32_e32 v100, v100, v129
	v_not_b32_e32 v117, v118
	v_ashrrev_i32_e32 v114, 31, v114
	v_xor_b32_e32 v113, s15, v113
	v_cmp_gt_i32_e64 s15, 0, v118
	v_and_b32_e32 v100, v100, v102
	v_not_b32_e32 v102, v119
	v_ashrrev_i32_e32 v117, 31, v117
	s_wait_alu 0xf1ff
	v_xor_b32_e32 v114, s14, v114
	v_cmp_gt_i32_e64 s14, 0, v119
	v_and_b32_e32 v100, v100, v113
	v_not_b32_e32 v113, v115
	v_ashrrev_i32_e32 v102, 31, v102
	v_xor_b32_e32 v117, s15, v117
	v_lshl_add_u32 v97, v97, 3, v193
	v_and_b32_e32 v100, v100, v114
	v_cmp_gt_i32_e64 s15, 0, v115
	v_ashrrev_i32_e32 v113, 31, v113
	s_wait_alu 0xf1ff
	v_xor_b32_e32 v102, s14, v102
	v_lshl_add_u32 v114, v97, 2, v12
	v_and_b32_e32 v100, v100, v117
	v_xor_b32_e32 v97, s15, v113
	ds_load_b32 v133, v114 offset:32
	v_and_b32_e32 v100, v100, v102
	v_add_nc_u32_e32 v114, 32, v114
	; wave barrier
	s_delay_alu instid0(VALU_DEP_2) | instskip(NEXT) | instid1(VALU_DEP_1)
	v_and_b32_e32 v97, v100, v97
	v_mbcnt_lo_u32_b32 v134, v97, 0
	v_cmp_ne_u32_e64 s15, 0, v97
	s_delay_alu instid0(VALU_DEP_2)
	v_cmp_eq_u32_e64 s14, 0, v134
	s_and_b32 s15, s15, s14
	s_wait_alu 0xfffe
	s_and_saveexec_b32 s14, s15
	s_cbranch_execz .LBB605_73
; %bb.72:                               ;   in Loop: Header=BB605_53 Depth=1
	s_wait_dscnt 0x0
	v_bcnt_u32_b32 v97, v97, v133
	ds_store_b32 v114, v97
.LBB605_73:                             ;   in Loop: Header=BB605_53 Depth=1
	s_wait_alu 0xfffe
	s_or_b32 exec_lo, exec_lo, s14
	v_lshrrev_b32_e32 v97, v10, v244
	; wave barrier
	s_delay_alu instid0(VALU_DEP_1) | instskip(NEXT) | instid1(VALU_DEP_1)
	v_and_b32_e32 v97, v97, v68
	v_and_b32_e32 v100, 1, v97
	v_lshlrev_b32_e32 v102, 30, v97
	v_lshlrev_b32_e32 v113, 29, v97
	;; [unrolled: 1-line block ×4, first 2 shown]
	v_add_co_u32 v100, s14, v100, -1
	s_wait_alu 0xf1ff
	v_cndmask_b32_e64 v117, 0, 1, s14
	v_not_b32_e32 v131, v102
	v_cmp_gt_i32_e64 s15, 0, v102
	v_not_b32_e32 v102, v113
	v_lshlrev_b32_e32 v119, 26, v97
	v_cmp_ne_u32_e64 s14, 0, v117
	v_ashrrev_i32_e32 v131, 31, v131
	v_lshlrev_b32_e32 v129, 25, v97
	v_ashrrev_i32_e32 v102, 31, v102
	v_lshlrev_b32_e32 v117, 24, v97
	s_wait_alu 0xf1ff
	v_xor_b32_e32 v100, s14, v100
	v_cmp_gt_i32_e64 s14, 0, v113
	v_not_b32_e32 v113, v115
	v_xor_b32_e32 v131, s15, v131
	v_cmp_gt_i32_e64 s15, 0, v115
	v_and_b32_e32 v100, exec_lo, v100
	v_not_b32_e32 v115, v118
	v_ashrrev_i32_e32 v113, 31, v113
	s_wait_alu 0xf1ff
	v_xor_b32_e32 v102, s14, v102
	v_cmp_gt_i32_e64 s14, 0, v118
	v_and_b32_e32 v100, v100, v131
	v_not_b32_e32 v118, v119
	v_ashrrev_i32_e32 v115, 31, v115
	v_xor_b32_e32 v113, s15, v113
	v_cmp_gt_i32_e64 s15, 0, v119
	v_and_b32_e32 v100, v100, v102
	v_not_b32_e32 v102, v129
	v_ashrrev_i32_e32 v118, 31, v118
	s_wait_alu 0xf1ff
	v_xor_b32_e32 v115, s14, v115
	v_cmp_gt_i32_e64 s14, 0, v129
	v_and_b32_e32 v100, v100, v113
	v_not_b32_e32 v113, v117
	v_ashrrev_i32_e32 v102, 31, v102
	v_xor_b32_e32 v118, s15, v118
	v_lshl_add_u32 v97, v97, 3, v193
	v_and_b32_e32 v100, v100, v115
	v_cmp_gt_i32_e64 s15, 0, v117
	v_ashrrev_i32_e32 v113, 31, v113
	s_wait_alu 0xf1ff
	v_xor_b32_e32 v102, s14, v102
	v_lshl_add_u32 v115, v97, 2, v12
	v_and_b32_e32 v100, v100, v118
	v_xor_b32_e32 v97, s15, v113
	ds_load_b32 v144, v115 offset:32
	v_and_b32_e32 v100, v100, v102
	v_add_nc_u32_e32 v118, 32, v115
	; wave barrier
	s_delay_alu instid0(VALU_DEP_2) | instskip(NEXT) | instid1(VALU_DEP_1)
	v_and_b32_e32 v97, v100, v97
	v_mbcnt_lo_u32_b32 v146, v97, 0
	v_cmp_ne_u32_e64 s15, 0, v97
	s_delay_alu instid0(VALU_DEP_2)
	v_cmp_eq_u32_e64 s14, 0, v146
	s_and_b32 s15, s15, s14
	s_wait_alu 0xfffe
	s_and_saveexec_b32 s14, s15
	s_cbranch_execz .LBB605_75
; %bb.74:                               ;   in Loop: Header=BB605_53 Depth=1
	s_wait_dscnt 0x0
	v_bcnt_u32_b32 v97, v97, v144
	ds_store_b32 v118, v97
.LBB605_75:                             ;   in Loop: Header=BB605_53 Depth=1
	s_wait_alu 0xfffe
	s_or_b32 exec_lo, exec_lo, s14
	v_lshrrev_b32_e32 v97, v10, v245
	; wave barrier
	s_delay_alu instid0(VALU_DEP_1) | instskip(NEXT) | instid1(VALU_DEP_1)
	v_and_b32_e32 v97, v97, v68
	v_and_b32_e32 v100, 1, v97
	v_lshlrev_b32_e32 v102, 30, v97
	v_lshlrev_b32_e32 v113, 29, v97
	;; [unrolled: 1-line block ×4, first 2 shown]
	v_add_co_u32 v100, s14, v100, -1
	s_wait_alu 0xf1ff
	v_cndmask_b32_e64 v117, 0, 1, s14
	v_not_b32_e32 v145, v102
	v_cmp_gt_i32_e64 s15, 0, v102
	v_not_b32_e32 v102, v113
	v_lshlrev_b32_e32 v129, 26, v97
	v_cmp_ne_u32_e64 s14, 0, v117
	v_ashrrev_i32_e32 v145, 31, v145
	v_lshlrev_b32_e32 v131, 25, v97
	v_ashrrev_i32_e32 v102, 31, v102
	v_lshlrev_b32_e32 v117, 24, v97
	s_wait_alu 0xf1ff
	v_xor_b32_e32 v100, s14, v100
	v_cmp_gt_i32_e64 s14, 0, v113
	v_not_b32_e32 v113, v115
	v_xor_b32_e32 v145, s15, v145
	v_cmp_gt_i32_e64 s15, 0, v115
	v_and_b32_e32 v100, exec_lo, v100
	v_not_b32_e32 v115, v119
	v_ashrrev_i32_e32 v113, 31, v113
	s_wait_alu 0xf1ff
	v_xor_b32_e32 v102, s14, v102
	v_cmp_gt_i32_e64 s14, 0, v119
	v_and_b32_e32 v100, v100, v145
	v_not_b32_e32 v119, v129
	v_ashrrev_i32_e32 v115, 31, v115
	v_xor_b32_e32 v113, s15, v113
	v_cmp_gt_i32_e64 s15, 0, v129
	v_and_b32_e32 v100, v100, v102
	v_not_b32_e32 v102, v131
	v_ashrrev_i32_e32 v119, 31, v119
	s_wait_alu 0xf1ff
	v_xor_b32_e32 v115, s14, v115
	v_cmp_gt_i32_e64 s14, 0, v131
	v_and_b32_e32 v100, v100, v113
	v_not_b32_e32 v113, v117
	v_ashrrev_i32_e32 v102, 31, v102
	v_xor_b32_e32 v119, s15, v119
	v_lshl_add_u32 v97, v97, 3, v193
	v_and_b32_e32 v100, v100, v115
	v_cmp_gt_i32_e64 s15, 0, v117
	v_ashrrev_i32_e32 v113, 31, v113
	s_wait_alu 0xf1ff
	v_xor_b32_e32 v102, s14, v102
	v_lshl_add_u32 v115, v97, 2, v12
	v_and_b32_e32 v100, v100, v119
	v_xor_b32_e32 v97, s15, v113
	ds_load_b32 v150, v115 offset:32
	v_and_b32_e32 v100, v100, v102
	v_add_nc_u32_e32 v145, 32, v115
	; wave barrier
	s_delay_alu instid0(VALU_DEP_2) | instskip(NEXT) | instid1(VALU_DEP_1)
	v_and_b32_e32 v97, v100, v97
	v_mbcnt_lo_u32_b32 v160, v97, 0
	v_cmp_ne_u32_e64 s15, 0, v97
	s_delay_alu instid0(VALU_DEP_2)
	v_cmp_eq_u32_e64 s14, 0, v160
	s_and_b32 s15, s15, s14
	s_wait_alu 0xfffe
	s_and_saveexec_b32 s14, s15
	s_cbranch_execz .LBB605_77
; %bb.76:                               ;   in Loop: Header=BB605_53 Depth=1
	s_wait_dscnt 0x0
	v_bcnt_u32_b32 v97, v97, v150
	ds_store_b32 v145, v97
.LBB605_77:                             ;   in Loop: Header=BB605_53 Depth=1
	s_wait_alu 0xfffe
	s_or_b32 exec_lo, exec_lo, s14
	v_lshrrev_b32_e32 v97, v10, v246
	; wave barrier
	s_delay_alu instid0(VALU_DEP_1) | instskip(NEXT) | instid1(VALU_DEP_1)
	v_and_b32_e32 v97, v97, v68
	v_and_b32_e32 v100, 1, v97
	v_lshlrev_b32_e32 v102, 30, v97
	v_lshlrev_b32_e32 v113, 29, v97
	;; [unrolled: 1-line block ×4, first 2 shown]
	v_add_co_u32 v100, s14, v100, -1
	s_wait_alu 0xf1ff
	v_cndmask_b32_e64 v117, 0, 1, s14
	v_not_b32_e32 v147, v102
	v_cmp_gt_i32_e64 s15, 0, v102
	v_not_b32_e32 v102, v113
	v_lshlrev_b32_e32 v129, 26, v97
	v_cmp_ne_u32_e64 s14, 0, v117
	v_ashrrev_i32_e32 v147, 31, v147
	v_lshlrev_b32_e32 v131, 25, v97
	v_ashrrev_i32_e32 v102, 31, v102
	v_lshlrev_b32_e32 v117, 24, v97
	s_wait_alu 0xf1ff
	v_xor_b32_e32 v100, s14, v100
	v_cmp_gt_i32_e64 s14, 0, v113
	v_not_b32_e32 v113, v115
	v_xor_b32_e32 v147, s15, v147
	v_cmp_gt_i32_e64 s15, 0, v115
	v_and_b32_e32 v100, exec_lo, v100
	v_not_b32_e32 v115, v119
	v_ashrrev_i32_e32 v113, 31, v113
	s_wait_alu 0xf1ff
	v_xor_b32_e32 v102, s14, v102
	v_cmp_gt_i32_e64 s14, 0, v119
	v_and_b32_e32 v100, v100, v147
	v_not_b32_e32 v119, v129
	v_ashrrev_i32_e32 v115, 31, v115
	v_xor_b32_e32 v113, s15, v113
	v_cmp_gt_i32_e64 s15, 0, v129
	v_and_b32_e32 v100, v100, v102
	v_not_b32_e32 v102, v131
	v_ashrrev_i32_e32 v119, 31, v119
	s_wait_alu 0xf1ff
	v_xor_b32_e32 v115, s14, v115
	v_cmp_gt_i32_e64 s14, 0, v131
	v_and_b32_e32 v100, v100, v113
	v_not_b32_e32 v113, v117
	v_ashrrev_i32_e32 v102, 31, v102
	v_xor_b32_e32 v119, s15, v119
	v_lshl_add_u32 v97, v97, 3, v193
	v_and_b32_e32 v100, v100, v115
	v_cmp_gt_i32_e64 s15, 0, v117
	v_ashrrev_i32_e32 v113, 31, v113
	s_wait_alu 0xf1ff
	v_xor_b32_e32 v102, s14, v102
	v_lshl_add_u32 v115, v97, 2, v12
	v_and_b32_e32 v100, v100, v119
	v_xor_b32_e32 v97, s15, v113
	ds_load_b32 v161, v115 offset:32
	v_and_b32_e32 v100, v100, v102
	v_add_nc_u32_e32 v147, 32, v115
	; wave barrier
	s_delay_alu instid0(VALU_DEP_2) | instskip(NEXT) | instid1(VALU_DEP_1)
	v_and_b32_e32 v97, v100, v97
	v_mbcnt_lo_u32_b32 v162, v97, 0
	v_cmp_ne_u32_e64 s15, 0, v97
	s_delay_alu instid0(VALU_DEP_2)
	v_cmp_eq_u32_e64 s14, 0, v162
	s_and_b32 s15, s15, s14
	s_wait_alu 0xfffe
	s_and_saveexec_b32 s14, s15
	s_cbranch_execz .LBB605_79
; %bb.78:                               ;   in Loop: Header=BB605_53 Depth=1
	s_wait_dscnt 0x0
	v_bcnt_u32_b32 v97, v97, v161
	ds_store_b32 v147, v97
.LBB605_79:                             ;   in Loop: Header=BB605_53 Depth=1
	s_wait_alu 0xfffe
	s_or_b32 exec_lo, exec_lo, s14
	v_lshrrev_b32_e32 v97, v10, v247
	; wave barrier
	s_delay_alu instid0(VALU_DEP_1) | instskip(NEXT) | instid1(VALU_DEP_1)
	v_and_b32_e32 v97, v97, v68
	v_and_b32_e32 v100, 1, v97
	v_lshlrev_b32_e32 v102, 30, v97
	v_lshlrev_b32_e32 v113, 29, v97
	;; [unrolled: 1-line block ×4, first 2 shown]
	v_add_co_u32 v100, s14, v100, -1
	s_wait_alu 0xf1ff
	v_cndmask_b32_e64 v117, 0, 1, s14
	v_not_b32_e32 v148, v102
	v_cmp_gt_i32_e64 s15, 0, v102
	v_not_b32_e32 v102, v113
	v_lshlrev_b32_e32 v129, 26, v97
	v_cmp_ne_u32_e64 s14, 0, v117
	v_ashrrev_i32_e32 v148, 31, v148
	v_lshlrev_b32_e32 v131, 25, v97
	v_ashrrev_i32_e32 v102, 31, v102
	v_lshlrev_b32_e32 v117, 24, v97
	s_wait_alu 0xf1ff
	v_xor_b32_e32 v100, s14, v100
	v_cmp_gt_i32_e64 s14, 0, v113
	v_not_b32_e32 v113, v115
	v_xor_b32_e32 v148, s15, v148
	v_cmp_gt_i32_e64 s15, 0, v115
	v_and_b32_e32 v100, exec_lo, v100
	v_not_b32_e32 v115, v119
	v_ashrrev_i32_e32 v113, 31, v113
	s_wait_alu 0xf1ff
	v_xor_b32_e32 v102, s14, v102
	v_cmp_gt_i32_e64 s14, 0, v119
	v_and_b32_e32 v100, v100, v148
	v_not_b32_e32 v119, v129
	v_ashrrev_i32_e32 v115, 31, v115
	v_xor_b32_e32 v113, s15, v113
	v_cmp_gt_i32_e64 s15, 0, v129
	v_and_b32_e32 v100, v100, v102
	v_not_b32_e32 v102, v131
	v_ashrrev_i32_e32 v119, 31, v119
	s_wait_alu 0xf1ff
	v_xor_b32_e32 v115, s14, v115
	v_cmp_gt_i32_e64 s14, 0, v131
	v_and_b32_e32 v100, v100, v113
	v_not_b32_e32 v113, v117
	v_ashrrev_i32_e32 v102, 31, v102
	v_xor_b32_e32 v119, s15, v119
	v_lshl_add_u32 v97, v97, 3, v193
	v_and_b32_e32 v100, v100, v115
	v_cmp_gt_i32_e64 s15, 0, v117
	v_ashrrev_i32_e32 v113, 31, v113
	s_wait_alu 0xf1ff
	v_xor_b32_e32 v102, s14, v102
	v_lshl_add_u32 v115, v97, 2, v12
	v_and_b32_e32 v100, v100, v119
	v_xor_b32_e32 v97, s15, v113
	ds_load_b32 v163, v115 offset:32
	v_and_b32_e32 v100, v100, v102
	v_add_nc_u32_e32 v148, 32, v115
	; wave barrier
	s_delay_alu instid0(VALU_DEP_2) | instskip(NEXT) | instid1(VALU_DEP_1)
	v_and_b32_e32 v97, v100, v97
	v_mbcnt_lo_u32_b32 v164, v97, 0
	v_cmp_ne_u32_e64 s15, 0, v97
	s_delay_alu instid0(VALU_DEP_2)
	v_cmp_eq_u32_e64 s14, 0, v164
	s_and_b32 s15, s15, s14
	s_wait_alu 0xfffe
	s_and_saveexec_b32 s14, s15
	s_cbranch_execz .LBB605_81
; %bb.80:                               ;   in Loop: Header=BB605_53 Depth=1
	s_wait_dscnt 0x0
	v_bcnt_u32_b32 v97, v97, v163
	ds_store_b32 v148, v97
.LBB605_81:                             ;   in Loop: Header=BB605_53 Depth=1
	s_wait_alu 0xfffe
	s_or_b32 exec_lo, exec_lo, s14
	v_lshrrev_b32_e32 v97, v10, v40
	; wave barrier
	s_delay_alu instid0(VALU_DEP_1) | instskip(NEXT) | instid1(VALU_DEP_1)
	v_and_b32_e32 v97, v97, v68
	v_and_b32_e32 v100, 1, v97
	v_lshlrev_b32_e32 v102, 30, v97
	v_lshlrev_b32_e32 v113, 29, v97
	;; [unrolled: 1-line block ×4, first 2 shown]
	v_add_co_u32 v100, s14, v100, -1
	s_wait_alu 0xf1ff
	v_cndmask_b32_e64 v117, 0, 1, s14
	v_not_b32_e32 v149, v102
	v_cmp_gt_i32_e64 s15, 0, v102
	v_not_b32_e32 v102, v113
	v_lshlrev_b32_e32 v129, 26, v97
	v_cmp_ne_u32_e64 s14, 0, v117
	v_ashrrev_i32_e32 v149, 31, v149
	v_lshlrev_b32_e32 v131, 25, v97
	v_ashrrev_i32_e32 v102, 31, v102
	v_lshlrev_b32_e32 v117, 24, v97
	s_wait_alu 0xf1ff
	v_xor_b32_e32 v100, s14, v100
	v_cmp_gt_i32_e64 s14, 0, v113
	v_not_b32_e32 v113, v115
	v_xor_b32_e32 v149, s15, v149
	v_cmp_gt_i32_e64 s15, 0, v115
	v_and_b32_e32 v100, exec_lo, v100
	v_not_b32_e32 v115, v119
	v_ashrrev_i32_e32 v113, 31, v113
	s_wait_alu 0xf1ff
	v_xor_b32_e32 v102, s14, v102
	v_cmp_gt_i32_e64 s14, 0, v119
	v_and_b32_e32 v100, v100, v149
	v_not_b32_e32 v119, v129
	v_ashrrev_i32_e32 v115, 31, v115
	v_xor_b32_e32 v113, s15, v113
	v_cmp_gt_i32_e64 s15, 0, v129
	v_and_b32_e32 v100, v100, v102
	v_not_b32_e32 v102, v131
	v_ashrrev_i32_e32 v119, 31, v119
	s_wait_alu 0xf1ff
	v_xor_b32_e32 v115, s14, v115
	v_cmp_gt_i32_e64 s14, 0, v131
	v_and_b32_e32 v100, v100, v113
	v_not_b32_e32 v113, v117
	v_ashrrev_i32_e32 v102, 31, v102
	v_xor_b32_e32 v119, s15, v119
	v_lshl_add_u32 v97, v97, 3, v193
	v_and_b32_e32 v100, v100, v115
	v_cmp_gt_i32_e64 s15, 0, v117
	v_ashrrev_i32_e32 v113, 31, v113
	s_wait_alu 0xf1ff
	v_xor_b32_e32 v102, s14, v102
	v_lshl_add_u32 v115, v97, 2, v12
	v_and_b32_e32 v100, v100, v119
	v_xor_b32_e32 v97, s15, v113
	ds_load_b32 v165, v115 offset:32
	v_and_b32_e32 v100, v100, v102
	v_add_nc_u32_e32 v149, 32, v115
	; wave barrier
	s_delay_alu instid0(VALU_DEP_2) | instskip(NEXT) | instid1(VALU_DEP_1)
	v_and_b32_e32 v97, v100, v97
	v_mbcnt_lo_u32_b32 v166, v97, 0
	v_cmp_ne_u32_e64 s15, 0, v97
	s_delay_alu instid0(VALU_DEP_2)
	v_cmp_eq_u32_e64 s14, 0, v166
	s_and_b32 s15, s15, s14
	s_wait_alu 0xfffe
	s_and_saveexec_b32 s14, s15
	s_cbranch_execz .LBB605_83
; %bb.82:                               ;   in Loop: Header=BB605_53 Depth=1
	s_wait_dscnt 0x0
	v_bcnt_u32_b32 v97, v97, v165
	ds_store_b32 v149, v97
.LBB605_83:                             ;   in Loop: Header=BB605_53 Depth=1
	s_wait_alu 0xfffe
	s_or_b32 exec_lo, exec_lo, s14
	v_lshrrev_b32_e32 v97, v10, v41
	; wave barrier
	s_delay_alu instid0(VALU_DEP_1) | instskip(NEXT) | instid1(VALU_DEP_1)
	v_and_b32_e32 v68, v97, v68
	v_and_b32_e32 v97, 1, v68
	v_lshlrev_b32_e32 v100, 30, v68
	v_lshlrev_b32_e32 v102, 29, v68
	;; [unrolled: 1-line block ×4, first 2 shown]
	v_add_co_u32 v97, s14, v97, -1
	s_wait_alu 0xf1ff
	v_cndmask_b32_e64 v115, 0, 1, s14
	v_not_b32_e32 v131, v100
	v_cmp_gt_i32_e64 s15, 0, v100
	v_not_b32_e32 v100, v102
	v_lshlrev_b32_e32 v119, 26, v68
	v_cmp_ne_u32_e64 s14, 0, v115
	v_ashrrev_i32_e32 v131, 31, v131
	v_lshlrev_b32_e32 v129, 25, v68
	v_ashrrev_i32_e32 v100, 31, v100
	v_lshlrev_b32_e32 v115, 24, v68
	s_wait_alu 0xf1ff
	v_xor_b32_e32 v97, s14, v97
	v_cmp_gt_i32_e64 s14, 0, v102
	v_not_b32_e32 v102, v113
	v_xor_b32_e32 v131, s15, v131
	v_cmp_gt_i32_e64 s15, 0, v113
	v_and_b32_e32 v97, exec_lo, v97
	v_not_b32_e32 v113, v117
	v_ashrrev_i32_e32 v102, 31, v102
	s_wait_alu 0xf1ff
	v_xor_b32_e32 v100, s14, v100
	v_cmp_gt_i32_e64 s14, 0, v117
	v_and_b32_e32 v97, v97, v131
	v_not_b32_e32 v117, v119
	v_ashrrev_i32_e32 v113, 31, v113
	v_xor_b32_e32 v102, s15, v102
	v_cmp_gt_i32_e64 s15, 0, v119
	v_and_b32_e32 v97, v97, v100
	v_not_b32_e32 v100, v129
	v_ashrrev_i32_e32 v117, 31, v117
	s_wait_alu 0xf1ff
	v_xor_b32_e32 v113, s14, v113
	v_cmp_gt_i32_e64 s14, 0, v129
	v_and_b32_e32 v97, v97, v102
	v_not_b32_e32 v102, v115
	v_ashrrev_i32_e32 v100, 31, v100
	v_xor_b32_e32 v117, s15, v117
	v_lshl_add_u32 v68, v68, 3, v193
	v_and_b32_e32 v97, v97, v113
	v_cmp_gt_i32_e64 s15, 0, v115
	v_ashrrev_i32_e32 v102, 31, v102
	s_wait_alu 0xf1ff
	v_xor_b32_e32 v100, s14, v100
	v_lshl_add_u32 v113, v68, 2, v12
	v_and_b32_e32 v97, v97, v117
	v_xor_b32_e32 v102, s15, v102
	ds_load_b32 v68, v113 offset:32
	v_and_b32_e32 v97, v97, v100
	v_add_nc_u32_e32 v177, 32, v113
	; wave barrier
	s_delay_alu instid0(VALU_DEP_2) | instskip(NEXT) | instid1(VALU_DEP_1)
	v_and_b32_e32 v97, v97, v102
	v_mbcnt_lo_u32_b32 v176, v97, 0
	v_cmp_ne_u32_e64 s15, 0, v97
	s_delay_alu instid0(VALU_DEP_2)
	v_cmp_eq_u32_e64 s14, 0, v176
	s_and_b32 s15, s15, s14
	s_wait_alu 0xfffe
	s_and_saveexec_b32 s14, s15
	s_cbranch_execz .LBB605_85
; %bb.84:                               ;   in Loop: Header=BB605_53 Depth=1
	s_wait_dscnt 0x0
	v_bcnt_u32_b32 v97, v97, v68
	ds_store_b32 v177, v97
.LBB605_85:                             ;   in Loop: Header=BB605_53 Depth=1
	s_wait_alu 0xfffe
	s_or_b32 exec_lo, exec_lo, s14
	; wave barrier
	s_wait_loadcnt_dscnt 0x0
	s_barrier_signal -1
	s_barrier_wait -1
	global_inv scope:SCOPE_SE
	ds_load_b32 v100, v49
	ds_load_b32 v102, v151
	ds_load_b32 v113, v167
	ds_load_b32 v97, v180
	ds_load_b32 v115, v181
	ds_load_b32 v131, v182
	ds_load_b32 v178, v183
	ds_load_b32 v117, v192
	s_wait_dscnt 0x6
	v_add_nc_u32_e32 v119, v102, v100
	s_wait_dscnt 0x4
	s_delay_alu instid0(VALU_DEP_1) | instskip(SKIP_1) | instid1(VALU_DEP_1)
	v_add3_u32 v119, v119, v113, v97
	s_wait_dscnt 0x2
	v_add3_u32 v119, v119, v115, v131
	s_wait_dscnt 0x0
	s_delay_alu instid0(VALU_DEP_1) | instskip(NEXT) | instid1(VALU_DEP_1)
	v_add3_u32 v117, v119, v178, v117
	v_mov_b32_dpp v119, v117 row_shr:1 row_mask:0xf bank_mask:0xf
	s_wait_alu 0xfffd
	s_delay_alu instid0(VALU_DEP_1) | instskip(NEXT) | instid1(VALU_DEP_1)
	v_cndmask_b32_e64 v119, v119, 0, vcc_lo
	v_add_nc_u32_e32 v117, v119, v117
	s_delay_alu instid0(VALU_DEP_1) | instskip(NEXT) | instid1(VALU_DEP_1)
	v_mov_b32_dpp v119, v117 row_shr:2 row_mask:0xf bank_mask:0xf
	v_cndmask_b32_e64 v119, 0, v119, s0
	s_delay_alu instid0(VALU_DEP_1) | instskip(NEXT) | instid1(VALU_DEP_1)
	v_add_nc_u32_e32 v117, v117, v119
	v_mov_b32_dpp v119, v117 row_shr:4 row_mask:0xf bank_mask:0xf
	s_delay_alu instid0(VALU_DEP_1) | instskip(NEXT) | instid1(VALU_DEP_1)
	v_cndmask_b32_e64 v119, 0, v119, s1
	v_add_nc_u32_e32 v117, v117, v119
	s_delay_alu instid0(VALU_DEP_1) | instskip(NEXT) | instid1(VALU_DEP_1)
	v_mov_b32_dpp v119, v117 row_shr:8 row_mask:0xf bank_mask:0xf
	v_cndmask_b32_e64 v119, 0, v119, s2
	s_delay_alu instid0(VALU_DEP_1) | instskip(SKIP_3) | instid1(VALU_DEP_1)
	v_add_nc_u32_e32 v117, v117, v119
	ds_swizzle_b32 v119, v117 offset:swizzle(BROADCAST,32,15)
	s_wait_dscnt 0x0
	v_cndmask_b32_e64 v119, v119, 0, s4
	v_add_nc_u32_e32 v117, v117, v119
	s_and_saveexec_b32 s14, s5
; %bb.86:                               ;   in Loop: Header=BB605_53 Depth=1
	ds_store_b32 v197, v117
; %bb.87:                               ;   in Loop: Header=BB605_53 Depth=1
	s_wait_alu 0xfffe
	s_or_b32 exec_lo, exec_lo, s14
	s_wait_loadcnt_dscnt 0x0
	s_barrier_signal -1
	s_barrier_wait -1
	global_inv scope:SCOPE_SE
	s_and_saveexec_b32 s14, s6
	s_cbranch_execz .LBB605_89
; %bb.88:                               ;   in Loop: Header=BB605_53 Depth=1
	ds_load_b32 v119, v194
	s_wait_dscnt 0x0
	v_mov_b32_dpp v129, v119 row_shr:1 row_mask:0xf bank_mask:0xf
	s_delay_alu instid0(VALU_DEP_1) | instskip(NEXT) | instid1(VALU_DEP_1)
	v_cndmask_b32_e64 v129, v129, 0, s11
	v_add_nc_u32_e32 v119, v129, v119
	s_delay_alu instid0(VALU_DEP_1) | instskip(NEXT) | instid1(VALU_DEP_1)
	v_mov_b32_dpp v129, v119 row_shr:2 row_mask:0xf bank_mask:0xf
	v_cndmask_b32_e64 v129, 0, v129, s12
	s_delay_alu instid0(VALU_DEP_1) | instskip(NEXT) | instid1(VALU_DEP_1)
	v_add_nc_u32_e32 v119, v119, v129
	v_mov_b32_dpp v129, v119 row_shr:4 row_mask:0xf bank_mask:0xf
	s_delay_alu instid0(VALU_DEP_1) | instskip(NEXT) | instid1(VALU_DEP_1)
	v_cndmask_b32_e64 v129, 0, v129, s13
	v_add_nc_u32_e32 v119, v119, v129
	ds_store_b32 v194, v119
.LBB605_89:                             ;   in Loop: Header=BB605_53 Depth=1
	s_wait_alu 0xfffe
	s_or_b32 exec_lo, exec_lo, s14
	v_mov_b32_e32 v119, 0
	s_wait_loadcnt_dscnt 0x0
	s_barrier_signal -1
	s_barrier_wait -1
	global_inv scope:SCOPE_SE
	s_and_saveexec_b32 s14, s7
; %bb.90:                               ;   in Loop: Header=BB605_53 Depth=1
	v_add_nc_u32_e32 v119, -4, v197
	ds_load_b32 v119, v119
; %bb.91:                               ;   in Loop: Header=BB605_53 Depth=1
	s_wait_alu 0xfffe
	s_or_b32 exec_lo, exec_lo, s14
	s_wait_dscnt 0x0
	v_add_nc_u32_e32 v117, v119, v117
	v_dual_mov_b32 v129, v5 :: v_dual_add_nc_u32 v10, 8, v10
	s_mov_b32 s20, -1
	ds_bpermute_b32 v117, v195, v117
	s_wait_dscnt 0x0
	v_cndmask_b32_e64 v117, v117, v119, s3
	v_mov_b32_e32 v119, v5
	v_cmp_lt_u32_e64 s14, v10, v11
	s_delay_alu instid0(VALU_DEP_3) | instskip(NEXT) | instid1(VALU_DEP_1)
	v_cndmask_b32_e64 v179, v117, 0, s10
	v_add_nc_u32_e32 v42, v179, v100
	s_delay_alu instid0(VALU_DEP_1) | instskip(SKIP_1) | instid1(VALU_DEP_2)
	v_dual_mov_b32 v100, v5 :: v_dual_add_nc_u32 v43, v42, v102
	v_mov_b32_e32 v102, v5
	v_dual_mov_b32 v113, v5 :: v_dual_add_nc_u32 v44, v43, v113
	s_delay_alu instid0(VALU_DEP_1)
	v_add_nc_u32_e32 v45, v44, v97
	v_mov_b32_e32 v97, v5
	ds_store_b32 v49, v179
	ds_store_b32 v151, v42
	ds_store_b32 v167, v43
	v_add_nc_u32_e32 v46, v45, v115
	s_delay_alu instid0(VALU_DEP_1) | instskip(SKIP_1) | instid1(VALU_DEP_2)
	v_add_nc_u32_e32 v47, v46, v131
	v_mov_b32_e32 v115, v5
	v_dual_mov_b32 v131, v5 :: v_dual_add_nc_u32 v178, v47, v178
	ds_store_b32 v180, v44
	ds_store_b32 v181, v45
	;; [unrolled: 1-line block ×5, first 2 shown]
	s_wait_loadcnt_dscnt 0x0
	s_barrier_signal -1
	s_barrier_wait -1
	global_inv scope:SCOPE_SE
	ds_load_b32 v64, v64
	ds_load_b32 v67, v67
	;; [unrolled: 1-line block ×16, first 2 shown]
	v_mov_b32_e32 v117, v5
	v_mov_b32_e32 v147, v5
	;; [unrolled: 1-line block ×3, first 2 shown]
	s_wait_dscnt 0xf
	v_dual_mov_b32 v145, v5 :: v_dual_add_nc_u32 v4, v64, v4
	s_wait_dscnt 0xe
	v_add3_u32 v96, v66, v65, v67
	s_wait_dscnt 0xd
	v_add3_u32 v99, v70, v69, v71
	;; [unrolled: 2-line block ×4, first 2 shown]
	v_lshlrev_b64_e32 v[64:65], 2, v[4:5]
	v_lshlrev_b64_e32 v[65:66], 2, v[96:97]
	s_wait_dscnt 0x8
	v_add3_u32 v116, v128, v116, v42
	s_wait_dscnt 0x7
	v_add3_u32 v128, v132, v130, v43
	v_lshlrev_b64_e32 v[66:67], 2, v[99:100]
	s_wait_dscnt 0x5
	v_add3_u32 v148, v146, v144, v45
	v_add3_u32 v130, v134, v133, v44
	s_wait_dscnt 0x3
	v_add3_u32 v146, v162, v161, v47
	v_add3_u32 v144, v160, v150, v46
	s_wait_dscnt 0x2
	v_add3_u32 v164, v164, v163, v56
	s_wait_dscnt 0x1
	;; [unrolled: 2-line block ×3, first 2 shown]
	v_add3_u32 v160, v176, v68, v177
	v_lshlrev_b64_e32 v[67:68], 2, v[101:102]
	v_mov_b32_e32 v165, v5
	v_add3_u32 v118, v87, v86, v178
	v_lshlrev_b64_e32 v[68:69], 2, v[112:113]
	v_mov_b32_e32 v163, v5
	v_add3_u32 v114, v103, v98, v179
	v_mov_b32_e32 v161, v5
	v_lshlrev_b64_e32 v[80:81], 2, v[116:117]
	v_lshlrev_b64_e32 v[81:82], 2, v[128:129]
	v_add_co_u32 v79, null, v12, v64
	v_add_co_u32 v78, null, v12, v65
	v_lshlrev_b64_e32 v[64:65], 2, v[146:147]
	v_lshlrev_b64_e32 v[82:83], 2, v[130:131]
	v_add_co_u32 v77, null, v12, v66
	v_lshlrev_b64_e32 v[65:66], 2, v[164:165]
	v_lshlrev_b64_e32 v[69:70], 2, v[118:119]
	v_lshlrev_b64_e32 v[83:84], 2, v[148:149]
	v_add_co_u32 v76, null, v12, v67
	v_lshlrev_b64_e32 v[66:67], 2, v[162:163]
	;; [unrolled: 4-line block ×3, first 2 shown]
	v_add_co_u32 v74, null, v12, v69
	v_add_co_u32 v61, null, v12, v70
	;; [unrolled: 1-line block ×11, first 2 shown]
	s_wait_loadcnt 0x0
                                        ; implicit-def: $vgpr66_vgpr67
                                        ; implicit-def: $vgpr64_vgpr65
                                        ; implicit-def: $vgpr68_vgpr69
                                        ; implicit-def: $vgpr70_vgpr71
                                        ; implicit-def: $vgpr82_vgpr83
                                        ; implicit-def: $vgpr80_vgpr81
                                        ; implicit-def: $vgpr84_vgpr85
                                        ; implicit-def: $vgpr86_vgpr87
                                        ; implicit-def: $vgpr97_vgpr98
                                        ; implicit-def: $vgpr102_vgpr103
                                        ; implicit-def: $vgpr131_vgpr132
                                        ; implicit-def: $vgpr133_vgpr134
                                        ; implicit-def: $vgpr149_vgpr150
                                        ; implicit-def: $vgpr165_vgpr166
                                        ; implicit-def: $vgpr176_vgpr177
                                        ; implicit-def: $vgpr178_vgpr179
                                        ; implicit-def: $vgpr113
                                        ; implicit-def: $vgpr100
                                        ; implicit-def: $vgpr117
                                        ; implicit-def: $vgpr115
                                        ; implicit-def: $vgpr129
                                        ; implicit-def: $vgpr119
                                        ; implicit-def: $vgpr147
                                        ; implicit-def: $vgpr145
                                        ; implicit-def: $vgpr163
                                        ; implicit-def: $vgpr161
                                        ; implicit-def: $vgpr43
                                        ; implicit-def: $vgpr42
                                        ; implicit-def: $vgpr45
                                        ; implicit-def: $vgpr44
                                        ; implicit-def: $vgpr47
                                        ; implicit-def: $vgpr46
	s_and_saveexec_b32 s15, s14
	s_cbranch_execz .LBB605_52
; %bb.92:                               ;   in Loop: Header=BB605_53 Depth=1
	v_add_nc_u32_e32 v64, 0x80, v196
	v_add_nc_u32_e32 v65, 0x100, v196
	;; [unrolled: 1-line block ×5, first 2 shown]
	s_barrier_signal -1
	s_barrier_wait -1
	global_inv scope:SCOPE_SE
	ds_store_b32 v79, v226
	ds_store_b32 v78, v229
	;; [unrolled: 1-line block ×16, first 2 shown]
	s_wait_loadcnt_dscnt 0x0
	s_barrier_signal -1
	s_barrier_wait -1
	global_inv scope:SCOPE_SE
	ds_load_b32 v113, v196
	ds_load_b32 v100, v64
	;; [unrolled: 1-line block ×6, first 2 shown]
	v_add_nc_u32_e32 v64, 0x300, v196
	v_add_nc_u32_e32 v65, 0x380, v196
	;; [unrolled: 1-line block ×5, first 2 shown]
	ds_load_b32 v147, v64
	ds_load_b32 v145, v65
	;; [unrolled: 1-line block ×5, first 2 shown]
	v_add_nc_u32_e32 v64, 0x580, v196
	v_add_nc_u32_e32 v65, 0x600, v196
	;; [unrolled: 1-line block ×5, first 2 shown]
	ds_load_b32 v42, v64
	ds_load_b32 v45, v65
	;; [unrolled: 1-line block ×5, first 2 shown]
	v_lshl_add_u32 v64, v4, 2, v79
	s_wait_loadcnt_dscnt 0x0
	s_barrier_signal -1
	s_barrier_wait -1
	global_inv scope:SCOPE_SE
	ds_store_b64 v64, v[8:9]
	v_lshl_add_u32 v64, v96, 2, v78
	v_lshl_add_u32 v65, v99, 2, v77
	v_lshl_add_u32 v66, v101, 2, v76
	v_lshl_add_u32 v67, v112, 2, v75
	v_lshl_add_u32 v68, v118, 2, v74
	ds_store_b64 v64, v[30:31]
	ds_store_b64 v65, v[28:29]
	ds_store_b64 v66, v[26:27]
	ds_store_b64 v67, v[24:25]
	ds_store_b64 v68, v[54:55]
	v_lshl_add_u32 v64, v114, 2, v61
	v_lshl_add_u32 v65, v116, 2, v59
	v_lshl_add_u32 v66, v128, 2, v58
	v_lshl_add_u32 v67, v130, 2, v57
	v_lshl_add_u32 v68, v148, 2, v56
	ds_store_b64 v64, v[34:35]
	ds_store_b64 v65, v[32:33]
	ds_store_b64 v66, v[52:53]
	ds_store_b64 v67, v[38:39]
	;; [unrolled: 10-line block ×3, first 2 shown]
	ds_store_b64 v68, v[15:16]
	v_add_nc_u32_e32 v64, 0x100, v198
	v_add_nc_u32_e32 v68, 0x200, v198
	;; [unrolled: 1-line block ×5, first 2 shown]
	s_wait_loadcnt_dscnt 0x0
	s_barrier_signal -1
	s_barrier_wait -1
	global_inv scope:SCOPE_SE
	ds_load_b64 v[66:67], v198
	ds_load_b64 v[64:65], v64
	ds_load_b64 v[68:69], v68
	ds_load_b64 v[70:71], v70
	ds_load_b64 v[82:83], v80
	ds_load_b64 v[80:81], v81
	ds_load_b64 v[84:85], v199
	ds_load_b64 v[86:87], v208
	ds_load_b64 v[97:98], v209
	ds_load_b64 v[102:103], v210
	ds_load_b64 v[131:132], v211
	ds_load_b64 v[133:134], v212
	ds_load_b64 v[149:150], v213
	ds_load_b64 v[165:166], v214
	ds_load_b64 v[176:177], v215
	ds_load_b64 v[178:179], v224
	v_add_nc_u32_e32 v225, -8, v225
	s_xor_b32 s20, exec_lo, -1
	s_wait_loadcnt_dscnt 0x0
	s_barrier_signal -1
	s_barrier_wait -1
	global_inv scope:SCOPE_SE
	s_branch .LBB605_52
.LBB605_93:
	s_or_b32 exec_lo, exec_lo, s17
	v_lshl_add_u32 v4, v4, 2, v79
	s_barrier_signal -1
	s_barrier_wait -1
	s_wait_loadcnt 0x0
	global_inv scope:SCOPE_SE
	ds_store_b32 v79, v226
	ds_store_b32 v78, v229
	;; [unrolled: 1-line block ×16, first 2 shown]
	s_wait_loadcnt_dscnt 0x0
	s_barrier_signal -1
	s_barrier_wait -1
	global_inv scope:SCOPE_SE
	ds_load_2addr_stride64_b32 v[86:87], v194 offset1:4
	ds_load_2addr_stride64_b32 v[84:85], v194 offset0:8 offset1:12
	ds_load_2addr_stride64_b32 v[82:83], v194 offset0:16 offset1:20
	ds_load_2addr_stride64_b32 v[80:81], v194 offset0:24 offset1:28
	ds_load_2addr_stride64_b32 v[70:71], v194 offset0:32 offset1:36
	ds_load_2addr_stride64_b32 v[68:69], v194 offset0:40 offset1:44
	ds_load_2addr_stride64_b32 v[66:67], v194 offset0:48 offset1:52
	ds_load_2addr_stride64_b32 v[64:65], v194 offset0:56 offset1:60
	s_wait_loadcnt_dscnt 0x0
	s_barrier_signal -1
	s_barrier_wait -1
	global_inv scope:SCOPE_SE
	ds_store_b64 v4, v[8:9]
	v_lshl_add_u32 v4, v96, 2, v78
	v_lshl_add_u32 v5, v99, 2, v77
	v_lshl_add_u32 v8, v101, 2, v76
	v_lshl_add_u32 v9, v112, 2, v75
	v_lshl_add_u32 v10, v118, 2, v74
	ds_store_b64 v4, v[30:31]
	ds_store_b64 v5, v[28:29]
	ds_store_b64 v8, v[26:27]
	ds_store_b64 v9, v[24:25]
	ds_store_b64 v10, v[54:55]
	v_lshl_add_u32 v4, v114, 2, v61
	v_lshl_add_u32 v5, v116, 2, v59
	v_lshl_add_u32 v8, v128, 2, v58
	v_lshl_add_u32 v9, v130, 2, v57
	v_lshl_add_u32 v10, v148, 2, v56
	ds_store_b64 v4, v[34:35]
	ds_store_b64 v5, v[32:33]
	ds_store_b64 v8, v[52:53]
	ds_store_b64 v9, v[38:39]
	;; [unrolled: 10-line block ×3, first 2 shown]
	ds_store_b64 v10, v[15:16]
	v_lshl_add_u32 v4, v21, 3, v12
	s_wait_loadcnt_dscnt 0x0
	s_barrier_signal -1
	s_barrier_wait -1
	global_inv scope:SCOPE_SE
	ds_load_2addr_stride64_b64 v[36:39], v4 offset1:4
	ds_load_2addr_stride64_b64 v[32:35], v4 offset0:8 offset1:12
	ds_load_2addr_stride64_b64 v[28:31], v4 offset0:16 offset1:20
	;; [unrolled: 1-line block ×7, first 2 shown]
	v_mov_b32_e32 v49, 0
	v_add_co_u32 v2, vcc_lo, v2, v50
	s_wait_alu 0xfffd
	v_add_co_ci_u32_e64 v3, null, v3, v51, vcc_lo
	s_delay_alu instid0(VALU_DEP_3)
	v_lshlrev_b64_e32 v[4:5], 2, v[48:49]
	s_wait_loadcnt_dscnt 0x0
	s_barrier_signal -1
	s_barrier_wait -1
	global_inv scope:SCOPE_SE
	v_add_co_u32 v2, vcc_lo, v2, v4
	s_wait_alu 0xfffd
	v_add_co_ci_u32_e64 v3, null, v3, v5, vcc_lo
	v_cmp_lt_u32_e32 vcc_lo, v48, v135
	s_and_saveexec_b32 s0, vcc_lo
	s_cbranch_execz .LBB605_95
; %bb.94:
	v_xor_b32_e32 v4, 0x80000000, v86
	flat_store_b32 v[2:3], v4
.LBB605_95:
	s_wait_alu 0xfffe
	s_or_b32 exec_lo, exec_lo, s0
	v_add_nc_u32_e32 v4, 0x100, v48
	s_delay_alu instid0(VALU_DEP_1)
	v_cmp_lt_u32_e64 s0, v4, v135
	s_and_saveexec_b32 s1, s0
	s_cbranch_execz .LBB605_97
; %bb.96:
	v_xor_b32_e32 v4, 0x80000000, v87
	flat_store_b32 v[2:3], v4 offset:1024
.LBB605_97:
	s_wait_alu 0xfffe
	s_or_b32 exec_lo, exec_lo, s1
	v_add_nc_u32_e32 v4, 0x200, v48
	s_delay_alu instid0(VALU_DEP_1)
	v_cmp_lt_u32_e64 s1, v4, v135
	s_and_saveexec_b32 s2, s1
	s_cbranch_execz .LBB605_99
; %bb.98:
	v_xor_b32_e32 v4, 0x80000000, v84
	flat_store_b32 v[2:3], v4 offset:2048
.LBB605_99:
	;; [unrolled: 11-line block ×15, first 2 shown]
	s_wait_alu 0xfffe
	s_or_b32 exec_lo, exec_lo, s17
	v_lshlrev_b64_e32 v[2:3], 3, v[48:49]
	v_add_co_u32 v0, s17, v6, v0
	s_wait_alu 0xf1ff
	v_add_co_ci_u32_e64 v1, null, v7, v1, s17
	s_delay_alu instid0(VALU_DEP_2) | instskip(SKIP_1) | instid1(VALU_DEP_2)
	v_add_co_u32 v0, s17, v0, v2
	s_wait_alu 0xf1ff
	v_add_co_ci_u32_e64 v1, null, v1, v3, s17
	s_and_saveexec_b32 s17, vcc_lo
	s_cbranch_execnz .LBB605_211
; %bb.126:
	s_wait_alu 0xfffe
	s_or_b32 exec_lo, exec_lo, s17
	s_and_saveexec_b32 s17, s0
	s_cbranch_execnz .LBB605_212
.LBB605_127:
	s_wait_alu 0xfffe
	s_or_b32 exec_lo, exec_lo, s17
	s_and_saveexec_b32 s0, s1
	s_cbranch_execnz .LBB605_213
.LBB605_128:
	s_wait_alu 0xfffe
	s_or_b32 exec_lo, exec_lo, s0
	s_and_saveexec_b32 s0, s2
	s_cbranch_execnz .LBB605_214
.LBB605_129:
	s_wait_alu 0xfffe
	s_or_b32 exec_lo, exec_lo, s0
	s_and_saveexec_b32 s0, s3
	s_cbranch_execnz .LBB605_215
.LBB605_130:
	s_wait_alu 0xfffe
	s_or_b32 exec_lo, exec_lo, s0
	s_and_saveexec_b32 s0, s4
	s_cbranch_execnz .LBB605_216
.LBB605_131:
	s_wait_alu 0xfffe
	s_or_b32 exec_lo, exec_lo, s0
	s_and_saveexec_b32 s0, s5
	s_cbranch_execnz .LBB605_217
.LBB605_132:
	s_wait_alu 0xfffe
	s_or_b32 exec_lo, exec_lo, s0
	s_and_saveexec_b32 s0, s6
	s_cbranch_execnz .LBB605_218
.LBB605_133:
	s_wait_alu 0xfffe
	s_or_b32 exec_lo, exec_lo, s0
	s_and_saveexec_b32 s0, s7
	s_cbranch_execnz .LBB605_219
.LBB605_134:
	s_wait_alu 0xfffe
	s_or_b32 exec_lo, exec_lo, s0
	s_and_saveexec_b32 s0, s10
	s_cbranch_execnz .LBB605_220
.LBB605_135:
	s_wait_alu 0xfffe
	s_or_b32 exec_lo, exec_lo, s0
	s_and_saveexec_b32 s0, s11
	s_cbranch_execnz .LBB605_221
.LBB605_136:
	s_wait_alu 0xfffe
	s_or_b32 exec_lo, exec_lo, s0
	s_and_saveexec_b32 s0, s12
	s_cbranch_execnz .LBB605_222
.LBB605_137:
	s_wait_alu 0xfffe
	s_or_b32 exec_lo, exec_lo, s0
	s_and_saveexec_b32 s0, s13
	s_cbranch_execnz .LBB605_223
.LBB605_138:
	s_wait_alu 0xfffe
	s_or_b32 exec_lo, exec_lo, s0
	s_and_saveexec_b32 s0, s14
	s_cbranch_execnz .LBB605_224
.LBB605_139:
	s_wait_alu 0xfffe
	s_or_b32 exec_lo, exec_lo, s0
	s_and_saveexec_b32 s0, s15
	s_cbranch_execnz .LBB605_225
.LBB605_140:
	s_wait_alu 0xfffe
	s_or_b32 exec_lo, exec_lo, s0
	s_and_saveexec_b32 s0, s16
	s_cbranch_execz .LBB605_142
.LBB605_141:
	flat_store_b64 v[0:1], v[10:11] offset:30720
.LBB605_142:
	s_wait_alu 0xfffe
	s_or_b32 exec_lo, exec_lo, s0
                                        ; implicit-def: $vgpr135
                                        ; implicit-def: $vgpr0
                                        ; implicit-def: $vgpr1
                                        ; implicit-def: $vgpr2
                                        ; implicit-def: $vgpr3
                                        ; implicit-def: $vgpr4
                                        ; implicit-def: $vgpr5
                                        ; implicit-def: $vgpr6
                                        ; implicit-def: $vgpr7
                                        ; implicit-def: $vgpr8
                                        ; implicit-def: $vgpr10
                                        ; implicit-def: $vgpr11
                                        ; implicit-def: $vgpr12
                                        ; implicit-def: $vgpr9
                                        ; implicit-def: $vgpr13
                                        ; implicit-def: $vgpr21
                                        ; implicit-def: $vgpr96
.LBB605_143:
	s_wait_alu 0xfffe
	s_and_not1_saveexec_b32 s0, s19
	s_cbranch_execz .LBB605_372
; %bb.144:
	s_mov_b32 s0, exec_lo
	v_cmpx_lt_u32_e32 0x400, v135
	s_wait_alu 0xfffe
	s_xor_b32 s16, exec_lo, s0
	s_cbranch_execz .LBB605_252
; %bb.145:
	s_load_b64 s[0:1], s[8:9], 0x0
	s_and_b32 s2, ttmp7, 0xffff
	s_mov_b32 s3, 0
	v_lshlrev_b32_e32 v20, 2, v96
	s_wait_kmcnt 0x0
	s_wait_alu 0xfffe
	s_cmp_lt_u32 s2, s1
	s_cselect_b32 s2, 14, 20
	s_cmp_lt_u32 ttmp9, s0
	s_wait_alu 0xfffe
	s_add_nc_u64 s[4:5], s[8:9], s[2:3]
	s_cselect_b32 s2, 12, 18
	s_load_u16 s4, s[4:5], 0x0
	s_add_nc_u64 s[0:1], s[8:9], s[2:3]
	s_load_u16 s0, s[0:1], 0x0
	s_wait_kmcnt 0x0
	v_mad_u32_u24 v13, v13, s4, v9
	v_mov_b32_e32 v9, 0
	s_delay_alu instid0(VALU_DEP_2) | instskip(SKIP_1) | instid1(VALU_DEP_3)
	v_mad_co_u64_u32 v[24:25], null, v13, s0, v[21:22]
	v_bfrev_b32_e32 v13, -2
	v_lshlrev_b64_e32 v[26:27], 2, v[8:9]
	s_delay_alu instid0(VALU_DEP_2) | instskip(NEXT) | instid1(VALU_DEP_4)
	v_dual_mov_b32 v23, v9 :: v_dual_mov_b32 v14, v13
	v_dual_mov_b32 v15, v13 :: v_dual_lshlrev_b32 v22, 3, v24
	s_delay_alu instid0(VALU_DEP_3) | instskip(SKIP_1) | instid1(VALU_DEP_4)
	v_add_co_u32 v28, vcc_lo, v0, v26
	s_wait_alu 0xfffd
	v_add_co_ci_u32_e64 v29, null, v1, v27, vcc_lo
	s_delay_alu instid0(VALU_DEP_3) | instskip(NEXT) | instid1(VALU_DEP_3)
	v_and_b32_e32 v22, 0xffffff00, v22
	v_add_co_u32 v20, vcc_lo, v28, v20
	s_wait_alu 0xfffd
	s_delay_alu instid0(VALU_DEP_3) | instskip(NEXT) | instid1(VALU_DEP_3)
	v_add_co_ci_u32_e64 v28, null, 0, v29, vcc_lo
	v_lshlrev_b64_e32 v[0:1], 2, v[22:23]
	v_or_b32_e32 v25, v22, v96
	v_dual_mov_b32 v16, v13 :: v_dual_mov_b32 v17, v13
	v_dual_mov_b32 v18, v13 :: v_dual_mov_b32 v19, v13
	s_delay_alu instid0(VALU_DEP_4) | instskip(NEXT) | instid1(VALU_DEP_4)
	v_add_co_u32 v0, s0, v20, v0
	v_cmp_lt_u32_e32 vcc_lo, v25, v135
	s_wait_alu 0xf1ff
	v_add_co_ci_u32_e64 v1, null, v28, v1, s0
	v_mov_b32_e32 v20, v13
	s_and_saveexec_b32 s0, vcc_lo
	s_cbranch_execz .LBB605_147
; %bb.146:
	flat_load_b32 v28, v[0:1]
	v_dual_mov_b32 v29, v13 :: v_dual_mov_b32 v30, v13
	v_dual_mov_b32 v31, v13 :: v_dual_mov_b32 v32, v13
	;; [unrolled: 1-line block ×3, first 2 shown]
	v_mov_b32_e32 v35, v13
	s_wait_loadcnt_dscnt 0x0
	v_dual_mov_b32 v13, v28 :: v_dual_mov_b32 v14, v29
	v_dual_mov_b32 v15, v30 :: v_dual_mov_b32 v16, v31
	;; [unrolled: 1-line block ×4, first 2 shown]
.LBB605_147:
	s_wait_alu 0xfffe
	s_or_b32 exec_lo, exec_lo, s0
	v_or_b32_e32 v28, 32, v25
	s_delay_alu instid0(VALU_DEP_1)
	v_cmp_lt_u32_e64 s0, v28, v135
	s_and_saveexec_b32 s1, s0
	s_cbranch_execz .LBB605_149
; %bb.148:
	flat_load_b32 v14, v[0:1] offset:128
.LBB605_149:
	s_wait_alu 0xfffe
	s_or_b32 exec_lo, exec_lo, s1
	v_or_b32_e32 v28, 64, v25
	s_delay_alu instid0(VALU_DEP_1)
	v_cmp_lt_u32_e64 s1, v28, v135
	s_and_saveexec_b32 s2, s1
	s_cbranch_execz .LBB605_151
; %bb.150:
	flat_load_b32 v15, v[0:1] offset:256
.LBB605_151:
	;; [unrolled: 10-line block ×7, first 2 shown]
	s_wait_alu 0xfffe
	s_or_b32 exec_lo, exec_lo, s7
	v_lshlrev_b64_e32 v[0:1], 3, v[8:9]
	v_lshlrev_b32_e32 v8, 3, v96
                                        ; implicit-def: $vgpr32_vgpr33
	s_delay_alu instid0(VALU_DEP_2) | instskip(SKIP_1) | instid1(VALU_DEP_3)
	v_add_co_u32 v9, s7, v4, v0
	s_wait_alu 0xf1ff
	v_add_co_ci_u32_e64 v25, null, v5, v1, s7
	v_lshlrev_b64_e32 v[4:5], 3, v[22:23]
	s_delay_alu instid0(VALU_DEP_3) | instskip(SKIP_1) | instid1(VALU_DEP_3)
	v_add_co_u32 v8, s7, v9, v8
	s_wait_alu 0xf1ff
	v_add_co_ci_u32_e64 v9, null, 0, v25, s7
	s_delay_alu instid0(VALU_DEP_2) | instskip(SKIP_1) | instid1(VALU_DEP_2)
	v_add_co_u32 v4, s7, v8, v4
	s_wait_alu 0xf1ff
	v_add_co_ci_u32_e64 v5, null, v9, v5, s7
	s_and_saveexec_b32 s7, vcc_lo
	s_cbranch_execnz .LBB605_285
; %bb.162:
	s_wait_alu 0xfffe
	s_or_b32 exec_lo, exec_lo, s7
                                        ; implicit-def: $vgpr36_vgpr37
	s_and_saveexec_b32 s7, s0
	s_cbranch_execnz .LBB605_286
.LBB605_163:
	s_wait_alu 0xfffe
	s_or_b32 exec_lo, exec_lo, s7
                                        ; implicit-def: $vgpr38_vgpr39
	s_and_saveexec_b32 s0, s1
	s_cbranch_execnz .LBB605_287
.LBB605_164:
	s_wait_alu 0xfffe
	s_or_b32 exec_lo, exec_lo, s0
                                        ; implicit-def: $vgpr48_vgpr49
	s_and_saveexec_b32 s0, s2
	s_cbranch_execnz .LBB605_288
.LBB605_165:
	s_wait_alu 0xfffe
	s_or_b32 exec_lo, exec_lo, s0
                                        ; implicit-def: $vgpr50_vgpr51
	s_and_saveexec_b32 s0, s3
	s_cbranch_execnz .LBB605_289
.LBB605_166:
	s_wait_alu 0xfffe
	s_or_b32 exec_lo, exec_lo, s0
                                        ; implicit-def: $vgpr52_vgpr53
	s_and_saveexec_b32 s0, s4
	s_cbranch_execnz .LBB605_290
.LBB605_167:
	s_wait_alu 0xfffe
	s_or_b32 exec_lo, exec_lo, s0
                                        ; implicit-def: $vgpr54_vgpr55
	s_and_saveexec_b32 s0, s5
	s_cbranch_execnz .LBB605_291
.LBB605_168:
	s_wait_alu 0xfffe
	s_or_b32 exec_lo, exec_lo, s0
                                        ; implicit-def: $vgpr34_vgpr35
	s_and_saveexec_b32 s0, s6
	s_cbranch_execz .LBB605_170
.LBB605_169:
	flat_load_b64 v[34:35], v[4:5] offset:1792
.LBB605_170:
	s_wait_alu 0xfffe
	s_or_b32 exec_lo, exec_lo, s0
	v_lshl_add_u32 v4, v21, 5, v12
	v_and_b32_e32 v8, 0x3e0, v21
	v_lshlrev_b32_e32 v5, 3, v21
	v_xor_b32_e32 v83, 0x80000000, v13
	v_sub_co_u32 v13, s2, v96, 1
	v_add_nc_u32_e32 v25, 32, v4
	v_add_nc_u32_e32 v86, 36, v4
	;; [unrolled: 1-line block ×8, first 2 shown]
	v_min_u32_e32 v4, 0xe0, v8
	v_and_b32_e32 v8, 16, v96
	v_and_or_b32 v5, 0x1f00, v5, v96
	s_getpc_b64 s[0:1]
	s_wait_alu 0xfffe
	s_sext_i32_i16 s1, s1
	s_add_co_u32 s0, s0, _ZN7rocprim17ROCPRIM_400000_NS16block_radix_sortIiLj256ELj8ElLj1ELj1ELj8ELNS0_26block_radix_rank_algorithmE2ELNS0_18block_padding_hintE2ELNS0_4arch9wavefront6targetE0EE19radix_bits_per_passE@rel32@lo+12
	s_wait_alu 0xfffe
	s_add_co_ci_u32 s1, s1, _ZN7rocprim17ROCPRIM_400000_NS16block_radix_sortIiLj256ELj8ElLj1ELj1ELj8ELNS0_26block_radix_rank_algorithmE2ELNS0_18block_padding_hintE2ELNS0_4arch9wavefront6targetE0EE19radix_bits_per_passE@rel32@hi+24
	v_cmp_gt_i32_e64 s6, 0, v13
	s_load_b32 s17, s[0:1], 0x0
	v_cmp_eq_u32_e64 s4, 0, v8
	v_lshrrev_b32_e32 v8, 3, v21
	v_or_b32_e32 v4, 31, v4
	v_and_b32_e32 v9, 15, v96
	s_wait_loadcnt_dscnt 0x0
	v_xor_b32_e32 v65, 0x80000000, v14
	v_xor_b32_e32 v67, 0x80000000, v15
	v_and_b32_e32 v8, 0x7c, v8
	v_cmp_eq_u32_e64 s5, v21, v4
	v_cndmask_b32_e64 v4, v13, v96, s6
	v_cmp_eq_u32_e32 vcc_lo, 0, v9
	v_cmp_lt_u32_e64 s0, 1, v9
	v_add_nc_u32_e32 v112, v12, v8
	v_lshlrev_b32_e32 v8, 2, v5
	v_cmp_lt_u32_e64 s1, 3, v9
	v_cmp_lt_u32_e64 s3, 7, v9
	v_lshlrev_b32_e32 v103, 2, v4
	v_lshlrev_b32_e32 v4, 2, v21
	v_add_nc_u32_e32 v113, v12, v8
	v_and_b32_e32 v9, 7, v96
	v_xor_b32_e32 v69, 0x80000000, v16
	v_xor_b32_e32 v71, 0x80000000, v17
	;; [unrolled: 1-line block ×3, first 2 shown]
	v_add_nc_u32_e32 v118, v113, v8
	v_xor_b32_e32 v85, 0x80000000, v19
	v_xor_b32_e32 v164, 0x80000000, v20
	v_lshrrev_b32_e32 v102, 5, v24
	v_cmp_gt_u32_e64 s6, 8, v21
	v_cmp_lt_u32_e64 s7, 31, v21
	v_cmp_eq_u32_e64 s10, 0, v21
	v_mov_b32_e32 v5, 0
	v_add_co_u32 v96, null, v12, v4
	v_cmp_eq_u32_e64 s11, 0, v9
	v_cmp_lt_u32_e64 s12, 1, v9
	v_cmp_lt_u32_e64 s13, 3, v9
	v_add_nc_u32_e32 v114, -4, v112
	v_add_nc_u32_e32 v115, 0x80, v113
	v_add_nc_u32_e32 v116, 0x100, v113
	;; [unrolled: 1-line block ×14, first 2 shown]
	v_sub_nc_u32_e32 v147, v11, v10
	s_mov_b32 s19, 0
	s_wait_storecnt 0x0
	s_barrier_signal -1
	s_barrier_wait -1
	global_inv scope:SCOPE_SE
	s_branch .LBB605_172
.LBB605_171:                            ;   in Loop: Header=BB605_172 Depth=1
	s_wait_alu 0xfffe
	s_or_b32 exec_lo, exec_lo, s15
	s_delay_alu instid0(SALU_CYCLE_1)
	s_and_b32 s14, exec_lo, s20
	s_wait_alu 0xfffe
	s_or_b32 s19, s14, s19
	s_wait_alu 0xfffe
	s_and_not1_b32 exec_lo, exec_lo, s19
	s_cbranch_execz .LBB605_226
.LBB605_172:                            ; =>This Inner Loop Header: Depth=1
	s_wait_kmcnt 0x0
	v_min_u32_e32 v4, s17, v147
	v_dual_mov_b32 v150, v83 :: v_dual_mov_b32 v151, v81
	v_dual_mov_b32 v28, v38 :: v_dual_mov_b32 v15, v48
	s_delay_alu instid0(VALU_DEP_3) | instskip(NEXT) | instid1(VALU_DEP_3)
	v_lshlrev_b32_e64 v4, v4, -1
	v_lshrrev_b32_e32 v8, v10, v150
	v_dual_mov_b32 v22, v32 :: v_dual_mov_b32 v23, v33
	v_dual_mov_b32 v19, v36 :: v_dual_mov_b32 v20, v37
	s_delay_alu instid0(VALU_DEP_4) | instskip(SKIP_2) | instid1(VALU_DEP_3)
	v_not_b32_e32 v64, v4
	v_dual_mov_b32 v16, v49 :: v_dual_mov_b32 v13, v50
	v_dual_mov_b32 v148, v164 :: v_dual_mov_b32 v149, v85
	v_dual_mov_b32 v29, v39 :: v_dual_and_b32 v4, v8, v64
	v_dual_mov_b32 v8, v52 :: v_dual_mov_b32 v17, v54
	s_delay_alu instid0(VALU_DEP_2)
	v_dual_mov_b32 v18, v55 :: v_dual_lshlrev_b32 v31, 30, v4
	v_and_b32_e32 v30, 1, v4
	v_lshlrev_b32_e32 v32, 29, v4
	v_lshlrev_b32_e32 v36, 28, v4
	;; [unrolled: 1-line block ×3, first 2 shown]
	v_not_b32_e32 v39, v31
	v_add_co_u32 v30, s14, v30, -1
	s_wait_alu 0xf1ff
	v_cndmask_b32_e64 v33, 0, 1, s14
	v_cmp_gt_i32_e64 s15, 0, v31
	v_not_b32_e32 v31, v32
	v_ashrrev_i32_e32 v39, 31, v39
	v_lshlrev_b32_e32 v38, 26, v4
	v_cmp_ne_u32_e64 s14, 0, v33
	v_lshlrev_b32_e32 v33, 25, v4
	v_ashrrev_i32_e32 v31, 31, v31
	s_wait_alu 0xf1ff
	v_xor_b32_e32 v39, s15, v39
	v_cmp_gt_i32_e64 s15, 0, v36
	v_xor_b32_e32 v30, s14, v30
	v_cmp_gt_i32_e64 s14, 0, v32
	v_not_b32_e32 v32, v36
	v_not_b32_e32 v36, v37
	v_dual_mov_b32 v160, v71 :: v_dual_mov_b32 v161, v69
	v_and_b32_e32 v30, exec_lo, v30
	s_delay_alu instid0(VALU_DEP_4)
	v_ashrrev_i32_e32 v32, 31, v32
	s_wait_alu 0xf1ff
	v_xor_b32_e32 v31, s14, v31
	v_cmp_gt_i32_e64 s14, 0, v37
	v_not_b32_e32 v37, v38
	v_and_b32_e32 v30, v30, v39
	v_ashrrev_i32_e32 v36, 31, v36
	v_xor_b32_e32 v32, s15, v32
	v_cmp_gt_i32_e64 s15, 0, v38
	v_ashrrev_i32_e32 v37, 31, v37
	v_and_b32_e32 v30, v30, v31
	v_not_b32_e32 v31, v33
	s_wait_alu 0xf1ff
	v_xor_b32_e32 v36, s14, v36
	v_cmp_gt_i32_e64 s14, 0, v33
	v_xor_b32_e32 v37, s15, v37
	v_and_b32_e32 v30, v30, v32
	v_lshlrev_b32_e32 v32, 24, v4
	v_ashrrev_i32_e32 v33, 31, v31
	v_lshl_add_u32 v4, v4, 3, v102
	v_dual_mov_b32 v162, v67 :: v_dual_mov_b32 v163, v65
	v_and_b32_e32 v36, v30, v36
	v_not_b32_e32 v38, v32
	v_dual_mov_b32 v30, v34 :: v_dual_mov_b32 v31, v35
	v_cmp_gt_i32_e64 s15, 0, v32
	s_wait_alu 0xf1ff
	v_xor_b32_e32 v32, s14, v33
	v_and_b32_e32 v33, v36, v37
	v_ashrrev_i32_e32 v34, 31, v38
	v_dual_mov_b32 v14, v51 :: v_dual_mov_b32 v9, v53
	ds_store_b32 v25, v5
	ds_store_b32 v86, v5
	;; [unrolled: 1-line block ×3, first 2 shown]
	v_and_b32_e32 v32, v33, v32
	v_xor_b32_e32 v33, s15, v34
	v_lshlrev_b64_e32 v[34:35], 2, v[4:5]
	ds_store_b32 v97, v5
	ds_store_b32 v98, v5
	;; [unrolled: 1-line block ×4, first 2 shown]
	v_and_b32_e32 v33, v32, v33
	ds_store_b32 v101, v5
	v_add_co_u32 v32, null, v12, v34
	s_wait_loadcnt_dscnt 0x0
	v_mbcnt_lo_u32_b32 v4, v33, 0
	v_cmp_ne_u32_e64 s15, 0, v33
	s_delay_alu instid0(VALU_DEP_3) | instskip(SKIP_1) | instid1(VALU_DEP_3)
	v_add_co_u32 v32, null, v32, 32
	s_barrier_signal -1
	v_cmp_eq_u32_e64 s14, 0, v4
	s_barrier_wait -1
	global_inv scope:SCOPE_SE
	; wave barrier
	s_and_b32 s15, s15, s14
	s_wait_alu 0xfffe
	s_and_saveexec_b32 s14, s15
; %bb.173:                              ;   in Loop: Header=BB605_172 Depth=1
	v_bcnt_u32_b32 v33, v33, 0
	ds_store_b32 v32, v33
; %bb.174:                              ;   in Loop: Header=BB605_172 Depth=1
	s_wait_alu 0xfffe
	s_or_b32 exec_lo, exec_lo, s14
	v_lshrrev_b32_e32 v33, v10, v163
	; wave barrier
	s_delay_alu instid0(VALU_DEP_1) | instskip(NEXT) | instid1(VALU_DEP_1)
	v_and_b32_e32 v33, v33, v64
	v_and_b32_e32 v34, 1, v33
	v_lshlrev_b32_e32 v35, 30, v33
	v_lshlrev_b32_e32 v36, 29, v33
	;; [unrolled: 1-line block ×4, first 2 shown]
	v_add_co_u32 v34, s14, v34, -1
	s_wait_alu 0xf1ff
	v_cndmask_b32_e64 v38, 0, 1, s14
	v_not_b32_e32 v50, v35
	v_cmp_gt_i32_e64 s15, 0, v35
	v_not_b32_e32 v35, v36
	v_lshlrev_b32_e32 v48, 26, v33
	v_cmp_ne_u32_e64 s14, 0, v38
	v_ashrrev_i32_e32 v50, 31, v50
	v_lshlrev_b32_e32 v49, 25, v33
	v_ashrrev_i32_e32 v35, 31, v35
	v_lshlrev_b32_e32 v38, 24, v33
	s_wait_alu 0xf1ff
	v_xor_b32_e32 v34, s14, v34
	v_cmp_gt_i32_e64 s14, 0, v36
	v_not_b32_e32 v36, v37
	v_xor_b32_e32 v50, s15, v50
	v_cmp_gt_i32_e64 s15, 0, v37
	v_and_b32_e32 v34, exec_lo, v34
	v_not_b32_e32 v37, v39
	v_ashrrev_i32_e32 v36, 31, v36
	s_wait_alu 0xf1ff
	v_xor_b32_e32 v35, s14, v35
	v_cmp_gt_i32_e64 s14, 0, v39
	v_and_b32_e32 v34, v34, v50
	v_not_b32_e32 v39, v48
	v_ashrrev_i32_e32 v37, 31, v37
	v_xor_b32_e32 v36, s15, v36
	v_cmp_gt_i32_e64 s15, 0, v48
	v_and_b32_e32 v34, v34, v35
	v_not_b32_e32 v35, v49
	v_ashrrev_i32_e32 v39, 31, v39
	s_wait_alu 0xf1ff
	v_xor_b32_e32 v37, s14, v37
	v_cmp_gt_i32_e64 s14, 0, v49
	v_and_b32_e32 v34, v34, v36
	v_not_b32_e32 v36, v38
	v_ashrrev_i32_e32 v35, 31, v35
	v_xor_b32_e32 v39, s15, v39
	v_lshl_add_u32 v33, v33, 3, v102
	v_and_b32_e32 v34, v34, v37
	v_cmp_gt_i32_e64 s15, 0, v38
	v_ashrrev_i32_e32 v36, 31, v36
	s_wait_alu 0xf1ff
	v_xor_b32_e32 v35, s14, v35
	v_lshl_add_u32 v37, v33, 2, v12
	v_and_b32_e32 v34, v34, v39
	v_xor_b32_e32 v36, s15, v36
	ds_load_b32 v33, v37 offset:32
	v_and_b32_e32 v34, v34, v35
	v_add_nc_u32_e32 v35, 32, v37
	; wave barrier
	s_delay_alu instid0(VALU_DEP_2) | instskip(NEXT) | instid1(VALU_DEP_1)
	v_and_b32_e32 v36, v34, v36
	v_mbcnt_lo_u32_b32 v34, v36, 0
	v_cmp_ne_u32_e64 s15, 0, v36
	s_delay_alu instid0(VALU_DEP_2)
	v_cmp_eq_u32_e64 s14, 0, v34
	s_and_b32 s15, s15, s14
	s_wait_alu 0xfffe
	s_and_saveexec_b32 s14, s15
	s_cbranch_execz .LBB605_176
; %bb.175:                              ;   in Loop: Header=BB605_172 Depth=1
	s_wait_dscnt 0x0
	v_bcnt_u32_b32 v36, v36, v33
	ds_store_b32 v35, v36
.LBB605_176:                            ;   in Loop: Header=BB605_172 Depth=1
	s_wait_alu 0xfffe
	s_or_b32 exec_lo, exec_lo, s14
	v_lshrrev_b32_e32 v36, v10, v162
	; wave barrier
	s_delay_alu instid0(VALU_DEP_1) | instskip(NEXT) | instid1(VALU_DEP_1)
	v_and_b32_e32 v36, v36, v64
	v_and_b32_e32 v37, 1, v36
	v_lshlrev_b32_e32 v38, 30, v36
	v_lshlrev_b32_e32 v39, 29, v36
	;; [unrolled: 1-line block ×4, first 2 shown]
	v_add_co_u32 v37, s14, v37, -1
	s_wait_alu 0xf1ff
	v_cndmask_b32_e64 v49, 0, 1, s14
	v_not_b32_e32 v53, v38
	v_cmp_gt_i32_e64 s15, 0, v38
	v_not_b32_e32 v38, v39
	v_lshlrev_b32_e32 v51, 26, v36
	v_cmp_ne_u32_e64 s14, 0, v49
	v_ashrrev_i32_e32 v53, 31, v53
	v_lshlrev_b32_e32 v52, 25, v36
	v_ashrrev_i32_e32 v38, 31, v38
	v_lshlrev_b32_e32 v49, 24, v36
	s_wait_alu 0xf1ff
	v_xor_b32_e32 v37, s14, v37
	v_cmp_gt_i32_e64 s14, 0, v39
	v_not_b32_e32 v39, v48
	v_xor_b32_e32 v53, s15, v53
	v_cmp_gt_i32_e64 s15, 0, v48
	v_and_b32_e32 v37, exec_lo, v37
	v_not_b32_e32 v48, v50
	v_ashrrev_i32_e32 v39, 31, v39
	s_wait_alu 0xf1ff
	v_xor_b32_e32 v38, s14, v38
	v_cmp_gt_i32_e64 s14, 0, v50
	v_and_b32_e32 v37, v37, v53
	v_not_b32_e32 v50, v51
	v_ashrrev_i32_e32 v48, 31, v48
	v_xor_b32_e32 v39, s15, v39
	v_cmp_gt_i32_e64 s15, 0, v51
	v_and_b32_e32 v37, v37, v38
	v_not_b32_e32 v38, v52
	v_ashrrev_i32_e32 v50, 31, v50
	s_wait_alu 0xf1ff
	v_xor_b32_e32 v48, s14, v48
	v_cmp_gt_i32_e64 s14, 0, v52
	v_and_b32_e32 v37, v37, v39
	v_not_b32_e32 v39, v49
	v_ashrrev_i32_e32 v38, 31, v38
	v_xor_b32_e32 v50, s15, v50
	v_lshl_add_u32 v36, v36, 3, v102
	v_and_b32_e32 v37, v37, v48
	v_cmp_gt_i32_e64 s15, 0, v49
	v_ashrrev_i32_e32 v39, 31, v39
	s_wait_alu 0xf1ff
	v_xor_b32_e32 v38, s14, v38
	v_lshl_add_u32 v48, v36, 2, v12
	v_and_b32_e32 v37, v37, v50
	v_xor_b32_e32 v39, s15, v39
	ds_load_b32 v36, v48 offset:32
	v_and_b32_e32 v37, v37, v38
	v_add_nc_u32_e32 v38, 32, v48
	; wave barrier
	s_delay_alu instid0(VALU_DEP_2) | instskip(NEXT) | instid1(VALU_DEP_1)
	v_and_b32_e32 v39, v37, v39
	v_mbcnt_lo_u32_b32 v37, v39, 0
	v_cmp_ne_u32_e64 s15, 0, v39
	s_delay_alu instid0(VALU_DEP_2)
	v_cmp_eq_u32_e64 s14, 0, v37
	s_and_b32 s15, s15, s14
	s_wait_alu 0xfffe
	s_and_saveexec_b32 s14, s15
	s_cbranch_execz .LBB605_178
; %bb.177:                              ;   in Loop: Header=BB605_172 Depth=1
	s_wait_dscnt 0x0
	v_bcnt_u32_b32 v39, v39, v36
	ds_store_b32 v38, v39
.LBB605_178:                            ;   in Loop: Header=BB605_172 Depth=1
	s_wait_alu 0xfffe
	s_or_b32 exec_lo, exec_lo, s14
	v_lshrrev_b32_e32 v39, v10, v161
	; wave barrier
	s_delay_alu instid0(VALU_DEP_1) | instskip(NEXT) | instid1(VALU_DEP_1)
	v_and_b32_e32 v39, v39, v64
	v_and_b32_e32 v48, 1, v39
	v_lshlrev_b32_e32 v49, 30, v39
	v_lshlrev_b32_e32 v50, 29, v39
	v_lshlrev_b32_e32 v51, 28, v39
	v_lshlrev_b32_e32 v53, 27, v39
	v_add_co_u32 v48, s14, v48, -1
	s_wait_alu 0xf1ff
	v_cndmask_b32_e64 v52, 0, 1, s14
	v_not_b32_e32 v65, v49
	v_cmp_gt_i32_e64 s15, 0, v49
	v_not_b32_e32 v49, v50
	v_lshlrev_b32_e32 v54, 26, v39
	v_cmp_ne_u32_e64 s14, 0, v52
	v_ashrrev_i32_e32 v65, 31, v65
	v_lshlrev_b32_e32 v55, 25, v39
	v_ashrrev_i32_e32 v49, 31, v49
	v_lshlrev_b32_e32 v52, 24, v39
	s_wait_alu 0xf1ff
	v_xor_b32_e32 v48, s14, v48
	v_cmp_gt_i32_e64 s14, 0, v50
	v_not_b32_e32 v50, v51
	v_xor_b32_e32 v65, s15, v65
	v_cmp_gt_i32_e64 s15, 0, v51
	v_and_b32_e32 v48, exec_lo, v48
	v_not_b32_e32 v51, v53
	v_ashrrev_i32_e32 v50, 31, v50
	s_wait_alu 0xf1ff
	v_xor_b32_e32 v49, s14, v49
	v_cmp_gt_i32_e64 s14, 0, v53
	v_and_b32_e32 v48, v48, v65
	v_not_b32_e32 v53, v54
	v_ashrrev_i32_e32 v51, 31, v51
	v_xor_b32_e32 v50, s15, v50
	v_cmp_gt_i32_e64 s15, 0, v54
	v_and_b32_e32 v48, v48, v49
	v_not_b32_e32 v49, v55
	v_ashrrev_i32_e32 v53, 31, v53
	s_wait_alu 0xf1ff
	v_xor_b32_e32 v51, s14, v51
	v_cmp_gt_i32_e64 s14, 0, v55
	v_and_b32_e32 v48, v48, v50
	v_not_b32_e32 v50, v52
	v_ashrrev_i32_e32 v49, 31, v49
	v_xor_b32_e32 v53, s15, v53
	v_lshl_add_u32 v39, v39, 3, v102
	v_and_b32_e32 v48, v48, v51
	v_cmp_gt_i32_e64 s15, 0, v52
	v_ashrrev_i32_e32 v50, 31, v50
	s_wait_alu 0xf1ff
	v_xor_b32_e32 v49, s14, v49
	v_lshl_add_u32 v51, v39, 2, v12
	v_and_b32_e32 v48, v48, v53
	v_xor_b32_e32 v50, s15, v50
	ds_load_b32 v39, v51 offset:32
	v_and_b32_e32 v48, v48, v49
	v_add_nc_u32_e32 v49, 32, v51
	; wave barrier
	s_delay_alu instid0(VALU_DEP_2) | instskip(NEXT) | instid1(VALU_DEP_1)
	v_and_b32_e32 v50, v48, v50
	v_mbcnt_lo_u32_b32 v48, v50, 0
	v_cmp_ne_u32_e64 s15, 0, v50
	s_delay_alu instid0(VALU_DEP_2)
	v_cmp_eq_u32_e64 s14, 0, v48
	s_and_b32 s15, s15, s14
	s_wait_alu 0xfffe
	s_and_saveexec_b32 s14, s15
	s_cbranch_execz .LBB605_180
; %bb.179:                              ;   in Loop: Header=BB605_172 Depth=1
	s_wait_dscnt 0x0
	v_bcnt_u32_b32 v50, v50, v39
	ds_store_b32 v49, v50
.LBB605_180:                            ;   in Loop: Header=BB605_172 Depth=1
	s_wait_alu 0xfffe
	s_or_b32 exec_lo, exec_lo, s14
	v_lshrrev_b32_e32 v50, v10, v160
	; wave barrier
	s_delay_alu instid0(VALU_DEP_1) | instskip(NEXT) | instid1(VALU_DEP_1)
	v_and_b32_e32 v50, v50, v64
	v_and_b32_e32 v51, 1, v50
	v_lshlrev_b32_e32 v52, 30, v50
	v_lshlrev_b32_e32 v53, 29, v50
	;; [unrolled: 1-line block ×4, first 2 shown]
	v_add_co_u32 v51, s14, v51, -1
	s_wait_alu 0xf1ff
	v_cndmask_b32_e64 v55, 0, 1, s14
	v_not_b32_e32 v68, v52
	v_cmp_gt_i32_e64 s15, 0, v52
	v_not_b32_e32 v52, v53
	v_lshlrev_b32_e32 v66, 26, v50
	v_cmp_ne_u32_e64 s14, 0, v55
	v_ashrrev_i32_e32 v68, 31, v68
	v_lshlrev_b32_e32 v67, 25, v50
	v_ashrrev_i32_e32 v52, 31, v52
	v_lshlrev_b32_e32 v55, 24, v50
	s_wait_alu 0xf1ff
	v_xor_b32_e32 v51, s14, v51
	v_cmp_gt_i32_e64 s14, 0, v53
	v_not_b32_e32 v53, v54
	v_xor_b32_e32 v68, s15, v68
	v_cmp_gt_i32_e64 s15, 0, v54
	v_and_b32_e32 v51, exec_lo, v51
	v_not_b32_e32 v54, v65
	v_ashrrev_i32_e32 v53, 31, v53
	s_wait_alu 0xf1ff
	v_xor_b32_e32 v52, s14, v52
	v_cmp_gt_i32_e64 s14, 0, v65
	v_and_b32_e32 v51, v51, v68
	v_not_b32_e32 v65, v66
	v_ashrrev_i32_e32 v54, 31, v54
	v_xor_b32_e32 v53, s15, v53
	v_cmp_gt_i32_e64 s15, 0, v66
	v_and_b32_e32 v51, v51, v52
	v_not_b32_e32 v52, v67
	v_ashrrev_i32_e32 v65, 31, v65
	s_wait_alu 0xf1ff
	v_xor_b32_e32 v54, s14, v54
	v_cmp_gt_i32_e64 s14, 0, v67
	v_and_b32_e32 v51, v51, v53
	v_not_b32_e32 v53, v55
	v_ashrrev_i32_e32 v52, 31, v52
	v_xor_b32_e32 v65, s15, v65
	v_lshl_add_u32 v50, v50, 3, v102
	v_and_b32_e32 v51, v51, v54
	v_cmp_gt_i32_e64 s15, 0, v55
	v_ashrrev_i32_e32 v53, 31, v53
	s_wait_alu 0xf1ff
	v_xor_b32_e32 v52, s14, v52
	v_lshl_add_u32 v54, v50, 2, v12
	v_and_b32_e32 v51, v51, v65
	v_xor_b32_e32 v53, s15, v53
	ds_load_b32 v50, v54 offset:32
	v_and_b32_e32 v51, v51, v52
	v_add_nc_u32_e32 v52, 32, v54
	; wave barrier
	s_delay_alu instid0(VALU_DEP_2) | instskip(NEXT) | instid1(VALU_DEP_1)
	v_and_b32_e32 v53, v51, v53
	v_mbcnt_lo_u32_b32 v51, v53, 0
	v_cmp_ne_u32_e64 s15, 0, v53
	s_delay_alu instid0(VALU_DEP_2)
	v_cmp_eq_u32_e64 s14, 0, v51
	s_and_b32 s15, s15, s14
	s_wait_alu 0xfffe
	s_and_saveexec_b32 s14, s15
	s_cbranch_execz .LBB605_182
; %bb.181:                              ;   in Loop: Header=BB605_172 Depth=1
	s_wait_dscnt 0x0
	v_bcnt_u32_b32 v53, v53, v50
	ds_store_b32 v52, v53
.LBB605_182:                            ;   in Loop: Header=BB605_172 Depth=1
	s_wait_alu 0xfffe
	s_or_b32 exec_lo, exec_lo, s14
	v_lshrrev_b32_e32 v53, v10, v151
	; wave barrier
	s_delay_alu instid0(VALU_DEP_1) | instskip(NEXT) | instid1(VALU_DEP_1)
	v_and_b32_e32 v53, v53, v64
	v_and_b32_e32 v54, 1, v53
	v_lshlrev_b32_e32 v55, 30, v53
	v_lshlrev_b32_e32 v65, 29, v53
	;; [unrolled: 1-line block ×4, first 2 shown]
	v_add_co_u32 v54, s14, v54, -1
	s_wait_alu 0xf1ff
	v_cndmask_b32_e64 v67, 0, 1, s14
	v_not_b32_e32 v71, v55
	v_cmp_gt_i32_e64 s15, 0, v55
	v_not_b32_e32 v55, v65
	v_lshlrev_b32_e32 v69, 26, v53
	v_cmp_ne_u32_e64 s14, 0, v67
	v_ashrrev_i32_e32 v71, 31, v71
	v_lshlrev_b32_e32 v70, 25, v53
	v_ashrrev_i32_e32 v55, 31, v55
	v_lshlrev_b32_e32 v67, 24, v53
	s_wait_alu 0xf1ff
	v_xor_b32_e32 v54, s14, v54
	v_cmp_gt_i32_e64 s14, 0, v65
	v_not_b32_e32 v65, v66
	v_xor_b32_e32 v71, s15, v71
	v_cmp_gt_i32_e64 s15, 0, v66
	v_and_b32_e32 v54, exec_lo, v54
	v_not_b32_e32 v66, v68
	v_ashrrev_i32_e32 v65, 31, v65
	s_wait_alu 0xf1ff
	v_xor_b32_e32 v55, s14, v55
	v_cmp_gt_i32_e64 s14, 0, v68
	v_and_b32_e32 v54, v54, v71
	v_not_b32_e32 v68, v69
	v_ashrrev_i32_e32 v66, 31, v66
	v_xor_b32_e32 v65, s15, v65
	v_cmp_gt_i32_e64 s15, 0, v69
	v_and_b32_e32 v54, v54, v55
	v_not_b32_e32 v55, v70
	v_ashrrev_i32_e32 v68, 31, v68
	s_wait_alu 0xf1ff
	v_xor_b32_e32 v66, s14, v66
	v_cmp_gt_i32_e64 s14, 0, v70
	v_and_b32_e32 v54, v54, v65
	v_not_b32_e32 v65, v67
	v_ashrrev_i32_e32 v55, 31, v55
	v_xor_b32_e32 v68, s15, v68
	v_lshl_add_u32 v53, v53, 3, v102
	v_and_b32_e32 v54, v54, v66
	v_cmp_gt_i32_e64 s15, 0, v67
	v_ashrrev_i32_e32 v65, 31, v65
	s_wait_alu 0xf1ff
	v_xor_b32_e32 v55, s14, v55
	v_lshl_add_u32 v66, v53, 2, v12
	v_and_b32_e32 v54, v54, v68
	v_xor_b32_e32 v65, s15, v65
	ds_load_b32 v53, v66 offset:32
	v_and_b32_e32 v54, v54, v55
	v_add_nc_u32_e32 v55, 32, v66
	; wave barrier
	s_delay_alu instid0(VALU_DEP_2) | instskip(NEXT) | instid1(VALU_DEP_1)
	v_and_b32_e32 v65, v54, v65
	v_mbcnt_lo_u32_b32 v54, v65, 0
	v_cmp_ne_u32_e64 s15, 0, v65
	s_delay_alu instid0(VALU_DEP_2)
	v_cmp_eq_u32_e64 s14, 0, v54
	s_and_b32 s15, s15, s14
	s_wait_alu 0xfffe
	s_and_saveexec_b32 s14, s15
	s_cbranch_execz .LBB605_184
; %bb.183:                              ;   in Loop: Header=BB605_172 Depth=1
	s_wait_dscnt 0x0
	v_bcnt_u32_b32 v65, v65, v53
	ds_store_b32 v55, v65
.LBB605_184:                            ;   in Loop: Header=BB605_172 Depth=1
	s_wait_alu 0xfffe
	s_or_b32 exec_lo, exec_lo, s14
	v_lshrrev_b32_e32 v65, v10, v149
	; wave barrier
	s_delay_alu instid0(VALU_DEP_1) | instskip(NEXT) | instid1(VALU_DEP_1)
	v_and_b32_e32 v65, v65, v64
	v_and_b32_e32 v66, 1, v65
	v_lshlrev_b32_e32 v67, 30, v65
	v_lshlrev_b32_e32 v68, 29, v65
	;; [unrolled: 1-line block ×4, first 2 shown]
	v_add_co_u32 v66, s14, v66, -1
	s_wait_alu 0xf1ff
	v_cndmask_b32_e64 v70, 0, 1, s14
	v_not_b32_e32 v82, v67
	v_cmp_gt_i32_e64 s15, 0, v67
	v_not_b32_e32 v67, v68
	v_lshlrev_b32_e32 v80, 26, v65
	v_cmp_ne_u32_e64 s14, 0, v70
	v_ashrrev_i32_e32 v82, 31, v82
	v_lshlrev_b32_e32 v81, 25, v65
	v_ashrrev_i32_e32 v67, 31, v67
	v_lshlrev_b32_e32 v70, 24, v65
	s_wait_alu 0xf1ff
	v_xor_b32_e32 v66, s14, v66
	v_cmp_gt_i32_e64 s14, 0, v68
	v_not_b32_e32 v68, v69
	v_xor_b32_e32 v82, s15, v82
	v_cmp_gt_i32_e64 s15, 0, v69
	v_and_b32_e32 v66, exec_lo, v66
	v_not_b32_e32 v69, v71
	v_ashrrev_i32_e32 v68, 31, v68
	s_wait_alu 0xf1ff
	v_xor_b32_e32 v67, s14, v67
	v_cmp_gt_i32_e64 s14, 0, v71
	v_and_b32_e32 v66, v66, v82
	v_not_b32_e32 v71, v80
	v_ashrrev_i32_e32 v69, 31, v69
	v_xor_b32_e32 v68, s15, v68
	v_cmp_gt_i32_e64 s15, 0, v80
	v_and_b32_e32 v66, v66, v67
	v_not_b32_e32 v67, v81
	v_ashrrev_i32_e32 v71, 31, v71
	s_wait_alu 0xf1ff
	v_xor_b32_e32 v69, s14, v69
	v_cmp_gt_i32_e64 s14, 0, v81
	v_and_b32_e32 v66, v66, v68
	v_not_b32_e32 v68, v70
	v_ashrrev_i32_e32 v67, 31, v67
	v_xor_b32_e32 v71, s15, v71
	v_lshl_add_u32 v65, v65, 3, v102
	v_and_b32_e32 v66, v66, v69
	v_cmp_gt_i32_e64 s15, 0, v70
	v_ashrrev_i32_e32 v68, 31, v68
	s_wait_alu 0xf1ff
	v_xor_b32_e32 v67, s14, v67
	v_lshl_add_u32 v65, v65, 2, v12
	v_and_b32_e32 v66, v66, v71
	v_xor_b32_e32 v68, s15, v68
	ds_load_b32 v82, v65 offset:32
	v_and_b32_e32 v66, v66, v67
	v_add_nc_u32_e32 v65, 32, v65
	; wave barrier
	s_delay_alu instid0(VALU_DEP_2) | instskip(NEXT) | instid1(VALU_DEP_1)
	v_and_b32_e32 v66, v66, v68
	v_mbcnt_lo_u32_b32 v84, v66, 0
	v_cmp_ne_u32_e64 s15, 0, v66
	s_delay_alu instid0(VALU_DEP_2)
	v_cmp_eq_u32_e64 s14, 0, v84
	s_and_b32 s15, s15, s14
	s_wait_alu 0xfffe
	s_and_saveexec_b32 s14, s15
	s_cbranch_execz .LBB605_186
; %bb.185:                              ;   in Loop: Header=BB605_172 Depth=1
	s_wait_dscnt 0x0
	v_bcnt_u32_b32 v66, v66, v82
	ds_store_b32 v65, v66
.LBB605_186:                            ;   in Loop: Header=BB605_172 Depth=1
	s_wait_alu 0xfffe
	s_or_b32 exec_lo, exec_lo, s14
	v_lshrrev_b32_e32 v66, v10, v148
	; wave barrier
	s_delay_alu instid0(VALU_DEP_1) | instskip(NEXT) | instid1(VALU_DEP_1)
	v_and_b32_e32 v64, v66, v64
	v_and_b32_e32 v66, 1, v64
	v_lshlrev_b32_e32 v67, 30, v64
	v_lshlrev_b32_e32 v68, 29, v64
	;; [unrolled: 1-line block ×4, first 2 shown]
	v_add_co_u32 v66, s14, v66, -1
	s_wait_alu 0xf1ff
	v_cndmask_b32_e64 v70, 0, 1, s14
	v_not_b32_e32 v83, v67
	v_cmp_gt_i32_e64 s15, 0, v67
	v_not_b32_e32 v67, v68
	v_lshlrev_b32_e32 v80, 26, v64
	v_cmp_ne_u32_e64 s14, 0, v70
	v_ashrrev_i32_e32 v83, 31, v83
	v_lshlrev_b32_e32 v81, 25, v64
	v_ashrrev_i32_e32 v67, 31, v67
	v_lshlrev_b32_e32 v70, 24, v64
	s_wait_alu 0xf1ff
	v_xor_b32_e32 v66, s14, v66
	v_cmp_gt_i32_e64 s14, 0, v68
	v_not_b32_e32 v68, v69
	v_xor_b32_e32 v83, s15, v83
	v_cmp_gt_i32_e64 s15, 0, v69
	v_and_b32_e32 v66, exec_lo, v66
	v_not_b32_e32 v69, v71
	v_ashrrev_i32_e32 v68, 31, v68
	s_wait_alu 0xf1ff
	v_xor_b32_e32 v67, s14, v67
	v_cmp_gt_i32_e64 s14, 0, v71
	v_and_b32_e32 v66, v66, v83
	v_not_b32_e32 v71, v80
	v_ashrrev_i32_e32 v69, 31, v69
	v_xor_b32_e32 v68, s15, v68
	v_cmp_gt_i32_e64 s15, 0, v80
	v_and_b32_e32 v66, v66, v67
	v_not_b32_e32 v67, v81
	v_ashrrev_i32_e32 v71, 31, v71
	s_wait_alu 0xf1ff
	v_xor_b32_e32 v69, s14, v69
	v_cmp_gt_i32_e64 s14, 0, v81
	v_and_b32_e32 v66, v66, v68
	v_not_b32_e32 v68, v70
	v_ashrrev_i32_e32 v67, 31, v67
	v_xor_b32_e32 v71, s15, v71
	v_lshl_add_u32 v64, v64, 3, v102
	v_and_b32_e32 v66, v66, v69
	v_cmp_gt_i32_e64 s15, 0, v70
	v_ashrrev_i32_e32 v68, 31, v68
	s_wait_alu 0xf1ff
	v_xor_b32_e32 v67, s14, v67
	v_lshl_add_u32 v64, v64, 2, v12
	v_and_b32_e32 v66, v66, v71
	v_xor_b32_e32 v68, s15, v68
	ds_load_b32 v164, v64 offset:32
	v_and_b32_e32 v66, v66, v67
	v_add_nc_u32_e32 v64, 32, v64
	; wave barrier
	s_delay_alu instid0(VALU_DEP_2) | instskip(NEXT) | instid1(VALU_DEP_1)
	v_and_b32_e32 v66, v66, v68
	v_mbcnt_lo_u32_b32 v165, v66, 0
	v_cmp_ne_u32_e64 s15, 0, v66
	s_delay_alu instid0(VALU_DEP_2)
	v_cmp_eq_u32_e64 s14, 0, v165
	s_and_b32 s15, s15, s14
	s_wait_alu 0xfffe
	s_and_saveexec_b32 s14, s15
	s_cbranch_execz .LBB605_188
; %bb.187:                              ;   in Loop: Header=BB605_172 Depth=1
	s_wait_dscnt 0x0
	v_bcnt_u32_b32 v66, v66, v164
	ds_store_b32 v64, v66
.LBB605_188:                            ;   in Loop: Header=BB605_172 Depth=1
	s_wait_alu 0xfffe
	s_or_b32 exec_lo, exec_lo, s14
	; wave barrier
	s_wait_loadcnt_dscnt 0x0
	s_barrier_signal -1
	s_barrier_wait -1
	global_inv scope:SCOPE_SE
	ds_load_b32 v67, v25
	ds_load_b32 v68, v86
	;; [unrolled: 1-line block ×8, first 2 shown]
	s_wait_dscnt 0x6
	v_add_nc_u32_e32 v83, v68, v67
	s_wait_dscnt 0x4
	s_delay_alu instid0(VALU_DEP_1) | instskip(SKIP_1) | instid1(VALU_DEP_1)
	v_add3_u32 v83, v83, v69, v70
	s_wait_dscnt 0x2
	v_add3_u32 v83, v83, v71, v80
	s_wait_dscnt 0x0
	s_delay_alu instid0(VALU_DEP_1) | instskip(NEXT) | instid1(VALU_DEP_1)
	v_add3_u32 v81, v83, v66, v81
	v_mov_b32_dpp v83, v81 row_shr:1 row_mask:0xf bank_mask:0xf
	s_wait_alu 0xfffd
	s_delay_alu instid0(VALU_DEP_1) | instskip(NEXT) | instid1(VALU_DEP_1)
	v_cndmask_b32_e64 v83, v83, 0, vcc_lo
	v_add_nc_u32_e32 v81, v83, v81
	s_delay_alu instid0(VALU_DEP_1) | instskip(NEXT) | instid1(VALU_DEP_1)
	v_mov_b32_dpp v83, v81 row_shr:2 row_mask:0xf bank_mask:0xf
	v_cndmask_b32_e64 v83, 0, v83, s0
	s_delay_alu instid0(VALU_DEP_1) | instskip(NEXT) | instid1(VALU_DEP_1)
	v_add_nc_u32_e32 v81, v81, v83
	v_mov_b32_dpp v83, v81 row_shr:4 row_mask:0xf bank_mask:0xf
	s_delay_alu instid0(VALU_DEP_1) | instskip(NEXT) | instid1(VALU_DEP_1)
	v_cndmask_b32_e64 v83, 0, v83, s1
	v_add_nc_u32_e32 v81, v81, v83
	s_delay_alu instid0(VALU_DEP_1) | instskip(NEXT) | instid1(VALU_DEP_1)
	v_mov_b32_dpp v83, v81 row_shr:8 row_mask:0xf bank_mask:0xf
	v_cndmask_b32_e64 v83, 0, v83, s3
	s_delay_alu instid0(VALU_DEP_1) | instskip(SKIP_3) | instid1(VALU_DEP_1)
	v_add_nc_u32_e32 v81, v81, v83
	ds_swizzle_b32 v83, v81 offset:swizzle(BROADCAST,32,15)
	s_wait_dscnt 0x0
	v_cndmask_b32_e64 v83, v83, 0, s4
	v_add_nc_u32_e32 v81, v81, v83
	s_and_saveexec_b32 s14, s5
; %bb.189:                              ;   in Loop: Header=BB605_172 Depth=1
	ds_store_b32 v112, v81
; %bb.190:                              ;   in Loop: Header=BB605_172 Depth=1
	s_wait_alu 0xfffe
	s_or_b32 exec_lo, exec_lo, s14
	s_wait_loadcnt_dscnt 0x0
	s_barrier_signal -1
	s_barrier_wait -1
	global_inv scope:SCOPE_SE
	s_and_saveexec_b32 s14, s6
	s_cbranch_execz .LBB605_192
; %bb.191:                              ;   in Loop: Header=BB605_172 Depth=1
	ds_load_b32 v83, v96
	s_wait_dscnt 0x0
	v_mov_b32_dpp v85, v83 row_shr:1 row_mask:0xf bank_mask:0xf
	s_delay_alu instid0(VALU_DEP_1) | instskip(NEXT) | instid1(VALU_DEP_1)
	v_cndmask_b32_e64 v85, v85, 0, s11
	v_add_nc_u32_e32 v83, v85, v83
	s_delay_alu instid0(VALU_DEP_1) | instskip(NEXT) | instid1(VALU_DEP_1)
	v_mov_b32_dpp v85, v83 row_shr:2 row_mask:0xf bank_mask:0xf
	v_cndmask_b32_e64 v85, 0, v85, s12
	s_delay_alu instid0(VALU_DEP_1) | instskip(NEXT) | instid1(VALU_DEP_1)
	v_add_nc_u32_e32 v83, v83, v85
	v_mov_b32_dpp v85, v83 row_shr:4 row_mask:0xf bank_mask:0xf
	s_delay_alu instid0(VALU_DEP_1) | instskip(NEXT) | instid1(VALU_DEP_1)
	v_cndmask_b32_e64 v85, 0, v85, s13
	v_add_nc_u32_e32 v83, v83, v85
	ds_store_b32 v96, v83
.LBB605_192:                            ;   in Loop: Header=BB605_172 Depth=1
	s_wait_alu 0xfffe
	s_or_b32 exec_lo, exec_lo, s14
	v_mov_b32_e32 v83, 0
	s_wait_loadcnt_dscnt 0x0
	s_barrier_signal -1
	s_barrier_wait -1
	global_inv scope:SCOPE_SE
	s_and_saveexec_b32 s14, s7
; %bb.193:                              ;   in Loop: Header=BB605_172 Depth=1
	ds_load_b32 v83, v114
; %bb.194:                              ;   in Loop: Header=BB605_172 Depth=1
	s_wait_alu 0xfffe
	s_or_b32 exec_lo, exec_lo, s14
	s_wait_dscnt 0x0
	v_add_nc_u32_e32 v81, v83, v81
	v_dual_mov_b32 v85, v5 :: v_dual_add_nc_u32 v10, 8, v10
	s_mov_b32 s20, -1
	ds_bpermute_b32 v81, v103, v81
	s_wait_dscnt 0x0
	v_cndmask_b32_e64 v81, v81, v83, s2
	v_mov_b32_e32 v83, v5
	s_delay_alu instid0(VALU_DEP_2) | instskip(NEXT) | instid1(VALU_DEP_1)
	v_cndmask_b32_e64 v81, v81, 0, s10
	v_add_nc_u32_e32 v67, v81, v67
	s_delay_alu instid0(VALU_DEP_1)
	v_add_nc_u32_e32 v68, v67, v68
	ds_store_b32 v25, v81
	ds_store_b32 v86, v67
	;; [unrolled: 1-line block ×3, first 2 shown]
	v_mov_b32_e32 v67, v5
	v_add_nc_u32_e32 v69, v68, v69
	s_delay_alu instid0(VALU_DEP_1) | instskip(NEXT) | instid1(VALU_DEP_1)
	v_add_nc_u32_e32 v70, v69, v70
	v_add_nc_u32_e32 v71, v70, v71
	s_delay_alu instid0(VALU_DEP_1) | instskip(NEXT) | instid1(VALU_DEP_1)
	v_add_nc_u32_e32 v80, v71, v80
	v_add_nc_u32_e32 v66, v80, v66
	ds_store_b32 v97, v69
	ds_store_b32 v98, v70
	;; [unrolled: 1-line block ×5, first 2 shown]
	s_wait_loadcnt_dscnt 0x0
	s_barrier_signal -1
	s_barrier_wait -1
	global_inv scope:SCOPE_SE
	ds_load_b32 v32, v32
	ds_load_b32 v35, v35
	;; [unrolled: 1-line block ×8, first 2 shown]
	v_mov_b32_e32 v81, v5
	v_mov_b32_e32 v71, v5
	;; [unrolled: 1-line block ×4, first 2 shown]
	v_cmp_lt_u32_e64 s14, v10, v11
	s_wait_loadcnt_dscnt 0x0
	v_add_nc_u32_e32 v4, v32, v4
	v_add3_u32 v66, v34, v33, v35
	v_add3_u32 v70, v37, v36, v38
	;; [unrolled: 1-line block ×5, first 2 shown]
	v_lshlrev_b64_e32 v[32:33], 2, v[4:5]
	v_add3_u32 v82, v84, v82, v166
	v_add3_u32 v84, v165, v164, v167
	v_lshlrev_b64_e32 v[33:34], 2, v[66:67]
	v_lshlrev_b64_e32 v[34:35], 2, v[70:71]
	;; [unrolled: 1-line block ×7, first 2 shown]
	v_add_co_u32 v180, null, v12, v32
	v_add_co_u32 v179, null, v12, v33
	;; [unrolled: 1-line block ×8, first 2 shown]
                                        ; implicit-def: $vgpr164
                                        ; implicit-def: $vgpr85
                                        ; implicit-def: $vgpr81
                                        ; implicit-def: $vgpr71
                                        ; implicit-def: $vgpr69
                                        ; implicit-def: $vgpr67
                                        ; implicit-def: $vgpr65
                                        ; implicit-def: $vgpr83
                                        ; implicit-def: $vgpr32_vgpr33
                                        ; implicit-def: $vgpr36_vgpr37
                                        ; implicit-def: $vgpr38_vgpr39
                                        ; implicit-def: $vgpr48_vgpr49
                                        ; implicit-def: $vgpr50_vgpr51
                                        ; implicit-def: $vgpr52_vgpr53
                                        ; implicit-def: $vgpr54_vgpr55
                                        ; implicit-def: $vgpr34_vgpr35
	s_and_saveexec_b32 s15, s14
	s_cbranch_execz .LBB605_171
; %bb.195:                              ;   in Loop: Header=BB605_172 Depth=1
	v_lshl_add_u32 v32, v4, 2, v180
	v_lshl_add_u32 v33, v66, 2, v179
	;; [unrolled: 1-line block ×3, first 2 shown]
	s_barrier_signal -1
	s_barrier_wait -1
	global_inv scope:SCOPE_SE
	ds_store_b32 v180, v150
	ds_store_b32 v179, v163
	;; [unrolled: 1-line block ×8, first 2 shown]
	s_wait_loadcnt_dscnt 0x0
	s_barrier_signal -1
	s_barrier_wait -1
	global_inv scope:SCOPE_SE
	ds_load_b32 v83, v113
	ds_load_b32 v65, v115
	;; [unrolled: 1-line block ×8, first 2 shown]
	s_wait_loadcnt_dscnt 0x0
	s_barrier_signal -1
	s_barrier_wait -1
	global_inv scope:SCOPE_SE
	ds_store_b64 v32, v[22:23]
	ds_store_b64 v33, v[19:20]
	;; [unrolled: 1-line block ×3, first 2 shown]
	v_lshl_add_u32 v32, v64, 2, v177
	v_lshl_add_u32 v33, v68, 2, v176
	v_lshl_add_u32 v34, v80, 2, v167
	v_lshl_add_u32 v35, v82, 2, v166
	v_lshl_add_u32 v36, v84, 2, v165
	ds_store_b64 v32, v[15:16]
	ds_store_b64 v33, v[13:14]
	;; [unrolled: 1-line block ×5, first 2 shown]
	s_wait_loadcnt_dscnt 0x0
	s_barrier_signal -1
	s_barrier_wait -1
	global_inv scope:SCOPE_SE
	ds_load_b64 v[32:33], v118
	ds_load_b64 v[36:37], v131
	;; [unrolled: 1-line block ×8, first 2 shown]
	v_add_nc_u32_e32 v147, -8, v147
	s_xor_b32 s20, exec_lo, -1
	s_wait_loadcnt_dscnt 0x0
	s_barrier_signal -1
	s_barrier_wait -1
	global_inv scope:SCOPE_SE
	s_branch .LBB605_171
.LBB605_196:
	flat_load_b64 v[66:67], v[4:5]
	s_wait_alu 0xfffe
	s_or_b32 exec_lo, exec_lo, s17
                                        ; implicit-def: $vgpr64_vgpr65
	s_and_saveexec_b32 s17, s0
	s_cbranch_execz .LBB605_36
.LBB605_197:
	flat_load_b64 v[64:65], v[4:5] offset:256
	s_wait_alu 0xfffe
	s_or_b32 exec_lo, exec_lo, s17
                                        ; implicit-def: $vgpr68_vgpr69
	s_and_saveexec_b32 s0, s1
	s_cbranch_execz .LBB605_37
.LBB605_198:
	flat_load_b64 v[68:69], v[4:5] offset:512
	s_wait_alu 0xfffe
	s_or_b32 exec_lo, exec_lo, s0
                                        ; implicit-def: $vgpr70_vgpr71
	s_and_saveexec_b32 s0, s2
	s_cbranch_execz .LBB605_38
.LBB605_199:
	flat_load_b64 v[70:71], v[4:5] offset:768
	s_wait_alu 0xfffe
	s_or_b32 exec_lo, exec_lo, s0
                                        ; implicit-def: $vgpr82_vgpr83
	s_and_saveexec_b32 s0, s3
	s_cbranch_execz .LBB605_39
.LBB605_200:
	flat_load_b64 v[82:83], v[4:5] offset:1024
	s_wait_alu 0xfffe
	s_or_b32 exec_lo, exec_lo, s0
                                        ; implicit-def: $vgpr80_vgpr81
	s_and_saveexec_b32 s0, s4
	s_cbranch_execz .LBB605_40
.LBB605_201:
	flat_load_b64 v[80:81], v[4:5] offset:1280
	s_wait_alu 0xfffe
	s_or_b32 exec_lo, exec_lo, s0
                                        ; implicit-def: $vgpr84_vgpr85
	s_and_saveexec_b32 s0, s5
	s_cbranch_execz .LBB605_41
.LBB605_202:
	flat_load_b64 v[84:85], v[4:5] offset:1536
	s_wait_alu 0xfffe
	s_or_b32 exec_lo, exec_lo, s0
                                        ; implicit-def: $vgpr86_vgpr87
	s_and_saveexec_b32 s0, s6
	s_cbranch_execz .LBB605_42
.LBB605_203:
	flat_load_b64 v[86:87], v[4:5] offset:1792
	s_wait_alu 0xfffe
	s_or_b32 exec_lo, exec_lo, s0
                                        ; implicit-def: $vgpr97_vgpr98
	s_and_saveexec_b32 s0, s7
	s_cbranch_execz .LBB605_43
.LBB605_204:
	flat_load_b64 v[97:98], v[4:5] offset:2048
	s_wait_alu 0xfffe
	s_or_b32 exec_lo, exec_lo, s0
                                        ; implicit-def: $vgpr102_vgpr103
	s_and_saveexec_b32 s0, s10
	s_cbranch_execz .LBB605_44
.LBB605_205:
	flat_load_b64 v[102:103], v[4:5] offset:2304
	s_wait_alu 0xfffe
	s_or_b32 exec_lo, exec_lo, s0
                                        ; implicit-def: $vgpr131_vgpr132
	s_and_saveexec_b32 s0, s11
	s_cbranch_execz .LBB605_45
.LBB605_206:
	flat_load_b64 v[131:132], v[4:5] offset:2560
	s_wait_alu 0xfffe
	s_or_b32 exec_lo, exec_lo, s0
                                        ; implicit-def: $vgpr133_vgpr134
	s_and_saveexec_b32 s0, s12
	s_cbranch_execz .LBB605_46
.LBB605_207:
	flat_load_b64 v[133:134], v[4:5] offset:2816
	s_wait_alu 0xfffe
	s_or_b32 exec_lo, exec_lo, s0
                                        ; implicit-def: $vgpr149_vgpr150
	s_and_saveexec_b32 s0, s13
	s_cbranch_execz .LBB605_47
.LBB605_208:
	flat_load_b64 v[149:150], v[4:5] offset:3072
	s_wait_alu 0xfffe
	s_or_b32 exec_lo, exec_lo, s0
                                        ; implicit-def: $vgpr165_vgpr166
	s_and_saveexec_b32 s0, s14
	s_cbranch_execz .LBB605_48
.LBB605_209:
	flat_load_b64 v[165:166], v[4:5] offset:3328
	s_wait_alu 0xfffe
	s_or_b32 exec_lo, exec_lo, s0
                                        ; implicit-def: $vgpr176_vgpr177
	s_and_saveexec_b32 s0, s15
	s_cbranch_execz .LBB605_49
.LBB605_210:
	flat_load_b64 v[176:177], v[4:5] offset:3584
	s_wait_alu 0xfffe
	s_or_b32 exec_lo, exec_lo, s0
                                        ; implicit-def: $vgpr178_vgpr179
	s_and_saveexec_b32 s0, s16
	s_cbranch_execnz .LBB605_50
	s_branch .LBB605_51
.LBB605_211:
	flat_store_b64 v[0:1], v[36:37]
	s_wait_alu 0xfffe
	s_or_b32 exec_lo, exec_lo, s17
	s_and_saveexec_b32 s17, s0
	s_cbranch_execz .LBB605_127
.LBB605_212:
	flat_store_b64 v[0:1], v[38:39] offset:2048
	s_wait_alu 0xfffe
	s_or_b32 exec_lo, exec_lo, s17
	s_and_saveexec_b32 s0, s1
	s_cbranch_execz .LBB605_128
.LBB605_213:
	flat_store_b64 v[0:1], v[32:33] offset:4096
	s_wait_alu 0xfffe
	s_or_b32 exec_lo, exec_lo, s0
	s_and_saveexec_b32 s0, s2
	s_cbranch_execz .LBB605_129
.LBB605_214:
	flat_store_b64 v[0:1], v[34:35] offset:6144
	s_wait_alu 0xfffe
	s_or_b32 exec_lo, exec_lo, s0
	s_and_saveexec_b32 s0, s3
	s_cbranch_execz .LBB605_130
.LBB605_215:
	flat_store_b64 v[0:1], v[28:29] offset:8192
	s_wait_alu 0xfffe
	s_or_b32 exec_lo, exec_lo, s0
	s_and_saveexec_b32 s0, s4
	s_cbranch_execz .LBB605_131
.LBB605_216:
	flat_store_b64 v[0:1], v[30:31] offset:10240
	s_wait_alu 0xfffe
	s_or_b32 exec_lo, exec_lo, s0
	s_and_saveexec_b32 s0, s5
	s_cbranch_execz .LBB605_132
.LBB605_217:
	flat_store_b64 v[0:1], v[24:25] offset:12288
	s_wait_alu 0xfffe
	s_or_b32 exec_lo, exec_lo, s0
	s_and_saveexec_b32 s0, s6
	s_cbranch_execz .LBB605_133
.LBB605_218:
	flat_store_b64 v[0:1], v[26:27] offset:14336
	s_wait_alu 0xfffe
	s_or_b32 exec_lo, exec_lo, s0
	s_and_saveexec_b32 s0, s7
	s_cbranch_execz .LBB605_134
.LBB605_219:
	flat_store_b64 v[0:1], v[20:21] offset:16384
	s_wait_alu 0xfffe
	s_or_b32 exec_lo, exec_lo, s0
	s_and_saveexec_b32 s0, s10
	s_cbranch_execz .LBB605_135
.LBB605_220:
	flat_store_b64 v[0:1], v[22:23] offset:18432
	s_wait_alu 0xfffe
	s_or_b32 exec_lo, exec_lo, s0
	s_and_saveexec_b32 s0, s11
	s_cbranch_execz .LBB605_136
.LBB605_221:
	flat_store_b64 v[0:1], v[16:17] offset:20480
	s_wait_alu 0xfffe
	s_or_b32 exec_lo, exec_lo, s0
	s_and_saveexec_b32 s0, s12
	s_cbranch_execz .LBB605_137
.LBB605_222:
	flat_store_b64 v[0:1], v[18:19] offset:22528
	s_wait_alu 0xfffe
	s_or_b32 exec_lo, exec_lo, s0
	s_and_saveexec_b32 s0, s13
	s_cbranch_execz .LBB605_138
.LBB605_223:
	flat_store_b64 v[0:1], v[12:13] offset:24576
	s_wait_alu 0xfffe
	s_or_b32 exec_lo, exec_lo, s0
	s_and_saveexec_b32 s0, s14
	s_cbranch_execz .LBB605_139
.LBB605_224:
	flat_store_b64 v[0:1], v[14:15] offset:26624
	s_wait_alu 0xfffe
	s_or_b32 exec_lo, exec_lo, s0
	s_and_saveexec_b32 s0, s15
	s_cbranch_execz .LBB605_140
.LBB605_225:
	flat_store_b64 v[0:1], v[8:9] offset:28672
	s_wait_alu 0xfffe
	s_or_b32 exec_lo, exec_lo, s0
	s_and_saveexec_b32 s0, s16
	s_cbranch_execnz .LBB605_141
	s_branch .LBB605_142
.LBB605_226:
	s_or_b32 exec_lo, exec_lo, s19
	v_lshl_add_u32 v4, v4, 2, v180
	v_lshl_add_u32 v5, v66, 2, v179
	;; [unrolled: 1-line block ×3, first 2 shown]
	s_barrier_signal -1
	s_barrier_wait -1
	s_wait_loadcnt 0x0
	global_inv scope:SCOPE_SE
	ds_store_b32 v180, v150
	ds_store_b32 v179, v163
	;; [unrolled: 1-line block ×8, first 2 shown]
	s_wait_loadcnt_dscnt 0x0
	s_barrier_signal -1
	s_barrier_wait -1
	global_inv scope:SCOPE_SE
	ds_load_2addr_stride64_b32 v[38:39], v96 offset1:4
	ds_load_2addr_stride64_b32 v[36:37], v96 offset0:8 offset1:12
	ds_load_2addr_stride64_b32 v[34:35], v96 offset0:16 offset1:20
	;; [unrolled: 1-line block ×3, first 2 shown]
	s_wait_loadcnt_dscnt 0x0
	s_barrier_signal -1
	s_barrier_wait -1
	global_inv scope:SCOPE_SE
	ds_store_b64 v4, v[22:23]
	ds_store_b64 v5, v[19:20]
	;; [unrolled: 1-line block ×3, first 2 shown]
	v_lshl_add_u32 v4, v64, 2, v177
	v_lshl_add_u32 v5, v68, 2, v176
	;; [unrolled: 1-line block ×5, first 2 shown]
	ds_store_b64 v4, v[15:16]
	ds_store_b64 v5, v[13:14]
	;; [unrolled: 1-line block ×5, first 2 shown]
	v_lshl_add_u32 v4, v21, 3, v12
	s_wait_loadcnt_dscnt 0x0
	s_barrier_signal -1
	s_barrier_wait -1
	global_inv scope:SCOPE_SE
	ds_load_2addr_stride64_b64 v[20:23], v4 offset1:4
	ds_load_2addr_stride64_b64 v[16:19], v4 offset0:8 offset1:12
	ds_load_2addr_stride64_b64 v[12:15], v4 offset0:16 offset1:20
	;; [unrolled: 1-line block ×3, first 2 shown]
	v_mov_b32_e32 v25, 0
	v_add_co_u32 v2, vcc_lo, v2, v26
	s_wait_alu 0xfffd
	v_add_co_ci_u32_e64 v3, null, v3, v27, vcc_lo
	s_delay_alu instid0(VALU_DEP_3)
	v_lshlrev_b64_e32 v[4:5], 2, v[24:25]
	s_wait_loadcnt_dscnt 0x0
	s_barrier_signal -1
	s_barrier_wait -1
	global_inv scope:SCOPE_SE
	v_add_co_u32 v2, vcc_lo, v2, v4
	s_wait_alu 0xfffd
	v_add_co_ci_u32_e64 v3, null, v3, v5, vcc_lo
	v_cmp_lt_u32_e32 vcc_lo, v24, v135
	s_and_saveexec_b32 s0, vcc_lo
	s_cbranch_execz .LBB605_228
; %bb.227:
	v_xor_b32_e32 v4, 0x80000000, v38
	flat_store_b32 v[2:3], v4
.LBB605_228:
	s_wait_alu 0xfffe
	s_or_b32 exec_lo, exec_lo, s0
	v_add_nc_u32_e32 v4, 0x100, v24
	s_delay_alu instid0(VALU_DEP_1)
	v_cmp_lt_u32_e64 s0, v4, v135
	s_and_saveexec_b32 s1, s0
	s_cbranch_execz .LBB605_230
; %bb.229:
	v_xor_b32_e32 v4, 0x80000000, v39
	flat_store_b32 v[2:3], v4 offset:1024
.LBB605_230:
	s_wait_alu 0xfffe
	s_or_b32 exec_lo, exec_lo, s1
	v_add_nc_u32_e32 v4, 0x200, v24
	s_delay_alu instid0(VALU_DEP_1)
	v_cmp_lt_u32_e64 s1, v4, v135
	s_and_saveexec_b32 s2, s1
	s_cbranch_execz .LBB605_232
; %bb.231:
	v_xor_b32_e32 v4, 0x80000000, v36
	flat_store_b32 v[2:3], v4 offset:2048
.LBB605_232:
	;; [unrolled: 11-line block ×7, first 2 shown]
	s_wait_alu 0xfffe
	s_or_b32 exec_lo, exec_lo, s7
	v_lshlrev_b64_e32 v[2:3], 3, v[24:25]
	v_add_co_u32 v0, s7, v6, v0
	s_wait_alu 0xf1ff
	v_add_co_ci_u32_e64 v1, null, v7, v1, s7
	s_delay_alu instid0(VALU_DEP_2) | instskip(SKIP_1) | instid1(VALU_DEP_2)
	v_add_co_u32 v0, s7, v0, v2
	s_wait_alu 0xf1ff
	v_add_co_ci_u32_e64 v1, null, v1, v3, s7
	s_and_saveexec_b32 s7, vcc_lo
	s_cbranch_execnz .LBB605_292
; %bb.243:
	s_wait_alu 0xfffe
	s_or_b32 exec_lo, exec_lo, s7
	s_and_saveexec_b32 s7, s0
	s_cbranch_execnz .LBB605_293
.LBB605_244:
	s_wait_alu 0xfffe
	s_or_b32 exec_lo, exec_lo, s7
	s_and_saveexec_b32 s0, s1
	s_cbranch_execnz .LBB605_294
.LBB605_245:
	s_wait_alu 0xfffe
	s_or_b32 exec_lo, exec_lo, s0
	s_and_saveexec_b32 s0, s2
	s_cbranch_execnz .LBB605_295
.LBB605_246:
	s_wait_alu 0xfffe
	s_or_b32 exec_lo, exec_lo, s0
	s_and_saveexec_b32 s0, s3
	s_cbranch_execnz .LBB605_296
.LBB605_247:
	s_wait_alu 0xfffe
	s_or_b32 exec_lo, exec_lo, s0
	s_and_saveexec_b32 s0, s4
	s_cbranch_execnz .LBB605_297
.LBB605_248:
	s_wait_alu 0xfffe
	s_or_b32 exec_lo, exec_lo, s0
	s_and_saveexec_b32 s0, s5
	s_cbranch_execnz .LBB605_298
.LBB605_249:
	s_wait_alu 0xfffe
	s_or_b32 exec_lo, exec_lo, s0
	s_and_saveexec_b32 s0, s6
	s_cbranch_execz .LBB605_251
.LBB605_250:
	flat_store_b64 v[0:1], v[10:11] offset:14336
.LBB605_251:
	s_wait_alu 0xfffe
	s_or_b32 exec_lo, exec_lo, s0
                                        ; implicit-def: $vgpr135
                                        ; implicit-def: $vgpr0
                                        ; implicit-def: $vgpr1
                                        ; implicit-def: $vgpr2
                                        ; implicit-def: $vgpr3
                                        ; implicit-def: $vgpr4
                                        ; implicit-def: $vgpr5
                                        ; implicit-def: $vgpr6
                                        ; implicit-def: $vgpr7
                                        ; implicit-def: $vgpr8
                                        ; implicit-def: $vgpr10
                                        ; implicit-def: $vgpr11
                                        ; implicit-def: $vgpr12
                                        ; implicit-def: $vgpr9
                                        ; implicit-def: $vgpr13
                                        ; implicit-def: $vgpr21
                                        ; implicit-def: $vgpr96
.LBB605_252:
	s_wait_alu 0xfffe
	s_and_not1_saveexec_b32 s0, s16
	s_cbranch_execz .LBB605_372
; %bb.253:
	s_mov_b32 s0, exec_lo
	v_cmpx_lt_u32_e32 0x200, v135
	s_wait_alu 0xfffe
	s_xor_b32 s16, exec_lo, s0
	s_cbranch_execz .LBB605_313
; %bb.254:
	s_load_b64 s[0:1], s[8:9], 0x0
	s_and_b32 s2, ttmp7, 0xffff
	s_mov_b32 s3, 0
	v_lshlrev_b32_e32 v16, 2, v96
	s_wait_kmcnt 0x0
	s_wait_alu 0xfffe
	s_cmp_lt_u32 s2, s1
	s_cselect_b32 s2, 14, 20
	s_cmp_lt_u32 ttmp9, s0
	s_wait_alu 0xfffe
	s_add_nc_u64 s[4:5], s[8:9], s[2:3]
	s_cselect_b32 s2, 12, 18
	s_load_u16 s4, s[4:5], 0x0
	s_add_nc_u64 s[0:1], s[8:9], s[2:3]
	s_load_u16 s0, s[0:1], 0x0
	s_wait_kmcnt 0x0
	v_mad_u32_u24 v9, v13, s4, v9
	v_bfrev_b32_e32 v13, -2
	s_delay_alu instid0(VALU_DEP_2) | instskip(NEXT) | instid1(VALU_DEP_2)
	v_mad_co_u64_u32 v[17:18], null, v9, s0, v[21:22]
	v_dual_mov_b32 v9, 0 :: v_dual_mov_b32 v14, v13
	v_mov_b32_e32 v15, v13
	s_delay_alu instid0(VALU_DEP_2) | instskip(NEXT) | instid1(VALU_DEP_4)
	v_lshlrev_b64_e32 v[19:20], 2, v[8:9]
	v_dual_mov_b32 v23, v9 :: v_dual_lshlrev_b32 v18, 2, v17
	s_delay_alu instid0(VALU_DEP_2) | instskip(NEXT) | instid1(VALU_DEP_2)
	v_add_co_u32 v24, vcc_lo, v0, v19
	v_and_b32_e32 v22, 0xffffff80, v18
	s_wait_alu 0xfffd
	s_delay_alu instid0(VALU_DEP_4) | instskip(NEXT) | instid1(VALU_DEP_3)
	v_add_co_ci_u32_e64 v25, null, v1, v20, vcc_lo
	v_add_co_u32 v16, vcc_lo, v24, v16
	s_delay_alu instid0(VALU_DEP_3) | instskip(SKIP_3) | instid1(VALU_DEP_3)
	v_lshlrev_b64_e32 v[0:1], 2, v[22:23]
	v_or_b32_e32 v18, v22, v96
	s_wait_alu 0xfffd
	v_add_co_ci_u32_e64 v24, null, 0, v25, vcc_lo
	v_add_co_u32 v0, s0, v16, v0
	s_delay_alu instid0(VALU_DEP_3) | instskip(SKIP_1) | instid1(VALU_DEP_3)
	v_cmp_lt_u32_e32 vcc_lo, v18, v135
	s_wait_alu 0xf1ff
	v_add_co_ci_u32_e64 v1, null, v24, v1, s0
	v_mov_b32_e32 v16, v13
	s_and_saveexec_b32 s0, vcc_lo
	s_cbranch_execz .LBB605_256
; %bb.255:
	flat_load_b32 v24, v[0:1]
	v_dual_mov_b32 v25, v13 :: v_dual_mov_b32 v26, v13
	v_mov_b32_e32 v27, v13
	s_wait_loadcnt_dscnt 0x0
	s_delay_alu instid0(VALU_DEP_2) | instskip(NEXT) | instid1(VALU_DEP_2)
	v_dual_mov_b32 v13, v24 :: v_dual_mov_b32 v14, v25
	v_dual_mov_b32 v15, v26 :: v_dual_mov_b32 v16, v27
.LBB605_256:
	s_wait_alu 0xfffe
	s_or_b32 exec_lo, exec_lo, s0
	v_or_b32_e32 v24, 32, v18
	s_delay_alu instid0(VALU_DEP_1)
	v_cmp_lt_u32_e64 s0, v24, v135
	s_and_saveexec_b32 s1, s0
	s_cbranch_execz .LBB605_258
; %bb.257:
	flat_load_b32 v14, v[0:1] offset:128
.LBB605_258:
	s_wait_alu 0xfffe
	s_or_b32 exec_lo, exec_lo, s1
	v_or_b32_e32 v24, 64, v18
	s_delay_alu instid0(VALU_DEP_1)
	v_cmp_lt_u32_e64 s1, v24, v135
	s_and_saveexec_b32 s2, s1
	s_cbranch_execz .LBB605_260
; %bb.259:
	flat_load_b32 v15, v[0:1] offset:256
.LBB605_260:
	;; [unrolled: 10-line block ×3, first 2 shown]
	s_wait_alu 0xfffe
	s_or_b32 exec_lo, exec_lo, s3
	v_lshlrev_b64_e32 v[0:1], 3, v[8:9]
	v_lshlrev_b32_e32 v8, 3, v96
                                        ; implicit-def: $vgpr26_vgpr27
	s_delay_alu instid0(VALU_DEP_2) | instskip(SKIP_1) | instid1(VALU_DEP_3)
	v_add_co_u32 v9, s3, v4, v0
	s_wait_alu 0xf1ff
	v_add_co_ci_u32_e64 v18, null, v5, v1, s3
	v_lshlrev_b64_e32 v[4:5], 3, v[22:23]
	s_delay_alu instid0(VALU_DEP_3) | instskip(SKIP_1) | instid1(VALU_DEP_3)
	v_add_co_u32 v8, s3, v9, v8
	s_wait_alu 0xf1ff
	v_add_co_ci_u32_e64 v9, null, 0, v18, s3
	s_delay_alu instid0(VALU_DEP_2) | instskip(SKIP_1) | instid1(VALU_DEP_2)
	v_add_co_u32 v4, s3, v8, v4
	s_wait_alu 0xf1ff
	v_add_co_ci_u32_e64 v5, null, v9, v5, s3
	s_and_saveexec_b32 s3, vcc_lo
	s_cbranch_execnz .LBB605_337
; %bb.263:
	s_wait_alu 0xfffe
	s_or_b32 exec_lo, exec_lo, s3
                                        ; implicit-def: $vgpr28_vgpr29
	s_and_saveexec_b32 s3, s0
	s_cbranch_execnz .LBB605_338
.LBB605_264:
	s_wait_alu 0xfffe
	s_or_b32 exec_lo, exec_lo, s3
                                        ; implicit-def: $vgpr30_vgpr31
	s_and_saveexec_b32 s0, s1
	s_cbranch_execnz .LBB605_339
.LBB605_265:
	s_wait_alu 0xfffe
	s_or_b32 exec_lo, exec_lo, s0
                                        ; implicit-def: $vgpr24_vgpr25
	s_and_saveexec_b32 s0, s2
	s_cbranch_execz .LBB605_267
.LBB605_266:
	flat_load_b64 v[24:25], v[4:5] offset:768
.LBB605_267:
	s_wait_alu 0xfffe
	s_or_b32 exec_lo, exec_lo, s0
	v_lshl_add_u32 v4, v21, 5, v12
	v_and_b32_e32 v8, 0x3e0, v21
	v_and_b32_e32 v5, 15, v96
	s_getpc_b64 s[0:1]
	s_wait_alu 0xfffe
	s_sext_i32_i16 s1, s1
	s_add_co_u32 s0, s0, _ZN7rocprim17ROCPRIM_400000_NS16block_radix_sortIiLj256ELj4ElLj1ELj1ELj8ELNS0_26block_radix_rank_algorithmE2ELNS0_18block_padding_hintE2ELNS0_4arch9wavefront6targetE0EE19radix_bits_per_passE@rel32@lo+12
	s_wait_alu 0xfffe
	s_add_co_ci_u32 s1, s1, _ZN7rocprim17ROCPRIM_400000_NS16block_radix_sortIiLj256ELj4ElLj1ELj1ELj8ELNS0_26block_radix_rank_algorithmE2ELNS0_18block_padding_hintE2ELNS0_4arch9wavefront6targetE0EE19radix_bits_per_passE@rel32@hi+24
	v_xor_b32_e32 v87, 0x80000000, v13
	v_add_nc_u32_e32 v18, 32, v4
	v_add_nc_u32_e32 v38, 36, v4
	;; [unrolled: 1-line block ×8, first 2 shown]
	v_min_u32_e32 v4, 0xe0, v8
	v_and_b32_e32 v8, 16, v96
	s_load_b32 s17, s[0:1], 0x0
	v_cmp_eq_u32_e32 vcc_lo, 0, v5
	v_cmp_lt_u32_e64 s0, 1, v5
	v_or_b32_e32 v4, 31, v4
	v_cmp_eq_u32_e64 s4, 0, v8
	v_lshlrev_b32_e32 v8, 2, v21
	v_cmp_lt_u32_e64 s1, 3, v5
	v_cmp_lt_u32_e64 s2, 7, v5
	v_sub_co_u32 v5, s3, v96, 1
	s_delay_alu instid0(VALU_DEP_4) | instskip(SKIP_2) | instid1(VALU_DEP_4)
	v_and_or_b32 v9, 0xf80, v8, v96
	v_cmp_eq_u32_e64 s5, v21, v4
	v_lshrrev_b32_e32 v4, 3, v21
	v_cmp_gt_i32_e64 s6, 0, v5
	s_wait_loadcnt_dscnt 0x0
	v_xor_b32_e32 v33, 0x80000000, v14
	v_lshlrev_b32_e32 v9, 2, v9
	v_xor_b32_e32 v35, 0x80000000, v15
	v_and_b32_e32 v4, 0x7c, v4
	s_wait_alu 0xf1ff
	v_cndmask_b32_e64 v5, v5, v96, s6
	v_xor_b32_e32 v37, 0x80000000, v16
	v_add_nc_u32_e32 v65, v12, v9
	v_lshrrev_b32_e32 v53, 5, v17
	v_add_nc_u32_e32 v64, v12, v4
	v_and_b32_e32 v4, 7, v96
	v_cmp_gt_u32_e64 s6, 8, v21
	v_add_nc_u32_e32 v66, v65, v9
	v_cmp_lt_u32_e64 s7, 31, v21
	v_lshlrev_b32_e32 v55, 2, v5
	v_cmp_eq_u32_e64 s10, 0, v21
	v_mov_b32_e32 v5, 0
	v_add_co_u32 v54, null, v12, v8
	v_cmp_eq_u32_e64 s11, 0, v4
	v_cmp_lt_u32_e64 s12, 1, v4
	v_cmp_lt_u32_e64 s13, 3, v4
	v_add_nc_u32_e32 v67, -4, v64
	v_add_nc_u32_e32 v68, 0x80, v65
	v_add_nc_u32_e32 v69, 0x100, v65
	;; [unrolled: 1-line block ×6, first 2 shown]
	v_sub_nc_u32_e32 v82, v11, v10
	s_mov_b32 s19, 0
	s_wait_storecnt 0x0
	s_barrier_signal -1
	s_barrier_wait -1
	global_inv scope:SCOPE_SE
	s_branch .LBB605_269
.LBB605_268:                            ;   in Loop: Header=BB605_269 Depth=1
	s_wait_alu 0xfffe
	s_or_b32 exec_lo, exec_lo, s15
	s_delay_alu instid0(SALU_CYCLE_1)
	s_and_b32 s14, exec_lo, s20
	s_wait_alu 0xfffe
	s_or_b32 s19, s14, s19
	s_wait_alu 0xfffe
	s_and_not1_b32 exec_lo, exec_lo, s19
	s_cbranch_execz .LBB605_299
.LBB605_269:                            ; =>This Inner Loop Header: Depth=1
	s_wait_kmcnt 0x0
	v_min_u32_e32 v4, s17, v82
	v_dual_mov_b32 v83, v87 :: v_dual_mov_b32 v84, v37
	v_dual_mov_b32 v86, v33 :: v_dual_mov_b32 v15, v26
	s_delay_alu instid0(VALU_DEP_3) | instskip(NEXT) | instid1(VALU_DEP_3)
	v_lshlrev_b32_e64 v4, v4, -1
	v_lshrrev_b32_e32 v8, v10, v83
	v_dual_mov_b32 v16, v27 :: v_dual_mov_b32 v13, v28
	v_mov_b32_e32 v14, v29
	s_delay_alu instid0(VALU_DEP_4)
	v_not_b32_e32 v32, v4
	v_mov_b32_e32 v85, v35
	ds_store_b32 v18, v5
	ds_store_b32 v38, v5
	;; [unrolled: 1-line block ×6, first 2 shown]
	v_and_b32_e32 v4, v8, v32
	v_dual_mov_b32 v8, v30 :: v_dual_mov_b32 v9, v31
	ds_store_b32 v51, v5
	ds_store_b32 v52, v5
	v_and_b32_e32 v22, 1, v4
	v_lshlrev_b32_e32 v23, 30, v4
	v_lshlrev_b32_e32 v26, 29, v4
	;; [unrolled: 1-line block ×4, first 2 shown]
	v_add_co_u32 v22, s14, v22, -1
	s_wait_alu 0xf1ff
	v_cndmask_b32_e64 v28, 0, 1, s14
	v_not_b32_e32 v33, v23
	v_cmp_gt_i32_e64 s15, 0, v23
	v_not_b32_e32 v23, v26
	v_lshlrev_b32_e32 v30, 26, v4
	v_cmp_ne_u32_e64 s14, 0, v28
	v_ashrrev_i32_e32 v33, 31, v33
	v_lshlrev_b32_e32 v31, 25, v4
	v_ashrrev_i32_e32 v23, 31, v23
	v_lshlrev_b32_e32 v28, 24, v4
	s_wait_alu 0xf1ff
	v_xor_b32_e32 v22, s14, v22
	v_cmp_gt_i32_e64 s14, 0, v26
	v_not_b32_e32 v26, v27
	v_xor_b32_e32 v33, s15, v33
	v_cmp_gt_i32_e64 s15, 0, v27
	v_and_b32_e32 v22, exec_lo, v22
	v_not_b32_e32 v27, v29
	v_ashrrev_i32_e32 v26, 31, v26
	s_wait_alu 0xf1ff
	v_xor_b32_e32 v23, s14, v23
	v_cmp_gt_i32_e64 s14, 0, v29
	v_and_b32_e32 v22, v22, v33
	v_not_b32_e32 v29, v30
	v_ashrrev_i32_e32 v27, 31, v27
	v_xor_b32_e32 v26, s15, v26
	v_cmp_gt_i32_e64 s15, 0, v30
	v_and_b32_e32 v22, v22, v23
	v_not_b32_e32 v23, v31
	v_ashrrev_i32_e32 v29, 31, v29
	s_wait_alu 0xf1ff
	v_xor_b32_e32 v27, s14, v27
	v_cmp_gt_i32_e64 s14, 0, v31
	v_and_b32_e32 v22, v22, v26
	v_not_b32_e32 v26, v28
	v_ashrrev_i32_e32 v30, 31, v23
	v_xor_b32_e32 v29, s15, v29
	v_cmp_gt_i32_e64 s15, 0, v28
	v_dual_mov_b32 v22, v24 :: v_dual_and_b32 v27, v22, v27
	v_mov_b32_e32 v23, v25
	v_ashrrev_i32_e32 v24, 31, v26
	s_wait_alu 0xf1ff
	v_xor_b32_e32 v25, s14, v30
	v_and_b32_e32 v26, v27, v29
	v_lshl_add_u32 v4, v4, 3, v53
	s_wait_loadcnt_dscnt 0x0
	v_xor_b32_e32 v24, s15, v24
	s_barrier_signal -1
	v_and_b32_e32 v25, v26, v25
	v_lshlrev_b64_e32 v[26:27], 2, v[4:5]
	s_barrier_wait -1
	global_inv scope:SCOPE_SE
	v_and_b32_e32 v25, v25, v24
	; wave barrier
	v_add_co_u32 v24, null, v12, v26
	s_delay_alu instid0(VALU_DEP_2) | instskip(SKIP_1) | instid1(VALU_DEP_3)
	v_mbcnt_lo_u32_b32 v4, v25, 0
	v_cmp_ne_u32_e64 s15, 0, v25
	v_add_co_u32 v24, null, v24, 32
	s_delay_alu instid0(VALU_DEP_3)
	v_cmp_eq_u32_e64 s14, 0, v4
	s_and_b32 s15, s15, s14
	s_wait_alu 0xfffe
	s_and_saveexec_b32 s14, s15
; %bb.270:                              ;   in Loop: Header=BB605_269 Depth=1
	v_bcnt_u32_b32 v25, v25, 0
	ds_store_b32 v24, v25
; %bb.271:                              ;   in Loop: Header=BB605_269 Depth=1
	s_wait_alu 0xfffe
	s_or_b32 exec_lo, exec_lo, s14
	v_lshrrev_b32_e32 v25, v10, v86
	; wave barrier
	s_delay_alu instid0(VALU_DEP_1) | instskip(NEXT) | instid1(VALU_DEP_1)
	v_and_b32_e32 v25, v25, v32
	v_and_b32_e32 v26, 1, v25
	v_lshlrev_b32_e32 v27, 30, v25
	v_lshlrev_b32_e32 v28, 29, v25
	;; [unrolled: 1-line block ×4, first 2 shown]
	v_add_co_u32 v26, s14, v26, -1
	s_wait_alu 0xf1ff
	v_cndmask_b32_e64 v30, 0, 1, s14
	v_not_b32_e32 v35, v27
	v_cmp_gt_i32_e64 s15, 0, v27
	v_not_b32_e32 v27, v28
	v_lshlrev_b32_e32 v33, 26, v25
	v_cmp_ne_u32_e64 s14, 0, v30
	v_ashrrev_i32_e32 v35, 31, v35
	v_lshlrev_b32_e32 v34, 25, v25
	v_ashrrev_i32_e32 v27, 31, v27
	v_lshlrev_b32_e32 v30, 24, v25
	s_wait_alu 0xf1ff
	v_xor_b32_e32 v26, s14, v26
	v_cmp_gt_i32_e64 s14, 0, v28
	v_not_b32_e32 v28, v29
	v_xor_b32_e32 v35, s15, v35
	v_cmp_gt_i32_e64 s15, 0, v29
	v_and_b32_e32 v26, exec_lo, v26
	v_not_b32_e32 v29, v31
	v_ashrrev_i32_e32 v28, 31, v28
	s_wait_alu 0xf1ff
	v_xor_b32_e32 v27, s14, v27
	v_cmp_gt_i32_e64 s14, 0, v31
	v_and_b32_e32 v26, v26, v35
	v_not_b32_e32 v31, v33
	v_ashrrev_i32_e32 v29, 31, v29
	v_xor_b32_e32 v28, s15, v28
	v_cmp_gt_i32_e64 s15, 0, v33
	v_and_b32_e32 v26, v26, v27
	v_not_b32_e32 v27, v34
	v_ashrrev_i32_e32 v31, 31, v31
	s_wait_alu 0xf1ff
	v_xor_b32_e32 v29, s14, v29
	v_cmp_gt_i32_e64 s14, 0, v34
	v_and_b32_e32 v26, v26, v28
	v_not_b32_e32 v28, v30
	v_ashrrev_i32_e32 v27, 31, v27
	v_xor_b32_e32 v31, s15, v31
	v_lshl_add_u32 v25, v25, 3, v53
	v_and_b32_e32 v26, v26, v29
	v_cmp_gt_i32_e64 s15, 0, v30
	v_ashrrev_i32_e32 v28, 31, v28
	s_wait_alu 0xf1ff
	v_xor_b32_e32 v27, s14, v27
	v_lshl_add_u32 v29, v25, 2, v12
	v_and_b32_e32 v26, v26, v31
	v_xor_b32_e32 v28, s15, v28
	ds_load_b32 v25, v29 offset:32
	v_and_b32_e32 v26, v26, v27
	v_add_nc_u32_e32 v27, 32, v29
	; wave barrier
	s_delay_alu instid0(VALU_DEP_2) | instskip(NEXT) | instid1(VALU_DEP_1)
	v_and_b32_e32 v28, v26, v28
	v_mbcnt_lo_u32_b32 v26, v28, 0
	v_cmp_ne_u32_e64 s15, 0, v28
	s_delay_alu instid0(VALU_DEP_2)
	v_cmp_eq_u32_e64 s14, 0, v26
	s_and_b32 s15, s15, s14
	s_wait_alu 0xfffe
	s_and_saveexec_b32 s14, s15
	s_cbranch_execz .LBB605_273
; %bb.272:                              ;   in Loop: Header=BB605_269 Depth=1
	s_wait_dscnt 0x0
	v_bcnt_u32_b32 v28, v28, v25
	ds_store_b32 v27, v28
.LBB605_273:                            ;   in Loop: Header=BB605_269 Depth=1
	s_wait_alu 0xfffe
	s_or_b32 exec_lo, exec_lo, s14
	v_lshrrev_b32_e32 v28, v10, v85
	; wave barrier
	s_delay_alu instid0(VALU_DEP_1) | instskip(NEXT) | instid1(VALU_DEP_1)
	v_and_b32_e32 v28, v28, v32
	v_and_b32_e32 v29, 1, v28
	v_lshlrev_b32_e32 v30, 30, v28
	v_lshlrev_b32_e32 v31, 29, v28
	v_lshlrev_b32_e32 v33, 28, v28
	v_lshlrev_b32_e32 v35, 27, v28
	v_add_co_u32 v29, s14, v29, -1
	s_wait_alu 0xf1ff
	v_cndmask_b32_e64 v34, 0, 1, s14
	v_not_b32_e32 v87, v30
	v_cmp_gt_i32_e64 s15, 0, v30
	v_not_b32_e32 v30, v31
	v_lshlrev_b32_e32 v36, 26, v28
	v_cmp_ne_u32_e64 s14, 0, v34
	v_ashrrev_i32_e32 v87, 31, v87
	v_lshlrev_b32_e32 v37, 25, v28
	v_ashrrev_i32_e32 v30, 31, v30
	v_lshlrev_b32_e32 v34, 24, v28
	s_wait_alu 0xf1ff
	v_xor_b32_e32 v29, s14, v29
	v_cmp_gt_i32_e64 s14, 0, v31
	v_not_b32_e32 v31, v33
	v_xor_b32_e32 v87, s15, v87
	v_cmp_gt_i32_e64 s15, 0, v33
	v_and_b32_e32 v29, exec_lo, v29
	v_not_b32_e32 v33, v35
	v_ashrrev_i32_e32 v31, 31, v31
	s_wait_alu 0xf1ff
	v_xor_b32_e32 v30, s14, v30
	v_cmp_gt_i32_e64 s14, 0, v35
	v_and_b32_e32 v29, v29, v87
	v_not_b32_e32 v35, v36
	v_ashrrev_i32_e32 v33, 31, v33
	v_xor_b32_e32 v31, s15, v31
	v_cmp_gt_i32_e64 s15, 0, v36
	v_and_b32_e32 v29, v29, v30
	v_not_b32_e32 v30, v37
	v_ashrrev_i32_e32 v35, 31, v35
	s_wait_alu 0xf1ff
	v_xor_b32_e32 v33, s14, v33
	v_cmp_gt_i32_e64 s14, 0, v37
	v_and_b32_e32 v29, v29, v31
	v_not_b32_e32 v31, v34
	v_ashrrev_i32_e32 v30, 31, v30
	v_xor_b32_e32 v35, s15, v35
	v_lshl_add_u32 v28, v28, 3, v53
	v_and_b32_e32 v29, v29, v33
	v_cmp_gt_i32_e64 s15, 0, v34
	v_ashrrev_i32_e32 v31, 31, v31
	s_wait_alu 0xf1ff
	v_xor_b32_e32 v30, s14, v30
	v_lshl_add_u32 v33, v28, 2, v12
	v_and_b32_e32 v29, v29, v35
	v_xor_b32_e32 v31, s15, v31
	ds_load_b32 v28, v33 offset:32
	v_and_b32_e32 v29, v29, v30
	v_add_nc_u32_e32 v30, 32, v33
	; wave barrier
	s_delay_alu instid0(VALU_DEP_2) | instskip(NEXT) | instid1(VALU_DEP_1)
	v_and_b32_e32 v31, v29, v31
	v_mbcnt_lo_u32_b32 v29, v31, 0
	v_cmp_ne_u32_e64 s15, 0, v31
	s_delay_alu instid0(VALU_DEP_2)
	v_cmp_eq_u32_e64 s14, 0, v29
	s_and_b32 s15, s15, s14
	s_wait_alu 0xfffe
	s_and_saveexec_b32 s14, s15
	s_cbranch_execz .LBB605_275
; %bb.274:                              ;   in Loop: Header=BB605_269 Depth=1
	s_wait_dscnt 0x0
	v_bcnt_u32_b32 v31, v31, v28
	ds_store_b32 v30, v31
.LBB605_275:                            ;   in Loop: Header=BB605_269 Depth=1
	s_wait_alu 0xfffe
	s_or_b32 exec_lo, exec_lo, s14
	v_lshrrev_b32_e32 v31, v10, v84
	; wave barrier
	s_delay_alu instid0(VALU_DEP_1) | instskip(NEXT) | instid1(VALU_DEP_1)
	v_and_b32_e32 v31, v31, v32
	v_and_b32_e32 v32, 1, v31
	v_lshlrev_b32_e32 v33, 30, v31
	v_lshlrev_b32_e32 v34, 29, v31
	v_lshlrev_b32_e32 v35, 28, v31
	v_lshlrev_b32_e32 v37, 27, v31
	v_add_co_u32 v32, s14, v32, -1
	s_wait_alu 0xf1ff
	v_cndmask_b32_e64 v36, 0, 1, s14
	v_not_b32_e32 v97, v33
	v_cmp_gt_i32_e64 s15, 0, v33
	v_not_b32_e32 v33, v34
	v_lshlrev_b32_e32 v87, 26, v31
	v_cmp_ne_u32_e64 s14, 0, v36
	v_ashrrev_i32_e32 v97, 31, v97
	v_lshlrev_b32_e32 v96, 25, v31
	v_ashrrev_i32_e32 v33, 31, v33
	v_lshlrev_b32_e32 v36, 24, v31
	s_wait_alu 0xf1ff
	v_xor_b32_e32 v32, s14, v32
	v_cmp_gt_i32_e64 s14, 0, v34
	v_not_b32_e32 v34, v35
	v_xor_b32_e32 v97, s15, v97
	v_cmp_gt_i32_e64 s15, 0, v35
	v_and_b32_e32 v32, exec_lo, v32
	v_not_b32_e32 v35, v37
	v_ashrrev_i32_e32 v34, 31, v34
	s_wait_alu 0xf1ff
	v_xor_b32_e32 v33, s14, v33
	v_cmp_gt_i32_e64 s14, 0, v37
	v_and_b32_e32 v32, v32, v97
	v_not_b32_e32 v37, v87
	v_ashrrev_i32_e32 v35, 31, v35
	v_xor_b32_e32 v34, s15, v34
	v_cmp_gt_i32_e64 s15, 0, v87
	v_and_b32_e32 v32, v32, v33
	v_not_b32_e32 v33, v96
	v_ashrrev_i32_e32 v37, 31, v37
	s_wait_alu 0xf1ff
	v_xor_b32_e32 v35, s14, v35
	v_cmp_gt_i32_e64 s14, 0, v96
	v_and_b32_e32 v32, v32, v34
	v_not_b32_e32 v34, v36
	v_ashrrev_i32_e32 v33, 31, v33
	v_xor_b32_e32 v37, s15, v37
	v_lshl_add_u32 v31, v31, 3, v53
	v_and_b32_e32 v32, v32, v35
	v_cmp_gt_i32_e64 s15, 0, v36
	v_ashrrev_i32_e32 v34, 31, v34
	s_wait_alu 0xf1ff
	v_xor_b32_e32 v33, s14, v33
	v_lshl_add_u32 v35, v31, 2, v12
	v_and_b32_e32 v32, v32, v37
	v_xor_b32_e32 v34, s15, v34
	ds_load_b32 v31, v35 offset:32
	v_and_b32_e32 v32, v32, v33
	; wave barrier
	s_delay_alu instid0(VALU_DEP_1) | instskip(SKIP_1) | instid1(VALU_DEP_2)
	v_and_b32_e32 v33, v32, v34
	v_add_nc_u32_e32 v32, 32, v35
	v_mbcnt_lo_u32_b32 v36, v33, 0
	v_cmp_ne_u32_e64 s15, 0, v33
	s_delay_alu instid0(VALU_DEP_2)
	v_cmp_eq_u32_e64 s14, 0, v36
	s_and_b32 s15, s15, s14
	s_wait_alu 0xfffe
	s_and_saveexec_b32 s14, s15
	s_cbranch_execz .LBB605_277
; %bb.276:                              ;   in Loop: Header=BB605_269 Depth=1
	s_wait_dscnt 0x0
	v_bcnt_u32_b32 v33, v33, v31
	ds_store_b32 v32, v33
.LBB605_277:                            ;   in Loop: Header=BB605_269 Depth=1
	s_wait_alu 0xfffe
	s_or_b32 exec_lo, exec_lo, s14
	; wave barrier
	s_wait_loadcnt_dscnt 0x0
	s_barrier_signal -1
	s_barrier_wait -1
	global_inv scope:SCOPE_SE
	ds_load_b32 v34, v18
	ds_load_b32 v35, v38
	ds_load_b32 v37, v39
	ds_load_b32 v87, v48
	ds_load_b32 v96, v49
	ds_load_b32 v97, v50
	ds_load_b32 v33, v51
	ds_load_b32 v98, v52
	s_wait_dscnt 0x6
	v_add_nc_u32_e32 v99, v35, v34
	s_wait_dscnt 0x4
	s_delay_alu instid0(VALU_DEP_1) | instskip(SKIP_1) | instid1(VALU_DEP_1)
	v_add3_u32 v99, v99, v37, v87
	s_wait_dscnt 0x2
	v_add3_u32 v99, v99, v96, v97
	s_wait_dscnt 0x0
	s_delay_alu instid0(VALU_DEP_1) | instskip(NEXT) | instid1(VALU_DEP_1)
	v_add3_u32 v98, v99, v33, v98
	v_mov_b32_dpp v99, v98 row_shr:1 row_mask:0xf bank_mask:0xf
	s_wait_alu 0xfffd
	s_delay_alu instid0(VALU_DEP_1) | instskip(NEXT) | instid1(VALU_DEP_1)
	v_cndmask_b32_e64 v99, v99, 0, vcc_lo
	v_add_nc_u32_e32 v98, v99, v98
	s_delay_alu instid0(VALU_DEP_1) | instskip(NEXT) | instid1(VALU_DEP_1)
	v_mov_b32_dpp v99, v98 row_shr:2 row_mask:0xf bank_mask:0xf
	v_cndmask_b32_e64 v99, 0, v99, s0
	s_delay_alu instid0(VALU_DEP_1) | instskip(NEXT) | instid1(VALU_DEP_1)
	v_add_nc_u32_e32 v98, v98, v99
	v_mov_b32_dpp v99, v98 row_shr:4 row_mask:0xf bank_mask:0xf
	s_delay_alu instid0(VALU_DEP_1) | instskip(NEXT) | instid1(VALU_DEP_1)
	v_cndmask_b32_e64 v99, 0, v99, s1
	v_add_nc_u32_e32 v98, v98, v99
	s_delay_alu instid0(VALU_DEP_1) | instskip(NEXT) | instid1(VALU_DEP_1)
	v_mov_b32_dpp v99, v98 row_shr:8 row_mask:0xf bank_mask:0xf
	v_cndmask_b32_e64 v99, 0, v99, s2
	s_delay_alu instid0(VALU_DEP_1) | instskip(SKIP_3) | instid1(VALU_DEP_1)
	v_add_nc_u32_e32 v98, v98, v99
	ds_swizzle_b32 v99, v98 offset:swizzle(BROADCAST,32,15)
	s_wait_dscnt 0x0
	v_cndmask_b32_e64 v99, v99, 0, s4
	v_add_nc_u32_e32 v98, v98, v99
	s_and_saveexec_b32 s14, s5
; %bb.278:                              ;   in Loop: Header=BB605_269 Depth=1
	ds_store_b32 v64, v98
; %bb.279:                              ;   in Loop: Header=BB605_269 Depth=1
	s_wait_alu 0xfffe
	s_or_b32 exec_lo, exec_lo, s14
	s_wait_loadcnt_dscnt 0x0
	s_barrier_signal -1
	s_barrier_wait -1
	global_inv scope:SCOPE_SE
	s_and_saveexec_b32 s14, s6
	s_cbranch_execz .LBB605_281
; %bb.280:                              ;   in Loop: Header=BB605_269 Depth=1
	ds_load_b32 v99, v54
	s_wait_dscnt 0x0
	v_mov_b32_dpp v100, v99 row_shr:1 row_mask:0xf bank_mask:0xf
	s_delay_alu instid0(VALU_DEP_1) | instskip(NEXT) | instid1(VALU_DEP_1)
	v_cndmask_b32_e64 v100, v100, 0, s11
	v_add_nc_u32_e32 v99, v100, v99
	s_delay_alu instid0(VALU_DEP_1) | instskip(NEXT) | instid1(VALU_DEP_1)
	v_mov_b32_dpp v100, v99 row_shr:2 row_mask:0xf bank_mask:0xf
	v_cndmask_b32_e64 v100, 0, v100, s12
	s_delay_alu instid0(VALU_DEP_1) | instskip(NEXT) | instid1(VALU_DEP_1)
	v_add_nc_u32_e32 v99, v99, v100
	v_mov_b32_dpp v100, v99 row_shr:4 row_mask:0xf bank_mask:0xf
	s_delay_alu instid0(VALU_DEP_1) | instskip(NEXT) | instid1(VALU_DEP_1)
	v_cndmask_b32_e64 v100, 0, v100, s13
	v_add_nc_u32_e32 v99, v99, v100
	ds_store_b32 v54, v99
.LBB605_281:                            ;   in Loop: Header=BB605_269 Depth=1
	s_wait_alu 0xfffe
	s_or_b32 exec_lo, exec_lo, s14
	v_mov_b32_e32 v99, 0
	s_wait_loadcnt_dscnt 0x0
	s_barrier_signal -1
	s_barrier_wait -1
	global_inv scope:SCOPE_SE
	s_and_saveexec_b32 s14, s7
; %bb.282:                              ;   in Loop: Header=BB605_269 Depth=1
	ds_load_b32 v99, v67
; %bb.283:                              ;   in Loop: Header=BB605_269 Depth=1
	s_wait_alu 0xfffe
	s_or_b32 exec_lo, exec_lo, s14
	s_wait_dscnt 0x0
	v_add_nc_u32_e32 v98, v99, v98
	v_add_nc_u32_e32 v10, 8, v10
	s_mov_b32 s20, -1
	s_mov_b32 s15, exec_lo
	ds_bpermute_b32 v98, v55, v98
	s_wait_dscnt 0x0
	v_cndmask_b32_e64 v98, v98, v99, s3
	s_delay_alu instid0(VALU_DEP_1) | instskip(NEXT) | instid1(VALU_DEP_1)
	v_cndmask_b32_e64 v98, v98, 0, s10
	v_add_nc_u32_e32 v34, v98, v34
	s_delay_alu instid0(VALU_DEP_1)
	v_add_nc_u32_e32 v35, v34, v35
	ds_store_b32 v18, v98
	ds_store_b32 v38, v34
	;; [unrolled: 1-line block ×3, first 2 shown]
	v_add_nc_u32_e32 v37, v35, v37
	v_mov_b32_e32 v35, v5
	s_delay_alu instid0(VALU_DEP_2) | instskip(NEXT) | instid1(VALU_DEP_1)
	v_add_nc_u32_e32 v87, v37, v87
	v_add_nc_u32_e32 v96, v87, v96
	s_delay_alu instid0(VALU_DEP_1) | instskip(NEXT) | instid1(VALU_DEP_1)
	v_add_nc_u32_e32 v97, v96, v97
	v_add_nc_u32_e32 v33, v97, v33
	ds_store_b32 v48, v37
	ds_store_b32 v49, v87
	;; [unrolled: 1-line block ×5, first 2 shown]
	s_wait_loadcnt_dscnt 0x0
	s_barrier_signal -1
	s_barrier_wait -1
	global_inv scope:SCOPE_SE
	ds_load_b32 v24, v24
	ds_load_b32 v27, v27
	;; [unrolled: 1-line block ×4, first 2 shown]
	v_mov_b32_e32 v33, v5
	v_mov_b32_e32 v37, v5
	s_wait_loadcnt_dscnt 0x0
	v_add_nc_u32_e32 v4, v24, v4
	v_add3_u32 v32, v26, v25, v27
	v_add3_u32 v34, v29, v28, v30
	;; [unrolled: 1-line block ×3, first 2 shown]
                                        ; implicit-def: $vgpr87
                                        ; implicit-def: $vgpr30_vgpr31
	s_delay_alu instid0(VALU_DEP_4) | instskip(NEXT) | instid1(VALU_DEP_4)
	v_lshlrev_b64_e32 v[24:25], 2, v[4:5]
	v_lshlrev_b64_e32 v[25:26], 2, v[32:33]
	s_delay_alu instid0(VALU_DEP_4) | instskip(NEXT) | instid1(VALU_DEP_4)
	v_lshlrev_b64_e32 v[26:27], 2, v[34:35]
	v_lshlrev_b64_e32 v[27:28], 2, v[36:37]
                                        ; implicit-def: $vgpr37
                                        ; implicit-def: $vgpr35
                                        ; implicit-def: $vgpr33
                                        ; implicit-def: $vgpr28_vgpr29
	s_delay_alu instid0(VALU_DEP_4) | instskip(NEXT) | instid1(VALU_DEP_4)
	v_add_co_u32 v99, null, v12, v24
	v_add_co_u32 v98, null, v12, v25
	s_delay_alu instid0(VALU_DEP_4) | instskip(NEXT) | instid1(VALU_DEP_4)
	v_add_co_u32 v97, null, v12, v26
	v_add_co_u32 v96, null, v12, v27
                                        ; implicit-def: $vgpr26_vgpr27
                                        ; implicit-def: $vgpr24_vgpr25
	v_cmpx_lt_u32_e64 v10, v11
	s_cbranch_execz .LBB605_268
; %bb.284:                              ;   in Loop: Header=BB605_269 Depth=1
	v_lshl_add_u32 v24, v4, 2, v99
	v_lshl_add_u32 v25, v32, 2, v98
	v_lshl_add_u32 v26, v34, 2, v97
	v_lshl_add_u32 v27, v36, 2, v96
	s_barrier_signal -1
	s_barrier_wait -1
	global_inv scope:SCOPE_SE
	ds_store_b32 v99, v83
	ds_store_b32 v98, v86
	;; [unrolled: 1-line block ×4, first 2 shown]
	s_wait_loadcnt_dscnt 0x0
	s_barrier_signal -1
	s_barrier_wait -1
	global_inv scope:SCOPE_SE
	ds_load_b32 v87, v65
	ds_load_b32 v33, v68
	;; [unrolled: 1-line block ×4, first 2 shown]
	s_wait_loadcnt_dscnt 0x0
	s_barrier_signal -1
	s_barrier_wait -1
	global_inv scope:SCOPE_SE
	ds_store_b64 v24, v[15:16]
	ds_store_b64 v25, v[13:14]
	;; [unrolled: 1-line block ×4, first 2 shown]
	s_wait_loadcnt_dscnt 0x0
	s_barrier_signal -1
	s_barrier_wait -1
	global_inv scope:SCOPE_SE
	ds_load_b64 v[26:27], v66
	ds_load_b64 v[28:29], v71
	;; [unrolled: 1-line block ×4, first 2 shown]
	v_add_nc_u32_e32 v82, -8, v82
	s_xor_b32 s20, exec_lo, -1
	s_wait_loadcnt_dscnt 0x0
	s_barrier_signal -1
	s_barrier_wait -1
	global_inv scope:SCOPE_SE
	s_branch .LBB605_268
.LBB605_285:
	flat_load_b64 v[32:33], v[4:5]
	s_wait_alu 0xfffe
	s_or_b32 exec_lo, exec_lo, s7
                                        ; implicit-def: $vgpr36_vgpr37
	s_and_saveexec_b32 s7, s0
	s_cbranch_execz .LBB605_163
.LBB605_286:
	flat_load_b64 v[36:37], v[4:5] offset:256
	s_wait_alu 0xfffe
	s_or_b32 exec_lo, exec_lo, s7
                                        ; implicit-def: $vgpr38_vgpr39
	s_and_saveexec_b32 s0, s1
	s_cbranch_execz .LBB605_164
.LBB605_287:
	flat_load_b64 v[38:39], v[4:5] offset:512
	s_wait_alu 0xfffe
	s_or_b32 exec_lo, exec_lo, s0
                                        ; implicit-def: $vgpr48_vgpr49
	s_and_saveexec_b32 s0, s2
	s_cbranch_execz .LBB605_165
.LBB605_288:
	flat_load_b64 v[48:49], v[4:5] offset:768
	s_wait_alu 0xfffe
	s_or_b32 exec_lo, exec_lo, s0
                                        ; implicit-def: $vgpr50_vgpr51
	s_and_saveexec_b32 s0, s3
	s_cbranch_execz .LBB605_166
.LBB605_289:
	flat_load_b64 v[50:51], v[4:5] offset:1024
	s_wait_alu 0xfffe
	s_or_b32 exec_lo, exec_lo, s0
                                        ; implicit-def: $vgpr52_vgpr53
	s_and_saveexec_b32 s0, s4
	s_cbranch_execz .LBB605_167
.LBB605_290:
	flat_load_b64 v[52:53], v[4:5] offset:1280
	s_wait_alu 0xfffe
	s_or_b32 exec_lo, exec_lo, s0
                                        ; implicit-def: $vgpr54_vgpr55
	s_and_saveexec_b32 s0, s5
	s_cbranch_execz .LBB605_168
.LBB605_291:
	flat_load_b64 v[54:55], v[4:5] offset:1536
	s_wait_alu 0xfffe
	s_or_b32 exec_lo, exec_lo, s0
                                        ; implicit-def: $vgpr34_vgpr35
	s_and_saveexec_b32 s0, s6
	s_cbranch_execnz .LBB605_169
	s_branch .LBB605_170
.LBB605_292:
	flat_store_b64 v[0:1], v[20:21]
	s_wait_alu 0xfffe
	s_or_b32 exec_lo, exec_lo, s7
	s_and_saveexec_b32 s7, s0
	s_cbranch_execz .LBB605_244
.LBB605_293:
	flat_store_b64 v[0:1], v[22:23] offset:2048
	s_wait_alu 0xfffe
	s_or_b32 exec_lo, exec_lo, s7
	s_and_saveexec_b32 s0, s1
	s_cbranch_execz .LBB605_245
.LBB605_294:
	flat_store_b64 v[0:1], v[16:17] offset:4096
	s_wait_alu 0xfffe
	s_or_b32 exec_lo, exec_lo, s0
	s_and_saveexec_b32 s0, s2
	s_cbranch_execz .LBB605_246
.LBB605_295:
	flat_store_b64 v[0:1], v[18:19] offset:6144
	s_wait_alu 0xfffe
	s_or_b32 exec_lo, exec_lo, s0
	s_and_saveexec_b32 s0, s3
	s_cbranch_execz .LBB605_247
.LBB605_296:
	flat_store_b64 v[0:1], v[12:13] offset:8192
	s_wait_alu 0xfffe
	s_or_b32 exec_lo, exec_lo, s0
	s_and_saveexec_b32 s0, s4
	s_cbranch_execz .LBB605_248
.LBB605_297:
	flat_store_b64 v[0:1], v[14:15] offset:10240
	s_wait_alu 0xfffe
	s_or_b32 exec_lo, exec_lo, s0
	s_and_saveexec_b32 s0, s5
	s_cbranch_execz .LBB605_249
.LBB605_298:
	flat_store_b64 v[0:1], v[8:9] offset:12288
	s_wait_alu 0xfffe
	s_or_b32 exec_lo, exec_lo, s0
	s_and_saveexec_b32 s0, s6
	s_cbranch_execnz .LBB605_250
	s_branch .LBB605_251
.LBB605_299:
	s_or_b32 exec_lo, exec_lo, s19
	v_lshl_add_u32 v4, v4, 2, v99
	v_lshl_add_u32 v5, v32, 2, v98
	;; [unrolled: 1-line block ×4, first 2 shown]
	s_barrier_signal -1
	s_barrier_wait -1
	s_wait_loadcnt 0x0
	global_inv scope:SCOPE_SE
	ds_store_b32 v99, v83
	ds_store_b32 v98, v86
	;; [unrolled: 1-line block ×4, first 2 shown]
	s_wait_loadcnt_dscnt 0x0
	s_barrier_signal -1
	s_barrier_wait -1
	global_inv scope:SCOPE_SE
	ds_load_2addr_stride64_b32 v[26:27], v54 offset1:4
	ds_load_2addr_stride64_b32 v[24:25], v54 offset0:8 offset1:12
	s_wait_loadcnt_dscnt 0x0
	s_barrier_signal -1
	s_barrier_wait -1
	global_inv scope:SCOPE_SE
	ds_store_b64 v4, v[15:16]
	ds_store_b64 v5, v[13:14]
	;; [unrolled: 1-line block ×4, first 2 shown]
	v_lshl_add_u32 v4, v21, 3, v12
	s_wait_loadcnt_dscnt 0x0
	s_barrier_signal -1
	s_barrier_wait -1
	global_inv scope:SCOPE_SE
	ds_load_2addr_stride64_b64 v[12:15], v4 offset1:4
	ds_load_2addr_stride64_b64 v[8:11], v4 offset0:8 offset1:12
	v_mov_b32_e32 v18, 0
	v_add_co_u32 v2, vcc_lo, v2, v19
	s_wait_alu 0xfffd
	v_add_co_ci_u32_e64 v3, null, v3, v20, vcc_lo
	s_delay_alu instid0(VALU_DEP_3)
	v_lshlrev_b64_e32 v[4:5], 2, v[17:18]
	s_wait_loadcnt_dscnt 0x0
	s_barrier_signal -1
	s_barrier_wait -1
	global_inv scope:SCOPE_SE
	v_add_co_u32 v2, vcc_lo, v2, v4
	s_wait_alu 0xfffd
	v_add_co_ci_u32_e64 v3, null, v3, v5, vcc_lo
	v_cmp_lt_u32_e32 vcc_lo, v17, v135
	s_and_saveexec_b32 s0, vcc_lo
	s_cbranch_execz .LBB605_301
; %bb.300:
	v_xor_b32_e32 v4, 0x80000000, v26
	flat_store_b32 v[2:3], v4
.LBB605_301:
	s_wait_alu 0xfffe
	s_or_b32 exec_lo, exec_lo, s0
	v_add_nc_u32_e32 v4, 0x100, v17
	s_delay_alu instid0(VALU_DEP_1)
	v_cmp_lt_u32_e64 s0, v4, v135
	s_and_saveexec_b32 s1, s0
	s_cbranch_execz .LBB605_303
; %bb.302:
	v_xor_b32_e32 v4, 0x80000000, v27
	flat_store_b32 v[2:3], v4 offset:1024
.LBB605_303:
	s_wait_alu 0xfffe
	s_or_b32 exec_lo, exec_lo, s1
	v_add_nc_u32_e32 v4, 0x200, v17
	s_delay_alu instid0(VALU_DEP_1)
	v_cmp_lt_u32_e64 s1, v4, v135
	s_and_saveexec_b32 s2, s1
	s_cbranch_execz .LBB605_305
; %bb.304:
	v_xor_b32_e32 v4, 0x80000000, v24
	flat_store_b32 v[2:3], v4 offset:2048
.LBB605_305:
	;; [unrolled: 11-line block ×3, first 2 shown]
	s_wait_alu 0xfffe
	s_or_b32 exec_lo, exec_lo, s3
	v_lshlrev_b64_e32 v[2:3], 3, v[17:18]
	v_add_co_u32 v0, s3, v6, v0
	s_wait_alu 0xf1ff
	v_add_co_ci_u32_e64 v1, null, v7, v1, s3
	s_delay_alu instid0(VALU_DEP_2) | instskip(SKIP_1) | instid1(VALU_DEP_2)
	v_add_co_u32 v0, s3, v0, v2
	s_wait_alu 0xf1ff
	v_add_co_ci_u32_e64 v1, null, v1, v3, s3
	s_and_saveexec_b32 s3, vcc_lo
	s_cbranch_execnz .LBB605_340
; %bb.308:
	s_wait_alu 0xfffe
	s_or_b32 exec_lo, exec_lo, s3
	s_and_saveexec_b32 s3, s0
	s_cbranch_execnz .LBB605_341
.LBB605_309:
	s_wait_alu 0xfffe
	s_or_b32 exec_lo, exec_lo, s3
	s_and_saveexec_b32 s0, s1
	s_cbranch_execnz .LBB605_342
.LBB605_310:
	s_wait_alu 0xfffe
	s_or_b32 exec_lo, exec_lo, s0
	s_and_saveexec_b32 s0, s2
	s_cbranch_execz .LBB605_312
.LBB605_311:
	flat_store_b64 v[0:1], v[10:11] offset:6144
.LBB605_312:
	s_wait_alu 0xfffe
	s_or_b32 exec_lo, exec_lo, s0
                                        ; implicit-def: $vgpr135
                                        ; implicit-def: $vgpr0
                                        ; implicit-def: $vgpr1
                                        ; implicit-def: $vgpr2
                                        ; implicit-def: $vgpr3
                                        ; implicit-def: $vgpr4
                                        ; implicit-def: $vgpr5
                                        ; implicit-def: $vgpr6
                                        ; implicit-def: $vgpr7
                                        ; implicit-def: $vgpr8
                                        ; implicit-def: $vgpr10
                                        ; implicit-def: $vgpr11
                                        ; implicit-def: $vgpr12
                                        ; implicit-def: $vgpr9
                                        ; implicit-def: $vgpr13
                                        ; implicit-def: $vgpr21
                                        ; implicit-def: $vgpr96
.LBB605_313:
	s_wait_alu 0xfffe
	s_and_not1_saveexec_b32 s0, s16
	s_cbranch_execz .LBB605_372
; %bb.314:
	s_load_b64 s[0:1], s[8:9], 0x0
	s_and_b32 s2, ttmp7, 0xffff
	s_mov_b32 s3, 0
	s_wait_kmcnt 0x0
	s_wait_alu 0xfffe
	s_cmp_lt_u32 s2, s1
	s_cselect_b32 s2, 14, 20
	s_cmp_lt_u32 ttmp9, s0
	s_wait_alu 0xfffe
	s_add_nc_u64 s[4:5], s[8:9], s[2:3]
	s_cselect_b32 s2, 12, 18
	s_load_u16 s4, s[4:5], 0x0
	s_add_nc_u64 s[0:1], s[8:9], s[2:3]
	s_load_u16 s0, s[0:1], 0x0
	s_wait_kmcnt 0x0
	v_mad_u32_u24 v13, v13, s4, v9
	v_mov_b32_e32 v9, 0
	s_delay_alu instid0(VALU_DEP_2) | instskip(NEXT) | instid1(VALU_DEP_2)
	v_mad_co_u64_u32 v[13:14], null, v13, s0, v[21:22]
	v_lshlrev_b64_e32 v[15:16], 2, v[8:9]
	s_mov_b32 s0, exec_lo
	v_cmpx_lt_u32_e32 0x100, v135
	s_wait_alu 0xfffe
	s_xor_b32 s14, exec_lo, s0
	s_cbranch_execz .LBB605_352
; %bb.315:
	s_delay_alu instid0(VALU_DEP_3) | instskip(SKIP_3) | instid1(VALU_DEP_4)
	v_lshlrev_b32_e32 v14, 1, v13
	v_mov_b32_e32 v20, v9
	v_lshlrev_b32_e32 v18, 2, v96
	v_bfrev_b32_e32 v17, -2
	v_and_b32_e32 v19, 0xffffffc0, v14
	v_add_co_u32 v14, vcc_lo, v0, v15
	s_wait_alu 0xfffd
	v_add_co_ci_u32_e64 v22, null, v1, v16, vcc_lo
	s_delay_alu instid0(VALU_DEP_3) | instskip(NEXT) | instid1(VALU_DEP_3)
	v_lshlrev_b64_e32 v[0:1], 2, v[19:20]
	v_add_co_u32 v18, vcc_lo, v14, v18
	s_wait_alu 0xfffd
	s_delay_alu instid0(VALU_DEP_3) | instskip(SKIP_1) | instid1(VALU_DEP_3)
	v_add_co_ci_u32_e64 v22, null, 0, v22, vcc_lo
	v_or_b32_e32 v14, v96, v19
	v_add_co_u32 v0, vcc_lo, v18, v0
	s_wait_alu 0xfffd
	s_delay_alu instid0(VALU_DEP_3) | instskip(NEXT) | instid1(VALU_DEP_3)
	v_add_co_ci_u32_e64 v1, null, v22, v1, vcc_lo
	v_cmp_lt_u32_e32 vcc_lo, v14, v135
	v_mov_b32_e32 v18, v17
	s_and_saveexec_b32 s0, vcc_lo
	s_cbranch_execz .LBB605_317
; %bb.316:
	flat_load_b32 v22, v[0:1]
	v_mov_b32_e32 v23, v17
	s_wait_loadcnt_dscnt 0x0
	s_delay_alu instid0(VALU_DEP_1)
	v_dual_mov_b32 v17, v22 :: v_dual_mov_b32 v18, v23
.LBB605_317:
	s_wait_alu 0xfffe
	s_or_b32 exec_lo, exec_lo, s0
	v_or_b32_e32 v14, 32, v14
	s_delay_alu instid0(VALU_DEP_1)
	v_cmp_lt_u32_e64 s0, v14, v135
	s_and_saveexec_b32 s1, s0
	s_cbranch_execz .LBB605_319
; %bb.318:
	flat_load_b32 v18, v[0:1] offset:128
.LBB605_319:
	s_wait_alu 0xfffe
	s_or_b32 exec_lo, exec_lo, s1
	v_lshlrev_b64_e32 v[0:1], 3, v[8:9]
	v_lshlrev_b32_e32 v14, 3, v96
	v_lshlrev_b64_e32 v[8:9], 3, v[19:20]
	v_dual_mov_b32 v22, 0 :: v_dual_mov_b32 v19, 0
	v_mov_b32_e32 v23, 0
	v_add_co_u32 v4, s1, v4, v0
	s_wait_alu 0xf1ff
	v_add_co_ci_u32_e64 v5, null, v5, v1, s1
	v_mov_b32_e32 v20, 0
	s_delay_alu instid0(VALU_DEP_3) | instskip(SKIP_1) | instid1(VALU_DEP_3)
	v_add_co_u32 v4, s1, v4, v14
	s_wait_alu 0xf1ff
	v_add_co_ci_u32_e64 v5, null, 0, v5, s1
	s_delay_alu instid0(VALU_DEP_2) | instskip(SKIP_1) | instid1(VALU_DEP_2)
	v_add_co_u32 v4, s1, v4, v8
	s_wait_alu 0xf1ff
	v_add_co_ci_u32_e64 v5, null, v5, v9, s1
	s_and_saveexec_b32 s1, vcc_lo
	s_cbranch_execz .LBB605_321
; %bb.320:
	flat_load_b64 v[19:20], v[4:5]
.LBB605_321:
	s_wait_alu 0xfffe
	s_or_b32 exec_lo, exec_lo, s1
	s_and_saveexec_b32 s1, s0
	s_cbranch_execz .LBB605_323
; %bb.322:
	flat_load_b64 v[22:23], v[4:5] offset:256
.LBB605_323:
	s_wait_alu 0xfffe
	s_or_b32 exec_lo, exec_lo, s1
	v_lshl_add_u32 v4, v21, 5, v12
	v_and_b32_e32 v8, 0x3e0, v21
	v_and_b32_e32 v5, 15, v96
	s_getpc_b64 s[0:1]
	s_wait_alu 0xfffe
	s_sext_i32_i16 s1, s1
	s_add_co_u32 s0, s0, _ZN7rocprim17ROCPRIM_400000_NS16block_radix_sortIiLj256ELj2ElLj1ELj1ELj8ELNS0_26block_radix_rank_algorithmE2ELNS0_18block_padding_hintE2ELNS0_4arch9wavefront6targetE0EE19radix_bits_per_passE@rel32@lo+12
	s_wait_alu 0xfffe
	s_add_co_ci_u32 s1, s1, _ZN7rocprim17ROCPRIM_400000_NS16block_radix_sortIiLj256ELj2ElLj1ELj1ELj8ELNS0_26block_radix_rank_algorithmE2ELNS0_18block_padding_hintE2ELNS0_4arch9wavefront6targetE0EE19radix_bits_per_passE@rel32@hi+24
	v_and_b32_e32 v9, 7, v96
	v_add_nc_u32_e32 v14, 32, v4
	v_add_nc_u32_e32 v26, 36, v4
	;; [unrolled: 1-line block ×8, first 2 shown]
	v_min_u32_e32 v4, 0xe0, v8
	v_and_b32_e32 v8, 16, v96
	s_load_b32 s15, s[0:1], 0x0
	v_cmp_eq_u32_e32 vcc_lo, 0, v5
	v_cmp_lt_u32_e64 s0, 1, v5
	v_or_b32_e32 v4, 31, v4
	v_cmp_eq_u32_e64 s4, 0, v8
	v_lshlrev_b32_e32 v8, 1, v21
	v_cmp_lt_u32_e64 s1, 3, v5
	v_cmp_lt_u32_e64 s2, 7, v5
	v_sub_co_u32 v5, s3, v96, 1
	s_delay_alu instid0(VALU_DEP_4) | instskip(SKIP_2) | instid1(VALU_DEP_4)
	v_and_or_b32 v8, 0x7c0, v8, v96
	v_cmp_eq_u32_e64 s5, v21, v4
	v_lshrrev_b32_e32 v4, 3, v21
	v_cmp_gt_i32_e64 s6, 0, v5
	v_xor_b32_e32 v53, 0x80000000, v17
	v_lshlrev_b32_e32 v8, 2, v8
	s_wait_loadcnt_dscnt 0x0
	v_xor_b32_e32 v25, 0x80000000, v18
	v_and_b32_e32 v4, 0x7c, v4
	s_wait_alu 0xf1ff
	v_cndmask_b32_e64 v5, v5, v96, s6
	v_lshrrev_b32_e32 v33, 5, v13
	v_add_nc_u32_e32 v37, v12, v8
	v_cmp_gt_u32_e64 s6, 8, v21
	v_add_nc_u32_e32 v36, v12, v4
	v_lshlrev_b32_e32 v4, 2, v21
	v_cmp_lt_u32_e64 s7, 31, v21
	v_add_nc_u32_e32 v38, v37, v8
	v_lshlrev_b32_e32 v35, 2, v5
	v_cmp_eq_u32_e64 s8, 0, v21
	v_mov_b32_e32 v5, 0
	v_add_co_u32 v34, null, v12, v4
	v_cmp_eq_u32_e64 s9, 0, v9
	v_cmp_lt_u32_e64 s10, 1, v9
	v_cmp_lt_u32_e64 s11, 3, v9
	v_add_nc_u32_e32 v39, -4, v36
	v_add_nc_u32_e32 v48, 0x80, v37
	v_add_nc_u32_e32 v49, 0x100, v38
	v_sub_nc_u32_e32 v50, v11, v10
	s_mov_b32 s16, 0
	s_wait_storecnt 0x0
	s_barrier_signal -1
	s_barrier_wait -1
	global_inv scope:SCOPE_SE
	s_branch .LBB605_325
.LBB605_324:                            ;   in Loop: Header=BB605_325 Depth=1
	s_wait_alu 0xfffe
	s_or_b32 exec_lo, exec_lo, s13
	s_delay_alu instid0(SALU_CYCLE_1)
	s_and_b32 s12, exec_lo, s17
	s_wait_alu 0xfffe
	s_or_b32 s16, s12, s16
	s_wait_alu 0xfffe
	s_and_not1_b32 exec_lo, exec_lo, s16
	s_cbranch_execz .LBB605_343
.LBB605_325:                            ; =>This Inner Loop Header: Depth=1
	s_wait_kmcnt 0x0
	v_min_u32_e32 v4, s15, v50
	v_mov_b32_e32 v52, v25
	ds_store_b32 v14, v5
	ds_store_b32 v26, v5
	;; [unrolled: 1-line block ×6, first 2 shown]
	v_lshlrev_b32_e64 v4, v4, -1
	ds_store_b32 v31, v5
	ds_store_b32 v32, v5
	s_wait_loadcnt_dscnt 0x0
	s_barrier_signal -1
	v_not_b32_e32 v24, v4
	v_mov_b32_e32 v51, v53
	s_barrier_wait -1
	global_inv scope:SCOPE_SE
	; wave barrier
	v_lshrrev_b32_e32 v8, v10, v51
	s_delay_alu instid0(VALU_DEP_1) | instskip(SKIP_1) | instid1(VALU_DEP_2)
	v_and_b32_e32 v4, v8, v24
	v_dual_mov_b32 v8, v22 :: v_dual_mov_b32 v9, v23
	v_and_b32_e32 v17, 1, v4
	v_lshlrev_b32_e32 v18, 30, v4
	v_lshlrev_b32_e32 v22, 29, v4
	;; [unrolled: 1-line block ×4, first 2 shown]
	v_add_co_u32 v17, s12, v17, -1
	s_wait_alu 0xf1ff
	v_cndmask_b32_e64 v25, 0, 1, s12
	v_not_b32_e32 v64, v18
	v_cmp_gt_i32_e64 s13, 0, v18
	v_not_b32_e32 v18, v22
	v_lshlrev_b32_e32 v54, 26, v4
	v_cmp_ne_u32_e64 s12, 0, v25
	v_ashrrev_i32_e32 v64, 31, v64
	v_lshlrev_b32_e32 v55, 25, v4
	v_ashrrev_i32_e32 v18, 31, v18
	v_lshlrev_b32_e32 v25, 24, v4
	s_wait_alu 0xf1ff
	v_xor_b32_e32 v17, s12, v17
	v_cmp_gt_i32_e64 s12, 0, v22
	v_not_b32_e32 v22, v23
	v_xor_b32_e32 v64, s13, v64
	v_cmp_gt_i32_e64 s13, 0, v23
	v_and_b32_e32 v17, exec_lo, v17
	v_not_b32_e32 v23, v53
	v_ashrrev_i32_e32 v22, 31, v22
	s_wait_alu 0xf1ff
	v_xor_b32_e32 v18, s12, v18
	v_cmp_gt_i32_e64 s12, 0, v53
	v_and_b32_e32 v17, v17, v64
	v_not_b32_e32 v53, v54
	v_ashrrev_i32_e32 v23, 31, v23
	v_xor_b32_e32 v22, s13, v22
	v_cmp_gt_i32_e64 s13, 0, v54
	v_and_b32_e32 v17, v17, v18
	v_not_b32_e32 v18, v55
	v_ashrrev_i32_e32 v53, 31, v53
	s_wait_alu 0xf1ff
	v_xor_b32_e32 v23, s12, v23
	v_cmp_gt_i32_e64 s12, 0, v55
	v_and_b32_e32 v17, v17, v22
	v_not_b32_e32 v22, v25
	v_ashrrev_i32_e32 v54, 31, v18
	v_xor_b32_e32 v53, s13, v53
	v_cmp_gt_i32_e64 s13, 0, v25
	v_and_b32_e32 v23, v17, v23
	v_dual_mov_b32 v17, v19 :: v_dual_mov_b32 v18, v20
	v_ashrrev_i32_e32 v19, 31, v22
	s_wait_alu 0xf1ff
	v_xor_b32_e32 v20, s12, v54
	v_and_b32_e32 v22, v23, v53
	v_lshl_add_u32 v4, v4, 3, v33
	v_xor_b32_e32 v19, s13, v19
	s_delay_alu instid0(VALU_DEP_3) | instskip(NEXT) | instid1(VALU_DEP_3)
	v_and_b32_e32 v20, v22, v20
	v_lshlrev_b64_e32 v[22:23], 2, v[4:5]
	s_delay_alu instid0(VALU_DEP_2) | instskip(NEXT) | instid1(VALU_DEP_2)
	v_and_b32_e32 v20, v20, v19
	v_add_co_u32 v19, null, v12, v22
	s_delay_alu instid0(VALU_DEP_2) | instskip(SKIP_1) | instid1(VALU_DEP_3)
	v_mbcnt_lo_u32_b32 v4, v20, 0
	v_cmp_ne_u32_e64 s13, 0, v20
	v_add_co_u32 v19, null, v19, 32
	s_delay_alu instid0(VALU_DEP_3)
	v_cmp_eq_u32_e64 s12, 0, v4
	s_and_b32 s13, s13, s12
	s_wait_alu 0xfffe
	s_and_saveexec_b32 s12, s13
; %bb.326:                              ;   in Loop: Header=BB605_325 Depth=1
	v_bcnt_u32_b32 v20, v20, 0
	ds_store_b32 v19, v20
; %bb.327:                              ;   in Loop: Header=BB605_325 Depth=1
	s_wait_alu 0xfffe
	s_or_b32 exec_lo, exec_lo, s12
	v_lshrrev_b32_e32 v20, v10, v52
	; wave barrier
	s_delay_alu instid0(VALU_DEP_1) | instskip(NEXT) | instid1(VALU_DEP_1)
	v_and_b32_e32 v20, v20, v24
	v_and_b32_e32 v22, 1, v20
	v_lshlrev_b32_e32 v23, 30, v20
	v_lshlrev_b32_e32 v24, 29, v20
	v_lshlrev_b32_e32 v25, 28, v20
	v_lshlrev_b32_e32 v54, 27, v20
	v_add_co_u32 v22, s12, v22, -1
	s_wait_alu 0xf1ff
	v_cndmask_b32_e64 v53, 0, 1, s12
	v_not_b32_e32 v65, v23
	v_cmp_gt_i32_e64 s13, 0, v23
	v_not_b32_e32 v23, v24
	v_lshlrev_b32_e32 v55, 26, v20
	v_cmp_ne_u32_e64 s12, 0, v53
	v_ashrrev_i32_e32 v65, 31, v65
	v_lshlrev_b32_e32 v64, 25, v20
	v_ashrrev_i32_e32 v23, 31, v23
	v_lshlrev_b32_e32 v53, 24, v20
	s_wait_alu 0xf1ff
	v_xor_b32_e32 v22, s12, v22
	v_cmp_gt_i32_e64 s12, 0, v24
	v_not_b32_e32 v24, v25
	v_xor_b32_e32 v65, s13, v65
	v_cmp_gt_i32_e64 s13, 0, v25
	v_and_b32_e32 v22, exec_lo, v22
	v_not_b32_e32 v25, v54
	v_ashrrev_i32_e32 v24, 31, v24
	s_wait_alu 0xf1ff
	v_xor_b32_e32 v23, s12, v23
	v_cmp_gt_i32_e64 s12, 0, v54
	v_and_b32_e32 v22, v22, v65
	v_not_b32_e32 v54, v55
	v_ashrrev_i32_e32 v25, 31, v25
	v_xor_b32_e32 v24, s13, v24
	v_cmp_gt_i32_e64 s13, 0, v55
	v_and_b32_e32 v22, v22, v23
	v_not_b32_e32 v23, v64
	v_ashrrev_i32_e32 v54, 31, v54
	s_wait_alu 0xf1ff
	v_xor_b32_e32 v25, s12, v25
	v_cmp_gt_i32_e64 s12, 0, v64
	v_and_b32_e32 v22, v22, v24
	v_not_b32_e32 v24, v53
	v_ashrrev_i32_e32 v23, 31, v23
	v_xor_b32_e32 v54, s13, v54
	v_lshl_add_u32 v20, v20, 3, v33
	v_and_b32_e32 v22, v22, v25
	v_cmp_gt_i32_e64 s13, 0, v53
	v_ashrrev_i32_e32 v24, 31, v24
	s_wait_alu 0xf1ff
	v_xor_b32_e32 v23, s12, v23
	v_lshl_add_u32 v25, v20, 2, v12
	v_and_b32_e32 v22, v22, v54
	v_xor_b32_e32 v24, s13, v24
	ds_load_b32 v20, v25 offset:32
	v_and_b32_e32 v22, v22, v23
	v_add_nc_u32_e32 v23, 32, v25
	; wave barrier
	s_delay_alu instid0(VALU_DEP_2) | instskip(NEXT) | instid1(VALU_DEP_1)
	v_and_b32_e32 v24, v22, v24
	v_mbcnt_lo_u32_b32 v22, v24, 0
	v_cmp_ne_u32_e64 s13, 0, v24
	s_delay_alu instid0(VALU_DEP_2)
	v_cmp_eq_u32_e64 s12, 0, v22
	s_and_b32 s13, s13, s12
	s_wait_alu 0xfffe
	s_and_saveexec_b32 s12, s13
	s_cbranch_execz .LBB605_329
; %bb.328:                              ;   in Loop: Header=BB605_325 Depth=1
	s_wait_dscnt 0x0
	v_bcnt_u32_b32 v24, v24, v20
	ds_store_b32 v23, v24
.LBB605_329:                            ;   in Loop: Header=BB605_325 Depth=1
	s_wait_alu 0xfffe
	s_or_b32 exec_lo, exec_lo, s12
	; wave barrier
	s_wait_loadcnt_dscnt 0x0
	s_barrier_signal -1
	s_barrier_wait -1
	global_inv scope:SCOPE_SE
	ds_load_b32 v25, v14
	ds_load_b32 v53, v26
	;; [unrolled: 1-line block ×8, first 2 shown]
	s_wait_dscnt 0x6
	v_add_nc_u32_e32 v67, v53, v25
	s_wait_dscnt 0x4
	s_delay_alu instid0(VALU_DEP_1) | instskip(SKIP_1) | instid1(VALU_DEP_1)
	v_add3_u32 v67, v67, v54, v55
	s_wait_dscnt 0x2
	v_add3_u32 v67, v67, v64, v65
	s_wait_dscnt 0x0
	s_delay_alu instid0(VALU_DEP_1) | instskip(NEXT) | instid1(VALU_DEP_1)
	v_add3_u32 v66, v67, v24, v66
	v_mov_b32_dpp v67, v66 row_shr:1 row_mask:0xf bank_mask:0xf
	s_wait_alu 0xfffd
	s_delay_alu instid0(VALU_DEP_1) | instskip(NEXT) | instid1(VALU_DEP_1)
	v_cndmask_b32_e64 v67, v67, 0, vcc_lo
	v_add_nc_u32_e32 v66, v67, v66
	s_delay_alu instid0(VALU_DEP_1) | instskip(NEXT) | instid1(VALU_DEP_1)
	v_mov_b32_dpp v67, v66 row_shr:2 row_mask:0xf bank_mask:0xf
	v_cndmask_b32_e64 v67, 0, v67, s0
	s_delay_alu instid0(VALU_DEP_1) | instskip(NEXT) | instid1(VALU_DEP_1)
	v_add_nc_u32_e32 v66, v66, v67
	v_mov_b32_dpp v67, v66 row_shr:4 row_mask:0xf bank_mask:0xf
	s_delay_alu instid0(VALU_DEP_1) | instskip(NEXT) | instid1(VALU_DEP_1)
	v_cndmask_b32_e64 v67, 0, v67, s1
	v_add_nc_u32_e32 v66, v66, v67
	s_delay_alu instid0(VALU_DEP_1) | instskip(NEXT) | instid1(VALU_DEP_1)
	v_mov_b32_dpp v67, v66 row_shr:8 row_mask:0xf bank_mask:0xf
	v_cndmask_b32_e64 v67, 0, v67, s2
	s_delay_alu instid0(VALU_DEP_1) | instskip(SKIP_3) | instid1(VALU_DEP_1)
	v_add_nc_u32_e32 v66, v66, v67
	ds_swizzle_b32 v67, v66 offset:swizzle(BROADCAST,32,15)
	s_wait_dscnt 0x0
	v_cndmask_b32_e64 v67, v67, 0, s4
	v_add_nc_u32_e32 v66, v66, v67
	s_and_saveexec_b32 s12, s5
; %bb.330:                              ;   in Loop: Header=BB605_325 Depth=1
	ds_store_b32 v36, v66
; %bb.331:                              ;   in Loop: Header=BB605_325 Depth=1
	s_wait_alu 0xfffe
	s_or_b32 exec_lo, exec_lo, s12
	s_wait_loadcnt_dscnt 0x0
	s_barrier_signal -1
	s_barrier_wait -1
	global_inv scope:SCOPE_SE
	s_and_saveexec_b32 s12, s6
	s_cbranch_execz .LBB605_333
; %bb.332:                              ;   in Loop: Header=BB605_325 Depth=1
	ds_load_b32 v67, v34
	s_wait_dscnt 0x0
	v_mov_b32_dpp v68, v67 row_shr:1 row_mask:0xf bank_mask:0xf
	s_delay_alu instid0(VALU_DEP_1) | instskip(NEXT) | instid1(VALU_DEP_1)
	v_cndmask_b32_e64 v68, v68, 0, s9
	v_add_nc_u32_e32 v67, v68, v67
	s_delay_alu instid0(VALU_DEP_1) | instskip(NEXT) | instid1(VALU_DEP_1)
	v_mov_b32_dpp v68, v67 row_shr:2 row_mask:0xf bank_mask:0xf
	v_cndmask_b32_e64 v68, 0, v68, s10
	s_delay_alu instid0(VALU_DEP_1) | instskip(NEXT) | instid1(VALU_DEP_1)
	v_add_nc_u32_e32 v67, v67, v68
	v_mov_b32_dpp v68, v67 row_shr:4 row_mask:0xf bank_mask:0xf
	s_delay_alu instid0(VALU_DEP_1) | instskip(NEXT) | instid1(VALU_DEP_1)
	v_cndmask_b32_e64 v68, 0, v68, s11
	v_add_nc_u32_e32 v67, v67, v68
	ds_store_b32 v34, v67
.LBB605_333:                            ;   in Loop: Header=BB605_325 Depth=1
	s_wait_alu 0xfffe
	s_or_b32 exec_lo, exec_lo, s12
	v_mov_b32_e32 v67, 0
	s_wait_loadcnt_dscnt 0x0
	s_barrier_signal -1
	s_barrier_wait -1
	global_inv scope:SCOPE_SE
	s_and_saveexec_b32 s12, s7
; %bb.334:                              ;   in Loop: Header=BB605_325 Depth=1
	ds_load_b32 v67, v39
; %bb.335:                              ;   in Loop: Header=BB605_325 Depth=1
	s_wait_alu 0xfffe
	s_or_b32 exec_lo, exec_lo, s12
	s_wait_dscnt 0x0
	v_add_nc_u32_e32 v66, v67, v66
	v_add_nc_u32_e32 v10, 8, v10
	s_mov_b32 s17, -1
	s_mov_b32 s13, exec_lo
	ds_bpermute_b32 v66, v35, v66
	s_wait_dscnt 0x0
	v_cndmask_b32_e64 v66, v66, v67, s3
	s_delay_alu instid0(VALU_DEP_1) | instskip(NEXT) | instid1(VALU_DEP_1)
	v_cndmask_b32_e64 v66, v66, 0, s8
	v_add_nc_u32_e32 v25, v66, v25
	s_delay_alu instid0(VALU_DEP_1)
	v_add_nc_u32_e32 v53, v25, v53
	ds_store_b32 v14, v66
	ds_store_b32 v26, v25
	;; [unrolled: 1-line block ×3, first 2 shown]
	v_mov_b32_e32 v25, v5
	v_add_nc_u32_e32 v54, v53, v54
                                        ; implicit-def: $vgpr53
	s_delay_alu instid0(VALU_DEP_1) | instskip(NEXT) | instid1(VALU_DEP_1)
	v_add_nc_u32_e32 v55, v54, v55
	v_add_nc_u32_e32 v64, v55, v64
	s_delay_alu instid0(VALU_DEP_1) | instskip(NEXT) | instid1(VALU_DEP_1)
	v_add_nc_u32_e32 v65, v64, v65
	v_add_nc_u32_e32 v24, v65, v24
	ds_store_b32 v28, v54
	ds_store_b32 v29, v55
	;; [unrolled: 1-line block ×5, first 2 shown]
	s_wait_loadcnt_dscnt 0x0
	s_barrier_signal -1
	s_barrier_wait -1
	global_inv scope:SCOPE_SE
	ds_load_b32 v19, v19
	ds_load_b32 v23, v23
	s_wait_loadcnt_dscnt 0x0
	v_add_nc_u32_e32 v4, v19, v4
	v_add3_u32 v24, v22, v20, v23
	s_delay_alu instid0(VALU_DEP_2) | instskip(NEXT) | instid1(VALU_DEP_2)
	v_lshlrev_b64_e32 v[19:20], 2, v[4:5]
	v_lshlrev_b64_e32 v[22:23], 2, v[24:25]
                                        ; implicit-def: $vgpr25
	s_delay_alu instid0(VALU_DEP_2) | instskip(NEXT) | instid1(VALU_DEP_2)
	v_add_co_u32 v55, null, v12, v19
	v_add_co_u32 v54, null, v12, v22
                                        ; implicit-def: $vgpr22_vgpr23
                                        ; implicit-def: $vgpr19_vgpr20
	v_cmpx_lt_u32_e64 v10, v11
	s_cbranch_execz .LBB605_324
; %bb.336:                              ;   in Loop: Header=BB605_325 Depth=1
	s_delay_alu instid0(VALU_DEP_3) | instskip(NEXT) | instid1(VALU_DEP_3)
	v_lshl_add_u32 v19, v4, 2, v55
	v_lshl_add_u32 v20, v24, 2, v54
	s_barrier_signal -1
	s_barrier_wait -1
	global_inv scope:SCOPE_SE
	ds_store_b32 v55, v51
	ds_store_b32 v54, v52
	s_wait_loadcnt_dscnt 0x0
	s_barrier_signal -1
	s_barrier_wait -1
	global_inv scope:SCOPE_SE
	ds_load_b32 v53, v37
	ds_load_b32 v25, v48
	s_wait_loadcnt_dscnt 0x0
	s_barrier_signal -1
	s_barrier_wait -1
	global_inv scope:SCOPE_SE
	ds_store_b64 v19, v[17:18]
	ds_store_b64 v20, v[8:9]
	s_wait_loadcnt_dscnt 0x0
	s_barrier_signal -1
	s_barrier_wait -1
	global_inv scope:SCOPE_SE
	ds_load_b64 v[19:20], v38
	ds_load_b64 v[22:23], v49
	v_add_nc_u32_e32 v50, -8, v50
	s_xor_b32 s17, exec_lo, -1
	s_wait_loadcnt_dscnt 0x0
	s_barrier_signal -1
	s_barrier_wait -1
	global_inv scope:SCOPE_SE
	s_branch .LBB605_324
.LBB605_337:
	flat_load_b64 v[26:27], v[4:5]
	s_wait_alu 0xfffe
	s_or_b32 exec_lo, exec_lo, s3
                                        ; implicit-def: $vgpr28_vgpr29
	s_and_saveexec_b32 s3, s0
	s_cbranch_execz .LBB605_264
.LBB605_338:
	flat_load_b64 v[28:29], v[4:5] offset:256
	s_wait_alu 0xfffe
	s_or_b32 exec_lo, exec_lo, s3
                                        ; implicit-def: $vgpr30_vgpr31
	s_and_saveexec_b32 s0, s1
	s_cbranch_execz .LBB605_265
.LBB605_339:
	flat_load_b64 v[30:31], v[4:5] offset:512
	s_wait_alu 0xfffe
	s_or_b32 exec_lo, exec_lo, s0
                                        ; implicit-def: $vgpr24_vgpr25
	s_and_saveexec_b32 s0, s2
	s_cbranch_execnz .LBB605_266
	s_branch .LBB605_267
.LBB605_340:
	flat_store_b64 v[0:1], v[12:13]
	s_wait_alu 0xfffe
	s_or_b32 exec_lo, exec_lo, s3
	s_and_saveexec_b32 s3, s0
	s_cbranch_execz .LBB605_309
.LBB605_341:
	flat_store_b64 v[0:1], v[14:15] offset:2048
	s_wait_alu 0xfffe
	s_or_b32 exec_lo, exec_lo, s3
	s_and_saveexec_b32 s0, s1
	s_cbranch_execz .LBB605_310
.LBB605_342:
	flat_store_b64 v[0:1], v[8:9] offset:4096
	s_wait_alu 0xfffe
	s_or_b32 exec_lo, exec_lo, s0
	s_and_saveexec_b32 s0, s2
	s_cbranch_execnz .LBB605_311
	s_branch .LBB605_312
.LBB605_343:
	s_or_b32 exec_lo, exec_lo, s16
	v_lshl_add_u32 v4, v4, 2, v55
	v_lshl_add_u32 v5, v24, 2, v54
	s_barrier_signal -1
	s_barrier_wait -1
	s_wait_loadcnt 0x0
	global_inv scope:SCOPE_SE
	ds_store_b32 v55, v51
	ds_store_b32 v54, v52
	s_wait_loadcnt_dscnt 0x0
	s_barrier_signal -1
	s_barrier_wait -1
	global_inv scope:SCOPE_SE
	ds_load_2addr_stride64_b32 v[19:20], v34 offset1:4
	s_wait_loadcnt_dscnt 0x0
	s_barrier_signal -1
	s_barrier_wait -1
	global_inv scope:SCOPE_SE
	ds_store_b64 v4, v[17:18]
	ds_store_b64 v5, v[8:9]
	v_lshl_add_u32 v4, v21, 3, v12
	s_wait_loadcnt_dscnt 0x0
	s_barrier_signal -1
	s_barrier_wait -1
	global_inv scope:SCOPE_SE
	ds_load_2addr_stride64_b64 v[8:11], v4 offset1:4
	v_mov_b32_e32 v14, 0
	v_add_co_u32 v2, vcc_lo, v2, v15
	s_wait_alu 0xfffd
	v_add_co_ci_u32_e64 v3, null, v3, v16, vcc_lo
	s_delay_alu instid0(VALU_DEP_3)
	v_lshlrev_b64_e32 v[4:5], 2, v[13:14]
	s_wait_loadcnt_dscnt 0x0
	s_barrier_signal -1
	s_barrier_wait -1
	global_inv scope:SCOPE_SE
	v_add_co_u32 v2, vcc_lo, v2, v4
	s_wait_alu 0xfffd
	v_add_co_ci_u32_e64 v3, null, v3, v5, vcc_lo
	v_cmp_lt_u32_e32 vcc_lo, v13, v135
	s_and_saveexec_b32 s0, vcc_lo
	s_cbranch_execz .LBB605_345
; %bb.344:
	v_xor_b32_e32 v4, 0x80000000, v19
	flat_store_b32 v[2:3], v4
.LBB605_345:
	s_wait_alu 0xfffe
	s_or_b32 exec_lo, exec_lo, s0
	v_add_nc_u32_e32 v4, 0x100, v13
	s_delay_alu instid0(VALU_DEP_1)
	v_cmp_lt_u32_e64 s0, v4, v135
	s_and_saveexec_b32 s1, s0
	s_cbranch_execz .LBB605_347
; %bb.346:
	v_xor_b32_e32 v4, 0x80000000, v20
	flat_store_b32 v[2:3], v4 offset:1024
.LBB605_347:
	s_wait_alu 0xfffe
	s_or_b32 exec_lo, exec_lo, s1
	v_lshlrev_b64_e32 v[2:3], 3, v[13:14]
	v_add_co_u32 v0, s1, v6, v0
	s_wait_alu 0xf1ff
	v_add_co_ci_u32_e64 v1, null, v7, v1, s1
	s_delay_alu instid0(VALU_DEP_2) | instskip(SKIP_1) | instid1(VALU_DEP_2)
	v_add_co_u32 v0, s1, v0, v2
	s_wait_alu 0xf1ff
	v_add_co_ci_u32_e64 v1, null, v1, v3, s1
	s_and_saveexec_b32 s1, vcc_lo
	s_cbranch_execz .LBB605_349
; %bb.348:
	flat_store_b64 v[0:1], v[8:9]
.LBB605_349:
	s_wait_alu 0xfffe
	s_or_b32 exec_lo, exec_lo, s1
	s_and_saveexec_b32 s1, s0
	s_cbranch_execz .LBB605_351
; %bb.350:
	flat_store_b64 v[0:1], v[10:11] offset:2048
.LBB605_351:
	s_wait_alu 0xfffe
	s_or_b32 exec_lo, exec_lo, s1
                                        ; implicit-def: $vgpr13_vgpr14
                                        ; implicit-def: $vgpr8_vgpr9
                                        ; implicit-def: $vgpr15_vgpr16
                                        ; implicit-def: $vgpr135
                                        ; implicit-def: $vgpr0
                                        ; implicit-def: $vgpr1
                                        ; implicit-def: $vgpr2
                                        ; implicit-def: $vgpr3
                                        ; implicit-def: $vgpr4
                                        ; implicit-def: $vgpr5
                                        ; implicit-def: $vgpr6
                                        ; implicit-def: $vgpr7
                                        ; implicit-def: $vgpr10
                                        ; implicit-def: $vgpr11
                                        ; implicit-def: $vgpr12
                                        ; implicit-def: $vgpr21
                                        ; implicit-def: $vgpr96
.LBB605_352:
	s_wait_alu 0xfffe
	s_and_not1_saveexec_b32 s0, s14
	s_cbranch_execz .LBB605_372
; %bb.353:
	v_dual_mov_b32 v36, -1 :: v_dual_and_b32 v19, 0xffffffe0, v13
	s_delay_alu instid0(VALU_DEP_1) | instskip(NEXT) | instid1(VALU_DEP_1)
	v_or_b32_e32 v14, v96, v19
	v_cmp_lt_u32_e32 vcc_lo, v14, v135
	s_and_saveexec_b32 s1, vcc_lo
	s_cbranch_execz .LBB605_355
; %bb.354:
	v_mov_b32_e32 v20, 0
	v_lshlrev_b32_e32 v14, 2, v96
	v_add_co_u32 v17, s0, v0, v15
	s_wait_alu 0xf1fe
	v_add_co_ci_u32_e64 v18, null, v1, v16, s0
	v_lshlrev_b64_e32 v[0:1], 2, v[19:20]
	s_delay_alu instid0(VALU_DEP_3) | instskip(SKIP_1) | instid1(VALU_DEP_3)
	v_add_co_u32 v14, s0, v17, v14
	s_wait_alu 0xf1ff
	v_add_co_ci_u32_e64 v17, null, 0, v18, s0
	s_delay_alu instid0(VALU_DEP_2) | instskip(SKIP_1) | instid1(VALU_DEP_2)
	v_add_co_u32 v0, s0, v14, v0
	s_wait_alu 0xf1ff
	v_add_co_ci_u32_e64 v1, null, v17, v1, s0
	flat_load_b32 v0, v[0:1]
	s_wait_loadcnt_dscnt 0x0
	v_xor_b32_e32 v36, 0x80000000, v0
.LBB605_355:
	s_wait_alu 0xfffe
	s_or_b32 exec_lo, exec_lo, s1
	v_lshlrev_b64_e32 v[0:1], 3, v[8:9]
                                        ; implicit-def: $vgpr17_vgpr18
	s_and_saveexec_b32 s0, vcc_lo
	s_cbranch_execz .LBB605_357
; %bb.356:
	v_mov_b32_e32 v20, 0
	v_lshlrev_b32_e32 v8, 3, v96
	s_delay_alu instid0(VALU_DEP_3) | instskip(SKIP_3) | instid1(VALU_DEP_3)
	v_add_co_u32 v9, vcc_lo, v4, v0
	s_wait_alu 0xfffd
	v_add_co_ci_u32_e64 v14, null, v5, v1, vcc_lo
	v_lshlrev_b64_e32 v[4:5], 3, v[19:20]
	v_add_co_u32 v8, vcc_lo, v9, v8
	s_wait_alu 0xfffd
	s_delay_alu instid0(VALU_DEP_3) | instskip(NEXT) | instid1(VALU_DEP_2)
	v_add_co_ci_u32_e64 v9, null, 0, v14, vcc_lo
	v_add_co_u32 v4, vcc_lo, v8, v4
	s_wait_alu 0xfffd
	s_delay_alu instid0(VALU_DEP_2)
	v_add_co_ci_u32_e64 v5, null, v9, v5, vcc_lo
	flat_load_b64 v[17:18], v[4:5]
.LBB605_357:
	s_wait_alu 0xfffe
	s_or_b32 exec_lo, exec_lo, s0
	v_lshl_add_u32 v4, v21, 5, v12
	v_and_b32_e32 v5, 0x3e0, v21
	v_sub_co_u32 v28, s2, v96, 1
	v_and_b32_e32 v8, 15, v96
	s_delay_alu instid0(VALU_DEP_4)
	v_add_nc_u32_e32 v14, 32, v4
	v_add_nc_u32_e32 v19, 36, v4
	v_add_nc_u32_e32 v20, 40, v4
	v_add_nc_u32_e32 v22, 44, v4
	v_add_nc_u32_e32 v23, 48, v4
	v_add_nc_u32_e32 v24, 52, v4
	v_add_nc_u32_e32 v25, 56, v4
	v_add_nc_u32_e32 v26, 60, v4
	v_min_u32_e32 v4, 0xe0, v5
	v_cmp_gt_i32_e64 s6, 0, v28
	s_getpc_b64 s[0:1]
	s_wait_alu 0xfffe
	s_sext_i32_i16 s1, s1
	s_add_co_u32 s0, s0, _ZN7rocprim17ROCPRIM_400000_NS16block_radix_sortIiLj256ELj1ElLj1ELj1ELj8ELNS0_26block_radix_rank_algorithmE2ELNS0_18block_padding_hintE2ELNS0_4arch9wavefront6targetE0EE19radix_bits_per_passE@rel32@lo+12
	s_wait_alu 0xfffe
	s_add_co_ci_u32 s1, s1, _ZN7rocprim17ROCPRIM_400000_NS16block_radix_sortIiLj256ELj1ElLj1ELj1ELj8ELNS0_26block_radix_rank_algorithmE2ELNS0_18block_padding_hintE2ELNS0_4arch9wavefront6targetE0EE19radix_bits_per_passE@rel32@hi+24
	v_cmp_eq_u32_e32 vcc_lo, 0, v8
	s_load_b32 s14, s[0:1], 0x0
	v_or_b32_e32 v4, 31, v4
	v_cmp_lt_u32_e64 s0, 1, v8
	v_cmp_lt_u32_e64 s1, 3, v8
	;; [unrolled: 1-line block ×3, first 2 shown]
	v_cndmask_b32_e64 v8, v28, v96, s6
	v_cmp_eq_u32_e64 s5, v21, v4
	v_lshrrev_b32_e32 v4, 3, v21
	v_or_b32_e32 v5, v96, v5
	v_and_b32_e32 v9, 16, v96
	v_lshlrev_b32_e32 v29, 2, v8
	v_lshrrev_b32_e32 v27, 5, v13
	v_and_b32_e32 v4, 0x7c, v4
	v_lshlrev_b32_e32 v8, 2, v5
	v_cmp_eq_u32_e64 s4, 0, v9
	v_and_b32_e32 v9, 7, v96
	v_cmp_gt_u32_e64 s6, 8, v21
	v_add_nc_u32_e32 v30, v12, v4
	v_add_nc_u32_e32 v31, v12, v8
	v_cmp_lt_u32_e64 s7, 31, v21
	v_cmp_eq_u32_e64 s8, 0, v21
	v_mov_b32_e32 v5, 0
	v_lshl_add_u32 v28, v21, 2, v12
	v_cmp_eq_u32_e64 s9, 0, v9
	v_cmp_lt_u32_e64 s10, 1, v9
	v_cmp_lt_u32_e64 s11, 3, v9
	v_add_nc_u32_e32 v32, -4, v30
	v_add_nc_u32_e32 v33, v31, v8
	v_sub_nc_u32_e32 v34, v11, v10
	s_mov_b32 s15, 0
	s_wait_storecnt 0x0
	s_wait_loadcnt_dscnt 0x0
	s_barrier_signal -1
	s_barrier_wait -1
	global_inv scope:SCOPE_SE
	s_branch .LBB605_359
.LBB605_358:                            ;   in Loop: Header=BB605_359 Depth=1
	s_wait_alu 0xfffe
	s_or_b32 exec_lo, exec_lo, s13
	s_delay_alu instid0(SALU_CYCLE_1)
	s_and_b32 s12, exec_lo, s16
	s_wait_alu 0xfffe
	s_or_b32 s15, s12, s15
	s_wait_alu 0xfffe
	s_and_not1_b32 exec_lo, exec_lo, s15
	s_cbranch_execz .LBB605_369
.LBB605_359:                            ; =>This Inner Loop Header: Depth=1
	v_mov_b32_e32 v35, v36
	s_wait_kmcnt 0x0
	v_min_u32_e32 v4, s14, v34
	ds_store_b32 v14, v5
	ds_store_b32 v19, v5
	ds_store_b32 v20, v5
	ds_store_b32 v22, v5
	ds_store_b32 v23, v5
	ds_store_b32 v24, v5
	v_lshrrev_b32_e32 v8, v10, v35
	ds_store_b32 v25, v5
	ds_store_b32 v26, v5
	s_wait_loadcnt_dscnt 0x0
	s_barrier_signal -1
	v_bfe_u32 v4, v8, 0, v4
	s_barrier_wait -1
	global_inv scope:SCOPE_SE
	; wave barrier
	v_and_b32_e32 v8, 1, v4
	v_lshlrev_b32_e32 v9, 30, v4
	v_lshlrev_b32_e32 v36, 29, v4
	;; [unrolled: 1-line block ×4, first 2 shown]
	v_add_co_u32 v8, s12, v8, -1
	s_wait_alu 0xf1ff
	v_cndmask_b32_e64 v38, 0, 1, s12
	v_not_b32_e32 v50, v9
	v_cmp_gt_i32_e64 s13, 0, v9
	v_not_b32_e32 v9, v36
	v_lshlrev_b32_e32 v48, 26, v4
	v_cmp_ne_u32_e64 s12, 0, v38
	v_ashrrev_i32_e32 v50, 31, v50
	v_lshlrev_b32_e32 v49, 25, v4
	v_ashrrev_i32_e32 v9, 31, v9
	v_lshlrev_b32_e32 v38, 24, v4
	s_wait_alu 0xf1ff
	v_xor_b32_e32 v8, s12, v8
	v_cmp_gt_i32_e64 s12, 0, v36
	v_not_b32_e32 v36, v37
	v_xor_b32_e32 v50, s13, v50
	v_cmp_gt_i32_e64 s13, 0, v37
	v_and_b32_e32 v8, exec_lo, v8
	v_not_b32_e32 v37, v39
	v_ashrrev_i32_e32 v36, 31, v36
	s_wait_alu 0xf1ff
	v_xor_b32_e32 v9, s12, v9
	v_cmp_gt_i32_e64 s12, 0, v39
	v_and_b32_e32 v8, v8, v50
	v_not_b32_e32 v39, v48
	v_ashrrev_i32_e32 v37, 31, v37
	v_xor_b32_e32 v36, s13, v36
	v_cmp_gt_i32_e64 s13, 0, v48
	v_and_b32_e32 v8, v8, v9
	v_not_b32_e32 v9, v49
	v_ashrrev_i32_e32 v39, 31, v39
	s_wait_alu 0xf1ff
	v_xor_b32_e32 v37, s12, v37
	v_cmp_gt_i32_e64 s12, 0, v49
	v_and_b32_e32 v8, v8, v36
	v_not_b32_e32 v36, v38
	v_ashrrev_i32_e32 v48, 31, v9
	v_xor_b32_e32 v39, s13, v39
	v_cmp_gt_i32_e64 s13, 0, v38
	v_dual_mov_b32 v8, v17 :: v_dual_and_b32 v37, v8, v37
	v_mov_b32_e32 v9, v18
	v_ashrrev_i32_e32 v17, 31, v36
	s_wait_alu 0xf1ff
	v_xor_b32_e32 v18, s12, v48
	v_and_b32_e32 v36, v37, v39
	v_lshl_add_u32 v4, v4, 3, v27
	v_xor_b32_e32 v17, s13, v17
	s_delay_alu instid0(VALU_DEP_3) | instskip(NEXT) | instid1(VALU_DEP_3)
	v_and_b32_e32 v18, v36, v18
	v_lshlrev_b64_e32 v[36:37], 2, v[4:5]
	s_delay_alu instid0(VALU_DEP_2) | instskip(NEXT) | instid1(VALU_DEP_2)
	v_and_b32_e32 v18, v18, v17
	v_add_co_u32 v17, null, v12, v36
	s_delay_alu instid0(VALU_DEP_2) | instskip(SKIP_1) | instid1(VALU_DEP_3)
	v_mbcnt_lo_u32_b32 v4, v18, 0
	v_cmp_ne_u32_e64 s13, 0, v18
	v_add_co_u32 v17, null, v17, 32
	s_delay_alu instid0(VALU_DEP_3)
	v_cmp_eq_u32_e64 s12, 0, v4
	s_and_b32 s13, s13, s12
	s_wait_alu 0xfffe
	s_and_saveexec_b32 s12, s13
; %bb.360:                              ;   in Loop: Header=BB605_359 Depth=1
	v_bcnt_u32_b32 v18, v18, 0
	ds_store_b32 v17, v18
; %bb.361:                              ;   in Loop: Header=BB605_359 Depth=1
	s_wait_alu 0xfffe
	s_or_b32 exec_lo, exec_lo, s12
	; wave barrier
	s_wait_loadcnt_dscnt 0x0
	s_barrier_signal -1
	s_barrier_wait -1
	global_inv scope:SCOPE_SE
	ds_load_b32 v36, v14
	ds_load_b32 v37, v19
	;; [unrolled: 1-line block ×8, first 2 shown]
	s_wait_dscnt 0x6
	v_add_nc_u32_e32 v51, v37, v36
	s_wait_dscnt 0x4
	s_delay_alu instid0(VALU_DEP_1) | instskip(SKIP_1) | instid1(VALU_DEP_1)
	v_add3_u32 v51, v51, v38, v39
	s_wait_dscnt 0x2
	v_add3_u32 v51, v51, v48, v49
	s_wait_dscnt 0x0
	s_delay_alu instid0(VALU_DEP_1) | instskip(NEXT) | instid1(VALU_DEP_1)
	v_add3_u32 v50, v51, v18, v50
	v_mov_b32_dpp v51, v50 row_shr:1 row_mask:0xf bank_mask:0xf
	s_delay_alu instid0(VALU_DEP_1) | instskip(NEXT) | instid1(VALU_DEP_1)
	v_cndmask_b32_e64 v51, v51, 0, vcc_lo
	v_add_nc_u32_e32 v50, v51, v50
	s_delay_alu instid0(VALU_DEP_1) | instskip(NEXT) | instid1(VALU_DEP_1)
	v_mov_b32_dpp v51, v50 row_shr:2 row_mask:0xf bank_mask:0xf
	v_cndmask_b32_e64 v51, 0, v51, s0
	s_delay_alu instid0(VALU_DEP_1) | instskip(NEXT) | instid1(VALU_DEP_1)
	v_add_nc_u32_e32 v50, v50, v51
	v_mov_b32_dpp v51, v50 row_shr:4 row_mask:0xf bank_mask:0xf
	s_delay_alu instid0(VALU_DEP_1) | instskip(NEXT) | instid1(VALU_DEP_1)
	v_cndmask_b32_e64 v51, 0, v51, s1
	v_add_nc_u32_e32 v50, v50, v51
	s_delay_alu instid0(VALU_DEP_1) | instskip(NEXT) | instid1(VALU_DEP_1)
	v_mov_b32_dpp v51, v50 row_shr:8 row_mask:0xf bank_mask:0xf
	v_cndmask_b32_e64 v51, 0, v51, s3
	s_delay_alu instid0(VALU_DEP_1) | instskip(SKIP_3) | instid1(VALU_DEP_1)
	v_add_nc_u32_e32 v50, v50, v51
	ds_swizzle_b32 v51, v50 offset:swizzle(BROADCAST,32,15)
	s_wait_dscnt 0x0
	v_cndmask_b32_e64 v51, v51, 0, s4
	v_add_nc_u32_e32 v50, v50, v51
	s_and_saveexec_b32 s12, s5
; %bb.362:                              ;   in Loop: Header=BB605_359 Depth=1
	ds_store_b32 v30, v50
; %bb.363:                              ;   in Loop: Header=BB605_359 Depth=1
	s_wait_alu 0xfffe
	s_or_b32 exec_lo, exec_lo, s12
	s_wait_loadcnt_dscnt 0x0
	s_barrier_signal -1
	s_barrier_wait -1
	global_inv scope:SCOPE_SE
	s_and_saveexec_b32 s12, s6
	s_cbranch_execz .LBB605_365
; %bb.364:                              ;   in Loop: Header=BB605_359 Depth=1
	ds_load_b32 v51, v28
	s_wait_dscnt 0x0
	v_mov_b32_dpp v52, v51 row_shr:1 row_mask:0xf bank_mask:0xf
	s_delay_alu instid0(VALU_DEP_1) | instskip(NEXT) | instid1(VALU_DEP_1)
	v_cndmask_b32_e64 v52, v52, 0, s9
	v_add_nc_u32_e32 v51, v52, v51
	s_delay_alu instid0(VALU_DEP_1) | instskip(NEXT) | instid1(VALU_DEP_1)
	v_mov_b32_dpp v52, v51 row_shr:2 row_mask:0xf bank_mask:0xf
	v_cndmask_b32_e64 v52, 0, v52, s10
	s_delay_alu instid0(VALU_DEP_1) | instskip(NEXT) | instid1(VALU_DEP_1)
	v_add_nc_u32_e32 v51, v51, v52
	v_mov_b32_dpp v52, v51 row_shr:4 row_mask:0xf bank_mask:0xf
	s_delay_alu instid0(VALU_DEP_1) | instskip(NEXT) | instid1(VALU_DEP_1)
	v_cndmask_b32_e64 v52, 0, v52, s11
	v_add_nc_u32_e32 v51, v51, v52
	ds_store_b32 v28, v51
.LBB605_365:                            ;   in Loop: Header=BB605_359 Depth=1
	s_wait_alu 0xfffe
	s_or_b32 exec_lo, exec_lo, s12
	v_mov_b32_e32 v51, 0
	s_wait_loadcnt_dscnt 0x0
	s_barrier_signal -1
	s_barrier_wait -1
	global_inv scope:SCOPE_SE
	s_and_saveexec_b32 s12, s7
; %bb.366:                              ;   in Loop: Header=BB605_359 Depth=1
	ds_load_b32 v51, v32
; %bb.367:                              ;   in Loop: Header=BB605_359 Depth=1
	s_wait_alu 0xfffe
	s_or_b32 exec_lo, exec_lo, s12
	s_wait_dscnt 0x0
	v_add_nc_u32_e32 v50, v51, v50
	v_add_nc_u32_e32 v10, 8, v10
	s_mov_b32 s16, -1
	s_mov_b32 s13, exec_lo
	ds_bpermute_b32 v50, v29, v50
	s_wait_dscnt 0x0
	v_cndmask_b32_e64 v50, v50, v51, s2
	s_delay_alu instid0(VALU_DEP_1) | instskip(NEXT) | instid1(VALU_DEP_1)
	v_cndmask_b32_e64 v50, v50, 0, s8
	v_add_nc_u32_e32 v36, v50, v36
	s_delay_alu instid0(VALU_DEP_1) | instskip(SKIP_4) | instid1(VALU_DEP_1)
	v_add_nc_u32_e32 v37, v36, v37
	ds_store_b32 v14, v50
	ds_store_b32 v19, v36
	;; [unrolled: 1-line block ×3, first 2 shown]
                                        ; implicit-def: $vgpr36
	v_add_nc_u32_e32 v38, v37, v38
	v_add_nc_u32_e32 v39, v38, v39
	s_delay_alu instid0(VALU_DEP_1) | instskip(NEXT) | instid1(VALU_DEP_1)
	v_add_nc_u32_e32 v48, v39, v48
	v_add_nc_u32_e32 v49, v48, v49
	s_delay_alu instid0(VALU_DEP_1)
	v_add_nc_u32_e32 v18, v49, v18
	ds_store_b32 v22, v38
	ds_store_b32 v23, v39
	ds_store_b32 v24, v48
	ds_store_b32 v25, v49
	ds_store_b32 v26, v18
	s_wait_loadcnt_dscnt 0x0
	s_barrier_signal -1
	s_barrier_wait -1
	global_inv scope:SCOPE_SE
	ds_load_b32 v17, v17
	s_wait_loadcnt_dscnt 0x0
	v_add_nc_u32_e32 v4, v17, v4
	s_delay_alu instid0(VALU_DEP_1) | instskip(NEXT) | instid1(VALU_DEP_1)
	v_lshlrev_b64_e32 v[17:18], 2, v[4:5]
	v_add_co_u32 v37, null, v12, v17
	s_delay_alu instid0(VALU_DEP_1)
	v_add_co_u32 v4, null, v37, v17
                                        ; implicit-def: $vgpr17_vgpr18
	v_cmpx_lt_u32_e64 v10, v11
	s_cbranch_execz .LBB605_358
; %bb.368:                              ;   in Loop: Header=BB605_359 Depth=1
	s_barrier_signal -1
	s_barrier_wait -1
	global_inv scope:SCOPE_SE
	ds_store_b32 v37, v35
	s_wait_loadcnt_dscnt 0x0
	s_barrier_signal -1
	s_barrier_wait -1
	global_inv scope:SCOPE_SE
	ds_load_b32 v36, v31
	s_wait_loadcnt_dscnt 0x0
	s_barrier_signal -1
	s_barrier_wait -1
	global_inv scope:SCOPE_SE
	ds_store_b64 v4, v[8:9]
	s_wait_loadcnt_dscnt 0x0
	s_barrier_signal -1
	s_barrier_wait -1
	global_inv scope:SCOPE_SE
	ds_load_b64 v[17:18], v33
	v_add_nc_u32_e32 v34, -8, v34
	s_xor_b32 s16, exec_lo, -1
	s_wait_loadcnt_dscnt 0x0
	s_barrier_signal -1
	s_barrier_wait -1
	global_inv scope:SCOPE_SE
	s_branch .LBB605_358
.LBB605_369:
	s_or_b32 exec_lo, exec_lo, s15
	s_barrier_signal -1
	s_barrier_wait -1
	s_wait_loadcnt 0x0
	global_inv scope:SCOPE_SE
	ds_store_b32 v37, v35
	s_wait_loadcnt_dscnt 0x0
	s_barrier_signal -1
	s_barrier_wait -1
	global_inv scope:SCOPE_SE
	ds_load_b32 v10, v28
	s_wait_loadcnt_dscnt 0x0
	s_barrier_signal -1
	s_barrier_wait -1
	global_inv scope:SCOPE_SE
	ds_store_b64 v4, v[8:9]
	v_lshl_add_u32 v4, v21, 3, v12
	s_wait_loadcnt_dscnt 0x0
	s_barrier_signal -1
	s_barrier_wait -1
	global_inv scope:SCOPE_SE
	ds_load_b64 v[4:5], v4
	s_mov_b32 s0, exec_lo
	s_wait_loadcnt_dscnt 0x0
	s_barrier_signal -1
	s_barrier_wait -1
	global_inv scope:SCOPE_SE
	v_cmpx_lt_u32_e64 v13, v135
	s_cbranch_execz .LBB605_371
; %bb.370:
	v_mov_b32_e32 v14, 0
	v_add_co_u32 v11, vcc_lo, v2, v15
	s_wait_alu 0xfffd
	v_add_co_ci_u32_e64 v12, null, v3, v16, vcc_lo
	s_delay_alu instid0(VALU_DEP_3) | instskip(SKIP_1) | instid1(VALU_DEP_2)
	v_lshlrev_b64_e32 v[8:9], 2, v[13:14]
	v_lshlrev_b64_e32 v[2:3], 3, v[13:14]
	v_add_co_u32 v8, vcc_lo, v11, v8
	s_wait_alu 0xfffd
	s_delay_alu instid0(VALU_DEP_3) | instskip(SKIP_4) | instid1(VALU_DEP_3)
	v_add_co_ci_u32_e64 v9, null, v12, v9, vcc_lo
	v_add_co_u32 v0, vcc_lo, v6, v0
	s_wait_alu 0xfffd
	v_add_co_ci_u32_e64 v1, null, v7, v1, vcc_lo
	v_xor_b32_e32 v6, 0x80000000, v10
	v_add_co_u32 v0, vcc_lo, v0, v2
	s_wait_alu 0xfffd
	s_delay_alu instid0(VALU_DEP_3)
	v_add_co_ci_u32_e64 v1, null, v1, v3, vcc_lo
	flat_store_b32 v[8:9], v6
	flat_store_b64 v[0:1], v[4:5]
.LBB605_371:
	s_wait_alu 0xfffe
	s_or_b32 exec_lo, exec_lo, s0
.LBB605_372:
	s_wait_alu 0xfffe
	s_or_b32 exec_lo, exec_lo, s18
	s_clause 0x17
	scratch_load_b32 v79, off, s32
	scratch_load_b32 v78, off, s32 offset:4
	scratch_load_b32 v77, off, s32 offset:8
	;; [unrolled: 1-line block ×23, first 2 shown]
	s_wait_loadcnt_dscnt 0x0
	s_setpc_b64 s[30:31]
.Lfunc_end605:
	.size	_ZN7rocprim17ROCPRIM_400000_NS6detail40segmented_radix_sort_single_block_helperIilLj256ELj16ELb0EE4sortIPKiPiPKlPlEEbT_T0_T1_T2_jjjjRNS3_12storage_typeE, .Lfunc_end605-_ZN7rocprim17ROCPRIM_400000_NS6detail40segmented_radix_sort_single_block_helperIilLj256ELj16ELb0EE4sortIPKiPiPKlPlEEbT_T0_T1_T2_jjjjRNS3_12storage_typeE
                                        ; -- End function
	.set .L_ZN7rocprim17ROCPRIM_400000_NS6detail40segmented_radix_sort_single_block_helperIilLj256ELj16ELb0EE4sortIPKiPiPKlPlEEbT_T0_T1_T2_jjjjRNS3_12storage_typeE.num_vgpr, 248
	.set .L_ZN7rocprim17ROCPRIM_400000_NS6detail40segmented_radix_sort_single_block_helperIilLj256ELj16ELb0EE4sortIPKiPiPKlPlEEbT_T0_T1_T2_jjjjRNS3_12storage_typeE.num_agpr, 0
	.set .L_ZN7rocprim17ROCPRIM_400000_NS6detail40segmented_radix_sort_single_block_helperIilLj256ELj16ELb0EE4sortIPKiPiPKlPlEEbT_T0_T1_T2_jjjjRNS3_12storage_typeE.numbered_sgpr, 33
	.set .L_ZN7rocprim17ROCPRIM_400000_NS6detail40segmented_radix_sort_single_block_helperIilLj256ELj16ELb0EE4sortIPKiPiPKlPlEEbT_T0_T1_T2_jjjjRNS3_12storage_typeE.num_named_barrier, 0
	.set .L_ZN7rocprim17ROCPRIM_400000_NS6detail40segmented_radix_sort_single_block_helperIilLj256ELj16ELb0EE4sortIPKiPiPKlPlEEbT_T0_T1_T2_jjjjRNS3_12storage_typeE.private_seg_size, 100
	.set .L_ZN7rocprim17ROCPRIM_400000_NS6detail40segmented_radix_sort_single_block_helperIilLj256ELj16ELb0EE4sortIPKiPiPKlPlEEbT_T0_T1_T2_jjjjRNS3_12storage_typeE.uses_vcc, 1
	.set .L_ZN7rocprim17ROCPRIM_400000_NS6detail40segmented_radix_sort_single_block_helperIilLj256ELj16ELb0EE4sortIPKiPiPKlPlEEbT_T0_T1_T2_jjjjRNS3_12storage_typeE.uses_flat_scratch, 1
	.set .L_ZN7rocprim17ROCPRIM_400000_NS6detail40segmented_radix_sort_single_block_helperIilLj256ELj16ELb0EE4sortIPKiPiPKlPlEEbT_T0_T1_T2_jjjjRNS3_12storage_typeE.has_dyn_sized_stack, 0
	.set .L_ZN7rocprim17ROCPRIM_400000_NS6detail40segmented_radix_sort_single_block_helperIilLj256ELj16ELb0EE4sortIPKiPiPKlPlEEbT_T0_T1_T2_jjjjRNS3_12storage_typeE.has_recursion, 0
	.set .L_ZN7rocprim17ROCPRIM_400000_NS6detail40segmented_radix_sort_single_block_helperIilLj256ELj16ELb0EE4sortIPKiPiPKlPlEEbT_T0_T1_T2_jjjjRNS3_12storage_typeE.has_indirect_call, 0
	.section	.AMDGPU.csdata,"",@progbits
; Function info:
; codeLenInByte = 31404
; TotalNumSgprs: 35
; NumVgprs: 248
; ScratchSize: 100
; MemoryBound: 1
	.section	.text._ZN7rocprim17ROCPRIM_400000_NS6detail17trampoline_kernelINS0_14default_configENS1_36segmented_radix_sort_config_selectorIilEEZNS1_25segmented_radix_sort_implIS3_Lb0EPKiPiPKlPlN2at6native12_GLOBAL__N_18offset_tEEE10hipError_tPvRmT1_PNSt15iterator_traitsISK_E10value_typeET2_T3_PNSL_ISQ_E10value_typeET4_jRbjT5_SW_jjP12ihipStream_tbEUlT_E_NS1_11comp_targetILNS1_3genE10ELNS1_11target_archE1201ELNS1_3gpuE5ELNS1_3repE0EEENS1_30default_config_static_selectorELNS0_4arch9wavefront6targetE0EEEvSK_,"axG",@progbits,_ZN7rocprim17ROCPRIM_400000_NS6detail17trampoline_kernelINS0_14default_configENS1_36segmented_radix_sort_config_selectorIilEEZNS1_25segmented_radix_sort_implIS3_Lb0EPKiPiPKlPlN2at6native12_GLOBAL__N_18offset_tEEE10hipError_tPvRmT1_PNSt15iterator_traitsISK_E10value_typeET2_T3_PNSL_ISQ_E10value_typeET4_jRbjT5_SW_jjP12ihipStream_tbEUlT_E_NS1_11comp_targetILNS1_3genE10ELNS1_11target_archE1201ELNS1_3gpuE5ELNS1_3repE0EEENS1_30default_config_static_selectorELNS0_4arch9wavefront6targetE0EEEvSK_,comdat
	.globl	_ZN7rocprim17ROCPRIM_400000_NS6detail17trampoline_kernelINS0_14default_configENS1_36segmented_radix_sort_config_selectorIilEEZNS1_25segmented_radix_sort_implIS3_Lb0EPKiPiPKlPlN2at6native12_GLOBAL__N_18offset_tEEE10hipError_tPvRmT1_PNSt15iterator_traitsISK_E10value_typeET2_T3_PNSL_ISQ_E10value_typeET4_jRbjT5_SW_jjP12ihipStream_tbEUlT_E_NS1_11comp_targetILNS1_3genE10ELNS1_11target_archE1201ELNS1_3gpuE5ELNS1_3repE0EEENS1_30default_config_static_selectorELNS0_4arch9wavefront6targetE0EEEvSK_ ; -- Begin function _ZN7rocprim17ROCPRIM_400000_NS6detail17trampoline_kernelINS0_14default_configENS1_36segmented_radix_sort_config_selectorIilEEZNS1_25segmented_radix_sort_implIS3_Lb0EPKiPiPKlPlN2at6native12_GLOBAL__N_18offset_tEEE10hipError_tPvRmT1_PNSt15iterator_traitsISK_E10value_typeET2_T3_PNSL_ISQ_E10value_typeET4_jRbjT5_SW_jjP12ihipStream_tbEUlT_E_NS1_11comp_targetILNS1_3genE10ELNS1_11target_archE1201ELNS1_3gpuE5ELNS1_3repE0EEENS1_30default_config_static_selectorELNS0_4arch9wavefront6targetE0EEEvSK_
	.p2align	8
	.type	_ZN7rocprim17ROCPRIM_400000_NS6detail17trampoline_kernelINS0_14default_configENS1_36segmented_radix_sort_config_selectorIilEEZNS1_25segmented_radix_sort_implIS3_Lb0EPKiPiPKlPlN2at6native12_GLOBAL__N_18offset_tEEE10hipError_tPvRmT1_PNSt15iterator_traitsISK_E10value_typeET2_T3_PNSL_ISQ_E10value_typeET4_jRbjT5_SW_jjP12ihipStream_tbEUlT_E_NS1_11comp_targetILNS1_3genE10ELNS1_11target_archE1201ELNS1_3gpuE5ELNS1_3repE0EEENS1_30default_config_static_selectorELNS0_4arch9wavefront6targetE0EEEvSK_,@function
_ZN7rocprim17ROCPRIM_400000_NS6detail17trampoline_kernelINS0_14default_configENS1_36segmented_radix_sort_config_selectorIilEEZNS1_25segmented_radix_sort_implIS3_Lb0EPKiPiPKlPlN2at6native12_GLOBAL__N_18offset_tEEE10hipError_tPvRmT1_PNSt15iterator_traitsISK_E10value_typeET2_T3_PNSL_ISQ_E10value_typeET4_jRbjT5_SW_jjP12ihipStream_tbEUlT_E_NS1_11comp_targetILNS1_3genE10ELNS1_11target_archE1201ELNS1_3gpuE5ELNS1_3repE0EEENS1_30default_config_static_selectorELNS0_4arch9wavefront6targetE0EEEvSK_: ; @_ZN7rocprim17ROCPRIM_400000_NS6detail17trampoline_kernelINS0_14default_configENS1_36segmented_radix_sort_config_selectorIilEEZNS1_25segmented_radix_sort_implIS3_Lb0EPKiPiPKlPlN2at6native12_GLOBAL__N_18offset_tEEE10hipError_tPvRmT1_PNSt15iterator_traitsISK_E10value_typeET2_T3_PNSL_ISQ_E10value_typeET4_jRbjT5_SW_jjP12ihipStream_tbEUlT_E_NS1_11comp_targetILNS1_3genE10ELNS1_11target_archE1201ELNS1_3gpuE5ELNS1_3repE0EEENS1_30default_config_static_selectorELNS0_4arch9wavefront6targetE0EEEvSK_
; %bb.0:
	s_clause 0x1
	s_load_b64 s[8:9], s[0:1], 0x38
	s_load_b128 s[4:7], s[0:1], 0x40
	s_mov_b32 s2, ttmp9
	s_mov_b32 s3, 0
	s_mov_b32 s32, 0
	s_lshl_b64 s[2:3], s[2:3], 2
	s_wait_kmcnt 0x0
	s_add_nc_u64 s[2:3], s[8:9], s[2:3]
	s_load_b32 s2, s[2:3], 0x0
	s_wait_kmcnt 0x0
	s_add_co_i32 s33, s2, s5
	s_add_co_i32 s51, s2, s7
	s_mul_i32 s33, s33, s4
	s_mul_i32 s51, s51, s6
	s_delay_alu instid0(SALU_CYCLE_1)
	s_cmp_le_u32 s51, s33
	s_cbranch_scc1 .LBB606_1182
; %bb.1:
	s_clause 0x3
	s_load_b32 s2, s[0:1], 0x30
	s_load_b128 s[44:47], s[0:1], 0x20
	s_load_b96 s[48:50], s[0:1], 0x50
	s_load_b256 s[36:43], s[0:1], 0x0
	s_wait_kmcnt 0x0
	s_bitcmp1_b32 s2, 0
	s_mov_b32 s2, -1
	s_cselect_b32 s52, -1, 0
	s_sub_co_i32 s53, s51, s33
	s_delay_alu instid0(SALU_CYCLE_1)
	s_cmp_lt_u32 s53, 0x1001
	s_cbranch_scc0 .LBB606_7
; %bb.2:
	v_cndmask_b32_e64 v1, 0, 1, s52
	s_and_b32 s2, s48, 1
	s_delay_alu instid0(VALU_DEP_1) | instid1(SALU_CYCLE_1)
	v_cmp_ne_u32_e32 vcc_lo, s2, v1
	s_mov_b32 s2, -1
	s_cbranch_vccnz .LBB606_4
; %bb.3:
	s_mov_b64 s[2:3], src_shared_base
	v_dual_mov_b32 v31, v0 :: v_dual_mov_b32 v40, v0
	v_dual_mov_b32 v0, s36 :: v_dual_mov_b32 v1, s37
	;; [unrolled: 1-line block ×7, first 2 shown]
	s_wait_alu 0xfffe
	v_dual_mov_b32 v12, 0 :: v_dual_mov_b32 v13, s3
	s_add_nc_u64 s[8:9], s[0:1], 0x60
	s_getpc_b64 s[4:5]
	s_sext_i32_i16 s5, s5
	s_add_co_u32 s4, s4, _ZN7rocprim17ROCPRIM_400000_NS6detail40segmented_radix_sort_single_block_helperIilLj256ELj16ELb0EE4sortIPKiPiPKlPlEEbT_T0_T1_T2_jjjjRNS3_12storage_typeE@rel32@lo+8
	s_add_co_ci_u32 s5, s5, _ZN7rocprim17ROCPRIM_400000_NS6detail40segmented_radix_sort_single_block_helperIilLj256ELj16ELb0EE4sortIPKiPiPKlPlEEbT_T0_T1_T2_jjjjRNS3_12storage_typeE@rel32@hi+16
	s_mov_b64 s[22:23], s[0:1]
	s_swappc_b64 s[30:31], s[4:5]
	v_mov_b32_e32 v0, v40
	s_mov_b64 s[0:1], s[22:23]
	s_mov_b32 s2, 0
.LBB606_4:
	s_wait_alu 0xfffe
	s_and_not1_b32 vcc_lo, exec_lo, s2
	s_wait_alu 0xfffe
	s_cbranch_vccnz .LBB606_6
; %bb.5:
	s_mov_b64 s[2:3], src_shared_base
	v_dual_mov_b32 v31, v0 :: v_dual_mov_b32 v40, v0
	v_dual_mov_b32 v0, s36 :: v_dual_mov_b32 v1, s37
	;; [unrolled: 1-line block ×7, first 2 shown]
	s_wait_alu 0xfffe
	v_dual_mov_b32 v12, 0 :: v_dual_mov_b32 v13, s3
	s_add_nc_u64 s[8:9], s[0:1], 0x60
	s_getpc_b64 s[4:5]
	s_wait_alu 0xfffe
	s_sext_i32_i16 s5, s5
	s_add_co_u32 s4, s4, _ZN7rocprim17ROCPRIM_400000_NS6detail40segmented_radix_sort_single_block_helperIilLj256ELj16ELb0EE4sortIPKiPiPKlPlEEbT_T0_T1_T2_jjjjRNS3_12storage_typeE@rel32@lo+12
	s_wait_alu 0xfffe
	s_add_co_ci_u32 s5, s5, _ZN7rocprim17ROCPRIM_400000_NS6detail40segmented_radix_sort_single_block_helperIilLj256ELj16ELb0EE4sortIPKiPiPKlPlEEbT_T0_T1_T2_jjjjRNS3_12storage_typeE@rel32@hi+24
	s_mov_b64 s[22:23], s[0:1]
	s_wait_alu 0xfffe
	s_swappc_b64 s[30:31], s[4:5]
	v_mov_b32_e32 v0, v40
	s_mov_b64 s[0:1], s[22:23]
.LBB606_6:
	s_mov_b32 s2, 0
.LBB606_7:
	s_wait_alu 0xfffe
	s_and_not1_b32 vcc_lo, exec_lo, s2
	s_wait_alu 0xfffe
	s_cbranch_vccnz .LBB606_1182
; %bb.8:
	s_cmp_ge_u32 s49, s50
	s_cbranch_scc1 .LBB606_1182
; %bb.9:
	v_dual_mov_b32 v84, 1 :: v_dual_and_b32 v1, 0x3ff, v0
	v_dual_mov_b32 v3, 0 :: v_dual_and_b32 v2, 3, v0
	v_lshrrev_b32_e32 v4, 3, v0
	s_delay_alu instid0(VALU_DEP_3)
	v_lshlrev_b32_e32 v44, 2, v1
	v_mbcnt_lo_u32_b32 v81, -1, 0
	v_or_b32_e32 v45, 0x100, v1
	v_lshlrev_b32_e32 v62, 2, v2
	v_or_b32_e32 v2, 31, v1
	v_and_b32_e32 v63, 28, v4
	v_lshlrev_b32_e32 v4, 4, v1
	v_mad_u32_u24 v64, v1, 12, v44
	v_lshlrev_b32_e32 v91, 3, v81
	v_cmp_eq_u32_e64 s3, v1, v2
	v_lshlrev_b32_e32 v2, 5, v1
	v_and_b32_e32 v4, 0xe00, v4
	v_mad_u32_u24 v67, v1, 20, v64
	v_lshlrev_b32_e32 v107, 2, v81
	v_add_co_u32 v48, s2, s40, v44
	s_delay_alu instid0(VALU_DEP_4) | instskip(NEXT) | instid1(VALU_DEP_4)
	v_lshlrev_b32_e32 v5, 2, v4
	v_sub_nc_u32_e32 v70, v67, v2
	v_lshlrev_b32_e32 v2, 3, v4
	v_or_b32_e32 v88, v81, v4
	v_or_b32_e32 v46, 0x200, v1
	;; [unrolled: 1-line block ×3, first 2 shown]
	s_wait_alu 0xf1ff
	v_add_co_ci_u32_e64 v49, null, s41, 0, s2
	v_add_co_u32 v6, s8, s46, v2
	s_wait_alu 0xf1ff
	v_add_co_ci_u32_e64 v7, null, s47, 0, s8
	v_add_co_u32 v8, s8, s40, v5
	;; [unrolled: 3-line block ×7, first 2 shown]
	v_add_co_u32 v109, vcc_lo, v6, v91
	s_wait_alu 0xf1ff
	v_add_co_ci_u32_e64 v80, null, s43, 0, s8
	v_add_co_u32 v82, s8, s36, v5
	s_wait_alu 0xfffd
	v_add_co_ci_u32_e64 v110, null, 0, v7, vcc_lo
	v_add_co_u32 v111, vcc_lo, v8, v107
	v_or_b32_e32 v50, 0x400, v1
	v_or_b32_e32 v51, 0x500, v1
	;; [unrolled: 1-line block ×12, first 2 shown]
	v_cmp_gt_u32_e64 s2, 0x100, v1
	v_or_b32_e32 v65, 0x8400, v63
	v_cmp_gt_u32_e64 s4, 8, v1
	v_add_nc_u32_e32 v66, 0x8400, v44
	v_cmp_lt_u32_e64 s5, 31, v1
	v_add_nc_u32_e32 v68, 0x83fc, v63
	v_bfe_u32 v69, v0, 20, 10
	v_bfe_u32 v0, v0, 10, 10
	v_cmp_eq_u32_e64 s6, 0, v1
	v_cmp_ne_u32_e64 s7, 0xff, v1
	s_wait_alu 0xf1ff
	v_add_co_ci_u32_e64 v83, null, s37, 0, s8
	v_and_b32_e32 v85, 15, v81
	v_bfe_i32 v86, v81, 4, 1
	v_and_b32_e32 v87, 16, v81
	v_and_b32_e32 v89, 7, v81
	v_sub_co_u32 v90, s8, v81, 1
	v_or_b32_e32 v92, 32, v88
	v_or_b32_e32 v93, 64, v88
	;; [unrolled: 1-line block ×15, first 2 shown]
	v_lshlrev_b32_e32 v108, 2, v1
	s_wait_alu 0xfffd
	v_add_co_ci_u32_e64 v112, null, 0, v9, vcc_lo
	s_add_nc_u64 s[34:35], s[0:1], 0x60
	s_mov_b32 s43, 0
	s_mov_b32 s31, s49
	s_branch .LBB606_12
.LBB606_10:                             ;   in Loop: Header=BB606_12 Depth=1
	s_wait_loadcnt_dscnt 0x0
	s_barrier_signal -1
	s_barrier_wait -1
.LBB606_11:                             ;   in Loop: Header=BB606_12 Depth=1
	s_add_co_i32 s31, s31, 8
	global_inv scope:SCOPE_SE
	s_wait_alu 0xfffe
	s_cmp_ge_u32 s31, s50
	s_cbranch_scc1 .LBB606_1182
.LBB606_12:                             ; =>This Loop Header: Depth=1
                                        ;     Child Loop BB606_16 Depth 2
                                        ;     Child Loop BB606_96 Depth 2
	;; [unrolled: 1-line block ×8, first 2 shown]
	s_wait_alu 0xfffe
	s_sub_co_i32 s0, s50, s31
	s_xor_b32 s52, s52, -1
	s_wait_alu 0xfffe
	s_min_u32 s0, s0, 8
	ds_store_2addr_stride64_b32 v44, v3, v3 offset1:4
	s_wait_alu 0xfffe
	s_lshl_b32 s0, -1, s0
	ds_store_2addr_stride64_b32 v44, v3, v3 offset0:8 offset1:12
	s_wait_alu 0xfffe
	s_not_b32 s48, s0
	s_cmp_lg_u32 s31, s49
	s_mov_b32 s0, -1
	s_wait_storecnt_dscnt 0x0
	s_cbranch_scc0 .LBB606_598
; %bb.13:                               ;   in Loop: Header=BB606_12 Depth=1
	s_and_b32 vcc_lo, exec_lo, s52
	s_wait_alu 0xfffe
	s_cbranch_vccz .LBB606_305
; %bb.14:                               ;   in Loop: Header=BB606_12 Depth=1
	s_mov_b32 s9, s53
	s_mov_b32 s42, s33
	s_barrier_signal -1
	s_barrier_wait -1
	global_inv scope:SCOPE_SE
                                        ; implicit-def: $vgpr2
                                        ; implicit-def: $vgpr4
                                        ; implicit-def: $vgpr5
                                        ; implicit-def: $vgpr6
                                        ; implicit-def: $vgpr7
                                        ; implicit-def: $vgpr8
                                        ; implicit-def: $vgpr9
                                        ; implicit-def: $vgpr10
                                        ; implicit-def: $vgpr11
                                        ; implicit-def: $vgpr12
                                        ; implicit-def: $vgpr13
                                        ; implicit-def: $vgpr14
                                        ; implicit-def: $vgpr15
                                        ; implicit-def: $vgpr16
                                        ; implicit-def: $vgpr17
                                        ; implicit-def: $vgpr18
	s_branch .LBB606_16
.LBB606_15:                             ;   in Loop: Header=BB606_16 Depth=2
	s_wait_alu 0xfffe
	s_or_b32 exec_lo, exec_lo, s0
	s_addk_co_i32 s9, 0xf000
	s_cmp_ge_u32 s10, s51
	s_mov_b32 s42, s10
	s_cbranch_scc1 .LBB606_84
.LBB606_16:                             ;   Parent Loop BB606_12 Depth=1
                                        ; =>  This Inner Loop Header: Depth=2
	s_wait_alu 0xfffe
	s_add_co_i32 s10, s42, 0x1000
	s_mov_b32 s0, -1
	s_wait_alu 0xfffe
	s_cmp_gt_u32 s10, s51
                                        ; implicit-def: $vgpr19
                                        ; implicit-def: $vgpr20
                                        ; implicit-def: $vgpr21
                                        ; implicit-def: $vgpr22
                                        ; implicit-def: $vgpr23
                                        ; implicit-def: $vgpr24
                                        ; implicit-def: $vgpr25
                                        ; implicit-def: $vgpr26
                                        ; implicit-def: $vgpr27
                                        ; implicit-def: $vgpr28
                                        ; implicit-def: $vgpr29
                                        ; implicit-def: $vgpr30
                                        ; implicit-def: $vgpr31
                                        ; implicit-def: $vgpr32
                                        ; implicit-def: $vgpr33
                                        ; implicit-def: $vgpr34
	s_cbranch_scc1 .LBB606_18
; %bb.17:                               ;   in Loop: Header=BB606_16 Depth=2
	s_lshl_b64 s[0:1], s[42:43], 2
	s_wait_alu 0xfffe
	v_add_co_u32 v34, vcc_lo, v48, s0
	s_wait_alu 0xfffd
	v_add_co_ci_u32_e64 v35, null, s1, v49, vcc_lo
	s_mov_b32 s0, 0
	s_clause 0xf
	global_load_b32 v19, v[34:35], off
	global_load_b32 v20, v[34:35], off offset:1024
	global_load_b32 v21, v[34:35], off offset:2048
	;; [unrolled: 1-line block ×15, first 2 shown]
.LBB606_18:                             ;   in Loop: Header=BB606_16 Depth=2
	s_wait_alu 0xfffe
	s_and_not1_b32 vcc_lo, exec_lo, s0
	s_movk_i32 s0, 0x1000
	s_wait_alu 0xfffe
	s_cbranch_vccnz .LBB606_37
; %bb.19:                               ;   in Loop: Header=BB606_16 Depth=2
	s_lshl_b64 s[0:1], s[42:43], 2
	s_mov_b32 s11, exec_lo
	s_wait_alu 0xfffe
	s_add_nc_u64 s[0:1], s[40:41], s[0:1]
	v_cmpx_gt_u32_e64 s9, v1
	s_cbranch_execnz .LBB606_69
; %bb.20:                               ;   in Loop: Header=BB606_16 Depth=2
	s_or_b32 exec_lo, exec_lo, s11
	s_delay_alu instid0(SALU_CYCLE_1)
	s_mov_b32 s11, exec_lo
	v_cmpx_gt_u32_e64 s9, v45
	s_cbranch_execnz .LBB606_70
.LBB606_21:                             ;   in Loop: Header=BB606_16 Depth=2
	s_wait_alu 0xfffe
	s_or_b32 exec_lo, exec_lo, s11
	s_delay_alu instid0(SALU_CYCLE_1)
	s_mov_b32 s11, exec_lo
	v_cmpx_gt_u32_e64 s9, v46
	s_cbranch_execnz .LBB606_71
.LBB606_22:                             ;   in Loop: Header=BB606_16 Depth=2
	s_wait_alu 0xfffe
	s_or_b32 exec_lo, exec_lo, s11
	s_delay_alu instid0(SALU_CYCLE_1)
	s_mov_b32 s11, exec_lo
	v_cmpx_gt_u32_e64 s9, v47
	s_cbranch_execnz .LBB606_72
.LBB606_23:                             ;   in Loop: Header=BB606_16 Depth=2
	s_wait_alu 0xfffe
	s_or_b32 exec_lo, exec_lo, s11
	s_delay_alu instid0(SALU_CYCLE_1)
	s_mov_b32 s11, exec_lo
	v_cmpx_gt_u32_e64 s9, v50
	s_cbranch_execnz .LBB606_73
.LBB606_24:                             ;   in Loop: Header=BB606_16 Depth=2
	s_wait_alu 0xfffe
	s_or_b32 exec_lo, exec_lo, s11
	s_delay_alu instid0(SALU_CYCLE_1)
	s_mov_b32 s11, exec_lo
	v_cmpx_gt_u32_e64 s9, v51
	s_cbranch_execnz .LBB606_74
.LBB606_25:                             ;   in Loop: Header=BB606_16 Depth=2
	s_wait_alu 0xfffe
	s_or_b32 exec_lo, exec_lo, s11
	s_delay_alu instid0(SALU_CYCLE_1)
	s_mov_b32 s11, exec_lo
	v_cmpx_gt_u32_e64 s9, v52
	s_cbranch_execnz .LBB606_75
.LBB606_26:                             ;   in Loop: Header=BB606_16 Depth=2
	s_wait_alu 0xfffe
	s_or_b32 exec_lo, exec_lo, s11
	s_delay_alu instid0(SALU_CYCLE_1)
	s_mov_b32 s11, exec_lo
	v_cmpx_gt_u32_e64 s9, v53
	s_cbranch_execnz .LBB606_76
.LBB606_27:                             ;   in Loop: Header=BB606_16 Depth=2
	s_wait_alu 0xfffe
	s_or_b32 exec_lo, exec_lo, s11
	s_delay_alu instid0(SALU_CYCLE_1)
	s_mov_b32 s11, exec_lo
	v_cmpx_gt_u32_e64 s9, v54
	s_cbranch_execnz .LBB606_77
.LBB606_28:                             ;   in Loop: Header=BB606_16 Depth=2
	s_wait_alu 0xfffe
	s_or_b32 exec_lo, exec_lo, s11
	s_delay_alu instid0(SALU_CYCLE_1)
	s_mov_b32 s11, exec_lo
	v_cmpx_gt_u32_e64 s9, v55
	s_cbranch_execnz .LBB606_78
.LBB606_29:                             ;   in Loop: Header=BB606_16 Depth=2
	s_wait_alu 0xfffe
	s_or_b32 exec_lo, exec_lo, s11
	s_delay_alu instid0(SALU_CYCLE_1)
	s_mov_b32 s11, exec_lo
	v_cmpx_gt_u32_e64 s9, v56
	s_cbranch_execnz .LBB606_79
.LBB606_30:                             ;   in Loop: Header=BB606_16 Depth=2
	s_wait_alu 0xfffe
	s_or_b32 exec_lo, exec_lo, s11
	s_delay_alu instid0(SALU_CYCLE_1)
	s_mov_b32 s11, exec_lo
	v_cmpx_gt_u32_e64 s9, v57
	s_cbranch_execnz .LBB606_80
.LBB606_31:                             ;   in Loop: Header=BB606_16 Depth=2
	s_wait_alu 0xfffe
	s_or_b32 exec_lo, exec_lo, s11
	s_delay_alu instid0(SALU_CYCLE_1)
	s_mov_b32 s11, exec_lo
	v_cmpx_gt_u32_e64 s9, v58
	s_cbranch_execnz .LBB606_81
.LBB606_32:                             ;   in Loop: Header=BB606_16 Depth=2
	s_wait_alu 0xfffe
	s_or_b32 exec_lo, exec_lo, s11
	s_delay_alu instid0(SALU_CYCLE_1)
	s_mov_b32 s11, exec_lo
	v_cmpx_gt_u32_e64 s9, v59
	s_cbranch_execnz .LBB606_82
.LBB606_33:                             ;   in Loop: Header=BB606_16 Depth=2
	s_wait_alu 0xfffe
	s_or_b32 exec_lo, exec_lo, s11
	s_delay_alu instid0(SALU_CYCLE_1)
	s_mov_b32 s11, exec_lo
	v_cmpx_gt_u32_e64 s9, v60
	s_cbranch_execnz .LBB606_83
.LBB606_34:                             ;   in Loop: Header=BB606_16 Depth=2
	s_wait_alu 0xfffe
	s_or_b32 exec_lo, exec_lo, s11
	s_delay_alu instid0(SALU_CYCLE_1)
	s_mov_b32 s11, exec_lo
	v_cmpx_gt_u32_e64 s9, v61
	s_cbranch_execz .LBB606_36
.LBB606_35:                             ;   in Loop: Header=BB606_16 Depth=2
	global_load_b32 v2, v108, s[0:1] offset:15360
.LBB606_36:                             ;   in Loop: Header=BB606_16 Depth=2
	s_wait_alu 0xfffe
	s_or_b32 exec_lo, exec_lo, s11
	s_wait_loadcnt 0x0
	v_dual_mov_b32 v19, v18 :: v_dual_mov_b32 v20, v17
	v_dual_mov_b32 v21, v16 :: v_dual_mov_b32 v22, v15
	;; [unrolled: 1-line block ×8, first 2 shown]
	s_mov_b32 s0, s9
.LBB606_37:                             ;   in Loop: Header=BB606_16 Depth=2
	s_wait_loadcnt 0x0
	s_delay_alu instid0(VALU_DEP_1) | instskip(NEXT) | instid1(VALU_DEP_2)
	v_dual_mov_b32 v2, v34 :: v_dual_mov_b32 v5, v32
	v_dual_mov_b32 v4, v33 :: v_dual_mov_b32 v7, v30
	;; [unrolled: 1-line block ×7, first 2 shown]
	v_mov_b32_e32 v16, v21
	v_mov_b32_e32 v18, v19
	s_mov_b32 s1, exec_lo
	s_wait_alu 0xfffe
	v_cmpx_gt_u32_e64 s0, v1
	s_cbranch_execnz .LBB606_53
; %bb.38:                               ;   in Loop: Header=BB606_16 Depth=2
	s_or_b32 exec_lo, exec_lo, s1
	s_delay_alu instid0(SALU_CYCLE_1)
	s_mov_b32 s1, exec_lo
	v_cmpx_gt_u32_e64 s0, v45
	s_cbranch_execnz .LBB606_54
.LBB606_39:                             ;   in Loop: Header=BB606_16 Depth=2
	s_wait_alu 0xfffe
	s_or_b32 exec_lo, exec_lo, s1
	s_delay_alu instid0(SALU_CYCLE_1)
	s_mov_b32 s1, exec_lo
	v_cmpx_gt_u32_e64 s0, v46
	s_cbranch_execnz .LBB606_55
.LBB606_40:                             ;   in Loop: Header=BB606_16 Depth=2
	s_wait_alu 0xfffe
	s_or_b32 exec_lo, exec_lo, s1
	s_delay_alu instid0(SALU_CYCLE_1)
	s_mov_b32 s1, exec_lo
	v_cmpx_gt_u32_e64 s0, v47
	s_cbranch_execnz .LBB606_56
.LBB606_41:                             ;   in Loop: Header=BB606_16 Depth=2
	s_wait_alu 0xfffe
	s_or_b32 exec_lo, exec_lo, s1
	s_delay_alu instid0(SALU_CYCLE_1)
	s_mov_b32 s1, exec_lo
	v_cmpx_gt_u32_e64 s0, v50
	s_cbranch_execnz .LBB606_57
.LBB606_42:                             ;   in Loop: Header=BB606_16 Depth=2
	s_wait_alu 0xfffe
	s_or_b32 exec_lo, exec_lo, s1
	s_delay_alu instid0(SALU_CYCLE_1)
	s_mov_b32 s1, exec_lo
	v_cmpx_gt_u32_e64 s0, v51
	s_cbranch_execnz .LBB606_58
.LBB606_43:                             ;   in Loop: Header=BB606_16 Depth=2
	s_wait_alu 0xfffe
	s_or_b32 exec_lo, exec_lo, s1
	s_delay_alu instid0(SALU_CYCLE_1)
	s_mov_b32 s1, exec_lo
	v_cmpx_gt_u32_e64 s0, v52
	s_cbranch_execnz .LBB606_59
.LBB606_44:                             ;   in Loop: Header=BB606_16 Depth=2
	s_wait_alu 0xfffe
	s_or_b32 exec_lo, exec_lo, s1
	s_delay_alu instid0(SALU_CYCLE_1)
	s_mov_b32 s1, exec_lo
	v_cmpx_gt_u32_e64 s0, v53
	s_cbranch_execnz .LBB606_60
.LBB606_45:                             ;   in Loop: Header=BB606_16 Depth=2
	s_wait_alu 0xfffe
	s_or_b32 exec_lo, exec_lo, s1
	s_delay_alu instid0(SALU_CYCLE_1)
	s_mov_b32 s1, exec_lo
	v_cmpx_gt_u32_e64 s0, v54
	s_cbranch_execnz .LBB606_61
.LBB606_46:                             ;   in Loop: Header=BB606_16 Depth=2
	s_wait_alu 0xfffe
	s_or_b32 exec_lo, exec_lo, s1
	s_delay_alu instid0(SALU_CYCLE_1)
	s_mov_b32 s1, exec_lo
	v_cmpx_gt_u32_e64 s0, v55
	s_cbranch_execnz .LBB606_62
.LBB606_47:                             ;   in Loop: Header=BB606_16 Depth=2
	s_wait_alu 0xfffe
	s_or_b32 exec_lo, exec_lo, s1
	s_delay_alu instid0(SALU_CYCLE_1)
	s_mov_b32 s1, exec_lo
	v_cmpx_gt_u32_e64 s0, v56
	s_cbranch_execnz .LBB606_63
.LBB606_48:                             ;   in Loop: Header=BB606_16 Depth=2
	s_wait_alu 0xfffe
	s_or_b32 exec_lo, exec_lo, s1
	s_delay_alu instid0(SALU_CYCLE_1)
	s_mov_b32 s1, exec_lo
	v_cmpx_gt_u32_e64 s0, v57
	s_cbranch_execnz .LBB606_64
.LBB606_49:                             ;   in Loop: Header=BB606_16 Depth=2
	s_wait_alu 0xfffe
	s_or_b32 exec_lo, exec_lo, s1
	s_delay_alu instid0(SALU_CYCLE_1)
	s_mov_b32 s1, exec_lo
	v_cmpx_gt_u32_e64 s0, v58
	s_cbranch_execnz .LBB606_65
.LBB606_50:                             ;   in Loop: Header=BB606_16 Depth=2
	s_wait_alu 0xfffe
	s_or_b32 exec_lo, exec_lo, s1
	s_delay_alu instid0(SALU_CYCLE_1)
	s_mov_b32 s1, exec_lo
	v_cmpx_gt_u32_e64 s0, v59
	s_cbranch_execnz .LBB606_66
.LBB606_51:                             ;   in Loop: Header=BB606_16 Depth=2
	s_wait_alu 0xfffe
	s_or_b32 exec_lo, exec_lo, s1
	s_delay_alu instid0(SALU_CYCLE_1)
	s_mov_b32 s1, exec_lo
	v_cmpx_gt_u32_e64 s0, v60
	s_cbranch_execnz .LBB606_67
.LBB606_52:                             ;   in Loop: Header=BB606_16 Depth=2
	s_wait_alu 0xfffe
	s_or_b32 exec_lo, exec_lo, s1
	v_cmp_gt_u32_e32 vcc_lo, s0, v61
	s_and_saveexec_b32 s0, vcc_lo
	s_cbranch_execz .LBB606_15
	s_branch .LBB606_68
.LBB606_53:                             ;   in Loop: Header=BB606_16 Depth=2
	v_xor_b32_e32 v19, 0x80000000, v18
	s_delay_alu instid0(VALU_DEP_1) | instskip(NEXT) | instid1(VALU_DEP_1)
	v_lshrrev_b32_e32 v19, s31, v19
	v_and_b32_e32 v19, s48, v19
	s_delay_alu instid0(VALU_DEP_1) | instskip(SKIP_2) | instid1(SALU_CYCLE_1)
	v_lshl_or_b32 v19, v19, 4, v62
	ds_add_u32 v19, v84
	s_or_b32 exec_lo, exec_lo, s1
	s_mov_b32 s1, exec_lo
	v_cmpx_gt_u32_e64 s0, v45
	s_cbranch_execz .LBB606_39
.LBB606_54:                             ;   in Loop: Header=BB606_16 Depth=2
	v_xor_b32_e32 v19, 0x80000000, v17
	s_delay_alu instid0(VALU_DEP_1) | instskip(NEXT) | instid1(VALU_DEP_1)
	v_lshrrev_b32_e32 v19, s31, v19
	v_and_b32_e32 v19, s48, v19
	s_delay_alu instid0(VALU_DEP_1) | instskip(SKIP_3) | instid1(SALU_CYCLE_1)
	v_lshl_or_b32 v19, v19, 4, v62
	ds_add_u32 v19, v84
	s_wait_alu 0xfffe
	s_or_b32 exec_lo, exec_lo, s1
	s_mov_b32 s1, exec_lo
	v_cmpx_gt_u32_e64 s0, v46
	s_cbranch_execz .LBB606_40
.LBB606_55:                             ;   in Loop: Header=BB606_16 Depth=2
	v_xor_b32_e32 v19, 0x80000000, v16
	s_delay_alu instid0(VALU_DEP_1) | instskip(NEXT) | instid1(VALU_DEP_1)
	v_lshrrev_b32_e32 v19, s31, v19
	v_and_b32_e32 v19, s48, v19
	s_delay_alu instid0(VALU_DEP_1) | instskip(SKIP_3) | instid1(SALU_CYCLE_1)
	v_lshl_or_b32 v19, v19, 4, v62
	ds_add_u32 v19, v84
	s_wait_alu 0xfffe
	s_or_b32 exec_lo, exec_lo, s1
	s_mov_b32 s1, exec_lo
	v_cmpx_gt_u32_e64 s0, v47
	s_cbranch_execz .LBB606_41
.LBB606_56:                             ;   in Loop: Header=BB606_16 Depth=2
	v_xor_b32_e32 v19, 0x80000000, v15
	s_delay_alu instid0(VALU_DEP_1) | instskip(NEXT) | instid1(VALU_DEP_1)
	v_lshrrev_b32_e32 v19, s31, v19
	v_and_b32_e32 v19, s48, v19
	s_delay_alu instid0(VALU_DEP_1) | instskip(SKIP_3) | instid1(SALU_CYCLE_1)
	v_lshl_or_b32 v19, v19, 4, v62
	ds_add_u32 v19, v84
	s_wait_alu 0xfffe
	s_or_b32 exec_lo, exec_lo, s1
	s_mov_b32 s1, exec_lo
	v_cmpx_gt_u32_e64 s0, v50
	s_cbranch_execz .LBB606_42
.LBB606_57:                             ;   in Loop: Header=BB606_16 Depth=2
	v_xor_b32_e32 v19, 0x80000000, v14
	s_delay_alu instid0(VALU_DEP_1) | instskip(NEXT) | instid1(VALU_DEP_1)
	v_lshrrev_b32_e32 v19, s31, v19
	v_and_b32_e32 v19, s48, v19
	s_delay_alu instid0(VALU_DEP_1) | instskip(SKIP_3) | instid1(SALU_CYCLE_1)
	v_lshl_or_b32 v19, v19, 4, v62
	ds_add_u32 v19, v84
	s_wait_alu 0xfffe
	s_or_b32 exec_lo, exec_lo, s1
	s_mov_b32 s1, exec_lo
	v_cmpx_gt_u32_e64 s0, v51
	s_cbranch_execz .LBB606_43
.LBB606_58:                             ;   in Loop: Header=BB606_16 Depth=2
	v_xor_b32_e32 v19, 0x80000000, v13
	s_delay_alu instid0(VALU_DEP_1) | instskip(NEXT) | instid1(VALU_DEP_1)
	v_lshrrev_b32_e32 v19, s31, v19
	v_and_b32_e32 v19, s48, v19
	s_delay_alu instid0(VALU_DEP_1) | instskip(SKIP_3) | instid1(SALU_CYCLE_1)
	v_lshl_or_b32 v19, v19, 4, v62
	ds_add_u32 v19, v84
	s_wait_alu 0xfffe
	s_or_b32 exec_lo, exec_lo, s1
	s_mov_b32 s1, exec_lo
	v_cmpx_gt_u32_e64 s0, v52
	s_cbranch_execz .LBB606_44
.LBB606_59:                             ;   in Loop: Header=BB606_16 Depth=2
	v_xor_b32_e32 v19, 0x80000000, v12
	s_delay_alu instid0(VALU_DEP_1) | instskip(NEXT) | instid1(VALU_DEP_1)
	v_lshrrev_b32_e32 v19, s31, v19
	v_and_b32_e32 v19, s48, v19
	s_delay_alu instid0(VALU_DEP_1) | instskip(SKIP_3) | instid1(SALU_CYCLE_1)
	v_lshl_or_b32 v19, v19, 4, v62
	ds_add_u32 v19, v84
	s_wait_alu 0xfffe
	s_or_b32 exec_lo, exec_lo, s1
	s_mov_b32 s1, exec_lo
	v_cmpx_gt_u32_e64 s0, v53
	s_cbranch_execz .LBB606_45
.LBB606_60:                             ;   in Loop: Header=BB606_16 Depth=2
	v_xor_b32_e32 v19, 0x80000000, v11
	s_delay_alu instid0(VALU_DEP_1) | instskip(NEXT) | instid1(VALU_DEP_1)
	v_lshrrev_b32_e32 v19, s31, v19
	v_and_b32_e32 v19, s48, v19
	s_delay_alu instid0(VALU_DEP_1) | instskip(SKIP_3) | instid1(SALU_CYCLE_1)
	v_lshl_or_b32 v19, v19, 4, v62
	ds_add_u32 v19, v84
	s_wait_alu 0xfffe
	s_or_b32 exec_lo, exec_lo, s1
	s_mov_b32 s1, exec_lo
	v_cmpx_gt_u32_e64 s0, v54
	s_cbranch_execz .LBB606_46
.LBB606_61:                             ;   in Loop: Header=BB606_16 Depth=2
	v_xor_b32_e32 v19, 0x80000000, v10
	s_delay_alu instid0(VALU_DEP_1) | instskip(NEXT) | instid1(VALU_DEP_1)
	v_lshrrev_b32_e32 v19, s31, v19
	v_and_b32_e32 v19, s48, v19
	s_delay_alu instid0(VALU_DEP_1) | instskip(SKIP_3) | instid1(SALU_CYCLE_1)
	v_lshl_or_b32 v19, v19, 4, v62
	ds_add_u32 v19, v84
	s_wait_alu 0xfffe
	s_or_b32 exec_lo, exec_lo, s1
	s_mov_b32 s1, exec_lo
	v_cmpx_gt_u32_e64 s0, v55
	s_cbranch_execz .LBB606_47
.LBB606_62:                             ;   in Loop: Header=BB606_16 Depth=2
	v_xor_b32_e32 v19, 0x80000000, v9
	s_delay_alu instid0(VALU_DEP_1) | instskip(NEXT) | instid1(VALU_DEP_1)
	v_lshrrev_b32_e32 v19, s31, v19
	v_and_b32_e32 v19, s48, v19
	s_delay_alu instid0(VALU_DEP_1) | instskip(SKIP_3) | instid1(SALU_CYCLE_1)
	v_lshl_or_b32 v19, v19, 4, v62
	ds_add_u32 v19, v84
	s_wait_alu 0xfffe
	s_or_b32 exec_lo, exec_lo, s1
	s_mov_b32 s1, exec_lo
	v_cmpx_gt_u32_e64 s0, v56
	s_cbranch_execz .LBB606_48
.LBB606_63:                             ;   in Loop: Header=BB606_16 Depth=2
	v_xor_b32_e32 v19, 0x80000000, v8
	s_delay_alu instid0(VALU_DEP_1) | instskip(NEXT) | instid1(VALU_DEP_1)
	v_lshrrev_b32_e32 v19, s31, v19
	v_and_b32_e32 v19, s48, v19
	s_delay_alu instid0(VALU_DEP_1) | instskip(SKIP_3) | instid1(SALU_CYCLE_1)
	v_lshl_or_b32 v19, v19, 4, v62
	ds_add_u32 v19, v84
	s_wait_alu 0xfffe
	s_or_b32 exec_lo, exec_lo, s1
	s_mov_b32 s1, exec_lo
	v_cmpx_gt_u32_e64 s0, v57
	s_cbranch_execz .LBB606_49
.LBB606_64:                             ;   in Loop: Header=BB606_16 Depth=2
	v_xor_b32_e32 v19, 0x80000000, v7
	s_delay_alu instid0(VALU_DEP_1) | instskip(NEXT) | instid1(VALU_DEP_1)
	v_lshrrev_b32_e32 v19, s31, v19
	v_and_b32_e32 v19, s48, v19
	s_delay_alu instid0(VALU_DEP_1) | instskip(SKIP_3) | instid1(SALU_CYCLE_1)
	v_lshl_or_b32 v19, v19, 4, v62
	ds_add_u32 v19, v84
	s_wait_alu 0xfffe
	s_or_b32 exec_lo, exec_lo, s1
	s_mov_b32 s1, exec_lo
	v_cmpx_gt_u32_e64 s0, v58
	s_cbranch_execz .LBB606_50
.LBB606_65:                             ;   in Loop: Header=BB606_16 Depth=2
	v_xor_b32_e32 v19, 0x80000000, v6
	s_delay_alu instid0(VALU_DEP_1) | instskip(NEXT) | instid1(VALU_DEP_1)
	v_lshrrev_b32_e32 v19, s31, v19
	v_and_b32_e32 v19, s48, v19
	s_delay_alu instid0(VALU_DEP_1) | instskip(SKIP_3) | instid1(SALU_CYCLE_1)
	v_lshl_or_b32 v19, v19, 4, v62
	ds_add_u32 v19, v84
	s_wait_alu 0xfffe
	s_or_b32 exec_lo, exec_lo, s1
	s_mov_b32 s1, exec_lo
	v_cmpx_gt_u32_e64 s0, v59
	s_cbranch_execz .LBB606_51
.LBB606_66:                             ;   in Loop: Header=BB606_16 Depth=2
	v_xor_b32_e32 v19, 0x80000000, v5
	s_delay_alu instid0(VALU_DEP_1) | instskip(NEXT) | instid1(VALU_DEP_1)
	v_lshrrev_b32_e32 v19, s31, v19
	v_and_b32_e32 v19, s48, v19
	s_delay_alu instid0(VALU_DEP_1) | instskip(SKIP_3) | instid1(SALU_CYCLE_1)
	v_lshl_or_b32 v19, v19, 4, v62
	ds_add_u32 v19, v84
	s_wait_alu 0xfffe
	s_or_b32 exec_lo, exec_lo, s1
	s_mov_b32 s1, exec_lo
	v_cmpx_gt_u32_e64 s0, v60
	s_cbranch_execz .LBB606_52
.LBB606_67:                             ;   in Loop: Header=BB606_16 Depth=2
	v_xor_b32_e32 v19, 0x80000000, v4
	s_delay_alu instid0(VALU_DEP_1) | instskip(NEXT) | instid1(VALU_DEP_1)
	v_lshrrev_b32_e32 v19, s31, v19
	v_and_b32_e32 v19, s48, v19
	s_delay_alu instid0(VALU_DEP_1)
	v_lshl_or_b32 v19, v19, 4, v62
	ds_add_u32 v19, v84
	s_wait_alu 0xfffe
	s_or_b32 exec_lo, exec_lo, s1
	v_cmp_gt_u32_e32 vcc_lo, s0, v61
	s_and_saveexec_b32 s0, vcc_lo
	s_cbranch_execz .LBB606_15
.LBB606_68:                             ;   in Loop: Header=BB606_16 Depth=2
	v_xor_b32_e32 v19, 0x80000000, v2
	s_delay_alu instid0(VALU_DEP_1) | instskip(NEXT) | instid1(VALU_DEP_1)
	v_lshrrev_b32_e32 v19, s31, v19
	v_and_b32_e32 v19, s48, v19
	s_delay_alu instid0(VALU_DEP_1)
	v_lshl_or_b32 v19, v19, 4, v62
	ds_add_u32 v19, v84
	s_branch .LBB606_15
.LBB606_69:                             ;   in Loop: Header=BB606_16 Depth=2
	global_load_b32 v18, v108, s[0:1]
	s_or_b32 exec_lo, exec_lo, s11
	s_delay_alu instid0(SALU_CYCLE_1)
	s_mov_b32 s11, exec_lo
	v_cmpx_gt_u32_e64 s9, v45
	s_cbranch_execz .LBB606_21
.LBB606_70:                             ;   in Loop: Header=BB606_16 Depth=2
	global_load_b32 v17, v108, s[0:1] offset:1024
	s_wait_alu 0xfffe
	s_or_b32 exec_lo, exec_lo, s11
	s_delay_alu instid0(SALU_CYCLE_1)
	s_mov_b32 s11, exec_lo
	v_cmpx_gt_u32_e64 s9, v46
	s_cbranch_execz .LBB606_22
.LBB606_71:                             ;   in Loop: Header=BB606_16 Depth=2
	global_load_b32 v16, v108, s[0:1] offset:2048
	s_wait_alu 0xfffe
	s_or_b32 exec_lo, exec_lo, s11
	s_delay_alu instid0(SALU_CYCLE_1)
	s_mov_b32 s11, exec_lo
	v_cmpx_gt_u32_e64 s9, v47
	s_cbranch_execz .LBB606_23
.LBB606_72:                             ;   in Loop: Header=BB606_16 Depth=2
	global_load_b32 v15, v108, s[0:1] offset:3072
	s_wait_alu 0xfffe
	s_or_b32 exec_lo, exec_lo, s11
	s_delay_alu instid0(SALU_CYCLE_1)
	s_mov_b32 s11, exec_lo
	v_cmpx_gt_u32_e64 s9, v50
	s_cbranch_execz .LBB606_24
.LBB606_73:                             ;   in Loop: Header=BB606_16 Depth=2
	global_load_b32 v14, v108, s[0:1] offset:4096
	s_wait_alu 0xfffe
	s_or_b32 exec_lo, exec_lo, s11
	s_delay_alu instid0(SALU_CYCLE_1)
	s_mov_b32 s11, exec_lo
	v_cmpx_gt_u32_e64 s9, v51
	s_cbranch_execz .LBB606_25
.LBB606_74:                             ;   in Loop: Header=BB606_16 Depth=2
	global_load_b32 v13, v108, s[0:1] offset:5120
	s_wait_alu 0xfffe
	s_or_b32 exec_lo, exec_lo, s11
	s_delay_alu instid0(SALU_CYCLE_1)
	s_mov_b32 s11, exec_lo
	v_cmpx_gt_u32_e64 s9, v52
	s_cbranch_execz .LBB606_26
.LBB606_75:                             ;   in Loop: Header=BB606_16 Depth=2
	global_load_b32 v12, v108, s[0:1] offset:6144
	s_wait_alu 0xfffe
	s_or_b32 exec_lo, exec_lo, s11
	s_delay_alu instid0(SALU_CYCLE_1)
	s_mov_b32 s11, exec_lo
	v_cmpx_gt_u32_e64 s9, v53
	s_cbranch_execz .LBB606_27
.LBB606_76:                             ;   in Loop: Header=BB606_16 Depth=2
	global_load_b32 v11, v108, s[0:1] offset:7168
	s_wait_alu 0xfffe
	s_or_b32 exec_lo, exec_lo, s11
	s_delay_alu instid0(SALU_CYCLE_1)
	s_mov_b32 s11, exec_lo
	v_cmpx_gt_u32_e64 s9, v54
	s_cbranch_execz .LBB606_28
.LBB606_77:                             ;   in Loop: Header=BB606_16 Depth=2
	global_load_b32 v10, v108, s[0:1] offset:8192
	s_wait_alu 0xfffe
	s_or_b32 exec_lo, exec_lo, s11
	s_delay_alu instid0(SALU_CYCLE_1)
	s_mov_b32 s11, exec_lo
	v_cmpx_gt_u32_e64 s9, v55
	s_cbranch_execz .LBB606_29
.LBB606_78:                             ;   in Loop: Header=BB606_16 Depth=2
	global_load_b32 v9, v108, s[0:1] offset:9216
	s_wait_alu 0xfffe
	s_or_b32 exec_lo, exec_lo, s11
	s_delay_alu instid0(SALU_CYCLE_1)
	s_mov_b32 s11, exec_lo
	v_cmpx_gt_u32_e64 s9, v56
	s_cbranch_execz .LBB606_30
.LBB606_79:                             ;   in Loop: Header=BB606_16 Depth=2
	global_load_b32 v8, v108, s[0:1] offset:10240
	s_wait_alu 0xfffe
	s_or_b32 exec_lo, exec_lo, s11
	s_delay_alu instid0(SALU_CYCLE_1)
	s_mov_b32 s11, exec_lo
	v_cmpx_gt_u32_e64 s9, v57
	s_cbranch_execz .LBB606_31
.LBB606_80:                             ;   in Loop: Header=BB606_16 Depth=2
	global_load_b32 v7, v108, s[0:1] offset:11264
	s_wait_alu 0xfffe
	s_or_b32 exec_lo, exec_lo, s11
	s_delay_alu instid0(SALU_CYCLE_1)
	s_mov_b32 s11, exec_lo
	v_cmpx_gt_u32_e64 s9, v58
	s_cbranch_execz .LBB606_32
.LBB606_81:                             ;   in Loop: Header=BB606_16 Depth=2
	global_load_b32 v6, v108, s[0:1] offset:12288
	s_wait_alu 0xfffe
	s_or_b32 exec_lo, exec_lo, s11
	s_delay_alu instid0(SALU_CYCLE_1)
	s_mov_b32 s11, exec_lo
	v_cmpx_gt_u32_e64 s9, v59
	s_cbranch_execz .LBB606_33
.LBB606_82:                             ;   in Loop: Header=BB606_16 Depth=2
	global_load_b32 v5, v108, s[0:1] offset:13312
	s_wait_alu 0xfffe
	s_or_b32 exec_lo, exec_lo, s11
	s_delay_alu instid0(SALU_CYCLE_1)
	s_mov_b32 s11, exec_lo
	v_cmpx_gt_u32_e64 s9, v60
	s_cbranch_execz .LBB606_34
.LBB606_83:                             ;   in Loop: Header=BB606_16 Depth=2
	global_load_b32 v4, v108, s[0:1] offset:14336
	s_wait_alu 0xfffe
	s_or_b32 exec_lo, exec_lo, s11
	s_delay_alu instid0(SALU_CYCLE_1)
	s_mov_b32 s11, exec_lo
	v_cmpx_gt_u32_e64 s9, v61
	s_cbranch_execnz .LBB606_35
	s_branch .LBB606_36
.LBB606_84:                             ;   in Loop: Header=BB606_12 Depth=1
	v_mov_b32_e32 v2, 0
	s_wait_dscnt 0x0
	s_barrier_signal -1
	s_barrier_wait -1
	global_inv scope:SCOPE_SE
	s_and_saveexec_b32 s0, s2
	s_cbranch_execz .LBB606_86
; %bb.85:                               ;   in Loop: Header=BB606_12 Depth=1
	ds_load_2addr_b64 v[4:7], v64 offset1:1
	s_wait_dscnt 0x0
	v_add_nc_u32_e32 v2, v5, v4
	s_delay_alu instid0(VALU_DEP_1)
	v_add3_u32 v2, v2, v6, v7
.LBB606_86:                             ;   in Loop: Header=BB606_12 Depth=1
	s_wait_alu 0xfffe
	s_or_b32 exec_lo, exec_lo, s0
	s_delay_alu instid0(VALU_DEP_1)
	v_mov_b32_dpp v4, v2 row_shr:1 row_mask:0xf bank_mask:0xf
	v_cmp_eq_u32_e64 s0, 0, v85
	v_cmp_lt_u32_e64 s1, 1, v85
	v_cmp_lt_u32_e64 s9, 3, v85
	v_cmp_lt_u32_e64 s10, 7, v85
	v_cmp_eq_u32_e64 s11, 0, v87
	s_wait_alu 0xf1ff
	v_cndmask_b32_e64 v4, v4, 0, s0
	s_delay_alu instid0(VALU_DEP_1) | instskip(NEXT) | instid1(VALU_DEP_1)
	v_add_nc_u32_e32 v2, v4, v2
	v_mov_b32_dpp v4, v2 row_shr:2 row_mask:0xf bank_mask:0xf
	s_delay_alu instid0(VALU_DEP_1) | instskip(NEXT) | instid1(VALU_DEP_1)
	v_cndmask_b32_e64 v4, 0, v4, s1
	v_add_nc_u32_e32 v2, v2, v4
	s_delay_alu instid0(VALU_DEP_1) | instskip(NEXT) | instid1(VALU_DEP_1)
	v_mov_b32_dpp v4, v2 row_shr:4 row_mask:0xf bank_mask:0xf
	v_cndmask_b32_e64 v4, 0, v4, s9
	s_delay_alu instid0(VALU_DEP_1) | instskip(NEXT) | instid1(VALU_DEP_1)
	v_add_nc_u32_e32 v2, v2, v4
	v_mov_b32_dpp v4, v2 row_shr:8 row_mask:0xf bank_mask:0xf
	s_delay_alu instid0(VALU_DEP_1) | instskip(NEXT) | instid1(VALU_DEP_1)
	v_cndmask_b32_e64 v4, 0, v4, s10
	v_add_nc_u32_e32 v2, v2, v4
	ds_swizzle_b32 v4, v2 offset:swizzle(BROADCAST,32,15)
	s_wait_dscnt 0x0
	v_and_b32_e32 v4, v86, v4
	s_delay_alu instid0(VALU_DEP_1)
	v_add_nc_u32_e32 v2, v2, v4
	s_and_saveexec_b32 s12, s3
; %bb.87:                               ;   in Loop: Header=BB606_12 Depth=1
	ds_store_b32 v65, v2
; %bb.88:                               ;   in Loop: Header=BB606_12 Depth=1
	s_wait_alu 0xfffe
	s_or_b32 exec_lo, exec_lo, s12
	s_wait_loadcnt_dscnt 0x0
	s_barrier_signal -1
	s_barrier_wait -1
	global_inv scope:SCOPE_SE
	s_and_saveexec_b32 s12, s4
	s_cbranch_execz .LBB606_90
; %bb.89:                               ;   in Loop: Header=BB606_12 Depth=1
	ds_load_b32 v4, v66
	v_cmp_ne_u32_e32 vcc_lo, 0, v89
	s_wait_dscnt 0x0
	v_mov_b32_dpp v5, v4 row_shr:1 row_mask:0xf bank_mask:0xf
	s_wait_alu 0xfffd
	s_delay_alu instid0(VALU_DEP_1) | instskip(SKIP_1) | instid1(VALU_DEP_2)
	v_cndmask_b32_e32 v5, 0, v5, vcc_lo
	v_cmp_lt_u32_e32 vcc_lo, 1, v89
	v_add_nc_u32_e32 v4, v5, v4
	s_delay_alu instid0(VALU_DEP_1) | instskip(SKIP_1) | instid1(VALU_DEP_1)
	v_mov_b32_dpp v5, v4 row_shr:2 row_mask:0xf bank_mask:0xf
	s_wait_alu 0xfffd
	v_cndmask_b32_e32 v5, 0, v5, vcc_lo
	v_cmp_lt_u32_e32 vcc_lo, 3, v89
	s_delay_alu instid0(VALU_DEP_2) | instskip(NEXT) | instid1(VALU_DEP_1)
	v_add_nc_u32_e32 v4, v4, v5
	v_mov_b32_dpp v5, v4 row_shr:4 row_mask:0xf bank_mask:0xf
	s_wait_alu 0xfffd
	s_delay_alu instid0(VALU_DEP_1) | instskip(NEXT) | instid1(VALU_DEP_1)
	v_cndmask_b32_e32 v5, 0, v5, vcc_lo
	v_add_nc_u32_e32 v4, v4, v5
	ds_store_b32 v66, v4
.LBB606_90:                             ;   in Loop: Header=BB606_12 Depth=1
	s_wait_alu 0xfffe
	s_or_b32 exec_lo, exec_lo, s12
	v_mov_b32_e32 v4, 0
	s_wait_loadcnt_dscnt 0x0
	s_barrier_signal -1
	s_barrier_wait -1
	global_inv scope:SCOPE_SE
	s_and_saveexec_b32 s12, s5
; %bb.91:                               ;   in Loop: Header=BB606_12 Depth=1
	ds_load_b32 v4, v68
; %bb.92:                               ;   in Loop: Header=BB606_12 Depth=1
	s_wait_alu 0xfffe
	s_or_b32 exec_lo, exec_lo, s12
	v_cmp_gt_i32_e32 vcc_lo, 0, v90
	s_wait_loadcnt_dscnt 0x0
	s_barrier_signal -1
	s_barrier_wait -1
	global_inv scope:SCOPE_SE
	s_wait_alu 0xfffd
	v_dual_cndmask_b32 v5, v90, v81 :: v_dual_add_nc_u32 v2, v4, v2
	s_delay_alu instid0(VALU_DEP_1)
	v_lshlrev_b32_e32 v113, 2, v5
	ds_bpermute_b32 v2, v113, v2
	s_and_saveexec_b32 s12, s2
	s_cbranch_execz .LBB606_94
; %bb.93:                               ;   in Loop: Header=BB606_12 Depth=1
	s_wait_dscnt 0x0
	v_cndmask_b32_e64 v2, v2, v4, s8
	s_delay_alu instid0(VALU_DEP_1)
	v_add_nc_u32_e32 v2, s33, v2
	ds_store_b32 v44, v2
.LBB606_94:                             ;   in Loop: Header=BB606_12 Depth=1
	s_wait_alu 0xfffe
	s_or_b32 exec_lo, exec_lo, s12
	s_clause 0x1
	s_load_b32 s12, s[34:35], 0x4
	s_load_b32 s14, s[34:35], 0xc
	s_mov_b32 s54, s53
                                        ; implicit-def: $vgpr6_vgpr7
                                        ; implicit-def: $vgpr8_vgpr9
                                        ; implicit-def: $vgpr10_vgpr11
                                        ; implicit-def: $vgpr12_vgpr13
                                        ; implicit-def: $vgpr14_vgpr15
                                        ; implicit-def: $vgpr16_vgpr17
                                        ; implicit-def: $vgpr18_vgpr19
                                        ; implicit-def: $vgpr20_vgpr21
                                        ; implicit-def: $vgpr22_vgpr23
                                        ; implicit-def: $vgpr24_vgpr25
                                        ; implicit-def: $vgpr26_vgpr27
                                        ; implicit-def: $vgpr28_vgpr29
                                        ; implicit-def: $vgpr30_vgpr31
                                        ; implicit-def: $vgpr32_vgpr33
                                        ; implicit-def: $vgpr34_vgpr35
                                        ; implicit-def: $vgpr115
                                        ; implicit-def: $vgpr116
                                        ; implicit-def: $vgpr117
                                        ; implicit-def: $vgpr118
                                        ; implicit-def: $vgpr119
                                        ; implicit-def: $vgpr120
                                        ; implicit-def: $vgpr121
                                        ; implicit-def: $vgpr122
                                        ; implicit-def: $vgpr123
                                        ; implicit-def: $vgpr124
                                        ; implicit-def: $vgpr125
                                        ; implicit-def: $vgpr126
                                        ; implicit-def: $vgpr127
                                        ; implicit-def: $vgpr128
                                        ; implicit-def: $vgpr129
                                        ; implicit-def: $vgpr130
	s_wait_kmcnt 0x0
	s_cmp_lt_u32 ttmp7, s12
	s_cselect_b32 s42, 14, 20
	s_wait_alu 0xfffe
	s_add_nc_u64 s[12:13], s[34:35], s[42:43]
	s_mov_b32 s42, s33
	s_load_u16 s12, s[12:13], 0x0
	v_cmp_lt_u32_e64 s13, 1, v89
	s_wait_dscnt 0x0
	s_wait_kmcnt 0x0
	v_mad_u32_u24 v2, v69, s12, v0
	s_and_b32 s12, s14, 0xffff
	v_cmp_lt_u32_e64 s14, 3, v89
	s_wait_alu 0xfffe
	s_delay_alu instid0(VALU_DEP_2) | instskip(SKIP_1) | instid1(VALU_DEP_2)
	v_mad_co_u64_u32 v[4:5], null, v2, s12, v[1:2]
	v_cmp_eq_u32_e64 s12, 0, v89
	v_lshrrev_b32_e32 v2, 3, v4
                                        ; implicit-def: $vgpr4_vgpr5
	s_delay_alu instid0(VALU_DEP_1)
	v_and_b32_e32 v114, 0x1ffffffc, v2
	s_branch .LBB606_96
.LBB606_95:                             ;   in Loop: Header=BB606_96 Depth=2
	s_wait_alu 0xfffe
	s_or_b32 exec_lo, exec_lo, s15
	s_addk_co_i32 s54, 0xf000
	s_cmp_lt_u32 s55, s51
	s_mov_b32 s42, s55
	s_cbranch_scc0 .LBB606_304
.LBB606_96:                             ;   Parent Loop BB606_12 Depth=1
                                        ; =>  This Inner Loop Header: Depth=2
	s_wait_alu 0xfffe
	s_add_co_i32 s55, s42, 0x1000
	s_wait_alu 0xfffe
	s_cmp_gt_u32 s55, s51
	s_cbranch_scc1 .LBB606_98
; %bb.97:                               ;   in Loop: Header=BB606_96 Depth=2
	s_lshl_b64 s[16:17], s[42:43], 2
	s_mov_b32 s15, -1
	s_wait_alu 0xfffe
	v_add_co_u32 v36, vcc_lo, v111, s16
	s_wait_alu 0xfffd
	v_add_co_ci_u32_e64 v37, null, s17, v112, vcc_lo
	s_clause 0xe
	global_load_b32 v132, v[36:37], off
	global_load_b32 v133, v[36:37], off offset:128
	global_load_b32 v140, v[36:37], off offset:256
	;; [unrolled: 1-line block ×14, first 2 shown]
	s_movk_i32 s16, 0x1000
	s_cbranch_execz .LBB606_99
	s_branch .LBB606_130
.LBB606_98:                             ;   in Loop: Header=BB606_96 Depth=2
	s_mov_b32 s15, 0
                                        ; implicit-def: $vgpr132
                                        ; implicit-def: $vgpr133
                                        ; implicit-def: $vgpr140
                                        ; implicit-def: $vgpr144
                                        ; implicit-def: $vgpr148
                                        ; implicit-def: $vgpr152
                                        ; implicit-def: $vgpr156
                                        ; implicit-def: $vgpr160
                                        ; implicit-def: $vgpr163
                                        ; implicit-def: $vgpr43
                                        ; implicit-def: $vgpr42
                                        ; implicit-def: $vgpr41
                                        ; implicit-def: $vgpr40
                                        ; implicit-def: $vgpr39
                                        ; implicit-def: $vgpr38
	s_movk_i32 s16, 0x1000
.LBB606_99:                             ;   in Loop: Header=BB606_96 Depth=2
	s_lshl_b64 s[16:17], s[42:43], 2
	s_wait_loadcnt 0xd
	v_bfrev_b32_e32 v133, -2
	s_wait_alu 0xfffe
	v_add_co_u32 v36, vcc_lo, v111, s16
	s_wait_alu 0xfffd
	v_add_co_ci_u32_e64 v37, null, s17, v112, vcc_lo
	v_bfrev_b32_e32 v132, -2
	s_mov_b32 s15, exec_lo
	v_cmpx_gt_u32_e64 s54, v88
	s_cbranch_execz .LBB606_101
; %bb.100:                              ;   in Loop: Header=BB606_96 Depth=2
	global_load_b32 v132, v[36:37], off
.LBB606_101:                            ;   in Loop: Header=BB606_96 Depth=2
	s_wait_alu 0xfffe
	s_or_b32 exec_lo, exec_lo, s15
	s_delay_alu instid0(SALU_CYCLE_1)
	s_mov_b32 s15, exec_lo
	v_cmpx_gt_u32_e64 s54, v92
	s_cbranch_execz .LBB606_103
; %bb.102:                              ;   in Loop: Header=BB606_96 Depth=2
	global_load_b32 v133, v[36:37], off offset:128
.LBB606_103:                            ;   in Loop: Header=BB606_96 Depth=2
	s_wait_alu 0xfffe
	s_or_b32 exec_lo, exec_lo, s15
	s_wait_loadcnt 0xb
	v_bfrev_b32_e32 v144, -2
	v_bfrev_b32_e32 v140, -2
	s_mov_b32 s15, exec_lo
	v_cmpx_gt_u32_e64 s54, v93
	s_cbranch_execz .LBB606_105
; %bb.104:                              ;   in Loop: Header=BB606_96 Depth=2
	global_load_b32 v140, v[36:37], off offset:256
.LBB606_105:                            ;   in Loop: Header=BB606_96 Depth=2
	s_wait_alu 0xfffe
	s_or_b32 exec_lo, exec_lo, s15
	s_delay_alu instid0(SALU_CYCLE_1)
	s_mov_b32 s15, exec_lo
	v_cmpx_gt_u32_e64 s54, v94
	s_cbranch_execz .LBB606_107
; %bb.106:                              ;   in Loop: Header=BB606_96 Depth=2
	global_load_b32 v144, v[36:37], off offset:384
.LBB606_107:                            ;   in Loop: Header=BB606_96 Depth=2
	s_wait_alu 0xfffe
	s_or_b32 exec_lo, exec_lo, s15
	s_wait_loadcnt 0x9
	v_bfrev_b32_e32 v152, -2
	v_bfrev_b32_e32 v148, -2
	s_mov_b32 s15, exec_lo
	v_cmpx_gt_u32_e64 s54, v95
	s_cbranch_execz .LBB606_109
; %bb.108:                              ;   in Loop: Header=BB606_96 Depth=2
	global_load_b32 v148, v[36:37], off offset:512
.LBB606_109:                            ;   in Loop: Header=BB606_96 Depth=2
	;; [unrolled: 20-line block ×6, first 2 shown]
	s_wait_alu 0xfffe
	s_or_b32 exec_lo, exec_lo, s15
	s_delay_alu instid0(SALU_CYCLE_1)
	s_mov_b32 s15, exec_lo
	v_cmpx_gt_u32_e64 s54, v104
	s_cbranch_execz .LBB606_127
; %bb.126:                              ;   in Loop: Header=BB606_96 Depth=2
	global_load_b32 v39, v[36:37], off offset:1664
.LBB606_127:                            ;   in Loop: Header=BB606_96 Depth=2
	s_wait_alu 0xfffe
	s_or_b32 exec_lo, exec_lo, s15
	s_wait_loadcnt 0x0
	v_bfrev_b32_e32 v38, -2
	s_mov_b32 s15, exec_lo
	v_cmpx_gt_u32_e64 s54, v105
	s_cbranch_execz .LBB606_129
; %bb.128:                              ;   in Loop: Header=BB606_96 Depth=2
	global_load_b32 v38, v[36:37], off offset:1792
.LBB606_129:                            ;   in Loop: Header=BB606_96 Depth=2
	s_wait_alu 0xfffe
	s_or_b32 exec_lo, exec_lo, s15
	v_cmp_gt_u32_e64 s15, s54, v106
	s_sub_co_i32 s16, s51, s42
.LBB606_130:                            ;   in Loop: Header=BB606_96 Depth=2
	v_dual_mov_b32 v2, -1 :: v_dual_mov_b32 v131, s54
	s_and_saveexec_b32 s17, s15
	s_cbranch_execz .LBB606_132
; %bb.131:                              ;   in Loop: Header=BB606_96 Depth=2
	s_lshl_b64 s[18:19], s[42:43], 2
	s_wait_alu 0xfffe
	v_mov_b32_e32 v131, s16
	v_add_co_u32 v36, vcc_lo, v111, s18
	s_wait_alu 0xfffd
	v_add_co_ci_u32_e64 v37, null, s19, v112, vcc_lo
	global_load_b32 v2, v[36:37], off offset:1920
	s_wait_loadcnt 0x0
	v_xor_b32_e32 v2, 0x80000000, v2
.LBB606_132:                            ;   in Loop: Header=BB606_96 Depth=2
	s_wait_alu 0xfffe
	s_or_b32 exec_lo, exec_lo, s17
	s_wait_loadcnt 0xe
	v_xor_b32_e32 v132, 0x80000000, v132
	s_delay_alu instid0(VALU_DEP_1) | instskip(NEXT) | instid1(VALU_DEP_1)
	v_lshrrev_b32_e32 v36, s31, v132
	v_and_b32_e32 v37, s48, v36
	s_delay_alu instid0(VALU_DEP_1)
	v_and_b32_e32 v36, 1, v37
	v_lshlrev_b32_e32 v134, 30, v37
	v_lshlrev_b32_e32 v135, 29, v37
	;; [unrolled: 1-line block ×4, first 2 shown]
	v_add_co_u32 v36, s15, v36, -1
	s_wait_alu 0xf1ff
	v_cndmask_b32_e64 v137, 0, 1, s15
	v_not_b32_e32 v142, v134
	v_cmp_gt_i32_e64 s15, 0, v134
	v_not_b32_e32 v134, v135
	v_lshlrev_b32_e32 v139, 26, v37
	v_cmp_ne_u32_e32 vcc_lo, 0, v137
	v_ashrrev_i32_e32 v142, 31, v142
	v_lshlrev_b32_e32 v141, 25, v37
	v_ashrrev_i32_e32 v134, 31, v134
	v_lshlrev_b32_e32 v137, 24, v37
	s_wait_alu 0xfffd
	v_xor_b32_e32 v36, vcc_lo, v36
	v_cmp_gt_i32_e32 vcc_lo, 0, v135
	v_not_b32_e32 v135, v136
	s_wait_alu 0xf1ff
	v_xor_b32_e32 v142, s15, v142
	v_cmp_gt_i32_e64 s15, 0, v136
	v_and_b32_e32 v36, exec_lo, v36
	v_not_b32_e32 v136, v138
	v_ashrrev_i32_e32 v135, 31, v135
	s_wait_alu 0xfffd
	v_xor_b32_e32 v134, vcc_lo, v134
	v_cmp_gt_i32_e32 vcc_lo, 0, v138
	v_and_b32_e32 v36, v36, v142
	v_not_b32_e32 v138, v139
	v_ashrrev_i32_e32 v136, 31, v136
	s_wait_alu 0xf1ff
	v_xor_b32_e32 v135, s15, v135
	v_cmp_gt_i32_e64 s15, 0, v139
	v_and_b32_e32 v36, v36, v134
	v_not_b32_e32 v134, v141
	v_ashrrev_i32_e32 v138, 31, v138
	s_wait_alu 0xfffd
	v_xor_b32_e32 v136, vcc_lo, v136
	v_cmp_gt_i32_e32 vcc_lo, 0, v141
	v_and_b32_e32 v36, v36, v135
	v_not_b32_e32 v135, v137
	v_ashrrev_i32_e32 v134, 31, v134
	s_wait_alu 0xf1ff
	v_xor_b32_e32 v138, s15, v138
	v_cmp_gt_i32_e64 s15, 0, v137
	v_and_b32_e32 v36, v36, v136
	v_ashrrev_i32_e32 v135, 31, v135
	s_wait_alu 0xfffd
	v_xor_b32_e32 v134, vcc_lo, v134
	v_mul_u32_u24_e32 v37, 36, v37
	v_add_nc_u32_e32 v137, 0x428, v67
	v_and_b32_e32 v36, v36, v138
	s_wait_alu 0xf1ff
	v_xor_b32_e32 v136, s15, v135
	v_add_nc_u32_e32 v135, 0x438, v67
	v_add_nc_u32_e32 v138, 0x430, v67
	;; [unrolled: 1-line block ×3, first 2 shown]
	v_and_b32_e32 v36, v36, v134
	ds_store_2addr_b32 v135, v3, v3 offset1:1
	v_and_b32_e32 v36, v36, v136
	v_add_nc_u32_e32 v136, 0x420, v67
	ds_store_2addr_b32 v136, v3, v3 offset1:1
	ds_store_2addr_b32 v137, v3, v3 offset1:1
	;; [unrolled: 1-line block ×3, first 2 shown]
	ds_store_b32 v67, v3 offset:1088
	v_mbcnt_lo_u32_b32 v134, v36, 0
	v_cmp_ne_u32_e64 s15, 0, v36
	s_wait_loadcnt_dscnt 0x0
	s_barrier_signal -1
	s_barrier_wait -1
	v_cmp_eq_u32_e32 vcc_lo, 0, v134
	global_inv scope:SCOPE_SE
	; wave barrier
	s_and_b32 s16, s15, vcc_lo
	s_wait_alu 0xfffe
	s_and_saveexec_b32 s15, s16
; %bb.133:                              ;   in Loop: Header=BB606_96 Depth=2
	v_bcnt_u32_b32 v36, v36, 0
	ds_store_b32 v139, v36 offset:1056
; %bb.134:                              ;   in Loop: Header=BB606_96 Depth=2
	s_wait_alu 0xfffe
	s_or_b32 exec_lo, exec_lo, s15
	v_xor_b32_e32 v133, 0x80000000, v133
	; wave barrier
	s_delay_alu instid0(VALU_DEP_1) | instskip(NEXT) | instid1(VALU_DEP_1)
	v_lshrrev_b32_e32 v36, s31, v133
	v_and_b32_e32 v37, s48, v36
	s_delay_alu instid0(VALU_DEP_1)
	v_and_b32_e32 v36, 1, v37
	v_lshlrev_b32_e32 v141, 30, v37
	v_lshlrev_b32_e32 v142, 29, v37
	;; [unrolled: 1-line block ×4, first 2 shown]
	v_add_co_u32 v36, s15, v36, -1
	s_wait_alu 0xf1ff
	v_cndmask_b32_e64 v145, 0, 1, s15
	v_not_b32_e32 v150, v141
	v_cmp_gt_i32_e64 s15, 0, v141
	v_not_b32_e32 v141, v142
	v_lshlrev_b32_e32 v147, 26, v37
	v_cmp_ne_u32_e32 vcc_lo, 0, v145
	v_ashrrev_i32_e32 v150, 31, v150
	v_lshlrev_b32_e32 v149, 25, v37
	v_ashrrev_i32_e32 v141, 31, v141
	v_lshlrev_b32_e32 v145, 24, v37
	s_wait_alu 0xfffd
	v_xor_b32_e32 v36, vcc_lo, v36
	v_cmp_gt_i32_e32 vcc_lo, 0, v142
	v_not_b32_e32 v142, v143
	s_wait_alu 0xf1ff
	v_xor_b32_e32 v150, s15, v150
	v_cmp_gt_i32_e64 s15, 0, v143
	v_and_b32_e32 v36, exec_lo, v36
	v_not_b32_e32 v143, v146
	v_ashrrev_i32_e32 v142, 31, v142
	s_wait_alu 0xfffd
	v_xor_b32_e32 v141, vcc_lo, v141
	v_cmp_gt_i32_e32 vcc_lo, 0, v146
	v_and_b32_e32 v36, v36, v150
	v_not_b32_e32 v146, v147
	v_ashrrev_i32_e32 v143, 31, v143
	s_wait_alu 0xf1ff
	v_xor_b32_e32 v142, s15, v142
	v_cmp_gt_i32_e64 s15, 0, v147
	v_and_b32_e32 v36, v36, v141
	v_not_b32_e32 v141, v149
	v_ashrrev_i32_e32 v146, 31, v146
	s_wait_alu 0xfffd
	v_xor_b32_e32 v143, vcc_lo, v143
	v_cmp_gt_i32_e32 vcc_lo, 0, v149
	v_and_b32_e32 v36, v36, v142
	v_not_b32_e32 v142, v145
	v_ashrrev_i32_e32 v141, 31, v141
	s_wait_alu 0xf1ff
	v_xor_b32_e32 v146, s15, v146
	v_cmp_gt_i32_e64 s15, 0, v145
	v_and_b32_e32 v36, v36, v143
	v_ashrrev_i32_e32 v142, 31, v142
	s_wait_alu 0xfffd
	v_xor_b32_e32 v141, vcc_lo, v141
	v_mad_u32_u24 v143, v37, 36, v114
	v_mul_u32_u24_e32 v37, 36, v37
	v_and_b32_e32 v36, v36, v146
	s_wait_alu 0xf1ff
	v_xor_b32_e32 v142, s15, v142
	s_delay_alu instid0(VALU_DEP_2) | instskip(SKIP_3) | instid1(VALU_DEP_1)
	v_and_b32_e32 v36, v36, v141
	ds_load_b32 v141, v143 offset:1056
	v_add_nc_u32_e32 v143, v114, v37
	; wave barrier
	v_and_b32_e32 v36, v36, v142
	v_mbcnt_lo_u32_b32 v142, v36, 0
	v_cmp_ne_u32_e64 s15, 0, v36
	s_delay_alu instid0(VALU_DEP_2)
	v_cmp_eq_u32_e32 vcc_lo, 0, v142
	s_and_b32 s16, s15, vcc_lo
	s_wait_alu 0xfffe
	s_and_saveexec_b32 s15, s16
	s_cbranch_execz .LBB606_136
; %bb.135:                              ;   in Loop: Header=BB606_96 Depth=2
	s_wait_dscnt 0x0
	v_bcnt_u32_b32 v36, v36, v141
	ds_store_b32 v143, v36 offset:1056
.LBB606_136:                            ;   in Loop: Header=BB606_96 Depth=2
	s_wait_alu 0xfffe
	s_or_b32 exec_lo, exec_lo, s15
	v_xor_b32_e32 v140, 0x80000000, v140
	; wave barrier
	s_delay_alu instid0(VALU_DEP_1) | instskip(NEXT) | instid1(VALU_DEP_1)
	v_lshrrev_b32_e32 v36, s31, v140
	v_and_b32_e32 v37, s48, v36
	s_delay_alu instid0(VALU_DEP_1)
	v_and_b32_e32 v36, 1, v37
	v_lshlrev_b32_e32 v145, 30, v37
	v_lshlrev_b32_e32 v146, 29, v37
	;; [unrolled: 1-line block ×4, first 2 shown]
	v_add_co_u32 v36, s15, v36, -1
	s_wait_alu 0xf1ff
	v_cndmask_b32_e64 v149, 0, 1, s15
	v_not_b32_e32 v154, v145
	v_cmp_gt_i32_e64 s15, 0, v145
	v_not_b32_e32 v145, v146
	v_lshlrev_b32_e32 v151, 26, v37
	v_cmp_ne_u32_e32 vcc_lo, 0, v149
	v_ashrrev_i32_e32 v154, 31, v154
	v_lshlrev_b32_e32 v153, 25, v37
	v_ashrrev_i32_e32 v145, 31, v145
	v_lshlrev_b32_e32 v149, 24, v37
	s_wait_alu 0xfffd
	v_xor_b32_e32 v36, vcc_lo, v36
	v_cmp_gt_i32_e32 vcc_lo, 0, v146
	v_not_b32_e32 v146, v147
	s_wait_alu 0xf1ff
	v_xor_b32_e32 v154, s15, v154
	v_cmp_gt_i32_e64 s15, 0, v147
	v_and_b32_e32 v36, exec_lo, v36
	v_not_b32_e32 v147, v150
	v_ashrrev_i32_e32 v146, 31, v146
	s_wait_alu 0xfffd
	v_xor_b32_e32 v145, vcc_lo, v145
	v_cmp_gt_i32_e32 vcc_lo, 0, v150
	v_and_b32_e32 v36, v36, v154
	v_not_b32_e32 v150, v151
	v_ashrrev_i32_e32 v147, 31, v147
	s_wait_alu 0xf1ff
	v_xor_b32_e32 v146, s15, v146
	v_cmp_gt_i32_e64 s15, 0, v151
	v_and_b32_e32 v36, v36, v145
	v_not_b32_e32 v145, v153
	v_ashrrev_i32_e32 v150, 31, v150
	s_wait_alu 0xfffd
	v_xor_b32_e32 v147, vcc_lo, v147
	v_cmp_gt_i32_e32 vcc_lo, 0, v153
	v_and_b32_e32 v36, v36, v146
	v_not_b32_e32 v146, v149
	v_ashrrev_i32_e32 v145, 31, v145
	s_wait_alu 0xf1ff
	v_xor_b32_e32 v150, s15, v150
	v_cmp_gt_i32_e64 s15, 0, v149
	v_and_b32_e32 v36, v36, v147
	v_ashrrev_i32_e32 v146, 31, v146
	s_wait_alu 0xfffd
	v_xor_b32_e32 v145, vcc_lo, v145
	v_mad_u32_u24 v147, v37, 36, v114
	v_mul_u32_u24_e32 v37, 36, v37
	v_and_b32_e32 v36, v36, v150
	s_wait_alu 0xf1ff
	v_xor_b32_e32 v146, s15, v146
	s_delay_alu instid0(VALU_DEP_2) | instskip(SKIP_3) | instid1(VALU_DEP_1)
	v_and_b32_e32 v36, v36, v145
	ds_load_b32 v145, v147 offset:1056
	v_add_nc_u32_e32 v147, v114, v37
	; wave barrier
	v_and_b32_e32 v36, v36, v146
	v_mbcnt_lo_u32_b32 v146, v36, 0
	v_cmp_ne_u32_e64 s15, 0, v36
	s_delay_alu instid0(VALU_DEP_2)
	v_cmp_eq_u32_e32 vcc_lo, 0, v146
	s_and_b32 s16, s15, vcc_lo
	s_wait_alu 0xfffe
	s_and_saveexec_b32 s15, s16
	s_cbranch_execz .LBB606_138
; %bb.137:                              ;   in Loop: Header=BB606_96 Depth=2
	s_wait_dscnt 0x0
	v_bcnt_u32_b32 v36, v36, v145
	ds_store_b32 v147, v36 offset:1056
.LBB606_138:                            ;   in Loop: Header=BB606_96 Depth=2
	s_wait_alu 0xfffe
	s_or_b32 exec_lo, exec_lo, s15
	v_xor_b32_e32 v144, 0x80000000, v144
	; wave barrier
	s_delay_alu instid0(VALU_DEP_1) | instskip(NEXT) | instid1(VALU_DEP_1)
	v_lshrrev_b32_e32 v36, s31, v144
	v_and_b32_e32 v37, s48, v36
	s_delay_alu instid0(VALU_DEP_1)
	v_and_b32_e32 v36, 1, v37
	v_lshlrev_b32_e32 v149, 30, v37
	v_lshlrev_b32_e32 v150, 29, v37
	;; [unrolled: 1-line block ×4, first 2 shown]
	v_add_co_u32 v36, s15, v36, -1
	s_wait_alu 0xf1ff
	v_cndmask_b32_e64 v153, 0, 1, s15
	v_not_b32_e32 v158, v149
	v_cmp_gt_i32_e64 s15, 0, v149
	v_not_b32_e32 v149, v150
	v_lshlrev_b32_e32 v155, 26, v37
	v_cmp_ne_u32_e32 vcc_lo, 0, v153
	v_ashrrev_i32_e32 v158, 31, v158
	v_lshlrev_b32_e32 v157, 25, v37
	v_ashrrev_i32_e32 v149, 31, v149
	v_lshlrev_b32_e32 v153, 24, v37
	s_wait_alu 0xfffd
	v_xor_b32_e32 v36, vcc_lo, v36
	v_cmp_gt_i32_e32 vcc_lo, 0, v150
	v_not_b32_e32 v150, v151
	s_wait_alu 0xf1ff
	v_xor_b32_e32 v158, s15, v158
	v_cmp_gt_i32_e64 s15, 0, v151
	v_and_b32_e32 v36, exec_lo, v36
	v_not_b32_e32 v151, v154
	v_ashrrev_i32_e32 v150, 31, v150
	s_wait_alu 0xfffd
	v_xor_b32_e32 v149, vcc_lo, v149
	v_cmp_gt_i32_e32 vcc_lo, 0, v154
	v_and_b32_e32 v36, v36, v158
	v_not_b32_e32 v154, v155
	v_ashrrev_i32_e32 v151, 31, v151
	s_wait_alu 0xf1ff
	v_xor_b32_e32 v150, s15, v150
	v_cmp_gt_i32_e64 s15, 0, v155
	v_and_b32_e32 v36, v36, v149
	v_not_b32_e32 v149, v157
	v_ashrrev_i32_e32 v154, 31, v154
	s_wait_alu 0xfffd
	v_xor_b32_e32 v151, vcc_lo, v151
	v_cmp_gt_i32_e32 vcc_lo, 0, v157
	v_and_b32_e32 v36, v36, v150
	v_not_b32_e32 v150, v153
	v_ashrrev_i32_e32 v149, 31, v149
	s_wait_alu 0xf1ff
	v_xor_b32_e32 v154, s15, v154
	v_cmp_gt_i32_e64 s15, 0, v153
	v_and_b32_e32 v36, v36, v151
	v_ashrrev_i32_e32 v150, 31, v150
	s_wait_alu 0xfffd
	v_xor_b32_e32 v149, vcc_lo, v149
	v_mad_u32_u24 v151, v37, 36, v114
	v_mul_u32_u24_e32 v37, 36, v37
	v_and_b32_e32 v36, v36, v154
	s_wait_alu 0xf1ff
	v_xor_b32_e32 v150, s15, v150
	s_delay_alu instid0(VALU_DEP_2) | instskip(SKIP_3) | instid1(VALU_DEP_1)
	v_and_b32_e32 v36, v36, v149
	ds_load_b32 v149, v151 offset:1056
	v_add_nc_u32_e32 v151, v114, v37
	; wave barrier
	v_and_b32_e32 v36, v36, v150
	v_mbcnt_lo_u32_b32 v150, v36, 0
	v_cmp_ne_u32_e64 s15, 0, v36
	s_delay_alu instid0(VALU_DEP_2)
	v_cmp_eq_u32_e32 vcc_lo, 0, v150
	s_and_b32 s16, s15, vcc_lo
	s_wait_alu 0xfffe
	s_and_saveexec_b32 s15, s16
	s_cbranch_execz .LBB606_140
; %bb.139:                              ;   in Loop: Header=BB606_96 Depth=2
	s_wait_dscnt 0x0
	v_bcnt_u32_b32 v36, v36, v149
	ds_store_b32 v151, v36 offset:1056
.LBB606_140:                            ;   in Loop: Header=BB606_96 Depth=2
	s_wait_alu 0xfffe
	s_or_b32 exec_lo, exec_lo, s15
	v_xor_b32_e32 v148, 0x80000000, v148
	; wave barrier
	s_delay_alu instid0(VALU_DEP_1) | instskip(NEXT) | instid1(VALU_DEP_1)
	v_lshrrev_b32_e32 v36, s31, v148
	v_and_b32_e32 v37, s48, v36
	s_delay_alu instid0(VALU_DEP_1)
	v_and_b32_e32 v36, 1, v37
	v_lshlrev_b32_e32 v153, 30, v37
	v_lshlrev_b32_e32 v154, 29, v37
	;; [unrolled: 1-line block ×4, first 2 shown]
	v_add_co_u32 v36, s15, v36, -1
	s_wait_alu 0xf1ff
	v_cndmask_b32_e64 v157, 0, 1, s15
	v_not_b32_e32 v162, v153
	v_cmp_gt_i32_e64 s15, 0, v153
	v_not_b32_e32 v153, v154
	v_lshlrev_b32_e32 v159, 26, v37
	v_cmp_ne_u32_e32 vcc_lo, 0, v157
	v_ashrrev_i32_e32 v162, 31, v162
	v_lshlrev_b32_e32 v161, 25, v37
	v_ashrrev_i32_e32 v153, 31, v153
	v_lshlrev_b32_e32 v157, 24, v37
	s_wait_alu 0xfffd
	v_xor_b32_e32 v36, vcc_lo, v36
	v_cmp_gt_i32_e32 vcc_lo, 0, v154
	v_not_b32_e32 v154, v155
	s_wait_alu 0xf1ff
	v_xor_b32_e32 v162, s15, v162
	v_cmp_gt_i32_e64 s15, 0, v155
	v_and_b32_e32 v36, exec_lo, v36
	v_not_b32_e32 v155, v158
	v_ashrrev_i32_e32 v154, 31, v154
	s_wait_alu 0xfffd
	v_xor_b32_e32 v153, vcc_lo, v153
	v_cmp_gt_i32_e32 vcc_lo, 0, v158
	v_and_b32_e32 v36, v36, v162
	v_not_b32_e32 v158, v159
	v_ashrrev_i32_e32 v155, 31, v155
	s_wait_alu 0xf1ff
	v_xor_b32_e32 v154, s15, v154
	v_cmp_gt_i32_e64 s15, 0, v159
	v_and_b32_e32 v36, v36, v153
	v_not_b32_e32 v153, v161
	v_ashrrev_i32_e32 v158, 31, v158
	s_wait_alu 0xfffd
	v_xor_b32_e32 v155, vcc_lo, v155
	v_cmp_gt_i32_e32 vcc_lo, 0, v161
	v_and_b32_e32 v36, v36, v154
	v_not_b32_e32 v154, v157
	v_ashrrev_i32_e32 v153, 31, v153
	s_wait_alu 0xf1ff
	v_xor_b32_e32 v158, s15, v158
	v_cmp_gt_i32_e64 s15, 0, v157
	v_and_b32_e32 v36, v36, v155
	v_ashrrev_i32_e32 v154, 31, v154
	s_wait_alu 0xfffd
	v_xor_b32_e32 v153, vcc_lo, v153
	v_mad_u32_u24 v155, v37, 36, v114
	v_mul_u32_u24_e32 v37, 36, v37
	v_and_b32_e32 v36, v36, v158
	s_wait_alu 0xf1ff
	v_xor_b32_e32 v154, s15, v154
	s_delay_alu instid0(VALU_DEP_2) | instskip(SKIP_3) | instid1(VALU_DEP_1)
	v_and_b32_e32 v36, v36, v153
	ds_load_b32 v153, v155 offset:1056
	v_add_nc_u32_e32 v155, v114, v37
	; wave barrier
	v_and_b32_e32 v36, v36, v154
	v_mbcnt_lo_u32_b32 v154, v36, 0
	v_cmp_ne_u32_e64 s15, 0, v36
	s_delay_alu instid0(VALU_DEP_2)
	v_cmp_eq_u32_e32 vcc_lo, 0, v154
	s_and_b32 s16, s15, vcc_lo
	s_wait_alu 0xfffe
	s_and_saveexec_b32 s15, s16
	s_cbranch_execz .LBB606_142
; %bb.141:                              ;   in Loop: Header=BB606_96 Depth=2
	s_wait_dscnt 0x0
	v_bcnt_u32_b32 v36, v36, v153
	ds_store_b32 v155, v36 offset:1056
.LBB606_142:                            ;   in Loop: Header=BB606_96 Depth=2
	s_wait_alu 0xfffe
	s_or_b32 exec_lo, exec_lo, s15
	v_xor_b32_e32 v152, 0x80000000, v152
	; wave barrier
	s_delay_alu instid0(VALU_DEP_1) | instskip(NEXT) | instid1(VALU_DEP_1)
	v_lshrrev_b32_e32 v36, s31, v152
	v_and_b32_e32 v37, s48, v36
	s_delay_alu instid0(VALU_DEP_1)
	v_and_b32_e32 v36, 1, v37
	v_lshlrev_b32_e32 v157, 30, v37
	v_lshlrev_b32_e32 v158, 29, v37
	;; [unrolled: 1-line block ×4, first 2 shown]
	v_add_co_u32 v36, s15, v36, -1
	s_wait_alu 0xf1ff
	v_cndmask_b32_e64 v161, 0, 1, s15
	v_not_b32_e32 v166, v157
	v_cmp_gt_i32_e64 s15, 0, v157
	v_not_b32_e32 v157, v158
	v_lshlrev_b32_e32 v164, 26, v37
	v_cmp_ne_u32_e32 vcc_lo, 0, v161
	v_ashrrev_i32_e32 v166, 31, v166
	v_lshlrev_b32_e32 v165, 25, v37
	v_ashrrev_i32_e32 v157, 31, v157
	v_lshlrev_b32_e32 v161, 24, v37
	s_wait_alu 0xfffd
	v_xor_b32_e32 v36, vcc_lo, v36
	v_cmp_gt_i32_e32 vcc_lo, 0, v158
	v_not_b32_e32 v158, v159
	s_wait_alu 0xf1ff
	v_xor_b32_e32 v166, s15, v166
	v_cmp_gt_i32_e64 s15, 0, v159
	v_and_b32_e32 v36, exec_lo, v36
	v_not_b32_e32 v159, v162
	v_ashrrev_i32_e32 v158, 31, v158
	s_wait_alu 0xfffd
	v_xor_b32_e32 v157, vcc_lo, v157
	v_cmp_gt_i32_e32 vcc_lo, 0, v162
	v_and_b32_e32 v36, v36, v166
	v_not_b32_e32 v162, v164
	v_ashrrev_i32_e32 v159, 31, v159
	s_wait_alu 0xf1ff
	v_xor_b32_e32 v158, s15, v158
	v_cmp_gt_i32_e64 s15, 0, v164
	v_and_b32_e32 v36, v36, v157
	v_not_b32_e32 v157, v165
	v_ashrrev_i32_e32 v162, 31, v162
	s_wait_alu 0xfffd
	v_xor_b32_e32 v159, vcc_lo, v159
	v_cmp_gt_i32_e32 vcc_lo, 0, v165
	v_and_b32_e32 v36, v36, v158
	v_not_b32_e32 v158, v161
	v_ashrrev_i32_e32 v157, 31, v157
	s_wait_alu 0xf1ff
	v_xor_b32_e32 v162, s15, v162
	v_cmp_gt_i32_e64 s15, 0, v161
	v_and_b32_e32 v36, v36, v159
	v_ashrrev_i32_e32 v158, 31, v158
	s_wait_alu 0xfffd
	v_xor_b32_e32 v157, vcc_lo, v157
	v_mad_u32_u24 v159, v37, 36, v114
	v_mul_u32_u24_e32 v37, 36, v37
	v_and_b32_e32 v36, v36, v162
	s_wait_alu 0xf1ff
	v_xor_b32_e32 v158, s15, v158
	s_delay_alu instid0(VALU_DEP_2) | instskip(SKIP_3) | instid1(VALU_DEP_1)
	v_and_b32_e32 v36, v36, v157
	ds_load_b32 v157, v159 offset:1056
	v_add_nc_u32_e32 v159, v114, v37
	; wave barrier
	v_and_b32_e32 v36, v36, v158
	v_mbcnt_lo_u32_b32 v158, v36, 0
	v_cmp_ne_u32_e64 s15, 0, v36
	s_delay_alu instid0(VALU_DEP_2)
	v_cmp_eq_u32_e32 vcc_lo, 0, v158
	s_and_b32 s16, s15, vcc_lo
	s_wait_alu 0xfffe
	s_and_saveexec_b32 s15, s16
	s_cbranch_execz .LBB606_144
; %bb.143:                              ;   in Loop: Header=BB606_96 Depth=2
	s_wait_dscnt 0x0
	v_bcnt_u32_b32 v36, v36, v157
	ds_store_b32 v159, v36 offset:1056
.LBB606_144:                            ;   in Loop: Header=BB606_96 Depth=2
	s_wait_alu 0xfffe
	s_or_b32 exec_lo, exec_lo, s15
	v_xor_b32_e32 v156, 0x80000000, v156
	; wave barrier
	s_delay_alu instid0(VALU_DEP_1) | instskip(NEXT) | instid1(VALU_DEP_1)
	v_lshrrev_b32_e32 v36, s31, v156
	v_and_b32_e32 v37, s48, v36
	s_delay_alu instid0(VALU_DEP_1)
	v_and_b32_e32 v36, 1, v37
	v_lshlrev_b32_e32 v161, 30, v37
	v_lshlrev_b32_e32 v162, 29, v37
	;; [unrolled: 1-line block ×4, first 2 shown]
	v_add_co_u32 v36, s15, v36, -1
	s_wait_alu 0xf1ff
	v_cndmask_b32_e64 v165, 0, 1, s15
	v_not_b32_e32 v169, v161
	v_cmp_gt_i32_e64 s15, 0, v161
	v_not_b32_e32 v161, v162
	v_lshlrev_b32_e32 v167, 26, v37
	v_cmp_ne_u32_e32 vcc_lo, 0, v165
	v_ashrrev_i32_e32 v169, 31, v169
	v_lshlrev_b32_e32 v168, 25, v37
	v_ashrrev_i32_e32 v161, 31, v161
	v_lshlrev_b32_e32 v165, 24, v37
	s_wait_alu 0xfffd
	v_xor_b32_e32 v36, vcc_lo, v36
	v_cmp_gt_i32_e32 vcc_lo, 0, v162
	v_not_b32_e32 v162, v164
	s_wait_alu 0xf1ff
	v_xor_b32_e32 v169, s15, v169
	v_cmp_gt_i32_e64 s15, 0, v164
	v_and_b32_e32 v36, exec_lo, v36
	v_not_b32_e32 v164, v166
	v_ashrrev_i32_e32 v162, 31, v162
	s_wait_alu 0xfffd
	v_xor_b32_e32 v161, vcc_lo, v161
	v_cmp_gt_i32_e32 vcc_lo, 0, v166
	v_and_b32_e32 v36, v36, v169
	v_not_b32_e32 v166, v167
	v_ashrrev_i32_e32 v164, 31, v164
	s_wait_alu 0xf1ff
	v_xor_b32_e32 v162, s15, v162
	v_cmp_gt_i32_e64 s15, 0, v167
	v_and_b32_e32 v36, v36, v161
	v_not_b32_e32 v161, v168
	v_ashrrev_i32_e32 v166, 31, v166
	s_wait_alu 0xfffd
	v_xor_b32_e32 v164, vcc_lo, v164
	v_cmp_gt_i32_e32 vcc_lo, 0, v168
	v_and_b32_e32 v36, v36, v162
	v_not_b32_e32 v162, v165
	v_ashrrev_i32_e32 v161, 31, v161
	s_wait_alu 0xf1ff
	v_xor_b32_e32 v166, s15, v166
	v_cmp_gt_i32_e64 s15, 0, v165
	v_and_b32_e32 v36, v36, v164
	v_ashrrev_i32_e32 v162, 31, v162
	s_wait_alu 0xfffd
	v_xor_b32_e32 v161, vcc_lo, v161
	v_mad_u32_u24 v164, v37, 36, v114
	v_mul_u32_u24_e32 v37, 36, v37
	v_and_b32_e32 v36, v36, v166
	s_wait_alu 0xf1ff
	v_xor_b32_e32 v162, s15, v162
	s_delay_alu instid0(VALU_DEP_2) | instskip(SKIP_3) | instid1(VALU_DEP_1)
	v_and_b32_e32 v36, v36, v161
	ds_load_b32 v161, v164 offset:1056
	v_add_nc_u32_e32 v164, v114, v37
	; wave barrier
	v_and_b32_e32 v36, v36, v162
	v_mbcnt_lo_u32_b32 v162, v36, 0
	v_cmp_ne_u32_e64 s15, 0, v36
	s_delay_alu instid0(VALU_DEP_2)
	v_cmp_eq_u32_e32 vcc_lo, 0, v162
	s_and_b32 s16, s15, vcc_lo
	s_wait_alu 0xfffe
	s_and_saveexec_b32 s15, s16
	s_cbranch_execz .LBB606_146
; %bb.145:                              ;   in Loop: Header=BB606_96 Depth=2
	s_wait_dscnt 0x0
	v_bcnt_u32_b32 v36, v36, v161
	ds_store_b32 v164, v36 offset:1056
.LBB606_146:                            ;   in Loop: Header=BB606_96 Depth=2
	s_wait_alu 0xfffe
	s_or_b32 exec_lo, exec_lo, s15
	v_xor_b32_e32 v160, 0x80000000, v160
	; wave barrier
	s_delay_alu instid0(VALU_DEP_1) | instskip(NEXT) | instid1(VALU_DEP_1)
	v_lshrrev_b32_e32 v36, s31, v160
	v_and_b32_e32 v37, s48, v36
	s_delay_alu instid0(VALU_DEP_1)
	v_and_b32_e32 v36, 1, v37
	v_lshlrev_b32_e32 v165, 30, v37
	v_lshlrev_b32_e32 v166, 29, v37
	;; [unrolled: 1-line block ×4, first 2 shown]
	v_add_co_u32 v36, s15, v36, -1
	s_wait_alu 0xf1ff
	v_cndmask_b32_e64 v168, 0, 1, s15
	v_not_b32_e32 v172, v165
	v_cmp_gt_i32_e64 s15, 0, v165
	v_not_b32_e32 v165, v166
	v_lshlrev_b32_e32 v170, 26, v37
	v_cmp_ne_u32_e32 vcc_lo, 0, v168
	v_ashrrev_i32_e32 v172, 31, v172
	v_lshlrev_b32_e32 v171, 25, v37
	v_ashrrev_i32_e32 v165, 31, v165
	v_lshlrev_b32_e32 v168, 24, v37
	s_wait_alu 0xfffd
	v_xor_b32_e32 v36, vcc_lo, v36
	v_cmp_gt_i32_e32 vcc_lo, 0, v166
	v_not_b32_e32 v166, v167
	s_wait_alu 0xf1ff
	v_xor_b32_e32 v172, s15, v172
	v_cmp_gt_i32_e64 s15, 0, v167
	v_and_b32_e32 v36, exec_lo, v36
	v_not_b32_e32 v167, v169
	v_ashrrev_i32_e32 v166, 31, v166
	s_wait_alu 0xfffd
	v_xor_b32_e32 v165, vcc_lo, v165
	v_cmp_gt_i32_e32 vcc_lo, 0, v169
	v_and_b32_e32 v36, v36, v172
	v_not_b32_e32 v169, v170
	v_ashrrev_i32_e32 v167, 31, v167
	s_wait_alu 0xf1ff
	v_xor_b32_e32 v166, s15, v166
	v_cmp_gt_i32_e64 s15, 0, v170
	v_and_b32_e32 v36, v36, v165
	v_not_b32_e32 v165, v171
	v_ashrrev_i32_e32 v169, 31, v169
	s_wait_alu 0xfffd
	v_xor_b32_e32 v167, vcc_lo, v167
	v_cmp_gt_i32_e32 vcc_lo, 0, v171
	v_and_b32_e32 v36, v36, v166
	v_not_b32_e32 v166, v168
	v_ashrrev_i32_e32 v165, 31, v165
	s_wait_alu 0xf1ff
	v_xor_b32_e32 v169, s15, v169
	v_cmp_gt_i32_e64 s15, 0, v168
	v_and_b32_e32 v36, v36, v167
	v_ashrrev_i32_e32 v166, 31, v166
	s_wait_alu 0xfffd
	v_xor_b32_e32 v165, vcc_lo, v165
	v_mad_u32_u24 v167, v37, 36, v114
	v_mul_u32_u24_e32 v37, 36, v37
	v_and_b32_e32 v36, v36, v169
	s_wait_alu 0xf1ff
	v_xor_b32_e32 v166, s15, v166
	s_delay_alu instid0(VALU_DEP_2) | instskip(SKIP_3) | instid1(VALU_DEP_1)
	v_and_b32_e32 v36, v36, v165
	ds_load_b32 v165, v167 offset:1056
	v_add_nc_u32_e32 v167, v114, v37
	; wave barrier
	v_and_b32_e32 v36, v36, v166
	v_mbcnt_lo_u32_b32 v166, v36, 0
	v_cmp_ne_u32_e64 s15, 0, v36
	s_delay_alu instid0(VALU_DEP_2)
	v_cmp_eq_u32_e32 vcc_lo, 0, v166
	s_and_b32 s16, s15, vcc_lo
	s_wait_alu 0xfffe
	s_and_saveexec_b32 s15, s16
	s_cbranch_execz .LBB606_148
; %bb.147:                              ;   in Loop: Header=BB606_96 Depth=2
	s_wait_dscnt 0x0
	v_bcnt_u32_b32 v36, v36, v165
	ds_store_b32 v167, v36 offset:1056
.LBB606_148:                            ;   in Loop: Header=BB606_96 Depth=2
	s_wait_alu 0xfffe
	s_or_b32 exec_lo, exec_lo, s15
	v_xor_b32_e32 v163, 0x80000000, v163
	; wave barrier
	s_delay_alu instid0(VALU_DEP_1) | instskip(NEXT) | instid1(VALU_DEP_1)
	v_lshrrev_b32_e32 v36, s31, v163
	v_and_b32_e32 v37, s48, v36
	s_delay_alu instid0(VALU_DEP_1)
	v_and_b32_e32 v36, 1, v37
	v_lshlrev_b32_e32 v168, 30, v37
	v_lshlrev_b32_e32 v169, 29, v37
	;; [unrolled: 1-line block ×4, first 2 shown]
	v_add_co_u32 v36, s15, v36, -1
	s_wait_alu 0xf1ff
	v_cndmask_b32_e64 v171, 0, 1, s15
	v_not_b32_e32 v175, v168
	v_cmp_gt_i32_e64 s15, 0, v168
	v_not_b32_e32 v168, v169
	v_lshlrev_b32_e32 v173, 26, v37
	v_cmp_ne_u32_e32 vcc_lo, 0, v171
	v_ashrrev_i32_e32 v175, 31, v175
	v_lshlrev_b32_e32 v174, 25, v37
	v_ashrrev_i32_e32 v168, 31, v168
	v_lshlrev_b32_e32 v171, 24, v37
	s_wait_alu 0xfffd
	v_xor_b32_e32 v36, vcc_lo, v36
	v_cmp_gt_i32_e32 vcc_lo, 0, v169
	v_not_b32_e32 v169, v170
	s_wait_alu 0xf1ff
	v_xor_b32_e32 v175, s15, v175
	v_cmp_gt_i32_e64 s15, 0, v170
	v_and_b32_e32 v36, exec_lo, v36
	v_not_b32_e32 v170, v172
	v_ashrrev_i32_e32 v169, 31, v169
	s_wait_alu 0xfffd
	v_xor_b32_e32 v168, vcc_lo, v168
	v_cmp_gt_i32_e32 vcc_lo, 0, v172
	v_and_b32_e32 v36, v36, v175
	v_not_b32_e32 v172, v173
	v_ashrrev_i32_e32 v170, 31, v170
	s_wait_alu 0xf1ff
	v_xor_b32_e32 v169, s15, v169
	v_cmp_gt_i32_e64 s15, 0, v173
	v_and_b32_e32 v36, v36, v168
	v_not_b32_e32 v168, v174
	v_ashrrev_i32_e32 v172, 31, v172
	s_wait_alu 0xfffd
	v_xor_b32_e32 v170, vcc_lo, v170
	v_cmp_gt_i32_e32 vcc_lo, 0, v174
	v_and_b32_e32 v36, v36, v169
	v_not_b32_e32 v169, v171
	v_ashrrev_i32_e32 v168, 31, v168
	s_wait_alu 0xf1ff
	v_xor_b32_e32 v172, s15, v172
	v_cmp_gt_i32_e64 s15, 0, v171
	v_and_b32_e32 v36, v36, v170
	v_ashrrev_i32_e32 v169, 31, v169
	s_wait_alu 0xfffd
	v_xor_b32_e32 v168, vcc_lo, v168
	v_mad_u32_u24 v170, v37, 36, v114
	v_mul_u32_u24_e32 v37, 36, v37
	v_and_b32_e32 v36, v36, v172
	s_wait_alu 0xf1ff
	v_xor_b32_e32 v171, s15, v169
	ds_load_b32 v169, v170 offset:1056
	v_and_b32_e32 v36, v36, v168
	; wave barrier
	s_delay_alu instid0(VALU_DEP_1) | instskip(SKIP_1) | instid1(VALU_DEP_2)
	v_and_b32_e32 v36, v36, v171
	v_add_nc_u32_e32 v171, v114, v37
	v_mbcnt_lo_u32_b32 v170, v36, 0
	v_cmp_ne_u32_e64 s15, 0, v36
	s_delay_alu instid0(VALU_DEP_2)
	v_cmp_eq_u32_e32 vcc_lo, 0, v170
	s_and_b32 s16, s15, vcc_lo
	s_wait_alu 0xfffe
	s_and_saveexec_b32 s15, s16
	s_cbranch_execz .LBB606_150
; %bb.149:                              ;   in Loop: Header=BB606_96 Depth=2
	s_wait_dscnt 0x0
	v_bcnt_u32_b32 v36, v36, v169
	ds_store_b32 v171, v36 offset:1056
.LBB606_150:                            ;   in Loop: Header=BB606_96 Depth=2
	s_wait_alu 0xfffe
	s_or_b32 exec_lo, exec_lo, s15
	v_xor_b32_e32 v168, 0x80000000, v43
	; wave barrier
	s_delay_alu instid0(VALU_DEP_1) | instskip(NEXT) | instid1(VALU_DEP_1)
	v_lshrrev_b32_e32 v36, s31, v168
	v_and_b32_e32 v37, s48, v36
	s_delay_alu instid0(VALU_DEP_1)
	v_and_b32_e32 v36, 1, v37
	v_lshlrev_b32_e32 v43, 30, v37
	v_lshlrev_b32_e32 v172, 29, v37
	;; [unrolled: 1-line block ×4, first 2 shown]
	v_add_co_u32 v36, s15, v36, -1
	s_wait_alu 0xf1ff
	v_cndmask_b32_e64 v174, 0, 1, s15
	v_not_b32_e32 v178, v43
	v_cmp_gt_i32_e64 s15, 0, v43
	v_not_b32_e32 v43, v172
	v_lshlrev_b32_e32 v176, 26, v37
	v_cmp_ne_u32_e32 vcc_lo, 0, v174
	v_ashrrev_i32_e32 v178, 31, v178
	v_lshlrev_b32_e32 v177, 25, v37
	v_ashrrev_i32_e32 v43, 31, v43
	v_lshlrev_b32_e32 v174, 24, v37
	s_wait_alu 0xfffd
	v_xor_b32_e32 v36, vcc_lo, v36
	v_cmp_gt_i32_e32 vcc_lo, 0, v172
	v_not_b32_e32 v172, v173
	s_wait_alu 0xf1ff
	v_xor_b32_e32 v178, s15, v178
	v_cmp_gt_i32_e64 s15, 0, v173
	v_and_b32_e32 v36, exec_lo, v36
	v_not_b32_e32 v173, v175
	v_ashrrev_i32_e32 v172, 31, v172
	s_wait_alu 0xfffd
	v_xor_b32_e32 v43, vcc_lo, v43
	v_cmp_gt_i32_e32 vcc_lo, 0, v175
	v_and_b32_e32 v36, v36, v178
	v_not_b32_e32 v175, v176
	v_ashrrev_i32_e32 v173, 31, v173
	s_wait_alu 0xf1ff
	v_xor_b32_e32 v172, s15, v172
	v_cmp_gt_i32_e64 s15, 0, v176
	v_and_b32_e32 v36, v36, v43
	v_not_b32_e32 v43, v177
	v_ashrrev_i32_e32 v175, 31, v175
	s_wait_alu 0xfffd
	v_xor_b32_e32 v173, vcc_lo, v173
	v_cmp_gt_i32_e32 vcc_lo, 0, v177
	v_and_b32_e32 v36, v36, v172
	v_not_b32_e32 v172, v174
	v_ashrrev_i32_e32 v43, 31, v43
	s_wait_alu 0xf1ff
	v_xor_b32_e32 v175, s15, v175
	v_cmp_gt_i32_e64 s15, 0, v174
	v_and_b32_e32 v36, v36, v173
	v_ashrrev_i32_e32 v172, 31, v172
	s_wait_alu 0xfffd
	v_xor_b32_e32 v43, vcc_lo, v43
	v_mad_u32_u24 v173, v37, 36, v114
	v_mul_u32_u24_e32 v37, 36, v37
	v_and_b32_e32 v36, v36, v175
	s_wait_alu 0xf1ff
	v_xor_b32_e32 v172, s15, v172
	ds_load_b32 v173, v173 offset:1056
	v_add_nc_u32_e32 v175, v114, v37
	v_and_b32_e32 v36, v36, v43
	; wave barrier
	s_delay_alu instid0(VALU_DEP_1) | instskip(NEXT) | instid1(VALU_DEP_1)
	v_and_b32_e32 v36, v36, v172
	v_mbcnt_lo_u32_b32 v174, v36, 0
	v_cmp_ne_u32_e64 s15, 0, v36
	s_delay_alu instid0(VALU_DEP_2)
	v_cmp_eq_u32_e32 vcc_lo, 0, v174
	s_and_b32 s16, s15, vcc_lo
	s_wait_alu 0xfffe
	s_and_saveexec_b32 s15, s16
	s_cbranch_execz .LBB606_152
; %bb.151:                              ;   in Loop: Header=BB606_96 Depth=2
	s_wait_dscnt 0x0
	v_bcnt_u32_b32 v36, v36, v173
	ds_store_b32 v175, v36 offset:1056
.LBB606_152:                            ;   in Loop: Header=BB606_96 Depth=2
	s_wait_alu 0xfffe
	s_or_b32 exec_lo, exec_lo, s15
	v_xor_b32_e32 v172, 0x80000000, v42
	; wave barrier
	s_delay_alu instid0(VALU_DEP_1) | instskip(NEXT) | instid1(VALU_DEP_1)
	v_lshrrev_b32_e32 v36, s31, v172
	v_and_b32_e32 v37, s48, v36
	s_delay_alu instid0(VALU_DEP_1)
	v_and_b32_e32 v36, 1, v37
	v_lshlrev_b32_e32 v42, 30, v37
	v_lshlrev_b32_e32 v43, 29, v37
	;; [unrolled: 1-line block ×4, first 2 shown]
	v_add_co_u32 v36, s15, v36, -1
	s_wait_alu 0xf1ff
	v_cndmask_b32_e64 v177, 0, 1, s15
	v_not_b32_e32 v181, v42
	v_cmp_gt_i32_e64 s15, 0, v42
	v_not_b32_e32 v42, v43
	v_lshlrev_b32_e32 v179, 26, v37
	v_cmp_ne_u32_e32 vcc_lo, 0, v177
	v_ashrrev_i32_e32 v181, 31, v181
	v_lshlrev_b32_e32 v180, 25, v37
	v_ashrrev_i32_e32 v42, 31, v42
	v_lshlrev_b32_e32 v177, 24, v37
	s_wait_alu 0xfffd
	v_xor_b32_e32 v36, vcc_lo, v36
	v_cmp_gt_i32_e32 vcc_lo, 0, v43
	v_not_b32_e32 v43, v176
	s_wait_alu 0xf1ff
	v_xor_b32_e32 v181, s15, v181
	v_cmp_gt_i32_e64 s15, 0, v176
	v_and_b32_e32 v36, exec_lo, v36
	v_not_b32_e32 v176, v178
	v_ashrrev_i32_e32 v43, 31, v43
	s_wait_alu 0xfffd
	v_xor_b32_e32 v42, vcc_lo, v42
	v_cmp_gt_i32_e32 vcc_lo, 0, v178
	v_and_b32_e32 v36, v36, v181
	v_not_b32_e32 v178, v179
	v_ashrrev_i32_e32 v176, 31, v176
	s_wait_alu 0xf1ff
	v_xor_b32_e32 v43, s15, v43
	v_cmp_gt_i32_e64 s15, 0, v179
	v_and_b32_e32 v36, v36, v42
	v_not_b32_e32 v42, v180
	v_ashrrev_i32_e32 v178, 31, v178
	s_wait_alu 0xfffd
	v_xor_b32_e32 v176, vcc_lo, v176
	v_cmp_gt_i32_e32 vcc_lo, 0, v180
	v_and_b32_e32 v36, v36, v43
	v_not_b32_e32 v43, v177
	v_ashrrev_i32_e32 v42, 31, v42
	s_wait_alu 0xf1ff
	v_xor_b32_e32 v178, s15, v178
	v_cmp_gt_i32_e64 s15, 0, v177
	v_and_b32_e32 v36, v36, v176
	v_ashrrev_i32_e32 v43, 31, v43
	s_wait_alu 0xfffd
	v_xor_b32_e32 v42, vcc_lo, v42
	v_mad_u32_u24 v176, v37, 36, v114
	v_mul_u32_u24_e32 v37, 36, v37
	v_and_b32_e32 v36, v36, v178
	s_wait_alu 0xf1ff
	v_xor_b32_e32 v43, s15, v43
	ds_load_b32 v177, v176 offset:1056
	v_add_nc_u32_e32 v179, v114, v37
	v_and_b32_e32 v36, v36, v42
	; wave barrier
	s_delay_alu instid0(VALU_DEP_1) | instskip(NEXT) | instid1(VALU_DEP_1)
	v_and_b32_e32 v36, v36, v43
	v_mbcnt_lo_u32_b32 v178, v36, 0
	v_cmp_ne_u32_e64 s15, 0, v36
	s_delay_alu instid0(VALU_DEP_2)
	v_cmp_eq_u32_e32 vcc_lo, 0, v178
	s_and_b32 s16, s15, vcc_lo
	s_wait_alu 0xfffe
	s_and_saveexec_b32 s15, s16
	s_cbranch_execz .LBB606_154
; %bb.153:                              ;   in Loop: Header=BB606_96 Depth=2
	s_wait_dscnt 0x0
	v_bcnt_u32_b32 v36, v36, v177
	ds_store_b32 v179, v36 offset:1056
.LBB606_154:                            ;   in Loop: Header=BB606_96 Depth=2
	s_wait_alu 0xfffe
	s_or_b32 exec_lo, exec_lo, s15
	v_xor_b32_e32 v176, 0x80000000, v41
	; wave barrier
	s_delay_alu instid0(VALU_DEP_1) | instskip(NEXT) | instid1(VALU_DEP_1)
	v_lshrrev_b32_e32 v36, s31, v176
	v_and_b32_e32 v37, s48, v36
	s_delay_alu instid0(VALU_DEP_1)
	v_and_b32_e32 v36, 1, v37
	v_lshlrev_b32_e32 v41, 30, v37
	v_lshlrev_b32_e32 v42, 29, v37
	;; [unrolled: 1-line block ×4, first 2 shown]
	v_add_co_u32 v36, s15, v36, -1
	s_wait_alu 0xf1ff
	v_cndmask_b32_e64 v180, 0, 1, s15
	v_not_b32_e32 v184, v41
	v_cmp_gt_i32_e64 s15, 0, v41
	v_not_b32_e32 v41, v42
	v_lshlrev_b32_e32 v182, 26, v37
	v_cmp_ne_u32_e32 vcc_lo, 0, v180
	v_ashrrev_i32_e32 v184, 31, v184
	v_lshlrev_b32_e32 v183, 25, v37
	v_ashrrev_i32_e32 v41, 31, v41
	v_lshlrev_b32_e32 v180, 24, v37
	s_wait_alu 0xfffd
	v_xor_b32_e32 v36, vcc_lo, v36
	v_cmp_gt_i32_e32 vcc_lo, 0, v42
	v_not_b32_e32 v42, v43
	s_wait_alu 0xf1ff
	v_xor_b32_e32 v184, s15, v184
	v_cmp_gt_i32_e64 s15, 0, v43
	v_and_b32_e32 v36, exec_lo, v36
	v_not_b32_e32 v43, v181
	v_ashrrev_i32_e32 v42, 31, v42
	s_wait_alu 0xfffd
	v_xor_b32_e32 v41, vcc_lo, v41
	v_cmp_gt_i32_e32 vcc_lo, 0, v181
	v_and_b32_e32 v36, v36, v184
	v_not_b32_e32 v181, v182
	v_ashrrev_i32_e32 v43, 31, v43
	s_wait_alu 0xf1ff
	v_xor_b32_e32 v42, s15, v42
	v_cmp_gt_i32_e64 s15, 0, v182
	v_and_b32_e32 v36, v36, v41
	v_not_b32_e32 v41, v183
	v_ashrrev_i32_e32 v181, 31, v181
	s_wait_alu 0xfffd
	v_xor_b32_e32 v43, vcc_lo, v43
	v_cmp_gt_i32_e32 vcc_lo, 0, v183
	v_and_b32_e32 v36, v36, v42
	v_not_b32_e32 v42, v180
	v_ashrrev_i32_e32 v41, 31, v41
	s_wait_alu 0xf1ff
	v_xor_b32_e32 v181, s15, v181
	v_cmp_gt_i32_e64 s15, 0, v180
	v_and_b32_e32 v36, v36, v43
	v_ashrrev_i32_e32 v42, 31, v42
	s_wait_alu 0xfffd
	v_xor_b32_e32 v41, vcc_lo, v41
	v_mad_u32_u24 v43, v37, 36, v114
	v_mul_u32_u24_e32 v37, 36, v37
	v_and_b32_e32 v36, v36, v181
	s_wait_alu 0xf1ff
	v_xor_b32_e32 v42, s15, v42
	ds_load_b32 v181, v43 offset:1056
	v_add_nc_u32_e32 v183, v114, v37
	v_and_b32_e32 v36, v36, v41
	; wave barrier
	s_delay_alu instid0(VALU_DEP_1) | instskip(NEXT) | instid1(VALU_DEP_1)
	v_and_b32_e32 v36, v36, v42
	v_mbcnt_lo_u32_b32 v182, v36, 0
	v_cmp_ne_u32_e64 s15, 0, v36
	s_delay_alu instid0(VALU_DEP_2)
	v_cmp_eq_u32_e32 vcc_lo, 0, v182
	s_and_b32 s16, s15, vcc_lo
	s_wait_alu 0xfffe
	s_and_saveexec_b32 s15, s16
	s_cbranch_execz .LBB606_156
; %bb.155:                              ;   in Loop: Header=BB606_96 Depth=2
	s_wait_dscnt 0x0
	v_bcnt_u32_b32 v36, v36, v181
	ds_store_b32 v183, v36 offset:1056
.LBB606_156:                            ;   in Loop: Header=BB606_96 Depth=2
	s_wait_alu 0xfffe
	s_or_b32 exec_lo, exec_lo, s15
	v_xor_b32_e32 v180, 0x80000000, v40
	; wave barrier
	s_delay_alu instid0(VALU_DEP_1) | instskip(NEXT) | instid1(VALU_DEP_1)
	v_lshrrev_b32_e32 v36, s31, v180
	v_and_b32_e32 v37, s48, v36
	s_delay_alu instid0(VALU_DEP_1)
	v_and_b32_e32 v36, 1, v37
	v_lshlrev_b32_e32 v40, 30, v37
	v_lshlrev_b32_e32 v41, 29, v37
	;; [unrolled: 1-line block ×4, first 2 shown]
	v_add_co_u32 v36, s15, v36, -1
	s_wait_alu 0xf1ff
	v_cndmask_b32_e64 v43, 0, 1, s15
	v_not_b32_e32 v187, v40
	v_cmp_gt_i32_e64 s15, 0, v40
	v_not_b32_e32 v40, v41
	v_lshlrev_b32_e32 v185, 26, v37
	v_cmp_ne_u32_e32 vcc_lo, 0, v43
	v_ashrrev_i32_e32 v187, 31, v187
	v_lshlrev_b32_e32 v186, 25, v37
	v_ashrrev_i32_e32 v40, 31, v40
	v_lshlrev_b32_e32 v43, 24, v37
	s_wait_alu 0xfffd
	v_xor_b32_e32 v36, vcc_lo, v36
	v_cmp_gt_i32_e32 vcc_lo, 0, v41
	v_not_b32_e32 v41, v42
	s_wait_alu 0xf1ff
	v_xor_b32_e32 v187, s15, v187
	v_cmp_gt_i32_e64 s15, 0, v42
	v_and_b32_e32 v36, exec_lo, v36
	v_not_b32_e32 v42, v184
	v_ashrrev_i32_e32 v41, 31, v41
	s_wait_alu 0xfffd
	v_xor_b32_e32 v40, vcc_lo, v40
	v_cmp_gt_i32_e32 vcc_lo, 0, v184
	v_and_b32_e32 v36, v36, v187
	v_not_b32_e32 v184, v185
	v_ashrrev_i32_e32 v42, 31, v42
	s_wait_alu 0xf1ff
	v_xor_b32_e32 v41, s15, v41
	v_cmp_gt_i32_e64 s15, 0, v185
	v_and_b32_e32 v36, v36, v40
	v_not_b32_e32 v40, v186
	v_ashrrev_i32_e32 v184, 31, v184
	s_wait_alu 0xfffd
	v_xor_b32_e32 v42, vcc_lo, v42
	v_cmp_gt_i32_e32 vcc_lo, 0, v186
	v_and_b32_e32 v36, v36, v41
	v_not_b32_e32 v41, v43
	v_ashrrev_i32_e32 v40, 31, v40
	s_wait_alu 0xf1ff
	v_xor_b32_e32 v184, s15, v184
	v_cmp_gt_i32_e64 s15, 0, v43
	v_and_b32_e32 v36, v36, v42
	v_ashrrev_i32_e32 v41, 31, v41
	s_wait_alu 0xfffd
	v_xor_b32_e32 v40, vcc_lo, v40
	v_mad_u32_u24 v42, v37, 36, v114
	v_mul_u32_u24_e32 v37, 36, v37
	v_and_b32_e32 v36, v36, v184
	s_wait_alu 0xf1ff
	v_xor_b32_e32 v41, s15, v41
	ds_load_b32 v185, v42 offset:1056
	v_add_nc_u32_e32 v187, v114, v37
	v_and_b32_e32 v36, v36, v40
	; wave barrier
	s_delay_alu instid0(VALU_DEP_1) | instskip(NEXT) | instid1(VALU_DEP_1)
	v_and_b32_e32 v36, v36, v41
	v_mbcnt_lo_u32_b32 v186, v36, 0
	v_cmp_ne_u32_e64 s15, 0, v36
	s_delay_alu instid0(VALU_DEP_2)
	v_cmp_eq_u32_e32 vcc_lo, 0, v186
	s_and_b32 s16, s15, vcc_lo
	s_wait_alu 0xfffe
	s_and_saveexec_b32 s15, s16
	s_cbranch_execz .LBB606_158
; %bb.157:                              ;   in Loop: Header=BB606_96 Depth=2
	s_wait_dscnt 0x0
	v_bcnt_u32_b32 v36, v36, v185
	ds_store_b32 v187, v36 offset:1056
.LBB606_158:                            ;   in Loop: Header=BB606_96 Depth=2
	s_wait_alu 0xfffe
	s_or_b32 exec_lo, exec_lo, s15
	v_xor_b32_e32 v184, 0x80000000, v39
	; wave barrier
	s_delay_alu instid0(VALU_DEP_1) | instskip(NEXT) | instid1(VALU_DEP_1)
	v_lshrrev_b32_e32 v36, s31, v184
	v_and_b32_e32 v37, s48, v36
	s_delay_alu instid0(VALU_DEP_1)
	v_and_b32_e32 v36, 1, v37
	v_lshlrev_b32_e32 v39, 30, v37
	v_lshlrev_b32_e32 v40, 29, v37
	;; [unrolled: 1-line block ×4, first 2 shown]
	v_add_co_u32 v36, s15, v36, -1
	s_wait_alu 0xf1ff
	v_cndmask_b32_e64 v42, 0, 1, s15
	v_not_b32_e32 v190, v39
	v_cmp_gt_i32_e64 s15, 0, v39
	v_not_b32_e32 v39, v40
	v_lshlrev_b32_e32 v188, 26, v37
	v_cmp_ne_u32_e32 vcc_lo, 0, v42
	v_ashrrev_i32_e32 v190, 31, v190
	v_lshlrev_b32_e32 v189, 25, v37
	v_ashrrev_i32_e32 v39, 31, v39
	v_lshlrev_b32_e32 v42, 24, v37
	s_wait_alu 0xfffd
	v_xor_b32_e32 v36, vcc_lo, v36
	v_cmp_gt_i32_e32 vcc_lo, 0, v40
	v_not_b32_e32 v40, v41
	s_wait_alu 0xf1ff
	v_xor_b32_e32 v190, s15, v190
	v_cmp_gt_i32_e64 s15, 0, v41
	v_and_b32_e32 v36, exec_lo, v36
	v_not_b32_e32 v41, v43
	v_ashrrev_i32_e32 v40, 31, v40
	s_wait_alu 0xfffd
	v_xor_b32_e32 v39, vcc_lo, v39
	v_cmp_gt_i32_e32 vcc_lo, 0, v43
	v_and_b32_e32 v36, v36, v190
	v_not_b32_e32 v43, v188
	v_ashrrev_i32_e32 v41, 31, v41
	s_wait_alu 0xf1ff
	v_xor_b32_e32 v40, s15, v40
	v_cmp_gt_i32_e64 s15, 0, v188
	v_and_b32_e32 v36, v36, v39
	v_not_b32_e32 v39, v189
	v_ashrrev_i32_e32 v43, 31, v43
	s_wait_alu 0xfffd
	v_xor_b32_e32 v41, vcc_lo, v41
	v_cmp_gt_i32_e32 vcc_lo, 0, v189
	v_and_b32_e32 v36, v36, v40
	v_not_b32_e32 v40, v42
	v_ashrrev_i32_e32 v39, 31, v39
	s_wait_alu 0xf1ff
	v_xor_b32_e32 v43, s15, v43
	v_cmp_gt_i32_e64 s15, 0, v42
	v_and_b32_e32 v36, v36, v41
	v_ashrrev_i32_e32 v40, 31, v40
	s_wait_alu 0xfffd
	v_xor_b32_e32 v39, vcc_lo, v39
	v_mad_u32_u24 v41, v37, 36, v114
	v_mul_u32_u24_e32 v37, 36, v37
	v_and_b32_e32 v36, v36, v43
	s_wait_alu 0xf1ff
	v_xor_b32_e32 v40, s15, v40
	ds_load_b32 v189, v41 offset:1056
	v_add_nc_u32_e32 v191, v114, v37
	v_and_b32_e32 v36, v36, v39
	; wave barrier
	s_delay_alu instid0(VALU_DEP_1) | instskip(NEXT) | instid1(VALU_DEP_1)
	v_and_b32_e32 v36, v36, v40
	v_mbcnt_lo_u32_b32 v190, v36, 0
	v_cmp_ne_u32_e64 s15, 0, v36
	s_delay_alu instid0(VALU_DEP_2)
	v_cmp_eq_u32_e32 vcc_lo, 0, v190
	s_and_b32 s16, s15, vcc_lo
	s_wait_alu 0xfffe
	s_and_saveexec_b32 s15, s16
	s_cbranch_execz .LBB606_160
; %bb.159:                              ;   in Loop: Header=BB606_96 Depth=2
	s_wait_dscnt 0x0
	v_bcnt_u32_b32 v36, v36, v189
	ds_store_b32 v191, v36 offset:1056
.LBB606_160:                            ;   in Loop: Header=BB606_96 Depth=2
	s_wait_alu 0xfffe
	s_or_b32 exec_lo, exec_lo, s15
	v_xor_b32_e32 v188, 0x80000000, v38
	; wave barrier
	s_delay_alu instid0(VALU_DEP_1) | instskip(NEXT) | instid1(VALU_DEP_1)
	v_lshrrev_b32_e32 v36, s31, v188
	v_and_b32_e32 v37, s48, v36
	s_delay_alu instid0(VALU_DEP_1)
	v_and_b32_e32 v36, 1, v37
	v_lshlrev_b32_e32 v38, 30, v37
	v_lshlrev_b32_e32 v39, 29, v37
	;; [unrolled: 1-line block ×4, first 2 shown]
	v_add_co_u32 v36, s15, v36, -1
	s_wait_alu 0xf1ff
	v_cndmask_b32_e64 v41, 0, 1, s15
	v_not_b32_e32 v193, v38
	v_cmp_gt_i32_e64 s15, 0, v38
	v_not_b32_e32 v38, v39
	v_lshlrev_b32_e32 v43, 26, v37
	v_cmp_ne_u32_e32 vcc_lo, 0, v41
	v_ashrrev_i32_e32 v193, 31, v193
	v_lshlrev_b32_e32 v192, 25, v37
	v_ashrrev_i32_e32 v38, 31, v38
	v_lshlrev_b32_e32 v41, 24, v37
	s_wait_alu 0xfffd
	v_xor_b32_e32 v36, vcc_lo, v36
	v_cmp_gt_i32_e32 vcc_lo, 0, v39
	v_not_b32_e32 v39, v40
	s_wait_alu 0xf1ff
	v_xor_b32_e32 v193, s15, v193
	v_cmp_gt_i32_e64 s15, 0, v40
	v_and_b32_e32 v36, exec_lo, v36
	v_not_b32_e32 v40, v42
	v_ashrrev_i32_e32 v39, 31, v39
	s_wait_alu 0xfffd
	v_xor_b32_e32 v38, vcc_lo, v38
	v_cmp_gt_i32_e32 vcc_lo, 0, v42
	v_and_b32_e32 v36, v36, v193
	v_not_b32_e32 v42, v43
	v_ashrrev_i32_e32 v40, 31, v40
	s_wait_alu 0xf1ff
	v_xor_b32_e32 v39, s15, v39
	v_cmp_gt_i32_e64 s15, 0, v43
	v_and_b32_e32 v36, v36, v38
	v_not_b32_e32 v38, v192
	v_ashrrev_i32_e32 v42, 31, v42
	s_wait_alu 0xfffd
	v_xor_b32_e32 v40, vcc_lo, v40
	v_cmp_gt_i32_e32 vcc_lo, 0, v192
	v_and_b32_e32 v36, v36, v39
	v_not_b32_e32 v39, v41
	v_ashrrev_i32_e32 v38, 31, v38
	s_wait_alu 0xf1ff
	v_xor_b32_e32 v42, s15, v42
	v_cmp_gt_i32_e64 s15, 0, v41
	v_and_b32_e32 v36, v36, v40
	v_ashrrev_i32_e32 v39, 31, v39
	s_wait_alu 0xfffd
	v_xor_b32_e32 v38, vcc_lo, v38
	v_mad_u32_u24 v40, v37, 36, v114
	v_mul_u32_u24_e32 v37, 36, v37
	v_and_b32_e32 v36, v36, v42
	s_wait_alu 0xf1ff
	v_xor_b32_e32 v39, s15, v39
	ds_load_b32 v192, v40 offset:1056
	v_add_nc_u32_e32 v194, v114, v37
	v_and_b32_e32 v36, v36, v38
	; wave barrier
	s_delay_alu instid0(VALU_DEP_1) | instskip(NEXT) | instid1(VALU_DEP_1)
	v_and_b32_e32 v36, v36, v39
	v_mbcnt_lo_u32_b32 v193, v36, 0
	v_cmp_ne_u32_e64 s15, 0, v36
	s_delay_alu instid0(VALU_DEP_2)
	v_cmp_eq_u32_e32 vcc_lo, 0, v193
	s_and_b32 s16, s15, vcc_lo
	s_wait_alu 0xfffe
	s_and_saveexec_b32 s15, s16
	s_cbranch_execz .LBB606_162
; %bb.161:                              ;   in Loop: Header=BB606_96 Depth=2
	s_wait_dscnt 0x0
	v_bcnt_u32_b32 v36, v36, v192
	ds_store_b32 v194, v36 offset:1056
.LBB606_162:                            ;   in Loop: Header=BB606_96 Depth=2
	s_wait_alu 0xfffe
	s_or_b32 exec_lo, exec_lo, s15
	v_lshrrev_b32_e32 v36, s31, v2
	; wave barrier
	s_delay_alu instid0(VALU_DEP_1) | instskip(NEXT) | instid1(VALU_DEP_1)
	v_and_b32_e32 v37, s48, v36
	v_and_b32_e32 v36, 1, v37
	v_lshlrev_b32_e32 v38, 30, v37
	v_lshlrev_b32_e32 v39, 29, v37
	;; [unrolled: 1-line block ×4, first 2 shown]
	v_add_co_u32 v36, s15, v36, -1
	s_wait_alu 0xf1ff
	v_cndmask_b32_e64 v41, 0, 1, s15
	v_not_b32_e32 v196, v38
	v_cmp_gt_i32_e64 s15, 0, v38
	v_not_b32_e32 v38, v39
	v_lshlrev_b32_e32 v43, 26, v37
	v_cmp_ne_u32_e32 vcc_lo, 0, v41
	v_ashrrev_i32_e32 v196, 31, v196
	v_lshlrev_b32_e32 v195, 25, v37
	v_ashrrev_i32_e32 v38, 31, v38
	v_lshlrev_b32_e32 v41, 24, v37
	s_wait_alu 0xfffd
	v_xor_b32_e32 v36, vcc_lo, v36
	v_cmp_gt_i32_e32 vcc_lo, 0, v39
	v_not_b32_e32 v39, v40
	s_wait_alu 0xf1ff
	v_xor_b32_e32 v196, s15, v196
	v_cmp_gt_i32_e64 s15, 0, v40
	v_and_b32_e32 v36, exec_lo, v36
	v_not_b32_e32 v40, v42
	v_ashrrev_i32_e32 v39, 31, v39
	s_wait_alu 0xfffd
	v_xor_b32_e32 v38, vcc_lo, v38
	v_cmp_gt_i32_e32 vcc_lo, 0, v42
	v_and_b32_e32 v36, v36, v196
	v_not_b32_e32 v42, v43
	v_ashrrev_i32_e32 v40, 31, v40
	s_wait_alu 0xf1ff
	v_xor_b32_e32 v39, s15, v39
	v_cmp_gt_i32_e64 s15, 0, v43
	v_and_b32_e32 v36, v36, v38
	v_not_b32_e32 v38, v195
	v_ashrrev_i32_e32 v42, 31, v42
	s_wait_alu 0xfffd
	v_xor_b32_e32 v40, vcc_lo, v40
	v_cmp_gt_i32_e32 vcc_lo, 0, v195
	v_and_b32_e32 v36, v36, v39
	v_not_b32_e32 v39, v41
	v_ashrrev_i32_e32 v38, 31, v38
	s_wait_alu 0xf1ff
	v_xor_b32_e32 v42, s15, v42
	v_cmp_gt_i32_e64 s15, 0, v41
	v_and_b32_e32 v36, v36, v40
	v_ashrrev_i32_e32 v39, 31, v39
	s_wait_alu 0xfffd
	v_xor_b32_e32 v38, vcc_lo, v38
	v_mad_u32_u24 v40, v37, 36, v114
	v_mul_u32_u24_e32 v37, 36, v37
	v_and_b32_e32 v36, v36, v42
	s_wait_alu 0xf1ff
	v_xor_b32_e32 v39, s15, v39
	ds_load_b32 v195, v40 offset:1056
	v_add_nc_u32_e32 v197, v114, v37
	v_and_b32_e32 v36, v36, v38
	; wave barrier
	s_delay_alu instid0(VALU_DEP_1) | instskip(NEXT) | instid1(VALU_DEP_1)
	v_and_b32_e32 v36, v36, v39
	v_mbcnt_lo_u32_b32 v196, v36, 0
	v_cmp_ne_u32_e64 s15, 0, v36
	s_delay_alu instid0(VALU_DEP_2)
	v_cmp_eq_u32_e32 vcc_lo, 0, v196
	s_and_b32 s16, s15, vcc_lo
	s_wait_alu 0xfffe
	s_and_saveexec_b32 s15, s16
	s_cbranch_execz .LBB606_164
; %bb.163:                              ;   in Loop: Header=BB606_96 Depth=2
	s_wait_dscnt 0x0
	v_bcnt_u32_b32 v36, v36, v195
	ds_store_b32 v197, v36 offset:1056
.LBB606_164:                            ;   in Loop: Header=BB606_96 Depth=2
	s_wait_alu 0xfffe
	s_or_b32 exec_lo, exec_lo, s15
	; wave barrier
	s_wait_loadcnt_dscnt 0x0
	s_barrier_signal -1
	s_barrier_wait -1
	global_inv scope:SCOPE_SE
	ds_load_2addr_b32 v[42:43], v136 offset1:1
	ds_load_2addr_b32 v[40:41], v137 offset1:1
	ds_load_2addr_b32 v[38:39], v138 offset1:1
	ds_load_2addr_b32 v[36:37], v135 offset1:1
	ds_load_b32 v198, v67 offset:1088
	s_wait_dscnt 0x3
	v_add3_u32 v199, v43, v42, v40
	s_wait_dscnt 0x2
	s_delay_alu instid0(VALU_DEP_1) | instskip(SKIP_1) | instid1(VALU_DEP_1)
	v_add3_u32 v199, v199, v41, v38
	s_wait_dscnt 0x1
	v_add3_u32 v199, v199, v39, v36
	s_wait_dscnt 0x0
	s_delay_alu instid0(VALU_DEP_1) | instskip(NEXT) | instid1(VALU_DEP_1)
	v_add3_u32 v198, v199, v37, v198
	v_mov_b32_dpp v199, v198 row_shr:1 row_mask:0xf bank_mask:0xf
	s_delay_alu instid0(VALU_DEP_1) | instskip(NEXT) | instid1(VALU_DEP_1)
	v_cndmask_b32_e64 v199, v199, 0, s0
	v_add_nc_u32_e32 v198, v199, v198
	s_delay_alu instid0(VALU_DEP_1) | instskip(NEXT) | instid1(VALU_DEP_1)
	v_mov_b32_dpp v199, v198 row_shr:2 row_mask:0xf bank_mask:0xf
	v_cndmask_b32_e64 v199, 0, v199, s1
	s_delay_alu instid0(VALU_DEP_1) | instskip(NEXT) | instid1(VALU_DEP_1)
	v_add_nc_u32_e32 v198, v198, v199
	v_mov_b32_dpp v199, v198 row_shr:4 row_mask:0xf bank_mask:0xf
	s_delay_alu instid0(VALU_DEP_1) | instskip(NEXT) | instid1(VALU_DEP_1)
	v_cndmask_b32_e64 v199, 0, v199, s9
	v_add_nc_u32_e32 v198, v198, v199
	s_delay_alu instid0(VALU_DEP_1) | instskip(NEXT) | instid1(VALU_DEP_1)
	v_mov_b32_dpp v199, v198 row_shr:8 row_mask:0xf bank_mask:0xf
	v_cndmask_b32_e64 v199, 0, v199, s10
	s_delay_alu instid0(VALU_DEP_1) | instskip(SKIP_3) | instid1(VALU_DEP_1)
	v_add_nc_u32_e32 v198, v198, v199
	ds_swizzle_b32 v199, v198 offset:swizzle(BROADCAST,32,15)
	s_wait_dscnt 0x0
	v_cndmask_b32_e64 v199, v199, 0, s11
	v_add_nc_u32_e32 v198, v198, v199
	s_and_saveexec_b32 s15, s3
; %bb.165:                              ;   in Loop: Header=BB606_96 Depth=2
	ds_store_b32 v63, v198 offset:1024
; %bb.166:                              ;   in Loop: Header=BB606_96 Depth=2
	s_wait_alu 0xfffe
	s_or_b32 exec_lo, exec_lo, s15
	s_wait_loadcnt_dscnt 0x0
	s_barrier_signal -1
	s_barrier_wait -1
	global_inv scope:SCOPE_SE
	s_and_saveexec_b32 s15, s4
	s_cbranch_execz .LBB606_168
; %bb.167:                              ;   in Loop: Header=BB606_96 Depth=2
	ds_load_b32 v199, v70 offset:1024
	s_wait_dscnt 0x0
	v_mov_b32_dpp v200, v199 row_shr:1 row_mask:0xf bank_mask:0xf
	s_delay_alu instid0(VALU_DEP_1) | instskip(NEXT) | instid1(VALU_DEP_1)
	v_cndmask_b32_e64 v200, v200, 0, s12
	v_add_nc_u32_e32 v199, v200, v199
	s_delay_alu instid0(VALU_DEP_1) | instskip(NEXT) | instid1(VALU_DEP_1)
	v_mov_b32_dpp v200, v199 row_shr:2 row_mask:0xf bank_mask:0xf
	v_cndmask_b32_e64 v200, 0, v200, s13
	s_delay_alu instid0(VALU_DEP_1) | instskip(NEXT) | instid1(VALU_DEP_1)
	v_add_nc_u32_e32 v199, v199, v200
	v_mov_b32_dpp v200, v199 row_shr:4 row_mask:0xf bank_mask:0xf
	s_delay_alu instid0(VALU_DEP_1) | instskip(NEXT) | instid1(VALU_DEP_1)
	v_cndmask_b32_e64 v200, 0, v200, s14
	v_add_nc_u32_e32 v199, v199, v200
	ds_store_b32 v70, v199 offset:1024
.LBB606_168:                            ;   in Loop: Header=BB606_96 Depth=2
	s_wait_alu 0xfffe
	s_or_b32 exec_lo, exec_lo, s15
	v_mov_b32_e32 v199, 0
	s_wait_loadcnt_dscnt 0x0
	s_barrier_signal -1
	s_barrier_wait -1
	global_inv scope:SCOPE_SE
	s_and_saveexec_b32 s15, s5
; %bb.169:                              ;   in Loop: Header=BB606_96 Depth=2
	ds_load_b32 v199, v63 offset:1020
; %bb.170:                              ;   in Loop: Header=BB606_96 Depth=2
	s_wait_alu 0xfffe
	s_or_b32 exec_lo, exec_lo, s15
	s_wait_dscnt 0x0
	v_add_nc_u32_e32 v198, v199, v198
	ds_bpermute_b32 v198, v113, v198
	s_wait_dscnt 0x0
	v_cndmask_b32_e64 v198, v198, v199, s8
	s_delay_alu instid0(VALU_DEP_1) | instskip(NEXT) | instid1(VALU_DEP_1)
	v_cndmask_b32_e64 v198, v198, 0, s6
	v_add_nc_u32_e32 v42, v198, v42
	s_delay_alu instid0(VALU_DEP_1) | instskip(NEXT) | instid1(VALU_DEP_1)
	v_add_nc_u32_e32 v43, v42, v43
	v_add_nc_u32_e32 v40, v43, v40
	s_delay_alu instid0(VALU_DEP_1) | instskip(NEXT) | instid1(VALU_DEP_1)
	v_add_nc_u32_e32 v41, v40, v41
	;; [unrolled: 3-line block ×3, first 2 shown]
	v_add_nc_u32_e32 v36, v39, v36
	s_delay_alu instid0(VALU_DEP_1)
	v_add_nc_u32_e32 v37, v36, v37
	ds_store_2addr_b32 v135, v39, v36 offset1:1
	ds_store_2addr_b32 v136, v198, v42 offset1:1
	;; [unrolled: 1-line block ×4, first 2 shown]
	ds_store_b32 v67, v37 offset:1088
	s_wait_loadcnt_dscnt 0x0
	s_barrier_signal -1
	s_barrier_wait -1
	global_inv scope:SCOPE_SE
	ds_load_b32 v39, v139 offset:1056
	ds_load_b32 v41, v143 offset:1056
	;; [unrolled: 1-line block ×17, first 2 shown]
	v_mov_b32_e32 v38, 0x1000
	s_and_saveexec_b32 s15, s7
; %bb.171:                              ;   in Loop: Header=BB606_96 Depth=2
	ds_load_b32 v38, v67 offset:1092
; %bb.172:                              ;   in Loop: Header=BB606_96 Depth=2
	s_wait_alu 0xfffe
	s_or_b32 exec_lo, exec_lo, s15
	s_wait_loadcnt_dscnt 0x0
	s_barrier_signal -1
	s_barrier_wait -1
	global_inv scope:SCOPE_SE
	s_and_saveexec_b32 s15, s2
	s_cbranch_execz .LBB606_174
; %bb.173:                              ;   in Loop: Header=BB606_96 Depth=2
	ds_load_b32 v139, v44
	s_wait_dscnt 0x0
	v_sub_nc_u32_e32 v138, v139, v138
	ds_store_b32 v44, v138
.LBB606_174:                            ;   in Loop: Header=BB606_96 Depth=2
	s_wait_alu 0xfffe
	s_or_b32 exec_lo, exec_lo, s15
	v_add_nc_u32_e32 v151, v39, v134
	v_add3_u32 v147, v142, v141, v41
	v_add3_u32 v143, v146, v145, v42
	;; [unrolled: 1-line block ×4, first 2 shown]
	v_lshlrev_b32_e32 v145, 2, v151
	v_add3_u32 v139, v158, v157, v136
	v_add3_u32 v138, v162, v161, v137
	;; [unrolled: 1-line block ×3, first 2 shown]
	v_lshlrev_b32_e32 v36, 2, v147
	v_add3_u32 v137, v166, v165, v159
	v_add3_u32 v42, v190, v189, v37
	v_lshlrev_b32_e32 v37, 2, v143
	v_add3_u32 v136, v170, v169, v164
	ds_store_b32 v145, v132 offset:1024
	v_lshlrev_b32_e32 v132, 2, v142
	v_add3_u32 v135, v174, v173, v167
	v_lshlrev_b32_e32 v145, 2, v141
	v_add3_u32 v134, v178, v177, v171
	;; [unrolled: 2-line block ×3, first 2 shown]
	ds_store_b32 v36, v133 offset:1024
	ds_store_b32 v37, v140 offset:1024
	;; [unrolled: 1-line block ×5, first 2 shown]
	v_lshlrev_b32_e32 v36, 2, v138
	v_lshlrev_b32_e32 v37, 2, v137
	v_lshlrev_b32_e32 v132, 2, v136
	v_add3_u32 v41, v193, v192, v40
	v_lshlrev_b32_e32 v133, 2, v135
	v_add3_u32 v40, v196, v195, v155
	v_lshlrev_b32_e32 v140, 2, v134
	ds_store_b32 v36, v156 offset:1024
	ds_store_b32 v37, v160 offset:1024
	;; [unrolled: 1-line block ×5, first 2 shown]
	v_lshlrev_b32_e32 v36, 2, v39
	v_cmp_lt_u32_e32 vcc_lo, v1, v131
	v_lshlrev_b32_e32 v37, 2, v43
	v_lshlrev_b32_e32 v132, 2, v42
	;; [unrolled: 1-line block ×4, first 2 shown]
	ds_store_b32 v36, v176 offset:1024
	ds_store_b32 v37, v180 offset:1024
	;; [unrolled: 1-line block ×5, first 2 shown]
	s_wait_loadcnt_dscnt 0x0
	s_barrier_signal -1
	s_barrier_wait -1
	global_inv scope:SCOPE_SE
	s_and_saveexec_b32 s16, vcc_lo
	s_cbranch_execnz .LBB606_243
; %bb.175:                              ;   in Loop: Header=BB606_96 Depth=2
	s_wait_alu 0xfffe
	s_or_b32 exec_lo, exec_lo, s16
	v_cmp_lt_u32_e64 s15, v45, v131
	s_and_saveexec_b32 s17, s15
	s_cbranch_execnz .LBB606_244
.LBB606_176:                            ;   in Loop: Header=BB606_96 Depth=2
	s_wait_alu 0xfffe
	s_or_b32 exec_lo, exec_lo, s17
	v_cmp_lt_u32_e64 s16, v46, v131
	s_and_saveexec_b32 s18, s16
	s_cbranch_execnz .LBB606_245
.LBB606_177:                            ;   in Loop: Header=BB606_96 Depth=2
	s_wait_alu 0xfffe
	s_or_b32 exec_lo, exec_lo, s18
	v_cmp_lt_u32_e64 s17, v47, v131
	s_and_saveexec_b32 s19, s17
	s_cbranch_execnz .LBB606_246
.LBB606_178:                            ;   in Loop: Header=BB606_96 Depth=2
	s_wait_alu 0xfffe
	s_or_b32 exec_lo, exec_lo, s19
	v_cmp_lt_u32_e64 s18, v50, v131
	s_and_saveexec_b32 s20, s18
	s_cbranch_execnz .LBB606_247
.LBB606_179:                            ;   in Loop: Header=BB606_96 Depth=2
	s_wait_alu 0xfffe
	s_or_b32 exec_lo, exec_lo, s20
	v_cmp_lt_u32_e64 s19, v51, v131
	s_and_saveexec_b32 s21, s19
	s_cbranch_execnz .LBB606_248
.LBB606_180:                            ;   in Loop: Header=BB606_96 Depth=2
	s_wait_alu 0xfffe
	s_or_b32 exec_lo, exec_lo, s21
	v_cmp_lt_u32_e64 s20, v52, v131
	s_and_saveexec_b32 s22, s20
	s_cbranch_execnz .LBB606_249
.LBB606_181:                            ;   in Loop: Header=BB606_96 Depth=2
	s_wait_alu 0xfffe
	s_or_b32 exec_lo, exec_lo, s22
	v_cmp_lt_u32_e64 s21, v53, v131
	s_and_saveexec_b32 s23, s21
	s_cbranch_execnz .LBB606_250
.LBB606_182:                            ;   in Loop: Header=BB606_96 Depth=2
	s_wait_alu 0xfffe
	s_or_b32 exec_lo, exec_lo, s23
	v_cmp_lt_u32_e64 s22, v54, v131
	s_and_saveexec_b32 s24, s22
	s_cbranch_execnz .LBB606_251
.LBB606_183:                            ;   in Loop: Header=BB606_96 Depth=2
	s_wait_alu 0xfffe
	s_or_b32 exec_lo, exec_lo, s24
	v_cmp_lt_u32_e64 s23, v55, v131
	s_and_saveexec_b32 s25, s23
	s_cbranch_execnz .LBB606_252
.LBB606_184:                            ;   in Loop: Header=BB606_96 Depth=2
	s_wait_alu 0xfffe
	s_or_b32 exec_lo, exec_lo, s25
	v_cmp_lt_u32_e64 s24, v56, v131
	s_and_saveexec_b32 s26, s24
	s_cbranch_execnz .LBB606_253
.LBB606_185:                            ;   in Loop: Header=BB606_96 Depth=2
	s_wait_alu 0xfffe
	s_or_b32 exec_lo, exec_lo, s26
	v_cmp_lt_u32_e64 s25, v57, v131
	s_and_saveexec_b32 s27, s25
	s_cbranch_execnz .LBB606_254
.LBB606_186:                            ;   in Loop: Header=BB606_96 Depth=2
	s_wait_alu 0xfffe
	s_or_b32 exec_lo, exec_lo, s27
	v_cmp_lt_u32_e64 s26, v58, v131
	s_and_saveexec_b32 s28, s26
	s_cbranch_execnz .LBB606_255
.LBB606_187:                            ;   in Loop: Header=BB606_96 Depth=2
	s_wait_alu 0xfffe
	s_or_b32 exec_lo, exec_lo, s28
	v_cmp_lt_u32_e64 s27, v59, v131
	s_and_saveexec_b32 s29, s27
	s_cbranch_execnz .LBB606_256
.LBB606_188:                            ;   in Loop: Header=BB606_96 Depth=2
	s_wait_alu 0xfffe
	s_or_b32 exec_lo, exec_lo, s29
	v_cmp_lt_u32_e64 s28, v60, v131
	s_and_saveexec_b32 s30, s28
	s_cbranch_execnz .LBB606_257
.LBB606_189:                            ;   in Loop: Header=BB606_96 Depth=2
	s_wait_alu 0xfffe
	s_or_b32 exec_lo, exec_lo, s30
	v_cmp_lt_u32_e64 s29, v61, v131
	s_and_saveexec_b32 s56, s29
	s_cbranch_execz .LBB606_191
.LBB606_190:                            ;   in Loop: Header=BB606_96 Depth=2
	ds_load_b32 v132, v70 offset:16384
	s_wait_dscnt 0x0
	v_lshrrev_b32_e32 v2, s31, v132
	s_delay_alu instid0(VALU_DEP_1) | instskip(NEXT) | instid1(VALU_DEP_1)
	v_and_b32_e32 v2, s48, v2
	v_lshlrev_b32_e32 v2, 2, v2
	ds_load_b32 v2, v2
	s_wait_dscnt 0x0
	v_add_nc_u32_e32 v2, v2, v61
	s_delay_alu instid0(VALU_DEP_1) | instskip(SKIP_1) | instid1(VALU_DEP_2)
	v_lshlrev_b64_e32 v[36:37], 2, v[2:3]
	v_xor_b32_e32 v2, 0x80000000, v132
	v_add_co_u32 v36, s30, s38, v36
	s_wait_alu 0xf1ff
	s_delay_alu instid0(VALU_DEP_3)
	v_add_co_ci_u32_e64 v37, null, s39, v37, s30
	global_store_b32 v[36:37], v2, off
.LBB606_191:                            ;   in Loop: Header=BB606_96 Depth=2
	s_wait_alu 0xfffe
	s_or_b32 exec_lo, exec_lo, s56
	s_lshl_b64 s[56:57], s[42:43], 3
	s_wait_alu 0xfffe
	v_add_co_u32 v36, s30, v109, s56
	s_wait_alu 0xf1ff
	v_add_co_ci_u32_e64 v37, null, s57, v110, s30
	v_cmp_lt_u32_e64 s30, v88, v131
	s_and_saveexec_b32 s42, s30
	s_wait_alu 0xfffe
	s_xor_b32 s30, exec_lo, s42
	s_cbranch_execnz .LBB606_258
; %bb.192:                              ;   in Loop: Header=BB606_96 Depth=2
	s_wait_alu 0xfffe
	s_or_b32 exec_lo, exec_lo, s30
	s_delay_alu instid0(SALU_CYCLE_1)
	s_mov_b32 s42, exec_lo
	v_cmpx_lt_u32_e64 v92, v131
	s_cbranch_execnz .LBB606_259
.LBB606_193:                            ;   in Loop: Header=BB606_96 Depth=2
	s_wait_alu 0xfffe
	s_or_b32 exec_lo, exec_lo, s42
	s_delay_alu instid0(SALU_CYCLE_1)
	s_mov_b32 s42, exec_lo
	v_cmpx_lt_u32_e64 v93, v131
	s_cbranch_execnz .LBB606_260
.LBB606_194:                            ;   in Loop: Header=BB606_96 Depth=2
	s_wait_alu 0xfffe
	s_or_b32 exec_lo, exec_lo, s42
	s_delay_alu instid0(SALU_CYCLE_1)
	s_mov_b32 s42, exec_lo
	v_cmpx_lt_u32_e64 v94, v131
	s_cbranch_execnz .LBB606_261
.LBB606_195:                            ;   in Loop: Header=BB606_96 Depth=2
	s_wait_alu 0xfffe
	s_or_b32 exec_lo, exec_lo, s42
	s_delay_alu instid0(SALU_CYCLE_1)
	s_mov_b32 s42, exec_lo
	v_cmpx_lt_u32_e64 v95, v131
	s_cbranch_execnz .LBB606_262
.LBB606_196:                            ;   in Loop: Header=BB606_96 Depth=2
	s_wait_alu 0xfffe
	s_or_b32 exec_lo, exec_lo, s42
	s_delay_alu instid0(SALU_CYCLE_1)
	s_mov_b32 s42, exec_lo
	v_cmpx_lt_u32_e64 v96, v131
	s_cbranch_execnz .LBB606_263
.LBB606_197:                            ;   in Loop: Header=BB606_96 Depth=2
	s_wait_alu 0xfffe
	s_or_b32 exec_lo, exec_lo, s42
	s_delay_alu instid0(SALU_CYCLE_1)
	s_mov_b32 s42, exec_lo
	v_cmpx_lt_u32_e64 v97, v131
	s_cbranch_execnz .LBB606_264
.LBB606_198:                            ;   in Loop: Header=BB606_96 Depth=2
	s_wait_alu 0xfffe
	s_or_b32 exec_lo, exec_lo, s42
	s_delay_alu instid0(SALU_CYCLE_1)
	s_mov_b32 s42, exec_lo
	v_cmpx_lt_u32_e64 v98, v131
	s_cbranch_execnz .LBB606_265
.LBB606_199:                            ;   in Loop: Header=BB606_96 Depth=2
	s_wait_alu 0xfffe
	s_or_b32 exec_lo, exec_lo, s42
	s_delay_alu instid0(SALU_CYCLE_1)
	s_mov_b32 s42, exec_lo
	v_cmpx_lt_u32_e64 v99, v131
	s_cbranch_execnz .LBB606_266
.LBB606_200:                            ;   in Loop: Header=BB606_96 Depth=2
	s_wait_alu 0xfffe
	s_or_b32 exec_lo, exec_lo, s42
	s_delay_alu instid0(SALU_CYCLE_1)
	s_mov_b32 s42, exec_lo
	v_cmpx_lt_u32_e64 v100, v131
	s_cbranch_execnz .LBB606_267
.LBB606_201:                            ;   in Loop: Header=BB606_96 Depth=2
	s_wait_alu 0xfffe
	s_or_b32 exec_lo, exec_lo, s42
	s_delay_alu instid0(SALU_CYCLE_1)
	s_mov_b32 s42, exec_lo
	v_cmpx_lt_u32_e64 v101, v131
	s_cbranch_execnz .LBB606_268
.LBB606_202:                            ;   in Loop: Header=BB606_96 Depth=2
	s_wait_alu 0xfffe
	s_or_b32 exec_lo, exec_lo, s42
	s_delay_alu instid0(SALU_CYCLE_1)
	s_mov_b32 s42, exec_lo
	v_cmpx_lt_u32_e64 v102, v131
	s_cbranch_execnz .LBB606_269
.LBB606_203:                            ;   in Loop: Header=BB606_96 Depth=2
	s_wait_alu 0xfffe
	s_or_b32 exec_lo, exec_lo, s42
	s_delay_alu instid0(SALU_CYCLE_1)
	s_mov_b32 s42, exec_lo
	v_cmpx_lt_u32_e64 v103, v131
	s_cbranch_execnz .LBB606_270
.LBB606_204:                            ;   in Loop: Header=BB606_96 Depth=2
	s_wait_alu 0xfffe
	s_or_b32 exec_lo, exec_lo, s42
	s_delay_alu instid0(SALU_CYCLE_1)
	s_mov_b32 s42, exec_lo
	v_cmpx_lt_u32_e64 v104, v131
	s_cbranch_execnz .LBB606_271
.LBB606_205:                            ;   in Loop: Header=BB606_96 Depth=2
	s_wait_alu 0xfffe
	s_or_b32 exec_lo, exec_lo, s42
	s_delay_alu instid0(SALU_CYCLE_1)
	s_mov_b32 s42, exec_lo
	v_cmpx_lt_u32_e64 v105, v131
	s_cbranch_execnz .LBB606_272
.LBB606_206:                            ;   in Loop: Header=BB606_96 Depth=2
	s_wait_alu 0xfffe
	s_or_b32 exec_lo, exec_lo, s42
	s_delay_alu instid0(SALU_CYCLE_1)
	s_mov_b32 s42, exec_lo
	v_cmpx_lt_u32_e64 v106, v131
	s_cbranch_execnz .LBB606_273
.LBB606_207:                            ;   in Loop: Header=BB606_96 Depth=2
	s_wait_alu 0xfffe
	s_or_b32 exec_lo, exec_lo, s42
	s_and_saveexec_b32 s30, vcc_lo
	s_cbranch_execnz .LBB606_274
.LBB606_208:                            ;   in Loop: Header=BB606_96 Depth=2
	s_wait_alu 0xfffe
	s_or_b32 exec_lo, exec_lo, s30
	s_and_saveexec_b32 s30, s15
	s_cbranch_execnz .LBB606_275
.LBB606_209:                            ;   in Loop: Header=BB606_96 Depth=2
	s_wait_alu 0xfffe
	s_or_b32 exec_lo, exec_lo, s30
	s_and_saveexec_b32 s30, s16
	s_cbranch_execnz .LBB606_276
.LBB606_210:                            ;   in Loop: Header=BB606_96 Depth=2
	s_wait_alu 0xfffe
	s_or_b32 exec_lo, exec_lo, s30
	s_and_saveexec_b32 s30, s17
	s_cbranch_execnz .LBB606_277
.LBB606_211:                            ;   in Loop: Header=BB606_96 Depth=2
	s_wait_alu 0xfffe
	s_or_b32 exec_lo, exec_lo, s30
	s_and_saveexec_b32 s30, s18
	s_cbranch_execnz .LBB606_278
.LBB606_212:                            ;   in Loop: Header=BB606_96 Depth=2
	s_wait_alu 0xfffe
	s_or_b32 exec_lo, exec_lo, s30
	s_and_saveexec_b32 s30, s19
	s_cbranch_execnz .LBB606_279
.LBB606_213:                            ;   in Loop: Header=BB606_96 Depth=2
	s_wait_alu 0xfffe
	s_or_b32 exec_lo, exec_lo, s30
	s_and_saveexec_b32 s30, s20
	s_cbranch_execnz .LBB606_280
.LBB606_214:                            ;   in Loop: Header=BB606_96 Depth=2
	s_wait_alu 0xfffe
	s_or_b32 exec_lo, exec_lo, s30
	s_and_saveexec_b32 s30, s21
	s_cbranch_execnz .LBB606_281
.LBB606_215:                            ;   in Loop: Header=BB606_96 Depth=2
	s_wait_alu 0xfffe
	s_or_b32 exec_lo, exec_lo, s30
	s_and_saveexec_b32 s30, s22
	s_cbranch_execnz .LBB606_282
.LBB606_216:                            ;   in Loop: Header=BB606_96 Depth=2
	s_wait_alu 0xfffe
	s_or_b32 exec_lo, exec_lo, s30
	s_and_saveexec_b32 s30, s23
	s_cbranch_execnz .LBB606_283
.LBB606_217:                            ;   in Loop: Header=BB606_96 Depth=2
	s_wait_alu 0xfffe
	s_or_b32 exec_lo, exec_lo, s30
	s_and_saveexec_b32 s30, s24
	s_cbranch_execnz .LBB606_284
.LBB606_218:                            ;   in Loop: Header=BB606_96 Depth=2
	s_wait_alu 0xfffe
	s_or_b32 exec_lo, exec_lo, s30
	s_and_saveexec_b32 s30, s25
	s_cbranch_execnz .LBB606_285
.LBB606_219:                            ;   in Loop: Header=BB606_96 Depth=2
	s_wait_alu 0xfffe
	s_or_b32 exec_lo, exec_lo, s30
	s_and_saveexec_b32 s30, s26
	s_cbranch_execnz .LBB606_286
.LBB606_220:                            ;   in Loop: Header=BB606_96 Depth=2
	s_wait_alu 0xfffe
	s_or_b32 exec_lo, exec_lo, s30
	s_and_saveexec_b32 s30, s27
	s_cbranch_execnz .LBB606_287
.LBB606_221:                            ;   in Loop: Header=BB606_96 Depth=2
	s_wait_alu 0xfffe
	s_or_b32 exec_lo, exec_lo, s30
	s_and_saveexec_b32 s30, s28
	s_cbranch_execnz .LBB606_288
.LBB606_222:                            ;   in Loop: Header=BB606_96 Depth=2
	s_wait_alu 0xfffe
	s_or_b32 exec_lo, exec_lo, s30
	s_and_saveexec_b32 s30, s29
	s_cbranch_execz .LBB606_224
.LBB606_223:                            ;   in Loop: Header=BB606_96 Depth=2
	ds_load_b32 v2, v70 offset:16384
	s_wait_dscnt 0x0
	v_lshrrev_b32_e32 v2, s31, v2
	s_delay_alu instid0(VALU_DEP_1)
	v_and_b32_e32 v115, s48, v2
.LBB606_224:                            ;   in Loop: Header=BB606_96 Depth=2
	s_wait_alu 0xfffe
	s_or_b32 exec_lo, exec_lo, s30
	v_lshlrev_b32_e32 v2, 3, v151
	s_wait_loadcnt 0x0
	s_wait_storecnt 0x0
	s_barrier_signal -1
	s_barrier_wait -1
	global_inv scope:SCOPE_SE
	ds_store_b64 v2, v[34:35] offset:1024
	v_lshlrev_b32_e32 v2, 3, v147
	v_lshlrev_b32_e32 v36, 3, v143
	v_lshlrev_b32_e32 v37, 3, v142
	v_lshlrev_b32_e32 v131, 3, v141
	v_lshlrev_b32_e32 v132, 3, v139
	ds_store_b64 v2, v[32:33] offset:1024
	ds_store_b64 v36, v[30:31] offset:1024
	ds_store_b64 v37, v[28:29] offset:1024
	ds_store_b64 v131, v[26:27] offset:1024
	ds_store_b64 v132, v[24:25] offset:1024
	v_lshlrev_b32_e32 v2, 3, v138
	v_lshlrev_b32_e32 v36, 3, v137
	v_lshlrev_b32_e32 v37, 3, v136
	v_lshlrev_b32_e32 v131, 3, v135
	v_lshlrev_b32_e32 v132, 3, v134
	ds_store_b64 v2, v[22:23] offset:1024
	ds_store_b64 v36, v[20:21] offset:1024
	ds_store_b64 v37, v[18:19] offset:1024
	ds_store_b64 v131, v[16:17] offset:1024
	;; [unrolled: 10-line block ×3, first 2 shown]
	ds_store_b64 v40, v[4:5] offset:1024
	s_wait_loadcnt_dscnt 0x0
	s_barrier_signal -1
	s_barrier_wait -1
	global_inv scope:SCOPE_SE
	s_and_saveexec_b32 s30, vcc_lo
	s_cbranch_execnz .LBB606_289
; %bb.225:                              ;   in Loop: Header=BB606_96 Depth=2
	s_wait_alu 0xfffe
	s_or_b32 exec_lo, exec_lo, s30
	s_and_saveexec_b32 s30, s15
	s_cbranch_execnz .LBB606_290
.LBB606_226:                            ;   in Loop: Header=BB606_96 Depth=2
	s_wait_alu 0xfffe
	s_or_b32 exec_lo, exec_lo, s30
	s_and_saveexec_b32 s15, s16
	s_cbranch_execnz .LBB606_291
.LBB606_227:                            ;   in Loop: Header=BB606_96 Depth=2
	s_wait_alu 0xfffe
	s_or_b32 exec_lo, exec_lo, s15
	s_and_saveexec_b32 s15, s17
	s_cbranch_execnz .LBB606_292
.LBB606_228:                            ;   in Loop: Header=BB606_96 Depth=2
	s_wait_alu 0xfffe
	s_or_b32 exec_lo, exec_lo, s15
	s_and_saveexec_b32 s15, s18
	s_cbranch_execnz .LBB606_293
.LBB606_229:                            ;   in Loop: Header=BB606_96 Depth=2
	s_wait_alu 0xfffe
	s_or_b32 exec_lo, exec_lo, s15
	s_and_saveexec_b32 s15, s19
	s_cbranch_execnz .LBB606_294
.LBB606_230:                            ;   in Loop: Header=BB606_96 Depth=2
	s_wait_alu 0xfffe
	s_or_b32 exec_lo, exec_lo, s15
	s_and_saveexec_b32 s15, s20
	s_cbranch_execnz .LBB606_295
.LBB606_231:                            ;   in Loop: Header=BB606_96 Depth=2
	s_wait_alu 0xfffe
	s_or_b32 exec_lo, exec_lo, s15
	s_and_saveexec_b32 s15, s21
	s_cbranch_execnz .LBB606_296
.LBB606_232:                            ;   in Loop: Header=BB606_96 Depth=2
	s_wait_alu 0xfffe
	s_or_b32 exec_lo, exec_lo, s15
	s_and_saveexec_b32 s15, s22
	s_cbranch_execnz .LBB606_297
.LBB606_233:                            ;   in Loop: Header=BB606_96 Depth=2
	s_wait_alu 0xfffe
	s_or_b32 exec_lo, exec_lo, s15
	s_and_saveexec_b32 s15, s23
	s_cbranch_execnz .LBB606_298
.LBB606_234:                            ;   in Loop: Header=BB606_96 Depth=2
	s_wait_alu 0xfffe
	s_or_b32 exec_lo, exec_lo, s15
	s_and_saveexec_b32 s15, s24
	s_cbranch_execnz .LBB606_299
.LBB606_235:                            ;   in Loop: Header=BB606_96 Depth=2
	s_wait_alu 0xfffe
	s_or_b32 exec_lo, exec_lo, s15
	s_and_saveexec_b32 s15, s25
	s_cbranch_execnz .LBB606_300
.LBB606_236:                            ;   in Loop: Header=BB606_96 Depth=2
	s_wait_alu 0xfffe
	s_or_b32 exec_lo, exec_lo, s15
	s_and_saveexec_b32 s15, s26
	s_cbranch_execnz .LBB606_301
.LBB606_237:                            ;   in Loop: Header=BB606_96 Depth=2
	s_wait_alu 0xfffe
	s_or_b32 exec_lo, exec_lo, s15
	s_and_saveexec_b32 s15, s27
	s_cbranch_execnz .LBB606_302
.LBB606_238:                            ;   in Loop: Header=BB606_96 Depth=2
	s_wait_alu 0xfffe
	s_or_b32 exec_lo, exec_lo, s15
	s_and_saveexec_b32 s15, s28
	s_cbranch_execnz .LBB606_303
.LBB606_239:                            ;   in Loop: Header=BB606_96 Depth=2
	s_wait_alu 0xfffe
	s_or_b32 exec_lo, exec_lo, s15
	s_and_saveexec_b32 s15, s29
	s_cbranch_execz .LBB606_241
.LBB606_240:                            ;   in Loop: Header=BB606_96 Depth=2
	v_lshlrev_b32_e32 v2, 2, v115
	v_add_nc_u32_e32 v36, v70, v44
	ds_load_b32 v2, v2
	ds_load_b64 v[36:37], v36 offset:31744
	s_wait_dscnt 0x1
	v_add_nc_u32_e32 v2, v2, v61
	s_delay_alu instid0(VALU_DEP_1) | instskip(NEXT) | instid1(VALU_DEP_1)
	v_lshlrev_b64_e32 v[39:40], 3, v[2:3]
	v_add_co_u32 v39, vcc_lo, s44, v39
	s_wait_alu 0xfffd
	s_delay_alu instid0(VALU_DEP_2)
	v_add_co_ci_u32_e64 v40, null, s45, v40, vcc_lo
	s_wait_dscnt 0x0
	global_store_b64 v[39:40], v[36:37], off
.LBB606_241:                            ;   in Loop: Header=BB606_96 Depth=2
	s_wait_alu 0xfffe
	s_or_b32 exec_lo, exec_lo, s15
	s_wait_loadcnt 0x0
	s_wait_storecnt 0x0
	s_barrier_signal -1
	s_barrier_wait -1
	global_inv scope:SCOPE_SE
	s_and_saveexec_b32 s15, s2
	s_cbranch_execz .LBB606_95
; %bb.242:                              ;   in Loop: Header=BB606_96 Depth=2
	ds_load_b32 v2, v44
	s_wait_dscnt 0x0
	v_add_nc_u32_e32 v2, v2, v38
	ds_store_b32 v44, v2
	s_branch .LBB606_95
.LBB606_243:                            ;   in Loop: Header=BB606_96 Depth=2
	ds_load_b32 v132, v70 offset:1024
	s_wait_dscnt 0x0
	v_lshrrev_b32_e32 v2, s31, v132
	s_delay_alu instid0(VALU_DEP_1) | instskip(NEXT) | instid1(VALU_DEP_1)
	v_and_b32_e32 v2, s48, v2
	v_lshlrev_b32_e32 v2, 2, v2
	ds_load_b32 v2, v2
	s_wait_dscnt 0x0
	v_add_nc_u32_e32 v2, v2, v1
	s_delay_alu instid0(VALU_DEP_1) | instskip(SKIP_1) | instid1(VALU_DEP_2)
	v_lshlrev_b64_e32 v[36:37], 2, v[2:3]
	v_xor_b32_e32 v2, 0x80000000, v132
	v_add_co_u32 v36, s15, s38, v36
	s_wait_alu 0xf1ff
	s_delay_alu instid0(VALU_DEP_3)
	v_add_co_ci_u32_e64 v37, null, s39, v37, s15
	global_store_b32 v[36:37], v2, off
	s_wait_alu 0xfffe
	s_or_b32 exec_lo, exec_lo, s16
	v_cmp_lt_u32_e64 s15, v45, v131
	s_and_saveexec_b32 s17, s15
	s_cbranch_execz .LBB606_176
.LBB606_244:                            ;   in Loop: Header=BB606_96 Depth=2
	ds_load_b32 v132, v70 offset:2048
	s_wait_dscnt 0x0
	v_lshrrev_b32_e32 v2, s31, v132
	s_delay_alu instid0(VALU_DEP_1) | instskip(NEXT) | instid1(VALU_DEP_1)
	v_and_b32_e32 v2, s48, v2
	v_lshlrev_b32_e32 v2, 2, v2
	ds_load_b32 v2, v2
	s_wait_dscnt 0x0
	v_add_nc_u32_e32 v2, v2, v45
	s_delay_alu instid0(VALU_DEP_1) | instskip(SKIP_1) | instid1(VALU_DEP_2)
	v_lshlrev_b64_e32 v[36:37], 2, v[2:3]
	v_xor_b32_e32 v2, 0x80000000, v132
	v_add_co_u32 v36, s16, s38, v36
	s_wait_alu 0xf1ff
	s_delay_alu instid0(VALU_DEP_3)
	v_add_co_ci_u32_e64 v37, null, s39, v37, s16
	global_store_b32 v[36:37], v2, off
	s_wait_alu 0xfffe
	s_or_b32 exec_lo, exec_lo, s17
	v_cmp_lt_u32_e64 s16, v46, v131
	s_and_saveexec_b32 s18, s16
	s_cbranch_execz .LBB606_177
.LBB606_245:                            ;   in Loop: Header=BB606_96 Depth=2
	ds_load_b32 v132, v70 offset:3072
	s_wait_dscnt 0x0
	v_lshrrev_b32_e32 v2, s31, v132
	s_delay_alu instid0(VALU_DEP_1) | instskip(NEXT) | instid1(VALU_DEP_1)
	v_and_b32_e32 v2, s48, v2
	v_lshlrev_b32_e32 v2, 2, v2
	ds_load_b32 v2, v2
	s_wait_dscnt 0x0
	v_add_nc_u32_e32 v2, v2, v46
	s_delay_alu instid0(VALU_DEP_1) | instskip(SKIP_1) | instid1(VALU_DEP_2)
	v_lshlrev_b64_e32 v[36:37], 2, v[2:3]
	v_xor_b32_e32 v2, 0x80000000, v132
	v_add_co_u32 v36, s17, s38, v36
	s_wait_alu 0xf1ff
	s_delay_alu instid0(VALU_DEP_3)
	v_add_co_ci_u32_e64 v37, null, s39, v37, s17
	global_store_b32 v[36:37], v2, off
	s_wait_alu 0xfffe
	s_or_b32 exec_lo, exec_lo, s18
	v_cmp_lt_u32_e64 s17, v47, v131
	s_and_saveexec_b32 s19, s17
	s_cbranch_execz .LBB606_178
.LBB606_246:                            ;   in Loop: Header=BB606_96 Depth=2
	ds_load_b32 v132, v70 offset:4096
	s_wait_dscnt 0x0
	v_lshrrev_b32_e32 v2, s31, v132
	s_delay_alu instid0(VALU_DEP_1) | instskip(NEXT) | instid1(VALU_DEP_1)
	v_and_b32_e32 v2, s48, v2
	v_lshlrev_b32_e32 v2, 2, v2
	ds_load_b32 v2, v2
	s_wait_dscnt 0x0
	v_add_nc_u32_e32 v2, v2, v47
	s_delay_alu instid0(VALU_DEP_1) | instskip(SKIP_1) | instid1(VALU_DEP_2)
	v_lshlrev_b64_e32 v[36:37], 2, v[2:3]
	v_xor_b32_e32 v2, 0x80000000, v132
	v_add_co_u32 v36, s18, s38, v36
	s_wait_alu 0xf1ff
	s_delay_alu instid0(VALU_DEP_3)
	v_add_co_ci_u32_e64 v37, null, s39, v37, s18
	global_store_b32 v[36:37], v2, off
	s_wait_alu 0xfffe
	s_or_b32 exec_lo, exec_lo, s19
	v_cmp_lt_u32_e64 s18, v50, v131
	s_and_saveexec_b32 s20, s18
	s_cbranch_execz .LBB606_179
.LBB606_247:                            ;   in Loop: Header=BB606_96 Depth=2
	ds_load_b32 v132, v70 offset:5120
	s_wait_dscnt 0x0
	v_lshrrev_b32_e32 v2, s31, v132
	s_delay_alu instid0(VALU_DEP_1) | instskip(NEXT) | instid1(VALU_DEP_1)
	v_and_b32_e32 v2, s48, v2
	v_lshlrev_b32_e32 v2, 2, v2
	ds_load_b32 v2, v2
	s_wait_dscnt 0x0
	v_add_nc_u32_e32 v2, v2, v50
	s_delay_alu instid0(VALU_DEP_1) | instskip(SKIP_1) | instid1(VALU_DEP_2)
	v_lshlrev_b64_e32 v[36:37], 2, v[2:3]
	v_xor_b32_e32 v2, 0x80000000, v132
	v_add_co_u32 v36, s19, s38, v36
	s_wait_alu 0xf1ff
	s_delay_alu instid0(VALU_DEP_3)
	v_add_co_ci_u32_e64 v37, null, s39, v37, s19
	global_store_b32 v[36:37], v2, off
	s_wait_alu 0xfffe
	s_or_b32 exec_lo, exec_lo, s20
	v_cmp_lt_u32_e64 s19, v51, v131
	s_and_saveexec_b32 s21, s19
	s_cbranch_execz .LBB606_180
.LBB606_248:                            ;   in Loop: Header=BB606_96 Depth=2
	ds_load_b32 v132, v70 offset:6144
	s_wait_dscnt 0x0
	v_lshrrev_b32_e32 v2, s31, v132
	s_delay_alu instid0(VALU_DEP_1) | instskip(NEXT) | instid1(VALU_DEP_1)
	v_and_b32_e32 v2, s48, v2
	v_lshlrev_b32_e32 v2, 2, v2
	ds_load_b32 v2, v2
	s_wait_dscnt 0x0
	v_add_nc_u32_e32 v2, v2, v51
	s_delay_alu instid0(VALU_DEP_1) | instskip(SKIP_1) | instid1(VALU_DEP_2)
	v_lshlrev_b64_e32 v[36:37], 2, v[2:3]
	v_xor_b32_e32 v2, 0x80000000, v132
	v_add_co_u32 v36, s20, s38, v36
	s_wait_alu 0xf1ff
	s_delay_alu instid0(VALU_DEP_3)
	v_add_co_ci_u32_e64 v37, null, s39, v37, s20
	global_store_b32 v[36:37], v2, off
	s_wait_alu 0xfffe
	s_or_b32 exec_lo, exec_lo, s21
	v_cmp_lt_u32_e64 s20, v52, v131
	s_and_saveexec_b32 s22, s20
	s_cbranch_execz .LBB606_181
.LBB606_249:                            ;   in Loop: Header=BB606_96 Depth=2
	ds_load_b32 v132, v70 offset:7168
	s_wait_dscnt 0x0
	v_lshrrev_b32_e32 v2, s31, v132
	s_delay_alu instid0(VALU_DEP_1) | instskip(NEXT) | instid1(VALU_DEP_1)
	v_and_b32_e32 v2, s48, v2
	v_lshlrev_b32_e32 v2, 2, v2
	ds_load_b32 v2, v2
	s_wait_dscnt 0x0
	v_add_nc_u32_e32 v2, v2, v52
	s_delay_alu instid0(VALU_DEP_1) | instskip(SKIP_1) | instid1(VALU_DEP_2)
	v_lshlrev_b64_e32 v[36:37], 2, v[2:3]
	v_xor_b32_e32 v2, 0x80000000, v132
	v_add_co_u32 v36, s21, s38, v36
	s_wait_alu 0xf1ff
	s_delay_alu instid0(VALU_DEP_3)
	v_add_co_ci_u32_e64 v37, null, s39, v37, s21
	global_store_b32 v[36:37], v2, off
	s_wait_alu 0xfffe
	s_or_b32 exec_lo, exec_lo, s22
	v_cmp_lt_u32_e64 s21, v53, v131
	s_and_saveexec_b32 s23, s21
	s_cbranch_execz .LBB606_182
.LBB606_250:                            ;   in Loop: Header=BB606_96 Depth=2
	ds_load_b32 v132, v70 offset:8192
	s_wait_dscnt 0x0
	v_lshrrev_b32_e32 v2, s31, v132
	s_delay_alu instid0(VALU_DEP_1) | instskip(NEXT) | instid1(VALU_DEP_1)
	v_and_b32_e32 v2, s48, v2
	v_lshlrev_b32_e32 v2, 2, v2
	ds_load_b32 v2, v2
	s_wait_dscnt 0x0
	v_add_nc_u32_e32 v2, v2, v53
	s_delay_alu instid0(VALU_DEP_1) | instskip(SKIP_1) | instid1(VALU_DEP_2)
	v_lshlrev_b64_e32 v[36:37], 2, v[2:3]
	v_xor_b32_e32 v2, 0x80000000, v132
	v_add_co_u32 v36, s22, s38, v36
	s_wait_alu 0xf1ff
	s_delay_alu instid0(VALU_DEP_3)
	v_add_co_ci_u32_e64 v37, null, s39, v37, s22
	global_store_b32 v[36:37], v2, off
	s_wait_alu 0xfffe
	s_or_b32 exec_lo, exec_lo, s23
	v_cmp_lt_u32_e64 s22, v54, v131
	s_and_saveexec_b32 s24, s22
	s_cbranch_execz .LBB606_183
.LBB606_251:                            ;   in Loop: Header=BB606_96 Depth=2
	ds_load_b32 v132, v70 offset:9216
	s_wait_dscnt 0x0
	v_lshrrev_b32_e32 v2, s31, v132
	s_delay_alu instid0(VALU_DEP_1) | instskip(NEXT) | instid1(VALU_DEP_1)
	v_and_b32_e32 v2, s48, v2
	v_lshlrev_b32_e32 v2, 2, v2
	ds_load_b32 v2, v2
	s_wait_dscnt 0x0
	v_add_nc_u32_e32 v2, v2, v54
	s_delay_alu instid0(VALU_DEP_1) | instskip(SKIP_1) | instid1(VALU_DEP_2)
	v_lshlrev_b64_e32 v[36:37], 2, v[2:3]
	v_xor_b32_e32 v2, 0x80000000, v132
	v_add_co_u32 v36, s23, s38, v36
	s_wait_alu 0xf1ff
	s_delay_alu instid0(VALU_DEP_3)
	v_add_co_ci_u32_e64 v37, null, s39, v37, s23
	global_store_b32 v[36:37], v2, off
	s_wait_alu 0xfffe
	s_or_b32 exec_lo, exec_lo, s24
	v_cmp_lt_u32_e64 s23, v55, v131
	s_and_saveexec_b32 s25, s23
	s_cbranch_execz .LBB606_184
.LBB606_252:                            ;   in Loop: Header=BB606_96 Depth=2
	ds_load_b32 v132, v70 offset:10240
	s_wait_dscnt 0x0
	v_lshrrev_b32_e32 v2, s31, v132
	s_delay_alu instid0(VALU_DEP_1) | instskip(NEXT) | instid1(VALU_DEP_1)
	v_and_b32_e32 v2, s48, v2
	v_lshlrev_b32_e32 v2, 2, v2
	ds_load_b32 v2, v2
	s_wait_dscnt 0x0
	v_add_nc_u32_e32 v2, v2, v55
	s_delay_alu instid0(VALU_DEP_1) | instskip(SKIP_1) | instid1(VALU_DEP_2)
	v_lshlrev_b64_e32 v[36:37], 2, v[2:3]
	v_xor_b32_e32 v2, 0x80000000, v132
	v_add_co_u32 v36, s24, s38, v36
	s_wait_alu 0xf1ff
	s_delay_alu instid0(VALU_DEP_3)
	v_add_co_ci_u32_e64 v37, null, s39, v37, s24
	global_store_b32 v[36:37], v2, off
	s_wait_alu 0xfffe
	s_or_b32 exec_lo, exec_lo, s25
	v_cmp_lt_u32_e64 s24, v56, v131
	s_and_saveexec_b32 s26, s24
	s_cbranch_execz .LBB606_185
.LBB606_253:                            ;   in Loop: Header=BB606_96 Depth=2
	ds_load_b32 v132, v70 offset:11264
	s_wait_dscnt 0x0
	v_lshrrev_b32_e32 v2, s31, v132
	s_delay_alu instid0(VALU_DEP_1) | instskip(NEXT) | instid1(VALU_DEP_1)
	v_and_b32_e32 v2, s48, v2
	v_lshlrev_b32_e32 v2, 2, v2
	ds_load_b32 v2, v2
	s_wait_dscnt 0x0
	v_add_nc_u32_e32 v2, v2, v56
	s_delay_alu instid0(VALU_DEP_1) | instskip(SKIP_1) | instid1(VALU_DEP_2)
	v_lshlrev_b64_e32 v[36:37], 2, v[2:3]
	v_xor_b32_e32 v2, 0x80000000, v132
	v_add_co_u32 v36, s25, s38, v36
	s_wait_alu 0xf1ff
	s_delay_alu instid0(VALU_DEP_3)
	v_add_co_ci_u32_e64 v37, null, s39, v37, s25
	global_store_b32 v[36:37], v2, off
	s_wait_alu 0xfffe
	s_or_b32 exec_lo, exec_lo, s26
	v_cmp_lt_u32_e64 s25, v57, v131
	s_and_saveexec_b32 s27, s25
	s_cbranch_execz .LBB606_186
.LBB606_254:                            ;   in Loop: Header=BB606_96 Depth=2
	ds_load_b32 v132, v70 offset:12288
	s_wait_dscnt 0x0
	v_lshrrev_b32_e32 v2, s31, v132
	s_delay_alu instid0(VALU_DEP_1) | instskip(NEXT) | instid1(VALU_DEP_1)
	v_and_b32_e32 v2, s48, v2
	v_lshlrev_b32_e32 v2, 2, v2
	ds_load_b32 v2, v2
	s_wait_dscnt 0x0
	v_add_nc_u32_e32 v2, v2, v57
	s_delay_alu instid0(VALU_DEP_1) | instskip(SKIP_1) | instid1(VALU_DEP_2)
	v_lshlrev_b64_e32 v[36:37], 2, v[2:3]
	v_xor_b32_e32 v2, 0x80000000, v132
	v_add_co_u32 v36, s26, s38, v36
	s_wait_alu 0xf1ff
	s_delay_alu instid0(VALU_DEP_3)
	v_add_co_ci_u32_e64 v37, null, s39, v37, s26
	global_store_b32 v[36:37], v2, off
	s_wait_alu 0xfffe
	s_or_b32 exec_lo, exec_lo, s27
	v_cmp_lt_u32_e64 s26, v58, v131
	s_and_saveexec_b32 s28, s26
	s_cbranch_execz .LBB606_187
.LBB606_255:                            ;   in Loop: Header=BB606_96 Depth=2
	ds_load_b32 v132, v70 offset:13312
	s_wait_dscnt 0x0
	v_lshrrev_b32_e32 v2, s31, v132
	s_delay_alu instid0(VALU_DEP_1) | instskip(NEXT) | instid1(VALU_DEP_1)
	v_and_b32_e32 v2, s48, v2
	v_lshlrev_b32_e32 v2, 2, v2
	ds_load_b32 v2, v2
	s_wait_dscnt 0x0
	v_add_nc_u32_e32 v2, v2, v58
	s_delay_alu instid0(VALU_DEP_1) | instskip(SKIP_1) | instid1(VALU_DEP_2)
	v_lshlrev_b64_e32 v[36:37], 2, v[2:3]
	v_xor_b32_e32 v2, 0x80000000, v132
	v_add_co_u32 v36, s27, s38, v36
	s_wait_alu 0xf1ff
	s_delay_alu instid0(VALU_DEP_3)
	v_add_co_ci_u32_e64 v37, null, s39, v37, s27
	global_store_b32 v[36:37], v2, off
	s_wait_alu 0xfffe
	s_or_b32 exec_lo, exec_lo, s28
	v_cmp_lt_u32_e64 s27, v59, v131
	s_and_saveexec_b32 s29, s27
	s_cbranch_execz .LBB606_188
.LBB606_256:                            ;   in Loop: Header=BB606_96 Depth=2
	ds_load_b32 v132, v70 offset:14336
	s_wait_dscnt 0x0
	v_lshrrev_b32_e32 v2, s31, v132
	s_delay_alu instid0(VALU_DEP_1) | instskip(NEXT) | instid1(VALU_DEP_1)
	v_and_b32_e32 v2, s48, v2
	v_lshlrev_b32_e32 v2, 2, v2
	ds_load_b32 v2, v2
	s_wait_dscnt 0x0
	v_add_nc_u32_e32 v2, v2, v59
	s_delay_alu instid0(VALU_DEP_1) | instskip(SKIP_1) | instid1(VALU_DEP_2)
	v_lshlrev_b64_e32 v[36:37], 2, v[2:3]
	v_xor_b32_e32 v2, 0x80000000, v132
	v_add_co_u32 v36, s28, s38, v36
	s_wait_alu 0xf1ff
	s_delay_alu instid0(VALU_DEP_3)
	v_add_co_ci_u32_e64 v37, null, s39, v37, s28
	global_store_b32 v[36:37], v2, off
	s_wait_alu 0xfffe
	s_or_b32 exec_lo, exec_lo, s29
	v_cmp_lt_u32_e64 s28, v60, v131
	s_and_saveexec_b32 s30, s28
	s_cbranch_execz .LBB606_189
.LBB606_257:                            ;   in Loop: Header=BB606_96 Depth=2
	ds_load_b32 v132, v70 offset:15360
	s_wait_dscnt 0x0
	v_lshrrev_b32_e32 v2, s31, v132
	s_delay_alu instid0(VALU_DEP_1) | instskip(NEXT) | instid1(VALU_DEP_1)
	v_and_b32_e32 v2, s48, v2
	v_lshlrev_b32_e32 v2, 2, v2
	ds_load_b32 v2, v2
	s_wait_dscnt 0x0
	v_add_nc_u32_e32 v2, v2, v60
	s_delay_alu instid0(VALU_DEP_1) | instskip(SKIP_1) | instid1(VALU_DEP_2)
	v_lshlrev_b64_e32 v[36:37], 2, v[2:3]
	v_xor_b32_e32 v2, 0x80000000, v132
	v_add_co_u32 v36, s29, s38, v36
	s_wait_alu 0xf1ff
	s_delay_alu instid0(VALU_DEP_3)
	v_add_co_ci_u32_e64 v37, null, s39, v37, s29
	global_store_b32 v[36:37], v2, off
	s_wait_alu 0xfffe
	s_or_b32 exec_lo, exec_lo, s30
	v_cmp_lt_u32_e64 s29, v61, v131
	s_and_saveexec_b32 s56, s29
	s_cbranch_execnz .LBB606_190
	s_branch .LBB606_191
.LBB606_258:                            ;   in Loop: Header=BB606_96 Depth=2
	global_load_b64 v[34:35], v[36:37], off
	s_wait_alu 0xfffe
	s_or_b32 exec_lo, exec_lo, s30
	s_delay_alu instid0(SALU_CYCLE_1)
	s_mov_b32 s42, exec_lo
	v_cmpx_lt_u32_e64 v92, v131
	s_cbranch_execz .LBB606_193
.LBB606_259:                            ;   in Loop: Header=BB606_96 Depth=2
	global_load_b64 v[32:33], v[36:37], off offset:256
	s_wait_alu 0xfffe
	s_or_b32 exec_lo, exec_lo, s42
	s_delay_alu instid0(SALU_CYCLE_1)
	s_mov_b32 s42, exec_lo
	v_cmpx_lt_u32_e64 v93, v131
	s_cbranch_execz .LBB606_194
.LBB606_260:                            ;   in Loop: Header=BB606_96 Depth=2
	global_load_b64 v[30:31], v[36:37], off offset:512
	s_wait_alu 0xfffe
	s_or_b32 exec_lo, exec_lo, s42
	s_delay_alu instid0(SALU_CYCLE_1)
	s_mov_b32 s42, exec_lo
	v_cmpx_lt_u32_e64 v94, v131
	s_cbranch_execz .LBB606_195
.LBB606_261:                            ;   in Loop: Header=BB606_96 Depth=2
	global_load_b64 v[28:29], v[36:37], off offset:768
	s_wait_alu 0xfffe
	s_or_b32 exec_lo, exec_lo, s42
	s_delay_alu instid0(SALU_CYCLE_1)
	s_mov_b32 s42, exec_lo
	v_cmpx_lt_u32_e64 v95, v131
	s_cbranch_execz .LBB606_196
.LBB606_262:                            ;   in Loop: Header=BB606_96 Depth=2
	global_load_b64 v[26:27], v[36:37], off offset:1024
	s_wait_alu 0xfffe
	s_or_b32 exec_lo, exec_lo, s42
	s_delay_alu instid0(SALU_CYCLE_1)
	s_mov_b32 s42, exec_lo
	v_cmpx_lt_u32_e64 v96, v131
	s_cbranch_execz .LBB606_197
.LBB606_263:                            ;   in Loop: Header=BB606_96 Depth=2
	global_load_b64 v[24:25], v[36:37], off offset:1280
	s_wait_alu 0xfffe
	s_or_b32 exec_lo, exec_lo, s42
	s_delay_alu instid0(SALU_CYCLE_1)
	s_mov_b32 s42, exec_lo
	v_cmpx_lt_u32_e64 v97, v131
	s_cbranch_execz .LBB606_198
.LBB606_264:                            ;   in Loop: Header=BB606_96 Depth=2
	global_load_b64 v[22:23], v[36:37], off offset:1536
	s_wait_alu 0xfffe
	s_or_b32 exec_lo, exec_lo, s42
	s_delay_alu instid0(SALU_CYCLE_1)
	s_mov_b32 s42, exec_lo
	v_cmpx_lt_u32_e64 v98, v131
	s_cbranch_execz .LBB606_199
.LBB606_265:                            ;   in Loop: Header=BB606_96 Depth=2
	global_load_b64 v[20:21], v[36:37], off offset:1792
	s_wait_alu 0xfffe
	s_or_b32 exec_lo, exec_lo, s42
	s_delay_alu instid0(SALU_CYCLE_1)
	s_mov_b32 s42, exec_lo
	v_cmpx_lt_u32_e64 v99, v131
	s_cbranch_execz .LBB606_200
.LBB606_266:                            ;   in Loop: Header=BB606_96 Depth=2
	global_load_b64 v[18:19], v[36:37], off offset:2048
	s_wait_alu 0xfffe
	s_or_b32 exec_lo, exec_lo, s42
	s_delay_alu instid0(SALU_CYCLE_1)
	s_mov_b32 s42, exec_lo
	v_cmpx_lt_u32_e64 v100, v131
	s_cbranch_execz .LBB606_201
.LBB606_267:                            ;   in Loop: Header=BB606_96 Depth=2
	global_load_b64 v[16:17], v[36:37], off offset:2304
	s_wait_alu 0xfffe
	s_or_b32 exec_lo, exec_lo, s42
	s_delay_alu instid0(SALU_CYCLE_1)
	s_mov_b32 s42, exec_lo
	v_cmpx_lt_u32_e64 v101, v131
	s_cbranch_execz .LBB606_202
.LBB606_268:                            ;   in Loop: Header=BB606_96 Depth=2
	global_load_b64 v[14:15], v[36:37], off offset:2560
	s_wait_alu 0xfffe
	s_or_b32 exec_lo, exec_lo, s42
	s_delay_alu instid0(SALU_CYCLE_1)
	s_mov_b32 s42, exec_lo
	v_cmpx_lt_u32_e64 v102, v131
	s_cbranch_execz .LBB606_203
.LBB606_269:                            ;   in Loop: Header=BB606_96 Depth=2
	global_load_b64 v[12:13], v[36:37], off offset:2816
	s_wait_alu 0xfffe
	s_or_b32 exec_lo, exec_lo, s42
	s_delay_alu instid0(SALU_CYCLE_1)
	s_mov_b32 s42, exec_lo
	v_cmpx_lt_u32_e64 v103, v131
	s_cbranch_execz .LBB606_204
.LBB606_270:                            ;   in Loop: Header=BB606_96 Depth=2
	global_load_b64 v[10:11], v[36:37], off offset:3072
	s_wait_alu 0xfffe
	s_or_b32 exec_lo, exec_lo, s42
	s_delay_alu instid0(SALU_CYCLE_1)
	s_mov_b32 s42, exec_lo
	v_cmpx_lt_u32_e64 v104, v131
	s_cbranch_execz .LBB606_205
.LBB606_271:                            ;   in Loop: Header=BB606_96 Depth=2
	global_load_b64 v[8:9], v[36:37], off offset:3328
	s_wait_alu 0xfffe
	s_or_b32 exec_lo, exec_lo, s42
	s_delay_alu instid0(SALU_CYCLE_1)
	s_mov_b32 s42, exec_lo
	v_cmpx_lt_u32_e64 v105, v131
	s_cbranch_execz .LBB606_206
.LBB606_272:                            ;   in Loop: Header=BB606_96 Depth=2
	global_load_b64 v[6:7], v[36:37], off offset:3584
	s_wait_alu 0xfffe
	s_or_b32 exec_lo, exec_lo, s42
	s_delay_alu instid0(SALU_CYCLE_1)
	s_mov_b32 s42, exec_lo
	v_cmpx_lt_u32_e64 v106, v131
	s_cbranch_execz .LBB606_207
.LBB606_273:                            ;   in Loop: Header=BB606_96 Depth=2
	global_load_b64 v[4:5], v[36:37], off offset:3840
	s_wait_alu 0xfffe
	s_or_b32 exec_lo, exec_lo, s42
	s_and_saveexec_b32 s30, vcc_lo
	s_cbranch_execz .LBB606_208
.LBB606_274:                            ;   in Loop: Header=BB606_96 Depth=2
	ds_load_b32 v2, v70 offset:1024
	s_wait_dscnt 0x0
	v_lshrrev_b32_e32 v2, s31, v2
	s_delay_alu instid0(VALU_DEP_1)
	v_and_b32_e32 v130, s48, v2
	s_wait_alu 0xfffe
	s_or_b32 exec_lo, exec_lo, s30
	s_and_saveexec_b32 s30, s15
	s_cbranch_execz .LBB606_209
.LBB606_275:                            ;   in Loop: Header=BB606_96 Depth=2
	ds_load_b32 v2, v70 offset:2048
	s_wait_dscnt 0x0
	v_lshrrev_b32_e32 v2, s31, v2
	s_delay_alu instid0(VALU_DEP_1)
	v_and_b32_e32 v129, s48, v2
	s_wait_alu 0xfffe
	s_or_b32 exec_lo, exec_lo, s30
	s_and_saveexec_b32 s30, s16
	s_cbranch_execz .LBB606_210
.LBB606_276:                            ;   in Loop: Header=BB606_96 Depth=2
	ds_load_b32 v2, v70 offset:3072
	s_wait_dscnt 0x0
	v_lshrrev_b32_e32 v2, s31, v2
	s_delay_alu instid0(VALU_DEP_1)
	v_and_b32_e32 v128, s48, v2
	s_wait_alu 0xfffe
	s_or_b32 exec_lo, exec_lo, s30
	s_and_saveexec_b32 s30, s17
	s_cbranch_execz .LBB606_211
.LBB606_277:                            ;   in Loop: Header=BB606_96 Depth=2
	ds_load_b32 v2, v70 offset:4096
	s_wait_dscnt 0x0
	v_lshrrev_b32_e32 v2, s31, v2
	s_delay_alu instid0(VALU_DEP_1)
	v_and_b32_e32 v127, s48, v2
	s_wait_alu 0xfffe
	s_or_b32 exec_lo, exec_lo, s30
	s_and_saveexec_b32 s30, s18
	s_cbranch_execz .LBB606_212
.LBB606_278:                            ;   in Loop: Header=BB606_96 Depth=2
	ds_load_b32 v2, v70 offset:5120
	s_wait_dscnt 0x0
	v_lshrrev_b32_e32 v2, s31, v2
	s_delay_alu instid0(VALU_DEP_1)
	v_and_b32_e32 v126, s48, v2
	s_wait_alu 0xfffe
	s_or_b32 exec_lo, exec_lo, s30
	s_and_saveexec_b32 s30, s19
	s_cbranch_execz .LBB606_213
.LBB606_279:                            ;   in Loop: Header=BB606_96 Depth=2
	ds_load_b32 v2, v70 offset:6144
	s_wait_dscnt 0x0
	v_lshrrev_b32_e32 v2, s31, v2
	s_delay_alu instid0(VALU_DEP_1)
	v_and_b32_e32 v125, s48, v2
	s_wait_alu 0xfffe
	s_or_b32 exec_lo, exec_lo, s30
	s_and_saveexec_b32 s30, s20
	s_cbranch_execz .LBB606_214
.LBB606_280:                            ;   in Loop: Header=BB606_96 Depth=2
	ds_load_b32 v2, v70 offset:7168
	s_wait_dscnt 0x0
	v_lshrrev_b32_e32 v2, s31, v2
	s_delay_alu instid0(VALU_DEP_1)
	v_and_b32_e32 v124, s48, v2
	s_wait_alu 0xfffe
	s_or_b32 exec_lo, exec_lo, s30
	s_and_saveexec_b32 s30, s21
	s_cbranch_execz .LBB606_215
.LBB606_281:                            ;   in Loop: Header=BB606_96 Depth=2
	ds_load_b32 v2, v70 offset:8192
	s_wait_dscnt 0x0
	v_lshrrev_b32_e32 v2, s31, v2
	s_delay_alu instid0(VALU_DEP_1)
	v_and_b32_e32 v123, s48, v2
	s_wait_alu 0xfffe
	s_or_b32 exec_lo, exec_lo, s30
	s_and_saveexec_b32 s30, s22
	s_cbranch_execz .LBB606_216
.LBB606_282:                            ;   in Loop: Header=BB606_96 Depth=2
	ds_load_b32 v2, v70 offset:9216
	s_wait_dscnt 0x0
	v_lshrrev_b32_e32 v2, s31, v2
	s_delay_alu instid0(VALU_DEP_1)
	v_and_b32_e32 v122, s48, v2
	s_wait_alu 0xfffe
	s_or_b32 exec_lo, exec_lo, s30
	s_and_saveexec_b32 s30, s23
	s_cbranch_execz .LBB606_217
.LBB606_283:                            ;   in Loop: Header=BB606_96 Depth=2
	ds_load_b32 v2, v70 offset:10240
	s_wait_dscnt 0x0
	v_lshrrev_b32_e32 v2, s31, v2
	s_delay_alu instid0(VALU_DEP_1)
	v_and_b32_e32 v121, s48, v2
	s_wait_alu 0xfffe
	s_or_b32 exec_lo, exec_lo, s30
	s_and_saveexec_b32 s30, s24
	s_cbranch_execz .LBB606_218
.LBB606_284:                            ;   in Loop: Header=BB606_96 Depth=2
	ds_load_b32 v2, v70 offset:11264
	s_wait_dscnt 0x0
	v_lshrrev_b32_e32 v2, s31, v2
	s_delay_alu instid0(VALU_DEP_1)
	v_and_b32_e32 v120, s48, v2
	s_wait_alu 0xfffe
	s_or_b32 exec_lo, exec_lo, s30
	s_and_saveexec_b32 s30, s25
	s_cbranch_execz .LBB606_219
.LBB606_285:                            ;   in Loop: Header=BB606_96 Depth=2
	ds_load_b32 v2, v70 offset:12288
	s_wait_dscnt 0x0
	v_lshrrev_b32_e32 v2, s31, v2
	s_delay_alu instid0(VALU_DEP_1)
	v_and_b32_e32 v119, s48, v2
	s_wait_alu 0xfffe
	s_or_b32 exec_lo, exec_lo, s30
	s_and_saveexec_b32 s30, s26
	s_cbranch_execz .LBB606_220
.LBB606_286:                            ;   in Loop: Header=BB606_96 Depth=2
	ds_load_b32 v2, v70 offset:13312
	s_wait_dscnt 0x0
	v_lshrrev_b32_e32 v2, s31, v2
	s_delay_alu instid0(VALU_DEP_1)
	v_and_b32_e32 v118, s48, v2
	s_wait_alu 0xfffe
	s_or_b32 exec_lo, exec_lo, s30
	s_and_saveexec_b32 s30, s27
	s_cbranch_execz .LBB606_221
.LBB606_287:                            ;   in Loop: Header=BB606_96 Depth=2
	ds_load_b32 v2, v70 offset:14336
	s_wait_dscnt 0x0
	v_lshrrev_b32_e32 v2, s31, v2
	s_delay_alu instid0(VALU_DEP_1)
	v_and_b32_e32 v117, s48, v2
	s_wait_alu 0xfffe
	s_or_b32 exec_lo, exec_lo, s30
	s_and_saveexec_b32 s30, s28
	s_cbranch_execz .LBB606_222
.LBB606_288:                            ;   in Loop: Header=BB606_96 Depth=2
	ds_load_b32 v2, v70 offset:15360
	s_wait_dscnt 0x0
	v_lshrrev_b32_e32 v2, s31, v2
	s_delay_alu instid0(VALU_DEP_1)
	v_and_b32_e32 v116, s48, v2
	s_wait_alu 0xfffe
	s_or_b32 exec_lo, exec_lo, s30
	s_and_saveexec_b32 s30, s29
	s_cbranch_execnz .LBB606_223
	s_branch .LBB606_224
.LBB606_289:                            ;   in Loop: Header=BB606_96 Depth=2
	v_lshlrev_b32_e32 v2, 2, v130
	v_add_nc_u32_e32 v36, v70, v44
	ds_load_b32 v2, v2
	ds_load_b64 v[36:37], v36 offset:1024
	s_wait_dscnt 0x1
	v_add_nc_u32_e32 v2, v2, v1
	s_delay_alu instid0(VALU_DEP_1) | instskip(NEXT) | instid1(VALU_DEP_1)
	v_lshlrev_b64_e32 v[39:40], 3, v[2:3]
	v_add_co_u32 v39, vcc_lo, s44, v39
	s_wait_alu 0xfffd
	s_delay_alu instid0(VALU_DEP_2)
	v_add_co_ci_u32_e64 v40, null, s45, v40, vcc_lo
	s_wait_dscnt 0x0
	global_store_b64 v[39:40], v[36:37], off
	s_wait_alu 0xfffe
	s_or_b32 exec_lo, exec_lo, s30
	s_and_saveexec_b32 s30, s15
	s_cbranch_execz .LBB606_226
.LBB606_290:                            ;   in Loop: Header=BB606_96 Depth=2
	v_lshlrev_b32_e32 v2, 2, v129
	v_add_nc_u32_e32 v36, v70, v44
	ds_load_b32 v2, v2
	ds_load_b64 v[36:37], v36 offset:3072
	s_wait_dscnt 0x1
	v_add_nc_u32_e32 v2, v2, v45
	s_delay_alu instid0(VALU_DEP_1) | instskip(NEXT) | instid1(VALU_DEP_1)
	v_lshlrev_b64_e32 v[39:40], 3, v[2:3]
	v_add_co_u32 v39, vcc_lo, s44, v39
	s_wait_alu 0xfffd
	s_delay_alu instid0(VALU_DEP_2)
	v_add_co_ci_u32_e64 v40, null, s45, v40, vcc_lo
	s_wait_dscnt 0x0
	global_store_b64 v[39:40], v[36:37], off
	s_wait_alu 0xfffe
	s_or_b32 exec_lo, exec_lo, s30
	s_and_saveexec_b32 s15, s16
	s_cbranch_execz .LBB606_227
.LBB606_291:                            ;   in Loop: Header=BB606_96 Depth=2
	v_lshlrev_b32_e32 v2, 2, v128
	v_add_nc_u32_e32 v36, v70, v44
	ds_load_b32 v2, v2
	ds_load_b64 v[36:37], v36 offset:5120
	s_wait_dscnt 0x1
	v_add_nc_u32_e32 v2, v2, v46
	s_delay_alu instid0(VALU_DEP_1) | instskip(NEXT) | instid1(VALU_DEP_1)
	v_lshlrev_b64_e32 v[39:40], 3, v[2:3]
	v_add_co_u32 v39, vcc_lo, s44, v39
	s_wait_alu 0xfffd
	s_delay_alu instid0(VALU_DEP_2)
	v_add_co_ci_u32_e64 v40, null, s45, v40, vcc_lo
	s_wait_dscnt 0x0
	global_store_b64 v[39:40], v[36:37], off
	s_wait_alu 0xfffe
	s_or_b32 exec_lo, exec_lo, s15
	s_and_saveexec_b32 s15, s17
	s_cbranch_execz .LBB606_228
.LBB606_292:                            ;   in Loop: Header=BB606_96 Depth=2
	v_lshlrev_b32_e32 v2, 2, v127
	v_add_nc_u32_e32 v36, v70, v44
	ds_load_b32 v2, v2
	ds_load_b64 v[36:37], v36 offset:7168
	s_wait_dscnt 0x1
	v_add_nc_u32_e32 v2, v2, v47
	s_delay_alu instid0(VALU_DEP_1) | instskip(NEXT) | instid1(VALU_DEP_1)
	v_lshlrev_b64_e32 v[39:40], 3, v[2:3]
	v_add_co_u32 v39, vcc_lo, s44, v39
	s_wait_alu 0xfffd
	s_delay_alu instid0(VALU_DEP_2)
	v_add_co_ci_u32_e64 v40, null, s45, v40, vcc_lo
	s_wait_dscnt 0x0
	global_store_b64 v[39:40], v[36:37], off
	s_wait_alu 0xfffe
	s_or_b32 exec_lo, exec_lo, s15
	s_and_saveexec_b32 s15, s18
	s_cbranch_execz .LBB606_229
.LBB606_293:                            ;   in Loop: Header=BB606_96 Depth=2
	v_lshlrev_b32_e32 v2, 2, v126
	v_add_nc_u32_e32 v36, v70, v44
	ds_load_b32 v2, v2
	ds_load_b64 v[36:37], v36 offset:9216
	s_wait_dscnt 0x1
	v_add_nc_u32_e32 v2, v2, v50
	s_delay_alu instid0(VALU_DEP_1) | instskip(NEXT) | instid1(VALU_DEP_1)
	v_lshlrev_b64_e32 v[39:40], 3, v[2:3]
	v_add_co_u32 v39, vcc_lo, s44, v39
	s_wait_alu 0xfffd
	s_delay_alu instid0(VALU_DEP_2)
	v_add_co_ci_u32_e64 v40, null, s45, v40, vcc_lo
	s_wait_dscnt 0x0
	global_store_b64 v[39:40], v[36:37], off
	s_wait_alu 0xfffe
	s_or_b32 exec_lo, exec_lo, s15
	s_and_saveexec_b32 s15, s19
	s_cbranch_execz .LBB606_230
.LBB606_294:                            ;   in Loop: Header=BB606_96 Depth=2
	v_lshlrev_b32_e32 v2, 2, v125
	v_add_nc_u32_e32 v36, v70, v44
	ds_load_b32 v2, v2
	ds_load_b64 v[36:37], v36 offset:11264
	s_wait_dscnt 0x1
	v_add_nc_u32_e32 v2, v2, v51
	s_delay_alu instid0(VALU_DEP_1) | instskip(NEXT) | instid1(VALU_DEP_1)
	v_lshlrev_b64_e32 v[39:40], 3, v[2:3]
	v_add_co_u32 v39, vcc_lo, s44, v39
	s_wait_alu 0xfffd
	s_delay_alu instid0(VALU_DEP_2)
	v_add_co_ci_u32_e64 v40, null, s45, v40, vcc_lo
	s_wait_dscnt 0x0
	global_store_b64 v[39:40], v[36:37], off
	s_wait_alu 0xfffe
	s_or_b32 exec_lo, exec_lo, s15
	s_and_saveexec_b32 s15, s20
	s_cbranch_execz .LBB606_231
.LBB606_295:                            ;   in Loop: Header=BB606_96 Depth=2
	v_lshlrev_b32_e32 v2, 2, v124
	v_add_nc_u32_e32 v36, v70, v44
	ds_load_b32 v2, v2
	ds_load_b64 v[36:37], v36 offset:13312
	s_wait_dscnt 0x1
	v_add_nc_u32_e32 v2, v2, v52
	s_delay_alu instid0(VALU_DEP_1) | instskip(NEXT) | instid1(VALU_DEP_1)
	v_lshlrev_b64_e32 v[39:40], 3, v[2:3]
	v_add_co_u32 v39, vcc_lo, s44, v39
	s_wait_alu 0xfffd
	s_delay_alu instid0(VALU_DEP_2)
	v_add_co_ci_u32_e64 v40, null, s45, v40, vcc_lo
	s_wait_dscnt 0x0
	global_store_b64 v[39:40], v[36:37], off
	s_wait_alu 0xfffe
	s_or_b32 exec_lo, exec_lo, s15
	s_and_saveexec_b32 s15, s21
	s_cbranch_execz .LBB606_232
.LBB606_296:                            ;   in Loop: Header=BB606_96 Depth=2
	v_lshlrev_b32_e32 v2, 2, v123
	v_add_nc_u32_e32 v36, v70, v44
	ds_load_b32 v2, v2
	ds_load_b64 v[36:37], v36 offset:15360
	s_wait_dscnt 0x1
	v_add_nc_u32_e32 v2, v2, v53
	s_delay_alu instid0(VALU_DEP_1) | instskip(NEXT) | instid1(VALU_DEP_1)
	v_lshlrev_b64_e32 v[39:40], 3, v[2:3]
	v_add_co_u32 v39, vcc_lo, s44, v39
	s_wait_alu 0xfffd
	s_delay_alu instid0(VALU_DEP_2)
	v_add_co_ci_u32_e64 v40, null, s45, v40, vcc_lo
	s_wait_dscnt 0x0
	global_store_b64 v[39:40], v[36:37], off
	s_wait_alu 0xfffe
	s_or_b32 exec_lo, exec_lo, s15
	s_and_saveexec_b32 s15, s22
	s_cbranch_execz .LBB606_233
.LBB606_297:                            ;   in Loop: Header=BB606_96 Depth=2
	v_lshlrev_b32_e32 v2, 2, v122
	v_add_nc_u32_e32 v36, v70, v44
	ds_load_b32 v2, v2
	ds_load_b64 v[36:37], v36 offset:17408
	s_wait_dscnt 0x1
	v_add_nc_u32_e32 v2, v2, v54
	s_delay_alu instid0(VALU_DEP_1) | instskip(NEXT) | instid1(VALU_DEP_1)
	v_lshlrev_b64_e32 v[39:40], 3, v[2:3]
	v_add_co_u32 v39, vcc_lo, s44, v39
	s_wait_alu 0xfffd
	s_delay_alu instid0(VALU_DEP_2)
	v_add_co_ci_u32_e64 v40, null, s45, v40, vcc_lo
	s_wait_dscnt 0x0
	global_store_b64 v[39:40], v[36:37], off
	s_wait_alu 0xfffe
	s_or_b32 exec_lo, exec_lo, s15
	s_and_saveexec_b32 s15, s23
	s_cbranch_execz .LBB606_234
.LBB606_298:                            ;   in Loop: Header=BB606_96 Depth=2
	v_lshlrev_b32_e32 v2, 2, v121
	v_add_nc_u32_e32 v36, v70, v44
	ds_load_b32 v2, v2
	ds_load_b64 v[36:37], v36 offset:19456
	s_wait_dscnt 0x1
	v_add_nc_u32_e32 v2, v2, v55
	s_delay_alu instid0(VALU_DEP_1) | instskip(NEXT) | instid1(VALU_DEP_1)
	v_lshlrev_b64_e32 v[39:40], 3, v[2:3]
	v_add_co_u32 v39, vcc_lo, s44, v39
	s_wait_alu 0xfffd
	s_delay_alu instid0(VALU_DEP_2)
	v_add_co_ci_u32_e64 v40, null, s45, v40, vcc_lo
	s_wait_dscnt 0x0
	global_store_b64 v[39:40], v[36:37], off
	s_wait_alu 0xfffe
	s_or_b32 exec_lo, exec_lo, s15
	s_and_saveexec_b32 s15, s24
	s_cbranch_execz .LBB606_235
.LBB606_299:                            ;   in Loop: Header=BB606_96 Depth=2
	v_lshlrev_b32_e32 v2, 2, v120
	v_add_nc_u32_e32 v36, v70, v44
	ds_load_b32 v2, v2
	ds_load_b64 v[36:37], v36 offset:21504
	s_wait_dscnt 0x1
	v_add_nc_u32_e32 v2, v2, v56
	s_delay_alu instid0(VALU_DEP_1) | instskip(NEXT) | instid1(VALU_DEP_1)
	v_lshlrev_b64_e32 v[39:40], 3, v[2:3]
	v_add_co_u32 v39, vcc_lo, s44, v39
	s_wait_alu 0xfffd
	s_delay_alu instid0(VALU_DEP_2)
	v_add_co_ci_u32_e64 v40, null, s45, v40, vcc_lo
	s_wait_dscnt 0x0
	global_store_b64 v[39:40], v[36:37], off
	s_wait_alu 0xfffe
	s_or_b32 exec_lo, exec_lo, s15
	s_and_saveexec_b32 s15, s25
	s_cbranch_execz .LBB606_236
.LBB606_300:                            ;   in Loop: Header=BB606_96 Depth=2
	v_lshlrev_b32_e32 v2, 2, v119
	v_add_nc_u32_e32 v36, v70, v44
	ds_load_b32 v2, v2
	ds_load_b64 v[36:37], v36 offset:23552
	s_wait_dscnt 0x1
	v_add_nc_u32_e32 v2, v2, v57
	s_delay_alu instid0(VALU_DEP_1) | instskip(NEXT) | instid1(VALU_DEP_1)
	v_lshlrev_b64_e32 v[39:40], 3, v[2:3]
	v_add_co_u32 v39, vcc_lo, s44, v39
	s_wait_alu 0xfffd
	s_delay_alu instid0(VALU_DEP_2)
	v_add_co_ci_u32_e64 v40, null, s45, v40, vcc_lo
	s_wait_dscnt 0x0
	global_store_b64 v[39:40], v[36:37], off
	s_wait_alu 0xfffe
	s_or_b32 exec_lo, exec_lo, s15
	s_and_saveexec_b32 s15, s26
	s_cbranch_execz .LBB606_237
.LBB606_301:                            ;   in Loop: Header=BB606_96 Depth=2
	v_lshlrev_b32_e32 v2, 2, v118
	v_add_nc_u32_e32 v36, v70, v44
	ds_load_b32 v2, v2
	ds_load_b64 v[36:37], v36 offset:25600
	s_wait_dscnt 0x1
	v_add_nc_u32_e32 v2, v2, v58
	s_delay_alu instid0(VALU_DEP_1) | instskip(NEXT) | instid1(VALU_DEP_1)
	v_lshlrev_b64_e32 v[39:40], 3, v[2:3]
	v_add_co_u32 v39, vcc_lo, s44, v39
	s_wait_alu 0xfffd
	s_delay_alu instid0(VALU_DEP_2)
	v_add_co_ci_u32_e64 v40, null, s45, v40, vcc_lo
	s_wait_dscnt 0x0
	global_store_b64 v[39:40], v[36:37], off
	s_wait_alu 0xfffe
	s_or_b32 exec_lo, exec_lo, s15
	s_and_saveexec_b32 s15, s27
	s_cbranch_execz .LBB606_238
.LBB606_302:                            ;   in Loop: Header=BB606_96 Depth=2
	v_lshlrev_b32_e32 v2, 2, v117
	v_add_nc_u32_e32 v36, v70, v44
	ds_load_b32 v2, v2
	ds_load_b64 v[36:37], v36 offset:27648
	s_wait_dscnt 0x1
	v_add_nc_u32_e32 v2, v2, v59
	s_delay_alu instid0(VALU_DEP_1) | instskip(NEXT) | instid1(VALU_DEP_1)
	v_lshlrev_b64_e32 v[39:40], 3, v[2:3]
	v_add_co_u32 v39, vcc_lo, s44, v39
	s_wait_alu 0xfffd
	s_delay_alu instid0(VALU_DEP_2)
	v_add_co_ci_u32_e64 v40, null, s45, v40, vcc_lo
	s_wait_dscnt 0x0
	global_store_b64 v[39:40], v[36:37], off
	s_wait_alu 0xfffe
	s_or_b32 exec_lo, exec_lo, s15
	s_and_saveexec_b32 s15, s28
	s_cbranch_execz .LBB606_239
.LBB606_303:                            ;   in Loop: Header=BB606_96 Depth=2
	v_lshlrev_b32_e32 v2, 2, v116
	v_add_nc_u32_e32 v36, v70, v44
	ds_load_b32 v2, v2
	ds_load_b64 v[36:37], v36 offset:29696
	s_wait_dscnt 0x1
	v_add_nc_u32_e32 v2, v2, v60
	s_delay_alu instid0(VALU_DEP_1) | instskip(NEXT) | instid1(VALU_DEP_1)
	v_lshlrev_b64_e32 v[39:40], 3, v[2:3]
	v_add_co_u32 v39, vcc_lo, s44, v39
	s_wait_alu 0xfffd
	s_delay_alu instid0(VALU_DEP_2)
	v_add_co_ci_u32_e64 v40, null, s45, v40, vcc_lo
	s_wait_dscnt 0x0
	global_store_b64 v[39:40], v[36:37], off
	s_wait_alu 0xfffe
	s_or_b32 exec_lo, exec_lo, s15
	s_and_saveexec_b32 s15, s29
	s_cbranch_execnz .LBB606_240
	s_branch .LBB606_241
.LBB606_304:                            ;   in Loop: Header=BB606_12 Depth=1
	s_wait_loadcnt_dscnt 0x0
	s_barrier_signal -1
	s_mov_b32 s0, 0
	s_barrier_wait -1
.LBB606_305:                            ;   in Loop: Header=BB606_12 Depth=1
	s_wait_alu 0xfffe
	s_and_b32 vcc_lo, exec_lo, s0
	s_wait_alu 0xfffe
	s_cbranch_vccz .LBB606_597
; %bb.306:                              ;   in Loop: Header=BB606_12 Depth=1
	s_mov_b32 s9, s53
	s_mov_b32 s42, s33
	s_barrier_signal -1
	s_barrier_wait -1
	global_inv scope:SCOPE_SE
                                        ; implicit-def: $vgpr2
                                        ; implicit-def: $vgpr4
                                        ; implicit-def: $vgpr5
                                        ; implicit-def: $vgpr6
                                        ; implicit-def: $vgpr7
                                        ; implicit-def: $vgpr8
                                        ; implicit-def: $vgpr9
                                        ; implicit-def: $vgpr10
                                        ; implicit-def: $vgpr11
                                        ; implicit-def: $vgpr12
                                        ; implicit-def: $vgpr13
                                        ; implicit-def: $vgpr14
                                        ; implicit-def: $vgpr15
                                        ; implicit-def: $vgpr16
                                        ; implicit-def: $vgpr17
                                        ; implicit-def: $vgpr18
	s_branch .LBB606_308
.LBB606_307:                            ;   in Loop: Header=BB606_308 Depth=2
	s_wait_alu 0xfffe
	s_or_b32 exec_lo, exec_lo, s0
	s_addk_co_i32 s9, 0xf000
	s_cmp_ge_u32 s10, s51
	s_mov_b32 s42, s10
	s_cbranch_scc1 .LBB606_376
.LBB606_308:                            ;   Parent Loop BB606_12 Depth=1
                                        ; =>  This Inner Loop Header: Depth=2
	s_wait_alu 0xfffe
	s_add_co_i32 s10, s42, 0x1000
	s_mov_b32 s0, -1
	s_wait_alu 0xfffe
	s_cmp_gt_u32 s10, s51
                                        ; implicit-def: $vgpr19
                                        ; implicit-def: $vgpr20
                                        ; implicit-def: $vgpr21
                                        ; implicit-def: $vgpr22
                                        ; implicit-def: $vgpr23
                                        ; implicit-def: $vgpr24
                                        ; implicit-def: $vgpr25
                                        ; implicit-def: $vgpr26
                                        ; implicit-def: $vgpr27
                                        ; implicit-def: $vgpr28
                                        ; implicit-def: $vgpr29
                                        ; implicit-def: $vgpr30
                                        ; implicit-def: $vgpr31
                                        ; implicit-def: $vgpr32
                                        ; implicit-def: $vgpr33
                                        ; implicit-def: $vgpr34
	s_cbranch_scc1 .LBB606_310
; %bb.309:                              ;   in Loop: Header=BB606_308 Depth=2
	s_lshl_b64 s[0:1], s[42:43], 2
	s_wait_alu 0xfffe
	v_add_co_u32 v34, vcc_lo, v71, s0
	s_wait_alu 0xfffd
	v_add_co_ci_u32_e64 v35, null, s1, v72, vcc_lo
	s_mov_b32 s0, 0
	s_clause 0xf
	global_load_b32 v19, v[34:35], off
	global_load_b32 v20, v[34:35], off offset:1024
	global_load_b32 v21, v[34:35], off offset:2048
	;; [unrolled: 1-line block ×15, first 2 shown]
.LBB606_310:                            ;   in Loop: Header=BB606_308 Depth=2
	s_wait_alu 0xfffe
	s_and_not1_b32 vcc_lo, exec_lo, s0
	s_movk_i32 s0, 0x1000
	s_wait_alu 0xfffe
	s_cbranch_vccnz .LBB606_329
; %bb.311:                              ;   in Loop: Header=BB606_308 Depth=2
	s_lshl_b64 s[0:1], s[42:43], 2
	s_mov_b32 s11, exec_lo
	s_wait_alu 0xfffe
	s_add_nc_u64 s[0:1], s[38:39], s[0:1]
	v_cmpx_gt_u32_e64 s9, v1
	s_cbranch_execnz .LBB606_361
; %bb.312:                              ;   in Loop: Header=BB606_308 Depth=2
	s_or_b32 exec_lo, exec_lo, s11
	s_delay_alu instid0(SALU_CYCLE_1)
	s_mov_b32 s11, exec_lo
	v_cmpx_gt_u32_e64 s9, v45
	s_cbranch_execnz .LBB606_362
.LBB606_313:                            ;   in Loop: Header=BB606_308 Depth=2
	s_wait_alu 0xfffe
	s_or_b32 exec_lo, exec_lo, s11
	s_delay_alu instid0(SALU_CYCLE_1)
	s_mov_b32 s11, exec_lo
	v_cmpx_gt_u32_e64 s9, v46
	s_cbranch_execnz .LBB606_363
.LBB606_314:                            ;   in Loop: Header=BB606_308 Depth=2
	s_wait_alu 0xfffe
	s_or_b32 exec_lo, exec_lo, s11
	s_delay_alu instid0(SALU_CYCLE_1)
	s_mov_b32 s11, exec_lo
	v_cmpx_gt_u32_e64 s9, v47
	s_cbranch_execnz .LBB606_364
.LBB606_315:                            ;   in Loop: Header=BB606_308 Depth=2
	s_wait_alu 0xfffe
	s_or_b32 exec_lo, exec_lo, s11
	s_delay_alu instid0(SALU_CYCLE_1)
	s_mov_b32 s11, exec_lo
	v_cmpx_gt_u32_e64 s9, v50
	s_cbranch_execnz .LBB606_365
.LBB606_316:                            ;   in Loop: Header=BB606_308 Depth=2
	s_wait_alu 0xfffe
	s_or_b32 exec_lo, exec_lo, s11
	s_delay_alu instid0(SALU_CYCLE_1)
	s_mov_b32 s11, exec_lo
	v_cmpx_gt_u32_e64 s9, v51
	s_cbranch_execnz .LBB606_366
.LBB606_317:                            ;   in Loop: Header=BB606_308 Depth=2
	s_wait_alu 0xfffe
	s_or_b32 exec_lo, exec_lo, s11
	s_delay_alu instid0(SALU_CYCLE_1)
	s_mov_b32 s11, exec_lo
	v_cmpx_gt_u32_e64 s9, v52
	s_cbranch_execnz .LBB606_367
.LBB606_318:                            ;   in Loop: Header=BB606_308 Depth=2
	s_wait_alu 0xfffe
	s_or_b32 exec_lo, exec_lo, s11
	s_delay_alu instid0(SALU_CYCLE_1)
	s_mov_b32 s11, exec_lo
	v_cmpx_gt_u32_e64 s9, v53
	s_cbranch_execnz .LBB606_368
.LBB606_319:                            ;   in Loop: Header=BB606_308 Depth=2
	s_wait_alu 0xfffe
	s_or_b32 exec_lo, exec_lo, s11
	s_delay_alu instid0(SALU_CYCLE_1)
	s_mov_b32 s11, exec_lo
	v_cmpx_gt_u32_e64 s9, v54
	s_cbranch_execnz .LBB606_369
.LBB606_320:                            ;   in Loop: Header=BB606_308 Depth=2
	s_wait_alu 0xfffe
	s_or_b32 exec_lo, exec_lo, s11
	s_delay_alu instid0(SALU_CYCLE_1)
	s_mov_b32 s11, exec_lo
	v_cmpx_gt_u32_e64 s9, v55
	s_cbranch_execnz .LBB606_370
.LBB606_321:                            ;   in Loop: Header=BB606_308 Depth=2
	s_wait_alu 0xfffe
	s_or_b32 exec_lo, exec_lo, s11
	s_delay_alu instid0(SALU_CYCLE_1)
	s_mov_b32 s11, exec_lo
	v_cmpx_gt_u32_e64 s9, v56
	s_cbranch_execnz .LBB606_371
.LBB606_322:                            ;   in Loop: Header=BB606_308 Depth=2
	s_wait_alu 0xfffe
	s_or_b32 exec_lo, exec_lo, s11
	s_delay_alu instid0(SALU_CYCLE_1)
	s_mov_b32 s11, exec_lo
	v_cmpx_gt_u32_e64 s9, v57
	s_cbranch_execnz .LBB606_372
.LBB606_323:                            ;   in Loop: Header=BB606_308 Depth=2
	s_wait_alu 0xfffe
	s_or_b32 exec_lo, exec_lo, s11
	s_delay_alu instid0(SALU_CYCLE_1)
	s_mov_b32 s11, exec_lo
	v_cmpx_gt_u32_e64 s9, v58
	s_cbranch_execnz .LBB606_373
.LBB606_324:                            ;   in Loop: Header=BB606_308 Depth=2
	s_wait_alu 0xfffe
	s_or_b32 exec_lo, exec_lo, s11
	s_delay_alu instid0(SALU_CYCLE_1)
	s_mov_b32 s11, exec_lo
	v_cmpx_gt_u32_e64 s9, v59
	s_cbranch_execnz .LBB606_374
.LBB606_325:                            ;   in Loop: Header=BB606_308 Depth=2
	s_wait_alu 0xfffe
	s_or_b32 exec_lo, exec_lo, s11
	s_delay_alu instid0(SALU_CYCLE_1)
	s_mov_b32 s11, exec_lo
	v_cmpx_gt_u32_e64 s9, v60
	s_cbranch_execnz .LBB606_375
.LBB606_326:                            ;   in Loop: Header=BB606_308 Depth=2
	s_wait_alu 0xfffe
	s_or_b32 exec_lo, exec_lo, s11
	s_delay_alu instid0(SALU_CYCLE_1)
	s_mov_b32 s11, exec_lo
	v_cmpx_gt_u32_e64 s9, v61
	s_cbranch_execz .LBB606_328
.LBB606_327:                            ;   in Loop: Header=BB606_308 Depth=2
	global_load_b32 v2, v108, s[0:1] offset:15360
.LBB606_328:                            ;   in Loop: Header=BB606_308 Depth=2
	s_wait_alu 0xfffe
	s_or_b32 exec_lo, exec_lo, s11
	s_wait_loadcnt 0x0
	v_dual_mov_b32 v19, v18 :: v_dual_mov_b32 v20, v17
	v_dual_mov_b32 v21, v16 :: v_dual_mov_b32 v22, v15
	;; [unrolled: 1-line block ×8, first 2 shown]
	s_mov_b32 s0, s9
.LBB606_329:                            ;   in Loop: Header=BB606_308 Depth=2
	s_wait_loadcnt 0x0
	s_delay_alu instid0(VALU_DEP_1) | instskip(NEXT) | instid1(VALU_DEP_2)
	v_dual_mov_b32 v2, v34 :: v_dual_mov_b32 v5, v32
	v_dual_mov_b32 v4, v33 :: v_dual_mov_b32 v7, v30
	;; [unrolled: 1-line block ×7, first 2 shown]
	v_mov_b32_e32 v16, v21
	v_mov_b32_e32 v18, v19
	s_mov_b32 s1, exec_lo
	s_wait_alu 0xfffe
	v_cmpx_gt_u32_e64 s0, v1
	s_cbranch_execnz .LBB606_345
; %bb.330:                              ;   in Loop: Header=BB606_308 Depth=2
	s_or_b32 exec_lo, exec_lo, s1
	s_delay_alu instid0(SALU_CYCLE_1)
	s_mov_b32 s1, exec_lo
	v_cmpx_gt_u32_e64 s0, v45
	s_cbranch_execnz .LBB606_346
.LBB606_331:                            ;   in Loop: Header=BB606_308 Depth=2
	s_wait_alu 0xfffe
	s_or_b32 exec_lo, exec_lo, s1
	s_delay_alu instid0(SALU_CYCLE_1)
	s_mov_b32 s1, exec_lo
	v_cmpx_gt_u32_e64 s0, v46
	s_cbranch_execnz .LBB606_347
.LBB606_332:                            ;   in Loop: Header=BB606_308 Depth=2
	s_wait_alu 0xfffe
	s_or_b32 exec_lo, exec_lo, s1
	s_delay_alu instid0(SALU_CYCLE_1)
	s_mov_b32 s1, exec_lo
	v_cmpx_gt_u32_e64 s0, v47
	s_cbranch_execnz .LBB606_348
.LBB606_333:                            ;   in Loop: Header=BB606_308 Depth=2
	s_wait_alu 0xfffe
	s_or_b32 exec_lo, exec_lo, s1
	s_delay_alu instid0(SALU_CYCLE_1)
	s_mov_b32 s1, exec_lo
	v_cmpx_gt_u32_e64 s0, v50
	s_cbranch_execnz .LBB606_349
.LBB606_334:                            ;   in Loop: Header=BB606_308 Depth=2
	s_wait_alu 0xfffe
	s_or_b32 exec_lo, exec_lo, s1
	s_delay_alu instid0(SALU_CYCLE_1)
	s_mov_b32 s1, exec_lo
	v_cmpx_gt_u32_e64 s0, v51
	s_cbranch_execnz .LBB606_350
.LBB606_335:                            ;   in Loop: Header=BB606_308 Depth=2
	s_wait_alu 0xfffe
	s_or_b32 exec_lo, exec_lo, s1
	s_delay_alu instid0(SALU_CYCLE_1)
	s_mov_b32 s1, exec_lo
	v_cmpx_gt_u32_e64 s0, v52
	s_cbranch_execnz .LBB606_351
.LBB606_336:                            ;   in Loop: Header=BB606_308 Depth=2
	s_wait_alu 0xfffe
	s_or_b32 exec_lo, exec_lo, s1
	s_delay_alu instid0(SALU_CYCLE_1)
	s_mov_b32 s1, exec_lo
	v_cmpx_gt_u32_e64 s0, v53
	s_cbranch_execnz .LBB606_352
.LBB606_337:                            ;   in Loop: Header=BB606_308 Depth=2
	s_wait_alu 0xfffe
	s_or_b32 exec_lo, exec_lo, s1
	s_delay_alu instid0(SALU_CYCLE_1)
	s_mov_b32 s1, exec_lo
	v_cmpx_gt_u32_e64 s0, v54
	s_cbranch_execnz .LBB606_353
.LBB606_338:                            ;   in Loop: Header=BB606_308 Depth=2
	s_wait_alu 0xfffe
	s_or_b32 exec_lo, exec_lo, s1
	s_delay_alu instid0(SALU_CYCLE_1)
	s_mov_b32 s1, exec_lo
	v_cmpx_gt_u32_e64 s0, v55
	s_cbranch_execnz .LBB606_354
.LBB606_339:                            ;   in Loop: Header=BB606_308 Depth=2
	s_wait_alu 0xfffe
	s_or_b32 exec_lo, exec_lo, s1
	s_delay_alu instid0(SALU_CYCLE_1)
	s_mov_b32 s1, exec_lo
	v_cmpx_gt_u32_e64 s0, v56
	s_cbranch_execnz .LBB606_355
.LBB606_340:                            ;   in Loop: Header=BB606_308 Depth=2
	s_wait_alu 0xfffe
	s_or_b32 exec_lo, exec_lo, s1
	s_delay_alu instid0(SALU_CYCLE_1)
	s_mov_b32 s1, exec_lo
	v_cmpx_gt_u32_e64 s0, v57
	s_cbranch_execnz .LBB606_356
.LBB606_341:                            ;   in Loop: Header=BB606_308 Depth=2
	s_wait_alu 0xfffe
	s_or_b32 exec_lo, exec_lo, s1
	s_delay_alu instid0(SALU_CYCLE_1)
	s_mov_b32 s1, exec_lo
	v_cmpx_gt_u32_e64 s0, v58
	s_cbranch_execnz .LBB606_357
.LBB606_342:                            ;   in Loop: Header=BB606_308 Depth=2
	s_wait_alu 0xfffe
	s_or_b32 exec_lo, exec_lo, s1
	s_delay_alu instid0(SALU_CYCLE_1)
	s_mov_b32 s1, exec_lo
	v_cmpx_gt_u32_e64 s0, v59
	s_cbranch_execnz .LBB606_358
.LBB606_343:                            ;   in Loop: Header=BB606_308 Depth=2
	s_wait_alu 0xfffe
	s_or_b32 exec_lo, exec_lo, s1
	s_delay_alu instid0(SALU_CYCLE_1)
	s_mov_b32 s1, exec_lo
	v_cmpx_gt_u32_e64 s0, v60
	s_cbranch_execnz .LBB606_359
.LBB606_344:                            ;   in Loop: Header=BB606_308 Depth=2
	s_wait_alu 0xfffe
	s_or_b32 exec_lo, exec_lo, s1
	v_cmp_gt_u32_e32 vcc_lo, s0, v61
	s_and_saveexec_b32 s0, vcc_lo
	s_cbranch_execz .LBB606_307
	s_branch .LBB606_360
.LBB606_345:                            ;   in Loop: Header=BB606_308 Depth=2
	v_xor_b32_e32 v19, 0x80000000, v18
	s_delay_alu instid0(VALU_DEP_1) | instskip(NEXT) | instid1(VALU_DEP_1)
	v_lshrrev_b32_e32 v19, s31, v19
	v_and_b32_e32 v19, s48, v19
	s_delay_alu instid0(VALU_DEP_1) | instskip(SKIP_2) | instid1(SALU_CYCLE_1)
	v_lshl_or_b32 v19, v19, 4, v62
	ds_add_u32 v19, v84
	s_or_b32 exec_lo, exec_lo, s1
	s_mov_b32 s1, exec_lo
	v_cmpx_gt_u32_e64 s0, v45
	s_cbranch_execz .LBB606_331
.LBB606_346:                            ;   in Loop: Header=BB606_308 Depth=2
	v_xor_b32_e32 v19, 0x80000000, v17
	s_delay_alu instid0(VALU_DEP_1) | instskip(NEXT) | instid1(VALU_DEP_1)
	v_lshrrev_b32_e32 v19, s31, v19
	v_and_b32_e32 v19, s48, v19
	s_delay_alu instid0(VALU_DEP_1) | instskip(SKIP_3) | instid1(SALU_CYCLE_1)
	v_lshl_or_b32 v19, v19, 4, v62
	ds_add_u32 v19, v84
	s_wait_alu 0xfffe
	s_or_b32 exec_lo, exec_lo, s1
	s_mov_b32 s1, exec_lo
	v_cmpx_gt_u32_e64 s0, v46
	s_cbranch_execz .LBB606_332
.LBB606_347:                            ;   in Loop: Header=BB606_308 Depth=2
	v_xor_b32_e32 v19, 0x80000000, v16
	s_delay_alu instid0(VALU_DEP_1) | instskip(NEXT) | instid1(VALU_DEP_1)
	v_lshrrev_b32_e32 v19, s31, v19
	v_and_b32_e32 v19, s48, v19
	s_delay_alu instid0(VALU_DEP_1) | instskip(SKIP_3) | instid1(SALU_CYCLE_1)
	v_lshl_or_b32 v19, v19, 4, v62
	ds_add_u32 v19, v84
	s_wait_alu 0xfffe
	s_or_b32 exec_lo, exec_lo, s1
	s_mov_b32 s1, exec_lo
	v_cmpx_gt_u32_e64 s0, v47
	s_cbranch_execz .LBB606_333
.LBB606_348:                            ;   in Loop: Header=BB606_308 Depth=2
	v_xor_b32_e32 v19, 0x80000000, v15
	s_delay_alu instid0(VALU_DEP_1) | instskip(NEXT) | instid1(VALU_DEP_1)
	v_lshrrev_b32_e32 v19, s31, v19
	v_and_b32_e32 v19, s48, v19
	s_delay_alu instid0(VALU_DEP_1) | instskip(SKIP_3) | instid1(SALU_CYCLE_1)
	v_lshl_or_b32 v19, v19, 4, v62
	ds_add_u32 v19, v84
	s_wait_alu 0xfffe
	s_or_b32 exec_lo, exec_lo, s1
	s_mov_b32 s1, exec_lo
	v_cmpx_gt_u32_e64 s0, v50
	s_cbranch_execz .LBB606_334
.LBB606_349:                            ;   in Loop: Header=BB606_308 Depth=2
	v_xor_b32_e32 v19, 0x80000000, v14
	s_delay_alu instid0(VALU_DEP_1) | instskip(NEXT) | instid1(VALU_DEP_1)
	v_lshrrev_b32_e32 v19, s31, v19
	v_and_b32_e32 v19, s48, v19
	s_delay_alu instid0(VALU_DEP_1) | instskip(SKIP_3) | instid1(SALU_CYCLE_1)
	v_lshl_or_b32 v19, v19, 4, v62
	ds_add_u32 v19, v84
	s_wait_alu 0xfffe
	s_or_b32 exec_lo, exec_lo, s1
	s_mov_b32 s1, exec_lo
	v_cmpx_gt_u32_e64 s0, v51
	s_cbranch_execz .LBB606_335
.LBB606_350:                            ;   in Loop: Header=BB606_308 Depth=2
	v_xor_b32_e32 v19, 0x80000000, v13
	s_delay_alu instid0(VALU_DEP_1) | instskip(NEXT) | instid1(VALU_DEP_1)
	v_lshrrev_b32_e32 v19, s31, v19
	v_and_b32_e32 v19, s48, v19
	s_delay_alu instid0(VALU_DEP_1) | instskip(SKIP_3) | instid1(SALU_CYCLE_1)
	v_lshl_or_b32 v19, v19, 4, v62
	ds_add_u32 v19, v84
	s_wait_alu 0xfffe
	s_or_b32 exec_lo, exec_lo, s1
	s_mov_b32 s1, exec_lo
	v_cmpx_gt_u32_e64 s0, v52
	s_cbranch_execz .LBB606_336
.LBB606_351:                            ;   in Loop: Header=BB606_308 Depth=2
	v_xor_b32_e32 v19, 0x80000000, v12
	s_delay_alu instid0(VALU_DEP_1) | instskip(NEXT) | instid1(VALU_DEP_1)
	v_lshrrev_b32_e32 v19, s31, v19
	v_and_b32_e32 v19, s48, v19
	s_delay_alu instid0(VALU_DEP_1) | instskip(SKIP_3) | instid1(SALU_CYCLE_1)
	v_lshl_or_b32 v19, v19, 4, v62
	ds_add_u32 v19, v84
	s_wait_alu 0xfffe
	s_or_b32 exec_lo, exec_lo, s1
	s_mov_b32 s1, exec_lo
	v_cmpx_gt_u32_e64 s0, v53
	s_cbranch_execz .LBB606_337
.LBB606_352:                            ;   in Loop: Header=BB606_308 Depth=2
	v_xor_b32_e32 v19, 0x80000000, v11
	s_delay_alu instid0(VALU_DEP_1) | instskip(NEXT) | instid1(VALU_DEP_1)
	v_lshrrev_b32_e32 v19, s31, v19
	v_and_b32_e32 v19, s48, v19
	s_delay_alu instid0(VALU_DEP_1) | instskip(SKIP_3) | instid1(SALU_CYCLE_1)
	v_lshl_or_b32 v19, v19, 4, v62
	ds_add_u32 v19, v84
	s_wait_alu 0xfffe
	s_or_b32 exec_lo, exec_lo, s1
	s_mov_b32 s1, exec_lo
	v_cmpx_gt_u32_e64 s0, v54
	s_cbranch_execz .LBB606_338
.LBB606_353:                            ;   in Loop: Header=BB606_308 Depth=2
	v_xor_b32_e32 v19, 0x80000000, v10
	s_delay_alu instid0(VALU_DEP_1) | instskip(NEXT) | instid1(VALU_DEP_1)
	v_lshrrev_b32_e32 v19, s31, v19
	v_and_b32_e32 v19, s48, v19
	s_delay_alu instid0(VALU_DEP_1) | instskip(SKIP_3) | instid1(SALU_CYCLE_1)
	v_lshl_or_b32 v19, v19, 4, v62
	ds_add_u32 v19, v84
	s_wait_alu 0xfffe
	s_or_b32 exec_lo, exec_lo, s1
	s_mov_b32 s1, exec_lo
	v_cmpx_gt_u32_e64 s0, v55
	s_cbranch_execz .LBB606_339
.LBB606_354:                            ;   in Loop: Header=BB606_308 Depth=2
	v_xor_b32_e32 v19, 0x80000000, v9
	s_delay_alu instid0(VALU_DEP_1) | instskip(NEXT) | instid1(VALU_DEP_1)
	v_lshrrev_b32_e32 v19, s31, v19
	v_and_b32_e32 v19, s48, v19
	s_delay_alu instid0(VALU_DEP_1) | instskip(SKIP_3) | instid1(SALU_CYCLE_1)
	v_lshl_or_b32 v19, v19, 4, v62
	ds_add_u32 v19, v84
	s_wait_alu 0xfffe
	s_or_b32 exec_lo, exec_lo, s1
	s_mov_b32 s1, exec_lo
	v_cmpx_gt_u32_e64 s0, v56
	s_cbranch_execz .LBB606_340
.LBB606_355:                            ;   in Loop: Header=BB606_308 Depth=2
	v_xor_b32_e32 v19, 0x80000000, v8
	s_delay_alu instid0(VALU_DEP_1) | instskip(NEXT) | instid1(VALU_DEP_1)
	v_lshrrev_b32_e32 v19, s31, v19
	v_and_b32_e32 v19, s48, v19
	s_delay_alu instid0(VALU_DEP_1) | instskip(SKIP_3) | instid1(SALU_CYCLE_1)
	v_lshl_or_b32 v19, v19, 4, v62
	ds_add_u32 v19, v84
	s_wait_alu 0xfffe
	s_or_b32 exec_lo, exec_lo, s1
	s_mov_b32 s1, exec_lo
	v_cmpx_gt_u32_e64 s0, v57
	s_cbranch_execz .LBB606_341
.LBB606_356:                            ;   in Loop: Header=BB606_308 Depth=2
	v_xor_b32_e32 v19, 0x80000000, v7
	s_delay_alu instid0(VALU_DEP_1) | instskip(NEXT) | instid1(VALU_DEP_1)
	v_lshrrev_b32_e32 v19, s31, v19
	v_and_b32_e32 v19, s48, v19
	s_delay_alu instid0(VALU_DEP_1) | instskip(SKIP_3) | instid1(SALU_CYCLE_1)
	v_lshl_or_b32 v19, v19, 4, v62
	ds_add_u32 v19, v84
	s_wait_alu 0xfffe
	s_or_b32 exec_lo, exec_lo, s1
	s_mov_b32 s1, exec_lo
	v_cmpx_gt_u32_e64 s0, v58
	s_cbranch_execz .LBB606_342
.LBB606_357:                            ;   in Loop: Header=BB606_308 Depth=2
	v_xor_b32_e32 v19, 0x80000000, v6
	s_delay_alu instid0(VALU_DEP_1) | instskip(NEXT) | instid1(VALU_DEP_1)
	v_lshrrev_b32_e32 v19, s31, v19
	v_and_b32_e32 v19, s48, v19
	s_delay_alu instid0(VALU_DEP_1) | instskip(SKIP_3) | instid1(SALU_CYCLE_1)
	v_lshl_or_b32 v19, v19, 4, v62
	ds_add_u32 v19, v84
	s_wait_alu 0xfffe
	s_or_b32 exec_lo, exec_lo, s1
	s_mov_b32 s1, exec_lo
	v_cmpx_gt_u32_e64 s0, v59
	s_cbranch_execz .LBB606_343
.LBB606_358:                            ;   in Loop: Header=BB606_308 Depth=2
	v_xor_b32_e32 v19, 0x80000000, v5
	s_delay_alu instid0(VALU_DEP_1) | instskip(NEXT) | instid1(VALU_DEP_1)
	v_lshrrev_b32_e32 v19, s31, v19
	v_and_b32_e32 v19, s48, v19
	s_delay_alu instid0(VALU_DEP_1) | instskip(SKIP_3) | instid1(SALU_CYCLE_1)
	v_lshl_or_b32 v19, v19, 4, v62
	ds_add_u32 v19, v84
	s_wait_alu 0xfffe
	s_or_b32 exec_lo, exec_lo, s1
	s_mov_b32 s1, exec_lo
	v_cmpx_gt_u32_e64 s0, v60
	s_cbranch_execz .LBB606_344
.LBB606_359:                            ;   in Loop: Header=BB606_308 Depth=2
	v_xor_b32_e32 v19, 0x80000000, v4
	s_delay_alu instid0(VALU_DEP_1) | instskip(NEXT) | instid1(VALU_DEP_1)
	v_lshrrev_b32_e32 v19, s31, v19
	v_and_b32_e32 v19, s48, v19
	s_delay_alu instid0(VALU_DEP_1)
	v_lshl_or_b32 v19, v19, 4, v62
	ds_add_u32 v19, v84
	s_wait_alu 0xfffe
	s_or_b32 exec_lo, exec_lo, s1
	v_cmp_gt_u32_e32 vcc_lo, s0, v61
	s_and_saveexec_b32 s0, vcc_lo
	s_cbranch_execz .LBB606_307
.LBB606_360:                            ;   in Loop: Header=BB606_308 Depth=2
	v_xor_b32_e32 v19, 0x80000000, v2
	s_delay_alu instid0(VALU_DEP_1) | instskip(NEXT) | instid1(VALU_DEP_1)
	v_lshrrev_b32_e32 v19, s31, v19
	v_and_b32_e32 v19, s48, v19
	s_delay_alu instid0(VALU_DEP_1)
	v_lshl_or_b32 v19, v19, 4, v62
	ds_add_u32 v19, v84
	s_branch .LBB606_307
.LBB606_361:                            ;   in Loop: Header=BB606_308 Depth=2
	global_load_b32 v18, v108, s[0:1]
	s_or_b32 exec_lo, exec_lo, s11
	s_delay_alu instid0(SALU_CYCLE_1)
	s_mov_b32 s11, exec_lo
	v_cmpx_gt_u32_e64 s9, v45
	s_cbranch_execz .LBB606_313
.LBB606_362:                            ;   in Loop: Header=BB606_308 Depth=2
	global_load_b32 v17, v108, s[0:1] offset:1024
	s_wait_alu 0xfffe
	s_or_b32 exec_lo, exec_lo, s11
	s_delay_alu instid0(SALU_CYCLE_1)
	s_mov_b32 s11, exec_lo
	v_cmpx_gt_u32_e64 s9, v46
	s_cbranch_execz .LBB606_314
.LBB606_363:                            ;   in Loop: Header=BB606_308 Depth=2
	global_load_b32 v16, v108, s[0:1] offset:2048
	s_wait_alu 0xfffe
	s_or_b32 exec_lo, exec_lo, s11
	s_delay_alu instid0(SALU_CYCLE_1)
	s_mov_b32 s11, exec_lo
	v_cmpx_gt_u32_e64 s9, v47
	s_cbranch_execz .LBB606_315
.LBB606_364:                            ;   in Loop: Header=BB606_308 Depth=2
	global_load_b32 v15, v108, s[0:1] offset:3072
	s_wait_alu 0xfffe
	s_or_b32 exec_lo, exec_lo, s11
	s_delay_alu instid0(SALU_CYCLE_1)
	s_mov_b32 s11, exec_lo
	v_cmpx_gt_u32_e64 s9, v50
	s_cbranch_execz .LBB606_316
.LBB606_365:                            ;   in Loop: Header=BB606_308 Depth=2
	global_load_b32 v14, v108, s[0:1] offset:4096
	s_wait_alu 0xfffe
	s_or_b32 exec_lo, exec_lo, s11
	s_delay_alu instid0(SALU_CYCLE_1)
	s_mov_b32 s11, exec_lo
	v_cmpx_gt_u32_e64 s9, v51
	s_cbranch_execz .LBB606_317
.LBB606_366:                            ;   in Loop: Header=BB606_308 Depth=2
	global_load_b32 v13, v108, s[0:1] offset:5120
	s_wait_alu 0xfffe
	s_or_b32 exec_lo, exec_lo, s11
	s_delay_alu instid0(SALU_CYCLE_1)
	s_mov_b32 s11, exec_lo
	v_cmpx_gt_u32_e64 s9, v52
	s_cbranch_execz .LBB606_318
.LBB606_367:                            ;   in Loop: Header=BB606_308 Depth=2
	global_load_b32 v12, v108, s[0:1] offset:6144
	s_wait_alu 0xfffe
	s_or_b32 exec_lo, exec_lo, s11
	s_delay_alu instid0(SALU_CYCLE_1)
	s_mov_b32 s11, exec_lo
	v_cmpx_gt_u32_e64 s9, v53
	s_cbranch_execz .LBB606_319
.LBB606_368:                            ;   in Loop: Header=BB606_308 Depth=2
	global_load_b32 v11, v108, s[0:1] offset:7168
	s_wait_alu 0xfffe
	s_or_b32 exec_lo, exec_lo, s11
	s_delay_alu instid0(SALU_CYCLE_1)
	s_mov_b32 s11, exec_lo
	v_cmpx_gt_u32_e64 s9, v54
	s_cbranch_execz .LBB606_320
.LBB606_369:                            ;   in Loop: Header=BB606_308 Depth=2
	global_load_b32 v10, v108, s[0:1] offset:8192
	s_wait_alu 0xfffe
	s_or_b32 exec_lo, exec_lo, s11
	s_delay_alu instid0(SALU_CYCLE_1)
	s_mov_b32 s11, exec_lo
	v_cmpx_gt_u32_e64 s9, v55
	s_cbranch_execz .LBB606_321
.LBB606_370:                            ;   in Loop: Header=BB606_308 Depth=2
	global_load_b32 v9, v108, s[0:1] offset:9216
	s_wait_alu 0xfffe
	s_or_b32 exec_lo, exec_lo, s11
	s_delay_alu instid0(SALU_CYCLE_1)
	s_mov_b32 s11, exec_lo
	v_cmpx_gt_u32_e64 s9, v56
	s_cbranch_execz .LBB606_322
.LBB606_371:                            ;   in Loop: Header=BB606_308 Depth=2
	global_load_b32 v8, v108, s[0:1] offset:10240
	s_wait_alu 0xfffe
	s_or_b32 exec_lo, exec_lo, s11
	s_delay_alu instid0(SALU_CYCLE_1)
	s_mov_b32 s11, exec_lo
	v_cmpx_gt_u32_e64 s9, v57
	s_cbranch_execz .LBB606_323
.LBB606_372:                            ;   in Loop: Header=BB606_308 Depth=2
	global_load_b32 v7, v108, s[0:1] offset:11264
	s_wait_alu 0xfffe
	s_or_b32 exec_lo, exec_lo, s11
	s_delay_alu instid0(SALU_CYCLE_1)
	s_mov_b32 s11, exec_lo
	v_cmpx_gt_u32_e64 s9, v58
	s_cbranch_execz .LBB606_324
.LBB606_373:                            ;   in Loop: Header=BB606_308 Depth=2
	global_load_b32 v6, v108, s[0:1] offset:12288
	s_wait_alu 0xfffe
	s_or_b32 exec_lo, exec_lo, s11
	s_delay_alu instid0(SALU_CYCLE_1)
	s_mov_b32 s11, exec_lo
	v_cmpx_gt_u32_e64 s9, v59
	s_cbranch_execz .LBB606_325
.LBB606_374:                            ;   in Loop: Header=BB606_308 Depth=2
	global_load_b32 v5, v108, s[0:1] offset:13312
	s_wait_alu 0xfffe
	s_or_b32 exec_lo, exec_lo, s11
	s_delay_alu instid0(SALU_CYCLE_1)
	s_mov_b32 s11, exec_lo
	v_cmpx_gt_u32_e64 s9, v60
	s_cbranch_execz .LBB606_326
.LBB606_375:                            ;   in Loop: Header=BB606_308 Depth=2
	global_load_b32 v4, v108, s[0:1] offset:14336
	s_wait_alu 0xfffe
	s_or_b32 exec_lo, exec_lo, s11
	s_delay_alu instid0(SALU_CYCLE_1)
	s_mov_b32 s11, exec_lo
	v_cmpx_gt_u32_e64 s9, v61
	s_cbranch_execnz .LBB606_327
	s_branch .LBB606_328
.LBB606_376:                            ;   in Loop: Header=BB606_12 Depth=1
	v_mov_b32_e32 v2, 0
	s_wait_dscnt 0x0
	s_barrier_signal -1
	s_barrier_wait -1
	global_inv scope:SCOPE_SE
	s_and_saveexec_b32 s0, s2
	s_cbranch_execz .LBB606_378
; %bb.377:                              ;   in Loop: Header=BB606_12 Depth=1
	ds_load_2addr_b64 v[4:7], v64 offset1:1
	s_wait_dscnt 0x0
	v_add_nc_u32_e32 v2, v5, v4
	s_delay_alu instid0(VALU_DEP_1)
	v_add3_u32 v2, v2, v6, v7
.LBB606_378:                            ;   in Loop: Header=BB606_12 Depth=1
	s_wait_alu 0xfffe
	s_or_b32 exec_lo, exec_lo, s0
	s_delay_alu instid0(VALU_DEP_1)
	v_mov_b32_dpp v4, v2 row_shr:1 row_mask:0xf bank_mask:0xf
	v_cmp_eq_u32_e64 s0, 0, v85
	v_cmp_lt_u32_e64 s1, 1, v85
	v_cmp_lt_u32_e64 s9, 3, v85
	;; [unrolled: 1-line block ×3, first 2 shown]
	v_cmp_eq_u32_e64 s11, 0, v87
	s_wait_alu 0xf1ff
	v_cndmask_b32_e64 v4, v4, 0, s0
	s_delay_alu instid0(VALU_DEP_1) | instskip(NEXT) | instid1(VALU_DEP_1)
	v_add_nc_u32_e32 v2, v4, v2
	v_mov_b32_dpp v4, v2 row_shr:2 row_mask:0xf bank_mask:0xf
	s_delay_alu instid0(VALU_DEP_1) | instskip(NEXT) | instid1(VALU_DEP_1)
	v_cndmask_b32_e64 v4, 0, v4, s1
	v_add_nc_u32_e32 v2, v2, v4
	s_delay_alu instid0(VALU_DEP_1) | instskip(NEXT) | instid1(VALU_DEP_1)
	v_mov_b32_dpp v4, v2 row_shr:4 row_mask:0xf bank_mask:0xf
	v_cndmask_b32_e64 v4, 0, v4, s9
	s_delay_alu instid0(VALU_DEP_1) | instskip(NEXT) | instid1(VALU_DEP_1)
	v_add_nc_u32_e32 v2, v2, v4
	v_mov_b32_dpp v4, v2 row_shr:8 row_mask:0xf bank_mask:0xf
	s_delay_alu instid0(VALU_DEP_1) | instskip(NEXT) | instid1(VALU_DEP_1)
	v_cndmask_b32_e64 v4, 0, v4, s10
	v_add_nc_u32_e32 v2, v2, v4
	ds_swizzle_b32 v4, v2 offset:swizzle(BROADCAST,32,15)
	s_wait_dscnt 0x0
	v_and_b32_e32 v4, v86, v4
	s_delay_alu instid0(VALU_DEP_1)
	v_add_nc_u32_e32 v2, v2, v4
	s_and_saveexec_b32 s12, s3
; %bb.379:                              ;   in Loop: Header=BB606_12 Depth=1
	ds_store_b32 v65, v2
; %bb.380:                              ;   in Loop: Header=BB606_12 Depth=1
	s_wait_alu 0xfffe
	s_or_b32 exec_lo, exec_lo, s12
	s_wait_loadcnt_dscnt 0x0
	s_barrier_signal -1
	s_barrier_wait -1
	global_inv scope:SCOPE_SE
	s_and_saveexec_b32 s12, s4
	s_cbranch_execz .LBB606_382
; %bb.381:                              ;   in Loop: Header=BB606_12 Depth=1
	ds_load_b32 v4, v66
	v_cmp_ne_u32_e32 vcc_lo, 0, v89
	s_wait_dscnt 0x0
	v_mov_b32_dpp v5, v4 row_shr:1 row_mask:0xf bank_mask:0xf
	s_wait_alu 0xfffd
	s_delay_alu instid0(VALU_DEP_1) | instskip(SKIP_1) | instid1(VALU_DEP_2)
	v_cndmask_b32_e32 v5, 0, v5, vcc_lo
	v_cmp_lt_u32_e32 vcc_lo, 1, v89
	v_add_nc_u32_e32 v4, v5, v4
	s_delay_alu instid0(VALU_DEP_1) | instskip(SKIP_1) | instid1(VALU_DEP_1)
	v_mov_b32_dpp v5, v4 row_shr:2 row_mask:0xf bank_mask:0xf
	s_wait_alu 0xfffd
	v_cndmask_b32_e32 v5, 0, v5, vcc_lo
	v_cmp_lt_u32_e32 vcc_lo, 3, v89
	s_delay_alu instid0(VALU_DEP_2) | instskip(NEXT) | instid1(VALU_DEP_1)
	v_add_nc_u32_e32 v4, v4, v5
	v_mov_b32_dpp v5, v4 row_shr:4 row_mask:0xf bank_mask:0xf
	s_wait_alu 0xfffd
	s_delay_alu instid0(VALU_DEP_1) | instskip(NEXT) | instid1(VALU_DEP_1)
	v_cndmask_b32_e32 v5, 0, v5, vcc_lo
	v_add_nc_u32_e32 v4, v4, v5
	ds_store_b32 v66, v4
.LBB606_382:                            ;   in Loop: Header=BB606_12 Depth=1
	s_wait_alu 0xfffe
	s_or_b32 exec_lo, exec_lo, s12
	v_mov_b32_e32 v4, 0
	s_wait_loadcnt_dscnt 0x0
	s_barrier_signal -1
	s_barrier_wait -1
	global_inv scope:SCOPE_SE
	s_and_saveexec_b32 s12, s5
; %bb.383:                              ;   in Loop: Header=BB606_12 Depth=1
	ds_load_b32 v4, v68
; %bb.384:                              ;   in Loop: Header=BB606_12 Depth=1
	s_wait_alu 0xfffe
	s_or_b32 exec_lo, exec_lo, s12
	v_cmp_gt_i32_e32 vcc_lo, 0, v90
	s_wait_loadcnt_dscnt 0x0
	s_barrier_signal -1
	s_barrier_wait -1
	global_inv scope:SCOPE_SE
	s_wait_alu 0xfffd
	v_dual_cndmask_b32 v5, v90, v81 :: v_dual_add_nc_u32 v2, v4, v2
	s_delay_alu instid0(VALU_DEP_1)
	v_lshlrev_b32_e32 v113, 2, v5
	ds_bpermute_b32 v2, v113, v2
	s_and_saveexec_b32 s12, s2
	s_cbranch_execz .LBB606_386
; %bb.385:                              ;   in Loop: Header=BB606_12 Depth=1
	s_wait_dscnt 0x0
	v_cndmask_b32_e64 v2, v2, v4, s8
	s_delay_alu instid0(VALU_DEP_1)
	v_add_nc_u32_e32 v2, s33, v2
	ds_store_b32 v44, v2
.LBB606_386:                            ;   in Loop: Header=BB606_12 Depth=1
	s_wait_alu 0xfffe
	s_or_b32 exec_lo, exec_lo, s12
	s_load_b64 s[12:13], s[34:35], 0x0
	v_add_co_u32 v114, vcc_lo, v73, v91
	s_wait_alu 0xfffd
	v_add_co_ci_u32_e64 v115, null, 0, v74, vcc_lo
	v_add_co_u32 v116, vcc_lo, v75, v107
	s_wait_alu 0xfffd
	v_add_co_ci_u32_e64 v117, null, 0, v76, vcc_lo
	s_mov_b32 s54, s53
                                        ; implicit-def: $vgpr6_vgpr7
                                        ; implicit-def: $vgpr8_vgpr9
                                        ; implicit-def: $vgpr10_vgpr11
                                        ; implicit-def: $vgpr12_vgpr13
                                        ; implicit-def: $vgpr14_vgpr15
                                        ; implicit-def: $vgpr16_vgpr17
                                        ; implicit-def: $vgpr18_vgpr19
                                        ; implicit-def: $vgpr20_vgpr21
                                        ; implicit-def: $vgpr22_vgpr23
                                        ; implicit-def: $vgpr24_vgpr25
                                        ; implicit-def: $vgpr26_vgpr27
                                        ; implicit-def: $vgpr28_vgpr29
                                        ; implicit-def: $vgpr30_vgpr31
                                        ; implicit-def: $vgpr32_vgpr33
                                        ; implicit-def: $vgpr34_vgpr35
                                        ; implicit-def: $vgpr119
                                        ; implicit-def: $vgpr120
                                        ; implicit-def: $vgpr121
                                        ; implicit-def: $vgpr122
                                        ; implicit-def: $vgpr123
                                        ; implicit-def: $vgpr124
                                        ; implicit-def: $vgpr125
                                        ; implicit-def: $vgpr126
                                        ; implicit-def: $vgpr127
                                        ; implicit-def: $vgpr128
                                        ; implicit-def: $vgpr129
                                        ; implicit-def: $vgpr130
                                        ; implicit-def: $vgpr131
                                        ; implicit-def: $vgpr132
                                        ; implicit-def: $vgpr133
                                        ; implicit-def: $vgpr134
	s_wait_kmcnt 0x0
	s_cmp_lt_u32 ttmp7, s13
	s_cselect_b32 s42, 14, 20
	s_cmp_lt_u32 ttmp9, s12
	s_wait_alu 0xfffe
	s_add_nc_u64 s[14:15], s[34:35], s[42:43]
	s_cselect_b32 s42, 12, 18
	s_load_u16 s14, s[14:15], 0x0
	s_add_nc_u64 s[12:13], s[34:35], s[42:43]
	s_mov_b32 s42, s33
	s_load_u16 s12, s[12:13], 0x0
	v_cmp_lt_u32_e64 s13, 1, v89
	s_wait_dscnt 0x0
	s_wait_kmcnt 0x0
	v_mad_u32_u24 v2, v69, s14, v0
	v_cmp_lt_u32_e64 s14, 3, v89
	s_delay_alu instid0(VALU_DEP_2) | instskip(SKIP_1) | instid1(VALU_DEP_2)
	v_mad_co_u64_u32 v[4:5], null, v2, s12, v[1:2]
	v_cmp_eq_u32_e64 s12, 0, v89
	v_lshrrev_b32_e32 v2, 3, v4
                                        ; implicit-def: $vgpr4_vgpr5
	s_delay_alu instid0(VALU_DEP_1)
	v_and_b32_e32 v118, 0x1ffffffc, v2
	s_branch .LBB606_388
.LBB606_387:                            ;   in Loop: Header=BB606_388 Depth=2
	s_wait_alu 0xfffe
	s_or_b32 exec_lo, exec_lo, s15
	s_addk_co_i32 s54, 0xf000
	s_cmp_lt_u32 s55, s51
	s_mov_b32 s42, s55
	s_cbranch_scc0 .LBB606_596
.LBB606_388:                            ;   Parent Loop BB606_12 Depth=1
                                        ; =>  This Inner Loop Header: Depth=2
	s_wait_alu 0xfffe
	s_add_co_i32 s55, s42, 0x1000
	s_wait_alu 0xfffe
	s_cmp_gt_u32 s55, s51
	s_cbranch_scc1 .LBB606_390
; %bb.389:                              ;   in Loop: Header=BB606_388 Depth=2
	s_lshl_b64 s[16:17], s[42:43], 2
	s_mov_b32 s15, -1
	s_wait_alu 0xfffe
	v_add_co_u32 v36, vcc_lo, v116, s16
	s_wait_alu 0xfffd
	v_add_co_ci_u32_e64 v37, null, s17, v117, vcc_lo
	s_clause 0xe
	global_load_b32 v136, v[36:37], off
	global_load_b32 v137, v[36:37], off offset:128
	global_load_b32 v144, v[36:37], off offset:256
	;; [unrolled: 1-line block ×14, first 2 shown]
	s_movk_i32 s16, 0x1000
	s_cbranch_execz .LBB606_391
	s_branch .LBB606_422
.LBB606_390:                            ;   in Loop: Header=BB606_388 Depth=2
	s_mov_b32 s15, 0
                                        ; implicit-def: $vgpr136
                                        ; implicit-def: $vgpr137
                                        ; implicit-def: $vgpr144
                                        ; implicit-def: $vgpr148
                                        ; implicit-def: $vgpr152
                                        ; implicit-def: $vgpr156
                                        ; implicit-def: $vgpr160
                                        ; implicit-def: $vgpr164
                                        ; implicit-def: $vgpr167
                                        ; implicit-def: $vgpr43
                                        ; implicit-def: $vgpr42
                                        ; implicit-def: $vgpr41
                                        ; implicit-def: $vgpr40
                                        ; implicit-def: $vgpr39
                                        ; implicit-def: $vgpr38
	s_movk_i32 s16, 0x1000
.LBB606_391:                            ;   in Loop: Header=BB606_388 Depth=2
	s_lshl_b64 s[16:17], s[42:43], 2
	s_wait_loadcnt 0xd
	v_bfrev_b32_e32 v137, -2
	s_wait_alu 0xfffe
	v_add_co_u32 v36, vcc_lo, v116, s16
	s_wait_alu 0xfffd
	v_add_co_ci_u32_e64 v37, null, s17, v117, vcc_lo
	v_bfrev_b32_e32 v136, -2
	s_mov_b32 s15, exec_lo
	v_cmpx_gt_u32_e64 s54, v88
	s_cbranch_execz .LBB606_393
; %bb.392:                              ;   in Loop: Header=BB606_388 Depth=2
	global_load_b32 v136, v[36:37], off
.LBB606_393:                            ;   in Loop: Header=BB606_388 Depth=2
	s_wait_alu 0xfffe
	s_or_b32 exec_lo, exec_lo, s15
	s_delay_alu instid0(SALU_CYCLE_1)
	s_mov_b32 s15, exec_lo
	v_cmpx_gt_u32_e64 s54, v92
	s_cbranch_execz .LBB606_395
; %bb.394:                              ;   in Loop: Header=BB606_388 Depth=2
	global_load_b32 v137, v[36:37], off offset:128
.LBB606_395:                            ;   in Loop: Header=BB606_388 Depth=2
	s_wait_alu 0xfffe
	s_or_b32 exec_lo, exec_lo, s15
	s_wait_loadcnt 0xb
	v_bfrev_b32_e32 v148, -2
	v_bfrev_b32_e32 v144, -2
	s_mov_b32 s15, exec_lo
	v_cmpx_gt_u32_e64 s54, v93
	s_cbranch_execz .LBB606_397
; %bb.396:                              ;   in Loop: Header=BB606_388 Depth=2
	global_load_b32 v144, v[36:37], off offset:256
.LBB606_397:                            ;   in Loop: Header=BB606_388 Depth=2
	s_wait_alu 0xfffe
	s_or_b32 exec_lo, exec_lo, s15
	s_delay_alu instid0(SALU_CYCLE_1)
	s_mov_b32 s15, exec_lo
	v_cmpx_gt_u32_e64 s54, v94
	s_cbranch_execz .LBB606_399
; %bb.398:                              ;   in Loop: Header=BB606_388 Depth=2
	global_load_b32 v148, v[36:37], off offset:384
.LBB606_399:                            ;   in Loop: Header=BB606_388 Depth=2
	s_wait_alu 0xfffe
	s_or_b32 exec_lo, exec_lo, s15
	s_wait_loadcnt 0x9
	v_bfrev_b32_e32 v156, -2
	v_bfrev_b32_e32 v152, -2
	s_mov_b32 s15, exec_lo
	v_cmpx_gt_u32_e64 s54, v95
	s_cbranch_execz .LBB606_401
; %bb.400:                              ;   in Loop: Header=BB606_388 Depth=2
	global_load_b32 v152, v[36:37], off offset:512
.LBB606_401:                            ;   in Loop: Header=BB606_388 Depth=2
	;; [unrolled: 20-line block ×6, first 2 shown]
	s_wait_alu 0xfffe
	s_or_b32 exec_lo, exec_lo, s15
	s_delay_alu instid0(SALU_CYCLE_1)
	s_mov_b32 s15, exec_lo
	v_cmpx_gt_u32_e64 s54, v104
	s_cbranch_execz .LBB606_419
; %bb.418:                              ;   in Loop: Header=BB606_388 Depth=2
	global_load_b32 v39, v[36:37], off offset:1664
.LBB606_419:                            ;   in Loop: Header=BB606_388 Depth=2
	s_wait_alu 0xfffe
	s_or_b32 exec_lo, exec_lo, s15
	s_wait_loadcnt 0x0
	v_bfrev_b32_e32 v38, -2
	s_mov_b32 s15, exec_lo
	v_cmpx_gt_u32_e64 s54, v105
	s_cbranch_execz .LBB606_421
; %bb.420:                              ;   in Loop: Header=BB606_388 Depth=2
	global_load_b32 v38, v[36:37], off offset:1792
.LBB606_421:                            ;   in Loop: Header=BB606_388 Depth=2
	s_wait_alu 0xfffe
	s_or_b32 exec_lo, exec_lo, s15
	v_cmp_gt_u32_e64 s15, s54, v106
	s_sub_co_i32 s16, s51, s42
.LBB606_422:                            ;   in Loop: Header=BB606_388 Depth=2
	v_dual_mov_b32 v2, -1 :: v_dual_mov_b32 v135, s54
	s_and_saveexec_b32 s17, s15
	s_cbranch_execz .LBB606_424
; %bb.423:                              ;   in Loop: Header=BB606_388 Depth=2
	s_lshl_b64 s[18:19], s[42:43], 2
	s_wait_alu 0xfffe
	v_mov_b32_e32 v135, s16
	v_add_co_u32 v36, vcc_lo, v116, s18
	s_wait_alu 0xfffd
	v_add_co_ci_u32_e64 v37, null, s19, v117, vcc_lo
	global_load_b32 v2, v[36:37], off offset:1920
	s_wait_loadcnt 0x0
	v_xor_b32_e32 v2, 0x80000000, v2
.LBB606_424:                            ;   in Loop: Header=BB606_388 Depth=2
	s_wait_alu 0xfffe
	s_or_b32 exec_lo, exec_lo, s17
	s_wait_loadcnt 0xe
	v_xor_b32_e32 v136, 0x80000000, v136
	s_delay_alu instid0(VALU_DEP_1) | instskip(NEXT) | instid1(VALU_DEP_1)
	v_lshrrev_b32_e32 v36, s31, v136
	v_and_b32_e32 v37, s48, v36
	s_delay_alu instid0(VALU_DEP_1)
	v_and_b32_e32 v36, 1, v37
	v_lshlrev_b32_e32 v138, 30, v37
	v_lshlrev_b32_e32 v139, 29, v37
	v_lshlrev_b32_e32 v140, 28, v37
	v_lshlrev_b32_e32 v142, 27, v37
	v_add_co_u32 v36, s15, v36, -1
	s_wait_alu 0xf1ff
	v_cndmask_b32_e64 v141, 0, 1, s15
	v_not_b32_e32 v146, v138
	v_cmp_gt_i32_e64 s15, 0, v138
	v_not_b32_e32 v138, v139
	v_lshlrev_b32_e32 v143, 26, v37
	v_cmp_ne_u32_e32 vcc_lo, 0, v141
	v_ashrrev_i32_e32 v146, 31, v146
	v_lshlrev_b32_e32 v145, 25, v37
	v_ashrrev_i32_e32 v138, 31, v138
	v_lshlrev_b32_e32 v141, 24, v37
	s_wait_alu 0xfffd
	v_xor_b32_e32 v36, vcc_lo, v36
	v_cmp_gt_i32_e32 vcc_lo, 0, v139
	v_not_b32_e32 v139, v140
	s_wait_alu 0xf1ff
	v_xor_b32_e32 v146, s15, v146
	v_cmp_gt_i32_e64 s15, 0, v140
	v_and_b32_e32 v36, exec_lo, v36
	v_not_b32_e32 v140, v142
	v_ashrrev_i32_e32 v139, 31, v139
	s_wait_alu 0xfffd
	v_xor_b32_e32 v138, vcc_lo, v138
	v_cmp_gt_i32_e32 vcc_lo, 0, v142
	v_and_b32_e32 v36, v36, v146
	v_not_b32_e32 v142, v143
	v_ashrrev_i32_e32 v140, 31, v140
	s_wait_alu 0xf1ff
	v_xor_b32_e32 v139, s15, v139
	v_cmp_gt_i32_e64 s15, 0, v143
	v_and_b32_e32 v36, v36, v138
	v_not_b32_e32 v138, v145
	v_ashrrev_i32_e32 v142, 31, v142
	s_wait_alu 0xfffd
	v_xor_b32_e32 v140, vcc_lo, v140
	v_cmp_gt_i32_e32 vcc_lo, 0, v145
	v_and_b32_e32 v36, v36, v139
	v_not_b32_e32 v139, v141
	v_ashrrev_i32_e32 v138, 31, v138
	s_wait_alu 0xf1ff
	v_xor_b32_e32 v142, s15, v142
	v_cmp_gt_i32_e64 s15, 0, v141
	v_and_b32_e32 v36, v36, v140
	v_ashrrev_i32_e32 v139, 31, v139
	s_wait_alu 0xfffd
	v_xor_b32_e32 v138, vcc_lo, v138
	v_mul_u32_u24_e32 v37, 36, v37
	v_add_nc_u32_e32 v141, 0x428, v67
	v_and_b32_e32 v36, v36, v142
	s_wait_alu 0xf1ff
	v_xor_b32_e32 v140, s15, v139
	v_add_nc_u32_e32 v139, 0x438, v67
	v_add_nc_u32_e32 v142, 0x430, v67
	;; [unrolled: 1-line block ×3, first 2 shown]
	v_and_b32_e32 v36, v36, v138
	ds_store_2addr_b32 v139, v3, v3 offset1:1
	v_and_b32_e32 v36, v36, v140
	v_add_nc_u32_e32 v140, 0x420, v67
	ds_store_2addr_b32 v140, v3, v3 offset1:1
	ds_store_2addr_b32 v141, v3, v3 offset1:1
	;; [unrolled: 1-line block ×3, first 2 shown]
	ds_store_b32 v67, v3 offset:1088
	v_mbcnt_lo_u32_b32 v138, v36, 0
	v_cmp_ne_u32_e64 s15, 0, v36
	s_wait_loadcnt_dscnt 0x0
	s_barrier_signal -1
	s_barrier_wait -1
	v_cmp_eq_u32_e32 vcc_lo, 0, v138
	global_inv scope:SCOPE_SE
	; wave barrier
	s_and_b32 s16, s15, vcc_lo
	s_wait_alu 0xfffe
	s_and_saveexec_b32 s15, s16
; %bb.425:                              ;   in Loop: Header=BB606_388 Depth=2
	v_bcnt_u32_b32 v36, v36, 0
	ds_store_b32 v143, v36 offset:1056
; %bb.426:                              ;   in Loop: Header=BB606_388 Depth=2
	s_wait_alu 0xfffe
	s_or_b32 exec_lo, exec_lo, s15
	v_xor_b32_e32 v137, 0x80000000, v137
	; wave barrier
	s_delay_alu instid0(VALU_DEP_1) | instskip(NEXT) | instid1(VALU_DEP_1)
	v_lshrrev_b32_e32 v36, s31, v137
	v_and_b32_e32 v37, s48, v36
	s_delay_alu instid0(VALU_DEP_1)
	v_and_b32_e32 v36, 1, v37
	v_lshlrev_b32_e32 v145, 30, v37
	v_lshlrev_b32_e32 v146, 29, v37
	;; [unrolled: 1-line block ×4, first 2 shown]
	v_add_co_u32 v36, s15, v36, -1
	s_wait_alu 0xf1ff
	v_cndmask_b32_e64 v149, 0, 1, s15
	v_not_b32_e32 v154, v145
	v_cmp_gt_i32_e64 s15, 0, v145
	v_not_b32_e32 v145, v146
	v_lshlrev_b32_e32 v151, 26, v37
	v_cmp_ne_u32_e32 vcc_lo, 0, v149
	v_ashrrev_i32_e32 v154, 31, v154
	v_lshlrev_b32_e32 v153, 25, v37
	v_ashrrev_i32_e32 v145, 31, v145
	v_lshlrev_b32_e32 v149, 24, v37
	s_wait_alu 0xfffd
	v_xor_b32_e32 v36, vcc_lo, v36
	v_cmp_gt_i32_e32 vcc_lo, 0, v146
	v_not_b32_e32 v146, v147
	s_wait_alu 0xf1ff
	v_xor_b32_e32 v154, s15, v154
	v_cmp_gt_i32_e64 s15, 0, v147
	v_and_b32_e32 v36, exec_lo, v36
	v_not_b32_e32 v147, v150
	v_ashrrev_i32_e32 v146, 31, v146
	s_wait_alu 0xfffd
	v_xor_b32_e32 v145, vcc_lo, v145
	v_cmp_gt_i32_e32 vcc_lo, 0, v150
	v_and_b32_e32 v36, v36, v154
	v_not_b32_e32 v150, v151
	v_ashrrev_i32_e32 v147, 31, v147
	s_wait_alu 0xf1ff
	v_xor_b32_e32 v146, s15, v146
	v_cmp_gt_i32_e64 s15, 0, v151
	v_and_b32_e32 v36, v36, v145
	v_not_b32_e32 v145, v153
	v_ashrrev_i32_e32 v150, 31, v150
	s_wait_alu 0xfffd
	v_xor_b32_e32 v147, vcc_lo, v147
	v_cmp_gt_i32_e32 vcc_lo, 0, v153
	v_and_b32_e32 v36, v36, v146
	v_not_b32_e32 v146, v149
	v_ashrrev_i32_e32 v145, 31, v145
	s_wait_alu 0xf1ff
	v_xor_b32_e32 v150, s15, v150
	v_cmp_gt_i32_e64 s15, 0, v149
	v_and_b32_e32 v36, v36, v147
	v_ashrrev_i32_e32 v146, 31, v146
	s_wait_alu 0xfffd
	v_xor_b32_e32 v145, vcc_lo, v145
	v_mad_u32_u24 v147, v37, 36, v118
	v_mul_u32_u24_e32 v37, 36, v37
	v_and_b32_e32 v36, v36, v150
	s_wait_alu 0xf1ff
	v_xor_b32_e32 v146, s15, v146
	s_delay_alu instid0(VALU_DEP_2) | instskip(SKIP_3) | instid1(VALU_DEP_1)
	v_and_b32_e32 v36, v36, v145
	ds_load_b32 v145, v147 offset:1056
	v_add_nc_u32_e32 v147, v118, v37
	; wave barrier
	v_and_b32_e32 v36, v36, v146
	v_mbcnt_lo_u32_b32 v146, v36, 0
	v_cmp_ne_u32_e64 s15, 0, v36
	s_delay_alu instid0(VALU_DEP_2)
	v_cmp_eq_u32_e32 vcc_lo, 0, v146
	s_and_b32 s16, s15, vcc_lo
	s_wait_alu 0xfffe
	s_and_saveexec_b32 s15, s16
	s_cbranch_execz .LBB606_428
; %bb.427:                              ;   in Loop: Header=BB606_388 Depth=2
	s_wait_dscnt 0x0
	v_bcnt_u32_b32 v36, v36, v145
	ds_store_b32 v147, v36 offset:1056
.LBB606_428:                            ;   in Loop: Header=BB606_388 Depth=2
	s_wait_alu 0xfffe
	s_or_b32 exec_lo, exec_lo, s15
	v_xor_b32_e32 v144, 0x80000000, v144
	; wave barrier
	s_delay_alu instid0(VALU_DEP_1) | instskip(NEXT) | instid1(VALU_DEP_1)
	v_lshrrev_b32_e32 v36, s31, v144
	v_and_b32_e32 v37, s48, v36
	s_delay_alu instid0(VALU_DEP_1)
	v_and_b32_e32 v36, 1, v37
	v_lshlrev_b32_e32 v149, 30, v37
	v_lshlrev_b32_e32 v150, 29, v37
	;; [unrolled: 1-line block ×4, first 2 shown]
	v_add_co_u32 v36, s15, v36, -1
	s_wait_alu 0xf1ff
	v_cndmask_b32_e64 v153, 0, 1, s15
	v_not_b32_e32 v158, v149
	v_cmp_gt_i32_e64 s15, 0, v149
	v_not_b32_e32 v149, v150
	v_lshlrev_b32_e32 v155, 26, v37
	v_cmp_ne_u32_e32 vcc_lo, 0, v153
	v_ashrrev_i32_e32 v158, 31, v158
	v_lshlrev_b32_e32 v157, 25, v37
	v_ashrrev_i32_e32 v149, 31, v149
	v_lshlrev_b32_e32 v153, 24, v37
	s_wait_alu 0xfffd
	v_xor_b32_e32 v36, vcc_lo, v36
	v_cmp_gt_i32_e32 vcc_lo, 0, v150
	v_not_b32_e32 v150, v151
	s_wait_alu 0xf1ff
	v_xor_b32_e32 v158, s15, v158
	v_cmp_gt_i32_e64 s15, 0, v151
	v_and_b32_e32 v36, exec_lo, v36
	v_not_b32_e32 v151, v154
	v_ashrrev_i32_e32 v150, 31, v150
	s_wait_alu 0xfffd
	v_xor_b32_e32 v149, vcc_lo, v149
	v_cmp_gt_i32_e32 vcc_lo, 0, v154
	v_and_b32_e32 v36, v36, v158
	v_not_b32_e32 v154, v155
	v_ashrrev_i32_e32 v151, 31, v151
	s_wait_alu 0xf1ff
	v_xor_b32_e32 v150, s15, v150
	v_cmp_gt_i32_e64 s15, 0, v155
	v_and_b32_e32 v36, v36, v149
	v_not_b32_e32 v149, v157
	v_ashrrev_i32_e32 v154, 31, v154
	s_wait_alu 0xfffd
	v_xor_b32_e32 v151, vcc_lo, v151
	v_cmp_gt_i32_e32 vcc_lo, 0, v157
	v_and_b32_e32 v36, v36, v150
	v_not_b32_e32 v150, v153
	v_ashrrev_i32_e32 v149, 31, v149
	s_wait_alu 0xf1ff
	v_xor_b32_e32 v154, s15, v154
	v_cmp_gt_i32_e64 s15, 0, v153
	v_and_b32_e32 v36, v36, v151
	v_ashrrev_i32_e32 v150, 31, v150
	s_wait_alu 0xfffd
	v_xor_b32_e32 v149, vcc_lo, v149
	v_mad_u32_u24 v151, v37, 36, v118
	v_mul_u32_u24_e32 v37, 36, v37
	v_and_b32_e32 v36, v36, v154
	s_wait_alu 0xf1ff
	v_xor_b32_e32 v150, s15, v150
	s_delay_alu instid0(VALU_DEP_2) | instskip(SKIP_3) | instid1(VALU_DEP_1)
	v_and_b32_e32 v36, v36, v149
	ds_load_b32 v149, v151 offset:1056
	v_add_nc_u32_e32 v151, v118, v37
	; wave barrier
	v_and_b32_e32 v36, v36, v150
	v_mbcnt_lo_u32_b32 v150, v36, 0
	v_cmp_ne_u32_e64 s15, 0, v36
	s_delay_alu instid0(VALU_DEP_2)
	v_cmp_eq_u32_e32 vcc_lo, 0, v150
	s_and_b32 s16, s15, vcc_lo
	s_wait_alu 0xfffe
	s_and_saveexec_b32 s15, s16
	s_cbranch_execz .LBB606_430
; %bb.429:                              ;   in Loop: Header=BB606_388 Depth=2
	s_wait_dscnt 0x0
	v_bcnt_u32_b32 v36, v36, v149
	ds_store_b32 v151, v36 offset:1056
.LBB606_430:                            ;   in Loop: Header=BB606_388 Depth=2
	s_wait_alu 0xfffe
	s_or_b32 exec_lo, exec_lo, s15
	v_xor_b32_e32 v148, 0x80000000, v148
	; wave barrier
	s_delay_alu instid0(VALU_DEP_1) | instskip(NEXT) | instid1(VALU_DEP_1)
	v_lshrrev_b32_e32 v36, s31, v148
	v_and_b32_e32 v37, s48, v36
	s_delay_alu instid0(VALU_DEP_1)
	v_and_b32_e32 v36, 1, v37
	v_lshlrev_b32_e32 v153, 30, v37
	v_lshlrev_b32_e32 v154, 29, v37
	;; [unrolled: 1-line block ×4, first 2 shown]
	v_add_co_u32 v36, s15, v36, -1
	s_wait_alu 0xf1ff
	v_cndmask_b32_e64 v157, 0, 1, s15
	v_not_b32_e32 v162, v153
	v_cmp_gt_i32_e64 s15, 0, v153
	v_not_b32_e32 v153, v154
	v_lshlrev_b32_e32 v159, 26, v37
	v_cmp_ne_u32_e32 vcc_lo, 0, v157
	v_ashrrev_i32_e32 v162, 31, v162
	v_lshlrev_b32_e32 v161, 25, v37
	v_ashrrev_i32_e32 v153, 31, v153
	v_lshlrev_b32_e32 v157, 24, v37
	s_wait_alu 0xfffd
	v_xor_b32_e32 v36, vcc_lo, v36
	v_cmp_gt_i32_e32 vcc_lo, 0, v154
	v_not_b32_e32 v154, v155
	s_wait_alu 0xf1ff
	v_xor_b32_e32 v162, s15, v162
	v_cmp_gt_i32_e64 s15, 0, v155
	v_and_b32_e32 v36, exec_lo, v36
	v_not_b32_e32 v155, v158
	v_ashrrev_i32_e32 v154, 31, v154
	s_wait_alu 0xfffd
	v_xor_b32_e32 v153, vcc_lo, v153
	v_cmp_gt_i32_e32 vcc_lo, 0, v158
	v_and_b32_e32 v36, v36, v162
	v_not_b32_e32 v158, v159
	v_ashrrev_i32_e32 v155, 31, v155
	s_wait_alu 0xf1ff
	v_xor_b32_e32 v154, s15, v154
	v_cmp_gt_i32_e64 s15, 0, v159
	v_and_b32_e32 v36, v36, v153
	v_not_b32_e32 v153, v161
	v_ashrrev_i32_e32 v158, 31, v158
	s_wait_alu 0xfffd
	v_xor_b32_e32 v155, vcc_lo, v155
	v_cmp_gt_i32_e32 vcc_lo, 0, v161
	v_and_b32_e32 v36, v36, v154
	v_not_b32_e32 v154, v157
	v_ashrrev_i32_e32 v153, 31, v153
	s_wait_alu 0xf1ff
	v_xor_b32_e32 v158, s15, v158
	v_cmp_gt_i32_e64 s15, 0, v157
	v_and_b32_e32 v36, v36, v155
	v_ashrrev_i32_e32 v154, 31, v154
	s_wait_alu 0xfffd
	v_xor_b32_e32 v153, vcc_lo, v153
	v_mad_u32_u24 v155, v37, 36, v118
	v_mul_u32_u24_e32 v37, 36, v37
	v_and_b32_e32 v36, v36, v158
	s_wait_alu 0xf1ff
	v_xor_b32_e32 v154, s15, v154
	s_delay_alu instid0(VALU_DEP_2) | instskip(SKIP_3) | instid1(VALU_DEP_1)
	v_and_b32_e32 v36, v36, v153
	ds_load_b32 v153, v155 offset:1056
	v_add_nc_u32_e32 v155, v118, v37
	; wave barrier
	v_and_b32_e32 v36, v36, v154
	v_mbcnt_lo_u32_b32 v154, v36, 0
	v_cmp_ne_u32_e64 s15, 0, v36
	s_delay_alu instid0(VALU_DEP_2)
	v_cmp_eq_u32_e32 vcc_lo, 0, v154
	s_and_b32 s16, s15, vcc_lo
	s_wait_alu 0xfffe
	s_and_saveexec_b32 s15, s16
	s_cbranch_execz .LBB606_432
; %bb.431:                              ;   in Loop: Header=BB606_388 Depth=2
	s_wait_dscnt 0x0
	v_bcnt_u32_b32 v36, v36, v153
	ds_store_b32 v155, v36 offset:1056
.LBB606_432:                            ;   in Loop: Header=BB606_388 Depth=2
	s_wait_alu 0xfffe
	s_or_b32 exec_lo, exec_lo, s15
	v_xor_b32_e32 v152, 0x80000000, v152
	; wave barrier
	s_delay_alu instid0(VALU_DEP_1) | instskip(NEXT) | instid1(VALU_DEP_1)
	v_lshrrev_b32_e32 v36, s31, v152
	v_and_b32_e32 v37, s48, v36
	s_delay_alu instid0(VALU_DEP_1)
	v_and_b32_e32 v36, 1, v37
	v_lshlrev_b32_e32 v157, 30, v37
	v_lshlrev_b32_e32 v158, 29, v37
	;; [unrolled: 1-line block ×4, first 2 shown]
	v_add_co_u32 v36, s15, v36, -1
	s_wait_alu 0xf1ff
	v_cndmask_b32_e64 v161, 0, 1, s15
	v_not_b32_e32 v166, v157
	v_cmp_gt_i32_e64 s15, 0, v157
	v_not_b32_e32 v157, v158
	v_lshlrev_b32_e32 v163, 26, v37
	v_cmp_ne_u32_e32 vcc_lo, 0, v161
	v_ashrrev_i32_e32 v166, 31, v166
	v_lshlrev_b32_e32 v165, 25, v37
	v_ashrrev_i32_e32 v157, 31, v157
	v_lshlrev_b32_e32 v161, 24, v37
	s_wait_alu 0xfffd
	v_xor_b32_e32 v36, vcc_lo, v36
	v_cmp_gt_i32_e32 vcc_lo, 0, v158
	v_not_b32_e32 v158, v159
	s_wait_alu 0xf1ff
	v_xor_b32_e32 v166, s15, v166
	v_cmp_gt_i32_e64 s15, 0, v159
	v_and_b32_e32 v36, exec_lo, v36
	v_not_b32_e32 v159, v162
	v_ashrrev_i32_e32 v158, 31, v158
	s_wait_alu 0xfffd
	v_xor_b32_e32 v157, vcc_lo, v157
	v_cmp_gt_i32_e32 vcc_lo, 0, v162
	v_and_b32_e32 v36, v36, v166
	v_not_b32_e32 v162, v163
	v_ashrrev_i32_e32 v159, 31, v159
	s_wait_alu 0xf1ff
	v_xor_b32_e32 v158, s15, v158
	v_cmp_gt_i32_e64 s15, 0, v163
	v_and_b32_e32 v36, v36, v157
	v_not_b32_e32 v157, v165
	v_ashrrev_i32_e32 v162, 31, v162
	s_wait_alu 0xfffd
	v_xor_b32_e32 v159, vcc_lo, v159
	v_cmp_gt_i32_e32 vcc_lo, 0, v165
	v_and_b32_e32 v36, v36, v158
	v_not_b32_e32 v158, v161
	v_ashrrev_i32_e32 v157, 31, v157
	s_wait_alu 0xf1ff
	v_xor_b32_e32 v162, s15, v162
	v_cmp_gt_i32_e64 s15, 0, v161
	v_and_b32_e32 v36, v36, v159
	v_ashrrev_i32_e32 v158, 31, v158
	s_wait_alu 0xfffd
	v_xor_b32_e32 v157, vcc_lo, v157
	v_mad_u32_u24 v159, v37, 36, v118
	v_mul_u32_u24_e32 v37, 36, v37
	v_and_b32_e32 v36, v36, v162
	s_wait_alu 0xf1ff
	v_xor_b32_e32 v158, s15, v158
	s_delay_alu instid0(VALU_DEP_2) | instskip(SKIP_3) | instid1(VALU_DEP_1)
	v_and_b32_e32 v36, v36, v157
	ds_load_b32 v157, v159 offset:1056
	v_add_nc_u32_e32 v159, v118, v37
	; wave barrier
	v_and_b32_e32 v36, v36, v158
	v_mbcnt_lo_u32_b32 v158, v36, 0
	v_cmp_ne_u32_e64 s15, 0, v36
	s_delay_alu instid0(VALU_DEP_2)
	v_cmp_eq_u32_e32 vcc_lo, 0, v158
	s_and_b32 s16, s15, vcc_lo
	s_wait_alu 0xfffe
	s_and_saveexec_b32 s15, s16
	s_cbranch_execz .LBB606_434
; %bb.433:                              ;   in Loop: Header=BB606_388 Depth=2
	s_wait_dscnt 0x0
	v_bcnt_u32_b32 v36, v36, v157
	ds_store_b32 v159, v36 offset:1056
.LBB606_434:                            ;   in Loop: Header=BB606_388 Depth=2
	s_wait_alu 0xfffe
	s_or_b32 exec_lo, exec_lo, s15
	v_xor_b32_e32 v156, 0x80000000, v156
	; wave barrier
	s_delay_alu instid0(VALU_DEP_1) | instskip(NEXT) | instid1(VALU_DEP_1)
	v_lshrrev_b32_e32 v36, s31, v156
	v_and_b32_e32 v37, s48, v36
	s_delay_alu instid0(VALU_DEP_1)
	v_and_b32_e32 v36, 1, v37
	v_lshlrev_b32_e32 v161, 30, v37
	v_lshlrev_b32_e32 v162, 29, v37
	;; [unrolled: 1-line block ×4, first 2 shown]
	v_add_co_u32 v36, s15, v36, -1
	s_wait_alu 0xf1ff
	v_cndmask_b32_e64 v165, 0, 1, s15
	v_not_b32_e32 v170, v161
	v_cmp_gt_i32_e64 s15, 0, v161
	v_not_b32_e32 v161, v162
	v_lshlrev_b32_e32 v168, 26, v37
	v_cmp_ne_u32_e32 vcc_lo, 0, v165
	v_ashrrev_i32_e32 v170, 31, v170
	v_lshlrev_b32_e32 v169, 25, v37
	v_ashrrev_i32_e32 v161, 31, v161
	v_lshlrev_b32_e32 v165, 24, v37
	s_wait_alu 0xfffd
	v_xor_b32_e32 v36, vcc_lo, v36
	v_cmp_gt_i32_e32 vcc_lo, 0, v162
	v_not_b32_e32 v162, v163
	s_wait_alu 0xf1ff
	v_xor_b32_e32 v170, s15, v170
	v_cmp_gt_i32_e64 s15, 0, v163
	v_and_b32_e32 v36, exec_lo, v36
	v_not_b32_e32 v163, v166
	v_ashrrev_i32_e32 v162, 31, v162
	s_wait_alu 0xfffd
	v_xor_b32_e32 v161, vcc_lo, v161
	v_cmp_gt_i32_e32 vcc_lo, 0, v166
	v_and_b32_e32 v36, v36, v170
	v_not_b32_e32 v166, v168
	v_ashrrev_i32_e32 v163, 31, v163
	s_wait_alu 0xf1ff
	v_xor_b32_e32 v162, s15, v162
	v_cmp_gt_i32_e64 s15, 0, v168
	v_and_b32_e32 v36, v36, v161
	v_not_b32_e32 v161, v169
	v_ashrrev_i32_e32 v166, 31, v166
	s_wait_alu 0xfffd
	v_xor_b32_e32 v163, vcc_lo, v163
	v_cmp_gt_i32_e32 vcc_lo, 0, v169
	v_and_b32_e32 v36, v36, v162
	v_not_b32_e32 v162, v165
	v_ashrrev_i32_e32 v161, 31, v161
	s_wait_alu 0xf1ff
	v_xor_b32_e32 v166, s15, v166
	v_cmp_gt_i32_e64 s15, 0, v165
	v_and_b32_e32 v36, v36, v163
	v_ashrrev_i32_e32 v162, 31, v162
	s_wait_alu 0xfffd
	v_xor_b32_e32 v161, vcc_lo, v161
	v_mad_u32_u24 v163, v37, 36, v118
	v_mul_u32_u24_e32 v37, 36, v37
	v_and_b32_e32 v36, v36, v166
	s_wait_alu 0xf1ff
	v_xor_b32_e32 v162, s15, v162
	s_delay_alu instid0(VALU_DEP_2) | instskip(SKIP_3) | instid1(VALU_DEP_1)
	v_and_b32_e32 v36, v36, v161
	ds_load_b32 v161, v163 offset:1056
	v_add_nc_u32_e32 v163, v118, v37
	; wave barrier
	v_and_b32_e32 v36, v36, v162
	v_mbcnt_lo_u32_b32 v162, v36, 0
	v_cmp_ne_u32_e64 s15, 0, v36
	s_delay_alu instid0(VALU_DEP_2)
	v_cmp_eq_u32_e32 vcc_lo, 0, v162
	s_and_b32 s16, s15, vcc_lo
	s_wait_alu 0xfffe
	s_and_saveexec_b32 s15, s16
	s_cbranch_execz .LBB606_436
; %bb.435:                              ;   in Loop: Header=BB606_388 Depth=2
	s_wait_dscnt 0x0
	v_bcnt_u32_b32 v36, v36, v161
	ds_store_b32 v163, v36 offset:1056
.LBB606_436:                            ;   in Loop: Header=BB606_388 Depth=2
	s_wait_alu 0xfffe
	s_or_b32 exec_lo, exec_lo, s15
	v_xor_b32_e32 v160, 0x80000000, v160
	; wave barrier
	s_delay_alu instid0(VALU_DEP_1) | instskip(NEXT) | instid1(VALU_DEP_1)
	v_lshrrev_b32_e32 v36, s31, v160
	v_and_b32_e32 v37, s48, v36
	s_delay_alu instid0(VALU_DEP_1)
	v_and_b32_e32 v36, 1, v37
	v_lshlrev_b32_e32 v165, 30, v37
	v_lshlrev_b32_e32 v166, 29, v37
	;; [unrolled: 1-line block ×4, first 2 shown]
	v_add_co_u32 v36, s15, v36, -1
	s_wait_alu 0xf1ff
	v_cndmask_b32_e64 v169, 0, 1, s15
	v_not_b32_e32 v173, v165
	v_cmp_gt_i32_e64 s15, 0, v165
	v_not_b32_e32 v165, v166
	v_lshlrev_b32_e32 v171, 26, v37
	v_cmp_ne_u32_e32 vcc_lo, 0, v169
	v_ashrrev_i32_e32 v173, 31, v173
	v_lshlrev_b32_e32 v172, 25, v37
	v_ashrrev_i32_e32 v165, 31, v165
	v_lshlrev_b32_e32 v169, 24, v37
	s_wait_alu 0xfffd
	v_xor_b32_e32 v36, vcc_lo, v36
	v_cmp_gt_i32_e32 vcc_lo, 0, v166
	v_not_b32_e32 v166, v168
	s_wait_alu 0xf1ff
	v_xor_b32_e32 v173, s15, v173
	v_cmp_gt_i32_e64 s15, 0, v168
	v_and_b32_e32 v36, exec_lo, v36
	v_not_b32_e32 v168, v170
	v_ashrrev_i32_e32 v166, 31, v166
	s_wait_alu 0xfffd
	v_xor_b32_e32 v165, vcc_lo, v165
	v_cmp_gt_i32_e32 vcc_lo, 0, v170
	v_and_b32_e32 v36, v36, v173
	v_not_b32_e32 v170, v171
	v_ashrrev_i32_e32 v168, 31, v168
	s_wait_alu 0xf1ff
	v_xor_b32_e32 v166, s15, v166
	v_cmp_gt_i32_e64 s15, 0, v171
	v_and_b32_e32 v36, v36, v165
	v_not_b32_e32 v165, v172
	v_ashrrev_i32_e32 v170, 31, v170
	s_wait_alu 0xfffd
	v_xor_b32_e32 v168, vcc_lo, v168
	v_cmp_gt_i32_e32 vcc_lo, 0, v172
	v_and_b32_e32 v36, v36, v166
	v_not_b32_e32 v166, v169
	v_ashrrev_i32_e32 v165, 31, v165
	s_wait_alu 0xf1ff
	v_xor_b32_e32 v170, s15, v170
	v_cmp_gt_i32_e64 s15, 0, v169
	v_and_b32_e32 v36, v36, v168
	v_ashrrev_i32_e32 v166, 31, v166
	s_wait_alu 0xfffd
	v_xor_b32_e32 v165, vcc_lo, v165
	v_mad_u32_u24 v168, v37, 36, v118
	v_mul_u32_u24_e32 v37, 36, v37
	v_and_b32_e32 v36, v36, v170
	s_wait_alu 0xf1ff
	v_xor_b32_e32 v166, s15, v166
	s_delay_alu instid0(VALU_DEP_2) | instskip(SKIP_3) | instid1(VALU_DEP_1)
	v_and_b32_e32 v36, v36, v165
	ds_load_b32 v165, v168 offset:1056
	v_add_nc_u32_e32 v168, v118, v37
	; wave barrier
	v_and_b32_e32 v36, v36, v166
	v_mbcnt_lo_u32_b32 v166, v36, 0
	v_cmp_ne_u32_e64 s15, 0, v36
	s_delay_alu instid0(VALU_DEP_2)
	v_cmp_eq_u32_e32 vcc_lo, 0, v166
	s_and_b32 s16, s15, vcc_lo
	s_wait_alu 0xfffe
	s_and_saveexec_b32 s15, s16
	s_cbranch_execz .LBB606_438
; %bb.437:                              ;   in Loop: Header=BB606_388 Depth=2
	s_wait_dscnt 0x0
	v_bcnt_u32_b32 v36, v36, v165
	ds_store_b32 v168, v36 offset:1056
.LBB606_438:                            ;   in Loop: Header=BB606_388 Depth=2
	s_wait_alu 0xfffe
	s_or_b32 exec_lo, exec_lo, s15
	v_xor_b32_e32 v164, 0x80000000, v164
	; wave barrier
	s_delay_alu instid0(VALU_DEP_1) | instskip(NEXT) | instid1(VALU_DEP_1)
	v_lshrrev_b32_e32 v36, s31, v164
	v_and_b32_e32 v37, s48, v36
	s_delay_alu instid0(VALU_DEP_1)
	v_and_b32_e32 v36, 1, v37
	v_lshlrev_b32_e32 v169, 30, v37
	v_lshlrev_b32_e32 v170, 29, v37
	;; [unrolled: 1-line block ×4, first 2 shown]
	v_add_co_u32 v36, s15, v36, -1
	s_wait_alu 0xf1ff
	v_cndmask_b32_e64 v172, 0, 1, s15
	v_not_b32_e32 v176, v169
	v_cmp_gt_i32_e64 s15, 0, v169
	v_not_b32_e32 v169, v170
	v_lshlrev_b32_e32 v174, 26, v37
	v_cmp_ne_u32_e32 vcc_lo, 0, v172
	v_ashrrev_i32_e32 v176, 31, v176
	v_lshlrev_b32_e32 v175, 25, v37
	v_ashrrev_i32_e32 v169, 31, v169
	v_lshlrev_b32_e32 v172, 24, v37
	s_wait_alu 0xfffd
	v_xor_b32_e32 v36, vcc_lo, v36
	v_cmp_gt_i32_e32 vcc_lo, 0, v170
	v_not_b32_e32 v170, v171
	s_wait_alu 0xf1ff
	v_xor_b32_e32 v176, s15, v176
	v_cmp_gt_i32_e64 s15, 0, v171
	v_and_b32_e32 v36, exec_lo, v36
	v_not_b32_e32 v171, v173
	v_ashrrev_i32_e32 v170, 31, v170
	s_wait_alu 0xfffd
	v_xor_b32_e32 v169, vcc_lo, v169
	v_cmp_gt_i32_e32 vcc_lo, 0, v173
	v_and_b32_e32 v36, v36, v176
	v_not_b32_e32 v173, v174
	v_ashrrev_i32_e32 v171, 31, v171
	s_wait_alu 0xf1ff
	v_xor_b32_e32 v170, s15, v170
	v_cmp_gt_i32_e64 s15, 0, v174
	v_and_b32_e32 v36, v36, v169
	v_not_b32_e32 v169, v175
	v_ashrrev_i32_e32 v173, 31, v173
	s_wait_alu 0xfffd
	v_xor_b32_e32 v171, vcc_lo, v171
	v_cmp_gt_i32_e32 vcc_lo, 0, v175
	v_and_b32_e32 v36, v36, v170
	v_not_b32_e32 v170, v172
	v_ashrrev_i32_e32 v169, 31, v169
	s_wait_alu 0xf1ff
	v_xor_b32_e32 v173, s15, v173
	v_cmp_gt_i32_e64 s15, 0, v172
	v_and_b32_e32 v36, v36, v171
	v_ashrrev_i32_e32 v170, 31, v170
	s_wait_alu 0xfffd
	v_xor_b32_e32 v169, vcc_lo, v169
	v_mad_u32_u24 v171, v37, 36, v118
	v_mul_u32_u24_e32 v37, 36, v37
	v_and_b32_e32 v36, v36, v173
	s_wait_alu 0xf1ff
	v_xor_b32_e32 v170, s15, v170
	s_delay_alu instid0(VALU_DEP_2) | instskip(SKIP_3) | instid1(VALU_DEP_1)
	v_and_b32_e32 v36, v36, v169
	ds_load_b32 v169, v171 offset:1056
	v_add_nc_u32_e32 v171, v118, v37
	; wave barrier
	v_and_b32_e32 v36, v36, v170
	v_mbcnt_lo_u32_b32 v170, v36, 0
	v_cmp_ne_u32_e64 s15, 0, v36
	s_delay_alu instid0(VALU_DEP_2)
	v_cmp_eq_u32_e32 vcc_lo, 0, v170
	s_and_b32 s16, s15, vcc_lo
	s_wait_alu 0xfffe
	s_and_saveexec_b32 s15, s16
	s_cbranch_execz .LBB606_440
; %bb.439:                              ;   in Loop: Header=BB606_388 Depth=2
	s_wait_dscnt 0x0
	v_bcnt_u32_b32 v36, v36, v169
	ds_store_b32 v171, v36 offset:1056
.LBB606_440:                            ;   in Loop: Header=BB606_388 Depth=2
	s_wait_alu 0xfffe
	s_or_b32 exec_lo, exec_lo, s15
	v_xor_b32_e32 v167, 0x80000000, v167
	; wave barrier
	s_delay_alu instid0(VALU_DEP_1) | instskip(NEXT) | instid1(VALU_DEP_1)
	v_lshrrev_b32_e32 v36, s31, v167
	v_and_b32_e32 v37, s48, v36
	s_delay_alu instid0(VALU_DEP_1)
	v_and_b32_e32 v36, 1, v37
	v_lshlrev_b32_e32 v172, 30, v37
	v_lshlrev_b32_e32 v173, 29, v37
	;; [unrolled: 1-line block ×4, first 2 shown]
	v_add_co_u32 v36, s15, v36, -1
	s_wait_alu 0xf1ff
	v_cndmask_b32_e64 v175, 0, 1, s15
	v_not_b32_e32 v179, v172
	v_cmp_gt_i32_e64 s15, 0, v172
	v_not_b32_e32 v172, v173
	v_lshlrev_b32_e32 v177, 26, v37
	v_cmp_ne_u32_e32 vcc_lo, 0, v175
	v_ashrrev_i32_e32 v179, 31, v179
	v_lshlrev_b32_e32 v178, 25, v37
	v_ashrrev_i32_e32 v172, 31, v172
	v_lshlrev_b32_e32 v175, 24, v37
	s_wait_alu 0xfffd
	v_xor_b32_e32 v36, vcc_lo, v36
	v_cmp_gt_i32_e32 vcc_lo, 0, v173
	v_not_b32_e32 v173, v174
	s_wait_alu 0xf1ff
	v_xor_b32_e32 v179, s15, v179
	v_cmp_gt_i32_e64 s15, 0, v174
	v_and_b32_e32 v36, exec_lo, v36
	v_not_b32_e32 v174, v176
	v_ashrrev_i32_e32 v173, 31, v173
	s_wait_alu 0xfffd
	v_xor_b32_e32 v172, vcc_lo, v172
	v_cmp_gt_i32_e32 vcc_lo, 0, v176
	v_and_b32_e32 v36, v36, v179
	v_not_b32_e32 v176, v177
	v_ashrrev_i32_e32 v174, 31, v174
	s_wait_alu 0xf1ff
	v_xor_b32_e32 v173, s15, v173
	v_cmp_gt_i32_e64 s15, 0, v177
	v_and_b32_e32 v36, v36, v172
	v_not_b32_e32 v172, v178
	v_ashrrev_i32_e32 v176, 31, v176
	s_wait_alu 0xfffd
	v_xor_b32_e32 v174, vcc_lo, v174
	v_cmp_gt_i32_e32 vcc_lo, 0, v178
	v_and_b32_e32 v36, v36, v173
	v_not_b32_e32 v173, v175
	v_ashrrev_i32_e32 v172, 31, v172
	s_wait_alu 0xf1ff
	v_xor_b32_e32 v176, s15, v176
	v_cmp_gt_i32_e64 s15, 0, v175
	v_and_b32_e32 v36, v36, v174
	v_ashrrev_i32_e32 v173, 31, v173
	s_wait_alu 0xfffd
	v_xor_b32_e32 v172, vcc_lo, v172
	v_mad_u32_u24 v174, v37, 36, v118
	v_mul_u32_u24_e32 v37, 36, v37
	v_and_b32_e32 v36, v36, v176
	s_wait_alu 0xf1ff
	v_xor_b32_e32 v175, s15, v173
	ds_load_b32 v173, v174 offset:1056
	v_and_b32_e32 v36, v36, v172
	; wave barrier
	s_delay_alu instid0(VALU_DEP_1) | instskip(SKIP_1) | instid1(VALU_DEP_2)
	v_and_b32_e32 v36, v36, v175
	v_add_nc_u32_e32 v175, v118, v37
	v_mbcnt_lo_u32_b32 v174, v36, 0
	v_cmp_ne_u32_e64 s15, 0, v36
	s_delay_alu instid0(VALU_DEP_2)
	v_cmp_eq_u32_e32 vcc_lo, 0, v174
	s_and_b32 s16, s15, vcc_lo
	s_wait_alu 0xfffe
	s_and_saveexec_b32 s15, s16
	s_cbranch_execz .LBB606_442
; %bb.441:                              ;   in Loop: Header=BB606_388 Depth=2
	s_wait_dscnt 0x0
	v_bcnt_u32_b32 v36, v36, v173
	ds_store_b32 v175, v36 offset:1056
.LBB606_442:                            ;   in Loop: Header=BB606_388 Depth=2
	s_wait_alu 0xfffe
	s_or_b32 exec_lo, exec_lo, s15
	v_xor_b32_e32 v172, 0x80000000, v43
	; wave barrier
	s_delay_alu instid0(VALU_DEP_1) | instskip(NEXT) | instid1(VALU_DEP_1)
	v_lshrrev_b32_e32 v36, s31, v172
	v_and_b32_e32 v37, s48, v36
	s_delay_alu instid0(VALU_DEP_1)
	v_and_b32_e32 v36, 1, v37
	v_lshlrev_b32_e32 v43, 30, v37
	v_lshlrev_b32_e32 v176, 29, v37
	;; [unrolled: 1-line block ×4, first 2 shown]
	v_add_co_u32 v36, s15, v36, -1
	s_wait_alu 0xf1ff
	v_cndmask_b32_e64 v178, 0, 1, s15
	v_not_b32_e32 v182, v43
	v_cmp_gt_i32_e64 s15, 0, v43
	v_not_b32_e32 v43, v176
	v_lshlrev_b32_e32 v180, 26, v37
	v_cmp_ne_u32_e32 vcc_lo, 0, v178
	v_ashrrev_i32_e32 v182, 31, v182
	v_lshlrev_b32_e32 v181, 25, v37
	v_ashrrev_i32_e32 v43, 31, v43
	v_lshlrev_b32_e32 v178, 24, v37
	s_wait_alu 0xfffd
	v_xor_b32_e32 v36, vcc_lo, v36
	v_cmp_gt_i32_e32 vcc_lo, 0, v176
	v_not_b32_e32 v176, v177
	s_wait_alu 0xf1ff
	v_xor_b32_e32 v182, s15, v182
	v_cmp_gt_i32_e64 s15, 0, v177
	v_and_b32_e32 v36, exec_lo, v36
	v_not_b32_e32 v177, v179
	v_ashrrev_i32_e32 v176, 31, v176
	s_wait_alu 0xfffd
	v_xor_b32_e32 v43, vcc_lo, v43
	v_cmp_gt_i32_e32 vcc_lo, 0, v179
	v_and_b32_e32 v36, v36, v182
	v_not_b32_e32 v179, v180
	v_ashrrev_i32_e32 v177, 31, v177
	s_wait_alu 0xf1ff
	v_xor_b32_e32 v176, s15, v176
	v_cmp_gt_i32_e64 s15, 0, v180
	v_and_b32_e32 v36, v36, v43
	v_not_b32_e32 v43, v181
	v_ashrrev_i32_e32 v179, 31, v179
	s_wait_alu 0xfffd
	v_xor_b32_e32 v177, vcc_lo, v177
	v_cmp_gt_i32_e32 vcc_lo, 0, v181
	v_and_b32_e32 v36, v36, v176
	v_not_b32_e32 v176, v178
	v_ashrrev_i32_e32 v43, 31, v43
	s_wait_alu 0xf1ff
	v_xor_b32_e32 v179, s15, v179
	v_cmp_gt_i32_e64 s15, 0, v178
	v_and_b32_e32 v36, v36, v177
	v_ashrrev_i32_e32 v176, 31, v176
	s_wait_alu 0xfffd
	v_xor_b32_e32 v43, vcc_lo, v43
	v_mad_u32_u24 v177, v37, 36, v118
	v_mul_u32_u24_e32 v37, 36, v37
	v_and_b32_e32 v36, v36, v179
	s_wait_alu 0xf1ff
	v_xor_b32_e32 v176, s15, v176
	ds_load_b32 v177, v177 offset:1056
	v_add_nc_u32_e32 v179, v118, v37
	v_and_b32_e32 v36, v36, v43
	; wave barrier
	s_delay_alu instid0(VALU_DEP_1) | instskip(NEXT) | instid1(VALU_DEP_1)
	v_and_b32_e32 v36, v36, v176
	v_mbcnt_lo_u32_b32 v178, v36, 0
	v_cmp_ne_u32_e64 s15, 0, v36
	s_delay_alu instid0(VALU_DEP_2)
	v_cmp_eq_u32_e32 vcc_lo, 0, v178
	s_and_b32 s16, s15, vcc_lo
	s_wait_alu 0xfffe
	s_and_saveexec_b32 s15, s16
	s_cbranch_execz .LBB606_444
; %bb.443:                              ;   in Loop: Header=BB606_388 Depth=2
	s_wait_dscnt 0x0
	v_bcnt_u32_b32 v36, v36, v177
	ds_store_b32 v179, v36 offset:1056
.LBB606_444:                            ;   in Loop: Header=BB606_388 Depth=2
	s_wait_alu 0xfffe
	s_or_b32 exec_lo, exec_lo, s15
	v_xor_b32_e32 v176, 0x80000000, v42
	; wave barrier
	s_delay_alu instid0(VALU_DEP_1) | instskip(NEXT) | instid1(VALU_DEP_1)
	v_lshrrev_b32_e32 v36, s31, v176
	v_and_b32_e32 v37, s48, v36
	s_delay_alu instid0(VALU_DEP_1)
	v_and_b32_e32 v36, 1, v37
	v_lshlrev_b32_e32 v42, 30, v37
	v_lshlrev_b32_e32 v43, 29, v37
	;; [unrolled: 1-line block ×4, first 2 shown]
	v_add_co_u32 v36, s15, v36, -1
	s_wait_alu 0xf1ff
	v_cndmask_b32_e64 v181, 0, 1, s15
	v_not_b32_e32 v185, v42
	v_cmp_gt_i32_e64 s15, 0, v42
	v_not_b32_e32 v42, v43
	v_lshlrev_b32_e32 v183, 26, v37
	v_cmp_ne_u32_e32 vcc_lo, 0, v181
	v_ashrrev_i32_e32 v185, 31, v185
	v_lshlrev_b32_e32 v184, 25, v37
	v_ashrrev_i32_e32 v42, 31, v42
	v_lshlrev_b32_e32 v181, 24, v37
	s_wait_alu 0xfffd
	v_xor_b32_e32 v36, vcc_lo, v36
	v_cmp_gt_i32_e32 vcc_lo, 0, v43
	v_not_b32_e32 v43, v180
	s_wait_alu 0xf1ff
	v_xor_b32_e32 v185, s15, v185
	v_cmp_gt_i32_e64 s15, 0, v180
	v_and_b32_e32 v36, exec_lo, v36
	v_not_b32_e32 v180, v182
	v_ashrrev_i32_e32 v43, 31, v43
	s_wait_alu 0xfffd
	v_xor_b32_e32 v42, vcc_lo, v42
	v_cmp_gt_i32_e32 vcc_lo, 0, v182
	v_and_b32_e32 v36, v36, v185
	v_not_b32_e32 v182, v183
	v_ashrrev_i32_e32 v180, 31, v180
	s_wait_alu 0xf1ff
	v_xor_b32_e32 v43, s15, v43
	v_cmp_gt_i32_e64 s15, 0, v183
	v_and_b32_e32 v36, v36, v42
	v_not_b32_e32 v42, v184
	v_ashrrev_i32_e32 v182, 31, v182
	s_wait_alu 0xfffd
	v_xor_b32_e32 v180, vcc_lo, v180
	v_cmp_gt_i32_e32 vcc_lo, 0, v184
	v_and_b32_e32 v36, v36, v43
	v_not_b32_e32 v43, v181
	v_ashrrev_i32_e32 v42, 31, v42
	s_wait_alu 0xf1ff
	v_xor_b32_e32 v182, s15, v182
	v_cmp_gt_i32_e64 s15, 0, v181
	v_and_b32_e32 v36, v36, v180
	v_ashrrev_i32_e32 v43, 31, v43
	s_wait_alu 0xfffd
	v_xor_b32_e32 v42, vcc_lo, v42
	v_mad_u32_u24 v180, v37, 36, v118
	v_mul_u32_u24_e32 v37, 36, v37
	v_and_b32_e32 v36, v36, v182
	s_wait_alu 0xf1ff
	v_xor_b32_e32 v43, s15, v43
	ds_load_b32 v181, v180 offset:1056
	v_add_nc_u32_e32 v183, v118, v37
	v_and_b32_e32 v36, v36, v42
	; wave barrier
	s_delay_alu instid0(VALU_DEP_1) | instskip(NEXT) | instid1(VALU_DEP_1)
	v_and_b32_e32 v36, v36, v43
	v_mbcnt_lo_u32_b32 v182, v36, 0
	v_cmp_ne_u32_e64 s15, 0, v36
	s_delay_alu instid0(VALU_DEP_2)
	v_cmp_eq_u32_e32 vcc_lo, 0, v182
	s_and_b32 s16, s15, vcc_lo
	s_wait_alu 0xfffe
	s_and_saveexec_b32 s15, s16
	s_cbranch_execz .LBB606_446
; %bb.445:                              ;   in Loop: Header=BB606_388 Depth=2
	s_wait_dscnt 0x0
	v_bcnt_u32_b32 v36, v36, v181
	ds_store_b32 v183, v36 offset:1056
.LBB606_446:                            ;   in Loop: Header=BB606_388 Depth=2
	s_wait_alu 0xfffe
	s_or_b32 exec_lo, exec_lo, s15
	v_xor_b32_e32 v180, 0x80000000, v41
	; wave barrier
	s_delay_alu instid0(VALU_DEP_1) | instskip(NEXT) | instid1(VALU_DEP_1)
	v_lshrrev_b32_e32 v36, s31, v180
	v_and_b32_e32 v37, s48, v36
	s_delay_alu instid0(VALU_DEP_1)
	v_and_b32_e32 v36, 1, v37
	v_lshlrev_b32_e32 v41, 30, v37
	v_lshlrev_b32_e32 v42, 29, v37
	;; [unrolled: 1-line block ×4, first 2 shown]
	v_add_co_u32 v36, s15, v36, -1
	s_wait_alu 0xf1ff
	v_cndmask_b32_e64 v184, 0, 1, s15
	v_not_b32_e32 v188, v41
	v_cmp_gt_i32_e64 s15, 0, v41
	v_not_b32_e32 v41, v42
	v_lshlrev_b32_e32 v186, 26, v37
	v_cmp_ne_u32_e32 vcc_lo, 0, v184
	v_ashrrev_i32_e32 v188, 31, v188
	v_lshlrev_b32_e32 v187, 25, v37
	v_ashrrev_i32_e32 v41, 31, v41
	v_lshlrev_b32_e32 v184, 24, v37
	s_wait_alu 0xfffd
	v_xor_b32_e32 v36, vcc_lo, v36
	v_cmp_gt_i32_e32 vcc_lo, 0, v42
	v_not_b32_e32 v42, v43
	s_wait_alu 0xf1ff
	v_xor_b32_e32 v188, s15, v188
	v_cmp_gt_i32_e64 s15, 0, v43
	v_and_b32_e32 v36, exec_lo, v36
	v_not_b32_e32 v43, v185
	v_ashrrev_i32_e32 v42, 31, v42
	s_wait_alu 0xfffd
	v_xor_b32_e32 v41, vcc_lo, v41
	v_cmp_gt_i32_e32 vcc_lo, 0, v185
	v_and_b32_e32 v36, v36, v188
	v_not_b32_e32 v185, v186
	v_ashrrev_i32_e32 v43, 31, v43
	s_wait_alu 0xf1ff
	v_xor_b32_e32 v42, s15, v42
	v_cmp_gt_i32_e64 s15, 0, v186
	v_and_b32_e32 v36, v36, v41
	v_not_b32_e32 v41, v187
	v_ashrrev_i32_e32 v185, 31, v185
	s_wait_alu 0xfffd
	v_xor_b32_e32 v43, vcc_lo, v43
	v_cmp_gt_i32_e32 vcc_lo, 0, v187
	v_and_b32_e32 v36, v36, v42
	v_not_b32_e32 v42, v184
	v_ashrrev_i32_e32 v41, 31, v41
	s_wait_alu 0xf1ff
	v_xor_b32_e32 v185, s15, v185
	v_cmp_gt_i32_e64 s15, 0, v184
	v_and_b32_e32 v36, v36, v43
	v_ashrrev_i32_e32 v42, 31, v42
	s_wait_alu 0xfffd
	v_xor_b32_e32 v41, vcc_lo, v41
	v_mad_u32_u24 v43, v37, 36, v118
	v_mul_u32_u24_e32 v37, 36, v37
	v_and_b32_e32 v36, v36, v185
	s_wait_alu 0xf1ff
	v_xor_b32_e32 v42, s15, v42
	ds_load_b32 v185, v43 offset:1056
	v_add_nc_u32_e32 v187, v118, v37
	v_and_b32_e32 v36, v36, v41
	; wave barrier
	s_delay_alu instid0(VALU_DEP_1) | instskip(NEXT) | instid1(VALU_DEP_1)
	v_and_b32_e32 v36, v36, v42
	v_mbcnt_lo_u32_b32 v186, v36, 0
	v_cmp_ne_u32_e64 s15, 0, v36
	s_delay_alu instid0(VALU_DEP_2)
	v_cmp_eq_u32_e32 vcc_lo, 0, v186
	s_and_b32 s16, s15, vcc_lo
	s_wait_alu 0xfffe
	s_and_saveexec_b32 s15, s16
	s_cbranch_execz .LBB606_448
; %bb.447:                              ;   in Loop: Header=BB606_388 Depth=2
	s_wait_dscnt 0x0
	v_bcnt_u32_b32 v36, v36, v185
	ds_store_b32 v187, v36 offset:1056
.LBB606_448:                            ;   in Loop: Header=BB606_388 Depth=2
	s_wait_alu 0xfffe
	s_or_b32 exec_lo, exec_lo, s15
	v_xor_b32_e32 v184, 0x80000000, v40
	; wave barrier
	s_delay_alu instid0(VALU_DEP_1) | instskip(NEXT) | instid1(VALU_DEP_1)
	v_lshrrev_b32_e32 v36, s31, v184
	v_and_b32_e32 v37, s48, v36
	s_delay_alu instid0(VALU_DEP_1)
	v_and_b32_e32 v36, 1, v37
	v_lshlrev_b32_e32 v40, 30, v37
	v_lshlrev_b32_e32 v41, 29, v37
	;; [unrolled: 1-line block ×4, first 2 shown]
	v_add_co_u32 v36, s15, v36, -1
	s_wait_alu 0xf1ff
	v_cndmask_b32_e64 v43, 0, 1, s15
	v_not_b32_e32 v191, v40
	v_cmp_gt_i32_e64 s15, 0, v40
	v_not_b32_e32 v40, v41
	v_lshlrev_b32_e32 v189, 26, v37
	v_cmp_ne_u32_e32 vcc_lo, 0, v43
	v_ashrrev_i32_e32 v191, 31, v191
	v_lshlrev_b32_e32 v190, 25, v37
	v_ashrrev_i32_e32 v40, 31, v40
	v_lshlrev_b32_e32 v43, 24, v37
	s_wait_alu 0xfffd
	v_xor_b32_e32 v36, vcc_lo, v36
	v_cmp_gt_i32_e32 vcc_lo, 0, v41
	v_not_b32_e32 v41, v42
	s_wait_alu 0xf1ff
	v_xor_b32_e32 v191, s15, v191
	v_cmp_gt_i32_e64 s15, 0, v42
	v_and_b32_e32 v36, exec_lo, v36
	v_not_b32_e32 v42, v188
	v_ashrrev_i32_e32 v41, 31, v41
	s_wait_alu 0xfffd
	v_xor_b32_e32 v40, vcc_lo, v40
	v_cmp_gt_i32_e32 vcc_lo, 0, v188
	v_and_b32_e32 v36, v36, v191
	v_not_b32_e32 v188, v189
	v_ashrrev_i32_e32 v42, 31, v42
	s_wait_alu 0xf1ff
	v_xor_b32_e32 v41, s15, v41
	v_cmp_gt_i32_e64 s15, 0, v189
	v_and_b32_e32 v36, v36, v40
	v_not_b32_e32 v40, v190
	v_ashrrev_i32_e32 v188, 31, v188
	s_wait_alu 0xfffd
	v_xor_b32_e32 v42, vcc_lo, v42
	v_cmp_gt_i32_e32 vcc_lo, 0, v190
	v_and_b32_e32 v36, v36, v41
	v_not_b32_e32 v41, v43
	v_ashrrev_i32_e32 v40, 31, v40
	s_wait_alu 0xf1ff
	v_xor_b32_e32 v188, s15, v188
	v_cmp_gt_i32_e64 s15, 0, v43
	v_and_b32_e32 v36, v36, v42
	v_ashrrev_i32_e32 v41, 31, v41
	s_wait_alu 0xfffd
	v_xor_b32_e32 v40, vcc_lo, v40
	v_mad_u32_u24 v42, v37, 36, v118
	v_mul_u32_u24_e32 v37, 36, v37
	v_and_b32_e32 v36, v36, v188
	s_wait_alu 0xf1ff
	v_xor_b32_e32 v41, s15, v41
	ds_load_b32 v189, v42 offset:1056
	v_add_nc_u32_e32 v191, v118, v37
	v_and_b32_e32 v36, v36, v40
	; wave barrier
	s_delay_alu instid0(VALU_DEP_1) | instskip(NEXT) | instid1(VALU_DEP_1)
	v_and_b32_e32 v36, v36, v41
	v_mbcnt_lo_u32_b32 v190, v36, 0
	v_cmp_ne_u32_e64 s15, 0, v36
	s_delay_alu instid0(VALU_DEP_2)
	v_cmp_eq_u32_e32 vcc_lo, 0, v190
	s_and_b32 s16, s15, vcc_lo
	s_wait_alu 0xfffe
	s_and_saveexec_b32 s15, s16
	s_cbranch_execz .LBB606_450
; %bb.449:                              ;   in Loop: Header=BB606_388 Depth=2
	s_wait_dscnt 0x0
	v_bcnt_u32_b32 v36, v36, v189
	ds_store_b32 v191, v36 offset:1056
.LBB606_450:                            ;   in Loop: Header=BB606_388 Depth=2
	s_wait_alu 0xfffe
	s_or_b32 exec_lo, exec_lo, s15
	v_xor_b32_e32 v188, 0x80000000, v39
	; wave barrier
	s_delay_alu instid0(VALU_DEP_1) | instskip(NEXT) | instid1(VALU_DEP_1)
	v_lshrrev_b32_e32 v36, s31, v188
	v_and_b32_e32 v37, s48, v36
	s_delay_alu instid0(VALU_DEP_1)
	v_and_b32_e32 v36, 1, v37
	v_lshlrev_b32_e32 v39, 30, v37
	v_lshlrev_b32_e32 v40, 29, v37
	;; [unrolled: 1-line block ×4, first 2 shown]
	v_add_co_u32 v36, s15, v36, -1
	s_wait_alu 0xf1ff
	v_cndmask_b32_e64 v42, 0, 1, s15
	v_not_b32_e32 v194, v39
	v_cmp_gt_i32_e64 s15, 0, v39
	v_not_b32_e32 v39, v40
	v_lshlrev_b32_e32 v192, 26, v37
	v_cmp_ne_u32_e32 vcc_lo, 0, v42
	v_ashrrev_i32_e32 v194, 31, v194
	v_lshlrev_b32_e32 v193, 25, v37
	v_ashrrev_i32_e32 v39, 31, v39
	v_lshlrev_b32_e32 v42, 24, v37
	s_wait_alu 0xfffd
	v_xor_b32_e32 v36, vcc_lo, v36
	v_cmp_gt_i32_e32 vcc_lo, 0, v40
	v_not_b32_e32 v40, v41
	s_wait_alu 0xf1ff
	v_xor_b32_e32 v194, s15, v194
	v_cmp_gt_i32_e64 s15, 0, v41
	v_and_b32_e32 v36, exec_lo, v36
	v_not_b32_e32 v41, v43
	v_ashrrev_i32_e32 v40, 31, v40
	s_wait_alu 0xfffd
	v_xor_b32_e32 v39, vcc_lo, v39
	v_cmp_gt_i32_e32 vcc_lo, 0, v43
	v_and_b32_e32 v36, v36, v194
	v_not_b32_e32 v43, v192
	v_ashrrev_i32_e32 v41, 31, v41
	s_wait_alu 0xf1ff
	v_xor_b32_e32 v40, s15, v40
	v_cmp_gt_i32_e64 s15, 0, v192
	v_and_b32_e32 v36, v36, v39
	v_not_b32_e32 v39, v193
	v_ashrrev_i32_e32 v43, 31, v43
	s_wait_alu 0xfffd
	v_xor_b32_e32 v41, vcc_lo, v41
	v_cmp_gt_i32_e32 vcc_lo, 0, v193
	v_and_b32_e32 v36, v36, v40
	v_not_b32_e32 v40, v42
	v_ashrrev_i32_e32 v39, 31, v39
	s_wait_alu 0xf1ff
	v_xor_b32_e32 v43, s15, v43
	v_cmp_gt_i32_e64 s15, 0, v42
	v_and_b32_e32 v36, v36, v41
	v_ashrrev_i32_e32 v40, 31, v40
	s_wait_alu 0xfffd
	v_xor_b32_e32 v39, vcc_lo, v39
	v_mad_u32_u24 v41, v37, 36, v118
	v_mul_u32_u24_e32 v37, 36, v37
	v_and_b32_e32 v36, v36, v43
	s_wait_alu 0xf1ff
	v_xor_b32_e32 v40, s15, v40
	ds_load_b32 v193, v41 offset:1056
	v_add_nc_u32_e32 v195, v118, v37
	v_and_b32_e32 v36, v36, v39
	; wave barrier
	s_delay_alu instid0(VALU_DEP_1) | instskip(NEXT) | instid1(VALU_DEP_1)
	v_and_b32_e32 v36, v36, v40
	v_mbcnt_lo_u32_b32 v194, v36, 0
	v_cmp_ne_u32_e64 s15, 0, v36
	s_delay_alu instid0(VALU_DEP_2)
	v_cmp_eq_u32_e32 vcc_lo, 0, v194
	s_and_b32 s16, s15, vcc_lo
	s_wait_alu 0xfffe
	s_and_saveexec_b32 s15, s16
	s_cbranch_execz .LBB606_452
; %bb.451:                              ;   in Loop: Header=BB606_388 Depth=2
	s_wait_dscnt 0x0
	v_bcnt_u32_b32 v36, v36, v193
	ds_store_b32 v195, v36 offset:1056
.LBB606_452:                            ;   in Loop: Header=BB606_388 Depth=2
	s_wait_alu 0xfffe
	s_or_b32 exec_lo, exec_lo, s15
	v_xor_b32_e32 v192, 0x80000000, v38
	; wave barrier
	s_delay_alu instid0(VALU_DEP_1) | instskip(NEXT) | instid1(VALU_DEP_1)
	v_lshrrev_b32_e32 v36, s31, v192
	v_and_b32_e32 v37, s48, v36
	s_delay_alu instid0(VALU_DEP_1)
	v_and_b32_e32 v36, 1, v37
	v_lshlrev_b32_e32 v38, 30, v37
	v_lshlrev_b32_e32 v39, 29, v37
	;; [unrolled: 1-line block ×4, first 2 shown]
	v_add_co_u32 v36, s15, v36, -1
	s_wait_alu 0xf1ff
	v_cndmask_b32_e64 v41, 0, 1, s15
	v_not_b32_e32 v197, v38
	v_cmp_gt_i32_e64 s15, 0, v38
	v_not_b32_e32 v38, v39
	v_lshlrev_b32_e32 v43, 26, v37
	v_cmp_ne_u32_e32 vcc_lo, 0, v41
	v_ashrrev_i32_e32 v197, 31, v197
	v_lshlrev_b32_e32 v196, 25, v37
	v_ashrrev_i32_e32 v38, 31, v38
	v_lshlrev_b32_e32 v41, 24, v37
	s_wait_alu 0xfffd
	v_xor_b32_e32 v36, vcc_lo, v36
	v_cmp_gt_i32_e32 vcc_lo, 0, v39
	v_not_b32_e32 v39, v40
	s_wait_alu 0xf1ff
	v_xor_b32_e32 v197, s15, v197
	v_cmp_gt_i32_e64 s15, 0, v40
	v_and_b32_e32 v36, exec_lo, v36
	v_not_b32_e32 v40, v42
	v_ashrrev_i32_e32 v39, 31, v39
	s_wait_alu 0xfffd
	v_xor_b32_e32 v38, vcc_lo, v38
	v_cmp_gt_i32_e32 vcc_lo, 0, v42
	v_and_b32_e32 v36, v36, v197
	v_not_b32_e32 v42, v43
	v_ashrrev_i32_e32 v40, 31, v40
	s_wait_alu 0xf1ff
	v_xor_b32_e32 v39, s15, v39
	v_cmp_gt_i32_e64 s15, 0, v43
	v_and_b32_e32 v36, v36, v38
	v_not_b32_e32 v38, v196
	v_ashrrev_i32_e32 v42, 31, v42
	s_wait_alu 0xfffd
	v_xor_b32_e32 v40, vcc_lo, v40
	v_cmp_gt_i32_e32 vcc_lo, 0, v196
	v_and_b32_e32 v36, v36, v39
	v_not_b32_e32 v39, v41
	v_ashrrev_i32_e32 v38, 31, v38
	s_wait_alu 0xf1ff
	v_xor_b32_e32 v42, s15, v42
	v_cmp_gt_i32_e64 s15, 0, v41
	v_and_b32_e32 v36, v36, v40
	v_ashrrev_i32_e32 v39, 31, v39
	s_wait_alu 0xfffd
	v_xor_b32_e32 v38, vcc_lo, v38
	v_mad_u32_u24 v40, v37, 36, v118
	v_mul_u32_u24_e32 v37, 36, v37
	v_and_b32_e32 v36, v36, v42
	s_wait_alu 0xf1ff
	v_xor_b32_e32 v39, s15, v39
	ds_load_b32 v196, v40 offset:1056
	v_add_nc_u32_e32 v198, v118, v37
	v_and_b32_e32 v36, v36, v38
	; wave barrier
	s_delay_alu instid0(VALU_DEP_1) | instskip(NEXT) | instid1(VALU_DEP_1)
	v_and_b32_e32 v36, v36, v39
	v_mbcnt_lo_u32_b32 v197, v36, 0
	v_cmp_ne_u32_e64 s15, 0, v36
	s_delay_alu instid0(VALU_DEP_2)
	v_cmp_eq_u32_e32 vcc_lo, 0, v197
	s_and_b32 s16, s15, vcc_lo
	s_wait_alu 0xfffe
	s_and_saveexec_b32 s15, s16
	s_cbranch_execz .LBB606_454
; %bb.453:                              ;   in Loop: Header=BB606_388 Depth=2
	s_wait_dscnt 0x0
	v_bcnt_u32_b32 v36, v36, v196
	ds_store_b32 v198, v36 offset:1056
.LBB606_454:                            ;   in Loop: Header=BB606_388 Depth=2
	s_wait_alu 0xfffe
	s_or_b32 exec_lo, exec_lo, s15
	v_lshrrev_b32_e32 v36, s31, v2
	; wave barrier
	s_delay_alu instid0(VALU_DEP_1) | instskip(NEXT) | instid1(VALU_DEP_1)
	v_and_b32_e32 v37, s48, v36
	v_and_b32_e32 v36, 1, v37
	v_lshlrev_b32_e32 v38, 30, v37
	v_lshlrev_b32_e32 v39, 29, v37
	v_lshlrev_b32_e32 v40, 28, v37
	v_lshlrev_b32_e32 v42, 27, v37
	v_add_co_u32 v36, s15, v36, -1
	s_wait_alu 0xf1ff
	v_cndmask_b32_e64 v41, 0, 1, s15
	v_not_b32_e32 v200, v38
	v_cmp_gt_i32_e64 s15, 0, v38
	v_not_b32_e32 v38, v39
	v_lshlrev_b32_e32 v43, 26, v37
	v_cmp_ne_u32_e32 vcc_lo, 0, v41
	v_ashrrev_i32_e32 v200, 31, v200
	v_lshlrev_b32_e32 v199, 25, v37
	v_ashrrev_i32_e32 v38, 31, v38
	v_lshlrev_b32_e32 v41, 24, v37
	s_wait_alu 0xfffd
	v_xor_b32_e32 v36, vcc_lo, v36
	v_cmp_gt_i32_e32 vcc_lo, 0, v39
	v_not_b32_e32 v39, v40
	s_wait_alu 0xf1ff
	v_xor_b32_e32 v200, s15, v200
	v_cmp_gt_i32_e64 s15, 0, v40
	v_and_b32_e32 v36, exec_lo, v36
	v_not_b32_e32 v40, v42
	v_ashrrev_i32_e32 v39, 31, v39
	s_wait_alu 0xfffd
	v_xor_b32_e32 v38, vcc_lo, v38
	v_cmp_gt_i32_e32 vcc_lo, 0, v42
	v_and_b32_e32 v36, v36, v200
	v_not_b32_e32 v42, v43
	v_ashrrev_i32_e32 v40, 31, v40
	s_wait_alu 0xf1ff
	v_xor_b32_e32 v39, s15, v39
	v_cmp_gt_i32_e64 s15, 0, v43
	v_and_b32_e32 v36, v36, v38
	v_not_b32_e32 v38, v199
	v_ashrrev_i32_e32 v42, 31, v42
	s_wait_alu 0xfffd
	v_xor_b32_e32 v40, vcc_lo, v40
	v_cmp_gt_i32_e32 vcc_lo, 0, v199
	v_and_b32_e32 v36, v36, v39
	v_not_b32_e32 v39, v41
	v_ashrrev_i32_e32 v38, 31, v38
	s_wait_alu 0xf1ff
	v_xor_b32_e32 v42, s15, v42
	v_cmp_gt_i32_e64 s15, 0, v41
	v_and_b32_e32 v36, v36, v40
	v_ashrrev_i32_e32 v39, 31, v39
	s_wait_alu 0xfffd
	v_xor_b32_e32 v38, vcc_lo, v38
	v_mad_u32_u24 v40, v37, 36, v118
	v_mul_u32_u24_e32 v37, 36, v37
	v_and_b32_e32 v36, v36, v42
	s_wait_alu 0xf1ff
	v_xor_b32_e32 v39, s15, v39
	ds_load_b32 v199, v40 offset:1056
	v_add_nc_u32_e32 v201, v118, v37
	v_and_b32_e32 v36, v36, v38
	; wave barrier
	s_delay_alu instid0(VALU_DEP_1) | instskip(NEXT) | instid1(VALU_DEP_1)
	v_and_b32_e32 v36, v36, v39
	v_mbcnt_lo_u32_b32 v200, v36, 0
	v_cmp_ne_u32_e64 s15, 0, v36
	s_delay_alu instid0(VALU_DEP_2)
	v_cmp_eq_u32_e32 vcc_lo, 0, v200
	s_and_b32 s16, s15, vcc_lo
	s_wait_alu 0xfffe
	s_and_saveexec_b32 s15, s16
	s_cbranch_execz .LBB606_456
; %bb.455:                              ;   in Loop: Header=BB606_388 Depth=2
	s_wait_dscnt 0x0
	v_bcnt_u32_b32 v36, v36, v199
	ds_store_b32 v201, v36 offset:1056
.LBB606_456:                            ;   in Loop: Header=BB606_388 Depth=2
	s_wait_alu 0xfffe
	s_or_b32 exec_lo, exec_lo, s15
	; wave barrier
	s_wait_loadcnt_dscnt 0x0
	s_barrier_signal -1
	s_barrier_wait -1
	global_inv scope:SCOPE_SE
	ds_load_2addr_b32 v[42:43], v140 offset1:1
	ds_load_2addr_b32 v[40:41], v141 offset1:1
	;; [unrolled: 1-line block ×4, first 2 shown]
	ds_load_b32 v202, v67 offset:1088
	s_wait_dscnt 0x3
	v_add3_u32 v203, v43, v42, v40
	s_wait_dscnt 0x2
	s_delay_alu instid0(VALU_DEP_1) | instskip(SKIP_1) | instid1(VALU_DEP_1)
	v_add3_u32 v203, v203, v41, v38
	s_wait_dscnt 0x1
	v_add3_u32 v203, v203, v39, v36
	s_wait_dscnt 0x0
	s_delay_alu instid0(VALU_DEP_1) | instskip(NEXT) | instid1(VALU_DEP_1)
	v_add3_u32 v202, v203, v37, v202
	v_mov_b32_dpp v203, v202 row_shr:1 row_mask:0xf bank_mask:0xf
	s_delay_alu instid0(VALU_DEP_1) | instskip(NEXT) | instid1(VALU_DEP_1)
	v_cndmask_b32_e64 v203, v203, 0, s0
	v_add_nc_u32_e32 v202, v203, v202
	s_delay_alu instid0(VALU_DEP_1) | instskip(NEXT) | instid1(VALU_DEP_1)
	v_mov_b32_dpp v203, v202 row_shr:2 row_mask:0xf bank_mask:0xf
	v_cndmask_b32_e64 v203, 0, v203, s1
	s_delay_alu instid0(VALU_DEP_1) | instskip(NEXT) | instid1(VALU_DEP_1)
	v_add_nc_u32_e32 v202, v202, v203
	v_mov_b32_dpp v203, v202 row_shr:4 row_mask:0xf bank_mask:0xf
	s_delay_alu instid0(VALU_DEP_1) | instskip(NEXT) | instid1(VALU_DEP_1)
	v_cndmask_b32_e64 v203, 0, v203, s9
	v_add_nc_u32_e32 v202, v202, v203
	s_delay_alu instid0(VALU_DEP_1) | instskip(NEXT) | instid1(VALU_DEP_1)
	v_mov_b32_dpp v203, v202 row_shr:8 row_mask:0xf bank_mask:0xf
	v_cndmask_b32_e64 v203, 0, v203, s10
	s_delay_alu instid0(VALU_DEP_1) | instskip(SKIP_3) | instid1(VALU_DEP_1)
	v_add_nc_u32_e32 v202, v202, v203
	ds_swizzle_b32 v203, v202 offset:swizzle(BROADCAST,32,15)
	s_wait_dscnt 0x0
	v_cndmask_b32_e64 v203, v203, 0, s11
	v_add_nc_u32_e32 v202, v202, v203
	s_and_saveexec_b32 s15, s3
; %bb.457:                              ;   in Loop: Header=BB606_388 Depth=2
	ds_store_b32 v63, v202 offset:1024
; %bb.458:                              ;   in Loop: Header=BB606_388 Depth=2
	s_wait_alu 0xfffe
	s_or_b32 exec_lo, exec_lo, s15
	s_wait_loadcnt_dscnt 0x0
	s_barrier_signal -1
	s_barrier_wait -1
	global_inv scope:SCOPE_SE
	s_and_saveexec_b32 s15, s4
	s_cbranch_execz .LBB606_460
; %bb.459:                              ;   in Loop: Header=BB606_388 Depth=2
	ds_load_b32 v203, v70 offset:1024
	s_wait_dscnt 0x0
	v_mov_b32_dpp v204, v203 row_shr:1 row_mask:0xf bank_mask:0xf
	s_delay_alu instid0(VALU_DEP_1) | instskip(NEXT) | instid1(VALU_DEP_1)
	v_cndmask_b32_e64 v204, v204, 0, s12
	v_add_nc_u32_e32 v203, v204, v203
	s_delay_alu instid0(VALU_DEP_1) | instskip(NEXT) | instid1(VALU_DEP_1)
	v_mov_b32_dpp v204, v203 row_shr:2 row_mask:0xf bank_mask:0xf
	v_cndmask_b32_e64 v204, 0, v204, s13
	s_delay_alu instid0(VALU_DEP_1) | instskip(NEXT) | instid1(VALU_DEP_1)
	v_add_nc_u32_e32 v203, v203, v204
	v_mov_b32_dpp v204, v203 row_shr:4 row_mask:0xf bank_mask:0xf
	s_delay_alu instid0(VALU_DEP_1) | instskip(NEXT) | instid1(VALU_DEP_1)
	v_cndmask_b32_e64 v204, 0, v204, s14
	v_add_nc_u32_e32 v203, v203, v204
	ds_store_b32 v70, v203 offset:1024
.LBB606_460:                            ;   in Loop: Header=BB606_388 Depth=2
	s_wait_alu 0xfffe
	s_or_b32 exec_lo, exec_lo, s15
	v_mov_b32_e32 v203, 0
	s_wait_loadcnt_dscnt 0x0
	s_barrier_signal -1
	s_barrier_wait -1
	global_inv scope:SCOPE_SE
	s_and_saveexec_b32 s15, s5
; %bb.461:                              ;   in Loop: Header=BB606_388 Depth=2
	ds_load_b32 v203, v63 offset:1020
; %bb.462:                              ;   in Loop: Header=BB606_388 Depth=2
	s_wait_alu 0xfffe
	s_or_b32 exec_lo, exec_lo, s15
	s_wait_dscnt 0x0
	v_add_nc_u32_e32 v202, v203, v202
	ds_bpermute_b32 v202, v113, v202
	s_wait_dscnt 0x0
	v_cndmask_b32_e64 v202, v202, v203, s8
	s_delay_alu instid0(VALU_DEP_1) | instskip(NEXT) | instid1(VALU_DEP_1)
	v_cndmask_b32_e64 v202, v202, 0, s6
	v_add_nc_u32_e32 v42, v202, v42
	s_delay_alu instid0(VALU_DEP_1) | instskip(NEXT) | instid1(VALU_DEP_1)
	v_add_nc_u32_e32 v43, v42, v43
	v_add_nc_u32_e32 v40, v43, v40
	s_delay_alu instid0(VALU_DEP_1) | instskip(NEXT) | instid1(VALU_DEP_1)
	v_add_nc_u32_e32 v41, v40, v41
	;; [unrolled: 3-line block ×3, first 2 shown]
	v_add_nc_u32_e32 v36, v39, v36
	s_delay_alu instid0(VALU_DEP_1)
	v_add_nc_u32_e32 v37, v36, v37
	ds_store_2addr_b32 v139, v39, v36 offset1:1
	ds_store_2addr_b32 v140, v202, v42 offset1:1
	;; [unrolled: 1-line block ×4, first 2 shown]
	ds_store_b32 v67, v37 offset:1088
	s_wait_loadcnt_dscnt 0x0
	s_barrier_signal -1
	s_barrier_wait -1
	global_inv scope:SCOPE_SE
	ds_load_b32 v39, v143 offset:1056
	ds_load_b32 v41, v147 offset:1056
	;; [unrolled: 1-line block ×17, first 2 shown]
	v_mov_b32_e32 v38, 0x1000
	s_and_saveexec_b32 s15, s7
; %bb.463:                              ;   in Loop: Header=BB606_388 Depth=2
	ds_load_b32 v38, v67 offset:1092
; %bb.464:                              ;   in Loop: Header=BB606_388 Depth=2
	s_wait_alu 0xfffe
	s_or_b32 exec_lo, exec_lo, s15
	s_wait_loadcnt_dscnt 0x0
	s_barrier_signal -1
	s_barrier_wait -1
	global_inv scope:SCOPE_SE
	s_and_saveexec_b32 s15, s2
	s_cbranch_execz .LBB606_466
; %bb.465:                              ;   in Loop: Header=BB606_388 Depth=2
	ds_load_b32 v143, v44
	s_wait_dscnt 0x0
	v_sub_nc_u32_e32 v142, v143, v142
	ds_store_b32 v44, v142
.LBB606_466:                            ;   in Loop: Header=BB606_388 Depth=2
	s_wait_alu 0xfffe
	s_or_b32 exec_lo, exec_lo, s15
	v_add_nc_u32_e32 v155, v39, v138
	v_add3_u32 v151, v146, v145, v41
	v_add3_u32 v147, v150, v149, v42
	;; [unrolled: 1-line block ×4, first 2 shown]
	v_lshlrev_b32_e32 v149, 2, v155
	v_add3_u32 v143, v162, v161, v140
	v_add3_u32 v142, v166, v165, v141
	;; [unrolled: 1-line block ×3, first 2 shown]
	v_lshlrev_b32_e32 v36, 2, v151
	v_add3_u32 v141, v170, v169, v163
	v_add3_u32 v42, v194, v193, v37
	v_lshlrev_b32_e32 v37, 2, v147
	v_add3_u32 v140, v174, v173, v168
	ds_store_b32 v149, v136 offset:1024
	v_lshlrev_b32_e32 v136, 2, v146
	v_add3_u32 v139, v178, v177, v171
	v_lshlrev_b32_e32 v149, 2, v145
	v_add3_u32 v138, v182, v181, v175
	;; [unrolled: 2-line block ×3, first 2 shown]
	ds_store_b32 v36, v137 offset:1024
	ds_store_b32 v37, v144 offset:1024
	;; [unrolled: 1-line block ×5, first 2 shown]
	v_lshlrev_b32_e32 v36, 2, v142
	v_lshlrev_b32_e32 v37, 2, v141
	;; [unrolled: 1-line block ×3, first 2 shown]
	v_add3_u32 v41, v197, v196, v40
	v_lshlrev_b32_e32 v137, 2, v139
	v_add3_u32 v40, v200, v199, v159
	v_lshlrev_b32_e32 v144, 2, v138
	ds_store_b32 v36, v160 offset:1024
	ds_store_b32 v37, v164 offset:1024
	;; [unrolled: 1-line block ×5, first 2 shown]
	v_lshlrev_b32_e32 v36, 2, v39
	v_cmp_lt_u32_e32 vcc_lo, v1, v135
	v_lshlrev_b32_e32 v37, 2, v43
	v_lshlrev_b32_e32 v136, 2, v42
	;; [unrolled: 1-line block ×4, first 2 shown]
	ds_store_b32 v36, v180 offset:1024
	ds_store_b32 v37, v184 offset:1024
	ds_store_b32 v136, v188 offset:1024
	ds_store_b32 v137, v192 offset:1024
	ds_store_b32 v144, v2 offset:1024
	s_wait_loadcnt_dscnt 0x0
	s_barrier_signal -1
	s_barrier_wait -1
	global_inv scope:SCOPE_SE
	s_and_saveexec_b32 s16, vcc_lo
	s_cbranch_execnz .LBB606_535
; %bb.467:                              ;   in Loop: Header=BB606_388 Depth=2
	s_wait_alu 0xfffe
	s_or_b32 exec_lo, exec_lo, s16
	v_cmp_lt_u32_e64 s15, v45, v135
	s_and_saveexec_b32 s17, s15
	s_cbranch_execnz .LBB606_536
.LBB606_468:                            ;   in Loop: Header=BB606_388 Depth=2
	s_wait_alu 0xfffe
	s_or_b32 exec_lo, exec_lo, s17
	v_cmp_lt_u32_e64 s16, v46, v135
	s_and_saveexec_b32 s18, s16
	s_cbranch_execnz .LBB606_537
.LBB606_469:                            ;   in Loop: Header=BB606_388 Depth=2
	s_wait_alu 0xfffe
	s_or_b32 exec_lo, exec_lo, s18
	v_cmp_lt_u32_e64 s17, v47, v135
	s_and_saveexec_b32 s19, s17
	s_cbranch_execnz .LBB606_538
.LBB606_470:                            ;   in Loop: Header=BB606_388 Depth=2
	s_wait_alu 0xfffe
	s_or_b32 exec_lo, exec_lo, s19
	v_cmp_lt_u32_e64 s18, v50, v135
	s_and_saveexec_b32 s20, s18
	s_cbranch_execnz .LBB606_539
.LBB606_471:                            ;   in Loop: Header=BB606_388 Depth=2
	s_wait_alu 0xfffe
	s_or_b32 exec_lo, exec_lo, s20
	v_cmp_lt_u32_e64 s19, v51, v135
	s_and_saveexec_b32 s21, s19
	s_cbranch_execnz .LBB606_540
.LBB606_472:                            ;   in Loop: Header=BB606_388 Depth=2
	s_wait_alu 0xfffe
	s_or_b32 exec_lo, exec_lo, s21
	v_cmp_lt_u32_e64 s20, v52, v135
	s_and_saveexec_b32 s22, s20
	s_cbranch_execnz .LBB606_541
.LBB606_473:                            ;   in Loop: Header=BB606_388 Depth=2
	s_wait_alu 0xfffe
	s_or_b32 exec_lo, exec_lo, s22
	v_cmp_lt_u32_e64 s21, v53, v135
	s_and_saveexec_b32 s23, s21
	s_cbranch_execnz .LBB606_542
.LBB606_474:                            ;   in Loop: Header=BB606_388 Depth=2
	s_wait_alu 0xfffe
	s_or_b32 exec_lo, exec_lo, s23
	v_cmp_lt_u32_e64 s22, v54, v135
	s_and_saveexec_b32 s24, s22
	s_cbranch_execnz .LBB606_543
.LBB606_475:                            ;   in Loop: Header=BB606_388 Depth=2
	s_wait_alu 0xfffe
	s_or_b32 exec_lo, exec_lo, s24
	v_cmp_lt_u32_e64 s23, v55, v135
	s_and_saveexec_b32 s25, s23
	s_cbranch_execnz .LBB606_544
.LBB606_476:                            ;   in Loop: Header=BB606_388 Depth=2
	s_wait_alu 0xfffe
	s_or_b32 exec_lo, exec_lo, s25
	v_cmp_lt_u32_e64 s24, v56, v135
	s_and_saveexec_b32 s26, s24
	s_cbranch_execnz .LBB606_545
.LBB606_477:                            ;   in Loop: Header=BB606_388 Depth=2
	s_wait_alu 0xfffe
	s_or_b32 exec_lo, exec_lo, s26
	v_cmp_lt_u32_e64 s25, v57, v135
	s_and_saveexec_b32 s27, s25
	s_cbranch_execnz .LBB606_546
.LBB606_478:                            ;   in Loop: Header=BB606_388 Depth=2
	s_wait_alu 0xfffe
	s_or_b32 exec_lo, exec_lo, s27
	v_cmp_lt_u32_e64 s26, v58, v135
	s_and_saveexec_b32 s28, s26
	s_cbranch_execnz .LBB606_547
.LBB606_479:                            ;   in Loop: Header=BB606_388 Depth=2
	s_wait_alu 0xfffe
	s_or_b32 exec_lo, exec_lo, s28
	v_cmp_lt_u32_e64 s27, v59, v135
	s_and_saveexec_b32 s29, s27
	s_cbranch_execnz .LBB606_548
.LBB606_480:                            ;   in Loop: Header=BB606_388 Depth=2
	s_wait_alu 0xfffe
	s_or_b32 exec_lo, exec_lo, s29
	v_cmp_lt_u32_e64 s28, v60, v135
	s_and_saveexec_b32 s30, s28
	s_cbranch_execnz .LBB606_549
.LBB606_481:                            ;   in Loop: Header=BB606_388 Depth=2
	s_wait_alu 0xfffe
	s_or_b32 exec_lo, exec_lo, s30
	v_cmp_lt_u32_e64 s29, v61, v135
	s_and_saveexec_b32 s56, s29
	s_cbranch_execz .LBB606_483
.LBB606_482:                            ;   in Loop: Header=BB606_388 Depth=2
	ds_load_b32 v136, v70 offset:16384
	s_wait_dscnt 0x0
	v_lshrrev_b32_e32 v2, s31, v136
	s_delay_alu instid0(VALU_DEP_1) | instskip(NEXT) | instid1(VALU_DEP_1)
	v_and_b32_e32 v2, s48, v2
	v_lshlrev_b32_e32 v2, 2, v2
	ds_load_b32 v2, v2
	s_wait_dscnt 0x0
	v_add_nc_u32_e32 v2, v2, v61
	s_delay_alu instid0(VALU_DEP_1) | instskip(SKIP_1) | instid1(VALU_DEP_2)
	v_lshlrev_b64_e32 v[36:37], 2, v[2:3]
	v_xor_b32_e32 v2, 0x80000000, v136
	v_add_co_u32 v36, s30, s40, v36
	s_wait_alu 0xf1ff
	s_delay_alu instid0(VALU_DEP_3)
	v_add_co_ci_u32_e64 v37, null, s41, v37, s30
	global_store_b32 v[36:37], v2, off
.LBB606_483:                            ;   in Loop: Header=BB606_388 Depth=2
	s_wait_alu 0xfffe
	s_or_b32 exec_lo, exec_lo, s56
	s_lshl_b64 s[56:57], s[42:43], 3
	s_wait_alu 0xfffe
	v_add_co_u32 v36, s30, v114, s56
	s_wait_alu 0xf1ff
	v_add_co_ci_u32_e64 v37, null, s57, v115, s30
	v_cmp_lt_u32_e64 s30, v88, v135
	s_and_saveexec_b32 s42, s30
	s_wait_alu 0xfffe
	s_xor_b32 s30, exec_lo, s42
	s_cbranch_execnz .LBB606_550
; %bb.484:                              ;   in Loop: Header=BB606_388 Depth=2
	s_wait_alu 0xfffe
	s_or_b32 exec_lo, exec_lo, s30
	s_delay_alu instid0(SALU_CYCLE_1)
	s_mov_b32 s42, exec_lo
	v_cmpx_lt_u32_e64 v92, v135
	s_cbranch_execnz .LBB606_551
.LBB606_485:                            ;   in Loop: Header=BB606_388 Depth=2
	s_wait_alu 0xfffe
	s_or_b32 exec_lo, exec_lo, s42
	s_delay_alu instid0(SALU_CYCLE_1)
	s_mov_b32 s42, exec_lo
	v_cmpx_lt_u32_e64 v93, v135
	s_cbranch_execnz .LBB606_552
.LBB606_486:                            ;   in Loop: Header=BB606_388 Depth=2
	s_wait_alu 0xfffe
	s_or_b32 exec_lo, exec_lo, s42
	s_delay_alu instid0(SALU_CYCLE_1)
	s_mov_b32 s42, exec_lo
	v_cmpx_lt_u32_e64 v94, v135
	s_cbranch_execnz .LBB606_553
.LBB606_487:                            ;   in Loop: Header=BB606_388 Depth=2
	s_wait_alu 0xfffe
	s_or_b32 exec_lo, exec_lo, s42
	s_delay_alu instid0(SALU_CYCLE_1)
	s_mov_b32 s42, exec_lo
	v_cmpx_lt_u32_e64 v95, v135
	s_cbranch_execnz .LBB606_554
.LBB606_488:                            ;   in Loop: Header=BB606_388 Depth=2
	s_wait_alu 0xfffe
	s_or_b32 exec_lo, exec_lo, s42
	s_delay_alu instid0(SALU_CYCLE_1)
	s_mov_b32 s42, exec_lo
	v_cmpx_lt_u32_e64 v96, v135
	s_cbranch_execnz .LBB606_555
.LBB606_489:                            ;   in Loop: Header=BB606_388 Depth=2
	s_wait_alu 0xfffe
	s_or_b32 exec_lo, exec_lo, s42
	s_delay_alu instid0(SALU_CYCLE_1)
	s_mov_b32 s42, exec_lo
	v_cmpx_lt_u32_e64 v97, v135
	s_cbranch_execnz .LBB606_556
.LBB606_490:                            ;   in Loop: Header=BB606_388 Depth=2
	s_wait_alu 0xfffe
	s_or_b32 exec_lo, exec_lo, s42
	s_delay_alu instid0(SALU_CYCLE_1)
	s_mov_b32 s42, exec_lo
	v_cmpx_lt_u32_e64 v98, v135
	s_cbranch_execnz .LBB606_557
.LBB606_491:                            ;   in Loop: Header=BB606_388 Depth=2
	s_wait_alu 0xfffe
	s_or_b32 exec_lo, exec_lo, s42
	s_delay_alu instid0(SALU_CYCLE_1)
	s_mov_b32 s42, exec_lo
	v_cmpx_lt_u32_e64 v99, v135
	s_cbranch_execnz .LBB606_558
.LBB606_492:                            ;   in Loop: Header=BB606_388 Depth=2
	s_wait_alu 0xfffe
	s_or_b32 exec_lo, exec_lo, s42
	s_delay_alu instid0(SALU_CYCLE_1)
	s_mov_b32 s42, exec_lo
	v_cmpx_lt_u32_e64 v100, v135
	s_cbranch_execnz .LBB606_559
.LBB606_493:                            ;   in Loop: Header=BB606_388 Depth=2
	s_wait_alu 0xfffe
	s_or_b32 exec_lo, exec_lo, s42
	s_delay_alu instid0(SALU_CYCLE_1)
	s_mov_b32 s42, exec_lo
	v_cmpx_lt_u32_e64 v101, v135
	s_cbranch_execnz .LBB606_560
.LBB606_494:                            ;   in Loop: Header=BB606_388 Depth=2
	s_wait_alu 0xfffe
	s_or_b32 exec_lo, exec_lo, s42
	s_delay_alu instid0(SALU_CYCLE_1)
	s_mov_b32 s42, exec_lo
	v_cmpx_lt_u32_e64 v102, v135
	s_cbranch_execnz .LBB606_561
.LBB606_495:                            ;   in Loop: Header=BB606_388 Depth=2
	s_wait_alu 0xfffe
	s_or_b32 exec_lo, exec_lo, s42
	s_delay_alu instid0(SALU_CYCLE_1)
	s_mov_b32 s42, exec_lo
	v_cmpx_lt_u32_e64 v103, v135
	s_cbranch_execnz .LBB606_562
.LBB606_496:                            ;   in Loop: Header=BB606_388 Depth=2
	s_wait_alu 0xfffe
	s_or_b32 exec_lo, exec_lo, s42
	s_delay_alu instid0(SALU_CYCLE_1)
	s_mov_b32 s42, exec_lo
	v_cmpx_lt_u32_e64 v104, v135
	s_cbranch_execnz .LBB606_563
.LBB606_497:                            ;   in Loop: Header=BB606_388 Depth=2
	s_wait_alu 0xfffe
	s_or_b32 exec_lo, exec_lo, s42
	s_delay_alu instid0(SALU_CYCLE_1)
	s_mov_b32 s42, exec_lo
	v_cmpx_lt_u32_e64 v105, v135
	s_cbranch_execnz .LBB606_564
.LBB606_498:                            ;   in Loop: Header=BB606_388 Depth=2
	s_wait_alu 0xfffe
	s_or_b32 exec_lo, exec_lo, s42
	s_delay_alu instid0(SALU_CYCLE_1)
	s_mov_b32 s42, exec_lo
	v_cmpx_lt_u32_e64 v106, v135
	s_cbranch_execnz .LBB606_565
.LBB606_499:                            ;   in Loop: Header=BB606_388 Depth=2
	s_wait_alu 0xfffe
	s_or_b32 exec_lo, exec_lo, s42
	s_and_saveexec_b32 s30, vcc_lo
	s_cbranch_execnz .LBB606_566
.LBB606_500:                            ;   in Loop: Header=BB606_388 Depth=2
	s_wait_alu 0xfffe
	s_or_b32 exec_lo, exec_lo, s30
	s_and_saveexec_b32 s30, s15
	s_cbranch_execnz .LBB606_567
.LBB606_501:                            ;   in Loop: Header=BB606_388 Depth=2
	s_wait_alu 0xfffe
	s_or_b32 exec_lo, exec_lo, s30
	s_and_saveexec_b32 s30, s16
	s_cbranch_execnz .LBB606_568
.LBB606_502:                            ;   in Loop: Header=BB606_388 Depth=2
	s_wait_alu 0xfffe
	s_or_b32 exec_lo, exec_lo, s30
	s_and_saveexec_b32 s30, s17
	s_cbranch_execnz .LBB606_569
.LBB606_503:                            ;   in Loop: Header=BB606_388 Depth=2
	s_wait_alu 0xfffe
	s_or_b32 exec_lo, exec_lo, s30
	s_and_saveexec_b32 s30, s18
	s_cbranch_execnz .LBB606_570
.LBB606_504:                            ;   in Loop: Header=BB606_388 Depth=2
	s_wait_alu 0xfffe
	s_or_b32 exec_lo, exec_lo, s30
	s_and_saveexec_b32 s30, s19
	s_cbranch_execnz .LBB606_571
.LBB606_505:                            ;   in Loop: Header=BB606_388 Depth=2
	s_wait_alu 0xfffe
	s_or_b32 exec_lo, exec_lo, s30
	s_and_saveexec_b32 s30, s20
	s_cbranch_execnz .LBB606_572
.LBB606_506:                            ;   in Loop: Header=BB606_388 Depth=2
	s_wait_alu 0xfffe
	s_or_b32 exec_lo, exec_lo, s30
	s_and_saveexec_b32 s30, s21
	s_cbranch_execnz .LBB606_573
.LBB606_507:                            ;   in Loop: Header=BB606_388 Depth=2
	s_wait_alu 0xfffe
	s_or_b32 exec_lo, exec_lo, s30
	s_and_saveexec_b32 s30, s22
	s_cbranch_execnz .LBB606_574
.LBB606_508:                            ;   in Loop: Header=BB606_388 Depth=2
	s_wait_alu 0xfffe
	s_or_b32 exec_lo, exec_lo, s30
	s_and_saveexec_b32 s30, s23
	s_cbranch_execnz .LBB606_575
.LBB606_509:                            ;   in Loop: Header=BB606_388 Depth=2
	s_wait_alu 0xfffe
	s_or_b32 exec_lo, exec_lo, s30
	s_and_saveexec_b32 s30, s24
	s_cbranch_execnz .LBB606_576
.LBB606_510:                            ;   in Loop: Header=BB606_388 Depth=2
	s_wait_alu 0xfffe
	s_or_b32 exec_lo, exec_lo, s30
	s_and_saveexec_b32 s30, s25
	s_cbranch_execnz .LBB606_577
.LBB606_511:                            ;   in Loop: Header=BB606_388 Depth=2
	s_wait_alu 0xfffe
	s_or_b32 exec_lo, exec_lo, s30
	s_and_saveexec_b32 s30, s26
	s_cbranch_execnz .LBB606_578
.LBB606_512:                            ;   in Loop: Header=BB606_388 Depth=2
	s_wait_alu 0xfffe
	s_or_b32 exec_lo, exec_lo, s30
	s_and_saveexec_b32 s30, s27
	s_cbranch_execnz .LBB606_579
.LBB606_513:                            ;   in Loop: Header=BB606_388 Depth=2
	s_wait_alu 0xfffe
	s_or_b32 exec_lo, exec_lo, s30
	s_and_saveexec_b32 s30, s28
	s_cbranch_execnz .LBB606_580
.LBB606_514:                            ;   in Loop: Header=BB606_388 Depth=2
	s_wait_alu 0xfffe
	s_or_b32 exec_lo, exec_lo, s30
	s_and_saveexec_b32 s30, s29
	s_cbranch_execz .LBB606_516
.LBB606_515:                            ;   in Loop: Header=BB606_388 Depth=2
	ds_load_b32 v2, v70 offset:16384
	s_wait_dscnt 0x0
	v_lshrrev_b32_e32 v2, s31, v2
	s_delay_alu instid0(VALU_DEP_1)
	v_and_b32_e32 v119, s48, v2
.LBB606_516:                            ;   in Loop: Header=BB606_388 Depth=2
	s_wait_alu 0xfffe
	s_or_b32 exec_lo, exec_lo, s30
	v_lshlrev_b32_e32 v2, 3, v155
	s_wait_loadcnt 0x0
	s_wait_storecnt 0x0
	s_barrier_signal -1
	s_barrier_wait -1
	global_inv scope:SCOPE_SE
	ds_store_b64 v2, v[34:35] offset:1024
	v_lshlrev_b32_e32 v2, 3, v151
	v_lshlrev_b32_e32 v36, 3, v147
	v_lshlrev_b32_e32 v37, 3, v146
	v_lshlrev_b32_e32 v135, 3, v145
	v_lshlrev_b32_e32 v136, 3, v143
	ds_store_b64 v2, v[32:33] offset:1024
	ds_store_b64 v36, v[30:31] offset:1024
	ds_store_b64 v37, v[28:29] offset:1024
	ds_store_b64 v135, v[26:27] offset:1024
	ds_store_b64 v136, v[24:25] offset:1024
	v_lshlrev_b32_e32 v2, 3, v142
	v_lshlrev_b32_e32 v36, 3, v141
	v_lshlrev_b32_e32 v37, 3, v140
	v_lshlrev_b32_e32 v135, 3, v139
	v_lshlrev_b32_e32 v136, 3, v138
	ds_store_b64 v2, v[22:23] offset:1024
	ds_store_b64 v36, v[20:21] offset:1024
	ds_store_b64 v37, v[18:19] offset:1024
	ds_store_b64 v135, v[16:17] offset:1024
	;; [unrolled: 10-line block ×3, first 2 shown]
	ds_store_b64 v40, v[4:5] offset:1024
	s_wait_loadcnt_dscnt 0x0
	s_barrier_signal -1
	s_barrier_wait -1
	global_inv scope:SCOPE_SE
	s_and_saveexec_b32 s30, vcc_lo
	s_cbranch_execnz .LBB606_581
; %bb.517:                              ;   in Loop: Header=BB606_388 Depth=2
	s_wait_alu 0xfffe
	s_or_b32 exec_lo, exec_lo, s30
	s_and_saveexec_b32 s30, s15
	s_cbranch_execnz .LBB606_582
.LBB606_518:                            ;   in Loop: Header=BB606_388 Depth=2
	s_wait_alu 0xfffe
	s_or_b32 exec_lo, exec_lo, s30
	s_and_saveexec_b32 s15, s16
	s_cbranch_execnz .LBB606_583
.LBB606_519:                            ;   in Loop: Header=BB606_388 Depth=2
	s_wait_alu 0xfffe
	s_or_b32 exec_lo, exec_lo, s15
	s_and_saveexec_b32 s15, s17
	s_cbranch_execnz .LBB606_584
.LBB606_520:                            ;   in Loop: Header=BB606_388 Depth=2
	s_wait_alu 0xfffe
	s_or_b32 exec_lo, exec_lo, s15
	s_and_saveexec_b32 s15, s18
	s_cbranch_execnz .LBB606_585
.LBB606_521:                            ;   in Loop: Header=BB606_388 Depth=2
	s_wait_alu 0xfffe
	s_or_b32 exec_lo, exec_lo, s15
	s_and_saveexec_b32 s15, s19
	s_cbranch_execnz .LBB606_586
.LBB606_522:                            ;   in Loop: Header=BB606_388 Depth=2
	s_wait_alu 0xfffe
	s_or_b32 exec_lo, exec_lo, s15
	s_and_saveexec_b32 s15, s20
	s_cbranch_execnz .LBB606_587
.LBB606_523:                            ;   in Loop: Header=BB606_388 Depth=2
	s_wait_alu 0xfffe
	s_or_b32 exec_lo, exec_lo, s15
	s_and_saveexec_b32 s15, s21
	s_cbranch_execnz .LBB606_588
.LBB606_524:                            ;   in Loop: Header=BB606_388 Depth=2
	s_wait_alu 0xfffe
	s_or_b32 exec_lo, exec_lo, s15
	s_and_saveexec_b32 s15, s22
	s_cbranch_execnz .LBB606_589
.LBB606_525:                            ;   in Loop: Header=BB606_388 Depth=2
	s_wait_alu 0xfffe
	s_or_b32 exec_lo, exec_lo, s15
	s_and_saveexec_b32 s15, s23
	s_cbranch_execnz .LBB606_590
.LBB606_526:                            ;   in Loop: Header=BB606_388 Depth=2
	s_wait_alu 0xfffe
	s_or_b32 exec_lo, exec_lo, s15
	s_and_saveexec_b32 s15, s24
	s_cbranch_execnz .LBB606_591
.LBB606_527:                            ;   in Loop: Header=BB606_388 Depth=2
	s_wait_alu 0xfffe
	s_or_b32 exec_lo, exec_lo, s15
	s_and_saveexec_b32 s15, s25
	s_cbranch_execnz .LBB606_592
.LBB606_528:                            ;   in Loop: Header=BB606_388 Depth=2
	s_wait_alu 0xfffe
	s_or_b32 exec_lo, exec_lo, s15
	s_and_saveexec_b32 s15, s26
	s_cbranch_execnz .LBB606_593
.LBB606_529:                            ;   in Loop: Header=BB606_388 Depth=2
	s_wait_alu 0xfffe
	s_or_b32 exec_lo, exec_lo, s15
	s_and_saveexec_b32 s15, s27
	s_cbranch_execnz .LBB606_594
.LBB606_530:                            ;   in Loop: Header=BB606_388 Depth=2
	s_wait_alu 0xfffe
	s_or_b32 exec_lo, exec_lo, s15
	s_and_saveexec_b32 s15, s28
	s_cbranch_execnz .LBB606_595
.LBB606_531:                            ;   in Loop: Header=BB606_388 Depth=2
	s_wait_alu 0xfffe
	s_or_b32 exec_lo, exec_lo, s15
	s_and_saveexec_b32 s15, s29
	s_cbranch_execz .LBB606_533
.LBB606_532:                            ;   in Loop: Header=BB606_388 Depth=2
	v_lshlrev_b32_e32 v2, 2, v119
	v_add_nc_u32_e32 v36, v70, v44
	ds_load_b32 v2, v2
	ds_load_b64 v[36:37], v36 offset:31744
	s_wait_dscnt 0x1
	v_add_nc_u32_e32 v2, v2, v61
	s_delay_alu instid0(VALU_DEP_1) | instskip(NEXT) | instid1(VALU_DEP_1)
	v_lshlrev_b64_e32 v[39:40], 3, v[2:3]
	v_add_co_u32 v39, vcc_lo, s46, v39
	s_wait_alu 0xfffd
	s_delay_alu instid0(VALU_DEP_2)
	v_add_co_ci_u32_e64 v40, null, s47, v40, vcc_lo
	s_wait_dscnt 0x0
	global_store_b64 v[39:40], v[36:37], off
.LBB606_533:                            ;   in Loop: Header=BB606_388 Depth=2
	s_wait_alu 0xfffe
	s_or_b32 exec_lo, exec_lo, s15
	s_wait_loadcnt 0x0
	s_wait_storecnt 0x0
	s_barrier_signal -1
	s_barrier_wait -1
	global_inv scope:SCOPE_SE
	s_and_saveexec_b32 s15, s2
	s_cbranch_execz .LBB606_387
; %bb.534:                              ;   in Loop: Header=BB606_388 Depth=2
	ds_load_b32 v2, v44
	s_wait_dscnt 0x0
	v_add_nc_u32_e32 v2, v2, v38
	ds_store_b32 v44, v2
	s_branch .LBB606_387
.LBB606_535:                            ;   in Loop: Header=BB606_388 Depth=2
	ds_load_b32 v136, v70 offset:1024
	s_wait_dscnt 0x0
	v_lshrrev_b32_e32 v2, s31, v136
	s_delay_alu instid0(VALU_DEP_1) | instskip(NEXT) | instid1(VALU_DEP_1)
	v_and_b32_e32 v2, s48, v2
	v_lshlrev_b32_e32 v2, 2, v2
	ds_load_b32 v2, v2
	s_wait_dscnt 0x0
	v_add_nc_u32_e32 v2, v2, v1
	s_delay_alu instid0(VALU_DEP_1) | instskip(SKIP_1) | instid1(VALU_DEP_2)
	v_lshlrev_b64_e32 v[36:37], 2, v[2:3]
	v_xor_b32_e32 v2, 0x80000000, v136
	v_add_co_u32 v36, s15, s40, v36
	s_wait_alu 0xf1ff
	s_delay_alu instid0(VALU_DEP_3)
	v_add_co_ci_u32_e64 v37, null, s41, v37, s15
	global_store_b32 v[36:37], v2, off
	s_wait_alu 0xfffe
	s_or_b32 exec_lo, exec_lo, s16
	v_cmp_lt_u32_e64 s15, v45, v135
	s_and_saveexec_b32 s17, s15
	s_cbranch_execz .LBB606_468
.LBB606_536:                            ;   in Loop: Header=BB606_388 Depth=2
	ds_load_b32 v136, v70 offset:2048
	s_wait_dscnt 0x0
	v_lshrrev_b32_e32 v2, s31, v136
	s_delay_alu instid0(VALU_DEP_1) | instskip(NEXT) | instid1(VALU_DEP_1)
	v_and_b32_e32 v2, s48, v2
	v_lshlrev_b32_e32 v2, 2, v2
	ds_load_b32 v2, v2
	s_wait_dscnt 0x0
	v_add_nc_u32_e32 v2, v2, v45
	s_delay_alu instid0(VALU_DEP_1) | instskip(SKIP_1) | instid1(VALU_DEP_2)
	v_lshlrev_b64_e32 v[36:37], 2, v[2:3]
	v_xor_b32_e32 v2, 0x80000000, v136
	v_add_co_u32 v36, s16, s40, v36
	s_wait_alu 0xf1ff
	s_delay_alu instid0(VALU_DEP_3)
	v_add_co_ci_u32_e64 v37, null, s41, v37, s16
	global_store_b32 v[36:37], v2, off
	s_wait_alu 0xfffe
	s_or_b32 exec_lo, exec_lo, s17
	v_cmp_lt_u32_e64 s16, v46, v135
	s_and_saveexec_b32 s18, s16
	s_cbranch_execz .LBB606_469
.LBB606_537:                            ;   in Loop: Header=BB606_388 Depth=2
	ds_load_b32 v136, v70 offset:3072
	s_wait_dscnt 0x0
	v_lshrrev_b32_e32 v2, s31, v136
	s_delay_alu instid0(VALU_DEP_1) | instskip(NEXT) | instid1(VALU_DEP_1)
	v_and_b32_e32 v2, s48, v2
	v_lshlrev_b32_e32 v2, 2, v2
	ds_load_b32 v2, v2
	s_wait_dscnt 0x0
	v_add_nc_u32_e32 v2, v2, v46
	s_delay_alu instid0(VALU_DEP_1) | instskip(SKIP_1) | instid1(VALU_DEP_2)
	v_lshlrev_b64_e32 v[36:37], 2, v[2:3]
	v_xor_b32_e32 v2, 0x80000000, v136
	v_add_co_u32 v36, s17, s40, v36
	s_wait_alu 0xf1ff
	s_delay_alu instid0(VALU_DEP_3)
	v_add_co_ci_u32_e64 v37, null, s41, v37, s17
	global_store_b32 v[36:37], v2, off
	s_wait_alu 0xfffe
	s_or_b32 exec_lo, exec_lo, s18
	v_cmp_lt_u32_e64 s17, v47, v135
	s_and_saveexec_b32 s19, s17
	s_cbranch_execz .LBB606_470
.LBB606_538:                            ;   in Loop: Header=BB606_388 Depth=2
	ds_load_b32 v136, v70 offset:4096
	s_wait_dscnt 0x0
	v_lshrrev_b32_e32 v2, s31, v136
	s_delay_alu instid0(VALU_DEP_1) | instskip(NEXT) | instid1(VALU_DEP_1)
	v_and_b32_e32 v2, s48, v2
	v_lshlrev_b32_e32 v2, 2, v2
	ds_load_b32 v2, v2
	s_wait_dscnt 0x0
	v_add_nc_u32_e32 v2, v2, v47
	s_delay_alu instid0(VALU_DEP_1) | instskip(SKIP_1) | instid1(VALU_DEP_2)
	v_lshlrev_b64_e32 v[36:37], 2, v[2:3]
	v_xor_b32_e32 v2, 0x80000000, v136
	v_add_co_u32 v36, s18, s40, v36
	s_wait_alu 0xf1ff
	s_delay_alu instid0(VALU_DEP_3)
	v_add_co_ci_u32_e64 v37, null, s41, v37, s18
	global_store_b32 v[36:37], v2, off
	s_wait_alu 0xfffe
	s_or_b32 exec_lo, exec_lo, s19
	v_cmp_lt_u32_e64 s18, v50, v135
	s_and_saveexec_b32 s20, s18
	s_cbranch_execz .LBB606_471
.LBB606_539:                            ;   in Loop: Header=BB606_388 Depth=2
	ds_load_b32 v136, v70 offset:5120
	s_wait_dscnt 0x0
	v_lshrrev_b32_e32 v2, s31, v136
	s_delay_alu instid0(VALU_DEP_1) | instskip(NEXT) | instid1(VALU_DEP_1)
	v_and_b32_e32 v2, s48, v2
	v_lshlrev_b32_e32 v2, 2, v2
	ds_load_b32 v2, v2
	s_wait_dscnt 0x0
	v_add_nc_u32_e32 v2, v2, v50
	s_delay_alu instid0(VALU_DEP_1) | instskip(SKIP_1) | instid1(VALU_DEP_2)
	v_lshlrev_b64_e32 v[36:37], 2, v[2:3]
	v_xor_b32_e32 v2, 0x80000000, v136
	v_add_co_u32 v36, s19, s40, v36
	s_wait_alu 0xf1ff
	s_delay_alu instid0(VALU_DEP_3)
	v_add_co_ci_u32_e64 v37, null, s41, v37, s19
	global_store_b32 v[36:37], v2, off
	s_wait_alu 0xfffe
	s_or_b32 exec_lo, exec_lo, s20
	v_cmp_lt_u32_e64 s19, v51, v135
	s_and_saveexec_b32 s21, s19
	s_cbranch_execz .LBB606_472
.LBB606_540:                            ;   in Loop: Header=BB606_388 Depth=2
	ds_load_b32 v136, v70 offset:6144
	s_wait_dscnt 0x0
	v_lshrrev_b32_e32 v2, s31, v136
	s_delay_alu instid0(VALU_DEP_1) | instskip(NEXT) | instid1(VALU_DEP_1)
	v_and_b32_e32 v2, s48, v2
	v_lshlrev_b32_e32 v2, 2, v2
	ds_load_b32 v2, v2
	s_wait_dscnt 0x0
	v_add_nc_u32_e32 v2, v2, v51
	s_delay_alu instid0(VALU_DEP_1) | instskip(SKIP_1) | instid1(VALU_DEP_2)
	v_lshlrev_b64_e32 v[36:37], 2, v[2:3]
	v_xor_b32_e32 v2, 0x80000000, v136
	v_add_co_u32 v36, s20, s40, v36
	s_wait_alu 0xf1ff
	s_delay_alu instid0(VALU_DEP_3)
	v_add_co_ci_u32_e64 v37, null, s41, v37, s20
	global_store_b32 v[36:37], v2, off
	s_wait_alu 0xfffe
	s_or_b32 exec_lo, exec_lo, s21
	v_cmp_lt_u32_e64 s20, v52, v135
	s_and_saveexec_b32 s22, s20
	s_cbranch_execz .LBB606_473
.LBB606_541:                            ;   in Loop: Header=BB606_388 Depth=2
	ds_load_b32 v136, v70 offset:7168
	s_wait_dscnt 0x0
	v_lshrrev_b32_e32 v2, s31, v136
	s_delay_alu instid0(VALU_DEP_1) | instskip(NEXT) | instid1(VALU_DEP_1)
	v_and_b32_e32 v2, s48, v2
	v_lshlrev_b32_e32 v2, 2, v2
	ds_load_b32 v2, v2
	s_wait_dscnt 0x0
	v_add_nc_u32_e32 v2, v2, v52
	s_delay_alu instid0(VALU_DEP_1) | instskip(SKIP_1) | instid1(VALU_DEP_2)
	v_lshlrev_b64_e32 v[36:37], 2, v[2:3]
	v_xor_b32_e32 v2, 0x80000000, v136
	v_add_co_u32 v36, s21, s40, v36
	s_wait_alu 0xf1ff
	s_delay_alu instid0(VALU_DEP_3)
	v_add_co_ci_u32_e64 v37, null, s41, v37, s21
	global_store_b32 v[36:37], v2, off
	s_wait_alu 0xfffe
	s_or_b32 exec_lo, exec_lo, s22
	v_cmp_lt_u32_e64 s21, v53, v135
	s_and_saveexec_b32 s23, s21
	s_cbranch_execz .LBB606_474
.LBB606_542:                            ;   in Loop: Header=BB606_388 Depth=2
	ds_load_b32 v136, v70 offset:8192
	s_wait_dscnt 0x0
	v_lshrrev_b32_e32 v2, s31, v136
	s_delay_alu instid0(VALU_DEP_1) | instskip(NEXT) | instid1(VALU_DEP_1)
	v_and_b32_e32 v2, s48, v2
	v_lshlrev_b32_e32 v2, 2, v2
	ds_load_b32 v2, v2
	s_wait_dscnt 0x0
	v_add_nc_u32_e32 v2, v2, v53
	s_delay_alu instid0(VALU_DEP_1) | instskip(SKIP_1) | instid1(VALU_DEP_2)
	v_lshlrev_b64_e32 v[36:37], 2, v[2:3]
	v_xor_b32_e32 v2, 0x80000000, v136
	v_add_co_u32 v36, s22, s40, v36
	s_wait_alu 0xf1ff
	s_delay_alu instid0(VALU_DEP_3)
	v_add_co_ci_u32_e64 v37, null, s41, v37, s22
	global_store_b32 v[36:37], v2, off
	s_wait_alu 0xfffe
	s_or_b32 exec_lo, exec_lo, s23
	v_cmp_lt_u32_e64 s22, v54, v135
	s_and_saveexec_b32 s24, s22
	s_cbranch_execz .LBB606_475
.LBB606_543:                            ;   in Loop: Header=BB606_388 Depth=2
	ds_load_b32 v136, v70 offset:9216
	s_wait_dscnt 0x0
	v_lshrrev_b32_e32 v2, s31, v136
	s_delay_alu instid0(VALU_DEP_1) | instskip(NEXT) | instid1(VALU_DEP_1)
	v_and_b32_e32 v2, s48, v2
	v_lshlrev_b32_e32 v2, 2, v2
	ds_load_b32 v2, v2
	s_wait_dscnt 0x0
	v_add_nc_u32_e32 v2, v2, v54
	s_delay_alu instid0(VALU_DEP_1) | instskip(SKIP_1) | instid1(VALU_DEP_2)
	v_lshlrev_b64_e32 v[36:37], 2, v[2:3]
	v_xor_b32_e32 v2, 0x80000000, v136
	v_add_co_u32 v36, s23, s40, v36
	s_wait_alu 0xf1ff
	s_delay_alu instid0(VALU_DEP_3)
	v_add_co_ci_u32_e64 v37, null, s41, v37, s23
	global_store_b32 v[36:37], v2, off
	s_wait_alu 0xfffe
	s_or_b32 exec_lo, exec_lo, s24
	v_cmp_lt_u32_e64 s23, v55, v135
	s_and_saveexec_b32 s25, s23
	s_cbranch_execz .LBB606_476
.LBB606_544:                            ;   in Loop: Header=BB606_388 Depth=2
	ds_load_b32 v136, v70 offset:10240
	s_wait_dscnt 0x0
	v_lshrrev_b32_e32 v2, s31, v136
	s_delay_alu instid0(VALU_DEP_1) | instskip(NEXT) | instid1(VALU_DEP_1)
	v_and_b32_e32 v2, s48, v2
	v_lshlrev_b32_e32 v2, 2, v2
	ds_load_b32 v2, v2
	s_wait_dscnt 0x0
	v_add_nc_u32_e32 v2, v2, v55
	s_delay_alu instid0(VALU_DEP_1) | instskip(SKIP_1) | instid1(VALU_DEP_2)
	v_lshlrev_b64_e32 v[36:37], 2, v[2:3]
	v_xor_b32_e32 v2, 0x80000000, v136
	v_add_co_u32 v36, s24, s40, v36
	s_wait_alu 0xf1ff
	s_delay_alu instid0(VALU_DEP_3)
	v_add_co_ci_u32_e64 v37, null, s41, v37, s24
	global_store_b32 v[36:37], v2, off
	s_wait_alu 0xfffe
	s_or_b32 exec_lo, exec_lo, s25
	v_cmp_lt_u32_e64 s24, v56, v135
	s_and_saveexec_b32 s26, s24
	s_cbranch_execz .LBB606_477
.LBB606_545:                            ;   in Loop: Header=BB606_388 Depth=2
	ds_load_b32 v136, v70 offset:11264
	s_wait_dscnt 0x0
	v_lshrrev_b32_e32 v2, s31, v136
	s_delay_alu instid0(VALU_DEP_1) | instskip(NEXT) | instid1(VALU_DEP_1)
	v_and_b32_e32 v2, s48, v2
	v_lshlrev_b32_e32 v2, 2, v2
	ds_load_b32 v2, v2
	s_wait_dscnt 0x0
	v_add_nc_u32_e32 v2, v2, v56
	s_delay_alu instid0(VALU_DEP_1) | instskip(SKIP_1) | instid1(VALU_DEP_2)
	v_lshlrev_b64_e32 v[36:37], 2, v[2:3]
	v_xor_b32_e32 v2, 0x80000000, v136
	v_add_co_u32 v36, s25, s40, v36
	s_wait_alu 0xf1ff
	s_delay_alu instid0(VALU_DEP_3)
	v_add_co_ci_u32_e64 v37, null, s41, v37, s25
	global_store_b32 v[36:37], v2, off
	s_wait_alu 0xfffe
	s_or_b32 exec_lo, exec_lo, s26
	v_cmp_lt_u32_e64 s25, v57, v135
	s_and_saveexec_b32 s27, s25
	s_cbranch_execz .LBB606_478
.LBB606_546:                            ;   in Loop: Header=BB606_388 Depth=2
	ds_load_b32 v136, v70 offset:12288
	s_wait_dscnt 0x0
	v_lshrrev_b32_e32 v2, s31, v136
	s_delay_alu instid0(VALU_DEP_1) | instskip(NEXT) | instid1(VALU_DEP_1)
	v_and_b32_e32 v2, s48, v2
	v_lshlrev_b32_e32 v2, 2, v2
	ds_load_b32 v2, v2
	s_wait_dscnt 0x0
	v_add_nc_u32_e32 v2, v2, v57
	s_delay_alu instid0(VALU_DEP_1) | instskip(SKIP_1) | instid1(VALU_DEP_2)
	v_lshlrev_b64_e32 v[36:37], 2, v[2:3]
	v_xor_b32_e32 v2, 0x80000000, v136
	v_add_co_u32 v36, s26, s40, v36
	s_wait_alu 0xf1ff
	s_delay_alu instid0(VALU_DEP_3)
	v_add_co_ci_u32_e64 v37, null, s41, v37, s26
	global_store_b32 v[36:37], v2, off
	s_wait_alu 0xfffe
	s_or_b32 exec_lo, exec_lo, s27
	v_cmp_lt_u32_e64 s26, v58, v135
	s_and_saveexec_b32 s28, s26
	s_cbranch_execz .LBB606_479
.LBB606_547:                            ;   in Loop: Header=BB606_388 Depth=2
	ds_load_b32 v136, v70 offset:13312
	s_wait_dscnt 0x0
	v_lshrrev_b32_e32 v2, s31, v136
	s_delay_alu instid0(VALU_DEP_1) | instskip(NEXT) | instid1(VALU_DEP_1)
	v_and_b32_e32 v2, s48, v2
	v_lshlrev_b32_e32 v2, 2, v2
	ds_load_b32 v2, v2
	s_wait_dscnt 0x0
	v_add_nc_u32_e32 v2, v2, v58
	s_delay_alu instid0(VALU_DEP_1) | instskip(SKIP_1) | instid1(VALU_DEP_2)
	v_lshlrev_b64_e32 v[36:37], 2, v[2:3]
	v_xor_b32_e32 v2, 0x80000000, v136
	v_add_co_u32 v36, s27, s40, v36
	s_wait_alu 0xf1ff
	s_delay_alu instid0(VALU_DEP_3)
	v_add_co_ci_u32_e64 v37, null, s41, v37, s27
	global_store_b32 v[36:37], v2, off
	s_wait_alu 0xfffe
	s_or_b32 exec_lo, exec_lo, s28
	v_cmp_lt_u32_e64 s27, v59, v135
	s_and_saveexec_b32 s29, s27
	s_cbranch_execz .LBB606_480
.LBB606_548:                            ;   in Loop: Header=BB606_388 Depth=2
	ds_load_b32 v136, v70 offset:14336
	s_wait_dscnt 0x0
	v_lshrrev_b32_e32 v2, s31, v136
	s_delay_alu instid0(VALU_DEP_1) | instskip(NEXT) | instid1(VALU_DEP_1)
	v_and_b32_e32 v2, s48, v2
	v_lshlrev_b32_e32 v2, 2, v2
	ds_load_b32 v2, v2
	s_wait_dscnt 0x0
	v_add_nc_u32_e32 v2, v2, v59
	s_delay_alu instid0(VALU_DEP_1) | instskip(SKIP_1) | instid1(VALU_DEP_2)
	v_lshlrev_b64_e32 v[36:37], 2, v[2:3]
	v_xor_b32_e32 v2, 0x80000000, v136
	v_add_co_u32 v36, s28, s40, v36
	s_wait_alu 0xf1ff
	s_delay_alu instid0(VALU_DEP_3)
	v_add_co_ci_u32_e64 v37, null, s41, v37, s28
	global_store_b32 v[36:37], v2, off
	s_wait_alu 0xfffe
	s_or_b32 exec_lo, exec_lo, s29
	v_cmp_lt_u32_e64 s28, v60, v135
	s_and_saveexec_b32 s30, s28
	s_cbranch_execz .LBB606_481
.LBB606_549:                            ;   in Loop: Header=BB606_388 Depth=2
	ds_load_b32 v136, v70 offset:15360
	s_wait_dscnt 0x0
	v_lshrrev_b32_e32 v2, s31, v136
	s_delay_alu instid0(VALU_DEP_1) | instskip(NEXT) | instid1(VALU_DEP_1)
	v_and_b32_e32 v2, s48, v2
	v_lshlrev_b32_e32 v2, 2, v2
	ds_load_b32 v2, v2
	s_wait_dscnt 0x0
	v_add_nc_u32_e32 v2, v2, v60
	s_delay_alu instid0(VALU_DEP_1) | instskip(SKIP_1) | instid1(VALU_DEP_2)
	v_lshlrev_b64_e32 v[36:37], 2, v[2:3]
	v_xor_b32_e32 v2, 0x80000000, v136
	v_add_co_u32 v36, s29, s40, v36
	s_wait_alu 0xf1ff
	s_delay_alu instid0(VALU_DEP_3)
	v_add_co_ci_u32_e64 v37, null, s41, v37, s29
	global_store_b32 v[36:37], v2, off
	s_wait_alu 0xfffe
	s_or_b32 exec_lo, exec_lo, s30
	v_cmp_lt_u32_e64 s29, v61, v135
	s_and_saveexec_b32 s56, s29
	s_cbranch_execnz .LBB606_482
	s_branch .LBB606_483
.LBB606_550:                            ;   in Loop: Header=BB606_388 Depth=2
	global_load_b64 v[34:35], v[36:37], off
	s_wait_alu 0xfffe
	s_or_b32 exec_lo, exec_lo, s30
	s_delay_alu instid0(SALU_CYCLE_1)
	s_mov_b32 s42, exec_lo
	v_cmpx_lt_u32_e64 v92, v135
	s_cbranch_execz .LBB606_485
.LBB606_551:                            ;   in Loop: Header=BB606_388 Depth=2
	global_load_b64 v[32:33], v[36:37], off offset:256
	s_wait_alu 0xfffe
	s_or_b32 exec_lo, exec_lo, s42
	s_delay_alu instid0(SALU_CYCLE_1)
	s_mov_b32 s42, exec_lo
	v_cmpx_lt_u32_e64 v93, v135
	s_cbranch_execz .LBB606_486
.LBB606_552:                            ;   in Loop: Header=BB606_388 Depth=2
	global_load_b64 v[30:31], v[36:37], off offset:512
	s_wait_alu 0xfffe
	s_or_b32 exec_lo, exec_lo, s42
	s_delay_alu instid0(SALU_CYCLE_1)
	s_mov_b32 s42, exec_lo
	v_cmpx_lt_u32_e64 v94, v135
	s_cbranch_execz .LBB606_487
.LBB606_553:                            ;   in Loop: Header=BB606_388 Depth=2
	global_load_b64 v[28:29], v[36:37], off offset:768
	s_wait_alu 0xfffe
	s_or_b32 exec_lo, exec_lo, s42
	s_delay_alu instid0(SALU_CYCLE_1)
	s_mov_b32 s42, exec_lo
	v_cmpx_lt_u32_e64 v95, v135
	s_cbranch_execz .LBB606_488
.LBB606_554:                            ;   in Loop: Header=BB606_388 Depth=2
	global_load_b64 v[26:27], v[36:37], off offset:1024
	s_wait_alu 0xfffe
	s_or_b32 exec_lo, exec_lo, s42
	s_delay_alu instid0(SALU_CYCLE_1)
	s_mov_b32 s42, exec_lo
	v_cmpx_lt_u32_e64 v96, v135
	s_cbranch_execz .LBB606_489
.LBB606_555:                            ;   in Loop: Header=BB606_388 Depth=2
	global_load_b64 v[24:25], v[36:37], off offset:1280
	s_wait_alu 0xfffe
	s_or_b32 exec_lo, exec_lo, s42
	s_delay_alu instid0(SALU_CYCLE_1)
	s_mov_b32 s42, exec_lo
	v_cmpx_lt_u32_e64 v97, v135
	s_cbranch_execz .LBB606_490
.LBB606_556:                            ;   in Loop: Header=BB606_388 Depth=2
	global_load_b64 v[22:23], v[36:37], off offset:1536
	s_wait_alu 0xfffe
	s_or_b32 exec_lo, exec_lo, s42
	s_delay_alu instid0(SALU_CYCLE_1)
	s_mov_b32 s42, exec_lo
	v_cmpx_lt_u32_e64 v98, v135
	s_cbranch_execz .LBB606_491
.LBB606_557:                            ;   in Loop: Header=BB606_388 Depth=2
	global_load_b64 v[20:21], v[36:37], off offset:1792
	s_wait_alu 0xfffe
	s_or_b32 exec_lo, exec_lo, s42
	s_delay_alu instid0(SALU_CYCLE_1)
	s_mov_b32 s42, exec_lo
	v_cmpx_lt_u32_e64 v99, v135
	s_cbranch_execz .LBB606_492
.LBB606_558:                            ;   in Loop: Header=BB606_388 Depth=2
	global_load_b64 v[18:19], v[36:37], off offset:2048
	s_wait_alu 0xfffe
	s_or_b32 exec_lo, exec_lo, s42
	s_delay_alu instid0(SALU_CYCLE_1)
	s_mov_b32 s42, exec_lo
	v_cmpx_lt_u32_e64 v100, v135
	s_cbranch_execz .LBB606_493
.LBB606_559:                            ;   in Loop: Header=BB606_388 Depth=2
	global_load_b64 v[16:17], v[36:37], off offset:2304
	s_wait_alu 0xfffe
	s_or_b32 exec_lo, exec_lo, s42
	s_delay_alu instid0(SALU_CYCLE_1)
	s_mov_b32 s42, exec_lo
	v_cmpx_lt_u32_e64 v101, v135
	s_cbranch_execz .LBB606_494
.LBB606_560:                            ;   in Loop: Header=BB606_388 Depth=2
	global_load_b64 v[14:15], v[36:37], off offset:2560
	s_wait_alu 0xfffe
	s_or_b32 exec_lo, exec_lo, s42
	s_delay_alu instid0(SALU_CYCLE_1)
	s_mov_b32 s42, exec_lo
	v_cmpx_lt_u32_e64 v102, v135
	s_cbranch_execz .LBB606_495
.LBB606_561:                            ;   in Loop: Header=BB606_388 Depth=2
	global_load_b64 v[12:13], v[36:37], off offset:2816
	s_wait_alu 0xfffe
	s_or_b32 exec_lo, exec_lo, s42
	s_delay_alu instid0(SALU_CYCLE_1)
	s_mov_b32 s42, exec_lo
	v_cmpx_lt_u32_e64 v103, v135
	s_cbranch_execz .LBB606_496
.LBB606_562:                            ;   in Loop: Header=BB606_388 Depth=2
	global_load_b64 v[10:11], v[36:37], off offset:3072
	s_wait_alu 0xfffe
	s_or_b32 exec_lo, exec_lo, s42
	s_delay_alu instid0(SALU_CYCLE_1)
	s_mov_b32 s42, exec_lo
	v_cmpx_lt_u32_e64 v104, v135
	s_cbranch_execz .LBB606_497
.LBB606_563:                            ;   in Loop: Header=BB606_388 Depth=2
	global_load_b64 v[8:9], v[36:37], off offset:3328
	s_wait_alu 0xfffe
	s_or_b32 exec_lo, exec_lo, s42
	s_delay_alu instid0(SALU_CYCLE_1)
	s_mov_b32 s42, exec_lo
	v_cmpx_lt_u32_e64 v105, v135
	s_cbranch_execz .LBB606_498
.LBB606_564:                            ;   in Loop: Header=BB606_388 Depth=2
	global_load_b64 v[6:7], v[36:37], off offset:3584
	s_wait_alu 0xfffe
	s_or_b32 exec_lo, exec_lo, s42
	s_delay_alu instid0(SALU_CYCLE_1)
	s_mov_b32 s42, exec_lo
	v_cmpx_lt_u32_e64 v106, v135
	s_cbranch_execz .LBB606_499
.LBB606_565:                            ;   in Loop: Header=BB606_388 Depth=2
	global_load_b64 v[4:5], v[36:37], off offset:3840
	s_wait_alu 0xfffe
	s_or_b32 exec_lo, exec_lo, s42
	s_and_saveexec_b32 s30, vcc_lo
	s_cbranch_execz .LBB606_500
.LBB606_566:                            ;   in Loop: Header=BB606_388 Depth=2
	ds_load_b32 v2, v70 offset:1024
	s_wait_dscnt 0x0
	v_lshrrev_b32_e32 v2, s31, v2
	s_delay_alu instid0(VALU_DEP_1)
	v_and_b32_e32 v134, s48, v2
	s_wait_alu 0xfffe
	s_or_b32 exec_lo, exec_lo, s30
	s_and_saveexec_b32 s30, s15
	s_cbranch_execz .LBB606_501
.LBB606_567:                            ;   in Loop: Header=BB606_388 Depth=2
	ds_load_b32 v2, v70 offset:2048
	s_wait_dscnt 0x0
	v_lshrrev_b32_e32 v2, s31, v2
	s_delay_alu instid0(VALU_DEP_1)
	v_and_b32_e32 v133, s48, v2
	s_wait_alu 0xfffe
	s_or_b32 exec_lo, exec_lo, s30
	s_and_saveexec_b32 s30, s16
	s_cbranch_execz .LBB606_502
.LBB606_568:                            ;   in Loop: Header=BB606_388 Depth=2
	ds_load_b32 v2, v70 offset:3072
	s_wait_dscnt 0x0
	v_lshrrev_b32_e32 v2, s31, v2
	s_delay_alu instid0(VALU_DEP_1)
	v_and_b32_e32 v132, s48, v2
	s_wait_alu 0xfffe
	s_or_b32 exec_lo, exec_lo, s30
	s_and_saveexec_b32 s30, s17
	s_cbranch_execz .LBB606_503
.LBB606_569:                            ;   in Loop: Header=BB606_388 Depth=2
	ds_load_b32 v2, v70 offset:4096
	s_wait_dscnt 0x0
	v_lshrrev_b32_e32 v2, s31, v2
	s_delay_alu instid0(VALU_DEP_1)
	v_and_b32_e32 v131, s48, v2
	s_wait_alu 0xfffe
	s_or_b32 exec_lo, exec_lo, s30
	s_and_saveexec_b32 s30, s18
	s_cbranch_execz .LBB606_504
.LBB606_570:                            ;   in Loop: Header=BB606_388 Depth=2
	ds_load_b32 v2, v70 offset:5120
	s_wait_dscnt 0x0
	v_lshrrev_b32_e32 v2, s31, v2
	s_delay_alu instid0(VALU_DEP_1)
	v_and_b32_e32 v130, s48, v2
	s_wait_alu 0xfffe
	s_or_b32 exec_lo, exec_lo, s30
	s_and_saveexec_b32 s30, s19
	s_cbranch_execz .LBB606_505
.LBB606_571:                            ;   in Loop: Header=BB606_388 Depth=2
	ds_load_b32 v2, v70 offset:6144
	s_wait_dscnt 0x0
	v_lshrrev_b32_e32 v2, s31, v2
	s_delay_alu instid0(VALU_DEP_1)
	v_and_b32_e32 v129, s48, v2
	s_wait_alu 0xfffe
	s_or_b32 exec_lo, exec_lo, s30
	s_and_saveexec_b32 s30, s20
	s_cbranch_execz .LBB606_506
.LBB606_572:                            ;   in Loop: Header=BB606_388 Depth=2
	ds_load_b32 v2, v70 offset:7168
	s_wait_dscnt 0x0
	v_lshrrev_b32_e32 v2, s31, v2
	s_delay_alu instid0(VALU_DEP_1)
	v_and_b32_e32 v128, s48, v2
	s_wait_alu 0xfffe
	s_or_b32 exec_lo, exec_lo, s30
	s_and_saveexec_b32 s30, s21
	s_cbranch_execz .LBB606_507
.LBB606_573:                            ;   in Loop: Header=BB606_388 Depth=2
	ds_load_b32 v2, v70 offset:8192
	s_wait_dscnt 0x0
	v_lshrrev_b32_e32 v2, s31, v2
	s_delay_alu instid0(VALU_DEP_1)
	v_and_b32_e32 v127, s48, v2
	s_wait_alu 0xfffe
	s_or_b32 exec_lo, exec_lo, s30
	s_and_saveexec_b32 s30, s22
	s_cbranch_execz .LBB606_508
.LBB606_574:                            ;   in Loop: Header=BB606_388 Depth=2
	ds_load_b32 v2, v70 offset:9216
	s_wait_dscnt 0x0
	v_lshrrev_b32_e32 v2, s31, v2
	s_delay_alu instid0(VALU_DEP_1)
	v_and_b32_e32 v126, s48, v2
	s_wait_alu 0xfffe
	s_or_b32 exec_lo, exec_lo, s30
	s_and_saveexec_b32 s30, s23
	s_cbranch_execz .LBB606_509
.LBB606_575:                            ;   in Loop: Header=BB606_388 Depth=2
	ds_load_b32 v2, v70 offset:10240
	s_wait_dscnt 0x0
	v_lshrrev_b32_e32 v2, s31, v2
	s_delay_alu instid0(VALU_DEP_1)
	v_and_b32_e32 v125, s48, v2
	s_wait_alu 0xfffe
	s_or_b32 exec_lo, exec_lo, s30
	s_and_saveexec_b32 s30, s24
	s_cbranch_execz .LBB606_510
.LBB606_576:                            ;   in Loop: Header=BB606_388 Depth=2
	ds_load_b32 v2, v70 offset:11264
	s_wait_dscnt 0x0
	v_lshrrev_b32_e32 v2, s31, v2
	s_delay_alu instid0(VALU_DEP_1)
	v_and_b32_e32 v124, s48, v2
	s_wait_alu 0xfffe
	s_or_b32 exec_lo, exec_lo, s30
	s_and_saveexec_b32 s30, s25
	s_cbranch_execz .LBB606_511
.LBB606_577:                            ;   in Loop: Header=BB606_388 Depth=2
	ds_load_b32 v2, v70 offset:12288
	s_wait_dscnt 0x0
	v_lshrrev_b32_e32 v2, s31, v2
	s_delay_alu instid0(VALU_DEP_1)
	v_and_b32_e32 v123, s48, v2
	s_wait_alu 0xfffe
	s_or_b32 exec_lo, exec_lo, s30
	s_and_saveexec_b32 s30, s26
	s_cbranch_execz .LBB606_512
.LBB606_578:                            ;   in Loop: Header=BB606_388 Depth=2
	ds_load_b32 v2, v70 offset:13312
	s_wait_dscnt 0x0
	v_lshrrev_b32_e32 v2, s31, v2
	s_delay_alu instid0(VALU_DEP_1)
	v_and_b32_e32 v122, s48, v2
	s_wait_alu 0xfffe
	s_or_b32 exec_lo, exec_lo, s30
	s_and_saveexec_b32 s30, s27
	s_cbranch_execz .LBB606_513
.LBB606_579:                            ;   in Loop: Header=BB606_388 Depth=2
	ds_load_b32 v2, v70 offset:14336
	s_wait_dscnt 0x0
	v_lshrrev_b32_e32 v2, s31, v2
	s_delay_alu instid0(VALU_DEP_1)
	v_and_b32_e32 v121, s48, v2
	s_wait_alu 0xfffe
	s_or_b32 exec_lo, exec_lo, s30
	s_and_saveexec_b32 s30, s28
	s_cbranch_execz .LBB606_514
.LBB606_580:                            ;   in Loop: Header=BB606_388 Depth=2
	ds_load_b32 v2, v70 offset:15360
	s_wait_dscnt 0x0
	v_lshrrev_b32_e32 v2, s31, v2
	s_delay_alu instid0(VALU_DEP_1)
	v_and_b32_e32 v120, s48, v2
	s_wait_alu 0xfffe
	s_or_b32 exec_lo, exec_lo, s30
	s_and_saveexec_b32 s30, s29
	s_cbranch_execnz .LBB606_515
	s_branch .LBB606_516
.LBB606_581:                            ;   in Loop: Header=BB606_388 Depth=2
	v_lshlrev_b32_e32 v2, 2, v134
	v_add_nc_u32_e32 v36, v70, v44
	ds_load_b32 v2, v2
	ds_load_b64 v[36:37], v36 offset:1024
	s_wait_dscnt 0x1
	v_add_nc_u32_e32 v2, v2, v1
	s_delay_alu instid0(VALU_DEP_1) | instskip(NEXT) | instid1(VALU_DEP_1)
	v_lshlrev_b64_e32 v[39:40], 3, v[2:3]
	v_add_co_u32 v39, vcc_lo, s46, v39
	s_wait_alu 0xfffd
	s_delay_alu instid0(VALU_DEP_2)
	v_add_co_ci_u32_e64 v40, null, s47, v40, vcc_lo
	s_wait_dscnt 0x0
	global_store_b64 v[39:40], v[36:37], off
	s_wait_alu 0xfffe
	s_or_b32 exec_lo, exec_lo, s30
	s_and_saveexec_b32 s30, s15
	s_cbranch_execz .LBB606_518
.LBB606_582:                            ;   in Loop: Header=BB606_388 Depth=2
	v_lshlrev_b32_e32 v2, 2, v133
	v_add_nc_u32_e32 v36, v70, v44
	ds_load_b32 v2, v2
	ds_load_b64 v[36:37], v36 offset:3072
	s_wait_dscnt 0x1
	v_add_nc_u32_e32 v2, v2, v45
	s_delay_alu instid0(VALU_DEP_1) | instskip(NEXT) | instid1(VALU_DEP_1)
	v_lshlrev_b64_e32 v[39:40], 3, v[2:3]
	v_add_co_u32 v39, vcc_lo, s46, v39
	s_wait_alu 0xfffd
	s_delay_alu instid0(VALU_DEP_2)
	v_add_co_ci_u32_e64 v40, null, s47, v40, vcc_lo
	s_wait_dscnt 0x0
	global_store_b64 v[39:40], v[36:37], off
	s_wait_alu 0xfffe
	s_or_b32 exec_lo, exec_lo, s30
	s_and_saveexec_b32 s15, s16
	s_cbranch_execz .LBB606_519
.LBB606_583:                            ;   in Loop: Header=BB606_388 Depth=2
	v_lshlrev_b32_e32 v2, 2, v132
	v_add_nc_u32_e32 v36, v70, v44
	ds_load_b32 v2, v2
	ds_load_b64 v[36:37], v36 offset:5120
	s_wait_dscnt 0x1
	v_add_nc_u32_e32 v2, v2, v46
	s_delay_alu instid0(VALU_DEP_1) | instskip(NEXT) | instid1(VALU_DEP_1)
	v_lshlrev_b64_e32 v[39:40], 3, v[2:3]
	v_add_co_u32 v39, vcc_lo, s46, v39
	s_wait_alu 0xfffd
	s_delay_alu instid0(VALU_DEP_2)
	v_add_co_ci_u32_e64 v40, null, s47, v40, vcc_lo
	s_wait_dscnt 0x0
	global_store_b64 v[39:40], v[36:37], off
	s_wait_alu 0xfffe
	s_or_b32 exec_lo, exec_lo, s15
	s_and_saveexec_b32 s15, s17
	s_cbranch_execz .LBB606_520
.LBB606_584:                            ;   in Loop: Header=BB606_388 Depth=2
	v_lshlrev_b32_e32 v2, 2, v131
	v_add_nc_u32_e32 v36, v70, v44
	ds_load_b32 v2, v2
	ds_load_b64 v[36:37], v36 offset:7168
	s_wait_dscnt 0x1
	v_add_nc_u32_e32 v2, v2, v47
	s_delay_alu instid0(VALU_DEP_1) | instskip(NEXT) | instid1(VALU_DEP_1)
	v_lshlrev_b64_e32 v[39:40], 3, v[2:3]
	v_add_co_u32 v39, vcc_lo, s46, v39
	s_wait_alu 0xfffd
	s_delay_alu instid0(VALU_DEP_2)
	v_add_co_ci_u32_e64 v40, null, s47, v40, vcc_lo
	s_wait_dscnt 0x0
	global_store_b64 v[39:40], v[36:37], off
	s_wait_alu 0xfffe
	s_or_b32 exec_lo, exec_lo, s15
	s_and_saveexec_b32 s15, s18
	s_cbranch_execz .LBB606_521
.LBB606_585:                            ;   in Loop: Header=BB606_388 Depth=2
	v_lshlrev_b32_e32 v2, 2, v130
	v_add_nc_u32_e32 v36, v70, v44
	ds_load_b32 v2, v2
	ds_load_b64 v[36:37], v36 offset:9216
	s_wait_dscnt 0x1
	v_add_nc_u32_e32 v2, v2, v50
	s_delay_alu instid0(VALU_DEP_1) | instskip(NEXT) | instid1(VALU_DEP_1)
	v_lshlrev_b64_e32 v[39:40], 3, v[2:3]
	v_add_co_u32 v39, vcc_lo, s46, v39
	s_wait_alu 0xfffd
	s_delay_alu instid0(VALU_DEP_2)
	v_add_co_ci_u32_e64 v40, null, s47, v40, vcc_lo
	s_wait_dscnt 0x0
	global_store_b64 v[39:40], v[36:37], off
	s_wait_alu 0xfffe
	s_or_b32 exec_lo, exec_lo, s15
	s_and_saveexec_b32 s15, s19
	s_cbranch_execz .LBB606_522
.LBB606_586:                            ;   in Loop: Header=BB606_388 Depth=2
	v_lshlrev_b32_e32 v2, 2, v129
	v_add_nc_u32_e32 v36, v70, v44
	ds_load_b32 v2, v2
	ds_load_b64 v[36:37], v36 offset:11264
	s_wait_dscnt 0x1
	v_add_nc_u32_e32 v2, v2, v51
	s_delay_alu instid0(VALU_DEP_1) | instskip(NEXT) | instid1(VALU_DEP_1)
	v_lshlrev_b64_e32 v[39:40], 3, v[2:3]
	v_add_co_u32 v39, vcc_lo, s46, v39
	s_wait_alu 0xfffd
	s_delay_alu instid0(VALU_DEP_2)
	v_add_co_ci_u32_e64 v40, null, s47, v40, vcc_lo
	s_wait_dscnt 0x0
	global_store_b64 v[39:40], v[36:37], off
	s_wait_alu 0xfffe
	s_or_b32 exec_lo, exec_lo, s15
	s_and_saveexec_b32 s15, s20
	s_cbranch_execz .LBB606_523
.LBB606_587:                            ;   in Loop: Header=BB606_388 Depth=2
	v_lshlrev_b32_e32 v2, 2, v128
	v_add_nc_u32_e32 v36, v70, v44
	ds_load_b32 v2, v2
	ds_load_b64 v[36:37], v36 offset:13312
	s_wait_dscnt 0x1
	v_add_nc_u32_e32 v2, v2, v52
	s_delay_alu instid0(VALU_DEP_1) | instskip(NEXT) | instid1(VALU_DEP_1)
	v_lshlrev_b64_e32 v[39:40], 3, v[2:3]
	v_add_co_u32 v39, vcc_lo, s46, v39
	s_wait_alu 0xfffd
	s_delay_alu instid0(VALU_DEP_2)
	v_add_co_ci_u32_e64 v40, null, s47, v40, vcc_lo
	s_wait_dscnt 0x0
	global_store_b64 v[39:40], v[36:37], off
	s_wait_alu 0xfffe
	s_or_b32 exec_lo, exec_lo, s15
	s_and_saveexec_b32 s15, s21
	s_cbranch_execz .LBB606_524
.LBB606_588:                            ;   in Loop: Header=BB606_388 Depth=2
	v_lshlrev_b32_e32 v2, 2, v127
	v_add_nc_u32_e32 v36, v70, v44
	ds_load_b32 v2, v2
	ds_load_b64 v[36:37], v36 offset:15360
	s_wait_dscnt 0x1
	v_add_nc_u32_e32 v2, v2, v53
	s_delay_alu instid0(VALU_DEP_1) | instskip(NEXT) | instid1(VALU_DEP_1)
	v_lshlrev_b64_e32 v[39:40], 3, v[2:3]
	v_add_co_u32 v39, vcc_lo, s46, v39
	s_wait_alu 0xfffd
	s_delay_alu instid0(VALU_DEP_2)
	v_add_co_ci_u32_e64 v40, null, s47, v40, vcc_lo
	s_wait_dscnt 0x0
	global_store_b64 v[39:40], v[36:37], off
	s_wait_alu 0xfffe
	s_or_b32 exec_lo, exec_lo, s15
	s_and_saveexec_b32 s15, s22
	s_cbranch_execz .LBB606_525
.LBB606_589:                            ;   in Loop: Header=BB606_388 Depth=2
	v_lshlrev_b32_e32 v2, 2, v126
	v_add_nc_u32_e32 v36, v70, v44
	ds_load_b32 v2, v2
	ds_load_b64 v[36:37], v36 offset:17408
	s_wait_dscnt 0x1
	v_add_nc_u32_e32 v2, v2, v54
	s_delay_alu instid0(VALU_DEP_1) | instskip(NEXT) | instid1(VALU_DEP_1)
	v_lshlrev_b64_e32 v[39:40], 3, v[2:3]
	v_add_co_u32 v39, vcc_lo, s46, v39
	s_wait_alu 0xfffd
	s_delay_alu instid0(VALU_DEP_2)
	v_add_co_ci_u32_e64 v40, null, s47, v40, vcc_lo
	s_wait_dscnt 0x0
	global_store_b64 v[39:40], v[36:37], off
	s_wait_alu 0xfffe
	s_or_b32 exec_lo, exec_lo, s15
	s_and_saveexec_b32 s15, s23
	s_cbranch_execz .LBB606_526
.LBB606_590:                            ;   in Loop: Header=BB606_388 Depth=2
	v_lshlrev_b32_e32 v2, 2, v125
	v_add_nc_u32_e32 v36, v70, v44
	ds_load_b32 v2, v2
	ds_load_b64 v[36:37], v36 offset:19456
	s_wait_dscnt 0x1
	v_add_nc_u32_e32 v2, v2, v55
	s_delay_alu instid0(VALU_DEP_1) | instskip(NEXT) | instid1(VALU_DEP_1)
	v_lshlrev_b64_e32 v[39:40], 3, v[2:3]
	v_add_co_u32 v39, vcc_lo, s46, v39
	s_wait_alu 0xfffd
	s_delay_alu instid0(VALU_DEP_2)
	v_add_co_ci_u32_e64 v40, null, s47, v40, vcc_lo
	s_wait_dscnt 0x0
	global_store_b64 v[39:40], v[36:37], off
	s_wait_alu 0xfffe
	s_or_b32 exec_lo, exec_lo, s15
	s_and_saveexec_b32 s15, s24
	s_cbranch_execz .LBB606_527
.LBB606_591:                            ;   in Loop: Header=BB606_388 Depth=2
	v_lshlrev_b32_e32 v2, 2, v124
	v_add_nc_u32_e32 v36, v70, v44
	ds_load_b32 v2, v2
	ds_load_b64 v[36:37], v36 offset:21504
	s_wait_dscnt 0x1
	v_add_nc_u32_e32 v2, v2, v56
	s_delay_alu instid0(VALU_DEP_1) | instskip(NEXT) | instid1(VALU_DEP_1)
	v_lshlrev_b64_e32 v[39:40], 3, v[2:3]
	v_add_co_u32 v39, vcc_lo, s46, v39
	s_wait_alu 0xfffd
	s_delay_alu instid0(VALU_DEP_2)
	v_add_co_ci_u32_e64 v40, null, s47, v40, vcc_lo
	s_wait_dscnt 0x0
	global_store_b64 v[39:40], v[36:37], off
	s_wait_alu 0xfffe
	s_or_b32 exec_lo, exec_lo, s15
	s_and_saveexec_b32 s15, s25
	s_cbranch_execz .LBB606_528
.LBB606_592:                            ;   in Loop: Header=BB606_388 Depth=2
	v_lshlrev_b32_e32 v2, 2, v123
	v_add_nc_u32_e32 v36, v70, v44
	ds_load_b32 v2, v2
	ds_load_b64 v[36:37], v36 offset:23552
	s_wait_dscnt 0x1
	v_add_nc_u32_e32 v2, v2, v57
	s_delay_alu instid0(VALU_DEP_1) | instskip(NEXT) | instid1(VALU_DEP_1)
	v_lshlrev_b64_e32 v[39:40], 3, v[2:3]
	v_add_co_u32 v39, vcc_lo, s46, v39
	s_wait_alu 0xfffd
	s_delay_alu instid0(VALU_DEP_2)
	v_add_co_ci_u32_e64 v40, null, s47, v40, vcc_lo
	s_wait_dscnt 0x0
	global_store_b64 v[39:40], v[36:37], off
	s_wait_alu 0xfffe
	s_or_b32 exec_lo, exec_lo, s15
	s_and_saveexec_b32 s15, s26
	s_cbranch_execz .LBB606_529
.LBB606_593:                            ;   in Loop: Header=BB606_388 Depth=2
	v_lshlrev_b32_e32 v2, 2, v122
	v_add_nc_u32_e32 v36, v70, v44
	ds_load_b32 v2, v2
	ds_load_b64 v[36:37], v36 offset:25600
	s_wait_dscnt 0x1
	v_add_nc_u32_e32 v2, v2, v58
	s_delay_alu instid0(VALU_DEP_1) | instskip(NEXT) | instid1(VALU_DEP_1)
	v_lshlrev_b64_e32 v[39:40], 3, v[2:3]
	v_add_co_u32 v39, vcc_lo, s46, v39
	s_wait_alu 0xfffd
	s_delay_alu instid0(VALU_DEP_2)
	v_add_co_ci_u32_e64 v40, null, s47, v40, vcc_lo
	s_wait_dscnt 0x0
	global_store_b64 v[39:40], v[36:37], off
	s_wait_alu 0xfffe
	s_or_b32 exec_lo, exec_lo, s15
	s_and_saveexec_b32 s15, s27
	s_cbranch_execz .LBB606_530
.LBB606_594:                            ;   in Loop: Header=BB606_388 Depth=2
	v_lshlrev_b32_e32 v2, 2, v121
	v_add_nc_u32_e32 v36, v70, v44
	ds_load_b32 v2, v2
	ds_load_b64 v[36:37], v36 offset:27648
	s_wait_dscnt 0x1
	v_add_nc_u32_e32 v2, v2, v59
	s_delay_alu instid0(VALU_DEP_1) | instskip(NEXT) | instid1(VALU_DEP_1)
	v_lshlrev_b64_e32 v[39:40], 3, v[2:3]
	v_add_co_u32 v39, vcc_lo, s46, v39
	s_wait_alu 0xfffd
	s_delay_alu instid0(VALU_DEP_2)
	v_add_co_ci_u32_e64 v40, null, s47, v40, vcc_lo
	s_wait_dscnt 0x0
	global_store_b64 v[39:40], v[36:37], off
	s_wait_alu 0xfffe
	s_or_b32 exec_lo, exec_lo, s15
	s_and_saveexec_b32 s15, s28
	s_cbranch_execz .LBB606_531
.LBB606_595:                            ;   in Loop: Header=BB606_388 Depth=2
	v_lshlrev_b32_e32 v2, 2, v120
	v_add_nc_u32_e32 v36, v70, v44
	ds_load_b32 v2, v2
	ds_load_b64 v[36:37], v36 offset:29696
	s_wait_dscnt 0x1
	v_add_nc_u32_e32 v2, v2, v60
	s_delay_alu instid0(VALU_DEP_1) | instskip(NEXT) | instid1(VALU_DEP_1)
	v_lshlrev_b64_e32 v[39:40], 3, v[2:3]
	v_add_co_u32 v39, vcc_lo, s46, v39
	s_wait_alu 0xfffd
	s_delay_alu instid0(VALU_DEP_2)
	v_add_co_ci_u32_e64 v40, null, s47, v40, vcc_lo
	s_wait_dscnt 0x0
	global_store_b64 v[39:40], v[36:37], off
	s_wait_alu 0xfffe
	s_or_b32 exec_lo, exec_lo, s15
	s_and_saveexec_b32 s15, s29
	s_cbranch_execnz .LBB606_532
	s_branch .LBB606_533
.LBB606_596:                            ;   in Loop: Header=BB606_12 Depth=1
	s_wait_loadcnt_dscnt 0x0
	s_barrier_signal -1
	s_barrier_wait -1
.LBB606_597:                            ;   in Loop: Header=BB606_12 Depth=1
	s_mov_b32 s0, 0
.LBB606_598:                            ;   in Loop: Header=BB606_12 Depth=1
	s_wait_alu 0xfffe
	s_and_not1_b32 vcc_lo, exec_lo, s0
	s_wait_alu 0xfffe
	s_cbranch_vccnz .LBB606_11
; %bb.599:                              ;   in Loop: Header=BB606_12 Depth=1
	s_and_b32 vcc_lo, exec_lo, s52
	s_mov_b32 s0, -1
	s_wait_alu 0xfffe
	s_cbranch_vccz .LBB606_891
; %bb.600:                              ;   in Loop: Header=BB606_12 Depth=1
	s_mov_b32 s9, s53
	s_mov_b32 s42, s33
	s_barrier_signal -1
	s_barrier_wait -1
	global_inv scope:SCOPE_SE
                                        ; implicit-def: $vgpr2
                                        ; implicit-def: $vgpr4
                                        ; implicit-def: $vgpr5
                                        ; implicit-def: $vgpr6
                                        ; implicit-def: $vgpr7
                                        ; implicit-def: $vgpr8
                                        ; implicit-def: $vgpr9
                                        ; implicit-def: $vgpr10
                                        ; implicit-def: $vgpr11
                                        ; implicit-def: $vgpr12
                                        ; implicit-def: $vgpr13
                                        ; implicit-def: $vgpr14
                                        ; implicit-def: $vgpr15
                                        ; implicit-def: $vgpr16
                                        ; implicit-def: $vgpr17
                                        ; implicit-def: $vgpr18
	s_branch .LBB606_602
.LBB606_601:                            ;   in Loop: Header=BB606_602 Depth=2
	s_wait_alu 0xfffe
	s_or_b32 exec_lo, exec_lo, s0
	s_addk_co_i32 s9, 0xf000
	s_cmp_ge_u32 s10, s51
	s_mov_b32 s42, s10
	s_cbranch_scc1 .LBB606_670
.LBB606_602:                            ;   Parent Loop BB606_12 Depth=1
                                        ; =>  This Inner Loop Header: Depth=2
	s_wait_alu 0xfffe
	s_add_co_i32 s10, s42, 0x1000
	s_mov_b32 s0, -1
	s_wait_alu 0xfffe
	s_cmp_gt_u32 s10, s51
                                        ; implicit-def: $vgpr19
                                        ; implicit-def: $vgpr20
                                        ; implicit-def: $vgpr21
                                        ; implicit-def: $vgpr22
                                        ; implicit-def: $vgpr23
                                        ; implicit-def: $vgpr24
                                        ; implicit-def: $vgpr25
                                        ; implicit-def: $vgpr26
                                        ; implicit-def: $vgpr27
                                        ; implicit-def: $vgpr28
                                        ; implicit-def: $vgpr29
                                        ; implicit-def: $vgpr30
                                        ; implicit-def: $vgpr31
                                        ; implicit-def: $vgpr32
                                        ; implicit-def: $vgpr33
                                        ; implicit-def: $vgpr34
	s_cbranch_scc1 .LBB606_604
; %bb.603:                              ;   in Loop: Header=BB606_602 Depth=2
	s_lshl_b64 s[0:1], s[42:43], 2
	s_wait_alu 0xfffe
	v_add_co_u32 v34, vcc_lo, v77, s0
	s_wait_alu 0xfffd
	v_add_co_ci_u32_e64 v35, null, s1, v78, vcc_lo
	s_mov_b32 s0, 0
	s_clause 0xf
	global_load_b32 v19, v[34:35], off
	global_load_b32 v20, v[34:35], off offset:1024
	global_load_b32 v21, v[34:35], off offset:2048
	;; [unrolled: 1-line block ×15, first 2 shown]
.LBB606_604:                            ;   in Loop: Header=BB606_602 Depth=2
	s_wait_alu 0xfffe
	s_and_not1_b32 vcc_lo, exec_lo, s0
	s_movk_i32 s0, 0x1000
	s_wait_alu 0xfffe
	s_cbranch_vccnz .LBB606_623
; %bb.605:                              ;   in Loop: Header=BB606_602 Depth=2
	s_lshl_b64 s[0:1], s[42:43], 2
	s_mov_b32 s11, exec_lo
	s_wait_alu 0xfffe
	s_add_nc_u64 s[0:1], s[36:37], s[0:1]
	v_cmpx_gt_u32_e64 s9, v1
	s_cbranch_execnz .LBB606_655
; %bb.606:                              ;   in Loop: Header=BB606_602 Depth=2
	s_or_b32 exec_lo, exec_lo, s11
	s_delay_alu instid0(SALU_CYCLE_1)
	s_mov_b32 s11, exec_lo
	v_cmpx_gt_u32_e64 s9, v45
	s_cbranch_execnz .LBB606_656
.LBB606_607:                            ;   in Loop: Header=BB606_602 Depth=2
	s_wait_alu 0xfffe
	s_or_b32 exec_lo, exec_lo, s11
	s_delay_alu instid0(SALU_CYCLE_1)
	s_mov_b32 s11, exec_lo
	v_cmpx_gt_u32_e64 s9, v46
	s_cbranch_execnz .LBB606_657
.LBB606_608:                            ;   in Loop: Header=BB606_602 Depth=2
	s_wait_alu 0xfffe
	s_or_b32 exec_lo, exec_lo, s11
	s_delay_alu instid0(SALU_CYCLE_1)
	s_mov_b32 s11, exec_lo
	v_cmpx_gt_u32_e64 s9, v47
	s_cbranch_execnz .LBB606_658
.LBB606_609:                            ;   in Loop: Header=BB606_602 Depth=2
	s_wait_alu 0xfffe
	s_or_b32 exec_lo, exec_lo, s11
	s_delay_alu instid0(SALU_CYCLE_1)
	s_mov_b32 s11, exec_lo
	v_cmpx_gt_u32_e64 s9, v50
	s_cbranch_execnz .LBB606_659
.LBB606_610:                            ;   in Loop: Header=BB606_602 Depth=2
	s_wait_alu 0xfffe
	s_or_b32 exec_lo, exec_lo, s11
	s_delay_alu instid0(SALU_CYCLE_1)
	s_mov_b32 s11, exec_lo
	v_cmpx_gt_u32_e64 s9, v51
	s_cbranch_execnz .LBB606_660
.LBB606_611:                            ;   in Loop: Header=BB606_602 Depth=2
	s_wait_alu 0xfffe
	s_or_b32 exec_lo, exec_lo, s11
	s_delay_alu instid0(SALU_CYCLE_1)
	s_mov_b32 s11, exec_lo
	v_cmpx_gt_u32_e64 s9, v52
	s_cbranch_execnz .LBB606_661
.LBB606_612:                            ;   in Loop: Header=BB606_602 Depth=2
	s_wait_alu 0xfffe
	s_or_b32 exec_lo, exec_lo, s11
	s_delay_alu instid0(SALU_CYCLE_1)
	s_mov_b32 s11, exec_lo
	v_cmpx_gt_u32_e64 s9, v53
	s_cbranch_execnz .LBB606_662
.LBB606_613:                            ;   in Loop: Header=BB606_602 Depth=2
	s_wait_alu 0xfffe
	s_or_b32 exec_lo, exec_lo, s11
	s_delay_alu instid0(SALU_CYCLE_1)
	s_mov_b32 s11, exec_lo
	v_cmpx_gt_u32_e64 s9, v54
	s_cbranch_execnz .LBB606_663
.LBB606_614:                            ;   in Loop: Header=BB606_602 Depth=2
	s_wait_alu 0xfffe
	s_or_b32 exec_lo, exec_lo, s11
	s_delay_alu instid0(SALU_CYCLE_1)
	s_mov_b32 s11, exec_lo
	v_cmpx_gt_u32_e64 s9, v55
	s_cbranch_execnz .LBB606_664
.LBB606_615:                            ;   in Loop: Header=BB606_602 Depth=2
	s_wait_alu 0xfffe
	s_or_b32 exec_lo, exec_lo, s11
	s_delay_alu instid0(SALU_CYCLE_1)
	s_mov_b32 s11, exec_lo
	v_cmpx_gt_u32_e64 s9, v56
	s_cbranch_execnz .LBB606_665
.LBB606_616:                            ;   in Loop: Header=BB606_602 Depth=2
	s_wait_alu 0xfffe
	s_or_b32 exec_lo, exec_lo, s11
	s_delay_alu instid0(SALU_CYCLE_1)
	s_mov_b32 s11, exec_lo
	v_cmpx_gt_u32_e64 s9, v57
	s_cbranch_execnz .LBB606_666
.LBB606_617:                            ;   in Loop: Header=BB606_602 Depth=2
	s_wait_alu 0xfffe
	s_or_b32 exec_lo, exec_lo, s11
	s_delay_alu instid0(SALU_CYCLE_1)
	s_mov_b32 s11, exec_lo
	v_cmpx_gt_u32_e64 s9, v58
	s_cbranch_execnz .LBB606_667
.LBB606_618:                            ;   in Loop: Header=BB606_602 Depth=2
	s_wait_alu 0xfffe
	s_or_b32 exec_lo, exec_lo, s11
	s_delay_alu instid0(SALU_CYCLE_1)
	s_mov_b32 s11, exec_lo
	v_cmpx_gt_u32_e64 s9, v59
	s_cbranch_execnz .LBB606_668
.LBB606_619:                            ;   in Loop: Header=BB606_602 Depth=2
	s_wait_alu 0xfffe
	s_or_b32 exec_lo, exec_lo, s11
	s_delay_alu instid0(SALU_CYCLE_1)
	s_mov_b32 s11, exec_lo
	v_cmpx_gt_u32_e64 s9, v60
	s_cbranch_execnz .LBB606_669
.LBB606_620:                            ;   in Loop: Header=BB606_602 Depth=2
	s_wait_alu 0xfffe
	s_or_b32 exec_lo, exec_lo, s11
	s_delay_alu instid0(SALU_CYCLE_1)
	s_mov_b32 s11, exec_lo
	v_cmpx_gt_u32_e64 s9, v61
	s_cbranch_execz .LBB606_622
.LBB606_621:                            ;   in Loop: Header=BB606_602 Depth=2
	global_load_b32 v2, v108, s[0:1] offset:15360
.LBB606_622:                            ;   in Loop: Header=BB606_602 Depth=2
	s_wait_alu 0xfffe
	s_or_b32 exec_lo, exec_lo, s11
	s_wait_loadcnt 0x0
	v_dual_mov_b32 v19, v18 :: v_dual_mov_b32 v20, v17
	v_dual_mov_b32 v21, v16 :: v_dual_mov_b32 v22, v15
	;; [unrolled: 1-line block ×8, first 2 shown]
	s_mov_b32 s0, s9
.LBB606_623:                            ;   in Loop: Header=BB606_602 Depth=2
	s_wait_loadcnt 0x0
	s_delay_alu instid0(VALU_DEP_1) | instskip(NEXT) | instid1(VALU_DEP_2)
	v_dual_mov_b32 v2, v34 :: v_dual_mov_b32 v5, v32
	v_dual_mov_b32 v4, v33 :: v_dual_mov_b32 v7, v30
	;; [unrolled: 1-line block ×7, first 2 shown]
	v_mov_b32_e32 v16, v21
	v_mov_b32_e32 v18, v19
	s_mov_b32 s1, exec_lo
	s_wait_alu 0xfffe
	v_cmpx_gt_u32_e64 s0, v1
	s_cbranch_execnz .LBB606_639
; %bb.624:                              ;   in Loop: Header=BB606_602 Depth=2
	s_or_b32 exec_lo, exec_lo, s1
	s_delay_alu instid0(SALU_CYCLE_1)
	s_mov_b32 s1, exec_lo
	v_cmpx_gt_u32_e64 s0, v45
	s_cbranch_execnz .LBB606_640
.LBB606_625:                            ;   in Loop: Header=BB606_602 Depth=2
	s_wait_alu 0xfffe
	s_or_b32 exec_lo, exec_lo, s1
	s_delay_alu instid0(SALU_CYCLE_1)
	s_mov_b32 s1, exec_lo
	v_cmpx_gt_u32_e64 s0, v46
	s_cbranch_execnz .LBB606_641
.LBB606_626:                            ;   in Loop: Header=BB606_602 Depth=2
	s_wait_alu 0xfffe
	s_or_b32 exec_lo, exec_lo, s1
	s_delay_alu instid0(SALU_CYCLE_1)
	s_mov_b32 s1, exec_lo
	v_cmpx_gt_u32_e64 s0, v47
	s_cbranch_execnz .LBB606_642
.LBB606_627:                            ;   in Loop: Header=BB606_602 Depth=2
	s_wait_alu 0xfffe
	s_or_b32 exec_lo, exec_lo, s1
	s_delay_alu instid0(SALU_CYCLE_1)
	s_mov_b32 s1, exec_lo
	v_cmpx_gt_u32_e64 s0, v50
	s_cbranch_execnz .LBB606_643
.LBB606_628:                            ;   in Loop: Header=BB606_602 Depth=2
	s_wait_alu 0xfffe
	s_or_b32 exec_lo, exec_lo, s1
	s_delay_alu instid0(SALU_CYCLE_1)
	s_mov_b32 s1, exec_lo
	v_cmpx_gt_u32_e64 s0, v51
	s_cbranch_execnz .LBB606_644
.LBB606_629:                            ;   in Loop: Header=BB606_602 Depth=2
	s_wait_alu 0xfffe
	s_or_b32 exec_lo, exec_lo, s1
	s_delay_alu instid0(SALU_CYCLE_1)
	s_mov_b32 s1, exec_lo
	v_cmpx_gt_u32_e64 s0, v52
	s_cbranch_execnz .LBB606_645
.LBB606_630:                            ;   in Loop: Header=BB606_602 Depth=2
	s_wait_alu 0xfffe
	s_or_b32 exec_lo, exec_lo, s1
	s_delay_alu instid0(SALU_CYCLE_1)
	s_mov_b32 s1, exec_lo
	v_cmpx_gt_u32_e64 s0, v53
	s_cbranch_execnz .LBB606_646
.LBB606_631:                            ;   in Loop: Header=BB606_602 Depth=2
	s_wait_alu 0xfffe
	s_or_b32 exec_lo, exec_lo, s1
	s_delay_alu instid0(SALU_CYCLE_1)
	s_mov_b32 s1, exec_lo
	v_cmpx_gt_u32_e64 s0, v54
	s_cbranch_execnz .LBB606_647
.LBB606_632:                            ;   in Loop: Header=BB606_602 Depth=2
	s_wait_alu 0xfffe
	s_or_b32 exec_lo, exec_lo, s1
	s_delay_alu instid0(SALU_CYCLE_1)
	s_mov_b32 s1, exec_lo
	v_cmpx_gt_u32_e64 s0, v55
	s_cbranch_execnz .LBB606_648
.LBB606_633:                            ;   in Loop: Header=BB606_602 Depth=2
	s_wait_alu 0xfffe
	s_or_b32 exec_lo, exec_lo, s1
	s_delay_alu instid0(SALU_CYCLE_1)
	s_mov_b32 s1, exec_lo
	v_cmpx_gt_u32_e64 s0, v56
	s_cbranch_execnz .LBB606_649
.LBB606_634:                            ;   in Loop: Header=BB606_602 Depth=2
	s_wait_alu 0xfffe
	s_or_b32 exec_lo, exec_lo, s1
	s_delay_alu instid0(SALU_CYCLE_1)
	s_mov_b32 s1, exec_lo
	v_cmpx_gt_u32_e64 s0, v57
	s_cbranch_execnz .LBB606_650
.LBB606_635:                            ;   in Loop: Header=BB606_602 Depth=2
	s_wait_alu 0xfffe
	s_or_b32 exec_lo, exec_lo, s1
	s_delay_alu instid0(SALU_CYCLE_1)
	s_mov_b32 s1, exec_lo
	v_cmpx_gt_u32_e64 s0, v58
	s_cbranch_execnz .LBB606_651
.LBB606_636:                            ;   in Loop: Header=BB606_602 Depth=2
	s_wait_alu 0xfffe
	s_or_b32 exec_lo, exec_lo, s1
	s_delay_alu instid0(SALU_CYCLE_1)
	s_mov_b32 s1, exec_lo
	v_cmpx_gt_u32_e64 s0, v59
	s_cbranch_execnz .LBB606_652
.LBB606_637:                            ;   in Loop: Header=BB606_602 Depth=2
	s_wait_alu 0xfffe
	s_or_b32 exec_lo, exec_lo, s1
	s_delay_alu instid0(SALU_CYCLE_1)
	s_mov_b32 s1, exec_lo
	v_cmpx_gt_u32_e64 s0, v60
	s_cbranch_execnz .LBB606_653
.LBB606_638:                            ;   in Loop: Header=BB606_602 Depth=2
	s_wait_alu 0xfffe
	s_or_b32 exec_lo, exec_lo, s1
	v_cmp_gt_u32_e32 vcc_lo, s0, v61
	s_and_saveexec_b32 s0, vcc_lo
	s_cbranch_execz .LBB606_601
	s_branch .LBB606_654
.LBB606_639:                            ;   in Loop: Header=BB606_602 Depth=2
	v_xor_b32_e32 v19, 0x80000000, v18
	s_delay_alu instid0(VALU_DEP_1) | instskip(NEXT) | instid1(VALU_DEP_1)
	v_lshrrev_b32_e32 v19, s49, v19
	v_and_b32_e32 v19, s48, v19
	s_delay_alu instid0(VALU_DEP_1) | instskip(SKIP_2) | instid1(SALU_CYCLE_1)
	v_lshl_or_b32 v19, v19, 4, v62
	ds_add_u32 v19, v84
	s_or_b32 exec_lo, exec_lo, s1
	s_mov_b32 s1, exec_lo
	v_cmpx_gt_u32_e64 s0, v45
	s_cbranch_execz .LBB606_625
.LBB606_640:                            ;   in Loop: Header=BB606_602 Depth=2
	v_xor_b32_e32 v19, 0x80000000, v17
	s_delay_alu instid0(VALU_DEP_1) | instskip(NEXT) | instid1(VALU_DEP_1)
	v_lshrrev_b32_e32 v19, s49, v19
	v_and_b32_e32 v19, s48, v19
	s_delay_alu instid0(VALU_DEP_1) | instskip(SKIP_3) | instid1(SALU_CYCLE_1)
	v_lshl_or_b32 v19, v19, 4, v62
	ds_add_u32 v19, v84
	s_wait_alu 0xfffe
	s_or_b32 exec_lo, exec_lo, s1
	s_mov_b32 s1, exec_lo
	v_cmpx_gt_u32_e64 s0, v46
	s_cbranch_execz .LBB606_626
.LBB606_641:                            ;   in Loop: Header=BB606_602 Depth=2
	v_xor_b32_e32 v19, 0x80000000, v16
	s_delay_alu instid0(VALU_DEP_1) | instskip(NEXT) | instid1(VALU_DEP_1)
	v_lshrrev_b32_e32 v19, s49, v19
	v_and_b32_e32 v19, s48, v19
	s_delay_alu instid0(VALU_DEP_1) | instskip(SKIP_3) | instid1(SALU_CYCLE_1)
	v_lshl_or_b32 v19, v19, 4, v62
	ds_add_u32 v19, v84
	s_wait_alu 0xfffe
	s_or_b32 exec_lo, exec_lo, s1
	s_mov_b32 s1, exec_lo
	v_cmpx_gt_u32_e64 s0, v47
	s_cbranch_execz .LBB606_627
.LBB606_642:                            ;   in Loop: Header=BB606_602 Depth=2
	v_xor_b32_e32 v19, 0x80000000, v15
	s_delay_alu instid0(VALU_DEP_1) | instskip(NEXT) | instid1(VALU_DEP_1)
	v_lshrrev_b32_e32 v19, s49, v19
	v_and_b32_e32 v19, s48, v19
	s_delay_alu instid0(VALU_DEP_1) | instskip(SKIP_3) | instid1(SALU_CYCLE_1)
	v_lshl_or_b32 v19, v19, 4, v62
	ds_add_u32 v19, v84
	s_wait_alu 0xfffe
	s_or_b32 exec_lo, exec_lo, s1
	s_mov_b32 s1, exec_lo
	v_cmpx_gt_u32_e64 s0, v50
	s_cbranch_execz .LBB606_628
.LBB606_643:                            ;   in Loop: Header=BB606_602 Depth=2
	v_xor_b32_e32 v19, 0x80000000, v14
	s_delay_alu instid0(VALU_DEP_1) | instskip(NEXT) | instid1(VALU_DEP_1)
	v_lshrrev_b32_e32 v19, s49, v19
	v_and_b32_e32 v19, s48, v19
	s_delay_alu instid0(VALU_DEP_1) | instskip(SKIP_3) | instid1(SALU_CYCLE_1)
	v_lshl_or_b32 v19, v19, 4, v62
	ds_add_u32 v19, v84
	s_wait_alu 0xfffe
	s_or_b32 exec_lo, exec_lo, s1
	s_mov_b32 s1, exec_lo
	v_cmpx_gt_u32_e64 s0, v51
	s_cbranch_execz .LBB606_629
.LBB606_644:                            ;   in Loop: Header=BB606_602 Depth=2
	v_xor_b32_e32 v19, 0x80000000, v13
	s_delay_alu instid0(VALU_DEP_1) | instskip(NEXT) | instid1(VALU_DEP_1)
	v_lshrrev_b32_e32 v19, s49, v19
	v_and_b32_e32 v19, s48, v19
	s_delay_alu instid0(VALU_DEP_1) | instskip(SKIP_3) | instid1(SALU_CYCLE_1)
	v_lshl_or_b32 v19, v19, 4, v62
	ds_add_u32 v19, v84
	s_wait_alu 0xfffe
	s_or_b32 exec_lo, exec_lo, s1
	s_mov_b32 s1, exec_lo
	v_cmpx_gt_u32_e64 s0, v52
	s_cbranch_execz .LBB606_630
.LBB606_645:                            ;   in Loop: Header=BB606_602 Depth=2
	v_xor_b32_e32 v19, 0x80000000, v12
	s_delay_alu instid0(VALU_DEP_1) | instskip(NEXT) | instid1(VALU_DEP_1)
	v_lshrrev_b32_e32 v19, s49, v19
	v_and_b32_e32 v19, s48, v19
	s_delay_alu instid0(VALU_DEP_1) | instskip(SKIP_3) | instid1(SALU_CYCLE_1)
	v_lshl_or_b32 v19, v19, 4, v62
	ds_add_u32 v19, v84
	s_wait_alu 0xfffe
	s_or_b32 exec_lo, exec_lo, s1
	s_mov_b32 s1, exec_lo
	v_cmpx_gt_u32_e64 s0, v53
	s_cbranch_execz .LBB606_631
.LBB606_646:                            ;   in Loop: Header=BB606_602 Depth=2
	v_xor_b32_e32 v19, 0x80000000, v11
	s_delay_alu instid0(VALU_DEP_1) | instskip(NEXT) | instid1(VALU_DEP_1)
	v_lshrrev_b32_e32 v19, s49, v19
	v_and_b32_e32 v19, s48, v19
	s_delay_alu instid0(VALU_DEP_1) | instskip(SKIP_3) | instid1(SALU_CYCLE_1)
	v_lshl_or_b32 v19, v19, 4, v62
	ds_add_u32 v19, v84
	s_wait_alu 0xfffe
	s_or_b32 exec_lo, exec_lo, s1
	s_mov_b32 s1, exec_lo
	v_cmpx_gt_u32_e64 s0, v54
	s_cbranch_execz .LBB606_632
.LBB606_647:                            ;   in Loop: Header=BB606_602 Depth=2
	v_xor_b32_e32 v19, 0x80000000, v10
	s_delay_alu instid0(VALU_DEP_1) | instskip(NEXT) | instid1(VALU_DEP_1)
	v_lshrrev_b32_e32 v19, s49, v19
	v_and_b32_e32 v19, s48, v19
	s_delay_alu instid0(VALU_DEP_1) | instskip(SKIP_3) | instid1(SALU_CYCLE_1)
	v_lshl_or_b32 v19, v19, 4, v62
	ds_add_u32 v19, v84
	s_wait_alu 0xfffe
	s_or_b32 exec_lo, exec_lo, s1
	s_mov_b32 s1, exec_lo
	v_cmpx_gt_u32_e64 s0, v55
	s_cbranch_execz .LBB606_633
.LBB606_648:                            ;   in Loop: Header=BB606_602 Depth=2
	v_xor_b32_e32 v19, 0x80000000, v9
	s_delay_alu instid0(VALU_DEP_1) | instskip(NEXT) | instid1(VALU_DEP_1)
	v_lshrrev_b32_e32 v19, s49, v19
	v_and_b32_e32 v19, s48, v19
	s_delay_alu instid0(VALU_DEP_1) | instskip(SKIP_3) | instid1(SALU_CYCLE_1)
	v_lshl_or_b32 v19, v19, 4, v62
	ds_add_u32 v19, v84
	s_wait_alu 0xfffe
	s_or_b32 exec_lo, exec_lo, s1
	s_mov_b32 s1, exec_lo
	v_cmpx_gt_u32_e64 s0, v56
	s_cbranch_execz .LBB606_634
.LBB606_649:                            ;   in Loop: Header=BB606_602 Depth=2
	v_xor_b32_e32 v19, 0x80000000, v8
	s_delay_alu instid0(VALU_DEP_1) | instskip(NEXT) | instid1(VALU_DEP_1)
	v_lshrrev_b32_e32 v19, s49, v19
	v_and_b32_e32 v19, s48, v19
	s_delay_alu instid0(VALU_DEP_1) | instskip(SKIP_3) | instid1(SALU_CYCLE_1)
	v_lshl_or_b32 v19, v19, 4, v62
	ds_add_u32 v19, v84
	s_wait_alu 0xfffe
	s_or_b32 exec_lo, exec_lo, s1
	s_mov_b32 s1, exec_lo
	v_cmpx_gt_u32_e64 s0, v57
	s_cbranch_execz .LBB606_635
.LBB606_650:                            ;   in Loop: Header=BB606_602 Depth=2
	v_xor_b32_e32 v19, 0x80000000, v7
	s_delay_alu instid0(VALU_DEP_1) | instskip(NEXT) | instid1(VALU_DEP_1)
	v_lshrrev_b32_e32 v19, s49, v19
	v_and_b32_e32 v19, s48, v19
	s_delay_alu instid0(VALU_DEP_1) | instskip(SKIP_3) | instid1(SALU_CYCLE_1)
	v_lshl_or_b32 v19, v19, 4, v62
	ds_add_u32 v19, v84
	s_wait_alu 0xfffe
	s_or_b32 exec_lo, exec_lo, s1
	s_mov_b32 s1, exec_lo
	v_cmpx_gt_u32_e64 s0, v58
	s_cbranch_execz .LBB606_636
.LBB606_651:                            ;   in Loop: Header=BB606_602 Depth=2
	v_xor_b32_e32 v19, 0x80000000, v6
	s_delay_alu instid0(VALU_DEP_1) | instskip(NEXT) | instid1(VALU_DEP_1)
	v_lshrrev_b32_e32 v19, s49, v19
	v_and_b32_e32 v19, s48, v19
	s_delay_alu instid0(VALU_DEP_1) | instskip(SKIP_3) | instid1(SALU_CYCLE_1)
	v_lshl_or_b32 v19, v19, 4, v62
	ds_add_u32 v19, v84
	s_wait_alu 0xfffe
	s_or_b32 exec_lo, exec_lo, s1
	s_mov_b32 s1, exec_lo
	v_cmpx_gt_u32_e64 s0, v59
	s_cbranch_execz .LBB606_637
.LBB606_652:                            ;   in Loop: Header=BB606_602 Depth=2
	v_xor_b32_e32 v19, 0x80000000, v5
	s_delay_alu instid0(VALU_DEP_1) | instskip(NEXT) | instid1(VALU_DEP_1)
	v_lshrrev_b32_e32 v19, s49, v19
	v_and_b32_e32 v19, s48, v19
	s_delay_alu instid0(VALU_DEP_1) | instskip(SKIP_3) | instid1(SALU_CYCLE_1)
	v_lshl_or_b32 v19, v19, 4, v62
	ds_add_u32 v19, v84
	s_wait_alu 0xfffe
	s_or_b32 exec_lo, exec_lo, s1
	s_mov_b32 s1, exec_lo
	v_cmpx_gt_u32_e64 s0, v60
	s_cbranch_execz .LBB606_638
.LBB606_653:                            ;   in Loop: Header=BB606_602 Depth=2
	v_xor_b32_e32 v19, 0x80000000, v4
	s_delay_alu instid0(VALU_DEP_1) | instskip(NEXT) | instid1(VALU_DEP_1)
	v_lshrrev_b32_e32 v19, s49, v19
	v_and_b32_e32 v19, s48, v19
	s_delay_alu instid0(VALU_DEP_1)
	v_lshl_or_b32 v19, v19, 4, v62
	ds_add_u32 v19, v84
	s_wait_alu 0xfffe
	s_or_b32 exec_lo, exec_lo, s1
	v_cmp_gt_u32_e32 vcc_lo, s0, v61
	s_and_saveexec_b32 s0, vcc_lo
	s_cbranch_execz .LBB606_601
.LBB606_654:                            ;   in Loop: Header=BB606_602 Depth=2
	v_xor_b32_e32 v19, 0x80000000, v2
	s_delay_alu instid0(VALU_DEP_1) | instskip(NEXT) | instid1(VALU_DEP_1)
	v_lshrrev_b32_e32 v19, s49, v19
	v_and_b32_e32 v19, s48, v19
	s_delay_alu instid0(VALU_DEP_1)
	v_lshl_or_b32 v19, v19, 4, v62
	ds_add_u32 v19, v84
	s_branch .LBB606_601
.LBB606_655:                            ;   in Loop: Header=BB606_602 Depth=2
	global_load_b32 v18, v108, s[0:1]
	s_or_b32 exec_lo, exec_lo, s11
	s_delay_alu instid0(SALU_CYCLE_1)
	s_mov_b32 s11, exec_lo
	v_cmpx_gt_u32_e64 s9, v45
	s_cbranch_execz .LBB606_607
.LBB606_656:                            ;   in Loop: Header=BB606_602 Depth=2
	global_load_b32 v17, v108, s[0:1] offset:1024
	s_wait_alu 0xfffe
	s_or_b32 exec_lo, exec_lo, s11
	s_delay_alu instid0(SALU_CYCLE_1)
	s_mov_b32 s11, exec_lo
	v_cmpx_gt_u32_e64 s9, v46
	s_cbranch_execz .LBB606_608
.LBB606_657:                            ;   in Loop: Header=BB606_602 Depth=2
	global_load_b32 v16, v108, s[0:1] offset:2048
	s_wait_alu 0xfffe
	s_or_b32 exec_lo, exec_lo, s11
	s_delay_alu instid0(SALU_CYCLE_1)
	s_mov_b32 s11, exec_lo
	v_cmpx_gt_u32_e64 s9, v47
	s_cbranch_execz .LBB606_609
.LBB606_658:                            ;   in Loop: Header=BB606_602 Depth=2
	global_load_b32 v15, v108, s[0:1] offset:3072
	s_wait_alu 0xfffe
	s_or_b32 exec_lo, exec_lo, s11
	s_delay_alu instid0(SALU_CYCLE_1)
	s_mov_b32 s11, exec_lo
	v_cmpx_gt_u32_e64 s9, v50
	s_cbranch_execz .LBB606_610
.LBB606_659:                            ;   in Loop: Header=BB606_602 Depth=2
	global_load_b32 v14, v108, s[0:1] offset:4096
	s_wait_alu 0xfffe
	s_or_b32 exec_lo, exec_lo, s11
	s_delay_alu instid0(SALU_CYCLE_1)
	s_mov_b32 s11, exec_lo
	v_cmpx_gt_u32_e64 s9, v51
	s_cbranch_execz .LBB606_611
.LBB606_660:                            ;   in Loop: Header=BB606_602 Depth=2
	global_load_b32 v13, v108, s[0:1] offset:5120
	s_wait_alu 0xfffe
	s_or_b32 exec_lo, exec_lo, s11
	s_delay_alu instid0(SALU_CYCLE_1)
	s_mov_b32 s11, exec_lo
	v_cmpx_gt_u32_e64 s9, v52
	s_cbranch_execz .LBB606_612
.LBB606_661:                            ;   in Loop: Header=BB606_602 Depth=2
	global_load_b32 v12, v108, s[0:1] offset:6144
	s_wait_alu 0xfffe
	s_or_b32 exec_lo, exec_lo, s11
	s_delay_alu instid0(SALU_CYCLE_1)
	s_mov_b32 s11, exec_lo
	v_cmpx_gt_u32_e64 s9, v53
	s_cbranch_execz .LBB606_613
.LBB606_662:                            ;   in Loop: Header=BB606_602 Depth=2
	global_load_b32 v11, v108, s[0:1] offset:7168
	s_wait_alu 0xfffe
	s_or_b32 exec_lo, exec_lo, s11
	s_delay_alu instid0(SALU_CYCLE_1)
	s_mov_b32 s11, exec_lo
	v_cmpx_gt_u32_e64 s9, v54
	s_cbranch_execz .LBB606_614
.LBB606_663:                            ;   in Loop: Header=BB606_602 Depth=2
	global_load_b32 v10, v108, s[0:1] offset:8192
	s_wait_alu 0xfffe
	s_or_b32 exec_lo, exec_lo, s11
	s_delay_alu instid0(SALU_CYCLE_1)
	s_mov_b32 s11, exec_lo
	v_cmpx_gt_u32_e64 s9, v55
	s_cbranch_execz .LBB606_615
.LBB606_664:                            ;   in Loop: Header=BB606_602 Depth=2
	global_load_b32 v9, v108, s[0:1] offset:9216
	s_wait_alu 0xfffe
	s_or_b32 exec_lo, exec_lo, s11
	s_delay_alu instid0(SALU_CYCLE_1)
	s_mov_b32 s11, exec_lo
	v_cmpx_gt_u32_e64 s9, v56
	s_cbranch_execz .LBB606_616
.LBB606_665:                            ;   in Loop: Header=BB606_602 Depth=2
	global_load_b32 v8, v108, s[0:1] offset:10240
	s_wait_alu 0xfffe
	s_or_b32 exec_lo, exec_lo, s11
	s_delay_alu instid0(SALU_CYCLE_1)
	s_mov_b32 s11, exec_lo
	v_cmpx_gt_u32_e64 s9, v57
	s_cbranch_execz .LBB606_617
.LBB606_666:                            ;   in Loop: Header=BB606_602 Depth=2
	global_load_b32 v7, v108, s[0:1] offset:11264
	s_wait_alu 0xfffe
	s_or_b32 exec_lo, exec_lo, s11
	s_delay_alu instid0(SALU_CYCLE_1)
	s_mov_b32 s11, exec_lo
	v_cmpx_gt_u32_e64 s9, v58
	s_cbranch_execz .LBB606_618
.LBB606_667:                            ;   in Loop: Header=BB606_602 Depth=2
	global_load_b32 v6, v108, s[0:1] offset:12288
	s_wait_alu 0xfffe
	s_or_b32 exec_lo, exec_lo, s11
	s_delay_alu instid0(SALU_CYCLE_1)
	s_mov_b32 s11, exec_lo
	v_cmpx_gt_u32_e64 s9, v59
	s_cbranch_execz .LBB606_619
.LBB606_668:                            ;   in Loop: Header=BB606_602 Depth=2
	global_load_b32 v5, v108, s[0:1] offset:13312
	s_wait_alu 0xfffe
	s_or_b32 exec_lo, exec_lo, s11
	s_delay_alu instid0(SALU_CYCLE_1)
	s_mov_b32 s11, exec_lo
	v_cmpx_gt_u32_e64 s9, v60
	s_cbranch_execz .LBB606_620
.LBB606_669:                            ;   in Loop: Header=BB606_602 Depth=2
	global_load_b32 v4, v108, s[0:1] offset:14336
	s_wait_alu 0xfffe
	s_or_b32 exec_lo, exec_lo, s11
	s_delay_alu instid0(SALU_CYCLE_1)
	s_mov_b32 s11, exec_lo
	v_cmpx_gt_u32_e64 s9, v61
	s_cbranch_execnz .LBB606_621
	s_branch .LBB606_622
.LBB606_670:                            ;   in Loop: Header=BB606_12 Depth=1
	v_mov_b32_e32 v2, 0
	s_wait_dscnt 0x0
	s_barrier_signal -1
	s_barrier_wait -1
	global_inv scope:SCOPE_SE
	s_and_saveexec_b32 s0, s2
	s_cbranch_execz .LBB606_672
; %bb.671:                              ;   in Loop: Header=BB606_12 Depth=1
	ds_load_2addr_b64 v[4:7], v64 offset1:1
	s_wait_dscnt 0x0
	v_add_nc_u32_e32 v2, v5, v4
	s_delay_alu instid0(VALU_DEP_1)
	v_add3_u32 v2, v2, v6, v7
.LBB606_672:                            ;   in Loop: Header=BB606_12 Depth=1
	s_wait_alu 0xfffe
	s_or_b32 exec_lo, exec_lo, s0
	s_delay_alu instid0(VALU_DEP_1)
	v_mov_b32_dpp v4, v2 row_shr:1 row_mask:0xf bank_mask:0xf
	v_cmp_eq_u32_e64 s0, 0, v85
	v_cmp_lt_u32_e64 s1, 1, v85
	v_cmp_lt_u32_e64 s9, 3, v85
	v_cmp_lt_u32_e64 s10, 7, v85
	v_cmp_eq_u32_e64 s11, 0, v87
	s_wait_alu 0xf1ff
	v_cndmask_b32_e64 v4, v4, 0, s0
	s_delay_alu instid0(VALU_DEP_1) | instskip(NEXT) | instid1(VALU_DEP_1)
	v_add_nc_u32_e32 v2, v4, v2
	v_mov_b32_dpp v4, v2 row_shr:2 row_mask:0xf bank_mask:0xf
	s_delay_alu instid0(VALU_DEP_1) | instskip(NEXT) | instid1(VALU_DEP_1)
	v_cndmask_b32_e64 v4, 0, v4, s1
	v_add_nc_u32_e32 v2, v2, v4
	s_delay_alu instid0(VALU_DEP_1) | instskip(NEXT) | instid1(VALU_DEP_1)
	v_mov_b32_dpp v4, v2 row_shr:4 row_mask:0xf bank_mask:0xf
	v_cndmask_b32_e64 v4, 0, v4, s9
	s_delay_alu instid0(VALU_DEP_1) | instskip(NEXT) | instid1(VALU_DEP_1)
	v_add_nc_u32_e32 v2, v2, v4
	v_mov_b32_dpp v4, v2 row_shr:8 row_mask:0xf bank_mask:0xf
	s_delay_alu instid0(VALU_DEP_1) | instskip(NEXT) | instid1(VALU_DEP_1)
	v_cndmask_b32_e64 v4, 0, v4, s10
	v_add_nc_u32_e32 v2, v2, v4
	ds_swizzle_b32 v4, v2 offset:swizzle(BROADCAST,32,15)
	s_wait_dscnt 0x0
	v_and_b32_e32 v4, v86, v4
	s_delay_alu instid0(VALU_DEP_1)
	v_add_nc_u32_e32 v2, v2, v4
	s_and_saveexec_b32 s12, s3
; %bb.673:                              ;   in Loop: Header=BB606_12 Depth=1
	ds_store_b32 v65, v2
; %bb.674:                              ;   in Loop: Header=BB606_12 Depth=1
	s_wait_alu 0xfffe
	s_or_b32 exec_lo, exec_lo, s12
	s_wait_loadcnt_dscnt 0x0
	s_barrier_signal -1
	s_barrier_wait -1
	global_inv scope:SCOPE_SE
	s_and_saveexec_b32 s12, s4
	s_cbranch_execz .LBB606_676
; %bb.675:                              ;   in Loop: Header=BB606_12 Depth=1
	ds_load_b32 v4, v66
	v_cmp_ne_u32_e32 vcc_lo, 0, v89
	s_wait_dscnt 0x0
	v_mov_b32_dpp v5, v4 row_shr:1 row_mask:0xf bank_mask:0xf
	s_wait_alu 0xfffd
	s_delay_alu instid0(VALU_DEP_1) | instskip(SKIP_1) | instid1(VALU_DEP_2)
	v_cndmask_b32_e32 v5, 0, v5, vcc_lo
	v_cmp_lt_u32_e32 vcc_lo, 1, v89
	v_add_nc_u32_e32 v4, v5, v4
	s_delay_alu instid0(VALU_DEP_1) | instskip(SKIP_1) | instid1(VALU_DEP_1)
	v_mov_b32_dpp v5, v4 row_shr:2 row_mask:0xf bank_mask:0xf
	s_wait_alu 0xfffd
	v_cndmask_b32_e32 v5, 0, v5, vcc_lo
	v_cmp_lt_u32_e32 vcc_lo, 3, v89
	s_delay_alu instid0(VALU_DEP_2) | instskip(NEXT) | instid1(VALU_DEP_1)
	v_add_nc_u32_e32 v4, v4, v5
	v_mov_b32_dpp v5, v4 row_shr:4 row_mask:0xf bank_mask:0xf
	s_wait_alu 0xfffd
	s_delay_alu instid0(VALU_DEP_1) | instskip(NEXT) | instid1(VALU_DEP_1)
	v_cndmask_b32_e32 v5, 0, v5, vcc_lo
	v_add_nc_u32_e32 v4, v4, v5
	ds_store_b32 v66, v4
.LBB606_676:                            ;   in Loop: Header=BB606_12 Depth=1
	s_wait_alu 0xfffe
	s_or_b32 exec_lo, exec_lo, s12
	v_mov_b32_e32 v4, 0
	s_wait_loadcnt_dscnt 0x0
	s_barrier_signal -1
	s_barrier_wait -1
	global_inv scope:SCOPE_SE
	s_and_saveexec_b32 s12, s5
; %bb.677:                              ;   in Loop: Header=BB606_12 Depth=1
	ds_load_b32 v4, v68
; %bb.678:                              ;   in Loop: Header=BB606_12 Depth=1
	s_wait_alu 0xfffe
	s_or_b32 exec_lo, exec_lo, s12
	v_cmp_gt_i32_e32 vcc_lo, 0, v90
	s_wait_loadcnt_dscnt 0x0
	s_barrier_signal -1
	s_barrier_wait -1
	global_inv scope:SCOPE_SE
	s_wait_alu 0xfffd
	v_dual_cndmask_b32 v5, v90, v81 :: v_dual_add_nc_u32 v2, v4, v2
	s_delay_alu instid0(VALU_DEP_1)
	v_lshlrev_b32_e32 v113, 2, v5
	ds_bpermute_b32 v2, v113, v2
	s_and_saveexec_b32 s12, s2
	s_cbranch_execz .LBB606_680
; %bb.679:                              ;   in Loop: Header=BB606_12 Depth=1
	s_wait_dscnt 0x0
	v_cndmask_b32_e64 v2, v2, v4, s8
	s_delay_alu instid0(VALU_DEP_1)
	v_add_nc_u32_e32 v2, s33, v2
	ds_store_b32 v44, v2
.LBB606_680:                            ;   in Loop: Header=BB606_12 Depth=1
	s_wait_alu 0xfffe
	s_or_b32 exec_lo, exec_lo, s12
	s_load_b64 s[12:13], s[34:35], 0x0
	v_add_co_u32 v114, vcc_lo, v79, v91
	s_wait_alu 0xfffd
	v_add_co_ci_u32_e64 v115, null, 0, v80, vcc_lo
	v_add_co_u32 v116, vcc_lo, v82, v107
	s_wait_alu 0xfffd
	v_add_co_ci_u32_e64 v117, null, 0, v83, vcc_lo
	s_mov_b32 s54, s53
                                        ; implicit-def: $vgpr6_vgpr7
                                        ; implicit-def: $vgpr8_vgpr9
                                        ; implicit-def: $vgpr10_vgpr11
                                        ; implicit-def: $vgpr12_vgpr13
                                        ; implicit-def: $vgpr14_vgpr15
                                        ; implicit-def: $vgpr16_vgpr17
                                        ; implicit-def: $vgpr18_vgpr19
                                        ; implicit-def: $vgpr20_vgpr21
                                        ; implicit-def: $vgpr22_vgpr23
                                        ; implicit-def: $vgpr24_vgpr25
                                        ; implicit-def: $vgpr26_vgpr27
                                        ; implicit-def: $vgpr28_vgpr29
                                        ; implicit-def: $vgpr30_vgpr31
                                        ; implicit-def: $vgpr32_vgpr33
                                        ; implicit-def: $vgpr34_vgpr35
                                        ; implicit-def: $vgpr119
                                        ; implicit-def: $vgpr120
                                        ; implicit-def: $vgpr121
                                        ; implicit-def: $vgpr122
                                        ; implicit-def: $vgpr123
                                        ; implicit-def: $vgpr124
                                        ; implicit-def: $vgpr125
                                        ; implicit-def: $vgpr126
                                        ; implicit-def: $vgpr127
                                        ; implicit-def: $vgpr128
                                        ; implicit-def: $vgpr129
                                        ; implicit-def: $vgpr130
                                        ; implicit-def: $vgpr131
                                        ; implicit-def: $vgpr132
                                        ; implicit-def: $vgpr133
                                        ; implicit-def: $vgpr134
	s_wait_kmcnt 0x0
	s_cmp_lt_u32 ttmp7, s13
	s_cselect_b32 s42, 14, 20
	s_cmp_lt_u32 ttmp9, s12
	s_wait_alu 0xfffe
	s_add_nc_u64 s[14:15], s[34:35], s[42:43]
	s_cselect_b32 s42, 12, 18
	s_load_u16 s14, s[14:15], 0x0
	s_add_nc_u64 s[12:13], s[34:35], s[42:43]
	s_mov_b32 s42, s33
	s_load_u16 s12, s[12:13], 0x0
	v_cmp_lt_u32_e64 s13, 1, v89
	s_wait_dscnt 0x0
	s_wait_kmcnt 0x0
	v_mad_u32_u24 v2, v69, s14, v0
	v_cmp_lt_u32_e64 s14, 3, v89
	s_delay_alu instid0(VALU_DEP_2) | instskip(SKIP_1) | instid1(VALU_DEP_2)
	v_mad_co_u64_u32 v[4:5], null, v2, s12, v[1:2]
	v_cmp_eq_u32_e64 s12, 0, v89
	v_lshrrev_b32_e32 v2, 3, v4
                                        ; implicit-def: $vgpr4_vgpr5
	s_delay_alu instid0(VALU_DEP_1)
	v_and_b32_e32 v118, 0x1ffffffc, v2
	s_branch .LBB606_682
.LBB606_681:                            ;   in Loop: Header=BB606_682 Depth=2
	s_wait_alu 0xfffe
	s_or_b32 exec_lo, exec_lo, s15
	s_addk_co_i32 s54, 0xf000
	s_cmp_lt_u32 s55, s51
	s_mov_b32 s42, s55
	s_cbranch_scc0 .LBB606_890
.LBB606_682:                            ;   Parent Loop BB606_12 Depth=1
                                        ; =>  This Inner Loop Header: Depth=2
	s_wait_alu 0xfffe
	s_add_co_i32 s55, s42, 0x1000
	s_wait_alu 0xfffe
	s_cmp_gt_u32 s55, s51
	s_cbranch_scc1 .LBB606_684
; %bb.683:                              ;   in Loop: Header=BB606_682 Depth=2
	s_lshl_b64 s[16:17], s[42:43], 2
	s_mov_b32 s15, -1
	s_wait_alu 0xfffe
	v_add_co_u32 v36, vcc_lo, v116, s16
	s_wait_alu 0xfffd
	v_add_co_ci_u32_e64 v37, null, s17, v117, vcc_lo
	s_clause 0xe
	global_load_b32 v136, v[36:37], off
	global_load_b32 v137, v[36:37], off offset:128
	global_load_b32 v144, v[36:37], off offset:256
	;; [unrolled: 1-line block ×14, first 2 shown]
	s_movk_i32 s16, 0x1000
	s_cbranch_execz .LBB606_685
	s_branch .LBB606_716
.LBB606_684:                            ;   in Loop: Header=BB606_682 Depth=2
	s_mov_b32 s15, 0
                                        ; implicit-def: $vgpr136
                                        ; implicit-def: $vgpr137
                                        ; implicit-def: $vgpr144
                                        ; implicit-def: $vgpr148
                                        ; implicit-def: $vgpr152
                                        ; implicit-def: $vgpr156
                                        ; implicit-def: $vgpr160
                                        ; implicit-def: $vgpr164
                                        ; implicit-def: $vgpr167
                                        ; implicit-def: $vgpr43
                                        ; implicit-def: $vgpr42
                                        ; implicit-def: $vgpr41
                                        ; implicit-def: $vgpr40
                                        ; implicit-def: $vgpr39
                                        ; implicit-def: $vgpr38
	s_movk_i32 s16, 0x1000
.LBB606_685:                            ;   in Loop: Header=BB606_682 Depth=2
	s_lshl_b64 s[16:17], s[42:43], 2
	s_wait_loadcnt 0xd
	v_bfrev_b32_e32 v137, -2
	s_wait_alu 0xfffe
	v_add_co_u32 v36, vcc_lo, v116, s16
	s_wait_alu 0xfffd
	v_add_co_ci_u32_e64 v37, null, s17, v117, vcc_lo
	v_bfrev_b32_e32 v136, -2
	s_mov_b32 s15, exec_lo
	v_cmpx_gt_u32_e64 s54, v88
	s_cbranch_execz .LBB606_687
; %bb.686:                              ;   in Loop: Header=BB606_682 Depth=2
	global_load_b32 v136, v[36:37], off
.LBB606_687:                            ;   in Loop: Header=BB606_682 Depth=2
	s_wait_alu 0xfffe
	s_or_b32 exec_lo, exec_lo, s15
	s_delay_alu instid0(SALU_CYCLE_1)
	s_mov_b32 s15, exec_lo
	v_cmpx_gt_u32_e64 s54, v92
	s_cbranch_execz .LBB606_689
; %bb.688:                              ;   in Loop: Header=BB606_682 Depth=2
	global_load_b32 v137, v[36:37], off offset:128
.LBB606_689:                            ;   in Loop: Header=BB606_682 Depth=2
	s_wait_alu 0xfffe
	s_or_b32 exec_lo, exec_lo, s15
	s_wait_loadcnt 0xb
	v_bfrev_b32_e32 v148, -2
	v_bfrev_b32_e32 v144, -2
	s_mov_b32 s15, exec_lo
	v_cmpx_gt_u32_e64 s54, v93
	s_cbranch_execz .LBB606_691
; %bb.690:                              ;   in Loop: Header=BB606_682 Depth=2
	global_load_b32 v144, v[36:37], off offset:256
.LBB606_691:                            ;   in Loop: Header=BB606_682 Depth=2
	s_wait_alu 0xfffe
	s_or_b32 exec_lo, exec_lo, s15
	s_delay_alu instid0(SALU_CYCLE_1)
	s_mov_b32 s15, exec_lo
	v_cmpx_gt_u32_e64 s54, v94
	s_cbranch_execz .LBB606_693
; %bb.692:                              ;   in Loop: Header=BB606_682 Depth=2
	global_load_b32 v148, v[36:37], off offset:384
.LBB606_693:                            ;   in Loop: Header=BB606_682 Depth=2
	s_wait_alu 0xfffe
	s_or_b32 exec_lo, exec_lo, s15
	s_wait_loadcnt 0x9
	v_bfrev_b32_e32 v156, -2
	v_bfrev_b32_e32 v152, -2
	s_mov_b32 s15, exec_lo
	v_cmpx_gt_u32_e64 s54, v95
	s_cbranch_execz .LBB606_695
; %bb.694:                              ;   in Loop: Header=BB606_682 Depth=2
	global_load_b32 v152, v[36:37], off offset:512
.LBB606_695:                            ;   in Loop: Header=BB606_682 Depth=2
	;; [unrolled: 20-line block ×6, first 2 shown]
	s_wait_alu 0xfffe
	s_or_b32 exec_lo, exec_lo, s15
	s_delay_alu instid0(SALU_CYCLE_1)
	s_mov_b32 s15, exec_lo
	v_cmpx_gt_u32_e64 s54, v104
	s_cbranch_execz .LBB606_713
; %bb.712:                              ;   in Loop: Header=BB606_682 Depth=2
	global_load_b32 v39, v[36:37], off offset:1664
.LBB606_713:                            ;   in Loop: Header=BB606_682 Depth=2
	s_wait_alu 0xfffe
	s_or_b32 exec_lo, exec_lo, s15
	s_wait_loadcnt 0x0
	v_bfrev_b32_e32 v38, -2
	s_mov_b32 s15, exec_lo
	v_cmpx_gt_u32_e64 s54, v105
	s_cbranch_execz .LBB606_715
; %bb.714:                              ;   in Loop: Header=BB606_682 Depth=2
	global_load_b32 v38, v[36:37], off offset:1792
.LBB606_715:                            ;   in Loop: Header=BB606_682 Depth=2
	s_wait_alu 0xfffe
	s_or_b32 exec_lo, exec_lo, s15
	v_cmp_gt_u32_e64 s15, s54, v106
	s_sub_co_i32 s16, s51, s42
.LBB606_716:                            ;   in Loop: Header=BB606_682 Depth=2
	v_dual_mov_b32 v2, -1 :: v_dual_mov_b32 v135, s54
	s_and_saveexec_b32 s17, s15
	s_cbranch_execz .LBB606_718
; %bb.717:                              ;   in Loop: Header=BB606_682 Depth=2
	s_lshl_b64 s[18:19], s[42:43], 2
	s_wait_alu 0xfffe
	v_mov_b32_e32 v135, s16
	v_add_co_u32 v36, vcc_lo, v116, s18
	s_wait_alu 0xfffd
	v_add_co_ci_u32_e64 v37, null, s19, v117, vcc_lo
	global_load_b32 v2, v[36:37], off offset:1920
	s_wait_loadcnt 0x0
	v_xor_b32_e32 v2, 0x80000000, v2
.LBB606_718:                            ;   in Loop: Header=BB606_682 Depth=2
	s_wait_alu 0xfffe
	s_or_b32 exec_lo, exec_lo, s17
	s_wait_loadcnt 0xe
	v_xor_b32_e32 v136, 0x80000000, v136
	s_delay_alu instid0(VALU_DEP_1) | instskip(NEXT) | instid1(VALU_DEP_1)
	v_lshrrev_b32_e32 v36, s49, v136
	v_and_b32_e32 v37, s48, v36
	s_delay_alu instid0(VALU_DEP_1)
	v_and_b32_e32 v36, 1, v37
	v_lshlrev_b32_e32 v138, 30, v37
	v_lshlrev_b32_e32 v139, 29, v37
	;; [unrolled: 1-line block ×4, first 2 shown]
	v_add_co_u32 v36, s15, v36, -1
	s_wait_alu 0xf1ff
	v_cndmask_b32_e64 v141, 0, 1, s15
	v_not_b32_e32 v146, v138
	v_cmp_gt_i32_e64 s15, 0, v138
	v_not_b32_e32 v138, v139
	v_lshlrev_b32_e32 v143, 26, v37
	v_cmp_ne_u32_e32 vcc_lo, 0, v141
	v_ashrrev_i32_e32 v146, 31, v146
	v_lshlrev_b32_e32 v145, 25, v37
	v_ashrrev_i32_e32 v138, 31, v138
	v_lshlrev_b32_e32 v141, 24, v37
	s_wait_alu 0xfffd
	v_xor_b32_e32 v36, vcc_lo, v36
	v_cmp_gt_i32_e32 vcc_lo, 0, v139
	v_not_b32_e32 v139, v140
	s_wait_alu 0xf1ff
	v_xor_b32_e32 v146, s15, v146
	v_cmp_gt_i32_e64 s15, 0, v140
	v_and_b32_e32 v36, exec_lo, v36
	v_not_b32_e32 v140, v142
	v_ashrrev_i32_e32 v139, 31, v139
	s_wait_alu 0xfffd
	v_xor_b32_e32 v138, vcc_lo, v138
	v_cmp_gt_i32_e32 vcc_lo, 0, v142
	v_and_b32_e32 v36, v36, v146
	v_not_b32_e32 v142, v143
	v_ashrrev_i32_e32 v140, 31, v140
	s_wait_alu 0xf1ff
	v_xor_b32_e32 v139, s15, v139
	v_cmp_gt_i32_e64 s15, 0, v143
	v_and_b32_e32 v36, v36, v138
	v_not_b32_e32 v138, v145
	v_ashrrev_i32_e32 v142, 31, v142
	s_wait_alu 0xfffd
	v_xor_b32_e32 v140, vcc_lo, v140
	v_cmp_gt_i32_e32 vcc_lo, 0, v145
	v_and_b32_e32 v36, v36, v139
	v_not_b32_e32 v139, v141
	v_ashrrev_i32_e32 v138, 31, v138
	s_wait_alu 0xf1ff
	v_xor_b32_e32 v142, s15, v142
	v_cmp_gt_i32_e64 s15, 0, v141
	v_and_b32_e32 v36, v36, v140
	v_ashrrev_i32_e32 v139, 31, v139
	s_wait_alu 0xfffd
	v_xor_b32_e32 v138, vcc_lo, v138
	v_mul_u32_u24_e32 v37, 36, v37
	v_add_nc_u32_e32 v141, 0x428, v67
	v_and_b32_e32 v36, v36, v142
	s_wait_alu 0xf1ff
	v_xor_b32_e32 v140, s15, v139
	v_add_nc_u32_e32 v139, 0x438, v67
	v_add_nc_u32_e32 v142, 0x430, v67
	;; [unrolled: 1-line block ×3, first 2 shown]
	v_and_b32_e32 v36, v36, v138
	ds_store_2addr_b32 v139, v3, v3 offset1:1
	v_and_b32_e32 v36, v36, v140
	v_add_nc_u32_e32 v140, 0x420, v67
	ds_store_2addr_b32 v140, v3, v3 offset1:1
	ds_store_2addr_b32 v141, v3, v3 offset1:1
	ds_store_2addr_b32 v142, v3, v3 offset1:1
	ds_store_b32 v67, v3 offset:1088
	v_mbcnt_lo_u32_b32 v138, v36, 0
	v_cmp_ne_u32_e64 s15, 0, v36
	s_wait_loadcnt_dscnt 0x0
	s_barrier_signal -1
	s_barrier_wait -1
	v_cmp_eq_u32_e32 vcc_lo, 0, v138
	global_inv scope:SCOPE_SE
	; wave barrier
	s_and_b32 s16, s15, vcc_lo
	s_wait_alu 0xfffe
	s_and_saveexec_b32 s15, s16
; %bb.719:                              ;   in Loop: Header=BB606_682 Depth=2
	v_bcnt_u32_b32 v36, v36, 0
	ds_store_b32 v143, v36 offset:1056
; %bb.720:                              ;   in Loop: Header=BB606_682 Depth=2
	s_wait_alu 0xfffe
	s_or_b32 exec_lo, exec_lo, s15
	v_xor_b32_e32 v137, 0x80000000, v137
	; wave barrier
	s_delay_alu instid0(VALU_DEP_1) | instskip(NEXT) | instid1(VALU_DEP_1)
	v_lshrrev_b32_e32 v36, s49, v137
	v_and_b32_e32 v37, s48, v36
	s_delay_alu instid0(VALU_DEP_1)
	v_and_b32_e32 v36, 1, v37
	v_lshlrev_b32_e32 v145, 30, v37
	v_lshlrev_b32_e32 v146, 29, v37
	v_lshlrev_b32_e32 v147, 28, v37
	v_lshlrev_b32_e32 v150, 27, v37
	v_add_co_u32 v36, s15, v36, -1
	s_wait_alu 0xf1ff
	v_cndmask_b32_e64 v149, 0, 1, s15
	v_not_b32_e32 v154, v145
	v_cmp_gt_i32_e64 s15, 0, v145
	v_not_b32_e32 v145, v146
	v_lshlrev_b32_e32 v151, 26, v37
	v_cmp_ne_u32_e32 vcc_lo, 0, v149
	v_ashrrev_i32_e32 v154, 31, v154
	v_lshlrev_b32_e32 v153, 25, v37
	v_ashrrev_i32_e32 v145, 31, v145
	v_lshlrev_b32_e32 v149, 24, v37
	s_wait_alu 0xfffd
	v_xor_b32_e32 v36, vcc_lo, v36
	v_cmp_gt_i32_e32 vcc_lo, 0, v146
	v_not_b32_e32 v146, v147
	s_wait_alu 0xf1ff
	v_xor_b32_e32 v154, s15, v154
	v_cmp_gt_i32_e64 s15, 0, v147
	v_and_b32_e32 v36, exec_lo, v36
	v_not_b32_e32 v147, v150
	v_ashrrev_i32_e32 v146, 31, v146
	s_wait_alu 0xfffd
	v_xor_b32_e32 v145, vcc_lo, v145
	v_cmp_gt_i32_e32 vcc_lo, 0, v150
	v_and_b32_e32 v36, v36, v154
	v_not_b32_e32 v150, v151
	v_ashrrev_i32_e32 v147, 31, v147
	s_wait_alu 0xf1ff
	v_xor_b32_e32 v146, s15, v146
	v_cmp_gt_i32_e64 s15, 0, v151
	v_and_b32_e32 v36, v36, v145
	v_not_b32_e32 v145, v153
	v_ashrrev_i32_e32 v150, 31, v150
	s_wait_alu 0xfffd
	v_xor_b32_e32 v147, vcc_lo, v147
	v_cmp_gt_i32_e32 vcc_lo, 0, v153
	v_and_b32_e32 v36, v36, v146
	v_not_b32_e32 v146, v149
	v_ashrrev_i32_e32 v145, 31, v145
	s_wait_alu 0xf1ff
	v_xor_b32_e32 v150, s15, v150
	v_cmp_gt_i32_e64 s15, 0, v149
	v_and_b32_e32 v36, v36, v147
	v_ashrrev_i32_e32 v146, 31, v146
	s_wait_alu 0xfffd
	v_xor_b32_e32 v145, vcc_lo, v145
	v_mad_u32_u24 v147, v37, 36, v118
	v_mul_u32_u24_e32 v37, 36, v37
	v_and_b32_e32 v36, v36, v150
	s_wait_alu 0xf1ff
	v_xor_b32_e32 v146, s15, v146
	s_delay_alu instid0(VALU_DEP_2) | instskip(SKIP_3) | instid1(VALU_DEP_1)
	v_and_b32_e32 v36, v36, v145
	ds_load_b32 v145, v147 offset:1056
	v_add_nc_u32_e32 v147, v118, v37
	; wave barrier
	v_and_b32_e32 v36, v36, v146
	v_mbcnt_lo_u32_b32 v146, v36, 0
	v_cmp_ne_u32_e64 s15, 0, v36
	s_delay_alu instid0(VALU_DEP_2)
	v_cmp_eq_u32_e32 vcc_lo, 0, v146
	s_and_b32 s16, s15, vcc_lo
	s_wait_alu 0xfffe
	s_and_saveexec_b32 s15, s16
	s_cbranch_execz .LBB606_722
; %bb.721:                              ;   in Loop: Header=BB606_682 Depth=2
	s_wait_dscnt 0x0
	v_bcnt_u32_b32 v36, v36, v145
	ds_store_b32 v147, v36 offset:1056
.LBB606_722:                            ;   in Loop: Header=BB606_682 Depth=2
	s_wait_alu 0xfffe
	s_or_b32 exec_lo, exec_lo, s15
	v_xor_b32_e32 v144, 0x80000000, v144
	; wave barrier
	s_delay_alu instid0(VALU_DEP_1) | instskip(NEXT) | instid1(VALU_DEP_1)
	v_lshrrev_b32_e32 v36, s49, v144
	v_and_b32_e32 v37, s48, v36
	s_delay_alu instid0(VALU_DEP_1)
	v_and_b32_e32 v36, 1, v37
	v_lshlrev_b32_e32 v149, 30, v37
	v_lshlrev_b32_e32 v150, 29, v37
	;; [unrolled: 1-line block ×4, first 2 shown]
	v_add_co_u32 v36, s15, v36, -1
	s_wait_alu 0xf1ff
	v_cndmask_b32_e64 v153, 0, 1, s15
	v_not_b32_e32 v158, v149
	v_cmp_gt_i32_e64 s15, 0, v149
	v_not_b32_e32 v149, v150
	v_lshlrev_b32_e32 v155, 26, v37
	v_cmp_ne_u32_e32 vcc_lo, 0, v153
	v_ashrrev_i32_e32 v158, 31, v158
	v_lshlrev_b32_e32 v157, 25, v37
	v_ashrrev_i32_e32 v149, 31, v149
	v_lshlrev_b32_e32 v153, 24, v37
	s_wait_alu 0xfffd
	v_xor_b32_e32 v36, vcc_lo, v36
	v_cmp_gt_i32_e32 vcc_lo, 0, v150
	v_not_b32_e32 v150, v151
	s_wait_alu 0xf1ff
	v_xor_b32_e32 v158, s15, v158
	v_cmp_gt_i32_e64 s15, 0, v151
	v_and_b32_e32 v36, exec_lo, v36
	v_not_b32_e32 v151, v154
	v_ashrrev_i32_e32 v150, 31, v150
	s_wait_alu 0xfffd
	v_xor_b32_e32 v149, vcc_lo, v149
	v_cmp_gt_i32_e32 vcc_lo, 0, v154
	v_and_b32_e32 v36, v36, v158
	v_not_b32_e32 v154, v155
	v_ashrrev_i32_e32 v151, 31, v151
	s_wait_alu 0xf1ff
	v_xor_b32_e32 v150, s15, v150
	v_cmp_gt_i32_e64 s15, 0, v155
	v_and_b32_e32 v36, v36, v149
	v_not_b32_e32 v149, v157
	v_ashrrev_i32_e32 v154, 31, v154
	s_wait_alu 0xfffd
	v_xor_b32_e32 v151, vcc_lo, v151
	v_cmp_gt_i32_e32 vcc_lo, 0, v157
	v_and_b32_e32 v36, v36, v150
	v_not_b32_e32 v150, v153
	v_ashrrev_i32_e32 v149, 31, v149
	s_wait_alu 0xf1ff
	v_xor_b32_e32 v154, s15, v154
	v_cmp_gt_i32_e64 s15, 0, v153
	v_and_b32_e32 v36, v36, v151
	v_ashrrev_i32_e32 v150, 31, v150
	s_wait_alu 0xfffd
	v_xor_b32_e32 v149, vcc_lo, v149
	v_mad_u32_u24 v151, v37, 36, v118
	v_mul_u32_u24_e32 v37, 36, v37
	v_and_b32_e32 v36, v36, v154
	s_wait_alu 0xf1ff
	v_xor_b32_e32 v150, s15, v150
	s_delay_alu instid0(VALU_DEP_2) | instskip(SKIP_3) | instid1(VALU_DEP_1)
	v_and_b32_e32 v36, v36, v149
	ds_load_b32 v149, v151 offset:1056
	v_add_nc_u32_e32 v151, v118, v37
	; wave barrier
	v_and_b32_e32 v36, v36, v150
	v_mbcnt_lo_u32_b32 v150, v36, 0
	v_cmp_ne_u32_e64 s15, 0, v36
	s_delay_alu instid0(VALU_DEP_2)
	v_cmp_eq_u32_e32 vcc_lo, 0, v150
	s_and_b32 s16, s15, vcc_lo
	s_wait_alu 0xfffe
	s_and_saveexec_b32 s15, s16
	s_cbranch_execz .LBB606_724
; %bb.723:                              ;   in Loop: Header=BB606_682 Depth=2
	s_wait_dscnt 0x0
	v_bcnt_u32_b32 v36, v36, v149
	ds_store_b32 v151, v36 offset:1056
.LBB606_724:                            ;   in Loop: Header=BB606_682 Depth=2
	s_wait_alu 0xfffe
	s_or_b32 exec_lo, exec_lo, s15
	v_xor_b32_e32 v148, 0x80000000, v148
	; wave barrier
	s_delay_alu instid0(VALU_DEP_1) | instskip(NEXT) | instid1(VALU_DEP_1)
	v_lshrrev_b32_e32 v36, s49, v148
	v_and_b32_e32 v37, s48, v36
	s_delay_alu instid0(VALU_DEP_1)
	v_and_b32_e32 v36, 1, v37
	v_lshlrev_b32_e32 v153, 30, v37
	v_lshlrev_b32_e32 v154, 29, v37
	;; [unrolled: 1-line block ×4, first 2 shown]
	v_add_co_u32 v36, s15, v36, -1
	s_wait_alu 0xf1ff
	v_cndmask_b32_e64 v157, 0, 1, s15
	v_not_b32_e32 v162, v153
	v_cmp_gt_i32_e64 s15, 0, v153
	v_not_b32_e32 v153, v154
	v_lshlrev_b32_e32 v159, 26, v37
	v_cmp_ne_u32_e32 vcc_lo, 0, v157
	v_ashrrev_i32_e32 v162, 31, v162
	v_lshlrev_b32_e32 v161, 25, v37
	v_ashrrev_i32_e32 v153, 31, v153
	v_lshlrev_b32_e32 v157, 24, v37
	s_wait_alu 0xfffd
	v_xor_b32_e32 v36, vcc_lo, v36
	v_cmp_gt_i32_e32 vcc_lo, 0, v154
	v_not_b32_e32 v154, v155
	s_wait_alu 0xf1ff
	v_xor_b32_e32 v162, s15, v162
	v_cmp_gt_i32_e64 s15, 0, v155
	v_and_b32_e32 v36, exec_lo, v36
	v_not_b32_e32 v155, v158
	v_ashrrev_i32_e32 v154, 31, v154
	s_wait_alu 0xfffd
	v_xor_b32_e32 v153, vcc_lo, v153
	v_cmp_gt_i32_e32 vcc_lo, 0, v158
	v_and_b32_e32 v36, v36, v162
	v_not_b32_e32 v158, v159
	v_ashrrev_i32_e32 v155, 31, v155
	s_wait_alu 0xf1ff
	v_xor_b32_e32 v154, s15, v154
	v_cmp_gt_i32_e64 s15, 0, v159
	v_and_b32_e32 v36, v36, v153
	v_not_b32_e32 v153, v161
	v_ashrrev_i32_e32 v158, 31, v158
	s_wait_alu 0xfffd
	v_xor_b32_e32 v155, vcc_lo, v155
	v_cmp_gt_i32_e32 vcc_lo, 0, v161
	v_and_b32_e32 v36, v36, v154
	v_not_b32_e32 v154, v157
	v_ashrrev_i32_e32 v153, 31, v153
	s_wait_alu 0xf1ff
	v_xor_b32_e32 v158, s15, v158
	v_cmp_gt_i32_e64 s15, 0, v157
	v_and_b32_e32 v36, v36, v155
	v_ashrrev_i32_e32 v154, 31, v154
	s_wait_alu 0xfffd
	v_xor_b32_e32 v153, vcc_lo, v153
	v_mad_u32_u24 v155, v37, 36, v118
	v_mul_u32_u24_e32 v37, 36, v37
	v_and_b32_e32 v36, v36, v158
	s_wait_alu 0xf1ff
	v_xor_b32_e32 v154, s15, v154
	s_delay_alu instid0(VALU_DEP_2) | instskip(SKIP_3) | instid1(VALU_DEP_1)
	v_and_b32_e32 v36, v36, v153
	ds_load_b32 v153, v155 offset:1056
	v_add_nc_u32_e32 v155, v118, v37
	; wave barrier
	v_and_b32_e32 v36, v36, v154
	v_mbcnt_lo_u32_b32 v154, v36, 0
	v_cmp_ne_u32_e64 s15, 0, v36
	s_delay_alu instid0(VALU_DEP_2)
	v_cmp_eq_u32_e32 vcc_lo, 0, v154
	s_and_b32 s16, s15, vcc_lo
	s_wait_alu 0xfffe
	s_and_saveexec_b32 s15, s16
	s_cbranch_execz .LBB606_726
; %bb.725:                              ;   in Loop: Header=BB606_682 Depth=2
	s_wait_dscnt 0x0
	v_bcnt_u32_b32 v36, v36, v153
	ds_store_b32 v155, v36 offset:1056
.LBB606_726:                            ;   in Loop: Header=BB606_682 Depth=2
	s_wait_alu 0xfffe
	s_or_b32 exec_lo, exec_lo, s15
	v_xor_b32_e32 v152, 0x80000000, v152
	; wave barrier
	s_delay_alu instid0(VALU_DEP_1) | instskip(NEXT) | instid1(VALU_DEP_1)
	v_lshrrev_b32_e32 v36, s49, v152
	v_and_b32_e32 v37, s48, v36
	s_delay_alu instid0(VALU_DEP_1)
	v_and_b32_e32 v36, 1, v37
	v_lshlrev_b32_e32 v157, 30, v37
	v_lshlrev_b32_e32 v158, 29, v37
	;; [unrolled: 1-line block ×4, first 2 shown]
	v_add_co_u32 v36, s15, v36, -1
	s_wait_alu 0xf1ff
	v_cndmask_b32_e64 v161, 0, 1, s15
	v_not_b32_e32 v166, v157
	v_cmp_gt_i32_e64 s15, 0, v157
	v_not_b32_e32 v157, v158
	v_lshlrev_b32_e32 v163, 26, v37
	v_cmp_ne_u32_e32 vcc_lo, 0, v161
	v_ashrrev_i32_e32 v166, 31, v166
	v_lshlrev_b32_e32 v165, 25, v37
	v_ashrrev_i32_e32 v157, 31, v157
	v_lshlrev_b32_e32 v161, 24, v37
	s_wait_alu 0xfffd
	v_xor_b32_e32 v36, vcc_lo, v36
	v_cmp_gt_i32_e32 vcc_lo, 0, v158
	v_not_b32_e32 v158, v159
	s_wait_alu 0xf1ff
	v_xor_b32_e32 v166, s15, v166
	v_cmp_gt_i32_e64 s15, 0, v159
	v_and_b32_e32 v36, exec_lo, v36
	v_not_b32_e32 v159, v162
	v_ashrrev_i32_e32 v158, 31, v158
	s_wait_alu 0xfffd
	v_xor_b32_e32 v157, vcc_lo, v157
	v_cmp_gt_i32_e32 vcc_lo, 0, v162
	v_and_b32_e32 v36, v36, v166
	v_not_b32_e32 v162, v163
	v_ashrrev_i32_e32 v159, 31, v159
	s_wait_alu 0xf1ff
	v_xor_b32_e32 v158, s15, v158
	v_cmp_gt_i32_e64 s15, 0, v163
	v_and_b32_e32 v36, v36, v157
	v_not_b32_e32 v157, v165
	v_ashrrev_i32_e32 v162, 31, v162
	s_wait_alu 0xfffd
	v_xor_b32_e32 v159, vcc_lo, v159
	v_cmp_gt_i32_e32 vcc_lo, 0, v165
	v_and_b32_e32 v36, v36, v158
	v_not_b32_e32 v158, v161
	v_ashrrev_i32_e32 v157, 31, v157
	s_wait_alu 0xf1ff
	v_xor_b32_e32 v162, s15, v162
	v_cmp_gt_i32_e64 s15, 0, v161
	v_and_b32_e32 v36, v36, v159
	v_ashrrev_i32_e32 v158, 31, v158
	s_wait_alu 0xfffd
	v_xor_b32_e32 v157, vcc_lo, v157
	v_mad_u32_u24 v159, v37, 36, v118
	v_mul_u32_u24_e32 v37, 36, v37
	v_and_b32_e32 v36, v36, v162
	s_wait_alu 0xf1ff
	v_xor_b32_e32 v158, s15, v158
	s_delay_alu instid0(VALU_DEP_2) | instskip(SKIP_3) | instid1(VALU_DEP_1)
	v_and_b32_e32 v36, v36, v157
	ds_load_b32 v157, v159 offset:1056
	v_add_nc_u32_e32 v159, v118, v37
	; wave barrier
	v_and_b32_e32 v36, v36, v158
	v_mbcnt_lo_u32_b32 v158, v36, 0
	v_cmp_ne_u32_e64 s15, 0, v36
	s_delay_alu instid0(VALU_DEP_2)
	v_cmp_eq_u32_e32 vcc_lo, 0, v158
	s_and_b32 s16, s15, vcc_lo
	s_wait_alu 0xfffe
	s_and_saveexec_b32 s15, s16
	s_cbranch_execz .LBB606_728
; %bb.727:                              ;   in Loop: Header=BB606_682 Depth=2
	s_wait_dscnt 0x0
	v_bcnt_u32_b32 v36, v36, v157
	ds_store_b32 v159, v36 offset:1056
.LBB606_728:                            ;   in Loop: Header=BB606_682 Depth=2
	s_wait_alu 0xfffe
	s_or_b32 exec_lo, exec_lo, s15
	v_xor_b32_e32 v156, 0x80000000, v156
	; wave barrier
	s_delay_alu instid0(VALU_DEP_1) | instskip(NEXT) | instid1(VALU_DEP_1)
	v_lshrrev_b32_e32 v36, s49, v156
	v_and_b32_e32 v37, s48, v36
	s_delay_alu instid0(VALU_DEP_1)
	v_and_b32_e32 v36, 1, v37
	v_lshlrev_b32_e32 v161, 30, v37
	v_lshlrev_b32_e32 v162, 29, v37
	;; [unrolled: 1-line block ×4, first 2 shown]
	v_add_co_u32 v36, s15, v36, -1
	s_wait_alu 0xf1ff
	v_cndmask_b32_e64 v165, 0, 1, s15
	v_not_b32_e32 v170, v161
	v_cmp_gt_i32_e64 s15, 0, v161
	v_not_b32_e32 v161, v162
	v_lshlrev_b32_e32 v168, 26, v37
	v_cmp_ne_u32_e32 vcc_lo, 0, v165
	v_ashrrev_i32_e32 v170, 31, v170
	v_lshlrev_b32_e32 v169, 25, v37
	v_ashrrev_i32_e32 v161, 31, v161
	v_lshlrev_b32_e32 v165, 24, v37
	s_wait_alu 0xfffd
	v_xor_b32_e32 v36, vcc_lo, v36
	v_cmp_gt_i32_e32 vcc_lo, 0, v162
	v_not_b32_e32 v162, v163
	s_wait_alu 0xf1ff
	v_xor_b32_e32 v170, s15, v170
	v_cmp_gt_i32_e64 s15, 0, v163
	v_and_b32_e32 v36, exec_lo, v36
	v_not_b32_e32 v163, v166
	v_ashrrev_i32_e32 v162, 31, v162
	s_wait_alu 0xfffd
	v_xor_b32_e32 v161, vcc_lo, v161
	v_cmp_gt_i32_e32 vcc_lo, 0, v166
	v_and_b32_e32 v36, v36, v170
	v_not_b32_e32 v166, v168
	v_ashrrev_i32_e32 v163, 31, v163
	s_wait_alu 0xf1ff
	v_xor_b32_e32 v162, s15, v162
	v_cmp_gt_i32_e64 s15, 0, v168
	v_and_b32_e32 v36, v36, v161
	v_not_b32_e32 v161, v169
	v_ashrrev_i32_e32 v166, 31, v166
	s_wait_alu 0xfffd
	v_xor_b32_e32 v163, vcc_lo, v163
	v_cmp_gt_i32_e32 vcc_lo, 0, v169
	v_and_b32_e32 v36, v36, v162
	v_not_b32_e32 v162, v165
	v_ashrrev_i32_e32 v161, 31, v161
	s_wait_alu 0xf1ff
	v_xor_b32_e32 v166, s15, v166
	v_cmp_gt_i32_e64 s15, 0, v165
	v_and_b32_e32 v36, v36, v163
	v_ashrrev_i32_e32 v162, 31, v162
	s_wait_alu 0xfffd
	v_xor_b32_e32 v161, vcc_lo, v161
	v_mad_u32_u24 v163, v37, 36, v118
	v_mul_u32_u24_e32 v37, 36, v37
	v_and_b32_e32 v36, v36, v166
	s_wait_alu 0xf1ff
	v_xor_b32_e32 v162, s15, v162
	s_delay_alu instid0(VALU_DEP_2) | instskip(SKIP_3) | instid1(VALU_DEP_1)
	v_and_b32_e32 v36, v36, v161
	ds_load_b32 v161, v163 offset:1056
	v_add_nc_u32_e32 v163, v118, v37
	; wave barrier
	v_and_b32_e32 v36, v36, v162
	v_mbcnt_lo_u32_b32 v162, v36, 0
	v_cmp_ne_u32_e64 s15, 0, v36
	s_delay_alu instid0(VALU_DEP_2)
	v_cmp_eq_u32_e32 vcc_lo, 0, v162
	s_and_b32 s16, s15, vcc_lo
	s_wait_alu 0xfffe
	s_and_saveexec_b32 s15, s16
	s_cbranch_execz .LBB606_730
; %bb.729:                              ;   in Loop: Header=BB606_682 Depth=2
	s_wait_dscnt 0x0
	v_bcnt_u32_b32 v36, v36, v161
	ds_store_b32 v163, v36 offset:1056
.LBB606_730:                            ;   in Loop: Header=BB606_682 Depth=2
	s_wait_alu 0xfffe
	s_or_b32 exec_lo, exec_lo, s15
	v_xor_b32_e32 v160, 0x80000000, v160
	; wave barrier
	s_delay_alu instid0(VALU_DEP_1) | instskip(NEXT) | instid1(VALU_DEP_1)
	v_lshrrev_b32_e32 v36, s49, v160
	v_and_b32_e32 v37, s48, v36
	s_delay_alu instid0(VALU_DEP_1)
	v_and_b32_e32 v36, 1, v37
	v_lshlrev_b32_e32 v165, 30, v37
	v_lshlrev_b32_e32 v166, 29, v37
	;; [unrolled: 1-line block ×4, first 2 shown]
	v_add_co_u32 v36, s15, v36, -1
	s_wait_alu 0xf1ff
	v_cndmask_b32_e64 v169, 0, 1, s15
	v_not_b32_e32 v173, v165
	v_cmp_gt_i32_e64 s15, 0, v165
	v_not_b32_e32 v165, v166
	v_lshlrev_b32_e32 v171, 26, v37
	v_cmp_ne_u32_e32 vcc_lo, 0, v169
	v_ashrrev_i32_e32 v173, 31, v173
	v_lshlrev_b32_e32 v172, 25, v37
	v_ashrrev_i32_e32 v165, 31, v165
	v_lshlrev_b32_e32 v169, 24, v37
	s_wait_alu 0xfffd
	v_xor_b32_e32 v36, vcc_lo, v36
	v_cmp_gt_i32_e32 vcc_lo, 0, v166
	v_not_b32_e32 v166, v168
	s_wait_alu 0xf1ff
	v_xor_b32_e32 v173, s15, v173
	v_cmp_gt_i32_e64 s15, 0, v168
	v_and_b32_e32 v36, exec_lo, v36
	v_not_b32_e32 v168, v170
	v_ashrrev_i32_e32 v166, 31, v166
	s_wait_alu 0xfffd
	v_xor_b32_e32 v165, vcc_lo, v165
	v_cmp_gt_i32_e32 vcc_lo, 0, v170
	v_and_b32_e32 v36, v36, v173
	v_not_b32_e32 v170, v171
	v_ashrrev_i32_e32 v168, 31, v168
	s_wait_alu 0xf1ff
	v_xor_b32_e32 v166, s15, v166
	v_cmp_gt_i32_e64 s15, 0, v171
	v_and_b32_e32 v36, v36, v165
	v_not_b32_e32 v165, v172
	v_ashrrev_i32_e32 v170, 31, v170
	s_wait_alu 0xfffd
	v_xor_b32_e32 v168, vcc_lo, v168
	v_cmp_gt_i32_e32 vcc_lo, 0, v172
	v_and_b32_e32 v36, v36, v166
	v_not_b32_e32 v166, v169
	v_ashrrev_i32_e32 v165, 31, v165
	s_wait_alu 0xf1ff
	v_xor_b32_e32 v170, s15, v170
	v_cmp_gt_i32_e64 s15, 0, v169
	v_and_b32_e32 v36, v36, v168
	v_ashrrev_i32_e32 v166, 31, v166
	s_wait_alu 0xfffd
	v_xor_b32_e32 v165, vcc_lo, v165
	v_mad_u32_u24 v168, v37, 36, v118
	v_mul_u32_u24_e32 v37, 36, v37
	v_and_b32_e32 v36, v36, v170
	s_wait_alu 0xf1ff
	v_xor_b32_e32 v166, s15, v166
	s_delay_alu instid0(VALU_DEP_2) | instskip(SKIP_3) | instid1(VALU_DEP_1)
	v_and_b32_e32 v36, v36, v165
	ds_load_b32 v165, v168 offset:1056
	v_add_nc_u32_e32 v168, v118, v37
	; wave barrier
	v_and_b32_e32 v36, v36, v166
	v_mbcnt_lo_u32_b32 v166, v36, 0
	v_cmp_ne_u32_e64 s15, 0, v36
	s_delay_alu instid0(VALU_DEP_2)
	v_cmp_eq_u32_e32 vcc_lo, 0, v166
	s_and_b32 s16, s15, vcc_lo
	s_wait_alu 0xfffe
	s_and_saveexec_b32 s15, s16
	s_cbranch_execz .LBB606_732
; %bb.731:                              ;   in Loop: Header=BB606_682 Depth=2
	s_wait_dscnt 0x0
	v_bcnt_u32_b32 v36, v36, v165
	ds_store_b32 v168, v36 offset:1056
.LBB606_732:                            ;   in Loop: Header=BB606_682 Depth=2
	s_wait_alu 0xfffe
	s_or_b32 exec_lo, exec_lo, s15
	v_xor_b32_e32 v164, 0x80000000, v164
	; wave barrier
	s_delay_alu instid0(VALU_DEP_1) | instskip(NEXT) | instid1(VALU_DEP_1)
	v_lshrrev_b32_e32 v36, s49, v164
	v_and_b32_e32 v37, s48, v36
	s_delay_alu instid0(VALU_DEP_1)
	v_and_b32_e32 v36, 1, v37
	v_lshlrev_b32_e32 v169, 30, v37
	v_lshlrev_b32_e32 v170, 29, v37
	;; [unrolled: 1-line block ×4, first 2 shown]
	v_add_co_u32 v36, s15, v36, -1
	s_wait_alu 0xf1ff
	v_cndmask_b32_e64 v172, 0, 1, s15
	v_not_b32_e32 v176, v169
	v_cmp_gt_i32_e64 s15, 0, v169
	v_not_b32_e32 v169, v170
	v_lshlrev_b32_e32 v174, 26, v37
	v_cmp_ne_u32_e32 vcc_lo, 0, v172
	v_ashrrev_i32_e32 v176, 31, v176
	v_lshlrev_b32_e32 v175, 25, v37
	v_ashrrev_i32_e32 v169, 31, v169
	v_lshlrev_b32_e32 v172, 24, v37
	s_wait_alu 0xfffd
	v_xor_b32_e32 v36, vcc_lo, v36
	v_cmp_gt_i32_e32 vcc_lo, 0, v170
	v_not_b32_e32 v170, v171
	s_wait_alu 0xf1ff
	v_xor_b32_e32 v176, s15, v176
	v_cmp_gt_i32_e64 s15, 0, v171
	v_and_b32_e32 v36, exec_lo, v36
	v_not_b32_e32 v171, v173
	v_ashrrev_i32_e32 v170, 31, v170
	s_wait_alu 0xfffd
	v_xor_b32_e32 v169, vcc_lo, v169
	v_cmp_gt_i32_e32 vcc_lo, 0, v173
	v_and_b32_e32 v36, v36, v176
	v_not_b32_e32 v173, v174
	v_ashrrev_i32_e32 v171, 31, v171
	s_wait_alu 0xf1ff
	v_xor_b32_e32 v170, s15, v170
	v_cmp_gt_i32_e64 s15, 0, v174
	v_and_b32_e32 v36, v36, v169
	v_not_b32_e32 v169, v175
	v_ashrrev_i32_e32 v173, 31, v173
	s_wait_alu 0xfffd
	v_xor_b32_e32 v171, vcc_lo, v171
	v_cmp_gt_i32_e32 vcc_lo, 0, v175
	v_and_b32_e32 v36, v36, v170
	v_not_b32_e32 v170, v172
	v_ashrrev_i32_e32 v169, 31, v169
	s_wait_alu 0xf1ff
	v_xor_b32_e32 v173, s15, v173
	v_cmp_gt_i32_e64 s15, 0, v172
	v_and_b32_e32 v36, v36, v171
	v_ashrrev_i32_e32 v170, 31, v170
	s_wait_alu 0xfffd
	v_xor_b32_e32 v169, vcc_lo, v169
	v_mad_u32_u24 v171, v37, 36, v118
	v_mul_u32_u24_e32 v37, 36, v37
	v_and_b32_e32 v36, v36, v173
	s_wait_alu 0xf1ff
	v_xor_b32_e32 v170, s15, v170
	s_delay_alu instid0(VALU_DEP_2) | instskip(SKIP_3) | instid1(VALU_DEP_1)
	v_and_b32_e32 v36, v36, v169
	ds_load_b32 v169, v171 offset:1056
	v_add_nc_u32_e32 v171, v118, v37
	; wave barrier
	v_and_b32_e32 v36, v36, v170
	v_mbcnt_lo_u32_b32 v170, v36, 0
	v_cmp_ne_u32_e64 s15, 0, v36
	s_delay_alu instid0(VALU_DEP_2)
	v_cmp_eq_u32_e32 vcc_lo, 0, v170
	s_and_b32 s16, s15, vcc_lo
	s_wait_alu 0xfffe
	s_and_saveexec_b32 s15, s16
	s_cbranch_execz .LBB606_734
; %bb.733:                              ;   in Loop: Header=BB606_682 Depth=2
	s_wait_dscnt 0x0
	v_bcnt_u32_b32 v36, v36, v169
	ds_store_b32 v171, v36 offset:1056
.LBB606_734:                            ;   in Loop: Header=BB606_682 Depth=2
	s_wait_alu 0xfffe
	s_or_b32 exec_lo, exec_lo, s15
	v_xor_b32_e32 v167, 0x80000000, v167
	; wave barrier
	s_delay_alu instid0(VALU_DEP_1) | instskip(NEXT) | instid1(VALU_DEP_1)
	v_lshrrev_b32_e32 v36, s49, v167
	v_and_b32_e32 v37, s48, v36
	s_delay_alu instid0(VALU_DEP_1)
	v_and_b32_e32 v36, 1, v37
	v_lshlrev_b32_e32 v172, 30, v37
	v_lshlrev_b32_e32 v173, 29, v37
	;; [unrolled: 1-line block ×4, first 2 shown]
	v_add_co_u32 v36, s15, v36, -1
	s_wait_alu 0xf1ff
	v_cndmask_b32_e64 v175, 0, 1, s15
	v_not_b32_e32 v179, v172
	v_cmp_gt_i32_e64 s15, 0, v172
	v_not_b32_e32 v172, v173
	v_lshlrev_b32_e32 v177, 26, v37
	v_cmp_ne_u32_e32 vcc_lo, 0, v175
	v_ashrrev_i32_e32 v179, 31, v179
	v_lshlrev_b32_e32 v178, 25, v37
	v_ashrrev_i32_e32 v172, 31, v172
	v_lshlrev_b32_e32 v175, 24, v37
	s_wait_alu 0xfffd
	v_xor_b32_e32 v36, vcc_lo, v36
	v_cmp_gt_i32_e32 vcc_lo, 0, v173
	v_not_b32_e32 v173, v174
	s_wait_alu 0xf1ff
	v_xor_b32_e32 v179, s15, v179
	v_cmp_gt_i32_e64 s15, 0, v174
	v_and_b32_e32 v36, exec_lo, v36
	v_not_b32_e32 v174, v176
	v_ashrrev_i32_e32 v173, 31, v173
	s_wait_alu 0xfffd
	v_xor_b32_e32 v172, vcc_lo, v172
	v_cmp_gt_i32_e32 vcc_lo, 0, v176
	v_and_b32_e32 v36, v36, v179
	v_not_b32_e32 v176, v177
	v_ashrrev_i32_e32 v174, 31, v174
	s_wait_alu 0xf1ff
	v_xor_b32_e32 v173, s15, v173
	v_cmp_gt_i32_e64 s15, 0, v177
	v_and_b32_e32 v36, v36, v172
	v_not_b32_e32 v172, v178
	v_ashrrev_i32_e32 v176, 31, v176
	s_wait_alu 0xfffd
	v_xor_b32_e32 v174, vcc_lo, v174
	v_cmp_gt_i32_e32 vcc_lo, 0, v178
	v_and_b32_e32 v36, v36, v173
	v_not_b32_e32 v173, v175
	v_ashrrev_i32_e32 v172, 31, v172
	s_wait_alu 0xf1ff
	v_xor_b32_e32 v176, s15, v176
	v_cmp_gt_i32_e64 s15, 0, v175
	v_and_b32_e32 v36, v36, v174
	v_ashrrev_i32_e32 v173, 31, v173
	s_wait_alu 0xfffd
	v_xor_b32_e32 v172, vcc_lo, v172
	v_mad_u32_u24 v174, v37, 36, v118
	v_mul_u32_u24_e32 v37, 36, v37
	v_and_b32_e32 v36, v36, v176
	s_wait_alu 0xf1ff
	v_xor_b32_e32 v175, s15, v173
	ds_load_b32 v173, v174 offset:1056
	v_and_b32_e32 v36, v36, v172
	; wave barrier
	s_delay_alu instid0(VALU_DEP_1) | instskip(SKIP_1) | instid1(VALU_DEP_2)
	v_and_b32_e32 v36, v36, v175
	v_add_nc_u32_e32 v175, v118, v37
	v_mbcnt_lo_u32_b32 v174, v36, 0
	v_cmp_ne_u32_e64 s15, 0, v36
	s_delay_alu instid0(VALU_DEP_2)
	v_cmp_eq_u32_e32 vcc_lo, 0, v174
	s_and_b32 s16, s15, vcc_lo
	s_wait_alu 0xfffe
	s_and_saveexec_b32 s15, s16
	s_cbranch_execz .LBB606_736
; %bb.735:                              ;   in Loop: Header=BB606_682 Depth=2
	s_wait_dscnt 0x0
	v_bcnt_u32_b32 v36, v36, v173
	ds_store_b32 v175, v36 offset:1056
.LBB606_736:                            ;   in Loop: Header=BB606_682 Depth=2
	s_wait_alu 0xfffe
	s_or_b32 exec_lo, exec_lo, s15
	v_xor_b32_e32 v172, 0x80000000, v43
	; wave barrier
	s_delay_alu instid0(VALU_DEP_1) | instskip(NEXT) | instid1(VALU_DEP_1)
	v_lshrrev_b32_e32 v36, s49, v172
	v_and_b32_e32 v37, s48, v36
	s_delay_alu instid0(VALU_DEP_1)
	v_and_b32_e32 v36, 1, v37
	v_lshlrev_b32_e32 v43, 30, v37
	v_lshlrev_b32_e32 v176, 29, v37
	;; [unrolled: 1-line block ×4, first 2 shown]
	v_add_co_u32 v36, s15, v36, -1
	s_wait_alu 0xf1ff
	v_cndmask_b32_e64 v178, 0, 1, s15
	v_not_b32_e32 v182, v43
	v_cmp_gt_i32_e64 s15, 0, v43
	v_not_b32_e32 v43, v176
	v_lshlrev_b32_e32 v180, 26, v37
	v_cmp_ne_u32_e32 vcc_lo, 0, v178
	v_ashrrev_i32_e32 v182, 31, v182
	v_lshlrev_b32_e32 v181, 25, v37
	v_ashrrev_i32_e32 v43, 31, v43
	v_lshlrev_b32_e32 v178, 24, v37
	s_wait_alu 0xfffd
	v_xor_b32_e32 v36, vcc_lo, v36
	v_cmp_gt_i32_e32 vcc_lo, 0, v176
	v_not_b32_e32 v176, v177
	s_wait_alu 0xf1ff
	v_xor_b32_e32 v182, s15, v182
	v_cmp_gt_i32_e64 s15, 0, v177
	v_and_b32_e32 v36, exec_lo, v36
	v_not_b32_e32 v177, v179
	v_ashrrev_i32_e32 v176, 31, v176
	s_wait_alu 0xfffd
	v_xor_b32_e32 v43, vcc_lo, v43
	v_cmp_gt_i32_e32 vcc_lo, 0, v179
	v_and_b32_e32 v36, v36, v182
	v_not_b32_e32 v179, v180
	v_ashrrev_i32_e32 v177, 31, v177
	s_wait_alu 0xf1ff
	v_xor_b32_e32 v176, s15, v176
	v_cmp_gt_i32_e64 s15, 0, v180
	v_and_b32_e32 v36, v36, v43
	v_not_b32_e32 v43, v181
	v_ashrrev_i32_e32 v179, 31, v179
	s_wait_alu 0xfffd
	v_xor_b32_e32 v177, vcc_lo, v177
	v_cmp_gt_i32_e32 vcc_lo, 0, v181
	v_and_b32_e32 v36, v36, v176
	v_not_b32_e32 v176, v178
	v_ashrrev_i32_e32 v43, 31, v43
	s_wait_alu 0xf1ff
	v_xor_b32_e32 v179, s15, v179
	v_cmp_gt_i32_e64 s15, 0, v178
	v_and_b32_e32 v36, v36, v177
	v_ashrrev_i32_e32 v176, 31, v176
	s_wait_alu 0xfffd
	v_xor_b32_e32 v43, vcc_lo, v43
	v_mad_u32_u24 v177, v37, 36, v118
	v_mul_u32_u24_e32 v37, 36, v37
	v_and_b32_e32 v36, v36, v179
	s_wait_alu 0xf1ff
	v_xor_b32_e32 v176, s15, v176
	ds_load_b32 v177, v177 offset:1056
	v_add_nc_u32_e32 v179, v118, v37
	v_and_b32_e32 v36, v36, v43
	; wave barrier
	s_delay_alu instid0(VALU_DEP_1) | instskip(NEXT) | instid1(VALU_DEP_1)
	v_and_b32_e32 v36, v36, v176
	v_mbcnt_lo_u32_b32 v178, v36, 0
	v_cmp_ne_u32_e64 s15, 0, v36
	s_delay_alu instid0(VALU_DEP_2)
	v_cmp_eq_u32_e32 vcc_lo, 0, v178
	s_and_b32 s16, s15, vcc_lo
	s_wait_alu 0xfffe
	s_and_saveexec_b32 s15, s16
	s_cbranch_execz .LBB606_738
; %bb.737:                              ;   in Loop: Header=BB606_682 Depth=2
	s_wait_dscnt 0x0
	v_bcnt_u32_b32 v36, v36, v177
	ds_store_b32 v179, v36 offset:1056
.LBB606_738:                            ;   in Loop: Header=BB606_682 Depth=2
	s_wait_alu 0xfffe
	s_or_b32 exec_lo, exec_lo, s15
	v_xor_b32_e32 v176, 0x80000000, v42
	; wave barrier
	s_delay_alu instid0(VALU_DEP_1) | instskip(NEXT) | instid1(VALU_DEP_1)
	v_lshrrev_b32_e32 v36, s49, v176
	v_and_b32_e32 v37, s48, v36
	s_delay_alu instid0(VALU_DEP_1)
	v_and_b32_e32 v36, 1, v37
	v_lshlrev_b32_e32 v42, 30, v37
	v_lshlrev_b32_e32 v43, 29, v37
	;; [unrolled: 1-line block ×4, first 2 shown]
	v_add_co_u32 v36, s15, v36, -1
	s_wait_alu 0xf1ff
	v_cndmask_b32_e64 v181, 0, 1, s15
	v_not_b32_e32 v185, v42
	v_cmp_gt_i32_e64 s15, 0, v42
	v_not_b32_e32 v42, v43
	v_lshlrev_b32_e32 v183, 26, v37
	v_cmp_ne_u32_e32 vcc_lo, 0, v181
	v_ashrrev_i32_e32 v185, 31, v185
	v_lshlrev_b32_e32 v184, 25, v37
	v_ashrrev_i32_e32 v42, 31, v42
	v_lshlrev_b32_e32 v181, 24, v37
	s_wait_alu 0xfffd
	v_xor_b32_e32 v36, vcc_lo, v36
	v_cmp_gt_i32_e32 vcc_lo, 0, v43
	v_not_b32_e32 v43, v180
	s_wait_alu 0xf1ff
	v_xor_b32_e32 v185, s15, v185
	v_cmp_gt_i32_e64 s15, 0, v180
	v_and_b32_e32 v36, exec_lo, v36
	v_not_b32_e32 v180, v182
	v_ashrrev_i32_e32 v43, 31, v43
	s_wait_alu 0xfffd
	v_xor_b32_e32 v42, vcc_lo, v42
	v_cmp_gt_i32_e32 vcc_lo, 0, v182
	v_and_b32_e32 v36, v36, v185
	v_not_b32_e32 v182, v183
	v_ashrrev_i32_e32 v180, 31, v180
	s_wait_alu 0xf1ff
	v_xor_b32_e32 v43, s15, v43
	v_cmp_gt_i32_e64 s15, 0, v183
	v_and_b32_e32 v36, v36, v42
	v_not_b32_e32 v42, v184
	v_ashrrev_i32_e32 v182, 31, v182
	s_wait_alu 0xfffd
	v_xor_b32_e32 v180, vcc_lo, v180
	v_cmp_gt_i32_e32 vcc_lo, 0, v184
	v_and_b32_e32 v36, v36, v43
	v_not_b32_e32 v43, v181
	v_ashrrev_i32_e32 v42, 31, v42
	s_wait_alu 0xf1ff
	v_xor_b32_e32 v182, s15, v182
	v_cmp_gt_i32_e64 s15, 0, v181
	v_and_b32_e32 v36, v36, v180
	v_ashrrev_i32_e32 v43, 31, v43
	s_wait_alu 0xfffd
	v_xor_b32_e32 v42, vcc_lo, v42
	v_mad_u32_u24 v180, v37, 36, v118
	v_mul_u32_u24_e32 v37, 36, v37
	v_and_b32_e32 v36, v36, v182
	s_wait_alu 0xf1ff
	v_xor_b32_e32 v43, s15, v43
	ds_load_b32 v181, v180 offset:1056
	v_add_nc_u32_e32 v183, v118, v37
	v_and_b32_e32 v36, v36, v42
	; wave barrier
	s_delay_alu instid0(VALU_DEP_1) | instskip(NEXT) | instid1(VALU_DEP_1)
	v_and_b32_e32 v36, v36, v43
	v_mbcnt_lo_u32_b32 v182, v36, 0
	v_cmp_ne_u32_e64 s15, 0, v36
	s_delay_alu instid0(VALU_DEP_2)
	v_cmp_eq_u32_e32 vcc_lo, 0, v182
	s_and_b32 s16, s15, vcc_lo
	s_wait_alu 0xfffe
	s_and_saveexec_b32 s15, s16
	s_cbranch_execz .LBB606_740
; %bb.739:                              ;   in Loop: Header=BB606_682 Depth=2
	s_wait_dscnt 0x0
	v_bcnt_u32_b32 v36, v36, v181
	ds_store_b32 v183, v36 offset:1056
.LBB606_740:                            ;   in Loop: Header=BB606_682 Depth=2
	s_wait_alu 0xfffe
	s_or_b32 exec_lo, exec_lo, s15
	v_xor_b32_e32 v180, 0x80000000, v41
	; wave barrier
	s_delay_alu instid0(VALU_DEP_1) | instskip(NEXT) | instid1(VALU_DEP_1)
	v_lshrrev_b32_e32 v36, s49, v180
	v_and_b32_e32 v37, s48, v36
	s_delay_alu instid0(VALU_DEP_1)
	v_and_b32_e32 v36, 1, v37
	v_lshlrev_b32_e32 v41, 30, v37
	v_lshlrev_b32_e32 v42, 29, v37
	;; [unrolled: 1-line block ×4, first 2 shown]
	v_add_co_u32 v36, s15, v36, -1
	s_wait_alu 0xf1ff
	v_cndmask_b32_e64 v184, 0, 1, s15
	v_not_b32_e32 v188, v41
	v_cmp_gt_i32_e64 s15, 0, v41
	v_not_b32_e32 v41, v42
	v_lshlrev_b32_e32 v186, 26, v37
	v_cmp_ne_u32_e32 vcc_lo, 0, v184
	v_ashrrev_i32_e32 v188, 31, v188
	v_lshlrev_b32_e32 v187, 25, v37
	v_ashrrev_i32_e32 v41, 31, v41
	v_lshlrev_b32_e32 v184, 24, v37
	s_wait_alu 0xfffd
	v_xor_b32_e32 v36, vcc_lo, v36
	v_cmp_gt_i32_e32 vcc_lo, 0, v42
	v_not_b32_e32 v42, v43
	s_wait_alu 0xf1ff
	v_xor_b32_e32 v188, s15, v188
	v_cmp_gt_i32_e64 s15, 0, v43
	v_and_b32_e32 v36, exec_lo, v36
	v_not_b32_e32 v43, v185
	v_ashrrev_i32_e32 v42, 31, v42
	s_wait_alu 0xfffd
	v_xor_b32_e32 v41, vcc_lo, v41
	v_cmp_gt_i32_e32 vcc_lo, 0, v185
	v_and_b32_e32 v36, v36, v188
	v_not_b32_e32 v185, v186
	v_ashrrev_i32_e32 v43, 31, v43
	s_wait_alu 0xf1ff
	v_xor_b32_e32 v42, s15, v42
	v_cmp_gt_i32_e64 s15, 0, v186
	v_and_b32_e32 v36, v36, v41
	v_not_b32_e32 v41, v187
	v_ashrrev_i32_e32 v185, 31, v185
	s_wait_alu 0xfffd
	v_xor_b32_e32 v43, vcc_lo, v43
	v_cmp_gt_i32_e32 vcc_lo, 0, v187
	v_and_b32_e32 v36, v36, v42
	v_not_b32_e32 v42, v184
	v_ashrrev_i32_e32 v41, 31, v41
	s_wait_alu 0xf1ff
	v_xor_b32_e32 v185, s15, v185
	v_cmp_gt_i32_e64 s15, 0, v184
	v_and_b32_e32 v36, v36, v43
	v_ashrrev_i32_e32 v42, 31, v42
	s_wait_alu 0xfffd
	v_xor_b32_e32 v41, vcc_lo, v41
	v_mad_u32_u24 v43, v37, 36, v118
	v_mul_u32_u24_e32 v37, 36, v37
	v_and_b32_e32 v36, v36, v185
	s_wait_alu 0xf1ff
	v_xor_b32_e32 v42, s15, v42
	ds_load_b32 v185, v43 offset:1056
	v_add_nc_u32_e32 v187, v118, v37
	v_and_b32_e32 v36, v36, v41
	; wave barrier
	s_delay_alu instid0(VALU_DEP_1) | instskip(NEXT) | instid1(VALU_DEP_1)
	v_and_b32_e32 v36, v36, v42
	v_mbcnt_lo_u32_b32 v186, v36, 0
	v_cmp_ne_u32_e64 s15, 0, v36
	s_delay_alu instid0(VALU_DEP_2)
	v_cmp_eq_u32_e32 vcc_lo, 0, v186
	s_and_b32 s16, s15, vcc_lo
	s_wait_alu 0xfffe
	s_and_saveexec_b32 s15, s16
	s_cbranch_execz .LBB606_742
; %bb.741:                              ;   in Loop: Header=BB606_682 Depth=2
	s_wait_dscnt 0x0
	v_bcnt_u32_b32 v36, v36, v185
	ds_store_b32 v187, v36 offset:1056
.LBB606_742:                            ;   in Loop: Header=BB606_682 Depth=2
	s_wait_alu 0xfffe
	s_or_b32 exec_lo, exec_lo, s15
	v_xor_b32_e32 v184, 0x80000000, v40
	; wave barrier
	s_delay_alu instid0(VALU_DEP_1) | instskip(NEXT) | instid1(VALU_DEP_1)
	v_lshrrev_b32_e32 v36, s49, v184
	v_and_b32_e32 v37, s48, v36
	s_delay_alu instid0(VALU_DEP_1)
	v_and_b32_e32 v36, 1, v37
	v_lshlrev_b32_e32 v40, 30, v37
	v_lshlrev_b32_e32 v41, 29, v37
	v_lshlrev_b32_e32 v42, 28, v37
	v_lshlrev_b32_e32 v188, 27, v37
	v_add_co_u32 v36, s15, v36, -1
	s_wait_alu 0xf1ff
	v_cndmask_b32_e64 v43, 0, 1, s15
	v_not_b32_e32 v191, v40
	v_cmp_gt_i32_e64 s15, 0, v40
	v_not_b32_e32 v40, v41
	v_lshlrev_b32_e32 v189, 26, v37
	v_cmp_ne_u32_e32 vcc_lo, 0, v43
	v_ashrrev_i32_e32 v191, 31, v191
	v_lshlrev_b32_e32 v190, 25, v37
	v_ashrrev_i32_e32 v40, 31, v40
	v_lshlrev_b32_e32 v43, 24, v37
	s_wait_alu 0xfffd
	v_xor_b32_e32 v36, vcc_lo, v36
	v_cmp_gt_i32_e32 vcc_lo, 0, v41
	v_not_b32_e32 v41, v42
	s_wait_alu 0xf1ff
	v_xor_b32_e32 v191, s15, v191
	v_cmp_gt_i32_e64 s15, 0, v42
	v_and_b32_e32 v36, exec_lo, v36
	v_not_b32_e32 v42, v188
	v_ashrrev_i32_e32 v41, 31, v41
	s_wait_alu 0xfffd
	v_xor_b32_e32 v40, vcc_lo, v40
	v_cmp_gt_i32_e32 vcc_lo, 0, v188
	v_and_b32_e32 v36, v36, v191
	v_not_b32_e32 v188, v189
	v_ashrrev_i32_e32 v42, 31, v42
	s_wait_alu 0xf1ff
	v_xor_b32_e32 v41, s15, v41
	v_cmp_gt_i32_e64 s15, 0, v189
	v_and_b32_e32 v36, v36, v40
	v_not_b32_e32 v40, v190
	v_ashrrev_i32_e32 v188, 31, v188
	s_wait_alu 0xfffd
	v_xor_b32_e32 v42, vcc_lo, v42
	v_cmp_gt_i32_e32 vcc_lo, 0, v190
	v_and_b32_e32 v36, v36, v41
	v_not_b32_e32 v41, v43
	v_ashrrev_i32_e32 v40, 31, v40
	s_wait_alu 0xf1ff
	v_xor_b32_e32 v188, s15, v188
	v_cmp_gt_i32_e64 s15, 0, v43
	v_and_b32_e32 v36, v36, v42
	v_ashrrev_i32_e32 v41, 31, v41
	s_wait_alu 0xfffd
	v_xor_b32_e32 v40, vcc_lo, v40
	v_mad_u32_u24 v42, v37, 36, v118
	v_mul_u32_u24_e32 v37, 36, v37
	v_and_b32_e32 v36, v36, v188
	s_wait_alu 0xf1ff
	v_xor_b32_e32 v41, s15, v41
	ds_load_b32 v189, v42 offset:1056
	v_add_nc_u32_e32 v191, v118, v37
	v_and_b32_e32 v36, v36, v40
	; wave barrier
	s_delay_alu instid0(VALU_DEP_1) | instskip(NEXT) | instid1(VALU_DEP_1)
	v_and_b32_e32 v36, v36, v41
	v_mbcnt_lo_u32_b32 v190, v36, 0
	v_cmp_ne_u32_e64 s15, 0, v36
	s_delay_alu instid0(VALU_DEP_2)
	v_cmp_eq_u32_e32 vcc_lo, 0, v190
	s_and_b32 s16, s15, vcc_lo
	s_wait_alu 0xfffe
	s_and_saveexec_b32 s15, s16
	s_cbranch_execz .LBB606_744
; %bb.743:                              ;   in Loop: Header=BB606_682 Depth=2
	s_wait_dscnt 0x0
	v_bcnt_u32_b32 v36, v36, v189
	ds_store_b32 v191, v36 offset:1056
.LBB606_744:                            ;   in Loop: Header=BB606_682 Depth=2
	s_wait_alu 0xfffe
	s_or_b32 exec_lo, exec_lo, s15
	v_xor_b32_e32 v188, 0x80000000, v39
	; wave barrier
	s_delay_alu instid0(VALU_DEP_1) | instskip(NEXT) | instid1(VALU_DEP_1)
	v_lshrrev_b32_e32 v36, s49, v188
	v_and_b32_e32 v37, s48, v36
	s_delay_alu instid0(VALU_DEP_1)
	v_and_b32_e32 v36, 1, v37
	v_lshlrev_b32_e32 v39, 30, v37
	v_lshlrev_b32_e32 v40, 29, v37
	;; [unrolled: 1-line block ×4, first 2 shown]
	v_add_co_u32 v36, s15, v36, -1
	s_wait_alu 0xf1ff
	v_cndmask_b32_e64 v42, 0, 1, s15
	v_not_b32_e32 v194, v39
	v_cmp_gt_i32_e64 s15, 0, v39
	v_not_b32_e32 v39, v40
	v_lshlrev_b32_e32 v192, 26, v37
	v_cmp_ne_u32_e32 vcc_lo, 0, v42
	v_ashrrev_i32_e32 v194, 31, v194
	v_lshlrev_b32_e32 v193, 25, v37
	v_ashrrev_i32_e32 v39, 31, v39
	v_lshlrev_b32_e32 v42, 24, v37
	s_wait_alu 0xfffd
	v_xor_b32_e32 v36, vcc_lo, v36
	v_cmp_gt_i32_e32 vcc_lo, 0, v40
	v_not_b32_e32 v40, v41
	s_wait_alu 0xf1ff
	v_xor_b32_e32 v194, s15, v194
	v_cmp_gt_i32_e64 s15, 0, v41
	v_and_b32_e32 v36, exec_lo, v36
	v_not_b32_e32 v41, v43
	v_ashrrev_i32_e32 v40, 31, v40
	s_wait_alu 0xfffd
	v_xor_b32_e32 v39, vcc_lo, v39
	v_cmp_gt_i32_e32 vcc_lo, 0, v43
	v_and_b32_e32 v36, v36, v194
	v_not_b32_e32 v43, v192
	v_ashrrev_i32_e32 v41, 31, v41
	s_wait_alu 0xf1ff
	v_xor_b32_e32 v40, s15, v40
	v_cmp_gt_i32_e64 s15, 0, v192
	v_and_b32_e32 v36, v36, v39
	v_not_b32_e32 v39, v193
	v_ashrrev_i32_e32 v43, 31, v43
	s_wait_alu 0xfffd
	v_xor_b32_e32 v41, vcc_lo, v41
	v_cmp_gt_i32_e32 vcc_lo, 0, v193
	v_and_b32_e32 v36, v36, v40
	v_not_b32_e32 v40, v42
	v_ashrrev_i32_e32 v39, 31, v39
	s_wait_alu 0xf1ff
	v_xor_b32_e32 v43, s15, v43
	v_cmp_gt_i32_e64 s15, 0, v42
	v_and_b32_e32 v36, v36, v41
	v_ashrrev_i32_e32 v40, 31, v40
	s_wait_alu 0xfffd
	v_xor_b32_e32 v39, vcc_lo, v39
	v_mad_u32_u24 v41, v37, 36, v118
	v_mul_u32_u24_e32 v37, 36, v37
	v_and_b32_e32 v36, v36, v43
	s_wait_alu 0xf1ff
	v_xor_b32_e32 v40, s15, v40
	ds_load_b32 v193, v41 offset:1056
	v_add_nc_u32_e32 v195, v118, v37
	v_and_b32_e32 v36, v36, v39
	; wave barrier
	s_delay_alu instid0(VALU_DEP_1) | instskip(NEXT) | instid1(VALU_DEP_1)
	v_and_b32_e32 v36, v36, v40
	v_mbcnt_lo_u32_b32 v194, v36, 0
	v_cmp_ne_u32_e64 s15, 0, v36
	s_delay_alu instid0(VALU_DEP_2)
	v_cmp_eq_u32_e32 vcc_lo, 0, v194
	s_and_b32 s16, s15, vcc_lo
	s_wait_alu 0xfffe
	s_and_saveexec_b32 s15, s16
	s_cbranch_execz .LBB606_746
; %bb.745:                              ;   in Loop: Header=BB606_682 Depth=2
	s_wait_dscnt 0x0
	v_bcnt_u32_b32 v36, v36, v193
	ds_store_b32 v195, v36 offset:1056
.LBB606_746:                            ;   in Loop: Header=BB606_682 Depth=2
	s_wait_alu 0xfffe
	s_or_b32 exec_lo, exec_lo, s15
	v_xor_b32_e32 v192, 0x80000000, v38
	; wave barrier
	s_delay_alu instid0(VALU_DEP_1) | instskip(NEXT) | instid1(VALU_DEP_1)
	v_lshrrev_b32_e32 v36, s49, v192
	v_and_b32_e32 v37, s48, v36
	s_delay_alu instid0(VALU_DEP_1)
	v_and_b32_e32 v36, 1, v37
	v_lshlrev_b32_e32 v38, 30, v37
	v_lshlrev_b32_e32 v39, 29, v37
	;; [unrolled: 1-line block ×4, first 2 shown]
	v_add_co_u32 v36, s15, v36, -1
	s_wait_alu 0xf1ff
	v_cndmask_b32_e64 v41, 0, 1, s15
	v_not_b32_e32 v197, v38
	v_cmp_gt_i32_e64 s15, 0, v38
	v_not_b32_e32 v38, v39
	v_lshlrev_b32_e32 v43, 26, v37
	v_cmp_ne_u32_e32 vcc_lo, 0, v41
	v_ashrrev_i32_e32 v197, 31, v197
	v_lshlrev_b32_e32 v196, 25, v37
	v_ashrrev_i32_e32 v38, 31, v38
	v_lshlrev_b32_e32 v41, 24, v37
	s_wait_alu 0xfffd
	v_xor_b32_e32 v36, vcc_lo, v36
	v_cmp_gt_i32_e32 vcc_lo, 0, v39
	v_not_b32_e32 v39, v40
	s_wait_alu 0xf1ff
	v_xor_b32_e32 v197, s15, v197
	v_cmp_gt_i32_e64 s15, 0, v40
	v_and_b32_e32 v36, exec_lo, v36
	v_not_b32_e32 v40, v42
	v_ashrrev_i32_e32 v39, 31, v39
	s_wait_alu 0xfffd
	v_xor_b32_e32 v38, vcc_lo, v38
	v_cmp_gt_i32_e32 vcc_lo, 0, v42
	v_and_b32_e32 v36, v36, v197
	v_not_b32_e32 v42, v43
	v_ashrrev_i32_e32 v40, 31, v40
	s_wait_alu 0xf1ff
	v_xor_b32_e32 v39, s15, v39
	v_cmp_gt_i32_e64 s15, 0, v43
	v_and_b32_e32 v36, v36, v38
	v_not_b32_e32 v38, v196
	v_ashrrev_i32_e32 v42, 31, v42
	s_wait_alu 0xfffd
	v_xor_b32_e32 v40, vcc_lo, v40
	v_cmp_gt_i32_e32 vcc_lo, 0, v196
	v_and_b32_e32 v36, v36, v39
	v_not_b32_e32 v39, v41
	v_ashrrev_i32_e32 v38, 31, v38
	s_wait_alu 0xf1ff
	v_xor_b32_e32 v42, s15, v42
	v_cmp_gt_i32_e64 s15, 0, v41
	v_and_b32_e32 v36, v36, v40
	v_ashrrev_i32_e32 v39, 31, v39
	s_wait_alu 0xfffd
	v_xor_b32_e32 v38, vcc_lo, v38
	v_mad_u32_u24 v40, v37, 36, v118
	v_mul_u32_u24_e32 v37, 36, v37
	v_and_b32_e32 v36, v36, v42
	s_wait_alu 0xf1ff
	v_xor_b32_e32 v39, s15, v39
	ds_load_b32 v196, v40 offset:1056
	v_add_nc_u32_e32 v198, v118, v37
	v_and_b32_e32 v36, v36, v38
	; wave barrier
	s_delay_alu instid0(VALU_DEP_1) | instskip(NEXT) | instid1(VALU_DEP_1)
	v_and_b32_e32 v36, v36, v39
	v_mbcnt_lo_u32_b32 v197, v36, 0
	v_cmp_ne_u32_e64 s15, 0, v36
	s_delay_alu instid0(VALU_DEP_2)
	v_cmp_eq_u32_e32 vcc_lo, 0, v197
	s_and_b32 s16, s15, vcc_lo
	s_wait_alu 0xfffe
	s_and_saveexec_b32 s15, s16
	s_cbranch_execz .LBB606_748
; %bb.747:                              ;   in Loop: Header=BB606_682 Depth=2
	s_wait_dscnt 0x0
	v_bcnt_u32_b32 v36, v36, v196
	ds_store_b32 v198, v36 offset:1056
.LBB606_748:                            ;   in Loop: Header=BB606_682 Depth=2
	s_wait_alu 0xfffe
	s_or_b32 exec_lo, exec_lo, s15
	v_lshrrev_b32_e32 v36, s49, v2
	; wave barrier
	s_delay_alu instid0(VALU_DEP_1) | instskip(NEXT) | instid1(VALU_DEP_1)
	v_and_b32_e32 v37, s48, v36
	v_and_b32_e32 v36, 1, v37
	v_lshlrev_b32_e32 v38, 30, v37
	v_lshlrev_b32_e32 v39, 29, v37
	;; [unrolled: 1-line block ×4, first 2 shown]
	v_add_co_u32 v36, s15, v36, -1
	s_wait_alu 0xf1ff
	v_cndmask_b32_e64 v41, 0, 1, s15
	v_not_b32_e32 v200, v38
	v_cmp_gt_i32_e64 s15, 0, v38
	v_not_b32_e32 v38, v39
	v_lshlrev_b32_e32 v43, 26, v37
	v_cmp_ne_u32_e32 vcc_lo, 0, v41
	v_ashrrev_i32_e32 v200, 31, v200
	v_lshlrev_b32_e32 v199, 25, v37
	v_ashrrev_i32_e32 v38, 31, v38
	v_lshlrev_b32_e32 v41, 24, v37
	s_wait_alu 0xfffd
	v_xor_b32_e32 v36, vcc_lo, v36
	v_cmp_gt_i32_e32 vcc_lo, 0, v39
	v_not_b32_e32 v39, v40
	s_wait_alu 0xf1ff
	v_xor_b32_e32 v200, s15, v200
	v_cmp_gt_i32_e64 s15, 0, v40
	v_and_b32_e32 v36, exec_lo, v36
	v_not_b32_e32 v40, v42
	v_ashrrev_i32_e32 v39, 31, v39
	s_wait_alu 0xfffd
	v_xor_b32_e32 v38, vcc_lo, v38
	v_cmp_gt_i32_e32 vcc_lo, 0, v42
	v_and_b32_e32 v36, v36, v200
	v_not_b32_e32 v42, v43
	v_ashrrev_i32_e32 v40, 31, v40
	s_wait_alu 0xf1ff
	v_xor_b32_e32 v39, s15, v39
	v_cmp_gt_i32_e64 s15, 0, v43
	v_and_b32_e32 v36, v36, v38
	v_not_b32_e32 v38, v199
	v_ashrrev_i32_e32 v42, 31, v42
	s_wait_alu 0xfffd
	v_xor_b32_e32 v40, vcc_lo, v40
	v_cmp_gt_i32_e32 vcc_lo, 0, v199
	v_and_b32_e32 v36, v36, v39
	v_not_b32_e32 v39, v41
	v_ashrrev_i32_e32 v38, 31, v38
	s_wait_alu 0xf1ff
	v_xor_b32_e32 v42, s15, v42
	v_cmp_gt_i32_e64 s15, 0, v41
	v_and_b32_e32 v36, v36, v40
	v_ashrrev_i32_e32 v39, 31, v39
	s_wait_alu 0xfffd
	v_xor_b32_e32 v38, vcc_lo, v38
	v_mad_u32_u24 v40, v37, 36, v118
	v_mul_u32_u24_e32 v37, 36, v37
	v_and_b32_e32 v36, v36, v42
	s_wait_alu 0xf1ff
	v_xor_b32_e32 v39, s15, v39
	ds_load_b32 v199, v40 offset:1056
	v_add_nc_u32_e32 v201, v118, v37
	v_and_b32_e32 v36, v36, v38
	; wave barrier
	s_delay_alu instid0(VALU_DEP_1) | instskip(NEXT) | instid1(VALU_DEP_1)
	v_and_b32_e32 v36, v36, v39
	v_mbcnt_lo_u32_b32 v200, v36, 0
	v_cmp_ne_u32_e64 s15, 0, v36
	s_delay_alu instid0(VALU_DEP_2)
	v_cmp_eq_u32_e32 vcc_lo, 0, v200
	s_and_b32 s16, s15, vcc_lo
	s_wait_alu 0xfffe
	s_and_saveexec_b32 s15, s16
	s_cbranch_execz .LBB606_750
; %bb.749:                              ;   in Loop: Header=BB606_682 Depth=2
	s_wait_dscnt 0x0
	v_bcnt_u32_b32 v36, v36, v199
	ds_store_b32 v201, v36 offset:1056
.LBB606_750:                            ;   in Loop: Header=BB606_682 Depth=2
	s_wait_alu 0xfffe
	s_or_b32 exec_lo, exec_lo, s15
	; wave barrier
	s_wait_loadcnt_dscnt 0x0
	s_barrier_signal -1
	s_barrier_wait -1
	global_inv scope:SCOPE_SE
	ds_load_2addr_b32 v[42:43], v140 offset1:1
	ds_load_2addr_b32 v[40:41], v141 offset1:1
	;; [unrolled: 1-line block ×4, first 2 shown]
	ds_load_b32 v202, v67 offset:1088
	s_wait_dscnt 0x3
	v_add3_u32 v203, v43, v42, v40
	s_wait_dscnt 0x2
	s_delay_alu instid0(VALU_DEP_1) | instskip(SKIP_1) | instid1(VALU_DEP_1)
	v_add3_u32 v203, v203, v41, v38
	s_wait_dscnt 0x1
	v_add3_u32 v203, v203, v39, v36
	s_wait_dscnt 0x0
	s_delay_alu instid0(VALU_DEP_1) | instskip(NEXT) | instid1(VALU_DEP_1)
	v_add3_u32 v202, v203, v37, v202
	v_mov_b32_dpp v203, v202 row_shr:1 row_mask:0xf bank_mask:0xf
	s_delay_alu instid0(VALU_DEP_1) | instskip(NEXT) | instid1(VALU_DEP_1)
	v_cndmask_b32_e64 v203, v203, 0, s0
	v_add_nc_u32_e32 v202, v203, v202
	s_delay_alu instid0(VALU_DEP_1) | instskip(NEXT) | instid1(VALU_DEP_1)
	v_mov_b32_dpp v203, v202 row_shr:2 row_mask:0xf bank_mask:0xf
	v_cndmask_b32_e64 v203, 0, v203, s1
	s_delay_alu instid0(VALU_DEP_1) | instskip(NEXT) | instid1(VALU_DEP_1)
	v_add_nc_u32_e32 v202, v202, v203
	v_mov_b32_dpp v203, v202 row_shr:4 row_mask:0xf bank_mask:0xf
	s_delay_alu instid0(VALU_DEP_1) | instskip(NEXT) | instid1(VALU_DEP_1)
	v_cndmask_b32_e64 v203, 0, v203, s9
	v_add_nc_u32_e32 v202, v202, v203
	s_delay_alu instid0(VALU_DEP_1) | instskip(NEXT) | instid1(VALU_DEP_1)
	v_mov_b32_dpp v203, v202 row_shr:8 row_mask:0xf bank_mask:0xf
	v_cndmask_b32_e64 v203, 0, v203, s10
	s_delay_alu instid0(VALU_DEP_1) | instskip(SKIP_3) | instid1(VALU_DEP_1)
	v_add_nc_u32_e32 v202, v202, v203
	ds_swizzle_b32 v203, v202 offset:swizzle(BROADCAST,32,15)
	s_wait_dscnt 0x0
	v_cndmask_b32_e64 v203, v203, 0, s11
	v_add_nc_u32_e32 v202, v202, v203
	s_and_saveexec_b32 s15, s3
; %bb.751:                              ;   in Loop: Header=BB606_682 Depth=2
	ds_store_b32 v63, v202 offset:1024
; %bb.752:                              ;   in Loop: Header=BB606_682 Depth=2
	s_wait_alu 0xfffe
	s_or_b32 exec_lo, exec_lo, s15
	s_wait_loadcnt_dscnt 0x0
	s_barrier_signal -1
	s_barrier_wait -1
	global_inv scope:SCOPE_SE
	s_and_saveexec_b32 s15, s4
	s_cbranch_execz .LBB606_754
; %bb.753:                              ;   in Loop: Header=BB606_682 Depth=2
	ds_load_b32 v203, v70 offset:1024
	s_wait_dscnt 0x0
	v_mov_b32_dpp v204, v203 row_shr:1 row_mask:0xf bank_mask:0xf
	s_delay_alu instid0(VALU_DEP_1) | instskip(NEXT) | instid1(VALU_DEP_1)
	v_cndmask_b32_e64 v204, v204, 0, s12
	v_add_nc_u32_e32 v203, v204, v203
	s_delay_alu instid0(VALU_DEP_1) | instskip(NEXT) | instid1(VALU_DEP_1)
	v_mov_b32_dpp v204, v203 row_shr:2 row_mask:0xf bank_mask:0xf
	v_cndmask_b32_e64 v204, 0, v204, s13
	s_delay_alu instid0(VALU_DEP_1) | instskip(NEXT) | instid1(VALU_DEP_1)
	v_add_nc_u32_e32 v203, v203, v204
	v_mov_b32_dpp v204, v203 row_shr:4 row_mask:0xf bank_mask:0xf
	s_delay_alu instid0(VALU_DEP_1) | instskip(NEXT) | instid1(VALU_DEP_1)
	v_cndmask_b32_e64 v204, 0, v204, s14
	v_add_nc_u32_e32 v203, v203, v204
	ds_store_b32 v70, v203 offset:1024
.LBB606_754:                            ;   in Loop: Header=BB606_682 Depth=2
	s_wait_alu 0xfffe
	s_or_b32 exec_lo, exec_lo, s15
	v_mov_b32_e32 v203, 0
	s_wait_loadcnt_dscnt 0x0
	s_barrier_signal -1
	s_barrier_wait -1
	global_inv scope:SCOPE_SE
	s_and_saveexec_b32 s15, s5
; %bb.755:                              ;   in Loop: Header=BB606_682 Depth=2
	ds_load_b32 v203, v63 offset:1020
; %bb.756:                              ;   in Loop: Header=BB606_682 Depth=2
	s_wait_alu 0xfffe
	s_or_b32 exec_lo, exec_lo, s15
	s_wait_dscnt 0x0
	v_add_nc_u32_e32 v202, v203, v202
	ds_bpermute_b32 v202, v113, v202
	s_wait_dscnt 0x0
	v_cndmask_b32_e64 v202, v202, v203, s8
	s_delay_alu instid0(VALU_DEP_1) | instskip(NEXT) | instid1(VALU_DEP_1)
	v_cndmask_b32_e64 v202, v202, 0, s6
	v_add_nc_u32_e32 v42, v202, v42
	s_delay_alu instid0(VALU_DEP_1) | instskip(NEXT) | instid1(VALU_DEP_1)
	v_add_nc_u32_e32 v43, v42, v43
	v_add_nc_u32_e32 v40, v43, v40
	s_delay_alu instid0(VALU_DEP_1) | instskip(NEXT) | instid1(VALU_DEP_1)
	v_add_nc_u32_e32 v41, v40, v41
	;; [unrolled: 3-line block ×3, first 2 shown]
	v_add_nc_u32_e32 v36, v39, v36
	s_delay_alu instid0(VALU_DEP_1)
	v_add_nc_u32_e32 v37, v36, v37
	ds_store_2addr_b32 v139, v39, v36 offset1:1
	ds_store_2addr_b32 v140, v202, v42 offset1:1
	;; [unrolled: 1-line block ×4, first 2 shown]
	ds_store_b32 v67, v37 offset:1088
	s_wait_loadcnt_dscnt 0x0
	s_barrier_signal -1
	s_barrier_wait -1
	global_inv scope:SCOPE_SE
	ds_load_b32 v39, v143 offset:1056
	ds_load_b32 v41, v147 offset:1056
	;; [unrolled: 1-line block ×17, first 2 shown]
	v_mov_b32_e32 v38, 0x1000
	s_and_saveexec_b32 s15, s7
; %bb.757:                              ;   in Loop: Header=BB606_682 Depth=2
	ds_load_b32 v38, v67 offset:1092
; %bb.758:                              ;   in Loop: Header=BB606_682 Depth=2
	s_wait_alu 0xfffe
	s_or_b32 exec_lo, exec_lo, s15
	s_wait_loadcnt_dscnt 0x0
	s_barrier_signal -1
	s_barrier_wait -1
	global_inv scope:SCOPE_SE
	s_and_saveexec_b32 s15, s2
	s_cbranch_execz .LBB606_760
; %bb.759:                              ;   in Loop: Header=BB606_682 Depth=2
	ds_load_b32 v143, v44
	s_wait_dscnt 0x0
	v_sub_nc_u32_e32 v142, v143, v142
	ds_store_b32 v44, v142
.LBB606_760:                            ;   in Loop: Header=BB606_682 Depth=2
	s_wait_alu 0xfffe
	s_or_b32 exec_lo, exec_lo, s15
	v_add_nc_u32_e32 v155, v39, v138
	v_add3_u32 v151, v146, v145, v41
	v_add3_u32 v147, v150, v149, v42
	;; [unrolled: 1-line block ×4, first 2 shown]
	v_lshlrev_b32_e32 v149, 2, v155
	v_add3_u32 v143, v162, v161, v140
	v_add3_u32 v142, v166, v165, v141
	;; [unrolled: 1-line block ×3, first 2 shown]
	v_lshlrev_b32_e32 v36, 2, v151
	v_add3_u32 v141, v170, v169, v163
	v_add3_u32 v42, v194, v193, v37
	v_lshlrev_b32_e32 v37, 2, v147
	v_add3_u32 v140, v174, v173, v168
	ds_store_b32 v149, v136 offset:1024
	v_lshlrev_b32_e32 v136, 2, v146
	v_add3_u32 v139, v178, v177, v171
	v_lshlrev_b32_e32 v149, 2, v145
	v_add3_u32 v138, v182, v181, v175
	v_lshlrev_b32_e32 v150, 2, v143
	v_add3_u32 v39, v186, v185, v179
	ds_store_b32 v36, v137 offset:1024
	ds_store_b32 v37, v144 offset:1024
	;; [unrolled: 1-line block ×5, first 2 shown]
	v_lshlrev_b32_e32 v36, 2, v142
	v_lshlrev_b32_e32 v37, 2, v141
	;; [unrolled: 1-line block ×3, first 2 shown]
	v_add3_u32 v41, v197, v196, v40
	v_lshlrev_b32_e32 v137, 2, v139
	v_add3_u32 v40, v200, v199, v159
	v_lshlrev_b32_e32 v144, 2, v138
	ds_store_b32 v36, v160 offset:1024
	ds_store_b32 v37, v164 offset:1024
	;; [unrolled: 1-line block ×5, first 2 shown]
	v_lshlrev_b32_e32 v36, 2, v39
	v_cmp_lt_u32_e32 vcc_lo, v1, v135
	v_lshlrev_b32_e32 v37, 2, v43
	v_lshlrev_b32_e32 v136, 2, v42
	;; [unrolled: 1-line block ×4, first 2 shown]
	ds_store_b32 v36, v180 offset:1024
	ds_store_b32 v37, v184 offset:1024
	ds_store_b32 v136, v188 offset:1024
	ds_store_b32 v137, v192 offset:1024
	ds_store_b32 v144, v2 offset:1024
	s_wait_loadcnt_dscnt 0x0
	s_barrier_signal -1
	s_barrier_wait -1
	global_inv scope:SCOPE_SE
	s_and_saveexec_b32 s16, vcc_lo
	s_cbranch_execnz .LBB606_829
; %bb.761:                              ;   in Loop: Header=BB606_682 Depth=2
	s_wait_alu 0xfffe
	s_or_b32 exec_lo, exec_lo, s16
	v_cmp_lt_u32_e64 s15, v45, v135
	s_and_saveexec_b32 s17, s15
	s_cbranch_execnz .LBB606_830
.LBB606_762:                            ;   in Loop: Header=BB606_682 Depth=2
	s_wait_alu 0xfffe
	s_or_b32 exec_lo, exec_lo, s17
	v_cmp_lt_u32_e64 s16, v46, v135
	s_and_saveexec_b32 s18, s16
	s_cbranch_execnz .LBB606_831
.LBB606_763:                            ;   in Loop: Header=BB606_682 Depth=2
	s_wait_alu 0xfffe
	s_or_b32 exec_lo, exec_lo, s18
	v_cmp_lt_u32_e64 s17, v47, v135
	s_and_saveexec_b32 s19, s17
	s_cbranch_execnz .LBB606_832
.LBB606_764:                            ;   in Loop: Header=BB606_682 Depth=2
	s_wait_alu 0xfffe
	s_or_b32 exec_lo, exec_lo, s19
	v_cmp_lt_u32_e64 s18, v50, v135
	s_and_saveexec_b32 s20, s18
	s_cbranch_execnz .LBB606_833
.LBB606_765:                            ;   in Loop: Header=BB606_682 Depth=2
	s_wait_alu 0xfffe
	s_or_b32 exec_lo, exec_lo, s20
	v_cmp_lt_u32_e64 s19, v51, v135
	s_and_saveexec_b32 s21, s19
	s_cbranch_execnz .LBB606_834
.LBB606_766:                            ;   in Loop: Header=BB606_682 Depth=2
	s_wait_alu 0xfffe
	s_or_b32 exec_lo, exec_lo, s21
	v_cmp_lt_u32_e64 s20, v52, v135
	s_and_saveexec_b32 s22, s20
	s_cbranch_execnz .LBB606_835
.LBB606_767:                            ;   in Loop: Header=BB606_682 Depth=2
	s_wait_alu 0xfffe
	s_or_b32 exec_lo, exec_lo, s22
	v_cmp_lt_u32_e64 s21, v53, v135
	s_and_saveexec_b32 s23, s21
	s_cbranch_execnz .LBB606_836
.LBB606_768:                            ;   in Loop: Header=BB606_682 Depth=2
	s_wait_alu 0xfffe
	s_or_b32 exec_lo, exec_lo, s23
	v_cmp_lt_u32_e64 s22, v54, v135
	s_and_saveexec_b32 s24, s22
	s_cbranch_execnz .LBB606_837
.LBB606_769:                            ;   in Loop: Header=BB606_682 Depth=2
	s_wait_alu 0xfffe
	s_or_b32 exec_lo, exec_lo, s24
	v_cmp_lt_u32_e64 s23, v55, v135
	s_and_saveexec_b32 s25, s23
	s_cbranch_execnz .LBB606_838
.LBB606_770:                            ;   in Loop: Header=BB606_682 Depth=2
	s_wait_alu 0xfffe
	s_or_b32 exec_lo, exec_lo, s25
	v_cmp_lt_u32_e64 s24, v56, v135
	s_and_saveexec_b32 s26, s24
	s_cbranch_execnz .LBB606_839
.LBB606_771:                            ;   in Loop: Header=BB606_682 Depth=2
	s_wait_alu 0xfffe
	s_or_b32 exec_lo, exec_lo, s26
	v_cmp_lt_u32_e64 s25, v57, v135
	s_and_saveexec_b32 s27, s25
	s_cbranch_execnz .LBB606_840
.LBB606_772:                            ;   in Loop: Header=BB606_682 Depth=2
	s_wait_alu 0xfffe
	s_or_b32 exec_lo, exec_lo, s27
	v_cmp_lt_u32_e64 s26, v58, v135
	s_and_saveexec_b32 s28, s26
	s_cbranch_execnz .LBB606_841
.LBB606_773:                            ;   in Loop: Header=BB606_682 Depth=2
	s_wait_alu 0xfffe
	s_or_b32 exec_lo, exec_lo, s28
	v_cmp_lt_u32_e64 s27, v59, v135
	s_and_saveexec_b32 s29, s27
	s_cbranch_execnz .LBB606_842
.LBB606_774:                            ;   in Loop: Header=BB606_682 Depth=2
	s_wait_alu 0xfffe
	s_or_b32 exec_lo, exec_lo, s29
	v_cmp_lt_u32_e64 s28, v60, v135
	s_and_saveexec_b32 s30, s28
	s_cbranch_execnz .LBB606_843
.LBB606_775:                            ;   in Loop: Header=BB606_682 Depth=2
	s_wait_alu 0xfffe
	s_or_b32 exec_lo, exec_lo, s30
	v_cmp_lt_u32_e64 s29, v61, v135
	s_and_saveexec_b32 s56, s29
	s_cbranch_execz .LBB606_777
.LBB606_776:                            ;   in Loop: Header=BB606_682 Depth=2
	ds_load_b32 v136, v70 offset:16384
	s_wait_dscnt 0x0
	v_lshrrev_b32_e32 v2, s49, v136
	s_delay_alu instid0(VALU_DEP_1) | instskip(NEXT) | instid1(VALU_DEP_1)
	v_and_b32_e32 v2, s48, v2
	v_lshlrev_b32_e32 v2, 2, v2
	ds_load_b32 v2, v2
	s_wait_dscnt 0x0
	v_add_nc_u32_e32 v2, v2, v61
	s_delay_alu instid0(VALU_DEP_1) | instskip(SKIP_1) | instid1(VALU_DEP_2)
	v_lshlrev_b64_e32 v[36:37], 2, v[2:3]
	v_xor_b32_e32 v2, 0x80000000, v136
	v_add_co_u32 v36, s30, s38, v36
	s_wait_alu 0xf1ff
	s_delay_alu instid0(VALU_DEP_3)
	v_add_co_ci_u32_e64 v37, null, s39, v37, s30
	global_store_b32 v[36:37], v2, off
.LBB606_777:                            ;   in Loop: Header=BB606_682 Depth=2
	s_wait_alu 0xfffe
	s_or_b32 exec_lo, exec_lo, s56
	s_lshl_b64 s[56:57], s[42:43], 3
	s_wait_alu 0xfffe
	v_add_co_u32 v36, s30, v114, s56
	s_wait_alu 0xf1ff
	v_add_co_ci_u32_e64 v37, null, s57, v115, s30
	v_cmp_lt_u32_e64 s30, v88, v135
	s_and_saveexec_b32 s42, s30
	s_wait_alu 0xfffe
	s_xor_b32 s30, exec_lo, s42
	s_cbranch_execnz .LBB606_844
; %bb.778:                              ;   in Loop: Header=BB606_682 Depth=2
	s_wait_alu 0xfffe
	s_or_b32 exec_lo, exec_lo, s30
	s_delay_alu instid0(SALU_CYCLE_1)
	s_mov_b32 s42, exec_lo
	v_cmpx_lt_u32_e64 v92, v135
	s_cbranch_execnz .LBB606_845
.LBB606_779:                            ;   in Loop: Header=BB606_682 Depth=2
	s_wait_alu 0xfffe
	s_or_b32 exec_lo, exec_lo, s42
	s_delay_alu instid0(SALU_CYCLE_1)
	s_mov_b32 s42, exec_lo
	v_cmpx_lt_u32_e64 v93, v135
	s_cbranch_execnz .LBB606_846
.LBB606_780:                            ;   in Loop: Header=BB606_682 Depth=2
	s_wait_alu 0xfffe
	s_or_b32 exec_lo, exec_lo, s42
	s_delay_alu instid0(SALU_CYCLE_1)
	s_mov_b32 s42, exec_lo
	v_cmpx_lt_u32_e64 v94, v135
	s_cbranch_execnz .LBB606_847
.LBB606_781:                            ;   in Loop: Header=BB606_682 Depth=2
	s_wait_alu 0xfffe
	s_or_b32 exec_lo, exec_lo, s42
	s_delay_alu instid0(SALU_CYCLE_1)
	s_mov_b32 s42, exec_lo
	v_cmpx_lt_u32_e64 v95, v135
	s_cbranch_execnz .LBB606_848
.LBB606_782:                            ;   in Loop: Header=BB606_682 Depth=2
	s_wait_alu 0xfffe
	s_or_b32 exec_lo, exec_lo, s42
	s_delay_alu instid0(SALU_CYCLE_1)
	s_mov_b32 s42, exec_lo
	v_cmpx_lt_u32_e64 v96, v135
	s_cbranch_execnz .LBB606_849
.LBB606_783:                            ;   in Loop: Header=BB606_682 Depth=2
	s_wait_alu 0xfffe
	s_or_b32 exec_lo, exec_lo, s42
	s_delay_alu instid0(SALU_CYCLE_1)
	s_mov_b32 s42, exec_lo
	v_cmpx_lt_u32_e64 v97, v135
	s_cbranch_execnz .LBB606_850
.LBB606_784:                            ;   in Loop: Header=BB606_682 Depth=2
	s_wait_alu 0xfffe
	s_or_b32 exec_lo, exec_lo, s42
	s_delay_alu instid0(SALU_CYCLE_1)
	s_mov_b32 s42, exec_lo
	v_cmpx_lt_u32_e64 v98, v135
	s_cbranch_execnz .LBB606_851
.LBB606_785:                            ;   in Loop: Header=BB606_682 Depth=2
	s_wait_alu 0xfffe
	s_or_b32 exec_lo, exec_lo, s42
	s_delay_alu instid0(SALU_CYCLE_1)
	s_mov_b32 s42, exec_lo
	v_cmpx_lt_u32_e64 v99, v135
	s_cbranch_execnz .LBB606_852
.LBB606_786:                            ;   in Loop: Header=BB606_682 Depth=2
	s_wait_alu 0xfffe
	s_or_b32 exec_lo, exec_lo, s42
	s_delay_alu instid0(SALU_CYCLE_1)
	s_mov_b32 s42, exec_lo
	v_cmpx_lt_u32_e64 v100, v135
	s_cbranch_execnz .LBB606_853
.LBB606_787:                            ;   in Loop: Header=BB606_682 Depth=2
	s_wait_alu 0xfffe
	s_or_b32 exec_lo, exec_lo, s42
	s_delay_alu instid0(SALU_CYCLE_1)
	s_mov_b32 s42, exec_lo
	v_cmpx_lt_u32_e64 v101, v135
	s_cbranch_execnz .LBB606_854
.LBB606_788:                            ;   in Loop: Header=BB606_682 Depth=2
	s_wait_alu 0xfffe
	s_or_b32 exec_lo, exec_lo, s42
	s_delay_alu instid0(SALU_CYCLE_1)
	s_mov_b32 s42, exec_lo
	v_cmpx_lt_u32_e64 v102, v135
	s_cbranch_execnz .LBB606_855
.LBB606_789:                            ;   in Loop: Header=BB606_682 Depth=2
	s_wait_alu 0xfffe
	s_or_b32 exec_lo, exec_lo, s42
	s_delay_alu instid0(SALU_CYCLE_1)
	s_mov_b32 s42, exec_lo
	v_cmpx_lt_u32_e64 v103, v135
	s_cbranch_execnz .LBB606_856
.LBB606_790:                            ;   in Loop: Header=BB606_682 Depth=2
	s_wait_alu 0xfffe
	s_or_b32 exec_lo, exec_lo, s42
	s_delay_alu instid0(SALU_CYCLE_1)
	s_mov_b32 s42, exec_lo
	v_cmpx_lt_u32_e64 v104, v135
	s_cbranch_execnz .LBB606_857
.LBB606_791:                            ;   in Loop: Header=BB606_682 Depth=2
	s_wait_alu 0xfffe
	s_or_b32 exec_lo, exec_lo, s42
	s_delay_alu instid0(SALU_CYCLE_1)
	s_mov_b32 s42, exec_lo
	v_cmpx_lt_u32_e64 v105, v135
	s_cbranch_execnz .LBB606_858
.LBB606_792:                            ;   in Loop: Header=BB606_682 Depth=2
	s_wait_alu 0xfffe
	s_or_b32 exec_lo, exec_lo, s42
	s_delay_alu instid0(SALU_CYCLE_1)
	s_mov_b32 s42, exec_lo
	v_cmpx_lt_u32_e64 v106, v135
	s_cbranch_execnz .LBB606_859
.LBB606_793:                            ;   in Loop: Header=BB606_682 Depth=2
	s_wait_alu 0xfffe
	s_or_b32 exec_lo, exec_lo, s42
	s_and_saveexec_b32 s30, vcc_lo
	s_cbranch_execnz .LBB606_860
.LBB606_794:                            ;   in Loop: Header=BB606_682 Depth=2
	s_wait_alu 0xfffe
	s_or_b32 exec_lo, exec_lo, s30
	s_and_saveexec_b32 s30, s15
	s_cbranch_execnz .LBB606_861
.LBB606_795:                            ;   in Loop: Header=BB606_682 Depth=2
	s_wait_alu 0xfffe
	s_or_b32 exec_lo, exec_lo, s30
	s_and_saveexec_b32 s30, s16
	s_cbranch_execnz .LBB606_862
.LBB606_796:                            ;   in Loop: Header=BB606_682 Depth=2
	s_wait_alu 0xfffe
	s_or_b32 exec_lo, exec_lo, s30
	s_and_saveexec_b32 s30, s17
	s_cbranch_execnz .LBB606_863
.LBB606_797:                            ;   in Loop: Header=BB606_682 Depth=2
	s_wait_alu 0xfffe
	s_or_b32 exec_lo, exec_lo, s30
	s_and_saveexec_b32 s30, s18
	s_cbranch_execnz .LBB606_864
.LBB606_798:                            ;   in Loop: Header=BB606_682 Depth=2
	s_wait_alu 0xfffe
	s_or_b32 exec_lo, exec_lo, s30
	s_and_saveexec_b32 s30, s19
	s_cbranch_execnz .LBB606_865
.LBB606_799:                            ;   in Loop: Header=BB606_682 Depth=2
	s_wait_alu 0xfffe
	s_or_b32 exec_lo, exec_lo, s30
	s_and_saveexec_b32 s30, s20
	s_cbranch_execnz .LBB606_866
.LBB606_800:                            ;   in Loop: Header=BB606_682 Depth=2
	s_wait_alu 0xfffe
	s_or_b32 exec_lo, exec_lo, s30
	s_and_saveexec_b32 s30, s21
	s_cbranch_execnz .LBB606_867
.LBB606_801:                            ;   in Loop: Header=BB606_682 Depth=2
	s_wait_alu 0xfffe
	s_or_b32 exec_lo, exec_lo, s30
	s_and_saveexec_b32 s30, s22
	s_cbranch_execnz .LBB606_868
.LBB606_802:                            ;   in Loop: Header=BB606_682 Depth=2
	s_wait_alu 0xfffe
	s_or_b32 exec_lo, exec_lo, s30
	s_and_saveexec_b32 s30, s23
	s_cbranch_execnz .LBB606_869
.LBB606_803:                            ;   in Loop: Header=BB606_682 Depth=2
	s_wait_alu 0xfffe
	s_or_b32 exec_lo, exec_lo, s30
	s_and_saveexec_b32 s30, s24
	s_cbranch_execnz .LBB606_870
.LBB606_804:                            ;   in Loop: Header=BB606_682 Depth=2
	s_wait_alu 0xfffe
	s_or_b32 exec_lo, exec_lo, s30
	s_and_saveexec_b32 s30, s25
	s_cbranch_execnz .LBB606_871
.LBB606_805:                            ;   in Loop: Header=BB606_682 Depth=2
	s_wait_alu 0xfffe
	s_or_b32 exec_lo, exec_lo, s30
	s_and_saveexec_b32 s30, s26
	s_cbranch_execnz .LBB606_872
.LBB606_806:                            ;   in Loop: Header=BB606_682 Depth=2
	s_wait_alu 0xfffe
	s_or_b32 exec_lo, exec_lo, s30
	s_and_saveexec_b32 s30, s27
	s_cbranch_execnz .LBB606_873
.LBB606_807:                            ;   in Loop: Header=BB606_682 Depth=2
	s_wait_alu 0xfffe
	s_or_b32 exec_lo, exec_lo, s30
	s_and_saveexec_b32 s30, s28
	s_cbranch_execnz .LBB606_874
.LBB606_808:                            ;   in Loop: Header=BB606_682 Depth=2
	s_wait_alu 0xfffe
	s_or_b32 exec_lo, exec_lo, s30
	s_and_saveexec_b32 s30, s29
	s_cbranch_execz .LBB606_810
.LBB606_809:                            ;   in Loop: Header=BB606_682 Depth=2
	ds_load_b32 v2, v70 offset:16384
	s_wait_dscnt 0x0
	v_lshrrev_b32_e32 v2, s49, v2
	s_delay_alu instid0(VALU_DEP_1)
	v_and_b32_e32 v119, s48, v2
.LBB606_810:                            ;   in Loop: Header=BB606_682 Depth=2
	s_wait_alu 0xfffe
	s_or_b32 exec_lo, exec_lo, s30
	v_lshlrev_b32_e32 v2, 3, v155
	s_wait_loadcnt 0x0
	s_wait_storecnt 0x0
	s_barrier_signal -1
	s_barrier_wait -1
	global_inv scope:SCOPE_SE
	ds_store_b64 v2, v[34:35] offset:1024
	v_lshlrev_b32_e32 v2, 3, v151
	v_lshlrev_b32_e32 v36, 3, v147
	v_lshlrev_b32_e32 v37, 3, v146
	v_lshlrev_b32_e32 v135, 3, v145
	v_lshlrev_b32_e32 v136, 3, v143
	ds_store_b64 v2, v[32:33] offset:1024
	ds_store_b64 v36, v[30:31] offset:1024
	ds_store_b64 v37, v[28:29] offset:1024
	ds_store_b64 v135, v[26:27] offset:1024
	ds_store_b64 v136, v[24:25] offset:1024
	v_lshlrev_b32_e32 v2, 3, v142
	v_lshlrev_b32_e32 v36, 3, v141
	v_lshlrev_b32_e32 v37, 3, v140
	v_lshlrev_b32_e32 v135, 3, v139
	v_lshlrev_b32_e32 v136, 3, v138
	ds_store_b64 v2, v[22:23] offset:1024
	ds_store_b64 v36, v[20:21] offset:1024
	ds_store_b64 v37, v[18:19] offset:1024
	ds_store_b64 v135, v[16:17] offset:1024
	ds_store_b64 v136, v[14:15] offset:1024
	v_lshlrev_b32_e32 v2, 3, v39
	v_lshlrev_b32_e32 v36, 3, v43
	v_lshlrev_b32_e32 v37, 3, v42
	v_lshlrev_b32_e32 v39, 3, v41
	v_lshlrev_b32_e32 v40, 3, v40
	ds_store_b64 v2, v[12:13] offset:1024
	ds_store_b64 v36, v[10:11] offset:1024
	ds_store_b64 v37, v[8:9] offset:1024
	ds_store_b64 v39, v[6:7] offset:1024
	ds_store_b64 v40, v[4:5] offset:1024
	s_wait_loadcnt_dscnt 0x0
	s_barrier_signal -1
	s_barrier_wait -1
	global_inv scope:SCOPE_SE
	s_and_saveexec_b32 s30, vcc_lo
	s_cbranch_execnz .LBB606_875
; %bb.811:                              ;   in Loop: Header=BB606_682 Depth=2
	s_wait_alu 0xfffe
	s_or_b32 exec_lo, exec_lo, s30
	s_and_saveexec_b32 s30, s15
	s_cbranch_execnz .LBB606_876
.LBB606_812:                            ;   in Loop: Header=BB606_682 Depth=2
	s_wait_alu 0xfffe
	s_or_b32 exec_lo, exec_lo, s30
	s_and_saveexec_b32 s15, s16
	s_cbranch_execnz .LBB606_877
.LBB606_813:                            ;   in Loop: Header=BB606_682 Depth=2
	s_wait_alu 0xfffe
	s_or_b32 exec_lo, exec_lo, s15
	s_and_saveexec_b32 s15, s17
	s_cbranch_execnz .LBB606_878
.LBB606_814:                            ;   in Loop: Header=BB606_682 Depth=2
	s_wait_alu 0xfffe
	s_or_b32 exec_lo, exec_lo, s15
	s_and_saveexec_b32 s15, s18
	s_cbranch_execnz .LBB606_879
.LBB606_815:                            ;   in Loop: Header=BB606_682 Depth=2
	s_wait_alu 0xfffe
	s_or_b32 exec_lo, exec_lo, s15
	s_and_saveexec_b32 s15, s19
	s_cbranch_execnz .LBB606_880
.LBB606_816:                            ;   in Loop: Header=BB606_682 Depth=2
	s_wait_alu 0xfffe
	s_or_b32 exec_lo, exec_lo, s15
	s_and_saveexec_b32 s15, s20
	s_cbranch_execnz .LBB606_881
.LBB606_817:                            ;   in Loop: Header=BB606_682 Depth=2
	s_wait_alu 0xfffe
	s_or_b32 exec_lo, exec_lo, s15
	s_and_saveexec_b32 s15, s21
	s_cbranch_execnz .LBB606_882
.LBB606_818:                            ;   in Loop: Header=BB606_682 Depth=2
	s_wait_alu 0xfffe
	s_or_b32 exec_lo, exec_lo, s15
	s_and_saveexec_b32 s15, s22
	s_cbranch_execnz .LBB606_883
.LBB606_819:                            ;   in Loop: Header=BB606_682 Depth=2
	s_wait_alu 0xfffe
	s_or_b32 exec_lo, exec_lo, s15
	s_and_saveexec_b32 s15, s23
	s_cbranch_execnz .LBB606_884
.LBB606_820:                            ;   in Loop: Header=BB606_682 Depth=2
	s_wait_alu 0xfffe
	s_or_b32 exec_lo, exec_lo, s15
	s_and_saveexec_b32 s15, s24
	s_cbranch_execnz .LBB606_885
.LBB606_821:                            ;   in Loop: Header=BB606_682 Depth=2
	s_wait_alu 0xfffe
	s_or_b32 exec_lo, exec_lo, s15
	s_and_saveexec_b32 s15, s25
	s_cbranch_execnz .LBB606_886
.LBB606_822:                            ;   in Loop: Header=BB606_682 Depth=2
	s_wait_alu 0xfffe
	s_or_b32 exec_lo, exec_lo, s15
	s_and_saveexec_b32 s15, s26
	s_cbranch_execnz .LBB606_887
.LBB606_823:                            ;   in Loop: Header=BB606_682 Depth=2
	s_wait_alu 0xfffe
	s_or_b32 exec_lo, exec_lo, s15
	s_and_saveexec_b32 s15, s27
	s_cbranch_execnz .LBB606_888
.LBB606_824:                            ;   in Loop: Header=BB606_682 Depth=2
	s_wait_alu 0xfffe
	s_or_b32 exec_lo, exec_lo, s15
	s_and_saveexec_b32 s15, s28
	s_cbranch_execnz .LBB606_889
.LBB606_825:                            ;   in Loop: Header=BB606_682 Depth=2
	s_wait_alu 0xfffe
	s_or_b32 exec_lo, exec_lo, s15
	s_and_saveexec_b32 s15, s29
	s_cbranch_execz .LBB606_827
.LBB606_826:                            ;   in Loop: Header=BB606_682 Depth=2
	v_lshlrev_b32_e32 v2, 2, v119
	v_add_nc_u32_e32 v36, v70, v44
	ds_load_b32 v2, v2
	ds_load_b64 v[36:37], v36 offset:31744
	s_wait_dscnt 0x1
	v_add_nc_u32_e32 v2, v2, v61
	s_delay_alu instid0(VALU_DEP_1) | instskip(NEXT) | instid1(VALU_DEP_1)
	v_lshlrev_b64_e32 v[39:40], 3, v[2:3]
	v_add_co_u32 v39, vcc_lo, s44, v39
	s_wait_alu 0xfffd
	s_delay_alu instid0(VALU_DEP_2)
	v_add_co_ci_u32_e64 v40, null, s45, v40, vcc_lo
	s_wait_dscnt 0x0
	global_store_b64 v[39:40], v[36:37], off
.LBB606_827:                            ;   in Loop: Header=BB606_682 Depth=2
	s_wait_alu 0xfffe
	s_or_b32 exec_lo, exec_lo, s15
	s_wait_loadcnt 0x0
	s_wait_storecnt 0x0
	s_barrier_signal -1
	s_barrier_wait -1
	global_inv scope:SCOPE_SE
	s_and_saveexec_b32 s15, s2
	s_cbranch_execz .LBB606_681
; %bb.828:                              ;   in Loop: Header=BB606_682 Depth=2
	ds_load_b32 v2, v44
	s_wait_dscnt 0x0
	v_add_nc_u32_e32 v2, v2, v38
	ds_store_b32 v44, v2
	s_branch .LBB606_681
.LBB606_829:                            ;   in Loop: Header=BB606_682 Depth=2
	ds_load_b32 v136, v70 offset:1024
	s_wait_dscnt 0x0
	v_lshrrev_b32_e32 v2, s49, v136
	s_delay_alu instid0(VALU_DEP_1) | instskip(NEXT) | instid1(VALU_DEP_1)
	v_and_b32_e32 v2, s48, v2
	v_lshlrev_b32_e32 v2, 2, v2
	ds_load_b32 v2, v2
	s_wait_dscnt 0x0
	v_add_nc_u32_e32 v2, v2, v1
	s_delay_alu instid0(VALU_DEP_1) | instskip(SKIP_1) | instid1(VALU_DEP_2)
	v_lshlrev_b64_e32 v[36:37], 2, v[2:3]
	v_xor_b32_e32 v2, 0x80000000, v136
	v_add_co_u32 v36, s15, s38, v36
	s_wait_alu 0xf1ff
	s_delay_alu instid0(VALU_DEP_3)
	v_add_co_ci_u32_e64 v37, null, s39, v37, s15
	global_store_b32 v[36:37], v2, off
	s_wait_alu 0xfffe
	s_or_b32 exec_lo, exec_lo, s16
	v_cmp_lt_u32_e64 s15, v45, v135
	s_and_saveexec_b32 s17, s15
	s_cbranch_execz .LBB606_762
.LBB606_830:                            ;   in Loop: Header=BB606_682 Depth=2
	ds_load_b32 v136, v70 offset:2048
	s_wait_dscnt 0x0
	v_lshrrev_b32_e32 v2, s49, v136
	s_delay_alu instid0(VALU_DEP_1) | instskip(NEXT) | instid1(VALU_DEP_1)
	v_and_b32_e32 v2, s48, v2
	v_lshlrev_b32_e32 v2, 2, v2
	ds_load_b32 v2, v2
	s_wait_dscnt 0x0
	v_add_nc_u32_e32 v2, v2, v45
	s_delay_alu instid0(VALU_DEP_1) | instskip(SKIP_1) | instid1(VALU_DEP_2)
	v_lshlrev_b64_e32 v[36:37], 2, v[2:3]
	v_xor_b32_e32 v2, 0x80000000, v136
	v_add_co_u32 v36, s16, s38, v36
	s_wait_alu 0xf1ff
	s_delay_alu instid0(VALU_DEP_3)
	v_add_co_ci_u32_e64 v37, null, s39, v37, s16
	global_store_b32 v[36:37], v2, off
	s_wait_alu 0xfffe
	s_or_b32 exec_lo, exec_lo, s17
	v_cmp_lt_u32_e64 s16, v46, v135
	s_and_saveexec_b32 s18, s16
	s_cbranch_execz .LBB606_763
.LBB606_831:                            ;   in Loop: Header=BB606_682 Depth=2
	ds_load_b32 v136, v70 offset:3072
	s_wait_dscnt 0x0
	v_lshrrev_b32_e32 v2, s49, v136
	s_delay_alu instid0(VALU_DEP_1) | instskip(NEXT) | instid1(VALU_DEP_1)
	v_and_b32_e32 v2, s48, v2
	v_lshlrev_b32_e32 v2, 2, v2
	ds_load_b32 v2, v2
	s_wait_dscnt 0x0
	v_add_nc_u32_e32 v2, v2, v46
	s_delay_alu instid0(VALU_DEP_1) | instskip(SKIP_1) | instid1(VALU_DEP_2)
	v_lshlrev_b64_e32 v[36:37], 2, v[2:3]
	v_xor_b32_e32 v2, 0x80000000, v136
	v_add_co_u32 v36, s17, s38, v36
	s_wait_alu 0xf1ff
	s_delay_alu instid0(VALU_DEP_3)
	v_add_co_ci_u32_e64 v37, null, s39, v37, s17
	global_store_b32 v[36:37], v2, off
	s_wait_alu 0xfffe
	s_or_b32 exec_lo, exec_lo, s18
	v_cmp_lt_u32_e64 s17, v47, v135
	s_and_saveexec_b32 s19, s17
	s_cbranch_execz .LBB606_764
.LBB606_832:                            ;   in Loop: Header=BB606_682 Depth=2
	ds_load_b32 v136, v70 offset:4096
	s_wait_dscnt 0x0
	v_lshrrev_b32_e32 v2, s49, v136
	s_delay_alu instid0(VALU_DEP_1) | instskip(NEXT) | instid1(VALU_DEP_1)
	v_and_b32_e32 v2, s48, v2
	v_lshlrev_b32_e32 v2, 2, v2
	ds_load_b32 v2, v2
	s_wait_dscnt 0x0
	v_add_nc_u32_e32 v2, v2, v47
	s_delay_alu instid0(VALU_DEP_1) | instskip(SKIP_1) | instid1(VALU_DEP_2)
	v_lshlrev_b64_e32 v[36:37], 2, v[2:3]
	v_xor_b32_e32 v2, 0x80000000, v136
	v_add_co_u32 v36, s18, s38, v36
	s_wait_alu 0xf1ff
	s_delay_alu instid0(VALU_DEP_3)
	v_add_co_ci_u32_e64 v37, null, s39, v37, s18
	global_store_b32 v[36:37], v2, off
	s_wait_alu 0xfffe
	s_or_b32 exec_lo, exec_lo, s19
	v_cmp_lt_u32_e64 s18, v50, v135
	s_and_saveexec_b32 s20, s18
	s_cbranch_execz .LBB606_765
.LBB606_833:                            ;   in Loop: Header=BB606_682 Depth=2
	ds_load_b32 v136, v70 offset:5120
	s_wait_dscnt 0x0
	v_lshrrev_b32_e32 v2, s49, v136
	s_delay_alu instid0(VALU_DEP_1) | instskip(NEXT) | instid1(VALU_DEP_1)
	v_and_b32_e32 v2, s48, v2
	v_lshlrev_b32_e32 v2, 2, v2
	ds_load_b32 v2, v2
	s_wait_dscnt 0x0
	v_add_nc_u32_e32 v2, v2, v50
	s_delay_alu instid0(VALU_DEP_1) | instskip(SKIP_1) | instid1(VALU_DEP_2)
	v_lshlrev_b64_e32 v[36:37], 2, v[2:3]
	v_xor_b32_e32 v2, 0x80000000, v136
	v_add_co_u32 v36, s19, s38, v36
	s_wait_alu 0xf1ff
	s_delay_alu instid0(VALU_DEP_3)
	v_add_co_ci_u32_e64 v37, null, s39, v37, s19
	global_store_b32 v[36:37], v2, off
	s_wait_alu 0xfffe
	s_or_b32 exec_lo, exec_lo, s20
	v_cmp_lt_u32_e64 s19, v51, v135
	s_and_saveexec_b32 s21, s19
	s_cbranch_execz .LBB606_766
.LBB606_834:                            ;   in Loop: Header=BB606_682 Depth=2
	ds_load_b32 v136, v70 offset:6144
	s_wait_dscnt 0x0
	v_lshrrev_b32_e32 v2, s49, v136
	s_delay_alu instid0(VALU_DEP_1) | instskip(NEXT) | instid1(VALU_DEP_1)
	v_and_b32_e32 v2, s48, v2
	v_lshlrev_b32_e32 v2, 2, v2
	ds_load_b32 v2, v2
	s_wait_dscnt 0x0
	v_add_nc_u32_e32 v2, v2, v51
	s_delay_alu instid0(VALU_DEP_1) | instskip(SKIP_1) | instid1(VALU_DEP_2)
	v_lshlrev_b64_e32 v[36:37], 2, v[2:3]
	v_xor_b32_e32 v2, 0x80000000, v136
	v_add_co_u32 v36, s20, s38, v36
	s_wait_alu 0xf1ff
	s_delay_alu instid0(VALU_DEP_3)
	v_add_co_ci_u32_e64 v37, null, s39, v37, s20
	global_store_b32 v[36:37], v2, off
	s_wait_alu 0xfffe
	s_or_b32 exec_lo, exec_lo, s21
	v_cmp_lt_u32_e64 s20, v52, v135
	s_and_saveexec_b32 s22, s20
	s_cbranch_execz .LBB606_767
.LBB606_835:                            ;   in Loop: Header=BB606_682 Depth=2
	ds_load_b32 v136, v70 offset:7168
	s_wait_dscnt 0x0
	v_lshrrev_b32_e32 v2, s49, v136
	s_delay_alu instid0(VALU_DEP_1) | instskip(NEXT) | instid1(VALU_DEP_1)
	v_and_b32_e32 v2, s48, v2
	v_lshlrev_b32_e32 v2, 2, v2
	ds_load_b32 v2, v2
	s_wait_dscnt 0x0
	v_add_nc_u32_e32 v2, v2, v52
	s_delay_alu instid0(VALU_DEP_1) | instskip(SKIP_1) | instid1(VALU_DEP_2)
	v_lshlrev_b64_e32 v[36:37], 2, v[2:3]
	v_xor_b32_e32 v2, 0x80000000, v136
	v_add_co_u32 v36, s21, s38, v36
	s_wait_alu 0xf1ff
	s_delay_alu instid0(VALU_DEP_3)
	v_add_co_ci_u32_e64 v37, null, s39, v37, s21
	global_store_b32 v[36:37], v2, off
	s_wait_alu 0xfffe
	s_or_b32 exec_lo, exec_lo, s22
	v_cmp_lt_u32_e64 s21, v53, v135
	s_and_saveexec_b32 s23, s21
	s_cbranch_execz .LBB606_768
.LBB606_836:                            ;   in Loop: Header=BB606_682 Depth=2
	ds_load_b32 v136, v70 offset:8192
	s_wait_dscnt 0x0
	v_lshrrev_b32_e32 v2, s49, v136
	s_delay_alu instid0(VALU_DEP_1) | instskip(NEXT) | instid1(VALU_DEP_1)
	v_and_b32_e32 v2, s48, v2
	v_lshlrev_b32_e32 v2, 2, v2
	ds_load_b32 v2, v2
	s_wait_dscnt 0x0
	v_add_nc_u32_e32 v2, v2, v53
	s_delay_alu instid0(VALU_DEP_1) | instskip(SKIP_1) | instid1(VALU_DEP_2)
	v_lshlrev_b64_e32 v[36:37], 2, v[2:3]
	v_xor_b32_e32 v2, 0x80000000, v136
	v_add_co_u32 v36, s22, s38, v36
	s_wait_alu 0xf1ff
	s_delay_alu instid0(VALU_DEP_3)
	v_add_co_ci_u32_e64 v37, null, s39, v37, s22
	global_store_b32 v[36:37], v2, off
	s_wait_alu 0xfffe
	s_or_b32 exec_lo, exec_lo, s23
	v_cmp_lt_u32_e64 s22, v54, v135
	s_and_saveexec_b32 s24, s22
	s_cbranch_execz .LBB606_769
.LBB606_837:                            ;   in Loop: Header=BB606_682 Depth=2
	ds_load_b32 v136, v70 offset:9216
	s_wait_dscnt 0x0
	v_lshrrev_b32_e32 v2, s49, v136
	s_delay_alu instid0(VALU_DEP_1) | instskip(NEXT) | instid1(VALU_DEP_1)
	v_and_b32_e32 v2, s48, v2
	v_lshlrev_b32_e32 v2, 2, v2
	ds_load_b32 v2, v2
	s_wait_dscnt 0x0
	v_add_nc_u32_e32 v2, v2, v54
	s_delay_alu instid0(VALU_DEP_1) | instskip(SKIP_1) | instid1(VALU_DEP_2)
	v_lshlrev_b64_e32 v[36:37], 2, v[2:3]
	v_xor_b32_e32 v2, 0x80000000, v136
	v_add_co_u32 v36, s23, s38, v36
	s_wait_alu 0xf1ff
	s_delay_alu instid0(VALU_DEP_3)
	v_add_co_ci_u32_e64 v37, null, s39, v37, s23
	global_store_b32 v[36:37], v2, off
	s_wait_alu 0xfffe
	s_or_b32 exec_lo, exec_lo, s24
	v_cmp_lt_u32_e64 s23, v55, v135
	s_and_saveexec_b32 s25, s23
	s_cbranch_execz .LBB606_770
.LBB606_838:                            ;   in Loop: Header=BB606_682 Depth=2
	ds_load_b32 v136, v70 offset:10240
	s_wait_dscnt 0x0
	v_lshrrev_b32_e32 v2, s49, v136
	s_delay_alu instid0(VALU_DEP_1) | instskip(NEXT) | instid1(VALU_DEP_1)
	v_and_b32_e32 v2, s48, v2
	v_lshlrev_b32_e32 v2, 2, v2
	ds_load_b32 v2, v2
	s_wait_dscnt 0x0
	v_add_nc_u32_e32 v2, v2, v55
	s_delay_alu instid0(VALU_DEP_1) | instskip(SKIP_1) | instid1(VALU_DEP_2)
	v_lshlrev_b64_e32 v[36:37], 2, v[2:3]
	v_xor_b32_e32 v2, 0x80000000, v136
	v_add_co_u32 v36, s24, s38, v36
	s_wait_alu 0xf1ff
	s_delay_alu instid0(VALU_DEP_3)
	v_add_co_ci_u32_e64 v37, null, s39, v37, s24
	global_store_b32 v[36:37], v2, off
	s_wait_alu 0xfffe
	s_or_b32 exec_lo, exec_lo, s25
	v_cmp_lt_u32_e64 s24, v56, v135
	s_and_saveexec_b32 s26, s24
	s_cbranch_execz .LBB606_771
.LBB606_839:                            ;   in Loop: Header=BB606_682 Depth=2
	ds_load_b32 v136, v70 offset:11264
	s_wait_dscnt 0x0
	v_lshrrev_b32_e32 v2, s49, v136
	s_delay_alu instid0(VALU_DEP_1) | instskip(NEXT) | instid1(VALU_DEP_1)
	v_and_b32_e32 v2, s48, v2
	v_lshlrev_b32_e32 v2, 2, v2
	ds_load_b32 v2, v2
	s_wait_dscnt 0x0
	v_add_nc_u32_e32 v2, v2, v56
	s_delay_alu instid0(VALU_DEP_1) | instskip(SKIP_1) | instid1(VALU_DEP_2)
	v_lshlrev_b64_e32 v[36:37], 2, v[2:3]
	v_xor_b32_e32 v2, 0x80000000, v136
	v_add_co_u32 v36, s25, s38, v36
	s_wait_alu 0xf1ff
	s_delay_alu instid0(VALU_DEP_3)
	v_add_co_ci_u32_e64 v37, null, s39, v37, s25
	global_store_b32 v[36:37], v2, off
	s_wait_alu 0xfffe
	s_or_b32 exec_lo, exec_lo, s26
	v_cmp_lt_u32_e64 s25, v57, v135
	s_and_saveexec_b32 s27, s25
	s_cbranch_execz .LBB606_772
.LBB606_840:                            ;   in Loop: Header=BB606_682 Depth=2
	ds_load_b32 v136, v70 offset:12288
	s_wait_dscnt 0x0
	v_lshrrev_b32_e32 v2, s49, v136
	s_delay_alu instid0(VALU_DEP_1) | instskip(NEXT) | instid1(VALU_DEP_1)
	v_and_b32_e32 v2, s48, v2
	v_lshlrev_b32_e32 v2, 2, v2
	ds_load_b32 v2, v2
	s_wait_dscnt 0x0
	v_add_nc_u32_e32 v2, v2, v57
	s_delay_alu instid0(VALU_DEP_1) | instskip(SKIP_1) | instid1(VALU_DEP_2)
	v_lshlrev_b64_e32 v[36:37], 2, v[2:3]
	v_xor_b32_e32 v2, 0x80000000, v136
	v_add_co_u32 v36, s26, s38, v36
	s_wait_alu 0xf1ff
	s_delay_alu instid0(VALU_DEP_3)
	v_add_co_ci_u32_e64 v37, null, s39, v37, s26
	global_store_b32 v[36:37], v2, off
	s_wait_alu 0xfffe
	s_or_b32 exec_lo, exec_lo, s27
	v_cmp_lt_u32_e64 s26, v58, v135
	s_and_saveexec_b32 s28, s26
	s_cbranch_execz .LBB606_773
.LBB606_841:                            ;   in Loop: Header=BB606_682 Depth=2
	ds_load_b32 v136, v70 offset:13312
	s_wait_dscnt 0x0
	v_lshrrev_b32_e32 v2, s49, v136
	s_delay_alu instid0(VALU_DEP_1) | instskip(NEXT) | instid1(VALU_DEP_1)
	v_and_b32_e32 v2, s48, v2
	v_lshlrev_b32_e32 v2, 2, v2
	ds_load_b32 v2, v2
	s_wait_dscnt 0x0
	v_add_nc_u32_e32 v2, v2, v58
	s_delay_alu instid0(VALU_DEP_1) | instskip(SKIP_1) | instid1(VALU_DEP_2)
	v_lshlrev_b64_e32 v[36:37], 2, v[2:3]
	v_xor_b32_e32 v2, 0x80000000, v136
	v_add_co_u32 v36, s27, s38, v36
	s_wait_alu 0xf1ff
	s_delay_alu instid0(VALU_DEP_3)
	v_add_co_ci_u32_e64 v37, null, s39, v37, s27
	global_store_b32 v[36:37], v2, off
	s_wait_alu 0xfffe
	s_or_b32 exec_lo, exec_lo, s28
	v_cmp_lt_u32_e64 s27, v59, v135
	s_and_saveexec_b32 s29, s27
	s_cbranch_execz .LBB606_774
.LBB606_842:                            ;   in Loop: Header=BB606_682 Depth=2
	ds_load_b32 v136, v70 offset:14336
	s_wait_dscnt 0x0
	v_lshrrev_b32_e32 v2, s49, v136
	s_delay_alu instid0(VALU_DEP_1) | instskip(NEXT) | instid1(VALU_DEP_1)
	v_and_b32_e32 v2, s48, v2
	v_lshlrev_b32_e32 v2, 2, v2
	ds_load_b32 v2, v2
	s_wait_dscnt 0x0
	v_add_nc_u32_e32 v2, v2, v59
	s_delay_alu instid0(VALU_DEP_1) | instskip(SKIP_1) | instid1(VALU_DEP_2)
	v_lshlrev_b64_e32 v[36:37], 2, v[2:3]
	v_xor_b32_e32 v2, 0x80000000, v136
	v_add_co_u32 v36, s28, s38, v36
	s_wait_alu 0xf1ff
	s_delay_alu instid0(VALU_DEP_3)
	v_add_co_ci_u32_e64 v37, null, s39, v37, s28
	global_store_b32 v[36:37], v2, off
	s_wait_alu 0xfffe
	s_or_b32 exec_lo, exec_lo, s29
	v_cmp_lt_u32_e64 s28, v60, v135
	s_and_saveexec_b32 s30, s28
	s_cbranch_execz .LBB606_775
.LBB606_843:                            ;   in Loop: Header=BB606_682 Depth=2
	ds_load_b32 v136, v70 offset:15360
	s_wait_dscnt 0x0
	v_lshrrev_b32_e32 v2, s49, v136
	s_delay_alu instid0(VALU_DEP_1) | instskip(NEXT) | instid1(VALU_DEP_1)
	v_and_b32_e32 v2, s48, v2
	v_lshlrev_b32_e32 v2, 2, v2
	ds_load_b32 v2, v2
	s_wait_dscnt 0x0
	v_add_nc_u32_e32 v2, v2, v60
	s_delay_alu instid0(VALU_DEP_1) | instskip(SKIP_1) | instid1(VALU_DEP_2)
	v_lshlrev_b64_e32 v[36:37], 2, v[2:3]
	v_xor_b32_e32 v2, 0x80000000, v136
	v_add_co_u32 v36, s29, s38, v36
	s_wait_alu 0xf1ff
	s_delay_alu instid0(VALU_DEP_3)
	v_add_co_ci_u32_e64 v37, null, s39, v37, s29
	global_store_b32 v[36:37], v2, off
	s_wait_alu 0xfffe
	s_or_b32 exec_lo, exec_lo, s30
	v_cmp_lt_u32_e64 s29, v61, v135
	s_and_saveexec_b32 s56, s29
	s_cbranch_execnz .LBB606_776
	s_branch .LBB606_777
.LBB606_844:                            ;   in Loop: Header=BB606_682 Depth=2
	global_load_b64 v[34:35], v[36:37], off
	s_wait_alu 0xfffe
	s_or_b32 exec_lo, exec_lo, s30
	s_delay_alu instid0(SALU_CYCLE_1)
	s_mov_b32 s42, exec_lo
	v_cmpx_lt_u32_e64 v92, v135
	s_cbranch_execz .LBB606_779
.LBB606_845:                            ;   in Loop: Header=BB606_682 Depth=2
	global_load_b64 v[32:33], v[36:37], off offset:256
	s_wait_alu 0xfffe
	s_or_b32 exec_lo, exec_lo, s42
	s_delay_alu instid0(SALU_CYCLE_1)
	s_mov_b32 s42, exec_lo
	v_cmpx_lt_u32_e64 v93, v135
	s_cbranch_execz .LBB606_780
.LBB606_846:                            ;   in Loop: Header=BB606_682 Depth=2
	global_load_b64 v[30:31], v[36:37], off offset:512
	s_wait_alu 0xfffe
	s_or_b32 exec_lo, exec_lo, s42
	s_delay_alu instid0(SALU_CYCLE_1)
	s_mov_b32 s42, exec_lo
	v_cmpx_lt_u32_e64 v94, v135
	s_cbranch_execz .LBB606_781
.LBB606_847:                            ;   in Loop: Header=BB606_682 Depth=2
	global_load_b64 v[28:29], v[36:37], off offset:768
	s_wait_alu 0xfffe
	s_or_b32 exec_lo, exec_lo, s42
	s_delay_alu instid0(SALU_CYCLE_1)
	s_mov_b32 s42, exec_lo
	v_cmpx_lt_u32_e64 v95, v135
	s_cbranch_execz .LBB606_782
.LBB606_848:                            ;   in Loop: Header=BB606_682 Depth=2
	global_load_b64 v[26:27], v[36:37], off offset:1024
	s_wait_alu 0xfffe
	s_or_b32 exec_lo, exec_lo, s42
	s_delay_alu instid0(SALU_CYCLE_1)
	s_mov_b32 s42, exec_lo
	v_cmpx_lt_u32_e64 v96, v135
	s_cbranch_execz .LBB606_783
.LBB606_849:                            ;   in Loop: Header=BB606_682 Depth=2
	global_load_b64 v[24:25], v[36:37], off offset:1280
	s_wait_alu 0xfffe
	s_or_b32 exec_lo, exec_lo, s42
	s_delay_alu instid0(SALU_CYCLE_1)
	s_mov_b32 s42, exec_lo
	v_cmpx_lt_u32_e64 v97, v135
	s_cbranch_execz .LBB606_784
.LBB606_850:                            ;   in Loop: Header=BB606_682 Depth=2
	global_load_b64 v[22:23], v[36:37], off offset:1536
	s_wait_alu 0xfffe
	s_or_b32 exec_lo, exec_lo, s42
	s_delay_alu instid0(SALU_CYCLE_1)
	s_mov_b32 s42, exec_lo
	v_cmpx_lt_u32_e64 v98, v135
	s_cbranch_execz .LBB606_785
.LBB606_851:                            ;   in Loop: Header=BB606_682 Depth=2
	global_load_b64 v[20:21], v[36:37], off offset:1792
	s_wait_alu 0xfffe
	s_or_b32 exec_lo, exec_lo, s42
	s_delay_alu instid0(SALU_CYCLE_1)
	s_mov_b32 s42, exec_lo
	v_cmpx_lt_u32_e64 v99, v135
	s_cbranch_execz .LBB606_786
.LBB606_852:                            ;   in Loop: Header=BB606_682 Depth=2
	global_load_b64 v[18:19], v[36:37], off offset:2048
	s_wait_alu 0xfffe
	s_or_b32 exec_lo, exec_lo, s42
	s_delay_alu instid0(SALU_CYCLE_1)
	s_mov_b32 s42, exec_lo
	v_cmpx_lt_u32_e64 v100, v135
	s_cbranch_execz .LBB606_787
.LBB606_853:                            ;   in Loop: Header=BB606_682 Depth=2
	global_load_b64 v[16:17], v[36:37], off offset:2304
	s_wait_alu 0xfffe
	s_or_b32 exec_lo, exec_lo, s42
	s_delay_alu instid0(SALU_CYCLE_1)
	s_mov_b32 s42, exec_lo
	v_cmpx_lt_u32_e64 v101, v135
	s_cbranch_execz .LBB606_788
.LBB606_854:                            ;   in Loop: Header=BB606_682 Depth=2
	global_load_b64 v[14:15], v[36:37], off offset:2560
	s_wait_alu 0xfffe
	s_or_b32 exec_lo, exec_lo, s42
	s_delay_alu instid0(SALU_CYCLE_1)
	s_mov_b32 s42, exec_lo
	v_cmpx_lt_u32_e64 v102, v135
	s_cbranch_execz .LBB606_789
.LBB606_855:                            ;   in Loop: Header=BB606_682 Depth=2
	global_load_b64 v[12:13], v[36:37], off offset:2816
	s_wait_alu 0xfffe
	s_or_b32 exec_lo, exec_lo, s42
	s_delay_alu instid0(SALU_CYCLE_1)
	s_mov_b32 s42, exec_lo
	v_cmpx_lt_u32_e64 v103, v135
	s_cbranch_execz .LBB606_790
.LBB606_856:                            ;   in Loop: Header=BB606_682 Depth=2
	global_load_b64 v[10:11], v[36:37], off offset:3072
	s_wait_alu 0xfffe
	s_or_b32 exec_lo, exec_lo, s42
	s_delay_alu instid0(SALU_CYCLE_1)
	s_mov_b32 s42, exec_lo
	v_cmpx_lt_u32_e64 v104, v135
	s_cbranch_execz .LBB606_791
.LBB606_857:                            ;   in Loop: Header=BB606_682 Depth=2
	global_load_b64 v[8:9], v[36:37], off offset:3328
	s_wait_alu 0xfffe
	s_or_b32 exec_lo, exec_lo, s42
	s_delay_alu instid0(SALU_CYCLE_1)
	s_mov_b32 s42, exec_lo
	v_cmpx_lt_u32_e64 v105, v135
	s_cbranch_execz .LBB606_792
.LBB606_858:                            ;   in Loop: Header=BB606_682 Depth=2
	global_load_b64 v[6:7], v[36:37], off offset:3584
	s_wait_alu 0xfffe
	s_or_b32 exec_lo, exec_lo, s42
	s_delay_alu instid0(SALU_CYCLE_1)
	s_mov_b32 s42, exec_lo
	v_cmpx_lt_u32_e64 v106, v135
	s_cbranch_execz .LBB606_793
.LBB606_859:                            ;   in Loop: Header=BB606_682 Depth=2
	global_load_b64 v[4:5], v[36:37], off offset:3840
	s_wait_alu 0xfffe
	s_or_b32 exec_lo, exec_lo, s42
	s_and_saveexec_b32 s30, vcc_lo
	s_cbranch_execz .LBB606_794
.LBB606_860:                            ;   in Loop: Header=BB606_682 Depth=2
	ds_load_b32 v2, v70 offset:1024
	s_wait_dscnt 0x0
	v_lshrrev_b32_e32 v2, s49, v2
	s_delay_alu instid0(VALU_DEP_1)
	v_and_b32_e32 v134, s48, v2
	s_wait_alu 0xfffe
	s_or_b32 exec_lo, exec_lo, s30
	s_and_saveexec_b32 s30, s15
	s_cbranch_execz .LBB606_795
.LBB606_861:                            ;   in Loop: Header=BB606_682 Depth=2
	ds_load_b32 v2, v70 offset:2048
	s_wait_dscnt 0x0
	v_lshrrev_b32_e32 v2, s49, v2
	s_delay_alu instid0(VALU_DEP_1)
	v_and_b32_e32 v133, s48, v2
	s_wait_alu 0xfffe
	s_or_b32 exec_lo, exec_lo, s30
	s_and_saveexec_b32 s30, s16
	s_cbranch_execz .LBB606_796
.LBB606_862:                            ;   in Loop: Header=BB606_682 Depth=2
	ds_load_b32 v2, v70 offset:3072
	s_wait_dscnt 0x0
	v_lshrrev_b32_e32 v2, s49, v2
	s_delay_alu instid0(VALU_DEP_1)
	v_and_b32_e32 v132, s48, v2
	s_wait_alu 0xfffe
	s_or_b32 exec_lo, exec_lo, s30
	s_and_saveexec_b32 s30, s17
	s_cbranch_execz .LBB606_797
.LBB606_863:                            ;   in Loop: Header=BB606_682 Depth=2
	ds_load_b32 v2, v70 offset:4096
	s_wait_dscnt 0x0
	v_lshrrev_b32_e32 v2, s49, v2
	s_delay_alu instid0(VALU_DEP_1)
	v_and_b32_e32 v131, s48, v2
	s_wait_alu 0xfffe
	s_or_b32 exec_lo, exec_lo, s30
	s_and_saveexec_b32 s30, s18
	s_cbranch_execz .LBB606_798
.LBB606_864:                            ;   in Loop: Header=BB606_682 Depth=2
	ds_load_b32 v2, v70 offset:5120
	s_wait_dscnt 0x0
	v_lshrrev_b32_e32 v2, s49, v2
	s_delay_alu instid0(VALU_DEP_1)
	v_and_b32_e32 v130, s48, v2
	s_wait_alu 0xfffe
	s_or_b32 exec_lo, exec_lo, s30
	s_and_saveexec_b32 s30, s19
	s_cbranch_execz .LBB606_799
.LBB606_865:                            ;   in Loop: Header=BB606_682 Depth=2
	ds_load_b32 v2, v70 offset:6144
	s_wait_dscnt 0x0
	v_lshrrev_b32_e32 v2, s49, v2
	s_delay_alu instid0(VALU_DEP_1)
	v_and_b32_e32 v129, s48, v2
	s_wait_alu 0xfffe
	s_or_b32 exec_lo, exec_lo, s30
	s_and_saveexec_b32 s30, s20
	s_cbranch_execz .LBB606_800
.LBB606_866:                            ;   in Loop: Header=BB606_682 Depth=2
	ds_load_b32 v2, v70 offset:7168
	s_wait_dscnt 0x0
	v_lshrrev_b32_e32 v2, s49, v2
	s_delay_alu instid0(VALU_DEP_1)
	v_and_b32_e32 v128, s48, v2
	s_wait_alu 0xfffe
	s_or_b32 exec_lo, exec_lo, s30
	s_and_saveexec_b32 s30, s21
	s_cbranch_execz .LBB606_801
.LBB606_867:                            ;   in Loop: Header=BB606_682 Depth=2
	ds_load_b32 v2, v70 offset:8192
	s_wait_dscnt 0x0
	v_lshrrev_b32_e32 v2, s49, v2
	s_delay_alu instid0(VALU_DEP_1)
	v_and_b32_e32 v127, s48, v2
	s_wait_alu 0xfffe
	s_or_b32 exec_lo, exec_lo, s30
	s_and_saveexec_b32 s30, s22
	s_cbranch_execz .LBB606_802
.LBB606_868:                            ;   in Loop: Header=BB606_682 Depth=2
	ds_load_b32 v2, v70 offset:9216
	s_wait_dscnt 0x0
	v_lshrrev_b32_e32 v2, s49, v2
	s_delay_alu instid0(VALU_DEP_1)
	v_and_b32_e32 v126, s48, v2
	s_wait_alu 0xfffe
	s_or_b32 exec_lo, exec_lo, s30
	s_and_saveexec_b32 s30, s23
	s_cbranch_execz .LBB606_803
.LBB606_869:                            ;   in Loop: Header=BB606_682 Depth=2
	ds_load_b32 v2, v70 offset:10240
	s_wait_dscnt 0x0
	v_lshrrev_b32_e32 v2, s49, v2
	s_delay_alu instid0(VALU_DEP_1)
	v_and_b32_e32 v125, s48, v2
	s_wait_alu 0xfffe
	s_or_b32 exec_lo, exec_lo, s30
	s_and_saveexec_b32 s30, s24
	s_cbranch_execz .LBB606_804
.LBB606_870:                            ;   in Loop: Header=BB606_682 Depth=2
	ds_load_b32 v2, v70 offset:11264
	s_wait_dscnt 0x0
	v_lshrrev_b32_e32 v2, s49, v2
	s_delay_alu instid0(VALU_DEP_1)
	v_and_b32_e32 v124, s48, v2
	s_wait_alu 0xfffe
	s_or_b32 exec_lo, exec_lo, s30
	s_and_saveexec_b32 s30, s25
	s_cbranch_execz .LBB606_805
.LBB606_871:                            ;   in Loop: Header=BB606_682 Depth=2
	ds_load_b32 v2, v70 offset:12288
	s_wait_dscnt 0x0
	v_lshrrev_b32_e32 v2, s49, v2
	s_delay_alu instid0(VALU_DEP_1)
	v_and_b32_e32 v123, s48, v2
	s_wait_alu 0xfffe
	s_or_b32 exec_lo, exec_lo, s30
	s_and_saveexec_b32 s30, s26
	s_cbranch_execz .LBB606_806
.LBB606_872:                            ;   in Loop: Header=BB606_682 Depth=2
	ds_load_b32 v2, v70 offset:13312
	s_wait_dscnt 0x0
	v_lshrrev_b32_e32 v2, s49, v2
	s_delay_alu instid0(VALU_DEP_1)
	v_and_b32_e32 v122, s48, v2
	s_wait_alu 0xfffe
	s_or_b32 exec_lo, exec_lo, s30
	s_and_saveexec_b32 s30, s27
	s_cbranch_execz .LBB606_807
.LBB606_873:                            ;   in Loop: Header=BB606_682 Depth=2
	ds_load_b32 v2, v70 offset:14336
	s_wait_dscnt 0x0
	v_lshrrev_b32_e32 v2, s49, v2
	s_delay_alu instid0(VALU_DEP_1)
	v_and_b32_e32 v121, s48, v2
	s_wait_alu 0xfffe
	s_or_b32 exec_lo, exec_lo, s30
	s_and_saveexec_b32 s30, s28
	s_cbranch_execz .LBB606_808
.LBB606_874:                            ;   in Loop: Header=BB606_682 Depth=2
	ds_load_b32 v2, v70 offset:15360
	s_wait_dscnt 0x0
	v_lshrrev_b32_e32 v2, s49, v2
	s_delay_alu instid0(VALU_DEP_1)
	v_and_b32_e32 v120, s48, v2
	s_wait_alu 0xfffe
	s_or_b32 exec_lo, exec_lo, s30
	s_and_saveexec_b32 s30, s29
	s_cbranch_execnz .LBB606_809
	s_branch .LBB606_810
.LBB606_875:                            ;   in Loop: Header=BB606_682 Depth=2
	v_lshlrev_b32_e32 v2, 2, v134
	v_add_nc_u32_e32 v36, v70, v44
	ds_load_b32 v2, v2
	ds_load_b64 v[36:37], v36 offset:1024
	s_wait_dscnt 0x1
	v_add_nc_u32_e32 v2, v2, v1
	s_delay_alu instid0(VALU_DEP_1) | instskip(NEXT) | instid1(VALU_DEP_1)
	v_lshlrev_b64_e32 v[39:40], 3, v[2:3]
	v_add_co_u32 v39, vcc_lo, s44, v39
	s_wait_alu 0xfffd
	s_delay_alu instid0(VALU_DEP_2)
	v_add_co_ci_u32_e64 v40, null, s45, v40, vcc_lo
	s_wait_dscnt 0x0
	global_store_b64 v[39:40], v[36:37], off
	s_wait_alu 0xfffe
	s_or_b32 exec_lo, exec_lo, s30
	s_and_saveexec_b32 s30, s15
	s_cbranch_execz .LBB606_812
.LBB606_876:                            ;   in Loop: Header=BB606_682 Depth=2
	v_lshlrev_b32_e32 v2, 2, v133
	v_add_nc_u32_e32 v36, v70, v44
	ds_load_b32 v2, v2
	ds_load_b64 v[36:37], v36 offset:3072
	s_wait_dscnt 0x1
	v_add_nc_u32_e32 v2, v2, v45
	s_delay_alu instid0(VALU_DEP_1) | instskip(NEXT) | instid1(VALU_DEP_1)
	v_lshlrev_b64_e32 v[39:40], 3, v[2:3]
	v_add_co_u32 v39, vcc_lo, s44, v39
	s_wait_alu 0xfffd
	s_delay_alu instid0(VALU_DEP_2)
	v_add_co_ci_u32_e64 v40, null, s45, v40, vcc_lo
	s_wait_dscnt 0x0
	global_store_b64 v[39:40], v[36:37], off
	s_wait_alu 0xfffe
	s_or_b32 exec_lo, exec_lo, s30
	s_and_saveexec_b32 s15, s16
	s_cbranch_execz .LBB606_813
.LBB606_877:                            ;   in Loop: Header=BB606_682 Depth=2
	v_lshlrev_b32_e32 v2, 2, v132
	v_add_nc_u32_e32 v36, v70, v44
	ds_load_b32 v2, v2
	ds_load_b64 v[36:37], v36 offset:5120
	s_wait_dscnt 0x1
	v_add_nc_u32_e32 v2, v2, v46
	s_delay_alu instid0(VALU_DEP_1) | instskip(NEXT) | instid1(VALU_DEP_1)
	v_lshlrev_b64_e32 v[39:40], 3, v[2:3]
	v_add_co_u32 v39, vcc_lo, s44, v39
	s_wait_alu 0xfffd
	s_delay_alu instid0(VALU_DEP_2)
	v_add_co_ci_u32_e64 v40, null, s45, v40, vcc_lo
	s_wait_dscnt 0x0
	global_store_b64 v[39:40], v[36:37], off
	s_wait_alu 0xfffe
	s_or_b32 exec_lo, exec_lo, s15
	s_and_saveexec_b32 s15, s17
	s_cbranch_execz .LBB606_814
.LBB606_878:                            ;   in Loop: Header=BB606_682 Depth=2
	v_lshlrev_b32_e32 v2, 2, v131
	v_add_nc_u32_e32 v36, v70, v44
	ds_load_b32 v2, v2
	ds_load_b64 v[36:37], v36 offset:7168
	s_wait_dscnt 0x1
	v_add_nc_u32_e32 v2, v2, v47
	s_delay_alu instid0(VALU_DEP_1) | instskip(NEXT) | instid1(VALU_DEP_1)
	v_lshlrev_b64_e32 v[39:40], 3, v[2:3]
	v_add_co_u32 v39, vcc_lo, s44, v39
	s_wait_alu 0xfffd
	s_delay_alu instid0(VALU_DEP_2)
	v_add_co_ci_u32_e64 v40, null, s45, v40, vcc_lo
	s_wait_dscnt 0x0
	global_store_b64 v[39:40], v[36:37], off
	s_wait_alu 0xfffe
	s_or_b32 exec_lo, exec_lo, s15
	s_and_saveexec_b32 s15, s18
	s_cbranch_execz .LBB606_815
.LBB606_879:                            ;   in Loop: Header=BB606_682 Depth=2
	v_lshlrev_b32_e32 v2, 2, v130
	v_add_nc_u32_e32 v36, v70, v44
	ds_load_b32 v2, v2
	ds_load_b64 v[36:37], v36 offset:9216
	s_wait_dscnt 0x1
	v_add_nc_u32_e32 v2, v2, v50
	s_delay_alu instid0(VALU_DEP_1) | instskip(NEXT) | instid1(VALU_DEP_1)
	v_lshlrev_b64_e32 v[39:40], 3, v[2:3]
	v_add_co_u32 v39, vcc_lo, s44, v39
	s_wait_alu 0xfffd
	s_delay_alu instid0(VALU_DEP_2)
	v_add_co_ci_u32_e64 v40, null, s45, v40, vcc_lo
	s_wait_dscnt 0x0
	global_store_b64 v[39:40], v[36:37], off
	s_wait_alu 0xfffe
	s_or_b32 exec_lo, exec_lo, s15
	s_and_saveexec_b32 s15, s19
	s_cbranch_execz .LBB606_816
.LBB606_880:                            ;   in Loop: Header=BB606_682 Depth=2
	v_lshlrev_b32_e32 v2, 2, v129
	v_add_nc_u32_e32 v36, v70, v44
	ds_load_b32 v2, v2
	ds_load_b64 v[36:37], v36 offset:11264
	s_wait_dscnt 0x1
	v_add_nc_u32_e32 v2, v2, v51
	s_delay_alu instid0(VALU_DEP_1) | instskip(NEXT) | instid1(VALU_DEP_1)
	v_lshlrev_b64_e32 v[39:40], 3, v[2:3]
	v_add_co_u32 v39, vcc_lo, s44, v39
	s_wait_alu 0xfffd
	s_delay_alu instid0(VALU_DEP_2)
	v_add_co_ci_u32_e64 v40, null, s45, v40, vcc_lo
	s_wait_dscnt 0x0
	global_store_b64 v[39:40], v[36:37], off
	s_wait_alu 0xfffe
	s_or_b32 exec_lo, exec_lo, s15
	s_and_saveexec_b32 s15, s20
	s_cbranch_execz .LBB606_817
.LBB606_881:                            ;   in Loop: Header=BB606_682 Depth=2
	v_lshlrev_b32_e32 v2, 2, v128
	v_add_nc_u32_e32 v36, v70, v44
	ds_load_b32 v2, v2
	ds_load_b64 v[36:37], v36 offset:13312
	s_wait_dscnt 0x1
	v_add_nc_u32_e32 v2, v2, v52
	s_delay_alu instid0(VALU_DEP_1) | instskip(NEXT) | instid1(VALU_DEP_1)
	v_lshlrev_b64_e32 v[39:40], 3, v[2:3]
	v_add_co_u32 v39, vcc_lo, s44, v39
	s_wait_alu 0xfffd
	s_delay_alu instid0(VALU_DEP_2)
	v_add_co_ci_u32_e64 v40, null, s45, v40, vcc_lo
	s_wait_dscnt 0x0
	global_store_b64 v[39:40], v[36:37], off
	s_wait_alu 0xfffe
	s_or_b32 exec_lo, exec_lo, s15
	s_and_saveexec_b32 s15, s21
	s_cbranch_execz .LBB606_818
.LBB606_882:                            ;   in Loop: Header=BB606_682 Depth=2
	v_lshlrev_b32_e32 v2, 2, v127
	v_add_nc_u32_e32 v36, v70, v44
	ds_load_b32 v2, v2
	ds_load_b64 v[36:37], v36 offset:15360
	s_wait_dscnt 0x1
	v_add_nc_u32_e32 v2, v2, v53
	s_delay_alu instid0(VALU_DEP_1) | instskip(NEXT) | instid1(VALU_DEP_1)
	v_lshlrev_b64_e32 v[39:40], 3, v[2:3]
	v_add_co_u32 v39, vcc_lo, s44, v39
	s_wait_alu 0xfffd
	s_delay_alu instid0(VALU_DEP_2)
	v_add_co_ci_u32_e64 v40, null, s45, v40, vcc_lo
	s_wait_dscnt 0x0
	global_store_b64 v[39:40], v[36:37], off
	s_wait_alu 0xfffe
	s_or_b32 exec_lo, exec_lo, s15
	s_and_saveexec_b32 s15, s22
	s_cbranch_execz .LBB606_819
.LBB606_883:                            ;   in Loop: Header=BB606_682 Depth=2
	v_lshlrev_b32_e32 v2, 2, v126
	v_add_nc_u32_e32 v36, v70, v44
	ds_load_b32 v2, v2
	ds_load_b64 v[36:37], v36 offset:17408
	s_wait_dscnt 0x1
	v_add_nc_u32_e32 v2, v2, v54
	s_delay_alu instid0(VALU_DEP_1) | instskip(NEXT) | instid1(VALU_DEP_1)
	v_lshlrev_b64_e32 v[39:40], 3, v[2:3]
	v_add_co_u32 v39, vcc_lo, s44, v39
	s_wait_alu 0xfffd
	s_delay_alu instid0(VALU_DEP_2)
	v_add_co_ci_u32_e64 v40, null, s45, v40, vcc_lo
	s_wait_dscnt 0x0
	global_store_b64 v[39:40], v[36:37], off
	s_wait_alu 0xfffe
	s_or_b32 exec_lo, exec_lo, s15
	s_and_saveexec_b32 s15, s23
	s_cbranch_execz .LBB606_820
.LBB606_884:                            ;   in Loop: Header=BB606_682 Depth=2
	v_lshlrev_b32_e32 v2, 2, v125
	v_add_nc_u32_e32 v36, v70, v44
	ds_load_b32 v2, v2
	ds_load_b64 v[36:37], v36 offset:19456
	s_wait_dscnt 0x1
	v_add_nc_u32_e32 v2, v2, v55
	s_delay_alu instid0(VALU_DEP_1) | instskip(NEXT) | instid1(VALU_DEP_1)
	v_lshlrev_b64_e32 v[39:40], 3, v[2:3]
	v_add_co_u32 v39, vcc_lo, s44, v39
	s_wait_alu 0xfffd
	s_delay_alu instid0(VALU_DEP_2)
	v_add_co_ci_u32_e64 v40, null, s45, v40, vcc_lo
	s_wait_dscnt 0x0
	global_store_b64 v[39:40], v[36:37], off
	s_wait_alu 0xfffe
	s_or_b32 exec_lo, exec_lo, s15
	s_and_saveexec_b32 s15, s24
	s_cbranch_execz .LBB606_821
.LBB606_885:                            ;   in Loop: Header=BB606_682 Depth=2
	v_lshlrev_b32_e32 v2, 2, v124
	v_add_nc_u32_e32 v36, v70, v44
	ds_load_b32 v2, v2
	ds_load_b64 v[36:37], v36 offset:21504
	s_wait_dscnt 0x1
	v_add_nc_u32_e32 v2, v2, v56
	s_delay_alu instid0(VALU_DEP_1) | instskip(NEXT) | instid1(VALU_DEP_1)
	v_lshlrev_b64_e32 v[39:40], 3, v[2:3]
	v_add_co_u32 v39, vcc_lo, s44, v39
	s_wait_alu 0xfffd
	s_delay_alu instid0(VALU_DEP_2)
	v_add_co_ci_u32_e64 v40, null, s45, v40, vcc_lo
	s_wait_dscnt 0x0
	global_store_b64 v[39:40], v[36:37], off
	s_wait_alu 0xfffe
	s_or_b32 exec_lo, exec_lo, s15
	s_and_saveexec_b32 s15, s25
	s_cbranch_execz .LBB606_822
.LBB606_886:                            ;   in Loop: Header=BB606_682 Depth=2
	v_lshlrev_b32_e32 v2, 2, v123
	v_add_nc_u32_e32 v36, v70, v44
	ds_load_b32 v2, v2
	ds_load_b64 v[36:37], v36 offset:23552
	s_wait_dscnt 0x1
	v_add_nc_u32_e32 v2, v2, v57
	s_delay_alu instid0(VALU_DEP_1) | instskip(NEXT) | instid1(VALU_DEP_1)
	v_lshlrev_b64_e32 v[39:40], 3, v[2:3]
	v_add_co_u32 v39, vcc_lo, s44, v39
	s_wait_alu 0xfffd
	s_delay_alu instid0(VALU_DEP_2)
	v_add_co_ci_u32_e64 v40, null, s45, v40, vcc_lo
	s_wait_dscnt 0x0
	global_store_b64 v[39:40], v[36:37], off
	s_wait_alu 0xfffe
	s_or_b32 exec_lo, exec_lo, s15
	s_and_saveexec_b32 s15, s26
	s_cbranch_execz .LBB606_823
.LBB606_887:                            ;   in Loop: Header=BB606_682 Depth=2
	v_lshlrev_b32_e32 v2, 2, v122
	v_add_nc_u32_e32 v36, v70, v44
	ds_load_b32 v2, v2
	ds_load_b64 v[36:37], v36 offset:25600
	s_wait_dscnt 0x1
	v_add_nc_u32_e32 v2, v2, v58
	s_delay_alu instid0(VALU_DEP_1) | instskip(NEXT) | instid1(VALU_DEP_1)
	v_lshlrev_b64_e32 v[39:40], 3, v[2:3]
	v_add_co_u32 v39, vcc_lo, s44, v39
	s_wait_alu 0xfffd
	s_delay_alu instid0(VALU_DEP_2)
	v_add_co_ci_u32_e64 v40, null, s45, v40, vcc_lo
	s_wait_dscnt 0x0
	global_store_b64 v[39:40], v[36:37], off
	s_wait_alu 0xfffe
	s_or_b32 exec_lo, exec_lo, s15
	s_and_saveexec_b32 s15, s27
	s_cbranch_execz .LBB606_824
.LBB606_888:                            ;   in Loop: Header=BB606_682 Depth=2
	v_lshlrev_b32_e32 v2, 2, v121
	v_add_nc_u32_e32 v36, v70, v44
	ds_load_b32 v2, v2
	ds_load_b64 v[36:37], v36 offset:27648
	s_wait_dscnt 0x1
	v_add_nc_u32_e32 v2, v2, v59
	s_delay_alu instid0(VALU_DEP_1) | instskip(NEXT) | instid1(VALU_DEP_1)
	v_lshlrev_b64_e32 v[39:40], 3, v[2:3]
	v_add_co_u32 v39, vcc_lo, s44, v39
	s_wait_alu 0xfffd
	s_delay_alu instid0(VALU_DEP_2)
	v_add_co_ci_u32_e64 v40, null, s45, v40, vcc_lo
	s_wait_dscnt 0x0
	global_store_b64 v[39:40], v[36:37], off
	s_wait_alu 0xfffe
	s_or_b32 exec_lo, exec_lo, s15
	s_and_saveexec_b32 s15, s28
	s_cbranch_execz .LBB606_825
.LBB606_889:                            ;   in Loop: Header=BB606_682 Depth=2
	v_lshlrev_b32_e32 v2, 2, v120
	v_add_nc_u32_e32 v36, v70, v44
	ds_load_b32 v2, v2
	ds_load_b64 v[36:37], v36 offset:29696
	s_wait_dscnt 0x1
	v_add_nc_u32_e32 v2, v2, v60
	s_delay_alu instid0(VALU_DEP_1) | instskip(NEXT) | instid1(VALU_DEP_1)
	v_lshlrev_b64_e32 v[39:40], 3, v[2:3]
	v_add_co_u32 v39, vcc_lo, s44, v39
	s_wait_alu 0xfffd
	s_delay_alu instid0(VALU_DEP_2)
	v_add_co_ci_u32_e64 v40, null, s45, v40, vcc_lo
	s_wait_dscnt 0x0
	global_store_b64 v[39:40], v[36:37], off
	s_wait_alu 0xfffe
	s_or_b32 exec_lo, exec_lo, s15
	s_and_saveexec_b32 s15, s29
	s_cbranch_execnz .LBB606_826
	s_branch .LBB606_827
.LBB606_890:                            ;   in Loop: Header=BB606_12 Depth=1
	s_wait_loadcnt_dscnt 0x0
	s_barrier_signal -1
	s_mov_b32 s0, 0
	s_barrier_wait -1
.LBB606_891:                            ;   in Loop: Header=BB606_12 Depth=1
	s_wait_alu 0xfffe
	s_and_b32 vcc_lo, exec_lo, s0
	s_wait_alu 0xfffe
	s_cbranch_vccz .LBB606_11
; %bb.892:                              ;   in Loop: Header=BB606_12 Depth=1
	s_mov_b32 s9, s53
	s_mov_b32 s42, s33
	s_barrier_signal -1
	s_barrier_wait -1
	global_inv scope:SCOPE_SE
                                        ; implicit-def: $vgpr2
                                        ; implicit-def: $vgpr4
                                        ; implicit-def: $vgpr5
                                        ; implicit-def: $vgpr6
                                        ; implicit-def: $vgpr7
                                        ; implicit-def: $vgpr8
                                        ; implicit-def: $vgpr9
                                        ; implicit-def: $vgpr10
                                        ; implicit-def: $vgpr11
                                        ; implicit-def: $vgpr12
                                        ; implicit-def: $vgpr13
                                        ; implicit-def: $vgpr14
                                        ; implicit-def: $vgpr15
                                        ; implicit-def: $vgpr16
                                        ; implicit-def: $vgpr17
                                        ; implicit-def: $vgpr18
	s_branch .LBB606_894
.LBB606_893:                            ;   in Loop: Header=BB606_894 Depth=2
	s_wait_alu 0xfffe
	s_or_b32 exec_lo, exec_lo, s0
	s_addk_co_i32 s9, 0xf000
	s_cmp_ge_u32 s10, s51
	s_mov_b32 s42, s10
	s_cbranch_scc1 .LBB606_962
.LBB606_894:                            ;   Parent Loop BB606_12 Depth=1
                                        ; =>  This Inner Loop Header: Depth=2
	s_wait_alu 0xfffe
	s_add_co_i32 s10, s42, 0x1000
	s_mov_b32 s0, -1
	s_wait_alu 0xfffe
	s_cmp_gt_u32 s10, s51
                                        ; implicit-def: $vgpr19
                                        ; implicit-def: $vgpr20
                                        ; implicit-def: $vgpr21
                                        ; implicit-def: $vgpr22
                                        ; implicit-def: $vgpr23
                                        ; implicit-def: $vgpr24
                                        ; implicit-def: $vgpr25
                                        ; implicit-def: $vgpr26
                                        ; implicit-def: $vgpr27
                                        ; implicit-def: $vgpr28
                                        ; implicit-def: $vgpr29
                                        ; implicit-def: $vgpr30
                                        ; implicit-def: $vgpr31
                                        ; implicit-def: $vgpr32
                                        ; implicit-def: $vgpr33
                                        ; implicit-def: $vgpr34
	s_cbranch_scc1 .LBB606_896
; %bb.895:                              ;   in Loop: Header=BB606_894 Depth=2
	s_lshl_b64 s[0:1], s[42:43], 2
	s_wait_alu 0xfffe
	v_add_co_u32 v34, vcc_lo, v77, s0
	s_wait_alu 0xfffd
	v_add_co_ci_u32_e64 v35, null, s1, v78, vcc_lo
	s_mov_b32 s0, 0
	s_clause 0xf
	global_load_b32 v19, v[34:35], off
	global_load_b32 v20, v[34:35], off offset:1024
	global_load_b32 v21, v[34:35], off offset:2048
	;; [unrolled: 1-line block ×15, first 2 shown]
.LBB606_896:                            ;   in Loop: Header=BB606_894 Depth=2
	s_wait_alu 0xfffe
	s_and_not1_b32 vcc_lo, exec_lo, s0
	s_movk_i32 s0, 0x1000
	s_wait_alu 0xfffe
	s_cbranch_vccnz .LBB606_915
; %bb.897:                              ;   in Loop: Header=BB606_894 Depth=2
	s_lshl_b64 s[0:1], s[42:43], 2
	s_mov_b32 s11, exec_lo
	s_wait_alu 0xfffe
	s_add_nc_u64 s[0:1], s[36:37], s[0:1]
	v_cmpx_gt_u32_e64 s9, v1
	s_cbranch_execnz .LBB606_947
; %bb.898:                              ;   in Loop: Header=BB606_894 Depth=2
	s_or_b32 exec_lo, exec_lo, s11
	s_delay_alu instid0(SALU_CYCLE_1)
	s_mov_b32 s11, exec_lo
	v_cmpx_gt_u32_e64 s9, v45
	s_cbranch_execnz .LBB606_948
.LBB606_899:                            ;   in Loop: Header=BB606_894 Depth=2
	s_wait_alu 0xfffe
	s_or_b32 exec_lo, exec_lo, s11
	s_delay_alu instid0(SALU_CYCLE_1)
	s_mov_b32 s11, exec_lo
	v_cmpx_gt_u32_e64 s9, v46
	s_cbranch_execnz .LBB606_949
.LBB606_900:                            ;   in Loop: Header=BB606_894 Depth=2
	s_wait_alu 0xfffe
	s_or_b32 exec_lo, exec_lo, s11
	s_delay_alu instid0(SALU_CYCLE_1)
	s_mov_b32 s11, exec_lo
	v_cmpx_gt_u32_e64 s9, v47
	s_cbranch_execnz .LBB606_950
.LBB606_901:                            ;   in Loop: Header=BB606_894 Depth=2
	s_wait_alu 0xfffe
	s_or_b32 exec_lo, exec_lo, s11
	s_delay_alu instid0(SALU_CYCLE_1)
	s_mov_b32 s11, exec_lo
	v_cmpx_gt_u32_e64 s9, v50
	s_cbranch_execnz .LBB606_951
.LBB606_902:                            ;   in Loop: Header=BB606_894 Depth=2
	s_wait_alu 0xfffe
	s_or_b32 exec_lo, exec_lo, s11
	s_delay_alu instid0(SALU_CYCLE_1)
	s_mov_b32 s11, exec_lo
	v_cmpx_gt_u32_e64 s9, v51
	s_cbranch_execnz .LBB606_952
.LBB606_903:                            ;   in Loop: Header=BB606_894 Depth=2
	s_wait_alu 0xfffe
	s_or_b32 exec_lo, exec_lo, s11
	s_delay_alu instid0(SALU_CYCLE_1)
	s_mov_b32 s11, exec_lo
	v_cmpx_gt_u32_e64 s9, v52
	s_cbranch_execnz .LBB606_953
.LBB606_904:                            ;   in Loop: Header=BB606_894 Depth=2
	s_wait_alu 0xfffe
	s_or_b32 exec_lo, exec_lo, s11
	s_delay_alu instid0(SALU_CYCLE_1)
	s_mov_b32 s11, exec_lo
	v_cmpx_gt_u32_e64 s9, v53
	s_cbranch_execnz .LBB606_954
.LBB606_905:                            ;   in Loop: Header=BB606_894 Depth=2
	s_wait_alu 0xfffe
	s_or_b32 exec_lo, exec_lo, s11
	s_delay_alu instid0(SALU_CYCLE_1)
	s_mov_b32 s11, exec_lo
	v_cmpx_gt_u32_e64 s9, v54
	s_cbranch_execnz .LBB606_955
.LBB606_906:                            ;   in Loop: Header=BB606_894 Depth=2
	s_wait_alu 0xfffe
	s_or_b32 exec_lo, exec_lo, s11
	s_delay_alu instid0(SALU_CYCLE_1)
	s_mov_b32 s11, exec_lo
	v_cmpx_gt_u32_e64 s9, v55
	s_cbranch_execnz .LBB606_956
.LBB606_907:                            ;   in Loop: Header=BB606_894 Depth=2
	s_wait_alu 0xfffe
	s_or_b32 exec_lo, exec_lo, s11
	s_delay_alu instid0(SALU_CYCLE_1)
	s_mov_b32 s11, exec_lo
	v_cmpx_gt_u32_e64 s9, v56
	s_cbranch_execnz .LBB606_957
.LBB606_908:                            ;   in Loop: Header=BB606_894 Depth=2
	s_wait_alu 0xfffe
	s_or_b32 exec_lo, exec_lo, s11
	s_delay_alu instid0(SALU_CYCLE_1)
	s_mov_b32 s11, exec_lo
	v_cmpx_gt_u32_e64 s9, v57
	s_cbranch_execnz .LBB606_958
.LBB606_909:                            ;   in Loop: Header=BB606_894 Depth=2
	s_wait_alu 0xfffe
	s_or_b32 exec_lo, exec_lo, s11
	s_delay_alu instid0(SALU_CYCLE_1)
	s_mov_b32 s11, exec_lo
	v_cmpx_gt_u32_e64 s9, v58
	s_cbranch_execnz .LBB606_959
.LBB606_910:                            ;   in Loop: Header=BB606_894 Depth=2
	s_wait_alu 0xfffe
	s_or_b32 exec_lo, exec_lo, s11
	s_delay_alu instid0(SALU_CYCLE_1)
	s_mov_b32 s11, exec_lo
	v_cmpx_gt_u32_e64 s9, v59
	s_cbranch_execnz .LBB606_960
.LBB606_911:                            ;   in Loop: Header=BB606_894 Depth=2
	s_wait_alu 0xfffe
	s_or_b32 exec_lo, exec_lo, s11
	s_delay_alu instid0(SALU_CYCLE_1)
	s_mov_b32 s11, exec_lo
	v_cmpx_gt_u32_e64 s9, v60
	s_cbranch_execnz .LBB606_961
.LBB606_912:                            ;   in Loop: Header=BB606_894 Depth=2
	s_wait_alu 0xfffe
	s_or_b32 exec_lo, exec_lo, s11
	s_delay_alu instid0(SALU_CYCLE_1)
	s_mov_b32 s11, exec_lo
	v_cmpx_gt_u32_e64 s9, v61
	s_cbranch_execz .LBB606_914
.LBB606_913:                            ;   in Loop: Header=BB606_894 Depth=2
	global_load_b32 v2, v108, s[0:1] offset:15360
.LBB606_914:                            ;   in Loop: Header=BB606_894 Depth=2
	s_wait_alu 0xfffe
	s_or_b32 exec_lo, exec_lo, s11
	s_wait_loadcnt 0x0
	v_dual_mov_b32 v19, v18 :: v_dual_mov_b32 v20, v17
	v_dual_mov_b32 v21, v16 :: v_dual_mov_b32 v22, v15
	;; [unrolled: 1-line block ×8, first 2 shown]
	s_mov_b32 s0, s9
.LBB606_915:                            ;   in Loop: Header=BB606_894 Depth=2
	s_wait_loadcnt 0x0
	s_delay_alu instid0(VALU_DEP_1) | instskip(NEXT) | instid1(VALU_DEP_2)
	v_dual_mov_b32 v2, v34 :: v_dual_mov_b32 v5, v32
	v_dual_mov_b32 v4, v33 :: v_dual_mov_b32 v7, v30
	v_dual_mov_b32 v6, v31 :: v_dual_mov_b32 v9, v28
	v_dual_mov_b32 v8, v29 :: v_dual_mov_b32 v11, v26
	v_dual_mov_b32 v10, v27 :: v_dual_mov_b32 v13, v24
	v_dual_mov_b32 v12, v25 :: v_dual_mov_b32 v15, v22
	v_dual_mov_b32 v14, v23 :: v_dual_mov_b32 v17, v20
	v_mov_b32_e32 v16, v21
	v_mov_b32_e32 v18, v19
	s_mov_b32 s1, exec_lo
	s_wait_alu 0xfffe
	v_cmpx_gt_u32_e64 s0, v1
	s_cbranch_execnz .LBB606_931
; %bb.916:                              ;   in Loop: Header=BB606_894 Depth=2
	s_or_b32 exec_lo, exec_lo, s1
	s_delay_alu instid0(SALU_CYCLE_1)
	s_mov_b32 s1, exec_lo
	v_cmpx_gt_u32_e64 s0, v45
	s_cbranch_execnz .LBB606_932
.LBB606_917:                            ;   in Loop: Header=BB606_894 Depth=2
	s_wait_alu 0xfffe
	s_or_b32 exec_lo, exec_lo, s1
	s_delay_alu instid0(SALU_CYCLE_1)
	s_mov_b32 s1, exec_lo
	v_cmpx_gt_u32_e64 s0, v46
	s_cbranch_execnz .LBB606_933
.LBB606_918:                            ;   in Loop: Header=BB606_894 Depth=2
	s_wait_alu 0xfffe
	s_or_b32 exec_lo, exec_lo, s1
	s_delay_alu instid0(SALU_CYCLE_1)
	s_mov_b32 s1, exec_lo
	v_cmpx_gt_u32_e64 s0, v47
	s_cbranch_execnz .LBB606_934
.LBB606_919:                            ;   in Loop: Header=BB606_894 Depth=2
	s_wait_alu 0xfffe
	s_or_b32 exec_lo, exec_lo, s1
	s_delay_alu instid0(SALU_CYCLE_1)
	s_mov_b32 s1, exec_lo
	v_cmpx_gt_u32_e64 s0, v50
	s_cbranch_execnz .LBB606_935
.LBB606_920:                            ;   in Loop: Header=BB606_894 Depth=2
	s_wait_alu 0xfffe
	s_or_b32 exec_lo, exec_lo, s1
	s_delay_alu instid0(SALU_CYCLE_1)
	s_mov_b32 s1, exec_lo
	v_cmpx_gt_u32_e64 s0, v51
	s_cbranch_execnz .LBB606_936
.LBB606_921:                            ;   in Loop: Header=BB606_894 Depth=2
	s_wait_alu 0xfffe
	s_or_b32 exec_lo, exec_lo, s1
	s_delay_alu instid0(SALU_CYCLE_1)
	s_mov_b32 s1, exec_lo
	v_cmpx_gt_u32_e64 s0, v52
	s_cbranch_execnz .LBB606_937
.LBB606_922:                            ;   in Loop: Header=BB606_894 Depth=2
	s_wait_alu 0xfffe
	s_or_b32 exec_lo, exec_lo, s1
	s_delay_alu instid0(SALU_CYCLE_1)
	s_mov_b32 s1, exec_lo
	v_cmpx_gt_u32_e64 s0, v53
	s_cbranch_execnz .LBB606_938
.LBB606_923:                            ;   in Loop: Header=BB606_894 Depth=2
	s_wait_alu 0xfffe
	s_or_b32 exec_lo, exec_lo, s1
	s_delay_alu instid0(SALU_CYCLE_1)
	s_mov_b32 s1, exec_lo
	v_cmpx_gt_u32_e64 s0, v54
	s_cbranch_execnz .LBB606_939
.LBB606_924:                            ;   in Loop: Header=BB606_894 Depth=2
	s_wait_alu 0xfffe
	s_or_b32 exec_lo, exec_lo, s1
	s_delay_alu instid0(SALU_CYCLE_1)
	s_mov_b32 s1, exec_lo
	v_cmpx_gt_u32_e64 s0, v55
	s_cbranch_execnz .LBB606_940
.LBB606_925:                            ;   in Loop: Header=BB606_894 Depth=2
	s_wait_alu 0xfffe
	s_or_b32 exec_lo, exec_lo, s1
	s_delay_alu instid0(SALU_CYCLE_1)
	s_mov_b32 s1, exec_lo
	v_cmpx_gt_u32_e64 s0, v56
	s_cbranch_execnz .LBB606_941
.LBB606_926:                            ;   in Loop: Header=BB606_894 Depth=2
	s_wait_alu 0xfffe
	s_or_b32 exec_lo, exec_lo, s1
	s_delay_alu instid0(SALU_CYCLE_1)
	s_mov_b32 s1, exec_lo
	v_cmpx_gt_u32_e64 s0, v57
	s_cbranch_execnz .LBB606_942
.LBB606_927:                            ;   in Loop: Header=BB606_894 Depth=2
	s_wait_alu 0xfffe
	s_or_b32 exec_lo, exec_lo, s1
	s_delay_alu instid0(SALU_CYCLE_1)
	s_mov_b32 s1, exec_lo
	v_cmpx_gt_u32_e64 s0, v58
	s_cbranch_execnz .LBB606_943
.LBB606_928:                            ;   in Loop: Header=BB606_894 Depth=2
	s_wait_alu 0xfffe
	s_or_b32 exec_lo, exec_lo, s1
	s_delay_alu instid0(SALU_CYCLE_1)
	s_mov_b32 s1, exec_lo
	v_cmpx_gt_u32_e64 s0, v59
	s_cbranch_execnz .LBB606_944
.LBB606_929:                            ;   in Loop: Header=BB606_894 Depth=2
	s_wait_alu 0xfffe
	s_or_b32 exec_lo, exec_lo, s1
	s_delay_alu instid0(SALU_CYCLE_1)
	s_mov_b32 s1, exec_lo
	v_cmpx_gt_u32_e64 s0, v60
	s_cbranch_execnz .LBB606_945
.LBB606_930:                            ;   in Loop: Header=BB606_894 Depth=2
	s_wait_alu 0xfffe
	s_or_b32 exec_lo, exec_lo, s1
	v_cmp_gt_u32_e32 vcc_lo, s0, v61
	s_and_saveexec_b32 s0, vcc_lo
	s_cbranch_execz .LBB606_893
	s_branch .LBB606_946
.LBB606_931:                            ;   in Loop: Header=BB606_894 Depth=2
	v_xor_b32_e32 v19, 0x80000000, v18
	s_delay_alu instid0(VALU_DEP_1) | instskip(NEXT) | instid1(VALU_DEP_1)
	v_lshrrev_b32_e32 v19, s49, v19
	v_and_b32_e32 v19, s48, v19
	s_delay_alu instid0(VALU_DEP_1) | instskip(SKIP_2) | instid1(SALU_CYCLE_1)
	v_lshl_or_b32 v19, v19, 4, v62
	ds_add_u32 v19, v84
	s_or_b32 exec_lo, exec_lo, s1
	s_mov_b32 s1, exec_lo
	v_cmpx_gt_u32_e64 s0, v45
	s_cbranch_execz .LBB606_917
.LBB606_932:                            ;   in Loop: Header=BB606_894 Depth=2
	v_xor_b32_e32 v19, 0x80000000, v17
	s_delay_alu instid0(VALU_DEP_1) | instskip(NEXT) | instid1(VALU_DEP_1)
	v_lshrrev_b32_e32 v19, s49, v19
	v_and_b32_e32 v19, s48, v19
	s_delay_alu instid0(VALU_DEP_1) | instskip(SKIP_3) | instid1(SALU_CYCLE_1)
	v_lshl_or_b32 v19, v19, 4, v62
	ds_add_u32 v19, v84
	s_wait_alu 0xfffe
	s_or_b32 exec_lo, exec_lo, s1
	s_mov_b32 s1, exec_lo
	v_cmpx_gt_u32_e64 s0, v46
	s_cbranch_execz .LBB606_918
.LBB606_933:                            ;   in Loop: Header=BB606_894 Depth=2
	v_xor_b32_e32 v19, 0x80000000, v16
	s_delay_alu instid0(VALU_DEP_1) | instskip(NEXT) | instid1(VALU_DEP_1)
	v_lshrrev_b32_e32 v19, s49, v19
	v_and_b32_e32 v19, s48, v19
	s_delay_alu instid0(VALU_DEP_1) | instskip(SKIP_3) | instid1(SALU_CYCLE_1)
	v_lshl_or_b32 v19, v19, 4, v62
	ds_add_u32 v19, v84
	s_wait_alu 0xfffe
	s_or_b32 exec_lo, exec_lo, s1
	s_mov_b32 s1, exec_lo
	v_cmpx_gt_u32_e64 s0, v47
	s_cbranch_execz .LBB606_919
.LBB606_934:                            ;   in Loop: Header=BB606_894 Depth=2
	v_xor_b32_e32 v19, 0x80000000, v15
	s_delay_alu instid0(VALU_DEP_1) | instskip(NEXT) | instid1(VALU_DEP_1)
	v_lshrrev_b32_e32 v19, s49, v19
	v_and_b32_e32 v19, s48, v19
	s_delay_alu instid0(VALU_DEP_1) | instskip(SKIP_3) | instid1(SALU_CYCLE_1)
	v_lshl_or_b32 v19, v19, 4, v62
	ds_add_u32 v19, v84
	s_wait_alu 0xfffe
	s_or_b32 exec_lo, exec_lo, s1
	s_mov_b32 s1, exec_lo
	v_cmpx_gt_u32_e64 s0, v50
	s_cbranch_execz .LBB606_920
.LBB606_935:                            ;   in Loop: Header=BB606_894 Depth=2
	v_xor_b32_e32 v19, 0x80000000, v14
	s_delay_alu instid0(VALU_DEP_1) | instskip(NEXT) | instid1(VALU_DEP_1)
	v_lshrrev_b32_e32 v19, s49, v19
	v_and_b32_e32 v19, s48, v19
	s_delay_alu instid0(VALU_DEP_1) | instskip(SKIP_3) | instid1(SALU_CYCLE_1)
	v_lshl_or_b32 v19, v19, 4, v62
	ds_add_u32 v19, v84
	s_wait_alu 0xfffe
	s_or_b32 exec_lo, exec_lo, s1
	s_mov_b32 s1, exec_lo
	v_cmpx_gt_u32_e64 s0, v51
	s_cbranch_execz .LBB606_921
.LBB606_936:                            ;   in Loop: Header=BB606_894 Depth=2
	v_xor_b32_e32 v19, 0x80000000, v13
	s_delay_alu instid0(VALU_DEP_1) | instskip(NEXT) | instid1(VALU_DEP_1)
	v_lshrrev_b32_e32 v19, s49, v19
	v_and_b32_e32 v19, s48, v19
	s_delay_alu instid0(VALU_DEP_1) | instskip(SKIP_3) | instid1(SALU_CYCLE_1)
	v_lshl_or_b32 v19, v19, 4, v62
	ds_add_u32 v19, v84
	s_wait_alu 0xfffe
	s_or_b32 exec_lo, exec_lo, s1
	s_mov_b32 s1, exec_lo
	v_cmpx_gt_u32_e64 s0, v52
	s_cbranch_execz .LBB606_922
.LBB606_937:                            ;   in Loop: Header=BB606_894 Depth=2
	v_xor_b32_e32 v19, 0x80000000, v12
	s_delay_alu instid0(VALU_DEP_1) | instskip(NEXT) | instid1(VALU_DEP_1)
	v_lshrrev_b32_e32 v19, s49, v19
	v_and_b32_e32 v19, s48, v19
	s_delay_alu instid0(VALU_DEP_1) | instskip(SKIP_3) | instid1(SALU_CYCLE_1)
	v_lshl_or_b32 v19, v19, 4, v62
	ds_add_u32 v19, v84
	s_wait_alu 0xfffe
	s_or_b32 exec_lo, exec_lo, s1
	s_mov_b32 s1, exec_lo
	v_cmpx_gt_u32_e64 s0, v53
	s_cbranch_execz .LBB606_923
.LBB606_938:                            ;   in Loop: Header=BB606_894 Depth=2
	v_xor_b32_e32 v19, 0x80000000, v11
	s_delay_alu instid0(VALU_DEP_1) | instskip(NEXT) | instid1(VALU_DEP_1)
	v_lshrrev_b32_e32 v19, s49, v19
	v_and_b32_e32 v19, s48, v19
	s_delay_alu instid0(VALU_DEP_1) | instskip(SKIP_3) | instid1(SALU_CYCLE_1)
	v_lshl_or_b32 v19, v19, 4, v62
	ds_add_u32 v19, v84
	s_wait_alu 0xfffe
	s_or_b32 exec_lo, exec_lo, s1
	s_mov_b32 s1, exec_lo
	v_cmpx_gt_u32_e64 s0, v54
	s_cbranch_execz .LBB606_924
.LBB606_939:                            ;   in Loop: Header=BB606_894 Depth=2
	v_xor_b32_e32 v19, 0x80000000, v10
	s_delay_alu instid0(VALU_DEP_1) | instskip(NEXT) | instid1(VALU_DEP_1)
	v_lshrrev_b32_e32 v19, s49, v19
	v_and_b32_e32 v19, s48, v19
	s_delay_alu instid0(VALU_DEP_1) | instskip(SKIP_3) | instid1(SALU_CYCLE_1)
	v_lshl_or_b32 v19, v19, 4, v62
	ds_add_u32 v19, v84
	s_wait_alu 0xfffe
	s_or_b32 exec_lo, exec_lo, s1
	s_mov_b32 s1, exec_lo
	v_cmpx_gt_u32_e64 s0, v55
	s_cbranch_execz .LBB606_925
.LBB606_940:                            ;   in Loop: Header=BB606_894 Depth=2
	v_xor_b32_e32 v19, 0x80000000, v9
	s_delay_alu instid0(VALU_DEP_1) | instskip(NEXT) | instid1(VALU_DEP_1)
	v_lshrrev_b32_e32 v19, s49, v19
	v_and_b32_e32 v19, s48, v19
	s_delay_alu instid0(VALU_DEP_1) | instskip(SKIP_3) | instid1(SALU_CYCLE_1)
	v_lshl_or_b32 v19, v19, 4, v62
	ds_add_u32 v19, v84
	s_wait_alu 0xfffe
	s_or_b32 exec_lo, exec_lo, s1
	s_mov_b32 s1, exec_lo
	v_cmpx_gt_u32_e64 s0, v56
	s_cbranch_execz .LBB606_926
.LBB606_941:                            ;   in Loop: Header=BB606_894 Depth=2
	v_xor_b32_e32 v19, 0x80000000, v8
	s_delay_alu instid0(VALU_DEP_1) | instskip(NEXT) | instid1(VALU_DEP_1)
	v_lshrrev_b32_e32 v19, s49, v19
	v_and_b32_e32 v19, s48, v19
	s_delay_alu instid0(VALU_DEP_1) | instskip(SKIP_3) | instid1(SALU_CYCLE_1)
	v_lshl_or_b32 v19, v19, 4, v62
	ds_add_u32 v19, v84
	s_wait_alu 0xfffe
	s_or_b32 exec_lo, exec_lo, s1
	s_mov_b32 s1, exec_lo
	v_cmpx_gt_u32_e64 s0, v57
	s_cbranch_execz .LBB606_927
.LBB606_942:                            ;   in Loop: Header=BB606_894 Depth=2
	v_xor_b32_e32 v19, 0x80000000, v7
	s_delay_alu instid0(VALU_DEP_1) | instskip(NEXT) | instid1(VALU_DEP_1)
	v_lshrrev_b32_e32 v19, s49, v19
	v_and_b32_e32 v19, s48, v19
	s_delay_alu instid0(VALU_DEP_1) | instskip(SKIP_3) | instid1(SALU_CYCLE_1)
	v_lshl_or_b32 v19, v19, 4, v62
	ds_add_u32 v19, v84
	s_wait_alu 0xfffe
	s_or_b32 exec_lo, exec_lo, s1
	s_mov_b32 s1, exec_lo
	v_cmpx_gt_u32_e64 s0, v58
	s_cbranch_execz .LBB606_928
.LBB606_943:                            ;   in Loop: Header=BB606_894 Depth=2
	v_xor_b32_e32 v19, 0x80000000, v6
	s_delay_alu instid0(VALU_DEP_1) | instskip(NEXT) | instid1(VALU_DEP_1)
	v_lshrrev_b32_e32 v19, s49, v19
	v_and_b32_e32 v19, s48, v19
	s_delay_alu instid0(VALU_DEP_1) | instskip(SKIP_3) | instid1(SALU_CYCLE_1)
	v_lshl_or_b32 v19, v19, 4, v62
	ds_add_u32 v19, v84
	s_wait_alu 0xfffe
	s_or_b32 exec_lo, exec_lo, s1
	s_mov_b32 s1, exec_lo
	v_cmpx_gt_u32_e64 s0, v59
	s_cbranch_execz .LBB606_929
.LBB606_944:                            ;   in Loop: Header=BB606_894 Depth=2
	v_xor_b32_e32 v19, 0x80000000, v5
	s_delay_alu instid0(VALU_DEP_1) | instskip(NEXT) | instid1(VALU_DEP_1)
	v_lshrrev_b32_e32 v19, s49, v19
	v_and_b32_e32 v19, s48, v19
	s_delay_alu instid0(VALU_DEP_1) | instskip(SKIP_3) | instid1(SALU_CYCLE_1)
	v_lshl_or_b32 v19, v19, 4, v62
	ds_add_u32 v19, v84
	s_wait_alu 0xfffe
	s_or_b32 exec_lo, exec_lo, s1
	s_mov_b32 s1, exec_lo
	v_cmpx_gt_u32_e64 s0, v60
	s_cbranch_execz .LBB606_930
.LBB606_945:                            ;   in Loop: Header=BB606_894 Depth=2
	v_xor_b32_e32 v19, 0x80000000, v4
	s_delay_alu instid0(VALU_DEP_1) | instskip(NEXT) | instid1(VALU_DEP_1)
	v_lshrrev_b32_e32 v19, s49, v19
	v_and_b32_e32 v19, s48, v19
	s_delay_alu instid0(VALU_DEP_1)
	v_lshl_or_b32 v19, v19, 4, v62
	ds_add_u32 v19, v84
	s_wait_alu 0xfffe
	s_or_b32 exec_lo, exec_lo, s1
	v_cmp_gt_u32_e32 vcc_lo, s0, v61
	s_and_saveexec_b32 s0, vcc_lo
	s_cbranch_execz .LBB606_893
.LBB606_946:                            ;   in Loop: Header=BB606_894 Depth=2
	v_xor_b32_e32 v19, 0x80000000, v2
	s_delay_alu instid0(VALU_DEP_1) | instskip(NEXT) | instid1(VALU_DEP_1)
	v_lshrrev_b32_e32 v19, s49, v19
	v_and_b32_e32 v19, s48, v19
	s_delay_alu instid0(VALU_DEP_1)
	v_lshl_or_b32 v19, v19, 4, v62
	ds_add_u32 v19, v84
	s_branch .LBB606_893
.LBB606_947:                            ;   in Loop: Header=BB606_894 Depth=2
	global_load_b32 v18, v108, s[0:1]
	s_or_b32 exec_lo, exec_lo, s11
	s_delay_alu instid0(SALU_CYCLE_1)
	s_mov_b32 s11, exec_lo
	v_cmpx_gt_u32_e64 s9, v45
	s_cbranch_execz .LBB606_899
.LBB606_948:                            ;   in Loop: Header=BB606_894 Depth=2
	global_load_b32 v17, v108, s[0:1] offset:1024
	s_wait_alu 0xfffe
	s_or_b32 exec_lo, exec_lo, s11
	s_delay_alu instid0(SALU_CYCLE_1)
	s_mov_b32 s11, exec_lo
	v_cmpx_gt_u32_e64 s9, v46
	s_cbranch_execz .LBB606_900
.LBB606_949:                            ;   in Loop: Header=BB606_894 Depth=2
	global_load_b32 v16, v108, s[0:1] offset:2048
	s_wait_alu 0xfffe
	s_or_b32 exec_lo, exec_lo, s11
	s_delay_alu instid0(SALU_CYCLE_1)
	s_mov_b32 s11, exec_lo
	v_cmpx_gt_u32_e64 s9, v47
	s_cbranch_execz .LBB606_901
.LBB606_950:                            ;   in Loop: Header=BB606_894 Depth=2
	global_load_b32 v15, v108, s[0:1] offset:3072
	s_wait_alu 0xfffe
	s_or_b32 exec_lo, exec_lo, s11
	s_delay_alu instid0(SALU_CYCLE_1)
	s_mov_b32 s11, exec_lo
	v_cmpx_gt_u32_e64 s9, v50
	s_cbranch_execz .LBB606_902
.LBB606_951:                            ;   in Loop: Header=BB606_894 Depth=2
	global_load_b32 v14, v108, s[0:1] offset:4096
	s_wait_alu 0xfffe
	s_or_b32 exec_lo, exec_lo, s11
	s_delay_alu instid0(SALU_CYCLE_1)
	s_mov_b32 s11, exec_lo
	v_cmpx_gt_u32_e64 s9, v51
	s_cbranch_execz .LBB606_903
.LBB606_952:                            ;   in Loop: Header=BB606_894 Depth=2
	global_load_b32 v13, v108, s[0:1] offset:5120
	s_wait_alu 0xfffe
	s_or_b32 exec_lo, exec_lo, s11
	s_delay_alu instid0(SALU_CYCLE_1)
	s_mov_b32 s11, exec_lo
	v_cmpx_gt_u32_e64 s9, v52
	s_cbranch_execz .LBB606_904
.LBB606_953:                            ;   in Loop: Header=BB606_894 Depth=2
	global_load_b32 v12, v108, s[0:1] offset:6144
	s_wait_alu 0xfffe
	s_or_b32 exec_lo, exec_lo, s11
	s_delay_alu instid0(SALU_CYCLE_1)
	s_mov_b32 s11, exec_lo
	v_cmpx_gt_u32_e64 s9, v53
	s_cbranch_execz .LBB606_905
.LBB606_954:                            ;   in Loop: Header=BB606_894 Depth=2
	global_load_b32 v11, v108, s[0:1] offset:7168
	s_wait_alu 0xfffe
	s_or_b32 exec_lo, exec_lo, s11
	s_delay_alu instid0(SALU_CYCLE_1)
	s_mov_b32 s11, exec_lo
	v_cmpx_gt_u32_e64 s9, v54
	s_cbranch_execz .LBB606_906
.LBB606_955:                            ;   in Loop: Header=BB606_894 Depth=2
	global_load_b32 v10, v108, s[0:1] offset:8192
	s_wait_alu 0xfffe
	s_or_b32 exec_lo, exec_lo, s11
	s_delay_alu instid0(SALU_CYCLE_1)
	s_mov_b32 s11, exec_lo
	v_cmpx_gt_u32_e64 s9, v55
	s_cbranch_execz .LBB606_907
.LBB606_956:                            ;   in Loop: Header=BB606_894 Depth=2
	global_load_b32 v9, v108, s[0:1] offset:9216
	s_wait_alu 0xfffe
	s_or_b32 exec_lo, exec_lo, s11
	s_delay_alu instid0(SALU_CYCLE_1)
	s_mov_b32 s11, exec_lo
	v_cmpx_gt_u32_e64 s9, v56
	s_cbranch_execz .LBB606_908
.LBB606_957:                            ;   in Loop: Header=BB606_894 Depth=2
	global_load_b32 v8, v108, s[0:1] offset:10240
	s_wait_alu 0xfffe
	s_or_b32 exec_lo, exec_lo, s11
	s_delay_alu instid0(SALU_CYCLE_1)
	s_mov_b32 s11, exec_lo
	v_cmpx_gt_u32_e64 s9, v57
	s_cbranch_execz .LBB606_909
.LBB606_958:                            ;   in Loop: Header=BB606_894 Depth=2
	global_load_b32 v7, v108, s[0:1] offset:11264
	s_wait_alu 0xfffe
	s_or_b32 exec_lo, exec_lo, s11
	s_delay_alu instid0(SALU_CYCLE_1)
	s_mov_b32 s11, exec_lo
	v_cmpx_gt_u32_e64 s9, v58
	s_cbranch_execz .LBB606_910
.LBB606_959:                            ;   in Loop: Header=BB606_894 Depth=2
	global_load_b32 v6, v108, s[0:1] offset:12288
	s_wait_alu 0xfffe
	s_or_b32 exec_lo, exec_lo, s11
	s_delay_alu instid0(SALU_CYCLE_1)
	s_mov_b32 s11, exec_lo
	v_cmpx_gt_u32_e64 s9, v59
	s_cbranch_execz .LBB606_911
.LBB606_960:                            ;   in Loop: Header=BB606_894 Depth=2
	global_load_b32 v5, v108, s[0:1] offset:13312
	s_wait_alu 0xfffe
	s_or_b32 exec_lo, exec_lo, s11
	s_delay_alu instid0(SALU_CYCLE_1)
	s_mov_b32 s11, exec_lo
	v_cmpx_gt_u32_e64 s9, v60
	s_cbranch_execz .LBB606_912
.LBB606_961:                            ;   in Loop: Header=BB606_894 Depth=2
	global_load_b32 v4, v108, s[0:1] offset:14336
	s_wait_alu 0xfffe
	s_or_b32 exec_lo, exec_lo, s11
	s_delay_alu instid0(SALU_CYCLE_1)
	s_mov_b32 s11, exec_lo
	v_cmpx_gt_u32_e64 s9, v61
	s_cbranch_execnz .LBB606_913
	s_branch .LBB606_914
.LBB606_962:                            ;   in Loop: Header=BB606_12 Depth=1
	v_mov_b32_e32 v2, 0
	s_wait_dscnt 0x0
	s_barrier_signal -1
	s_barrier_wait -1
	global_inv scope:SCOPE_SE
	s_and_saveexec_b32 s0, s2
	s_cbranch_execz .LBB606_964
; %bb.963:                              ;   in Loop: Header=BB606_12 Depth=1
	ds_load_2addr_b64 v[4:7], v64 offset1:1
	s_wait_dscnt 0x0
	v_add_nc_u32_e32 v2, v5, v4
	s_delay_alu instid0(VALU_DEP_1)
	v_add3_u32 v2, v2, v6, v7
.LBB606_964:                            ;   in Loop: Header=BB606_12 Depth=1
	s_wait_alu 0xfffe
	s_or_b32 exec_lo, exec_lo, s0
	s_delay_alu instid0(VALU_DEP_1)
	v_mov_b32_dpp v4, v2 row_shr:1 row_mask:0xf bank_mask:0xf
	v_cmp_eq_u32_e64 s0, 0, v85
	v_cmp_lt_u32_e64 s1, 1, v85
	v_cmp_lt_u32_e64 s9, 3, v85
	;; [unrolled: 1-line block ×3, first 2 shown]
	v_cmp_eq_u32_e64 s11, 0, v87
	s_wait_alu 0xf1ff
	v_cndmask_b32_e64 v4, v4, 0, s0
	s_delay_alu instid0(VALU_DEP_1) | instskip(NEXT) | instid1(VALU_DEP_1)
	v_add_nc_u32_e32 v2, v4, v2
	v_mov_b32_dpp v4, v2 row_shr:2 row_mask:0xf bank_mask:0xf
	s_delay_alu instid0(VALU_DEP_1) | instskip(NEXT) | instid1(VALU_DEP_1)
	v_cndmask_b32_e64 v4, 0, v4, s1
	v_add_nc_u32_e32 v2, v2, v4
	s_delay_alu instid0(VALU_DEP_1) | instskip(NEXT) | instid1(VALU_DEP_1)
	v_mov_b32_dpp v4, v2 row_shr:4 row_mask:0xf bank_mask:0xf
	v_cndmask_b32_e64 v4, 0, v4, s9
	s_delay_alu instid0(VALU_DEP_1) | instskip(NEXT) | instid1(VALU_DEP_1)
	v_add_nc_u32_e32 v2, v2, v4
	v_mov_b32_dpp v4, v2 row_shr:8 row_mask:0xf bank_mask:0xf
	s_delay_alu instid0(VALU_DEP_1) | instskip(NEXT) | instid1(VALU_DEP_1)
	v_cndmask_b32_e64 v4, 0, v4, s10
	v_add_nc_u32_e32 v2, v2, v4
	ds_swizzle_b32 v4, v2 offset:swizzle(BROADCAST,32,15)
	s_wait_dscnt 0x0
	v_and_b32_e32 v4, v86, v4
	s_delay_alu instid0(VALU_DEP_1)
	v_add_nc_u32_e32 v2, v2, v4
	s_and_saveexec_b32 s12, s3
; %bb.965:                              ;   in Loop: Header=BB606_12 Depth=1
	ds_store_b32 v65, v2
; %bb.966:                              ;   in Loop: Header=BB606_12 Depth=1
	s_wait_alu 0xfffe
	s_or_b32 exec_lo, exec_lo, s12
	s_wait_loadcnt_dscnt 0x0
	s_barrier_signal -1
	s_barrier_wait -1
	global_inv scope:SCOPE_SE
	s_and_saveexec_b32 s12, s4
	s_cbranch_execz .LBB606_968
; %bb.967:                              ;   in Loop: Header=BB606_12 Depth=1
	ds_load_b32 v4, v66
	v_cmp_ne_u32_e32 vcc_lo, 0, v89
	s_wait_dscnt 0x0
	v_mov_b32_dpp v5, v4 row_shr:1 row_mask:0xf bank_mask:0xf
	s_wait_alu 0xfffd
	s_delay_alu instid0(VALU_DEP_1) | instskip(SKIP_1) | instid1(VALU_DEP_2)
	v_cndmask_b32_e32 v5, 0, v5, vcc_lo
	v_cmp_lt_u32_e32 vcc_lo, 1, v89
	v_add_nc_u32_e32 v4, v5, v4
	s_delay_alu instid0(VALU_DEP_1) | instskip(SKIP_1) | instid1(VALU_DEP_1)
	v_mov_b32_dpp v5, v4 row_shr:2 row_mask:0xf bank_mask:0xf
	s_wait_alu 0xfffd
	v_cndmask_b32_e32 v5, 0, v5, vcc_lo
	v_cmp_lt_u32_e32 vcc_lo, 3, v89
	s_delay_alu instid0(VALU_DEP_2) | instskip(NEXT) | instid1(VALU_DEP_1)
	v_add_nc_u32_e32 v4, v4, v5
	v_mov_b32_dpp v5, v4 row_shr:4 row_mask:0xf bank_mask:0xf
	s_wait_alu 0xfffd
	s_delay_alu instid0(VALU_DEP_1) | instskip(NEXT) | instid1(VALU_DEP_1)
	v_cndmask_b32_e32 v5, 0, v5, vcc_lo
	v_add_nc_u32_e32 v4, v4, v5
	ds_store_b32 v66, v4
.LBB606_968:                            ;   in Loop: Header=BB606_12 Depth=1
	s_wait_alu 0xfffe
	s_or_b32 exec_lo, exec_lo, s12
	v_mov_b32_e32 v4, 0
	s_wait_loadcnt_dscnt 0x0
	s_barrier_signal -1
	s_barrier_wait -1
	global_inv scope:SCOPE_SE
	s_and_saveexec_b32 s12, s5
; %bb.969:                              ;   in Loop: Header=BB606_12 Depth=1
	ds_load_b32 v4, v68
; %bb.970:                              ;   in Loop: Header=BB606_12 Depth=1
	s_wait_alu 0xfffe
	s_or_b32 exec_lo, exec_lo, s12
	v_cmp_gt_i32_e32 vcc_lo, 0, v90
	s_wait_loadcnt_dscnt 0x0
	s_barrier_signal -1
	s_barrier_wait -1
	global_inv scope:SCOPE_SE
	s_wait_alu 0xfffd
	v_dual_cndmask_b32 v5, v90, v81 :: v_dual_add_nc_u32 v2, v4, v2
	s_delay_alu instid0(VALU_DEP_1)
	v_lshlrev_b32_e32 v113, 2, v5
	ds_bpermute_b32 v2, v113, v2
	s_and_saveexec_b32 s12, s2
	s_cbranch_execz .LBB606_972
; %bb.971:                              ;   in Loop: Header=BB606_12 Depth=1
	s_wait_dscnt 0x0
	v_cndmask_b32_e64 v2, v2, v4, s8
	s_delay_alu instid0(VALU_DEP_1)
	v_add_nc_u32_e32 v2, s33, v2
	ds_store_b32 v44, v2
.LBB606_972:                            ;   in Loop: Header=BB606_12 Depth=1
	s_wait_alu 0xfffe
	s_or_b32 exec_lo, exec_lo, s12
	s_load_b64 s[12:13], s[34:35], 0x0
	v_add_co_u32 v114, vcc_lo, v79, v91
	s_wait_alu 0xfffd
	v_add_co_ci_u32_e64 v115, null, 0, v80, vcc_lo
	v_add_co_u32 v116, vcc_lo, v82, v107
	s_wait_alu 0xfffd
	v_add_co_ci_u32_e64 v117, null, 0, v83, vcc_lo
	s_mov_b32 s54, s53
                                        ; implicit-def: $vgpr6_vgpr7
                                        ; implicit-def: $vgpr8_vgpr9
                                        ; implicit-def: $vgpr10_vgpr11
                                        ; implicit-def: $vgpr12_vgpr13
                                        ; implicit-def: $vgpr14_vgpr15
                                        ; implicit-def: $vgpr16_vgpr17
                                        ; implicit-def: $vgpr18_vgpr19
                                        ; implicit-def: $vgpr20_vgpr21
                                        ; implicit-def: $vgpr22_vgpr23
                                        ; implicit-def: $vgpr24_vgpr25
                                        ; implicit-def: $vgpr26_vgpr27
                                        ; implicit-def: $vgpr28_vgpr29
                                        ; implicit-def: $vgpr30_vgpr31
                                        ; implicit-def: $vgpr32_vgpr33
                                        ; implicit-def: $vgpr34_vgpr35
                                        ; implicit-def: $vgpr119
                                        ; implicit-def: $vgpr120
                                        ; implicit-def: $vgpr121
                                        ; implicit-def: $vgpr122
                                        ; implicit-def: $vgpr123
                                        ; implicit-def: $vgpr124
                                        ; implicit-def: $vgpr125
                                        ; implicit-def: $vgpr126
                                        ; implicit-def: $vgpr127
                                        ; implicit-def: $vgpr128
                                        ; implicit-def: $vgpr129
                                        ; implicit-def: $vgpr130
                                        ; implicit-def: $vgpr131
                                        ; implicit-def: $vgpr132
                                        ; implicit-def: $vgpr133
                                        ; implicit-def: $vgpr134
	s_wait_kmcnt 0x0
	s_cmp_lt_u32 ttmp7, s13
	s_cselect_b32 s42, 14, 20
	s_cmp_lt_u32 ttmp9, s12
	s_wait_alu 0xfffe
	s_add_nc_u64 s[14:15], s[34:35], s[42:43]
	s_cselect_b32 s42, 12, 18
	s_load_u16 s14, s[14:15], 0x0
	s_add_nc_u64 s[12:13], s[34:35], s[42:43]
	s_mov_b32 s42, s33
	s_load_u16 s12, s[12:13], 0x0
	v_cmp_lt_u32_e64 s13, 1, v89
	s_wait_dscnt 0x0
	s_wait_kmcnt 0x0
	v_mad_u32_u24 v2, v69, s14, v0
	v_cmp_lt_u32_e64 s14, 3, v89
	s_delay_alu instid0(VALU_DEP_2) | instskip(SKIP_1) | instid1(VALU_DEP_2)
	v_mad_co_u64_u32 v[4:5], null, v2, s12, v[1:2]
	v_cmp_eq_u32_e64 s12, 0, v89
	v_lshrrev_b32_e32 v2, 3, v4
                                        ; implicit-def: $vgpr4_vgpr5
	s_delay_alu instid0(VALU_DEP_1)
	v_and_b32_e32 v118, 0x1ffffffc, v2
	s_branch .LBB606_974
.LBB606_973:                            ;   in Loop: Header=BB606_974 Depth=2
	s_wait_alu 0xfffe
	s_or_b32 exec_lo, exec_lo, s15
	s_addk_co_i32 s54, 0xf000
	s_cmp_lt_u32 s55, s51
	s_mov_b32 s42, s55
	s_cbranch_scc0 .LBB606_10
.LBB606_974:                            ;   Parent Loop BB606_12 Depth=1
                                        ; =>  This Inner Loop Header: Depth=2
	s_wait_alu 0xfffe
	s_add_co_i32 s55, s42, 0x1000
	s_wait_alu 0xfffe
	s_cmp_gt_u32 s55, s51
	s_cbranch_scc1 .LBB606_976
; %bb.975:                              ;   in Loop: Header=BB606_974 Depth=2
	s_lshl_b64 s[16:17], s[42:43], 2
	s_mov_b32 s15, -1
	s_wait_alu 0xfffe
	v_add_co_u32 v36, vcc_lo, v116, s16
	s_wait_alu 0xfffd
	v_add_co_ci_u32_e64 v37, null, s17, v117, vcc_lo
	s_clause 0xe
	global_load_b32 v136, v[36:37], off
	global_load_b32 v137, v[36:37], off offset:128
	global_load_b32 v144, v[36:37], off offset:256
	;; [unrolled: 1-line block ×14, first 2 shown]
	s_movk_i32 s16, 0x1000
	s_cbranch_execz .LBB606_977
	s_branch .LBB606_1008
.LBB606_976:                            ;   in Loop: Header=BB606_974 Depth=2
	s_mov_b32 s15, 0
                                        ; implicit-def: $vgpr136
                                        ; implicit-def: $vgpr137
                                        ; implicit-def: $vgpr144
                                        ; implicit-def: $vgpr148
                                        ; implicit-def: $vgpr152
                                        ; implicit-def: $vgpr156
                                        ; implicit-def: $vgpr160
                                        ; implicit-def: $vgpr164
                                        ; implicit-def: $vgpr167
                                        ; implicit-def: $vgpr43
                                        ; implicit-def: $vgpr42
                                        ; implicit-def: $vgpr41
                                        ; implicit-def: $vgpr40
                                        ; implicit-def: $vgpr39
                                        ; implicit-def: $vgpr38
	s_movk_i32 s16, 0x1000
.LBB606_977:                            ;   in Loop: Header=BB606_974 Depth=2
	s_lshl_b64 s[16:17], s[42:43], 2
	s_wait_loadcnt 0xd
	v_bfrev_b32_e32 v137, -2
	s_wait_alu 0xfffe
	v_add_co_u32 v36, vcc_lo, v116, s16
	s_wait_alu 0xfffd
	v_add_co_ci_u32_e64 v37, null, s17, v117, vcc_lo
	v_bfrev_b32_e32 v136, -2
	s_mov_b32 s15, exec_lo
	v_cmpx_gt_u32_e64 s54, v88
	s_cbranch_execz .LBB606_979
; %bb.978:                              ;   in Loop: Header=BB606_974 Depth=2
	global_load_b32 v136, v[36:37], off
.LBB606_979:                            ;   in Loop: Header=BB606_974 Depth=2
	s_wait_alu 0xfffe
	s_or_b32 exec_lo, exec_lo, s15
	s_delay_alu instid0(SALU_CYCLE_1)
	s_mov_b32 s15, exec_lo
	v_cmpx_gt_u32_e64 s54, v92
	s_cbranch_execz .LBB606_981
; %bb.980:                              ;   in Loop: Header=BB606_974 Depth=2
	global_load_b32 v137, v[36:37], off offset:128
.LBB606_981:                            ;   in Loop: Header=BB606_974 Depth=2
	s_wait_alu 0xfffe
	s_or_b32 exec_lo, exec_lo, s15
	s_wait_loadcnt 0xb
	v_bfrev_b32_e32 v148, -2
	v_bfrev_b32_e32 v144, -2
	s_mov_b32 s15, exec_lo
	v_cmpx_gt_u32_e64 s54, v93
	s_cbranch_execz .LBB606_983
; %bb.982:                              ;   in Loop: Header=BB606_974 Depth=2
	global_load_b32 v144, v[36:37], off offset:256
.LBB606_983:                            ;   in Loop: Header=BB606_974 Depth=2
	s_wait_alu 0xfffe
	s_or_b32 exec_lo, exec_lo, s15
	s_delay_alu instid0(SALU_CYCLE_1)
	s_mov_b32 s15, exec_lo
	v_cmpx_gt_u32_e64 s54, v94
	s_cbranch_execz .LBB606_985
; %bb.984:                              ;   in Loop: Header=BB606_974 Depth=2
	global_load_b32 v148, v[36:37], off offset:384
.LBB606_985:                            ;   in Loop: Header=BB606_974 Depth=2
	s_wait_alu 0xfffe
	s_or_b32 exec_lo, exec_lo, s15
	s_wait_loadcnt 0x9
	v_bfrev_b32_e32 v156, -2
	v_bfrev_b32_e32 v152, -2
	s_mov_b32 s15, exec_lo
	v_cmpx_gt_u32_e64 s54, v95
	s_cbranch_execz .LBB606_987
; %bb.986:                              ;   in Loop: Header=BB606_974 Depth=2
	global_load_b32 v152, v[36:37], off offset:512
.LBB606_987:                            ;   in Loop: Header=BB606_974 Depth=2
	;; [unrolled: 20-line block ×5, first 2 shown]
	s_wait_alu 0xfffe
	s_or_b32 exec_lo, exec_lo, s15
	s_delay_alu instid0(SALU_CYCLE_1)
	s_mov_b32 s15, exec_lo
	v_cmpx_gt_u32_e64 s54, v102
	s_cbranch_execz .LBB606_1001
; %bb.1000:                             ;   in Loop: Header=BB606_974 Depth=2
	global_load_b32 v41, v[36:37], off offset:1408
.LBB606_1001:                           ;   in Loop: Header=BB606_974 Depth=2
	s_wait_alu 0xfffe
	s_or_b32 exec_lo, exec_lo, s15
	s_wait_loadcnt 0x1
	v_bfrev_b32_e32 v39, -2
	v_bfrev_b32_e32 v40, -2
	s_mov_b32 s15, exec_lo
	v_cmpx_gt_u32_e64 s54, v103
	s_cbranch_execz .LBB606_1003
; %bb.1002:                             ;   in Loop: Header=BB606_974 Depth=2
	global_load_b32 v40, v[36:37], off offset:1536
.LBB606_1003:                           ;   in Loop: Header=BB606_974 Depth=2
	s_wait_alu 0xfffe
	s_or_b32 exec_lo, exec_lo, s15
	s_delay_alu instid0(SALU_CYCLE_1)
	s_mov_b32 s15, exec_lo
	v_cmpx_gt_u32_e64 s54, v104
	s_cbranch_execz .LBB606_1005
; %bb.1004:                             ;   in Loop: Header=BB606_974 Depth=2
	global_load_b32 v39, v[36:37], off offset:1664
.LBB606_1005:                           ;   in Loop: Header=BB606_974 Depth=2
	s_wait_alu 0xfffe
	s_or_b32 exec_lo, exec_lo, s15
	s_wait_loadcnt 0x0
	v_bfrev_b32_e32 v38, -2
	s_mov_b32 s15, exec_lo
	v_cmpx_gt_u32_e64 s54, v105
	s_cbranch_execz .LBB606_1007
; %bb.1006:                             ;   in Loop: Header=BB606_974 Depth=2
	global_load_b32 v38, v[36:37], off offset:1792
.LBB606_1007:                           ;   in Loop: Header=BB606_974 Depth=2
	s_wait_alu 0xfffe
	s_or_b32 exec_lo, exec_lo, s15
	v_cmp_gt_u32_e64 s15, s54, v106
	s_sub_co_i32 s16, s51, s42
.LBB606_1008:                           ;   in Loop: Header=BB606_974 Depth=2
	v_dual_mov_b32 v2, -1 :: v_dual_mov_b32 v135, s54
	s_and_saveexec_b32 s17, s15
	s_cbranch_execz .LBB606_1010
; %bb.1009:                             ;   in Loop: Header=BB606_974 Depth=2
	s_lshl_b64 s[18:19], s[42:43], 2
	s_wait_alu 0xfffe
	v_mov_b32_e32 v135, s16
	v_add_co_u32 v36, vcc_lo, v116, s18
	s_wait_alu 0xfffd
	v_add_co_ci_u32_e64 v37, null, s19, v117, vcc_lo
	global_load_b32 v2, v[36:37], off offset:1920
	s_wait_loadcnt 0x0
	v_xor_b32_e32 v2, 0x80000000, v2
.LBB606_1010:                           ;   in Loop: Header=BB606_974 Depth=2
	s_wait_alu 0xfffe
	s_or_b32 exec_lo, exec_lo, s17
	s_wait_loadcnt 0xe
	v_xor_b32_e32 v136, 0x80000000, v136
	s_delay_alu instid0(VALU_DEP_1) | instskip(NEXT) | instid1(VALU_DEP_1)
	v_lshrrev_b32_e32 v36, s49, v136
	v_and_b32_e32 v37, s48, v36
	s_delay_alu instid0(VALU_DEP_1)
	v_and_b32_e32 v36, 1, v37
	v_lshlrev_b32_e32 v138, 30, v37
	v_lshlrev_b32_e32 v139, 29, v37
	;; [unrolled: 1-line block ×4, first 2 shown]
	v_add_co_u32 v36, s15, v36, -1
	s_wait_alu 0xf1ff
	v_cndmask_b32_e64 v141, 0, 1, s15
	v_not_b32_e32 v146, v138
	v_cmp_gt_i32_e64 s15, 0, v138
	v_not_b32_e32 v138, v139
	v_lshlrev_b32_e32 v143, 26, v37
	v_cmp_ne_u32_e32 vcc_lo, 0, v141
	v_ashrrev_i32_e32 v146, 31, v146
	v_lshlrev_b32_e32 v145, 25, v37
	v_ashrrev_i32_e32 v138, 31, v138
	v_lshlrev_b32_e32 v141, 24, v37
	s_wait_alu 0xfffd
	v_xor_b32_e32 v36, vcc_lo, v36
	v_cmp_gt_i32_e32 vcc_lo, 0, v139
	v_not_b32_e32 v139, v140
	s_wait_alu 0xf1ff
	v_xor_b32_e32 v146, s15, v146
	v_cmp_gt_i32_e64 s15, 0, v140
	v_and_b32_e32 v36, exec_lo, v36
	v_not_b32_e32 v140, v142
	v_ashrrev_i32_e32 v139, 31, v139
	s_wait_alu 0xfffd
	v_xor_b32_e32 v138, vcc_lo, v138
	v_cmp_gt_i32_e32 vcc_lo, 0, v142
	v_and_b32_e32 v36, v36, v146
	v_not_b32_e32 v142, v143
	v_ashrrev_i32_e32 v140, 31, v140
	s_wait_alu 0xf1ff
	v_xor_b32_e32 v139, s15, v139
	v_cmp_gt_i32_e64 s15, 0, v143
	v_and_b32_e32 v36, v36, v138
	v_not_b32_e32 v138, v145
	v_ashrrev_i32_e32 v142, 31, v142
	s_wait_alu 0xfffd
	v_xor_b32_e32 v140, vcc_lo, v140
	v_cmp_gt_i32_e32 vcc_lo, 0, v145
	v_and_b32_e32 v36, v36, v139
	v_not_b32_e32 v139, v141
	v_ashrrev_i32_e32 v138, 31, v138
	s_wait_alu 0xf1ff
	v_xor_b32_e32 v142, s15, v142
	v_cmp_gt_i32_e64 s15, 0, v141
	v_and_b32_e32 v36, v36, v140
	v_ashrrev_i32_e32 v139, 31, v139
	s_wait_alu 0xfffd
	v_xor_b32_e32 v138, vcc_lo, v138
	v_mul_u32_u24_e32 v37, 36, v37
	v_add_nc_u32_e32 v141, 0x428, v67
	v_and_b32_e32 v36, v36, v142
	s_wait_alu 0xf1ff
	v_xor_b32_e32 v140, s15, v139
	v_add_nc_u32_e32 v139, 0x438, v67
	v_add_nc_u32_e32 v142, 0x430, v67
	;; [unrolled: 1-line block ×3, first 2 shown]
	v_and_b32_e32 v36, v36, v138
	ds_store_2addr_b32 v139, v3, v3 offset1:1
	v_and_b32_e32 v36, v36, v140
	v_add_nc_u32_e32 v140, 0x420, v67
	ds_store_2addr_b32 v140, v3, v3 offset1:1
	ds_store_2addr_b32 v141, v3, v3 offset1:1
	;; [unrolled: 1-line block ×3, first 2 shown]
	ds_store_b32 v67, v3 offset:1088
	v_mbcnt_lo_u32_b32 v138, v36, 0
	v_cmp_ne_u32_e64 s15, 0, v36
	s_wait_loadcnt_dscnt 0x0
	s_barrier_signal -1
	s_barrier_wait -1
	v_cmp_eq_u32_e32 vcc_lo, 0, v138
	global_inv scope:SCOPE_SE
	; wave barrier
	s_and_b32 s16, s15, vcc_lo
	s_wait_alu 0xfffe
	s_and_saveexec_b32 s15, s16
; %bb.1011:                             ;   in Loop: Header=BB606_974 Depth=2
	v_bcnt_u32_b32 v36, v36, 0
	ds_store_b32 v143, v36 offset:1056
; %bb.1012:                             ;   in Loop: Header=BB606_974 Depth=2
	s_wait_alu 0xfffe
	s_or_b32 exec_lo, exec_lo, s15
	v_xor_b32_e32 v137, 0x80000000, v137
	; wave barrier
	s_delay_alu instid0(VALU_DEP_1) | instskip(NEXT) | instid1(VALU_DEP_1)
	v_lshrrev_b32_e32 v36, s49, v137
	v_and_b32_e32 v37, s48, v36
	s_delay_alu instid0(VALU_DEP_1)
	v_and_b32_e32 v36, 1, v37
	v_lshlrev_b32_e32 v145, 30, v37
	v_lshlrev_b32_e32 v146, 29, v37
	;; [unrolled: 1-line block ×4, first 2 shown]
	v_add_co_u32 v36, s15, v36, -1
	s_wait_alu 0xf1ff
	v_cndmask_b32_e64 v149, 0, 1, s15
	v_not_b32_e32 v154, v145
	v_cmp_gt_i32_e64 s15, 0, v145
	v_not_b32_e32 v145, v146
	v_lshlrev_b32_e32 v151, 26, v37
	v_cmp_ne_u32_e32 vcc_lo, 0, v149
	v_ashrrev_i32_e32 v154, 31, v154
	v_lshlrev_b32_e32 v153, 25, v37
	v_ashrrev_i32_e32 v145, 31, v145
	v_lshlrev_b32_e32 v149, 24, v37
	s_wait_alu 0xfffd
	v_xor_b32_e32 v36, vcc_lo, v36
	v_cmp_gt_i32_e32 vcc_lo, 0, v146
	v_not_b32_e32 v146, v147
	s_wait_alu 0xf1ff
	v_xor_b32_e32 v154, s15, v154
	v_cmp_gt_i32_e64 s15, 0, v147
	v_and_b32_e32 v36, exec_lo, v36
	v_not_b32_e32 v147, v150
	v_ashrrev_i32_e32 v146, 31, v146
	s_wait_alu 0xfffd
	v_xor_b32_e32 v145, vcc_lo, v145
	v_cmp_gt_i32_e32 vcc_lo, 0, v150
	v_and_b32_e32 v36, v36, v154
	v_not_b32_e32 v150, v151
	v_ashrrev_i32_e32 v147, 31, v147
	s_wait_alu 0xf1ff
	v_xor_b32_e32 v146, s15, v146
	v_cmp_gt_i32_e64 s15, 0, v151
	v_and_b32_e32 v36, v36, v145
	v_not_b32_e32 v145, v153
	v_ashrrev_i32_e32 v150, 31, v150
	s_wait_alu 0xfffd
	v_xor_b32_e32 v147, vcc_lo, v147
	v_cmp_gt_i32_e32 vcc_lo, 0, v153
	v_and_b32_e32 v36, v36, v146
	v_not_b32_e32 v146, v149
	v_ashrrev_i32_e32 v145, 31, v145
	s_wait_alu 0xf1ff
	v_xor_b32_e32 v150, s15, v150
	v_cmp_gt_i32_e64 s15, 0, v149
	v_and_b32_e32 v36, v36, v147
	v_ashrrev_i32_e32 v146, 31, v146
	s_wait_alu 0xfffd
	v_xor_b32_e32 v145, vcc_lo, v145
	v_mad_u32_u24 v147, v37, 36, v118
	v_mul_u32_u24_e32 v37, 36, v37
	v_and_b32_e32 v36, v36, v150
	s_wait_alu 0xf1ff
	v_xor_b32_e32 v146, s15, v146
	s_delay_alu instid0(VALU_DEP_2) | instskip(SKIP_3) | instid1(VALU_DEP_1)
	v_and_b32_e32 v36, v36, v145
	ds_load_b32 v145, v147 offset:1056
	v_add_nc_u32_e32 v147, v118, v37
	; wave barrier
	v_and_b32_e32 v36, v36, v146
	v_mbcnt_lo_u32_b32 v146, v36, 0
	v_cmp_ne_u32_e64 s15, 0, v36
	s_delay_alu instid0(VALU_DEP_2)
	v_cmp_eq_u32_e32 vcc_lo, 0, v146
	s_and_b32 s16, s15, vcc_lo
	s_wait_alu 0xfffe
	s_and_saveexec_b32 s15, s16
	s_cbranch_execz .LBB606_1014
; %bb.1013:                             ;   in Loop: Header=BB606_974 Depth=2
	s_wait_dscnt 0x0
	v_bcnt_u32_b32 v36, v36, v145
	ds_store_b32 v147, v36 offset:1056
.LBB606_1014:                           ;   in Loop: Header=BB606_974 Depth=2
	s_wait_alu 0xfffe
	s_or_b32 exec_lo, exec_lo, s15
	v_xor_b32_e32 v144, 0x80000000, v144
	; wave barrier
	s_delay_alu instid0(VALU_DEP_1) | instskip(NEXT) | instid1(VALU_DEP_1)
	v_lshrrev_b32_e32 v36, s49, v144
	v_and_b32_e32 v37, s48, v36
	s_delay_alu instid0(VALU_DEP_1)
	v_and_b32_e32 v36, 1, v37
	v_lshlrev_b32_e32 v149, 30, v37
	v_lshlrev_b32_e32 v150, 29, v37
	;; [unrolled: 1-line block ×4, first 2 shown]
	v_add_co_u32 v36, s15, v36, -1
	s_wait_alu 0xf1ff
	v_cndmask_b32_e64 v153, 0, 1, s15
	v_not_b32_e32 v158, v149
	v_cmp_gt_i32_e64 s15, 0, v149
	v_not_b32_e32 v149, v150
	v_lshlrev_b32_e32 v155, 26, v37
	v_cmp_ne_u32_e32 vcc_lo, 0, v153
	v_ashrrev_i32_e32 v158, 31, v158
	v_lshlrev_b32_e32 v157, 25, v37
	v_ashrrev_i32_e32 v149, 31, v149
	v_lshlrev_b32_e32 v153, 24, v37
	s_wait_alu 0xfffd
	v_xor_b32_e32 v36, vcc_lo, v36
	v_cmp_gt_i32_e32 vcc_lo, 0, v150
	v_not_b32_e32 v150, v151
	s_wait_alu 0xf1ff
	v_xor_b32_e32 v158, s15, v158
	v_cmp_gt_i32_e64 s15, 0, v151
	v_and_b32_e32 v36, exec_lo, v36
	v_not_b32_e32 v151, v154
	v_ashrrev_i32_e32 v150, 31, v150
	s_wait_alu 0xfffd
	v_xor_b32_e32 v149, vcc_lo, v149
	v_cmp_gt_i32_e32 vcc_lo, 0, v154
	v_and_b32_e32 v36, v36, v158
	v_not_b32_e32 v154, v155
	v_ashrrev_i32_e32 v151, 31, v151
	s_wait_alu 0xf1ff
	v_xor_b32_e32 v150, s15, v150
	v_cmp_gt_i32_e64 s15, 0, v155
	v_and_b32_e32 v36, v36, v149
	v_not_b32_e32 v149, v157
	v_ashrrev_i32_e32 v154, 31, v154
	s_wait_alu 0xfffd
	v_xor_b32_e32 v151, vcc_lo, v151
	v_cmp_gt_i32_e32 vcc_lo, 0, v157
	v_and_b32_e32 v36, v36, v150
	v_not_b32_e32 v150, v153
	v_ashrrev_i32_e32 v149, 31, v149
	s_wait_alu 0xf1ff
	v_xor_b32_e32 v154, s15, v154
	v_cmp_gt_i32_e64 s15, 0, v153
	v_and_b32_e32 v36, v36, v151
	v_ashrrev_i32_e32 v150, 31, v150
	s_wait_alu 0xfffd
	v_xor_b32_e32 v149, vcc_lo, v149
	v_mad_u32_u24 v151, v37, 36, v118
	v_mul_u32_u24_e32 v37, 36, v37
	v_and_b32_e32 v36, v36, v154
	s_wait_alu 0xf1ff
	v_xor_b32_e32 v150, s15, v150
	s_delay_alu instid0(VALU_DEP_2) | instskip(SKIP_3) | instid1(VALU_DEP_1)
	v_and_b32_e32 v36, v36, v149
	ds_load_b32 v149, v151 offset:1056
	v_add_nc_u32_e32 v151, v118, v37
	; wave barrier
	v_and_b32_e32 v36, v36, v150
	v_mbcnt_lo_u32_b32 v150, v36, 0
	v_cmp_ne_u32_e64 s15, 0, v36
	s_delay_alu instid0(VALU_DEP_2)
	v_cmp_eq_u32_e32 vcc_lo, 0, v150
	s_and_b32 s16, s15, vcc_lo
	s_wait_alu 0xfffe
	s_and_saveexec_b32 s15, s16
	s_cbranch_execz .LBB606_1016
; %bb.1015:                             ;   in Loop: Header=BB606_974 Depth=2
	s_wait_dscnt 0x0
	v_bcnt_u32_b32 v36, v36, v149
	ds_store_b32 v151, v36 offset:1056
.LBB606_1016:                           ;   in Loop: Header=BB606_974 Depth=2
	s_wait_alu 0xfffe
	s_or_b32 exec_lo, exec_lo, s15
	v_xor_b32_e32 v148, 0x80000000, v148
	; wave barrier
	s_delay_alu instid0(VALU_DEP_1) | instskip(NEXT) | instid1(VALU_DEP_1)
	v_lshrrev_b32_e32 v36, s49, v148
	v_and_b32_e32 v37, s48, v36
	s_delay_alu instid0(VALU_DEP_1)
	v_and_b32_e32 v36, 1, v37
	v_lshlrev_b32_e32 v153, 30, v37
	v_lshlrev_b32_e32 v154, 29, v37
	;; [unrolled: 1-line block ×4, first 2 shown]
	v_add_co_u32 v36, s15, v36, -1
	s_wait_alu 0xf1ff
	v_cndmask_b32_e64 v157, 0, 1, s15
	v_not_b32_e32 v162, v153
	v_cmp_gt_i32_e64 s15, 0, v153
	v_not_b32_e32 v153, v154
	v_lshlrev_b32_e32 v159, 26, v37
	v_cmp_ne_u32_e32 vcc_lo, 0, v157
	v_ashrrev_i32_e32 v162, 31, v162
	v_lshlrev_b32_e32 v161, 25, v37
	v_ashrrev_i32_e32 v153, 31, v153
	v_lshlrev_b32_e32 v157, 24, v37
	s_wait_alu 0xfffd
	v_xor_b32_e32 v36, vcc_lo, v36
	v_cmp_gt_i32_e32 vcc_lo, 0, v154
	v_not_b32_e32 v154, v155
	s_wait_alu 0xf1ff
	v_xor_b32_e32 v162, s15, v162
	v_cmp_gt_i32_e64 s15, 0, v155
	v_and_b32_e32 v36, exec_lo, v36
	v_not_b32_e32 v155, v158
	v_ashrrev_i32_e32 v154, 31, v154
	s_wait_alu 0xfffd
	v_xor_b32_e32 v153, vcc_lo, v153
	v_cmp_gt_i32_e32 vcc_lo, 0, v158
	v_and_b32_e32 v36, v36, v162
	v_not_b32_e32 v158, v159
	v_ashrrev_i32_e32 v155, 31, v155
	s_wait_alu 0xf1ff
	v_xor_b32_e32 v154, s15, v154
	v_cmp_gt_i32_e64 s15, 0, v159
	v_and_b32_e32 v36, v36, v153
	v_not_b32_e32 v153, v161
	v_ashrrev_i32_e32 v158, 31, v158
	s_wait_alu 0xfffd
	v_xor_b32_e32 v155, vcc_lo, v155
	v_cmp_gt_i32_e32 vcc_lo, 0, v161
	v_and_b32_e32 v36, v36, v154
	v_not_b32_e32 v154, v157
	v_ashrrev_i32_e32 v153, 31, v153
	s_wait_alu 0xf1ff
	v_xor_b32_e32 v158, s15, v158
	v_cmp_gt_i32_e64 s15, 0, v157
	v_and_b32_e32 v36, v36, v155
	v_ashrrev_i32_e32 v154, 31, v154
	s_wait_alu 0xfffd
	v_xor_b32_e32 v153, vcc_lo, v153
	v_mad_u32_u24 v155, v37, 36, v118
	v_mul_u32_u24_e32 v37, 36, v37
	v_and_b32_e32 v36, v36, v158
	s_wait_alu 0xf1ff
	v_xor_b32_e32 v154, s15, v154
	s_delay_alu instid0(VALU_DEP_2) | instskip(SKIP_3) | instid1(VALU_DEP_1)
	v_and_b32_e32 v36, v36, v153
	ds_load_b32 v153, v155 offset:1056
	v_add_nc_u32_e32 v155, v118, v37
	; wave barrier
	v_and_b32_e32 v36, v36, v154
	v_mbcnt_lo_u32_b32 v154, v36, 0
	v_cmp_ne_u32_e64 s15, 0, v36
	s_delay_alu instid0(VALU_DEP_2)
	v_cmp_eq_u32_e32 vcc_lo, 0, v154
	s_and_b32 s16, s15, vcc_lo
	s_wait_alu 0xfffe
	s_and_saveexec_b32 s15, s16
	s_cbranch_execz .LBB606_1018
; %bb.1017:                             ;   in Loop: Header=BB606_974 Depth=2
	s_wait_dscnt 0x0
	v_bcnt_u32_b32 v36, v36, v153
	ds_store_b32 v155, v36 offset:1056
.LBB606_1018:                           ;   in Loop: Header=BB606_974 Depth=2
	s_wait_alu 0xfffe
	s_or_b32 exec_lo, exec_lo, s15
	v_xor_b32_e32 v152, 0x80000000, v152
	; wave barrier
	s_delay_alu instid0(VALU_DEP_1) | instskip(NEXT) | instid1(VALU_DEP_1)
	v_lshrrev_b32_e32 v36, s49, v152
	v_and_b32_e32 v37, s48, v36
	s_delay_alu instid0(VALU_DEP_1)
	v_and_b32_e32 v36, 1, v37
	v_lshlrev_b32_e32 v157, 30, v37
	v_lshlrev_b32_e32 v158, 29, v37
	;; [unrolled: 1-line block ×4, first 2 shown]
	v_add_co_u32 v36, s15, v36, -1
	s_wait_alu 0xf1ff
	v_cndmask_b32_e64 v161, 0, 1, s15
	v_not_b32_e32 v166, v157
	v_cmp_gt_i32_e64 s15, 0, v157
	v_not_b32_e32 v157, v158
	v_lshlrev_b32_e32 v163, 26, v37
	v_cmp_ne_u32_e32 vcc_lo, 0, v161
	v_ashrrev_i32_e32 v166, 31, v166
	v_lshlrev_b32_e32 v165, 25, v37
	v_ashrrev_i32_e32 v157, 31, v157
	v_lshlrev_b32_e32 v161, 24, v37
	s_wait_alu 0xfffd
	v_xor_b32_e32 v36, vcc_lo, v36
	v_cmp_gt_i32_e32 vcc_lo, 0, v158
	v_not_b32_e32 v158, v159
	s_wait_alu 0xf1ff
	v_xor_b32_e32 v166, s15, v166
	v_cmp_gt_i32_e64 s15, 0, v159
	v_and_b32_e32 v36, exec_lo, v36
	v_not_b32_e32 v159, v162
	v_ashrrev_i32_e32 v158, 31, v158
	s_wait_alu 0xfffd
	v_xor_b32_e32 v157, vcc_lo, v157
	v_cmp_gt_i32_e32 vcc_lo, 0, v162
	v_and_b32_e32 v36, v36, v166
	v_not_b32_e32 v162, v163
	v_ashrrev_i32_e32 v159, 31, v159
	s_wait_alu 0xf1ff
	v_xor_b32_e32 v158, s15, v158
	v_cmp_gt_i32_e64 s15, 0, v163
	v_and_b32_e32 v36, v36, v157
	v_not_b32_e32 v157, v165
	v_ashrrev_i32_e32 v162, 31, v162
	s_wait_alu 0xfffd
	v_xor_b32_e32 v159, vcc_lo, v159
	v_cmp_gt_i32_e32 vcc_lo, 0, v165
	v_and_b32_e32 v36, v36, v158
	v_not_b32_e32 v158, v161
	v_ashrrev_i32_e32 v157, 31, v157
	s_wait_alu 0xf1ff
	v_xor_b32_e32 v162, s15, v162
	v_cmp_gt_i32_e64 s15, 0, v161
	v_and_b32_e32 v36, v36, v159
	v_ashrrev_i32_e32 v158, 31, v158
	s_wait_alu 0xfffd
	v_xor_b32_e32 v157, vcc_lo, v157
	v_mad_u32_u24 v159, v37, 36, v118
	v_mul_u32_u24_e32 v37, 36, v37
	v_and_b32_e32 v36, v36, v162
	s_wait_alu 0xf1ff
	v_xor_b32_e32 v158, s15, v158
	s_delay_alu instid0(VALU_DEP_2) | instskip(SKIP_3) | instid1(VALU_DEP_1)
	v_and_b32_e32 v36, v36, v157
	ds_load_b32 v157, v159 offset:1056
	v_add_nc_u32_e32 v159, v118, v37
	; wave barrier
	v_and_b32_e32 v36, v36, v158
	v_mbcnt_lo_u32_b32 v158, v36, 0
	v_cmp_ne_u32_e64 s15, 0, v36
	s_delay_alu instid0(VALU_DEP_2)
	v_cmp_eq_u32_e32 vcc_lo, 0, v158
	s_and_b32 s16, s15, vcc_lo
	s_wait_alu 0xfffe
	s_and_saveexec_b32 s15, s16
	s_cbranch_execz .LBB606_1020
; %bb.1019:                             ;   in Loop: Header=BB606_974 Depth=2
	s_wait_dscnt 0x0
	v_bcnt_u32_b32 v36, v36, v157
	ds_store_b32 v159, v36 offset:1056
.LBB606_1020:                           ;   in Loop: Header=BB606_974 Depth=2
	s_wait_alu 0xfffe
	s_or_b32 exec_lo, exec_lo, s15
	v_xor_b32_e32 v156, 0x80000000, v156
	; wave barrier
	s_delay_alu instid0(VALU_DEP_1) | instskip(NEXT) | instid1(VALU_DEP_1)
	v_lshrrev_b32_e32 v36, s49, v156
	v_and_b32_e32 v37, s48, v36
	s_delay_alu instid0(VALU_DEP_1)
	v_and_b32_e32 v36, 1, v37
	v_lshlrev_b32_e32 v161, 30, v37
	v_lshlrev_b32_e32 v162, 29, v37
	;; [unrolled: 1-line block ×4, first 2 shown]
	v_add_co_u32 v36, s15, v36, -1
	s_wait_alu 0xf1ff
	v_cndmask_b32_e64 v165, 0, 1, s15
	v_not_b32_e32 v170, v161
	v_cmp_gt_i32_e64 s15, 0, v161
	v_not_b32_e32 v161, v162
	v_lshlrev_b32_e32 v168, 26, v37
	v_cmp_ne_u32_e32 vcc_lo, 0, v165
	v_ashrrev_i32_e32 v170, 31, v170
	v_lshlrev_b32_e32 v169, 25, v37
	v_ashrrev_i32_e32 v161, 31, v161
	v_lshlrev_b32_e32 v165, 24, v37
	s_wait_alu 0xfffd
	v_xor_b32_e32 v36, vcc_lo, v36
	v_cmp_gt_i32_e32 vcc_lo, 0, v162
	v_not_b32_e32 v162, v163
	s_wait_alu 0xf1ff
	v_xor_b32_e32 v170, s15, v170
	v_cmp_gt_i32_e64 s15, 0, v163
	v_and_b32_e32 v36, exec_lo, v36
	v_not_b32_e32 v163, v166
	v_ashrrev_i32_e32 v162, 31, v162
	s_wait_alu 0xfffd
	v_xor_b32_e32 v161, vcc_lo, v161
	v_cmp_gt_i32_e32 vcc_lo, 0, v166
	v_and_b32_e32 v36, v36, v170
	v_not_b32_e32 v166, v168
	v_ashrrev_i32_e32 v163, 31, v163
	s_wait_alu 0xf1ff
	v_xor_b32_e32 v162, s15, v162
	v_cmp_gt_i32_e64 s15, 0, v168
	v_and_b32_e32 v36, v36, v161
	v_not_b32_e32 v161, v169
	v_ashrrev_i32_e32 v166, 31, v166
	s_wait_alu 0xfffd
	v_xor_b32_e32 v163, vcc_lo, v163
	v_cmp_gt_i32_e32 vcc_lo, 0, v169
	v_and_b32_e32 v36, v36, v162
	v_not_b32_e32 v162, v165
	v_ashrrev_i32_e32 v161, 31, v161
	s_wait_alu 0xf1ff
	v_xor_b32_e32 v166, s15, v166
	v_cmp_gt_i32_e64 s15, 0, v165
	v_and_b32_e32 v36, v36, v163
	v_ashrrev_i32_e32 v162, 31, v162
	s_wait_alu 0xfffd
	v_xor_b32_e32 v161, vcc_lo, v161
	v_mad_u32_u24 v163, v37, 36, v118
	v_mul_u32_u24_e32 v37, 36, v37
	v_and_b32_e32 v36, v36, v166
	s_wait_alu 0xf1ff
	v_xor_b32_e32 v162, s15, v162
	s_delay_alu instid0(VALU_DEP_2) | instskip(SKIP_3) | instid1(VALU_DEP_1)
	v_and_b32_e32 v36, v36, v161
	ds_load_b32 v161, v163 offset:1056
	v_add_nc_u32_e32 v163, v118, v37
	; wave barrier
	v_and_b32_e32 v36, v36, v162
	v_mbcnt_lo_u32_b32 v162, v36, 0
	v_cmp_ne_u32_e64 s15, 0, v36
	s_delay_alu instid0(VALU_DEP_2)
	v_cmp_eq_u32_e32 vcc_lo, 0, v162
	s_and_b32 s16, s15, vcc_lo
	s_wait_alu 0xfffe
	s_and_saveexec_b32 s15, s16
	s_cbranch_execz .LBB606_1022
; %bb.1021:                             ;   in Loop: Header=BB606_974 Depth=2
	s_wait_dscnt 0x0
	v_bcnt_u32_b32 v36, v36, v161
	ds_store_b32 v163, v36 offset:1056
.LBB606_1022:                           ;   in Loop: Header=BB606_974 Depth=2
	s_wait_alu 0xfffe
	s_or_b32 exec_lo, exec_lo, s15
	v_xor_b32_e32 v160, 0x80000000, v160
	; wave barrier
	s_delay_alu instid0(VALU_DEP_1) | instskip(NEXT) | instid1(VALU_DEP_1)
	v_lshrrev_b32_e32 v36, s49, v160
	v_and_b32_e32 v37, s48, v36
	s_delay_alu instid0(VALU_DEP_1)
	v_and_b32_e32 v36, 1, v37
	v_lshlrev_b32_e32 v165, 30, v37
	v_lshlrev_b32_e32 v166, 29, v37
	;; [unrolled: 1-line block ×4, first 2 shown]
	v_add_co_u32 v36, s15, v36, -1
	s_wait_alu 0xf1ff
	v_cndmask_b32_e64 v169, 0, 1, s15
	v_not_b32_e32 v173, v165
	v_cmp_gt_i32_e64 s15, 0, v165
	v_not_b32_e32 v165, v166
	v_lshlrev_b32_e32 v171, 26, v37
	v_cmp_ne_u32_e32 vcc_lo, 0, v169
	v_ashrrev_i32_e32 v173, 31, v173
	v_lshlrev_b32_e32 v172, 25, v37
	v_ashrrev_i32_e32 v165, 31, v165
	v_lshlrev_b32_e32 v169, 24, v37
	s_wait_alu 0xfffd
	v_xor_b32_e32 v36, vcc_lo, v36
	v_cmp_gt_i32_e32 vcc_lo, 0, v166
	v_not_b32_e32 v166, v168
	s_wait_alu 0xf1ff
	v_xor_b32_e32 v173, s15, v173
	v_cmp_gt_i32_e64 s15, 0, v168
	v_and_b32_e32 v36, exec_lo, v36
	v_not_b32_e32 v168, v170
	v_ashrrev_i32_e32 v166, 31, v166
	s_wait_alu 0xfffd
	v_xor_b32_e32 v165, vcc_lo, v165
	v_cmp_gt_i32_e32 vcc_lo, 0, v170
	v_and_b32_e32 v36, v36, v173
	v_not_b32_e32 v170, v171
	v_ashrrev_i32_e32 v168, 31, v168
	s_wait_alu 0xf1ff
	v_xor_b32_e32 v166, s15, v166
	v_cmp_gt_i32_e64 s15, 0, v171
	v_and_b32_e32 v36, v36, v165
	v_not_b32_e32 v165, v172
	v_ashrrev_i32_e32 v170, 31, v170
	s_wait_alu 0xfffd
	v_xor_b32_e32 v168, vcc_lo, v168
	v_cmp_gt_i32_e32 vcc_lo, 0, v172
	v_and_b32_e32 v36, v36, v166
	v_not_b32_e32 v166, v169
	v_ashrrev_i32_e32 v165, 31, v165
	s_wait_alu 0xf1ff
	v_xor_b32_e32 v170, s15, v170
	v_cmp_gt_i32_e64 s15, 0, v169
	v_and_b32_e32 v36, v36, v168
	v_ashrrev_i32_e32 v166, 31, v166
	s_wait_alu 0xfffd
	v_xor_b32_e32 v165, vcc_lo, v165
	v_mad_u32_u24 v168, v37, 36, v118
	v_mul_u32_u24_e32 v37, 36, v37
	v_and_b32_e32 v36, v36, v170
	s_wait_alu 0xf1ff
	v_xor_b32_e32 v166, s15, v166
	s_delay_alu instid0(VALU_DEP_2) | instskip(SKIP_3) | instid1(VALU_DEP_1)
	v_and_b32_e32 v36, v36, v165
	ds_load_b32 v165, v168 offset:1056
	v_add_nc_u32_e32 v168, v118, v37
	; wave barrier
	v_and_b32_e32 v36, v36, v166
	v_mbcnt_lo_u32_b32 v166, v36, 0
	v_cmp_ne_u32_e64 s15, 0, v36
	s_delay_alu instid0(VALU_DEP_2)
	v_cmp_eq_u32_e32 vcc_lo, 0, v166
	s_and_b32 s16, s15, vcc_lo
	s_wait_alu 0xfffe
	s_and_saveexec_b32 s15, s16
	s_cbranch_execz .LBB606_1024
; %bb.1023:                             ;   in Loop: Header=BB606_974 Depth=2
	s_wait_dscnt 0x0
	v_bcnt_u32_b32 v36, v36, v165
	ds_store_b32 v168, v36 offset:1056
.LBB606_1024:                           ;   in Loop: Header=BB606_974 Depth=2
	s_wait_alu 0xfffe
	s_or_b32 exec_lo, exec_lo, s15
	v_xor_b32_e32 v164, 0x80000000, v164
	; wave barrier
	s_delay_alu instid0(VALU_DEP_1) | instskip(NEXT) | instid1(VALU_DEP_1)
	v_lshrrev_b32_e32 v36, s49, v164
	v_and_b32_e32 v37, s48, v36
	s_delay_alu instid0(VALU_DEP_1)
	v_and_b32_e32 v36, 1, v37
	v_lshlrev_b32_e32 v169, 30, v37
	v_lshlrev_b32_e32 v170, 29, v37
	;; [unrolled: 1-line block ×4, first 2 shown]
	v_add_co_u32 v36, s15, v36, -1
	s_wait_alu 0xf1ff
	v_cndmask_b32_e64 v172, 0, 1, s15
	v_not_b32_e32 v176, v169
	v_cmp_gt_i32_e64 s15, 0, v169
	v_not_b32_e32 v169, v170
	v_lshlrev_b32_e32 v174, 26, v37
	v_cmp_ne_u32_e32 vcc_lo, 0, v172
	v_ashrrev_i32_e32 v176, 31, v176
	v_lshlrev_b32_e32 v175, 25, v37
	v_ashrrev_i32_e32 v169, 31, v169
	v_lshlrev_b32_e32 v172, 24, v37
	s_wait_alu 0xfffd
	v_xor_b32_e32 v36, vcc_lo, v36
	v_cmp_gt_i32_e32 vcc_lo, 0, v170
	v_not_b32_e32 v170, v171
	s_wait_alu 0xf1ff
	v_xor_b32_e32 v176, s15, v176
	v_cmp_gt_i32_e64 s15, 0, v171
	v_and_b32_e32 v36, exec_lo, v36
	v_not_b32_e32 v171, v173
	v_ashrrev_i32_e32 v170, 31, v170
	s_wait_alu 0xfffd
	v_xor_b32_e32 v169, vcc_lo, v169
	v_cmp_gt_i32_e32 vcc_lo, 0, v173
	v_and_b32_e32 v36, v36, v176
	v_not_b32_e32 v173, v174
	v_ashrrev_i32_e32 v171, 31, v171
	s_wait_alu 0xf1ff
	v_xor_b32_e32 v170, s15, v170
	v_cmp_gt_i32_e64 s15, 0, v174
	v_and_b32_e32 v36, v36, v169
	v_not_b32_e32 v169, v175
	v_ashrrev_i32_e32 v173, 31, v173
	s_wait_alu 0xfffd
	v_xor_b32_e32 v171, vcc_lo, v171
	v_cmp_gt_i32_e32 vcc_lo, 0, v175
	v_and_b32_e32 v36, v36, v170
	v_not_b32_e32 v170, v172
	v_ashrrev_i32_e32 v169, 31, v169
	s_wait_alu 0xf1ff
	v_xor_b32_e32 v173, s15, v173
	v_cmp_gt_i32_e64 s15, 0, v172
	v_and_b32_e32 v36, v36, v171
	v_ashrrev_i32_e32 v170, 31, v170
	s_wait_alu 0xfffd
	v_xor_b32_e32 v169, vcc_lo, v169
	v_mad_u32_u24 v171, v37, 36, v118
	v_mul_u32_u24_e32 v37, 36, v37
	v_and_b32_e32 v36, v36, v173
	s_wait_alu 0xf1ff
	v_xor_b32_e32 v170, s15, v170
	s_delay_alu instid0(VALU_DEP_2) | instskip(SKIP_3) | instid1(VALU_DEP_1)
	v_and_b32_e32 v36, v36, v169
	ds_load_b32 v169, v171 offset:1056
	v_add_nc_u32_e32 v171, v118, v37
	; wave barrier
	v_and_b32_e32 v36, v36, v170
	v_mbcnt_lo_u32_b32 v170, v36, 0
	v_cmp_ne_u32_e64 s15, 0, v36
	s_delay_alu instid0(VALU_DEP_2)
	v_cmp_eq_u32_e32 vcc_lo, 0, v170
	s_and_b32 s16, s15, vcc_lo
	s_wait_alu 0xfffe
	s_and_saveexec_b32 s15, s16
	s_cbranch_execz .LBB606_1026
; %bb.1025:                             ;   in Loop: Header=BB606_974 Depth=2
	s_wait_dscnt 0x0
	v_bcnt_u32_b32 v36, v36, v169
	ds_store_b32 v171, v36 offset:1056
.LBB606_1026:                           ;   in Loop: Header=BB606_974 Depth=2
	s_wait_alu 0xfffe
	s_or_b32 exec_lo, exec_lo, s15
	v_xor_b32_e32 v167, 0x80000000, v167
	; wave barrier
	s_delay_alu instid0(VALU_DEP_1) | instskip(NEXT) | instid1(VALU_DEP_1)
	v_lshrrev_b32_e32 v36, s49, v167
	v_and_b32_e32 v37, s48, v36
	s_delay_alu instid0(VALU_DEP_1)
	v_and_b32_e32 v36, 1, v37
	v_lshlrev_b32_e32 v172, 30, v37
	v_lshlrev_b32_e32 v173, 29, v37
	;; [unrolled: 1-line block ×4, first 2 shown]
	v_add_co_u32 v36, s15, v36, -1
	s_wait_alu 0xf1ff
	v_cndmask_b32_e64 v175, 0, 1, s15
	v_not_b32_e32 v179, v172
	v_cmp_gt_i32_e64 s15, 0, v172
	v_not_b32_e32 v172, v173
	v_lshlrev_b32_e32 v177, 26, v37
	v_cmp_ne_u32_e32 vcc_lo, 0, v175
	v_ashrrev_i32_e32 v179, 31, v179
	v_lshlrev_b32_e32 v178, 25, v37
	v_ashrrev_i32_e32 v172, 31, v172
	v_lshlrev_b32_e32 v175, 24, v37
	s_wait_alu 0xfffd
	v_xor_b32_e32 v36, vcc_lo, v36
	v_cmp_gt_i32_e32 vcc_lo, 0, v173
	v_not_b32_e32 v173, v174
	s_wait_alu 0xf1ff
	v_xor_b32_e32 v179, s15, v179
	v_cmp_gt_i32_e64 s15, 0, v174
	v_and_b32_e32 v36, exec_lo, v36
	v_not_b32_e32 v174, v176
	v_ashrrev_i32_e32 v173, 31, v173
	s_wait_alu 0xfffd
	v_xor_b32_e32 v172, vcc_lo, v172
	v_cmp_gt_i32_e32 vcc_lo, 0, v176
	v_and_b32_e32 v36, v36, v179
	v_not_b32_e32 v176, v177
	v_ashrrev_i32_e32 v174, 31, v174
	s_wait_alu 0xf1ff
	v_xor_b32_e32 v173, s15, v173
	v_cmp_gt_i32_e64 s15, 0, v177
	v_and_b32_e32 v36, v36, v172
	v_not_b32_e32 v172, v178
	v_ashrrev_i32_e32 v176, 31, v176
	s_wait_alu 0xfffd
	v_xor_b32_e32 v174, vcc_lo, v174
	v_cmp_gt_i32_e32 vcc_lo, 0, v178
	v_and_b32_e32 v36, v36, v173
	v_not_b32_e32 v173, v175
	v_ashrrev_i32_e32 v172, 31, v172
	s_wait_alu 0xf1ff
	v_xor_b32_e32 v176, s15, v176
	v_cmp_gt_i32_e64 s15, 0, v175
	v_and_b32_e32 v36, v36, v174
	v_ashrrev_i32_e32 v173, 31, v173
	s_wait_alu 0xfffd
	v_xor_b32_e32 v172, vcc_lo, v172
	v_mad_u32_u24 v174, v37, 36, v118
	v_mul_u32_u24_e32 v37, 36, v37
	v_and_b32_e32 v36, v36, v176
	s_wait_alu 0xf1ff
	v_xor_b32_e32 v175, s15, v173
	ds_load_b32 v173, v174 offset:1056
	v_and_b32_e32 v36, v36, v172
	; wave barrier
	s_delay_alu instid0(VALU_DEP_1) | instskip(SKIP_1) | instid1(VALU_DEP_2)
	v_and_b32_e32 v36, v36, v175
	v_add_nc_u32_e32 v175, v118, v37
	v_mbcnt_lo_u32_b32 v174, v36, 0
	v_cmp_ne_u32_e64 s15, 0, v36
	s_delay_alu instid0(VALU_DEP_2)
	v_cmp_eq_u32_e32 vcc_lo, 0, v174
	s_and_b32 s16, s15, vcc_lo
	s_wait_alu 0xfffe
	s_and_saveexec_b32 s15, s16
	s_cbranch_execz .LBB606_1028
; %bb.1027:                             ;   in Loop: Header=BB606_974 Depth=2
	s_wait_dscnt 0x0
	v_bcnt_u32_b32 v36, v36, v173
	ds_store_b32 v175, v36 offset:1056
.LBB606_1028:                           ;   in Loop: Header=BB606_974 Depth=2
	s_wait_alu 0xfffe
	s_or_b32 exec_lo, exec_lo, s15
	v_xor_b32_e32 v172, 0x80000000, v43
	; wave barrier
	s_delay_alu instid0(VALU_DEP_1) | instskip(NEXT) | instid1(VALU_DEP_1)
	v_lshrrev_b32_e32 v36, s49, v172
	v_and_b32_e32 v37, s48, v36
	s_delay_alu instid0(VALU_DEP_1)
	v_and_b32_e32 v36, 1, v37
	v_lshlrev_b32_e32 v43, 30, v37
	v_lshlrev_b32_e32 v176, 29, v37
	v_lshlrev_b32_e32 v177, 28, v37
	v_lshlrev_b32_e32 v179, 27, v37
	v_add_co_u32 v36, s15, v36, -1
	s_wait_alu 0xf1ff
	v_cndmask_b32_e64 v178, 0, 1, s15
	v_not_b32_e32 v182, v43
	v_cmp_gt_i32_e64 s15, 0, v43
	v_not_b32_e32 v43, v176
	v_lshlrev_b32_e32 v180, 26, v37
	v_cmp_ne_u32_e32 vcc_lo, 0, v178
	v_ashrrev_i32_e32 v182, 31, v182
	v_lshlrev_b32_e32 v181, 25, v37
	v_ashrrev_i32_e32 v43, 31, v43
	v_lshlrev_b32_e32 v178, 24, v37
	s_wait_alu 0xfffd
	v_xor_b32_e32 v36, vcc_lo, v36
	v_cmp_gt_i32_e32 vcc_lo, 0, v176
	v_not_b32_e32 v176, v177
	s_wait_alu 0xf1ff
	v_xor_b32_e32 v182, s15, v182
	v_cmp_gt_i32_e64 s15, 0, v177
	v_and_b32_e32 v36, exec_lo, v36
	v_not_b32_e32 v177, v179
	v_ashrrev_i32_e32 v176, 31, v176
	s_wait_alu 0xfffd
	v_xor_b32_e32 v43, vcc_lo, v43
	v_cmp_gt_i32_e32 vcc_lo, 0, v179
	v_and_b32_e32 v36, v36, v182
	v_not_b32_e32 v179, v180
	v_ashrrev_i32_e32 v177, 31, v177
	s_wait_alu 0xf1ff
	v_xor_b32_e32 v176, s15, v176
	v_cmp_gt_i32_e64 s15, 0, v180
	v_and_b32_e32 v36, v36, v43
	v_not_b32_e32 v43, v181
	v_ashrrev_i32_e32 v179, 31, v179
	s_wait_alu 0xfffd
	v_xor_b32_e32 v177, vcc_lo, v177
	v_cmp_gt_i32_e32 vcc_lo, 0, v181
	v_and_b32_e32 v36, v36, v176
	v_not_b32_e32 v176, v178
	v_ashrrev_i32_e32 v43, 31, v43
	s_wait_alu 0xf1ff
	v_xor_b32_e32 v179, s15, v179
	v_cmp_gt_i32_e64 s15, 0, v178
	v_and_b32_e32 v36, v36, v177
	v_ashrrev_i32_e32 v176, 31, v176
	s_wait_alu 0xfffd
	v_xor_b32_e32 v43, vcc_lo, v43
	v_mad_u32_u24 v177, v37, 36, v118
	v_mul_u32_u24_e32 v37, 36, v37
	v_and_b32_e32 v36, v36, v179
	s_wait_alu 0xf1ff
	v_xor_b32_e32 v176, s15, v176
	ds_load_b32 v177, v177 offset:1056
	v_add_nc_u32_e32 v179, v118, v37
	v_and_b32_e32 v36, v36, v43
	; wave barrier
	s_delay_alu instid0(VALU_DEP_1) | instskip(NEXT) | instid1(VALU_DEP_1)
	v_and_b32_e32 v36, v36, v176
	v_mbcnt_lo_u32_b32 v178, v36, 0
	v_cmp_ne_u32_e64 s15, 0, v36
	s_delay_alu instid0(VALU_DEP_2)
	v_cmp_eq_u32_e32 vcc_lo, 0, v178
	s_and_b32 s16, s15, vcc_lo
	s_wait_alu 0xfffe
	s_and_saveexec_b32 s15, s16
	s_cbranch_execz .LBB606_1030
; %bb.1029:                             ;   in Loop: Header=BB606_974 Depth=2
	s_wait_dscnt 0x0
	v_bcnt_u32_b32 v36, v36, v177
	ds_store_b32 v179, v36 offset:1056
.LBB606_1030:                           ;   in Loop: Header=BB606_974 Depth=2
	s_wait_alu 0xfffe
	s_or_b32 exec_lo, exec_lo, s15
	v_xor_b32_e32 v176, 0x80000000, v42
	; wave barrier
	s_delay_alu instid0(VALU_DEP_1) | instskip(NEXT) | instid1(VALU_DEP_1)
	v_lshrrev_b32_e32 v36, s49, v176
	v_and_b32_e32 v37, s48, v36
	s_delay_alu instid0(VALU_DEP_1)
	v_and_b32_e32 v36, 1, v37
	v_lshlrev_b32_e32 v42, 30, v37
	v_lshlrev_b32_e32 v43, 29, v37
	;; [unrolled: 1-line block ×4, first 2 shown]
	v_add_co_u32 v36, s15, v36, -1
	s_wait_alu 0xf1ff
	v_cndmask_b32_e64 v181, 0, 1, s15
	v_not_b32_e32 v185, v42
	v_cmp_gt_i32_e64 s15, 0, v42
	v_not_b32_e32 v42, v43
	v_lshlrev_b32_e32 v183, 26, v37
	v_cmp_ne_u32_e32 vcc_lo, 0, v181
	v_ashrrev_i32_e32 v185, 31, v185
	v_lshlrev_b32_e32 v184, 25, v37
	v_ashrrev_i32_e32 v42, 31, v42
	v_lshlrev_b32_e32 v181, 24, v37
	s_wait_alu 0xfffd
	v_xor_b32_e32 v36, vcc_lo, v36
	v_cmp_gt_i32_e32 vcc_lo, 0, v43
	v_not_b32_e32 v43, v180
	s_wait_alu 0xf1ff
	v_xor_b32_e32 v185, s15, v185
	v_cmp_gt_i32_e64 s15, 0, v180
	v_and_b32_e32 v36, exec_lo, v36
	v_not_b32_e32 v180, v182
	v_ashrrev_i32_e32 v43, 31, v43
	s_wait_alu 0xfffd
	v_xor_b32_e32 v42, vcc_lo, v42
	v_cmp_gt_i32_e32 vcc_lo, 0, v182
	v_and_b32_e32 v36, v36, v185
	v_not_b32_e32 v182, v183
	v_ashrrev_i32_e32 v180, 31, v180
	s_wait_alu 0xf1ff
	v_xor_b32_e32 v43, s15, v43
	v_cmp_gt_i32_e64 s15, 0, v183
	v_and_b32_e32 v36, v36, v42
	v_not_b32_e32 v42, v184
	v_ashrrev_i32_e32 v182, 31, v182
	s_wait_alu 0xfffd
	v_xor_b32_e32 v180, vcc_lo, v180
	v_cmp_gt_i32_e32 vcc_lo, 0, v184
	v_and_b32_e32 v36, v36, v43
	v_not_b32_e32 v43, v181
	v_ashrrev_i32_e32 v42, 31, v42
	s_wait_alu 0xf1ff
	v_xor_b32_e32 v182, s15, v182
	v_cmp_gt_i32_e64 s15, 0, v181
	v_and_b32_e32 v36, v36, v180
	v_ashrrev_i32_e32 v43, 31, v43
	s_wait_alu 0xfffd
	v_xor_b32_e32 v42, vcc_lo, v42
	v_mad_u32_u24 v180, v37, 36, v118
	v_mul_u32_u24_e32 v37, 36, v37
	v_and_b32_e32 v36, v36, v182
	s_wait_alu 0xf1ff
	v_xor_b32_e32 v43, s15, v43
	ds_load_b32 v181, v180 offset:1056
	v_add_nc_u32_e32 v183, v118, v37
	v_and_b32_e32 v36, v36, v42
	; wave barrier
	s_delay_alu instid0(VALU_DEP_1) | instskip(NEXT) | instid1(VALU_DEP_1)
	v_and_b32_e32 v36, v36, v43
	v_mbcnt_lo_u32_b32 v182, v36, 0
	v_cmp_ne_u32_e64 s15, 0, v36
	s_delay_alu instid0(VALU_DEP_2)
	v_cmp_eq_u32_e32 vcc_lo, 0, v182
	s_and_b32 s16, s15, vcc_lo
	s_wait_alu 0xfffe
	s_and_saveexec_b32 s15, s16
	s_cbranch_execz .LBB606_1032
; %bb.1031:                             ;   in Loop: Header=BB606_974 Depth=2
	s_wait_dscnt 0x0
	v_bcnt_u32_b32 v36, v36, v181
	ds_store_b32 v183, v36 offset:1056
.LBB606_1032:                           ;   in Loop: Header=BB606_974 Depth=2
	s_wait_alu 0xfffe
	s_or_b32 exec_lo, exec_lo, s15
	v_xor_b32_e32 v180, 0x80000000, v41
	; wave barrier
	s_delay_alu instid0(VALU_DEP_1) | instskip(NEXT) | instid1(VALU_DEP_1)
	v_lshrrev_b32_e32 v36, s49, v180
	v_and_b32_e32 v37, s48, v36
	s_delay_alu instid0(VALU_DEP_1)
	v_and_b32_e32 v36, 1, v37
	v_lshlrev_b32_e32 v41, 30, v37
	v_lshlrev_b32_e32 v42, 29, v37
	;; [unrolled: 1-line block ×4, first 2 shown]
	v_add_co_u32 v36, s15, v36, -1
	s_wait_alu 0xf1ff
	v_cndmask_b32_e64 v184, 0, 1, s15
	v_not_b32_e32 v188, v41
	v_cmp_gt_i32_e64 s15, 0, v41
	v_not_b32_e32 v41, v42
	v_lshlrev_b32_e32 v186, 26, v37
	v_cmp_ne_u32_e32 vcc_lo, 0, v184
	v_ashrrev_i32_e32 v188, 31, v188
	v_lshlrev_b32_e32 v187, 25, v37
	v_ashrrev_i32_e32 v41, 31, v41
	v_lshlrev_b32_e32 v184, 24, v37
	s_wait_alu 0xfffd
	v_xor_b32_e32 v36, vcc_lo, v36
	v_cmp_gt_i32_e32 vcc_lo, 0, v42
	v_not_b32_e32 v42, v43
	s_wait_alu 0xf1ff
	v_xor_b32_e32 v188, s15, v188
	v_cmp_gt_i32_e64 s15, 0, v43
	v_and_b32_e32 v36, exec_lo, v36
	v_not_b32_e32 v43, v185
	v_ashrrev_i32_e32 v42, 31, v42
	s_wait_alu 0xfffd
	v_xor_b32_e32 v41, vcc_lo, v41
	v_cmp_gt_i32_e32 vcc_lo, 0, v185
	v_and_b32_e32 v36, v36, v188
	v_not_b32_e32 v185, v186
	v_ashrrev_i32_e32 v43, 31, v43
	s_wait_alu 0xf1ff
	v_xor_b32_e32 v42, s15, v42
	v_cmp_gt_i32_e64 s15, 0, v186
	v_and_b32_e32 v36, v36, v41
	v_not_b32_e32 v41, v187
	v_ashrrev_i32_e32 v185, 31, v185
	s_wait_alu 0xfffd
	v_xor_b32_e32 v43, vcc_lo, v43
	v_cmp_gt_i32_e32 vcc_lo, 0, v187
	v_and_b32_e32 v36, v36, v42
	v_not_b32_e32 v42, v184
	v_ashrrev_i32_e32 v41, 31, v41
	s_wait_alu 0xf1ff
	v_xor_b32_e32 v185, s15, v185
	v_cmp_gt_i32_e64 s15, 0, v184
	v_and_b32_e32 v36, v36, v43
	v_ashrrev_i32_e32 v42, 31, v42
	s_wait_alu 0xfffd
	v_xor_b32_e32 v41, vcc_lo, v41
	v_mad_u32_u24 v43, v37, 36, v118
	v_mul_u32_u24_e32 v37, 36, v37
	v_and_b32_e32 v36, v36, v185
	s_wait_alu 0xf1ff
	v_xor_b32_e32 v42, s15, v42
	ds_load_b32 v185, v43 offset:1056
	v_add_nc_u32_e32 v187, v118, v37
	v_and_b32_e32 v36, v36, v41
	; wave barrier
	s_delay_alu instid0(VALU_DEP_1) | instskip(NEXT) | instid1(VALU_DEP_1)
	v_and_b32_e32 v36, v36, v42
	v_mbcnt_lo_u32_b32 v186, v36, 0
	v_cmp_ne_u32_e64 s15, 0, v36
	s_delay_alu instid0(VALU_DEP_2)
	v_cmp_eq_u32_e32 vcc_lo, 0, v186
	s_and_b32 s16, s15, vcc_lo
	s_wait_alu 0xfffe
	s_and_saveexec_b32 s15, s16
	s_cbranch_execz .LBB606_1034
; %bb.1033:                             ;   in Loop: Header=BB606_974 Depth=2
	s_wait_dscnt 0x0
	v_bcnt_u32_b32 v36, v36, v185
	ds_store_b32 v187, v36 offset:1056
.LBB606_1034:                           ;   in Loop: Header=BB606_974 Depth=2
	s_wait_alu 0xfffe
	s_or_b32 exec_lo, exec_lo, s15
	v_xor_b32_e32 v184, 0x80000000, v40
	; wave barrier
	s_delay_alu instid0(VALU_DEP_1) | instskip(NEXT) | instid1(VALU_DEP_1)
	v_lshrrev_b32_e32 v36, s49, v184
	v_and_b32_e32 v37, s48, v36
	s_delay_alu instid0(VALU_DEP_1)
	v_and_b32_e32 v36, 1, v37
	v_lshlrev_b32_e32 v40, 30, v37
	v_lshlrev_b32_e32 v41, 29, v37
	;; [unrolled: 1-line block ×4, first 2 shown]
	v_add_co_u32 v36, s15, v36, -1
	s_wait_alu 0xf1ff
	v_cndmask_b32_e64 v43, 0, 1, s15
	v_not_b32_e32 v191, v40
	v_cmp_gt_i32_e64 s15, 0, v40
	v_not_b32_e32 v40, v41
	v_lshlrev_b32_e32 v189, 26, v37
	v_cmp_ne_u32_e32 vcc_lo, 0, v43
	v_ashrrev_i32_e32 v191, 31, v191
	v_lshlrev_b32_e32 v190, 25, v37
	v_ashrrev_i32_e32 v40, 31, v40
	v_lshlrev_b32_e32 v43, 24, v37
	s_wait_alu 0xfffd
	v_xor_b32_e32 v36, vcc_lo, v36
	v_cmp_gt_i32_e32 vcc_lo, 0, v41
	v_not_b32_e32 v41, v42
	s_wait_alu 0xf1ff
	v_xor_b32_e32 v191, s15, v191
	v_cmp_gt_i32_e64 s15, 0, v42
	v_and_b32_e32 v36, exec_lo, v36
	v_not_b32_e32 v42, v188
	v_ashrrev_i32_e32 v41, 31, v41
	s_wait_alu 0xfffd
	v_xor_b32_e32 v40, vcc_lo, v40
	v_cmp_gt_i32_e32 vcc_lo, 0, v188
	v_and_b32_e32 v36, v36, v191
	v_not_b32_e32 v188, v189
	v_ashrrev_i32_e32 v42, 31, v42
	s_wait_alu 0xf1ff
	v_xor_b32_e32 v41, s15, v41
	v_cmp_gt_i32_e64 s15, 0, v189
	v_and_b32_e32 v36, v36, v40
	v_not_b32_e32 v40, v190
	v_ashrrev_i32_e32 v188, 31, v188
	s_wait_alu 0xfffd
	v_xor_b32_e32 v42, vcc_lo, v42
	v_cmp_gt_i32_e32 vcc_lo, 0, v190
	v_and_b32_e32 v36, v36, v41
	v_not_b32_e32 v41, v43
	v_ashrrev_i32_e32 v40, 31, v40
	s_wait_alu 0xf1ff
	v_xor_b32_e32 v188, s15, v188
	v_cmp_gt_i32_e64 s15, 0, v43
	v_and_b32_e32 v36, v36, v42
	v_ashrrev_i32_e32 v41, 31, v41
	s_wait_alu 0xfffd
	v_xor_b32_e32 v40, vcc_lo, v40
	v_mad_u32_u24 v42, v37, 36, v118
	v_mul_u32_u24_e32 v37, 36, v37
	v_and_b32_e32 v36, v36, v188
	s_wait_alu 0xf1ff
	v_xor_b32_e32 v41, s15, v41
	ds_load_b32 v189, v42 offset:1056
	v_add_nc_u32_e32 v191, v118, v37
	v_and_b32_e32 v36, v36, v40
	; wave barrier
	s_delay_alu instid0(VALU_DEP_1) | instskip(NEXT) | instid1(VALU_DEP_1)
	v_and_b32_e32 v36, v36, v41
	v_mbcnt_lo_u32_b32 v190, v36, 0
	v_cmp_ne_u32_e64 s15, 0, v36
	s_delay_alu instid0(VALU_DEP_2)
	v_cmp_eq_u32_e32 vcc_lo, 0, v190
	s_and_b32 s16, s15, vcc_lo
	s_wait_alu 0xfffe
	s_and_saveexec_b32 s15, s16
	s_cbranch_execz .LBB606_1036
; %bb.1035:                             ;   in Loop: Header=BB606_974 Depth=2
	s_wait_dscnt 0x0
	v_bcnt_u32_b32 v36, v36, v189
	ds_store_b32 v191, v36 offset:1056
.LBB606_1036:                           ;   in Loop: Header=BB606_974 Depth=2
	s_wait_alu 0xfffe
	s_or_b32 exec_lo, exec_lo, s15
	v_xor_b32_e32 v188, 0x80000000, v39
	; wave barrier
	s_delay_alu instid0(VALU_DEP_1) | instskip(NEXT) | instid1(VALU_DEP_1)
	v_lshrrev_b32_e32 v36, s49, v188
	v_and_b32_e32 v37, s48, v36
	s_delay_alu instid0(VALU_DEP_1)
	v_and_b32_e32 v36, 1, v37
	v_lshlrev_b32_e32 v39, 30, v37
	v_lshlrev_b32_e32 v40, 29, v37
	v_lshlrev_b32_e32 v41, 28, v37
	v_lshlrev_b32_e32 v43, 27, v37
	v_add_co_u32 v36, s15, v36, -1
	s_wait_alu 0xf1ff
	v_cndmask_b32_e64 v42, 0, 1, s15
	v_not_b32_e32 v194, v39
	v_cmp_gt_i32_e64 s15, 0, v39
	v_not_b32_e32 v39, v40
	v_lshlrev_b32_e32 v192, 26, v37
	v_cmp_ne_u32_e32 vcc_lo, 0, v42
	v_ashrrev_i32_e32 v194, 31, v194
	v_lshlrev_b32_e32 v193, 25, v37
	v_ashrrev_i32_e32 v39, 31, v39
	v_lshlrev_b32_e32 v42, 24, v37
	s_wait_alu 0xfffd
	v_xor_b32_e32 v36, vcc_lo, v36
	v_cmp_gt_i32_e32 vcc_lo, 0, v40
	v_not_b32_e32 v40, v41
	s_wait_alu 0xf1ff
	v_xor_b32_e32 v194, s15, v194
	v_cmp_gt_i32_e64 s15, 0, v41
	v_and_b32_e32 v36, exec_lo, v36
	v_not_b32_e32 v41, v43
	v_ashrrev_i32_e32 v40, 31, v40
	s_wait_alu 0xfffd
	v_xor_b32_e32 v39, vcc_lo, v39
	v_cmp_gt_i32_e32 vcc_lo, 0, v43
	v_and_b32_e32 v36, v36, v194
	v_not_b32_e32 v43, v192
	v_ashrrev_i32_e32 v41, 31, v41
	s_wait_alu 0xf1ff
	v_xor_b32_e32 v40, s15, v40
	v_cmp_gt_i32_e64 s15, 0, v192
	v_and_b32_e32 v36, v36, v39
	v_not_b32_e32 v39, v193
	v_ashrrev_i32_e32 v43, 31, v43
	s_wait_alu 0xfffd
	v_xor_b32_e32 v41, vcc_lo, v41
	v_cmp_gt_i32_e32 vcc_lo, 0, v193
	v_and_b32_e32 v36, v36, v40
	v_not_b32_e32 v40, v42
	v_ashrrev_i32_e32 v39, 31, v39
	s_wait_alu 0xf1ff
	v_xor_b32_e32 v43, s15, v43
	v_cmp_gt_i32_e64 s15, 0, v42
	v_and_b32_e32 v36, v36, v41
	v_ashrrev_i32_e32 v40, 31, v40
	s_wait_alu 0xfffd
	v_xor_b32_e32 v39, vcc_lo, v39
	v_mad_u32_u24 v41, v37, 36, v118
	v_mul_u32_u24_e32 v37, 36, v37
	v_and_b32_e32 v36, v36, v43
	s_wait_alu 0xf1ff
	v_xor_b32_e32 v40, s15, v40
	ds_load_b32 v193, v41 offset:1056
	v_add_nc_u32_e32 v195, v118, v37
	v_and_b32_e32 v36, v36, v39
	; wave barrier
	s_delay_alu instid0(VALU_DEP_1) | instskip(NEXT) | instid1(VALU_DEP_1)
	v_and_b32_e32 v36, v36, v40
	v_mbcnt_lo_u32_b32 v194, v36, 0
	v_cmp_ne_u32_e64 s15, 0, v36
	s_delay_alu instid0(VALU_DEP_2)
	v_cmp_eq_u32_e32 vcc_lo, 0, v194
	s_and_b32 s16, s15, vcc_lo
	s_wait_alu 0xfffe
	s_and_saveexec_b32 s15, s16
	s_cbranch_execz .LBB606_1038
; %bb.1037:                             ;   in Loop: Header=BB606_974 Depth=2
	s_wait_dscnt 0x0
	v_bcnt_u32_b32 v36, v36, v193
	ds_store_b32 v195, v36 offset:1056
.LBB606_1038:                           ;   in Loop: Header=BB606_974 Depth=2
	s_wait_alu 0xfffe
	s_or_b32 exec_lo, exec_lo, s15
	v_xor_b32_e32 v192, 0x80000000, v38
	; wave barrier
	s_delay_alu instid0(VALU_DEP_1) | instskip(NEXT) | instid1(VALU_DEP_1)
	v_lshrrev_b32_e32 v36, s49, v192
	v_and_b32_e32 v37, s48, v36
	s_delay_alu instid0(VALU_DEP_1)
	v_and_b32_e32 v36, 1, v37
	v_lshlrev_b32_e32 v38, 30, v37
	v_lshlrev_b32_e32 v39, 29, v37
	;; [unrolled: 1-line block ×4, first 2 shown]
	v_add_co_u32 v36, s15, v36, -1
	s_wait_alu 0xf1ff
	v_cndmask_b32_e64 v41, 0, 1, s15
	v_not_b32_e32 v197, v38
	v_cmp_gt_i32_e64 s15, 0, v38
	v_not_b32_e32 v38, v39
	v_lshlrev_b32_e32 v43, 26, v37
	v_cmp_ne_u32_e32 vcc_lo, 0, v41
	v_ashrrev_i32_e32 v197, 31, v197
	v_lshlrev_b32_e32 v196, 25, v37
	v_ashrrev_i32_e32 v38, 31, v38
	v_lshlrev_b32_e32 v41, 24, v37
	s_wait_alu 0xfffd
	v_xor_b32_e32 v36, vcc_lo, v36
	v_cmp_gt_i32_e32 vcc_lo, 0, v39
	v_not_b32_e32 v39, v40
	s_wait_alu 0xf1ff
	v_xor_b32_e32 v197, s15, v197
	v_cmp_gt_i32_e64 s15, 0, v40
	v_and_b32_e32 v36, exec_lo, v36
	v_not_b32_e32 v40, v42
	v_ashrrev_i32_e32 v39, 31, v39
	s_wait_alu 0xfffd
	v_xor_b32_e32 v38, vcc_lo, v38
	v_cmp_gt_i32_e32 vcc_lo, 0, v42
	v_and_b32_e32 v36, v36, v197
	v_not_b32_e32 v42, v43
	v_ashrrev_i32_e32 v40, 31, v40
	s_wait_alu 0xf1ff
	v_xor_b32_e32 v39, s15, v39
	v_cmp_gt_i32_e64 s15, 0, v43
	v_and_b32_e32 v36, v36, v38
	v_not_b32_e32 v38, v196
	v_ashrrev_i32_e32 v42, 31, v42
	s_wait_alu 0xfffd
	v_xor_b32_e32 v40, vcc_lo, v40
	v_cmp_gt_i32_e32 vcc_lo, 0, v196
	v_and_b32_e32 v36, v36, v39
	v_not_b32_e32 v39, v41
	v_ashrrev_i32_e32 v38, 31, v38
	s_wait_alu 0xf1ff
	v_xor_b32_e32 v42, s15, v42
	v_cmp_gt_i32_e64 s15, 0, v41
	v_and_b32_e32 v36, v36, v40
	v_ashrrev_i32_e32 v39, 31, v39
	s_wait_alu 0xfffd
	v_xor_b32_e32 v38, vcc_lo, v38
	v_mad_u32_u24 v40, v37, 36, v118
	v_mul_u32_u24_e32 v37, 36, v37
	v_and_b32_e32 v36, v36, v42
	s_wait_alu 0xf1ff
	v_xor_b32_e32 v39, s15, v39
	ds_load_b32 v196, v40 offset:1056
	v_add_nc_u32_e32 v198, v118, v37
	v_and_b32_e32 v36, v36, v38
	; wave barrier
	s_delay_alu instid0(VALU_DEP_1) | instskip(NEXT) | instid1(VALU_DEP_1)
	v_and_b32_e32 v36, v36, v39
	v_mbcnt_lo_u32_b32 v197, v36, 0
	v_cmp_ne_u32_e64 s15, 0, v36
	s_delay_alu instid0(VALU_DEP_2)
	v_cmp_eq_u32_e32 vcc_lo, 0, v197
	s_and_b32 s16, s15, vcc_lo
	s_wait_alu 0xfffe
	s_and_saveexec_b32 s15, s16
	s_cbranch_execz .LBB606_1040
; %bb.1039:                             ;   in Loop: Header=BB606_974 Depth=2
	s_wait_dscnt 0x0
	v_bcnt_u32_b32 v36, v36, v196
	ds_store_b32 v198, v36 offset:1056
.LBB606_1040:                           ;   in Loop: Header=BB606_974 Depth=2
	s_wait_alu 0xfffe
	s_or_b32 exec_lo, exec_lo, s15
	v_lshrrev_b32_e32 v36, s49, v2
	; wave barrier
	s_delay_alu instid0(VALU_DEP_1) | instskip(NEXT) | instid1(VALU_DEP_1)
	v_and_b32_e32 v37, s48, v36
	v_and_b32_e32 v36, 1, v37
	v_lshlrev_b32_e32 v38, 30, v37
	v_lshlrev_b32_e32 v39, 29, v37
	;; [unrolled: 1-line block ×4, first 2 shown]
	v_add_co_u32 v36, s15, v36, -1
	s_wait_alu 0xf1ff
	v_cndmask_b32_e64 v41, 0, 1, s15
	v_not_b32_e32 v200, v38
	v_cmp_gt_i32_e64 s15, 0, v38
	v_not_b32_e32 v38, v39
	v_lshlrev_b32_e32 v43, 26, v37
	v_cmp_ne_u32_e32 vcc_lo, 0, v41
	v_ashrrev_i32_e32 v200, 31, v200
	v_lshlrev_b32_e32 v199, 25, v37
	v_ashrrev_i32_e32 v38, 31, v38
	v_lshlrev_b32_e32 v41, 24, v37
	s_wait_alu 0xfffd
	v_xor_b32_e32 v36, vcc_lo, v36
	v_cmp_gt_i32_e32 vcc_lo, 0, v39
	v_not_b32_e32 v39, v40
	s_wait_alu 0xf1ff
	v_xor_b32_e32 v200, s15, v200
	v_cmp_gt_i32_e64 s15, 0, v40
	v_and_b32_e32 v36, exec_lo, v36
	v_not_b32_e32 v40, v42
	v_ashrrev_i32_e32 v39, 31, v39
	s_wait_alu 0xfffd
	v_xor_b32_e32 v38, vcc_lo, v38
	v_cmp_gt_i32_e32 vcc_lo, 0, v42
	v_and_b32_e32 v36, v36, v200
	v_not_b32_e32 v42, v43
	v_ashrrev_i32_e32 v40, 31, v40
	s_wait_alu 0xf1ff
	v_xor_b32_e32 v39, s15, v39
	v_cmp_gt_i32_e64 s15, 0, v43
	v_and_b32_e32 v36, v36, v38
	v_not_b32_e32 v38, v199
	v_ashrrev_i32_e32 v42, 31, v42
	s_wait_alu 0xfffd
	v_xor_b32_e32 v40, vcc_lo, v40
	v_cmp_gt_i32_e32 vcc_lo, 0, v199
	v_and_b32_e32 v36, v36, v39
	v_not_b32_e32 v39, v41
	v_ashrrev_i32_e32 v38, 31, v38
	s_wait_alu 0xf1ff
	v_xor_b32_e32 v42, s15, v42
	v_cmp_gt_i32_e64 s15, 0, v41
	v_and_b32_e32 v36, v36, v40
	v_ashrrev_i32_e32 v39, 31, v39
	s_wait_alu 0xfffd
	v_xor_b32_e32 v38, vcc_lo, v38
	v_mad_u32_u24 v40, v37, 36, v118
	v_mul_u32_u24_e32 v37, 36, v37
	v_and_b32_e32 v36, v36, v42
	s_wait_alu 0xf1ff
	v_xor_b32_e32 v39, s15, v39
	ds_load_b32 v199, v40 offset:1056
	v_add_nc_u32_e32 v201, v118, v37
	v_and_b32_e32 v36, v36, v38
	; wave barrier
	s_delay_alu instid0(VALU_DEP_1) | instskip(NEXT) | instid1(VALU_DEP_1)
	v_and_b32_e32 v36, v36, v39
	v_mbcnt_lo_u32_b32 v200, v36, 0
	v_cmp_ne_u32_e64 s15, 0, v36
	s_delay_alu instid0(VALU_DEP_2)
	v_cmp_eq_u32_e32 vcc_lo, 0, v200
	s_and_b32 s16, s15, vcc_lo
	s_wait_alu 0xfffe
	s_and_saveexec_b32 s15, s16
	s_cbranch_execz .LBB606_1042
; %bb.1041:                             ;   in Loop: Header=BB606_974 Depth=2
	s_wait_dscnt 0x0
	v_bcnt_u32_b32 v36, v36, v199
	ds_store_b32 v201, v36 offset:1056
.LBB606_1042:                           ;   in Loop: Header=BB606_974 Depth=2
	s_wait_alu 0xfffe
	s_or_b32 exec_lo, exec_lo, s15
	; wave barrier
	s_wait_loadcnt_dscnt 0x0
	s_barrier_signal -1
	s_barrier_wait -1
	global_inv scope:SCOPE_SE
	ds_load_2addr_b32 v[42:43], v140 offset1:1
	ds_load_2addr_b32 v[40:41], v141 offset1:1
	;; [unrolled: 1-line block ×4, first 2 shown]
	ds_load_b32 v202, v67 offset:1088
	s_wait_dscnt 0x3
	v_add3_u32 v203, v43, v42, v40
	s_wait_dscnt 0x2
	s_delay_alu instid0(VALU_DEP_1) | instskip(SKIP_1) | instid1(VALU_DEP_1)
	v_add3_u32 v203, v203, v41, v38
	s_wait_dscnt 0x1
	v_add3_u32 v203, v203, v39, v36
	s_wait_dscnt 0x0
	s_delay_alu instid0(VALU_DEP_1) | instskip(NEXT) | instid1(VALU_DEP_1)
	v_add3_u32 v202, v203, v37, v202
	v_mov_b32_dpp v203, v202 row_shr:1 row_mask:0xf bank_mask:0xf
	s_delay_alu instid0(VALU_DEP_1) | instskip(NEXT) | instid1(VALU_DEP_1)
	v_cndmask_b32_e64 v203, v203, 0, s0
	v_add_nc_u32_e32 v202, v203, v202
	s_delay_alu instid0(VALU_DEP_1) | instskip(NEXT) | instid1(VALU_DEP_1)
	v_mov_b32_dpp v203, v202 row_shr:2 row_mask:0xf bank_mask:0xf
	v_cndmask_b32_e64 v203, 0, v203, s1
	s_delay_alu instid0(VALU_DEP_1) | instskip(NEXT) | instid1(VALU_DEP_1)
	v_add_nc_u32_e32 v202, v202, v203
	v_mov_b32_dpp v203, v202 row_shr:4 row_mask:0xf bank_mask:0xf
	s_delay_alu instid0(VALU_DEP_1) | instskip(NEXT) | instid1(VALU_DEP_1)
	v_cndmask_b32_e64 v203, 0, v203, s9
	v_add_nc_u32_e32 v202, v202, v203
	s_delay_alu instid0(VALU_DEP_1) | instskip(NEXT) | instid1(VALU_DEP_1)
	v_mov_b32_dpp v203, v202 row_shr:8 row_mask:0xf bank_mask:0xf
	v_cndmask_b32_e64 v203, 0, v203, s10
	s_delay_alu instid0(VALU_DEP_1) | instskip(SKIP_3) | instid1(VALU_DEP_1)
	v_add_nc_u32_e32 v202, v202, v203
	ds_swizzle_b32 v203, v202 offset:swizzle(BROADCAST,32,15)
	s_wait_dscnt 0x0
	v_cndmask_b32_e64 v203, v203, 0, s11
	v_add_nc_u32_e32 v202, v202, v203
	s_and_saveexec_b32 s15, s3
; %bb.1043:                             ;   in Loop: Header=BB606_974 Depth=2
	ds_store_b32 v63, v202 offset:1024
; %bb.1044:                             ;   in Loop: Header=BB606_974 Depth=2
	s_wait_alu 0xfffe
	s_or_b32 exec_lo, exec_lo, s15
	s_wait_loadcnt_dscnt 0x0
	s_barrier_signal -1
	s_barrier_wait -1
	global_inv scope:SCOPE_SE
	s_and_saveexec_b32 s15, s4
	s_cbranch_execz .LBB606_1046
; %bb.1045:                             ;   in Loop: Header=BB606_974 Depth=2
	ds_load_b32 v203, v70 offset:1024
	s_wait_dscnt 0x0
	v_mov_b32_dpp v204, v203 row_shr:1 row_mask:0xf bank_mask:0xf
	s_delay_alu instid0(VALU_DEP_1) | instskip(NEXT) | instid1(VALU_DEP_1)
	v_cndmask_b32_e64 v204, v204, 0, s12
	v_add_nc_u32_e32 v203, v204, v203
	s_delay_alu instid0(VALU_DEP_1) | instskip(NEXT) | instid1(VALU_DEP_1)
	v_mov_b32_dpp v204, v203 row_shr:2 row_mask:0xf bank_mask:0xf
	v_cndmask_b32_e64 v204, 0, v204, s13
	s_delay_alu instid0(VALU_DEP_1) | instskip(NEXT) | instid1(VALU_DEP_1)
	v_add_nc_u32_e32 v203, v203, v204
	v_mov_b32_dpp v204, v203 row_shr:4 row_mask:0xf bank_mask:0xf
	s_delay_alu instid0(VALU_DEP_1) | instskip(NEXT) | instid1(VALU_DEP_1)
	v_cndmask_b32_e64 v204, 0, v204, s14
	v_add_nc_u32_e32 v203, v203, v204
	ds_store_b32 v70, v203 offset:1024
.LBB606_1046:                           ;   in Loop: Header=BB606_974 Depth=2
	s_wait_alu 0xfffe
	s_or_b32 exec_lo, exec_lo, s15
	v_mov_b32_e32 v203, 0
	s_wait_loadcnt_dscnt 0x0
	s_barrier_signal -1
	s_barrier_wait -1
	global_inv scope:SCOPE_SE
	s_and_saveexec_b32 s15, s5
; %bb.1047:                             ;   in Loop: Header=BB606_974 Depth=2
	ds_load_b32 v203, v63 offset:1020
; %bb.1048:                             ;   in Loop: Header=BB606_974 Depth=2
	s_wait_alu 0xfffe
	s_or_b32 exec_lo, exec_lo, s15
	s_wait_dscnt 0x0
	v_add_nc_u32_e32 v202, v203, v202
	ds_bpermute_b32 v202, v113, v202
	s_wait_dscnt 0x0
	v_cndmask_b32_e64 v202, v202, v203, s8
	s_delay_alu instid0(VALU_DEP_1) | instskip(NEXT) | instid1(VALU_DEP_1)
	v_cndmask_b32_e64 v202, v202, 0, s6
	v_add_nc_u32_e32 v42, v202, v42
	s_delay_alu instid0(VALU_DEP_1) | instskip(NEXT) | instid1(VALU_DEP_1)
	v_add_nc_u32_e32 v43, v42, v43
	v_add_nc_u32_e32 v40, v43, v40
	s_delay_alu instid0(VALU_DEP_1) | instskip(NEXT) | instid1(VALU_DEP_1)
	v_add_nc_u32_e32 v41, v40, v41
	;; [unrolled: 3-line block ×3, first 2 shown]
	v_add_nc_u32_e32 v36, v39, v36
	s_delay_alu instid0(VALU_DEP_1)
	v_add_nc_u32_e32 v37, v36, v37
	ds_store_2addr_b32 v139, v39, v36 offset1:1
	ds_store_2addr_b32 v140, v202, v42 offset1:1
	ds_store_2addr_b32 v141, v43, v40 offset1:1
	ds_store_2addr_b32 v142, v41, v38 offset1:1
	ds_store_b32 v67, v37 offset:1088
	s_wait_loadcnt_dscnt 0x0
	s_barrier_signal -1
	s_barrier_wait -1
	global_inv scope:SCOPE_SE
	ds_load_b32 v39, v143 offset:1056
	ds_load_b32 v41, v147 offset:1056
	;; [unrolled: 1-line block ×17, first 2 shown]
	v_mov_b32_e32 v38, 0x1000
	s_and_saveexec_b32 s15, s7
; %bb.1049:                             ;   in Loop: Header=BB606_974 Depth=2
	ds_load_b32 v38, v67 offset:1092
; %bb.1050:                             ;   in Loop: Header=BB606_974 Depth=2
	s_wait_alu 0xfffe
	s_or_b32 exec_lo, exec_lo, s15
	s_wait_loadcnt_dscnt 0x0
	s_barrier_signal -1
	s_barrier_wait -1
	global_inv scope:SCOPE_SE
	s_and_saveexec_b32 s15, s2
	s_cbranch_execz .LBB606_1052
; %bb.1051:                             ;   in Loop: Header=BB606_974 Depth=2
	ds_load_b32 v143, v44
	s_wait_dscnt 0x0
	v_sub_nc_u32_e32 v142, v143, v142
	ds_store_b32 v44, v142
.LBB606_1052:                           ;   in Loop: Header=BB606_974 Depth=2
	s_wait_alu 0xfffe
	s_or_b32 exec_lo, exec_lo, s15
	v_add_nc_u32_e32 v155, v39, v138
	v_add3_u32 v151, v146, v145, v41
	v_add3_u32 v147, v150, v149, v42
	;; [unrolled: 1-line block ×4, first 2 shown]
	v_lshlrev_b32_e32 v149, 2, v155
	v_add3_u32 v143, v162, v161, v140
	v_add3_u32 v142, v166, v165, v141
	;; [unrolled: 1-line block ×3, first 2 shown]
	v_lshlrev_b32_e32 v36, 2, v151
	v_add3_u32 v141, v170, v169, v163
	v_add3_u32 v42, v194, v193, v37
	v_lshlrev_b32_e32 v37, 2, v147
	v_add3_u32 v140, v174, v173, v168
	ds_store_b32 v149, v136 offset:1024
	v_lshlrev_b32_e32 v136, 2, v146
	v_add3_u32 v139, v178, v177, v171
	v_lshlrev_b32_e32 v149, 2, v145
	v_add3_u32 v138, v182, v181, v175
	;; [unrolled: 2-line block ×3, first 2 shown]
	ds_store_b32 v36, v137 offset:1024
	ds_store_b32 v37, v144 offset:1024
	;; [unrolled: 1-line block ×5, first 2 shown]
	v_lshlrev_b32_e32 v36, 2, v142
	v_lshlrev_b32_e32 v37, 2, v141
	v_lshlrev_b32_e32 v136, 2, v140
	v_add3_u32 v41, v197, v196, v40
	v_lshlrev_b32_e32 v137, 2, v139
	v_add3_u32 v40, v200, v199, v159
	v_lshlrev_b32_e32 v144, 2, v138
	ds_store_b32 v36, v160 offset:1024
	ds_store_b32 v37, v164 offset:1024
	;; [unrolled: 1-line block ×5, first 2 shown]
	v_lshlrev_b32_e32 v36, 2, v39
	v_cmp_lt_u32_e32 vcc_lo, v1, v135
	v_lshlrev_b32_e32 v37, 2, v43
	v_lshlrev_b32_e32 v136, 2, v42
	;; [unrolled: 1-line block ×4, first 2 shown]
	ds_store_b32 v36, v180 offset:1024
	ds_store_b32 v37, v184 offset:1024
	;; [unrolled: 1-line block ×5, first 2 shown]
	s_wait_loadcnt_dscnt 0x0
	s_barrier_signal -1
	s_barrier_wait -1
	global_inv scope:SCOPE_SE
	s_and_saveexec_b32 s16, vcc_lo
	s_cbranch_execnz .LBB606_1121
; %bb.1053:                             ;   in Loop: Header=BB606_974 Depth=2
	s_wait_alu 0xfffe
	s_or_b32 exec_lo, exec_lo, s16
	v_cmp_lt_u32_e64 s15, v45, v135
	s_and_saveexec_b32 s17, s15
	s_cbranch_execnz .LBB606_1122
.LBB606_1054:                           ;   in Loop: Header=BB606_974 Depth=2
	s_wait_alu 0xfffe
	s_or_b32 exec_lo, exec_lo, s17
	v_cmp_lt_u32_e64 s16, v46, v135
	s_and_saveexec_b32 s18, s16
	s_cbranch_execnz .LBB606_1123
.LBB606_1055:                           ;   in Loop: Header=BB606_974 Depth=2
	s_wait_alu 0xfffe
	s_or_b32 exec_lo, exec_lo, s18
	v_cmp_lt_u32_e64 s17, v47, v135
	s_and_saveexec_b32 s19, s17
	s_cbranch_execnz .LBB606_1124
.LBB606_1056:                           ;   in Loop: Header=BB606_974 Depth=2
	s_wait_alu 0xfffe
	s_or_b32 exec_lo, exec_lo, s19
	v_cmp_lt_u32_e64 s18, v50, v135
	s_and_saveexec_b32 s20, s18
	s_cbranch_execnz .LBB606_1125
.LBB606_1057:                           ;   in Loop: Header=BB606_974 Depth=2
	s_wait_alu 0xfffe
	s_or_b32 exec_lo, exec_lo, s20
	v_cmp_lt_u32_e64 s19, v51, v135
	s_and_saveexec_b32 s21, s19
	s_cbranch_execnz .LBB606_1126
.LBB606_1058:                           ;   in Loop: Header=BB606_974 Depth=2
	s_wait_alu 0xfffe
	s_or_b32 exec_lo, exec_lo, s21
	v_cmp_lt_u32_e64 s20, v52, v135
	s_and_saveexec_b32 s22, s20
	s_cbranch_execnz .LBB606_1127
.LBB606_1059:                           ;   in Loop: Header=BB606_974 Depth=2
	s_wait_alu 0xfffe
	s_or_b32 exec_lo, exec_lo, s22
	v_cmp_lt_u32_e64 s21, v53, v135
	s_and_saveexec_b32 s23, s21
	s_cbranch_execnz .LBB606_1128
.LBB606_1060:                           ;   in Loop: Header=BB606_974 Depth=2
	s_wait_alu 0xfffe
	s_or_b32 exec_lo, exec_lo, s23
	v_cmp_lt_u32_e64 s22, v54, v135
	s_and_saveexec_b32 s24, s22
	s_cbranch_execnz .LBB606_1129
.LBB606_1061:                           ;   in Loop: Header=BB606_974 Depth=2
	s_wait_alu 0xfffe
	s_or_b32 exec_lo, exec_lo, s24
	v_cmp_lt_u32_e64 s23, v55, v135
	s_and_saveexec_b32 s25, s23
	s_cbranch_execnz .LBB606_1130
.LBB606_1062:                           ;   in Loop: Header=BB606_974 Depth=2
	s_wait_alu 0xfffe
	s_or_b32 exec_lo, exec_lo, s25
	v_cmp_lt_u32_e64 s24, v56, v135
	s_and_saveexec_b32 s26, s24
	s_cbranch_execnz .LBB606_1131
.LBB606_1063:                           ;   in Loop: Header=BB606_974 Depth=2
	s_wait_alu 0xfffe
	s_or_b32 exec_lo, exec_lo, s26
	v_cmp_lt_u32_e64 s25, v57, v135
	s_and_saveexec_b32 s27, s25
	s_cbranch_execnz .LBB606_1132
.LBB606_1064:                           ;   in Loop: Header=BB606_974 Depth=2
	s_wait_alu 0xfffe
	s_or_b32 exec_lo, exec_lo, s27
	v_cmp_lt_u32_e64 s26, v58, v135
	s_and_saveexec_b32 s28, s26
	s_cbranch_execnz .LBB606_1133
.LBB606_1065:                           ;   in Loop: Header=BB606_974 Depth=2
	s_wait_alu 0xfffe
	s_or_b32 exec_lo, exec_lo, s28
	v_cmp_lt_u32_e64 s27, v59, v135
	s_and_saveexec_b32 s29, s27
	s_cbranch_execnz .LBB606_1134
.LBB606_1066:                           ;   in Loop: Header=BB606_974 Depth=2
	s_wait_alu 0xfffe
	s_or_b32 exec_lo, exec_lo, s29
	v_cmp_lt_u32_e64 s28, v60, v135
	s_and_saveexec_b32 s30, s28
	s_cbranch_execnz .LBB606_1135
.LBB606_1067:                           ;   in Loop: Header=BB606_974 Depth=2
	s_wait_alu 0xfffe
	s_or_b32 exec_lo, exec_lo, s30
	v_cmp_lt_u32_e64 s29, v61, v135
	s_and_saveexec_b32 s56, s29
	s_cbranch_execz .LBB606_1069
.LBB606_1068:                           ;   in Loop: Header=BB606_974 Depth=2
	ds_load_b32 v136, v70 offset:16384
	s_wait_dscnt 0x0
	v_lshrrev_b32_e32 v2, s49, v136
	s_delay_alu instid0(VALU_DEP_1) | instskip(NEXT) | instid1(VALU_DEP_1)
	v_and_b32_e32 v2, s48, v2
	v_lshlrev_b32_e32 v2, 2, v2
	ds_load_b32 v2, v2
	s_wait_dscnt 0x0
	v_add_nc_u32_e32 v2, v2, v61
	s_delay_alu instid0(VALU_DEP_1) | instskip(SKIP_1) | instid1(VALU_DEP_2)
	v_lshlrev_b64_e32 v[36:37], 2, v[2:3]
	v_xor_b32_e32 v2, 0x80000000, v136
	v_add_co_u32 v36, s30, s40, v36
	s_wait_alu 0xf1ff
	s_delay_alu instid0(VALU_DEP_3)
	v_add_co_ci_u32_e64 v37, null, s41, v37, s30
	global_store_b32 v[36:37], v2, off
.LBB606_1069:                           ;   in Loop: Header=BB606_974 Depth=2
	s_wait_alu 0xfffe
	s_or_b32 exec_lo, exec_lo, s56
	s_lshl_b64 s[56:57], s[42:43], 3
	s_wait_alu 0xfffe
	v_add_co_u32 v36, s30, v114, s56
	s_wait_alu 0xf1ff
	v_add_co_ci_u32_e64 v37, null, s57, v115, s30
	v_cmp_lt_u32_e64 s30, v88, v135
	s_and_saveexec_b32 s42, s30
	s_wait_alu 0xfffe
	s_xor_b32 s30, exec_lo, s42
	s_cbranch_execnz .LBB606_1136
; %bb.1070:                             ;   in Loop: Header=BB606_974 Depth=2
	s_wait_alu 0xfffe
	s_or_b32 exec_lo, exec_lo, s30
	s_delay_alu instid0(SALU_CYCLE_1)
	s_mov_b32 s42, exec_lo
	v_cmpx_lt_u32_e64 v92, v135
	s_cbranch_execnz .LBB606_1137
.LBB606_1071:                           ;   in Loop: Header=BB606_974 Depth=2
	s_wait_alu 0xfffe
	s_or_b32 exec_lo, exec_lo, s42
	s_delay_alu instid0(SALU_CYCLE_1)
	s_mov_b32 s42, exec_lo
	v_cmpx_lt_u32_e64 v93, v135
	s_cbranch_execnz .LBB606_1138
.LBB606_1072:                           ;   in Loop: Header=BB606_974 Depth=2
	s_wait_alu 0xfffe
	s_or_b32 exec_lo, exec_lo, s42
	s_delay_alu instid0(SALU_CYCLE_1)
	s_mov_b32 s42, exec_lo
	v_cmpx_lt_u32_e64 v94, v135
	s_cbranch_execnz .LBB606_1139
.LBB606_1073:                           ;   in Loop: Header=BB606_974 Depth=2
	s_wait_alu 0xfffe
	s_or_b32 exec_lo, exec_lo, s42
	s_delay_alu instid0(SALU_CYCLE_1)
	s_mov_b32 s42, exec_lo
	v_cmpx_lt_u32_e64 v95, v135
	s_cbranch_execnz .LBB606_1140
.LBB606_1074:                           ;   in Loop: Header=BB606_974 Depth=2
	s_wait_alu 0xfffe
	s_or_b32 exec_lo, exec_lo, s42
	s_delay_alu instid0(SALU_CYCLE_1)
	s_mov_b32 s42, exec_lo
	v_cmpx_lt_u32_e64 v96, v135
	s_cbranch_execnz .LBB606_1141
.LBB606_1075:                           ;   in Loop: Header=BB606_974 Depth=2
	s_wait_alu 0xfffe
	s_or_b32 exec_lo, exec_lo, s42
	s_delay_alu instid0(SALU_CYCLE_1)
	s_mov_b32 s42, exec_lo
	v_cmpx_lt_u32_e64 v97, v135
	s_cbranch_execnz .LBB606_1142
.LBB606_1076:                           ;   in Loop: Header=BB606_974 Depth=2
	s_wait_alu 0xfffe
	s_or_b32 exec_lo, exec_lo, s42
	s_delay_alu instid0(SALU_CYCLE_1)
	s_mov_b32 s42, exec_lo
	v_cmpx_lt_u32_e64 v98, v135
	s_cbranch_execnz .LBB606_1143
.LBB606_1077:                           ;   in Loop: Header=BB606_974 Depth=2
	s_wait_alu 0xfffe
	s_or_b32 exec_lo, exec_lo, s42
	s_delay_alu instid0(SALU_CYCLE_1)
	s_mov_b32 s42, exec_lo
	v_cmpx_lt_u32_e64 v99, v135
	s_cbranch_execnz .LBB606_1144
.LBB606_1078:                           ;   in Loop: Header=BB606_974 Depth=2
	s_wait_alu 0xfffe
	s_or_b32 exec_lo, exec_lo, s42
	s_delay_alu instid0(SALU_CYCLE_1)
	s_mov_b32 s42, exec_lo
	v_cmpx_lt_u32_e64 v100, v135
	s_cbranch_execnz .LBB606_1145
.LBB606_1079:                           ;   in Loop: Header=BB606_974 Depth=2
	s_wait_alu 0xfffe
	s_or_b32 exec_lo, exec_lo, s42
	s_delay_alu instid0(SALU_CYCLE_1)
	s_mov_b32 s42, exec_lo
	v_cmpx_lt_u32_e64 v101, v135
	s_cbranch_execnz .LBB606_1146
.LBB606_1080:                           ;   in Loop: Header=BB606_974 Depth=2
	s_wait_alu 0xfffe
	s_or_b32 exec_lo, exec_lo, s42
	s_delay_alu instid0(SALU_CYCLE_1)
	s_mov_b32 s42, exec_lo
	v_cmpx_lt_u32_e64 v102, v135
	s_cbranch_execnz .LBB606_1147
.LBB606_1081:                           ;   in Loop: Header=BB606_974 Depth=2
	s_wait_alu 0xfffe
	s_or_b32 exec_lo, exec_lo, s42
	s_delay_alu instid0(SALU_CYCLE_1)
	s_mov_b32 s42, exec_lo
	v_cmpx_lt_u32_e64 v103, v135
	s_cbranch_execnz .LBB606_1148
.LBB606_1082:                           ;   in Loop: Header=BB606_974 Depth=2
	s_wait_alu 0xfffe
	s_or_b32 exec_lo, exec_lo, s42
	s_delay_alu instid0(SALU_CYCLE_1)
	s_mov_b32 s42, exec_lo
	v_cmpx_lt_u32_e64 v104, v135
	s_cbranch_execnz .LBB606_1149
.LBB606_1083:                           ;   in Loop: Header=BB606_974 Depth=2
	s_wait_alu 0xfffe
	s_or_b32 exec_lo, exec_lo, s42
	s_delay_alu instid0(SALU_CYCLE_1)
	s_mov_b32 s42, exec_lo
	v_cmpx_lt_u32_e64 v105, v135
	s_cbranch_execnz .LBB606_1150
.LBB606_1084:                           ;   in Loop: Header=BB606_974 Depth=2
	s_wait_alu 0xfffe
	s_or_b32 exec_lo, exec_lo, s42
	s_delay_alu instid0(SALU_CYCLE_1)
	s_mov_b32 s42, exec_lo
	v_cmpx_lt_u32_e64 v106, v135
	s_cbranch_execnz .LBB606_1151
.LBB606_1085:                           ;   in Loop: Header=BB606_974 Depth=2
	s_wait_alu 0xfffe
	s_or_b32 exec_lo, exec_lo, s42
	s_and_saveexec_b32 s30, vcc_lo
	s_cbranch_execnz .LBB606_1152
.LBB606_1086:                           ;   in Loop: Header=BB606_974 Depth=2
	s_wait_alu 0xfffe
	s_or_b32 exec_lo, exec_lo, s30
	s_and_saveexec_b32 s30, s15
	s_cbranch_execnz .LBB606_1153
.LBB606_1087:                           ;   in Loop: Header=BB606_974 Depth=2
	s_wait_alu 0xfffe
	s_or_b32 exec_lo, exec_lo, s30
	s_and_saveexec_b32 s30, s16
	s_cbranch_execnz .LBB606_1154
.LBB606_1088:                           ;   in Loop: Header=BB606_974 Depth=2
	s_wait_alu 0xfffe
	s_or_b32 exec_lo, exec_lo, s30
	s_and_saveexec_b32 s30, s17
	s_cbranch_execnz .LBB606_1155
.LBB606_1089:                           ;   in Loop: Header=BB606_974 Depth=2
	s_wait_alu 0xfffe
	s_or_b32 exec_lo, exec_lo, s30
	s_and_saveexec_b32 s30, s18
	s_cbranch_execnz .LBB606_1156
.LBB606_1090:                           ;   in Loop: Header=BB606_974 Depth=2
	s_wait_alu 0xfffe
	s_or_b32 exec_lo, exec_lo, s30
	s_and_saveexec_b32 s30, s19
	s_cbranch_execnz .LBB606_1157
.LBB606_1091:                           ;   in Loop: Header=BB606_974 Depth=2
	s_wait_alu 0xfffe
	s_or_b32 exec_lo, exec_lo, s30
	s_and_saveexec_b32 s30, s20
	s_cbranch_execnz .LBB606_1158
.LBB606_1092:                           ;   in Loop: Header=BB606_974 Depth=2
	s_wait_alu 0xfffe
	s_or_b32 exec_lo, exec_lo, s30
	s_and_saveexec_b32 s30, s21
	s_cbranch_execnz .LBB606_1159
.LBB606_1093:                           ;   in Loop: Header=BB606_974 Depth=2
	s_wait_alu 0xfffe
	s_or_b32 exec_lo, exec_lo, s30
	s_and_saveexec_b32 s30, s22
	s_cbranch_execnz .LBB606_1160
.LBB606_1094:                           ;   in Loop: Header=BB606_974 Depth=2
	s_wait_alu 0xfffe
	s_or_b32 exec_lo, exec_lo, s30
	s_and_saveexec_b32 s30, s23
	s_cbranch_execnz .LBB606_1161
.LBB606_1095:                           ;   in Loop: Header=BB606_974 Depth=2
	s_wait_alu 0xfffe
	s_or_b32 exec_lo, exec_lo, s30
	s_and_saveexec_b32 s30, s24
	s_cbranch_execnz .LBB606_1162
.LBB606_1096:                           ;   in Loop: Header=BB606_974 Depth=2
	s_wait_alu 0xfffe
	s_or_b32 exec_lo, exec_lo, s30
	s_and_saveexec_b32 s30, s25
	s_cbranch_execnz .LBB606_1163
.LBB606_1097:                           ;   in Loop: Header=BB606_974 Depth=2
	s_wait_alu 0xfffe
	s_or_b32 exec_lo, exec_lo, s30
	s_and_saveexec_b32 s30, s26
	s_cbranch_execnz .LBB606_1164
.LBB606_1098:                           ;   in Loop: Header=BB606_974 Depth=2
	s_wait_alu 0xfffe
	s_or_b32 exec_lo, exec_lo, s30
	s_and_saveexec_b32 s30, s27
	s_cbranch_execnz .LBB606_1165
.LBB606_1099:                           ;   in Loop: Header=BB606_974 Depth=2
	s_wait_alu 0xfffe
	s_or_b32 exec_lo, exec_lo, s30
	s_and_saveexec_b32 s30, s28
	s_cbranch_execnz .LBB606_1166
.LBB606_1100:                           ;   in Loop: Header=BB606_974 Depth=2
	s_wait_alu 0xfffe
	s_or_b32 exec_lo, exec_lo, s30
	s_and_saveexec_b32 s30, s29
	s_cbranch_execz .LBB606_1102
.LBB606_1101:                           ;   in Loop: Header=BB606_974 Depth=2
	ds_load_b32 v2, v70 offset:16384
	s_wait_dscnt 0x0
	v_lshrrev_b32_e32 v2, s49, v2
	s_delay_alu instid0(VALU_DEP_1)
	v_and_b32_e32 v119, s48, v2
.LBB606_1102:                           ;   in Loop: Header=BB606_974 Depth=2
	s_wait_alu 0xfffe
	s_or_b32 exec_lo, exec_lo, s30
	v_lshlrev_b32_e32 v2, 3, v155
	s_wait_loadcnt 0x0
	s_wait_storecnt 0x0
	s_barrier_signal -1
	s_barrier_wait -1
	global_inv scope:SCOPE_SE
	ds_store_b64 v2, v[34:35] offset:1024
	v_lshlrev_b32_e32 v2, 3, v151
	v_lshlrev_b32_e32 v36, 3, v147
	v_lshlrev_b32_e32 v37, 3, v146
	v_lshlrev_b32_e32 v135, 3, v145
	v_lshlrev_b32_e32 v136, 3, v143
	ds_store_b64 v2, v[32:33] offset:1024
	ds_store_b64 v36, v[30:31] offset:1024
	ds_store_b64 v37, v[28:29] offset:1024
	ds_store_b64 v135, v[26:27] offset:1024
	ds_store_b64 v136, v[24:25] offset:1024
	v_lshlrev_b32_e32 v2, 3, v142
	v_lshlrev_b32_e32 v36, 3, v141
	v_lshlrev_b32_e32 v37, 3, v140
	v_lshlrev_b32_e32 v135, 3, v139
	v_lshlrev_b32_e32 v136, 3, v138
	ds_store_b64 v2, v[22:23] offset:1024
	ds_store_b64 v36, v[20:21] offset:1024
	ds_store_b64 v37, v[18:19] offset:1024
	ds_store_b64 v135, v[16:17] offset:1024
	;; [unrolled: 10-line block ×3, first 2 shown]
	ds_store_b64 v40, v[4:5] offset:1024
	v_add_nc_u32_e32 v36, v70, v44
	s_wait_loadcnt_dscnt 0x0
	s_barrier_signal -1
	s_barrier_wait -1
	global_inv scope:SCOPE_SE
	s_and_saveexec_b32 s30, vcc_lo
	s_cbranch_execnz .LBB606_1167
; %bb.1103:                             ;   in Loop: Header=BB606_974 Depth=2
	s_wait_alu 0xfffe
	s_or_b32 exec_lo, exec_lo, s30
	s_and_saveexec_b32 s30, s15
	s_cbranch_execnz .LBB606_1168
.LBB606_1104:                           ;   in Loop: Header=BB606_974 Depth=2
	s_wait_alu 0xfffe
	s_or_b32 exec_lo, exec_lo, s30
	s_and_saveexec_b32 s15, s16
	s_cbranch_execnz .LBB606_1169
.LBB606_1105:                           ;   in Loop: Header=BB606_974 Depth=2
	s_wait_alu 0xfffe
	s_or_b32 exec_lo, exec_lo, s15
	s_and_saveexec_b32 s15, s17
	s_cbranch_execnz .LBB606_1170
.LBB606_1106:                           ;   in Loop: Header=BB606_974 Depth=2
	s_wait_alu 0xfffe
	s_or_b32 exec_lo, exec_lo, s15
	s_and_saveexec_b32 s15, s18
	s_cbranch_execnz .LBB606_1171
.LBB606_1107:                           ;   in Loop: Header=BB606_974 Depth=2
	s_wait_alu 0xfffe
	s_or_b32 exec_lo, exec_lo, s15
	s_and_saveexec_b32 s15, s19
	s_cbranch_execnz .LBB606_1172
.LBB606_1108:                           ;   in Loop: Header=BB606_974 Depth=2
	s_wait_alu 0xfffe
	s_or_b32 exec_lo, exec_lo, s15
	s_and_saveexec_b32 s15, s20
	s_cbranch_execnz .LBB606_1173
.LBB606_1109:                           ;   in Loop: Header=BB606_974 Depth=2
	s_wait_alu 0xfffe
	s_or_b32 exec_lo, exec_lo, s15
	s_and_saveexec_b32 s15, s21
	s_cbranch_execnz .LBB606_1174
.LBB606_1110:                           ;   in Loop: Header=BB606_974 Depth=2
	s_wait_alu 0xfffe
	s_or_b32 exec_lo, exec_lo, s15
	s_and_saveexec_b32 s15, s22
	s_cbranch_execnz .LBB606_1175
.LBB606_1111:                           ;   in Loop: Header=BB606_974 Depth=2
	s_wait_alu 0xfffe
	s_or_b32 exec_lo, exec_lo, s15
	s_and_saveexec_b32 s15, s23
	s_cbranch_execnz .LBB606_1176
.LBB606_1112:                           ;   in Loop: Header=BB606_974 Depth=2
	s_wait_alu 0xfffe
	s_or_b32 exec_lo, exec_lo, s15
	s_and_saveexec_b32 s15, s24
	s_cbranch_execnz .LBB606_1177
.LBB606_1113:                           ;   in Loop: Header=BB606_974 Depth=2
	s_wait_alu 0xfffe
	s_or_b32 exec_lo, exec_lo, s15
	s_and_saveexec_b32 s15, s25
	s_cbranch_execnz .LBB606_1178
.LBB606_1114:                           ;   in Loop: Header=BB606_974 Depth=2
	s_wait_alu 0xfffe
	s_or_b32 exec_lo, exec_lo, s15
	s_and_saveexec_b32 s15, s26
	s_cbranch_execnz .LBB606_1179
.LBB606_1115:                           ;   in Loop: Header=BB606_974 Depth=2
	s_wait_alu 0xfffe
	s_or_b32 exec_lo, exec_lo, s15
	s_and_saveexec_b32 s15, s27
	s_cbranch_execnz .LBB606_1180
.LBB606_1116:                           ;   in Loop: Header=BB606_974 Depth=2
	s_wait_alu 0xfffe
	s_or_b32 exec_lo, exec_lo, s15
	s_and_saveexec_b32 s15, s28
	s_cbranch_execnz .LBB606_1181
.LBB606_1117:                           ;   in Loop: Header=BB606_974 Depth=2
	s_wait_alu 0xfffe
	s_or_b32 exec_lo, exec_lo, s15
	s_and_saveexec_b32 s15, s29
	s_cbranch_execz .LBB606_1119
.LBB606_1118:                           ;   in Loop: Header=BB606_974 Depth=2
	v_lshlrev_b32_e32 v2, 2, v119
	ds_load_b32 v2, v2
	ds_load_b64 v[36:37], v36 offset:31744
	s_wait_dscnt 0x1
	v_add_nc_u32_e32 v2, v2, v61
	s_delay_alu instid0(VALU_DEP_1) | instskip(NEXT) | instid1(VALU_DEP_1)
	v_lshlrev_b64_e32 v[39:40], 3, v[2:3]
	v_add_co_u32 v39, vcc_lo, s46, v39
	s_wait_alu 0xfffd
	s_delay_alu instid0(VALU_DEP_2)
	v_add_co_ci_u32_e64 v40, null, s47, v40, vcc_lo
	s_wait_dscnt 0x0
	global_store_b64 v[39:40], v[36:37], off
.LBB606_1119:                           ;   in Loop: Header=BB606_974 Depth=2
	s_wait_alu 0xfffe
	s_or_b32 exec_lo, exec_lo, s15
	s_wait_loadcnt 0x0
	s_wait_storecnt 0x0
	s_barrier_signal -1
	s_barrier_wait -1
	global_inv scope:SCOPE_SE
	s_and_saveexec_b32 s15, s2
	s_cbranch_execz .LBB606_973
; %bb.1120:                             ;   in Loop: Header=BB606_974 Depth=2
	ds_load_b32 v2, v44
	s_wait_dscnt 0x0
	v_add_nc_u32_e32 v2, v2, v38
	ds_store_b32 v44, v2
	s_branch .LBB606_973
.LBB606_1121:                           ;   in Loop: Header=BB606_974 Depth=2
	ds_load_b32 v136, v70 offset:1024
	s_wait_dscnt 0x0
	v_lshrrev_b32_e32 v2, s49, v136
	s_delay_alu instid0(VALU_DEP_1) | instskip(NEXT) | instid1(VALU_DEP_1)
	v_and_b32_e32 v2, s48, v2
	v_lshlrev_b32_e32 v2, 2, v2
	ds_load_b32 v2, v2
	s_wait_dscnt 0x0
	v_add_nc_u32_e32 v2, v2, v1
	s_delay_alu instid0(VALU_DEP_1) | instskip(SKIP_1) | instid1(VALU_DEP_2)
	v_lshlrev_b64_e32 v[36:37], 2, v[2:3]
	v_xor_b32_e32 v2, 0x80000000, v136
	v_add_co_u32 v36, s15, s40, v36
	s_wait_alu 0xf1ff
	s_delay_alu instid0(VALU_DEP_3)
	v_add_co_ci_u32_e64 v37, null, s41, v37, s15
	global_store_b32 v[36:37], v2, off
	s_wait_alu 0xfffe
	s_or_b32 exec_lo, exec_lo, s16
	v_cmp_lt_u32_e64 s15, v45, v135
	s_and_saveexec_b32 s17, s15
	s_cbranch_execz .LBB606_1054
.LBB606_1122:                           ;   in Loop: Header=BB606_974 Depth=2
	ds_load_b32 v136, v70 offset:2048
	s_wait_dscnt 0x0
	v_lshrrev_b32_e32 v2, s49, v136
	s_delay_alu instid0(VALU_DEP_1) | instskip(NEXT) | instid1(VALU_DEP_1)
	v_and_b32_e32 v2, s48, v2
	v_lshlrev_b32_e32 v2, 2, v2
	ds_load_b32 v2, v2
	s_wait_dscnt 0x0
	v_add_nc_u32_e32 v2, v2, v45
	s_delay_alu instid0(VALU_DEP_1) | instskip(SKIP_1) | instid1(VALU_DEP_2)
	v_lshlrev_b64_e32 v[36:37], 2, v[2:3]
	v_xor_b32_e32 v2, 0x80000000, v136
	v_add_co_u32 v36, s16, s40, v36
	s_wait_alu 0xf1ff
	s_delay_alu instid0(VALU_DEP_3)
	v_add_co_ci_u32_e64 v37, null, s41, v37, s16
	global_store_b32 v[36:37], v2, off
	s_wait_alu 0xfffe
	s_or_b32 exec_lo, exec_lo, s17
	v_cmp_lt_u32_e64 s16, v46, v135
	s_and_saveexec_b32 s18, s16
	s_cbranch_execz .LBB606_1055
.LBB606_1123:                           ;   in Loop: Header=BB606_974 Depth=2
	ds_load_b32 v136, v70 offset:3072
	s_wait_dscnt 0x0
	v_lshrrev_b32_e32 v2, s49, v136
	s_delay_alu instid0(VALU_DEP_1) | instskip(NEXT) | instid1(VALU_DEP_1)
	v_and_b32_e32 v2, s48, v2
	v_lshlrev_b32_e32 v2, 2, v2
	ds_load_b32 v2, v2
	s_wait_dscnt 0x0
	v_add_nc_u32_e32 v2, v2, v46
	s_delay_alu instid0(VALU_DEP_1) | instskip(SKIP_1) | instid1(VALU_DEP_2)
	v_lshlrev_b64_e32 v[36:37], 2, v[2:3]
	v_xor_b32_e32 v2, 0x80000000, v136
	v_add_co_u32 v36, s17, s40, v36
	s_wait_alu 0xf1ff
	s_delay_alu instid0(VALU_DEP_3)
	v_add_co_ci_u32_e64 v37, null, s41, v37, s17
	global_store_b32 v[36:37], v2, off
	s_wait_alu 0xfffe
	s_or_b32 exec_lo, exec_lo, s18
	v_cmp_lt_u32_e64 s17, v47, v135
	s_and_saveexec_b32 s19, s17
	s_cbranch_execz .LBB606_1056
.LBB606_1124:                           ;   in Loop: Header=BB606_974 Depth=2
	ds_load_b32 v136, v70 offset:4096
	s_wait_dscnt 0x0
	v_lshrrev_b32_e32 v2, s49, v136
	s_delay_alu instid0(VALU_DEP_1) | instskip(NEXT) | instid1(VALU_DEP_1)
	v_and_b32_e32 v2, s48, v2
	v_lshlrev_b32_e32 v2, 2, v2
	ds_load_b32 v2, v2
	s_wait_dscnt 0x0
	v_add_nc_u32_e32 v2, v2, v47
	s_delay_alu instid0(VALU_DEP_1) | instskip(SKIP_1) | instid1(VALU_DEP_2)
	v_lshlrev_b64_e32 v[36:37], 2, v[2:3]
	v_xor_b32_e32 v2, 0x80000000, v136
	v_add_co_u32 v36, s18, s40, v36
	s_wait_alu 0xf1ff
	s_delay_alu instid0(VALU_DEP_3)
	v_add_co_ci_u32_e64 v37, null, s41, v37, s18
	global_store_b32 v[36:37], v2, off
	s_wait_alu 0xfffe
	s_or_b32 exec_lo, exec_lo, s19
	v_cmp_lt_u32_e64 s18, v50, v135
	s_and_saveexec_b32 s20, s18
	s_cbranch_execz .LBB606_1057
.LBB606_1125:                           ;   in Loop: Header=BB606_974 Depth=2
	ds_load_b32 v136, v70 offset:5120
	s_wait_dscnt 0x0
	v_lshrrev_b32_e32 v2, s49, v136
	s_delay_alu instid0(VALU_DEP_1) | instskip(NEXT) | instid1(VALU_DEP_1)
	v_and_b32_e32 v2, s48, v2
	v_lshlrev_b32_e32 v2, 2, v2
	ds_load_b32 v2, v2
	s_wait_dscnt 0x0
	v_add_nc_u32_e32 v2, v2, v50
	s_delay_alu instid0(VALU_DEP_1) | instskip(SKIP_1) | instid1(VALU_DEP_2)
	v_lshlrev_b64_e32 v[36:37], 2, v[2:3]
	v_xor_b32_e32 v2, 0x80000000, v136
	v_add_co_u32 v36, s19, s40, v36
	s_wait_alu 0xf1ff
	s_delay_alu instid0(VALU_DEP_3)
	v_add_co_ci_u32_e64 v37, null, s41, v37, s19
	global_store_b32 v[36:37], v2, off
	s_wait_alu 0xfffe
	s_or_b32 exec_lo, exec_lo, s20
	v_cmp_lt_u32_e64 s19, v51, v135
	s_and_saveexec_b32 s21, s19
	s_cbranch_execz .LBB606_1058
.LBB606_1126:                           ;   in Loop: Header=BB606_974 Depth=2
	ds_load_b32 v136, v70 offset:6144
	s_wait_dscnt 0x0
	v_lshrrev_b32_e32 v2, s49, v136
	s_delay_alu instid0(VALU_DEP_1) | instskip(NEXT) | instid1(VALU_DEP_1)
	v_and_b32_e32 v2, s48, v2
	v_lshlrev_b32_e32 v2, 2, v2
	ds_load_b32 v2, v2
	s_wait_dscnt 0x0
	v_add_nc_u32_e32 v2, v2, v51
	s_delay_alu instid0(VALU_DEP_1) | instskip(SKIP_1) | instid1(VALU_DEP_2)
	v_lshlrev_b64_e32 v[36:37], 2, v[2:3]
	v_xor_b32_e32 v2, 0x80000000, v136
	v_add_co_u32 v36, s20, s40, v36
	s_wait_alu 0xf1ff
	s_delay_alu instid0(VALU_DEP_3)
	v_add_co_ci_u32_e64 v37, null, s41, v37, s20
	global_store_b32 v[36:37], v2, off
	s_wait_alu 0xfffe
	s_or_b32 exec_lo, exec_lo, s21
	v_cmp_lt_u32_e64 s20, v52, v135
	s_and_saveexec_b32 s22, s20
	s_cbranch_execz .LBB606_1059
.LBB606_1127:                           ;   in Loop: Header=BB606_974 Depth=2
	ds_load_b32 v136, v70 offset:7168
	s_wait_dscnt 0x0
	v_lshrrev_b32_e32 v2, s49, v136
	s_delay_alu instid0(VALU_DEP_1) | instskip(NEXT) | instid1(VALU_DEP_1)
	v_and_b32_e32 v2, s48, v2
	v_lshlrev_b32_e32 v2, 2, v2
	ds_load_b32 v2, v2
	s_wait_dscnt 0x0
	v_add_nc_u32_e32 v2, v2, v52
	s_delay_alu instid0(VALU_DEP_1) | instskip(SKIP_1) | instid1(VALU_DEP_2)
	v_lshlrev_b64_e32 v[36:37], 2, v[2:3]
	v_xor_b32_e32 v2, 0x80000000, v136
	v_add_co_u32 v36, s21, s40, v36
	s_wait_alu 0xf1ff
	s_delay_alu instid0(VALU_DEP_3)
	v_add_co_ci_u32_e64 v37, null, s41, v37, s21
	global_store_b32 v[36:37], v2, off
	s_wait_alu 0xfffe
	s_or_b32 exec_lo, exec_lo, s22
	v_cmp_lt_u32_e64 s21, v53, v135
	s_and_saveexec_b32 s23, s21
	s_cbranch_execz .LBB606_1060
.LBB606_1128:                           ;   in Loop: Header=BB606_974 Depth=2
	ds_load_b32 v136, v70 offset:8192
	s_wait_dscnt 0x0
	v_lshrrev_b32_e32 v2, s49, v136
	s_delay_alu instid0(VALU_DEP_1) | instskip(NEXT) | instid1(VALU_DEP_1)
	v_and_b32_e32 v2, s48, v2
	v_lshlrev_b32_e32 v2, 2, v2
	ds_load_b32 v2, v2
	s_wait_dscnt 0x0
	v_add_nc_u32_e32 v2, v2, v53
	s_delay_alu instid0(VALU_DEP_1) | instskip(SKIP_1) | instid1(VALU_DEP_2)
	v_lshlrev_b64_e32 v[36:37], 2, v[2:3]
	v_xor_b32_e32 v2, 0x80000000, v136
	v_add_co_u32 v36, s22, s40, v36
	s_wait_alu 0xf1ff
	s_delay_alu instid0(VALU_DEP_3)
	v_add_co_ci_u32_e64 v37, null, s41, v37, s22
	global_store_b32 v[36:37], v2, off
	s_wait_alu 0xfffe
	s_or_b32 exec_lo, exec_lo, s23
	v_cmp_lt_u32_e64 s22, v54, v135
	s_and_saveexec_b32 s24, s22
	s_cbranch_execz .LBB606_1061
.LBB606_1129:                           ;   in Loop: Header=BB606_974 Depth=2
	ds_load_b32 v136, v70 offset:9216
	s_wait_dscnt 0x0
	v_lshrrev_b32_e32 v2, s49, v136
	s_delay_alu instid0(VALU_DEP_1) | instskip(NEXT) | instid1(VALU_DEP_1)
	v_and_b32_e32 v2, s48, v2
	v_lshlrev_b32_e32 v2, 2, v2
	ds_load_b32 v2, v2
	s_wait_dscnt 0x0
	v_add_nc_u32_e32 v2, v2, v54
	s_delay_alu instid0(VALU_DEP_1) | instskip(SKIP_1) | instid1(VALU_DEP_2)
	v_lshlrev_b64_e32 v[36:37], 2, v[2:3]
	v_xor_b32_e32 v2, 0x80000000, v136
	v_add_co_u32 v36, s23, s40, v36
	s_wait_alu 0xf1ff
	s_delay_alu instid0(VALU_DEP_3)
	v_add_co_ci_u32_e64 v37, null, s41, v37, s23
	global_store_b32 v[36:37], v2, off
	s_wait_alu 0xfffe
	s_or_b32 exec_lo, exec_lo, s24
	v_cmp_lt_u32_e64 s23, v55, v135
	s_and_saveexec_b32 s25, s23
	s_cbranch_execz .LBB606_1062
.LBB606_1130:                           ;   in Loop: Header=BB606_974 Depth=2
	ds_load_b32 v136, v70 offset:10240
	s_wait_dscnt 0x0
	v_lshrrev_b32_e32 v2, s49, v136
	s_delay_alu instid0(VALU_DEP_1) | instskip(NEXT) | instid1(VALU_DEP_1)
	v_and_b32_e32 v2, s48, v2
	v_lshlrev_b32_e32 v2, 2, v2
	ds_load_b32 v2, v2
	s_wait_dscnt 0x0
	v_add_nc_u32_e32 v2, v2, v55
	s_delay_alu instid0(VALU_DEP_1) | instskip(SKIP_1) | instid1(VALU_DEP_2)
	v_lshlrev_b64_e32 v[36:37], 2, v[2:3]
	v_xor_b32_e32 v2, 0x80000000, v136
	v_add_co_u32 v36, s24, s40, v36
	s_wait_alu 0xf1ff
	s_delay_alu instid0(VALU_DEP_3)
	v_add_co_ci_u32_e64 v37, null, s41, v37, s24
	global_store_b32 v[36:37], v2, off
	s_wait_alu 0xfffe
	s_or_b32 exec_lo, exec_lo, s25
	v_cmp_lt_u32_e64 s24, v56, v135
	s_and_saveexec_b32 s26, s24
	s_cbranch_execz .LBB606_1063
.LBB606_1131:                           ;   in Loop: Header=BB606_974 Depth=2
	ds_load_b32 v136, v70 offset:11264
	s_wait_dscnt 0x0
	v_lshrrev_b32_e32 v2, s49, v136
	s_delay_alu instid0(VALU_DEP_1) | instskip(NEXT) | instid1(VALU_DEP_1)
	v_and_b32_e32 v2, s48, v2
	v_lshlrev_b32_e32 v2, 2, v2
	ds_load_b32 v2, v2
	s_wait_dscnt 0x0
	v_add_nc_u32_e32 v2, v2, v56
	s_delay_alu instid0(VALU_DEP_1) | instskip(SKIP_1) | instid1(VALU_DEP_2)
	v_lshlrev_b64_e32 v[36:37], 2, v[2:3]
	v_xor_b32_e32 v2, 0x80000000, v136
	v_add_co_u32 v36, s25, s40, v36
	s_wait_alu 0xf1ff
	s_delay_alu instid0(VALU_DEP_3)
	v_add_co_ci_u32_e64 v37, null, s41, v37, s25
	global_store_b32 v[36:37], v2, off
	s_wait_alu 0xfffe
	s_or_b32 exec_lo, exec_lo, s26
	v_cmp_lt_u32_e64 s25, v57, v135
	s_and_saveexec_b32 s27, s25
	s_cbranch_execz .LBB606_1064
.LBB606_1132:                           ;   in Loop: Header=BB606_974 Depth=2
	ds_load_b32 v136, v70 offset:12288
	s_wait_dscnt 0x0
	v_lshrrev_b32_e32 v2, s49, v136
	s_delay_alu instid0(VALU_DEP_1) | instskip(NEXT) | instid1(VALU_DEP_1)
	v_and_b32_e32 v2, s48, v2
	v_lshlrev_b32_e32 v2, 2, v2
	ds_load_b32 v2, v2
	s_wait_dscnt 0x0
	v_add_nc_u32_e32 v2, v2, v57
	s_delay_alu instid0(VALU_DEP_1) | instskip(SKIP_1) | instid1(VALU_DEP_2)
	v_lshlrev_b64_e32 v[36:37], 2, v[2:3]
	v_xor_b32_e32 v2, 0x80000000, v136
	v_add_co_u32 v36, s26, s40, v36
	s_wait_alu 0xf1ff
	s_delay_alu instid0(VALU_DEP_3)
	v_add_co_ci_u32_e64 v37, null, s41, v37, s26
	global_store_b32 v[36:37], v2, off
	s_wait_alu 0xfffe
	s_or_b32 exec_lo, exec_lo, s27
	v_cmp_lt_u32_e64 s26, v58, v135
	s_and_saveexec_b32 s28, s26
	s_cbranch_execz .LBB606_1065
.LBB606_1133:                           ;   in Loop: Header=BB606_974 Depth=2
	ds_load_b32 v136, v70 offset:13312
	s_wait_dscnt 0x0
	v_lshrrev_b32_e32 v2, s49, v136
	s_delay_alu instid0(VALU_DEP_1) | instskip(NEXT) | instid1(VALU_DEP_1)
	v_and_b32_e32 v2, s48, v2
	v_lshlrev_b32_e32 v2, 2, v2
	ds_load_b32 v2, v2
	s_wait_dscnt 0x0
	v_add_nc_u32_e32 v2, v2, v58
	s_delay_alu instid0(VALU_DEP_1) | instskip(SKIP_1) | instid1(VALU_DEP_2)
	v_lshlrev_b64_e32 v[36:37], 2, v[2:3]
	v_xor_b32_e32 v2, 0x80000000, v136
	v_add_co_u32 v36, s27, s40, v36
	s_wait_alu 0xf1ff
	s_delay_alu instid0(VALU_DEP_3)
	v_add_co_ci_u32_e64 v37, null, s41, v37, s27
	global_store_b32 v[36:37], v2, off
	s_wait_alu 0xfffe
	s_or_b32 exec_lo, exec_lo, s28
	v_cmp_lt_u32_e64 s27, v59, v135
	s_and_saveexec_b32 s29, s27
	s_cbranch_execz .LBB606_1066
.LBB606_1134:                           ;   in Loop: Header=BB606_974 Depth=2
	ds_load_b32 v136, v70 offset:14336
	s_wait_dscnt 0x0
	v_lshrrev_b32_e32 v2, s49, v136
	s_delay_alu instid0(VALU_DEP_1) | instskip(NEXT) | instid1(VALU_DEP_1)
	v_and_b32_e32 v2, s48, v2
	v_lshlrev_b32_e32 v2, 2, v2
	ds_load_b32 v2, v2
	s_wait_dscnt 0x0
	v_add_nc_u32_e32 v2, v2, v59
	s_delay_alu instid0(VALU_DEP_1) | instskip(SKIP_1) | instid1(VALU_DEP_2)
	v_lshlrev_b64_e32 v[36:37], 2, v[2:3]
	v_xor_b32_e32 v2, 0x80000000, v136
	v_add_co_u32 v36, s28, s40, v36
	s_wait_alu 0xf1ff
	s_delay_alu instid0(VALU_DEP_3)
	v_add_co_ci_u32_e64 v37, null, s41, v37, s28
	global_store_b32 v[36:37], v2, off
	s_wait_alu 0xfffe
	s_or_b32 exec_lo, exec_lo, s29
	v_cmp_lt_u32_e64 s28, v60, v135
	s_and_saveexec_b32 s30, s28
	s_cbranch_execz .LBB606_1067
.LBB606_1135:                           ;   in Loop: Header=BB606_974 Depth=2
	ds_load_b32 v136, v70 offset:15360
	s_wait_dscnt 0x0
	v_lshrrev_b32_e32 v2, s49, v136
	s_delay_alu instid0(VALU_DEP_1) | instskip(NEXT) | instid1(VALU_DEP_1)
	v_and_b32_e32 v2, s48, v2
	v_lshlrev_b32_e32 v2, 2, v2
	ds_load_b32 v2, v2
	s_wait_dscnt 0x0
	v_add_nc_u32_e32 v2, v2, v60
	s_delay_alu instid0(VALU_DEP_1) | instskip(SKIP_1) | instid1(VALU_DEP_2)
	v_lshlrev_b64_e32 v[36:37], 2, v[2:3]
	v_xor_b32_e32 v2, 0x80000000, v136
	v_add_co_u32 v36, s29, s40, v36
	s_wait_alu 0xf1ff
	s_delay_alu instid0(VALU_DEP_3)
	v_add_co_ci_u32_e64 v37, null, s41, v37, s29
	global_store_b32 v[36:37], v2, off
	s_wait_alu 0xfffe
	s_or_b32 exec_lo, exec_lo, s30
	v_cmp_lt_u32_e64 s29, v61, v135
	s_and_saveexec_b32 s56, s29
	s_cbranch_execnz .LBB606_1068
	s_branch .LBB606_1069
.LBB606_1136:                           ;   in Loop: Header=BB606_974 Depth=2
	global_load_b64 v[34:35], v[36:37], off
	s_wait_alu 0xfffe
	s_or_b32 exec_lo, exec_lo, s30
	s_delay_alu instid0(SALU_CYCLE_1)
	s_mov_b32 s42, exec_lo
	v_cmpx_lt_u32_e64 v92, v135
	s_cbranch_execz .LBB606_1071
.LBB606_1137:                           ;   in Loop: Header=BB606_974 Depth=2
	global_load_b64 v[32:33], v[36:37], off offset:256
	s_wait_alu 0xfffe
	s_or_b32 exec_lo, exec_lo, s42
	s_delay_alu instid0(SALU_CYCLE_1)
	s_mov_b32 s42, exec_lo
	v_cmpx_lt_u32_e64 v93, v135
	s_cbranch_execz .LBB606_1072
.LBB606_1138:                           ;   in Loop: Header=BB606_974 Depth=2
	global_load_b64 v[30:31], v[36:37], off offset:512
	s_wait_alu 0xfffe
	s_or_b32 exec_lo, exec_lo, s42
	s_delay_alu instid0(SALU_CYCLE_1)
	s_mov_b32 s42, exec_lo
	v_cmpx_lt_u32_e64 v94, v135
	s_cbranch_execz .LBB606_1073
.LBB606_1139:                           ;   in Loop: Header=BB606_974 Depth=2
	global_load_b64 v[28:29], v[36:37], off offset:768
	s_wait_alu 0xfffe
	s_or_b32 exec_lo, exec_lo, s42
	s_delay_alu instid0(SALU_CYCLE_1)
	s_mov_b32 s42, exec_lo
	v_cmpx_lt_u32_e64 v95, v135
	s_cbranch_execz .LBB606_1074
.LBB606_1140:                           ;   in Loop: Header=BB606_974 Depth=2
	global_load_b64 v[26:27], v[36:37], off offset:1024
	s_wait_alu 0xfffe
	s_or_b32 exec_lo, exec_lo, s42
	s_delay_alu instid0(SALU_CYCLE_1)
	s_mov_b32 s42, exec_lo
	v_cmpx_lt_u32_e64 v96, v135
	s_cbranch_execz .LBB606_1075
.LBB606_1141:                           ;   in Loop: Header=BB606_974 Depth=2
	global_load_b64 v[24:25], v[36:37], off offset:1280
	s_wait_alu 0xfffe
	s_or_b32 exec_lo, exec_lo, s42
	s_delay_alu instid0(SALU_CYCLE_1)
	s_mov_b32 s42, exec_lo
	v_cmpx_lt_u32_e64 v97, v135
	s_cbranch_execz .LBB606_1076
.LBB606_1142:                           ;   in Loop: Header=BB606_974 Depth=2
	global_load_b64 v[22:23], v[36:37], off offset:1536
	s_wait_alu 0xfffe
	s_or_b32 exec_lo, exec_lo, s42
	s_delay_alu instid0(SALU_CYCLE_1)
	s_mov_b32 s42, exec_lo
	v_cmpx_lt_u32_e64 v98, v135
	s_cbranch_execz .LBB606_1077
.LBB606_1143:                           ;   in Loop: Header=BB606_974 Depth=2
	global_load_b64 v[20:21], v[36:37], off offset:1792
	s_wait_alu 0xfffe
	s_or_b32 exec_lo, exec_lo, s42
	s_delay_alu instid0(SALU_CYCLE_1)
	s_mov_b32 s42, exec_lo
	v_cmpx_lt_u32_e64 v99, v135
	s_cbranch_execz .LBB606_1078
.LBB606_1144:                           ;   in Loop: Header=BB606_974 Depth=2
	global_load_b64 v[18:19], v[36:37], off offset:2048
	s_wait_alu 0xfffe
	s_or_b32 exec_lo, exec_lo, s42
	s_delay_alu instid0(SALU_CYCLE_1)
	s_mov_b32 s42, exec_lo
	v_cmpx_lt_u32_e64 v100, v135
	s_cbranch_execz .LBB606_1079
.LBB606_1145:                           ;   in Loop: Header=BB606_974 Depth=2
	global_load_b64 v[16:17], v[36:37], off offset:2304
	s_wait_alu 0xfffe
	s_or_b32 exec_lo, exec_lo, s42
	s_delay_alu instid0(SALU_CYCLE_1)
	s_mov_b32 s42, exec_lo
	v_cmpx_lt_u32_e64 v101, v135
	s_cbranch_execz .LBB606_1080
.LBB606_1146:                           ;   in Loop: Header=BB606_974 Depth=2
	global_load_b64 v[14:15], v[36:37], off offset:2560
	s_wait_alu 0xfffe
	s_or_b32 exec_lo, exec_lo, s42
	s_delay_alu instid0(SALU_CYCLE_1)
	s_mov_b32 s42, exec_lo
	v_cmpx_lt_u32_e64 v102, v135
	s_cbranch_execz .LBB606_1081
.LBB606_1147:                           ;   in Loop: Header=BB606_974 Depth=2
	global_load_b64 v[12:13], v[36:37], off offset:2816
	s_wait_alu 0xfffe
	s_or_b32 exec_lo, exec_lo, s42
	s_delay_alu instid0(SALU_CYCLE_1)
	s_mov_b32 s42, exec_lo
	v_cmpx_lt_u32_e64 v103, v135
	s_cbranch_execz .LBB606_1082
.LBB606_1148:                           ;   in Loop: Header=BB606_974 Depth=2
	global_load_b64 v[10:11], v[36:37], off offset:3072
	s_wait_alu 0xfffe
	s_or_b32 exec_lo, exec_lo, s42
	s_delay_alu instid0(SALU_CYCLE_1)
	s_mov_b32 s42, exec_lo
	v_cmpx_lt_u32_e64 v104, v135
	s_cbranch_execz .LBB606_1083
.LBB606_1149:                           ;   in Loop: Header=BB606_974 Depth=2
	global_load_b64 v[8:9], v[36:37], off offset:3328
	s_wait_alu 0xfffe
	s_or_b32 exec_lo, exec_lo, s42
	s_delay_alu instid0(SALU_CYCLE_1)
	s_mov_b32 s42, exec_lo
	v_cmpx_lt_u32_e64 v105, v135
	s_cbranch_execz .LBB606_1084
.LBB606_1150:                           ;   in Loop: Header=BB606_974 Depth=2
	global_load_b64 v[6:7], v[36:37], off offset:3584
	s_wait_alu 0xfffe
	s_or_b32 exec_lo, exec_lo, s42
	s_delay_alu instid0(SALU_CYCLE_1)
	s_mov_b32 s42, exec_lo
	v_cmpx_lt_u32_e64 v106, v135
	s_cbranch_execz .LBB606_1085
.LBB606_1151:                           ;   in Loop: Header=BB606_974 Depth=2
	global_load_b64 v[4:5], v[36:37], off offset:3840
	s_wait_alu 0xfffe
	s_or_b32 exec_lo, exec_lo, s42
	s_and_saveexec_b32 s30, vcc_lo
	s_cbranch_execz .LBB606_1086
.LBB606_1152:                           ;   in Loop: Header=BB606_974 Depth=2
	ds_load_b32 v2, v70 offset:1024
	s_wait_dscnt 0x0
	v_lshrrev_b32_e32 v2, s49, v2
	s_delay_alu instid0(VALU_DEP_1)
	v_and_b32_e32 v134, s48, v2
	s_wait_alu 0xfffe
	s_or_b32 exec_lo, exec_lo, s30
	s_and_saveexec_b32 s30, s15
	s_cbranch_execz .LBB606_1087
.LBB606_1153:                           ;   in Loop: Header=BB606_974 Depth=2
	ds_load_b32 v2, v70 offset:2048
	s_wait_dscnt 0x0
	v_lshrrev_b32_e32 v2, s49, v2
	s_delay_alu instid0(VALU_DEP_1)
	v_and_b32_e32 v133, s48, v2
	s_wait_alu 0xfffe
	s_or_b32 exec_lo, exec_lo, s30
	s_and_saveexec_b32 s30, s16
	s_cbranch_execz .LBB606_1088
.LBB606_1154:                           ;   in Loop: Header=BB606_974 Depth=2
	ds_load_b32 v2, v70 offset:3072
	s_wait_dscnt 0x0
	v_lshrrev_b32_e32 v2, s49, v2
	s_delay_alu instid0(VALU_DEP_1)
	v_and_b32_e32 v132, s48, v2
	s_wait_alu 0xfffe
	s_or_b32 exec_lo, exec_lo, s30
	s_and_saveexec_b32 s30, s17
	s_cbranch_execz .LBB606_1089
.LBB606_1155:                           ;   in Loop: Header=BB606_974 Depth=2
	ds_load_b32 v2, v70 offset:4096
	s_wait_dscnt 0x0
	v_lshrrev_b32_e32 v2, s49, v2
	s_delay_alu instid0(VALU_DEP_1)
	v_and_b32_e32 v131, s48, v2
	s_wait_alu 0xfffe
	s_or_b32 exec_lo, exec_lo, s30
	s_and_saveexec_b32 s30, s18
	s_cbranch_execz .LBB606_1090
.LBB606_1156:                           ;   in Loop: Header=BB606_974 Depth=2
	ds_load_b32 v2, v70 offset:5120
	s_wait_dscnt 0x0
	v_lshrrev_b32_e32 v2, s49, v2
	s_delay_alu instid0(VALU_DEP_1)
	v_and_b32_e32 v130, s48, v2
	s_wait_alu 0xfffe
	s_or_b32 exec_lo, exec_lo, s30
	s_and_saveexec_b32 s30, s19
	s_cbranch_execz .LBB606_1091
.LBB606_1157:                           ;   in Loop: Header=BB606_974 Depth=2
	ds_load_b32 v2, v70 offset:6144
	s_wait_dscnt 0x0
	v_lshrrev_b32_e32 v2, s49, v2
	s_delay_alu instid0(VALU_DEP_1)
	v_and_b32_e32 v129, s48, v2
	s_wait_alu 0xfffe
	s_or_b32 exec_lo, exec_lo, s30
	s_and_saveexec_b32 s30, s20
	s_cbranch_execz .LBB606_1092
.LBB606_1158:                           ;   in Loop: Header=BB606_974 Depth=2
	ds_load_b32 v2, v70 offset:7168
	s_wait_dscnt 0x0
	v_lshrrev_b32_e32 v2, s49, v2
	s_delay_alu instid0(VALU_DEP_1)
	v_and_b32_e32 v128, s48, v2
	s_wait_alu 0xfffe
	s_or_b32 exec_lo, exec_lo, s30
	s_and_saveexec_b32 s30, s21
	s_cbranch_execz .LBB606_1093
.LBB606_1159:                           ;   in Loop: Header=BB606_974 Depth=2
	ds_load_b32 v2, v70 offset:8192
	s_wait_dscnt 0x0
	v_lshrrev_b32_e32 v2, s49, v2
	s_delay_alu instid0(VALU_DEP_1)
	v_and_b32_e32 v127, s48, v2
	s_wait_alu 0xfffe
	s_or_b32 exec_lo, exec_lo, s30
	s_and_saveexec_b32 s30, s22
	s_cbranch_execz .LBB606_1094
.LBB606_1160:                           ;   in Loop: Header=BB606_974 Depth=2
	ds_load_b32 v2, v70 offset:9216
	s_wait_dscnt 0x0
	v_lshrrev_b32_e32 v2, s49, v2
	s_delay_alu instid0(VALU_DEP_1)
	v_and_b32_e32 v126, s48, v2
	s_wait_alu 0xfffe
	s_or_b32 exec_lo, exec_lo, s30
	s_and_saveexec_b32 s30, s23
	s_cbranch_execz .LBB606_1095
.LBB606_1161:                           ;   in Loop: Header=BB606_974 Depth=2
	ds_load_b32 v2, v70 offset:10240
	s_wait_dscnt 0x0
	v_lshrrev_b32_e32 v2, s49, v2
	s_delay_alu instid0(VALU_DEP_1)
	v_and_b32_e32 v125, s48, v2
	s_wait_alu 0xfffe
	s_or_b32 exec_lo, exec_lo, s30
	s_and_saveexec_b32 s30, s24
	s_cbranch_execz .LBB606_1096
.LBB606_1162:                           ;   in Loop: Header=BB606_974 Depth=2
	ds_load_b32 v2, v70 offset:11264
	s_wait_dscnt 0x0
	v_lshrrev_b32_e32 v2, s49, v2
	s_delay_alu instid0(VALU_DEP_1)
	v_and_b32_e32 v124, s48, v2
	s_wait_alu 0xfffe
	s_or_b32 exec_lo, exec_lo, s30
	s_and_saveexec_b32 s30, s25
	s_cbranch_execz .LBB606_1097
.LBB606_1163:                           ;   in Loop: Header=BB606_974 Depth=2
	ds_load_b32 v2, v70 offset:12288
	s_wait_dscnt 0x0
	v_lshrrev_b32_e32 v2, s49, v2
	s_delay_alu instid0(VALU_DEP_1)
	v_and_b32_e32 v123, s48, v2
	s_wait_alu 0xfffe
	s_or_b32 exec_lo, exec_lo, s30
	s_and_saveexec_b32 s30, s26
	s_cbranch_execz .LBB606_1098
.LBB606_1164:                           ;   in Loop: Header=BB606_974 Depth=2
	ds_load_b32 v2, v70 offset:13312
	s_wait_dscnt 0x0
	v_lshrrev_b32_e32 v2, s49, v2
	s_delay_alu instid0(VALU_DEP_1)
	v_and_b32_e32 v122, s48, v2
	s_wait_alu 0xfffe
	s_or_b32 exec_lo, exec_lo, s30
	s_and_saveexec_b32 s30, s27
	s_cbranch_execz .LBB606_1099
.LBB606_1165:                           ;   in Loop: Header=BB606_974 Depth=2
	ds_load_b32 v2, v70 offset:14336
	s_wait_dscnt 0x0
	v_lshrrev_b32_e32 v2, s49, v2
	s_delay_alu instid0(VALU_DEP_1)
	v_and_b32_e32 v121, s48, v2
	s_wait_alu 0xfffe
	s_or_b32 exec_lo, exec_lo, s30
	s_and_saveexec_b32 s30, s28
	s_cbranch_execz .LBB606_1100
.LBB606_1166:                           ;   in Loop: Header=BB606_974 Depth=2
	ds_load_b32 v2, v70 offset:15360
	s_wait_dscnt 0x0
	v_lshrrev_b32_e32 v2, s49, v2
	s_delay_alu instid0(VALU_DEP_1)
	v_and_b32_e32 v120, s48, v2
	s_wait_alu 0xfffe
	s_or_b32 exec_lo, exec_lo, s30
	s_and_saveexec_b32 s30, s29
	s_cbranch_execnz .LBB606_1101
	s_branch .LBB606_1102
.LBB606_1167:                           ;   in Loop: Header=BB606_974 Depth=2
	v_lshlrev_b32_e32 v2, 2, v134
	ds_load_b32 v2, v2
	ds_load_b64 v[39:40], v36 offset:1024
	s_wait_dscnt 0x1
	v_add_nc_u32_e32 v2, v2, v1
	s_delay_alu instid0(VALU_DEP_1) | instskip(NEXT) | instid1(VALU_DEP_1)
	v_lshlrev_b64_e32 v[41:42], 3, v[2:3]
	v_add_co_u32 v41, vcc_lo, s46, v41
	s_wait_alu 0xfffd
	s_delay_alu instid0(VALU_DEP_2)
	v_add_co_ci_u32_e64 v42, null, s47, v42, vcc_lo
	s_wait_dscnt 0x0
	global_store_b64 v[41:42], v[39:40], off
	s_wait_alu 0xfffe
	s_or_b32 exec_lo, exec_lo, s30
	s_and_saveexec_b32 s30, s15
	s_cbranch_execz .LBB606_1104
.LBB606_1168:                           ;   in Loop: Header=BB606_974 Depth=2
	v_lshlrev_b32_e32 v2, 2, v133
	ds_load_b32 v2, v2
	ds_load_b64 v[39:40], v36 offset:3072
	s_wait_dscnt 0x1
	v_add_nc_u32_e32 v2, v2, v45
	s_delay_alu instid0(VALU_DEP_1) | instskip(NEXT) | instid1(VALU_DEP_1)
	v_lshlrev_b64_e32 v[41:42], 3, v[2:3]
	v_add_co_u32 v41, vcc_lo, s46, v41
	s_wait_alu 0xfffd
	s_delay_alu instid0(VALU_DEP_2)
	v_add_co_ci_u32_e64 v42, null, s47, v42, vcc_lo
	s_wait_dscnt 0x0
	global_store_b64 v[41:42], v[39:40], off
	s_wait_alu 0xfffe
	s_or_b32 exec_lo, exec_lo, s30
	s_and_saveexec_b32 s15, s16
	s_cbranch_execz .LBB606_1105
.LBB606_1169:                           ;   in Loop: Header=BB606_974 Depth=2
	v_lshlrev_b32_e32 v2, 2, v132
	ds_load_b32 v2, v2
	ds_load_b64 v[39:40], v36 offset:5120
	s_wait_dscnt 0x1
	v_add_nc_u32_e32 v2, v2, v46
	s_delay_alu instid0(VALU_DEP_1) | instskip(NEXT) | instid1(VALU_DEP_1)
	v_lshlrev_b64_e32 v[41:42], 3, v[2:3]
	v_add_co_u32 v41, vcc_lo, s46, v41
	s_wait_alu 0xfffd
	s_delay_alu instid0(VALU_DEP_2)
	v_add_co_ci_u32_e64 v42, null, s47, v42, vcc_lo
	s_wait_dscnt 0x0
	global_store_b64 v[41:42], v[39:40], off
	s_wait_alu 0xfffe
	s_or_b32 exec_lo, exec_lo, s15
	s_and_saveexec_b32 s15, s17
	s_cbranch_execz .LBB606_1106
.LBB606_1170:                           ;   in Loop: Header=BB606_974 Depth=2
	v_lshlrev_b32_e32 v2, 2, v131
	ds_load_b32 v2, v2
	ds_load_b64 v[39:40], v36 offset:7168
	s_wait_dscnt 0x1
	v_add_nc_u32_e32 v2, v2, v47
	s_delay_alu instid0(VALU_DEP_1) | instskip(NEXT) | instid1(VALU_DEP_1)
	v_lshlrev_b64_e32 v[41:42], 3, v[2:3]
	v_add_co_u32 v41, vcc_lo, s46, v41
	s_wait_alu 0xfffd
	s_delay_alu instid0(VALU_DEP_2)
	v_add_co_ci_u32_e64 v42, null, s47, v42, vcc_lo
	s_wait_dscnt 0x0
	global_store_b64 v[41:42], v[39:40], off
	s_wait_alu 0xfffe
	s_or_b32 exec_lo, exec_lo, s15
	s_and_saveexec_b32 s15, s18
	s_cbranch_execz .LBB606_1107
.LBB606_1171:                           ;   in Loop: Header=BB606_974 Depth=2
	v_lshlrev_b32_e32 v2, 2, v130
	ds_load_b32 v2, v2
	ds_load_b64 v[39:40], v36 offset:9216
	s_wait_dscnt 0x1
	v_add_nc_u32_e32 v2, v2, v50
	s_delay_alu instid0(VALU_DEP_1) | instskip(NEXT) | instid1(VALU_DEP_1)
	v_lshlrev_b64_e32 v[41:42], 3, v[2:3]
	v_add_co_u32 v41, vcc_lo, s46, v41
	s_wait_alu 0xfffd
	s_delay_alu instid0(VALU_DEP_2)
	v_add_co_ci_u32_e64 v42, null, s47, v42, vcc_lo
	s_wait_dscnt 0x0
	global_store_b64 v[41:42], v[39:40], off
	s_wait_alu 0xfffe
	s_or_b32 exec_lo, exec_lo, s15
	s_and_saveexec_b32 s15, s19
	s_cbranch_execz .LBB606_1108
.LBB606_1172:                           ;   in Loop: Header=BB606_974 Depth=2
	v_lshlrev_b32_e32 v2, 2, v129
	ds_load_b32 v2, v2
	ds_load_b64 v[39:40], v36 offset:11264
	s_wait_dscnt 0x1
	v_add_nc_u32_e32 v2, v2, v51
	s_delay_alu instid0(VALU_DEP_1) | instskip(NEXT) | instid1(VALU_DEP_1)
	v_lshlrev_b64_e32 v[41:42], 3, v[2:3]
	v_add_co_u32 v41, vcc_lo, s46, v41
	s_wait_alu 0xfffd
	s_delay_alu instid0(VALU_DEP_2)
	v_add_co_ci_u32_e64 v42, null, s47, v42, vcc_lo
	s_wait_dscnt 0x0
	global_store_b64 v[41:42], v[39:40], off
	s_wait_alu 0xfffe
	s_or_b32 exec_lo, exec_lo, s15
	s_and_saveexec_b32 s15, s20
	s_cbranch_execz .LBB606_1109
.LBB606_1173:                           ;   in Loop: Header=BB606_974 Depth=2
	v_lshlrev_b32_e32 v2, 2, v128
	ds_load_b32 v2, v2
	ds_load_b64 v[39:40], v36 offset:13312
	s_wait_dscnt 0x1
	v_add_nc_u32_e32 v2, v2, v52
	s_delay_alu instid0(VALU_DEP_1) | instskip(NEXT) | instid1(VALU_DEP_1)
	v_lshlrev_b64_e32 v[41:42], 3, v[2:3]
	v_add_co_u32 v41, vcc_lo, s46, v41
	s_wait_alu 0xfffd
	s_delay_alu instid0(VALU_DEP_2)
	v_add_co_ci_u32_e64 v42, null, s47, v42, vcc_lo
	s_wait_dscnt 0x0
	global_store_b64 v[41:42], v[39:40], off
	s_wait_alu 0xfffe
	s_or_b32 exec_lo, exec_lo, s15
	s_and_saveexec_b32 s15, s21
	s_cbranch_execz .LBB606_1110
.LBB606_1174:                           ;   in Loop: Header=BB606_974 Depth=2
	v_lshlrev_b32_e32 v2, 2, v127
	ds_load_b32 v2, v2
	ds_load_b64 v[39:40], v36 offset:15360
	s_wait_dscnt 0x1
	v_add_nc_u32_e32 v2, v2, v53
	s_delay_alu instid0(VALU_DEP_1) | instskip(NEXT) | instid1(VALU_DEP_1)
	v_lshlrev_b64_e32 v[41:42], 3, v[2:3]
	v_add_co_u32 v41, vcc_lo, s46, v41
	s_wait_alu 0xfffd
	s_delay_alu instid0(VALU_DEP_2)
	v_add_co_ci_u32_e64 v42, null, s47, v42, vcc_lo
	s_wait_dscnt 0x0
	global_store_b64 v[41:42], v[39:40], off
	s_wait_alu 0xfffe
	s_or_b32 exec_lo, exec_lo, s15
	s_and_saveexec_b32 s15, s22
	s_cbranch_execz .LBB606_1111
.LBB606_1175:                           ;   in Loop: Header=BB606_974 Depth=2
	v_lshlrev_b32_e32 v2, 2, v126
	ds_load_b32 v2, v2
	ds_load_b64 v[39:40], v36 offset:17408
	s_wait_dscnt 0x1
	v_add_nc_u32_e32 v2, v2, v54
	s_delay_alu instid0(VALU_DEP_1) | instskip(NEXT) | instid1(VALU_DEP_1)
	v_lshlrev_b64_e32 v[41:42], 3, v[2:3]
	v_add_co_u32 v41, vcc_lo, s46, v41
	s_wait_alu 0xfffd
	s_delay_alu instid0(VALU_DEP_2)
	v_add_co_ci_u32_e64 v42, null, s47, v42, vcc_lo
	s_wait_dscnt 0x0
	global_store_b64 v[41:42], v[39:40], off
	s_wait_alu 0xfffe
	s_or_b32 exec_lo, exec_lo, s15
	s_and_saveexec_b32 s15, s23
	s_cbranch_execz .LBB606_1112
.LBB606_1176:                           ;   in Loop: Header=BB606_974 Depth=2
	v_lshlrev_b32_e32 v2, 2, v125
	ds_load_b32 v2, v2
	ds_load_b64 v[39:40], v36 offset:19456
	s_wait_dscnt 0x1
	v_add_nc_u32_e32 v2, v2, v55
	s_delay_alu instid0(VALU_DEP_1) | instskip(NEXT) | instid1(VALU_DEP_1)
	v_lshlrev_b64_e32 v[41:42], 3, v[2:3]
	v_add_co_u32 v41, vcc_lo, s46, v41
	s_wait_alu 0xfffd
	s_delay_alu instid0(VALU_DEP_2)
	v_add_co_ci_u32_e64 v42, null, s47, v42, vcc_lo
	s_wait_dscnt 0x0
	global_store_b64 v[41:42], v[39:40], off
	s_wait_alu 0xfffe
	s_or_b32 exec_lo, exec_lo, s15
	s_and_saveexec_b32 s15, s24
	s_cbranch_execz .LBB606_1113
.LBB606_1177:                           ;   in Loop: Header=BB606_974 Depth=2
	v_lshlrev_b32_e32 v2, 2, v124
	ds_load_b32 v2, v2
	ds_load_b64 v[39:40], v36 offset:21504
	s_wait_dscnt 0x1
	v_add_nc_u32_e32 v2, v2, v56
	s_delay_alu instid0(VALU_DEP_1) | instskip(NEXT) | instid1(VALU_DEP_1)
	v_lshlrev_b64_e32 v[41:42], 3, v[2:3]
	v_add_co_u32 v41, vcc_lo, s46, v41
	s_wait_alu 0xfffd
	s_delay_alu instid0(VALU_DEP_2)
	v_add_co_ci_u32_e64 v42, null, s47, v42, vcc_lo
	s_wait_dscnt 0x0
	global_store_b64 v[41:42], v[39:40], off
	s_wait_alu 0xfffe
	s_or_b32 exec_lo, exec_lo, s15
	s_and_saveexec_b32 s15, s25
	s_cbranch_execz .LBB606_1114
.LBB606_1178:                           ;   in Loop: Header=BB606_974 Depth=2
	v_lshlrev_b32_e32 v2, 2, v123
	ds_load_b32 v2, v2
	ds_load_b64 v[39:40], v36 offset:23552
	s_wait_dscnt 0x1
	v_add_nc_u32_e32 v2, v2, v57
	s_delay_alu instid0(VALU_DEP_1) | instskip(NEXT) | instid1(VALU_DEP_1)
	v_lshlrev_b64_e32 v[41:42], 3, v[2:3]
	v_add_co_u32 v41, vcc_lo, s46, v41
	s_wait_alu 0xfffd
	s_delay_alu instid0(VALU_DEP_2)
	v_add_co_ci_u32_e64 v42, null, s47, v42, vcc_lo
	s_wait_dscnt 0x0
	global_store_b64 v[41:42], v[39:40], off
	s_wait_alu 0xfffe
	s_or_b32 exec_lo, exec_lo, s15
	s_and_saveexec_b32 s15, s26
	s_cbranch_execz .LBB606_1115
.LBB606_1179:                           ;   in Loop: Header=BB606_974 Depth=2
	v_lshlrev_b32_e32 v2, 2, v122
	ds_load_b32 v2, v2
	ds_load_b64 v[39:40], v36 offset:25600
	s_wait_dscnt 0x1
	v_add_nc_u32_e32 v2, v2, v58
	s_delay_alu instid0(VALU_DEP_1) | instskip(NEXT) | instid1(VALU_DEP_1)
	v_lshlrev_b64_e32 v[41:42], 3, v[2:3]
	v_add_co_u32 v41, vcc_lo, s46, v41
	s_wait_alu 0xfffd
	s_delay_alu instid0(VALU_DEP_2)
	v_add_co_ci_u32_e64 v42, null, s47, v42, vcc_lo
	s_wait_dscnt 0x0
	global_store_b64 v[41:42], v[39:40], off
	s_wait_alu 0xfffe
	s_or_b32 exec_lo, exec_lo, s15
	s_and_saveexec_b32 s15, s27
	s_cbranch_execz .LBB606_1116
.LBB606_1180:                           ;   in Loop: Header=BB606_974 Depth=2
	v_lshlrev_b32_e32 v2, 2, v121
	ds_load_b32 v2, v2
	ds_load_b64 v[39:40], v36 offset:27648
	s_wait_dscnt 0x1
	v_add_nc_u32_e32 v2, v2, v59
	s_delay_alu instid0(VALU_DEP_1) | instskip(NEXT) | instid1(VALU_DEP_1)
	v_lshlrev_b64_e32 v[41:42], 3, v[2:3]
	v_add_co_u32 v41, vcc_lo, s46, v41
	s_wait_alu 0xfffd
	s_delay_alu instid0(VALU_DEP_2)
	v_add_co_ci_u32_e64 v42, null, s47, v42, vcc_lo
	s_wait_dscnt 0x0
	global_store_b64 v[41:42], v[39:40], off
	s_wait_alu 0xfffe
	s_or_b32 exec_lo, exec_lo, s15
	s_and_saveexec_b32 s15, s28
	s_cbranch_execz .LBB606_1117
.LBB606_1181:                           ;   in Loop: Header=BB606_974 Depth=2
	v_lshlrev_b32_e32 v2, 2, v120
	ds_load_b32 v2, v2
	ds_load_b64 v[39:40], v36 offset:29696
	s_wait_dscnt 0x1
	v_add_nc_u32_e32 v2, v2, v60
	s_delay_alu instid0(VALU_DEP_1) | instskip(NEXT) | instid1(VALU_DEP_1)
	v_lshlrev_b64_e32 v[41:42], 3, v[2:3]
	v_add_co_u32 v41, vcc_lo, s46, v41
	s_wait_alu 0xfffd
	s_delay_alu instid0(VALU_DEP_2)
	v_add_co_ci_u32_e64 v42, null, s47, v42, vcc_lo
	s_wait_dscnt 0x0
	global_store_b64 v[41:42], v[39:40], off
	s_wait_alu 0xfffe
	s_or_b32 exec_lo, exec_lo, s15
	s_and_saveexec_b32 s15, s29
	s_cbranch_execnz .LBB606_1118
	s_branch .LBB606_1119
.LBB606_1182:
	s_endpgm
	.section	.rodata,"a",@progbits
	.p2align	6, 0x0
	.amdhsa_kernel _ZN7rocprim17ROCPRIM_400000_NS6detail17trampoline_kernelINS0_14default_configENS1_36segmented_radix_sort_config_selectorIilEEZNS1_25segmented_radix_sort_implIS3_Lb0EPKiPiPKlPlN2at6native12_GLOBAL__N_18offset_tEEE10hipError_tPvRmT1_PNSt15iterator_traitsISK_E10value_typeET2_T3_PNSL_ISQ_E10value_typeET4_jRbjT5_SW_jjP12ihipStream_tbEUlT_E_NS1_11comp_targetILNS1_3genE10ELNS1_11target_archE1201ELNS1_3gpuE5ELNS1_3repE0EEENS1_30default_config_static_selectorELNS0_4arch9wavefront6targetE0EEEvSK_
		.amdhsa_group_segment_fixed_size 33824
		.amdhsa_private_segment_fixed_size 100
		.amdhsa_kernarg_size 352
		.amdhsa_user_sgpr_count 2
		.amdhsa_user_sgpr_dispatch_ptr 0
		.amdhsa_user_sgpr_queue_ptr 0
		.amdhsa_user_sgpr_kernarg_segment_ptr 1
		.amdhsa_user_sgpr_dispatch_id 0
		.amdhsa_user_sgpr_private_segment_size 0
		.amdhsa_wavefront_size32 1
		.amdhsa_uses_dynamic_stack 0
		.amdhsa_enable_private_segment 1
		.amdhsa_system_sgpr_workgroup_id_x 1
		.amdhsa_system_sgpr_workgroup_id_y 1
		.amdhsa_system_sgpr_workgroup_id_z 0
		.amdhsa_system_sgpr_workgroup_info 0
		.amdhsa_system_vgpr_workitem_id 2
		.amdhsa_next_free_vgpr 248
		.amdhsa_next_free_sgpr 58
		.amdhsa_reserve_vcc 1
		.amdhsa_float_round_mode_32 0
		.amdhsa_float_round_mode_16_64 0
		.amdhsa_float_denorm_mode_32 3
		.amdhsa_float_denorm_mode_16_64 3
		.amdhsa_fp16_overflow 0
		.amdhsa_workgroup_processor_mode 1
		.amdhsa_memory_ordered 1
		.amdhsa_forward_progress 1
		.amdhsa_inst_pref_size 255
		.amdhsa_round_robin_scheduling 0
		.amdhsa_exception_fp_ieee_invalid_op 0
		.amdhsa_exception_fp_denorm_src 0
		.amdhsa_exception_fp_ieee_div_zero 0
		.amdhsa_exception_fp_ieee_overflow 0
		.amdhsa_exception_fp_ieee_underflow 0
		.amdhsa_exception_fp_ieee_inexact 0
		.amdhsa_exception_int_div_zero 0
	.end_amdhsa_kernel
	.section	.text._ZN7rocprim17ROCPRIM_400000_NS6detail17trampoline_kernelINS0_14default_configENS1_36segmented_radix_sort_config_selectorIilEEZNS1_25segmented_radix_sort_implIS3_Lb0EPKiPiPKlPlN2at6native12_GLOBAL__N_18offset_tEEE10hipError_tPvRmT1_PNSt15iterator_traitsISK_E10value_typeET2_T3_PNSL_ISQ_E10value_typeET4_jRbjT5_SW_jjP12ihipStream_tbEUlT_E_NS1_11comp_targetILNS1_3genE10ELNS1_11target_archE1201ELNS1_3gpuE5ELNS1_3repE0EEENS1_30default_config_static_selectorELNS0_4arch9wavefront6targetE0EEEvSK_,"axG",@progbits,_ZN7rocprim17ROCPRIM_400000_NS6detail17trampoline_kernelINS0_14default_configENS1_36segmented_radix_sort_config_selectorIilEEZNS1_25segmented_radix_sort_implIS3_Lb0EPKiPiPKlPlN2at6native12_GLOBAL__N_18offset_tEEE10hipError_tPvRmT1_PNSt15iterator_traitsISK_E10value_typeET2_T3_PNSL_ISQ_E10value_typeET4_jRbjT5_SW_jjP12ihipStream_tbEUlT_E_NS1_11comp_targetILNS1_3genE10ELNS1_11target_archE1201ELNS1_3gpuE5ELNS1_3repE0EEENS1_30default_config_static_selectorELNS0_4arch9wavefront6targetE0EEEvSK_,comdat
.Lfunc_end606:
	.size	_ZN7rocprim17ROCPRIM_400000_NS6detail17trampoline_kernelINS0_14default_configENS1_36segmented_radix_sort_config_selectorIilEEZNS1_25segmented_radix_sort_implIS3_Lb0EPKiPiPKlPlN2at6native12_GLOBAL__N_18offset_tEEE10hipError_tPvRmT1_PNSt15iterator_traitsISK_E10value_typeET2_T3_PNSL_ISQ_E10value_typeET4_jRbjT5_SW_jjP12ihipStream_tbEUlT_E_NS1_11comp_targetILNS1_3genE10ELNS1_11target_archE1201ELNS1_3gpuE5ELNS1_3repE0EEENS1_30default_config_static_selectorELNS0_4arch9wavefront6targetE0EEEvSK_, .Lfunc_end606-_ZN7rocprim17ROCPRIM_400000_NS6detail17trampoline_kernelINS0_14default_configENS1_36segmented_radix_sort_config_selectorIilEEZNS1_25segmented_radix_sort_implIS3_Lb0EPKiPiPKlPlN2at6native12_GLOBAL__N_18offset_tEEE10hipError_tPvRmT1_PNSt15iterator_traitsISK_E10value_typeET2_T3_PNSL_ISQ_E10value_typeET4_jRbjT5_SW_jjP12ihipStream_tbEUlT_E_NS1_11comp_targetILNS1_3genE10ELNS1_11target_archE1201ELNS1_3gpuE5ELNS1_3repE0EEENS1_30default_config_static_selectorELNS0_4arch9wavefront6targetE0EEEvSK_
                                        ; -- End function
	.set _ZN7rocprim17ROCPRIM_400000_NS6detail17trampoline_kernelINS0_14default_configENS1_36segmented_radix_sort_config_selectorIilEEZNS1_25segmented_radix_sort_implIS3_Lb0EPKiPiPKlPlN2at6native12_GLOBAL__N_18offset_tEEE10hipError_tPvRmT1_PNSt15iterator_traitsISK_E10value_typeET2_T3_PNSL_ISQ_E10value_typeET4_jRbjT5_SW_jjP12ihipStream_tbEUlT_E_NS1_11comp_targetILNS1_3genE10ELNS1_11target_archE1201ELNS1_3gpuE5ELNS1_3repE0EEENS1_30default_config_static_selectorELNS0_4arch9wavefront6targetE0EEEvSK_.num_vgpr, max(205, .L_ZN7rocprim17ROCPRIM_400000_NS6detail40segmented_radix_sort_single_block_helperIilLj256ELj16ELb0EE4sortIPKiPiPKlPlEEbT_T0_T1_T2_jjjjRNS3_12storage_typeE.num_vgpr)
	.set _ZN7rocprim17ROCPRIM_400000_NS6detail17trampoline_kernelINS0_14default_configENS1_36segmented_radix_sort_config_selectorIilEEZNS1_25segmented_radix_sort_implIS3_Lb0EPKiPiPKlPlN2at6native12_GLOBAL__N_18offset_tEEE10hipError_tPvRmT1_PNSt15iterator_traitsISK_E10value_typeET2_T3_PNSL_ISQ_E10value_typeET4_jRbjT5_SW_jjP12ihipStream_tbEUlT_E_NS1_11comp_targetILNS1_3genE10ELNS1_11target_archE1201ELNS1_3gpuE5ELNS1_3repE0EEENS1_30default_config_static_selectorELNS0_4arch9wavefront6targetE0EEEvSK_.num_agpr, max(0, .L_ZN7rocprim17ROCPRIM_400000_NS6detail40segmented_radix_sort_single_block_helperIilLj256ELj16ELb0EE4sortIPKiPiPKlPlEEbT_T0_T1_T2_jjjjRNS3_12storage_typeE.num_agpr)
	.set _ZN7rocprim17ROCPRIM_400000_NS6detail17trampoline_kernelINS0_14default_configENS1_36segmented_radix_sort_config_selectorIilEEZNS1_25segmented_radix_sort_implIS3_Lb0EPKiPiPKlPlN2at6native12_GLOBAL__N_18offset_tEEE10hipError_tPvRmT1_PNSt15iterator_traitsISK_E10value_typeET2_T3_PNSL_ISQ_E10value_typeET4_jRbjT5_SW_jjP12ihipStream_tbEUlT_E_NS1_11comp_targetILNS1_3genE10ELNS1_11target_archE1201ELNS1_3gpuE5ELNS1_3repE0EEENS1_30default_config_static_selectorELNS0_4arch9wavefront6targetE0EEEvSK_.numbered_sgpr, max(58, .L_ZN7rocprim17ROCPRIM_400000_NS6detail40segmented_radix_sort_single_block_helperIilLj256ELj16ELb0EE4sortIPKiPiPKlPlEEbT_T0_T1_T2_jjjjRNS3_12storage_typeE.numbered_sgpr)
	.set _ZN7rocprim17ROCPRIM_400000_NS6detail17trampoline_kernelINS0_14default_configENS1_36segmented_radix_sort_config_selectorIilEEZNS1_25segmented_radix_sort_implIS3_Lb0EPKiPiPKlPlN2at6native12_GLOBAL__N_18offset_tEEE10hipError_tPvRmT1_PNSt15iterator_traitsISK_E10value_typeET2_T3_PNSL_ISQ_E10value_typeET4_jRbjT5_SW_jjP12ihipStream_tbEUlT_E_NS1_11comp_targetILNS1_3genE10ELNS1_11target_archE1201ELNS1_3gpuE5ELNS1_3repE0EEENS1_30default_config_static_selectorELNS0_4arch9wavefront6targetE0EEEvSK_.num_named_barrier, max(0, .L_ZN7rocprim17ROCPRIM_400000_NS6detail40segmented_radix_sort_single_block_helperIilLj256ELj16ELb0EE4sortIPKiPiPKlPlEEbT_T0_T1_T2_jjjjRNS3_12storage_typeE.num_named_barrier)
	.set _ZN7rocprim17ROCPRIM_400000_NS6detail17trampoline_kernelINS0_14default_configENS1_36segmented_radix_sort_config_selectorIilEEZNS1_25segmented_radix_sort_implIS3_Lb0EPKiPiPKlPlN2at6native12_GLOBAL__N_18offset_tEEE10hipError_tPvRmT1_PNSt15iterator_traitsISK_E10value_typeET2_T3_PNSL_ISQ_E10value_typeET4_jRbjT5_SW_jjP12ihipStream_tbEUlT_E_NS1_11comp_targetILNS1_3genE10ELNS1_11target_archE1201ELNS1_3gpuE5ELNS1_3repE0EEENS1_30default_config_static_selectorELNS0_4arch9wavefront6targetE0EEEvSK_.private_seg_size, 0+max(.L_ZN7rocprim17ROCPRIM_400000_NS6detail40segmented_radix_sort_single_block_helperIilLj256ELj16ELb0EE4sortIPKiPiPKlPlEEbT_T0_T1_T2_jjjjRNS3_12storage_typeE.private_seg_size)
	.set _ZN7rocprim17ROCPRIM_400000_NS6detail17trampoline_kernelINS0_14default_configENS1_36segmented_radix_sort_config_selectorIilEEZNS1_25segmented_radix_sort_implIS3_Lb0EPKiPiPKlPlN2at6native12_GLOBAL__N_18offset_tEEE10hipError_tPvRmT1_PNSt15iterator_traitsISK_E10value_typeET2_T3_PNSL_ISQ_E10value_typeET4_jRbjT5_SW_jjP12ihipStream_tbEUlT_E_NS1_11comp_targetILNS1_3genE10ELNS1_11target_archE1201ELNS1_3gpuE5ELNS1_3repE0EEENS1_30default_config_static_selectorELNS0_4arch9wavefront6targetE0EEEvSK_.uses_vcc, or(1, .L_ZN7rocprim17ROCPRIM_400000_NS6detail40segmented_radix_sort_single_block_helperIilLj256ELj16ELb0EE4sortIPKiPiPKlPlEEbT_T0_T1_T2_jjjjRNS3_12storage_typeE.uses_vcc)
	.set _ZN7rocprim17ROCPRIM_400000_NS6detail17trampoline_kernelINS0_14default_configENS1_36segmented_radix_sort_config_selectorIilEEZNS1_25segmented_radix_sort_implIS3_Lb0EPKiPiPKlPlN2at6native12_GLOBAL__N_18offset_tEEE10hipError_tPvRmT1_PNSt15iterator_traitsISK_E10value_typeET2_T3_PNSL_ISQ_E10value_typeET4_jRbjT5_SW_jjP12ihipStream_tbEUlT_E_NS1_11comp_targetILNS1_3genE10ELNS1_11target_archE1201ELNS1_3gpuE5ELNS1_3repE0EEENS1_30default_config_static_selectorELNS0_4arch9wavefront6targetE0EEEvSK_.uses_flat_scratch, or(0, .L_ZN7rocprim17ROCPRIM_400000_NS6detail40segmented_radix_sort_single_block_helperIilLj256ELj16ELb0EE4sortIPKiPiPKlPlEEbT_T0_T1_T2_jjjjRNS3_12storage_typeE.uses_flat_scratch)
	.set _ZN7rocprim17ROCPRIM_400000_NS6detail17trampoline_kernelINS0_14default_configENS1_36segmented_radix_sort_config_selectorIilEEZNS1_25segmented_radix_sort_implIS3_Lb0EPKiPiPKlPlN2at6native12_GLOBAL__N_18offset_tEEE10hipError_tPvRmT1_PNSt15iterator_traitsISK_E10value_typeET2_T3_PNSL_ISQ_E10value_typeET4_jRbjT5_SW_jjP12ihipStream_tbEUlT_E_NS1_11comp_targetILNS1_3genE10ELNS1_11target_archE1201ELNS1_3gpuE5ELNS1_3repE0EEENS1_30default_config_static_selectorELNS0_4arch9wavefront6targetE0EEEvSK_.has_dyn_sized_stack, or(0, .L_ZN7rocprim17ROCPRIM_400000_NS6detail40segmented_radix_sort_single_block_helperIilLj256ELj16ELb0EE4sortIPKiPiPKlPlEEbT_T0_T1_T2_jjjjRNS3_12storage_typeE.has_dyn_sized_stack)
	.set _ZN7rocprim17ROCPRIM_400000_NS6detail17trampoline_kernelINS0_14default_configENS1_36segmented_radix_sort_config_selectorIilEEZNS1_25segmented_radix_sort_implIS3_Lb0EPKiPiPKlPlN2at6native12_GLOBAL__N_18offset_tEEE10hipError_tPvRmT1_PNSt15iterator_traitsISK_E10value_typeET2_T3_PNSL_ISQ_E10value_typeET4_jRbjT5_SW_jjP12ihipStream_tbEUlT_E_NS1_11comp_targetILNS1_3genE10ELNS1_11target_archE1201ELNS1_3gpuE5ELNS1_3repE0EEENS1_30default_config_static_selectorELNS0_4arch9wavefront6targetE0EEEvSK_.has_recursion, or(0, .L_ZN7rocprim17ROCPRIM_400000_NS6detail40segmented_radix_sort_single_block_helperIilLj256ELj16ELb0EE4sortIPKiPiPKlPlEEbT_T0_T1_T2_jjjjRNS3_12storage_typeE.has_recursion)
	.set _ZN7rocprim17ROCPRIM_400000_NS6detail17trampoline_kernelINS0_14default_configENS1_36segmented_radix_sort_config_selectorIilEEZNS1_25segmented_radix_sort_implIS3_Lb0EPKiPiPKlPlN2at6native12_GLOBAL__N_18offset_tEEE10hipError_tPvRmT1_PNSt15iterator_traitsISK_E10value_typeET2_T3_PNSL_ISQ_E10value_typeET4_jRbjT5_SW_jjP12ihipStream_tbEUlT_E_NS1_11comp_targetILNS1_3genE10ELNS1_11target_archE1201ELNS1_3gpuE5ELNS1_3repE0EEENS1_30default_config_static_selectorELNS0_4arch9wavefront6targetE0EEEvSK_.has_indirect_call, or(0, .L_ZN7rocprim17ROCPRIM_400000_NS6detail40segmented_radix_sort_single_block_helperIilLj256ELj16ELb0EE4sortIPKiPiPKlPlEEbT_T0_T1_T2_jjjjRNS3_12storage_typeE.has_indirect_call)
	.section	.AMDGPU.csdata,"",@progbits
; Kernel info:
; codeLenInByte = 74568
; TotalNumSgprs: 60
; NumVgprs: 248
; ScratchSize: 100
; MemoryBound: 0
; FloatMode: 240
; IeeeMode: 1
; LDSByteSize: 33824 bytes/workgroup (compile time only)
; SGPRBlocks: 0
; VGPRBlocks: 30
; NumSGPRsForWavesPerEU: 60
; NumVGPRsForWavesPerEU: 248
; Occupancy: 5
; WaveLimiterHint : 1
; COMPUTE_PGM_RSRC2:SCRATCH_EN: 1
; COMPUTE_PGM_RSRC2:USER_SGPR: 2
; COMPUTE_PGM_RSRC2:TRAP_HANDLER: 0
; COMPUTE_PGM_RSRC2:TGID_X_EN: 1
; COMPUTE_PGM_RSRC2:TGID_Y_EN: 1
; COMPUTE_PGM_RSRC2:TGID_Z_EN: 0
; COMPUTE_PGM_RSRC2:TIDIG_COMP_CNT: 2
	.section	.text._ZN7rocprim17ROCPRIM_400000_NS6detail17trampoline_kernelINS0_14default_configENS1_36segmented_radix_sort_config_selectorIilEEZNS1_25segmented_radix_sort_implIS3_Lb0EPKiPiPKlPlN2at6native12_GLOBAL__N_18offset_tEEE10hipError_tPvRmT1_PNSt15iterator_traitsISK_E10value_typeET2_T3_PNSL_ISQ_E10value_typeET4_jRbjT5_SW_jjP12ihipStream_tbEUlT_E_NS1_11comp_targetILNS1_3genE10ELNS1_11target_archE1200ELNS1_3gpuE4ELNS1_3repE0EEENS1_30default_config_static_selectorELNS0_4arch9wavefront6targetE0EEEvSK_,"axG",@progbits,_ZN7rocprim17ROCPRIM_400000_NS6detail17trampoline_kernelINS0_14default_configENS1_36segmented_radix_sort_config_selectorIilEEZNS1_25segmented_radix_sort_implIS3_Lb0EPKiPiPKlPlN2at6native12_GLOBAL__N_18offset_tEEE10hipError_tPvRmT1_PNSt15iterator_traitsISK_E10value_typeET2_T3_PNSL_ISQ_E10value_typeET4_jRbjT5_SW_jjP12ihipStream_tbEUlT_E_NS1_11comp_targetILNS1_3genE10ELNS1_11target_archE1200ELNS1_3gpuE4ELNS1_3repE0EEENS1_30default_config_static_selectorELNS0_4arch9wavefront6targetE0EEEvSK_,comdat
	.globl	_ZN7rocprim17ROCPRIM_400000_NS6detail17trampoline_kernelINS0_14default_configENS1_36segmented_radix_sort_config_selectorIilEEZNS1_25segmented_radix_sort_implIS3_Lb0EPKiPiPKlPlN2at6native12_GLOBAL__N_18offset_tEEE10hipError_tPvRmT1_PNSt15iterator_traitsISK_E10value_typeET2_T3_PNSL_ISQ_E10value_typeET4_jRbjT5_SW_jjP12ihipStream_tbEUlT_E_NS1_11comp_targetILNS1_3genE10ELNS1_11target_archE1200ELNS1_3gpuE4ELNS1_3repE0EEENS1_30default_config_static_selectorELNS0_4arch9wavefront6targetE0EEEvSK_ ; -- Begin function _ZN7rocprim17ROCPRIM_400000_NS6detail17trampoline_kernelINS0_14default_configENS1_36segmented_radix_sort_config_selectorIilEEZNS1_25segmented_radix_sort_implIS3_Lb0EPKiPiPKlPlN2at6native12_GLOBAL__N_18offset_tEEE10hipError_tPvRmT1_PNSt15iterator_traitsISK_E10value_typeET2_T3_PNSL_ISQ_E10value_typeET4_jRbjT5_SW_jjP12ihipStream_tbEUlT_E_NS1_11comp_targetILNS1_3genE10ELNS1_11target_archE1200ELNS1_3gpuE4ELNS1_3repE0EEENS1_30default_config_static_selectorELNS0_4arch9wavefront6targetE0EEEvSK_
	.p2align	8
	.type	_ZN7rocprim17ROCPRIM_400000_NS6detail17trampoline_kernelINS0_14default_configENS1_36segmented_radix_sort_config_selectorIilEEZNS1_25segmented_radix_sort_implIS3_Lb0EPKiPiPKlPlN2at6native12_GLOBAL__N_18offset_tEEE10hipError_tPvRmT1_PNSt15iterator_traitsISK_E10value_typeET2_T3_PNSL_ISQ_E10value_typeET4_jRbjT5_SW_jjP12ihipStream_tbEUlT_E_NS1_11comp_targetILNS1_3genE10ELNS1_11target_archE1200ELNS1_3gpuE4ELNS1_3repE0EEENS1_30default_config_static_selectorELNS0_4arch9wavefront6targetE0EEEvSK_,@function
_ZN7rocprim17ROCPRIM_400000_NS6detail17trampoline_kernelINS0_14default_configENS1_36segmented_radix_sort_config_selectorIilEEZNS1_25segmented_radix_sort_implIS3_Lb0EPKiPiPKlPlN2at6native12_GLOBAL__N_18offset_tEEE10hipError_tPvRmT1_PNSt15iterator_traitsISK_E10value_typeET2_T3_PNSL_ISQ_E10value_typeET4_jRbjT5_SW_jjP12ihipStream_tbEUlT_E_NS1_11comp_targetILNS1_3genE10ELNS1_11target_archE1200ELNS1_3gpuE4ELNS1_3repE0EEENS1_30default_config_static_selectorELNS0_4arch9wavefront6targetE0EEEvSK_: ; @_ZN7rocprim17ROCPRIM_400000_NS6detail17trampoline_kernelINS0_14default_configENS1_36segmented_radix_sort_config_selectorIilEEZNS1_25segmented_radix_sort_implIS3_Lb0EPKiPiPKlPlN2at6native12_GLOBAL__N_18offset_tEEE10hipError_tPvRmT1_PNSt15iterator_traitsISK_E10value_typeET2_T3_PNSL_ISQ_E10value_typeET4_jRbjT5_SW_jjP12ihipStream_tbEUlT_E_NS1_11comp_targetILNS1_3genE10ELNS1_11target_archE1200ELNS1_3gpuE4ELNS1_3repE0EEENS1_30default_config_static_selectorELNS0_4arch9wavefront6targetE0EEEvSK_
; %bb.0:
	.section	.rodata,"a",@progbits
	.p2align	6, 0x0
	.amdhsa_kernel _ZN7rocprim17ROCPRIM_400000_NS6detail17trampoline_kernelINS0_14default_configENS1_36segmented_radix_sort_config_selectorIilEEZNS1_25segmented_radix_sort_implIS3_Lb0EPKiPiPKlPlN2at6native12_GLOBAL__N_18offset_tEEE10hipError_tPvRmT1_PNSt15iterator_traitsISK_E10value_typeET2_T3_PNSL_ISQ_E10value_typeET4_jRbjT5_SW_jjP12ihipStream_tbEUlT_E_NS1_11comp_targetILNS1_3genE10ELNS1_11target_archE1200ELNS1_3gpuE4ELNS1_3repE0EEENS1_30default_config_static_selectorELNS0_4arch9wavefront6targetE0EEEvSK_
		.amdhsa_group_segment_fixed_size 0
		.amdhsa_private_segment_fixed_size 0
		.amdhsa_kernarg_size 96
		.amdhsa_user_sgpr_count 2
		.amdhsa_user_sgpr_dispatch_ptr 0
		.amdhsa_user_sgpr_queue_ptr 0
		.amdhsa_user_sgpr_kernarg_segment_ptr 1
		.amdhsa_user_sgpr_dispatch_id 0
		.amdhsa_user_sgpr_private_segment_size 0
		.amdhsa_wavefront_size32 1
		.amdhsa_uses_dynamic_stack 0
		.amdhsa_enable_private_segment 0
		.amdhsa_system_sgpr_workgroup_id_x 1
		.amdhsa_system_sgpr_workgroup_id_y 0
		.amdhsa_system_sgpr_workgroup_id_z 0
		.amdhsa_system_sgpr_workgroup_info 0
		.amdhsa_system_vgpr_workitem_id 0
		.amdhsa_next_free_vgpr 1
		.amdhsa_next_free_sgpr 1
		.amdhsa_reserve_vcc 0
		.amdhsa_float_round_mode_32 0
		.amdhsa_float_round_mode_16_64 0
		.amdhsa_float_denorm_mode_32 3
		.amdhsa_float_denorm_mode_16_64 3
		.amdhsa_fp16_overflow 0
		.amdhsa_workgroup_processor_mode 1
		.amdhsa_memory_ordered 1
		.amdhsa_forward_progress 1
		.amdhsa_inst_pref_size 0
		.amdhsa_round_robin_scheduling 0
		.amdhsa_exception_fp_ieee_invalid_op 0
		.amdhsa_exception_fp_denorm_src 0
		.amdhsa_exception_fp_ieee_div_zero 0
		.amdhsa_exception_fp_ieee_overflow 0
		.amdhsa_exception_fp_ieee_underflow 0
		.amdhsa_exception_fp_ieee_inexact 0
		.amdhsa_exception_int_div_zero 0
	.end_amdhsa_kernel
	.section	.text._ZN7rocprim17ROCPRIM_400000_NS6detail17trampoline_kernelINS0_14default_configENS1_36segmented_radix_sort_config_selectorIilEEZNS1_25segmented_radix_sort_implIS3_Lb0EPKiPiPKlPlN2at6native12_GLOBAL__N_18offset_tEEE10hipError_tPvRmT1_PNSt15iterator_traitsISK_E10value_typeET2_T3_PNSL_ISQ_E10value_typeET4_jRbjT5_SW_jjP12ihipStream_tbEUlT_E_NS1_11comp_targetILNS1_3genE10ELNS1_11target_archE1200ELNS1_3gpuE4ELNS1_3repE0EEENS1_30default_config_static_selectorELNS0_4arch9wavefront6targetE0EEEvSK_,"axG",@progbits,_ZN7rocprim17ROCPRIM_400000_NS6detail17trampoline_kernelINS0_14default_configENS1_36segmented_radix_sort_config_selectorIilEEZNS1_25segmented_radix_sort_implIS3_Lb0EPKiPiPKlPlN2at6native12_GLOBAL__N_18offset_tEEE10hipError_tPvRmT1_PNSt15iterator_traitsISK_E10value_typeET2_T3_PNSL_ISQ_E10value_typeET4_jRbjT5_SW_jjP12ihipStream_tbEUlT_E_NS1_11comp_targetILNS1_3genE10ELNS1_11target_archE1200ELNS1_3gpuE4ELNS1_3repE0EEENS1_30default_config_static_selectorELNS0_4arch9wavefront6targetE0EEEvSK_,comdat
.Lfunc_end607:
	.size	_ZN7rocprim17ROCPRIM_400000_NS6detail17trampoline_kernelINS0_14default_configENS1_36segmented_radix_sort_config_selectorIilEEZNS1_25segmented_radix_sort_implIS3_Lb0EPKiPiPKlPlN2at6native12_GLOBAL__N_18offset_tEEE10hipError_tPvRmT1_PNSt15iterator_traitsISK_E10value_typeET2_T3_PNSL_ISQ_E10value_typeET4_jRbjT5_SW_jjP12ihipStream_tbEUlT_E_NS1_11comp_targetILNS1_3genE10ELNS1_11target_archE1200ELNS1_3gpuE4ELNS1_3repE0EEENS1_30default_config_static_selectorELNS0_4arch9wavefront6targetE0EEEvSK_, .Lfunc_end607-_ZN7rocprim17ROCPRIM_400000_NS6detail17trampoline_kernelINS0_14default_configENS1_36segmented_radix_sort_config_selectorIilEEZNS1_25segmented_radix_sort_implIS3_Lb0EPKiPiPKlPlN2at6native12_GLOBAL__N_18offset_tEEE10hipError_tPvRmT1_PNSt15iterator_traitsISK_E10value_typeET2_T3_PNSL_ISQ_E10value_typeET4_jRbjT5_SW_jjP12ihipStream_tbEUlT_E_NS1_11comp_targetILNS1_3genE10ELNS1_11target_archE1200ELNS1_3gpuE4ELNS1_3repE0EEENS1_30default_config_static_selectorELNS0_4arch9wavefront6targetE0EEEvSK_
                                        ; -- End function
	.set _ZN7rocprim17ROCPRIM_400000_NS6detail17trampoline_kernelINS0_14default_configENS1_36segmented_radix_sort_config_selectorIilEEZNS1_25segmented_radix_sort_implIS3_Lb0EPKiPiPKlPlN2at6native12_GLOBAL__N_18offset_tEEE10hipError_tPvRmT1_PNSt15iterator_traitsISK_E10value_typeET2_T3_PNSL_ISQ_E10value_typeET4_jRbjT5_SW_jjP12ihipStream_tbEUlT_E_NS1_11comp_targetILNS1_3genE10ELNS1_11target_archE1200ELNS1_3gpuE4ELNS1_3repE0EEENS1_30default_config_static_selectorELNS0_4arch9wavefront6targetE0EEEvSK_.num_vgpr, 0
	.set _ZN7rocprim17ROCPRIM_400000_NS6detail17trampoline_kernelINS0_14default_configENS1_36segmented_radix_sort_config_selectorIilEEZNS1_25segmented_radix_sort_implIS3_Lb0EPKiPiPKlPlN2at6native12_GLOBAL__N_18offset_tEEE10hipError_tPvRmT1_PNSt15iterator_traitsISK_E10value_typeET2_T3_PNSL_ISQ_E10value_typeET4_jRbjT5_SW_jjP12ihipStream_tbEUlT_E_NS1_11comp_targetILNS1_3genE10ELNS1_11target_archE1200ELNS1_3gpuE4ELNS1_3repE0EEENS1_30default_config_static_selectorELNS0_4arch9wavefront6targetE0EEEvSK_.num_agpr, 0
	.set _ZN7rocprim17ROCPRIM_400000_NS6detail17trampoline_kernelINS0_14default_configENS1_36segmented_radix_sort_config_selectorIilEEZNS1_25segmented_radix_sort_implIS3_Lb0EPKiPiPKlPlN2at6native12_GLOBAL__N_18offset_tEEE10hipError_tPvRmT1_PNSt15iterator_traitsISK_E10value_typeET2_T3_PNSL_ISQ_E10value_typeET4_jRbjT5_SW_jjP12ihipStream_tbEUlT_E_NS1_11comp_targetILNS1_3genE10ELNS1_11target_archE1200ELNS1_3gpuE4ELNS1_3repE0EEENS1_30default_config_static_selectorELNS0_4arch9wavefront6targetE0EEEvSK_.numbered_sgpr, 0
	.set _ZN7rocprim17ROCPRIM_400000_NS6detail17trampoline_kernelINS0_14default_configENS1_36segmented_radix_sort_config_selectorIilEEZNS1_25segmented_radix_sort_implIS3_Lb0EPKiPiPKlPlN2at6native12_GLOBAL__N_18offset_tEEE10hipError_tPvRmT1_PNSt15iterator_traitsISK_E10value_typeET2_T3_PNSL_ISQ_E10value_typeET4_jRbjT5_SW_jjP12ihipStream_tbEUlT_E_NS1_11comp_targetILNS1_3genE10ELNS1_11target_archE1200ELNS1_3gpuE4ELNS1_3repE0EEENS1_30default_config_static_selectorELNS0_4arch9wavefront6targetE0EEEvSK_.num_named_barrier, 0
	.set _ZN7rocprim17ROCPRIM_400000_NS6detail17trampoline_kernelINS0_14default_configENS1_36segmented_radix_sort_config_selectorIilEEZNS1_25segmented_radix_sort_implIS3_Lb0EPKiPiPKlPlN2at6native12_GLOBAL__N_18offset_tEEE10hipError_tPvRmT1_PNSt15iterator_traitsISK_E10value_typeET2_T3_PNSL_ISQ_E10value_typeET4_jRbjT5_SW_jjP12ihipStream_tbEUlT_E_NS1_11comp_targetILNS1_3genE10ELNS1_11target_archE1200ELNS1_3gpuE4ELNS1_3repE0EEENS1_30default_config_static_selectorELNS0_4arch9wavefront6targetE0EEEvSK_.private_seg_size, 0
	.set _ZN7rocprim17ROCPRIM_400000_NS6detail17trampoline_kernelINS0_14default_configENS1_36segmented_radix_sort_config_selectorIilEEZNS1_25segmented_radix_sort_implIS3_Lb0EPKiPiPKlPlN2at6native12_GLOBAL__N_18offset_tEEE10hipError_tPvRmT1_PNSt15iterator_traitsISK_E10value_typeET2_T3_PNSL_ISQ_E10value_typeET4_jRbjT5_SW_jjP12ihipStream_tbEUlT_E_NS1_11comp_targetILNS1_3genE10ELNS1_11target_archE1200ELNS1_3gpuE4ELNS1_3repE0EEENS1_30default_config_static_selectorELNS0_4arch9wavefront6targetE0EEEvSK_.uses_vcc, 0
	.set _ZN7rocprim17ROCPRIM_400000_NS6detail17trampoline_kernelINS0_14default_configENS1_36segmented_radix_sort_config_selectorIilEEZNS1_25segmented_radix_sort_implIS3_Lb0EPKiPiPKlPlN2at6native12_GLOBAL__N_18offset_tEEE10hipError_tPvRmT1_PNSt15iterator_traitsISK_E10value_typeET2_T3_PNSL_ISQ_E10value_typeET4_jRbjT5_SW_jjP12ihipStream_tbEUlT_E_NS1_11comp_targetILNS1_3genE10ELNS1_11target_archE1200ELNS1_3gpuE4ELNS1_3repE0EEENS1_30default_config_static_selectorELNS0_4arch9wavefront6targetE0EEEvSK_.uses_flat_scratch, 0
	.set _ZN7rocprim17ROCPRIM_400000_NS6detail17trampoline_kernelINS0_14default_configENS1_36segmented_radix_sort_config_selectorIilEEZNS1_25segmented_radix_sort_implIS3_Lb0EPKiPiPKlPlN2at6native12_GLOBAL__N_18offset_tEEE10hipError_tPvRmT1_PNSt15iterator_traitsISK_E10value_typeET2_T3_PNSL_ISQ_E10value_typeET4_jRbjT5_SW_jjP12ihipStream_tbEUlT_E_NS1_11comp_targetILNS1_3genE10ELNS1_11target_archE1200ELNS1_3gpuE4ELNS1_3repE0EEENS1_30default_config_static_selectorELNS0_4arch9wavefront6targetE0EEEvSK_.has_dyn_sized_stack, 0
	.set _ZN7rocprim17ROCPRIM_400000_NS6detail17trampoline_kernelINS0_14default_configENS1_36segmented_radix_sort_config_selectorIilEEZNS1_25segmented_radix_sort_implIS3_Lb0EPKiPiPKlPlN2at6native12_GLOBAL__N_18offset_tEEE10hipError_tPvRmT1_PNSt15iterator_traitsISK_E10value_typeET2_T3_PNSL_ISQ_E10value_typeET4_jRbjT5_SW_jjP12ihipStream_tbEUlT_E_NS1_11comp_targetILNS1_3genE10ELNS1_11target_archE1200ELNS1_3gpuE4ELNS1_3repE0EEENS1_30default_config_static_selectorELNS0_4arch9wavefront6targetE0EEEvSK_.has_recursion, 0
	.set _ZN7rocprim17ROCPRIM_400000_NS6detail17trampoline_kernelINS0_14default_configENS1_36segmented_radix_sort_config_selectorIilEEZNS1_25segmented_radix_sort_implIS3_Lb0EPKiPiPKlPlN2at6native12_GLOBAL__N_18offset_tEEE10hipError_tPvRmT1_PNSt15iterator_traitsISK_E10value_typeET2_T3_PNSL_ISQ_E10value_typeET4_jRbjT5_SW_jjP12ihipStream_tbEUlT_E_NS1_11comp_targetILNS1_3genE10ELNS1_11target_archE1200ELNS1_3gpuE4ELNS1_3repE0EEENS1_30default_config_static_selectorELNS0_4arch9wavefront6targetE0EEEvSK_.has_indirect_call, 0
	.section	.AMDGPU.csdata,"",@progbits
; Kernel info:
; codeLenInByte = 0
; TotalNumSgprs: 0
; NumVgprs: 0
; ScratchSize: 0
; MemoryBound: 0
; FloatMode: 240
; IeeeMode: 1
; LDSByteSize: 0 bytes/workgroup (compile time only)
; SGPRBlocks: 0
; VGPRBlocks: 0
; NumSGPRsForWavesPerEU: 1
; NumVGPRsForWavesPerEU: 1
; Occupancy: 16
; WaveLimiterHint : 0
; COMPUTE_PGM_RSRC2:SCRATCH_EN: 0
; COMPUTE_PGM_RSRC2:USER_SGPR: 2
; COMPUTE_PGM_RSRC2:TRAP_HANDLER: 0
; COMPUTE_PGM_RSRC2:TGID_X_EN: 1
; COMPUTE_PGM_RSRC2:TGID_Y_EN: 0
; COMPUTE_PGM_RSRC2:TGID_Z_EN: 0
; COMPUTE_PGM_RSRC2:TIDIG_COMP_CNT: 0
	.section	.text._ZN7rocprim17ROCPRIM_400000_NS6detail17trampoline_kernelINS0_14default_configENS1_36segmented_radix_sort_config_selectorIilEEZNS1_25segmented_radix_sort_implIS3_Lb0EPKiPiPKlPlN2at6native12_GLOBAL__N_18offset_tEEE10hipError_tPvRmT1_PNSt15iterator_traitsISK_E10value_typeET2_T3_PNSL_ISQ_E10value_typeET4_jRbjT5_SW_jjP12ihipStream_tbEUlT_E_NS1_11comp_targetILNS1_3genE9ELNS1_11target_archE1100ELNS1_3gpuE3ELNS1_3repE0EEENS1_30default_config_static_selectorELNS0_4arch9wavefront6targetE0EEEvSK_,"axG",@progbits,_ZN7rocprim17ROCPRIM_400000_NS6detail17trampoline_kernelINS0_14default_configENS1_36segmented_radix_sort_config_selectorIilEEZNS1_25segmented_radix_sort_implIS3_Lb0EPKiPiPKlPlN2at6native12_GLOBAL__N_18offset_tEEE10hipError_tPvRmT1_PNSt15iterator_traitsISK_E10value_typeET2_T3_PNSL_ISQ_E10value_typeET4_jRbjT5_SW_jjP12ihipStream_tbEUlT_E_NS1_11comp_targetILNS1_3genE9ELNS1_11target_archE1100ELNS1_3gpuE3ELNS1_3repE0EEENS1_30default_config_static_selectorELNS0_4arch9wavefront6targetE0EEEvSK_,comdat
	.globl	_ZN7rocprim17ROCPRIM_400000_NS6detail17trampoline_kernelINS0_14default_configENS1_36segmented_radix_sort_config_selectorIilEEZNS1_25segmented_radix_sort_implIS3_Lb0EPKiPiPKlPlN2at6native12_GLOBAL__N_18offset_tEEE10hipError_tPvRmT1_PNSt15iterator_traitsISK_E10value_typeET2_T3_PNSL_ISQ_E10value_typeET4_jRbjT5_SW_jjP12ihipStream_tbEUlT_E_NS1_11comp_targetILNS1_3genE9ELNS1_11target_archE1100ELNS1_3gpuE3ELNS1_3repE0EEENS1_30default_config_static_selectorELNS0_4arch9wavefront6targetE0EEEvSK_ ; -- Begin function _ZN7rocprim17ROCPRIM_400000_NS6detail17trampoline_kernelINS0_14default_configENS1_36segmented_radix_sort_config_selectorIilEEZNS1_25segmented_radix_sort_implIS3_Lb0EPKiPiPKlPlN2at6native12_GLOBAL__N_18offset_tEEE10hipError_tPvRmT1_PNSt15iterator_traitsISK_E10value_typeET2_T3_PNSL_ISQ_E10value_typeET4_jRbjT5_SW_jjP12ihipStream_tbEUlT_E_NS1_11comp_targetILNS1_3genE9ELNS1_11target_archE1100ELNS1_3gpuE3ELNS1_3repE0EEENS1_30default_config_static_selectorELNS0_4arch9wavefront6targetE0EEEvSK_
	.p2align	8
	.type	_ZN7rocprim17ROCPRIM_400000_NS6detail17trampoline_kernelINS0_14default_configENS1_36segmented_radix_sort_config_selectorIilEEZNS1_25segmented_radix_sort_implIS3_Lb0EPKiPiPKlPlN2at6native12_GLOBAL__N_18offset_tEEE10hipError_tPvRmT1_PNSt15iterator_traitsISK_E10value_typeET2_T3_PNSL_ISQ_E10value_typeET4_jRbjT5_SW_jjP12ihipStream_tbEUlT_E_NS1_11comp_targetILNS1_3genE9ELNS1_11target_archE1100ELNS1_3gpuE3ELNS1_3repE0EEENS1_30default_config_static_selectorELNS0_4arch9wavefront6targetE0EEEvSK_,@function
_ZN7rocprim17ROCPRIM_400000_NS6detail17trampoline_kernelINS0_14default_configENS1_36segmented_radix_sort_config_selectorIilEEZNS1_25segmented_radix_sort_implIS3_Lb0EPKiPiPKlPlN2at6native12_GLOBAL__N_18offset_tEEE10hipError_tPvRmT1_PNSt15iterator_traitsISK_E10value_typeET2_T3_PNSL_ISQ_E10value_typeET4_jRbjT5_SW_jjP12ihipStream_tbEUlT_E_NS1_11comp_targetILNS1_3genE9ELNS1_11target_archE1100ELNS1_3gpuE3ELNS1_3repE0EEENS1_30default_config_static_selectorELNS0_4arch9wavefront6targetE0EEEvSK_: ; @_ZN7rocprim17ROCPRIM_400000_NS6detail17trampoline_kernelINS0_14default_configENS1_36segmented_radix_sort_config_selectorIilEEZNS1_25segmented_radix_sort_implIS3_Lb0EPKiPiPKlPlN2at6native12_GLOBAL__N_18offset_tEEE10hipError_tPvRmT1_PNSt15iterator_traitsISK_E10value_typeET2_T3_PNSL_ISQ_E10value_typeET4_jRbjT5_SW_jjP12ihipStream_tbEUlT_E_NS1_11comp_targetILNS1_3genE9ELNS1_11target_archE1100ELNS1_3gpuE3ELNS1_3repE0EEENS1_30default_config_static_selectorELNS0_4arch9wavefront6targetE0EEEvSK_
; %bb.0:
	.section	.rodata,"a",@progbits
	.p2align	6, 0x0
	.amdhsa_kernel _ZN7rocprim17ROCPRIM_400000_NS6detail17trampoline_kernelINS0_14default_configENS1_36segmented_radix_sort_config_selectorIilEEZNS1_25segmented_radix_sort_implIS3_Lb0EPKiPiPKlPlN2at6native12_GLOBAL__N_18offset_tEEE10hipError_tPvRmT1_PNSt15iterator_traitsISK_E10value_typeET2_T3_PNSL_ISQ_E10value_typeET4_jRbjT5_SW_jjP12ihipStream_tbEUlT_E_NS1_11comp_targetILNS1_3genE9ELNS1_11target_archE1100ELNS1_3gpuE3ELNS1_3repE0EEENS1_30default_config_static_selectorELNS0_4arch9wavefront6targetE0EEEvSK_
		.amdhsa_group_segment_fixed_size 0
		.amdhsa_private_segment_fixed_size 0
		.amdhsa_kernarg_size 96
		.amdhsa_user_sgpr_count 2
		.amdhsa_user_sgpr_dispatch_ptr 0
		.amdhsa_user_sgpr_queue_ptr 0
		.amdhsa_user_sgpr_kernarg_segment_ptr 1
		.amdhsa_user_sgpr_dispatch_id 0
		.amdhsa_user_sgpr_private_segment_size 0
		.amdhsa_wavefront_size32 1
		.amdhsa_uses_dynamic_stack 0
		.amdhsa_enable_private_segment 0
		.amdhsa_system_sgpr_workgroup_id_x 1
		.amdhsa_system_sgpr_workgroup_id_y 0
		.amdhsa_system_sgpr_workgroup_id_z 0
		.amdhsa_system_sgpr_workgroup_info 0
		.amdhsa_system_vgpr_workitem_id 0
		.amdhsa_next_free_vgpr 1
		.amdhsa_next_free_sgpr 1
		.amdhsa_reserve_vcc 0
		.amdhsa_float_round_mode_32 0
		.amdhsa_float_round_mode_16_64 0
		.amdhsa_float_denorm_mode_32 3
		.amdhsa_float_denorm_mode_16_64 3
		.amdhsa_fp16_overflow 0
		.amdhsa_workgroup_processor_mode 1
		.amdhsa_memory_ordered 1
		.amdhsa_forward_progress 1
		.amdhsa_inst_pref_size 0
		.amdhsa_round_robin_scheduling 0
		.amdhsa_exception_fp_ieee_invalid_op 0
		.amdhsa_exception_fp_denorm_src 0
		.amdhsa_exception_fp_ieee_div_zero 0
		.amdhsa_exception_fp_ieee_overflow 0
		.amdhsa_exception_fp_ieee_underflow 0
		.amdhsa_exception_fp_ieee_inexact 0
		.amdhsa_exception_int_div_zero 0
	.end_amdhsa_kernel
	.section	.text._ZN7rocprim17ROCPRIM_400000_NS6detail17trampoline_kernelINS0_14default_configENS1_36segmented_radix_sort_config_selectorIilEEZNS1_25segmented_radix_sort_implIS3_Lb0EPKiPiPKlPlN2at6native12_GLOBAL__N_18offset_tEEE10hipError_tPvRmT1_PNSt15iterator_traitsISK_E10value_typeET2_T3_PNSL_ISQ_E10value_typeET4_jRbjT5_SW_jjP12ihipStream_tbEUlT_E_NS1_11comp_targetILNS1_3genE9ELNS1_11target_archE1100ELNS1_3gpuE3ELNS1_3repE0EEENS1_30default_config_static_selectorELNS0_4arch9wavefront6targetE0EEEvSK_,"axG",@progbits,_ZN7rocprim17ROCPRIM_400000_NS6detail17trampoline_kernelINS0_14default_configENS1_36segmented_radix_sort_config_selectorIilEEZNS1_25segmented_radix_sort_implIS3_Lb0EPKiPiPKlPlN2at6native12_GLOBAL__N_18offset_tEEE10hipError_tPvRmT1_PNSt15iterator_traitsISK_E10value_typeET2_T3_PNSL_ISQ_E10value_typeET4_jRbjT5_SW_jjP12ihipStream_tbEUlT_E_NS1_11comp_targetILNS1_3genE9ELNS1_11target_archE1100ELNS1_3gpuE3ELNS1_3repE0EEENS1_30default_config_static_selectorELNS0_4arch9wavefront6targetE0EEEvSK_,comdat
.Lfunc_end608:
	.size	_ZN7rocprim17ROCPRIM_400000_NS6detail17trampoline_kernelINS0_14default_configENS1_36segmented_radix_sort_config_selectorIilEEZNS1_25segmented_radix_sort_implIS3_Lb0EPKiPiPKlPlN2at6native12_GLOBAL__N_18offset_tEEE10hipError_tPvRmT1_PNSt15iterator_traitsISK_E10value_typeET2_T3_PNSL_ISQ_E10value_typeET4_jRbjT5_SW_jjP12ihipStream_tbEUlT_E_NS1_11comp_targetILNS1_3genE9ELNS1_11target_archE1100ELNS1_3gpuE3ELNS1_3repE0EEENS1_30default_config_static_selectorELNS0_4arch9wavefront6targetE0EEEvSK_, .Lfunc_end608-_ZN7rocprim17ROCPRIM_400000_NS6detail17trampoline_kernelINS0_14default_configENS1_36segmented_radix_sort_config_selectorIilEEZNS1_25segmented_radix_sort_implIS3_Lb0EPKiPiPKlPlN2at6native12_GLOBAL__N_18offset_tEEE10hipError_tPvRmT1_PNSt15iterator_traitsISK_E10value_typeET2_T3_PNSL_ISQ_E10value_typeET4_jRbjT5_SW_jjP12ihipStream_tbEUlT_E_NS1_11comp_targetILNS1_3genE9ELNS1_11target_archE1100ELNS1_3gpuE3ELNS1_3repE0EEENS1_30default_config_static_selectorELNS0_4arch9wavefront6targetE0EEEvSK_
                                        ; -- End function
	.set _ZN7rocprim17ROCPRIM_400000_NS6detail17trampoline_kernelINS0_14default_configENS1_36segmented_radix_sort_config_selectorIilEEZNS1_25segmented_radix_sort_implIS3_Lb0EPKiPiPKlPlN2at6native12_GLOBAL__N_18offset_tEEE10hipError_tPvRmT1_PNSt15iterator_traitsISK_E10value_typeET2_T3_PNSL_ISQ_E10value_typeET4_jRbjT5_SW_jjP12ihipStream_tbEUlT_E_NS1_11comp_targetILNS1_3genE9ELNS1_11target_archE1100ELNS1_3gpuE3ELNS1_3repE0EEENS1_30default_config_static_selectorELNS0_4arch9wavefront6targetE0EEEvSK_.num_vgpr, 0
	.set _ZN7rocprim17ROCPRIM_400000_NS6detail17trampoline_kernelINS0_14default_configENS1_36segmented_radix_sort_config_selectorIilEEZNS1_25segmented_radix_sort_implIS3_Lb0EPKiPiPKlPlN2at6native12_GLOBAL__N_18offset_tEEE10hipError_tPvRmT1_PNSt15iterator_traitsISK_E10value_typeET2_T3_PNSL_ISQ_E10value_typeET4_jRbjT5_SW_jjP12ihipStream_tbEUlT_E_NS1_11comp_targetILNS1_3genE9ELNS1_11target_archE1100ELNS1_3gpuE3ELNS1_3repE0EEENS1_30default_config_static_selectorELNS0_4arch9wavefront6targetE0EEEvSK_.num_agpr, 0
	.set _ZN7rocprim17ROCPRIM_400000_NS6detail17trampoline_kernelINS0_14default_configENS1_36segmented_radix_sort_config_selectorIilEEZNS1_25segmented_radix_sort_implIS3_Lb0EPKiPiPKlPlN2at6native12_GLOBAL__N_18offset_tEEE10hipError_tPvRmT1_PNSt15iterator_traitsISK_E10value_typeET2_T3_PNSL_ISQ_E10value_typeET4_jRbjT5_SW_jjP12ihipStream_tbEUlT_E_NS1_11comp_targetILNS1_3genE9ELNS1_11target_archE1100ELNS1_3gpuE3ELNS1_3repE0EEENS1_30default_config_static_selectorELNS0_4arch9wavefront6targetE0EEEvSK_.numbered_sgpr, 0
	.set _ZN7rocprim17ROCPRIM_400000_NS6detail17trampoline_kernelINS0_14default_configENS1_36segmented_radix_sort_config_selectorIilEEZNS1_25segmented_radix_sort_implIS3_Lb0EPKiPiPKlPlN2at6native12_GLOBAL__N_18offset_tEEE10hipError_tPvRmT1_PNSt15iterator_traitsISK_E10value_typeET2_T3_PNSL_ISQ_E10value_typeET4_jRbjT5_SW_jjP12ihipStream_tbEUlT_E_NS1_11comp_targetILNS1_3genE9ELNS1_11target_archE1100ELNS1_3gpuE3ELNS1_3repE0EEENS1_30default_config_static_selectorELNS0_4arch9wavefront6targetE0EEEvSK_.num_named_barrier, 0
	.set _ZN7rocprim17ROCPRIM_400000_NS6detail17trampoline_kernelINS0_14default_configENS1_36segmented_radix_sort_config_selectorIilEEZNS1_25segmented_radix_sort_implIS3_Lb0EPKiPiPKlPlN2at6native12_GLOBAL__N_18offset_tEEE10hipError_tPvRmT1_PNSt15iterator_traitsISK_E10value_typeET2_T3_PNSL_ISQ_E10value_typeET4_jRbjT5_SW_jjP12ihipStream_tbEUlT_E_NS1_11comp_targetILNS1_3genE9ELNS1_11target_archE1100ELNS1_3gpuE3ELNS1_3repE0EEENS1_30default_config_static_selectorELNS0_4arch9wavefront6targetE0EEEvSK_.private_seg_size, 0
	.set _ZN7rocprim17ROCPRIM_400000_NS6detail17trampoline_kernelINS0_14default_configENS1_36segmented_radix_sort_config_selectorIilEEZNS1_25segmented_radix_sort_implIS3_Lb0EPKiPiPKlPlN2at6native12_GLOBAL__N_18offset_tEEE10hipError_tPvRmT1_PNSt15iterator_traitsISK_E10value_typeET2_T3_PNSL_ISQ_E10value_typeET4_jRbjT5_SW_jjP12ihipStream_tbEUlT_E_NS1_11comp_targetILNS1_3genE9ELNS1_11target_archE1100ELNS1_3gpuE3ELNS1_3repE0EEENS1_30default_config_static_selectorELNS0_4arch9wavefront6targetE0EEEvSK_.uses_vcc, 0
	.set _ZN7rocprim17ROCPRIM_400000_NS6detail17trampoline_kernelINS0_14default_configENS1_36segmented_radix_sort_config_selectorIilEEZNS1_25segmented_radix_sort_implIS3_Lb0EPKiPiPKlPlN2at6native12_GLOBAL__N_18offset_tEEE10hipError_tPvRmT1_PNSt15iterator_traitsISK_E10value_typeET2_T3_PNSL_ISQ_E10value_typeET4_jRbjT5_SW_jjP12ihipStream_tbEUlT_E_NS1_11comp_targetILNS1_3genE9ELNS1_11target_archE1100ELNS1_3gpuE3ELNS1_3repE0EEENS1_30default_config_static_selectorELNS0_4arch9wavefront6targetE0EEEvSK_.uses_flat_scratch, 0
	.set _ZN7rocprim17ROCPRIM_400000_NS6detail17trampoline_kernelINS0_14default_configENS1_36segmented_radix_sort_config_selectorIilEEZNS1_25segmented_radix_sort_implIS3_Lb0EPKiPiPKlPlN2at6native12_GLOBAL__N_18offset_tEEE10hipError_tPvRmT1_PNSt15iterator_traitsISK_E10value_typeET2_T3_PNSL_ISQ_E10value_typeET4_jRbjT5_SW_jjP12ihipStream_tbEUlT_E_NS1_11comp_targetILNS1_3genE9ELNS1_11target_archE1100ELNS1_3gpuE3ELNS1_3repE0EEENS1_30default_config_static_selectorELNS0_4arch9wavefront6targetE0EEEvSK_.has_dyn_sized_stack, 0
	.set _ZN7rocprim17ROCPRIM_400000_NS6detail17trampoline_kernelINS0_14default_configENS1_36segmented_radix_sort_config_selectorIilEEZNS1_25segmented_radix_sort_implIS3_Lb0EPKiPiPKlPlN2at6native12_GLOBAL__N_18offset_tEEE10hipError_tPvRmT1_PNSt15iterator_traitsISK_E10value_typeET2_T3_PNSL_ISQ_E10value_typeET4_jRbjT5_SW_jjP12ihipStream_tbEUlT_E_NS1_11comp_targetILNS1_3genE9ELNS1_11target_archE1100ELNS1_3gpuE3ELNS1_3repE0EEENS1_30default_config_static_selectorELNS0_4arch9wavefront6targetE0EEEvSK_.has_recursion, 0
	.set _ZN7rocprim17ROCPRIM_400000_NS6detail17trampoline_kernelINS0_14default_configENS1_36segmented_radix_sort_config_selectorIilEEZNS1_25segmented_radix_sort_implIS3_Lb0EPKiPiPKlPlN2at6native12_GLOBAL__N_18offset_tEEE10hipError_tPvRmT1_PNSt15iterator_traitsISK_E10value_typeET2_T3_PNSL_ISQ_E10value_typeET4_jRbjT5_SW_jjP12ihipStream_tbEUlT_E_NS1_11comp_targetILNS1_3genE9ELNS1_11target_archE1100ELNS1_3gpuE3ELNS1_3repE0EEENS1_30default_config_static_selectorELNS0_4arch9wavefront6targetE0EEEvSK_.has_indirect_call, 0
	.section	.AMDGPU.csdata,"",@progbits
; Kernel info:
; codeLenInByte = 0
; TotalNumSgprs: 0
; NumVgprs: 0
; ScratchSize: 0
; MemoryBound: 0
; FloatMode: 240
; IeeeMode: 1
; LDSByteSize: 0 bytes/workgroup (compile time only)
; SGPRBlocks: 0
; VGPRBlocks: 0
; NumSGPRsForWavesPerEU: 1
; NumVGPRsForWavesPerEU: 1
; Occupancy: 16
; WaveLimiterHint : 0
; COMPUTE_PGM_RSRC2:SCRATCH_EN: 0
; COMPUTE_PGM_RSRC2:USER_SGPR: 2
; COMPUTE_PGM_RSRC2:TRAP_HANDLER: 0
; COMPUTE_PGM_RSRC2:TGID_X_EN: 1
; COMPUTE_PGM_RSRC2:TGID_Y_EN: 0
; COMPUTE_PGM_RSRC2:TGID_Z_EN: 0
; COMPUTE_PGM_RSRC2:TIDIG_COMP_CNT: 0
	.section	.text._ZN7rocprim17ROCPRIM_400000_NS6detail17trampoline_kernelINS0_14default_configENS1_36segmented_radix_sort_config_selectorIilEEZNS1_25segmented_radix_sort_implIS3_Lb0EPKiPiPKlPlN2at6native12_GLOBAL__N_18offset_tEEE10hipError_tPvRmT1_PNSt15iterator_traitsISK_E10value_typeET2_T3_PNSL_ISQ_E10value_typeET4_jRbjT5_SW_jjP12ihipStream_tbEUlT_E_NS1_11comp_targetILNS1_3genE8ELNS1_11target_archE1030ELNS1_3gpuE2ELNS1_3repE0EEENS1_30default_config_static_selectorELNS0_4arch9wavefront6targetE0EEEvSK_,"axG",@progbits,_ZN7rocprim17ROCPRIM_400000_NS6detail17trampoline_kernelINS0_14default_configENS1_36segmented_radix_sort_config_selectorIilEEZNS1_25segmented_radix_sort_implIS3_Lb0EPKiPiPKlPlN2at6native12_GLOBAL__N_18offset_tEEE10hipError_tPvRmT1_PNSt15iterator_traitsISK_E10value_typeET2_T3_PNSL_ISQ_E10value_typeET4_jRbjT5_SW_jjP12ihipStream_tbEUlT_E_NS1_11comp_targetILNS1_3genE8ELNS1_11target_archE1030ELNS1_3gpuE2ELNS1_3repE0EEENS1_30default_config_static_selectorELNS0_4arch9wavefront6targetE0EEEvSK_,comdat
	.globl	_ZN7rocprim17ROCPRIM_400000_NS6detail17trampoline_kernelINS0_14default_configENS1_36segmented_radix_sort_config_selectorIilEEZNS1_25segmented_radix_sort_implIS3_Lb0EPKiPiPKlPlN2at6native12_GLOBAL__N_18offset_tEEE10hipError_tPvRmT1_PNSt15iterator_traitsISK_E10value_typeET2_T3_PNSL_ISQ_E10value_typeET4_jRbjT5_SW_jjP12ihipStream_tbEUlT_E_NS1_11comp_targetILNS1_3genE8ELNS1_11target_archE1030ELNS1_3gpuE2ELNS1_3repE0EEENS1_30default_config_static_selectorELNS0_4arch9wavefront6targetE0EEEvSK_ ; -- Begin function _ZN7rocprim17ROCPRIM_400000_NS6detail17trampoline_kernelINS0_14default_configENS1_36segmented_radix_sort_config_selectorIilEEZNS1_25segmented_radix_sort_implIS3_Lb0EPKiPiPKlPlN2at6native12_GLOBAL__N_18offset_tEEE10hipError_tPvRmT1_PNSt15iterator_traitsISK_E10value_typeET2_T3_PNSL_ISQ_E10value_typeET4_jRbjT5_SW_jjP12ihipStream_tbEUlT_E_NS1_11comp_targetILNS1_3genE8ELNS1_11target_archE1030ELNS1_3gpuE2ELNS1_3repE0EEENS1_30default_config_static_selectorELNS0_4arch9wavefront6targetE0EEEvSK_
	.p2align	8
	.type	_ZN7rocprim17ROCPRIM_400000_NS6detail17trampoline_kernelINS0_14default_configENS1_36segmented_radix_sort_config_selectorIilEEZNS1_25segmented_radix_sort_implIS3_Lb0EPKiPiPKlPlN2at6native12_GLOBAL__N_18offset_tEEE10hipError_tPvRmT1_PNSt15iterator_traitsISK_E10value_typeET2_T3_PNSL_ISQ_E10value_typeET4_jRbjT5_SW_jjP12ihipStream_tbEUlT_E_NS1_11comp_targetILNS1_3genE8ELNS1_11target_archE1030ELNS1_3gpuE2ELNS1_3repE0EEENS1_30default_config_static_selectorELNS0_4arch9wavefront6targetE0EEEvSK_,@function
_ZN7rocprim17ROCPRIM_400000_NS6detail17trampoline_kernelINS0_14default_configENS1_36segmented_radix_sort_config_selectorIilEEZNS1_25segmented_radix_sort_implIS3_Lb0EPKiPiPKlPlN2at6native12_GLOBAL__N_18offset_tEEE10hipError_tPvRmT1_PNSt15iterator_traitsISK_E10value_typeET2_T3_PNSL_ISQ_E10value_typeET4_jRbjT5_SW_jjP12ihipStream_tbEUlT_E_NS1_11comp_targetILNS1_3genE8ELNS1_11target_archE1030ELNS1_3gpuE2ELNS1_3repE0EEENS1_30default_config_static_selectorELNS0_4arch9wavefront6targetE0EEEvSK_: ; @_ZN7rocprim17ROCPRIM_400000_NS6detail17trampoline_kernelINS0_14default_configENS1_36segmented_radix_sort_config_selectorIilEEZNS1_25segmented_radix_sort_implIS3_Lb0EPKiPiPKlPlN2at6native12_GLOBAL__N_18offset_tEEE10hipError_tPvRmT1_PNSt15iterator_traitsISK_E10value_typeET2_T3_PNSL_ISQ_E10value_typeET4_jRbjT5_SW_jjP12ihipStream_tbEUlT_E_NS1_11comp_targetILNS1_3genE8ELNS1_11target_archE1030ELNS1_3gpuE2ELNS1_3repE0EEENS1_30default_config_static_selectorELNS0_4arch9wavefront6targetE0EEEvSK_
; %bb.0:
	.section	.rodata,"a",@progbits
	.p2align	6, 0x0
	.amdhsa_kernel _ZN7rocprim17ROCPRIM_400000_NS6detail17trampoline_kernelINS0_14default_configENS1_36segmented_radix_sort_config_selectorIilEEZNS1_25segmented_radix_sort_implIS3_Lb0EPKiPiPKlPlN2at6native12_GLOBAL__N_18offset_tEEE10hipError_tPvRmT1_PNSt15iterator_traitsISK_E10value_typeET2_T3_PNSL_ISQ_E10value_typeET4_jRbjT5_SW_jjP12ihipStream_tbEUlT_E_NS1_11comp_targetILNS1_3genE8ELNS1_11target_archE1030ELNS1_3gpuE2ELNS1_3repE0EEENS1_30default_config_static_selectorELNS0_4arch9wavefront6targetE0EEEvSK_
		.amdhsa_group_segment_fixed_size 0
		.amdhsa_private_segment_fixed_size 0
		.amdhsa_kernarg_size 96
		.amdhsa_user_sgpr_count 2
		.amdhsa_user_sgpr_dispatch_ptr 0
		.amdhsa_user_sgpr_queue_ptr 0
		.amdhsa_user_sgpr_kernarg_segment_ptr 1
		.amdhsa_user_sgpr_dispatch_id 0
		.amdhsa_user_sgpr_private_segment_size 0
		.amdhsa_wavefront_size32 1
		.amdhsa_uses_dynamic_stack 0
		.amdhsa_enable_private_segment 0
		.amdhsa_system_sgpr_workgroup_id_x 1
		.amdhsa_system_sgpr_workgroup_id_y 0
		.amdhsa_system_sgpr_workgroup_id_z 0
		.amdhsa_system_sgpr_workgroup_info 0
		.amdhsa_system_vgpr_workitem_id 0
		.amdhsa_next_free_vgpr 1
		.amdhsa_next_free_sgpr 1
		.amdhsa_reserve_vcc 0
		.amdhsa_float_round_mode_32 0
		.amdhsa_float_round_mode_16_64 0
		.amdhsa_float_denorm_mode_32 3
		.amdhsa_float_denorm_mode_16_64 3
		.amdhsa_fp16_overflow 0
		.amdhsa_workgroup_processor_mode 1
		.amdhsa_memory_ordered 1
		.amdhsa_forward_progress 1
		.amdhsa_inst_pref_size 0
		.amdhsa_round_robin_scheduling 0
		.amdhsa_exception_fp_ieee_invalid_op 0
		.amdhsa_exception_fp_denorm_src 0
		.amdhsa_exception_fp_ieee_div_zero 0
		.amdhsa_exception_fp_ieee_overflow 0
		.amdhsa_exception_fp_ieee_underflow 0
		.amdhsa_exception_fp_ieee_inexact 0
		.amdhsa_exception_int_div_zero 0
	.end_amdhsa_kernel
	.section	.text._ZN7rocprim17ROCPRIM_400000_NS6detail17trampoline_kernelINS0_14default_configENS1_36segmented_radix_sort_config_selectorIilEEZNS1_25segmented_radix_sort_implIS3_Lb0EPKiPiPKlPlN2at6native12_GLOBAL__N_18offset_tEEE10hipError_tPvRmT1_PNSt15iterator_traitsISK_E10value_typeET2_T3_PNSL_ISQ_E10value_typeET4_jRbjT5_SW_jjP12ihipStream_tbEUlT_E_NS1_11comp_targetILNS1_3genE8ELNS1_11target_archE1030ELNS1_3gpuE2ELNS1_3repE0EEENS1_30default_config_static_selectorELNS0_4arch9wavefront6targetE0EEEvSK_,"axG",@progbits,_ZN7rocprim17ROCPRIM_400000_NS6detail17trampoline_kernelINS0_14default_configENS1_36segmented_radix_sort_config_selectorIilEEZNS1_25segmented_radix_sort_implIS3_Lb0EPKiPiPKlPlN2at6native12_GLOBAL__N_18offset_tEEE10hipError_tPvRmT1_PNSt15iterator_traitsISK_E10value_typeET2_T3_PNSL_ISQ_E10value_typeET4_jRbjT5_SW_jjP12ihipStream_tbEUlT_E_NS1_11comp_targetILNS1_3genE8ELNS1_11target_archE1030ELNS1_3gpuE2ELNS1_3repE0EEENS1_30default_config_static_selectorELNS0_4arch9wavefront6targetE0EEEvSK_,comdat
.Lfunc_end609:
	.size	_ZN7rocprim17ROCPRIM_400000_NS6detail17trampoline_kernelINS0_14default_configENS1_36segmented_radix_sort_config_selectorIilEEZNS1_25segmented_radix_sort_implIS3_Lb0EPKiPiPKlPlN2at6native12_GLOBAL__N_18offset_tEEE10hipError_tPvRmT1_PNSt15iterator_traitsISK_E10value_typeET2_T3_PNSL_ISQ_E10value_typeET4_jRbjT5_SW_jjP12ihipStream_tbEUlT_E_NS1_11comp_targetILNS1_3genE8ELNS1_11target_archE1030ELNS1_3gpuE2ELNS1_3repE0EEENS1_30default_config_static_selectorELNS0_4arch9wavefront6targetE0EEEvSK_, .Lfunc_end609-_ZN7rocprim17ROCPRIM_400000_NS6detail17trampoline_kernelINS0_14default_configENS1_36segmented_radix_sort_config_selectorIilEEZNS1_25segmented_radix_sort_implIS3_Lb0EPKiPiPKlPlN2at6native12_GLOBAL__N_18offset_tEEE10hipError_tPvRmT1_PNSt15iterator_traitsISK_E10value_typeET2_T3_PNSL_ISQ_E10value_typeET4_jRbjT5_SW_jjP12ihipStream_tbEUlT_E_NS1_11comp_targetILNS1_3genE8ELNS1_11target_archE1030ELNS1_3gpuE2ELNS1_3repE0EEENS1_30default_config_static_selectorELNS0_4arch9wavefront6targetE0EEEvSK_
                                        ; -- End function
	.set _ZN7rocprim17ROCPRIM_400000_NS6detail17trampoline_kernelINS0_14default_configENS1_36segmented_radix_sort_config_selectorIilEEZNS1_25segmented_radix_sort_implIS3_Lb0EPKiPiPKlPlN2at6native12_GLOBAL__N_18offset_tEEE10hipError_tPvRmT1_PNSt15iterator_traitsISK_E10value_typeET2_T3_PNSL_ISQ_E10value_typeET4_jRbjT5_SW_jjP12ihipStream_tbEUlT_E_NS1_11comp_targetILNS1_3genE8ELNS1_11target_archE1030ELNS1_3gpuE2ELNS1_3repE0EEENS1_30default_config_static_selectorELNS0_4arch9wavefront6targetE0EEEvSK_.num_vgpr, 0
	.set _ZN7rocprim17ROCPRIM_400000_NS6detail17trampoline_kernelINS0_14default_configENS1_36segmented_radix_sort_config_selectorIilEEZNS1_25segmented_radix_sort_implIS3_Lb0EPKiPiPKlPlN2at6native12_GLOBAL__N_18offset_tEEE10hipError_tPvRmT1_PNSt15iterator_traitsISK_E10value_typeET2_T3_PNSL_ISQ_E10value_typeET4_jRbjT5_SW_jjP12ihipStream_tbEUlT_E_NS1_11comp_targetILNS1_3genE8ELNS1_11target_archE1030ELNS1_3gpuE2ELNS1_3repE0EEENS1_30default_config_static_selectorELNS0_4arch9wavefront6targetE0EEEvSK_.num_agpr, 0
	.set _ZN7rocprim17ROCPRIM_400000_NS6detail17trampoline_kernelINS0_14default_configENS1_36segmented_radix_sort_config_selectorIilEEZNS1_25segmented_radix_sort_implIS3_Lb0EPKiPiPKlPlN2at6native12_GLOBAL__N_18offset_tEEE10hipError_tPvRmT1_PNSt15iterator_traitsISK_E10value_typeET2_T3_PNSL_ISQ_E10value_typeET4_jRbjT5_SW_jjP12ihipStream_tbEUlT_E_NS1_11comp_targetILNS1_3genE8ELNS1_11target_archE1030ELNS1_3gpuE2ELNS1_3repE0EEENS1_30default_config_static_selectorELNS0_4arch9wavefront6targetE0EEEvSK_.numbered_sgpr, 0
	.set _ZN7rocprim17ROCPRIM_400000_NS6detail17trampoline_kernelINS0_14default_configENS1_36segmented_radix_sort_config_selectorIilEEZNS1_25segmented_radix_sort_implIS3_Lb0EPKiPiPKlPlN2at6native12_GLOBAL__N_18offset_tEEE10hipError_tPvRmT1_PNSt15iterator_traitsISK_E10value_typeET2_T3_PNSL_ISQ_E10value_typeET4_jRbjT5_SW_jjP12ihipStream_tbEUlT_E_NS1_11comp_targetILNS1_3genE8ELNS1_11target_archE1030ELNS1_3gpuE2ELNS1_3repE0EEENS1_30default_config_static_selectorELNS0_4arch9wavefront6targetE0EEEvSK_.num_named_barrier, 0
	.set _ZN7rocprim17ROCPRIM_400000_NS6detail17trampoline_kernelINS0_14default_configENS1_36segmented_radix_sort_config_selectorIilEEZNS1_25segmented_radix_sort_implIS3_Lb0EPKiPiPKlPlN2at6native12_GLOBAL__N_18offset_tEEE10hipError_tPvRmT1_PNSt15iterator_traitsISK_E10value_typeET2_T3_PNSL_ISQ_E10value_typeET4_jRbjT5_SW_jjP12ihipStream_tbEUlT_E_NS1_11comp_targetILNS1_3genE8ELNS1_11target_archE1030ELNS1_3gpuE2ELNS1_3repE0EEENS1_30default_config_static_selectorELNS0_4arch9wavefront6targetE0EEEvSK_.private_seg_size, 0
	.set _ZN7rocprim17ROCPRIM_400000_NS6detail17trampoline_kernelINS0_14default_configENS1_36segmented_radix_sort_config_selectorIilEEZNS1_25segmented_radix_sort_implIS3_Lb0EPKiPiPKlPlN2at6native12_GLOBAL__N_18offset_tEEE10hipError_tPvRmT1_PNSt15iterator_traitsISK_E10value_typeET2_T3_PNSL_ISQ_E10value_typeET4_jRbjT5_SW_jjP12ihipStream_tbEUlT_E_NS1_11comp_targetILNS1_3genE8ELNS1_11target_archE1030ELNS1_3gpuE2ELNS1_3repE0EEENS1_30default_config_static_selectorELNS0_4arch9wavefront6targetE0EEEvSK_.uses_vcc, 0
	.set _ZN7rocprim17ROCPRIM_400000_NS6detail17trampoline_kernelINS0_14default_configENS1_36segmented_radix_sort_config_selectorIilEEZNS1_25segmented_radix_sort_implIS3_Lb0EPKiPiPKlPlN2at6native12_GLOBAL__N_18offset_tEEE10hipError_tPvRmT1_PNSt15iterator_traitsISK_E10value_typeET2_T3_PNSL_ISQ_E10value_typeET4_jRbjT5_SW_jjP12ihipStream_tbEUlT_E_NS1_11comp_targetILNS1_3genE8ELNS1_11target_archE1030ELNS1_3gpuE2ELNS1_3repE0EEENS1_30default_config_static_selectorELNS0_4arch9wavefront6targetE0EEEvSK_.uses_flat_scratch, 0
	.set _ZN7rocprim17ROCPRIM_400000_NS6detail17trampoline_kernelINS0_14default_configENS1_36segmented_radix_sort_config_selectorIilEEZNS1_25segmented_radix_sort_implIS3_Lb0EPKiPiPKlPlN2at6native12_GLOBAL__N_18offset_tEEE10hipError_tPvRmT1_PNSt15iterator_traitsISK_E10value_typeET2_T3_PNSL_ISQ_E10value_typeET4_jRbjT5_SW_jjP12ihipStream_tbEUlT_E_NS1_11comp_targetILNS1_3genE8ELNS1_11target_archE1030ELNS1_3gpuE2ELNS1_3repE0EEENS1_30default_config_static_selectorELNS0_4arch9wavefront6targetE0EEEvSK_.has_dyn_sized_stack, 0
	.set _ZN7rocprim17ROCPRIM_400000_NS6detail17trampoline_kernelINS0_14default_configENS1_36segmented_radix_sort_config_selectorIilEEZNS1_25segmented_radix_sort_implIS3_Lb0EPKiPiPKlPlN2at6native12_GLOBAL__N_18offset_tEEE10hipError_tPvRmT1_PNSt15iterator_traitsISK_E10value_typeET2_T3_PNSL_ISQ_E10value_typeET4_jRbjT5_SW_jjP12ihipStream_tbEUlT_E_NS1_11comp_targetILNS1_3genE8ELNS1_11target_archE1030ELNS1_3gpuE2ELNS1_3repE0EEENS1_30default_config_static_selectorELNS0_4arch9wavefront6targetE0EEEvSK_.has_recursion, 0
	.set _ZN7rocprim17ROCPRIM_400000_NS6detail17trampoline_kernelINS0_14default_configENS1_36segmented_radix_sort_config_selectorIilEEZNS1_25segmented_radix_sort_implIS3_Lb0EPKiPiPKlPlN2at6native12_GLOBAL__N_18offset_tEEE10hipError_tPvRmT1_PNSt15iterator_traitsISK_E10value_typeET2_T3_PNSL_ISQ_E10value_typeET4_jRbjT5_SW_jjP12ihipStream_tbEUlT_E_NS1_11comp_targetILNS1_3genE8ELNS1_11target_archE1030ELNS1_3gpuE2ELNS1_3repE0EEENS1_30default_config_static_selectorELNS0_4arch9wavefront6targetE0EEEvSK_.has_indirect_call, 0
	.section	.AMDGPU.csdata,"",@progbits
; Kernel info:
; codeLenInByte = 0
; TotalNumSgprs: 0
; NumVgprs: 0
; ScratchSize: 0
; MemoryBound: 0
; FloatMode: 240
; IeeeMode: 1
; LDSByteSize: 0 bytes/workgroup (compile time only)
; SGPRBlocks: 0
; VGPRBlocks: 0
; NumSGPRsForWavesPerEU: 1
; NumVGPRsForWavesPerEU: 1
; Occupancy: 16
; WaveLimiterHint : 0
; COMPUTE_PGM_RSRC2:SCRATCH_EN: 0
; COMPUTE_PGM_RSRC2:USER_SGPR: 2
; COMPUTE_PGM_RSRC2:TRAP_HANDLER: 0
; COMPUTE_PGM_RSRC2:TGID_X_EN: 1
; COMPUTE_PGM_RSRC2:TGID_Y_EN: 0
; COMPUTE_PGM_RSRC2:TGID_Z_EN: 0
; COMPUTE_PGM_RSRC2:TIDIG_COMP_CNT: 0
	.section	.text._ZN7rocprim17ROCPRIM_400000_NS6detail17trampoline_kernelINS0_14default_configENS1_36segmented_radix_sort_config_selectorIilEEZNS1_25segmented_radix_sort_implIS3_Lb0EPKiPiPKlPlN2at6native12_GLOBAL__N_18offset_tEEE10hipError_tPvRmT1_PNSt15iterator_traitsISK_E10value_typeET2_T3_PNSL_ISQ_E10value_typeET4_jRbjT5_SW_jjP12ihipStream_tbEUlT_E0_NS1_11comp_targetILNS1_3genE0ELNS1_11target_archE4294967295ELNS1_3gpuE0ELNS1_3repE0EEENS1_60segmented_radix_sort_warp_sort_medium_config_static_selectorELNS0_4arch9wavefront6targetE0EEEvSK_,"axG",@progbits,_ZN7rocprim17ROCPRIM_400000_NS6detail17trampoline_kernelINS0_14default_configENS1_36segmented_radix_sort_config_selectorIilEEZNS1_25segmented_radix_sort_implIS3_Lb0EPKiPiPKlPlN2at6native12_GLOBAL__N_18offset_tEEE10hipError_tPvRmT1_PNSt15iterator_traitsISK_E10value_typeET2_T3_PNSL_ISQ_E10value_typeET4_jRbjT5_SW_jjP12ihipStream_tbEUlT_E0_NS1_11comp_targetILNS1_3genE0ELNS1_11target_archE4294967295ELNS1_3gpuE0ELNS1_3repE0EEENS1_60segmented_radix_sort_warp_sort_medium_config_static_selectorELNS0_4arch9wavefront6targetE0EEEvSK_,comdat
	.globl	_ZN7rocprim17ROCPRIM_400000_NS6detail17trampoline_kernelINS0_14default_configENS1_36segmented_radix_sort_config_selectorIilEEZNS1_25segmented_radix_sort_implIS3_Lb0EPKiPiPKlPlN2at6native12_GLOBAL__N_18offset_tEEE10hipError_tPvRmT1_PNSt15iterator_traitsISK_E10value_typeET2_T3_PNSL_ISQ_E10value_typeET4_jRbjT5_SW_jjP12ihipStream_tbEUlT_E0_NS1_11comp_targetILNS1_3genE0ELNS1_11target_archE4294967295ELNS1_3gpuE0ELNS1_3repE0EEENS1_60segmented_radix_sort_warp_sort_medium_config_static_selectorELNS0_4arch9wavefront6targetE0EEEvSK_ ; -- Begin function _ZN7rocprim17ROCPRIM_400000_NS6detail17trampoline_kernelINS0_14default_configENS1_36segmented_radix_sort_config_selectorIilEEZNS1_25segmented_radix_sort_implIS3_Lb0EPKiPiPKlPlN2at6native12_GLOBAL__N_18offset_tEEE10hipError_tPvRmT1_PNSt15iterator_traitsISK_E10value_typeET2_T3_PNSL_ISQ_E10value_typeET4_jRbjT5_SW_jjP12ihipStream_tbEUlT_E0_NS1_11comp_targetILNS1_3genE0ELNS1_11target_archE4294967295ELNS1_3gpuE0ELNS1_3repE0EEENS1_60segmented_radix_sort_warp_sort_medium_config_static_selectorELNS0_4arch9wavefront6targetE0EEEvSK_
	.p2align	8
	.type	_ZN7rocprim17ROCPRIM_400000_NS6detail17trampoline_kernelINS0_14default_configENS1_36segmented_radix_sort_config_selectorIilEEZNS1_25segmented_radix_sort_implIS3_Lb0EPKiPiPKlPlN2at6native12_GLOBAL__N_18offset_tEEE10hipError_tPvRmT1_PNSt15iterator_traitsISK_E10value_typeET2_T3_PNSL_ISQ_E10value_typeET4_jRbjT5_SW_jjP12ihipStream_tbEUlT_E0_NS1_11comp_targetILNS1_3genE0ELNS1_11target_archE4294967295ELNS1_3gpuE0ELNS1_3repE0EEENS1_60segmented_radix_sort_warp_sort_medium_config_static_selectorELNS0_4arch9wavefront6targetE0EEEvSK_,@function
_ZN7rocprim17ROCPRIM_400000_NS6detail17trampoline_kernelINS0_14default_configENS1_36segmented_radix_sort_config_selectorIilEEZNS1_25segmented_radix_sort_implIS3_Lb0EPKiPiPKlPlN2at6native12_GLOBAL__N_18offset_tEEE10hipError_tPvRmT1_PNSt15iterator_traitsISK_E10value_typeET2_T3_PNSL_ISQ_E10value_typeET4_jRbjT5_SW_jjP12ihipStream_tbEUlT_E0_NS1_11comp_targetILNS1_3genE0ELNS1_11target_archE4294967295ELNS1_3gpuE0ELNS1_3repE0EEENS1_60segmented_radix_sort_warp_sort_medium_config_static_selectorELNS0_4arch9wavefront6targetE0EEEvSK_: ; @_ZN7rocprim17ROCPRIM_400000_NS6detail17trampoline_kernelINS0_14default_configENS1_36segmented_radix_sort_config_selectorIilEEZNS1_25segmented_radix_sort_implIS3_Lb0EPKiPiPKlPlN2at6native12_GLOBAL__N_18offset_tEEE10hipError_tPvRmT1_PNSt15iterator_traitsISK_E10value_typeET2_T3_PNSL_ISQ_E10value_typeET4_jRbjT5_SW_jjP12ihipStream_tbEUlT_E0_NS1_11comp_targetILNS1_3genE0ELNS1_11target_archE4294967295ELNS1_3gpuE0ELNS1_3repE0EEENS1_60segmented_radix_sort_warp_sort_medium_config_static_selectorELNS0_4arch9wavefront6targetE0EEEvSK_
; %bb.0:
	.section	.rodata,"a",@progbits
	.p2align	6, 0x0
	.amdhsa_kernel _ZN7rocprim17ROCPRIM_400000_NS6detail17trampoline_kernelINS0_14default_configENS1_36segmented_radix_sort_config_selectorIilEEZNS1_25segmented_radix_sort_implIS3_Lb0EPKiPiPKlPlN2at6native12_GLOBAL__N_18offset_tEEE10hipError_tPvRmT1_PNSt15iterator_traitsISK_E10value_typeET2_T3_PNSL_ISQ_E10value_typeET4_jRbjT5_SW_jjP12ihipStream_tbEUlT_E0_NS1_11comp_targetILNS1_3genE0ELNS1_11target_archE4294967295ELNS1_3gpuE0ELNS1_3repE0EEENS1_60segmented_radix_sort_warp_sort_medium_config_static_selectorELNS0_4arch9wavefront6targetE0EEEvSK_
		.amdhsa_group_segment_fixed_size 0
		.amdhsa_private_segment_fixed_size 0
		.amdhsa_kernarg_size 88
		.amdhsa_user_sgpr_count 2
		.amdhsa_user_sgpr_dispatch_ptr 0
		.amdhsa_user_sgpr_queue_ptr 0
		.amdhsa_user_sgpr_kernarg_segment_ptr 1
		.amdhsa_user_sgpr_dispatch_id 0
		.amdhsa_user_sgpr_private_segment_size 0
		.amdhsa_wavefront_size32 1
		.amdhsa_uses_dynamic_stack 0
		.amdhsa_enable_private_segment 0
		.amdhsa_system_sgpr_workgroup_id_x 1
		.amdhsa_system_sgpr_workgroup_id_y 0
		.amdhsa_system_sgpr_workgroup_id_z 0
		.amdhsa_system_sgpr_workgroup_info 0
		.amdhsa_system_vgpr_workitem_id 0
		.amdhsa_next_free_vgpr 1
		.amdhsa_next_free_sgpr 1
		.amdhsa_reserve_vcc 0
		.amdhsa_float_round_mode_32 0
		.amdhsa_float_round_mode_16_64 0
		.amdhsa_float_denorm_mode_32 3
		.amdhsa_float_denorm_mode_16_64 3
		.amdhsa_fp16_overflow 0
		.amdhsa_workgroup_processor_mode 1
		.amdhsa_memory_ordered 1
		.amdhsa_forward_progress 1
		.amdhsa_inst_pref_size 0
		.amdhsa_round_robin_scheduling 0
		.amdhsa_exception_fp_ieee_invalid_op 0
		.amdhsa_exception_fp_denorm_src 0
		.amdhsa_exception_fp_ieee_div_zero 0
		.amdhsa_exception_fp_ieee_overflow 0
		.amdhsa_exception_fp_ieee_underflow 0
		.amdhsa_exception_fp_ieee_inexact 0
		.amdhsa_exception_int_div_zero 0
	.end_amdhsa_kernel
	.section	.text._ZN7rocprim17ROCPRIM_400000_NS6detail17trampoline_kernelINS0_14default_configENS1_36segmented_radix_sort_config_selectorIilEEZNS1_25segmented_radix_sort_implIS3_Lb0EPKiPiPKlPlN2at6native12_GLOBAL__N_18offset_tEEE10hipError_tPvRmT1_PNSt15iterator_traitsISK_E10value_typeET2_T3_PNSL_ISQ_E10value_typeET4_jRbjT5_SW_jjP12ihipStream_tbEUlT_E0_NS1_11comp_targetILNS1_3genE0ELNS1_11target_archE4294967295ELNS1_3gpuE0ELNS1_3repE0EEENS1_60segmented_radix_sort_warp_sort_medium_config_static_selectorELNS0_4arch9wavefront6targetE0EEEvSK_,"axG",@progbits,_ZN7rocprim17ROCPRIM_400000_NS6detail17trampoline_kernelINS0_14default_configENS1_36segmented_radix_sort_config_selectorIilEEZNS1_25segmented_radix_sort_implIS3_Lb0EPKiPiPKlPlN2at6native12_GLOBAL__N_18offset_tEEE10hipError_tPvRmT1_PNSt15iterator_traitsISK_E10value_typeET2_T3_PNSL_ISQ_E10value_typeET4_jRbjT5_SW_jjP12ihipStream_tbEUlT_E0_NS1_11comp_targetILNS1_3genE0ELNS1_11target_archE4294967295ELNS1_3gpuE0ELNS1_3repE0EEENS1_60segmented_radix_sort_warp_sort_medium_config_static_selectorELNS0_4arch9wavefront6targetE0EEEvSK_,comdat
.Lfunc_end610:
	.size	_ZN7rocprim17ROCPRIM_400000_NS6detail17trampoline_kernelINS0_14default_configENS1_36segmented_radix_sort_config_selectorIilEEZNS1_25segmented_radix_sort_implIS3_Lb0EPKiPiPKlPlN2at6native12_GLOBAL__N_18offset_tEEE10hipError_tPvRmT1_PNSt15iterator_traitsISK_E10value_typeET2_T3_PNSL_ISQ_E10value_typeET4_jRbjT5_SW_jjP12ihipStream_tbEUlT_E0_NS1_11comp_targetILNS1_3genE0ELNS1_11target_archE4294967295ELNS1_3gpuE0ELNS1_3repE0EEENS1_60segmented_radix_sort_warp_sort_medium_config_static_selectorELNS0_4arch9wavefront6targetE0EEEvSK_, .Lfunc_end610-_ZN7rocprim17ROCPRIM_400000_NS6detail17trampoline_kernelINS0_14default_configENS1_36segmented_radix_sort_config_selectorIilEEZNS1_25segmented_radix_sort_implIS3_Lb0EPKiPiPKlPlN2at6native12_GLOBAL__N_18offset_tEEE10hipError_tPvRmT1_PNSt15iterator_traitsISK_E10value_typeET2_T3_PNSL_ISQ_E10value_typeET4_jRbjT5_SW_jjP12ihipStream_tbEUlT_E0_NS1_11comp_targetILNS1_3genE0ELNS1_11target_archE4294967295ELNS1_3gpuE0ELNS1_3repE0EEENS1_60segmented_radix_sort_warp_sort_medium_config_static_selectorELNS0_4arch9wavefront6targetE0EEEvSK_
                                        ; -- End function
	.set _ZN7rocprim17ROCPRIM_400000_NS6detail17trampoline_kernelINS0_14default_configENS1_36segmented_radix_sort_config_selectorIilEEZNS1_25segmented_radix_sort_implIS3_Lb0EPKiPiPKlPlN2at6native12_GLOBAL__N_18offset_tEEE10hipError_tPvRmT1_PNSt15iterator_traitsISK_E10value_typeET2_T3_PNSL_ISQ_E10value_typeET4_jRbjT5_SW_jjP12ihipStream_tbEUlT_E0_NS1_11comp_targetILNS1_3genE0ELNS1_11target_archE4294967295ELNS1_3gpuE0ELNS1_3repE0EEENS1_60segmented_radix_sort_warp_sort_medium_config_static_selectorELNS0_4arch9wavefront6targetE0EEEvSK_.num_vgpr, 0
	.set _ZN7rocprim17ROCPRIM_400000_NS6detail17trampoline_kernelINS0_14default_configENS1_36segmented_radix_sort_config_selectorIilEEZNS1_25segmented_radix_sort_implIS3_Lb0EPKiPiPKlPlN2at6native12_GLOBAL__N_18offset_tEEE10hipError_tPvRmT1_PNSt15iterator_traitsISK_E10value_typeET2_T3_PNSL_ISQ_E10value_typeET4_jRbjT5_SW_jjP12ihipStream_tbEUlT_E0_NS1_11comp_targetILNS1_3genE0ELNS1_11target_archE4294967295ELNS1_3gpuE0ELNS1_3repE0EEENS1_60segmented_radix_sort_warp_sort_medium_config_static_selectorELNS0_4arch9wavefront6targetE0EEEvSK_.num_agpr, 0
	.set _ZN7rocprim17ROCPRIM_400000_NS6detail17trampoline_kernelINS0_14default_configENS1_36segmented_radix_sort_config_selectorIilEEZNS1_25segmented_radix_sort_implIS3_Lb0EPKiPiPKlPlN2at6native12_GLOBAL__N_18offset_tEEE10hipError_tPvRmT1_PNSt15iterator_traitsISK_E10value_typeET2_T3_PNSL_ISQ_E10value_typeET4_jRbjT5_SW_jjP12ihipStream_tbEUlT_E0_NS1_11comp_targetILNS1_3genE0ELNS1_11target_archE4294967295ELNS1_3gpuE0ELNS1_3repE0EEENS1_60segmented_radix_sort_warp_sort_medium_config_static_selectorELNS0_4arch9wavefront6targetE0EEEvSK_.numbered_sgpr, 0
	.set _ZN7rocprim17ROCPRIM_400000_NS6detail17trampoline_kernelINS0_14default_configENS1_36segmented_radix_sort_config_selectorIilEEZNS1_25segmented_radix_sort_implIS3_Lb0EPKiPiPKlPlN2at6native12_GLOBAL__N_18offset_tEEE10hipError_tPvRmT1_PNSt15iterator_traitsISK_E10value_typeET2_T3_PNSL_ISQ_E10value_typeET4_jRbjT5_SW_jjP12ihipStream_tbEUlT_E0_NS1_11comp_targetILNS1_3genE0ELNS1_11target_archE4294967295ELNS1_3gpuE0ELNS1_3repE0EEENS1_60segmented_radix_sort_warp_sort_medium_config_static_selectorELNS0_4arch9wavefront6targetE0EEEvSK_.num_named_barrier, 0
	.set _ZN7rocprim17ROCPRIM_400000_NS6detail17trampoline_kernelINS0_14default_configENS1_36segmented_radix_sort_config_selectorIilEEZNS1_25segmented_radix_sort_implIS3_Lb0EPKiPiPKlPlN2at6native12_GLOBAL__N_18offset_tEEE10hipError_tPvRmT1_PNSt15iterator_traitsISK_E10value_typeET2_T3_PNSL_ISQ_E10value_typeET4_jRbjT5_SW_jjP12ihipStream_tbEUlT_E0_NS1_11comp_targetILNS1_3genE0ELNS1_11target_archE4294967295ELNS1_3gpuE0ELNS1_3repE0EEENS1_60segmented_radix_sort_warp_sort_medium_config_static_selectorELNS0_4arch9wavefront6targetE0EEEvSK_.private_seg_size, 0
	.set _ZN7rocprim17ROCPRIM_400000_NS6detail17trampoline_kernelINS0_14default_configENS1_36segmented_radix_sort_config_selectorIilEEZNS1_25segmented_radix_sort_implIS3_Lb0EPKiPiPKlPlN2at6native12_GLOBAL__N_18offset_tEEE10hipError_tPvRmT1_PNSt15iterator_traitsISK_E10value_typeET2_T3_PNSL_ISQ_E10value_typeET4_jRbjT5_SW_jjP12ihipStream_tbEUlT_E0_NS1_11comp_targetILNS1_3genE0ELNS1_11target_archE4294967295ELNS1_3gpuE0ELNS1_3repE0EEENS1_60segmented_radix_sort_warp_sort_medium_config_static_selectorELNS0_4arch9wavefront6targetE0EEEvSK_.uses_vcc, 0
	.set _ZN7rocprim17ROCPRIM_400000_NS6detail17trampoline_kernelINS0_14default_configENS1_36segmented_radix_sort_config_selectorIilEEZNS1_25segmented_radix_sort_implIS3_Lb0EPKiPiPKlPlN2at6native12_GLOBAL__N_18offset_tEEE10hipError_tPvRmT1_PNSt15iterator_traitsISK_E10value_typeET2_T3_PNSL_ISQ_E10value_typeET4_jRbjT5_SW_jjP12ihipStream_tbEUlT_E0_NS1_11comp_targetILNS1_3genE0ELNS1_11target_archE4294967295ELNS1_3gpuE0ELNS1_3repE0EEENS1_60segmented_radix_sort_warp_sort_medium_config_static_selectorELNS0_4arch9wavefront6targetE0EEEvSK_.uses_flat_scratch, 0
	.set _ZN7rocprim17ROCPRIM_400000_NS6detail17trampoline_kernelINS0_14default_configENS1_36segmented_radix_sort_config_selectorIilEEZNS1_25segmented_radix_sort_implIS3_Lb0EPKiPiPKlPlN2at6native12_GLOBAL__N_18offset_tEEE10hipError_tPvRmT1_PNSt15iterator_traitsISK_E10value_typeET2_T3_PNSL_ISQ_E10value_typeET4_jRbjT5_SW_jjP12ihipStream_tbEUlT_E0_NS1_11comp_targetILNS1_3genE0ELNS1_11target_archE4294967295ELNS1_3gpuE0ELNS1_3repE0EEENS1_60segmented_radix_sort_warp_sort_medium_config_static_selectorELNS0_4arch9wavefront6targetE0EEEvSK_.has_dyn_sized_stack, 0
	.set _ZN7rocprim17ROCPRIM_400000_NS6detail17trampoline_kernelINS0_14default_configENS1_36segmented_radix_sort_config_selectorIilEEZNS1_25segmented_radix_sort_implIS3_Lb0EPKiPiPKlPlN2at6native12_GLOBAL__N_18offset_tEEE10hipError_tPvRmT1_PNSt15iterator_traitsISK_E10value_typeET2_T3_PNSL_ISQ_E10value_typeET4_jRbjT5_SW_jjP12ihipStream_tbEUlT_E0_NS1_11comp_targetILNS1_3genE0ELNS1_11target_archE4294967295ELNS1_3gpuE0ELNS1_3repE0EEENS1_60segmented_radix_sort_warp_sort_medium_config_static_selectorELNS0_4arch9wavefront6targetE0EEEvSK_.has_recursion, 0
	.set _ZN7rocprim17ROCPRIM_400000_NS6detail17trampoline_kernelINS0_14default_configENS1_36segmented_radix_sort_config_selectorIilEEZNS1_25segmented_radix_sort_implIS3_Lb0EPKiPiPKlPlN2at6native12_GLOBAL__N_18offset_tEEE10hipError_tPvRmT1_PNSt15iterator_traitsISK_E10value_typeET2_T3_PNSL_ISQ_E10value_typeET4_jRbjT5_SW_jjP12ihipStream_tbEUlT_E0_NS1_11comp_targetILNS1_3genE0ELNS1_11target_archE4294967295ELNS1_3gpuE0ELNS1_3repE0EEENS1_60segmented_radix_sort_warp_sort_medium_config_static_selectorELNS0_4arch9wavefront6targetE0EEEvSK_.has_indirect_call, 0
	.section	.AMDGPU.csdata,"",@progbits
; Kernel info:
; codeLenInByte = 0
; TotalNumSgprs: 0
; NumVgprs: 0
; ScratchSize: 0
; MemoryBound: 0
; FloatMode: 240
; IeeeMode: 1
; LDSByteSize: 0 bytes/workgroup (compile time only)
; SGPRBlocks: 0
; VGPRBlocks: 0
; NumSGPRsForWavesPerEU: 1
; NumVGPRsForWavesPerEU: 1
; Occupancy: 16
; WaveLimiterHint : 0
; COMPUTE_PGM_RSRC2:SCRATCH_EN: 0
; COMPUTE_PGM_RSRC2:USER_SGPR: 2
; COMPUTE_PGM_RSRC2:TRAP_HANDLER: 0
; COMPUTE_PGM_RSRC2:TGID_X_EN: 1
; COMPUTE_PGM_RSRC2:TGID_Y_EN: 0
; COMPUTE_PGM_RSRC2:TGID_Z_EN: 0
; COMPUTE_PGM_RSRC2:TIDIG_COMP_CNT: 0
	.section	.text._ZN7rocprim17ROCPRIM_400000_NS6detail17trampoline_kernelINS0_14default_configENS1_36segmented_radix_sort_config_selectorIilEEZNS1_25segmented_radix_sort_implIS3_Lb0EPKiPiPKlPlN2at6native12_GLOBAL__N_18offset_tEEE10hipError_tPvRmT1_PNSt15iterator_traitsISK_E10value_typeET2_T3_PNSL_ISQ_E10value_typeET4_jRbjT5_SW_jjP12ihipStream_tbEUlT_E0_NS1_11comp_targetILNS1_3genE5ELNS1_11target_archE942ELNS1_3gpuE9ELNS1_3repE0EEENS1_60segmented_radix_sort_warp_sort_medium_config_static_selectorELNS0_4arch9wavefront6targetE0EEEvSK_,"axG",@progbits,_ZN7rocprim17ROCPRIM_400000_NS6detail17trampoline_kernelINS0_14default_configENS1_36segmented_radix_sort_config_selectorIilEEZNS1_25segmented_radix_sort_implIS3_Lb0EPKiPiPKlPlN2at6native12_GLOBAL__N_18offset_tEEE10hipError_tPvRmT1_PNSt15iterator_traitsISK_E10value_typeET2_T3_PNSL_ISQ_E10value_typeET4_jRbjT5_SW_jjP12ihipStream_tbEUlT_E0_NS1_11comp_targetILNS1_3genE5ELNS1_11target_archE942ELNS1_3gpuE9ELNS1_3repE0EEENS1_60segmented_radix_sort_warp_sort_medium_config_static_selectorELNS0_4arch9wavefront6targetE0EEEvSK_,comdat
	.globl	_ZN7rocprim17ROCPRIM_400000_NS6detail17trampoline_kernelINS0_14default_configENS1_36segmented_radix_sort_config_selectorIilEEZNS1_25segmented_radix_sort_implIS3_Lb0EPKiPiPKlPlN2at6native12_GLOBAL__N_18offset_tEEE10hipError_tPvRmT1_PNSt15iterator_traitsISK_E10value_typeET2_T3_PNSL_ISQ_E10value_typeET4_jRbjT5_SW_jjP12ihipStream_tbEUlT_E0_NS1_11comp_targetILNS1_3genE5ELNS1_11target_archE942ELNS1_3gpuE9ELNS1_3repE0EEENS1_60segmented_radix_sort_warp_sort_medium_config_static_selectorELNS0_4arch9wavefront6targetE0EEEvSK_ ; -- Begin function _ZN7rocprim17ROCPRIM_400000_NS6detail17trampoline_kernelINS0_14default_configENS1_36segmented_radix_sort_config_selectorIilEEZNS1_25segmented_radix_sort_implIS3_Lb0EPKiPiPKlPlN2at6native12_GLOBAL__N_18offset_tEEE10hipError_tPvRmT1_PNSt15iterator_traitsISK_E10value_typeET2_T3_PNSL_ISQ_E10value_typeET4_jRbjT5_SW_jjP12ihipStream_tbEUlT_E0_NS1_11comp_targetILNS1_3genE5ELNS1_11target_archE942ELNS1_3gpuE9ELNS1_3repE0EEENS1_60segmented_radix_sort_warp_sort_medium_config_static_selectorELNS0_4arch9wavefront6targetE0EEEvSK_
	.p2align	8
	.type	_ZN7rocprim17ROCPRIM_400000_NS6detail17trampoline_kernelINS0_14default_configENS1_36segmented_radix_sort_config_selectorIilEEZNS1_25segmented_radix_sort_implIS3_Lb0EPKiPiPKlPlN2at6native12_GLOBAL__N_18offset_tEEE10hipError_tPvRmT1_PNSt15iterator_traitsISK_E10value_typeET2_T3_PNSL_ISQ_E10value_typeET4_jRbjT5_SW_jjP12ihipStream_tbEUlT_E0_NS1_11comp_targetILNS1_3genE5ELNS1_11target_archE942ELNS1_3gpuE9ELNS1_3repE0EEENS1_60segmented_radix_sort_warp_sort_medium_config_static_selectorELNS0_4arch9wavefront6targetE0EEEvSK_,@function
_ZN7rocprim17ROCPRIM_400000_NS6detail17trampoline_kernelINS0_14default_configENS1_36segmented_radix_sort_config_selectorIilEEZNS1_25segmented_radix_sort_implIS3_Lb0EPKiPiPKlPlN2at6native12_GLOBAL__N_18offset_tEEE10hipError_tPvRmT1_PNSt15iterator_traitsISK_E10value_typeET2_T3_PNSL_ISQ_E10value_typeET4_jRbjT5_SW_jjP12ihipStream_tbEUlT_E0_NS1_11comp_targetILNS1_3genE5ELNS1_11target_archE942ELNS1_3gpuE9ELNS1_3repE0EEENS1_60segmented_radix_sort_warp_sort_medium_config_static_selectorELNS0_4arch9wavefront6targetE0EEEvSK_: ; @_ZN7rocprim17ROCPRIM_400000_NS6detail17trampoline_kernelINS0_14default_configENS1_36segmented_radix_sort_config_selectorIilEEZNS1_25segmented_radix_sort_implIS3_Lb0EPKiPiPKlPlN2at6native12_GLOBAL__N_18offset_tEEE10hipError_tPvRmT1_PNSt15iterator_traitsISK_E10value_typeET2_T3_PNSL_ISQ_E10value_typeET4_jRbjT5_SW_jjP12ihipStream_tbEUlT_E0_NS1_11comp_targetILNS1_3genE5ELNS1_11target_archE942ELNS1_3gpuE9ELNS1_3repE0EEENS1_60segmented_radix_sort_warp_sort_medium_config_static_selectorELNS0_4arch9wavefront6targetE0EEEvSK_
; %bb.0:
	.section	.rodata,"a",@progbits
	.p2align	6, 0x0
	.amdhsa_kernel _ZN7rocprim17ROCPRIM_400000_NS6detail17trampoline_kernelINS0_14default_configENS1_36segmented_radix_sort_config_selectorIilEEZNS1_25segmented_radix_sort_implIS3_Lb0EPKiPiPKlPlN2at6native12_GLOBAL__N_18offset_tEEE10hipError_tPvRmT1_PNSt15iterator_traitsISK_E10value_typeET2_T3_PNSL_ISQ_E10value_typeET4_jRbjT5_SW_jjP12ihipStream_tbEUlT_E0_NS1_11comp_targetILNS1_3genE5ELNS1_11target_archE942ELNS1_3gpuE9ELNS1_3repE0EEENS1_60segmented_radix_sort_warp_sort_medium_config_static_selectorELNS0_4arch9wavefront6targetE0EEEvSK_
		.amdhsa_group_segment_fixed_size 0
		.amdhsa_private_segment_fixed_size 0
		.amdhsa_kernarg_size 88
		.amdhsa_user_sgpr_count 2
		.amdhsa_user_sgpr_dispatch_ptr 0
		.amdhsa_user_sgpr_queue_ptr 0
		.amdhsa_user_sgpr_kernarg_segment_ptr 1
		.amdhsa_user_sgpr_dispatch_id 0
		.amdhsa_user_sgpr_private_segment_size 0
		.amdhsa_wavefront_size32 1
		.amdhsa_uses_dynamic_stack 0
		.amdhsa_enable_private_segment 0
		.amdhsa_system_sgpr_workgroup_id_x 1
		.amdhsa_system_sgpr_workgroup_id_y 0
		.amdhsa_system_sgpr_workgroup_id_z 0
		.amdhsa_system_sgpr_workgroup_info 0
		.amdhsa_system_vgpr_workitem_id 0
		.amdhsa_next_free_vgpr 1
		.amdhsa_next_free_sgpr 1
		.amdhsa_reserve_vcc 0
		.amdhsa_float_round_mode_32 0
		.amdhsa_float_round_mode_16_64 0
		.amdhsa_float_denorm_mode_32 3
		.amdhsa_float_denorm_mode_16_64 3
		.amdhsa_fp16_overflow 0
		.amdhsa_workgroup_processor_mode 1
		.amdhsa_memory_ordered 1
		.amdhsa_forward_progress 1
		.amdhsa_inst_pref_size 0
		.amdhsa_round_robin_scheduling 0
		.amdhsa_exception_fp_ieee_invalid_op 0
		.amdhsa_exception_fp_denorm_src 0
		.amdhsa_exception_fp_ieee_div_zero 0
		.amdhsa_exception_fp_ieee_overflow 0
		.amdhsa_exception_fp_ieee_underflow 0
		.amdhsa_exception_fp_ieee_inexact 0
		.amdhsa_exception_int_div_zero 0
	.end_amdhsa_kernel
	.section	.text._ZN7rocprim17ROCPRIM_400000_NS6detail17trampoline_kernelINS0_14default_configENS1_36segmented_radix_sort_config_selectorIilEEZNS1_25segmented_radix_sort_implIS3_Lb0EPKiPiPKlPlN2at6native12_GLOBAL__N_18offset_tEEE10hipError_tPvRmT1_PNSt15iterator_traitsISK_E10value_typeET2_T3_PNSL_ISQ_E10value_typeET4_jRbjT5_SW_jjP12ihipStream_tbEUlT_E0_NS1_11comp_targetILNS1_3genE5ELNS1_11target_archE942ELNS1_3gpuE9ELNS1_3repE0EEENS1_60segmented_radix_sort_warp_sort_medium_config_static_selectorELNS0_4arch9wavefront6targetE0EEEvSK_,"axG",@progbits,_ZN7rocprim17ROCPRIM_400000_NS6detail17trampoline_kernelINS0_14default_configENS1_36segmented_radix_sort_config_selectorIilEEZNS1_25segmented_radix_sort_implIS3_Lb0EPKiPiPKlPlN2at6native12_GLOBAL__N_18offset_tEEE10hipError_tPvRmT1_PNSt15iterator_traitsISK_E10value_typeET2_T3_PNSL_ISQ_E10value_typeET4_jRbjT5_SW_jjP12ihipStream_tbEUlT_E0_NS1_11comp_targetILNS1_3genE5ELNS1_11target_archE942ELNS1_3gpuE9ELNS1_3repE0EEENS1_60segmented_radix_sort_warp_sort_medium_config_static_selectorELNS0_4arch9wavefront6targetE0EEEvSK_,comdat
.Lfunc_end611:
	.size	_ZN7rocprim17ROCPRIM_400000_NS6detail17trampoline_kernelINS0_14default_configENS1_36segmented_radix_sort_config_selectorIilEEZNS1_25segmented_radix_sort_implIS3_Lb0EPKiPiPKlPlN2at6native12_GLOBAL__N_18offset_tEEE10hipError_tPvRmT1_PNSt15iterator_traitsISK_E10value_typeET2_T3_PNSL_ISQ_E10value_typeET4_jRbjT5_SW_jjP12ihipStream_tbEUlT_E0_NS1_11comp_targetILNS1_3genE5ELNS1_11target_archE942ELNS1_3gpuE9ELNS1_3repE0EEENS1_60segmented_radix_sort_warp_sort_medium_config_static_selectorELNS0_4arch9wavefront6targetE0EEEvSK_, .Lfunc_end611-_ZN7rocprim17ROCPRIM_400000_NS6detail17trampoline_kernelINS0_14default_configENS1_36segmented_radix_sort_config_selectorIilEEZNS1_25segmented_radix_sort_implIS3_Lb0EPKiPiPKlPlN2at6native12_GLOBAL__N_18offset_tEEE10hipError_tPvRmT1_PNSt15iterator_traitsISK_E10value_typeET2_T3_PNSL_ISQ_E10value_typeET4_jRbjT5_SW_jjP12ihipStream_tbEUlT_E0_NS1_11comp_targetILNS1_3genE5ELNS1_11target_archE942ELNS1_3gpuE9ELNS1_3repE0EEENS1_60segmented_radix_sort_warp_sort_medium_config_static_selectorELNS0_4arch9wavefront6targetE0EEEvSK_
                                        ; -- End function
	.set _ZN7rocprim17ROCPRIM_400000_NS6detail17trampoline_kernelINS0_14default_configENS1_36segmented_radix_sort_config_selectorIilEEZNS1_25segmented_radix_sort_implIS3_Lb0EPKiPiPKlPlN2at6native12_GLOBAL__N_18offset_tEEE10hipError_tPvRmT1_PNSt15iterator_traitsISK_E10value_typeET2_T3_PNSL_ISQ_E10value_typeET4_jRbjT5_SW_jjP12ihipStream_tbEUlT_E0_NS1_11comp_targetILNS1_3genE5ELNS1_11target_archE942ELNS1_3gpuE9ELNS1_3repE0EEENS1_60segmented_radix_sort_warp_sort_medium_config_static_selectorELNS0_4arch9wavefront6targetE0EEEvSK_.num_vgpr, 0
	.set _ZN7rocprim17ROCPRIM_400000_NS6detail17trampoline_kernelINS0_14default_configENS1_36segmented_radix_sort_config_selectorIilEEZNS1_25segmented_radix_sort_implIS3_Lb0EPKiPiPKlPlN2at6native12_GLOBAL__N_18offset_tEEE10hipError_tPvRmT1_PNSt15iterator_traitsISK_E10value_typeET2_T3_PNSL_ISQ_E10value_typeET4_jRbjT5_SW_jjP12ihipStream_tbEUlT_E0_NS1_11comp_targetILNS1_3genE5ELNS1_11target_archE942ELNS1_3gpuE9ELNS1_3repE0EEENS1_60segmented_radix_sort_warp_sort_medium_config_static_selectorELNS0_4arch9wavefront6targetE0EEEvSK_.num_agpr, 0
	.set _ZN7rocprim17ROCPRIM_400000_NS6detail17trampoline_kernelINS0_14default_configENS1_36segmented_radix_sort_config_selectorIilEEZNS1_25segmented_radix_sort_implIS3_Lb0EPKiPiPKlPlN2at6native12_GLOBAL__N_18offset_tEEE10hipError_tPvRmT1_PNSt15iterator_traitsISK_E10value_typeET2_T3_PNSL_ISQ_E10value_typeET4_jRbjT5_SW_jjP12ihipStream_tbEUlT_E0_NS1_11comp_targetILNS1_3genE5ELNS1_11target_archE942ELNS1_3gpuE9ELNS1_3repE0EEENS1_60segmented_radix_sort_warp_sort_medium_config_static_selectorELNS0_4arch9wavefront6targetE0EEEvSK_.numbered_sgpr, 0
	.set _ZN7rocprim17ROCPRIM_400000_NS6detail17trampoline_kernelINS0_14default_configENS1_36segmented_radix_sort_config_selectorIilEEZNS1_25segmented_radix_sort_implIS3_Lb0EPKiPiPKlPlN2at6native12_GLOBAL__N_18offset_tEEE10hipError_tPvRmT1_PNSt15iterator_traitsISK_E10value_typeET2_T3_PNSL_ISQ_E10value_typeET4_jRbjT5_SW_jjP12ihipStream_tbEUlT_E0_NS1_11comp_targetILNS1_3genE5ELNS1_11target_archE942ELNS1_3gpuE9ELNS1_3repE0EEENS1_60segmented_radix_sort_warp_sort_medium_config_static_selectorELNS0_4arch9wavefront6targetE0EEEvSK_.num_named_barrier, 0
	.set _ZN7rocprim17ROCPRIM_400000_NS6detail17trampoline_kernelINS0_14default_configENS1_36segmented_radix_sort_config_selectorIilEEZNS1_25segmented_radix_sort_implIS3_Lb0EPKiPiPKlPlN2at6native12_GLOBAL__N_18offset_tEEE10hipError_tPvRmT1_PNSt15iterator_traitsISK_E10value_typeET2_T3_PNSL_ISQ_E10value_typeET4_jRbjT5_SW_jjP12ihipStream_tbEUlT_E0_NS1_11comp_targetILNS1_3genE5ELNS1_11target_archE942ELNS1_3gpuE9ELNS1_3repE0EEENS1_60segmented_radix_sort_warp_sort_medium_config_static_selectorELNS0_4arch9wavefront6targetE0EEEvSK_.private_seg_size, 0
	.set _ZN7rocprim17ROCPRIM_400000_NS6detail17trampoline_kernelINS0_14default_configENS1_36segmented_radix_sort_config_selectorIilEEZNS1_25segmented_radix_sort_implIS3_Lb0EPKiPiPKlPlN2at6native12_GLOBAL__N_18offset_tEEE10hipError_tPvRmT1_PNSt15iterator_traitsISK_E10value_typeET2_T3_PNSL_ISQ_E10value_typeET4_jRbjT5_SW_jjP12ihipStream_tbEUlT_E0_NS1_11comp_targetILNS1_3genE5ELNS1_11target_archE942ELNS1_3gpuE9ELNS1_3repE0EEENS1_60segmented_radix_sort_warp_sort_medium_config_static_selectorELNS0_4arch9wavefront6targetE0EEEvSK_.uses_vcc, 0
	.set _ZN7rocprim17ROCPRIM_400000_NS6detail17trampoline_kernelINS0_14default_configENS1_36segmented_radix_sort_config_selectorIilEEZNS1_25segmented_radix_sort_implIS3_Lb0EPKiPiPKlPlN2at6native12_GLOBAL__N_18offset_tEEE10hipError_tPvRmT1_PNSt15iterator_traitsISK_E10value_typeET2_T3_PNSL_ISQ_E10value_typeET4_jRbjT5_SW_jjP12ihipStream_tbEUlT_E0_NS1_11comp_targetILNS1_3genE5ELNS1_11target_archE942ELNS1_3gpuE9ELNS1_3repE0EEENS1_60segmented_radix_sort_warp_sort_medium_config_static_selectorELNS0_4arch9wavefront6targetE0EEEvSK_.uses_flat_scratch, 0
	.set _ZN7rocprim17ROCPRIM_400000_NS6detail17trampoline_kernelINS0_14default_configENS1_36segmented_radix_sort_config_selectorIilEEZNS1_25segmented_radix_sort_implIS3_Lb0EPKiPiPKlPlN2at6native12_GLOBAL__N_18offset_tEEE10hipError_tPvRmT1_PNSt15iterator_traitsISK_E10value_typeET2_T3_PNSL_ISQ_E10value_typeET4_jRbjT5_SW_jjP12ihipStream_tbEUlT_E0_NS1_11comp_targetILNS1_3genE5ELNS1_11target_archE942ELNS1_3gpuE9ELNS1_3repE0EEENS1_60segmented_radix_sort_warp_sort_medium_config_static_selectorELNS0_4arch9wavefront6targetE0EEEvSK_.has_dyn_sized_stack, 0
	.set _ZN7rocprim17ROCPRIM_400000_NS6detail17trampoline_kernelINS0_14default_configENS1_36segmented_radix_sort_config_selectorIilEEZNS1_25segmented_radix_sort_implIS3_Lb0EPKiPiPKlPlN2at6native12_GLOBAL__N_18offset_tEEE10hipError_tPvRmT1_PNSt15iterator_traitsISK_E10value_typeET2_T3_PNSL_ISQ_E10value_typeET4_jRbjT5_SW_jjP12ihipStream_tbEUlT_E0_NS1_11comp_targetILNS1_3genE5ELNS1_11target_archE942ELNS1_3gpuE9ELNS1_3repE0EEENS1_60segmented_radix_sort_warp_sort_medium_config_static_selectorELNS0_4arch9wavefront6targetE0EEEvSK_.has_recursion, 0
	.set _ZN7rocprim17ROCPRIM_400000_NS6detail17trampoline_kernelINS0_14default_configENS1_36segmented_radix_sort_config_selectorIilEEZNS1_25segmented_radix_sort_implIS3_Lb0EPKiPiPKlPlN2at6native12_GLOBAL__N_18offset_tEEE10hipError_tPvRmT1_PNSt15iterator_traitsISK_E10value_typeET2_T3_PNSL_ISQ_E10value_typeET4_jRbjT5_SW_jjP12ihipStream_tbEUlT_E0_NS1_11comp_targetILNS1_3genE5ELNS1_11target_archE942ELNS1_3gpuE9ELNS1_3repE0EEENS1_60segmented_radix_sort_warp_sort_medium_config_static_selectorELNS0_4arch9wavefront6targetE0EEEvSK_.has_indirect_call, 0
	.section	.AMDGPU.csdata,"",@progbits
; Kernel info:
; codeLenInByte = 0
; TotalNumSgprs: 0
; NumVgprs: 0
; ScratchSize: 0
; MemoryBound: 0
; FloatMode: 240
; IeeeMode: 1
; LDSByteSize: 0 bytes/workgroup (compile time only)
; SGPRBlocks: 0
; VGPRBlocks: 0
; NumSGPRsForWavesPerEU: 1
; NumVGPRsForWavesPerEU: 1
; Occupancy: 16
; WaveLimiterHint : 0
; COMPUTE_PGM_RSRC2:SCRATCH_EN: 0
; COMPUTE_PGM_RSRC2:USER_SGPR: 2
; COMPUTE_PGM_RSRC2:TRAP_HANDLER: 0
; COMPUTE_PGM_RSRC2:TGID_X_EN: 1
; COMPUTE_PGM_RSRC2:TGID_Y_EN: 0
; COMPUTE_PGM_RSRC2:TGID_Z_EN: 0
; COMPUTE_PGM_RSRC2:TIDIG_COMP_CNT: 0
	.section	.text._ZN7rocprim17ROCPRIM_400000_NS6detail17trampoline_kernelINS0_14default_configENS1_36segmented_radix_sort_config_selectorIilEEZNS1_25segmented_radix_sort_implIS3_Lb0EPKiPiPKlPlN2at6native12_GLOBAL__N_18offset_tEEE10hipError_tPvRmT1_PNSt15iterator_traitsISK_E10value_typeET2_T3_PNSL_ISQ_E10value_typeET4_jRbjT5_SW_jjP12ihipStream_tbEUlT_E0_NS1_11comp_targetILNS1_3genE4ELNS1_11target_archE910ELNS1_3gpuE8ELNS1_3repE0EEENS1_60segmented_radix_sort_warp_sort_medium_config_static_selectorELNS0_4arch9wavefront6targetE0EEEvSK_,"axG",@progbits,_ZN7rocprim17ROCPRIM_400000_NS6detail17trampoline_kernelINS0_14default_configENS1_36segmented_radix_sort_config_selectorIilEEZNS1_25segmented_radix_sort_implIS3_Lb0EPKiPiPKlPlN2at6native12_GLOBAL__N_18offset_tEEE10hipError_tPvRmT1_PNSt15iterator_traitsISK_E10value_typeET2_T3_PNSL_ISQ_E10value_typeET4_jRbjT5_SW_jjP12ihipStream_tbEUlT_E0_NS1_11comp_targetILNS1_3genE4ELNS1_11target_archE910ELNS1_3gpuE8ELNS1_3repE0EEENS1_60segmented_radix_sort_warp_sort_medium_config_static_selectorELNS0_4arch9wavefront6targetE0EEEvSK_,comdat
	.globl	_ZN7rocprim17ROCPRIM_400000_NS6detail17trampoline_kernelINS0_14default_configENS1_36segmented_radix_sort_config_selectorIilEEZNS1_25segmented_radix_sort_implIS3_Lb0EPKiPiPKlPlN2at6native12_GLOBAL__N_18offset_tEEE10hipError_tPvRmT1_PNSt15iterator_traitsISK_E10value_typeET2_T3_PNSL_ISQ_E10value_typeET4_jRbjT5_SW_jjP12ihipStream_tbEUlT_E0_NS1_11comp_targetILNS1_3genE4ELNS1_11target_archE910ELNS1_3gpuE8ELNS1_3repE0EEENS1_60segmented_radix_sort_warp_sort_medium_config_static_selectorELNS0_4arch9wavefront6targetE0EEEvSK_ ; -- Begin function _ZN7rocprim17ROCPRIM_400000_NS6detail17trampoline_kernelINS0_14default_configENS1_36segmented_radix_sort_config_selectorIilEEZNS1_25segmented_radix_sort_implIS3_Lb0EPKiPiPKlPlN2at6native12_GLOBAL__N_18offset_tEEE10hipError_tPvRmT1_PNSt15iterator_traitsISK_E10value_typeET2_T3_PNSL_ISQ_E10value_typeET4_jRbjT5_SW_jjP12ihipStream_tbEUlT_E0_NS1_11comp_targetILNS1_3genE4ELNS1_11target_archE910ELNS1_3gpuE8ELNS1_3repE0EEENS1_60segmented_radix_sort_warp_sort_medium_config_static_selectorELNS0_4arch9wavefront6targetE0EEEvSK_
	.p2align	8
	.type	_ZN7rocprim17ROCPRIM_400000_NS6detail17trampoline_kernelINS0_14default_configENS1_36segmented_radix_sort_config_selectorIilEEZNS1_25segmented_radix_sort_implIS3_Lb0EPKiPiPKlPlN2at6native12_GLOBAL__N_18offset_tEEE10hipError_tPvRmT1_PNSt15iterator_traitsISK_E10value_typeET2_T3_PNSL_ISQ_E10value_typeET4_jRbjT5_SW_jjP12ihipStream_tbEUlT_E0_NS1_11comp_targetILNS1_3genE4ELNS1_11target_archE910ELNS1_3gpuE8ELNS1_3repE0EEENS1_60segmented_radix_sort_warp_sort_medium_config_static_selectorELNS0_4arch9wavefront6targetE0EEEvSK_,@function
_ZN7rocprim17ROCPRIM_400000_NS6detail17trampoline_kernelINS0_14default_configENS1_36segmented_radix_sort_config_selectorIilEEZNS1_25segmented_radix_sort_implIS3_Lb0EPKiPiPKlPlN2at6native12_GLOBAL__N_18offset_tEEE10hipError_tPvRmT1_PNSt15iterator_traitsISK_E10value_typeET2_T3_PNSL_ISQ_E10value_typeET4_jRbjT5_SW_jjP12ihipStream_tbEUlT_E0_NS1_11comp_targetILNS1_3genE4ELNS1_11target_archE910ELNS1_3gpuE8ELNS1_3repE0EEENS1_60segmented_radix_sort_warp_sort_medium_config_static_selectorELNS0_4arch9wavefront6targetE0EEEvSK_: ; @_ZN7rocprim17ROCPRIM_400000_NS6detail17trampoline_kernelINS0_14default_configENS1_36segmented_radix_sort_config_selectorIilEEZNS1_25segmented_radix_sort_implIS3_Lb0EPKiPiPKlPlN2at6native12_GLOBAL__N_18offset_tEEE10hipError_tPvRmT1_PNSt15iterator_traitsISK_E10value_typeET2_T3_PNSL_ISQ_E10value_typeET4_jRbjT5_SW_jjP12ihipStream_tbEUlT_E0_NS1_11comp_targetILNS1_3genE4ELNS1_11target_archE910ELNS1_3gpuE8ELNS1_3repE0EEENS1_60segmented_radix_sort_warp_sort_medium_config_static_selectorELNS0_4arch9wavefront6targetE0EEEvSK_
; %bb.0:
	.section	.rodata,"a",@progbits
	.p2align	6, 0x0
	.amdhsa_kernel _ZN7rocprim17ROCPRIM_400000_NS6detail17trampoline_kernelINS0_14default_configENS1_36segmented_radix_sort_config_selectorIilEEZNS1_25segmented_radix_sort_implIS3_Lb0EPKiPiPKlPlN2at6native12_GLOBAL__N_18offset_tEEE10hipError_tPvRmT1_PNSt15iterator_traitsISK_E10value_typeET2_T3_PNSL_ISQ_E10value_typeET4_jRbjT5_SW_jjP12ihipStream_tbEUlT_E0_NS1_11comp_targetILNS1_3genE4ELNS1_11target_archE910ELNS1_3gpuE8ELNS1_3repE0EEENS1_60segmented_radix_sort_warp_sort_medium_config_static_selectorELNS0_4arch9wavefront6targetE0EEEvSK_
		.amdhsa_group_segment_fixed_size 0
		.amdhsa_private_segment_fixed_size 0
		.amdhsa_kernarg_size 88
		.amdhsa_user_sgpr_count 2
		.amdhsa_user_sgpr_dispatch_ptr 0
		.amdhsa_user_sgpr_queue_ptr 0
		.amdhsa_user_sgpr_kernarg_segment_ptr 1
		.amdhsa_user_sgpr_dispatch_id 0
		.amdhsa_user_sgpr_private_segment_size 0
		.amdhsa_wavefront_size32 1
		.amdhsa_uses_dynamic_stack 0
		.amdhsa_enable_private_segment 0
		.amdhsa_system_sgpr_workgroup_id_x 1
		.amdhsa_system_sgpr_workgroup_id_y 0
		.amdhsa_system_sgpr_workgroup_id_z 0
		.amdhsa_system_sgpr_workgroup_info 0
		.amdhsa_system_vgpr_workitem_id 0
		.amdhsa_next_free_vgpr 1
		.amdhsa_next_free_sgpr 1
		.amdhsa_reserve_vcc 0
		.amdhsa_float_round_mode_32 0
		.amdhsa_float_round_mode_16_64 0
		.amdhsa_float_denorm_mode_32 3
		.amdhsa_float_denorm_mode_16_64 3
		.amdhsa_fp16_overflow 0
		.amdhsa_workgroup_processor_mode 1
		.amdhsa_memory_ordered 1
		.amdhsa_forward_progress 1
		.amdhsa_inst_pref_size 0
		.amdhsa_round_robin_scheduling 0
		.amdhsa_exception_fp_ieee_invalid_op 0
		.amdhsa_exception_fp_denorm_src 0
		.amdhsa_exception_fp_ieee_div_zero 0
		.amdhsa_exception_fp_ieee_overflow 0
		.amdhsa_exception_fp_ieee_underflow 0
		.amdhsa_exception_fp_ieee_inexact 0
		.amdhsa_exception_int_div_zero 0
	.end_amdhsa_kernel
	.section	.text._ZN7rocprim17ROCPRIM_400000_NS6detail17trampoline_kernelINS0_14default_configENS1_36segmented_radix_sort_config_selectorIilEEZNS1_25segmented_radix_sort_implIS3_Lb0EPKiPiPKlPlN2at6native12_GLOBAL__N_18offset_tEEE10hipError_tPvRmT1_PNSt15iterator_traitsISK_E10value_typeET2_T3_PNSL_ISQ_E10value_typeET4_jRbjT5_SW_jjP12ihipStream_tbEUlT_E0_NS1_11comp_targetILNS1_3genE4ELNS1_11target_archE910ELNS1_3gpuE8ELNS1_3repE0EEENS1_60segmented_radix_sort_warp_sort_medium_config_static_selectorELNS0_4arch9wavefront6targetE0EEEvSK_,"axG",@progbits,_ZN7rocprim17ROCPRIM_400000_NS6detail17trampoline_kernelINS0_14default_configENS1_36segmented_radix_sort_config_selectorIilEEZNS1_25segmented_radix_sort_implIS3_Lb0EPKiPiPKlPlN2at6native12_GLOBAL__N_18offset_tEEE10hipError_tPvRmT1_PNSt15iterator_traitsISK_E10value_typeET2_T3_PNSL_ISQ_E10value_typeET4_jRbjT5_SW_jjP12ihipStream_tbEUlT_E0_NS1_11comp_targetILNS1_3genE4ELNS1_11target_archE910ELNS1_3gpuE8ELNS1_3repE0EEENS1_60segmented_radix_sort_warp_sort_medium_config_static_selectorELNS0_4arch9wavefront6targetE0EEEvSK_,comdat
.Lfunc_end612:
	.size	_ZN7rocprim17ROCPRIM_400000_NS6detail17trampoline_kernelINS0_14default_configENS1_36segmented_radix_sort_config_selectorIilEEZNS1_25segmented_radix_sort_implIS3_Lb0EPKiPiPKlPlN2at6native12_GLOBAL__N_18offset_tEEE10hipError_tPvRmT1_PNSt15iterator_traitsISK_E10value_typeET2_T3_PNSL_ISQ_E10value_typeET4_jRbjT5_SW_jjP12ihipStream_tbEUlT_E0_NS1_11comp_targetILNS1_3genE4ELNS1_11target_archE910ELNS1_3gpuE8ELNS1_3repE0EEENS1_60segmented_radix_sort_warp_sort_medium_config_static_selectorELNS0_4arch9wavefront6targetE0EEEvSK_, .Lfunc_end612-_ZN7rocprim17ROCPRIM_400000_NS6detail17trampoline_kernelINS0_14default_configENS1_36segmented_radix_sort_config_selectorIilEEZNS1_25segmented_radix_sort_implIS3_Lb0EPKiPiPKlPlN2at6native12_GLOBAL__N_18offset_tEEE10hipError_tPvRmT1_PNSt15iterator_traitsISK_E10value_typeET2_T3_PNSL_ISQ_E10value_typeET4_jRbjT5_SW_jjP12ihipStream_tbEUlT_E0_NS1_11comp_targetILNS1_3genE4ELNS1_11target_archE910ELNS1_3gpuE8ELNS1_3repE0EEENS1_60segmented_radix_sort_warp_sort_medium_config_static_selectorELNS0_4arch9wavefront6targetE0EEEvSK_
                                        ; -- End function
	.set _ZN7rocprim17ROCPRIM_400000_NS6detail17trampoline_kernelINS0_14default_configENS1_36segmented_radix_sort_config_selectorIilEEZNS1_25segmented_radix_sort_implIS3_Lb0EPKiPiPKlPlN2at6native12_GLOBAL__N_18offset_tEEE10hipError_tPvRmT1_PNSt15iterator_traitsISK_E10value_typeET2_T3_PNSL_ISQ_E10value_typeET4_jRbjT5_SW_jjP12ihipStream_tbEUlT_E0_NS1_11comp_targetILNS1_3genE4ELNS1_11target_archE910ELNS1_3gpuE8ELNS1_3repE0EEENS1_60segmented_radix_sort_warp_sort_medium_config_static_selectorELNS0_4arch9wavefront6targetE0EEEvSK_.num_vgpr, 0
	.set _ZN7rocprim17ROCPRIM_400000_NS6detail17trampoline_kernelINS0_14default_configENS1_36segmented_radix_sort_config_selectorIilEEZNS1_25segmented_radix_sort_implIS3_Lb0EPKiPiPKlPlN2at6native12_GLOBAL__N_18offset_tEEE10hipError_tPvRmT1_PNSt15iterator_traitsISK_E10value_typeET2_T3_PNSL_ISQ_E10value_typeET4_jRbjT5_SW_jjP12ihipStream_tbEUlT_E0_NS1_11comp_targetILNS1_3genE4ELNS1_11target_archE910ELNS1_3gpuE8ELNS1_3repE0EEENS1_60segmented_radix_sort_warp_sort_medium_config_static_selectorELNS0_4arch9wavefront6targetE0EEEvSK_.num_agpr, 0
	.set _ZN7rocprim17ROCPRIM_400000_NS6detail17trampoline_kernelINS0_14default_configENS1_36segmented_radix_sort_config_selectorIilEEZNS1_25segmented_radix_sort_implIS3_Lb0EPKiPiPKlPlN2at6native12_GLOBAL__N_18offset_tEEE10hipError_tPvRmT1_PNSt15iterator_traitsISK_E10value_typeET2_T3_PNSL_ISQ_E10value_typeET4_jRbjT5_SW_jjP12ihipStream_tbEUlT_E0_NS1_11comp_targetILNS1_3genE4ELNS1_11target_archE910ELNS1_3gpuE8ELNS1_3repE0EEENS1_60segmented_radix_sort_warp_sort_medium_config_static_selectorELNS0_4arch9wavefront6targetE0EEEvSK_.numbered_sgpr, 0
	.set _ZN7rocprim17ROCPRIM_400000_NS6detail17trampoline_kernelINS0_14default_configENS1_36segmented_radix_sort_config_selectorIilEEZNS1_25segmented_radix_sort_implIS3_Lb0EPKiPiPKlPlN2at6native12_GLOBAL__N_18offset_tEEE10hipError_tPvRmT1_PNSt15iterator_traitsISK_E10value_typeET2_T3_PNSL_ISQ_E10value_typeET4_jRbjT5_SW_jjP12ihipStream_tbEUlT_E0_NS1_11comp_targetILNS1_3genE4ELNS1_11target_archE910ELNS1_3gpuE8ELNS1_3repE0EEENS1_60segmented_radix_sort_warp_sort_medium_config_static_selectorELNS0_4arch9wavefront6targetE0EEEvSK_.num_named_barrier, 0
	.set _ZN7rocprim17ROCPRIM_400000_NS6detail17trampoline_kernelINS0_14default_configENS1_36segmented_radix_sort_config_selectorIilEEZNS1_25segmented_radix_sort_implIS3_Lb0EPKiPiPKlPlN2at6native12_GLOBAL__N_18offset_tEEE10hipError_tPvRmT1_PNSt15iterator_traitsISK_E10value_typeET2_T3_PNSL_ISQ_E10value_typeET4_jRbjT5_SW_jjP12ihipStream_tbEUlT_E0_NS1_11comp_targetILNS1_3genE4ELNS1_11target_archE910ELNS1_3gpuE8ELNS1_3repE0EEENS1_60segmented_radix_sort_warp_sort_medium_config_static_selectorELNS0_4arch9wavefront6targetE0EEEvSK_.private_seg_size, 0
	.set _ZN7rocprim17ROCPRIM_400000_NS6detail17trampoline_kernelINS0_14default_configENS1_36segmented_radix_sort_config_selectorIilEEZNS1_25segmented_radix_sort_implIS3_Lb0EPKiPiPKlPlN2at6native12_GLOBAL__N_18offset_tEEE10hipError_tPvRmT1_PNSt15iterator_traitsISK_E10value_typeET2_T3_PNSL_ISQ_E10value_typeET4_jRbjT5_SW_jjP12ihipStream_tbEUlT_E0_NS1_11comp_targetILNS1_3genE4ELNS1_11target_archE910ELNS1_3gpuE8ELNS1_3repE0EEENS1_60segmented_radix_sort_warp_sort_medium_config_static_selectorELNS0_4arch9wavefront6targetE0EEEvSK_.uses_vcc, 0
	.set _ZN7rocprim17ROCPRIM_400000_NS6detail17trampoline_kernelINS0_14default_configENS1_36segmented_radix_sort_config_selectorIilEEZNS1_25segmented_radix_sort_implIS3_Lb0EPKiPiPKlPlN2at6native12_GLOBAL__N_18offset_tEEE10hipError_tPvRmT1_PNSt15iterator_traitsISK_E10value_typeET2_T3_PNSL_ISQ_E10value_typeET4_jRbjT5_SW_jjP12ihipStream_tbEUlT_E0_NS1_11comp_targetILNS1_3genE4ELNS1_11target_archE910ELNS1_3gpuE8ELNS1_3repE0EEENS1_60segmented_radix_sort_warp_sort_medium_config_static_selectorELNS0_4arch9wavefront6targetE0EEEvSK_.uses_flat_scratch, 0
	.set _ZN7rocprim17ROCPRIM_400000_NS6detail17trampoline_kernelINS0_14default_configENS1_36segmented_radix_sort_config_selectorIilEEZNS1_25segmented_radix_sort_implIS3_Lb0EPKiPiPKlPlN2at6native12_GLOBAL__N_18offset_tEEE10hipError_tPvRmT1_PNSt15iterator_traitsISK_E10value_typeET2_T3_PNSL_ISQ_E10value_typeET4_jRbjT5_SW_jjP12ihipStream_tbEUlT_E0_NS1_11comp_targetILNS1_3genE4ELNS1_11target_archE910ELNS1_3gpuE8ELNS1_3repE0EEENS1_60segmented_radix_sort_warp_sort_medium_config_static_selectorELNS0_4arch9wavefront6targetE0EEEvSK_.has_dyn_sized_stack, 0
	.set _ZN7rocprim17ROCPRIM_400000_NS6detail17trampoline_kernelINS0_14default_configENS1_36segmented_radix_sort_config_selectorIilEEZNS1_25segmented_radix_sort_implIS3_Lb0EPKiPiPKlPlN2at6native12_GLOBAL__N_18offset_tEEE10hipError_tPvRmT1_PNSt15iterator_traitsISK_E10value_typeET2_T3_PNSL_ISQ_E10value_typeET4_jRbjT5_SW_jjP12ihipStream_tbEUlT_E0_NS1_11comp_targetILNS1_3genE4ELNS1_11target_archE910ELNS1_3gpuE8ELNS1_3repE0EEENS1_60segmented_radix_sort_warp_sort_medium_config_static_selectorELNS0_4arch9wavefront6targetE0EEEvSK_.has_recursion, 0
	.set _ZN7rocprim17ROCPRIM_400000_NS6detail17trampoline_kernelINS0_14default_configENS1_36segmented_radix_sort_config_selectorIilEEZNS1_25segmented_radix_sort_implIS3_Lb0EPKiPiPKlPlN2at6native12_GLOBAL__N_18offset_tEEE10hipError_tPvRmT1_PNSt15iterator_traitsISK_E10value_typeET2_T3_PNSL_ISQ_E10value_typeET4_jRbjT5_SW_jjP12ihipStream_tbEUlT_E0_NS1_11comp_targetILNS1_3genE4ELNS1_11target_archE910ELNS1_3gpuE8ELNS1_3repE0EEENS1_60segmented_radix_sort_warp_sort_medium_config_static_selectorELNS0_4arch9wavefront6targetE0EEEvSK_.has_indirect_call, 0
	.section	.AMDGPU.csdata,"",@progbits
; Kernel info:
; codeLenInByte = 0
; TotalNumSgprs: 0
; NumVgprs: 0
; ScratchSize: 0
; MemoryBound: 0
; FloatMode: 240
; IeeeMode: 1
; LDSByteSize: 0 bytes/workgroup (compile time only)
; SGPRBlocks: 0
; VGPRBlocks: 0
; NumSGPRsForWavesPerEU: 1
; NumVGPRsForWavesPerEU: 1
; Occupancy: 16
; WaveLimiterHint : 0
; COMPUTE_PGM_RSRC2:SCRATCH_EN: 0
; COMPUTE_PGM_RSRC2:USER_SGPR: 2
; COMPUTE_PGM_RSRC2:TRAP_HANDLER: 0
; COMPUTE_PGM_RSRC2:TGID_X_EN: 1
; COMPUTE_PGM_RSRC2:TGID_Y_EN: 0
; COMPUTE_PGM_RSRC2:TGID_Z_EN: 0
; COMPUTE_PGM_RSRC2:TIDIG_COMP_CNT: 0
	.section	.text._ZN7rocprim17ROCPRIM_400000_NS6detail17trampoline_kernelINS0_14default_configENS1_36segmented_radix_sort_config_selectorIilEEZNS1_25segmented_radix_sort_implIS3_Lb0EPKiPiPKlPlN2at6native12_GLOBAL__N_18offset_tEEE10hipError_tPvRmT1_PNSt15iterator_traitsISK_E10value_typeET2_T3_PNSL_ISQ_E10value_typeET4_jRbjT5_SW_jjP12ihipStream_tbEUlT_E0_NS1_11comp_targetILNS1_3genE3ELNS1_11target_archE908ELNS1_3gpuE7ELNS1_3repE0EEENS1_60segmented_radix_sort_warp_sort_medium_config_static_selectorELNS0_4arch9wavefront6targetE0EEEvSK_,"axG",@progbits,_ZN7rocprim17ROCPRIM_400000_NS6detail17trampoline_kernelINS0_14default_configENS1_36segmented_radix_sort_config_selectorIilEEZNS1_25segmented_radix_sort_implIS3_Lb0EPKiPiPKlPlN2at6native12_GLOBAL__N_18offset_tEEE10hipError_tPvRmT1_PNSt15iterator_traitsISK_E10value_typeET2_T3_PNSL_ISQ_E10value_typeET4_jRbjT5_SW_jjP12ihipStream_tbEUlT_E0_NS1_11comp_targetILNS1_3genE3ELNS1_11target_archE908ELNS1_3gpuE7ELNS1_3repE0EEENS1_60segmented_radix_sort_warp_sort_medium_config_static_selectorELNS0_4arch9wavefront6targetE0EEEvSK_,comdat
	.globl	_ZN7rocprim17ROCPRIM_400000_NS6detail17trampoline_kernelINS0_14default_configENS1_36segmented_radix_sort_config_selectorIilEEZNS1_25segmented_radix_sort_implIS3_Lb0EPKiPiPKlPlN2at6native12_GLOBAL__N_18offset_tEEE10hipError_tPvRmT1_PNSt15iterator_traitsISK_E10value_typeET2_T3_PNSL_ISQ_E10value_typeET4_jRbjT5_SW_jjP12ihipStream_tbEUlT_E0_NS1_11comp_targetILNS1_3genE3ELNS1_11target_archE908ELNS1_3gpuE7ELNS1_3repE0EEENS1_60segmented_radix_sort_warp_sort_medium_config_static_selectorELNS0_4arch9wavefront6targetE0EEEvSK_ ; -- Begin function _ZN7rocprim17ROCPRIM_400000_NS6detail17trampoline_kernelINS0_14default_configENS1_36segmented_radix_sort_config_selectorIilEEZNS1_25segmented_radix_sort_implIS3_Lb0EPKiPiPKlPlN2at6native12_GLOBAL__N_18offset_tEEE10hipError_tPvRmT1_PNSt15iterator_traitsISK_E10value_typeET2_T3_PNSL_ISQ_E10value_typeET4_jRbjT5_SW_jjP12ihipStream_tbEUlT_E0_NS1_11comp_targetILNS1_3genE3ELNS1_11target_archE908ELNS1_3gpuE7ELNS1_3repE0EEENS1_60segmented_radix_sort_warp_sort_medium_config_static_selectorELNS0_4arch9wavefront6targetE0EEEvSK_
	.p2align	8
	.type	_ZN7rocprim17ROCPRIM_400000_NS6detail17trampoline_kernelINS0_14default_configENS1_36segmented_radix_sort_config_selectorIilEEZNS1_25segmented_radix_sort_implIS3_Lb0EPKiPiPKlPlN2at6native12_GLOBAL__N_18offset_tEEE10hipError_tPvRmT1_PNSt15iterator_traitsISK_E10value_typeET2_T3_PNSL_ISQ_E10value_typeET4_jRbjT5_SW_jjP12ihipStream_tbEUlT_E0_NS1_11comp_targetILNS1_3genE3ELNS1_11target_archE908ELNS1_3gpuE7ELNS1_3repE0EEENS1_60segmented_radix_sort_warp_sort_medium_config_static_selectorELNS0_4arch9wavefront6targetE0EEEvSK_,@function
_ZN7rocprim17ROCPRIM_400000_NS6detail17trampoline_kernelINS0_14default_configENS1_36segmented_radix_sort_config_selectorIilEEZNS1_25segmented_radix_sort_implIS3_Lb0EPKiPiPKlPlN2at6native12_GLOBAL__N_18offset_tEEE10hipError_tPvRmT1_PNSt15iterator_traitsISK_E10value_typeET2_T3_PNSL_ISQ_E10value_typeET4_jRbjT5_SW_jjP12ihipStream_tbEUlT_E0_NS1_11comp_targetILNS1_3genE3ELNS1_11target_archE908ELNS1_3gpuE7ELNS1_3repE0EEENS1_60segmented_radix_sort_warp_sort_medium_config_static_selectorELNS0_4arch9wavefront6targetE0EEEvSK_: ; @_ZN7rocprim17ROCPRIM_400000_NS6detail17trampoline_kernelINS0_14default_configENS1_36segmented_radix_sort_config_selectorIilEEZNS1_25segmented_radix_sort_implIS3_Lb0EPKiPiPKlPlN2at6native12_GLOBAL__N_18offset_tEEE10hipError_tPvRmT1_PNSt15iterator_traitsISK_E10value_typeET2_T3_PNSL_ISQ_E10value_typeET4_jRbjT5_SW_jjP12ihipStream_tbEUlT_E0_NS1_11comp_targetILNS1_3genE3ELNS1_11target_archE908ELNS1_3gpuE7ELNS1_3repE0EEENS1_60segmented_radix_sort_warp_sort_medium_config_static_selectorELNS0_4arch9wavefront6targetE0EEEvSK_
; %bb.0:
	.section	.rodata,"a",@progbits
	.p2align	6, 0x0
	.amdhsa_kernel _ZN7rocprim17ROCPRIM_400000_NS6detail17trampoline_kernelINS0_14default_configENS1_36segmented_radix_sort_config_selectorIilEEZNS1_25segmented_radix_sort_implIS3_Lb0EPKiPiPKlPlN2at6native12_GLOBAL__N_18offset_tEEE10hipError_tPvRmT1_PNSt15iterator_traitsISK_E10value_typeET2_T3_PNSL_ISQ_E10value_typeET4_jRbjT5_SW_jjP12ihipStream_tbEUlT_E0_NS1_11comp_targetILNS1_3genE3ELNS1_11target_archE908ELNS1_3gpuE7ELNS1_3repE0EEENS1_60segmented_radix_sort_warp_sort_medium_config_static_selectorELNS0_4arch9wavefront6targetE0EEEvSK_
		.amdhsa_group_segment_fixed_size 0
		.amdhsa_private_segment_fixed_size 0
		.amdhsa_kernarg_size 88
		.amdhsa_user_sgpr_count 2
		.amdhsa_user_sgpr_dispatch_ptr 0
		.amdhsa_user_sgpr_queue_ptr 0
		.amdhsa_user_sgpr_kernarg_segment_ptr 1
		.amdhsa_user_sgpr_dispatch_id 0
		.amdhsa_user_sgpr_private_segment_size 0
		.amdhsa_wavefront_size32 1
		.amdhsa_uses_dynamic_stack 0
		.amdhsa_enable_private_segment 0
		.amdhsa_system_sgpr_workgroup_id_x 1
		.amdhsa_system_sgpr_workgroup_id_y 0
		.amdhsa_system_sgpr_workgroup_id_z 0
		.amdhsa_system_sgpr_workgroup_info 0
		.amdhsa_system_vgpr_workitem_id 0
		.amdhsa_next_free_vgpr 1
		.amdhsa_next_free_sgpr 1
		.amdhsa_reserve_vcc 0
		.amdhsa_float_round_mode_32 0
		.amdhsa_float_round_mode_16_64 0
		.amdhsa_float_denorm_mode_32 3
		.amdhsa_float_denorm_mode_16_64 3
		.amdhsa_fp16_overflow 0
		.amdhsa_workgroup_processor_mode 1
		.amdhsa_memory_ordered 1
		.amdhsa_forward_progress 1
		.amdhsa_inst_pref_size 0
		.amdhsa_round_robin_scheduling 0
		.amdhsa_exception_fp_ieee_invalid_op 0
		.amdhsa_exception_fp_denorm_src 0
		.amdhsa_exception_fp_ieee_div_zero 0
		.amdhsa_exception_fp_ieee_overflow 0
		.amdhsa_exception_fp_ieee_underflow 0
		.amdhsa_exception_fp_ieee_inexact 0
		.amdhsa_exception_int_div_zero 0
	.end_amdhsa_kernel
	.section	.text._ZN7rocprim17ROCPRIM_400000_NS6detail17trampoline_kernelINS0_14default_configENS1_36segmented_radix_sort_config_selectorIilEEZNS1_25segmented_radix_sort_implIS3_Lb0EPKiPiPKlPlN2at6native12_GLOBAL__N_18offset_tEEE10hipError_tPvRmT1_PNSt15iterator_traitsISK_E10value_typeET2_T3_PNSL_ISQ_E10value_typeET4_jRbjT5_SW_jjP12ihipStream_tbEUlT_E0_NS1_11comp_targetILNS1_3genE3ELNS1_11target_archE908ELNS1_3gpuE7ELNS1_3repE0EEENS1_60segmented_radix_sort_warp_sort_medium_config_static_selectorELNS0_4arch9wavefront6targetE0EEEvSK_,"axG",@progbits,_ZN7rocprim17ROCPRIM_400000_NS6detail17trampoline_kernelINS0_14default_configENS1_36segmented_radix_sort_config_selectorIilEEZNS1_25segmented_radix_sort_implIS3_Lb0EPKiPiPKlPlN2at6native12_GLOBAL__N_18offset_tEEE10hipError_tPvRmT1_PNSt15iterator_traitsISK_E10value_typeET2_T3_PNSL_ISQ_E10value_typeET4_jRbjT5_SW_jjP12ihipStream_tbEUlT_E0_NS1_11comp_targetILNS1_3genE3ELNS1_11target_archE908ELNS1_3gpuE7ELNS1_3repE0EEENS1_60segmented_radix_sort_warp_sort_medium_config_static_selectorELNS0_4arch9wavefront6targetE0EEEvSK_,comdat
.Lfunc_end613:
	.size	_ZN7rocprim17ROCPRIM_400000_NS6detail17trampoline_kernelINS0_14default_configENS1_36segmented_radix_sort_config_selectorIilEEZNS1_25segmented_radix_sort_implIS3_Lb0EPKiPiPKlPlN2at6native12_GLOBAL__N_18offset_tEEE10hipError_tPvRmT1_PNSt15iterator_traitsISK_E10value_typeET2_T3_PNSL_ISQ_E10value_typeET4_jRbjT5_SW_jjP12ihipStream_tbEUlT_E0_NS1_11comp_targetILNS1_3genE3ELNS1_11target_archE908ELNS1_3gpuE7ELNS1_3repE0EEENS1_60segmented_radix_sort_warp_sort_medium_config_static_selectorELNS0_4arch9wavefront6targetE0EEEvSK_, .Lfunc_end613-_ZN7rocprim17ROCPRIM_400000_NS6detail17trampoline_kernelINS0_14default_configENS1_36segmented_radix_sort_config_selectorIilEEZNS1_25segmented_radix_sort_implIS3_Lb0EPKiPiPKlPlN2at6native12_GLOBAL__N_18offset_tEEE10hipError_tPvRmT1_PNSt15iterator_traitsISK_E10value_typeET2_T3_PNSL_ISQ_E10value_typeET4_jRbjT5_SW_jjP12ihipStream_tbEUlT_E0_NS1_11comp_targetILNS1_3genE3ELNS1_11target_archE908ELNS1_3gpuE7ELNS1_3repE0EEENS1_60segmented_radix_sort_warp_sort_medium_config_static_selectorELNS0_4arch9wavefront6targetE0EEEvSK_
                                        ; -- End function
	.set _ZN7rocprim17ROCPRIM_400000_NS6detail17trampoline_kernelINS0_14default_configENS1_36segmented_radix_sort_config_selectorIilEEZNS1_25segmented_radix_sort_implIS3_Lb0EPKiPiPKlPlN2at6native12_GLOBAL__N_18offset_tEEE10hipError_tPvRmT1_PNSt15iterator_traitsISK_E10value_typeET2_T3_PNSL_ISQ_E10value_typeET4_jRbjT5_SW_jjP12ihipStream_tbEUlT_E0_NS1_11comp_targetILNS1_3genE3ELNS1_11target_archE908ELNS1_3gpuE7ELNS1_3repE0EEENS1_60segmented_radix_sort_warp_sort_medium_config_static_selectorELNS0_4arch9wavefront6targetE0EEEvSK_.num_vgpr, 0
	.set _ZN7rocprim17ROCPRIM_400000_NS6detail17trampoline_kernelINS0_14default_configENS1_36segmented_radix_sort_config_selectorIilEEZNS1_25segmented_radix_sort_implIS3_Lb0EPKiPiPKlPlN2at6native12_GLOBAL__N_18offset_tEEE10hipError_tPvRmT1_PNSt15iterator_traitsISK_E10value_typeET2_T3_PNSL_ISQ_E10value_typeET4_jRbjT5_SW_jjP12ihipStream_tbEUlT_E0_NS1_11comp_targetILNS1_3genE3ELNS1_11target_archE908ELNS1_3gpuE7ELNS1_3repE0EEENS1_60segmented_radix_sort_warp_sort_medium_config_static_selectorELNS0_4arch9wavefront6targetE0EEEvSK_.num_agpr, 0
	.set _ZN7rocprim17ROCPRIM_400000_NS6detail17trampoline_kernelINS0_14default_configENS1_36segmented_radix_sort_config_selectorIilEEZNS1_25segmented_radix_sort_implIS3_Lb0EPKiPiPKlPlN2at6native12_GLOBAL__N_18offset_tEEE10hipError_tPvRmT1_PNSt15iterator_traitsISK_E10value_typeET2_T3_PNSL_ISQ_E10value_typeET4_jRbjT5_SW_jjP12ihipStream_tbEUlT_E0_NS1_11comp_targetILNS1_3genE3ELNS1_11target_archE908ELNS1_3gpuE7ELNS1_3repE0EEENS1_60segmented_radix_sort_warp_sort_medium_config_static_selectorELNS0_4arch9wavefront6targetE0EEEvSK_.numbered_sgpr, 0
	.set _ZN7rocprim17ROCPRIM_400000_NS6detail17trampoline_kernelINS0_14default_configENS1_36segmented_radix_sort_config_selectorIilEEZNS1_25segmented_radix_sort_implIS3_Lb0EPKiPiPKlPlN2at6native12_GLOBAL__N_18offset_tEEE10hipError_tPvRmT1_PNSt15iterator_traitsISK_E10value_typeET2_T3_PNSL_ISQ_E10value_typeET4_jRbjT5_SW_jjP12ihipStream_tbEUlT_E0_NS1_11comp_targetILNS1_3genE3ELNS1_11target_archE908ELNS1_3gpuE7ELNS1_3repE0EEENS1_60segmented_radix_sort_warp_sort_medium_config_static_selectorELNS0_4arch9wavefront6targetE0EEEvSK_.num_named_barrier, 0
	.set _ZN7rocprim17ROCPRIM_400000_NS6detail17trampoline_kernelINS0_14default_configENS1_36segmented_radix_sort_config_selectorIilEEZNS1_25segmented_radix_sort_implIS3_Lb0EPKiPiPKlPlN2at6native12_GLOBAL__N_18offset_tEEE10hipError_tPvRmT1_PNSt15iterator_traitsISK_E10value_typeET2_T3_PNSL_ISQ_E10value_typeET4_jRbjT5_SW_jjP12ihipStream_tbEUlT_E0_NS1_11comp_targetILNS1_3genE3ELNS1_11target_archE908ELNS1_3gpuE7ELNS1_3repE0EEENS1_60segmented_radix_sort_warp_sort_medium_config_static_selectorELNS0_4arch9wavefront6targetE0EEEvSK_.private_seg_size, 0
	.set _ZN7rocprim17ROCPRIM_400000_NS6detail17trampoline_kernelINS0_14default_configENS1_36segmented_radix_sort_config_selectorIilEEZNS1_25segmented_radix_sort_implIS3_Lb0EPKiPiPKlPlN2at6native12_GLOBAL__N_18offset_tEEE10hipError_tPvRmT1_PNSt15iterator_traitsISK_E10value_typeET2_T3_PNSL_ISQ_E10value_typeET4_jRbjT5_SW_jjP12ihipStream_tbEUlT_E0_NS1_11comp_targetILNS1_3genE3ELNS1_11target_archE908ELNS1_3gpuE7ELNS1_3repE0EEENS1_60segmented_radix_sort_warp_sort_medium_config_static_selectorELNS0_4arch9wavefront6targetE0EEEvSK_.uses_vcc, 0
	.set _ZN7rocprim17ROCPRIM_400000_NS6detail17trampoline_kernelINS0_14default_configENS1_36segmented_radix_sort_config_selectorIilEEZNS1_25segmented_radix_sort_implIS3_Lb0EPKiPiPKlPlN2at6native12_GLOBAL__N_18offset_tEEE10hipError_tPvRmT1_PNSt15iterator_traitsISK_E10value_typeET2_T3_PNSL_ISQ_E10value_typeET4_jRbjT5_SW_jjP12ihipStream_tbEUlT_E0_NS1_11comp_targetILNS1_3genE3ELNS1_11target_archE908ELNS1_3gpuE7ELNS1_3repE0EEENS1_60segmented_radix_sort_warp_sort_medium_config_static_selectorELNS0_4arch9wavefront6targetE0EEEvSK_.uses_flat_scratch, 0
	.set _ZN7rocprim17ROCPRIM_400000_NS6detail17trampoline_kernelINS0_14default_configENS1_36segmented_radix_sort_config_selectorIilEEZNS1_25segmented_radix_sort_implIS3_Lb0EPKiPiPKlPlN2at6native12_GLOBAL__N_18offset_tEEE10hipError_tPvRmT1_PNSt15iterator_traitsISK_E10value_typeET2_T3_PNSL_ISQ_E10value_typeET4_jRbjT5_SW_jjP12ihipStream_tbEUlT_E0_NS1_11comp_targetILNS1_3genE3ELNS1_11target_archE908ELNS1_3gpuE7ELNS1_3repE0EEENS1_60segmented_radix_sort_warp_sort_medium_config_static_selectorELNS0_4arch9wavefront6targetE0EEEvSK_.has_dyn_sized_stack, 0
	.set _ZN7rocprim17ROCPRIM_400000_NS6detail17trampoline_kernelINS0_14default_configENS1_36segmented_radix_sort_config_selectorIilEEZNS1_25segmented_radix_sort_implIS3_Lb0EPKiPiPKlPlN2at6native12_GLOBAL__N_18offset_tEEE10hipError_tPvRmT1_PNSt15iterator_traitsISK_E10value_typeET2_T3_PNSL_ISQ_E10value_typeET4_jRbjT5_SW_jjP12ihipStream_tbEUlT_E0_NS1_11comp_targetILNS1_3genE3ELNS1_11target_archE908ELNS1_3gpuE7ELNS1_3repE0EEENS1_60segmented_radix_sort_warp_sort_medium_config_static_selectorELNS0_4arch9wavefront6targetE0EEEvSK_.has_recursion, 0
	.set _ZN7rocprim17ROCPRIM_400000_NS6detail17trampoline_kernelINS0_14default_configENS1_36segmented_radix_sort_config_selectorIilEEZNS1_25segmented_radix_sort_implIS3_Lb0EPKiPiPKlPlN2at6native12_GLOBAL__N_18offset_tEEE10hipError_tPvRmT1_PNSt15iterator_traitsISK_E10value_typeET2_T3_PNSL_ISQ_E10value_typeET4_jRbjT5_SW_jjP12ihipStream_tbEUlT_E0_NS1_11comp_targetILNS1_3genE3ELNS1_11target_archE908ELNS1_3gpuE7ELNS1_3repE0EEENS1_60segmented_radix_sort_warp_sort_medium_config_static_selectorELNS0_4arch9wavefront6targetE0EEEvSK_.has_indirect_call, 0
	.section	.AMDGPU.csdata,"",@progbits
; Kernel info:
; codeLenInByte = 0
; TotalNumSgprs: 0
; NumVgprs: 0
; ScratchSize: 0
; MemoryBound: 0
; FloatMode: 240
; IeeeMode: 1
; LDSByteSize: 0 bytes/workgroup (compile time only)
; SGPRBlocks: 0
; VGPRBlocks: 0
; NumSGPRsForWavesPerEU: 1
; NumVGPRsForWavesPerEU: 1
; Occupancy: 16
; WaveLimiterHint : 0
; COMPUTE_PGM_RSRC2:SCRATCH_EN: 0
; COMPUTE_PGM_RSRC2:USER_SGPR: 2
; COMPUTE_PGM_RSRC2:TRAP_HANDLER: 0
; COMPUTE_PGM_RSRC2:TGID_X_EN: 1
; COMPUTE_PGM_RSRC2:TGID_Y_EN: 0
; COMPUTE_PGM_RSRC2:TGID_Z_EN: 0
; COMPUTE_PGM_RSRC2:TIDIG_COMP_CNT: 0
	.section	.text._ZN7rocprim17ROCPRIM_400000_NS6detail17trampoline_kernelINS0_14default_configENS1_36segmented_radix_sort_config_selectorIilEEZNS1_25segmented_radix_sort_implIS3_Lb0EPKiPiPKlPlN2at6native12_GLOBAL__N_18offset_tEEE10hipError_tPvRmT1_PNSt15iterator_traitsISK_E10value_typeET2_T3_PNSL_ISQ_E10value_typeET4_jRbjT5_SW_jjP12ihipStream_tbEUlT_E0_NS1_11comp_targetILNS1_3genE2ELNS1_11target_archE906ELNS1_3gpuE6ELNS1_3repE0EEENS1_60segmented_radix_sort_warp_sort_medium_config_static_selectorELNS0_4arch9wavefront6targetE0EEEvSK_,"axG",@progbits,_ZN7rocprim17ROCPRIM_400000_NS6detail17trampoline_kernelINS0_14default_configENS1_36segmented_radix_sort_config_selectorIilEEZNS1_25segmented_radix_sort_implIS3_Lb0EPKiPiPKlPlN2at6native12_GLOBAL__N_18offset_tEEE10hipError_tPvRmT1_PNSt15iterator_traitsISK_E10value_typeET2_T3_PNSL_ISQ_E10value_typeET4_jRbjT5_SW_jjP12ihipStream_tbEUlT_E0_NS1_11comp_targetILNS1_3genE2ELNS1_11target_archE906ELNS1_3gpuE6ELNS1_3repE0EEENS1_60segmented_radix_sort_warp_sort_medium_config_static_selectorELNS0_4arch9wavefront6targetE0EEEvSK_,comdat
	.globl	_ZN7rocprim17ROCPRIM_400000_NS6detail17trampoline_kernelINS0_14default_configENS1_36segmented_radix_sort_config_selectorIilEEZNS1_25segmented_radix_sort_implIS3_Lb0EPKiPiPKlPlN2at6native12_GLOBAL__N_18offset_tEEE10hipError_tPvRmT1_PNSt15iterator_traitsISK_E10value_typeET2_T3_PNSL_ISQ_E10value_typeET4_jRbjT5_SW_jjP12ihipStream_tbEUlT_E0_NS1_11comp_targetILNS1_3genE2ELNS1_11target_archE906ELNS1_3gpuE6ELNS1_3repE0EEENS1_60segmented_radix_sort_warp_sort_medium_config_static_selectorELNS0_4arch9wavefront6targetE0EEEvSK_ ; -- Begin function _ZN7rocprim17ROCPRIM_400000_NS6detail17trampoline_kernelINS0_14default_configENS1_36segmented_radix_sort_config_selectorIilEEZNS1_25segmented_radix_sort_implIS3_Lb0EPKiPiPKlPlN2at6native12_GLOBAL__N_18offset_tEEE10hipError_tPvRmT1_PNSt15iterator_traitsISK_E10value_typeET2_T3_PNSL_ISQ_E10value_typeET4_jRbjT5_SW_jjP12ihipStream_tbEUlT_E0_NS1_11comp_targetILNS1_3genE2ELNS1_11target_archE906ELNS1_3gpuE6ELNS1_3repE0EEENS1_60segmented_radix_sort_warp_sort_medium_config_static_selectorELNS0_4arch9wavefront6targetE0EEEvSK_
	.p2align	8
	.type	_ZN7rocprim17ROCPRIM_400000_NS6detail17trampoline_kernelINS0_14default_configENS1_36segmented_radix_sort_config_selectorIilEEZNS1_25segmented_radix_sort_implIS3_Lb0EPKiPiPKlPlN2at6native12_GLOBAL__N_18offset_tEEE10hipError_tPvRmT1_PNSt15iterator_traitsISK_E10value_typeET2_T3_PNSL_ISQ_E10value_typeET4_jRbjT5_SW_jjP12ihipStream_tbEUlT_E0_NS1_11comp_targetILNS1_3genE2ELNS1_11target_archE906ELNS1_3gpuE6ELNS1_3repE0EEENS1_60segmented_radix_sort_warp_sort_medium_config_static_selectorELNS0_4arch9wavefront6targetE0EEEvSK_,@function
_ZN7rocprim17ROCPRIM_400000_NS6detail17trampoline_kernelINS0_14default_configENS1_36segmented_radix_sort_config_selectorIilEEZNS1_25segmented_radix_sort_implIS3_Lb0EPKiPiPKlPlN2at6native12_GLOBAL__N_18offset_tEEE10hipError_tPvRmT1_PNSt15iterator_traitsISK_E10value_typeET2_T3_PNSL_ISQ_E10value_typeET4_jRbjT5_SW_jjP12ihipStream_tbEUlT_E0_NS1_11comp_targetILNS1_3genE2ELNS1_11target_archE906ELNS1_3gpuE6ELNS1_3repE0EEENS1_60segmented_radix_sort_warp_sort_medium_config_static_selectorELNS0_4arch9wavefront6targetE0EEEvSK_: ; @_ZN7rocprim17ROCPRIM_400000_NS6detail17trampoline_kernelINS0_14default_configENS1_36segmented_radix_sort_config_selectorIilEEZNS1_25segmented_radix_sort_implIS3_Lb0EPKiPiPKlPlN2at6native12_GLOBAL__N_18offset_tEEE10hipError_tPvRmT1_PNSt15iterator_traitsISK_E10value_typeET2_T3_PNSL_ISQ_E10value_typeET4_jRbjT5_SW_jjP12ihipStream_tbEUlT_E0_NS1_11comp_targetILNS1_3genE2ELNS1_11target_archE906ELNS1_3gpuE6ELNS1_3repE0EEENS1_60segmented_radix_sort_warp_sort_medium_config_static_selectorELNS0_4arch9wavefront6targetE0EEEvSK_
; %bb.0:
	.section	.rodata,"a",@progbits
	.p2align	6, 0x0
	.amdhsa_kernel _ZN7rocprim17ROCPRIM_400000_NS6detail17trampoline_kernelINS0_14default_configENS1_36segmented_radix_sort_config_selectorIilEEZNS1_25segmented_radix_sort_implIS3_Lb0EPKiPiPKlPlN2at6native12_GLOBAL__N_18offset_tEEE10hipError_tPvRmT1_PNSt15iterator_traitsISK_E10value_typeET2_T3_PNSL_ISQ_E10value_typeET4_jRbjT5_SW_jjP12ihipStream_tbEUlT_E0_NS1_11comp_targetILNS1_3genE2ELNS1_11target_archE906ELNS1_3gpuE6ELNS1_3repE0EEENS1_60segmented_radix_sort_warp_sort_medium_config_static_selectorELNS0_4arch9wavefront6targetE0EEEvSK_
		.amdhsa_group_segment_fixed_size 0
		.amdhsa_private_segment_fixed_size 0
		.amdhsa_kernarg_size 88
		.amdhsa_user_sgpr_count 2
		.amdhsa_user_sgpr_dispatch_ptr 0
		.amdhsa_user_sgpr_queue_ptr 0
		.amdhsa_user_sgpr_kernarg_segment_ptr 1
		.amdhsa_user_sgpr_dispatch_id 0
		.amdhsa_user_sgpr_private_segment_size 0
		.amdhsa_wavefront_size32 1
		.amdhsa_uses_dynamic_stack 0
		.amdhsa_enable_private_segment 0
		.amdhsa_system_sgpr_workgroup_id_x 1
		.amdhsa_system_sgpr_workgroup_id_y 0
		.amdhsa_system_sgpr_workgroup_id_z 0
		.amdhsa_system_sgpr_workgroup_info 0
		.amdhsa_system_vgpr_workitem_id 0
		.amdhsa_next_free_vgpr 1
		.amdhsa_next_free_sgpr 1
		.amdhsa_reserve_vcc 0
		.amdhsa_float_round_mode_32 0
		.amdhsa_float_round_mode_16_64 0
		.amdhsa_float_denorm_mode_32 3
		.amdhsa_float_denorm_mode_16_64 3
		.amdhsa_fp16_overflow 0
		.amdhsa_workgroup_processor_mode 1
		.amdhsa_memory_ordered 1
		.amdhsa_forward_progress 1
		.amdhsa_inst_pref_size 0
		.amdhsa_round_robin_scheduling 0
		.amdhsa_exception_fp_ieee_invalid_op 0
		.amdhsa_exception_fp_denorm_src 0
		.amdhsa_exception_fp_ieee_div_zero 0
		.amdhsa_exception_fp_ieee_overflow 0
		.amdhsa_exception_fp_ieee_underflow 0
		.amdhsa_exception_fp_ieee_inexact 0
		.amdhsa_exception_int_div_zero 0
	.end_amdhsa_kernel
	.section	.text._ZN7rocprim17ROCPRIM_400000_NS6detail17trampoline_kernelINS0_14default_configENS1_36segmented_radix_sort_config_selectorIilEEZNS1_25segmented_radix_sort_implIS3_Lb0EPKiPiPKlPlN2at6native12_GLOBAL__N_18offset_tEEE10hipError_tPvRmT1_PNSt15iterator_traitsISK_E10value_typeET2_T3_PNSL_ISQ_E10value_typeET4_jRbjT5_SW_jjP12ihipStream_tbEUlT_E0_NS1_11comp_targetILNS1_3genE2ELNS1_11target_archE906ELNS1_3gpuE6ELNS1_3repE0EEENS1_60segmented_radix_sort_warp_sort_medium_config_static_selectorELNS0_4arch9wavefront6targetE0EEEvSK_,"axG",@progbits,_ZN7rocprim17ROCPRIM_400000_NS6detail17trampoline_kernelINS0_14default_configENS1_36segmented_radix_sort_config_selectorIilEEZNS1_25segmented_radix_sort_implIS3_Lb0EPKiPiPKlPlN2at6native12_GLOBAL__N_18offset_tEEE10hipError_tPvRmT1_PNSt15iterator_traitsISK_E10value_typeET2_T3_PNSL_ISQ_E10value_typeET4_jRbjT5_SW_jjP12ihipStream_tbEUlT_E0_NS1_11comp_targetILNS1_3genE2ELNS1_11target_archE906ELNS1_3gpuE6ELNS1_3repE0EEENS1_60segmented_radix_sort_warp_sort_medium_config_static_selectorELNS0_4arch9wavefront6targetE0EEEvSK_,comdat
.Lfunc_end614:
	.size	_ZN7rocprim17ROCPRIM_400000_NS6detail17trampoline_kernelINS0_14default_configENS1_36segmented_radix_sort_config_selectorIilEEZNS1_25segmented_radix_sort_implIS3_Lb0EPKiPiPKlPlN2at6native12_GLOBAL__N_18offset_tEEE10hipError_tPvRmT1_PNSt15iterator_traitsISK_E10value_typeET2_T3_PNSL_ISQ_E10value_typeET4_jRbjT5_SW_jjP12ihipStream_tbEUlT_E0_NS1_11comp_targetILNS1_3genE2ELNS1_11target_archE906ELNS1_3gpuE6ELNS1_3repE0EEENS1_60segmented_radix_sort_warp_sort_medium_config_static_selectorELNS0_4arch9wavefront6targetE0EEEvSK_, .Lfunc_end614-_ZN7rocprim17ROCPRIM_400000_NS6detail17trampoline_kernelINS0_14default_configENS1_36segmented_radix_sort_config_selectorIilEEZNS1_25segmented_radix_sort_implIS3_Lb0EPKiPiPKlPlN2at6native12_GLOBAL__N_18offset_tEEE10hipError_tPvRmT1_PNSt15iterator_traitsISK_E10value_typeET2_T3_PNSL_ISQ_E10value_typeET4_jRbjT5_SW_jjP12ihipStream_tbEUlT_E0_NS1_11comp_targetILNS1_3genE2ELNS1_11target_archE906ELNS1_3gpuE6ELNS1_3repE0EEENS1_60segmented_radix_sort_warp_sort_medium_config_static_selectorELNS0_4arch9wavefront6targetE0EEEvSK_
                                        ; -- End function
	.set _ZN7rocprim17ROCPRIM_400000_NS6detail17trampoline_kernelINS0_14default_configENS1_36segmented_radix_sort_config_selectorIilEEZNS1_25segmented_radix_sort_implIS3_Lb0EPKiPiPKlPlN2at6native12_GLOBAL__N_18offset_tEEE10hipError_tPvRmT1_PNSt15iterator_traitsISK_E10value_typeET2_T3_PNSL_ISQ_E10value_typeET4_jRbjT5_SW_jjP12ihipStream_tbEUlT_E0_NS1_11comp_targetILNS1_3genE2ELNS1_11target_archE906ELNS1_3gpuE6ELNS1_3repE0EEENS1_60segmented_radix_sort_warp_sort_medium_config_static_selectorELNS0_4arch9wavefront6targetE0EEEvSK_.num_vgpr, 0
	.set _ZN7rocprim17ROCPRIM_400000_NS6detail17trampoline_kernelINS0_14default_configENS1_36segmented_radix_sort_config_selectorIilEEZNS1_25segmented_radix_sort_implIS3_Lb0EPKiPiPKlPlN2at6native12_GLOBAL__N_18offset_tEEE10hipError_tPvRmT1_PNSt15iterator_traitsISK_E10value_typeET2_T3_PNSL_ISQ_E10value_typeET4_jRbjT5_SW_jjP12ihipStream_tbEUlT_E0_NS1_11comp_targetILNS1_3genE2ELNS1_11target_archE906ELNS1_3gpuE6ELNS1_3repE0EEENS1_60segmented_radix_sort_warp_sort_medium_config_static_selectorELNS0_4arch9wavefront6targetE0EEEvSK_.num_agpr, 0
	.set _ZN7rocprim17ROCPRIM_400000_NS6detail17trampoline_kernelINS0_14default_configENS1_36segmented_radix_sort_config_selectorIilEEZNS1_25segmented_radix_sort_implIS3_Lb0EPKiPiPKlPlN2at6native12_GLOBAL__N_18offset_tEEE10hipError_tPvRmT1_PNSt15iterator_traitsISK_E10value_typeET2_T3_PNSL_ISQ_E10value_typeET4_jRbjT5_SW_jjP12ihipStream_tbEUlT_E0_NS1_11comp_targetILNS1_3genE2ELNS1_11target_archE906ELNS1_3gpuE6ELNS1_3repE0EEENS1_60segmented_radix_sort_warp_sort_medium_config_static_selectorELNS0_4arch9wavefront6targetE0EEEvSK_.numbered_sgpr, 0
	.set _ZN7rocprim17ROCPRIM_400000_NS6detail17trampoline_kernelINS0_14default_configENS1_36segmented_radix_sort_config_selectorIilEEZNS1_25segmented_radix_sort_implIS3_Lb0EPKiPiPKlPlN2at6native12_GLOBAL__N_18offset_tEEE10hipError_tPvRmT1_PNSt15iterator_traitsISK_E10value_typeET2_T3_PNSL_ISQ_E10value_typeET4_jRbjT5_SW_jjP12ihipStream_tbEUlT_E0_NS1_11comp_targetILNS1_3genE2ELNS1_11target_archE906ELNS1_3gpuE6ELNS1_3repE0EEENS1_60segmented_radix_sort_warp_sort_medium_config_static_selectorELNS0_4arch9wavefront6targetE0EEEvSK_.num_named_barrier, 0
	.set _ZN7rocprim17ROCPRIM_400000_NS6detail17trampoline_kernelINS0_14default_configENS1_36segmented_radix_sort_config_selectorIilEEZNS1_25segmented_radix_sort_implIS3_Lb0EPKiPiPKlPlN2at6native12_GLOBAL__N_18offset_tEEE10hipError_tPvRmT1_PNSt15iterator_traitsISK_E10value_typeET2_T3_PNSL_ISQ_E10value_typeET4_jRbjT5_SW_jjP12ihipStream_tbEUlT_E0_NS1_11comp_targetILNS1_3genE2ELNS1_11target_archE906ELNS1_3gpuE6ELNS1_3repE0EEENS1_60segmented_radix_sort_warp_sort_medium_config_static_selectorELNS0_4arch9wavefront6targetE0EEEvSK_.private_seg_size, 0
	.set _ZN7rocprim17ROCPRIM_400000_NS6detail17trampoline_kernelINS0_14default_configENS1_36segmented_radix_sort_config_selectorIilEEZNS1_25segmented_radix_sort_implIS3_Lb0EPKiPiPKlPlN2at6native12_GLOBAL__N_18offset_tEEE10hipError_tPvRmT1_PNSt15iterator_traitsISK_E10value_typeET2_T3_PNSL_ISQ_E10value_typeET4_jRbjT5_SW_jjP12ihipStream_tbEUlT_E0_NS1_11comp_targetILNS1_3genE2ELNS1_11target_archE906ELNS1_3gpuE6ELNS1_3repE0EEENS1_60segmented_radix_sort_warp_sort_medium_config_static_selectorELNS0_4arch9wavefront6targetE0EEEvSK_.uses_vcc, 0
	.set _ZN7rocprim17ROCPRIM_400000_NS6detail17trampoline_kernelINS0_14default_configENS1_36segmented_radix_sort_config_selectorIilEEZNS1_25segmented_radix_sort_implIS3_Lb0EPKiPiPKlPlN2at6native12_GLOBAL__N_18offset_tEEE10hipError_tPvRmT1_PNSt15iterator_traitsISK_E10value_typeET2_T3_PNSL_ISQ_E10value_typeET4_jRbjT5_SW_jjP12ihipStream_tbEUlT_E0_NS1_11comp_targetILNS1_3genE2ELNS1_11target_archE906ELNS1_3gpuE6ELNS1_3repE0EEENS1_60segmented_radix_sort_warp_sort_medium_config_static_selectorELNS0_4arch9wavefront6targetE0EEEvSK_.uses_flat_scratch, 0
	.set _ZN7rocprim17ROCPRIM_400000_NS6detail17trampoline_kernelINS0_14default_configENS1_36segmented_radix_sort_config_selectorIilEEZNS1_25segmented_radix_sort_implIS3_Lb0EPKiPiPKlPlN2at6native12_GLOBAL__N_18offset_tEEE10hipError_tPvRmT1_PNSt15iterator_traitsISK_E10value_typeET2_T3_PNSL_ISQ_E10value_typeET4_jRbjT5_SW_jjP12ihipStream_tbEUlT_E0_NS1_11comp_targetILNS1_3genE2ELNS1_11target_archE906ELNS1_3gpuE6ELNS1_3repE0EEENS1_60segmented_radix_sort_warp_sort_medium_config_static_selectorELNS0_4arch9wavefront6targetE0EEEvSK_.has_dyn_sized_stack, 0
	.set _ZN7rocprim17ROCPRIM_400000_NS6detail17trampoline_kernelINS0_14default_configENS1_36segmented_radix_sort_config_selectorIilEEZNS1_25segmented_radix_sort_implIS3_Lb0EPKiPiPKlPlN2at6native12_GLOBAL__N_18offset_tEEE10hipError_tPvRmT1_PNSt15iterator_traitsISK_E10value_typeET2_T3_PNSL_ISQ_E10value_typeET4_jRbjT5_SW_jjP12ihipStream_tbEUlT_E0_NS1_11comp_targetILNS1_3genE2ELNS1_11target_archE906ELNS1_3gpuE6ELNS1_3repE0EEENS1_60segmented_radix_sort_warp_sort_medium_config_static_selectorELNS0_4arch9wavefront6targetE0EEEvSK_.has_recursion, 0
	.set _ZN7rocprim17ROCPRIM_400000_NS6detail17trampoline_kernelINS0_14default_configENS1_36segmented_radix_sort_config_selectorIilEEZNS1_25segmented_radix_sort_implIS3_Lb0EPKiPiPKlPlN2at6native12_GLOBAL__N_18offset_tEEE10hipError_tPvRmT1_PNSt15iterator_traitsISK_E10value_typeET2_T3_PNSL_ISQ_E10value_typeET4_jRbjT5_SW_jjP12ihipStream_tbEUlT_E0_NS1_11comp_targetILNS1_3genE2ELNS1_11target_archE906ELNS1_3gpuE6ELNS1_3repE0EEENS1_60segmented_radix_sort_warp_sort_medium_config_static_selectorELNS0_4arch9wavefront6targetE0EEEvSK_.has_indirect_call, 0
	.section	.AMDGPU.csdata,"",@progbits
; Kernel info:
; codeLenInByte = 0
; TotalNumSgprs: 0
; NumVgprs: 0
; ScratchSize: 0
; MemoryBound: 0
; FloatMode: 240
; IeeeMode: 1
; LDSByteSize: 0 bytes/workgroup (compile time only)
; SGPRBlocks: 0
; VGPRBlocks: 0
; NumSGPRsForWavesPerEU: 1
; NumVGPRsForWavesPerEU: 1
; Occupancy: 16
; WaveLimiterHint : 0
; COMPUTE_PGM_RSRC2:SCRATCH_EN: 0
; COMPUTE_PGM_RSRC2:USER_SGPR: 2
; COMPUTE_PGM_RSRC2:TRAP_HANDLER: 0
; COMPUTE_PGM_RSRC2:TGID_X_EN: 1
; COMPUTE_PGM_RSRC2:TGID_Y_EN: 0
; COMPUTE_PGM_RSRC2:TGID_Z_EN: 0
; COMPUTE_PGM_RSRC2:TIDIG_COMP_CNT: 0
	.text
	.p2align	2                               ; -- Begin function _ZN7rocprim17ROCPRIM_400000_NS6detail26segmented_warp_sort_helperINS1_20WarpSortHelperConfigILj16ELj8ELj256EEEilLi256ELb0EvE4sortIPKiPiPKlPlEEvT_T0_T1_T2_jjjjRNS5_12storage_typeE
	.type	_ZN7rocprim17ROCPRIM_400000_NS6detail26segmented_warp_sort_helperINS1_20WarpSortHelperConfigILj16ELj8ELj256EEEilLi256ELb0EvE4sortIPKiPiPKlPlEEvT_T0_T1_T2_jjjjRNS5_12storage_typeE,@function
_ZN7rocprim17ROCPRIM_400000_NS6detail26segmented_warp_sort_helperINS1_20WarpSortHelperConfigILj16ELj8ELj256EEEilLi256ELb0EvE4sortIPKiPiPKlPlEEvT_T0_T1_T2_jjjjRNS5_12storage_typeE: ; @_ZN7rocprim17ROCPRIM_400000_NS6detail26segmented_warp_sort_helperINS1_20WarpSortHelperConfigILj16ELj8ELj256EEEilLi256ELb0EvE4sortIPKiPiPKlPlEEvT_T0_T1_T2_jjjjRNS5_12storage_typeE
; %bb.0:
	s_wait_loadcnt_dscnt 0x0
	s_wait_expcnt 0x0
	s_wait_samplecnt 0x0
	s_wait_bvhcnt 0x0
	s_wait_kmcnt 0x0
	v_mov_b32_e32 v12, v9
	v_mbcnt_lo_u32_b32 v9, -1, 0
	v_bfrev_b32_e32 v16, -2
	v_bfrev_b32_e32 v15, -2
	s_delay_alu instid0(VALU_DEP_3) | instskip(SKIP_2) | instid1(VALU_DEP_3)
	v_lshlrev_b32_e32 v49, 3, v9
	v_mov_b32_e32 v9, 0
	v_sub_nc_u32_e32 v12, v12, v8
	v_and_b32_e32 v50, 0x78, v49
	s_delay_alu instid0(VALU_DEP_3) | instskip(NEXT) | instid1(VALU_DEP_2)
	v_lshlrev_b64_e32 v[13:14], 2, v[8:9]
	v_lshlrev_b32_e32 v48, 2, v50
	s_delay_alu instid0(VALU_DEP_2) | instskip(SKIP_1) | instid1(VALU_DEP_3)
	v_add_co_u32 v0, vcc_lo, v0, v13
	s_wait_alu 0xfffd
	v_add_co_ci_u32_e64 v1, null, v1, v14, vcc_lo
	s_delay_alu instid0(VALU_DEP_2) | instskip(SKIP_1) | instid1(VALU_DEP_2)
	v_add_co_u32 v0, vcc_lo, v0, v48
	s_wait_alu 0xfffd
	v_add_co_ci_u32_e64 v1, null, 0, v1, vcc_lo
	v_cmp_lt_u32_e32 vcc_lo, v50, v12
	s_and_saveexec_b32 s0, vcc_lo
	s_cbranch_execz .LBB615_2
; %bb.1:
	flat_load_b32 v15, v[0:1]
.LBB615_2:
	s_wait_alu 0xfffe
	s_or_b32 exec_lo, exec_lo, s0
	v_or_b32_e32 v17, 1, v50
	s_delay_alu instid0(VALU_DEP_1)
	v_cmp_lt_u32_e64 s0, v17, v12
	s_and_saveexec_b32 s1, s0
	s_cbranch_execz .LBB615_4
; %bb.3:
	flat_load_b32 v16, v[0:1] offset:4
.LBB615_4:
	s_wait_alu 0xfffe
	s_or_b32 exec_lo, exec_lo, s1
	v_or_b32_e32 v17, 2, v50
	v_bfrev_b32_e32 v26, -2
	v_bfrev_b32_e32 v25, -2
	s_delay_alu instid0(VALU_DEP_3)
	v_cmp_lt_u32_e64 s1, v17, v12
	s_and_saveexec_b32 s2, s1
	s_cbranch_execz .LBB615_6
; %bb.5:
	flat_load_b32 v25, v[0:1] offset:8
.LBB615_6:
	s_wait_alu 0xfffe
	s_or_b32 exec_lo, exec_lo, s2
	v_or_b32_e32 v17, 3, v50
	s_delay_alu instid0(VALU_DEP_1)
	v_cmp_lt_u32_e64 s2, v17, v12
	s_and_saveexec_b32 s3, s2
	s_cbranch_execz .LBB615_8
; %bb.7:
	flat_load_b32 v26, v[0:1] offset:12
.LBB615_8:
	s_wait_alu 0xfffe
	s_or_b32 exec_lo, exec_lo, s3
	v_or_b32_e32 v17, 4, v50
	v_bfrev_b32_e32 v20, -2
	v_bfrev_b32_e32 v19, -2
	s_delay_alu instid0(VALU_DEP_3)
	v_cmp_lt_u32_e64 s3, v17, v12
	s_and_saveexec_b32 s4, s3
	s_cbranch_execz .LBB615_10
; %bb.9:
	flat_load_b32 v19, v[0:1] offset:16
.LBB615_10:
	s_wait_alu 0xfffe
	s_or_b32 exec_lo, exec_lo, s4
	v_or_b32_e32 v17, 5, v50
	s_delay_alu instid0(VALU_DEP_1)
	v_cmp_lt_u32_e64 s4, v17, v12
	s_and_saveexec_b32 s5, s4
	s_cbranch_execz .LBB615_12
; %bb.11:
	flat_load_b32 v20, v[0:1] offset:20
.LBB615_12:
	s_wait_alu 0xfffe
	s_or_b32 exec_lo, exec_lo, s5
	v_or_b32_e32 v17, 6, v50
	v_bfrev_b32_e32 v18, -2
	s_delay_alu instid0(VALU_DEP_2)
	v_cmp_lt_u32_e64 s5, v17, v12
	v_bfrev_b32_e32 v17, -2
	s_and_saveexec_b32 s6, s5
	s_cbranch_execz .LBB615_14
; %bb.13:
	flat_load_b32 v17, v[0:1] offset:24
.LBB615_14:
	s_wait_alu 0xfffe
	s_or_b32 exec_lo, exec_lo, s6
	v_or_b32_e32 v21, 7, v50
	s_delay_alu instid0(VALU_DEP_1)
	v_cmp_lt_u32_e64 s6, v21, v12
	s_and_saveexec_b32 s7, s6
	s_cbranch_execz .LBB615_16
; %bb.15:
	flat_load_b32 v18, v[0:1] offset:28
.LBB615_16:
	s_wait_alu 0xfffe
	s_or_b32 exec_lo, exec_lo, s7
	v_lshlrev_b64_e32 v[0:1], 3, v[8:9]
	v_lshlrev_b32_e32 v12, 3, v50
	; wave barrier
	s_delay_alu instid0(VALU_DEP_2) | instskip(SKIP_1) | instid1(VALU_DEP_3)
	v_add_co_u32 v4, s7, v4, v0
	s_wait_alu 0xf1ff
	v_add_co_ci_u32_e64 v5, null, v5, v1, s7
	s_delay_alu instid0(VALU_DEP_2) | instskip(SKIP_1) | instid1(VALU_DEP_2)
	v_add_co_u32 v36, s7, v4, v12
	s_wait_alu 0xf1ff
	v_add_co_ci_u32_e64 v37, null, 0, v5, s7
                                        ; implicit-def: $vgpr4_vgpr5
	s_and_saveexec_b32 s7, vcc_lo
	s_cbranch_execnz .LBB615_243
; %bb.17:
	s_wait_alu 0xfffe
	s_or_b32 exec_lo, exec_lo, s7
	s_and_saveexec_b32 s7, s0
                                        ; implicit-def: $vgpr21_vgpr22
	s_cbranch_execnz .LBB615_244
.LBB615_18:
	s_wait_alu 0xfffe
	s_or_b32 exec_lo, exec_lo, s7
                                        ; implicit-def: $vgpr23_vgpr24
	s_and_saveexec_b32 s7, s1
	s_cbranch_execnz .LBB615_245
.LBB615_19:
	s_wait_alu 0xfffe
	s_or_b32 exec_lo, exec_lo, s7
	s_and_saveexec_b32 s7, s2
                                        ; implicit-def: $vgpr27_vgpr28
	s_cbranch_execnz .LBB615_246
.LBB615_20:
	s_wait_alu 0xfffe
	s_or_b32 exec_lo, exec_lo, s7
                                        ; implicit-def: $vgpr29_vgpr30
	s_and_saveexec_b32 s7, s3
	s_cbranch_execnz .LBB615_247
.LBB615_21:
	s_wait_alu 0xfffe
	s_or_b32 exec_lo, exec_lo, s7
	s_and_saveexec_b32 s7, s4
                                        ; implicit-def: $vgpr34_vgpr35
	s_cbranch_execnz .LBB615_248
.LBB615_22:
	s_wait_alu 0xfffe
	s_or_b32 exec_lo, exec_lo, s7
                                        ; implicit-def: $vgpr8_vgpr9
	s_and_saveexec_b32 s7, s5
	s_cbranch_execnz .LBB615_249
.LBB615_23:
	s_wait_alu 0xfffe
	s_or_b32 exec_lo, exec_lo, s7
	s_and_saveexec_b32 s7, s6
                                        ; implicit-def: $vgpr32_vgpr33
	s_cbranch_execz .LBB615_25
.LBB615_24:
	flat_load_b64 v[32:33], v[36:37] offset:56
.LBB615_25:
	s_wait_alu 0xfffe
	s_or_b32 exec_lo, exec_lo, s7
	v_cmp_ne_u32_e64 s7, 0, v10
	v_cmp_ne_u32_e64 s10, 32, v11
	v_bfe_u32 v36, v31, 10, 10
	v_bfe_u32 v37, v31, 20, 10
	v_and_b32_e32 v31, 0x3ff, v31
	s_mov_b32 s11, 0
	s_or_b32 s7, s7, s10
	; wave barrier
	s_wait_alu 0xfffe
	s_and_saveexec_b32 s10, s7
	s_wait_alu 0xfffe
	s_xor_b32 s19, exec_lo, s10
	s_cbranch_execz .LBB615_125
; %bb.26:
	s_load_b64 s[12:13], s[8:9], 0x0
	s_and_b32 s7, ttmp7, 0xffff
	v_lshlrev_b32_e64 v11, v11, -1
	v_lshlrev_b32_e64 v10, v10, -1
	s_delay_alu instid0(VALU_DEP_1)
	v_xor_b32_e32 v51, v11, v10
	s_wait_kmcnt 0x0
	s_wait_alu 0xfffe
	s_cmp_lt_u32 s7, s13
	s_cselect_b32 s10, 14, 20
	s_cmp_lt_u32 ttmp9, s12
	s_wait_alu 0xfffe
	s_add_nc_u64 s[14:15], s[8:9], s[10:11]
	s_cselect_b32 s10, 12, 18
	s_load_u16 s7, s[14:15], 0x0
	s_add_nc_u64 s[10:11], s[8:9], s[10:11]
	s_load_u16 s10, s[10:11], 0x0
	s_wait_kmcnt 0x0
	v_mad_u32_u24 v36, v37, s7, v36
	s_delay_alu instid0(VALU_DEP_1) | instskip(SKIP_1) | instid1(VALU_DEP_1)
	v_mul_lo_u32 v36, v36, s10
	s_mov_b32 s10, exec_lo
	v_add_lshl_u32 v52, v36, v31, 3
	s_delay_alu instid0(VALU_DEP_1)
	v_cmpx_gt_u32_e32 0x800, v52
	s_cbranch_execz .LBB615_84
; %bb.27:
	s_wait_loadcnt_dscnt 0x0
	v_dual_mov_b32 v37, v22 :: v_dual_and_b32 v10, v16, v51
	v_dual_mov_b32 v36, v21 :: v_dual_and_b32 v11, v15, v51
	v_mov_b32_e32 v31, v16
	s_mov_b32 s11, exec_lo
	s_delay_alu instid0(VALU_DEP_2)
	v_cmpx_gt_u32_e64 v11, v10
; %bb.28:
	v_mov_b32_e32 v37, v5
	v_dual_mov_b32 v31, v15 :: v_dual_mov_b32 v36, v4
	v_dual_mov_b32 v15, v16 :: v_dual_mov_b32 v4, v21
	v_mov_b32_e32 v5, v22
; %bb.29:
	s_wait_alu 0xfffe
	s_or_b32 exec_lo, exec_lo, s11
	v_dual_mov_b32 v39, v28 :: v_dual_and_b32 v10, v26, v51
	v_dual_mov_b32 v16, v26 :: v_dual_and_b32 v11, v25, v51
	v_mov_b32_e32 v38, v27
	s_mov_b32 s11, exec_lo
	s_delay_alu instid0(VALU_DEP_2)
	v_cmpx_gt_u32_e64 v11, v10
; %bb.30:
	v_dual_mov_b32 v16, v25 :: v_dual_mov_b32 v25, v26
	v_dual_mov_b32 v39, v24 :: v_dual_mov_b32 v38, v23
	;; [unrolled: 1-line block ×3, first 2 shown]
; %bb.31:
	s_wait_alu 0xfffe
	s_or_b32 exec_lo, exec_lo, s11
	v_dual_mov_b32 v21, v34 :: v_dual_and_b32 v10, v20, v51
	v_and_b32_e32 v11, v19, v51
	v_dual_mov_b32 v22, v35 :: v_dual_mov_b32 v55, v19
	s_mov_b32 s11, exec_lo
	s_delay_alu instid0(VALU_DEP_2)
	v_cmpx_gt_u32_e64 v11, v10
; %bb.32:
	v_dual_mov_b32 v21, v29 :: v_dual_mov_b32 v22, v30
	v_dual_mov_b32 v29, v34 :: v_dual_mov_b32 v30, v35
	;; [unrolled: 1-line block ×3, first 2 shown]
; %bb.33:
	s_wait_alu 0xfffe
	s_or_b32 exec_lo, exec_lo, s11
	v_dual_mov_b32 v10, v32 :: v_dual_and_b32 v19, v18, v51
	v_and_b32_e32 v26, v17, v51
	v_mov_b32_e32 v11, v33
	v_mov_b32_e32 v53, v17
	s_mov_b32 s11, exec_lo
	s_delay_alu instid0(VALU_DEP_3)
	v_cmpx_gt_u32_e64 v26, v19
; %bb.34:
	v_dual_mov_b32 v11, v9 :: v_dual_mov_b32 v10, v8
	v_dual_mov_b32 v8, v32 :: v_dual_mov_b32 v9, v33
	;; [unrolled: 1-line block ×3, first 2 shown]
; %bb.35:
	s_wait_alu 0xfffe
	s_or_b32 exec_lo, exec_lo, s11
	v_and_b32_e32 v17, v25, v51
	v_dual_mov_b32 v34, v25 :: v_dual_and_b32 v19, v31, v51
	v_dual_mov_b32 v27, v24 :: v_dual_mov_b32 v26, v23
	s_delay_alu instid0(VALU_DEP_2)
	v_cmp_gt_u32_e64 s7, v19, v17
	s_and_saveexec_b32 s11, s7
	s_wait_alu 0xfffe
	s_xor_b32 s7, exec_lo, s11
; %bb.36:
	v_dual_mov_b32 v34, v31 :: v_dual_mov_b32 v31, v25
	v_dual_mov_b32 v26, v36 :: v_dual_mov_b32 v27, v37
	;; [unrolled: 1-line block ×3, first 2 shown]
; %bb.37:
	s_wait_alu 0xfffe
	s_or_b32 exec_lo, exec_lo, s7
	v_and_b32_e32 v17, v55, v51
	v_and_b32_e32 v23, v16, v51
	v_mov_b32_e32 v19, v16
	s_delay_alu instid0(VALU_DEP_2)
	v_cmp_gt_u32_e64 s7, v23, v17
	v_dual_mov_b32 v23, v29 :: v_dual_mov_b32 v24, v30
	s_and_saveexec_b32 s11, s7
; %bb.38:
	v_mov_b32_e32 v23, v38
	v_dual_mov_b32 v19, v55 :: v_dual_mov_b32 v24, v39
	v_dual_mov_b32 v39, v30 :: v_dual_mov_b32 v38, v29
	v_mov_b32_e32 v55, v16
; %bb.39:
	s_wait_alu 0xfffe
	s_or_b32 exec_lo, exec_lo, s11
	v_dual_mov_b32 v17, v9 :: v_dual_and_b32 v28, v20, v51
	v_dual_mov_b32 v16, v8 :: v_dual_and_b32 v25, v53, v51
	v_mov_b32_e32 v54, v20
	s_mov_b32 s11, exec_lo
	s_delay_alu instid0(VALU_DEP_2)
	v_cmpx_gt_u32_e64 v28, v25
; %bb.40:
	v_dual_mov_b32 v16, v21 :: v_dual_mov_b32 v17, v22
	v_dual_mov_b32 v22, v9 :: v_dual_mov_b32 v21, v8
	;; [unrolled: 1-line block ×3, first 2 shown]
; %bb.41:
	s_wait_alu 0xfffe
	s_or_b32 exec_lo, exec_lo, s11
	v_dual_mov_b32 v28, v36 :: v_dual_and_b32 v9, v15, v51
	v_dual_mov_b32 v29, v37 :: v_dual_and_b32 v8, v31, v51
	v_mov_b32_e32 v35, v31
	s_mov_b32 s11, exec_lo
	s_delay_alu instid0(VALU_DEP_2)
	v_cmpx_gt_u32_e64 v9, v8
; %bb.42:
	v_mov_b32_e32 v29, v5
	v_dual_mov_b32 v35, v15 :: v_dual_mov_b32 v28, v4
	v_dual_mov_b32 v15, v31 :: v_dual_mov_b32 v4, v36
	v_mov_b32_e32 v5, v37
; %bb.43:
	s_wait_alu 0xfffe
	s_or_b32 exec_lo, exec_lo, s11
	v_and_b32_e32 v8, v19, v51
	v_dual_mov_b32 v36, v19 :: v_dual_and_b32 v9, v34, v51
	v_dual_mov_b32 v30, v38 :: v_dual_mov_b32 v31, v39
	s_mov_b32 s11, exec_lo
	s_delay_alu instid0(VALU_DEP_2)
	v_cmpx_gt_u32_e64 v9, v8
; %bb.44:
	v_dual_mov_b32 v36, v34 :: v_dual_mov_b32 v31, v27
	v_mov_b32_e32 v30, v26
	v_mov_b32_e32 v26, v38
	v_dual_mov_b32 v34, v19 :: v_dual_mov_b32 v27, v39
; %bb.45:
	s_wait_alu 0xfffe
	s_or_b32 exec_lo, exec_lo, s11
	v_dual_mov_b32 v19, v21 :: v_dual_and_b32 v8, v54, v51
	v_dual_mov_b32 v20, v22 :: v_dual_and_b32 v9, v55, v51
	v_mov_b32_e32 v64, v55
	s_mov_b32 s11, exec_lo
	s_delay_alu instid0(VALU_DEP_2)
	v_cmpx_gt_u32_e64 v9, v8
; %bb.46:
	v_dual_mov_b32 v19, v23 :: v_dual_mov_b32 v20, v24
	v_dual_mov_b32 v24, v22 :: v_dual_mov_b32 v23, v21
	v_mov_b32_e32 v64, v54
	v_mov_b32_e32 v54, v55
; %bb.47:
	s_wait_alu 0xfffe
	s_or_b32 exec_lo, exec_lo, s11
	v_dual_mov_b32 v8, v10 :: v_dual_mov_b32 v55, v53
	v_and_b32_e32 v21, v18, v51
	v_dual_mov_b32 v9, v11 :: v_dual_and_b32 v22, v53, v51
	s_mov_b32 s11, exec_lo
	s_delay_alu instid0(VALU_DEP_1)
	v_cmpx_gt_u32_e64 v22, v21
; %bb.48:
	v_dual_mov_b32 v8, v16 :: v_dual_mov_b32 v9, v17
	v_dual_mov_b32 v17, v11 :: v_dual_mov_b32 v16, v10
	v_dual_mov_b32 v55, v18 :: v_dual_mov_b32 v18, v53
; %bb.49:
	s_wait_alu 0xfffe
	s_or_b32 exec_lo, exec_lo, s11
	v_dual_mov_b32 v33, v27 :: v_dual_and_b32 v10, v34, v51
	v_dual_mov_b32 v32, v26 :: v_dual_and_b32 v11, v35, v51
	v_mov_b32_e32 v53, v34
	s_mov_b32 s11, exec_lo
	s_delay_alu instid0(VALU_DEP_2)
	v_cmpx_gt_u32_e64 v11, v10
; %bb.50:
	v_mov_b32_e32 v33, v29
	v_dual_mov_b32 v53, v35 :: v_dual_mov_b32 v32, v28
	v_mov_b32_e32 v29, v27
	v_dual_mov_b32 v35, v34 :: v_dual_mov_b32 v28, v26
; %bb.51:
	s_wait_alu 0xfffe
	s_or_b32 exec_lo, exec_lo, s11
	v_mov_b32_e32 v26, v24
	v_and_b32_e32 v11, v64, v51
	v_and_b32_e32 v21, v36, v51
	v_dual_mov_b32 v10, v36 :: v_dual_mov_b32 v25, v23
	s_mov_b32 s11, exec_lo
	s_delay_alu instid0(VALU_DEP_2)
	v_cmpx_gt_u32_e64 v21, v11
; %bb.52:
	v_dual_mov_b32 v10, v64 :: v_dual_mov_b32 v25, v30
	v_dual_mov_b32 v26, v31 :: v_dual_mov_b32 v31, v24
	v_mov_b32_e32 v30, v23
	v_mov_b32_e32 v64, v36
; %bb.53:
	s_wait_alu 0xfffe
	s_or_b32 exec_lo, exec_lo, s11
	v_dual_mov_b32 v22, v17 :: v_dual_and_b32 v11, v55, v51
	v_and_b32_e32 v23, v54, v51
	v_mov_b32_e32 v21, v16
	v_mov_b32_e32 v27, v54
	s_mov_b32 s11, exec_lo
	s_delay_alu instid0(VALU_DEP_3)
	v_cmpx_gt_u32_e64 v23, v11
; %bb.54:
	v_dual_mov_b32 v22, v20 :: v_dual_mov_b32 v21, v19
	v_dual_mov_b32 v20, v17 :: v_dual_mov_b32 v19, v16
	v_mov_b32_e32 v27, v55
	v_mov_b32_e32 v55, v54
; %bb.55:
	s_wait_alu 0xfffe
	s_or_b32 exec_lo, exec_lo, s11
	v_dual_mov_b32 v37, v29 :: v_dual_and_b32 v16, v15, v51
	v_dual_mov_b32 v36, v28 :: v_dual_and_b32 v11, v35, v51
	v_mov_b32_e32 v17, v35
	s_mov_b32 s11, exec_lo
	s_delay_alu instid0(VALU_DEP_2)
	v_cmpx_gt_u32_e64 v16, v11
; %bb.56:
	v_mov_b32_e32 v37, v5
	v_dual_mov_b32 v17, v15 :: v_dual_mov_b32 v36, v4
	v_dual_mov_b32 v15, v35 :: v_dual_mov_b32 v4, v28
	v_mov_b32_e32 v5, v29
; %bb.57:
	s_wait_alu 0xfffe
	s_or_b32 exec_lo, exec_lo, s11
	v_and_b32_e32 v11, v10, v51
	v_dual_mov_b32 v16, v10 :: v_dual_and_b32 v23, v53, v51
	v_dual_mov_b32 v39, v31 :: v_dual_mov_b32 v38, v30
	s_mov_b32 s11, exec_lo
	s_delay_alu instid0(VALU_DEP_2)
	v_cmpx_gt_u32_e64 v23, v11
; %bb.58:
	v_dual_mov_b32 v16, v53 :: v_dual_mov_b32 v53, v10
	v_dual_mov_b32 v39, v33 :: v_dual_mov_b32 v38, v32
	;; [unrolled: 1-line block ×3, first 2 shown]
; %bb.59:
	s_wait_alu 0xfffe
	s_or_b32 exec_lo, exec_lo, s11
	v_dual_mov_b32 v65, v64 :: v_dual_and_b32 v10, v27, v51
	v_and_b32_e32 v11, v64, v51
	v_dual_mov_b32 v24, v20 :: v_dual_mov_b32 v23, v19
	s_mov_b32 s11, exec_lo
	s_delay_alu instid0(VALU_DEP_2)
	v_cmpx_gt_u32_e64 v11, v10
; %bb.60:
	v_dual_mov_b32 v23, v25 :: v_dual_mov_b32 v24, v26
	v_dual_mov_b32 v26, v20 :: v_dual_mov_b32 v25, v19
	v_mov_b32_e32 v65, v27
	v_mov_b32_e32 v27, v64
; %bb.61:
	s_wait_alu 0xfffe
	s_or_b32 exec_lo, exec_lo, s11
	v_dual_mov_b32 v11, v9 :: v_dual_and_b32 v20, v55, v51
	v_dual_mov_b32 v10, v8 :: v_dual_and_b32 v19, v18, v51
	v_mov_b32_e32 v54, v55
	s_mov_b32 s11, exec_lo
	s_delay_alu instid0(VALU_DEP_2)
	v_cmpx_gt_u32_e64 v20, v19
; %bb.62:
	v_dual_mov_b32 v10, v21 :: v_dual_mov_b32 v11, v22
	v_dual_mov_b32 v22, v9 :: v_dual_mov_b32 v21, v8
	v_mov_b32_e32 v54, v18
	v_mov_b32_e32 v18, v55
; %bb.63:
	s_wait_alu 0xfffe
	s_or_b32 exec_lo, exec_lo, s11
	v_dual_mov_b32 v29, v32 :: v_dual_and_b32 v8, v53, v51
	v_and_b32_e32 v9, v17, v51
	v_dual_mov_b32 v31, v53 :: v_dual_mov_b32 v30, v33
	s_mov_b32 s11, exec_lo
	s_delay_alu instid0(VALU_DEP_2)
	v_cmpx_gt_u32_e64 v9, v8
; %bb.64:
	v_mov_b32_e32 v29, v36
	v_dual_mov_b32 v31, v17 :: v_dual_mov_b32 v30, v37
	v_mov_b32_e32 v37, v33
	v_dual_mov_b32 v17, v53 :: v_dual_mov_b32 v36, v32
; %bb.65:
	s_wait_alu 0xfffe
	s_or_b32 exec_lo, exec_lo, s11
	v_dual_mov_b32 v35, v26 :: v_dual_and_b32 v8, v65, v51
	v_mov_b32_e32 v19, v16
	v_dual_mov_b32 v34, v25 :: v_dual_and_b32 v9, v16, v51
	s_mov_b32 s11, exec_lo
	s_delay_alu instid0(VALU_DEP_1)
	v_cmpx_gt_u32_e64 v9, v8
; %bb.66:
	v_dual_mov_b32 v19, v65 :: v_dual_mov_b32 v34, v38
	v_mov_b32_e32 v35, v39
	v_dual_mov_b32 v39, v26 :: v_dual_mov_b32 v38, v25
	v_mov_b32_e32 v65, v16
; %bb.67:
	s_wait_alu 0xfffe
	s_or_b32 exec_lo, exec_lo, s11
	v_and_b32_e32 v16, v54, v51
	v_and_b32_e32 v20, v27, v51
	v_dual_mov_b32 v8, v21 :: v_dual_mov_b32 v9, v22
	s_delay_alu instid0(VALU_DEP_2)
	v_cmp_gt_u32_e64 s7, v20, v16
	v_mov_b32_e32 v20, v27
	s_and_saveexec_b32 s11, s7
; %bb.68:
	v_dual_mov_b32 v8, v23 :: v_dual_mov_b32 v9, v24
	v_dual_mov_b32 v24, v22 :: v_dual_mov_b32 v23, v21
	v_mov_b32_e32 v20, v54
	v_mov_b32_e32 v54, v27
; %bb.69:
	s_wait_alu 0xfffe
	s_or_b32 exec_lo, exec_lo, s11
	v_and_b32_e32 v21, v17, v51
	v_and_b32_e32 v22, v15, v51
	v_mov_b32_e32 v16, v17
	s_delay_alu instid0(VALU_DEP_2)
	v_cmp_gt_u32_e64 s7, v22, v21
	v_dual_mov_b32 v21, v36 :: v_dual_mov_b32 v22, v37
	s_and_saveexec_b32 s11, s7
; %bb.70:
	v_dual_mov_b32 v16, v15 :: v_dual_mov_b32 v15, v17
	v_dual_mov_b32 v22, v5 :: v_dual_mov_b32 v21, v4
	;; [unrolled: 1-line block ×3, first 2 shown]
; %bb.71:
	s_wait_alu 0xfffe
	s_or_b32 exec_lo, exec_lo, s11
	v_dual_mov_b32 v27, v38 :: v_dual_and_b32 v26, v31, v51
	v_and_b32_e32 v25, v19, v51
	v_dual_mov_b32 v17, v19 :: v_dual_mov_b32 v28, v39
	s_mov_b32 s11, exec_lo
	s_delay_alu instid0(VALU_DEP_2)
	v_cmpx_gt_u32_e64 v26, v25
; %bb.72:
	v_mov_b32_e32 v27, v29
	v_dual_mov_b32 v17, v31 :: v_dual_mov_b32 v28, v30
	v_mov_b32_e32 v29, v38
	v_dual_mov_b32 v31, v19 :: v_dual_mov_b32 v30, v39
; %bb.73:
	s_wait_alu 0xfffe
	s_or_b32 exec_lo, exec_lo, s11
	v_and_b32_e32 v19, v20, v51
	v_and_b32_e32 v25, v65, v51
	v_dual_mov_b32 v37, v24 :: v_dual_mov_b32 v36, v23
	s_delay_alu instid0(VALU_DEP_2)
	v_cmp_gt_u32_e64 s7, v25, v19
	v_mov_b32_e32 v19, v65
	s_and_saveexec_b32 s11, s7
; %bb.74:
	v_dual_mov_b32 v37, v35 :: v_dual_mov_b32 v36, v34
	v_dual_mov_b32 v35, v24 :: v_dual_mov_b32 v34, v23
	;; [unrolled: 1-line block ×3, first 2 shown]
; %bb.75:
	s_wait_alu 0xfffe
	s_or_b32 exec_lo, exec_lo, s11
	v_dual_mov_b32 v33, v11 :: v_dual_and_b32 v24, v54, v51
	v_and_b32_e32 v23, v18, v51
	v_mov_b32_e32 v32, v10
	v_mov_b32_e32 v38, v54
	s_mov_b32 s11, exec_lo
	s_delay_alu instid0(VALU_DEP_3)
	v_cmpx_gt_u32_e64 v24, v23
; %bb.76:
	v_dual_mov_b32 v33, v9 :: v_dual_mov_b32 v32, v8
	v_dual_mov_b32 v8, v10 :: v_dual_mov_b32 v9, v11
	v_mov_b32_e32 v38, v18
	v_mov_b32_e32 v18, v54
; %bb.77:
	s_wait_alu 0xfffe
	s_or_b32 exec_lo, exec_lo, s11
	v_dual_mov_b32 v23, v29 :: v_dual_and_b32 v10, v31, v51
	v_dual_mov_b32 v24, v30 :: v_dual_and_b32 v11, v16, v51
	v_mov_b32_e32 v25, v31
	s_mov_b32 s11, exec_lo
	s_delay_alu instid0(VALU_DEP_2)
	v_cmpx_gt_u32_e64 v11, v10
; %bb.78:
	v_dual_mov_b32 v25, v16 :: v_dual_mov_b32 v16, v31
	v_dual_mov_b32 v24, v22 :: v_dual_mov_b32 v23, v21
	;; [unrolled: 1-line block ×3, first 2 shown]
; %bb.79:
	s_wait_alu 0xfffe
	s_or_b32 exec_lo, exec_lo, s11
	v_dual_mov_b32 v29, v34 :: v_dual_and_b32 v10, v19, v51
	v_dual_mov_b32 v30, v35 :: v_dual_and_b32 v11, v17, v51
	v_mov_b32_e32 v26, v17
	s_mov_b32 s11, exec_lo
	s_delay_alu instid0(VALU_DEP_2)
	v_cmpx_gt_u32_e64 v11, v10
; %bb.80:
	v_mov_b32_e32 v30, v28
	v_dual_mov_b32 v26, v19 :: v_dual_mov_b32 v29, v27
	v_dual_mov_b32 v27, v34 :: v_dual_mov_b32 v28, v35
	v_mov_b32_e32 v19, v17
; %bb.81:
	s_wait_alu 0xfffe
	s_or_b32 exec_lo, exec_lo, s11
	v_dual_mov_b32 v17, v38 :: v_dual_mov_b32 v34, v36
	v_dual_mov_b32 v35, v37 :: v_dual_and_b32 v10, v38, v51
	v_and_b32_e32 v11, v20, v51
	s_mov_b32 s11, exec_lo
	s_delay_alu instid0(VALU_DEP_1)
	v_cmpx_gt_u32_e64 v11, v10
; %bb.82:
	v_dual_mov_b32 v17, v20 :: v_dual_mov_b32 v20, v38
	v_dual_mov_b32 v35, v9 :: v_dual_mov_b32 v34, v8
	v_dual_mov_b32 v8, v36 :: v_dual_mov_b32 v9, v37
; %bb.83:
	s_wait_alu 0xfffe
	s_or_b32 exec_lo, exec_lo, s11
.LBB615_84:
	s_wait_alu 0xfffe
	s_or_b32 exec_lo, exec_lo, s10
	v_and_b32_e32 v10, 0xffffff00, v52
	v_or_b32_e32 v31, 8, v49
	v_and_b32_e32 v37, 8, v49
	v_and_b32_e32 v65, 0xf0, v49
	s_mov_b32 s10, exec_lo
	v_sub_nc_u32_e64 v36, 0x800, v10 clamp
	v_lshlrev_b32_e32 v11, 2, v10
	s_delay_alu instid0(VALU_DEP_2) | instskip(NEXT) | instid1(VALU_DEP_2)
	v_min_u32_e32 v53, v36, v31
	v_add_nc_u32_e32 v10, v11, v11
	v_min_u32_e32 v66, v36, v37
	s_delay_alu instid0(VALU_DEP_3) | instskip(NEXT) | instid1(VALU_DEP_3)
	v_add_nc_u32_e32 v31, 8, v53
	v_lshl_add_u32 v52, v49, 3, v10
	v_sub_nc_u32_e32 v64, v53, v65
	s_delay_alu instid0(VALU_DEP_3) | instskip(SKIP_1) | instid1(VALU_DEP_4)
	v_min_u32_e32 v54, v36, v31
	v_lshl_or_b32 v31, v49, 2, v11
	v_add_nc_u32_e32 v37, 0x2000, v52
	v_add_nc_u32_e32 v38, 0x2010, v52
	;; [unrolled: 1-line block ×3, first 2 shown]
	v_sub_nc_u32_e32 v55, v54, v53
	v_min_u32_e32 v67, v66, v64
	v_add_nc_u32_e32 v52, 0x2030, v52
	v_lshl_or_b32 v64, v65, 2, v11
	s_wait_loadcnt_dscnt 0x0
	ds_store_2addr_b64 v37, v[4:5], v[21:22] offset1:1
	ds_store_2addr_b64 v38, v[23:24], v[27:28] offset1:1
	v_sub_nc_u32_e64 v55, v66, v55 clamp
	ds_store_2addr_b64 v31, v[15:16], v[25:26] offset1:1
	ds_store_2addr_b64 v31, v[19:20], v[17:18] offset0:2 offset1:3
	ds_store_2addr_b64 v39, v[29:30], v[34:35] offset1:1
	ds_store_2addr_b64 v52, v[8:9], v[32:33] offset1:1
	; wave barrier
	v_cmpx_lt_u32_e64 v55, v67
	s_cbranch_execz .LBB615_88
; %bb.85:
	v_lshlrev_b32_e32 v68, 2, v53
	v_lshlrev_b32_e32 v69, 2, v66
	s_mov_b32 s11, 0
	s_delay_alu instid0(VALU_DEP_1)
	v_add3_u32 v68, v11, v68, v69
.LBB615_86:                             ; =>This Inner Loop Header: Depth=1
	v_add_nc_u32_e32 v69, v67, v55
	s_delay_alu instid0(VALU_DEP_1) | instskip(NEXT) | instid1(VALU_DEP_1)
	v_lshrrev_b32_e32 v69, 1, v69
	v_not_b32_e32 v70, v69
	v_lshl_add_u32 v71, v69, 2, v64
	v_add_nc_u32_e32 v80, 1, v69
	s_delay_alu instid0(VALU_DEP_3)
	v_lshl_add_u32 v70, v70, 2, v68
	ds_load_b32 v71, v71
	ds_load_b32 v70, v70
	s_wait_dscnt 0x1
	v_and_b32_e32 v71, v71, v51
	s_wait_dscnt 0x0
	v_and_b32_e32 v70, v70, v51
	s_delay_alu instid0(VALU_DEP_1) | instskip(SKIP_1) | instid1(VALU_DEP_1)
	v_cmp_gt_u32_e64 s7, v71, v70
	s_wait_alu 0xf1ff
	v_cndmask_b32_e64 v67, v67, v69, s7
	v_cndmask_b32_e64 v55, v80, v55, s7
	s_delay_alu instid0(VALU_DEP_1)
	v_cmp_ge_u32_e64 s7, v55, v67
	s_wait_alu 0xfffe
	s_or_b32 s11, s7, s11
	s_wait_alu 0xfffe
	s_and_not1_b32 exec_lo, exec_lo, s11
	s_cbranch_execnz .LBB615_86
; %bb.87:
	s_or_b32 exec_lo, exec_lo, s11
.LBB615_88:
	s_wait_alu 0xfffe
	s_or_b32 exec_lo, exec_lo, s10
	v_add_nc_u32_e32 v67, v53, v66
	v_add_nc_u32_e32 v66, v55, v65
	s_delay_alu instid0(VALU_DEP_2) | instskip(NEXT) | instid1(VALU_DEP_2)
	v_sub_nc_u32_e32 v65, v67, v55
	v_cmp_le_u32_e64 s7, v66, v53
	s_delay_alu instid0(VALU_DEP_2)
	v_cmp_le_u32_e64 s10, v65, v54
	s_or_b32 s7, s7, s10
	s_wait_alu 0xfffe
	s_and_saveexec_b32 s20, s7
	s_cbranch_execz .LBB615_94
; %bb.89:
	v_cmp_lt_u32_e64 s7, v66, v53
                                        ; implicit-def: $vgpr15
	s_and_saveexec_b32 s10, s7
; %bb.90:
	v_lshl_add_u32 v4, v55, 2, v64
	ds_load_b32 v15, v4
; %bb.91:
	s_wait_alu 0xfffe
	s_or_b32 exec_lo, exec_lo, s10
	v_cmp_ge_u32_e64 s10, v65, v54
	s_mov_b32 s12, exec_lo
                                        ; implicit-def: $vgpr16
	v_cmpx_lt_u32_e64 v65, v54
; %bb.92:
	v_lshl_add_u32 v4, v65, 2, v11
	ds_load_b32 v16, v4
; %bb.93:
	s_wait_alu 0xfffe
	s_or_b32 exec_lo, exec_lo, s12
	s_wait_dscnt 0x0
	v_and_b32_e32 v4, v16, v51
	v_and_b32_e32 v5, v15, v51
	s_delay_alu instid0(VALU_DEP_1)
	v_cmp_le_u32_e64 s11, v5, v4
	s_and_b32 s7, s7, s11
	s_wait_alu 0xfffe
	s_or_b32 s7, s10, s7
	s_wait_alu 0xfffe
	v_cndmask_b32_e64 v4, v65, v66, s7
	v_cndmask_b32_e64 v5, v54, v53, s7
	s_delay_alu instid0(VALU_DEP_2) | instskip(NEXT) | instid1(VALU_DEP_2)
	v_add_nc_u32_e32 v8, 1, v4
	v_add_nc_u32_e32 v5, -1, v5
	v_lshl_add_u32 v4, v4, 3, v10
	s_delay_alu instid0(VALU_DEP_2) | instskip(NEXT) | instid1(VALU_DEP_1)
	v_min_u32_e32 v5, v8, v5
	v_lshl_add_u32 v5, v5, 2, v11
	ds_load_b32 v5, v5
	s_wait_dscnt 0x0
	v_cndmask_b32_e64 v17, v5, v16, s7
	v_cndmask_b32_e64 v18, v15, v5, s7
	;; [unrolled: 1-line block ×5, first 2 shown]
	v_and_b32_e32 v9, v17, v51
	v_and_b32_e32 v19, v18, v51
	v_cmp_lt_u32_e64 s10, v5, v53
	v_cmp_ge_u32_e64 s12, v8, v54
	s_delay_alu instid0(VALU_DEP_3)
	v_cmp_le_u32_e64 s11, v19, v9
	s_and_b32 s10, s10, s11
	s_wait_alu 0xfffe
	s_or_b32 s10, s12, s10
	s_wait_alu 0xfffe
	v_cndmask_b32_e64 v9, v8, v5, s10
	v_cndmask_b32_e64 v19, v54, v53, s10
	;; [unrolled: 1-line block ×3, first 2 shown]
	s_delay_alu instid0(VALU_DEP_3) | instskip(NEXT) | instid1(VALU_DEP_3)
	v_add_nc_u32_e32 v20, 1, v9
	v_add_nc_u32_e32 v19, -1, v19
	v_lshl_add_u32 v9, v9, 3, v10
	s_delay_alu instid0(VALU_DEP_3) | instskip(NEXT) | instid1(VALU_DEP_3)
	v_cndmask_b32_e64 v5, v5, v20, s10
	v_min_u32_e32 v19, v20, v19
	v_cndmask_b32_e64 v8, v20, v8, s10
	s_delay_alu instid0(VALU_DEP_3) | instskip(NEXT) | instid1(VALU_DEP_3)
	v_cmp_lt_u32_e64 s11, v5, v53
	v_lshl_add_u32 v19, v19, 2, v11
	s_delay_alu instid0(VALU_DEP_3) | instskip(SKIP_4) | instid1(VALU_DEP_2)
	v_cmp_ge_u32_e64 s13, v8, v54
	ds_load_b32 v19, v19
	s_wait_dscnt 0x0
	v_cndmask_b32_e64 v25, v19, v17, s10
	v_cndmask_b32_e64 v19, v18, v19, s10
	v_and_b32_e32 v21, v25, v51
	s_delay_alu instid0(VALU_DEP_2) | instskip(NEXT) | instid1(VALU_DEP_1)
	v_and_b32_e32 v22, v19, v51
	v_cmp_le_u32_e64 s12, v22, v21
	s_and_b32 s11, s11, s12
	s_wait_alu 0xfffe
	s_or_b32 s11, s13, s11
	s_wait_alu 0xfffe
	v_cndmask_b32_e64 v20, v8, v5, s11
	v_cndmask_b32_e64 v21, v54, v53, s11
	s_delay_alu instid0(VALU_DEP_2) | instskip(NEXT) | instid1(VALU_DEP_2)
	v_add_nc_u32_e32 v22, 1, v20
	v_add_nc_u32_e32 v21, -1, v21
	v_lshl_add_u32 v20, v20, 3, v10
	s_delay_alu instid0(VALU_DEP_3) | instskip(NEXT) | instid1(VALU_DEP_3)
	v_cndmask_b32_e64 v5, v5, v22, s11
	v_min_u32_e32 v21, v22, v21
	v_cndmask_b32_e64 v8, v22, v8, s11
	s_delay_alu instid0(VALU_DEP_3) | instskip(NEXT) | instid1(VALU_DEP_3)
	v_cmp_lt_u32_e64 s12, v5, v53
	v_lshl_add_u32 v21, v21, 2, v11
	s_delay_alu instid0(VALU_DEP_3)
	v_cmp_ge_u32_e64 s14, v8, v54
	ds_load_b32 v21, v21
	s_wait_dscnt 0x0
	v_cndmask_b32_e64 v26, v21, v25, s11
	v_cndmask_b32_e64 v55, v19, v21, s11
	;; [unrolled: 1-line block ×3, first 2 shown]
	s_delay_alu instid0(VALU_DEP_3) | instskip(NEXT) | instid1(VALU_DEP_3)
	v_and_b32_e32 v21, v26, v51
	v_and_b32_e32 v23, v55, v51
	s_delay_alu instid0(VALU_DEP_1)
	v_cmp_le_u32_e64 s13, v23, v21
	s_and_b32 s12, s12, s13
	s_wait_alu 0xfffe
	s_or_b32 s12, s14, s12
	s_wait_alu 0xfffe
	v_cndmask_b32_e64 v27, v8, v5, s12
	v_cndmask_b32_e64 v21, v54, v53, s12
	s_delay_alu instid0(VALU_DEP_2) | instskip(NEXT) | instid1(VALU_DEP_2)
	v_add_nc_u32_e32 v22, 1, v27
	v_add_nc_u32_e32 v21, -1, v21
	s_delay_alu instid0(VALU_DEP_2) | instskip(NEXT) | instid1(VALU_DEP_2)
	v_cndmask_b32_e64 v5, v5, v22, s12
	v_min_u32_e32 v21, v22, v21
	v_cndmask_b32_e64 v8, v22, v8, s12
	s_delay_alu instid0(VALU_DEP_3) | instskip(NEXT) | instid1(VALU_DEP_3)
	v_cmp_lt_u32_e64 s13, v5, v53
	v_lshl_add_u32 v21, v21, 2, v11
	s_delay_alu instid0(VALU_DEP_3)
	v_cmp_ge_u32_e64 s15, v8, v54
	ds_load_b32 v21, v21
	s_wait_dscnt 0x0
	v_cndmask_b32_e64 v64, v21, v26, s12
	v_cndmask_b32_e64 v65, v55, v21, s12
	;; [unrolled: 1-line block ×3, first 2 shown]
	s_delay_alu instid0(VALU_DEP_3) | instskip(NEXT) | instid1(VALU_DEP_3)
	v_and_b32_e32 v21, v64, v51
	v_and_b32_e32 v23, v65, v51
	s_delay_alu instid0(VALU_DEP_1)
	v_cmp_le_u32_e64 s14, v23, v21
	s_and_b32 s13, s13, s14
	s_wait_alu 0xfffe
	s_or_b32 s13, s15, s13
	s_wait_alu 0xfffe
	v_cndmask_b32_e64 v28, v8, v5, s13
	v_cndmask_b32_e64 v21, v54, v53, s13
	;; [unrolled: 1-line block ×3, first 2 shown]
	s_delay_alu instid0(VALU_DEP_3) | instskip(NEXT) | instid1(VALU_DEP_3)
	v_add_nc_u32_e32 v22, 1, v28
	v_add_nc_u32_e32 v21, -1, v21
	s_delay_alu instid0(VALU_DEP_2) | instskip(NEXT) | instid1(VALU_DEP_2)
	v_cndmask_b32_e64 v5, v5, v22, s13
	v_min_u32_e32 v21, v22, v21
	v_cndmask_b32_e64 v8, v22, v8, s13
	s_delay_alu instid0(VALU_DEP_3) | instskip(NEXT) | instid1(VALU_DEP_3)
	v_cmp_lt_u32_e64 s14, v5, v53
	v_lshl_add_u32 v21, v21, 2, v11
	s_delay_alu instid0(VALU_DEP_3) | instskip(SKIP_4) | instid1(VALU_DEP_2)
	v_cmp_ge_u32_e64 s16, v8, v54
	ds_load_b32 v21, v21
	s_wait_dscnt 0x0
	v_cndmask_b32_e64 v66, v21, v64, s13
	v_cndmask_b32_e64 v67, v65, v21, s13
	v_and_b32_e32 v21, v66, v51
	s_delay_alu instid0(VALU_DEP_2) | instskip(NEXT) | instid1(VALU_DEP_1)
	v_and_b32_e32 v23, v67, v51
	v_cmp_le_u32_e64 s15, v23, v21
	s_and_b32 s14, s14, s15
	s_wait_alu 0xfffe
	s_or_b32 s14, s16, s14
	s_wait_alu 0xfffe
	v_cndmask_b32_e64 v29, v8, v5, s14
	v_cndmask_b32_e64 v21, v54, v53, s14
	s_delay_alu instid0(VALU_DEP_2) | instskip(NEXT) | instid1(VALU_DEP_2)
	v_add_nc_u32_e32 v22, 1, v29
	v_add_nc_u32_e32 v21, -1, v21
	s_delay_alu instid0(VALU_DEP_2) | instskip(NEXT) | instid1(VALU_DEP_2)
	v_cndmask_b32_e64 v5, v5, v22, s14
	v_min_u32_e32 v21, v22, v21
	v_cndmask_b32_e64 v8, v22, v8, s14
	s_delay_alu instid0(VALU_DEP_3) | instskip(NEXT) | instid1(VALU_DEP_3)
	v_cmp_lt_u32_e64 s15, v5, v53
	v_lshl_add_u32 v21, v21, 2, v11
	s_delay_alu instid0(VALU_DEP_3) | instskip(SKIP_4) | instid1(VALU_DEP_2)
	v_cmp_ge_u32_e64 s17, v8, v54
	ds_load_b32 v21, v21
	s_wait_dscnt 0x0
	v_cndmask_b32_e64 v68, v21, v66, s14
	v_cndmask_b32_e64 v69, v67, v21, s14
	v_and_b32_e32 v21, v68, v51
	s_delay_alu instid0(VALU_DEP_2) | instskip(NEXT) | instid1(VALU_DEP_1)
	v_and_b32_e32 v23, v69, v51
	v_cmp_le_u32_e64 s16, v23, v21
	s_and_b32 s15, s15, s16
	s_wait_alu 0xfffe
	s_or_b32 s15, s17, s15
	s_wait_alu 0xfffe
	v_cndmask_b32_e64 v30, v8, v5, s15
	v_cndmask_b32_e64 v21, v54, v53, s15
	;; [unrolled: 1-line block ×3, first 2 shown]
	s_delay_alu instid0(VALU_DEP_3) | instskip(NEXT) | instid1(VALU_DEP_3)
	v_add_nc_u32_e32 v22, 1, v30
	v_add_nc_u32_e32 v21, -1, v21
	v_lshl_add_u32 v33, v30, 3, v10
	s_delay_alu instid0(VALU_DEP_3) | instskip(NEXT) | instid1(VALU_DEP_3)
	v_cndmask_b32_e64 v32, v5, v22, s15
	v_min_u32_e32 v21, v22, v21
	v_cndmask_b32_e64 v8, v22, v8, s15
	s_delay_alu instid0(VALU_DEP_3) | instskip(NEXT) | instid1(VALU_DEP_3)
	v_cmp_lt_u32_e64 s16, v32, v53
	v_lshl_add_u32 v21, v21, 2, v11
	s_delay_alu instid0(VALU_DEP_3) | instskip(SKIP_4) | instid1(VALU_DEP_2)
	v_cmp_ge_u32_e64 s18, v8, v54
	ds_load_b32 v21, v21
	s_wait_dscnt 0x0
	v_cndmask_b32_e64 v70, v21, v68, s15
	v_cndmask_b32_e64 v71, v69, v21, s15
	v_and_b32_e32 v5, v70, v51
	s_delay_alu instid0(VALU_DEP_2) | instskip(NEXT) | instid1(VALU_DEP_1)
	v_and_b32_e32 v21, v71, v51
	v_cmp_le_u32_e64 s17, v21, v5
	ds_load_b64 v[4:5], v4 offset:8192
	ds_load_b64 v[21:22], v9 offset:8192
	v_lshl_add_u32 v9, v27, 3, v10
	ds_load_b64 v[23:24], v20 offset:8192
	v_lshl_add_u32 v20, v28, 3, v10
	s_and_b32 s16, s16, s17
	s_wait_alu 0xfffe
	s_or_b32 s16, s18, s16
	s_wait_alu 0xfffe
	v_cndmask_b32_e64 v8, v8, v32, s16
	v_lshl_add_u32 v32, v29, 3, v10
	v_cndmask_b32_e64 v18, v70, v71, s16
	s_delay_alu instid0(VALU_DEP_3)
	v_lshl_add_u32 v53, v8, 3, v10
	ds_load_b64 v[27:28], v9 offset:8192
	ds_load_b64 v[29:30], v20 offset:8192
	;; [unrolled: 1-line block ×5, first 2 shown]
	v_cndmask_b32_e64 v20, v66, v67, s14
.LBB615_94:
	s_wait_alu 0xfffe
	s_or_b32 exec_lo, exec_lo, s20
	v_and_b32_e32 v65, 0xe0, v49
	v_and_b32_e32 v55, 24, v49
	s_mov_b32 s10, exec_lo
	; wave barrier
	s_delay_alu instid0(VALU_DEP_2) | instskip(NEXT) | instid1(VALU_DEP_2)
	v_or_b32_e32 v53, 16, v65
	v_min_u32_e32 v66, v36, v55
	s_wait_dscnt 0x6
	ds_store_2addr_b64 v37, v[4:5], v[21:22] offset1:1
	s_wait_dscnt 0x5
	ds_store_2addr_b64 v38, v[23:24], v[27:28] offset1:1
	ds_store_2addr_b64 v31, v[15:16], v[25:26] offset1:1
	ds_store_2addr_b64 v31, v[19:20], v[17:18] offset0:2 offset1:3
	s_wait_dscnt 0x6
	ds_store_2addr_b64 v39, v[29:30], v[34:35] offset1:1
	s_wait_dscnt 0x5
	ds_store_2addr_b64 v52, v[8:9], v[32:33] offset1:1
	v_min_u32_e32 v53, v36, v53
	; wave barrier
	s_delay_alu instid0(VALU_DEP_1) | instskip(SKIP_1) | instid1(VALU_DEP_2)
	v_add_nc_u32_e32 v54, 16, v53
	v_sub_nc_u32_e32 v55, v53, v65
	v_min_u32_e32 v54, v36, v54
	s_delay_alu instid0(VALU_DEP_2) | instskip(NEXT) | instid1(VALU_DEP_2)
	v_min_u32_e32 v67, v66, v55
	v_sub_nc_u32_e32 v64, v54, v53
	s_delay_alu instid0(VALU_DEP_1) | instskip(SKIP_1) | instid1(VALU_DEP_2)
	v_sub_nc_u32_e64 v55, v66, v64 clamp
	v_lshl_add_u32 v64, v65, 2, v11
	v_cmpx_lt_u32_e64 v55, v67
	s_cbranch_execz .LBB615_98
; %bb.95:
	v_lshlrev_b32_e32 v68, 2, v53
	v_lshlrev_b32_e32 v69, 2, v66
	s_mov_b32 s11, 0
	s_delay_alu instid0(VALU_DEP_1)
	v_add3_u32 v68, v11, v68, v69
.LBB615_96:                             ; =>This Inner Loop Header: Depth=1
	v_add_nc_u32_e32 v69, v67, v55
	s_delay_alu instid0(VALU_DEP_1) | instskip(NEXT) | instid1(VALU_DEP_1)
	v_lshrrev_b32_e32 v69, 1, v69
	v_not_b32_e32 v70, v69
	v_lshl_add_u32 v71, v69, 2, v64
	v_add_nc_u32_e32 v80, 1, v69
	s_delay_alu instid0(VALU_DEP_3)
	v_lshl_add_u32 v70, v70, 2, v68
	ds_load_b32 v71, v71
	ds_load_b32 v70, v70
	s_wait_dscnt 0x1
	v_and_b32_e32 v71, v71, v51
	s_wait_dscnt 0x0
	v_and_b32_e32 v70, v70, v51
	s_delay_alu instid0(VALU_DEP_1) | instskip(SKIP_1) | instid1(VALU_DEP_1)
	v_cmp_gt_u32_e64 s7, v71, v70
	s_wait_alu 0xf1ff
	v_cndmask_b32_e64 v67, v67, v69, s7
	v_cndmask_b32_e64 v55, v80, v55, s7
	s_delay_alu instid0(VALU_DEP_1)
	v_cmp_ge_u32_e64 s7, v55, v67
	s_wait_alu 0xfffe
	s_or_b32 s11, s7, s11
	s_wait_alu 0xfffe
	s_and_not1_b32 exec_lo, exec_lo, s11
	s_cbranch_execnz .LBB615_96
; %bb.97:
	s_or_b32 exec_lo, exec_lo, s11
.LBB615_98:
	s_wait_alu 0xfffe
	s_or_b32 exec_lo, exec_lo, s10
	v_add_nc_u32_e32 v67, v53, v66
	v_add_nc_u32_e32 v66, v55, v65
	s_delay_alu instid0(VALU_DEP_2) | instskip(NEXT) | instid1(VALU_DEP_2)
	v_sub_nc_u32_e32 v65, v67, v55
	v_cmp_le_u32_e64 s7, v66, v53
	s_delay_alu instid0(VALU_DEP_2)
	v_cmp_le_u32_e64 s10, v65, v54
	s_or_b32 s7, s7, s10
	s_wait_alu 0xfffe
	s_and_saveexec_b32 s20, s7
	s_cbranch_execz .LBB615_104
; %bb.99:
	v_cmp_lt_u32_e64 s7, v66, v53
                                        ; implicit-def: $vgpr15
	s_and_saveexec_b32 s10, s7
; %bb.100:
	v_lshl_add_u32 v4, v55, 2, v64
	ds_load_b32 v15, v4
; %bb.101:
	s_wait_alu 0xfffe
	s_or_b32 exec_lo, exec_lo, s10
	v_cmp_ge_u32_e64 s10, v65, v54
	s_mov_b32 s12, exec_lo
                                        ; implicit-def: $vgpr16
	v_cmpx_lt_u32_e64 v65, v54
; %bb.102:
	v_lshl_add_u32 v4, v65, 2, v11
	ds_load_b32 v16, v4
; %bb.103:
	s_wait_alu 0xfffe
	s_or_b32 exec_lo, exec_lo, s12
	s_wait_dscnt 0x0
	v_and_b32_e32 v4, v16, v51
	v_and_b32_e32 v5, v15, v51
	s_delay_alu instid0(VALU_DEP_1)
	v_cmp_le_u32_e64 s11, v5, v4
	s_and_b32 s7, s7, s11
	s_wait_alu 0xfffe
	s_or_b32 s7, s10, s7
	s_wait_alu 0xfffe
	v_cndmask_b32_e64 v4, v65, v66, s7
	v_cndmask_b32_e64 v5, v54, v53, s7
	s_delay_alu instid0(VALU_DEP_2) | instskip(NEXT) | instid1(VALU_DEP_2)
	v_add_nc_u32_e32 v8, 1, v4
	v_add_nc_u32_e32 v5, -1, v5
	v_lshl_add_u32 v4, v4, 3, v10
	s_delay_alu instid0(VALU_DEP_2) | instskip(NEXT) | instid1(VALU_DEP_1)
	v_min_u32_e32 v5, v8, v5
	v_lshl_add_u32 v5, v5, 2, v11
	ds_load_b32 v5, v5
	s_wait_dscnt 0x0
	v_cndmask_b32_e64 v17, v5, v16, s7
	v_cndmask_b32_e64 v18, v15, v5, s7
	v_cndmask_b32_e64 v5, v66, v8, s7
	v_cndmask_b32_e64 v8, v8, v65, s7
	v_cndmask_b32_e64 v15, v16, v15, s7
	v_and_b32_e32 v9, v17, v51
	v_and_b32_e32 v19, v18, v51
	v_cmp_lt_u32_e64 s10, v5, v53
	v_cmp_ge_u32_e64 s12, v8, v54
	s_delay_alu instid0(VALU_DEP_3)
	v_cmp_le_u32_e64 s11, v19, v9
	s_and_b32 s10, s10, s11
	s_wait_alu 0xfffe
	s_or_b32 s10, s12, s10
	s_wait_alu 0xfffe
	v_cndmask_b32_e64 v9, v8, v5, s10
	v_cndmask_b32_e64 v19, v54, v53, s10
	v_cndmask_b32_e64 v16, v17, v18, s10
	s_delay_alu instid0(VALU_DEP_3) | instskip(NEXT) | instid1(VALU_DEP_3)
	v_add_nc_u32_e32 v20, 1, v9
	v_add_nc_u32_e32 v19, -1, v19
	v_lshl_add_u32 v9, v9, 3, v10
	s_delay_alu instid0(VALU_DEP_3) | instskip(NEXT) | instid1(VALU_DEP_3)
	v_cndmask_b32_e64 v5, v5, v20, s10
	v_min_u32_e32 v19, v20, v19
	v_cndmask_b32_e64 v8, v20, v8, s10
	s_delay_alu instid0(VALU_DEP_3) | instskip(NEXT) | instid1(VALU_DEP_3)
	v_cmp_lt_u32_e64 s11, v5, v53
	v_lshl_add_u32 v19, v19, 2, v11
	s_delay_alu instid0(VALU_DEP_3) | instskip(SKIP_4) | instid1(VALU_DEP_2)
	v_cmp_ge_u32_e64 s13, v8, v54
	ds_load_b32 v19, v19
	s_wait_dscnt 0x0
	v_cndmask_b32_e64 v25, v19, v17, s10
	v_cndmask_b32_e64 v19, v18, v19, s10
	v_and_b32_e32 v21, v25, v51
	s_delay_alu instid0(VALU_DEP_2) | instskip(NEXT) | instid1(VALU_DEP_1)
	v_and_b32_e32 v22, v19, v51
	v_cmp_le_u32_e64 s12, v22, v21
	s_and_b32 s11, s11, s12
	s_wait_alu 0xfffe
	s_or_b32 s11, s13, s11
	s_wait_alu 0xfffe
	v_cndmask_b32_e64 v20, v8, v5, s11
	v_cndmask_b32_e64 v21, v54, v53, s11
	s_delay_alu instid0(VALU_DEP_2) | instskip(NEXT) | instid1(VALU_DEP_2)
	v_add_nc_u32_e32 v22, 1, v20
	v_add_nc_u32_e32 v21, -1, v21
	v_lshl_add_u32 v20, v20, 3, v10
	s_delay_alu instid0(VALU_DEP_3) | instskip(NEXT) | instid1(VALU_DEP_3)
	v_cndmask_b32_e64 v5, v5, v22, s11
	v_min_u32_e32 v21, v22, v21
	v_cndmask_b32_e64 v8, v22, v8, s11
	s_delay_alu instid0(VALU_DEP_3) | instskip(NEXT) | instid1(VALU_DEP_3)
	v_cmp_lt_u32_e64 s12, v5, v53
	v_lshl_add_u32 v21, v21, 2, v11
	s_delay_alu instid0(VALU_DEP_3)
	v_cmp_ge_u32_e64 s14, v8, v54
	ds_load_b32 v21, v21
	s_wait_dscnt 0x0
	v_cndmask_b32_e64 v26, v21, v25, s11
	v_cndmask_b32_e64 v55, v19, v21, s11
	;; [unrolled: 1-line block ×3, first 2 shown]
	s_delay_alu instid0(VALU_DEP_3) | instskip(NEXT) | instid1(VALU_DEP_3)
	v_and_b32_e32 v21, v26, v51
	v_and_b32_e32 v23, v55, v51
	s_delay_alu instid0(VALU_DEP_1)
	v_cmp_le_u32_e64 s13, v23, v21
	s_and_b32 s12, s12, s13
	s_wait_alu 0xfffe
	s_or_b32 s12, s14, s12
	s_wait_alu 0xfffe
	v_cndmask_b32_e64 v27, v8, v5, s12
	v_cndmask_b32_e64 v21, v54, v53, s12
	s_delay_alu instid0(VALU_DEP_2) | instskip(NEXT) | instid1(VALU_DEP_2)
	v_add_nc_u32_e32 v22, 1, v27
	v_add_nc_u32_e32 v21, -1, v21
	s_delay_alu instid0(VALU_DEP_2) | instskip(NEXT) | instid1(VALU_DEP_2)
	v_cndmask_b32_e64 v5, v5, v22, s12
	v_min_u32_e32 v21, v22, v21
	v_cndmask_b32_e64 v8, v22, v8, s12
	s_delay_alu instid0(VALU_DEP_3) | instskip(NEXT) | instid1(VALU_DEP_3)
	v_cmp_lt_u32_e64 s13, v5, v53
	v_lshl_add_u32 v21, v21, 2, v11
	s_delay_alu instid0(VALU_DEP_3)
	v_cmp_ge_u32_e64 s15, v8, v54
	ds_load_b32 v21, v21
	s_wait_dscnt 0x0
	v_cndmask_b32_e64 v64, v21, v26, s12
	v_cndmask_b32_e64 v65, v55, v21, s12
	;; [unrolled: 1-line block ×3, first 2 shown]
	s_delay_alu instid0(VALU_DEP_3) | instskip(NEXT) | instid1(VALU_DEP_3)
	v_and_b32_e32 v21, v64, v51
	v_and_b32_e32 v23, v65, v51
	s_delay_alu instid0(VALU_DEP_1)
	v_cmp_le_u32_e64 s14, v23, v21
	s_and_b32 s13, s13, s14
	s_wait_alu 0xfffe
	s_or_b32 s13, s15, s13
	s_wait_alu 0xfffe
	v_cndmask_b32_e64 v28, v8, v5, s13
	v_cndmask_b32_e64 v21, v54, v53, s13
	;; [unrolled: 1-line block ×3, first 2 shown]
	s_delay_alu instid0(VALU_DEP_3) | instskip(NEXT) | instid1(VALU_DEP_3)
	v_add_nc_u32_e32 v22, 1, v28
	v_add_nc_u32_e32 v21, -1, v21
	s_delay_alu instid0(VALU_DEP_2) | instskip(NEXT) | instid1(VALU_DEP_2)
	v_cndmask_b32_e64 v5, v5, v22, s13
	v_min_u32_e32 v21, v22, v21
	v_cndmask_b32_e64 v8, v22, v8, s13
	s_delay_alu instid0(VALU_DEP_3) | instskip(NEXT) | instid1(VALU_DEP_3)
	v_cmp_lt_u32_e64 s14, v5, v53
	v_lshl_add_u32 v21, v21, 2, v11
	s_delay_alu instid0(VALU_DEP_3) | instskip(SKIP_4) | instid1(VALU_DEP_2)
	v_cmp_ge_u32_e64 s16, v8, v54
	ds_load_b32 v21, v21
	s_wait_dscnt 0x0
	v_cndmask_b32_e64 v66, v21, v64, s13
	v_cndmask_b32_e64 v67, v65, v21, s13
	v_and_b32_e32 v21, v66, v51
	s_delay_alu instid0(VALU_DEP_2) | instskip(NEXT) | instid1(VALU_DEP_1)
	v_and_b32_e32 v23, v67, v51
	v_cmp_le_u32_e64 s15, v23, v21
	s_and_b32 s14, s14, s15
	s_wait_alu 0xfffe
	s_or_b32 s14, s16, s14
	s_wait_alu 0xfffe
	v_cndmask_b32_e64 v29, v8, v5, s14
	v_cndmask_b32_e64 v21, v54, v53, s14
	s_delay_alu instid0(VALU_DEP_2) | instskip(NEXT) | instid1(VALU_DEP_2)
	v_add_nc_u32_e32 v22, 1, v29
	v_add_nc_u32_e32 v21, -1, v21
	s_delay_alu instid0(VALU_DEP_2) | instskip(NEXT) | instid1(VALU_DEP_2)
	v_cndmask_b32_e64 v5, v5, v22, s14
	v_min_u32_e32 v21, v22, v21
	v_cndmask_b32_e64 v8, v22, v8, s14
	s_delay_alu instid0(VALU_DEP_3) | instskip(NEXT) | instid1(VALU_DEP_3)
	v_cmp_lt_u32_e64 s15, v5, v53
	v_lshl_add_u32 v21, v21, 2, v11
	s_delay_alu instid0(VALU_DEP_3) | instskip(SKIP_4) | instid1(VALU_DEP_2)
	v_cmp_ge_u32_e64 s17, v8, v54
	ds_load_b32 v21, v21
	s_wait_dscnt 0x0
	v_cndmask_b32_e64 v68, v21, v66, s14
	v_cndmask_b32_e64 v69, v67, v21, s14
	v_and_b32_e32 v21, v68, v51
	s_delay_alu instid0(VALU_DEP_2) | instskip(NEXT) | instid1(VALU_DEP_1)
	v_and_b32_e32 v23, v69, v51
	v_cmp_le_u32_e64 s16, v23, v21
	s_and_b32 s15, s15, s16
	s_wait_alu 0xfffe
	s_or_b32 s15, s17, s15
	s_wait_alu 0xfffe
	v_cndmask_b32_e64 v30, v8, v5, s15
	v_cndmask_b32_e64 v21, v54, v53, s15
	;; [unrolled: 1-line block ×3, first 2 shown]
	s_delay_alu instid0(VALU_DEP_3) | instskip(NEXT) | instid1(VALU_DEP_3)
	v_add_nc_u32_e32 v22, 1, v30
	v_add_nc_u32_e32 v21, -1, v21
	v_lshl_add_u32 v33, v30, 3, v10
	s_delay_alu instid0(VALU_DEP_3) | instskip(NEXT) | instid1(VALU_DEP_3)
	v_cndmask_b32_e64 v32, v5, v22, s15
	v_min_u32_e32 v21, v22, v21
	v_cndmask_b32_e64 v8, v22, v8, s15
	s_delay_alu instid0(VALU_DEP_3) | instskip(NEXT) | instid1(VALU_DEP_3)
	v_cmp_lt_u32_e64 s16, v32, v53
	v_lshl_add_u32 v21, v21, 2, v11
	s_delay_alu instid0(VALU_DEP_3) | instskip(SKIP_4) | instid1(VALU_DEP_2)
	v_cmp_ge_u32_e64 s18, v8, v54
	ds_load_b32 v21, v21
	s_wait_dscnt 0x0
	v_cndmask_b32_e64 v70, v21, v68, s15
	v_cndmask_b32_e64 v71, v69, v21, s15
	v_and_b32_e32 v5, v70, v51
	s_delay_alu instid0(VALU_DEP_2) | instskip(NEXT) | instid1(VALU_DEP_1)
	v_and_b32_e32 v21, v71, v51
	v_cmp_le_u32_e64 s17, v21, v5
	ds_load_b64 v[4:5], v4 offset:8192
	ds_load_b64 v[21:22], v9 offset:8192
	v_lshl_add_u32 v9, v27, 3, v10
	ds_load_b64 v[23:24], v20 offset:8192
	v_lshl_add_u32 v20, v28, 3, v10
	s_and_b32 s16, s16, s17
	s_wait_alu 0xfffe
	s_or_b32 s16, s18, s16
	s_wait_alu 0xfffe
	v_cndmask_b32_e64 v8, v8, v32, s16
	v_lshl_add_u32 v32, v29, 3, v10
	v_cndmask_b32_e64 v18, v70, v71, s16
	s_delay_alu instid0(VALU_DEP_3)
	v_lshl_add_u32 v53, v8, 3, v10
	ds_load_b64 v[27:28], v9 offset:8192
	ds_load_b64 v[29:30], v20 offset:8192
	ds_load_b64 v[34:35], v32 offset:8192
	ds_load_b64 v[8:9], v33 offset:8192
	ds_load_b64 v[32:33], v53 offset:8192
	v_cndmask_b32_e64 v20, v66, v67, s14
.LBB615_104:
	s_wait_alu 0xfffe
	s_or_b32 exec_lo, exec_lo, s20
	v_and_b32_e32 v65, 0xc0, v49
	v_and_b32_e32 v55, 56, v49
	s_mov_b32 s10, exec_lo
	; wave barrier
	s_delay_alu instid0(VALU_DEP_2) | instskip(NEXT) | instid1(VALU_DEP_2)
	v_or_b32_e32 v53, 32, v65
	v_min_u32_e32 v66, v36, v55
	s_wait_dscnt 0x6
	ds_store_2addr_b64 v37, v[4:5], v[21:22] offset1:1
	s_wait_dscnt 0x5
	ds_store_2addr_b64 v38, v[23:24], v[27:28] offset1:1
	ds_store_2addr_b64 v31, v[15:16], v[25:26] offset1:1
	ds_store_2addr_b64 v31, v[19:20], v[17:18] offset0:2 offset1:3
	s_wait_dscnt 0x6
	ds_store_2addr_b64 v39, v[29:30], v[34:35] offset1:1
	s_wait_dscnt 0x5
	ds_store_2addr_b64 v52, v[8:9], v[32:33] offset1:1
	v_min_u32_e32 v53, v36, v53
	; wave barrier
	s_delay_alu instid0(VALU_DEP_1) | instskip(SKIP_1) | instid1(VALU_DEP_2)
	v_add_nc_u32_e32 v54, 32, v53
	v_sub_nc_u32_e32 v55, v53, v65
	v_min_u32_e32 v54, v36, v54
	s_delay_alu instid0(VALU_DEP_2) | instskip(NEXT) | instid1(VALU_DEP_2)
	v_min_u32_e32 v67, v66, v55
	v_sub_nc_u32_e32 v64, v54, v53
	s_delay_alu instid0(VALU_DEP_1) | instskip(SKIP_1) | instid1(VALU_DEP_2)
	v_sub_nc_u32_e64 v55, v66, v64 clamp
	v_lshl_add_u32 v64, v65, 2, v11
	v_cmpx_lt_u32_e64 v55, v67
	s_cbranch_execz .LBB615_108
; %bb.105:
	v_lshlrev_b32_e32 v68, 2, v53
	v_lshlrev_b32_e32 v69, 2, v66
	s_mov_b32 s11, 0
	s_delay_alu instid0(VALU_DEP_1)
	v_add3_u32 v68, v11, v68, v69
.LBB615_106:                            ; =>This Inner Loop Header: Depth=1
	v_add_nc_u32_e32 v69, v67, v55
	s_delay_alu instid0(VALU_DEP_1) | instskip(NEXT) | instid1(VALU_DEP_1)
	v_lshrrev_b32_e32 v69, 1, v69
	v_not_b32_e32 v70, v69
	v_lshl_add_u32 v71, v69, 2, v64
	v_add_nc_u32_e32 v80, 1, v69
	s_delay_alu instid0(VALU_DEP_3)
	v_lshl_add_u32 v70, v70, 2, v68
	ds_load_b32 v71, v71
	ds_load_b32 v70, v70
	s_wait_dscnt 0x1
	v_and_b32_e32 v71, v71, v51
	s_wait_dscnt 0x0
	v_and_b32_e32 v70, v70, v51
	s_delay_alu instid0(VALU_DEP_1) | instskip(SKIP_1) | instid1(VALU_DEP_1)
	v_cmp_gt_u32_e64 s7, v71, v70
	s_wait_alu 0xf1ff
	v_cndmask_b32_e64 v67, v67, v69, s7
	v_cndmask_b32_e64 v55, v80, v55, s7
	s_delay_alu instid0(VALU_DEP_1)
	v_cmp_ge_u32_e64 s7, v55, v67
	s_wait_alu 0xfffe
	s_or_b32 s11, s7, s11
	s_wait_alu 0xfffe
	s_and_not1_b32 exec_lo, exec_lo, s11
	s_cbranch_execnz .LBB615_106
; %bb.107:
	s_or_b32 exec_lo, exec_lo, s11
.LBB615_108:
	s_wait_alu 0xfffe
	s_or_b32 exec_lo, exec_lo, s10
	v_add_nc_u32_e32 v67, v53, v66
	v_add_nc_u32_e32 v66, v55, v65
	s_delay_alu instid0(VALU_DEP_2) | instskip(NEXT) | instid1(VALU_DEP_2)
	v_sub_nc_u32_e32 v65, v67, v55
	v_cmp_le_u32_e64 s7, v66, v53
	s_delay_alu instid0(VALU_DEP_2)
	v_cmp_le_u32_e64 s10, v65, v54
	s_or_b32 s7, s7, s10
	s_wait_alu 0xfffe
	s_and_saveexec_b32 s20, s7
	s_cbranch_execz .LBB615_114
; %bb.109:
	v_cmp_lt_u32_e64 s7, v66, v53
                                        ; implicit-def: $vgpr15
	s_and_saveexec_b32 s10, s7
; %bb.110:
	v_lshl_add_u32 v4, v55, 2, v64
	ds_load_b32 v15, v4
; %bb.111:
	s_wait_alu 0xfffe
	s_or_b32 exec_lo, exec_lo, s10
	v_cmp_ge_u32_e64 s10, v65, v54
	s_mov_b32 s12, exec_lo
                                        ; implicit-def: $vgpr16
	v_cmpx_lt_u32_e64 v65, v54
; %bb.112:
	v_lshl_add_u32 v4, v65, 2, v11
	ds_load_b32 v16, v4
; %bb.113:
	s_wait_alu 0xfffe
	s_or_b32 exec_lo, exec_lo, s12
	s_wait_dscnt 0x0
	v_and_b32_e32 v4, v16, v51
	v_and_b32_e32 v5, v15, v51
	s_delay_alu instid0(VALU_DEP_1)
	v_cmp_le_u32_e64 s11, v5, v4
	s_and_b32 s7, s7, s11
	s_wait_alu 0xfffe
	s_or_b32 s7, s10, s7
	s_wait_alu 0xfffe
	v_cndmask_b32_e64 v4, v65, v66, s7
	v_cndmask_b32_e64 v5, v54, v53, s7
	s_delay_alu instid0(VALU_DEP_2) | instskip(NEXT) | instid1(VALU_DEP_2)
	v_add_nc_u32_e32 v8, 1, v4
	v_add_nc_u32_e32 v5, -1, v5
	v_lshl_add_u32 v4, v4, 3, v10
	s_delay_alu instid0(VALU_DEP_2) | instskip(NEXT) | instid1(VALU_DEP_1)
	v_min_u32_e32 v5, v8, v5
	v_lshl_add_u32 v5, v5, 2, v11
	ds_load_b32 v5, v5
	s_wait_dscnt 0x0
	v_cndmask_b32_e64 v17, v5, v16, s7
	v_cndmask_b32_e64 v18, v15, v5, s7
	;; [unrolled: 1-line block ×5, first 2 shown]
	v_and_b32_e32 v9, v17, v51
	v_and_b32_e32 v19, v18, v51
	v_cmp_lt_u32_e64 s10, v5, v53
	v_cmp_ge_u32_e64 s12, v8, v54
	s_delay_alu instid0(VALU_DEP_3)
	v_cmp_le_u32_e64 s11, v19, v9
	s_and_b32 s10, s10, s11
	s_wait_alu 0xfffe
	s_or_b32 s10, s12, s10
	s_wait_alu 0xfffe
	v_cndmask_b32_e64 v9, v8, v5, s10
	v_cndmask_b32_e64 v19, v54, v53, s10
	;; [unrolled: 1-line block ×3, first 2 shown]
	s_delay_alu instid0(VALU_DEP_3) | instskip(NEXT) | instid1(VALU_DEP_3)
	v_add_nc_u32_e32 v20, 1, v9
	v_add_nc_u32_e32 v19, -1, v19
	v_lshl_add_u32 v9, v9, 3, v10
	s_delay_alu instid0(VALU_DEP_3) | instskip(NEXT) | instid1(VALU_DEP_3)
	v_cndmask_b32_e64 v5, v5, v20, s10
	v_min_u32_e32 v19, v20, v19
	v_cndmask_b32_e64 v8, v20, v8, s10
	s_delay_alu instid0(VALU_DEP_3) | instskip(NEXT) | instid1(VALU_DEP_3)
	v_cmp_lt_u32_e64 s11, v5, v53
	v_lshl_add_u32 v19, v19, 2, v11
	s_delay_alu instid0(VALU_DEP_3) | instskip(SKIP_4) | instid1(VALU_DEP_2)
	v_cmp_ge_u32_e64 s13, v8, v54
	ds_load_b32 v19, v19
	s_wait_dscnt 0x0
	v_cndmask_b32_e64 v25, v19, v17, s10
	v_cndmask_b32_e64 v19, v18, v19, s10
	v_and_b32_e32 v21, v25, v51
	s_delay_alu instid0(VALU_DEP_2) | instskip(NEXT) | instid1(VALU_DEP_1)
	v_and_b32_e32 v22, v19, v51
	v_cmp_le_u32_e64 s12, v22, v21
	s_and_b32 s11, s11, s12
	s_wait_alu 0xfffe
	s_or_b32 s11, s13, s11
	s_wait_alu 0xfffe
	v_cndmask_b32_e64 v20, v8, v5, s11
	v_cndmask_b32_e64 v21, v54, v53, s11
	s_delay_alu instid0(VALU_DEP_2) | instskip(NEXT) | instid1(VALU_DEP_2)
	v_add_nc_u32_e32 v22, 1, v20
	v_add_nc_u32_e32 v21, -1, v21
	v_lshl_add_u32 v20, v20, 3, v10
	s_delay_alu instid0(VALU_DEP_3) | instskip(NEXT) | instid1(VALU_DEP_3)
	v_cndmask_b32_e64 v5, v5, v22, s11
	v_min_u32_e32 v21, v22, v21
	v_cndmask_b32_e64 v8, v22, v8, s11
	s_delay_alu instid0(VALU_DEP_3) | instskip(NEXT) | instid1(VALU_DEP_3)
	v_cmp_lt_u32_e64 s12, v5, v53
	v_lshl_add_u32 v21, v21, 2, v11
	s_delay_alu instid0(VALU_DEP_3)
	v_cmp_ge_u32_e64 s14, v8, v54
	ds_load_b32 v21, v21
	s_wait_dscnt 0x0
	v_cndmask_b32_e64 v26, v21, v25, s11
	v_cndmask_b32_e64 v55, v19, v21, s11
	;; [unrolled: 1-line block ×3, first 2 shown]
	s_delay_alu instid0(VALU_DEP_3) | instskip(NEXT) | instid1(VALU_DEP_3)
	v_and_b32_e32 v21, v26, v51
	v_and_b32_e32 v23, v55, v51
	s_delay_alu instid0(VALU_DEP_1)
	v_cmp_le_u32_e64 s13, v23, v21
	s_and_b32 s12, s12, s13
	s_wait_alu 0xfffe
	s_or_b32 s12, s14, s12
	s_wait_alu 0xfffe
	v_cndmask_b32_e64 v27, v8, v5, s12
	v_cndmask_b32_e64 v21, v54, v53, s12
	s_delay_alu instid0(VALU_DEP_2) | instskip(NEXT) | instid1(VALU_DEP_2)
	v_add_nc_u32_e32 v22, 1, v27
	v_add_nc_u32_e32 v21, -1, v21
	s_delay_alu instid0(VALU_DEP_2) | instskip(NEXT) | instid1(VALU_DEP_2)
	v_cndmask_b32_e64 v5, v5, v22, s12
	v_min_u32_e32 v21, v22, v21
	v_cndmask_b32_e64 v8, v22, v8, s12
	s_delay_alu instid0(VALU_DEP_3) | instskip(NEXT) | instid1(VALU_DEP_3)
	v_cmp_lt_u32_e64 s13, v5, v53
	v_lshl_add_u32 v21, v21, 2, v11
	s_delay_alu instid0(VALU_DEP_3)
	v_cmp_ge_u32_e64 s15, v8, v54
	ds_load_b32 v21, v21
	s_wait_dscnt 0x0
	v_cndmask_b32_e64 v64, v21, v26, s12
	v_cndmask_b32_e64 v65, v55, v21, s12
	;; [unrolled: 1-line block ×3, first 2 shown]
	s_delay_alu instid0(VALU_DEP_3) | instskip(NEXT) | instid1(VALU_DEP_3)
	v_and_b32_e32 v21, v64, v51
	v_and_b32_e32 v23, v65, v51
	s_delay_alu instid0(VALU_DEP_1)
	v_cmp_le_u32_e64 s14, v23, v21
	s_and_b32 s13, s13, s14
	s_wait_alu 0xfffe
	s_or_b32 s13, s15, s13
	s_wait_alu 0xfffe
	v_cndmask_b32_e64 v28, v8, v5, s13
	v_cndmask_b32_e64 v21, v54, v53, s13
	;; [unrolled: 1-line block ×3, first 2 shown]
	s_delay_alu instid0(VALU_DEP_3) | instskip(NEXT) | instid1(VALU_DEP_3)
	v_add_nc_u32_e32 v22, 1, v28
	v_add_nc_u32_e32 v21, -1, v21
	s_delay_alu instid0(VALU_DEP_2) | instskip(NEXT) | instid1(VALU_DEP_2)
	v_cndmask_b32_e64 v5, v5, v22, s13
	v_min_u32_e32 v21, v22, v21
	v_cndmask_b32_e64 v8, v22, v8, s13
	s_delay_alu instid0(VALU_DEP_3) | instskip(NEXT) | instid1(VALU_DEP_3)
	v_cmp_lt_u32_e64 s14, v5, v53
	v_lshl_add_u32 v21, v21, 2, v11
	s_delay_alu instid0(VALU_DEP_3) | instskip(SKIP_4) | instid1(VALU_DEP_2)
	v_cmp_ge_u32_e64 s16, v8, v54
	ds_load_b32 v21, v21
	s_wait_dscnt 0x0
	v_cndmask_b32_e64 v66, v21, v64, s13
	v_cndmask_b32_e64 v67, v65, v21, s13
	v_and_b32_e32 v21, v66, v51
	s_delay_alu instid0(VALU_DEP_2) | instskip(NEXT) | instid1(VALU_DEP_1)
	v_and_b32_e32 v23, v67, v51
	v_cmp_le_u32_e64 s15, v23, v21
	s_and_b32 s14, s14, s15
	s_wait_alu 0xfffe
	s_or_b32 s14, s16, s14
	s_wait_alu 0xfffe
	v_cndmask_b32_e64 v29, v8, v5, s14
	v_cndmask_b32_e64 v21, v54, v53, s14
	s_delay_alu instid0(VALU_DEP_2) | instskip(NEXT) | instid1(VALU_DEP_2)
	v_add_nc_u32_e32 v22, 1, v29
	v_add_nc_u32_e32 v21, -1, v21
	s_delay_alu instid0(VALU_DEP_2) | instskip(NEXT) | instid1(VALU_DEP_2)
	v_cndmask_b32_e64 v5, v5, v22, s14
	v_min_u32_e32 v21, v22, v21
	v_cndmask_b32_e64 v8, v22, v8, s14
	s_delay_alu instid0(VALU_DEP_3) | instskip(NEXT) | instid1(VALU_DEP_3)
	v_cmp_lt_u32_e64 s15, v5, v53
	v_lshl_add_u32 v21, v21, 2, v11
	s_delay_alu instid0(VALU_DEP_3) | instskip(SKIP_4) | instid1(VALU_DEP_2)
	v_cmp_ge_u32_e64 s17, v8, v54
	ds_load_b32 v21, v21
	s_wait_dscnt 0x0
	v_cndmask_b32_e64 v68, v21, v66, s14
	v_cndmask_b32_e64 v69, v67, v21, s14
	v_and_b32_e32 v21, v68, v51
	s_delay_alu instid0(VALU_DEP_2) | instskip(NEXT) | instid1(VALU_DEP_1)
	v_and_b32_e32 v23, v69, v51
	v_cmp_le_u32_e64 s16, v23, v21
	s_and_b32 s15, s15, s16
	s_wait_alu 0xfffe
	s_or_b32 s15, s17, s15
	s_wait_alu 0xfffe
	v_cndmask_b32_e64 v30, v8, v5, s15
	v_cndmask_b32_e64 v21, v54, v53, s15
	;; [unrolled: 1-line block ×3, first 2 shown]
	s_delay_alu instid0(VALU_DEP_3) | instskip(NEXT) | instid1(VALU_DEP_3)
	v_add_nc_u32_e32 v22, 1, v30
	v_add_nc_u32_e32 v21, -1, v21
	v_lshl_add_u32 v33, v30, 3, v10
	s_delay_alu instid0(VALU_DEP_3) | instskip(NEXT) | instid1(VALU_DEP_3)
	v_cndmask_b32_e64 v32, v5, v22, s15
	v_min_u32_e32 v21, v22, v21
	v_cndmask_b32_e64 v8, v22, v8, s15
	s_delay_alu instid0(VALU_DEP_3) | instskip(NEXT) | instid1(VALU_DEP_3)
	v_cmp_lt_u32_e64 s16, v32, v53
	v_lshl_add_u32 v21, v21, 2, v11
	s_delay_alu instid0(VALU_DEP_3) | instskip(SKIP_4) | instid1(VALU_DEP_2)
	v_cmp_ge_u32_e64 s18, v8, v54
	ds_load_b32 v21, v21
	s_wait_dscnt 0x0
	v_cndmask_b32_e64 v70, v21, v68, s15
	v_cndmask_b32_e64 v71, v69, v21, s15
	v_and_b32_e32 v5, v70, v51
	s_delay_alu instid0(VALU_DEP_2) | instskip(NEXT) | instid1(VALU_DEP_1)
	v_and_b32_e32 v21, v71, v51
	v_cmp_le_u32_e64 s17, v21, v5
	ds_load_b64 v[4:5], v4 offset:8192
	ds_load_b64 v[21:22], v9 offset:8192
	v_lshl_add_u32 v9, v27, 3, v10
	ds_load_b64 v[23:24], v20 offset:8192
	v_lshl_add_u32 v20, v28, 3, v10
	s_and_b32 s16, s16, s17
	s_wait_alu 0xfffe
	s_or_b32 s16, s18, s16
	s_wait_alu 0xfffe
	v_cndmask_b32_e64 v8, v8, v32, s16
	v_lshl_add_u32 v32, v29, 3, v10
	v_cndmask_b32_e64 v18, v70, v71, s16
	s_delay_alu instid0(VALU_DEP_3)
	v_lshl_add_u32 v53, v8, 3, v10
	ds_load_b64 v[27:28], v9 offset:8192
	ds_load_b64 v[29:30], v20 offset:8192
	;; [unrolled: 1-line block ×5, first 2 shown]
	v_cndmask_b32_e64 v20, v66, v67, s14
.LBB615_114:
	s_wait_alu 0xfffe
	s_or_b32 exec_lo, exec_lo, s20
	v_and_b32_e32 v54, 0x80, v49
	v_min_u32_e32 v50, v36, v50
	; wave barrier
	s_wait_dscnt 0x6
	ds_store_2addr_b64 v37, v[4:5], v[21:22] offset1:1
	s_wait_dscnt 0x5
	ds_store_2addr_b64 v38, v[23:24], v[27:28] offset1:1
	ds_store_2addr_b64 v31, v[15:16], v[25:26] offset1:1
	ds_store_2addr_b64 v31, v[19:20], v[17:18] offset0:2 offset1:3
	v_or_b32_e32 v49, 64, v54
	v_lshl_add_u32 v31, v54, 2, v11
	s_mov_b32 s10, exec_lo
	s_wait_dscnt 0x6
	ds_store_2addr_b64 v39, v[29:30], v[34:35] offset1:1
	s_wait_dscnt 0x5
	ds_store_2addr_b64 v52, v[8:9], v[32:33] offset1:1
	v_min_u32_e32 v53, v36, v49
	; wave barrier
	s_delay_alu instid0(VALU_DEP_1) | instskip(NEXT) | instid1(VALU_DEP_1)
	v_add_nc_u32_e32 v49, 64, v53
	v_min_u32_e32 v49, v36, v49
	v_sub_nc_u32_e32 v36, v53, v54
	s_delay_alu instid0(VALU_DEP_2) | instskip(NEXT) | instid1(VALU_DEP_2)
	v_sub_nc_u32_e32 v64, v49, v53
	v_min_u32_e32 v55, v50, v36
	s_delay_alu instid0(VALU_DEP_2) | instskip(NEXT) | instid1(VALU_DEP_1)
	v_sub_nc_u32_e64 v36, v50, v64 clamp
	v_cmpx_lt_u32_e64 v36, v55
	s_cbranch_execz .LBB615_118
; %bb.115:
	v_lshlrev_b32_e32 v37, 2, v53
	v_lshlrev_b32_e32 v38, 2, v50
	s_mov_b32 s11, 0
	s_delay_alu instid0(VALU_DEP_1)
	v_add3_u32 v37, v11, v37, v38
.LBB615_116:                            ; =>This Inner Loop Header: Depth=1
	v_add_nc_u32_e32 v38, v55, v36
	s_delay_alu instid0(VALU_DEP_1) | instskip(NEXT) | instid1(VALU_DEP_1)
	v_lshrrev_b32_e32 v38, 1, v38
	v_not_b32_e32 v39, v38
	v_lshl_add_u32 v52, v38, 2, v31
	v_add_nc_u32_e32 v64, 1, v38
	s_delay_alu instid0(VALU_DEP_3)
	v_lshl_add_u32 v39, v39, 2, v37
	ds_load_b32 v52, v52
	ds_load_b32 v39, v39
	s_wait_dscnt 0x1
	v_and_b32_e32 v52, v52, v51
	s_wait_dscnt 0x0
	v_and_b32_e32 v39, v39, v51
	s_delay_alu instid0(VALU_DEP_1) | instskip(SKIP_1) | instid1(VALU_DEP_1)
	v_cmp_gt_u32_e64 s7, v52, v39
	s_wait_alu 0xf1ff
	v_cndmask_b32_e64 v55, v55, v38, s7
	v_cndmask_b32_e64 v36, v64, v36, s7
	s_delay_alu instid0(VALU_DEP_1)
	v_cmp_ge_u32_e64 s7, v36, v55
	s_wait_alu 0xfffe
	s_or_b32 s11, s7, s11
	s_wait_alu 0xfffe
	s_and_not1_b32 exec_lo, exec_lo, s11
	s_cbranch_execnz .LBB615_116
; %bb.117:
	s_or_b32 exec_lo, exec_lo, s11
.LBB615_118:
	s_wait_alu 0xfffe
	s_or_b32 exec_lo, exec_lo, s10
	v_add_nc_u32_e32 v37, v53, v50
	v_add_nc_u32_e32 v38, v36, v54
	s_delay_alu instid0(VALU_DEP_2) | instskip(NEXT) | instid1(VALU_DEP_2)
	v_sub_nc_u32_e32 v37, v37, v36
	v_cmp_le_u32_e64 s7, v38, v53
	s_delay_alu instid0(VALU_DEP_2)
	v_cmp_le_u32_e64 s10, v37, v49
	s_or_b32 s7, s7, s10
	s_wait_alu 0xfffe
	s_and_saveexec_b32 s20, s7
	s_cbranch_execz .LBB615_124
; %bb.119:
	v_cmp_lt_u32_e64 s7, v38, v53
                                        ; implicit-def: $vgpr15
	s_and_saveexec_b32 s10, s7
; %bb.120:
	v_lshl_add_u32 v4, v36, 2, v31
	ds_load_b32 v15, v4
; %bb.121:
	s_wait_alu 0xfffe
	s_or_b32 exec_lo, exec_lo, s10
	v_cmp_ge_u32_e64 s10, v37, v49
	s_mov_b32 s12, exec_lo
                                        ; implicit-def: $vgpr16
	v_cmpx_lt_u32_e64 v37, v49
; %bb.122:
	v_lshl_add_u32 v4, v37, 2, v11
	ds_load_b32 v16, v4
; %bb.123:
	s_wait_alu 0xfffe
	s_or_b32 exec_lo, exec_lo, s12
	s_wait_dscnt 0x0
	v_and_b32_e32 v4, v16, v51
	v_and_b32_e32 v5, v15, v51
	s_delay_alu instid0(VALU_DEP_1)
	v_cmp_le_u32_e64 s11, v5, v4
	s_and_b32 s7, s7, s11
	s_wait_alu 0xfffe
	s_or_b32 s7, s10, s7
	s_wait_alu 0xfffe
	v_cndmask_b32_e64 v4, v37, v38, s7
	v_cndmask_b32_e64 v5, v49, v53, s7
	s_delay_alu instid0(VALU_DEP_2) | instskip(NEXT) | instid1(VALU_DEP_2)
	v_add_nc_u32_e32 v8, 1, v4
	v_add_nc_u32_e32 v5, -1, v5
	v_lshl_add_u32 v4, v4, 3, v10
	s_delay_alu instid0(VALU_DEP_2) | instskip(NEXT) | instid1(VALU_DEP_1)
	v_min_u32_e32 v5, v8, v5
	v_lshl_add_u32 v5, v5, 2, v11
	ds_load_b32 v5, v5
	s_wait_dscnt 0x0
	v_cndmask_b32_e64 v17, v5, v16, s7
	v_cndmask_b32_e64 v18, v15, v5, s7
	;; [unrolled: 1-line block ×5, first 2 shown]
	v_and_b32_e32 v9, v17, v51
	v_and_b32_e32 v19, v18, v51
	v_cmp_lt_u32_e64 s10, v5, v53
	v_cmp_ge_u32_e64 s12, v8, v49
	s_delay_alu instid0(VALU_DEP_3)
	v_cmp_le_u32_e64 s11, v19, v9
	s_and_b32 s10, s10, s11
	s_wait_alu 0xfffe
	s_or_b32 s10, s12, s10
	s_wait_alu 0xfffe
	v_cndmask_b32_e64 v9, v8, v5, s10
	v_cndmask_b32_e64 v19, v49, v53, s10
	;; [unrolled: 1-line block ×3, first 2 shown]
	s_delay_alu instid0(VALU_DEP_3) | instskip(NEXT) | instid1(VALU_DEP_3)
	v_add_nc_u32_e32 v20, 1, v9
	v_add_nc_u32_e32 v19, -1, v19
	v_lshl_add_u32 v9, v9, 3, v10
	s_delay_alu instid0(VALU_DEP_3) | instskip(NEXT) | instid1(VALU_DEP_3)
	v_cndmask_b32_e64 v5, v5, v20, s10
	v_min_u32_e32 v19, v20, v19
	v_cndmask_b32_e64 v8, v20, v8, s10
	s_delay_alu instid0(VALU_DEP_3) | instskip(NEXT) | instid1(VALU_DEP_3)
	v_cmp_lt_u32_e64 s11, v5, v53
	v_lshl_add_u32 v19, v19, 2, v11
	s_delay_alu instid0(VALU_DEP_3) | instskip(SKIP_4) | instid1(VALU_DEP_2)
	v_cmp_ge_u32_e64 s13, v8, v49
	ds_load_b32 v19, v19
	s_wait_dscnt 0x0
	v_cndmask_b32_e64 v25, v19, v17, s10
	v_cndmask_b32_e64 v19, v18, v19, s10
	v_and_b32_e32 v21, v25, v51
	s_delay_alu instid0(VALU_DEP_2) | instskip(NEXT) | instid1(VALU_DEP_1)
	v_and_b32_e32 v22, v19, v51
	v_cmp_le_u32_e64 s12, v22, v21
	s_and_b32 s11, s11, s12
	s_wait_alu 0xfffe
	s_or_b32 s11, s13, s11
	s_wait_alu 0xfffe
	v_cndmask_b32_e64 v20, v8, v5, s11
	v_cndmask_b32_e64 v21, v49, v53, s11
	s_delay_alu instid0(VALU_DEP_2) | instskip(NEXT) | instid1(VALU_DEP_2)
	v_add_nc_u32_e32 v22, 1, v20
	v_add_nc_u32_e32 v21, -1, v21
	v_lshl_add_u32 v20, v20, 3, v10
	s_delay_alu instid0(VALU_DEP_3) | instskip(NEXT) | instid1(VALU_DEP_3)
	v_cndmask_b32_e64 v5, v5, v22, s11
	v_min_u32_e32 v21, v22, v21
	v_cndmask_b32_e64 v8, v22, v8, s11
	s_delay_alu instid0(VALU_DEP_3) | instskip(NEXT) | instid1(VALU_DEP_3)
	v_cmp_lt_u32_e64 s12, v5, v53
	v_lshl_add_u32 v21, v21, 2, v11
	s_delay_alu instid0(VALU_DEP_3)
	v_cmp_ge_u32_e64 s14, v8, v49
	ds_load_b32 v21, v21
	s_wait_dscnt 0x0
	v_cndmask_b32_e64 v26, v21, v25, s11
	v_cndmask_b32_e64 v31, v19, v21, s11
	;; [unrolled: 1-line block ×3, first 2 shown]
	s_delay_alu instid0(VALU_DEP_3) | instskip(NEXT) | instid1(VALU_DEP_3)
	v_and_b32_e32 v21, v26, v51
	v_and_b32_e32 v23, v31, v51
	s_delay_alu instid0(VALU_DEP_1)
	v_cmp_le_u32_e64 s13, v23, v21
	s_and_b32 s12, s12, s13
	s_wait_alu 0xfffe
	s_or_b32 s12, s14, s12
	s_wait_alu 0xfffe
	v_cndmask_b32_e64 v27, v8, v5, s12
	v_cndmask_b32_e64 v21, v49, v53, s12
	s_delay_alu instid0(VALU_DEP_2) | instskip(NEXT) | instid1(VALU_DEP_2)
	v_add_nc_u32_e32 v22, 1, v27
	v_add_nc_u32_e32 v21, -1, v21
	s_delay_alu instid0(VALU_DEP_2) | instskip(NEXT) | instid1(VALU_DEP_2)
	v_cndmask_b32_e64 v5, v5, v22, s12
	v_min_u32_e32 v21, v22, v21
	v_cndmask_b32_e64 v8, v22, v8, s12
	s_delay_alu instid0(VALU_DEP_3) | instskip(NEXT) | instid1(VALU_DEP_3)
	v_cmp_lt_u32_e64 s13, v5, v53
	v_lshl_add_u32 v21, v21, 2, v11
	s_delay_alu instid0(VALU_DEP_3)
	v_cmp_ge_u32_e64 s15, v8, v49
	ds_load_b32 v21, v21
	s_wait_dscnt 0x0
	v_cndmask_b32_e64 v36, v21, v26, s12
	v_cndmask_b32_e64 v37, v31, v21, s12
	;; [unrolled: 1-line block ×3, first 2 shown]
	s_delay_alu instid0(VALU_DEP_3) | instskip(NEXT) | instid1(VALU_DEP_3)
	v_and_b32_e32 v21, v36, v51
	v_and_b32_e32 v23, v37, v51
	s_delay_alu instid0(VALU_DEP_1)
	v_cmp_le_u32_e64 s14, v23, v21
	s_and_b32 s13, s13, s14
	s_wait_alu 0xfffe
	s_or_b32 s13, s15, s13
	s_wait_alu 0xfffe
	v_cndmask_b32_e64 v28, v8, v5, s13
	v_cndmask_b32_e64 v21, v49, v53, s13
	;; [unrolled: 1-line block ×3, first 2 shown]
	s_delay_alu instid0(VALU_DEP_3) | instskip(NEXT) | instid1(VALU_DEP_3)
	v_add_nc_u32_e32 v22, 1, v28
	v_add_nc_u32_e32 v21, -1, v21
	s_delay_alu instid0(VALU_DEP_2) | instskip(NEXT) | instid1(VALU_DEP_2)
	v_cndmask_b32_e64 v5, v5, v22, s13
	v_min_u32_e32 v21, v22, v21
	v_cndmask_b32_e64 v8, v22, v8, s13
	s_delay_alu instid0(VALU_DEP_3) | instskip(NEXT) | instid1(VALU_DEP_3)
	v_cmp_lt_u32_e64 s14, v5, v53
	v_lshl_add_u32 v21, v21, 2, v11
	s_delay_alu instid0(VALU_DEP_3) | instskip(SKIP_4) | instid1(VALU_DEP_2)
	v_cmp_ge_u32_e64 s16, v8, v49
	ds_load_b32 v21, v21
	s_wait_dscnt 0x0
	v_cndmask_b32_e64 v38, v21, v36, s13
	v_cndmask_b32_e64 v39, v37, v21, s13
	v_and_b32_e32 v21, v38, v51
	s_delay_alu instid0(VALU_DEP_2) | instskip(NEXT) | instid1(VALU_DEP_1)
	v_and_b32_e32 v23, v39, v51
	v_cmp_le_u32_e64 s15, v23, v21
	s_and_b32 s14, s14, s15
	s_wait_alu 0xfffe
	s_or_b32 s14, s16, s14
	s_wait_alu 0xfffe
	v_cndmask_b32_e64 v29, v8, v5, s14
	v_cndmask_b32_e64 v21, v49, v53, s14
	s_delay_alu instid0(VALU_DEP_2) | instskip(NEXT) | instid1(VALU_DEP_2)
	v_add_nc_u32_e32 v22, 1, v29
	v_add_nc_u32_e32 v21, -1, v21
	s_delay_alu instid0(VALU_DEP_2) | instskip(NEXT) | instid1(VALU_DEP_2)
	v_cndmask_b32_e64 v5, v5, v22, s14
	v_min_u32_e32 v21, v22, v21
	v_cndmask_b32_e64 v8, v22, v8, s14
	s_delay_alu instid0(VALU_DEP_3) | instskip(NEXT) | instid1(VALU_DEP_3)
	v_cmp_lt_u32_e64 s15, v5, v53
	v_lshl_add_u32 v21, v21, 2, v11
	s_delay_alu instid0(VALU_DEP_3) | instskip(SKIP_4) | instid1(VALU_DEP_2)
	v_cmp_ge_u32_e64 s17, v8, v49
	ds_load_b32 v21, v21
	s_wait_dscnt 0x0
	v_cndmask_b32_e64 v50, v21, v38, s14
	v_cndmask_b32_e64 v52, v39, v21, s14
	v_and_b32_e32 v21, v50, v51
	s_delay_alu instid0(VALU_DEP_2) | instskip(NEXT) | instid1(VALU_DEP_1)
	v_and_b32_e32 v23, v52, v51
	v_cmp_le_u32_e64 s16, v23, v21
	s_and_b32 s15, s15, s16
	s_wait_alu 0xfffe
	s_or_b32 s15, s17, s15
	s_wait_alu 0xfffe
	v_cndmask_b32_e64 v30, v8, v5, s15
	v_cndmask_b32_e64 v21, v49, v53, s15
	v_cndmask_b32_e64 v17, v50, v52, s15
	s_delay_alu instid0(VALU_DEP_3) | instskip(NEXT) | instid1(VALU_DEP_3)
	v_add_nc_u32_e32 v22, 1, v30
	v_add_nc_u32_e32 v21, -1, v21
	v_lshl_add_u32 v33, v30, 3, v10
	s_delay_alu instid0(VALU_DEP_3) | instskip(NEXT) | instid1(VALU_DEP_3)
	v_cndmask_b32_e64 v32, v5, v22, s15
	v_min_u32_e32 v21, v22, v21
	v_cndmask_b32_e64 v8, v22, v8, s15
	s_delay_alu instid0(VALU_DEP_3) | instskip(NEXT) | instid1(VALU_DEP_3)
	v_cmp_lt_u32_e64 s16, v32, v53
	v_lshl_add_u32 v11, v21, 2, v11
	s_delay_alu instid0(VALU_DEP_3) | instskip(SKIP_4) | instid1(VALU_DEP_2)
	v_cmp_ge_u32_e64 s18, v8, v49
	ds_load_b32 v11, v11
	s_wait_dscnt 0x0
	v_cndmask_b32_e64 v54, v11, v50, s15
	v_cndmask_b32_e64 v11, v52, v11, s15
	v_and_b32_e32 v5, v54, v51
	s_delay_alu instid0(VALU_DEP_2) | instskip(NEXT) | instid1(VALU_DEP_1)
	v_and_b32_e32 v21, v11, v51
	v_cmp_le_u32_e64 s17, v21, v5
	ds_load_b64 v[4:5], v4 offset:8192
	ds_load_b64 v[21:22], v9 offset:8192
	v_lshl_add_u32 v9, v27, 3, v10
	ds_load_b64 v[23:24], v20 offset:8192
	v_lshl_add_u32 v20, v28, 3, v10
	s_and_b32 s16, s16, s17
	s_wait_alu 0xfffe
	s_or_b32 s16, s18, s16
	s_wait_alu 0xfffe
	v_cndmask_b32_e64 v8, v8, v32, s16
	v_lshl_add_u32 v32, v29, 3, v10
	v_cndmask_b32_e64 v18, v54, v11, s16
	s_delay_alu instid0(VALU_DEP_3)
	v_lshl_add_u32 v10, v8, 3, v10
	ds_load_b64 v[27:28], v9 offset:8192
	ds_load_b64 v[29:30], v20 offset:8192
	;; [unrolled: 1-line block ×5, first 2 shown]
	v_cndmask_b32_e64 v20, v38, v39, s14
.LBB615_124:
	s_wait_alu 0xfffe
	s_or_b32 exec_lo, exec_lo, s20
	; wave barrier
	s_wait_storecnt_dscnt 0x0
	s_barrier_signal -1
	s_barrier_wait -1
                                        ; implicit-def: $vgpr49
                                        ; implicit-def: $vgpr50
                                        ; implicit-def: $vgpr36
                                        ; implicit-def: $vgpr37
                                        ; implicit-def: $vgpr31
.LBB615_125:
	s_wait_alu 0xfffe
	s_and_not1_saveexec_b32 s17, s19
	s_cbranch_execz .LBB615_225
; %bb.126:
	s_load_b64 s[10:11], s[8:9], 0x0
	s_and_b32 s7, ttmp7, 0xffff
	s_mov_b32 s13, 0
	s_wait_kmcnt 0x0
	s_wait_alu 0xfffe
	s_cmp_lt_u32 s7, s11
	s_cselect_b32 s12, 14, 20
	s_cmp_lt_u32 ttmp9, s10
	s_wait_alu 0xfffe
	s_add_nc_u64 s[14:15], s[8:9], s[12:13]
	s_cselect_b32 s12, 12, 18
	s_load_u16 s7, s[14:15], 0x0
	s_add_nc_u64 s[8:9], s[8:9], s[12:13]
	s_load_u16 s8, s[8:9], 0x0
	s_wait_kmcnt 0x0
	v_mad_u32_u24 v10, v37, s7, v36
	s_delay_alu instid0(VALU_DEP_1) | instskip(SKIP_1) | instid1(VALU_DEP_1)
	v_mul_lo_u32 v10, v10, s8
	s_mov_b32 s8, exec_lo
	v_add_lshl_u32 v51, v10, v31, 3
	s_delay_alu instid0(VALU_DEP_1)
	v_cmpx_gt_u32_e32 0x800, v51
	s_cbranch_execz .LBB615_184
; %bb.127:
	s_wait_loadcnt_dscnt 0x0
	v_mov_b32_e32 v37, v22
	v_dual_mov_b32 v31, v16 :: v_dual_mov_b32 v36, v21
	s_mov_b32 s9, exec_lo
	v_cmpx_gt_i32_e64 v15, v16
; %bb.128:
	v_mov_b32_e32 v37, v5
	v_dual_mov_b32 v31, v15 :: v_dual_mov_b32 v36, v4
	v_dual_mov_b32 v15, v16 :: v_dual_mov_b32 v4, v21
	v_mov_b32_e32 v5, v22
; %bb.129:
	s_wait_alu 0xfffe
	s_or_b32 exec_lo, exec_lo, s9
	v_dual_mov_b32 v16, v26 :: v_dual_mov_b32 v39, v28
	v_mov_b32_e32 v38, v27
	s_mov_b32 s9, exec_lo
	v_cmpx_gt_i32_e64 v25, v26
; %bb.130:
	v_dual_mov_b32 v16, v25 :: v_dual_mov_b32 v25, v26
	v_dual_mov_b32 v39, v24 :: v_dual_mov_b32 v38, v23
	;; [unrolled: 1-line block ×3, first 2 shown]
; %bb.131:
	s_wait_alu 0xfffe
	s_or_b32 exec_lo, exec_lo, s9
	v_dual_mov_b32 v21, v34 :: v_dual_mov_b32 v22, v35
	v_mov_b32_e32 v54, v19
	s_mov_b32 s9, exec_lo
	v_cmpx_gt_i32_e64 v19, v20
; %bb.132:
	v_dual_mov_b32 v21, v29 :: v_dual_mov_b32 v22, v30
	v_dual_mov_b32 v29, v34 :: v_dual_mov_b32 v30, v35
	v_mov_b32_e32 v54, v20
	v_mov_b32_e32 v20, v19
; %bb.133:
	s_wait_alu 0xfffe
	s_or_b32 exec_lo, exec_lo, s9
	v_dual_mov_b32 v10, v32 :: v_dual_mov_b32 v11, v33
	v_mov_b32_e32 v52, v17
	s_mov_b32 s9, exec_lo
	v_cmpx_gt_i32_e64 v17, v18
; %bb.134:
	v_dual_mov_b32 v11, v9 :: v_dual_mov_b32 v10, v8
	v_dual_mov_b32 v8, v32 :: v_dual_mov_b32 v9, v33
	v_mov_b32_e32 v52, v18
	v_mov_b32_e32 v18, v17
; %bb.135:
	s_wait_alu 0xfffe
	s_or_b32 exec_lo, exec_lo, s9
	v_dual_mov_b32 v34, v25 :: v_dual_mov_b32 v27, v24
	v_cmp_gt_i32_e64 s7, v31, v25
	v_mov_b32_e32 v26, v23
	s_and_saveexec_b32 s9, s7
	s_wait_alu 0xfffe
	s_xor_b32 s7, exec_lo, s9
; %bb.136:
	v_dual_mov_b32 v34, v31 :: v_dual_mov_b32 v31, v25
	v_dual_mov_b32 v26, v36 :: v_dual_mov_b32 v27, v37
	;; [unrolled: 1-line block ×3, first 2 shown]
; %bb.137:
	s_wait_alu 0xfffe
	s_or_b32 exec_lo, exec_lo, s7
	v_mov_b32_e32 v23, v29
	v_dual_mov_b32 v19, v16 :: v_dual_mov_b32 v24, v30
	s_mov_b32 s9, exec_lo
	v_cmpx_gt_i32_e64 v16, v54
; %bb.138:
	v_mov_b32_e32 v23, v38
	v_dual_mov_b32 v19, v54 :: v_dual_mov_b32 v24, v39
	v_dual_mov_b32 v39, v30 :: v_dual_mov_b32 v54, v16
	v_mov_b32_e32 v38, v29
; %bb.139:
	s_wait_alu 0xfffe
	s_or_b32 exec_lo, exec_lo, s9
	v_dual_mov_b32 v17, v9 :: v_dual_mov_b32 v16, v8
	v_mov_b32_e32 v53, v20
	s_mov_b32 s9, exec_lo
	v_cmpx_gt_i32_e64 v20, v52
; %bb.140:
	v_dual_mov_b32 v16, v21 :: v_dual_mov_b32 v17, v22
	v_dual_mov_b32 v22, v9 :: v_dual_mov_b32 v21, v8
	;; [unrolled: 1-line block ×3, first 2 shown]
; %bb.141:
	s_wait_alu 0xfffe
	s_or_b32 exec_lo, exec_lo, s9
	v_dual_mov_b32 v35, v31 :: v_dual_mov_b32 v28, v36
	v_mov_b32_e32 v29, v37
	s_mov_b32 s9, exec_lo
	v_cmpx_gt_i32_e64 v15, v31
; %bb.142:
	v_mov_b32_e32 v29, v5
	v_dual_mov_b32 v35, v15 :: v_dual_mov_b32 v28, v4
	v_dual_mov_b32 v15, v31 :: v_dual_mov_b32 v4, v36
	v_mov_b32_e32 v5, v37
; %bb.143:
	s_wait_alu 0xfffe
	s_or_b32 exec_lo, exec_lo, s9
	v_mov_b32_e32 v30, v38
	v_dual_mov_b32 v36, v19 :: v_dual_mov_b32 v31, v39
	s_mov_b32 s9, exec_lo
	v_cmpx_gt_i32_e64 v34, v19
; %bb.144:
	v_dual_mov_b32 v36, v34 :: v_dual_mov_b32 v31, v27
	v_mov_b32_e32 v30, v26
	v_mov_b32_e32 v26, v38
	v_dual_mov_b32 v34, v19 :: v_dual_mov_b32 v27, v39
; %bb.145:
	s_wait_alu 0xfffe
	s_or_b32 exec_lo, exec_lo, s9
	v_dual_mov_b32 v19, v21 :: v_dual_mov_b32 v20, v22
	v_mov_b32_e32 v55, v54
	s_mov_b32 s9, exec_lo
	v_cmpx_gt_i32_e64 v54, v53
; %bb.146:
	v_dual_mov_b32 v19, v23 :: v_dual_mov_b32 v20, v24
	v_dual_mov_b32 v24, v22 :: v_dual_mov_b32 v23, v21
	v_mov_b32_e32 v55, v53
	v_mov_b32_e32 v53, v54
; %bb.147:
	s_wait_alu 0xfffe
	s_or_b32 exec_lo, exec_lo, s9
	v_dual_mov_b32 v8, v10 :: v_dual_mov_b32 v9, v11
	v_mov_b32_e32 v54, v52
	s_mov_b32 s9, exec_lo
	v_cmpx_gt_i32_e64 v52, v18
; %bb.148:
	v_dual_mov_b32 v8, v16 :: v_dual_mov_b32 v9, v17
	v_dual_mov_b32 v17, v11 :: v_dual_mov_b32 v16, v10
	v_mov_b32_e32 v54, v18
	v_mov_b32_e32 v18, v52
; %bb.149:
	s_wait_alu 0xfffe
	s_or_b32 exec_lo, exec_lo, s9
	v_dual_mov_b32 v52, v34 :: v_dual_mov_b32 v33, v27
	v_mov_b32_e32 v32, v26
	s_mov_b32 s9, exec_lo
	v_cmpx_gt_i32_e64 v35, v34
; %bb.150:
	v_dual_mov_b32 v52, v35 :: v_dual_mov_b32 v35, v34
	v_dual_mov_b32 v33, v29 :: v_dual_mov_b32 v32, v28
	;; [unrolled: 1-line block ×3, first 2 shown]
; %bb.151:
	s_wait_alu 0xfffe
	s_or_b32 exec_lo, exec_lo, s9
	v_mov_b32_e32 v26, v24
	v_dual_mov_b32 v10, v36 :: v_dual_mov_b32 v25, v23
	s_mov_b32 s9, exec_lo
	v_cmpx_gt_i32_e64 v36, v55
; %bb.152:
	v_dual_mov_b32 v10, v55 :: v_dual_mov_b32 v25, v30
	v_dual_mov_b32 v26, v31 :: v_dual_mov_b32 v31, v24
	;; [unrolled: 1-line block ×3, first 2 shown]
; %bb.153:
	s_wait_alu 0xfffe
	s_or_b32 exec_lo, exec_lo, s9
	v_dual_mov_b32 v22, v17 :: v_dual_mov_b32 v21, v16
	v_mov_b32_e32 v27, v53
	s_mov_b32 s9, exec_lo
	v_cmpx_gt_i32_e64 v53, v54
; %bb.154:
	v_dual_mov_b32 v22, v20 :: v_dual_mov_b32 v21, v19
	v_dual_mov_b32 v20, v17 :: v_dual_mov_b32 v19, v16
	;; [unrolled: 1-line block ×3, first 2 shown]
; %bb.155:
	s_wait_alu 0xfffe
	s_or_b32 exec_lo, exec_lo, s9
	v_mov_b32_e32 v37, v29
	v_dual_mov_b32 v17, v35 :: v_dual_mov_b32 v36, v28
	s_mov_b32 s9, exec_lo
	v_cmpx_gt_i32_e64 v15, v35
; %bb.156:
	v_mov_b32_e32 v37, v5
	v_dual_mov_b32 v17, v15 :: v_dual_mov_b32 v36, v4
	v_dual_mov_b32 v15, v35 :: v_dual_mov_b32 v4, v28
	v_mov_b32_e32 v5, v29
; %bb.157:
	s_wait_alu 0xfffe
	s_or_b32 exec_lo, exec_lo, s9
	v_dual_mov_b32 v16, v10 :: v_dual_mov_b32 v39, v31
	v_mov_b32_e32 v38, v30
	s_mov_b32 s9, exec_lo
	v_cmpx_gt_i32_e64 v52, v10
; %bb.158:
	v_dual_mov_b32 v16, v52 :: v_dual_mov_b32 v39, v33
	v_mov_b32_e32 v52, v10
	v_dual_mov_b32 v38, v32 :: v_dual_mov_b32 v33, v31
	v_mov_b32_e32 v32, v30
; %bb.159:
	s_wait_alu 0xfffe
	s_or_b32 exec_lo, exec_lo, s9
	v_dual_mov_b32 v24, v20 :: v_dual_mov_b32 v23, v19
	v_mov_b32_e32 v64, v55
	s_mov_b32 s9, exec_lo
	v_cmpx_gt_i32_e64 v55, v27
; %bb.160:
	v_dual_mov_b32 v23, v25 :: v_dual_mov_b32 v24, v26
	v_dual_mov_b32 v26, v20 :: v_dual_mov_b32 v25, v19
	;; [unrolled: 1-line block ×3, first 2 shown]
; %bb.161:
	s_wait_alu 0xfffe
	s_or_b32 exec_lo, exec_lo, s9
	v_dual_mov_b32 v11, v9 :: v_dual_mov_b32 v10, v8
	v_mov_b32_e32 v53, v54
	s_mov_b32 s9, exec_lo
	v_cmpx_gt_i32_e64 v54, v18
; %bb.162:
	v_dual_mov_b32 v10, v21 :: v_dual_mov_b32 v11, v22
	v_dual_mov_b32 v22, v9 :: v_dual_mov_b32 v21, v8
	;; [unrolled: 1-line block ×3, first 2 shown]
; %bb.163:
	s_wait_alu 0xfffe
	s_or_b32 exec_lo, exec_lo, s9
	v_mov_b32_e32 v29, v32
	v_dual_mov_b32 v31, v52 :: v_dual_mov_b32 v30, v33
	s_mov_b32 s9, exec_lo
	v_cmpx_gt_i32_e64 v17, v52
; %bb.164:
	v_mov_b32_e32 v29, v36
	v_dual_mov_b32 v31, v17 :: v_dual_mov_b32 v30, v37
	v_mov_b32_e32 v37, v33
	v_dual_mov_b32 v17, v52 :: v_dual_mov_b32 v36, v32
; %bb.165:
	s_wait_alu 0xfffe
	s_or_b32 exec_lo, exec_lo, s9
	v_mov_b32_e32 v35, v26
	v_dual_mov_b32 v19, v16 :: v_dual_mov_b32 v34, v25
	s_mov_b32 s9, exec_lo
	v_cmpx_gt_i32_e64 v16, v64
; %bb.166:
	v_dual_mov_b32 v19, v64 :: v_dual_mov_b32 v34, v38
	v_mov_b32_e32 v35, v39
	v_dual_mov_b32 v39, v26 :: v_dual_mov_b32 v64, v16
	v_mov_b32_e32 v38, v25
; %bb.167:
	s_wait_alu 0xfffe
	s_or_b32 exec_lo, exec_lo, s9
	v_dual_mov_b32 v8, v21 :: v_dual_mov_b32 v9, v22
	v_mov_b32_e32 v20, v27
	s_mov_b32 s9, exec_lo
	v_cmpx_gt_i32_e64 v27, v53
; %bb.168:
	v_dual_mov_b32 v8, v23 :: v_dual_mov_b32 v9, v24
	v_dual_mov_b32 v24, v22 :: v_dual_mov_b32 v23, v21
	;; [unrolled: 1-line block ×3, first 2 shown]
; %bb.169:
	s_wait_alu 0xfffe
	s_or_b32 exec_lo, exec_lo, s9
	v_dual_mov_b32 v16, v17 :: v_dual_mov_b32 v21, v36
	v_mov_b32_e32 v22, v37
	s_mov_b32 s9, exec_lo
	v_cmpx_gt_i32_e64 v15, v17
; %bb.170:
	v_dual_mov_b32 v16, v15 :: v_dual_mov_b32 v15, v17
	v_dual_mov_b32 v22, v5 :: v_dual_mov_b32 v21, v4
	;; [unrolled: 1-line block ×3, first 2 shown]
; %bb.171:
	s_wait_alu 0xfffe
	s_or_b32 exec_lo, exec_lo, s9
	v_mov_b32_e32 v27, v38
	v_dual_mov_b32 v17, v19 :: v_dual_mov_b32 v28, v39
	s_mov_b32 s9, exec_lo
	v_cmpx_gt_i32_e64 v31, v19
; %bb.172:
	v_mov_b32_e32 v27, v29
	v_dual_mov_b32 v17, v31 :: v_dual_mov_b32 v28, v30
	v_mov_b32_e32 v29, v38
	v_dual_mov_b32 v31, v19 :: v_dual_mov_b32 v30, v39
; %bb.173:
	s_wait_alu 0xfffe
	s_or_b32 exec_lo, exec_lo, s9
	v_dual_mov_b32 v37, v24 :: v_dual_mov_b32 v36, v23
	v_mov_b32_e32 v19, v64
	s_mov_b32 s9, exec_lo
	v_cmpx_gt_i32_e64 v64, v20
; %bb.174:
	v_dual_mov_b32 v37, v35 :: v_dual_mov_b32 v36, v34
	v_dual_mov_b32 v35, v24 :: v_dual_mov_b32 v34, v23
	;; [unrolled: 1-line block ×3, first 2 shown]
; %bb.175:
	s_wait_alu 0xfffe
	s_or_b32 exec_lo, exec_lo, s9
	v_dual_mov_b32 v33, v11 :: v_dual_mov_b32 v32, v10
	v_mov_b32_e32 v38, v53
	s_mov_b32 s9, exec_lo
	v_cmpx_gt_i32_e64 v53, v18
; %bb.176:
	v_dual_mov_b32 v33, v9 :: v_dual_mov_b32 v32, v8
	v_dual_mov_b32 v8, v10 :: v_dual_mov_b32 v9, v11
	v_mov_b32_e32 v38, v18
	v_mov_b32_e32 v18, v53
; %bb.177:
	s_wait_alu 0xfffe
	s_or_b32 exec_lo, exec_lo, s9
	v_mov_b32_e32 v23, v29
	v_dual_mov_b32 v25, v31 :: v_dual_mov_b32 v24, v30
	s_mov_b32 s9, exec_lo
	v_cmpx_gt_i32_e64 v16, v31
; %bb.178:
	v_dual_mov_b32 v25, v16 :: v_dual_mov_b32 v16, v31
	v_dual_mov_b32 v24, v22 :: v_dual_mov_b32 v23, v21
	;; [unrolled: 1-line block ×3, first 2 shown]
; %bb.179:
	s_wait_alu 0xfffe
	s_or_b32 exec_lo, exec_lo, s9
	v_dual_mov_b32 v26, v17 :: v_dual_mov_b32 v29, v34
	v_mov_b32_e32 v30, v35
	s_mov_b32 s9, exec_lo
	v_cmpx_gt_i32_e64 v17, v19
; %bb.180:
	v_mov_b32_e32 v30, v28
	v_dual_mov_b32 v26, v19 :: v_dual_mov_b32 v29, v27
	v_dual_mov_b32 v27, v34 :: v_dual_mov_b32 v28, v35
	v_mov_b32_e32 v19, v17
; %bb.181:
	s_wait_alu 0xfffe
	s_or_b32 exec_lo, exec_lo, s9
	v_dual_mov_b32 v17, v38 :: v_dual_mov_b32 v34, v36
	v_mov_b32_e32 v35, v37
	s_mov_b32 s9, exec_lo
	v_cmpx_gt_i32_e64 v20, v38
; %bb.182:
	v_dual_mov_b32 v17, v20 :: v_dual_mov_b32 v20, v38
	v_dual_mov_b32 v35, v9 :: v_dual_mov_b32 v34, v8
	;; [unrolled: 1-line block ×3, first 2 shown]
; %bb.183:
	s_wait_alu 0xfffe
	s_or_b32 exec_lo, exec_lo, s9
.LBB615_184:
	s_wait_alu 0xfffe
	s_or_b32 exec_lo, exec_lo, s8
	v_and_b32_e32 v10, 0xffffff00, v51
	v_or_b32_e32 v31, 8, v49
	v_and_b32_e32 v37, 8, v49
	v_and_b32_e32 v64, 0xf0, v49
	s_mov_b32 s8, exec_lo
	v_sub_nc_u32_e64 v36, 0x800, v10 clamp
	v_lshlrev_b32_e32 v11, 2, v10
	s_delay_alu instid0(VALU_DEP_2) | instskip(NEXT) | instid1(VALU_DEP_2)
	v_min_u32_e32 v52, v36, v31
	v_add_nc_u32_e32 v10, v11, v11
	v_min_u32_e32 v65, v36, v37
	s_delay_alu instid0(VALU_DEP_3) | instskip(NEXT) | instid1(VALU_DEP_3)
	v_add_nc_u32_e32 v31, 8, v52
	v_lshl_add_u32 v51, v49, 3, v10
	v_sub_nc_u32_e32 v55, v52, v64
	s_delay_alu instid0(VALU_DEP_3) | instskip(SKIP_1) | instid1(VALU_DEP_4)
	v_min_u32_e32 v53, v36, v31
	v_lshl_or_b32 v31, v49, 2, v11
	v_add_nc_u32_e32 v37, 0x2000, v51
	v_add_nc_u32_e32 v38, 0x2010, v51
	;; [unrolled: 1-line block ×3, first 2 shown]
	v_sub_nc_u32_e32 v54, v53, v52
	v_min_u32_e32 v66, v65, v55
	v_add_nc_u32_e32 v51, 0x2030, v51
	v_lshl_or_b32 v55, v64, 2, v11
	s_wait_loadcnt_dscnt 0x0
	ds_store_2addr_b64 v37, v[4:5], v[21:22] offset1:1
	ds_store_2addr_b64 v38, v[23:24], v[27:28] offset1:1
	v_sub_nc_u32_e64 v54, v65, v54 clamp
	ds_store_2addr_b64 v31, v[15:16], v[25:26] offset1:1
	ds_store_2addr_b64 v31, v[19:20], v[17:18] offset0:2 offset1:3
	ds_store_2addr_b64 v39, v[29:30], v[34:35] offset1:1
	ds_store_2addr_b64 v51, v[8:9], v[32:33] offset1:1
	; wave barrier
	v_cmpx_lt_u32_e64 v54, v66
	s_cbranch_execz .LBB615_188
; %bb.185:
	v_lshlrev_b32_e32 v67, 2, v52
	v_lshlrev_b32_e32 v68, 2, v65
	s_mov_b32 s9, 0
	s_delay_alu instid0(VALU_DEP_1)
	v_add3_u32 v67, v11, v67, v68
.LBB615_186:                            ; =>This Inner Loop Header: Depth=1
	v_add_nc_u32_e32 v68, v66, v54
	s_delay_alu instid0(VALU_DEP_1) | instskip(NEXT) | instid1(VALU_DEP_1)
	v_lshrrev_b32_e32 v68, 1, v68
	v_not_b32_e32 v69, v68
	v_lshl_add_u32 v70, v68, 2, v55
	v_add_nc_u32_e32 v71, 1, v68
	s_delay_alu instid0(VALU_DEP_3)
	v_lshl_add_u32 v69, v69, 2, v67
	ds_load_b32 v70, v70
	ds_load_b32 v69, v69
	s_wait_dscnt 0x0
	v_cmp_gt_i32_e64 s7, v70, v69
	s_wait_alu 0xf1ff
	s_delay_alu instid0(VALU_DEP_1) | instskip(SKIP_1) | instid1(VALU_DEP_1)
	v_cndmask_b32_e64 v66, v66, v68, s7
	v_cndmask_b32_e64 v54, v71, v54, s7
	v_cmp_ge_u32_e64 s7, v54, v66
	s_wait_alu 0xfffe
	s_or_b32 s9, s7, s9
	s_wait_alu 0xfffe
	s_and_not1_b32 exec_lo, exec_lo, s9
	s_cbranch_execnz .LBB615_186
; %bb.187:
	s_or_b32 exec_lo, exec_lo, s9
.LBB615_188:
	s_wait_alu 0xfffe
	s_or_b32 exec_lo, exec_lo, s8
	v_add_nc_u32_e32 v66, v52, v65
	v_add_nc_u32_e32 v65, v54, v64
	s_delay_alu instid0(VALU_DEP_2) | instskip(NEXT) | instid1(VALU_DEP_2)
	v_sub_nc_u32_e32 v64, v66, v54
	v_cmp_le_u32_e64 s7, v65, v52
	s_delay_alu instid0(VALU_DEP_2)
	v_cmp_le_u32_e64 s8, v64, v53
	s_or_b32 s7, s7, s8
	s_wait_alu 0xfffe
	s_and_saveexec_b32 s18, s7
	s_cbranch_execz .LBB615_194
; %bb.189:
	v_cmp_lt_u32_e64 s7, v65, v52
                                        ; implicit-def: $vgpr15
	s_and_saveexec_b32 s8, s7
; %bb.190:
	v_lshl_add_u32 v4, v54, 2, v55
	ds_load_b32 v15, v4
; %bb.191:
	s_wait_alu 0xfffe
	s_or_b32 exec_lo, exec_lo, s8
	v_cmp_ge_u32_e64 s8, v64, v53
	s_mov_b32 s10, exec_lo
                                        ; implicit-def: $vgpr16
	v_cmpx_lt_u32_e64 v64, v53
; %bb.192:
	v_lshl_add_u32 v4, v64, 2, v11
	ds_load_b32 v16, v4
; %bb.193:
	s_wait_alu 0xfffe
	s_or_b32 exec_lo, exec_lo, s10
	s_wait_dscnt 0x0
	v_cmp_le_i32_e64 s9, v15, v16
	s_and_b32 s7, s7, s9
	s_wait_alu 0xfffe
	s_or_b32 s7, s8, s7
	s_wait_alu 0xfffe
	v_cndmask_b32_e64 v4, v64, v65, s7
	v_cndmask_b32_e64 v5, v53, v52, s7
	s_delay_alu instid0(VALU_DEP_2) | instskip(NEXT) | instid1(VALU_DEP_2)
	v_add_nc_u32_e32 v8, 1, v4
	v_add_nc_u32_e32 v5, -1, v5
	v_lshl_add_u32 v4, v4, 3, v10
	s_delay_alu instid0(VALU_DEP_3) | instskip(NEXT) | instid1(VALU_DEP_3)
	v_cndmask_b32_e64 v9, v65, v8, s7
	v_min_u32_e32 v5, v8, v5
	s_delay_alu instid0(VALU_DEP_2) | instskip(NEXT) | instid1(VALU_DEP_2)
	v_cmp_lt_u32_e64 s8, v9, v52
	v_lshl_add_u32 v5, v5, 2, v11
	ds_load_b32 v5, v5
	s_wait_dscnt 0x0
	v_cndmask_b32_e64 v17, v5, v16, s7
	v_cndmask_b32_e64 v18, v15, v5, s7
	;; [unrolled: 1-line block ×4, first 2 shown]
	s_delay_alu instid0(VALU_DEP_3) | instskip(NEXT) | instid1(VALU_DEP_3)
	v_cmp_le_i32_e64 s9, v18, v17
	v_cmp_ge_u32_e64 s10, v5, v53
	s_and_b32 s8, s8, s9
	s_wait_alu 0xfffe
	s_or_b32 s8, s10, s8
	s_wait_alu 0xfffe
	v_cndmask_b32_e64 v8, v5, v9, s8
	v_cndmask_b32_e64 v19, v53, v52, s8
	;; [unrolled: 1-line block ×3, first 2 shown]
	s_delay_alu instid0(VALU_DEP_3) | instskip(NEXT) | instid1(VALU_DEP_3)
	v_add_nc_u32_e32 v20, 1, v8
	v_add_nc_u32_e32 v19, -1, v19
	v_lshl_add_u32 v8, v8, 3, v10
	s_delay_alu instid0(VALU_DEP_3) | instskip(NEXT) | instid1(VALU_DEP_3)
	v_cndmask_b32_e64 v9, v9, v20, s8
	v_min_u32_e32 v19, v20, v19
	v_cndmask_b32_e64 v5, v20, v5, s8
	s_delay_alu instid0(VALU_DEP_3) | instskip(NEXT) | instid1(VALU_DEP_3)
	v_cmp_lt_u32_e64 s9, v9, v52
	v_lshl_add_u32 v19, v19, 2, v11
	s_delay_alu instid0(VALU_DEP_3) | instskip(SKIP_4) | instid1(VALU_DEP_1)
	v_cmp_ge_u32_e64 s11, v5, v53
	ds_load_b32 v19, v19
	s_wait_dscnt 0x0
	v_cndmask_b32_e64 v25, v19, v17, s8
	v_cndmask_b32_e64 v19, v18, v19, s8
	v_cmp_le_i32_e64 s10, v19, v25
	s_and_b32 s9, s9, s10
	s_wait_alu 0xfffe
	s_or_b32 s9, s11, s9
	s_wait_alu 0xfffe
	v_cndmask_b32_e64 v20, v5, v9, s9
	v_cndmask_b32_e64 v21, v53, v52, s9
	s_delay_alu instid0(VALU_DEP_2) | instskip(NEXT) | instid1(VALU_DEP_2)
	v_add_nc_u32_e32 v22, 1, v20
	v_add_nc_u32_e32 v21, -1, v21
	v_lshl_add_u32 v20, v20, 3, v10
	s_delay_alu instid0(VALU_DEP_3) | instskip(NEXT) | instid1(VALU_DEP_3)
	v_cndmask_b32_e64 v9, v9, v22, s9
	v_min_u32_e32 v21, v22, v21
	v_cndmask_b32_e64 v5, v22, v5, s9
	s_delay_alu instid0(VALU_DEP_3) | instskip(NEXT) | instid1(VALU_DEP_3)
	v_cmp_lt_u32_e64 s10, v9, v52
	v_lshl_add_u32 v21, v21, 2, v11
	s_delay_alu instid0(VALU_DEP_3)
	v_cmp_ge_u32_e64 s12, v5, v53
	ds_load_b32 v21, v21
	s_wait_dscnt 0x0
	v_cndmask_b32_e64 v26, v21, v25, s9
	v_cndmask_b32_e64 v54, v19, v21, s9
	;; [unrolled: 1-line block ×3, first 2 shown]
	s_delay_alu instid0(VALU_DEP_2)
	v_cmp_le_i32_e64 s11, v54, v26
	s_and_b32 s10, s10, s11
	s_wait_alu 0xfffe
	s_or_b32 s10, s12, s10
	s_wait_alu 0xfffe
	v_cndmask_b32_e64 v27, v5, v9, s10
	v_cndmask_b32_e64 v21, v53, v52, s10
	s_delay_alu instid0(VALU_DEP_2) | instskip(NEXT) | instid1(VALU_DEP_2)
	v_add_nc_u32_e32 v22, 1, v27
	v_add_nc_u32_e32 v21, -1, v21
	s_delay_alu instid0(VALU_DEP_2) | instskip(NEXT) | instid1(VALU_DEP_2)
	v_cndmask_b32_e64 v9, v9, v22, s10
	v_min_u32_e32 v21, v22, v21
	v_cndmask_b32_e64 v5, v22, v5, s10
	s_delay_alu instid0(VALU_DEP_3) | instskip(NEXT) | instid1(VALU_DEP_3)
	v_cmp_lt_u32_e64 s11, v9, v52
	v_lshl_add_u32 v21, v21, 2, v11
	s_delay_alu instid0(VALU_DEP_3)
	v_cmp_ge_u32_e64 s13, v5, v53
	ds_load_b32 v21, v21
	s_wait_dscnt 0x0
	v_cndmask_b32_e64 v55, v21, v26, s10
	v_cndmask_b32_e64 v64, v54, v21, s10
	v_cndmask_b32_e64 v26, v26, v54, s10
	s_delay_alu instid0(VALU_DEP_2)
	v_cmp_le_i32_e64 s12, v64, v55
	s_and_b32 s11, s11, s12
	s_wait_alu 0xfffe
	s_or_b32 s11, s13, s11
	s_wait_alu 0xfffe
	v_cndmask_b32_e64 v28, v5, v9, s11
	v_cndmask_b32_e64 v21, v53, v52, s11
	;; [unrolled: 1-line block ×3, first 2 shown]
	s_delay_alu instid0(VALU_DEP_3) | instskip(NEXT) | instid1(VALU_DEP_3)
	v_add_nc_u32_e32 v22, 1, v28
	v_add_nc_u32_e32 v21, -1, v21
	s_delay_alu instid0(VALU_DEP_2) | instskip(NEXT) | instid1(VALU_DEP_2)
	v_cndmask_b32_e64 v9, v9, v22, s11
	v_min_u32_e32 v21, v22, v21
	v_cndmask_b32_e64 v5, v22, v5, s11
	s_delay_alu instid0(VALU_DEP_3) | instskip(NEXT) | instid1(VALU_DEP_3)
	v_cmp_lt_u32_e64 s12, v9, v52
	v_lshl_add_u32 v21, v21, 2, v11
	s_delay_alu instid0(VALU_DEP_3) | instskip(SKIP_4) | instid1(VALU_DEP_1)
	v_cmp_ge_u32_e64 s14, v5, v53
	ds_load_b32 v21, v21
	s_wait_dscnt 0x0
	v_cndmask_b32_e64 v65, v21, v55, s11
	v_cndmask_b32_e64 v66, v64, v21, s11
	v_cmp_le_i32_e64 s13, v66, v65
	s_and_b32 s12, s12, s13
	s_wait_alu 0xfffe
	s_or_b32 s12, s14, s12
	s_wait_alu 0xfffe
	v_cndmask_b32_e64 v29, v5, v9, s12
	v_cndmask_b32_e64 v21, v53, v52, s12
	s_delay_alu instid0(VALU_DEP_2) | instskip(NEXT) | instid1(VALU_DEP_2)
	v_add_nc_u32_e32 v22, 1, v29
	v_add_nc_u32_e32 v21, -1, v21
	s_delay_alu instid0(VALU_DEP_2) | instskip(NEXT) | instid1(VALU_DEP_2)
	v_cndmask_b32_e64 v9, v9, v22, s12
	v_min_u32_e32 v21, v22, v21
	v_cndmask_b32_e64 v5, v22, v5, s12
	s_delay_alu instid0(VALU_DEP_3) | instskip(NEXT) | instid1(VALU_DEP_3)
	v_cmp_lt_u32_e64 s13, v9, v52
	v_lshl_add_u32 v21, v21, 2, v11
	s_delay_alu instid0(VALU_DEP_3) | instskip(SKIP_4) | instid1(VALU_DEP_1)
	v_cmp_ge_u32_e64 s15, v5, v53
	ds_load_b32 v21, v21
	s_wait_dscnt 0x0
	v_cndmask_b32_e64 v67, v21, v65, s12
	v_cndmask_b32_e64 v68, v66, v21, s12
	v_cmp_le_i32_e64 s14, v68, v67
	s_and_b32 s13, s13, s14
	s_wait_alu 0xfffe
	s_or_b32 s13, s15, s13
	s_wait_alu 0xfffe
	v_cndmask_b32_e64 v30, v5, v9, s13
	v_cndmask_b32_e64 v21, v53, v52, s13
	;; [unrolled: 1-line block ×3, first 2 shown]
	s_delay_alu instid0(VALU_DEP_3) | instskip(NEXT) | instid1(VALU_DEP_3)
	v_add_nc_u32_e32 v22, 1, v30
	v_add_nc_u32_e32 v21, -1, v21
	v_lshl_add_u32 v33, v30, 3, v10
	s_delay_alu instid0(VALU_DEP_3) | instskip(NEXT) | instid1(VALU_DEP_3)
	v_cndmask_b32_e64 v9, v9, v22, s13
	v_min_u32_e32 v21, v22, v21
	v_cndmask_b32_e64 v32, v22, v5, s13
	s_delay_alu instid0(VALU_DEP_3) | instskip(NEXT) | instid1(VALU_DEP_3)
	v_cmp_lt_u32_e64 s14, v9, v52
	v_lshl_add_u32 v21, v21, 2, v11
	s_delay_alu instid0(VALU_DEP_3)
	v_cmp_ge_u32_e64 s16, v32, v53
	ds_load_b32 v21, v21
	s_wait_dscnt 0x0
	v_cndmask_b32_e64 v69, v21, v67, s13
	v_cndmask_b32_e64 v70, v68, v21, s13
	ds_load_b64 v[4:5], v4 offset:8192
	ds_load_b64 v[21:22], v8 offset:8192
	;; [unrolled: 1-line block ×3, first 2 shown]
	v_lshl_add_u32 v20, v28, 3, v10
	v_cmp_le_i32_e64 s15, v70, v69
	s_and_b32 s14, s14, s15
	s_wait_alu 0xfffe
	s_or_b32 s14, s16, s14
	s_wait_alu 0xfffe
	v_cndmask_b32_e64 v8, v32, v9, s14
	v_lshl_add_u32 v9, v27, 3, v10
	v_lshl_add_u32 v32, v29, 3, v10
	v_cndmask_b32_e64 v18, v69, v70, s14
	s_delay_alu instid0(VALU_DEP_4)
	v_lshl_add_u32 v52, v8, 3, v10
	ds_load_b64 v[27:28], v9 offset:8192
	ds_load_b64 v[29:30], v20 offset:8192
	;; [unrolled: 1-line block ×5, first 2 shown]
	v_cndmask_b32_e64 v20, v65, v66, s12
.LBB615_194:
	s_wait_alu 0xfffe
	s_or_b32 exec_lo, exec_lo, s18
	v_and_b32_e32 v64, 0xe0, v49
	v_and_b32_e32 v54, 24, v49
	s_mov_b32 s8, exec_lo
	; wave barrier
	s_delay_alu instid0(VALU_DEP_2) | instskip(NEXT) | instid1(VALU_DEP_2)
	v_or_b32_e32 v52, 16, v64
	v_min_u32_e32 v65, v36, v54
	s_wait_dscnt 0x6
	ds_store_2addr_b64 v37, v[4:5], v[21:22] offset1:1
	s_wait_dscnt 0x5
	ds_store_2addr_b64 v38, v[23:24], v[27:28] offset1:1
	ds_store_2addr_b64 v31, v[15:16], v[25:26] offset1:1
	ds_store_2addr_b64 v31, v[19:20], v[17:18] offset0:2 offset1:3
	s_wait_dscnt 0x6
	ds_store_2addr_b64 v39, v[29:30], v[34:35] offset1:1
	s_wait_dscnt 0x5
	ds_store_2addr_b64 v51, v[8:9], v[32:33] offset1:1
	v_min_u32_e32 v52, v36, v52
	; wave barrier
	s_delay_alu instid0(VALU_DEP_1) | instskip(SKIP_1) | instid1(VALU_DEP_2)
	v_add_nc_u32_e32 v53, 16, v52
	v_sub_nc_u32_e32 v54, v52, v64
	v_min_u32_e32 v53, v36, v53
	s_delay_alu instid0(VALU_DEP_2) | instskip(NEXT) | instid1(VALU_DEP_2)
	v_min_u32_e32 v66, v65, v54
	v_sub_nc_u32_e32 v55, v53, v52
	s_delay_alu instid0(VALU_DEP_1) | instskip(SKIP_1) | instid1(VALU_DEP_2)
	v_sub_nc_u32_e64 v54, v65, v55 clamp
	v_lshl_add_u32 v55, v64, 2, v11
	v_cmpx_lt_u32_e64 v54, v66
	s_cbranch_execz .LBB615_198
; %bb.195:
	v_lshlrev_b32_e32 v67, 2, v52
	v_lshlrev_b32_e32 v68, 2, v65
	s_mov_b32 s9, 0
	s_delay_alu instid0(VALU_DEP_1)
	v_add3_u32 v67, v11, v67, v68
.LBB615_196:                            ; =>This Inner Loop Header: Depth=1
	v_add_nc_u32_e32 v68, v66, v54
	s_delay_alu instid0(VALU_DEP_1) | instskip(NEXT) | instid1(VALU_DEP_1)
	v_lshrrev_b32_e32 v68, 1, v68
	v_not_b32_e32 v69, v68
	v_lshl_add_u32 v70, v68, 2, v55
	v_add_nc_u32_e32 v71, 1, v68
	s_delay_alu instid0(VALU_DEP_3)
	v_lshl_add_u32 v69, v69, 2, v67
	ds_load_b32 v70, v70
	ds_load_b32 v69, v69
	s_wait_dscnt 0x0
	v_cmp_gt_i32_e64 s7, v70, v69
	s_wait_alu 0xf1ff
	s_delay_alu instid0(VALU_DEP_1) | instskip(SKIP_1) | instid1(VALU_DEP_1)
	v_cndmask_b32_e64 v66, v66, v68, s7
	v_cndmask_b32_e64 v54, v71, v54, s7
	v_cmp_ge_u32_e64 s7, v54, v66
	s_wait_alu 0xfffe
	s_or_b32 s9, s7, s9
	s_wait_alu 0xfffe
	s_and_not1_b32 exec_lo, exec_lo, s9
	s_cbranch_execnz .LBB615_196
; %bb.197:
	s_or_b32 exec_lo, exec_lo, s9
.LBB615_198:
	s_wait_alu 0xfffe
	s_or_b32 exec_lo, exec_lo, s8
	v_add_nc_u32_e32 v66, v52, v65
	v_add_nc_u32_e32 v65, v54, v64
	s_delay_alu instid0(VALU_DEP_2) | instskip(NEXT) | instid1(VALU_DEP_2)
	v_sub_nc_u32_e32 v64, v66, v54
	v_cmp_le_u32_e64 s7, v65, v52
	s_delay_alu instid0(VALU_DEP_2)
	v_cmp_le_u32_e64 s8, v64, v53
	s_or_b32 s7, s7, s8
	s_wait_alu 0xfffe
	s_and_saveexec_b32 s18, s7
	s_cbranch_execz .LBB615_204
; %bb.199:
	v_cmp_lt_u32_e64 s7, v65, v52
                                        ; implicit-def: $vgpr15
	s_and_saveexec_b32 s8, s7
; %bb.200:
	v_lshl_add_u32 v4, v54, 2, v55
	ds_load_b32 v15, v4
; %bb.201:
	s_wait_alu 0xfffe
	s_or_b32 exec_lo, exec_lo, s8
	v_cmp_ge_u32_e64 s8, v64, v53
	s_mov_b32 s10, exec_lo
                                        ; implicit-def: $vgpr16
	v_cmpx_lt_u32_e64 v64, v53
; %bb.202:
	v_lshl_add_u32 v4, v64, 2, v11
	ds_load_b32 v16, v4
; %bb.203:
	s_wait_alu 0xfffe
	s_or_b32 exec_lo, exec_lo, s10
	s_wait_dscnt 0x0
	v_cmp_le_i32_e64 s9, v15, v16
	s_and_b32 s7, s7, s9
	s_wait_alu 0xfffe
	s_or_b32 s7, s8, s7
	s_wait_alu 0xfffe
	v_cndmask_b32_e64 v4, v64, v65, s7
	v_cndmask_b32_e64 v5, v53, v52, s7
	s_delay_alu instid0(VALU_DEP_2) | instskip(NEXT) | instid1(VALU_DEP_2)
	v_add_nc_u32_e32 v8, 1, v4
	v_add_nc_u32_e32 v5, -1, v5
	v_lshl_add_u32 v4, v4, 3, v10
	s_delay_alu instid0(VALU_DEP_3) | instskip(NEXT) | instid1(VALU_DEP_3)
	v_cndmask_b32_e64 v9, v65, v8, s7
	v_min_u32_e32 v5, v8, v5
	s_delay_alu instid0(VALU_DEP_2) | instskip(NEXT) | instid1(VALU_DEP_2)
	v_cmp_lt_u32_e64 s8, v9, v52
	v_lshl_add_u32 v5, v5, 2, v11
	ds_load_b32 v5, v5
	s_wait_dscnt 0x0
	v_cndmask_b32_e64 v17, v5, v16, s7
	v_cndmask_b32_e64 v18, v15, v5, s7
	;; [unrolled: 1-line block ×4, first 2 shown]
	s_delay_alu instid0(VALU_DEP_3) | instskip(NEXT) | instid1(VALU_DEP_3)
	v_cmp_le_i32_e64 s9, v18, v17
	v_cmp_ge_u32_e64 s10, v5, v53
	s_and_b32 s8, s8, s9
	s_wait_alu 0xfffe
	s_or_b32 s8, s10, s8
	s_wait_alu 0xfffe
	v_cndmask_b32_e64 v8, v5, v9, s8
	v_cndmask_b32_e64 v19, v53, v52, s8
	;; [unrolled: 1-line block ×3, first 2 shown]
	s_delay_alu instid0(VALU_DEP_3) | instskip(NEXT) | instid1(VALU_DEP_3)
	v_add_nc_u32_e32 v20, 1, v8
	v_add_nc_u32_e32 v19, -1, v19
	v_lshl_add_u32 v8, v8, 3, v10
	s_delay_alu instid0(VALU_DEP_3) | instskip(NEXT) | instid1(VALU_DEP_3)
	v_cndmask_b32_e64 v9, v9, v20, s8
	v_min_u32_e32 v19, v20, v19
	v_cndmask_b32_e64 v5, v20, v5, s8
	s_delay_alu instid0(VALU_DEP_3) | instskip(NEXT) | instid1(VALU_DEP_3)
	v_cmp_lt_u32_e64 s9, v9, v52
	v_lshl_add_u32 v19, v19, 2, v11
	s_delay_alu instid0(VALU_DEP_3) | instskip(SKIP_4) | instid1(VALU_DEP_1)
	v_cmp_ge_u32_e64 s11, v5, v53
	ds_load_b32 v19, v19
	s_wait_dscnt 0x0
	v_cndmask_b32_e64 v25, v19, v17, s8
	v_cndmask_b32_e64 v19, v18, v19, s8
	v_cmp_le_i32_e64 s10, v19, v25
	s_and_b32 s9, s9, s10
	s_wait_alu 0xfffe
	s_or_b32 s9, s11, s9
	s_wait_alu 0xfffe
	v_cndmask_b32_e64 v20, v5, v9, s9
	v_cndmask_b32_e64 v21, v53, v52, s9
	s_delay_alu instid0(VALU_DEP_2) | instskip(NEXT) | instid1(VALU_DEP_2)
	v_add_nc_u32_e32 v22, 1, v20
	v_add_nc_u32_e32 v21, -1, v21
	v_lshl_add_u32 v20, v20, 3, v10
	s_delay_alu instid0(VALU_DEP_3) | instskip(NEXT) | instid1(VALU_DEP_3)
	v_cndmask_b32_e64 v9, v9, v22, s9
	v_min_u32_e32 v21, v22, v21
	v_cndmask_b32_e64 v5, v22, v5, s9
	s_delay_alu instid0(VALU_DEP_3) | instskip(NEXT) | instid1(VALU_DEP_3)
	v_cmp_lt_u32_e64 s10, v9, v52
	v_lshl_add_u32 v21, v21, 2, v11
	s_delay_alu instid0(VALU_DEP_3)
	v_cmp_ge_u32_e64 s12, v5, v53
	ds_load_b32 v21, v21
	s_wait_dscnt 0x0
	v_cndmask_b32_e64 v26, v21, v25, s9
	v_cndmask_b32_e64 v54, v19, v21, s9
	;; [unrolled: 1-line block ×3, first 2 shown]
	s_delay_alu instid0(VALU_DEP_2)
	v_cmp_le_i32_e64 s11, v54, v26
	s_and_b32 s10, s10, s11
	s_wait_alu 0xfffe
	s_or_b32 s10, s12, s10
	s_wait_alu 0xfffe
	v_cndmask_b32_e64 v27, v5, v9, s10
	v_cndmask_b32_e64 v21, v53, v52, s10
	s_delay_alu instid0(VALU_DEP_2) | instskip(NEXT) | instid1(VALU_DEP_2)
	v_add_nc_u32_e32 v22, 1, v27
	v_add_nc_u32_e32 v21, -1, v21
	s_delay_alu instid0(VALU_DEP_2) | instskip(NEXT) | instid1(VALU_DEP_2)
	v_cndmask_b32_e64 v9, v9, v22, s10
	v_min_u32_e32 v21, v22, v21
	v_cndmask_b32_e64 v5, v22, v5, s10
	s_delay_alu instid0(VALU_DEP_3) | instskip(NEXT) | instid1(VALU_DEP_3)
	v_cmp_lt_u32_e64 s11, v9, v52
	v_lshl_add_u32 v21, v21, 2, v11
	s_delay_alu instid0(VALU_DEP_3)
	v_cmp_ge_u32_e64 s13, v5, v53
	ds_load_b32 v21, v21
	s_wait_dscnt 0x0
	v_cndmask_b32_e64 v55, v21, v26, s10
	v_cndmask_b32_e64 v64, v54, v21, s10
	;; [unrolled: 1-line block ×3, first 2 shown]
	s_delay_alu instid0(VALU_DEP_2)
	v_cmp_le_i32_e64 s12, v64, v55
	s_and_b32 s11, s11, s12
	s_wait_alu 0xfffe
	s_or_b32 s11, s13, s11
	s_wait_alu 0xfffe
	v_cndmask_b32_e64 v28, v5, v9, s11
	v_cndmask_b32_e64 v21, v53, v52, s11
	;; [unrolled: 1-line block ×3, first 2 shown]
	s_delay_alu instid0(VALU_DEP_3) | instskip(NEXT) | instid1(VALU_DEP_3)
	v_add_nc_u32_e32 v22, 1, v28
	v_add_nc_u32_e32 v21, -1, v21
	s_delay_alu instid0(VALU_DEP_2) | instskip(NEXT) | instid1(VALU_DEP_2)
	v_cndmask_b32_e64 v9, v9, v22, s11
	v_min_u32_e32 v21, v22, v21
	v_cndmask_b32_e64 v5, v22, v5, s11
	s_delay_alu instid0(VALU_DEP_3) | instskip(NEXT) | instid1(VALU_DEP_3)
	v_cmp_lt_u32_e64 s12, v9, v52
	v_lshl_add_u32 v21, v21, 2, v11
	s_delay_alu instid0(VALU_DEP_3) | instskip(SKIP_4) | instid1(VALU_DEP_1)
	v_cmp_ge_u32_e64 s14, v5, v53
	ds_load_b32 v21, v21
	s_wait_dscnt 0x0
	v_cndmask_b32_e64 v65, v21, v55, s11
	v_cndmask_b32_e64 v66, v64, v21, s11
	v_cmp_le_i32_e64 s13, v66, v65
	s_and_b32 s12, s12, s13
	s_wait_alu 0xfffe
	s_or_b32 s12, s14, s12
	s_wait_alu 0xfffe
	v_cndmask_b32_e64 v29, v5, v9, s12
	v_cndmask_b32_e64 v21, v53, v52, s12
	s_delay_alu instid0(VALU_DEP_2) | instskip(NEXT) | instid1(VALU_DEP_2)
	v_add_nc_u32_e32 v22, 1, v29
	v_add_nc_u32_e32 v21, -1, v21
	s_delay_alu instid0(VALU_DEP_2) | instskip(NEXT) | instid1(VALU_DEP_2)
	v_cndmask_b32_e64 v9, v9, v22, s12
	v_min_u32_e32 v21, v22, v21
	v_cndmask_b32_e64 v5, v22, v5, s12
	s_delay_alu instid0(VALU_DEP_3) | instskip(NEXT) | instid1(VALU_DEP_3)
	v_cmp_lt_u32_e64 s13, v9, v52
	v_lshl_add_u32 v21, v21, 2, v11
	s_delay_alu instid0(VALU_DEP_3) | instskip(SKIP_4) | instid1(VALU_DEP_1)
	v_cmp_ge_u32_e64 s15, v5, v53
	ds_load_b32 v21, v21
	s_wait_dscnt 0x0
	v_cndmask_b32_e64 v67, v21, v65, s12
	v_cndmask_b32_e64 v68, v66, v21, s12
	v_cmp_le_i32_e64 s14, v68, v67
	s_and_b32 s13, s13, s14
	s_wait_alu 0xfffe
	s_or_b32 s13, s15, s13
	s_wait_alu 0xfffe
	v_cndmask_b32_e64 v30, v5, v9, s13
	v_cndmask_b32_e64 v21, v53, v52, s13
	;; [unrolled: 1-line block ×3, first 2 shown]
	s_delay_alu instid0(VALU_DEP_3) | instskip(NEXT) | instid1(VALU_DEP_3)
	v_add_nc_u32_e32 v22, 1, v30
	v_add_nc_u32_e32 v21, -1, v21
	v_lshl_add_u32 v33, v30, 3, v10
	s_delay_alu instid0(VALU_DEP_3) | instskip(NEXT) | instid1(VALU_DEP_3)
	v_cndmask_b32_e64 v9, v9, v22, s13
	v_min_u32_e32 v21, v22, v21
	v_cndmask_b32_e64 v32, v22, v5, s13
	s_delay_alu instid0(VALU_DEP_3) | instskip(NEXT) | instid1(VALU_DEP_3)
	v_cmp_lt_u32_e64 s14, v9, v52
	v_lshl_add_u32 v21, v21, 2, v11
	s_delay_alu instid0(VALU_DEP_3)
	v_cmp_ge_u32_e64 s16, v32, v53
	ds_load_b32 v21, v21
	s_wait_dscnt 0x0
	v_cndmask_b32_e64 v69, v21, v67, s13
	v_cndmask_b32_e64 v70, v68, v21, s13
	ds_load_b64 v[4:5], v4 offset:8192
	ds_load_b64 v[21:22], v8 offset:8192
	;; [unrolled: 1-line block ×3, first 2 shown]
	v_lshl_add_u32 v20, v28, 3, v10
	v_cmp_le_i32_e64 s15, v70, v69
	s_and_b32 s14, s14, s15
	s_wait_alu 0xfffe
	s_or_b32 s14, s16, s14
	s_wait_alu 0xfffe
	v_cndmask_b32_e64 v8, v32, v9, s14
	v_lshl_add_u32 v9, v27, 3, v10
	v_lshl_add_u32 v32, v29, 3, v10
	v_cndmask_b32_e64 v18, v69, v70, s14
	s_delay_alu instid0(VALU_DEP_4)
	v_lshl_add_u32 v52, v8, 3, v10
	ds_load_b64 v[27:28], v9 offset:8192
	ds_load_b64 v[29:30], v20 offset:8192
	;; [unrolled: 1-line block ×5, first 2 shown]
	v_cndmask_b32_e64 v20, v65, v66, s12
.LBB615_204:
	s_wait_alu 0xfffe
	s_or_b32 exec_lo, exec_lo, s18
	v_and_b32_e32 v64, 0xc0, v49
	v_and_b32_e32 v54, 56, v49
	s_mov_b32 s8, exec_lo
	; wave barrier
	s_delay_alu instid0(VALU_DEP_2) | instskip(NEXT) | instid1(VALU_DEP_2)
	v_or_b32_e32 v52, 32, v64
	v_min_u32_e32 v65, v36, v54
	s_wait_dscnt 0x6
	ds_store_2addr_b64 v37, v[4:5], v[21:22] offset1:1
	s_wait_dscnt 0x5
	ds_store_2addr_b64 v38, v[23:24], v[27:28] offset1:1
	ds_store_2addr_b64 v31, v[15:16], v[25:26] offset1:1
	ds_store_2addr_b64 v31, v[19:20], v[17:18] offset0:2 offset1:3
	s_wait_dscnt 0x6
	ds_store_2addr_b64 v39, v[29:30], v[34:35] offset1:1
	s_wait_dscnt 0x5
	ds_store_2addr_b64 v51, v[8:9], v[32:33] offset1:1
	v_min_u32_e32 v52, v36, v52
	; wave barrier
	s_delay_alu instid0(VALU_DEP_1) | instskip(SKIP_1) | instid1(VALU_DEP_2)
	v_add_nc_u32_e32 v53, 32, v52
	v_sub_nc_u32_e32 v54, v52, v64
	v_min_u32_e32 v53, v36, v53
	s_delay_alu instid0(VALU_DEP_2) | instskip(NEXT) | instid1(VALU_DEP_2)
	v_min_u32_e32 v66, v65, v54
	v_sub_nc_u32_e32 v55, v53, v52
	s_delay_alu instid0(VALU_DEP_1) | instskip(SKIP_1) | instid1(VALU_DEP_2)
	v_sub_nc_u32_e64 v54, v65, v55 clamp
	v_lshl_add_u32 v55, v64, 2, v11
	v_cmpx_lt_u32_e64 v54, v66
	s_cbranch_execz .LBB615_208
; %bb.205:
	v_lshlrev_b32_e32 v67, 2, v52
	v_lshlrev_b32_e32 v68, 2, v65
	s_mov_b32 s9, 0
	s_delay_alu instid0(VALU_DEP_1)
	v_add3_u32 v67, v11, v67, v68
.LBB615_206:                            ; =>This Inner Loop Header: Depth=1
	v_add_nc_u32_e32 v68, v66, v54
	s_delay_alu instid0(VALU_DEP_1) | instskip(NEXT) | instid1(VALU_DEP_1)
	v_lshrrev_b32_e32 v68, 1, v68
	v_not_b32_e32 v69, v68
	v_lshl_add_u32 v70, v68, 2, v55
	v_add_nc_u32_e32 v71, 1, v68
	s_delay_alu instid0(VALU_DEP_3)
	v_lshl_add_u32 v69, v69, 2, v67
	ds_load_b32 v70, v70
	ds_load_b32 v69, v69
	s_wait_dscnt 0x0
	v_cmp_gt_i32_e64 s7, v70, v69
	s_wait_alu 0xf1ff
	s_delay_alu instid0(VALU_DEP_1) | instskip(SKIP_1) | instid1(VALU_DEP_1)
	v_cndmask_b32_e64 v66, v66, v68, s7
	v_cndmask_b32_e64 v54, v71, v54, s7
	v_cmp_ge_u32_e64 s7, v54, v66
	s_wait_alu 0xfffe
	s_or_b32 s9, s7, s9
	s_wait_alu 0xfffe
	s_and_not1_b32 exec_lo, exec_lo, s9
	s_cbranch_execnz .LBB615_206
; %bb.207:
	s_or_b32 exec_lo, exec_lo, s9
.LBB615_208:
	s_wait_alu 0xfffe
	s_or_b32 exec_lo, exec_lo, s8
	v_add_nc_u32_e32 v66, v52, v65
	v_add_nc_u32_e32 v65, v54, v64
	s_delay_alu instid0(VALU_DEP_2) | instskip(NEXT) | instid1(VALU_DEP_2)
	v_sub_nc_u32_e32 v64, v66, v54
	v_cmp_le_u32_e64 s7, v65, v52
	s_delay_alu instid0(VALU_DEP_2)
	v_cmp_le_u32_e64 s8, v64, v53
	s_or_b32 s7, s7, s8
	s_wait_alu 0xfffe
	s_and_saveexec_b32 s18, s7
	s_cbranch_execz .LBB615_214
; %bb.209:
	v_cmp_lt_u32_e64 s7, v65, v52
                                        ; implicit-def: $vgpr15
	s_and_saveexec_b32 s8, s7
; %bb.210:
	v_lshl_add_u32 v4, v54, 2, v55
	ds_load_b32 v15, v4
; %bb.211:
	s_wait_alu 0xfffe
	s_or_b32 exec_lo, exec_lo, s8
	v_cmp_ge_u32_e64 s8, v64, v53
	s_mov_b32 s10, exec_lo
                                        ; implicit-def: $vgpr16
	v_cmpx_lt_u32_e64 v64, v53
; %bb.212:
	v_lshl_add_u32 v4, v64, 2, v11
	ds_load_b32 v16, v4
; %bb.213:
	s_wait_alu 0xfffe
	s_or_b32 exec_lo, exec_lo, s10
	s_wait_dscnt 0x0
	v_cmp_le_i32_e64 s9, v15, v16
	s_and_b32 s7, s7, s9
	s_wait_alu 0xfffe
	s_or_b32 s7, s8, s7
	s_wait_alu 0xfffe
	v_cndmask_b32_e64 v4, v64, v65, s7
	v_cndmask_b32_e64 v5, v53, v52, s7
	s_delay_alu instid0(VALU_DEP_2) | instskip(NEXT) | instid1(VALU_DEP_2)
	v_add_nc_u32_e32 v8, 1, v4
	v_add_nc_u32_e32 v5, -1, v5
	v_lshl_add_u32 v4, v4, 3, v10
	s_delay_alu instid0(VALU_DEP_3) | instskip(NEXT) | instid1(VALU_DEP_3)
	v_cndmask_b32_e64 v9, v65, v8, s7
	v_min_u32_e32 v5, v8, v5
	s_delay_alu instid0(VALU_DEP_2) | instskip(NEXT) | instid1(VALU_DEP_2)
	v_cmp_lt_u32_e64 s8, v9, v52
	v_lshl_add_u32 v5, v5, 2, v11
	ds_load_b32 v5, v5
	s_wait_dscnt 0x0
	v_cndmask_b32_e64 v17, v5, v16, s7
	v_cndmask_b32_e64 v18, v15, v5, s7
	;; [unrolled: 1-line block ×4, first 2 shown]
	s_delay_alu instid0(VALU_DEP_3) | instskip(NEXT) | instid1(VALU_DEP_3)
	v_cmp_le_i32_e64 s9, v18, v17
	v_cmp_ge_u32_e64 s10, v5, v53
	s_and_b32 s8, s8, s9
	s_wait_alu 0xfffe
	s_or_b32 s8, s10, s8
	s_wait_alu 0xfffe
	v_cndmask_b32_e64 v8, v5, v9, s8
	v_cndmask_b32_e64 v19, v53, v52, s8
	;; [unrolled: 1-line block ×3, first 2 shown]
	s_delay_alu instid0(VALU_DEP_3) | instskip(NEXT) | instid1(VALU_DEP_3)
	v_add_nc_u32_e32 v20, 1, v8
	v_add_nc_u32_e32 v19, -1, v19
	v_lshl_add_u32 v8, v8, 3, v10
	s_delay_alu instid0(VALU_DEP_3) | instskip(NEXT) | instid1(VALU_DEP_3)
	v_cndmask_b32_e64 v9, v9, v20, s8
	v_min_u32_e32 v19, v20, v19
	v_cndmask_b32_e64 v5, v20, v5, s8
	s_delay_alu instid0(VALU_DEP_3) | instskip(NEXT) | instid1(VALU_DEP_3)
	v_cmp_lt_u32_e64 s9, v9, v52
	v_lshl_add_u32 v19, v19, 2, v11
	s_delay_alu instid0(VALU_DEP_3) | instskip(SKIP_4) | instid1(VALU_DEP_1)
	v_cmp_ge_u32_e64 s11, v5, v53
	ds_load_b32 v19, v19
	s_wait_dscnt 0x0
	v_cndmask_b32_e64 v25, v19, v17, s8
	v_cndmask_b32_e64 v19, v18, v19, s8
	v_cmp_le_i32_e64 s10, v19, v25
	s_and_b32 s9, s9, s10
	s_wait_alu 0xfffe
	s_or_b32 s9, s11, s9
	s_wait_alu 0xfffe
	v_cndmask_b32_e64 v20, v5, v9, s9
	v_cndmask_b32_e64 v21, v53, v52, s9
	s_delay_alu instid0(VALU_DEP_2) | instskip(NEXT) | instid1(VALU_DEP_2)
	v_add_nc_u32_e32 v22, 1, v20
	v_add_nc_u32_e32 v21, -1, v21
	v_lshl_add_u32 v20, v20, 3, v10
	s_delay_alu instid0(VALU_DEP_3) | instskip(NEXT) | instid1(VALU_DEP_3)
	v_cndmask_b32_e64 v9, v9, v22, s9
	v_min_u32_e32 v21, v22, v21
	v_cndmask_b32_e64 v5, v22, v5, s9
	s_delay_alu instid0(VALU_DEP_3) | instskip(NEXT) | instid1(VALU_DEP_3)
	v_cmp_lt_u32_e64 s10, v9, v52
	v_lshl_add_u32 v21, v21, 2, v11
	s_delay_alu instid0(VALU_DEP_3)
	v_cmp_ge_u32_e64 s12, v5, v53
	ds_load_b32 v21, v21
	s_wait_dscnt 0x0
	v_cndmask_b32_e64 v26, v21, v25, s9
	v_cndmask_b32_e64 v54, v19, v21, s9
	;; [unrolled: 1-line block ×3, first 2 shown]
	s_delay_alu instid0(VALU_DEP_2)
	v_cmp_le_i32_e64 s11, v54, v26
	s_and_b32 s10, s10, s11
	s_wait_alu 0xfffe
	s_or_b32 s10, s12, s10
	s_wait_alu 0xfffe
	v_cndmask_b32_e64 v27, v5, v9, s10
	v_cndmask_b32_e64 v21, v53, v52, s10
	s_delay_alu instid0(VALU_DEP_2) | instskip(NEXT) | instid1(VALU_DEP_2)
	v_add_nc_u32_e32 v22, 1, v27
	v_add_nc_u32_e32 v21, -1, v21
	s_delay_alu instid0(VALU_DEP_2) | instskip(NEXT) | instid1(VALU_DEP_2)
	v_cndmask_b32_e64 v9, v9, v22, s10
	v_min_u32_e32 v21, v22, v21
	v_cndmask_b32_e64 v5, v22, v5, s10
	s_delay_alu instid0(VALU_DEP_3) | instskip(NEXT) | instid1(VALU_DEP_3)
	v_cmp_lt_u32_e64 s11, v9, v52
	v_lshl_add_u32 v21, v21, 2, v11
	s_delay_alu instid0(VALU_DEP_3)
	v_cmp_ge_u32_e64 s13, v5, v53
	ds_load_b32 v21, v21
	s_wait_dscnt 0x0
	v_cndmask_b32_e64 v55, v21, v26, s10
	v_cndmask_b32_e64 v64, v54, v21, s10
	;; [unrolled: 1-line block ×3, first 2 shown]
	s_delay_alu instid0(VALU_DEP_2)
	v_cmp_le_i32_e64 s12, v64, v55
	s_and_b32 s11, s11, s12
	s_wait_alu 0xfffe
	s_or_b32 s11, s13, s11
	s_wait_alu 0xfffe
	v_cndmask_b32_e64 v28, v5, v9, s11
	v_cndmask_b32_e64 v21, v53, v52, s11
	;; [unrolled: 1-line block ×3, first 2 shown]
	s_delay_alu instid0(VALU_DEP_3) | instskip(NEXT) | instid1(VALU_DEP_3)
	v_add_nc_u32_e32 v22, 1, v28
	v_add_nc_u32_e32 v21, -1, v21
	s_delay_alu instid0(VALU_DEP_2) | instskip(NEXT) | instid1(VALU_DEP_2)
	v_cndmask_b32_e64 v9, v9, v22, s11
	v_min_u32_e32 v21, v22, v21
	v_cndmask_b32_e64 v5, v22, v5, s11
	s_delay_alu instid0(VALU_DEP_3) | instskip(NEXT) | instid1(VALU_DEP_3)
	v_cmp_lt_u32_e64 s12, v9, v52
	v_lshl_add_u32 v21, v21, 2, v11
	s_delay_alu instid0(VALU_DEP_3) | instskip(SKIP_4) | instid1(VALU_DEP_1)
	v_cmp_ge_u32_e64 s14, v5, v53
	ds_load_b32 v21, v21
	s_wait_dscnt 0x0
	v_cndmask_b32_e64 v65, v21, v55, s11
	v_cndmask_b32_e64 v66, v64, v21, s11
	v_cmp_le_i32_e64 s13, v66, v65
	s_and_b32 s12, s12, s13
	s_wait_alu 0xfffe
	s_or_b32 s12, s14, s12
	s_wait_alu 0xfffe
	v_cndmask_b32_e64 v29, v5, v9, s12
	v_cndmask_b32_e64 v21, v53, v52, s12
	s_delay_alu instid0(VALU_DEP_2) | instskip(NEXT) | instid1(VALU_DEP_2)
	v_add_nc_u32_e32 v22, 1, v29
	v_add_nc_u32_e32 v21, -1, v21
	s_delay_alu instid0(VALU_DEP_2) | instskip(NEXT) | instid1(VALU_DEP_2)
	v_cndmask_b32_e64 v9, v9, v22, s12
	v_min_u32_e32 v21, v22, v21
	v_cndmask_b32_e64 v5, v22, v5, s12
	s_delay_alu instid0(VALU_DEP_3) | instskip(NEXT) | instid1(VALU_DEP_3)
	v_cmp_lt_u32_e64 s13, v9, v52
	v_lshl_add_u32 v21, v21, 2, v11
	s_delay_alu instid0(VALU_DEP_3) | instskip(SKIP_4) | instid1(VALU_DEP_1)
	v_cmp_ge_u32_e64 s15, v5, v53
	ds_load_b32 v21, v21
	s_wait_dscnt 0x0
	v_cndmask_b32_e64 v67, v21, v65, s12
	v_cndmask_b32_e64 v68, v66, v21, s12
	v_cmp_le_i32_e64 s14, v68, v67
	s_and_b32 s13, s13, s14
	s_wait_alu 0xfffe
	s_or_b32 s13, s15, s13
	s_wait_alu 0xfffe
	v_cndmask_b32_e64 v30, v5, v9, s13
	v_cndmask_b32_e64 v21, v53, v52, s13
	v_cndmask_b32_e64 v17, v67, v68, s13
	s_delay_alu instid0(VALU_DEP_3) | instskip(NEXT) | instid1(VALU_DEP_3)
	v_add_nc_u32_e32 v22, 1, v30
	v_add_nc_u32_e32 v21, -1, v21
	v_lshl_add_u32 v33, v30, 3, v10
	s_delay_alu instid0(VALU_DEP_3) | instskip(NEXT) | instid1(VALU_DEP_3)
	v_cndmask_b32_e64 v9, v9, v22, s13
	v_min_u32_e32 v21, v22, v21
	v_cndmask_b32_e64 v32, v22, v5, s13
	s_delay_alu instid0(VALU_DEP_3) | instskip(NEXT) | instid1(VALU_DEP_3)
	v_cmp_lt_u32_e64 s14, v9, v52
	v_lshl_add_u32 v21, v21, 2, v11
	s_delay_alu instid0(VALU_DEP_3)
	v_cmp_ge_u32_e64 s16, v32, v53
	ds_load_b32 v21, v21
	s_wait_dscnt 0x0
	v_cndmask_b32_e64 v69, v21, v67, s13
	v_cndmask_b32_e64 v70, v68, v21, s13
	ds_load_b64 v[4:5], v4 offset:8192
	ds_load_b64 v[21:22], v8 offset:8192
	ds_load_b64 v[23:24], v20 offset:8192
	v_lshl_add_u32 v20, v28, 3, v10
	v_cmp_le_i32_e64 s15, v70, v69
	s_and_b32 s14, s14, s15
	s_wait_alu 0xfffe
	s_or_b32 s14, s16, s14
	s_wait_alu 0xfffe
	v_cndmask_b32_e64 v8, v32, v9, s14
	v_lshl_add_u32 v9, v27, 3, v10
	v_lshl_add_u32 v32, v29, 3, v10
	v_cndmask_b32_e64 v18, v69, v70, s14
	s_delay_alu instid0(VALU_DEP_4)
	v_lshl_add_u32 v52, v8, 3, v10
	ds_load_b64 v[27:28], v9 offset:8192
	ds_load_b64 v[29:30], v20 offset:8192
	;; [unrolled: 1-line block ×5, first 2 shown]
	v_cndmask_b32_e64 v20, v65, v66, s12
.LBB615_214:
	s_wait_alu 0xfffe
	s_or_b32 exec_lo, exec_lo, s18
	v_and_b32_e32 v53, 0x80, v49
	v_min_u32_e32 v50, v36, v50
	; wave barrier
	s_wait_dscnt 0x6
	ds_store_2addr_b64 v37, v[4:5], v[21:22] offset1:1
	s_wait_dscnt 0x5
	ds_store_2addr_b64 v38, v[23:24], v[27:28] offset1:1
	ds_store_2addr_b64 v31, v[15:16], v[25:26] offset1:1
	ds_store_2addr_b64 v31, v[19:20], v[17:18] offset0:2 offset1:3
	v_or_b32_e32 v49, 64, v53
	v_lshl_add_u32 v31, v53, 2, v11
	s_mov_b32 s8, exec_lo
	s_wait_dscnt 0x6
	ds_store_2addr_b64 v39, v[29:30], v[34:35] offset1:1
	s_wait_dscnt 0x5
	ds_store_2addr_b64 v51, v[8:9], v[32:33] offset1:1
	v_min_u32_e32 v52, v36, v49
	; wave barrier
	s_delay_alu instid0(VALU_DEP_1) | instskip(NEXT) | instid1(VALU_DEP_1)
	v_add_nc_u32_e32 v49, 64, v52
	v_min_u32_e32 v49, v36, v49
	v_sub_nc_u32_e32 v36, v52, v53
	s_delay_alu instid0(VALU_DEP_2) | instskip(NEXT) | instid1(VALU_DEP_2)
	v_sub_nc_u32_e32 v55, v49, v52
	v_min_u32_e32 v54, v50, v36
	s_delay_alu instid0(VALU_DEP_2) | instskip(NEXT) | instid1(VALU_DEP_1)
	v_sub_nc_u32_e64 v36, v50, v55 clamp
	v_cmpx_lt_u32_e64 v36, v54
	s_cbranch_execz .LBB615_218
; %bb.215:
	v_lshlrev_b32_e32 v37, 2, v52
	v_lshlrev_b32_e32 v38, 2, v50
	s_mov_b32 s9, 0
	s_delay_alu instid0(VALU_DEP_1)
	v_add3_u32 v37, v11, v37, v38
.LBB615_216:                            ; =>This Inner Loop Header: Depth=1
	v_add_nc_u32_e32 v38, v54, v36
	s_delay_alu instid0(VALU_DEP_1) | instskip(NEXT) | instid1(VALU_DEP_1)
	v_lshrrev_b32_e32 v38, 1, v38
	v_not_b32_e32 v39, v38
	v_lshl_add_u32 v51, v38, 2, v31
	v_add_nc_u32_e32 v55, 1, v38
	s_delay_alu instid0(VALU_DEP_3)
	v_lshl_add_u32 v39, v39, 2, v37
	ds_load_b32 v51, v51
	ds_load_b32 v39, v39
	s_wait_dscnt 0x0
	v_cmp_gt_i32_e64 s7, v51, v39
	s_wait_alu 0xf1ff
	s_delay_alu instid0(VALU_DEP_1) | instskip(SKIP_1) | instid1(VALU_DEP_1)
	v_cndmask_b32_e64 v54, v54, v38, s7
	v_cndmask_b32_e64 v36, v55, v36, s7
	v_cmp_ge_u32_e64 s7, v36, v54
	s_wait_alu 0xfffe
	s_or_b32 s9, s7, s9
	s_wait_alu 0xfffe
	s_and_not1_b32 exec_lo, exec_lo, s9
	s_cbranch_execnz .LBB615_216
; %bb.217:
	s_or_b32 exec_lo, exec_lo, s9
.LBB615_218:
	s_wait_alu 0xfffe
	s_or_b32 exec_lo, exec_lo, s8
	v_add_nc_u32_e32 v37, v52, v50
	v_add_nc_u32_e32 v38, v36, v53
	s_delay_alu instid0(VALU_DEP_2) | instskip(NEXT) | instid1(VALU_DEP_2)
	v_sub_nc_u32_e32 v37, v37, v36
	v_cmp_le_u32_e64 s7, v38, v52
	s_delay_alu instid0(VALU_DEP_2)
	v_cmp_le_u32_e64 s8, v37, v49
	s_or_b32 s7, s7, s8
	s_wait_alu 0xfffe
	s_and_saveexec_b32 s18, s7
	s_cbranch_execz .LBB615_224
; %bb.219:
	v_cmp_lt_u32_e64 s7, v38, v52
                                        ; implicit-def: $vgpr15
	s_and_saveexec_b32 s8, s7
; %bb.220:
	v_lshl_add_u32 v4, v36, 2, v31
	ds_load_b32 v15, v4
; %bb.221:
	s_wait_alu 0xfffe
	s_or_b32 exec_lo, exec_lo, s8
	v_cmp_ge_u32_e64 s8, v37, v49
	s_mov_b32 s10, exec_lo
                                        ; implicit-def: $vgpr16
	v_cmpx_lt_u32_e64 v37, v49
; %bb.222:
	v_lshl_add_u32 v4, v37, 2, v11
	ds_load_b32 v16, v4
; %bb.223:
	s_wait_alu 0xfffe
	s_or_b32 exec_lo, exec_lo, s10
	s_wait_dscnt 0x0
	v_cmp_le_i32_e64 s9, v15, v16
	s_and_b32 s7, s7, s9
	s_wait_alu 0xfffe
	s_or_b32 s7, s8, s7
	s_wait_alu 0xfffe
	v_cndmask_b32_e64 v4, v37, v38, s7
	v_cndmask_b32_e64 v5, v49, v52, s7
	s_delay_alu instid0(VALU_DEP_2) | instskip(NEXT) | instid1(VALU_DEP_2)
	v_add_nc_u32_e32 v8, 1, v4
	v_add_nc_u32_e32 v5, -1, v5
	v_lshl_add_u32 v4, v4, 3, v10
	s_delay_alu instid0(VALU_DEP_3) | instskip(NEXT) | instid1(VALU_DEP_3)
	v_cndmask_b32_e64 v9, v38, v8, s7
	v_min_u32_e32 v5, v8, v5
	s_delay_alu instid0(VALU_DEP_2) | instskip(NEXT) | instid1(VALU_DEP_2)
	v_cmp_lt_u32_e64 s8, v9, v52
	v_lshl_add_u32 v5, v5, 2, v11
	ds_load_b32 v5, v5
	s_wait_dscnt 0x0
	v_cndmask_b32_e64 v17, v5, v16, s7
	v_cndmask_b32_e64 v18, v15, v5, s7
	v_cndmask_b32_e64 v5, v8, v37, s7
	v_cndmask_b32_e64 v15, v16, v15, s7
	s_delay_alu instid0(VALU_DEP_3) | instskip(NEXT) | instid1(VALU_DEP_3)
	v_cmp_le_i32_e64 s9, v18, v17
	v_cmp_ge_u32_e64 s10, v5, v49
	s_and_b32 s8, s8, s9
	s_wait_alu 0xfffe
	s_or_b32 s8, s10, s8
	s_wait_alu 0xfffe
	v_cndmask_b32_e64 v8, v5, v9, s8
	v_cndmask_b32_e64 v19, v49, v52, s8
	;; [unrolled: 1-line block ×3, first 2 shown]
	s_delay_alu instid0(VALU_DEP_3) | instskip(NEXT) | instid1(VALU_DEP_3)
	v_add_nc_u32_e32 v20, 1, v8
	v_add_nc_u32_e32 v19, -1, v19
	v_lshl_add_u32 v8, v8, 3, v10
	s_delay_alu instid0(VALU_DEP_3) | instskip(NEXT) | instid1(VALU_DEP_3)
	v_cndmask_b32_e64 v9, v9, v20, s8
	v_min_u32_e32 v19, v20, v19
	v_cndmask_b32_e64 v5, v20, v5, s8
	s_delay_alu instid0(VALU_DEP_3) | instskip(NEXT) | instid1(VALU_DEP_3)
	v_cmp_lt_u32_e64 s9, v9, v52
	v_lshl_add_u32 v19, v19, 2, v11
	s_delay_alu instid0(VALU_DEP_3) | instskip(SKIP_4) | instid1(VALU_DEP_1)
	v_cmp_ge_u32_e64 s11, v5, v49
	ds_load_b32 v19, v19
	s_wait_dscnt 0x0
	v_cndmask_b32_e64 v25, v19, v17, s8
	v_cndmask_b32_e64 v19, v18, v19, s8
	v_cmp_le_i32_e64 s10, v19, v25
	s_and_b32 s9, s9, s10
	s_wait_alu 0xfffe
	s_or_b32 s9, s11, s9
	s_wait_alu 0xfffe
	v_cndmask_b32_e64 v20, v5, v9, s9
	v_cndmask_b32_e64 v21, v49, v52, s9
	s_delay_alu instid0(VALU_DEP_2) | instskip(NEXT) | instid1(VALU_DEP_2)
	v_add_nc_u32_e32 v22, 1, v20
	v_add_nc_u32_e32 v21, -1, v21
	v_lshl_add_u32 v20, v20, 3, v10
	s_delay_alu instid0(VALU_DEP_3) | instskip(NEXT) | instid1(VALU_DEP_3)
	v_cndmask_b32_e64 v9, v9, v22, s9
	v_min_u32_e32 v21, v22, v21
	v_cndmask_b32_e64 v5, v22, v5, s9
	s_delay_alu instid0(VALU_DEP_3) | instskip(NEXT) | instid1(VALU_DEP_3)
	v_cmp_lt_u32_e64 s10, v9, v52
	v_lshl_add_u32 v21, v21, 2, v11
	s_delay_alu instid0(VALU_DEP_3)
	v_cmp_ge_u32_e64 s12, v5, v49
	ds_load_b32 v21, v21
	s_wait_dscnt 0x0
	v_cndmask_b32_e64 v26, v21, v25, s9
	v_cndmask_b32_e64 v31, v19, v21, s9
	;; [unrolled: 1-line block ×3, first 2 shown]
	s_delay_alu instid0(VALU_DEP_2)
	v_cmp_le_i32_e64 s11, v31, v26
	s_and_b32 s10, s10, s11
	s_wait_alu 0xfffe
	s_or_b32 s10, s12, s10
	s_wait_alu 0xfffe
	v_cndmask_b32_e64 v27, v5, v9, s10
	v_cndmask_b32_e64 v21, v49, v52, s10
	s_delay_alu instid0(VALU_DEP_2) | instskip(NEXT) | instid1(VALU_DEP_2)
	v_add_nc_u32_e32 v22, 1, v27
	v_add_nc_u32_e32 v21, -1, v21
	s_delay_alu instid0(VALU_DEP_2) | instskip(NEXT) | instid1(VALU_DEP_2)
	v_cndmask_b32_e64 v9, v9, v22, s10
	v_min_u32_e32 v21, v22, v21
	v_cndmask_b32_e64 v5, v22, v5, s10
	s_delay_alu instid0(VALU_DEP_3) | instskip(NEXT) | instid1(VALU_DEP_3)
	v_cmp_lt_u32_e64 s11, v9, v52
	v_lshl_add_u32 v21, v21, 2, v11
	s_delay_alu instid0(VALU_DEP_3)
	v_cmp_ge_u32_e64 s13, v5, v49
	ds_load_b32 v21, v21
	s_wait_dscnt 0x0
	v_cndmask_b32_e64 v36, v21, v26, s10
	v_cndmask_b32_e64 v37, v31, v21, s10
	;; [unrolled: 1-line block ×3, first 2 shown]
	s_delay_alu instid0(VALU_DEP_2)
	v_cmp_le_i32_e64 s12, v37, v36
	s_and_b32 s11, s11, s12
	s_wait_alu 0xfffe
	s_or_b32 s11, s13, s11
	s_wait_alu 0xfffe
	v_cndmask_b32_e64 v28, v5, v9, s11
	v_cndmask_b32_e64 v21, v49, v52, s11
	;; [unrolled: 1-line block ×3, first 2 shown]
	s_delay_alu instid0(VALU_DEP_3) | instskip(NEXT) | instid1(VALU_DEP_3)
	v_add_nc_u32_e32 v22, 1, v28
	v_add_nc_u32_e32 v21, -1, v21
	s_delay_alu instid0(VALU_DEP_2) | instskip(NEXT) | instid1(VALU_DEP_2)
	v_cndmask_b32_e64 v9, v9, v22, s11
	v_min_u32_e32 v21, v22, v21
	v_cndmask_b32_e64 v5, v22, v5, s11
	s_delay_alu instid0(VALU_DEP_3) | instskip(NEXT) | instid1(VALU_DEP_3)
	v_cmp_lt_u32_e64 s12, v9, v52
	v_lshl_add_u32 v21, v21, 2, v11
	s_delay_alu instid0(VALU_DEP_3) | instskip(SKIP_4) | instid1(VALU_DEP_1)
	v_cmp_ge_u32_e64 s14, v5, v49
	ds_load_b32 v21, v21
	s_wait_dscnt 0x0
	v_cndmask_b32_e64 v38, v21, v36, s11
	v_cndmask_b32_e64 v39, v37, v21, s11
	v_cmp_le_i32_e64 s13, v39, v38
	s_and_b32 s12, s12, s13
	s_wait_alu 0xfffe
	s_or_b32 s12, s14, s12
	s_wait_alu 0xfffe
	v_cndmask_b32_e64 v29, v5, v9, s12
	v_cndmask_b32_e64 v21, v49, v52, s12
	s_delay_alu instid0(VALU_DEP_2) | instskip(NEXT) | instid1(VALU_DEP_2)
	v_add_nc_u32_e32 v22, 1, v29
	v_add_nc_u32_e32 v21, -1, v21
	s_delay_alu instid0(VALU_DEP_2) | instskip(NEXT) | instid1(VALU_DEP_2)
	v_cndmask_b32_e64 v9, v9, v22, s12
	v_min_u32_e32 v21, v22, v21
	v_cndmask_b32_e64 v5, v22, v5, s12
	s_delay_alu instid0(VALU_DEP_3) | instskip(NEXT) | instid1(VALU_DEP_3)
	v_cmp_lt_u32_e64 s13, v9, v52
	v_lshl_add_u32 v21, v21, 2, v11
	s_delay_alu instid0(VALU_DEP_3) | instskip(SKIP_4) | instid1(VALU_DEP_1)
	v_cmp_ge_u32_e64 s15, v5, v49
	ds_load_b32 v21, v21
	s_wait_dscnt 0x0
	v_cndmask_b32_e64 v50, v21, v38, s12
	v_cndmask_b32_e64 v51, v39, v21, s12
	v_cmp_le_i32_e64 s14, v51, v50
	s_and_b32 s13, s13, s14
	s_wait_alu 0xfffe
	s_or_b32 s13, s15, s13
	s_wait_alu 0xfffe
	v_cndmask_b32_e64 v30, v5, v9, s13
	v_cndmask_b32_e64 v21, v49, v52, s13
	;; [unrolled: 1-line block ×3, first 2 shown]
	s_delay_alu instid0(VALU_DEP_3) | instskip(NEXT) | instid1(VALU_DEP_3)
	v_add_nc_u32_e32 v22, 1, v30
	v_add_nc_u32_e32 v21, -1, v21
	v_lshl_add_u32 v33, v30, 3, v10
	s_delay_alu instid0(VALU_DEP_3) | instskip(NEXT) | instid1(VALU_DEP_3)
	v_cndmask_b32_e64 v9, v9, v22, s13
	v_min_u32_e32 v21, v22, v21
	v_cndmask_b32_e64 v32, v22, v5, s13
	s_delay_alu instid0(VALU_DEP_3) | instskip(NEXT) | instid1(VALU_DEP_3)
	v_cmp_lt_u32_e64 s14, v9, v52
	v_lshl_add_u32 v11, v21, 2, v11
	s_delay_alu instid0(VALU_DEP_3)
	v_cmp_ge_u32_e64 s16, v32, v49
	ds_load_b32 v11, v11
	ds_load_b64 v[4:5], v4 offset:8192
	ds_load_b64 v[21:22], v8 offset:8192
	;; [unrolled: 1-line block ×3, first 2 shown]
	v_lshl_add_u32 v20, v28, 3, v10
	s_wait_dscnt 0x3
	v_cndmask_b32_e64 v53, v11, v50, s13
	v_cndmask_b32_e64 v11, v51, v11, s13
	s_delay_alu instid0(VALU_DEP_1)
	v_cmp_le_i32_e64 s15, v11, v53
	s_and_b32 s14, s14, s15
	s_wait_alu 0xfffe
	s_or_b32 s14, s16, s14
	s_wait_alu 0xfffe
	v_cndmask_b32_e64 v8, v32, v9, s14
	v_lshl_add_u32 v9, v27, 3, v10
	v_lshl_add_u32 v32, v29, 3, v10
	v_cndmask_b32_e64 v18, v53, v11, s14
	s_delay_alu instid0(VALU_DEP_4)
	v_lshl_add_u32 v10, v8, 3, v10
	ds_load_b64 v[27:28], v9 offset:8192
	ds_load_b64 v[29:30], v20 offset:8192
	;; [unrolled: 1-line block ×5, first 2 shown]
	v_cndmask_b32_e64 v20, v38, v39, s12
.LBB615_224:
	s_wait_alu 0xfffe
	s_or_b32 exec_lo, exec_lo, s18
	; wave barrier
	s_wait_storecnt_dscnt 0x0
	s_barrier_signal -1
	s_barrier_wait -1
.LBB615_225:
	s_wait_alu 0xfffe
	s_or_b32 exec_lo, exec_lo, s17
	v_add_co_u32 v2, s7, v2, v13
	s_wait_alu 0xf1ff
	v_add_co_ci_u32_e64 v3, null, v3, v14, s7
	s_wait_storecnt 0x0
	s_wait_loadcnt_dscnt 0x0
	global_inv scope:SCOPE_SE
	v_add_co_u32 v2, s7, v2, v48
	s_wait_alu 0xf1ff
	v_add_co_ci_u32_e64 v3, null, 0, v3, s7
	; wave barrier
	s_and_saveexec_b32 s7, vcc_lo
	s_cbranch_execnz .LBB615_250
; %bb.226:
	s_wait_alu 0xfffe
	s_or_b32 exec_lo, exec_lo, s7
	s_and_saveexec_b32 s7, s0
	s_cbranch_execnz .LBB615_251
.LBB615_227:
	s_wait_alu 0xfffe
	s_or_b32 exec_lo, exec_lo, s7
	s_and_saveexec_b32 s7, s1
	s_cbranch_execnz .LBB615_252
.LBB615_228:
	s_wait_alu 0xfffe
	s_or_b32 exec_lo, exec_lo, s7
	s_and_saveexec_b32 s7, s2
	s_cbranch_execnz .LBB615_253
.LBB615_229:
	s_wait_alu 0xfffe
	s_or_b32 exec_lo, exec_lo, s7
	s_and_saveexec_b32 s7, s3
	s_cbranch_execnz .LBB615_254
.LBB615_230:
	s_wait_alu 0xfffe
	s_or_b32 exec_lo, exec_lo, s7
	s_and_saveexec_b32 s7, s4
	s_cbranch_execnz .LBB615_255
.LBB615_231:
	s_wait_alu 0xfffe
	s_or_b32 exec_lo, exec_lo, s7
	s_and_saveexec_b32 s7, s5
	s_cbranch_execnz .LBB615_256
.LBB615_232:
	s_wait_alu 0xfffe
	s_or_b32 exec_lo, exec_lo, s7
	s_and_saveexec_b32 s7, s6
	s_cbranch_execz .LBB615_234
.LBB615_233:
	flat_store_b32 v[2:3], v18 offset:28
.LBB615_234:
	s_wait_alu 0xfffe
	s_or_b32 exec_lo, exec_lo, s7
	v_add_co_u32 v0, s7, v6, v0
	s_wait_alu 0xf1ff
	v_add_co_ci_u32_e64 v1, null, v7, v1, s7
	s_delay_alu instid0(VALU_DEP_2) | instskip(SKIP_1) | instid1(VALU_DEP_2)
	v_add_co_u32 v0, s7, v0, v12
	s_wait_alu 0xf1ff
	v_add_co_ci_u32_e64 v1, null, 0, v1, s7
	; wave barrier
	s_and_saveexec_b32 s7, vcc_lo
	s_cbranch_execnz .LBB615_257
; %bb.235:
	s_wait_alu 0xfffe
	s_or_b32 exec_lo, exec_lo, s7
	s_and_saveexec_b32 s7, s0
	s_cbranch_execnz .LBB615_258
.LBB615_236:
	s_wait_alu 0xfffe
	s_or_b32 exec_lo, exec_lo, s7
	s_and_saveexec_b32 s0, s1
	s_cbranch_execnz .LBB615_259
.LBB615_237:
	s_wait_alu 0xfffe
	s_or_b32 exec_lo, exec_lo, s0
	s_and_saveexec_b32 s0, s2
	s_cbranch_execnz .LBB615_260
.LBB615_238:
	s_wait_alu 0xfffe
	s_or_b32 exec_lo, exec_lo, s0
	s_and_saveexec_b32 s0, s3
	s_cbranch_execnz .LBB615_261
.LBB615_239:
	s_wait_alu 0xfffe
	s_or_b32 exec_lo, exec_lo, s0
	s_and_saveexec_b32 s0, s4
	s_cbranch_execnz .LBB615_262
.LBB615_240:
	s_wait_alu 0xfffe
	s_or_b32 exec_lo, exec_lo, s0
	s_and_saveexec_b32 s0, s5
	s_cbranch_execnz .LBB615_263
.LBB615_241:
	s_wait_alu 0xfffe
	s_or_b32 exec_lo, exec_lo, s0
	s_and_saveexec_b32 s0, s6
	s_cbranch_execnz .LBB615_264
.LBB615_242:
	s_wait_alu 0xfffe
	s_or_b32 exec_lo, exec_lo, s0
	s_wait_loadcnt_dscnt 0x0
	s_setpc_b64 s[30:31]
.LBB615_243:
	flat_load_b64 v[4:5], v[36:37]
	s_wait_alu 0xfffe
	s_or_b32 exec_lo, exec_lo, s7
	s_and_saveexec_b32 s7, s0
                                        ; implicit-def: $vgpr21_vgpr22
	s_cbranch_execz .LBB615_18
.LBB615_244:
	flat_load_b64 v[21:22], v[36:37] offset:8
	s_wait_alu 0xfffe
	s_or_b32 exec_lo, exec_lo, s7
                                        ; implicit-def: $vgpr23_vgpr24
	s_and_saveexec_b32 s7, s1
	s_cbranch_execz .LBB615_19
.LBB615_245:
	flat_load_b64 v[23:24], v[36:37] offset:16
	s_wait_alu 0xfffe
	s_or_b32 exec_lo, exec_lo, s7
	s_and_saveexec_b32 s7, s2
                                        ; implicit-def: $vgpr27_vgpr28
	s_cbranch_execz .LBB615_20
.LBB615_246:
	flat_load_b64 v[27:28], v[36:37] offset:24
	s_wait_alu 0xfffe
	s_or_b32 exec_lo, exec_lo, s7
                                        ; implicit-def: $vgpr29_vgpr30
	s_and_saveexec_b32 s7, s3
	s_cbranch_execz .LBB615_21
.LBB615_247:
	flat_load_b64 v[29:30], v[36:37] offset:32
	s_wait_alu 0xfffe
	s_or_b32 exec_lo, exec_lo, s7
	s_and_saveexec_b32 s7, s4
                                        ; implicit-def: $vgpr34_vgpr35
	s_cbranch_execz .LBB615_22
.LBB615_248:
	flat_load_b64 v[34:35], v[36:37] offset:40
	s_wait_alu 0xfffe
	s_or_b32 exec_lo, exec_lo, s7
                                        ; implicit-def: $vgpr8_vgpr9
	s_and_saveexec_b32 s7, s5
	s_cbranch_execz .LBB615_23
.LBB615_249:
	flat_load_b64 v[8:9], v[36:37] offset:48
	s_wait_alu 0xfffe
	s_or_b32 exec_lo, exec_lo, s7
	s_and_saveexec_b32 s7, s6
                                        ; implicit-def: $vgpr32_vgpr33
	s_cbranch_execnz .LBB615_24
	s_branch .LBB615_25
.LBB615_250:
	flat_store_b32 v[2:3], v15
	s_wait_alu 0xfffe
	s_or_b32 exec_lo, exec_lo, s7
	s_and_saveexec_b32 s7, s0
	s_cbranch_execz .LBB615_227
.LBB615_251:
	flat_store_b32 v[2:3], v16 offset:4
	s_wait_alu 0xfffe
	s_or_b32 exec_lo, exec_lo, s7
	s_and_saveexec_b32 s7, s1
	s_cbranch_execz .LBB615_228
.LBB615_252:
	flat_store_b32 v[2:3], v25 offset:8
	s_wait_alu 0xfffe
	s_or_b32 exec_lo, exec_lo, s7
	s_and_saveexec_b32 s7, s2
	s_cbranch_execz .LBB615_229
.LBB615_253:
	flat_store_b32 v[2:3], v26 offset:12
	s_wait_alu 0xfffe
	s_or_b32 exec_lo, exec_lo, s7
	s_and_saveexec_b32 s7, s3
	s_cbranch_execz .LBB615_230
.LBB615_254:
	flat_store_b32 v[2:3], v19 offset:16
	s_wait_alu 0xfffe
	s_or_b32 exec_lo, exec_lo, s7
	s_and_saveexec_b32 s7, s4
	s_cbranch_execz .LBB615_231
.LBB615_255:
	flat_store_b32 v[2:3], v20 offset:20
	s_wait_alu 0xfffe
	s_or_b32 exec_lo, exec_lo, s7
	s_and_saveexec_b32 s7, s5
	s_cbranch_execz .LBB615_232
.LBB615_256:
	flat_store_b32 v[2:3], v17 offset:24
	s_wait_alu 0xfffe
	s_or_b32 exec_lo, exec_lo, s7
	s_and_saveexec_b32 s7, s6
	s_cbranch_execnz .LBB615_233
	s_branch .LBB615_234
.LBB615_257:
	flat_store_b64 v[0:1], v[4:5]
	s_wait_alu 0xfffe
	s_or_b32 exec_lo, exec_lo, s7
	s_and_saveexec_b32 s7, s0
	s_cbranch_execz .LBB615_236
.LBB615_258:
	flat_store_b64 v[0:1], v[21:22] offset:8
	s_wait_alu 0xfffe
	s_or_b32 exec_lo, exec_lo, s7
	s_and_saveexec_b32 s0, s1
	s_cbranch_execz .LBB615_237
.LBB615_259:
	flat_store_b64 v[0:1], v[23:24] offset:16
	s_wait_alu 0xfffe
	s_or_b32 exec_lo, exec_lo, s0
	s_and_saveexec_b32 s0, s2
	s_cbranch_execz .LBB615_238
.LBB615_260:
	flat_store_b64 v[0:1], v[27:28] offset:24
	s_wait_alu 0xfffe
	s_or_b32 exec_lo, exec_lo, s0
	s_and_saveexec_b32 s0, s3
	s_cbranch_execz .LBB615_239
.LBB615_261:
	flat_store_b64 v[0:1], v[29:30] offset:32
	s_wait_alu 0xfffe
	s_or_b32 exec_lo, exec_lo, s0
	s_and_saveexec_b32 s0, s4
	s_cbranch_execz .LBB615_240
.LBB615_262:
	flat_store_b64 v[0:1], v[34:35] offset:40
	s_wait_alu 0xfffe
	s_or_b32 exec_lo, exec_lo, s0
	s_and_saveexec_b32 s0, s5
	s_cbranch_execz .LBB615_241
.LBB615_263:
	flat_store_b64 v[0:1], v[8:9] offset:48
	s_wait_alu 0xfffe
	s_or_b32 exec_lo, exec_lo, s0
	s_and_saveexec_b32 s0, s6
	s_cbranch_execz .LBB615_242
.LBB615_264:
	flat_store_b64 v[0:1], v[32:33] offset:56
	s_wait_alu 0xfffe
	s_or_b32 exec_lo, exec_lo, s0
	s_wait_loadcnt_dscnt 0x0
	s_setpc_b64 s[30:31]
.Lfunc_end615:
	.size	_ZN7rocprim17ROCPRIM_400000_NS6detail26segmented_warp_sort_helperINS1_20WarpSortHelperConfigILj16ELj8ELj256EEEilLi256ELb0EvE4sortIPKiPiPKlPlEEvT_T0_T1_T2_jjjjRNS5_12storage_typeE, .Lfunc_end615-_ZN7rocprim17ROCPRIM_400000_NS6detail26segmented_warp_sort_helperINS1_20WarpSortHelperConfigILj16ELj8ELj256EEEilLi256ELb0EvE4sortIPKiPiPKlPlEEvT_T0_T1_T2_jjjjRNS5_12storage_typeE
                                        ; -- End function
	.set .L_ZN7rocprim17ROCPRIM_400000_NS6detail26segmented_warp_sort_helperINS1_20WarpSortHelperConfigILj16ELj8ELj256EEEilLi256ELb0EvE4sortIPKiPiPKlPlEEvT_T0_T1_T2_jjjjRNS5_12storage_typeE.num_vgpr, 81
	.set .L_ZN7rocprim17ROCPRIM_400000_NS6detail26segmented_warp_sort_helperINS1_20WarpSortHelperConfigILj16ELj8ELj256EEEilLi256ELb0EvE4sortIPKiPiPKlPlEEvT_T0_T1_T2_jjjjRNS5_12storage_typeE.num_agpr, 0
	.set .L_ZN7rocprim17ROCPRIM_400000_NS6detail26segmented_warp_sort_helperINS1_20WarpSortHelperConfigILj16ELj8ELj256EEEilLi256ELb0EvE4sortIPKiPiPKlPlEEvT_T0_T1_T2_jjjjRNS5_12storage_typeE.numbered_sgpr, 32
	.set .L_ZN7rocprim17ROCPRIM_400000_NS6detail26segmented_warp_sort_helperINS1_20WarpSortHelperConfigILj16ELj8ELj256EEEilLi256ELb0EvE4sortIPKiPiPKlPlEEvT_T0_T1_T2_jjjjRNS5_12storage_typeE.num_named_barrier, 0
	.set .L_ZN7rocprim17ROCPRIM_400000_NS6detail26segmented_warp_sort_helperINS1_20WarpSortHelperConfigILj16ELj8ELj256EEEilLi256ELb0EvE4sortIPKiPiPKlPlEEvT_T0_T1_T2_jjjjRNS5_12storage_typeE.private_seg_size, 0
	.set .L_ZN7rocprim17ROCPRIM_400000_NS6detail26segmented_warp_sort_helperINS1_20WarpSortHelperConfigILj16ELj8ELj256EEEilLi256ELb0EvE4sortIPKiPiPKlPlEEvT_T0_T1_T2_jjjjRNS5_12storage_typeE.uses_vcc, 1
	.set .L_ZN7rocprim17ROCPRIM_400000_NS6detail26segmented_warp_sort_helperINS1_20WarpSortHelperConfigILj16ELj8ELj256EEEilLi256ELb0EvE4sortIPKiPiPKlPlEEvT_T0_T1_T2_jjjjRNS5_12storage_typeE.uses_flat_scratch, 0
	.set .L_ZN7rocprim17ROCPRIM_400000_NS6detail26segmented_warp_sort_helperINS1_20WarpSortHelperConfigILj16ELj8ELj256EEEilLi256ELb0EvE4sortIPKiPiPKlPlEEvT_T0_T1_T2_jjjjRNS5_12storage_typeE.has_dyn_sized_stack, 0
	.set .L_ZN7rocprim17ROCPRIM_400000_NS6detail26segmented_warp_sort_helperINS1_20WarpSortHelperConfigILj16ELj8ELj256EEEilLi256ELb0EvE4sortIPKiPiPKlPlEEvT_T0_T1_T2_jjjjRNS5_12storage_typeE.has_recursion, 0
	.set .L_ZN7rocprim17ROCPRIM_400000_NS6detail26segmented_warp_sort_helperINS1_20WarpSortHelperConfigILj16ELj8ELj256EEEilLi256ELb0EvE4sortIPKiPiPKlPlEEvT_T0_T1_T2_jjjjRNS5_12storage_typeE.has_indirect_call, 0
	.section	.AMDGPU.csdata,"",@progbits
; Function info:
; codeLenInByte = 19256
; TotalNumSgprs: 34
; NumVgprs: 81
; ScratchSize: 0
; MemoryBound: 0
	.section	.text._ZN7rocprim17ROCPRIM_400000_NS6detail17trampoline_kernelINS0_14default_configENS1_36segmented_radix_sort_config_selectorIilEEZNS1_25segmented_radix_sort_implIS3_Lb0EPKiPiPKlPlN2at6native12_GLOBAL__N_18offset_tEEE10hipError_tPvRmT1_PNSt15iterator_traitsISK_E10value_typeET2_T3_PNSL_ISQ_E10value_typeET4_jRbjT5_SW_jjP12ihipStream_tbEUlT_E0_NS1_11comp_targetILNS1_3genE10ELNS1_11target_archE1201ELNS1_3gpuE5ELNS1_3repE0EEENS1_60segmented_radix_sort_warp_sort_medium_config_static_selectorELNS0_4arch9wavefront6targetE0EEEvSK_,"axG",@progbits,_ZN7rocprim17ROCPRIM_400000_NS6detail17trampoline_kernelINS0_14default_configENS1_36segmented_radix_sort_config_selectorIilEEZNS1_25segmented_radix_sort_implIS3_Lb0EPKiPiPKlPlN2at6native12_GLOBAL__N_18offset_tEEE10hipError_tPvRmT1_PNSt15iterator_traitsISK_E10value_typeET2_T3_PNSL_ISQ_E10value_typeET4_jRbjT5_SW_jjP12ihipStream_tbEUlT_E0_NS1_11comp_targetILNS1_3genE10ELNS1_11target_archE1201ELNS1_3gpuE5ELNS1_3repE0EEENS1_60segmented_radix_sort_warp_sort_medium_config_static_selectorELNS0_4arch9wavefront6targetE0EEEvSK_,comdat
	.globl	_ZN7rocprim17ROCPRIM_400000_NS6detail17trampoline_kernelINS0_14default_configENS1_36segmented_radix_sort_config_selectorIilEEZNS1_25segmented_radix_sort_implIS3_Lb0EPKiPiPKlPlN2at6native12_GLOBAL__N_18offset_tEEE10hipError_tPvRmT1_PNSt15iterator_traitsISK_E10value_typeET2_T3_PNSL_ISQ_E10value_typeET4_jRbjT5_SW_jjP12ihipStream_tbEUlT_E0_NS1_11comp_targetILNS1_3genE10ELNS1_11target_archE1201ELNS1_3gpuE5ELNS1_3repE0EEENS1_60segmented_radix_sort_warp_sort_medium_config_static_selectorELNS0_4arch9wavefront6targetE0EEEvSK_ ; -- Begin function _ZN7rocprim17ROCPRIM_400000_NS6detail17trampoline_kernelINS0_14default_configENS1_36segmented_radix_sort_config_selectorIilEEZNS1_25segmented_radix_sort_implIS3_Lb0EPKiPiPKlPlN2at6native12_GLOBAL__N_18offset_tEEE10hipError_tPvRmT1_PNSt15iterator_traitsISK_E10value_typeET2_T3_PNSL_ISQ_E10value_typeET4_jRbjT5_SW_jjP12ihipStream_tbEUlT_E0_NS1_11comp_targetILNS1_3genE10ELNS1_11target_archE1201ELNS1_3gpuE5ELNS1_3repE0EEENS1_60segmented_radix_sort_warp_sort_medium_config_static_selectorELNS0_4arch9wavefront6targetE0EEEvSK_
	.p2align	8
	.type	_ZN7rocprim17ROCPRIM_400000_NS6detail17trampoline_kernelINS0_14default_configENS1_36segmented_radix_sort_config_selectorIilEEZNS1_25segmented_radix_sort_implIS3_Lb0EPKiPiPKlPlN2at6native12_GLOBAL__N_18offset_tEEE10hipError_tPvRmT1_PNSt15iterator_traitsISK_E10value_typeET2_T3_PNSL_ISQ_E10value_typeET4_jRbjT5_SW_jjP12ihipStream_tbEUlT_E0_NS1_11comp_targetILNS1_3genE10ELNS1_11target_archE1201ELNS1_3gpuE5ELNS1_3repE0EEENS1_60segmented_radix_sort_warp_sort_medium_config_static_selectorELNS0_4arch9wavefront6targetE0EEEvSK_,@function
_ZN7rocprim17ROCPRIM_400000_NS6detail17trampoline_kernelINS0_14default_configENS1_36segmented_radix_sort_config_selectorIilEEZNS1_25segmented_radix_sort_implIS3_Lb0EPKiPiPKlPlN2at6native12_GLOBAL__N_18offset_tEEE10hipError_tPvRmT1_PNSt15iterator_traitsISK_E10value_typeET2_T3_PNSL_ISQ_E10value_typeET4_jRbjT5_SW_jjP12ihipStream_tbEUlT_E0_NS1_11comp_targetILNS1_3genE10ELNS1_11target_archE1201ELNS1_3gpuE5ELNS1_3repE0EEENS1_60segmented_radix_sort_warp_sort_medium_config_static_selectorELNS0_4arch9wavefront6targetE0EEEvSK_: ; @_ZN7rocprim17ROCPRIM_400000_NS6detail17trampoline_kernelINS0_14default_configENS1_36segmented_radix_sort_config_selectorIilEEZNS1_25segmented_radix_sort_implIS3_Lb0EPKiPiPKlPlN2at6native12_GLOBAL__N_18offset_tEEE10hipError_tPvRmT1_PNSt15iterator_traitsISK_E10value_typeET2_T3_PNSL_ISQ_E10value_typeET4_jRbjT5_SW_jjP12ihipStream_tbEUlT_E0_NS1_11comp_targetILNS1_3genE10ELNS1_11target_archE1201ELNS1_3gpuE5ELNS1_3repE0EEENS1_60segmented_radix_sort_warp_sort_medium_config_static_selectorELNS0_4arch9wavefront6targetE0EEEvSK_
; %bb.0:
	s_load_b32 s2, s[0:1], 0x64
	v_bfe_u32 v1, v0, 10, 10
	v_bfe_u32 v2, v0, 20, 10
	s_mov_b32 s32, 0
	s_wait_kmcnt 0x0
	s_lshr_b32 s3, s2, 16
	s_and_b32 s2, s2, 0xffff
	v_mad_u32_u24 v2, v2, s3, v1
	v_and_b32_e32 v1, 0x3ff, v0
	s_load_b32 s3, s[0:1], 0x34
	s_delay_alu instid0(VALU_DEP_1) | instskip(SKIP_2) | instid1(VALU_DEP_1)
	v_mad_co_u64_u32 v[1:2], null, v2, s2, v[1:2]
	s_mov_b32 s2, exec_lo
	v_lshrrev_b32_e32 v1, 4, v1
	v_lshl_add_u32 v1, ttmp9, 4, v1
	s_wait_kmcnt 0x0
	s_delay_alu instid0(VALU_DEP_1)
	v_cmpx_gt_u32_e64 s3, v1
	s_cbranch_execz .LBB616_6
; %bb.1:
	s_clause 0x1
	s_load_b64 s[2:3], s[0:1], 0x38
	s_load_b128 s[4:7], s[0:1], 0x40
	v_mov_b32_e32 v2, 0
	s_delay_alu instid0(VALU_DEP_1) | instskip(SKIP_1) | instid1(VALU_DEP_1)
	v_lshlrev_b64_e32 v[1:2], 2, v[1:2]
	s_wait_kmcnt 0x0
	v_add_co_u32 v1, vcc_lo, s2, v1
	s_delay_alu instid0(VALU_DEP_1) | instskip(SKIP_4) | instid1(VALU_DEP_2)
	v_add_co_ci_u32_e64 v2, null, s3, v2, vcc_lo
	global_load_b32 v1, v[1:2], off
	s_wait_loadcnt 0x0
	v_add_nc_u32_e32 v2, s5, v1
	v_add_nc_u32_e32 v1, s7, v1
	v_mul_lo_u32 v40, v2, s4
	s_delay_alu instid0(VALU_DEP_2) | instskip(NEXT) | instid1(VALU_DEP_1)
	v_mul_lo_u32 v41, v1, s6
	v_cmp_gt_u32_e32 vcc_lo, v41, v40
	s_and_b32 exec_lo, exec_lo, vcc_lo
	s_cbranch_execz .LBB616_6
; %bb.2:
	s_clause 0x3
	s_load_b32 s2, s[0:1], 0x30
	s_load_b128 s[24:27], s[0:1], 0x20
	s_load_b256 s[36:43], s[0:1], 0x0
	s_load_b64 s[28:29], s[0:1], 0x50
	s_add_nc_u64 s[22:23], s[0:1], 0x58
	s_wait_kmcnt 0x0
	s_bitcmp0_b32 s2, 0
	s_mov_b32 s2, -1
	s_cbranch_scc0 .LBB616_4
; %bb.3:
	v_dual_mov_b32 v31, v0 :: v_dual_mov_b32 v42, v0
	v_dual_mov_b32 v0, s36 :: v_dual_mov_b32 v1, s37
	;; [unrolled: 1-line block ×7, first 2 shown]
	s_getpc_b64 s[0:1]
	s_wait_alu 0xfffe
	s_sext_i32_i16 s1, s1
	s_add_co_u32 s0, s0, _ZN7rocprim17ROCPRIM_400000_NS6detail26segmented_warp_sort_helperINS1_20WarpSortHelperConfigILj16ELj8ELj256EEEilLi256ELb0EvE4sortIPKiPiPKlPlEEvT_T0_T1_T2_jjjjRNS5_12storage_typeE@rel32@lo+12
	s_wait_alu 0xfffe
	s_add_co_ci_u32 s1, s1, _ZN7rocprim17ROCPRIM_400000_NS6detail26segmented_warp_sort_helperINS1_20WarpSortHelperConfigILj16ELj8ELj256EEEilLi256ELb0EvE4sortIPKiPiPKlPlEEvT_T0_T1_T2_jjjjRNS5_12storage_typeE@rel32@hi+24
	s_mov_b64 s[8:9], s[22:23]
	s_wait_alu 0xfffe
	s_swappc_b64 s[30:31], s[0:1]
	v_mov_b32_e32 v0, v42
	s_mov_b32 s2, 0
.LBB616_4:
	s_wait_alu 0xfffe
	s_and_not1_b32 vcc_lo, exec_lo, s2
	s_wait_alu 0xfffe
	s_cbranch_vccnz .LBB616_6
; %bb.5:
	v_dual_mov_b32 v31, v0 :: v_dual_mov_b32 v0, s36
	v_dual_mov_b32 v1, s37 :: v_dual_mov_b32 v2, s40
	v_dual_mov_b32 v3, s41 :: v_dual_mov_b32 v4, s42
	v_dual_mov_b32 v5, s43 :: v_dual_mov_b32 v6, s26
	v_dual_mov_b32 v7, s27 :: v_dual_mov_b32 v8, v40
	v_dual_mov_b32 v9, v41 :: v_dual_mov_b32 v10, s28
	v_mov_b32_e32 v11, s29
	s_getpc_b64 s[0:1]
	s_wait_alu 0xfffe
	s_sext_i32_i16 s1, s1
	s_add_co_u32 s0, s0, _ZN7rocprim17ROCPRIM_400000_NS6detail26segmented_warp_sort_helperINS1_20WarpSortHelperConfigILj16ELj8ELj256EEEilLi256ELb0EvE4sortIPKiPiPKlPlEEvT_T0_T1_T2_jjjjRNS5_12storage_typeE@rel32@lo+12
	s_wait_alu 0xfffe
	s_add_co_ci_u32 s1, s1, _ZN7rocprim17ROCPRIM_400000_NS6detail26segmented_warp_sort_helperINS1_20WarpSortHelperConfigILj16ELj8ELj256EEEilLi256ELb0EvE4sortIPKiPiPKlPlEEvT_T0_T1_T2_jjjjRNS5_12storage_typeE@rel32@hi+24
	s_mov_b64 s[8:9], s[22:23]
	s_wait_alu 0xfffe
	s_swappc_b64 s[30:31], s[0:1]
.LBB616_6:
	s_endpgm
	.section	.rodata,"a",@progbits
	.p2align	6, 0x0
	.amdhsa_kernel _ZN7rocprim17ROCPRIM_400000_NS6detail17trampoline_kernelINS0_14default_configENS1_36segmented_radix_sort_config_selectorIilEEZNS1_25segmented_radix_sort_implIS3_Lb0EPKiPiPKlPlN2at6native12_GLOBAL__N_18offset_tEEE10hipError_tPvRmT1_PNSt15iterator_traitsISK_E10value_typeET2_T3_PNSL_ISQ_E10value_typeET4_jRbjT5_SW_jjP12ihipStream_tbEUlT_E0_NS1_11comp_targetILNS1_3genE10ELNS1_11target_archE1201ELNS1_3gpuE5ELNS1_3repE0EEENS1_60segmented_radix_sort_warp_sort_medium_config_static_selectorELNS0_4arch9wavefront6targetE0EEEvSK_
		.amdhsa_group_segment_fixed_size 24576
		.amdhsa_private_segment_fixed_size 0
		.amdhsa_kernarg_size 344
		.amdhsa_user_sgpr_count 2
		.amdhsa_user_sgpr_dispatch_ptr 0
		.amdhsa_user_sgpr_queue_ptr 0
		.amdhsa_user_sgpr_kernarg_segment_ptr 1
		.amdhsa_user_sgpr_dispatch_id 0
		.amdhsa_user_sgpr_private_segment_size 0
		.amdhsa_wavefront_size32 1
		.amdhsa_uses_dynamic_stack 0
		.amdhsa_enable_private_segment 0
		.amdhsa_system_sgpr_workgroup_id_x 1
		.amdhsa_system_sgpr_workgroup_id_y 1
		.amdhsa_system_sgpr_workgroup_id_z 0
		.amdhsa_system_sgpr_workgroup_info 0
		.amdhsa_system_vgpr_workitem_id 2
		.amdhsa_next_free_vgpr 121
		.amdhsa_next_free_sgpr 44
		.amdhsa_reserve_vcc 1
		.amdhsa_float_round_mode_32 0
		.amdhsa_float_round_mode_16_64 0
		.amdhsa_float_denorm_mode_32 3
		.amdhsa_float_denorm_mode_16_64 3
		.amdhsa_fp16_overflow 0
		.amdhsa_workgroup_processor_mode 1
		.amdhsa_memory_ordered 1
		.amdhsa_forward_progress 1
		.amdhsa_inst_pref_size 4
		.amdhsa_round_robin_scheduling 0
		.amdhsa_exception_fp_ieee_invalid_op 0
		.amdhsa_exception_fp_denorm_src 0
		.amdhsa_exception_fp_ieee_div_zero 0
		.amdhsa_exception_fp_ieee_overflow 0
		.amdhsa_exception_fp_ieee_underflow 0
		.amdhsa_exception_fp_ieee_inexact 0
		.amdhsa_exception_int_div_zero 0
	.end_amdhsa_kernel
	.section	.text._ZN7rocprim17ROCPRIM_400000_NS6detail17trampoline_kernelINS0_14default_configENS1_36segmented_radix_sort_config_selectorIilEEZNS1_25segmented_radix_sort_implIS3_Lb0EPKiPiPKlPlN2at6native12_GLOBAL__N_18offset_tEEE10hipError_tPvRmT1_PNSt15iterator_traitsISK_E10value_typeET2_T3_PNSL_ISQ_E10value_typeET4_jRbjT5_SW_jjP12ihipStream_tbEUlT_E0_NS1_11comp_targetILNS1_3genE10ELNS1_11target_archE1201ELNS1_3gpuE5ELNS1_3repE0EEENS1_60segmented_radix_sort_warp_sort_medium_config_static_selectorELNS0_4arch9wavefront6targetE0EEEvSK_,"axG",@progbits,_ZN7rocprim17ROCPRIM_400000_NS6detail17trampoline_kernelINS0_14default_configENS1_36segmented_radix_sort_config_selectorIilEEZNS1_25segmented_radix_sort_implIS3_Lb0EPKiPiPKlPlN2at6native12_GLOBAL__N_18offset_tEEE10hipError_tPvRmT1_PNSt15iterator_traitsISK_E10value_typeET2_T3_PNSL_ISQ_E10value_typeET4_jRbjT5_SW_jjP12ihipStream_tbEUlT_E0_NS1_11comp_targetILNS1_3genE10ELNS1_11target_archE1201ELNS1_3gpuE5ELNS1_3repE0EEENS1_60segmented_radix_sort_warp_sort_medium_config_static_selectorELNS0_4arch9wavefront6targetE0EEEvSK_,comdat
.Lfunc_end616:
	.size	_ZN7rocprim17ROCPRIM_400000_NS6detail17trampoline_kernelINS0_14default_configENS1_36segmented_radix_sort_config_selectorIilEEZNS1_25segmented_radix_sort_implIS3_Lb0EPKiPiPKlPlN2at6native12_GLOBAL__N_18offset_tEEE10hipError_tPvRmT1_PNSt15iterator_traitsISK_E10value_typeET2_T3_PNSL_ISQ_E10value_typeET4_jRbjT5_SW_jjP12ihipStream_tbEUlT_E0_NS1_11comp_targetILNS1_3genE10ELNS1_11target_archE1201ELNS1_3gpuE5ELNS1_3repE0EEENS1_60segmented_radix_sort_warp_sort_medium_config_static_selectorELNS0_4arch9wavefront6targetE0EEEvSK_, .Lfunc_end616-_ZN7rocprim17ROCPRIM_400000_NS6detail17trampoline_kernelINS0_14default_configENS1_36segmented_radix_sort_config_selectorIilEEZNS1_25segmented_radix_sort_implIS3_Lb0EPKiPiPKlPlN2at6native12_GLOBAL__N_18offset_tEEE10hipError_tPvRmT1_PNSt15iterator_traitsISK_E10value_typeET2_T3_PNSL_ISQ_E10value_typeET4_jRbjT5_SW_jjP12ihipStream_tbEUlT_E0_NS1_11comp_targetILNS1_3genE10ELNS1_11target_archE1201ELNS1_3gpuE5ELNS1_3repE0EEENS1_60segmented_radix_sort_warp_sort_medium_config_static_selectorELNS0_4arch9wavefront6targetE0EEEvSK_
                                        ; -- End function
	.set _ZN7rocprim17ROCPRIM_400000_NS6detail17trampoline_kernelINS0_14default_configENS1_36segmented_radix_sort_config_selectorIilEEZNS1_25segmented_radix_sort_implIS3_Lb0EPKiPiPKlPlN2at6native12_GLOBAL__N_18offset_tEEE10hipError_tPvRmT1_PNSt15iterator_traitsISK_E10value_typeET2_T3_PNSL_ISQ_E10value_typeET4_jRbjT5_SW_jjP12ihipStream_tbEUlT_E0_NS1_11comp_targetILNS1_3genE10ELNS1_11target_archE1201ELNS1_3gpuE5ELNS1_3repE0EEENS1_60segmented_radix_sort_warp_sort_medium_config_static_selectorELNS0_4arch9wavefront6targetE0EEEvSK_.num_vgpr, max(43, .L_ZN7rocprim17ROCPRIM_400000_NS6detail26segmented_warp_sort_helperINS1_20WarpSortHelperConfigILj16ELj8ELj256EEEilLi256ELb0EvE4sortIPKiPiPKlPlEEvT_T0_T1_T2_jjjjRNS5_12storage_typeE.num_vgpr)
	.set _ZN7rocprim17ROCPRIM_400000_NS6detail17trampoline_kernelINS0_14default_configENS1_36segmented_radix_sort_config_selectorIilEEZNS1_25segmented_radix_sort_implIS3_Lb0EPKiPiPKlPlN2at6native12_GLOBAL__N_18offset_tEEE10hipError_tPvRmT1_PNSt15iterator_traitsISK_E10value_typeET2_T3_PNSL_ISQ_E10value_typeET4_jRbjT5_SW_jjP12ihipStream_tbEUlT_E0_NS1_11comp_targetILNS1_3genE10ELNS1_11target_archE1201ELNS1_3gpuE5ELNS1_3repE0EEENS1_60segmented_radix_sort_warp_sort_medium_config_static_selectorELNS0_4arch9wavefront6targetE0EEEvSK_.num_agpr, max(0, .L_ZN7rocprim17ROCPRIM_400000_NS6detail26segmented_warp_sort_helperINS1_20WarpSortHelperConfigILj16ELj8ELj256EEEilLi256ELb0EvE4sortIPKiPiPKlPlEEvT_T0_T1_T2_jjjjRNS5_12storage_typeE.num_agpr)
	.set _ZN7rocprim17ROCPRIM_400000_NS6detail17trampoline_kernelINS0_14default_configENS1_36segmented_radix_sort_config_selectorIilEEZNS1_25segmented_radix_sort_implIS3_Lb0EPKiPiPKlPlN2at6native12_GLOBAL__N_18offset_tEEE10hipError_tPvRmT1_PNSt15iterator_traitsISK_E10value_typeET2_T3_PNSL_ISQ_E10value_typeET4_jRbjT5_SW_jjP12ihipStream_tbEUlT_E0_NS1_11comp_targetILNS1_3genE10ELNS1_11target_archE1201ELNS1_3gpuE5ELNS1_3repE0EEENS1_60segmented_radix_sort_warp_sort_medium_config_static_selectorELNS0_4arch9wavefront6targetE0EEEvSK_.numbered_sgpr, max(44, .L_ZN7rocprim17ROCPRIM_400000_NS6detail26segmented_warp_sort_helperINS1_20WarpSortHelperConfigILj16ELj8ELj256EEEilLi256ELb0EvE4sortIPKiPiPKlPlEEvT_T0_T1_T2_jjjjRNS5_12storage_typeE.numbered_sgpr)
	.set _ZN7rocprim17ROCPRIM_400000_NS6detail17trampoline_kernelINS0_14default_configENS1_36segmented_radix_sort_config_selectorIilEEZNS1_25segmented_radix_sort_implIS3_Lb0EPKiPiPKlPlN2at6native12_GLOBAL__N_18offset_tEEE10hipError_tPvRmT1_PNSt15iterator_traitsISK_E10value_typeET2_T3_PNSL_ISQ_E10value_typeET4_jRbjT5_SW_jjP12ihipStream_tbEUlT_E0_NS1_11comp_targetILNS1_3genE10ELNS1_11target_archE1201ELNS1_3gpuE5ELNS1_3repE0EEENS1_60segmented_radix_sort_warp_sort_medium_config_static_selectorELNS0_4arch9wavefront6targetE0EEEvSK_.num_named_barrier, max(0, .L_ZN7rocprim17ROCPRIM_400000_NS6detail26segmented_warp_sort_helperINS1_20WarpSortHelperConfigILj16ELj8ELj256EEEilLi256ELb0EvE4sortIPKiPiPKlPlEEvT_T0_T1_T2_jjjjRNS5_12storage_typeE.num_named_barrier)
	.set _ZN7rocprim17ROCPRIM_400000_NS6detail17trampoline_kernelINS0_14default_configENS1_36segmented_radix_sort_config_selectorIilEEZNS1_25segmented_radix_sort_implIS3_Lb0EPKiPiPKlPlN2at6native12_GLOBAL__N_18offset_tEEE10hipError_tPvRmT1_PNSt15iterator_traitsISK_E10value_typeET2_T3_PNSL_ISQ_E10value_typeET4_jRbjT5_SW_jjP12ihipStream_tbEUlT_E0_NS1_11comp_targetILNS1_3genE10ELNS1_11target_archE1201ELNS1_3gpuE5ELNS1_3repE0EEENS1_60segmented_radix_sort_warp_sort_medium_config_static_selectorELNS0_4arch9wavefront6targetE0EEEvSK_.private_seg_size, 0+max(.L_ZN7rocprim17ROCPRIM_400000_NS6detail26segmented_warp_sort_helperINS1_20WarpSortHelperConfigILj16ELj8ELj256EEEilLi256ELb0EvE4sortIPKiPiPKlPlEEvT_T0_T1_T2_jjjjRNS5_12storage_typeE.private_seg_size)
	.set _ZN7rocprim17ROCPRIM_400000_NS6detail17trampoline_kernelINS0_14default_configENS1_36segmented_radix_sort_config_selectorIilEEZNS1_25segmented_radix_sort_implIS3_Lb0EPKiPiPKlPlN2at6native12_GLOBAL__N_18offset_tEEE10hipError_tPvRmT1_PNSt15iterator_traitsISK_E10value_typeET2_T3_PNSL_ISQ_E10value_typeET4_jRbjT5_SW_jjP12ihipStream_tbEUlT_E0_NS1_11comp_targetILNS1_3genE10ELNS1_11target_archE1201ELNS1_3gpuE5ELNS1_3repE0EEENS1_60segmented_radix_sort_warp_sort_medium_config_static_selectorELNS0_4arch9wavefront6targetE0EEEvSK_.uses_vcc, or(1, .L_ZN7rocprim17ROCPRIM_400000_NS6detail26segmented_warp_sort_helperINS1_20WarpSortHelperConfigILj16ELj8ELj256EEEilLi256ELb0EvE4sortIPKiPiPKlPlEEvT_T0_T1_T2_jjjjRNS5_12storage_typeE.uses_vcc)
	.set _ZN7rocprim17ROCPRIM_400000_NS6detail17trampoline_kernelINS0_14default_configENS1_36segmented_radix_sort_config_selectorIilEEZNS1_25segmented_radix_sort_implIS3_Lb0EPKiPiPKlPlN2at6native12_GLOBAL__N_18offset_tEEE10hipError_tPvRmT1_PNSt15iterator_traitsISK_E10value_typeET2_T3_PNSL_ISQ_E10value_typeET4_jRbjT5_SW_jjP12ihipStream_tbEUlT_E0_NS1_11comp_targetILNS1_3genE10ELNS1_11target_archE1201ELNS1_3gpuE5ELNS1_3repE0EEENS1_60segmented_radix_sort_warp_sort_medium_config_static_selectorELNS0_4arch9wavefront6targetE0EEEvSK_.uses_flat_scratch, or(0, .L_ZN7rocprim17ROCPRIM_400000_NS6detail26segmented_warp_sort_helperINS1_20WarpSortHelperConfigILj16ELj8ELj256EEEilLi256ELb0EvE4sortIPKiPiPKlPlEEvT_T0_T1_T2_jjjjRNS5_12storage_typeE.uses_flat_scratch)
	.set _ZN7rocprim17ROCPRIM_400000_NS6detail17trampoline_kernelINS0_14default_configENS1_36segmented_radix_sort_config_selectorIilEEZNS1_25segmented_radix_sort_implIS3_Lb0EPKiPiPKlPlN2at6native12_GLOBAL__N_18offset_tEEE10hipError_tPvRmT1_PNSt15iterator_traitsISK_E10value_typeET2_T3_PNSL_ISQ_E10value_typeET4_jRbjT5_SW_jjP12ihipStream_tbEUlT_E0_NS1_11comp_targetILNS1_3genE10ELNS1_11target_archE1201ELNS1_3gpuE5ELNS1_3repE0EEENS1_60segmented_radix_sort_warp_sort_medium_config_static_selectorELNS0_4arch9wavefront6targetE0EEEvSK_.has_dyn_sized_stack, or(0, .L_ZN7rocprim17ROCPRIM_400000_NS6detail26segmented_warp_sort_helperINS1_20WarpSortHelperConfigILj16ELj8ELj256EEEilLi256ELb0EvE4sortIPKiPiPKlPlEEvT_T0_T1_T2_jjjjRNS5_12storage_typeE.has_dyn_sized_stack)
	.set _ZN7rocprim17ROCPRIM_400000_NS6detail17trampoline_kernelINS0_14default_configENS1_36segmented_radix_sort_config_selectorIilEEZNS1_25segmented_radix_sort_implIS3_Lb0EPKiPiPKlPlN2at6native12_GLOBAL__N_18offset_tEEE10hipError_tPvRmT1_PNSt15iterator_traitsISK_E10value_typeET2_T3_PNSL_ISQ_E10value_typeET4_jRbjT5_SW_jjP12ihipStream_tbEUlT_E0_NS1_11comp_targetILNS1_3genE10ELNS1_11target_archE1201ELNS1_3gpuE5ELNS1_3repE0EEENS1_60segmented_radix_sort_warp_sort_medium_config_static_selectorELNS0_4arch9wavefront6targetE0EEEvSK_.has_recursion, or(0, .L_ZN7rocprim17ROCPRIM_400000_NS6detail26segmented_warp_sort_helperINS1_20WarpSortHelperConfigILj16ELj8ELj256EEEilLi256ELb0EvE4sortIPKiPiPKlPlEEvT_T0_T1_T2_jjjjRNS5_12storage_typeE.has_recursion)
	.set _ZN7rocprim17ROCPRIM_400000_NS6detail17trampoline_kernelINS0_14default_configENS1_36segmented_radix_sort_config_selectorIilEEZNS1_25segmented_radix_sort_implIS3_Lb0EPKiPiPKlPlN2at6native12_GLOBAL__N_18offset_tEEE10hipError_tPvRmT1_PNSt15iterator_traitsISK_E10value_typeET2_T3_PNSL_ISQ_E10value_typeET4_jRbjT5_SW_jjP12ihipStream_tbEUlT_E0_NS1_11comp_targetILNS1_3genE10ELNS1_11target_archE1201ELNS1_3gpuE5ELNS1_3repE0EEENS1_60segmented_radix_sort_warp_sort_medium_config_static_selectorELNS0_4arch9wavefront6targetE0EEEvSK_.has_indirect_call, or(0, .L_ZN7rocprim17ROCPRIM_400000_NS6detail26segmented_warp_sort_helperINS1_20WarpSortHelperConfigILj16ELj8ELj256EEEilLi256ELb0EvE4sortIPKiPiPKlPlEEvT_T0_T1_T2_jjjjRNS5_12storage_typeE.has_indirect_call)
	.section	.AMDGPU.csdata,"",@progbits
; Kernel info:
; codeLenInByte = 512
; TotalNumSgprs: 46
; NumVgprs: 81
; ScratchSize: 0
; MemoryBound: 0
; FloatMode: 240
; IeeeMode: 1
; LDSByteSize: 24576 bytes/workgroup (compile time only)
; SGPRBlocks: 0
; VGPRBlocks: 15
; NumSGPRsForWavesPerEU: 46
; NumVGPRsForWavesPerEU: 121
; Occupancy: 10
; WaveLimiterHint : 0
; COMPUTE_PGM_RSRC2:SCRATCH_EN: 0
; COMPUTE_PGM_RSRC2:USER_SGPR: 2
; COMPUTE_PGM_RSRC2:TRAP_HANDLER: 0
; COMPUTE_PGM_RSRC2:TGID_X_EN: 1
; COMPUTE_PGM_RSRC2:TGID_Y_EN: 1
; COMPUTE_PGM_RSRC2:TGID_Z_EN: 0
; COMPUTE_PGM_RSRC2:TIDIG_COMP_CNT: 2
	.section	.text._ZN7rocprim17ROCPRIM_400000_NS6detail17trampoline_kernelINS0_14default_configENS1_36segmented_radix_sort_config_selectorIilEEZNS1_25segmented_radix_sort_implIS3_Lb0EPKiPiPKlPlN2at6native12_GLOBAL__N_18offset_tEEE10hipError_tPvRmT1_PNSt15iterator_traitsISK_E10value_typeET2_T3_PNSL_ISQ_E10value_typeET4_jRbjT5_SW_jjP12ihipStream_tbEUlT_E0_NS1_11comp_targetILNS1_3genE10ELNS1_11target_archE1200ELNS1_3gpuE4ELNS1_3repE0EEENS1_60segmented_radix_sort_warp_sort_medium_config_static_selectorELNS0_4arch9wavefront6targetE0EEEvSK_,"axG",@progbits,_ZN7rocprim17ROCPRIM_400000_NS6detail17trampoline_kernelINS0_14default_configENS1_36segmented_radix_sort_config_selectorIilEEZNS1_25segmented_radix_sort_implIS3_Lb0EPKiPiPKlPlN2at6native12_GLOBAL__N_18offset_tEEE10hipError_tPvRmT1_PNSt15iterator_traitsISK_E10value_typeET2_T3_PNSL_ISQ_E10value_typeET4_jRbjT5_SW_jjP12ihipStream_tbEUlT_E0_NS1_11comp_targetILNS1_3genE10ELNS1_11target_archE1200ELNS1_3gpuE4ELNS1_3repE0EEENS1_60segmented_radix_sort_warp_sort_medium_config_static_selectorELNS0_4arch9wavefront6targetE0EEEvSK_,comdat
	.globl	_ZN7rocprim17ROCPRIM_400000_NS6detail17trampoline_kernelINS0_14default_configENS1_36segmented_radix_sort_config_selectorIilEEZNS1_25segmented_radix_sort_implIS3_Lb0EPKiPiPKlPlN2at6native12_GLOBAL__N_18offset_tEEE10hipError_tPvRmT1_PNSt15iterator_traitsISK_E10value_typeET2_T3_PNSL_ISQ_E10value_typeET4_jRbjT5_SW_jjP12ihipStream_tbEUlT_E0_NS1_11comp_targetILNS1_3genE10ELNS1_11target_archE1200ELNS1_3gpuE4ELNS1_3repE0EEENS1_60segmented_radix_sort_warp_sort_medium_config_static_selectorELNS0_4arch9wavefront6targetE0EEEvSK_ ; -- Begin function _ZN7rocprim17ROCPRIM_400000_NS6detail17trampoline_kernelINS0_14default_configENS1_36segmented_radix_sort_config_selectorIilEEZNS1_25segmented_radix_sort_implIS3_Lb0EPKiPiPKlPlN2at6native12_GLOBAL__N_18offset_tEEE10hipError_tPvRmT1_PNSt15iterator_traitsISK_E10value_typeET2_T3_PNSL_ISQ_E10value_typeET4_jRbjT5_SW_jjP12ihipStream_tbEUlT_E0_NS1_11comp_targetILNS1_3genE10ELNS1_11target_archE1200ELNS1_3gpuE4ELNS1_3repE0EEENS1_60segmented_radix_sort_warp_sort_medium_config_static_selectorELNS0_4arch9wavefront6targetE0EEEvSK_
	.p2align	8
	.type	_ZN7rocprim17ROCPRIM_400000_NS6detail17trampoline_kernelINS0_14default_configENS1_36segmented_radix_sort_config_selectorIilEEZNS1_25segmented_radix_sort_implIS3_Lb0EPKiPiPKlPlN2at6native12_GLOBAL__N_18offset_tEEE10hipError_tPvRmT1_PNSt15iterator_traitsISK_E10value_typeET2_T3_PNSL_ISQ_E10value_typeET4_jRbjT5_SW_jjP12ihipStream_tbEUlT_E0_NS1_11comp_targetILNS1_3genE10ELNS1_11target_archE1200ELNS1_3gpuE4ELNS1_3repE0EEENS1_60segmented_radix_sort_warp_sort_medium_config_static_selectorELNS0_4arch9wavefront6targetE0EEEvSK_,@function
_ZN7rocprim17ROCPRIM_400000_NS6detail17trampoline_kernelINS0_14default_configENS1_36segmented_radix_sort_config_selectorIilEEZNS1_25segmented_radix_sort_implIS3_Lb0EPKiPiPKlPlN2at6native12_GLOBAL__N_18offset_tEEE10hipError_tPvRmT1_PNSt15iterator_traitsISK_E10value_typeET2_T3_PNSL_ISQ_E10value_typeET4_jRbjT5_SW_jjP12ihipStream_tbEUlT_E0_NS1_11comp_targetILNS1_3genE10ELNS1_11target_archE1200ELNS1_3gpuE4ELNS1_3repE0EEENS1_60segmented_radix_sort_warp_sort_medium_config_static_selectorELNS0_4arch9wavefront6targetE0EEEvSK_: ; @_ZN7rocprim17ROCPRIM_400000_NS6detail17trampoline_kernelINS0_14default_configENS1_36segmented_radix_sort_config_selectorIilEEZNS1_25segmented_radix_sort_implIS3_Lb0EPKiPiPKlPlN2at6native12_GLOBAL__N_18offset_tEEE10hipError_tPvRmT1_PNSt15iterator_traitsISK_E10value_typeET2_T3_PNSL_ISQ_E10value_typeET4_jRbjT5_SW_jjP12ihipStream_tbEUlT_E0_NS1_11comp_targetILNS1_3genE10ELNS1_11target_archE1200ELNS1_3gpuE4ELNS1_3repE0EEENS1_60segmented_radix_sort_warp_sort_medium_config_static_selectorELNS0_4arch9wavefront6targetE0EEEvSK_
; %bb.0:
	.section	.rodata,"a",@progbits
	.p2align	6, 0x0
	.amdhsa_kernel _ZN7rocprim17ROCPRIM_400000_NS6detail17trampoline_kernelINS0_14default_configENS1_36segmented_radix_sort_config_selectorIilEEZNS1_25segmented_radix_sort_implIS3_Lb0EPKiPiPKlPlN2at6native12_GLOBAL__N_18offset_tEEE10hipError_tPvRmT1_PNSt15iterator_traitsISK_E10value_typeET2_T3_PNSL_ISQ_E10value_typeET4_jRbjT5_SW_jjP12ihipStream_tbEUlT_E0_NS1_11comp_targetILNS1_3genE10ELNS1_11target_archE1200ELNS1_3gpuE4ELNS1_3repE0EEENS1_60segmented_radix_sort_warp_sort_medium_config_static_selectorELNS0_4arch9wavefront6targetE0EEEvSK_
		.amdhsa_group_segment_fixed_size 0
		.amdhsa_private_segment_fixed_size 0
		.amdhsa_kernarg_size 88
		.amdhsa_user_sgpr_count 2
		.amdhsa_user_sgpr_dispatch_ptr 0
		.amdhsa_user_sgpr_queue_ptr 0
		.amdhsa_user_sgpr_kernarg_segment_ptr 1
		.amdhsa_user_sgpr_dispatch_id 0
		.amdhsa_user_sgpr_private_segment_size 0
		.amdhsa_wavefront_size32 1
		.amdhsa_uses_dynamic_stack 0
		.amdhsa_enable_private_segment 0
		.amdhsa_system_sgpr_workgroup_id_x 1
		.amdhsa_system_sgpr_workgroup_id_y 0
		.amdhsa_system_sgpr_workgroup_id_z 0
		.amdhsa_system_sgpr_workgroup_info 0
		.amdhsa_system_vgpr_workitem_id 0
		.amdhsa_next_free_vgpr 1
		.amdhsa_next_free_sgpr 1
		.amdhsa_reserve_vcc 0
		.amdhsa_float_round_mode_32 0
		.amdhsa_float_round_mode_16_64 0
		.amdhsa_float_denorm_mode_32 3
		.amdhsa_float_denorm_mode_16_64 3
		.amdhsa_fp16_overflow 0
		.amdhsa_workgroup_processor_mode 1
		.amdhsa_memory_ordered 1
		.amdhsa_forward_progress 1
		.amdhsa_inst_pref_size 0
		.amdhsa_round_robin_scheduling 0
		.amdhsa_exception_fp_ieee_invalid_op 0
		.amdhsa_exception_fp_denorm_src 0
		.amdhsa_exception_fp_ieee_div_zero 0
		.amdhsa_exception_fp_ieee_overflow 0
		.amdhsa_exception_fp_ieee_underflow 0
		.amdhsa_exception_fp_ieee_inexact 0
		.amdhsa_exception_int_div_zero 0
	.end_amdhsa_kernel
	.section	.text._ZN7rocprim17ROCPRIM_400000_NS6detail17trampoline_kernelINS0_14default_configENS1_36segmented_radix_sort_config_selectorIilEEZNS1_25segmented_radix_sort_implIS3_Lb0EPKiPiPKlPlN2at6native12_GLOBAL__N_18offset_tEEE10hipError_tPvRmT1_PNSt15iterator_traitsISK_E10value_typeET2_T3_PNSL_ISQ_E10value_typeET4_jRbjT5_SW_jjP12ihipStream_tbEUlT_E0_NS1_11comp_targetILNS1_3genE10ELNS1_11target_archE1200ELNS1_3gpuE4ELNS1_3repE0EEENS1_60segmented_radix_sort_warp_sort_medium_config_static_selectorELNS0_4arch9wavefront6targetE0EEEvSK_,"axG",@progbits,_ZN7rocprim17ROCPRIM_400000_NS6detail17trampoline_kernelINS0_14default_configENS1_36segmented_radix_sort_config_selectorIilEEZNS1_25segmented_radix_sort_implIS3_Lb0EPKiPiPKlPlN2at6native12_GLOBAL__N_18offset_tEEE10hipError_tPvRmT1_PNSt15iterator_traitsISK_E10value_typeET2_T3_PNSL_ISQ_E10value_typeET4_jRbjT5_SW_jjP12ihipStream_tbEUlT_E0_NS1_11comp_targetILNS1_3genE10ELNS1_11target_archE1200ELNS1_3gpuE4ELNS1_3repE0EEENS1_60segmented_radix_sort_warp_sort_medium_config_static_selectorELNS0_4arch9wavefront6targetE0EEEvSK_,comdat
.Lfunc_end617:
	.size	_ZN7rocprim17ROCPRIM_400000_NS6detail17trampoline_kernelINS0_14default_configENS1_36segmented_radix_sort_config_selectorIilEEZNS1_25segmented_radix_sort_implIS3_Lb0EPKiPiPKlPlN2at6native12_GLOBAL__N_18offset_tEEE10hipError_tPvRmT1_PNSt15iterator_traitsISK_E10value_typeET2_T3_PNSL_ISQ_E10value_typeET4_jRbjT5_SW_jjP12ihipStream_tbEUlT_E0_NS1_11comp_targetILNS1_3genE10ELNS1_11target_archE1200ELNS1_3gpuE4ELNS1_3repE0EEENS1_60segmented_radix_sort_warp_sort_medium_config_static_selectorELNS0_4arch9wavefront6targetE0EEEvSK_, .Lfunc_end617-_ZN7rocprim17ROCPRIM_400000_NS6detail17trampoline_kernelINS0_14default_configENS1_36segmented_radix_sort_config_selectorIilEEZNS1_25segmented_radix_sort_implIS3_Lb0EPKiPiPKlPlN2at6native12_GLOBAL__N_18offset_tEEE10hipError_tPvRmT1_PNSt15iterator_traitsISK_E10value_typeET2_T3_PNSL_ISQ_E10value_typeET4_jRbjT5_SW_jjP12ihipStream_tbEUlT_E0_NS1_11comp_targetILNS1_3genE10ELNS1_11target_archE1200ELNS1_3gpuE4ELNS1_3repE0EEENS1_60segmented_radix_sort_warp_sort_medium_config_static_selectorELNS0_4arch9wavefront6targetE0EEEvSK_
                                        ; -- End function
	.set _ZN7rocprim17ROCPRIM_400000_NS6detail17trampoline_kernelINS0_14default_configENS1_36segmented_radix_sort_config_selectorIilEEZNS1_25segmented_radix_sort_implIS3_Lb0EPKiPiPKlPlN2at6native12_GLOBAL__N_18offset_tEEE10hipError_tPvRmT1_PNSt15iterator_traitsISK_E10value_typeET2_T3_PNSL_ISQ_E10value_typeET4_jRbjT5_SW_jjP12ihipStream_tbEUlT_E0_NS1_11comp_targetILNS1_3genE10ELNS1_11target_archE1200ELNS1_3gpuE4ELNS1_3repE0EEENS1_60segmented_radix_sort_warp_sort_medium_config_static_selectorELNS0_4arch9wavefront6targetE0EEEvSK_.num_vgpr, 0
	.set _ZN7rocprim17ROCPRIM_400000_NS6detail17trampoline_kernelINS0_14default_configENS1_36segmented_radix_sort_config_selectorIilEEZNS1_25segmented_radix_sort_implIS3_Lb0EPKiPiPKlPlN2at6native12_GLOBAL__N_18offset_tEEE10hipError_tPvRmT1_PNSt15iterator_traitsISK_E10value_typeET2_T3_PNSL_ISQ_E10value_typeET4_jRbjT5_SW_jjP12ihipStream_tbEUlT_E0_NS1_11comp_targetILNS1_3genE10ELNS1_11target_archE1200ELNS1_3gpuE4ELNS1_3repE0EEENS1_60segmented_radix_sort_warp_sort_medium_config_static_selectorELNS0_4arch9wavefront6targetE0EEEvSK_.num_agpr, 0
	.set _ZN7rocprim17ROCPRIM_400000_NS6detail17trampoline_kernelINS0_14default_configENS1_36segmented_radix_sort_config_selectorIilEEZNS1_25segmented_radix_sort_implIS3_Lb0EPKiPiPKlPlN2at6native12_GLOBAL__N_18offset_tEEE10hipError_tPvRmT1_PNSt15iterator_traitsISK_E10value_typeET2_T3_PNSL_ISQ_E10value_typeET4_jRbjT5_SW_jjP12ihipStream_tbEUlT_E0_NS1_11comp_targetILNS1_3genE10ELNS1_11target_archE1200ELNS1_3gpuE4ELNS1_3repE0EEENS1_60segmented_radix_sort_warp_sort_medium_config_static_selectorELNS0_4arch9wavefront6targetE0EEEvSK_.numbered_sgpr, 0
	.set _ZN7rocprim17ROCPRIM_400000_NS6detail17trampoline_kernelINS0_14default_configENS1_36segmented_radix_sort_config_selectorIilEEZNS1_25segmented_radix_sort_implIS3_Lb0EPKiPiPKlPlN2at6native12_GLOBAL__N_18offset_tEEE10hipError_tPvRmT1_PNSt15iterator_traitsISK_E10value_typeET2_T3_PNSL_ISQ_E10value_typeET4_jRbjT5_SW_jjP12ihipStream_tbEUlT_E0_NS1_11comp_targetILNS1_3genE10ELNS1_11target_archE1200ELNS1_3gpuE4ELNS1_3repE0EEENS1_60segmented_radix_sort_warp_sort_medium_config_static_selectorELNS0_4arch9wavefront6targetE0EEEvSK_.num_named_barrier, 0
	.set _ZN7rocprim17ROCPRIM_400000_NS6detail17trampoline_kernelINS0_14default_configENS1_36segmented_radix_sort_config_selectorIilEEZNS1_25segmented_radix_sort_implIS3_Lb0EPKiPiPKlPlN2at6native12_GLOBAL__N_18offset_tEEE10hipError_tPvRmT1_PNSt15iterator_traitsISK_E10value_typeET2_T3_PNSL_ISQ_E10value_typeET4_jRbjT5_SW_jjP12ihipStream_tbEUlT_E0_NS1_11comp_targetILNS1_3genE10ELNS1_11target_archE1200ELNS1_3gpuE4ELNS1_3repE0EEENS1_60segmented_radix_sort_warp_sort_medium_config_static_selectorELNS0_4arch9wavefront6targetE0EEEvSK_.private_seg_size, 0
	.set _ZN7rocprim17ROCPRIM_400000_NS6detail17trampoline_kernelINS0_14default_configENS1_36segmented_radix_sort_config_selectorIilEEZNS1_25segmented_radix_sort_implIS3_Lb0EPKiPiPKlPlN2at6native12_GLOBAL__N_18offset_tEEE10hipError_tPvRmT1_PNSt15iterator_traitsISK_E10value_typeET2_T3_PNSL_ISQ_E10value_typeET4_jRbjT5_SW_jjP12ihipStream_tbEUlT_E0_NS1_11comp_targetILNS1_3genE10ELNS1_11target_archE1200ELNS1_3gpuE4ELNS1_3repE0EEENS1_60segmented_radix_sort_warp_sort_medium_config_static_selectorELNS0_4arch9wavefront6targetE0EEEvSK_.uses_vcc, 0
	.set _ZN7rocprim17ROCPRIM_400000_NS6detail17trampoline_kernelINS0_14default_configENS1_36segmented_radix_sort_config_selectorIilEEZNS1_25segmented_radix_sort_implIS3_Lb0EPKiPiPKlPlN2at6native12_GLOBAL__N_18offset_tEEE10hipError_tPvRmT1_PNSt15iterator_traitsISK_E10value_typeET2_T3_PNSL_ISQ_E10value_typeET4_jRbjT5_SW_jjP12ihipStream_tbEUlT_E0_NS1_11comp_targetILNS1_3genE10ELNS1_11target_archE1200ELNS1_3gpuE4ELNS1_3repE0EEENS1_60segmented_radix_sort_warp_sort_medium_config_static_selectorELNS0_4arch9wavefront6targetE0EEEvSK_.uses_flat_scratch, 0
	.set _ZN7rocprim17ROCPRIM_400000_NS6detail17trampoline_kernelINS0_14default_configENS1_36segmented_radix_sort_config_selectorIilEEZNS1_25segmented_radix_sort_implIS3_Lb0EPKiPiPKlPlN2at6native12_GLOBAL__N_18offset_tEEE10hipError_tPvRmT1_PNSt15iterator_traitsISK_E10value_typeET2_T3_PNSL_ISQ_E10value_typeET4_jRbjT5_SW_jjP12ihipStream_tbEUlT_E0_NS1_11comp_targetILNS1_3genE10ELNS1_11target_archE1200ELNS1_3gpuE4ELNS1_3repE0EEENS1_60segmented_radix_sort_warp_sort_medium_config_static_selectorELNS0_4arch9wavefront6targetE0EEEvSK_.has_dyn_sized_stack, 0
	.set _ZN7rocprim17ROCPRIM_400000_NS6detail17trampoline_kernelINS0_14default_configENS1_36segmented_radix_sort_config_selectorIilEEZNS1_25segmented_radix_sort_implIS3_Lb0EPKiPiPKlPlN2at6native12_GLOBAL__N_18offset_tEEE10hipError_tPvRmT1_PNSt15iterator_traitsISK_E10value_typeET2_T3_PNSL_ISQ_E10value_typeET4_jRbjT5_SW_jjP12ihipStream_tbEUlT_E0_NS1_11comp_targetILNS1_3genE10ELNS1_11target_archE1200ELNS1_3gpuE4ELNS1_3repE0EEENS1_60segmented_radix_sort_warp_sort_medium_config_static_selectorELNS0_4arch9wavefront6targetE0EEEvSK_.has_recursion, 0
	.set _ZN7rocprim17ROCPRIM_400000_NS6detail17trampoline_kernelINS0_14default_configENS1_36segmented_radix_sort_config_selectorIilEEZNS1_25segmented_radix_sort_implIS3_Lb0EPKiPiPKlPlN2at6native12_GLOBAL__N_18offset_tEEE10hipError_tPvRmT1_PNSt15iterator_traitsISK_E10value_typeET2_T3_PNSL_ISQ_E10value_typeET4_jRbjT5_SW_jjP12ihipStream_tbEUlT_E0_NS1_11comp_targetILNS1_3genE10ELNS1_11target_archE1200ELNS1_3gpuE4ELNS1_3repE0EEENS1_60segmented_radix_sort_warp_sort_medium_config_static_selectorELNS0_4arch9wavefront6targetE0EEEvSK_.has_indirect_call, 0
	.section	.AMDGPU.csdata,"",@progbits
; Kernel info:
; codeLenInByte = 0
; TotalNumSgprs: 0
; NumVgprs: 0
; ScratchSize: 0
; MemoryBound: 0
; FloatMode: 240
; IeeeMode: 1
; LDSByteSize: 0 bytes/workgroup (compile time only)
; SGPRBlocks: 0
; VGPRBlocks: 0
; NumSGPRsForWavesPerEU: 1
; NumVGPRsForWavesPerEU: 1
; Occupancy: 16
; WaveLimiterHint : 0
; COMPUTE_PGM_RSRC2:SCRATCH_EN: 0
; COMPUTE_PGM_RSRC2:USER_SGPR: 2
; COMPUTE_PGM_RSRC2:TRAP_HANDLER: 0
; COMPUTE_PGM_RSRC2:TGID_X_EN: 1
; COMPUTE_PGM_RSRC2:TGID_Y_EN: 0
; COMPUTE_PGM_RSRC2:TGID_Z_EN: 0
; COMPUTE_PGM_RSRC2:TIDIG_COMP_CNT: 0
	.section	.text._ZN7rocprim17ROCPRIM_400000_NS6detail17trampoline_kernelINS0_14default_configENS1_36segmented_radix_sort_config_selectorIilEEZNS1_25segmented_radix_sort_implIS3_Lb0EPKiPiPKlPlN2at6native12_GLOBAL__N_18offset_tEEE10hipError_tPvRmT1_PNSt15iterator_traitsISK_E10value_typeET2_T3_PNSL_ISQ_E10value_typeET4_jRbjT5_SW_jjP12ihipStream_tbEUlT_E0_NS1_11comp_targetILNS1_3genE9ELNS1_11target_archE1100ELNS1_3gpuE3ELNS1_3repE0EEENS1_60segmented_radix_sort_warp_sort_medium_config_static_selectorELNS0_4arch9wavefront6targetE0EEEvSK_,"axG",@progbits,_ZN7rocprim17ROCPRIM_400000_NS6detail17trampoline_kernelINS0_14default_configENS1_36segmented_radix_sort_config_selectorIilEEZNS1_25segmented_radix_sort_implIS3_Lb0EPKiPiPKlPlN2at6native12_GLOBAL__N_18offset_tEEE10hipError_tPvRmT1_PNSt15iterator_traitsISK_E10value_typeET2_T3_PNSL_ISQ_E10value_typeET4_jRbjT5_SW_jjP12ihipStream_tbEUlT_E0_NS1_11comp_targetILNS1_3genE9ELNS1_11target_archE1100ELNS1_3gpuE3ELNS1_3repE0EEENS1_60segmented_radix_sort_warp_sort_medium_config_static_selectorELNS0_4arch9wavefront6targetE0EEEvSK_,comdat
	.globl	_ZN7rocprim17ROCPRIM_400000_NS6detail17trampoline_kernelINS0_14default_configENS1_36segmented_radix_sort_config_selectorIilEEZNS1_25segmented_radix_sort_implIS3_Lb0EPKiPiPKlPlN2at6native12_GLOBAL__N_18offset_tEEE10hipError_tPvRmT1_PNSt15iterator_traitsISK_E10value_typeET2_T3_PNSL_ISQ_E10value_typeET4_jRbjT5_SW_jjP12ihipStream_tbEUlT_E0_NS1_11comp_targetILNS1_3genE9ELNS1_11target_archE1100ELNS1_3gpuE3ELNS1_3repE0EEENS1_60segmented_radix_sort_warp_sort_medium_config_static_selectorELNS0_4arch9wavefront6targetE0EEEvSK_ ; -- Begin function _ZN7rocprim17ROCPRIM_400000_NS6detail17trampoline_kernelINS0_14default_configENS1_36segmented_radix_sort_config_selectorIilEEZNS1_25segmented_radix_sort_implIS3_Lb0EPKiPiPKlPlN2at6native12_GLOBAL__N_18offset_tEEE10hipError_tPvRmT1_PNSt15iterator_traitsISK_E10value_typeET2_T3_PNSL_ISQ_E10value_typeET4_jRbjT5_SW_jjP12ihipStream_tbEUlT_E0_NS1_11comp_targetILNS1_3genE9ELNS1_11target_archE1100ELNS1_3gpuE3ELNS1_3repE0EEENS1_60segmented_radix_sort_warp_sort_medium_config_static_selectorELNS0_4arch9wavefront6targetE0EEEvSK_
	.p2align	8
	.type	_ZN7rocprim17ROCPRIM_400000_NS6detail17trampoline_kernelINS0_14default_configENS1_36segmented_radix_sort_config_selectorIilEEZNS1_25segmented_radix_sort_implIS3_Lb0EPKiPiPKlPlN2at6native12_GLOBAL__N_18offset_tEEE10hipError_tPvRmT1_PNSt15iterator_traitsISK_E10value_typeET2_T3_PNSL_ISQ_E10value_typeET4_jRbjT5_SW_jjP12ihipStream_tbEUlT_E0_NS1_11comp_targetILNS1_3genE9ELNS1_11target_archE1100ELNS1_3gpuE3ELNS1_3repE0EEENS1_60segmented_radix_sort_warp_sort_medium_config_static_selectorELNS0_4arch9wavefront6targetE0EEEvSK_,@function
_ZN7rocprim17ROCPRIM_400000_NS6detail17trampoline_kernelINS0_14default_configENS1_36segmented_radix_sort_config_selectorIilEEZNS1_25segmented_radix_sort_implIS3_Lb0EPKiPiPKlPlN2at6native12_GLOBAL__N_18offset_tEEE10hipError_tPvRmT1_PNSt15iterator_traitsISK_E10value_typeET2_T3_PNSL_ISQ_E10value_typeET4_jRbjT5_SW_jjP12ihipStream_tbEUlT_E0_NS1_11comp_targetILNS1_3genE9ELNS1_11target_archE1100ELNS1_3gpuE3ELNS1_3repE0EEENS1_60segmented_radix_sort_warp_sort_medium_config_static_selectorELNS0_4arch9wavefront6targetE0EEEvSK_: ; @_ZN7rocprim17ROCPRIM_400000_NS6detail17trampoline_kernelINS0_14default_configENS1_36segmented_radix_sort_config_selectorIilEEZNS1_25segmented_radix_sort_implIS3_Lb0EPKiPiPKlPlN2at6native12_GLOBAL__N_18offset_tEEE10hipError_tPvRmT1_PNSt15iterator_traitsISK_E10value_typeET2_T3_PNSL_ISQ_E10value_typeET4_jRbjT5_SW_jjP12ihipStream_tbEUlT_E0_NS1_11comp_targetILNS1_3genE9ELNS1_11target_archE1100ELNS1_3gpuE3ELNS1_3repE0EEENS1_60segmented_radix_sort_warp_sort_medium_config_static_selectorELNS0_4arch9wavefront6targetE0EEEvSK_
; %bb.0:
	.section	.rodata,"a",@progbits
	.p2align	6, 0x0
	.amdhsa_kernel _ZN7rocprim17ROCPRIM_400000_NS6detail17trampoline_kernelINS0_14default_configENS1_36segmented_radix_sort_config_selectorIilEEZNS1_25segmented_radix_sort_implIS3_Lb0EPKiPiPKlPlN2at6native12_GLOBAL__N_18offset_tEEE10hipError_tPvRmT1_PNSt15iterator_traitsISK_E10value_typeET2_T3_PNSL_ISQ_E10value_typeET4_jRbjT5_SW_jjP12ihipStream_tbEUlT_E0_NS1_11comp_targetILNS1_3genE9ELNS1_11target_archE1100ELNS1_3gpuE3ELNS1_3repE0EEENS1_60segmented_radix_sort_warp_sort_medium_config_static_selectorELNS0_4arch9wavefront6targetE0EEEvSK_
		.amdhsa_group_segment_fixed_size 0
		.amdhsa_private_segment_fixed_size 0
		.amdhsa_kernarg_size 88
		.amdhsa_user_sgpr_count 2
		.amdhsa_user_sgpr_dispatch_ptr 0
		.amdhsa_user_sgpr_queue_ptr 0
		.amdhsa_user_sgpr_kernarg_segment_ptr 1
		.amdhsa_user_sgpr_dispatch_id 0
		.amdhsa_user_sgpr_private_segment_size 0
		.amdhsa_wavefront_size32 1
		.amdhsa_uses_dynamic_stack 0
		.amdhsa_enable_private_segment 0
		.amdhsa_system_sgpr_workgroup_id_x 1
		.amdhsa_system_sgpr_workgroup_id_y 0
		.amdhsa_system_sgpr_workgroup_id_z 0
		.amdhsa_system_sgpr_workgroup_info 0
		.amdhsa_system_vgpr_workitem_id 0
		.amdhsa_next_free_vgpr 1
		.amdhsa_next_free_sgpr 1
		.amdhsa_reserve_vcc 0
		.amdhsa_float_round_mode_32 0
		.amdhsa_float_round_mode_16_64 0
		.amdhsa_float_denorm_mode_32 3
		.amdhsa_float_denorm_mode_16_64 3
		.amdhsa_fp16_overflow 0
		.amdhsa_workgroup_processor_mode 1
		.amdhsa_memory_ordered 1
		.amdhsa_forward_progress 1
		.amdhsa_inst_pref_size 0
		.amdhsa_round_robin_scheduling 0
		.amdhsa_exception_fp_ieee_invalid_op 0
		.amdhsa_exception_fp_denorm_src 0
		.amdhsa_exception_fp_ieee_div_zero 0
		.amdhsa_exception_fp_ieee_overflow 0
		.amdhsa_exception_fp_ieee_underflow 0
		.amdhsa_exception_fp_ieee_inexact 0
		.amdhsa_exception_int_div_zero 0
	.end_amdhsa_kernel
	.section	.text._ZN7rocprim17ROCPRIM_400000_NS6detail17trampoline_kernelINS0_14default_configENS1_36segmented_radix_sort_config_selectorIilEEZNS1_25segmented_radix_sort_implIS3_Lb0EPKiPiPKlPlN2at6native12_GLOBAL__N_18offset_tEEE10hipError_tPvRmT1_PNSt15iterator_traitsISK_E10value_typeET2_T3_PNSL_ISQ_E10value_typeET4_jRbjT5_SW_jjP12ihipStream_tbEUlT_E0_NS1_11comp_targetILNS1_3genE9ELNS1_11target_archE1100ELNS1_3gpuE3ELNS1_3repE0EEENS1_60segmented_radix_sort_warp_sort_medium_config_static_selectorELNS0_4arch9wavefront6targetE0EEEvSK_,"axG",@progbits,_ZN7rocprim17ROCPRIM_400000_NS6detail17trampoline_kernelINS0_14default_configENS1_36segmented_radix_sort_config_selectorIilEEZNS1_25segmented_radix_sort_implIS3_Lb0EPKiPiPKlPlN2at6native12_GLOBAL__N_18offset_tEEE10hipError_tPvRmT1_PNSt15iterator_traitsISK_E10value_typeET2_T3_PNSL_ISQ_E10value_typeET4_jRbjT5_SW_jjP12ihipStream_tbEUlT_E0_NS1_11comp_targetILNS1_3genE9ELNS1_11target_archE1100ELNS1_3gpuE3ELNS1_3repE0EEENS1_60segmented_radix_sort_warp_sort_medium_config_static_selectorELNS0_4arch9wavefront6targetE0EEEvSK_,comdat
.Lfunc_end618:
	.size	_ZN7rocprim17ROCPRIM_400000_NS6detail17trampoline_kernelINS0_14default_configENS1_36segmented_radix_sort_config_selectorIilEEZNS1_25segmented_radix_sort_implIS3_Lb0EPKiPiPKlPlN2at6native12_GLOBAL__N_18offset_tEEE10hipError_tPvRmT1_PNSt15iterator_traitsISK_E10value_typeET2_T3_PNSL_ISQ_E10value_typeET4_jRbjT5_SW_jjP12ihipStream_tbEUlT_E0_NS1_11comp_targetILNS1_3genE9ELNS1_11target_archE1100ELNS1_3gpuE3ELNS1_3repE0EEENS1_60segmented_radix_sort_warp_sort_medium_config_static_selectorELNS0_4arch9wavefront6targetE0EEEvSK_, .Lfunc_end618-_ZN7rocprim17ROCPRIM_400000_NS6detail17trampoline_kernelINS0_14default_configENS1_36segmented_radix_sort_config_selectorIilEEZNS1_25segmented_radix_sort_implIS3_Lb0EPKiPiPKlPlN2at6native12_GLOBAL__N_18offset_tEEE10hipError_tPvRmT1_PNSt15iterator_traitsISK_E10value_typeET2_T3_PNSL_ISQ_E10value_typeET4_jRbjT5_SW_jjP12ihipStream_tbEUlT_E0_NS1_11comp_targetILNS1_3genE9ELNS1_11target_archE1100ELNS1_3gpuE3ELNS1_3repE0EEENS1_60segmented_radix_sort_warp_sort_medium_config_static_selectorELNS0_4arch9wavefront6targetE0EEEvSK_
                                        ; -- End function
	.set _ZN7rocprim17ROCPRIM_400000_NS6detail17trampoline_kernelINS0_14default_configENS1_36segmented_radix_sort_config_selectorIilEEZNS1_25segmented_radix_sort_implIS3_Lb0EPKiPiPKlPlN2at6native12_GLOBAL__N_18offset_tEEE10hipError_tPvRmT1_PNSt15iterator_traitsISK_E10value_typeET2_T3_PNSL_ISQ_E10value_typeET4_jRbjT5_SW_jjP12ihipStream_tbEUlT_E0_NS1_11comp_targetILNS1_3genE9ELNS1_11target_archE1100ELNS1_3gpuE3ELNS1_3repE0EEENS1_60segmented_radix_sort_warp_sort_medium_config_static_selectorELNS0_4arch9wavefront6targetE0EEEvSK_.num_vgpr, 0
	.set _ZN7rocprim17ROCPRIM_400000_NS6detail17trampoline_kernelINS0_14default_configENS1_36segmented_radix_sort_config_selectorIilEEZNS1_25segmented_radix_sort_implIS3_Lb0EPKiPiPKlPlN2at6native12_GLOBAL__N_18offset_tEEE10hipError_tPvRmT1_PNSt15iterator_traitsISK_E10value_typeET2_T3_PNSL_ISQ_E10value_typeET4_jRbjT5_SW_jjP12ihipStream_tbEUlT_E0_NS1_11comp_targetILNS1_3genE9ELNS1_11target_archE1100ELNS1_3gpuE3ELNS1_3repE0EEENS1_60segmented_radix_sort_warp_sort_medium_config_static_selectorELNS0_4arch9wavefront6targetE0EEEvSK_.num_agpr, 0
	.set _ZN7rocprim17ROCPRIM_400000_NS6detail17trampoline_kernelINS0_14default_configENS1_36segmented_radix_sort_config_selectorIilEEZNS1_25segmented_radix_sort_implIS3_Lb0EPKiPiPKlPlN2at6native12_GLOBAL__N_18offset_tEEE10hipError_tPvRmT1_PNSt15iterator_traitsISK_E10value_typeET2_T3_PNSL_ISQ_E10value_typeET4_jRbjT5_SW_jjP12ihipStream_tbEUlT_E0_NS1_11comp_targetILNS1_3genE9ELNS1_11target_archE1100ELNS1_3gpuE3ELNS1_3repE0EEENS1_60segmented_radix_sort_warp_sort_medium_config_static_selectorELNS0_4arch9wavefront6targetE0EEEvSK_.numbered_sgpr, 0
	.set _ZN7rocprim17ROCPRIM_400000_NS6detail17trampoline_kernelINS0_14default_configENS1_36segmented_radix_sort_config_selectorIilEEZNS1_25segmented_radix_sort_implIS3_Lb0EPKiPiPKlPlN2at6native12_GLOBAL__N_18offset_tEEE10hipError_tPvRmT1_PNSt15iterator_traitsISK_E10value_typeET2_T3_PNSL_ISQ_E10value_typeET4_jRbjT5_SW_jjP12ihipStream_tbEUlT_E0_NS1_11comp_targetILNS1_3genE9ELNS1_11target_archE1100ELNS1_3gpuE3ELNS1_3repE0EEENS1_60segmented_radix_sort_warp_sort_medium_config_static_selectorELNS0_4arch9wavefront6targetE0EEEvSK_.num_named_barrier, 0
	.set _ZN7rocprim17ROCPRIM_400000_NS6detail17trampoline_kernelINS0_14default_configENS1_36segmented_radix_sort_config_selectorIilEEZNS1_25segmented_radix_sort_implIS3_Lb0EPKiPiPKlPlN2at6native12_GLOBAL__N_18offset_tEEE10hipError_tPvRmT1_PNSt15iterator_traitsISK_E10value_typeET2_T3_PNSL_ISQ_E10value_typeET4_jRbjT5_SW_jjP12ihipStream_tbEUlT_E0_NS1_11comp_targetILNS1_3genE9ELNS1_11target_archE1100ELNS1_3gpuE3ELNS1_3repE0EEENS1_60segmented_radix_sort_warp_sort_medium_config_static_selectorELNS0_4arch9wavefront6targetE0EEEvSK_.private_seg_size, 0
	.set _ZN7rocprim17ROCPRIM_400000_NS6detail17trampoline_kernelINS0_14default_configENS1_36segmented_radix_sort_config_selectorIilEEZNS1_25segmented_radix_sort_implIS3_Lb0EPKiPiPKlPlN2at6native12_GLOBAL__N_18offset_tEEE10hipError_tPvRmT1_PNSt15iterator_traitsISK_E10value_typeET2_T3_PNSL_ISQ_E10value_typeET4_jRbjT5_SW_jjP12ihipStream_tbEUlT_E0_NS1_11comp_targetILNS1_3genE9ELNS1_11target_archE1100ELNS1_3gpuE3ELNS1_3repE0EEENS1_60segmented_radix_sort_warp_sort_medium_config_static_selectorELNS0_4arch9wavefront6targetE0EEEvSK_.uses_vcc, 0
	.set _ZN7rocprim17ROCPRIM_400000_NS6detail17trampoline_kernelINS0_14default_configENS1_36segmented_radix_sort_config_selectorIilEEZNS1_25segmented_radix_sort_implIS3_Lb0EPKiPiPKlPlN2at6native12_GLOBAL__N_18offset_tEEE10hipError_tPvRmT1_PNSt15iterator_traitsISK_E10value_typeET2_T3_PNSL_ISQ_E10value_typeET4_jRbjT5_SW_jjP12ihipStream_tbEUlT_E0_NS1_11comp_targetILNS1_3genE9ELNS1_11target_archE1100ELNS1_3gpuE3ELNS1_3repE0EEENS1_60segmented_radix_sort_warp_sort_medium_config_static_selectorELNS0_4arch9wavefront6targetE0EEEvSK_.uses_flat_scratch, 0
	.set _ZN7rocprim17ROCPRIM_400000_NS6detail17trampoline_kernelINS0_14default_configENS1_36segmented_radix_sort_config_selectorIilEEZNS1_25segmented_radix_sort_implIS3_Lb0EPKiPiPKlPlN2at6native12_GLOBAL__N_18offset_tEEE10hipError_tPvRmT1_PNSt15iterator_traitsISK_E10value_typeET2_T3_PNSL_ISQ_E10value_typeET4_jRbjT5_SW_jjP12ihipStream_tbEUlT_E0_NS1_11comp_targetILNS1_3genE9ELNS1_11target_archE1100ELNS1_3gpuE3ELNS1_3repE0EEENS1_60segmented_radix_sort_warp_sort_medium_config_static_selectorELNS0_4arch9wavefront6targetE0EEEvSK_.has_dyn_sized_stack, 0
	.set _ZN7rocprim17ROCPRIM_400000_NS6detail17trampoline_kernelINS0_14default_configENS1_36segmented_radix_sort_config_selectorIilEEZNS1_25segmented_radix_sort_implIS3_Lb0EPKiPiPKlPlN2at6native12_GLOBAL__N_18offset_tEEE10hipError_tPvRmT1_PNSt15iterator_traitsISK_E10value_typeET2_T3_PNSL_ISQ_E10value_typeET4_jRbjT5_SW_jjP12ihipStream_tbEUlT_E0_NS1_11comp_targetILNS1_3genE9ELNS1_11target_archE1100ELNS1_3gpuE3ELNS1_3repE0EEENS1_60segmented_radix_sort_warp_sort_medium_config_static_selectorELNS0_4arch9wavefront6targetE0EEEvSK_.has_recursion, 0
	.set _ZN7rocprim17ROCPRIM_400000_NS6detail17trampoline_kernelINS0_14default_configENS1_36segmented_radix_sort_config_selectorIilEEZNS1_25segmented_radix_sort_implIS3_Lb0EPKiPiPKlPlN2at6native12_GLOBAL__N_18offset_tEEE10hipError_tPvRmT1_PNSt15iterator_traitsISK_E10value_typeET2_T3_PNSL_ISQ_E10value_typeET4_jRbjT5_SW_jjP12ihipStream_tbEUlT_E0_NS1_11comp_targetILNS1_3genE9ELNS1_11target_archE1100ELNS1_3gpuE3ELNS1_3repE0EEENS1_60segmented_radix_sort_warp_sort_medium_config_static_selectorELNS0_4arch9wavefront6targetE0EEEvSK_.has_indirect_call, 0
	.section	.AMDGPU.csdata,"",@progbits
; Kernel info:
; codeLenInByte = 0
; TotalNumSgprs: 0
; NumVgprs: 0
; ScratchSize: 0
; MemoryBound: 0
; FloatMode: 240
; IeeeMode: 1
; LDSByteSize: 0 bytes/workgroup (compile time only)
; SGPRBlocks: 0
; VGPRBlocks: 0
; NumSGPRsForWavesPerEU: 1
; NumVGPRsForWavesPerEU: 1
; Occupancy: 16
; WaveLimiterHint : 0
; COMPUTE_PGM_RSRC2:SCRATCH_EN: 0
; COMPUTE_PGM_RSRC2:USER_SGPR: 2
; COMPUTE_PGM_RSRC2:TRAP_HANDLER: 0
; COMPUTE_PGM_RSRC2:TGID_X_EN: 1
; COMPUTE_PGM_RSRC2:TGID_Y_EN: 0
; COMPUTE_PGM_RSRC2:TGID_Z_EN: 0
; COMPUTE_PGM_RSRC2:TIDIG_COMP_CNT: 0
	.section	.text._ZN7rocprim17ROCPRIM_400000_NS6detail17trampoline_kernelINS0_14default_configENS1_36segmented_radix_sort_config_selectorIilEEZNS1_25segmented_radix_sort_implIS3_Lb0EPKiPiPKlPlN2at6native12_GLOBAL__N_18offset_tEEE10hipError_tPvRmT1_PNSt15iterator_traitsISK_E10value_typeET2_T3_PNSL_ISQ_E10value_typeET4_jRbjT5_SW_jjP12ihipStream_tbEUlT_E0_NS1_11comp_targetILNS1_3genE8ELNS1_11target_archE1030ELNS1_3gpuE2ELNS1_3repE0EEENS1_60segmented_radix_sort_warp_sort_medium_config_static_selectorELNS0_4arch9wavefront6targetE0EEEvSK_,"axG",@progbits,_ZN7rocprim17ROCPRIM_400000_NS6detail17trampoline_kernelINS0_14default_configENS1_36segmented_radix_sort_config_selectorIilEEZNS1_25segmented_radix_sort_implIS3_Lb0EPKiPiPKlPlN2at6native12_GLOBAL__N_18offset_tEEE10hipError_tPvRmT1_PNSt15iterator_traitsISK_E10value_typeET2_T3_PNSL_ISQ_E10value_typeET4_jRbjT5_SW_jjP12ihipStream_tbEUlT_E0_NS1_11comp_targetILNS1_3genE8ELNS1_11target_archE1030ELNS1_3gpuE2ELNS1_3repE0EEENS1_60segmented_radix_sort_warp_sort_medium_config_static_selectorELNS0_4arch9wavefront6targetE0EEEvSK_,comdat
	.globl	_ZN7rocprim17ROCPRIM_400000_NS6detail17trampoline_kernelINS0_14default_configENS1_36segmented_radix_sort_config_selectorIilEEZNS1_25segmented_radix_sort_implIS3_Lb0EPKiPiPKlPlN2at6native12_GLOBAL__N_18offset_tEEE10hipError_tPvRmT1_PNSt15iterator_traitsISK_E10value_typeET2_T3_PNSL_ISQ_E10value_typeET4_jRbjT5_SW_jjP12ihipStream_tbEUlT_E0_NS1_11comp_targetILNS1_3genE8ELNS1_11target_archE1030ELNS1_3gpuE2ELNS1_3repE0EEENS1_60segmented_radix_sort_warp_sort_medium_config_static_selectorELNS0_4arch9wavefront6targetE0EEEvSK_ ; -- Begin function _ZN7rocprim17ROCPRIM_400000_NS6detail17trampoline_kernelINS0_14default_configENS1_36segmented_radix_sort_config_selectorIilEEZNS1_25segmented_radix_sort_implIS3_Lb0EPKiPiPKlPlN2at6native12_GLOBAL__N_18offset_tEEE10hipError_tPvRmT1_PNSt15iterator_traitsISK_E10value_typeET2_T3_PNSL_ISQ_E10value_typeET4_jRbjT5_SW_jjP12ihipStream_tbEUlT_E0_NS1_11comp_targetILNS1_3genE8ELNS1_11target_archE1030ELNS1_3gpuE2ELNS1_3repE0EEENS1_60segmented_radix_sort_warp_sort_medium_config_static_selectorELNS0_4arch9wavefront6targetE0EEEvSK_
	.p2align	8
	.type	_ZN7rocprim17ROCPRIM_400000_NS6detail17trampoline_kernelINS0_14default_configENS1_36segmented_radix_sort_config_selectorIilEEZNS1_25segmented_radix_sort_implIS3_Lb0EPKiPiPKlPlN2at6native12_GLOBAL__N_18offset_tEEE10hipError_tPvRmT1_PNSt15iterator_traitsISK_E10value_typeET2_T3_PNSL_ISQ_E10value_typeET4_jRbjT5_SW_jjP12ihipStream_tbEUlT_E0_NS1_11comp_targetILNS1_3genE8ELNS1_11target_archE1030ELNS1_3gpuE2ELNS1_3repE0EEENS1_60segmented_radix_sort_warp_sort_medium_config_static_selectorELNS0_4arch9wavefront6targetE0EEEvSK_,@function
_ZN7rocprim17ROCPRIM_400000_NS6detail17trampoline_kernelINS0_14default_configENS1_36segmented_radix_sort_config_selectorIilEEZNS1_25segmented_radix_sort_implIS3_Lb0EPKiPiPKlPlN2at6native12_GLOBAL__N_18offset_tEEE10hipError_tPvRmT1_PNSt15iterator_traitsISK_E10value_typeET2_T3_PNSL_ISQ_E10value_typeET4_jRbjT5_SW_jjP12ihipStream_tbEUlT_E0_NS1_11comp_targetILNS1_3genE8ELNS1_11target_archE1030ELNS1_3gpuE2ELNS1_3repE0EEENS1_60segmented_radix_sort_warp_sort_medium_config_static_selectorELNS0_4arch9wavefront6targetE0EEEvSK_: ; @_ZN7rocprim17ROCPRIM_400000_NS6detail17trampoline_kernelINS0_14default_configENS1_36segmented_radix_sort_config_selectorIilEEZNS1_25segmented_radix_sort_implIS3_Lb0EPKiPiPKlPlN2at6native12_GLOBAL__N_18offset_tEEE10hipError_tPvRmT1_PNSt15iterator_traitsISK_E10value_typeET2_T3_PNSL_ISQ_E10value_typeET4_jRbjT5_SW_jjP12ihipStream_tbEUlT_E0_NS1_11comp_targetILNS1_3genE8ELNS1_11target_archE1030ELNS1_3gpuE2ELNS1_3repE0EEENS1_60segmented_radix_sort_warp_sort_medium_config_static_selectorELNS0_4arch9wavefront6targetE0EEEvSK_
; %bb.0:
	.section	.rodata,"a",@progbits
	.p2align	6, 0x0
	.amdhsa_kernel _ZN7rocprim17ROCPRIM_400000_NS6detail17trampoline_kernelINS0_14default_configENS1_36segmented_radix_sort_config_selectorIilEEZNS1_25segmented_radix_sort_implIS3_Lb0EPKiPiPKlPlN2at6native12_GLOBAL__N_18offset_tEEE10hipError_tPvRmT1_PNSt15iterator_traitsISK_E10value_typeET2_T3_PNSL_ISQ_E10value_typeET4_jRbjT5_SW_jjP12ihipStream_tbEUlT_E0_NS1_11comp_targetILNS1_3genE8ELNS1_11target_archE1030ELNS1_3gpuE2ELNS1_3repE0EEENS1_60segmented_radix_sort_warp_sort_medium_config_static_selectorELNS0_4arch9wavefront6targetE0EEEvSK_
		.amdhsa_group_segment_fixed_size 0
		.amdhsa_private_segment_fixed_size 0
		.amdhsa_kernarg_size 88
		.amdhsa_user_sgpr_count 2
		.amdhsa_user_sgpr_dispatch_ptr 0
		.amdhsa_user_sgpr_queue_ptr 0
		.amdhsa_user_sgpr_kernarg_segment_ptr 1
		.amdhsa_user_sgpr_dispatch_id 0
		.amdhsa_user_sgpr_private_segment_size 0
		.amdhsa_wavefront_size32 1
		.amdhsa_uses_dynamic_stack 0
		.amdhsa_enable_private_segment 0
		.amdhsa_system_sgpr_workgroup_id_x 1
		.amdhsa_system_sgpr_workgroup_id_y 0
		.amdhsa_system_sgpr_workgroup_id_z 0
		.amdhsa_system_sgpr_workgroup_info 0
		.amdhsa_system_vgpr_workitem_id 0
		.amdhsa_next_free_vgpr 1
		.amdhsa_next_free_sgpr 1
		.amdhsa_reserve_vcc 0
		.amdhsa_float_round_mode_32 0
		.amdhsa_float_round_mode_16_64 0
		.amdhsa_float_denorm_mode_32 3
		.amdhsa_float_denorm_mode_16_64 3
		.amdhsa_fp16_overflow 0
		.amdhsa_workgroup_processor_mode 1
		.amdhsa_memory_ordered 1
		.amdhsa_forward_progress 1
		.amdhsa_inst_pref_size 0
		.amdhsa_round_robin_scheduling 0
		.amdhsa_exception_fp_ieee_invalid_op 0
		.amdhsa_exception_fp_denorm_src 0
		.amdhsa_exception_fp_ieee_div_zero 0
		.amdhsa_exception_fp_ieee_overflow 0
		.amdhsa_exception_fp_ieee_underflow 0
		.amdhsa_exception_fp_ieee_inexact 0
		.amdhsa_exception_int_div_zero 0
	.end_amdhsa_kernel
	.section	.text._ZN7rocprim17ROCPRIM_400000_NS6detail17trampoline_kernelINS0_14default_configENS1_36segmented_radix_sort_config_selectorIilEEZNS1_25segmented_radix_sort_implIS3_Lb0EPKiPiPKlPlN2at6native12_GLOBAL__N_18offset_tEEE10hipError_tPvRmT1_PNSt15iterator_traitsISK_E10value_typeET2_T3_PNSL_ISQ_E10value_typeET4_jRbjT5_SW_jjP12ihipStream_tbEUlT_E0_NS1_11comp_targetILNS1_3genE8ELNS1_11target_archE1030ELNS1_3gpuE2ELNS1_3repE0EEENS1_60segmented_radix_sort_warp_sort_medium_config_static_selectorELNS0_4arch9wavefront6targetE0EEEvSK_,"axG",@progbits,_ZN7rocprim17ROCPRIM_400000_NS6detail17trampoline_kernelINS0_14default_configENS1_36segmented_radix_sort_config_selectorIilEEZNS1_25segmented_radix_sort_implIS3_Lb0EPKiPiPKlPlN2at6native12_GLOBAL__N_18offset_tEEE10hipError_tPvRmT1_PNSt15iterator_traitsISK_E10value_typeET2_T3_PNSL_ISQ_E10value_typeET4_jRbjT5_SW_jjP12ihipStream_tbEUlT_E0_NS1_11comp_targetILNS1_3genE8ELNS1_11target_archE1030ELNS1_3gpuE2ELNS1_3repE0EEENS1_60segmented_radix_sort_warp_sort_medium_config_static_selectorELNS0_4arch9wavefront6targetE0EEEvSK_,comdat
.Lfunc_end619:
	.size	_ZN7rocprim17ROCPRIM_400000_NS6detail17trampoline_kernelINS0_14default_configENS1_36segmented_radix_sort_config_selectorIilEEZNS1_25segmented_radix_sort_implIS3_Lb0EPKiPiPKlPlN2at6native12_GLOBAL__N_18offset_tEEE10hipError_tPvRmT1_PNSt15iterator_traitsISK_E10value_typeET2_T3_PNSL_ISQ_E10value_typeET4_jRbjT5_SW_jjP12ihipStream_tbEUlT_E0_NS1_11comp_targetILNS1_3genE8ELNS1_11target_archE1030ELNS1_3gpuE2ELNS1_3repE0EEENS1_60segmented_radix_sort_warp_sort_medium_config_static_selectorELNS0_4arch9wavefront6targetE0EEEvSK_, .Lfunc_end619-_ZN7rocprim17ROCPRIM_400000_NS6detail17trampoline_kernelINS0_14default_configENS1_36segmented_radix_sort_config_selectorIilEEZNS1_25segmented_radix_sort_implIS3_Lb0EPKiPiPKlPlN2at6native12_GLOBAL__N_18offset_tEEE10hipError_tPvRmT1_PNSt15iterator_traitsISK_E10value_typeET2_T3_PNSL_ISQ_E10value_typeET4_jRbjT5_SW_jjP12ihipStream_tbEUlT_E0_NS1_11comp_targetILNS1_3genE8ELNS1_11target_archE1030ELNS1_3gpuE2ELNS1_3repE0EEENS1_60segmented_radix_sort_warp_sort_medium_config_static_selectorELNS0_4arch9wavefront6targetE0EEEvSK_
                                        ; -- End function
	.set _ZN7rocprim17ROCPRIM_400000_NS6detail17trampoline_kernelINS0_14default_configENS1_36segmented_radix_sort_config_selectorIilEEZNS1_25segmented_radix_sort_implIS3_Lb0EPKiPiPKlPlN2at6native12_GLOBAL__N_18offset_tEEE10hipError_tPvRmT1_PNSt15iterator_traitsISK_E10value_typeET2_T3_PNSL_ISQ_E10value_typeET4_jRbjT5_SW_jjP12ihipStream_tbEUlT_E0_NS1_11comp_targetILNS1_3genE8ELNS1_11target_archE1030ELNS1_3gpuE2ELNS1_3repE0EEENS1_60segmented_radix_sort_warp_sort_medium_config_static_selectorELNS0_4arch9wavefront6targetE0EEEvSK_.num_vgpr, 0
	.set _ZN7rocprim17ROCPRIM_400000_NS6detail17trampoline_kernelINS0_14default_configENS1_36segmented_radix_sort_config_selectorIilEEZNS1_25segmented_radix_sort_implIS3_Lb0EPKiPiPKlPlN2at6native12_GLOBAL__N_18offset_tEEE10hipError_tPvRmT1_PNSt15iterator_traitsISK_E10value_typeET2_T3_PNSL_ISQ_E10value_typeET4_jRbjT5_SW_jjP12ihipStream_tbEUlT_E0_NS1_11comp_targetILNS1_3genE8ELNS1_11target_archE1030ELNS1_3gpuE2ELNS1_3repE0EEENS1_60segmented_radix_sort_warp_sort_medium_config_static_selectorELNS0_4arch9wavefront6targetE0EEEvSK_.num_agpr, 0
	.set _ZN7rocprim17ROCPRIM_400000_NS6detail17trampoline_kernelINS0_14default_configENS1_36segmented_radix_sort_config_selectorIilEEZNS1_25segmented_radix_sort_implIS3_Lb0EPKiPiPKlPlN2at6native12_GLOBAL__N_18offset_tEEE10hipError_tPvRmT1_PNSt15iterator_traitsISK_E10value_typeET2_T3_PNSL_ISQ_E10value_typeET4_jRbjT5_SW_jjP12ihipStream_tbEUlT_E0_NS1_11comp_targetILNS1_3genE8ELNS1_11target_archE1030ELNS1_3gpuE2ELNS1_3repE0EEENS1_60segmented_radix_sort_warp_sort_medium_config_static_selectorELNS0_4arch9wavefront6targetE0EEEvSK_.numbered_sgpr, 0
	.set _ZN7rocprim17ROCPRIM_400000_NS6detail17trampoline_kernelINS0_14default_configENS1_36segmented_radix_sort_config_selectorIilEEZNS1_25segmented_radix_sort_implIS3_Lb0EPKiPiPKlPlN2at6native12_GLOBAL__N_18offset_tEEE10hipError_tPvRmT1_PNSt15iterator_traitsISK_E10value_typeET2_T3_PNSL_ISQ_E10value_typeET4_jRbjT5_SW_jjP12ihipStream_tbEUlT_E0_NS1_11comp_targetILNS1_3genE8ELNS1_11target_archE1030ELNS1_3gpuE2ELNS1_3repE0EEENS1_60segmented_radix_sort_warp_sort_medium_config_static_selectorELNS0_4arch9wavefront6targetE0EEEvSK_.num_named_barrier, 0
	.set _ZN7rocprim17ROCPRIM_400000_NS6detail17trampoline_kernelINS0_14default_configENS1_36segmented_radix_sort_config_selectorIilEEZNS1_25segmented_radix_sort_implIS3_Lb0EPKiPiPKlPlN2at6native12_GLOBAL__N_18offset_tEEE10hipError_tPvRmT1_PNSt15iterator_traitsISK_E10value_typeET2_T3_PNSL_ISQ_E10value_typeET4_jRbjT5_SW_jjP12ihipStream_tbEUlT_E0_NS1_11comp_targetILNS1_3genE8ELNS1_11target_archE1030ELNS1_3gpuE2ELNS1_3repE0EEENS1_60segmented_radix_sort_warp_sort_medium_config_static_selectorELNS0_4arch9wavefront6targetE0EEEvSK_.private_seg_size, 0
	.set _ZN7rocprim17ROCPRIM_400000_NS6detail17trampoline_kernelINS0_14default_configENS1_36segmented_radix_sort_config_selectorIilEEZNS1_25segmented_radix_sort_implIS3_Lb0EPKiPiPKlPlN2at6native12_GLOBAL__N_18offset_tEEE10hipError_tPvRmT1_PNSt15iterator_traitsISK_E10value_typeET2_T3_PNSL_ISQ_E10value_typeET4_jRbjT5_SW_jjP12ihipStream_tbEUlT_E0_NS1_11comp_targetILNS1_3genE8ELNS1_11target_archE1030ELNS1_3gpuE2ELNS1_3repE0EEENS1_60segmented_radix_sort_warp_sort_medium_config_static_selectorELNS0_4arch9wavefront6targetE0EEEvSK_.uses_vcc, 0
	.set _ZN7rocprim17ROCPRIM_400000_NS6detail17trampoline_kernelINS0_14default_configENS1_36segmented_radix_sort_config_selectorIilEEZNS1_25segmented_radix_sort_implIS3_Lb0EPKiPiPKlPlN2at6native12_GLOBAL__N_18offset_tEEE10hipError_tPvRmT1_PNSt15iterator_traitsISK_E10value_typeET2_T3_PNSL_ISQ_E10value_typeET4_jRbjT5_SW_jjP12ihipStream_tbEUlT_E0_NS1_11comp_targetILNS1_3genE8ELNS1_11target_archE1030ELNS1_3gpuE2ELNS1_3repE0EEENS1_60segmented_radix_sort_warp_sort_medium_config_static_selectorELNS0_4arch9wavefront6targetE0EEEvSK_.uses_flat_scratch, 0
	.set _ZN7rocprim17ROCPRIM_400000_NS6detail17trampoline_kernelINS0_14default_configENS1_36segmented_radix_sort_config_selectorIilEEZNS1_25segmented_radix_sort_implIS3_Lb0EPKiPiPKlPlN2at6native12_GLOBAL__N_18offset_tEEE10hipError_tPvRmT1_PNSt15iterator_traitsISK_E10value_typeET2_T3_PNSL_ISQ_E10value_typeET4_jRbjT5_SW_jjP12ihipStream_tbEUlT_E0_NS1_11comp_targetILNS1_3genE8ELNS1_11target_archE1030ELNS1_3gpuE2ELNS1_3repE0EEENS1_60segmented_radix_sort_warp_sort_medium_config_static_selectorELNS0_4arch9wavefront6targetE0EEEvSK_.has_dyn_sized_stack, 0
	.set _ZN7rocprim17ROCPRIM_400000_NS6detail17trampoline_kernelINS0_14default_configENS1_36segmented_radix_sort_config_selectorIilEEZNS1_25segmented_radix_sort_implIS3_Lb0EPKiPiPKlPlN2at6native12_GLOBAL__N_18offset_tEEE10hipError_tPvRmT1_PNSt15iterator_traitsISK_E10value_typeET2_T3_PNSL_ISQ_E10value_typeET4_jRbjT5_SW_jjP12ihipStream_tbEUlT_E0_NS1_11comp_targetILNS1_3genE8ELNS1_11target_archE1030ELNS1_3gpuE2ELNS1_3repE0EEENS1_60segmented_radix_sort_warp_sort_medium_config_static_selectorELNS0_4arch9wavefront6targetE0EEEvSK_.has_recursion, 0
	.set _ZN7rocprim17ROCPRIM_400000_NS6detail17trampoline_kernelINS0_14default_configENS1_36segmented_radix_sort_config_selectorIilEEZNS1_25segmented_radix_sort_implIS3_Lb0EPKiPiPKlPlN2at6native12_GLOBAL__N_18offset_tEEE10hipError_tPvRmT1_PNSt15iterator_traitsISK_E10value_typeET2_T3_PNSL_ISQ_E10value_typeET4_jRbjT5_SW_jjP12ihipStream_tbEUlT_E0_NS1_11comp_targetILNS1_3genE8ELNS1_11target_archE1030ELNS1_3gpuE2ELNS1_3repE0EEENS1_60segmented_radix_sort_warp_sort_medium_config_static_selectorELNS0_4arch9wavefront6targetE0EEEvSK_.has_indirect_call, 0
	.section	.AMDGPU.csdata,"",@progbits
; Kernel info:
; codeLenInByte = 0
; TotalNumSgprs: 0
; NumVgprs: 0
; ScratchSize: 0
; MemoryBound: 0
; FloatMode: 240
; IeeeMode: 1
; LDSByteSize: 0 bytes/workgroup (compile time only)
; SGPRBlocks: 0
; VGPRBlocks: 0
; NumSGPRsForWavesPerEU: 1
; NumVGPRsForWavesPerEU: 1
; Occupancy: 16
; WaveLimiterHint : 0
; COMPUTE_PGM_RSRC2:SCRATCH_EN: 0
; COMPUTE_PGM_RSRC2:USER_SGPR: 2
; COMPUTE_PGM_RSRC2:TRAP_HANDLER: 0
; COMPUTE_PGM_RSRC2:TGID_X_EN: 1
; COMPUTE_PGM_RSRC2:TGID_Y_EN: 0
; COMPUTE_PGM_RSRC2:TGID_Z_EN: 0
; COMPUTE_PGM_RSRC2:TIDIG_COMP_CNT: 0
	.section	.text._ZN7rocprim17ROCPRIM_400000_NS6detail17trampoline_kernelINS0_14default_configENS1_36segmented_radix_sort_config_selectorIilEEZNS1_25segmented_radix_sort_implIS3_Lb0EPKiPiPKlPlN2at6native12_GLOBAL__N_18offset_tEEE10hipError_tPvRmT1_PNSt15iterator_traitsISK_E10value_typeET2_T3_PNSL_ISQ_E10value_typeET4_jRbjT5_SW_jjP12ihipStream_tbEUlT_E1_NS1_11comp_targetILNS1_3genE0ELNS1_11target_archE4294967295ELNS1_3gpuE0ELNS1_3repE0EEENS1_59segmented_radix_sort_warp_sort_small_config_static_selectorELNS0_4arch9wavefront6targetE0EEEvSK_,"axG",@progbits,_ZN7rocprim17ROCPRIM_400000_NS6detail17trampoline_kernelINS0_14default_configENS1_36segmented_radix_sort_config_selectorIilEEZNS1_25segmented_radix_sort_implIS3_Lb0EPKiPiPKlPlN2at6native12_GLOBAL__N_18offset_tEEE10hipError_tPvRmT1_PNSt15iterator_traitsISK_E10value_typeET2_T3_PNSL_ISQ_E10value_typeET4_jRbjT5_SW_jjP12ihipStream_tbEUlT_E1_NS1_11comp_targetILNS1_3genE0ELNS1_11target_archE4294967295ELNS1_3gpuE0ELNS1_3repE0EEENS1_59segmented_radix_sort_warp_sort_small_config_static_selectorELNS0_4arch9wavefront6targetE0EEEvSK_,comdat
	.globl	_ZN7rocprim17ROCPRIM_400000_NS6detail17trampoline_kernelINS0_14default_configENS1_36segmented_radix_sort_config_selectorIilEEZNS1_25segmented_radix_sort_implIS3_Lb0EPKiPiPKlPlN2at6native12_GLOBAL__N_18offset_tEEE10hipError_tPvRmT1_PNSt15iterator_traitsISK_E10value_typeET2_T3_PNSL_ISQ_E10value_typeET4_jRbjT5_SW_jjP12ihipStream_tbEUlT_E1_NS1_11comp_targetILNS1_3genE0ELNS1_11target_archE4294967295ELNS1_3gpuE0ELNS1_3repE0EEENS1_59segmented_radix_sort_warp_sort_small_config_static_selectorELNS0_4arch9wavefront6targetE0EEEvSK_ ; -- Begin function _ZN7rocprim17ROCPRIM_400000_NS6detail17trampoline_kernelINS0_14default_configENS1_36segmented_radix_sort_config_selectorIilEEZNS1_25segmented_radix_sort_implIS3_Lb0EPKiPiPKlPlN2at6native12_GLOBAL__N_18offset_tEEE10hipError_tPvRmT1_PNSt15iterator_traitsISK_E10value_typeET2_T3_PNSL_ISQ_E10value_typeET4_jRbjT5_SW_jjP12ihipStream_tbEUlT_E1_NS1_11comp_targetILNS1_3genE0ELNS1_11target_archE4294967295ELNS1_3gpuE0ELNS1_3repE0EEENS1_59segmented_radix_sort_warp_sort_small_config_static_selectorELNS0_4arch9wavefront6targetE0EEEvSK_
	.p2align	8
	.type	_ZN7rocprim17ROCPRIM_400000_NS6detail17trampoline_kernelINS0_14default_configENS1_36segmented_radix_sort_config_selectorIilEEZNS1_25segmented_radix_sort_implIS3_Lb0EPKiPiPKlPlN2at6native12_GLOBAL__N_18offset_tEEE10hipError_tPvRmT1_PNSt15iterator_traitsISK_E10value_typeET2_T3_PNSL_ISQ_E10value_typeET4_jRbjT5_SW_jjP12ihipStream_tbEUlT_E1_NS1_11comp_targetILNS1_3genE0ELNS1_11target_archE4294967295ELNS1_3gpuE0ELNS1_3repE0EEENS1_59segmented_radix_sort_warp_sort_small_config_static_selectorELNS0_4arch9wavefront6targetE0EEEvSK_,@function
_ZN7rocprim17ROCPRIM_400000_NS6detail17trampoline_kernelINS0_14default_configENS1_36segmented_radix_sort_config_selectorIilEEZNS1_25segmented_radix_sort_implIS3_Lb0EPKiPiPKlPlN2at6native12_GLOBAL__N_18offset_tEEE10hipError_tPvRmT1_PNSt15iterator_traitsISK_E10value_typeET2_T3_PNSL_ISQ_E10value_typeET4_jRbjT5_SW_jjP12ihipStream_tbEUlT_E1_NS1_11comp_targetILNS1_3genE0ELNS1_11target_archE4294967295ELNS1_3gpuE0ELNS1_3repE0EEENS1_59segmented_radix_sort_warp_sort_small_config_static_selectorELNS0_4arch9wavefront6targetE0EEEvSK_: ; @_ZN7rocprim17ROCPRIM_400000_NS6detail17trampoline_kernelINS0_14default_configENS1_36segmented_radix_sort_config_selectorIilEEZNS1_25segmented_radix_sort_implIS3_Lb0EPKiPiPKlPlN2at6native12_GLOBAL__N_18offset_tEEE10hipError_tPvRmT1_PNSt15iterator_traitsISK_E10value_typeET2_T3_PNSL_ISQ_E10value_typeET4_jRbjT5_SW_jjP12ihipStream_tbEUlT_E1_NS1_11comp_targetILNS1_3genE0ELNS1_11target_archE4294967295ELNS1_3gpuE0ELNS1_3repE0EEENS1_59segmented_radix_sort_warp_sort_small_config_static_selectorELNS0_4arch9wavefront6targetE0EEEvSK_
; %bb.0:
	.section	.rodata,"a",@progbits
	.p2align	6, 0x0
	.amdhsa_kernel _ZN7rocprim17ROCPRIM_400000_NS6detail17trampoline_kernelINS0_14default_configENS1_36segmented_radix_sort_config_selectorIilEEZNS1_25segmented_radix_sort_implIS3_Lb0EPKiPiPKlPlN2at6native12_GLOBAL__N_18offset_tEEE10hipError_tPvRmT1_PNSt15iterator_traitsISK_E10value_typeET2_T3_PNSL_ISQ_E10value_typeET4_jRbjT5_SW_jjP12ihipStream_tbEUlT_E1_NS1_11comp_targetILNS1_3genE0ELNS1_11target_archE4294967295ELNS1_3gpuE0ELNS1_3repE0EEENS1_59segmented_radix_sort_warp_sort_small_config_static_selectorELNS0_4arch9wavefront6targetE0EEEvSK_
		.amdhsa_group_segment_fixed_size 0
		.amdhsa_private_segment_fixed_size 0
		.amdhsa_kernarg_size 88
		.amdhsa_user_sgpr_count 2
		.amdhsa_user_sgpr_dispatch_ptr 0
		.amdhsa_user_sgpr_queue_ptr 0
		.amdhsa_user_sgpr_kernarg_segment_ptr 1
		.amdhsa_user_sgpr_dispatch_id 0
		.amdhsa_user_sgpr_private_segment_size 0
		.amdhsa_wavefront_size32 1
		.amdhsa_uses_dynamic_stack 0
		.amdhsa_enable_private_segment 0
		.amdhsa_system_sgpr_workgroup_id_x 1
		.amdhsa_system_sgpr_workgroup_id_y 0
		.amdhsa_system_sgpr_workgroup_id_z 0
		.amdhsa_system_sgpr_workgroup_info 0
		.amdhsa_system_vgpr_workitem_id 0
		.amdhsa_next_free_vgpr 1
		.amdhsa_next_free_sgpr 1
		.amdhsa_reserve_vcc 0
		.amdhsa_float_round_mode_32 0
		.amdhsa_float_round_mode_16_64 0
		.amdhsa_float_denorm_mode_32 3
		.amdhsa_float_denorm_mode_16_64 3
		.amdhsa_fp16_overflow 0
		.amdhsa_workgroup_processor_mode 1
		.amdhsa_memory_ordered 1
		.amdhsa_forward_progress 1
		.amdhsa_inst_pref_size 0
		.amdhsa_round_robin_scheduling 0
		.amdhsa_exception_fp_ieee_invalid_op 0
		.amdhsa_exception_fp_denorm_src 0
		.amdhsa_exception_fp_ieee_div_zero 0
		.amdhsa_exception_fp_ieee_overflow 0
		.amdhsa_exception_fp_ieee_underflow 0
		.amdhsa_exception_fp_ieee_inexact 0
		.amdhsa_exception_int_div_zero 0
	.end_amdhsa_kernel
	.section	.text._ZN7rocprim17ROCPRIM_400000_NS6detail17trampoline_kernelINS0_14default_configENS1_36segmented_radix_sort_config_selectorIilEEZNS1_25segmented_radix_sort_implIS3_Lb0EPKiPiPKlPlN2at6native12_GLOBAL__N_18offset_tEEE10hipError_tPvRmT1_PNSt15iterator_traitsISK_E10value_typeET2_T3_PNSL_ISQ_E10value_typeET4_jRbjT5_SW_jjP12ihipStream_tbEUlT_E1_NS1_11comp_targetILNS1_3genE0ELNS1_11target_archE4294967295ELNS1_3gpuE0ELNS1_3repE0EEENS1_59segmented_radix_sort_warp_sort_small_config_static_selectorELNS0_4arch9wavefront6targetE0EEEvSK_,"axG",@progbits,_ZN7rocprim17ROCPRIM_400000_NS6detail17trampoline_kernelINS0_14default_configENS1_36segmented_radix_sort_config_selectorIilEEZNS1_25segmented_radix_sort_implIS3_Lb0EPKiPiPKlPlN2at6native12_GLOBAL__N_18offset_tEEE10hipError_tPvRmT1_PNSt15iterator_traitsISK_E10value_typeET2_T3_PNSL_ISQ_E10value_typeET4_jRbjT5_SW_jjP12ihipStream_tbEUlT_E1_NS1_11comp_targetILNS1_3genE0ELNS1_11target_archE4294967295ELNS1_3gpuE0ELNS1_3repE0EEENS1_59segmented_radix_sort_warp_sort_small_config_static_selectorELNS0_4arch9wavefront6targetE0EEEvSK_,comdat
.Lfunc_end620:
	.size	_ZN7rocprim17ROCPRIM_400000_NS6detail17trampoline_kernelINS0_14default_configENS1_36segmented_radix_sort_config_selectorIilEEZNS1_25segmented_radix_sort_implIS3_Lb0EPKiPiPKlPlN2at6native12_GLOBAL__N_18offset_tEEE10hipError_tPvRmT1_PNSt15iterator_traitsISK_E10value_typeET2_T3_PNSL_ISQ_E10value_typeET4_jRbjT5_SW_jjP12ihipStream_tbEUlT_E1_NS1_11comp_targetILNS1_3genE0ELNS1_11target_archE4294967295ELNS1_3gpuE0ELNS1_3repE0EEENS1_59segmented_radix_sort_warp_sort_small_config_static_selectorELNS0_4arch9wavefront6targetE0EEEvSK_, .Lfunc_end620-_ZN7rocprim17ROCPRIM_400000_NS6detail17trampoline_kernelINS0_14default_configENS1_36segmented_radix_sort_config_selectorIilEEZNS1_25segmented_radix_sort_implIS3_Lb0EPKiPiPKlPlN2at6native12_GLOBAL__N_18offset_tEEE10hipError_tPvRmT1_PNSt15iterator_traitsISK_E10value_typeET2_T3_PNSL_ISQ_E10value_typeET4_jRbjT5_SW_jjP12ihipStream_tbEUlT_E1_NS1_11comp_targetILNS1_3genE0ELNS1_11target_archE4294967295ELNS1_3gpuE0ELNS1_3repE0EEENS1_59segmented_radix_sort_warp_sort_small_config_static_selectorELNS0_4arch9wavefront6targetE0EEEvSK_
                                        ; -- End function
	.set _ZN7rocprim17ROCPRIM_400000_NS6detail17trampoline_kernelINS0_14default_configENS1_36segmented_radix_sort_config_selectorIilEEZNS1_25segmented_radix_sort_implIS3_Lb0EPKiPiPKlPlN2at6native12_GLOBAL__N_18offset_tEEE10hipError_tPvRmT1_PNSt15iterator_traitsISK_E10value_typeET2_T3_PNSL_ISQ_E10value_typeET4_jRbjT5_SW_jjP12ihipStream_tbEUlT_E1_NS1_11comp_targetILNS1_3genE0ELNS1_11target_archE4294967295ELNS1_3gpuE0ELNS1_3repE0EEENS1_59segmented_radix_sort_warp_sort_small_config_static_selectorELNS0_4arch9wavefront6targetE0EEEvSK_.num_vgpr, 0
	.set _ZN7rocprim17ROCPRIM_400000_NS6detail17trampoline_kernelINS0_14default_configENS1_36segmented_radix_sort_config_selectorIilEEZNS1_25segmented_radix_sort_implIS3_Lb0EPKiPiPKlPlN2at6native12_GLOBAL__N_18offset_tEEE10hipError_tPvRmT1_PNSt15iterator_traitsISK_E10value_typeET2_T3_PNSL_ISQ_E10value_typeET4_jRbjT5_SW_jjP12ihipStream_tbEUlT_E1_NS1_11comp_targetILNS1_3genE0ELNS1_11target_archE4294967295ELNS1_3gpuE0ELNS1_3repE0EEENS1_59segmented_radix_sort_warp_sort_small_config_static_selectorELNS0_4arch9wavefront6targetE0EEEvSK_.num_agpr, 0
	.set _ZN7rocprim17ROCPRIM_400000_NS6detail17trampoline_kernelINS0_14default_configENS1_36segmented_radix_sort_config_selectorIilEEZNS1_25segmented_radix_sort_implIS3_Lb0EPKiPiPKlPlN2at6native12_GLOBAL__N_18offset_tEEE10hipError_tPvRmT1_PNSt15iterator_traitsISK_E10value_typeET2_T3_PNSL_ISQ_E10value_typeET4_jRbjT5_SW_jjP12ihipStream_tbEUlT_E1_NS1_11comp_targetILNS1_3genE0ELNS1_11target_archE4294967295ELNS1_3gpuE0ELNS1_3repE0EEENS1_59segmented_radix_sort_warp_sort_small_config_static_selectorELNS0_4arch9wavefront6targetE0EEEvSK_.numbered_sgpr, 0
	.set _ZN7rocprim17ROCPRIM_400000_NS6detail17trampoline_kernelINS0_14default_configENS1_36segmented_radix_sort_config_selectorIilEEZNS1_25segmented_radix_sort_implIS3_Lb0EPKiPiPKlPlN2at6native12_GLOBAL__N_18offset_tEEE10hipError_tPvRmT1_PNSt15iterator_traitsISK_E10value_typeET2_T3_PNSL_ISQ_E10value_typeET4_jRbjT5_SW_jjP12ihipStream_tbEUlT_E1_NS1_11comp_targetILNS1_3genE0ELNS1_11target_archE4294967295ELNS1_3gpuE0ELNS1_3repE0EEENS1_59segmented_radix_sort_warp_sort_small_config_static_selectorELNS0_4arch9wavefront6targetE0EEEvSK_.num_named_barrier, 0
	.set _ZN7rocprim17ROCPRIM_400000_NS6detail17trampoline_kernelINS0_14default_configENS1_36segmented_radix_sort_config_selectorIilEEZNS1_25segmented_radix_sort_implIS3_Lb0EPKiPiPKlPlN2at6native12_GLOBAL__N_18offset_tEEE10hipError_tPvRmT1_PNSt15iterator_traitsISK_E10value_typeET2_T3_PNSL_ISQ_E10value_typeET4_jRbjT5_SW_jjP12ihipStream_tbEUlT_E1_NS1_11comp_targetILNS1_3genE0ELNS1_11target_archE4294967295ELNS1_3gpuE0ELNS1_3repE0EEENS1_59segmented_radix_sort_warp_sort_small_config_static_selectorELNS0_4arch9wavefront6targetE0EEEvSK_.private_seg_size, 0
	.set _ZN7rocprim17ROCPRIM_400000_NS6detail17trampoline_kernelINS0_14default_configENS1_36segmented_radix_sort_config_selectorIilEEZNS1_25segmented_radix_sort_implIS3_Lb0EPKiPiPKlPlN2at6native12_GLOBAL__N_18offset_tEEE10hipError_tPvRmT1_PNSt15iterator_traitsISK_E10value_typeET2_T3_PNSL_ISQ_E10value_typeET4_jRbjT5_SW_jjP12ihipStream_tbEUlT_E1_NS1_11comp_targetILNS1_3genE0ELNS1_11target_archE4294967295ELNS1_3gpuE0ELNS1_3repE0EEENS1_59segmented_radix_sort_warp_sort_small_config_static_selectorELNS0_4arch9wavefront6targetE0EEEvSK_.uses_vcc, 0
	.set _ZN7rocprim17ROCPRIM_400000_NS6detail17trampoline_kernelINS0_14default_configENS1_36segmented_radix_sort_config_selectorIilEEZNS1_25segmented_radix_sort_implIS3_Lb0EPKiPiPKlPlN2at6native12_GLOBAL__N_18offset_tEEE10hipError_tPvRmT1_PNSt15iterator_traitsISK_E10value_typeET2_T3_PNSL_ISQ_E10value_typeET4_jRbjT5_SW_jjP12ihipStream_tbEUlT_E1_NS1_11comp_targetILNS1_3genE0ELNS1_11target_archE4294967295ELNS1_3gpuE0ELNS1_3repE0EEENS1_59segmented_radix_sort_warp_sort_small_config_static_selectorELNS0_4arch9wavefront6targetE0EEEvSK_.uses_flat_scratch, 0
	.set _ZN7rocprim17ROCPRIM_400000_NS6detail17trampoline_kernelINS0_14default_configENS1_36segmented_radix_sort_config_selectorIilEEZNS1_25segmented_radix_sort_implIS3_Lb0EPKiPiPKlPlN2at6native12_GLOBAL__N_18offset_tEEE10hipError_tPvRmT1_PNSt15iterator_traitsISK_E10value_typeET2_T3_PNSL_ISQ_E10value_typeET4_jRbjT5_SW_jjP12ihipStream_tbEUlT_E1_NS1_11comp_targetILNS1_3genE0ELNS1_11target_archE4294967295ELNS1_3gpuE0ELNS1_3repE0EEENS1_59segmented_radix_sort_warp_sort_small_config_static_selectorELNS0_4arch9wavefront6targetE0EEEvSK_.has_dyn_sized_stack, 0
	.set _ZN7rocprim17ROCPRIM_400000_NS6detail17trampoline_kernelINS0_14default_configENS1_36segmented_radix_sort_config_selectorIilEEZNS1_25segmented_radix_sort_implIS3_Lb0EPKiPiPKlPlN2at6native12_GLOBAL__N_18offset_tEEE10hipError_tPvRmT1_PNSt15iterator_traitsISK_E10value_typeET2_T3_PNSL_ISQ_E10value_typeET4_jRbjT5_SW_jjP12ihipStream_tbEUlT_E1_NS1_11comp_targetILNS1_3genE0ELNS1_11target_archE4294967295ELNS1_3gpuE0ELNS1_3repE0EEENS1_59segmented_radix_sort_warp_sort_small_config_static_selectorELNS0_4arch9wavefront6targetE0EEEvSK_.has_recursion, 0
	.set _ZN7rocprim17ROCPRIM_400000_NS6detail17trampoline_kernelINS0_14default_configENS1_36segmented_radix_sort_config_selectorIilEEZNS1_25segmented_radix_sort_implIS3_Lb0EPKiPiPKlPlN2at6native12_GLOBAL__N_18offset_tEEE10hipError_tPvRmT1_PNSt15iterator_traitsISK_E10value_typeET2_T3_PNSL_ISQ_E10value_typeET4_jRbjT5_SW_jjP12ihipStream_tbEUlT_E1_NS1_11comp_targetILNS1_3genE0ELNS1_11target_archE4294967295ELNS1_3gpuE0ELNS1_3repE0EEENS1_59segmented_radix_sort_warp_sort_small_config_static_selectorELNS0_4arch9wavefront6targetE0EEEvSK_.has_indirect_call, 0
	.section	.AMDGPU.csdata,"",@progbits
; Kernel info:
; codeLenInByte = 0
; TotalNumSgprs: 0
; NumVgprs: 0
; ScratchSize: 0
; MemoryBound: 0
; FloatMode: 240
; IeeeMode: 1
; LDSByteSize: 0 bytes/workgroup (compile time only)
; SGPRBlocks: 0
; VGPRBlocks: 0
; NumSGPRsForWavesPerEU: 1
; NumVGPRsForWavesPerEU: 1
; Occupancy: 16
; WaveLimiterHint : 0
; COMPUTE_PGM_RSRC2:SCRATCH_EN: 0
; COMPUTE_PGM_RSRC2:USER_SGPR: 2
; COMPUTE_PGM_RSRC2:TRAP_HANDLER: 0
; COMPUTE_PGM_RSRC2:TGID_X_EN: 1
; COMPUTE_PGM_RSRC2:TGID_Y_EN: 0
; COMPUTE_PGM_RSRC2:TGID_Z_EN: 0
; COMPUTE_PGM_RSRC2:TIDIG_COMP_CNT: 0
	.section	.text._ZN7rocprim17ROCPRIM_400000_NS6detail17trampoline_kernelINS0_14default_configENS1_36segmented_radix_sort_config_selectorIilEEZNS1_25segmented_radix_sort_implIS3_Lb0EPKiPiPKlPlN2at6native12_GLOBAL__N_18offset_tEEE10hipError_tPvRmT1_PNSt15iterator_traitsISK_E10value_typeET2_T3_PNSL_ISQ_E10value_typeET4_jRbjT5_SW_jjP12ihipStream_tbEUlT_E1_NS1_11comp_targetILNS1_3genE5ELNS1_11target_archE942ELNS1_3gpuE9ELNS1_3repE0EEENS1_59segmented_radix_sort_warp_sort_small_config_static_selectorELNS0_4arch9wavefront6targetE0EEEvSK_,"axG",@progbits,_ZN7rocprim17ROCPRIM_400000_NS6detail17trampoline_kernelINS0_14default_configENS1_36segmented_radix_sort_config_selectorIilEEZNS1_25segmented_radix_sort_implIS3_Lb0EPKiPiPKlPlN2at6native12_GLOBAL__N_18offset_tEEE10hipError_tPvRmT1_PNSt15iterator_traitsISK_E10value_typeET2_T3_PNSL_ISQ_E10value_typeET4_jRbjT5_SW_jjP12ihipStream_tbEUlT_E1_NS1_11comp_targetILNS1_3genE5ELNS1_11target_archE942ELNS1_3gpuE9ELNS1_3repE0EEENS1_59segmented_radix_sort_warp_sort_small_config_static_selectorELNS0_4arch9wavefront6targetE0EEEvSK_,comdat
	.globl	_ZN7rocprim17ROCPRIM_400000_NS6detail17trampoline_kernelINS0_14default_configENS1_36segmented_radix_sort_config_selectorIilEEZNS1_25segmented_radix_sort_implIS3_Lb0EPKiPiPKlPlN2at6native12_GLOBAL__N_18offset_tEEE10hipError_tPvRmT1_PNSt15iterator_traitsISK_E10value_typeET2_T3_PNSL_ISQ_E10value_typeET4_jRbjT5_SW_jjP12ihipStream_tbEUlT_E1_NS1_11comp_targetILNS1_3genE5ELNS1_11target_archE942ELNS1_3gpuE9ELNS1_3repE0EEENS1_59segmented_radix_sort_warp_sort_small_config_static_selectorELNS0_4arch9wavefront6targetE0EEEvSK_ ; -- Begin function _ZN7rocprim17ROCPRIM_400000_NS6detail17trampoline_kernelINS0_14default_configENS1_36segmented_radix_sort_config_selectorIilEEZNS1_25segmented_radix_sort_implIS3_Lb0EPKiPiPKlPlN2at6native12_GLOBAL__N_18offset_tEEE10hipError_tPvRmT1_PNSt15iterator_traitsISK_E10value_typeET2_T3_PNSL_ISQ_E10value_typeET4_jRbjT5_SW_jjP12ihipStream_tbEUlT_E1_NS1_11comp_targetILNS1_3genE5ELNS1_11target_archE942ELNS1_3gpuE9ELNS1_3repE0EEENS1_59segmented_radix_sort_warp_sort_small_config_static_selectorELNS0_4arch9wavefront6targetE0EEEvSK_
	.p2align	8
	.type	_ZN7rocprim17ROCPRIM_400000_NS6detail17trampoline_kernelINS0_14default_configENS1_36segmented_radix_sort_config_selectorIilEEZNS1_25segmented_radix_sort_implIS3_Lb0EPKiPiPKlPlN2at6native12_GLOBAL__N_18offset_tEEE10hipError_tPvRmT1_PNSt15iterator_traitsISK_E10value_typeET2_T3_PNSL_ISQ_E10value_typeET4_jRbjT5_SW_jjP12ihipStream_tbEUlT_E1_NS1_11comp_targetILNS1_3genE5ELNS1_11target_archE942ELNS1_3gpuE9ELNS1_3repE0EEENS1_59segmented_radix_sort_warp_sort_small_config_static_selectorELNS0_4arch9wavefront6targetE0EEEvSK_,@function
_ZN7rocprim17ROCPRIM_400000_NS6detail17trampoline_kernelINS0_14default_configENS1_36segmented_radix_sort_config_selectorIilEEZNS1_25segmented_radix_sort_implIS3_Lb0EPKiPiPKlPlN2at6native12_GLOBAL__N_18offset_tEEE10hipError_tPvRmT1_PNSt15iterator_traitsISK_E10value_typeET2_T3_PNSL_ISQ_E10value_typeET4_jRbjT5_SW_jjP12ihipStream_tbEUlT_E1_NS1_11comp_targetILNS1_3genE5ELNS1_11target_archE942ELNS1_3gpuE9ELNS1_3repE0EEENS1_59segmented_radix_sort_warp_sort_small_config_static_selectorELNS0_4arch9wavefront6targetE0EEEvSK_: ; @_ZN7rocprim17ROCPRIM_400000_NS6detail17trampoline_kernelINS0_14default_configENS1_36segmented_radix_sort_config_selectorIilEEZNS1_25segmented_radix_sort_implIS3_Lb0EPKiPiPKlPlN2at6native12_GLOBAL__N_18offset_tEEE10hipError_tPvRmT1_PNSt15iterator_traitsISK_E10value_typeET2_T3_PNSL_ISQ_E10value_typeET4_jRbjT5_SW_jjP12ihipStream_tbEUlT_E1_NS1_11comp_targetILNS1_3genE5ELNS1_11target_archE942ELNS1_3gpuE9ELNS1_3repE0EEENS1_59segmented_radix_sort_warp_sort_small_config_static_selectorELNS0_4arch9wavefront6targetE0EEEvSK_
; %bb.0:
	.section	.rodata,"a",@progbits
	.p2align	6, 0x0
	.amdhsa_kernel _ZN7rocprim17ROCPRIM_400000_NS6detail17trampoline_kernelINS0_14default_configENS1_36segmented_radix_sort_config_selectorIilEEZNS1_25segmented_radix_sort_implIS3_Lb0EPKiPiPKlPlN2at6native12_GLOBAL__N_18offset_tEEE10hipError_tPvRmT1_PNSt15iterator_traitsISK_E10value_typeET2_T3_PNSL_ISQ_E10value_typeET4_jRbjT5_SW_jjP12ihipStream_tbEUlT_E1_NS1_11comp_targetILNS1_3genE5ELNS1_11target_archE942ELNS1_3gpuE9ELNS1_3repE0EEENS1_59segmented_radix_sort_warp_sort_small_config_static_selectorELNS0_4arch9wavefront6targetE0EEEvSK_
		.amdhsa_group_segment_fixed_size 0
		.amdhsa_private_segment_fixed_size 0
		.amdhsa_kernarg_size 88
		.amdhsa_user_sgpr_count 2
		.amdhsa_user_sgpr_dispatch_ptr 0
		.amdhsa_user_sgpr_queue_ptr 0
		.amdhsa_user_sgpr_kernarg_segment_ptr 1
		.amdhsa_user_sgpr_dispatch_id 0
		.amdhsa_user_sgpr_private_segment_size 0
		.amdhsa_wavefront_size32 1
		.amdhsa_uses_dynamic_stack 0
		.amdhsa_enable_private_segment 0
		.amdhsa_system_sgpr_workgroup_id_x 1
		.amdhsa_system_sgpr_workgroup_id_y 0
		.amdhsa_system_sgpr_workgroup_id_z 0
		.amdhsa_system_sgpr_workgroup_info 0
		.amdhsa_system_vgpr_workitem_id 0
		.amdhsa_next_free_vgpr 1
		.amdhsa_next_free_sgpr 1
		.amdhsa_reserve_vcc 0
		.amdhsa_float_round_mode_32 0
		.amdhsa_float_round_mode_16_64 0
		.amdhsa_float_denorm_mode_32 3
		.amdhsa_float_denorm_mode_16_64 3
		.amdhsa_fp16_overflow 0
		.amdhsa_workgroup_processor_mode 1
		.amdhsa_memory_ordered 1
		.amdhsa_forward_progress 1
		.amdhsa_inst_pref_size 0
		.amdhsa_round_robin_scheduling 0
		.amdhsa_exception_fp_ieee_invalid_op 0
		.amdhsa_exception_fp_denorm_src 0
		.amdhsa_exception_fp_ieee_div_zero 0
		.amdhsa_exception_fp_ieee_overflow 0
		.amdhsa_exception_fp_ieee_underflow 0
		.amdhsa_exception_fp_ieee_inexact 0
		.amdhsa_exception_int_div_zero 0
	.end_amdhsa_kernel
	.section	.text._ZN7rocprim17ROCPRIM_400000_NS6detail17trampoline_kernelINS0_14default_configENS1_36segmented_radix_sort_config_selectorIilEEZNS1_25segmented_radix_sort_implIS3_Lb0EPKiPiPKlPlN2at6native12_GLOBAL__N_18offset_tEEE10hipError_tPvRmT1_PNSt15iterator_traitsISK_E10value_typeET2_T3_PNSL_ISQ_E10value_typeET4_jRbjT5_SW_jjP12ihipStream_tbEUlT_E1_NS1_11comp_targetILNS1_3genE5ELNS1_11target_archE942ELNS1_3gpuE9ELNS1_3repE0EEENS1_59segmented_radix_sort_warp_sort_small_config_static_selectorELNS0_4arch9wavefront6targetE0EEEvSK_,"axG",@progbits,_ZN7rocprim17ROCPRIM_400000_NS6detail17trampoline_kernelINS0_14default_configENS1_36segmented_radix_sort_config_selectorIilEEZNS1_25segmented_radix_sort_implIS3_Lb0EPKiPiPKlPlN2at6native12_GLOBAL__N_18offset_tEEE10hipError_tPvRmT1_PNSt15iterator_traitsISK_E10value_typeET2_T3_PNSL_ISQ_E10value_typeET4_jRbjT5_SW_jjP12ihipStream_tbEUlT_E1_NS1_11comp_targetILNS1_3genE5ELNS1_11target_archE942ELNS1_3gpuE9ELNS1_3repE0EEENS1_59segmented_radix_sort_warp_sort_small_config_static_selectorELNS0_4arch9wavefront6targetE0EEEvSK_,comdat
.Lfunc_end621:
	.size	_ZN7rocprim17ROCPRIM_400000_NS6detail17trampoline_kernelINS0_14default_configENS1_36segmented_radix_sort_config_selectorIilEEZNS1_25segmented_radix_sort_implIS3_Lb0EPKiPiPKlPlN2at6native12_GLOBAL__N_18offset_tEEE10hipError_tPvRmT1_PNSt15iterator_traitsISK_E10value_typeET2_T3_PNSL_ISQ_E10value_typeET4_jRbjT5_SW_jjP12ihipStream_tbEUlT_E1_NS1_11comp_targetILNS1_3genE5ELNS1_11target_archE942ELNS1_3gpuE9ELNS1_3repE0EEENS1_59segmented_radix_sort_warp_sort_small_config_static_selectorELNS0_4arch9wavefront6targetE0EEEvSK_, .Lfunc_end621-_ZN7rocprim17ROCPRIM_400000_NS6detail17trampoline_kernelINS0_14default_configENS1_36segmented_radix_sort_config_selectorIilEEZNS1_25segmented_radix_sort_implIS3_Lb0EPKiPiPKlPlN2at6native12_GLOBAL__N_18offset_tEEE10hipError_tPvRmT1_PNSt15iterator_traitsISK_E10value_typeET2_T3_PNSL_ISQ_E10value_typeET4_jRbjT5_SW_jjP12ihipStream_tbEUlT_E1_NS1_11comp_targetILNS1_3genE5ELNS1_11target_archE942ELNS1_3gpuE9ELNS1_3repE0EEENS1_59segmented_radix_sort_warp_sort_small_config_static_selectorELNS0_4arch9wavefront6targetE0EEEvSK_
                                        ; -- End function
	.set _ZN7rocprim17ROCPRIM_400000_NS6detail17trampoline_kernelINS0_14default_configENS1_36segmented_radix_sort_config_selectorIilEEZNS1_25segmented_radix_sort_implIS3_Lb0EPKiPiPKlPlN2at6native12_GLOBAL__N_18offset_tEEE10hipError_tPvRmT1_PNSt15iterator_traitsISK_E10value_typeET2_T3_PNSL_ISQ_E10value_typeET4_jRbjT5_SW_jjP12ihipStream_tbEUlT_E1_NS1_11comp_targetILNS1_3genE5ELNS1_11target_archE942ELNS1_3gpuE9ELNS1_3repE0EEENS1_59segmented_radix_sort_warp_sort_small_config_static_selectorELNS0_4arch9wavefront6targetE0EEEvSK_.num_vgpr, 0
	.set _ZN7rocprim17ROCPRIM_400000_NS6detail17trampoline_kernelINS0_14default_configENS1_36segmented_radix_sort_config_selectorIilEEZNS1_25segmented_radix_sort_implIS3_Lb0EPKiPiPKlPlN2at6native12_GLOBAL__N_18offset_tEEE10hipError_tPvRmT1_PNSt15iterator_traitsISK_E10value_typeET2_T3_PNSL_ISQ_E10value_typeET4_jRbjT5_SW_jjP12ihipStream_tbEUlT_E1_NS1_11comp_targetILNS1_3genE5ELNS1_11target_archE942ELNS1_3gpuE9ELNS1_3repE0EEENS1_59segmented_radix_sort_warp_sort_small_config_static_selectorELNS0_4arch9wavefront6targetE0EEEvSK_.num_agpr, 0
	.set _ZN7rocprim17ROCPRIM_400000_NS6detail17trampoline_kernelINS0_14default_configENS1_36segmented_radix_sort_config_selectorIilEEZNS1_25segmented_radix_sort_implIS3_Lb0EPKiPiPKlPlN2at6native12_GLOBAL__N_18offset_tEEE10hipError_tPvRmT1_PNSt15iterator_traitsISK_E10value_typeET2_T3_PNSL_ISQ_E10value_typeET4_jRbjT5_SW_jjP12ihipStream_tbEUlT_E1_NS1_11comp_targetILNS1_3genE5ELNS1_11target_archE942ELNS1_3gpuE9ELNS1_3repE0EEENS1_59segmented_radix_sort_warp_sort_small_config_static_selectorELNS0_4arch9wavefront6targetE0EEEvSK_.numbered_sgpr, 0
	.set _ZN7rocprim17ROCPRIM_400000_NS6detail17trampoline_kernelINS0_14default_configENS1_36segmented_radix_sort_config_selectorIilEEZNS1_25segmented_radix_sort_implIS3_Lb0EPKiPiPKlPlN2at6native12_GLOBAL__N_18offset_tEEE10hipError_tPvRmT1_PNSt15iterator_traitsISK_E10value_typeET2_T3_PNSL_ISQ_E10value_typeET4_jRbjT5_SW_jjP12ihipStream_tbEUlT_E1_NS1_11comp_targetILNS1_3genE5ELNS1_11target_archE942ELNS1_3gpuE9ELNS1_3repE0EEENS1_59segmented_radix_sort_warp_sort_small_config_static_selectorELNS0_4arch9wavefront6targetE0EEEvSK_.num_named_barrier, 0
	.set _ZN7rocprim17ROCPRIM_400000_NS6detail17trampoline_kernelINS0_14default_configENS1_36segmented_radix_sort_config_selectorIilEEZNS1_25segmented_radix_sort_implIS3_Lb0EPKiPiPKlPlN2at6native12_GLOBAL__N_18offset_tEEE10hipError_tPvRmT1_PNSt15iterator_traitsISK_E10value_typeET2_T3_PNSL_ISQ_E10value_typeET4_jRbjT5_SW_jjP12ihipStream_tbEUlT_E1_NS1_11comp_targetILNS1_3genE5ELNS1_11target_archE942ELNS1_3gpuE9ELNS1_3repE0EEENS1_59segmented_radix_sort_warp_sort_small_config_static_selectorELNS0_4arch9wavefront6targetE0EEEvSK_.private_seg_size, 0
	.set _ZN7rocprim17ROCPRIM_400000_NS6detail17trampoline_kernelINS0_14default_configENS1_36segmented_radix_sort_config_selectorIilEEZNS1_25segmented_radix_sort_implIS3_Lb0EPKiPiPKlPlN2at6native12_GLOBAL__N_18offset_tEEE10hipError_tPvRmT1_PNSt15iterator_traitsISK_E10value_typeET2_T3_PNSL_ISQ_E10value_typeET4_jRbjT5_SW_jjP12ihipStream_tbEUlT_E1_NS1_11comp_targetILNS1_3genE5ELNS1_11target_archE942ELNS1_3gpuE9ELNS1_3repE0EEENS1_59segmented_radix_sort_warp_sort_small_config_static_selectorELNS0_4arch9wavefront6targetE0EEEvSK_.uses_vcc, 0
	.set _ZN7rocprim17ROCPRIM_400000_NS6detail17trampoline_kernelINS0_14default_configENS1_36segmented_radix_sort_config_selectorIilEEZNS1_25segmented_radix_sort_implIS3_Lb0EPKiPiPKlPlN2at6native12_GLOBAL__N_18offset_tEEE10hipError_tPvRmT1_PNSt15iterator_traitsISK_E10value_typeET2_T3_PNSL_ISQ_E10value_typeET4_jRbjT5_SW_jjP12ihipStream_tbEUlT_E1_NS1_11comp_targetILNS1_3genE5ELNS1_11target_archE942ELNS1_3gpuE9ELNS1_3repE0EEENS1_59segmented_radix_sort_warp_sort_small_config_static_selectorELNS0_4arch9wavefront6targetE0EEEvSK_.uses_flat_scratch, 0
	.set _ZN7rocprim17ROCPRIM_400000_NS6detail17trampoline_kernelINS0_14default_configENS1_36segmented_radix_sort_config_selectorIilEEZNS1_25segmented_radix_sort_implIS3_Lb0EPKiPiPKlPlN2at6native12_GLOBAL__N_18offset_tEEE10hipError_tPvRmT1_PNSt15iterator_traitsISK_E10value_typeET2_T3_PNSL_ISQ_E10value_typeET4_jRbjT5_SW_jjP12ihipStream_tbEUlT_E1_NS1_11comp_targetILNS1_3genE5ELNS1_11target_archE942ELNS1_3gpuE9ELNS1_3repE0EEENS1_59segmented_radix_sort_warp_sort_small_config_static_selectorELNS0_4arch9wavefront6targetE0EEEvSK_.has_dyn_sized_stack, 0
	.set _ZN7rocprim17ROCPRIM_400000_NS6detail17trampoline_kernelINS0_14default_configENS1_36segmented_radix_sort_config_selectorIilEEZNS1_25segmented_radix_sort_implIS3_Lb0EPKiPiPKlPlN2at6native12_GLOBAL__N_18offset_tEEE10hipError_tPvRmT1_PNSt15iterator_traitsISK_E10value_typeET2_T3_PNSL_ISQ_E10value_typeET4_jRbjT5_SW_jjP12ihipStream_tbEUlT_E1_NS1_11comp_targetILNS1_3genE5ELNS1_11target_archE942ELNS1_3gpuE9ELNS1_3repE0EEENS1_59segmented_radix_sort_warp_sort_small_config_static_selectorELNS0_4arch9wavefront6targetE0EEEvSK_.has_recursion, 0
	.set _ZN7rocprim17ROCPRIM_400000_NS6detail17trampoline_kernelINS0_14default_configENS1_36segmented_radix_sort_config_selectorIilEEZNS1_25segmented_radix_sort_implIS3_Lb0EPKiPiPKlPlN2at6native12_GLOBAL__N_18offset_tEEE10hipError_tPvRmT1_PNSt15iterator_traitsISK_E10value_typeET2_T3_PNSL_ISQ_E10value_typeET4_jRbjT5_SW_jjP12ihipStream_tbEUlT_E1_NS1_11comp_targetILNS1_3genE5ELNS1_11target_archE942ELNS1_3gpuE9ELNS1_3repE0EEENS1_59segmented_radix_sort_warp_sort_small_config_static_selectorELNS0_4arch9wavefront6targetE0EEEvSK_.has_indirect_call, 0
	.section	.AMDGPU.csdata,"",@progbits
; Kernel info:
; codeLenInByte = 0
; TotalNumSgprs: 0
; NumVgprs: 0
; ScratchSize: 0
; MemoryBound: 0
; FloatMode: 240
; IeeeMode: 1
; LDSByteSize: 0 bytes/workgroup (compile time only)
; SGPRBlocks: 0
; VGPRBlocks: 0
; NumSGPRsForWavesPerEU: 1
; NumVGPRsForWavesPerEU: 1
; Occupancy: 16
; WaveLimiterHint : 0
; COMPUTE_PGM_RSRC2:SCRATCH_EN: 0
; COMPUTE_PGM_RSRC2:USER_SGPR: 2
; COMPUTE_PGM_RSRC2:TRAP_HANDLER: 0
; COMPUTE_PGM_RSRC2:TGID_X_EN: 1
; COMPUTE_PGM_RSRC2:TGID_Y_EN: 0
; COMPUTE_PGM_RSRC2:TGID_Z_EN: 0
; COMPUTE_PGM_RSRC2:TIDIG_COMP_CNT: 0
	.section	.text._ZN7rocprim17ROCPRIM_400000_NS6detail17trampoline_kernelINS0_14default_configENS1_36segmented_radix_sort_config_selectorIilEEZNS1_25segmented_radix_sort_implIS3_Lb0EPKiPiPKlPlN2at6native12_GLOBAL__N_18offset_tEEE10hipError_tPvRmT1_PNSt15iterator_traitsISK_E10value_typeET2_T3_PNSL_ISQ_E10value_typeET4_jRbjT5_SW_jjP12ihipStream_tbEUlT_E1_NS1_11comp_targetILNS1_3genE4ELNS1_11target_archE910ELNS1_3gpuE8ELNS1_3repE0EEENS1_59segmented_radix_sort_warp_sort_small_config_static_selectorELNS0_4arch9wavefront6targetE0EEEvSK_,"axG",@progbits,_ZN7rocprim17ROCPRIM_400000_NS6detail17trampoline_kernelINS0_14default_configENS1_36segmented_radix_sort_config_selectorIilEEZNS1_25segmented_radix_sort_implIS3_Lb0EPKiPiPKlPlN2at6native12_GLOBAL__N_18offset_tEEE10hipError_tPvRmT1_PNSt15iterator_traitsISK_E10value_typeET2_T3_PNSL_ISQ_E10value_typeET4_jRbjT5_SW_jjP12ihipStream_tbEUlT_E1_NS1_11comp_targetILNS1_3genE4ELNS1_11target_archE910ELNS1_3gpuE8ELNS1_3repE0EEENS1_59segmented_radix_sort_warp_sort_small_config_static_selectorELNS0_4arch9wavefront6targetE0EEEvSK_,comdat
	.globl	_ZN7rocprim17ROCPRIM_400000_NS6detail17trampoline_kernelINS0_14default_configENS1_36segmented_radix_sort_config_selectorIilEEZNS1_25segmented_radix_sort_implIS3_Lb0EPKiPiPKlPlN2at6native12_GLOBAL__N_18offset_tEEE10hipError_tPvRmT1_PNSt15iterator_traitsISK_E10value_typeET2_T3_PNSL_ISQ_E10value_typeET4_jRbjT5_SW_jjP12ihipStream_tbEUlT_E1_NS1_11comp_targetILNS1_3genE4ELNS1_11target_archE910ELNS1_3gpuE8ELNS1_3repE0EEENS1_59segmented_radix_sort_warp_sort_small_config_static_selectorELNS0_4arch9wavefront6targetE0EEEvSK_ ; -- Begin function _ZN7rocprim17ROCPRIM_400000_NS6detail17trampoline_kernelINS0_14default_configENS1_36segmented_radix_sort_config_selectorIilEEZNS1_25segmented_radix_sort_implIS3_Lb0EPKiPiPKlPlN2at6native12_GLOBAL__N_18offset_tEEE10hipError_tPvRmT1_PNSt15iterator_traitsISK_E10value_typeET2_T3_PNSL_ISQ_E10value_typeET4_jRbjT5_SW_jjP12ihipStream_tbEUlT_E1_NS1_11comp_targetILNS1_3genE4ELNS1_11target_archE910ELNS1_3gpuE8ELNS1_3repE0EEENS1_59segmented_radix_sort_warp_sort_small_config_static_selectorELNS0_4arch9wavefront6targetE0EEEvSK_
	.p2align	8
	.type	_ZN7rocprim17ROCPRIM_400000_NS6detail17trampoline_kernelINS0_14default_configENS1_36segmented_radix_sort_config_selectorIilEEZNS1_25segmented_radix_sort_implIS3_Lb0EPKiPiPKlPlN2at6native12_GLOBAL__N_18offset_tEEE10hipError_tPvRmT1_PNSt15iterator_traitsISK_E10value_typeET2_T3_PNSL_ISQ_E10value_typeET4_jRbjT5_SW_jjP12ihipStream_tbEUlT_E1_NS1_11comp_targetILNS1_3genE4ELNS1_11target_archE910ELNS1_3gpuE8ELNS1_3repE0EEENS1_59segmented_radix_sort_warp_sort_small_config_static_selectorELNS0_4arch9wavefront6targetE0EEEvSK_,@function
_ZN7rocprim17ROCPRIM_400000_NS6detail17trampoline_kernelINS0_14default_configENS1_36segmented_radix_sort_config_selectorIilEEZNS1_25segmented_radix_sort_implIS3_Lb0EPKiPiPKlPlN2at6native12_GLOBAL__N_18offset_tEEE10hipError_tPvRmT1_PNSt15iterator_traitsISK_E10value_typeET2_T3_PNSL_ISQ_E10value_typeET4_jRbjT5_SW_jjP12ihipStream_tbEUlT_E1_NS1_11comp_targetILNS1_3genE4ELNS1_11target_archE910ELNS1_3gpuE8ELNS1_3repE0EEENS1_59segmented_radix_sort_warp_sort_small_config_static_selectorELNS0_4arch9wavefront6targetE0EEEvSK_: ; @_ZN7rocprim17ROCPRIM_400000_NS6detail17trampoline_kernelINS0_14default_configENS1_36segmented_radix_sort_config_selectorIilEEZNS1_25segmented_radix_sort_implIS3_Lb0EPKiPiPKlPlN2at6native12_GLOBAL__N_18offset_tEEE10hipError_tPvRmT1_PNSt15iterator_traitsISK_E10value_typeET2_T3_PNSL_ISQ_E10value_typeET4_jRbjT5_SW_jjP12ihipStream_tbEUlT_E1_NS1_11comp_targetILNS1_3genE4ELNS1_11target_archE910ELNS1_3gpuE8ELNS1_3repE0EEENS1_59segmented_radix_sort_warp_sort_small_config_static_selectorELNS0_4arch9wavefront6targetE0EEEvSK_
; %bb.0:
	.section	.rodata,"a",@progbits
	.p2align	6, 0x0
	.amdhsa_kernel _ZN7rocprim17ROCPRIM_400000_NS6detail17trampoline_kernelINS0_14default_configENS1_36segmented_radix_sort_config_selectorIilEEZNS1_25segmented_radix_sort_implIS3_Lb0EPKiPiPKlPlN2at6native12_GLOBAL__N_18offset_tEEE10hipError_tPvRmT1_PNSt15iterator_traitsISK_E10value_typeET2_T3_PNSL_ISQ_E10value_typeET4_jRbjT5_SW_jjP12ihipStream_tbEUlT_E1_NS1_11comp_targetILNS1_3genE4ELNS1_11target_archE910ELNS1_3gpuE8ELNS1_3repE0EEENS1_59segmented_radix_sort_warp_sort_small_config_static_selectorELNS0_4arch9wavefront6targetE0EEEvSK_
		.amdhsa_group_segment_fixed_size 0
		.amdhsa_private_segment_fixed_size 0
		.amdhsa_kernarg_size 88
		.amdhsa_user_sgpr_count 2
		.amdhsa_user_sgpr_dispatch_ptr 0
		.amdhsa_user_sgpr_queue_ptr 0
		.amdhsa_user_sgpr_kernarg_segment_ptr 1
		.amdhsa_user_sgpr_dispatch_id 0
		.amdhsa_user_sgpr_private_segment_size 0
		.amdhsa_wavefront_size32 1
		.amdhsa_uses_dynamic_stack 0
		.amdhsa_enable_private_segment 0
		.amdhsa_system_sgpr_workgroup_id_x 1
		.amdhsa_system_sgpr_workgroup_id_y 0
		.amdhsa_system_sgpr_workgroup_id_z 0
		.amdhsa_system_sgpr_workgroup_info 0
		.amdhsa_system_vgpr_workitem_id 0
		.amdhsa_next_free_vgpr 1
		.amdhsa_next_free_sgpr 1
		.amdhsa_reserve_vcc 0
		.amdhsa_float_round_mode_32 0
		.amdhsa_float_round_mode_16_64 0
		.amdhsa_float_denorm_mode_32 3
		.amdhsa_float_denorm_mode_16_64 3
		.amdhsa_fp16_overflow 0
		.amdhsa_workgroup_processor_mode 1
		.amdhsa_memory_ordered 1
		.amdhsa_forward_progress 1
		.amdhsa_inst_pref_size 0
		.amdhsa_round_robin_scheduling 0
		.amdhsa_exception_fp_ieee_invalid_op 0
		.amdhsa_exception_fp_denorm_src 0
		.amdhsa_exception_fp_ieee_div_zero 0
		.amdhsa_exception_fp_ieee_overflow 0
		.amdhsa_exception_fp_ieee_underflow 0
		.amdhsa_exception_fp_ieee_inexact 0
		.amdhsa_exception_int_div_zero 0
	.end_amdhsa_kernel
	.section	.text._ZN7rocprim17ROCPRIM_400000_NS6detail17trampoline_kernelINS0_14default_configENS1_36segmented_radix_sort_config_selectorIilEEZNS1_25segmented_radix_sort_implIS3_Lb0EPKiPiPKlPlN2at6native12_GLOBAL__N_18offset_tEEE10hipError_tPvRmT1_PNSt15iterator_traitsISK_E10value_typeET2_T3_PNSL_ISQ_E10value_typeET4_jRbjT5_SW_jjP12ihipStream_tbEUlT_E1_NS1_11comp_targetILNS1_3genE4ELNS1_11target_archE910ELNS1_3gpuE8ELNS1_3repE0EEENS1_59segmented_radix_sort_warp_sort_small_config_static_selectorELNS0_4arch9wavefront6targetE0EEEvSK_,"axG",@progbits,_ZN7rocprim17ROCPRIM_400000_NS6detail17trampoline_kernelINS0_14default_configENS1_36segmented_radix_sort_config_selectorIilEEZNS1_25segmented_radix_sort_implIS3_Lb0EPKiPiPKlPlN2at6native12_GLOBAL__N_18offset_tEEE10hipError_tPvRmT1_PNSt15iterator_traitsISK_E10value_typeET2_T3_PNSL_ISQ_E10value_typeET4_jRbjT5_SW_jjP12ihipStream_tbEUlT_E1_NS1_11comp_targetILNS1_3genE4ELNS1_11target_archE910ELNS1_3gpuE8ELNS1_3repE0EEENS1_59segmented_radix_sort_warp_sort_small_config_static_selectorELNS0_4arch9wavefront6targetE0EEEvSK_,comdat
.Lfunc_end622:
	.size	_ZN7rocprim17ROCPRIM_400000_NS6detail17trampoline_kernelINS0_14default_configENS1_36segmented_radix_sort_config_selectorIilEEZNS1_25segmented_radix_sort_implIS3_Lb0EPKiPiPKlPlN2at6native12_GLOBAL__N_18offset_tEEE10hipError_tPvRmT1_PNSt15iterator_traitsISK_E10value_typeET2_T3_PNSL_ISQ_E10value_typeET4_jRbjT5_SW_jjP12ihipStream_tbEUlT_E1_NS1_11comp_targetILNS1_3genE4ELNS1_11target_archE910ELNS1_3gpuE8ELNS1_3repE0EEENS1_59segmented_radix_sort_warp_sort_small_config_static_selectorELNS0_4arch9wavefront6targetE0EEEvSK_, .Lfunc_end622-_ZN7rocprim17ROCPRIM_400000_NS6detail17trampoline_kernelINS0_14default_configENS1_36segmented_radix_sort_config_selectorIilEEZNS1_25segmented_radix_sort_implIS3_Lb0EPKiPiPKlPlN2at6native12_GLOBAL__N_18offset_tEEE10hipError_tPvRmT1_PNSt15iterator_traitsISK_E10value_typeET2_T3_PNSL_ISQ_E10value_typeET4_jRbjT5_SW_jjP12ihipStream_tbEUlT_E1_NS1_11comp_targetILNS1_3genE4ELNS1_11target_archE910ELNS1_3gpuE8ELNS1_3repE0EEENS1_59segmented_radix_sort_warp_sort_small_config_static_selectorELNS0_4arch9wavefront6targetE0EEEvSK_
                                        ; -- End function
	.set _ZN7rocprim17ROCPRIM_400000_NS6detail17trampoline_kernelINS0_14default_configENS1_36segmented_radix_sort_config_selectorIilEEZNS1_25segmented_radix_sort_implIS3_Lb0EPKiPiPKlPlN2at6native12_GLOBAL__N_18offset_tEEE10hipError_tPvRmT1_PNSt15iterator_traitsISK_E10value_typeET2_T3_PNSL_ISQ_E10value_typeET4_jRbjT5_SW_jjP12ihipStream_tbEUlT_E1_NS1_11comp_targetILNS1_3genE4ELNS1_11target_archE910ELNS1_3gpuE8ELNS1_3repE0EEENS1_59segmented_radix_sort_warp_sort_small_config_static_selectorELNS0_4arch9wavefront6targetE0EEEvSK_.num_vgpr, 0
	.set _ZN7rocprim17ROCPRIM_400000_NS6detail17trampoline_kernelINS0_14default_configENS1_36segmented_radix_sort_config_selectorIilEEZNS1_25segmented_radix_sort_implIS3_Lb0EPKiPiPKlPlN2at6native12_GLOBAL__N_18offset_tEEE10hipError_tPvRmT1_PNSt15iterator_traitsISK_E10value_typeET2_T3_PNSL_ISQ_E10value_typeET4_jRbjT5_SW_jjP12ihipStream_tbEUlT_E1_NS1_11comp_targetILNS1_3genE4ELNS1_11target_archE910ELNS1_3gpuE8ELNS1_3repE0EEENS1_59segmented_radix_sort_warp_sort_small_config_static_selectorELNS0_4arch9wavefront6targetE0EEEvSK_.num_agpr, 0
	.set _ZN7rocprim17ROCPRIM_400000_NS6detail17trampoline_kernelINS0_14default_configENS1_36segmented_radix_sort_config_selectorIilEEZNS1_25segmented_radix_sort_implIS3_Lb0EPKiPiPKlPlN2at6native12_GLOBAL__N_18offset_tEEE10hipError_tPvRmT1_PNSt15iterator_traitsISK_E10value_typeET2_T3_PNSL_ISQ_E10value_typeET4_jRbjT5_SW_jjP12ihipStream_tbEUlT_E1_NS1_11comp_targetILNS1_3genE4ELNS1_11target_archE910ELNS1_3gpuE8ELNS1_3repE0EEENS1_59segmented_radix_sort_warp_sort_small_config_static_selectorELNS0_4arch9wavefront6targetE0EEEvSK_.numbered_sgpr, 0
	.set _ZN7rocprim17ROCPRIM_400000_NS6detail17trampoline_kernelINS0_14default_configENS1_36segmented_radix_sort_config_selectorIilEEZNS1_25segmented_radix_sort_implIS3_Lb0EPKiPiPKlPlN2at6native12_GLOBAL__N_18offset_tEEE10hipError_tPvRmT1_PNSt15iterator_traitsISK_E10value_typeET2_T3_PNSL_ISQ_E10value_typeET4_jRbjT5_SW_jjP12ihipStream_tbEUlT_E1_NS1_11comp_targetILNS1_3genE4ELNS1_11target_archE910ELNS1_3gpuE8ELNS1_3repE0EEENS1_59segmented_radix_sort_warp_sort_small_config_static_selectorELNS0_4arch9wavefront6targetE0EEEvSK_.num_named_barrier, 0
	.set _ZN7rocprim17ROCPRIM_400000_NS6detail17trampoline_kernelINS0_14default_configENS1_36segmented_radix_sort_config_selectorIilEEZNS1_25segmented_radix_sort_implIS3_Lb0EPKiPiPKlPlN2at6native12_GLOBAL__N_18offset_tEEE10hipError_tPvRmT1_PNSt15iterator_traitsISK_E10value_typeET2_T3_PNSL_ISQ_E10value_typeET4_jRbjT5_SW_jjP12ihipStream_tbEUlT_E1_NS1_11comp_targetILNS1_3genE4ELNS1_11target_archE910ELNS1_3gpuE8ELNS1_3repE0EEENS1_59segmented_radix_sort_warp_sort_small_config_static_selectorELNS0_4arch9wavefront6targetE0EEEvSK_.private_seg_size, 0
	.set _ZN7rocprim17ROCPRIM_400000_NS6detail17trampoline_kernelINS0_14default_configENS1_36segmented_radix_sort_config_selectorIilEEZNS1_25segmented_radix_sort_implIS3_Lb0EPKiPiPKlPlN2at6native12_GLOBAL__N_18offset_tEEE10hipError_tPvRmT1_PNSt15iterator_traitsISK_E10value_typeET2_T3_PNSL_ISQ_E10value_typeET4_jRbjT5_SW_jjP12ihipStream_tbEUlT_E1_NS1_11comp_targetILNS1_3genE4ELNS1_11target_archE910ELNS1_3gpuE8ELNS1_3repE0EEENS1_59segmented_radix_sort_warp_sort_small_config_static_selectorELNS0_4arch9wavefront6targetE0EEEvSK_.uses_vcc, 0
	.set _ZN7rocprim17ROCPRIM_400000_NS6detail17trampoline_kernelINS0_14default_configENS1_36segmented_radix_sort_config_selectorIilEEZNS1_25segmented_radix_sort_implIS3_Lb0EPKiPiPKlPlN2at6native12_GLOBAL__N_18offset_tEEE10hipError_tPvRmT1_PNSt15iterator_traitsISK_E10value_typeET2_T3_PNSL_ISQ_E10value_typeET4_jRbjT5_SW_jjP12ihipStream_tbEUlT_E1_NS1_11comp_targetILNS1_3genE4ELNS1_11target_archE910ELNS1_3gpuE8ELNS1_3repE0EEENS1_59segmented_radix_sort_warp_sort_small_config_static_selectorELNS0_4arch9wavefront6targetE0EEEvSK_.uses_flat_scratch, 0
	.set _ZN7rocprim17ROCPRIM_400000_NS6detail17trampoline_kernelINS0_14default_configENS1_36segmented_radix_sort_config_selectorIilEEZNS1_25segmented_radix_sort_implIS3_Lb0EPKiPiPKlPlN2at6native12_GLOBAL__N_18offset_tEEE10hipError_tPvRmT1_PNSt15iterator_traitsISK_E10value_typeET2_T3_PNSL_ISQ_E10value_typeET4_jRbjT5_SW_jjP12ihipStream_tbEUlT_E1_NS1_11comp_targetILNS1_3genE4ELNS1_11target_archE910ELNS1_3gpuE8ELNS1_3repE0EEENS1_59segmented_radix_sort_warp_sort_small_config_static_selectorELNS0_4arch9wavefront6targetE0EEEvSK_.has_dyn_sized_stack, 0
	.set _ZN7rocprim17ROCPRIM_400000_NS6detail17trampoline_kernelINS0_14default_configENS1_36segmented_radix_sort_config_selectorIilEEZNS1_25segmented_radix_sort_implIS3_Lb0EPKiPiPKlPlN2at6native12_GLOBAL__N_18offset_tEEE10hipError_tPvRmT1_PNSt15iterator_traitsISK_E10value_typeET2_T3_PNSL_ISQ_E10value_typeET4_jRbjT5_SW_jjP12ihipStream_tbEUlT_E1_NS1_11comp_targetILNS1_3genE4ELNS1_11target_archE910ELNS1_3gpuE8ELNS1_3repE0EEENS1_59segmented_radix_sort_warp_sort_small_config_static_selectorELNS0_4arch9wavefront6targetE0EEEvSK_.has_recursion, 0
	.set _ZN7rocprim17ROCPRIM_400000_NS6detail17trampoline_kernelINS0_14default_configENS1_36segmented_radix_sort_config_selectorIilEEZNS1_25segmented_radix_sort_implIS3_Lb0EPKiPiPKlPlN2at6native12_GLOBAL__N_18offset_tEEE10hipError_tPvRmT1_PNSt15iterator_traitsISK_E10value_typeET2_T3_PNSL_ISQ_E10value_typeET4_jRbjT5_SW_jjP12ihipStream_tbEUlT_E1_NS1_11comp_targetILNS1_3genE4ELNS1_11target_archE910ELNS1_3gpuE8ELNS1_3repE0EEENS1_59segmented_radix_sort_warp_sort_small_config_static_selectorELNS0_4arch9wavefront6targetE0EEEvSK_.has_indirect_call, 0
	.section	.AMDGPU.csdata,"",@progbits
; Kernel info:
; codeLenInByte = 0
; TotalNumSgprs: 0
; NumVgprs: 0
; ScratchSize: 0
; MemoryBound: 0
; FloatMode: 240
; IeeeMode: 1
; LDSByteSize: 0 bytes/workgroup (compile time only)
; SGPRBlocks: 0
; VGPRBlocks: 0
; NumSGPRsForWavesPerEU: 1
; NumVGPRsForWavesPerEU: 1
; Occupancy: 16
; WaveLimiterHint : 0
; COMPUTE_PGM_RSRC2:SCRATCH_EN: 0
; COMPUTE_PGM_RSRC2:USER_SGPR: 2
; COMPUTE_PGM_RSRC2:TRAP_HANDLER: 0
; COMPUTE_PGM_RSRC2:TGID_X_EN: 1
; COMPUTE_PGM_RSRC2:TGID_Y_EN: 0
; COMPUTE_PGM_RSRC2:TGID_Z_EN: 0
; COMPUTE_PGM_RSRC2:TIDIG_COMP_CNT: 0
	.section	.text._ZN7rocprim17ROCPRIM_400000_NS6detail17trampoline_kernelINS0_14default_configENS1_36segmented_radix_sort_config_selectorIilEEZNS1_25segmented_radix_sort_implIS3_Lb0EPKiPiPKlPlN2at6native12_GLOBAL__N_18offset_tEEE10hipError_tPvRmT1_PNSt15iterator_traitsISK_E10value_typeET2_T3_PNSL_ISQ_E10value_typeET4_jRbjT5_SW_jjP12ihipStream_tbEUlT_E1_NS1_11comp_targetILNS1_3genE3ELNS1_11target_archE908ELNS1_3gpuE7ELNS1_3repE0EEENS1_59segmented_radix_sort_warp_sort_small_config_static_selectorELNS0_4arch9wavefront6targetE0EEEvSK_,"axG",@progbits,_ZN7rocprim17ROCPRIM_400000_NS6detail17trampoline_kernelINS0_14default_configENS1_36segmented_radix_sort_config_selectorIilEEZNS1_25segmented_radix_sort_implIS3_Lb0EPKiPiPKlPlN2at6native12_GLOBAL__N_18offset_tEEE10hipError_tPvRmT1_PNSt15iterator_traitsISK_E10value_typeET2_T3_PNSL_ISQ_E10value_typeET4_jRbjT5_SW_jjP12ihipStream_tbEUlT_E1_NS1_11comp_targetILNS1_3genE3ELNS1_11target_archE908ELNS1_3gpuE7ELNS1_3repE0EEENS1_59segmented_radix_sort_warp_sort_small_config_static_selectorELNS0_4arch9wavefront6targetE0EEEvSK_,comdat
	.globl	_ZN7rocprim17ROCPRIM_400000_NS6detail17trampoline_kernelINS0_14default_configENS1_36segmented_radix_sort_config_selectorIilEEZNS1_25segmented_radix_sort_implIS3_Lb0EPKiPiPKlPlN2at6native12_GLOBAL__N_18offset_tEEE10hipError_tPvRmT1_PNSt15iterator_traitsISK_E10value_typeET2_T3_PNSL_ISQ_E10value_typeET4_jRbjT5_SW_jjP12ihipStream_tbEUlT_E1_NS1_11comp_targetILNS1_3genE3ELNS1_11target_archE908ELNS1_3gpuE7ELNS1_3repE0EEENS1_59segmented_radix_sort_warp_sort_small_config_static_selectorELNS0_4arch9wavefront6targetE0EEEvSK_ ; -- Begin function _ZN7rocprim17ROCPRIM_400000_NS6detail17trampoline_kernelINS0_14default_configENS1_36segmented_radix_sort_config_selectorIilEEZNS1_25segmented_radix_sort_implIS3_Lb0EPKiPiPKlPlN2at6native12_GLOBAL__N_18offset_tEEE10hipError_tPvRmT1_PNSt15iterator_traitsISK_E10value_typeET2_T3_PNSL_ISQ_E10value_typeET4_jRbjT5_SW_jjP12ihipStream_tbEUlT_E1_NS1_11comp_targetILNS1_3genE3ELNS1_11target_archE908ELNS1_3gpuE7ELNS1_3repE0EEENS1_59segmented_radix_sort_warp_sort_small_config_static_selectorELNS0_4arch9wavefront6targetE0EEEvSK_
	.p2align	8
	.type	_ZN7rocprim17ROCPRIM_400000_NS6detail17trampoline_kernelINS0_14default_configENS1_36segmented_radix_sort_config_selectorIilEEZNS1_25segmented_radix_sort_implIS3_Lb0EPKiPiPKlPlN2at6native12_GLOBAL__N_18offset_tEEE10hipError_tPvRmT1_PNSt15iterator_traitsISK_E10value_typeET2_T3_PNSL_ISQ_E10value_typeET4_jRbjT5_SW_jjP12ihipStream_tbEUlT_E1_NS1_11comp_targetILNS1_3genE3ELNS1_11target_archE908ELNS1_3gpuE7ELNS1_3repE0EEENS1_59segmented_radix_sort_warp_sort_small_config_static_selectorELNS0_4arch9wavefront6targetE0EEEvSK_,@function
_ZN7rocprim17ROCPRIM_400000_NS6detail17trampoline_kernelINS0_14default_configENS1_36segmented_radix_sort_config_selectorIilEEZNS1_25segmented_radix_sort_implIS3_Lb0EPKiPiPKlPlN2at6native12_GLOBAL__N_18offset_tEEE10hipError_tPvRmT1_PNSt15iterator_traitsISK_E10value_typeET2_T3_PNSL_ISQ_E10value_typeET4_jRbjT5_SW_jjP12ihipStream_tbEUlT_E1_NS1_11comp_targetILNS1_3genE3ELNS1_11target_archE908ELNS1_3gpuE7ELNS1_3repE0EEENS1_59segmented_radix_sort_warp_sort_small_config_static_selectorELNS0_4arch9wavefront6targetE0EEEvSK_: ; @_ZN7rocprim17ROCPRIM_400000_NS6detail17trampoline_kernelINS0_14default_configENS1_36segmented_radix_sort_config_selectorIilEEZNS1_25segmented_radix_sort_implIS3_Lb0EPKiPiPKlPlN2at6native12_GLOBAL__N_18offset_tEEE10hipError_tPvRmT1_PNSt15iterator_traitsISK_E10value_typeET2_T3_PNSL_ISQ_E10value_typeET4_jRbjT5_SW_jjP12ihipStream_tbEUlT_E1_NS1_11comp_targetILNS1_3genE3ELNS1_11target_archE908ELNS1_3gpuE7ELNS1_3repE0EEENS1_59segmented_radix_sort_warp_sort_small_config_static_selectorELNS0_4arch9wavefront6targetE0EEEvSK_
; %bb.0:
	.section	.rodata,"a",@progbits
	.p2align	6, 0x0
	.amdhsa_kernel _ZN7rocprim17ROCPRIM_400000_NS6detail17trampoline_kernelINS0_14default_configENS1_36segmented_radix_sort_config_selectorIilEEZNS1_25segmented_radix_sort_implIS3_Lb0EPKiPiPKlPlN2at6native12_GLOBAL__N_18offset_tEEE10hipError_tPvRmT1_PNSt15iterator_traitsISK_E10value_typeET2_T3_PNSL_ISQ_E10value_typeET4_jRbjT5_SW_jjP12ihipStream_tbEUlT_E1_NS1_11comp_targetILNS1_3genE3ELNS1_11target_archE908ELNS1_3gpuE7ELNS1_3repE0EEENS1_59segmented_radix_sort_warp_sort_small_config_static_selectorELNS0_4arch9wavefront6targetE0EEEvSK_
		.amdhsa_group_segment_fixed_size 0
		.amdhsa_private_segment_fixed_size 0
		.amdhsa_kernarg_size 88
		.amdhsa_user_sgpr_count 2
		.amdhsa_user_sgpr_dispatch_ptr 0
		.amdhsa_user_sgpr_queue_ptr 0
		.amdhsa_user_sgpr_kernarg_segment_ptr 1
		.amdhsa_user_sgpr_dispatch_id 0
		.amdhsa_user_sgpr_private_segment_size 0
		.amdhsa_wavefront_size32 1
		.amdhsa_uses_dynamic_stack 0
		.amdhsa_enable_private_segment 0
		.amdhsa_system_sgpr_workgroup_id_x 1
		.amdhsa_system_sgpr_workgroup_id_y 0
		.amdhsa_system_sgpr_workgroup_id_z 0
		.amdhsa_system_sgpr_workgroup_info 0
		.amdhsa_system_vgpr_workitem_id 0
		.amdhsa_next_free_vgpr 1
		.amdhsa_next_free_sgpr 1
		.amdhsa_reserve_vcc 0
		.amdhsa_float_round_mode_32 0
		.amdhsa_float_round_mode_16_64 0
		.amdhsa_float_denorm_mode_32 3
		.amdhsa_float_denorm_mode_16_64 3
		.amdhsa_fp16_overflow 0
		.amdhsa_workgroup_processor_mode 1
		.amdhsa_memory_ordered 1
		.amdhsa_forward_progress 1
		.amdhsa_inst_pref_size 0
		.amdhsa_round_robin_scheduling 0
		.amdhsa_exception_fp_ieee_invalid_op 0
		.amdhsa_exception_fp_denorm_src 0
		.amdhsa_exception_fp_ieee_div_zero 0
		.amdhsa_exception_fp_ieee_overflow 0
		.amdhsa_exception_fp_ieee_underflow 0
		.amdhsa_exception_fp_ieee_inexact 0
		.amdhsa_exception_int_div_zero 0
	.end_amdhsa_kernel
	.section	.text._ZN7rocprim17ROCPRIM_400000_NS6detail17trampoline_kernelINS0_14default_configENS1_36segmented_radix_sort_config_selectorIilEEZNS1_25segmented_radix_sort_implIS3_Lb0EPKiPiPKlPlN2at6native12_GLOBAL__N_18offset_tEEE10hipError_tPvRmT1_PNSt15iterator_traitsISK_E10value_typeET2_T3_PNSL_ISQ_E10value_typeET4_jRbjT5_SW_jjP12ihipStream_tbEUlT_E1_NS1_11comp_targetILNS1_3genE3ELNS1_11target_archE908ELNS1_3gpuE7ELNS1_3repE0EEENS1_59segmented_radix_sort_warp_sort_small_config_static_selectorELNS0_4arch9wavefront6targetE0EEEvSK_,"axG",@progbits,_ZN7rocprim17ROCPRIM_400000_NS6detail17trampoline_kernelINS0_14default_configENS1_36segmented_radix_sort_config_selectorIilEEZNS1_25segmented_radix_sort_implIS3_Lb0EPKiPiPKlPlN2at6native12_GLOBAL__N_18offset_tEEE10hipError_tPvRmT1_PNSt15iterator_traitsISK_E10value_typeET2_T3_PNSL_ISQ_E10value_typeET4_jRbjT5_SW_jjP12ihipStream_tbEUlT_E1_NS1_11comp_targetILNS1_3genE3ELNS1_11target_archE908ELNS1_3gpuE7ELNS1_3repE0EEENS1_59segmented_radix_sort_warp_sort_small_config_static_selectorELNS0_4arch9wavefront6targetE0EEEvSK_,comdat
.Lfunc_end623:
	.size	_ZN7rocprim17ROCPRIM_400000_NS6detail17trampoline_kernelINS0_14default_configENS1_36segmented_radix_sort_config_selectorIilEEZNS1_25segmented_radix_sort_implIS3_Lb0EPKiPiPKlPlN2at6native12_GLOBAL__N_18offset_tEEE10hipError_tPvRmT1_PNSt15iterator_traitsISK_E10value_typeET2_T3_PNSL_ISQ_E10value_typeET4_jRbjT5_SW_jjP12ihipStream_tbEUlT_E1_NS1_11comp_targetILNS1_3genE3ELNS1_11target_archE908ELNS1_3gpuE7ELNS1_3repE0EEENS1_59segmented_radix_sort_warp_sort_small_config_static_selectorELNS0_4arch9wavefront6targetE0EEEvSK_, .Lfunc_end623-_ZN7rocprim17ROCPRIM_400000_NS6detail17trampoline_kernelINS0_14default_configENS1_36segmented_radix_sort_config_selectorIilEEZNS1_25segmented_radix_sort_implIS3_Lb0EPKiPiPKlPlN2at6native12_GLOBAL__N_18offset_tEEE10hipError_tPvRmT1_PNSt15iterator_traitsISK_E10value_typeET2_T3_PNSL_ISQ_E10value_typeET4_jRbjT5_SW_jjP12ihipStream_tbEUlT_E1_NS1_11comp_targetILNS1_3genE3ELNS1_11target_archE908ELNS1_3gpuE7ELNS1_3repE0EEENS1_59segmented_radix_sort_warp_sort_small_config_static_selectorELNS0_4arch9wavefront6targetE0EEEvSK_
                                        ; -- End function
	.set _ZN7rocprim17ROCPRIM_400000_NS6detail17trampoline_kernelINS0_14default_configENS1_36segmented_radix_sort_config_selectorIilEEZNS1_25segmented_radix_sort_implIS3_Lb0EPKiPiPKlPlN2at6native12_GLOBAL__N_18offset_tEEE10hipError_tPvRmT1_PNSt15iterator_traitsISK_E10value_typeET2_T3_PNSL_ISQ_E10value_typeET4_jRbjT5_SW_jjP12ihipStream_tbEUlT_E1_NS1_11comp_targetILNS1_3genE3ELNS1_11target_archE908ELNS1_3gpuE7ELNS1_3repE0EEENS1_59segmented_radix_sort_warp_sort_small_config_static_selectorELNS0_4arch9wavefront6targetE0EEEvSK_.num_vgpr, 0
	.set _ZN7rocprim17ROCPRIM_400000_NS6detail17trampoline_kernelINS0_14default_configENS1_36segmented_radix_sort_config_selectorIilEEZNS1_25segmented_radix_sort_implIS3_Lb0EPKiPiPKlPlN2at6native12_GLOBAL__N_18offset_tEEE10hipError_tPvRmT1_PNSt15iterator_traitsISK_E10value_typeET2_T3_PNSL_ISQ_E10value_typeET4_jRbjT5_SW_jjP12ihipStream_tbEUlT_E1_NS1_11comp_targetILNS1_3genE3ELNS1_11target_archE908ELNS1_3gpuE7ELNS1_3repE0EEENS1_59segmented_radix_sort_warp_sort_small_config_static_selectorELNS0_4arch9wavefront6targetE0EEEvSK_.num_agpr, 0
	.set _ZN7rocprim17ROCPRIM_400000_NS6detail17trampoline_kernelINS0_14default_configENS1_36segmented_radix_sort_config_selectorIilEEZNS1_25segmented_radix_sort_implIS3_Lb0EPKiPiPKlPlN2at6native12_GLOBAL__N_18offset_tEEE10hipError_tPvRmT1_PNSt15iterator_traitsISK_E10value_typeET2_T3_PNSL_ISQ_E10value_typeET4_jRbjT5_SW_jjP12ihipStream_tbEUlT_E1_NS1_11comp_targetILNS1_3genE3ELNS1_11target_archE908ELNS1_3gpuE7ELNS1_3repE0EEENS1_59segmented_radix_sort_warp_sort_small_config_static_selectorELNS0_4arch9wavefront6targetE0EEEvSK_.numbered_sgpr, 0
	.set _ZN7rocprim17ROCPRIM_400000_NS6detail17trampoline_kernelINS0_14default_configENS1_36segmented_radix_sort_config_selectorIilEEZNS1_25segmented_radix_sort_implIS3_Lb0EPKiPiPKlPlN2at6native12_GLOBAL__N_18offset_tEEE10hipError_tPvRmT1_PNSt15iterator_traitsISK_E10value_typeET2_T3_PNSL_ISQ_E10value_typeET4_jRbjT5_SW_jjP12ihipStream_tbEUlT_E1_NS1_11comp_targetILNS1_3genE3ELNS1_11target_archE908ELNS1_3gpuE7ELNS1_3repE0EEENS1_59segmented_radix_sort_warp_sort_small_config_static_selectorELNS0_4arch9wavefront6targetE0EEEvSK_.num_named_barrier, 0
	.set _ZN7rocprim17ROCPRIM_400000_NS6detail17trampoline_kernelINS0_14default_configENS1_36segmented_radix_sort_config_selectorIilEEZNS1_25segmented_radix_sort_implIS3_Lb0EPKiPiPKlPlN2at6native12_GLOBAL__N_18offset_tEEE10hipError_tPvRmT1_PNSt15iterator_traitsISK_E10value_typeET2_T3_PNSL_ISQ_E10value_typeET4_jRbjT5_SW_jjP12ihipStream_tbEUlT_E1_NS1_11comp_targetILNS1_3genE3ELNS1_11target_archE908ELNS1_3gpuE7ELNS1_3repE0EEENS1_59segmented_radix_sort_warp_sort_small_config_static_selectorELNS0_4arch9wavefront6targetE0EEEvSK_.private_seg_size, 0
	.set _ZN7rocprim17ROCPRIM_400000_NS6detail17trampoline_kernelINS0_14default_configENS1_36segmented_radix_sort_config_selectorIilEEZNS1_25segmented_radix_sort_implIS3_Lb0EPKiPiPKlPlN2at6native12_GLOBAL__N_18offset_tEEE10hipError_tPvRmT1_PNSt15iterator_traitsISK_E10value_typeET2_T3_PNSL_ISQ_E10value_typeET4_jRbjT5_SW_jjP12ihipStream_tbEUlT_E1_NS1_11comp_targetILNS1_3genE3ELNS1_11target_archE908ELNS1_3gpuE7ELNS1_3repE0EEENS1_59segmented_radix_sort_warp_sort_small_config_static_selectorELNS0_4arch9wavefront6targetE0EEEvSK_.uses_vcc, 0
	.set _ZN7rocprim17ROCPRIM_400000_NS6detail17trampoline_kernelINS0_14default_configENS1_36segmented_radix_sort_config_selectorIilEEZNS1_25segmented_radix_sort_implIS3_Lb0EPKiPiPKlPlN2at6native12_GLOBAL__N_18offset_tEEE10hipError_tPvRmT1_PNSt15iterator_traitsISK_E10value_typeET2_T3_PNSL_ISQ_E10value_typeET4_jRbjT5_SW_jjP12ihipStream_tbEUlT_E1_NS1_11comp_targetILNS1_3genE3ELNS1_11target_archE908ELNS1_3gpuE7ELNS1_3repE0EEENS1_59segmented_radix_sort_warp_sort_small_config_static_selectorELNS0_4arch9wavefront6targetE0EEEvSK_.uses_flat_scratch, 0
	.set _ZN7rocprim17ROCPRIM_400000_NS6detail17trampoline_kernelINS0_14default_configENS1_36segmented_radix_sort_config_selectorIilEEZNS1_25segmented_radix_sort_implIS3_Lb0EPKiPiPKlPlN2at6native12_GLOBAL__N_18offset_tEEE10hipError_tPvRmT1_PNSt15iterator_traitsISK_E10value_typeET2_T3_PNSL_ISQ_E10value_typeET4_jRbjT5_SW_jjP12ihipStream_tbEUlT_E1_NS1_11comp_targetILNS1_3genE3ELNS1_11target_archE908ELNS1_3gpuE7ELNS1_3repE0EEENS1_59segmented_radix_sort_warp_sort_small_config_static_selectorELNS0_4arch9wavefront6targetE0EEEvSK_.has_dyn_sized_stack, 0
	.set _ZN7rocprim17ROCPRIM_400000_NS6detail17trampoline_kernelINS0_14default_configENS1_36segmented_radix_sort_config_selectorIilEEZNS1_25segmented_radix_sort_implIS3_Lb0EPKiPiPKlPlN2at6native12_GLOBAL__N_18offset_tEEE10hipError_tPvRmT1_PNSt15iterator_traitsISK_E10value_typeET2_T3_PNSL_ISQ_E10value_typeET4_jRbjT5_SW_jjP12ihipStream_tbEUlT_E1_NS1_11comp_targetILNS1_3genE3ELNS1_11target_archE908ELNS1_3gpuE7ELNS1_3repE0EEENS1_59segmented_radix_sort_warp_sort_small_config_static_selectorELNS0_4arch9wavefront6targetE0EEEvSK_.has_recursion, 0
	.set _ZN7rocprim17ROCPRIM_400000_NS6detail17trampoline_kernelINS0_14default_configENS1_36segmented_radix_sort_config_selectorIilEEZNS1_25segmented_radix_sort_implIS3_Lb0EPKiPiPKlPlN2at6native12_GLOBAL__N_18offset_tEEE10hipError_tPvRmT1_PNSt15iterator_traitsISK_E10value_typeET2_T3_PNSL_ISQ_E10value_typeET4_jRbjT5_SW_jjP12ihipStream_tbEUlT_E1_NS1_11comp_targetILNS1_3genE3ELNS1_11target_archE908ELNS1_3gpuE7ELNS1_3repE0EEENS1_59segmented_radix_sort_warp_sort_small_config_static_selectorELNS0_4arch9wavefront6targetE0EEEvSK_.has_indirect_call, 0
	.section	.AMDGPU.csdata,"",@progbits
; Kernel info:
; codeLenInByte = 0
; TotalNumSgprs: 0
; NumVgprs: 0
; ScratchSize: 0
; MemoryBound: 0
; FloatMode: 240
; IeeeMode: 1
; LDSByteSize: 0 bytes/workgroup (compile time only)
; SGPRBlocks: 0
; VGPRBlocks: 0
; NumSGPRsForWavesPerEU: 1
; NumVGPRsForWavesPerEU: 1
; Occupancy: 16
; WaveLimiterHint : 0
; COMPUTE_PGM_RSRC2:SCRATCH_EN: 0
; COMPUTE_PGM_RSRC2:USER_SGPR: 2
; COMPUTE_PGM_RSRC2:TRAP_HANDLER: 0
; COMPUTE_PGM_RSRC2:TGID_X_EN: 1
; COMPUTE_PGM_RSRC2:TGID_Y_EN: 0
; COMPUTE_PGM_RSRC2:TGID_Z_EN: 0
; COMPUTE_PGM_RSRC2:TIDIG_COMP_CNT: 0
	.section	.text._ZN7rocprim17ROCPRIM_400000_NS6detail17trampoline_kernelINS0_14default_configENS1_36segmented_radix_sort_config_selectorIilEEZNS1_25segmented_radix_sort_implIS3_Lb0EPKiPiPKlPlN2at6native12_GLOBAL__N_18offset_tEEE10hipError_tPvRmT1_PNSt15iterator_traitsISK_E10value_typeET2_T3_PNSL_ISQ_E10value_typeET4_jRbjT5_SW_jjP12ihipStream_tbEUlT_E1_NS1_11comp_targetILNS1_3genE2ELNS1_11target_archE906ELNS1_3gpuE6ELNS1_3repE0EEENS1_59segmented_radix_sort_warp_sort_small_config_static_selectorELNS0_4arch9wavefront6targetE0EEEvSK_,"axG",@progbits,_ZN7rocprim17ROCPRIM_400000_NS6detail17trampoline_kernelINS0_14default_configENS1_36segmented_radix_sort_config_selectorIilEEZNS1_25segmented_radix_sort_implIS3_Lb0EPKiPiPKlPlN2at6native12_GLOBAL__N_18offset_tEEE10hipError_tPvRmT1_PNSt15iterator_traitsISK_E10value_typeET2_T3_PNSL_ISQ_E10value_typeET4_jRbjT5_SW_jjP12ihipStream_tbEUlT_E1_NS1_11comp_targetILNS1_3genE2ELNS1_11target_archE906ELNS1_3gpuE6ELNS1_3repE0EEENS1_59segmented_radix_sort_warp_sort_small_config_static_selectorELNS0_4arch9wavefront6targetE0EEEvSK_,comdat
	.globl	_ZN7rocprim17ROCPRIM_400000_NS6detail17trampoline_kernelINS0_14default_configENS1_36segmented_radix_sort_config_selectorIilEEZNS1_25segmented_radix_sort_implIS3_Lb0EPKiPiPKlPlN2at6native12_GLOBAL__N_18offset_tEEE10hipError_tPvRmT1_PNSt15iterator_traitsISK_E10value_typeET2_T3_PNSL_ISQ_E10value_typeET4_jRbjT5_SW_jjP12ihipStream_tbEUlT_E1_NS1_11comp_targetILNS1_3genE2ELNS1_11target_archE906ELNS1_3gpuE6ELNS1_3repE0EEENS1_59segmented_radix_sort_warp_sort_small_config_static_selectorELNS0_4arch9wavefront6targetE0EEEvSK_ ; -- Begin function _ZN7rocprim17ROCPRIM_400000_NS6detail17trampoline_kernelINS0_14default_configENS1_36segmented_radix_sort_config_selectorIilEEZNS1_25segmented_radix_sort_implIS3_Lb0EPKiPiPKlPlN2at6native12_GLOBAL__N_18offset_tEEE10hipError_tPvRmT1_PNSt15iterator_traitsISK_E10value_typeET2_T3_PNSL_ISQ_E10value_typeET4_jRbjT5_SW_jjP12ihipStream_tbEUlT_E1_NS1_11comp_targetILNS1_3genE2ELNS1_11target_archE906ELNS1_3gpuE6ELNS1_3repE0EEENS1_59segmented_radix_sort_warp_sort_small_config_static_selectorELNS0_4arch9wavefront6targetE0EEEvSK_
	.p2align	8
	.type	_ZN7rocprim17ROCPRIM_400000_NS6detail17trampoline_kernelINS0_14default_configENS1_36segmented_radix_sort_config_selectorIilEEZNS1_25segmented_radix_sort_implIS3_Lb0EPKiPiPKlPlN2at6native12_GLOBAL__N_18offset_tEEE10hipError_tPvRmT1_PNSt15iterator_traitsISK_E10value_typeET2_T3_PNSL_ISQ_E10value_typeET4_jRbjT5_SW_jjP12ihipStream_tbEUlT_E1_NS1_11comp_targetILNS1_3genE2ELNS1_11target_archE906ELNS1_3gpuE6ELNS1_3repE0EEENS1_59segmented_radix_sort_warp_sort_small_config_static_selectorELNS0_4arch9wavefront6targetE0EEEvSK_,@function
_ZN7rocprim17ROCPRIM_400000_NS6detail17trampoline_kernelINS0_14default_configENS1_36segmented_radix_sort_config_selectorIilEEZNS1_25segmented_radix_sort_implIS3_Lb0EPKiPiPKlPlN2at6native12_GLOBAL__N_18offset_tEEE10hipError_tPvRmT1_PNSt15iterator_traitsISK_E10value_typeET2_T3_PNSL_ISQ_E10value_typeET4_jRbjT5_SW_jjP12ihipStream_tbEUlT_E1_NS1_11comp_targetILNS1_3genE2ELNS1_11target_archE906ELNS1_3gpuE6ELNS1_3repE0EEENS1_59segmented_radix_sort_warp_sort_small_config_static_selectorELNS0_4arch9wavefront6targetE0EEEvSK_: ; @_ZN7rocprim17ROCPRIM_400000_NS6detail17trampoline_kernelINS0_14default_configENS1_36segmented_radix_sort_config_selectorIilEEZNS1_25segmented_radix_sort_implIS3_Lb0EPKiPiPKlPlN2at6native12_GLOBAL__N_18offset_tEEE10hipError_tPvRmT1_PNSt15iterator_traitsISK_E10value_typeET2_T3_PNSL_ISQ_E10value_typeET4_jRbjT5_SW_jjP12ihipStream_tbEUlT_E1_NS1_11comp_targetILNS1_3genE2ELNS1_11target_archE906ELNS1_3gpuE6ELNS1_3repE0EEENS1_59segmented_radix_sort_warp_sort_small_config_static_selectorELNS0_4arch9wavefront6targetE0EEEvSK_
; %bb.0:
	.section	.rodata,"a",@progbits
	.p2align	6, 0x0
	.amdhsa_kernel _ZN7rocprim17ROCPRIM_400000_NS6detail17trampoline_kernelINS0_14default_configENS1_36segmented_radix_sort_config_selectorIilEEZNS1_25segmented_radix_sort_implIS3_Lb0EPKiPiPKlPlN2at6native12_GLOBAL__N_18offset_tEEE10hipError_tPvRmT1_PNSt15iterator_traitsISK_E10value_typeET2_T3_PNSL_ISQ_E10value_typeET4_jRbjT5_SW_jjP12ihipStream_tbEUlT_E1_NS1_11comp_targetILNS1_3genE2ELNS1_11target_archE906ELNS1_3gpuE6ELNS1_3repE0EEENS1_59segmented_radix_sort_warp_sort_small_config_static_selectorELNS0_4arch9wavefront6targetE0EEEvSK_
		.amdhsa_group_segment_fixed_size 0
		.amdhsa_private_segment_fixed_size 0
		.amdhsa_kernarg_size 88
		.amdhsa_user_sgpr_count 2
		.amdhsa_user_sgpr_dispatch_ptr 0
		.amdhsa_user_sgpr_queue_ptr 0
		.amdhsa_user_sgpr_kernarg_segment_ptr 1
		.amdhsa_user_sgpr_dispatch_id 0
		.amdhsa_user_sgpr_private_segment_size 0
		.amdhsa_wavefront_size32 1
		.amdhsa_uses_dynamic_stack 0
		.amdhsa_enable_private_segment 0
		.amdhsa_system_sgpr_workgroup_id_x 1
		.amdhsa_system_sgpr_workgroup_id_y 0
		.amdhsa_system_sgpr_workgroup_id_z 0
		.amdhsa_system_sgpr_workgroup_info 0
		.amdhsa_system_vgpr_workitem_id 0
		.amdhsa_next_free_vgpr 1
		.amdhsa_next_free_sgpr 1
		.amdhsa_reserve_vcc 0
		.amdhsa_float_round_mode_32 0
		.amdhsa_float_round_mode_16_64 0
		.amdhsa_float_denorm_mode_32 3
		.amdhsa_float_denorm_mode_16_64 3
		.amdhsa_fp16_overflow 0
		.amdhsa_workgroup_processor_mode 1
		.amdhsa_memory_ordered 1
		.amdhsa_forward_progress 1
		.amdhsa_inst_pref_size 0
		.amdhsa_round_robin_scheduling 0
		.amdhsa_exception_fp_ieee_invalid_op 0
		.amdhsa_exception_fp_denorm_src 0
		.amdhsa_exception_fp_ieee_div_zero 0
		.amdhsa_exception_fp_ieee_overflow 0
		.amdhsa_exception_fp_ieee_underflow 0
		.amdhsa_exception_fp_ieee_inexact 0
		.amdhsa_exception_int_div_zero 0
	.end_amdhsa_kernel
	.section	.text._ZN7rocprim17ROCPRIM_400000_NS6detail17trampoline_kernelINS0_14default_configENS1_36segmented_radix_sort_config_selectorIilEEZNS1_25segmented_radix_sort_implIS3_Lb0EPKiPiPKlPlN2at6native12_GLOBAL__N_18offset_tEEE10hipError_tPvRmT1_PNSt15iterator_traitsISK_E10value_typeET2_T3_PNSL_ISQ_E10value_typeET4_jRbjT5_SW_jjP12ihipStream_tbEUlT_E1_NS1_11comp_targetILNS1_3genE2ELNS1_11target_archE906ELNS1_3gpuE6ELNS1_3repE0EEENS1_59segmented_radix_sort_warp_sort_small_config_static_selectorELNS0_4arch9wavefront6targetE0EEEvSK_,"axG",@progbits,_ZN7rocprim17ROCPRIM_400000_NS6detail17trampoline_kernelINS0_14default_configENS1_36segmented_radix_sort_config_selectorIilEEZNS1_25segmented_radix_sort_implIS3_Lb0EPKiPiPKlPlN2at6native12_GLOBAL__N_18offset_tEEE10hipError_tPvRmT1_PNSt15iterator_traitsISK_E10value_typeET2_T3_PNSL_ISQ_E10value_typeET4_jRbjT5_SW_jjP12ihipStream_tbEUlT_E1_NS1_11comp_targetILNS1_3genE2ELNS1_11target_archE906ELNS1_3gpuE6ELNS1_3repE0EEENS1_59segmented_radix_sort_warp_sort_small_config_static_selectorELNS0_4arch9wavefront6targetE0EEEvSK_,comdat
.Lfunc_end624:
	.size	_ZN7rocprim17ROCPRIM_400000_NS6detail17trampoline_kernelINS0_14default_configENS1_36segmented_radix_sort_config_selectorIilEEZNS1_25segmented_radix_sort_implIS3_Lb0EPKiPiPKlPlN2at6native12_GLOBAL__N_18offset_tEEE10hipError_tPvRmT1_PNSt15iterator_traitsISK_E10value_typeET2_T3_PNSL_ISQ_E10value_typeET4_jRbjT5_SW_jjP12ihipStream_tbEUlT_E1_NS1_11comp_targetILNS1_3genE2ELNS1_11target_archE906ELNS1_3gpuE6ELNS1_3repE0EEENS1_59segmented_radix_sort_warp_sort_small_config_static_selectorELNS0_4arch9wavefront6targetE0EEEvSK_, .Lfunc_end624-_ZN7rocprim17ROCPRIM_400000_NS6detail17trampoline_kernelINS0_14default_configENS1_36segmented_radix_sort_config_selectorIilEEZNS1_25segmented_radix_sort_implIS3_Lb0EPKiPiPKlPlN2at6native12_GLOBAL__N_18offset_tEEE10hipError_tPvRmT1_PNSt15iterator_traitsISK_E10value_typeET2_T3_PNSL_ISQ_E10value_typeET4_jRbjT5_SW_jjP12ihipStream_tbEUlT_E1_NS1_11comp_targetILNS1_3genE2ELNS1_11target_archE906ELNS1_3gpuE6ELNS1_3repE0EEENS1_59segmented_radix_sort_warp_sort_small_config_static_selectorELNS0_4arch9wavefront6targetE0EEEvSK_
                                        ; -- End function
	.set _ZN7rocprim17ROCPRIM_400000_NS6detail17trampoline_kernelINS0_14default_configENS1_36segmented_radix_sort_config_selectorIilEEZNS1_25segmented_radix_sort_implIS3_Lb0EPKiPiPKlPlN2at6native12_GLOBAL__N_18offset_tEEE10hipError_tPvRmT1_PNSt15iterator_traitsISK_E10value_typeET2_T3_PNSL_ISQ_E10value_typeET4_jRbjT5_SW_jjP12ihipStream_tbEUlT_E1_NS1_11comp_targetILNS1_3genE2ELNS1_11target_archE906ELNS1_3gpuE6ELNS1_3repE0EEENS1_59segmented_radix_sort_warp_sort_small_config_static_selectorELNS0_4arch9wavefront6targetE0EEEvSK_.num_vgpr, 0
	.set _ZN7rocprim17ROCPRIM_400000_NS6detail17trampoline_kernelINS0_14default_configENS1_36segmented_radix_sort_config_selectorIilEEZNS1_25segmented_radix_sort_implIS3_Lb0EPKiPiPKlPlN2at6native12_GLOBAL__N_18offset_tEEE10hipError_tPvRmT1_PNSt15iterator_traitsISK_E10value_typeET2_T3_PNSL_ISQ_E10value_typeET4_jRbjT5_SW_jjP12ihipStream_tbEUlT_E1_NS1_11comp_targetILNS1_3genE2ELNS1_11target_archE906ELNS1_3gpuE6ELNS1_3repE0EEENS1_59segmented_radix_sort_warp_sort_small_config_static_selectorELNS0_4arch9wavefront6targetE0EEEvSK_.num_agpr, 0
	.set _ZN7rocprim17ROCPRIM_400000_NS6detail17trampoline_kernelINS0_14default_configENS1_36segmented_radix_sort_config_selectorIilEEZNS1_25segmented_radix_sort_implIS3_Lb0EPKiPiPKlPlN2at6native12_GLOBAL__N_18offset_tEEE10hipError_tPvRmT1_PNSt15iterator_traitsISK_E10value_typeET2_T3_PNSL_ISQ_E10value_typeET4_jRbjT5_SW_jjP12ihipStream_tbEUlT_E1_NS1_11comp_targetILNS1_3genE2ELNS1_11target_archE906ELNS1_3gpuE6ELNS1_3repE0EEENS1_59segmented_radix_sort_warp_sort_small_config_static_selectorELNS0_4arch9wavefront6targetE0EEEvSK_.numbered_sgpr, 0
	.set _ZN7rocprim17ROCPRIM_400000_NS6detail17trampoline_kernelINS0_14default_configENS1_36segmented_radix_sort_config_selectorIilEEZNS1_25segmented_radix_sort_implIS3_Lb0EPKiPiPKlPlN2at6native12_GLOBAL__N_18offset_tEEE10hipError_tPvRmT1_PNSt15iterator_traitsISK_E10value_typeET2_T3_PNSL_ISQ_E10value_typeET4_jRbjT5_SW_jjP12ihipStream_tbEUlT_E1_NS1_11comp_targetILNS1_3genE2ELNS1_11target_archE906ELNS1_3gpuE6ELNS1_3repE0EEENS1_59segmented_radix_sort_warp_sort_small_config_static_selectorELNS0_4arch9wavefront6targetE0EEEvSK_.num_named_barrier, 0
	.set _ZN7rocprim17ROCPRIM_400000_NS6detail17trampoline_kernelINS0_14default_configENS1_36segmented_radix_sort_config_selectorIilEEZNS1_25segmented_radix_sort_implIS3_Lb0EPKiPiPKlPlN2at6native12_GLOBAL__N_18offset_tEEE10hipError_tPvRmT1_PNSt15iterator_traitsISK_E10value_typeET2_T3_PNSL_ISQ_E10value_typeET4_jRbjT5_SW_jjP12ihipStream_tbEUlT_E1_NS1_11comp_targetILNS1_3genE2ELNS1_11target_archE906ELNS1_3gpuE6ELNS1_3repE0EEENS1_59segmented_radix_sort_warp_sort_small_config_static_selectorELNS0_4arch9wavefront6targetE0EEEvSK_.private_seg_size, 0
	.set _ZN7rocprim17ROCPRIM_400000_NS6detail17trampoline_kernelINS0_14default_configENS1_36segmented_radix_sort_config_selectorIilEEZNS1_25segmented_radix_sort_implIS3_Lb0EPKiPiPKlPlN2at6native12_GLOBAL__N_18offset_tEEE10hipError_tPvRmT1_PNSt15iterator_traitsISK_E10value_typeET2_T3_PNSL_ISQ_E10value_typeET4_jRbjT5_SW_jjP12ihipStream_tbEUlT_E1_NS1_11comp_targetILNS1_3genE2ELNS1_11target_archE906ELNS1_3gpuE6ELNS1_3repE0EEENS1_59segmented_radix_sort_warp_sort_small_config_static_selectorELNS0_4arch9wavefront6targetE0EEEvSK_.uses_vcc, 0
	.set _ZN7rocprim17ROCPRIM_400000_NS6detail17trampoline_kernelINS0_14default_configENS1_36segmented_radix_sort_config_selectorIilEEZNS1_25segmented_radix_sort_implIS3_Lb0EPKiPiPKlPlN2at6native12_GLOBAL__N_18offset_tEEE10hipError_tPvRmT1_PNSt15iterator_traitsISK_E10value_typeET2_T3_PNSL_ISQ_E10value_typeET4_jRbjT5_SW_jjP12ihipStream_tbEUlT_E1_NS1_11comp_targetILNS1_3genE2ELNS1_11target_archE906ELNS1_3gpuE6ELNS1_3repE0EEENS1_59segmented_radix_sort_warp_sort_small_config_static_selectorELNS0_4arch9wavefront6targetE0EEEvSK_.uses_flat_scratch, 0
	.set _ZN7rocprim17ROCPRIM_400000_NS6detail17trampoline_kernelINS0_14default_configENS1_36segmented_radix_sort_config_selectorIilEEZNS1_25segmented_radix_sort_implIS3_Lb0EPKiPiPKlPlN2at6native12_GLOBAL__N_18offset_tEEE10hipError_tPvRmT1_PNSt15iterator_traitsISK_E10value_typeET2_T3_PNSL_ISQ_E10value_typeET4_jRbjT5_SW_jjP12ihipStream_tbEUlT_E1_NS1_11comp_targetILNS1_3genE2ELNS1_11target_archE906ELNS1_3gpuE6ELNS1_3repE0EEENS1_59segmented_radix_sort_warp_sort_small_config_static_selectorELNS0_4arch9wavefront6targetE0EEEvSK_.has_dyn_sized_stack, 0
	.set _ZN7rocprim17ROCPRIM_400000_NS6detail17trampoline_kernelINS0_14default_configENS1_36segmented_radix_sort_config_selectorIilEEZNS1_25segmented_radix_sort_implIS3_Lb0EPKiPiPKlPlN2at6native12_GLOBAL__N_18offset_tEEE10hipError_tPvRmT1_PNSt15iterator_traitsISK_E10value_typeET2_T3_PNSL_ISQ_E10value_typeET4_jRbjT5_SW_jjP12ihipStream_tbEUlT_E1_NS1_11comp_targetILNS1_3genE2ELNS1_11target_archE906ELNS1_3gpuE6ELNS1_3repE0EEENS1_59segmented_radix_sort_warp_sort_small_config_static_selectorELNS0_4arch9wavefront6targetE0EEEvSK_.has_recursion, 0
	.set _ZN7rocprim17ROCPRIM_400000_NS6detail17trampoline_kernelINS0_14default_configENS1_36segmented_radix_sort_config_selectorIilEEZNS1_25segmented_radix_sort_implIS3_Lb0EPKiPiPKlPlN2at6native12_GLOBAL__N_18offset_tEEE10hipError_tPvRmT1_PNSt15iterator_traitsISK_E10value_typeET2_T3_PNSL_ISQ_E10value_typeET4_jRbjT5_SW_jjP12ihipStream_tbEUlT_E1_NS1_11comp_targetILNS1_3genE2ELNS1_11target_archE906ELNS1_3gpuE6ELNS1_3repE0EEENS1_59segmented_radix_sort_warp_sort_small_config_static_selectorELNS0_4arch9wavefront6targetE0EEEvSK_.has_indirect_call, 0
	.section	.AMDGPU.csdata,"",@progbits
; Kernel info:
; codeLenInByte = 0
; TotalNumSgprs: 0
; NumVgprs: 0
; ScratchSize: 0
; MemoryBound: 0
; FloatMode: 240
; IeeeMode: 1
; LDSByteSize: 0 bytes/workgroup (compile time only)
; SGPRBlocks: 0
; VGPRBlocks: 0
; NumSGPRsForWavesPerEU: 1
; NumVGPRsForWavesPerEU: 1
; Occupancy: 16
; WaveLimiterHint : 0
; COMPUTE_PGM_RSRC2:SCRATCH_EN: 0
; COMPUTE_PGM_RSRC2:USER_SGPR: 2
; COMPUTE_PGM_RSRC2:TRAP_HANDLER: 0
; COMPUTE_PGM_RSRC2:TGID_X_EN: 1
; COMPUTE_PGM_RSRC2:TGID_Y_EN: 0
; COMPUTE_PGM_RSRC2:TGID_Z_EN: 0
; COMPUTE_PGM_RSRC2:TIDIG_COMP_CNT: 0
	.text
	.p2align	2                               ; -- Begin function _ZN7rocprim17ROCPRIM_400000_NS6detail26segmented_warp_sort_helperINS1_20WarpSortHelperConfigILj8ELj4ELj256EEEilLi256ELb0EvE4sortIPKiPiPKlPlEEvT_T0_T1_T2_jjjjRNS5_12storage_typeE
	.type	_ZN7rocprim17ROCPRIM_400000_NS6detail26segmented_warp_sort_helperINS1_20WarpSortHelperConfigILj8ELj4ELj256EEEilLi256ELb0EvE4sortIPKiPiPKlPlEEvT_T0_T1_T2_jjjjRNS5_12storage_typeE,@function
_ZN7rocprim17ROCPRIM_400000_NS6detail26segmented_warp_sort_helperINS1_20WarpSortHelperConfigILj8ELj4ELj256EEEilLi256ELb0EvE4sortIPKiPiPKlPlEEvT_T0_T1_T2_jjjjRNS5_12storage_typeE: ; @_ZN7rocprim17ROCPRIM_400000_NS6detail26segmented_warp_sort_helperINS1_20WarpSortHelperConfigILj8ELj4ELj256EEEilLi256ELb0EvE4sortIPKiPiPKlPlEEvT_T0_T1_T2_jjjjRNS5_12storage_typeE
; %bb.0:
	s_wait_loadcnt_dscnt 0x0
	s_wait_expcnt 0x0
	s_wait_samplecnt 0x0
	s_wait_bvhcnt 0x0
	s_wait_kmcnt 0x0
	v_mov_b32_e32 v13, v9
	v_mbcnt_lo_u32_b32 v9, -1, 0
	v_bfrev_b32_e32 v38, -2
	v_bfrev_b32_e32 v48, -2
	s_delay_alu instid0(VALU_DEP_3) | instskip(NEXT) | instid1(VALU_DEP_1)
	v_lshlrev_b32_e32 v37, 2, v9
	v_dual_mov_b32 v9, 0 :: v_dual_and_b32 v36, 28, v37
	v_sub_nc_u32_e32 v13, v13, v8
	s_delay_alu instid0(VALU_DEP_2) | instskip(NEXT) | instid1(VALU_DEP_3)
	v_lshlrev_b32_e32 v34, 2, v36
	v_lshlrev_b64_e32 v[29:30], 2, v[8:9]
	s_delay_alu instid0(VALU_DEP_1) | instskip(SKIP_1) | instid1(VALU_DEP_2)
	v_add_co_u32 v0, vcc_lo, v0, v29
	s_wait_alu 0xfffd
	v_add_co_ci_u32_e64 v1, null, v1, v30, vcc_lo
	s_delay_alu instid0(VALU_DEP_2) | instskip(SKIP_1) | instid1(VALU_DEP_2)
	v_add_co_u32 v0, vcc_lo, v0, v34
	s_wait_alu 0xfffd
	v_add_co_ci_u32_e64 v1, null, 0, v1, vcc_lo
	v_cmp_lt_u32_e32 vcc_lo, v36, v13
	s_and_saveexec_b32 s0, vcc_lo
	s_cbranch_execz .LBB625_2
; %bb.1:
	flat_load_b32 v48, v[0:1]
.LBB625_2:
	s_wait_alu 0xfffe
	s_or_b32 exec_lo, exec_lo, s0
	v_or_b32_e32 v14, 1, v36
	s_delay_alu instid0(VALU_DEP_1)
	v_cmp_lt_u32_e64 s0, v14, v13
	s_and_saveexec_b32 s1, s0
	s_cbranch_execz .LBB625_4
; %bb.3:
	flat_load_b32 v38, v[0:1] offset:4
.LBB625_4:
	s_wait_alu 0xfffe
	s_or_b32 exec_lo, exec_lo, s1
	v_or_b32_e32 v14, 2, v36
	v_bfrev_b32_e32 v39, -2
	v_bfrev_b32_e32 v23, -2
	s_delay_alu instid0(VALU_DEP_3)
	v_cmp_lt_u32_e64 s1, v14, v13
	s_and_saveexec_b32 s2, s1
	s_cbranch_execz .LBB625_6
; %bb.5:
	flat_load_b32 v23, v[0:1] offset:8
.LBB625_6:
	s_wait_alu 0xfffe
	s_or_b32 exec_lo, exec_lo, s2
	v_or_b32_e32 v14, 3, v36
	s_delay_alu instid0(VALU_DEP_1)
	v_cmp_lt_u32_e64 s2, v14, v13
	s_and_saveexec_b32 s3, s2
	s_cbranch_execz .LBB625_8
; %bb.7:
	flat_load_b32 v39, v[0:1] offset:12
.LBB625_8:
	s_wait_alu 0xfffe
	s_or_b32 exec_lo, exec_lo, s3
	v_lshlrev_b64_e32 v[0:1], 3, v[8:9]
	v_dual_mov_b32 v8, 0 :: v_dual_lshlrev_b32 v35, 3, v36
	v_mov_b32_e32 v9, 0
	; wave barrier
	s_delay_alu instid0(VALU_DEP_3) | instskip(SKIP_1) | instid1(VALU_DEP_4)
	v_add_co_u32 v13, s3, v4, v0
	s_wait_alu 0xf1ff
	v_add_co_ci_u32_e64 v14, null, v5, v1, s3
	v_mov_b32_e32 v4, 0
	s_delay_alu instid0(VALU_DEP_3)
	v_add_co_u32 v15, s3, v13, v35
	v_mov_b32_e32 v5, 0
	s_wait_alu 0xf1ff
	v_add_co_ci_u32_e64 v16, null, 0, v14, s3
	s_and_saveexec_b32 s3, vcc_lo
	s_cbranch_execz .LBB625_10
; %bb.9:
	flat_load_b64 v[4:5], v[15:16]
.LBB625_10:
	s_wait_alu 0xfffe
	s_or_b32 exec_lo, exec_lo, s3
	s_mov_b32 s3, 0
	s_wait_alu 0xfffe
	v_dual_mov_b32 v17, s3 :: v_dual_mov_b32 v18, s3
	v_dual_mov_b32 v21, s3 :: v_dual_mov_b32 v22, s3
	;; [unrolled: 1-line block ×3, first 2 shown]
	s_and_saveexec_b32 s4, s0
	s_cbranch_execz .LBB625_12
; %bb.11:
	flat_load_b64 v[17:18], v[15:16] offset:8
	v_dual_mov_b32 v21, s3 :: v_dual_mov_b32 v22, s3
	v_dual_mov_b32 v32, s3 :: v_dual_mov_b32 v33, s3
	s_wait_loadcnt_dscnt 0x0
	v_dual_mov_b32 v8, v17 :: v_dual_mov_b32 v9, v18
.LBB625_12:
	s_wait_alu 0xfffe
	s_or_b32 exec_lo, exec_lo, s4
	v_mov_b32_e32 v19, 0
	v_dual_mov_b32 v20, 0 :: v_dual_mov_b32 v13, 0
	v_mov_b32_e32 v14, 0
	s_and_saveexec_b32 s3, s1
	s_cbranch_execz .LBB625_14
; %bb.13:
	flat_load_b64 v[21:22], v[15:16] offset:16
	s_mov_b32 s4, 0
	s_wait_alu 0xfffe
	v_dual_mov_b32 v32, s4 :: v_dual_mov_b32 v33, s4
	s_wait_loadcnt_dscnt 0x0
	v_dual_mov_b32 v13, v21 :: v_dual_mov_b32 v14, v22
.LBB625_14:
	s_wait_alu 0xfffe
	s_or_b32 exec_lo, exec_lo, s3
	s_and_saveexec_b32 s3, s2
	s_cbranch_execz .LBB625_16
; %bb.15:
	flat_load_b64 v[32:33], v[15:16] offset:24
	s_wait_loadcnt_dscnt 0x0
	v_dual_mov_b32 v19, v32 :: v_dual_mov_b32 v20, v33
.LBB625_16:
	s_wait_alu 0xfffe
	s_or_b32 exec_lo, exec_lo, s3
	v_cmp_ne_u32_e64 s3, 0, v10
	v_cmp_ne_u32_e64 s4, 32, v11
	v_bfe_u32 v16, v31, 10, 10
	v_bfe_u32 v24, v31, 20, 10
	v_and_b32_e32 v15, 0x3ff, v31
	s_mov_b32 s5, 0
	s_or_b32 s3, s3, s4
	; wave barrier
	s_wait_alu 0xfffe
	s_and_saveexec_b32 s4, s3
	s_wait_alu 0xfffe
	s_xor_b32 s11, exec_lo, s4
	s_cbranch_execz .LBB625_60
; %bb.17:
	s_load_b64 s[6:7], s[8:9], 0x0
	s_and_b32 s3, ttmp7, 0xffff
	v_lshlrev_b32_e64 v10, v10, -1
	s_wait_kmcnt 0x0
	s_wait_alu 0xfffe
	s_cmp_lt_u32 s3, s7
	s_cselect_b32 s4, 14, 20
	s_cmp_lt_u32 ttmp9, s6
	s_wait_alu 0xfffe
	s_add_nc_u64 s[12:13], s[8:9], s[4:5]
	s_cselect_b32 s4, 12, 18
	s_load_u16 s3, s[12:13], 0x0
	s_add_nc_u64 s[4:5], s[8:9], s[4:5]
	s_load_u16 s4, s[4:5], 0x0
	s_mov_b32 s5, exec_lo
	s_wait_kmcnt 0x0
	v_mad_u32_u24 v16, v24, s3, v16
	v_lshlrev_b32_e64 v24, v11, -1
	s_delay_alu instid0(VALU_DEP_2) | instskip(NEXT) | instid1(VALU_DEP_2)
	v_mul_lo_u32 v16, v16, s4
	v_xor_b32_e32 v10, v24, v10
	s_delay_alu instid0(VALU_DEP_2) | instskip(NEXT) | instid1(VALU_DEP_1)
	v_add_lshl_u32 v11, v16, v15, 2
	v_cmpx_gt_u32_e32 0x400, v11
	s_cbranch_execz .LBB625_29
; %bb.18:
	s_wait_loadcnt_dscnt 0x0
	v_and_b32_e32 v13, v38, v10
	v_dual_mov_b32 v31, v23 :: v_dual_and_b32 v14, v48, v10
	v_and_b32_e32 v8, v23, v10
	v_and_b32_e32 v9, v39, v10
	s_mov_b32 s6, exec_lo
	s_delay_alu instid0(VALU_DEP_3) | instskip(SKIP_1) | instid1(VALU_DEP_1)
	v_cmp_gt_u32_e64 s3, v14, v13
	s_wait_alu 0xf1ff
	v_cndmask_b32_e64 v16, v18, v5, s3
	v_cndmask_b32_e64 v15, v17, v4, s3
	;; [unrolled: 1-line block ×4, first 2 shown]
	v_dual_mov_b32 v17, v21 :: v_dual_mov_b32 v18, v22
	v_cmpx_gt_u32_e64 v8, v9
; %bb.19:
	v_mov_b32_e32 v17, v32
	v_dual_mov_b32 v31, v39 :: v_dual_mov_b32 v8, v9
	v_dual_mov_b32 v39, v23 :: v_dual_mov_b32 v18, v33
	;; [unrolled: 1-line block ×3, first 2 shown]
; %bb.20:
	s_wait_alu 0xfffe
	s_or_b32 exec_lo, exec_lo, s6
	v_cndmask_b32_e64 v5, v38, v48, s3
                                        ; implicit-def: $vgpr49
	s_delay_alu instid0(VALU_DEP_2) | instskip(SKIP_2) | instid1(VALU_DEP_4)
	v_mov_b32_e32 v19, v32
	v_mov_b32_e32 v28, v20
	v_dual_mov_b32 v22, v14 :: v_dual_mov_b32 v21, v13
	v_and_b32_e32 v4, v5, v10
	v_dual_mov_b32 v26, v18 :: v_dual_mov_b32 v25, v17
	v_dual_mov_b32 v24, v16 :: v_dual_mov_b32 v23, v15
	s_delay_alu instid0(VALU_DEP_3)
	v_cmp_le_u32_e64 s4, v4, v8
	v_mov_b32_e32 v27, v19
	s_and_saveexec_b32 s6, s4
	s_wait_alu 0xfffe
	s_xor_b32 s4, exec_lo, s6
; %bb.21:
	v_and_b32_e32 v49, v31, v10
                                        ; implicit-def: $vgpr21_vgpr22_vgpr23_vgpr24_vgpr25_vgpr26_vgpr27_vgpr28
                                        ; implicit-def: $vgpr8
; %bb.22:
	s_wait_alu 0xfffe
	s_or_saveexec_b32 s4, s4
	v_mov_b32_e32 v20, v33
	v_mov_b32_e32 v24, v5
	s_wait_alu 0xfffe
	s_xor_b32 exec_lo, exec_lo, s4
	s_cbranch_execz .LBB625_24
; %bb.23:
	v_dual_mov_b32 v23, v17 :: v_dual_mov_b32 v24, v18
	v_dual_mov_b32 v25, v15 :: v_dual_mov_b32 v26, v16
	;; [unrolled: 1-line block ×4, first 2 shown]
	s_delay_alu instid0(VALU_DEP_4) | instskip(NEXT) | instid1(VALU_DEP_4)
	v_dual_mov_b32 v15, v23 :: v_dual_mov_b32 v16, v24
	v_dual_mov_b32 v17, v25 :: v_dual_mov_b32 v18, v26
	s_delay_alu instid0(VALU_DEP_4)
	v_dual_mov_b32 v19, v27 :: v_dual_mov_b32 v20, v28
	v_dual_mov_b32 v49, v4 :: v_dual_mov_b32 v24, v31
	;; [unrolled: 1-line block ×3, first 2 shown]
.LBB625_24:
	s_or_b32 exec_lo, exec_lo, s4
	v_cndmask_b32_e64 v21, v48, v38, s3
	v_and_b32_e32 v22, v39, v10
	s_mov_b32 s6, exec_lo
	s_delay_alu instid0(VALU_DEP_2) | instskip(NEXT) | instid1(VALU_DEP_1)
	v_and_b32_e32 v5, v21, v10
	v_cmp_gt_u32_e64 s3, v5, v4
	s_wait_alu 0xf1ff
	s_delay_alu instid0(VALU_DEP_1)
	v_cndmask_b32_e64 v9, v16, v14, s3
	v_cndmask_b32_e64 v8, v15, v13, s3
	;; [unrolled: 1-line block ×4, first 2 shown]
	v_mov_b32_e32 v15, v31
	v_cmpx_gt_u32_e64 v49, v22
; %bb.25:
	v_dual_mov_b32 v13, v17 :: v_dual_mov_b32 v14, v18
	v_mov_b32_e32 v17, v19
	v_dual_mov_b32 v15, v39 :: v_dual_mov_b32 v18, v20
	s_delay_alu instid0(VALU_DEP_3)
	v_dual_mov_b32 v39, v31 :: v_dual_mov_b32 v20, v14
	v_mov_b32_e32 v49, v22
	v_mov_b32_e32 v19, v13
; %bb.26:
	s_wait_alu 0xfffe
	s_or_b32 exec_lo, exec_lo, s6
	v_cndmask_b32_e64 v38, v24, v21, s3
	s_mov_b32 s6, exec_lo
	v_dual_mov_b32 v13, v17 :: v_dual_mov_b32 v14, v18
	s_delay_alu instid0(VALU_DEP_2) | instskip(NEXT) | instid1(VALU_DEP_1)
	v_dual_mov_b32 v23, v15 :: v_dual_and_b32 v16, v38, v10
	v_cmpx_gt_u32_e64 v16, v49
; %bb.27:
	v_dual_mov_b32 v14, v9 :: v_dual_mov_b32 v13, v8
	v_dual_mov_b32 v8, v17 :: v_dual_mov_b32 v9, v18
	;; [unrolled: 1-line block ×3, first 2 shown]
; %bb.28:
	s_wait_alu 0xfffe
	s_or_b32 exec_lo, exec_lo, s6
	v_cndmask_b32_e64 v48, v21, v24, s3
.LBB625_29:
	s_wait_alu 0xfffe
	s_or_b32 exec_lo, exec_lo, s5
	v_dual_mov_b32 v17, 0 :: v_dual_and_b32 v16, 0xffffff80, v11
	v_or_b32_e32 v11, 4, v37
	v_and_b32_e32 v18, 4, v37
	v_and_b32_e32 v31, 0x78, v37
	s_delay_alu instid0(VALU_DEP_4) | instskip(SKIP_2) | instid1(VALU_DEP_2)
	v_sub_nc_u32_e64 v15, 0x400, v16 clamp
	v_lshlrev_b64_e32 v[16:17], 2, v[16:17]
	s_mov_b32 s4, exec_lo
	v_min_u32_e32 v27, v15, v11
	v_min_u32_e32 v32, v15, v18
	s_delay_alu instid0(VALU_DEP_3) | instskip(NEXT) | instid1(VALU_DEP_3)
	v_add_co_u32 v12, null, v12, v16
	v_add_nc_u32_e32 v17, 4, v27
	v_sub_nc_u32_e32 v21, v27, v31
	s_delay_alu instid0(VALU_DEP_3) | instskip(SKIP_1) | instid1(VALU_DEP_4)
	v_add_co_u32 v11, null, v12, v16
	v_lshl_add_u32 v16, v37, 2, v12
	v_min_u32_e32 v28, v15, v17
	s_delay_alu instid0(VALU_DEP_3) | instskip(NEXT) | instid1(VALU_DEP_2)
	v_lshl_add_u32 v18, v37, 3, v11
	v_sub_nc_u32_e32 v17, v28, v27
	s_delay_alu instid0(VALU_DEP_2)
	v_add_nc_u32_e32 v22, 0x1000, v18
	s_wait_loadcnt_dscnt 0x0
	ds_store_2addr_b32 v16, v48, v38 offset1:1
	ds_store_2addr_b64 v22, v[4:5], v[8:9] offset1:1
	ds_store_2addr_b32 v16, v23, v39 offset0:2 offset1:3
	ds_store_2addr_b64 v22, v[13:14], v[19:20] offset0:2 offset1:3
	v_sub_nc_u32_e64 v33, v32, v17 clamp
	v_min_u32_e32 v17, v32, v21
	; wave barrier
	s_delay_alu instid0(VALU_DEP_1)
	v_cmpx_lt_u32_e64 v33, v17
	s_cbranch_execz .LBB625_33
; %bb.30:
	v_lshlrev_b32_e32 v21, 2, v31
	v_lshlrev_b32_e32 v22, 2, v27
	s_mov_b32 s5, 0
	s_delay_alu instid0(VALU_DEP_2) | instskip(NEXT) | instid1(VALU_DEP_2)
	v_add_co_u32 v21, null, v12, v21
	v_add_co_u32 v22, null, v12, v22
.LBB625_31:                             ; =>This Inner Loop Header: Depth=1
	v_add_nc_u32_e32 v24, v17, v33
	s_delay_alu instid0(VALU_DEP_1) | instskip(NEXT) | instid1(VALU_DEP_1)
	v_lshrrev_b32_e32 v24, 1, v24
	v_xad_u32 v25, v24, -1, v32
	v_lshl_add_u32 v26, v24, 2, v21
	v_add_nc_u32_e32 v49, 1, v24
	s_delay_alu instid0(VALU_DEP_3)
	v_lshl_add_u32 v25, v25, 2, v22
	ds_load_b32 v26, v26
	ds_load_b32 v25, v25
	s_wait_dscnt 0x1
	v_and_b32_e32 v26, v26, v10
	s_wait_dscnt 0x0
	v_and_b32_e32 v25, v25, v10
	s_delay_alu instid0(VALU_DEP_1) | instskip(SKIP_1) | instid1(VALU_DEP_1)
	v_cmp_gt_u32_e64 s3, v26, v25
	s_wait_alu 0xf1ff
	v_cndmask_b32_e64 v17, v17, v24, s3
	v_cndmask_b32_e64 v33, v49, v33, s3
	s_delay_alu instid0(VALU_DEP_1)
	v_cmp_ge_u32_e64 s3, v33, v17
	s_wait_alu 0xfffe
	s_or_b32 s5, s3, s5
	s_wait_alu 0xfffe
	s_and_not1_b32 exec_lo, exec_lo, s5
	s_cbranch_execnz .LBB625_31
; %bb.32:
	s_or_b32 exec_lo, exec_lo, s5
.LBB625_33:
	s_wait_alu 0xfffe
	s_or_b32 exec_lo, exec_lo, s4
	v_add_nc_u32_e32 v32, v27, v32
	v_add_nc_u32_e32 v49, v33, v31
	;; [unrolled: 1-line block ×5, first 2 shown]
	v_sub_nc_u32_e32 v32, v32, v33
	v_cmp_le_u32_e64 s3, v49, v27
	v_add_nc_u32_e32 v24, 8, v16
	v_add_nc_u32_e32 v25, 0x1010, v18
	;; [unrolled: 1-line block ×3, first 2 shown]
	v_cmp_le_u32_e64 s4, v32, v28
	v_add_nc_u32_e32 v18, 0x1018, v18
	s_or_b32 s3, s3, s4
	s_wait_alu 0xfffe
	s_and_saveexec_b32 s12, s3
	s_cbranch_execz .LBB625_39
; %bb.34:
	v_cmp_lt_u32_e64 s3, v49, v27
                                        ; implicit-def: $vgpr23
	s_and_saveexec_b32 s4, s3
; %bb.35:
	v_lshl_add_u32 v4, v49, 2, v12
	ds_load_b32 v23, v4
; %bb.36:
	s_wait_alu 0xfffe
	s_or_b32 exec_lo, exec_lo, s4
	v_cmp_ge_u32_e64 s4, v32, v28
	s_mov_b32 s6, exec_lo
                                        ; implicit-def: $vgpr31
	v_cmpx_lt_u32_e64 v32, v28
; %bb.37:
	v_lshl_add_u32 v4, v32, 2, v12
	ds_load_b32 v31, v4
; %bb.38:
	s_wait_alu 0xfffe
	s_or_b32 exec_lo, exec_lo, s6
	s_wait_dscnt 0x0
	v_and_b32_e32 v4, v31, v10
	v_and_b32_e32 v5, v23, v10
	s_delay_alu instid0(VALU_DEP_1)
	v_cmp_le_u32_e64 s5, v5, v4
	s_and_b32 s3, s3, s5
	s_wait_alu 0xfffe
	s_or_b32 s3, s4, s3
	s_wait_alu 0xfffe
	v_cndmask_b32_e64 v4, v32, v49, s3
	v_cndmask_b32_e64 v5, v28, v27, s3
	;; [unrolled: 1-line block ×3, first 2 shown]
	s_delay_alu instid0(VALU_DEP_3) | instskip(NEXT) | instid1(VALU_DEP_3)
	v_add_nc_u32_e32 v8, 1, v4
	v_add_nc_u32_e32 v5, -1, v5
	v_lshl_add_u32 v4, v4, 3, v11
	s_delay_alu instid0(VALU_DEP_2) | instskip(NEXT) | instid1(VALU_DEP_1)
	v_min_u32_e32 v5, v8, v5
	v_lshl_add_u32 v5, v5, 2, v12
	ds_load_b32 v5, v5
	s_wait_dscnt 0x0
	v_cndmask_b32_e64 v33, v5, v31, s3
	v_cndmask_b32_e64 v38, v23, v5, s3
	v_cndmask_b32_e64 v5, v49, v8, s3
	v_cndmask_b32_e64 v8, v8, v32, s3
	s_delay_alu instid0(VALU_DEP_4) | instskip(NEXT) | instid1(VALU_DEP_4)
	v_and_b32_e32 v9, v33, v10
	v_and_b32_e32 v13, v38, v10
	s_delay_alu instid0(VALU_DEP_4) | instskip(NEXT) | instid1(VALU_DEP_4)
	v_cmp_lt_u32_e64 s4, v5, v27
	v_cmp_ge_u32_e64 s6, v8, v28
	s_delay_alu instid0(VALU_DEP_3)
	v_cmp_le_u32_e64 s5, v13, v9
	s_and_b32 s4, s4, s5
	s_wait_alu 0xfffe
	s_or_b32 s4, s6, s4
	s_wait_alu 0xfffe
	v_cndmask_b32_e64 v9, v8, v5, s4
	v_cndmask_b32_e64 v13, v28, v27, s4
	s_delay_alu instid0(VALU_DEP_2) | instskip(NEXT) | instid1(VALU_DEP_2)
	v_add_nc_u32_e32 v14, 1, v9
	v_add_nc_u32_e32 v13, -1, v13
	s_delay_alu instid0(VALU_DEP_2) | instskip(NEXT) | instid1(VALU_DEP_2)
	v_cndmask_b32_e64 v5, v5, v14, s4
	v_min_u32_e32 v13, v14, v13
	v_cndmask_b32_e64 v8, v14, v8, s4
	s_delay_alu instid0(VALU_DEP_3) | instskip(NEXT) | instid1(VALU_DEP_3)
	v_cmp_lt_u32_e64 s5, v5, v27
	v_lshl_add_u32 v13, v13, 2, v12
	s_delay_alu instid0(VALU_DEP_3)
	v_cmp_ge_u32_e64 s7, v8, v28
	ds_load_b32 v13, v13
	s_wait_dscnt 0x0
	v_cndmask_b32_e64 v32, v13, v33, s4
	v_cndmask_b32_e64 v39, v38, v13, s4
	;; [unrolled: 1-line block ×3, first 2 shown]
	s_delay_alu instid0(VALU_DEP_3) | instskip(NEXT) | instid1(VALU_DEP_3)
	v_and_b32_e32 v13, v32, v10
	v_and_b32_e32 v19, v39, v10
	s_delay_alu instid0(VALU_DEP_1)
	v_cmp_le_u32_e64 s6, v19, v13
	s_and_b32 s5, s5, s6
	s_wait_alu 0xfffe
	s_or_b32 s5, s7, s5
	s_wait_alu 0xfffe
	v_cndmask_b32_e64 v13, v8, v5, s5
	v_cndmask_b32_e64 v14, v28, v27, s5
	;; [unrolled: 1-line block ×3, first 2 shown]
	s_delay_alu instid0(VALU_DEP_3) | instskip(NEXT) | instid1(VALU_DEP_3)
	v_add_nc_u32_e32 v19, 1, v13
	v_add_nc_u32_e32 v14, -1, v14
	v_lshl_add_u32 v13, v13, 3, v11
	s_delay_alu instid0(VALU_DEP_3) | instskip(NEXT) | instid1(VALU_DEP_3)
	v_cndmask_b32_e64 v5, v5, v19, s5
	v_min_u32_e32 v14, v19, v14
	v_cndmask_b32_e64 v8, v19, v8, s5
	s_delay_alu instid0(VALU_DEP_3) | instskip(NEXT) | instid1(VALU_DEP_3)
	v_cmp_lt_u32_e64 s6, v5, v27
	v_lshl_add_u32 v14, v14, 2, v12
	s_delay_alu instid0(VALU_DEP_3) | instskip(SKIP_4) | instid1(VALU_DEP_2)
	v_cmp_ge_u32_e64 s10, v8, v28
	ds_load_b32 v14, v14
	s_wait_dscnt 0x0
	v_cndmask_b32_e64 v49, v14, v32, s5
	v_cndmask_b32_e64 v50, v39, v14, s5
	v_and_b32_e32 v14, v49, v10
	s_delay_alu instid0(VALU_DEP_2) | instskip(NEXT) | instid1(VALU_DEP_1)
	v_and_b32_e32 v20, v50, v10
	v_cmp_le_u32_e64 s7, v20, v14
	s_and_b32 s6, s6, s7
	s_wait_alu 0xfffe
	s_or_b32 s6, s10, s6
	s_wait_alu 0xfffe
	v_cndmask_b32_e64 v5, v8, v5, s6
	v_lshl_add_u32 v8, v9, 3, v11
	v_cndmask_b32_e64 v39, v49, v50, s6
	s_delay_alu instid0(VALU_DEP_3)
	v_lshl_add_u32 v19, v5, 3, v11
	ds_load_b64 v[4:5], v4 offset:4096
	ds_load_b64 v[8:9], v8 offset:4096
	;; [unrolled: 1-line block ×4, first 2 shown]
.LBB625_39:
	s_wait_alu 0xfffe
	s_or_b32 exec_lo, exec_lo, s12
	v_and_b32_e32 v31, 0x70, v37
	v_and_b32_e32 v32, 12, v37
	s_mov_b32 s4, exec_lo
	; wave barrier
	s_delay_alu instid0(VALU_DEP_2) | instskip(NEXT) | instid1(VALU_DEP_2)
	v_or_b32_e32 v27, 8, v31
	v_min_u32_e32 v32, v15, v32
	ds_store_b32 v16, v48
	s_wait_dscnt 0x4
	ds_store_b64 v26, v[4:5]
	ds_store_b32 v21, v38
	s_wait_dscnt 0x5
	ds_store_b64 v22, v[8:9]
	;; [unrolled: 3-line block ×4, first 2 shown]
	v_min_u32_e32 v27, v15, v27
	; wave barrier
	s_delay_alu instid0(VALU_DEP_1) | instskip(SKIP_1) | instid1(VALU_DEP_2)
	v_add_nc_u32_e32 v28, 8, v27
	v_sub_nc_u32_e32 v49, v27, v31
	v_min_u32_e32 v28, v15, v28
	s_delay_alu instid0(VALU_DEP_2) | instskip(NEXT) | instid1(VALU_DEP_2)
	v_min_u32_e32 v49, v32, v49
	v_sub_nc_u32_e32 v33, v28, v27
	s_delay_alu instid0(VALU_DEP_1) | instskip(NEXT) | instid1(VALU_DEP_1)
	v_sub_nc_u32_e64 v33, v32, v33 clamp
	v_cmpx_lt_u32_e64 v33, v49
	s_cbranch_execz .LBB625_43
; %bb.40:
	v_lshlrev_b32_e32 v50, 2, v31
	v_lshlrev_b32_e32 v51, 2, v27
	s_mov_b32 s5, 0
	s_delay_alu instid0(VALU_DEP_2) | instskip(NEXT) | instid1(VALU_DEP_2)
	v_add_co_u32 v50, null, v12, v50
	v_add_co_u32 v51, null, v12, v51
.LBB625_41:                             ; =>This Inner Loop Header: Depth=1
	v_add_nc_u32_e32 v52, v49, v33
	s_delay_alu instid0(VALU_DEP_1) | instskip(NEXT) | instid1(VALU_DEP_1)
	v_lshrrev_b32_e32 v52, 1, v52
	v_xad_u32 v53, v52, -1, v32
	v_lshl_add_u32 v54, v52, 2, v50
	v_add_nc_u32_e32 v55, 1, v52
	s_delay_alu instid0(VALU_DEP_3)
	v_lshl_add_u32 v53, v53, 2, v51
	ds_load_b32 v54, v54
	ds_load_b32 v53, v53
	s_wait_dscnt 0x1
	v_and_b32_e32 v54, v54, v10
	s_wait_dscnt 0x0
	v_and_b32_e32 v53, v53, v10
	s_delay_alu instid0(VALU_DEP_1) | instskip(SKIP_1) | instid1(VALU_DEP_1)
	v_cmp_gt_u32_e64 s3, v54, v53
	s_wait_alu 0xf1ff
	v_cndmask_b32_e64 v49, v49, v52, s3
	v_cndmask_b32_e64 v33, v55, v33, s3
	s_delay_alu instid0(VALU_DEP_1)
	v_cmp_ge_u32_e64 s3, v33, v49
	s_wait_alu 0xfffe
	s_or_b32 s5, s3, s5
	s_wait_alu 0xfffe
	s_and_not1_b32 exec_lo, exec_lo, s5
	s_cbranch_execnz .LBB625_41
; %bb.42:
	s_or_b32 exec_lo, exec_lo, s5
.LBB625_43:
	s_wait_alu 0xfffe
	s_or_b32 exec_lo, exec_lo, s4
	v_add_nc_u32_e32 v32, v27, v32
	v_add_nc_u32_e32 v49, v33, v31
	s_delay_alu instid0(VALU_DEP_2) | instskip(NEXT) | instid1(VALU_DEP_2)
	v_sub_nc_u32_e32 v32, v32, v33
	v_cmp_le_u32_e64 s3, v49, v27
	s_delay_alu instid0(VALU_DEP_2)
	v_cmp_le_u32_e64 s4, v32, v28
	s_or_b32 s3, s3, s4
	s_wait_alu 0xfffe
	s_and_saveexec_b32 s12, s3
	s_cbranch_execz .LBB625_49
; %bb.44:
	v_cmp_lt_u32_e64 s3, v49, v27
                                        ; implicit-def: $vgpr23
	s_and_saveexec_b32 s4, s3
; %bb.45:
	v_lshl_add_u32 v4, v49, 2, v12
	ds_load_b32 v23, v4
; %bb.46:
	s_wait_alu 0xfffe
	s_or_b32 exec_lo, exec_lo, s4
	v_cmp_ge_u32_e64 s4, v32, v28
	s_mov_b32 s6, exec_lo
                                        ; implicit-def: $vgpr31
	v_cmpx_lt_u32_e64 v32, v28
; %bb.47:
	v_lshl_add_u32 v4, v32, 2, v12
	ds_load_b32 v31, v4
; %bb.48:
	s_wait_alu 0xfffe
	s_or_b32 exec_lo, exec_lo, s6
	s_wait_dscnt 0x0
	v_and_b32_e32 v4, v31, v10
	v_and_b32_e32 v5, v23, v10
	s_delay_alu instid0(VALU_DEP_1)
	v_cmp_le_u32_e64 s5, v5, v4
	s_and_b32 s3, s3, s5
	s_wait_alu 0xfffe
	s_or_b32 s3, s4, s3
	s_wait_alu 0xfffe
	v_cndmask_b32_e64 v4, v32, v49, s3
	v_cndmask_b32_e64 v5, v28, v27, s3
	;; [unrolled: 1-line block ×3, first 2 shown]
	s_delay_alu instid0(VALU_DEP_3) | instskip(NEXT) | instid1(VALU_DEP_3)
	v_add_nc_u32_e32 v8, 1, v4
	v_add_nc_u32_e32 v5, -1, v5
	v_lshl_add_u32 v4, v4, 3, v11
	s_delay_alu instid0(VALU_DEP_2) | instskip(NEXT) | instid1(VALU_DEP_1)
	v_min_u32_e32 v5, v8, v5
	v_lshl_add_u32 v5, v5, 2, v12
	ds_load_b32 v5, v5
	s_wait_dscnt 0x0
	v_cndmask_b32_e64 v33, v5, v31, s3
	v_cndmask_b32_e64 v38, v23, v5, s3
	;; [unrolled: 1-line block ×4, first 2 shown]
	s_delay_alu instid0(VALU_DEP_4) | instskip(NEXT) | instid1(VALU_DEP_4)
	v_and_b32_e32 v9, v33, v10
	v_and_b32_e32 v13, v38, v10
	s_delay_alu instid0(VALU_DEP_4) | instskip(NEXT) | instid1(VALU_DEP_4)
	v_cmp_lt_u32_e64 s4, v5, v27
	v_cmp_ge_u32_e64 s6, v8, v28
	s_delay_alu instid0(VALU_DEP_3)
	v_cmp_le_u32_e64 s5, v13, v9
	s_and_b32 s4, s4, s5
	s_wait_alu 0xfffe
	s_or_b32 s4, s6, s4
	s_wait_alu 0xfffe
	v_cndmask_b32_e64 v9, v8, v5, s4
	v_cndmask_b32_e64 v13, v28, v27, s4
	s_delay_alu instid0(VALU_DEP_2) | instskip(NEXT) | instid1(VALU_DEP_2)
	v_add_nc_u32_e32 v14, 1, v9
	v_add_nc_u32_e32 v13, -1, v13
	s_delay_alu instid0(VALU_DEP_2) | instskip(NEXT) | instid1(VALU_DEP_2)
	v_cndmask_b32_e64 v5, v5, v14, s4
	v_min_u32_e32 v13, v14, v13
	v_cndmask_b32_e64 v8, v14, v8, s4
	s_delay_alu instid0(VALU_DEP_3) | instskip(NEXT) | instid1(VALU_DEP_3)
	v_cmp_lt_u32_e64 s5, v5, v27
	v_lshl_add_u32 v13, v13, 2, v12
	s_delay_alu instid0(VALU_DEP_3)
	v_cmp_ge_u32_e64 s7, v8, v28
	ds_load_b32 v13, v13
	s_wait_dscnt 0x0
	v_cndmask_b32_e64 v32, v13, v33, s4
	v_cndmask_b32_e64 v39, v38, v13, s4
	v_cndmask_b32_e64 v38, v33, v38, s4
	s_delay_alu instid0(VALU_DEP_3) | instskip(NEXT) | instid1(VALU_DEP_3)
	v_and_b32_e32 v13, v32, v10
	v_and_b32_e32 v19, v39, v10
	s_delay_alu instid0(VALU_DEP_1)
	v_cmp_le_u32_e64 s6, v19, v13
	s_and_b32 s5, s5, s6
	s_wait_alu 0xfffe
	s_or_b32 s5, s7, s5
	s_wait_alu 0xfffe
	v_cndmask_b32_e64 v13, v8, v5, s5
	v_cndmask_b32_e64 v14, v28, v27, s5
	v_cndmask_b32_e64 v23, v32, v39, s5
	s_delay_alu instid0(VALU_DEP_3) | instskip(NEXT) | instid1(VALU_DEP_3)
	v_add_nc_u32_e32 v19, 1, v13
	v_add_nc_u32_e32 v14, -1, v14
	v_lshl_add_u32 v13, v13, 3, v11
	s_delay_alu instid0(VALU_DEP_3) | instskip(NEXT) | instid1(VALU_DEP_3)
	v_cndmask_b32_e64 v5, v5, v19, s5
	v_min_u32_e32 v14, v19, v14
	v_cndmask_b32_e64 v8, v19, v8, s5
	s_delay_alu instid0(VALU_DEP_3) | instskip(NEXT) | instid1(VALU_DEP_3)
	v_cmp_lt_u32_e64 s6, v5, v27
	v_lshl_add_u32 v14, v14, 2, v12
	s_delay_alu instid0(VALU_DEP_3) | instskip(SKIP_4) | instid1(VALU_DEP_2)
	v_cmp_ge_u32_e64 s10, v8, v28
	ds_load_b32 v14, v14
	s_wait_dscnt 0x0
	v_cndmask_b32_e64 v49, v14, v32, s5
	v_cndmask_b32_e64 v50, v39, v14, s5
	v_and_b32_e32 v14, v49, v10
	s_delay_alu instid0(VALU_DEP_2) | instskip(NEXT) | instid1(VALU_DEP_1)
	v_and_b32_e32 v20, v50, v10
	v_cmp_le_u32_e64 s7, v20, v14
	s_and_b32 s6, s6, s7
	s_wait_alu 0xfffe
	s_or_b32 s6, s10, s6
	s_wait_alu 0xfffe
	v_cndmask_b32_e64 v5, v8, v5, s6
	v_lshl_add_u32 v8, v9, 3, v11
	v_cndmask_b32_e64 v39, v49, v50, s6
	s_delay_alu instid0(VALU_DEP_3)
	v_lshl_add_u32 v19, v5, 3, v11
	ds_load_b64 v[4:5], v4 offset:4096
	ds_load_b64 v[8:9], v8 offset:4096
	;; [unrolled: 1-line block ×4, first 2 shown]
.LBB625_49:
	s_wait_alu 0xfffe
	s_or_b32 exec_lo, exec_lo, s12
	v_and_b32_e32 v31, 0x60, v37
	; wave barrier
	ds_store_b32 v16, v48
	s_wait_dscnt 0x4
	ds_store_b64 v26, v[4:5]
	s_mov_b32 s4, exec_lo
	v_or_b32_e32 v27, 16, v31
	ds_store_b32 v21, v38
	s_wait_dscnt 0x5
	ds_store_b64 v22, v[8:9]
	ds_store_b32 v24, v23
	s_wait_dscnt 0x6
	ds_store_b64 v25, v[13:14]
	;; [unrolled: 3-line block ×3, first 2 shown]
	; wave barrier
	v_min_u32_e32 v27, v15, v27
	s_delay_alu instid0(VALU_DEP_1) | instskip(SKIP_1) | instid1(VALU_DEP_2)
	v_add_nc_u32_e32 v28, 16, v27
	v_sub_nc_u32_e32 v33, v27, v31
	v_min_u32_e32 v28, v15, v28
	v_min_u32_e32 v15, v15, v36
	s_delay_alu instid0(VALU_DEP_2) | instskip(NEXT) | instid1(VALU_DEP_2)
	v_sub_nc_u32_e32 v32, v28, v27
	v_min_u32_e32 v26, v15, v33
	s_delay_alu instid0(VALU_DEP_2) | instskip(NEXT) | instid1(VALU_DEP_1)
	v_sub_nc_u32_e64 v16, v15, v32 clamp
	v_cmpx_lt_u32_e64 v16, v26
	s_cbranch_execz .LBB625_53
; %bb.50:
	v_lshlrev_b32_e32 v17, 2, v31
	v_lshlrev_b32_e32 v18, 2, v27
	s_mov_b32 s5, 0
	s_delay_alu instid0(VALU_DEP_2) | instskip(NEXT) | instid1(VALU_DEP_2)
	v_add_co_u32 v17, null, v12, v17
	v_add_co_u32 v18, null, v12, v18
.LBB625_51:                             ; =>This Inner Loop Header: Depth=1
	v_add_nc_u32_e32 v21, v26, v16
	s_delay_alu instid0(VALU_DEP_1) | instskip(NEXT) | instid1(VALU_DEP_1)
	v_lshrrev_b32_e32 v21, 1, v21
	v_xad_u32 v22, v21, -1, v15
	v_lshl_add_u32 v24, v21, 2, v17
	v_add_nc_u32_e32 v25, 1, v21
	s_delay_alu instid0(VALU_DEP_3)
	v_lshl_add_u32 v22, v22, 2, v18
	ds_load_b32 v24, v24
	ds_load_b32 v22, v22
	s_wait_dscnt 0x1
	v_and_b32_e32 v24, v24, v10
	s_wait_dscnt 0x0
	v_and_b32_e32 v22, v22, v10
	s_delay_alu instid0(VALU_DEP_1) | instskip(SKIP_1) | instid1(VALU_DEP_1)
	v_cmp_gt_u32_e64 s3, v24, v22
	s_wait_alu 0xf1ff
	v_cndmask_b32_e64 v26, v26, v21, s3
	v_cndmask_b32_e64 v16, v25, v16, s3
	s_delay_alu instid0(VALU_DEP_1)
	v_cmp_ge_u32_e64 s3, v16, v26
	s_wait_alu 0xfffe
	s_or_b32 s5, s3, s5
	s_wait_alu 0xfffe
	s_and_not1_b32 exec_lo, exec_lo, s5
	s_cbranch_execnz .LBB625_51
; %bb.52:
	s_or_b32 exec_lo, exec_lo, s5
.LBB625_53:
	s_wait_alu 0xfffe
	s_or_b32 exec_lo, exec_lo, s4
	v_add_nc_u32_e32 v15, v27, v15
	v_add_nc_u32_e32 v18, v16, v31
	s_delay_alu instid0(VALU_DEP_2) | instskip(NEXT) | instid1(VALU_DEP_2)
	v_sub_nc_u32_e32 v17, v15, v16
	v_cmp_le_u32_e64 s3, v18, v27
	s_delay_alu instid0(VALU_DEP_2)
	v_cmp_le_u32_e64 s4, v17, v28
	s_or_b32 s3, s3, s4
	s_wait_alu 0xfffe
	s_and_saveexec_b32 s12, s3
	s_cbranch_execz .LBB625_59
; %bb.54:
	v_cmp_lt_u32_e64 s3, v18, v27
                                        ; implicit-def: $vgpr15
	s_and_saveexec_b32 s4, s3
; %bb.55:
	v_lshl_add_u32 v4, v18, 2, v12
	ds_load_b32 v15, v4
; %bb.56:
	s_wait_alu 0xfffe
	s_or_b32 exec_lo, exec_lo, s4
	v_cmp_ge_u32_e64 s4, v17, v28
	s_mov_b32 s6, exec_lo
                                        ; implicit-def: $vgpr16
	v_cmpx_lt_u32_e64 v17, v28
; %bb.57:
	v_lshl_add_u32 v4, v17, 2, v12
	ds_load_b32 v16, v4
; %bb.58:
	s_wait_alu 0xfffe
	s_or_b32 exec_lo, exec_lo, s6
	s_wait_dscnt 0x0
	v_and_b32_e32 v4, v16, v10
	v_and_b32_e32 v5, v15, v10
	s_delay_alu instid0(VALU_DEP_1)
	v_cmp_le_u32_e64 s5, v5, v4
	s_and_b32 s3, s3, s5
	s_wait_alu 0xfffe
	s_or_b32 s3, s4, s3
	s_wait_alu 0xfffe
	v_cndmask_b32_e64 v4, v17, v18, s3
	v_cndmask_b32_e64 v5, v28, v27, s3
	;; [unrolled: 1-line block ×3, first 2 shown]
	s_delay_alu instid0(VALU_DEP_3) | instskip(NEXT) | instid1(VALU_DEP_3)
	v_add_nc_u32_e32 v8, 1, v4
	v_add_nc_u32_e32 v5, -1, v5
	v_lshl_add_u32 v4, v4, 3, v11
	s_delay_alu instid0(VALU_DEP_2) | instskip(NEXT) | instid1(VALU_DEP_1)
	v_min_u32_e32 v5, v8, v5
	v_lshl_add_u32 v5, v5, 2, v12
	ds_load_b32 v5, v5
	s_wait_dscnt 0x0
	v_cndmask_b32_e64 v21, v5, v16, s3
	v_cndmask_b32_e64 v22, v15, v5, s3
	;; [unrolled: 1-line block ×4, first 2 shown]
	s_delay_alu instid0(VALU_DEP_4) | instskip(NEXT) | instid1(VALU_DEP_4)
	v_and_b32_e32 v9, v21, v10
	v_and_b32_e32 v13, v22, v10
	s_delay_alu instid0(VALU_DEP_4) | instskip(NEXT) | instid1(VALU_DEP_4)
	v_cmp_lt_u32_e64 s4, v5, v27
	v_cmp_ge_u32_e64 s6, v8, v28
	s_delay_alu instid0(VALU_DEP_3)
	v_cmp_le_u32_e64 s5, v13, v9
	s_and_b32 s4, s4, s5
	s_wait_alu 0xfffe
	s_or_b32 s4, s6, s4
	s_wait_alu 0xfffe
	v_cndmask_b32_e64 v9, v8, v5, s4
	v_cndmask_b32_e64 v13, v28, v27, s4
	;; [unrolled: 1-line block ×3, first 2 shown]
	s_delay_alu instid0(VALU_DEP_3) | instskip(NEXT) | instid1(VALU_DEP_3)
	v_add_nc_u32_e32 v14, 1, v9
	v_add_nc_u32_e32 v13, -1, v13
	s_delay_alu instid0(VALU_DEP_2) | instskip(NEXT) | instid1(VALU_DEP_2)
	v_cndmask_b32_e64 v5, v5, v14, s4
	v_min_u32_e32 v13, v14, v13
	v_cndmask_b32_e64 v8, v14, v8, s4
	s_delay_alu instid0(VALU_DEP_3) | instskip(NEXT) | instid1(VALU_DEP_3)
	v_cmp_lt_u32_e64 s5, v5, v27
	v_lshl_add_u32 v13, v13, 2, v12
	s_delay_alu instid0(VALU_DEP_3) | instskip(SKIP_4) | instid1(VALU_DEP_2)
	v_cmp_ge_u32_e64 s7, v8, v28
	ds_load_b32 v13, v13
	s_wait_dscnt 0x0
	v_cndmask_b32_e64 v17, v13, v21, s4
	v_cndmask_b32_e64 v18, v22, v13, s4
	v_and_b32_e32 v13, v17, v10
	s_delay_alu instid0(VALU_DEP_2) | instskip(NEXT) | instid1(VALU_DEP_1)
	v_and_b32_e32 v19, v18, v10
	v_cmp_le_u32_e64 s6, v19, v13
	s_and_b32 s5, s5, s6
	s_wait_alu 0xfffe
	s_or_b32 s5, s7, s5
	s_wait_alu 0xfffe
	v_cndmask_b32_e64 v13, v8, v5, s5
	v_cndmask_b32_e64 v14, v28, v27, s5
	;; [unrolled: 1-line block ×3, first 2 shown]
	s_delay_alu instid0(VALU_DEP_3) | instskip(NEXT) | instid1(VALU_DEP_3)
	v_add_nc_u32_e32 v19, 1, v13
	v_add_nc_u32_e32 v14, -1, v14
	s_delay_alu instid0(VALU_DEP_2) | instskip(NEXT) | instid1(VALU_DEP_2)
	v_cndmask_b32_e64 v5, v5, v19, s5
	v_min_u32_e32 v14, v19, v14
	v_cndmask_b32_e64 v8, v19, v8, s5
	s_delay_alu instid0(VALU_DEP_3) | instskip(NEXT) | instid1(VALU_DEP_3)
	v_cmp_lt_u32_e64 s6, v5, v27
	v_lshl_add_u32 v12, v14, 2, v12
	s_delay_alu instid0(VALU_DEP_3) | instskip(SKIP_4) | instid1(VALU_DEP_2)
	v_cmp_ge_u32_e64 s10, v8, v28
	ds_load_b32 v12, v12
	s_wait_dscnt 0x0
	v_cndmask_b32_e64 v24, v12, v17, s5
	v_cndmask_b32_e64 v12, v18, v12, s5
	v_and_b32_e32 v14, v24, v10
	s_delay_alu instid0(VALU_DEP_2) | instskip(NEXT) | instid1(VALU_DEP_1)
	v_and_b32_e32 v10, v12, v10
	v_cmp_le_u32_e64 s7, v10, v14
	v_lshl_add_u32 v10, v13, 3, v11
	s_and_b32 s6, s6, s7
	s_wait_alu 0xfffe
	s_or_b32 s6, s10, s6
	s_wait_alu 0xfffe
	v_cndmask_b32_e64 v5, v8, v5, s6
	v_lshl_add_u32 v8, v9, 3, v11
	v_cndmask_b32_e64 v39, v24, v12, s6
	s_delay_alu instid0(VALU_DEP_3)
	v_lshl_add_u32 v11, v5, 3, v11
	ds_load_b64 v[4:5], v4 offset:4096
	ds_load_b64 v[8:9], v8 offset:4096
	;; [unrolled: 1-line block ×4, first 2 shown]
.LBB625_59:
	s_wait_alu 0xfffe
	s_or_b32 exec_lo, exec_lo, s12
	; wave barrier
	s_wait_storecnt_dscnt 0x0
	s_barrier_signal -1
	s_barrier_wait -1
                                        ; implicit-def: $vgpr37
                                        ; implicit-def: $vgpr12
                                        ; implicit-def: $vgpr36
                                        ; implicit-def: $vgpr16
                                        ; implicit-def: $vgpr24
                                        ; implicit-def: $vgpr15
                                        ; implicit-def: $vgpr32_vgpr33
                                        ; implicit-def: $vgpr21_vgpr22
                                        ; implicit-def: $vgpr17_vgpr18
.LBB625_60:
	s_wait_alu 0xfffe
	s_and_not1_saveexec_b32 s10, s11
	s_cbranch_execz .LBB625_96
; %bb.61:
	s_load_b64 s[4:5], s[8:9], 0x0
	s_and_b32 s3, ttmp7, 0xffff
	s_mov_b32 s7, 0
	s_wait_kmcnt 0x0
	s_wait_alu 0xfffe
	s_cmp_lt_u32 s3, s5
	s_cselect_b32 s6, 14, 20
	s_cmp_lt_u32 ttmp9, s4
	s_wait_alu 0xfffe
	s_add_nc_u64 s[12:13], s[8:9], s[6:7]
	s_cselect_b32 s6, 12, 18
	s_load_u16 s3, s[12:13], 0x0
	s_add_nc_u64 s[4:5], s[8:9], s[6:7]
	s_mov_b32 s6, exec_lo
	s_load_u16 s4, s[4:5], 0x0
	s_wait_kmcnt 0x0
	v_mad_u32_u24 v10, v24, s3, v16
	s_delay_alu instid0(VALU_DEP_1) | instskip(NEXT) | instid1(VALU_DEP_1)
	v_mul_lo_u32 v10, v10, s4
	v_add_lshl_u32 v10, v10, v15, 2
	s_delay_alu instid0(VALU_DEP_1)
	v_cmpx_gt_u32_e32 0x400, v10
	s_cbranch_execz .LBB625_65
; %bb.62:
	s_wait_loadcnt_dscnt 0x0
	v_cmp_gt_i32_e64 s3, v48, v38
	v_max_i32_e32 v8, v48, v38
	v_cmp_gt_i32_e64 s4, v23, v39
	v_min_i32_e32 v14, v23, v39
	v_max_i32_e32 v15, v23, v39
	v_min_i32_e32 v11, v48, v38
	s_wait_alu 0xf1ff
	v_cndmask_b32_e64 v13, v4, v17, s3
	v_cndmask_b32_e64 v9, v5, v18, s3
	v_cndmask_b32_e64 v5, v18, v5, s3
	v_cndmask_b32_e64 v4, v17, v4, s3
	v_cndmask_b32_e64 v24, v32, v21, s4
	v_cndmask_b32_e64 v18, v22, v33, s4
	v_cndmask_b32_e64 v19, v21, v32, s4
	v_cmp_gt_i32_e64 s5, v8, v14
	v_cndmask_b32_e64 v21, v33, v22, s4
	v_max_i32_e32 v17, v8, v14
	v_cmp_gt_i32_e64 s4, v8, v15
	v_min_i32_e32 v16, v8, v14
	s_wait_alu 0xf1ff
	v_cndmask_b32_e64 v22, v19, v4, s5
	v_cndmask_b32_e64 v20, v5, v18, s5
	v_cmp_lt_i32_e64 s3, v14, v11
	v_cndmask_b32_e64 v14, v4, v19, s5
	v_cndmask_b32_e64 v23, v18, v5, s5
	v_cndmask_b32_e64 v18, v17, v15, s4
	v_cndmask_b32_e64 v19, v24, v22, s4
	s_wait_alu 0xf1ff
	v_cndmask_b32_e64 v38, v16, v11, s3
	v_cndmask_b32_e64 v5, v9, v20, s3
	;; [unrolled: 1-line block ×8, first 2 shown]
	v_mov_b32_e32 v23, v18
	s_mov_b32 s7, exec_lo
	v_cmpx_gt_i32_e64 v38, v18
; %bb.63:
	s_delay_alu instid0(VALU_DEP_3) | instskip(SKIP_2) | instid1(VALU_DEP_3)
	v_dual_mov_b32 v22, v14 :: v_dual_mov_b32 v21, v13
	v_dual_mov_b32 v14, v9 :: v_dual_mov_b32 v13, v8
	;; [unrolled: 1-line block ×4, first 2 shown]
; %bb.64:
	s_wait_alu 0xfffe
	s_or_b32 exec_lo, exec_lo, s7
	v_cndmask_b32_e64 v48, v11, v16, s3
	v_cndmask_b32_e64 v39, v15, v17, s4
.LBB625_65:
	s_or_b32 exec_lo, exec_lo, s6
	v_dual_mov_b32 v11, 0 :: v_dual_and_b32 v10, 0xffffff80, v10
	v_or_b32_e32 v16, 4, v37
	v_and_b32_e32 v28, 0x78, v37
	s_mov_b32 s4, exec_lo
	s_delay_alu instid0(VALU_DEP_3) | instskip(SKIP_1) | instid1(VALU_DEP_2)
	v_sub_nc_u32_e64 v15, 0x400, v10 clamp
	v_lshlrev_b64_e32 v[10:11], 2, v[10:11]
	v_min_u32_e32 v26, v15, v16
	v_and_b32_e32 v16, 4, v37
	s_delay_alu instid0(VALU_DEP_3) | instskip(NEXT) | instid1(VALU_DEP_3)
	v_add_co_u32 v11, null, v12, v10
	v_add_nc_u32_e32 v12, 4, v26
	s_delay_alu instid0(VALU_DEP_3) | instskip(NEXT) | instid1(VALU_DEP_3)
	v_min_u32_e32 v31, v15, v16
	v_add_co_u32 v10, null, v11, v10
	v_sub_nc_u32_e32 v18, v26, v28
	s_delay_alu instid0(VALU_DEP_4) | instskip(SKIP_1) | instid1(VALU_DEP_4)
	v_min_u32_e32 v27, v15, v12
	v_lshl_add_u32 v12, v37, 2, v11
	v_lshl_add_u32 v17, v37, 3, v10
	s_delay_alu instid0(VALU_DEP_3) | instskip(NEXT) | instid1(VALU_DEP_2)
	v_sub_nc_u32_e32 v16, v27, v26
	v_add_nc_u32_e32 v21, 0x1000, v17
	s_wait_loadcnt_dscnt 0x0
	ds_store_2addr_b32 v12, v48, v38 offset1:1
	ds_store_2addr_b64 v21, v[4:5], v[8:9] offset1:1
	ds_store_2addr_b32 v12, v23, v39 offset0:2 offset1:3
	ds_store_2addr_b64 v21, v[13:14], v[19:20] offset0:2 offset1:3
	v_sub_nc_u32_e64 v32, v31, v16 clamp
	v_min_u32_e32 v16, v31, v18
	; wave barrier
	s_delay_alu instid0(VALU_DEP_1)
	v_cmpx_lt_u32_e64 v32, v16
	s_cbranch_execz .LBB625_69
; %bb.66:
	v_lshlrev_b32_e32 v18, 2, v28
	v_lshlrev_b32_e32 v21, 2, v26
	s_mov_b32 s5, 0
	s_delay_alu instid0(VALU_DEP_2) | instskip(NEXT) | instid1(VALU_DEP_2)
	v_add_co_u32 v18, null, v11, v18
	v_add_co_u32 v21, null, v11, v21
.LBB625_67:                             ; =>This Inner Loop Header: Depth=1
	v_add_nc_u32_e32 v22, v16, v32
	s_delay_alu instid0(VALU_DEP_1) | instskip(NEXT) | instid1(VALU_DEP_1)
	v_lshrrev_b32_e32 v22, 1, v22
	v_xad_u32 v24, v22, -1, v31
	v_lshl_add_u32 v25, v22, 2, v18
	v_add_nc_u32_e32 v33, 1, v22
	s_delay_alu instid0(VALU_DEP_3)
	v_lshl_add_u32 v24, v24, 2, v21
	ds_load_b32 v25, v25
	ds_load_b32 v24, v24
	s_wait_dscnt 0x0
	v_cmp_gt_i32_e64 s3, v25, v24
	s_wait_alu 0xf1ff
	s_delay_alu instid0(VALU_DEP_1) | instskip(SKIP_1) | instid1(VALU_DEP_1)
	v_cndmask_b32_e64 v16, v16, v22, s3
	v_cndmask_b32_e64 v32, v33, v32, s3
	v_cmp_ge_u32_e64 s3, v32, v16
	s_wait_alu 0xfffe
	s_or_b32 s5, s3, s5
	s_wait_alu 0xfffe
	s_and_not1_b32 exec_lo, exec_lo, s5
	s_cbranch_execnz .LBB625_67
; %bb.68:
	s_or_b32 exec_lo, exec_lo, s5
.LBB625_69:
	s_wait_alu 0xfffe
	s_or_b32 exec_lo, exec_lo, s4
	v_add_nc_u32_e32 v31, v26, v31
	v_add_nc_u32_e32 v33, v32, v28
	;; [unrolled: 1-line block ×5, first 2 shown]
	v_sub_nc_u32_e32 v31, v31, v32
	v_cmp_le_u32_e64 s3, v33, v26
	v_add_nc_u32_e32 v22, 8, v12
	v_add_nc_u32_e32 v24, 0x1010, v17
	;; [unrolled: 1-line block ×3, first 2 shown]
	v_cmp_le_u32_e64 s4, v31, v27
	v_add_nc_u32_e32 v17, 0x1018, v17
	s_or_b32 s3, s3, s4
	s_wait_alu 0xfffe
	s_and_saveexec_b32 s9, s3
	s_cbranch_execz .LBB625_75
; %bb.70:
	v_cmp_lt_u32_e64 s3, v33, v26
                                        ; implicit-def: $vgpr23
	s_and_saveexec_b32 s4, s3
; %bb.71:
	v_lshl_add_u32 v4, v33, 2, v11
	ds_load_b32 v23, v4
; %bb.72:
	s_wait_alu 0xfffe
	s_or_b32 exec_lo, exec_lo, s4
	v_cmp_ge_u32_e64 s4, v31, v27
	s_mov_b32 s6, exec_lo
                                        ; implicit-def: $vgpr28
	v_cmpx_lt_u32_e64 v31, v27
; %bb.73:
	v_lshl_add_u32 v4, v31, 2, v11
	ds_load_b32 v28, v4
; %bb.74:
	s_wait_alu 0xfffe
	s_or_b32 exec_lo, exec_lo, s6
	s_wait_dscnt 0x0
	v_cmp_le_i32_e64 s5, v23, v28
	s_and_b32 s3, s3, s5
	s_wait_alu 0xfffe
	s_or_b32 s3, s4, s3
	s_wait_alu 0xfffe
	v_cndmask_b32_e64 v4, v31, v33, s3
	v_cndmask_b32_e64 v5, v27, v26, s3
	;; [unrolled: 1-line block ×3, first 2 shown]
	s_delay_alu instid0(VALU_DEP_3) | instskip(NEXT) | instid1(VALU_DEP_3)
	v_add_nc_u32_e32 v8, 1, v4
	v_add_nc_u32_e32 v5, -1, v5
	v_lshl_add_u32 v4, v4, 3, v10
	s_delay_alu instid0(VALU_DEP_3) | instskip(NEXT) | instid1(VALU_DEP_3)
	v_cndmask_b32_e64 v9, v33, v8, s3
	v_min_u32_e32 v5, v8, v5
	s_delay_alu instid0(VALU_DEP_2) | instskip(NEXT) | instid1(VALU_DEP_2)
	v_cmp_lt_u32_e64 s4, v9, v26
	v_lshl_add_u32 v5, v5, 2, v11
	ds_load_b32 v5, v5
	s_wait_dscnt 0x0
	v_cndmask_b32_e64 v32, v5, v28, s3
	v_cndmask_b32_e64 v33, v23, v5, s3
	v_cndmask_b32_e64 v5, v8, v31, s3
	s_delay_alu instid0(VALU_DEP_2) | instskip(NEXT) | instid1(VALU_DEP_2)
	v_cmp_le_i32_e64 s5, v33, v32
	v_cmp_ge_u32_e64 s6, v5, v27
	s_and_b32 s4, s4, s5
	s_wait_alu 0xfffe
	s_or_b32 s4, s6, s4
	s_wait_alu 0xfffe
	v_cndmask_b32_e64 v8, v5, v9, s4
	v_cndmask_b32_e64 v13, v27, v26, s4
	;; [unrolled: 1-line block ×3, first 2 shown]
	s_delay_alu instid0(VALU_DEP_3) | instskip(NEXT) | instid1(VALU_DEP_3)
	v_add_nc_u32_e32 v14, 1, v8
	v_add_nc_u32_e32 v13, -1, v13
	v_lshl_add_u32 v8, v8, 3, v10
	s_delay_alu instid0(VALU_DEP_3) | instskip(NEXT) | instid1(VALU_DEP_3)
	v_cndmask_b32_e64 v9, v9, v14, s4
	v_min_u32_e32 v13, v14, v13
	v_cndmask_b32_e64 v5, v14, v5, s4
	s_delay_alu instid0(VALU_DEP_3) | instskip(NEXT) | instid1(VALU_DEP_3)
	v_cmp_lt_u32_e64 s5, v9, v26
	v_lshl_add_u32 v13, v13, 2, v11
	s_delay_alu instid0(VALU_DEP_3) | instskip(SKIP_4) | instid1(VALU_DEP_1)
	v_cmp_ge_u32_e64 s7, v5, v27
	ds_load_b32 v13, v13
	s_wait_dscnt 0x0
	v_cndmask_b32_e64 v31, v13, v32, s4
	v_cndmask_b32_e64 v39, v33, v13, s4
	v_cmp_le_i32_e64 s6, v39, v31
	s_and_b32 s5, s5, s6
	s_wait_alu 0xfffe
	s_or_b32 s5, s7, s5
	s_wait_alu 0xfffe
	v_cndmask_b32_e64 v13, v5, v9, s5
	v_cndmask_b32_e64 v14, v27, v26, s5
	;; [unrolled: 1-line block ×3, first 2 shown]
	s_delay_alu instid0(VALU_DEP_3) | instskip(NEXT) | instid1(VALU_DEP_3)
	v_add_nc_u32_e32 v19, 1, v13
	v_add_nc_u32_e32 v14, -1, v14
	v_lshl_add_u32 v13, v13, 3, v10
	s_delay_alu instid0(VALU_DEP_3) | instskip(NEXT) | instid1(VALU_DEP_3)
	v_cndmask_b32_e64 v9, v9, v19, s5
	v_min_u32_e32 v14, v19, v14
	v_cndmask_b32_e64 v5, v19, v5, s5
	s_delay_alu instid0(VALU_DEP_3) | instskip(NEXT) | instid1(VALU_DEP_3)
	v_cmp_lt_u32_e64 s6, v9, v26
	v_lshl_add_u32 v14, v14, 2, v11
	s_delay_alu instid0(VALU_DEP_3) | instskip(SKIP_4) | instid1(VALU_DEP_1)
	v_cmp_ge_u32_e64 s8, v5, v27
	ds_load_b32 v14, v14
	s_wait_dscnt 0x0
	v_cndmask_b32_e64 v49, v14, v31, s5
	v_cndmask_b32_e64 v50, v39, v14, s5
	v_cmp_le_i32_e64 s7, v50, v49
	s_and_b32 s6, s6, s7
	s_wait_alu 0xfffe
	s_or_b32 s6, s8, s6
	s_wait_alu 0xfffe
	v_cndmask_b32_e64 v5, v5, v9, s6
	v_cndmask_b32_e64 v39, v49, v50, s6
	s_delay_alu instid0(VALU_DEP_2)
	v_lshl_add_u32 v19, v5, 3, v10
	ds_load_b64 v[4:5], v4 offset:4096
	ds_load_b64 v[8:9], v8 offset:4096
	;; [unrolled: 1-line block ×4, first 2 shown]
.LBB625_75:
	s_wait_alu 0xfffe
	s_or_b32 exec_lo, exec_lo, s9
	v_and_b32_e32 v28, 0x70, v37
	v_and_b32_e32 v31, 12, v37
	s_mov_b32 s4, exec_lo
	; wave barrier
	s_delay_alu instid0(VALU_DEP_2) | instskip(NEXT) | instid1(VALU_DEP_2)
	v_or_b32_e32 v26, 8, v28
	v_min_u32_e32 v31, v15, v31
	ds_store_b32 v12, v48
	s_wait_dscnt 0x4
	ds_store_b64 v25, v[4:5]
	ds_store_b32 v18, v38
	s_wait_dscnt 0x5
	ds_store_b64 v21, v[8:9]
	;; [unrolled: 3-line block ×4, first 2 shown]
	v_min_u32_e32 v26, v15, v26
	; wave barrier
	s_delay_alu instid0(VALU_DEP_1) | instskip(SKIP_1) | instid1(VALU_DEP_2)
	v_add_nc_u32_e32 v27, 8, v26
	v_sub_nc_u32_e32 v33, v26, v28
	v_min_u32_e32 v27, v15, v27
	s_delay_alu instid0(VALU_DEP_2) | instskip(NEXT) | instid1(VALU_DEP_2)
	v_min_u32_e32 v33, v31, v33
	v_sub_nc_u32_e32 v32, v27, v26
	s_delay_alu instid0(VALU_DEP_1) | instskip(NEXT) | instid1(VALU_DEP_1)
	v_sub_nc_u32_e64 v32, v31, v32 clamp
	v_cmpx_lt_u32_e64 v32, v33
	s_cbranch_execz .LBB625_79
; %bb.76:
	v_lshlrev_b32_e32 v49, 2, v28
	v_lshlrev_b32_e32 v50, 2, v26
	s_mov_b32 s5, 0
	s_delay_alu instid0(VALU_DEP_2) | instskip(NEXT) | instid1(VALU_DEP_2)
	v_add_co_u32 v49, null, v11, v49
	v_add_co_u32 v50, null, v11, v50
.LBB625_77:                             ; =>This Inner Loop Header: Depth=1
	v_add_nc_u32_e32 v51, v33, v32
	s_delay_alu instid0(VALU_DEP_1) | instskip(NEXT) | instid1(VALU_DEP_1)
	v_lshrrev_b32_e32 v51, 1, v51
	v_xad_u32 v52, v51, -1, v31
	v_lshl_add_u32 v53, v51, 2, v49
	v_add_nc_u32_e32 v54, 1, v51
	s_delay_alu instid0(VALU_DEP_3)
	v_lshl_add_u32 v52, v52, 2, v50
	ds_load_b32 v53, v53
	ds_load_b32 v52, v52
	s_wait_dscnt 0x0
	v_cmp_gt_i32_e64 s3, v53, v52
	s_wait_alu 0xf1ff
	s_delay_alu instid0(VALU_DEP_1) | instskip(SKIP_1) | instid1(VALU_DEP_1)
	v_cndmask_b32_e64 v33, v33, v51, s3
	v_cndmask_b32_e64 v32, v54, v32, s3
	v_cmp_ge_u32_e64 s3, v32, v33
	s_wait_alu 0xfffe
	s_or_b32 s5, s3, s5
	s_wait_alu 0xfffe
	s_and_not1_b32 exec_lo, exec_lo, s5
	s_cbranch_execnz .LBB625_77
; %bb.78:
	s_or_b32 exec_lo, exec_lo, s5
.LBB625_79:
	s_wait_alu 0xfffe
	s_or_b32 exec_lo, exec_lo, s4
	v_add_nc_u32_e32 v31, v26, v31
	v_add_nc_u32_e32 v33, v32, v28
	s_delay_alu instid0(VALU_DEP_2) | instskip(NEXT) | instid1(VALU_DEP_2)
	v_sub_nc_u32_e32 v31, v31, v32
	v_cmp_le_u32_e64 s3, v33, v26
	s_delay_alu instid0(VALU_DEP_2)
	v_cmp_le_u32_e64 s4, v31, v27
	s_or_b32 s3, s3, s4
	s_wait_alu 0xfffe
	s_and_saveexec_b32 s9, s3
	s_cbranch_execz .LBB625_85
; %bb.80:
	v_cmp_lt_u32_e64 s3, v33, v26
                                        ; implicit-def: $vgpr23
	s_and_saveexec_b32 s4, s3
; %bb.81:
	v_lshl_add_u32 v4, v33, 2, v11
	ds_load_b32 v23, v4
; %bb.82:
	s_wait_alu 0xfffe
	s_or_b32 exec_lo, exec_lo, s4
	v_cmp_ge_u32_e64 s4, v31, v27
	s_mov_b32 s6, exec_lo
                                        ; implicit-def: $vgpr28
	v_cmpx_lt_u32_e64 v31, v27
; %bb.83:
	v_lshl_add_u32 v4, v31, 2, v11
	ds_load_b32 v28, v4
; %bb.84:
	s_wait_alu 0xfffe
	s_or_b32 exec_lo, exec_lo, s6
	s_wait_dscnt 0x0
	v_cmp_le_i32_e64 s5, v23, v28
	s_and_b32 s3, s3, s5
	s_wait_alu 0xfffe
	s_or_b32 s3, s4, s3
	s_wait_alu 0xfffe
	v_cndmask_b32_e64 v4, v31, v33, s3
	v_cndmask_b32_e64 v5, v27, v26, s3
	;; [unrolled: 1-line block ×3, first 2 shown]
	s_delay_alu instid0(VALU_DEP_3) | instskip(NEXT) | instid1(VALU_DEP_3)
	v_add_nc_u32_e32 v8, 1, v4
	v_add_nc_u32_e32 v5, -1, v5
	v_lshl_add_u32 v4, v4, 3, v10
	s_delay_alu instid0(VALU_DEP_3) | instskip(NEXT) | instid1(VALU_DEP_3)
	v_cndmask_b32_e64 v9, v33, v8, s3
	v_min_u32_e32 v5, v8, v5
	s_delay_alu instid0(VALU_DEP_2) | instskip(NEXT) | instid1(VALU_DEP_2)
	v_cmp_lt_u32_e64 s4, v9, v26
	v_lshl_add_u32 v5, v5, 2, v11
	ds_load_b32 v5, v5
	s_wait_dscnt 0x0
	v_cndmask_b32_e64 v32, v5, v28, s3
	v_cndmask_b32_e64 v33, v23, v5, s3
	;; [unrolled: 1-line block ×3, first 2 shown]
	s_delay_alu instid0(VALU_DEP_2) | instskip(NEXT) | instid1(VALU_DEP_2)
	v_cmp_le_i32_e64 s5, v33, v32
	v_cmp_ge_u32_e64 s6, v5, v27
	s_and_b32 s4, s4, s5
	s_wait_alu 0xfffe
	s_or_b32 s4, s6, s4
	s_wait_alu 0xfffe
	v_cndmask_b32_e64 v8, v5, v9, s4
	v_cndmask_b32_e64 v13, v27, v26, s4
	;; [unrolled: 1-line block ×3, first 2 shown]
	s_delay_alu instid0(VALU_DEP_3) | instskip(NEXT) | instid1(VALU_DEP_3)
	v_add_nc_u32_e32 v14, 1, v8
	v_add_nc_u32_e32 v13, -1, v13
	v_lshl_add_u32 v8, v8, 3, v10
	s_delay_alu instid0(VALU_DEP_3) | instskip(NEXT) | instid1(VALU_DEP_3)
	v_cndmask_b32_e64 v9, v9, v14, s4
	v_min_u32_e32 v13, v14, v13
	v_cndmask_b32_e64 v5, v14, v5, s4
	s_delay_alu instid0(VALU_DEP_3) | instskip(NEXT) | instid1(VALU_DEP_3)
	v_cmp_lt_u32_e64 s5, v9, v26
	v_lshl_add_u32 v13, v13, 2, v11
	s_delay_alu instid0(VALU_DEP_3) | instskip(SKIP_4) | instid1(VALU_DEP_1)
	v_cmp_ge_u32_e64 s7, v5, v27
	ds_load_b32 v13, v13
	s_wait_dscnt 0x0
	v_cndmask_b32_e64 v31, v13, v32, s4
	v_cndmask_b32_e64 v39, v33, v13, s4
	v_cmp_le_i32_e64 s6, v39, v31
	s_and_b32 s5, s5, s6
	s_wait_alu 0xfffe
	s_or_b32 s5, s7, s5
	s_wait_alu 0xfffe
	v_cndmask_b32_e64 v13, v5, v9, s5
	v_cndmask_b32_e64 v14, v27, v26, s5
	;; [unrolled: 1-line block ×3, first 2 shown]
	s_delay_alu instid0(VALU_DEP_3) | instskip(NEXT) | instid1(VALU_DEP_3)
	v_add_nc_u32_e32 v19, 1, v13
	v_add_nc_u32_e32 v14, -1, v14
	v_lshl_add_u32 v13, v13, 3, v10
	s_delay_alu instid0(VALU_DEP_3) | instskip(NEXT) | instid1(VALU_DEP_3)
	v_cndmask_b32_e64 v9, v9, v19, s5
	v_min_u32_e32 v14, v19, v14
	v_cndmask_b32_e64 v5, v19, v5, s5
	s_delay_alu instid0(VALU_DEP_3) | instskip(NEXT) | instid1(VALU_DEP_3)
	v_cmp_lt_u32_e64 s6, v9, v26
	v_lshl_add_u32 v14, v14, 2, v11
	s_delay_alu instid0(VALU_DEP_3) | instskip(SKIP_4) | instid1(VALU_DEP_1)
	v_cmp_ge_u32_e64 s8, v5, v27
	ds_load_b32 v14, v14
	s_wait_dscnt 0x0
	v_cndmask_b32_e64 v49, v14, v31, s5
	v_cndmask_b32_e64 v50, v39, v14, s5
	v_cmp_le_i32_e64 s7, v50, v49
	s_and_b32 s6, s6, s7
	s_wait_alu 0xfffe
	s_or_b32 s6, s8, s6
	s_wait_alu 0xfffe
	v_cndmask_b32_e64 v5, v5, v9, s6
	v_cndmask_b32_e64 v39, v49, v50, s6
	s_delay_alu instid0(VALU_DEP_2)
	v_lshl_add_u32 v19, v5, 3, v10
	ds_load_b64 v[4:5], v4 offset:4096
	ds_load_b64 v[8:9], v8 offset:4096
	;; [unrolled: 1-line block ×4, first 2 shown]
.LBB625_85:
	s_wait_alu 0xfffe
	s_or_b32 exec_lo, exec_lo, s9
	v_and_b32_e32 v28, 0x60, v37
	; wave barrier
	ds_store_b32 v12, v48
	s_wait_dscnt 0x4
	ds_store_b64 v25, v[4:5]
	s_mov_b32 s4, exec_lo
	v_or_b32_e32 v26, 16, v28
	ds_store_b32 v18, v38
	s_wait_dscnt 0x5
	ds_store_b64 v21, v[8:9]
	ds_store_b32 v22, v23
	s_wait_dscnt 0x6
	ds_store_b64 v24, v[13:14]
	;; [unrolled: 3-line block ×3, first 2 shown]
	; wave barrier
	v_min_u32_e32 v26, v15, v26
	s_delay_alu instid0(VALU_DEP_1) | instskip(SKIP_1) | instid1(VALU_DEP_2)
	v_add_nc_u32_e32 v27, 16, v26
	v_sub_nc_u32_e32 v32, v26, v28
	v_min_u32_e32 v27, v15, v27
	v_min_u32_e32 v15, v15, v36
	s_delay_alu instid0(VALU_DEP_2) | instskip(NEXT) | instid1(VALU_DEP_2)
	v_sub_nc_u32_e32 v31, v27, v26
	v_min_u32_e32 v25, v15, v32
	s_delay_alu instid0(VALU_DEP_2) | instskip(NEXT) | instid1(VALU_DEP_1)
	v_sub_nc_u32_e64 v12, v15, v31 clamp
	v_cmpx_lt_u32_e64 v12, v25
	s_cbranch_execz .LBB625_89
; %bb.86:
	v_lshlrev_b32_e32 v16, 2, v28
	v_lshlrev_b32_e32 v17, 2, v26
	s_mov_b32 s5, 0
	s_delay_alu instid0(VALU_DEP_2) | instskip(NEXT) | instid1(VALU_DEP_2)
	v_add_co_u32 v16, null, v11, v16
	v_add_co_u32 v17, null, v11, v17
.LBB625_87:                             ; =>This Inner Loop Header: Depth=1
	v_add_nc_u32_e32 v18, v25, v12
	s_delay_alu instid0(VALU_DEP_1) | instskip(NEXT) | instid1(VALU_DEP_1)
	v_lshrrev_b32_e32 v18, 1, v18
	v_xad_u32 v21, v18, -1, v15
	v_lshl_add_u32 v22, v18, 2, v16
	v_add_nc_u32_e32 v24, 1, v18
	s_delay_alu instid0(VALU_DEP_3)
	v_lshl_add_u32 v21, v21, 2, v17
	ds_load_b32 v22, v22
	ds_load_b32 v21, v21
	s_wait_dscnt 0x0
	v_cmp_gt_i32_e64 s3, v22, v21
	s_wait_alu 0xf1ff
	s_delay_alu instid0(VALU_DEP_1) | instskip(SKIP_1) | instid1(VALU_DEP_1)
	v_cndmask_b32_e64 v25, v25, v18, s3
	v_cndmask_b32_e64 v12, v24, v12, s3
	v_cmp_ge_u32_e64 s3, v12, v25
	s_wait_alu 0xfffe
	s_or_b32 s5, s3, s5
	s_wait_alu 0xfffe
	s_and_not1_b32 exec_lo, exec_lo, s5
	s_cbranch_execnz .LBB625_87
; %bb.88:
	s_or_b32 exec_lo, exec_lo, s5
.LBB625_89:
	s_wait_alu 0xfffe
	s_or_b32 exec_lo, exec_lo, s4
	v_add_nc_u32_e32 v15, v26, v15
	v_add_nc_u32_e32 v17, v12, v28
	s_delay_alu instid0(VALU_DEP_2) | instskip(NEXT) | instid1(VALU_DEP_2)
	v_sub_nc_u32_e32 v16, v15, v12
	v_cmp_le_u32_e64 s3, v17, v26
	s_delay_alu instid0(VALU_DEP_2)
	v_cmp_le_u32_e64 s4, v16, v27
	s_or_b32 s3, s3, s4
	s_wait_alu 0xfffe
	s_and_saveexec_b32 s9, s3
	s_cbranch_execz .LBB625_95
; %bb.90:
	v_cmp_lt_u32_e64 s3, v17, v26
                                        ; implicit-def: $vgpr12
	s_and_saveexec_b32 s4, s3
; %bb.91:
	v_lshl_add_u32 v4, v17, 2, v11
	ds_load_b32 v12, v4
; %bb.92:
	s_wait_alu 0xfffe
	s_or_b32 exec_lo, exec_lo, s4
	v_cmp_ge_u32_e64 s4, v16, v27
	s_mov_b32 s6, exec_lo
                                        ; implicit-def: $vgpr15
	v_cmpx_lt_u32_e64 v16, v27
; %bb.93:
	v_lshl_add_u32 v4, v16, 2, v11
	ds_load_b32 v15, v4
; %bb.94:
	s_wait_alu 0xfffe
	s_or_b32 exec_lo, exec_lo, s6
	s_wait_dscnt 0x0
	v_cmp_le_i32_e64 s5, v12, v15
	s_and_b32 s3, s3, s5
	s_wait_alu 0xfffe
	s_or_b32 s3, s4, s3
	s_wait_alu 0xfffe
	v_cndmask_b32_e64 v4, v16, v17, s3
	v_cndmask_b32_e64 v5, v27, v26, s3
	;; [unrolled: 1-line block ×3, first 2 shown]
	s_delay_alu instid0(VALU_DEP_3) | instskip(NEXT) | instid1(VALU_DEP_3)
	v_add_nc_u32_e32 v8, 1, v4
	v_add_nc_u32_e32 v5, -1, v5
	v_lshl_add_u32 v4, v4, 3, v10
	s_delay_alu instid0(VALU_DEP_3) | instskip(NEXT) | instid1(VALU_DEP_3)
	v_cndmask_b32_e64 v9, v17, v8, s3
	v_min_u32_e32 v5, v8, v5
	s_delay_alu instid0(VALU_DEP_2) | instskip(NEXT) | instid1(VALU_DEP_2)
	v_cmp_lt_u32_e64 s4, v9, v26
	v_lshl_add_u32 v5, v5, 2, v11
	ds_load_b32 v5, v5
	s_wait_dscnt 0x0
	v_cndmask_b32_e64 v17, v5, v15, s3
	v_cndmask_b32_e64 v18, v12, v5, s3
	;; [unrolled: 1-line block ×3, first 2 shown]
	s_delay_alu instid0(VALU_DEP_2) | instskip(NEXT) | instid1(VALU_DEP_2)
	v_cmp_le_i32_e64 s5, v18, v17
	v_cmp_ge_u32_e64 s6, v5, v27
	s_and_b32 s4, s4, s5
	s_wait_alu 0xfffe
	s_or_b32 s4, s6, s4
	s_wait_alu 0xfffe
	v_cndmask_b32_e64 v8, v5, v9, s4
	v_cndmask_b32_e64 v13, v27, v26, s4
	;; [unrolled: 1-line block ×3, first 2 shown]
	s_delay_alu instid0(VALU_DEP_3) | instskip(NEXT) | instid1(VALU_DEP_3)
	v_add_nc_u32_e32 v14, 1, v8
	v_add_nc_u32_e32 v13, -1, v13
	v_lshl_add_u32 v8, v8, 3, v10
	s_delay_alu instid0(VALU_DEP_3) | instskip(NEXT) | instid1(VALU_DEP_3)
	v_cndmask_b32_e64 v9, v9, v14, s4
	v_min_u32_e32 v13, v14, v13
	v_cndmask_b32_e64 v5, v14, v5, s4
	s_delay_alu instid0(VALU_DEP_3) | instskip(NEXT) | instid1(VALU_DEP_3)
	v_cmp_lt_u32_e64 s5, v9, v26
	v_lshl_add_u32 v13, v13, 2, v11
	s_delay_alu instid0(VALU_DEP_3) | instskip(SKIP_4) | instid1(VALU_DEP_1)
	v_cmp_ge_u32_e64 s7, v5, v27
	ds_load_b32 v13, v13
	s_wait_dscnt 0x0
	v_cndmask_b32_e64 v16, v13, v17, s4
	v_cndmask_b32_e64 v21, v18, v13, s4
	v_cmp_le_i32_e64 s6, v21, v16
	s_and_b32 s5, s5, s6
	s_wait_alu 0xfffe
	s_or_b32 s5, s7, s5
	s_wait_alu 0xfffe
	v_cndmask_b32_e64 v13, v5, v9, s5
	v_cndmask_b32_e64 v14, v27, v26, s5
	;; [unrolled: 1-line block ×3, first 2 shown]
	s_delay_alu instid0(VALU_DEP_3) | instskip(NEXT) | instid1(VALU_DEP_3)
	v_add_nc_u32_e32 v19, 1, v13
	v_add_nc_u32_e32 v14, -1, v14
	v_lshl_add_u32 v13, v13, 3, v10
	s_delay_alu instid0(VALU_DEP_3) | instskip(NEXT) | instid1(VALU_DEP_3)
	v_cndmask_b32_e64 v9, v9, v19, s5
	v_min_u32_e32 v14, v19, v14
	v_cndmask_b32_e64 v5, v19, v5, s5
	s_delay_alu instid0(VALU_DEP_3) | instskip(NEXT) | instid1(VALU_DEP_3)
	v_cmp_lt_u32_e64 s6, v9, v26
	v_lshl_add_u32 v11, v14, 2, v11
	s_delay_alu instid0(VALU_DEP_3) | instskip(SKIP_4) | instid1(VALU_DEP_1)
	v_cmp_ge_u32_e64 s8, v5, v27
	ds_load_b32 v11, v11
	s_wait_dscnt 0x0
	v_cndmask_b32_e64 v22, v11, v16, s5
	v_cndmask_b32_e64 v11, v21, v11, s5
	v_cmp_le_i32_e64 s7, v11, v22
	s_and_b32 s6, s6, s7
	s_wait_alu 0xfffe
	s_or_b32 s6, s8, s6
	s_wait_alu 0xfffe
	v_cndmask_b32_e64 v5, v5, v9, s6
	v_cndmask_b32_e64 v39, v22, v11, s6
	s_delay_alu instid0(VALU_DEP_2)
	v_lshl_add_u32 v10, v5, 3, v10
	ds_load_b64 v[4:5], v4 offset:4096
	ds_load_b64 v[8:9], v8 offset:4096
	;; [unrolled: 1-line block ×4, first 2 shown]
.LBB625_95:
	s_wait_alu 0xfffe
	s_or_b32 exec_lo, exec_lo, s9
	; wave barrier
	s_wait_storecnt_dscnt 0x0
	s_barrier_signal -1
	s_barrier_wait -1
.LBB625_96:
	s_wait_alu 0xfffe
	s_or_b32 exec_lo, exec_lo, s10
	v_add_co_u32 v2, s3, v2, v29
	s_wait_alu 0xf1ff
	v_add_co_ci_u32_e64 v3, null, v3, v30, s3
	s_wait_storecnt 0x0
	s_wait_loadcnt_dscnt 0x0
	global_inv scope:SCOPE_SE
	v_add_co_u32 v2, s3, v2, v34
	s_wait_alu 0xf1ff
	v_add_co_ci_u32_e64 v3, null, 0, v3, s3
	; wave barrier
	s_and_saveexec_b32 s3, vcc_lo
	s_cbranch_execnz .LBB625_106
; %bb.97:
	s_wait_alu 0xfffe
	s_or_b32 exec_lo, exec_lo, s3
	s_and_saveexec_b32 s3, s0
	s_cbranch_execnz .LBB625_107
.LBB625_98:
	s_wait_alu 0xfffe
	s_or_b32 exec_lo, exec_lo, s3
	s_and_saveexec_b32 s3, s1
	s_cbranch_execnz .LBB625_108
.LBB625_99:
	s_wait_alu 0xfffe
	s_or_b32 exec_lo, exec_lo, s3
	s_and_saveexec_b32 s3, s2
	s_cbranch_execz .LBB625_101
.LBB625_100:
	flat_store_b32 v[2:3], v39 offset:12
.LBB625_101:
	s_wait_alu 0xfffe
	s_or_b32 exec_lo, exec_lo, s3
	v_add_co_u32 v0, s3, v6, v0
	s_wait_alu 0xf1ff
	v_add_co_ci_u32_e64 v1, null, v7, v1, s3
	s_delay_alu instid0(VALU_DEP_2) | instskip(SKIP_1) | instid1(VALU_DEP_2)
	v_add_co_u32 v0, s3, v0, v35
	s_wait_alu 0xf1ff
	v_add_co_ci_u32_e64 v1, null, 0, v1, s3
	; wave barrier
	s_and_saveexec_b32 s3, vcc_lo
	s_cbranch_execnz .LBB625_109
; %bb.102:
	s_wait_alu 0xfffe
	s_or_b32 exec_lo, exec_lo, s3
	s_and_saveexec_b32 s3, s0
	s_cbranch_execnz .LBB625_110
.LBB625_103:
	s_wait_alu 0xfffe
	s_or_b32 exec_lo, exec_lo, s3
	s_and_saveexec_b32 s0, s1
	s_cbranch_execnz .LBB625_111
.LBB625_104:
	s_wait_alu 0xfffe
	s_or_b32 exec_lo, exec_lo, s0
	s_and_saveexec_b32 s0, s2
	s_cbranch_execnz .LBB625_112
.LBB625_105:
	s_wait_alu 0xfffe
	s_or_b32 exec_lo, exec_lo, s0
	s_wait_loadcnt_dscnt 0x0
	s_setpc_b64 s[30:31]
.LBB625_106:
	flat_store_b32 v[2:3], v48
	s_wait_alu 0xfffe
	s_or_b32 exec_lo, exec_lo, s3
	s_and_saveexec_b32 s3, s0
	s_cbranch_execz .LBB625_98
.LBB625_107:
	flat_store_b32 v[2:3], v38 offset:4
	s_wait_alu 0xfffe
	s_or_b32 exec_lo, exec_lo, s3
	s_and_saveexec_b32 s3, s1
	s_cbranch_execz .LBB625_99
.LBB625_108:
	flat_store_b32 v[2:3], v23 offset:8
	s_wait_alu 0xfffe
	s_or_b32 exec_lo, exec_lo, s3
	s_and_saveexec_b32 s3, s2
	s_cbranch_execnz .LBB625_100
	s_branch .LBB625_101
.LBB625_109:
	flat_store_b64 v[0:1], v[4:5]
	s_wait_alu 0xfffe
	s_or_b32 exec_lo, exec_lo, s3
	s_and_saveexec_b32 s3, s0
	s_cbranch_execz .LBB625_103
.LBB625_110:
	flat_store_b64 v[0:1], v[8:9] offset:8
	s_wait_alu 0xfffe
	s_or_b32 exec_lo, exec_lo, s3
	s_and_saveexec_b32 s0, s1
	s_cbranch_execz .LBB625_104
.LBB625_111:
	flat_store_b64 v[0:1], v[13:14] offset:16
	s_wait_alu 0xfffe
	s_or_b32 exec_lo, exec_lo, s0
	s_and_saveexec_b32 s0, s2
	s_cbranch_execz .LBB625_105
.LBB625_112:
	flat_store_b64 v[0:1], v[19:20] offset:24
	s_wait_alu 0xfffe
	s_or_b32 exec_lo, exec_lo, s0
	s_wait_loadcnt_dscnt 0x0
	s_setpc_b64 s[30:31]
.Lfunc_end625:
	.size	_ZN7rocprim17ROCPRIM_400000_NS6detail26segmented_warp_sort_helperINS1_20WarpSortHelperConfigILj8ELj4ELj256EEEilLi256ELb0EvE4sortIPKiPiPKlPlEEvT_T0_T1_T2_jjjjRNS5_12storage_typeE, .Lfunc_end625-_ZN7rocprim17ROCPRIM_400000_NS6detail26segmented_warp_sort_helperINS1_20WarpSortHelperConfigILj8ELj4ELj256EEEilLi256ELb0EvE4sortIPKiPiPKlPlEEvT_T0_T1_T2_jjjjRNS5_12storage_typeE
                                        ; -- End function
	.set .L_ZN7rocprim17ROCPRIM_400000_NS6detail26segmented_warp_sort_helperINS1_20WarpSortHelperConfigILj8ELj4ELj256EEEilLi256ELb0EvE4sortIPKiPiPKlPlEEvT_T0_T1_T2_jjjjRNS5_12storage_typeE.num_vgpr, 56
	.set .L_ZN7rocprim17ROCPRIM_400000_NS6detail26segmented_warp_sort_helperINS1_20WarpSortHelperConfigILj8ELj4ELj256EEEilLi256ELb0EvE4sortIPKiPiPKlPlEEvT_T0_T1_T2_jjjjRNS5_12storage_typeE.num_agpr, 0
	.set .L_ZN7rocprim17ROCPRIM_400000_NS6detail26segmented_warp_sort_helperINS1_20WarpSortHelperConfigILj8ELj4ELj256EEEilLi256ELb0EvE4sortIPKiPiPKlPlEEvT_T0_T1_T2_jjjjRNS5_12storage_typeE.numbered_sgpr, 32
	.set .L_ZN7rocprim17ROCPRIM_400000_NS6detail26segmented_warp_sort_helperINS1_20WarpSortHelperConfigILj8ELj4ELj256EEEilLi256ELb0EvE4sortIPKiPiPKlPlEEvT_T0_T1_T2_jjjjRNS5_12storage_typeE.num_named_barrier, 0
	.set .L_ZN7rocprim17ROCPRIM_400000_NS6detail26segmented_warp_sort_helperINS1_20WarpSortHelperConfigILj8ELj4ELj256EEEilLi256ELb0EvE4sortIPKiPiPKlPlEEvT_T0_T1_T2_jjjjRNS5_12storage_typeE.private_seg_size, 0
	.set .L_ZN7rocprim17ROCPRIM_400000_NS6detail26segmented_warp_sort_helperINS1_20WarpSortHelperConfigILj8ELj4ELj256EEEilLi256ELb0EvE4sortIPKiPiPKlPlEEvT_T0_T1_T2_jjjjRNS5_12storage_typeE.uses_vcc, 1
	.set .L_ZN7rocprim17ROCPRIM_400000_NS6detail26segmented_warp_sort_helperINS1_20WarpSortHelperConfigILj8ELj4ELj256EEEilLi256ELb0EvE4sortIPKiPiPKlPlEEvT_T0_T1_T2_jjjjRNS5_12storage_typeE.uses_flat_scratch, 0
	.set .L_ZN7rocprim17ROCPRIM_400000_NS6detail26segmented_warp_sort_helperINS1_20WarpSortHelperConfigILj8ELj4ELj256EEEilLi256ELb0EvE4sortIPKiPiPKlPlEEvT_T0_T1_T2_jjjjRNS5_12storage_typeE.has_dyn_sized_stack, 0
	.set .L_ZN7rocprim17ROCPRIM_400000_NS6detail26segmented_warp_sort_helperINS1_20WarpSortHelperConfigILj8ELj4ELj256EEEilLi256ELb0EvE4sortIPKiPiPKlPlEEvT_T0_T1_T2_jjjjRNS5_12storage_typeE.has_recursion, 0
	.set .L_ZN7rocprim17ROCPRIM_400000_NS6detail26segmented_warp_sort_helperINS1_20WarpSortHelperConfigILj8ELj4ELj256EEEilLi256ELb0EvE4sortIPKiPiPKlPlEEvT_T0_T1_T2_jjjjRNS5_12storage_typeE.has_indirect_call, 0
	.section	.AMDGPU.csdata,"",@progbits
; Function info:
; codeLenInByte = 8712
; TotalNumSgprs: 34
; NumVgprs: 56
; ScratchSize: 0
; MemoryBound: 1
	.section	.text._ZN7rocprim17ROCPRIM_400000_NS6detail17trampoline_kernelINS0_14default_configENS1_36segmented_radix_sort_config_selectorIilEEZNS1_25segmented_radix_sort_implIS3_Lb0EPKiPiPKlPlN2at6native12_GLOBAL__N_18offset_tEEE10hipError_tPvRmT1_PNSt15iterator_traitsISK_E10value_typeET2_T3_PNSL_ISQ_E10value_typeET4_jRbjT5_SW_jjP12ihipStream_tbEUlT_E1_NS1_11comp_targetILNS1_3genE10ELNS1_11target_archE1201ELNS1_3gpuE5ELNS1_3repE0EEENS1_59segmented_radix_sort_warp_sort_small_config_static_selectorELNS0_4arch9wavefront6targetE0EEEvSK_,"axG",@progbits,_ZN7rocprim17ROCPRIM_400000_NS6detail17trampoline_kernelINS0_14default_configENS1_36segmented_radix_sort_config_selectorIilEEZNS1_25segmented_radix_sort_implIS3_Lb0EPKiPiPKlPlN2at6native12_GLOBAL__N_18offset_tEEE10hipError_tPvRmT1_PNSt15iterator_traitsISK_E10value_typeET2_T3_PNSL_ISQ_E10value_typeET4_jRbjT5_SW_jjP12ihipStream_tbEUlT_E1_NS1_11comp_targetILNS1_3genE10ELNS1_11target_archE1201ELNS1_3gpuE5ELNS1_3repE0EEENS1_59segmented_radix_sort_warp_sort_small_config_static_selectorELNS0_4arch9wavefront6targetE0EEEvSK_,comdat
	.globl	_ZN7rocprim17ROCPRIM_400000_NS6detail17trampoline_kernelINS0_14default_configENS1_36segmented_radix_sort_config_selectorIilEEZNS1_25segmented_radix_sort_implIS3_Lb0EPKiPiPKlPlN2at6native12_GLOBAL__N_18offset_tEEE10hipError_tPvRmT1_PNSt15iterator_traitsISK_E10value_typeET2_T3_PNSL_ISQ_E10value_typeET4_jRbjT5_SW_jjP12ihipStream_tbEUlT_E1_NS1_11comp_targetILNS1_3genE10ELNS1_11target_archE1201ELNS1_3gpuE5ELNS1_3repE0EEENS1_59segmented_radix_sort_warp_sort_small_config_static_selectorELNS0_4arch9wavefront6targetE0EEEvSK_ ; -- Begin function _ZN7rocprim17ROCPRIM_400000_NS6detail17trampoline_kernelINS0_14default_configENS1_36segmented_radix_sort_config_selectorIilEEZNS1_25segmented_radix_sort_implIS3_Lb0EPKiPiPKlPlN2at6native12_GLOBAL__N_18offset_tEEE10hipError_tPvRmT1_PNSt15iterator_traitsISK_E10value_typeET2_T3_PNSL_ISQ_E10value_typeET4_jRbjT5_SW_jjP12ihipStream_tbEUlT_E1_NS1_11comp_targetILNS1_3genE10ELNS1_11target_archE1201ELNS1_3gpuE5ELNS1_3repE0EEENS1_59segmented_radix_sort_warp_sort_small_config_static_selectorELNS0_4arch9wavefront6targetE0EEEvSK_
	.p2align	8
	.type	_ZN7rocprim17ROCPRIM_400000_NS6detail17trampoline_kernelINS0_14default_configENS1_36segmented_radix_sort_config_selectorIilEEZNS1_25segmented_radix_sort_implIS3_Lb0EPKiPiPKlPlN2at6native12_GLOBAL__N_18offset_tEEE10hipError_tPvRmT1_PNSt15iterator_traitsISK_E10value_typeET2_T3_PNSL_ISQ_E10value_typeET4_jRbjT5_SW_jjP12ihipStream_tbEUlT_E1_NS1_11comp_targetILNS1_3genE10ELNS1_11target_archE1201ELNS1_3gpuE5ELNS1_3repE0EEENS1_59segmented_radix_sort_warp_sort_small_config_static_selectorELNS0_4arch9wavefront6targetE0EEEvSK_,@function
_ZN7rocprim17ROCPRIM_400000_NS6detail17trampoline_kernelINS0_14default_configENS1_36segmented_radix_sort_config_selectorIilEEZNS1_25segmented_radix_sort_implIS3_Lb0EPKiPiPKlPlN2at6native12_GLOBAL__N_18offset_tEEE10hipError_tPvRmT1_PNSt15iterator_traitsISK_E10value_typeET2_T3_PNSL_ISQ_E10value_typeET4_jRbjT5_SW_jjP12ihipStream_tbEUlT_E1_NS1_11comp_targetILNS1_3genE10ELNS1_11target_archE1201ELNS1_3gpuE5ELNS1_3repE0EEENS1_59segmented_radix_sort_warp_sort_small_config_static_selectorELNS0_4arch9wavefront6targetE0EEEvSK_: ; @_ZN7rocprim17ROCPRIM_400000_NS6detail17trampoline_kernelINS0_14default_configENS1_36segmented_radix_sort_config_selectorIilEEZNS1_25segmented_radix_sort_implIS3_Lb0EPKiPiPKlPlN2at6native12_GLOBAL__N_18offset_tEEE10hipError_tPvRmT1_PNSt15iterator_traitsISK_E10value_typeET2_T3_PNSL_ISQ_E10value_typeET4_jRbjT5_SW_jjP12ihipStream_tbEUlT_E1_NS1_11comp_targetILNS1_3genE10ELNS1_11target_archE1201ELNS1_3gpuE5ELNS1_3repE0EEENS1_59segmented_radix_sort_warp_sort_small_config_static_selectorELNS0_4arch9wavefront6targetE0EEEvSK_
; %bb.0:
	s_load_b32 s2, s[0:1], 0x64
	v_bfe_u32 v1, v0, 10, 10
	v_bfe_u32 v2, v0, 20, 10
	s_mov_b32 s32, 0
	s_wait_kmcnt 0x0
	s_lshr_b32 s3, s2, 16
	s_and_b32 s2, s2, 0xffff
	v_mad_u32_u24 v2, v2, s3, v1
	v_and_b32_e32 v1, 0x3ff, v0
	s_load_b32 s3, s[0:1], 0x34
	s_delay_alu instid0(VALU_DEP_1) | instskip(SKIP_2) | instid1(VALU_DEP_1)
	v_mad_co_u64_u32 v[1:2], null, v2, s2, v[1:2]
	s_mov_b32 s2, exec_lo
	v_lshrrev_b32_e32 v1, 3, v1
	v_lshl_add_u32 v1, ttmp9, 5, v1
	s_wait_kmcnt 0x0
	s_delay_alu instid0(VALU_DEP_1)
	v_cmpx_gt_u32_e64 s3, v1
	s_cbranch_execz .LBB626_6
; %bb.1:
	s_clause 0x1
	s_load_b64 s[2:3], s[0:1], 0x38
	s_load_b128 s[4:7], s[0:1], 0x40
	v_mov_b32_e32 v2, 0
	s_delay_alu instid0(VALU_DEP_1) | instskip(SKIP_1) | instid1(VALU_DEP_1)
	v_lshlrev_b64_e32 v[1:2], 2, v[1:2]
	s_wait_kmcnt 0x0
	v_sub_co_u32 v1, vcc_lo, s2, v1
	s_delay_alu instid0(VALU_DEP_1) | instskip(SKIP_4) | instid1(VALU_DEP_2)
	v_sub_co_ci_u32_e64 v2, null, s3, v2, vcc_lo
	global_load_b32 v1, v[1:2], off offset:-4
	s_wait_loadcnt 0x0
	v_add_nc_u32_e32 v2, s5, v1
	v_add_nc_u32_e32 v1, s7, v1
	v_mul_lo_u32 v40, v2, s4
	s_delay_alu instid0(VALU_DEP_2) | instskip(NEXT) | instid1(VALU_DEP_1)
	v_mul_lo_u32 v41, v1, s6
	v_cmp_gt_u32_e32 vcc_lo, v41, v40
	s_and_b32 exec_lo, exec_lo, vcc_lo
	s_cbranch_execz .LBB626_6
; %bb.2:
	s_clause 0x3
	s_load_b32 s2, s[0:1], 0x30
	s_load_b128 s[24:27], s[0:1], 0x20
	s_load_b256 s[16:23], s[0:1], 0x0
	s_load_b64 s[28:29], s[0:1], 0x50
	s_add_nc_u64 s[14:15], s[0:1], 0x58
	s_wait_kmcnt 0x0
	s_bitcmp0_b32 s2, 0
	s_mov_b32 s2, -1
	s_cbranch_scc0 .LBB626_4
; %bb.3:
	s_mov_b64 s[0:1], src_shared_base
	v_dual_mov_b32 v31, v0 :: v_dual_mov_b32 v42, v0
	v_dual_mov_b32 v0, s16 :: v_dual_mov_b32 v1, s17
	;; [unrolled: 1-line block ×7, first 2 shown]
	s_wait_alu 0xfffe
	v_dual_mov_b32 v12, 0 :: v_dual_mov_b32 v13, s1
	s_getpc_b64 s[2:3]
	s_wait_alu 0xfffe
	s_sext_i32_i16 s3, s3
	s_add_co_u32 s2, s2, _ZN7rocprim17ROCPRIM_400000_NS6detail26segmented_warp_sort_helperINS1_20WarpSortHelperConfigILj8ELj4ELj256EEEilLi256ELb0EvE4sortIPKiPiPKlPlEEvT_T0_T1_T2_jjjjRNS5_12storage_typeE@rel32@lo+12
	s_wait_alu 0xfffe
	s_add_co_ci_u32 s3, s3, _ZN7rocprim17ROCPRIM_400000_NS6detail26segmented_warp_sort_helperINS1_20WarpSortHelperConfigILj8ELj4ELj256EEEilLi256ELb0EvE4sortIPKiPiPKlPlEEvT_T0_T1_T2_jjjjRNS5_12storage_typeE@rel32@hi+24
	s_mov_b64 s[8:9], s[14:15]
	s_wait_alu 0xfffe
	s_swappc_b64 s[30:31], s[2:3]
	v_mov_b32_e32 v0, v42
	s_mov_b32 s2, 0
.LBB626_4:
	s_wait_alu 0xfffe
	s_and_not1_b32 vcc_lo, exec_lo, s2
	s_wait_alu 0xfffe
	s_cbranch_vccnz .LBB626_6
; %bb.5:
	s_mov_b64 s[0:1], src_shared_base
	v_dual_mov_b32 v31, v0 :: v_dual_mov_b32 v0, s16
	v_dual_mov_b32 v1, s17 :: v_dual_mov_b32 v2, s20
	v_dual_mov_b32 v3, s21 :: v_dual_mov_b32 v4, s22
	v_dual_mov_b32 v5, s23 :: v_dual_mov_b32 v6, s26
	v_dual_mov_b32 v7, s27 :: v_dual_mov_b32 v8, v40
	v_dual_mov_b32 v9, v41 :: v_dual_mov_b32 v10, s28
	v_dual_mov_b32 v11, s29 :: v_dual_mov_b32 v12, 0
	s_wait_alu 0xfffe
	v_mov_b32_e32 v13, s1
	s_getpc_b64 s[2:3]
	s_wait_alu 0xfffe
	s_sext_i32_i16 s3, s3
	s_add_co_u32 s2, s2, _ZN7rocprim17ROCPRIM_400000_NS6detail26segmented_warp_sort_helperINS1_20WarpSortHelperConfigILj8ELj4ELj256EEEilLi256ELb0EvE4sortIPKiPiPKlPlEEvT_T0_T1_T2_jjjjRNS5_12storage_typeE@rel32@lo+12
	s_wait_alu 0xfffe
	s_add_co_ci_u32 s3, s3, _ZN7rocprim17ROCPRIM_400000_NS6detail26segmented_warp_sort_helperINS1_20WarpSortHelperConfigILj8ELj4ELj256EEEilLi256ELb0EvE4sortIPKiPiPKlPlEEvT_T0_T1_T2_jjjjRNS5_12storage_typeE@rel32@hi+24
	s_mov_b64 s[8:9], s[14:15]
	s_wait_alu 0xfffe
	s_swappc_b64 s[30:31], s[2:3]
.LBB626_6:
	s_endpgm
	.section	.rodata,"a",@progbits
	.p2align	6, 0x0
	.amdhsa_kernel _ZN7rocprim17ROCPRIM_400000_NS6detail17trampoline_kernelINS0_14default_configENS1_36segmented_radix_sort_config_selectorIilEEZNS1_25segmented_radix_sort_implIS3_Lb0EPKiPiPKlPlN2at6native12_GLOBAL__N_18offset_tEEE10hipError_tPvRmT1_PNSt15iterator_traitsISK_E10value_typeET2_T3_PNSL_ISQ_E10value_typeET4_jRbjT5_SW_jjP12ihipStream_tbEUlT_E1_NS1_11comp_targetILNS1_3genE10ELNS1_11target_archE1201ELNS1_3gpuE5ELNS1_3repE0EEENS1_59segmented_radix_sort_warp_sort_small_config_static_selectorELNS0_4arch9wavefront6targetE0EEEvSK_
		.amdhsa_group_segment_fixed_size 12288
		.amdhsa_private_segment_fixed_size 0
		.amdhsa_kernarg_size 344
		.amdhsa_user_sgpr_count 2
		.amdhsa_user_sgpr_dispatch_ptr 0
		.amdhsa_user_sgpr_queue_ptr 0
		.amdhsa_user_sgpr_kernarg_segment_ptr 1
		.amdhsa_user_sgpr_dispatch_id 0
		.amdhsa_user_sgpr_private_segment_size 0
		.amdhsa_wavefront_size32 1
		.amdhsa_uses_dynamic_stack 0
		.amdhsa_enable_private_segment 0
		.amdhsa_system_sgpr_workgroup_id_x 1
		.amdhsa_system_sgpr_workgroup_id_y 1
		.amdhsa_system_sgpr_workgroup_id_z 0
		.amdhsa_system_sgpr_workgroup_info 0
		.amdhsa_system_vgpr_workitem_id 2
		.amdhsa_next_free_vgpr 56
		.amdhsa_next_free_sgpr 33
		.amdhsa_reserve_vcc 1
		.amdhsa_float_round_mode_32 0
		.amdhsa_float_round_mode_16_64 0
		.amdhsa_float_denorm_mode_32 3
		.amdhsa_float_denorm_mode_16_64 3
		.amdhsa_fp16_overflow 0
		.amdhsa_workgroup_processor_mode 1
		.amdhsa_memory_ordered 1
		.amdhsa_forward_progress 1
		.amdhsa_inst_pref_size 5
		.amdhsa_round_robin_scheduling 0
		.amdhsa_exception_fp_ieee_invalid_op 0
		.amdhsa_exception_fp_denorm_src 0
		.amdhsa_exception_fp_ieee_div_zero 0
		.amdhsa_exception_fp_ieee_overflow 0
		.amdhsa_exception_fp_ieee_underflow 0
		.amdhsa_exception_fp_ieee_inexact 0
		.amdhsa_exception_int_div_zero 0
	.end_amdhsa_kernel
	.section	.text._ZN7rocprim17ROCPRIM_400000_NS6detail17trampoline_kernelINS0_14default_configENS1_36segmented_radix_sort_config_selectorIilEEZNS1_25segmented_radix_sort_implIS3_Lb0EPKiPiPKlPlN2at6native12_GLOBAL__N_18offset_tEEE10hipError_tPvRmT1_PNSt15iterator_traitsISK_E10value_typeET2_T3_PNSL_ISQ_E10value_typeET4_jRbjT5_SW_jjP12ihipStream_tbEUlT_E1_NS1_11comp_targetILNS1_3genE10ELNS1_11target_archE1201ELNS1_3gpuE5ELNS1_3repE0EEENS1_59segmented_radix_sort_warp_sort_small_config_static_selectorELNS0_4arch9wavefront6targetE0EEEvSK_,"axG",@progbits,_ZN7rocprim17ROCPRIM_400000_NS6detail17trampoline_kernelINS0_14default_configENS1_36segmented_radix_sort_config_selectorIilEEZNS1_25segmented_radix_sort_implIS3_Lb0EPKiPiPKlPlN2at6native12_GLOBAL__N_18offset_tEEE10hipError_tPvRmT1_PNSt15iterator_traitsISK_E10value_typeET2_T3_PNSL_ISQ_E10value_typeET4_jRbjT5_SW_jjP12ihipStream_tbEUlT_E1_NS1_11comp_targetILNS1_3genE10ELNS1_11target_archE1201ELNS1_3gpuE5ELNS1_3repE0EEENS1_59segmented_radix_sort_warp_sort_small_config_static_selectorELNS0_4arch9wavefront6targetE0EEEvSK_,comdat
.Lfunc_end626:
	.size	_ZN7rocprim17ROCPRIM_400000_NS6detail17trampoline_kernelINS0_14default_configENS1_36segmented_radix_sort_config_selectorIilEEZNS1_25segmented_radix_sort_implIS3_Lb0EPKiPiPKlPlN2at6native12_GLOBAL__N_18offset_tEEE10hipError_tPvRmT1_PNSt15iterator_traitsISK_E10value_typeET2_T3_PNSL_ISQ_E10value_typeET4_jRbjT5_SW_jjP12ihipStream_tbEUlT_E1_NS1_11comp_targetILNS1_3genE10ELNS1_11target_archE1201ELNS1_3gpuE5ELNS1_3repE0EEENS1_59segmented_radix_sort_warp_sort_small_config_static_selectorELNS0_4arch9wavefront6targetE0EEEvSK_, .Lfunc_end626-_ZN7rocprim17ROCPRIM_400000_NS6detail17trampoline_kernelINS0_14default_configENS1_36segmented_radix_sort_config_selectorIilEEZNS1_25segmented_radix_sort_implIS3_Lb0EPKiPiPKlPlN2at6native12_GLOBAL__N_18offset_tEEE10hipError_tPvRmT1_PNSt15iterator_traitsISK_E10value_typeET2_T3_PNSL_ISQ_E10value_typeET4_jRbjT5_SW_jjP12ihipStream_tbEUlT_E1_NS1_11comp_targetILNS1_3genE10ELNS1_11target_archE1201ELNS1_3gpuE5ELNS1_3repE0EEENS1_59segmented_radix_sort_warp_sort_small_config_static_selectorELNS0_4arch9wavefront6targetE0EEEvSK_
                                        ; -- End function
	.set _ZN7rocprim17ROCPRIM_400000_NS6detail17trampoline_kernelINS0_14default_configENS1_36segmented_radix_sort_config_selectorIilEEZNS1_25segmented_radix_sort_implIS3_Lb0EPKiPiPKlPlN2at6native12_GLOBAL__N_18offset_tEEE10hipError_tPvRmT1_PNSt15iterator_traitsISK_E10value_typeET2_T3_PNSL_ISQ_E10value_typeET4_jRbjT5_SW_jjP12ihipStream_tbEUlT_E1_NS1_11comp_targetILNS1_3genE10ELNS1_11target_archE1201ELNS1_3gpuE5ELNS1_3repE0EEENS1_59segmented_radix_sort_warp_sort_small_config_static_selectorELNS0_4arch9wavefront6targetE0EEEvSK_.num_vgpr, max(43, .L_ZN7rocprim17ROCPRIM_400000_NS6detail26segmented_warp_sort_helperINS1_20WarpSortHelperConfigILj8ELj4ELj256EEEilLi256ELb0EvE4sortIPKiPiPKlPlEEvT_T0_T1_T2_jjjjRNS5_12storage_typeE.num_vgpr)
	.set _ZN7rocprim17ROCPRIM_400000_NS6detail17trampoline_kernelINS0_14default_configENS1_36segmented_radix_sort_config_selectorIilEEZNS1_25segmented_radix_sort_implIS3_Lb0EPKiPiPKlPlN2at6native12_GLOBAL__N_18offset_tEEE10hipError_tPvRmT1_PNSt15iterator_traitsISK_E10value_typeET2_T3_PNSL_ISQ_E10value_typeET4_jRbjT5_SW_jjP12ihipStream_tbEUlT_E1_NS1_11comp_targetILNS1_3genE10ELNS1_11target_archE1201ELNS1_3gpuE5ELNS1_3repE0EEENS1_59segmented_radix_sort_warp_sort_small_config_static_selectorELNS0_4arch9wavefront6targetE0EEEvSK_.num_agpr, max(0, .L_ZN7rocprim17ROCPRIM_400000_NS6detail26segmented_warp_sort_helperINS1_20WarpSortHelperConfigILj8ELj4ELj256EEEilLi256ELb0EvE4sortIPKiPiPKlPlEEvT_T0_T1_T2_jjjjRNS5_12storage_typeE.num_agpr)
	.set _ZN7rocprim17ROCPRIM_400000_NS6detail17trampoline_kernelINS0_14default_configENS1_36segmented_radix_sort_config_selectorIilEEZNS1_25segmented_radix_sort_implIS3_Lb0EPKiPiPKlPlN2at6native12_GLOBAL__N_18offset_tEEE10hipError_tPvRmT1_PNSt15iterator_traitsISK_E10value_typeET2_T3_PNSL_ISQ_E10value_typeET4_jRbjT5_SW_jjP12ihipStream_tbEUlT_E1_NS1_11comp_targetILNS1_3genE10ELNS1_11target_archE1201ELNS1_3gpuE5ELNS1_3repE0EEENS1_59segmented_radix_sort_warp_sort_small_config_static_selectorELNS0_4arch9wavefront6targetE0EEEvSK_.numbered_sgpr, max(33, .L_ZN7rocprim17ROCPRIM_400000_NS6detail26segmented_warp_sort_helperINS1_20WarpSortHelperConfigILj8ELj4ELj256EEEilLi256ELb0EvE4sortIPKiPiPKlPlEEvT_T0_T1_T2_jjjjRNS5_12storage_typeE.numbered_sgpr)
	.set _ZN7rocprim17ROCPRIM_400000_NS6detail17trampoline_kernelINS0_14default_configENS1_36segmented_radix_sort_config_selectorIilEEZNS1_25segmented_radix_sort_implIS3_Lb0EPKiPiPKlPlN2at6native12_GLOBAL__N_18offset_tEEE10hipError_tPvRmT1_PNSt15iterator_traitsISK_E10value_typeET2_T3_PNSL_ISQ_E10value_typeET4_jRbjT5_SW_jjP12ihipStream_tbEUlT_E1_NS1_11comp_targetILNS1_3genE10ELNS1_11target_archE1201ELNS1_3gpuE5ELNS1_3repE0EEENS1_59segmented_radix_sort_warp_sort_small_config_static_selectorELNS0_4arch9wavefront6targetE0EEEvSK_.num_named_barrier, max(0, .L_ZN7rocprim17ROCPRIM_400000_NS6detail26segmented_warp_sort_helperINS1_20WarpSortHelperConfigILj8ELj4ELj256EEEilLi256ELb0EvE4sortIPKiPiPKlPlEEvT_T0_T1_T2_jjjjRNS5_12storage_typeE.num_named_barrier)
	.set _ZN7rocprim17ROCPRIM_400000_NS6detail17trampoline_kernelINS0_14default_configENS1_36segmented_radix_sort_config_selectorIilEEZNS1_25segmented_radix_sort_implIS3_Lb0EPKiPiPKlPlN2at6native12_GLOBAL__N_18offset_tEEE10hipError_tPvRmT1_PNSt15iterator_traitsISK_E10value_typeET2_T3_PNSL_ISQ_E10value_typeET4_jRbjT5_SW_jjP12ihipStream_tbEUlT_E1_NS1_11comp_targetILNS1_3genE10ELNS1_11target_archE1201ELNS1_3gpuE5ELNS1_3repE0EEENS1_59segmented_radix_sort_warp_sort_small_config_static_selectorELNS0_4arch9wavefront6targetE0EEEvSK_.private_seg_size, 0+max(.L_ZN7rocprim17ROCPRIM_400000_NS6detail26segmented_warp_sort_helperINS1_20WarpSortHelperConfigILj8ELj4ELj256EEEilLi256ELb0EvE4sortIPKiPiPKlPlEEvT_T0_T1_T2_jjjjRNS5_12storage_typeE.private_seg_size)
	.set _ZN7rocprim17ROCPRIM_400000_NS6detail17trampoline_kernelINS0_14default_configENS1_36segmented_radix_sort_config_selectorIilEEZNS1_25segmented_radix_sort_implIS3_Lb0EPKiPiPKlPlN2at6native12_GLOBAL__N_18offset_tEEE10hipError_tPvRmT1_PNSt15iterator_traitsISK_E10value_typeET2_T3_PNSL_ISQ_E10value_typeET4_jRbjT5_SW_jjP12ihipStream_tbEUlT_E1_NS1_11comp_targetILNS1_3genE10ELNS1_11target_archE1201ELNS1_3gpuE5ELNS1_3repE0EEENS1_59segmented_radix_sort_warp_sort_small_config_static_selectorELNS0_4arch9wavefront6targetE0EEEvSK_.uses_vcc, or(1, .L_ZN7rocprim17ROCPRIM_400000_NS6detail26segmented_warp_sort_helperINS1_20WarpSortHelperConfigILj8ELj4ELj256EEEilLi256ELb0EvE4sortIPKiPiPKlPlEEvT_T0_T1_T2_jjjjRNS5_12storage_typeE.uses_vcc)
	.set _ZN7rocprim17ROCPRIM_400000_NS6detail17trampoline_kernelINS0_14default_configENS1_36segmented_radix_sort_config_selectorIilEEZNS1_25segmented_radix_sort_implIS3_Lb0EPKiPiPKlPlN2at6native12_GLOBAL__N_18offset_tEEE10hipError_tPvRmT1_PNSt15iterator_traitsISK_E10value_typeET2_T3_PNSL_ISQ_E10value_typeET4_jRbjT5_SW_jjP12ihipStream_tbEUlT_E1_NS1_11comp_targetILNS1_3genE10ELNS1_11target_archE1201ELNS1_3gpuE5ELNS1_3repE0EEENS1_59segmented_radix_sort_warp_sort_small_config_static_selectorELNS0_4arch9wavefront6targetE0EEEvSK_.uses_flat_scratch, or(0, .L_ZN7rocprim17ROCPRIM_400000_NS6detail26segmented_warp_sort_helperINS1_20WarpSortHelperConfigILj8ELj4ELj256EEEilLi256ELb0EvE4sortIPKiPiPKlPlEEvT_T0_T1_T2_jjjjRNS5_12storage_typeE.uses_flat_scratch)
	.set _ZN7rocprim17ROCPRIM_400000_NS6detail17trampoline_kernelINS0_14default_configENS1_36segmented_radix_sort_config_selectorIilEEZNS1_25segmented_radix_sort_implIS3_Lb0EPKiPiPKlPlN2at6native12_GLOBAL__N_18offset_tEEE10hipError_tPvRmT1_PNSt15iterator_traitsISK_E10value_typeET2_T3_PNSL_ISQ_E10value_typeET4_jRbjT5_SW_jjP12ihipStream_tbEUlT_E1_NS1_11comp_targetILNS1_3genE10ELNS1_11target_archE1201ELNS1_3gpuE5ELNS1_3repE0EEENS1_59segmented_radix_sort_warp_sort_small_config_static_selectorELNS0_4arch9wavefront6targetE0EEEvSK_.has_dyn_sized_stack, or(0, .L_ZN7rocprim17ROCPRIM_400000_NS6detail26segmented_warp_sort_helperINS1_20WarpSortHelperConfigILj8ELj4ELj256EEEilLi256ELb0EvE4sortIPKiPiPKlPlEEvT_T0_T1_T2_jjjjRNS5_12storage_typeE.has_dyn_sized_stack)
	.set _ZN7rocprim17ROCPRIM_400000_NS6detail17trampoline_kernelINS0_14default_configENS1_36segmented_radix_sort_config_selectorIilEEZNS1_25segmented_radix_sort_implIS3_Lb0EPKiPiPKlPlN2at6native12_GLOBAL__N_18offset_tEEE10hipError_tPvRmT1_PNSt15iterator_traitsISK_E10value_typeET2_T3_PNSL_ISQ_E10value_typeET4_jRbjT5_SW_jjP12ihipStream_tbEUlT_E1_NS1_11comp_targetILNS1_3genE10ELNS1_11target_archE1201ELNS1_3gpuE5ELNS1_3repE0EEENS1_59segmented_radix_sort_warp_sort_small_config_static_selectorELNS0_4arch9wavefront6targetE0EEEvSK_.has_recursion, or(0, .L_ZN7rocprim17ROCPRIM_400000_NS6detail26segmented_warp_sort_helperINS1_20WarpSortHelperConfigILj8ELj4ELj256EEEilLi256ELb0EvE4sortIPKiPiPKlPlEEvT_T0_T1_T2_jjjjRNS5_12storage_typeE.has_recursion)
	.set _ZN7rocprim17ROCPRIM_400000_NS6detail17trampoline_kernelINS0_14default_configENS1_36segmented_radix_sort_config_selectorIilEEZNS1_25segmented_radix_sort_implIS3_Lb0EPKiPiPKlPlN2at6native12_GLOBAL__N_18offset_tEEE10hipError_tPvRmT1_PNSt15iterator_traitsISK_E10value_typeET2_T3_PNSL_ISQ_E10value_typeET4_jRbjT5_SW_jjP12ihipStream_tbEUlT_E1_NS1_11comp_targetILNS1_3genE10ELNS1_11target_archE1201ELNS1_3gpuE5ELNS1_3repE0EEENS1_59segmented_radix_sort_warp_sort_small_config_static_selectorELNS0_4arch9wavefront6targetE0EEEvSK_.has_indirect_call, or(0, .L_ZN7rocprim17ROCPRIM_400000_NS6detail26segmented_warp_sort_helperINS1_20WarpSortHelperConfigILj8ELj4ELj256EEEilLi256ELb0EvE4sortIPKiPiPKlPlEEvT_T0_T1_T2_jjjjRNS5_12storage_typeE.has_indirect_call)
	.section	.AMDGPU.csdata,"",@progbits
; Kernel info:
; codeLenInByte = 544
; TotalNumSgprs: 35
; NumVgprs: 56
; ScratchSize: 0
; MemoryBound: 0
; FloatMode: 240
; IeeeMode: 1
; LDSByteSize: 12288 bytes/workgroup (compile time only)
; SGPRBlocks: 0
; VGPRBlocks: 6
; NumSGPRsForWavesPerEU: 35
; NumVGPRsForWavesPerEU: 56
; Occupancy: 16
; WaveLimiterHint : 0
; COMPUTE_PGM_RSRC2:SCRATCH_EN: 0
; COMPUTE_PGM_RSRC2:USER_SGPR: 2
; COMPUTE_PGM_RSRC2:TRAP_HANDLER: 0
; COMPUTE_PGM_RSRC2:TGID_X_EN: 1
; COMPUTE_PGM_RSRC2:TGID_Y_EN: 1
; COMPUTE_PGM_RSRC2:TGID_Z_EN: 0
; COMPUTE_PGM_RSRC2:TIDIG_COMP_CNT: 2
	.section	.text._ZN7rocprim17ROCPRIM_400000_NS6detail17trampoline_kernelINS0_14default_configENS1_36segmented_radix_sort_config_selectorIilEEZNS1_25segmented_radix_sort_implIS3_Lb0EPKiPiPKlPlN2at6native12_GLOBAL__N_18offset_tEEE10hipError_tPvRmT1_PNSt15iterator_traitsISK_E10value_typeET2_T3_PNSL_ISQ_E10value_typeET4_jRbjT5_SW_jjP12ihipStream_tbEUlT_E1_NS1_11comp_targetILNS1_3genE10ELNS1_11target_archE1200ELNS1_3gpuE4ELNS1_3repE0EEENS1_59segmented_radix_sort_warp_sort_small_config_static_selectorELNS0_4arch9wavefront6targetE0EEEvSK_,"axG",@progbits,_ZN7rocprim17ROCPRIM_400000_NS6detail17trampoline_kernelINS0_14default_configENS1_36segmented_radix_sort_config_selectorIilEEZNS1_25segmented_radix_sort_implIS3_Lb0EPKiPiPKlPlN2at6native12_GLOBAL__N_18offset_tEEE10hipError_tPvRmT1_PNSt15iterator_traitsISK_E10value_typeET2_T3_PNSL_ISQ_E10value_typeET4_jRbjT5_SW_jjP12ihipStream_tbEUlT_E1_NS1_11comp_targetILNS1_3genE10ELNS1_11target_archE1200ELNS1_3gpuE4ELNS1_3repE0EEENS1_59segmented_radix_sort_warp_sort_small_config_static_selectorELNS0_4arch9wavefront6targetE0EEEvSK_,comdat
	.globl	_ZN7rocprim17ROCPRIM_400000_NS6detail17trampoline_kernelINS0_14default_configENS1_36segmented_radix_sort_config_selectorIilEEZNS1_25segmented_radix_sort_implIS3_Lb0EPKiPiPKlPlN2at6native12_GLOBAL__N_18offset_tEEE10hipError_tPvRmT1_PNSt15iterator_traitsISK_E10value_typeET2_T3_PNSL_ISQ_E10value_typeET4_jRbjT5_SW_jjP12ihipStream_tbEUlT_E1_NS1_11comp_targetILNS1_3genE10ELNS1_11target_archE1200ELNS1_3gpuE4ELNS1_3repE0EEENS1_59segmented_radix_sort_warp_sort_small_config_static_selectorELNS0_4arch9wavefront6targetE0EEEvSK_ ; -- Begin function _ZN7rocprim17ROCPRIM_400000_NS6detail17trampoline_kernelINS0_14default_configENS1_36segmented_radix_sort_config_selectorIilEEZNS1_25segmented_radix_sort_implIS3_Lb0EPKiPiPKlPlN2at6native12_GLOBAL__N_18offset_tEEE10hipError_tPvRmT1_PNSt15iterator_traitsISK_E10value_typeET2_T3_PNSL_ISQ_E10value_typeET4_jRbjT5_SW_jjP12ihipStream_tbEUlT_E1_NS1_11comp_targetILNS1_3genE10ELNS1_11target_archE1200ELNS1_3gpuE4ELNS1_3repE0EEENS1_59segmented_radix_sort_warp_sort_small_config_static_selectorELNS0_4arch9wavefront6targetE0EEEvSK_
	.p2align	8
	.type	_ZN7rocprim17ROCPRIM_400000_NS6detail17trampoline_kernelINS0_14default_configENS1_36segmented_radix_sort_config_selectorIilEEZNS1_25segmented_radix_sort_implIS3_Lb0EPKiPiPKlPlN2at6native12_GLOBAL__N_18offset_tEEE10hipError_tPvRmT1_PNSt15iterator_traitsISK_E10value_typeET2_T3_PNSL_ISQ_E10value_typeET4_jRbjT5_SW_jjP12ihipStream_tbEUlT_E1_NS1_11comp_targetILNS1_3genE10ELNS1_11target_archE1200ELNS1_3gpuE4ELNS1_3repE0EEENS1_59segmented_radix_sort_warp_sort_small_config_static_selectorELNS0_4arch9wavefront6targetE0EEEvSK_,@function
_ZN7rocprim17ROCPRIM_400000_NS6detail17trampoline_kernelINS0_14default_configENS1_36segmented_radix_sort_config_selectorIilEEZNS1_25segmented_radix_sort_implIS3_Lb0EPKiPiPKlPlN2at6native12_GLOBAL__N_18offset_tEEE10hipError_tPvRmT1_PNSt15iterator_traitsISK_E10value_typeET2_T3_PNSL_ISQ_E10value_typeET4_jRbjT5_SW_jjP12ihipStream_tbEUlT_E1_NS1_11comp_targetILNS1_3genE10ELNS1_11target_archE1200ELNS1_3gpuE4ELNS1_3repE0EEENS1_59segmented_radix_sort_warp_sort_small_config_static_selectorELNS0_4arch9wavefront6targetE0EEEvSK_: ; @_ZN7rocprim17ROCPRIM_400000_NS6detail17trampoline_kernelINS0_14default_configENS1_36segmented_radix_sort_config_selectorIilEEZNS1_25segmented_radix_sort_implIS3_Lb0EPKiPiPKlPlN2at6native12_GLOBAL__N_18offset_tEEE10hipError_tPvRmT1_PNSt15iterator_traitsISK_E10value_typeET2_T3_PNSL_ISQ_E10value_typeET4_jRbjT5_SW_jjP12ihipStream_tbEUlT_E1_NS1_11comp_targetILNS1_3genE10ELNS1_11target_archE1200ELNS1_3gpuE4ELNS1_3repE0EEENS1_59segmented_radix_sort_warp_sort_small_config_static_selectorELNS0_4arch9wavefront6targetE0EEEvSK_
; %bb.0:
	.section	.rodata,"a",@progbits
	.p2align	6, 0x0
	.amdhsa_kernel _ZN7rocprim17ROCPRIM_400000_NS6detail17trampoline_kernelINS0_14default_configENS1_36segmented_radix_sort_config_selectorIilEEZNS1_25segmented_radix_sort_implIS3_Lb0EPKiPiPKlPlN2at6native12_GLOBAL__N_18offset_tEEE10hipError_tPvRmT1_PNSt15iterator_traitsISK_E10value_typeET2_T3_PNSL_ISQ_E10value_typeET4_jRbjT5_SW_jjP12ihipStream_tbEUlT_E1_NS1_11comp_targetILNS1_3genE10ELNS1_11target_archE1200ELNS1_3gpuE4ELNS1_3repE0EEENS1_59segmented_radix_sort_warp_sort_small_config_static_selectorELNS0_4arch9wavefront6targetE0EEEvSK_
		.amdhsa_group_segment_fixed_size 0
		.amdhsa_private_segment_fixed_size 0
		.amdhsa_kernarg_size 88
		.amdhsa_user_sgpr_count 2
		.amdhsa_user_sgpr_dispatch_ptr 0
		.amdhsa_user_sgpr_queue_ptr 0
		.amdhsa_user_sgpr_kernarg_segment_ptr 1
		.amdhsa_user_sgpr_dispatch_id 0
		.amdhsa_user_sgpr_private_segment_size 0
		.amdhsa_wavefront_size32 1
		.amdhsa_uses_dynamic_stack 0
		.amdhsa_enable_private_segment 0
		.amdhsa_system_sgpr_workgroup_id_x 1
		.amdhsa_system_sgpr_workgroup_id_y 0
		.amdhsa_system_sgpr_workgroup_id_z 0
		.amdhsa_system_sgpr_workgroup_info 0
		.amdhsa_system_vgpr_workitem_id 0
		.amdhsa_next_free_vgpr 1
		.amdhsa_next_free_sgpr 1
		.amdhsa_reserve_vcc 0
		.amdhsa_float_round_mode_32 0
		.amdhsa_float_round_mode_16_64 0
		.amdhsa_float_denorm_mode_32 3
		.amdhsa_float_denorm_mode_16_64 3
		.amdhsa_fp16_overflow 0
		.amdhsa_workgroup_processor_mode 1
		.amdhsa_memory_ordered 1
		.amdhsa_forward_progress 1
		.amdhsa_inst_pref_size 0
		.amdhsa_round_robin_scheduling 0
		.amdhsa_exception_fp_ieee_invalid_op 0
		.amdhsa_exception_fp_denorm_src 0
		.amdhsa_exception_fp_ieee_div_zero 0
		.amdhsa_exception_fp_ieee_overflow 0
		.amdhsa_exception_fp_ieee_underflow 0
		.amdhsa_exception_fp_ieee_inexact 0
		.amdhsa_exception_int_div_zero 0
	.end_amdhsa_kernel
	.section	.text._ZN7rocprim17ROCPRIM_400000_NS6detail17trampoline_kernelINS0_14default_configENS1_36segmented_radix_sort_config_selectorIilEEZNS1_25segmented_radix_sort_implIS3_Lb0EPKiPiPKlPlN2at6native12_GLOBAL__N_18offset_tEEE10hipError_tPvRmT1_PNSt15iterator_traitsISK_E10value_typeET2_T3_PNSL_ISQ_E10value_typeET4_jRbjT5_SW_jjP12ihipStream_tbEUlT_E1_NS1_11comp_targetILNS1_3genE10ELNS1_11target_archE1200ELNS1_3gpuE4ELNS1_3repE0EEENS1_59segmented_radix_sort_warp_sort_small_config_static_selectorELNS0_4arch9wavefront6targetE0EEEvSK_,"axG",@progbits,_ZN7rocprim17ROCPRIM_400000_NS6detail17trampoline_kernelINS0_14default_configENS1_36segmented_radix_sort_config_selectorIilEEZNS1_25segmented_radix_sort_implIS3_Lb0EPKiPiPKlPlN2at6native12_GLOBAL__N_18offset_tEEE10hipError_tPvRmT1_PNSt15iterator_traitsISK_E10value_typeET2_T3_PNSL_ISQ_E10value_typeET4_jRbjT5_SW_jjP12ihipStream_tbEUlT_E1_NS1_11comp_targetILNS1_3genE10ELNS1_11target_archE1200ELNS1_3gpuE4ELNS1_3repE0EEENS1_59segmented_radix_sort_warp_sort_small_config_static_selectorELNS0_4arch9wavefront6targetE0EEEvSK_,comdat
.Lfunc_end627:
	.size	_ZN7rocprim17ROCPRIM_400000_NS6detail17trampoline_kernelINS0_14default_configENS1_36segmented_radix_sort_config_selectorIilEEZNS1_25segmented_radix_sort_implIS3_Lb0EPKiPiPKlPlN2at6native12_GLOBAL__N_18offset_tEEE10hipError_tPvRmT1_PNSt15iterator_traitsISK_E10value_typeET2_T3_PNSL_ISQ_E10value_typeET4_jRbjT5_SW_jjP12ihipStream_tbEUlT_E1_NS1_11comp_targetILNS1_3genE10ELNS1_11target_archE1200ELNS1_3gpuE4ELNS1_3repE0EEENS1_59segmented_radix_sort_warp_sort_small_config_static_selectorELNS0_4arch9wavefront6targetE0EEEvSK_, .Lfunc_end627-_ZN7rocprim17ROCPRIM_400000_NS6detail17trampoline_kernelINS0_14default_configENS1_36segmented_radix_sort_config_selectorIilEEZNS1_25segmented_radix_sort_implIS3_Lb0EPKiPiPKlPlN2at6native12_GLOBAL__N_18offset_tEEE10hipError_tPvRmT1_PNSt15iterator_traitsISK_E10value_typeET2_T3_PNSL_ISQ_E10value_typeET4_jRbjT5_SW_jjP12ihipStream_tbEUlT_E1_NS1_11comp_targetILNS1_3genE10ELNS1_11target_archE1200ELNS1_3gpuE4ELNS1_3repE0EEENS1_59segmented_radix_sort_warp_sort_small_config_static_selectorELNS0_4arch9wavefront6targetE0EEEvSK_
                                        ; -- End function
	.set _ZN7rocprim17ROCPRIM_400000_NS6detail17trampoline_kernelINS0_14default_configENS1_36segmented_radix_sort_config_selectorIilEEZNS1_25segmented_radix_sort_implIS3_Lb0EPKiPiPKlPlN2at6native12_GLOBAL__N_18offset_tEEE10hipError_tPvRmT1_PNSt15iterator_traitsISK_E10value_typeET2_T3_PNSL_ISQ_E10value_typeET4_jRbjT5_SW_jjP12ihipStream_tbEUlT_E1_NS1_11comp_targetILNS1_3genE10ELNS1_11target_archE1200ELNS1_3gpuE4ELNS1_3repE0EEENS1_59segmented_radix_sort_warp_sort_small_config_static_selectorELNS0_4arch9wavefront6targetE0EEEvSK_.num_vgpr, 0
	.set _ZN7rocprim17ROCPRIM_400000_NS6detail17trampoline_kernelINS0_14default_configENS1_36segmented_radix_sort_config_selectorIilEEZNS1_25segmented_radix_sort_implIS3_Lb0EPKiPiPKlPlN2at6native12_GLOBAL__N_18offset_tEEE10hipError_tPvRmT1_PNSt15iterator_traitsISK_E10value_typeET2_T3_PNSL_ISQ_E10value_typeET4_jRbjT5_SW_jjP12ihipStream_tbEUlT_E1_NS1_11comp_targetILNS1_3genE10ELNS1_11target_archE1200ELNS1_3gpuE4ELNS1_3repE0EEENS1_59segmented_radix_sort_warp_sort_small_config_static_selectorELNS0_4arch9wavefront6targetE0EEEvSK_.num_agpr, 0
	.set _ZN7rocprim17ROCPRIM_400000_NS6detail17trampoline_kernelINS0_14default_configENS1_36segmented_radix_sort_config_selectorIilEEZNS1_25segmented_radix_sort_implIS3_Lb0EPKiPiPKlPlN2at6native12_GLOBAL__N_18offset_tEEE10hipError_tPvRmT1_PNSt15iterator_traitsISK_E10value_typeET2_T3_PNSL_ISQ_E10value_typeET4_jRbjT5_SW_jjP12ihipStream_tbEUlT_E1_NS1_11comp_targetILNS1_3genE10ELNS1_11target_archE1200ELNS1_3gpuE4ELNS1_3repE0EEENS1_59segmented_radix_sort_warp_sort_small_config_static_selectorELNS0_4arch9wavefront6targetE0EEEvSK_.numbered_sgpr, 0
	.set _ZN7rocprim17ROCPRIM_400000_NS6detail17trampoline_kernelINS0_14default_configENS1_36segmented_radix_sort_config_selectorIilEEZNS1_25segmented_radix_sort_implIS3_Lb0EPKiPiPKlPlN2at6native12_GLOBAL__N_18offset_tEEE10hipError_tPvRmT1_PNSt15iterator_traitsISK_E10value_typeET2_T3_PNSL_ISQ_E10value_typeET4_jRbjT5_SW_jjP12ihipStream_tbEUlT_E1_NS1_11comp_targetILNS1_3genE10ELNS1_11target_archE1200ELNS1_3gpuE4ELNS1_3repE0EEENS1_59segmented_radix_sort_warp_sort_small_config_static_selectorELNS0_4arch9wavefront6targetE0EEEvSK_.num_named_barrier, 0
	.set _ZN7rocprim17ROCPRIM_400000_NS6detail17trampoline_kernelINS0_14default_configENS1_36segmented_radix_sort_config_selectorIilEEZNS1_25segmented_radix_sort_implIS3_Lb0EPKiPiPKlPlN2at6native12_GLOBAL__N_18offset_tEEE10hipError_tPvRmT1_PNSt15iterator_traitsISK_E10value_typeET2_T3_PNSL_ISQ_E10value_typeET4_jRbjT5_SW_jjP12ihipStream_tbEUlT_E1_NS1_11comp_targetILNS1_3genE10ELNS1_11target_archE1200ELNS1_3gpuE4ELNS1_3repE0EEENS1_59segmented_radix_sort_warp_sort_small_config_static_selectorELNS0_4arch9wavefront6targetE0EEEvSK_.private_seg_size, 0
	.set _ZN7rocprim17ROCPRIM_400000_NS6detail17trampoline_kernelINS0_14default_configENS1_36segmented_radix_sort_config_selectorIilEEZNS1_25segmented_radix_sort_implIS3_Lb0EPKiPiPKlPlN2at6native12_GLOBAL__N_18offset_tEEE10hipError_tPvRmT1_PNSt15iterator_traitsISK_E10value_typeET2_T3_PNSL_ISQ_E10value_typeET4_jRbjT5_SW_jjP12ihipStream_tbEUlT_E1_NS1_11comp_targetILNS1_3genE10ELNS1_11target_archE1200ELNS1_3gpuE4ELNS1_3repE0EEENS1_59segmented_radix_sort_warp_sort_small_config_static_selectorELNS0_4arch9wavefront6targetE0EEEvSK_.uses_vcc, 0
	.set _ZN7rocprim17ROCPRIM_400000_NS6detail17trampoline_kernelINS0_14default_configENS1_36segmented_radix_sort_config_selectorIilEEZNS1_25segmented_radix_sort_implIS3_Lb0EPKiPiPKlPlN2at6native12_GLOBAL__N_18offset_tEEE10hipError_tPvRmT1_PNSt15iterator_traitsISK_E10value_typeET2_T3_PNSL_ISQ_E10value_typeET4_jRbjT5_SW_jjP12ihipStream_tbEUlT_E1_NS1_11comp_targetILNS1_3genE10ELNS1_11target_archE1200ELNS1_3gpuE4ELNS1_3repE0EEENS1_59segmented_radix_sort_warp_sort_small_config_static_selectorELNS0_4arch9wavefront6targetE0EEEvSK_.uses_flat_scratch, 0
	.set _ZN7rocprim17ROCPRIM_400000_NS6detail17trampoline_kernelINS0_14default_configENS1_36segmented_radix_sort_config_selectorIilEEZNS1_25segmented_radix_sort_implIS3_Lb0EPKiPiPKlPlN2at6native12_GLOBAL__N_18offset_tEEE10hipError_tPvRmT1_PNSt15iterator_traitsISK_E10value_typeET2_T3_PNSL_ISQ_E10value_typeET4_jRbjT5_SW_jjP12ihipStream_tbEUlT_E1_NS1_11comp_targetILNS1_3genE10ELNS1_11target_archE1200ELNS1_3gpuE4ELNS1_3repE0EEENS1_59segmented_radix_sort_warp_sort_small_config_static_selectorELNS0_4arch9wavefront6targetE0EEEvSK_.has_dyn_sized_stack, 0
	.set _ZN7rocprim17ROCPRIM_400000_NS6detail17trampoline_kernelINS0_14default_configENS1_36segmented_radix_sort_config_selectorIilEEZNS1_25segmented_radix_sort_implIS3_Lb0EPKiPiPKlPlN2at6native12_GLOBAL__N_18offset_tEEE10hipError_tPvRmT1_PNSt15iterator_traitsISK_E10value_typeET2_T3_PNSL_ISQ_E10value_typeET4_jRbjT5_SW_jjP12ihipStream_tbEUlT_E1_NS1_11comp_targetILNS1_3genE10ELNS1_11target_archE1200ELNS1_3gpuE4ELNS1_3repE0EEENS1_59segmented_radix_sort_warp_sort_small_config_static_selectorELNS0_4arch9wavefront6targetE0EEEvSK_.has_recursion, 0
	.set _ZN7rocprim17ROCPRIM_400000_NS6detail17trampoline_kernelINS0_14default_configENS1_36segmented_radix_sort_config_selectorIilEEZNS1_25segmented_radix_sort_implIS3_Lb0EPKiPiPKlPlN2at6native12_GLOBAL__N_18offset_tEEE10hipError_tPvRmT1_PNSt15iterator_traitsISK_E10value_typeET2_T3_PNSL_ISQ_E10value_typeET4_jRbjT5_SW_jjP12ihipStream_tbEUlT_E1_NS1_11comp_targetILNS1_3genE10ELNS1_11target_archE1200ELNS1_3gpuE4ELNS1_3repE0EEENS1_59segmented_radix_sort_warp_sort_small_config_static_selectorELNS0_4arch9wavefront6targetE0EEEvSK_.has_indirect_call, 0
	.section	.AMDGPU.csdata,"",@progbits
; Kernel info:
; codeLenInByte = 0
; TotalNumSgprs: 0
; NumVgprs: 0
; ScratchSize: 0
; MemoryBound: 0
; FloatMode: 240
; IeeeMode: 1
; LDSByteSize: 0 bytes/workgroup (compile time only)
; SGPRBlocks: 0
; VGPRBlocks: 0
; NumSGPRsForWavesPerEU: 1
; NumVGPRsForWavesPerEU: 1
; Occupancy: 16
; WaveLimiterHint : 0
; COMPUTE_PGM_RSRC2:SCRATCH_EN: 0
; COMPUTE_PGM_RSRC2:USER_SGPR: 2
; COMPUTE_PGM_RSRC2:TRAP_HANDLER: 0
; COMPUTE_PGM_RSRC2:TGID_X_EN: 1
; COMPUTE_PGM_RSRC2:TGID_Y_EN: 0
; COMPUTE_PGM_RSRC2:TGID_Z_EN: 0
; COMPUTE_PGM_RSRC2:TIDIG_COMP_CNT: 0
	.section	.text._ZN7rocprim17ROCPRIM_400000_NS6detail17trampoline_kernelINS0_14default_configENS1_36segmented_radix_sort_config_selectorIilEEZNS1_25segmented_radix_sort_implIS3_Lb0EPKiPiPKlPlN2at6native12_GLOBAL__N_18offset_tEEE10hipError_tPvRmT1_PNSt15iterator_traitsISK_E10value_typeET2_T3_PNSL_ISQ_E10value_typeET4_jRbjT5_SW_jjP12ihipStream_tbEUlT_E1_NS1_11comp_targetILNS1_3genE9ELNS1_11target_archE1100ELNS1_3gpuE3ELNS1_3repE0EEENS1_59segmented_radix_sort_warp_sort_small_config_static_selectorELNS0_4arch9wavefront6targetE0EEEvSK_,"axG",@progbits,_ZN7rocprim17ROCPRIM_400000_NS6detail17trampoline_kernelINS0_14default_configENS1_36segmented_radix_sort_config_selectorIilEEZNS1_25segmented_radix_sort_implIS3_Lb0EPKiPiPKlPlN2at6native12_GLOBAL__N_18offset_tEEE10hipError_tPvRmT1_PNSt15iterator_traitsISK_E10value_typeET2_T3_PNSL_ISQ_E10value_typeET4_jRbjT5_SW_jjP12ihipStream_tbEUlT_E1_NS1_11comp_targetILNS1_3genE9ELNS1_11target_archE1100ELNS1_3gpuE3ELNS1_3repE0EEENS1_59segmented_radix_sort_warp_sort_small_config_static_selectorELNS0_4arch9wavefront6targetE0EEEvSK_,comdat
	.globl	_ZN7rocprim17ROCPRIM_400000_NS6detail17trampoline_kernelINS0_14default_configENS1_36segmented_radix_sort_config_selectorIilEEZNS1_25segmented_radix_sort_implIS3_Lb0EPKiPiPKlPlN2at6native12_GLOBAL__N_18offset_tEEE10hipError_tPvRmT1_PNSt15iterator_traitsISK_E10value_typeET2_T3_PNSL_ISQ_E10value_typeET4_jRbjT5_SW_jjP12ihipStream_tbEUlT_E1_NS1_11comp_targetILNS1_3genE9ELNS1_11target_archE1100ELNS1_3gpuE3ELNS1_3repE0EEENS1_59segmented_radix_sort_warp_sort_small_config_static_selectorELNS0_4arch9wavefront6targetE0EEEvSK_ ; -- Begin function _ZN7rocprim17ROCPRIM_400000_NS6detail17trampoline_kernelINS0_14default_configENS1_36segmented_radix_sort_config_selectorIilEEZNS1_25segmented_radix_sort_implIS3_Lb0EPKiPiPKlPlN2at6native12_GLOBAL__N_18offset_tEEE10hipError_tPvRmT1_PNSt15iterator_traitsISK_E10value_typeET2_T3_PNSL_ISQ_E10value_typeET4_jRbjT5_SW_jjP12ihipStream_tbEUlT_E1_NS1_11comp_targetILNS1_3genE9ELNS1_11target_archE1100ELNS1_3gpuE3ELNS1_3repE0EEENS1_59segmented_radix_sort_warp_sort_small_config_static_selectorELNS0_4arch9wavefront6targetE0EEEvSK_
	.p2align	8
	.type	_ZN7rocprim17ROCPRIM_400000_NS6detail17trampoline_kernelINS0_14default_configENS1_36segmented_radix_sort_config_selectorIilEEZNS1_25segmented_radix_sort_implIS3_Lb0EPKiPiPKlPlN2at6native12_GLOBAL__N_18offset_tEEE10hipError_tPvRmT1_PNSt15iterator_traitsISK_E10value_typeET2_T3_PNSL_ISQ_E10value_typeET4_jRbjT5_SW_jjP12ihipStream_tbEUlT_E1_NS1_11comp_targetILNS1_3genE9ELNS1_11target_archE1100ELNS1_3gpuE3ELNS1_3repE0EEENS1_59segmented_radix_sort_warp_sort_small_config_static_selectorELNS0_4arch9wavefront6targetE0EEEvSK_,@function
_ZN7rocprim17ROCPRIM_400000_NS6detail17trampoline_kernelINS0_14default_configENS1_36segmented_radix_sort_config_selectorIilEEZNS1_25segmented_radix_sort_implIS3_Lb0EPKiPiPKlPlN2at6native12_GLOBAL__N_18offset_tEEE10hipError_tPvRmT1_PNSt15iterator_traitsISK_E10value_typeET2_T3_PNSL_ISQ_E10value_typeET4_jRbjT5_SW_jjP12ihipStream_tbEUlT_E1_NS1_11comp_targetILNS1_3genE9ELNS1_11target_archE1100ELNS1_3gpuE3ELNS1_3repE0EEENS1_59segmented_radix_sort_warp_sort_small_config_static_selectorELNS0_4arch9wavefront6targetE0EEEvSK_: ; @_ZN7rocprim17ROCPRIM_400000_NS6detail17trampoline_kernelINS0_14default_configENS1_36segmented_radix_sort_config_selectorIilEEZNS1_25segmented_radix_sort_implIS3_Lb0EPKiPiPKlPlN2at6native12_GLOBAL__N_18offset_tEEE10hipError_tPvRmT1_PNSt15iterator_traitsISK_E10value_typeET2_T3_PNSL_ISQ_E10value_typeET4_jRbjT5_SW_jjP12ihipStream_tbEUlT_E1_NS1_11comp_targetILNS1_3genE9ELNS1_11target_archE1100ELNS1_3gpuE3ELNS1_3repE0EEENS1_59segmented_radix_sort_warp_sort_small_config_static_selectorELNS0_4arch9wavefront6targetE0EEEvSK_
; %bb.0:
	.section	.rodata,"a",@progbits
	.p2align	6, 0x0
	.amdhsa_kernel _ZN7rocprim17ROCPRIM_400000_NS6detail17trampoline_kernelINS0_14default_configENS1_36segmented_radix_sort_config_selectorIilEEZNS1_25segmented_radix_sort_implIS3_Lb0EPKiPiPKlPlN2at6native12_GLOBAL__N_18offset_tEEE10hipError_tPvRmT1_PNSt15iterator_traitsISK_E10value_typeET2_T3_PNSL_ISQ_E10value_typeET4_jRbjT5_SW_jjP12ihipStream_tbEUlT_E1_NS1_11comp_targetILNS1_3genE9ELNS1_11target_archE1100ELNS1_3gpuE3ELNS1_3repE0EEENS1_59segmented_radix_sort_warp_sort_small_config_static_selectorELNS0_4arch9wavefront6targetE0EEEvSK_
		.amdhsa_group_segment_fixed_size 0
		.amdhsa_private_segment_fixed_size 0
		.amdhsa_kernarg_size 88
		.amdhsa_user_sgpr_count 2
		.amdhsa_user_sgpr_dispatch_ptr 0
		.amdhsa_user_sgpr_queue_ptr 0
		.amdhsa_user_sgpr_kernarg_segment_ptr 1
		.amdhsa_user_sgpr_dispatch_id 0
		.amdhsa_user_sgpr_private_segment_size 0
		.amdhsa_wavefront_size32 1
		.amdhsa_uses_dynamic_stack 0
		.amdhsa_enable_private_segment 0
		.amdhsa_system_sgpr_workgroup_id_x 1
		.amdhsa_system_sgpr_workgroup_id_y 0
		.amdhsa_system_sgpr_workgroup_id_z 0
		.amdhsa_system_sgpr_workgroup_info 0
		.amdhsa_system_vgpr_workitem_id 0
		.amdhsa_next_free_vgpr 1
		.amdhsa_next_free_sgpr 1
		.amdhsa_reserve_vcc 0
		.amdhsa_float_round_mode_32 0
		.amdhsa_float_round_mode_16_64 0
		.amdhsa_float_denorm_mode_32 3
		.amdhsa_float_denorm_mode_16_64 3
		.amdhsa_fp16_overflow 0
		.amdhsa_workgroup_processor_mode 1
		.amdhsa_memory_ordered 1
		.amdhsa_forward_progress 1
		.amdhsa_inst_pref_size 0
		.amdhsa_round_robin_scheduling 0
		.amdhsa_exception_fp_ieee_invalid_op 0
		.amdhsa_exception_fp_denorm_src 0
		.amdhsa_exception_fp_ieee_div_zero 0
		.amdhsa_exception_fp_ieee_overflow 0
		.amdhsa_exception_fp_ieee_underflow 0
		.amdhsa_exception_fp_ieee_inexact 0
		.amdhsa_exception_int_div_zero 0
	.end_amdhsa_kernel
	.section	.text._ZN7rocprim17ROCPRIM_400000_NS6detail17trampoline_kernelINS0_14default_configENS1_36segmented_radix_sort_config_selectorIilEEZNS1_25segmented_radix_sort_implIS3_Lb0EPKiPiPKlPlN2at6native12_GLOBAL__N_18offset_tEEE10hipError_tPvRmT1_PNSt15iterator_traitsISK_E10value_typeET2_T3_PNSL_ISQ_E10value_typeET4_jRbjT5_SW_jjP12ihipStream_tbEUlT_E1_NS1_11comp_targetILNS1_3genE9ELNS1_11target_archE1100ELNS1_3gpuE3ELNS1_3repE0EEENS1_59segmented_radix_sort_warp_sort_small_config_static_selectorELNS0_4arch9wavefront6targetE0EEEvSK_,"axG",@progbits,_ZN7rocprim17ROCPRIM_400000_NS6detail17trampoline_kernelINS0_14default_configENS1_36segmented_radix_sort_config_selectorIilEEZNS1_25segmented_radix_sort_implIS3_Lb0EPKiPiPKlPlN2at6native12_GLOBAL__N_18offset_tEEE10hipError_tPvRmT1_PNSt15iterator_traitsISK_E10value_typeET2_T3_PNSL_ISQ_E10value_typeET4_jRbjT5_SW_jjP12ihipStream_tbEUlT_E1_NS1_11comp_targetILNS1_3genE9ELNS1_11target_archE1100ELNS1_3gpuE3ELNS1_3repE0EEENS1_59segmented_radix_sort_warp_sort_small_config_static_selectorELNS0_4arch9wavefront6targetE0EEEvSK_,comdat
.Lfunc_end628:
	.size	_ZN7rocprim17ROCPRIM_400000_NS6detail17trampoline_kernelINS0_14default_configENS1_36segmented_radix_sort_config_selectorIilEEZNS1_25segmented_radix_sort_implIS3_Lb0EPKiPiPKlPlN2at6native12_GLOBAL__N_18offset_tEEE10hipError_tPvRmT1_PNSt15iterator_traitsISK_E10value_typeET2_T3_PNSL_ISQ_E10value_typeET4_jRbjT5_SW_jjP12ihipStream_tbEUlT_E1_NS1_11comp_targetILNS1_3genE9ELNS1_11target_archE1100ELNS1_3gpuE3ELNS1_3repE0EEENS1_59segmented_radix_sort_warp_sort_small_config_static_selectorELNS0_4arch9wavefront6targetE0EEEvSK_, .Lfunc_end628-_ZN7rocprim17ROCPRIM_400000_NS6detail17trampoline_kernelINS0_14default_configENS1_36segmented_radix_sort_config_selectorIilEEZNS1_25segmented_radix_sort_implIS3_Lb0EPKiPiPKlPlN2at6native12_GLOBAL__N_18offset_tEEE10hipError_tPvRmT1_PNSt15iterator_traitsISK_E10value_typeET2_T3_PNSL_ISQ_E10value_typeET4_jRbjT5_SW_jjP12ihipStream_tbEUlT_E1_NS1_11comp_targetILNS1_3genE9ELNS1_11target_archE1100ELNS1_3gpuE3ELNS1_3repE0EEENS1_59segmented_radix_sort_warp_sort_small_config_static_selectorELNS0_4arch9wavefront6targetE0EEEvSK_
                                        ; -- End function
	.set _ZN7rocprim17ROCPRIM_400000_NS6detail17trampoline_kernelINS0_14default_configENS1_36segmented_radix_sort_config_selectorIilEEZNS1_25segmented_radix_sort_implIS3_Lb0EPKiPiPKlPlN2at6native12_GLOBAL__N_18offset_tEEE10hipError_tPvRmT1_PNSt15iterator_traitsISK_E10value_typeET2_T3_PNSL_ISQ_E10value_typeET4_jRbjT5_SW_jjP12ihipStream_tbEUlT_E1_NS1_11comp_targetILNS1_3genE9ELNS1_11target_archE1100ELNS1_3gpuE3ELNS1_3repE0EEENS1_59segmented_radix_sort_warp_sort_small_config_static_selectorELNS0_4arch9wavefront6targetE0EEEvSK_.num_vgpr, 0
	.set _ZN7rocprim17ROCPRIM_400000_NS6detail17trampoline_kernelINS0_14default_configENS1_36segmented_radix_sort_config_selectorIilEEZNS1_25segmented_radix_sort_implIS3_Lb0EPKiPiPKlPlN2at6native12_GLOBAL__N_18offset_tEEE10hipError_tPvRmT1_PNSt15iterator_traitsISK_E10value_typeET2_T3_PNSL_ISQ_E10value_typeET4_jRbjT5_SW_jjP12ihipStream_tbEUlT_E1_NS1_11comp_targetILNS1_3genE9ELNS1_11target_archE1100ELNS1_3gpuE3ELNS1_3repE0EEENS1_59segmented_radix_sort_warp_sort_small_config_static_selectorELNS0_4arch9wavefront6targetE0EEEvSK_.num_agpr, 0
	.set _ZN7rocprim17ROCPRIM_400000_NS6detail17trampoline_kernelINS0_14default_configENS1_36segmented_radix_sort_config_selectorIilEEZNS1_25segmented_radix_sort_implIS3_Lb0EPKiPiPKlPlN2at6native12_GLOBAL__N_18offset_tEEE10hipError_tPvRmT1_PNSt15iterator_traitsISK_E10value_typeET2_T3_PNSL_ISQ_E10value_typeET4_jRbjT5_SW_jjP12ihipStream_tbEUlT_E1_NS1_11comp_targetILNS1_3genE9ELNS1_11target_archE1100ELNS1_3gpuE3ELNS1_3repE0EEENS1_59segmented_radix_sort_warp_sort_small_config_static_selectorELNS0_4arch9wavefront6targetE0EEEvSK_.numbered_sgpr, 0
	.set _ZN7rocprim17ROCPRIM_400000_NS6detail17trampoline_kernelINS0_14default_configENS1_36segmented_radix_sort_config_selectorIilEEZNS1_25segmented_radix_sort_implIS3_Lb0EPKiPiPKlPlN2at6native12_GLOBAL__N_18offset_tEEE10hipError_tPvRmT1_PNSt15iterator_traitsISK_E10value_typeET2_T3_PNSL_ISQ_E10value_typeET4_jRbjT5_SW_jjP12ihipStream_tbEUlT_E1_NS1_11comp_targetILNS1_3genE9ELNS1_11target_archE1100ELNS1_3gpuE3ELNS1_3repE0EEENS1_59segmented_radix_sort_warp_sort_small_config_static_selectorELNS0_4arch9wavefront6targetE0EEEvSK_.num_named_barrier, 0
	.set _ZN7rocprim17ROCPRIM_400000_NS6detail17trampoline_kernelINS0_14default_configENS1_36segmented_radix_sort_config_selectorIilEEZNS1_25segmented_radix_sort_implIS3_Lb0EPKiPiPKlPlN2at6native12_GLOBAL__N_18offset_tEEE10hipError_tPvRmT1_PNSt15iterator_traitsISK_E10value_typeET2_T3_PNSL_ISQ_E10value_typeET4_jRbjT5_SW_jjP12ihipStream_tbEUlT_E1_NS1_11comp_targetILNS1_3genE9ELNS1_11target_archE1100ELNS1_3gpuE3ELNS1_3repE0EEENS1_59segmented_radix_sort_warp_sort_small_config_static_selectorELNS0_4arch9wavefront6targetE0EEEvSK_.private_seg_size, 0
	.set _ZN7rocprim17ROCPRIM_400000_NS6detail17trampoline_kernelINS0_14default_configENS1_36segmented_radix_sort_config_selectorIilEEZNS1_25segmented_radix_sort_implIS3_Lb0EPKiPiPKlPlN2at6native12_GLOBAL__N_18offset_tEEE10hipError_tPvRmT1_PNSt15iterator_traitsISK_E10value_typeET2_T3_PNSL_ISQ_E10value_typeET4_jRbjT5_SW_jjP12ihipStream_tbEUlT_E1_NS1_11comp_targetILNS1_3genE9ELNS1_11target_archE1100ELNS1_3gpuE3ELNS1_3repE0EEENS1_59segmented_radix_sort_warp_sort_small_config_static_selectorELNS0_4arch9wavefront6targetE0EEEvSK_.uses_vcc, 0
	.set _ZN7rocprim17ROCPRIM_400000_NS6detail17trampoline_kernelINS0_14default_configENS1_36segmented_radix_sort_config_selectorIilEEZNS1_25segmented_radix_sort_implIS3_Lb0EPKiPiPKlPlN2at6native12_GLOBAL__N_18offset_tEEE10hipError_tPvRmT1_PNSt15iterator_traitsISK_E10value_typeET2_T3_PNSL_ISQ_E10value_typeET4_jRbjT5_SW_jjP12ihipStream_tbEUlT_E1_NS1_11comp_targetILNS1_3genE9ELNS1_11target_archE1100ELNS1_3gpuE3ELNS1_3repE0EEENS1_59segmented_radix_sort_warp_sort_small_config_static_selectorELNS0_4arch9wavefront6targetE0EEEvSK_.uses_flat_scratch, 0
	.set _ZN7rocprim17ROCPRIM_400000_NS6detail17trampoline_kernelINS0_14default_configENS1_36segmented_radix_sort_config_selectorIilEEZNS1_25segmented_radix_sort_implIS3_Lb0EPKiPiPKlPlN2at6native12_GLOBAL__N_18offset_tEEE10hipError_tPvRmT1_PNSt15iterator_traitsISK_E10value_typeET2_T3_PNSL_ISQ_E10value_typeET4_jRbjT5_SW_jjP12ihipStream_tbEUlT_E1_NS1_11comp_targetILNS1_3genE9ELNS1_11target_archE1100ELNS1_3gpuE3ELNS1_3repE0EEENS1_59segmented_radix_sort_warp_sort_small_config_static_selectorELNS0_4arch9wavefront6targetE0EEEvSK_.has_dyn_sized_stack, 0
	.set _ZN7rocprim17ROCPRIM_400000_NS6detail17trampoline_kernelINS0_14default_configENS1_36segmented_radix_sort_config_selectorIilEEZNS1_25segmented_radix_sort_implIS3_Lb0EPKiPiPKlPlN2at6native12_GLOBAL__N_18offset_tEEE10hipError_tPvRmT1_PNSt15iterator_traitsISK_E10value_typeET2_T3_PNSL_ISQ_E10value_typeET4_jRbjT5_SW_jjP12ihipStream_tbEUlT_E1_NS1_11comp_targetILNS1_3genE9ELNS1_11target_archE1100ELNS1_3gpuE3ELNS1_3repE0EEENS1_59segmented_radix_sort_warp_sort_small_config_static_selectorELNS0_4arch9wavefront6targetE0EEEvSK_.has_recursion, 0
	.set _ZN7rocprim17ROCPRIM_400000_NS6detail17trampoline_kernelINS0_14default_configENS1_36segmented_radix_sort_config_selectorIilEEZNS1_25segmented_radix_sort_implIS3_Lb0EPKiPiPKlPlN2at6native12_GLOBAL__N_18offset_tEEE10hipError_tPvRmT1_PNSt15iterator_traitsISK_E10value_typeET2_T3_PNSL_ISQ_E10value_typeET4_jRbjT5_SW_jjP12ihipStream_tbEUlT_E1_NS1_11comp_targetILNS1_3genE9ELNS1_11target_archE1100ELNS1_3gpuE3ELNS1_3repE0EEENS1_59segmented_radix_sort_warp_sort_small_config_static_selectorELNS0_4arch9wavefront6targetE0EEEvSK_.has_indirect_call, 0
	.section	.AMDGPU.csdata,"",@progbits
; Kernel info:
; codeLenInByte = 0
; TotalNumSgprs: 0
; NumVgprs: 0
; ScratchSize: 0
; MemoryBound: 0
; FloatMode: 240
; IeeeMode: 1
; LDSByteSize: 0 bytes/workgroup (compile time only)
; SGPRBlocks: 0
; VGPRBlocks: 0
; NumSGPRsForWavesPerEU: 1
; NumVGPRsForWavesPerEU: 1
; Occupancy: 16
; WaveLimiterHint : 0
; COMPUTE_PGM_RSRC2:SCRATCH_EN: 0
; COMPUTE_PGM_RSRC2:USER_SGPR: 2
; COMPUTE_PGM_RSRC2:TRAP_HANDLER: 0
; COMPUTE_PGM_RSRC2:TGID_X_EN: 1
; COMPUTE_PGM_RSRC2:TGID_Y_EN: 0
; COMPUTE_PGM_RSRC2:TGID_Z_EN: 0
; COMPUTE_PGM_RSRC2:TIDIG_COMP_CNT: 0
	.section	.text._ZN7rocprim17ROCPRIM_400000_NS6detail17trampoline_kernelINS0_14default_configENS1_36segmented_radix_sort_config_selectorIilEEZNS1_25segmented_radix_sort_implIS3_Lb0EPKiPiPKlPlN2at6native12_GLOBAL__N_18offset_tEEE10hipError_tPvRmT1_PNSt15iterator_traitsISK_E10value_typeET2_T3_PNSL_ISQ_E10value_typeET4_jRbjT5_SW_jjP12ihipStream_tbEUlT_E1_NS1_11comp_targetILNS1_3genE8ELNS1_11target_archE1030ELNS1_3gpuE2ELNS1_3repE0EEENS1_59segmented_radix_sort_warp_sort_small_config_static_selectorELNS0_4arch9wavefront6targetE0EEEvSK_,"axG",@progbits,_ZN7rocprim17ROCPRIM_400000_NS6detail17trampoline_kernelINS0_14default_configENS1_36segmented_radix_sort_config_selectorIilEEZNS1_25segmented_radix_sort_implIS3_Lb0EPKiPiPKlPlN2at6native12_GLOBAL__N_18offset_tEEE10hipError_tPvRmT1_PNSt15iterator_traitsISK_E10value_typeET2_T3_PNSL_ISQ_E10value_typeET4_jRbjT5_SW_jjP12ihipStream_tbEUlT_E1_NS1_11comp_targetILNS1_3genE8ELNS1_11target_archE1030ELNS1_3gpuE2ELNS1_3repE0EEENS1_59segmented_radix_sort_warp_sort_small_config_static_selectorELNS0_4arch9wavefront6targetE0EEEvSK_,comdat
	.globl	_ZN7rocprim17ROCPRIM_400000_NS6detail17trampoline_kernelINS0_14default_configENS1_36segmented_radix_sort_config_selectorIilEEZNS1_25segmented_radix_sort_implIS3_Lb0EPKiPiPKlPlN2at6native12_GLOBAL__N_18offset_tEEE10hipError_tPvRmT1_PNSt15iterator_traitsISK_E10value_typeET2_T3_PNSL_ISQ_E10value_typeET4_jRbjT5_SW_jjP12ihipStream_tbEUlT_E1_NS1_11comp_targetILNS1_3genE8ELNS1_11target_archE1030ELNS1_3gpuE2ELNS1_3repE0EEENS1_59segmented_radix_sort_warp_sort_small_config_static_selectorELNS0_4arch9wavefront6targetE0EEEvSK_ ; -- Begin function _ZN7rocprim17ROCPRIM_400000_NS6detail17trampoline_kernelINS0_14default_configENS1_36segmented_radix_sort_config_selectorIilEEZNS1_25segmented_radix_sort_implIS3_Lb0EPKiPiPKlPlN2at6native12_GLOBAL__N_18offset_tEEE10hipError_tPvRmT1_PNSt15iterator_traitsISK_E10value_typeET2_T3_PNSL_ISQ_E10value_typeET4_jRbjT5_SW_jjP12ihipStream_tbEUlT_E1_NS1_11comp_targetILNS1_3genE8ELNS1_11target_archE1030ELNS1_3gpuE2ELNS1_3repE0EEENS1_59segmented_radix_sort_warp_sort_small_config_static_selectorELNS0_4arch9wavefront6targetE0EEEvSK_
	.p2align	8
	.type	_ZN7rocprim17ROCPRIM_400000_NS6detail17trampoline_kernelINS0_14default_configENS1_36segmented_radix_sort_config_selectorIilEEZNS1_25segmented_radix_sort_implIS3_Lb0EPKiPiPKlPlN2at6native12_GLOBAL__N_18offset_tEEE10hipError_tPvRmT1_PNSt15iterator_traitsISK_E10value_typeET2_T3_PNSL_ISQ_E10value_typeET4_jRbjT5_SW_jjP12ihipStream_tbEUlT_E1_NS1_11comp_targetILNS1_3genE8ELNS1_11target_archE1030ELNS1_3gpuE2ELNS1_3repE0EEENS1_59segmented_radix_sort_warp_sort_small_config_static_selectorELNS0_4arch9wavefront6targetE0EEEvSK_,@function
_ZN7rocprim17ROCPRIM_400000_NS6detail17trampoline_kernelINS0_14default_configENS1_36segmented_radix_sort_config_selectorIilEEZNS1_25segmented_radix_sort_implIS3_Lb0EPKiPiPKlPlN2at6native12_GLOBAL__N_18offset_tEEE10hipError_tPvRmT1_PNSt15iterator_traitsISK_E10value_typeET2_T3_PNSL_ISQ_E10value_typeET4_jRbjT5_SW_jjP12ihipStream_tbEUlT_E1_NS1_11comp_targetILNS1_3genE8ELNS1_11target_archE1030ELNS1_3gpuE2ELNS1_3repE0EEENS1_59segmented_radix_sort_warp_sort_small_config_static_selectorELNS0_4arch9wavefront6targetE0EEEvSK_: ; @_ZN7rocprim17ROCPRIM_400000_NS6detail17trampoline_kernelINS0_14default_configENS1_36segmented_radix_sort_config_selectorIilEEZNS1_25segmented_radix_sort_implIS3_Lb0EPKiPiPKlPlN2at6native12_GLOBAL__N_18offset_tEEE10hipError_tPvRmT1_PNSt15iterator_traitsISK_E10value_typeET2_T3_PNSL_ISQ_E10value_typeET4_jRbjT5_SW_jjP12ihipStream_tbEUlT_E1_NS1_11comp_targetILNS1_3genE8ELNS1_11target_archE1030ELNS1_3gpuE2ELNS1_3repE0EEENS1_59segmented_radix_sort_warp_sort_small_config_static_selectorELNS0_4arch9wavefront6targetE0EEEvSK_
; %bb.0:
	.section	.rodata,"a",@progbits
	.p2align	6, 0x0
	.amdhsa_kernel _ZN7rocprim17ROCPRIM_400000_NS6detail17trampoline_kernelINS0_14default_configENS1_36segmented_radix_sort_config_selectorIilEEZNS1_25segmented_radix_sort_implIS3_Lb0EPKiPiPKlPlN2at6native12_GLOBAL__N_18offset_tEEE10hipError_tPvRmT1_PNSt15iterator_traitsISK_E10value_typeET2_T3_PNSL_ISQ_E10value_typeET4_jRbjT5_SW_jjP12ihipStream_tbEUlT_E1_NS1_11comp_targetILNS1_3genE8ELNS1_11target_archE1030ELNS1_3gpuE2ELNS1_3repE0EEENS1_59segmented_radix_sort_warp_sort_small_config_static_selectorELNS0_4arch9wavefront6targetE0EEEvSK_
		.amdhsa_group_segment_fixed_size 0
		.amdhsa_private_segment_fixed_size 0
		.amdhsa_kernarg_size 88
		.amdhsa_user_sgpr_count 2
		.amdhsa_user_sgpr_dispatch_ptr 0
		.amdhsa_user_sgpr_queue_ptr 0
		.amdhsa_user_sgpr_kernarg_segment_ptr 1
		.amdhsa_user_sgpr_dispatch_id 0
		.amdhsa_user_sgpr_private_segment_size 0
		.amdhsa_wavefront_size32 1
		.amdhsa_uses_dynamic_stack 0
		.amdhsa_enable_private_segment 0
		.amdhsa_system_sgpr_workgroup_id_x 1
		.amdhsa_system_sgpr_workgroup_id_y 0
		.amdhsa_system_sgpr_workgroup_id_z 0
		.amdhsa_system_sgpr_workgroup_info 0
		.amdhsa_system_vgpr_workitem_id 0
		.amdhsa_next_free_vgpr 1
		.amdhsa_next_free_sgpr 1
		.amdhsa_reserve_vcc 0
		.amdhsa_float_round_mode_32 0
		.amdhsa_float_round_mode_16_64 0
		.amdhsa_float_denorm_mode_32 3
		.amdhsa_float_denorm_mode_16_64 3
		.amdhsa_fp16_overflow 0
		.amdhsa_workgroup_processor_mode 1
		.amdhsa_memory_ordered 1
		.amdhsa_forward_progress 1
		.amdhsa_inst_pref_size 0
		.amdhsa_round_robin_scheduling 0
		.amdhsa_exception_fp_ieee_invalid_op 0
		.amdhsa_exception_fp_denorm_src 0
		.amdhsa_exception_fp_ieee_div_zero 0
		.amdhsa_exception_fp_ieee_overflow 0
		.amdhsa_exception_fp_ieee_underflow 0
		.amdhsa_exception_fp_ieee_inexact 0
		.amdhsa_exception_int_div_zero 0
	.end_amdhsa_kernel
	.section	.text._ZN7rocprim17ROCPRIM_400000_NS6detail17trampoline_kernelINS0_14default_configENS1_36segmented_radix_sort_config_selectorIilEEZNS1_25segmented_radix_sort_implIS3_Lb0EPKiPiPKlPlN2at6native12_GLOBAL__N_18offset_tEEE10hipError_tPvRmT1_PNSt15iterator_traitsISK_E10value_typeET2_T3_PNSL_ISQ_E10value_typeET4_jRbjT5_SW_jjP12ihipStream_tbEUlT_E1_NS1_11comp_targetILNS1_3genE8ELNS1_11target_archE1030ELNS1_3gpuE2ELNS1_3repE0EEENS1_59segmented_radix_sort_warp_sort_small_config_static_selectorELNS0_4arch9wavefront6targetE0EEEvSK_,"axG",@progbits,_ZN7rocprim17ROCPRIM_400000_NS6detail17trampoline_kernelINS0_14default_configENS1_36segmented_radix_sort_config_selectorIilEEZNS1_25segmented_radix_sort_implIS3_Lb0EPKiPiPKlPlN2at6native12_GLOBAL__N_18offset_tEEE10hipError_tPvRmT1_PNSt15iterator_traitsISK_E10value_typeET2_T3_PNSL_ISQ_E10value_typeET4_jRbjT5_SW_jjP12ihipStream_tbEUlT_E1_NS1_11comp_targetILNS1_3genE8ELNS1_11target_archE1030ELNS1_3gpuE2ELNS1_3repE0EEENS1_59segmented_radix_sort_warp_sort_small_config_static_selectorELNS0_4arch9wavefront6targetE0EEEvSK_,comdat
.Lfunc_end629:
	.size	_ZN7rocprim17ROCPRIM_400000_NS6detail17trampoline_kernelINS0_14default_configENS1_36segmented_radix_sort_config_selectorIilEEZNS1_25segmented_radix_sort_implIS3_Lb0EPKiPiPKlPlN2at6native12_GLOBAL__N_18offset_tEEE10hipError_tPvRmT1_PNSt15iterator_traitsISK_E10value_typeET2_T3_PNSL_ISQ_E10value_typeET4_jRbjT5_SW_jjP12ihipStream_tbEUlT_E1_NS1_11comp_targetILNS1_3genE8ELNS1_11target_archE1030ELNS1_3gpuE2ELNS1_3repE0EEENS1_59segmented_radix_sort_warp_sort_small_config_static_selectorELNS0_4arch9wavefront6targetE0EEEvSK_, .Lfunc_end629-_ZN7rocprim17ROCPRIM_400000_NS6detail17trampoline_kernelINS0_14default_configENS1_36segmented_radix_sort_config_selectorIilEEZNS1_25segmented_radix_sort_implIS3_Lb0EPKiPiPKlPlN2at6native12_GLOBAL__N_18offset_tEEE10hipError_tPvRmT1_PNSt15iterator_traitsISK_E10value_typeET2_T3_PNSL_ISQ_E10value_typeET4_jRbjT5_SW_jjP12ihipStream_tbEUlT_E1_NS1_11comp_targetILNS1_3genE8ELNS1_11target_archE1030ELNS1_3gpuE2ELNS1_3repE0EEENS1_59segmented_radix_sort_warp_sort_small_config_static_selectorELNS0_4arch9wavefront6targetE0EEEvSK_
                                        ; -- End function
	.set _ZN7rocprim17ROCPRIM_400000_NS6detail17trampoline_kernelINS0_14default_configENS1_36segmented_radix_sort_config_selectorIilEEZNS1_25segmented_radix_sort_implIS3_Lb0EPKiPiPKlPlN2at6native12_GLOBAL__N_18offset_tEEE10hipError_tPvRmT1_PNSt15iterator_traitsISK_E10value_typeET2_T3_PNSL_ISQ_E10value_typeET4_jRbjT5_SW_jjP12ihipStream_tbEUlT_E1_NS1_11comp_targetILNS1_3genE8ELNS1_11target_archE1030ELNS1_3gpuE2ELNS1_3repE0EEENS1_59segmented_radix_sort_warp_sort_small_config_static_selectorELNS0_4arch9wavefront6targetE0EEEvSK_.num_vgpr, 0
	.set _ZN7rocprim17ROCPRIM_400000_NS6detail17trampoline_kernelINS0_14default_configENS1_36segmented_radix_sort_config_selectorIilEEZNS1_25segmented_radix_sort_implIS3_Lb0EPKiPiPKlPlN2at6native12_GLOBAL__N_18offset_tEEE10hipError_tPvRmT1_PNSt15iterator_traitsISK_E10value_typeET2_T3_PNSL_ISQ_E10value_typeET4_jRbjT5_SW_jjP12ihipStream_tbEUlT_E1_NS1_11comp_targetILNS1_3genE8ELNS1_11target_archE1030ELNS1_3gpuE2ELNS1_3repE0EEENS1_59segmented_radix_sort_warp_sort_small_config_static_selectorELNS0_4arch9wavefront6targetE0EEEvSK_.num_agpr, 0
	.set _ZN7rocprim17ROCPRIM_400000_NS6detail17trampoline_kernelINS0_14default_configENS1_36segmented_radix_sort_config_selectorIilEEZNS1_25segmented_radix_sort_implIS3_Lb0EPKiPiPKlPlN2at6native12_GLOBAL__N_18offset_tEEE10hipError_tPvRmT1_PNSt15iterator_traitsISK_E10value_typeET2_T3_PNSL_ISQ_E10value_typeET4_jRbjT5_SW_jjP12ihipStream_tbEUlT_E1_NS1_11comp_targetILNS1_3genE8ELNS1_11target_archE1030ELNS1_3gpuE2ELNS1_3repE0EEENS1_59segmented_radix_sort_warp_sort_small_config_static_selectorELNS0_4arch9wavefront6targetE0EEEvSK_.numbered_sgpr, 0
	.set _ZN7rocprim17ROCPRIM_400000_NS6detail17trampoline_kernelINS0_14default_configENS1_36segmented_radix_sort_config_selectorIilEEZNS1_25segmented_radix_sort_implIS3_Lb0EPKiPiPKlPlN2at6native12_GLOBAL__N_18offset_tEEE10hipError_tPvRmT1_PNSt15iterator_traitsISK_E10value_typeET2_T3_PNSL_ISQ_E10value_typeET4_jRbjT5_SW_jjP12ihipStream_tbEUlT_E1_NS1_11comp_targetILNS1_3genE8ELNS1_11target_archE1030ELNS1_3gpuE2ELNS1_3repE0EEENS1_59segmented_radix_sort_warp_sort_small_config_static_selectorELNS0_4arch9wavefront6targetE0EEEvSK_.num_named_barrier, 0
	.set _ZN7rocprim17ROCPRIM_400000_NS6detail17trampoline_kernelINS0_14default_configENS1_36segmented_radix_sort_config_selectorIilEEZNS1_25segmented_radix_sort_implIS3_Lb0EPKiPiPKlPlN2at6native12_GLOBAL__N_18offset_tEEE10hipError_tPvRmT1_PNSt15iterator_traitsISK_E10value_typeET2_T3_PNSL_ISQ_E10value_typeET4_jRbjT5_SW_jjP12ihipStream_tbEUlT_E1_NS1_11comp_targetILNS1_3genE8ELNS1_11target_archE1030ELNS1_3gpuE2ELNS1_3repE0EEENS1_59segmented_radix_sort_warp_sort_small_config_static_selectorELNS0_4arch9wavefront6targetE0EEEvSK_.private_seg_size, 0
	.set _ZN7rocprim17ROCPRIM_400000_NS6detail17trampoline_kernelINS0_14default_configENS1_36segmented_radix_sort_config_selectorIilEEZNS1_25segmented_radix_sort_implIS3_Lb0EPKiPiPKlPlN2at6native12_GLOBAL__N_18offset_tEEE10hipError_tPvRmT1_PNSt15iterator_traitsISK_E10value_typeET2_T3_PNSL_ISQ_E10value_typeET4_jRbjT5_SW_jjP12ihipStream_tbEUlT_E1_NS1_11comp_targetILNS1_3genE8ELNS1_11target_archE1030ELNS1_3gpuE2ELNS1_3repE0EEENS1_59segmented_radix_sort_warp_sort_small_config_static_selectorELNS0_4arch9wavefront6targetE0EEEvSK_.uses_vcc, 0
	.set _ZN7rocprim17ROCPRIM_400000_NS6detail17trampoline_kernelINS0_14default_configENS1_36segmented_radix_sort_config_selectorIilEEZNS1_25segmented_radix_sort_implIS3_Lb0EPKiPiPKlPlN2at6native12_GLOBAL__N_18offset_tEEE10hipError_tPvRmT1_PNSt15iterator_traitsISK_E10value_typeET2_T3_PNSL_ISQ_E10value_typeET4_jRbjT5_SW_jjP12ihipStream_tbEUlT_E1_NS1_11comp_targetILNS1_3genE8ELNS1_11target_archE1030ELNS1_3gpuE2ELNS1_3repE0EEENS1_59segmented_radix_sort_warp_sort_small_config_static_selectorELNS0_4arch9wavefront6targetE0EEEvSK_.uses_flat_scratch, 0
	.set _ZN7rocprim17ROCPRIM_400000_NS6detail17trampoline_kernelINS0_14default_configENS1_36segmented_radix_sort_config_selectorIilEEZNS1_25segmented_radix_sort_implIS3_Lb0EPKiPiPKlPlN2at6native12_GLOBAL__N_18offset_tEEE10hipError_tPvRmT1_PNSt15iterator_traitsISK_E10value_typeET2_T3_PNSL_ISQ_E10value_typeET4_jRbjT5_SW_jjP12ihipStream_tbEUlT_E1_NS1_11comp_targetILNS1_3genE8ELNS1_11target_archE1030ELNS1_3gpuE2ELNS1_3repE0EEENS1_59segmented_radix_sort_warp_sort_small_config_static_selectorELNS0_4arch9wavefront6targetE0EEEvSK_.has_dyn_sized_stack, 0
	.set _ZN7rocprim17ROCPRIM_400000_NS6detail17trampoline_kernelINS0_14default_configENS1_36segmented_radix_sort_config_selectorIilEEZNS1_25segmented_radix_sort_implIS3_Lb0EPKiPiPKlPlN2at6native12_GLOBAL__N_18offset_tEEE10hipError_tPvRmT1_PNSt15iterator_traitsISK_E10value_typeET2_T3_PNSL_ISQ_E10value_typeET4_jRbjT5_SW_jjP12ihipStream_tbEUlT_E1_NS1_11comp_targetILNS1_3genE8ELNS1_11target_archE1030ELNS1_3gpuE2ELNS1_3repE0EEENS1_59segmented_radix_sort_warp_sort_small_config_static_selectorELNS0_4arch9wavefront6targetE0EEEvSK_.has_recursion, 0
	.set _ZN7rocprim17ROCPRIM_400000_NS6detail17trampoline_kernelINS0_14default_configENS1_36segmented_radix_sort_config_selectorIilEEZNS1_25segmented_radix_sort_implIS3_Lb0EPKiPiPKlPlN2at6native12_GLOBAL__N_18offset_tEEE10hipError_tPvRmT1_PNSt15iterator_traitsISK_E10value_typeET2_T3_PNSL_ISQ_E10value_typeET4_jRbjT5_SW_jjP12ihipStream_tbEUlT_E1_NS1_11comp_targetILNS1_3genE8ELNS1_11target_archE1030ELNS1_3gpuE2ELNS1_3repE0EEENS1_59segmented_radix_sort_warp_sort_small_config_static_selectorELNS0_4arch9wavefront6targetE0EEEvSK_.has_indirect_call, 0
	.section	.AMDGPU.csdata,"",@progbits
; Kernel info:
; codeLenInByte = 0
; TotalNumSgprs: 0
; NumVgprs: 0
; ScratchSize: 0
; MemoryBound: 0
; FloatMode: 240
; IeeeMode: 1
; LDSByteSize: 0 bytes/workgroup (compile time only)
; SGPRBlocks: 0
; VGPRBlocks: 0
; NumSGPRsForWavesPerEU: 1
; NumVGPRsForWavesPerEU: 1
; Occupancy: 16
; WaveLimiterHint : 0
; COMPUTE_PGM_RSRC2:SCRATCH_EN: 0
; COMPUTE_PGM_RSRC2:USER_SGPR: 2
; COMPUTE_PGM_RSRC2:TRAP_HANDLER: 0
; COMPUTE_PGM_RSRC2:TGID_X_EN: 1
; COMPUTE_PGM_RSRC2:TGID_Y_EN: 0
; COMPUTE_PGM_RSRC2:TGID_Z_EN: 0
; COMPUTE_PGM_RSRC2:TIDIG_COMP_CNT: 0
	.section	.text._ZN7rocprim17ROCPRIM_400000_NS6detail17trampoline_kernelINS0_14default_configENS1_36segmented_radix_sort_config_selectorIilEEZNS1_25segmented_radix_sort_implIS3_Lb0EPKiPiPKlPlN2at6native12_GLOBAL__N_18offset_tEEE10hipError_tPvRmT1_PNSt15iterator_traitsISK_E10value_typeET2_T3_PNSL_ISQ_E10value_typeET4_jRbjT5_SW_jjP12ihipStream_tbEUlT_E2_NS1_11comp_targetILNS1_3genE0ELNS1_11target_archE4294967295ELNS1_3gpuE0ELNS1_3repE0EEENS1_30default_config_static_selectorELNS0_4arch9wavefront6targetE0EEEvSK_,"axG",@progbits,_ZN7rocprim17ROCPRIM_400000_NS6detail17trampoline_kernelINS0_14default_configENS1_36segmented_radix_sort_config_selectorIilEEZNS1_25segmented_radix_sort_implIS3_Lb0EPKiPiPKlPlN2at6native12_GLOBAL__N_18offset_tEEE10hipError_tPvRmT1_PNSt15iterator_traitsISK_E10value_typeET2_T3_PNSL_ISQ_E10value_typeET4_jRbjT5_SW_jjP12ihipStream_tbEUlT_E2_NS1_11comp_targetILNS1_3genE0ELNS1_11target_archE4294967295ELNS1_3gpuE0ELNS1_3repE0EEENS1_30default_config_static_selectorELNS0_4arch9wavefront6targetE0EEEvSK_,comdat
	.globl	_ZN7rocprim17ROCPRIM_400000_NS6detail17trampoline_kernelINS0_14default_configENS1_36segmented_radix_sort_config_selectorIilEEZNS1_25segmented_radix_sort_implIS3_Lb0EPKiPiPKlPlN2at6native12_GLOBAL__N_18offset_tEEE10hipError_tPvRmT1_PNSt15iterator_traitsISK_E10value_typeET2_T3_PNSL_ISQ_E10value_typeET4_jRbjT5_SW_jjP12ihipStream_tbEUlT_E2_NS1_11comp_targetILNS1_3genE0ELNS1_11target_archE4294967295ELNS1_3gpuE0ELNS1_3repE0EEENS1_30default_config_static_selectorELNS0_4arch9wavefront6targetE0EEEvSK_ ; -- Begin function _ZN7rocprim17ROCPRIM_400000_NS6detail17trampoline_kernelINS0_14default_configENS1_36segmented_radix_sort_config_selectorIilEEZNS1_25segmented_radix_sort_implIS3_Lb0EPKiPiPKlPlN2at6native12_GLOBAL__N_18offset_tEEE10hipError_tPvRmT1_PNSt15iterator_traitsISK_E10value_typeET2_T3_PNSL_ISQ_E10value_typeET4_jRbjT5_SW_jjP12ihipStream_tbEUlT_E2_NS1_11comp_targetILNS1_3genE0ELNS1_11target_archE4294967295ELNS1_3gpuE0ELNS1_3repE0EEENS1_30default_config_static_selectorELNS0_4arch9wavefront6targetE0EEEvSK_
	.p2align	8
	.type	_ZN7rocprim17ROCPRIM_400000_NS6detail17trampoline_kernelINS0_14default_configENS1_36segmented_radix_sort_config_selectorIilEEZNS1_25segmented_radix_sort_implIS3_Lb0EPKiPiPKlPlN2at6native12_GLOBAL__N_18offset_tEEE10hipError_tPvRmT1_PNSt15iterator_traitsISK_E10value_typeET2_T3_PNSL_ISQ_E10value_typeET4_jRbjT5_SW_jjP12ihipStream_tbEUlT_E2_NS1_11comp_targetILNS1_3genE0ELNS1_11target_archE4294967295ELNS1_3gpuE0ELNS1_3repE0EEENS1_30default_config_static_selectorELNS0_4arch9wavefront6targetE0EEEvSK_,@function
_ZN7rocprim17ROCPRIM_400000_NS6detail17trampoline_kernelINS0_14default_configENS1_36segmented_radix_sort_config_selectorIilEEZNS1_25segmented_radix_sort_implIS3_Lb0EPKiPiPKlPlN2at6native12_GLOBAL__N_18offset_tEEE10hipError_tPvRmT1_PNSt15iterator_traitsISK_E10value_typeET2_T3_PNSL_ISQ_E10value_typeET4_jRbjT5_SW_jjP12ihipStream_tbEUlT_E2_NS1_11comp_targetILNS1_3genE0ELNS1_11target_archE4294967295ELNS1_3gpuE0ELNS1_3repE0EEENS1_30default_config_static_selectorELNS0_4arch9wavefront6targetE0EEEvSK_: ; @_ZN7rocprim17ROCPRIM_400000_NS6detail17trampoline_kernelINS0_14default_configENS1_36segmented_radix_sort_config_selectorIilEEZNS1_25segmented_radix_sort_implIS3_Lb0EPKiPiPKlPlN2at6native12_GLOBAL__N_18offset_tEEE10hipError_tPvRmT1_PNSt15iterator_traitsISK_E10value_typeET2_T3_PNSL_ISQ_E10value_typeET4_jRbjT5_SW_jjP12ihipStream_tbEUlT_E2_NS1_11comp_targetILNS1_3genE0ELNS1_11target_archE4294967295ELNS1_3gpuE0ELNS1_3repE0EEENS1_30default_config_static_selectorELNS0_4arch9wavefront6targetE0EEEvSK_
; %bb.0:
	.section	.rodata,"a",@progbits
	.p2align	6, 0x0
	.amdhsa_kernel _ZN7rocprim17ROCPRIM_400000_NS6detail17trampoline_kernelINS0_14default_configENS1_36segmented_radix_sort_config_selectorIilEEZNS1_25segmented_radix_sort_implIS3_Lb0EPKiPiPKlPlN2at6native12_GLOBAL__N_18offset_tEEE10hipError_tPvRmT1_PNSt15iterator_traitsISK_E10value_typeET2_T3_PNSL_ISQ_E10value_typeET4_jRbjT5_SW_jjP12ihipStream_tbEUlT_E2_NS1_11comp_targetILNS1_3genE0ELNS1_11target_archE4294967295ELNS1_3gpuE0ELNS1_3repE0EEENS1_30default_config_static_selectorELNS0_4arch9wavefront6targetE0EEEvSK_
		.amdhsa_group_segment_fixed_size 0
		.amdhsa_private_segment_fixed_size 0
		.amdhsa_kernarg_size 80
		.amdhsa_user_sgpr_count 2
		.amdhsa_user_sgpr_dispatch_ptr 0
		.amdhsa_user_sgpr_queue_ptr 0
		.amdhsa_user_sgpr_kernarg_segment_ptr 1
		.amdhsa_user_sgpr_dispatch_id 0
		.amdhsa_user_sgpr_private_segment_size 0
		.amdhsa_wavefront_size32 1
		.amdhsa_uses_dynamic_stack 0
		.amdhsa_enable_private_segment 0
		.amdhsa_system_sgpr_workgroup_id_x 1
		.amdhsa_system_sgpr_workgroup_id_y 0
		.amdhsa_system_sgpr_workgroup_id_z 0
		.amdhsa_system_sgpr_workgroup_info 0
		.amdhsa_system_vgpr_workitem_id 0
		.amdhsa_next_free_vgpr 1
		.amdhsa_next_free_sgpr 1
		.amdhsa_reserve_vcc 0
		.amdhsa_float_round_mode_32 0
		.amdhsa_float_round_mode_16_64 0
		.amdhsa_float_denorm_mode_32 3
		.amdhsa_float_denorm_mode_16_64 3
		.amdhsa_fp16_overflow 0
		.amdhsa_workgroup_processor_mode 1
		.amdhsa_memory_ordered 1
		.amdhsa_forward_progress 1
		.amdhsa_inst_pref_size 0
		.amdhsa_round_robin_scheduling 0
		.amdhsa_exception_fp_ieee_invalid_op 0
		.amdhsa_exception_fp_denorm_src 0
		.amdhsa_exception_fp_ieee_div_zero 0
		.amdhsa_exception_fp_ieee_overflow 0
		.amdhsa_exception_fp_ieee_underflow 0
		.amdhsa_exception_fp_ieee_inexact 0
		.amdhsa_exception_int_div_zero 0
	.end_amdhsa_kernel
	.section	.text._ZN7rocprim17ROCPRIM_400000_NS6detail17trampoline_kernelINS0_14default_configENS1_36segmented_radix_sort_config_selectorIilEEZNS1_25segmented_radix_sort_implIS3_Lb0EPKiPiPKlPlN2at6native12_GLOBAL__N_18offset_tEEE10hipError_tPvRmT1_PNSt15iterator_traitsISK_E10value_typeET2_T3_PNSL_ISQ_E10value_typeET4_jRbjT5_SW_jjP12ihipStream_tbEUlT_E2_NS1_11comp_targetILNS1_3genE0ELNS1_11target_archE4294967295ELNS1_3gpuE0ELNS1_3repE0EEENS1_30default_config_static_selectorELNS0_4arch9wavefront6targetE0EEEvSK_,"axG",@progbits,_ZN7rocprim17ROCPRIM_400000_NS6detail17trampoline_kernelINS0_14default_configENS1_36segmented_radix_sort_config_selectorIilEEZNS1_25segmented_radix_sort_implIS3_Lb0EPKiPiPKlPlN2at6native12_GLOBAL__N_18offset_tEEE10hipError_tPvRmT1_PNSt15iterator_traitsISK_E10value_typeET2_T3_PNSL_ISQ_E10value_typeET4_jRbjT5_SW_jjP12ihipStream_tbEUlT_E2_NS1_11comp_targetILNS1_3genE0ELNS1_11target_archE4294967295ELNS1_3gpuE0ELNS1_3repE0EEENS1_30default_config_static_selectorELNS0_4arch9wavefront6targetE0EEEvSK_,comdat
.Lfunc_end630:
	.size	_ZN7rocprim17ROCPRIM_400000_NS6detail17trampoline_kernelINS0_14default_configENS1_36segmented_radix_sort_config_selectorIilEEZNS1_25segmented_radix_sort_implIS3_Lb0EPKiPiPKlPlN2at6native12_GLOBAL__N_18offset_tEEE10hipError_tPvRmT1_PNSt15iterator_traitsISK_E10value_typeET2_T3_PNSL_ISQ_E10value_typeET4_jRbjT5_SW_jjP12ihipStream_tbEUlT_E2_NS1_11comp_targetILNS1_3genE0ELNS1_11target_archE4294967295ELNS1_3gpuE0ELNS1_3repE0EEENS1_30default_config_static_selectorELNS0_4arch9wavefront6targetE0EEEvSK_, .Lfunc_end630-_ZN7rocprim17ROCPRIM_400000_NS6detail17trampoline_kernelINS0_14default_configENS1_36segmented_radix_sort_config_selectorIilEEZNS1_25segmented_radix_sort_implIS3_Lb0EPKiPiPKlPlN2at6native12_GLOBAL__N_18offset_tEEE10hipError_tPvRmT1_PNSt15iterator_traitsISK_E10value_typeET2_T3_PNSL_ISQ_E10value_typeET4_jRbjT5_SW_jjP12ihipStream_tbEUlT_E2_NS1_11comp_targetILNS1_3genE0ELNS1_11target_archE4294967295ELNS1_3gpuE0ELNS1_3repE0EEENS1_30default_config_static_selectorELNS0_4arch9wavefront6targetE0EEEvSK_
                                        ; -- End function
	.set _ZN7rocprim17ROCPRIM_400000_NS6detail17trampoline_kernelINS0_14default_configENS1_36segmented_radix_sort_config_selectorIilEEZNS1_25segmented_radix_sort_implIS3_Lb0EPKiPiPKlPlN2at6native12_GLOBAL__N_18offset_tEEE10hipError_tPvRmT1_PNSt15iterator_traitsISK_E10value_typeET2_T3_PNSL_ISQ_E10value_typeET4_jRbjT5_SW_jjP12ihipStream_tbEUlT_E2_NS1_11comp_targetILNS1_3genE0ELNS1_11target_archE4294967295ELNS1_3gpuE0ELNS1_3repE0EEENS1_30default_config_static_selectorELNS0_4arch9wavefront6targetE0EEEvSK_.num_vgpr, 0
	.set _ZN7rocprim17ROCPRIM_400000_NS6detail17trampoline_kernelINS0_14default_configENS1_36segmented_radix_sort_config_selectorIilEEZNS1_25segmented_radix_sort_implIS3_Lb0EPKiPiPKlPlN2at6native12_GLOBAL__N_18offset_tEEE10hipError_tPvRmT1_PNSt15iterator_traitsISK_E10value_typeET2_T3_PNSL_ISQ_E10value_typeET4_jRbjT5_SW_jjP12ihipStream_tbEUlT_E2_NS1_11comp_targetILNS1_3genE0ELNS1_11target_archE4294967295ELNS1_3gpuE0ELNS1_3repE0EEENS1_30default_config_static_selectorELNS0_4arch9wavefront6targetE0EEEvSK_.num_agpr, 0
	.set _ZN7rocprim17ROCPRIM_400000_NS6detail17trampoline_kernelINS0_14default_configENS1_36segmented_radix_sort_config_selectorIilEEZNS1_25segmented_radix_sort_implIS3_Lb0EPKiPiPKlPlN2at6native12_GLOBAL__N_18offset_tEEE10hipError_tPvRmT1_PNSt15iterator_traitsISK_E10value_typeET2_T3_PNSL_ISQ_E10value_typeET4_jRbjT5_SW_jjP12ihipStream_tbEUlT_E2_NS1_11comp_targetILNS1_3genE0ELNS1_11target_archE4294967295ELNS1_3gpuE0ELNS1_3repE0EEENS1_30default_config_static_selectorELNS0_4arch9wavefront6targetE0EEEvSK_.numbered_sgpr, 0
	.set _ZN7rocprim17ROCPRIM_400000_NS6detail17trampoline_kernelINS0_14default_configENS1_36segmented_radix_sort_config_selectorIilEEZNS1_25segmented_radix_sort_implIS3_Lb0EPKiPiPKlPlN2at6native12_GLOBAL__N_18offset_tEEE10hipError_tPvRmT1_PNSt15iterator_traitsISK_E10value_typeET2_T3_PNSL_ISQ_E10value_typeET4_jRbjT5_SW_jjP12ihipStream_tbEUlT_E2_NS1_11comp_targetILNS1_3genE0ELNS1_11target_archE4294967295ELNS1_3gpuE0ELNS1_3repE0EEENS1_30default_config_static_selectorELNS0_4arch9wavefront6targetE0EEEvSK_.num_named_barrier, 0
	.set _ZN7rocprim17ROCPRIM_400000_NS6detail17trampoline_kernelINS0_14default_configENS1_36segmented_radix_sort_config_selectorIilEEZNS1_25segmented_radix_sort_implIS3_Lb0EPKiPiPKlPlN2at6native12_GLOBAL__N_18offset_tEEE10hipError_tPvRmT1_PNSt15iterator_traitsISK_E10value_typeET2_T3_PNSL_ISQ_E10value_typeET4_jRbjT5_SW_jjP12ihipStream_tbEUlT_E2_NS1_11comp_targetILNS1_3genE0ELNS1_11target_archE4294967295ELNS1_3gpuE0ELNS1_3repE0EEENS1_30default_config_static_selectorELNS0_4arch9wavefront6targetE0EEEvSK_.private_seg_size, 0
	.set _ZN7rocprim17ROCPRIM_400000_NS6detail17trampoline_kernelINS0_14default_configENS1_36segmented_radix_sort_config_selectorIilEEZNS1_25segmented_radix_sort_implIS3_Lb0EPKiPiPKlPlN2at6native12_GLOBAL__N_18offset_tEEE10hipError_tPvRmT1_PNSt15iterator_traitsISK_E10value_typeET2_T3_PNSL_ISQ_E10value_typeET4_jRbjT5_SW_jjP12ihipStream_tbEUlT_E2_NS1_11comp_targetILNS1_3genE0ELNS1_11target_archE4294967295ELNS1_3gpuE0ELNS1_3repE0EEENS1_30default_config_static_selectorELNS0_4arch9wavefront6targetE0EEEvSK_.uses_vcc, 0
	.set _ZN7rocprim17ROCPRIM_400000_NS6detail17trampoline_kernelINS0_14default_configENS1_36segmented_radix_sort_config_selectorIilEEZNS1_25segmented_radix_sort_implIS3_Lb0EPKiPiPKlPlN2at6native12_GLOBAL__N_18offset_tEEE10hipError_tPvRmT1_PNSt15iterator_traitsISK_E10value_typeET2_T3_PNSL_ISQ_E10value_typeET4_jRbjT5_SW_jjP12ihipStream_tbEUlT_E2_NS1_11comp_targetILNS1_3genE0ELNS1_11target_archE4294967295ELNS1_3gpuE0ELNS1_3repE0EEENS1_30default_config_static_selectorELNS0_4arch9wavefront6targetE0EEEvSK_.uses_flat_scratch, 0
	.set _ZN7rocprim17ROCPRIM_400000_NS6detail17trampoline_kernelINS0_14default_configENS1_36segmented_radix_sort_config_selectorIilEEZNS1_25segmented_radix_sort_implIS3_Lb0EPKiPiPKlPlN2at6native12_GLOBAL__N_18offset_tEEE10hipError_tPvRmT1_PNSt15iterator_traitsISK_E10value_typeET2_T3_PNSL_ISQ_E10value_typeET4_jRbjT5_SW_jjP12ihipStream_tbEUlT_E2_NS1_11comp_targetILNS1_3genE0ELNS1_11target_archE4294967295ELNS1_3gpuE0ELNS1_3repE0EEENS1_30default_config_static_selectorELNS0_4arch9wavefront6targetE0EEEvSK_.has_dyn_sized_stack, 0
	.set _ZN7rocprim17ROCPRIM_400000_NS6detail17trampoline_kernelINS0_14default_configENS1_36segmented_radix_sort_config_selectorIilEEZNS1_25segmented_radix_sort_implIS3_Lb0EPKiPiPKlPlN2at6native12_GLOBAL__N_18offset_tEEE10hipError_tPvRmT1_PNSt15iterator_traitsISK_E10value_typeET2_T3_PNSL_ISQ_E10value_typeET4_jRbjT5_SW_jjP12ihipStream_tbEUlT_E2_NS1_11comp_targetILNS1_3genE0ELNS1_11target_archE4294967295ELNS1_3gpuE0ELNS1_3repE0EEENS1_30default_config_static_selectorELNS0_4arch9wavefront6targetE0EEEvSK_.has_recursion, 0
	.set _ZN7rocprim17ROCPRIM_400000_NS6detail17trampoline_kernelINS0_14default_configENS1_36segmented_radix_sort_config_selectorIilEEZNS1_25segmented_radix_sort_implIS3_Lb0EPKiPiPKlPlN2at6native12_GLOBAL__N_18offset_tEEE10hipError_tPvRmT1_PNSt15iterator_traitsISK_E10value_typeET2_T3_PNSL_ISQ_E10value_typeET4_jRbjT5_SW_jjP12ihipStream_tbEUlT_E2_NS1_11comp_targetILNS1_3genE0ELNS1_11target_archE4294967295ELNS1_3gpuE0ELNS1_3repE0EEENS1_30default_config_static_selectorELNS0_4arch9wavefront6targetE0EEEvSK_.has_indirect_call, 0
	.section	.AMDGPU.csdata,"",@progbits
; Kernel info:
; codeLenInByte = 0
; TotalNumSgprs: 0
; NumVgprs: 0
; ScratchSize: 0
; MemoryBound: 0
; FloatMode: 240
; IeeeMode: 1
; LDSByteSize: 0 bytes/workgroup (compile time only)
; SGPRBlocks: 0
; VGPRBlocks: 0
; NumSGPRsForWavesPerEU: 1
; NumVGPRsForWavesPerEU: 1
; Occupancy: 16
; WaveLimiterHint : 0
; COMPUTE_PGM_RSRC2:SCRATCH_EN: 0
; COMPUTE_PGM_RSRC2:USER_SGPR: 2
; COMPUTE_PGM_RSRC2:TRAP_HANDLER: 0
; COMPUTE_PGM_RSRC2:TGID_X_EN: 1
; COMPUTE_PGM_RSRC2:TGID_Y_EN: 0
; COMPUTE_PGM_RSRC2:TGID_Z_EN: 0
; COMPUTE_PGM_RSRC2:TIDIG_COMP_CNT: 0
	.section	.text._ZN7rocprim17ROCPRIM_400000_NS6detail17trampoline_kernelINS0_14default_configENS1_36segmented_radix_sort_config_selectorIilEEZNS1_25segmented_radix_sort_implIS3_Lb0EPKiPiPKlPlN2at6native12_GLOBAL__N_18offset_tEEE10hipError_tPvRmT1_PNSt15iterator_traitsISK_E10value_typeET2_T3_PNSL_ISQ_E10value_typeET4_jRbjT5_SW_jjP12ihipStream_tbEUlT_E2_NS1_11comp_targetILNS1_3genE5ELNS1_11target_archE942ELNS1_3gpuE9ELNS1_3repE0EEENS1_30default_config_static_selectorELNS0_4arch9wavefront6targetE0EEEvSK_,"axG",@progbits,_ZN7rocprim17ROCPRIM_400000_NS6detail17trampoline_kernelINS0_14default_configENS1_36segmented_radix_sort_config_selectorIilEEZNS1_25segmented_radix_sort_implIS3_Lb0EPKiPiPKlPlN2at6native12_GLOBAL__N_18offset_tEEE10hipError_tPvRmT1_PNSt15iterator_traitsISK_E10value_typeET2_T3_PNSL_ISQ_E10value_typeET4_jRbjT5_SW_jjP12ihipStream_tbEUlT_E2_NS1_11comp_targetILNS1_3genE5ELNS1_11target_archE942ELNS1_3gpuE9ELNS1_3repE0EEENS1_30default_config_static_selectorELNS0_4arch9wavefront6targetE0EEEvSK_,comdat
	.globl	_ZN7rocprim17ROCPRIM_400000_NS6detail17trampoline_kernelINS0_14default_configENS1_36segmented_radix_sort_config_selectorIilEEZNS1_25segmented_radix_sort_implIS3_Lb0EPKiPiPKlPlN2at6native12_GLOBAL__N_18offset_tEEE10hipError_tPvRmT1_PNSt15iterator_traitsISK_E10value_typeET2_T3_PNSL_ISQ_E10value_typeET4_jRbjT5_SW_jjP12ihipStream_tbEUlT_E2_NS1_11comp_targetILNS1_3genE5ELNS1_11target_archE942ELNS1_3gpuE9ELNS1_3repE0EEENS1_30default_config_static_selectorELNS0_4arch9wavefront6targetE0EEEvSK_ ; -- Begin function _ZN7rocprim17ROCPRIM_400000_NS6detail17trampoline_kernelINS0_14default_configENS1_36segmented_radix_sort_config_selectorIilEEZNS1_25segmented_radix_sort_implIS3_Lb0EPKiPiPKlPlN2at6native12_GLOBAL__N_18offset_tEEE10hipError_tPvRmT1_PNSt15iterator_traitsISK_E10value_typeET2_T3_PNSL_ISQ_E10value_typeET4_jRbjT5_SW_jjP12ihipStream_tbEUlT_E2_NS1_11comp_targetILNS1_3genE5ELNS1_11target_archE942ELNS1_3gpuE9ELNS1_3repE0EEENS1_30default_config_static_selectorELNS0_4arch9wavefront6targetE0EEEvSK_
	.p2align	8
	.type	_ZN7rocprim17ROCPRIM_400000_NS6detail17trampoline_kernelINS0_14default_configENS1_36segmented_radix_sort_config_selectorIilEEZNS1_25segmented_radix_sort_implIS3_Lb0EPKiPiPKlPlN2at6native12_GLOBAL__N_18offset_tEEE10hipError_tPvRmT1_PNSt15iterator_traitsISK_E10value_typeET2_T3_PNSL_ISQ_E10value_typeET4_jRbjT5_SW_jjP12ihipStream_tbEUlT_E2_NS1_11comp_targetILNS1_3genE5ELNS1_11target_archE942ELNS1_3gpuE9ELNS1_3repE0EEENS1_30default_config_static_selectorELNS0_4arch9wavefront6targetE0EEEvSK_,@function
_ZN7rocprim17ROCPRIM_400000_NS6detail17trampoline_kernelINS0_14default_configENS1_36segmented_radix_sort_config_selectorIilEEZNS1_25segmented_radix_sort_implIS3_Lb0EPKiPiPKlPlN2at6native12_GLOBAL__N_18offset_tEEE10hipError_tPvRmT1_PNSt15iterator_traitsISK_E10value_typeET2_T3_PNSL_ISQ_E10value_typeET4_jRbjT5_SW_jjP12ihipStream_tbEUlT_E2_NS1_11comp_targetILNS1_3genE5ELNS1_11target_archE942ELNS1_3gpuE9ELNS1_3repE0EEENS1_30default_config_static_selectorELNS0_4arch9wavefront6targetE0EEEvSK_: ; @_ZN7rocprim17ROCPRIM_400000_NS6detail17trampoline_kernelINS0_14default_configENS1_36segmented_radix_sort_config_selectorIilEEZNS1_25segmented_radix_sort_implIS3_Lb0EPKiPiPKlPlN2at6native12_GLOBAL__N_18offset_tEEE10hipError_tPvRmT1_PNSt15iterator_traitsISK_E10value_typeET2_T3_PNSL_ISQ_E10value_typeET4_jRbjT5_SW_jjP12ihipStream_tbEUlT_E2_NS1_11comp_targetILNS1_3genE5ELNS1_11target_archE942ELNS1_3gpuE9ELNS1_3repE0EEENS1_30default_config_static_selectorELNS0_4arch9wavefront6targetE0EEEvSK_
; %bb.0:
	.section	.rodata,"a",@progbits
	.p2align	6, 0x0
	.amdhsa_kernel _ZN7rocprim17ROCPRIM_400000_NS6detail17trampoline_kernelINS0_14default_configENS1_36segmented_radix_sort_config_selectorIilEEZNS1_25segmented_radix_sort_implIS3_Lb0EPKiPiPKlPlN2at6native12_GLOBAL__N_18offset_tEEE10hipError_tPvRmT1_PNSt15iterator_traitsISK_E10value_typeET2_T3_PNSL_ISQ_E10value_typeET4_jRbjT5_SW_jjP12ihipStream_tbEUlT_E2_NS1_11comp_targetILNS1_3genE5ELNS1_11target_archE942ELNS1_3gpuE9ELNS1_3repE0EEENS1_30default_config_static_selectorELNS0_4arch9wavefront6targetE0EEEvSK_
		.amdhsa_group_segment_fixed_size 0
		.amdhsa_private_segment_fixed_size 0
		.amdhsa_kernarg_size 80
		.amdhsa_user_sgpr_count 2
		.amdhsa_user_sgpr_dispatch_ptr 0
		.amdhsa_user_sgpr_queue_ptr 0
		.amdhsa_user_sgpr_kernarg_segment_ptr 1
		.amdhsa_user_sgpr_dispatch_id 0
		.amdhsa_user_sgpr_private_segment_size 0
		.amdhsa_wavefront_size32 1
		.amdhsa_uses_dynamic_stack 0
		.amdhsa_enable_private_segment 0
		.amdhsa_system_sgpr_workgroup_id_x 1
		.amdhsa_system_sgpr_workgroup_id_y 0
		.amdhsa_system_sgpr_workgroup_id_z 0
		.amdhsa_system_sgpr_workgroup_info 0
		.amdhsa_system_vgpr_workitem_id 0
		.amdhsa_next_free_vgpr 1
		.amdhsa_next_free_sgpr 1
		.amdhsa_reserve_vcc 0
		.amdhsa_float_round_mode_32 0
		.amdhsa_float_round_mode_16_64 0
		.amdhsa_float_denorm_mode_32 3
		.amdhsa_float_denorm_mode_16_64 3
		.amdhsa_fp16_overflow 0
		.amdhsa_workgroup_processor_mode 1
		.amdhsa_memory_ordered 1
		.amdhsa_forward_progress 1
		.amdhsa_inst_pref_size 0
		.amdhsa_round_robin_scheduling 0
		.amdhsa_exception_fp_ieee_invalid_op 0
		.amdhsa_exception_fp_denorm_src 0
		.amdhsa_exception_fp_ieee_div_zero 0
		.amdhsa_exception_fp_ieee_overflow 0
		.amdhsa_exception_fp_ieee_underflow 0
		.amdhsa_exception_fp_ieee_inexact 0
		.amdhsa_exception_int_div_zero 0
	.end_amdhsa_kernel
	.section	.text._ZN7rocprim17ROCPRIM_400000_NS6detail17trampoline_kernelINS0_14default_configENS1_36segmented_radix_sort_config_selectorIilEEZNS1_25segmented_radix_sort_implIS3_Lb0EPKiPiPKlPlN2at6native12_GLOBAL__N_18offset_tEEE10hipError_tPvRmT1_PNSt15iterator_traitsISK_E10value_typeET2_T3_PNSL_ISQ_E10value_typeET4_jRbjT5_SW_jjP12ihipStream_tbEUlT_E2_NS1_11comp_targetILNS1_3genE5ELNS1_11target_archE942ELNS1_3gpuE9ELNS1_3repE0EEENS1_30default_config_static_selectorELNS0_4arch9wavefront6targetE0EEEvSK_,"axG",@progbits,_ZN7rocprim17ROCPRIM_400000_NS6detail17trampoline_kernelINS0_14default_configENS1_36segmented_radix_sort_config_selectorIilEEZNS1_25segmented_radix_sort_implIS3_Lb0EPKiPiPKlPlN2at6native12_GLOBAL__N_18offset_tEEE10hipError_tPvRmT1_PNSt15iterator_traitsISK_E10value_typeET2_T3_PNSL_ISQ_E10value_typeET4_jRbjT5_SW_jjP12ihipStream_tbEUlT_E2_NS1_11comp_targetILNS1_3genE5ELNS1_11target_archE942ELNS1_3gpuE9ELNS1_3repE0EEENS1_30default_config_static_selectorELNS0_4arch9wavefront6targetE0EEEvSK_,comdat
.Lfunc_end631:
	.size	_ZN7rocprim17ROCPRIM_400000_NS6detail17trampoline_kernelINS0_14default_configENS1_36segmented_radix_sort_config_selectorIilEEZNS1_25segmented_radix_sort_implIS3_Lb0EPKiPiPKlPlN2at6native12_GLOBAL__N_18offset_tEEE10hipError_tPvRmT1_PNSt15iterator_traitsISK_E10value_typeET2_T3_PNSL_ISQ_E10value_typeET4_jRbjT5_SW_jjP12ihipStream_tbEUlT_E2_NS1_11comp_targetILNS1_3genE5ELNS1_11target_archE942ELNS1_3gpuE9ELNS1_3repE0EEENS1_30default_config_static_selectorELNS0_4arch9wavefront6targetE0EEEvSK_, .Lfunc_end631-_ZN7rocprim17ROCPRIM_400000_NS6detail17trampoline_kernelINS0_14default_configENS1_36segmented_radix_sort_config_selectorIilEEZNS1_25segmented_radix_sort_implIS3_Lb0EPKiPiPKlPlN2at6native12_GLOBAL__N_18offset_tEEE10hipError_tPvRmT1_PNSt15iterator_traitsISK_E10value_typeET2_T3_PNSL_ISQ_E10value_typeET4_jRbjT5_SW_jjP12ihipStream_tbEUlT_E2_NS1_11comp_targetILNS1_3genE5ELNS1_11target_archE942ELNS1_3gpuE9ELNS1_3repE0EEENS1_30default_config_static_selectorELNS0_4arch9wavefront6targetE0EEEvSK_
                                        ; -- End function
	.set _ZN7rocprim17ROCPRIM_400000_NS6detail17trampoline_kernelINS0_14default_configENS1_36segmented_radix_sort_config_selectorIilEEZNS1_25segmented_radix_sort_implIS3_Lb0EPKiPiPKlPlN2at6native12_GLOBAL__N_18offset_tEEE10hipError_tPvRmT1_PNSt15iterator_traitsISK_E10value_typeET2_T3_PNSL_ISQ_E10value_typeET4_jRbjT5_SW_jjP12ihipStream_tbEUlT_E2_NS1_11comp_targetILNS1_3genE5ELNS1_11target_archE942ELNS1_3gpuE9ELNS1_3repE0EEENS1_30default_config_static_selectorELNS0_4arch9wavefront6targetE0EEEvSK_.num_vgpr, 0
	.set _ZN7rocprim17ROCPRIM_400000_NS6detail17trampoline_kernelINS0_14default_configENS1_36segmented_radix_sort_config_selectorIilEEZNS1_25segmented_radix_sort_implIS3_Lb0EPKiPiPKlPlN2at6native12_GLOBAL__N_18offset_tEEE10hipError_tPvRmT1_PNSt15iterator_traitsISK_E10value_typeET2_T3_PNSL_ISQ_E10value_typeET4_jRbjT5_SW_jjP12ihipStream_tbEUlT_E2_NS1_11comp_targetILNS1_3genE5ELNS1_11target_archE942ELNS1_3gpuE9ELNS1_3repE0EEENS1_30default_config_static_selectorELNS0_4arch9wavefront6targetE0EEEvSK_.num_agpr, 0
	.set _ZN7rocprim17ROCPRIM_400000_NS6detail17trampoline_kernelINS0_14default_configENS1_36segmented_radix_sort_config_selectorIilEEZNS1_25segmented_radix_sort_implIS3_Lb0EPKiPiPKlPlN2at6native12_GLOBAL__N_18offset_tEEE10hipError_tPvRmT1_PNSt15iterator_traitsISK_E10value_typeET2_T3_PNSL_ISQ_E10value_typeET4_jRbjT5_SW_jjP12ihipStream_tbEUlT_E2_NS1_11comp_targetILNS1_3genE5ELNS1_11target_archE942ELNS1_3gpuE9ELNS1_3repE0EEENS1_30default_config_static_selectorELNS0_4arch9wavefront6targetE0EEEvSK_.numbered_sgpr, 0
	.set _ZN7rocprim17ROCPRIM_400000_NS6detail17trampoline_kernelINS0_14default_configENS1_36segmented_radix_sort_config_selectorIilEEZNS1_25segmented_radix_sort_implIS3_Lb0EPKiPiPKlPlN2at6native12_GLOBAL__N_18offset_tEEE10hipError_tPvRmT1_PNSt15iterator_traitsISK_E10value_typeET2_T3_PNSL_ISQ_E10value_typeET4_jRbjT5_SW_jjP12ihipStream_tbEUlT_E2_NS1_11comp_targetILNS1_3genE5ELNS1_11target_archE942ELNS1_3gpuE9ELNS1_3repE0EEENS1_30default_config_static_selectorELNS0_4arch9wavefront6targetE0EEEvSK_.num_named_barrier, 0
	.set _ZN7rocprim17ROCPRIM_400000_NS6detail17trampoline_kernelINS0_14default_configENS1_36segmented_radix_sort_config_selectorIilEEZNS1_25segmented_radix_sort_implIS3_Lb0EPKiPiPKlPlN2at6native12_GLOBAL__N_18offset_tEEE10hipError_tPvRmT1_PNSt15iterator_traitsISK_E10value_typeET2_T3_PNSL_ISQ_E10value_typeET4_jRbjT5_SW_jjP12ihipStream_tbEUlT_E2_NS1_11comp_targetILNS1_3genE5ELNS1_11target_archE942ELNS1_3gpuE9ELNS1_3repE0EEENS1_30default_config_static_selectorELNS0_4arch9wavefront6targetE0EEEvSK_.private_seg_size, 0
	.set _ZN7rocprim17ROCPRIM_400000_NS6detail17trampoline_kernelINS0_14default_configENS1_36segmented_radix_sort_config_selectorIilEEZNS1_25segmented_radix_sort_implIS3_Lb0EPKiPiPKlPlN2at6native12_GLOBAL__N_18offset_tEEE10hipError_tPvRmT1_PNSt15iterator_traitsISK_E10value_typeET2_T3_PNSL_ISQ_E10value_typeET4_jRbjT5_SW_jjP12ihipStream_tbEUlT_E2_NS1_11comp_targetILNS1_3genE5ELNS1_11target_archE942ELNS1_3gpuE9ELNS1_3repE0EEENS1_30default_config_static_selectorELNS0_4arch9wavefront6targetE0EEEvSK_.uses_vcc, 0
	.set _ZN7rocprim17ROCPRIM_400000_NS6detail17trampoline_kernelINS0_14default_configENS1_36segmented_radix_sort_config_selectorIilEEZNS1_25segmented_radix_sort_implIS3_Lb0EPKiPiPKlPlN2at6native12_GLOBAL__N_18offset_tEEE10hipError_tPvRmT1_PNSt15iterator_traitsISK_E10value_typeET2_T3_PNSL_ISQ_E10value_typeET4_jRbjT5_SW_jjP12ihipStream_tbEUlT_E2_NS1_11comp_targetILNS1_3genE5ELNS1_11target_archE942ELNS1_3gpuE9ELNS1_3repE0EEENS1_30default_config_static_selectorELNS0_4arch9wavefront6targetE0EEEvSK_.uses_flat_scratch, 0
	.set _ZN7rocprim17ROCPRIM_400000_NS6detail17trampoline_kernelINS0_14default_configENS1_36segmented_radix_sort_config_selectorIilEEZNS1_25segmented_radix_sort_implIS3_Lb0EPKiPiPKlPlN2at6native12_GLOBAL__N_18offset_tEEE10hipError_tPvRmT1_PNSt15iterator_traitsISK_E10value_typeET2_T3_PNSL_ISQ_E10value_typeET4_jRbjT5_SW_jjP12ihipStream_tbEUlT_E2_NS1_11comp_targetILNS1_3genE5ELNS1_11target_archE942ELNS1_3gpuE9ELNS1_3repE0EEENS1_30default_config_static_selectorELNS0_4arch9wavefront6targetE0EEEvSK_.has_dyn_sized_stack, 0
	.set _ZN7rocprim17ROCPRIM_400000_NS6detail17trampoline_kernelINS0_14default_configENS1_36segmented_radix_sort_config_selectorIilEEZNS1_25segmented_radix_sort_implIS3_Lb0EPKiPiPKlPlN2at6native12_GLOBAL__N_18offset_tEEE10hipError_tPvRmT1_PNSt15iterator_traitsISK_E10value_typeET2_T3_PNSL_ISQ_E10value_typeET4_jRbjT5_SW_jjP12ihipStream_tbEUlT_E2_NS1_11comp_targetILNS1_3genE5ELNS1_11target_archE942ELNS1_3gpuE9ELNS1_3repE0EEENS1_30default_config_static_selectorELNS0_4arch9wavefront6targetE0EEEvSK_.has_recursion, 0
	.set _ZN7rocprim17ROCPRIM_400000_NS6detail17trampoline_kernelINS0_14default_configENS1_36segmented_radix_sort_config_selectorIilEEZNS1_25segmented_radix_sort_implIS3_Lb0EPKiPiPKlPlN2at6native12_GLOBAL__N_18offset_tEEE10hipError_tPvRmT1_PNSt15iterator_traitsISK_E10value_typeET2_T3_PNSL_ISQ_E10value_typeET4_jRbjT5_SW_jjP12ihipStream_tbEUlT_E2_NS1_11comp_targetILNS1_3genE5ELNS1_11target_archE942ELNS1_3gpuE9ELNS1_3repE0EEENS1_30default_config_static_selectorELNS0_4arch9wavefront6targetE0EEEvSK_.has_indirect_call, 0
	.section	.AMDGPU.csdata,"",@progbits
; Kernel info:
; codeLenInByte = 0
; TotalNumSgprs: 0
; NumVgprs: 0
; ScratchSize: 0
; MemoryBound: 0
; FloatMode: 240
; IeeeMode: 1
; LDSByteSize: 0 bytes/workgroup (compile time only)
; SGPRBlocks: 0
; VGPRBlocks: 0
; NumSGPRsForWavesPerEU: 1
; NumVGPRsForWavesPerEU: 1
; Occupancy: 16
; WaveLimiterHint : 0
; COMPUTE_PGM_RSRC2:SCRATCH_EN: 0
; COMPUTE_PGM_RSRC2:USER_SGPR: 2
; COMPUTE_PGM_RSRC2:TRAP_HANDLER: 0
; COMPUTE_PGM_RSRC2:TGID_X_EN: 1
; COMPUTE_PGM_RSRC2:TGID_Y_EN: 0
; COMPUTE_PGM_RSRC2:TGID_Z_EN: 0
; COMPUTE_PGM_RSRC2:TIDIG_COMP_CNT: 0
	.section	.text._ZN7rocprim17ROCPRIM_400000_NS6detail17trampoline_kernelINS0_14default_configENS1_36segmented_radix_sort_config_selectorIilEEZNS1_25segmented_radix_sort_implIS3_Lb0EPKiPiPKlPlN2at6native12_GLOBAL__N_18offset_tEEE10hipError_tPvRmT1_PNSt15iterator_traitsISK_E10value_typeET2_T3_PNSL_ISQ_E10value_typeET4_jRbjT5_SW_jjP12ihipStream_tbEUlT_E2_NS1_11comp_targetILNS1_3genE4ELNS1_11target_archE910ELNS1_3gpuE8ELNS1_3repE0EEENS1_30default_config_static_selectorELNS0_4arch9wavefront6targetE0EEEvSK_,"axG",@progbits,_ZN7rocprim17ROCPRIM_400000_NS6detail17trampoline_kernelINS0_14default_configENS1_36segmented_radix_sort_config_selectorIilEEZNS1_25segmented_radix_sort_implIS3_Lb0EPKiPiPKlPlN2at6native12_GLOBAL__N_18offset_tEEE10hipError_tPvRmT1_PNSt15iterator_traitsISK_E10value_typeET2_T3_PNSL_ISQ_E10value_typeET4_jRbjT5_SW_jjP12ihipStream_tbEUlT_E2_NS1_11comp_targetILNS1_3genE4ELNS1_11target_archE910ELNS1_3gpuE8ELNS1_3repE0EEENS1_30default_config_static_selectorELNS0_4arch9wavefront6targetE0EEEvSK_,comdat
	.globl	_ZN7rocprim17ROCPRIM_400000_NS6detail17trampoline_kernelINS0_14default_configENS1_36segmented_radix_sort_config_selectorIilEEZNS1_25segmented_radix_sort_implIS3_Lb0EPKiPiPKlPlN2at6native12_GLOBAL__N_18offset_tEEE10hipError_tPvRmT1_PNSt15iterator_traitsISK_E10value_typeET2_T3_PNSL_ISQ_E10value_typeET4_jRbjT5_SW_jjP12ihipStream_tbEUlT_E2_NS1_11comp_targetILNS1_3genE4ELNS1_11target_archE910ELNS1_3gpuE8ELNS1_3repE0EEENS1_30default_config_static_selectorELNS0_4arch9wavefront6targetE0EEEvSK_ ; -- Begin function _ZN7rocprim17ROCPRIM_400000_NS6detail17trampoline_kernelINS0_14default_configENS1_36segmented_radix_sort_config_selectorIilEEZNS1_25segmented_radix_sort_implIS3_Lb0EPKiPiPKlPlN2at6native12_GLOBAL__N_18offset_tEEE10hipError_tPvRmT1_PNSt15iterator_traitsISK_E10value_typeET2_T3_PNSL_ISQ_E10value_typeET4_jRbjT5_SW_jjP12ihipStream_tbEUlT_E2_NS1_11comp_targetILNS1_3genE4ELNS1_11target_archE910ELNS1_3gpuE8ELNS1_3repE0EEENS1_30default_config_static_selectorELNS0_4arch9wavefront6targetE0EEEvSK_
	.p2align	8
	.type	_ZN7rocprim17ROCPRIM_400000_NS6detail17trampoline_kernelINS0_14default_configENS1_36segmented_radix_sort_config_selectorIilEEZNS1_25segmented_radix_sort_implIS3_Lb0EPKiPiPKlPlN2at6native12_GLOBAL__N_18offset_tEEE10hipError_tPvRmT1_PNSt15iterator_traitsISK_E10value_typeET2_T3_PNSL_ISQ_E10value_typeET4_jRbjT5_SW_jjP12ihipStream_tbEUlT_E2_NS1_11comp_targetILNS1_3genE4ELNS1_11target_archE910ELNS1_3gpuE8ELNS1_3repE0EEENS1_30default_config_static_selectorELNS0_4arch9wavefront6targetE0EEEvSK_,@function
_ZN7rocprim17ROCPRIM_400000_NS6detail17trampoline_kernelINS0_14default_configENS1_36segmented_radix_sort_config_selectorIilEEZNS1_25segmented_radix_sort_implIS3_Lb0EPKiPiPKlPlN2at6native12_GLOBAL__N_18offset_tEEE10hipError_tPvRmT1_PNSt15iterator_traitsISK_E10value_typeET2_T3_PNSL_ISQ_E10value_typeET4_jRbjT5_SW_jjP12ihipStream_tbEUlT_E2_NS1_11comp_targetILNS1_3genE4ELNS1_11target_archE910ELNS1_3gpuE8ELNS1_3repE0EEENS1_30default_config_static_selectorELNS0_4arch9wavefront6targetE0EEEvSK_: ; @_ZN7rocprim17ROCPRIM_400000_NS6detail17trampoline_kernelINS0_14default_configENS1_36segmented_radix_sort_config_selectorIilEEZNS1_25segmented_radix_sort_implIS3_Lb0EPKiPiPKlPlN2at6native12_GLOBAL__N_18offset_tEEE10hipError_tPvRmT1_PNSt15iterator_traitsISK_E10value_typeET2_T3_PNSL_ISQ_E10value_typeET4_jRbjT5_SW_jjP12ihipStream_tbEUlT_E2_NS1_11comp_targetILNS1_3genE4ELNS1_11target_archE910ELNS1_3gpuE8ELNS1_3repE0EEENS1_30default_config_static_selectorELNS0_4arch9wavefront6targetE0EEEvSK_
; %bb.0:
	.section	.rodata,"a",@progbits
	.p2align	6, 0x0
	.amdhsa_kernel _ZN7rocprim17ROCPRIM_400000_NS6detail17trampoline_kernelINS0_14default_configENS1_36segmented_radix_sort_config_selectorIilEEZNS1_25segmented_radix_sort_implIS3_Lb0EPKiPiPKlPlN2at6native12_GLOBAL__N_18offset_tEEE10hipError_tPvRmT1_PNSt15iterator_traitsISK_E10value_typeET2_T3_PNSL_ISQ_E10value_typeET4_jRbjT5_SW_jjP12ihipStream_tbEUlT_E2_NS1_11comp_targetILNS1_3genE4ELNS1_11target_archE910ELNS1_3gpuE8ELNS1_3repE0EEENS1_30default_config_static_selectorELNS0_4arch9wavefront6targetE0EEEvSK_
		.amdhsa_group_segment_fixed_size 0
		.amdhsa_private_segment_fixed_size 0
		.amdhsa_kernarg_size 80
		.amdhsa_user_sgpr_count 2
		.amdhsa_user_sgpr_dispatch_ptr 0
		.amdhsa_user_sgpr_queue_ptr 0
		.amdhsa_user_sgpr_kernarg_segment_ptr 1
		.amdhsa_user_sgpr_dispatch_id 0
		.amdhsa_user_sgpr_private_segment_size 0
		.amdhsa_wavefront_size32 1
		.amdhsa_uses_dynamic_stack 0
		.amdhsa_enable_private_segment 0
		.amdhsa_system_sgpr_workgroup_id_x 1
		.amdhsa_system_sgpr_workgroup_id_y 0
		.amdhsa_system_sgpr_workgroup_id_z 0
		.amdhsa_system_sgpr_workgroup_info 0
		.amdhsa_system_vgpr_workitem_id 0
		.amdhsa_next_free_vgpr 1
		.amdhsa_next_free_sgpr 1
		.amdhsa_reserve_vcc 0
		.amdhsa_float_round_mode_32 0
		.amdhsa_float_round_mode_16_64 0
		.amdhsa_float_denorm_mode_32 3
		.amdhsa_float_denorm_mode_16_64 3
		.amdhsa_fp16_overflow 0
		.amdhsa_workgroup_processor_mode 1
		.amdhsa_memory_ordered 1
		.amdhsa_forward_progress 1
		.amdhsa_inst_pref_size 0
		.amdhsa_round_robin_scheduling 0
		.amdhsa_exception_fp_ieee_invalid_op 0
		.amdhsa_exception_fp_denorm_src 0
		.amdhsa_exception_fp_ieee_div_zero 0
		.amdhsa_exception_fp_ieee_overflow 0
		.amdhsa_exception_fp_ieee_underflow 0
		.amdhsa_exception_fp_ieee_inexact 0
		.amdhsa_exception_int_div_zero 0
	.end_amdhsa_kernel
	.section	.text._ZN7rocprim17ROCPRIM_400000_NS6detail17trampoline_kernelINS0_14default_configENS1_36segmented_radix_sort_config_selectorIilEEZNS1_25segmented_radix_sort_implIS3_Lb0EPKiPiPKlPlN2at6native12_GLOBAL__N_18offset_tEEE10hipError_tPvRmT1_PNSt15iterator_traitsISK_E10value_typeET2_T3_PNSL_ISQ_E10value_typeET4_jRbjT5_SW_jjP12ihipStream_tbEUlT_E2_NS1_11comp_targetILNS1_3genE4ELNS1_11target_archE910ELNS1_3gpuE8ELNS1_3repE0EEENS1_30default_config_static_selectorELNS0_4arch9wavefront6targetE0EEEvSK_,"axG",@progbits,_ZN7rocprim17ROCPRIM_400000_NS6detail17trampoline_kernelINS0_14default_configENS1_36segmented_radix_sort_config_selectorIilEEZNS1_25segmented_radix_sort_implIS3_Lb0EPKiPiPKlPlN2at6native12_GLOBAL__N_18offset_tEEE10hipError_tPvRmT1_PNSt15iterator_traitsISK_E10value_typeET2_T3_PNSL_ISQ_E10value_typeET4_jRbjT5_SW_jjP12ihipStream_tbEUlT_E2_NS1_11comp_targetILNS1_3genE4ELNS1_11target_archE910ELNS1_3gpuE8ELNS1_3repE0EEENS1_30default_config_static_selectorELNS0_4arch9wavefront6targetE0EEEvSK_,comdat
.Lfunc_end632:
	.size	_ZN7rocprim17ROCPRIM_400000_NS6detail17trampoline_kernelINS0_14default_configENS1_36segmented_radix_sort_config_selectorIilEEZNS1_25segmented_radix_sort_implIS3_Lb0EPKiPiPKlPlN2at6native12_GLOBAL__N_18offset_tEEE10hipError_tPvRmT1_PNSt15iterator_traitsISK_E10value_typeET2_T3_PNSL_ISQ_E10value_typeET4_jRbjT5_SW_jjP12ihipStream_tbEUlT_E2_NS1_11comp_targetILNS1_3genE4ELNS1_11target_archE910ELNS1_3gpuE8ELNS1_3repE0EEENS1_30default_config_static_selectorELNS0_4arch9wavefront6targetE0EEEvSK_, .Lfunc_end632-_ZN7rocprim17ROCPRIM_400000_NS6detail17trampoline_kernelINS0_14default_configENS1_36segmented_radix_sort_config_selectorIilEEZNS1_25segmented_radix_sort_implIS3_Lb0EPKiPiPKlPlN2at6native12_GLOBAL__N_18offset_tEEE10hipError_tPvRmT1_PNSt15iterator_traitsISK_E10value_typeET2_T3_PNSL_ISQ_E10value_typeET4_jRbjT5_SW_jjP12ihipStream_tbEUlT_E2_NS1_11comp_targetILNS1_3genE4ELNS1_11target_archE910ELNS1_3gpuE8ELNS1_3repE0EEENS1_30default_config_static_selectorELNS0_4arch9wavefront6targetE0EEEvSK_
                                        ; -- End function
	.set _ZN7rocprim17ROCPRIM_400000_NS6detail17trampoline_kernelINS0_14default_configENS1_36segmented_radix_sort_config_selectorIilEEZNS1_25segmented_radix_sort_implIS3_Lb0EPKiPiPKlPlN2at6native12_GLOBAL__N_18offset_tEEE10hipError_tPvRmT1_PNSt15iterator_traitsISK_E10value_typeET2_T3_PNSL_ISQ_E10value_typeET4_jRbjT5_SW_jjP12ihipStream_tbEUlT_E2_NS1_11comp_targetILNS1_3genE4ELNS1_11target_archE910ELNS1_3gpuE8ELNS1_3repE0EEENS1_30default_config_static_selectorELNS0_4arch9wavefront6targetE0EEEvSK_.num_vgpr, 0
	.set _ZN7rocprim17ROCPRIM_400000_NS6detail17trampoline_kernelINS0_14default_configENS1_36segmented_radix_sort_config_selectorIilEEZNS1_25segmented_radix_sort_implIS3_Lb0EPKiPiPKlPlN2at6native12_GLOBAL__N_18offset_tEEE10hipError_tPvRmT1_PNSt15iterator_traitsISK_E10value_typeET2_T3_PNSL_ISQ_E10value_typeET4_jRbjT5_SW_jjP12ihipStream_tbEUlT_E2_NS1_11comp_targetILNS1_3genE4ELNS1_11target_archE910ELNS1_3gpuE8ELNS1_3repE0EEENS1_30default_config_static_selectorELNS0_4arch9wavefront6targetE0EEEvSK_.num_agpr, 0
	.set _ZN7rocprim17ROCPRIM_400000_NS6detail17trampoline_kernelINS0_14default_configENS1_36segmented_radix_sort_config_selectorIilEEZNS1_25segmented_radix_sort_implIS3_Lb0EPKiPiPKlPlN2at6native12_GLOBAL__N_18offset_tEEE10hipError_tPvRmT1_PNSt15iterator_traitsISK_E10value_typeET2_T3_PNSL_ISQ_E10value_typeET4_jRbjT5_SW_jjP12ihipStream_tbEUlT_E2_NS1_11comp_targetILNS1_3genE4ELNS1_11target_archE910ELNS1_3gpuE8ELNS1_3repE0EEENS1_30default_config_static_selectorELNS0_4arch9wavefront6targetE0EEEvSK_.numbered_sgpr, 0
	.set _ZN7rocprim17ROCPRIM_400000_NS6detail17trampoline_kernelINS0_14default_configENS1_36segmented_radix_sort_config_selectorIilEEZNS1_25segmented_radix_sort_implIS3_Lb0EPKiPiPKlPlN2at6native12_GLOBAL__N_18offset_tEEE10hipError_tPvRmT1_PNSt15iterator_traitsISK_E10value_typeET2_T3_PNSL_ISQ_E10value_typeET4_jRbjT5_SW_jjP12ihipStream_tbEUlT_E2_NS1_11comp_targetILNS1_3genE4ELNS1_11target_archE910ELNS1_3gpuE8ELNS1_3repE0EEENS1_30default_config_static_selectorELNS0_4arch9wavefront6targetE0EEEvSK_.num_named_barrier, 0
	.set _ZN7rocprim17ROCPRIM_400000_NS6detail17trampoline_kernelINS0_14default_configENS1_36segmented_radix_sort_config_selectorIilEEZNS1_25segmented_radix_sort_implIS3_Lb0EPKiPiPKlPlN2at6native12_GLOBAL__N_18offset_tEEE10hipError_tPvRmT1_PNSt15iterator_traitsISK_E10value_typeET2_T3_PNSL_ISQ_E10value_typeET4_jRbjT5_SW_jjP12ihipStream_tbEUlT_E2_NS1_11comp_targetILNS1_3genE4ELNS1_11target_archE910ELNS1_3gpuE8ELNS1_3repE0EEENS1_30default_config_static_selectorELNS0_4arch9wavefront6targetE0EEEvSK_.private_seg_size, 0
	.set _ZN7rocprim17ROCPRIM_400000_NS6detail17trampoline_kernelINS0_14default_configENS1_36segmented_radix_sort_config_selectorIilEEZNS1_25segmented_radix_sort_implIS3_Lb0EPKiPiPKlPlN2at6native12_GLOBAL__N_18offset_tEEE10hipError_tPvRmT1_PNSt15iterator_traitsISK_E10value_typeET2_T3_PNSL_ISQ_E10value_typeET4_jRbjT5_SW_jjP12ihipStream_tbEUlT_E2_NS1_11comp_targetILNS1_3genE4ELNS1_11target_archE910ELNS1_3gpuE8ELNS1_3repE0EEENS1_30default_config_static_selectorELNS0_4arch9wavefront6targetE0EEEvSK_.uses_vcc, 0
	.set _ZN7rocprim17ROCPRIM_400000_NS6detail17trampoline_kernelINS0_14default_configENS1_36segmented_radix_sort_config_selectorIilEEZNS1_25segmented_radix_sort_implIS3_Lb0EPKiPiPKlPlN2at6native12_GLOBAL__N_18offset_tEEE10hipError_tPvRmT1_PNSt15iterator_traitsISK_E10value_typeET2_T3_PNSL_ISQ_E10value_typeET4_jRbjT5_SW_jjP12ihipStream_tbEUlT_E2_NS1_11comp_targetILNS1_3genE4ELNS1_11target_archE910ELNS1_3gpuE8ELNS1_3repE0EEENS1_30default_config_static_selectorELNS0_4arch9wavefront6targetE0EEEvSK_.uses_flat_scratch, 0
	.set _ZN7rocprim17ROCPRIM_400000_NS6detail17trampoline_kernelINS0_14default_configENS1_36segmented_radix_sort_config_selectorIilEEZNS1_25segmented_radix_sort_implIS3_Lb0EPKiPiPKlPlN2at6native12_GLOBAL__N_18offset_tEEE10hipError_tPvRmT1_PNSt15iterator_traitsISK_E10value_typeET2_T3_PNSL_ISQ_E10value_typeET4_jRbjT5_SW_jjP12ihipStream_tbEUlT_E2_NS1_11comp_targetILNS1_3genE4ELNS1_11target_archE910ELNS1_3gpuE8ELNS1_3repE0EEENS1_30default_config_static_selectorELNS0_4arch9wavefront6targetE0EEEvSK_.has_dyn_sized_stack, 0
	.set _ZN7rocprim17ROCPRIM_400000_NS6detail17trampoline_kernelINS0_14default_configENS1_36segmented_radix_sort_config_selectorIilEEZNS1_25segmented_radix_sort_implIS3_Lb0EPKiPiPKlPlN2at6native12_GLOBAL__N_18offset_tEEE10hipError_tPvRmT1_PNSt15iterator_traitsISK_E10value_typeET2_T3_PNSL_ISQ_E10value_typeET4_jRbjT5_SW_jjP12ihipStream_tbEUlT_E2_NS1_11comp_targetILNS1_3genE4ELNS1_11target_archE910ELNS1_3gpuE8ELNS1_3repE0EEENS1_30default_config_static_selectorELNS0_4arch9wavefront6targetE0EEEvSK_.has_recursion, 0
	.set _ZN7rocprim17ROCPRIM_400000_NS6detail17trampoline_kernelINS0_14default_configENS1_36segmented_radix_sort_config_selectorIilEEZNS1_25segmented_radix_sort_implIS3_Lb0EPKiPiPKlPlN2at6native12_GLOBAL__N_18offset_tEEE10hipError_tPvRmT1_PNSt15iterator_traitsISK_E10value_typeET2_T3_PNSL_ISQ_E10value_typeET4_jRbjT5_SW_jjP12ihipStream_tbEUlT_E2_NS1_11comp_targetILNS1_3genE4ELNS1_11target_archE910ELNS1_3gpuE8ELNS1_3repE0EEENS1_30default_config_static_selectorELNS0_4arch9wavefront6targetE0EEEvSK_.has_indirect_call, 0
	.section	.AMDGPU.csdata,"",@progbits
; Kernel info:
; codeLenInByte = 0
; TotalNumSgprs: 0
; NumVgprs: 0
; ScratchSize: 0
; MemoryBound: 0
; FloatMode: 240
; IeeeMode: 1
; LDSByteSize: 0 bytes/workgroup (compile time only)
; SGPRBlocks: 0
; VGPRBlocks: 0
; NumSGPRsForWavesPerEU: 1
; NumVGPRsForWavesPerEU: 1
; Occupancy: 16
; WaveLimiterHint : 0
; COMPUTE_PGM_RSRC2:SCRATCH_EN: 0
; COMPUTE_PGM_RSRC2:USER_SGPR: 2
; COMPUTE_PGM_RSRC2:TRAP_HANDLER: 0
; COMPUTE_PGM_RSRC2:TGID_X_EN: 1
; COMPUTE_PGM_RSRC2:TGID_Y_EN: 0
; COMPUTE_PGM_RSRC2:TGID_Z_EN: 0
; COMPUTE_PGM_RSRC2:TIDIG_COMP_CNT: 0
	.section	.text._ZN7rocprim17ROCPRIM_400000_NS6detail17trampoline_kernelINS0_14default_configENS1_36segmented_radix_sort_config_selectorIilEEZNS1_25segmented_radix_sort_implIS3_Lb0EPKiPiPKlPlN2at6native12_GLOBAL__N_18offset_tEEE10hipError_tPvRmT1_PNSt15iterator_traitsISK_E10value_typeET2_T3_PNSL_ISQ_E10value_typeET4_jRbjT5_SW_jjP12ihipStream_tbEUlT_E2_NS1_11comp_targetILNS1_3genE3ELNS1_11target_archE908ELNS1_3gpuE7ELNS1_3repE0EEENS1_30default_config_static_selectorELNS0_4arch9wavefront6targetE0EEEvSK_,"axG",@progbits,_ZN7rocprim17ROCPRIM_400000_NS6detail17trampoline_kernelINS0_14default_configENS1_36segmented_radix_sort_config_selectorIilEEZNS1_25segmented_radix_sort_implIS3_Lb0EPKiPiPKlPlN2at6native12_GLOBAL__N_18offset_tEEE10hipError_tPvRmT1_PNSt15iterator_traitsISK_E10value_typeET2_T3_PNSL_ISQ_E10value_typeET4_jRbjT5_SW_jjP12ihipStream_tbEUlT_E2_NS1_11comp_targetILNS1_3genE3ELNS1_11target_archE908ELNS1_3gpuE7ELNS1_3repE0EEENS1_30default_config_static_selectorELNS0_4arch9wavefront6targetE0EEEvSK_,comdat
	.globl	_ZN7rocprim17ROCPRIM_400000_NS6detail17trampoline_kernelINS0_14default_configENS1_36segmented_radix_sort_config_selectorIilEEZNS1_25segmented_radix_sort_implIS3_Lb0EPKiPiPKlPlN2at6native12_GLOBAL__N_18offset_tEEE10hipError_tPvRmT1_PNSt15iterator_traitsISK_E10value_typeET2_T3_PNSL_ISQ_E10value_typeET4_jRbjT5_SW_jjP12ihipStream_tbEUlT_E2_NS1_11comp_targetILNS1_3genE3ELNS1_11target_archE908ELNS1_3gpuE7ELNS1_3repE0EEENS1_30default_config_static_selectorELNS0_4arch9wavefront6targetE0EEEvSK_ ; -- Begin function _ZN7rocprim17ROCPRIM_400000_NS6detail17trampoline_kernelINS0_14default_configENS1_36segmented_radix_sort_config_selectorIilEEZNS1_25segmented_radix_sort_implIS3_Lb0EPKiPiPKlPlN2at6native12_GLOBAL__N_18offset_tEEE10hipError_tPvRmT1_PNSt15iterator_traitsISK_E10value_typeET2_T3_PNSL_ISQ_E10value_typeET4_jRbjT5_SW_jjP12ihipStream_tbEUlT_E2_NS1_11comp_targetILNS1_3genE3ELNS1_11target_archE908ELNS1_3gpuE7ELNS1_3repE0EEENS1_30default_config_static_selectorELNS0_4arch9wavefront6targetE0EEEvSK_
	.p2align	8
	.type	_ZN7rocprim17ROCPRIM_400000_NS6detail17trampoline_kernelINS0_14default_configENS1_36segmented_radix_sort_config_selectorIilEEZNS1_25segmented_radix_sort_implIS3_Lb0EPKiPiPKlPlN2at6native12_GLOBAL__N_18offset_tEEE10hipError_tPvRmT1_PNSt15iterator_traitsISK_E10value_typeET2_T3_PNSL_ISQ_E10value_typeET4_jRbjT5_SW_jjP12ihipStream_tbEUlT_E2_NS1_11comp_targetILNS1_3genE3ELNS1_11target_archE908ELNS1_3gpuE7ELNS1_3repE0EEENS1_30default_config_static_selectorELNS0_4arch9wavefront6targetE0EEEvSK_,@function
_ZN7rocprim17ROCPRIM_400000_NS6detail17trampoline_kernelINS0_14default_configENS1_36segmented_radix_sort_config_selectorIilEEZNS1_25segmented_radix_sort_implIS3_Lb0EPKiPiPKlPlN2at6native12_GLOBAL__N_18offset_tEEE10hipError_tPvRmT1_PNSt15iterator_traitsISK_E10value_typeET2_T3_PNSL_ISQ_E10value_typeET4_jRbjT5_SW_jjP12ihipStream_tbEUlT_E2_NS1_11comp_targetILNS1_3genE3ELNS1_11target_archE908ELNS1_3gpuE7ELNS1_3repE0EEENS1_30default_config_static_selectorELNS0_4arch9wavefront6targetE0EEEvSK_: ; @_ZN7rocprim17ROCPRIM_400000_NS6detail17trampoline_kernelINS0_14default_configENS1_36segmented_radix_sort_config_selectorIilEEZNS1_25segmented_radix_sort_implIS3_Lb0EPKiPiPKlPlN2at6native12_GLOBAL__N_18offset_tEEE10hipError_tPvRmT1_PNSt15iterator_traitsISK_E10value_typeET2_T3_PNSL_ISQ_E10value_typeET4_jRbjT5_SW_jjP12ihipStream_tbEUlT_E2_NS1_11comp_targetILNS1_3genE3ELNS1_11target_archE908ELNS1_3gpuE7ELNS1_3repE0EEENS1_30default_config_static_selectorELNS0_4arch9wavefront6targetE0EEEvSK_
; %bb.0:
	.section	.rodata,"a",@progbits
	.p2align	6, 0x0
	.amdhsa_kernel _ZN7rocprim17ROCPRIM_400000_NS6detail17trampoline_kernelINS0_14default_configENS1_36segmented_radix_sort_config_selectorIilEEZNS1_25segmented_radix_sort_implIS3_Lb0EPKiPiPKlPlN2at6native12_GLOBAL__N_18offset_tEEE10hipError_tPvRmT1_PNSt15iterator_traitsISK_E10value_typeET2_T3_PNSL_ISQ_E10value_typeET4_jRbjT5_SW_jjP12ihipStream_tbEUlT_E2_NS1_11comp_targetILNS1_3genE3ELNS1_11target_archE908ELNS1_3gpuE7ELNS1_3repE0EEENS1_30default_config_static_selectorELNS0_4arch9wavefront6targetE0EEEvSK_
		.amdhsa_group_segment_fixed_size 0
		.amdhsa_private_segment_fixed_size 0
		.amdhsa_kernarg_size 80
		.amdhsa_user_sgpr_count 2
		.amdhsa_user_sgpr_dispatch_ptr 0
		.amdhsa_user_sgpr_queue_ptr 0
		.amdhsa_user_sgpr_kernarg_segment_ptr 1
		.amdhsa_user_sgpr_dispatch_id 0
		.amdhsa_user_sgpr_private_segment_size 0
		.amdhsa_wavefront_size32 1
		.amdhsa_uses_dynamic_stack 0
		.amdhsa_enable_private_segment 0
		.amdhsa_system_sgpr_workgroup_id_x 1
		.amdhsa_system_sgpr_workgroup_id_y 0
		.amdhsa_system_sgpr_workgroup_id_z 0
		.amdhsa_system_sgpr_workgroup_info 0
		.amdhsa_system_vgpr_workitem_id 0
		.amdhsa_next_free_vgpr 1
		.amdhsa_next_free_sgpr 1
		.amdhsa_reserve_vcc 0
		.amdhsa_float_round_mode_32 0
		.amdhsa_float_round_mode_16_64 0
		.amdhsa_float_denorm_mode_32 3
		.amdhsa_float_denorm_mode_16_64 3
		.amdhsa_fp16_overflow 0
		.amdhsa_workgroup_processor_mode 1
		.amdhsa_memory_ordered 1
		.amdhsa_forward_progress 1
		.amdhsa_inst_pref_size 0
		.amdhsa_round_robin_scheduling 0
		.amdhsa_exception_fp_ieee_invalid_op 0
		.amdhsa_exception_fp_denorm_src 0
		.amdhsa_exception_fp_ieee_div_zero 0
		.amdhsa_exception_fp_ieee_overflow 0
		.amdhsa_exception_fp_ieee_underflow 0
		.amdhsa_exception_fp_ieee_inexact 0
		.amdhsa_exception_int_div_zero 0
	.end_amdhsa_kernel
	.section	.text._ZN7rocprim17ROCPRIM_400000_NS6detail17trampoline_kernelINS0_14default_configENS1_36segmented_radix_sort_config_selectorIilEEZNS1_25segmented_radix_sort_implIS3_Lb0EPKiPiPKlPlN2at6native12_GLOBAL__N_18offset_tEEE10hipError_tPvRmT1_PNSt15iterator_traitsISK_E10value_typeET2_T3_PNSL_ISQ_E10value_typeET4_jRbjT5_SW_jjP12ihipStream_tbEUlT_E2_NS1_11comp_targetILNS1_3genE3ELNS1_11target_archE908ELNS1_3gpuE7ELNS1_3repE0EEENS1_30default_config_static_selectorELNS0_4arch9wavefront6targetE0EEEvSK_,"axG",@progbits,_ZN7rocprim17ROCPRIM_400000_NS6detail17trampoline_kernelINS0_14default_configENS1_36segmented_radix_sort_config_selectorIilEEZNS1_25segmented_radix_sort_implIS3_Lb0EPKiPiPKlPlN2at6native12_GLOBAL__N_18offset_tEEE10hipError_tPvRmT1_PNSt15iterator_traitsISK_E10value_typeET2_T3_PNSL_ISQ_E10value_typeET4_jRbjT5_SW_jjP12ihipStream_tbEUlT_E2_NS1_11comp_targetILNS1_3genE3ELNS1_11target_archE908ELNS1_3gpuE7ELNS1_3repE0EEENS1_30default_config_static_selectorELNS0_4arch9wavefront6targetE0EEEvSK_,comdat
.Lfunc_end633:
	.size	_ZN7rocprim17ROCPRIM_400000_NS6detail17trampoline_kernelINS0_14default_configENS1_36segmented_radix_sort_config_selectorIilEEZNS1_25segmented_radix_sort_implIS3_Lb0EPKiPiPKlPlN2at6native12_GLOBAL__N_18offset_tEEE10hipError_tPvRmT1_PNSt15iterator_traitsISK_E10value_typeET2_T3_PNSL_ISQ_E10value_typeET4_jRbjT5_SW_jjP12ihipStream_tbEUlT_E2_NS1_11comp_targetILNS1_3genE3ELNS1_11target_archE908ELNS1_3gpuE7ELNS1_3repE0EEENS1_30default_config_static_selectorELNS0_4arch9wavefront6targetE0EEEvSK_, .Lfunc_end633-_ZN7rocprim17ROCPRIM_400000_NS6detail17trampoline_kernelINS0_14default_configENS1_36segmented_radix_sort_config_selectorIilEEZNS1_25segmented_radix_sort_implIS3_Lb0EPKiPiPKlPlN2at6native12_GLOBAL__N_18offset_tEEE10hipError_tPvRmT1_PNSt15iterator_traitsISK_E10value_typeET2_T3_PNSL_ISQ_E10value_typeET4_jRbjT5_SW_jjP12ihipStream_tbEUlT_E2_NS1_11comp_targetILNS1_3genE3ELNS1_11target_archE908ELNS1_3gpuE7ELNS1_3repE0EEENS1_30default_config_static_selectorELNS0_4arch9wavefront6targetE0EEEvSK_
                                        ; -- End function
	.set _ZN7rocprim17ROCPRIM_400000_NS6detail17trampoline_kernelINS0_14default_configENS1_36segmented_radix_sort_config_selectorIilEEZNS1_25segmented_radix_sort_implIS3_Lb0EPKiPiPKlPlN2at6native12_GLOBAL__N_18offset_tEEE10hipError_tPvRmT1_PNSt15iterator_traitsISK_E10value_typeET2_T3_PNSL_ISQ_E10value_typeET4_jRbjT5_SW_jjP12ihipStream_tbEUlT_E2_NS1_11comp_targetILNS1_3genE3ELNS1_11target_archE908ELNS1_3gpuE7ELNS1_3repE0EEENS1_30default_config_static_selectorELNS0_4arch9wavefront6targetE0EEEvSK_.num_vgpr, 0
	.set _ZN7rocprim17ROCPRIM_400000_NS6detail17trampoline_kernelINS0_14default_configENS1_36segmented_radix_sort_config_selectorIilEEZNS1_25segmented_radix_sort_implIS3_Lb0EPKiPiPKlPlN2at6native12_GLOBAL__N_18offset_tEEE10hipError_tPvRmT1_PNSt15iterator_traitsISK_E10value_typeET2_T3_PNSL_ISQ_E10value_typeET4_jRbjT5_SW_jjP12ihipStream_tbEUlT_E2_NS1_11comp_targetILNS1_3genE3ELNS1_11target_archE908ELNS1_3gpuE7ELNS1_3repE0EEENS1_30default_config_static_selectorELNS0_4arch9wavefront6targetE0EEEvSK_.num_agpr, 0
	.set _ZN7rocprim17ROCPRIM_400000_NS6detail17trampoline_kernelINS0_14default_configENS1_36segmented_radix_sort_config_selectorIilEEZNS1_25segmented_radix_sort_implIS3_Lb0EPKiPiPKlPlN2at6native12_GLOBAL__N_18offset_tEEE10hipError_tPvRmT1_PNSt15iterator_traitsISK_E10value_typeET2_T3_PNSL_ISQ_E10value_typeET4_jRbjT5_SW_jjP12ihipStream_tbEUlT_E2_NS1_11comp_targetILNS1_3genE3ELNS1_11target_archE908ELNS1_3gpuE7ELNS1_3repE0EEENS1_30default_config_static_selectorELNS0_4arch9wavefront6targetE0EEEvSK_.numbered_sgpr, 0
	.set _ZN7rocprim17ROCPRIM_400000_NS6detail17trampoline_kernelINS0_14default_configENS1_36segmented_radix_sort_config_selectorIilEEZNS1_25segmented_radix_sort_implIS3_Lb0EPKiPiPKlPlN2at6native12_GLOBAL__N_18offset_tEEE10hipError_tPvRmT1_PNSt15iterator_traitsISK_E10value_typeET2_T3_PNSL_ISQ_E10value_typeET4_jRbjT5_SW_jjP12ihipStream_tbEUlT_E2_NS1_11comp_targetILNS1_3genE3ELNS1_11target_archE908ELNS1_3gpuE7ELNS1_3repE0EEENS1_30default_config_static_selectorELNS0_4arch9wavefront6targetE0EEEvSK_.num_named_barrier, 0
	.set _ZN7rocprim17ROCPRIM_400000_NS6detail17trampoline_kernelINS0_14default_configENS1_36segmented_radix_sort_config_selectorIilEEZNS1_25segmented_radix_sort_implIS3_Lb0EPKiPiPKlPlN2at6native12_GLOBAL__N_18offset_tEEE10hipError_tPvRmT1_PNSt15iterator_traitsISK_E10value_typeET2_T3_PNSL_ISQ_E10value_typeET4_jRbjT5_SW_jjP12ihipStream_tbEUlT_E2_NS1_11comp_targetILNS1_3genE3ELNS1_11target_archE908ELNS1_3gpuE7ELNS1_3repE0EEENS1_30default_config_static_selectorELNS0_4arch9wavefront6targetE0EEEvSK_.private_seg_size, 0
	.set _ZN7rocprim17ROCPRIM_400000_NS6detail17trampoline_kernelINS0_14default_configENS1_36segmented_radix_sort_config_selectorIilEEZNS1_25segmented_radix_sort_implIS3_Lb0EPKiPiPKlPlN2at6native12_GLOBAL__N_18offset_tEEE10hipError_tPvRmT1_PNSt15iterator_traitsISK_E10value_typeET2_T3_PNSL_ISQ_E10value_typeET4_jRbjT5_SW_jjP12ihipStream_tbEUlT_E2_NS1_11comp_targetILNS1_3genE3ELNS1_11target_archE908ELNS1_3gpuE7ELNS1_3repE0EEENS1_30default_config_static_selectorELNS0_4arch9wavefront6targetE0EEEvSK_.uses_vcc, 0
	.set _ZN7rocprim17ROCPRIM_400000_NS6detail17trampoline_kernelINS0_14default_configENS1_36segmented_radix_sort_config_selectorIilEEZNS1_25segmented_radix_sort_implIS3_Lb0EPKiPiPKlPlN2at6native12_GLOBAL__N_18offset_tEEE10hipError_tPvRmT1_PNSt15iterator_traitsISK_E10value_typeET2_T3_PNSL_ISQ_E10value_typeET4_jRbjT5_SW_jjP12ihipStream_tbEUlT_E2_NS1_11comp_targetILNS1_3genE3ELNS1_11target_archE908ELNS1_3gpuE7ELNS1_3repE0EEENS1_30default_config_static_selectorELNS0_4arch9wavefront6targetE0EEEvSK_.uses_flat_scratch, 0
	.set _ZN7rocprim17ROCPRIM_400000_NS6detail17trampoline_kernelINS0_14default_configENS1_36segmented_radix_sort_config_selectorIilEEZNS1_25segmented_radix_sort_implIS3_Lb0EPKiPiPKlPlN2at6native12_GLOBAL__N_18offset_tEEE10hipError_tPvRmT1_PNSt15iterator_traitsISK_E10value_typeET2_T3_PNSL_ISQ_E10value_typeET4_jRbjT5_SW_jjP12ihipStream_tbEUlT_E2_NS1_11comp_targetILNS1_3genE3ELNS1_11target_archE908ELNS1_3gpuE7ELNS1_3repE0EEENS1_30default_config_static_selectorELNS0_4arch9wavefront6targetE0EEEvSK_.has_dyn_sized_stack, 0
	.set _ZN7rocprim17ROCPRIM_400000_NS6detail17trampoline_kernelINS0_14default_configENS1_36segmented_radix_sort_config_selectorIilEEZNS1_25segmented_radix_sort_implIS3_Lb0EPKiPiPKlPlN2at6native12_GLOBAL__N_18offset_tEEE10hipError_tPvRmT1_PNSt15iterator_traitsISK_E10value_typeET2_T3_PNSL_ISQ_E10value_typeET4_jRbjT5_SW_jjP12ihipStream_tbEUlT_E2_NS1_11comp_targetILNS1_3genE3ELNS1_11target_archE908ELNS1_3gpuE7ELNS1_3repE0EEENS1_30default_config_static_selectorELNS0_4arch9wavefront6targetE0EEEvSK_.has_recursion, 0
	.set _ZN7rocprim17ROCPRIM_400000_NS6detail17trampoline_kernelINS0_14default_configENS1_36segmented_radix_sort_config_selectorIilEEZNS1_25segmented_radix_sort_implIS3_Lb0EPKiPiPKlPlN2at6native12_GLOBAL__N_18offset_tEEE10hipError_tPvRmT1_PNSt15iterator_traitsISK_E10value_typeET2_T3_PNSL_ISQ_E10value_typeET4_jRbjT5_SW_jjP12ihipStream_tbEUlT_E2_NS1_11comp_targetILNS1_3genE3ELNS1_11target_archE908ELNS1_3gpuE7ELNS1_3repE0EEENS1_30default_config_static_selectorELNS0_4arch9wavefront6targetE0EEEvSK_.has_indirect_call, 0
	.section	.AMDGPU.csdata,"",@progbits
; Kernel info:
; codeLenInByte = 0
; TotalNumSgprs: 0
; NumVgprs: 0
; ScratchSize: 0
; MemoryBound: 0
; FloatMode: 240
; IeeeMode: 1
; LDSByteSize: 0 bytes/workgroup (compile time only)
; SGPRBlocks: 0
; VGPRBlocks: 0
; NumSGPRsForWavesPerEU: 1
; NumVGPRsForWavesPerEU: 1
; Occupancy: 16
; WaveLimiterHint : 0
; COMPUTE_PGM_RSRC2:SCRATCH_EN: 0
; COMPUTE_PGM_RSRC2:USER_SGPR: 2
; COMPUTE_PGM_RSRC2:TRAP_HANDLER: 0
; COMPUTE_PGM_RSRC2:TGID_X_EN: 1
; COMPUTE_PGM_RSRC2:TGID_Y_EN: 0
; COMPUTE_PGM_RSRC2:TGID_Z_EN: 0
; COMPUTE_PGM_RSRC2:TIDIG_COMP_CNT: 0
	.section	.text._ZN7rocprim17ROCPRIM_400000_NS6detail17trampoline_kernelINS0_14default_configENS1_36segmented_radix_sort_config_selectorIilEEZNS1_25segmented_radix_sort_implIS3_Lb0EPKiPiPKlPlN2at6native12_GLOBAL__N_18offset_tEEE10hipError_tPvRmT1_PNSt15iterator_traitsISK_E10value_typeET2_T3_PNSL_ISQ_E10value_typeET4_jRbjT5_SW_jjP12ihipStream_tbEUlT_E2_NS1_11comp_targetILNS1_3genE2ELNS1_11target_archE906ELNS1_3gpuE6ELNS1_3repE0EEENS1_30default_config_static_selectorELNS0_4arch9wavefront6targetE0EEEvSK_,"axG",@progbits,_ZN7rocprim17ROCPRIM_400000_NS6detail17trampoline_kernelINS0_14default_configENS1_36segmented_radix_sort_config_selectorIilEEZNS1_25segmented_radix_sort_implIS3_Lb0EPKiPiPKlPlN2at6native12_GLOBAL__N_18offset_tEEE10hipError_tPvRmT1_PNSt15iterator_traitsISK_E10value_typeET2_T3_PNSL_ISQ_E10value_typeET4_jRbjT5_SW_jjP12ihipStream_tbEUlT_E2_NS1_11comp_targetILNS1_3genE2ELNS1_11target_archE906ELNS1_3gpuE6ELNS1_3repE0EEENS1_30default_config_static_selectorELNS0_4arch9wavefront6targetE0EEEvSK_,comdat
	.globl	_ZN7rocprim17ROCPRIM_400000_NS6detail17trampoline_kernelINS0_14default_configENS1_36segmented_radix_sort_config_selectorIilEEZNS1_25segmented_radix_sort_implIS3_Lb0EPKiPiPKlPlN2at6native12_GLOBAL__N_18offset_tEEE10hipError_tPvRmT1_PNSt15iterator_traitsISK_E10value_typeET2_T3_PNSL_ISQ_E10value_typeET4_jRbjT5_SW_jjP12ihipStream_tbEUlT_E2_NS1_11comp_targetILNS1_3genE2ELNS1_11target_archE906ELNS1_3gpuE6ELNS1_3repE0EEENS1_30default_config_static_selectorELNS0_4arch9wavefront6targetE0EEEvSK_ ; -- Begin function _ZN7rocprim17ROCPRIM_400000_NS6detail17trampoline_kernelINS0_14default_configENS1_36segmented_radix_sort_config_selectorIilEEZNS1_25segmented_radix_sort_implIS3_Lb0EPKiPiPKlPlN2at6native12_GLOBAL__N_18offset_tEEE10hipError_tPvRmT1_PNSt15iterator_traitsISK_E10value_typeET2_T3_PNSL_ISQ_E10value_typeET4_jRbjT5_SW_jjP12ihipStream_tbEUlT_E2_NS1_11comp_targetILNS1_3genE2ELNS1_11target_archE906ELNS1_3gpuE6ELNS1_3repE0EEENS1_30default_config_static_selectorELNS0_4arch9wavefront6targetE0EEEvSK_
	.p2align	8
	.type	_ZN7rocprim17ROCPRIM_400000_NS6detail17trampoline_kernelINS0_14default_configENS1_36segmented_radix_sort_config_selectorIilEEZNS1_25segmented_radix_sort_implIS3_Lb0EPKiPiPKlPlN2at6native12_GLOBAL__N_18offset_tEEE10hipError_tPvRmT1_PNSt15iterator_traitsISK_E10value_typeET2_T3_PNSL_ISQ_E10value_typeET4_jRbjT5_SW_jjP12ihipStream_tbEUlT_E2_NS1_11comp_targetILNS1_3genE2ELNS1_11target_archE906ELNS1_3gpuE6ELNS1_3repE0EEENS1_30default_config_static_selectorELNS0_4arch9wavefront6targetE0EEEvSK_,@function
_ZN7rocprim17ROCPRIM_400000_NS6detail17trampoline_kernelINS0_14default_configENS1_36segmented_radix_sort_config_selectorIilEEZNS1_25segmented_radix_sort_implIS3_Lb0EPKiPiPKlPlN2at6native12_GLOBAL__N_18offset_tEEE10hipError_tPvRmT1_PNSt15iterator_traitsISK_E10value_typeET2_T3_PNSL_ISQ_E10value_typeET4_jRbjT5_SW_jjP12ihipStream_tbEUlT_E2_NS1_11comp_targetILNS1_3genE2ELNS1_11target_archE906ELNS1_3gpuE6ELNS1_3repE0EEENS1_30default_config_static_selectorELNS0_4arch9wavefront6targetE0EEEvSK_: ; @_ZN7rocprim17ROCPRIM_400000_NS6detail17trampoline_kernelINS0_14default_configENS1_36segmented_radix_sort_config_selectorIilEEZNS1_25segmented_radix_sort_implIS3_Lb0EPKiPiPKlPlN2at6native12_GLOBAL__N_18offset_tEEE10hipError_tPvRmT1_PNSt15iterator_traitsISK_E10value_typeET2_T3_PNSL_ISQ_E10value_typeET4_jRbjT5_SW_jjP12ihipStream_tbEUlT_E2_NS1_11comp_targetILNS1_3genE2ELNS1_11target_archE906ELNS1_3gpuE6ELNS1_3repE0EEENS1_30default_config_static_selectorELNS0_4arch9wavefront6targetE0EEEvSK_
; %bb.0:
	.section	.rodata,"a",@progbits
	.p2align	6, 0x0
	.amdhsa_kernel _ZN7rocprim17ROCPRIM_400000_NS6detail17trampoline_kernelINS0_14default_configENS1_36segmented_radix_sort_config_selectorIilEEZNS1_25segmented_radix_sort_implIS3_Lb0EPKiPiPKlPlN2at6native12_GLOBAL__N_18offset_tEEE10hipError_tPvRmT1_PNSt15iterator_traitsISK_E10value_typeET2_T3_PNSL_ISQ_E10value_typeET4_jRbjT5_SW_jjP12ihipStream_tbEUlT_E2_NS1_11comp_targetILNS1_3genE2ELNS1_11target_archE906ELNS1_3gpuE6ELNS1_3repE0EEENS1_30default_config_static_selectorELNS0_4arch9wavefront6targetE0EEEvSK_
		.amdhsa_group_segment_fixed_size 0
		.amdhsa_private_segment_fixed_size 0
		.amdhsa_kernarg_size 80
		.amdhsa_user_sgpr_count 2
		.amdhsa_user_sgpr_dispatch_ptr 0
		.amdhsa_user_sgpr_queue_ptr 0
		.amdhsa_user_sgpr_kernarg_segment_ptr 1
		.amdhsa_user_sgpr_dispatch_id 0
		.amdhsa_user_sgpr_private_segment_size 0
		.amdhsa_wavefront_size32 1
		.amdhsa_uses_dynamic_stack 0
		.amdhsa_enable_private_segment 0
		.amdhsa_system_sgpr_workgroup_id_x 1
		.amdhsa_system_sgpr_workgroup_id_y 0
		.amdhsa_system_sgpr_workgroup_id_z 0
		.amdhsa_system_sgpr_workgroup_info 0
		.amdhsa_system_vgpr_workitem_id 0
		.amdhsa_next_free_vgpr 1
		.amdhsa_next_free_sgpr 1
		.amdhsa_reserve_vcc 0
		.amdhsa_float_round_mode_32 0
		.amdhsa_float_round_mode_16_64 0
		.amdhsa_float_denorm_mode_32 3
		.amdhsa_float_denorm_mode_16_64 3
		.amdhsa_fp16_overflow 0
		.amdhsa_workgroup_processor_mode 1
		.amdhsa_memory_ordered 1
		.amdhsa_forward_progress 1
		.amdhsa_inst_pref_size 0
		.amdhsa_round_robin_scheduling 0
		.amdhsa_exception_fp_ieee_invalid_op 0
		.amdhsa_exception_fp_denorm_src 0
		.amdhsa_exception_fp_ieee_div_zero 0
		.amdhsa_exception_fp_ieee_overflow 0
		.amdhsa_exception_fp_ieee_underflow 0
		.amdhsa_exception_fp_ieee_inexact 0
		.amdhsa_exception_int_div_zero 0
	.end_amdhsa_kernel
	.section	.text._ZN7rocprim17ROCPRIM_400000_NS6detail17trampoline_kernelINS0_14default_configENS1_36segmented_radix_sort_config_selectorIilEEZNS1_25segmented_radix_sort_implIS3_Lb0EPKiPiPKlPlN2at6native12_GLOBAL__N_18offset_tEEE10hipError_tPvRmT1_PNSt15iterator_traitsISK_E10value_typeET2_T3_PNSL_ISQ_E10value_typeET4_jRbjT5_SW_jjP12ihipStream_tbEUlT_E2_NS1_11comp_targetILNS1_3genE2ELNS1_11target_archE906ELNS1_3gpuE6ELNS1_3repE0EEENS1_30default_config_static_selectorELNS0_4arch9wavefront6targetE0EEEvSK_,"axG",@progbits,_ZN7rocprim17ROCPRIM_400000_NS6detail17trampoline_kernelINS0_14default_configENS1_36segmented_radix_sort_config_selectorIilEEZNS1_25segmented_radix_sort_implIS3_Lb0EPKiPiPKlPlN2at6native12_GLOBAL__N_18offset_tEEE10hipError_tPvRmT1_PNSt15iterator_traitsISK_E10value_typeET2_T3_PNSL_ISQ_E10value_typeET4_jRbjT5_SW_jjP12ihipStream_tbEUlT_E2_NS1_11comp_targetILNS1_3genE2ELNS1_11target_archE906ELNS1_3gpuE6ELNS1_3repE0EEENS1_30default_config_static_selectorELNS0_4arch9wavefront6targetE0EEEvSK_,comdat
.Lfunc_end634:
	.size	_ZN7rocprim17ROCPRIM_400000_NS6detail17trampoline_kernelINS0_14default_configENS1_36segmented_radix_sort_config_selectorIilEEZNS1_25segmented_radix_sort_implIS3_Lb0EPKiPiPKlPlN2at6native12_GLOBAL__N_18offset_tEEE10hipError_tPvRmT1_PNSt15iterator_traitsISK_E10value_typeET2_T3_PNSL_ISQ_E10value_typeET4_jRbjT5_SW_jjP12ihipStream_tbEUlT_E2_NS1_11comp_targetILNS1_3genE2ELNS1_11target_archE906ELNS1_3gpuE6ELNS1_3repE0EEENS1_30default_config_static_selectorELNS0_4arch9wavefront6targetE0EEEvSK_, .Lfunc_end634-_ZN7rocprim17ROCPRIM_400000_NS6detail17trampoline_kernelINS0_14default_configENS1_36segmented_radix_sort_config_selectorIilEEZNS1_25segmented_radix_sort_implIS3_Lb0EPKiPiPKlPlN2at6native12_GLOBAL__N_18offset_tEEE10hipError_tPvRmT1_PNSt15iterator_traitsISK_E10value_typeET2_T3_PNSL_ISQ_E10value_typeET4_jRbjT5_SW_jjP12ihipStream_tbEUlT_E2_NS1_11comp_targetILNS1_3genE2ELNS1_11target_archE906ELNS1_3gpuE6ELNS1_3repE0EEENS1_30default_config_static_selectorELNS0_4arch9wavefront6targetE0EEEvSK_
                                        ; -- End function
	.set _ZN7rocprim17ROCPRIM_400000_NS6detail17trampoline_kernelINS0_14default_configENS1_36segmented_radix_sort_config_selectorIilEEZNS1_25segmented_radix_sort_implIS3_Lb0EPKiPiPKlPlN2at6native12_GLOBAL__N_18offset_tEEE10hipError_tPvRmT1_PNSt15iterator_traitsISK_E10value_typeET2_T3_PNSL_ISQ_E10value_typeET4_jRbjT5_SW_jjP12ihipStream_tbEUlT_E2_NS1_11comp_targetILNS1_3genE2ELNS1_11target_archE906ELNS1_3gpuE6ELNS1_3repE0EEENS1_30default_config_static_selectorELNS0_4arch9wavefront6targetE0EEEvSK_.num_vgpr, 0
	.set _ZN7rocprim17ROCPRIM_400000_NS6detail17trampoline_kernelINS0_14default_configENS1_36segmented_radix_sort_config_selectorIilEEZNS1_25segmented_radix_sort_implIS3_Lb0EPKiPiPKlPlN2at6native12_GLOBAL__N_18offset_tEEE10hipError_tPvRmT1_PNSt15iterator_traitsISK_E10value_typeET2_T3_PNSL_ISQ_E10value_typeET4_jRbjT5_SW_jjP12ihipStream_tbEUlT_E2_NS1_11comp_targetILNS1_3genE2ELNS1_11target_archE906ELNS1_3gpuE6ELNS1_3repE0EEENS1_30default_config_static_selectorELNS0_4arch9wavefront6targetE0EEEvSK_.num_agpr, 0
	.set _ZN7rocprim17ROCPRIM_400000_NS6detail17trampoline_kernelINS0_14default_configENS1_36segmented_radix_sort_config_selectorIilEEZNS1_25segmented_radix_sort_implIS3_Lb0EPKiPiPKlPlN2at6native12_GLOBAL__N_18offset_tEEE10hipError_tPvRmT1_PNSt15iterator_traitsISK_E10value_typeET2_T3_PNSL_ISQ_E10value_typeET4_jRbjT5_SW_jjP12ihipStream_tbEUlT_E2_NS1_11comp_targetILNS1_3genE2ELNS1_11target_archE906ELNS1_3gpuE6ELNS1_3repE0EEENS1_30default_config_static_selectorELNS0_4arch9wavefront6targetE0EEEvSK_.numbered_sgpr, 0
	.set _ZN7rocprim17ROCPRIM_400000_NS6detail17trampoline_kernelINS0_14default_configENS1_36segmented_radix_sort_config_selectorIilEEZNS1_25segmented_radix_sort_implIS3_Lb0EPKiPiPKlPlN2at6native12_GLOBAL__N_18offset_tEEE10hipError_tPvRmT1_PNSt15iterator_traitsISK_E10value_typeET2_T3_PNSL_ISQ_E10value_typeET4_jRbjT5_SW_jjP12ihipStream_tbEUlT_E2_NS1_11comp_targetILNS1_3genE2ELNS1_11target_archE906ELNS1_3gpuE6ELNS1_3repE0EEENS1_30default_config_static_selectorELNS0_4arch9wavefront6targetE0EEEvSK_.num_named_barrier, 0
	.set _ZN7rocprim17ROCPRIM_400000_NS6detail17trampoline_kernelINS0_14default_configENS1_36segmented_radix_sort_config_selectorIilEEZNS1_25segmented_radix_sort_implIS3_Lb0EPKiPiPKlPlN2at6native12_GLOBAL__N_18offset_tEEE10hipError_tPvRmT1_PNSt15iterator_traitsISK_E10value_typeET2_T3_PNSL_ISQ_E10value_typeET4_jRbjT5_SW_jjP12ihipStream_tbEUlT_E2_NS1_11comp_targetILNS1_3genE2ELNS1_11target_archE906ELNS1_3gpuE6ELNS1_3repE0EEENS1_30default_config_static_selectorELNS0_4arch9wavefront6targetE0EEEvSK_.private_seg_size, 0
	.set _ZN7rocprim17ROCPRIM_400000_NS6detail17trampoline_kernelINS0_14default_configENS1_36segmented_radix_sort_config_selectorIilEEZNS1_25segmented_radix_sort_implIS3_Lb0EPKiPiPKlPlN2at6native12_GLOBAL__N_18offset_tEEE10hipError_tPvRmT1_PNSt15iterator_traitsISK_E10value_typeET2_T3_PNSL_ISQ_E10value_typeET4_jRbjT5_SW_jjP12ihipStream_tbEUlT_E2_NS1_11comp_targetILNS1_3genE2ELNS1_11target_archE906ELNS1_3gpuE6ELNS1_3repE0EEENS1_30default_config_static_selectorELNS0_4arch9wavefront6targetE0EEEvSK_.uses_vcc, 0
	.set _ZN7rocprim17ROCPRIM_400000_NS6detail17trampoline_kernelINS0_14default_configENS1_36segmented_radix_sort_config_selectorIilEEZNS1_25segmented_radix_sort_implIS3_Lb0EPKiPiPKlPlN2at6native12_GLOBAL__N_18offset_tEEE10hipError_tPvRmT1_PNSt15iterator_traitsISK_E10value_typeET2_T3_PNSL_ISQ_E10value_typeET4_jRbjT5_SW_jjP12ihipStream_tbEUlT_E2_NS1_11comp_targetILNS1_3genE2ELNS1_11target_archE906ELNS1_3gpuE6ELNS1_3repE0EEENS1_30default_config_static_selectorELNS0_4arch9wavefront6targetE0EEEvSK_.uses_flat_scratch, 0
	.set _ZN7rocprim17ROCPRIM_400000_NS6detail17trampoline_kernelINS0_14default_configENS1_36segmented_radix_sort_config_selectorIilEEZNS1_25segmented_radix_sort_implIS3_Lb0EPKiPiPKlPlN2at6native12_GLOBAL__N_18offset_tEEE10hipError_tPvRmT1_PNSt15iterator_traitsISK_E10value_typeET2_T3_PNSL_ISQ_E10value_typeET4_jRbjT5_SW_jjP12ihipStream_tbEUlT_E2_NS1_11comp_targetILNS1_3genE2ELNS1_11target_archE906ELNS1_3gpuE6ELNS1_3repE0EEENS1_30default_config_static_selectorELNS0_4arch9wavefront6targetE0EEEvSK_.has_dyn_sized_stack, 0
	.set _ZN7rocprim17ROCPRIM_400000_NS6detail17trampoline_kernelINS0_14default_configENS1_36segmented_radix_sort_config_selectorIilEEZNS1_25segmented_radix_sort_implIS3_Lb0EPKiPiPKlPlN2at6native12_GLOBAL__N_18offset_tEEE10hipError_tPvRmT1_PNSt15iterator_traitsISK_E10value_typeET2_T3_PNSL_ISQ_E10value_typeET4_jRbjT5_SW_jjP12ihipStream_tbEUlT_E2_NS1_11comp_targetILNS1_3genE2ELNS1_11target_archE906ELNS1_3gpuE6ELNS1_3repE0EEENS1_30default_config_static_selectorELNS0_4arch9wavefront6targetE0EEEvSK_.has_recursion, 0
	.set _ZN7rocprim17ROCPRIM_400000_NS6detail17trampoline_kernelINS0_14default_configENS1_36segmented_radix_sort_config_selectorIilEEZNS1_25segmented_radix_sort_implIS3_Lb0EPKiPiPKlPlN2at6native12_GLOBAL__N_18offset_tEEE10hipError_tPvRmT1_PNSt15iterator_traitsISK_E10value_typeET2_T3_PNSL_ISQ_E10value_typeET4_jRbjT5_SW_jjP12ihipStream_tbEUlT_E2_NS1_11comp_targetILNS1_3genE2ELNS1_11target_archE906ELNS1_3gpuE6ELNS1_3repE0EEENS1_30default_config_static_selectorELNS0_4arch9wavefront6targetE0EEEvSK_.has_indirect_call, 0
	.section	.AMDGPU.csdata,"",@progbits
; Kernel info:
; codeLenInByte = 0
; TotalNumSgprs: 0
; NumVgprs: 0
; ScratchSize: 0
; MemoryBound: 0
; FloatMode: 240
; IeeeMode: 1
; LDSByteSize: 0 bytes/workgroup (compile time only)
; SGPRBlocks: 0
; VGPRBlocks: 0
; NumSGPRsForWavesPerEU: 1
; NumVGPRsForWavesPerEU: 1
; Occupancy: 16
; WaveLimiterHint : 0
; COMPUTE_PGM_RSRC2:SCRATCH_EN: 0
; COMPUTE_PGM_RSRC2:USER_SGPR: 2
; COMPUTE_PGM_RSRC2:TRAP_HANDLER: 0
; COMPUTE_PGM_RSRC2:TGID_X_EN: 1
; COMPUTE_PGM_RSRC2:TGID_Y_EN: 0
; COMPUTE_PGM_RSRC2:TGID_Z_EN: 0
; COMPUTE_PGM_RSRC2:TIDIG_COMP_CNT: 0
	.section	.text._ZN7rocprim17ROCPRIM_400000_NS6detail17trampoline_kernelINS0_14default_configENS1_36segmented_radix_sort_config_selectorIilEEZNS1_25segmented_radix_sort_implIS3_Lb0EPKiPiPKlPlN2at6native12_GLOBAL__N_18offset_tEEE10hipError_tPvRmT1_PNSt15iterator_traitsISK_E10value_typeET2_T3_PNSL_ISQ_E10value_typeET4_jRbjT5_SW_jjP12ihipStream_tbEUlT_E2_NS1_11comp_targetILNS1_3genE10ELNS1_11target_archE1201ELNS1_3gpuE5ELNS1_3repE0EEENS1_30default_config_static_selectorELNS0_4arch9wavefront6targetE0EEEvSK_,"axG",@progbits,_ZN7rocprim17ROCPRIM_400000_NS6detail17trampoline_kernelINS0_14default_configENS1_36segmented_radix_sort_config_selectorIilEEZNS1_25segmented_radix_sort_implIS3_Lb0EPKiPiPKlPlN2at6native12_GLOBAL__N_18offset_tEEE10hipError_tPvRmT1_PNSt15iterator_traitsISK_E10value_typeET2_T3_PNSL_ISQ_E10value_typeET4_jRbjT5_SW_jjP12ihipStream_tbEUlT_E2_NS1_11comp_targetILNS1_3genE10ELNS1_11target_archE1201ELNS1_3gpuE5ELNS1_3repE0EEENS1_30default_config_static_selectorELNS0_4arch9wavefront6targetE0EEEvSK_,comdat
	.globl	_ZN7rocprim17ROCPRIM_400000_NS6detail17trampoline_kernelINS0_14default_configENS1_36segmented_radix_sort_config_selectorIilEEZNS1_25segmented_radix_sort_implIS3_Lb0EPKiPiPKlPlN2at6native12_GLOBAL__N_18offset_tEEE10hipError_tPvRmT1_PNSt15iterator_traitsISK_E10value_typeET2_T3_PNSL_ISQ_E10value_typeET4_jRbjT5_SW_jjP12ihipStream_tbEUlT_E2_NS1_11comp_targetILNS1_3genE10ELNS1_11target_archE1201ELNS1_3gpuE5ELNS1_3repE0EEENS1_30default_config_static_selectorELNS0_4arch9wavefront6targetE0EEEvSK_ ; -- Begin function _ZN7rocprim17ROCPRIM_400000_NS6detail17trampoline_kernelINS0_14default_configENS1_36segmented_radix_sort_config_selectorIilEEZNS1_25segmented_radix_sort_implIS3_Lb0EPKiPiPKlPlN2at6native12_GLOBAL__N_18offset_tEEE10hipError_tPvRmT1_PNSt15iterator_traitsISK_E10value_typeET2_T3_PNSL_ISQ_E10value_typeET4_jRbjT5_SW_jjP12ihipStream_tbEUlT_E2_NS1_11comp_targetILNS1_3genE10ELNS1_11target_archE1201ELNS1_3gpuE5ELNS1_3repE0EEENS1_30default_config_static_selectorELNS0_4arch9wavefront6targetE0EEEvSK_
	.p2align	8
	.type	_ZN7rocprim17ROCPRIM_400000_NS6detail17trampoline_kernelINS0_14default_configENS1_36segmented_radix_sort_config_selectorIilEEZNS1_25segmented_radix_sort_implIS3_Lb0EPKiPiPKlPlN2at6native12_GLOBAL__N_18offset_tEEE10hipError_tPvRmT1_PNSt15iterator_traitsISK_E10value_typeET2_T3_PNSL_ISQ_E10value_typeET4_jRbjT5_SW_jjP12ihipStream_tbEUlT_E2_NS1_11comp_targetILNS1_3genE10ELNS1_11target_archE1201ELNS1_3gpuE5ELNS1_3repE0EEENS1_30default_config_static_selectorELNS0_4arch9wavefront6targetE0EEEvSK_,@function
_ZN7rocprim17ROCPRIM_400000_NS6detail17trampoline_kernelINS0_14default_configENS1_36segmented_radix_sort_config_selectorIilEEZNS1_25segmented_radix_sort_implIS3_Lb0EPKiPiPKlPlN2at6native12_GLOBAL__N_18offset_tEEE10hipError_tPvRmT1_PNSt15iterator_traitsISK_E10value_typeET2_T3_PNSL_ISQ_E10value_typeET4_jRbjT5_SW_jjP12ihipStream_tbEUlT_E2_NS1_11comp_targetILNS1_3genE10ELNS1_11target_archE1201ELNS1_3gpuE5ELNS1_3repE0EEENS1_30default_config_static_selectorELNS0_4arch9wavefront6targetE0EEEvSK_: ; @_ZN7rocprim17ROCPRIM_400000_NS6detail17trampoline_kernelINS0_14default_configENS1_36segmented_radix_sort_config_selectorIilEEZNS1_25segmented_radix_sort_implIS3_Lb0EPKiPiPKlPlN2at6native12_GLOBAL__N_18offset_tEEE10hipError_tPvRmT1_PNSt15iterator_traitsISK_E10value_typeET2_T3_PNSL_ISQ_E10value_typeET4_jRbjT5_SW_jjP12ihipStream_tbEUlT_E2_NS1_11comp_targetILNS1_3genE10ELNS1_11target_archE1201ELNS1_3gpuE5ELNS1_3repE0EEENS1_30default_config_static_selectorELNS0_4arch9wavefront6targetE0EEEvSK_
; %bb.0:
	s_load_b128 s[4:7], s[0:1], 0x34
	s_mov_b32 s32, 0
	s_wait_kmcnt 0x0
	s_add_co_i32 s33, s5, ttmp9
	s_add_co_i32 s51, s7, ttmp9
	s_mul_i32 s33, s33, s4
	s_mul_i32 s51, s51, s6
	s_delay_alu instid0(SALU_CYCLE_1)
	s_cmp_le_u32 s51, s33
	s_cbranch_scc1 .LBB635_1190
; %bb.1:
	s_clause 0x3
	s_load_b32 s2, s[0:1], 0x30
	s_load_b128 s[44:47], s[0:1], 0x20
	s_load_b96 s[48:50], s[0:1], 0x44
	s_load_b256 s[36:43], s[0:1], 0x0
	s_wait_kmcnt 0x0
	s_bitcmp1_b32 s2, 0
	s_mov_b32 s2, -1
	s_cselect_b32 s52, -1, 0
	s_sub_co_i32 s53, s51, s33
	s_delay_alu instid0(SALU_CYCLE_1)
	s_cmp_lt_u32 s53, 0x1001
	s_cbranch_scc0 .LBB635_15
; %bb.2:
	s_cmp_lt_u32 s53, 33
	s_cbranch_scc0 .LBB635_9
; %bb.3:
	s_load_b32 s2, s[0:1], 0x5c
	v_bfe_u32 v1, v0, 10, 10
	v_bfe_u32 v2, v0, 20, 10
	s_mov_b32 s16, exec_lo
	s_wait_kmcnt 0x0
	s_lshr_b32 s3, s2, 16
	s_and_b32 s2, s2, 0xffff
	v_mad_u32_u24 v2, v2, s3, v1
	v_and_b32_e32 v1, 0x3ff, v0
	s_delay_alu instid0(VALU_DEP_1) | instskip(NEXT) | instid1(VALU_DEP_1)
	v_mad_co_u64_u32 v[1:2], null, v2, s2, v[1:2]
	v_cmpx_gt_u32_e32 8, v1
	s_cbranch_execz .LBB635_8
; %bb.4:
	v_cndmask_b32_e64 v1, 0, 1, s52
	s_and_b32 s2, s48, 1
	s_wait_alu 0xfffe
	s_delay_alu instid0(VALU_DEP_1)
	v_cmp_ne_u32_e32 vcc_lo, s2, v1
	s_mov_b32 s2, -1
	s_cbranch_vccnz .LBB635_6
; %bb.5:
	s_mov_b64 s[2:3], src_shared_base
	v_dual_mov_b32 v31, v0 :: v_dual_mov_b32 v40, v0
	v_dual_mov_b32 v0, s36 :: v_dual_mov_b32 v1, s37
	v_dual_mov_b32 v2, s40 :: v_dual_mov_b32 v3, s41
	v_dual_mov_b32 v4, s42 :: v_dual_mov_b32 v5, s43
	v_dual_mov_b32 v6, s46 :: v_dual_mov_b32 v7, s47
	v_dual_mov_b32 v8, s33 :: v_dual_mov_b32 v9, s51
	v_dual_mov_b32 v10, s49 :: v_dual_mov_b32 v11, s50
	s_wait_alu 0xfffe
	v_dual_mov_b32 v12, 0 :: v_dual_mov_b32 v13, s3
	s_add_nc_u64 s[8:9], s[0:1], 0x50
	s_getpc_b64 s[4:5]
	s_sext_i32_i16 s5, s5
	s_add_co_u32 s4, s4, _ZN7rocprim17ROCPRIM_400000_NS6detail26segmented_warp_sort_helperINS1_20WarpSortHelperConfigILj8ELj4ELj256EEEilLi256ELb0EvE4sortIPKiPiPKlPlEEvT_T0_T1_T2_jjjjRNS5_12storage_typeE@rel32@lo+8
	s_add_co_ci_u32 s5, s5, _ZN7rocprim17ROCPRIM_400000_NS6detail26segmented_warp_sort_helperINS1_20WarpSortHelperConfigILj8ELj4ELj256EEEilLi256ELb0EvE4sortIPKiPiPKlPlEEvT_T0_T1_T2_jjjjRNS5_12storage_typeE@rel32@hi+16
	s_mov_b64 s[14:15], s[0:1]
	s_swappc_b64 s[30:31], s[4:5]
	v_mov_b32_e32 v0, v40
	s_mov_b64 s[0:1], s[14:15]
	s_mov_b32 s2, 0
.LBB635_6:
	s_wait_alu 0xfffe
	s_and_not1_b32 vcc_lo, exec_lo, s2
	s_wait_alu 0xfffe
	s_cbranch_vccnz .LBB635_8
; %bb.7:
	s_mov_b64 s[2:3], src_shared_base
	v_dual_mov_b32 v31, v0 :: v_dual_mov_b32 v40, v0
	v_dual_mov_b32 v0, s36 :: v_dual_mov_b32 v1, s37
	;; [unrolled: 1-line block ×7, first 2 shown]
	s_wait_alu 0xfffe
	v_dual_mov_b32 v12, 0 :: v_dual_mov_b32 v13, s3
	s_add_nc_u64 s[8:9], s[0:1], 0x50
	s_getpc_b64 s[4:5]
	s_wait_alu 0xfffe
	s_sext_i32_i16 s5, s5
	s_add_co_u32 s4, s4, _ZN7rocprim17ROCPRIM_400000_NS6detail26segmented_warp_sort_helperINS1_20WarpSortHelperConfigILj8ELj4ELj256EEEilLi256ELb0EvE4sortIPKiPiPKlPlEEvT_T0_T1_T2_jjjjRNS5_12storage_typeE@rel32@lo+12
	s_wait_alu 0xfffe
	s_add_co_ci_u32 s5, s5, _ZN7rocprim17ROCPRIM_400000_NS6detail26segmented_warp_sort_helperINS1_20WarpSortHelperConfigILj8ELj4ELj256EEEilLi256ELb0EvE4sortIPKiPiPKlPlEEvT_T0_T1_T2_jjjjRNS5_12storage_typeE@rel32@hi+24
	s_mov_b64 s[14:15], s[0:1]
	s_wait_alu 0xfffe
	s_swappc_b64 s[30:31], s[4:5]
	v_mov_b32_e32 v0, v40
	s_mov_b64 s[0:1], s[14:15]
.LBB635_8:
	s_or_b32 exec_lo, exec_lo, s16
	s_mov_b32 s2, 0
.LBB635_9:
	s_wait_alu 0xfffe
	s_and_not1_b32 vcc_lo, exec_lo, s2
	s_wait_alu 0xfffe
	s_cbranch_vccnz .LBB635_14
; %bb.10:
	v_cndmask_b32_e64 v1, 0, 1, s52
	s_and_b32 s2, s48, 1
	s_wait_alu 0xfffe
	s_delay_alu instid0(VALU_DEP_1)
	v_cmp_ne_u32_e32 vcc_lo, s2, v1
	s_mov_b32 s2, -1
	s_cbranch_vccnz .LBB635_12
; %bb.11:
	s_mov_b64 s[2:3], src_shared_base
	v_dual_mov_b32 v31, v0 :: v_dual_mov_b32 v40, v0
	v_dual_mov_b32 v0, s36 :: v_dual_mov_b32 v1, s37
	;; [unrolled: 1-line block ×7, first 2 shown]
	s_wait_alu 0xfffe
	v_dual_mov_b32 v12, 0 :: v_dual_mov_b32 v13, s3
	s_add_nc_u64 s[8:9], s[0:1], 0x50
	s_getpc_b64 s[4:5]
	s_wait_alu 0xfffe
	s_sext_i32_i16 s5, s5
	s_add_co_u32 s4, s4, _ZN7rocprim17ROCPRIM_400000_NS6detail40segmented_radix_sort_single_block_helperIilLj256ELj16ELb0EE4sortIPKiPiPKlPlEEbT_T0_T1_T2_jjjjRNS3_12storage_typeE@rel32@lo+12
	s_wait_alu 0xfffe
	s_add_co_ci_u32 s5, s5, _ZN7rocprim17ROCPRIM_400000_NS6detail40segmented_radix_sort_single_block_helperIilLj256ELj16ELb0EE4sortIPKiPiPKlPlEEbT_T0_T1_T2_jjjjRNS3_12storage_typeE@rel32@hi+24
	s_mov_b64 s[22:23], s[0:1]
	s_wait_alu 0xfffe
	s_swappc_b64 s[30:31], s[4:5]
	v_mov_b32_e32 v0, v40
	s_mov_b64 s[0:1], s[22:23]
	s_mov_b32 s2, 0
.LBB635_12:
	s_wait_alu 0xfffe
	s_and_not1_b32 vcc_lo, exec_lo, s2
	s_wait_alu 0xfffe
	s_cbranch_vccnz .LBB635_14
; %bb.13:
	s_mov_b64 s[2:3], src_shared_base
	v_dual_mov_b32 v31, v0 :: v_dual_mov_b32 v40, v0
	v_dual_mov_b32 v0, s36 :: v_dual_mov_b32 v1, s37
	;; [unrolled: 1-line block ×7, first 2 shown]
	s_wait_alu 0xfffe
	v_dual_mov_b32 v12, 0 :: v_dual_mov_b32 v13, s3
	s_add_nc_u64 s[8:9], s[0:1], 0x50
	s_getpc_b64 s[4:5]
	s_wait_alu 0xfffe
	s_sext_i32_i16 s5, s5
	s_add_co_u32 s4, s4, _ZN7rocprim17ROCPRIM_400000_NS6detail40segmented_radix_sort_single_block_helperIilLj256ELj16ELb0EE4sortIPKiPiPKlPlEEbT_T0_T1_T2_jjjjRNS3_12storage_typeE@rel32@lo+12
	s_wait_alu 0xfffe
	s_add_co_ci_u32 s5, s5, _ZN7rocprim17ROCPRIM_400000_NS6detail40segmented_radix_sort_single_block_helperIilLj256ELj16ELb0EE4sortIPKiPiPKlPlEEbT_T0_T1_T2_jjjjRNS3_12storage_typeE@rel32@hi+24
	s_mov_b64 s[22:23], s[0:1]
	s_wait_alu 0xfffe
	s_swappc_b64 s[30:31], s[4:5]
	v_mov_b32_e32 v0, v40
	s_mov_b64 s[0:1], s[22:23]
.LBB635_14:
	s_mov_b32 s2, 0
.LBB635_15:
	s_wait_alu 0xfffe
	s_and_not1_b32 vcc_lo, exec_lo, s2
	s_wait_alu 0xfffe
	s_cbranch_vccnz .LBB635_1190
; %bb.16:
	s_cmp_ge_u32 s49, s50
	s_cbranch_scc1 .LBB635_1190
; %bb.17:
	v_dual_mov_b32 v84, 1 :: v_dual_and_b32 v1, 0x3ff, v0
	v_dual_mov_b32 v3, 0 :: v_dual_and_b32 v2, 3, v0
	v_lshrrev_b32_e32 v4, 3, v0
	s_delay_alu instid0(VALU_DEP_3)
	v_lshlrev_b32_e32 v44, 2, v1
	v_mbcnt_lo_u32_b32 v81, -1, 0
	v_or_b32_e32 v45, 0x100, v1
	v_lshlrev_b32_e32 v62, 2, v2
	v_or_b32_e32 v2, 31, v1
	v_and_b32_e32 v63, 28, v4
	v_lshlrev_b32_e32 v4, 4, v1
	v_mad_u32_u24 v64, v1, 12, v44
	v_lshlrev_b32_e32 v91, 3, v81
	v_cmp_eq_u32_e64 s3, v1, v2
	v_lshlrev_b32_e32 v2, 5, v1
	v_and_b32_e32 v4, 0xe00, v4
	v_mad_u32_u24 v67, v1, 20, v64
	v_lshlrev_b32_e32 v107, 2, v81
	v_add_co_u32 v48, s2, s40, v44
	s_delay_alu instid0(VALU_DEP_4) | instskip(NEXT) | instid1(VALU_DEP_4)
	v_lshlrev_b32_e32 v5, 2, v4
	v_sub_nc_u32_e32 v70, v67, v2
	v_lshlrev_b32_e32 v2, 3, v4
	v_or_b32_e32 v88, v81, v4
	v_or_b32_e32 v46, 0x200, v1
	;; [unrolled: 1-line block ×3, first 2 shown]
	s_wait_alu 0xf1ff
	v_add_co_ci_u32_e64 v49, null, s41, 0, s2
	v_add_co_u32 v6, s8, s46, v2
	s_wait_alu 0xf1ff
	v_add_co_ci_u32_e64 v7, null, s47, 0, s8
	v_add_co_u32 v8, s8, s40, v5
	s_wait_alu 0xf1ff
	v_add_co_ci_u32_e64 v9, null, s41, 0, s8
	v_add_co_u32 v71, s8, s38, v44
	s_wait_alu 0xf1ff
	v_add_co_ci_u32_e64 v72, null, s39, 0, s8
	v_add_co_u32 v73, s8, s44, v2
	s_wait_alu 0xf1ff
	v_add_co_ci_u32_e64 v74, null, s45, 0, s8
	v_add_co_u32 v75, s8, s38, v5
	s_wait_alu 0xf1ff
	v_add_co_ci_u32_e64 v76, null, s39, 0, s8
	v_add_co_u32 v77, s8, s36, v44
	s_wait_alu 0xf1ff
	v_add_co_ci_u32_e64 v78, null, s37, 0, s8
	v_add_co_u32 v79, s8, s42, v2
	v_add_co_u32 v109, vcc_lo, v6, v91
	s_wait_alu 0xf1ff
	v_add_co_ci_u32_e64 v80, null, s43, 0, s8
	v_add_co_u32 v82, s8, s36, v5
	s_wait_alu 0xfffd
	v_add_co_ci_u32_e64 v110, null, 0, v7, vcc_lo
	v_add_co_u32 v111, vcc_lo, v8, v107
	v_or_b32_e32 v50, 0x400, v1
	v_or_b32_e32 v51, 0x500, v1
	;; [unrolled: 1-line block ×12, first 2 shown]
	v_cmp_gt_u32_e64 s2, 0x100, v1
	v_or_b32_e32 v65, 0x8400, v63
	v_cmp_gt_u32_e64 s4, 8, v1
	v_add_nc_u32_e32 v66, 0x8400, v44
	v_cmp_lt_u32_e64 s5, 31, v1
	v_add_nc_u32_e32 v68, 0x83fc, v63
	v_bfe_u32 v69, v0, 20, 10
	v_bfe_u32 v0, v0, 10, 10
	v_cmp_eq_u32_e64 s6, 0, v1
	v_cmp_ne_u32_e64 s7, 0xff, v1
	s_wait_alu 0xf1ff
	v_add_co_ci_u32_e64 v83, null, s37, 0, s8
	v_and_b32_e32 v85, 15, v81
	v_bfe_i32 v86, v81, 4, 1
	v_and_b32_e32 v87, 16, v81
	v_and_b32_e32 v89, 7, v81
	v_sub_co_u32 v90, s8, v81, 1
	v_or_b32_e32 v92, 32, v88
	v_or_b32_e32 v93, 64, v88
	;; [unrolled: 1-line block ×15, first 2 shown]
	v_lshlrev_b32_e32 v108, 2, v1
	s_wait_alu 0xfffd
	v_add_co_ci_u32_e64 v112, null, 0, v9, vcc_lo
	s_add_nc_u64 s[34:35], s[0:1], 0x50
	s_mov_b32 s43, 0
	s_mov_b32 s31, s49
	s_branch .LBB635_20
.LBB635_18:                             ;   in Loop: Header=BB635_20 Depth=1
	s_wait_loadcnt_dscnt 0x0
	s_barrier_signal -1
	s_barrier_wait -1
.LBB635_19:                             ;   in Loop: Header=BB635_20 Depth=1
	s_add_co_i32 s31, s31, 8
	global_inv scope:SCOPE_SE
	s_wait_alu 0xfffe
	s_cmp_ge_u32 s31, s50
	s_cbranch_scc1 .LBB635_1190
.LBB635_20:                             ; =>This Loop Header: Depth=1
                                        ;     Child Loop BB635_24 Depth 2
                                        ;     Child Loop BB635_104 Depth 2
	;; [unrolled: 1-line block ×8, first 2 shown]
	s_wait_alu 0xfffe
	s_sub_co_i32 s0, s50, s31
	s_xor_b32 s52, s52, -1
	s_wait_alu 0xfffe
	s_min_u32 s0, s0, 8
	ds_store_2addr_stride64_b32 v44, v3, v3 offset1:4
	s_wait_alu 0xfffe
	s_lshl_b32 s0, -1, s0
	ds_store_2addr_stride64_b32 v44, v3, v3 offset0:8 offset1:12
	s_wait_alu 0xfffe
	s_not_b32 s48, s0
	s_cmp_lg_u32 s31, s49
	s_mov_b32 s0, -1
	s_wait_storecnt_dscnt 0x0
	s_cbranch_scc0 .LBB635_606
; %bb.21:                               ;   in Loop: Header=BB635_20 Depth=1
	s_and_b32 vcc_lo, exec_lo, s52
	s_wait_alu 0xfffe
	s_cbranch_vccz .LBB635_313
; %bb.22:                               ;   in Loop: Header=BB635_20 Depth=1
	s_mov_b32 s9, s53
	s_mov_b32 s42, s33
	s_barrier_signal -1
	s_barrier_wait -1
	global_inv scope:SCOPE_SE
                                        ; implicit-def: $vgpr2
                                        ; implicit-def: $vgpr4
                                        ; implicit-def: $vgpr5
                                        ; implicit-def: $vgpr6
                                        ; implicit-def: $vgpr7
                                        ; implicit-def: $vgpr8
                                        ; implicit-def: $vgpr9
                                        ; implicit-def: $vgpr10
                                        ; implicit-def: $vgpr11
                                        ; implicit-def: $vgpr12
                                        ; implicit-def: $vgpr13
                                        ; implicit-def: $vgpr14
                                        ; implicit-def: $vgpr15
                                        ; implicit-def: $vgpr16
                                        ; implicit-def: $vgpr17
                                        ; implicit-def: $vgpr18
	s_branch .LBB635_24
.LBB635_23:                             ;   in Loop: Header=BB635_24 Depth=2
	s_wait_alu 0xfffe
	s_or_b32 exec_lo, exec_lo, s0
	s_addk_co_i32 s9, 0xf000
	s_cmp_ge_u32 s10, s51
	s_mov_b32 s42, s10
	s_cbranch_scc1 .LBB635_92
.LBB635_24:                             ;   Parent Loop BB635_20 Depth=1
                                        ; =>  This Inner Loop Header: Depth=2
	s_wait_alu 0xfffe
	s_add_co_i32 s10, s42, 0x1000
	s_mov_b32 s0, -1
	s_wait_alu 0xfffe
	s_cmp_gt_u32 s10, s51
                                        ; implicit-def: $vgpr19
                                        ; implicit-def: $vgpr20
                                        ; implicit-def: $vgpr21
                                        ; implicit-def: $vgpr22
                                        ; implicit-def: $vgpr23
                                        ; implicit-def: $vgpr24
                                        ; implicit-def: $vgpr25
                                        ; implicit-def: $vgpr26
                                        ; implicit-def: $vgpr27
                                        ; implicit-def: $vgpr28
                                        ; implicit-def: $vgpr29
                                        ; implicit-def: $vgpr30
                                        ; implicit-def: $vgpr31
                                        ; implicit-def: $vgpr32
                                        ; implicit-def: $vgpr33
                                        ; implicit-def: $vgpr34
	s_cbranch_scc1 .LBB635_26
; %bb.25:                               ;   in Loop: Header=BB635_24 Depth=2
	s_lshl_b64 s[0:1], s[42:43], 2
	s_wait_alu 0xfffe
	v_add_co_u32 v34, vcc_lo, v48, s0
	s_wait_alu 0xfffd
	v_add_co_ci_u32_e64 v35, null, s1, v49, vcc_lo
	s_mov_b32 s0, 0
	s_clause 0xf
	global_load_b32 v19, v[34:35], off
	global_load_b32 v20, v[34:35], off offset:1024
	global_load_b32 v21, v[34:35], off offset:2048
	;; [unrolled: 1-line block ×15, first 2 shown]
.LBB635_26:                             ;   in Loop: Header=BB635_24 Depth=2
	s_wait_alu 0xfffe
	s_and_not1_b32 vcc_lo, exec_lo, s0
	s_movk_i32 s0, 0x1000
	s_wait_alu 0xfffe
	s_cbranch_vccnz .LBB635_45
; %bb.27:                               ;   in Loop: Header=BB635_24 Depth=2
	s_lshl_b64 s[0:1], s[42:43], 2
	s_mov_b32 s11, exec_lo
	s_wait_alu 0xfffe
	s_add_nc_u64 s[0:1], s[40:41], s[0:1]
	v_cmpx_gt_u32_e64 s9, v1
	s_cbranch_execnz .LBB635_77
; %bb.28:                               ;   in Loop: Header=BB635_24 Depth=2
	s_or_b32 exec_lo, exec_lo, s11
	s_delay_alu instid0(SALU_CYCLE_1)
	s_mov_b32 s11, exec_lo
	v_cmpx_gt_u32_e64 s9, v45
	s_cbranch_execnz .LBB635_78
.LBB635_29:                             ;   in Loop: Header=BB635_24 Depth=2
	s_wait_alu 0xfffe
	s_or_b32 exec_lo, exec_lo, s11
	s_delay_alu instid0(SALU_CYCLE_1)
	s_mov_b32 s11, exec_lo
	v_cmpx_gt_u32_e64 s9, v46
	s_cbranch_execnz .LBB635_79
.LBB635_30:                             ;   in Loop: Header=BB635_24 Depth=2
	s_wait_alu 0xfffe
	s_or_b32 exec_lo, exec_lo, s11
	s_delay_alu instid0(SALU_CYCLE_1)
	s_mov_b32 s11, exec_lo
	v_cmpx_gt_u32_e64 s9, v47
	s_cbranch_execnz .LBB635_80
.LBB635_31:                             ;   in Loop: Header=BB635_24 Depth=2
	s_wait_alu 0xfffe
	s_or_b32 exec_lo, exec_lo, s11
	s_delay_alu instid0(SALU_CYCLE_1)
	s_mov_b32 s11, exec_lo
	v_cmpx_gt_u32_e64 s9, v50
	s_cbranch_execnz .LBB635_81
.LBB635_32:                             ;   in Loop: Header=BB635_24 Depth=2
	s_wait_alu 0xfffe
	s_or_b32 exec_lo, exec_lo, s11
	s_delay_alu instid0(SALU_CYCLE_1)
	s_mov_b32 s11, exec_lo
	v_cmpx_gt_u32_e64 s9, v51
	s_cbranch_execnz .LBB635_82
.LBB635_33:                             ;   in Loop: Header=BB635_24 Depth=2
	s_wait_alu 0xfffe
	s_or_b32 exec_lo, exec_lo, s11
	s_delay_alu instid0(SALU_CYCLE_1)
	s_mov_b32 s11, exec_lo
	v_cmpx_gt_u32_e64 s9, v52
	s_cbranch_execnz .LBB635_83
.LBB635_34:                             ;   in Loop: Header=BB635_24 Depth=2
	s_wait_alu 0xfffe
	s_or_b32 exec_lo, exec_lo, s11
	s_delay_alu instid0(SALU_CYCLE_1)
	s_mov_b32 s11, exec_lo
	v_cmpx_gt_u32_e64 s9, v53
	s_cbranch_execnz .LBB635_84
.LBB635_35:                             ;   in Loop: Header=BB635_24 Depth=2
	s_wait_alu 0xfffe
	s_or_b32 exec_lo, exec_lo, s11
	s_delay_alu instid0(SALU_CYCLE_1)
	s_mov_b32 s11, exec_lo
	v_cmpx_gt_u32_e64 s9, v54
	s_cbranch_execnz .LBB635_85
.LBB635_36:                             ;   in Loop: Header=BB635_24 Depth=2
	s_wait_alu 0xfffe
	s_or_b32 exec_lo, exec_lo, s11
	s_delay_alu instid0(SALU_CYCLE_1)
	s_mov_b32 s11, exec_lo
	v_cmpx_gt_u32_e64 s9, v55
	s_cbranch_execnz .LBB635_86
.LBB635_37:                             ;   in Loop: Header=BB635_24 Depth=2
	s_wait_alu 0xfffe
	s_or_b32 exec_lo, exec_lo, s11
	s_delay_alu instid0(SALU_CYCLE_1)
	s_mov_b32 s11, exec_lo
	v_cmpx_gt_u32_e64 s9, v56
	s_cbranch_execnz .LBB635_87
.LBB635_38:                             ;   in Loop: Header=BB635_24 Depth=2
	s_wait_alu 0xfffe
	s_or_b32 exec_lo, exec_lo, s11
	s_delay_alu instid0(SALU_CYCLE_1)
	s_mov_b32 s11, exec_lo
	v_cmpx_gt_u32_e64 s9, v57
	s_cbranch_execnz .LBB635_88
.LBB635_39:                             ;   in Loop: Header=BB635_24 Depth=2
	s_wait_alu 0xfffe
	s_or_b32 exec_lo, exec_lo, s11
	s_delay_alu instid0(SALU_CYCLE_1)
	s_mov_b32 s11, exec_lo
	v_cmpx_gt_u32_e64 s9, v58
	s_cbranch_execnz .LBB635_89
.LBB635_40:                             ;   in Loop: Header=BB635_24 Depth=2
	s_wait_alu 0xfffe
	s_or_b32 exec_lo, exec_lo, s11
	s_delay_alu instid0(SALU_CYCLE_1)
	s_mov_b32 s11, exec_lo
	v_cmpx_gt_u32_e64 s9, v59
	s_cbranch_execnz .LBB635_90
.LBB635_41:                             ;   in Loop: Header=BB635_24 Depth=2
	s_wait_alu 0xfffe
	s_or_b32 exec_lo, exec_lo, s11
	s_delay_alu instid0(SALU_CYCLE_1)
	s_mov_b32 s11, exec_lo
	v_cmpx_gt_u32_e64 s9, v60
	s_cbranch_execnz .LBB635_91
.LBB635_42:                             ;   in Loop: Header=BB635_24 Depth=2
	s_wait_alu 0xfffe
	s_or_b32 exec_lo, exec_lo, s11
	s_delay_alu instid0(SALU_CYCLE_1)
	s_mov_b32 s11, exec_lo
	v_cmpx_gt_u32_e64 s9, v61
	s_cbranch_execz .LBB635_44
.LBB635_43:                             ;   in Loop: Header=BB635_24 Depth=2
	global_load_b32 v2, v108, s[0:1] offset:15360
.LBB635_44:                             ;   in Loop: Header=BB635_24 Depth=2
	s_wait_alu 0xfffe
	s_or_b32 exec_lo, exec_lo, s11
	s_wait_loadcnt 0x0
	v_dual_mov_b32 v19, v18 :: v_dual_mov_b32 v20, v17
	v_dual_mov_b32 v21, v16 :: v_dual_mov_b32 v22, v15
	;; [unrolled: 1-line block ×8, first 2 shown]
	s_mov_b32 s0, s9
.LBB635_45:                             ;   in Loop: Header=BB635_24 Depth=2
	s_wait_loadcnt 0x0
	s_delay_alu instid0(VALU_DEP_1) | instskip(NEXT) | instid1(VALU_DEP_2)
	v_dual_mov_b32 v2, v34 :: v_dual_mov_b32 v5, v32
	v_dual_mov_b32 v4, v33 :: v_dual_mov_b32 v7, v30
	;; [unrolled: 1-line block ×7, first 2 shown]
	v_mov_b32_e32 v16, v21
	v_mov_b32_e32 v18, v19
	s_mov_b32 s1, exec_lo
	s_wait_alu 0xfffe
	v_cmpx_gt_u32_e64 s0, v1
	s_cbranch_execnz .LBB635_61
; %bb.46:                               ;   in Loop: Header=BB635_24 Depth=2
	s_or_b32 exec_lo, exec_lo, s1
	s_delay_alu instid0(SALU_CYCLE_1)
	s_mov_b32 s1, exec_lo
	v_cmpx_gt_u32_e64 s0, v45
	s_cbranch_execnz .LBB635_62
.LBB635_47:                             ;   in Loop: Header=BB635_24 Depth=2
	s_wait_alu 0xfffe
	s_or_b32 exec_lo, exec_lo, s1
	s_delay_alu instid0(SALU_CYCLE_1)
	s_mov_b32 s1, exec_lo
	v_cmpx_gt_u32_e64 s0, v46
	s_cbranch_execnz .LBB635_63
.LBB635_48:                             ;   in Loop: Header=BB635_24 Depth=2
	s_wait_alu 0xfffe
	s_or_b32 exec_lo, exec_lo, s1
	s_delay_alu instid0(SALU_CYCLE_1)
	s_mov_b32 s1, exec_lo
	v_cmpx_gt_u32_e64 s0, v47
	s_cbranch_execnz .LBB635_64
.LBB635_49:                             ;   in Loop: Header=BB635_24 Depth=2
	s_wait_alu 0xfffe
	s_or_b32 exec_lo, exec_lo, s1
	s_delay_alu instid0(SALU_CYCLE_1)
	s_mov_b32 s1, exec_lo
	v_cmpx_gt_u32_e64 s0, v50
	s_cbranch_execnz .LBB635_65
.LBB635_50:                             ;   in Loop: Header=BB635_24 Depth=2
	s_wait_alu 0xfffe
	s_or_b32 exec_lo, exec_lo, s1
	s_delay_alu instid0(SALU_CYCLE_1)
	s_mov_b32 s1, exec_lo
	v_cmpx_gt_u32_e64 s0, v51
	s_cbranch_execnz .LBB635_66
.LBB635_51:                             ;   in Loop: Header=BB635_24 Depth=2
	s_wait_alu 0xfffe
	s_or_b32 exec_lo, exec_lo, s1
	s_delay_alu instid0(SALU_CYCLE_1)
	s_mov_b32 s1, exec_lo
	v_cmpx_gt_u32_e64 s0, v52
	s_cbranch_execnz .LBB635_67
.LBB635_52:                             ;   in Loop: Header=BB635_24 Depth=2
	s_wait_alu 0xfffe
	s_or_b32 exec_lo, exec_lo, s1
	s_delay_alu instid0(SALU_CYCLE_1)
	s_mov_b32 s1, exec_lo
	v_cmpx_gt_u32_e64 s0, v53
	s_cbranch_execnz .LBB635_68
.LBB635_53:                             ;   in Loop: Header=BB635_24 Depth=2
	s_wait_alu 0xfffe
	s_or_b32 exec_lo, exec_lo, s1
	s_delay_alu instid0(SALU_CYCLE_1)
	s_mov_b32 s1, exec_lo
	v_cmpx_gt_u32_e64 s0, v54
	s_cbranch_execnz .LBB635_69
.LBB635_54:                             ;   in Loop: Header=BB635_24 Depth=2
	s_wait_alu 0xfffe
	s_or_b32 exec_lo, exec_lo, s1
	s_delay_alu instid0(SALU_CYCLE_1)
	s_mov_b32 s1, exec_lo
	v_cmpx_gt_u32_e64 s0, v55
	s_cbranch_execnz .LBB635_70
.LBB635_55:                             ;   in Loop: Header=BB635_24 Depth=2
	s_wait_alu 0xfffe
	s_or_b32 exec_lo, exec_lo, s1
	s_delay_alu instid0(SALU_CYCLE_1)
	s_mov_b32 s1, exec_lo
	v_cmpx_gt_u32_e64 s0, v56
	s_cbranch_execnz .LBB635_71
.LBB635_56:                             ;   in Loop: Header=BB635_24 Depth=2
	s_wait_alu 0xfffe
	s_or_b32 exec_lo, exec_lo, s1
	s_delay_alu instid0(SALU_CYCLE_1)
	s_mov_b32 s1, exec_lo
	v_cmpx_gt_u32_e64 s0, v57
	s_cbranch_execnz .LBB635_72
.LBB635_57:                             ;   in Loop: Header=BB635_24 Depth=2
	s_wait_alu 0xfffe
	s_or_b32 exec_lo, exec_lo, s1
	s_delay_alu instid0(SALU_CYCLE_1)
	s_mov_b32 s1, exec_lo
	v_cmpx_gt_u32_e64 s0, v58
	s_cbranch_execnz .LBB635_73
.LBB635_58:                             ;   in Loop: Header=BB635_24 Depth=2
	s_wait_alu 0xfffe
	s_or_b32 exec_lo, exec_lo, s1
	s_delay_alu instid0(SALU_CYCLE_1)
	s_mov_b32 s1, exec_lo
	v_cmpx_gt_u32_e64 s0, v59
	s_cbranch_execnz .LBB635_74
.LBB635_59:                             ;   in Loop: Header=BB635_24 Depth=2
	s_wait_alu 0xfffe
	s_or_b32 exec_lo, exec_lo, s1
	s_delay_alu instid0(SALU_CYCLE_1)
	s_mov_b32 s1, exec_lo
	v_cmpx_gt_u32_e64 s0, v60
	s_cbranch_execnz .LBB635_75
.LBB635_60:                             ;   in Loop: Header=BB635_24 Depth=2
	s_wait_alu 0xfffe
	s_or_b32 exec_lo, exec_lo, s1
	v_cmp_gt_u32_e32 vcc_lo, s0, v61
	s_and_saveexec_b32 s0, vcc_lo
	s_cbranch_execz .LBB635_23
	s_branch .LBB635_76
.LBB635_61:                             ;   in Loop: Header=BB635_24 Depth=2
	v_xor_b32_e32 v19, 0x80000000, v18
	s_delay_alu instid0(VALU_DEP_1) | instskip(NEXT) | instid1(VALU_DEP_1)
	v_lshrrev_b32_e32 v19, s31, v19
	v_and_b32_e32 v19, s48, v19
	s_delay_alu instid0(VALU_DEP_1) | instskip(SKIP_2) | instid1(SALU_CYCLE_1)
	v_lshl_or_b32 v19, v19, 4, v62
	ds_add_u32 v19, v84
	s_or_b32 exec_lo, exec_lo, s1
	s_mov_b32 s1, exec_lo
	v_cmpx_gt_u32_e64 s0, v45
	s_cbranch_execz .LBB635_47
.LBB635_62:                             ;   in Loop: Header=BB635_24 Depth=2
	v_xor_b32_e32 v19, 0x80000000, v17
	s_delay_alu instid0(VALU_DEP_1) | instskip(NEXT) | instid1(VALU_DEP_1)
	v_lshrrev_b32_e32 v19, s31, v19
	v_and_b32_e32 v19, s48, v19
	s_delay_alu instid0(VALU_DEP_1) | instskip(SKIP_3) | instid1(SALU_CYCLE_1)
	v_lshl_or_b32 v19, v19, 4, v62
	ds_add_u32 v19, v84
	s_wait_alu 0xfffe
	s_or_b32 exec_lo, exec_lo, s1
	s_mov_b32 s1, exec_lo
	v_cmpx_gt_u32_e64 s0, v46
	s_cbranch_execz .LBB635_48
.LBB635_63:                             ;   in Loop: Header=BB635_24 Depth=2
	v_xor_b32_e32 v19, 0x80000000, v16
	s_delay_alu instid0(VALU_DEP_1) | instskip(NEXT) | instid1(VALU_DEP_1)
	v_lshrrev_b32_e32 v19, s31, v19
	v_and_b32_e32 v19, s48, v19
	s_delay_alu instid0(VALU_DEP_1) | instskip(SKIP_3) | instid1(SALU_CYCLE_1)
	v_lshl_or_b32 v19, v19, 4, v62
	ds_add_u32 v19, v84
	s_wait_alu 0xfffe
	s_or_b32 exec_lo, exec_lo, s1
	s_mov_b32 s1, exec_lo
	v_cmpx_gt_u32_e64 s0, v47
	s_cbranch_execz .LBB635_49
.LBB635_64:                             ;   in Loop: Header=BB635_24 Depth=2
	v_xor_b32_e32 v19, 0x80000000, v15
	s_delay_alu instid0(VALU_DEP_1) | instskip(NEXT) | instid1(VALU_DEP_1)
	v_lshrrev_b32_e32 v19, s31, v19
	v_and_b32_e32 v19, s48, v19
	s_delay_alu instid0(VALU_DEP_1) | instskip(SKIP_3) | instid1(SALU_CYCLE_1)
	v_lshl_or_b32 v19, v19, 4, v62
	ds_add_u32 v19, v84
	s_wait_alu 0xfffe
	s_or_b32 exec_lo, exec_lo, s1
	s_mov_b32 s1, exec_lo
	v_cmpx_gt_u32_e64 s0, v50
	s_cbranch_execz .LBB635_50
.LBB635_65:                             ;   in Loop: Header=BB635_24 Depth=2
	v_xor_b32_e32 v19, 0x80000000, v14
	s_delay_alu instid0(VALU_DEP_1) | instskip(NEXT) | instid1(VALU_DEP_1)
	v_lshrrev_b32_e32 v19, s31, v19
	v_and_b32_e32 v19, s48, v19
	s_delay_alu instid0(VALU_DEP_1) | instskip(SKIP_3) | instid1(SALU_CYCLE_1)
	v_lshl_or_b32 v19, v19, 4, v62
	ds_add_u32 v19, v84
	s_wait_alu 0xfffe
	s_or_b32 exec_lo, exec_lo, s1
	s_mov_b32 s1, exec_lo
	v_cmpx_gt_u32_e64 s0, v51
	s_cbranch_execz .LBB635_51
.LBB635_66:                             ;   in Loop: Header=BB635_24 Depth=2
	v_xor_b32_e32 v19, 0x80000000, v13
	s_delay_alu instid0(VALU_DEP_1) | instskip(NEXT) | instid1(VALU_DEP_1)
	v_lshrrev_b32_e32 v19, s31, v19
	v_and_b32_e32 v19, s48, v19
	s_delay_alu instid0(VALU_DEP_1) | instskip(SKIP_3) | instid1(SALU_CYCLE_1)
	v_lshl_or_b32 v19, v19, 4, v62
	ds_add_u32 v19, v84
	s_wait_alu 0xfffe
	s_or_b32 exec_lo, exec_lo, s1
	s_mov_b32 s1, exec_lo
	v_cmpx_gt_u32_e64 s0, v52
	s_cbranch_execz .LBB635_52
.LBB635_67:                             ;   in Loop: Header=BB635_24 Depth=2
	v_xor_b32_e32 v19, 0x80000000, v12
	s_delay_alu instid0(VALU_DEP_1) | instskip(NEXT) | instid1(VALU_DEP_1)
	v_lshrrev_b32_e32 v19, s31, v19
	v_and_b32_e32 v19, s48, v19
	s_delay_alu instid0(VALU_DEP_1) | instskip(SKIP_3) | instid1(SALU_CYCLE_1)
	v_lshl_or_b32 v19, v19, 4, v62
	ds_add_u32 v19, v84
	s_wait_alu 0xfffe
	s_or_b32 exec_lo, exec_lo, s1
	s_mov_b32 s1, exec_lo
	v_cmpx_gt_u32_e64 s0, v53
	s_cbranch_execz .LBB635_53
.LBB635_68:                             ;   in Loop: Header=BB635_24 Depth=2
	v_xor_b32_e32 v19, 0x80000000, v11
	s_delay_alu instid0(VALU_DEP_1) | instskip(NEXT) | instid1(VALU_DEP_1)
	v_lshrrev_b32_e32 v19, s31, v19
	v_and_b32_e32 v19, s48, v19
	s_delay_alu instid0(VALU_DEP_1) | instskip(SKIP_3) | instid1(SALU_CYCLE_1)
	v_lshl_or_b32 v19, v19, 4, v62
	ds_add_u32 v19, v84
	s_wait_alu 0xfffe
	s_or_b32 exec_lo, exec_lo, s1
	s_mov_b32 s1, exec_lo
	v_cmpx_gt_u32_e64 s0, v54
	s_cbranch_execz .LBB635_54
.LBB635_69:                             ;   in Loop: Header=BB635_24 Depth=2
	v_xor_b32_e32 v19, 0x80000000, v10
	s_delay_alu instid0(VALU_DEP_1) | instskip(NEXT) | instid1(VALU_DEP_1)
	v_lshrrev_b32_e32 v19, s31, v19
	v_and_b32_e32 v19, s48, v19
	s_delay_alu instid0(VALU_DEP_1) | instskip(SKIP_3) | instid1(SALU_CYCLE_1)
	v_lshl_or_b32 v19, v19, 4, v62
	ds_add_u32 v19, v84
	s_wait_alu 0xfffe
	s_or_b32 exec_lo, exec_lo, s1
	s_mov_b32 s1, exec_lo
	v_cmpx_gt_u32_e64 s0, v55
	s_cbranch_execz .LBB635_55
.LBB635_70:                             ;   in Loop: Header=BB635_24 Depth=2
	v_xor_b32_e32 v19, 0x80000000, v9
	s_delay_alu instid0(VALU_DEP_1) | instskip(NEXT) | instid1(VALU_DEP_1)
	v_lshrrev_b32_e32 v19, s31, v19
	v_and_b32_e32 v19, s48, v19
	s_delay_alu instid0(VALU_DEP_1) | instskip(SKIP_3) | instid1(SALU_CYCLE_1)
	v_lshl_or_b32 v19, v19, 4, v62
	ds_add_u32 v19, v84
	s_wait_alu 0xfffe
	s_or_b32 exec_lo, exec_lo, s1
	s_mov_b32 s1, exec_lo
	v_cmpx_gt_u32_e64 s0, v56
	s_cbranch_execz .LBB635_56
.LBB635_71:                             ;   in Loop: Header=BB635_24 Depth=2
	v_xor_b32_e32 v19, 0x80000000, v8
	s_delay_alu instid0(VALU_DEP_1) | instskip(NEXT) | instid1(VALU_DEP_1)
	v_lshrrev_b32_e32 v19, s31, v19
	v_and_b32_e32 v19, s48, v19
	s_delay_alu instid0(VALU_DEP_1) | instskip(SKIP_3) | instid1(SALU_CYCLE_1)
	v_lshl_or_b32 v19, v19, 4, v62
	ds_add_u32 v19, v84
	s_wait_alu 0xfffe
	s_or_b32 exec_lo, exec_lo, s1
	s_mov_b32 s1, exec_lo
	v_cmpx_gt_u32_e64 s0, v57
	s_cbranch_execz .LBB635_57
.LBB635_72:                             ;   in Loop: Header=BB635_24 Depth=2
	v_xor_b32_e32 v19, 0x80000000, v7
	s_delay_alu instid0(VALU_DEP_1) | instskip(NEXT) | instid1(VALU_DEP_1)
	v_lshrrev_b32_e32 v19, s31, v19
	v_and_b32_e32 v19, s48, v19
	s_delay_alu instid0(VALU_DEP_1) | instskip(SKIP_3) | instid1(SALU_CYCLE_1)
	v_lshl_or_b32 v19, v19, 4, v62
	ds_add_u32 v19, v84
	s_wait_alu 0xfffe
	s_or_b32 exec_lo, exec_lo, s1
	s_mov_b32 s1, exec_lo
	v_cmpx_gt_u32_e64 s0, v58
	s_cbranch_execz .LBB635_58
.LBB635_73:                             ;   in Loop: Header=BB635_24 Depth=2
	v_xor_b32_e32 v19, 0x80000000, v6
	s_delay_alu instid0(VALU_DEP_1) | instskip(NEXT) | instid1(VALU_DEP_1)
	v_lshrrev_b32_e32 v19, s31, v19
	v_and_b32_e32 v19, s48, v19
	s_delay_alu instid0(VALU_DEP_1) | instskip(SKIP_3) | instid1(SALU_CYCLE_1)
	v_lshl_or_b32 v19, v19, 4, v62
	ds_add_u32 v19, v84
	s_wait_alu 0xfffe
	s_or_b32 exec_lo, exec_lo, s1
	s_mov_b32 s1, exec_lo
	v_cmpx_gt_u32_e64 s0, v59
	s_cbranch_execz .LBB635_59
.LBB635_74:                             ;   in Loop: Header=BB635_24 Depth=2
	v_xor_b32_e32 v19, 0x80000000, v5
	s_delay_alu instid0(VALU_DEP_1) | instskip(NEXT) | instid1(VALU_DEP_1)
	v_lshrrev_b32_e32 v19, s31, v19
	v_and_b32_e32 v19, s48, v19
	s_delay_alu instid0(VALU_DEP_1) | instskip(SKIP_3) | instid1(SALU_CYCLE_1)
	v_lshl_or_b32 v19, v19, 4, v62
	ds_add_u32 v19, v84
	s_wait_alu 0xfffe
	s_or_b32 exec_lo, exec_lo, s1
	s_mov_b32 s1, exec_lo
	v_cmpx_gt_u32_e64 s0, v60
	s_cbranch_execz .LBB635_60
.LBB635_75:                             ;   in Loop: Header=BB635_24 Depth=2
	v_xor_b32_e32 v19, 0x80000000, v4
	s_delay_alu instid0(VALU_DEP_1) | instskip(NEXT) | instid1(VALU_DEP_1)
	v_lshrrev_b32_e32 v19, s31, v19
	v_and_b32_e32 v19, s48, v19
	s_delay_alu instid0(VALU_DEP_1)
	v_lshl_or_b32 v19, v19, 4, v62
	ds_add_u32 v19, v84
	s_wait_alu 0xfffe
	s_or_b32 exec_lo, exec_lo, s1
	v_cmp_gt_u32_e32 vcc_lo, s0, v61
	s_and_saveexec_b32 s0, vcc_lo
	s_cbranch_execz .LBB635_23
.LBB635_76:                             ;   in Loop: Header=BB635_24 Depth=2
	v_xor_b32_e32 v19, 0x80000000, v2
	s_delay_alu instid0(VALU_DEP_1) | instskip(NEXT) | instid1(VALU_DEP_1)
	v_lshrrev_b32_e32 v19, s31, v19
	v_and_b32_e32 v19, s48, v19
	s_delay_alu instid0(VALU_DEP_1)
	v_lshl_or_b32 v19, v19, 4, v62
	ds_add_u32 v19, v84
	s_branch .LBB635_23
.LBB635_77:                             ;   in Loop: Header=BB635_24 Depth=2
	global_load_b32 v18, v108, s[0:1]
	s_or_b32 exec_lo, exec_lo, s11
	s_delay_alu instid0(SALU_CYCLE_1)
	s_mov_b32 s11, exec_lo
	v_cmpx_gt_u32_e64 s9, v45
	s_cbranch_execz .LBB635_29
.LBB635_78:                             ;   in Loop: Header=BB635_24 Depth=2
	global_load_b32 v17, v108, s[0:1] offset:1024
	s_wait_alu 0xfffe
	s_or_b32 exec_lo, exec_lo, s11
	s_delay_alu instid0(SALU_CYCLE_1)
	s_mov_b32 s11, exec_lo
	v_cmpx_gt_u32_e64 s9, v46
	s_cbranch_execz .LBB635_30
.LBB635_79:                             ;   in Loop: Header=BB635_24 Depth=2
	global_load_b32 v16, v108, s[0:1] offset:2048
	s_wait_alu 0xfffe
	s_or_b32 exec_lo, exec_lo, s11
	s_delay_alu instid0(SALU_CYCLE_1)
	s_mov_b32 s11, exec_lo
	v_cmpx_gt_u32_e64 s9, v47
	s_cbranch_execz .LBB635_31
.LBB635_80:                             ;   in Loop: Header=BB635_24 Depth=2
	global_load_b32 v15, v108, s[0:1] offset:3072
	s_wait_alu 0xfffe
	s_or_b32 exec_lo, exec_lo, s11
	s_delay_alu instid0(SALU_CYCLE_1)
	s_mov_b32 s11, exec_lo
	v_cmpx_gt_u32_e64 s9, v50
	s_cbranch_execz .LBB635_32
.LBB635_81:                             ;   in Loop: Header=BB635_24 Depth=2
	global_load_b32 v14, v108, s[0:1] offset:4096
	s_wait_alu 0xfffe
	s_or_b32 exec_lo, exec_lo, s11
	s_delay_alu instid0(SALU_CYCLE_1)
	s_mov_b32 s11, exec_lo
	v_cmpx_gt_u32_e64 s9, v51
	s_cbranch_execz .LBB635_33
.LBB635_82:                             ;   in Loop: Header=BB635_24 Depth=2
	global_load_b32 v13, v108, s[0:1] offset:5120
	s_wait_alu 0xfffe
	s_or_b32 exec_lo, exec_lo, s11
	s_delay_alu instid0(SALU_CYCLE_1)
	s_mov_b32 s11, exec_lo
	v_cmpx_gt_u32_e64 s9, v52
	s_cbranch_execz .LBB635_34
.LBB635_83:                             ;   in Loop: Header=BB635_24 Depth=2
	global_load_b32 v12, v108, s[0:1] offset:6144
	s_wait_alu 0xfffe
	s_or_b32 exec_lo, exec_lo, s11
	s_delay_alu instid0(SALU_CYCLE_1)
	s_mov_b32 s11, exec_lo
	v_cmpx_gt_u32_e64 s9, v53
	s_cbranch_execz .LBB635_35
.LBB635_84:                             ;   in Loop: Header=BB635_24 Depth=2
	global_load_b32 v11, v108, s[0:1] offset:7168
	s_wait_alu 0xfffe
	s_or_b32 exec_lo, exec_lo, s11
	s_delay_alu instid0(SALU_CYCLE_1)
	s_mov_b32 s11, exec_lo
	v_cmpx_gt_u32_e64 s9, v54
	s_cbranch_execz .LBB635_36
.LBB635_85:                             ;   in Loop: Header=BB635_24 Depth=2
	global_load_b32 v10, v108, s[0:1] offset:8192
	s_wait_alu 0xfffe
	s_or_b32 exec_lo, exec_lo, s11
	s_delay_alu instid0(SALU_CYCLE_1)
	s_mov_b32 s11, exec_lo
	v_cmpx_gt_u32_e64 s9, v55
	s_cbranch_execz .LBB635_37
.LBB635_86:                             ;   in Loop: Header=BB635_24 Depth=2
	global_load_b32 v9, v108, s[0:1] offset:9216
	s_wait_alu 0xfffe
	s_or_b32 exec_lo, exec_lo, s11
	s_delay_alu instid0(SALU_CYCLE_1)
	s_mov_b32 s11, exec_lo
	v_cmpx_gt_u32_e64 s9, v56
	s_cbranch_execz .LBB635_38
.LBB635_87:                             ;   in Loop: Header=BB635_24 Depth=2
	global_load_b32 v8, v108, s[0:1] offset:10240
	s_wait_alu 0xfffe
	s_or_b32 exec_lo, exec_lo, s11
	s_delay_alu instid0(SALU_CYCLE_1)
	s_mov_b32 s11, exec_lo
	v_cmpx_gt_u32_e64 s9, v57
	s_cbranch_execz .LBB635_39
.LBB635_88:                             ;   in Loop: Header=BB635_24 Depth=2
	global_load_b32 v7, v108, s[0:1] offset:11264
	s_wait_alu 0xfffe
	s_or_b32 exec_lo, exec_lo, s11
	s_delay_alu instid0(SALU_CYCLE_1)
	s_mov_b32 s11, exec_lo
	v_cmpx_gt_u32_e64 s9, v58
	s_cbranch_execz .LBB635_40
.LBB635_89:                             ;   in Loop: Header=BB635_24 Depth=2
	global_load_b32 v6, v108, s[0:1] offset:12288
	s_wait_alu 0xfffe
	s_or_b32 exec_lo, exec_lo, s11
	s_delay_alu instid0(SALU_CYCLE_1)
	s_mov_b32 s11, exec_lo
	v_cmpx_gt_u32_e64 s9, v59
	s_cbranch_execz .LBB635_41
.LBB635_90:                             ;   in Loop: Header=BB635_24 Depth=2
	global_load_b32 v5, v108, s[0:1] offset:13312
	s_wait_alu 0xfffe
	s_or_b32 exec_lo, exec_lo, s11
	s_delay_alu instid0(SALU_CYCLE_1)
	s_mov_b32 s11, exec_lo
	v_cmpx_gt_u32_e64 s9, v60
	s_cbranch_execz .LBB635_42
.LBB635_91:                             ;   in Loop: Header=BB635_24 Depth=2
	global_load_b32 v4, v108, s[0:1] offset:14336
	s_wait_alu 0xfffe
	s_or_b32 exec_lo, exec_lo, s11
	s_delay_alu instid0(SALU_CYCLE_1)
	s_mov_b32 s11, exec_lo
	v_cmpx_gt_u32_e64 s9, v61
	s_cbranch_execnz .LBB635_43
	s_branch .LBB635_44
.LBB635_92:                             ;   in Loop: Header=BB635_20 Depth=1
	v_mov_b32_e32 v2, 0
	s_wait_dscnt 0x0
	s_barrier_signal -1
	s_barrier_wait -1
	global_inv scope:SCOPE_SE
	s_and_saveexec_b32 s0, s2
	s_cbranch_execz .LBB635_94
; %bb.93:                               ;   in Loop: Header=BB635_20 Depth=1
	ds_load_2addr_b64 v[4:7], v64 offset1:1
	s_wait_dscnt 0x0
	v_add_nc_u32_e32 v2, v5, v4
	s_delay_alu instid0(VALU_DEP_1)
	v_add3_u32 v2, v2, v6, v7
.LBB635_94:                             ;   in Loop: Header=BB635_20 Depth=1
	s_wait_alu 0xfffe
	s_or_b32 exec_lo, exec_lo, s0
	s_delay_alu instid0(VALU_DEP_1)
	v_mov_b32_dpp v4, v2 row_shr:1 row_mask:0xf bank_mask:0xf
	v_cmp_eq_u32_e64 s0, 0, v85
	v_cmp_lt_u32_e64 s1, 1, v85
	v_cmp_lt_u32_e64 s9, 3, v85
	;; [unrolled: 1-line block ×3, first 2 shown]
	v_cmp_eq_u32_e64 s11, 0, v87
	s_wait_alu 0xf1ff
	v_cndmask_b32_e64 v4, v4, 0, s0
	s_delay_alu instid0(VALU_DEP_1) | instskip(NEXT) | instid1(VALU_DEP_1)
	v_add_nc_u32_e32 v2, v4, v2
	v_mov_b32_dpp v4, v2 row_shr:2 row_mask:0xf bank_mask:0xf
	s_delay_alu instid0(VALU_DEP_1) | instskip(NEXT) | instid1(VALU_DEP_1)
	v_cndmask_b32_e64 v4, 0, v4, s1
	v_add_nc_u32_e32 v2, v2, v4
	s_delay_alu instid0(VALU_DEP_1) | instskip(NEXT) | instid1(VALU_DEP_1)
	v_mov_b32_dpp v4, v2 row_shr:4 row_mask:0xf bank_mask:0xf
	v_cndmask_b32_e64 v4, 0, v4, s9
	s_delay_alu instid0(VALU_DEP_1) | instskip(NEXT) | instid1(VALU_DEP_1)
	v_add_nc_u32_e32 v2, v2, v4
	v_mov_b32_dpp v4, v2 row_shr:8 row_mask:0xf bank_mask:0xf
	s_delay_alu instid0(VALU_DEP_1) | instskip(NEXT) | instid1(VALU_DEP_1)
	v_cndmask_b32_e64 v4, 0, v4, s10
	v_add_nc_u32_e32 v2, v2, v4
	ds_swizzle_b32 v4, v2 offset:swizzle(BROADCAST,32,15)
	s_wait_dscnt 0x0
	v_and_b32_e32 v4, v86, v4
	s_delay_alu instid0(VALU_DEP_1)
	v_add_nc_u32_e32 v2, v2, v4
	s_and_saveexec_b32 s12, s3
; %bb.95:                               ;   in Loop: Header=BB635_20 Depth=1
	ds_store_b32 v65, v2
; %bb.96:                               ;   in Loop: Header=BB635_20 Depth=1
	s_wait_alu 0xfffe
	s_or_b32 exec_lo, exec_lo, s12
	s_wait_loadcnt_dscnt 0x0
	s_barrier_signal -1
	s_barrier_wait -1
	global_inv scope:SCOPE_SE
	s_and_saveexec_b32 s12, s4
	s_cbranch_execz .LBB635_98
; %bb.97:                               ;   in Loop: Header=BB635_20 Depth=1
	ds_load_b32 v4, v66
	v_cmp_ne_u32_e32 vcc_lo, 0, v89
	s_wait_dscnt 0x0
	v_mov_b32_dpp v5, v4 row_shr:1 row_mask:0xf bank_mask:0xf
	s_wait_alu 0xfffd
	s_delay_alu instid0(VALU_DEP_1) | instskip(SKIP_1) | instid1(VALU_DEP_2)
	v_cndmask_b32_e32 v5, 0, v5, vcc_lo
	v_cmp_lt_u32_e32 vcc_lo, 1, v89
	v_add_nc_u32_e32 v4, v5, v4
	s_delay_alu instid0(VALU_DEP_1) | instskip(SKIP_1) | instid1(VALU_DEP_1)
	v_mov_b32_dpp v5, v4 row_shr:2 row_mask:0xf bank_mask:0xf
	s_wait_alu 0xfffd
	v_cndmask_b32_e32 v5, 0, v5, vcc_lo
	v_cmp_lt_u32_e32 vcc_lo, 3, v89
	s_delay_alu instid0(VALU_DEP_2) | instskip(NEXT) | instid1(VALU_DEP_1)
	v_add_nc_u32_e32 v4, v4, v5
	v_mov_b32_dpp v5, v4 row_shr:4 row_mask:0xf bank_mask:0xf
	s_wait_alu 0xfffd
	s_delay_alu instid0(VALU_DEP_1) | instskip(NEXT) | instid1(VALU_DEP_1)
	v_cndmask_b32_e32 v5, 0, v5, vcc_lo
	v_add_nc_u32_e32 v4, v4, v5
	ds_store_b32 v66, v4
.LBB635_98:                             ;   in Loop: Header=BB635_20 Depth=1
	s_wait_alu 0xfffe
	s_or_b32 exec_lo, exec_lo, s12
	v_mov_b32_e32 v4, 0
	s_wait_loadcnt_dscnt 0x0
	s_barrier_signal -1
	s_barrier_wait -1
	global_inv scope:SCOPE_SE
	s_and_saveexec_b32 s12, s5
; %bb.99:                               ;   in Loop: Header=BB635_20 Depth=1
	ds_load_b32 v4, v68
; %bb.100:                              ;   in Loop: Header=BB635_20 Depth=1
	s_wait_alu 0xfffe
	s_or_b32 exec_lo, exec_lo, s12
	v_cmp_gt_i32_e32 vcc_lo, 0, v90
	s_wait_loadcnt_dscnt 0x0
	s_barrier_signal -1
	s_barrier_wait -1
	global_inv scope:SCOPE_SE
	s_wait_alu 0xfffd
	v_dual_cndmask_b32 v5, v90, v81 :: v_dual_add_nc_u32 v2, v4, v2
	s_delay_alu instid0(VALU_DEP_1)
	v_lshlrev_b32_e32 v113, 2, v5
	ds_bpermute_b32 v2, v113, v2
	s_and_saveexec_b32 s12, s2
	s_cbranch_execz .LBB635_102
; %bb.101:                              ;   in Loop: Header=BB635_20 Depth=1
	s_wait_dscnt 0x0
	v_cndmask_b32_e64 v2, v2, v4, s8
	s_delay_alu instid0(VALU_DEP_1)
	v_add_nc_u32_e32 v2, s33, v2
	ds_store_b32 v44, v2
.LBB635_102:                            ;   in Loop: Header=BB635_20 Depth=1
	s_wait_alu 0xfffe
	s_or_b32 exec_lo, exec_lo, s12
	s_clause 0x1
	s_load_b32 s12, s[34:35], 0x4
	s_load_b32 s14, s[34:35], 0xc
	s_mov_b32 s54, s53
                                        ; implicit-def: $vgpr6_vgpr7
                                        ; implicit-def: $vgpr8_vgpr9
                                        ; implicit-def: $vgpr10_vgpr11
                                        ; implicit-def: $vgpr12_vgpr13
                                        ; implicit-def: $vgpr14_vgpr15
                                        ; implicit-def: $vgpr16_vgpr17
                                        ; implicit-def: $vgpr18_vgpr19
                                        ; implicit-def: $vgpr20_vgpr21
                                        ; implicit-def: $vgpr22_vgpr23
                                        ; implicit-def: $vgpr24_vgpr25
                                        ; implicit-def: $vgpr26_vgpr27
                                        ; implicit-def: $vgpr28_vgpr29
                                        ; implicit-def: $vgpr30_vgpr31
                                        ; implicit-def: $vgpr32_vgpr33
                                        ; implicit-def: $vgpr34_vgpr35
                                        ; implicit-def: $vgpr115
                                        ; implicit-def: $vgpr116
                                        ; implicit-def: $vgpr117
                                        ; implicit-def: $vgpr118
                                        ; implicit-def: $vgpr119
                                        ; implicit-def: $vgpr120
                                        ; implicit-def: $vgpr121
                                        ; implicit-def: $vgpr122
                                        ; implicit-def: $vgpr123
                                        ; implicit-def: $vgpr124
                                        ; implicit-def: $vgpr125
                                        ; implicit-def: $vgpr126
                                        ; implicit-def: $vgpr127
                                        ; implicit-def: $vgpr128
                                        ; implicit-def: $vgpr129
                                        ; implicit-def: $vgpr130
	s_wait_kmcnt 0x0
	s_cmp_lt_u32 ttmp7, s12
	s_cselect_b32 s42, 14, 20
	s_wait_alu 0xfffe
	s_add_nc_u64 s[12:13], s[34:35], s[42:43]
	s_mov_b32 s42, s33
	s_load_u16 s12, s[12:13], 0x0
	v_cmp_lt_u32_e64 s13, 1, v89
	s_wait_dscnt 0x0
	s_wait_kmcnt 0x0
	v_mad_u32_u24 v2, v69, s12, v0
	s_and_b32 s12, s14, 0xffff
	v_cmp_lt_u32_e64 s14, 3, v89
	s_wait_alu 0xfffe
	s_delay_alu instid0(VALU_DEP_2) | instskip(SKIP_1) | instid1(VALU_DEP_2)
	v_mad_co_u64_u32 v[4:5], null, v2, s12, v[1:2]
	v_cmp_eq_u32_e64 s12, 0, v89
	v_lshrrev_b32_e32 v2, 3, v4
                                        ; implicit-def: $vgpr4_vgpr5
	s_delay_alu instid0(VALU_DEP_1)
	v_and_b32_e32 v114, 0x1ffffffc, v2
	s_branch .LBB635_104
.LBB635_103:                            ;   in Loop: Header=BB635_104 Depth=2
	s_wait_alu 0xfffe
	s_or_b32 exec_lo, exec_lo, s15
	s_addk_co_i32 s54, 0xf000
	s_cmp_lt_u32 s55, s51
	s_mov_b32 s42, s55
	s_cbranch_scc0 .LBB635_312
.LBB635_104:                            ;   Parent Loop BB635_20 Depth=1
                                        ; =>  This Inner Loop Header: Depth=2
	s_wait_alu 0xfffe
	s_add_co_i32 s55, s42, 0x1000
	s_wait_alu 0xfffe
	s_cmp_gt_u32 s55, s51
	s_cbranch_scc1 .LBB635_106
; %bb.105:                              ;   in Loop: Header=BB635_104 Depth=2
	s_lshl_b64 s[16:17], s[42:43], 2
	s_mov_b32 s15, -1
	s_wait_alu 0xfffe
	v_add_co_u32 v36, vcc_lo, v111, s16
	s_wait_alu 0xfffd
	v_add_co_ci_u32_e64 v37, null, s17, v112, vcc_lo
	s_clause 0xe
	global_load_b32 v132, v[36:37], off
	global_load_b32 v133, v[36:37], off offset:128
	global_load_b32 v140, v[36:37], off offset:256
	;; [unrolled: 1-line block ×14, first 2 shown]
	s_movk_i32 s16, 0x1000
	s_cbranch_execz .LBB635_107
	s_branch .LBB635_138
.LBB635_106:                            ;   in Loop: Header=BB635_104 Depth=2
	s_mov_b32 s15, 0
                                        ; implicit-def: $vgpr132
                                        ; implicit-def: $vgpr133
                                        ; implicit-def: $vgpr140
                                        ; implicit-def: $vgpr144
                                        ; implicit-def: $vgpr148
                                        ; implicit-def: $vgpr152
                                        ; implicit-def: $vgpr156
                                        ; implicit-def: $vgpr160
                                        ; implicit-def: $vgpr163
                                        ; implicit-def: $vgpr43
                                        ; implicit-def: $vgpr42
                                        ; implicit-def: $vgpr41
                                        ; implicit-def: $vgpr40
                                        ; implicit-def: $vgpr39
                                        ; implicit-def: $vgpr38
	s_movk_i32 s16, 0x1000
.LBB635_107:                            ;   in Loop: Header=BB635_104 Depth=2
	s_lshl_b64 s[16:17], s[42:43], 2
	s_wait_loadcnt 0xd
	v_bfrev_b32_e32 v133, -2
	s_wait_alu 0xfffe
	v_add_co_u32 v36, vcc_lo, v111, s16
	s_wait_alu 0xfffd
	v_add_co_ci_u32_e64 v37, null, s17, v112, vcc_lo
	v_bfrev_b32_e32 v132, -2
	s_mov_b32 s15, exec_lo
	v_cmpx_gt_u32_e64 s54, v88
	s_cbranch_execz .LBB635_109
; %bb.108:                              ;   in Loop: Header=BB635_104 Depth=2
	global_load_b32 v132, v[36:37], off
.LBB635_109:                            ;   in Loop: Header=BB635_104 Depth=2
	s_wait_alu 0xfffe
	s_or_b32 exec_lo, exec_lo, s15
	s_delay_alu instid0(SALU_CYCLE_1)
	s_mov_b32 s15, exec_lo
	v_cmpx_gt_u32_e64 s54, v92
	s_cbranch_execz .LBB635_111
; %bb.110:                              ;   in Loop: Header=BB635_104 Depth=2
	global_load_b32 v133, v[36:37], off offset:128
.LBB635_111:                            ;   in Loop: Header=BB635_104 Depth=2
	s_wait_alu 0xfffe
	s_or_b32 exec_lo, exec_lo, s15
	s_wait_loadcnt 0xb
	v_bfrev_b32_e32 v144, -2
	v_bfrev_b32_e32 v140, -2
	s_mov_b32 s15, exec_lo
	v_cmpx_gt_u32_e64 s54, v93
	s_cbranch_execz .LBB635_113
; %bb.112:                              ;   in Loop: Header=BB635_104 Depth=2
	global_load_b32 v140, v[36:37], off offset:256
.LBB635_113:                            ;   in Loop: Header=BB635_104 Depth=2
	s_wait_alu 0xfffe
	s_or_b32 exec_lo, exec_lo, s15
	s_delay_alu instid0(SALU_CYCLE_1)
	s_mov_b32 s15, exec_lo
	v_cmpx_gt_u32_e64 s54, v94
	s_cbranch_execz .LBB635_115
; %bb.114:                              ;   in Loop: Header=BB635_104 Depth=2
	global_load_b32 v144, v[36:37], off offset:384
.LBB635_115:                            ;   in Loop: Header=BB635_104 Depth=2
	s_wait_alu 0xfffe
	s_or_b32 exec_lo, exec_lo, s15
	s_wait_loadcnt 0x9
	v_bfrev_b32_e32 v152, -2
	v_bfrev_b32_e32 v148, -2
	s_mov_b32 s15, exec_lo
	v_cmpx_gt_u32_e64 s54, v95
	s_cbranch_execz .LBB635_117
; %bb.116:                              ;   in Loop: Header=BB635_104 Depth=2
	global_load_b32 v148, v[36:37], off offset:512
.LBB635_117:                            ;   in Loop: Header=BB635_104 Depth=2
	;; [unrolled: 20-line block ×6, first 2 shown]
	s_wait_alu 0xfffe
	s_or_b32 exec_lo, exec_lo, s15
	s_delay_alu instid0(SALU_CYCLE_1)
	s_mov_b32 s15, exec_lo
	v_cmpx_gt_u32_e64 s54, v104
	s_cbranch_execz .LBB635_135
; %bb.134:                              ;   in Loop: Header=BB635_104 Depth=2
	global_load_b32 v39, v[36:37], off offset:1664
.LBB635_135:                            ;   in Loop: Header=BB635_104 Depth=2
	s_wait_alu 0xfffe
	s_or_b32 exec_lo, exec_lo, s15
	s_wait_loadcnt 0x0
	v_bfrev_b32_e32 v38, -2
	s_mov_b32 s15, exec_lo
	v_cmpx_gt_u32_e64 s54, v105
	s_cbranch_execz .LBB635_137
; %bb.136:                              ;   in Loop: Header=BB635_104 Depth=2
	global_load_b32 v38, v[36:37], off offset:1792
.LBB635_137:                            ;   in Loop: Header=BB635_104 Depth=2
	s_wait_alu 0xfffe
	s_or_b32 exec_lo, exec_lo, s15
	v_cmp_gt_u32_e64 s15, s54, v106
	s_sub_co_i32 s16, s51, s42
.LBB635_138:                            ;   in Loop: Header=BB635_104 Depth=2
	v_dual_mov_b32 v2, -1 :: v_dual_mov_b32 v131, s54
	s_and_saveexec_b32 s17, s15
	s_cbranch_execz .LBB635_140
; %bb.139:                              ;   in Loop: Header=BB635_104 Depth=2
	s_lshl_b64 s[18:19], s[42:43], 2
	s_wait_alu 0xfffe
	v_mov_b32_e32 v131, s16
	v_add_co_u32 v36, vcc_lo, v111, s18
	s_wait_alu 0xfffd
	v_add_co_ci_u32_e64 v37, null, s19, v112, vcc_lo
	global_load_b32 v2, v[36:37], off offset:1920
	s_wait_loadcnt 0x0
	v_xor_b32_e32 v2, 0x80000000, v2
.LBB635_140:                            ;   in Loop: Header=BB635_104 Depth=2
	s_wait_alu 0xfffe
	s_or_b32 exec_lo, exec_lo, s17
	s_wait_loadcnt 0xe
	v_xor_b32_e32 v132, 0x80000000, v132
	s_delay_alu instid0(VALU_DEP_1) | instskip(NEXT) | instid1(VALU_DEP_1)
	v_lshrrev_b32_e32 v36, s31, v132
	v_and_b32_e32 v37, s48, v36
	s_delay_alu instid0(VALU_DEP_1)
	v_and_b32_e32 v36, 1, v37
	v_lshlrev_b32_e32 v134, 30, v37
	v_lshlrev_b32_e32 v135, 29, v37
	;; [unrolled: 1-line block ×4, first 2 shown]
	v_add_co_u32 v36, s15, v36, -1
	s_wait_alu 0xf1ff
	v_cndmask_b32_e64 v137, 0, 1, s15
	v_not_b32_e32 v142, v134
	v_cmp_gt_i32_e64 s15, 0, v134
	v_not_b32_e32 v134, v135
	v_lshlrev_b32_e32 v139, 26, v37
	v_cmp_ne_u32_e32 vcc_lo, 0, v137
	v_ashrrev_i32_e32 v142, 31, v142
	v_lshlrev_b32_e32 v141, 25, v37
	v_ashrrev_i32_e32 v134, 31, v134
	v_lshlrev_b32_e32 v137, 24, v37
	s_wait_alu 0xfffd
	v_xor_b32_e32 v36, vcc_lo, v36
	v_cmp_gt_i32_e32 vcc_lo, 0, v135
	v_not_b32_e32 v135, v136
	s_wait_alu 0xf1ff
	v_xor_b32_e32 v142, s15, v142
	v_cmp_gt_i32_e64 s15, 0, v136
	v_and_b32_e32 v36, exec_lo, v36
	v_not_b32_e32 v136, v138
	v_ashrrev_i32_e32 v135, 31, v135
	s_wait_alu 0xfffd
	v_xor_b32_e32 v134, vcc_lo, v134
	v_cmp_gt_i32_e32 vcc_lo, 0, v138
	v_and_b32_e32 v36, v36, v142
	v_not_b32_e32 v138, v139
	v_ashrrev_i32_e32 v136, 31, v136
	s_wait_alu 0xf1ff
	v_xor_b32_e32 v135, s15, v135
	v_cmp_gt_i32_e64 s15, 0, v139
	v_and_b32_e32 v36, v36, v134
	v_not_b32_e32 v134, v141
	v_ashrrev_i32_e32 v138, 31, v138
	s_wait_alu 0xfffd
	v_xor_b32_e32 v136, vcc_lo, v136
	v_cmp_gt_i32_e32 vcc_lo, 0, v141
	v_and_b32_e32 v36, v36, v135
	v_not_b32_e32 v135, v137
	v_ashrrev_i32_e32 v134, 31, v134
	s_wait_alu 0xf1ff
	v_xor_b32_e32 v138, s15, v138
	v_cmp_gt_i32_e64 s15, 0, v137
	v_and_b32_e32 v36, v36, v136
	v_ashrrev_i32_e32 v135, 31, v135
	s_wait_alu 0xfffd
	v_xor_b32_e32 v134, vcc_lo, v134
	v_mul_u32_u24_e32 v37, 36, v37
	v_add_nc_u32_e32 v137, 0x428, v67
	v_and_b32_e32 v36, v36, v138
	s_wait_alu 0xf1ff
	v_xor_b32_e32 v136, s15, v135
	v_add_nc_u32_e32 v135, 0x438, v67
	v_add_nc_u32_e32 v138, 0x430, v67
	;; [unrolled: 1-line block ×3, first 2 shown]
	v_and_b32_e32 v36, v36, v134
	ds_store_2addr_b32 v135, v3, v3 offset1:1
	v_and_b32_e32 v36, v36, v136
	v_add_nc_u32_e32 v136, 0x420, v67
	ds_store_2addr_b32 v136, v3, v3 offset1:1
	ds_store_2addr_b32 v137, v3, v3 offset1:1
	;; [unrolled: 1-line block ×3, first 2 shown]
	ds_store_b32 v67, v3 offset:1088
	v_mbcnt_lo_u32_b32 v134, v36, 0
	v_cmp_ne_u32_e64 s15, 0, v36
	s_wait_loadcnt_dscnt 0x0
	s_barrier_signal -1
	s_barrier_wait -1
	v_cmp_eq_u32_e32 vcc_lo, 0, v134
	global_inv scope:SCOPE_SE
	; wave barrier
	s_and_b32 s16, s15, vcc_lo
	s_wait_alu 0xfffe
	s_and_saveexec_b32 s15, s16
; %bb.141:                              ;   in Loop: Header=BB635_104 Depth=2
	v_bcnt_u32_b32 v36, v36, 0
	ds_store_b32 v139, v36 offset:1056
; %bb.142:                              ;   in Loop: Header=BB635_104 Depth=2
	s_wait_alu 0xfffe
	s_or_b32 exec_lo, exec_lo, s15
	v_xor_b32_e32 v133, 0x80000000, v133
	; wave barrier
	s_delay_alu instid0(VALU_DEP_1) | instskip(NEXT) | instid1(VALU_DEP_1)
	v_lshrrev_b32_e32 v36, s31, v133
	v_and_b32_e32 v37, s48, v36
	s_delay_alu instid0(VALU_DEP_1)
	v_and_b32_e32 v36, 1, v37
	v_lshlrev_b32_e32 v141, 30, v37
	v_lshlrev_b32_e32 v142, 29, v37
	;; [unrolled: 1-line block ×4, first 2 shown]
	v_add_co_u32 v36, s15, v36, -1
	s_wait_alu 0xf1ff
	v_cndmask_b32_e64 v145, 0, 1, s15
	v_not_b32_e32 v150, v141
	v_cmp_gt_i32_e64 s15, 0, v141
	v_not_b32_e32 v141, v142
	v_lshlrev_b32_e32 v147, 26, v37
	v_cmp_ne_u32_e32 vcc_lo, 0, v145
	v_ashrrev_i32_e32 v150, 31, v150
	v_lshlrev_b32_e32 v149, 25, v37
	v_ashrrev_i32_e32 v141, 31, v141
	v_lshlrev_b32_e32 v145, 24, v37
	s_wait_alu 0xfffd
	v_xor_b32_e32 v36, vcc_lo, v36
	v_cmp_gt_i32_e32 vcc_lo, 0, v142
	v_not_b32_e32 v142, v143
	s_wait_alu 0xf1ff
	v_xor_b32_e32 v150, s15, v150
	v_cmp_gt_i32_e64 s15, 0, v143
	v_and_b32_e32 v36, exec_lo, v36
	v_not_b32_e32 v143, v146
	v_ashrrev_i32_e32 v142, 31, v142
	s_wait_alu 0xfffd
	v_xor_b32_e32 v141, vcc_lo, v141
	v_cmp_gt_i32_e32 vcc_lo, 0, v146
	v_and_b32_e32 v36, v36, v150
	v_not_b32_e32 v146, v147
	v_ashrrev_i32_e32 v143, 31, v143
	s_wait_alu 0xf1ff
	v_xor_b32_e32 v142, s15, v142
	v_cmp_gt_i32_e64 s15, 0, v147
	v_and_b32_e32 v36, v36, v141
	v_not_b32_e32 v141, v149
	v_ashrrev_i32_e32 v146, 31, v146
	s_wait_alu 0xfffd
	v_xor_b32_e32 v143, vcc_lo, v143
	v_cmp_gt_i32_e32 vcc_lo, 0, v149
	v_and_b32_e32 v36, v36, v142
	v_not_b32_e32 v142, v145
	v_ashrrev_i32_e32 v141, 31, v141
	s_wait_alu 0xf1ff
	v_xor_b32_e32 v146, s15, v146
	v_cmp_gt_i32_e64 s15, 0, v145
	v_and_b32_e32 v36, v36, v143
	v_ashrrev_i32_e32 v142, 31, v142
	s_wait_alu 0xfffd
	v_xor_b32_e32 v141, vcc_lo, v141
	v_mad_u32_u24 v143, v37, 36, v114
	v_mul_u32_u24_e32 v37, 36, v37
	v_and_b32_e32 v36, v36, v146
	s_wait_alu 0xf1ff
	v_xor_b32_e32 v142, s15, v142
	s_delay_alu instid0(VALU_DEP_2) | instskip(SKIP_3) | instid1(VALU_DEP_1)
	v_and_b32_e32 v36, v36, v141
	ds_load_b32 v141, v143 offset:1056
	v_add_nc_u32_e32 v143, v114, v37
	; wave barrier
	v_and_b32_e32 v36, v36, v142
	v_mbcnt_lo_u32_b32 v142, v36, 0
	v_cmp_ne_u32_e64 s15, 0, v36
	s_delay_alu instid0(VALU_DEP_2)
	v_cmp_eq_u32_e32 vcc_lo, 0, v142
	s_and_b32 s16, s15, vcc_lo
	s_wait_alu 0xfffe
	s_and_saveexec_b32 s15, s16
	s_cbranch_execz .LBB635_144
; %bb.143:                              ;   in Loop: Header=BB635_104 Depth=2
	s_wait_dscnt 0x0
	v_bcnt_u32_b32 v36, v36, v141
	ds_store_b32 v143, v36 offset:1056
.LBB635_144:                            ;   in Loop: Header=BB635_104 Depth=2
	s_wait_alu 0xfffe
	s_or_b32 exec_lo, exec_lo, s15
	v_xor_b32_e32 v140, 0x80000000, v140
	; wave barrier
	s_delay_alu instid0(VALU_DEP_1) | instskip(NEXT) | instid1(VALU_DEP_1)
	v_lshrrev_b32_e32 v36, s31, v140
	v_and_b32_e32 v37, s48, v36
	s_delay_alu instid0(VALU_DEP_1)
	v_and_b32_e32 v36, 1, v37
	v_lshlrev_b32_e32 v145, 30, v37
	v_lshlrev_b32_e32 v146, 29, v37
	;; [unrolled: 1-line block ×4, first 2 shown]
	v_add_co_u32 v36, s15, v36, -1
	s_wait_alu 0xf1ff
	v_cndmask_b32_e64 v149, 0, 1, s15
	v_not_b32_e32 v154, v145
	v_cmp_gt_i32_e64 s15, 0, v145
	v_not_b32_e32 v145, v146
	v_lshlrev_b32_e32 v151, 26, v37
	v_cmp_ne_u32_e32 vcc_lo, 0, v149
	v_ashrrev_i32_e32 v154, 31, v154
	v_lshlrev_b32_e32 v153, 25, v37
	v_ashrrev_i32_e32 v145, 31, v145
	v_lshlrev_b32_e32 v149, 24, v37
	s_wait_alu 0xfffd
	v_xor_b32_e32 v36, vcc_lo, v36
	v_cmp_gt_i32_e32 vcc_lo, 0, v146
	v_not_b32_e32 v146, v147
	s_wait_alu 0xf1ff
	v_xor_b32_e32 v154, s15, v154
	v_cmp_gt_i32_e64 s15, 0, v147
	v_and_b32_e32 v36, exec_lo, v36
	v_not_b32_e32 v147, v150
	v_ashrrev_i32_e32 v146, 31, v146
	s_wait_alu 0xfffd
	v_xor_b32_e32 v145, vcc_lo, v145
	v_cmp_gt_i32_e32 vcc_lo, 0, v150
	v_and_b32_e32 v36, v36, v154
	v_not_b32_e32 v150, v151
	v_ashrrev_i32_e32 v147, 31, v147
	s_wait_alu 0xf1ff
	v_xor_b32_e32 v146, s15, v146
	v_cmp_gt_i32_e64 s15, 0, v151
	v_and_b32_e32 v36, v36, v145
	v_not_b32_e32 v145, v153
	v_ashrrev_i32_e32 v150, 31, v150
	s_wait_alu 0xfffd
	v_xor_b32_e32 v147, vcc_lo, v147
	v_cmp_gt_i32_e32 vcc_lo, 0, v153
	v_and_b32_e32 v36, v36, v146
	v_not_b32_e32 v146, v149
	v_ashrrev_i32_e32 v145, 31, v145
	s_wait_alu 0xf1ff
	v_xor_b32_e32 v150, s15, v150
	v_cmp_gt_i32_e64 s15, 0, v149
	v_and_b32_e32 v36, v36, v147
	v_ashrrev_i32_e32 v146, 31, v146
	s_wait_alu 0xfffd
	v_xor_b32_e32 v145, vcc_lo, v145
	v_mad_u32_u24 v147, v37, 36, v114
	v_mul_u32_u24_e32 v37, 36, v37
	v_and_b32_e32 v36, v36, v150
	s_wait_alu 0xf1ff
	v_xor_b32_e32 v146, s15, v146
	s_delay_alu instid0(VALU_DEP_2) | instskip(SKIP_3) | instid1(VALU_DEP_1)
	v_and_b32_e32 v36, v36, v145
	ds_load_b32 v145, v147 offset:1056
	v_add_nc_u32_e32 v147, v114, v37
	; wave barrier
	v_and_b32_e32 v36, v36, v146
	v_mbcnt_lo_u32_b32 v146, v36, 0
	v_cmp_ne_u32_e64 s15, 0, v36
	s_delay_alu instid0(VALU_DEP_2)
	v_cmp_eq_u32_e32 vcc_lo, 0, v146
	s_and_b32 s16, s15, vcc_lo
	s_wait_alu 0xfffe
	s_and_saveexec_b32 s15, s16
	s_cbranch_execz .LBB635_146
; %bb.145:                              ;   in Loop: Header=BB635_104 Depth=2
	s_wait_dscnt 0x0
	v_bcnt_u32_b32 v36, v36, v145
	ds_store_b32 v147, v36 offset:1056
.LBB635_146:                            ;   in Loop: Header=BB635_104 Depth=2
	s_wait_alu 0xfffe
	s_or_b32 exec_lo, exec_lo, s15
	v_xor_b32_e32 v144, 0x80000000, v144
	; wave barrier
	s_delay_alu instid0(VALU_DEP_1) | instskip(NEXT) | instid1(VALU_DEP_1)
	v_lshrrev_b32_e32 v36, s31, v144
	v_and_b32_e32 v37, s48, v36
	s_delay_alu instid0(VALU_DEP_1)
	v_and_b32_e32 v36, 1, v37
	v_lshlrev_b32_e32 v149, 30, v37
	v_lshlrev_b32_e32 v150, 29, v37
	;; [unrolled: 1-line block ×4, first 2 shown]
	v_add_co_u32 v36, s15, v36, -1
	s_wait_alu 0xf1ff
	v_cndmask_b32_e64 v153, 0, 1, s15
	v_not_b32_e32 v158, v149
	v_cmp_gt_i32_e64 s15, 0, v149
	v_not_b32_e32 v149, v150
	v_lshlrev_b32_e32 v155, 26, v37
	v_cmp_ne_u32_e32 vcc_lo, 0, v153
	v_ashrrev_i32_e32 v158, 31, v158
	v_lshlrev_b32_e32 v157, 25, v37
	v_ashrrev_i32_e32 v149, 31, v149
	v_lshlrev_b32_e32 v153, 24, v37
	s_wait_alu 0xfffd
	v_xor_b32_e32 v36, vcc_lo, v36
	v_cmp_gt_i32_e32 vcc_lo, 0, v150
	v_not_b32_e32 v150, v151
	s_wait_alu 0xf1ff
	v_xor_b32_e32 v158, s15, v158
	v_cmp_gt_i32_e64 s15, 0, v151
	v_and_b32_e32 v36, exec_lo, v36
	v_not_b32_e32 v151, v154
	v_ashrrev_i32_e32 v150, 31, v150
	s_wait_alu 0xfffd
	v_xor_b32_e32 v149, vcc_lo, v149
	v_cmp_gt_i32_e32 vcc_lo, 0, v154
	v_and_b32_e32 v36, v36, v158
	v_not_b32_e32 v154, v155
	v_ashrrev_i32_e32 v151, 31, v151
	s_wait_alu 0xf1ff
	v_xor_b32_e32 v150, s15, v150
	v_cmp_gt_i32_e64 s15, 0, v155
	v_and_b32_e32 v36, v36, v149
	v_not_b32_e32 v149, v157
	v_ashrrev_i32_e32 v154, 31, v154
	s_wait_alu 0xfffd
	v_xor_b32_e32 v151, vcc_lo, v151
	v_cmp_gt_i32_e32 vcc_lo, 0, v157
	v_and_b32_e32 v36, v36, v150
	v_not_b32_e32 v150, v153
	v_ashrrev_i32_e32 v149, 31, v149
	s_wait_alu 0xf1ff
	v_xor_b32_e32 v154, s15, v154
	v_cmp_gt_i32_e64 s15, 0, v153
	v_and_b32_e32 v36, v36, v151
	v_ashrrev_i32_e32 v150, 31, v150
	s_wait_alu 0xfffd
	v_xor_b32_e32 v149, vcc_lo, v149
	v_mad_u32_u24 v151, v37, 36, v114
	v_mul_u32_u24_e32 v37, 36, v37
	v_and_b32_e32 v36, v36, v154
	s_wait_alu 0xf1ff
	v_xor_b32_e32 v150, s15, v150
	s_delay_alu instid0(VALU_DEP_2) | instskip(SKIP_3) | instid1(VALU_DEP_1)
	v_and_b32_e32 v36, v36, v149
	ds_load_b32 v149, v151 offset:1056
	v_add_nc_u32_e32 v151, v114, v37
	; wave barrier
	v_and_b32_e32 v36, v36, v150
	v_mbcnt_lo_u32_b32 v150, v36, 0
	v_cmp_ne_u32_e64 s15, 0, v36
	s_delay_alu instid0(VALU_DEP_2)
	v_cmp_eq_u32_e32 vcc_lo, 0, v150
	s_and_b32 s16, s15, vcc_lo
	s_wait_alu 0xfffe
	s_and_saveexec_b32 s15, s16
	s_cbranch_execz .LBB635_148
; %bb.147:                              ;   in Loop: Header=BB635_104 Depth=2
	s_wait_dscnt 0x0
	v_bcnt_u32_b32 v36, v36, v149
	ds_store_b32 v151, v36 offset:1056
.LBB635_148:                            ;   in Loop: Header=BB635_104 Depth=2
	s_wait_alu 0xfffe
	s_or_b32 exec_lo, exec_lo, s15
	v_xor_b32_e32 v148, 0x80000000, v148
	; wave barrier
	s_delay_alu instid0(VALU_DEP_1) | instskip(NEXT) | instid1(VALU_DEP_1)
	v_lshrrev_b32_e32 v36, s31, v148
	v_and_b32_e32 v37, s48, v36
	s_delay_alu instid0(VALU_DEP_1)
	v_and_b32_e32 v36, 1, v37
	v_lshlrev_b32_e32 v153, 30, v37
	v_lshlrev_b32_e32 v154, 29, v37
	;; [unrolled: 1-line block ×4, first 2 shown]
	v_add_co_u32 v36, s15, v36, -1
	s_wait_alu 0xf1ff
	v_cndmask_b32_e64 v157, 0, 1, s15
	v_not_b32_e32 v162, v153
	v_cmp_gt_i32_e64 s15, 0, v153
	v_not_b32_e32 v153, v154
	v_lshlrev_b32_e32 v159, 26, v37
	v_cmp_ne_u32_e32 vcc_lo, 0, v157
	v_ashrrev_i32_e32 v162, 31, v162
	v_lshlrev_b32_e32 v161, 25, v37
	v_ashrrev_i32_e32 v153, 31, v153
	v_lshlrev_b32_e32 v157, 24, v37
	s_wait_alu 0xfffd
	v_xor_b32_e32 v36, vcc_lo, v36
	v_cmp_gt_i32_e32 vcc_lo, 0, v154
	v_not_b32_e32 v154, v155
	s_wait_alu 0xf1ff
	v_xor_b32_e32 v162, s15, v162
	v_cmp_gt_i32_e64 s15, 0, v155
	v_and_b32_e32 v36, exec_lo, v36
	v_not_b32_e32 v155, v158
	v_ashrrev_i32_e32 v154, 31, v154
	s_wait_alu 0xfffd
	v_xor_b32_e32 v153, vcc_lo, v153
	v_cmp_gt_i32_e32 vcc_lo, 0, v158
	v_and_b32_e32 v36, v36, v162
	v_not_b32_e32 v158, v159
	v_ashrrev_i32_e32 v155, 31, v155
	s_wait_alu 0xf1ff
	v_xor_b32_e32 v154, s15, v154
	v_cmp_gt_i32_e64 s15, 0, v159
	v_and_b32_e32 v36, v36, v153
	v_not_b32_e32 v153, v161
	v_ashrrev_i32_e32 v158, 31, v158
	s_wait_alu 0xfffd
	v_xor_b32_e32 v155, vcc_lo, v155
	v_cmp_gt_i32_e32 vcc_lo, 0, v161
	v_and_b32_e32 v36, v36, v154
	v_not_b32_e32 v154, v157
	v_ashrrev_i32_e32 v153, 31, v153
	s_wait_alu 0xf1ff
	v_xor_b32_e32 v158, s15, v158
	v_cmp_gt_i32_e64 s15, 0, v157
	v_and_b32_e32 v36, v36, v155
	v_ashrrev_i32_e32 v154, 31, v154
	s_wait_alu 0xfffd
	v_xor_b32_e32 v153, vcc_lo, v153
	v_mad_u32_u24 v155, v37, 36, v114
	v_mul_u32_u24_e32 v37, 36, v37
	v_and_b32_e32 v36, v36, v158
	s_wait_alu 0xf1ff
	v_xor_b32_e32 v154, s15, v154
	s_delay_alu instid0(VALU_DEP_2) | instskip(SKIP_3) | instid1(VALU_DEP_1)
	v_and_b32_e32 v36, v36, v153
	ds_load_b32 v153, v155 offset:1056
	v_add_nc_u32_e32 v155, v114, v37
	; wave barrier
	v_and_b32_e32 v36, v36, v154
	v_mbcnt_lo_u32_b32 v154, v36, 0
	v_cmp_ne_u32_e64 s15, 0, v36
	s_delay_alu instid0(VALU_DEP_2)
	v_cmp_eq_u32_e32 vcc_lo, 0, v154
	s_and_b32 s16, s15, vcc_lo
	s_wait_alu 0xfffe
	s_and_saveexec_b32 s15, s16
	s_cbranch_execz .LBB635_150
; %bb.149:                              ;   in Loop: Header=BB635_104 Depth=2
	s_wait_dscnt 0x0
	v_bcnt_u32_b32 v36, v36, v153
	ds_store_b32 v155, v36 offset:1056
.LBB635_150:                            ;   in Loop: Header=BB635_104 Depth=2
	s_wait_alu 0xfffe
	s_or_b32 exec_lo, exec_lo, s15
	v_xor_b32_e32 v152, 0x80000000, v152
	; wave barrier
	s_delay_alu instid0(VALU_DEP_1) | instskip(NEXT) | instid1(VALU_DEP_1)
	v_lshrrev_b32_e32 v36, s31, v152
	v_and_b32_e32 v37, s48, v36
	s_delay_alu instid0(VALU_DEP_1)
	v_and_b32_e32 v36, 1, v37
	v_lshlrev_b32_e32 v157, 30, v37
	v_lshlrev_b32_e32 v158, 29, v37
	;; [unrolled: 1-line block ×4, first 2 shown]
	v_add_co_u32 v36, s15, v36, -1
	s_wait_alu 0xf1ff
	v_cndmask_b32_e64 v161, 0, 1, s15
	v_not_b32_e32 v166, v157
	v_cmp_gt_i32_e64 s15, 0, v157
	v_not_b32_e32 v157, v158
	v_lshlrev_b32_e32 v164, 26, v37
	v_cmp_ne_u32_e32 vcc_lo, 0, v161
	v_ashrrev_i32_e32 v166, 31, v166
	v_lshlrev_b32_e32 v165, 25, v37
	v_ashrrev_i32_e32 v157, 31, v157
	v_lshlrev_b32_e32 v161, 24, v37
	s_wait_alu 0xfffd
	v_xor_b32_e32 v36, vcc_lo, v36
	v_cmp_gt_i32_e32 vcc_lo, 0, v158
	v_not_b32_e32 v158, v159
	s_wait_alu 0xf1ff
	v_xor_b32_e32 v166, s15, v166
	v_cmp_gt_i32_e64 s15, 0, v159
	v_and_b32_e32 v36, exec_lo, v36
	v_not_b32_e32 v159, v162
	v_ashrrev_i32_e32 v158, 31, v158
	s_wait_alu 0xfffd
	v_xor_b32_e32 v157, vcc_lo, v157
	v_cmp_gt_i32_e32 vcc_lo, 0, v162
	v_and_b32_e32 v36, v36, v166
	v_not_b32_e32 v162, v164
	v_ashrrev_i32_e32 v159, 31, v159
	s_wait_alu 0xf1ff
	v_xor_b32_e32 v158, s15, v158
	v_cmp_gt_i32_e64 s15, 0, v164
	v_and_b32_e32 v36, v36, v157
	v_not_b32_e32 v157, v165
	v_ashrrev_i32_e32 v162, 31, v162
	s_wait_alu 0xfffd
	v_xor_b32_e32 v159, vcc_lo, v159
	v_cmp_gt_i32_e32 vcc_lo, 0, v165
	v_and_b32_e32 v36, v36, v158
	v_not_b32_e32 v158, v161
	v_ashrrev_i32_e32 v157, 31, v157
	s_wait_alu 0xf1ff
	v_xor_b32_e32 v162, s15, v162
	v_cmp_gt_i32_e64 s15, 0, v161
	v_and_b32_e32 v36, v36, v159
	v_ashrrev_i32_e32 v158, 31, v158
	s_wait_alu 0xfffd
	v_xor_b32_e32 v157, vcc_lo, v157
	v_mad_u32_u24 v159, v37, 36, v114
	v_mul_u32_u24_e32 v37, 36, v37
	v_and_b32_e32 v36, v36, v162
	s_wait_alu 0xf1ff
	v_xor_b32_e32 v158, s15, v158
	s_delay_alu instid0(VALU_DEP_2) | instskip(SKIP_3) | instid1(VALU_DEP_1)
	v_and_b32_e32 v36, v36, v157
	ds_load_b32 v157, v159 offset:1056
	v_add_nc_u32_e32 v159, v114, v37
	; wave barrier
	v_and_b32_e32 v36, v36, v158
	v_mbcnt_lo_u32_b32 v158, v36, 0
	v_cmp_ne_u32_e64 s15, 0, v36
	s_delay_alu instid0(VALU_DEP_2)
	v_cmp_eq_u32_e32 vcc_lo, 0, v158
	s_and_b32 s16, s15, vcc_lo
	s_wait_alu 0xfffe
	s_and_saveexec_b32 s15, s16
	s_cbranch_execz .LBB635_152
; %bb.151:                              ;   in Loop: Header=BB635_104 Depth=2
	s_wait_dscnt 0x0
	v_bcnt_u32_b32 v36, v36, v157
	ds_store_b32 v159, v36 offset:1056
.LBB635_152:                            ;   in Loop: Header=BB635_104 Depth=2
	s_wait_alu 0xfffe
	s_or_b32 exec_lo, exec_lo, s15
	v_xor_b32_e32 v156, 0x80000000, v156
	; wave barrier
	s_delay_alu instid0(VALU_DEP_1) | instskip(NEXT) | instid1(VALU_DEP_1)
	v_lshrrev_b32_e32 v36, s31, v156
	v_and_b32_e32 v37, s48, v36
	s_delay_alu instid0(VALU_DEP_1)
	v_and_b32_e32 v36, 1, v37
	v_lshlrev_b32_e32 v161, 30, v37
	v_lshlrev_b32_e32 v162, 29, v37
	;; [unrolled: 1-line block ×4, first 2 shown]
	v_add_co_u32 v36, s15, v36, -1
	s_wait_alu 0xf1ff
	v_cndmask_b32_e64 v165, 0, 1, s15
	v_not_b32_e32 v169, v161
	v_cmp_gt_i32_e64 s15, 0, v161
	v_not_b32_e32 v161, v162
	v_lshlrev_b32_e32 v167, 26, v37
	v_cmp_ne_u32_e32 vcc_lo, 0, v165
	v_ashrrev_i32_e32 v169, 31, v169
	v_lshlrev_b32_e32 v168, 25, v37
	v_ashrrev_i32_e32 v161, 31, v161
	v_lshlrev_b32_e32 v165, 24, v37
	s_wait_alu 0xfffd
	v_xor_b32_e32 v36, vcc_lo, v36
	v_cmp_gt_i32_e32 vcc_lo, 0, v162
	v_not_b32_e32 v162, v164
	s_wait_alu 0xf1ff
	v_xor_b32_e32 v169, s15, v169
	v_cmp_gt_i32_e64 s15, 0, v164
	v_and_b32_e32 v36, exec_lo, v36
	v_not_b32_e32 v164, v166
	v_ashrrev_i32_e32 v162, 31, v162
	s_wait_alu 0xfffd
	v_xor_b32_e32 v161, vcc_lo, v161
	v_cmp_gt_i32_e32 vcc_lo, 0, v166
	v_and_b32_e32 v36, v36, v169
	v_not_b32_e32 v166, v167
	v_ashrrev_i32_e32 v164, 31, v164
	s_wait_alu 0xf1ff
	v_xor_b32_e32 v162, s15, v162
	v_cmp_gt_i32_e64 s15, 0, v167
	v_and_b32_e32 v36, v36, v161
	v_not_b32_e32 v161, v168
	v_ashrrev_i32_e32 v166, 31, v166
	s_wait_alu 0xfffd
	v_xor_b32_e32 v164, vcc_lo, v164
	v_cmp_gt_i32_e32 vcc_lo, 0, v168
	v_and_b32_e32 v36, v36, v162
	v_not_b32_e32 v162, v165
	v_ashrrev_i32_e32 v161, 31, v161
	s_wait_alu 0xf1ff
	v_xor_b32_e32 v166, s15, v166
	v_cmp_gt_i32_e64 s15, 0, v165
	v_and_b32_e32 v36, v36, v164
	v_ashrrev_i32_e32 v162, 31, v162
	s_wait_alu 0xfffd
	v_xor_b32_e32 v161, vcc_lo, v161
	v_mad_u32_u24 v164, v37, 36, v114
	v_mul_u32_u24_e32 v37, 36, v37
	v_and_b32_e32 v36, v36, v166
	s_wait_alu 0xf1ff
	v_xor_b32_e32 v162, s15, v162
	s_delay_alu instid0(VALU_DEP_2) | instskip(SKIP_3) | instid1(VALU_DEP_1)
	v_and_b32_e32 v36, v36, v161
	ds_load_b32 v161, v164 offset:1056
	v_add_nc_u32_e32 v164, v114, v37
	; wave barrier
	v_and_b32_e32 v36, v36, v162
	v_mbcnt_lo_u32_b32 v162, v36, 0
	v_cmp_ne_u32_e64 s15, 0, v36
	s_delay_alu instid0(VALU_DEP_2)
	v_cmp_eq_u32_e32 vcc_lo, 0, v162
	s_and_b32 s16, s15, vcc_lo
	s_wait_alu 0xfffe
	s_and_saveexec_b32 s15, s16
	s_cbranch_execz .LBB635_154
; %bb.153:                              ;   in Loop: Header=BB635_104 Depth=2
	s_wait_dscnt 0x0
	v_bcnt_u32_b32 v36, v36, v161
	ds_store_b32 v164, v36 offset:1056
.LBB635_154:                            ;   in Loop: Header=BB635_104 Depth=2
	s_wait_alu 0xfffe
	s_or_b32 exec_lo, exec_lo, s15
	v_xor_b32_e32 v160, 0x80000000, v160
	; wave barrier
	s_delay_alu instid0(VALU_DEP_1) | instskip(NEXT) | instid1(VALU_DEP_1)
	v_lshrrev_b32_e32 v36, s31, v160
	v_and_b32_e32 v37, s48, v36
	s_delay_alu instid0(VALU_DEP_1)
	v_and_b32_e32 v36, 1, v37
	v_lshlrev_b32_e32 v165, 30, v37
	v_lshlrev_b32_e32 v166, 29, v37
	;; [unrolled: 1-line block ×4, first 2 shown]
	v_add_co_u32 v36, s15, v36, -1
	s_wait_alu 0xf1ff
	v_cndmask_b32_e64 v168, 0, 1, s15
	v_not_b32_e32 v172, v165
	v_cmp_gt_i32_e64 s15, 0, v165
	v_not_b32_e32 v165, v166
	v_lshlrev_b32_e32 v170, 26, v37
	v_cmp_ne_u32_e32 vcc_lo, 0, v168
	v_ashrrev_i32_e32 v172, 31, v172
	v_lshlrev_b32_e32 v171, 25, v37
	v_ashrrev_i32_e32 v165, 31, v165
	v_lshlrev_b32_e32 v168, 24, v37
	s_wait_alu 0xfffd
	v_xor_b32_e32 v36, vcc_lo, v36
	v_cmp_gt_i32_e32 vcc_lo, 0, v166
	v_not_b32_e32 v166, v167
	s_wait_alu 0xf1ff
	v_xor_b32_e32 v172, s15, v172
	v_cmp_gt_i32_e64 s15, 0, v167
	v_and_b32_e32 v36, exec_lo, v36
	v_not_b32_e32 v167, v169
	v_ashrrev_i32_e32 v166, 31, v166
	s_wait_alu 0xfffd
	v_xor_b32_e32 v165, vcc_lo, v165
	v_cmp_gt_i32_e32 vcc_lo, 0, v169
	v_and_b32_e32 v36, v36, v172
	v_not_b32_e32 v169, v170
	v_ashrrev_i32_e32 v167, 31, v167
	s_wait_alu 0xf1ff
	v_xor_b32_e32 v166, s15, v166
	v_cmp_gt_i32_e64 s15, 0, v170
	v_and_b32_e32 v36, v36, v165
	v_not_b32_e32 v165, v171
	v_ashrrev_i32_e32 v169, 31, v169
	s_wait_alu 0xfffd
	v_xor_b32_e32 v167, vcc_lo, v167
	v_cmp_gt_i32_e32 vcc_lo, 0, v171
	v_and_b32_e32 v36, v36, v166
	v_not_b32_e32 v166, v168
	v_ashrrev_i32_e32 v165, 31, v165
	s_wait_alu 0xf1ff
	v_xor_b32_e32 v169, s15, v169
	v_cmp_gt_i32_e64 s15, 0, v168
	v_and_b32_e32 v36, v36, v167
	v_ashrrev_i32_e32 v166, 31, v166
	s_wait_alu 0xfffd
	v_xor_b32_e32 v165, vcc_lo, v165
	v_mad_u32_u24 v167, v37, 36, v114
	v_mul_u32_u24_e32 v37, 36, v37
	v_and_b32_e32 v36, v36, v169
	s_wait_alu 0xf1ff
	v_xor_b32_e32 v166, s15, v166
	s_delay_alu instid0(VALU_DEP_2) | instskip(SKIP_3) | instid1(VALU_DEP_1)
	v_and_b32_e32 v36, v36, v165
	ds_load_b32 v165, v167 offset:1056
	v_add_nc_u32_e32 v167, v114, v37
	; wave barrier
	v_and_b32_e32 v36, v36, v166
	v_mbcnt_lo_u32_b32 v166, v36, 0
	v_cmp_ne_u32_e64 s15, 0, v36
	s_delay_alu instid0(VALU_DEP_2)
	v_cmp_eq_u32_e32 vcc_lo, 0, v166
	s_and_b32 s16, s15, vcc_lo
	s_wait_alu 0xfffe
	s_and_saveexec_b32 s15, s16
	s_cbranch_execz .LBB635_156
; %bb.155:                              ;   in Loop: Header=BB635_104 Depth=2
	s_wait_dscnt 0x0
	v_bcnt_u32_b32 v36, v36, v165
	ds_store_b32 v167, v36 offset:1056
.LBB635_156:                            ;   in Loop: Header=BB635_104 Depth=2
	s_wait_alu 0xfffe
	s_or_b32 exec_lo, exec_lo, s15
	v_xor_b32_e32 v163, 0x80000000, v163
	; wave barrier
	s_delay_alu instid0(VALU_DEP_1) | instskip(NEXT) | instid1(VALU_DEP_1)
	v_lshrrev_b32_e32 v36, s31, v163
	v_and_b32_e32 v37, s48, v36
	s_delay_alu instid0(VALU_DEP_1)
	v_and_b32_e32 v36, 1, v37
	v_lshlrev_b32_e32 v168, 30, v37
	v_lshlrev_b32_e32 v169, 29, v37
	;; [unrolled: 1-line block ×4, first 2 shown]
	v_add_co_u32 v36, s15, v36, -1
	s_wait_alu 0xf1ff
	v_cndmask_b32_e64 v171, 0, 1, s15
	v_not_b32_e32 v175, v168
	v_cmp_gt_i32_e64 s15, 0, v168
	v_not_b32_e32 v168, v169
	v_lshlrev_b32_e32 v173, 26, v37
	v_cmp_ne_u32_e32 vcc_lo, 0, v171
	v_ashrrev_i32_e32 v175, 31, v175
	v_lshlrev_b32_e32 v174, 25, v37
	v_ashrrev_i32_e32 v168, 31, v168
	v_lshlrev_b32_e32 v171, 24, v37
	s_wait_alu 0xfffd
	v_xor_b32_e32 v36, vcc_lo, v36
	v_cmp_gt_i32_e32 vcc_lo, 0, v169
	v_not_b32_e32 v169, v170
	s_wait_alu 0xf1ff
	v_xor_b32_e32 v175, s15, v175
	v_cmp_gt_i32_e64 s15, 0, v170
	v_and_b32_e32 v36, exec_lo, v36
	v_not_b32_e32 v170, v172
	v_ashrrev_i32_e32 v169, 31, v169
	s_wait_alu 0xfffd
	v_xor_b32_e32 v168, vcc_lo, v168
	v_cmp_gt_i32_e32 vcc_lo, 0, v172
	v_and_b32_e32 v36, v36, v175
	v_not_b32_e32 v172, v173
	v_ashrrev_i32_e32 v170, 31, v170
	s_wait_alu 0xf1ff
	v_xor_b32_e32 v169, s15, v169
	v_cmp_gt_i32_e64 s15, 0, v173
	v_and_b32_e32 v36, v36, v168
	v_not_b32_e32 v168, v174
	v_ashrrev_i32_e32 v172, 31, v172
	s_wait_alu 0xfffd
	v_xor_b32_e32 v170, vcc_lo, v170
	v_cmp_gt_i32_e32 vcc_lo, 0, v174
	v_and_b32_e32 v36, v36, v169
	v_not_b32_e32 v169, v171
	v_ashrrev_i32_e32 v168, 31, v168
	s_wait_alu 0xf1ff
	v_xor_b32_e32 v172, s15, v172
	v_cmp_gt_i32_e64 s15, 0, v171
	v_and_b32_e32 v36, v36, v170
	v_ashrrev_i32_e32 v169, 31, v169
	s_wait_alu 0xfffd
	v_xor_b32_e32 v168, vcc_lo, v168
	v_mad_u32_u24 v170, v37, 36, v114
	v_mul_u32_u24_e32 v37, 36, v37
	v_and_b32_e32 v36, v36, v172
	s_wait_alu 0xf1ff
	v_xor_b32_e32 v171, s15, v169
	ds_load_b32 v169, v170 offset:1056
	v_and_b32_e32 v36, v36, v168
	; wave barrier
	s_delay_alu instid0(VALU_DEP_1) | instskip(SKIP_1) | instid1(VALU_DEP_2)
	v_and_b32_e32 v36, v36, v171
	v_add_nc_u32_e32 v171, v114, v37
	v_mbcnt_lo_u32_b32 v170, v36, 0
	v_cmp_ne_u32_e64 s15, 0, v36
	s_delay_alu instid0(VALU_DEP_2)
	v_cmp_eq_u32_e32 vcc_lo, 0, v170
	s_and_b32 s16, s15, vcc_lo
	s_wait_alu 0xfffe
	s_and_saveexec_b32 s15, s16
	s_cbranch_execz .LBB635_158
; %bb.157:                              ;   in Loop: Header=BB635_104 Depth=2
	s_wait_dscnt 0x0
	v_bcnt_u32_b32 v36, v36, v169
	ds_store_b32 v171, v36 offset:1056
.LBB635_158:                            ;   in Loop: Header=BB635_104 Depth=2
	s_wait_alu 0xfffe
	s_or_b32 exec_lo, exec_lo, s15
	v_xor_b32_e32 v168, 0x80000000, v43
	; wave barrier
	s_delay_alu instid0(VALU_DEP_1) | instskip(NEXT) | instid1(VALU_DEP_1)
	v_lshrrev_b32_e32 v36, s31, v168
	v_and_b32_e32 v37, s48, v36
	s_delay_alu instid0(VALU_DEP_1)
	v_and_b32_e32 v36, 1, v37
	v_lshlrev_b32_e32 v43, 30, v37
	v_lshlrev_b32_e32 v172, 29, v37
	v_lshlrev_b32_e32 v173, 28, v37
	v_lshlrev_b32_e32 v175, 27, v37
	v_add_co_u32 v36, s15, v36, -1
	s_wait_alu 0xf1ff
	v_cndmask_b32_e64 v174, 0, 1, s15
	v_not_b32_e32 v178, v43
	v_cmp_gt_i32_e64 s15, 0, v43
	v_not_b32_e32 v43, v172
	v_lshlrev_b32_e32 v176, 26, v37
	v_cmp_ne_u32_e32 vcc_lo, 0, v174
	v_ashrrev_i32_e32 v178, 31, v178
	v_lshlrev_b32_e32 v177, 25, v37
	v_ashrrev_i32_e32 v43, 31, v43
	v_lshlrev_b32_e32 v174, 24, v37
	s_wait_alu 0xfffd
	v_xor_b32_e32 v36, vcc_lo, v36
	v_cmp_gt_i32_e32 vcc_lo, 0, v172
	v_not_b32_e32 v172, v173
	s_wait_alu 0xf1ff
	v_xor_b32_e32 v178, s15, v178
	v_cmp_gt_i32_e64 s15, 0, v173
	v_and_b32_e32 v36, exec_lo, v36
	v_not_b32_e32 v173, v175
	v_ashrrev_i32_e32 v172, 31, v172
	s_wait_alu 0xfffd
	v_xor_b32_e32 v43, vcc_lo, v43
	v_cmp_gt_i32_e32 vcc_lo, 0, v175
	v_and_b32_e32 v36, v36, v178
	v_not_b32_e32 v175, v176
	v_ashrrev_i32_e32 v173, 31, v173
	s_wait_alu 0xf1ff
	v_xor_b32_e32 v172, s15, v172
	v_cmp_gt_i32_e64 s15, 0, v176
	v_and_b32_e32 v36, v36, v43
	v_not_b32_e32 v43, v177
	v_ashrrev_i32_e32 v175, 31, v175
	s_wait_alu 0xfffd
	v_xor_b32_e32 v173, vcc_lo, v173
	v_cmp_gt_i32_e32 vcc_lo, 0, v177
	v_and_b32_e32 v36, v36, v172
	v_not_b32_e32 v172, v174
	v_ashrrev_i32_e32 v43, 31, v43
	s_wait_alu 0xf1ff
	v_xor_b32_e32 v175, s15, v175
	v_cmp_gt_i32_e64 s15, 0, v174
	v_and_b32_e32 v36, v36, v173
	v_ashrrev_i32_e32 v172, 31, v172
	s_wait_alu 0xfffd
	v_xor_b32_e32 v43, vcc_lo, v43
	v_mad_u32_u24 v173, v37, 36, v114
	v_mul_u32_u24_e32 v37, 36, v37
	v_and_b32_e32 v36, v36, v175
	s_wait_alu 0xf1ff
	v_xor_b32_e32 v172, s15, v172
	ds_load_b32 v173, v173 offset:1056
	v_add_nc_u32_e32 v175, v114, v37
	v_and_b32_e32 v36, v36, v43
	; wave barrier
	s_delay_alu instid0(VALU_DEP_1) | instskip(NEXT) | instid1(VALU_DEP_1)
	v_and_b32_e32 v36, v36, v172
	v_mbcnt_lo_u32_b32 v174, v36, 0
	v_cmp_ne_u32_e64 s15, 0, v36
	s_delay_alu instid0(VALU_DEP_2)
	v_cmp_eq_u32_e32 vcc_lo, 0, v174
	s_and_b32 s16, s15, vcc_lo
	s_wait_alu 0xfffe
	s_and_saveexec_b32 s15, s16
	s_cbranch_execz .LBB635_160
; %bb.159:                              ;   in Loop: Header=BB635_104 Depth=2
	s_wait_dscnt 0x0
	v_bcnt_u32_b32 v36, v36, v173
	ds_store_b32 v175, v36 offset:1056
.LBB635_160:                            ;   in Loop: Header=BB635_104 Depth=2
	s_wait_alu 0xfffe
	s_or_b32 exec_lo, exec_lo, s15
	v_xor_b32_e32 v172, 0x80000000, v42
	; wave barrier
	s_delay_alu instid0(VALU_DEP_1) | instskip(NEXT) | instid1(VALU_DEP_1)
	v_lshrrev_b32_e32 v36, s31, v172
	v_and_b32_e32 v37, s48, v36
	s_delay_alu instid0(VALU_DEP_1)
	v_and_b32_e32 v36, 1, v37
	v_lshlrev_b32_e32 v42, 30, v37
	v_lshlrev_b32_e32 v43, 29, v37
	;; [unrolled: 1-line block ×4, first 2 shown]
	v_add_co_u32 v36, s15, v36, -1
	s_wait_alu 0xf1ff
	v_cndmask_b32_e64 v177, 0, 1, s15
	v_not_b32_e32 v181, v42
	v_cmp_gt_i32_e64 s15, 0, v42
	v_not_b32_e32 v42, v43
	v_lshlrev_b32_e32 v179, 26, v37
	v_cmp_ne_u32_e32 vcc_lo, 0, v177
	v_ashrrev_i32_e32 v181, 31, v181
	v_lshlrev_b32_e32 v180, 25, v37
	v_ashrrev_i32_e32 v42, 31, v42
	v_lshlrev_b32_e32 v177, 24, v37
	s_wait_alu 0xfffd
	v_xor_b32_e32 v36, vcc_lo, v36
	v_cmp_gt_i32_e32 vcc_lo, 0, v43
	v_not_b32_e32 v43, v176
	s_wait_alu 0xf1ff
	v_xor_b32_e32 v181, s15, v181
	v_cmp_gt_i32_e64 s15, 0, v176
	v_and_b32_e32 v36, exec_lo, v36
	v_not_b32_e32 v176, v178
	v_ashrrev_i32_e32 v43, 31, v43
	s_wait_alu 0xfffd
	v_xor_b32_e32 v42, vcc_lo, v42
	v_cmp_gt_i32_e32 vcc_lo, 0, v178
	v_and_b32_e32 v36, v36, v181
	v_not_b32_e32 v178, v179
	v_ashrrev_i32_e32 v176, 31, v176
	s_wait_alu 0xf1ff
	v_xor_b32_e32 v43, s15, v43
	v_cmp_gt_i32_e64 s15, 0, v179
	v_and_b32_e32 v36, v36, v42
	v_not_b32_e32 v42, v180
	v_ashrrev_i32_e32 v178, 31, v178
	s_wait_alu 0xfffd
	v_xor_b32_e32 v176, vcc_lo, v176
	v_cmp_gt_i32_e32 vcc_lo, 0, v180
	v_and_b32_e32 v36, v36, v43
	v_not_b32_e32 v43, v177
	v_ashrrev_i32_e32 v42, 31, v42
	s_wait_alu 0xf1ff
	v_xor_b32_e32 v178, s15, v178
	v_cmp_gt_i32_e64 s15, 0, v177
	v_and_b32_e32 v36, v36, v176
	v_ashrrev_i32_e32 v43, 31, v43
	s_wait_alu 0xfffd
	v_xor_b32_e32 v42, vcc_lo, v42
	v_mad_u32_u24 v176, v37, 36, v114
	v_mul_u32_u24_e32 v37, 36, v37
	v_and_b32_e32 v36, v36, v178
	s_wait_alu 0xf1ff
	v_xor_b32_e32 v43, s15, v43
	ds_load_b32 v177, v176 offset:1056
	v_add_nc_u32_e32 v179, v114, v37
	v_and_b32_e32 v36, v36, v42
	; wave barrier
	s_delay_alu instid0(VALU_DEP_1) | instskip(NEXT) | instid1(VALU_DEP_1)
	v_and_b32_e32 v36, v36, v43
	v_mbcnt_lo_u32_b32 v178, v36, 0
	v_cmp_ne_u32_e64 s15, 0, v36
	s_delay_alu instid0(VALU_DEP_2)
	v_cmp_eq_u32_e32 vcc_lo, 0, v178
	s_and_b32 s16, s15, vcc_lo
	s_wait_alu 0xfffe
	s_and_saveexec_b32 s15, s16
	s_cbranch_execz .LBB635_162
; %bb.161:                              ;   in Loop: Header=BB635_104 Depth=2
	s_wait_dscnt 0x0
	v_bcnt_u32_b32 v36, v36, v177
	ds_store_b32 v179, v36 offset:1056
.LBB635_162:                            ;   in Loop: Header=BB635_104 Depth=2
	s_wait_alu 0xfffe
	s_or_b32 exec_lo, exec_lo, s15
	v_xor_b32_e32 v176, 0x80000000, v41
	; wave barrier
	s_delay_alu instid0(VALU_DEP_1) | instskip(NEXT) | instid1(VALU_DEP_1)
	v_lshrrev_b32_e32 v36, s31, v176
	v_and_b32_e32 v37, s48, v36
	s_delay_alu instid0(VALU_DEP_1)
	v_and_b32_e32 v36, 1, v37
	v_lshlrev_b32_e32 v41, 30, v37
	v_lshlrev_b32_e32 v42, 29, v37
	;; [unrolled: 1-line block ×4, first 2 shown]
	v_add_co_u32 v36, s15, v36, -1
	s_wait_alu 0xf1ff
	v_cndmask_b32_e64 v180, 0, 1, s15
	v_not_b32_e32 v184, v41
	v_cmp_gt_i32_e64 s15, 0, v41
	v_not_b32_e32 v41, v42
	v_lshlrev_b32_e32 v182, 26, v37
	v_cmp_ne_u32_e32 vcc_lo, 0, v180
	v_ashrrev_i32_e32 v184, 31, v184
	v_lshlrev_b32_e32 v183, 25, v37
	v_ashrrev_i32_e32 v41, 31, v41
	v_lshlrev_b32_e32 v180, 24, v37
	s_wait_alu 0xfffd
	v_xor_b32_e32 v36, vcc_lo, v36
	v_cmp_gt_i32_e32 vcc_lo, 0, v42
	v_not_b32_e32 v42, v43
	s_wait_alu 0xf1ff
	v_xor_b32_e32 v184, s15, v184
	v_cmp_gt_i32_e64 s15, 0, v43
	v_and_b32_e32 v36, exec_lo, v36
	v_not_b32_e32 v43, v181
	v_ashrrev_i32_e32 v42, 31, v42
	s_wait_alu 0xfffd
	v_xor_b32_e32 v41, vcc_lo, v41
	v_cmp_gt_i32_e32 vcc_lo, 0, v181
	v_and_b32_e32 v36, v36, v184
	v_not_b32_e32 v181, v182
	v_ashrrev_i32_e32 v43, 31, v43
	s_wait_alu 0xf1ff
	v_xor_b32_e32 v42, s15, v42
	v_cmp_gt_i32_e64 s15, 0, v182
	v_and_b32_e32 v36, v36, v41
	v_not_b32_e32 v41, v183
	v_ashrrev_i32_e32 v181, 31, v181
	s_wait_alu 0xfffd
	v_xor_b32_e32 v43, vcc_lo, v43
	v_cmp_gt_i32_e32 vcc_lo, 0, v183
	v_and_b32_e32 v36, v36, v42
	v_not_b32_e32 v42, v180
	v_ashrrev_i32_e32 v41, 31, v41
	s_wait_alu 0xf1ff
	v_xor_b32_e32 v181, s15, v181
	v_cmp_gt_i32_e64 s15, 0, v180
	v_and_b32_e32 v36, v36, v43
	v_ashrrev_i32_e32 v42, 31, v42
	s_wait_alu 0xfffd
	v_xor_b32_e32 v41, vcc_lo, v41
	v_mad_u32_u24 v43, v37, 36, v114
	v_mul_u32_u24_e32 v37, 36, v37
	v_and_b32_e32 v36, v36, v181
	s_wait_alu 0xf1ff
	v_xor_b32_e32 v42, s15, v42
	ds_load_b32 v181, v43 offset:1056
	v_add_nc_u32_e32 v183, v114, v37
	v_and_b32_e32 v36, v36, v41
	; wave barrier
	s_delay_alu instid0(VALU_DEP_1) | instskip(NEXT) | instid1(VALU_DEP_1)
	v_and_b32_e32 v36, v36, v42
	v_mbcnt_lo_u32_b32 v182, v36, 0
	v_cmp_ne_u32_e64 s15, 0, v36
	s_delay_alu instid0(VALU_DEP_2)
	v_cmp_eq_u32_e32 vcc_lo, 0, v182
	s_and_b32 s16, s15, vcc_lo
	s_wait_alu 0xfffe
	s_and_saveexec_b32 s15, s16
	s_cbranch_execz .LBB635_164
; %bb.163:                              ;   in Loop: Header=BB635_104 Depth=2
	s_wait_dscnt 0x0
	v_bcnt_u32_b32 v36, v36, v181
	ds_store_b32 v183, v36 offset:1056
.LBB635_164:                            ;   in Loop: Header=BB635_104 Depth=2
	s_wait_alu 0xfffe
	s_or_b32 exec_lo, exec_lo, s15
	v_xor_b32_e32 v180, 0x80000000, v40
	; wave barrier
	s_delay_alu instid0(VALU_DEP_1) | instskip(NEXT) | instid1(VALU_DEP_1)
	v_lshrrev_b32_e32 v36, s31, v180
	v_and_b32_e32 v37, s48, v36
	s_delay_alu instid0(VALU_DEP_1)
	v_and_b32_e32 v36, 1, v37
	v_lshlrev_b32_e32 v40, 30, v37
	v_lshlrev_b32_e32 v41, 29, v37
	;; [unrolled: 1-line block ×4, first 2 shown]
	v_add_co_u32 v36, s15, v36, -1
	s_wait_alu 0xf1ff
	v_cndmask_b32_e64 v43, 0, 1, s15
	v_not_b32_e32 v187, v40
	v_cmp_gt_i32_e64 s15, 0, v40
	v_not_b32_e32 v40, v41
	v_lshlrev_b32_e32 v185, 26, v37
	v_cmp_ne_u32_e32 vcc_lo, 0, v43
	v_ashrrev_i32_e32 v187, 31, v187
	v_lshlrev_b32_e32 v186, 25, v37
	v_ashrrev_i32_e32 v40, 31, v40
	v_lshlrev_b32_e32 v43, 24, v37
	s_wait_alu 0xfffd
	v_xor_b32_e32 v36, vcc_lo, v36
	v_cmp_gt_i32_e32 vcc_lo, 0, v41
	v_not_b32_e32 v41, v42
	s_wait_alu 0xf1ff
	v_xor_b32_e32 v187, s15, v187
	v_cmp_gt_i32_e64 s15, 0, v42
	v_and_b32_e32 v36, exec_lo, v36
	v_not_b32_e32 v42, v184
	v_ashrrev_i32_e32 v41, 31, v41
	s_wait_alu 0xfffd
	v_xor_b32_e32 v40, vcc_lo, v40
	v_cmp_gt_i32_e32 vcc_lo, 0, v184
	v_and_b32_e32 v36, v36, v187
	v_not_b32_e32 v184, v185
	v_ashrrev_i32_e32 v42, 31, v42
	s_wait_alu 0xf1ff
	v_xor_b32_e32 v41, s15, v41
	v_cmp_gt_i32_e64 s15, 0, v185
	v_and_b32_e32 v36, v36, v40
	v_not_b32_e32 v40, v186
	v_ashrrev_i32_e32 v184, 31, v184
	s_wait_alu 0xfffd
	v_xor_b32_e32 v42, vcc_lo, v42
	v_cmp_gt_i32_e32 vcc_lo, 0, v186
	v_and_b32_e32 v36, v36, v41
	v_not_b32_e32 v41, v43
	v_ashrrev_i32_e32 v40, 31, v40
	s_wait_alu 0xf1ff
	v_xor_b32_e32 v184, s15, v184
	v_cmp_gt_i32_e64 s15, 0, v43
	v_and_b32_e32 v36, v36, v42
	v_ashrrev_i32_e32 v41, 31, v41
	s_wait_alu 0xfffd
	v_xor_b32_e32 v40, vcc_lo, v40
	v_mad_u32_u24 v42, v37, 36, v114
	v_mul_u32_u24_e32 v37, 36, v37
	v_and_b32_e32 v36, v36, v184
	s_wait_alu 0xf1ff
	v_xor_b32_e32 v41, s15, v41
	ds_load_b32 v185, v42 offset:1056
	v_add_nc_u32_e32 v187, v114, v37
	v_and_b32_e32 v36, v36, v40
	; wave barrier
	s_delay_alu instid0(VALU_DEP_1) | instskip(NEXT) | instid1(VALU_DEP_1)
	v_and_b32_e32 v36, v36, v41
	v_mbcnt_lo_u32_b32 v186, v36, 0
	v_cmp_ne_u32_e64 s15, 0, v36
	s_delay_alu instid0(VALU_DEP_2)
	v_cmp_eq_u32_e32 vcc_lo, 0, v186
	s_and_b32 s16, s15, vcc_lo
	s_wait_alu 0xfffe
	s_and_saveexec_b32 s15, s16
	s_cbranch_execz .LBB635_166
; %bb.165:                              ;   in Loop: Header=BB635_104 Depth=2
	s_wait_dscnt 0x0
	v_bcnt_u32_b32 v36, v36, v185
	ds_store_b32 v187, v36 offset:1056
.LBB635_166:                            ;   in Loop: Header=BB635_104 Depth=2
	s_wait_alu 0xfffe
	s_or_b32 exec_lo, exec_lo, s15
	v_xor_b32_e32 v184, 0x80000000, v39
	; wave barrier
	s_delay_alu instid0(VALU_DEP_1) | instskip(NEXT) | instid1(VALU_DEP_1)
	v_lshrrev_b32_e32 v36, s31, v184
	v_and_b32_e32 v37, s48, v36
	s_delay_alu instid0(VALU_DEP_1)
	v_and_b32_e32 v36, 1, v37
	v_lshlrev_b32_e32 v39, 30, v37
	v_lshlrev_b32_e32 v40, 29, v37
	;; [unrolled: 1-line block ×4, first 2 shown]
	v_add_co_u32 v36, s15, v36, -1
	s_wait_alu 0xf1ff
	v_cndmask_b32_e64 v42, 0, 1, s15
	v_not_b32_e32 v190, v39
	v_cmp_gt_i32_e64 s15, 0, v39
	v_not_b32_e32 v39, v40
	v_lshlrev_b32_e32 v188, 26, v37
	v_cmp_ne_u32_e32 vcc_lo, 0, v42
	v_ashrrev_i32_e32 v190, 31, v190
	v_lshlrev_b32_e32 v189, 25, v37
	v_ashrrev_i32_e32 v39, 31, v39
	v_lshlrev_b32_e32 v42, 24, v37
	s_wait_alu 0xfffd
	v_xor_b32_e32 v36, vcc_lo, v36
	v_cmp_gt_i32_e32 vcc_lo, 0, v40
	v_not_b32_e32 v40, v41
	s_wait_alu 0xf1ff
	v_xor_b32_e32 v190, s15, v190
	v_cmp_gt_i32_e64 s15, 0, v41
	v_and_b32_e32 v36, exec_lo, v36
	v_not_b32_e32 v41, v43
	v_ashrrev_i32_e32 v40, 31, v40
	s_wait_alu 0xfffd
	v_xor_b32_e32 v39, vcc_lo, v39
	v_cmp_gt_i32_e32 vcc_lo, 0, v43
	v_and_b32_e32 v36, v36, v190
	v_not_b32_e32 v43, v188
	v_ashrrev_i32_e32 v41, 31, v41
	s_wait_alu 0xf1ff
	v_xor_b32_e32 v40, s15, v40
	v_cmp_gt_i32_e64 s15, 0, v188
	v_and_b32_e32 v36, v36, v39
	v_not_b32_e32 v39, v189
	v_ashrrev_i32_e32 v43, 31, v43
	s_wait_alu 0xfffd
	v_xor_b32_e32 v41, vcc_lo, v41
	v_cmp_gt_i32_e32 vcc_lo, 0, v189
	v_and_b32_e32 v36, v36, v40
	v_not_b32_e32 v40, v42
	v_ashrrev_i32_e32 v39, 31, v39
	s_wait_alu 0xf1ff
	v_xor_b32_e32 v43, s15, v43
	v_cmp_gt_i32_e64 s15, 0, v42
	v_and_b32_e32 v36, v36, v41
	v_ashrrev_i32_e32 v40, 31, v40
	s_wait_alu 0xfffd
	v_xor_b32_e32 v39, vcc_lo, v39
	v_mad_u32_u24 v41, v37, 36, v114
	v_mul_u32_u24_e32 v37, 36, v37
	v_and_b32_e32 v36, v36, v43
	s_wait_alu 0xf1ff
	v_xor_b32_e32 v40, s15, v40
	ds_load_b32 v189, v41 offset:1056
	v_add_nc_u32_e32 v191, v114, v37
	v_and_b32_e32 v36, v36, v39
	; wave barrier
	s_delay_alu instid0(VALU_DEP_1) | instskip(NEXT) | instid1(VALU_DEP_1)
	v_and_b32_e32 v36, v36, v40
	v_mbcnt_lo_u32_b32 v190, v36, 0
	v_cmp_ne_u32_e64 s15, 0, v36
	s_delay_alu instid0(VALU_DEP_2)
	v_cmp_eq_u32_e32 vcc_lo, 0, v190
	s_and_b32 s16, s15, vcc_lo
	s_wait_alu 0xfffe
	s_and_saveexec_b32 s15, s16
	s_cbranch_execz .LBB635_168
; %bb.167:                              ;   in Loop: Header=BB635_104 Depth=2
	s_wait_dscnt 0x0
	v_bcnt_u32_b32 v36, v36, v189
	ds_store_b32 v191, v36 offset:1056
.LBB635_168:                            ;   in Loop: Header=BB635_104 Depth=2
	s_wait_alu 0xfffe
	s_or_b32 exec_lo, exec_lo, s15
	v_xor_b32_e32 v188, 0x80000000, v38
	; wave barrier
	s_delay_alu instid0(VALU_DEP_1) | instskip(NEXT) | instid1(VALU_DEP_1)
	v_lshrrev_b32_e32 v36, s31, v188
	v_and_b32_e32 v37, s48, v36
	s_delay_alu instid0(VALU_DEP_1)
	v_and_b32_e32 v36, 1, v37
	v_lshlrev_b32_e32 v38, 30, v37
	v_lshlrev_b32_e32 v39, 29, v37
	;; [unrolled: 1-line block ×4, first 2 shown]
	v_add_co_u32 v36, s15, v36, -1
	s_wait_alu 0xf1ff
	v_cndmask_b32_e64 v41, 0, 1, s15
	v_not_b32_e32 v193, v38
	v_cmp_gt_i32_e64 s15, 0, v38
	v_not_b32_e32 v38, v39
	v_lshlrev_b32_e32 v43, 26, v37
	v_cmp_ne_u32_e32 vcc_lo, 0, v41
	v_ashrrev_i32_e32 v193, 31, v193
	v_lshlrev_b32_e32 v192, 25, v37
	v_ashrrev_i32_e32 v38, 31, v38
	v_lshlrev_b32_e32 v41, 24, v37
	s_wait_alu 0xfffd
	v_xor_b32_e32 v36, vcc_lo, v36
	v_cmp_gt_i32_e32 vcc_lo, 0, v39
	v_not_b32_e32 v39, v40
	s_wait_alu 0xf1ff
	v_xor_b32_e32 v193, s15, v193
	v_cmp_gt_i32_e64 s15, 0, v40
	v_and_b32_e32 v36, exec_lo, v36
	v_not_b32_e32 v40, v42
	v_ashrrev_i32_e32 v39, 31, v39
	s_wait_alu 0xfffd
	v_xor_b32_e32 v38, vcc_lo, v38
	v_cmp_gt_i32_e32 vcc_lo, 0, v42
	v_and_b32_e32 v36, v36, v193
	v_not_b32_e32 v42, v43
	v_ashrrev_i32_e32 v40, 31, v40
	s_wait_alu 0xf1ff
	v_xor_b32_e32 v39, s15, v39
	v_cmp_gt_i32_e64 s15, 0, v43
	v_and_b32_e32 v36, v36, v38
	v_not_b32_e32 v38, v192
	v_ashrrev_i32_e32 v42, 31, v42
	s_wait_alu 0xfffd
	v_xor_b32_e32 v40, vcc_lo, v40
	v_cmp_gt_i32_e32 vcc_lo, 0, v192
	v_and_b32_e32 v36, v36, v39
	v_not_b32_e32 v39, v41
	v_ashrrev_i32_e32 v38, 31, v38
	s_wait_alu 0xf1ff
	v_xor_b32_e32 v42, s15, v42
	v_cmp_gt_i32_e64 s15, 0, v41
	v_and_b32_e32 v36, v36, v40
	v_ashrrev_i32_e32 v39, 31, v39
	s_wait_alu 0xfffd
	v_xor_b32_e32 v38, vcc_lo, v38
	v_mad_u32_u24 v40, v37, 36, v114
	v_mul_u32_u24_e32 v37, 36, v37
	v_and_b32_e32 v36, v36, v42
	s_wait_alu 0xf1ff
	v_xor_b32_e32 v39, s15, v39
	ds_load_b32 v192, v40 offset:1056
	v_add_nc_u32_e32 v194, v114, v37
	v_and_b32_e32 v36, v36, v38
	; wave barrier
	s_delay_alu instid0(VALU_DEP_1) | instskip(NEXT) | instid1(VALU_DEP_1)
	v_and_b32_e32 v36, v36, v39
	v_mbcnt_lo_u32_b32 v193, v36, 0
	v_cmp_ne_u32_e64 s15, 0, v36
	s_delay_alu instid0(VALU_DEP_2)
	v_cmp_eq_u32_e32 vcc_lo, 0, v193
	s_and_b32 s16, s15, vcc_lo
	s_wait_alu 0xfffe
	s_and_saveexec_b32 s15, s16
	s_cbranch_execz .LBB635_170
; %bb.169:                              ;   in Loop: Header=BB635_104 Depth=2
	s_wait_dscnt 0x0
	v_bcnt_u32_b32 v36, v36, v192
	ds_store_b32 v194, v36 offset:1056
.LBB635_170:                            ;   in Loop: Header=BB635_104 Depth=2
	s_wait_alu 0xfffe
	s_or_b32 exec_lo, exec_lo, s15
	v_lshrrev_b32_e32 v36, s31, v2
	; wave barrier
	s_delay_alu instid0(VALU_DEP_1) | instskip(NEXT) | instid1(VALU_DEP_1)
	v_and_b32_e32 v37, s48, v36
	v_and_b32_e32 v36, 1, v37
	v_lshlrev_b32_e32 v38, 30, v37
	v_lshlrev_b32_e32 v39, 29, v37
	;; [unrolled: 1-line block ×4, first 2 shown]
	v_add_co_u32 v36, s15, v36, -1
	s_wait_alu 0xf1ff
	v_cndmask_b32_e64 v41, 0, 1, s15
	v_not_b32_e32 v196, v38
	v_cmp_gt_i32_e64 s15, 0, v38
	v_not_b32_e32 v38, v39
	v_lshlrev_b32_e32 v43, 26, v37
	v_cmp_ne_u32_e32 vcc_lo, 0, v41
	v_ashrrev_i32_e32 v196, 31, v196
	v_lshlrev_b32_e32 v195, 25, v37
	v_ashrrev_i32_e32 v38, 31, v38
	v_lshlrev_b32_e32 v41, 24, v37
	s_wait_alu 0xfffd
	v_xor_b32_e32 v36, vcc_lo, v36
	v_cmp_gt_i32_e32 vcc_lo, 0, v39
	v_not_b32_e32 v39, v40
	s_wait_alu 0xf1ff
	v_xor_b32_e32 v196, s15, v196
	v_cmp_gt_i32_e64 s15, 0, v40
	v_and_b32_e32 v36, exec_lo, v36
	v_not_b32_e32 v40, v42
	v_ashrrev_i32_e32 v39, 31, v39
	s_wait_alu 0xfffd
	v_xor_b32_e32 v38, vcc_lo, v38
	v_cmp_gt_i32_e32 vcc_lo, 0, v42
	v_and_b32_e32 v36, v36, v196
	v_not_b32_e32 v42, v43
	v_ashrrev_i32_e32 v40, 31, v40
	s_wait_alu 0xf1ff
	v_xor_b32_e32 v39, s15, v39
	v_cmp_gt_i32_e64 s15, 0, v43
	v_and_b32_e32 v36, v36, v38
	v_not_b32_e32 v38, v195
	v_ashrrev_i32_e32 v42, 31, v42
	s_wait_alu 0xfffd
	v_xor_b32_e32 v40, vcc_lo, v40
	v_cmp_gt_i32_e32 vcc_lo, 0, v195
	v_and_b32_e32 v36, v36, v39
	v_not_b32_e32 v39, v41
	v_ashrrev_i32_e32 v38, 31, v38
	s_wait_alu 0xf1ff
	v_xor_b32_e32 v42, s15, v42
	v_cmp_gt_i32_e64 s15, 0, v41
	v_and_b32_e32 v36, v36, v40
	v_ashrrev_i32_e32 v39, 31, v39
	s_wait_alu 0xfffd
	v_xor_b32_e32 v38, vcc_lo, v38
	v_mad_u32_u24 v40, v37, 36, v114
	v_mul_u32_u24_e32 v37, 36, v37
	v_and_b32_e32 v36, v36, v42
	s_wait_alu 0xf1ff
	v_xor_b32_e32 v39, s15, v39
	ds_load_b32 v195, v40 offset:1056
	v_add_nc_u32_e32 v197, v114, v37
	v_and_b32_e32 v36, v36, v38
	; wave barrier
	s_delay_alu instid0(VALU_DEP_1) | instskip(NEXT) | instid1(VALU_DEP_1)
	v_and_b32_e32 v36, v36, v39
	v_mbcnt_lo_u32_b32 v196, v36, 0
	v_cmp_ne_u32_e64 s15, 0, v36
	s_delay_alu instid0(VALU_DEP_2)
	v_cmp_eq_u32_e32 vcc_lo, 0, v196
	s_and_b32 s16, s15, vcc_lo
	s_wait_alu 0xfffe
	s_and_saveexec_b32 s15, s16
	s_cbranch_execz .LBB635_172
; %bb.171:                              ;   in Loop: Header=BB635_104 Depth=2
	s_wait_dscnt 0x0
	v_bcnt_u32_b32 v36, v36, v195
	ds_store_b32 v197, v36 offset:1056
.LBB635_172:                            ;   in Loop: Header=BB635_104 Depth=2
	s_wait_alu 0xfffe
	s_or_b32 exec_lo, exec_lo, s15
	; wave barrier
	s_wait_loadcnt_dscnt 0x0
	s_barrier_signal -1
	s_barrier_wait -1
	global_inv scope:SCOPE_SE
	ds_load_2addr_b32 v[42:43], v136 offset1:1
	ds_load_2addr_b32 v[40:41], v137 offset1:1
	;; [unrolled: 1-line block ×4, first 2 shown]
	ds_load_b32 v198, v67 offset:1088
	s_wait_dscnt 0x3
	v_add3_u32 v199, v43, v42, v40
	s_wait_dscnt 0x2
	s_delay_alu instid0(VALU_DEP_1) | instskip(SKIP_1) | instid1(VALU_DEP_1)
	v_add3_u32 v199, v199, v41, v38
	s_wait_dscnt 0x1
	v_add3_u32 v199, v199, v39, v36
	s_wait_dscnt 0x0
	s_delay_alu instid0(VALU_DEP_1) | instskip(NEXT) | instid1(VALU_DEP_1)
	v_add3_u32 v198, v199, v37, v198
	v_mov_b32_dpp v199, v198 row_shr:1 row_mask:0xf bank_mask:0xf
	s_delay_alu instid0(VALU_DEP_1) | instskip(NEXT) | instid1(VALU_DEP_1)
	v_cndmask_b32_e64 v199, v199, 0, s0
	v_add_nc_u32_e32 v198, v199, v198
	s_delay_alu instid0(VALU_DEP_1) | instskip(NEXT) | instid1(VALU_DEP_1)
	v_mov_b32_dpp v199, v198 row_shr:2 row_mask:0xf bank_mask:0xf
	v_cndmask_b32_e64 v199, 0, v199, s1
	s_delay_alu instid0(VALU_DEP_1) | instskip(NEXT) | instid1(VALU_DEP_1)
	v_add_nc_u32_e32 v198, v198, v199
	v_mov_b32_dpp v199, v198 row_shr:4 row_mask:0xf bank_mask:0xf
	s_delay_alu instid0(VALU_DEP_1) | instskip(NEXT) | instid1(VALU_DEP_1)
	v_cndmask_b32_e64 v199, 0, v199, s9
	v_add_nc_u32_e32 v198, v198, v199
	s_delay_alu instid0(VALU_DEP_1) | instskip(NEXT) | instid1(VALU_DEP_1)
	v_mov_b32_dpp v199, v198 row_shr:8 row_mask:0xf bank_mask:0xf
	v_cndmask_b32_e64 v199, 0, v199, s10
	s_delay_alu instid0(VALU_DEP_1) | instskip(SKIP_3) | instid1(VALU_DEP_1)
	v_add_nc_u32_e32 v198, v198, v199
	ds_swizzle_b32 v199, v198 offset:swizzle(BROADCAST,32,15)
	s_wait_dscnt 0x0
	v_cndmask_b32_e64 v199, v199, 0, s11
	v_add_nc_u32_e32 v198, v198, v199
	s_and_saveexec_b32 s15, s3
; %bb.173:                              ;   in Loop: Header=BB635_104 Depth=2
	ds_store_b32 v63, v198 offset:1024
; %bb.174:                              ;   in Loop: Header=BB635_104 Depth=2
	s_wait_alu 0xfffe
	s_or_b32 exec_lo, exec_lo, s15
	s_wait_loadcnt_dscnt 0x0
	s_barrier_signal -1
	s_barrier_wait -1
	global_inv scope:SCOPE_SE
	s_and_saveexec_b32 s15, s4
	s_cbranch_execz .LBB635_176
; %bb.175:                              ;   in Loop: Header=BB635_104 Depth=2
	ds_load_b32 v199, v70 offset:1024
	s_wait_dscnt 0x0
	v_mov_b32_dpp v200, v199 row_shr:1 row_mask:0xf bank_mask:0xf
	s_delay_alu instid0(VALU_DEP_1) | instskip(NEXT) | instid1(VALU_DEP_1)
	v_cndmask_b32_e64 v200, v200, 0, s12
	v_add_nc_u32_e32 v199, v200, v199
	s_delay_alu instid0(VALU_DEP_1) | instskip(NEXT) | instid1(VALU_DEP_1)
	v_mov_b32_dpp v200, v199 row_shr:2 row_mask:0xf bank_mask:0xf
	v_cndmask_b32_e64 v200, 0, v200, s13
	s_delay_alu instid0(VALU_DEP_1) | instskip(NEXT) | instid1(VALU_DEP_1)
	v_add_nc_u32_e32 v199, v199, v200
	v_mov_b32_dpp v200, v199 row_shr:4 row_mask:0xf bank_mask:0xf
	s_delay_alu instid0(VALU_DEP_1) | instskip(NEXT) | instid1(VALU_DEP_1)
	v_cndmask_b32_e64 v200, 0, v200, s14
	v_add_nc_u32_e32 v199, v199, v200
	ds_store_b32 v70, v199 offset:1024
.LBB635_176:                            ;   in Loop: Header=BB635_104 Depth=2
	s_wait_alu 0xfffe
	s_or_b32 exec_lo, exec_lo, s15
	v_mov_b32_e32 v199, 0
	s_wait_loadcnt_dscnt 0x0
	s_barrier_signal -1
	s_barrier_wait -1
	global_inv scope:SCOPE_SE
	s_and_saveexec_b32 s15, s5
; %bb.177:                              ;   in Loop: Header=BB635_104 Depth=2
	ds_load_b32 v199, v63 offset:1020
; %bb.178:                              ;   in Loop: Header=BB635_104 Depth=2
	s_wait_alu 0xfffe
	s_or_b32 exec_lo, exec_lo, s15
	s_wait_dscnt 0x0
	v_add_nc_u32_e32 v198, v199, v198
	ds_bpermute_b32 v198, v113, v198
	s_wait_dscnt 0x0
	v_cndmask_b32_e64 v198, v198, v199, s8
	s_delay_alu instid0(VALU_DEP_1) | instskip(NEXT) | instid1(VALU_DEP_1)
	v_cndmask_b32_e64 v198, v198, 0, s6
	v_add_nc_u32_e32 v42, v198, v42
	s_delay_alu instid0(VALU_DEP_1) | instskip(NEXT) | instid1(VALU_DEP_1)
	v_add_nc_u32_e32 v43, v42, v43
	v_add_nc_u32_e32 v40, v43, v40
	s_delay_alu instid0(VALU_DEP_1) | instskip(NEXT) | instid1(VALU_DEP_1)
	v_add_nc_u32_e32 v41, v40, v41
	;; [unrolled: 3-line block ×3, first 2 shown]
	v_add_nc_u32_e32 v36, v39, v36
	s_delay_alu instid0(VALU_DEP_1)
	v_add_nc_u32_e32 v37, v36, v37
	ds_store_2addr_b32 v135, v39, v36 offset1:1
	ds_store_2addr_b32 v136, v198, v42 offset1:1
	;; [unrolled: 1-line block ×4, first 2 shown]
	ds_store_b32 v67, v37 offset:1088
	s_wait_loadcnt_dscnt 0x0
	s_barrier_signal -1
	s_barrier_wait -1
	global_inv scope:SCOPE_SE
	ds_load_b32 v39, v139 offset:1056
	ds_load_b32 v41, v143 offset:1056
	;; [unrolled: 1-line block ×17, first 2 shown]
	v_mov_b32_e32 v38, 0x1000
	s_and_saveexec_b32 s15, s7
; %bb.179:                              ;   in Loop: Header=BB635_104 Depth=2
	ds_load_b32 v38, v67 offset:1092
; %bb.180:                              ;   in Loop: Header=BB635_104 Depth=2
	s_wait_alu 0xfffe
	s_or_b32 exec_lo, exec_lo, s15
	s_wait_loadcnt_dscnt 0x0
	s_barrier_signal -1
	s_barrier_wait -1
	global_inv scope:SCOPE_SE
	s_and_saveexec_b32 s15, s2
	s_cbranch_execz .LBB635_182
; %bb.181:                              ;   in Loop: Header=BB635_104 Depth=2
	ds_load_b32 v139, v44
	s_wait_dscnt 0x0
	v_sub_nc_u32_e32 v138, v139, v138
	ds_store_b32 v44, v138
.LBB635_182:                            ;   in Loop: Header=BB635_104 Depth=2
	s_wait_alu 0xfffe
	s_or_b32 exec_lo, exec_lo, s15
	v_add_nc_u32_e32 v151, v39, v134
	v_add3_u32 v147, v142, v141, v41
	v_add3_u32 v143, v146, v145, v42
	;; [unrolled: 1-line block ×4, first 2 shown]
	v_lshlrev_b32_e32 v145, 2, v151
	v_add3_u32 v139, v158, v157, v136
	v_add3_u32 v138, v162, v161, v137
	;; [unrolled: 1-line block ×3, first 2 shown]
	v_lshlrev_b32_e32 v36, 2, v147
	v_add3_u32 v137, v166, v165, v159
	v_add3_u32 v42, v190, v189, v37
	v_lshlrev_b32_e32 v37, 2, v143
	v_add3_u32 v136, v170, v169, v164
	ds_store_b32 v145, v132 offset:1024
	v_lshlrev_b32_e32 v132, 2, v142
	v_add3_u32 v135, v174, v173, v167
	v_lshlrev_b32_e32 v145, 2, v141
	v_add3_u32 v134, v178, v177, v171
	;; [unrolled: 2-line block ×3, first 2 shown]
	ds_store_b32 v36, v133 offset:1024
	ds_store_b32 v37, v140 offset:1024
	ds_store_b32 v132, v144 offset:1024
	ds_store_b32 v145, v148 offset:1024
	ds_store_b32 v146, v152 offset:1024
	v_lshlrev_b32_e32 v36, 2, v138
	v_lshlrev_b32_e32 v37, 2, v137
	;; [unrolled: 1-line block ×3, first 2 shown]
	v_add3_u32 v41, v193, v192, v40
	v_lshlrev_b32_e32 v133, 2, v135
	v_add3_u32 v40, v196, v195, v155
	v_lshlrev_b32_e32 v140, 2, v134
	ds_store_b32 v36, v156 offset:1024
	ds_store_b32 v37, v160 offset:1024
	;; [unrolled: 1-line block ×5, first 2 shown]
	v_lshlrev_b32_e32 v36, 2, v39
	v_cmp_lt_u32_e32 vcc_lo, v1, v131
	v_lshlrev_b32_e32 v37, 2, v43
	v_lshlrev_b32_e32 v132, 2, v42
	;; [unrolled: 1-line block ×4, first 2 shown]
	ds_store_b32 v36, v176 offset:1024
	ds_store_b32 v37, v180 offset:1024
	;; [unrolled: 1-line block ×5, first 2 shown]
	s_wait_loadcnt_dscnt 0x0
	s_barrier_signal -1
	s_barrier_wait -1
	global_inv scope:SCOPE_SE
	s_and_saveexec_b32 s16, vcc_lo
	s_cbranch_execnz .LBB635_251
; %bb.183:                              ;   in Loop: Header=BB635_104 Depth=2
	s_wait_alu 0xfffe
	s_or_b32 exec_lo, exec_lo, s16
	v_cmp_lt_u32_e64 s15, v45, v131
	s_and_saveexec_b32 s17, s15
	s_cbranch_execnz .LBB635_252
.LBB635_184:                            ;   in Loop: Header=BB635_104 Depth=2
	s_wait_alu 0xfffe
	s_or_b32 exec_lo, exec_lo, s17
	v_cmp_lt_u32_e64 s16, v46, v131
	s_and_saveexec_b32 s18, s16
	s_cbranch_execnz .LBB635_253
.LBB635_185:                            ;   in Loop: Header=BB635_104 Depth=2
	s_wait_alu 0xfffe
	s_or_b32 exec_lo, exec_lo, s18
	v_cmp_lt_u32_e64 s17, v47, v131
	s_and_saveexec_b32 s19, s17
	s_cbranch_execnz .LBB635_254
.LBB635_186:                            ;   in Loop: Header=BB635_104 Depth=2
	s_wait_alu 0xfffe
	s_or_b32 exec_lo, exec_lo, s19
	v_cmp_lt_u32_e64 s18, v50, v131
	s_and_saveexec_b32 s20, s18
	s_cbranch_execnz .LBB635_255
.LBB635_187:                            ;   in Loop: Header=BB635_104 Depth=2
	s_wait_alu 0xfffe
	s_or_b32 exec_lo, exec_lo, s20
	v_cmp_lt_u32_e64 s19, v51, v131
	s_and_saveexec_b32 s21, s19
	s_cbranch_execnz .LBB635_256
.LBB635_188:                            ;   in Loop: Header=BB635_104 Depth=2
	s_wait_alu 0xfffe
	s_or_b32 exec_lo, exec_lo, s21
	v_cmp_lt_u32_e64 s20, v52, v131
	s_and_saveexec_b32 s22, s20
	s_cbranch_execnz .LBB635_257
.LBB635_189:                            ;   in Loop: Header=BB635_104 Depth=2
	s_wait_alu 0xfffe
	s_or_b32 exec_lo, exec_lo, s22
	v_cmp_lt_u32_e64 s21, v53, v131
	s_and_saveexec_b32 s23, s21
	s_cbranch_execnz .LBB635_258
.LBB635_190:                            ;   in Loop: Header=BB635_104 Depth=2
	s_wait_alu 0xfffe
	s_or_b32 exec_lo, exec_lo, s23
	v_cmp_lt_u32_e64 s22, v54, v131
	s_and_saveexec_b32 s24, s22
	s_cbranch_execnz .LBB635_259
.LBB635_191:                            ;   in Loop: Header=BB635_104 Depth=2
	s_wait_alu 0xfffe
	s_or_b32 exec_lo, exec_lo, s24
	v_cmp_lt_u32_e64 s23, v55, v131
	s_and_saveexec_b32 s25, s23
	s_cbranch_execnz .LBB635_260
.LBB635_192:                            ;   in Loop: Header=BB635_104 Depth=2
	s_wait_alu 0xfffe
	s_or_b32 exec_lo, exec_lo, s25
	v_cmp_lt_u32_e64 s24, v56, v131
	s_and_saveexec_b32 s26, s24
	s_cbranch_execnz .LBB635_261
.LBB635_193:                            ;   in Loop: Header=BB635_104 Depth=2
	s_wait_alu 0xfffe
	s_or_b32 exec_lo, exec_lo, s26
	v_cmp_lt_u32_e64 s25, v57, v131
	s_and_saveexec_b32 s27, s25
	s_cbranch_execnz .LBB635_262
.LBB635_194:                            ;   in Loop: Header=BB635_104 Depth=2
	s_wait_alu 0xfffe
	s_or_b32 exec_lo, exec_lo, s27
	v_cmp_lt_u32_e64 s26, v58, v131
	s_and_saveexec_b32 s28, s26
	s_cbranch_execnz .LBB635_263
.LBB635_195:                            ;   in Loop: Header=BB635_104 Depth=2
	s_wait_alu 0xfffe
	s_or_b32 exec_lo, exec_lo, s28
	v_cmp_lt_u32_e64 s27, v59, v131
	s_and_saveexec_b32 s29, s27
	s_cbranch_execnz .LBB635_264
.LBB635_196:                            ;   in Loop: Header=BB635_104 Depth=2
	s_wait_alu 0xfffe
	s_or_b32 exec_lo, exec_lo, s29
	v_cmp_lt_u32_e64 s28, v60, v131
	s_and_saveexec_b32 s30, s28
	s_cbranch_execnz .LBB635_265
.LBB635_197:                            ;   in Loop: Header=BB635_104 Depth=2
	s_wait_alu 0xfffe
	s_or_b32 exec_lo, exec_lo, s30
	v_cmp_lt_u32_e64 s29, v61, v131
	s_and_saveexec_b32 s56, s29
	s_cbranch_execz .LBB635_199
.LBB635_198:                            ;   in Loop: Header=BB635_104 Depth=2
	ds_load_b32 v132, v70 offset:16384
	s_wait_dscnt 0x0
	v_lshrrev_b32_e32 v2, s31, v132
	s_delay_alu instid0(VALU_DEP_1) | instskip(NEXT) | instid1(VALU_DEP_1)
	v_and_b32_e32 v2, s48, v2
	v_lshlrev_b32_e32 v2, 2, v2
	ds_load_b32 v2, v2
	s_wait_dscnt 0x0
	v_add_nc_u32_e32 v2, v2, v61
	s_delay_alu instid0(VALU_DEP_1) | instskip(SKIP_1) | instid1(VALU_DEP_2)
	v_lshlrev_b64_e32 v[36:37], 2, v[2:3]
	v_xor_b32_e32 v2, 0x80000000, v132
	v_add_co_u32 v36, s30, s38, v36
	s_wait_alu 0xf1ff
	s_delay_alu instid0(VALU_DEP_3)
	v_add_co_ci_u32_e64 v37, null, s39, v37, s30
	global_store_b32 v[36:37], v2, off
.LBB635_199:                            ;   in Loop: Header=BB635_104 Depth=2
	s_wait_alu 0xfffe
	s_or_b32 exec_lo, exec_lo, s56
	s_lshl_b64 s[56:57], s[42:43], 3
	s_wait_alu 0xfffe
	v_add_co_u32 v36, s30, v109, s56
	s_wait_alu 0xf1ff
	v_add_co_ci_u32_e64 v37, null, s57, v110, s30
	v_cmp_lt_u32_e64 s30, v88, v131
	s_and_saveexec_b32 s42, s30
	s_wait_alu 0xfffe
	s_xor_b32 s30, exec_lo, s42
	s_cbranch_execnz .LBB635_266
; %bb.200:                              ;   in Loop: Header=BB635_104 Depth=2
	s_wait_alu 0xfffe
	s_or_b32 exec_lo, exec_lo, s30
	s_delay_alu instid0(SALU_CYCLE_1)
	s_mov_b32 s42, exec_lo
	v_cmpx_lt_u32_e64 v92, v131
	s_cbranch_execnz .LBB635_267
.LBB635_201:                            ;   in Loop: Header=BB635_104 Depth=2
	s_wait_alu 0xfffe
	s_or_b32 exec_lo, exec_lo, s42
	s_delay_alu instid0(SALU_CYCLE_1)
	s_mov_b32 s42, exec_lo
	v_cmpx_lt_u32_e64 v93, v131
	s_cbranch_execnz .LBB635_268
.LBB635_202:                            ;   in Loop: Header=BB635_104 Depth=2
	s_wait_alu 0xfffe
	s_or_b32 exec_lo, exec_lo, s42
	s_delay_alu instid0(SALU_CYCLE_1)
	s_mov_b32 s42, exec_lo
	v_cmpx_lt_u32_e64 v94, v131
	s_cbranch_execnz .LBB635_269
.LBB635_203:                            ;   in Loop: Header=BB635_104 Depth=2
	s_wait_alu 0xfffe
	s_or_b32 exec_lo, exec_lo, s42
	s_delay_alu instid0(SALU_CYCLE_1)
	s_mov_b32 s42, exec_lo
	v_cmpx_lt_u32_e64 v95, v131
	s_cbranch_execnz .LBB635_270
.LBB635_204:                            ;   in Loop: Header=BB635_104 Depth=2
	s_wait_alu 0xfffe
	s_or_b32 exec_lo, exec_lo, s42
	s_delay_alu instid0(SALU_CYCLE_1)
	s_mov_b32 s42, exec_lo
	v_cmpx_lt_u32_e64 v96, v131
	s_cbranch_execnz .LBB635_271
.LBB635_205:                            ;   in Loop: Header=BB635_104 Depth=2
	s_wait_alu 0xfffe
	s_or_b32 exec_lo, exec_lo, s42
	s_delay_alu instid0(SALU_CYCLE_1)
	s_mov_b32 s42, exec_lo
	v_cmpx_lt_u32_e64 v97, v131
	s_cbranch_execnz .LBB635_272
.LBB635_206:                            ;   in Loop: Header=BB635_104 Depth=2
	s_wait_alu 0xfffe
	s_or_b32 exec_lo, exec_lo, s42
	s_delay_alu instid0(SALU_CYCLE_1)
	s_mov_b32 s42, exec_lo
	v_cmpx_lt_u32_e64 v98, v131
	s_cbranch_execnz .LBB635_273
.LBB635_207:                            ;   in Loop: Header=BB635_104 Depth=2
	s_wait_alu 0xfffe
	s_or_b32 exec_lo, exec_lo, s42
	s_delay_alu instid0(SALU_CYCLE_1)
	s_mov_b32 s42, exec_lo
	v_cmpx_lt_u32_e64 v99, v131
	s_cbranch_execnz .LBB635_274
.LBB635_208:                            ;   in Loop: Header=BB635_104 Depth=2
	s_wait_alu 0xfffe
	s_or_b32 exec_lo, exec_lo, s42
	s_delay_alu instid0(SALU_CYCLE_1)
	s_mov_b32 s42, exec_lo
	v_cmpx_lt_u32_e64 v100, v131
	s_cbranch_execnz .LBB635_275
.LBB635_209:                            ;   in Loop: Header=BB635_104 Depth=2
	s_wait_alu 0xfffe
	s_or_b32 exec_lo, exec_lo, s42
	s_delay_alu instid0(SALU_CYCLE_1)
	s_mov_b32 s42, exec_lo
	v_cmpx_lt_u32_e64 v101, v131
	s_cbranch_execnz .LBB635_276
.LBB635_210:                            ;   in Loop: Header=BB635_104 Depth=2
	s_wait_alu 0xfffe
	s_or_b32 exec_lo, exec_lo, s42
	s_delay_alu instid0(SALU_CYCLE_1)
	s_mov_b32 s42, exec_lo
	v_cmpx_lt_u32_e64 v102, v131
	s_cbranch_execnz .LBB635_277
.LBB635_211:                            ;   in Loop: Header=BB635_104 Depth=2
	s_wait_alu 0xfffe
	s_or_b32 exec_lo, exec_lo, s42
	s_delay_alu instid0(SALU_CYCLE_1)
	s_mov_b32 s42, exec_lo
	v_cmpx_lt_u32_e64 v103, v131
	s_cbranch_execnz .LBB635_278
.LBB635_212:                            ;   in Loop: Header=BB635_104 Depth=2
	s_wait_alu 0xfffe
	s_or_b32 exec_lo, exec_lo, s42
	s_delay_alu instid0(SALU_CYCLE_1)
	s_mov_b32 s42, exec_lo
	v_cmpx_lt_u32_e64 v104, v131
	s_cbranch_execnz .LBB635_279
.LBB635_213:                            ;   in Loop: Header=BB635_104 Depth=2
	s_wait_alu 0xfffe
	s_or_b32 exec_lo, exec_lo, s42
	s_delay_alu instid0(SALU_CYCLE_1)
	s_mov_b32 s42, exec_lo
	v_cmpx_lt_u32_e64 v105, v131
	s_cbranch_execnz .LBB635_280
.LBB635_214:                            ;   in Loop: Header=BB635_104 Depth=2
	s_wait_alu 0xfffe
	s_or_b32 exec_lo, exec_lo, s42
	s_delay_alu instid0(SALU_CYCLE_1)
	s_mov_b32 s42, exec_lo
	v_cmpx_lt_u32_e64 v106, v131
	s_cbranch_execnz .LBB635_281
.LBB635_215:                            ;   in Loop: Header=BB635_104 Depth=2
	s_wait_alu 0xfffe
	s_or_b32 exec_lo, exec_lo, s42
	s_and_saveexec_b32 s30, vcc_lo
	s_cbranch_execnz .LBB635_282
.LBB635_216:                            ;   in Loop: Header=BB635_104 Depth=2
	s_wait_alu 0xfffe
	s_or_b32 exec_lo, exec_lo, s30
	s_and_saveexec_b32 s30, s15
	s_cbranch_execnz .LBB635_283
.LBB635_217:                            ;   in Loop: Header=BB635_104 Depth=2
	s_wait_alu 0xfffe
	s_or_b32 exec_lo, exec_lo, s30
	s_and_saveexec_b32 s30, s16
	s_cbranch_execnz .LBB635_284
.LBB635_218:                            ;   in Loop: Header=BB635_104 Depth=2
	s_wait_alu 0xfffe
	s_or_b32 exec_lo, exec_lo, s30
	s_and_saveexec_b32 s30, s17
	s_cbranch_execnz .LBB635_285
.LBB635_219:                            ;   in Loop: Header=BB635_104 Depth=2
	s_wait_alu 0xfffe
	s_or_b32 exec_lo, exec_lo, s30
	s_and_saveexec_b32 s30, s18
	s_cbranch_execnz .LBB635_286
.LBB635_220:                            ;   in Loop: Header=BB635_104 Depth=2
	s_wait_alu 0xfffe
	s_or_b32 exec_lo, exec_lo, s30
	s_and_saveexec_b32 s30, s19
	s_cbranch_execnz .LBB635_287
.LBB635_221:                            ;   in Loop: Header=BB635_104 Depth=2
	s_wait_alu 0xfffe
	s_or_b32 exec_lo, exec_lo, s30
	s_and_saveexec_b32 s30, s20
	s_cbranch_execnz .LBB635_288
.LBB635_222:                            ;   in Loop: Header=BB635_104 Depth=2
	s_wait_alu 0xfffe
	s_or_b32 exec_lo, exec_lo, s30
	s_and_saveexec_b32 s30, s21
	s_cbranch_execnz .LBB635_289
.LBB635_223:                            ;   in Loop: Header=BB635_104 Depth=2
	s_wait_alu 0xfffe
	s_or_b32 exec_lo, exec_lo, s30
	s_and_saveexec_b32 s30, s22
	s_cbranch_execnz .LBB635_290
.LBB635_224:                            ;   in Loop: Header=BB635_104 Depth=2
	s_wait_alu 0xfffe
	s_or_b32 exec_lo, exec_lo, s30
	s_and_saveexec_b32 s30, s23
	s_cbranch_execnz .LBB635_291
.LBB635_225:                            ;   in Loop: Header=BB635_104 Depth=2
	s_wait_alu 0xfffe
	s_or_b32 exec_lo, exec_lo, s30
	s_and_saveexec_b32 s30, s24
	s_cbranch_execnz .LBB635_292
.LBB635_226:                            ;   in Loop: Header=BB635_104 Depth=2
	s_wait_alu 0xfffe
	s_or_b32 exec_lo, exec_lo, s30
	s_and_saveexec_b32 s30, s25
	s_cbranch_execnz .LBB635_293
.LBB635_227:                            ;   in Loop: Header=BB635_104 Depth=2
	s_wait_alu 0xfffe
	s_or_b32 exec_lo, exec_lo, s30
	s_and_saveexec_b32 s30, s26
	s_cbranch_execnz .LBB635_294
.LBB635_228:                            ;   in Loop: Header=BB635_104 Depth=2
	s_wait_alu 0xfffe
	s_or_b32 exec_lo, exec_lo, s30
	s_and_saveexec_b32 s30, s27
	s_cbranch_execnz .LBB635_295
.LBB635_229:                            ;   in Loop: Header=BB635_104 Depth=2
	s_wait_alu 0xfffe
	s_or_b32 exec_lo, exec_lo, s30
	s_and_saveexec_b32 s30, s28
	s_cbranch_execnz .LBB635_296
.LBB635_230:                            ;   in Loop: Header=BB635_104 Depth=2
	s_wait_alu 0xfffe
	s_or_b32 exec_lo, exec_lo, s30
	s_and_saveexec_b32 s30, s29
	s_cbranch_execz .LBB635_232
.LBB635_231:                            ;   in Loop: Header=BB635_104 Depth=2
	ds_load_b32 v2, v70 offset:16384
	s_wait_dscnt 0x0
	v_lshrrev_b32_e32 v2, s31, v2
	s_delay_alu instid0(VALU_DEP_1)
	v_and_b32_e32 v115, s48, v2
.LBB635_232:                            ;   in Loop: Header=BB635_104 Depth=2
	s_wait_alu 0xfffe
	s_or_b32 exec_lo, exec_lo, s30
	v_lshlrev_b32_e32 v2, 3, v151
	s_wait_loadcnt 0x0
	s_wait_storecnt 0x0
	s_barrier_signal -1
	s_barrier_wait -1
	global_inv scope:SCOPE_SE
	ds_store_b64 v2, v[34:35] offset:1024
	v_lshlrev_b32_e32 v2, 3, v147
	v_lshlrev_b32_e32 v36, 3, v143
	v_lshlrev_b32_e32 v37, 3, v142
	v_lshlrev_b32_e32 v131, 3, v141
	v_lshlrev_b32_e32 v132, 3, v139
	ds_store_b64 v2, v[32:33] offset:1024
	ds_store_b64 v36, v[30:31] offset:1024
	ds_store_b64 v37, v[28:29] offset:1024
	ds_store_b64 v131, v[26:27] offset:1024
	ds_store_b64 v132, v[24:25] offset:1024
	v_lshlrev_b32_e32 v2, 3, v138
	v_lshlrev_b32_e32 v36, 3, v137
	v_lshlrev_b32_e32 v37, 3, v136
	v_lshlrev_b32_e32 v131, 3, v135
	v_lshlrev_b32_e32 v132, 3, v134
	ds_store_b64 v2, v[22:23] offset:1024
	ds_store_b64 v36, v[20:21] offset:1024
	ds_store_b64 v37, v[18:19] offset:1024
	ds_store_b64 v131, v[16:17] offset:1024
	;; [unrolled: 10-line block ×3, first 2 shown]
	ds_store_b64 v40, v[4:5] offset:1024
	s_wait_loadcnt_dscnt 0x0
	s_barrier_signal -1
	s_barrier_wait -1
	global_inv scope:SCOPE_SE
	s_and_saveexec_b32 s30, vcc_lo
	s_cbranch_execnz .LBB635_297
; %bb.233:                              ;   in Loop: Header=BB635_104 Depth=2
	s_wait_alu 0xfffe
	s_or_b32 exec_lo, exec_lo, s30
	s_and_saveexec_b32 s30, s15
	s_cbranch_execnz .LBB635_298
.LBB635_234:                            ;   in Loop: Header=BB635_104 Depth=2
	s_wait_alu 0xfffe
	s_or_b32 exec_lo, exec_lo, s30
	s_and_saveexec_b32 s15, s16
	s_cbranch_execnz .LBB635_299
.LBB635_235:                            ;   in Loop: Header=BB635_104 Depth=2
	s_wait_alu 0xfffe
	s_or_b32 exec_lo, exec_lo, s15
	s_and_saveexec_b32 s15, s17
	s_cbranch_execnz .LBB635_300
.LBB635_236:                            ;   in Loop: Header=BB635_104 Depth=2
	s_wait_alu 0xfffe
	s_or_b32 exec_lo, exec_lo, s15
	s_and_saveexec_b32 s15, s18
	s_cbranch_execnz .LBB635_301
.LBB635_237:                            ;   in Loop: Header=BB635_104 Depth=2
	s_wait_alu 0xfffe
	s_or_b32 exec_lo, exec_lo, s15
	s_and_saveexec_b32 s15, s19
	s_cbranch_execnz .LBB635_302
.LBB635_238:                            ;   in Loop: Header=BB635_104 Depth=2
	s_wait_alu 0xfffe
	s_or_b32 exec_lo, exec_lo, s15
	s_and_saveexec_b32 s15, s20
	s_cbranch_execnz .LBB635_303
.LBB635_239:                            ;   in Loop: Header=BB635_104 Depth=2
	s_wait_alu 0xfffe
	s_or_b32 exec_lo, exec_lo, s15
	s_and_saveexec_b32 s15, s21
	s_cbranch_execnz .LBB635_304
.LBB635_240:                            ;   in Loop: Header=BB635_104 Depth=2
	s_wait_alu 0xfffe
	s_or_b32 exec_lo, exec_lo, s15
	s_and_saveexec_b32 s15, s22
	s_cbranch_execnz .LBB635_305
.LBB635_241:                            ;   in Loop: Header=BB635_104 Depth=2
	s_wait_alu 0xfffe
	s_or_b32 exec_lo, exec_lo, s15
	s_and_saveexec_b32 s15, s23
	s_cbranch_execnz .LBB635_306
.LBB635_242:                            ;   in Loop: Header=BB635_104 Depth=2
	s_wait_alu 0xfffe
	s_or_b32 exec_lo, exec_lo, s15
	s_and_saveexec_b32 s15, s24
	s_cbranch_execnz .LBB635_307
.LBB635_243:                            ;   in Loop: Header=BB635_104 Depth=2
	s_wait_alu 0xfffe
	s_or_b32 exec_lo, exec_lo, s15
	s_and_saveexec_b32 s15, s25
	s_cbranch_execnz .LBB635_308
.LBB635_244:                            ;   in Loop: Header=BB635_104 Depth=2
	s_wait_alu 0xfffe
	s_or_b32 exec_lo, exec_lo, s15
	s_and_saveexec_b32 s15, s26
	s_cbranch_execnz .LBB635_309
.LBB635_245:                            ;   in Loop: Header=BB635_104 Depth=2
	s_wait_alu 0xfffe
	s_or_b32 exec_lo, exec_lo, s15
	s_and_saveexec_b32 s15, s27
	s_cbranch_execnz .LBB635_310
.LBB635_246:                            ;   in Loop: Header=BB635_104 Depth=2
	s_wait_alu 0xfffe
	s_or_b32 exec_lo, exec_lo, s15
	s_and_saveexec_b32 s15, s28
	s_cbranch_execnz .LBB635_311
.LBB635_247:                            ;   in Loop: Header=BB635_104 Depth=2
	s_wait_alu 0xfffe
	s_or_b32 exec_lo, exec_lo, s15
	s_and_saveexec_b32 s15, s29
	s_cbranch_execz .LBB635_249
.LBB635_248:                            ;   in Loop: Header=BB635_104 Depth=2
	v_lshlrev_b32_e32 v2, 2, v115
	v_add_nc_u32_e32 v36, v70, v44
	ds_load_b32 v2, v2
	ds_load_b64 v[36:37], v36 offset:31744
	s_wait_dscnt 0x1
	v_add_nc_u32_e32 v2, v2, v61
	s_delay_alu instid0(VALU_DEP_1) | instskip(NEXT) | instid1(VALU_DEP_1)
	v_lshlrev_b64_e32 v[39:40], 3, v[2:3]
	v_add_co_u32 v39, vcc_lo, s44, v39
	s_wait_alu 0xfffd
	s_delay_alu instid0(VALU_DEP_2)
	v_add_co_ci_u32_e64 v40, null, s45, v40, vcc_lo
	s_wait_dscnt 0x0
	global_store_b64 v[39:40], v[36:37], off
.LBB635_249:                            ;   in Loop: Header=BB635_104 Depth=2
	s_wait_alu 0xfffe
	s_or_b32 exec_lo, exec_lo, s15
	s_wait_loadcnt 0x0
	s_wait_storecnt 0x0
	s_barrier_signal -1
	s_barrier_wait -1
	global_inv scope:SCOPE_SE
	s_and_saveexec_b32 s15, s2
	s_cbranch_execz .LBB635_103
; %bb.250:                              ;   in Loop: Header=BB635_104 Depth=2
	ds_load_b32 v2, v44
	s_wait_dscnt 0x0
	v_add_nc_u32_e32 v2, v2, v38
	ds_store_b32 v44, v2
	s_branch .LBB635_103
.LBB635_251:                            ;   in Loop: Header=BB635_104 Depth=2
	ds_load_b32 v132, v70 offset:1024
	s_wait_dscnt 0x0
	v_lshrrev_b32_e32 v2, s31, v132
	s_delay_alu instid0(VALU_DEP_1) | instskip(NEXT) | instid1(VALU_DEP_1)
	v_and_b32_e32 v2, s48, v2
	v_lshlrev_b32_e32 v2, 2, v2
	ds_load_b32 v2, v2
	s_wait_dscnt 0x0
	v_add_nc_u32_e32 v2, v2, v1
	s_delay_alu instid0(VALU_DEP_1) | instskip(SKIP_1) | instid1(VALU_DEP_2)
	v_lshlrev_b64_e32 v[36:37], 2, v[2:3]
	v_xor_b32_e32 v2, 0x80000000, v132
	v_add_co_u32 v36, s15, s38, v36
	s_wait_alu 0xf1ff
	s_delay_alu instid0(VALU_DEP_3)
	v_add_co_ci_u32_e64 v37, null, s39, v37, s15
	global_store_b32 v[36:37], v2, off
	s_wait_alu 0xfffe
	s_or_b32 exec_lo, exec_lo, s16
	v_cmp_lt_u32_e64 s15, v45, v131
	s_and_saveexec_b32 s17, s15
	s_cbranch_execz .LBB635_184
.LBB635_252:                            ;   in Loop: Header=BB635_104 Depth=2
	ds_load_b32 v132, v70 offset:2048
	s_wait_dscnt 0x0
	v_lshrrev_b32_e32 v2, s31, v132
	s_delay_alu instid0(VALU_DEP_1) | instskip(NEXT) | instid1(VALU_DEP_1)
	v_and_b32_e32 v2, s48, v2
	v_lshlrev_b32_e32 v2, 2, v2
	ds_load_b32 v2, v2
	s_wait_dscnt 0x0
	v_add_nc_u32_e32 v2, v2, v45
	s_delay_alu instid0(VALU_DEP_1) | instskip(SKIP_1) | instid1(VALU_DEP_2)
	v_lshlrev_b64_e32 v[36:37], 2, v[2:3]
	v_xor_b32_e32 v2, 0x80000000, v132
	v_add_co_u32 v36, s16, s38, v36
	s_wait_alu 0xf1ff
	s_delay_alu instid0(VALU_DEP_3)
	v_add_co_ci_u32_e64 v37, null, s39, v37, s16
	global_store_b32 v[36:37], v2, off
	s_wait_alu 0xfffe
	s_or_b32 exec_lo, exec_lo, s17
	v_cmp_lt_u32_e64 s16, v46, v131
	s_and_saveexec_b32 s18, s16
	s_cbranch_execz .LBB635_185
.LBB635_253:                            ;   in Loop: Header=BB635_104 Depth=2
	ds_load_b32 v132, v70 offset:3072
	s_wait_dscnt 0x0
	v_lshrrev_b32_e32 v2, s31, v132
	s_delay_alu instid0(VALU_DEP_1) | instskip(NEXT) | instid1(VALU_DEP_1)
	v_and_b32_e32 v2, s48, v2
	v_lshlrev_b32_e32 v2, 2, v2
	ds_load_b32 v2, v2
	s_wait_dscnt 0x0
	v_add_nc_u32_e32 v2, v2, v46
	s_delay_alu instid0(VALU_DEP_1) | instskip(SKIP_1) | instid1(VALU_DEP_2)
	v_lshlrev_b64_e32 v[36:37], 2, v[2:3]
	v_xor_b32_e32 v2, 0x80000000, v132
	v_add_co_u32 v36, s17, s38, v36
	s_wait_alu 0xf1ff
	s_delay_alu instid0(VALU_DEP_3)
	v_add_co_ci_u32_e64 v37, null, s39, v37, s17
	global_store_b32 v[36:37], v2, off
	s_wait_alu 0xfffe
	s_or_b32 exec_lo, exec_lo, s18
	v_cmp_lt_u32_e64 s17, v47, v131
	s_and_saveexec_b32 s19, s17
	s_cbranch_execz .LBB635_186
.LBB635_254:                            ;   in Loop: Header=BB635_104 Depth=2
	ds_load_b32 v132, v70 offset:4096
	s_wait_dscnt 0x0
	v_lshrrev_b32_e32 v2, s31, v132
	s_delay_alu instid0(VALU_DEP_1) | instskip(NEXT) | instid1(VALU_DEP_1)
	v_and_b32_e32 v2, s48, v2
	v_lshlrev_b32_e32 v2, 2, v2
	ds_load_b32 v2, v2
	s_wait_dscnt 0x0
	v_add_nc_u32_e32 v2, v2, v47
	s_delay_alu instid0(VALU_DEP_1) | instskip(SKIP_1) | instid1(VALU_DEP_2)
	v_lshlrev_b64_e32 v[36:37], 2, v[2:3]
	v_xor_b32_e32 v2, 0x80000000, v132
	v_add_co_u32 v36, s18, s38, v36
	s_wait_alu 0xf1ff
	s_delay_alu instid0(VALU_DEP_3)
	v_add_co_ci_u32_e64 v37, null, s39, v37, s18
	global_store_b32 v[36:37], v2, off
	s_wait_alu 0xfffe
	s_or_b32 exec_lo, exec_lo, s19
	v_cmp_lt_u32_e64 s18, v50, v131
	s_and_saveexec_b32 s20, s18
	s_cbranch_execz .LBB635_187
.LBB635_255:                            ;   in Loop: Header=BB635_104 Depth=2
	ds_load_b32 v132, v70 offset:5120
	s_wait_dscnt 0x0
	v_lshrrev_b32_e32 v2, s31, v132
	s_delay_alu instid0(VALU_DEP_1) | instskip(NEXT) | instid1(VALU_DEP_1)
	v_and_b32_e32 v2, s48, v2
	v_lshlrev_b32_e32 v2, 2, v2
	ds_load_b32 v2, v2
	s_wait_dscnt 0x0
	v_add_nc_u32_e32 v2, v2, v50
	s_delay_alu instid0(VALU_DEP_1) | instskip(SKIP_1) | instid1(VALU_DEP_2)
	v_lshlrev_b64_e32 v[36:37], 2, v[2:3]
	v_xor_b32_e32 v2, 0x80000000, v132
	v_add_co_u32 v36, s19, s38, v36
	s_wait_alu 0xf1ff
	s_delay_alu instid0(VALU_DEP_3)
	v_add_co_ci_u32_e64 v37, null, s39, v37, s19
	global_store_b32 v[36:37], v2, off
	s_wait_alu 0xfffe
	s_or_b32 exec_lo, exec_lo, s20
	v_cmp_lt_u32_e64 s19, v51, v131
	s_and_saveexec_b32 s21, s19
	s_cbranch_execz .LBB635_188
.LBB635_256:                            ;   in Loop: Header=BB635_104 Depth=2
	ds_load_b32 v132, v70 offset:6144
	s_wait_dscnt 0x0
	v_lshrrev_b32_e32 v2, s31, v132
	s_delay_alu instid0(VALU_DEP_1) | instskip(NEXT) | instid1(VALU_DEP_1)
	v_and_b32_e32 v2, s48, v2
	v_lshlrev_b32_e32 v2, 2, v2
	ds_load_b32 v2, v2
	s_wait_dscnt 0x0
	v_add_nc_u32_e32 v2, v2, v51
	s_delay_alu instid0(VALU_DEP_1) | instskip(SKIP_1) | instid1(VALU_DEP_2)
	v_lshlrev_b64_e32 v[36:37], 2, v[2:3]
	v_xor_b32_e32 v2, 0x80000000, v132
	v_add_co_u32 v36, s20, s38, v36
	s_wait_alu 0xf1ff
	s_delay_alu instid0(VALU_DEP_3)
	v_add_co_ci_u32_e64 v37, null, s39, v37, s20
	global_store_b32 v[36:37], v2, off
	s_wait_alu 0xfffe
	s_or_b32 exec_lo, exec_lo, s21
	v_cmp_lt_u32_e64 s20, v52, v131
	s_and_saveexec_b32 s22, s20
	s_cbranch_execz .LBB635_189
.LBB635_257:                            ;   in Loop: Header=BB635_104 Depth=2
	ds_load_b32 v132, v70 offset:7168
	s_wait_dscnt 0x0
	v_lshrrev_b32_e32 v2, s31, v132
	s_delay_alu instid0(VALU_DEP_1) | instskip(NEXT) | instid1(VALU_DEP_1)
	v_and_b32_e32 v2, s48, v2
	v_lshlrev_b32_e32 v2, 2, v2
	ds_load_b32 v2, v2
	s_wait_dscnt 0x0
	v_add_nc_u32_e32 v2, v2, v52
	s_delay_alu instid0(VALU_DEP_1) | instskip(SKIP_1) | instid1(VALU_DEP_2)
	v_lshlrev_b64_e32 v[36:37], 2, v[2:3]
	v_xor_b32_e32 v2, 0x80000000, v132
	v_add_co_u32 v36, s21, s38, v36
	s_wait_alu 0xf1ff
	s_delay_alu instid0(VALU_DEP_3)
	v_add_co_ci_u32_e64 v37, null, s39, v37, s21
	global_store_b32 v[36:37], v2, off
	s_wait_alu 0xfffe
	s_or_b32 exec_lo, exec_lo, s22
	v_cmp_lt_u32_e64 s21, v53, v131
	s_and_saveexec_b32 s23, s21
	s_cbranch_execz .LBB635_190
.LBB635_258:                            ;   in Loop: Header=BB635_104 Depth=2
	ds_load_b32 v132, v70 offset:8192
	s_wait_dscnt 0x0
	v_lshrrev_b32_e32 v2, s31, v132
	s_delay_alu instid0(VALU_DEP_1) | instskip(NEXT) | instid1(VALU_DEP_1)
	v_and_b32_e32 v2, s48, v2
	v_lshlrev_b32_e32 v2, 2, v2
	ds_load_b32 v2, v2
	s_wait_dscnt 0x0
	v_add_nc_u32_e32 v2, v2, v53
	s_delay_alu instid0(VALU_DEP_1) | instskip(SKIP_1) | instid1(VALU_DEP_2)
	v_lshlrev_b64_e32 v[36:37], 2, v[2:3]
	v_xor_b32_e32 v2, 0x80000000, v132
	v_add_co_u32 v36, s22, s38, v36
	s_wait_alu 0xf1ff
	s_delay_alu instid0(VALU_DEP_3)
	v_add_co_ci_u32_e64 v37, null, s39, v37, s22
	global_store_b32 v[36:37], v2, off
	s_wait_alu 0xfffe
	s_or_b32 exec_lo, exec_lo, s23
	v_cmp_lt_u32_e64 s22, v54, v131
	s_and_saveexec_b32 s24, s22
	s_cbranch_execz .LBB635_191
.LBB635_259:                            ;   in Loop: Header=BB635_104 Depth=2
	ds_load_b32 v132, v70 offset:9216
	s_wait_dscnt 0x0
	v_lshrrev_b32_e32 v2, s31, v132
	s_delay_alu instid0(VALU_DEP_1) | instskip(NEXT) | instid1(VALU_DEP_1)
	v_and_b32_e32 v2, s48, v2
	v_lshlrev_b32_e32 v2, 2, v2
	ds_load_b32 v2, v2
	s_wait_dscnt 0x0
	v_add_nc_u32_e32 v2, v2, v54
	s_delay_alu instid0(VALU_DEP_1) | instskip(SKIP_1) | instid1(VALU_DEP_2)
	v_lshlrev_b64_e32 v[36:37], 2, v[2:3]
	v_xor_b32_e32 v2, 0x80000000, v132
	v_add_co_u32 v36, s23, s38, v36
	s_wait_alu 0xf1ff
	s_delay_alu instid0(VALU_DEP_3)
	v_add_co_ci_u32_e64 v37, null, s39, v37, s23
	global_store_b32 v[36:37], v2, off
	s_wait_alu 0xfffe
	s_or_b32 exec_lo, exec_lo, s24
	v_cmp_lt_u32_e64 s23, v55, v131
	s_and_saveexec_b32 s25, s23
	s_cbranch_execz .LBB635_192
.LBB635_260:                            ;   in Loop: Header=BB635_104 Depth=2
	ds_load_b32 v132, v70 offset:10240
	s_wait_dscnt 0x0
	v_lshrrev_b32_e32 v2, s31, v132
	s_delay_alu instid0(VALU_DEP_1) | instskip(NEXT) | instid1(VALU_DEP_1)
	v_and_b32_e32 v2, s48, v2
	v_lshlrev_b32_e32 v2, 2, v2
	ds_load_b32 v2, v2
	s_wait_dscnt 0x0
	v_add_nc_u32_e32 v2, v2, v55
	s_delay_alu instid0(VALU_DEP_1) | instskip(SKIP_1) | instid1(VALU_DEP_2)
	v_lshlrev_b64_e32 v[36:37], 2, v[2:3]
	v_xor_b32_e32 v2, 0x80000000, v132
	v_add_co_u32 v36, s24, s38, v36
	s_wait_alu 0xf1ff
	s_delay_alu instid0(VALU_DEP_3)
	v_add_co_ci_u32_e64 v37, null, s39, v37, s24
	global_store_b32 v[36:37], v2, off
	s_wait_alu 0xfffe
	s_or_b32 exec_lo, exec_lo, s25
	v_cmp_lt_u32_e64 s24, v56, v131
	s_and_saveexec_b32 s26, s24
	s_cbranch_execz .LBB635_193
.LBB635_261:                            ;   in Loop: Header=BB635_104 Depth=2
	ds_load_b32 v132, v70 offset:11264
	s_wait_dscnt 0x0
	v_lshrrev_b32_e32 v2, s31, v132
	s_delay_alu instid0(VALU_DEP_1) | instskip(NEXT) | instid1(VALU_DEP_1)
	v_and_b32_e32 v2, s48, v2
	v_lshlrev_b32_e32 v2, 2, v2
	ds_load_b32 v2, v2
	s_wait_dscnt 0x0
	v_add_nc_u32_e32 v2, v2, v56
	s_delay_alu instid0(VALU_DEP_1) | instskip(SKIP_1) | instid1(VALU_DEP_2)
	v_lshlrev_b64_e32 v[36:37], 2, v[2:3]
	v_xor_b32_e32 v2, 0x80000000, v132
	v_add_co_u32 v36, s25, s38, v36
	s_wait_alu 0xf1ff
	s_delay_alu instid0(VALU_DEP_3)
	v_add_co_ci_u32_e64 v37, null, s39, v37, s25
	global_store_b32 v[36:37], v2, off
	s_wait_alu 0xfffe
	s_or_b32 exec_lo, exec_lo, s26
	v_cmp_lt_u32_e64 s25, v57, v131
	s_and_saveexec_b32 s27, s25
	s_cbranch_execz .LBB635_194
.LBB635_262:                            ;   in Loop: Header=BB635_104 Depth=2
	ds_load_b32 v132, v70 offset:12288
	s_wait_dscnt 0x0
	v_lshrrev_b32_e32 v2, s31, v132
	s_delay_alu instid0(VALU_DEP_1) | instskip(NEXT) | instid1(VALU_DEP_1)
	v_and_b32_e32 v2, s48, v2
	v_lshlrev_b32_e32 v2, 2, v2
	ds_load_b32 v2, v2
	s_wait_dscnt 0x0
	v_add_nc_u32_e32 v2, v2, v57
	s_delay_alu instid0(VALU_DEP_1) | instskip(SKIP_1) | instid1(VALU_DEP_2)
	v_lshlrev_b64_e32 v[36:37], 2, v[2:3]
	v_xor_b32_e32 v2, 0x80000000, v132
	v_add_co_u32 v36, s26, s38, v36
	s_wait_alu 0xf1ff
	s_delay_alu instid0(VALU_DEP_3)
	v_add_co_ci_u32_e64 v37, null, s39, v37, s26
	global_store_b32 v[36:37], v2, off
	s_wait_alu 0xfffe
	s_or_b32 exec_lo, exec_lo, s27
	v_cmp_lt_u32_e64 s26, v58, v131
	s_and_saveexec_b32 s28, s26
	s_cbranch_execz .LBB635_195
.LBB635_263:                            ;   in Loop: Header=BB635_104 Depth=2
	ds_load_b32 v132, v70 offset:13312
	s_wait_dscnt 0x0
	v_lshrrev_b32_e32 v2, s31, v132
	s_delay_alu instid0(VALU_DEP_1) | instskip(NEXT) | instid1(VALU_DEP_1)
	v_and_b32_e32 v2, s48, v2
	v_lshlrev_b32_e32 v2, 2, v2
	ds_load_b32 v2, v2
	s_wait_dscnt 0x0
	v_add_nc_u32_e32 v2, v2, v58
	s_delay_alu instid0(VALU_DEP_1) | instskip(SKIP_1) | instid1(VALU_DEP_2)
	v_lshlrev_b64_e32 v[36:37], 2, v[2:3]
	v_xor_b32_e32 v2, 0x80000000, v132
	v_add_co_u32 v36, s27, s38, v36
	s_wait_alu 0xf1ff
	s_delay_alu instid0(VALU_DEP_3)
	v_add_co_ci_u32_e64 v37, null, s39, v37, s27
	global_store_b32 v[36:37], v2, off
	s_wait_alu 0xfffe
	s_or_b32 exec_lo, exec_lo, s28
	v_cmp_lt_u32_e64 s27, v59, v131
	s_and_saveexec_b32 s29, s27
	s_cbranch_execz .LBB635_196
.LBB635_264:                            ;   in Loop: Header=BB635_104 Depth=2
	ds_load_b32 v132, v70 offset:14336
	s_wait_dscnt 0x0
	v_lshrrev_b32_e32 v2, s31, v132
	s_delay_alu instid0(VALU_DEP_1) | instskip(NEXT) | instid1(VALU_DEP_1)
	v_and_b32_e32 v2, s48, v2
	v_lshlrev_b32_e32 v2, 2, v2
	ds_load_b32 v2, v2
	s_wait_dscnt 0x0
	v_add_nc_u32_e32 v2, v2, v59
	s_delay_alu instid0(VALU_DEP_1) | instskip(SKIP_1) | instid1(VALU_DEP_2)
	v_lshlrev_b64_e32 v[36:37], 2, v[2:3]
	v_xor_b32_e32 v2, 0x80000000, v132
	v_add_co_u32 v36, s28, s38, v36
	s_wait_alu 0xf1ff
	s_delay_alu instid0(VALU_DEP_3)
	v_add_co_ci_u32_e64 v37, null, s39, v37, s28
	global_store_b32 v[36:37], v2, off
	s_wait_alu 0xfffe
	s_or_b32 exec_lo, exec_lo, s29
	v_cmp_lt_u32_e64 s28, v60, v131
	s_and_saveexec_b32 s30, s28
	s_cbranch_execz .LBB635_197
.LBB635_265:                            ;   in Loop: Header=BB635_104 Depth=2
	ds_load_b32 v132, v70 offset:15360
	s_wait_dscnt 0x0
	v_lshrrev_b32_e32 v2, s31, v132
	s_delay_alu instid0(VALU_DEP_1) | instskip(NEXT) | instid1(VALU_DEP_1)
	v_and_b32_e32 v2, s48, v2
	v_lshlrev_b32_e32 v2, 2, v2
	ds_load_b32 v2, v2
	s_wait_dscnt 0x0
	v_add_nc_u32_e32 v2, v2, v60
	s_delay_alu instid0(VALU_DEP_1) | instskip(SKIP_1) | instid1(VALU_DEP_2)
	v_lshlrev_b64_e32 v[36:37], 2, v[2:3]
	v_xor_b32_e32 v2, 0x80000000, v132
	v_add_co_u32 v36, s29, s38, v36
	s_wait_alu 0xf1ff
	s_delay_alu instid0(VALU_DEP_3)
	v_add_co_ci_u32_e64 v37, null, s39, v37, s29
	global_store_b32 v[36:37], v2, off
	s_wait_alu 0xfffe
	s_or_b32 exec_lo, exec_lo, s30
	v_cmp_lt_u32_e64 s29, v61, v131
	s_and_saveexec_b32 s56, s29
	s_cbranch_execnz .LBB635_198
	s_branch .LBB635_199
.LBB635_266:                            ;   in Loop: Header=BB635_104 Depth=2
	global_load_b64 v[34:35], v[36:37], off
	s_wait_alu 0xfffe
	s_or_b32 exec_lo, exec_lo, s30
	s_delay_alu instid0(SALU_CYCLE_1)
	s_mov_b32 s42, exec_lo
	v_cmpx_lt_u32_e64 v92, v131
	s_cbranch_execz .LBB635_201
.LBB635_267:                            ;   in Loop: Header=BB635_104 Depth=2
	global_load_b64 v[32:33], v[36:37], off offset:256
	s_wait_alu 0xfffe
	s_or_b32 exec_lo, exec_lo, s42
	s_delay_alu instid0(SALU_CYCLE_1)
	s_mov_b32 s42, exec_lo
	v_cmpx_lt_u32_e64 v93, v131
	s_cbranch_execz .LBB635_202
.LBB635_268:                            ;   in Loop: Header=BB635_104 Depth=2
	global_load_b64 v[30:31], v[36:37], off offset:512
	s_wait_alu 0xfffe
	s_or_b32 exec_lo, exec_lo, s42
	s_delay_alu instid0(SALU_CYCLE_1)
	s_mov_b32 s42, exec_lo
	v_cmpx_lt_u32_e64 v94, v131
	s_cbranch_execz .LBB635_203
.LBB635_269:                            ;   in Loop: Header=BB635_104 Depth=2
	global_load_b64 v[28:29], v[36:37], off offset:768
	s_wait_alu 0xfffe
	s_or_b32 exec_lo, exec_lo, s42
	s_delay_alu instid0(SALU_CYCLE_1)
	s_mov_b32 s42, exec_lo
	v_cmpx_lt_u32_e64 v95, v131
	s_cbranch_execz .LBB635_204
.LBB635_270:                            ;   in Loop: Header=BB635_104 Depth=2
	global_load_b64 v[26:27], v[36:37], off offset:1024
	s_wait_alu 0xfffe
	s_or_b32 exec_lo, exec_lo, s42
	s_delay_alu instid0(SALU_CYCLE_1)
	s_mov_b32 s42, exec_lo
	v_cmpx_lt_u32_e64 v96, v131
	s_cbranch_execz .LBB635_205
.LBB635_271:                            ;   in Loop: Header=BB635_104 Depth=2
	global_load_b64 v[24:25], v[36:37], off offset:1280
	s_wait_alu 0xfffe
	s_or_b32 exec_lo, exec_lo, s42
	s_delay_alu instid0(SALU_CYCLE_1)
	s_mov_b32 s42, exec_lo
	v_cmpx_lt_u32_e64 v97, v131
	s_cbranch_execz .LBB635_206
.LBB635_272:                            ;   in Loop: Header=BB635_104 Depth=2
	global_load_b64 v[22:23], v[36:37], off offset:1536
	s_wait_alu 0xfffe
	s_or_b32 exec_lo, exec_lo, s42
	s_delay_alu instid0(SALU_CYCLE_1)
	s_mov_b32 s42, exec_lo
	v_cmpx_lt_u32_e64 v98, v131
	s_cbranch_execz .LBB635_207
.LBB635_273:                            ;   in Loop: Header=BB635_104 Depth=2
	global_load_b64 v[20:21], v[36:37], off offset:1792
	s_wait_alu 0xfffe
	s_or_b32 exec_lo, exec_lo, s42
	s_delay_alu instid0(SALU_CYCLE_1)
	s_mov_b32 s42, exec_lo
	v_cmpx_lt_u32_e64 v99, v131
	s_cbranch_execz .LBB635_208
.LBB635_274:                            ;   in Loop: Header=BB635_104 Depth=2
	global_load_b64 v[18:19], v[36:37], off offset:2048
	s_wait_alu 0xfffe
	s_or_b32 exec_lo, exec_lo, s42
	s_delay_alu instid0(SALU_CYCLE_1)
	s_mov_b32 s42, exec_lo
	v_cmpx_lt_u32_e64 v100, v131
	s_cbranch_execz .LBB635_209
.LBB635_275:                            ;   in Loop: Header=BB635_104 Depth=2
	global_load_b64 v[16:17], v[36:37], off offset:2304
	s_wait_alu 0xfffe
	s_or_b32 exec_lo, exec_lo, s42
	s_delay_alu instid0(SALU_CYCLE_1)
	s_mov_b32 s42, exec_lo
	v_cmpx_lt_u32_e64 v101, v131
	s_cbranch_execz .LBB635_210
.LBB635_276:                            ;   in Loop: Header=BB635_104 Depth=2
	global_load_b64 v[14:15], v[36:37], off offset:2560
	s_wait_alu 0xfffe
	s_or_b32 exec_lo, exec_lo, s42
	s_delay_alu instid0(SALU_CYCLE_1)
	s_mov_b32 s42, exec_lo
	v_cmpx_lt_u32_e64 v102, v131
	s_cbranch_execz .LBB635_211
.LBB635_277:                            ;   in Loop: Header=BB635_104 Depth=2
	global_load_b64 v[12:13], v[36:37], off offset:2816
	s_wait_alu 0xfffe
	s_or_b32 exec_lo, exec_lo, s42
	s_delay_alu instid0(SALU_CYCLE_1)
	s_mov_b32 s42, exec_lo
	v_cmpx_lt_u32_e64 v103, v131
	s_cbranch_execz .LBB635_212
.LBB635_278:                            ;   in Loop: Header=BB635_104 Depth=2
	global_load_b64 v[10:11], v[36:37], off offset:3072
	s_wait_alu 0xfffe
	s_or_b32 exec_lo, exec_lo, s42
	s_delay_alu instid0(SALU_CYCLE_1)
	s_mov_b32 s42, exec_lo
	v_cmpx_lt_u32_e64 v104, v131
	s_cbranch_execz .LBB635_213
.LBB635_279:                            ;   in Loop: Header=BB635_104 Depth=2
	global_load_b64 v[8:9], v[36:37], off offset:3328
	s_wait_alu 0xfffe
	s_or_b32 exec_lo, exec_lo, s42
	s_delay_alu instid0(SALU_CYCLE_1)
	s_mov_b32 s42, exec_lo
	v_cmpx_lt_u32_e64 v105, v131
	s_cbranch_execz .LBB635_214
.LBB635_280:                            ;   in Loop: Header=BB635_104 Depth=2
	global_load_b64 v[6:7], v[36:37], off offset:3584
	s_wait_alu 0xfffe
	s_or_b32 exec_lo, exec_lo, s42
	s_delay_alu instid0(SALU_CYCLE_1)
	s_mov_b32 s42, exec_lo
	v_cmpx_lt_u32_e64 v106, v131
	s_cbranch_execz .LBB635_215
.LBB635_281:                            ;   in Loop: Header=BB635_104 Depth=2
	global_load_b64 v[4:5], v[36:37], off offset:3840
	s_wait_alu 0xfffe
	s_or_b32 exec_lo, exec_lo, s42
	s_and_saveexec_b32 s30, vcc_lo
	s_cbranch_execz .LBB635_216
.LBB635_282:                            ;   in Loop: Header=BB635_104 Depth=2
	ds_load_b32 v2, v70 offset:1024
	s_wait_dscnt 0x0
	v_lshrrev_b32_e32 v2, s31, v2
	s_delay_alu instid0(VALU_DEP_1)
	v_and_b32_e32 v130, s48, v2
	s_wait_alu 0xfffe
	s_or_b32 exec_lo, exec_lo, s30
	s_and_saveexec_b32 s30, s15
	s_cbranch_execz .LBB635_217
.LBB635_283:                            ;   in Loop: Header=BB635_104 Depth=2
	ds_load_b32 v2, v70 offset:2048
	s_wait_dscnt 0x0
	v_lshrrev_b32_e32 v2, s31, v2
	s_delay_alu instid0(VALU_DEP_1)
	v_and_b32_e32 v129, s48, v2
	s_wait_alu 0xfffe
	s_or_b32 exec_lo, exec_lo, s30
	s_and_saveexec_b32 s30, s16
	s_cbranch_execz .LBB635_218
.LBB635_284:                            ;   in Loop: Header=BB635_104 Depth=2
	ds_load_b32 v2, v70 offset:3072
	s_wait_dscnt 0x0
	v_lshrrev_b32_e32 v2, s31, v2
	s_delay_alu instid0(VALU_DEP_1)
	v_and_b32_e32 v128, s48, v2
	s_wait_alu 0xfffe
	s_or_b32 exec_lo, exec_lo, s30
	s_and_saveexec_b32 s30, s17
	s_cbranch_execz .LBB635_219
.LBB635_285:                            ;   in Loop: Header=BB635_104 Depth=2
	ds_load_b32 v2, v70 offset:4096
	s_wait_dscnt 0x0
	v_lshrrev_b32_e32 v2, s31, v2
	s_delay_alu instid0(VALU_DEP_1)
	v_and_b32_e32 v127, s48, v2
	s_wait_alu 0xfffe
	s_or_b32 exec_lo, exec_lo, s30
	s_and_saveexec_b32 s30, s18
	s_cbranch_execz .LBB635_220
.LBB635_286:                            ;   in Loop: Header=BB635_104 Depth=2
	ds_load_b32 v2, v70 offset:5120
	s_wait_dscnt 0x0
	v_lshrrev_b32_e32 v2, s31, v2
	s_delay_alu instid0(VALU_DEP_1)
	v_and_b32_e32 v126, s48, v2
	s_wait_alu 0xfffe
	s_or_b32 exec_lo, exec_lo, s30
	s_and_saveexec_b32 s30, s19
	s_cbranch_execz .LBB635_221
.LBB635_287:                            ;   in Loop: Header=BB635_104 Depth=2
	ds_load_b32 v2, v70 offset:6144
	s_wait_dscnt 0x0
	v_lshrrev_b32_e32 v2, s31, v2
	s_delay_alu instid0(VALU_DEP_1)
	v_and_b32_e32 v125, s48, v2
	s_wait_alu 0xfffe
	s_or_b32 exec_lo, exec_lo, s30
	s_and_saveexec_b32 s30, s20
	s_cbranch_execz .LBB635_222
.LBB635_288:                            ;   in Loop: Header=BB635_104 Depth=2
	ds_load_b32 v2, v70 offset:7168
	s_wait_dscnt 0x0
	v_lshrrev_b32_e32 v2, s31, v2
	s_delay_alu instid0(VALU_DEP_1)
	v_and_b32_e32 v124, s48, v2
	s_wait_alu 0xfffe
	s_or_b32 exec_lo, exec_lo, s30
	s_and_saveexec_b32 s30, s21
	s_cbranch_execz .LBB635_223
.LBB635_289:                            ;   in Loop: Header=BB635_104 Depth=2
	ds_load_b32 v2, v70 offset:8192
	s_wait_dscnt 0x0
	v_lshrrev_b32_e32 v2, s31, v2
	s_delay_alu instid0(VALU_DEP_1)
	v_and_b32_e32 v123, s48, v2
	s_wait_alu 0xfffe
	s_or_b32 exec_lo, exec_lo, s30
	s_and_saveexec_b32 s30, s22
	s_cbranch_execz .LBB635_224
.LBB635_290:                            ;   in Loop: Header=BB635_104 Depth=2
	ds_load_b32 v2, v70 offset:9216
	s_wait_dscnt 0x0
	v_lshrrev_b32_e32 v2, s31, v2
	s_delay_alu instid0(VALU_DEP_1)
	v_and_b32_e32 v122, s48, v2
	s_wait_alu 0xfffe
	s_or_b32 exec_lo, exec_lo, s30
	s_and_saveexec_b32 s30, s23
	s_cbranch_execz .LBB635_225
.LBB635_291:                            ;   in Loop: Header=BB635_104 Depth=2
	ds_load_b32 v2, v70 offset:10240
	s_wait_dscnt 0x0
	v_lshrrev_b32_e32 v2, s31, v2
	s_delay_alu instid0(VALU_DEP_1)
	v_and_b32_e32 v121, s48, v2
	s_wait_alu 0xfffe
	s_or_b32 exec_lo, exec_lo, s30
	s_and_saveexec_b32 s30, s24
	s_cbranch_execz .LBB635_226
.LBB635_292:                            ;   in Loop: Header=BB635_104 Depth=2
	ds_load_b32 v2, v70 offset:11264
	s_wait_dscnt 0x0
	v_lshrrev_b32_e32 v2, s31, v2
	s_delay_alu instid0(VALU_DEP_1)
	v_and_b32_e32 v120, s48, v2
	s_wait_alu 0xfffe
	s_or_b32 exec_lo, exec_lo, s30
	s_and_saveexec_b32 s30, s25
	s_cbranch_execz .LBB635_227
.LBB635_293:                            ;   in Loop: Header=BB635_104 Depth=2
	ds_load_b32 v2, v70 offset:12288
	s_wait_dscnt 0x0
	v_lshrrev_b32_e32 v2, s31, v2
	s_delay_alu instid0(VALU_DEP_1)
	v_and_b32_e32 v119, s48, v2
	s_wait_alu 0xfffe
	s_or_b32 exec_lo, exec_lo, s30
	s_and_saveexec_b32 s30, s26
	s_cbranch_execz .LBB635_228
.LBB635_294:                            ;   in Loop: Header=BB635_104 Depth=2
	ds_load_b32 v2, v70 offset:13312
	s_wait_dscnt 0x0
	v_lshrrev_b32_e32 v2, s31, v2
	s_delay_alu instid0(VALU_DEP_1)
	v_and_b32_e32 v118, s48, v2
	s_wait_alu 0xfffe
	s_or_b32 exec_lo, exec_lo, s30
	s_and_saveexec_b32 s30, s27
	s_cbranch_execz .LBB635_229
.LBB635_295:                            ;   in Loop: Header=BB635_104 Depth=2
	ds_load_b32 v2, v70 offset:14336
	s_wait_dscnt 0x0
	v_lshrrev_b32_e32 v2, s31, v2
	s_delay_alu instid0(VALU_DEP_1)
	v_and_b32_e32 v117, s48, v2
	s_wait_alu 0xfffe
	s_or_b32 exec_lo, exec_lo, s30
	s_and_saveexec_b32 s30, s28
	s_cbranch_execz .LBB635_230
.LBB635_296:                            ;   in Loop: Header=BB635_104 Depth=2
	ds_load_b32 v2, v70 offset:15360
	s_wait_dscnt 0x0
	v_lshrrev_b32_e32 v2, s31, v2
	s_delay_alu instid0(VALU_DEP_1)
	v_and_b32_e32 v116, s48, v2
	s_wait_alu 0xfffe
	s_or_b32 exec_lo, exec_lo, s30
	s_and_saveexec_b32 s30, s29
	s_cbranch_execnz .LBB635_231
	s_branch .LBB635_232
.LBB635_297:                            ;   in Loop: Header=BB635_104 Depth=2
	v_lshlrev_b32_e32 v2, 2, v130
	v_add_nc_u32_e32 v36, v70, v44
	ds_load_b32 v2, v2
	ds_load_b64 v[36:37], v36 offset:1024
	s_wait_dscnt 0x1
	v_add_nc_u32_e32 v2, v2, v1
	s_delay_alu instid0(VALU_DEP_1) | instskip(NEXT) | instid1(VALU_DEP_1)
	v_lshlrev_b64_e32 v[39:40], 3, v[2:3]
	v_add_co_u32 v39, vcc_lo, s44, v39
	s_wait_alu 0xfffd
	s_delay_alu instid0(VALU_DEP_2)
	v_add_co_ci_u32_e64 v40, null, s45, v40, vcc_lo
	s_wait_dscnt 0x0
	global_store_b64 v[39:40], v[36:37], off
	s_wait_alu 0xfffe
	s_or_b32 exec_lo, exec_lo, s30
	s_and_saveexec_b32 s30, s15
	s_cbranch_execz .LBB635_234
.LBB635_298:                            ;   in Loop: Header=BB635_104 Depth=2
	v_lshlrev_b32_e32 v2, 2, v129
	v_add_nc_u32_e32 v36, v70, v44
	ds_load_b32 v2, v2
	ds_load_b64 v[36:37], v36 offset:3072
	s_wait_dscnt 0x1
	v_add_nc_u32_e32 v2, v2, v45
	s_delay_alu instid0(VALU_DEP_1) | instskip(NEXT) | instid1(VALU_DEP_1)
	v_lshlrev_b64_e32 v[39:40], 3, v[2:3]
	v_add_co_u32 v39, vcc_lo, s44, v39
	s_wait_alu 0xfffd
	s_delay_alu instid0(VALU_DEP_2)
	v_add_co_ci_u32_e64 v40, null, s45, v40, vcc_lo
	s_wait_dscnt 0x0
	global_store_b64 v[39:40], v[36:37], off
	s_wait_alu 0xfffe
	s_or_b32 exec_lo, exec_lo, s30
	s_and_saveexec_b32 s15, s16
	s_cbranch_execz .LBB635_235
.LBB635_299:                            ;   in Loop: Header=BB635_104 Depth=2
	v_lshlrev_b32_e32 v2, 2, v128
	v_add_nc_u32_e32 v36, v70, v44
	ds_load_b32 v2, v2
	ds_load_b64 v[36:37], v36 offset:5120
	s_wait_dscnt 0x1
	v_add_nc_u32_e32 v2, v2, v46
	s_delay_alu instid0(VALU_DEP_1) | instskip(NEXT) | instid1(VALU_DEP_1)
	v_lshlrev_b64_e32 v[39:40], 3, v[2:3]
	v_add_co_u32 v39, vcc_lo, s44, v39
	s_wait_alu 0xfffd
	s_delay_alu instid0(VALU_DEP_2)
	v_add_co_ci_u32_e64 v40, null, s45, v40, vcc_lo
	s_wait_dscnt 0x0
	global_store_b64 v[39:40], v[36:37], off
	s_wait_alu 0xfffe
	s_or_b32 exec_lo, exec_lo, s15
	s_and_saveexec_b32 s15, s17
	s_cbranch_execz .LBB635_236
.LBB635_300:                            ;   in Loop: Header=BB635_104 Depth=2
	v_lshlrev_b32_e32 v2, 2, v127
	v_add_nc_u32_e32 v36, v70, v44
	ds_load_b32 v2, v2
	ds_load_b64 v[36:37], v36 offset:7168
	s_wait_dscnt 0x1
	v_add_nc_u32_e32 v2, v2, v47
	s_delay_alu instid0(VALU_DEP_1) | instskip(NEXT) | instid1(VALU_DEP_1)
	v_lshlrev_b64_e32 v[39:40], 3, v[2:3]
	v_add_co_u32 v39, vcc_lo, s44, v39
	s_wait_alu 0xfffd
	s_delay_alu instid0(VALU_DEP_2)
	v_add_co_ci_u32_e64 v40, null, s45, v40, vcc_lo
	s_wait_dscnt 0x0
	global_store_b64 v[39:40], v[36:37], off
	s_wait_alu 0xfffe
	s_or_b32 exec_lo, exec_lo, s15
	s_and_saveexec_b32 s15, s18
	s_cbranch_execz .LBB635_237
.LBB635_301:                            ;   in Loop: Header=BB635_104 Depth=2
	v_lshlrev_b32_e32 v2, 2, v126
	v_add_nc_u32_e32 v36, v70, v44
	ds_load_b32 v2, v2
	ds_load_b64 v[36:37], v36 offset:9216
	s_wait_dscnt 0x1
	v_add_nc_u32_e32 v2, v2, v50
	s_delay_alu instid0(VALU_DEP_1) | instskip(NEXT) | instid1(VALU_DEP_1)
	v_lshlrev_b64_e32 v[39:40], 3, v[2:3]
	v_add_co_u32 v39, vcc_lo, s44, v39
	s_wait_alu 0xfffd
	s_delay_alu instid0(VALU_DEP_2)
	v_add_co_ci_u32_e64 v40, null, s45, v40, vcc_lo
	s_wait_dscnt 0x0
	global_store_b64 v[39:40], v[36:37], off
	s_wait_alu 0xfffe
	s_or_b32 exec_lo, exec_lo, s15
	s_and_saveexec_b32 s15, s19
	s_cbranch_execz .LBB635_238
.LBB635_302:                            ;   in Loop: Header=BB635_104 Depth=2
	v_lshlrev_b32_e32 v2, 2, v125
	v_add_nc_u32_e32 v36, v70, v44
	ds_load_b32 v2, v2
	ds_load_b64 v[36:37], v36 offset:11264
	s_wait_dscnt 0x1
	v_add_nc_u32_e32 v2, v2, v51
	s_delay_alu instid0(VALU_DEP_1) | instskip(NEXT) | instid1(VALU_DEP_1)
	v_lshlrev_b64_e32 v[39:40], 3, v[2:3]
	v_add_co_u32 v39, vcc_lo, s44, v39
	s_wait_alu 0xfffd
	s_delay_alu instid0(VALU_DEP_2)
	v_add_co_ci_u32_e64 v40, null, s45, v40, vcc_lo
	s_wait_dscnt 0x0
	global_store_b64 v[39:40], v[36:37], off
	s_wait_alu 0xfffe
	s_or_b32 exec_lo, exec_lo, s15
	s_and_saveexec_b32 s15, s20
	s_cbranch_execz .LBB635_239
.LBB635_303:                            ;   in Loop: Header=BB635_104 Depth=2
	v_lshlrev_b32_e32 v2, 2, v124
	v_add_nc_u32_e32 v36, v70, v44
	ds_load_b32 v2, v2
	ds_load_b64 v[36:37], v36 offset:13312
	s_wait_dscnt 0x1
	v_add_nc_u32_e32 v2, v2, v52
	s_delay_alu instid0(VALU_DEP_1) | instskip(NEXT) | instid1(VALU_DEP_1)
	v_lshlrev_b64_e32 v[39:40], 3, v[2:3]
	v_add_co_u32 v39, vcc_lo, s44, v39
	s_wait_alu 0xfffd
	s_delay_alu instid0(VALU_DEP_2)
	v_add_co_ci_u32_e64 v40, null, s45, v40, vcc_lo
	s_wait_dscnt 0x0
	global_store_b64 v[39:40], v[36:37], off
	s_wait_alu 0xfffe
	s_or_b32 exec_lo, exec_lo, s15
	s_and_saveexec_b32 s15, s21
	s_cbranch_execz .LBB635_240
.LBB635_304:                            ;   in Loop: Header=BB635_104 Depth=2
	v_lshlrev_b32_e32 v2, 2, v123
	v_add_nc_u32_e32 v36, v70, v44
	ds_load_b32 v2, v2
	ds_load_b64 v[36:37], v36 offset:15360
	s_wait_dscnt 0x1
	v_add_nc_u32_e32 v2, v2, v53
	s_delay_alu instid0(VALU_DEP_1) | instskip(NEXT) | instid1(VALU_DEP_1)
	v_lshlrev_b64_e32 v[39:40], 3, v[2:3]
	v_add_co_u32 v39, vcc_lo, s44, v39
	s_wait_alu 0xfffd
	s_delay_alu instid0(VALU_DEP_2)
	v_add_co_ci_u32_e64 v40, null, s45, v40, vcc_lo
	s_wait_dscnt 0x0
	global_store_b64 v[39:40], v[36:37], off
	s_wait_alu 0xfffe
	s_or_b32 exec_lo, exec_lo, s15
	s_and_saveexec_b32 s15, s22
	s_cbranch_execz .LBB635_241
.LBB635_305:                            ;   in Loop: Header=BB635_104 Depth=2
	v_lshlrev_b32_e32 v2, 2, v122
	v_add_nc_u32_e32 v36, v70, v44
	ds_load_b32 v2, v2
	ds_load_b64 v[36:37], v36 offset:17408
	s_wait_dscnt 0x1
	v_add_nc_u32_e32 v2, v2, v54
	s_delay_alu instid0(VALU_DEP_1) | instskip(NEXT) | instid1(VALU_DEP_1)
	v_lshlrev_b64_e32 v[39:40], 3, v[2:3]
	v_add_co_u32 v39, vcc_lo, s44, v39
	s_wait_alu 0xfffd
	s_delay_alu instid0(VALU_DEP_2)
	v_add_co_ci_u32_e64 v40, null, s45, v40, vcc_lo
	s_wait_dscnt 0x0
	global_store_b64 v[39:40], v[36:37], off
	s_wait_alu 0xfffe
	s_or_b32 exec_lo, exec_lo, s15
	s_and_saveexec_b32 s15, s23
	s_cbranch_execz .LBB635_242
.LBB635_306:                            ;   in Loop: Header=BB635_104 Depth=2
	v_lshlrev_b32_e32 v2, 2, v121
	v_add_nc_u32_e32 v36, v70, v44
	ds_load_b32 v2, v2
	ds_load_b64 v[36:37], v36 offset:19456
	s_wait_dscnt 0x1
	v_add_nc_u32_e32 v2, v2, v55
	s_delay_alu instid0(VALU_DEP_1) | instskip(NEXT) | instid1(VALU_DEP_1)
	v_lshlrev_b64_e32 v[39:40], 3, v[2:3]
	v_add_co_u32 v39, vcc_lo, s44, v39
	s_wait_alu 0xfffd
	s_delay_alu instid0(VALU_DEP_2)
	v_add_co_ci_u32_e64 v40, null, s45, v40, vcc_lo
	s_wait_dscnt 0x0
	global_store_b64 v[39:40], v[36:37], off
	s_wait_alu 0xfffe
	s_or_b32 exec_lo, exec_lo, s15
	s_and_saveexec_b32 s15, s24
	s_cbranch_execz .LBB635_243
.LBB635_307:                            ;   in Loop: Header=BB635_104 Depth=2
	v_lshlrev_b32_e32 v2, 2, v120
	v_add_nc_u32_e32 v36, v70, v44
	ds_load_b32 v2, v2
	ds_load_b64 v[36:37], v36 offset:21504
	s_wait_dscnt 0x1
	v_add_nc_u32_e32 v2, v2, v56
	s_delay_alu instid0(VALU_DEP_1) | instskip(NEXT) | instid1(VALU_DEP_1)
	v_lshlrev_b64_e32 v[39:40], 3, v[2:3]
	v_add_co_u32 v39, vcc_lo, s44, v39
	s_wait_alu 0xfffd
	s_delay_alu instid0(VALU_DEP_2)
	v_add_co_ci_u32_e64 v40, null, s45, v40, vcc_lo
	s_wait_dscnt 0x0
	global_store_b64 v[39:40], v[36:37], off
	s_wait_alu 0xfffe
	s_or_b32 exec_lo, exec_lo, s15
	s_and_saveexec_b32 s15, s25
	s_cbranch_execz .LBB635_244
.LBB635_308:                            ;   in Loop: Header=BB635_104 Depth=2
	v_lshlrev_b32_e32 v2, 2, v119
	v_add_nc_u32_e32 v36, v70, v44
	ds_load_b32 v2, v2
	ds_load_b64 v[36:37], v36 offset:23552
	s_wait_dscnt 0x1
	v_add_nc_u32_e32 v2, v2, v57
	s_delay_alu instid0(VALU_DEP_1) | instskip(NEXT) | instid1(VALU_DEP_1)
	v_lshlrev_b64_e32 v[39:40], 3, v[2:3]
	v_add_co_u32 v39, vcc_lo, s44, v39
	s_wait_alu 0xfffd
	s_delay_alu instid0(VALU_DEP_2)
	v_add_co_ci_u32_e64 v40, null, s45, v40, vcc_lo
	s_wait_dscnt 0x0
	global_store_b64 v[39:40], v[36:37], off
	s_wait_alu 0xfffe
	s_or_b32 exec_lo, exec_lo, s15
	s_and_saveexec_b32 s15, s26
	s_cbranch_execz .LBB635_245
.LBB635_309:                            ;   in Loop: Header=BB635_104 Depth=2
	v_lshlrev_b32_e32 v2, 2, v118
	v_add_nc_u32_e32 v36, v70, v44
	ds_load_b32 v2, v2
	ds_load_b64 v[36:37], v36 offset:25600
	s_wait_dscnt 0x1
	v_add_nc_u32_e32 v2, v2, v58
	s_delay_alu instid0(VALU_DEP_1) | instskip(NEXT) | instid1(VALU_DEP_1)
	v_lshlrev_b64_e32 v[39:40], 3, v[2:3]
	v_add_co_u32 v39, vcc_lo, s44, v39
	s_wait_alu 0xfffd
	s_delay_alu instid0(VALU_DEP_2)
	v_add_co_ci_u32_e64 v40, null, s45, v40, vcc_lo
	s_wait_dscnt 0x0
	global_store_b64 v[39:40], v[36:37], off
	s_wait_alu 0xfffe
	s_or_b32 exec_lo, exec_lo, s15
	s_and_saveexec_b32 s15, s27
	s_cbranch_execz .LBB635_246
.LBB635_310:                            ;   in Loop: Header=BB635_104 Depth=2
	v_lshlrev_b32_e32 v2, 2, v117
	v_add_nc_u32_e32 v36, v70, v44
	ds_load_b32 v2, v2
	ds_load_b64 v[36:37], v36 offset:27648
	s_wait_dscnt 0x1
	v_add_nc_u32_e32 v2, v2, v59
	s_delay_alu instid0(VALU_DEP_1) | instskip(NEXT) | instid1(VALU_DEP_1)
	v_lshlrev_b64_e32 v[39:40], 3, v[2:3]
	v_add_co_u32 v39, vcc_lo, s44, v39
	s_wait_alu 0xfffd
	s_delay_alu instid0(VALU_DEP_2)
	v_add_co_ci_u32_e64 v40, null, s45, v40, vcc_lo
	s_wait_dscnt 0x0
	global_store_b64 v[39:40], v[36:37], off
	s_wait_alu 0xfffe
	s_or_b32 exec_lo, exec_lo, s15
	s_and_saveexec_b32 s15, s28
	s_cbranch_execz .LBB635_247
.LBB635_311:                            ;   in Loop: Header=BB635_104 Depth=2
	v_lshlrev_b32_e32 v2, 2, v116
	v_add_nc_u32_e32 v36, v70, v44
	ds_load_b32 v2, v2
	ds_load_b64 v[36:37], v36 offset:29696
	s_wait_dscnt 0x1
	v_add_nc_u32_e32 v2, v2, v60
	s_delay_alu instid0(VALU_DEP_1) | instskip(NEXT) | instid1(VALU_DEP_1)
	v_lshlrev_b64_e32 v[39:40], 3, v[2:3]
	v_add_co_u32 v39, vcc_lo, s44, v39
	s_wait_alu 0xfffd
	s_delay_alu instid0(VALU_DEP_2)
	v_add_co_ci_u32_e64 v40, null, s45, v40, vcc_lo
	s_wait_dscnt 0x0
	global_store_b64 v[39:40], v[36:37], off
	s_wait_alu 0xfffe
	s_or_b32 exec_lo, exec_lo, s15
	s_and_saveexec_b32 s15, s29
	s_cbranch_execnz .LBB635_248
	s_branch .LBB635_249
.LBB635_312:                            ;   in Loop: Header=BB635_20 Depth=1
	s_wait_loadcnt_dscnt 0x0
	s_barrier_signal -1
	s_mov_b32 s0, 0
	s_barrier_wait -1
.LBB635_313:                            ;   in Loop: Header=BB635_20 Depth=1
	s_wait_alu 0xfffe
	s_and_b32 vcc_lo, exec_lo, s0
	s_wait_alu 0xfffe
	s_cbranch_vccz .LBB635_605
; %bb.314:                              ;   in Loop: Header=BB635_20 Depth=1
	s_mov_b32 s9, s53
	s_mov_b32 s42, s33
	s_barrier_signal -1
	s_barrier_wait -1
	global_inv scope:SCOPE_SE
                                        ; implicit-def: $vgpr2
                                        ; implicit-def: $vgpr4
                                        ; implicit-def: $vgpr5
                                        ; implicit-def: $vgpr6
                                        ; implicit-def: $vgpr7
                                        ; implicit-def: $vgpr8
                                        ; implicit-def: $vgpr9
                                        ; implicit-def: $vgpr10
                                        ; implicit-def: $vgpr11
                                        ; implicit-def: $vgpr12
                                        ; implicit-def: $vgpr13
                                        ; implicit-def: $vgpr14
                                        ; implicit-def: $vgpr15
                                        ; implicit-def: $vgpr16
                                        ; implicit-def: $vgpr17
                                        ; implicit-def: $vgpr18
	s_branch .LBB635_316
.LBB635_315:                            ;   in Loop: Header=BB635_316 Depth=2
	s_wait_alu 0xfffe
	s_or_b32 exec_lo, exec_lo, s0
	s_addk_co_i32 s9, 0xf000
	s_cmp_ge_u32 s10, s51
	s_mov_b32 s42, s10
	s_cbranch_scc1 .LBB635_384
.LBB635_316:                            ;   Parent Loop BB635_20 Depth=1
                                        ; =>  This Inner Loop Header: Depth=2
	s_wait_alu 0xfffe
	s_add_co_i32 s10, s42, 0x1000
	s_mov_b32 s0, -1
	s_wait_alu 0xfffe
	s_cmp_gt_u32 s10, s51
                                        ; implicit-def: $vgpr19
                                        ; implicit-def: $vgpr20
                                        ; implicit-def: $vgpr21
                                        ; implicit-def: $vgpr22
                                        ; implicit-def: $vgpr23
                                        ; implicit-def: $vgpr24
                                        ; implicit-def: $vgpr25
                                        ; implicit-def: $vgpr26
                                        ; implicit-def: $vgpr27
                                        ; implicit-def: $vgpr28
                                        ; implicit-def: $vgpr29
                                        ; implicit-def: $vgpr30
                                        ; implicit-def: $vgpr31
                                        ; implicit-def: $vgpr32
                                        ; implicit-def: $vgpr33
                                        ; implicit-def: $vgpr34
	s_cbranch_scc1 .LBB635_318
; %bb.317:                              ;   in Loop: Header=BB635_316 Depth=2
	s_lshl_b64 s[0:1], s[42:43], 2
	s_wait_alu 0xfffe
	v_add_co_u32 v34, vcc_lo, v71, s0
	s_wait_alu 0xfffd
	v_add_co_ci_u32_e64 v35, null, s1, v72, vcc_lo
	s_mov_b32 s0, 0
	s_clause 0xf
	global_load_b32 v19, v[34:35], off
	global_load_b32 v20, v[34:35], off offset:1024
	global_load_b32 v21, v[34:35], off offset:2048
	;; [unrolled: 1-line block ×15, first 2 shown]
.LBB635_318:                            ;   in Loop: Header=BB635_316 Depth=2
	s_wait_alu 0xfffe
	s_and_not1_b32 vcc_lo, exec_lo, s0
	s_movk_i32 s0, 0x1000
	s_wait_alu 0xfffe
	s_cbranch_vccnz .LBB635_337
; %bb.319:                              ;   in Loop: Header=BB635_316 Depth=2
	s_lshl_b64 s[0:1], s[42:43], 2
	s_mov_b32 s11, exec_lo
	s_wait_alu 0xfffe
	s_add_nc_u64 s[0:1], s[38:39], s[0:1]
	v_cmpx_gt_u32_e64 s9, v1
	s_cbranch_execnz .LBB635_369
; %bb.320:                              ;   in Loop: Header=BB635_316 Depth=2
	s_or_b32 exec_lo, exec_lo, s11
	s_delay_alu instid0(SALU_CYCLE_1)
	s_mov_b32 s11, exec_lo
	v_cmpx_gt_u32_e64 s9, v45
	s_cbranch_execnz .LBB635_370
.LBB635_321:                            ;   in Loop: Header=BB635_316 Depth=2
	s_wait_alu 0xfffe
	s_or_b32 exec_lo, exec_lo, s11
	s_delay_alu instid0(SALU_CYCLE_1)
	s_mov_b32 s11, exec_lo
	v_cmpx_gt_u32_e64 s9, v46
	s_cbranch_execnz .LBB635_371
.LBB635_322:                            ;   in Loop: Header=BB635_316 Depth=2
	s_wait_alu 0xfffe
	s_or_b32 exec_lo, exec_lo, s11
	s_delay_alu instid0(SALU_CYCLE_1)
	s_mov_b32 s11, exec_lo
	v_cmpx_gt_u32_e64 s9, v47
	s_cbranch_execnz .LBB635_372
.LBB635_323:                            ;   in Loop: Header=BB635_316 Depth=2
	s_wait_alu 0xfffe
	s_or_b32 exec_lo, exec_lo, s11
	s_delay_alu instid0(SALU_CYCLE_1)
	s_mov_b32 s11, exec_lo
	v_cmpx_gt_u32_e64 s9, v50
	s_cbranch_execnz .LBB635_373
.LBB635_324:                            ;   in Loop: Header=BB635_316 Depth=2
	s_wait_alu 0xfffe
	s_or_b32 exec_lo, exec_lo, s11
	s_delay_alu instid0(SALU_CYCLE_1)
	s_mov_b32 s11, exec_lo
	v_cmpx_gt_u32_e64 s9, v51
	s_cbranch_execnz .LBB635_374
.LBB635_325:                            ;   in Loop: Header=BB635_316 Depth=2
	s_wait_alu 0xfffe
	s_or_b32 exec_lo, exec_lo, s11
	s_delay_alu instid0(SALU_CYCLE_1)
	s_mov_b32 s11, exec_lo
	v_cmpx_gt_u32_e64 s9, v52
	s_cbranch_execnz .LBB635_375
.LBB635_326:                            ;   in Loop: Header=BB635_316 Depth=2
	s_wait_alu 0xfffe
	s_or_b32 exec_lo, exec_lo, s11
	s_delay_alu instid0(SALU_CYCLE_1)
	s_mov_b32 s11, exec_lo
	v_cmpx_gt_u32_e64 s9, v53
	s_cbranch_execnz .LBB635_376
.LBB635_327:                            ;   in Loop: Header=BB635_316 Depth=2
	s_wait_alu 0xfffe
	s_or_b32 exec_lo, exec_lo, s11
	s_delay_alu instid0(SALU_CYCLE_1)
	s_mov_b32 s11, exec_lo
	v_cmpx_gt_u32_e64 s9, v54
	s_cbranch_execnz .LBB635_377
.LBB635_328:                            ;   in Loop: Header=BB635_316 Depth=2
	s_wait_alu 0xfffe
	s_or_b32 exec_lo, exec_lo, s11
	s_delay_alu instid0(SALU_CYCLE_1)
	s_mov_b32 s11, exec_lo
	v_cmpx_gt_u32_e64 s9, v55
	s_cbranch_execnz .LBB635_378
.LBB635_329:                            ;   in Loop: Header=BB635_316 Depth=2
	s_wait_alu 0xfffe
	s_or_b32 exec_lo, exec_lo, s11
	s_delay_alu instid0(SALU_CYCLE_1)
	s_mov_b32 s11, exec_lo
	v_cmpx_gt_u32_e64 s9, v56
	s_cbranch_execnz .LBB635_379
.LBB635_330:                            ;   in Loop: Header=BB635_316 Depth=2
	s_wait_alu 0xfffe
	s_or_b32 exec_lo, exec_lo, s11
	s_delay_alu instid0(SALU_CYCLE_1)
	s_mov_b32 s11, exec_lo
	v_cmpx_gt_u32_e64 s9, v57
	s_cbranch_execnz .LBB635_380
.LBB635_331:                            ;   in Loop: Header=BB635_316 Depth=2
	s_wait_alu 0xfffe
	s_or_b32 exec_lo, exec_lo, s11
	s_delay_alu instid0(SALU_CYCLE_1)
	s_mov_b32 s11, exec_lo
	v_cmpx_gt_u32_e64 s9, v58
	s_cbranch_execnz .LBB635_381
.LBB635_332:                            ;   in Loop: Header=BB635_316 Depth=2
	s_wait_alu 0xfffe
	s_or_b32 exec_lo, exec_lo, s11
	s_delay_alu instid0(SALU_CYCLE_1)
	s_mov_b32 s11, exec_lo
	v_cmpx_gt_u32_e64 s9, v59
	s_cbranch_execnz .LBB635_382
.LBB635_333:                            ;   in Loop: Header=BB635_316 Depth=2
	s_wait_alu 0xfffe
	s_or_b32 exec_lo, exec_lo, s11
	s_delay_alu instid0(SALU_CYCLE_1)
	s_mov_b32 s11, exec_lo
	v_cmpx_gt_u32_e64 s9, v60
	s_cbranch_execnz .LBB635_383
.LBB635_334:                            ;   in Loop: Header=BB635_316 Depth=2
	s_wait_alu 0xfffe
	s_or_b32 exec_lo, exec_lo, s11
	s_delay_alu instid0(SALU_CYCLE_1)
	s_mov_b32 s11, exec_lo
	v_cmpx_gt_u32_e64 s9, v61
	s_cbranch_execz .LBB635_336
.LBB635_335:                            ;   in Loop: Header=BB635_316 Depth=2
	global_load_b32 v2, v108, s[0:1] offset:15360
.LBB635_336:                            ;   in Loop: Header=BB635_316 Depth=2
	s_wait_alu 0xfffe
	s_or_b32 exec_lo, exec_lo, s11
	s_wait_loadcnt 0x0
	v_dual_mov_b32 v19, v18 :: v_dual_mov_b32 v20, v17
	v_dual_mov_b32 v21, v16 :: v_dual_mov_b32 v22, v15
	;; [unrolled: 1-line block ×8, first 2 shown]
	s_mov_b32 s0, s9
.LBB635_337:                            ;   in Loop: Header=BB635_316 Depth=2
	s_wait_loadcnt 0x0
	s_delay_alu instid0(VALU_DEP_1) | instskip(NEXT) | instid1(VALU_DEP_2)
	v_dual_mov_b32 v2, v34 :: v_dual_mov_b32 v5, v32
	v_dual_mov_b32 v4, v33 :: v_dual_mov_b32 v7, v30
	;; [unrolled: 1-line block ×7, first 2 shown]
	v_mov_b32_e32 v16, v21
	v_mov_b32_e32 v18, v19
	s_mov_b32 s1, exec_lo
	s_wait_alu 0xfffe
	v_cmpx_gt_u32_e64 s0, v1
	s_cbranch_execnz .LBB635_353
; %bb.338:                              ;   in Loop: Header=BB635_316 Depth=2
	s_or_b32 exec_lo, exec_lo, s1
	s_delay_alu instid0(SALU_CYCLE_1)
	s_mov_b32 s1, exec_lo
	v_cmpx_gt_u32_e64 s0, v45
	s_cbranch_execnz .LBB635_354
.LBB635_339:                            ;   in Loop: Header=BB635_316 Depth=2
	s_wait_alu 0xfffe
	s_or_b32 exec_lo, exec_lo, s1
	s_delay_alu instid0(SALU_CYCLE_1)
	s_mov_b32 s1, exec_lo
	v_cmpx_gt_u32_e64 s0, v46
	s_cbranch_execnz .LBB635_355
.LBB635_340:                            ;   in Loop: Header=BB635_316 Depth=2
	s_wait_alu 0xfffe
	s_or_b32 exec_lo, exec_lo, s1
	s_delay_alu instid0(SALU_CYCLE_1)
	s_mov_b32 s1, exec_lo
	v_cmpx_gt_u32_e64 s0, v47
	s_cbranch_execnz .LBB635_356
.LBB635_341:                            ;   in Loop: Header=BB635_316 Depth=2
	s_wait_alu 0xfffe
	s_or_b32 exec_lo, exec_lo, s1
	s_delay_alu instid0(SALU_CYCLE_1)
	s_mov_b32 s1, exec_lo
	v_cmpx_gt_u32_e64 s0, v50
	s_cbranch_execnz .LBB635_357
.LBB635_342:                            ;   in Loop: Header=BB635_316 Depth=2
	s_wait_alu 0xfffe
	s_or_b32 exec_lo, exec_lo, s1
	s_delay_alu instid0(SALU_CYCLE_1)
	s_mov_b32 s1, exec_lo
	v_cmpx_gt_u32_e64 s0, v51
	s_cbranch_execnz .LBB635_358
.LBB635_343:                            ;   in Loop: Header=BB635_316 Depth=2
	s_wait_alu 0xfffe
	s_or_b32 exec_lo, exec_lo, s1
	s_delay_alu instid0(SALU_CYCLE_1)
	s_mov_b32 s1, exec_lo
	v_cmpx_gt_u32_e64 s0, v52
	s_cbranch_execnz .LBB635_359
.LBB635_344:                            ;   in Loop: Header=BB635_316 Depth=2
	s_wait_alu 0xfffe
	s_or_b32 exec_lo, exec_lo, s1
	s_delay_alu instid0(SALU_CYCLE_1)
	s_mov_b32 s1, exec_lo
	v_cmpx_gt_u32_e64 s0, v53
	s_cbranch_execnz .LBB635_360
.LBB635_345:                            ;   in Loop: Header=BB635_316 Depth=2
	s_wait_alu 0xfffe
	s_or_b32 exec_lo, exec_lo, s1
	s_delay_alu instid0(SALU_CYCLE_1)
	s_mov_b32 s1, exec_lo
	v_cmpx_gt_u32_e64 s0, v54
	s_cbranch_execnz .LBB635_361
.LBB635_346:                            ;   in Loop: Header=BB635_316 Depth=2
	s_wait_alu 0xfffe
	s_or_b32 exec_lo, exec_lo, s1
	s_delay_alu instid0(SALU_CYCLE_1)
	s_mov_b32 s1, exec_lo
	v_cmpx_gt_u32_e64 s0, v55
	s_cbranch_execnz .LBB635_362
.LBB635_347:                            ;   in Loop: Header=BB635_316 Depth=2
	s_wait_alu 0xfffe
	s_or_b32 exec_lo, exec_lo, s1
	s_delay_alu instid0(SALU_CYCLE_1)
	s_mov_b32 s1, exec_lo
	v_cmpx_gt_u32_e64 s0, v56
	s_cbranch_execnz .LBB635_363
.LBB635_348:                            ;   in Loop: Header=BB635_316 Depth=2
	s_wait_alu 0xfffe
	s_or_b32 exec_lo, exec_lo, s1
	s_delay_alu instid0(SALU_CYCLE_1)
	s_mov_b32 s1, exec_lo
	v_cmpx_gt_u32_e64 s0, v57
	s_cbranch_execnz .LBB635_364
.LBB635_349:                            ;   in Loop: Header=BB635_316 Depth=2
	s_wait_alu 0xfffe
	s_or_b32 exec_lo, exec_lo, s1
	s_delay_alu instid0(SALU_CYCLE_1)
	s_mov_b32 s1, exec_lo
	v_cmpx_gt_u32_e64 s0, v58
	s_cbranch_execnz .LBB635_365
.LBB635_350:                            ;   in Loop: Header=BB635_316 Depth=2
	s_wait_alu 0xfffe
	s_or_b32 exec_lo, exec_lo, s1
	s_delay_alu instid0(SALU_CYCLE_1)
	s_mov_b32 s1, exec_lo
	v_cmpx_gt_u32_e64 s0, v59
	s_cbranch_execnz .LBB635_366
.LBB635_351:                            ;   in Loop: Header=BB635_316 Depth=2
	s_wait_alu 0xfffe
	s_or_b32 exec_lo, exec_lo, s1
	s_delay_alu instid0(SALU_CYCLE_1)
	s_mov_b32 s1, exec_lo
	v_cmpx_gt_u32_e64 s0, v60
	s_cbranch_execnz .LBB635_367
.LBB635_352:                            ;   in Loop: Header=BB635_316 Depth=2
	s_wait_alu 0xfffe
	s_or_b32 exec_lo, exec_lo, s1
	v_cmp_gt_u32_e32 vcc_lo, s0, v61
	s_and_saveexec_b32 s0, vcc_lo
	s_cbranch_execz .LBB635_315
	s_branch .LBB635_368
.LBB635_353:                            ;   in Loop: Header=BB635_316 Depth=2
	v_xor_b32_e32 v19, 0x80000000, v18
	s_delay_alu instid0(VALU_DEP_1) | instskip(NEXT) | instid1(VALU_DEP_1)
	v_lshrrev_b32_e32 v19, s31, v19
	v_and_b32_e32 v19, s48, v19
	s_delay_alu instid0(VALU_DEP_1) | instskip(SKIP_2) | instid1(SALU_CYCLE_1)
	v_lshl_or_b32 v19, v19, 4, v62
	ds_add_u32 v19, v84
	s_or_b32 exec_lo, exec_lo, s1
	s_mov_b32 s1, exec_lo
	v_cmpx_gt_u32_e64 s0, v45
	s_cbranch_execz .LBB635_339
.LBB635_354:                            ;   in Loop: Header=BB635_316 Depth=2
	v_xor_b32_e32 v19, 0x80000000, v17
	s_delay_alu instid0(VALU_DEP_1) | instskip(NEXT) | instid1(VALU_DEP_1)
	v_lshrrev_b32_e32 v19, s31, v19
	v_and_b32_e32 v19, s48, v19
	s_delay_alu instid0(VALU_DEP_1) | instskip(SKIP_3) | instid1(SALU_CYCLE_1)
	v_lshl_or_b32 v19, v19, 4, v62
	ds_add_u32 v19, v84
	s_wait_alu 0xfffe
	s_or_b32 exec_lo, exec_lo, s1
	s_mov_b32 s1, exec_lo
	v_cmpx_gt_u32_e64 s0, v46
	s_cbranch_execz .LBB635_340
.LBB635_355:                            ;   in Loop: Header=BB635_316 Depth=2
	v_xor_b32_e32 v19, 0x80000000, v16
	s_delay_alu instid0(VALU_DEP_1) | instskip(NEXT) | instid1(VALU_DEP_1)
	v_lshrrev_b32_e32 v19, s31, v19
	v_and_b32_e32 v19, s48, v19
	s_delay_alu instid0(VALU_DEP_1) | instskip(SKIP_3) | instid1(SALU_CYCLE_1)
	v_lshl_or_b32 v19, v19, 4, v62
	ds_add_u32 v19, v84
	s_wait_alu 0xfffe
	s_or_b32 exec_lo, exec_lo, s1
	s_mov_b32 s1, exec_lo
	v_cmpx_gt_u32_e64 s0, v47
	s_cbranch_execz .LBB635_341
.LBB635_356:                            ;   in Loop: Header=BB635_316 Depth=2
	v_xor_b32_e32 v19, 0x80000000, v15
	s_delay_alu instid0(VALU_DEP_1) | instskip(NEXT) | instid1(VALU_DEP_1)
	v_lshrrev_b32_e32 v19, s31, v19
	v_and_b32_e32 v19, s48, v19
	s_delay_alu instid0(VALU_DEP_1) | instskip(SKIP_3) | instid1(SALU_CYCLE_1)
	v_lshl_or_b32 v19, v19, 4, v62
	ds_add_u32 v19, v84
	s_wait_alu 0xfffe
	s_or_b32 exec_lo, exec_lo, s1
	s_mov_b32 s1, exec_lo
	v_cmpx_gt_u32_e64 s0, v50
	s_cbranch_execz .LBB635_342
.LBB635_357:                            ;   in Loop: Header=BB635_316 Depth=2
	v_xor_b32_e32 v19, 0x80000000, v14
	s_delay_alu instid0(VALU_DEP_1) | instskip(NEXT) | instid1(VALU_DEP_1)
	v_lshrrev_b32_e32 v19, s31, v19
	v_and_b32_e32 v19, s48, v19
	s_delay_alu instid0(VALU_DEP_1) | instskip(SKIP_3) | instid1(SALU_CYCLE_1)
	v_lshl_or_b32 v19, v19, 4, v62
	ds_add_u32 v19, v84
	s_wait_alu 0xfffe
	s_or_b32 exec_lo, exec_lo, s1
	s_mov_b32 s1, exec_lo
	v_cmpx_gt_u32_e64 s0, v51
	s_cbranch_execz .LBB635_343
.LBB635_358:                            ;   in Loop: Header=BB635_316 Depth=2
	v_xor_b32_e32 v19, 0x80000000, v13
	s_delay_alu instid0(VALU_DEP_1) | instskip(NEXT) | instid1(VALU_DEP_1)
	v_lshrrev_b32_e32 v19, s31, v19
	v_and_b32_e32 v19, s48, v19
	s_delay_alu instid0(VALU_DEP_1) | instskip(SKIP_3) | instid1(SALU_CYCLE_1)
	v_lshl_or_b32 v19, v19, 4, v62
	ds_add_u32 v19, v84
	s_wait_alu 0xfffe
	s_or_b32 exec_lo, exec_lo, s1
	s_mov_b32 s1, exec_lo
	v_cmpx_gt_u32_e64 s0, v52
	s_cbranch_execz .LBB635_344
.LBB635_359:                            ;   in Loop: Header=BB635_316 Depth=2
	v_xor_b32_e32 v19, 0x80000000, v12
	s_delay_alu instid0(VALU_DEP_1) | instskip(NEXT) | instid1(VALU_DEP_1)
	v_lshrrev_b32_e32 v19, s31, v19
	v_and_b32_e32 v19, s48, v19
	s_delay_alu instid0(VALU_DEP_1) | instskip(SKIP_3) | instid1(SALU_CYCLE_1)
	v_lshl_or_b32 v19, v19, 4, v62
	ds_add_u32 v19, v84
	s_wait_alu 0xfffe
	s_or_b32 exec_lo, exec_lo, s1
	s_mov_b32 s1, exec_lo
	v_cmpx_gt_u32_e64 s0, v53
	s_cbranch_execz .LBB635_345
.LBB635_360:                            ;   in Loop: Header=BB635_316 Depth=2
	v_xor_b32_e32 v19, 0x80000000, v11
	s_delay_alu instid0(VALU_DEP_1) | instskip(NEXT) | instid1(VALU_DEP_1)
	v_lshrrev_b32_e32 v19, s31, v19
	v_and_b32_e32 v19, s48, v19
	s_delay_alu instid0(VALU_DEP_1) | instskip(SKIP_3) | instid1(SALU_CYCLE_1)
	v_lshl_or_b32 v19, v19, 4, v62
	ds_add_u32 v19, v84
	s_wait_alu 0xfffe
	s_or_b32 exec_lo, exec_lo, s1
	s_mov_b32 s1, exec_lo
	v_cmpx_gt_u32_e64 s0, v54
	s_cbranch_execz .LBB635_346
.LBB635_361:                            ;   in Loop: Header=BB635_316 Depth=2
	v_xor_b32_e32 v19, 0x80000000, v10
	s_delay_alu instid0(VALU_DEP_1) | instskip(NEXT) | instid1(VALU_DEP_1)
	v_lshrrev_b32_e32 v19, s31, v19
	v_and_b32_e32 v19, s48, v19
	s_delay_alu instid0(VALU_DEP_1) | instskip(SKIP_3) | instid1(SALU_CYCLE_1)
	v_lshl_or_b32 v19, v19, 4, v62
	ds_add_u32 v19, v84
	s_wait_alu 0xfffe
	s_or_b32 exec_lo, exec_lo, s1
	s_mov_b32 s1, exec_lo
	v_cmpx_gt_u32_e64 s0, v55
	s_cbranch_execz .LBB635_347
.LBB635_362:                            ;   in Loop: Header=BB635_316 Depth=2
	v_xor_b32_e32 v19, 0x80000000, v9
	s_delay_alu instid0(VALU_DEP_1) | instskip(NEXT) | instid1(VALU_DEP_1)
	v_lshrrev_b32_e32 v19, s31, v19
	v_and_b32_e32 v19, s48, v19
	s_delay_alu instid0(VALU_DEP_1) | instskip(SKIP_3) | instid1(SALU_CYCLE_1)
	v_lshl_or_b32 v19, v19, 4, v62
	ds_add_u32 v19, v84
	s_wait_alu 0xfffe
	s_or_b32 exec_lo, exec_lo, s1
	s_mov_b32 s1, exec_lo
	v_cmpx_gt_u32_e64 s0, v56
	s_cbranch_execz .LBB635_348
.LBB635_363:                            ;   in Loop: Header=BB635_316 Depth=2
	v_xor_b32_e32 v19, 0x80000000, v8
	s_delay_alu instid0(VALU_DEP_1) | instskip(NEXT) | instid1(VALU_DEP_1)
	v_lshrrev_b32_e32 v19, s31, v19
	v_and_b32_e32 v19, s48, v19
	s_delay_alu instid0(VALU_DEP_1) | instskip(SKIP_3) | instid1(SALU_CYCLE_1)
	v_lshl_or_b32 v19, v19, 4, v62
	ds_add_u32 v19, v84
	s_wait_alu 0xfffe
	s_or_b32 exec_lo, exec_lo, s1
	s_mov_b32 s1, exec_lo
	v_cmpx_gt_u32_e64 s0, v57
	s_cbranch_execz .LBB635_349
.LBB635_364:                            ;   in Loop: Header=BB635_316 Depth=2
	v_xor_b32_e32 v19, 0x80000000, v7
	s_delay_alu instid0(VALU_DEP_1) | instskip(NEXT) | instid1(VALU_DEP_1)
	v_lshrrev_b32_e32 v19, s31, v19
	v_and_b32_e32 v19, s48, v19
	s_delay_alu instid0(VALU_DEP_1) | instskip(SKIP_3) | instid1(SALU_CYCLE_1)
	v_lshl_or_b32 v19, v19, 4, v62
	ds_add_u32 v19, v84
	s_wait_alu 0xfffe
	s_or_b32 exec_lo, exec_lo, s1
	s_mov_b32 s1, exec_lo
	v_cmpx_gt_u32_e64 s0, v58
	s_cbranch_execz .LBB635_350
.LBB635_365:                            ;   in Loop: Header=BB635_316 Depth=2
	v_xor_b32_e32 v19, 0x80000000, v6
	s_delay_alu instid0(VALU_DEP_1) | instskip(NEXT) | instid1(VALU_DEP_1)
	v_lshrrev_b32_e32 v19, s31, v19
	v_and_b32_e32 v19, s48, v19
	s_delay_alu instid0(VALU_DEP_1) | instskip(SKIP_3) | instid1(SALU_CYCLE_1)
	v_lshl_or_b32 v19, v19, 4, v62
	ds_add_u32 v19, v84
	s_wait_alu 0xfffe
	s_or_b32 exec_lo, exec_lo, s1
	s_mov_b32 s1, exec_lo
	v_cmpx_gt_u32_e64 s0, v59
	s_cbranch_execz .LBB635_351
.LBB635_366:                            ;   in Loop: Header=BB635_316 Depth=2
	v_xor_b32_e32 v19, 0x80000000, v5
	s_delay_alu instid0(VALU_DEP_1) | instskip(NEXT) | instid1(VALU_DEP_1)
	v_lshrrev_b32_e32 v19, s31, v19
	v_and_b32_e32 v19, s48, v19
	s_delay_alu instid0(VALU_DEP_1) | instskip(SKIP_3) | instid1(SALU_CYCLE_1)
	v_lshl_or_b32 v19, v19, 4, v62
	ds_add_u32 v19, v84
	s_wait_alu 0xfffe
	s_or_b32 exec_lo, exec_lo, s1
	s_mov_b32 s1, exec_lo
	v_cmpx_gt_u32_e64 s0, v60
	s_cbranch_execz .LBB635_352
.LBB635_367:                            ;   in Loop: Header=BB635_316 Depth=2
	v_xor_b32_e32 v19, 0x80000000, v4
	s_delay_alu instid0(VALU_DEP_1) | instskip(NEXT) | instid1(VALU_DEP_1)
	v_lshrrev_b32_e32 v19, s31, v19
	v_and_b32_e32 v19, s48, v19
	s_delay_alu instid0(VALU_DEP_1)
	v_lshl_or_b32 v19, v19, 4, v62
	ds_add_u32 v19, v84
	s_wait_alu 0xfffe
	s_or_b32 exec_lo, exec_lo, s1
	v_cmp_gt_u32_e32 vcc_lo, s0, v61
	s_and_saveexec_b32 s0, vcc_lo
	s_cbranch_execz .LBB635_315
.LBB635_368:                            ;   in Loop: Header=BB635_316 Depth=2
	v_xor_b32_e32 v19, 0x80000000, v2
	s_delay_alu instid0(VALU_DEP_1) | instskip(NEXT) | instid1(VALU_DEP_1)
	v_lshrrev_b32_e32 v19, s31, v19
	v_and_b32_e32 v19, s48, v19
	s_delay_alu instid0(VALU_DEP_1)
	v_lshl_or_b32 v19, v19, 4, v62
	ds_add_u32 v19, v84
	s_branch .LBB635_315
.LBB635_369:                            ;   in Loop: Header=BB635_316 Depth=2
	global_load_b32 v18, v108, s[0:1]
	s_or_b32 exec_lo, exec_lo, s11
	s_delay_alu instid0(SALU_CYCLE_1)
	s_mov_b32 s11, exec_lo
	v_cmpx_gt_u32_e64 s9, v45
	s_cbranch_execz .LBB635_321
.LBB635_370:                            ;   in Loop: Header=BB635_316 Depth=2
	global_load_b32 v17, v108, s[0:1] offset:1024
	s_wait_alu 0xfffe
	s_or_b32 exec_lo, exec_lo, s11
	s_delay_alu instid0(SALU_CYCLE_1)
	s_mov_b32 s11, exec_lo
	v_cmpx_gt_u32_e64 s9, v46
	s_cbranch_execz .LBB635_322
.LBB635_371:                            ;   in Loop: Header=BB635_316 Depth=2
	global_load_b32 v16, v108, s[0:1] offset:2048
	s_wait_alu 0xfffe
	s_or_b32 exec_lo, exec_lo, s11
	s_delay_alu instid0(SALU_CYCLE_1)
	s_mov_b32 s11, exec_lo
	v_cmpx_gt_u32_e64 s9, v47
	s_cbranch_execz .LBB635_323
.LBB635_372:                            ;   in Loop: Header=BB635_316 Depth=2
	global_load_b32 v15, v108, s[0:1] offset:3072
	s_wait_alu 0xfffe
	s_or_b32 exec_lo, exec_lo, s11
	s_delay_alu instid0(SALU_CYCLE_1)
	s_mov_b32 s11, exec_lo
	v_cmpx_gt_u32_e64 s9, v50
	s_cbranch_execz .LBB635_324
.LBB635_373:                            ;   in Loop: Header=BB635_316 Depth=2
	global_load_b32 v14, v108, s[0:1] offset:4096
	s_wait_alu 0xfffe
	s_or_b32 exec_lo, exec_lo, s11
	s_delay_alu instid0(SALU_CYCLE_1)
	s_mov_b32 s11, exec_lo
	v_cmpx_gt_u32_e64 s9, v51
	s_cbranch_execz .LBB635_325
.LBB635_374:                            ;   in Loop: Header=BB635_316 Depth=2
	global_load_b32 v13, v108, s[0:1] offset:5120
	s_wait_alu 0xfffe
	s_or_b32 exec_lo, exec_lo, s11
	s_delay_alu instid0(SALU_CYCLE_1)
	s_mov_b32 s11, exec_lo
	v_cmpx_gt_u32_e64 s9, v52
	s_cbranch_execz .LBB635_326
.LBB635_375:                            ;   in Loop: Header=BB635_316 Depth=2
	global_load_b32 v12, v108, s[0:1] offset:6144
	s_wait_alu 0xfffe
	s_or_b32 exec_lo, exec_lo, s11
	s_delay_alu instid0(SALU_CYCLE_1)
	s_mov_b32 s11, exec_lo
	v_cmpx_gt_u32_e64 s9, v53
	s_cbranch_execz .LBB635_327
.LBB635_376:                            ;   in Loop: Header=BB635_316 Depth=2
	global_load_b32 v11, v108, s[0:1] offset:7168
	s_wait_alu 0xfffe
	s_or_b32 exec_lo, exec_lo, s11
	s_delay_alu instid0(SALU_CYCLE_1)
	s_mov_b32 s11, exec_lo
	v_cmpx_gt_u32_e64 s9, v54
	s_cbranch_execz .LBB635_328
.LBB635_377:                            ;   in Loop: Header=BB635_316 Depth=2
	global_load_b32 v10, v108, s[0:1] offset:8192
	s_wait_alu 0xfffe
	s_or_b32 exec_lo, exec_lo, s11
	s_delay_alu instid0(SALU_CYCLE_1)
	s_mov_b32 s11, exec_lo
	v_cmpx_gt_u32_e64 s9, v55
	s_cbranch_execz .LBB635_329
.LBB635_378:                            ;   in Loop: Header=BB635_316 Depth=2
	global_load_b32 v9, v108, s[0:1] offset:9216
	s_wait_alu 0xfffe
	s_or_b32 exec_lo, exec_lo, s11
	s_delay_alu instid0(SALU_CYCLE_1)
	s_mov_b32 s11, exec_lo
	v_cmpx_gt_u32_e64 s9, v56
	s_cbranch_execz .LBB635_330
.LBB635_379:                            ;   in Loop: Header=BB635_316 Depth=2
	global_load_b32 v8, v108, s[0:1] offset:10240
	s_wait_alu 0xfffe
	s_or_b32 exec_lo, exec_lo, s11
	s_delay_alu instid0(SALU_CYCLE_1)
	s_mov_b32 s11, exec_lo
	v_cmpx_gt_u32_e64 s9, v57
	s_cbranch_execz .LBB635_331
.LBB635_380:                            ;   in Loop: Header=BB635_316 Depth=2
	global_load_b32 v7, v108, s[0:1] offset:11264
	s_wait_alu 0xfffe
	s_or_b32 exec_lo, exec_lo, s11
	s_delay_alu instid0(SALU_CYCLE_1)
	s_mov_b32 s11, exec_lo
	v_cmpx_gt_u32_e64 s9, v58
	s_cbranch_execz .LBB635_332
.LBB635_381:                            ;   in Loop: Header=BB635_316 Depth=2
	global_load_b32 v6, v108, s[0:1] offset:12288
	s_wait_alu 0xfffe
	s_or_b32 exec_lo, exec_lo, s11
	s_delay_alu instid0(SALU_CYCLE_1)
	s_mov_b32 s11, exec_lo
	v_cmpx_gt_u32_e64 s9, v59
	s_cbranch_execz .LBB635_333
.LBB635_382:                            ;   in Loop: Header=BB635_316 Depth=2
	global_load_b32 v5, v108, s[0:1] offset:13312
	s_wait_alu 0xfffe
	s_or_b32 exec_lo, exec_lo, s11
	s_delay_alu instid0(SALU_CYCLE_1)
	s_mov_b32 s11, exec_lo
	v_cmpx_gt_u32_e64 s9, v60
	s_cbranch_execz .LBB635_334
.LBB635_383:                            ;   in Loop: Header=BB635_316 Depth=2
	global_load_b32 v4, v108, s[0:1] offset:14336
	s_wait_alu 0xfffe
	s_or_b32 exec_lo, exec_lo, s11
	s_delay_alu instid0(SALU_CYCLE_1)
	s_mov_b32 s11, exec_lo
	v_cmpx_gt_u32_e64 s9, v61
	s_cbranch_execnz .LBB635_335
	s_branch .LBB635_336
.LBB635_384:                            ;   in Loop: Header=BB635_20 Depth=1
	v_mov_b32_e32 v2, 0
	s_wait_dscnt 0x0
	s_barrier_signal -1
	s_barrier_wait -1
	global_inv scope:SCOPE_SE
	s_and_saveexec_b32 s0, s2
	s_cbranch_execz .LBB635_386
; %bb.385:                              ;   in Loop: Header=BB635_20 Depth=1
	ds_load_2addr_b64 v[4:7], v64 offset1:1
	s_wait_dscnt 0x0
	v_add_nc_u32_e32 v2, v5, v4
	s_delay_alu instid0(VALU_DEP_1)
	v_add3_u32 v2, v2, v6, v7
.LBB635_386:                            ;   in Loop: Header=BB635_20 Depth=1
	s_wait_alu 0xfffe
	s_or_b32 exec_lo, exec_lo, s0
	s_delay_alu instid0(VALU_DEP_1)
	v_mov_b32_dpp v4, v2 row_shr:1 row_mask:0xf bank_mask:0xf
	v_cmp_eq_u32_e64 s0, 0, v85
	v_cmp_lt_u32_e64 s1, 1, v85
	v_cmp_lt_u32_e64 s9, 3, v85
	;; [unrolled: 1-line block ×3, first 2 shown]
	v_cmp_eq_u32_e64 s11, 0, v87
	s_wait_alu 0xf1ff
	v_cndmask_b32_e64 v4, v4, 0, s0
	s_delay_alu instid0(VALU_DEP_1) | instskip(NEXT) | instid1(VALU_DEP_1)
	v_add_nc_u32_e32 v2, v4, v2
	v_mov_b32_dpp v4, v2 row_shr:2 row_mask:0xf bank_mask:0xf
	s_delay_alu instid0(VALU_DEP_1) | instskip(NEXT) | instid1(VALU_DEP_1)
	v_cndmask_b32_e64 v4, 0, v4, s1
	v_add_nc_u32_e32 v2, v2, v4
	s_delay_alu instid0(VALU_DEP_1) | instskip(NEXT) | instid1(VALU_DEP_1)
	v_mov_b32_dpp v4, v2 row_shr:4 row_mask:0xf bank_mask:0xf
	v_cndmask_b32_e64 v4, 0, v4, s9
	s_delay_alu instid0(VALU_DEP_1) | instskip(NEXT) | instid1(VALU_DEP_1)
	v_add_nc_u32_e32 v2, v2, v4
	v_mov_b32_dpp v4, v2 row_shr:8 row_mask:0xf bank_mask:0xf
	s_delay_alu instid0(VALU_DEP_1) | instskip(NEXT) | instid1(VALU_DEP_1)
	v_cndmask_b32_e64 v4, 0, v4, s10
	v_add_nc_u32_e32 v2, v2, v4
	ds_swizzle_b32 v4, v2 offset:swizzle(BROADCAST,32,15)
	s_wait_dscnt 0x0
	v_and_b32_e32 v4, v86, v4
	s_delay_alu instid0(VALU_DEP_1)
	v_add_nc_u32_e32 v2, v2, v4
	s_and_saveexec_b32 s12, s3
; %bb.387:                              ;   in Loop: Header=BB635_20 Depth=1
	ds_store_b32 v65, v2
; %bb.388:                              ;   in Loop: Header=BB635_20 Depth=1
	s_wait_alu 0xfffe
	s_or_b32 exec_lo, exec_lo, s12
	s_wait_loadcnt_dscnt 0x0
	s_barrier_signal -1
	s_barrier_wait -1
	global_inv scope:SCOPE_SE
	s_and_saveexec_b32 s12, s4
	s_cbranch_execz .LBB635_390
; %bb.389:                              ;   in Loop: Header=BB635_20 Depth=1
	ds_load_b32 v4, v66
	v_cmp_ne_u32_e32 vcc_lo, 0, v89
	s_wait_dscnt 0x0
	v_mov_b32_dpp v5, v4 row_shr:1 row_mask:0xf bank_mask:0xf
	s_wait_alu 0xfffd
	s_delay_alu instid0(VALU_DEP_1) | instskip(SKIP_1) | instid1(VALU_DEP_2)
	v_cndmask_b32_e32 v5, 0, v5, vcc_lo
	v_cmp_lt_u32_e32 vcc_lo, 1, v89
	v_add_nc_u32_e32 v4, v5, v4
	s_delay_alu instid0(VALU_DEP_1) | instskip(SKIP_1) | instid1(VALU_DEP_1)
	v_mov_b32_dpp v5, v4 row_shr:2 row_mask:0xf bank_mask:0xf
	s_wait_alu 0xfffd
	v_cndmask_b32_e32 v5, 0, v5, vcc_lo
	v_cmp_lt_u32_e32 vcc_lo, 3, v89
	s_delay_alu instid0(VALU_DEP_2) | instskip(NEXT) | instid1(VALU_DEP_1)
	v_add_nc_u32_e32 v4, v4, v5
	v_mov_b32_dpp v5, v4 row_shr:4 row_mask:0xf bank_mask:0xf
	s_wait_alu 0xfffd
	s_delay_alu instid0(VALU_DEP_1) | instskip(NEXT) | instid1(VALU_DEP_1)
	v_cndmask_b32_e32 v5, 0, v5, vcc_lo
	v_add_nc_u32_e32 v4, v4, v5
	ds_store_b32 v66, v4
.LBB635_390:                            ;   in Loop: Header=BB635_20 Depth=1
	s_wait_alu 0xfffe
	s_or_b32 exec_lo, exec_lo, s12
	v_mov_b32_e32 v4, 0
	s_wait_loadcnt_dscnt 0x0
	s_barrier_signal -1
	s_barrier_wait -1
	global_inv scope:SCOPE_SE
	s_and_saveexec_b32 s12, s5
; %bb.391:                              ;   in Loop: Header=BB635_20 Depth=1
	ds_load_b32 v4, v68
; %bb.392:                              ;   in Loop: Header=BB635_20 Depth=1
	s_wait_alu 0xfffe
	s_or_b32 exec_lo, exec_lo, s12
	v_cmp_gt_i32_e32 vcc_lo, 0, v90
	s_wait_loadcnt_dscnt 0x0
	s_barrier_signal -1
	s_barrier_wait -1
	global_inv scope:SCOPE_SE
	s_wait_alu 0xfffd
	v_dual_cndmask_b32 v5, v90, v81 :: v_dual_add_nc_u32 v2, v4, v2
	s_delay_alu instid0(VALU_DEP_1)
	v_lshlrev_b32_e32 v113, 2, v5
	ds_bpermute_b32 v2, v113, v2
	s_and_saveexec_b32 s12, s2
	s_cbranch_execz .LBB635_394
; %bb.393:                              ;   in Loop: Header=BB635_20 Depth=1
	s_wait_dscnt 0x0
	v_cndmask_b32_e64 v2, v2, v4, s8
	s_delay_alu instid0(VALU_DEP_1)
	v_add_nc_u32_e32 v2, s33, v2
	ds_store_b32 v44, v2
.LBB635_394:                            ;   in Loop: Header=BB635_20 Depth=1
	s_wait_alu 0xfffe
	s_or_b32 exec_lo, exec_lo, s12
	s_load_b64 s[12:13], s[34:35], 0x0
	v_add_co_u32 v114, vcc_lo, v73, v91
	s_wait_alu 0xfffd
	v_add_co_ci_u32_e64 v115, null, 0, v74, vcc_lo
	v_add_co_u32 v116, vcc_lo, v75, v107
	s_wait_alu 0xfffd
	v_add_co_ci_u32_e64 v117, null, 0, v76, vcc_lo
	s_mov_b32 s54, s53
                                        ; implicit-def: $vgpr6_vgpr7
                                        ; implicit-def: $vgpr8_vgpr9
                                        ; implicit-def: $vgpr10_vgpr11
                                        ; implicit-def: $vgpr12_vgpr13
                                        ; implicit-def: $vgpr14_vgpr15
                                        ; implicit-def: $vgpr16_vgpr17
                                        ; implicit-def: $vgpr18_vgpr19
                                        ; implicit-def: $vgpr20_vgpr21
                                        ; implicit-def: $vgpr22_vgpr23
                                        ; implicit-def: $vgpr24_vgpr25
                                        ; implicit-def: $vgpr26_vgpr27
                                        ; implicit-def: $vgpr28_vgpr29
                                        ; implicit-def: $vgpr30_vgpr31
                                        ; implicit-def: $vgpr32_vgpr33
                                        ; implicit-def: $vgpr34_vgpr35
                                        ; implicit-def: $vgpr119
                                        ; implicit-def: $vgpr120
                                        ; implicit-def: $vgpr121
                                        ; implicit-def: $vgpr122
                                        ; implicit-def: $vgpr123
                                        ; implicit-def: $vgpr124
                                        ; implicit-def: $vgpr125
                                        ; implicit-def: $vgpr126
                                        ; implicit-def: $vgpr127
                                        ; implicit-def: $vgpr128
                                        ; implicit-def: $vgpr129
                                        ; implicit-def: $vgpr130
                                        ; implicit-def: $vgpr131
                                        ; implicit-def: $vgpr132
                                        ; implicit-def: $vgpr133
                                        ; implicit-def: $vgpr134
	s_wait_kmcnt 0x0
	s_cmp_lt_u32 ttmp7, s13
	s_cselect_b32 s42, 14, 20
	s_cmp_lt_u32 ttmp9, s12
	s_wait_alu 0xfffe
	s_add_nc_u64 s[14:15], s[34:35], s[42:43]
	s_cselect_b32 s42, 12, 18
	s_load_u16 s14, s[14:15], 0x0
	s_add_nc_u64 s[12:13], s[34:35], s[42:43]
	s_mov_b32 s42, s33
	s_load_u16 s12, s[12:13], 0x0
	v_cmp_lt_u32_e64 s13, 1, v89
	s_wait_dscnt 0x0
	s_wait_kmcnt 0x0
	v_mad_u32_u24 v2, v69, s14, v0
	v_cmp_lt_u32_e64 s14, 3, v89
	s_delay_alu instid0(VALU_DEP_2) | instskip(SKIP_1) | instid1(VALU_DEP_2)
	v_mad_co_u64_u32 v[4:5], null, v2, s12, v[1:2]
	v_cmp_eq_u32_e64 s12, 0, v89
	v_lshrrev_b32_e32 v2, 3, v4
                                        ; implicit-def: $vgpr4_vgpr5
	s_delay_alu instid0(VALU_DEP_1)
	v_and_b32_e32 v118, 0x1ffffffc, v2
	s_branch .LBB635_396
.LBB635_395:                            ;   in Loop: Header=BB635_396 Depth=2
	s_wait_alu 0xfffe
	s_or_b32 exec_lo, exec_lo, s15
	s_addk_co_i32 s54, 0xf000
	s_cmp_lt_u32 s55, s51
	s_mov_b32 s42, s55
	s_cbranch_scc0 .LBB635_604
.LBB635_396:                            ;   Parent Loop BB635_20 Depth=1
                                        ; =>  This Inner Loop Header: Depth=2
	s_wait_alu 0xfffe
	s_add_co_i32 s55, s42, 0x1000
	s_wait_alu 0xfffe
	s_cmp_gt_u32 s55, s51
	s_cbranch_scc1 .LBB635_398
; %bb.397:                              ;   in Loop: Header=BB635_396 Depth=2
	s_lshl_b64 s[16:17], s[42:43], 2
	s_mov_b32 s15, -1
	s_wait_alu 0xfffe
	v_add_co_u32 v36, vcc_lo, v116, s16
	s_wait_alu 0xfffd
	v_add_co_ci_u32_e64 v37, null, s17, v117, vcc_lo
	s_clause 0xe
	global_load_b32 v136, v[36:37], off
	global_load_b32 v137, v[36:37], off offset:128
	global_load_b32 v144, v[36:37], off offset:256
	;; [unrolled: 1-line block ×14, first 2 shown]
	s_movk_i32 s16, 0x1000
	s_cbranch_execz .LBB635_399
	s_branch .LBB635_430
.LBB635_398:                            ;   in Loop: Header=BB635_396 Depth=2
	s_mov_b32 s15, 0
                                        ; implicit-def: $vgpr136
                                        ; implicit-def: $vgpr137
                                        ; implicit-def: $vgpr144
                                        ; implicit-def: $vgpr148
                                        ; implicit-def: $vgpr152
                                        ; implicit-def: $vgpr156
                                        ; implicit-def: $vgpr160
                                        ; implicit-def: $vgpr164
                                        ; implicit-def: $vgpr167
                                        ; implicit-def: $vgpr43
                                        ; implicit-def: $vgpr42
                                        ; implicit-def: $vgpr41
                                        ; implicit-def: $vgpr40
                                        ; implicit-def: $vgpr39
                                        ; implicit-def: $vgpr38
	s_movk_i32 s16, 0x1000
.LBB635_399:                            ;   in Loop: Header=BB635_396 Depth=2
	s_lshl_b64 s[16:17], s[42:43], 2
	s_wait_loadcnt 0xd
	v_bfrev_b32_e32 v137, -2
	s_wait_alu 0xfffe
	v_add_co_u32 v36, vcc_lo, v116, s16
	s_wait_alu 0xfffd
	v_add_co_ci_u32_e64 v37, null, s17, v117, vcc_lo
	v_bfrev_b32_e32 v136, -2
	s_mov_b32 s15, exec_lo
	v_cmpx_gt_u32_e64 s54, v88
	s_cbranch_execz .LBB635_401
; %bb.400:                              ;   in Loop: Header=BB635_396 Depth=2
	global_load_b32 v136, v[36:37], off
.LBB635_401:                            ;   in Loop: Header=BB635_396 Depth=2
	s_wait_alu 0xfffe
	s_or_b32 exec_lo, exec_lo, s15
	s_delay_alu instid0(SALU_CYCLE_1)
	s_mov_b32 s15, exec_lo
	v_cmpx_gt_u32_e64 s54, v92
	s_cbranch_execz .LBB635_403
; %bb.402:                              ;   in Loop: Header=BB635_396 Depth=2
	global_load_b32 v137, v[36:37], off offset:128
.LBB635_403:                            ;   in Loop: Header=BB635_396 Depth=2
	s_wait_alu 0xfffe
	s_or_b32 exec_lo, exec_lo, s15
	s_wait_loadcnt 0xb
	v_bfrev_b32_e32 v148, -2
	v_bfrev_b32_e32 v144, -2
	s_mov_b32 s15, exec_lo
	v_cmpx_gt_u32_e64 s54, v93
	s_cbranch_execz .LBB635_405
; %bb.404:                              ;   in Loop: Header=BB635_396 Depth=2
	global_load_b32 v144, v[36:37], off offset:256
.LBB635_405:                            ;   in Loop: Header=BB635_396 Depth=2
	s_wait_alu 0xfffe
	s_or_b32 exec_lo, exec_lo, s15
	s_delay_alu instid0(SALU_CYCLE_1)
	s_mov_b32 s15, exec_lo
	v_cmpx_gt_u32_e64 s54, v94
	s_cbranch_execz .LBB635_407
; %bb.406:                              ;   in Loop: Header=BB635_396 Depth=2
	global_load_b32 v148, v[36:37], off offset:384
.LBB635_407:                            ;   in Loop: Header=BB635_396 Depth=2
	s_wait_alu 0xfffe
	s_or_b32 exec_lo, exec_lo, s15
	s_wait_loadcnt 0x9
	v_bfrev_b32_e32 v156, -2
	v_bfrev_b32_e32 v152, -2
	s_mov_b32 s15, exec_lo
	v_cmpx_gt_u32_e64 s54, v95
	s_cbranch_execz .LBB635_409
; %bb.408:                              ;   in Loop: Header=BB635_396 Depth=2
	global_load_b32 v152, v[36:37], off offset:512
.LBB635_409:                            ;   in Loop: Header=BB635_396 Depth=2
	s_wait_alu 0xfffe
	s_or_b32 exec_lo, exec_lo, s15
	s_delay_alu instid0(SALU_CYCLE_1)
	s_mov_b32 s15, exec_lo
	v_cmpx_gt_u32_e64 s54, v96
	s_cbranch_execz .LBB635_411
; %bb.410:                              ;   in Loop: Header=BB635_396 Depth=2
	global_load_b32 v156, v[36:37], off offset:640
.LBB635_411:                            ;   in Loop: Header=BB635_396 Depth=2
	s_wait_alu 0xfffe
	s_or_b32 exec_lo, exec_lo, s15
	s_wait_loadcnt 0x7
	v_bfrev_b32_e32 v164, -2
	v_bfrev_b32_e32 v160, -2
	s_mov_b32 s15, exec_lo
	v_cmpx_gt_u32_e64 s54, v97
	s_cbranch_execz .LBB635_413
; %bb.412:                              ;   in Loop: Header=BB635_396 Depth=2
	global_load_b32 v160, v[36:37], off offset:768
.LBB635_413:                            ;   in Loop: Header=BB635_396 Depth=2
	s_wait_alu 0xfffe
	s_or_b32 exec_lo, exec_lo, s15
	s_delay_alu instid0(SALU_CYCLE_1)
	s_mov_b32 s15, exec_lo
	v_cmpx_gt_u32_e64 s54, v98
	s_cbranch_execz .LBB635_415
; %bb.414:                              ;   in Loop: Header=BB635_396 Depth=2
	global_load_b32 v164, v[36:37], off offset:896
.LBB635_415:                            ;   in Loop: Header=BB635_396 Depth=2
	s_wait_alu 0xfffe
	s_or_b32 exec_lo, exec_lo, s15
	s_wait_loadcnt 0x5
	v_bfrev_b32_e32 v43, -2
	v_bfrev_b32_e32 v167, -2
	s_mov_b32 s15, exec_lo
	v_cmpx_gt_u32_e64 s54, v99
	s_cbranch_execz .LBB635_417
; %bb.416:                              ;   in Loop: Header=BB635_396 Depth=2
	global_load_b32 v167, v[36:37], off offset:1024
.LBB635_417:                            ;   in Loop: Header=BB635_396 Depth=2
	s_wait_alu 0xfffe
	s_or_b32 exec_lo, exec_lo, s15
	s_delay_alu instid0(SALU_CYCLE_1)
	s_mov_b32 s15, exec_lo
	v_cmpx_gt_u32_e64 s54, v100
	s_cbranch_execz .LBB635_419
; %bb.418:                              ;   in Loop: Header=BB635_396 Depth=2
	global_load_b32 v43, v[36:37], off offset:1152
.LBB635_419:                            ;   in Loop: Header=BB635_396 Depth=2
	s_wait_alu 0xfffe
	s_or_b32 exec_lo, exec_lo, s15
	s_wait_loadcnt 0x3
	v_bfrev_b32_e32 v41, -2
	v_bfrev_b32_e32 v42, -2
	s_mov_b32 s15, exec_lo
	v_cmpx_gt_u32_e64 s54, v101
	s_cbranch_execz .LBB635_421
; %bb.420:                              ;   in Loop: Header=BB635_396 Depth=2
	global_load_b32 v42, v[36:37], off offset:1280
.LBB635_421:                            ;   in Loop: Header=BB635_396 Depth=2
	s_wait_alu 0xfffe
	s_or_b32 exec_lo, exec_lo, s15
	s_delay_alu instid0(SALU_CYCLE_1)
	s_mov_b32 s15, exec_lo
	v_cmpx_gt_u32_e64 s54, v102
	s_cbranch_execz .LBB635_423
; %bb.422:                              ;   in Loop: Header=BB635_396 Depth=2
	global_load_b32 v41, v[36:37], off offset:1408
.LBB635_423:                            ;   in Loop: Header=BB635_396 Depth=2
	s_wait_alu 0xfffe
	s_or_b32 exec_lo, exec_lo, s15
	s_wait_loadcnt 0x1
	v_bfrev_b32_e32 v39, -2
	v_bfrev_b32_e32 v40, -2
	s_mov_b32 s15, exec_lo
	v_cmpx_gt_u32_e64 s54, v103
	s_cbranch_execz .LBB635_425
; %bb.424:                              ;   in Loop: Header=BB635_396 Depth=2
	global_load_b32 v40, v[36:37], off offset:1536
.LBB635_425:                            ;   in Loop: Header=BB635_396 Depth=2
	s_wait_alu 0xfffe
	s_or_b32 exec_lo, exec_lo, s15
	s_delay_alu instid0(SALU_CYCLE_1)
	s_mov_b32 s15, exec_lo
	v_cmpx_gt_u32_e64 s54, v104
	s_cbranch_execz .LBB635_427
; %bb.426:                              ;   in Loop: Header=BB635_396 Depth=2
	global_load_b32 v39, v[36:37], off offset:1664
.LBB635_427:                            ;   in Loop: Header=BB635_396 Depth=2
	s_wait_alu 0xfffe
	s_or_b32 exec_lo, exec_lo, s15
	s_wait_loadcnt 0x0
	v_bfrev_b32_e32 v38, -2
	s_mov_b32 s15, exec_lo
	v_cmpx_gt_u32_e64 s54, v105
	s_cbranch_execz .LBB635_429
; %bb.428:                              ;   in Loop: Header=BB635_396 Depth=2
	global_load_b32 v38, v[36:37], off offset:1792
.LBB635_429:                            ;   in Loop: Header=BB635_396 Depth=2
	s_wait_alu 0xfffe
	s_or_b32 exec_lo, exec_lo, s15
	v_cmp_gt_u32_e64 s15, s54, v106
	s_sub_co_i32 s16, s51, s42
.LBB635_430:                            ;   in Loop: Header=BB635_396 Depth=2
	v_dual_mov_b32 v2, -1 :: v_dual_mov_b32 v135, s54
	s_and_saveexec_b32 s17, s15
	s_cbranch_execz .LBB635_432
; %bb.431:                              ;   in Loop: Header=BB635_396 Depth=2
	s_lshl_b64 s[18:19], s[42:43], 2
	s_wait_alu 0xfffe
	v_mov_b32_e32 v135, s16
	v_add_co_u32 v36, vcc_lo, v116, s18
	s_wait_alu 0xfffd
	v_add_co_ci_u32_e64 v37, null, s19, v117, vcc_lo
	global_load_b32 v2, v[36:37], off offset:1920
	s_wait_loadcnt 0x0
	v_xor_b32_e32 v2, 0x80000000, v2
.LBB635_432:                            ;   in Loop: Header=BB635_396 Depth=2
	s_wait_alu 0xfffe
	s_or_b32 exec_lo, exec_lo, s17
	s_wait_loadcnt 0xe
	v_xor_b32_e32 v136, 0x80000000, v136
	s_delay_alu instid0(VALU_DEP_1) | instskip(NEXT) | instid1(VALU_DEP_1)
	v_lshrrev_b32_e32 v36, s31, v136
	v_and_b32_e32 v37, s48, v36
	s_delay_alu instid0(VALU_DEP_1)
	v_and_b32_e32 v36, 1, v37
	v_lshlrev_b32_e32 v138, 30, v37
	v_lshlrev_b32_e32 v139, 29, v37
	;; [unrolled: 1-line block ×4, first 2 shown]
	v_add_co_u32 v36, s15, v36, -1
	s_wait_alu 0xf1ff
	v_cndmask_b32_e64 v141, 0, 1, s15
	v_not_b32_e32 v146, v138
	v_cmp_gt_i32_e64 s15, 0, v138
	v_not_b32_e32 v138, v139
	v_lshlrev_b32_e32 v143, 26, v37
	v_cmp_ne_u32_e32 vcc_lo, 0, v141
	v_ashrrev_i32_e32 v146, 31, v146
	v_lshlrev_b32_e32 v145, 25, v37
	v_ashrrev_i32_e32 v138, 31, v138
	v_lshlrev_b32_e32 v141, 24, v37
	s_wait_alu 0xfffd
	v_xor_b32_e32 v36, vcc_lo, v36
	v_cmp_gt_i32_e32 vcc_lo, 0, v139
	v_not_b32_e32 v139, v140
	s_wait_alu 0xf1ff
	v_xor_b32_e32 v146, s15, v146
	v_cmp_gt_i32_e64 s15, 0, v140
	v_and_b32_e32 v36, exec_lo, v36
	v_not_b32_e32 v140, v142
	v_ashrrev_i32_e32 v139, 31, v139
	s_wait_alu 0xfffd
	v_xor_b32_e32 v138, vcc_lo, v138
	v_cmp_gt_i32_e32 vcc_lo, 0, v142
	v_and_b32_e32 v36, v36, v146
	v_not_b32_e32 v142, v143
	v_ashrrev_i32_e32 v140, 31, v140
	s_wait_alu 0xf1ff
	v_xor_b32_e32 v139, s15, v139
	v_cmp_gt_i32_e64 s15, 0, v143
	v_and_b32_e32 v36, v36, v138
	v_not_b32_e32 v138, v145
	v_ashrrev_i32_e32 v142, 31, v142
	s_wait_alu 0xfffd
	v_xor_b32_e32 v140, vcc_lo, v140
	v_cmp_gt_i32_e32 vcc_lo, 0, v145
	v_and_b32_e32 v36, v36, v139
	v_not_b32_e32 v139, v141
	v_ashrrev_i32_e32 v138, 31, v138
	s_wait_alu 0xf1ff
	v_xor_b32_e32 v142, s15, v142
	v_cmp_gt_i32_e64 s15, 0, v141
	v_and_b32_e32 v36, v36, v140
	v_ashrrev_i32_e32 v139, 31, v139
	s_wait_alu 0xfffd
	v_xor_b32_e32 v138, vcc_lo, v138
	v_mul_u32_u24_e32 v37, 36, v37
	v_add_nc_u32_e32 v141, 0x428, v67
	v_and_b32_e32 v36, v36, v142
	s_wait_alu 0xf1ff
	v_xor_b32_e32 v140, s15, v139
	v_add_nc_u32_e32 v139, 0x438, v67
	v_add_nc_u32_e32 v142, 0x430, v67
	;; [unrolled: 1-line block ×3, first 2 shown]
	v_and_b32_e32 v36, v36, v138
	ds_store_2addr_b32 v139, v3, v3 offset1:1
	v_and_b32_e32 v36, v36, v140
	v_add_nc_u32_e32 v140, 0x420, v67
	ds_store_2addr_b32 v140, v3, v3 offset1:1
	ds_store_2addr_b32 v141, v3, v3 offset1:1
	ds_store_2addr_b32 v142, v3, v3 offset1:1
	ds_store_b32 v67, v3 offset:1088
	v_mbcnt_lo_u32_b32 v138, v36, 0
	v_cmp_ne_u32_e64 s15, 0, v36
	s_wait_loadcnt_dscnt 0x0
	s_barrier_signal -1
	s_barrier_wait -1
	v_cmp_eq_u32_e32 vcc_lo, 0, v138
	global_inv scope:SCOPE_SE
	; wave barrier
	s_and_b32 s16, s15, vcc_lo
	s_wait_alu 0xfffe
	s_and_saveexec_b32 s15, s16
; %bb.433:                              ;   in Loop: Header=BB635_396 Depth=2
	v_bcnt_u32_b32 v36, v36, 0
	ds_store_b32 v143, v36 offset:1056
; %bb.434:                              ;   in Loop: Header=BB635_396 Depth=2
	s_wait_alu 0xfffe
	s_or_b32 exec_lo, exec_lo, s15
	v_xor_b32_e32 v137, 0x80000000, v137
	; wave barrier
	s_delay_alu instid0(VALU_DEP_1) | instskip(NEXT) | instid1(VALU_DEP_1)
	v_lshrrev_b32_e32 v36, s31, v137
	v_and_b32_e32 v37, s48, v36
	s_delay_alu instid0(VALU_DEP_1)
	v_and_b32_e32 v36, 1, v37
	v_lshlrev_b32_e32 v145, 30, v37
	v_lshlrev_b32_e32 v146, 29, v37
	;; [unrolled: 1-line block ×4, first 2 shown]
	v_add_co_u32 v36, s15, v36, -1
	s_wait_alu 0xf1ff
	v_cndmask_b32_e64 v149, 0, 1, s15
	v_not_b32_e32 v154, v145
	v_cmp_gt_i32_e64 s15, 0, v145
	v_not_b32_e32 v145, v146
	v_lshlrev_b32_e32 v151, 26, v37
	v_cmp_ne_u32_e32 vcc_lo, 0, v149
	v_ashrrev_i32_e32 v154, 31, v154
	v_lshlrev_b32_e32 v153, 25, v37
	v_ashrrev_i32_e32 v145, 31, v145
	v_lshlrev_b32_e32 v149, 24, v37
	s_wait_alu 0xfffd
	v_xor_b32_e32 v36, vcc_lo, v36
	v_cmp_gt_i32_e32 vcc_lo, 0, v146
	v_not_b32_e32 v146, v147
	s_wait_alu 0xf1ff
	v_xor_b32_e32 v154, s15, v154
	v_cmp_gt_i32_e64 s15, 0, v147
	v_and_b32_e32 v36, exec_lo, v36
	v_not_b32_e32 v147, v150
	v_ashrrev_i32_e32 v146, 31, v146
	s_wait_alu 0xfffd
	v_xor_b32_e32 v145, vcc_lo, v145
	v_cmp_gt_i32_e32 vcc_lo, 0, v150
	v_and_b32_e32 v36, v36, v154
	v_not_b32_e32 v150, v151
	v_ashrrev_i32_e32 v147, 31, v147
	s_wait_alu 0xf1ff
	v_xor_b32_e32 v146, s15, v146
	v_cmp_gt_i32_e64 s15, 0, v151
	v_and_b32_e32 v36, v36, v145
	v_not_b32_e32 v145, v153
	v_ashrrev_i32_e32 v150, 31, v150
	s_wait_alu 0xfffd
	v_xor_b32_e32 v147, vcc_lo, v147
	v_cmp_gt_i32_e32 vcc_lo, 0, v153
	v_and_b32_e32 v36, v36, v146
	v_not_b32_e32 v146, v149
	v_ashrrev_i32_e32 v145, 31, v145
	s_wait_alu 0xf1ff
	v_xor_b32_e32 v150, s15, v150
	v_cmp_gt_i32_e64 s15, 0, v149
	v_and_b32_e32 v36, v36, v147
	v_ashrrev_i32_e32 v146, 31, v146
	s_wait_alu 0xfffd
	v_xor_b32_e32 v145, vcc_lo, v145
	v_mad_u32_u24 v147, v37, 36, v118
	v_mul_u32_u24_e32 v37, 36, v37
	v_and_b32_e32 v36, v36, v150
	s_wait_alu 0xf1ff
	v_xor_b32_e32 v146, s15, v146
	s_delay_alu instid0(VALU_DEP_2) | instskip(SKIP_3) | instid1(VALU_DEP_1)
	v_and_b32_e32 v36, v36, v145
	ds_load_b32 v145, v147 offset:1056
	v_add_nc_u32_e32 v147, v118, v37
	; wave barrier
	v_and_b32_e32 v36, v36, v146
	v_mbcnt_lo_u32_b32 v146, v36, 0
	v_cmp_ne_u32_e64 s15, 0, v36
	s_delay_alu instid0(VALU_DEP_2)
	v_cmp_eq_u32_e32 vcc_lo, 0, v146
	s_and_b32 s16, s15, vcc_lo
	s_wait_alu 0xfffe
	s_and_saveexec_b32 s15, s16
	s_cbranch_execz .LBB635_436
; %bb.435:                              ;   in Loop: Header=BB635_396 Depth=2
	s_wait_dscnt 0x0
	v_bcnt_u32_b32 v36, v36, v145
	ds_store_b32 v147, v36 offset:1056
.LBB635_436:                            ;   in Loop: Header=BB635_396 Depth=2
	s_wait_alu 0xfffe
	s_or_b32 exec_lo, exec_lo, s15
	v_xor_b32_e32 v144, 0x80000000, v144
	; wave barrier
	s_delay_alu instid0(VALU_DEP_1) | instskip(NEXT) | instid1(VALU_DEP_1)
	v_lshrrev_b32_e32 v36, s31, v144
	v_and_b32_e32 v37, s48, v36
	s_delay_alu instid0(VALU_DEP_1)
	v_and_b32_e32 v36, 1, v37
	v_lshlrev_b32_e32 v149, 30, v37
	v_lshlrev_b32_e32 v150, 29, v37
	;; [unrolled: 1-line block ×4, first 2 shown]
	v_add_co_u32 v36, s15, v36, -1
	s_wait_alu 0xf1ff
	v_cndmask_b32_e64 v153, 0, 1, s15
	v_not_b32_e32 v158, v149
	v_cmp_gt_i32_e64 s15, 0, v149
	v_not_b32_e32 v149, v150
	v_lshlrev_b32_e32 v155, 26, v37
	v_cmp_ne_u32_e32 vcc_lo, 0, v153
	v_ashrrev_i32_e32 v158, 31, v158
	v_lshlrev_b32_e32 v157, 25, v37
	v_ashrrev_i32_e32 v149, 31, v149
	v_lshlrev_b32_e32 v153, 24, v37
	s_wait_alu 0xfffd
	v_xor_b32_e32 v36, vcc_lo, v36
	v_cmp_gt_i32_e32 vcc_lo, 0, v150
	v_not_b32_e32 v150, v151
	s_wait_alu 0xf1ff
	v_xor_b32_e32 v158, s15, v158
	v_cmp_gt_i32_e64 s15, 0, v151
	v_and_b32_e32 v36, exec_lo, v36
	v_not_b32_e32 v151, v154
	v_ashrrev_i32_e32 v150, 31, v150
	s_wait_alu 0xfffd
	v_xor_b32_e32 v149, vcc_lo, v149
	v_cmp_gt_i32_e32 vcc_lo, 0, v154
	v_and_b32_e32 v36, v36, v158
	v_not_b32_e32 v154, v155
	v_ashrrev_i32_e32 v151, 31, v151
	s_wait_alu 0xf1ff
	v_xor_b32_e32 v150, s15, v150
	v_cmp_gt_i32_e64 s15, 0, v155
	v_and_b32_e32 v36, v36, v149
	v_not_b32_e32 v149, v157
	v_ashrrev_i32_e32 v154, 31, v154
	s_wait_alu 0xfffd
	v_xor_b32_e32 v151, vcc_lo, v151
	v_cmp_gt_i32_e32 vcc_lo, 0, v157
	v_and_b32_e32 v36, v36, v150
	v_not_b32_e32 v150, v153
	v_ashrrev_i32_e32 v149, 31, v149
	s_wait_alu 0xf1ff
	v_xor_b32_e32 v154, s15, v154
	v_cmp_gt_i32_e64 s15, 0, v153
	v_and_b32_e32 v36, v36, v151
	v_ashrrev_i32_e32 v150, 31, v150
	s_wait_alu 0xfffd
	v_xor_b32_e32 v149, vcc_lo, v149
	v_mad_u32_u24 v151, v37, 36, v118
	v_mul_u32_u24_e32 v37, 36, v37
	v_and_b32_e32 v36, v36, v154
	s_wait_alu 0xf1ff
	v_xor_b32_e32 v150, s15, v150
	s_delay_alu instid0(VALU_DEP_2) | instskip(SKIP_3) | instid1(VALU_DEP_1)
	v_and_b32_e32 v36, v36, v149
	ds_load_b32 v149, v151 offset:1056
	v_add_nc_u32_e32 v151, v118, v37
	; wave barrier
	v_and_b32_e32 v36, v36, v150
	v_mbcnt_lo_u32_b32 v150, v36, 0
	v_cmp_ne_u32_e64 s15, 0, v36
	s_delay_alu instid0(VALU_DEP_2)
	v_cmp_eq_u32_e32 vcc_lo, 0, v150
	s_and_b32 s16, s15, vcc_lo
	s_wait_alu 0xfffe
	s_and_saveexec_b32 s15, s16
	s_cbranch_execz .LBB635_438
; %bb.437:                              ;   in Loop: Header=BB635_396 Depth=2
	s_wait_dscnt 0x0
	v_bcnt_u32_b32 v36, v36, v149
	ds_store_b32 v151, v36 offset:1056
.LBB635_438:                            ;   in Loop: Header=BB635_396 Depth=2
	s_wait_alu 0xfffe
	s_or_b32 exec_lo, exec_lo, s15
	v_xor_b32_e32 v148, 0x80000000, v148
	; wave barrier
	s_delay_alu instid0(VALU_DEP_1) | instskip(NEXT) | instid1(VALU_DEP_1)
	v_lshrrev_b32_e32 v36, s31, v148
	v_and_b32_e32 v37, s48, v36
	s_delay_alu instid0(VALU_DEP_1)
	v_and_b32_e32 v36, 1, v37
	v_lshlrev_b32_e32 v153, 30, v37
	v_lshlrev_b32_e32 v154, 29, v37
	;; [unrolled: 1-line block ×4, first 2 shown]
	v_add_co_u32 v36, s15, v36, -1
	s_wait_alu 0xf1ff
	v_cndmask_b32_e64 v157, 0, 1, s15
	v_not_b32_e32 v162, v153
	v_cmp_gt_i32_e64 s15, 0, v153
	v_not_b32_e32 v153, v154
	v_lshlrev_b32_e32 v159, 26, v37
	v_cmp_ne_u32_e32 vcc_lo, 0, v157
	v_ashrrev_i32_e32 v162, 31, v162
	v_lshlrev_b32_e32 v161, 25, v37
	v_ashrrev_i32_e32 v153, 31, v153
	v_lshlrev_b32_e32 v157, 24, v37
	s_wait_alu 0xfffd
	v_xor_b32_e32 v36, vcc_lo, v36
	v_cmp_gt_i32_e32 vcc_lo, 0, v154
	v_not_b32_e32 v154, v155
	s_wait_alu 0xf1ff
	v_xor_b32_e32 v162, s15, v162
	v_cmp_gt_i32_e64 s15, 0, v155
	v_and_b32_e32 v36, exec_lo, v36
	v_not_b32_e32 v155, v158
	v_ashrrev_i32_e32 v154, 31, v154
	s_wait_alu 0xfffd
	v_xor_b32_e32 v153, vcc_lo, v153
	v_cmp_gt_i32_e32 vcc_lo, 0, v158
	v_and_b32_e32 v36, v36, v162
	v_not_b32_e32 v158, v159
	v_ashrrev_i32_e32 v155, 31, v155
	s_wait_alu 0xf1ff
	v_xor_b32_e32 v154, s15, v154
	v_cmp_gt_i32_e64 s15, 0, v159
	v_and_b32_e32 v36, v36, v153
	v_not_b32_e32 v153, v161
	v_ashrrev_i32_e32 v158, 31, v158
	s_wait_alu 0xfffd
	v_xor_b32_e32 v155, vcc_lo, v155
	v_cmp_gt_i32_e32 vcc_lo, 0, v161
	v_and_b32_e32 v36, v36, v154
	v_not_b32_e32 v154, v157
	v_ashrrev_i32_e32 v153, 31, v153
	s_wait_alu 0xf1ff
	v_xor_b32_e32 v158, s15, v158
	v_cmp_gt_i32_e64 s15, 0, v157
	v_and_b32_e32 v36, v36, v155
	v_ashrrev_i32_e32 v154, 31, v154
	s_wait_alu 0xfffd
	v_xor_b32_e32 v153, vcc_lo, v153
	v_mad_u32_u24 v155, v37, 36, v118
	v_mul_u32_u24_e32 v37, 36, v37
	v_and_b32_e32 v36, v36, v158
	s_wait_alu 0xf1ff
	v_xor_b32_e32 v154, s15, v154
	s_delay_alu instid0(VALU_DEP_2) | instskip(SKIP_3) | instid1(VALU_DEP_1)
	v_and_b32_e32 v36, v36, v153
	ds_load_b32 v153, v155 offset:1056
	v_add_nc_u32_e32 v155, v118, v37
	; wave barrier
	v_and_b32_e32 v36, v36, v154
	v_mbcnt_lo_u32_b32 v154, v36, 0
	v_cmp_ne_u32_e64 s15, 0, v36
	s_delay_alu instid0(VALU_DEP_2)
	v_cmp_eq_u32_e32 vcc_lo, 0, v154
	s_and_b32 s16, s15, vcc_lo
	s_wait_alu 0xfffe
	s_and_saveexec_b32 s15, s16
	s_cbranch_execz .LBB635_440
; %bb.439:                              ;   in Loop: Header=BB635_396 Depth=2
	s_wait_dscnt 0x0
	v_bcnt_u32_b32 v36, v36, v153
	ds_store_b32 v155, v36 offset:1056
.LBB635_440:                            ;   in Loop: Header=BB635_396 Depth=2
	s_wait_alu 0xfffe
	s_or_b32 exec_lo, exec_lo, s15
	v_xor_b32_e32 v152, 0x80000000, v152
	; wave barrier
	s_delay_alu instid0(VALU_DEP_1) | instskip(NEXT) | instid1(VALU_DEP_1)
	v_lshrrev_b32_e32 v36, s31, v152
	v_and_b32_e32 v37, s48, v36
	s_delay_alu instid0(VALU_DEP_1)
	v_and_b32_e32 v36, 1, v37
	v_lshlrev_b32_e32 v157, 30, v37
	v_lshlrev_b32_e32 v158, 29, v37
	;; [unrolled: 1-line block ×4, first 2 shown]
	v_add_co_u32 v36, s15, v36, -1
	s_wait_alu 0xf1ff
	v_cndmask_b32_e64 v161, 0, 1, s15
	v_not_b32_e32 v166, v157
	v_cmp_gt_i32_e64 s15, 0, v157
	v_not_b32_e32 v157, v158
	v_lshlrev_b32_e32 v163, 26, v37
	v_cmp_ne_u32_e32 vcc_lo, 0, v161
	v_ashrrev_i32_e32 v166, 31, v166
	v_lshlrev_b32_e32 v165, 25, v37
	v_ashrrev_i32_e32 v157, 31, v157
	v_lshlrev_b32_e32 v161, 24, v37
	s_wait_alu 0xfffd
	v_xor_b32_e32 v36, vcc_lo, v36
	v_cmp_gt_i32_e32 vcc_lo, 0, v158
	v_not_b32_e32 v158, v159
	s_wait_alu 0xf1ff
	v_xor_b32_e32 v166, s15, v166
	v_cmp_gt_i32_e64 s15, 0, v159
	v_and_b32_e32 v36, exec_lo, v36
	v_not_b32_e32 v159, v162
	v_ashrrev_i32_e32 v158, 31, v158
	s_wait_alu 0xfffd
	v_xor_b32_e32 v157, vcc_lo, v157
	v_cmp_gt_i32_e32 vcc_lo, 0, v162
	v_and_b32_e32 v36, v36, v166
	v_not_b32_e32 v162, v163
	v_ashrrev_i32_e32 v159, 31, v159
	s_wait_alu 0xf1ff
	v_xor_b32_e32 v158, s15, v158
	v_cmp_gt_i32_e64 s15, 0, v163
	v_and_b32_e32 v36, v36, v157
	v_not_b32_e32 v157, v165
	v_ashrrev_i32_e32 v162, 31, v162
	s_wait_alu 0xfffd
	v_xor_b32_e32 v159, vcc_lo, v159
	v_cmp_gt_i32_e32 vcc_lo, 0, v165
	v_and_b32_e32 v36, v36, v158
	v_not_b32_e32 v158, v161
	v_ashrrev_i32_e32 v157, 31, v157
	s_wait_alu 0xf1ff
	v_xor_b32_e32 v162, s15, v162
	v_cmp_gt_i32_e64 s15, 0, v161
	v_and_b32_e32 v36, v36, v159
	v_ashrrev_i32_e32 v158, 31, v158
	s_wait_alu 0xfffd
	v_xor_b32_e32 v157, vcc_lo, v157
	v_mad_u32_u24 v159, v37, 36, v118
	v_mul_u32_u24_e32 v37, 36, v37
	v_and_b32_e32 v36, v36, v162
	s_wait_alu 0xf1ff
	v_xor_b32_e32 v158, s15, v158
	s_delay_alu instid0(VALU_DEP_2) | instskip(SKIP_3) | instid1(VALU_DEP_1)
	v_and_b32_e32 v36, v36, v157
	ds_load_b32 v157, v159 offset:1056
	v_add_nc_u32_e32 v159, v118, v37
	; wave barrier
	v_and_b32_e32 v36, v36, v158
	v_mbcnt_lo_u32_b32 v158, v36, 0
	v_cmp_ne_u32_e64 s15, 0, v36
	s_delay_alu instid0(VALU_DEP_2)
	v_cmp_eq_u32_e32 vcc_lo, 0, v158
	s_and_b32 s16, s15, vcc_lo
	s_wait_alu 0xfffe
	s_and_saveexec_b32 s15, s16
	s_cbranch_execz .LBB635_442
; %bb.441:                              ;   in Loop: Header=BB635_396 Depth=2
	s_wait_dscnt 0x0
	v_bcnt_u32_b32 v36, v36, v157
	ds_store_b32 v159, v36 offset:1056
.LBB635_442:                            ;   in Loop: Header=BB635_396 Depth=2
	s_wait_alu 0xfffe
	s_or_b32 exec_lo, exec_lo, s15
	v_xor_b32_e32 v156, 0x80000000, v156
	; wave barrier
	s_delay_alu instid0(VALU_DEP_1) | instskip(NEXT) | instid1(VALU_DEP_1)
	v_lshrrev_b32_e32 v36, s31, v156
	v_and_b32_e32 v37, s48, v36
	s_delay_alu instid0(VALU_DEP_1)
	v_and_b32_e32 v36, 1, v37
	v_lshlrev_b32_e32 v161, 30, v37
	v_lshlrev_b32_e32 v162, 29, v37
	;; [unrolled: 1-line block ×4, first 2 shown]
	v_add_co_u32 v36, s15, v36, -1
	s_wait_alu 0xf1ff
	v_cndmask_b32_e64 v165, 0, 1, s15
	v_not_b32_e32 v170, v161
	v_cmp_gt_i32_e64 s15, 0, v161
	v_not_b32_e32 v161, v162
	v_lshlrev_b32_e32 v168, 26, v37
	v_cmp_ne_u32_e32 vcc_lo, 0, v165
	v_ashrrev_i32_e32 v170, 31, v170
	v_lshlrev_b32_e32 v169, 25, v37
	v_ashrrev_i32_e32 v161, 31, v161
	v_lshlrev_b32_e32 v165, 24, v37
	s_wait_alu 0xfffd
	v_xor_b32_e32 v36, vcc_lo, v36
	v_cmp_gt_i32_e32 vcc_lo, 0, v162
	v_not_b32_e32 v162, v163
	s_wait_alu 0xf1ff
	v_xor_b32_e32 v170, s15, v170
	v_cmp_gt_i32_e64 s15, 0, v163
	v_and_b32_e32 v36, exec_lo, v36
	v_not_b32_e32 v163, v166
	v_ashrrev_i32_e32 v162, 31, v162
	s_wait_alu 0xfffd
	v_xor_b32_e32 v161, vcc_lo, v161
	v_cmp_gt_i32_e32 vcc_lo, 0, v166
	v_and_b32_e32 v36, v36, v170
	v_not_b32_e32 v166, v168
	v_ashrrev_i32_e32 v163, 31, v163
	s_wait_alu 0xf1ff
	v_xor_b32_e32 v162, s15, v162
	v_cmp_gt_i32_e64 s15, 0, v168
	v_and_b32_e32 v36, v36, v161
	v_not_b32_e32 v161, v169
	v_ashrrev_i32_e32 v166, 31, v166
	s_wait_alu 0xfffd
	v_xor_b32_e32 v163, vcc_lo, v163
	v_cmp_gt_i32_e32 vcc_lo, 0, v169
	v_and_b32_e32 v36, v36, v162
	v_not_b32_e32 v162, v165
	v_ashrrev_i32_e32 v161, 31, v161
	s_wait_alu 0xf1ff
	v_xor_b32_e32 v166, s15, v166
	v_cmp_gt_i32_e64 s15, 0, v165
	v_and_b32_e32 v36, v36, v163
	v_ashrrev_i32_e32 v162, 31, v162
	s_wait_alu 0xfffd
	v_xor_b32_e32 v161, vcc_lo, v161
	v_mad_u32_u24 v163, v37, 36, v118
	v_mul_u32_u24_e32 v37, 36, v37
	v_and_b32_e32 v36, v36, v166
	s_wait_alu 0xf1ff
	v_xor_b32_e32 v162, s15, v162
	s_delay_alu instid0(VALU_DEP_2) | instskip(SKIP_3) | instid1(VALU_DEP_1)
	v_and_b32_e32 v36, v36, v161
	ds_load_b32 v161, v163 offset:1056
	v_add_nc_u32_e32 v163, v118, v37
	; wave barrier
	v_and_b32_e32 v36, v36, v162
	v_mbcnt_lo_u32_b32 v162, v36, 0
	v_cmp_ne_u32_e64 s15, 0, v36
	s_delay_alu instid0(VALU_DEP_2)
	v_cmp_eq_u32_e32 vcc_lo, 0, v162
	s_and_b32 s16, s15, vcc_lo
	s_wait_alu 0xfffe
	s_and_saveexec_b32 s15, s16
	s_cbranch_execz .LBB635_444
; %bb.443:                              ;   in Loop: Header=BB635_396 Depth=2
	s_wait_dscnt 0x0
	v_bcnt_u32_b32 v36, v36, v161
	ds_store_b32 v163, v36 offset:1056
.LBB635_444:                            ;   in Loop: Header=BB635_396 Depth=2
	s_wait_alu 0xfffe
	s_or_b32 exec_lo, exec_lo, s15
	v_xor_b32_e32 v160, 0x80000000, v160
	; wave barrier
	s_delay_alu instid0(VALU_DEP_1) | instskip(NEXT) | instid1(VALU_DEP_1)
	v_lshrrev_b32_e32 v36, s31, v160
	v_and_b32_e32 v37, s48, v36
	s_delay_alu instid0(VALU_DEP_1)
	v_and_b32_e32 v36, 1, v37
	v_lshlrev_b32_e32 v165, 30, v37
	v_lshlrev_b32_e32 v166, 29, v37
	;; [unrolled: 1-line block ×4, first 2 shown]
	v_add_co_u32 v36, s15, v36, -1
	s_wait_alu 0xf1ff
	v_cndmask_b32_e64 v169, 0, 1, s15
	v_not_b32_e32 v173, v165
	v_cmp_gt_i32_e64 s15, 0, v165
	v_not_b32_e32 v165, v166
	v_lshlrev_b32_e32 v171, 26, v37
	v_cmp_ne_u32_e32 vcc_lo, 0, v169
	v_ashrrev_i32_e32 v173, 31, v173
	v_lshlrev_b32_e32 v172, 25, v37
	v_ashrrev_i32_e32 v165, 31, v165
	v_lshlrev_b32_e32 v169, 24, v37
	s_wait_alu 0xfffd
	v_xor_b32_e32 v36, vcc_lo, v36
	v_cmp_gt_i32_e32 vcc_lo, 0, v166
	v_not_b32_e32 v166, v168
	s_wait_alu 0xf1ff
	v_xor_b32_e32 v173, s15, v173
	v_cmp_gt_i32_e64 s15, 0, v168
	v_and_b32_e32 v36, exec_lo, v36
	v_not_b32_e32 v168, v170
	v_ashrrev_i32_e32 v166, 31, v166
	s_wait_alu 0xfffd
	v_xor_b32_e32 v165, vcc_lo, v165
	v_cmp_gt_i32_e32 vcc_lo, 0, v170
	v_and_b32_e32 v36, v36, v173
	v_not_b32_e32 v170, v171
	v_ashrrev_i32_e32 v168, 31, v168
	s_wait_alu 0xf1ff
	v_xor_b32_e32 v166, s15, v166
	v_cmp_gt_i32_e64 s15, 0, v171
	v_and_b32_e32 v36, v36, v165
	v_not_b32_e32 v165, v172
	v_ashrrev_i32_e32 v170, 31, v170
	s_wait_alu 0xfffd
	v_xor_b32_e32 v168, vcc_lo, v168
	v_cmp_gt_i32_e32 vcc_lo, 0, v172
	v_and_b32_e32 v36, v36, v166
	v_not_b32_e32 v166, v169
	v_ashrrev_i32_e32 v165, 31, v165
	s_wait_alu 0xf1ff
	v_xor_b32_e32 v170, s15, v170
	v_cmp_gt_i32_e64 s15, 0, v169
	v_and_b32_e32 v36, v36, v168
	v_ashrrev_i32_e32 v166, 31, v166
	s_wait_alu 0xfffd
	v_xor_b32_e32 v165, vcc_lo, v165
	v_mad_u32_u24 v168, v37, 36, v118
	v_mul_u32_u24_e32 v37, 36, v37
	v_and_b32_e32 v36, v36, v170
	s_wait_alu 0xf1ff
	v_xor_b32_e32 v166, s15, v166
	s_delay_alu instid0(VALU_DEP_2) | instskip(SKIP_3) | instid1(VALU_DEP_1)
	v_and_b32_e32 v36, v36, v165
	ds_load_b32 v165, v168 offset:1056
	v_add_nc_u32_e32 v168, v118, v37
	; wave barrier
	v_and_b32_e32 v36, v36, v166
	v_mbcnt_lo_u32_b32 v166, v36, 0
	v_cmp_ne_u32_e64 s15, 0, v36
	s_delay_alu instid0(VALU_DEP_2)
	v_cmp_eq_u32_e32 vcc_lo, 0, v166
	s_and_b32 s16, s15, vcc_lo
	s_wait_alu 0xfffe
	s_and_saveexec_b32 s15, s16
	s_cbranch_execz .LBB635_446
; %bb.445:                              ;   in Loop: Header=BB635_396 Depth=2
	s_wait_dscnt 0x0
	v_bcnt_u32_b32 v36, v36, v165
	ds_store_b32 v168, v36 offset:1056
.LBB635_446:                            ;   in Loop: Header=BB635_396 Depth=2
	s_wait_alu 0xfffe
	s_or_b32 exec_lo, exec_lo, s15
	v_xor_b32_e32 v164, 0x80000000, v164
	; wave barrier
	s_delay_alu instid0(VALU_DEP_1) | instskip(NEXT) | instid1(VALU_DEP_1)
	v_lshrrev_b32_e32 v36, s31, v164
	v_and_b32_e32 v37, s48, v36
	s_delay_alu instid0(VALU_DEP_1)
	v_and_b32_e32 v36, 1, v37
	v_lshlrev_b32_e32 v169, 30, v37
	v_lshlrev_b32_e32 v170, 29, v37
	;; [unrolled: 1-line block ×4, first 2 shown]
	v_add_co_u32 v36, s15, v36, -1
	s_wait_alu 0xf1ff
	v_cndmask_b32_e64 v172, 0, 1, s15
	v_not_b32_e32 v176, v169
	v_cmp_gt_i32_e64 s15, 0, v169
	v_not_b32_e32 v169, v170
	v_lshlrev_b32_e32 v174, 26, v37
	v_cmp_ne_u32_e32 vcc_lo, 0, v172
	v_ashrrev_i32_e32 v176, 31, v176
	v_lshlrev_b32_e32 v175, 25, v37
	v_ashrrev_i32_e32 v169, 31, v169
	v_lshlrev_b32_e32 v172, 24, v37
	s_wait_alu 0xfffd
	v_xor_b32_e32 v36, vcc_lo, v36
	v_cmp_gt_i32_e32 vcc_lo, 0, v170
	v_not_b32_e32 v170, v171
	s_wait_alu 0xf1ff
	v_xor_b32_e32 v176, s15, v176
	v_cmp_gt_i32_e64 s15, 0, v171
	v_and_b32_e32 v36, exec_lo, v36
	v_not_b32_e32 v171, v173
	v_ashrrev_i32_e32 v170, 31, v170
	s_wait_alu 0xfffd
	v_xor_b32_e32 v169, vcc_lo, v169
	v_cmp_gt_i32_e32 vcc_lo, 0, v173
	v_and_b32_e32 v36, v36, v176
	v_not_b32_e32 v173, v174
	v_ashrrev_i32_e32 v171, 31, v171
	s_wait_alu 0xf1ff
	v_xor_b32_e32 v170, s15, v170
	v_cmp_gt_i32_e64 s15, 0, v174
	v_and_b32_e32 v36, v36, v169
	v_not_b32_e32 v169, v175
	v_ashrrev_i32_e32 v173, 31, v173
	s_wait_alu 0xfffd
	v_xor_b32_e32 v171, vcc_lo, v171
	v_cmp_gt_i32_e32 vcc_lo, 0, v175
	v_and_b32_e32 v36, v36, v170
	v_not_b32_e32 v170, v172
	v_ashrrev_i32_e32 v169, 31, v169
	s_wait_alu 0xf1ff
	v_xor_b32_e32 v173, s15, v173
	v_cmp_gt_i32_e64 s15, 0, v172
	v_and_b32_e32 v36, v36, v171
	v_ashrrev_i32_e32 v170, 31, v170
	s_wait_alu 0xfffd
	v_xor_b32_e32 v169, vcc_lo, v169
	v_mad_u32_u24 v171, v37, 36, v118
	v_mul_u32_u24_e32 v37, 36, v37
	v_and_b32_e32 v36, v36, v173
	s_wait_alu 0xf1ff
	v_xor_b32_e32 v170, s15, v170
	s_delay_alu instid0(VALU_DEP_2) | instskip(SKIP_3) | instid1(VALU_DEP_1)
	v_and_b32_e32 v36, v36, v169
	ds_load_b32 v169, v171 offset:1056
	v_add_nc_u32_e32 v171, v118, v37
	; wave barrier
	v_and_b32_e32 v36, v36, v170
	v_mbcnt_lo_u32_b32 v170, v36, 0
	v_cmp_ne_u32_e64 s15, 0, v36
	s_delay_alu instid0(VALU_DEP_2)
	v_cmp_eq_u32_e32 vcc_lo, 0, v170
	s_and_b32 s16, s15, vcc_lo
	s_wait_alu 0xfffe
	s_and_saveexec_b32 s15, s16
	s_cbranch_execz .LBB635_448
; %bb.447:                              ;   in Loop: Header=BB635_396 Depth=2
	s_wait_dscnt 0x0
	v_bcnt_u32_b32 v36, v36, v169
	ds_store_b32 v171, v36 offset:1056
.LBB635_448:                            ;   in Loop: Header=BB635_396 Depth=2
	s_wait_alu 0xfffe
	s_or_b32 exec_lo, exec_lo, s15
	v_xor_b32_e32 v167, 0x80000000, v167
	; wave barrier
	s_delay_alu instid0(VALU_DEP_1) | instskip(NEXT) | instid1(VALU_DEP_1)
	v_lshrrev_b32_e32 v36, s31, v167
	v_and_b32_e32 v37, s48, v36
	s_delay_alu instid0(VALU_DEP_1)
	v_and_b32_e32 v36, 1, v37
	v_lshlrev_b32_e32 v172, 30, v37
	v_lshlrev_b32_e32 v173, 29, v37
	;; [unrolled: 1-line block ×4, first 2 shown]
	v_add_co_u32 v36, s15, v36, -1
	s_wait_alu 0xf1ff
	v_cndmask_b32_e64 v175, 0, 1, s15
	v_not_b32_e32 v179, v172
	v_cmp_gt_i32_e64 s15, 0, v172
	v_not_b32_e32 v172, v173
	v_lshlrev_b32_e32 v177, 26, v37
	v_cmp_ne_u32_e32 vcc_lo, 0, v175
	v_ashrrev_i32_e32 v179, 31, v179
	v_lshlrev_b32_e32 v178, 25, v37
	v_ashrrev_i32_e32 v172, 31, v172
	v_lshlrev_b32_e32 v175, 24, v37
	s_wait_alu 0xfffd
	v_xor_b32_e32 v36, vcc_lo, v36
	v_cmp_gt_i32_e32 vcc_lo, 0, v173
	v_not_b32_e32 v173, v174
	s_wait_alu 0xf1ff
	v_xor_b32_e32 v179, s15, v179
	v_cmp_gt_i32_e64 s15, 0, v174
	v_and_b32_e32 v36, exec_lo, v36
	v_not_b32_e32 v174, v176
	v_ashrrev_i32_e32 v173, 31, v173
	s_wait_alu 0xfffd
	v_xor_b32_e32 v172, vcc_lo, v172
	v_cmp_gt_i32_e32 vcc_lo, 0, v176
	v_and_b32_e32 v36, v36, v179
	v_not_b32_e32 v176, v177
	v_ashrrev_i32_e32 v174, 31, v174
	s_wait_alu 0xf1ff
	v_xor_b32_e32 v173, s15, v173
	v_cmp_gt_i32_e64 s15, 0, v177
	v_and_b32_e32 v36, v36, v172
	v_not_b32_e32 v172, v178
	v_ashrrev_i32_e32 v176, 31, v176
	s_wait_alu 0xfffd
	v_xor_b32_e32 v174, vcc_lo, v174
	v_cmp_gt_i32_e32 vcc_lo, 0, v178
	v_and_b32_e32 v36, v36, v173
	v_not_b32_e32 v173, v175
	v_ashrrev_i32_e32 v172, 31, v172
	s_wait_alu 0xf1ff
	v_xor_b32_e32 v176, s15, v176
	v_cmp_gt_i32_e64 s15, 0, v175
	v_and_b32_e32 v36, v36, v174
	v_ashrrev_i32_e32 v173, 31, v173
	s_wait_alu 0xfffd
	v_xor_b32_e32 v172, vcc_lo, v172
	v_mad_u32_u24 v174, v37, 36, v118
	v_mul_u32_u24_e32 v37, 36, v37
	v_and_b32_e32 v36, v36, v176
	s_wait_alu 0xf1ff
	v_xor_b32_e32 v175, s15, v173
	ds_load_b32 v173, v174 offset:1056
	v_and_b32_e32 v36, v36, v172
	; wave barrier
	s_delay_alu instid0(VALU_DEP_1) | instskip(SKIP_1) | instid1(VALU_DEP_2)
	v_and_b32_e32 v36, v36, v175
	v_add_nc_u32_e32 v175, v118, v37
	v_mbcnt_lo_u32_b32 v174, v36, 0
	v_cmp_ne_u32_e64 s15, 0, v36
	s_delay_alu instid0(VALU_DEP_2)
	v_cmp_eq_u32_e32 vcc_lo, 0, v174
	s_and_b32 s16, s15, vcc_lo
	s_wait_alu 0xfffe
	s_and_saveexec_b32 s15, s16
	s_cbranch_execz .LBB635_450
; %bb.449:                              ;   in Loop: Header=BB635_396 Depth=2
	s_wait_dscnt 0x0
	v_bcnt_u32_b32 v36, v36, v173
	ds_store_b32 v175, v36 offset:1056
.LBB635_450:                            ;   in Loop: Header=BB635_396 Depth=2
	s_wait_alu 0xfffe
	s_or_b32 exec_lo, exec_lo, s15
	v_xor_b32_e32 v172, 0x80000000, v43
	; wave barrier
	s_delay_alu instid0(VALU_DEP_1) | instskip(NEXT) | instid1(VALU_DEP_1)
	v_lshrrev_b32_e32 v36, s31, v172
	v_and_b32_e32 v37, s48, v36
	s_delay_alu instid0(VALU_DEP_1)
	v_and_b32_e32 v36, 1, v37
	v_lshlrev_b32_e32 v43, 30, v37
	v_lshlrev_b32_e32 v176, 29, v37
	v_lshlrev_b32_e32 v177, 28, v37
	v_lshlrev_b32_e32 v179, 27, v37
	v_add_co_u32 v36, s15, v36, -1
	s_wait_alu 0xf1ff
	v_cndmask_b32_e64 v178, 0, 1, s15
	v_not_b32_e32 v182, v43
	v_cmp_gt_i32_e64 s15, 0, v43
	v_not_b32_e32 v43, v176
	v_lshlrev_b32_e32 v180, 26, v37
	v_cmp_ne_u32_e32 vcc_lo, 0, v178
	v_ashrrev_i32_e32 v182, 31, v182
	v_lshlrev_b32_e32 v181, 25, v37
	v_ashrrev_i32_e32 v43, 31, v43
	v_lshlrev_b32_e32 v178, 24, v37
	s_wait_alu 0xfffd
	v_xor_b32_e32 v36, vcc_lo, v36
	v_cmp_gt_i32_e32 vcc_lo, 0, v176
	v_not_b32_e32 v176, v177
	s_wait_alu 0xf1ff
	v_xor_b32_e32 v182, s15, v182
	v_cmp_gt_i32_e64 s15, 0, v177
	v_and_b32_e32 v36, exec_lo, v36
	v_not_b32_e32 v177, v179
	v_ashrrev_i32_e32 v176, 31, v176
	s_wait_alu 0xfffd
	v_xor_b32_e32 v43, vcc_lo, v43
	v_cmp_gt_i32_e32 vcc_lo, 0, v179
	v_and_b32_e32 v36, v36, v182
	v_not_b32_e32 v179, v180
	v_ashrrev_i32_e32 v177, 31, v177
	s_wait_alu 0xf1ff
	v_xor_b32_e32 v176, s15, v176
	v_cmp_gt_i32_e64 s15, 0, v180
	v_and_b32_e32 v36, v36, v43
	v_not_b32_e32 v43, v181
	v_ashrrev_i32_e32 v179, 31, v179
	s_wait_alu 0xfffd
	v_xor_b32_e32 v177, vcc_lo, v177
	v_cmp_gt_i32_e32 vcc_lo, 0, v181
	v_and_b32_e32 v36, v36, v176
	v_not_b32_e32 v176, v178
	v_ashrrev_i32_e32 v43, 31, v43
	s_wait_alu 0xf1ff
	v_xor_b32_e32 v179, s15, v179
	v_cmp_gt_i32_e64 s15, 0, v178
	v_and_b32_e32 v36, v36, v177
	v_ashrrev_i32_e32 v176, 31, v176
	s_wait_alu 0xfffd
	v_xor_b32_e32 v43, vcc_lo, v43
	v_mad_u32_u24 v177, v37, 36, v118
	v_mul_u32_u24_e32 v37, 36, v37
	v_and_b32_e32 v36, v36, v179
	s_wait_alu 0xf1ff
	v_xor_b32_e32 v176, s15, v176
	ds_load_b32 v177, v177 offset:1056
	v_add_nc_u32_e32 v179, v118, v37
	v_and_b32_e32 v36, v36, v43
	; wave barrier
	s_delay_alu instid0(VALU_DEP_1) | instskip(NEXT) | instid1(VALU_DEP_1)
	v_and_b32_e32 v36, v36, v176
	v_mbcnt_lo_u32_b32 v178, v36, 0
	v_cmp_ne_u32_e64 s15, 0, v36
	s_delay_alu instid0(VALU_DEP_2)
	v_cmp_eq_u32_e32 vcc_lo, 0, v178
	s_and_b32 s16, s15, vcc_lo
	s_wait_alu 0xfffe
	s_and_saveexec_b32 s15, s16
	s_cbranch_execz .LBB635_452
; %bb.451:                              ;   in Loop: Header=BB635_396 Depth=2
	s_wait_dscnt 0x0
	v_bcnt_u32_b32 v36, v36, v177
	ds_store_b32 v179, v36 offset:1056
.LBB635_452:                            ;   in Loop: Header=BB635_396 Depth=2
	s_wait_alu 0xfffe
	s_or_b32 exec_lo, exec_lo, s15
	v_xor_b32_e32 v176, 0x80000000, v42
	; wave barrier
	s_delay_alu instid0(VALU_DEP_1) | instskip(NEXT) | instid1(VALU_DEP_1)
	v_lshrrev_b32_e32 v36, s31, v176
	v_and_b32_e32 v37, s48, v36
	s_delay_alu instid0(VALU_DEP_1)
	v_and_b32_e32 v36, 1, v37
	v_lshlrev_b32_e32 v42, 30, v37
	v_lshlrev_b32_e32 v43, 29, v37
	;; [unrolled: 1-line block ×4, first 2 shown]
	v_add_co_u32 v36, s15, v36, -1
	s_wait_alu 0xf1ff
	v_cndmask_b32_e64 v181, 0, 1, s15
	v_not_b32_e32 v185, v42
	v_cmp_gt_i32_e64 s15, 0, v42
	v_not_b32_e32 v42, v43
	v_lshlrev_b32_e32 v183, 26, v37
	v_cmp_ne_u32_e32 vcc_lo, 0, v181
	v_ashrrev_i32_e32 v185, 31, v185
	v_lshlrev_b32_e32 v184, 25, v37
	v_ashrrev_i32_e32 v42, 31, v42
	v_lshlrev_b32_e32 v181, 24, v37
	s_wait_alu 0xfffd
	v_xor_b32_e32 v36, vcc_lo, v36
	v_cmp_gt_i32_e32 vcc_lo, 0, v43
	v_not_b32_e32 v43, v180
	s_wait_alu 0xf1ff
	v_xor_b32_e32 v185, s15, v185
	v_cmp_gt_i32_e64 s15, 0, v180
	v_and_b32_e32 v36, exec_lo, v36
	v_not_b32_e32 v180, v182
	v_ashrrev_i32_e32 v43, 31, v43
	s_wait_alu 0xfffd
	v_xor_b32_e32 v42, vcc_lo, v42
	v_cmp_gt_i32_e32 vcc_lo, 0, v182
	v_and_b32_e32 v36, v36, v185
	v_not_b32_e32 v182, v183
	v_ashrrev_i32_e32 v180, 31, v180
	s_wait_alu 0xf1ff
	v_xor_b32_e32 v43, s15, v43
	v_cmp_gt_i32_e64 s15, 0, v183
	v_and_b32_e32 v36, v36, v42
	v_not_b32_e32 v42, v184
	v_ashrrev_i32_e32 v182, 31, v182
	s_wait_alu 0xfffd
	v_xor_b32_e32 v180, vcc_lo, v180
	v_cmp_gt_i32_e32 vcc_lo, 0, v184
	v_and_b32_e32 v36, v36, v43
	v_not_b32_e32 v43, v181
	v_ashrrev_i32_e32 v42, 31, v42
	s_wait_alu 0xf1ff
	v_xor_b32_e32 v182, s15, v182
	v_cmp_gt_i32_e64 s15, 0, v181
	v_and_b32_e32 v36, v36, v180
	v_ashrrev_i32_e32 v43, 31, v43
	s_wait_alu 0xfffd
	v_xor_b32_e32 v42, vcc_lo, v42
	v_mad_u32_u24 v180, v37, 36, v118
	v_mul_u32_u24_e32 v37, 36, v37
	v_and_b32_e32 v36, v36, v182
	s_wait_alu 0xf1ff
	v_xor_b32_e32 v43, s15, v43
	ds_load_b32 v181, v180 offset:1056
	v_add_nc_u32_e32 v183, v118, v37
	v_and_b32_e32 v36, v36, v42
	; wave barrier
	s_delay_alu instid0(VALU_DEP_1) | instskip(NEXT) | instid1(VALU_DEP_1)
	v_and_b32_e32 v36, v36, v43
	v_mbcnt_lo_u32_b32 v182, v36, 0
	v_cmp_ne_u32_e64 s15, 0, v36
	s_delay_alu instid0(VALU_DEP_2)
	v_cmp_eq_u32_e32 vcc_lo, 0, v182
	s_and_b32 s16, s15, vcc_lo
	s_wait_alu 0xfffe
	s_and_saveexec_b32 s15, s16
	s_cbranch_execz .LBB635_454
; %bb.453:                              ;   in Loop: Header=BB635_396 Depth=2
	s_wait_dscnt 0x0
	v_bcnt_u32_b32 v36, v36, v181
	ds_store_b32 v183, v36 offset:1056
.LBB635_454:                            ;   in Loop: Header=BB635_396 Depth=2
	s_wait_alu 0xfffe
	s_or_b32 exec_lo, exec_lo, s15
	v_xor_b32_e32 v180, 0x80000000, v41
	; wave barrier
	s_delay_alu instid0(VALU_DEP_1) | instskip(NEXT) | instid1(VALU_DEP_1)
	v_lshrrev_b32_e32 v36, s31, v180
	v_and_b32_e32 v37, s48, v36
	s_delay_alu instid0(VALU_DEP_1)
	v_and_b32_e32 v36, 1, v37
	v_lshlrev_b32_e32 v41, 30, v37
	v_lshlrev_b32_e32 v42, 29, v37
	;; [unrolled: 1-line block ×4, first 2 shown]
	v_add_co_u32 v36, s15, v36, -1
	s_wait_alu 0xf1ff
	v_cndmask_b32_e64 v184, 0, 1, s15
	v_not_b32_e32 v188, v41
	v_cmp_gt_i32_e64 s15, 0, v41
	v_not_b32_e32 v41, v42
	v_lshlrev_b32_e32 v186, 26, v37
	v_cmp_ne_u32_e32 vcc_lo, 0, v184
	v_ashrrev_i32_e32 v188, 31, v188
	v_lshlrev_b32_e32 v187, 25, v37
	v_ashrrev_i32_e32 v41, 31, v41
	v_lshlrev_b32_e32 v184, 24, v37
	s_wait_alu 0xfffd
	v_xor_b32_e32 v36, vcc_lo, v36
	v_cmp_gt_i32_e32 vcc_lo, 0, v42
	v_not_b32_e32 v42, v43
	s_wait_alu 0xf1ff
	v_xor_b32_e32 v188, s15, v188
	v_cmp_gt_i32_e64 s15, 0, v43
	v_and_b32_e32 v36, exec_lo, v36
	v_not_b32_e32 v43, v185
	v_ashrrev_i32_e32 v42, 31, v42
	s_wait_alu 0xfffd
	v_xor_b32_e32 v41, vcc_lo, v41
	v_cmp_gt_i32_e32 vcc_lo, 0, v185
	v_and_b32_e32 v36, v36, v188
	v_not_b32_e32 v185, v186
	v_ashrrev_i32_e32 v43, 31, v43
	s_wait_alu 0xf1ff
	v_xor_b32_e32 v42, s15, v42
	v_cmp_gt_i32_e64 s15, 0, v186
	v_and_b32_e32 v36, v36, v41
	v_not_b32_e32 v41, v187
	v_ashrrev_i32_e32 v185, 31, v185
	s_wait_alu 0xfffd
	v_xor_b32_e32 v43, vcc_lo, v43
	v_cmp_gt_i32_e32 vcc_lo, 0, v187
	v_and_b32_e32 v36, v36, v42
	v_not_b32_e32 v42, v184
	v_ashrrev_i32_e32 v41, 31, v41
	s_wait_alu 0xf1ff
	v_xor_b32_e32 v185, s15, v185
	v_cmp_gt_i32_e64 s15, 0, v184
	v_and_b32_e32 v36, v36, v43
	v_ashrrev_i32_e32 v42, 31, v42
	s_wait_alu 0xfffd
	v_xor_b32_e32 v41, vcc_lo, v41
	v_mad_u32_u24 v43, v37, 36, v118
	v_mul_u32_u24_e32 v37, 36, v37
	v_and_b32_e32 v36, v36, v185
	s_wait_alu 0xf1ff
	v_xor_b32_e32 v42, s15, v42
	ds_load_b32 v185, v43 offset:1056
	v_add_nc_u32_e32 v187, v118, v37
	v_and_b32_e32 v36, v36, v41
	; wave barrier
	s_delay_alu instid0(VALU_DEP_1) | instskip(NEXT) | instid1(VALU_DEP_1)
	v_and_b32_e32 v36, v36, v42
	v_mbcnt_lo_u32_b32 v186, v36, 0
	v_cmp_ne_u32_e64 s15, 0, v36
	s_delay_alu instid0(VALU_DEP_2)
	v_cmp_eq_u32_e32 vcc_lo, 0, v186
	s_and_b32 s16, s15, vcc_lo
	s_wait_alu 0xfffe
	s_and_saveexec_b32 s15, s16
	s_cbranch_execz .LBB635_456
; %bb.455:                              ;   in Loop: Header=BB635_396 Depth=2
	s_wait_dscnt 0x0
	v_bcnt_u32_b32 v36, v36, v185
	ds_store_b32 v187, v36 offset:1056
.LBB635_456:                            ;   in Loop: Header=BB635_396 Depth=2
	s_wait_alu 0xfffe
	s_or_b32 exec_lo, exec_lo, s15
	v_xor_b32_e32 v184, 0x80000000, v40
	; wave barrier
	s_delay_alu instid0(VALU_DEP_1) | instskip(NEXT) | instid1(VALU_DEP_1)
	v_lshrrev_b32_e32 v36, s31, v184
	v_and_b32_e32 v37, s48, v36
	s_delay_alu instid0(VALU_DEP_1)
	v_and_b32_e32 v36, 1, v37
	v_lshlrev_b32_e32 v40, 30, v37
	v_lshlrev_b32_e32 v41, 29, v37
	;; [unrolled: 1-line block ×4, first 2 shown]
	v_add_co_u32 v36, s15, v36, -1
	s_wait_alu 0xf1ff
	v_cndmask_b32_e64 v43, 0, 1, s15
	v_not_b32_e32 v191, v40
	v_cmp_gt_i32_e64 s15, 0, v40
	v_not_b32_e32 v40, v41
	v_lshlrev_b32_e32 v189, 26, v37
	v_cmp_ne_u32_e32 vcc_lo, 0, v43
	v_ashrrev_i32_e32 v191, 31, v191
	v_lshlrev_b32_e32 v190, 25, v37
	v_ashrrev_i32_e32 v40, 31, v40
	v_lshlrev_b32_e32 v43, 24, v37
	s_wait_alu 0xfffd
	v_xor_b32_e32 v36, vcc_lo, v36
	v_cmp_gt_i32_e32 vcc_lo, 0, v41
	v_not_b32_e32 v41, v42
	s_wait_alu 0xf1ff
	v_xor_b32_e32 v191, s15, v191
	v_cmp_gt_i32_e64 s15, 0, v42
	v_and_b32_e32 v36, exec_lo, v36
	v_not_b32_e32 v42, v188
	v_ashrrev_i32_e32 v41, 31, v41
	s_wait_alu 0xfffd
	v_xor_b32_e32 v40, vcc_lo, v40
	v_cmp_gt_i32_e32 vcc_lo, 0, v188
	v_and_b32_e32 v36, v36, v191
	v_not_b32_e32 v188, v189
	v_ashrrev_i32_e32 v42, 31, v42
	s_wait_alu 0xf1ff
	v_xor_b32_e32 v41, s15, v41
	v_cmp_gt_i32_e64 s15, 0, v189
	v_and_b32_e32 v36, v36, v40
	v_not_b32_e32 v40, v190
	v_ashrrev_i32_e32 v188, 31, v188
	s_wait_alu 0xfffd
	v_xor_b32_e32 v42, vcc_lo, v42
	v_cmp_gt_i32_e32 vcc_lo, 0, v190
	v_and_b32_e32 v36, v36, v41
	v_not_b32_e32 v41, v43
	v_ashrrev_i32_e32 v40, 31, v40
	s_wait_alu 0xf1ff
	v_xor_b32_e32 v188, s15, v188
	v_cmp_gt_i32_e64 s15, 0, v43
	v_and_b32_e32 v36, v36, v42
	v_ashrrev_i32_e32 v41, 31, v41
	s_wait_alu 0xfffd
	v_xor_b32_e32 v40, vcc_lo, v40
	v_mad_u32_u24 v42, v37, 36, v118
	v_mul_u32_u24_e32 v37, 36, v37
	v_and_b32_e32 v36, v36, v188
	s_wait_alu 0xf1ff
	v_xor_b32_e32 v41, s15, v41
	ds_load_b32 v189, v42 offset:1056
	v_add_nc_u32_e32 v191, v118, v37
	v_and_b32_e32 v36, v36, v40
	; wave barrier
	s_delay_alu instid0(VALU_DEP_1) | instskip(NEXT) | instid1(VALU_DEP_1)
	v_and_b32_e32 v36, v36, v41
	v_mbcnt_lo_u32_b32 v190, v36, 0
	v_cmp_ne_u32_e64 s15, 0, v36
	s_delay_alu instid0(VALU_DEP_2)
	v_cmp_eq_u32_e32 vcc_lo, 0, v190
	s_and_b32 s16, s15, vcc_lo
	s_wait_alu 0xfffe
	s_and_saveexec_b32 s15, s16
	s_cbranch_execz .LBB635_458
; %bb.457:                              ;   in Loop: Header=BB635_396 Depth=2
	s_wait_dscnt 0x0
	v_bcnt_u32_b32 v36, v36, v189
	ds_store_b32 v191, v36 offset:1056
.LBB635_458:                            ;   in Loop: Header=BB635_396 Depth=2
	s_wait_alu 0xfffe
	s_or_b32 exec_lo, exec_lo, s15
	v_xor_b32_e32 v188, 0x80000000, v39
	; wave barrier
	s_delay_alu instid0(VALU_DEP_1) | instskip(NEXT) | instid1(VALU_DEP_1)
	v_lshrrev_b32_e32 v36, s31, v188
	v_and_b32_e32 v37, s48, v36
	s_delay_alu instid0(VALU_DEP_1)
	v_and_b32_e32 v36, 1, v37
	v_lshlrev_b32_e32 v39, 30, v37
	v_lshlrev_b32_e32 v40, 29, v37
	;; [unrolled: 1-line block ×4, first 2 shown]
	v_add_co_u32 v36, s15, v36, -1
	s_wait_alu 0xf1ff
	v_cndmask_b32_e64 v42, 0, 1, s15
	v_not_b32_e32 v194, v39
	v_cmp_gt_i32_e64 s15, 0, v39
	v_not_b32_e32 v39, v40
	v_lshlrev_b32_e32 v192, 26, v37
	v_cmp_ne_u32_e32 vcc_lo, 0, v42
	v_ashrrev_i32_e32 v194, 31, v194
	v_lshlrev_b32_e32 v193, 25, v37
	v_ashrrev_i32_e32 v39, 31, v39
	v_lshlrev_b32_e32 v42, 24, v37
	s_wait_alu 0xfffd
	v_xor_b32_e32 v36, vcc_lo, v36
	v_cmp_gt_i32_e32 vcc_lo, 0, v40
	v_not_b32_e32 v40, v41
	s_wait_alu 0xf1ff
	v_xor_b32_e32 v194, s15, v194
	v_cmp_gt_i32_e64 s15, 0, v41
	v_and_b32_e32 v36, exec_lo, v36
	v_not_b32_e32 v41, v43
	v_ashrrev_i32_e32 v40, 31, v40
	s_wait_alu 0xfffd
	v_xor_b32_e32 v39, vcc_lo, v39
	v_cmp_gt_i32_e32 vcc_lo, 0, v43
	v_and_b32_e32 v36, v36, v194
	v_not_b32_e32 v43, v192
	v_ashrrev_i32_e32 v41, 31, v41
	s_wait_alu 0xf1ff
	v_xor_b32_e32 v40, s15, v40
	v_cmp_gt_i32_e64 s15, 0, v192
	v_and_b32_e32 v36, v36, v39
	v_not_b32_e32 v39, v193
	v_ashrrev_i32_e32 v43, 31, v43
	s_wait_alu 0xfffd
	v_xor_b32_e32 v41, vcc_lo, v41
	v_cmp_gt_i32_e32 vcc_lo, 0, v193
	v_and_b32_e32 v36, v36, v40
	v_not_b32_e32 v40, v42
	v_ashrrev_i32_e32 v39, 31, v39
	s_wait_alu 0xf1ff
	v_xor_b32_e32 v43, s15, v43
	v_cmp_gt_i32_e64 s15, 0, v42
	v_and_b32_e32 v36, v36, v41
	v_ashrrev_i32_e32 v40, 31, v40
	s_wait_alu 0xfffd
	v_xor_b32_e32 v39, vcc_lo, v39
	v_mad_u32_u24 v41, v37, 36, v118
	v_mul_u32_u24_e32 v37, 36, v37
	v_and_b32_e32 v36, v36, v43
	s_wait_alu 0xf1ff
	v_xor_b32_e32 v40, s15, v40
	ds_load_b32 v193, v41 offset:1056
	v_add_nc_u32_e32 v195, v118, v37
	v_and_b32_e32 v36, v36, v39
	; wave barrier
	s_delay_alu instid0(VALU_DEP_1) | instskip(NEXT) | instid1(VALU_DEP_1)
	v_and_b32_e32 v36, v36, v40
	v_mbcnt_lo_u32_b32 v194, v36, 0
	v_cmp_ne_u32_e64 s15, 0, v36
	s_delay_alu instid0(VALU_DEP_2)
	v_cmp_eq_u32_e32 vcc_lo, 0, v194
	s_and_b32 s16, s15, vcc_lo
	s_wait_alu 0xfffe
	s_and_saveexec_b32 s15, s16
	s_cbranch_execz .LBB635_460
; %bb.459:                              ;   in Loop: Header=BB635_396 Depth=2
	s_wait_dscnt 0x0
	v_bcnt_u32_b32 v36, v36, v193
	ds_store_b32 v195, v36 offset:1056
.LBB635_460:                            ;   in Loop: Header=BB635_396 Depth=2
	s_wait_alu 0xfffe
	s_or_b32 exec_lo, exec_lo, s15
	v_xor_b32_e32 v192, 0x80000000, v38
	; wave barrier
	s_delay_alu instid0(VALU_DEP_1) | instskip(NEXT) | instid1(VALU_DEP_1)
	v_lshrrev_b32_e32 v36, s31, v192
	v_and_b32_e32 v37, s48, v36
	s_delay_alu instid0(VALU_DEP_1)
	v_and_b32_e32 v36, 1, v37
	v_lshlrev_b32_e32 v38, 30, v37
	v_lshlrev_b32_e32 v39, 29, v37
	;; [unrolled: 1-line block ×4, first 2 shown]
	v_add_co_u32 v36, s15, v36, -1
	s_wait_alu 0xf1ff
	v_cndmask_b32_e64 v41, 0, 1, s15
	v_not_b32_e32 v197, v38
	v_cmp_gt_i32_e64 s15, 0, v38
	v_not_b32_e32 v38, v39
	v_lshlrev_b32_e32 v43, 26, v37
	v_cmp_ne_u32_e32 vcc_lo, 0, v41
	v_ashrrev_i32_e32 v197, 31, v197
	v_lshlrev_b32_e32 v196, 25, v37
	v_ashrrev_i32_e32 v38, 31, v38
	v_lshlrev_b32_e32 v41, 24, v37
	s_wait_alu 0xfffd
	v_xor_b32_e32 v36, vcc_lo, v36
	v_cmp_gt_i32_e32 vcc_lo, 0, v39
	v_not_b32_e32 v39, v40
	s_wait_alu 0xf1ff
	v_xor_b32_e32 v197, s15, v197
	v_cmp_gt_i32_e64 s15, 0, v40
	v_and_b32_e32 v36, exec_lo, v36
	v_not_b32_e32 v40, v42
	v_ashrrev_i32_e32 v39, 31, v39
	s_wait_alu 0xfffd
	v_xor_b32_e32 v38, vcc_lo, v38
	v_cmp_gt_i32_e32 vcc_lo, 0, v42
	v_and_b32_e32 v36, v36, v197
	v_not_b32_e32 v42, v43
	v_ashrrev_i32_e32 v40, 31, v40
	s_wait_alu 0xf1ff
	v_xor_b32_e32 v39, s15, v39
	v_cmp_gt_i32_e64 s15, 0, v43
	v_and_b32_e32 v36, v36, v38
	v_not_b32_e32 v38, v196
	v_ashrrev_i32_e32 v42, 31, v42
	s_wait_alu 0xfffd
	v_xor_b32_e32 v40, vcc_lo, v40
	v_cmp_gt_i32_e32 vcc_lo, 0, v196
	v_and_b32_e32 v36, v36, v39
	v_not_b32_e32 v39, v41
	v_ashrrev_i32_e32 v38, 31, v38
	s_wait_alu 0xf1ff
	v_xor_b32_e32 v42, s15, v42
	v_cmp_gt_i32_e64 s15, 0, v41
	v_and_b32_e32 v36, v36, v40
	v_ashrrev_i32_e32 v39, 31, v39
	s_wait_alu 0xfffd
	v_xor_b32_e32 v38, vcc_lo, v38
	v_mad_u32_u24 v40, v37, 36, v118
	v_mul_u32_u24_e32 v37, 36, v37
	v_and_b32_e32 v36, v36, v42
	s_wait_alu 0xf1ff
	v_xor_b32_e32 v39, s15, v39
	ds_load_b32 v196, v40 offset:1056
	v_add_nc_u32_e32 v198, v118, v37
	v_and_b32_e32 v36, v36, v38
	; wave barrier
	s_delay_alu instid0(VALU_DEP_1) | instskip(NEXT) | instid1(VALU_DEP_1)
	v_and_b32_e32 v36, v36, v39
	v_mbcnt_lo_u32_b32 v197, v36, 0
	v_cmp_ne_u32_e64 s15, 0, v36
	s_delay_alu instid0(VALU_DEP_2)
	v_cmp_eq_u32_e32 vcc_lo, 0, v197
	s_and_b32 s16, s15, vcc_lo
	s_wait_alu 0xfffe
	s_and_saveexec_b32 s15, s16
	s_cbranch_execz .LBB635_462
; %bb.461:                              ;   in Loop: Header=BB635_396 Depth=2
	s_wait_dscnt 0x0
	v_bcnt_u32_b32 v36, v36, v196
	ds_store_b32 v198, v36 offset:1056
.LBB635_462:                            ;   in Loop: Header=BB635_396 Depth=2
	s_wait_alu 0xfffe
	s_or_b32 exec_lo, exec_lo, s15
	v_lshrrev_b32_e32 v36, s31, v2
	; wave barrier
	s_delay_alu instid0(VALU_DEP_1) | instskip(NEXT) | instid1(VALU_DEP_1)
	v_and_b32_e32 v37, s48, v36
	v_and_b32_e32 v36, 1, v37
	v_lshlrev_b32_e32 v38, 30, v37
	v_lshlrev_b32_e32 v39, 29, v37
	;; [unrolled: 1-line block ×4, first 2 shown]
	v_add_co_u32 v36, s15, v36, -1
	s_wait_alu 0xf1ff
	v_cndmask_b32_e64 v41, 0, 1, s15
	v_not_b32_e32 v200, v38
	v_cmp_gt_i32_e64 s15, 0, v38
	v_not_b32_e32 v38, v39
	v_lshlrev_b32_e32 v43, 26, v37
	v_cmp_ne_u32_e32 vcc_lo, 0, v41
	v_ashrrev_i32_e32 v200, 31, v200
	v_lshlrev_b32_e32 v199, 25, v37
	v_ashrrev_i32_e32 v38, 31, v38
	v_lshlrev_b32_e32 v41, 24, v37
	s_wait_alu 0xfffd
	v_xor_b32_e32 v36, vcc_lo, v36
	v_cmp_gt_i32_e32 vcc_lo, 0, v39
	v_not_b32_e32 v39, v40
	s_wait_alu 0xf1ff
	v_xor_b32_e32 v200, s15, v200
	v_cmp_gt_i32_e64 s15, 0, v40
	v_and_b32_e32 v36, exec_lo, v36
	v_not_b32_e32 v40, v42
	v_ashrrev_i32_e32 v39, 31, v39
	s_wait_alu 0xfffd
	v_xor_b32_e32 v38, vcc_lo, v38
	v_cmp_gt_i32_e32 vcc_lo, 0, v42
	v_and_b32_e32 v36, v36, v200
	v_not_b32_e32 v42, v43
	v_ashrrev_i32_e32 v40, 31, v40
	s_wait_alu 0xf1ff
	v_xor_b32_e32 v39, s15, v39
	v_cmp_gt_i32_e64 s15, 0, v43
	v_and_b32_e32 v36, v36, v38
	v_not_b32_e32 v38, v199
	v_ashrrev_i32_e32 v42, 31, v42
	s_wait_alu 0xfffd
	v_xor_b32_e32 v40, vcc_lo, v40
	v_cmp_gt_i32_e32 vcc_lo, 0, v199
	v_and_b32_e32 v36, v36, v39
	v_not_b32_e32 v39, v41
	v_ashrrev_i32_e32 v38, 31, v38
	s_wait_alu 0xf1ff
	v_xor_b32_e32 v42, s15, v42
	v_cmp_gt_i32_e64 s15, 0, v41
	v_and_b32_e32 v36, v36, v40
	v_ashrrev_i32_e32 v39, 31, v39
	s_wait_alu 0xfffd
	v_xor_b32_e32 v38, vcc_lo, v38
	v_mad_u32_u24 v40, v37, 36, v118
	v_mul_u32_u24_e32 v37, 36, v37
	v_and_b32_e32 v36, v36, v42
	s_wait_alu 0xf1ff
	v_xor_b32_e32 v39, s15, v39
	ds_load_b32 v199, v40 offset:1056
	v_add_nc_u32_e32 v201, v118, v37
	v_and_b32_e32 v36, v36, v38
	; wave barrier
	s_delay_alu instid0(VALU_DEP_1) | instskip(NEXT) | instid1(VALU_DEP_1)
	v_and_b32_e32 v36, v36, v39
	v_mbcnt_lo_u32_b32 v200, v36, 0
	v_cmp_ne_u32_e64 s15, 0, v36
	s_delay_alu instid0(VALU_DEP_2)
	v_cmp_eq_u32_e32 vcc_lo, 0, v200
	s_and_b32 s16, s15, vcc_lo
	s_wait_alu 0xfffe
	s_and_saveexec_b32 s15, s16
	s_cbranch_execz .LBB635_464
; %bb.463:                              ;   in Loop: Header=BB635_396 Depth=2
	s_wait_dscnt 0x0
	v_bcnt_u32_b32 v36, v36, v199
	ds_store_b32 v201, v36 offset:1056
.LBB635_464:                            ;   in Loop: Header=BB635_396 Depth=2
	s_wait_alu 0xfffe
	s_or_b32 exec_lo, exec_lo, s15
	; wave barrier
	s_wait_loadcnt_dscnt 0x0
	s_barrier_signal -1
	s_barrier_wait -1
	global_inv scope:SCOPE_SE
	ds_load_2addr_b32 v[42:43], v140 offset1:1
	ds_load_2addr_b32 v[40:41], v141 offset1:1
	;; [unrolled: 1-line block ×4, first 2 shown]
	ds_load_b32 v202, v67 offset:1088
	s_wait_dscnt 0x3
	v_add3_u32 v203, v43, v42, v40
	s_wait_dscnt 0x2
	s_delay_alu instid0(VALU_DEP_1) | instskip(SKIP_1) | instid1(VALU_DEP_1)
	v_add3_u32 v203, v203, v41, v38
	s_wait_dscnt 0x1
	v_add3_u32 v203, v203, v39, v36
	s_wait_dscnt 0x0
	s_delay_alu instid0(VALU_DEP_1) | instskip(NEXT) | instid1(VALU_DEP_1)
	v_add3_u32 v202, v203, v37, v202
	v_mov_b32_dpp v203, v202 row_shr:1 row_mask:0xf bank_mask:0xf
	s_delay_alu instid0(VALU_DEP_1) | instskip(NEXT) | instid1(VALU_DEP_1)
	v_cndmask_b32_e64 v203, v203, 0, s0
	v_add_nc_u32_e32 v202, v203, v202
	s_delay_alu instid0(VALU_DEP_1) | instskip(NEXT) | instid1(VALU_DEP_1)
	v_mov_b32_dpp v203, v202 row_shr:2 row_mask:0xf bank_mask:0xf
	v_cndmask_b32_e64 v203, 0, v203, s1
	s_delay_alu instid0(VALU_DEP_1) | instskip(NEXT) | instid1(VALU_DEP_1)
	v_add_nc_u32_e32 v202, v202, v203
	v_mov_b32_dpp v203, v202 row_shr:4 row_mask:0xf bank_mask:0xf
	s_delay_alu instid0(VALU_DEP_1) | instskip(NEXT) | instid1(VALU_DEP_1)
	v_cndmask_b32_e64 v203, 0, v203, s9
	v_add_nc_u32_e32 v202, v202, v203
	s_delay_alu instid0(VALU_DEP_1) | instskip(NEXT) | instid1(VALU_DEP_1)
	v_mov_b32_dpp v203, v202 row_shr:8 row_mask:0xf bank_mask:0xf
	v_cndmask_b32_e64 v203, 0, v203, s10
	s_delay_alu instid0(VALU_DEP_1) | instskip(SKIP_3) | instid1(VALU_DEP_1)
	v_add_nc_u32_e32 v202, v202, v203
	ds_swizzle_b32 v203, v202 offset:swizzle(BROADCAST,32,15)
	s_wait_dscnt 0x0
	v_cndmask_b32_e64 v203, v203, 0, s11
	v_add_nc_u32_e32 v202, v202, v203
	s_and_saveexec_b32 s15, s3
; %bb.465:                              ;   in Loop: Header=BB635_396 Depth=2
	ds_store_b32 v63, v202 offset:1024
; %bb.466:                              ;   in Loop: Header=BB635_396 Depth=2
	s_wait_alu 0xfffe
	s_or_b32 exec_lo, exec_lo, s15
	s_wait_loadcnt_dscnt 0x0
	s_barrier_signal -1
	s_barrier_wait -1
	global_inv scope:SCOPE_SE
	s_and_saveexec_b32 s15, s4
	s_cbranch_execz .LBB635_468
; %bb.467:                              ;   in Loop: Header=BB635_396 Depth=2
	ds_load_b32 v203, v70 offset:1024
	s_wait_dscnt 0x0
	v_mov_b32_dpp v204, v203 row_shr:1 row_mask:0xf bank_mask:0xf
	s_delay_alu instid0(VALU_DEP_1) | instskip(NEXT) | instid1(VALU_DEP_1)
	v_cndmask_b32_e64 v204, v204, 0, s12
	v_add_nc_u32_e32 v203, v204, v203
	s_delay_alu instid0(VALU_DEP_1) | instskip(NEXT) | instid1(VALU_DEP_1)
	v_mov_b32_dpp v204, v203 row_shr:2 row_mask:0xf bank_mask:0xf
	v_cndmask_b32_e64 v204, 0, v204, s13
	s_delay_alu instid0(VALU_DEP_1) | instskip(NEXT) | instid1(VALU_DEP_1)
	v_add_nc_u32_e32 v203, v203, v204
	v_mov_b32_dpp v204, v203 row_shr:4 row_mask:0xf bank_mask:0xf
	s_delay_alu instid0(VALU_DEP_1) | instskip(NEXT) | instid1(VALU_DEP_1)
	v_cndmask_b32_e64 v204, 0, v204, s14
	v_add_nc_u32_e32 v203, v203, v204
	ds_store_b32 v70, v203 offset:1024
.LBB635_468:                            ;   in Loop: Header=BB635_396 Depth=2
	s_wait_alu 0xfffe
	s_or_b32 exec_lo, exec_lo, s15
	v_mov_b32_e32 v203, 0
	s_wait_loadcnt_dscnt 0x0
	s_barrier_signal -1
	s_barrier_wait -1
	global_inv scope:SCOPE_SE
	s_and_saveexec_b32 s15, s5
; %bb.469:                              ;   in Loop: Header=BB635_396 Depth=2
	ds_load_b32 v203, v63 offset:1020
; %bb.470:                              ;   in Loop: Header=BB635_396 Depth=2
	s_wait_alu 0xfffe
	s_or_b32 exec_lo, exec_lo, s15
	s_wait_dscnt 0x0
	v_add_nc_u32_e32 v202, v203, v202
	ds_bpermute_b32 v202, v113, v202
	s_wait_dscnt 0x0
	v_cndmask_b32_e64 v202, v202, v203, s8
	s_delay_alu instid0(VALU_DEP_1) | instskip(NEXT) | instid1(VALU_DEP_1)
	v_cndmask_b32_e64 v202, v202, 0, s6
	v_add_nc_u32_e32 v42, v202, v42
	s_delay_alu instid0(VALU_DEP_1) | instskip(NEXT) | instid1(VALU_DEP_1)
	v_add_nc_u32_e32 v43, v42, v43
	v_add_nc_u32_e32 v40, v43, v40
	s_delay_alu instid0(VALU_DEP_1) | instskip(NEXT) | instid1(VALU_DEP_1)
	v_add_nc_u32_e32 v41, v40, v41
	;; [unrolled: 3-line block ×3, first 2 shown]
	v_add_nc_u32_e32 v36, v39, v36
	s_delay_alu instid0(VALU_DEP_1)
	v_add_nc_u32_e32 v37, v36, v37
	ds_store_2addr_b32 v139, v39, v36 offset1:1
	ds_store_2addr_b32 v140, v202, v42 offset1:1
	;; [unrolled: 1-line block ×4, first 2 shown]
	ds_store_b32 v67, v37 offset:1088
	s_wait_loadcnt_dscnt 0x0
	s_barrier_signal -1
	s_barrier_wait -1
	global_inv scope:SCOPE_SE
	ds_load_b32 v39, v143 offset:1056
	ds_load_b32 v41, v147 offset:1056
	;; [unrolled: 1-line block ×17, first 2 shown]
	v_mov_b32_e32 v38, 0x1000
	s_and_saveexec_b32 s15, s7
; %bb.471:                              ;   in Loop: Header=BB635_396 Depth=2
	ds_load_b32 v38, v67 offset:1092
; %bb.472:                              ;   in Loop: Header=BB635_396 Depth=2
	s_wait_alu 0xfffe
	s_or_b32 exec_lo, exec_lo, s15
	s_wait_loadcnt_dscnt 0x0
	s_barrier_signal -1
	s_barrier_wait -1
	global_inv scope:SCOPE_SE
	s_and_saveexec_b32 s15, s2
	s_cbranch_execz .LBB635_474
; %bb.473:                              ;   in Loop: Header=BB635_396 Depth=2
	ds_load_b32 v143, v44
	s_wait_dscnt 0x0
	v_sub_nc_u32_e32 v142, v143, v142
	ds_store_b32 v44, v142
.LBB635_474:                            ;   in Loop: Header=BB635_396 Depth=2
	s_wait_alu 0xfffe
	s_or_b32 exec_lo, exec_lo, s15
	v_add_nc_u32_e32 v155, v39, v138
	v_add3_u32 v151, v146, v145, v41
	v_add3_u32 v147, v150, v149, v42
	v_add3_u32 v146, v154, v153, v43
	v_add3_u32 v145, v158, v157, v139
	v_lshlrev_b32_e32 v149, 2, v155
	v_add3_u32 v143, v162, v161, v140
	v_add3_u32 v142, v166, v165, v141
	;; [unrolled: 1-line block ×3, first 2 shown]
	v_lshlrev_b32_e32 v36, 2, v151
	v_add3_u32 v141, v170, v169, v163
	v_add3_u32 v42, v194, v193, v37
	v_lshlrev_b32_e32 v37, 2, v147
	v_add3_u32 v140, v174, v173, v168
	ds_store_b32 v149, v136 offset:1024
	v_lshlrev_b32_e32 v136, 2, v146
	v_add3_u32 v139, v178, v177, v171
	v_lshlrev_b32_e32 v149, 2, v145
	v_add3_u32 v138, v182, v181, v175
	;; [unrolled: 2-line block ×3, first 2 shown]
	ds_store_b32 v36, v137 offset:1024
	ds_store_b32 v37, v144 offset:1024
	;; [unrolled: 1-line block ×5, first 2 shown]
	v_lshlrev_b32_e32 v36, 2, v142
	v_lshlrev_b32_e32 v37, 2, v141
	;; [unrolled: 1-line block ×3, first 2 shown]
	v_add3_u32 v41, v197, v196, v40
	v_lshlrev_b32_e32 v137, 2, v139
	v_add3_u32 v40, v200, v199, v159
	v_lshlrev_b32_e32 v144, 2, v138
	ds_store_b32 v36, v160 offset:1024
	ds_store_b32 v37, v164 offset:1024
	;; [unrolled: 1-line block ×5, first 2 shown]
	v_lshlrev_b32_e32 v36, 2, v39
	v_cmp_lt_u32_e32 vcc_lo, v1, v135
	v_lshlrev_b32_e32 v37, 2, v43
	v_lshlrev_b32_e32 v136, 2, v42
	;; [unrolled: 1-line block ×4, first 2 shown]
	ds_store_b32 v36, v180 offset:1024
	ds_store_b32 v37, v184 offset:1024
	;; [unrolled: 1-line block ×5, first 2 shown]
	s_wait_loadcnt_dscnt 0x0
	s_barrier_signal -1
	s_barrier_wait -1
	global_inv scope:SCOPE_SE
	s_and_saveexec_b32 s16, vcc_lo
	s_cbranch_execnz .LBB635_543
; %bb.475:                              ;   in Loop: Header=BB635_396 Depth=2
	s_wait_alu 0xfffe
	s_or_b32 exec_lo, exec_lo, s16
	v_cmp_lt_u32_e64 s15, v45, v135
	s_and_saveexec_b32 s17, s15
	s_cbranch_execnz .LBB635_544
.LBB635_476:                            ;   in Loop: Header=BB635_396 Depth=2
	s_wait_alu 0xfffe
	s_or_b32 exec_lo, exec_lo, s17
	v_cmp_lt_u32_e64 s16, v46, v135
	s_and_saveexec_b32 s18, s16
	s_cbranch_execnz .LBB635_545
.LBB635_477:                            ;   in Loop: Header=BB635_396 Depth=2
	s_wait_alu 0xfffe
	s_or_b32 exec_lo, exec_lo, s18
	v_cmp_lt_u32_e64 s17, v47, v135
	s_and_saveexec_b32 s19, s17
	s_cbranch_execnz .LBB635_546
.LBB635_478:                            ;   in Loop: Header=BB635_396 Depth=2
	s_wait_alu 0xfffe
	s_or_b32 exec_lo, exec_lo, s19
	v_cmp_lt_u32_e64 s18, v50, v135
	s_and_saveexec_b32 s20, s18
	s_cbranch_execnz .LBB635_547
.LBB635_479:                            ;   in Loop: Header=BB635_396 Depth=2
	s_wait_alu 0xfffe
	s_or_b32 exec_lo, exec_lo, s20
	v_cmp_lt_u32_e64 s19, v51, v135
	s_and_saveexec_b32 s21, s19
	s_cbranch_execnz .LBB635_548
.LBB635_480:                            ;   in Loop: Header=BB635_396 Depth=2
	s_wait_alu 0xfffe
	s_or_b32 exec_lo, exec_lo, s21
	v_cmp_lt_u32_e64 s20, v52, v135
	s_and_saveexec_b32 s22, s20
	s_cbranch_execnz .LBB635_549
.LBB635_481:                            ;   in Loop: Header=BB635_396 Depth=2
	s_wait_alu 0xfffe
	s_or_b32 exec_lo, exec_lo, s22
	v_cmp_lt_u32_e64 s21, v53, v135
	s_and_saveexec_b32 s23, s21
	s_cbranch_execnz .LBB635_550
.LBB635_482:                            ;   in Loop: Header=BB635_396 Depth=2
	s_wait_alu 0xfffe
	s_or_b32 exec_lo, exec_lo, s23
	v_cmp_lt_u32_e64 s22, v54, v135
	s_and_saveexec_b32 s24, s22
	s_cbranch_execnz .LBB635_551
.LBB635_483:                            ;   in Loop: Header=BB635_396 Depth=2
	s_wait_alu 0xfffe
	s_or_b32 exec_lo, exec_lo, s24
	v_cmp_lt_u32_e64 s23, v55, v135
	s_and_saveexec_b32 s25, s23
	s_cbranch_execnz .LBB635_552
.LBB635_484:                            ;   in Loop: Header=BB635_396 Depth=2
	s_wait_alu 0xfffe
	s_or_b32 exec_lo, exec_lo, s25
	v_cmp_lt_u32_e64 s24, v56, v135
	s_and_saveexec_b32 s26, s24
	s_cbranch_execnz .LBB635_553
.LBB635_485:                            ;   in Loop: Header=BB635_396 Depth=2
	s_wait_alu 0xfffe
	s_or_b32 exec_lo, exec_lo, s26
	v_cmp_lt_u32_e64 s25, v57, v135
	s_and_saveexec_b32 s27, s25
	s_cbranch_execnz .LBB635_554
.LBB635_486:                            ;   in Loop: Header=BB635_396 Depth=2
	s_wait_alu 0xfffe
	s_or_b32 exec_lo, exec_lo, s27
	v_cmp_lt_u32_e64 s26, v58, v135
	s_and_saveexec_b32 s28, s26
	s_cbranch_execnz .LBB635_555
.LBB635_487:                            ;   in Loop: Header=BB635_396 Depth=2
	s_wait_alu 0xfffe
	s_or_b32 exec_lo, exec_lo, s28
	v_cmp_lt_u32_e64 s27, v59, v135
	s_and_saveexec_b32 s29, s27
	s_cbranch_execnz .LBB635_556
.LBB635_488:                            ;   in Loop: Header=BB635_396 Depth=2
	s_wait_alu 0xfffe
	s_or_b32 exec_lo, exec_lo, s29
	v_cmp_lt_u32_e64 s28, v60, v135
	s_and_saveexec_b32 s30, s28
	s_cbranch_execnz .LBB635_557
.LBB635_489:                            ;   in Loop: Header=BB635_396 Depth=2
	s_wait_alu 0xfffe
	s_or_b32 exec_lo, exec_lo, s30
	v_cmp_lt_u32_e64 s29, v61, v135
	s_and_saveexec_b32 s56, s29
	s_cbranch_execz .LBB635_491
.LBB635_490:                            ;   in Loop: Header=BB635_396 Depth=2
	ds_load_b32 v136, v70 offset:16384
	s_wait_dscnt 0x0
	v_lshrrev_b32_e32 v2, s31, v136
	s_delay_alu instid0(VALU_DEP_1) | instskip(NEXT) | instid1(VALU_DEP_1)
	v_and_b32_e32 v2, s48, v2
	v_lshlrev_b32_e32 v2, 2, v2
	ds_load_b32 v2, v2
	s_wait_dscnt 0x0
	v_add_nc_u32_e32 v2, v2, v61
	s_delay_alu instid0(VALU_DEP_1) | instskip(SKIP_1) | instid1(VALU_DEP_2)
	v_lshlrev_b64_e32 v[36:37], 2, v[2:3]
	v_xor_b32_e32 v2, 0x80000000, v136
	v_add_co_u32 v36, s30, s40, v36
	s_wait_alu 0xf1ff
	s_delay_alu instid0(VALU_DEP_3)
	v_add_co_ci_u32_e64 v37, null, s41, v37, s30
	global_store_b32 v[36:37], v2, off
.LBB635_491:                            ;   in Loop: Header=BB635_396 Depth=2
	s_wait_alu 0xfffe
	s_or_b32 exec_lo, exec_lo, s56
	s_lshl_b64 s[56:57], s[42:43], 3
	s_wait_alu 0xfffe
	v_add_co_u32 v36, s30, v114, s56
	s_wait_alu 0xf1ff
	v_add_co_ci_u32_e64 v37, null, s57, v115, s30
	v_cmp_lt_u32_e64 s30, v88, v135
	s_and_saveexec_b32 s42, s30
	s_wait_alu 0xfffe
	s_xor_b32 s30, exec_lo, s42
	s_cbranch_execnz .LBB635_558
; %bb.492:                              ;   in Loop: Header=BB635_396 Depth=2
	s_wait_alu 0xfffe
	s_or_b32 exec_lo, exec_lo, s30
	s_delay_alu instid0(SALU_CYCLE_1)
	s_mov_b32 s42, exec_lo
	v_cmpx_lt_u32_e64 v92, v135
	s_cbranch_execnz .LBB635_559
.LBB635_493:                            ;   in Loop: Header=BB635_396 Depth=2
	s_wait_alu 0xfffe
	s_or_b32 exec_lo, exec_lo, s42
	s_delay_alu instid0(SALU_CYCLE_1)
	s_mov_b32 s42, exec_lo
	v_cmpx_lt_u32_e64 v93, v135
	s_cbranch_execnz .LBB635_560
.LBB635_494:                            ;   in Loop: Header=BB635_396 Depth=2
	s_wait_alu 0xfffe
	s_or_b32 exec_lo, exec_lo, s42
	s_delay_alu instid0(SALU_CYCLE_1)
	s_mov_b32 s42, exec_lo
	v_cmpx_lt_u32_e64 v94, v135
	s_cbranch_execnz .LBB635_561
.LBB635_495:                            ;   in Loop: Header=BB635_396 Depth=2
	s_wait_alu 0xfffe
	s_or_b32 exec_lo, exec_lo, s42
	s_delay_alu instid0(SALU_CYCLE_1)
	s_mov_b32 s42, exec_lo
	v_cmpx_lt_u32_e64 v95, v135
	s_cbranch_execnz .LBB635_562
.LBB635_496:                            ;   in Loop: Header=BB635_396 Depth=2
	s_wait_alu 0xfffe
	s_or_b32 exec_lo, exec_lo, s42
	s_delay_alu instid0(SALU_CYCLE_1)
	s_mov_b32 s42, exec_lo
	v_cmpx_lt_u32_e64 v96, v135
	s_cbranch_execnz .LBB635_563
.LBB635_497:                            ;   in Loop: Header=BB635_396 Depth=2
	s_wait_alu 0xfffe
	s_or_b32 exec_lo, exec_lo, s42
	s_delay_alu instid0(SALU_CYCLE_1)
	s_mov_b32 s42, exec_lo
	v_cmpx_lt_u32_e64 v97, v135
	s_cbranch_execnz .LBB635_564
.LBB635_498:                            ;   in Loop: Header=BB635_396 Depth=2
	s_wait_alu 0xfffe
	s_or_b32 exec_lo, exec_lo, s42
	s_delay_alu instid0(SALU_CYCLE_1)
	s_mov_b32 s42, exec_lo
	v_cmpx_lt_u32_e64 v98, v135
	s_cbranch_execnz .LBB635_565
.LBB635_499:                            ;   in Loop: Header=BB635_396 Depth=2
	s_wait_alu 0xfffe
	s_or_b32 exec_lo, exec_lo, s42
	s_delay_alu instid0(SALU_CYCLE_1)
	s_mov_b32 s42, exec_lo
	v_cmpx_lt_u32_e64 v99, v135
	s_cbranch_execnz .LBB635_566
.LBB635_500:                            ;   in Loop: Header=BB635_396 Depth=2
	s_wait_alu 0xfffe
	s_or_b32 exec_lo, exec_lo, s42
	s_delay_alu instid0(SALU_CYCLE_1)
	s_mov_b32 s42, exec_lo
	v_cmpx_lt_u32_e64 v100, v135
	s_cbranch_execnz .LBB635_567
.LBB635_501:                            ;   in Loop: Header=BB635_396 Depth=2
	s_wait_alu 0xfffe
	s_or_b32 exec_lo, exec_lo, s42
	s_delay_alu instid0(SALU_CYCLE_1)
	s_mov_b32 s42, exec_lo
	v_cmpx_lt_u32_e64 v101, v135
	s_cbranch_execnz .LBB635_568
.LBB635_502:                            ;   in Loop: Header=BB635_396 Depth=2
	s_wait_alu 0xfffe
	s_or_b32 exec_lo, exec_lo, s42
	s_delay_alu instid0(SALU_CYCLE_1)
	s_mov_b32 s42, exec_lo
	v_cmpx_lt_u32_e64 v102, v135
	s_cbranch_execnz .LBB635_569
.LBB635_503:                            ;   in Loop: Header=BB635_396 Depth=2
	s_wait_alu 0xfffe
	s_or_b32 exec_lo, exec_lo, s42
	s_delay_alu instid0(SALU_CYCLE_1)
	s_mov_b32 s42, exec_lo
	v_cmpx_lt_u32_e64 v103, v135
	s_cbranch_execnz .LBB635_570
.LBB635_504:                            ;   in Loop: Header=BB635_396 Depth=2
	s_wait_alu 0xfffe
	s_or_b32 exec_lo, exec_lo, s42
	s_delay_alu instid0(SALU_CYCLE_1)
	s_mov_b32 s42, exec_lo
	v_cmpx_lt_u32_e64 v104, v135
	s_cbranch_execnz .LBB635_571
.LBB635_505:                            ;   in Loop: Header=BB635_396 Depth=2
	s_wait_alu 0xfffe
	s_or_b32 exec_lo, exec_lo, s42
	s_delay_alu instid0(SALU_CYCLE_1)
	s_mov_b32 s42, exec_lo
	v_cmpx_lt_u32_e64 v105, v135
	s_cbranch_execnz .LBB635_572
.LBB635_506:                            ;   in Loop: Header=BB635_396 Depth=2
	s_wait_alu 0xfffe
	s_or_b32 exec_lo, exec_lo, s42
	s_delay_alu instid0(SALU_CYCLE_1)
	s_mov_b32 s42, exec_lo
	v_cmpx_lt_u32_e64 v106, v135
	s_cbranch_execnz .LBB635_573
.LBB635_507:                            ;   in Loop: Header=BB635_396 Depth=2
	s_wait_alu 0xfffe
	s_or_b32 exec_lo, exec_lo, s42
	s_and_saveexec_b32 s30, vcc_lo
	s_cbranch_execnz .LBB635_574
.LBB635_508:                            ;   in Loop: Header=BB635_396 Depth=2
	s_wait_alu 0xfffe
	s_or_b32 exec_lo, exec_lo, s30
	s_and_saveexec_b32 s30, s15
	s_cbranch_execnz .LBB635_575
.LBB635_509:                            ;   in Loop: Header=BB635_396 Depth=2
	s_wait_alu 0xfffe
	s_or_b32 exec_lo, exec_lo, s30
	s_and_saveexec_b32 s30, s16
	s_cbranch_execnz .LBB635_576
.LBB635_510:                            ;   in Loop: Header=BB635_396 Depth=2
	s_wait_alu 0xfffe
	s_or_b32 exec_lo, exec_lo, s30
	s_and_saveexec_b32 s30, s17
	s_cbranch_execnz .LBB635_577
.LBB635_511:                            ;   in Loop: Header=BB635_396 Depth=2
	s_wait_alu 0xfffe
	s_or_b32 exec_lo, exec_lo, s30
	s_and_saveexec_b32 s30, s18
	s_cbranch_execnz .LBB635_578
.LBB635_512:                            ;   in Loop: Header=BB635_396 Depth=2
	s_wait_alu 0xfffe
	s_or_b32 exec_lo, exec_lo, s30
	s_and_saveexec_b32 s30, s19
	s_cbranch_execnz .LBB635_579
.LBB635_513:                            ;   in Loop: Header=BB635_396 Depth=2
	s_wait_alu 0xfffe
	s_or_b32 exec_lo, exec_lo, s30
	s_and_saveexec_b32 s30, s20
	s_cbranch_execnz .LBB635_580
.LBB635_514:                            ;   in Loop: Header=BB635_396 Depth=2
	s_wait_alu 0xfffe
	s_or_b32 exec_lo, exec_lo, s30
	s_and_saveexec_b32 s30, s21
	s_cbranch_execnz .LBB635_581
.LBB635_515:                            ;   in Loop: Header=BB635_396 Depth=2
	s_wait_alu 0xfffe
	s_or_b32 exec_lo, exec_lo, s30
	s_and_saveexec_b32 s30, s22
	s_cbranch_execnz .LBB635_582
.LBB635_516:                            ;   in Loop: Header=BB635_396 Depth=2
	s_wait_alu 0xfffe
	s_or_b32 exec_lo, exec_lo, s30
	s_and_saveexec_b32 s30, s23
	s_cbranch_execnz .LBB635_583
.LBB635_517:                            ;   in Loop: Header=BB635_396 Depth=2
	s_wait_alu 0xfffe
	s_or_b32 exec_lo, exec_lo, s30
	s_and_saveexec_b32 s30, s24
	s_cbranch_execnz .LBB635_584
.LBB635_518:                            ;   in Loop: Header=BB635_396 Depth=2
	s_wait_alu 0xfffe
	s_or_b32 exec_lo, exec_lo, s30
	s_and_saveexec_b32 s30, s25
	s_cbranch_execnz .LBB635_585
.LBB635_519:                            ;   in Loop: Header=BB635_396 Depth=2
	s_wait_alu 0xfffe
	s_or_b32 exec_lo, exec_lo, s30
	s_and_saveexec_b32 s30, s26
	s_cbranch_execnz .LBB635_586
.LBB635_520:                            ;   in Loop: Header=BB635_396 Depth=2
	s_wait_alu 0xfffe
	s_or_b32 exec_lo, exec_lo, s30
	s_and_saveexec_b32 s30, s27
	s_cbranch_execnz .LBB635_587
.LBB635_521:                            ;   in Loop: Header=BB635_396 Depth=2
	s_wait_alu 0xfffe
	s_or_b32 exec_lo, exec_lo, s30
	s_and_saveexec_b32 s30, s28
	s_cbranch_execnz .LBB635_588
.LBB635_522:                            ;   in Loop: Header=BB635_396 Depth=2
	s_wait_alu 0xfffe
	s_or_b32 exec_lo, exec_lo, s30
	s_and_saveexec_b32 s30, s29
	s_cbranch_execz .LBB635_524
.LBB635_523:                            ;   in Loop: Header=BB635_396 Depth=2
	ds_load_b32 v2, v70 offset:16384
	s_wait_dscnt 0x0
	v_lshrrev_b32_e32 v2, s31, v2
	s_delay_alu instid0(VALU_DEP_1)
	v_and_b32_e32 v119, s48, v2
.LBB635_524:                            ;   in Loop: Header=BB635_396 Depth=2
	s_wait_alu 0xfffe
	s_or_b32 exec_lo, exec_lo, s30
	v_lshlrev_b32_e32 v2, 3, v155
	s_wait_loadcnt 0x0
	s_wait_storecnt 0x0
	s_barrier_signal -1
	s_barrier_wait -1
	global_inv scope:SCOPE_SE
	ds_store_b64 v2, v[34:35] offset:1024
	v_lshlrev_b32_e32 v2, 3, v151
	v_lshlrev_b32_e32 v36, 3, v147
	v_lshlrev_b32_e32 v37, 3, v146
	v_lshlrev_b32_e32 v135, 3, v145
	v_lshlrev_b32_e32 v136, 3, v143
	ds_store_b64 v2, v[32:33] offset:1024
	ds_store_b64 v36, v[30:31] offset:1024
	ds_store_b64 v37, v[28:29] offset:1024
	ds_store_b64 v135, v[26:27] offset:1024
	ds_store_b64 v136, v[24:25] offset:1024
	v_lshlrev_b32_e32 v2, 3, v142
	v_lshlrev_b32_e32 v36, 3, v141
	v_lshlrev_b32_e32 v37, 3, v140
	v_lshlrev_b32_e32 v135, 3, v139
	v_lshlrev_b32_e32 v136, 3, v138
	ds_store_b64 v2, v[22:23] offset:1024
	ds_store_b64 v36, v[20:21] offset:1024
	ds_store_b64 v37, v[18:19] offset:1024
	ds_store_b64 v135, v[16:17] offset:1024
	;; [unrolled: 10-line block ×3, first 2 shown]
	ds_store_b64 v40, v[4:5] offset:1024
	s_wait_loadcnt_dscnt 0x0
	s_barrier_signal -1
	s_barrier_wait -1
	global_inv scope:SCOPE_SE
	s_and_saveexec_b32 s30, vcc_lo
	s_cbranch_execnz .LBB635_589
; %bb.525:                              ;   in Loop: Header=BB635_396 Depth=2
	s_wait_alu 0xfffe
	s_or_b32 exec_lo, exec_lo, s30
	s_and_saveexec_b32 s30, s15
	s_cbranch_execnz .LBB635_590
.LBB635_526:                            ;   in Loop: Header=BB635_396 Depth=2
	s_wait_alu 0xfffe
	s_or_b32 exec_lo, exec_lo, s30
	s_and_saveexec_b32 s15, s16
	s_cbranch_execnz .LBB635_591
.LBB635_527:                            ;   in Loop: Header=BB635_396 Depth=2
	s_wait_alu 0xfffe
	s_or_b32 exec_lo, exec_lo, s15
	s_and_saveexec_b32 s15, s17
	s_cbranch_execnz .LBB635_592
.LBB635_528:                            ;   in Loop: Header=BB635_396 Depth=2
	s_wait_alu 0xfffe
	s_or_b32 exec_lo, exec_lo, s15
	s_and_saveexec_b32 s15, s18
	s_cbranch_execnz .LBB635_593
.LBB635_529:                            ;   in Loop: Header=BB635_396 Depth=2
	s_wait_alu 0xfffe
	s_or_b32 exec_lo, exec_lo, s15
	s_and_saveexec_b32 s15, s19
	s_cbranch_execnz .LBB635_594
.LBB635_530:                            ;   in Loop: Header=BB635_396 Depth=2
	s_wait_alu 0xfffe
	s_or_b32 exec_lo, exec_lo, s15
	s_and_saveexec_b32 s15, s20
	s_cbranch_execnz .LBB635_595
.LBB635_531:                            ;   in Loop: Header=BB635_396 Depth=2
	s_wait_alu 0xfffe
	s_or_b32 exec_lo, exec_lo, s15
	s_and_saveexec_b32 s15, s21
	s_cbranch_execnz .LBB635_596
.LBB635_532:                            ;   in Loop: Header=BB635_396 Depth=2
	s_wait_alu 0xfffe
	s_or_b32 exec_lo, exec_lo, s15
	s_and_saveexec_b32 s15, s22
	s_cbranch_execnz .LBB635_597
.LBB635_533:                            ;   in Loop: Header=BB635_396 Depth=2
	s_wait_alu 0xfffe
	s_or_b32 exec_lo, exec_lo, s15
	s_and_saveexec_b32 s15, s23
	s_cbranch_execnz .LBB635_598
.LBB635_534:                            ;   in Loop: Header=BB635_396 Depth=2
	s_wait_alu 0xfffe
	s_or_b32 exec_lo, exec_lo, s15
	s_and_saveexec_b32 s15, s24
	s_cbranch_execnz .LBB635_599
.LBB635_535:                            ;   in Loop: Header=BB635_396 Depth=2
	s_wait_alu 0xfffe
	s_or_b32 exec_lo, exec_lo, s15
	s_and_saveexec_b32 s15, s25
	s_cbranch_execnz .LBB635_600
.LBB635_536:                            ;   in Loop: Header=BB635_396 Depth=2
	s_wait_alu 0xfffe
	s_or_b32 exec_lo, exec_lo, s15
	s_and_saveexec_b32 s15, s26
	s_cbranch_execnz .LBB635_601
.LBB635_537:                            ;   in Loop: Header=BB635_396 Depth=2
	s_wait_alu 0xfffe
	s_or_b32 exec_lo, exec_lo, s15
	s_and_saveexec_b32 s15, s27
	s_cbranch_execnz .LBB635_602
.LBB635_538:                            ;   in Loop: Header=BB635_396 Depth=2
	s_wait_alu 0xfffe
	s_or_b32 exec_lo, exec_lo, s15
	s_and_saveexec_b32 s15, s28
	s_cbranch_execnz .LBB635_603
.LBB635_539:                            ;   in Loop: Header=BB635_396 Depth=2
	s_wait_alu 0xfffe
	s_or_b32 exec_lo, exec_lo, s15
	s_and_saveexec_b32 s15, s29
	s_cbranch_execz .LBB635_541
.LBB635_540:                            ;   in Loop: Header=BB635_396 Depth=2
	v_lshlrev_b32_e32 v2, 2, v119
	v_add_nc_u32_e32 v36, v70, v44
	ds_load_b32 v2, v2
	ds_load_b64 v[36:37], v36 offset:31744
	s_wait_dscnt 0x1
	v_add_nc_u32_e32 v2, v2, v61
	s_delay_alu instid0(VALU_DEP_1) | instskip(NEXT) | instid1(VALU_DEP_1)
	v_lshlrev_b64_e32 v[39:40], 3, v[2:3]
	v_add_co_u32 v39, vcc_lo, s46, v39
	s_wait_alu 0xfffd
	s_delay_alu instid0(VALU_DEP_2)
	v_add_co_ci_u32_e64 v40, null, s47, v40, vcc_lo
	s_wait_dscnt 0x0
	global_store_b64 v[39:40], v[36:37], off
.LBB635_541:                            ;   in Loop: Header=BB635_396 Depth=2
	s_wait_alu 0xfffe
	s_or_b32 exec_lo, exec_lo, s15
	s_wait_loadcnt 0x0
	s_wait_storecnt 0x0
	s_barrier_signal -1
	s_barrier_wait -1
	global_inv scope:SCOPE_SE
	s_and_saveexec_b32 s15, s2
	s_cbranch_execz .LBB635_395
; %bb.542:                              ;   in Loop: Header=BB635_396 Depth=2
	ds_load_b32 v2, v44
	s_wait_dscnt 0x0
	v_add_nc_u32_e32 v2, v2, v38
	ds_store_b32 v44, v2
	s_branch .LBB635_395
.LBB635_543:                            ;   in Loop: Header=BB635_396 Depth=2
	ds_load_b32 v136, v70 offset:1024
	s_wait_dscnt 0x0
	v_lshrrev_b32_e32 v2, s31, v136
	s_delay_alu instid0(VALU_DEP_1) | instskip(NEXT) | instid1(VALU_DEP_1)
	v_and_b32_e32 v2, s48, v2
	v_lshlrev_b32_e32 v2, 2, v2
	ds_load_b32 v2, v2
	s_wait_dscnt 0x0
	v_add_nc_u32_e32 v2, v2, v1
	s_delay_alu instid0(VALU_DEP_1) | instskip(SKIP_1) | instid1(VALU_DEP_2)
	v_lshlrev_b64_e32 v[36:37], 2, v[2:3]
	v_xor_b32_e32 v2, 0x80000000, v136
	v_add_co_u32 v36, s15, s40, v36
	s_wait_alu 0xf1ff
	s_delay_alu instid0(VALU_DEP_3)
	v_add_co_ci_u32_e64 v37, null, s41, v37, s15
	global_store_b32 v[36:37], v2, off
	s_wait_alu 0xfffe
	s_or_b32 exec_lo, exec_lo, s16
	v_cmp_lt_u32_e64 s15, v45, v135
	s_and_saveexec_b32 s17, s15
	s_cbranch_execz .LBB635_476
.LBB635_544:                            ;   in Loop: Header=BB635_396 Depth=2
	ds_load_b32 v136, v70 offset:2048
	s_wait_dscnt 0x0
	v_lshrrev_b32_e32 v2, s31, v136
	s_delay_alu instid0(VALU_DEP_1) | instskip(NEXT) | instid1(VALU_DEP_1)
	v_and_b32_e32 v2, s48, v2
	v_lshlrev_b32_e32 v2, 2, v2
	ds_load_b32 v2, v2
	s_wait_dscnt 0x0
	v_add_nc_u32_e32 v2, v2, v45
	s_delay_alu instid0(VALU_DEP_1) | instskip(SKIP_1) | instid1(VALU_DEP_2)
	v_lshlrev_b64_e32 v[36:37], 2, v[2:3]
	v_xor_b32_e32 v2, 0x80000000, v136
	v_add_co_u32 v36, s16, s40, v36
	s_wait_alu 0xf1ff
	s_delay_alu instid0(VALU_DEP_3)
	v_add_co_ci_u32_e64 v37, null, s41, v37, s16
	global_store_b32 v[36:37], v2, off
	s_wait_alu 0xfffe
	s_or_b32 exec_lo, exec_lo, s17
	v_cmp_lt_u32_e64 s16, v46, v135
	s_and_saveexec_b32 s18, s16
	s_cbranch_execz .LBB635_477
.LBB635_545:                            ;   in Loop: Header=BB635_396 Depth=2
	ds_load_b32 v136, v70 offset:3072
	s_wait_dscnt 0x0
	v_lshrrev_b32_e32 v2, s31, v136
	s_delay_alu instid0(VALU_DEP_1) | instskip(NEXT) | instid1(VALU_DEP_1)
	v_and_b32_e32 v2, s48, v2
	v_lshlrev_b32_e32 v2, 2, v2
	ds_load_b32 v2, v2
	s_wait_dscnt 0x0
	v_add_nc_u32_e32 v2, v2, v46
	s_delay_alu instid0(VALU_DEP_1) | instskip(SKIP_1) | instid1(VALU_DEP_2)
	v_lshlrev_b64_e32 v[36:37], 2, v[2:3]
	v_xor_b32_e32 v2, 0x80000000, v136
	v_add_co_u32 v36, s17, s40, v36
	s_wait_alu 0xf1ff
	s_delay_alu instid0(VALU_DEP_3)
	v_add_co_ci_u32_e64 v37, null, s41, v37, s17
	global_store_b32 v[36:37], v2, off
	s_wait_alu 0xfffe
	s_or_b32 exec_lo, exec_lo, s18
	v_cmp_lt_u32_e64 s17, v47, v135
	s_and_saveexec_b32 s19, s17
	s_cbranch_execz .LBB635_478
.LBB635_546:                            ;   in Loop: Header=BB635_396 Depth=2
	ds_load_b32 v136, v70 offset:4096
	s_wait_dscnt 0x0
	v_lshrrev_b32_e32 v2, s31, v136
	s_delay_alu instid0(VALU_DEP_1) | instskip(NEXT) | instid1(VALU_DEP_1)
	v_and_b32_e32 v2, s48, v2
	v_lshlrev_b32_e32 v2, 2, v2
	ds_load_b32 v2, v2
	s_wait_dscnt 0x0
	v_add_nc_u32_e32 v2, v2, v47
	s_delay_alu instid0(VALU_DEP_1) | instskip(SKIP_1) | instid1(VALU_DEP_2)
	v_lshlrev_b64_e32 v[36:37], 2, v[2:3]
	v_xor_b32_e32 v2, 0x80000000, v136
	v_add_co_u32 v36, s18, s40, v36
	s_wait_alu 0xf1ff
	s_delay_alu instid0(VALU_DEP_3)
	v_add_co_ci_u32_e64 v37, null, s41, v37, s18
	global_store_b32 v[36:37], v2, off
	s_wait_alu 0xfffe
	s_or_b32 exec_lo, exec_lo, s19
	v_cmp_lt_u32_e64 s18, v50, v135
	s_and_saveexec_b32 s20, s18
	s_cbranch_execz .LBB635_479
.LBB635_547:                            ;   in Loop: Header=BB635_396 Depth=2
	ds_load_b32 v136, v70 offset:5120
	s_wait_dscnt 0x0
	v_lshrrev_b32_e32 v2, s31, v136
	s_delay_alu instid0(VALU_DEP_1) | instskip(NEXT) | instid1(VALU_DEP_1)
	v_and_b32_e32 v2, s48, v2
	v_lshlrev_b32_e32 v2, 2, v2
	ds_load_b32 v2, v2
	s_wait_dscnt 0x0
	v_add_nc_u32_e32 v2, v2, v50
	s_delay_alu instid0(VALU_DEP_1) | instskip(SKIP_1) | instid1(VALU_DEP_2)
	v_lshlrev_b64_e32 v[36:37], 2, v[2:3]
	v_xor_b32_e32 v2, 0x80000000, v136
	v_add_co_u32 v36, s19, s40, v36
	s_wait_alu 0xf1ff
	s_delay_alu instid0(VALU_DEP_3)
	v_add_co_ci_u32_e64 v37, null, s41, v37, s19
	global_store_b32 v[36:37], v2, off
	s_wait_alu 0xfffe
	s_or_b32 exec_lo, exec_lo, s20
	v_cmp_lt_u32_e64 s19, v51, v135
	s_and_saveexec_b32 s21, s19
	s_cbranch_execz .LBB635_480
.LBB635_548:                            ;   in Loop: Header=BB635_396 Depth=2
	ds_load_b32 v136, v70 offset:6144
	s_wait_dscnt 0x0
	v_lshrrev_b32_e32 v2, s31, v136
	s_delay_alu instid0(VALU_DEP_1) | instskip(NEXT) | instid1(VALU_DEP_1)
	v_and_b32_e32 v2, s48, v2
	v_lshlrev_b32_e32 v2, 2, v2
	ds_load_b32 v2, v2
	s_wait_dscnt 0x0
	v_add_nc_u32_e32 v2, v2, v51
	s_delay_alu instid0(VALU_DEP_1) | instskip(SKIP_1) | instid1(VALU_DEP_2)
	v_lshlrev_b64_e32 v[36:37], 2, v[2:3]
	v_xor_b32_e32 v2, 0x80000000, v136
	v_add_co_u32 v36, s20, s40, v36
	s_wait_alu 0xf1ff
	s_delay_alu instid0(VALU_DEP_3)
	v_add_co_ci_u32_e64 v37, null, s41, v37, s20
	global_store_b32 v[36:37], v2, off
	s_wait_alu 0xfffe
	s_or_b32 exec_lo, exec_lo, s21
	v_cmp_lt_u32_e64 s20, v52, v135
	s_and_saveexec_b32 s22, s20
	s_cbranch_execz .LBB635_481
.LBB635_549:                            ;   in Loop: Header=BB635_396 Depth=2
	ds_load_b32 v136, v70 offset:7168
	s_wait_dscnt 0x0
	v_lshrrev_b32_e32 v2, s31, v136
	s_delay_alu instid0(VALU_DEP_1) | instskip(NEXT) | instid1(VALU_DEP_1)
	v_and_b32_e32 v2, s48, v2
	v_lshlrev_b32_e32 v2, 2, v2
	ds_load_b32 v2, v2
	s_wait_dscnt 0x0
	v_add_nc_u32_e32 v2, v2, v52
	s_delay_alu instid0(VALU_DEP_1) | instskip(SKIP_1) | instid1(VALU_DEP_2)
	v_lshlrev_b64_e32 v[36:37], 2, v[2:3]
	v_xor_b32_e32 v2, 0x80000000, v136
	v_add_co_u32 v36, s21, s40, v36
	s_wait_alu 0xf1ff
	s_delay_alu instid0(VALU_DEP_3)
	v_add_co_ci_u32_e64 v37, null, s41, v37, s21
	global_store_b32 v[36:37], v2, off
	s_wait_alu 0xfffe
	s_or_b32 exec_lo, exec_lo, s22
	v_cmp_lt_u32_e64 s21, v53, v135
	s_and_saveexec_b32 s23, s21
	s_cbranch_execz .LBB635_482
.LBB635_550:                            ;   in Loop: Header=BB635_396 Depth=2
	ds_load_b32 v136, v70 offset:8192
	s_wait_dscnt 0x0
	v_lshrrev_b32_e32 v2, s31, v136
	s_delay_alu instid0(VALU_DEP_1) | instskip(NEXT) | instid1(VALU_DEP_1)
	v_and_b32_e32 v2, s48, v2
	v_lshlrev_b32_e32 v2, 2, v2
	ds_load_b32 v2, v2
	s_wait_dscnt 0x0
	v_add_nc_u32_e32 v2, v2, v53
	s_delay_alu instid0(VALU_DEP_1) | instskip(SKIP_1) | instid1(VALU_DEP_2)
	v_lshlrev_b64_e32 v[36:37], 2, v[2:3]
	v_xor_b32_e32 v2, 0x80000000, v136
	v_add_co_u32 v36, s22, s40, v36
	s_wait_alu 0xf1ff
	s_delay_alu instid0(VALU_DEP_3)
	v_add_co_ci_u32_e64 v37, null, s41, v37, s22
	global_store_b32 v[36:37], v2, off
	s_wait_alu 0xfffe
	s_or_b32 exec_lo, exec_lo, s23
	v_cmp_lt_u32_e64 s22, v54, v135
	s_and_saveexec_b32 s24, s22
	s_cbranch_execz .LBB635_483
.LBB635_551:                            ;   in Loop: Header=BB635_396 Depth=2
	ds_load_b32 v136, v70 offset:9216
	s_wait_dscnt 0x0
	v_lshrrev_b32_e32 v2, s31, v136
	s_delay_alu instid0(VALU_DEP_1) | instskip(NEXT) | instid1(VALU_DEP_1)
	v_and_b32_e32 v2, s48, v2
	v_lshlrev_b32_e32 v2, 2, v2
	ds_load_b32 v2, v2
	s_wait_dscnt 0x0
	v_add_nc_u32_e32 v2, v2, v54
	s_delay_alu instid0(VALU_DEP_1) | instskip(SKIP_1) | instid1(VALU_DEP_2)
	v_lshlrev_b64_e32 v[36:37], 2, v[2:3]
	v_xor_b32_e32 v2, 0x80000000, v136
	v_add_co_u32 v36, s23, s40, v36
	s_wait_alu 0xf1ff
	s_delay_alu instid0(VALU_DEP_3)
	v_add_co_ci_u32_e64 v37, null, s41, v37, s23
	global_store_b32 v[36:37], v2, off
	s_wait_alu 0xfffe
	s_or_b32 exec_lo, exec_lo, s24
	v_cmp_lt_u32_e64 s23, v55, v135
	s_and_saveexec_b32 s25, s23
	s_cbranch_execz .LBB635_484
.LBB635_552:                            ;   in Loop: Header=BB635_396 Depth=2
	ds_load_b32 v136, v70 offset:10240
	s_wait_dscnt 0x0
	v_lshrrev_b32_e32 v2, s31, v136
	s_delay_alu instid0(VALU_DEP_1) | instskip(NEXT) | instid1(VALU_DEP_1)
	v_and_b32_e32 v2, s48, v2
	v_lshlrev_b32_e32 v2, 2, v2
	ds_load_b32 v2, v2
	s_wait_dscnt 0x0
	v_add_nc_u32_e32 v2, v2, v55
	s_delay_alu instid0(VALU_DEP_1) | instskip(SKIP_1) | instid1(VALU_DEP_2)
	v_lshlrev_b64_e32 v[36:37], 2, v[2:3]
	v_xor_b32_e32 v2, 0x80000000, v136
	v_add_co_u32 v36, s24, s40, v36
	s_wait_alu 0xf1ff
	s_delay_alu instid0(VALU_DEP_3)
	v_add_co_ci_u32_e64 v37, null, s41, v37, s24
	global_store_b32 v[36:37], v2, off
	s_wait_alu 0xfffe
	s_or_b32 exec_lo, exec_lo, s25
	v_cmp_lt_u32_e64 s24, v56, v135
	s_and_saveexec_b32 s26, s24
	s_cbranch_execz .LBB635_485
.LBB635_553:                            ;   in Loop: Header=BB635_396 Depth=2
	ds_load_b32 v136, v70 offset:11264
	s_wait_dscnt 0x0
	v_lshrrev_b32_e32 v2, s31, v136
	s_delay_alu instid0(VALU_DEP_1) | instskip(NEXT) | instid1(VALU_DEP_1)
	v_and_b32_e32 v2, s48, v2
	v_lshlrev_b32_e32 v2, 2, v2
	ds_load_b32 v2, v2
	s_wait_dscnt 0x0
	v_add_nc_u32_e32 v2, v2, v56
	s_delay_alu instid0(VALU_DEP_1) | instskip(SKIP_1) | instid1(VALU_DEP_2)
	v_lshlrev_b64_e32 v[36:37], 2, v[2:3]
	v_xor_b32_e32 v2, 0x80000000, v136
	v_add_co_u32 v36, s25, s40, v36
	s_wait_alu 0xf1ff
	s_delay_alu instid0(VALU_DEP_3)
	v_add_co_ci_u32_e64 v37, null, s41, v37, s25
	global_store_b32 v[36:37], v2, off
	s_wait_alu 0xfffe
	s_or_b32 exec_lo, exec_lo, s26
	v_cmp_lt_u32_e64 s25, v57, v135
	s_and_saveexec_b32 s27, s25
	s_cbranch_execz .LBB635_486
.LBB635_554:                            ;   in Loop: Header=BB635_396 Depth=2
	ds_load_b32 v136, v70 offset:12288
	s_wait_dscnt 0x0
	v_lshrrev_b32_e32 v2, s31, v136
	s_delay_alu instid0(VALU_DEP_1) | instskip(NEXT) | instid1(VALU_DEP_1)
	v_and_b32_e32 v2, s48, v2
	v_lshlrev_b32_e32 v2, 2, v2
	ds_load_b32 v2, v2
	s_wait_dscnt 0x0
	v_add_nc_u32_e32 v2, v2, v57
	s_delay_alu instid0(VALU_DEP_1) | instskip(SKIP_1) | instid1(VALU_DEP_2)
	v_lshlrev_b64_e32 v[36:37], 2, v[2:3]
	v_xor_b32_e32 v2, 0x80000000, v136
	v_add_co_u32 v36, s26, s40, v36
	s_wait_alu 0xf1ff
	s_delay_alu instid0(VALU_DEP_3)
	v_add_co_ci_u32_e64 v37, null, s41, v37, s26
	global_store_b32 v[36:37], v2, off
	s_wait_alu 0xfffe
	s_or_b32 exec_lo, exec_lo, s27
	v_cmp_lt_u32_e64 s26, v58, v135
	s_and_saveexec_b32 s28, s26
	s_cbranch_execz .LBB635_487
.LBB635_555:                            ;   in Loop: Header=BB635_396 Depth=2
	ds_load_b32 v136, v70 offset:13312
	s_wait_dscnt 0x0
	v_lshrrev_b32_e32 v2, s31, v136
	s_delay_alu instid0(VALU_DEP_1) | instskip(NEXT) | instid1(VALU_DEP_1)
	v_and_b32_e32 v2, s48, v2
	v_lshlrev_b32_e32 v2, 2, v2
	ds_load_b32 v2, v2
	s_wait_dscnt 0x0
	v_add_nc_u32_e32 v2, v2, v58
	s_delay_alu instid0(VALU_DEP_1) | instskip(SKIP_1) | instid1(VALU_DEP_2)
	v_lshlrev_b64_e32 v[36:37], 2, v[2:3]
	v_xor_b32_e32 v2, 0x80000000, v136
	v_add_co_u32 v36, s27, s40, v36
	s_wait_alu 0xf1ff
	s_delay_alu instid0(VALU_DEP_3)
	v_add_co_ci_u32_e64 v37, null, s41, v37, s27
	global_store_b32 v[36:37], v2, off
	s_wait_alu 0xfffe
	s_or_b32 exec_lo, exec_lo, s28
	v_cmp_lt_u32_e64 s27, v59, v135
	s_and_saveexec_b32 s29, s27
	s_cbranch_execz .LBB635_488
.LBB635_556:                            ;   in Loop: Header=BB635_396 Depth=2
	ds_load_b32 v136, v70 offset:14336
	s_wait_dscnt 0x0
	v_lshrrev_b32_e32 v2, s31, v136
	s_delay_alu instid0(VALU_DEP_1) | instskip(NEXT) | instid1(VALU_DEP_1)
	v_and_b32_e32 v2, s48, v2
	v_lshlrev_b32_e32 v2, 2, v2
	ds_load_b32 v2, v2
	s_wait_dscnt 0x0
	v_add_nc_u32_e32 v2, v2, v59
	s_delay_alu instid0(VALU_DEP_1) | instskip(SKIP_1) | instid1(VALU_DEP_2)
	v_lshlrev_b64_e32 v[36:37], 2, v[2:3]
	v_xor_b32_e32 v2, 0x80000000, v136
	v_add_co_u32 v36, s28, s40, v36
	s_wait_alu 0xf1ff
	s_delay_alu instid0(VALU_DEP_3)
	v_add_co_ci_u32_e64 v37, null, s41, v37, s28
	global_store_b32 v[36:37], v2, off
	s_wait_alu 0xfffe
	s_or_b32 exec_lo, exec_lo, s29
	v_cmp_lt_u32_e64 s28, v60, v135
	s_and_saveexec_b32 s30, s28
	s_cbranch_execz .LBB635_489
.LBB635_557:                            ;   in Loop: Header=BB635_396 Depth=2
	ds_load_b32 v136, v70 offset:15360
	s_wait_dscnt 0x0
	v_lshrrev_b32_e32 v2, s31, v136
	s_delay_alu instid0(VALU_DEP_1) | instskip(NEXT) | instid1(VALU_DEP_1)
	v_and_b32_e32 v2, s48, v2
	v_lshlrev_b32_e32 v2, 2, v2
	ds_load_b32 v2, v2
	s_wait_dscnt 0x0
	v_add_nc_u32_e32 v2, v2, v60
	s_delay_alu instid0(VALU_DEP_1) | instskip(SKIP_1) | instid1(VALU_DEP_2)
	v_lshlrev_b64_e32 v[36:37], 2, v[2:3]
	v_xor_b32_e32 v2, 0x80000000, v136
	v_add_co_u32 v36, s29, s40, v36
	s_wait_alu 0xf1ff
	s_delay_alu instid0(VALU_DEP_3)
	v_add_co_ci_u32_e64 v37, null, s41, v37, s29
	global_store_b32 v[36:37], v2, off
	s_wait_alu 0xfffe
	s_or_b32 exec_lo, exec_lo, s30
	v_cmp_lt_u32_e64 s29, v61, v135
	s_and_saveexec_b32 s56, s29
	s_cbranch_execnz .LBB635_490
	s_branch .LBB635_491
.LBB635_558:                            ;   in Loop: Header=BB635_396 Depth=2
	global_load_b64 v[34:35], v[36:37], off
	s_wait_alu 0xfffe
	s_or_b32 exec_lo, exec_lo, s30
	s_delay_alu instid0(SALU_CYCLE_1)
	s_mov_b32 s42, exec_lo
	v_cmpx_lt_u32_e64 v92, v135
	s_cbranch_execz .LBB635_493
.LBB635_559:                            ;   in Loop: Header=BB635_396 Depth=2
	global_load_b64 v[32:33], v[36:37], off offset:256
	s_wait_alu 0xfffe
	s_or_b32 exec_lo, exec_lo, s42
	s_delay_alu instid0(SALU_CYCLE_1)
	s_mov_b32 s42, exec_lo
	v_cmpx_lt_u32_e64 v93, v135
	s_cbranch_execz .LBB635_494
.LBB635_560:                            ;   in Loop: Header=BB635_396 Depth=2
	global_load_b64 v[30:31], v[36:37], off offset:512
	s_wait_alu 0xfffe
	s_or_b32 exec_lo, exec_lo, s42
	s_delay_alu instid0(SALU_CYCLE_1)
	s_mov_b32 s42, exec_lo
	v_cmpx_lt_u32_e64 v94, v135
	s_cbranch_execz .LBB635_495
.LBB635_561:                            ;   in Loop: Header=BB635_396 Depth=2
	global_load_b64 v[28:29], v[36:37], off offset:768
	s_wait_alu 0xfffe
	s_or_b32 exec_lo, exec_lo, s42
	s_delay_alu instid0(SALU_CYCLE_1)
	s_mov_b32 s42, exec_lo
	v_cmpx_lt_u32_e64 v95, v135
	s_cbranch_execz .LBB635_496
.LBB635_562:                            ;   in Loop: Header=BB635_396 Depth=2
	global_load_b64 v[26:27], v[36:37], off offset:1024
	s_wait_alu 0xfffe
	s_or_b32 exec_lo, exec_lo, s42
	s_delay_alu instid0(SALU_CYCLE_1)
	s_mov_b32 s42, exec_lo
	v_cmpx_lt_u32_e64 v96, v135
	s_cbranch_execz .LBB635_497
.LBB635_563:                            ;   in Loop: Header=BB635_396 Depth=2
	global_load_b64 v[24:25], v[36:37], off offset:1280
	s_wait_alu 0xfffe
	s_or_b32 exec_lo, exec_lo, s42
	s_delay_alu instid0(SALU_CYCLE_1)
	s_mov_b32 s42, exec_lo
	v_cmpx_lt_u32_e64 v97, v135
	s_cbranch_execz .LBB635_498
.LBB635_564:                            ;   in Loop: Header=BB635_396 Depth=2
	global_load_b64 v[22:23], v[36:37], off offset:1536
	s_wait_alu 0xfffe
	s_or_b32 exec_lo, exec_lo, s42
	s_delay_alu instid0(SALU_CYCLE_1)
	s_mov_b32 s42, exec_lo
	v_cmpx_lt_u32_e64 v98, v135
	s_cbranch_execz .LBB635_499
.LBB635_565:                            ;   in Loop: Header=BB635_396 Depth=2
	global_load_b64 v[20:21], v[36:37], off offset:1792
	s_wait_alu 0xfffe
	s_or_b32 exec_lo, exec_lo, s42
	s_delay_alu instid0(SALU_CYCLE_1)
	s_mov_b32 s42, exec_lo
	v_cmpx_lt_u32_e64 v99, v135
	s_cbranch_execz .LBB635_500
.LBB635_566:                            ;   in Loop: Header=BB635_396 Depth=2
	global_load_b64 v[18:19], v[36:37], off offset:2048
	s_wait_alu 0xfffe
	s_or_b32 exec_lo, exec_lo, s42
	s_delay_alu instid0(SALU_CYCLE_1)
	s_mov_b32 s42, exec_lo
	v_cmpx_lt_u32_e64 v100, v135
	s_cbranch_execz .LBB635_501
.LBB635_567:                            ;   in Loop: Header=BB635_396 Depth=2
	global_load_b64 v[16:17], v[36:37], off offset:2304
	s_wait_alu 0xfffe
	s_or_b32 exec_lo, exec_lo, s42
	s_delay_alu instid0(SALU_CYCLE_1)
	s_mov_b32 s42, exec_lo
	v_cmpx_lt_u32_e64 v101, v135
	s_cbranch_execz .LBB635_502
.LBB635_568:                            ;   in Loop: Header=BB635_396 Depth=2
	global_load_b64 v[14:15], v[36:37], off offset:2560
	s_wait_alu 0xfffe
	s_or_b32 exec_lo, exec_lo, s42
	s_delay_alu instid0(SALU_CYCLE_1)
	s_mov_b32 s42, exec_lo
	v_cmpx_lt_u32_e64 v102, v135
	s_cbranch_execz .LBB635_503
.LBB635_569:                            ;   in Loop: Header=BB635_396 Depth=2
	global_load_b64 v[12:13], v[36:37], off offset:2816
	s_wait_alu 0xfffe
	s_or_b32 exec_lo, exec_lo, s42
	s_delay_alu instid0(SALU_CYCLE_1)
	s_mov_b32 s42, exec_lo
	v_cmpx_lt_u32_e64 v103, v135
	s_cbranch_execz .LBB635_504
.LBB635_570:                            ;   in Loop: Header=BB635_396 Depth=2
	global_load_b64 v[10:11], v[36:37], off offset:3072
	s_wait_alu 0xfffe
	s_or_b32 exec_lo, exec_lo, s42
	s_delay_alu instid0(SALU_CYCLE_1)
	s_mov_b32 s42, exec_lo
	v_cmpx_lt_u32_e64 v104, v135
	s_cbranch_execz .LBB635_505
.LBB635_571:                            ;   in Loop: Header=BB635_396 Depth=2
	global_load_b64 v[8:9], v[36:37], off offset:3328
	s_wait_alu 0xfffe
	s_or_b32 exec_lo, exec_lo, s42
	s_delay_alu instid0(SALU_CYCLE_1)
	s_mov_b32 s42, exec_lo
	v_cmpx_lt_u32_e64 v105, v135
	s_cbranch_execz .LBB635_506
.LBB635_572:                            ;   in Loop: Header=BB635_396 Depth=2
	global_load_b64 v[6:7], v[36:37], off offset:3584
	s_wait_alu 0xfffe
	s_or_b32 exec_lo, exec_lo, s42
	s_delay_alu instid0(SALU_CYCLE_1)
	s_mov_b32 s42, exec_lo
	v_cmpx_lt_u32_e64 v106, v135
	s_cbranch_execz .LBB635_507
.LBB635_573:                            ;   in Loop: Header=BB635_396 Depth=2
	global_load_b64 v[4:5], v[36:37], off offset:3840
	s_wait_alu 0xfffe
	s_or_b32 exec_lo, exec_lo, s42
	s_and_saveexec_b32 s30, vcc_lo
	s_cbranch_execz .LBB635_508
.LBB635_574:                            ;   in Loop: Header=BB635_396 Depth=2
	ds_load_b32 v2, v70 offset:1024
	s_wait_dscnt 0x0
	v_lshrrev_b32_e32 v2, s31, v2
	s_delay_alu instid0(VALU_DEP_1)
	v_and_b32_e32 v134, s48, v2
	s_wait_alu 0xfffe
	s_or_b32 exec_lo, exec_lo, s30
	s_and_saveexec_b32 s30, s15
	s_cbranch_execz .LBB635_509
.LBB635_575:                            ;   in Loop: Header=BB635_396 Depth=2
	ds_load_b32 v2, v70 offset:2048
	s_wait_dscnt 0x0
	v_lshrrev_b32_e32 v2, s31, v2
	s_delay_alu instid0(VALU_DEP_1)
	v_and_b32_e32 v133, s48, v2
	s_wait_alu 0xfffe
	s_or_b32 exec_lo, exec_lo, s30
	s_and_saveexec_b32 s30, s16
	s_cbranch_execz .LBB635_510
.LBB635_576:                            ;   in Loop: Header=BB635_396 Depth=2
	ds_load_b32 v2, v70 offset:3072
	s_wait_dscnt 0x0
	v_lshrrev_b32_e32 v2, s31, v2
	s_delay_alu instid0(VALU_DEP_1)
	v_and_b32_e32 v132, s48, v2
	s_wait_alu 0xfffe
	s_or_b32 exec_lo, exec_lo, s30
	s_and_saveexec_b32 s30, s17
	s_cbranch_execz .LBB635_511
.LBB635_577:                            ;   in Loop: Header=BB635_396 Depth=2
	ds_load_b32 v2, v70 offset:4096
	s_wait_dscnt 0x0
	v_lshrrev_b32_e32 v2, s31, v2
	s_delay_alu instid0(VALU_DEP_1)
	v_and_b32_e32 v131, s48, v2
	s_wait_alu 0xfffe
	s_or_b32 exec_lo, exec_lo, s30
	s_and_saveexec_b32 s30, s18
	s_cbranch_execz .LBB635_512
.LBB635_578:                            ;   in Loop: Header=BB635_396 Depth=2
	ds_load_b32 v2, v70 offset:5120
	s_wait_dscnt 0x0
	v_lshrrev_b32_e32 v2, s31, v2
	s_delay_alu instid0(VALU_DEP_1)
	v_and_b32_e32 v130, s48, v2
	s_wait_alu 0xfffe
	s_or_b32 exec_lo, exec_lo, s30
	s_and_saveexec_b32 s30, s19
	s_cbranch_execz .LBB635_513
.LBB635_579:                            ;   in Loop: Header=BB635_396 Depth=2
	ds_load_b32 v2, v70 offset:6144
	s_wait_dscnt 0x0
	v_lshrrev_b32_e32 v2, s31, v2
	s_delay_alu instid0(VALU_DEP_1)
	v_and_b32_e32 v129, s48, v2
	s_wait_alu 0xfffe
	s_or_b32 exec_lo, exec_lo, s30
	s_and_saveexec_b32 s30, s20
	s_cbranch_execz .LBB635_514
.LBB635_580:                            ;   in Loop: Header=BB635_396 Depth=2
	ds_load_b32 v2, v70 offset:7168
	s_wait_dscnt 0x0
	v_lshrrev_b32_e32 v2, s31, v2
	s_delay_alu instid0(VALU_DEP_1)
	v_and_b32_e32 v128, s48, v2
	s_wait_alu 0xfffe
	s_or_b32 exec_lo, exec_lo, s30
	s_and_saveexec_b32 s30, s21
	s_cbranch_execz .LBB635_515
.LBB635_581:                            ;   in Loop: Header=BB635_396 Depth=2
	ds_load_b32 v2, v70 offset:8192
	s_wait_dscnt 0x0
	v_lshrrev_b32_e32 v2, s31, v2
	s_delay_alu instid0(VALU_DEP_1)
	v_and_b32_e32 v127, s48, v2
	s_wait_alu 0xfffe
	s_or_b32 exec_lo, exec_lo, s30
	s_and_saveexec_b32 s30, s22
	s_cbranch_execz .LBB635_516
.LBB635_582:                            ;   in Loop: Header=BB635_396 Depth=2
	ds_load_b32 v2, v70 offset:9216
	s_wait_dscnt 0x0
	v_lshrrev_b32_e32 v2, s31, v2
	s_delay_alu instid0(VALU_DEP_1)
	v_and_b32_e32 v126, s48, v2
	s_wait_alu 0xfffe
	s_or_b32 exec_lo, exec_lo, s30
	s_and_saveexec_b32 s30, s23
	s_cbranch_execz .LBB635_517
.LBB635_583:                            ;   in Loop: Header=BB635_396 Depth=2
	ds_load_b32 v2, v70 offset:10240
	s_wait_dscnt 0x0
	v_lshrrev_b32_e32 v2, s31, v2
	s_delay_alu instid0(VALU_DEP_1)
	v_and_b32_e32 v125, s48, v2
	s_wait_alu 0xfffe
	s_or_b32 exec_lo, exec_lo, s30
	s_and_saveexec_b32 s30, s24
	s_cbranch_execz .LBB635_518
.LBB635_584:                            ;   in Loop: Header=BB635_396 Depth=2
	ds_load_b32 v2, v70 offset:11264
	s_wait_dscnt 0x0
	v_lshrrev_b32_e32 v2, s31, v2
	s_delay_alu instid0(VALU_DEP_1)
	v_and_b32_e32 v124, s48, v2
	s_wait_alu 0xfffe
	s_or_b32 exec_lo, exec_lo, s30
	s_and_saveexec_b32 s30, s25
	s_cbranch_execz .LBB635_519
.LBB635_585:                            ;   in Loop: Header=BB635_396 Depth=2
	ds_load_b32 v2, v70 offset:12288
	s_wait_dscnt 0x0
	v_lshrrev_b32_e32 v2, s31, v2
	s_delay_alu instid0(VALU_DEP_1)
	v_and_b32_e32 v123, s48, v2
	s_wait_alu 0xfffe
	s_or_b32 exec_lo, exec_lo, s30
	s_and_saveexec_b32 s30, s26
	s_cbranch_execz .LBB635_520
.LBB635_586:                            ;   in Loop: Header=BB635_396 Depth=2
	ds_load_b32 v2, v70 offset:13312
	s_wait_dscnt 0x0
	v_lshrrev_b32_e32 v2, s31, v2
	s_delay_alu instid0(VALU_DEP_1)
	v_and_b32_e32 v122, s48, v2
	s_wait_alu 0xfffe
	s_or_b32 exec_lo, exec_lo, s30
	s_and_saveexec_b32 s30, s27
	s_cbranch_execz .LBB635_521
.LBB635_587:                            ;   in Loop: Header=BB635_396 Depth=2
	ds_load_b32 v2, v70 offset:14336
	s_wait_dscnt 0x0
	v_lshrrev_b32_e32 v2, s31, v2
	s_delay_alu instid0(VALU_DEP_1)
	v_and_b32_e32 v121, s48, v2
	s_wait_alu 0xfffe
	s_or_b32 exec_lo, exec_lo, s30
	s_and_saveexec_b32 s30, s28
	s_cbranch_execz .LBB635_522
.LBB635_588:                            ;   in Loop: Header=BB635_396 Depth=2
	ds_load_b32 v2, v70 offset:15360
	s_wait_dscnt 0x0
	v_lshrrev_b32_e32 v2, s31, v2
	s_delay_alu instid0(VALU_DEP_1)
	v_and_b32_e32 v120, s48, v2
	s_wait_alu 0xfffe
	s_or_b32 exec_lo, exec_lo, s30
	s_and_saveexec_b32 s30, s29
	s_cbranch_execnz .LBB635_523
	s_branch .LBB635_524
.LBB635_589:                            ;   in Loop: Header=BB635_396 Depth=2
	v_lshlrev_b32_e32 v2, 2, v134
	v_add_nc_u32_e32 v36, v70, v44
	ds_load_b32 v2, v2
	ds_load_b64 v[36:37], v36 offset:1024
	s_wait_dscnt 0x1
	v_add_nc_u32_e32 v2, v2, v1
	s_delay_alu instid0(VALU_DEP_1) | instskip(NEXT) | instid1(VALU_DEP_1)
	v_lshlrev_b64_e32 v[39:40], 3, v[2:3]
	v_add_co_u32 v39, vcc_lo, s46, v39
	s_wait_alu 0xfffd
	s_delay_alu instid0(VALU_DEP_2)
	v_add_co_ci_u32_e64 v40, null, s47, v40, vcc_lo
	s_wait_dscnt 0x0
	global_store_b64 v[39:40], v[36:37], off
	s_wait_alu 0xfffe
	s_or_b32 exec_lo, exec_lo, s30
	s_and_saveexec_b32 s30, s15
	s_cbranch_execz .LBB635_526
.LBB635_590:                            ;   in Loop: Header=BB635_396 Depth=2
	v_lshlrev_b32_e32 v2, 2, v133
	v_add_nc_u32_e32 v36, v70, v44
	ds_load_b32 v2, v2
	ds_load_b64 v[36:37], v36 offset:3072
	s_wait_dscnt 0x1
	v_add_nc_u32_e32 v2, v2, v45
	s_delay_alu instid0(VALU_DEP_1) | instskip(NEXT) | instid1(VALU_DEP_1)
	v_lshlrev_b64_e32 v[39:40], 3, v[2:3]
	v_add_co_u32 v39, vcc_lo, s46, v39
	s_wait_alu 0xfffd
	s_delay_alu instid0(VALU_DEP_2)
	v_add_co_ci_u32_e64 v40, null, s47, v40, vcc_lo
	s_wait_dscnt 0x0
	global_store_b64 v[39:40], v[36:37], off
	s_wait_alu 0xfffe
	s_or_b32 exec_lo, exec_lo, s30
	s_and_saveexec_b32 s15, s16
	s_cbranch_execz .LBB635_527
.LBB635_591:                            ;   in Loop: Header=BB635_396 Depth=2
	v_lshlrev_b32_e32 v2, 2, v132
	v_add_nc_u32_e32 v36, v70, v44
	ds_load_b32 v2, v2
	ds_load_b64 v[36:37], v36 offset:5120
	s_wait_dscnt 0x1
	v_add_nc_u32_e32 v2, v2, v46
	s_delay_alu instid0(VALU_DEP_1) | instskip(NEXT) | instid1(VALU_DEP_1)
	v_lshlrev_b64_e32 v[39:40], 3, v[2:3]
	v_add_co_u32 v39, vcc_lo, s46, v39
	s_wait_alu 0xfffd
	s_delay_alu instid0(VALU_DEP_2)
	v_add_co_ci_u32_e64 v40, null, s47, v40, vcc_lo
	s_wait_dscnt 0x0
	global_store_b64 v[39:40], v[36:37], off
	s_wait_alu 0xfffe
	s_or_b32 exec_lo, exec_lo, s15
	s_and_saveexec_b32 s15, s17
	s_cbranch_execz .LBB635_528
.LBB635_592:                            ;   in Loop: Header=BB635_396 Depth=2
	v_lshlrev_b32_e32 v2, 2, v131
	v_add_nc_u32_e32 v36, v70, v44
	ds_load_b32 v2, v2
	ds_load_b64 v[36:37], v36 offset:7168
	s_wait_dscnt 0x1
	v_add_nc_u32_e32 v2, v2, v47
	s_delay_alu instid0(VALU_DEP_1) | instskip(NEXT) | instid1(VALU_DEP_1)
	v_lshlrev_b64_e32 v[39:40], 3, v[2:3]
	v_add_co_u32 v39, vcc_lo, s46, v39
	s_wait_alu 0xfffd
	s_delay_alu instid0(VALU_DEP_2)
	v_add_co_ci_u32_e64 v40, null, s47, v40, vcc_lo
	s_wait_dscnt 0x0
	global_store_b64 v[39:40], v[36:37], off
	s_wait_alu 0xfffe
	s_or_b32 exec_lo, exec_lo, s15
	s_and_saveexec_b32 s15, s18
	s_cbranch_execz .LBB635_529
.LBB635_593:                            ;   in Loop: Header=BB635_396 Depth=2
	v_lshlrev_b32_e32 v2, 2, v130
	v_add_nc_u32_e32 v36, v70, v44
	ds_load_b32 v2, v2
	ds_load_b64 v[36:37], v36 offset:9216
	s_wait_dscnt 0x1
	v_add_nc_u32_e32 v2, v2, v50
	s_delay_alu instid0(VALU_DEP_1) | instskip(NEXT) | instid1(VALU_DEP_1)
	v_lshlrev_b64_e32 v[39:40], 3, v[2:3]
	v_add_co_u32 v39, vcc_lo, s46, v39
	s_wait_alu 0xfffd
	s_delay_alu instid0(VALU_DEP_2)
	v_add_co_ci_u32_e64 v40, null, s47, v40, vcc_lo
	s_wait_dscnt 0x0
	global_store_b64 v[39:40], v[36:37], off
	s_wait_alu 0xfffe
	s_or_b32 exec_lo, exec_lo, s15
	s_and_saveexec_b32 s15, s19
	s_cbranch_execz .LBB635_530
.LBB635_594:                            ;   in Loop: Header=BB635_396 Depth=2
	v_lshlrev_b32_e32 v2, 2, v129
	v_add_nc_u32_e32 v36, v70, v44
	ds_load_b32 v2, v2
	ds_load_b64 v[36:37], v36 offset:11264
	s_wait_dscnt 0x1
	v_add_nc_u32_e32 v2, v2, v51
	s_delay_alu instid0(VALU_DEP_1) | instskip(NEXT) | instid1(VALU_DEP_1)
	v_lshlrev_b64_e32 v[39:40], 3, v[2:3]
	v_add_co_u32 v39, vcc_lo, s46, v39
	s_wait_alu 0xfffd
	s_delay_alu instid0(VALU_DEP_2)
	v_add_co_ci_u32_e64 v40, null, s47, v40, vcc_lo
	s_wait_dscnt 0x0
	global_store_b64 v[39:40], v[36:37], off
	s_wait_alu 0xfffe
	s_or_b32 exec_lo, exec_lo, s15
	s_and_saveexec_b32 s15, s20
	s_cbranch_execz .LBB635_531
.LBB635_595:                            ;   in Loop: Header=BB635_396 Depth=2
	v_lshlrev_b32_e32 v2, 2, v128
	v_add_nc_u32_e32 v36, v70, v44
	ds_load_b32 v2, v2
	ds_load_b64 v[36:37], v36 offset:13312
	s_wait_dscnt 0x1
	v_add_nc_u32_e32 v2, v2, v52
	s_delay_alu instid0(VALU_DEP_1) | instskip(NEXT) | instid1(VALU_DEP_1)
	v_lshlrev_b64_e32 v[39:40], 3, v[2:3]
	v_add_co_u32 v39, vcc_lo, s46, v39
	s_wait_alu 0xfffd
	s_delay_alu instid0(VALU_DEP_2)
	v_add_co_ci_u32_e64 v40, null, s47, v40, vcc_lo
	s_wait_dscnt 0x0
	global_store_b64 v[39:40], v[36:37], off
	s_wait_alu 0xfffe
	s_or_b32 exec_lo, exec_lo, s15
	s_and_saveexec_b32 s15, s21
	s_cbranch_execz .LBB635_532
.LBB635_596:                            ;   in Loop: Header=BB635_396 Depth=2
	v_lshlrev_b32_e32 v2, 2, v127
	v_add_nc_u32_e32 v36, v70, v44
	ds_load_b32 v2, v2
	ds_load_b64 v[36:37], v36 offset:15360
	s_wait_dscnt 0x1
	v_add_nc_u32_e32 v2, v2, v53
	s_delay_alu instid0(VALU_DEP_1) | instskip(NEXT) | instid1(VALU_DEP_1)
	v_lshlrev_b64_e32 v[39:40], 3, v[2:3]
	v_add_co_u32 v39, vcc_lo, s46, v39
	s_wait_alu 0xfffd
	s_delay_alu instid0(VALU_DEP_2)
	v_add_co_ci_u32_e64 v40, null, s47, v40, vcc_lo
	s_wait_dscnt 0x0
	global_store_b64 v[39:40], v[36:37], off
	s_wait_alu 0xfffe
	s_or_b32 exec_lo, exec_lo, s15
	s_and_saveexec_b32 s15, s22
	s_cbranch_execz .LBB635_533
.LBB635_597:                            ;   in Loop: Header=BB635_396 Depth=2
	v_lshlrev_b32_e32 v2, 2, v126
	v_add_nc_u32_e32 v36, v70, v44
	ds_load_b32 v2, v2
	ds_load_b64 v[36:37], v36 offset:17408
	s_wait_dscnt 0x1
	v_add_nc_u32_e32 v2, v2, v54
	s_delay_alu instid0(VALU_DEP_1) | instskip(NEXT) | instid1(VALU_DEP_1)
	v_lshlrev_b64_e32 v[39:40], 3, v[2:3]
	v_add_co_u32 v39, vcc_lo, s46, v39
	s_wait_alu 0xfffd
	s_delay_alu instid0(VALU_DEP_2)
	v_add_co_ci_u32_e64 v40, null, s47, v40, vcc_lo
	s_wait_dscnt 0x0
	global_store_b64 v[39:40], v[36:37], off
	s_wait_alu 0xfffe
	s_or_b32 exec_lo, exec_lo, s15
	s_and_saveexec_b32 s15, s23
	s_cbranch_execz .LBB635_534
.LBB635_598:                            ;   in Loop: Header=BB635_396 Depth=2
	v_lshlrev_b32_e32 v2, 2, v125
	v_add_nc_u32_e32 v36, v70, v44
	ds_load_b32 v2, v2
	ds_load_b64 v[36:37], v36 offset:19456
	s_wait_dscnt 0x1
	v_add_nc_u32_e32 v2, v2, v55
	s_delay_alu instid0(VALU_DEP_1) | instskip(NEXT) | instid1(VALU_DEP_1)
	v_lshlrev_b64_e32 v[39:40], 3, v[2:3]
	v_add_co_u32 v39, vcc_lo, s46, v39
	s_wait_alu 0xfffd
	s_delay_alu instid0(VALU_DEP_2)
	v_add_co_ci_u32_e64 v40, null, s47, v40, vcc_lo
	s_wait_dscnt 0x0
	global_store_b64 v[39:40], v[36:37], off
	s_wait_alu 0xfffe
	s_or_b32 exec_lo, exec_lo, s15
	s_and_saveexec_b32 s15, s24
	s_cbranch_execz .LBB635_535
.LBB635_599:                            ;   in Loop: Header=BB635_396 Depth=2
	v_lshlrev_b32_e32 v2, 2, v124
	v_add_nc_u32_e32 v36, v70, v44
	ds_load_b32 v2, v2
	ds_load_b64 v[36:37], v36 offset:21504
	s_wait_dscnt 0x1
	v_add_nc_u32_e32 v2, v2, v56
	s_delay_alu instid0(VALU_DEP_1) | instskip(NEXT) | instid1(VALU_DEP_1)
	v_lshlrev_b64_e32 v[39:40], 3, v[2:3]
	v_add_co_u32 v39, vcc_lo, s46, v39
	s_wait_alu 0xfffd
	s_delay_alu instid0(VALU_DEP_2)
	v_add_co_ci_u32_e64 v40, null, s47, v40, vcc_lo
	s_wait_dscnt 0x0
	global_store_b64 v[39:40], v[36:37], off
	s_wait_alu 0xfffe
	s_or_b32 exec_lo, exec_lo, s15
	s_and_saveexec_b32 s15, s25
	s_cbranch_execz .LBB635_536
.LBB635_600:                            ;   in Loop: Header=BB635_396 Depth=2
	v_lshlrev_b32_e32 v2, 2, v123
	v_add_nc_u32_e32 v36, v70, v44
	ds_load_b32 v2, v2
	ds_load_b64 v[36:37], v36 offset:23552
	s_wait_dscnt 0x1
	v_add_nc_u32_e32 v2, v2, v57
	s_delay_alu instid0(VALU_DEP_1) | instskip(NEXT) | instid1(VALU_DEP_1)
	v_lshlrev_b64_e32 v[39:40], 3, v[2:3]
	v_add_co_u32 v39, vcc_lo, s46, v39
	s_wait_alu 0xfffd
	s_delay_alu instid0(VALU_DEP_2)
	v_add_co_ci_u32_e64 v40, null, s47, v40, vcc_lo
	s_wait_dscnt 0x0
	global_store_b64 v[39:40], v[36:37], off
	s_wait_alu 0xfffe
	s_or_b32 exec_lo, exec_lo, s15
	s_and_saveexec_b32 s15, s26
	s_cbranch_execz .LBB635_537
.LBB635_601:                            ;   in Loop: Header=BB635_396 Depth=2
	v_lshlrev_b32_e32 v2, 2, v122
	v_add_nc_u32_e32 v36, v70, v44
	ds_load_b32 v2, v2
	ds_load_b64 v[36:37], v36 offset:25600
	s_wait_dscnt 0x1
	v_add_nc_u32_e32 v2, v2, v58
	s_delay_alu instid0(VALU_DEP_1) | instskip(NEXT) | instid1(VALU_DEP_1)
	v_lshlrev_b64_e32 v[39:40], 3, v[2:3]
	v_add_co_u32 v39, vcc_lo, s46, v39
	s_wait_alu 0xfffd
	s_delay_alu instid0(VALU_DEP_2)
	v_add_co_ci_u32_e64 v40, null, s47, v40, vcc_lo
	s_wait_dscnt 0x0
	global_store_b64 v[39:40], v[36:37], off
	s_wait_alu 0xfffe
	s_or_b32 exec_lo, exec_lo, s15
	s_and_saveexec_b32 s15, s27
	s_cbranch_execz .LBB635_538
.LBB635_602:                            ;   in Loop: Header=BB635_396 Depth=2
	v_lshlrev_b32_e32 v2, 2, v121
	v_add_nc_u32_e32 v36, v70, v44
	ds_load_b32 v2, v2
	ds_load_b64 v[36:37], v36 offset:27648
	s_wait_dscnt 0x1
	v_add_nc_u32_e32 v2, v2, v59
	s_delay_alu instid0(VALU_DEP_1) | instskip(NEXT) | instid1(VALU_DEP_1)
	v_lshlrev_b64_e32 v[39:40], 3, v[2:3]
	v_add_co_u32 v39, vcc_lo, s46, v39
	s_wait_alu 0xfffd
	s_delay_alu instid0(VALU_DEP_2)
	v_add_co_ci_u32_e64 v40, null, s47, v40, vcc_lo
	s_wait_dscnt 0x0
	global_store_b64 v[39:40], v[36:37], off
	s_wait_alu 0xfffe
	s_or_b32 exec_lo, exec_lo, s15
	s_and_saveexec_b32 s15, s28
	s_cbranch_execz .LBB635_539
.LBB635_603:                            ;   in Loop: Header=BB635_396 Depth=2
	v_lshlrev_b32_e32 v2, 2, v120
	v_add_nc_u32_e32 v36, v70, v44
	ds_load_b32 v2, v2
	ds_load_b64 v[36:37], v36 offset:29696
	s_wait_dscnt 0x1
	v_add_nc_u32_e32 v2, v2, v60
	s_delay_alu instid0(VALU_DEP_1) | instskip(NEXT) | instid1(VALU_DEP_1)
	v_lshlrev_b64_e32 v[39:40], 3, v[2:3]
	v_add_co_u32 v39, vcc_lo, s46, v39
	s_wait_alu 0xfffd
	s_delay_alu instid0(VALU_DEP_2)
	v_add_co_ci_u32_e64 v40, null, s47, v40, vcc_lo
	s_wait_dscnt 0x0
	global_store_b64 v[39:40], v[36:37], off
	s_wait_alu 0xfffe
	s_or_b32 exec_lo, exec_lo, s15
	s_and_saveexec_b32 s15, s29
	s_cbranch_execnz .LBB635_540
	s_branch .LBB635_541
.LBB635_604:                            ;   in Loop: Header=BB635_20 Depth=1
	s_wait_loadcnt_dscnt 0x0
	s_barrier_signal -1
	s_barrier_wait -1
.LBB635_605:                            ;   in Loop: Header=BB635_20 Depth=1
	s_mov_b32 s0, 0
.LBB635_606:                            ;   in Loop: Header=BB635_20 Depth=1
	s_wait_alu 0xfffe
	s_and_not1_b32 vcc_lo, exec_lo, s0
	s_wait_alu 0xfffe
	s_cbranch_vccnz .LBB635_19
; %bb.607:                              ;   in Loop: Header=BB635_20 Depth=1
	s_and_b32 vcc_lo, exec_lo, s52
	s_mov_b32 s0, -1
	s_wait_alu 0xfffe
	s_cbranch_vccz .LBB635_899
; %bb.608:                              ;   in Loop: Header=BB635_20 Depth=1
	s_mov_b32 s9, s53
	s_mov_b32 s42, s33
	s_barrier_signal -1
	s_barrier_wait -1
	global_inv scope:SCOPE_SE
                                        ; implicit-def: $vgpr2
                                        ; implicit-def: $vgpr4
                                        ; implicit-def: $vgpr5
                                        ; implicit-def: $vgpr6
                                        ; implicit-def: $vgpr7
                                        ; implicit-def: $vgpr8
                                        ; implicit-def: $vgpr9
                                        ; implicit-def: $vgpr10
                                        ; implicit-def: $vgpr11
                                        ; implicit-def: $vgpr12
                                        ; implicit-def: $vgpr13
                                        ; implicit-def: $vgpr14
                                        ; implicit-def: $vgpr15
                                        ; implicit-def: $vgpr16
                                        ; implicit-def: $vgpr17
                                        ; implicit-def: $vgpr18
	s_branch .LBB635_610
.LBB635_609:                            ;   in Loop: Header=BB635_610 Depth=2
	s_wait_alu 0xfffe
	s_or_b32 exec_lo, exec_lo, s0
	s_addk_co_i32 s9, 0xf000
	s_cmp_ge_u32 s10, s51
	s_mov_b32 s42, s10
	s_cbranch_scc1 .LBB635_678
.LBB635_610:                            ;   Parent Loop BB635_20 Depth=1
                                        ; =>  This Inner Loop Header: Depth=2
	s_wait_alu 0xfffe
	s_add_co_i32 s10, s42, 0x1000
	s_mov_b32 s0, -1
	s_wait_alu 0xfffe
	s_cmp_gt_u32 s10, s51
                                        ; implicit-def: $vgpr19
                                        ; implicit-def: $vgpr20
                                        ; implicit-def: $vgpr21
                                        ; implicit-def: $vgpr22
                                        ; implicit-def: $vgpr23
                                        ; implicit-def: $vgpr24
                                        ; implicit-def: $vgpr25
                                        ; implicit-def: $vgpr26
                                        ; implicit-def: $vgpr27
                                        ; implicit-def: $vgpr28
                                        ; implicit-def: $vgpr29
                                        ; implicit-def: $vgpr30
                                        ; implicit-def: $vgpr31
                                        ; implicit-def: $vgpr32
                                        ; implicit-def: $vgpr33
                                        ; implicit-def: $vgpr34
	s_cbranch_scc1 .LBB635_612
; %bb.611:                              ;   in Loop: Header=BB635_610 Depth=2
	s_lshl_b64 s[0:1], s[42:43], 2
	s_wait_alu 0xfffe
	v_add_co_u32 v34, vcc_lo, v77, s0
	s_wait_alu 0xfffd
	v_add_co_ci_u32_e64 v35, null, s1, v78, vcc_lo
	s_mov_b32 s0, 0
	s_clause 0xf
	global_load_b32 v19, v[34:35], off
	global_load_b32 v20, v[34:35], off offset:1024
	global_load_b32 v21, v[34:35], off offset:2048
	;; [unrolled: 1-line block ×15, first 2 shown]
.LBB635_612:                            ;   in Loop: Header=BB635_610 Depth=2
	s_wait_alu 0xfffe
	s_and_not1_b32 vcc_lo, exec_lo, s0
	s_movk_i32 s0, 0x1000
	s_wait_alu 0xfffe
	s_cbranch_vccnz .LBB635_631
; %bb.613:                              ;   in Loop: Header=BB635_610 Depth=2
	s_lshl_b64 s[0:1], s[42:43], 2
	s_mov_b32 s11, exec_lo
	s_wait_alu 0xfffe
	s_add_nc_u64 s[0:1], s[36:37], s[0:1]
	v_cmpx_gt_u32_e64 s9, v1
	s_cbranch_execnz .LBB635_663
; %bb.614:                              ;   in Loop: Header=BB635_610 Depth=2
	s_or_b32 exec_lo, exec_lo, s11
	s_delay_alu instid0(SALU_CYCLE_1)
	s_mov_b32 s11, exec_lo
	v_cmpx_gt_u32_e64 s9, v45
	s_cbranch_execnz .LBB635_664
.LBB635_615:                            ;   in Loop: Header=BB635_610 Depth=2
	s_wait_alu 0xfffe
	s_or_b32 exec_lo, exec_lo, s11
	s_delay_alu instid0(SALU_CYCLE_1)
	s_mov_b32 s11, exec_lo
	v_cmpx_gt_u32_e64 s9, v46
	s_cbranch_execnz .LBB635_665
.LBB635_616:                            ;   in Loop: Header=BB635_610 Depth=2
	s_wait_alu 0xfffe
	s_or_b32 exec_lo, exec_lo, s11
	s_delay_alu instid0(SALU_CYCLE_1)
	s_mov_b32 s11, exec_lo
	v_cmpx_gt_u32_e64 s9, v47
	s_cbranch_execnz .LBB635_666
.LBB635_617:                            ;   in Loop: Header=BB635_610 Depth=2
	s_wait_alu 0xfffe
	s_or_b32 exec_lo, exec_lo, s11
	s_delay_alu instid0(SALU_CYCLE_1)
	s_mov_b32 s11, exec_lo
	v_cmpx_gt_u32_e64 s9, v50
	s_cbranch_execnz .LBB635_667
.LBB635_618:                            ;   in Loop: Header=BB635_610 Depth=2
	s_wait_alu 0xfffe
	s_or_b32 exec_lo, exec_lo, s11
	s_delay_alu instid0(SALU_CYCLE_1)
	s_mov_b32 s11, exec_lo
	v_cmpx_gt_u32_e64 s9, v51
	s_cbranch_execnz .LBB635_668
.LBB635_619:                            ;   in Loop: Header=BB635_610 Depth=2
	s_wait_alu 0xfffe
	s_or_b32 exec_lo, exec_lo, s11
	s_delay_alu instid0(SALU_CYCLE_1)
	s_mov_b32 s11, exec_lo
	v_cmpx_gt_u32_e64 s9, v52
	s_cbranch_execnz .LBB635_669
.LBB635_620:                            ;   in Loop: Header=BB635_610 Depth=2
	s_wait_alu 0xfffe
	s_or_b32 exec_lo, exec_lo, s11
	s_delay_alu instid0(SALU_CYCLE_1)
	s_mov_b32 s11, exec_lo
	v_cmpx_gt_u32_e64 s9, v53
	s_cbranch_execnz .LBB635_670
.LBB635_621:                            ;   in Loop: Header=BB635_610 Depth=2
	s_wait_alu 0xfffe
	s_or_b32 exec_lo, exec_lo, s11
	s_delay_alu instid0(SALU_CYCLE_1)
	s_mov_b32 s11, exec_lo
	v_cmpx_gt_u32_e64 s9, v54
	s_cbranch_execnz .LBB635_671
.LBB635_622:                            ;   in Loop: Header=BB635_610 Depth=2
	s_wait_alu 0xfffe
	s_or_b32 exec_lo, exec_lo, s11
	s_delay_alu instid0(SALU_CYCLE_1)
	s_mov_b32 s11, exec_lo
	v_cmpx_gt_u32_e64 s9, v55
	s_cbranch_execnz .LBB635_672
.LBB635_623:                            ;   in Loop: Header=BB635_610 Depth=2
	s_wait_alu 0xfffe
	s_or_b32 exec_lo, exec_lo, s11
	s_delay_alu instid0(SALU_CYCLE_1)
	s_mov_b32 s11, exec_lo
	v_cmpx_gt_u32_e64 s9, v56
	s_cbranch_execnz .LBB635_673
.LBB635_624:                            ;   in Loop: Header=BB635_610 Depth=2
	s_wait_alu 0xfffe
	s_or_b32 exec_lo, exec_lo, s11
	s_delay_alu instid0(SALU_CYCLE_1)
	s_mov_b32 s11, exec_lo
	v_cmpx_gt_u32_e64 s9, v57
	s_cbranch_execnz .LBB635_674
.LBB635_625:                            ;   in Loop: Header=BB635_610 Depth=2
	s_wait_alu 0xfffe
	s_or_b32 exec_lo, exec_lo, s11
	s_delay_alu instid0(SALU_CYCLE_1)
	s_mov_b32 s11, exec_lo
	v_cmpx_gt_u32_e64 s9, v58
	s_cbranch_execnz .LBB635_675
.LBB635_626:                            ;   in Loop: Header=BB635_610 Depth=2
	s_wait_alu 0xfffe
	s_or_b32 exec_lo, exec_lo, s11
	s_delay_alu instid0(SALU_CYCLE_1)
	s_mov_b32 s11, exec_lo
	v_cmpx_gt_u32_e64 s9, v59
	s_cbranch_execnz .LBB635_676
.LBB635_627:                            ;   in Loop: Header=BB635_610 Depth=2
	s_wait_alu 0xfffe
	s_or_b32 exec_lo, exec_lo, s11
	s_delay_alu instid0(SALU_CYCLE_1)
	s_mov_b32 s11, exec_lo
	v_cmpx_gt_u32_e64 s9, v60
	s_cbranch_execnz .LBB635_677
.LBB635_628:                            ;   in Loop: Header=BB635_610 Depth=2
	s_wait_alu 0xfffe
	s_or_b32 exec_lo, exec_lo, s11
	s_delay_alu instid0(SALU_CYCLE_1)
	s_mov_b32 s11, exec_lo
	v_cmpx_gt_u32_e64 s9, v61
	s_cbranch_execz .LBB635_630
.LBB635_629:                            ;   in Loop: Header=BB635_610 Depth=2
	global_load_b32 v2, v108, s[0:1] offset:15360
.LBB635_630:                            ;   in Loop: Header=BB635_610 Depth=2
	s_wait_alu 0xfffe
	s_or_b32 exec_lo, exec_lo, s11
	s_wait_loadcnt 0x0
	v_dual_mov_b32 v19, v18 :: v_dual_mov_b32 v20, v17
	v_dual_mov_b32 v21, v16 :: v_dual_mov_b32 v22, v15
	;; [unrolled: 1-line block ×8, first 2 shown]
	s_mov_b32 s0, s9
.LBB635_631:                            ;   in Loop: Header=BB635_610 Depth=2
	s_wait_loadcnt 0x0
	s_delay_alu instid0(VALU_DEP_1) | instskip(NEXT) | instid1(VALU_DEP_2)
	v_dual_mov_b32 v2, v34 :: v_dual_mov_b32 v5, v32
	v_dual_mov_b32 v4, v33 :: v_dual_mov_b32 v7, v30
	;; [unrolled: 1-line block ×7, first 2 shown]
	v_mov_b32_e32 v16, v21
	v_mov_b32_e32 v18, v19
	s_mov_b32 s1, exec_lo
	s_wait_alu 0xfffe
	v_cmpx_gt_u32_e64 s0, v1
	s_cbranch_execnz .LBB635_647
; %bb.632:                              ;   in Loop: Header=BB635_610 Depth=2
	s_or_b32 exec_lo, exec_lo, s1
	s_delay_alu instid0(SALU_CYCLE_1)
	s_mov_b32 s1, exec_lo
	v_cmpx_gt_u32_e64 s0, v45
	s_cbranch_execnz .LBB635_648
.LBB635_633:                            ;   in Loop: Header=BB635_610 Depth=2
	s_wait_alu 0xfffe
	s_or_b32 exec_lo, exec_lo, s1
	s_delay_alu instid0(SALU_CYCLE_1)
	s_mov_b32 s1, exec_lo
	v_cmpx_gt_u32_e64 s0, v46
	s_cbranch_execnz .LBB635_649
.LBB635_634:                            ;   in Loop: Header=BB635_610 Depth=2
	s_wait_alu 0xfffe
	s_or_b32 exec_lo, exec_lo, s1
	s_delay_alu instid0(SALU_CYCLE_1)
	s_mov_b32 s1, exec_lo
	v_cmpx_gt_u32_e64 s0, v47
	s_cbranch_execnz .LBB635_650
.LBB635_635:                            ;   in Loop: Header=BB635_610 Depth=2
	s_wait_alu 0xfffe
	s_or_b32 exec_lo, exec_lo, s1
	s_delay_alu instid0(SALU_CYCLE_1)
	s_mov_b32 s1, exec_lo
	v_cmpx_gt_u32_e64 s0, v50
	s_cbranch_execnz .LBB635_651
.LBB635_636:                            ;   in Loop: Header=BB635_610 Depth=2
	s_wait_alu 0xfffe
	s_or_b32 exec_lo, exec_lo, s1
	s_delay_alu instid0(SALU_CYCLE_1)
	s_mov_b32 s1, exec_lo
	v_cmpx_gt_u32_e64 s0, v51
	s_cbranch_execnz .LBB635_652
.LBB635_637:                            ;   in Loop: Header=BB635_610 Depth=2
	s_wait_alu 0xfffe
	s_or_b32 exec_lo, exec_lo, s1
	s_delay_alu instid0(SALU_CYCLE_1)
	s_mov_b32 s1, exec_lo
	v_cmpx_gt_u32_e64 s0, v52
	s_cbranch_execnz .LBB635_653
.LBB635_638:                            ;   in Loop: Header=BB635_610 Depth=2
	s_wait_alu 0xfffe
	s_or_b32 exec_lo, exec_lo, s1
	s_delay_alu instid0(SALU_CYCLE_1)
	s_mov_b32 s1, exec_lo
	v_cmpx_gt_u32_e64 s0, v53
	s_cbranch_execnz .LBB635_654
.LBB635_639:                            ;   in Loop: Header=BB635_610 Depth=2
	s_wait_alu 0xfffe
	s_or_b32 exec_lo, exec_lo, s1
	s_delay_alu instid0(SALU_CYCLE_1)
	s_mov_b32 s1, exec_lo
	v_cmpx_gt_u32_e64 s0, v54
	s_cbranch_execnz .LBB635_655
.LBB635_640:                            ;   in Loop: Header=BB635_610 Depth=2
	s_wait_alu 0xfffe
	s_or_b32 exec_lo, exec_lo, s1
	s_delay_alu instid0(SALU_CYCLE_1)
	s_mov_b32 s1, exec_lo
	v_cmpx_gt_u32_e64 s0, v55
	s_cbranch_execnz .LBB635_656
.LBB635_641:                            ;   in Loop: Header=BB635_610 Depth=2
	s_wait_alu 0xfffe
	s_or_b32 exec_lo, exec_lo, s1
	s_delay_alu instid0(SALU_CYCLE_1)
	s_mov_b32 s1, exec_lo
	v_cmpx_gt_u32_e64 s0, v56
	s_cbranch_execnz .LBB635_657
.LBB635_642:                            ;   in Loop: Header=BB635_610 Depth=2
	s_wait_alu 0xfffe
	s_or_b32 exec_lo, exec_lo, s1
	s_delay_alu instid0(SALU_CYCLE_1)
	s_mov_b32 s1, exec_lo
	v_cmpx_gt_u32_e64 s0, v57
	s_cbranch_execnz .LBB635_658
.LBB635_643:                            ;   in Loop: Header=BB635_610 Depth=2
	s_wait_alu 0xfffe
	s_or_b32 exec_lo, exec_lo, s1
	s_delay_alu instid0(SALU_CYCLE_1)
	s_mov_b32 s1, exec_lo
	v_cmpx_gt_u32_e64 s0, v58
	s_cbranch_execnz .LBB635_659
.LBB635_644:                            ;   in Loop: Header=BB635_610 Depth=2
	s_wait_alu 0xfffe
	s_or_b32 exec_lo, exec_lo, s1
	s_delay_alu instid0(SALU_CYCLE_1)
	s_mov_b32 s1, exec_lo
	v_cmpx_gt_u32_e64 s0, v59
	s_cbranch_execnz .LBB635_660
.LBB635_645:                            ;   in Loop: Header=BB635_610 Depth=2
	s_wait_alu 0xfffe
	s_or_b32 exec_lo, exec_lo, s1
	s_delay_alu instid0(SALU_CYCLE_1)
	s_mov_b32 s1, exec_lo
	v_cmpx_gt_u32_e64 s0, v60
	s_cbranch_execnz .LBB635_661
.LBB635_646:                            ;   in Loop: Header=BB635_610 Depth=2
	s_wait_alu 0xfffe
	s_or_b32 exec_lo, exec_lo, s1
	v_cmp_gt_u32_e32 vcc_lo, s0, v61
	s_and_saveexec_b32 s0, vcc_lo
	s_cbranch_execz .LBB635_609
	s_branch .LBB635_662
.LBB635_647:                            ;   in Loop: Header=BB635_610 Depth=2
	v_xor_b32_e32 v19, 0x80000000, v18
	s_delay_alu instid0(VALU_DEP_1) | instskip(NEXT) | instid1(VALU_DEP_1)
	v_lshrrev_b32_e32 v19, s49, v19
	v_and_b32_e32 v19, s48, v19
	s_delay_alu instid0(VALU_DEP_1) | instskip(SKIP_2) | instid1(SALU_CYCLE_1)
	v_lshl_or_b32 v19, v19, 4, v62
	ds_add_u32 v19, v84
	s_or_b32 exec_lo, exec_lo, s1
	s_mov_b32 s1, exec_lo
	v_cmpx_gt_u32_e64 s0, v45
	s_cbranch_execz .LBB635_633
.LBB635_648:                            ;   in Loop: Header=BB635_610 Depth=2
	v_xor_b32_e32 v19, 0x80000000, v17
	s_delay_alu instid0(VALU_DEP_1) | instskip(NEXT) | instid1(VALU_DEP_1)
	v_lshrrev_b32_e32 v19, s49, v19
	v_and_b32_e32 v19, s48, v19
	s_delay_alu instid0(VALU_DEP_1) | instskip(SKIP_3) | instid1(SALU_CYCLE_1)
	v_lshl_or_b32 v19, v19, 4, v62
	ds_add_u32 v19, v84
	s_wait_alu 0xfffe
	s_or_b32 exec_lo, exec_lo, s1
	s_mov_b32 s1, exec_lo
	v_cmpx_gt_u32_e64 s0, v46
	s_cbranch_execz .LBB635_634
.LBB635_649:                            ;   in Loop: Header=BB635_610 Depth=2
	v_xor_b32_e32 v19, 0x80000000, v16
	s_delay_alu instid0(VALU_DEP_1) | instskip(NEXT) | instid1(VALU_DEP_1)
	v_lshrrev_b32_e32 v19, s49, v19
	v_and_b32_e32 v19, s48, v19
	s_delay_alu instid0(VALU_DEP_1) | instskip(SKIP_3) | instid1(SALU_CYCLE_1)
	v_lshl_or_b32 v19, v19, 4, v62
	ds_add_u32 v19, v84
	s_wait_alu 0xfffe
	s_or_b32 exec_lo, exec_lo, s1
	s_mov_b32 s1, exec_lo
	v_cmpx_gt_u32_e64 s0, v47
	s_cbranch_execz .LBB635_635
.LBB635_650:                            ;   in Loop: Header=BB635_610 Depth=2
	v_xor_b32_e32 v19, 0x80000000, v15
	s_delay_alu instid0(VALU_DEP_1) | instskip(NEXT) | instid1(VALU_DEP_1)
	v_lshrrev_b32_e32 v19, s49, v19
	v_and_b32_e32 v19, s48, v19
	s_delay_alu instid0(VALU_DEP_1) | instskip(SKIP_3) | instid1(SALU_CYCLE_1)
	v_lshl_or_b32 v19, v19, 4, v62
	ds_add_u32 v19, v84
	s_wait_alu 0xfffe
	s_or_b32 exec_lo, exec_lo, s1
	s_mov_b32 s1, exec_lo
	v_cmpx_gt_u32_e64 s0, v50
	s_cbranch_execz .LBB635_636
.LBB635_651:                            ;   in Loop: Header=BB635_610 Depth=2
	v_xor_b32_e32 v19, 0x80000000, v14
	s_delay_alu instid0(VALU_DEP_1) | instskip(NEXT) | instid1(VALU_DEP_1)
	v_lshrrev_b32_e32 v19, s49, v19
	v_and_b32_e32 v19, s48, v19
	s_delay_alu instid0(VALU_DEP_1) | instskip(SKIP_3) | instid1(SALU_CYCLE_1)
	v_lshl_or_b32 v19, v19, 4, v62
	ds_add_u32 v19, v84
	s_wait_alu 0xfffe
	s_or_b32 exec_lo, exec_lo, s1
	s_mov_b32 s1, exec_lo
	v_cmpx_gt_u32_e64 s0, v51
	s_cbranch_execz .LBB635_637
.LBB635_652:                            ;   in Loop: Header=BB635_610 Depth=2
	v_xor_b32_e32 v19, 0x80000000, v13
	s_delay_alu instid0(VALU_DEP_1) | instskip(NEXT) | instid1(VALU_DEP_1)
	v_lshrrev_b32_e32 v19, s49, v19
	v_and_b32_e32 v19, s48, v19
	s_delay_alu instid0(VALU_DEP_1) | instskip(SKIP_3) | instid1(SALU_CYCLE_1)
	v_lshl_or_b32 v19, v19, 4, v62
	ds_add_u32 v19, v84
	s_wait_alu 0xfffe
	s_or_b32 exec_lo, exec_lo, s1
	s_mov_b32 s1, exec_lo
	v_cmpx_gt_u32_e64 s0, v52
	s_cbranch_execz .LBB635_638
.LBB635_653:                            ;   in Loop: Header=BB635_610 Depth=2
	v_xor_b32_e32 v19, 0x80000000, v12
	s_delay_alu instid0(VALU_DEP_1) | instskip(NEXT) | instid1(VALU_DEP_1)
	v_lshrrev_b32_e32 v19, s49, v19
	v_and_b32_e32 v19, s48, v19
	s_delay_alu instid0(VALU_DEP_1) | instskip(SKIP_3) | instid1(SALU_CYCLE_1)
	v_lshl_or_b32 v19, v19, 4, v62
	ds_add_u32 v19, v84
	s_wait_alu 0xfffe
	s_or_b32 exec_lo, exec_lo, s1
	s_mov_b32 s1, exec_lo
	v_cmpx_gt_u32_e64 s0, v53
	s_cbranch_execz .LBB635_639
.LBB635_654:                            ;   in Loop: Header=BB635_610 Depth=2
	v_xor_b32_e32 v19, 0x80000000, v11
	s_delay_alu instid0(VALU_DEP_1) | instskip(NEXT) | instid1(VALU_DEP_1)
	v_lshrrev_b32_e32 v19, s49, v19
	v_and_b32_e32 v19, s48, v19
	s_delay_alu instid0(VALU_DEP_1) | instskip(SKIP_3) | instid1(SALU_CYCLE_1)
	v_lshl_or_b32 v19, v19, 4, v62
	ds_add_u32 v19, v84
	s_wait_alu 0xfffe
	s_or_b32 exec_lo, exec_lo, s1
	s_mov_b32 s1, exec_lo
	v_cmpx_gt_u32_e64 s0, v54
	s_cbranch_execz .LBB635_640
.LBB635_655:                            ;   in Loop: Header=BB635_610 Depth=2
	v_xor_b32_e32 v19, 0x80000000, v10
	s_delay_alu instid0(VALU_DEP_1) | instskip(NEXT) | instid1(VALU_DEP_1)
	v_lshrrev_b32_e32 v19, s49, v19
	v_and_b32_e32 v19, s48, v19
	s_delay_alu instid0(VALU_DEP_1) | instskip(SKIP_3) | instid1(SALU_CYCLE_1)
	v_lshl_or_b32 v19, v19, 4, v62
	ds_add_u32 v19, v84
	s_wait_alu 0xfffe
	s_or_b32 exec_lo, exec_lo, s1
	s_mov_b32 s1, exec_lo
	v_cmpx_gt_u32_e64 s0, v55
	s_cbranch_execz .LBB635_641
.LBB635_656:                            ;   in Loop: Header=BB635_610 Depth=2
	v_xor_b32_e32 v19, 0x80000000, v9
	s_delay_alu instid0(VALU_DEP_1) | instskip(NEXT) | instid1(VALU_DEP_1)
	v_lshrrev_b32_e32 v19, s49, v19
	v_and_b32_e32 v19, s48, v19
	s_delay_alu instid0(VALU_DEP_1) | instskip(SKIP_3) | instid1(SALU_CYCLE_1)
	v_lshl_or_b32 v19, v19, 4, v62
	ds_add_u32 v19, v84
	s_wait_alu 0xfffe
	s_or_b32 exec_lo, exec_lo, s1
	s_mov_b32 s1, exec_lo
	v_cmpx_gt_u32_e64 s0, v56
	s_cbranch_execz .LBB635_642
.LBB635_657:                            ;   in Loop: Header=BB635_610 Depth=2
	v_xor_b32_e32 v19, 0x80000000, v8
	s_delay_alu instid0(VALU_DEP_1) | instskip(NEXT) | instid1(VALU_DEP_1)
	v_lshrrev_b32_e32 v19, s49, v19
	v_and_b32_e32 v19, s48, v19
	s_delay_alu instid0(VALU_DEP_1) | instskip(SKIP_3) | instid1(SALU_CYCLE_1)
	v_lshl_or_b32 v19, v19, 4, v62
	ds_add_u32 v19, v84
	s_wait_alu 0xfffe
	s_or_b32 exec_lo, exec_lo, s1
	s_mov_b32 s1, exec_lo
	v_cmpx_gt_u32_e64 s0, v57
	s_cbranch_execz .LBB635_643
.LBB635_658:                            ;   in Loop: Header=BB635_610 Depth=2
	v_xor_b32_e32 v19, 0x80000000, v7
	s_delay_alu instid0(VALU_DEP_1) | instskip(NEXT) | instid1(VALU_DEP_1)
	v_lshrrev_b32_e32 v19, s49, v19
	v_and_b32_e32 v19, s48, v19
	s_delay_alu instid0(VALU_DEP_1) | instskip(SKIP_3) | instid1(SALU_CYCLE_1)
	v_lshl_or_b32 v19, v19, 4, v62
	ds_add_u32 v19, v84
	s_wait_alu 0xfffe
	s_or_b32 exec_lo, exec_lo, s1
	s_mov_b32 s1, exec_lo
	v_cmpx_gt_u32_e64 s0, v58
	s_cbranch_execz .LBB635_644
.LBB635_659:                            ;   in Loop: Header=BB635_610 Depth=2
	v_xor_b32_e32 v19, 0x80000000, v6
	s_delay_alu instid0(VALU_DEP_1) | instskip(NEXT) | instid1(VALU_DEP_1)
	v_lshrrev_b32_e32 v19, s49, v19
	v_and_b32_e32 v19, s48, v19
	s_delay_alu instid0(VALU_DEP_1) | instskip(SKIP_3) | instid1(SALU_CYCLE_1)
	v_lshl_or_b32 v19, v19, 4, v62
	ds_add_u32 v19, v84
	s_wait_alu 0xfffe
	s_or_b32 exec_lo, exec_lo, s1
	s_mov_b32 s1, exec_lo
	v_cmpx_gt_u32_e64 s0, v59
	s_cbranch_execz .LBB635_645
.LBB635_660:                            ;   in Loop: Header=BB635_610 Depth=2
	v_xor_b32_e32 v19, 0x80000000, v5
	s_delay_alu instid0(VALU_DEP_1) | instskip(NEXT) | instid1(VALU_DEP_1)
	v_lshrrev_b32_e32 v19, s49, v19
	v_and_b32_e32 v19, s48, v19
	s_delay_alu instid0(VALU_DEP_1) | instskip(SKIP_3) | instid1(SALU_CYCLE_1)
	v_lshl_or_b32 v19, v19, 4, v62
	ds_add_u32 v19, v84
	s_wait_alu 0xfffe
	s_or_b32 exec_lo, exec_lo, s1
	s_mov_b32 s1, exec_lo
	v_cmpx_gt_u32_e64 s0, v60
	s_cbranch_execz .LBB635_646
.LBB635_661:                            ;   in Loop: Header=BB635_610 Depth=2
	v_xor_b32_e32 v19, 0x80000000, v4
	s_delay_alu instid0(VALU_DEP_1) | instskip(NEXT) | instid1(VALU_DEP_1)
	v_lshrrev_b32_e32 v19, s49, v19
	v_and_b32_e32 v19, s48, v19
	s_delay_alu instid0(VALU_DEP_1)
	v_lshl_or_b32 v19, v19, 4, v62
	ds_add_u32 v19, v84
	s_wait_alu 0xfffe
	s_or_b32 exec_lo, exec_lo, s1
	v_cmp_gt_u32_e32 vcc_lo, s0, v61
	s_and_saveexec_b32 s0, vcc_lo
	s_cbranch_execz .LBB635_609
.LBB635_662:                            ;   in Loop: Header=BB635_610 Depth=2
	v_xor_b32_e32 v19, 0x80000000, v2
	s_delay_alu instid0(VALU_DEP_1) | instskip(NEXT) | instid1(VALU_DEP_1)
	v_lshrrev_b32_e32 v19, s49, v19
	v_and_b32_e32 v19, s48, v19
	s_delay_alu instid0(VALU_DEP_1)
	v_lshl_or_b32 v19, v19, 4, v62
	ds_add_u32 v19, v84
	s_branch .LBB635_609
.LBB635_663:                            ;   in Loop: Header=BB635_610 Depth=2
	global_load_b32 v18, v108, s[0:1]
	s_or_b32 exec_lo, exec_lo, s11
	s_delay_alu instid0(SALU_CYCLE_1)
	s_mov_b32 s11, exec_lo
	v_cmpx_gt_u32_e64 s9, v45
	s_cbranch_execz .LBB635_615
.LBB635_664:                            ;   in Loop: Header=BB635_610 Depth=2
	global_load_b32 v17, v108, s[0:1] offset:1024
	s_wait_alu 0xfffe
	s_or_b32 exec_lo, exec_lo, s11
	s_delay_alu instid0(SALU_CYCLE_1)
	s_mov_b32 s11, exec_lo
	v_cmpx_gt_u32_e64 s9, v46
	s_cbranch_execz .LBB635_616
.LBB635_665:                            ;   in Loop: Header=BB635_610 Depth=2
	global_load_b32 v16, v108, s[0:1] offset:2048
	s_wait_alu 0xfffe
	s_or_b32 exec_lo, exec_lo, s11
	s_delay_alu instid0(SALU_CYCLE_1)
	s_mov_b32 s11, exec_lo
	v_cmpx_gt_u32_e64 s9, v47
	s_cbranch_execz .LBB635_617
.LBB635_666:                            ;   in Loop: Header=BB635_610 Depth=2
	global_load_b32 v15, v108, s[0:1] offset:3072
	s_wait_alu 0xfffe
	s_or_b32 exec_lo, exec_lo, s11
	s_delay_alu instid0(SALU_CYCLE_1)
	s_mov_b32 s11, exec_lo
	v_cmpx_gt_u32_e64 s9, v50
	s_cbranch_execz .LBB635_618
.LBB635_667:                            ;   in Loop: Header=BB635_610 Depth=2
	global_load_b32 v14, v108, s[0:1] offset:4096
	s_wait_alu 0xfffe
	s_or_b32 exec_lo, exec_lo, s11
	s_delay_alu instid0(SALU_CYCLE_1)
	s_mov_b32 s11, exec_lo
	v_cmpx_gt_u32_e64 s9, v51
	s_cbranch_execz .LBB635_619
.LBB635_668:                            ;   in Loop: Header=BB635_610 Depth=2
	global_load_b32 v13, v108, s[0:1] offset:5120
	s_wait_alu 0xfffe
	s_or_b32 exec_lo, exec_lo, s11
	s_delay_alu instid0(SALU_CYCLE_1)
	s_mov_b32 s11, exec_lo
	v_cmpx_gt_u32_e64 s9, v52
	s_cbranch_execz .LBB635_620
.LBB635_669:                            ;   in Loop: Header=BB635_610 Depth=2
	global_load_b32 v12, v108, s[0:1] offset:6144
	s_wait_alu 0xfffe
	s_or_b32 exec_lo, exec_lo, s11
	s_delay_alu instid0(SALU_CYCLE_1)
	s_mov_b32 s11, exec_lo
	v_cmpx_gt_u32_e64 s9, v53
	s_cbranch_execz .LBB635_621
.LBB635_670:                            ;   in Loop: Header=BB635_610 Depth=2
	global_load_b32 v11, v108, s[0:1] offset:7168
	s_wait_alu 0xfffe
	s_or_b32 exec_lo, exec_lo, s11
	s_delay_alu instid0(SALU_CYCLE_1)
	s_mov_b32 s11, exec_lo
	v_cmpx_gt_u32_e64 s9, v54
	s_cbranch_execz .LBB635_622
.LBB635_671:                            ;   in Loop: Header=BB635_610 Depth=2
	global_load_b32 v10, v108, s[0:1] offset:8192
	s_wait_alu 0xfffe
	s_or_b32 exec_lo, exec_lo, s11
	s_delay_alu instid0(SALU_CYCLE_1)
	s_mov_b32 s11, exec_lo
	v_cmpx_gt_u32_e64 s9, v55
	s_cbranch_execz .LBB635_623
.LBB635_672:                            ;   in Loop: Header=BB635_610 Depth=2
	global_load_b32 v9, v108, s[0:1] offset:9216
	s_wait_alu 0xfffe
	s_or_b32 exec_lo, exec_lo, s11
	s_delay_alu instid0(SALU_CYCLE_1)
	s_mov_b32 s11, exec_lo
	v_cmpx_gt_u32_e64 s9, v56
	s_cbranch_execz .LBB635_624
.LBB635_673:                            ;   in Loop: Header=BB635_610 Depth=2
	global_load_b32 v8, v108, s[0:1] offset:10240
	s_wait_alu 0xfffe
	s_or_b32 exec_lo, exec_lo, s11
	s_delay_alu instid0(SALU_CYCLE_1)
	s_mov_b32 s11, exec_lo
	v_cmpx_gt_u32_e64 s9, v57
	s_cbranch_execz .LBB635_625
.LBB635_674:                            ;   in Loop: Header=BB635_610 Depth=2
	global_load_b32 v7, v108, s[0:1] offset:11264
	s_wait_alu 0xfffe
	s_or_b32 exec_lo, exec_lo, s11
	s_delay_alu instid0(SALU_CYCLE_1)
	s_mov_b32 s11, exec_lo
	v_cmpx_gt_u32_e64 s9, v58
	s_cbranch_execz .LBB635_626
.LBB635_675:                            ;   in Loop: Header=BB635_610 Depth=2
	global_load_b32 v6, v108, s[0:1] offset:12288
	s_wait_alu 0xfffe
	s_or_b32 exec_lo, exec_lo, s11
	s_delay_alu instid0(SALU_CYCLE_1)
	s_mov_b32 s11, exec_lo
	v_cmpx_gt_u32_e64 s9, v59
	s_cbranch_execz .LBB635_627
.LBB635_676:                            ;   in Loop: Header=BB635_610 Depth=2
	global_load_b32 v5, v108, s[0:1] offset:13312
	s_wait_alu 0xfffe
	s_or_b32 exec_lo, exec_lo, s11
	s_delay_alu instid0(SALU_CYCLE_1)
	s_mov_b32 s11, exec_lo
	v_cmpx_gt_u32_e64 s9, v60
	s_cbranch_execz .LBB635_628
.LBB635_677:                            ;   in Loop: Header=BB635_610 Depth=2
	global_load_b32 v4, v108, s[0:1] offset:14336
	s_wait_alu 0xfffe
	s_or_b32 exec_lo, exec_lo, s11
	s_delay_alu instid0(SALU_CYCLE_1)
	s_mov_b32 s11, exec_lo
	v_cmpx_gt_u32_e64 s9, v61
	s_cbranch_execnz .LBB635_629
	s_branch .LBB635_630
.LBB635_678:                            ;   in Loop: Header=BB635_20 Depth=1
	v_mov_b32_e32 v2, 0
	s_wait_dscnt 0x0
	s_barrier_signal -1
	s_barrier_wait -1
	global_inv scope:SCOPE_SE
	s_and_saveexec_b32 s0, s2
	s_cbranch_execz .LBB635_680
; %bb.679:                              ;   in Loop: Header=BB635_20 Depth=1
	ds_load_2addr_b64 v[4:7], v64 offset1:1
	s_wait_dscnt 0x0
	v_add_nc_u32_e32 v2, v5, v4
	s_delay_alu instid0(VALU_DEP_1)
	v_add3_u32 v2, v2, v6, v7
.LBB635_680:                            ;   in Loop: Header=BB635_20 Depth=1
	s_wait_alu 0xfffe
	s_or_b32 exec_lo, exec_lo, s0
	s_delay_alu instid0(VALU_DEP_1)
	v_mov_b32_dpp v4, v2 row_shr:1 row_mask:0xf bank_mask:0xf
	v_cmp_eq_u32_e64 s0, 0, v85
	v_cmp_lt_u32_e64 s1, 1, v85
	v_cmp_lt_u32_e64 s9, 3, v85
	;; [unrolled: 1-line block ×3, first 2 shown]
	v_cmp_eq_u32_e64 s11, 0, v87
	s_wait_alu 0xf1ff
	v_cndmask_b32_e64 v4, v4, 0, s0
	s_delay_alu instid0(VALU_DEP_1) | instskip(NEXT) | instid1(VALU_DEP_1)
	v_add_nc_u32_e32 v2, v4, v2
	v_mov_b32_dpp v4, v2 row_shr:2 row_mask:0xf bank_mask:0xf
	s_delay_alu instid0(VALU_DEP_1) | instskip(NEXT) | instid1(VALU_DEP_1)
	v_cndmask_b32_e64 v4, 0, v4, s1
	v_add_nc_u32_e32 v2, v2, v4
	s_delay_alu instid0(VALU_DEP_1) | instskip(NEXT) | instid1(VALU_DEP_1)
	v_mov_b32_dpp v4, v2 row_shr:4 row_mask:0xf bank_mask:0xf
	v_cndmask_b32_e64 v4, 0, v4, s9
	s_delay_alu instid0(VALU_DEP_1) | instskip(NEXT) | instid1(VALU_DEP_1)
	v_add_nc_u32_e32 v2, v2, v4
	v_mov_b32_dpp v4, v2 row_shr:8 row_mask:0xf bank_mask:0xf
	s_delay_alu instid0(VALU_DEP_1) | instskip(NEXT) | instid1(VALU_DEP_1)
	v_cndmask_b32_e64 v4, 0, v4, s10
	v_add_nc_u32_e32 v2, v2, v4
	ds_swizzle_b32 v4, v2 offset:swizzle(BROADCAST,32,15)
	s_wait_dscnt 0x0
	v_and_b32_e32 v4, v86, v4
	s_delay_alu instid0(VALU_DEP_1)
	v_add_nc_u32_e32 v2, v2, v4
	s_and_saveexec_b32 s12, s3
; %bb.681:                              ;   in Loop: Header=BB635_20 Depth=1
	ds_store_b32 v65, v2
; %bb.682:                              ;   in Loop: Header=BB635_20 Depth=1
	s_wait_alu 0xfffe
	s_or_b32 exec_lo, exec_lo, s12
	s_wait_loadcnt_dscnt 0x0
	s_barrier_signal -1
	s_barrier_wait -1
	global_inv scope:SCOPE_SE
	s_and_saveexec_b32 s12, s4
	s_cbranch_execz .LBB635_684
; %bb.683:                              ;   in Loop: Header=BB635_20 Depth=1
	ds_load_b32 v4, v66
	v_cmp_ne_u32_e32 vcc_lo, 0, v89
	s_wait_dscnt 0x0
	v_mov_b32_dpp v5, v4 row_shr:1 row_mask:0xf bank_mask:0xf
	s_wait_alu 0xfffd
	s_delay_alu instid0(VALU_DEP_1) | instskip(SKIP_1) | instid1(VALU_DEP_2)
	v_cndmask_b32_e32 v5, 0, v5, vcc_lo
	v_cmp_lt_u32_e32 vcc_lo, 1, v89
	v_add_nc_u32_e32 v4, v5, v4
	s_delay_alu instid0(VALU_DEP_1) | instskip(SKIP_1) | instid1(VALU_DEP_1)
	v_mov_b32_dpp v5, v4 row_shr:2 row_mask:0xf bank_mask:0xf
	s_wait_alu 0xfffd
	v_cndmask_b32_e32 v5, 0, v5, vcc_lo
	v_cmp_lt_u32_e32 vcc_lo, 3, v89
	s_delay_alu instid0(VALU_DEP_2) | instskip(NEXT) | instid1(VALU_DEP_1)
	v_add_nc_u32_e32 v4, v4, v5
	v_mov_b32_dpp v5, v4 row_shr:4 row_mask:0xf bank_mask:0xf
	s_wait_alu 0xfffd
	s_delay_alu instid0(VALU_DEP_1) | instskip(NEXT) | instid1(VALU_DEP_1)
	v_cndmask_b32_e32 v5, 0, v5, vcc_lo
	v_add_nc_u32_e32 v4, v4, v5
	ds_store_b32 v66, v4
.LBB635_684:                            ;   in Loop: Header=BB635_20 Depth=1
	s_wait_alu 0xfffe
	s_or_b32 exec_lo, exec_lo, s12
	v_mov_b32_e32 v4, 0
	s_wait_loadcnt_dscnt 0x0
	s_barrier_signal -1
	s_barrier_wait -1
	global_inv scope:SCOPE_SE
	s_and_saveexec_b32 s12, s5
; %bb.685:                              ;   in Loop: Header=BB635_20 Depth=1
	ds_load_b32 v4, v68
; %bb.686:                              ;   in Loop: Header=BB635_20 Depth=1
	s_wait_alu 0xfffe
	s_or_b32 exec_lo, exec_lo, s12
	v_cmp_gt_i32_e32 vcc_lo, 0, v90
	s_wait_loadcnt_dscnt 0x0
	s_barrier_signal -1
	s_barrier_wait -1
	global_inv scope:SCOPE_SE
	s_wait_alu 0xfffd
	v_dual_cndmask_b32 v5, v90, v81 :: v_dual_add_nc_u32 v2, v4, v2
	s_delay_alu instid0(VALU_DEP_1)
	v_lshlrev_b32_e32 v113, 2, v5
	ds_bpermute_b32 v2, v113, v2
	s_and_saveexec_b32 s12, s2
	s_cbranch_execz .LBB635_688
; %bb.687:                              ;   in Loop: Header=BB635_20 Depth=1
	s_wait_dscnt 0x0
	v_cndmask_b32_e64 v2, v2, v4, s8
	s_delay_alu instid0(VALU_DEP_1)
	v_add_nc_u32_e32 v2, s33, v2
	ds_store_b32 v44, v2
.LBB635_688:                            ;   in Loop: Header=BB635_20 Depth=1
	s_wait_alu 0xfffe
	s_or_b32 exec_lo, exec_lo, s12
	s_load_b64 s[12:13], s[34:35], 0x0
	v_add_co_u32 v114, vcc_lo, v79, v91
	s_wait_alu 0xfffd
	v_add_co_ci_u32_e64 v115, null, 0, v80, vcc_lo
	v_add_co_u32 v116, vcc_lo, v82, v107
	s_wait_alu 0xfffd
	v_add_co_ci_u32_e64 v117, null, 0, v83, vcc_lo
	s_mov_b32 s54, s53
                                        ; implicit-def: $vgpr6_vgpr7
                                        ; implicit-def: $vgpr8_vgpr9
                                        ; implicit-def: $vgpr10_vgpr11
                                        ; implicit-def: $vgpr12_vgpr13
                                        ; implicit-def: $vgpr14_vgpr15
                                        ; implicit-def: $vgpr16_vgpr17
                                        ; implicit-def: $vgpr18_vgpr19
                                        ; implicit-def: $vgpr20_vgpr21
                                        ; implicit-def: $vgpr22_vgpr23
                                        ; implicit-def: $vgpr24_vgpr25
                                        ; implicit-def: $vgpr26_vgpr27
                                        ; implicit-def: $vgpr28_vgpr29
                                        ; implicit-def: $vgpr30_vgpr31
                                        ; implicit-def: $vgpr32_vgpr33
                                        ; implicit-def: $vgpr34_vgpr35
                                        ; implicit-def: $vgpr119
                                        ; implicit-def: $vgpr120
                                        ; implicit-def: $vgpr121
                                        ; implicit-def: $vgpr122
                                        ; implicit-def: $vgpr123
                                        ; implicit-def: $vgpr124
                                        ; implicit-def: $vgpr125
                                        ; implicit-def: $vgpr126
                                        ; implicit-def: $vgpr127
                                        ; implicit-def: $vgpr128
                                        ; implicit-def: $vgpr129
                                        ; implicit-def: $vgpr130
                                        ; implicit-def: $vgpr131
                                        ; implicit-def: $vgpr132
                                        ; implicit-def: $vgpr133
                                        ; implicit-def: $vgpr134
	s_wait_kmcnt 0x0
	s_cmp_lt_u32 ttmp7, s13
	s_cselect_b32 s42, 14, 20
	s_cmp_lt_u32 ttmp9, s12
	s_wait_alu 0xfffe
	s_add_nc_u64 s[14:15], s[34:35], s[42:43]
	s_cselect_b32 s42, 12, 18
	s_load_u16 s14, s[14:15], 0x0
	s_add_nc_u64 s[12:13], s[34:35], s[42:43]
	s_mov_b32 s42, s33
	s_load_u16 s12, s[12:13], 0x0
	v_cmp_lt_u32_e64 s13, 1, v89
	s_wait_dscnt 0x0
	s_wait_kmcnt 0x0
	v_mad_u32_u24 v2, v69, s14, v0
	v_cmp_lt_u32_e64 s14, 3, v89
	s_delay_alu instid0(VALU_DEP_2) | instskip(SKIP_1) | instid1(VALU_DEP_2)
	v_mad_co_u64_u32 v[4:5], null, v2, s12, v[1:2]
	v_cmp_eq_u32_e64 s12, 0, v89
	v_lshrrev_b32_e32 v2, 3, v4
                                        ; implicit-def: $vgpr4_vgpr5
	s_delay_alu instid0(VALU_DEP_1)
	v_and_b32_e32 v118, 0x1ffffffc, v2
	s_branch .LBB635_690
.LBB635_689:                            ;   in Loop: Header=BB635_690 Depth=2
	s_wait_alu 0xfffe
	s_or_b32 exec_lo, exec_lo, s15
	s_addk_co_i32 s54, 0xf000
	s_cmp_lt_u32 s55, s51
	s_mov_b32 s42, s55
	s_cbranch_scc0 .LBB635_898
.LBB635_690:                            ;   Parent Loop BB635_20 Depth=1
                                        ; =>  This Inner Loop Header: Depth=2
	s_wait_alu 0xfffe
	s_add_co_i32 s55, s42, 0x1000
	s_wait_alu 0xfffe
	s_cmp_gt_u32 s55, s51
	s_cbranch_scc1 .LBB635_692
; %bb.691:                              ;   in Loop: Header=BB635_690 Depth=2
	s_lshl_b64 s[16:17], s[42:43], 2
	s_mov_b32 s15, -1
	s_wait_alu 0xfffe
	v_add_co_u32 v36, vcc_lo, v116, s16
	s_wait_alu 0xfffd
	v_add_co_ci_u32_e64 v37, null, s17, v117, vcc_lo
	s_clause 0xe
	global_load_b32 v136, v[36:37], off
	global_load_b32 v137, v[36:37], off offset:128
	global_load_b32 v144, v[36:37], off offset:256
	;; [unrolled: 1-line block ×14, first 2 shown]
	s_movk_i32 s16, 0x1000
	s_cbranch_execz .LBB635_693
	s_branch .LBB635_724
.LBB635_692:                            ;   in Loop: Header=BB635_690 Depth=2
	s_mov_b32 s15, 0
                                        ; implicit-def: $vgpr136
                                        ; implicit-def: $vgpr137
                                        ; implicit-def: $vgpr144
                                        ; implicit-def: $vgpr148
                                        ; implicit-def: $vgpr152
                                        ; implicit-def: $vgpr156
                                        ; implicit-def: $vgpr160
                                        ; implicit-def: $vgpr164
                                        ; implicit-def: $vgpr167
                                        ; implicit-def: $vgpr43
                                        ; implicit-def: $vgpr42
                                        ; implicit-def: $vgpr41
                                        ; implicit-def: $vgpr40
                                        ; implicit-def: $vgpr39
                                        ; implicit-def: $vgpr38
	s_movk_i32 s16, 0x1000
.LBB635_693:                            ;   in Loop: Header=BB635_690 Depth=2
	s_lshl_b64 s[16:17], s[42:43], 2
	s_wait_loadcnt 0xd
	v_bfrev_b32_e32 v137, -2
	s_wait_alu 0xfffe
	v_add_co_u32 v36, vcc_lo, v116, s16
	s_wait_alu 0xfffd
	v_add_co_ci_u32_e64 v37, null, s17, v117, vcc_lo
	v_bfrev_b32_e32 v136, -2
	s_mov_b32 s15, exec_lo
	v_cmpx_gt_u32_e64 s54, v88
	s_cbranch_execz .LBB635_695
; %bb.694:                              ;   in Loop: Header=BB635_690 Depth=2
	global_load_b32 v136, v[36:37], off
.LBB635_695:                            ;   in Loop: Header=BB635_690 Depth=2
	s_wait_alu 0xfffe
	s_or_b32 exec_lo, exec_lo, s15
	s_delay_alu instid0(SALU_CYCLE_1)
	s_mov_b32 s15, exec_lo
	v_cmpx_gt_u32_e64 s54, v92
	s_cbranch_execz .LBB635_697
; %bb.696:                              ;   in Loop: Header=BB635_690 Depth=2
	global_load_b32 v137, v[36:37], off offset:128
.LBB635_697:                            ;   in Loop: Header=BB635_690 Depth=2
	s_wait_alu 0xfffe
	s_or_b32 exec_lo, exec_lo, s15
	s_wait_loadcnt 0xb
	v_bfrev_b32_e32 v148, -2
	v_bfrev_b32_e32 v144, -2
	s_mov_b32 s15, exec_lo
	v_cmpx_gt_u32_e64 s54, v93
	s_cbranch_execz .LBB635_699
; %bb.698:                              ;   in Loop: Header=BB635_690 Depth=2
	global_load_b32 v144, v[36:37], off offset:256
.LBB635_699:                            ;   in Loop: Header=BB635_690 Depth=2
	s_wait_alu 0xfffe
	s_or_b32 exec_lo, exec_lo, s15
	s_delay_alu instid0(SALU_CYCLE_1)
	s_mov_b32 s15, exec_lo
	v_cmpx_gt_u32_e64 s54, v94
	s_cbranch_execz .LBB635_701
; %bb.700:                              ;   in Loop: Header=BB635_690 Depth=2
	global_load_b32 v148, v[36:37], off offset:384
.LBB635_701:                            ;   in Loop: Header=BB635_690 Depth=2
	s_wait_alu 0xfffe
	s_or_b32 exec_lo, exec_lo, s15
	s_wait_loadcnt 0x9
	v_bfrev_b32_e32 v156, -2
	v_bfrev_b32_e32 v152, -2
	s_mov_b32 s15, exec_lo
	v_cmpx_gt_u32_e64 s54, v95
	s_cbranch_execz .LBB635_703
; %bb.702:                              ;   in Loop: Header=BB635_690 Depth=2
	global_load_b32 v152, v[36:37], off offset:512
.LBB635_703:                            ;   in Loop: Header=BB635_690 Depth=2
	;; [unrolled: 20-line block ×6, first 2 shown]
	s_wait_alu 0xfffe
	s_or_b32 exec_lo, exec_lo, s15
	s_delay_alu instid0(SALU_CYCLE_1)
	s_mov_b32 s15, exec_lo
	v_cmpx_gt_u32_e64 s54, v104
	s_cbranch_execz .LBB635_721
; %bb.720:                              ;   in Loop: Header=BB635_690 Depth=2
	global_load_b32 v39, v[36:37], off offset:1664
.LBB635_721:                            ;   in Loop: Header=BB635_690 Depth=2
	s_wait_alu 0xfffe
	s_or_b32 exec_lo, exec_lo, s15
	s_wait_loadcnt 0x0
	v_bfrev_b32_e32 v38, -2
	s_mov_b32 s15, exec_lo
	v_cmpx_gt_u32_e64 s54, v105
	s_cbranch_execz .LBB635_723
; %bb.722:                              ;   in Loop: Header=BB635_690 Depth=2
	global_load_b32 v38, v[36:37], off offset:1792
.LBB635_723:                            ;   in Loop: Header=BB635_690 Depth=2
	s_wait_alu 0xfffe
	s_or_b32 exec_lo, exec_lo, s15
	v_cmp_gt_u32_e64 s15, s54, v106
	s_sub_co_i32 s16, s51, s42
.LBB635_724:                            ;   in Loop: Header=BB635_690 Depth=2
	v_dual_mov_b32 v2, -1 :: v_dual_mov_b32 v135, s54
	s_and_saveexec_b32 s17, s15
	s_cbranch_execz .LBB635_726
; %bb.725:                              ;   in Loop: Header=BB635_690 Depth=2
	s_lshl_b64 s[18:19], s[42:43], 2
	s_wait_alu 0xfffe
	v_mov_b32_e32 v135, s16
	v_add_co_u32 v36, vcc_lo, v116, s18
	s_wait_alu 0xfffd
	v_add_co_ci_u32_e64 v37, null, s19, v117, vcc_lo
	global_load_b32 v2, v[36:37], off offset:1920
	s_wait_loadcnt 0x0
	v_xor_b32_e32 v2, 0x80000000, v2
.LBB635_726:                            ;   in Loop: Header=BB635_690 Depth=2
	s_wait_alu 0xfffe
	s_or_b32 exec_lo, exec_lo, s17
	s_wait_loadcnt 0xe
	v_xor_b32_e32 v136, 0x80000000, v136
	s_delay_alu instid0(VALU_DEP_1) | instskip(NEXT) | instid1(VALU_DEP_1)
	v_lshrrev_b32_e32 v36, s49, v136
	v_and_b32_e32 v37, s48, v36
	s_delay_alu instid0(VALU_DEP_1)
	v_and_b32_e32 v36, 1, v37
	v_lshlrev_b32_e32 v138, 30, v37
	v_lshlrev_b32_e32 v139, 29, v37
	;; [unrolled: 1-line block ×4, first 2 shown]
	v_add_co_u32 v36, s15, v36, -1
	s_wait_alu 0xf1ff
	v_cndmask_b32_e64 v141, 0, 1, s15
	v_not_b32_e32 v146, v138
	v_cmp_gt_i32_e64 s15, 0, v138
	v_not_b32_e32 v138, v139
	v_lshlrev_b32_e32 v143, 26, v37
	v_cmp_ne_u32_e32 vcc_lo, 0, v141
	v_ashrrev_i32_e32 v146, 31, v146
	v_lshlrev_b32_e32 v145, 25, v37
	v_ashrrev_i32_e32 v138, 31, v138
	v_lshlrev_b32_e32 v141, 24, v37
	s_wait_alu 0xfffd
	v_xor_b32_e32 v36, vcc_lo, v36
	v_cmp_gt_i32_e32 vcc_lo, 0, v139
	v_not_b32_e32 v139, v140
	s_wait_alu 0xf1ff
	v_xor_b32_e32 v146, s15, v146
	v_cmp_gt_i32_e64 s15, 0, v140
	v_and_b32_e32 v36, exec_lo, v36
	v_not_b32_e32 v140, v142
	v_ashrrev_i32_e32 v139, 31, v139
	s_wait_alu 0xfffd
	v_xor_b32_e32 v138, vcc_lo, v138
	v_cmp_gt_i32_e32 vcc_lo, 0, v142
	v_and_b32_e32 v36, v36, v146
	v_not_b32_e32 v142, v143
	v_ashrrev_i32_e32 v140, 31, v140
	s_wait_alu 0xf1ff
	v_xor_b32_e32 v139, s15, v139
	v_cmp_gt_i32_e64 s15, 0, v143
	v_and_b32_e32 v36, v36, v138
	v_not_b32_e32 v138, v145
	v_ashrrev_i32_e32 v142, 31, v142
	s_wait_alu 0xfffd
	v_xor_b32_e32 v140, vcc_lo, v140
	v_cmp_gt_i32_e32 vcc_lo, 0, v145
	v_and_b32_e32 v36, v36, v139
	v_not_b32_e32 v139, v141
	v_ashrrev_i32_e32 v138, 31, v138
	s_wait_alu 0xf1ff
	v_xor_b32_e32 v142, s15, v142
	v_cmp_gt_i32_e64 s15, 0, v141
	v_and_b32_e32 v36, v36, v140
	v_ashrrev_i32_e32 v139, 31, v139
	s_wait_alu 0xfffd
	v_xor_b32_e32 v138, vcc_lo, v138
	v_mul_u32_u24_e32 v37, 36, v37
	v_add_nc_u32_e32 v141, 0x428, v67
	v_and_b32_e32 v36, v36, v142
	s_wait_alu 0xf1ff
	v_xor_b32_e32 v140, s15, v139
	v_add_nc_u32_e32 v139, 0x438, v67
	v_add_nc_u32_e32 v142, 0x430, v67
	;; [unrolled: 1-line block ×3, first 2 shown]
	v_and_b32_e32 v36, v36, v138
	ds_store_2addr_b32 v139, v3, v3 offset1:1
	v_and_b32_e32 v36, v36, v140
	v_add_nc_u32_e32 v140, 0x420, v67
	ds_store_2addr_b32 v140, v3, v3 offset1:1
	ds_store_2addr_b32 v141, v3, v3 offset1:1
	;; [unrolled: 1-line block ×3, first 2 shown]
	ds_store_b32 v67, v3 offset:1088
	v_mbcnt_lo_u32_b32 v138, v36, 0
	v_cmp_ne_u32_e64 s15, 0, v36
	s_wait_loadcnt_dscnt 0x0
	s_barrier_signal -1
	s_barrier_wait -1
	v_cmp_eq_u32_e32 vcc_lo, 0, v138
	global_inv scope:SCOPE_SE
	; wave barrier
	s_and_b32 s16, s15, vcc_lo
	s_wait_alu 0xfffe
	s_and_saveexec_b32 s15, s16
; %bb.727:                              ;   in Loop: Header=BB635_690 Depth=2
	v_bcnt_u32_b32 v36, v36, 0
	ds_store_b32 v143, v36 offset:1056
; %bb.728:                              ;   in Loop: Header=BB635_690 Depth=2
	s_wait_alu 0xfffe
	s_or_b32 exec_lo, exec_lo, s15
	v_xor_b32_e32 v137, 0x80000000, v137
	; wave barrier
	s_delay_alu instid0(VALU_DEP_1) | instskip(NEXT) | instid1(VALU_DEP_1)
	v_lshrrev_b32_e32 v36, s49, v137
	v_and_b32_e32 v37, s48, v36
	s_delay_alu instid0(VALU_DEP_1)
	v_and_b32_e32 v36, 1, v37
	v_lshlrev_b32_e32 v145, 30, v37
	v_lshlrev_b32_e32 v146, 29, v37
	;; [unrolled: 1-line block ×4, first 2 shown]
	v_add_co_u32 v36, s15, v36, -1
	s_wait_alu 0xf1ff
	v_cndmask_b32_e64 v149, 0, 1, s15
	v_not_b32_e32 v154, v145
	v_cmp_gt_i32_e64 s15, 0, v145
	v_not_b32_e32 v145, v146
	v_lshlrev_b32_e32 v151, 26, v37
	v_cmp_ne_u32_e32 vcc_lo, 0, v149
	v_ashrrev_i32_e32 v154, 31, v154
	v_lshlrev_b32_e32 v153, 25, v37
	v_ashrrev_i32_e32 v145, 31, v145
	v_lshlrev_b32_e32 v149, 24, v37
	s_wait_alu 0xfffd
	v_xor_b32_e32 v36, vcc_lo, v36
	v_cmp_gt_i32_e32 vcc_lo, 0, v146
	v_not_b32_e32 v146, v147
	s_wait_alu 0xf1ff
	v_xor_b32_e32 v154, s15, v154
	v_cmp_gt_i32_e64 s15, 0, v147
	v_and_b32_e32 v36, exec_lo, v36
	v_not_b32_e32 v147, v150
	v_ashrrev_i32_e32 v146, 31, v146
	s_wait_alu 0xfffd
	v_xor_b32_e32 v145, vcc_lo, v145
	v_cmp_gt_i32_e32 vcc_lo, 0, v150
	v_and_b32_e32 v36, v36, v154
	v_not_b32_e32 v150, v151
	v_ashrrev_i32_e32 v147, 31, v147
	s_wait_alu 0xf1ff
	v_xor_b32_e32 v146, s15, v146
	v_cmp_gt_i32_e64 s15, 0, v151
	v_and_b32_e32 v36, v36, v145
	v_not_b32_e32 v145, v153
	v_ashrrev_i32_e32 v150, 31, v150
	s_wait_alu 0xfffd
	v_xor_b32_e32 v147, vcc_lo, v147
	v_cmp_gt_i32_e32 vcc_lo, 0, v153
	v_and_b32_e32 v36, v36, v146
	v_not_b32_e32 v146, v149
	v_ashrrev_i32_e32 v145, 31, v145
	s_wait_alu 0xf1ff
	v_xor_b32_e32 v150, s15, v150
	v_cmp_gt_i32_e64 s15, 0, v149
	v_and_b32_e32 v36, v36, v147
	v_ashrrev_i32_e32 v146, 31, v146
	s_wait_alu 0xfffd
	v_xor_b32_e32 v145, vcc_lo, v145
	v_mad_u32_u24 v147, v37, 36, v118
	v_mul_u32_u24_e32 v37, 36, v37
	v_and_b32_e32 v36, v36, v150
	s_wait_alu 0xf1ff
	v_xor_b32_e32 v146, s15, v146
	s_delay_alu instid0(VALU_DEP_2) | instskip(SKIP_3) | instid1(VALU_DEP_1)
	v_and_b32_e32 v36, v36, v145
	ds_load_b32 v145, v147 offset:1056
	v_add_nc_u32_e32 v147, v118, v37
	; wave barrier
	v_and_b32_e32 v36, v36, v146
	v_mbcnt_lo_u32_b32 v146, v36, 0
	v_cmp_ne_u32_e64 s15, 0, v36
	s_delay_alu instid0(VALU_DEP_2)
	v_cmp_eq_u32_e32 vcc_lo, 0, v146
	s_and_b32 s16, s15, vcc_lo
	s_wait_alu 0xfffe
	s_and_saveexec_b32 s15, s16
	s_cbranch_execz .LBB635_730
; %bb.729:                              ;   in Loop: Header=BB635_690 Depth=2
	s_wait_dscnt 0x0
	v_bcnt_u32_b32 v36, v36, v145
	ds_store_b32 v147, v36 offset:1056
.LBB635_730:                            ;   in Loop: Header=BB635_690 Depth=2
	s_wait_alu 0xfffe
	s_or_b32 exec_lo, exec_lo, s15
	v_xor_b32_e32 v144, 0x80000000, v144
	; wave barrier
	s_delay_alu instid0(VALU_DEP_1) | instskip(NEXT) | instid1(VALU_DEP_1)
	v_lshrrev_b32_e32 v36, s49, v144
	v_and_b32_e32 v37, s48, v36
	s_delay_alu instid0(VALU_DEP_1)
	v_and_b32_e32 v36, 1, v37
	v_lshlrev_b32_e32 v149, 30, v37
	v_lshlrev_b32_e32 v150, 29, v37
	;; [unrolled: 1-line block ×4, first 2 shown]
	v_add_co_u32 v36, s15, v36, -1
	s_wait_alu 0xf1ff
	v_cndmask_b32_e64 v153, 0, 1, s15
	v_not_b32_e32 v158, v149
	v_cmp_gt_i32_e64 s15, 0, v149
	v_not_b32_e32 v149, v150
	v_lshlrev_b32_e32 v155, 26, v37
	v_cmp_ne_u32_e32 vcc_lo, 0, v153
	v_ashrrev_i32_e32 v158, 31, v158
	v_lshlrev_b32_e32 v157, 25, v37
	v_ashrrev_i32_e32 v149, 31, v149
	v_lshlrev_b32_e32 v153, 24, v37
	s_wait_alu 0xfffd
	v_xor_b32_e32 v36, vcc_lo, v36
	v_cmp_gt_i32_e32 vcc_lo, 0, v150
	v_not_b32_e32 v150, v151
	s_wait_alu 0xf1ff
	v_xor_b32_e32 v158, s15, v158
	v_cmp_gt_i32_e64 s15, 0, v151
	v_and_b32_e32 v36, exec_lo, v36
	v_not_b32_e32 v151, v154
	v_ashrrev_i32_e32 v150, 31, v150
	s_wait_alu 0xfffd
	v_xor_b32_e32 v149, vcc_lo, v149
	v_cmp_gt_i32_e32 vcc_lo, 0, v154
	v_and_b32_e32 v36, v36, v158
	v_not_b32_e32 v154, v155
	v_ashrrev_i32_e32 v151, 31, v151
	s_wait_alu 0xf1ff
	v_xor_b32_e32 v150, s15, v150
	v_cmp_gt_i32_e64 s15, 0, v155
	v_and_b32_e32 v36, v36, v149
	v_not_b32_e32 v149, v157
	v_ashrrev_i32_e32 v154, 31, v154
	s_wait_alu 0xfffd
	v_xor_b32_e32 v151, vcc_lo, v151
	v_cmp_gt_i32_e32 vcc_lo, 0, v157
	v_and_b32_e32 v36, v36, v150
	v_not_b32_e32 v150, v153
	v_ashrrev_i32_e32 v149, 31, v149
	s_wait_alu 0xf1ff
	v_xor_b32_e32 v154, s15, v154
	v_cmp_gt_i32_e64 s15, 0, v153
	v_and_b32_e32 v36, v36, v151
	v_ashrrev_i32_e32 v150, 31, v150
	s_wait_alu 0xfffd
	v_xor_b32_e32 v149, vcc_lo, v149
	v_mad_u32_u24 v151, v37, 36, v118
	v_mul_u32_u24_e32 v37, 36, v37
	v_and_b32_e32 v36, v36, v154
	s_wait_alu 0xf1ff
	v_xor_b32_e32 v150, s15, v150
	s_delay_alu instid0(VALU_DEP_2) | instskip(SKIP_3) | instid1(VALU_DEP_1)
	v_and_b32_e32 v36, v36, v149
	ds_load_b32 v149, v151 offset:1056
	v_add_nc_u32_e32 v151, v118, v37
	; wave barrier
	v_and_b32_e32 v36, v36, v150
	v_mbcnt_lo_u32_b32 v150, v36, 0
	v_cmp_ne_u32_e64 s15, 0, v36
	s_delay_alu instid0(VALU_DEP_2)
	v_cmp_eq_u32_e32 vcc_lo, 0, v150
	s_and_b32 s16, s15, vcc_lo
	s_wait_alu 0xfffe
	s_and_saveexec_b32 s15, s16
	s_cbranch_execz .LBB635_732
; %bb.731:                              ;   in Loop: Header=BB635_690 Depth=2
	s_wait_dscnt 0x0
	v_bcnt_u32_b32 v36, v36, v149
	ds_store_b32 v151, v36 offset:1056
.LBB635_732:                            ;   in Loop: Header=BB635_690 Depth=2
	s_wait_alu 0xfffe
	s_or_b32 exec_lo, exec_lo, s15
	v_xor_b32_e32 v148, 0x80000000, v148
	; wave barrier
	s_delay_alu instid0(VALU_DEP_1) | instskip(NEXT) | instid1(VALU_DEP_1)
	v_lshrrev_b32_e32 v36, s49, v148
	v_and_b32_e32 v37, s48, v36
	s_delay_alu instid0(VALU_DEP_1)
	v_and_b32_e32 v36, 1, v37
	v_lshlrev_b32_e32 v153, 30, v37
	v_lshlrev_b32_e32 v154, 29, v37
	;; [unrolled: 1-line block ×4, first 2 shown]
	v_add_co_u32 v36, s15, v36, -1
	s_wait_alu 0xf1ff
	v_cndmask_b32_e64 v157, 0, 1, s15
	v_not_b32_e32 v162, v153
	v_cmp_gt_i32_e64 s15, 0, v153
	v_not_b32_e32 v153, v154
	v_lshlrev_b32_e32 v159, 26, v37
	v_cmp_ne_u32_e32 vcc_lo, 0, v157
	v_ashrrev_i32_e32 v162, 31, v162
	v_lshlrev_b32_e32 v161, 25, v37
	v_ashrrev_i32_e32 v153, 31, v153
	v_lshlrev_b32_e32 v157, 24, v37
	s_wait_alu 0xfffd
	v_xor_b32_e32 v36, vcc_lo, v36
	v_cmp_gt_i32_e32 vcc_lo, 0, v154
	v_not_b32_e32 v154, v155
	s_wait_alu 0xf1ff
	v_xor_b32_e32 v162, s15, v162
	v_cmp_gt_i32_e64 s15, 0, v155
	v_and_b32_e32 v36, exec_lo, v36
	v_not_b32_e32 v155, v158
	v_ashrrev_i32_e32 v154, 31, v154
	s_wait_alu 0xfffd
	v_xor_b32_e32 v153, vcc_lo, v153
	v_cmp_gt_i32_e32 vcc_lo, 0, v158
	v_and_b32_e32 v36, v36, v162
	v_not_b32_e32 v158, v159
	v_ashrrev_i32_e32 v155, 31, v155
	s_wait_alu 0xf1ff
	v_xor_b32_e32 v154, s15, v154
	v_cmp_gt_i32_e64 s15, 0, v159
	v_and_b32_e32 v36, v36, v153
	v_not_b32_e32 v153, v161
	v_ashrrev_i32_e32 v158, 31, v158
	s_wait_alu 0xfffd
	v_xor_b32_e32 v155, vcc_lo, v155
	v_cmp_gt_i32_e32 vcc_lo, 0, v161
	v_and_b32_e32 v36, v36, v154
	v_not_b32_e32 v154, v157
	v_ashrrev_i32_e32 v153, 31, v153
	s_wait_alu 0xf1ff
	v_xor_b32_e32 v158, s15, v158
	v_cmp_gt_i32_e64 s15, 0, v157
	v_and_b32_e32 v36, v36, v155
	v_ashrrev_i32_e32 v154, 31, v154
	s_wait_alu 0xfffd
	v_xor_b32_e32 v153, vcc_lo, v153
	v_mad_u32_u24 v155, v37, 36, v118
	v_mul_u32_u24_e32 v37, 36, v37
	v_and_b32_e32 v36, v36, v158
	s_wait_alu 0xf1ff
	v_xor_b32_e32 v154, s15, v154
	s_delay_alu instid0(VALU_DEP_2) | instskip(SKIP_3) | instid1(VALU_DEP_1)
	v_and_b32_e32 v36, v36, v153
	ds_load_b32 v153, v155 offset:1056
	v_add_nc_u32_e32 v155, v118, v37
	; wave barrier
	v_and_b32_e32 v36, v36, v154
	v_mbcnt_lo_u32_b32 v154, v36, 0
	v_cmp_ne_u32_e64 s15, 0, v36
	s_delay_alu instid0(VALU_DEP_2)
	v_cmp_eq_u32_e32 vcc_lo, 0, v154
	s_and_b32 s16, s15, vcc_lo
	s_wait_alu 0xfffe
	s_and_saveexec_b32 s15, s16
	s_cbranch_execz .LBB635_734
; %bb.733:                              ;   in Loop: Header=BB635_690 Depth=2
	s_wait_dscnt 0x0
	v_bcnt_u32_b32 v36, v36, v153
	ds_store_b32 v155, v36 offset:1056
.LBB635_734:                            ;   in Loop: Header=BB635_690 Depth=2
	s_wait_alu 0xfffe
	s_or_b32 exec_lo, exec_lo, s15
	v_xor_b32_e32 v152, 0x80000000, v152
	; wave barrier
	s_delay_alu instid0(VALU_DEP_1) | instskip(NEXT) | instid1(VALU_DEP_1)
	v_lshrrev_b32_e32 v36, s49, v152
	v_and_b32_e32 v37, s48, v36
	s_delay_alu instid0(VALU_DEP_1)
	v_and_b32_e32 v36, 1, v37
	v_lshlrev_b32_e32 v157, 30, v37
	v_lshlrev_b32_e32 v158, 29, v37
	;; [unrolled: 1-line block ×4, first 2 shown]
	v_add_co_u32 v36, s15, v36, -1
	s_wait_alu 0xf1ff
	v_cndmask_b32_e64 v161, 0, 1, s15
	v_not_b32_e32 v166, v157
	v_cmp_gt_i32_e64 s15, 0, v157
	v_not_b32_e32 v157, v158
	v_lshlrev_b32_e32 v163, 26, v37
	v_cmp_ne_u32_e32 vcc_lo, 0, v161
	v_ashrrev_i32_e32 v166, 31, v166
	v_lshlrev_b32_e32 v165, 25, v37
	v_ashrrev_i32_e32 v157, 31, v157
	v_lshlrev_b32_e32 v161, 24, v37
	s_wait_alu 0xfffd
	v_xor_b32_e32 v36, vcc_lo, v36
	v_cmp_gt_i32_e32 vcc_lo, 0, v158
	v_not_b32_e32 v158, v159
	s_wait_alu 0xf1ff
	v_xor_b32_e32 v166, s15, v166
	v_cmp_gt_i32_e64 s15, 0, v159
	v_and_b32_e32 v36, exec_lo, v36
	v_not_b32_e32 v159, v162
	v_ashrrev_i32_e32 v158, 31, v158
	s_wait_alu 0xfffd
	v_xor_b32_e32 v157, vcc_lo, v157
	v_cmp_gt_i32_e32 vcc_lo, 0, v162
	v_and_b32_e32 v36, v36, v166
	v_not_b32_e32 v162, v163
	v_ashrrev_i32_e32 v159, 31, v159
	s_wait_alu 0xf1ff
	v_xor_b32_e32 v158, s15, v158
	v_cmp_gt_i32_e64 s15, 0, v163
	v_and_b32_e32 v36, v36, v157
	v_not_b32_e32 v157, v165
	v_ashrrev_i32_e32 v162, 31, v162
	s_wait_alu 0xfffd
	v_xor_b32_e32 v159, vcc_lo, v159
	v_cmp_gt_i32_e32 vcc_lo, 0, v165
	v_and_b32_e32 v36, v36, v158
	v_not_b32_e32 v158, v161
	v_ashrrev_i32_e32 v157, 31, v157
	s_wait_alu 0xf1ff
	v_xor_b32_e32 v162, s15, v162
	v_cmp_gt_i32_e64 s15, 0, v161
	v_and_b32_e32 v36, v36, v159
	v_ashrrev_i32_e32 v158, 31, v158
	s_wait_alu 0xfffd
	v_xor_b32_e32 v157, vcc_lo, v157
	v_mad_u32_u24 v159, v37, 36, v118
	v_mul_u32_u24_e32 v37, 36, v37
	v_and_b32_e32 v36, v36, v162
	s_wait_alu 0xf1ff
	v_xor_b32_e32 v158, s15, v158
	s_delay_alu instid0(VALU_DEP_2) | instskip(SKIP_3) | instid1(VALU_DEP_1)
	v_and_b32_e32 v36, v36, v157
	ds_load_b32 v157, v159 offset:1056
	v_add_nc_u32_e32 v159, v118, v37
	; wave barrier
	v_and_b32_e32 v36, v36, v158
	v_mbcnt_lo_u32_b32 v158, v36, 0
	v_cmp_ne_u32_e64 s15, 0, v36
	s_delay_alu instid0(VALU_DEP_2)
	v_cmp_eq_u32_e32 vcc_lo, 0, v158
	s_and_b32 s16, s15, vcc_lo
	s_wait_alu 0xfffe
	s_and_saveexec_b32 s15, s16
	s_cbranch_execz .LBB635_736
; %bb.735:                              ;   in Loop: Header=BB635_690 Depth=2
	s_wait_dscnt 0x0
	v_bcnt_u32_b32 v36, v36, v157
	ds_store_b32 v159, v36 offset:1056
.LBB635_736:                            ;   in Loop: Header=BB635_690 Depth=2
	s_wait_alu 0xfffe
	s_or_b32 exec_lo, exec_lo, s15
	v_xor_b32_e32 v156, 0x80000000, v156
	; wave barrier
	s_delay_alu instid0(VALU_DEP_1) | instskip(NEXT) | instid1(VALU_DEP_1)
	v_lshrrev_b32_e32 v36, s49, v156
	v_and_b32_e32 v37, s48, v36
	s_delay_alu instid0(VALU_DEP_1)
	v_and_b32_e32 v36, 1, v37
	v_lshlrev_b32_e32 v161, 30, v37
	v_lshlrev_b32_e32 v162, 29, v37
	;; [unrolled: 1-line block ×4, first 2 shown]
	v_add_co_u32 v36, s15, v36, -1
	s_wait_alu 0xf1ff
	v_cndmask_b32_e64 v165, 0, 1, s15
	v_not_b32_e32 v170, v161
	v_cmp_gt_i32_e64 s15, 0, v161
	v_not_b32_e32 v161, v162
	v_lshlrev_b32_e32 v168, 26, v37
	v_cmp_ne_u32_e32 vcc_lo, 0, v165
	v_ashrrev_i32_e32 v170, 31, v170
	v_lshlrev_b32_e32 v169, 25, v37
	v_ashrrev_i32_e32 v161, 31, v161
	v_lshlrev_b32_e32 v165, 24, v37
	s_wait_alu 0xfffd
	v_xor_b32_e32 v36, vcc_lo, v36
	v_cmp_gt_i32_e32 vcc_lo, 0, v162
	v_not_b32_e32 v162, v163
	s_wait_alu 0xf1ff
	v_xor_b32_e32 v170, s15, v170
	v_cmp_gt_i32_e64 s15, 0, v163
	v_and_b32_e32 v36, exec_lo, v36
	v_not_b32_e32 v163, v166
	v_ashrrev_i32_e32 v162, 31, v162
	s_wait_alu 0xfffd
	v_xor_b32_e32 v161, vcc_lo, v161
	v_cmp_gt_i32_e32 vcc_lo, 0, v166
	v_and_b32_e32 v36, v36, v170
	v_not_b32_e32 v166, v168
	v_ashrrev_i32_e32 v163, 31, v163
	s_wait_alu 0xf1ff
	v_xor_b32_e32 v162, s15, v162
	v_cmp_gt_i32_e64 s15, 0, v168
	v_and_b32_e32 v36, v36, v161
	v_not_b32_e32 v161, v169
	v_ashrrev_i32_e32 v166, 31, v166
	s_wait_alu 0xfffd
	v_xor_b32_e32 v163, vcc_lo, v163
	v_cmp_gt_i32_e32 vcc_lo, 0, v169
	v_and_b32_e32 v36, v36, v162
	v_not_b32_e32 v162, v165
	v_ashrrev_i32_e32 v161, 31, v161
	s_wait_alu 0xf1ff
	v_xor_b32_e32 v166, s15, v166
	v_cmp_gt_i32_e64 s15, 0, v165
	v_and_b32_e32 v36, v36, v163
	v_ashrrev_i32_e32 v162, 31, v162
	s_wait_alu 0xfffd
	v_xor_b32_e32 v161, vcc_lo, v161
	v_mad_u32_u24 v163, v37, 36, v118
	v_mul_u32_u24_e32 v37, 36, v37
	v_and_b32_e32 v36, v36, v166
	s_wait_alu 0xf1ff
	v_xor_b32_e32 v162, s15, v162
	s_delay_alu instid0(VALU_DEP_2) | instskip(SKIP_3) | instid1(VALU_DEP_1)
	v_and_b32_e32 v36, v36, v161
	ds_load_b32 v161, v163 offset:1056
	v_add_nc_u32_e32 v163, v118, v37
	; wave barrier
	v_and_b32_e32 v36, v36, v162
	v_mbcnt_lo_u32_b32 v162, v36, 0
	v_cmp_ne_u32_e64 s15, 0, v36
	s_delay_alu instid0(VALU_DEP_2)
	v_cmp_eq_u32_e32 vcc_lo, 0, v162
	s_and_b32 s16, s15, vcc_lo
	s_wait_alu 0xfffe
	s_and_saveexec_b32 s15, s16
	s_cbranch_execz .LBB635_738
; %bb.737:                              ;   in Loop: Header=BB635_690 Depth=2
	s_wait_dscnt 0x0
	v_bcnt_u32_b32 v36, v36, v161
	ds_store_b32 v163, v36 offset:1056
.LBB635_738:                            ;   in Loop: Header=BB635_690 Depth=2
	s_wait_alu 0xfffe
	s_or_b32 exec_lo, exec_lo, s15
	v_xor_b32_e32 v160, 0x80000000, v160
	; wave barrier
	s_delay_alu instid0(VALU_DEP_1) | instskip(NEXT) | instid1(VALU_DEP_1)
	v_lshrrev_b32_e32 v36, s49, v160
	v_and_b32_e32 v37, s48, v36
	s_delay_alu instid0(VALU_DEP_1)
	v_and_b32_e32 v36, 1, v37
	v_lshlrev_b32_e32 v165, 30, v37
	v_lshlrev_b32_e32 v166, 29, v37
	;; [unrolled: 1-line block ×4, first 2 shown]
	v_add_co_u32 v36, s15, v36, -1
	s_wait_alu 0xf1ff
	v_cndmask_b32_e64 v169, 0, 1, s15
	v_not_b32_e32 v173, v165
	v_cmp_gt_i32_e64 s15, 0, v165
	v_not_b32_e32 v165, v166
	v_lshlrev_b32_e32 v171, 26, v37
	v_cmp_ne_u32_e32 vcc_lo, 0, v169
	v_ashrrev_i32_e32 v173, 31, v173
	v_lshlrev_b32_e32 v172, 25, v37
	v_ashrrev_i32_e32 v165, 31, v165
	v_lshlrev_b32_e32 v169, 24, v37
	s_wait_alu 0xfffd
	v_xor_b32_e32 v36, vcc_lo, v36
	v_cmp_gt_i32_e32 vcc_lo, 0, v166
	v_not_b32_e32 v166, v168
	s_wait_alu 0xf1ff
	v_xor_b32_e32 v173, s15, v173
	v_cmp_gt_i32_e64 s15, 0, v168
	v_and_b32_e32 v36, exec_lo, v36
	v_not_b32_e32 v168, v170
	v_ashrrev_i32_e32 v166, 31, v166
	s_wait_alu 0xfffd
	v_xor_b32_e32 v165, vcc_lo, v165
	v_cmp_gt_i32_e32 vcc_lo, 0, v170
	v_and_b32_e32 v36, v36, v173
	v_not_b32_e32 v170, v171
	v_ashrrev_i32_e32 v168, 31, v168
	s_wait_alu 0xf1ff
	v_xor_b32_e32 v166, s15, v166
	v_cmp_gt_i32_e64 s15, 0, v171
	v_and_b32_e32 v36, v36, v165
	v_not_b32_e32 v165, v172
	v_ashrrev_i32_e32 v170, 31, v170
	s_wait_alu 0xfffd
	v_xor_b32_e32 v168, vcc_lo, v168
	v_cmp_gt_i32_e32 vcc_lo, 0, v172
	v_and_b32_e32 v36, v36, v166
	v_not_b32_e32 v166, v169
	v_ashrrev_i32_e32 v165, 31, v165
	s_wait_alu 0xf1ff
	v_xor_b32_e32 v170, s15, v170
	v_cmp_gt_i32_e64 s15, 0, v169
	v_and_b32_e32 v36, v36, v168
	v_ashrrev_i32_e32 v166, 31, v166
	s_wait_alu 0xfffd
	v_xor_b32_e32 v165, vcc_lo, v165
	v_mad_u32_u24 v168, v37, 36, v118
	v_mul_u32_u24_e32 v37, 36, v37
	v_and_b32_e32 v36, v36, v170
	s_wait_alu 0xf1ff
	v_xor_b32_e32 v166, s15, v166
	s_delay_alu instid0(VALU_DEP_2) | instskip(SKIP_3) | instid1(VALU_DEP_1)
	v_and_b32_e32 v36, v36, v165
	ds_load_b32 v165, v168 offset:1056
	v_add_nc_u32_e32 v168, v118, v37
	; wave barrier
	v_and_b32_e32 v36, v36, v166
	v_mbcnt_lo_u32_b32 v166, v36, 0
	v_cmp_ne_u32_e64 s15, 0, v36
	s_delay_alu instid0(VALU_DEP_2)
	v_cmp_eq_u32_e32 vcc_lo, 0, v166
	s_and_b32 s16, s15, vcc_lo
	s_wait_alu 0xfffe
	s_and_saveexec_b32 s15, s16
	s_cbranch_execz .LBB635_740
; %bb.739:                              ;   in Loop: Header=BB635_690 Depth=2
	s_wait_dscnt 0x0
	v_bcnt_u32_b32 v36, v36, v165
	ds_store_b32 v168, v36 offset:1056
.LBB635_740:                            ;   in Loop: Header=BB635_690 Depth=2
	s_wait_alu 0xfffe
	s_or_b32 exec_lo, exec_lo, s15
	v_xor_b32_e32 v164, 0x80000000, v164
	; wave barrier
	s_delay_alu instid0(VALU_DEP_1) | instskip(NEXT) | instid1(VALU_DEP_1)
	v_lshrrev_b32_e32 v36, s49, v164
	v_and_b32_e32 v37, s48, v36
	s_delay_alu instid0(VALU_DEP_1)
	v_and_b32_e32 v36, 1, v37
	v_lshlrev_b32_e32 v169, 30, v37
	v_lshlrev_b32_e32 v170, 29, v37
	;; [unrolled: 1-line block ×4, first 2 shown]
	v_add_co_u32 v36, s15, v36, -1
	s_wait_alu 0xf1ff
	v_cndmask_b32_e64 v172, 0, 1, s15
	v_not_b32_e32 v176, v169
	v_cmp_gt_i32_e64 s15, 0, v169
	v_not_b32_e32 v169, v170
	v_lshlrev_b32_e32 v174, 26, v37
	v_cmp_ne_u32_e32 vcc_lo, 0, v172
	v_ashrrev_i32_e32 v176, 31, v176
	v_lshlrev_b32_e32 v175, 25, v37
	v_ashrrev_i32_e32 v169, 31, v169
	v_lshlrev_b32_e32 v172, 24, v37
	s_wait_alu 0xfffd
	v_xor_b32_e32 v36, vcc_lo, v36
	v_cmp_gt_i32_e32 vcc_lo, 0, v170
	v_not_b32_e32 v170, v171
	s_wait_alu 0xf1ff
	v_xor_b32_e32 v176, s15, v176
	v_cmp_gt_i32_e64 s15, 0, v171
	v_and_b32_e32 v36, exec_lo, v36
	v_not_b32_e32 v171, v173
	v_ashrrev_i32_e32 v170, 31, v170
	s_wait_alu 0xfffd
	v_xor_b32_e32 v169, vcc_lo, v169
	v_cmp_gt_i32_e32 vcc_lo, 0, v173
	v_and_b32_e32 v36, v36, v176
	v_not_b32_e32 v173, v174
	v_ashrrev_i32_e32 v171, 31, v171
	s_wait_alu 0xf1ff
	v_xor_b32_e32 v170, s15, v170
	v_cmp_gt_i32_e64 s15, 0, v174
	v_and_b32_e32 v36, v36, v169
	v_not_b32_e32 v169, v175
	v_ashrrev_i32_e32 v173, 31, v173
	s_wait_alu 0xfffd
	v_xor_b32_e32 v171, vcc_lo, v171
	v_cmp_gt_i32_e32 vcc_lo, 0, v175
	v_and_b32_e32 v36, v36, v170
	v_not_b32_e32 v170, v172
	v_ashrrev_i32_e32 v169, 31, v169
	s_wait_alu 0xf1ff
	v_xor_b32_e32 v173, s15, v173
	v_cmp_gt_i32_e64 s15, 0, v172
	v_and_b32_e32 v36, v36, v171
	v_ashrrev_i32_e32 v170, 31, v170
	s_wait_alu 0xfffd
	v_xor_b32_e32 v169, vcc_lo, v169
	v_mad_u32_u24 v171, v37, 36, v118
	v_mul_u32_u24_e32 v37, 36, v37
	v_and_b32_e32 v36, v36, v173
	s_wait_alu 0xf1ff
	v_xor_b32_e32 v170, s15, v170
	s_delay_alu instid0(VALU_DEP_2) | instskip(SKIP_3) | instid1(VALU_DEP_1)
	v_and_b32_e32 v36, v36, v169
	ds_load_b32 v169, v171 offset:1056
	v_add_nc_u32_e32 v171, v118, v37
	; wave barrier
	v_and_b32_e32 v36, v36, v170
	v_mbcnt_lo_u32_b32 v170, v36, 0
	v_cmp_ne_u32_e64 s15, 0, v36
	s_delay_alu instid0(VALU_DEP_2)
	v_cmp_eq_u32_e32 vcc_lo, 0, v170
	s_and_b32 s16, s15, vcc_lo
	s_wait_alu 0xfffe
	s_and_saveexec_b32 s15, s16
	s_cbranch_execz .LBB635_742
; %bb.741:                              ;   in Loop: Header=BB635_690 Depth=2
	s_wait_dscnt 0x0
	v_bcnt_u32_b32 v36, v36, v169
	ds_store_b32 v171, v36 offset:1056
.LBB635_742:                            ;   in Loop: Header=BB635_690 Depth=2
	s_wait_alu 0xfffe
	s_or_b32 exec_lo, exec_lo, s15
	v_xor_b32_e32 v167, 0x80000000, v167
	; wave barrier
	s_delay_alu instid0(VALU_DEP_1) | instskip(NEXT) | instid1(VALU_DEP_1)
	v_lshrrev_b32_e32 v36, s49, v167
	v_and_b32_e32 v37, s48, v36
	s_delay_alu instid0(VALU_DEP_1)
	v_and_b32_e32 v36, 1, v37
	v_lshlrev_b32_e32 v172, 30, v37
	v_lshlrev_b32_e32 v173, 29, v37
	;; [unrolled: 1-line block ×4, first 2 shown]
	v_add_co_u32 v36, s15, v36, -1
	s_wait_alu 0xf1ff
	v_cndmask_b32_e64 v175, 0, 1, s15
	v_not_b32_e32 v179, v172
	v_cmp_gt_i32_e64 s15, 0, v172
	v_not_b32_e32 v172, v173
	v_lshlrev_b32_e32 v177, 26, v37
	v_cmp_ne_u32_e32 vcc_lo, 0, v175
	v_ashrrev_i32_e32 v179, 31, v179
	v_lshlrev_b32_e32 v178, 25, v37
	v_ashrrev_i32_e32 v172, 31, v172
	v_lshlrev_b32_e32 v175, 24, v37
	s_wait_alu 0xfffd
	v_xor_b32_e32 v36, vcc_lo, v36
	v_cmp_gt_i32_e32 vcc_lo, 0, v173
	v_not_b32_e32 v173, v174
	s_wait_alu 0xf1ff
	v_xor_b32_e32 v179, s15, v179
	v_cmp_gt_i32_e64 s15, 0, v174
	v_and_b32_e32 v36, exec_lo, v36
	v_not_b32_e32 v174, v176
	v_ashrrev_i32_e32 v173, 31, v173
	s_wait_alu 0xfffd
	v_xor_b32_e32 v172, vcc_lo, v172
	v_cmp_gt_i32_e32 vcc_lo, 0, v176
	v_and_b32_e32 v36, v36, v179
	v_not_b32_e32 v176, v177
	v_ashrrev_i32_e32 v174, 31, v174
	s_wait_alu 0xf1ff
	v_xor_b32_e32 v173, s15, v173
	v_cmp_gt_i32_e64 s15, 0, v177
	v_and_b32_e32 v36, v36, v172
	v_not_b32_e32 v172, v178
	v_ashrrev_i32_e32 v176, 31, v176
	s_wait_alu 0xfffd
	v_xor_b32_e32 v174, vcc_lo, v174
	v_cmp_gt_i32_e32 vcc_lo, 0, v178
	v_and_b32_e32 v36, v36, v173
	v_not_b32_e32 v173, v175
	v_ashrrev_i32_e32 v172, 31, v172
	s_wait_alu 0xf1ff
	v_xor_b32_e32 v176, s15, v176
	v_cmp_gt_i32_e64 s15, 0, v175
	v_and_b32_e32 v36, v36, v174
	v_ashrrev_i32_e32 v173, 31, v173
	s_wait_alu 0xfffd
	v_xor_b32_e32 v172, vcc_lo, v172
	v_mad_u32_u24 v174, v37, 36, v118
	v_mul_u32_u24_e32 v37, 36, v37
	v_and_b32_e32 v36, v36, v176
	s_wait_alu 0xf1ff
	v_xor_b32_e32 v175, s15, v173
	ds_load_b32 v173, v174 offset:1056
	v_and_b32_e32 v36, v36, v172
	; wave barrier
	s_delay_alu instid0(VALU_DEP_1) | instskip(SKIP_1) | instid1(VALU_DEP_2)
	v_and_b32_e32 v36, v36, v175
	v_add_nc_u32_e32 v175, v118, v37
	v_mbcnt_lo_u32_b32 v174, v36, 0
	v_cmp_ne_u32_e64 s15, 0, v36
	s_delay_alu instid0(VALU_DEP_2)
	v_cmp_eq_u32_e32 vcc_lo, 0, v174
	s_and_b32 s16, s15, vcc_lo
	s_wait_alu 0xfffe
	s_and_saveexec_b32 s15, s16
	s_cbranch_execz .LBB635_744
; %bb.743:                              ;   in Loop: Header=BB635_690 Depth=2
	s_wait_dscnt 0x0
	v_bcnt_u32_b32 v36, v36, v173
	ds_store_b32 v175, v36 offset:1056
.LBB635_744:                            ;   in Loop: Header=BB635_690 Depth=2
	s_wait_alu 0xfffe
	s_or_b32 exec_lo, exec_lo, s15
	v_xor_b32_e32 v172, 0x80000000, v43
	; wave barrier
	s_delay_alu instid0(VALU_DEP_1) | instskip(NEXT) | instid1(VALU_DEP_1)
	v_lshrrev_b32_e32 v36, s49, v172
	v_and_b32_e32 v37, s48, v36
	s_delay_alu instid0(VALU_DEP_1)
	v_and_b32_e32 v36, 1, v37
	v_lshlrev_b32_e32 v43, 30, v37
	v_lshlrev_b32_e32 v176, 29, v37
	;; [unrolled: 1-line block ×4, first 2 shown]
	v_add_co_u32 v36, s15, v36, -1
	s_wait_alu 0xf1ff
	v_cndmask_b32_e64 v178, 0, 1, s15
	v_not_b32_e32 v182, v43
	v_cmp_gt_i32_e64 s15, 0, v43
	v_not_b32_e32 v43, v176
	v_lshlrev_b32_e32 v180, 26, v37
	v_cmp_ne_u32_e32 vcc_lo, 0, v178
	v_ashrrev_i32_e32 v182, 31, v182
	v_lshlrev_b32_e32 v181, 25, v37
	v_ashrrev_i32_e32 v43, 31, v43
	v_lshlrev_b32_e32 v178, 24, v37
	s_wait_alu 0xfffd
	v_xor_b32_e32 v36, vcc_lo, v36
	v_cmp_gt_i32_e32 vcc_lo, 0, v176
	v_not_b32_e32 v176, v177
	s_wait_alu 0xf1ff
	v_xor_b32_e32 v182, s15, v182
	v_cmp_gt_i32_e64 s15, 0, v177
	v_and_b32_e32 v36, exec_lo, v36
	v_not_b32_e32 v177, v179
	v_ashrrev_i32_e32 v176, 31, v176
	s_wait_alu 0xfffd
	v_xor_b32_e32 v43, vcc_lo, v43
	v_cmp_gt_i32_e32 vcc_lo, 0, v179
	v_and_b32_e32 v36, v36, v182
	v_not_b32_e32 v179, v180
	v_ashrrev_i32_e32 v177, 31, v177
	s_wait_alu 0xf1ff
	v_xor_b32_e32 v176, s15, v176
	v_cmp_gt_i32_e64 s15, 0, v180
	v_and_b32_e32 v36, v36, v43
	v_not_b32_e32 v43, v181
	v_ashrrev_i32_e32 v179, 31, v179
	s_wait_alu 0xfffd
	v_xor_b32_e32 v177, vcc_lo, v177
	v_cmp_gt_i32_e32 vcc_lo, 0, v181
	v_and_b32_e32 v36, v36, v176
	v_not_b32_e32 v176, v178
	v_ashrrev_i32_e32 v43, 31, v43
	s_wait_alu 0xf1ff
	v_xor_b32_e32 v179, s15, v179
	v_cmp_gt_i32_e64 s15, 0, v178
	v_and_b32_e32 v36, v36, v177
	v_ashrrev_i32_e32 v176, 31, v176
	s_wait_alu 0xfffd
	v_xor_b32_e32 v43, vcc_lo, v43
	v_mad_u32_u24 v177, v37, 36, v118
	v_mul_u32_u24_e32 v37, 36, v37
	v_and_b32_e32 v36, v36, v179
	s_wait_alu 0xf1ff
	v_xor_b32_e32 v176, s15, v176
	ds_load_b32 v177, v177 offset:1056
	v_add_nc_u32_e32 v179, v118, v37
	v_and_b32_e32 v36, v36, v43
	; wave barrier
	s_delay_alu instid0(VALU_DEP_1) | instskip(NEXT) | instid1(VALU_DEP_1)
	v_and_b32_e32 v36, v36, v176
	v_mbcnt_lo_u32_b32 v178, v36, 0
	v_cmp_ne_u32_e64 s15, 0, v36
	s_delay_alu instid0(VALU_DEP_2)
	v_cmp_eq_u32_e32 vcc_lo, 0, v178
	s_and_b32 s16, s15, vcc_lo
	s_wait_alu 0xfffe
	s_and_saveexec_b32 s15, s16
	s_cbranch_execz .LBB635_746
; %bb.745:                              ;   in Loop: Header=BB635_690 Depth=2
	s_wait_dscnt 0x0
	v_bcnt_u32_b32 v36, v36, v177
	ds_store_b32 v179, v36 offset:1056
.LBB635_746:                            ;   in Loop: Header=BB635_690 Depth=2
	s_wait_alu 0xfffe
	s_or_b32 exec_lo, exec_lo, s15
	v_xor_b32_e32 v176, 0x80000000, v42
	; wave barrier
	s_delay_alu instid0(VALU_DEP_1) | instskip(NEXT) | instid1(VALU_DEP_1)
	v_lshrrev_b32_e32 v36, s49, v176
	v_and_b32_e32 v37, s48, v36
	s_delay_alu instid0(VALU_DEP_1)
	v_and_b32_e32 v36, 1, v37
	v_lshlrev_b32_e32 v42, 30, v37
	v_lshlrev_b32_e32 v43, 29, v37
	;; [unrolled: 1-line block ×4, first 2 shown]
	v_add_co_u32 v36, s15, v36, -1
	s_wait_alu 0xf1ff
	v_cndmask_b32_e64 v181, 0, 1, s15
	v_not_b32_e32 v185, v42
	v_cmp_gt_i32_e64 s15, 0, v42
	v_not_b32_e32 v42, v43
	v_lshlrev_b32_e32 v183, 26, v37
	v_cmp_ne_u32_e32 vcc_lo, 0, v181
	v_ashrrev_i32_e32 v185, 31, v185
	v_lshlrev_b32_e32 v184, 25, v37
	v_ashrrev_i32_e32 v42, 31, v42
	v_lshlrev_b32_e32 v181, 24, v37
	s_wait_alu 0xfffd
	v_xor_b32_e32 v36, vcc_lo, v36
	v_cmp_gt_i32_e32 vcc_lo, 0, v43
	v_not_b32_e32 v43, v180
	s_wait_alu 0xf1ff
	v_xor_b32_e32 v185, s15, v185
	v_cmp_gt_i32_e64 s15, 0, v180
	v_and_b32_e32 v36, exec_lo, v36
	v_not_b32_e32 v180, v182
	v_ashrrev_i32_e32 v43, 31, v43
	s_wait_alu 0xfffd
	v_xor_b32_e32 v42, vcc_lo, v42
	v_cmp_gt_i32_e32 vcc_lo, 0, v182
	v_and_b32_e32 v36, v36, v185
	v_not_b32_e32 v182, v183
	v_ashrrev_i32_e32 v180, 31, v180
	s_wait_alu 0xf1ff
	v_xor_b32_e32 v43, s15, v43
	v_cmp_gt_i32_e64 s15, 0, v183
	v_and_b32_e32 v36, v36, v42
	v_not_b32_e32 v42, v184
	v_ashrrev_i32_e32 v182, 31, v182
	s_wait_alu 0xfffd
	v_xor_b32_e32 v180, vcc_lo, v180
	v_cmp_gt_i32_e32 vcc_lo, 0, v184
	v_and_b32_e32 v36, v36, v43
	v_not_b32_e32 v43, v181
	v_ashrrev_i32_e32 v42, 31, v42
	s_wait_alu 0xf1ff
	v_xor_b32_e32 v182, s15, v182
	v_cmp_gt_i32_e64 s15, 0, v181
	v_and_b32_e32 v36, v36, v180
	v_ashrrev_i32_e32 v43, 31, v43
	s_wait_alu 0xfffd
	v_xor_b32_e32 v42, vcc_lo, v42
	v_mad_u32_u24 v180, v37, 36, v118
	v_mul_u32_u24_e32 v37, 36, v37
	v_and_b32_e32 v36, v36, v182
	s_wait_alu 0xf1ff
	v_xor_b32_e32 v43, s15, v43
	ds_load_b32 v181, v180 offset:1056
	v_add_nc_u32_e32 v183, v118, v37
	v_and_b32_e32 v36, v36, v42
	; wave barrier
	s_delay_alu instid0(VALU_DEP_1) | instskip(NEXT) | instid1(VALU_DEP_1)
	v_and_b32_e32 v36, v36, v43
	v_mbcnt_lo_u32_b32 v182, v36, 0
	v_cmp_ne_u32_e64 s15, 0, v36
	s_delay_alu instid0(VALU_DEP_2)
	v_cmp_eq_u32_e32 vcc_lo, 0, v182
	s_and_b32 s16, s15, vcc_lo
	s_wait_alu 0xfffe
	s_and_saveexec_b32 s15, s16
	s_cbranch_execz .LBB635_748
; %bb.747:                              ;   in Loop: Header=BB635_690 Depth=2
	s_wait_dscnt 0x0
	v_bcnt_u32_b32 v36, v36, v181
	ds_store_b32 v183, v36 offset:1056
.LBB635_748:                            ;   in Loop: Header=BB635_690 Depth=2
	s_wait_alu 0xfffe
	s_or_b32 exec_lo, exec_lo, s15
	v_xor_b32_e32 v180, 0x80000000, v41
	; wave barrier
	s_delay_alu instid0(VALU_DEP_1) | instskip(NEXT) | instid1(VALU_DEP_1)
	v_lshrrev_b32_e32 v36, s49, v180
	v_and_b32_e32 v37, s48, v36
	s_delay_alu instid0(VALU_DEP_1)
	v_and_b32_e32 v36, 1, v37
	v_lshlrev_b32_e32 v41, 30, v37
	v_lshlrev_b32_e32 v42, 29, v37
	;; [unrolled: 1-line block ×4, first 2 shown]
	v_add_co_u32 v36, s15, v36, -1
	s_wait_alu 0xf1ff
	v_cndmask_b32_e64 v184, 0, 1, s15
	v_not_b32_e32 v188, v41
	v_cmp_gt_i32_e64 s15, 0, v41
	v_not_b32_e32 v41, v42
	v_lshlrev_b32_e32 v186, 26, v37
	v_cmp_ne_u32_e32 vcc_lo, 0, v184
	v_ashrrev_i32_e32 v188, 31, v188
	v_lshlrev_b32_e32 v187, 25, v37
	v_ashrrev_i32_e32 v41, 31, v41
	v_lshlrev_b32_e32 v184, 24, v37
	s_wait_alu 0xfffd
	v_xor_b32_e32 v36, vcc_lo, v36
	v_cmp_gt_i32_e32 vcc_lo, 0, v42
	v_not_b32_e32 v42, v43
	s_wait_alu 0xf1ff
	v_xor_b32_e32 v188, s15, v188
	v_cmp_gt_i32_e64 s15, 0, v43
	v_and_b32_e32 v36, exec_lo, v36
	v_not_b32_e32 v43, v185
	v_ashrrev_i32_e32 v42, 31, v42
	s_wait_alu 0xfffd
	v_xor_b32_e32 v41, vcc_lo, v41
	v_cmp_gt_i32_e32 vcc_lo, 0, v185
	v_and_b32_e32 v36, v36, v188
	v_not_b32_e32 v185, v186
	v_ashrrev_i32_e32 v43, 31, v43
	s_wait_alu 0xf1ff
	v_xor_b32_e32 v42, s15, v42
	v_cmp_gt_i32_e64 s15, 0, v186
	v_and_b32_e32 v36, v36, v41
	v_not_b32_e32 v41, v187
	v_ashrrev_i32_e32 v185, 31, v185
	s_wait_alu 0xfffd
	v_xor_b32_e32 v43, vcc_lo, v43
	v_cmp_gt_i32_e32 vcc_lo, 0, v187
	v_and_b32_e32 v36, v36, v42
	v_not_b32_e32 v42, v184
	v_ashrrev_i32_e32 v41, 31, v41
	s_wait_alu 0xf1ff
	v_xor_b32_e32 v185, s15, v185
	v_cmp_gt_i32_e64 s15, 0, v184
	v_and_b32_e32 v36, v36, v43
	v_ashrrev_i32_e32 v42, 31, v42
	s_wait_alu 0xfffd
	v_xor_b32_e32 v41, vcc_lo, v41
	v_mad_u32_u24 v43, v37, 36, v118
	v_mul_u32_u24_e32 v37, 36, v37
	v_and_b32_e32 v36, v36, v185
	s_wait_alu 0xf1ff
	v_xor_b32_e32 v42, s15, v42
	ds_load_b32 v185, v43 offset:1056
	v_add_nc_u32_e32 v187, v118, v37
	v_and_b32_e32 v36, v36, v41
	; wave barrier
	s_delay_alu instid0(VALU_DEP_1) | instskip(NEXT) | instid1(VALU_DEP_1)
	v_and_b32_e32 v36, v36, v42
	v_mbcnt_lo_u32_b32 v186, v36, 0
	v_cmp_ne_u32_e64 s15, 0, v36
	s_delay_alu instid0(VALU_DEP_2)
	v_cmp_eq_u32_e32 vcc_lo, 0, v186
	s_and_b32 s16, s15, vcc_lo
	s_wait_alu 0xfffe
	s_and_saveexec_b32 s15, s16
	s_cbranch_execz .LBB635_750
; %bb.749:                              ;   in Loop: Header=BB635_690 Depth=2
	s_wait_dscnt 0x0
	v_bcnt_u32_b32 v36, v36, v185
	ds_store_b32 v187, v36 offset:1056
.LBB635_750:                            ;   in Loop: Header=BB635_690 Depth=2
	s_wait_alu 0xfffe
	s_or_b32 exec_lo, exec_lo, s15
	v_xor_b32_e32 v184, 0x80000000, v40
	; wave barrier
	s_delay_alu instid0(VALU_DEP_1) | instskip(NEXT) | instid1(VALU_DEP_1)
	v_lshrrev_b32_e32 v36, s49, v184
	v_and_b32_e32 v37, s48, v36
	s_delay_alu instid0(VALU_DEP_1)
	v_and_b32_e32 v36, 1, v37
	v_lshlrev_b32_e32 v40, 30, v37
	v_lshlrev_b32_e32 v41, 29, v37
	;; [unrolled: 1-line block ×4, first 2 shown]
	v_add_co_u32 v36, s15, v36, -1
	s_wait_alu 0xf1ff
	v_cndmask_b32_e64 v43, 0, 1, s15
	v_not_b32_e32 v191, v40
	v_cmp_gt_i32_e64 s15, 0, v40
	v_not_b32_e32 v40, v41
	v_lshlrev_b32_e32 v189, 26, v37
	v_cmp_ne_u32_e32 vcc_lo, 0, v43
	v_ashrrev_i32_e32 v191, 31, v191
	v_lshlrev_b32_e32 v190, 25, v37
	v_ashrrev_i32_e32 v40, 31, v40
	v_lshlrev_b32_e32 v43, 24, v37
	s_wait_alu 0xfffd
	v_xor_b32_e32 v36, vcc_lo, v36
	v_cmp_gt_i32_e32 vcc_lo, 0, v41
	v_not_b32_e32 v41, v42
	s_wait_alu 0xf1ff
	v_xor_b32_e32 v191, s15, v191
	v_cmp_gt_i32_e64 s15, 0, v42
	v_and_b32_e32 v36, exec_lo, v36
	v_not_b32_e32 v42, v188
	v_ashrrev_i32_e32 v41, 31, v41
	s_wait_alu 0xfffd
	v_xor_b32_e32 v40, vcc_lo, v40
	v_cmp_gt_i32_e32 vcc_lo, 0, v188
	v_and_b32_e32 v36, v36, v191
	v_not_b32_e32 v188, v189
	v_ashrrev_i32_e32 v42, 31, v42
	s_wait_alu 0xf1ff
	v_xor_b32_e32 v41, s15, v41
	v_cmp_gt_i32_e64 s15, 0, v189
	v_and_b32_e32 v36, v36, v40
	v_not_b32_e32 v40, v190
	v_ashrrev_i32_e32 v188, 31, v188
	s_wait_alu 0xfffd
	v_xor_b32_e32 v42, vcc_lo, v42
	v_cmp_gt_i32_e32 vcc_lo, 0, v190
	v_and_b32_e32 v36, v36, v41
	v_not_b32_e32 v41, v43
	v_ashrrev_i32_e32 v40, 31, v40
	s_wait_alu 0xf1ff
	v_xor_b32_e32 v188, s15, v188
	v_cmp_gt_i32_e64 s15, 0, v43
	v_and_b32_e32 v36, v36, v42
	v_ashrrev_i32_e32 v41, 31, v41
	s_wait_alu 0xfffd
	v_xor_b32_e32 v40, vcc_lo, v40
	v_mad_u32_u24 v42, v37, 36, v118
	v_mul_u32_u24_e32 v37, 36, v37
	v_and_b32_e32 v36, v36, v188
	s_wait_alu 0xf1ff
	v_xor_b32_e32 v41, s15, v41
	ds_load_b32 v189, v42 offset:1056
	v_add_nc_u32_e32 v191, v118, v37
	v_and_b32_e32 v36, v36, v40
	; wave barrier
	s_delay_alu instid0(VALU_DEP_1) | instskip(NEXT) | instid1(VALU_DEP_1)
	v_and_b32_e32 v36, v36, v41
	v_mbcnt_lo_u32_b32 v190, v36, 0
	v_cmp_ne_u32_e64 s15, 0, v36
	s_delay_alu instid0(VALU_DEP_2)
	v_cmp_eq_u32_e32 vcc_lo, 0, v190
	s_and_b32 s16, s15, vcc_lo
	s_wait_alu 0xfffe
	s_and_saveexec_b32 s15, s16
	s_cbranch_execz .LBB635_752
; %bb.751:                              ;   in Loop: Header=BB635_690 Depth=2
	s_wait_dscnt 0x0
	v_bcnt_u32_b32 v36, v36, v189
	ds_store_b32 v191, v36 offset:1056
.LBB635_752:                            ;   in Loop: Header=BB635_690 Depth=2
	s_wait_alu 0xfffe
	s_or_b32 exec_lo, exec_lo, s15
	v_xor_b32_e32 v188, 0x80000000, v39
	; wave barrier
	s_delay_alu instid0(VALU_DEP_1) | instskip(NEXT) | instid1(VALU_DEP_1)
	v_lshrrev_b32_e32 v36, s49, v188
	v_and_b32_e32 v37, s48, v36
	s_delay_alu instid0(VALU_DEP_1)
	v_and_b32_e32 v36, 1, v37
	v_lshlrev_b32_e32 v39, 30, v37
	v_lshlrev_b32_e32 v40, 29, v37
	;; [unrolled: 1-line block ×4, first 2 shown]
	v_add_co_u32 v36, s15, v36, -1
	s_wait_alu 0xf1ff
	v_cndmask_b32_e64 v42, 0, 1, s15
	v_not_b32_e32 v194, v39
	v_cmp_gt_i32_e64 s15, 0, v39
	v_not_b32_e32 v39, v40
	v_lshlrev_b32_e32 v192, 26, v37
	v_cmp_ne_u32_e32 vcc_lo, 0, v42
	v_ashrrev_i32_e32 v194, 31, v194
	v_lshlrev_b32_e32 v193, 25, v37
	v_ashrrev_i32_e32 v39, 31, v39
	v_lshlrev_b32_e32 v42, 24, v37
	s_wait_alu 0xfffd
	v_xor_b32_e32 v36, vcc_lo, v36
	v_cmp_gt_i32_e32 vcc_lo, 0, v40
	v_not_b32_e32 v40, v41
	s_wait_alu 0xf1ff
	v_xor_b32_e32 v194, s15, v194
	v_cmp_gt_i32_e64 s15, 0, v41
	v_and_b32_e32 v36, exec_lo, v36
	v_not_b32_e32 v41, v43
	v_ashrrev_i32_e32 v40, 31, v40
	s_wait_alu 0xfffd
	v_xor_b32_e32 v39, vcc_lo, v39
	v_cmp_gt_i32_e32 vcc_lo, 0, v43
	v_and_b32_e32 v36, v36, v194
	v_not_b32_e32 v43, v192
	v_ashrrev_i32_e32 v41, 31, v41
	s_wait_alu 0xf1ff
	v_xor_b32_e32 v40, s15, v40
	v_cmp_gt_i32_e64 s15, 0, v192
	v_and_b32_e32 v36, v36, v39
	v_not_b32_e32 v39, v193
	v_ashrrev_i32_e32 v43, 31, v43
	s_wait_alu 0xfffd
	v_xor_b32_e32 v41, vcc_lo, v41
	v_cmp_gt_i32_e32 vcc_lo, 0, v193
	v_and_b32_e32 v36, v36, v40
	v_not_b32_e32 v40, v42
	v_ashrrev_i32_e32 v39, 31, v39
	s_wait_alu 0xf1ff
	v_xor_b32_e32 v43, s15, v43
	v_cmp_gt_i32_e64 s15, 0, v42
	v_and_b32_e32 v36, v36, v41
	v_ashrrev_i32_e32 v40, 31, v40
	s_wait_alu 0xfffd
	v_xor_b32_e32 v39, vcc_lo, v39
	v_mad_u32_u24 v41, v37, 36, v118
	v_mul_u32_u24_e32 v37, 36, v37
	v_and_b32_e32 v36, v36, v43
	s_wait_alu 0xf1ff
	v_xor_b32_e32 v40, s15, v40
	ds_load_b32 v193, v41 offset:1056
	v_add_nc_u32_e32 v195, v118, v37
	v_and_b32_e32 v36, v36, v39
	; wave barrier
	s_delay_alu instid0(VALU_DEP_1) | instskip(NEXT) | instid1(VALU_DEP_1)
	v_and_b32_e32 v36, v36, v40
	v_mbcnt_lo_u32_b32 v194, v36, 0
	v_cmp_ne_u32_e64 s15, 0, v36
	s_delay_alu instid0(VALU_DEP_2)
	v_cmp_eq_u32_e32 vcc_lo, 0, v194
	s_and_b32 s16, s15, vcc_lo
	s_wait_alu 0xfffe
	s_and_saveexec_b32 s15, s16
	s_cbranch_execz .LBB635_754
; %bb.753:                              ;   in Loop: Header=BB635_690 Depth=2
	s_wait_dscnt 0x0
	v_bcnt_u32_b32 v36, v36, v193
	ds_store_b32 v195, v36 offset:1056
.LBB635_754:                            ;   in Loop: Header=BB635_690 Depth=2
	s_wait_alu 0xfffe
	s_or_b32 exec_lo, exec_lo, s15
	v_xor_b32_e32 v192, 0x80000000, v38
	; wave barrier
	s_delay_alu instid0(VALU_DEP_1) | instskip(NEXT) | instid1(VALU_DEP_1)
	v_lshrrev_b32_e32 v36, s49, v192
	v_and_b32_e32 v37, s48, v36
	s_delay_alu instid0(VALU_DEP_1)
	v_and_b32_e32 v36, 1, v37
	v_lshlrev_b32_e32 v38, 30, v37
	v_lshlrev_b32_e32 v39, 29, v37
	;; [unrolled: 1-line block ×4, first 2 shown]
	v_add_co_u32 v36, s15, v36, -1
	s_wait_alu 0xf1ff
	v_cndmask_b32_e64 v41, 0, 1, s15
	v_not_b32_e32 v197, v38
	v_cmp_gt_i32_e64 s15, 0, v38
	v_not_b32_e32 v38, v39
	v_lshlrev_b32_e32 v43, 26, v37
	v_cmp_ne_u32_e32 vcc_lo, 0, v41
	v_ashrrev_i32_e32 v197, 31, v197
	v_lshlrev_b32_e32 v196, 25, v37
	v_ashrrev_i32_e32 v38, 31, v38
	v_lshlrev_b32_e32 v41, 24, v37
	s_wait_alu 0xfffd
	v_xor_b32_e32 v36, vcc_lo, v36
	v_cmp_gt_i32_e32 vcc_lo, 0, v39
	v_not_b32_e32 v39, v40
	s_wait_alu 0xf1ff
	v_xor_b32_e32 v197, s15, v197
	v_cmp_gt_i32_e64 s15, 0, v40
	v_and_b32_e32 v36, exec_lo, v36
	v_not_b32_e32 v40, v42
	v_ashrrev_i32_e32 v39, 31, v39
	s_wait_alu 0xfffd
	v_xor_b32_e32 v38, vcc_lo, v38
	v_cmp_gt_i32_e32 vcc_lo, 0, v42
	v_and_b32_e32 v36, v36, v197
	v_not_b32_e32 v42, v43
	v_ashrrev_i32_e32 v40, 31, v40
	s_wait_alu 0xf1ff
	v_xor_b32_e32 v39, s15, v39
	v_cmp_gt_i32_e64 s15, 0, v43
	v_and_b32_e32 v36, v36, v38
	v_not_b32_e32 v38, v196
	v_ashrrev_i32_e32 v42, 31, v42
	s_wait_alu 0xfffd
	v_xor_b32_e32 v40, vcc_lo, v40
	v_cmp_gt_i32_e32 vcc_lo, 0, v196
	v_and_b32_e32 v36, v36, v39
	v_not_b32_e32 v39, v41
	v_ashrrev_i32_e32 v38, 31, v38
	s_wait_alu 0xf1ff
	v_xor_b32_e32 v42, s15, v42
	v_cmp_gt_i32_e64 s15, 0, v41
	v_and_b32_e32 v36, v36, v40
	v_ashrrev_i32_e32 v39, 31, v39
	s_wait_alu 0xfffd
	v_xor_b32_e32 v38, vcc_lo, v38
	v_mad_u32_u24 v40, v37, 36, v118
	v_mul_u32_u24_e32 v37, 36, v37
	v_and_b32_e32 v36, v36, v42
	s_wait_alu 0xf1ff
	v_xor_b32_e32 v39, s15, v39
	ds_load_b32 v196, v40 offset:1056
	v_add_nc_u32_e32 v198, v118, v37
	v_and_b32_e32 v36, v36, v38
	; wave barrier
	s_delay_alu instid0(VALU_DEP_1) | instskip(NEXT) | instid1(VALU_DEP_1)
	v_and_b32_e32 v36, v36, v39
	v_mbcnt_lo_u32_b32 v197, v36, 0
	v_cmp_ne_u32_e64 s15, 0, v36
	s_delay_alu instid0(VALU_DEP_2)
	v_cmp_eq_u32_e32 vcc_lo, 0, v197
	s_and_b32 s16, s15, vcc_lo
	s_wait_alu 0xfffe
	s_and_saveexec_b32 s15, s16
	s_cbranch_execz .LBB635_756
; %bb.755:                              ;   in Loop: Header=BB635_690 Depth=2
	s_wait_dscnt 0x0
	v_bcnt_u32_b32 v36, v36, v196
	ds_store_b32 v198, v36 offset:1056
.LBB635_756:                            ;   in Loop: Header=BB635_690 Depth=2
	s_wait_alu 0xfffe
	s_or_b32 exec_lo, exec_lo, s15
	v_lshrrev_b32_e32 v36, s49, v2
	; wave barrier
	s_delay_alu instid0(VALU_DEP_1) | instskip(NEXT) | instid1(VALU_DEP_1)
	v_and_b32_e32 v37, s48, v36
	v_and_b32_e32 v36, 1, v37
	v_lshlrev_b32_e32 v38, 30, v37
	v_lshlrev_b32_e32 v39, 29, v37
	;; [unrolled: 1-line block ×4, first 2 shown]
	v_add_co_u32 v36, s15, v36, -1
	s_wait_alu 0xf1ff
	v_cndmask_b32_e64 v41, 0, 1, s15
	v_not_b32_e32 v200, v38
	v_cmp_gt_i32_e64 s15, 0, v38
	v_not_b32_e32 v38, v39
	v_lshlrev_b32_e32 v43, 26, v37
	v_cmp_ne_u32_e32 vcc_lo, 0, v41
	v_ashrrev_i32_e32 v200, 31, v200
	v_lshlrev_b32_e32 v199, 25, v37
	v_ashrrev_i32_e32 v38, 31, v38
	v_lshlrev_b32_e32 v41, 24, v37
	s_wait_alu 0xfffd
	v_xor_b32_e32 v36, vcc_lo, v36
	v_cmp_gt_i32_e32 vcc_lo, 0, v39
	v_not_b32_e32 v39, v40
	s_wait_alu 0xf1ff
	v_xor_b32_e32 v200, s15, v200
	v_cmp_gt_i32_e64 s15, 0, v40
	v_and_b32_e32 v36, exec_lo, v36
	v_not_b32_e32 v40, v42
	v_ashrrev_i32_e32 v39, 31, v39
	s_wait_alu 0xfffd
	v_xor_b32_e32 v38, vcc_lo, v38
	v_cmp_gt_i32_e32 vcc_lo, 0, v42
	v_and_b32_e32 v36, v36, v200
	v_not_b32_e32 v42, v43
	v_ashrrev_i32_e32 v40, 31, v40
	s_wait_alu 0xf1ff
	v_xor_b32_e32 v39, s15, v39
	v_cmp_gt_i32_e64 s15, 0, v43
	v_and_b32_e32 v36, v36, v38
	v_not_b32_e32 v38, v199
	v_ashrrev_i32_e32 v42, 31, v42
	s_wait_alu 0xfffd
	v_xor_b32_e32 v40, vcc_lo, v40
	v_cmp_gt_i32_e32 vcc_lo, 0, v199
	v_and_b32_e32 v36, v36, v39
	v_not_b32_e32 v39, v41
	v_ashrrev_i32_e32 v38, 31, v38
	s_wait_alu 0xf1ff
	v_xor_b32_e32 v42, s15, v42
	v_cmp_gt_i32_e64 s15, 0, v41
	v_and_b32_e32 v36, v36, v40
	v_ashrrev_i32_e32 v39, 31, v39
	s_wait_alu 0xfffd
	v_xor_b32_e32 v38, vcc_lo, v38
	v_mad_u32_u24 v40, v37, 36, v118
	v_mul_u32_u24_e32 v37, 36, v37
	v_and_b32_e32 v36, v36, v42
	s_wait_alu 0xf1ff
	v_xor_b32_e32 v39, s15, v39
	ds_load_b32 v199, v40 offset:1056
	v_add_nc_u32_e32 v201, v118, v37
	v_and_b32_e32 v36, v36, v38
	; wave barrier
	s_delay_alu instid0(VALU_DEP_1) | instskip(NEXT) | instid1(VALU_DEP_1)
	v_and_b32_e32 v36, v36, v39
	v_mbcnt_lo_u32_b32 v200, v36, 0
	v_cmp_ne_u32_e64 s15, 0, v36
	s_delay_alu instid0(VALU_DEP_2)
	v_cmp_eq_u32_e32 vcc_lo, 0, v200
	s_and_b32 s16, s15, vcc_lo
	s_wait_alu 0xfffe
	s_and_saveexec_b32 s15, s16
	s_cbranch_execz .LBB635_758
; %bb.757:                              ;   in Loop: Header=BB635_690 Depth=2
	s_wait_dscnt 0x0
	v_bcnt_u32_b32 v36, v36, v199
	ds_store_b32 v201, v36 offset:1056
.LBB635_758:                            ;   in Loop: Header=BB635_690 Depth=2
	s_wait_alu 0xfffe
	s_or_b32 exec_lo, exec_lo, s15
	; wave barrier
	s_wait_loadcnt_dscnt 0x0
	s_barrier_signal -1
	s_barrier_wait -1
	global_inv scope:SCOPE_SE
	ds_load_2addr_b32 v[42:43], v140 offset1:1
	ds_load_2addr_b32 v[40:41], v141 offset1:1
	;; [unrolled: 1-line block ×4, first 2 shown]
	ds_load_b32 v202, v67 offset:1088
	s_wait_dscnt 0x3
	v_add3_u32 v203, v43, v42, v40
	s_wait_dscnt 0x2
	s_delay_alu instid0(VALU_DEP_1) | instskip(SKIP_1) | instid1(VALU_DEP_1)
	v_add3_u32 v203, v203, v41, v38
	s_wait_dscnt 0x1
	v_add3_u32 v203, v203, v39, v36
	s_wait_dscnt 0x0
	s_delay_alu instid0(VALU_DEP_1) | instskip(NEXT) | instid1(VALU_DEP_1)
	v_add3_u32 v202, v203, v37, v202
	v_mov_b32_dpp v203, v202 row_shr:1 row_mask:0xf bank_mask:0xf
	s_delay_alu instid0(VALU_DEP_1) | instskip(NEXT) | instid1(VALU_DEP_1)
	v_cndmask_b32_e64 v203, v203, 0, s0
	v_add_nc_u32_e32 v202, v203, v202
	s_delay_alu instid0(VALU_DEP_1) | instskip(NEXT) | instid1(VALU_DEP_1)
	v_mov_b32_dpp v203, v202 row_shr:2 row_mask:0xf bank_mask:0xf
	v_cndmask_b32_e64 v203, 0, v203, s1
	s_delay_alu instid0(VALU_DEP_1) | instskip(NEXT) | instid1(VALU_DEP_1)
	v_add_nc_u32_e32 v202, v202, v203
	v_mov_b32_dpp v203, v202 row_shr:4 row_mask:0xf bank_mask:0xf
	s_delay_alu instid0(VALU_DEP_1) | instskip(NEXT) | instid1(VALU_DEP_1)
	v_cndmask_b32_e64 v203, 0, v203, s9
	v_add_nc_u32_e32 v202, v202, v203
	s_delay_alu instid0(VALU_DEP_1) | instskip(NEXT) | instid1(VALU_DEP_1)
	v_mov_b32_dpp v203, v202 row_shr:8 row_mask:0xf bank_mask:0xf
	v_cndmask_b32_e64 v203, 0, v203, s10
	s_delay_alu instid0(VALU_DEP_1) | instskip(SKIP_3) | instid1(VALU_DEP_1)
	v_add_nc_u32_e32 v202, v202, v203
	ds_swizzle_b32 v203, v202 offset:swizzle(BROADCAST,32,15)
	s_wait_dscnt 0x0
	v_cndmask_b32_e64 v203, v203, 0, s11
	v_add_nc_u32_e32 v202, v202, v203
	s_and_saveexec_b32 s15, s3
; %bb.759:                              ;   in Loop: Header=BB635_690 Depth=2
	ds_store_b32 v63, v202 offset:1024
; %bb.760:                              ;   in Loop: Header=BB635_690 Depth=2
	s_wait_alu 0xfffe
	s_or_b32 exec_lo, exec_lo, s15
	s_wait_loadcnt_dscnt 0x0
	s_barrier_signal -1
	s_barrier_wait -1
	global_inv scope:SCOPE_SE
	s_and_saveexec_b32 s15, s4
	s_cbranch_execz .LBB635_762
; %bb.761:                              ;   in Loop: Header=BB635_690 Depth=2
	ds_load_b32 v203, v70 offset:1024
	s_wait_dscnt 0x0
	v_mov_b32_dpp v204, v203 row_shr:1 row_mask:0xf bank_mask:0xf
	s_delay_alu instid0(VALU_DEP_1) | instskip(NEXT) | instid1(VALU_DEP_1)
	v_cndmask_b32_e64 v204, v204, 0, s12
	v_add_nc_u32_e32 v203, v204, v203
	s_delay_alu instid0(VALU_DEP_1) | instskip(NEXT) | instid1(VALU_DEP_1)
	v_mov_b32_dpp v204, v203 row_shr:2 row_mask:0xf bank_mask:0xf
	v_cndmask_b32_e64 v204, 0, v204, s13
	s_delay_alu instid0(VALU_DEP_1) | instskip(NEXT) | instid1(VALU_DEP_1)
	v_add_nc_u32_e32 v203, v203, v204
	v_mov_b32_dpp v204, v203 row_shr:4 row_mask:0xf bank_mask:0xf
	s_delay_alu instid0(VALU_DEP_1) | instskip(NEXT) | instid1(VALU_DEP_1)
	v_cndmask_b32_e64 v204, 0, v204, s14
	v_add_nc_u32_e32 v203, v203, v204
	ds_store_b32 v70, v203 offset:1024
.LBB635_762:                            ;   in Loop: Header=BB635_690 Depth=2
	s_wait_alu 0xfffe
	s_or_b32 exec_lo, exec_lo, s15
	v_mov_b32_e32 v203, 0
	s_wait_loadcnt_dscnt 0x0
	s_barrier_signal -1
	s_barrier_wait -1
	global_inv scope:SCOPE_SE
	s_and_saveexec_b32 s15, s5
; %bb.763:                              ;   in Loop: Header=BB635_690 Depth=2
	ds_load_b32 v203, v63 offset:1020
; %bb.764:                              ;   in Loop: Header=BB635_690 Depth=2
	s_wait_alu 0xfffe
	s_or_b32 exec_lo, exec_lo, s15
	s_wait_dscnt 0x0
	v_add_nc_u32_e32 v202, v203, v202
	ds_bpermute_b32 v202, v113, v202
	s_wait_dscnt 0x0
	v_cndmask_b32_e64 v202, v202, v203, s8
	s_delay_alu instid0(VALU_DEP_1) | instskip(NEXT) | instid1(VALU_DEP_1)
	v_cndmask_b32_e64 v202, v202, 0, s6
	v_add_nc_u32_e32 v42, v202, v42
	s_delay_alu instid0(VALU_DEP_1) | instskip(NEXT) | instid1(VALU_DEP_1)
	v_add_nc_u32_e32 v43, v42, v43
	v_add_nc_u32_e32 v40, v43, v40
	s_delay_alu instid0(VALU_DEP_1) | instskip(NEXT) | instid1(VALU_DEP_1)
	v_add_nc_u32_e32 v41, v40, v41
	;; [unrolled: 3-line block ×3, first 2 shown]
	v_add_nc_u32_e32 v36, v39, v36
	s_delay_alu instid0(VALU_DEP_1)
	v_add_nc_u32_e32 v37, v36, v37
	ds_store_2addr_b32 v139, v39, v36 offset1:1
	ds_store_2addr_b32 v140, v202, v42 offset1:1
	;; [unrolled: 1-line block ×4, first 2 shown]
	ds_store_b32 v67, v37 offset:1088
	s_wait_loadcnt_dscnt 0x0
	s_barrier_signal -1
	s_barrier_wait -1
	global_inv scope:SCOPE_SE
	ds_load_b32 v39, v143 offset:1056
	ds_load_b32 v41, v147 offset:1056
	;; [unrolled: 1-line block ×17, first 2 shown]
	v_mov_b32_e32 v38, 0x1000
	s_and_saveexec_b32 s15, s7
; %bb.765:                              ;   in Loop: Header=BB635_690 Depth=2
	ds_load_b32 v38, v67 offset:1092
; %bb.766:                              ;   in Loop: Header=BB635_690 Depth=2
	s_wait_alu 0xfffe
	s_or_b32 exec_lo, exec_lo, s15
	s_wait_loadcnt_dscnt 0x0
	s_barrier_signal -1
	s_barrier_wait -1
	global_inv scope:SCOPE_SE
	s_and_saveexec_b32 s15, s2
	s_cbranch_execz .LBB635_768
; %bb.767:                              ;   in Loop: Header=BB635_690 Depth=2
	ds_load_b32 v143, v44
	s_wait_dscnt 0x0
	v_sub_nc_u32_e32 v142, v143, v142
	ds_store_b32 v44, v142
.LBB635_768:                            ;   in Loop: Header=BB635_690 Depth=2
	s_wait_alu 0xfffe
	s_or_b32 exec_lo, exec_lo, s15
	v_add_nc_u32_e32 v155, v39, v138
	v_add3_u32 v151, v146, v145, v41
	v_add3_u32 v147, v150, v149, v42
	;; [unrolled: 1-line block ×4, first 2 shown]
	v_lshlrev_b32_e32 v149, 2, v155
	v_add3_u32 v143, v162, v161, v140
	v_add3_u32 v142, v166, v165, v141
	;; [unrolled: 1-line block ×3, first 2 shown]
	v_lshlrev_b32_e32 v36, 2, v151
	v_add3_u32 v141, v170, v169, v163
	v_add3_u32 v42, v194, v193, v37
	v_lshlrev_b32_e32 v37, 2, v147
	v_add3_u32 v140, v174, v173, v168
	ds_store_b32 v149, v136 offset:1024
	v_lshlrev_b32_e32 v136, 2, v146
	v_add3_u32 v139, v178, v177, v171
	v_lshlrev_b32_e32 v149, 2, v145
	v_add3_u32 v138, v182, v181, v175
	;; [unrolled: 2-line block ×3, first 2 shown]
	ds_store_b32 v36, v137 offset:1024
	ds_store_b32 v37, v144 offset:1024
	ds_store_b32 v136, v148 offset:1024
	ds_store_b32 v149, v152 offset:1024
	ds_store_b32 v150, v156 offset:1024
	v_lshlrev_b32_e32 v36, 2, v142
	v_lshlrev_b32_e32 v37, 2, v141
	v_lshlrev_b32_e32 v136, 2, v140
	v_add3_u32 v41, v197, v196, v40
	v_lshlrev_b32_e32 v137, 2, v139
	v_add3_u32 v40, v200, v199, v159
	v_lshlrev_b32_e32 v144, 2, v138
	ds_store_b32 v36, v160 offset:1024
	ds_store_b32 v37, v164 offset:1024
	;; [unrolled: 1-line block ×5, first 2 shown]
	v_lshlrev_b32_e32 v36, 2, v39
	v_cmp_lt_u32_e32 vcc_lo, v1, v135
	v_lshlrev_b32_e32 v37, 2, v43
	v_lshlrev_b32_e32 v136, 2, v42
	;; [unrolled: 1-line block ×4, first 2 shown]
	ds_store_b32 v36, v180 offset:1024
	ds_store_b32 v37, v184 offset:1024
	;; [unrolled: 1-line block ×5, first 2 shown]
	s_wait_loadcnt_dscnt 0x0
	s_barrier_signal -1
	s_barrier_wait -1
	global_inv scope:SCOPE_SE
	s_and_saveexec_b32 s16, vcc_lo
	s_cbranch_execnz .LBB635_837
; %bb.769:                              ;   in Loop: Header=BB635_690 Depth=2
	s_wait_alu 0xfffe
	s_or_b32 exec_lo, exec_lo, s16
	v_cmp_lt_u32_e64 s15, v45, v135
	s_and_saveexec_b32 s17, s15
	s_cbranch_execnz .LBB635_838
.LBB635_770:                            ;   in Loop: Header=BB635_690 Depth=2
	s_wait_alu 0xfffe
	s_or_b32 exec_lo, exec_lo, s17
	v_cmp_lt_u32_e64 s16, v46, v135
	s_and_saveexec_b32 s18, s16
	s_cbranch_execnz .LBB635_839
.LBB635_771:                            ;   in Loop: Header=BB635_690 Depth=2
	s_wait_alu 0xfffe
	s_or_b32 exec_lo, exec_lo, s18
	v_cmp_lt_u32_e64 s17, v47, v135
	s_and_saveexec_b32 s19, s17
	s_cbranch_execnz .LBB635_840
.LBB635_772:                            ;   in Loop: Header=BB635_690 Depth=2
	s_wait_alu 0xfffe
	s_or_b32 exec_lo, exec_lo, s19
	v_cmp_lt_u32_e64 s18, v50, v135
	s_and_saveexec_b32 s20, s18
	s_cbranch_execnz .LBB635_841
.LBB635_773:                            ;   in Loop: Header=BB635_690 Depth=2
	s_wait_alu 0xfffe
	s_or_b32 exec_lo, exec_lo, s20
	v_cmp_lt_u32_e64 s19, v51, v135
	s_and_saveexec_b32 s21, s19
	s_cbranch_execnz .LBB635_842
.LBB635_774:                            ;   in Loop: Header=BB635_690 Depth=2
	s_wait_alu 0xfffe
	s_or_b32 exec_lo, exec_lo, s21
	v_cmp_lt_u32_e64 s20, v52, v135
	s_and_saveexec_b32 s22, s20
	s_cbranch_execnz .LBB635_843
.LBB635_775:                            ;   in Loop: Header=BB635_690 Depth=2
	s_wait_alu 0xfffe
	s_or_b32 exec_lo, exec_lo, s22
	v_cmp_lt_u32_e64 s21, v53, v135
	s_and_saveexec_b32 s23, s21
	s_cbranch_execnz .LBB635_844
.LBB635_776:                            ;   in Loop: Header=BB635_690 Depth=2
	s_wait_alu 0xfffe
	s_or_b32 exec_lo, exec_lo, s23
	v_cmp_lt_u32_e64 s22, v54, v135
	s_and_saveexec_b32 s24, s22
	s_cbranch_execnz .LBB635_845
.LBB635_777:                            ;   in Loop: Header=BB635_690 Depth=2
	s_wait_alu 0xfffe
	s_or_b32 exec_lo, exec_lo, s24
	v_cmp_lt_u32_e64 s23, v55, v135
	s_and_saveexec_b32 s25, s23
	s_cbranch_execnz .LBB635_846
.LBB635_778:                            ;   in Loop: Header=BB635_690 Depth=2
	s_wait_alu 0xfffe
	s_or_b32 exec_lo, exec_lo, s25
	v_cmp_lt_u32_e64 s24, v56, v135
	s_and_saveexec_b32 s26, s24
	s_cbranch_execnz .LBB635_847
.LBB635_779:                            ;   in Loop: Header=BB635_690 Depth=2
	s_wait_alu 0xfffe
	s_or_b32 exec_lo, exec_lo, s26
	v_cmp_lt_u32_e64 s25, v57, v135
	s_and_saveexec_b32 s27, s25
	s_cbranch_execnz .LBB635_848
.LBB635_780:                            ;   in Loop: Header=BB635_690 Depth=2
	s_wait_alu 0xfffe
	s_or_b32 exec_lo, exec_lo, s27
	v_cmp_lt_u32_e64 s26, v58, v135
	s_and_saveexec_b32 s28, s26
	s_cbranch_execnz .LBB635_849
.LBB635_781:                            ;   in Loop: Header=BB635_690 Depth=2
	s_wait_alu 0xfffe
	s_or_b32 exec_lo, exec_lo, s28
	v_cmp_lt_u32_e64 s27, v59, v135
	s_and_saveexec_b32 s29, s27
	s_cbranch_execnz .LBB635_850
.LBB635_782:                            ;   in Loop: Header=BB635_690 Depth=2
	s_wait_alu 0xfffe
	s_or_b32 exec_lo, exec_lo, s29
	v_cmp_lt_u32_e64 s28, v60, v135
	s_and_saveexec_b32 s30, s28
	s_cbranch_execnz .LBB635_851
.LBB635_783:                            ;   in Loop: Header=BB635_690 Depth=2
	s_wait_alu 0xfffe
	s_or_b32 exec_lo, exec_lo, s30
	v_cmp_lt_u32_e64 s29, v61, v135
	s_and_saveexec_b32 s56, s29
	s_cbranch_execz .LBB635_785
.LBB635_784:                            ;   in Loop: Header=BB635_690 Depth=2
	ds_load_b32 v136, v70 offset:16384
	s_wait_dscnt 0x0
	v_lshrrev_b32_e32 v2, s49, v136
	s_delay_alu instid0(VALU_DEP_1) | instskip(NEXT) | instid1(VALU_DEP_1)
	v_and_b32_e32 v2, s48, v2
	v_lshlrev_b32_e32 v2, 2, v2
	ds_load_b32 v2, v2
	s_wait_dscnt 0x0
	v_add_nc_u32_e32 v2, v2, v61
	s_delay_alu instid0(VALU_DEP_1) | instskip(SKIP_1) | instid1(VALU_DEP_2)
	v_lshlrev_b64_e32 v[36:37], 2, v[2:3]
	v_xor_b32_e32 v2, 0x80000000, v136
	v_add_co_u32 v36, s30, s38, v36
	s_wait_alu 0xf1ff
	s_delay_alu instid0(VALU_DEP_3)
	v_add_co_ci_u32_e64 v37, null, s39, v37, s30
	global_store_b32 v[36:37], v2, off
.LBB635_785:                            ;   in Loop: Header=BB635_690 Depth=2
	s_wait_alu 0xfffe
	s_or_b32 exec_lo, exec_lo, s56
	s_lshl_b64 s[56:57], s[42:43], 3
	s_wait_alu 0xfffe
	v_add_co_u32 v36, s30, v114, s56
	s_wait_alu 0xf1ff
	v_add_co_ci_u32_e64 v37, null, s57, v115, s30
	v_cmp_lt_u32_e64 s30, v88, v135
	s_and_saveexec_b32 s42, s30
	s_wait_alu 0xfffe
	s_xor_b32 s30, exec_lo, s42
	s_cbranch_execnz .LBB635_852
; %bb.786:                              ;   in Loop: Header=BB635_690 Depth=2
	s_wait_alu 0xfffe
	s_or_b32 exec_lo, exec_lo, s30
	s_delay_alu instid0(SALU_CYCLE_1)
	s_mov_b32 s42, exec_lo
	v_cmpx_lt_u32_e64 v92, v135
	s_cbranch_execnz .LBB635_853
.LBB635_787:                            ;   in Loop: Header=BB635_690 Depth=2
	s_wait_alu 0xfffe
	s_or_b32 exec_lo, exec_lo, s42
	s_delay_alu instid0(SALU_CYCLE_1)
	s_mov_b32 s42, exec_lo
	v_cmpx_lt_u32_e64 v93, v135
	s_cbranch_execnz .LBB635_854
.LBB635_788:                            ;   in Loop: Header=BB635_690 Depth=2
	s_wait_alu 0xfffe
	s_or_b32 exec_lo, exec_lo, s42
	s_delay_alu instid0(SALU_CYCLE_1)
	s_mov_b32 s42, exec_lo
	v_cmpx_lt_u32_e64 v94, v135
	s_cbranch_execnz .LBB635_855
.LBB635_789:                            ;   in Loop: Header=BB635_690 Depth=2
	s_wait_alu 0xfffe
	s_or_b32 exec_lo, exec_lo, s42
	s_delay_alu instid0(SALU_CYCLE_1)
	s_mov_b32 s42, exec_lo
	v_cmpx_lt_u32_e64 v95, v135
	s_cbranch_execnz .LBB635_856
.LBB635_790:                            ;   in Loop: Header=BB635_690 Depth=2
	s_wait_alu 0xfffe
	s_or_b32 exec_lo, exec_lo, s42
	s_delay_alu instid0(SALU_CYCLE_1)
	s_mov_b32 s42, exec_lo
	v_cmpx_lt_u32_e64 v96, v135
	s_cbranch_execnz .LBB635_857
.LBB635_791:                            ;   in Loop: Header=BB635_690 Depth=2
	s_wait_alu 0xfffe
	s_or_b32 exec_lo, exec_lo, s42
	s_delay_alu instid0(SALU_CYCLE_1)
	s_mov_b32 s42, exec_lo
	v_cmpx_lt_u32_e64 v97, v135
	s_cbranch_execnz .LBB635_858
.LBB635_792:                            ;   in Loop: Header=BB635_690 Depth=2
	s_wait_alu 0xfffe
	s_or_b32 exec_lo, exec_lo, s42
	s_delay_alu instid0(SALU_CYCLE_1)
	s_mov_b32 s42, exec_lo
	v_cmpx_lt_u32_e64 v98, v135
	s_cbranch_execnz .LBB635_859
.LBB635_793:                            ;   in Loop: Header=BB635_690 Depth=2
	s_wait_alu 0xfffe
	s_or_b32 exec_lo, exec_lo, s42
	s_delay_alu instid0(SALU_CYCLE_1)
	s_mov_b32 s42, exec_lo
	v_cmpx_lt_u32_e64 v99, v135
	s_cbranch_execnz .LBB635_860
.LBB635_794:                            ;   in Loop: Header=BB635_690 Depth=2
	s_wait_alu 0xfffe
	s_or_b32 exec_lo, exec_lo, s42
	s_delay_alu instid0(SALU_CYCLE_1)
	s_mov_b32 s42, exec_lo
	v_cmpx_lt_u32_e64 v100, v135
	s_cbranch_execnz .LBB635_861
.LBB635_795:                            ;   in Loop: Header=BB635_690 Depth=2
	s_wait_alu 0xfffe
	s_or_b32 exec_lo, exec_lo, s42
	s_delay_alu instid0(SALU_CYCLE_1)
	s_mov_b32 s42, exec_lo
	v_cmpx_lt_u32_e64 v101, v135
	s_cbranch_execnz .LBB635_862
.LBB635_796:                            ;   in Loop: Header=BB635_690 Depth=2
	s_wait_alu 0xfffe
	s_or_b32 exec_lo, exec_lo, s42
	s_delay_alu instid0(SALU_CYCLE_1)
	s_mov_b32 s42, exec_lo
	v_cmpx_lt_u32_e64 v102, v135
	s_cbranch_execnz .LBB635_863
.LBB635_797:                            ;   in Loop: Header=BB635_690 Depth=2
	s_wait_alu 0xfffe
	s_or_b32 exec_lo, exec_lo, s42
	s_delay_alu instid0(SALU_CYCLE_1)
	s_mov_b32 s42, exec_lo
	v_cmpx_lt_u32_e64 v103, v135
	s_cbranch_execnz .LBB635_864
.LBB635_798:                            ;   in Loop: Header=BB635_690 Depth=2
	s_wait_alu 0xfffe
	s_or_b32 exec_lo, exec_lo, s42
	s_delay_alu instid0(SALU_CYCLE_1)
	s_mov_b32 s42, exec_lo
	v_cmpx_lt_u32_e64 v104, v135
	s_cbranch_execnz .LBB635_865
.LBB635_799:                            ;   in Loop: Header=BB635_690 Depth=2
	s_wait_alu 0xfffe
	s_or_b32 exec_lo, exec_lo, s42
	s_delay_alu instid0(SALU_CYCLE_1)
	s_mov_b32 s42, exec_lo
	v_cmpx_lt_u32_e64 v105, v135
	s_cbranch_execnz .LBB635_866
.LBB635_800:                            ;   in Loop: Header=BB635_690 Depth=2
	s_wait_alu 0xfffe
	s_or_b32 exec_lo, exec_lo, s42
	s_delay_alu instid0(SALU_CYCLE_1)
	s_mov_b32 s42, exec_lo
	v_cmpx_lt_u32_e64 v106, v135
	s_cbranch_execnz .LBB635_867
.LBB635_801:                            ;   in Loop: Header=BB635_690 Depth=2
	s_wait_alu 0xfffe
	s_or_b32 exec_lo, exec_lo, s42
	s_and_saveexec_b32 s30, vcc_lo
	s_cbranch_execnz .LBB635_868
.LBB635_802:                            ;   in Loop: Header=BB635_690 Depth=2
	s_wait_alu 0xfffe
	s_or_b32 exec_lo, exec_lo, s30
	s_and_saveexec_b32 s30, s15
	s_cbranch_execnz .LBB635_869
.LBB635_803:                            ;   in Loop: Header=BB635_690 Depth=2
	s_wait_alu 0xfffe
	s_or_b32 exec_lo, exec_lo, s30
	s_and_saveexec_b32 s30, s16
	s_cbranch_execnz .LBB635_870
.LBB635_804:                            ;   in Loop: Header=BB635_690 Depth=2
	s_wait_alu 0xfffe
	s_or_b32 exec_lo, exec_lo, s30
	s_and_saveexec_b32 s30, s17
	s_cbranch_execnz .LBB635_871
.LBB635_805:                            ;   in Loop: Header=BB635_690 Depth=2
	s_wait_alu 0xfffe
	s_or_b32 exec_lo, exec_lo, s30
	s_and_saveexec_b32 s30, s18
	s_cbranch_execnz .LBB635_872
.LBB635_806:                            ;   in Loop: Header=BB635_690 Depth=2
	s_wait_alu 0xfffe
	s_or_b32 exec_lo, exec_lo, s30
	s_and_saveexec_b32 s30, s19
	s_cbranch_execnz .LBB635_873
.LBB635_807:                            ;   in Loop: Header=BB635_690 Depth=2
	s_wait_alu 0xfffe
	s_or_b32 exec_lo, exec_lo, s30
	s_and_saveexec_b32 s30, s20
	s_cbranch_execnz .LBB635_874
.LBB635_808:                            ;   in Loop: Header=BB635_690 Depth=2
	s_wait_alu 0xfffe
	s_or_b32 exec_lo, exec_lo, s30
	s_and_saveexec_b32 s30, s21
	s_cbranch_execnz .LBB635_875
.LBB635_809:                            ;   in Loop: Header=BB635_690 Depth=2
	s_wait_alu 0xfffe
	s_or_b32 exec_lo, exec_lo, s30
	s_and_saveexec_b32 s30, s22
	s_cbranch_execnz .LBB635_876
.LBB635_810:                            ;   in Loop: Header=BB635_690 Depth=2
	s_wait_alu 0xfffe
	s_or_b32 exec_lo, exec_lo, s30
	s_and_saveexec_b32 s30, s23
	s_cbranch_execnz .LBB635_877
.LBB635_811:                            ;   in Loop: Header=BB635_690 Depth=2
	s_wait_alu 0xfffe
	s_or_b32 exec_lo, exec_lo, s30
	s_and_saveexec_b32 s30, s24
	s_cbranch_execnz .LBB635_878
.LBB635_812:                            ;   in Loop: Header=BB635_690 Depth=2
	s_wait_alu 0xfffe
	s_or_b32 exec_lo, exec_lo, s30
	s_and_saveexec_b32 s30, s25
	s_cbranch_execnz .LBB635_879
.LBB635_813:                            ;   in Loop: Header=BB635_690 Depth=2
	s_wait_alu 0xfffe
	s_or_b32 exec_lo, exec_lo, s30
	s_and_saveexec_b32 s30, s26
	s_cbranch_execnz .LBB635_880
.LBB635_814:                            ;   in Loop: Header=BB635_690 Depth=2
	s_wait_alu 0xfffe
	s_or_b32 exec_lo, exec_lo, s30
	s_and_saveexec_b32 s30, s27
	s_cbranch_execnz .LBB635_881
.LBB635_815:                            ;   in Loop: Header=BB635_690 Depth=2
	s_wait_alu 0xfffe
	s_or_b32 exec_lo, exec_lo, s30
	s_and_saveexec_b32 s30, s28
	s_cbranch_execnz .LBB635_882
.LBB635_816:                            ;   in Loop: Header=BB635_690 Depth=2
	s_wait_alu 0xfffe
	s_or_b32 exec_lo, exec_lo, s30
	s_and_saveexec_b32 s30, s29
	s_cbranch_execz .LBB635_818
.LBB635_817:                            ;   in Loop: Header=BB635_690 Depth=2
	ds_load_b32 v2, v70 offset:16384
	s_wait_dscnt 0x0
	v_lshrrev_b32_e32 v2, s49, v2
	s_delay_alu instid0(VALU_DEP_1)
	v_and_b32_e32 v119, s48, v2
.LBB635_818:                            ;   in Loop: Header=BB635_690 Depth=2
	s_wait_alu 0xfffe
	s_or_b32 exec_lo, exec_lo, s30
	v_lshlrev_b32_e32 v2, 3, v155
	s_wait_loadcnt 0x0
	s_wait_storecnt 0x0
	s_barrier_signal -1
	s_barrier_wait -1
	global_inv scope:SCOPE_SE
	ds_store_b64 v2, v[34:35] offset:1024
	v_lshlrev_b32_e32 v2, 3, v151
	v_lshlrev_b32_e32 v36, 3, v147
	v_lshlrev_b32_e32 v37, 3, v146
	v_lshlrev_b32_e32 v135, 3, v145
	v_lshlrev_b32_e32 v136, 3, v143
	ds_store_b64 v2, v[32:33] offset:1024
	ds_store_b64 v36, v[30:31] offset:1024
	ds_store_b64 v37, v[28:29] offset:1024
	ds_store_b64 v135, v[26:27] offset:1024
	ds_store_b64 v136, v[24:25] offset:1024
	v_lshlrev_b32_e32 v2, 3, v142
	v_lshlrev_b32_e32 v36, 3, v141
	v_lshlrev_b32_e32 v37, 3, v140
	v_lshlrev_b32_e32 v135, 3, v139
	v_lshlrev_b32_e32 v136, 3, v138
	ds_store_b64 v2, v[22:23] offset:1024
	ds_store_b64 v36, v[20:21] offset:1024
	ds_store_b64 v37, v[18:19] offset:1024
	ds_store_b64 v135, v[16:17] offset:1024
	;; [unrolled: 10-line block ×3, first 2 shown]
	ds_store_b64 v40, v[4:5] offset:1024
	s_wait_loadcnt_dscnt 0x0
	s_barrier_signal -1
	s_barrier_wait -1
	global_inv scope:SCOPE_SE
	s_and_saveexec_b32 s30, vcc_lo
	s_cbranch_execnz .LBB635_883
; %bb.819:                              ;   in Loop: Header=BB635_690 Depth=2
	s_wait_alu 0xfffe
	s_or_b32 exec_lo, exec_lo, s30
	s_and_saveexec_b32 s30, s15
	s_cbranch_execnz .LBB635_884
.LBB635_820:                            ;   in Loop: Header=BB635_690 Depth=2
	s_wait_alu 0xfffe
	s_or_b32 exec_lo, exec_lo, s30
	s_and_saveexec_b32 s15, s16
	s_cbranch_execnz .LBB635_885
.LBB635_821:                            ;   in Loop: Header=BB635_690 Depth=2
	s_wait_alu 0xfffe
	s_or_b32 exec_lo, exec_lo, s15
	s_and_saveexec_b32 s15, s17
	s_cbranch_execnz .LBB635_886
.LBB635_822:                            ;   in Loop: Header=BB635_690 Depth=2
	s_wait_alu 0xfffe
	s_or_b32 exec_lo, exec_lo, s15
	s_and_saveexec_b32 s15, s18
	s_cbranch_execnz .LBB635_887
.LBB635_823:                            ;   in Loop: Header=BB635_690 Depth=2
	s_wait_alu 0xfffe
	s_or_b32 exec_lo, exec_lo, s15
	s_and_saveexec_b32 s15, s19
	s_cbranch_execnz .LBB635_888
.LBB635_824:                            ;   in Loop: Header=BB635_690 Depth=2
	s_wait_alu 0xfffe
	s_or_b32 exec_lo, exec_lo, s15
	s_and_saveexec_b32 s15, s20
	s_cbranch_execnz .LBB635_889
.LBB635_825:                            ;   in Loop: Header=BB635_690 Depth=2
	s_wait_alu 0xfffe
	s_or_b32 exec_lo, exec_lo, s15
	s_and_saveexec_b32 s15, s21
	s_cbranch_execnz .LBB635_890
.LBB635_826:                            ;   in Loop: Header=BB635_690 Depth=2
	s_wait_alu 0xfffe
	s_or_b32 exec_lo, exec_lo, s15
	s_and_saveexec_b32 s15, s22
	s_cbranch_execnz .LBB635_891
.LBB635_827:                            ;   in Loop: Header=BB635_690 Depth=2
	s_wait_alu 0xfffe
	s_or_b32 exec_lo, exec_lo, s15
	s_and_saveexec_b32 s15, s23
	s_cbranch_execnz .LBB635_892
.LBB635_828:                            ;   in Loop: Header=BB635_690 Depth=2
	s_wait_alu 0xfffe
	s_or_b32 exec_lo, exec_lo, s15
	s_and_saveexec_b32 s15, s24
	s_cbranch_execnz .LBB635_893
.LBB635_829:                            ;   in Loop: Header=BB635_690 Depth=2
	s_wait_alu 0xfffe
	s_or_b32 exec_lo, exec_lo, s15
	s_and_saveexec_b32 s15, s25
	s_cbranch_execnz .LBB635_894
.LBB635_830:                            ;   in Loop: Header=BB635_690 Depth=2
	s_wait_alu 0xfffe
	s_or_b32 exec_lo, exec_lo, s15
	s_and_saveexec_b32 s15, s26
	s_cbranch_execnz .LBB635_895
.LBB635_831:                            ;   in Loop: Header=BB635_690 Depth=2
	s_wait_alu 0xfffe
	s_or_b32 exec_lo, exec_lo, s15
	s_and_saveexec_b32 s15, s27
	s_cbranch_execnz .LBB635_896
.LBB635_832:                            ;   in Loop: Header=BB635_690 Depth=2
	s_wait_alu 0xfffe
	s_or_b32 exec_lo, exec_lo, s15
	s_and_saveexec_b32 s15, s28
	s_cbranch_execnz .LBB635_897
.LBB635_833:                            ;   in Loop: Header=BB635_690 Depth=2
	s_wait_alu 0xfffe
	s_or_b32 exec_lo, exec_lo, s15
	s_and_saveexec_b32 s15, s29
	s_cbranch_execz .LBB635_835
.LBB635_834:                            ;   in Loop: Header=BB635_690 Depth=2
	v_lshlrev_b32_e32 v2, 2, v119
	v_add_nc_u32_e32 v36, v70, v44
	ds_load_b32 v2, v2
	ds_load_b64 v[36:37], v36 offset:31744
	s_wait_dscnt 0x1
	v_add_nc_u32_e32 v2, v2, v61
	s_delay_alu instid0(VALU_DEP_1) | instskip(NEXT) | instid1(VALU_DEP_1)
	v_lshlrev_b64_e32 v[39:40], 3, v[2:3]
	v_add_co_u32 v39, vcc_lo, s44, v39
	s_wait_alu 0xfffd
	s_delay_alu instid0(VALU_DEP_2)
	v_add_co_ci_u32_e64 v40, null, s45, v40, vcc_lo
	s_wait_dscnt 0x0
	global_store_b64 v[39:40], v[36:37], off
.LBB635_835:                            ;   in Loop: Header=BB635_690 Depth=2
	s_wait_alu 0xfffe
	s_or_b32 exec_lo, exec_lo, s15
	s_wait_loadcnt 0x0
	s_wait_storecnt 0x0
	s_barrier_signal -1
	s_barrier_wait -1
	global_inv scope:SCOPE_SE
	s_and_saveexec_b32 s15, s2
	s_cbranch_execz .LBB635_689
; %bb.836:                              ;   in Loop: Header=BB635_690 Depth=2
	ds_load_b32 v2, v44
	s_wait_dscnt 0x0
	v_add_nc_u32_e32 v2, v2, v38
	ds_store_b32 v44, v2
	s_branch .LBB635_689
.LBB635_837:                            ;   in Loop: Header=BB635_690 Depth=2
	ds_load_b32 v136, v70 offset:1024
	s_wait_dscnt 0x0
	v_lshrrev_b32_e32 v2, s49, v136
	s_delay_alu instid0(VALU_DEP_1) | instskip(NEXT) | instid1(VALU_DEP_1)
	v_and_b32_e32 v2, s48, v2
	v_lshlrev_b32_e32 v2, 2, v2
	ds_load_b32 v2, v2
	s_wait_dscnt 0x0
	v_add_nc_u32_e32 v2, v2, v1
	s_delay_alu instid0(VALU_DEP_1) | instskip(SKIP_1) | instid1(VALU_DEP_2)
	v_lshlrev_b64_e32 v[36:37], 2, v[2:3]
	v_xor_b32_e32 v2, 0x80000000, v136
	v_add_co_u32 v36, s15, s38, v36
	s_wait_alu 0xf1ff
	s_delay_alu instid0(VALU_DEP_3)
	v_add_co_ci_u32_e64 v37, null, s39, v37, s15
	global_store_b32 v[36:37], v2, off
	s_wait_alu 0xfffe
	s_or_b32 exec_lo, exec_lo, s16
	v_cmp_lt_u32_e64 s15, v45, v135
	s_and_saveexec_b32 s17, s15
	s_cbranch_execz .LBB635_770
.LBB635_838:                            ;   in Loop: Header=BB635_690 Depth=2
	ds_load_b32 v136, v70 offset:2048
	s_wait_dscnt 0x0
	v_lshrrev_b32_e32 v2, s49, v136
	s_delay_alu instid0(VALU_DEP_1) | instskip(NEXT) | instid1(VALU_DEP_1)
	v_and_b32_e32 v2, s48, v2
	v_lshlrev_b32_e32 v2, 2, v2
	ds_load_b32 v2, v2
	s_wait_dscnt 0x0
	v_add_nc_u32_e32 v2, v2, v45
	s_delay_alu instid0(VALU_DEP_1) | instskip(SKIP_1) | instid1(VALU_DEP_2)
	v_lshlrev_b64_e32 v[36:37], 2, v[2:3]
	v_xor_b32_e32 v2, 0x80000000, v136
	v_add_co_u32 v36, s16, s38, v36
	s_wait_alu 0xf1ff
	s_delay_alu instid0(VALU_DEP_3)
	v_add_co_ci_u32_e64 v37, null, s39, v37, s16
	global_store_b32 v[36:37], v2, off
	s_wait_alu 0xfffe
	s_or_b32 exec_lo, exec_lo, s17
	v_cmp_lt_u32_e64 s16, v46, v135
	s_and_saveexec_b32 s18, s16
	s_cbranch_execz .LBB635_771
.LBB635_839:                            ;   in Loop: Header=BB635_690 Depth=2
	ds_load_b32 v136, v70 offset:3072
	s_wait_dscnt 0x0
	v_lshrrev_b32_e32 v2, s49, v136
	s_delay_alu instid0(VALU_DEP_1) | instskip(NEXT) | instid1(VALU_DEP_1)
	v_and_b32_e32 v2, s48, v2
	v_lshlrev_b32_e32 v2, 2, v2
	ds_load_b32 v2, v2
	s_wait_dscnt 0x0
	v_add_nc_u32_e32 v2, v2, v46
	s_delay_alu instid0(VALU_DEP_1) | instskip(SKIP_1) | instid1(VALU_DEP_2)
	v_lshlrev_b64_e32 v[36:37], 2, v[2:3]
	v_xor_b32_e32 v2, 0x80000000, v136
	v_add_co_u32 v36, s17, s38, v36
	s_wait_alu 0xf1ff
	s_delay_alu instid0(VALU_DEP_3)
	v_add_co_ci_u32_e64 v37, null, s39, v37, s17
	global_store_b32 v[36:37], v2, off
	s_wait_alu 0xfffe
	s_or_b32 exec_lo, exec_lo, s18
	v_cmp_lt_u32_e64 s17, v47, v135
	s_and_saveexec_b32 s19, s17
	s_cbranch_execz .LBB635_772
.LBB635_840:                            ;   in Loop: Header=BB635_690 Depth=2
	ds_load_b32 v136, v70 offset:4096
	s_wait_dscnt 0x0
	v_lshrrev_b32_e32 v2, s49, v136
	s_delay_alu instid0(VALU_DEP_1) | instskip(NEXT) | instid1(VALU_DEP_1)
	v_and_b32_e32 v2, s48, v2
	v_lshlrev_b32_e32 v2, 2, v2
	ds_load_b32 v2, v2
	s_wait_dscnt 0x0
	v_add_nc_u32_e32 v2, v2, v47
	s_delay_alu instid0(VALU_DEP_1) | instskip(SKIP_1) | instid1(VALU_DEP_2)
	v_lshlrev_b64_e32 v[36:37], 2, v[2:3]
	v_xor_b32_e32 v2, 0x80000000, v136
	v_add_co_u32 v36, s18, s38, v36
	s_wait_alu 0xf1ff
	s_delay_alu instid0(VALU_DEP_3)
	v_add_co_ci_u32_e64 v37, null, s39, v37, s18
	global_store_b32 v[36:37], v2, off
	s_wait_alu 0xfffe
	s_or_b32 exec_lo, exec_lo, s19
	v_cmp_lt_u32_e64 s18, v50, v135
	s_and_saveexec_b32 s20, s18
	s_cbranch_execz .LBB635_773
.LBB635_841:                            ;   in Loop: Header=BB635_690 Depth=2
	ds_load_b32 v136, v70 offset:5120
	s_wait_dscnt 0x0
	v_lshrrev_b32_e32 v2, s49, v136
	s_delay_alu instid0(VALU_DEP_1) | instskip(NEXT) | instid1(VALU_DEP_1)
	v_and_b32_e32 v2, s48, v2
	v_lshlrev_b32_e32 v2, 2, v2
	ds_load_b32 v2, v2
	s_wait_dscnt 0x0
	v_add_nc_u32_e32 v2, v2, v50
	s_delay_alu instid0(VALU_DEP_1) | instskip(SKIP_1) | instid1(VALU_DEP_2)
	v_lshlrev_b64_e32 v[36:37], 2, v[2:3]
	v_xor_b32_e32 v2, 0x80000000, v136
	v_add_co_u32 v36, s19, s38, v36
	s_wait_alu 0xf1ff
	s_delay_alu instid0(VALU_DEP_3)
	v_add_co_ci_u32_e64 v37, null, s39, v37, s19
	global_store_b32 v[36:37], v2, off
	s_wait_alu 0xfffe
	s_or_b32 exec_lo, exec_lo, s20
	v_cmp_lt_u32_e64 s19, v51, v135
	s_and_saveexec_b32 s21, s19
	s_cbranch_execz .LBB635_774
.LBB635_842:                            ;   in Loop: Header=BB635_690 Depth=2
	ds_load_b32 v136, v70 offset:6144
	s_wait_dscnt 0x0
	v_lshrrev_b32_e32 v2, s49, v136
	s_delay_alu instid0(VALU_DEP_1) | instskip(NEXT) | instid1(VALU_DEP_1)
	v_and_b32_e32 v2, s48, v2
	v_lshlrev_b32_e32 v2, 2, v2
	ds_load_b32 v2, v2
	s_wait_dscnt 0x0
	v_add_nc_u32_e32 v2, v2, v51
	s_delay_alu instid0(VALU_DEP_1) | instskip(SKIP_1) | instid1(VALU_DEP_2)
	v_lshlrev_b64_e32 v[36:37], 2, v[2:3]
	v_xor_b32_e32 v2, 0x80000000, v136
	v_add_co_u32 v36, s20, s38, v36
	s_wait_alu 0xf1ff
	s_delay_alu instid0(VALU_DEP_3)
	v_add_co_ci_u32_e64 v37, null, s39, v37, s20
	global_store_b32 v[36:37], v2, off
	s_wait_alu 0xfffe
	s_or_b32 exec_lo, exec_lo, s21
	v_cmp_lt_u32_e64 s20, v52, v135
	s_and_saveexec_b32 s22, s20
	s_cbranch_execz .LBB635_775
.LBB635_843:                            ;   in Loop: Header=BB635_690 Depth=2
	ds_load_b32 v136, v70 offset:7168
	s_wait_dscnt 0x0
	v_lshrrev_b32_e32 v2, s49, v136
	s_delay_alu instid0(VALU_DEP_1) | instskip(NEXT) | instid1(VALU_DEP_1)
	v_and_b32_e32 v2, s48, v2
	v_lshlrev_b32_e32 v2, 2, v2
	ds_load_b32 v2, v2
	s_wait_dscnt 0x0
	v_add_nc_u32_e32 v2, v2, v52
	s_delay_alu instid0(VALU_DEP_1) | instskip(SKIP_1) | instid1(VALU_DEP_2)
	v_lshlrev_b64_e32 v[36:37], 2, v[2:3]
	v_xor_b32_e32 v2, 0x80000000, v136
	v_add_co_u32 v36, s21, s38, v36
	s_wait_alu 0xf1ff
	s_delay_alu instid0(VALU_DEP_3)
	v_add_co_ci_u32_e64 v37, null, s39, v37, s21
	global_store_b32 v[36:37], v2, off
	s_wait_alu 0xfffe
	s_or_b32 exec_lo, exec_lo, s22
	v_cmp_lt_u32_e64 s21, v53, v135
	s_and_saveexec_b32 s23, s21
	s_cbranch_execz .LBB635_776
.LBB635_844:                            ;   in Loop: Header=BB635_690 Depth=2
	ds_load_b32 v136, v70 offset:8192
	s_wait_dscnt 0x0
	v_lshrrev_b32_e32 v2, s49, v136
	s_delay_alu instid0(VALU_DEP_1) | instskip(NEXT) | instid1(VALU_DEP_1)
	v_and_b32_e32 v2, s48, v2
	v_lshlrev_b32_e32 v2, 2, v2
	ds_load_b32 v2, v2
	s_wait_dscnt 0x0
	v_add_nc_u32_e32 v2, v2, v53
	s_delay_alu instid0(VALU_DEP_1) | instskip(SKIP_1) | instid1(VALU_DEP_2)
	v_lshlrev_b64_e32 v[36:37], 2, v[2:3]
	v_xor_b32_e32 v2, 0x80000000, v136
	v_add_co_u32 v36, s22, s38, v36
	s_wait_alu 0xf1ff
	s_delay_alu instid0(VALU_DEP_3)
	v_add_co_ci_u32_e64 v37, null, s39, v37, s22
	global_store_b32 v[36:37], v2, off
	s_wait_alu 0xfffe
	s_or_b32 exec_lo, exec_lo, s23
	v_cmp_lt_u32_e64 s22, v54, v135
	s_and_saveexec_b32 s24, s22
	s_cbranch_execz .LBB635_777
.LBB635_845:                            ;   in Loop: Header=BB635_690 Depth=2
	ds_load_b32 v136, v70 offset:9216
	s_wait_dscnt 0x0
	v_lshrrev_b32_e32 v2, s49, v136
	s_delay_alu instid0(VALU_DEP_1) | instskip(NEXT) | instid1(VALU_DEP_1)
	v_and_b32_e32 v2, s48, v2
	v_lshlrev_b32_e32 v2, 2, v2
	ds_load_b32 v2, v2
	s_wait_dscnt 0x0
	v_add_nc_u32_e32 v2, v2, v54
	s_delay_alu instid0(VALU_DEP_1) | instskip(SKIP_1) | instid1(VALU_DEP_2)
	v_lshlrev_b64_e32 v[36:37], 2, v[2:3]
	v_xor_b32_e32 v2, 0x80000000, v136
	v_add_co_u32 v36, s23, s38, v36
	s_wait_alu 0xf1ff
	s_delay_alu instid0(VALU_DEP_3)
	v_add_co_ci_u32_e64 v37, null, s39, v37, s23
	global_store_b32 v[36:37], v2, off
	s_wait_alu 0xfffe
	s_or_b32 exec_lo, exec_lo, s24
	v_cmp_lt_u32_e64 s23, v55, v135
	s_and_saveexec_b32 s25, s23
	s_cbranch_execz .LBB635_778
.LBB635_846:                            ;   in Loop: Header=BB635_690 Depth=2
	ds_load_b32 v136, v70 offset:10240
	s_wait_dscnt 0x0
	v_lshrrev_b32_e32 v2, s49, v136
	s_delay_alu instid0(VALU_DEP_1) | instskip(NEXT) | instid1(VALU_DEP_1)
	v_and_b32_e32 v2, s48, v2
	v_lshlrev_b32_e32 v2, 2, v2
	ds_load_b32 v2, v2
	s_wait_dscnt 0x0
	v_add_nc_u32_e32 v2, v2, v55
	s_delay_alu instid0(VALU_DEP_1) | instskip(SKIP_1) | instid1(VALU_DEP_2)
	v_lshlrev_b64_e32 v[36:37], 2, v[2:3]
	v_xor_b32_e32 v2, 0x80000000, v136
	v_add_co_u32 v36, s24, s38, v36
	s_wait_alu 0xf1ff
	s_delay_alu instid0(VALU_DEP_3)
	v_add_co_ci_u32_e64 v37, null, s39, v37, s24
	global_store_b32 v[36:37], v2, off
	s_wait_alu 0xfffe
	s_or_b32 exec_lo, exec_lo, s25
	v_cmp_lt_u32_e64 s24, v56, v135
	s_and_saveexec_b32 s26, s24
	s_cbranch_execz .LBB635_779
.LBB635_847:                            ;   in Loop: Header=BB635_690 Depth=2
	ds_load_b32 v136, v70 offset:11264
	s_wait_dscnt 0x0
	v_lshrrev_b32_e32 v2, s49, v136
	s_delay_alu instid0(VALU_DEP_1) | instskip(NEXT) | instid1(VALU_DEP_1)
	v_and_b32_e32 v2, s48, v2
	v_lshlrev_b32_e32 v2, 2, v2
	ds_load_b32 v2, v2
	s_wait_dscnt 0x0
	v_add_nc_u32_e32 v2, v2, v56
	s_delay_alu instid0(VALU_DEP_1) | instskip(SKIP_1) | instid1(VALU_DEP_2)
	v_lshlrev_b64_e32 v[36:37], 2, v[2:3]
	v_xor_b32_e32 v2, 0x80000000, v136
	v_add_co_u32 v36, s25, s38, v36
	s_wait_alu 0xf1ff
	s_delay_alu instid0(VALU_DEP_3)
	v_add_co_ci_u32_e64 v37, null, s39, v37, s25
	global_store_b32 v[36:37], v2, off
	s_wait_alu 0xfffe
	s_or_b32 exec_lo, exec_lo, s26
	v_cmp_lt_u32_e64 s25, v57, v135
	s_and_saveexec_b32 s27, s25
	s_cbranch_execz .LBB635_780
.LBB635_848:                            ;   in Loop: Header=BB635_690 Depth=2
	ds_load_b32 v136, v70 offset:12288
	s_wait_dscnt 0x0
	v_lshrrev_b32_e32 v2, s49, v136
	s_delay_alu instid0(VALU_DEP_1) | instskip(NEXT) | instid1(VALU_DEP_1)
	v_and_b32_e32 v2, s48, v2
	v_lshlrev_b32_e32 v2, 2, v2
	ds_load_b32 v2, v2
	s_wait_dscnt 0x0
	v_add_nc_u32_e32 v2, v2, v57
	s_delay_alu instid0(VALU_DEP_1) | instskip(SKIP_1) | instid1(VALU_DEP_2)
	v_lshlrev_b64_e32 v[36:37], 2, v[2:3]
	v_xor_b32_e32 v2, 0x80000000, v136
	v_add_co_u32 v36, s26, s38, v36
	s_wait_alu 0xf1ff
	s_delay_alu instid0(VALU_DEP_3)
	v_add_co_ci_u32_e64 v37, null, s39, v37, s26
	global_store_b32 v[36:37], v2, off
	s_wait_alu 0xfffe
	s_or_b32 exec_lo, exec_lo, s27
	v_cmp_lt_u32_e64 s26, v58, v135
	s_and_saveexec_b32 s28, s26
	s_cbranch_execz .LBB635_781
.LBB635_849:                            ;   in Loop: Header=BB635_690 Depth=2
	ds_load_b32 v136, v70 offset:13312
	s_wait_dscnt 0x0
	v_lshrrev_b32_e32 v2, s49, v136
	s_delay_alu instid0(VALU_DEP_1) | instskip(NEXT) | instid1(VALU_DEP_1)
	v_and_b32_e32 v2, s48, v2
	v_lshlrev_b32_e32 v2, 2, v2
	ds_load_b32 v2, v2
	s_wait_dscnt 0x0
	v_add_nc_u32_e32 v2, v2, v58
	s_delay_alu instid0(VALU_DEP_1) | instskip(SKIP_1) | instid1(VALU_DEP_2)
	v_lshlrev_b64_e32 v[36:37], 2, v[2:3]
	v_xor_b32_e32 v2, 0x80000000, v136
	v_add_co_u32 v36, s27, s38, v36
	s_wait_alu 0xf1ff
	s_delay_alu instid0(VALU_DEP_3)
	v_add_co_ci_u32_e64 v37, null, s39, v37, s27
	global_store_b32 v[36:37], v2, off
	s_wait_alu 0xfffe
	s_or_b32 exec_lo, exec_lo, s28
	v_cmp_lt_u32_e64 s27, v59, v135
	s_and_saveexec_b32 s29, s27
	s_cbranch_execz .LBB635_782
.LBB635_850:                            ;   in Loop: Header=BB635_690 Depth=2
	ds_load_b32 v136, v70 offset:14336
	s_wait_dscnt 0x0
	v_lshrrev_b32_e32 v2, s49, v136
	s_delay_alu instid0(VALU_DEP_1) | instskip(NEXT) | instid1(VALU_DEP_1)
	v_and_b32_e32 v2, s48, v2
	v_lshlrev_b32_e32 v2, 2, v2
	ds_load_b32 v2, v2
	s_wait_dscnt 0x0
	v_add_nc_u32_e32 v2, v2, v59
	s_delay_alu instid0(VALU_DEP_1) | instskip(SKIP_1) | instid1(VALU_DEP_2)
	v_lshlrev_b64_e32 v[36:37], 2, v[2:3]
	v_xor_b32_e32 v2, 0x80000000, v136
	v_add_co_u32 v36, s28, s38, v36
	s_wait_alu 0xf1ff
	s_delay_alu instid0(VALU_DEP_3)
	v_add_co_ci_u32_e64 v37, null, s39, v37, s28
	global_store_b32 v[36:37], v2, off
	s_wait_alu 0xfffe
	s_or_b32 exec_lo, exec_lo, s29
	v_cmp_lt_u32_e64 s28, v60, v135
	s_and_saveexec_b32 s30, s28
	s_cbranch_execz .LBB635_783
.LBB635_851:                            ;   in Loop: Header=BB635_690 Depth=2
	ds_load_b32 v136, v70 offset:15360
	s_wait_dscnt 0x0
	v_lshrrev_b32_e32 v2, s49, v136
	s_delay_alu instid0(VALU_DEP_1) | instskip(NEXT) | instid1(VALU_DEP_1)
	v_and_b32_e32 v2, s48, v2
	v_lshlrev_b32_e32 v2, 2, v2
	ds_load_b32 v2, v2
	s_wait_dscnt 0x0
	v_add_nc_u32_e32 v2, v2, v60
	s_delay_alu instid0(VALU_DEP_1) | instskip(SKIP_1) | instid1(VALU_DEP_2)
	v_lshlrev_b64_e32 v[36:37], 2, v[2:3]
	v_xor_b32_e32 v2, 0x80000000, v136
	v_add_co_u32 v36, s29, s38, v36
	s_wait_alu 0xf1ff
	s_delay_alu instid0(VALU_DEP_3)
	v_add_co_ci_u32_e64 v37, null, s39, v37, s29
	global_store_b32 v[36:37], v2, off
	s_wait_alu 0xfffe
	s_or_b32 exec_lo, exec_lo, s30
	v_cmp_lt_u32_e64 s29, v61, v135
	s_and_saveexec_b32 s56, s29
	s_cbranch_execnz .LBB635_784
	s_branch .LBB635_785
.LBB635_852:                            ;   in Loop: Header=BB635_690 Depth=2
	global_load_b64 v[34:35], v[36:37], off
	s_wait_alu 0xfffe
	s_or_b32 exec_lo, exec_lo, s30
	s_delay_alu instid0(SALU_CYCLE_1)
	s_mov_b32 s42, exec_lo
	v_cmpx_lt_u32_e64 v92, v135
	s_cbranch_execz .LBB635_787
.LBB635_853:                            ;   in Loop: Header=BB635_690 Depth=2
	global_load_b64 v[32:33], v[36:37], off offset:256
	s_wait_alu 0xfffe
	s_or_b32 exec_lo, exec_lo, s42
	s_delay_alu instid0(SALU_CYCLE_1)
	s_mov_b32 s42, exec_lo
	v_cmpx_lt_u32_e64 v93, v135
	s_cbranch_execz .LBB635_788
.LBB635_854:                            ;   in Loop: Header=BB635_690 Depth=2
	global_load_b64 v[30:31], v[36:37], off offset:512
	s_wait_alu 0xfffe
	s_or_b32 exec_lo, exec_lo, s42
	s_delay_alu instid0(SALU_CYCLE_1)
	s_mov_b32 s42, exec_lo
	v_cmpx_lt_u32_e64 v94, v135
	s_cbranch_execz .LBB635_789
.LBB635_855:                            ;   in Loop: Header=BB635_690 Depth=2
	global_load_b64 v[28:29], v[36:37], off offset:768
	s_wait_alu 0xfffe
	s_or_b32 exec_lo, exec_lo, s42
	s_delay_alu instid0(SALU_CYCLE_1)
	s_mov_b32 s42, exec_lo
	v_cmpx_lt_u32_e64 v95, v135
	s_cbranch_execz .LBB635_790
.LBB635_856:                            ;   in Loop: Header=BB635_690 Depth=2
	global_load_b64 v[26:27], v[36:37], off offset:1024
	s_wait_alu 0xfffe
	s_or_b32 exec_lo, exec_lo, s42
	s_delay_alu instid0(SALU_CYCLE_1)
	s_mov_b32 s42, exec_lo
	v_cmpx_lt_u32_e64 v96, v135
	s_cbranch_execz .LBB635_791
.LBB635_857:                            ;   in Loop: Header=BB635_690 Depth=2
	global_load_b64 v[24:25], v[36:37], off offset:1280
	s_wait_alu 0xfffe
	s_or_b32 exec_lo, exec_lo, s42
	s_delay_alu instid0(SALU_CYCLE_1)
	s_mov_b32 s42, exec_lo
	v_cmpx_lt_u32_e64 v97, v135
	s_cbranch_execz .LBB635_792
.LBB635_858:                            ;   in Loop: Header=BB635_690 Depth=2
	global_load_b64 v[22:23], v[36:37], off offset:1536
	s_wait_alu 0xfffe
	s_or_b32 exec_lo, exec_lo, s42
	s_delay_alu instid0(SALU_CYCLE_1)
	s_mov_b32 s42, exec_lo
	v_cmpx_lt_u32_e64 v98, v135
	s_cbranch_execz .LBB635_793
.LBB635_859:                            ;   in Loop: Header=BB635_690 Depth=2
	global_load_b64 v[20:21], v[36:37], off offset:1792
	s_wait_alu 0xfffe
	s_or_b32 exec_lo, exec_lo, s42
	s_delay_alu instid0(SALU_CYCLE_1)
	s_mov_b32 s42, exec_lo
	v_cmpx_lt_u32_e64 v99, v135
	s_cbranch_execz .LBB635_794
.LBB635_860:                            ;   in Loop: Header=BB635_690 Depth=2
	global_load_b64 v[18:19], v[36:37], off offset:2048
	s_wait_alu 0xfffe
	s_or_b32 exec_lo, exec_lo, s42
	s_delay_alu instid0(SALU_CYCLE_1)
	s_mov_b32 s42, exec_lo
	v_cmpx_lt_u32_e64 v100, v135
	s_cbranch_execz .LBB635_795
.LBB635_861:                            ;   in Loop: Header=BB635_690 Depth=2
	global_load_b64 v[16:17], v[36:37], off offset:2304
	s_wait_alu 0xfffe
	s_or_b32 exec_lo, exec_lo, s42
	s_delay_alu instid0(SALU_CYCLE_1)
	s_mov_b32 s42, exec_lo
	v_cmpx_lt_u32_e64 v101, v135
	s_cbranch_execz .LBB635_796
.LBB635_862:                            ;   in Loop: Header=BB635_690 Depth=2
	global_load_b64 v[14:15], v[36:37], off offset:2560
	s_wait_alu 0xfffe
	s_or_b32 exec_lo, exec_lo, s42
	s_delay_alu instid0(SALU_CYCLE_1)
	s_mov_b32 s42, exec_lo
	v_cmpx_lt_u32_e64 v102, v135
	s_cbranch_execz .LBB635_797
.LBB635_863:                            ;   in Loop: Header=BB635_690 Depth=2
	global_load_b64 v[12:13], v[36:37], off offset:2816
	s_wait_alu 0xfffe
	s_or_b32 exec_lo, exec_lo, s42
	s_delay_alu instid0(SALU_CYCLE_1)
	s_mov_b32 s42, exec_lo
	v_cmpx_lt_u32_e64 v103, v135
	s_cbranch_execz .LBB635_798
.LBB635_864:                            ;   in Loop: Header=BB635_690 Depth=2
	global_load_b64 v[10:11], v[36:37], off offset:3072
	s_wait_alu 0xfffe
	s_or_b32 exec_lo, exec_lo, s42
	s_delay_alu instid0(SALU_CYCLE_1)
	s_mov_b32 s42, exec_lo
	v_cmpx_lt_u32_e64 v104, v135
	s_cbranch_execz .LBB635_799
.LBB635_865:                            ;   in Loop: Header=BB635_690 Depth=2
	global_load_b64 v[8:9], v[36:37], off offset:3328
	s_wait_alu 0xfffe
	s_or_b32 exec_lo, exec_lo, s42
	s_delay_alu instid0(SALU_CYCLE_1)
	s_mov_b32 s42, exec_lo
	v_cmpx_lt_u32_e64 v105, v135
	s_cbranch_execz .LBB635_800
.LBB635_866:                            ;   in Loop: Header=BB635_690 Depth=2
	global_load_b64 v[6:7], v[36:37], off offset:3584
	s_wait_alu 0xfffe
	s_or_b32 exec_lo, exec_lo, s42
	s_delay_alu instid0(SALU_CYCLE_1)
	s_mov_b32 s42, exec_lo
	v_cmpx_lt_u32_e64 v106, v135
	s_cbranch_execz .LBB635_801
.LBB635_867:                            ;   in Loop: Header=BB635_690 Depth=2
	global_load_b64 v[4:5], v[36:37], off offset:3840
	s_wait_alu 0xfffe
	s_or_b32 exec_lo, exec_lo, s42
	s_and_saveexec_b32 s30, vcc_lo
	s_cbranch_execz .LBB635_802
.LBB635_868:                            ;   in Loop: Header=BB635_690 Depth=2
	ds_load_b32 v2, v70 offset:1024
	s_wait_dscnt 0x0
	v_lshrrev_b32_e32 v2, s49, v2
	s_delay_alu instid0(VALU_DEP_1)
	v_and_b32_e32 v134, s48, v2
	s_wait_alu 0xfffe
	s_or_b32 exec_lo, exec_lo, s30
	s_and_saveexec_b32 s30, s15
	s_cbranch_execz .LBB635_803
.LBB635_869:                            ;   in Loop: Header=BB635_690 Depth=2
	ds_load_b32 v2, v70 offset:2048
	s_wait_dscnt 0x0
	v_lshrrev_b32_e32 v2, s49, v2
	s_delay_alu instid0(VALU_DEP_1)
	v_and_b32_e32 v133, s48, v2
	s_wait_alu 0xfffe
	s_or_b32 exec_lo, exec_lo, s30
	s_and_saveexec_b32 s30, s16
	s_cbranch_execz .LBB635_804
.LBB635_870:                            ;   in Loop: Header=BB635_690 Depth=2
	ds_load_b32 v2, v70 offset:3072
	s_wait_dscnt 0x0
	v_lshrrev_b32_e32 v2, s49, v2
	s_delay_alu instid0(VALU_DEP_1)
	v_and_b32_e32 v132, s48, v2
	s_wait_alu 0xfffe
	s_or_b32 exec_lo, exec_lo, s30
	s_and_saveexec_b32 s30, s17
	s_cbranch_execz .LBB635_805
.LBB635_871:                            ;   in Loop: Header=BB635_690 Depth=2
	ds_load_b32 v2, v70 offset:4096
	s_wait_dscnt 0x0
	v_lshrrev_b32_e32 v2, s49, v2
	s_delay_alu instid0(VALU_DEP_1)
	v_and_b32_e32 v131, s48, v2
	s_wait_alu 0xfffe
	s_or_b32 exec_lo, exec_lo, s30
	s_and_saveexec_b32 s30, s18
	s_cbranch_execz .LBB635_806
.LBB635_872:                            ;   in Loop: Header=BB635_690 Depth=2
	ds_load_b32 v2, v70 offset:5120
	s_wait_dscnt 0x0
	v_lshrrev_b32_e32 v2, s49, v2
	s_delay_alu instid0(VALU_DEP_1)
	v_and_b32_e32 v130, s48, v2
	s_wait_alu 0xfffe
	s_or_b32 exec_lo, exec_lo, s30
	s_and_saveexec_b32 s30, s19
	s_cbranch_execz .LBB635_807
.LBB635_873:                            ;   in Loop: Header=BB635_690 Depth=2
	ds_load_b32 v2, v70 offset:6144
	s_wait_dscnt 0x0
	v_lshrrev_b32_e32 v2, s49, v2
	s_delay_alu instid0(VALU_DEP_1)
	v_and_b32_e32 v129, s48, v2
	s_wait_alu 0xfffe
	s_or_b32 exec_lo, exec_lo, s30
	s_and_saveexec_b32 s30, s20
	s_cbranch_execz .LBB635_808
.LBB635_874:                            ;   in Loop: Header=BB635_690 Depth=2
	ds_load_b32 v2, v70 offset:7168
	s_wait_dscnt 0x0
	v_lshrrev_b32_e32 v2, s49, v2
	s_delay_alu instid0(VALU_DEP_1)
	v_and_b32_e32 v128, s48, v2
	s_wait_alu 0xfffe
	s_or_b32 exec_lo, exec_lo, s30
	s_and_saveexec_b32 s30, s21
	s_cbranch_execz .LBB635_809
.LBB635_875:                            ;   in Loop: Header=BB635_690 Depth=2
	ds_load_b32 v2, v70 offset:8192
	s_wait_dscnt 0x0
	v_lshrrev_b32_e32 v2, s49, v2
	s_delay_alu instid0(VALU_DEP_1)
	v_and_b32_e32 v127, s48, v2
	s_wait_alu 0xfffe
	s_or_b32 exec_lo, exec_lo, s30
	s_and_saveexec_b32 s30, s22
	s_cbranch_execz .LBB635_810
.LBB635_876:                            ;   in Loop: Header=BB635_690 Depth=2
	ds_load_b32 v2, v70 offset:9216
	s_wait_dscnt 0x0
	v_lshrrev_b32_e32 v2, s49, v2
	s_delay_alu instid0(VALU_DEP_1)
	v_and_b32_e32 v126, s48, v2
	s_wait_alu 0xfffe
	s_or_b32 exec_lo, exec_lo, s30
	s_and_saveexec_b32 s30, s23
	s_cbranch_execz .LBB635_811
.LBB635_877:                            ;   in Loop: Header=BB635_690 Depth=2
	ds_load_b32 v2, v70 offset:10240
	s_wait_dscnt 0x0
	v_lshrrev_b32_e32 v2, s49, v2
	s_delay_alu instid0(VALU_DEP_1)
	v_and_b32_e32 v125, s48, v2
	s_wait_alu 0xfffe
	s_or_b32 exec_lo, exec_lo, s30
	s_and_saveexec_b32 s30, s24
	s_cbranch_execz .LBB635_812
.LBB635_878:                            ;   in Loop: Header=BB635_690 Depth=2
	ds_load_b32 v2, v70 offset:11264
	s_wait_dscnt 0x0
	v_lshrrev_b32_e32 v2, s49, v2
	s_delay_alu instid0(VALU_DEP_1)
	v_and_b32_e32 v124, s48, v2
	s_wait_alu 0xfffe
	s_or_b32 exec_lo, exec_lo, s30
	s_and_saveexec_b32 s30, s25
	s_cbranch_execz .LBB635_813
.LBB635_879:                            ;   in Loop: Header=BB635_690 Depth=2
	ds_load_b32 v2, v70 offset:12288
	s_wait_dscnt 0x0
	v_lshrrev_b32_e32 v2, s49, v2
	s_delay_alu instid0(VALU_DEP_1)
	v_and_b32_e32 v123, s48, v2
	s_wait_alu 0xfffe
	s_or_b32 exec_lo, exec_lo, s30
	s_and_saveexec_b32 s30, s26
	s_cbranch_execz .LBB635_814
.LBB635_880:                            ;   in Loop: Header=BB635_690 Depth=2
	ds_load_b32 v2, v70 offset:13312
	s_wait_dscnt 0x0
	v_lshrrev_b32_e32 v2, s49, v2
	s_delay_alu instid0(VALU_DEP_1)
	v_and_b32_e32 v122, s48, v2
	s_wait_alu 0xfffe
	s_or_b32 exec_lo, exec_lo, s30
	s_and_saveexec_b32 s30, s27
	s_cbranch_execz .LBB635_815
.LBB635_881:                            ;   in Loop: Header=BB635_690 Depth=2
	ds_load_b32 v2, v70 offset:14336
	s_wait_dscnt 0x0
	v_lshrrev_b32_e32 v2, s49, v2
	s_delay_alu instid0(VALU_DEP_1)
	v_and_b32_e32 v121, s48, v2
	s_wait_alu 0xfffe
	s_or_b32 exec_lo, exec_lo, s30
	s_and_saveexec_b32 s30, s28
	s_cbranch_execz .LBB635_816
.LBB635_882:                            ;   in Loop: Header=BB635_690 Depth=2
	ds_load_b32 v2, v70 offset:15360
	s_wait_dscnt 0x0
	v_lshrrev_b32_e32 v2, s49, v2
	s_delay_alu instid0(VALU_DEP_1)
	v_and_b32_e32 v120, s48, v2
	s_wait_alu 0xfffe
	s_or_b32 exec_lo, exec_lo, s30
	s_and_saveexec_b32 s30, s29
	s_cbranch_execnz .LBB635_817
	s_branch .LBB635_818
.LBB635_883:                            ;   in Loop: Header=BB635_690 Depth=2
	v_lshlrev_b32_e32 v2, 2, v134
	v_add_nc_u32_e32 v36, v70, v44
	ds_load_b32 v2, v2
	ds_load_b64 v[36:37], v36 offset:1024
	s_wait_dscnt 0x1
	v_add_nc_u32_e32 v2, v2, v1
	s_delay_alu instid0(VALU_DEP_1) | instskip(NEXT) | instid1(VALU_DEP_1)
	v_lshlrev_b64_e32 v[39:40], 3, v[2:3]
	v_add_co_u32 v39, vcc_lo, s44, v39
	s_wait_alu 0xfffd
	s_delay_alu instid0(VALU_DEP_2)
	v_add_co_ci_u32_e64 v40, null, s45, v40, vcc_lo
	s_wait_dscnt 0x0
	global_store_b64 v[39:40], v[36:37], off
	s_wait_alu 0xfffe
	s_or_b32 exec_lo, exec_lo, s30
	s_and_saveexec_b32 s30, s15
	s_cbranch_execz .LBB635_820
.LBB635_884:                            ;   in Loop: Header=BB635_690 Depth=2
	v_lshlrev_b32_e32 v2, 2, v133
	v_add_nc_u32_e32 v36, v70, v44
	ds_load_b32 v2, v2
	ds_load_b64 v[36:37], v36 offset:3072
	s_wait_dscnt 0x1
	v_add_nc_u32_e32 v2, v2, v45
	s_delay_alu instid0(VALU_DEP_1) | instskip(NEXT) | instid1(VALU_DEP_1)
	v_lshlrev_b64_e32 v[39:40], 3, v[2:3]
	v_add_co_u32 v39, vcc_lo, s44, v39
	s_wait_alu 0xfffd
	s_delay_alu instid0(VALU_DEP_2)
	v_add_co_ci_u32_e64 v40, null, s45, v40, vcc_lo
	s_wait_dscnt 0x0
	global_store_b64 v[39:40], v[36:37], off
	s_wait_alu 0xfffe
	s_or_b32 exec_lo, exec_lo, s30
	s_and_saveexec_b32 s15, s16
	s_cbranch_execz .LBB635_821
.LBB635_885:                            ;   in Loop: Header=BB635_690 Depth=2
	v_lshlrev_b32_e32 v2, 2, v132
	v_add_nc_u32_e32 v36, v70, v44
	ds_load_b32 v2, v2
	ds_load_b64 v[36:37], v36 offset:5120
	s_wait_dscnt 0x1
	v_add_nc_u32_e32 v2, v2, v46
	s_delay_alu instid0(VALU_DEP_1) | instskip(NEXT) | instid1(VALU_DEP_1)
	v_lshlrev_b64_e32 v[39:40], 3, v[2:3]
	v_add_co_u32 v39, vcc_lo, s44, v39
	s_wait_alu 0xfffd
	s_delay_alu instid0(VALU_DEP_2)
	v_add_co_ci_u32_e64 v40, null, s45, v40, vcc_lo
	s_wait_dscnt 0x0
	global_store_b64 v[39:40], v[36:37], off
	s_wait_alu 0xfffe
	s_or_b32 exec_lo, exec_lo, s15
	s_and_saveexec_b32 s15, s17
	s_cbranch_execz .LBB635_822
.LBB635_886:                            ;   in Loop: Header=BB635_690 Depth=2
	v_lshlrev_b32_e32 v2, 2, v131
	v_add_nc_u32_e32 v36, v70, v44
	ds_load_b32 v2, v2
	ds_load_b64 v[36:37], v36 offset:7168
	s_wait_dscnt 0x1
	v_add_nc_u32_e32 v2, v2, v47
	s_delay_alu instid0(VALU_DEP_1) | instskip(NEXT) | instid1(VALU_DEP_1)
	v_lshlrev_b64_e32 v[39:40], 3, v[2:3]
	v_add_co_u32 v39, vcc_lo, s44, v39
	s_wait_alu 0xfffd
	s_delay_alu instid0(VALU_DEP_2)
	v_add_co_ci_u32_e64 v40, null, s45, v40, vcc_lo
	s_wait_dscnt 0x0
	global_store_b64 v[39:40], v[36:37], off
	s_wait_alu 0xfffe
	s_or_b32 exec_lo, exec_lo, s15
	s_and_saveexec_b32 s15, s18
	s_cbranch_execz .LBB635_823
.LBB635_887:                            ;   in Loop: Header=BB635_690 Depth=2
	v_lshlrev_b32_e32 v2, 2, v130
	v_add_nc_u32_e32 v36, v70, v44
	ds_load_b32 v2, v2
	ds_load_b64 v[36:37], v36 offset:9216
	s_wait_dscnt 0x1
	v_add_nc_u32_e32 v2, v2, v50
	s_delay_alu instid0(VALU_DEP_1) | instskip(NEXT) | instid1(VALU_DEP_1)
	v_lshlrev_b64_e32 v[39:40], 3, v[2:3]
	v_add_co_u32 v39, vcc_lo, s44, v39
	s_wait_alu 0xfffd
	s_delay_alu instid0(VALU_DEP_2)
	v_add_co_ci_u32_e64 v40, null, s45, v40, vcc_lo
	s_wait_dscnt 0x0
	global_store_b64 v[39:40], v[36:37], off
	s_wait_alu 0xfffe
	s_or_b32 exec_lo, exec_lo, s15
	s_and_saveexec_b32 s15, s19
	s_cbranch_execz .LBB635_824
.LBB635_888:                            ;   in Loop: Header=BB635_690 Depth=2
	v_lshlrev_b32_e32 v2, 2, v129
	v_add_nc_u32_e32 v36, v70, v44
	ds_load_b32 v2, v2
	ds_load_b64 v[36:37], v36 offset:11264
	s_wait_dscnt 0x1
	v_add_nc_u32_e32 v2, v2, v51
	s_delay_alu instid0(VALU_DEP_1) | instskip(NEXT) | instid1(VALU_DEP_1)
	v_lshlrev_b64_e32 v[39:40], 3, v[2:3]
	v_add_co_u32 v39, vcc_lo, s44, v39
	s_wait_alu 0xfffd
	s_delay_alu instid0(VALU_DEP_2)
	v_add_co_ci_u32_e64 v40, null, s45, v40, vcc_lo
	s_wait_dscnt 0x0
	global_store_b64 v[39:40], v[36:37], off
	s_wait_alu 0xfffe
	s_or_b32 exec_lo, exec_lo, s15
	s_and_saveexec_b32 s15, s20
	s_cbranch_execz .LBB635_825
.LBB635_889:                            ;   in Loop: Header=BB635_690 Depth=2
	v_lshlrev_b32_e32 v2, 2, v128
	v_add_nc_u32_e32 v36, v70, v44
	ds_load_b32 v2, v2
	ds_load_b64 v[36:37], v36 offset:13312
	s_wait_dscnt 0x1
	v_add_nc_u32_e32 v2, v2, v52
	s_delay_alu instid0(VALU_DEP_1) | instskip(NEXT) | instid1(VALU_DEP_1)
	v_lshlrev_b64_e32 v[39:40], 3, v[2:3]
	v_add_co_u32 v39, vcc_lo, s44, v39
	s_wait_alu 0xfffd
	s_delay_alu instid0(VALU_DEP_2)
	v_add_co_ci_u32_e64 v40, null, s45, v40, vcc_lo
	s_wait_dscnt 0x0
	global_store_b64 v[39:40], v[36:37], off
	s_wait_alu 0xfffe
	s_or_b32 exec_lo, exec_lo, s15
	s_and_saveexec_b32 s15, s21
	s_cbranch_execz .LBB635_826
.LBB635_890:                            ;   in Loop: Header=BB635_690 Depth=2
	v_lshlrev_b32_e32 v2, 2, v127
	v_add_nc_u32_e32 v36, v70, v44
	ds_load_b32 v2, v2
	ds_load_b64 v[36:37], v36 offset:15360
	s_wait_dscnt 0x1
	v_add_nc_u32_e32 v2, v2, v53
	s_delay_alu instid0(VALU_DEP_1) | instskip(NEXT) | instid1(VALU_DEP_1)
	v_lshlrev_b64_e32 v[39:40], 3, v[2:3]
	v_add_co_u32 v39, vcc_lo, s44, v39
	s_wait_alu 0xfffd
	s_delay_alu instid0(VALU_DEP_2)
	v_add_co_ci_u32_e64 v40, null, s45, v40, vcc_lo
	s_wait_dscnt 0x0
	global_store_b64 v[39:40], v[36:37], off
	s_wait_alu 0xfffe
	s_or_b32 exec_lo, exec_lo, s15
	s_and_saveexec_b32 s15, s22
	s_cbranch_execz .LBB635_827
.LBB635_891:                            ;   in Loop: Header=BB635_690 Depth=2
	v_lshlrev_b32_e32 v2, 2, v126
	v_add_nc_u32_e32 v36, v70, v44
	ds_load_b32 v2, v2
	ds_load_b64 v[36:37], v36 offset:17408
	s_wait_dscnt 0x1
	v_add_nc_u32_e32 v2, v2, v54
	s_delay_alu instid0(VALU_DEP_1) | instskip(NEXT) | instid1(VALU_DEP_1)
	v_lshlrev_b64_e32 v[39:40], 3, v[2:3]
	v_add_co_u32 v39, vcc_lo, s44, v39
	s_wait_alu 0xfffd
	s_delay_alu instid0(VALU_DEP_2)
	v_add_co_ci_u32_e64 v40, null, s45, v40, vcc_lo
	s_wait_dscnt 0x0
	global_store_b64 v[39:40], v[36:37], off
	s_wait_alu 0xfffe
	s_or_b32 exec_lo, exec_lo, s15
	s_and_saveexec_b32 s15, s23
	s_cbranch_execz .LBB635_828
.LBB635_892:                            ;   in Loop: Header=BB635_690 Depth=2
	v_lshlrev_b32_e32 v2, 2, v125
	v_add_nc_u32_e32 v36, v70, v44
	ds_load_b32 v2, v2
	ds_load_b64 v[36:37], v36 offset:19456
	s_wait_dscnt 0x1
	v_add_nc_u32_e32 v2, v2, v55
	s_delay_alu instid0(VALU_DEP_1) | instskip(NEXT) | instid1(VALU_DEP_1)
	v_lshlrev_b64_e32 v[39:40], 3, v[2:3]
	v_add_co_u32 v39, vcc_lo, s44, v39
	s_wait_alu 0xfffd
	s_delay_alu instid0(VALU_DEP_2)
	v_add_co_ci_u32_e64 v40, null, s45, v40, vcc_lo
	s_wait_dscnt 0x0
	global_store_b64 v[39:40], v[36:37], off
	s_wait_alu 0xfffe
	s_or_b32 exec_lo, exec_lo, s15
	s_and_saveexec_b32 s15, s24
	s_cbranch_execz .LBB635_829
.LBB635_893:                            ;   in Loop: Header=BB635_690 Depth=2
	v_lshlrev_b32_e32 v2, 2, v124
	v_add_nc_u32_e32 v36, v70, v44
	ds_load_b32 v2, v2
	ds_load_b64 v[36:37], v36 offset:21504
	s_wait_dscnt 0x1
	v_add_nc_u32_e32 v2, v2, v56
	s_delay_alu instid0(VALU_DEP_1) | instskip(NEXT) | instid1(VALU_DEP_1)
	v_lshlrev_b64_e32 v[39:40], 3, v[2:3]
	v_add_co_u32 v39, vcc_lo, s44, v39
	s_wait_alu 0xfffd
	s_delay_alu instid0(VALU_DEP_2)
	v_add_co_ci_u32_e64 v40, null, s45, v40, vcc_lo
	s_wait_dscnt 0x0
	global_store_b64 v[39:40], v[36:37], off
	s_wait_alu 0xfffe
	s_or_b32 exec_lo, exec_lo, s15
	s_and_saveexec_b32 s15, s25
	s_cbranch_execz .LBB635_830
.LBB635_894:                            ;   in Loop: Header=BB635_690 Depth=2
	v_lshlrev_b32_e32 v2, 2, v123
	v_add_nc_u32_e32 v36, v70, v44
	ds_load_b32 v2, v2
	ds_load_b64 v[36:37], v36 offset:23552
	s_wait_dscnt 0x1
	v_add_nc_u32_e32 v2, v2, v57
	s_delay_alu instid0(VALU_DEP_1) | instskip(NEXT) | instid1(VALU_DEP_1)
	v_lshlrev_b64_e32 v[39:40], 3, v[2:3]
	v_add_co_u32 v39, vcc_lo, s44, v39
	s_wait_alu 0xfffd
	s_delay_alu instid0(VALU_DEP_2)
	v_add_co_ci_u32_e64 v40, null, s45, v40, vcc_lo
	s_wait_dscnt 0x0
	global_store_b64 v[39:40], v[36:37], off
	s_wait_alu 0xfffe
	s_or_b32 exec_lo, exec_lo, s15
	s_and_saveexec_b32 s15, s26
	s_cbranch_execz .LBB635_831
.LBB635_895:                            ;   in Loop: Header=BB635_690 Depth=2
	v_lshlrev_b32_e32 v2, 2, v122
	v_add_nc_u32_e32 v36, v70, v44
	ds_load_b32 v2, v2
	ds_load_b64 v[36:37], v36 offset:25600
	s_wait_dscnt 0x1
	v_add_nc_u32_e32 v2, v2, v58
	s_delay_alu instid0(VALU_DEP_1) | instskip(NEXT) | instid1(VALU_DEP_1)
	v_lshlrev_b64_e32 v[39:40], 3, v[2:3]
	v_add_co_u32 v39, vcc_lo, s44, v39
	s_wait_alu 0xfffd
	s_delay_alu instid0(VALU_DEP_2)
	v_add_co_ci_u32_e64 v40, null, s45, v40, vcc_lo
	s_wait_dscnt 0x0
	global_store_b64 v[39:40], v[36:37], off
	s_wait_alu 0xfffe
	s_or_b32 exec_lo, exec_lo, s15
	s_and_saveexec_b32 s15, s27
	s_cbranch_execz .LBB635_832
.LBB635_896:                            ;   in Loop: Header=BB635_690 Depth=2
	v_lshlrev_b32_e32 v2, 2, v121
	v_add_nc_u32_e32 v36, v70, v44
	ds_load_b32 v2, v2
	ds_load_b64 v[36:37], v36 offset:27648
	s_wait_dscnt 0x1
	v_add_nc_u32_e32 v2, v2, v59
	s_delay_alu instid0(VALU_DEP_1) | instskip(NEXT) | instid1(VALU_DEP_1)
	v_lshlrev_b64_e32 v[39:40], 3, v[2:3]
	v_add_co_u32 v39, vcc_lo, s44, v39
	s_wait_alu 0xfffd
	s_delay_alu instid0(VALU_DEP_2)
	v_add_co_ci_u32_e64 v40, null, s45, v40, vcc_lo
	s_wait_dscnt 0x0
	global_store_b64 v[39:40], v[36:37], off
	s_wait_alu 0xfffe
	s_or_b32 exec_lo, exec_lo, s15
	s_and_saveexec_b32 s15, s28
	s_cbranch_execz .LBB635_833
.LBB635_897:                            ;   in Loop: Header=BB635_690 Depth=2
	v_lshlrev_b32_e32 v2, 2, v120
	v_add_nc_u32_e32 v36, v70, v44
	ds_load_b32 v2, v2
	ds_load_b64 v[36:37], v36 offset:29696
	s_wait_dscnt 0x1
	v_add_nc_u32_e32 v2, v2, v60
	s_delay_alu instid0(VALU_DEP_1) | instskip(NEXT) | instid1(VALU_DEP_1)
	v_lshlrev_b64_e32 v[39:40], 3, v[2:3]
	v_add_co_u32 v39, vcc_lo, s44, v39
	s_wait_alu 0xfffd
	s_delay_alu instid0(VALU_DEP_2)
	v_add_co_ci_u32_e64 v40, null, s45, v40, vcc_lo
	s_wait_dscnt 0x0
	global_store_b64 v[39:40], v[36:37], off
	s_wait_alu 0xfffe
	s_or_b32 exec_lo, exec_lo, s15
	s_and_saveexec_b32 s15, s29
	s_cbranch_execnz .LBB635_834
	s_branch .LBB635_835
.LBB635_898:                            ;   in Loop: Header=BB635_20 Depth=1
	s_wait_loadcnt_dscnt 0x0
	s_barrier_signal -1
	s_mov_b32 s0, 0
	s_barrier_wait -1
.LBB635_899:                            ;   in Loop: Header=BB635_20 Depth=1
	s_wait_alu 0xfffe
	s_and_b32 vcc_lo, exec_lo, s0
	s_wait_alu 0xfffe
	s_cbranch_vccz .LBB635_19
; %bb.900:                              ;   in Loop: Header=BB635_20 Depth=1
	s_mov_b32 s9, s53
	s_mov_b32 s42, s33
	s_barrier_signal -1
	s_barrier_wait -1
	global_inv scope:SCOPE_SE
                                        ; implicit-def: $vgpr2
                                        ; implicit-def: $vgpr4
                                        ; implicit-def: $vgpr5
                                        ; implicit-def: $vgpr6
                                        ; implicit-def: $vgpr7
                                        ; implicit-def: $vgpr8
                                        ; implicit-def: $vgpr9
                                        ; implicit-def: $vgpr10
                                        ; implicit-def: $vgpr11
                                        ; implicit-def: $vgpr12
                                        ; implicit-def: $vgpr13
                                        ; implicit-def: $vgpr14
                                        ; implicit-def: $vgpr15
                                        ; implicit-def: $vgpr16
                                        ; implicit-def: $vgpr17
                                        ; implicit-def: $vgpr18
	s_branch .LBB635_902
.LBB635_901:                            ;   in Loop: Header=BB635_902 Depth=2
	s_wait_alu 0xfffe
	s_or_b32 exec_lo, exec_lo, s0
	s_addk_co_i32 s9, 0xf000
	s_cmp_ge_u32 s10, s51
	s_mov_b32 s42, s10
	s_cbranch_scc1 .LBB635_970
.LBB635_902:                            ;   Parent Loop BB635_20 Depth=1
                                        ; =>  This Inner Loop Header: Depth=2
	s_wait_alu 0xfffe
	s_add_co_i32 s10, s42, 0x1000
	s_mov_b32 s0, -1
	s_wait_alu 0xfffe
	s_cmp_gt_u32 s10, s51
                                        ; implicit-def: $vgpr19
                                        ; implicit-def: $vgpr20
                                        ; implicit-def: $vgpr21
                                        ; implicit-def: $vgpr22
                                        ; implicit-def: $vgpr23
                                        ; implicit-def: $vgpr24
                                        ; implicit-def: $vgpr25
                                        ; implicit-def: $vgpr26
                                        ; implicit-def: $vgpr27
                                        ; implicit-def: $vgpr28
                                        ; implicit-def: $vgpr29
                                        ; implicit-def: $vgpr30
                                        ; implicit-def: $vgpr31
                                        ; implicit-def: $vgpr32
                                        ; implicit-def: $vgpr33
                                        ; implicit-def: $vgpr34
	s_cbranch_scc1 .LBB635_904
; %bb.903:                              ;   in Loop: Header=BB635_902 Depth=2
	s_lshl_b64 s[0:1], s[42:43], 2
	s_wait_alu 0xfffe
	v_add_co_u32 v34, vcc_lo, v77, s0
	s_wait_alu 0xfffd
	v_add_co_ci_u32_e64 v35, null, s1, v78, vcc_lo
	s_mov_b32 s0, 0
	s_clause 0xf
	global_load_b32 v19, v[34:35], off
	global_load_b32 v20, v[34:35], off offset:1024
	global_load_b32 v21, v[34:35], off offset:2048
	;; [unrolled: 1-line block ×15, first 2 shown]
.LBB635_904:                            ;   in Loop: Header=BB635_902 Depth=2
	s_wait_alu 0xfffe
	s_and_not1_b32 vcc_lo, exec_lo, s0
	s_movk_i32 s0, 0x1000
	s_wait_alu 0xfffe
	s_cbranch_vccnz .LBB635_923
; %bb.905:                              ;   in Loop: Header=BB635_902 Depth=2
	s_lshl_b64 s[0:1], s[42:43], 2
	s_mov_b32 s11, exec_lo
	s_wait_alu 0xfffe
	s_add_nc_u64 s[0:1], s[36:37], s[0:1]
	v_cmpx_gt_u32_e64 s9, v1
	s_cbranch_execnz .LBB635_955
; %bb.906:                              ;   in Loop: Header=BB635_902 Depth=2
	s_or_b32 exec_lo, exec_lo, s11
	s_delay_alu instid0(SALU_CYCLE_1)
	s_mov_b32 s11, exec_lo
	v_cmpx_gt_u32_e64 s9, v45
	s_cbranch_execnz .LBB635_956
.LBB635_907:                            ;   in Loop: Header=BB635_902 Depth=2
	s_wait_alu 0xfffe
	s_or_b32 exec_lo, exec_lo, s11
	s_delay_alu instid0(SALU_CYCLE_1)
	s_mov_b32 s11, exec_lo
	v_cmpx_gt_u32_e64 s9, v46
	s_cbranch_execnz .LBB635_957
.LBB635_908:                            ;   in Loop: Header=BB635_902 Depth=2
	s_wait_alu 0xfffe
	s_or_b32 exec_lo, exec_lo, s11
	s_delay_alu instid0(SALU_CYCLE_1)
	s_mov_b32 s11, exec_lo
	v_cmpx_gt_u32_e64 s9, v47
	s_cbranch_execnz .LBB635_958
.LBB635_909:                            ;   in Loop: Header=BB635_902 Depth=2
	s_wait_alu 0xfffe
	s_or_b32 exec_lo, exec_lo, s11
	s_delay_alu instid0(SALU_CYCLE_1)
	s_mov_b32 s11, exec_lo
	v_cmpx_gt_u32_e64 s9, v50
	s_cbranch_execnz .LBB635_959
.LBB635_910:                            ;   in Loop: Header=BB635_902 Depth=2
	s_wait_alu 0xfffe
	s_or_b32 exec_lo, exec_lo, s11
	s_delay_alu instid0(SALU_CYCLE_1)
	s_mov_b32 s11, exec_lo
	v_cmpx_gt_u32_e64 s9, v51
	s_cbranch_execnz .LBB635_960
.LBB635_911:                            ;   in Loop: Header=BB635_902 Depth=2
	s_wait_alu 0xfffe
	s_or_b32 exec_lo, exec_lo, s11
	s_delay_alu instid0(SALU_CYCLE_1)
	s_mov_b32 s11, exec_lo
	v_cmpx_gt_u32_e64 s9, v52
	s_cbranch_execnz .LBB635_961
.LBB635_912:                            ;   in Loop: Header=BB635_902 Depth=2
	s_wait_alu 0xfffe
	s_or_b32 exec_lo, exec_lo, s11
	s_delay_alu instid0(SALU_CYCLE_1)
	s_mov_b32 s11, exec_lo
	v_cmpx_gt_u32_e64 s9, v53
	s_cbranch_execnz .LBB635_962
.LBB635_913:                            ;   in Loop: Header=BB635_902 Depth=2
	s_wait_alu 0xfffe
	s_or_b32 exec_lo, exec_lo, s11
	s_delay_alu instid0(SALU_CYCLE_1)
	s_mov_b32 s11, exec_lo
	v_cmpx_gt_u32_e64 s9, v54
	s_cbranch_execnz .LBB635_963
.LBB635_914:                            ;   in Loop: Header=BB635_902 Depth=2
	s_wait_alu 0xfffe
	s_or_b32 exec_lo, exec_lo, s11
	s_delay_alu instid0(SALU_CYCLE_1)
	s_mov_b32 s11, exec_lo
	v_cmpx_gt_u32_e64 s9, v55
	s_cbranch_execnz .LBB635_964
.LBB635_915:                            ;   in Loop: Header=BB635_902 Depth=2
	s_wait_alu 0xfffe
	s_or_b32 exec_lo, exec_lo, s11
	s_delay_alu instid0(SALU_CYCLE_1)
	s_mov_b32 s11, exec_lo
	v_cmpx_gt_u32_e64 s9, v56
	s_cbranch_execnz .LBB635_965
.LBB635_916:                            ;   in Loop: Header=BB635_902 Depth=2
	s_wait_alu 0xfffe
	s_or_b32 exec_lo, exec_lo, s11
	s_delay_alu instid0(SALU_CYCLE_1)
	s_mov_b32 s11, exec_lo
	v_cmpx_gt_u32_e64 s9, v57
	s_cbranch_execnz .LBB635_966
.LBB635_917:                            ;   in Loop: Header=BB635_902 Depth=2
	s_wait_alu 0xfffe
	s_or_b32 exec_lo, exec_lo, s11
	s_delay_alu instid0(SALU_CYCLE_1)
	s_mov_b32 s11, exec_lo
	v_cmpx_gt_u32_e64 s9, v58
	s_cbranch_execnz .LBB635_967
.LBB635_918:                            ;   in Loop: Header=BB635_902 Depth=2
	s_wait_alu 0xfffe
	s_or_b32 exec_lo, exec_lo, s11
	s_delay_alu instid0(SALU_CYCLE_1)
	s_mov_b32 s11, exec_lo
	v_cmpx_gt_u32_e64 s9, v59
	s_cbranch_execnz .LBB635_968
.LBB635_919:                            ;   in Loop: Header=BB635_902 Depth=2
	s_wait_alu 0xfffe
	s_or_b32 exec_lo, exec_lo, s11
	s_delay_alu instid0(SALU_CYCLE_1)
	s_mov_b32 s11, exec_lo
	v_cmpx_gt_u32_e64 s9, v60
	s_cbranch_execnz .LBB635_969
.LBB635_920:                            ;   in Loop: Header=BB635_902 Depth=2
	s_wait_alu 0xfffe
	s_or_b32 exec_lo, exec_lo, s11
	s_delay_alu instid0(SALU_CYCLE_1)
	s_mov_b32 s11, exec_lo
	v_cmpx_gt_u32_e64 s9, v61
	s_cbranch_execz .LBB635_922
.LBB635_921:                            ;   in Loop: Header=BB635_902 Depth=2
	global_load_b32 v2, v108, s[0:1] offset:15360
.LBB635_922:                            ;   in Loop: Header=BB635_902 Depth=2
	s_wait_alu 0xfffe
	s_or_b32 exec_lo, exec_lo, s11
	s_wait_loadcnt 0x0
	v_dual_mov_b32 v19, v18 :: v_dual_mov_b32 v20, v17
	v_dual_mov_b32 v21, v16 :: v_dual_mov_b32 v22, v15
	;; [unrolled: 1-line block ×8, first 2 shown]
	s_mov_b32 s0, s9
.LBB635_923:                            ;   in Loop: Header=BB635_902 Depth=2
	s_wait_loadcnt 0x0
	s_delay_alu instid0(VALU_DEP_1) | instskip(NEXT) | instid1(VALU_DEP_2)
	v_dual_mov_b32 v2, v34 :: v_dual_mov_b32 v5, v32
	v_dual_mov_b32 v4, v33 :: v_dual_mov_b32 v7, v30
	;; [unrolled: 1-line block ×7, first 2 shown]
	v_mov_b32_e32 v16, v21
	v_mov_b32_e32 v18, v19
	s_mov_b32 s1, exec_lo
	s_wait_alu 0xfffe
	v_cmpx_gt_u32_e64 s0, v1
	s_cbranch_execnz .LBB635_939
; %bb.924:                              ;   in Loop: Header=BB635_902 Depth=2
	s_or_b32 exec_lo, exec_lo, s1
	s_delay_alu instid0(SALU_CYCLE_1)
	s_mov_b32 s1, exec_lo
	v_cmpx_gt_u32_e64 s0, v45
	s_cbranch_execnz .LBB635_940
.LBB635_925:                            ;   in Loop: Header=BB635_902 Depth=2
	s_wait_alu 0xfffe
	s_or_b32 exec_lo, exec_lo, s1
	s_delay_alu instid0(SALU_CYCLE_1)
	s_mov_b32 s1, exec_lo
	v_cmpx_gt_u32_e64 s0, v46
	s_cbranch_execnz .LBB635_941
.LBB635_926:                            ;   in Loop: Header=BB635_902 Depth=2
	s_wait_alu 0xfffe
	s_or_b32 exec_lo, exec_lo, s1
	s_delay_alu instid0(SALU_CYCLE_1)
	s_mov_b32 s1, exec_lo
	v_cmpx_gt_u32_e64 s0, v47
	s_cbranch_execnz .LBB635_942
.LBB635_927:                            ;   in Loop: Header=BB635_902 Depth=2
	s_wait_alu 0xfffe
	s_or_b32 exec_lo, exec_lo, s1
	s_delay_alu instid0(SALU_CYCLE_1)
	s_mov_b32 s1, exec_lo
	v_cmpx_gt_u32_e64 s0, v50
	s_cbranch_execnz .LBB635_943
.LBB635_928:                            ;   in Loop: Header=BB635_902 Depth=2
	s_wait_alu 0xfffe
	s_or_b32 exec_lo, exec_lo, s1
	s_delay_alu instid0(SALU_CYCLE_1)
	s_mov_b32 s1, exec_lo
	v_cmpx_gt_u32_e64 s0, v51
	s_cbranch_execnz .LBB635_944
.LBB635_929:                            ;   in Loop: Header=BB635_902 Depth=2
	s_wait_alu 0xfffe
	s_or_b32 exec_lo, exec_lo, s1
	s_delay_alu instid0(SALU_CYCLE_1)
	s_mov_b32 s1, exec_lo
	v_cmpx_gt_u32_e64 s0, v52
	s_cbranch_execnz .LBB635_945
.LBB635_930:                            ;   in Loop: Header=BB635_902 Depth=2
	s_wait_alu 0xfffe
	s_or_b32 exec_lo, exec_lo, s1
	s_delay_alu instid0(SALU_CYCLE_1)
	s_mov_b32 s1, exec_lo
	v_cmpx_gt_u32_e64 s0, v53
	s_cbranch_execnz .LBB635_946
.LBB635_931:                            ;   in Loop: Header=BB635_902 Depth=2
	s_wait_alu 0xfffe
	s_or_b32 exec_lo, exec_lo, s1
	s_delay_alu instid0(SALU_CYCLE_1)
	s_mov_b32 s1, exec_lo
	v_cmpx_gt_u32_e64 s0, v54
	s_cbranch_execnz .LBB635_947
.LBB635_932:                            ;   in Loop: Header=BB635_902 Depth=2
	s_wait_alu 0xfffe
	s_or_b32 exec_lo, exec_lo, s1
	s_delay_alu instid0(SALU_CYCLE_1)
	s_mov_b32 s1, exec_lo
	v_cmpx_gt_u32_e64 s0, v55
	s_cbranch_execnz .LBB635_948
.LBB635_933:                            ;   in Loop: Header=BB635_902 Depth=2
	s_wait_alu 0xfffe
	s_or_b32 exec_lo, exec_lo, s1
	s_delay_alu instid0(SALU_CYCLE_1)
	s_mov_b32 s1, exec_lo
	v_cmpx_gt_u32_e64 s0, v56
	s_cbranch_execnz .LBB635_949
.LBB635_934:                            ;   in Loop: Header=BB635_902 Depth=2
	s_wait_alu 0xfffe
	s_or_b32 exec_lo, exec_lo, s1
	s_delay_alu instid0(SALU_CYCLE_1)
	s_mov_b32 s1, exec_lo
	v_cmpx_gt_u32_e64 s0, v57
	s_cbranch_execnz .LBB635_950
.LBB635_935:                            ;   in Loop: Header=BB635_902 Depth=2
	s_wait_alu 0xfffe
	s_or_b32 exec_lo, exec_lo, s1
	s_delay_alu instid0(SALU_CYCLE_1)
	s_mov_b32 s1, exec_lo
	v_cmpx_gt_u32_e64 s0, v58
	s_cbranch_execnz .LBB635_951
.LBB635_936:                            ;   in Loop: Header=BB635_902 Depth=2
	s_wait_alu 0xfffe
	s_or_b32 exec_lo, exec_lo, s1
	s_delay_alu instid0(SALU_CYCLE_1)
	s_mov_b32 s1, exec_lo
	v_cmpx_gt_u32_e64 s0, v59
	s_cbranch_execnz .LBB635_952
.LBB635_937:                            ;   in Loop: Header=BB635_902 Depth=2
	s_wait_alu 0xfffe
	s_or_b32 exec_lo, exec_lo, s1
	s_delay_alu instid0(SALU_CYCLE_1)
	s_mov_b32 s1, exec_lo
	v_cmpx_gt_u32_e64 s0, v60
	s_cbranch_execnz .LBB635_953
.LBB635_938:                            ;   in Loop: Header=BB635_902 Depth=2
	s_wait_alu 0xfffe
	s_or_b32 exec_lo, exec_lo, s1
	v_cmp_gt_u32_e32 vcc_lo, s0, v61
	s_and_saveexec_b32 s0, vcc_lo
	s_cbranch_execz .LBB635_901
	s_branch .LBB635_954
.LBB635_939:                            ;   in Loop: Header=BB635_902 Depth=2
	v_xor_b32_e32 v19, 0x80000000, v18
	s_delay_alu instid0(VALU_DEP_1) | instskip(NEXT) | instid1(VALU_DEP_1)
	v_lshrrev_b32_e32 v19, s49, v19
	v_and_b32_e32 v19, s48, v19
	s_delay_alu instid0(VALU_DEP_1) | instskip(SKIP_2) | instid1(SALU_CYCLE_1)
	v_lshl_or_b32 v19, v19, 4, v62
	ds_add_u32 v19, v84
	s_or_b32 exec_lo, exec_lo, s1
	s_mov_b32 s1, exec_lo
	v_cmpx_gt_u32_e64 s0, v45
	s_cbranch_execz .LBB635_925
.LBB635_940:                            ;   in Loop: Header=BB635_902 Depth=2
	v_xor_b32_e32 v19, 0x80000000, v17
	s_delay_alu instid0(VALU_DEP_1) | instskip(NEXT) | instid1(VALU_DEP_1)
	v_lshrrev_b32_e32 v19, s49, v19
	v_and_b32_e32 v19, s48, v19
	s_delay_alu instid0(VALU_DEP_1) | instskip(SKIP_3) | instid1(SALU_CYCLE_1)
	v_lshl_or_b32 v19, v19, 4, v62
	ds_add_u32 v19, v84
	s_wait_alu 0xfffe
	s_or_b32 exec_lo, exec_lo, s1
	s_mov_b32 s1, exec_lo
	v_cmpx_gt_u32_e64 s0, v46
	s_cbranch_execz .LBB635_926
.LBB635_941:                            ;   in Loop: Header=BB635_902 Depth=2
	v_xor_b32_e32 v19, 0x80000000, v16
	s_delay_alu instid0(VALU_DEP_1) | instskip(NEXT) | instid1(VALU_DEP_1)
	v_lshrrev_b32_e32 v19, s49, v19
	v_and_b32_e32 v19, s48, v19
	s_delay_alu instid0(VALU_DEP_1) | instskip(SKIP_3) | instid1(SALU_CYCLE_1)
	v_lshl_or_b32 v19, v19, 4, v62
	ds_add_u32 v19, v84
	s_wait_alu 0xfffe
	s_or_b32 exec_lo, exec_lo, s1
	s_mov_b32 s1, exec_lo
	v_cmpx_gt_u32_e64 s0, v47
	s_cbranch_execz .LBB635_927
.LBB635_942:                            ;   in Loop: Header=BB635_902 Depth=2
	v_xor_b32_e32 v19, 0x80000000, v15
	s_delay_alu instid0(VALU_DEP_1) | instskip(NEXT) | instid1(VALU_DEP_1)
	v_lshrrev_b32_e32 v19, s49, v19
	v_and_b32_e32 v19, s48, v19
	s_delay_alu instid0(VALU_DEP_1) | instskip(SKIP_3) | instid1(SALU_CYCLE_1)
	v_lshl_or_b32 v19, v19, 4, v62
	ds_add_u32 v19, v84
	s_wait_alu 0xfffe
	s_or_b32 exec_lo, exec_lo, s1
	s_mov_b32 s1, exec_lo
	v_cmpx_gt_u32_e64 s0, v50
	s_cbranch_execz .LBB635_928
.LBB635_943:                            ;   in Loop: Header=BB635_902 Depth=2
	v_xor_b32_e32 v19, 0x80000000, v14
	s_delay_alu instid0(VALU_DEP_1) | instskip(NEXT) | instid1(VALU_DEP_1)
	v_lshrrev_b32_e32 v19, s49, v19
	v_and_b32_e32 v19, s48, v19
	s_delay_alu instid0(VALU_DEP_1) | instskip(SKIP_3) | instid1(SALU_CYCLE_1)
	v_lshl_or_b32 v19, v19, 4, v62
	ds_add_u32 v19, v84
	s_wait_alu 0xfffe
	s_or_b32 exec_lo, exec_lo, s1
	s_mov_b32 s1, exec_lo
	v_cmpx_gt_u32_e64 s0, v51
	s_cbranch_execz .LBB635_929
.LBB635_944:                            ;   in Loop: Header=BB635_902 Depth=2
	v_xor_b32_e32 v19, 0x80000000, v13
	s_delay_alu instid0(VALU_DEP_1) | instskip(NEXT) | instid1(VALU_DEP_1)
	v_lshrrev_b32_e32 v19, s49, v19
	v_and_b32_e32 v19, s48, v19
	s_delay_alu instid0(VALU_DEP_1) | instskip(SKIP_3) | instid1(SALU_CYCLE_1)
	v_lshl_or_b32 v19, v19, 4, v62
	ds_add_u32 v19, v84
	s_wait_alu 0xfffe
	s_or_b32 exec_lo, exec_lo, s1
	s_mov_b32 s1, exec_lo
	v_cmpx_gt_u32_e64 s0, v52
	s_cbranch_execz .LBB635_930
.LBB635_945:                            ;   in Loop: Header=BB635_902 Depth=2
	v_xor_b32_e32 v19, 0x80000000, v12
	s_delay_alu instid0(VALU_DEP_1) | instskip(NEXT) | instid1(VALU_DEP_1)
	v_lshrrev_b32_e32 v19, s49, v19
	v_and_b32_e32 v19, s48, v19
	s_delay_alu instid0(VALU_DEP_1) | instskip(SKIP_3) | instid1(SALU_CYCLE_1)
	v_lshl_or_b32 v19, v19, 4, v62
	ds_add_u32 v19, v84
	s_wait_alu 0xfffe
	s_or_b32 exec_lo, exec_lo, s1
	s_mov_b32 s1, exec_lo
	v_cmpx_gt_u32_e64 s0, v53
	s_cbranch_execz .LBB635_931
.LBB635_946:                            ;   in Loop: Header=BB635_902 Depth=2
	v_xor_b32_e32 v19, 0x80000000, v11
	s_delay_alu instid0(VALU_DEP_1) | instskip(NEXT) | instid1(VALU_DEP_1)
	v_lshrrev_b32_e32 v19, s49, v19
	v_and_b32_e32 v19, s48, v19
	s_delay_alu instid0(VALU_DEP_1) | instskip(SKIP_3) | instid1(SALU_CYCLE_1)
	v_lshl_or_b32 v19, v19, 4, v62
	ds_add_u32 v19, v84
	s_wait_alu 0xfffe
	s_or_b32 exec_lo, exec_lo, s1
	s_mov_b32 s1, exec_lo
	v_cmpx_gt_u32_e64 s0, v54
	s_cbranch_execz .LBB635_932
.LBB635_947:                            ;   in Loop: Header=BB635_902 Depth=2
	v_xor_b32_e32 v19, 0x80000000, v10
	s_delay_alu instid0(VALU_DEP_1) | instskip(NEXT) | instid1(VALU_DEP_1)
	v_lshrrev_b32_e32 v19, s49, v19
	v_and_b32_e32 v19, s48, v19
	s_delay_alu instid0(VALU_DEP_1) | instskip(SKIP_3) | instid1(SALU_CYCLE_1)
	v_lshl_or_b32 v19, v19, 4, v62
	ds_add_u32 v19, v84
	s_wait_alu 0xfffe
	s_or_b32 exec_lo, exec_lo, s1
	s_mov_b32 s1, exec_lo
	v_cmpx_gt_u32_e64 s0, v55
	s_cbranch_execz .LBB635_933
.LBB635_948:                            ;   in Loop: Header=BB635_902 Depth=2
	v_xor_b32_e32 v19, 0x80000000, v9
	s_delay_alu instid0(VALU_DEP_1) | instskip(NEXT) | instid1(VALU_DEP_1)
	v_lshrrev_b32_e32 v19, s49, v19
	v_and_b32_e32 v19, s48, v19
	s_delay_alu instid0(VALU_DEP_1) | instskip(SKIP_3) | instid1(SALU_CYCLE_1)
	v_lshl_or_b32 v19, v19, 4, v62
	ds_add_u32 v19, v84
	s_wait_alu 0xfffe
	s_or_b32 exec_lo, exec_lo, s1
	s_mov_b32 s1, exec_lo
	v_cmpx_gt_u32_e64 s0, v56
	s_cbranch_execz .LBB635_934
.LBB635_949:                            ;   in Loop: Header=BB635_902 Depth=2
	v_xor_b32_e32 v19, 0x80000000, v8
	s_delay_alu instid0(VALU_DEP_1) | instskip(NEXT) | instid1(VALU_DEP_1)
	v_lshrrev_b32_e32 v19, s49, v19
	v_and_b32_e32 v19, s48, v19
	s_delay_alu instid0(VALU_DEP_1) | instskip(SKIP_3) | instid1(SALU_CYCLE_1)
	v_lshl_or_b32 v19, v19, 4, v62
	ds_add_u32 v19, v84
	s_wait_alu 0xfffe
	s_or_b32 exec_lo, exec_lo, s1
	s_mov_b32 s1, exec_lo
	v_cmpx_gt_u32_e64 s0, v57
	s_cbranch_execz .LBB635_935
.LBB635_950:                            ;   in Loop: Header=BB635_902 Depth=2
	v_xor_b32_e32 v19, 0x80000000, v7
	s_delay_alu instid0(VALU_DEP_1) | instskip(NEXT) | instid1(VALU_DEP_1)
	v_lshrrev_b32_e32 v19, s49, v19
	v_and_b32_e32 v19, s48, v19
	s_delay_alu instid0(VALU_DEP_1) | instskip(SKIP_3) | instid1(SALU_CYCLE_1)
	v_lshl_or_b32 v19, v19, 4, v62
	ds_add_u32 v19, v84
	s_wait_alu 0xfffe
	s_or_b32 exec_lo, exec_lo, s1
	s_mov_b32 s1, exec_lo
	v_cmpx_gt_u32_e64 s0, v58
	s_cbranch_execz .LBB635_936
.LBB635_951:                            ;   in Loop: Header=BB635_902 Depth=2
	v_xor_b32_e32 v19, 0x80000000, v6
	s_delay_alu instid0(VALU_DEP_1) | instskip(NEXT) | instid1(VALU_DEP_1)
	v_lshrrev_b32_e32 v19, s49, v19
	v_and_b32_e32 v19, s48, v19
	s_delay_alu instid0(VALU_DEP_1) | instskip(SKIP_3) | instid1(SALU_CYCLE_1)
	v_lshl_or_b32 v19, v19, 4, v62
	ds_add_u32 v19, v84
	s_wait_alu 0xfffe
	s_or_b32 exec_lo, exec_lo, s1
	s_mov_b32 s1, exec_lo
	v_cmpx_gt_u32_e64 s0, v59
	s_cbranch_execz .LBB635_937
.LBB635_952:                            ;   in Loop: Header=BB635_902 Depth=2
	v_xor_b32_e32 v19, 0x80000000, v5
	s_delay_alu instid0(VALU_DEP_1) | instskip(NEXT) | instid1(VALU_DEP_1)
	v_lshrrev_b32_e32 v19, s49, v19
	v_and_b32_e32 v19, s48, v19
	s_delay_alu instid0(VALU_DEP_1) | instskip(SKIP_3) | instid1(SALU_CYCLE_1)
	v_lshl_or_b32 v19, v19, 4, v62
	ds_add_u32 v19, v84
	s_wait_alu 0xfffe
	s_or_b32 exec_lo, exec_lo, s1
	s_mov_b32 s1, exec_lo
	v_cmpx_gt_u32_e64 s0, v60
	s_cbranch_execz .LBB635_938
.LBB635_953:                            ;   in Loop: Header=BB635_902 Depth=2
	v_xor_b32_e32 v19, 0x80000000, v4
	s_delay_alu instid0(VALU_DEP_1) | instskip(NEXT) | instid1(VALU_DEP_1)
	v_lshrrev_b32_e32 v19, s49, v19
	v_and_b32_e32 v19, s48, v19
	s_delay_alu instid0(VALU_DEP_1)
	v_lshl_or_b32 v19, v19, 4, v62
	ds_add_u32 v19, v84
	s_wait_alu 0xfffe
	s_or_b32 exec_lo, exec_lo, s1
	v_cmp_gt_u32_e32 vcc_lo, s0, v61
	s_and_saveexec_b32 s0, vcc_lo
	s_cbranch_execz .LBB635_901
.LBB635_954:                            ;   in Loop: Header=BB635_902 Depth=2
	v_xor_b32_e32 v19, 0x80000000, v2
	s_delay_alu instid0(VALU_DEP_1) | instskip(NEXT) | instid1(VALU_DEP_1)
	v_lshrrev_b32_e32 v19, s49, v19
	v_and_b32_e32 v19, s48, v19
	s_delay_alu instid0(VALU_DEP_1)
	v_lshl_or_b32 v19, v19, 4, v62
	ds_add_u32 v19, v84
	s_branch .LBB635_901
.LBB635_955:                            ;   in Loop: Header=BB635_902 Depth=2
	global_load_b32 v18, v108, s[0:1]
	s_or_b32 exec_lo, exec_lo, s11
	s_delay_alu instid0(SALU_CYCLE_1)
	s_mov_b32 s11, exec_lo
	v_cmpx_gt_u32_e64 s9, v45
	s_cbranch_execz .LBB635_907
.LBB635_956:                            ;   in Loop: Header=BB635_902 Depth=2
	global_load_b32 v17, v108, s[0:1] offset:1024
	s_wait_alu 0xfffe
	s_or_b32 exec_lo, exec_lo, s11
	s_delay_alu instid0(SALU_CYCLE_1)
	s_mov_b32 s11, exec_lo
	v_cmpx_gt_u32_e64 s9, v46
	s_cbranch_execz .LBB635_908
.LBB635_957:                            ;   in Loop: Header=BB635_902 Depth=2
	global_load_b32 v16, v108, s[0:1] offset:2048
	s_wait_alu 0xfffe
	s_or_b32 exec_lo, exec_lo, s11
	s_delay_alu instid0(SALU_CYCLE_1)
	s_mov_b32 s11, exec_lo
	v_cmpx_gt_u32_e64 s9, v47
	s_cbranch_execz .LBB635_909
.LBB635_958:                            ;   in Loop: Header=BB635_902 Depth=2
	global_load_b32 v15, v108, s[0:1] offset:3072
	s_wait_alu 0xfffe
	s_or_b32 exec_lo, exec_lo, s11
	s_delay_alu instid0(SALU_CYCLE_1)
	s_mov_b32 s11, exec_lo
	v_cmpx_gt_u32_e64 s9, v50
	s_cbranch_execz .LBB635_910
.LBB635_959:                            ;   in Loop: Header=BB635_902 Depth=2
	global_load_b32 v14, v108, s[0:1] offset:4096
	s_wait_alu 0xfffe
	s_or_b32 exec_lo, exec_lo, s11
	s_delay_alu instid0(SALU_CYCLE_1)
	s_mov_b32 s11, exec_lo
	v_cmpx_gt_u32_e64 s9, v51
	s_cbranch_execz .LBB635_911
.LBB635_960:                            ;   in Loop: Header=BB635_902 Depth=2
	global_load_b32 v13, v108, s[0:1] offset:5120
	s_wait_alu 0xfffe
	s_or_b32 exec_lo, exec_lo, s11
	s_delay_alu instid0(SALU_CYCLE_1)
	s_mov_b32 s11, exec_lo
	v_cmpx_gt_u32_e64 s9, v52
	s_cbranch_execz .LBB635_912
.LBB635_961:                            ;   in Loop: Header=BB635_902 Depth=2
	global_load_b32 v12, v108, s[0:1] offset:6144
	s_wait_alu 0xfffe
	s_or_b32 exec_lo, exec_lo, s11
	s_delay_alu instid0(SALU_CYCLE_1)
	s_mov_b32 s11, exec_lo
	v_cmpx_gt_u32_e64 s9, v53
	s_cbranch_execz .LBB635_913
.LBB635_962:                            ;   in Loop: Header=BB635_902 Depth=2
	global_load_b32 v11, v108, s[0:1] offset:7168
	s_wait_alu 0xfffe
	s_or_b32 exec_lo, exec_lo, s11
	s_delay_alu instid0(SALU_CYCLE_1)
	s_mov_b32 s11, exec_lo
	v_cmpx_gt_u32_e64 s9, v54
	s_cbranch_execz .LBB635_914
.LBB635_963:                            ;   in Loop: Header=BB635_902 Depth=2
	global_load_b32 v10, v108, s[0:1] offset:8192
	s_wait_alu 0xfffe
	s_or_b32 exec_lo, exec_lo, s11
	s_delay_alu instid0(SALU_CYCLE_1)
	s_mov_b32 s11, exec_lo
	v_cmpx_gt_u32_e64 s9, v55
	s_cbranch_execz .LBB635_915
.LBB635_964:                            ;   in Loop: Header=BB635_902 Depth=2
	global_load_b32 v9, v108, s[0:1] offset:9216
	s_wait_alu 0xfffe
	s_or_b32 exec_lo, exec_lo, s11
	s_delay_alu instid0(SALU_CYCLE_1)
	s_mov_b32 s11, exec_lo
	v_cmpx_gt_u32_e64 s9, v56
	s_cbranch_execz .LBB635_916
.LBB635_965:                            ;   in Loop: Header=BB635_902 Depth=2
	global_load_b32 v8, v108, s[0:1] offset:10240
	s_wait_alu 0xfffe
	s_or_b32 exec_lo, exec_lo, s11
	s_delay_alu instid0(SALU_CYCLE_1)
	s_mov_b32 s11, exec_lo
	v_cmpx_gt_u32_e64 s9, v57
	s_cbranch_execz .LBB635_917
.LBB635_966:                            ;   in Loop: Header=BB635_902 Depth=2
	global_load_b32 v7, v108, s[0:1] offset:11264
	s_wait_alu 0xfffe
	s_or_b32 exec_lo, exec_lo, s11
	s_delay_alu instid0(SALU_CYCLE_1)
	s_mov_b32 s11, exec_lo
	v_cmpx_gt_u32_e64 s9, v58
	s_cbranch_execz .LBB635_918
.LBB635_967:                            ;   in Loop: Header=BB635_902 Depth=2
	global_load_b32 v6, v108, s[0:1] offset:12288
	s_wait_alu 0xfffe
	s_or_b32 exec_lo, exec_lo, s11
	s_delay_alu instid0(SALU_CYCLE_1)
	s_mov_b32 s11, exec_lo
	v_cmpx_gt_u32_e64 s9, v59
	s_cbranch_execz .LBB635_919
.LBB635_968:                            ;   in Loop: Header=BB635_902 Depth=2
	global_load_b32 v5, v108, s[0:1] offset:13312
	s_wait_alu 0xfffe
	s_or_b32 exec_lo, exec_lo, s11
	s_delay_alu instid0(SALU_CYCLE_1)
	s_mov_b32 s11, exec_lo
	v_cmpx_gt_u32_e64 s9, v60
	s_cbranch_execz .LBB635_920
.LBB635_969:                            ;   in Loop: Header=BB635_902 Depth=2
	global_load_b32 v4, v108, s[0:1] offset:14336
	s_wait_alu 0xfffe
	s_or_b32 exec_lo, exec_lo, s11
	s_delay_alu instid0(SALU_CYCLE_1)
	s_mov_b32 s11, exec_lo
	v_cmpx_gt_u32_e64 s9, v61
	s_cbranch_execnz .LBB635_921
	s_branch .LBB635_922
.LBB635_970:                            ;   in Loop: Header=BB635_20 Depth=1
	v_mov_b32_e32 v2, 0
	s_wait_dscnt 0x0
	s_barrier_signal -1
	s_barrier_wait -1
	global_inv scope:SCOPE_SE
	s_and_saveexec_b32 s0, s2
	s_cbranch_execz .LBB635_972
; %bb.971:                              ;   in Loop: Header=BB635_20 Depth=1
	ds_load_2addr_b64 v[4:7], v64 offset1:1
	s_wait_dscnt 0x0
	v_add_nc_u32_e32 v2, v5, v4
	s_delay_alu instid0(VALU_DEP_1)
	v_add3_u32 v2, v2, v6, v7
.LBB635_972:                            ;   in Loop: Header=BB635_20 Depth=1
	s_wait_alu 0xfffe
	s_or_b32 exec_lo, exec_lo, s0
	s_delay_alu instid0(VALU_DEP_1)
	v_mov_b32_dpp v4, v2 row_shr:1 row_mask:0xf bank_mask:0xf
	v_cmp_eq_u32_e64 s0, 0, v85
	v_cmp_lt_u32_e64 s1, 1, v85
	v_cmp_lt_u32_e64 s9, 3, v85
	;; [unrolled: 1-line block ×3, first 2 shown]
	v_cmp_eq_u32_e64 s11, 0, v87
	s_wait_alu 0xf1ff
	v_cndmask_b32_e64 v4, v4, 0, s0
	s_delay_alu instid0(VALU_DEP_1) | instskip(NEXT) | instid1(VALU_DEP_1)
	v_add_nc_u32_e32 v2, v4, v2
	v_mov_b32_dpp v4, v2 row_shr:2 row_mask:0xf bank_mask:0xf
	s_delay_alu instid0(VALU_DEP_1) | instskip(NEXT) | instid1(VALU_DEP_1)
	v_cndmask_b32_e64 v4, 0, v4, s1
	v_add_nc_u32_e32 v2, v2, v4
	s_delay_alu instid0(VALU_DEP_1) | instskip(NEXT) | instid1(VALU_DEP_1)
	v_mov_b32_dpp v4, v2 row_shr:4 row_mask:0xf bank_mask:0xf
	v_cndmask_b32_e64 v4, 0, v4, s9
	s_delay_alu instid0(VALU_DEP_1) | instskip(NEXT) | instid1(VALU_DEP_1)
	v_add_nc_u32_e32 v2, v2, v4
	v_mov_b32_dpp v4, v2 row_shr:8 row_mask:0xf bank_mask:0xf
	s_delay_alu instid0(VALU_DEP_1) | instskip(NEXT) | instid1(VALU_DEP_1)
	v_cndmask_b32_e64 v4, 0, v4, s10
	v_add_nc_u32_e32 v2, v2, v4
	ds_swizzle_b32 v4, v2 offset:swizzle(BROADCAST,32,15)
	s_wait_dscnt 0x0
	v_and_b32_e32 v4, v86, v4
	s_delay_alu instid0(VALU_DEP_1)
	v_add_nc_u32_e32 v2, v2, v4
	s_and_saveexec_b32 s12, s3
; %bb.973:                              ;   in Loop: Header=BB635_20 Depth=1
	ds_store_b32 v65, v2
; %bb.974:                              ;   in Loop: Header=BB635_20 Depth=1
	s_wait_alu 0xfffe
	s_or_b32 exec_lo, exec_lo, s12
	s_wait_loadcnt_dscnt 0x0
	s_barrier_signal -1
	s_barrier_wait -1
	global_inv scope:SCOPE_SE
	s_and_saveexec_b32 s12, s4
	s_cbranch_execz .LBB635_976
; %bb.975:                              ;   in Loop: Header=BB635_20 Depth=1
	ds_load_b32 v4, v66
	v_cmp_ne_u32_e32 vcc_lo, 0, v89
	s_wait_dscnt 0x0
	v_mov_b32_dpp v5, v4 row_shr:1 row_mask:0xf bank_mask:0xf
	s_wait_alu 0xfffd
	s_delay_alu instid0(VALU_DEP_1) | instskip(SKIP_1) | instid1(VALU_DEP_2)
	v_cndmask_b32_e32 v5, 0, v5, vcc_lo
	v_cmp_lt_u32_e32 vcc_lo, 1, v89
	v_add_nc_u32_e32 v4, v5, v4
	s_delay_alu instid0(VALU_DEP_1) | instskip(SKIP_1) | instid1(VALU_DEP_1)
	v_mov_b32_dpp v5, v4 row_shr:2 row_mask:0xf bank_mask:0xf
	s_wait_alu 0xfffd
	v_cndmask_b32_e32 v5, 0, v5, vcc_lo
	v_cmp_lt_u32_e32 vcc_lo, 3, v89
	s_delay_alu instid0(VALU_DEP_2) | instskip(NEXT) | instid1(VALU_DEP_1)
	v_add_nc_u32_e32 v4, v4, v5
	v_mov_b32_dpp v5, v4 row_shr:4 row_mask:0xf bank_mask:0xf
	s_wait_alu 0xfffd
	s_delay_alu instid0(VALU_DEP_1) | instskip(NEXT) | instid1(VALU_DEP_1)
	v_cndmask_b32_e32 v5, 0, v5, vcc_lo
	v_add_nc_u32_e32 v4, v4, v5
	ds_store_b32 v66, v4
.LBB635_976:                            ;   in Loop: Header=BB635_20 Depth=1
	s_wait_alu 0xfffe
	s_or_b32 exec_lo, exec_lo, s12
	v_mov_b32_e32 v4, 0
	s_wait_loadcnt_dscnt 0x0
	s_barrier_signal -1
	s_barrier_wait -1
	global_inv scope:SCOPE_SE
	s_and_saveexec_b32 s12, s5
; %bb.977:                              ;   in Loop: Header=BB635_20 Depth=1
	ds_load_b32 v4, v68
; %bb.978:                              ;   in Loop: Header=BB635_20 Depth=1
	s_wait_alu 0xfffe
	s_or_b32 exec_lo, exec_lo, s12
	v_cmp_gt_i32_e32 vcc_lo, 0, v90
	s_wait_loadcnt_dscnt 0x0
	s_barrier_signal -1
	s_barrier_wait -1
	global_inv scope:SCOPE_SE
	s_wait_alu 0xfffd
	v_dual_cndmask_b32 v5, v90, v81 :: v_dual_add_nc_u32 v2, v4, v2
	s_delay_alu instid0(VALU_DEP_1)
	v_lshlrev_b32_e32 v113, 2, v5
	ds_bpermute_b32 v2, v113, v2
	s_and_saveexec_b32 s12, s2
	s_cbranch_execz .LBB635_980
; %bb.979:                              ;   in Loop: Header=BB635_20 Depth=1
	s_wait_dscnt 0x0
	v_cndmask_b32_e64 v2, v2, v4, s8
	s_delay_alu instid0(VALU_DEP_1)
	v_add_nc_u32_e32 v2, s33, v2
	ds_store_b32 v44, v2
.LBB635_980:                            ;   in Loop: Header=BB635_20 Depth=1
	s_wait_alu 0xfffe
	s_or_b32 exec_lo, exec_lo, s12
	s_load_b64 s[12:13], s[34:35], 0x0
	v_add_co_u32 v114, vcc_lo, v79, v91
	s_wait_alu 0xfffd
	v_add_co_ci_u32_e64 v115, null, 0, v80, vcc_lo
	v_add_co_u32 v116, vcc_lo, v82, v107
	s_wait_alu 0xfffd
	v_add_co_ci_u32_e64 v117, null, 0, v83, vcc_lo
	s_mov_b32 s54, s53
                                        ; implicit-def: $vgpr6_vgpr7
                                        ; implicit-def: $vgpr8_vgpr9
                                        ; implicit-def: $vgpr10_vgpr11
                                        ; implicit-def: $vgpr12_vgpr13
                                        ; implicit-def: $vgpr14_vgpr15
                                        ; implicit-def: $vgpr16_vgpr17
                                        ; implicit-def: $vgpr18_vgpr19
                                        ; implicit-def: $vgpr20_vgpr21
                                        ; implicit-def: $vgpr22_vgpr23
                                        ; implicit-def: $vgpr24_vgpr25
                                        ; implicit-def: $vgpr26_vgpr27
                                        ; implicit-def: $vgpr28_vgpr29
                                        ; implicit-def: $vgpr30_vgpr31
                                        ; implicit-def: $vgpr32_vgpr33
                                        ; implicit-def: $vgpr34_vgpr35
                                        ; implicit-def: $vgpr119
                                        ; implicit-def: $vgpr120
                                        ; implicit-def: $vgpr121
                                        ; implicit-def: $vgpr122
                                        ; implicit-def: $vgpr123
                                        ; implicit-def: $vgpr124
                                        ; implicit-def: $vgpr125
                                        ; implicit-def: $vgpr126
                                        ; implicit-def: $vgpr127
                                        ; implicit-def: $vgpr128
                                        ; implicit-def: $vgpr129
                                        ; implicit-def: $vgpr130
                                        ; implicit-def: $vgpr131
                                        ; implicit-def: $vgpr132
                                        ; implicit-def: $vgpr133
                                        ; implicit-def: $vgpr134
	s_wait_kmcnt 0x0
	s_cmp_lt_u32 ttmp7, s13
	s_cselect_b32 s42, 14, 20
	s_cmp_lt_u32 ttmp9, s12
	s_wait_alu 0xfffe
	s_add_nc_u64 s[14:15], s[34:35], s[42:43]
	s_cselect_b32 s42, 12, 18
	s_load_u16 s14, s[14:15], 0x0
	s_add_nc_u64 s[12:13], s[34:35], s[42:43]
	s_mov_b32 s42, s33
	s_load_u16 s12, s[12:13], 0x0
	v_cmp_lt_u32_e64 s13, 1, v89
	s_wait_dscnt 0x0
	s_wait_kmcnt 0x0
	v_mad_u32_u24 v2, v69, s14, v0
	v_cmp_lt_u32_e64 s14, 3, v89
	s_delay_alu instid0(VALU_DEP_2) | instskip(SKIP_1) | instid1(VALU_DEP_2)
	v_mad_co_u64_u32 v[4:5], null, v2, s12, v[1:2]
	v_cmp_eq_u32_e64 s12, 0, v89
	v_lshrrev_b32_e32 v2, 3, v4
                                        ; implicit-def: $vgpr4_vgpr5
	s_delay_alu instid0(VALU_DEP_1)
	v_and_b32_e32 v118, 0x1ffffffc, v2
	s_branch .LBB635_982
.LBB635_981:                            ;   in Loop: Header=BB635_982 Depth=2
	s_wait_alu 0xfffe
	s_or_b32 exec_lo, exec_lo, s15
	s_addk_co_i32 s54, 0xf000
	s_cmp_lt_u32 s55, s51
	s_mov_b32 s42, s55
	s_cbranch_scc0 .LBB635_18
.LBB635_982:                            ;   Parent Loop BB635_20 Depth=1
                                        ; =>  This Inner Loop Header: Depth=2
	s_wait_alu 0xfffe
	s_add_co_i32 s55, s42, 0x1000
	s_wait_alu 0xfffe
	s_cmp_gt_u32 s55, s51
	s_cbranch_scc1 .LBB635_984
; %bb.983:                              ;   in Loop: Header=BB635_982 Depth=2
	s_lshl_b64 s[16:17], s[42:43], 2
	s_mov_b32 s15, -1
	s_wait_alu 0xfffe
	v_add_co_u32 v36, vcc_lo, v116, s16
	s_wait_alu 0xfffd
	v_add_co_ci_u32_e64 v37, null, s17, v117, vcc_lo
	s_clause 0xe
	global_load_b32 v136, v[36:37], off
	global_load_b32 v137, v[36:37], off offset:128
	global_load_b32 v144, v[36:37], off offset:256
	;; [unrolled: 1-line block ×14, first 2 shown]
	s_movk_i32 s16, 0x1000
	s_cbranch_execz .LBB635_985
	s_branch .LBB635_1016
.LBB635_984:                            ;   in Loop: Header=BB635_982 Depth=2
	s_mov_b32 s15, 0
                                        ; implicit-def: $vgpr136
                                        ; implicit-def: $vgpr137
                                        ; implicit-def: $vgpr144
                                        ; implicit-def: $vgpr148
                                        ; implicit-def: $vgpr152
                                        ; implicit-def: $vgpr156
                                        ; implicit-def: $vgpr160
                                        ; implicit-def: $vgpr164
                                        ; implicit-def: $vgpr167
                                        ; implicit-def: $vgpr43
                                        ; implicit-def: $vgpr42
                                        ; implicit-def: $vgpr41
                                        ; implicit-def: $vgpr40
                                        ; implicit-def: $vgpr39
                                        ; implicit-def: $vgpr38
	s_movk_i32 s16, 0x1000
.LBB635_985:                            ;   in Loop: Header=BB635_982 Depth=2
	s_lshl_b64 s[16:17], s[42:43], 2
	s_wait_loadcnt 0xd
	v_bfrev_b32_e32 v137, -2
	s_wait_alu 0xfffe
	v_add_co_u32 v36, vcc_lo, v116, s16
	s_wait_alu 0xfffd
	v_add_co_ci_u32_e64 v37, null, s17, v117, vcc_lo
	v_bfrev_b32_e32 v136, -2
	s_mov_b32 s15, exec_lo
	v_cmpx_gt_u32_e64 s54, v88
	s_cbranch_execz .LBB635_987
; %bb.986:                              ;   in Loop: Header=BB635_982 Depth=2
	global_load_b32 v136, v[36:37], off
.LBB635_987:                            ;   in Loop: Header=BB635_982 Depth=2
	s_wait_alu 0xfffe
	s_or_b32 exec_lo, exec_lo, s15
	s_delay_alu instid0(SALU_CYCLE_1)
	s_mov_b32 s15, exec_lo
	v_cmpx_gt_u32_e64 s54, v92
	s_cbranch_execz .LBB635_989
; %bb.988:                              ;   in Loop: Header=BB635_982 Depth=2
	global_load_b32 v137, v[36:37], off offset:128
.LBB635_989:                            ;   in Loop: Header=BB635_982 Depth=2
	s_wait_alu 0xfffe
	s_or_b32 exec_lo, exec_lo, s15
	s_wait_loadcnt 0xb
	v_bfrev_b32_e32 v148, -2
	v_bfrev_b32_e32 v144, -2
	s_mov_b32 s15, exec_lo
	v_cmpx_gt_u32_e64 s54, v93
	s_cbranch_execz .LBB635_991
; %bb.990:                              ;   in Loop: Header=BB635_982 Depth=2
	global_load_b32 v144, v[36:37], off offset:256
.LBB635_991:                            ;   in Loop: Header=BB635_982 Depth=2
	s_wait_alu 0xfffe
	s_or_b32 exec_lo, exec_lo, s15
	s_delay_alu instid0(SALU_CYCLE_1)
	s_mov_b32 s15, exec_lo
	v_cmpx_gt_u32_e64 s54, v94
	s_cbranch_execz .LBB635_993
; %bb.992:                              ;   in Loop: Header=BB635_982 Depth=2
	global_load_b32 v148, v[36:37], off offset:384
.LBB635_993:                            ;   in Loop: Header=BB635_982 Depth=2
	s_wait_alu 0xfffe
	s_or_b32 exec_lo, exec_lo, s15
	s_wait_loadcnt 0x9
	v_bfrev_b32_e32 v156, -2
	v_bfrev_b32_e32 v152, -2
	s_mov_b32 s15, exec_lo
	v_cmpx_gt_u32_e64 s54, v95
	s_cbranch_execz .LBB635_995
; %bb.994:                              ;   in Loop: Header=BB635_982 Depth=2
	global_load_b32 v152, v[36:37], off offset:512
.LBB635_995:                            ;   in Loop: Header=BB635_982 Depth=2
	;; [unrolled: 20-line block ×3, first 2 shown]
	s_wait_alu 0xfffe
	s_or_b32 exec_lo, exec_lo, s15
	s_delay_alu instid0(SALU_CYCLE_1)
	s_mov_b32 s15, exec_lo
	v_cmpx_gt_u32_e64 s54, v98
	s_cbranch_execz .LBB635_1001
; %bb.1000:                             ;   in Loop: Header=BB635_982 Depth=2
	global_load_b32 v164, v[36:37], off offset:896
.LBB635_1001:                           ;   in Loop: Header=BB635_982 Depth=2
	s_wait_alu 0xfffe
	s_or_b32 exec_lo, exec_lo, s15
	s_wait_loadcnt 0x5
	v_bfrev_b32_e32 v43, -2
	v_bfrev_b32_e32 v167, -2
	s_mov_b32 s15, exec_lo
	v_cmpx_gt_u32_e64 s54, v99
	s_cbranch_execz .LBB635_1003
; %bb.1002:                             ;   in Loop: Header=BB635_982 Depth=2
	global_load_b32 v167, v[36:37], off offset:1024
.LBB635_1003:                           ;   in Loop: Header=BB635_982 Depth=2
	s_wait_alu 0xfffe
	s_or_b32 exec_lo, exec_lo, s15
	s_delay_alu instid0(SALU_CYCLE_1)
	s_mov_b32 s15, exec_lo
	v_cmpx_gt_u32_e64 s54, v100
	s_cbranch_execz .LBB635_1005
; %bb.1004:                             ;   in Loop: Header=BB635_982 Depth=2
	global_load_b32 v43, v[36:37], off offset:1152
.LBB635_1005:                           ;   in Loop: Header=BB635_982 Depth=2
	s_wait_alu 0xfffe
	s_or_b32 exec_lo, exec_lo, s15
	s_wait_loadcnt 0x3
	v_bfrev_b32_e32 v41, -2
	v_bfrev_b32_e32 v42, -2
	s_mov_b32 s15, exec_lo
	v_cmpx_gt_u32_e64 s54, v101
	s_cbranch_execz .LBB635_1007
; %bb.1006:                             ;   in Loop: Header=BB635_982 Depth=2
	global_load_b32 v42, v[36:37], off offset:1280
.LBB635_1007:                           ;   in Loop: Header=BB635_982 Depth=2
	;; [unrolled: 20-line block ×3, first 2 shown]
	s_wait_alu 0xfffe
	s_or_b32 exec_lo, exec_lo, s15
	s_delay_alu instid0(SALU_CYCLE_1)
	s_mov_b32 s15, exec_lo
	v_cmpx_gt_u32_e64 s54, v104
	s_cbranch_execz .LBB635_1013
; %bb.1012:                             ;   in Loop: Header=BB635_982 Depth=2
	global_load_b32 v39, v[36:37], off offset:1664
.LBB635_1013:                           ;   in Loop: Header=BB635_982 Depth=2
	s_wait_alu 0xfffe
	s_or_b32 exec_lo, exec_lo, s15
	s_wait_loadcnt 0x0
	v_bfrev_b32_e32 v38, -2
	s_mov_b32 s15, exec_lo
	v_cmpx_gt_u32_e64 s54, v105
	s_cbranch_execz .LBB635_1015
; %bb.1014:                             ;   in Loop: Header=BB635_982 Depth=2
	global_load_b32 v38, v[36:37], off offset:1792
.LBB635_1015:                           ;   in Loop: Header=BB635_982 Depth=2
	s_wait_alu 0xfffe
	s_or_b32 exec_lo, exec_lo, s15
	v_cmp_gt_u32_e64 s15, s54, v106
	s_sub_co_i32 s16, s51, s42
.LBB635_1016:                           ;   in Loop: Header=BB635_982 Depth=2
	v_dual_mov_b32 v2, -1 :: v_dual_mov_b32 v135, s54
	s_and_saveexec_b32 s17, s15
	s_cbranch_execz .LBB635_1018
; %bb.1017:                             ;   in Loop: Header=BB635_982 Depth=2
	s_lshl_b64 s[18:19], s[42:43], 2
	s_wait_alu 0xfffe
	v_mov_b32_e32 v135, s16
	v_add_co_u32 v36, vcc_lo, v116, s18
	s_wait_alu 0xfffd
	v_add_co_ci_u32_e64 v37, null, s19, v117, vcc_lo
	global_load_b32 v2, v[36:37], off offset:1920
	s_wait_loadcnt 0x0
	v_xor_b32_e32 v2, 0x80000000, v2
.LBB635_1018:                           ;   in Loop: Header=BB635_982 Depth=2
	s_wait_alu 0xfffe
	s_or_b32 exec_lo, exec_lo, s17
	s_wait_loadcnt 0xe
	v_xor_b32_e32 v136, 0x80000000, v136
	s_delay_alu instid0(VALU_DEP_1) | instskip(NEXT) | instid1(VALU_DEP_1)
	v_lshrrev_b32_e32 v36, s49, v136
	v_and_b32_e32 v37, s48, v36
	s_delay_alu instid0(VALU_DEP_1)
	v_and_b32_e32 v36, 1, v37
	v_lshlrev_b32_e32 v138, 30, v37
	v_lshlrev_b32_e32 v139, 29, v37
	;; [unrolled: 1-line block ×4, first 2 shown]
	v_add_co_u32 v36, s15, v36, -1
	s_wait_alu 0xf1ff
	v_cndmask_b32_e64 v141, 0, 1, s15
	v_not_b32_e32 v146, v138
	v_cmp_gt_i32_e64 s15, 0, v138
	v_not_b32_e32 v138, v139
	v_lshlrev_b32_e32 v143, 26, v37
	v_cmp_ne_u32_e32 vcc_lo, 0, v141
	v_ashrrev_i32_e32 v146, 31, v146
	v_lshlrev_b32_e32 v145, 25, v37
	v_ashrrev_i32_e32 v138, 31, v138
	v_lshlrev_b32_e32 v141, 24, v37
	s_wait_alu 0xfffd
	v_xor_b32_e32 v36, vcc_lo, v36
	v_cmp_gt_i32_e32 vcc_lo, 0, v139
	v_not_b32_e32 v139, v140
	s_wait_alu 0xf1ff
	v_xor_b32_e32 v146, s15, v146
	v_cmp_gt_i32_e64 s15, 0, v140
	v_and_b32_e32 v36, exec_lo, v36
	v_not_b32_e32 v140, v142
	v_ashrrev_i32_e32 v139, 31, v139
	s_wait_alu 0xfffd
	v_xor_b32_e32 v138, vcc_lo, v138
	v_cmp_gt_i32_e32 vcc_lo, 0, v142
	v_and_b32_e32 v36, v36, v146
	v_not_b32_e32 v142, v143
	v_ashrrev_i32_e32 v140, 31, v140
	s_wait_alu 0xf1ff
	v_xor_b32_e32 v139, s15, v139
	v_cmp_gt_i32_e64 s15, 0, v143
	v_and_b32_e32 v36, v36, v138
	v_not_b32_e32 v138, v145
	v_ashrrev_i32_e32 v142, 31, v142
	s_wait_alu 0xfffd
	v_xor_b32_e32 v140, vcc_lo, v140
	v_cmp_gt_i32_e32 vcc_lo, 0, v145
	v_and_b32_e32 v36, v36, v139
	v_not_b32_e32 v139, v141
	v_ashrrev_i32_e32 v138, 31, v138
	s_wait_alu 0xf1ff
	v_xor_b32_e32 v142, s15, v142
	v_cmp_gt_i32_e64 s15, 0, v141
	v_and_b32_e32 v36, v36, v140
	v_ashrrev_i32_e32 v139, 31, v139
	s_wait_alu 0xfffd
	v_xor_b32_e32 v138, vcc_lo, v138
	v_mul_u32_u24_e32 v37, 36, v37
	v_add_nc_u32_e32 v141, 0x428, v67
	v_and_b32_e32 v36, v36, v142
	s_wait_alu 0xf1ff
	v_xor_b32_e32 v140, s15, v139
	v_add_nc_u32_e32 v139, 0x438, v67
	v_add_nc_u32_e32 v142, 0x430, v67
	;; [unrolled: 1-line block ×3, first 2 shown]
	v_and_b32_e32 v36, v36, v138
	ds_store_2addr_b32 v139, v3, v3 offset1:1
	v_and_b32_e32 v36, v36, v140
	v_add_nc_u32_e32 v140, 0x420, v67
	ds_store_2addr_b32 v140, v3, v3 offset1:1
	ds_store_2addr_b32 v141, v3, v3 offset1:1
	;; [unrolled: 1-line block ×3, first 2 shown]
	ds_store_b32 v67, v3 offset:1088
	v_mbcnt_lo_u32_b32 v138, v36, 0
	v_cmp_ne_u32_e64 s15, 0, v36
	s_wait_loadcnt_dscnt 0x0
	s_barrier_signal -1
	s_barrier_wait -1
	v_cmp_eq_u32_e32 vcc_lo, 0, v138
	global_inv scope:SCOPE_SE
	; wave barrier
	s_and_b32 s16, s15, vcc_lo
	s_wait_alu 0xfffe
	s_and_saveexec_b32 s15, s16
; %bb.1019:                             ;   in Loop: Header=BB635_982 Depth=2
	v_bcnt_u32_b32 v36, v36, 0
	ds_store_b32 v143, v36 offset:1056
; %bb.1020:                             ;   in Loop: Header=BB635_982 Depth=2
	s_wait_alu 0xfffe
	s_or_b32 exec_lo, exec_lo, s15
	v_xor_b32_e32 v137, 0x80000000, v137
	; wave barrier
	s_delay_alu instid0(VALU_DEP_1) | instskip(NEXT) | instid1(VALU_DEP_1)
	v_lshrrev_b32_e32 v36, s49, v137
	v_and_b32_e32 v37, s48, v36
	s_delay_alu instid0(VALU_DEP_1)
	v_and_b32_e32 v36, 1, v37
	v_lshlrev_b32_e32 v145, 30, v37
	v_lshlrev_b32_e32 v146, 29, v37
	;; [unrolled: 1-line block ×4, first 2 shown]
	v_add_co_u32 v36, s15, v36, -1
	s_wait_alu 0xf1ff
	v_cndmask_b32_e64 v149, 0, 1, s15
	v_not_b32_e32 v154, v145
	v_cmp_gt_i32_e64 s15, 0, v145
	v_not_b32_e32 v145, v146
	v_lshlrev_b32_e32 v151, 26, v37
	v_cmp_ne_u32_e32 vcc_lo, 0, v149
	v_ashrrev_i32_e32 v154, 31, v154
	v_lshlrev_b32_e32 v153, 25, v37
	v_ashrrev_i32_e32 v145, 31, v145
	v_lshlrev_b32_e32 v149, 24, v37
	s_wait_alu 0xfffd
	v_xor_b32_e32 v36, vcc_lo, v36
	v_cmp_gt_i32_e32 vcc_lo, 0, v146
	v_not_b32_e32 v146, v147
	s_wait_alu 0xf1ff
	v_xor_b32_e32 v154, s15, v154
	v_cmp_gt_i32_e64 s15, 0, v147
	v_and_b32_e32 v36, exec_lo, v36
	v_not_b32_e32 v147, v150
	v_ashrrev_i32_e32 v146, 31, v146
	s_wait_alu 0xfffd
	v_xor_b32_e32 v145, vcc_lo, v145
	v_cmp_gt_i32_e32 vcc_lo, 0, v150
	v_and_b32_e32 v36, v36, v154
	v_not_b32_e32 v150, v151
	v_ashrrev_i32_e32 v147, 31, v147
	s_wait_alu 0xf1ff
	v_xor_b32_e32 v146, s15, v146
	v_cmp_gt_i32_e64 s15, 0, v151
	v_and_b32_e32 v36, v36, v145
	v_not_b32_e32 v145, v153
	v_ashrrev_i32_e32 v150, 31, v150
	s_wait_alu 0xfffd
	v_xor_b32_e32 v147, vcc_lo, v147
	v_cmp_gt_i32_e32 vcc_lo, 0, v153
	v_and_b32_e32 v36, v36, v146
	v_not_b32_e32 v146, v149
	v_ashrrev_i32_e32 v145, 31, v145
	s_wait_alu 0xf1ff
	v_xor_b32_e32 v150, s15, v150
	v_cmp_gt_i32_e64 s15, 0, v149
	v_and_b32_e32 v36, v36, v147
	v_ashrrev_i32_e32 v146, 31, v146
	s_wait_alu 0xfffd
	v_xor_b32_e32 v145, vcc_lo, v145
	v_mad_u32_u24 v147, v37, 36, v118
	v_mul_u32_u24_e32 v37, 36, v37
	v_and_b32_e32 v36, v36, v150
	s_wait_alu 0xf1ff
	v_xor_b32_e32 v146, s15, v146
	s_delay_alu instid0(VALU_DEP_2) | instskip(SKIP_3) | instid1(VALU_DEP_1)
	v_and_b32_e32 v36, v36, v145
	ds_load_b32 v145, v147 offset:1056
	v_add_nc_u32_e32 v147, v118, v37
	; wave barrier
	v_and_b32_e32 v36, v36, v146
	v_mbcnt_lo_u32_b32 v146, v36, 0
	v_cmp_ne_u32_e64 s15, 0, v36
	s_delay_alu instid0(VALU_DEP_2)
	v_cmp_eq_u32_e32 vcc_lo, 0, v146
	s_and_b32 s16, s15, vcc_lo
	s_wait_alu 0xfffe
	s_and_saveexec_b32 s15, s16
	s_cbranch_execz .LBB635_1022
; %bb.1021:                             ;   in Loop: Header=BB635_982 Depth=2
	s_wait_dscnt 0x0
	v_bcnt_u32_b32 v36, v36, v145
	ds_store_b32 v147, v36 offset:1056
.LBB635_1022:                           ;   in Loop: Header=BB635_982 Depth=2
	s_wait_alu 0xfffe
	s_or_b32 exec_lo, exec_lo, s15
	v_xor_b32_e32 v144, 0x80000000, v144
	; wave barrier
	s_delay_alu instid0(VALU_DEP_1) | instskip(NEXT) | instid1(VALU_DEP_1)
	v_lshrrev_b32_e32 v36, s49, v144
	v_and_b32_e32 v37, s48, v36
	s_delay_alu instid0(VALU_DEP_1)
	v_and_b32_e32 v36, 1, v37
	v_lshlrev_b32_e32 v149, 30, v37
	v_lshlrev_b32_e32 v150, 29, v37
	;; [unrolled: 1-line block ×4, first 2 shown]
	v_add_co_u32 v36, s15, v36, -1
	s_wait_alu 0xf1ff
	v_cndmask_b32_e64 v153, 0, 1, s15
	v_not_b32_e32 v158, v149
	v_cmp_gt_i32_e64 s15, 0, v149
	v_not_b32_e32 v149, v150
	v_lshlrev_b32_e32 v155, 26, v37
	v_cmp_ne_u32_e32 vcc_lo, 0, v153
	v_ashrrev_i32_e32 v158, 31, v158
	v_lshlrev_b32_e32 v157, 25, v37
	v_ashrrev_i32_e32 v149, 31, v149
	v_lshlrev_b32_e32 v153, 24, v37
	s_wait_alu 0xfffd
	v_xor_b32_e32 v36, vcc_lo, v36
	v_cmp_gt_i32_e32 vcc_lo, 0, v150
	v_not_b32_e32 v150, v151
	s_wait_alu 0xf1ff
	v_xor_b32_e32 v158, s15, v158
	v_cmp_gt_i32_e64 s15, 0, v151
	v_and_b32_e32 v36, exec_lo, v36
	v_not_b32_e32 v151, v154
	v_ashrrev_i32_e32 v150, 31, v150
	s_wait_alu 0xfffd
	v_xor_b32_e32 v149, vcc_lo, v149
	v_cmp_gt_i32_e32 vcc_lo, 0, v154
	v_and_b32_e32 v36, v36, v158
	v_not_b32_e32 v154, v155
	v_ashrrev_i32_e32 v151, 31, v151
	s_wait_alu 0xf1ff
	v_xor_b32_e32 v150, s15, v150
	v_cmp_gt_i32_e64 s15, 0, v155
	v_and_b32_e32 v36, v36, v149
	v_not_b32_e32 v149, v157
	v_ashrrev_i32_e32 v154, 31, v154
	s_wait_alu 0xfffd
	v_xor_b32_e32 v151, vcc_lo, v151
	v_cmp_gt_i32_e32 vcc_lo, 0, v157
	v_and_b32_e32 v36, v36, v150
	v_not_b32_e32 v150, v153
	v_ashrrev_i32_e32 v149, 31, v149
	s_wait_alu 0xf1ff
	v_xor_b32_e32 v154, s15, v154
	v_cmp_gt_i32_e64 s15, 0, v153
	v_and_b32_e32 v36, v36, v151
	v_ashrrev_i32_e32 v150, 31, v150
	s_wait_alu 0xfffd
	v_xor_b32_e32 v149, vcc_lo, v149
	v_mad_u32_u24 v151, v37, 36, v118
	v_mul_u32_u24_e32 v37, 36, v37
	v_and_b32_e32 v36, v36, v154
	s_wait_alu 0xf1ff
	v_xor_b32_e32 v150, s15, v150
	s_delay_alu instid0(VALU_DEP_2) | instskip(SKIP_3) | instid1(VALU_DEP_1)
	v_and_b32_e32 v36, v36, v149
	ds_load_b32 v149, v151 offset:1056
	v_add_nc_u32_e32 v151, v118, v37
	; wave barrier
	v_and_b32_e32 v36, v36, v150
	v_mbcnt_lo_u32_b32 v150, v36, 0
	v_cmp_ne_u32_e64 s15, 0, v36
	s_delay_alu instid0(VALU_DEP_2)
	v_cmp_eq_u32_e32 vcc_lo, 0, v150
	s_and_b32 s16, s15, vcc_lo
	s_wait_alu 0xfffe
	s_and_saveexec_b32 s15, s16
	s_cbranch_execz .LBB635_1024
; %bb.1023:                             ;   in Loop: Header=BB635_982 Depth=2
	s_wait_dscnt 0x0
	v_bcnt_u32_b32 v36, v36, v149
	ds_store_b32 v151, v36 offset:1056
.LBB635_1024:                           ;   in Loop: Header=BB635_982 Depth=2
	s_wait_alu 0xfffe
	s_or_b32 exec_lo, exec_lo, s15
	v_xor_b32_e32 v148, 0x80000000, v148
	; wave barrier
	s_delay_alu instid0(VALU_DEP_1) | instskip(NEXT) | instid1(VALU_DEP_1)
	v_lshrrev_b32_e32 v36, s49, v148
	v_and_b32_e32 v37, s48, v36
	s_delay_alu instid0(VALU_DEP_1)
	v_and_b32_e32 v36, 1, v37
	v_lshlrev_b32_e32 v153, 30, v37
	v_lshlrev_b32_e32 v154, 29, v37
	;; [unrolled: 1-line block ×4, first 2 shown]
	v_add_co_u32 v36, s15, v36, -1
	s_wait_alu 0xf1ff
	v_cndmask_b32_e64 v157, 0, 1, s15
	v_not_b32_e32 v162, v153
	v_cmp_gt_i32_e64 s15, 0, v153
	v_not_b32_e32 v153, v154
	v_lshlrev_b32_e32 v159, 26, v37
	v_cmp_ne_u32_e32 vcc_lo, 0, v157
	v_ashrrev_i32_e32 v162, 31, v162
	v_lshlrev_b32_e32 v161, 25, v37
	v_ashrrev_i32_e32 v153, 31, v153
	v_lshlrev_b32_e32 v157, 24, v37
	s_wait_alu 0xfffd
	v_xor_b32_e32 v36, vcc_lo, v36
	v_cmp_gt_i32_e32 vcc_lo, 0, v154
	v_not_b32_e32 v154, v155
	s_wait_alu 0xf1ff
	v_xor_b32_e32 v162, s15, v162
	v_cmp_gt_i32_e64 s15, 0, v155
	v_and_b32_e32 v36, exec_lo, v36
	v_not_b32_e32 v155, v158
	v_ashrrev_i32_e32 v154, 31, v154
	s_wait_alu 0xfffd
	v_xor_b32_e32 v153, vcc_lo, v153
	v_cmp_gt_i32_e32 vcc_lo, 0, v158
	v_and_b32_e32 v36, v36, v162
	v_not_b32_e32 v158, v159
	v_ashrrev_i32_e32 v155, 31, v155
	s_wait_alu 0xf1ff
	v_xor_b32_e32 v154, s15, v154
	v_cmp_gt_i32_e64 s15, 0, v159
	v_and_b32_e32 v36, v36, v153
	v_not_b32_e32 v153, v161
	v_ashrrev_i32_e32 v158, 31, v158
	s_wait_alu 0xfffd
	v_xor_b32_e32 v155, vcc_lo, v155
	v_cmp_gt_i32_e32 vcc_lo, 0, v161
	v_and_b32_e32 v36, v36, v154
	v_not_b32_e32 v154, v157
	v_ashrrev_i32_e32 v153, 31, v153
	s_wait_alu 0xf1ff
	v_xor_b32_e32 v158, s15, v158
	v_cmp_gt_i32_e64 s15, 0, v157
	v_and_b32_e32 v36, v36, v155
	v_ashrrev_i32_e32 v154, 31, v154
	s_wait_alu 0xfffd
	v_xor_b32_e32 v153, vcc_lo, v153
	v_mad_u32_u24 v155, v37, 36, v118
	v_mul_u32_u24_e32 v37, 36, v37
	v_and_b32_e32 v36, v36, v158
	s_wait_alu 0xf1ff
	v_xor_b32_e32 v154, s15, v154
	s_delay_alu instid0(VALU_DEP_2) | instskip(SKIP_3) | instid1(VALU_DEP_1)
	v_and_b32_e32 v36, v36, v153
	ds_load_b32 v153, v155 offset:1056
	v_add_nc_u32_e32 v155, v118, v37
	; wave barrier
	v_and_b32_e32 v36, v36, v154
	v_mbcnt_lo_u32_b32 v154, v36, 0
	v_cmp_ne_u32_e64 s15, 0, v36
	s_delay_alu instid0(VALU_DEP_2)
	v_cmp_eq_u32_e32 vcc_lo, 0, v154
	s_and_b32 s16, s15, vcc_lo
	s_wait_alu 0xfffe
	s_and_saveexec_b32 s15, s16
	s_cbranch_execz .LBB635_1026
; %bb.1025:                             ;   in Loop: Header=BB635_982 Depth=2
	s_wait_dscnt 0x0
	v_bcnt_u32_b32 v36, v36, v153
	ds_store_b32 v155, v36 offset:1056
.LBB635_1026:                           ;   in Loop: Header=BB635_982 Depth=2
	s_wait_alu 0xfffe
	s_or_b32 exec_lo, exec_lo, s15
	v_xor_b32_e32 v152, 0x80000000, v152
	; wave barrier
	s_delay_alu instid0(VALU_DEP_1) | instskip(NEXT) | instid1(VALU_DEP_1)
	v_lshrrev_b32_e32 v36, s49, v152
	v_and_b32_e32 v37, s48, v36
	s_delay_alu instid0(VALU_DEP_1)
	v_and_b32_e32 v36, 1, v37
	v_lshlrev_b32_e32 v157, 30, v37
	v_lshlrev_b32_e32 v158, 29, v37
	;; [unrolled: 1-line block ×4, first 2 shown]
	v_add_co_u32 v36, s15, v36, -1
	s_wait_alu 0xf1ff
	v_cndmask_b32_e64 v161, 0, 1, s15
	v_not_b32_e32 v166, v157
	v_cmp_gt_i32_e64 s15, 0, v157
	v_not_b32_e32 v157, v158
	v_lshlrev_b32_e32 v163, 26, v37
	v_cmp_ne_u32_e32 vcc_lo, 0, v161
	v_ashrrev_i32_e32 v166, 31, v166
	v_lshlrev_b32_e32 v165, 25, v37
	v_ashrrev_i32_e32 v157, 31, v157
	v_lshlrev_b32_e32 v161, 24, v37
	s_wait_alu 0xfffd
	v_xor_b32_e32 v36, vcc_lo, v36
	v_cmp_gt_i32_e32 vcc_lo, 0, v158
	v_not_b32_e32 v158, v159
	s_wait_alu 0xf1ff
	v_xor_b32_e32 v166, s15, v166
	v_cmp_gt_i32_e64 s15, 0, v159
	v_and_b32_e32 v36, exec_lo, v36
	v_not_b32_e32 v159, v162
	v_ashrrev_i32_e32 v158, 31, v158
	s_wait_alu 0xfffd
	v_xor_b32_e32 v157, vcc_lo, v157
	v_cmp_gt_i32_e32 vcc_lo, 0, v162
	v_and_b32_e32 v36, v36, v166
	v_not_b32_e32 v162, v163
	v_ashrrev_i32_e32 v159, 31, v159
	s_wait_alu 0xf1ff
	v_xor_b32_e32 v158, s15, v158
	v_cmp_gt_i32_e64 s15, 0, v163
	v_and_b32_e32 v36, v36, v157
	v_not_b32_e32 v157, v165
	v_ashrrev_i32_e32 v162, 31, v162
	s_wait_alu 0xfffd
	v_xor_b32_e32 v159, vcc_lo, v159
	v_cmp_gt_i32_e32 vcc_lo, 0, v165
	v_and_b32_e32 v36, v36, v158
	v_not_b32_e32 v158, v161
	v_ashrrev_i32_e32 v157, 31, v157
	s_wait_alu 0xf1ff
	v_xor_b32_e32 v162, s15, v162
	v_cmp_gt_i32_e64 s15, 0, v161
	v_and_b32_e32 v36, v36, v159
	v_ashrrev_i32_e32 v158, 31, v158
	s_wait_alu 0xfffd
	v_xor_b32_e32 v157, vcc_lo, v157
	v_mad_u32_u24 v159, v37, 36, v118
	v_mul_u32_u24_e32 v37, 36, v37
	v_and_b32_e32 v36, v36, v162
	s_wait_alu 0xf1ff
	v_xor_b32_e32 v158, s15, v158
	s_delay_alu instid0(VALU_DEP_2) | instskip(SKIP_3) | instid1(VALU_DEP_1)
	v_and_b32_e32 v36, v36, v157
	ds_load_b32 v157, v159 offset:1056
	v_add_nc_u32_e32 v159, v118, v37
	; wave barrier
	v_and_b32_e32 v36, v36, v158
	v_mbcnt_lo_u32_b32 v158, v36, 0
	v_cmp_ne_u32_e64 s15, 0, v36
	s_delay_alu instid0(VALU_DEP_2)
	v_cmp_eq_u32_e32 vcc_lo, 0, v158
	s_and_b32 s16, s15, vcc_lo
	s_wait_alu 0xfffe
	s_and_saveexec_b32 s15, s16
	s_cbranch_execz .LBB635_1028
; %bb.1027:                             ;   in Loop: Header=BB635_982 Depth=2
	s_wait_dscnt 0x0
	v_bcnt_u32_b32 v36, v36, v157
	ds_store_b32 v159, v36 offset:1056
.LBB635_1028:                           ;   in Loop: Header=BB635_982 Depth=2
	s_wait_alu 0xfffe
	s_or_b32 exec_lo, exec_lo, s15
	v_xor_b32_e32 v156, 0x80000000, v156
	; wave barrier
	s_delay_alu instid0(VALU_DEP_1) | instskip(NEXT) | instid1(VALU_DEP_1)
	v_lshrrev_b32_e32 v36, s49, v156
	v_and_b32_e32 v37, s48, v36
	s_delay_alu instid0(VALU_DEP_1)
	v_and_b32_e32 v36, 1, v37
	v_lshlrev_b32_e32 v161, 30, v37
	v_lshlrev_b32_e32 v162, 29, v37
	;; [unrolled: 1-line block ×4, first 2 shown]
	v_add_co_u32 v36, s15, v36, -1
	s_wait_alu 0xf1ff
	v_cndmask_b32_e64 v165, 0, 1, s15
	v_not_b32_e32 v170, v161
	v_cmp_gt_i32_e64 s15, 0, v161
	v_not_b32_e32 v161, v162
	v_lshlrev_b32_e32 v168, 26, v37
	v_cmp_ne_u32_e32 vcc_lo, 0, v165
	v_ashrrev_i32_e32 v170, 31, v170
	v_lshlrev_b32_e32 v169, 25, v37
	v_ashrrev_i32_e32 v161, 31, v161
	v_lshlrev_b32_e32 v165, 24, v37
	s_wait_alu 0xfffd
	v_xor_b32_e32 v36, vcc_lo, v36
	v_cmp_gt_i32_e32 vcc_lo, 0, v162
	v_not_b32_e32 v162, v163
	s_wait_alu 0xf1ff
	v_xor_b32_e32 v170, s15, v170
	v_cmp_gt_i32_e64 s15, 0, v163
	v_and_b32_e32 v36, exec_lo, v36
	v_not_b32_e32 v163, v166
	v_ashrrev_i32_e32 v162, 31, v162
	s_wait_alu 0xfffd
	v_xor_b32_e32 v161, vcc_lo, v161
	v_cmp_gt_i32_e32 vcc_lo, 0, v166
	v_and_b32_e32 v36, v36, v170
	v_not_b32_e32 v166, v168
	v_ashrrev_i32_e32 v163, 31, v163
	s_wait_alu 0xf1ff
	v_xor_b32_e32 v162, s15, v162
	v_cmp_gt_i32_e64 s15, 0, v168
	v_and_b32_e32 v36, v36, v161
	v_not_b32_e32 v161, v169
	v_ashrrev_i32_e32 v166, 31, v166
	s_wait_alu 0xfffd
	v_xor_b32_e32 v163, vcc_lo, v163
	v_cmp_gt_i32_e32 vcc_lo, 0, v169
	v_and_b32_e32 v36, v36, v162
	v_not_b32_e32 v162, v165
	v_ashrrev_i32_e32 v161, 31, v161
	s_wait_alu 0xf1ff
	v_xor_b32_e32 v166, s15, v166
	v_cmp_gt_i32_e64 s15, 0, v165
	v_and_b32_e32 v36, v36, v163
	v_ashrrev_i32_e32 v162, 31, v162
	s_wait_alu 0xfffd
	v_xor_b32_e32 v161, vcc_lo, v161
	v_mad_u32_u24 v163, v37, 36, v118
	v_mul_u32_u24_e32 v37, 36, v37
	v_and_b32_e32 v36, v36, v166
	s_wait_alu 0xf1ff
	v_xor_b32_e32 v162, s15, v162
	s_delay_alu instid0(VALU_DEP_2) | instskip(SKIP_3) | instid1(VALU_DEP_1)
	v_and_b32_e32 v36, v36, v161
	ds_load_b32 v161, v163 offset:1056
	v_add_nc_u32_e32 v163, v118, v37
	; wave barrier
	v_and_b32_e32 v36, v36, v162
	v_mbcnt_lo_u32_b32 v162, v36, 0
	v_cmp_ne_u32_e64 s15, 0, v36
	s_delay_alu instid0(VALU_DEP_2)
	v_cmp_eq_u32_e32 vcc_lo, 0, v162
	s_and_b32 s16, s15, vcc_lo
	s_wait_alu 0xfffe
	s_and_saveexec_b32 s15, s16
	s_cbranch_execz .LBB635_1030
; %bb.1029:                             ;   in Loop: Header=BB635_982 Depth=2
	s_wait_dscnt 0x0
	v_bcnt_u32_b32 v36, v36, v161
	ds_store_b32 v163, v36 offset:1056
.LBB635_1030:                           ;   in Loop: Header=BB635_982 Depth=2
	s_wait_alu 0xfffe
	s_or_b32 exec_lo, exec_lo, s15
	v_xor_b32_e32 v160, 0x80000000, v160
	; wave barrier
	s_delay_alu instid0(VALU_DEP_1) | instskip(NEXT) | instid1(VALU_DEP_1)
	v_lshrrev_b32_e32 v36, s49, v160
	v_and_b32_e32 v37, s48, v36
	s_delay_alu instid0(VALU_DEP_1)
	v_and_b32_e32 v36, 1, v37
	v_lshlrev_b32_e32 v165, 30, v37
	v_lshlrev_b32_e32 v166, 29, v37
	;; [unrolled: 1-line block ×4, first 2 shown]
	v_add_co_u32 v36, s15, v36, -1
	s_wait_alu 0xf1ff
	v_cndmask_b32_e64 v169, 0, 1, s15
	v_not_b32_e32 v173, v165
	v_cmp_gt_i32_e64 s15, 0, v165
	v_not_b32_e32 v165, v166
	v_lshlrev_b32_e32 v171, 26, v37
	v_cmp_ne_u32_e32 vcc_lo, 0, v169
	v_ashrrev_i32_e32 v173, 31, v173
	v_lshlrev_b32_e32 v172, 25, v37
	v_ashrrev_i32_e32 v165, 31, v165
	v_lshlrev_b32_e32 v169, 24, v37
	s_wait_alu 0xfffd
	v_xor_b32_e32 v36, vcc_lo, v36
	v_cmp_gt_i32_e32 vcc_lo, 0, v166
	v_not_b32_e32 v166, v168
	s_wait_alu 0xf1ff
	v_xor_b32_e32 v173, s15, v173
	v_cmp_gt_i32_e64 s15, 0, v168
	v_and_b32_e32 v36, exec_lo, v36
	v_not_b32_e32 v168, v170
	v_ashrrev_i32_e32 v166, 31, v166
	s_wait_alu 0xfffd
	v_xor_b32_e32 v165, vcc_lo, v165
	v_cmp_gt_i32_e32 vcc_lo, 0, v170
	v_and_b32_e32 v36, v36, v173
	v_not_b32_e32 v170, v171
	v_ashrrev_i32_e32 v168, 31, v168
	s_wait_alu 0xf1ff
	v_xor_b32_e32 v166, s15, v166
	v_cmp_gt_i32_e64 s15, 0, v171
	v_and_b32_e32 v36, v36, v165
	v_not_b32_e32 v165, v172
	v_ashrrev_i32_e32 v170, 31, v170
	s_wait_alu 0xfffd
	v_xor_b32_e32 v168, vcc_lo, v168
	v_cmp_gt_i32_e32 vcc_lo, 0, v172
	v_and_b32_e32 v36, v36, v166
	v_not_b32_e32 v166, v169
	v_ashrrev_i32_e32 v165, 31, v165
	s_wait_alu 0xf1ff
	v_xor_b32_e32 v170, s15, v170
	v_cmp_gt_i32_e64 s15, 0, v169
	v_and_b32_e32 v36, v36, v168
	v_ashrrev_i32_e32 v166, 31, v166
	s_wait_alu 0xfffd
	v_xor_b32_e32 v165, vcc_lo, v165
	v_mad_u32_u24 v168, v37, 36, v118
	v_mul_u32_u24_e32 v37, 36, v37
	v_and_b32_e32 v36, v36, v170
	s_wait_alu 0xf1ff
	v_xor_b32_e32 v166, s15, v166
	s_delay_alu instid0(VALU_DEP_2) | instskip(SKIP_3) | instid1(VALU_DEP_1)
	v_and_b32_e32 v36, v36, v165
	ds_load_b32 v165, v168 offset:1056
	v_add_nc_u32_e32 v168, v118, v37
	; wave barrier
	v_and_b32_e32 v36, v36, v166
	v_mbcnt_lo_u32_b32 v166, v36, 0
	v_cmp_ne_u32_e64 s15, 0, v36
	s_delay_alu instid0(VALU_DEP_2)
	v_cmp_eq_u32_e32 vcc_lo, 0, v166
	s_and_b32 s16, s15, vcc_lo
	s_wait_alu 0xfffe
	s_and_saveexec_b32 s15, s16
	s_cbranch_execz .LBB635_1032
; %bb.1031:                             ;   in Loop: Header=BB635_982 Depth=2
	s_wait_dscnt 0x0
	v_bcnt_u32_b32 v36, v36, v165
	ds_store_b32 v168, v36 offset:1056
.LBB635_1032:                           ;   in Loop: Header=BB635_982 Depth=2
	s_wait_alu 0xfffe
	s_or_b32 exec_lo, exec_lo, s15
	v_xor_b32_e32 v164, 0x80000000, v164
	; wave barrier
	s_delay_alu instid0(VALU_DEP_1) | instskip(NEXT) | instid1(VALU_DEP_1)
	v_lshrrev_b32_e32 v36, s49, v164
	v_and_b32_e32 v37, s48, v36
	s_delay_alu instid0(VALU_DEP_1)
	v_and_b32_e32 v36, 1, v37
	v_lshlrev_b32_e32 v169, 30, v37
	v_lshlrev_b32_e32 v170, 29, v37
	;; [unrolled: 1-line block ×4, first 2 shown]
	v_add_co_u32 v36, s15, v36, -1
	s_wait_alu 0xf1ff
	v_cndmask_b32_e64 v172, 0, 1, s15
	v_not_b32_e32 v176, v169
	v_cmp_gt_i32_e64 s15, 0, v169
	v_not_b32_e32 v169, v170
	v_lshlrev_b32_e32 v174, 26, v37
	v_cmp_ne_u32_e32 vcc_lo, 0, v172
	v_ashrrev_i32_e32 v176, 31, v176
	v_lshlrev_b32_e32 v175, 25, v37
	v_ashrrev_i32_e32 v169, 31, v169
	v_lshlrev_b32_e32 v172, 24, v37
	s_wait_alu 0xfffd
	v_xor_b32_e32 v36, vcc_lo, v36
	v_cmp_gt_i32_e32 vcc_lo, 0, v170
	v_not_b32_e32 v170, v171
	s_wait_alu 0xf1ff
	v_xor_b32_e32 v176, s15, v176
	v_cmp_gt_i32_e64 s15, 0, v171
	v_and_b32_e32 v36, exec_lo, v36
	v_not_b32_e32 v171, v173
	v_ashrrev_i32_e32 v170, 31, v170
	s_wait_alu 0xfffd
	v_xor_b32_e32 v169, vcc_lo, v169
	v_cmp_gt_i32_e32 vcc_lo, 0, v173
	v_and_b32_e32 v36, v36, v176
	v_not_b32_e32 v173, v174
	v_ashrrev_i32_e32 v171, 31, v171
	s_wait_alu 0xf1ff
	v_xor_b32_e32 v170, s15, v170
	v_cmp_gt_i32_e64 s15, 0, v174
	v_and_b32_e32 v36, v36, v169
	v_not_b32_e32 v169, v175
	v_ashrrev_i32_e32 v173, 31, v173
	s_wait_alu 0xfffd
	v_xor_b32_e32 v171, vcc_lo, v171
	v_cmp_gt_i32_e32 vcc_lo, 0, v175
	v_and_b32_e32 v36, v36, v170
	v_not_b32_e32 v170, v172
	v_ashrrev_i32_e32 v169, 31, v169
	s_wait_alu 0xf1ff
	v_xor_b32_e32 v173, s15, v173
	v_cmp_gt_i32_e64 s15, 0, v172
	v_and_b32_e32 v36, v36, v171
	v_ashrrev_i32_e32 v170, 31, v170
	s_wait_alu 0xfffd
	v_xor_b32_e32 v169, vcc_lo, v169
	v_mad_u32_u24 v171, v37, 36, v118
	v_mul_u32_u24_e32 v37, 36, v37
	v_and_b32_e32 v36, v36, v173
	s_wait_alu 0xf1ff
	v_xor_b32_e32 v170, s15, v170
	s_delay_alu instid0(VALU_DEP_2) | instskip(SKIP_3) | instid1(VALU_DEP_1)
	v_and_b32_e32 v36, v36, v169
	ds_load_b32 v169, v171 offset:1056
	v_add_nc_u32_e32 v171, v118, v37
	; wave barrier
	v_and_b32_e32 v36, v36, v170
	v_mbcnt_lo_u32_b32 v170, v36, 0
	v_cmp_ne_u32_e64 s15, 0, v36
	s_delay_alu instid0(VALU_DEP_2)
	v_cmp_eq_u32_e32 vcc_lo, 0, v170
	s_and_b32 s16, s15, vcc_lo
	s_wait_alu 0xfffe
	s_and_saveexec_b32 s15, s16
	s_cbranch_execz .LBB635_1034
; %bb.1033:                             ;   in Loop: Header=BB635_982 Depth=2
	s_wait_dscnt 0x0
	v_bcnt_u32_b32 v36, v36, v169
	ds_store_b32 v171, v36 offset:1056
.LBB635_1034:                           ;   in Loop: Header=BB635_982 Depth=2
	s_wait_alu 0xfffe
	s_or_b32 exec_lo, exec_lo, s15
	v_xor_b32_e32 v167, 0x80000000, v167
	; wave barrier
	s_delay_alu instid0(VALU_DEP_1) | instskip(NEXT) | instid1(VALU_DEP_1)
	v_lshrrev_b32_e32 v36, s49, v167
	v_and_b32_e32 v37, s48, v36
	s_delay_alu instid0(VALU_DEP_1)
	v_and_b32_e32 v36, 1, v37
	v_lshlrev_b32_e32 v172, 30, v37
	v_lshlrev_b32_e32 v173, 29, v37
	;; [unrolled: 1-line block ×4, first 2 shown]
	v_add_co_u32 v36, s15, v36, -1
	s_wait_alu 0xf1ff
	v_cndmask_b32_e64 v175, 0, 1, s15
	v_not_b32_e32 v179, v172
	v_cmp_gt_i32_e64 s15, 0, v172
	v_not_b32_e32 v172, v173
	v_lshlrev_b32_e32 v177, 26, v37
	v_cmp_ne_u32_e32 vcc_lo, 0, v175
	v_ashrrev_i32_e32 v179, 31, v179
	v_lshlrev_b32_e32 v178, 25, v37
	v_ashrrev_i32_e32 v172, 31, v172
	v_lshlrev_b32_e32 v175, 24, v37
	s_wait_alu 0xfffd
	v_xor_b32_e32 v36, vcc_lo, v36
	v_cmp_gt_i32_e32 vcc_lo, 0, v173
	v_not_b32_e32 v173, v174
	s_wait_alu 0xf1ff
	v_xor_b32_e32 v179, s15, v179
	v_cmp_gt_i32_e64 s15, 0, v174
	v_and_b32_e32 v36, exec_lo, v36
	v_not_b32_e32 v174, v176
	v_ashrrev_i32_e32 v173, 31, v173
	s_wait_alu 0xfffd
	v_xor_b32_e32 v172, vcc_lo, v172
	v_cmp_gt_i32_e32 vcc_lo, 0, v176
	v_and_b32_e32 v36, v36, v179
	v_not_b32_e32 v176, v177
	v_ashrrev_i32_e32 v174, 31, v174
	s_wait_alu 0xf1ff
	v_xor_b32_e32 v173, s15, v173
	v_cmp_gt_i32_e64 s15, 0, v177
	v_and_b32_e32 v36, v36, v172
	v_not_b32_e32 v172, v178
	v_ashrrev_i32_e32 v176, 31, v176
	s_wait_alu 0xfffd
	v_xor_b32_e32 v174, vcc_lo, v174
	v_cmp_gt_i32_e32 vcc_lo, 0, v178
	v_and_b32_e32 v36, v36, v173
	v_not_b32_e32 v173, v175
	v_ashrrev_i32_e32 v172, 31, v172
	s_wait_alu 0xf1ff
	v_xor_b32_e32 v176, s15, v176
	v_cmp_gt_i32_e64 s15, 0, v175
	v_and_b32_e32 v36, v36, v174
	v_ashrrev_i32_e32 v173, 31, v173
	s_wait_alu 0xfffd
	v_xor_b32_e32 v172, vcc_lo, v172
	v_mad_u32_u24 v174, v37, 36, v118
	v_mul_u32_u24_e32 v37, 36, v37
	v_and_b32_e32 v36, v36, v176
	s_wait_alu 0xf1ff
	v_xor_b32_e32 v175, s15, v173
	ds_load_b32 v173, v174 offset:1056
	v_and_b32_e32 v36, v36, v172
	; wave barrier
	s_delay_alu instid0(VALU_DEP_1) | instskip(SKIP_1) | instid1(VALU_DEP_2)
	v_and_b32_e32 v36, v36, v175
	v_add_nc_u32_e32 v175, v118, v37
	v_mbcnt_lo_u32_b32 v174, v36, 0
	v_cmp_ne_u32_e64 s15, 0, v36
	s_delay_alu instid0(VALU_DEP_2)
	v_cmp_eq_u32_e32 vcc_lo, 0, v174
	s_and_b32 s16, s15, vcc_lo
	s_wait_alu 0xfffe
	s_and_saveexec_b32 s15, s16
	s_cbranch_execz .LBB635_1036
; %bb.1035:                             ;   in Loop: Header=BB635_982 Depth=2
	s_wait_dscnt 0x0
	v_bcnt_u32_b32 v36, v36, v173
	ds_store_b32 v175, v36 offset:1056
.LBB635_1036:                           ;   in Loop: Header=BB635_982 Depth=2
	s_wait_alu 0xfffe
	s_or_b32 exec_lo, exec_lo, s15
	v_xor_b32_e32 v172, 0x80000000, v43
	; wave barrier
	s_delay_alu instid0(VALU_DEP_1) | instskip(NEXT) | instid1(VALU_DEP_1)
	v_lshrrev_b32_e32 v36, s49, v172
	v_and_b32_e32 v37, s48, v36
	s_delay_alu instid0(VALU_DEP_1)
	v_and_b32_e32 v36, 1, v37
	v_lshlrev_b32_e32 v43, 30, v37
	v_lshlrev_b32_e32 v176, 29, v37
	;; [unrolled: 1-line block ×4, first 2 shown]
	v_add_co_u32 v36, s15, v36, -1
	s_wait_alu 0xf1ff
	v_cndmask_b32_e64 v178, 0, 1, s15
	v_not_b32_e32 v182, v43
	v_cmp_gt_i32_e64 s15, 0, v43
	v_not_b32_e32 v43, v176
	v_lshlrev_b32_e32 v180, 26, v37
	v_cmp_ne_u32_e32 vcc_lo, 0, v178
	v_ashrrev_i32_e32 v182, 31, v182
	v_lshlrev_b32_e32 v181, 25, v37
	v_ashrrev_i32_e32 v43, 31, v43
	v_lshlrev_b32_e32 v178, 24, v37
	s_wait_alu 0xfffd
	v_xor_b32_e32 v36, vcc_lo, v36
	v_cmp_gt_i32_e32 vcc_lo, 0, v176
	v_not_b32_e32 v176, v177
	s_wait_alu 0xf1ff
	v_xor_b32_e32 v182, s15, v182
	v_cmp_gt_i32_e64 s15, 0, v177
	v_and_b32_e32 v36, exec_lo, v36
	v_not_b32_e32 v177, v179
	v_ashrrev_i32_e32 v176, 31, v176
	s_wait_alu 0xfffd
	v_xor_b32_e32 v43, vcc_lo, v43
	v_cmp_gt_i32_e32 vcc_lo, 0, v179
	v_and_b32_e32 v36, v36, v182
	v_not_b32_e32 v179, v180
	v_ashrrev_i32_e32 v177, 31, v177
	s_wait_alu 0xf1ff
	v_xor_b32_e32 v176, s15, v176
	v_cmp_gt_i32_e64 s15, 0, v180
	v_and_b32_e32 v36, v36, v43
	v_not_b32_e32 v43, v181
	v_ashrrev_i32_e32 v179, 31, v179
	s_wait_alu 0xfffd
	v_xor_b32_e32 v177, vcc_lo, v177
	v_cmp_gt_i32_e32 vcc_lo, 0, v181
	v_and_b32_e32 v36, v36, v176
	v_not_b32_e32 v176, v178
	v_ashrrev_i32_e32 v43, 31, v43
	s_wait_alu 0xf1ff
	v_xor_b32_e32 v179, s15, v179
	v_cmp_gt_i32_e64 s15, 0, v178
	v_and_b32_e32 v36, v36, v177
	v_ashrrev_i32_e32 v176, 31, v176
	s_wait_alu 0xfffd
	v_xor_b32_e32 v43, vcc_lo, v43
	v_mad_u32_u24 v177, v37, 36, v118
	v_mul_u32_u24_e32 v37, 36, v37
	v_and_b32_e32 v36, v36, v179
	s_wait_alu 0xf1ff
	v_xor_b32_e32 v176, s15, v176
	ds_load_b32 v177, v177 offset:1056
	v_add_nc_u32_e32 v179, v118, v37
	v_and_b32_e32 v36, v36, v43
	; wave barrier
	s_delay_alu instid0(VALU_DEP_1) | instskip(NEXT) | instid1(VALU_DEP_1)
	v_and_b32_e32 v36, v36, v176
	v_mbcnt_lo_u32_b32 v178, v36, 0
	v_cmp_ne_u32_e64 s15, 0, v36
	s_delay_alu instid0(VALU_DEP_2)
	v_cmp_eq_u32_e32 vcc_lo, 0, v178
	s_and_b32 s16, s15, vcc_lo
	s_wait_alu 0xfffe
	s_and_saveexec_b32 s15, s16
	s_cbranch_execz .LBB635_1038
; %bb.1037:                             ;   in Loop: Header=BB635_982 Depth=2
	s_wait_dscnt 0x0
	v_bcnt_u32_b32 v36, v36, v177
	ds_store_b32 v179, v36 offset:1056
.LBB635_1038:                           ;   in Loop: Header=BB635_982 Depth=2
	s_wait_alu 0xfffe
	s_or_b32 exec_lo, exec_lo, s15
	v_xor_b32_e32 v176, 0x80000000, v42
	; wave barrier
	s_delay_alu instid0(VALU_DEP_1) | instskip(NEXT) | instid1(VALU_DEP_1)
	v_lshrrev_b32_e32 v36, s49, v176
	v_and_b32_e32 v37, s48, v36
	s_delay_alu instid0(VALU_DEP_1)
	v_and_b32_e32 v36, 1, v37
	v_lshlrev_b32_e32 v42, 30, v37
	v_lshlrev_b32_e32 v43, 29, v37
	;; [unrolled: 1-line block ×4, first 2 shown]
	v_add_co_u32 v36, s15, v36, -1
	s_wait_alu 0xf1ff
	v_cndmask_b32_e64 v181, 0, 1, s15
	v_not_b32_e32 v185, v42
	v_cmp_gt_i32_e64 s15, 0, v42
	v_not_b32_e32 v42, v43
	v_lshlrev_b32_e32 v183, 26, v37
	v_cmp_ne_u32_e32 vcc_lo, 0, v181
	v_ashrrev_i32_e32 v185, 31, v185
	v_lshlrev_b32_e32 v184, 25, v37
	v_ashrrev_i32_e32 v42, 31, v42
	v_lshlrev_b32_e32 v181, 24, v37
	s_wait_alu 0xfffd
	v_xor_b32_e32 v36, vcc_lo, v36
	v_cmp_gt_i32_e32 vcc_lo, 0, v43
	v_not_b32_e32 v43, v180
	s_wait_alu 0xf1ff
	v_xor_b32_e32 v185, s15, v185
	v_cmp_gt_i32_e64 s15, 0, v180
	v_and_b32_e32 v36, exec_lo, v36
	v_not_b32_e32 v180, v182
	v_ashrrev_i32_e32 v43, 31, v43
	s_wait_alu 0xfffd
	v_xor_b32_e32 v42, vcc_lo, v42
	v_cmp_gt_i32_e32 vcc_lo, 0, v182
	v_and_b32_e32 v36, v36, v185
	v_not_b32_e32 v182, v183
	v_ashrrev_i32_e32 v180, 31, v180
	s_wait_alu 0xf1ff
	v_xor_b32_e32 v43, s15, v43
	v_cmp_gt_i32_e64 s15, 0, v183
	v_and_b32_e32 v36, v36, v42
	v_not_b32_e32 v42, v184
	v_ashrrev_i32_e32 v182, 31, v182
	s_wait_alu 0xfffd
	v_xor_b32_e32 v180, vcc_lo, v180
	v_cmp_gt_i32_e32 vcc_lo, 0, v184
	v_and_b32_e32 v36, v36, v43
	v_not_b32_e32 v43, v181
	v_ashrrev_i32_e32 v42, 31, v42
	s_wait_alu 0xf1ff
	v_xor_b32_e32 v182, s15, v182
	v_cmp_gt_i32_e64 s15, 0, v181
	v_and_b32_e32 v36, v36, v180
	v_ashrrev_i32_e32 v43, 31, v43
	s_wait_alu 0xfffd
	v_xor_b32_e32 v42, vcc_lo, v42
	v_mad_u32_u24 v180, v37, 36, v118
	v_mul_u32_u24_e32 v37, 36, v37
	v_and_b32_e32 v36, v36, v182
	s_wait_alu 0xf1ff
	v_xor_b32_e32 v43, s15, v43
	ds_load_b32 v181, v180 offset:1056
	v_add_nc_u32_e32 v183, v118, v37
	v_and_b32_e32 v36, v36, v42
	; wave barrier
	s_delay_alu instid0(VALU_DEP_1) | instskip(NEXT) | instid1(VALU_DEP_1)
	v_and_b32_e32 v36, v36, v43
	v_mbcnt_lo_u32_b32 v182, v36, 0
	v_cmp_ne_u32_e64 s15, 0, v36
	s_delay_alu instid0(VALU_DEP_2)
	v_cmp_eq_u32_e32 vcc_lo, 0, v182
	s_and_b32 s16, s15, vcc_lo
	s_wait_alu 0xfffe
	s_and_saveexec_b32 s15, s16
	s_cbranch_execz .LBB635_1040
; %bb.1039:                             ;   in Loop: Header=BB635_982 Depth=2
	s_wait_dscnt 0x0
	v_bcnt_u32_b32 v36, v36, v181
	ds_store_b32 v183, v36 offset:1056
.LBB635_1040:                           ;   in Loop: Header=BB635_982 Depth=2
	s_wait_alu 0xfffe
	s_or_b32 exec_lo, exec_lo, s15
	v_xor_b32_e32 v180, 0x80000000, v41
	; wave barrier
	s_delay_alu instid0(VALU_DEP_1) | instskip(NEXT) | instid1(VALU_DEP_1)
	v_lshrrev_b32_e32 v36, s49, v180
	v_and_b32_e32 v37, s48, v36
	s_delay_alu instid0(VALU_DEP_1)
	v_and_b32_e32 v36, 1, v37
	v_lshlrev_b32_e32 v41, 30, v37
	v_lshlrev_b32_e32 v42, 29, v37
	;; [unrolled: 1-line block ×4, first 2 shown]
	v_add_co_u32 v36, s15, v36, -1
	s_wait_alu 0xf1ff
	v_cndmask_b32_e64 v184, 0, 1, s15
	v_not_b32_e32 v188, v41
	v_cmp_gt_i32_e64 s15, 0, v41
	v_not_b32_e32 v41, v42
	v_lshlrev_b32_e32 v186, 26, v37
	v_cmp_ne_u32_e32 vcc_lo, 0, v184
	v_ashrrev_i32_e32 v188, 31, v188
	v_lshlrev_b32_e32 v187, 25, v37
	v_ashrrev_i32_e32 v41, 31, v41
	v_lshlrev_b32_e32 v184, 24, v37
	s_wait_alu 0xfffd
	v_xor_b32_e32 v36, vcc_lo, v36
	v_cmp_gt_i32_e32 vcc_lo, 0, v42
	v_not_b32_e32 v42, v43
	s_wait_alu 0xf1ff
	v_xor_b32_e32 v188, s15, v188
	v_cmp_gt_i32_e64 s15, 0, v43
	v_and_b32_e32 v36, exec_lo, v36
	v_not_b32_e32 v43, v185
	v_ashrrev_i32_e32 v42, 31, v42
	s_wait_alu 0xfffd
	v_xor_b32_e32 v41, vcc_lo, v41
	v_cmp_gt_i32_e32 vcc_lo, 0, v185
	v_and_b32_e32 v36, v36, v188
	v_not_b32_e32 v185, v186
	v_ashrrev_i32_e32 v43, 31, v43
	s_wait_alu 0xf1ff
	v_xor_b32_e32 v42, s15, v42
	v_cmp_gt_i32_e64 s15, 0, v186
	v_and_b32_e32 v36, v36, v41
	v_not_b32_e32 v41, v187
	v_ashrrev_i32_e32 v185, 31, v185
	s_wait_alu 0xfffd
	v_xor_b32_e32 v43, vcc_lo, v43
	v_cmp_gt_i32_e32 vcc_lo, 0, v187
	v_and_b32_e32 v36, v36, v42
	v_not_b32_e32 v42, v184
	v_ashrrev_i32_e32 v41, 31, v41
	s_wait_alu 0xf1ff
	v_xor_b32_e32 v185, s15, v185
	v_cmp_gt_i32_e64 s15, 0, v184
	v_and_b32_e32 v36, v36, v43
	v_ashrrev_i32_e32 v42, 31, v42
	s_wait_alu 0xfffd
	v_xor_b32_e32 v41, vcc_lo, v41
	v_mad_u32_u24 v43, v37, 36, v118
	v_mul_u32_u24_e32 v37, 36, v37
	v_and_b32_e32 v36, v36, v185
	s_wait_alu 0xf1ff
	v_xor_b32_e32 v42, s15, v42
	ds_load_b32 v185, v43 offset:1056
	v_add_nc_u32_e32 v187, v118, v37
	v_and_b32_e32 v36, v36, v41
	; wave barrier
	s_delay_alu instid0(VALU_DEP_1) | instskip(NEXT) | instid1(VALU_DEP_1)
	v_and_b32_e32 v36, v36, v42
	v_mbcnt_lo_u32_b32 v186, v36, 0
	v_cmp_ne_u32_e64 s15, 0, v36
	s_delay_alu instid0(VALU_DEP_2)
	v_cmp_eq_u32_e32 vcc_lo, 0, v186
	s_and_b32 s16, s15, vcc_lo
	s_wait_alu 0xfffe
	s_and_saveexec_b32 s15, s16
	s_cbranch_execz .LBB635_1042
; %bb.1041:                             ;   in Loop: Header=BB635_982 Depth=2
	s_wait_dscnt 0x0
	v_bcnt_u32_b32 v36, v36, v185
	ds_store_b32 v187, v36 offset:1056
.LBB635_1042:                           ;   in Loop: Header=BB635_982 Depth=2
	s_wait_alu 0xfffe
	s_or_b32 exec_lo, exec_lo, s15
	v_xor_b32_e32 v184, 0x80000000, v40
	; wave barrier
	s_delay_alu instid0(VALU_DEP_1) | instskip(NEXT) | instid1(VALU_DEP_1)
	v_lshrrev_b32_e32 v36, s49, v184
	v_and_b32_e32 v37, s48, v36
	s_delay_alu instid0(VALU_DEP_1)
	v_and_b32_e32 v36, 1, v37
	v_lshlrev_b32_e32 v40, 30, v37
	v_lshlrev_b32_e32 v41, 29, v37
	v_lshlrev_b32_e32 v42, 28, v37
	v_lshlrev_b32_e32 v188, 27, v37
	v_add_co_u32 v36, s15, v36, -1
	s_wait_alu 0xf1ff
	v_cndmask_b32_e64 v43, 0, 1, s15
	v_not_b32_e32 v191, v40
	v_cmp_gt_i32_e64 s15, 0, v40
	v_not_b32_e32 v40, v41
	v_lshlrev_b32_e32 v189, 26, v37
	v_cmp_ne_u32_e32 vcc_lo, 0, v43
	v_ashrrev_i32_e32 v191, 31, v191
	v_lshlrev_b32_e32 v190, 25, v37
	v_ashrrev_i32_e32 v40, 31, v40
	v_lshlrev_b32_e32 v43, 24, v37
	s_wait_alu 0xfffd
	v_xor_b32_e32 v36, vcc_lo, v36
	v_cmp_gt_i32_e32 vcc_lo, 0, v41
	v_not_b32_e32 v41, v42
	s_wait_alu 0xf1ff
	v_xor_b32_e32 v191, s15, v191
	v_cmp_gt_i32_e64 s15, 0, v42
	v_and_b32_e32 v36, exec_lo, v36
	v_not_b32_e32 v42, v188
	v_ashrrev_i32_e32 v41, 31, v41
	s_wait_alu 0xfffd
	v_xor_b32_e32 v40, vcc_lo, v40
	v_cmp_gt_i32_e32 vcc_lo, 0, v188
	v_and_b32_e32 v36, v36, v191
	v_not_b32_e32 v188, v189
	v_ashrrev_i32_e32 v42, 31, v42
	s_wait_alu 0xf1ff
	v_xor_b32_e32 v41, s15, v41
	v_cmp_gt_i32_e64 s15, 0, v189
	v_and_b32_e32 v36, v36, v40
	v_not_b32_e32 v40, v190
	v_ashrrev_i32_e32 v188, 31, v188
	s_wait_alu 0xfffd
	v_xor_b32_e32 v42, vcc_lo, v42
	v_cmp_gt_i32_e32 vcc_lo, 0, v190
	v_and_b32_e32 v36, v36, v41
	v_not_b32_e32 v41, v43
	v_ashrrev_i32_e32 v40, 31, v40
	s_wait_alu 0xf1ff
	v_xor_b32_e32 v188, s15, v188
	v_cmp_gt_i32_e64 s15, 0, v43
	v_and_b32_e32 v36, v36, v42
	v_ashrrev_i32_e32 v41, 31, v41
	s_wait_alu 0xfffd
	v_xor_b32_e32 v40, vcc_lo, v40
	v_mad_u32_u24 v42, v37, 36, v118
	v_mul_u32_u24_e32 v37, 36, v37
	v_and_b32_e32 v36, v36, v188
	s_wait_alu 0xf1ff
	v_xor_b32_e32 v41, s15, v41
	ds_load_b32 v189, v42 offset:1056
	v_add_nc_u32_e32 v191, v118, v37
	v_and_b32_e32 v36, v36, v40
	; wave barrier
	s_delay_alu instid0(VALU_DEP_1) | instskip(NEXT) | instid1(VALU_DEP_1)
	v_and_b32_e32 v36, v36, v41
	v_mbcnt_lo_u32_b32 v190, v36, 0
	v_cmp_ne_u32_e64 s15, 0, v36
	s_delay_alu instid0(VALU_DEP_2)
	v_cmp_eq_u32_e32 vcc_lo, 0, v190
	s_and_b32 s16, s15, vcc_lo
	s_wait_alu 0xfffe
	s_and_saveexec_b32 s15, s16
	s_cbranch_execz .LBB635_1044
; %bb.1043:                             ;   in Loop: Header=BB635_982 Depth=2
	s_wait_dscnt 0x0
	v_bcnt_u32_b32 v36, v36, v189
	ds_store_b32 v191, v36 offset:1056
.LBB635_1044:                           ;   in Loop: Header=BB635_982 Depth=2
	s_wait_alu 0xfffe
	s_or_b32 exec_lo, exec_lo, s15
	v_xor_b32_e32 v188, 0x80000000, v39
	; wave barrier
	s_delay_alu instid0(VALU_DEP_1) | instskip(NEXT) | instid1(VALU_DEP_1)
	v_lshrrev_b32_e32 v36, s49, v188
	v_and_b32_e32 v37, s48, v36
	s_delay_alu instid0(VALU_DEP_1)
	v_and_b32_e32 v36, 1, v37
	v_lshlrev_b32_e32 v39, 30, v37
	v_lshlrev_b32_e32 v40, 29, v37
	;; [unrolled: 1-line block ×4, first 2 shown]
	v_add_co_u32 v36, s15, v36, -1
	s_wait_alu 0xf1ff
	v_cndmask_b32_e64 v42, 0, 1, s15
	v_not_b32_e32 v194, v39
	v_cmp_gt_i32_e64 s15, 0, v39
	v_not_b32_e32 v39, v40
	v_lshlrev_b32_e32 v192, 26, v37
	v_cmp_ne_u32_e32 vcc_lo, 0, v42
	v_ashrrev_i32_e32 v194, 31, v194
	v_lshlrev_b32_e32 v193, 25, v37
	v_ashrrev_i32_e32 v39, 31, v39
	v_lshlrev_b32_e32 v42, 24, v37
	s_wait_alu 0xfffd
	v_xor_b32_e32 v36, vcc_lo, v36
	v_cmp_gt_i32_e32 vcc_lo, 0, v40
	v_not_b32_e32 v40, v41
	s_wait_alu 0xf1ff
	v_xor_b32_e32 v194, s15, v194
	v_cmp_gt_i32_e64 s15, 0, v41
	v_and_b32_e32 v36, exec_lo, v36
	v_not_b32_e32 v41, v43
	v_ashrrev_i32_e32 v40, 31, v40
	s_wait_alu 0xfffd
	v_xor_b32_e32 v39, vcc_lo, v39
	v_cmp_gt_i32_e32 vcc_lo, 0, v43
	v_and_b32_e32 v36, v36, v194
	v_not_b32_e32 v43, v192
	v_ashrrev_i32_e32 v41, 31, v41
	s_wait_alu 0xf1ff
	v_xor_b32_e32 v40, s15, v40
	v_cmp_gt_i32_e64 s15, 0, v192
	v_and_b32_e32 v36, v36, v39
	v_not_b32_e32 v39, v193
	v_ashrrev_i32_e32 v43, 31, v43
	s_wait_alu 0xfffd
	v_xor_b32_e32 v41, vcc_lo, v41
	v_cmp_gt_i32_e32 vcc_lo, 0, v193
	v_and_b32_e32 v36, v36, v40
	v_not_b32_e32 v40, v42
	v_ashrrev_i32_e32 v39, 31, v39
	s_wait_alu 0xf1ff
	v_xor_b32_e32 v43, s15, v43
	v_cmp_gt_i32_e64 s15, 0, v42
	v_and_b32_e32 v36, v36, v41
	v_ashrrev_i32_e32 v40, 31, v40
	s_wait_alu 0xfffd
	v_xor_b32_e32 v39, vcc_lo, v39
	v_mad_u32_u24 v41, v37, 36, v118
	v_mul_u32_u24_e32 v37, 36, v37
	v_and_b32_e32 v36, v36, v43
	s_wait_alu 0xf1ff
	v_xor_b32_e32 v40, s15, v40
	ds_load_b32 v193, v41 offset:1056
	v_add_nc_u32_e32 v195, v118, v37
	v_and_b32_e32 v36, v36, v39
	; wave barrier
	s_delay_alu instid0(VALU_DEP_1) | instskip(NEXT) | instid1(VALU_DEP_1)
	v_and_b32_e32 v36, v36, v40
	v_mbcnt_lo_u32_b32 v194, v36, 0
	v_cmp_ne_u32_e64 s15, 0, v36
	s_delay_alu instid0(VALU_DEP_2)
	v_cmp_eq_u32_e32 vcc_lo, 0, v194
	s_and_b32 s16, s15, vcc_lo
	s_wait_alu 0xfffe
	s_and_saveexec_b32 s15, s16
	s_cbranch_execz .LBB635_1046
; %bb.1045:                             ;   in Loop: Header=BB635_982 Depth=2
	s_wait_dscnt 0x0
	v_bcnt_u32_b32 v36, v36, v193
	ds_store_b32 v195, v36 offset:1056
.LBB635_1046:                           ;   in Loop: Header=BB635_982 Depth=2
	s_wait_alu 0xfffe
	s_or_b32 exec_lo, exec_lo, s15
	v_xor_b32_e32 v192, 0x80000000, v38
	; wave barrier
	s_delay_alu instid0(VALU_DEP_1) | instskip(NEXT) | instid1(VALU_DEP_1)
	v_lshrrev_b32_e32 v36, s49, v192
	v_and_b32_e32 v37, s48, v36
	s_delay_alu instid0(VALU_DEP_1)
	v_and_b32_e32 v36, 1, v37
	v_lshlrev_b32_e32 v38, 30, v37
	v_lshlrev_b32_e32 v39, 29, v37
	;; [unrolled: 1-line block ×4, first 2 shown]
	v_add_co_u32 v36, s15, v36, -1
	s_wait_alu 0xf1ff
	v_cndmask_b32_e64 v41, 0, 1, s15
	v_not_b32_e32 v197, v38
	v_cmp_gt_i32_e64 s15, 0, v38
	v_not_b32_e32 v38, v39
	v_lshlrev_b32_e32 v43, 26, v37
	v_cmp_ne_u32_e32 vcc_lo, 0, v41
	v_ashrrev_i32_e32 v197, 31, v197
	v_lshlrev_b32_e32 v196, 25, v37
	v_ashrrev_i32_e32 v38, 31, v38
	v_lshlrev_b32_e32 v41, 24, v37
	s_wait_alu 0xfffd
	v_xor_b32_e32 v36, vcc_lo, v36
	v_cmp_gt_i32_e32 vcc_lo, 0, v39
	v_not_b32_e32 v39, v40
	s_wait_alu 0xf1ff
	v_xor_b32_e32 v197, s15, v197
	v_cmp_gt_i32_e64 s15, 0, v40
	v_and_b32_e32 v36, exec_lo, v36
	v_not_b32_e32 v40, v42
	v_ashrrev_i32_e32 v39, 31, v39
	s_wait_alu 0xfffd
	v_xor_b32_e32 v38, vcc_lo, v38
	v_cmp_gt_i32_e32 vcc_lo, 0, v42
	v_and_b32_e32 v36, v36, v197
	v_not_b32_e32 v42, v43
	v_ashrrev_i32_e32 v40, 31, v40
	s_wait_alu 0xf1ff
	v_xor_b32_e32 v39, s15, v39
	v_cmp_gt_i32_e64 s15, 0, v43
	v_and_b32_e32 v36, v36, v38
	v_not_b32_e32 v38, v196
	v_ashrrev_i32_e32 v42, 31, v42
	s_wait_alu 0xfffd
	v_xor_b32_e32 v40, vcc_lo, v40
	v_cmp_gt_i32_e32 vcc_lo, 0, v196
	v_and_b32_e32 v36, v36, v39
	v_not_b32_e32 v39, v41
	v_ashrrev_i32_e32 v38, 31, v38
	s_wait_alu 0xf1ff
	v_xor_b32_e32 v42, s15, v42
	v_cmp_gt_i32_e64 s15, 0, v41
	v_and_b32_e32 v36, v36, v40
	v_ashrrev_i32_e32 v39, 31, v39
	s_wait_alu 0xfffd
	v_xor_b32_e32 v38, vcc_lo, v38
	v_mad_u32_u24 v40, v37, 36, v118
	v_mul_u32_u24_e32 v37, 36, v37
	v_and_b32_e32 v36, v36, v42
	s_wait_alu 0xf1ff
	v_xor_b32_e32 v39, s15, v39
	ds_load_b32 v196, v40 offset:1056
	v_add_nc_u32_e32 v198, v118, v37
	v_and_b32_e32 v36, v36, v38
	; wave barrier
	s_delay_alu instid0(VALU_DEP_1) | instskip(NEXT) | instid1(VALU_DEP_1)
	v_and_b32_e32 v36, v36, v39
	v_mbcnt_lo_u32_b32 v197, v36, 0
	v_cmp_ne_u32_e64 s15, 0, v36
	s_delay_alu instid0(VALU_DEP_2)
	v_cmp_eq_u32_e32 vcc_lo, 0, v197
	s_and_b32 s16, s15, vcc_lo
	s_wait_alu 0xfffe
	s_and_saveexec_b32 s15, s16
	s_cbranch_execz .LBB635_1048
; %bb.1047:                             ;   in Loop: Header=BB635_982 Depth=2
	s_wait_dscnt 0x0
	v_bcnt_u32_b32 v36, v36, v196
	ds_store_b32 v198, v36 offset:1056
.LBB635_1048:                           ;   in Loop: Header=BB635_982 Depth=2
	s_wait_alu 0xfffe
	s_or_b32 exec_lo, exec_lo, s15
	v_lshrrev_b32_e32 v36, s49, v2
	; wave barrier
	s_delay_alu instid0(VALU_DEP_1) | instskip(NEXT) | instid1(VALU_DEP_1)
	v_and_b32_e32 v37, s48, v36
	v_and_b32_e32 v36, 1, v37
	v_lshlrev_b32_e32 v38, 30, v37
	v_lshlrev_b32_e32 v39, 29, v37
	;; [unrolled: 1-line block ×4, first 2 shown]
	v_add_co_u32 v36, s15, v36, -1
	s_wait_alu 0xf1ff
	v_cndmask_b32_e64 v41, 0, 1, s15
	v_not_b32_e32 v200, v38
	v_cmp_gt_i32_e64 s15, 0, v38
	v_not_b32_e32 v38, v39
	v_lshlrev_b32_e32 v43, 26, v37
	v_cmp_ne_u32_e32 vcc_lo, 0, v41
	v_ashrrev_i32_e32 v200, 31, v200
	v_lshlrev_b32_e32 v199, 25, v37
	v_ashrrev_i32_e32 v38, 31, v38
	v_lshlrev_b32_e32 v41, 24, v37
	s_wait_alu 0xfffd
	v_xor_b32_e32 v36, vcc_lo, v36
	v_cmp_gt_i32_e32 vcc_lo, 0, v39
	v_not_b32_e32 v39, v40
	s_wait_alu 0xf1ff
	v_xor_b32_e32 v200, s15, v200
	v_cmp_gt_i32_e64 s15, 0, v40
	v_and_b32_e32 v36, exec_lo, v36
	v_not_b32_e32 v40, v42
	v_ashrrev_i32_e32 v39, 31, v39
	s_wait_alu 0xfffd
	v_xor_b32_e32 v38, vcc_lo, v38
	v_cmp_gt_i32_e32 vcc_lo, 0, v42
	v_and_b32_e32 v36, v36, v200
	v_not_b32_e32 v42, v43
	v_ashrrev_i32_e32 v40, 31, v40
	s_wait_alu 0xf1ff
	v_xor_b32_e32 v39, s15, v39
	v_cmp_gt_i32_e64 s15, 0, v43
	v_and_b32_e32 v36, v36, v38
	v_not_b32_e32 v38, v199
	v_ashrrev_i32_e32 v42, 31, v42
	s_wait_alu 0xfffd
	v_xor_b32_e32 v40, vcc_lo, v40
	v_cmp_gt_i32_e32 vcc_lo, 0, v199
	v_and_b32_e32 v36, v36, v39
	v_not_b32_e32 v39, v41
	v_ashrrev_i32_e32 v38, 31, v38
	s_wait_alu 0xf1ff
	v_xor_b32_e32 v42, s15, v42
	v_cmp_gt_i32_e64 s15, 0, v41
	v_and_b32_e32 v36, v36, v40
	v_ashrrev_i32_e32 v39, 31, v39
	s_wait_alu 0xfffd
	v_xor_b32_e32 v38, vcc_lo, v38
	v_mad_u32_u24 v40, v37, 36, v118
	v_mul_u32_u24_e32 v37, 36, v37
	v_and_b32_e32 v36, v36, v42
	s_wait_alu 0xf1ff
	v_xor_b32_e32 v39, s15, v39
	ds_load_b32 v199, v40 offset:1056
	v_add_nc_u32_e32 v201, v118, v37
	v_and_b32_e32 v36, v36, v38
	; wave barrier
	s_delay_alu instid0(VALU_DEP_1) | instskip(NEXT) | instid1(VALU_DEP_1)
	v_and_b32_e32 v36, v36, v39
	v_mbcnt_lo_u32_b32 v200, v36, 0
	v_cmp_ne_u32_e64 s15, 0, v36
	s_delay_alu instid0(VALU_DEP_2)
	v_cmp_eq_u32_e32 vcc_lo, 0, v200
	s_and_b32 s16, s15, vcc_lo
	s_wait_alu 0xfffe
	s_and_saveexec_b32 s15, s16
	s_cbranch_execz .LBB635_1050
; %bb.1049:                             ;   in Loop: Header=BB635_982 Depth=2
	s_wait_dscnt 0x0
	v_bcnt_u32_b32 v36, v36, v199
	ds_store_b32 v201, v36 offset:1056
.LBB635_1050:                           ;   in Loop: Header=BB635_982 Depth=2
	s_wait_alu 0xfffe
	s_or_b32 exec_lo, exec_lo, s15
	; wave barrier
	s_wait_loadcnt_dscnt 0x0
	s_barrier_signal -1
	s_barrier_wait -1
	global_inv scope:SCOPE_SE
	ds_load_2addr_b32 v[42:43], v140 offset1:1
	ds_load_2addr_b32 v[40:41], v141 offset1:1
	;; [unrolled: 1-line block ×4, first 2 shown]
	ds_load_b32 v202, v67 offset:1088
	s_wait_dscnt 0x3
	v_add3_u32 v203, v43, v42, v40
	s_wait_dscnt 0x2
	s_delay_alu instid0(VALU_DEP_1) | instskip(SKIP_1) | instid1(VALU_DEP_1)
	v_add3_u32 v203, v203, v41, v38
	s_wait_dscnt 0x1
	v_add3_u32 v203, v203, v39, v36
	s_wait_dscnt 0x0
	s_delay_alu instid0(VALU_DEP_1) | instskip(NEXT) | instid1(VALU_DEP_1)
	v_add3_u32 v202, v203, v37, v202
	v_mov_b32_dpp v203, v202 row_shr:1 row_mask:0xf bank_mask:0xf
	s_delay_alu instid0(VALU_DEP_1) | instskip(NEXT) | instid1(VALU_DEP_1)
	v_cndmask_b32_e64 v203, v203, 0, s0
	v_add_nc_u32_e32 v202, v203, v202
	s_delay_alu instid0(VALU_DEP_1) | instskip(NEXT) | instid1(VALU_DEP_1)
	v_mov_b32_dpp v203, v202 row_shr:2 row_mask:0xf bank_mask:0xf
	v_cndmask_b32_e64 v203, 0, v203, s1
	s_delay_alu instid0(VALU_DEP_1) | instskip(NEXT) | instid1(VALU_DEP_1)
	v_add_nc_u32_e32 v202, v202, v203
	v_mov_b32_dpp v203, v202 row_shr:4 row_mask:0xf bank_mask:0xf
	s_delay_alu instid0(VALU_DEP_1) | instskip(NEXT) | instid1(VALU_DEP_1)
	v_cndmask_b32_e64 v203, 0, v203, s9
	v_add_nc_u32_e32 v202, v202, v203
	s_delay_alu instid0(VALU_DEP_1) | instskip(NEXT) | instid1(VALU_DEP_1)
	v_mov_b32_dpp v203, v202 row_shr:8 row_mask:0xf bank_mask:0xf
	v_cndmask_b32_e64 v203, 0, v203, s10
	s_delay_alu instid0(VALU_DEP_1) | instskip(SKIP_3) | instid1(VALU_DEP_1)
	v_add_nc_u32_e32 v202, v202, v203
	ds_swizzle_b32 v203, v202 offset:swizzle(BROADCAST,32,15)
	s_wait_dscnt 0x0
	v_cndmask_b32_e64 v203, v203, 0, s11
	v_add_nc_u32_e32 v202, v202, v203
	s_and_saveexec_b32 s15, s3
; %bb.1051:                             ;   in Loop: Header=BB635_982 Depth=2
	ds_store_b32 v63, v202 offset:1024
; %bb.1052:                             ;   in Loop: Header=BB635_982 Depth=2
	s_wait_alu 0xfffe
	s_or_b32 exec_lo, exec_lo, s15
	s_wait_loadcnt_dscnt 0x0
	s_barrier_signal -1
	s_barrier_wait -1
	global_inv scope:SCOPE_SE
	s_and_saveexec_b32 s15, s4
	s_cbranch_execz .LBB635_1054
; %bb.1053:                             ;   in Loop: Header=BB635_982 Depth=2
	ds_load_b32 v203, v70 offset:1024
	s_wait_dscnt 0x0
	v_mov_b32_dpp v204, v203 row_shr:1 row_mask:0xf bank_mask:0xf
	s_delay_alu instid0(VALU_DEP_1) | instskip(NEXT) | instid1(VALU_DEP_1)
	v_cndmask_b32_e64 v204, v204, 0, s12
	v_add_nc_u32_e32 v203, v204, v203
	s_delay_alu instid0(VALU_DEP_1) | instskip(NEXT) | instid1(VALU_DEP_1)
	v_mov_b32_dpp v204, v203 row_shr:2 row_mask:0xf bank_mask:0xf
	v_cndmask_b32_e64 v204, 0, v204, s13
	s_delay_alu instid0(VALU_DEP_1) | instskip(NEXT) | instid1(VALU_DEP_1)
	v_add_nc_u32_e32 v203, v203, v204
	v_mov_b32_dpp v204, v203 row_shr:4 row_mask:0xf bank_mask:0xf
	s_delay_alu instid0(VALU_DEP_1) | instskip(NEXT) | instid1(VALU_DEP_1)
	v_cndmask_b32_e64 v204, 0, v204, s14
	v_add_nc_u32_e32 v203, v203, v204
	ds_store_b32 v70, v203 offset:1024
.LBB635_1054:                           ;   in Loop: Header=BB635_982 Depth=2
	s_wait_alu 0xfffe
	s_or_b32 exec_lo, exec_lo, s15
	v_mov_b32_e32 v203, 0
	s_wait_loadcnt_dscnt 0x0
	s_barrier_signal -1
	s_barrier_wait -1
	global_inv scope:SCOPE_SE
	s_and_saveexec_b32 s15, s5
; %bb.1055:                             ;   in Loop: Header=BB635_982 Depth=2
	ds_load_b32 v203, v63 offset:1020
; %bb.1056:                             ;   in Loop: Header=BB635_982 Depth=2
	s_wait_alu 0xfffe
	s_or_b32 exec_lo, exec_lo, s15
	s_wait_dscnt 0x0
	v_add_nc_u32_e32 v202, v203, v202
	ds_bpermute_b32 v202, v113, v202
	s_wait_dscnt 0x0
	v_cndmask_b32_e64 v202, v202, v203, s8
	s_delay_alu instid0(VALU_DEP_1) | instskip(NEXT) | instid1(VALU_DEP_1)
	v_cndmask_b32_e64 v202, v202, 0, s6
	v_add_nc_u32_e32 v42, v202, v42
	s_delay_alu instid0(VALU_DEP_1) | instskip(NEXT) | instid1(VALU_DEP_1)
	v_add_nc_u32_e32 v43, v42, v43
	v_add_nc_u32_e32 v40, v43, v40
	s_delay_alu instid0(VALU_DEP_1) | instskip(NEXT) | instid1(VALU_DEP_1)
	v_add_nc_u32_e32 v41, v40, v41
	;; [unrolled: 3-line block ×3, first 2 shown]
	v_add_nc_u32_e32 v36, v39, v36
	s_delay_alu instid0(VALU_DEP_1)
	v_add_nc_u32_e32 v37, v36, v37
	ds_store_2addr_b32 v139, v39, v36 offset1:1
	ds_store_2addr_b32 v140, v202, v42 offset1:1
	;; [unrolled: 1-line block ×4, first 2 shown]
	ds_store_b32 v67, v37 offset:1088
	s_wait_loadcnt_dscnt 0x0
	s_barrier_signal -1
	s_barrier_wait -1
	global_inv scope:SCOPE_SE
	ds_load_b32 v39, v143 offset:1056
	ds_load_b32 v41, v147 offset:1056
	;; [unrolled: 1-line block ×17, first 2 shown]
	v_mov_b32_e32 v38, 0x1000
	s_and_saveexec_b32 s15, s7
; %bb.1057:                             ;   in Loop: Header=BB635_982 Depth=2
	ds_load_b32 v38, v67 offset:1092
; %bb.1058:                             ;   in Loop: Header=BB635_982 Depth=2
	s_wait_alu 0xfffe
	s_or_b32 exec_lo, exec_lo, s15
	s_wait_loadcnt_dscnt 0x0
	s_barrier_signal -1
	s_barrier_wait -1
	global_inv scope:SCOPE_SE
	s_and_saveexec_b32 s15, s2
	s_cbranch_execz .LBB635_1060
; %bb.1059:                             ;   in Loop: Header=BB635_982 Depth=2
	ds_load_b32 v143, v44
	s_wait_dscnt 0x0
	v_sub_nc_u32_e32 v142, v143, v142
	ds_store_b32 v44, v142
.LBB635_1060:                           ;   in Loop: Header=BB635_982 Depth=2
	s_wait_alu 0xfffe
	s_or_b32 exec_lo, exec_lo, s15
	v_add_nc_u32_e32 v155, v39, v138
	v_add3_u32 v151, v146, v145, v41
	v_add3_u32 v147, v150, v149, v42
	;; [unrolled: 1-line block ×4, first 2 shown]
	v_lshlrev_b32_e32 v149, 2, v155
	v_add3_u32 v143, v162, v161, v140
	v_add3_u32 v142, v166, v165, v141
	;; [unrolled: 1-line block ×3, first 2 shown]
	v_lshlrev_b32_e32 v36, 2, v151
	v_add3_u32 v141, v170, v169, v163
	v_add3_u32 v42, v194, v193, v37
	v_lshlrev_b32_e32 v37, 2, v147
	v_add3_u32 v140, v174, v173, v168
	ds_store_b32 v149, v136 offset:1024
	v_lshlrev_b32_e32 v136, 2, v146
	v_add3_u32 v139, v178, v177, v171
	v_lshlrev_b32_e32 v149, 2, v145
	v_add3_u32 v138, v182, v181, v175
	;; [unrolled: 2-line block ×3, first 2 shown]
	ds_store_b32 v36, v137 offset:1024
	ds_store_b32 v37, v144 offset:1024
	;; [unrolled: 1-line block ×5, first 2 shown]
	v_lshlrev_b32_e32 v36, 2, v142
	v_lshlrev_b32_e32 v37, 2, v141
	;; [unrolled: 1-line block ×3, first 2 shown]
	v_add3_u32 v41, v197, v196, v40
	v_lshlrev_b32_e32 v137, 2, v139
	v_add3_u32 v40, v200, v199, v159
	v_lshlrev_b32_e32 v144, 2, v138
	ds_store_b32 v36, v160 offset:1024
	ds_store_b32 v37, v164 offset:1024
	;; [unrolled: 1-line block ×5, first 2 shown]
	v_lshlrev_b32_e32 v36, 2, v39
	v_cmp_lt_u32_e32 vcc_lo, v1, v135
	v_lshlrev_b32_e32 v37, 2, v43
	v_lshlrev_b32_e32 v136, 2, v42
	;; [unrolled: 1-line block ×4, first 2 shown]
	ds_store_b32 v36, v180 offset:1024
	ds_store_b32 v37, v184 offset:1024
	ds_store_b32 v136, v188 offset:1024
	ds_store_b32 v137, v192 offset:1024
	ds_store_b32 v144, v2 offset:1024
	s_wait_loadcnt_dscnt 0x0
	s_barrier_signal -1
	s_barrier_wait -1
	global_inv scope:SCOPE_SE
	s_and_saveexec_b32 s16, vcc_lo
	s_cbranch_execnz .LBB635_1129
; %bb.1061:                             ;   in Loop: Header=BB635_982 Depth=2
	s_wait_alu 0xfffe
	s_or_b32 exec_lo, exec_lo, s16
	v_cmp_lt_u32_e64 s15, v45, v135
	s_and_saveexec_b32 s17, s15
	s_cbranch_execnz .LBB635_1130
.LBB635_1062:                           ;   in Loop: Header=BB635_982 Depth=2
	s_wait_alu 0xfffe
	s_or_b32 exec_lo, exec_lo, s17
	v_cmp_lt_u32_e64 s16, v46, v135
	s_and_saveexec_b32 s18, s16
	s_cbranch_execnz .LBB635_1131
.LBB635_1063:                           ;   in Loop: Header=BB635_982 Depth=2
	s_wait_alu 0xfffe
	s_or_b32 exec_lo, exec_lo, s18
	v_cmp_lt_u32_e64 s17, v47, v135
	s_and_saveexec_b32 s19, s17
	s_cbranch_execnz .LBB635_1132
.LBB635_1064:                           ;   in Loop: Header=BB635_982 Depth=2
	s_wait_alu 0xfffe
	s_or_b32 exec_lo, exec_lo, s19
	v_cmp_lt_u32_e64 s18, v50, v135
	s_and_saveexec_b32 s20, s18
	s_cbranch_execnz .LBB635_1133
.LBB635_1065:                           ;   in Loop: Header=BB635_982 Depth=2
	s_wait_alu 0xfffe
	s_or_b32 exec_lo, exec_lo, s20
	v_cmp_lt_u32_e64 s19, v51, v135
	s_and_saveexec_b32 s21, s19
	s_cbranch_execnz .LBB635_1134
.LBB635_1066:                           ;   in Loop: Header=BB635_982 Depth=2
	s_wait_alu 0xfffe
	s_or_b32 exec_lo, exec_lo, s21
	v_cmp_lt_u32_e64 s20, v52, v135
	s_and_saveexec_b32 s22, s20
	s_cbranch_execnz .LBB635_1135
.LBB635_1067:                           ;   in Loop: Header=BB635_982 Depth=2
	s_wait_alu 0xfffe
	s_or_b32 exec_lo, exec_lo, s22
	v_cmp_lt_u32_e64 s21, v53, v135
	s_and_saveexec_b32 s23, s21
	s_cbranch_execnz .LBB635_1136
.LBB635_1068:                           ;   in Loop: Header=BB635_982 Depth=2
	s_wait_alu 0xfffe
	s_or_b32 exec_lo, exec_lo, s23
	v_cmp_lt_u32_e64 s22, v54, v135
	s_and_saveexec_b32 s24, s22
	s_cbranch_execnz .LBB635_1137
.LBB635_1069:                           ;   in Loop: Header=BB635_982 Depth=2
	s_wait_alu 0xfffe
	s_or_b32 exec_lo, exec_lo, s24
	v_cmp_lt_u32_e64 s23, v55, v135
	s_and_saveexec_b32 s25, s23
	s_cbranch_execnz .LBB635_1138
.LBB635_1070:                           ;   in Loop: Header=BB635_982 Depth=2
	s_wait_alu 0xfffe
	s_or_b32 exec_lo, exec_lo, s25
	v_cmp_lt_u32_e64 s24, v56, v135
	s_and_saveexec_b32 s26, s24
	s_cbranch_execnz .LBB635_1139
.LBB635_1071:                           ;   in Loop: Header=BB635_982 Depth=2
	s_wait_alu 0xfffe
	s_or_b32 exec_lo, exec_lo, s26
	v_cmp_lt_u32_e64 s25, v57, v135
	s_and_saveexec_b32 s27, s25
	s_cbranch_execnz .LBB635_1140
.LBB635_1072:                           ;   in Loop: Header=BB635_982 Depth=2
	s_wait_alu 0xfffe
	s_or_b32 exec_lo, exec_lo, s27
	v_cmp_lt_u32_e64 s26, v58, v135
	s_and_saveexec_b32 s28, s26
	s_cbranch_execnz .LBB635_1141
.LBB635_1073:                           ;   in Loop: Header=BB635_982 Depth=2
	s_wait_alu 0xfffe
	s_or_b32 exec_lo, exec_lo, s28
	v_cmp_lt_u32_e64 s27, v59, v135
	s_and_saveexec_b32 s29, s27
	s_cbranch_execnz .LBB635_1142
.LBB635_1074:                           ;   in Loop: Header=BB635_982 Depth=2
	s_wait_alu 0xfffe
	s_or_b32 exec_lo, exec_lo, s29
	v_cmp_lt_u32_e64 s28, v60, v135
	s_and_saveexec_b32 s30, s28
	s_cbranch_execnz .LBB635_1143
.LBB635_1075:                           ;   in Loop: Header=BB635_982 Depth=2
	s_wait_alu 0xfffe
	s_or_b32 exec_lo, exec_lo, s30
	v_cmp_lt_u32_e64 s29, v61, v135
	s_and_saveexec_b32 s56, s29
	s_cbranch_execz .LBB635_1077
.LBB635_1076:                           ;   in Loop: Header=BB635_982 Depth=2
	ds_load_b32 v136, v70 offset:16384
	s_wait_dscnt 0x0
	v_lshrrev_b32_e32 v2, s49, v136
	s_delay_alu instid0(VALU_DEP_1) | instskip(NEXT) | instid1(VALU_DEP_1)
	v_and_b32_e32 v2, s48, v2
	v_lshlrev_b32_e32 v2, 2, v2
	ds_load_b32 v2, v2
	s_wait_dscnt 0x0
	v_add_nc_u32_e32 v2, v2, v61
	s_delay_alu instid0(VALU_DEP_1) | instskip(SKIP_1) | instid1(VALU_DEP_2)
	v_lshlrev_b64_e32 v[36:37], 2, v[2:3]
	v_xor_b32_e32 v2, 0x80000000, v136
	v_add_co_u32 v36, s30, s40, v36
	s_wait_alu 0xf1ff
	s_delay_alu instid0(VALU_DEP_3)
	v_add_co_ci_u32_e64 v37, null, s41, v37, s30
	global_store_b32 v[36:37], v2, off
.LBB635_1077:                           ;   in Loop: Header=BB635_982 Depth=2
	s_wait_alu 0xfffe
	s_or_b32 exec_lo, exec_lo, s56
	s_lshl_b64 s[56:57], s[42:43], 3
	s_wait_alu 0xfffe
	v_add_co_u32 v36, s30, v114, s56
	s_wait_alu 0xf1ff
	v_add_co_ci_u32_e64 v37, null, s57, v115, s30
	v_cmp_lt_u32_e64 s30, v88, v135
	s_and_saveexec_b32 s42, s30
	s_wait_alu 0xfffe
	s_xor_b32 s30, exec_lo, s42
	s_cbranch_execnz .LBB635_1144
; %bb.1078:                             ;   in Loop: Header=BB635_982 Depth=2
	s_wait_alu 0xfffe
	s_or_b32 exec_lo, exec_lo, s30
	s_delay_alu instid0(SALU_CYCLE_1)
	s_mov_b32 s42, exec_lo
	v_cmpx_lt_u32_e64 v92, v135
	s_cbranch_execnz .LBB635_1145
.LBB635_1079:                           ;   in Loop: Header=BB635_982 Depth=2
	s_wait_alu 0xfffe
	s_or_b32 exec_lo, exec_lo, s42
	s_delay_alu instid0(SALU_CYCLE_1)
	s_mov_b32 s42, exec_lo
	v_cmpx_lt_u32_e64 v93, v135
	s_cbranch_execnz .LBB635_1146
.LBB635_1080:                           ;   in Loop: Header=BB635_982 Depth=2
	s_wait_alu 0xfffe
	s_or_b32 exec_lo, exec_lo, s42
	s_delay_alu instid0(SALU_CYCLE_1)
	s_mov_b32 s42, exec_lo
	v_cmpx_lt_u32_e64 v94, v135
	s_cbranch_execnz .LBB635_1147
.LBB635_1081:                           ;   in Loop: Header=BB635_982 Depth=2
	s_wait_alu 0xfffe
	s_or_b32 exec_lo, exec_lo, s42
	s_delay_alu instid0(SALU_CYCLE_1)
	s_mov_b32 s42, exec_lo
	v_cmpx_lt_u32_e64 v95, v135
	s_cbranch_execnz .LBB635_1148
.LBB635_1082:                           ;   in Loop: Header=BB635_982 Depth=2
	s_wait_alu 0xfffe
	s_or_b32 exec_lo, exec_lo, s42
	s_delay_alu instid0(SALU_CYCLE_1)
	s_mov_b32 s42, exec_lo
	v_cmpx_lt_u32_e64 v96, v135
	s_cbranch_execnz .LBB635_1149
.LBB635_1083:                           ;   in Loop: Header=BB635_982 Depth=2
	s_wait_alu 0xfffe
	s_or_b32 exec_lo, exec_lo, s42
	s_delay_alu instid0(SALU_CYCLE_1)
	s_mov_b32 s42, exec_lo
	v_cmpx_lt_u32_e64 v97, v135
	s_cbranch_execnz .LBB635_1150
.LBB635_1084:                           ;   in Loop: Header=BB635_982 Depth=2
	s_wait_alu 0xfffe
	s_or_b32 exec_lo, exec_lo, s42
	s_delay_alu instid0(SALU_CYCLE_1)
	s_mov_b32 s42, exec_lo
	v_cmpx_lt_u32_e64 v98, v135
	s_cbranch_execnz .LBB635_1151
.LBB635_1085:                           ;   in Loop: Header=BB635_982 Depth=2
	s_wait_alu 0xfffe
	s_or_b32 exec_lo, exec_lo, s42
	s_delay_alu instid0(SALU_CYCLE_1)
	s_mov_b32 s42, exec_lo
	v_cmpx_lt_u32_e64 v99, v135
	s_cbranch_execnz .LBB635_1152
.LBB635_1086:                           ;   in Loop: Header=BB635_982 Depth=2
	s_wait_alu 0xfffe
	s_or_b32 exec_lo, exec_lo, s42
	s_delay_alu instid0(SALU_CYCLE_1)
	s_mov_b32 s42, exec_lo
	v_cmpx_lt_u32_e64 v100, v135
	s_cbranch_execnz .LBB635_1153
.LBB635_1087:                           ;   in Loop: Header=BB635_982 Depth=2
	s_wait_alu 0xfffe
	s_or_b32 exec_lo, exec_lo, s42
	s_delay_alu instid0(SALU_CYCLE_1)
	s_mov_b32 s42, exec_lo
	v_cmpx_lt_u32_e64 v101, v135
	s_cbranch_execnz .LBB635_1154
.LBB635_1088:                           ;   in Loop: Header=BB635_982 Depth=2
	s_wait_alu 0xfffe
	s_or_b32 exec_lo, exec_lo, s42
	s_delay_alu instid0(SALU_CYCLE_1)
	s_mov_b32 s42, exec_lo
	v_cmpx_lt_u32_e64 v102, v135
	s_cbranch_execnz .LBB635_1155
.LBB635_1089:                           ;   in Loop: Header=BB635_982 Depth=2
	s_wait_alu 0xfffe
	s_or_b32 exec_lo, exec_lo, s42
	s_delay_alu instid0(SALU_CYCLE_1)
	s_mov_b32 s42, exec_lo
	v_cmpx_lt_u32_e64 v103, v135
	s_cbranch_execnz .LBB635_1156
.LBB635_1090:                           ;   in Loop: Header=BB635_982 Depth=2
	s_wait_alu 0xfffe
	s_or_b32 exec_lo, exec_lo, s42
	s_delay_alu instid0(SALU_CYCLE_1)
	s_mov_b32 s42, exec_lo
	v_cmpx_lt_u32_e64 v104, v135
	s_cbranch_execnz .LBB635_1157
.LBB635_1091:                           ;   in Loop: Header=BB635_982 Depth=2
	s_wait_alu 0xfffe
	s_or_b32 exec_lo, exec_lo, s42
	s_delay_alu instid0(SALU_CYCLE_1)
	s_mov_b32 s42, exec_lo
	v_cmpx_lt_u32_e64 v105, v135
	s_cbranch_execnz .LBB635_1158
.LBB635_1092:                           ;   in Loop: Header=BB635_982 Depth=2
	s_wait_alu 0xfffe
	s_or_b32 exec_lo, exec_lo, s42
	s_delay_alu instid0(SALU_CYCLE_1)
	s_mov_b32 s42, exec_lo
	v_cmpx_lt_u32_e64 v106, v135
	s_cbranch_execnz .LBB635_1159
.LBB635_1093:                           ;   in Loop: Header=BB635_982 Depth=2
	s_wait_alu 0xfffe
	s_or_b32 exec_lo, exec_lo, s42
	s_and_saveexec_b32 s30, vcc_lo
	s_cbranch_execnz .LBB635_1160
.LBB635_1094:                           ;   in Loop: Header=BB635_982 Depth=2
	s_wait_alu 0xfffe
	s_or_b32 exec_lo, exec_lo, s30
	s_and_saveexec_b32 s30, s15
	s_cbranch_execnz .LBB635_1161
.LBB635_1095:                           ;   in Loop: Header=BB635_982 Depth=2
	s_wait_alu 0xfffe
	s_or_b32 exec_lo, exec_lo, s30
	s_and_saveexec_b32 s30, s16
	s_cbranch_execnz .LBB635_1162
.LBB635_1096:                           ;   in Loop: Header=BB635_982 Depth=2
	s_wait_alu 0xfffe
	s_or_b32 exec_lo, exec_lo, s30
	s_and_saveexec_b32 s30, s17
	s_cbranch_execnz .LBB635_1163
.LBB635_1097:                           ;   in Loop: Header=BB635_982 Depth=2
	s_wait_alu 0xfffe
	s_or_b32 exec_lo, exec_lo, s30
	s_and_saveexec_b32 s30, s18
	s_cbranch_execnz .LBB635_1164
.LBB635_1098:                           ;   in Loop: Header=BB635_982 Depth=2
	s_wait_alu 0xfffe
	s_or_b32 exec_lo, exec_lo, s30
	s_and_saveexec_b32 s30, s19
	s_cbranch_execnz .LBB635_1165
.LBB635_1099:                           ;   in Loop: Header=BB635_982 Depth=2
	s_wait_alu 0xfffe
	s_or_b32 exec_lo, exec_lo, s30
	s_and_saveexec_b32 s30, s20
	s_cbranch_execnz .LBB635_1166
.LBB635_1100:                           ;   in Loop: Header=BB635_982 Depth=2
	s_wait_alu 0xfffe
	s_or_b32 exec_lo, exec_lo, s30
	s_and_saveexec_b32 s30, s21
	s_cbranch_execnz .LBB635_1167
.LBB635_1101:                           ;   in Loop: Header=BB635_982 Depth=2
	s_wait_alu 0xfffe
	s_or_b32 exec_lo, exec_lo, s30
	s_and_saveexec_b32 s30, s22
	s_cbranch_execnz .LBB635_1168
.LBB635_1102:                           ;   in Loop: Header=BB635_982 Depth=2
	s_wait_alu 0xfffe
	s_or_b32 exec_lo, exec_lo, s30
	s_and_saveexec_b32 s30, s23
	s_cbranch_execnz .LBB635_1169
.LBB635_1103:                           ;   in Loop: Header=BB635_982 Depth=2
	s_wait_alu 0xfffe
	s_or_b32 exec_lo, exec_lo, s30
	s_and_saveexec_b32 s30, s24
	s_cbranch_execnz .LBB635_1170
.LBB635_1104:                           ;   in Loop: Header=BB635_982 Depth=2
	s_wait_alu 0xfffe
	s_or_b32 exec_lo, exec_lo, s30
	s_and_saveexec_b32 s30, s25
	s_cbranch_execnz .LBB635_1171
.LBB635_1105:                           ;   in Loop: Header=BB635_982 Depth=2
	s_wait_alu 0xfffe
	s_or_b32 exec_lo, exec_lo, s30
	s_and_saveexec_b32 s30, s26
	s_cbranch_execnz .LBB635_1172
.LBB635_1106:                           ;   in Loop: Header=BB635_982 Depth=2
	s_wait_alu 0xfffe
	s_or_b32 exec_lo, exec_lo, s30
	s_and_saveexec_b32 s30, s27
	s_cbranch_execnz .LBB635_1173
.LBB635_1107:                           ;   in Loop: Header=BB635_982 Depth=2
	s_wait_alu 0xfffe
	s_or_b32 exec_lo, exec_lo, s30
	s_and_saveexec_b32 s30, s28
	s_cbranch_execnz .LBB635_1174
.LBB635_1108:                           ;   in Loop: Header=BB635_982 Depth=2
	s_wait_alu 0xfffe
	s_or_b32 exec_lo, exec_lo, s30
	s_and_saveexec_b32 s30, s29
	s_cbranch_execz .LBB635_1110
.LBB635_1109:                           ;   in Loop: Header=BB635_982 Depth=2
	ds_load_b32 v2, v70 offset:16384
	s_wait_dscnt 0x0
	v_lshrrev_b32_e32 v2, s49, v2
	s_delay_alu instid0(VALU_DEP_1)
	v_and_b32_e32 v119, s48, v2
.LBB635_1110:                           ;   in Loop: Header=BB635_982 Depth=2
	s_wait_alu 0xfffe
	s_or_b32 exec_lo, exec_lo, s30
	v_lshlrev_b32_e32 v2, 3, v155
	s_wait_loadcnt 0x0
	s_wait_storecnt 0x0
	s_barrier_signal -1
	s_barrier_wait -1
	global_inv scope:SCOPE_SE
	ds_store_b64 v2, v[34:35] offset:1024
	v_lshlrev_b32_e32 v2, 3, v151
	v_lshlrev_b32_e32 v36, 3, v147
	v_lshlrev_b32_e32 v37, 3, v146
	v_lshlrev_b32_e32 v135, 3, v145
	v_lshlrev_b32_e32 v136, 3, v143
	ds_store_b64 v2, v[32:33] offset:1024
	ds_store_b64 v36, v[30:31] offset:1024
	ds_store_b64 v37, v[28:29] offset:1024
	ds_store_b64 v135, v[26:27] offset:1024
	ds_store_b64 v136, v[24:25] offset:1024
	v_lshlrev_b32_e32 v2, 3, v142
	v_lshlrev_b32_e32 v36, 3, v141
	v_lshlrev_b32_e32 v37, 3, v140
	v_lshlrev_b32_e32 v135, 3, v139
	v_lshlrev_b32_e32 v136, 3, v138
	ds_store_b64 v2, v[22:23] offset:1024
	ds_store_b64 v36, v[20:21] offset:1024
	ds_store_b64 v37, v[18:19] offset:1024
	ds_store_b64 v135, v[16:17] offset:1024
	;; [unrolled: 10-line block ×3, first 2 shown]
	ds_store_b64 v40, v[4:5] offset:1024
	v_add_nc_u32_e32 v36, v70, v44
	s_wait_loadcnt_dscnt 0x0
	s_barrier_signal -1
	s_barrier_wait -1
	global_inv scope:SCOPE_SE
	s_and_saveexec_b32 s30, vcc_lo
	s_cbranch_execnz .LBB635_1175
; %bb.1111:                             ;   in Loop: Header=BB635_982 Depth=2
	s_wait_alu 0xfffe
	s_or_b32 exec_lo, exec_lo, s30
	s_and_saveexec_b32 s30, s15
	s_cbranch_execnz .LBB635_1176
.LBB635_1112:                           ;   in Loop: Header=BB635_982 Depth=2
	s_wait_alu 0xfffe
	s_or_b32 exec_lo, exec_lo, s30
	s_and_saveexec_b32 s15, s16
	s_cbranch_execnz .LBB635_1177
.LBB635_1113:                           ;   in Loop: Header=BB635_982 Depth=2
	s_wait_alu 0xfffe
	s_or_b32 exec_lo, exec_lo, s15
	s_and_saveexec_b32 s15, s17
	s_cbranch_execnz .LBB635_1178
.LBB635_1114:                           ;   in Loop: Header=BB635_982 Depth=2
	s_wait_alu 0xfffe
	s_or_b32 exec_lo, exec_lo, s15
	s_and_saveexec_b32 s15, s18
	s_cbranch_execnz .LBB635_1179
.LBB635_1115:                           ;   in Loop: Header=BB635_982 Depth=2
	s_wait_alu 0xfffe
	s_or_b32 exec_lo, exec_lo, s15
	s_and_saveexec_b32 s15, s19
	s_cbranch_execnz .LBB635_1180
.LBB635_1116:                           ;   in Loop: Header=BB635_982 Depth=2
	s_wait_alu 0xfffe
	s_or_b32 exec_lo, exec_lo, s15
	s_and_saveexec_b32 s15, s20
	s_cbranch_execnz .LBB635_1181
.LBB635_1117:                           ;   in Loop: Header=BB635_982 Depth=2
	s_wait_alu 0xfffe
	s_or_b32 exec_lo, exec_lo, s15
	s_and_saveexec_b32 s15, s21
	s_cbranch_execnz .LBB635_1182
.LBB635_1118:                           ;   in Loop: Header=BB635_982 Depth=2
	s_wait_alu 0xfffe
	s_or_b32 exec_lo, exec_lo, s15
	s_and_saveexec_b32 s15, s22
	s_cbranch_execnz .LBB635_1183
.LBB635_1119:                           ;   in Loop: Header=BB635_982 Depth=2
	s_wait_alu 0xfffe
	s_or_b32 exec_lo, exec_lo, s15
	s_and_saveexec_b32 s15, s23
	s_cbranch_execnz .LBB635_1184
.LBB635_1120:                           ;   in Loop: Header=BB635_982 Depth=2
	s_wait_alu 0xfffe
	s_or_b32 exec_lo, exec_lo, s15
	s_and_saveexec_b32 s15, s24
	s_cbranch_execnz .LBB635_1185
.LBB635_1121:                           ;   in Loop: Header=BB635_982 Depth=2
	s_wait_alu 0xfffe
	s_or_b32 exec_lo, exec_lo, s15
	s_and_saveexec_b32 s15, s25
	s_cbranch_execnz .LBB635_1186
.LBB635_1122:                           ;   in Loop: Header=BB635_982 Depth=2
	s_wait_alu 0xfffe
	s_or_b32 exec_lo, exec_lo, s15
	s_and_saveexec_b32 s15, s26
	s_cbranch_execnz .LBB635_1187
.LBB635_1123:                           ;   in Loop: Header=BB635_982 Depth=2
	s_wait_alu 0xfffe
	s_or_b32 exec_lo, exec_lo, s15
	s_and_saveexec_b32 s15, s27
	s_cbranch_execnz .LBB635_1188
.LBB635_1124:                           ;   in Loop: Header=BB635_982 Depth=2
	s_wait_alu 0xfffe
	s_or_b32 exec_lo, exec_lo, s15
	s_and_saveexec_b32 s15, s28
	s_cbranch_execnz .LBB635_1189
.LBB635_1125:                           ;   in Loop: Header=BB635_982 Depth=2
	s_wait_alu 0xfffe
	s_or_b32 exec_lo, exec_lo, s15
	s_and_saveexec_b32 s15, s29
	s_cbranch_execz .LBB635_1127
.LBB635_1126:                           ;   in Loop: Header=BB635_982 Depth=2
	v_lshlrev_b32_e32 v2, 2, v119
	ds_load_b32 v2, v2
	ds_load_b64 v[36:37], v36 offset:31744
	s_wait_dscnt 0x1
	v_add_nc_u32_e32 v2, v2, v61
	s_delay_alu instid0(VALU_DEP_1) | instskip(NEXT) | instid1(VALU_DEP_1)
	v_lshlrev_b64_e32 v[39:40], 3, v[2:3]
	v_add_co_u32 v39, vcc_lo, s46, v39
	s_wait_alu 0xfffd
	s_delay_alu instid0(VALU_DEP_2)
	v_add_co_ci_u32_e64 v40, null, s47, v40, vcc_lo
	s_wait_dscnt 0x0
	global_store_b64 v[39:40], v[36:37], off
.LBB635_1127:                           ;   in Loop: Header=BB635_982 Depth=2
	s_wait_alu 0xfffe
	s_or_b32 exec_lo, exec_lo, s15
	s_wait_loadcnt 0x0
	s_wait_storecnt 0x0
	s_barrier_signal -1
	s_barrier_wait -1
	global_inv scope:SCOPE_SE
	s_and_saveexec_b32 s15, s2
	s_cbranch_execz .LBB635_981
; %bb.1128:                             ;   in Loop: Header=BB635_982 Depth=2
	ds_load_b32 v2, v44
	s_wait_dscnt 0x0
	v_add_nc_u32_e32 v2, v2, v38
	ds_store_b32 v44, v2
	s_branch .LBB635_981
.LBB635_1129:                           ;   in Loop: Header=BB635_982 Depth=2
	ds_load_b32 v136, v70 offset:1024
	s_wait_dscnt 0x0
	v_lshrrev_b32_e32 v2, s49, v136
	s_delay_alu instid0(VALU_DEP_1) | instskip(NEXT) | instid1(VALU_DEP_1)
	v_and_b32_e32 v2, s48, v2
	v_lshlrev_b32_e32 v2, 2, v2
	ds_load_b32 v2, v2
	s_wait_dscnt 0x0
	v_add_nc_u32_e32 v2, v2, v1
	s_delay_alu instid0(VALU_DEP_1) | instskip(SKIP_1) | instid1(VALU_DEP_2)
	v_lshlrev_b64_e32 v[36:37], 2, v[2:3]
	v_xor_b32_e32 v2, 0x80000000, v136
	v_add_co_u32 v36, s15, s40, v36
	s_wait_alu 0xf1ff
	s_delay_alu instid0(VALU_DEP_3)
	v_add_co_ci_u32_e64 v37, null, s41, v37, s15
	global_store_b32 v[36:37], v2, off
	s_wait_alu 0xfffe
	s_or_b32 exec_lo, exec_lo, s16
	v_cmp_lt_u32_e64 s15, v45, v135
	s_and_saveexec_b32 s17, s15
	s_cbranch_execz .LBB635_1062
.LBB635_1130:                           ;   in Loop: Header=BB635_982 Depth=2
	ds_load_b32 v136, v70 offset:2048
	s_wait_dscnt 0x0
	v_lshrrev_b32_e32 v2, s49, v136
	s_delay_alu instid0(VALU_DEP_1) | instskip(NEXT) | instid1(VALU_DEP_1)
	v_and_b32_e32 v2, s48, v2
	v_lshlrev_b32_e32 v2, 2, v2
	ds_load_b32 v2, v2
	s_wait_dscnt 0x0
	v_add_nc_u32_e32 v2, v2, v45
	s_delay_alu instid0(VALU_DEP_1) | instskip(SKIP_1) | instid1(VALU_DEP_2)
	v_lshlrev_b64_e32 v[36:37], 2, v[2:3]
	v_xor_b32_e32 v2, 0x80000000, v136
	v_add_co_u32 v36, s16, s40, v36
	s_wait_alu 0xf1ff
	s_delay_alu instid0(VALU_DEP_3)
	v_add_co_ci_u32_e64 v37, null, s41, v37, s16
	global_store_b32 v[36:37], v2, off
	s_wait_alu 0xfffe
	s_or_b32 exec_lo, exec_lo, s17
	v_cmp_lt_u32_e64 s16, v46, v135
	s_and_saveexec_b32 s18, s16
	s_cbranch_execz .LBB635_1063
.LBB635_1131:                           ;   in Loop: Header=BB635_982 Depth=2
	ds_load_b32 v136, v70 offset:3072
	s_wait_dscnt 0x0
	v_lshrrev_b32_e32 v2, s49, v136
	s_delay_alu instid0(VALU_DEP_1) | instskip(NEXT) | instid1(VALU_DEP_1)
	v_and_b32_e32 v2, s48, v2
	v_lshlrev_b32_e32 v2, 2, v2
	ds_load_b32 v2, v2
	s_wait_dscnt 0x0
	v_add_nc_u32_e32 v2, v2, v46
	s_delay_alu instid0(VALU_DEP_1) | instskip(SKIP_1) | instid1(VALU_DEP_2)
	v_lshlrev_b64_e32 v[36:37], 2, v[2:3]
	v_xor_b32_e32 v2, 0x80000000, v136
	v_add_co_u32 v36, s17, s40, v36
	s_wait_alu 0xf1ff
	s_delay_alu instid0(VALU_DEP_3)
	v_add_co_ci_u32_e64 v37, null, s41, v37, s17
	global_store_b32 v[36:37], v2, off
	s_wait_alu 0xfffe
	s_or_b32 exec_lo, exec_lo, s18
	v_cmp_lt_u32_e64 s17, v47, v135
	s_and_saveexec_b32 s19, s17
	s_cbranch_execz .LBB635_1064
.LBB635_1132:                           ;   in Loop: Header=BB635_982 Depth=2
	ds_load_b32 v136, v70 offset:4096
	s_wait_dscnt 0x0
	v_lshrrev_b32_e32 v2, s49, v136
	s_delay_alu instid0(VALU_DEP_1) | instskip(NEXT) | instid1(VALU_DEP_1)
	v_and_b32_e32 v2, s48, v2
	v_lshlrev_b32_e32 v2, 2, v2
	ds_load_b32 v2, v2
	s_wait_dscnt 0x0
	v_add_nc_u32_e32 v2, v2, v47
	s_delay_alu instid0(VALU_DEP_1) | instskip(SKIP_1) | instid1(VALU_DEP_2)
	v_lshlrev_b64_e32 v[36:37], 2, v[2:3]
	v_xor_b32_e32 v2, 0x80000000, v136
	v_add_co_u32 v36, s18, s40, v36
	s_wait_alu 0xf1ff
	s_delay_alu instid0(VALU_DEP_3)
	v_add_co_ci_u32_e64 v37, null, s41, v37, s18
	global_store_b32 v[36:37], v2, off
	s_wait_alu 0xfffe
	s_or_b32 exec_lo, exec_lo, s19
	v_cmp_lt_u32_e64 s18, v50, v135
	s_and_saveexec_b32 s20, s18
	s_cbranch_execz .LBB635_1065
.LBB635_1133:                           ;   in Loop: Header=BB635_982 Depth=2
	ds_load_b32 v136, v70 offset:5120
	s_wait_dscnt 0x0
	v_lshrrev_b32_e32 v2, s49, v136
	s_delay_alu instid0(VALU_DEP_1) | instskip(NEXT) | instid1(VALU_DEP_1)
	v_and_b32_e32 v2, s48, v2
	v_lshlrev_b32_e32 v2, 2, v2
	ds_load_b32 v2, v2
	s_wait_dscnt 0x0
	v_add_nc_u32_e32 v2, v2, v50
	s_delay_alu instid0(VALU_DEP_1) | instskip(SKIP_1) | instid1(VALU_DEP_2)
	v_lshlrev_b64_e32 v[36:37], 2, v[2:3]
	v_xor_b32_e32 v2, 0x80000000, v136
	v_add_co_u32 v36, s19, s40, v36
	s_wait_alu 0xf1ff
	s_delay_alu instid0(VALU_DEP_3)
	v_add_co_ci_u32_e64 v37, null, s41, v37, s19
	global_store_b32 v[36:37], v2, off
	s_wait_alu 0xfffe
	s_or_b32 exec_lo, exec_lo, s20
	v_cmp_lt_u32_e64 s19, v51, v135
	s_and_saveexec_b32 s21, s19
	s_cbranch_execz .LBB635_1066
.LBB635_1134:                           ;   in Loop: Header=BB635_982 Depth=2
	ds_load_b32 v136, v70 offset:6144
	s_wait_dscnt 0x0
	v_lshrrev_b32_e32 v2, s49, v136
	s_delay_alu instid0(VALU_DEP_1) | instskip(NEXT) | instid1(VALU_DEP_1)
	v_and_b32_e32 v2, s48, v2
	v_lshlrev_b32_e32 v2, 2, v2
	ds_load_b32 v2, v2
	s_wait_dscnt 0x0
	v_add_nc_u32_e32 v2, v2, v51
	s_delay_alu instid0(VALU_DEP_1) | instskip(SKIP_1) | instid1(VALU_DEP_2)
	v_lshlrev_b64_e32 v[36:37], 2, v[2:3]
	v_xor_b32_e32 v2, 0x80000000, v136
	v_add_co_u32 v36, s20, s40, v36
	s_wait_alu 0xf1ff
	s_delay_alu instid0(VALU_DEP_3)
	v_add_co_ci_u32_e64 v37, null, s41, v37, s20
	global_store_b32 v[36:37], v2, off
	s_wait_alu 0xfffe
	s_or_b32 exec_lo, exec_lo, s21
	v_cmp_lt_u32_e64 s20, v52, v135
	s_and_saveexec_b32 s22, s20
	s_cbranch_execz .LBB635_1067
.LBB635_1135:                           ;   in Loop: Header=BB635_982 Depth=2
	ds_load_b32 v136, v70 offset:7168
	s_wait_dscnt 0x0
	v_lshrrev_b32_e32 v2, s49, v136
	s_delay_alu instid0(VALU_DEP_1) | instskip(NEXT) | instid1(VALU_DEP_1)
	v_and_b32_e32 v2, s48, v2
	v_lshlrev_b32_e32 v2, 2, v2
	ds_load_b32 v2, v2
	s_wait_dscnt 0x0
	v_add_nc_u32_e32 v2, v2, v52
	s_delay_alu instid0(VALU_DEP_1) | instskip(SKIP_1) | instid1(VALU_DEP_2)
	v_lshlrev_b64_e32 v[36:37], 2, v[2:3]
	v_xor_b32_e32 v2, 0x80000000, v136
	v_add_co_u32 v36, s21, s40, v36
	s_wait_alu 0xf1ff
	s_delay_alu instid0(VALU_DEP_3)
	v_add_co_ci_u32_e64 v37, null, s41, v37, s21
	global_store_b32 v[36:37], v2, off
	s_wait_alu 0xfffe
	s_or_b32 exec_lo, exec_lo, s22
	v_cmp_lt_u32_e64 s21, v53, v135
	s_and_saveexec_b32 s23, s21
	s_cbranch_execz .LBB635_1068
.LBB635_1136:                           ;   in Loop: Header=BB635_982 Depth=2
	ds_load_b32 v136, v70 offset:8192
	s_wait_dscnt 0x0
	v_lshrrev_b32_e32 v2, s49, v136
	s_delay_alu instid0(VALU_DEP_1) | instskip(NEXT) | instid1(VALU_DEP_1)
	v_and_b32_e32 v2, s48, v2
	v_lshlrev_b32_e32 v2, 2, v2
	ds_load_b32 v2, v2
	s_wait_dscnt 0x0
	v_add_nc_u32_e32 v2, v2, v53
	s_delay_alu instid0(VALU_DEP_1) | instskip(SKIP_1) | instid1(VALU_DEP_2)
	v_lshlrev_b64_e32 v[36:37], 2, v[2:3]
	v_xor_b32_e32 v2, 0x80000000, v136
	v_add_co_u32 v36, s22, s40, v36
	s_wait_alu 0xf1ff
	s_delay_alu instid0(VALU_DEP_3)
	v_add_co_ci_u32_e64 v37, null, s41, v37, s22
	global_store_b32 v[36:37], v2, off
	s_wait_alu 0xfffe
	s_or_b32 exec_lo, exec_lo, s23
	v_cmp_lt_u32_e64 s22, v54, v135
	s_and_saveexec_b32 s24, s22
	s_cbranch_execz .LBB635_1069
.LBB635_1137:                           ;   in Loop: Header=BB635_982 Depth=2
	ds_load_b32 v136, v70 offset:9216
	s_wait_dscnt 0x0
	v_lshrrev_b32_e32 v2, s49, v136
	s_delay_alu instid0(VALU_DEP_1) | instskip(NEXT) | instid1(VALU_DEP_1)
	v_and_b32_e32 v2, s48, v2
	v_lshlrev_b32_e32 v2, 2, v2
	ds_load_b32 v2, v2
	s_wait_dscnt 0x0
	v_add_nc_u32_e32 v2, v2, v54
	s_delay_alu instid0(VALU_DEP_1) | instskip(SKIP_1) | instid1(VALU_DEP_2)
	v_lshlrev_b64_e32 v[36:37], 2, v[2:3]
	v_xor_b32_e32 v2, 0x80000000, v136
	v_add_co_u32 v36, s23, s40, v36
	s_wait_alu 0xf1ff
	s_delay_alu instid0(VALU_DEP_3)
	v_add_co_ci_u32_e64 v37, null, s41, v37, s23
	global_store_b32 v[36:37], v2, off
	s_wait_alu 0xfffe
	s_or_b32 exec_lo, exec_lo, s24
	v_cmp_lt_u32_e64 s23, v55, v135
	s_and_saveexec_b32 s25, s23
	s_cbranch_execz .LBB635_1070
.LBB635_1138:                           ;   in Loop: Header=BB635_982 Depth=2
	ds_load_b32 v136, v70 offset:10240
	s_wait_dscnt 0x0
	v_lshrrev_b32_e32 v2, s49, v136
	s_delay_alu instid0(VALU_DEP_1) | instskip(NEXT) | instid1(VALU_DEP_1)
	v_and_b32_e32 v2, s48, v2
	v_lshlrev_b32_e32 v2, 2, v2
	ds_load_b32 v2, v2
	s_wait_dscnt 0x0
	v_add_nc_u32_e32 v2, v2, v55
	s_delay_alu instid0(VALU_DEP_1) | instskip(SKIP_1) | instid1(VALU_DEP_2)
	v_lshlrev_b64_e32 v[36:37], 2, v[2:3]
	v_xor_b32_e32 v2, 0x80000000, v136
	v_add_co_u32 v36, s24, s40, v36
	s_wait_alu 0xf1ff
	s_delay_alu instid0(VALU_DEP_3)
	v_add_co_ci_u32_e64 v37, null, s41, v37, s24
	global_store_b32 v[36:37], v2, off
	s_wait_alu 0xfffe
	s_or_b32 exec_lo, exec_lo, s25
	v_cmp_lt_u32_e64 s24, v56, v135
	s_and_saveexec_b32 s26, s24
	s_cbranch_execz .LBB635_1071
.LBB635_1139:                           ;   in Loop: Header=BB635_982 Depth=2
	ds_load_b32 v136, v70 offset:11264
	s_wait_dscnt 0x0
	v_lshrrev_b32_e32 v2, s49, v136
	s_delay_alu instid0(VALU_DEP_1) | instskip(NEXT) | instid1(VALU_DEP_1)
	v_and_b32_e32 v2, s48, v2
	v_lshlrev_b32_e32 v2, 2, v2
	ds_load_b32 v2, v2
	s_wait_dscnt 0x0
	v_add_nc_u32_e32 v2, v2, v56
	s_delay_alu instid0(VALU_DEP_1) | instskip(SKIP_1) | instid1(VALU_DEP_2)
	v_lshlrev_b64_e32 v[36:37], 2, v[2:3]
	v_xor_b32_e32 v2, 0x80000000, v136
	v_add_co_u32 v36, s25, s40, v36
	s_wait_alu 0xf1ff
	s_delay_alu instid0(VALU_DEP_3)
	v_add_co_ci_u32_e64 v37, null, s41, v37, s25
	global_store_b32 v[36:37], v2, off
	s_wait_alu 0xfffe
	s_or_b32 exec_lo, exec_lo, s26
	v_cmp_lt_u32_e64 s25, v57, v135
	s_and_saveexec_b32 s27, s25
	s_cbranch_execz .LBB635_1072
.LBB635_1140:                           ;   in Loop: Header=BB635_982 Depth=2
	ds_load_b32 v136, v70 offset:12288
	s_wait_dscnt 0x0
	v_lshrrev_b32_e32 v2, s49, v136
	s_delay_alu instid0(VALU_DEP_1) | instskip(NEXT) | instid1(VALU_DEP_1)
	v_and_b32_e32 v2, s48, v2
	v_lshlrev_b32_e32 v2, 2, v2
	ds_load_b32 v2, v2
	s_wait_dscnt 0x0
	v_add_nc_u32_e32 v2, v2, v57
	s_delay_alu instid0(VALU_DEP_1) | instskip(SKIP_1) | instid1(VALU_DEP_2)
	v_lshlrev_b64_e32 v[36:37], 2, v[2:3]
	v_xor_b32_e32 v2, 0x80000000, v136
	v_add_co_u32 v36, s26, s40, v36
	s_wait_alu 0xf1ff
	s_delay_alu instid0(VALU_DEP_3)
	v_add_co_ci_u32_e64 v37, null, s41, v37, s26
	global_store_b32 v[36:37], v2, off
	s_wait_alu 0xfffe
	s_or_b32 exec_lo, exec_lo, s27
	v_cmp_lt_u32_e64 s26, v58, v135
	s_and_saveexec_b32 s28, s26
	s_cbranch_execz .LBB635_1073
.LBB635_1141:                           ;   in Loop: Header=BB635_982 Depth=2
	ds_load_b32 v136, v70 offset:13312
	s_wait_dscnt 0x0
	v_lshrrev_b32_e32 v2, s49, v136
	s_delay_alu instid0(VALU_DEP_1) | instskip(NEXT) | instid1(VALU_DEP_1)
	v_and_b32_e32 v2, s48, v2
	v_lshlrev_b32_e32 v2, 2, v2
	ds_load_b32 v2, v2
	s_wait_dscnt 0x0
	v_add_nc_u32_e32 v2, v2, v58
	s_delay_alu instid0(VALU_DEP_1) | instskip(SKIP_1) | instid1(VALU_DEP_2)
	v_lshlrev_b64_e32 v[36:37], 2, v[2:3]
	v_xor_b32_e32 v2, 0x80000000, v136
	v_add_co_u32 v36, s27, s40, v36
	s_wait_alu 0xf1ff
	s_delay_alu instid0(VALU_DEP_3)
	v_add_co_ci_u32_e64 v37, null, s41, v37, s27
	global_store_b32 v[36:37], v2, off
	s_wait_alu 0xfffe
	s_or_b32 exec_lo, exec_lo, s28
	v_cmp_lt_u32_e64 s27, v59, v135
	s_and_saveexec_b32 s29, s27
	s_cbranch_execz .LBB635_1074
.LBB635_1142:                           ;   in Loop: Header=BB635_982 Depth=2
	ds_load_b32 v136, v70 offset:14336
	s_wait_dscnt 0x0
	v_lshrrev_b32_e32 v2, s49, v136
	s_delay_alu instid0(VALU_DEP_1) | instskip(NEXT) | instid1(VALU_DEP_1)
	v_and_b32_e32 v2, s48, v2
	v_lshlrev_b32_e32 v2, 2, v2
	ds_load_b32 v2, v2
	s_wait_dscnt 0x0
	v_add_nc_u32_e32 v2, v2, v59
	s_delay_alu instid0(VALU_DEP_1) | instskip(SKIP_1) | instid1(VALU_DEP_2)
	v_lshlrev_b64_e32 v[36:37], 2, v[2:3]
	v_xor_b32_e32 v2, 0x80000000, v136
	v_add_co_u32 v36, s28, s40, v36
	s_wait_alu 0xf1ff
	s_delay_alu instid0(VALU_DEP_3)
	v_add_co_ci_u32_e64 v37, null, s41, v37, s28
	global_store_b32 v[36:37], v2, off
	s_wait_alu 0xfffe
	s_or_b32 exec_lo, exec_lo, s29
	v_cmp_lt_u32_e64 s28, v60, v135
	s_and_saveexec_b32 s30, s28
	s_cbranch_execz .LBB635_1075
.LBB635_1143:                           ;   in Loop: Header=BB635_982 Depth=2
	ds_load_b32 v136, v70 offset:15360
	s_wait_dscnt 0x0
	v_lshrrev_b32_e32 v2, s49, v136
	s_delay_alu instid0(VALU_DEP_1) | instskip(NEXT) | instid1(VALU_DEP_1)
	v_and_b32_e32 v2, s48, v2
	v_lshlrev_b32_e32 v2, 2, v2
	ds_load_b32 v2, v2
	s_wait_dscnt 0x0
	v_add_nc_u32_e32 v2, v2, v60
	s_delay_alu instid0(VALU_DEP_1) | instskip(SKIP_1) | instid1(VALU_DEP_2)
	v_lshlrev_b64_e32 v[36:37], 2, v[2:3]
	v_xor_b32_e32 v2, 0x80000000, v136
	v_add_co_u32 v36, s29, s40, v36
	s_wait_alu 0xf1ff
	s_delay_alu instid0(VALU_DEP_3)
	v_add_co_ci_u32_e64 v37, null, s41, v37, s29
	global_store_b32 v[36:37], v2, off
	s_wait_alu 0xfffe
	s_or_b32 exec_lo, exec_lo, s30
	v_cmp_lt_u32_e64 s29, v61, v135
	s_and_saveexec_b32 s56, s29
	s_cbranch_execnz .LBB635_1076
	s_branch .LBB635_1077
.LBB635_1144:                           ;   in Loop: Header=BB635_982 Depth=2
	global_load_b64 v[34:35], v[36:37], off
	s_wait_alu 0xfffe
	s_or_b32 exec_lo, exec_lo, s30
	s_delay_alu instid0(SALU_CYCLE_1)
	s_mov_b32 s42, exec_lo
	v_cmpx_lt_u32_e64 v92, v135
	s_cbranch_execz .LBB635_1079
.LBB635_1145:                           ;   in Loop: Header=BB635_982 Depth=2
	global_load_b64 v[32:33], v[36:37], off offset:256
	s_wait_alu 0xfffe
	s_or_b32 exec_lo, exec_lo, s42
	s_delay_alu instid0(SALU_CYCLE_1)
	s_mov_b32 s42, exec_lo
	v_cmpx_lt_u32_e64 v93, v135
	s_cbranch_execz .LBB635_1080
.LBB635_1146:                           ;   in Loop: Header=BB635_982 Depth=2
	global_load_b64 v[30:31], v[36:37], off offset:512
	s_wait_alu 0xfffe
	s_or_b32 exec_lo, exec_lo, s42
	s_delay_alu instid0(SALU_CYCLE_1)
	s_mov_b32 s42, exec_lo
	v_cmpx_lt_u32_e64 v94, v135
	s_cbranch_execz .LBB635_1081
.LBB635_1147:                           ;   in Loop: Header=BB635_982 Depth=2
	global_load_b64 v[28:29], v[36:37], off offset:768
	s_wait_alu 0xfffe
	s_or_b32 exec_lo, exec_lo, s42
	s_delay_alu instid0(SALU_CYCLE_1)
	s_mov_b32 s42, exec_lo
	v_cmpx_lt_u32_e64 v95, v135
	s_cbranch_execz .LBB635_1082
.LBB635_1148:                           ;   in Loop: Header=BB635_982 Depth=2
	global_load_b64 v[26:27], v[36:37], off offset:1024
	s_wait_alu 0xfffe
	s_or_b32 exec_lo, exec_lo, s42
	s_delay_alu instid0(SALU_CYCLE_1)
	s_mov_b32 s42, exec_lo
	v_cmpx_lt_u32_e64 v96, v135
	s_cbranch_execz .LBB635_1083
.LBB635_1149:                           ;   in Loop: Header=BB635_982 Depth=2
	global_load_b64 v[24:25], v[36:37], off offset:1280
	s_wait_alu 0xfffe
	s_or_b32 exec_lo, exec_lo, s42
	s_delay_alu instid0(SALU_CYCLE_1)
	s_mov_b32 s42, exec_lo
	v_cmpx_lt_u32_e64 v97, v135
	s_cbranch_execz .LBB635_1084
.LBB635_1150:                           ;   in Loop: Header=BB635_982 Depth=2
	global_load_b64 v[22:23], v[36:37], off offset:1536
	s_wait_alu 0xfffe
	s_or_b32 exec_lo, exec_lo, s42
	s_delay_alu instid0(SALU_CYCLE_1)
	s_mov_b32 s42, exec_lo
	v_cmpx_lt_u32_e64 v98, v135
	s_cbranch_execz .LBB635_1085
.LBB635_1151:                           ;   in Loop: Header=BB635_982 Depth=2
	global_load_b64 v[20:21], v[36:37], off offset:1792
	s_wait_alu 0xfffe
	s_or_b32 exec_lo, exec_lo, s42
	s_delay_alu instid0(SALU_CYCLE_1)
	s_mov_b32 s42, exec_lo
	v_cmpx_lt_u32_e64 v99, v135
	s_cbranch_execz .LBB635_1086
.LBB635_1152:                           ;   in Loop: Header=BB635_982 Depth=2
	global_load_b64 v[18:19], v[36:37], off offset:2048
	s_wait_alu 0xfffe
	s_or_b32 exec_lo, exec_lo, s42
	s_delay_alu instid0(SALU_CYCLE_1)
	s_mov_b32 s42, exec_lo
	v_cmpx_lt_u32_e64 v100, v135
	s_cbranch_execz .LBB635_1087
.LBB635_1153:                           ;   in Loop: Header=BB635_982 Depth=2
	global_load_b64 v[16:17], v[36:37], off offset:2304
	s_wait_alu 0xfffe
	s_or_b32 exec_lo, exec_lo, s42
	s_delay_alu instid0(SALU_CYCLE_1)
	s_mov_b32 s42, exec_lo
	v_cmpx_lt_u32_e64 v101, v135
	s_cbranch_execz .LBB635_1088
.LBB635_1154:                           ;   in Loop: Header=BB635_982 Depth=2
	global_load_b64 v[14:15], v[36:37], off offset:2560
	s_wait_alu 0xfffe
	s_or_b32 exec_lo, exec_lo, s42
	s_delay_alu instid0(SALU_CYCLE_1)
	s_mov_b32 s42, exec_lo
	v_cmpx_lt_u32_e64 v102, v135
	s_cbranch_execz .LBB635_1089
.LBB635_1155:                           ;   in Loop: Header=BB635_982 Depth=2
	global_load_b64 v[12:13], v[36:37], off offset:2816
	s_wait_alu 0xfffe
	s_or_b32 exec_lo, exec_lo, s42
	s_delay_alu instid0(SALU_CYCLE_1)
	s_mov_b32 s42, exec_lo
	v_cmpx_lt_u32_e64 v103, v135
	s_cbranch_execz .LBB635_1090
.LBB635_1156:                           ;   in Loop: Header=BB635_982 Depth=2
	global_load_b64 v[10:11], v[36:37], off offset:3072
	s_wait_alu 0xfffe
	s_or_b32 exec_lo, exec_lo, s42
	s_delay_alu instid0(SALU_CYCLE_1)
	s_mov_b32 s42, exec_lo
	v_cmpx_lt_u32_e64 v104, v135
	s_cbranch_execz .LBB635_1091
.LBB635_1157:                           ;   in Loop: Header=BB635_982 Depth=2
	global_load_b64 v[8:9], v[36:37], off offset:3328
	s_wait_alu 0xfffe
	s_or_b32 exec_lo, exec_lo, s42
	s_delay_alu instid0(SALU_CYCLE_1)
	s_mov_b32 s42, exec_lo
	v_cmpx_lt_u32_e64 v105, v135
	s_cbranch_execz .LBB635_1092
.LBB635_1158:                           ;   in Loop: Header=BB635_982 Depth=2
	global_load_b64 v[6:7], v[36:37], off offset:3584
	s_wait_alu 0xfffe
	s_or_b32 exec_lo, exec_lo, s42
	s_delay_alu instid0(SALU_CYCLE_1)
	s_mov_b32 s42, exec_lo
	v_cmpx_lt_u32_e64 v106, v135
	s_cbranch_execz .LBB635_1093
.LBB635_1159:                           ;   in Loop: Header=BB635_982 Depth=2
	global_load_b64 v[4:5], v[36:37], off offset:3840
	s_wait_alu 0xfffe
	s_or_b32 exec_lo, exec_lo, s42
	s_and_saveexec_b32 s30, vcc_lo
	s_cbranch_execz .LBB635_1094
.LBB635_1160:                           ;   in Loop: Header=BB635_982 Depth=2
	ds_load_b32 v2, v70 offset:1024
	s_wait_dscnt 0x0
	v_lshrrev_b32_e32 v2, s49, v2
	s_delay_alu instid0(VALU_DEP_1)
	v_and_b32_e32 v134, s48, v2
	s_wait_alu 0xfffe
	s_or_b32 exec_lo, exec_lo, s30
	s_and_saveexec_b32 s30, s15
	s_cbranch_execz .LBB635_1095
.LBB635_1161:                           ;   in Loop: Header=BB635_982 Depth=2
	ds_load_b32 v2, v70 offset:2048
	s_wait_dscnt 0x0
	v_lshrrev_b32_e32 v2, s49, v2
	s_delay_alu instid0(VALU_DEP_1)
	v_and_b32_e32 v133, s48, v2
	s_wait_alu 0xfffe
	s_or_b32 exec_lo, exec_lo, s30
	s_and_saveexec_b32 s30, s16
	s_cbranch_execz .LBB635_1096
.LBB635_1162:                           ;   in Loop: Header=BB635_982 Depth=2
	ds_load_b32 v2, v70 offset:3072
	s_wait_dscnt 0x0
	v_lshrrev_b32_e32 v2, s49, v2
	s_delay_alu instid0(VALU_DEP_1)
	v_and_b32_e32 v132, s48, v2
	s_wait_alu 0xfffe
	s_or_b32 exec_lo, exec_lo, s30
	s_and_saveexec_b32 s30, s17
	s_cbranch_execz .LBB635_1097
.LBB635_1163:                           ;   in Loop: Header=BB635_982 Depth=2
	ds_load_b32 v2, v70 offset:4096
	s_wait_dscnt 0x0
	v_lshrrev_b32_e32 v2, s49, v2
	s_delay_alu instid0(VALU_DEP_1)
	v_and_b32_e32 v131, s48, v2
	s_wait_alu 0xfffe
	s_or_b32 exec_lo, exec_lo, s30
	s_and_saveexec_b32 s30, s18
	s_cbranch_execz .LBB635_1098
.LBB635_1164:                           ;   in Loop: Header=BB635_982 Depth=2
	ds_load_b32 v2, v70 offset:5120
	s_wait_dscnt 0x0
	v_lshrrev_b32_e32 v2, s49, v2
	s_delay_alu instid0(VALU_DEP_1)
	v_and_b32_e32 v130, s48, v2
	s_wait_alu 0xfffe
	s_or_b32 exec_lo, exec_lo, s30
	s_and_saveexec_b32 s30, s19
	s_cbranch_execz .LBB635_1099
.LBB635_1165:                           ;   in Loop: Header=BB635_982 Depth=2
	ds_load_b32 v2, v70 offset:6144
	s_wait_dscnt 0x0
	v_lshrrev_b32_e32 v2, s49, v2
	s_delay_alu instid0(VALU_DEP_1)
	v_and_b32_e32 v129, s48, v2
	s_wait_alu 0xfffe
	s_or_b32 exec_lo, exec_lo, s30
	s_and_saveexec_b32 s30, s20
	s_cbranch_execz .LBB635_1100
.LBB635_1166:                           ;   in Loop: Header=BB635_982 Depth=2
	ds_load_b32 v2, v70 offset:7168
	s_wait_dscnt 0x0
	v_lshrrev_b32_e32 v2, s49, v2
	s_delay_alu instid0(VALU_DEP_1)
	v_and_b32_e32 v128, s48, v2
	s_wait_alu 0xfffe
	s_or_b32 exec_lo, exec_lo, s30
	s_and_saveexec_b32 s30, s21
	s_cbranch_execz .LBB635_1101
.LBB635_1167:                           ;   in Loop: Header=BB635_982 Depth=2
	ds_load_b32 v2, v70 offset:8192
	s_wait_dscnt 0x0
	v_lshrrev_b32_e32 v2, s49, v2
	s_delay_alu instid0(VALU_DEP_1)
	v_and_b32_e32 v127, s48, v2
	s_wait_alu 0xfffe
	s_or_b32 exec_lo, exec_lo, s30
	s_and_saveexec_b32 s30, s22
	s_cbranch_execz .LBB635_1102
.LBB635_1168:                           ;   in Loop: Header=BB635_982 Depth=2
	ds_load_b32 v2, v70 offset:9216
	s_wait_dscnt 0x0
	v_lshrrev_b32_e32 v2, s49, v2
	s_delay_alu instid0(VALU_DEP_1)
	v_and_b32_e32 v126, s48, v2
	s_wait_alu 0xfffe
	s_or_b32 exec_lo, exec_lo, s30
	s_and_saveexec_b32 s30, s23
	s_cbranch_execz .LBB635_1103
.LBB635_1169:                           ;   in Loop: Header=BB635_982 Depth=2
	ds_load_b32 v2, v70 offset:10240
	s_wait_dscnt 0x0
	v_lshrrev_b32_e32 v2, s49, v2
	s_delay_alu instid0(VALU_DEP_1)
	v_and_b32_e32 v125, s48, v2
	s_wait_alu 0xfffe
	s_or_b32 exec_lo, exec_lo, s30
	s_and_saveexec_b32 s30, s24
	s_cbranch_execz .LBB635_1104
.LBB635_1170:                           ;   in Loop: Header=BB635_982 Depth=2
	ds_load_b32 v2, v70 offset:11264
	s_wait_dscnt 0x0
	v_lshrrev_b32_e32 v2, s49, v2
	s_delay_alu instid0(VALU_DEP_1)
	v_and_b32_e32 v124, s48, v2
	s_wait_alu 0xfffe
	s_or_b32 exec_lo, exec_lo, s30
	s_and_saveexec_b32 s30, s25
	s_cbranch_execz .LBB635_1105
.LBB635_1171:                           ;   in Loop: Header=BB635_982 Depth=2
	ds_load_b32 v2, v70 offset:12288
	s_wait_dscnt 0x0
	v_lshrrev_b32_e32 v2, s49, v2
	s_delay_alu instid0(VALU_DEP_1)
	v_and_b32_e32 v123, s48, v2
	s_wait_alu 0xfffe
	s_or_b32 exec_lo, exec_lo, s30
	s_and_saveexec_b32 s30, s26
	s_cbranch_execz .LBB635_1106
.LBB635_1172:                           ;   in Loop: Header=BB635_982 Depth=2
	ds_load_b32 v2, v70 offset:13312
	s_wait_dscnt 0x0
	v_lshrrev_b32_e32 v2, s49, v2
	s_delay_alu instid0(VALU_DEP_1)
	v_and_b32_e32 v122, s48, v2
	s_wait_alu 0xfffe
	s_or_b32 exec_lo, exec_lo, s30
	s_and_saveexec_b32 s30, s27
	s_cbranch_execz .LBB635_1107
.LBB635_1173:                           ;   in Loop: Header=BB635_982 Depth=2
	ds_load_b32 v2, v70 offset:14336
	s_wait_dscnt 0x0
	v_lshrrev_b32_e32 v2, s49, v2
	s_delay_alu instid0(VALU_DEP_1)
	v_and_b32_e32 v121, s48, v2
	s_wait_alu 0xfffe
	s_or_b32 exec_lo, exec_lo, s30
	s_and_saveexec_b32 s30, s28
	s_cbranch_execz .LBB635_1108
.LBB635_1174:                           ;   in Loop: Header=BB635_982 Depth=2
	ds_load_b32 v2, v70 offset:15360
	s_wait_dscnt 0x0
	v_lshrrev_b32_e32 v2, s49, v2
	s_delay_alu instid0(VALU_DEP_1)
	v_and_b32_e32 v120, s48, v2
	s_wait_alu 0xfffe
	s_or_b32 exec_lo, exec_lo, s30
	s_and_saveexec_b32 s30, s29
	s_cbranch_execnz .LBB635_1109
	s_branch .LBB635_1110
.LBB635_1175:                           ;   in Loop: Header=BB635_982 Depth=2
	v_lshlrev_b32_e32 v2, 2, v134
	ds_load_b32 v2, v2
	ds_load_b64 v[39:40], v36 offset:1024
	s_wait_dscnt 0x1
	v_add_nc_u32_e32 v2, v2, v1
	s_delay_alu instid0(VALU_DEP_1) | instskip(NEXT) | instid1(VALU_DEP_1)
	v_lshlrev_b64_e32 v[41:42], 3, v[2:3]
	v_add_co_u32 v41, vcc_lo, s46, v41
	s_wait_alu 0xfffd
	s_delay_alu instid0(VALU_DEP_2)
	v_add_co_ci_u32_e64 v42, null, s47, v42, vcc_lo
	s_wait_dscnt 0x0
	global_store_b64 v[41:42], v[39:40], off
	s_wait_alu 0xfffe
	s_or_b32 exec_lo, exec_lo, s30
	s_and_saveexec_b32 s30, s15
	s_cbranch_execz .LBB635_1112
.LBB635_1176:                           ;   in Loop: Header=BB635_982 Depth=2
	v_lshlrev_b32_e32 v2, 2, v133
	ds_load_b32 v2, v2
	ds_load_b64 v[39:40], v36 offset:3072
	s_wait_dscnt 0x1
	v_add_nc_u32_e32 v2, v2, v45
	s_delay_alu instid0(VALU_DEP_1) | instskip(NEXT) | instid1(VALU_DEP_1)
	v_lshlrev_b64_e32 v[41:42], 3, v[2:3]
	v_add_co_u32 v41, vcc_lo, s46, v41
	s_wait_alu 0xfffd
	s_delay_alu instid0(VALU_DEP_2)
	v_add_co_ci_u32_e64 v42, null, s47, v42, vcc_lo
	s_wait_dscnt 0x0
	global_store_b64 v[41:42], v[39:40], off
	s_wait_alu 0xfffe
	s_or_b32 exec_lo, exec_lo, s30
	s_and_saveexec_b32 s15, s16
	s_cbranch_execz .LBB635_1113
.LBB635_1177:                           ;   in Loop: Header=BB635_982 Depth=2
	v_lshlrev_b32_e32 v2, 2, v132
	ds_load_b32 v2, v2
	ds_load_b64 v[39:40], v36 offset:5120
	s_wait_dscnt 0x1
	v_add_nc_u32_e32 v2, v2, v46
	s_delay_alu instid0(VALU_DEP_1) | instskip(NEXT) | instid1(VALU_DEP_1)
	v_lshlrev_b64_e32 v[41:42], 3, v[2:3]
	v_add_co_u32 v41, vcc_lo, s46, v41
	s_wait_alu 0xfffd
	s_delay_alu instid0(VALU_DEP_2)
	v_add_co_ci_u32_e64 v42, null, s47, v42, vcc_lo
	s_wait_dscnt 0x0
	global_store_b64 v[41:42], v[39:40], off
	s_wait_alu 0xfffe
	s_or_b32 exec_lo, exec_lo, s15
	s_and_saveexec_b32 s15, s17
	s_cbranch_execz .LBB635_1114
.LBB635_1178:                           ;   in Loop: Header=BB635_982 Depth=2
	v_lshlrev_b32_e32 v2, 2, v131
	ds_load_b32 v2, v2
	ds_load_b64 v[39:40], v36 offset:7168
	s_wait_dscnt 0x1
	v_add_nc_u32_e32 v2, v2, v47
	s_delay_alu instid0(VALU_DEP_1) | instskip(NEXT) | instid1(VALU_DEP_1)
	v_lshlrev_b64_e32 v[41:42], 3, v[2:3]
	v_add_co_u32 v41, vcc_lo, s46, v41
	s_wait_alu 0xfffd
	s_delay_alu instid0(VALU_DEP_2)
	v_add_co_ci_u32_e64 v42, null, s47, v42, vcc_lo
	s_wait_dscnt 0x0
	global_store_b64 v[41:42], v[39:40], off
	s_wait_alu 0xfffe
	s_or_b32 exec_lo, exec_lo, s15
	s_and_saveexec_b32 s15, s18
	s_cbranch_execz .LBB635_1115
.LBB635_1179:                           ;   in Loop: Header=BB635_982 Depth=2
	v_lshlrev_b32_e32 v2, 2, v130
	ds_load_b32 v2, v2
	ds_load_b64 v[39:40], v36 offset:9216
	s_wait_dscnt 0x1
	v_add_nc_u32_e32 v2, v2, v50
	s_delay_alu instid0(VALU_DEP_1) | instskip(NEXT) | instid1(VALU_DEP_1)
	v_lshlrev_b64_e32 v[41:42], 3, v[2:3]
	v_add_co_u32 v41, vcc_lo, s46, v41
	s_wait_alu 0xfffd
	s_delay_alu instid0(VALU_DEP_2)
	v_add_co_ci_u32_e64 v42, null, s47, v42, vcc_lo
	s_wait_dscnt 0x0
	global_store_b64 v[41:42], v[39:40], off
	s_wait_alu 0xfffe
	s_or_b32 exec_lo, exec_lo, s15
	s_and_saveexec_b32 s15, s19
	s_cbranch_execz .LBB635_1116
.LBB635_1180:                           ;   in Loop: Header=BB635_982 Depth=2
	v_lshlrev_b32_e32 v2, 2, v129
	ds_load_b32 v2, v2
	ds_load_b64 v[39:40], v36 offset:11264
	s_wait_dscnt 0x1
	v_add_nc_u32_e32 v2, v2, v51
	s_delay_alu instid0(VALU_DEP_1) | instskip(NEXT) | instid1(VALU_DEP_1)
	v_lshlrev_b64_e32 v[41:42], 3, v[2:3]
	v_add_co_u32 v41, vcc_lo, s46, v41
	s_wait_alu 0xfffd
	s_delay_alu instid0(VALU_DEP_2)
	v_add_co_ci_u32_e64 v42, null, s47, v42, vcc_lo
	s_wait_dscnt 0x0
	global_store_b64 v[41:42], v[39:40], off
	s_wait_alu 0xfffe
	s_or_b32 exec_lo, exec_lo, s15
	s_and_saveexec_b32 s15, s20
	s_cbranch_execz .LBB635_1117
.LBB635_1181:                           ;   in Loop: Header=BB635_982 Depth=2
	v_lshlrev_b32_e32 v2, 2, v128
	ds_load_b32 v2, v2
	ds_load_b64 v[39:40], v36 offset:13312
	s_wait_dscnt 0x1
	v_add_nc_u32_e32 v2, v2, v52
	s_delay_alu instid0(VALU_DEP_1) | instskip(NEXT) | instid1(VALU_DEP_1)
	v_lshlrev_b64_e32 v[41:42], 3, v[2:3]
	v_add_co_u32 v41, vcc_lo, s46, v41
	s_wait_alu 0xfffd
	s_delay_alu instid0(VALU_DEP_2)
	v_add_co_ci_u32_e64 v42, null, s47, v42, vcc_lo
	s_wait_dscnt 0x0
	global_store_b64 v[41:42], v[39:40], off
	s_wait_alu 0xfffe
	s_or_b32 exec_lo, exec_lo, s15
	s_and_saveexec_b32 s15, s21
	s_cbranch_execz .LBB635_1118
.LBB635_1182:                           ;   in Loop: Header=BB635_982 Depth=2
	v_lshlrev_b32_e32 v2, 2, v127
	ds_load_b32 v2, v2
	ds_load_b64 v[39:40], v36 offset:15360
	s_wait_dscnt 0x1
	v_add_nc_u32_e32 v2, v2, v53
	s_delay_alu instid0(VALU_DEP_1) | instskip(NEXT) | instid1(VALU_DEP_1)
	v_lshlrev_b64_e32 v[41:42], 3, v[2:3]
	v_add_co_u32 v41, vcc_lo, s46, v41
	s_wait_alu 0xfffd
	s_delay_alu instid0(VALU_DEP_2)
	v_add_co_ci_u32_e64 v42, null, s47, v42, vcc_lo
	s_wait_dscnt 0x0
	global_store_b64 v[41:42], v[39:40], off
	s_wait_alu 0xfffe
	s_or_b32 exec_lo, exec_lo, s15
	s_and_saveexec_b32 s15, s22
	s_cbranch_execz .LBB635_1119
.LBB635_1183:                           ;   in Loop: Header=BB635_982 Depth=2
	v_lshlrev_b32_e32 v2, 2, v126
	ds_load_b32 v2, v2
	ds_load_b64 v[39:40], v36 offset:17408
	s_wait_dscnt 0x1
	v_add_nc_u32_e32 v2, v2, v54
	s_delay_alu instid0(VALU_DEP_1) | instskip(NEXT) | instid1(VALU_DEP_1)
	v_lshlrev_b64_e32 v[41:42], 3, v[2:3]
	v_add_co_u32 v41, vcc_lo, s46, v41
	s_wait_alu 0xfffd
	s_delay_alu instid0(VALU_DEP_2)
	v_add_co_ci_u32_e64 v42, null, s47, v42, vcc_lo
	s_wait_dscnt 0x0
	global_store_b64 v[41:42], v[39:40], off
	s_wait_alu 0xfffe
	s_or_b32 exec_lo, exec_lo, s15
	s_and_saveexec_b32 s15, s23
	s_cbranch_execz .LBB635_1120
.LBB635_1184:                           ;   in Loop: Header=BB635_982 Depth=2
	v_lshlrev_b32_e32 v2, 2, v125
	ds_load_b32 v2, v2
	ds_load_b64 v[39:40], v36 offset:19456
	s_wait_dscnt 0x1
	v_add_nc_u32_e32 v2, v2, v55
	s_delay_alu instid0(VALU_DEP_1) | instskip(NEXT) | instid1(VALU_DEP_1)
	v_lshlrev_b64_e32 v[41:42], 3, v[2:3]
	v_add_co_u32 v41, vcc_lo, s46, v41
	s_wait_alu 0xfffd
	s_delay_alu instid0(VALU_DEP_2)
	v_add_co_ci_u32_e64 v42, null, s47, v42, vcc_lo
	s_wait_dscnt 0x0
	global_store_b64 v[41:42], v[39:40], off
	s_wait_alu 0xfffe
	s_or_b32 exec_lo, exec_lo, s15
	s_and_saveexec_b32 s15, s24
	s_cbranch_execz .LBB635_1121
.LBB635_1185:                           ;   in Loop: Header=BB635_982 Depth=2
	v_lshlrev_b32_e32 v2, 2, v124
	ds_load_b32 v2, v2
	ds_load_b64 v[39:40], v36 offset:21504
	s_wait_dscnt 0x1
	v_add_nc_u32_e32 v2, v2, v56
	s_delay_alu instid0(VALU_DEP_1) | instskip(NEXT) | instid1(VALU_DEP_1)
	v_lshlrev_b64_e32 v[41:42], 3, v[2:3]
	v_add_co_u32 v41, vcc_lo, s46, v41
	s_wait_alu 0xfffd
	s_delay_alu instid0(VALU_DEP_2)
	v_add_co_ci_u32_e64 v42, null, s47, v42, vcc_lo
	s_wait_dscnt 0x0
	global_store_b64 v[41:42], v[39:40], off
	s_wait_alu 0xfffe
	s_or_b32 exec_lo, exec_lo, s15
	s_and_saveexec_b32 s15, s25
	s_cbranch_execz .LBB635_1122
.LBB635_1186:                           ;   in Loop: Header=BB635_982 Depth=2
	v_lshlrev_b32_e32 v2, 2, v123
	ds_load_b32 v2, v2
	ds_load_b64 v[39:40], v36 offset:23552
	s_wait_dscnt 0x1
	v_add_nc_u32_e32 v2, v2, v57
	s_delay_alu instid0(VALU_DEP_1) | instskip(NEXT) | instid1(VALU_DEP_1)
	v_lshlrev_b64_e32 v[41:42], 3, v[2:3]
	v_add_co_u32 v41, vcc_lo, s46, v41
	s_wait_alu 0xfffd
	s_delay_alu instid0(VALU_DEP_2)
	v_add_co_ci_u32_e64 v42, null, s47, v42, vcc_lo
	s_wait_dscnt 0x0
	global_store_b64 v[41:42], v[39:40], off
	s_wait_alu 0xfffe
	s_or_b32 exec_lo, exec_lo, s15
	s_and_saveexec_b32 s15, s26
	s_cbranch_execz .LBB635_1123
.LBB635_1187:                           ;   in Loop: Header=BB635_982 Depth=2
	v_lshlrev_b32_e32 v2, 2, v122
	ds_load_b32 v2, v2
	ds_load_b64 v[39:40], v36 offset:25600
	s_wait_dscnt 0x1
	v_add_nc_u32_e32 v2, v2, v58
	s_delay_alu instid0(VALU_DEP_1) | instskip(NEXT) | instid1(VALU_DEP_1)
	v_lshlrev_b64_e32 v[41:42], 3, v[2:3]
	v_add_co_u32 v41, vcc_lo, s46, v41
	s_wait_alu 0xfffd
	s_delay_alu instid0(VALU_DEP_2)
	v_add_co_ci_u32_e64 v42, null, s47, v42, vcc_lo
	s_wait_dscnt 0x0
	global_store_b64 v[41:42], v[39:40], off
	s_wait_alu 0xfffe
	s_or_b32 exec_lo, exec_lo, s15
	s_and_saveexec_b32 s15, s27
	s_cbranch_execz .LBB635_1124
.LBB635_1188:                           ;   in Loop: Header=BB635_982 Depth=2
	v_lshlrev_b32_e32 v2, 2, v121
	ds_load_b32 v2, v2
	ds_load_b64 v[39:40], v36 offset:27648
	s_wait_dscnt 0x1
	v_add_nc_u32_e32 v2, v2, v59
	s_delay_alu instid0(VALU_DEP_1) | instskip(NEXT) | instid1(VALU_DEP_1)
	v_lshlrev_b64_e32 v[41:42], 3, v[2:3]
	v_add_co_u32 v41, vcc_lo, s46, v41
	s_wait_alu 0xfffd
	s_delay_alu instid0(VALU_DEP_2)
	v_add_co_ci_u32_e64 v42, null, s47, v42, vcc_lo
	s_wait_dscnt 0x0
	global_store_b64 v[41:42], v[39:40], off
	s_wait_alu 0xfffe
	s_or_b32 exec_lo, exec_lo, s15
	s_and_saveexec_b32 s15, s28
	s_cbranch_execz .LBB635_1125
.LBB635_1189:                           ;   in Loop: Header=BB635_982 Depth=2
	v_lshlrev_b32_e32 v2, 2, v120
	ds_load_b32 v2, v2
	ds_load_b64 v[39:40], v36 offset:29696
	s_wait_dscnt 0x1
	v_add_nc_u32_e32 v2, v2, v60
	s_delay_alu instid0(VALU_DEP_1) | instskip(NEXT) | instid1(VALU_DEP_1)
	v_lshlrev_b64_e32 v[41:42], 3, v[2:3]
	v_add_co_u32 v41, vcc_lo, s46, v41
	s_wait_alu 0xfffd
	s_delay_alu instid0(VALU_DEP_2)
	v_add_co_ci_u32_e64 v42, null, s47, v42, vcc_lo
	s_wait_dscnt 0x0
	global_store_b64 v[41:42], v[39:40], off
	s_wait_alu 0xfffe
	s_or_b32 exec_lo, exec_lo, s15
	s_and_saveexec_b32 s15, s29
	s_cbranch_execnz .LBB635_1126
	s_branch .LBB635_1127
.LBB635_1190:
	s_endpgm
	.section	.rodata,"a",@progbits
	.p2align	6, 0x0
	.amdhsa_kernel _ZN7rocprim17ROCPRIM_400000_NS6detail17trampoline_kernelINS0_14default_configENS1_36segmented_radix_sort_config_selectorIilEEZNS1_25segmented_radix_sort_implIS3_Lb0EPKiPiPKlPlN2at6native12_GLOBAL__N_18offset_tEEE10hipError_tPvRmT1_PNSt15iterator_traitsISK_E10value_typeET2_T3_PNSL_ISQ_E10value_typeET4_jRbjT5_SW_jjP12ihipStream_tbEUlT_E2_NS1_11comp_targetILNS1_3genE10ELNS1_11target_archE1201ELNS1_3gpuE5ELNS1_3repE0EEENS1_30default_config_static_selectorELNS0_4arch9wavefront6targetE0EEEvSK_
		.amdhsa_group_segment_fixed_size 33824
		.amdhsa_private_segment_fixed_size 100
		.amdhsa_kernarg_size 336
		.amdhsa_user_sgpr_count 2
		.amdhsa_user_sgpr_dispatch_ptr 0
		.amdhsa_user_sgpr_queue_ptr 0
		.amdhsa_user_sgpr_kernarg_segment_ptr 1
		.amdhsa_user_sgpr_dispatch_id 0
		.amdhsa_user_sgpr_private_segment_size 0
		.amdhsa_wavefront_size32 1
		.amdhsa_uses_dynamic_stack 0
		.amdhsa_enable_private_segment 1
		.amdhsa_system_sgpr_workgroup_id_x 1
		.amdhsa_system_sgpr_workgroup_id_y 1
		.amdhsa_system_sgpr_workgroup_id_z 0
		.amdhsa_system_sgpr_workgroup_info 0
		.amdhsa_system_vgpr_workitem_id 2
		.amdhsa_next_free_vgpr 248
		.amdhsa_next_free_sgpr 58
		.amdhsa_reserve_vcc 1
		.amdhsa_float_round_mode_32 0
		.amdhsa_float_round_mode_16_64 0
		.amdhsa_float_denorm_mode_32 3
		.amdhsa_float_denorm_mode_16_64 3
		.amdhsa_fp16_overflow 0
		.amdhsa_workgroup_processor_mode 1
		.amdhsa_memory_ordered 1
		.amdhsa_forward_progress 1
		.amdhsa_inst_pref_size 255
		.amdhsa_round_robin_scheduling 0
		.amdhsa_exception_fp_ieee_invalid_op 0
		.amdhsa_exception_fp_denorm_src 0
		.amdhsa_exception_fp_ieee_div_zero 0
		.amdhsa_exception_fp_ieee_overflow 0
		.amdhsa_exception_fp_ieee_underflow 0
		.amdhsa_exception_fp_ieee_inexact 0
		.amdhsa_exception_int_div_zero 0
	.end_amdhsa_kernel
	.section	.text._ZN7rocprim17ROCPRIM_400000_NS6detail17trampoline_kernelINS0_14default_configENS1_36segmented_radix_sort_config_selectorIilEEZNS1_25segmented_radix_sort_implIS3_Lb0EPKiPiPKlPlN2at6native12_GLOBAL__N_18offset_tEEE10hipError_tPvRmT1_PNSt15iterator_traitsISK_E10value_typeET2_T3_PNSL_ISQ_E10value_typeET4_jRbjT5_SW_jjP12ihipStream_tbEUlT_E2_NS1_11comp_targetILNS1_3genE10ELNS1_11target_archE1201ELNS1_3gpuE5ELNS1_3repE0EEENS1_30default_config_static_selectorELNS0_4arch9wavefront6targetE0EEEvSK_,"axG",@progbits,_ZN7rocprim17ROCPRIM_400000_NS6detail17trampoline_kernelINS0_14default_configENS1_36segmented_radix_sort_config_selectorIilEEZNS1_25segmented_radix_sort_implIS3_Lb0EPKiPiPKlPlN2at6native12_GLOBAL__N_18offset_tEEE10hipError_tPvRmT1_PNSt15iterator_traitsISK_E10value_typeET2_T3_PNSL_ISQ_E10value_typeET4_jRbjT5_SW_jjP12ihipStream_tbEUlT_E2_NS1_11comp_targetILNS1_3genE10ELNS1_11target_archE1201ELNS1_3gpuE5ELNS1_3repE0EEENS1_30default_config_static_selectorELNS0_4arch9wavefront6targetE0EEEvSK_,comdat
.Lfunc_end635:
	.size	_ZN7rocprim17ROCPRIM_400000_NS6detail17trampoline_kernelINS0_14default_configENS1_36segmented_radix_sort_config_selectorIilEEZNS1_25segmented_radix_sort_implIS3_Lb0EPKiPiPKlPlN2at6native12_GLOBAL__N_18offset_tEEE10hipError_tPvRmT1_PNSt15iterator_traitsISK_E10value_typeET2_T3_PNSL_ISQ_E10value_typeET4_jRbjT5_SW_jjP12ihipStream_tbEUlT_E2_NS1_11comp_targetILNS1_3genE10ELNS1_11target_archE1201ELNS1_3gpuE5ELNS1_3repE0EEENS1_30default_config_static_selectorELNS0_4arch9wavefront6targetE0EEEvSK_, .Lfunc_end635-_ZN7rocprim17ROCPRIM_400000_NS6detail17trampoline_kernelINS0_14default_configENS1_36segmented_radix_sort_config_selectorIilEEZNS1_25segmented_radix_sort_implIS3_Lb0EPKiPiPKlPlN2at6native12_GLOBAL__N_18offset_tEEE10hipError_tPvRmT1_PNSt15iterator_traitsISK_E10value_typeET2_T3_PNSL_ISQ_E10value_typeET4_jRbjT5_SW_jjP12ihipStream_tbEUlT_E2_NS1_11comp_targetILNS1_3genE10ELNS1_11target_archE1201ELNS1_3gpuE5ELNS1_3repE0EEENS1_30default_config_static_selectorELNS0_4arch9wavefront6targetE0EEEvSK_
                                        ; -- End function
	.set _ZN7rocprim17ROCPRIM_400000_NS6detail17trampoline_kernelINS0_14default_configENS1_36segmented_radix_sort_config_selectorIilEEZNS1_25segmented_radix_sort_implIS3_Lb0EPKiPiPKlPlN2at6native12_GLOBAL__N_18offset_tEEE10hipError_tPvRmT1_PNSt15iterator_traitsISK_E10value_typeET2_T3_PNSL_ISQ_E10value_typeET4_jRbjT5_SW_jjP12ihipStream_tbEUlT_E2_NS1_11comp_targetILNS1_3genE10ELNS1_11target_archE1201ELNS1_3gpuE5ELNS1_3repE0EEENS1_30default_config_static_selectorELNS0_4arch9wavefront6targetE0EEEvSK_.num_vgpr, max(205, .L_ZN7rocprim17ROCPRIM_400000_NS6detail26segmented_warp_sort_helperINS1_20WarpSortHelperConfigILj8ELj4ELj256EEEilLi256ELb0EvE4sortIPKiPiPKlPlEEvT_T0_T1_T2_jjjjRNS5_12storage_typeE.num_vgpr, .L_ZN7rocprim17ROCPRIM_400000_NS6detail40segmented_radix_sort_single_block_helperIilLj256ELj16ELb0EE4sortIPKiPiPKlPlEEbT_T0_T1_T2_jjjjRNS3_12storage_typeE.num_vgpr)
	.set _ZN7rocprim17ROCPRIM_400000_NS6detail17trampoline_kernelINS0_14default_configENS1_36segmented_radix_sort_config_selectorIilEEZNS1_25segmented_radix_sort_implIS3_Lb0EPKiPiPKlPlN2at6native12_GLOBAL__N_18offset_tEEE10hipError_tPvRmT1_PNSt15iterator_traitsISK_E10value_typeET2_T3_PNSL_ISQ_E10value_typeET4_jRbjT5_SW_jjP12ihipStream_tbEUlT_E2_NS1_11comp_targetILNS1_3genE10ELNS1_11target_archE1201ELNS1_3gpuE5ELNS1_3repE0EEENS1_30default_config_static_selectorELNS0_4arch9wavefront6targetE0EEEvSK_.num_agpr, max(0, .L_ZN7rocprim17ROCPRIM_400000_NS6detail26segmented_warp_sort_helperINS1_20WarpSortHelperConfigILj8ELj4ELj256EEEilLi256ELb0EvE4sortIPKiPiPKlPlEEvT_T0_T1_T2_jjjjRNS5_12storage_typeE.num_agpr, .L_ZN7rocprim17ROCPRIM_400000_NS6detail40segmented_radix_sort_single_block_helperIilLj256ELj16ELb0EE4sortIPKiPiPKlPlEEbT_T0_T1_T2_jjjjRNS3_12storage_typeE.num_agpr)
	.set _ZN7rocprim17ROCPRIM_400000_NS6detail17trampoline_kernelINS0_14default_configENS1_36segmented_radix_sort_config_selectorIilEEZNS1_25segmented_radix_sort_implIS3_Lb0EPKiPiPKlPlN2at6native12_GLOBAL__N_18offset_tEEE10hipError_tPvRmT1_PNSt15iterator_traitsISK_E10value_typeET2_T3_PNSL_ISQ_E10value_typeET4_jRbjT5_SW_jjP12ihipStream_tbEUlT_E2_NS1_11comp_targetILNS1_3genE10ELNS1_11target_archE1201ELNS1_3gpuE5ELNS1_3repE0EEENS1_30default_config_static_selectorELNS0_4arch9wavefront6targetE0EEEvSK_.numbered_sgpr, max(58, .L_ZN7rocprim17ROCPRIM_400000_NS6detail26segmented_warp_sort_helperINS1_20WarpSortHelperConfigILj8ELj4ELj256EEEilLi256ELb0EvE4sortIPKiPiPKlPlEEvT_T0_T1_T2_jjjjRNS5_12storage_typeE.numbered_sgpr, .L_ZN7rocprim17ROCPRIM_400000_NS6detail40segmented_radix_sort_single_block_helperIilLj256ELj16ELb0EE4sortIPKiPiPKlPlEEbT_T0_T1_T2_jjjjRNS3_12storage_typeE.numbered_sgpr)
	.set _ZN7rocprim17ROCPRIM_400000_NS6detail17trampoline_kernelINS0_14default_configENS1_36segmented_radix_sort_config_selectorIilEEZNS1_25segmented_radix_sort_implIS3_Lb0EPKiPiPKlPlN2at6native12_GLOBAL__N_18offset_tEEE10hipError_tPvRmT1_PNSt15iterator_traitsISK_E10value_typeET2_T3_PNSL_ISQ_E10value_typeET4_jRbjT5_SW_jjP12ihipStream_tbEUlT_E2_NS1_11comp_targetILNS1_3genE10ELNS1_11target_archE1201ELNS1_3gpuE5ELNS1_3repE0EEENS1_30default_config_static_selectorELNS0_4arch9wavefront6targetE0EEEvSK_.num_named_barrier, max(0, .L_ZN7rocprim17ROCPRIM_400000_NS6detail26segmented_warp_sort_helperINS1_20WarpSortHelperConfigILj8ELj4ELj256EEEilLi256ELb0EvE4sortIPKiPiPKlPlEEvT_T0_T1_T2_jjjjRNS5_12storage_typeE.num_named_barrier, .L_ZN7rocprim17ROCPRIM_400000_NS6detail40segmented_radix_sort_single_block_helperIilLj256ELj16ELb0EE4sortIPKiPiPKlPlEEbT_T0_T1_T2_jjjjRNS3_12storage_typeE.num_named_barrier)
	.set _ZN7rocprim17ROCPRIM_400000_NS6detail17trampoline_kernelINS0_14default_configENS1_36segmented_radix_sort_config_selectorIilEEZNS1_25segmented_radix_sort_implIS3_Lb0EPKiPiPKlPlN2at6native12_GLOBAL__N_18offset_tEEE10hipError_tPvRmT1_PNSt15iterator_traitsISK_E10value_typeET2_T3_PNSL_ISQ_E10value_typeET4_jRbjT5_SW_jjP12ihipStream_tbEUlT_E2_NS1_11comp_targetILNS1_3genE10ELNS1_11target_archE1201ELNS1_3gpuE5ELNS1_3repE0EEENS1_30default_config_static_selectorELNS0_4arch9wavefront6targetE0EEEvSK_.private_seg_size, 0+max(.L_ZN7rocprim17ROCPRIM_400000_NS6detail26segmented_warp_sort_helperINS1_20WarpSortHelperConfigILj8ELj4ELj256EEEilLi256ELb0EvE4sortIPKiPiPKlPlEEvT_T0_T1_T2_jjjjRNS5_12storage_typeE.private_seg_size, .L_ZN7rocprim17ROCPRIM_400000_NS6detail40segmented_radix_sort_single_block_helperIilLj256ELj16ELb0EE4sortIPKiPiPKlPlEEbT_T0_T1_T2_jjjjRNS3_12storage_typeE.private_seg_size)
	.set _ZN7rocprim17ROCPRIM_400000_NS6detail17trampoline_kernelINS0_14default_configENS1_36segmented_radix_sort_config_selectorIilEEZNS1_25segmented_radix_sort_implIS3_Lb0EPKiPiPKlPlN2at6native12_GLOBAL__N_18offset_tEEE10hipError_tPvRmT1_PNSt15iterator_traitsISK_E10value_typeET2_T3_PNSL_ISQ_E10value_typeET4_jRbjT5_SW_jjP12ihipStream_tbEUlT_E2_NS1_11comp_targetILNS1_3genE10ELNS1_11target_archE1201ELNS1_3gpuE5ELNS1_3repE0EEENS1_30default_config_static_selectorELNS0_4arch9wavefront6targetE0EEEvSK_.uses_vcc, or(1, .L_ZN7rocprim17ROCPRIM_400000_NS6detail26segmented_warp_sort_helperINS1_20WarpSortHelperConfigILj8ELj4ELj256EEEilLi256ELb0EvE4sortIPKiPiPKlPlEEvT_T0_T1_T2_jjjjRNS5_12storage_typeE.uses_vcc, .L_ZN7rocprim17ROCPRIM_400000_NS6detail40segmented_radix_sort_single_block_helperIilLj256ELj16ELb0EE4sortIPKiPiPKlPlEEbT_T0_T1_T2_jjjjRNS3_12storage_typeE.uses_vcc)
	.set _ZN7rocprim17ROCPRIM_400000_NS6detail17trampoline_kernelINS0_14default_configENS1_36segmented_radix_sort_config_selectorIilEEZNS1_25segmented_radix_sort_implIS3_Lb0EPKiPiPKlPlN2at6native12_GLOBAL__N_18offset_tEEE10hipError_tPvRmT1_PNSt15iterator_traitsISK_E10value_typeET2_T3_PNSL_ISQ_E10value_typeET4_jRbjT5_SW_jjP12ihipStream_tbEUlT_E2_NS1_11comp_targetILNS1_3genE10ELNS1_11target_archE1201ELNS1_3gpuE5ELNS1_3repE0EEENS1_30default_config_static_selectorELNS0_4arch9wavefront6targetE0EEEvSK_.uses_flat_scratch, or(0, .L_ZN7rocprim17ROCPRIM_400000_NS6detail26segmented_warp_sort_helperINS1_20WarpSortHelperConfigILj8ELj4ELj256EEEilLi256ELb0EvE4sortIPKiPiPKlPlEEvT_T0_T1_T2_jjjjRNS5_12storage_typeE.uses_flat_scratch, .L_ZN7rocprim17ROCPRIM_400000_NS6detail40segmented_radix_sort_single_block_helperIilLj256ELj16ELb0EE4sortIPKiPiPKlPlEEbT_T0_T1_T2_jjjjRNS3_12storage_typeE.uses_flat_scratch)
	.set _ZN7rocprim17ROCPRIM_400000_NS6detail17trampoline_kernelINS0_14default_configENS1_36segmented_radix_sort_config_selectorIilEEZNS1_25segmented_radix_sort_implIS3_Lb0EPKiPiPKlPlN2at6native12_GLOBAL__N_18offset_tEEE10hipError_tPvRmT1_PNSt15iterator_traitsISK_E10value_typeET2_T3_PNSL_ISQ_E10value_typeET4_jRbjT5_SW_jjP12ihipStream_tbEUlT_E2_NS1_11comp_targetILNS1_3genE10ELNS1_11target_archE1201ELNS1_3gpuE5ELNS1_3repE0EEENS1_30default_config_static_selectorELNS0_4arch9wavefront6targetE0EEEvSK_.has_dyn_sized_stack, or(0, .L_ZN7rocprim17ROCPRIM_400000_NS6detail26segmented_warp_sort_helperINS1_20WarpSortHelperConfigILj8ELj4ELj256EEEilLi256ELb0EvE4sortIPKiPiPKlPlEEvT_T0_T1_T2_jjjjRNS5_12storage_typeE.has_dyn_sized_stack, .L_ZN7rocprim17ROCPRIM_400000_NS6detail40segmented_radix_sort_single_block_helperIilLj256ELj16ELb0EE4sortIPKiPiPKlPlEEbT_T0_T1_T2_jjjjRNS3_12storage_typeE.has_dyn_sized_stack)
	.set _ZN7rocprim17ROCPRIM_400000_NS6detail17trampoline_kernelINS0_14default_configENS1_36segmented_radix_sort_config_selectorIilEEZNS1_25segmented_radix_sort_implIS3_Lb0EPKiPiPKlPlN2at6native12_GLOBAL__N_18offset_tEEE10hipError_tPvRmT1_PNSt15iterator_traitsISK_E10value_typeET2_T3_PNSL_ISQ_E10value_typeET4_jRbjT5_SW_jjP12ihipStream_tbEUlT_E2_NS1_11comp_targetILNS1_3genE10ELNS1_11target_archE1201ELNS1_3gpuE5ELNS1_3repE0EEENS1_30default_config_static_selectorELNS0_4arch9wavefront6targetE0EEEvSK_.has_recursion, or(0, .L_ZN7rocprim17ROCPRIM_400000_NS6detail26segmented_warp_sort_helperINS1_20WarpSortHelperConfigILj8ELj4ELj256EEEilLi256ELb0EvE4sortIPKiPiPKlPlEEvT_T0_T1_T2_jjjjRNS5_12storage_typeE.has_recursion, .L_ZN7rocprim17ROCPRIM_400000_NS6detail40segmented_radix_sort_single_block_helperIilLj256ELj16ELb0EE4sortIPKiPiPKlPlEEbT_T0_T1_T2_jjjjRNS3_12storage_typeE.has_recursion)
	.set _ZN7rocprim17ROCPRIM_400000_NS6detail17trampoline_kernelINS0_14default_configENS1_36segmented_radix_sort_config_selectorIilEEZNS1_25segmented_radix_sort_implIS3_Lb0EPKiPiPKlPlN2at6native12_GLOBAL__N_18offset_tEEE10hipError_tPvRmT1_PNSt15iterator_traitsISK_E10value_typeET2_T3_PNSL_ISQ_E10value_typeET4_jRbjT5_SW_jjP12ihipStream_tbEUlT_E2_NS1_11comp_targetILNS1_3genE10ELNS1_11target_archE1201ELNS1_3gpuE5ELNS1_3repE0EEENS1_30default_config_static_selectorELNS0_4arch9wavefront6targetE0EEEvSK_.has_indirect_call, or(0, .L_ZN7rocprim17ROCPRIM_400000_NS6detail26segmented_warp_sort_helperINS1_20WarpSortHelperConfigILj8ELj4ELj256EEEilLi256ELb0EvE4sortIPKiPiPKlPlEEvT_T0_T1_T2_jjjjRNS5_12storage_typeE.has_indirect_call, .L_ZN7rocprim17ROCPRIM_400000_NS6detail40segmented_radix_sort_single_block_helperIilLj256ELj16ELb0EE4sortIPKiPiPKlPlEEbT_T0_T1_T2_jjjjRNS3_12storage_typeE.has_indirect_call)
	.section	.AMDGPU.csdata,"",@progbits
; Kernel info:
; codeLenInByte = 74960
; TotalNumSgprs: 60
; NumVgprs: 248
; ScratchSize: 100
; MemoryBound: 0
; FloatMode: 240
; IeeeMode: 1
; LDSByteSize: 33824 bytes/workgroup (compile time only)
; SGPRBlocks: 0
; VGPRBlocks: 30
; NumSGPRsForWavesPerEU: 60
; NumVGPRsForWavesPerEU: 248
; Occupancy: 5
; WaveLimiterHint : 1
; COMPUTE_PGM_RSRC2:SCRATCH_EN: 1
; COMPUTE_PGM_RSRC2:USER_SGPR: 2
; COMPUTE_PGM_RSRC2:TRAP_HANDLER: 0
; COMPUTE_PGM_RSRC2:TGID_X_EN: 1
; COMPUTE_PGM_RSRC2:TGID_Y_EN: 1
; COMPUTE_PGM_RSRC2:TGID_Z_EN: 0
; COMPUTE_PGM_RSRC2:TIDIG_COMP_CNT: 2
	.section	.text._ZN7rocprim17ROCPRIM_400000_NS6detail17trampoline_kernelINS0_14default_configENS1_36segmented_radix_sort_config_selectorIilEEZNS1_25segmented_radix_sort_implIS3_Lb0EPKiPiPKlPlN2at6native12_GLOBAL__N_18offset_tEEE10hipError_tPvRmT1_PNSt15iterator_traitsISK_E10value_typeET2_T3_PNSL_ISQ_E10value_typeET4_jRbjT5_SW_jjP12ihipStream_tbEUlT_E2_NS1_11comp_targetILNS1_3genE10ELNS1_11target_archE1200ELNS1_3gpuE4ELNS1_3repE0EEENS1_30default_config_static_selectorELNS0_4arch9wavefront6targetE0EEEvSK_,"axG",@progbits,_ZN7rocprim17ROCPRIM_400000_NS6detail17trampoline_kernelINS0_14default_configENS1_36segmented_radix_sort_config_selectorIilEEZNS1_25segmented_radix_sort_implIS3_Lb0EPKiPiPKlPlN2at6native12_GLOBAL__N_18offset_tEEE10hipError_tPvRmT1_PNSt15iterator_traitsISK_E10value_typeET2_T3_PNSL_ISQ_E10value_typeET4_jRbjT5_SW_jjP12ihipStream_tbEUlT_E2_NS1_11comp_targetILNS1_3genE10ELNS1_11target_archE1200ELNS1_3gpuE4ELNS1_3repE0EEENS1_30default_config_static_selectorELNS0_4arch9wavefront6targetE0EEEvSK_,comdat
	.globl	_ZN7rocprim17ROCPRIM_400000_NS6detail17trampoline_kernelINS0_14default_configENS1_36segmented_radix_sort_config_selectorIilEEZNS1_25segmented_radix_sort_implIS3_Lb0EPKiPiPKlPlN2at6native12_GLOBAL__N_18offset_tEEE10hipError_tPvRmT1_PNSt15iterator_traitsISK_E10value_typeET2_T3_PNSL_ISQ_E10value_typeET4_jRbjT5_SW_jjP12ihipStream_tbEUlT_E2_NS1_11comp_targetILNS1_3genE10ELNS1_11target_archE1200ELNS1_3gpuE4ELNS1_3repE0EEENS1_30default_config_static_selectorELNS0_4arch9wavefront6targetE0EEEvSK_ ; -- Begin function _ZN7rocprim17ROCPRIM_400000_NS6detail17trampoline_kernelINS0_14default_configENS1_36segmented_radix_sort_config_selectorIilEEZNS1_25segmented_radix_sort_implIS3_Lb0EPKiPiPKlPlN2at6native12_GLOBAL__N_18offset_tEEE10hipError_tPvRmT1_PNSt15iterator_traitsISK_E10value_typeET2_T3_PNSL_ISQ_E10value_typeET4_jRbjT5_SW_jjP12ihipStream_tbEUlT_E2_NS1_11comp_targetILNS1_3genE10ELNS1_11target_archE1200ELNS1_3gpuE4ELNS1_3repE0EEENS1_30default_config_static_selectorELNS0_4arch9wavefront6targetE0EEEvSK_
	.p2align	8
	.type	_ZN7rocprim17ROCPRIM_400000_NS6detail17trampoline_kernelINS0_14default_configENS1_36segmented_radix_sort_config_selectorIilEEZNS1_25segmented_radix_sort_implIS3_Lb0EPKiPiPKlPlN2at6native12_GLOBAL__N_18offset_tEEE10hipError_tPvRmT1_PNSt15iterator_traitsISK_E10value_typeET2_T3_PNSL_ISQ_E10value_typeET4_jRbjT5_SW_jjP12ihipStream_tbEUlT_E2_NS1_11comp_targetILNS1_3genE10ELNS1_11target_archE1200ELNS1_3gpuE4ELNS1_3repE0EEENS1_30default_config_static_selectorELNS0_4arch9wavefront6targetE0EEEvSK_,@function
_ZN7rocprim17ROCPRIM_400000_NS6detail17trampoline_kernelINS0_14default_configENS1_36segmented_radix_sort_config_selectorIilEEZNS1_25segmented_radix_sort_implIS3_Lb0EPKiPiPKlPlN2at6native12_GLOBAL__N_18offset_tEEE10hipError_tPvRmT1_PNSt15iterator_traitsISK_E10value_typeET2_T3_PNSL_ISQ_E10value_typeET4_jRbjT5_SW_jjP12ihipStream_tbEUlT_E2_NS1_11comp_targetILNS1_3genE10ELNS1_11target_archE1200ELNS1_3gpuE4ELNS1_3repE0EEENS1_30default_config_static_selectorELNS0_4arch9wavefront6targetE0EEEvSK_: ; @_ZN7rocprim17ROCPRIM_400000_NS6detail17trampoline_kernelINS0_14default_configENS1_36segmented_radix_sort_config_selectorIilEEZNS1_25segmented_radix_sort_implIS3_Lb0EPKiPiPKlPlN2at6native12_GLOBAL__N_18offset_tEEE10hipError_tPvRmT1_PNSt15iterator_traitsISK_E10value_typeET2_T3_PNSL_ISQ_E10value_typeET4_jRbjT5_SW_jjP12ihipStream_tbEUlT_E2_NS1_11comp_targetILNS1_3genE10ELNS1_11target_archE1200ELNS1_3gpuE4ELNS1_3repE0EEENS1_30default_config_static_selectorELNS0_4arch9wavefront6targetE0EEEvSK_
; %bb.0:
	.section	.rodata,"a",@progbits
	.p2align	6, 0x0
	.amdhsa_kernel _ZN7rocprim17ROCPRIM_400000_NS6detail17trampoline_kernelINS0_14default_configENS1_36segmented_radix_sort_config_selectorIilEEZNS1_25segmented_radix_sort_implIS3_Lb0EPKiPiPKlPlN2at6native12_GLOBAL__N_18offset_tEEE10hipError_tPvRmT1_PNSt15iterator_traitsISK_E10value_typeET2_T3_PNSL_ISQ_E10value_typeET4_jRbjT5_SW_jjP12ihipStream_tbEUlT_E2_NS1_11comp_targetILNS1_3genE10ELNS1_11target_archE1200ELNS1_3gpuE4ELNS1_3repE0EEENS1_30default_config_static_selectorELNS0_4arch9wavefront6targetE0EEEvSK_
		.amdhsa_group_segment_fixed_size 0
		.amdhsa_private_segment_fixed_size 0
		.amdhsa_kernarg_size 80
		.amdhsa_user_sgpr_count 2
		.amdhsa_user_sgpr_dispatch_ptr 0
		.amdhsa_user_sgpr_queue_ptr 0
		.amdhsa_user_sgpr_kernarg_segment_ptr 1
		.amdhsa_user_sgpr_dispatch_id 0
		.amdhsa_user_sgpr_private_segment_size 0
		.amdhsa_wavefront_size32 1
		.amdhsa_uses_dynamic_stack 0
		.amdhsa_enable_private_segment 0
		.amdhsa_system_sgpr_workgroup_id_x 1
		.amdhsa_system_sgpr_workgroup_id_y 0
		.amdhsa_system_sgpr_workgroup_id_z 0
		.amdhsa_system_sgpr_workgroup_info 0
		.amdhsa_system_vgpr_workitem_id 0
		.amdhsa_next_free_vgpr 1
		.amdhsa_next_free_sgpr 1
		.amdhsa_reserve_vcc 0
		.amdhsa_float_round_mode_32 0
		.amdhsa_float_round_mode_16_64 0
		.amdhsa_float_denorm_mode_32 3
		.amdhsa_float_denorm_mode_16_64 3
		.amdhsa_fp16_overflow 0
		.amdhsa_workgroup_processor_mode 1
		.amdhsa_memory_ordered 1
		.amdhsa_forward_progress 1
		.amdhsa_inst_pref_size 0
		.amdhsa_round_robin_scheduling 0
		.amdhsa_exception_fp_ieee_invalid_op 0
		.amdhsa_exception_fp_denorm_src 0
		.amdhsa_exception_fp_ieee_div_zero 0
		.amdhsa_exception_fp_ieee_overflow 0
		.amdhsa_exception_fp_ieee_underflow 0
		.amdhsa_exception_fp_ieee_inexact 0
		.amdhsa_exception_int_div_zero 0
	.end_amdhsa_kernel
	.section	.text._ZN7rocprim17ROCPRIM_400000_NS6detail17trampoline_kernelINS0_14default_configENS1_36segmented_radix_sort_config_selectorIilEEZNS1_25segmented_radix_sort_implIS3_Lb0EPKiPiPKlPlN2at6native12_GLOBAL__N_18offset_tEEE10hipError_tPvRmT1_PNSt15iterator_traitsISK_E10value_typeET2_T3_PNSL_ISQ_E10value_typeET4_jRbjT5_SW_jjP12ihipStream_tbEUlT_E2_NS1_11comp_targetILNS1_3genE10ELNS1_11target_archE1200ELNS1_3gpuE4ELNS1_3repE0EEENS1_30default_config_static_selectorELNS0_4arch9wavefront6targetE0EEEvSK_,"axG",@progbits,_ZN7rocprim17ROCPRIM_400000_NS6detail17trampoline_kernelINS0_14default_configENS1_36segmented_radix_sort_config_selectorIilEEZNS1_25segmented_radix_sort_implIS3_Lb0EPKiPiPKlPlN2at6native12_GLOBAL__N_18offset_tEEE10hipError_tPvRmT1_PNSt15iterator_traitsISK_E10value_typeET2_T3_PNSL_ISQ_E10value_typeET4_jRbjT5_SW_jjP12ihipStream_tbEUlT_E2_NS1_11comp_targetILNS1_3genE10ELNS1_11target_archE1200ELNS1_3gpuE4ELNS1_3repE0EEENS1_30default_config_static_selectorELNS0_4arch9wavefront6targetE0EEEvSK_,comdat
.Lfunc_end636:
	.size	_ZN7rocprim17ROCPRIM_400000_NS6detail17trampoline_kernelINS0_14default_configENS1_36segmented_radix_sort_config_selectorIilEEZNS1_25segmented_radix_sort_implIS3_Lb0EPKiPiPKlPlN2at6native12_GLOBAL__N_18offset_tEEE10hipError_tPvRmT1_PNSt15iterator_traitsISK_E10value_typeET2_T3_PNSL_ISQ_E10value_typeET4_jRbjT5_SW_jjP12ihipStream_tbEUlT_E2_NS1_11comp_targetILNS1_3genE10ELNS1_11target_archE1200ELNS1_3gpuE4ELNS1_3repE0EEENS1_30default_config_static_selectorELNS0_4arch9wavefront6targetE0EEEvSK_, .Lfunc_end636-_ZN7rocprim17ROCPRIM_400000_NS6detail17trampoline_kernelINS0_14default_configENS1_36segmented_radix_sort_config_selectorIilEEZNS1_25segmented_radix_sort_implIS3_Lb0EPKiPiPKlPlN2at6native12_GLOBAL__N_18offset_tEEE10hipError_tPvRmT1_PNSt15iterator_traitsISK_E10value_typeET2_T3_PNSL_ISQ_E10value_typeET4_jRbjT5_SW_jjP12ihipStream_tbEUlT_E2_NS1_11comp_targetILNS1_3genE10ELNS1_11target_archE1200ELNS1_3gpuE4ELNS1_3repE0EEENS1_30default_config_static_selectorELNS0_4arch9wavefront6targetE0EEEvSK_
                                        ; -- End function
	.set _ZN7rocprim17ROCPRIM_400000_NS6detail17trampoline_kernelINS0_14default_configENS1_36segmented_radix_sort_config_selectorIilEEZNS1_25segmented_radix_sort_implIS3_Lb0EPKiPiPKlPlN2at6native12_GLOBAL__N_18offset_tEEE10hipError_tPvRmT1_PNSt15iterator_traitsISK_E10value_typeET2_T3_PNSL_ISQ_E10value_typeET4_jRbjT5_SW_jjP12ihipStream_tbEUlT_E2_NS1_11comp_targetILNS1_3genE10ELNS1_11target_archE1200ELNS1_3gpuE4ELNS1_3repE0EEENS1_30default_config_static_selectorELNS0_4arch9wavefront6targetE0EEEvSK_.num_vgpr, 0
	.set _ZN7rocprim17ROCPRIM_400000_NS6detail17trampoline_kernelINS0_14default_configENS1_36segmented_radix_sort_config_selectorIilEEZNS1_25segmented_radix_sort_implIS3_Lb0EPKiPiPKlPlN2at6native12_GLOBAL__N_18offset_tEEE10hipError_tPvRmT1_PNSt15iterator_traitsISK_E10value_typeET2_T3_PNSL_ISQ_E10value_typeET4_jRbjT5_SW_jjP12ihipStream_tbEUlT_E2_NS1_11comp_targetILNS1_3genE10ELNS1_11target_archE1200ELNS1_3gpuE4ELNS1_3repE0EEENS1_30default_config_static_selectorELNS0_4arch9wavefront6targetE0EEEvSK_.num_agpr, 0
	.set _ZN7rocprim17ROCPRIM_400000_NS6detail17trampoline_kernelINS0_14default_configENS1_36segmented_radix_sort_config_selectorIilEEZNS1_25segmented_radix_sort_implIS3_Lb0EPKiPiPKlPlN2at6native12_GLOBAL__N_18offset_tEEE10hipError_tPvRmT1_PNSt15iterator_traitsISK_E10value_typeET2_T3_PNSL_ISQ_E10value_typeET4_jRbjT5_SW_jjP12ihipStream_tbEUlT_E2_NS1_11comp_targetILNS1_3genE10ELNS1_11target_archE1200ELNS1_3gpuE4ELNS1_3repE0EEENS1_30default_config_static_selectorELNS0_4arch9wavefront6targetE0EEEvSK_.numbered_sgpr, 0
	.set _ZN7rocprim17ROCPRIM_400000_NS6detail17trampoline_kernelINS0_14default_configENS1_36segmented_radix_sort_config_selectorIilEEZNS1_25segmented_radix_sort_implIS3_Lb0EPKiPiPKlPlN2at6native12_GLOBAL__N_18offset_tEEE10hipError_tPvRmT1_PNSt15iterator_traitsISK_E10value_typeET2_T3_PNSL_ISQ_E10value_typeET4_jRbjT5_SW_jjP12ihipStream_tbEUlT_E2_NS1_11comp_targetILNS1_3genE10ELNS1_11target_archE1200ELNS1_3gpuE4ELNS1_3repE0EEENS1_30default_config_static_selectorELNS0_4arch9wavefront6targetE0EEEvSK_.num_named_barrier, 0
	.set _ZN7rocprim17ROCPRIM_400000_NS6detail17trampoline_kernelINS0_14default_configENS1_36segmented_radix_sort_config_selectorIilEEZNS1_25segmented_radix_sort_implIS3_Lb0EPKiPiPKlPlN2at6native12_GLOBAL__N_18offset_tEEE10hipError_tPvRmT1_PNSt15iterator_traitsISK_E10value_typeET2_T3_PNSL_ISQ_E10value_typeET4_jRbjT5_SW_jjP12ihipStream_tbEUlT_E2_NS1_11comp_targetILNS1_3genE10ELNS1_11target_archE1200ELNS1_3gpuE4ELNS1_3repE0EEENS1_30default_config_static_selectorELNS0_4arch9wavefront6targetE0EEEvSK_.private_seg_size, 0
	.set _ZN7rocprim17ROCPRIM_400000_NS6detail17trampoline_kernelINS0_14default_configENS1_36segmented_radix_sort_config_selectorIilEEZNS1_25segmented_radix_sort_implIS3_Lb0EPKiPiPKlPlN2at6native12_GLOBAL__N_18offset_tEEE10hipError_tPvRmT1_PNSt15iterator_traitsISK_E10value_typeET2_T3_PNSL_ISQ_E10value_typeET4_jRbjT5_SW_jjP12ihipStream_tbEUlT_E2_NS1_11comp_targetILNS1_3genE10ELNS1_11target_archE1200ELNS1_3gpuE4ELNS1_3repE0EEENS1_30default_config_static_selectorELNS0_4arch9wavefront6targetE0EEEvSK_.uses_vcc, 0
	.set _ZN7rocprim17ROCPRIM_400000_NS6detail17trampoline_kernelINS0_14default_configENS1_36segmented_radix_sort_config_selectorIilEEZNS1_25segmented_radix_sort_implIS3_Lb0EPKiPiPKlPlN2at6native12_GLOBAL__N_18offset_tEEE10hipError_tPvRmT1_PNSt15iterator_traitsISK_E10value_typeET2_T3_PNSL_ISQ_E10value_typeET4_jRbjT5_SW_jjP12ihipStream_tbEUlT_E2_NS1_11comp_targetILNS1_3genE10ELNS1_11target_archE1200ELNS1_3gpuE4ELNS1_3repE0EEENS1_30default_config_static_selectorELNS0_4arch9wavefront6targetE0EEEvSK_.uses_flat_scratch, 0
	.set _ZN7rocprim17ROCPRIM_400000_NS6detail17trampoline_kernelINS0_14default_configENS1_36segmented_radix_sort_config_selectorIilEEZNS1_25segmented_radix_sort_implIS3_Lb0EPKiPiPKlPlN2at6native12_GLOBAL__N_18offset_tEEE10hipError_tPvRmT1_PNSt15iterator_traitsISK_E10value_typeET2_T3_PNSL_ISQ_E10value_typeET4_jRbjT5_SW_jjP12ihipStream_tbEUlT_E2_NS1_11comp_targetILNS1_3genE10ELNS1_11target_archE1200ELNS1_3gpuE4ELNS1_3repE0EEENS1_30default_config_static_selectorELNS0_4arch9wavefront6targetE0EEEvSK_.has_dyn_sized_stack, 0
	.set _ZN7rocprim17ROCPRIM_400000_NS6detail17trampoline_kernelINS0_14default_configENS1_36segmented_radix_sort_config_selectorIilEEZNS1_25segmented_radix_sort_implIS3_Lb0EPKiPiPKlPlN2at6native12_GLOBAL__N_18offset_tEEE10hipError_tPvRmT1_PNSt15iterator_traitsISK_E10value_typeET2_T3_PNSL_ISQ_E10value_typeET4_jRbjT5_SW_jjP12ihipStream_tbEUlT_E2_NS1_11comp_targetILNS1_3genE10ELNS1_11target_archE1200ELNS1_3gpuE4ELNS1_3repE0EEENS1_30default_config_static_selectorELNS0_4arch9wavefront6targetE0EEEvSK_.has_recursion, 0
	.set _ZN7rocprim17ROCPRIM_400000_NS6detail17trampoline_kernelINS0_14default_configENS1_36segmented_radix_sort_config_selectorIilEEZNS1_25segmented_radix_sort_implIS3_Lb0EPKiPiPKlPlN2at6native12_GLOBAL__N_18offset_tEEE10hipError_tPvRmT1_PNSt15iterator_traitsISK_E10value_typeET2_T3_PNSL_ISQ_E10value_typeET4_jRbjT5_SW_jjP12ihipStream_tbEUlT_E2_NS1_11comp_targetILNS1_3genE10ELNS1_11target_archE1200ELNS1_3gpuE4ELNS1_3repE0EEENS1_30default_config_static_selectorELNS0_4arch9wavefront6targetE0EEEvSK_.has_indirect_call, 0
	.section	.AMDGPU.csdata,"",@progbits
; Kernel info:
; codeLenInByte = 0
; TotalNumSgprs: 0
; NumVgprs: 0
; ScratchSize: 0
; MemoryBound: 0
; FloatMode: 240
; IeeeMode: 1
; LDSByteSize: 0 bytes/workgroup (compile time only)
; SGPRBlocks: 0
; VGPRBlocks: 0
; NumSGPRsForWavesPerEU: 1
; NumVGPRsForWavesPerEU: 1
; Occupancy: 16
; WaveLimiterHint : 0
; COMPUTE_PGM_RSRC2:SCRATCH_EN: 0
; COMPUTE_PGM_RSRC2:USER_SGPR: 2
; COMPUTE_PGM_RSRC2:TRAP_HANDLER: 0
; COMPUTE_PGM_RSRC2:TGID_X_EN: 1
; COMPUTE_PGM_RSRC2:TGID_Y_EN: 0
; COMPUTE_PGM_RSRC2:TGID_Z_EN: 0
; COMPUTE_PGM_RSRC2:TIDIG_COMP_CNT: 0
	.section	.text._ZN7rocprim17ROCPRIM_400000_NS6detail17trampoline_kernelINS0_14default_configENS1_36segmented_radix_sort_config_selectorIilEEZNS1_25segmented_radix_sort_implIS3_Lb0EPKiPiPKlPlN2at6native12_GLOBAL__N_18offset_tEEE10hipError_tPvRmT1_PNSt15iterator_traitsISK_E10value_typeET2_T3_PNSL_ISQ_E10value_typeET4_jRbjT5_SW_jjP12ihipStream_tbEUlT_E2_NS1_11comp_targetILNS1_3genE9ELNS1_11target_archE1100ELNS1_3gpuE3ELNS1_3repE0EEENS1_30default_config_static_selectorELNS0_4arch9wavefront6targetE0EEEvSK_,"axG",@progbits,_ZN7rocprim17ROCPRIM_400000_NS6detail17trampoline_kernelINS0_14default_configENS1_36segmented_radix_sort_config_selectorIilEEZNS1_25segmented_radix_sort_implIS3_Lb0EPKiPiPKlPlN2at6native12_GLOBAL__N_18offset_tEEE10hipError_tPvRmT1_PNSt15iterator_traitsISK_E10value_typeET2_T3_PNSL_ISQ_E10value_typeET4_jRbjT5_SW_jjP12ihipStream_tbEUlT_E2_NS1_11comp_targetILNS1_3genE9ELNS1_11target_archE1100ELNS1_3gpuE3ELNS1_3repE0EEENS1_30default_config_static_selectorELNS0_4arch9wavefront6targetE0EEEvSK_,comdat
	.globl	_ZN7rocprim17ROCPRIM_400000_NS6detail17trampoline_kernelINS0_14default_configENS1_36segmented_radix_sort_config_selectorIilEEZNS1_25segmented_radix_sort_implIS3_Lb0EPKiPiPKlPlN2at6native12_GLOBAL__N_18offset_tEEE10hipError_tPvRmT1_PNSt15iterator_traitsISK_E10value_typeET2_T3_PNSL_ISQ_E10value_typeET4_jRbjT5_SW_jjP12ihipStream_tbEUlT_E2_NS1_11comp_targetILNS1_3genE9ELNS1_11target_archE1100ELNS1_3gpuE3ELNS1_3repE0EEENS1_30default_config_static_selectorELNS0_4arch9wavefront6targetE0EEEvSK_ ; -- Begin function _ZN7rocprim17ROCPRIM_400000_NS6detail17trampoline_kernelINS0_14default_configENS1_36segmented_radix_sort_config_selectorIilEEZNS1_25segmented_radix_sort_implIS3_Lb0EPKiPiPKlPlN2at6native12_GLOBAL__N_18offset_tEEE10hipError_tPvRmT1_PNSt15iterator_traitsISK_E10value_typeET2_T3_PNSL_ISQ_E10value_typeET4_jRbjT5_SW_jjP12ihipStream_tbEUlT_E2_NS1_11comp_targetILNS1_3genE9ELNS1_11target_archE1100ELNS1_3gpuE3ELNS1_3repE0EEENS1_30default_config_static_selectorELNS0_4arch9wavefront6targetE0EEEvSK_
	.p2align	8
	.type	_ZN7rocprim17ROCPRIM_400000_NS6detail17trampoline_kernelINS0_14default_configENS1_36segmented_radix_sort_config_selectorIilEEZNS1_25segmented_radix_sort_implIS3_Lb0EPKiPiPKlPlN2at6native12_GLOBAL__N_18offset_tEEE10hipError_tPvRmT1_PNSt15iterator_traitsISK_E10value_typeET2_T3_PNSL_ISQ_E10value_typeET4_jRbjT5_SW_jjP12ihipStream_tbEUlT_E2_NS1_11comp_targetILNS1_3genE9ELNS1_11target_archE1100ELNS1_3gpuE3ELNS1_3repE0EEENS1_30default_config_static_selectorELNS0_4arch9wavefront6targetE0EEEvSK_,@function
_ZN7rocprim17ROCPRIM_400000_NS6detail17trampoline_kernelINS0_14default_configENS1_36segmented_radix_sort_config_selectorIilEEZNS1_25segmented_radix_sort_implIS3_Lb0EPKiPiPKlPlN2at6native12_GLOBAL__N_18offset_tEEE10hipError_tPvRmT1_PNSt15iterator_traitsISK_E10value_typeET2_T3_PNSL_ISQ_E10value_typeET4_jRbjT5_SW_jjP12ihipStream_tbEUlT_E2_NS1_11comp_targetILNS1_3genE9ELNS1_11target_archE1100ELNS1_3gpuE3ELNS1_3repE0EEENS1_30default_config_static_selectorELNS0_4arch9wavefront6targetE0EEEvSK_: ; @_ZN7rocprim17ROCPRIM_400000_NS6detail17trampoline_kernelINS0_14default_configENS1_36segmented_radix_sort_config_selectorIilEEZNS1_25segmented_radix_sort_implIS3_Lb0EPKiPiPKlPlN2at6native12_GLOBAL__N_18offset_tEEE10hipError_tPvRmT1_PNSt15iterator_traitsISK_E10value_typeET2_T3_PNSL_ISQ_E10value_typeET4_jRbjT5_SW_jjP12ihipStream_tbEUlT_E2_NS1_11comp_targetILNS1_3genE9ELNS1_11target_archE1100ELNS1_3gpuE3ELNS1_3repE0EEENS1_30default_config_static_selectorELNS0_4arch9wavefront6targetE0EEEvSK_
; %bb.0:
	.section	.rodata,"a",@progbits
	.p2align	6, 0x0
	.amdhsa_kernel _ZN7rocprim17ROCPRIM_400000_NS6detail17trampoline_kernelINS0_14default_configENS1_36segmented_radix_sort_config_selectorIilEEZNS1_25segmented_radix_sort_implIS3_Lb0EPKiPiPKlPlN2at6native12_GLOBAL__N_18offset_tEEE10hipError_tPvRmT1_PNSt15iterator_traitsISK_E10value_typeET2_T3_PNSL_ISQ_E10value_typeET4_jRbjT5_SW_jjP12ihipStream_tbEUlT_E2_NS1_11comp_targetILNS1_3genE9ELNS1_11target_archE1100ELNS1_3gpuE3ELNS1_3repE0EEENS1_30default_config_static_selectorELNS0_4arch9wavefront6targetE0EEEvSK_
		.amdhsa_group_segment_fixed_size 0
		.amdhsa_private_segment_fixed_size 0
		.amdhsa_kernarg_size 80
		.amdhsa_user_sgpr_count 2
		.amdhsa_user_sgpr_dispatch_ptr 0
		.amdhsa_user_sgpr_queue_ptr 0
		.amdhsa_user_sgpr_kernarg_segment_ptr 1
		.amdhsa_user_sgpr_dispatch_id 0
		.amdhsa_user_sgpr_private_segment_size 0
		.amdhsa_wavefront_size32 1
		.amdhsa_uses_dynamic_stack 0
		.amdhsa_enable_private_segment 0
		.amdhsa_system_sgpr_workgroup_id_x 1
		.amdhsa_system_sgpr_workgroup_id_y 0
		.amdhsa_system_sgpr_workgroup_id_z 0
		.amdhsa_system_sgpr_workgroup_info 0
		.amdhsa_system_vgpr_workitem_id 0
		.amdhsa_next_free_vgpr 1
		.amdhsa_next_free_sgpr 1
		.amdhsa_reserve_vcc 0
		.amdhsa_float_round_mode_32 0
		.amdhsa_float_round_mode_16_64 0
		.amdhsa_float_denorm_mode_32 3
		.amdhsa_float_denorm_mode_16_64 3
		.amdhsa_fp16_overflow 0
		.amdhsa_workgroup_processor_mode 1
		.amdhsa_memory_ordered 1
		.amdhsa_forward_progress 1
		.amdhsa_inst_pref_size 0
		.amdhsa_round_robin_scheduling 0
		.amdhsa_exception_fp_ieee_invalid_op 0
		.amdhsa_exception_fp_denorm_src 0
		.amdhsa_exception_fp_ieee_div_zero 0
		.amdhsa_exception_fp_ieee_overflow 0
		.amdhsa_exception_fp_ieee_underflow 0
		.amdhsa_exception_fp_ieee_inexact 0
		.amdhsa_exception_int_div_zero 0
	.end_amdhsa_kernel
	.section	.text._ZN7rocprim17ROCPRIM_400000_NS6detail17trampoline_kernelINS0_14default_configENS1_36segmented_radix_sort_config_selectorIilEEZNS1_25segmented_radix_sort_implIS3_Lb0EPKiPiPKlPlN2at6native12_GLOBAL__N_18offset_tEEE10hipError_tPvRmT1_PNSt15iterator_traitsISK_E10value_typeET2_T3_PNSL_ISQ_E10value_typeET4_jRbjT5_SW_jjP12ihipStream_tbEUlT_E2_NS1_11comp_targetILNS1_3genE9ELNS1_11target_archE1100ELNS1_3gpuE3ELNS1_3repE0EEENS1_30default_config_static_selectorELNS0_4arch9wavefront6targetE0EEEvSK_,"axG",@progbits,_ZN7rocprim17ROCPRIM_400000_NS6detail17trampoline_kernelINS0_14default_configENS1_36segmented_radix_sort_config_selectorIilEEZNS1_25segmented_radix_sort_implIS3_Lb0EPKiPiPKlPlN2at6native12_GLOBAL__N_18offset_tEEE10hipError_tPvRmT1_PNSt15iterator_traitsISK_E10value_typeET2_T3_PNSL_ISQ_E10value_typeET4_jRbjT5_SW_jjP12ihipStream_tbEUlT_E2_NS1_11comp_targetILNS1_3genE9ELNS1_11target_archE1100ELNS1_3gpuE3ELNS1_3repE0EEENS1_30default_config_static_selectorELNS0_4arch9wavefront6targetE0EEEvSK_,comdat
.Lfunc_end637:
	.size	_ZN7rocprim17ROCPRIM_400000_NS6detail17trampoline_kernelINS0_14default_configENS1_36segmented_radix_sort_config_selectorIilEEZNS1_25segmented_radix_sort_implIS3_Lb0EPKiPiPKlPlN2at6native12_GLOBAL__N_18offset_tEEE10hipError_tPvRmT1_PNSt15iterator_traitsISK_E10value_typeET2_T3_PNSL_ISQ_E10value_typeET4_jRbjT5_SW_jjP12ihipStream_tbEUlT_E2_NS1_11comp_targetILNS1_3genE9ELNS1_11target_archE1100ELNS1_3gpuE3ELNS1_3repE0EEENS1_30default_config_static_selectorELNS0_4arch9wavefront6targetE0EEEvSK_, .Lfunc_end637-_ZN7rocprim17ROCPRIM_400000_NS6detail17trampoline_kernelINS0_14default_configENS1_36segmented_radix_sort_config_selectorIilEEZNS1_25segmented_radix_sort_implIS3_Lb0EPKiPiPKlPlN2at6native12_GLOBAL__N_18offset_tEEE10hipError_tPvRmT1_PNSt15iterator_traitsISK_E10value_typeET2_T3_PNSL_ISQ_E10value_typeET4_jRbjT5_SW_jjP12ihipStream_tbEUlT_E2_NS1_11comp_targetILNS1_3genE9ELNS1_11target_archE1100ELNS1_3gpuE3ELNS1_3repE0EEENS1_30default_config_static_selectorELNS0_4arch9wavefront6targetE0EEEvSK_
                                        ; -- End function
	.set _ZN7rocprim17ROCPRIM_400000_NS6detail17trampoline_kernelINS0_14default_configENS1_36segmented_radix_sort_config_selectorIilEEZNS1_25segmented_radix_sort_implIS3_Lb0EPKiPiPKlPlN2at6native12_GLOBAL__N_18offset_tEEE10hipError_tPvRmT1_PNSt15iterator_traitsISK_E10value_typeET2_T3_PNSL_ISQ_E10value_typeET4_jRbjT5_SW_jjP12ihipStream_tbEUlT_E2_NS1_11comp_targetILNS1_3genE9ELNS1_11target_archE1100ELNS1_3gpuE3ELNS1_3repE0EEENS1_30default_config_static_selectorELNS0_4arch9wavefront6targetE0EEEvSK_.num_vgpr, 0
	.set _ZN7rocprim17ROCPRIM_400000_NS6detail17trampoline_kernelINS0_14default_configENS1_36segmented_radix_sort_config_selectorIilEEZNS1_25segmented_radix_sort_implIS3_Lb0EPKiPiPKlPlN2at6native12_GLOBAL__N_18offset_tEEE10hipError_tPvRmT1_PNSt15iterator_traitsISK_E10value_typeET2_T3_PNSL_ISQ_E10value_typeET4_jRbjT5_SW_jjP12ihipStream_tbEUlT_E2_NS1_11comp_targetILNS1_3genE9ELNS1_11target_archE1100ELNS1_3gpuE3ELNS1_3repE0EEENS1_30default_config_static_selectorELNS0_4arch9wavefront6targetE0EEEvSK_.num_agpr, 0
	.set _ZN7rocprim17ROCPRIM_400000_NS6detail17trampoline_kernelINS0_14default_configENS1_36segmented_radix_sort_config_selectorIilEEZNS1_25segmented_radix_sort_implIS3_Lb0EPKiPiPKlPlN2at6native12_GLOBAL__N_18offset_tEEE10hipError_tPvRmT1_PNSt15iterator_traitsISK_E10value_typeET2_T3_PNSL_ISQ_E10value_typeET4_jRbjT5_SW_jjP12ihipStream_tbEUlT_E2_NS1_11comp_targetILNS1_3genE9ELNS1_11target_archE1100ELNS1_3gpuE3ELNS1_3repE0EEENS1_30default_config_static_selectorELNS0_4arch9wavefront6targetE0EEEvSK_.numbered_sgpr, 0
	.set _ZN7rocprim17ROCPRIM_400000_NS6detail17trampoline_kernelINS0_14default_configENS1_36segmented_radix_sort_config_selectorIilEEZNS1_25segmented_radix_sort_implIS3_Lb0EPKiPiPKlPlN2at6native12_GLOBAL__N_18offset_tEEE10hipError_tPvRmT1_PNSt15iterator_traitsISK_E10value_typeET2_T3_PNSL_ISQ_E10value_typeET4_jRbjT5_SW_jjP12ihipStream_tbEUlT_E2_NS1_11comp_targetILNS1_3genE9ELNS1_11target_archE1100ELNS1_3gpuE3ELNS1_3repE0EEENS1_30default_config_static_selectorELNS0_4arch9wavefront6targetE0EEEvSK_.num_named_barrier, 0
	.set _ZN7rocprim17ROCPRIM_400000_NS6detail17trampoline_kernelINS0_14default_configENS1_36segmented_radix_sort_config_selectorIilEEZNS1_25segmented_radix_sort_implIS3_Lb0EPKiPiPKlPlN2at6native12_GLOBAL__N_18offset_tEEE10hipError_tPvRmT1_PNSt15iterator_traitsISK_E10value_typeET2_T3_PNSL_ISQ_E10value_typeET4_jRbjT5_SW_jjP12ihipStream_tbEUlT_E2_NS1_11comp_targetILNS1_3genE9ELNS1_11target_archE1100ELNS1_3gpuE3ELNS1_3repE0EEENS1_30default_config_static_selectorELNS0_4arch9wavefront6targetE0EEEvSK_.private_seg_size, 0
	.set _ZN7rocprim17ROCPRIM_400000_NS6detail17trampoline_kernelINS0_14default_configENS1_36segmented_radix_sort_config_selectorIilEEZNS1_25segmented_radix_sort_implIS3_Lb0EPKiPiPKlPlN2at6native12_GLOBAL__N_18offset_tEEE10hipError_tPvRmT1_PNSt15iterator_traitsISK_E10value_typeET2_T3_PNSL_ISQ_E10value_typeET4_jRbjT5_SW_jjP12ihipStream_tbEUlT_E2_NS1_11comp_targetILNS1_3genE9ELNS1_11target_archE1100ELNS1_3gpuE3ELNS1_3repE0EEENS1_30default_config_static_selectorELNS0_4arch9wavefront6targetE0EEEvSK_.uses_vcc, 0
	.set _ZN7rocprim17ROCPRIM_400000_NS6detail17trampoline_kernelINS0_14default_configENS1_36segmented_radix_sort_config_selectorIilEEZNS1_25segmented_radix_sort_implIS3_Lb0EPKiPiPKlPlN2at6native12_GLOBAL__N_18offset_tEEE10hipError_tPvRmT1_PNSt15iterator_traitsISK_E10value_typeET2_T3_PNSL_ISQ_E10value_typeET4_jRbjT5_SW_jjP12ihipStream_tbEUlT_E2_NS1_11comp_targetILNS1_3genE9ELNS1_11target_archE1100ELNS1_3gpuE3ELNS1_3repE0EEENS1_30default_config_static_selectorELNS0_4arch9wavefront6targetE0EEEvSK_.uses_flat_scratch, 0
	.set _ZN7rocprim17ROCPRIM_400000_NS6detail17trampoline_kernelINS0_14default_configENS1_36segmented_radix_sort_config_selectorIilEEZNS1_25segmented_radix_sort_implIS3_Lb0EPKiPiPKlPlN2at6native12_GLOBAL__N_18offset_tEEE10hipError_tPvRmT1_PNSt15iterator_traitsISK_E10value_typeET2_T3_PNSL_ISQ_E10value_typeET4_jRbjT5_SW_jjP12ihipStream_tbEUlT_E2_NS1_11comp_targetILNS1_3genE9ELNS1_11target_archE1100ELNS1_3gpuE3ELNS1_3repE0EEENS1_30default_config_static_selectorELNS0_4arch9wavefront6targetE0EEEvSK_.has_dyn_sized_stack, 0
	.set _ZN7rocprim17ROCPRIM_400000_NS6detail17trampoline_kernelINS0_14default_configENS1_36segmented_radix_sort_config_selectorIilEEZNS1_25segmented_radix_sort_implIS3_Lb0EPKiPiPKlPlN2at6native12_GLOBAL__N_18offset_tEEE10hipError_tPvRmT1_PNSt15iterator_traitsISK_E10value_typeET2_T3_PNSL_ISQ_E10value_typeET4_jRbjT5_SW_jjP12ihipStream_tbEUlT_E2_NS1_11comp_targetILNS1_3genE9ELNS1_11target_archE1100ELNS1_3gpuE3ELNS1_3repE0EEENS1_30default_config_static_selectorELNS0_4arch9wavefront6targetE0EEEvSK_.has_recursion, 0
	.set _ZN7rocprim17ROCPRIM_400000_NS6detail17trampoline_kernelINS0_14default_configENS1_36segmented_radix_sort_config_selectorIilEEZNS1_25segmented_radix_sort_implIS3_Lb0EPKiPiPKlPlN2at6native12_GLOBAL__N_18offset_tEEE10hipError_tPvRmT1_PNSt15iterator_traitsISK_E10value_typeET2_T3_PNSL_ISQ_E10value_typeET4_jRbjT5_SW_jjP12ihipStream_tbEUlT_E2_NS1_11comp_targetILNS1_3genE9ELNS1_11target_archE1100ELNS1_3gpuE3ELNS1_3repE0EEENS1_30default_config_static_selectorELNS0_4arch9wavefront6targetE0EEEvSK_.has_indirect_call, 0
	.section	.AMDGPU.csdata,"",@progbits
; Kernel info:
; codeLenInByte = 0
; TotalNumSgprs: 0
; NumVgprs: 0
; ScratchSize: 0
; MemoryBound: 0
; FloatMode: 240
; IeeeMode: 1
; LDSByteSize: 0 bytes/workgroup (compile time only)
; SGPRBlocks: 0
; VGPRBlocks: 0
; NumSGPRsForWavesPerEU: 1
; NumVGPRsForWavesPerEU: 1
; Occupancy: 16
; WaveLimiterHint : 0
; COMPUTE_PGM_RSRC2:SCRATCH_EN: 0
; COMPUTE_PGM_RSRC2:USER_SGPR: 2
; COMPUTE_PGM_RSRC2:TRAP_HANDLER: 0
; COMPUTE_PGM_RSRC2:TGID_X_EN: 1
; COMPUTE_PGM_RSRC2:TGID_Y_EN: 0
; COMPUTE_PGM_RSRC2:TGID_Z_EN: 0
; COMPUTE_PGM_RSRC2:TIDIG_COMP_CNT: 0
	.section	.text._ZN7rocprim17ROCPRIM_400000_NS6detail17trampoline_kernelINS0_14default_configENS1_36segmented_radix_sort_config_selectorIilEEZNS1_25segmented_radix_sort_implIS3_Lb0EPKiPiPKlPlN2at6native12_GLOBAL__N_18offset_tEEE10hipError_tPvRmT1_PNSt15iterator_traitsISK_E10value_typeET2_T3_PNSL_ISQ_E10value_typeET4_jRbjT5_SW_jjP12ihipStream_tbEUlT_E2_NS1_11comp_targetILNS1_3genE8ELNS1_11target_archE1030ELNS1_3gpuE2ELNS1_3repE0EEENS1_30default_config_static_selectorELNS0_4arch9wavefront6targetE0EEEvSK_,"axG",@progbits,_ZN7rocprim17ROCPRIM_400000_NS6detail17trampoline_kernelINS0_14default_configENS1_36segmented_radix_sort_config_selectorIilEEZNS1_25segmented_radix_sort_implIS3_Lb0EPKiPiPKlPlN2at6native12_GLOBAL__N_18offset_tEEE10hipError_tPvRmT1_PNSt15iterator_traitsISK_E10value_typeET2_T3_PNSL_ISQ_E10value_typeET4_jRbjT5_SW_jjP12ihipStream_tbEUlT_E2_NS1_11comp_targetILNS1_3genE8ELNS1_11target_archE1030ELNS1_3gpuE2ELNS1_3repE0EEENS1_30default_config_static_selectorELNS0_4arch9wavefront6targetE0EEEvSK_,comdat
	.globl	_ZN7rocprim17ROCPRIM_400000_NS6detail17trampoline_kernelINS0_14default_configENS1_36segmented_radix_sort_config_selectorIilEEZNS1_25segmented_radix_sort_implIS3_Lb0EPKiPiPKlPlN2at6native12_GLOBAL__N_18offset_tEEE10hipError_tPvRmT1_PNSt15iterator_traitsISK_E10value_typeET2_T3_PNSL_ISQ_E10value_typeET4_jRbjT5_SW_jjP12ihipStream_tbEUlT_E2_NS1_11comp_targetILNS1_3genE8ELNS1_11target_archE1030ELNS1_3gpuE2ELNS1_3repE0EEENS1_30default_config_static_selectorELNS0_4arch9wavefront6targetE0EEEvSK_ ; -- Begin function _ZN7rocprim17ROCPRIM_400000_NS6detail17trampoline_kernelINS0_14default_configENS1_36segmented_radix_sort_config_selectorIilEEZNS1_25segmented_radix_sort_implIS3_Lb0EPKiPiPKlPlN2at6native12_GLOBAL__N_18offset_tEEE10hipError_tPvRmT1_PNSt15iterator_traitsISK_E10value_typeET2_T3_PNSL_ISQ_E10value_typeET4_jRbjT5_SW_jjP12ihipStream_tbEUlT_E2_NS1_11comp_targetILNS1_3genE8ELNS1_11target_archE1030ELNS1_3gpuE2ELNS1_3repE0EEENS1_30default_config_static_selectorELNS0_4arch9wavefront6targetE0EEEvSK_
	.p2align	8
	.type	_ZN7rocprim17ROCPRIM_400000_NS6detail17trampoline_kernelINS0_14default_configENS1_36segmented_radix_sort_config_selectorIilEEZNS1_25segmented_radix_sort_implIS3_Lb0EPKiPiPKlPlN2at6native12_GLOBAL__N_18offset_tEEE10hipError_tPvRmT1_PNSt15iterator_traitsISK_E10value_typeET2_T3_PNSL_ISQ_E10value_typeET4_jRbjT5_SW_jjP12ihipStream_tbEUlT_E2_NS1_11comp_targetILNS1_3genE8ELNS1_11target_archE1030ELNS1_3gpuE2ELNS1_3repE0EEENS1_30default_config_static_selectorELNS0_4arch9wavefront6targetE0EEEvSK_,@function
_ZN7rocprim17ROCPRIM_400000_NS6detail17trampoline_kernelINS0_14default_configENS1_36segmented_radix_sort_config_selectorIilEEZNS1_25segmented_radix_sort_implIS3_Lb0EPKiPiPKlPlN2at6native12_GLOBAL__N_18offset_tEEE10hipError_tPvRmT1_PNSt15iterator_traitsISK_E10value_typeET2_T3_PNSL_ISQ_E10value_typeET4_jRbjT5_SW_jjP12ihipStream_tbEUlT_E2_NS1_11comp_targetILNS1_3genE8ELNS1_11target_archE1030ELNS1_3gpuE2ELNS1_3repE0EEENS1_30default_config_static_selectorELNS0_4arch9wavefront6targetE0EEEvSK_: ; @_ZN7rocprim17ROCPRIM_400000_NS6detail17trampoline_kernelINS0_14default_configENS1_36segmented_radix_sort_config_selectorIilEEZNS1_25segmented_radix_sort_implIS3_Lb0EPKiPiPKlPlN2at6native12_GLOBAL__N_18offset_tEEE10hipError_tPvRmT1_PNSt15iterator_traitsISK_E10value_typeET2_T3_PNSL_ISQ_E10value_typeET4_jRbjT5_SW_jjP12ihipStream_tbEUlT_E2_NS1_11comp_targetILNS1_3genE8ELNS1_11target_archE1030ELNS1_3gpuE2ELNS1_3repE0EEENS1_30default_config_static_selectorELNS0_4arch9wavefront6targetE0EEEvSK_
; %bb.0:
	.section	.rodata,"a",@progbits
	.p2align	6, 0x0
	.amdhsa_kernel _ZN7rocprim17ROCPRIM_400000_NS6detail17trampoline_kernelINS0_14default_configENS1_36segmented_radix_sort_config_selectorIilEEZNS1_25segmented_radix_sort_implIS3_Lb0EPKiPiPKlPlN2at6native12_GLOBAL__N_18offset_tEEE10hipError_tPvRmT1_PNSt15iterator_traitsISK_E10value_typeET2_T3_PNSL_ISQ_E10value_typeET4_jRbjT5_SW_jjP12ihipStream_tbEUlT_E2_NS1_11comp_targetILNS1_3genE8ELNS1_11target_archE1030ELNS1_3gpuE2ELNS1_3repE0EEENS1_30default_config_static_selectorELNS0_4arch9wavefront6targetE0EEEvSK_
		.amdhsa_group_segment_fixed_size 0
		.amdhsa_private_segment_fixed_size 0
		.amdhsa_kernarg_size 80
		.amdhsa_user_sgpr_count 2
		.amdhsa_user_sgpr_dispatch_ptr 0
		.amdhsa_user_sgpr_queue_ptr 0
		.amdhsa_user_sgpr_kernarg_segment_ptr 1
		.amdhsa_user_sgpr_dispatch_id 0
		.amdhsa_user_sgpr_private_segment_size 0
		.amdhsa_wavefront_size32 1
		.amdhsa_uses_dynamic_stack 0
		.amdhsa_enable_private_segment 0
		.amdhsa_system_sgpr_workgroup_id_x 1
		.amdhsa_system_sgpr_workgroup_id_y 0
		.amdhsa_system_sgpr_workgroup_id_z 0
		.amdhsa_system_sgpr_workgroup_info 0
		.amdhsa_system_vgpr_workitem_id 0
		.amdhsa_next_free_vgpr 1
		.amdhsa_next_free_sgpr 1
		.amdhsa_reserve_vcc 0
		.amdhsa_float_round_mode_32 0
		.amdhsa_float_round_mode_16_64 0
		.amdhsa_float_denorm_mode_32 3
		.amdhsa_float_denorm_mode_16_64 3
		.amdhsa_fp16_overflow 0
		.amdhsa_workgroup_processor_mode 1
		.amdhsa_memory_ordered 1
		.amdhsa_forward_progress 1
		.amdhsa_inst_pref_size 0
		.amdhsa_round_robin_scheduling 0
		.amdhsa_exception_fp_ieee_invalid_op 0
		.amdhsa_exception_fp_denorm_src 0
		.amdhsa_exception_fp_ieee_div_zero 0
		.amdhsa_exception_fp_ieee_overflow 0
		.amdhsa_exception_fp_ieee_underflow 0
		.amdhsa_exception_fp_ieee_inexact 0
		.amdhsa_exception_int_div_zero 0
	.end_amdhsa_kernel
	.section	.text._ZN7rocprim17ROCPRIM_400000_NS6detail17trampoline_kernelINS0_14default_configENS1_36segmented_radix_sort_config_selectorIilEEZNS1_25segmented_radix_sort_implIS3_Lb0EPKiPiPKlPlN2at6native12_GLOBAL__N_18offset_tEEE10hipError_tPvRmT1_PNSt15iterator_traitsISK_E10value_typeET2_T3_PNSL_ISQ_E10value_typeET4_jRbjT5_SW_jjP12ihipStream_tbEUlT_E2_NS1_11comp_targetILNS1_3genE8ELNS1_11target_archE1030ELNS1_3gpuE2ELNS1_3repE0EEENS1_30default_config_static_selectorELNS0_4arch9wavefront6targetE0EEEvSK_,"axG",@progbits,_ZN7rocprim17ROCPRIM_400000_NS6detail17trampoline_kernelINS0_14default_configENS1_36segmented_radix_sort_config_selectorIilEEZNS1_25segmented_radix_sort_implIS3_Lb0EPKiPiPKlPlN2at6native12_GLOBAL__N_18offset_tEEE10hipError_tPvRmT1_PNSt15iterator_traitsISK_E10value_typeET2_T3_PNSL_ISQ_E10value_typeET4_jRbjT5_SW_jjP12ihipStream_tbEUlT_E2_NS1_11comp_targetILNS1_3genE8ELNS1_11target_archE1030ELNS1_3gpuE2ELNS1_3repE0EEENS1_30default_config_static_selectorELNS0_4arch9wavefront6targetE0EEEvSK_,comdat
.Lfunc_end638:
	.size	_ZN7rocprim17ROCPRIM_400000_NS6detail17trampoline_kernelINS0_14default_configENS1_36segmented_radix_sort_config_selectorIilEEZNS1_25segmented_radix_sort_implIS3_Lb0EPKiPiPKlPlN2at6native12_GLOBAL__N_18offset_tEEE10hipError_tPvRmT1_PNSt15iterator_traitsISK_E10value_typeET2_T3_PNSL_ISQ_E10value_typeET4_jRbjT5_SW_jjP12ihipStream_tbEUlT_E2_NS1_11comp_targetILNS1_3genE8ELNS1_11target_archE1030ELNS1_3gpuE2ELNS1_3repE0EEENS1_30default_config_static_selectorELNS0_4arch9wavefront6targetE0EEEvSK_, .Lfunc_end638-_ZN7rocprim17ROCPRIM_400000_NS6detail17trampoline_kernelINS0_14default_configENS1_36segmented_radix_sort_config_selectorIilEEZNS1_25segmented_radix_sort_implIS3_Lb0EPKiPiPKlPlN2at6native12_GLOBAL__N_18offset_tEEE10hipError_tPvRmT1_PNSt15iterator_traitsISK_E10value_typeET2_T3_PNSL_ISQ_E10value_typeET4_jRbjT5_SW_jjP12ihipStream_tbEUlT_E2_NS1_11comp_targetILNS1_3genE8ELNS1_11target_archE1030ELNS1_3gpuE2ELNS1_3repE0EEENS1_30default_config_static_selectorELNS0_4arch9wavefront6targetE0EEEvSK_
                                        ; -- End function
	.set _ZN7rocprim17ROCPRIM_400000_NS6detail17trampoline_kernelINS0_14default_configENS1_36segmented_radix_sort_config_selectorIilEEZNS1_25segmented_radix_sort_implIS3_Lb0EPKiPiPKlPlN2at6native12_GLOBAL__N_18offset_tEEE10hipError_tPvRmT1_PNSt15iterator_traitsISK_E10value_typeET2_T3_PNSL_ISQ_E10value_typeET4_jRbjT5_SW_jjP12ihipStream_tbEUlT_E2_NS1_11comp_targetILNS1_3genE8ELNS1_11target_archE1030ELNS1_3gpuE2ELNS1_3repE0EEENS1_30default_config_static_selectorELNS0_4arch9wavefront6targetE0EEEvSK_.num_vgpr, 0
	.set _ZN7rocprim17ROCPRIM_400000_NS6detail17trampoline_kernelINS0_14default_configENS1_36segmented_radix_sort_config_selectorIilEEZNS1_25segmented_radix_sort_implIS3_Lb0EPKiPiPKlPlN2at6native12_GLOBAL__N_18offset_tEEE10hipError_tPvRmT1_PNSt15iterator_traitsISK_E10value_typeET2_T3_PNSL_ISQ_E10value_typeET4_jRbjT5_SW_jjP12ihipStream_tbEUlT_E2_NS1_11comp_targetILNS1_3genE8ELNS1_11target_archE1030ELNS1_3gpuE2ELNS1_3repE0EEENS1_30default_config_static_selectorELNS0_4arch9wavefront6targetE0EEEvSK_.num_agpr, 0
	.set _ZN7rocprim17ROCPRIM_400000_NS6detail17trampoline_kernelINS0_14default_configENS1_36segmented_radix_sort_config_selectorIilEEZNS1_25segmented_radix_sort_implIS3_Lb0EPKiPiPKlPlN2at6native12_GLOBAL__N_18offset_tEEE10hipError_tPvRmT1_PNSt15iterator_traitsISK_E10value_typeET2_T3_PNSL_ISQ_E10value_typeET4_jRbjT5_SW_jjP12ihipStream_tbEUlT_E2_NS1_11comp_targetILNS1_3genE8ELNS1_11target_archE1030ELNS1_3gpuE2ELNS1_3repE0EEENS1_30default_config_static_selectorELNS0_4arch9wavefront6targetE0EEEvSK_.numbered_sgpr, 0
	.set _ZN7rocprim17ROCPRIM_400000_NS6detail17trampoline_kernelINS0_14default_configENS1_36segmented_radix_sort_config_selectorIilEEZNS1_25segmented_radix_sort_implIS3_Lb0EPKiPiPKlPlN2at6native12_GLOBAL__N_18offset_tEEE10hipError_tPvRmT1_PNSt15iterator_traitsISK_E10value_typeET2_T3_PNSL_ISQ_E10value_typeET4_jRbjT5_SW_jjP12ihipStream_tbEUlT_E2_NS1_11comp_targetILNS1_3genE8ELNS1_11target_archE1030ELNS1_3gpuE2ELNS1_3repE0EEENS1_30default_config_static_selectorELNS0_4arch9wavefront6targetE0EEEvSK_.num_named_barrier, 0
	.set _ZN7rocprim17ROCPRIM_400000_NS6detail17trampoline_kernelINS0_14default_configENS1_36segmented_radix_sort_config_selectorIilEEZNS1_25segmented_radix_sort_implIS3_Lb0EPKiPiPKlPlN2at6native12_GLOBAL__N_18offset_tEEE10hipError_tPvRmT1_PNSt15iterator_traitsISK_E10value_typeET2_T3_PNSL_ISQ_E10value_typeET4_jRbjT5_SW_jjP12ihipStream_tbEUlT_E2_NS1_11comp_targetILNS1_3genE8ELNS1_11target_archE1030ELNS1_3gpuE2ELNS1_3repE0EEENS1_30default_config_static_selectorELNS0_4arch9wavefront6targetE0EEEvSK_.private_seg_size, 0
	.set _ZN7rocprim17ROCPRIM_400000_NS6detail17trampoline_kernelINS0_14default_configENS1_36segmented_radix_sort_config_selectorIilEEZNS1_25segmented_radix_sort_implIS3_Lb0EPKiPiPKlPlN2at6native12_GLOBAL__N_18offset_tEEE10hipError_tPvRmT1_PNSt15iterator_traitsISK_E10value_typeET2_T3_PNSL_ISQ_E10value_typeET4_jRbjT5_SW_jjP12ihipStream_tbEUlT_E2_NS1_11comp_targetILNS1_3genE8ELNS1_11target_archE1030ELNS1_3gpuE2ELNS1_3repE0EEENS1_30default_config_static_selectorELNS0_4arch9wavefront6targetE0EEEvSK_.uses_vcc, 0
	.set _ZN7rocprim17ROCPRIM_400000_NS6detail17trampoline_kernelINS0_14default_configENS1_36segmented_radix_sort_config_selectorIilEEZNS1_25segmented_radix_sort_implIS3_Lb0EPKiPiPKlPlN2at6native12_GLOBAL__N_18offset_tEEE10hipError_tPvRmT1_PNSt15iterator_traitsISK_E10value_typeET2_T3_PNSL_ISQ_E10value_typeET4_jRbjT5_SW_jjP12ihipStream_tbEUlT_E2_NS1_11comp_targetILNS1_3genE8ELNS1_11target_archE1030ELNS1_3gpuE2ELNS1_3repE0EEENS1_30default_config_static_selectorELNS0_4arch9wavefront6targetE0EEEvSK_.uses_flat_scratch, 0
	.set _ZN7rocprim17ROCPRIM_400000_NS6detail17trampoline_kernelINS0_14default_configENS1_36segmented_radix_sort_config_selectorIilEEZNS1_25segmented_radix_sort_implIS3_Lb0EPKiPiPKlPlN2at6native12_GLOBAL__N_18offset_tEEE10hipError_tPvRmT1_PNSt15iterator_traitsISK_E10value_typeET2_T3_PNSL_ISQ_E10value_typeET4_jRbjT5_SW_jjP12ihipStream_tbEUlT_E2_NS1_11comp_targetILNS1_3genE8ELNS1_11target_archE1030ELNS1_3gpuE2ELNS1_3repE0EEENS1_30default_config_static_selectorELNS0_4arch9wavefront6targetE0EEEvSK_.has_dyn_sized_stack, 0
	.set _ZN7rocprim17ROCPRIM_400000_NS6detail17trampoline_kernelINS0_14default_configENS1_36segmented_radix_sort_config_selectorIilEEZNS1_25segmented_radix_sort_implIS3_Lb0EPKiPiPKlPlN2at6native12_GLOBAL__N_18offset_tEEE10hipError_tPvRmT1_PNSt15iterator_traitsISK_E10value_typeET2_T3_PNSL_ISQ_E10value_typeET4_jRbjT5_SW_jjP12ihipStream_tbEUlT_E2_NS1_11comp_targetILNS1_3genE8ELNS1_11target_archE1030ELNS1_3gpuE2ELNS1_3repE0EEENS1_30default_config_static_selectorELNS0_4arch9wavefront6targetE0EEEvSK_.has_recursion, 0
	.set _ZN7rocprim17ROCPRIM_400000_NS6detail17trampoline_kernelINS0_14default_configENS1_36segmented_radix_sort_config_selectorIilEEZNS1_25segmented_radix_sort_implIS3_Lb0EPKiPiPKlPlN2at6native12_GLOBAL__N_18offset_tEEE10hipError_tPvRmT1_PNSt15iterator_traitsISK_E10value_typeET2_T3_PNSL_ISQ_E10value_typeET4_jRbjT5_SW_jjP12ihipStream_tbEUlT_E2_NS1_11comp_targetILNS1_3genE8ELNS1_11target_archE1030ELNS1_3gpuE2ELNS1_3repE0EEENS1_30default_config_static_selectorELNS0_4arch9wavefront6targetE0EEEvSK_.has_indirect_call, 0
	.section	.AMDGPU.csdata,"",@progbits
; Kernel info:
; codeLenInByte = 0
; TotalNumSgprs: 0
; NumVgprs: 0
; ScratchSize: 0
; MemoryBound: 0
; FloatMode: 240
; IeeeMode: 1
; LDSByteSize: 0 bytes/workgroup (compile time only)
; SGPRBlocks: 0
; VGPRBlocks: 0
; NumSGPRsForWavesPerEU: 1
; NumVGPRsForWavesPerEU: 1
; Occupancy: 16
; WaveLimiterHint : 0
; COMPUTE_PGM_RSRC2:SCRATCH_EN: 0
; COMPUTE_PGM_RSRC2:USER_SGPR: 2
; COMPUTE_PGM_RSRC2:TRAP_HANDLER: 0
; COMPUTE_PGM_RSRC2:TGID_X_EN: 1
; COMPUTE_PGM_RSRC2:TGID_Y_EN: 0
; COMPUTE_PGM_RSRC2:TGID_Z_EN: 0
; COMPUTE_PGM_RSRC2:TIDIG_COMP_CNT: 0
	.section	.text._ZN2at6native12_GLOBAL__N_123sort_postprocess_kernelIlEEvPKT_PS3_PlPK15HIP_vector_typeIiLj2EEii,"axG",@progbits,_ZN2at6native12_GLOBAL__N_123sort_postprocess_kernelIlEEvPKT_PS3_PlPK15HIP_vector_typeIiLj2EEii,comdat
	.globl	_ZN2at6native12_GLOBAL__N_123sort_postprocess_kernelIlEEvPKT_PS3_PlPK15HIP_vector_typeIiLj2EEii ; -- Begin function _ZN2at6native12_GLOBAL__N_123sort_postprocess_kernelIlEEvPKT_PS3_PlPK15HIP_vector_typeIiLj2EEii
	.p2align	8
	.type	_ZN2at6native12_GLOBAL__N_123sort_postprocess_kernelIlEEvPKT_PS3_PlPK15HIP_vector_typeIiLj2EEii,@function
_ZN2at6native12_GLOBAL__N_123sort_postprocess_kernelIlEEvPKT_PS3_PlPK15HIP_vector_typeIiLj2EEii: ; @_ZN2at6native12_GLOBAL__N_123sort_postprocess_kernelIlEEvPKT_PS3_PlPK15HIP_vector_typeIiLj2EEii
; %bb.0:
	s_clause 0x1
	s_load_b32 s6, s[0:1], 0x34
	s_load_b64 s[4:5], s[0:1], 0x20
	s_mov_b32 s3, 0
	s_mov_b32 s2, ttmp9
	s_mov_b32 s17, s3
	s_wait_kmcnt 0x0
	s_and_b32 s16, s6, 0xffff
	s_mul_i32 s14, s5, s4
	s_mul_u64 s[12:13], s[16:17], s[2:3]
	s_ashr_i32 s15, s14, 31
	v_add_co_u32 v1, s2, s12, v0
	s_delay_alu instid0(VALU_DEP_1) | instskip(NEXT) | instid1(VALU_DEP_1)
	v_add_co_ci_u32_e64 v2, null, s13, 0, s2
	v_cmp_gt_i64_e32 vcc_lo, s[14:15], v[1:2]
	v_mov_b32_e32 v1, 0
	s_and_saveexec_b32 s2, vcc_lo
	s_cbranch_execz .LBB639_3
; %bb.1:
	s_abs_i32 s2, s5
	s_wait_alu 0xfffe
	s_cvt_f32_u32 s4, s2
	s_delay_alu instid0(SALU_CYCLE_3) | instskip(SKIP_4) | instid1(TRANS32_DEP_1)
	v_rcp_iflag_f32_e32 v2, s4
	s_add_nc_u64 s[4:5], s[0:1], 40
	s_load_b32 s17, s[4:5], 0x0
	s_load_b256 s[4:11], s[0:1], 0x0
	s_sub_co_i32 s1, 0, s2
	v_readfirstlane_b32 s0, v2
	s_mul_f32 s0, s0, 0x4f7ffffe
	s_delay_alu instid0(SALU_CYCLE_3) | instskip(NEXT) | instid1(SALU_CYCLE_3)
	s_cvt_u32_f32 s0, s0
	s_mul_i32 s1, s1, s0
	s_delay_alu instid0(SALU_CYCLE_1)
	s_mul_hi_u32 s18, s0, s1
	s_wait_kmcnt 0x0
	s_mul_i32 s1, s17, s16
	s_add_co_i32 s17, s0, s18
	s_mul_i32 s16, ttmp9, s16
.LBB639_2:                              ; =>This Inner Loop Header: Depth=1
	s_delay_alu instid0(SALU_CYCLE_1) | instskip(NEXT) | instid1(VALU_DEP_1)
	v_add_nc_u32_e32 v2, s16, v0
	v_sub_nc_u32_e32 v3, 0, v2
	v_ashrrev_i32_e32 v5, 31, v2
	s_delay_alu instid0(VALU_DEP_2) | instskip(NEXT) | instid1(VALU_DEP_1)
	v_max_i32_e32 v3, v2, v3
	v_mul_hi_u32 v4, v3, s17
	s_delay_alu instid0(VALU_DEP_1) | instskip(NEXT) | instid1(VALU_DEP_1)
	v_mul_lo_u32 v4, v4, s2
	v_sub_nc_u32_e32 v3, v3, v4
	s_delay_alu instid0(VALU_DEP_1) | instskip(SKIP_2) | instid1(VALU_DEP_2)
	v_subrev_nc_u32_e32 v4, s2, v3
	v_cmp_le_u32_e32 vcc_lo, s2, v3
	s_wait_alu 0xfffd
	v_dual_cndmask_b32 v3, v3, v4 :: v_dual_add_nc_u32 v2, v2, v5
	s_delay_alu instid0(VALU_DEP_1) | instskip(SKIP_2) | instid1(VALU_DEP_2)
	v_subrev_nc_u32_e32 v4, s2, v3
	v_cmp_le_u32_e32 vcc_lo, s2, v3
	s_wait_alu 0xfffd
	v_cndmask_b32_e32 v3, v3, v4, vcc_lo
	s_delay_alu instid0(VALU_DEP_1) | instskip(NEXT) | instid1(VALU_DEP_1)
	v_xor_b32_e32 v3, v3, v5
	v_sub_nc_u32_e32 v2, v2, v3
	v_sub_nc_u32_e32 v4, v3, v5
	s_delay_alu instid0(VALU_DEP_2) | instskip(NEXT) | instid1(VALU_DEP_2)
	v_ashrrev_i32_e32 v3, 31, v2
	v_ashrrev_i32_e32 v5, 31, v4
	s_delay_alu instid0(VALU_DEP_2) | instskip(NEXT) | instid1(VALU_DEP_2)
	v_lshlrev_b64_e32 v[2:3], 3, v[2:3]
	v_lshlrev_b64_e32 v[4:5], 3, v[4:5]
	s_delay_alu instid0(VALU_DEP_2) | instskip(SKIP_1) | instid1(VALU_DEP_3)
	v_add_co_u32 v6, vcc_lo, s10, v2
	s_wait_alu 0xfffd
	v_add_co_ci_u32_e64 v7, null, s11, v3, vcc_lo
	s_delay_alu instid0(VALU_DEP_2) | instskip(SKIP_1) | instid1(VALU_DEP_2)
	v_add_co_u32 v6, vcc_lo, v6, v4
	s_wait_alu 0xfffd
	v_add_co_ci_u32_e64 v7, null, v7, v5, vcc_lo
	v_add_co_u32 v12, vcc_lo, s4, v2
	s_wait_alu 0xfffd
	v_add_co_ci_u32_e64 v13, null, s5, v3, vcc_lo
	global_load_b32 v6, v[6:7], off offset:4
	v_add_co_u32 v8, vcc_lo, s8, v2
	s_wait_alu 0xfffd
	v_add_co_ci_u32_e64 v9, null, s9, v3, vcc_lo
	s_delay_alu instid0(VALU_DEP_2) | instskip(SKIP_1) | instid1(VALU_DEP_2)
	v_add_co_u32 v8, vcc_lo, v8, v4
	s_wait_alu 0xfffd
	v_add_co_ci_u32_e64 v9, null, v9, v5, vcc_lo
	s_wait_loadcnt 0x0
	v_ashrrev_i32_e32 v7, 31, v6
	s_delay_alu instid0(VALU_DEP_1)
	v_lshlrev_b64_e32 v[10:11], 3, v[6:7]
	global_store_b64 v[8:9], v[6:7], off
	v_add_co_u32 v10, vcc_lo, v12, v10
	s_wait_alu 0xfffd
	v_add_co_ci_u32_e64 v11, null, v13, v11, vcc_lo
	v_add_co_u32 v0, vcc_lo, v0, s1
	s_wait_alu 0xfffd
	v_add_co_ci_u32_e64 v1, null, 0, v1, vcc_lo
	global_load_b64 v[6:7], v[10:11], off
	v_add_co_u32 v8, vcc_lo, s12, v0
	s_wait_alu 0xfffd
	v_add_co_ci_u32_e64 v9, null, s13, v1, vcc_lo
	v_add_co_u32 v2, vcc_lo, s6, v2
	s_wait_alu 0xfffd
	v_add_co_ci_u32_e64 v3, null, s7, v3, vcc_lo
	s_delay_alu instid0(VALU_DEP_3) | instskip(NEXT) | instid1(VALU_DEP_3)
	v_cmp_le_i64_e32 vcc_lo, s[14:15], v[8:9]
	v_add_co_u32 v2, s0, v2, v4
	s_wait_alu 0xf1ff
	s_delay_alu instid0(VALU_DEP_3)
	v_add_co_ci_u32_e64 v3, null, v3, v5, s0
	s_or_b32 s3, vcc_lo, s3
	s_wait_loadcnt 0x0
	global_store_b64 v[2:3], v[6:7], off
	s_wait_alu 0xfffe
	s_and_not1_b32 exec_lo, exec_lo, s3
	s_cbranch_execnz .LBB639_2
.LBB639_3:
	s_endpgm
	.section	.rodata,"a",@progbits
	.p2align	6, 0x0
	.amdhsa_kernel _ZN2at6native12_GLOBAL__N_123sort_postprocess_kernelIlEEvPKT_PS3_PlPK15HIP_vector_typeIiLj2EEii
		.amdhsa_group_segment_fixed_size 0
		.amdhsa_private_segment_fixed_size 0
		.amdhsa_kernarg_size 296
		.amdhsa_user_sgpr_count 2
		.amdhsa_user_sgpr_dispatch_ptr 0
		.amdhsa_user_sgpr_queue_ptr 0
		.amdhsa_user_sgpr_kernarg_segment_ptr 1
		.amdhsa_user_sgpr_dispatch_id 0
		.amdhsa_user_sgpr_private_segment_size 0
		.amdhsa_wavefront_size32 1
		.amdhsa_uses_dynamic_stack 0
		.amdhsa_enable_private_segment 0
		.amdhsa_system_sgpr_workgroup_id_x 1
		.amdhsa_system_sgpr_workgroup_id_y 0
		.amdhsa_system_sgpr_workgroup_id_z 0
		.amdhsa_system_sgpr_workgroup_info 0
		.amdhsa_system_vgpr_workitem_id 0
		.amdhsa_next_free_vgpr 14
		.amdhsa_next_free_sgpr 19
		.amdhsa_reserve_vcc 1
		.amdhsa_float_round_mode_32 0
		.amdhsa_float_round_mode_16_64 0
		.amdhsa_float_denorm_mode_32 3
		.amdhsa_float_denorm_mode_16_64 3
		.amdhsa_fp16_overflow 0
		.amdhsa_workgroup_processor_mode 1
		.amdhsa_memory_ordered 1
		.amdhsa_forward_progress 1
		.amdhsa_inst_pref_size 5
		.amdhsa_round_robin_scheduling 0
		.amdhsa_exception_fp_ieee_invalid_op 0
		.amdhsa_exception_fp_denorm_src 0
		.amdhsa_exception_fp_ieee_div_zero 0
		.amdhsa_exception_fp_ieee_overflow 0
		.amdhsa_exception_fp_ieee_underflow 0
		.amdhsa_exception_fp_ieee_inexact 0
		.amdhsa_exception_int_div_zero 0
	.end_amdhsa_kernel
	.section	.text._ZN2at6native12_GLOBAL__N_123sort_postprocess_kernelIlEEvPKT_PS3_PlPK15HIP_vector_typeIiLj2EEii,"axG",@progbits,_ZN2at6native12_GLOBAL__N_123sort_postprocess_kernelIlEEvPKT_PS3_PlPK15HIP_vector_typeIiLj2EEii,comdat
.Lfunc_end639:
	.size	_ZN2at6native12_GLOBAL__N_123sort_postprocess_kernelIlEEvPKT_PS3_PlPK15HIP_vector_typeIiLj2EEii, .Lfunc_end639-_ZN2at6native12_GLOBAL__N_123sort_postprocess_kernelIlEEvPKT_PS3_PlPK15HIP_vector_typeIiLj2EEii
                                        ; -- End function
	.set _ZN2at6native12_GLOBAL__N_123sort_postprocess_kernelIlEEvPKT_PS3_PlPK15HIP_vector_typeIiLj2EEii.num_vgpr, 14
	.set _ZN2at6native12_GLOBAL__N_123sort_postprocess_kernelIlEEvPKT_PS3_PlPK15HIP_vector_typeIiLj2EEii.num_agpr, 0
	.set _ZN2at6native12_GLOBAL__N_123sort_postprocess_kernelIlEEvPKT_PS3_PlPK15HIP_vector_typeIiLj2EEii.numbered_sgpr, 19
	.set _ZN2at6native12_GLOBAL__N_123sort_postprocess_kernelIlEEvPKT_PS3_PlPK15HIP_vector_typeIiLj2EEii.num_named_barrier, 0
	.set _ZN2at6native12_GLOBAL__N_123sort_postprocess_kernelIlEEvPKT_PS3_PlPK15HIP_vector_typeIiLj2EEii.private_seg_size, 0
	.set _ZN2at6native12_GLOBAL__N_123sort_postprocess_kernelIlEEvPKT_PS3_PlPK15HIP_vector_typeIiLj2EEii.uses_vcc, 1
	.set _ZN2at6native12_GLOBAL__N_123sort_postprocess_kernelIlEEvPKT_PS3_PlPK15HIP_vector_typeIiLj2EEii.uses_flat_scratch, 0
	.set _ZN2at6native12_GLOBAL__N_123sort_postprocess_kernelIlEEvPKT_PS3_PlPK15HIP_vector_typeIiLj2EEii.has_dyn_sized_stack, 0
	.set _ZN2at6native12_GLOBAL__N_123sort_postprocess_kernelIlEEvPKT_PS3_PlPK15HIP_vector_typeIiLj2EEii.has_recursion, 0
	.set _ZN2at6native12_GLOBAL__N_123sort_postprocess_kernelIlEEvPKT_PS3_PlPK15HIP_vector_typeIiLj2EEii.has_indirect_call, 0
	.section	.AMDGPU.csdata,"",@progbits
; Kernel info:
; codeLenInByte = 628
; TotalNumSgprs: 21
; NumVgprs: 14
; ScratchSize: 0
; MemoryBound: 0
; FloatMode: 240
; IeeeMode: 1
; LDSByteSize: 0 bytes/workgroup (compile time only)
; SGPRBlocks: 0
; VGPRBlocks: 1
; NumSGPRsForWavesPerEU: 21
; NumVGPRsForWavesPerEU: 14
; Occupancy: 16
; WaveLimiterHint : 1
; COMPUTE_PGM_RSRC2:SCRATCH_EN: 0
; COMPUTE_PGM_RSRC2:USER_SGPR: 2
; COMPUTE_PGM_RSRC2:TRAP_HANDLER: 0
; COMPUTE_PGM_RSRC2:TGID_X_EN: 1
; COMPUTE_PGM_RSRC2:TGID_Y_EN: 0
; COMPUTE_PGM_RSRC2:TGID_Z_EN: 0
; COMPUTE_PGM_RSRC2:TIDIG_COMP_CNT: 0
	.section	.text._ZN7rocprim17ROCPRIM_400000_NS6detail17trampoline_kernelINS0_13select_configILj256ELj13ELNS0_17block_load_methodE3ELS4_3ELS4_3ELNS0_20block_scan_algorithmE0ELj4294967295EEENS1_25partition_config_selectorILNS1_17partition_subalgoE4EjNS0_10empty_typeEbEEZZNS1_14partition_implILS8_4ELb0ES6_15HIP_vector_typeIjLj2EENS0_17counting_iteratorIjlEEPS9_SG_NS0_5tupleIJPjSI_NS0_16reverse_iteratorISI_EEEEENSH_IJSG_SG_SG_EEES9_SI_JZNS1_25segmented_radix_sort_implINS0_14default_configELb1EPKlPlSQ_SR_N2at6native12_GLOBAL__N_18offset_tEEE10hipError_tPvRmT1_PNSt15iterator_traitsISZ_E10value_typeET2_T3_PNS10_IS15_E10value_typeET4_jRbjT5_S1B_jjP12ihipStream_tbEUljE_ZNSN_ISO_Lb1ESQ_SR_SQ_SR_SV_EESW_SX_SY_SZ_S13_S14_S15_S18_S19_jS1A_jS1B_S1B_jjS1D_bEUljE0_EEESW_SX_SY_S15_S19_S1B_T6_T7_T9_mT8_S1D_bDpT10_ENKUlT_T0_E_clISt17integral_constantIbLb0EES1R_EEDaS1M_S1N_EUlS1M_E_NS1_11comp_targetILNS1_3genE0ELNS1_11target_archE4294967295ELNS1_3gpuE0ELNS1_3repE0EEENS1_30default_config_static_selectorELNS0_4arch9wavefront6targetE0EEEvSZ_,"axG",@progbits,_ZN7rocprim17ROCPRIM_400000_NS6detail17trampoline_kernelINS0_13select_configILj256ELj13ELNS0_17block_load_methodE3ELS4_3ELS4_3ELNS0_20block_scan_algorithmE0ELj4294967295EEENS1_25partition_config_selectorILNS1_17partition_subalgoE4EjNS0_10empty_typeEbEEZZNS1_14partition_implILS8_4ELb0ES6_15HIP_vector_typeIjLj2EENS0_17counting_iteratorIjlEEPS9_SG_NS0_5tupleIJPjSI_NS0_16reverse_iteratorISI_EEEEENSH_IJSG_SG_SG_EEES9_SI_JZNS1_25segmented_radix_sort_implINS0_14default_configELb1EPKlPlSQ_SR_N2at6native12_GLOBAL__N_18offset_tEEE10hipError_tPvRmT1_PNSt15iterator_traitsISZ_E10value_typeET2_T3_PNS10_IS15_E10value_typeET4_jRbjT5_S1B_jjP12ihipStream_tbEUljE_ZNSN_ISO_Lb1ESQ_SR_SQ_SR_SV_EESW_SX_SY_SZ_S13_S14_S15_S18_S19_jS1A_jS1B_S1B_jjS1D_bEUljE0_EEESW_SX_SY_S15_S19_S1B_T6_T7_T9_mT8_S1D_bDpT10_ENKUlT_T0_E_clISt17integral_constantIbLb0EES1R_EEDaS1M_S1N_EUlS1M_E_NS1_11comp_targetILNS1_3genE0ELNS1_11target_archE4294967295ELNS1_3gpuE0ELNS1_3repE0EEENS1_30default_config_static_selectorELNS0_4arch9wavefront6targetE0EEEvSZ_,comdat
	.globl	_ZN7rocprim17ROCPRIM_400000_NS6detail17trampoline_kernelINS0_13select_configILj256ELj13ELNS0_17block_load_methodE3ELS4_3ELS4_3ELNS0_20block_scan_algorithmE0ELj4294967295EEENS1_25partition_config_selectorILNS1_17partition_subalgoE4EjNS0_10empty_typeEbEEZZNS1_14partition_implILS8_4ELb0ES6_15HIP_vector_typeIjLj2EENS0_17counting_iteratorIjlEEPS9_SG_NS0_5tupleIJPjSI_NS0_16reverse_iteratorISI_EEEEENSH_IJSG_SG_SG_EEES9_SI_JZNS1_25segmented_radix_sort_implINS0_14default_configELb1EPKlPlSQ_SR_N2at6native12_GLOBAL__N_18offset_tEEE10hipError_tPvRmT1_PNSt15iterator_traitsISZ_E10value_typeET2_T3_PNS10_IS15_E10value_typeET4_jRbjT5_S1B_jjP12ihipStream_tbEUljE_ZNSN_ISO_Lb1ESQ_SR_SQ_SR_SV_EESW_SX_SY_SZ_S13_S14_S15_S18_S19_jS1A_jS1B_S1B_jjS1D_bEUljE0_EEESW_SX_SY_S15_S19_S1B_T6_T7_T9_mT8_S1D_bDpT10_ENKUlT_T0_E_clISt17integral_constantIbLb0EES1R_EEDaS1M_S1N_EUlS1M_E_NS1_11comp_targetILNS1_3genE0ELNS1_11target_archE4294967295ELNS1_3gpuE0ELNS1_3repE0EEENS1_30default_config_static_selectorELNS0_4arch9wavefront6targetE0EEEvSZ_ ; -- Begin function _ZN7rocprim17ROCPRIM_400000_NS6detail17trampoline_kernelINS0_13select_configILj256ELj13ELNS0_17block_load_methodE3ELS4_3ELS4_3ELNS0_20block_scan_algorithmE0ELj4294967295EEENS1_25partition_config_selectorILNS1_17partition_subalgoE4EjNS0_10empty_typeEbEEZZNS1_14partition_implILS8_4ELb0ES6_15HIP_vector_typeIjLj2EENS0_17counting_iteratorIjlEEPS9_SG_NS0_5tupleIJPjSI_NS0_16reverse_iteratorISI_EEEEENSH_IJSG_SG_SG_EEES9_SI_JZNS1_25segmented_radix_sort_implINS0_14default_configELb1EPKlPlSQ_SR_N2at6native12_GLOBAL__N_18offset_tEEE10hipError_tPvRmT1_PNSt15iterator_traitsISZ_E10value_typeET2_T3_PNS10_IS15_E10value_typeET4_jRbjT5_S1B_jjP12ihipStream_tbEUljE_ZNSN_ISO_Lb1ESQ_SR_SQ_SR_SV_EESW_SX_SY_SZ_S13_S14_S15_S18_S19_jS1A_jS1B_S1B_jjS1D_bEUljE0_EEESW_SX_SY_S15_S19_S1B_T6_T7_T9_mT8_S1D_bDpT10_ENKUlT_T0_E_clISt17integral_constantIbLb0EES1R_EEDaS1M_S1N_EUlS1M_E_NS1_11comp_targetILNS1_3genE0ELNS1_11target_archE4294967295ELNS1_3gpuE0ELNS1_3repE0EEENS1_30default_config_static_selectorELNS0_4arch9wavefront6targetE0EEEvSZ_
	.p2align	8
	.type	_ZN7rocprim17ROCPRIM_400000_NS6detail17trampoline_kernelINS0_13select_configILj256ELj13ELNS0_17block_load_methodE3ELS4_3ELS4_3ELNS0_20block_scan_algorithmE0ELj4294967295EEENS1_25partition_config_selectorILNS1_17partition_subalgoE4EjNS0_10empty_typeEbEEZZNS1_14partition_implILS8_4ELb0ES6_15HIP_vector_typeIjLj2EENS0_17counting_iteratorIjlEEPS9_SG_NS0_5tupleIJPjSI_NS0_16reverse_iteratorISI_EEEEENSH_IJSG_SG_SG_EEES9_SI_JZNS1_25segmented_radix_sort_implINS0_14default_configELb1EPKlPlSQ_SR_N2at6native12_GLOBAL__N_18offset_tEEE10hipError_tPvRmT1_PNSt15iterator_traitsISZ_E10value_typeET2_T3_PNS10_IS15_E10value_typeET4_jRbjT5_S1B_jjP12ihipStream_tbEUljE_ZNSN_ISO_Lb1ESQ_SR_SQ_SR_SV_EESW_SX_SY_SZ_S13_S14_S15_S18_S19_jS1A_jS1B_S1B_jjS1D_bEUljE0_EEESW_SX_SY_S15_S19_S1B_T6_T7_T9_mT8_S1D_bDpT10_ENKUlT_T0_E_clISt17integral_constantIbLb0EES1R_EEDaS1M_S1N_EUlS1M_E_NS1_11comp_targetILNS1_3genE0ELNS1_11target_archE4294967295ELNS1_3gpuE0ELNS1_3repE0EEENS1_30default_config_static_selectorELNS0_4arch9wavefront6targetE0EEEvSZ_,@function
_ZN7rocprim17ROCPRIM_400000_NS6detail17trampoline_kernelINS0_13select_configILj256ELj13ELNS0_17block_load_methodE3ELS4_3ELS4_3ELNS0_20block_scan_algorithmE0ELj4294967295EEENS1_25partition_config_selectorILNS1_17partition_subalgoE4EjNS0_10empty_typeEbEEZZNS1_14partition_implILS8_4ELb0ES6_15HIP_vector_typeIjLj2EENS0_17counting_iteratorIjlEEPS9_SG_NS0_5tupleIJPjSI_NS0_16reverse_iteratorISI_EEEEENSH_IJSG_SG_SG_EEES9_SI_JZNS1_25segmented_radix_sort_implINS0_14default_configELb1EPKlPlSQ_SR_N2at6native12_GLOBAL__N_18offset_tEEE10hipError_tPvRmT1_PNSt15iterator_traitsISZ_E10value_typeET2_T3_PNS10_IS15_E10value_typeET4_jRbjT5_S1B_jjP12ihipStream_tbEUljE_ZNSN_ISO_Lb1ESQ_SR_SQ_SR_SV_EESW_SX_SY_SZ_S13_S14_S15_S18_S19_jS1A_jS1B_S1B_jjS1D_bEUljE0_EEESW_SX_SY_S15_S19_S1B_T6_T7_T9_mT8_S1D_bDpT10_ENKUlT_T0_E_clISt17integral_constantIbLb0EES1R_EEDaS1M_S1N_EUlS1M_E_NS1_11comp_targetILNS1_3genE0ELNS1_11target_archE4294967295ELNS1_3gpuE0ELNS1_3repE0EEENS1_30default_config_static_selectorELNS0_4arch9wavefront6targetE0EEEvSZ_: ; @_ZN7rocprim17ROCPRIM_400000_NS6detail17trampoline_kernelINS0_13select_configILj256ELj13ELNS0_17block_load_methodE3ELS4_3ELS4_3ELNS0_20block_scan_algorithmE0ELj4294967295EEENS1_25partition_config_selectorILNS1_17partition_subalgoE4EjNS0_10empty_typeEbEEZZNS1_14partition_implILS8_4ELb0ES6_15HIP_vector_typeIjLj2EENS0_17counting_iteratorIjlEEPS9_SG_NS0_5tupleIJPjSI_NS0_16reverse_iteratorISI_EEEEENSH_IJSG_SG_SG_EEES9_SI_JZNS1_25segmented_radix_sort_implINS0_14default_configELb1EPKlPlSQ_SR_N2at6native12_GLOBAL__N_18offset_tEEE10hipError_tPvRmT1_PNSt15iterator_traitsISZ_E10value_typeET2_T3_PNS10_IS15_E10value_typeET4_jRbjT5_S1B_jjP12ihipStream_tbEUljE_ZNSN_ISO_Lb1ESQ_SR_SQ_SR_SV_EESW_SX_SY_SZ_S13_S14_S15_S18_S19_jS1A_jS1B_S1B_jjS1D_bEUljE0_EEESW_SX_SY_S15_S19_S1B_T6_T7_T9_mT8_S1D_bDpT10_ENKUlT_T0_E_clISt17integral_constantIbLb0EES1R_EEDaS1M_S1N_EUlS1M_E_NS1_11comp_targetILNS1_3genE0ELNS1_11target_archE4294967295ELNS1_3gpuE0ELNS1_3repE0EEENS1_30default_config_static_selectorELNS0_4arch9wavefront6targetE0EEEvSZ_
; %bb.0:
	.section	.rodata,"a",@progbits
	.p2align	6, 0x0
	.amdhsa_kernel _ZN7rocprim17ROCPRIM_400000_NS6detail17trampoline_kernelINS0_13select_configILj256ELj13ELNS0_17block_load_methodE3ELS4_3ELS4_3ELNS0_20block_scan_algorithmE0ELj4294967295EEENS1_25partition_config_selectorILNS1_17partition_subalgoE4EjNS0_10empty_typeEbEEZZNS1_14partition_implILS8_4ELb0ES6_15HIP_vector_typeIjLj2EENS0_17counting_iteratorIjlEEPS9_SG_NS0_5tupleIJPjSI_NS0_16reverse_iteratorISI_EEEEENSH_IJSG_SG_SG_EEES9_SI_JZNS1_25segmented_radix_sort_implINS0_14default_configELb1EPKlPlSQ_SR_N2at6native12_GLOBAL__N_18offset_tEEE10hipError_tPvRmT1_PNSt15iterator_traitsISZ_E10value_typeET2_T3_PNS10_IS15_E10value_typeET4_jRbjT5_S1B_jjP12ihipStream_tbEUljE_ZNSN_ISO_Lb1ESQ_SR_SQ_SR_SV_EESW_SX_SY_SZ_S13_S14_S15_S18_S19_jS1A_jS1B_S1B_jjS1D_bEUljE0_EEESW_SX_SY_S15_S19_S1B_T6_T7_T9_mT8_S1D_bDpT10_ENKUlT_T0_E_clISt17integral_constantIbLb0EES1R_EEDaS1M_S1N_EUlS1M_E_NS1_11comp_targetILNS1_3genE0ELNS1_11target_archE4294967295ELNS1_3gpuE0ELNS1_3repE0EEENS1_30default_config_static_selectorELNS0_4arch9wavefront6targetE0EEEvSZ_
		.amdhsa_group_segment_fixed_size 0
		.amdhsa_private_segment_fixed_size 0
		.amdhsa_kernarg_size 176
		.amdhsa_user_sgpr_count 2
		.amdhsa_user_sgpr_dispatch_ptr 0
		.amdhsa_user_sgpr_queue_ptr 0
		.amdhsa_user_sgpr_kernarg_segment_ptr 1
		.amdhsa_user_sgpr_dispatch_id 0
		.amdhsa_user_sgpr_private_segment_size 0
		.amdhsa_wavefront_size32 1
		.amdhsa_uses_dynamic_stack 0
		.amdhsa_enable_private_segment 0
		.amdhsa_system_sgpr_workgroup_id_x 1
		.amdhsa_system_sgpr_workgroup_id_y 0
		.amdhsa_system_sgpr_workgroup_id_z 0
		.amdhsa_system_sgpr_workgroup_info 0
		.amdhsa_system_vgpr_workitem_id 0
		.amdhsa_next_free_vgpr 1
		.amdhsa_next_free_sgpr 1
		.amdhsa_reserve_vcc 0
		.amdhsa_float_round_mode_32 0
		.amdhsa_float_round_mode_16_64 0
		.amdhsa_float_denorm_mode_32 3
		.amdhsa_float_denorm_mode_16_64 3
		.amdhsa_fp16_overflow 0
		.amdhsa_workgroup_processor_mode 1
		.amdhsa_memory_ordered 1
		.amdhsa_forward_progress 1
		.amdhsa_inst_pref_size 0
		.amdhsa_round_robin_scheduling 0
		.amdhsa_exception_fp_ieee_invalid_op 0
		.amdhsa_exception_fp_denorm_src 0
		.amdhsa_exception_fp_ieee_div_zero 0
		.amdhsa_exception_fp_ieee_overflow 0
		.amdhsa_exception_fp_ieee_underflow 0
		.amdhsa_exception_fp_ieee_inexact 0
		.amdhsa_exception_int_div_zero 0
	.end_amdhsa_kernel
	.section	.text._ZN7rocprim17ROCPRIM_400000_NS6detail17trampoline_kernelINS0_13select_configILj256ELj13ELNS0_17block_load_methodE3ELS4_3ELS4_3ELNS0_20block_scan_algorithmE0ELj4294967295EEENS1_25partition_config_selectorILNS1_17partition_subalgoE4EjNS0_10empty_typeEbEEZZNS1_14partition_implILS8_4ELb0ES6_15HIP_vector_typeIjLj2EENS0_17counting_iteratorIjlEEPS9_SG_NS0_5tupleIJPjSI_NS0_16reverse_iteratorISI_EEEEENSH_IJSG_SG_SG_EEES9_SI_JZNS1_25segmented_radix_sort_implINS0_14default_configELb1EPKlPlSQ_SR_N2at6native12_GLOBAL__N_18offset_tEEE10hipError_tPvRmT1_PNSt15iterator_traitsISZ_E10value_typeET2_T3_PNS10_IS15_E10value_typeET4_jRbjT5_S1B_jjP12ihipStream_tbEUljE_ZNSN_ISO_Lb1ESQ_SR_SQ_SR_SV_EESW_SX_SY_SZ_S13_S14_S15_S18_S19_jS1A_jS1B_S1B_jjS1D_bEUljE0_EEESW_SX_SY_S15_S19_S1B_T6_T7_T9_mT8_S1D_bDpT10_ENKUlT_T0_E_clISt17integral_constantIbLb0EES1R_EEDaS1M_S1N_EUlS1M_E_NS1_11comp_targetILNS1_3genE0ELNS1_11target_archE4294967295ELNS1_3gpuE0ELNS1_3repE0EEENS1_30default_config_static_selectorELNS0_4arch9wavefront6targetE0EEEvSZ_,"axG",@progbits,_ZN7rocprim17ROCPRIM_400000_NS6detail17trampoline_kernelINS0_13select_configILj256ELj13ELNS0_17block_load_methodE3ELS4_3ELS4_3ELNS0_20block_scan_algorithmE0ELj4294967295EEENS1_25partition_config_selectorILNS1_17partition_subalgoE4EjNS0_10empty_typeEbEEZZNS1_14partition_implILS8_4ELb0ES6_15HIP_vector_typeIjLj2EENS0_17counting_iteratorIjlEEPS9_SG_NS0_5tupleIJPjSI_NS0_16reverse_iteratorISI_EEEEENSH_IJSG_SG_SG_EEES9_SI_JZNS1_25segmented_radix_sort_implINS0_14default_configELb1EPKlPlSQ_SR_N2at6native12_GLOBAL__N_18offset_tEEE10hipError_tPvRmT1_PNSt15iterator_traitsISZ_E10value_typeET2_T3_PNS10_IS15_E10value_typeET4_jRbjT5_S1B_jjP12ihipStream_tbEUljE_ZNSN_ISO_Lb1ESQ_SR_SQ_SR_SV_EESW_SX_SY_SZ_S13_S14_S15_S18_S19_jS1A_jS1B_S1B_jjS1D_bEUljE0_EEESW_SX_SY_S15_S19_S1B_T6_T7_T9_mT8_S1D_bDpT10_ENKUlT_T0_E_clISt17integral_constantIbLb0EES1R_EEDaS1M_S1N_EUlS1M_E_NS1_11comp_targetILNS1_3genE0ELNS1_11target_archE4294967295ELNS1_3gpuE0ELNS1_3repE0EEENS1_30default_config_static_selectorELNS0_4arch9wavefront6targetE0EEEvSZ_,comdat
.Lfunc_end640:
	.size	_ZN7rocprim17ROCPRIM_400000_NS6detail17trampoline_kernelINS0_13select_configILj256ELj13ELNS0_17block_load_methodE3ELS4_3ELS4_3ELNS0_20block_scan_algorithmE0ELj4294967295EEENS1_25partition_config_selectorILNS1_17partition_subalgoE4EjNS0_10empty_typeEbEEZZNS1_14partition_implILS8_4ELb0ES6_15HIP_vector_typeIjLj2EENS0_17counting_iteratorIjlEEPS9_SG_NS0_5tupleIJPjSI_NS0_16reverse_iteratorISI_EEEEENSH_IJSG_SG_SG_EEES9_SI_JZNS1_25segmented_radix_sort_implINS0_14default_configELb1EPKlPlSQ_SR_N2at6native12_GLOBAL__N_18offset_tEEE10hipError_tPvRmT1_PNSt15iterator_traitsISZ_E10value_typeET2_T3_PNS10_IS15_E10value_typeET4_jRbjT5_S1B_jjP12ihipStream_tbEUljE_ZNSN_ISO_Lb1ESQ_SR_SQ_SR_SV_EESW_SX_SY_SZ_S13_S14_S15_S18_S19_jS1A_jS1B_S1B_jjS1D_bEUljE0_EEESW_SX_SY_S15_S19_S1B_T6_T7_T9_mT8_S1D_bDpT10_ENKUlT_T0_E_clISt17integral_constantIbLb0EES1R_EEDaS1M_S1N_EUlS1M_E_NS1_11comp_targetILNS1_3genE0ELNS1_11target_archE4294967295ELNS1_3gpuE0ELNS1_3repE0EEENS1_30default_config_static_selectorELNS0_4arch9wavefront6targetE0EEEvSZ_, .Lfunc_end640-_ZN7rocprim17ROCPRIM_400000_NS6detail17trampoline_kernelINS0_13select_configILj256ELj13ELNS0_17block_load_methodE3ELS4_3ELS4_3ELNS0_20block_scan_algorithmE0ELj4294967295EEENS1_25partition_config_selectorILNS1_17partition_subalgoE4EjNS0_10empty_typeEbEEZZNS1_14partition_implILS8_4ELb0ES6_15HIP_vector_typeIjLj2EENS0_17counting_iteratorIjlEEPS9_SG_NS0_5tupleIJPjSI_NS0_16reverse_iteratorISI_EEEEENSH_IJSG_SG_SG_EEES9_SI_JZNS1_25segmented_radix_sort_implINS0_14default_configELb1EPKlPlSQ_SR_N2at6native12_GLOBAL__N_18offset_tEEE10hipError_tPvRmT1_PNSt15iterator_traitsISZ_E10value_typeET2_T3_PNS10_IS15_E10value_typeET4_jRbjT5_S1B_jjP12ihipStream_tbEUljE_ZNSN_ISO_Lb1ESQ_SR_SQ_SR_SV_EESW_SX_SY_SZ_S13_S14_S15_S18_S19_jS1A_jS1B_S1B_jjS1D_bEUljE0_EEESW_SX_SY_S15_S19_S1B_T6_T7_T9_mT8_S1D_bDpT10_ENKUlT_T0_E_clISt17integral_constantIbLb0EES1R_EEDaS1M_S1N_EUlS1M_E_NS1_11comp_targetILNS1_3genE0ELNS1_11target_archE4294967295ELNS1_3gpuE0ELNS1_3repE0EEENS1_30default_config_static_selectorELNS0_4arch9wavefront6targetE0EEEvSZ_
                                        ; -- End function
	.set _ZN7rocprim17ROCPRIM_400000_NS6detail17trampoline_kernelINS0_13select_configILj256ELj13ELNS0_17block_load_methodE3ELS4_3ELS4_3ELNS0_20block_scan_algorithmE0ELj4294967295EEENS1_25partition_config_selectorILNS1_17partition_subalgoE4EjNS0_10empty_typeEbEEZZNS1_14partition_implILS8_4ELb0ES6_15HIP_vector_typeIjLj2EENS0_17counting_iteratorIjlEEPS9_SG_NS0_5tupleIJPjSI_NS0_16reverse_iteratorISI_EEEEENSH_IJSG_SG_SG_EEES9_SI_JZNS1_25segmented_radix_sort_implINS0_14default_configELb1EPKlPlSQ_SR_N2at6native12_GLOBAL__N_18offset_tEEE10hipError_tPvRmT1_PNSt15iterator_traitsISZ_E10value_typeET2_T3_PNS10_IS15_E10value_typeET4_jRbjT5_S1B_jjP12ihipStream_tbEUljE_ZNSN_ISO_Lb1ESQ_SR_SQ_SR_SV_EESW_SX_SY_SZ_S13_S14_S15_S18_S19_jS1A_jS1B_S1B_jjS1D_bEUljE0_EEESW_SX_SY_S15_S19_S1B_T6_T7_T9_mT8_S1D_bDpT10_ENKUlT_T0_E_clISt17integral_constantIbLb0EES1R_EEDaS1M_S1N_EUlS1M_E_NS1_11comp_targetILNS1_3genE0ELNS1_11target_archE4294967295ELNS1_3gpuE0ELNS1_3repE0EEENS1_30default_config_static_selectorELNS0_4arch9wavefront6targetE0EEEvSZ_.num_vgpr, 0
	.set _ZN7rocprim17ROCPRIM_400000_NS6detail17trampoline_kernelINS0_13select_configILj256ELj13ELNS0_17block_load_methodE3ELS4_3ELS4_3ELNS0_20block_scan_algorithmE0ELj4294967295EEENS1_25partition_config_selectorILNS1_17partition_subalgoE4EjNS0_10empty_typeEbEEZZNS1_14partition_implILS8_4ELb0ES6_15HIP_vector_typeIjLj2EENS0_17counting_iteratorIjlEEPS9_SG_NS0_5tupleIJPjSI_NS0_16reverse_iteratorISI_EEEEENSH_IJSG_SG_SG_EEES9_SI_JZNS1_25segmented_radix_sort_implINS0_14default_configELb1EPKlPlSQ_SR_N2at6native12_GLOBAL__N_18offset_tEEE10hipError_tPvRmT1_PNSt15iterator_traitsISZ_E10value_typeET2_T3_PNS10_IS15_E10value_typeET4_jRbjT5_S1B_jjP12ihipStream_tbEUljE_ZNSN_ISO_Lb1ESQ_SR_SQ_SR_SV_EESW_SX_SY_SZ_S13_S14_S15_S18_S19_jS1A_jS1B_S1B_jjS1D_bEUljE0_EEESW_SX_SY_S15_S19_S1B_T6_T7_T9_mT8_S1D_bDpT10_ENKUlT_T0_E_clISt17integral_constantIbLb0EES1R_EEDaS1M_S1N_EUlS1M_E_NS1_11comp_targetILNS1_3genE0ELNS1_11target_archE4294967295ELNS1_3gpuE0ELNS1_3repE0EEENS1_30default_config_static_selectorELNS0_4arch9wavefront6targetE0EEEvSZ_.num_agpr, 0
	.set _ZN7rocprim17ROCPRIM_400000_NS6detail17trampoline_kernelINS0_13select_configILj256ELj13ELNS0_17block_load_methodE3ELS4_3ELS4_3ELNS0_20block_scan_algorithmE0ELj4294967295EEENS1_25partition_config_selectorILNS1_17partition_subalgoE4EjNS0_10empty_typeEbEEZZNS1_14partition_implILS8_4ELb0ES6_15HIP_vector_typeIjLj2EENS0_17counting_iteratorIjlEEPS9_SG_NS0_5tupleIJPjSI_NS0_16reverse_iteratorISI_EEEEENSH_IJSG_SG_SG_EEES9_SI_JZNS1_25segmented_radix_sort_implINS0_14default_configELb1EPKlPlSQ_SR_N2at6native12_GLOBAL__N_18offset_tEEE10hipError_tPvRmT1_PNSt15iterator_traitsISZ_E10value_typeET2_T3_PNS10_IS15_E10value_typeET4_jRbjT5_S1B_jjP12ihipStream_tbEUljE_ZNSN_ISO_Lb1ESQ_SR_SQ_SR_SV_EESW_SX_SY_SZ_S13_S14_S15_S18_S19_jS1A_jS1B_S1B_jjS1D_bEUljE0_EEESW_SX_SY_S15_S19_S1B_T6_T7_T9_mT8_S1D_bDpT10_ENKUlT_T0_E_clISt17integral_constantIbLb0EES1R_EEDaS1M_S1N_EUlS1M_E_NS1_11comp_targetILNS1_3genE0ELNS1_11target_archE4294967295ELNS1_3gpuE0ELNS1_3repE0EEENS1_30default_config_static_selectorELNS0_4arch9wavefront6targetE0EEEvSZ_.numbered_sgpr, 0
	.set _ZN7rocprim17ROCPRIM_400000_NS6detail17trampoline_kernelINS0_13select_configILj256ELj13ELNS0_17block_load_methodE3ELS4_3ELS4_3ELNS0_20block_scan_algorithmE0ELj4294967295EEENS1_25partition_config_selectorILNS1_17partition_subalgoE4EjNS0_10empty_typeEbEEZZNS1_14partition_implILS8_4ELb0ES6_15HIP_vector_typeIjLj2EENS0_17counting_iteratorIjlEEPS9_SG_NS0_5tupleIJPjSI_NS0_16reverse_iteratorISI_EEEEENSH_IJSG_SG_SG_EEES9_SI_JZNS1_25segmented_radix_sort_implINS0_14default_configELb1EPKlPlSQ_SR_N2at6native12_GLOBAL__N_18offset_tEEE10hipError_tPvRmT1_PNSt15iterator_traitsISZ_E10value_typeET2_T3_PNS10_IS15_E10value_typeET4_jRbjT5_S1B_jjP12ihipStream_tbEUljE_ZNSN_ISO_Lb1ESQ_SR_SQ_SR_SV_EESW_SX_SY_SZ_S13_S14_S15_S18_S19_jS1A_jS1B_S1B_jjS1D_bEUljE0_EEESW_SX_SY_S15_S19_S1B_T6_T7_T9_mT8_S1D_bDpT10_ENKUlT_T0_E_clISt17integral_constantIbLb0EES1R_EEDaS1M_S1N_EUlS1M_E_NS1_11comp_targetILNS1_3genE0ELNS1_11target_archE4294967295ELNS1_3gpuE0ELNS1_3repE0EEENS1_30default_config_static_selectorELNS0_4arch9wavefront6targetE0EEEvSZ_.num_named_barrier, 0
	.set _ZN7rocprim17ROCPRIM_400000_NS6detail17trampoline_kernelINS0_13select_configILj256ELj13ELNS0_17block_load_methodE3ELS4_3ELS4_3ELNS0_20block_scan_algorithmE0ELj4294967295EEENS1_25partition_config_selectorILNS1_17partition_subalgoE4EjNS0_10empty_typeEbEEZZNS1_14partition_implILS8_4ELb0ES6_15HIP_vector_typeIjLj2EENS0_17counting_iteratorIjlEEPS9_SG_NS0_5tupleIJPjSI_NS0_16reverse_iteratorISI_EEEEENSH_IJSG_SG_SG_EEES9_SI_JZNS1_25segmented_radix_sort_implINS0_14default_configELb1EPKlPlSQ_SR_N2at6native12_GLOBAL__N_18offset_tEEE10hipError_tPvRmT1_PNSt15iterator_traitsISZ_E10value_typeET2_T3_PNS10_IS15_E10value_typeET4_jRbjT5_S1B_jjP12ihipStream_tbEUljE_ZNSN_ISO_Lb1ESQ_SR_SQ_SR_SV_EESW_SX_SY_SZ_S13_S14_S15_S18_S19_jS1A_jS1B_S1B_jjS1D_bEUljE0_EEESW_SX_SY_S15_S19_S1B_T6_T7_T9_mT8_S1D_bDpT10_ENKUlT_T0_E_clISt17integral_constantIbLb0EES1R_EEDaS1M_S1N_EUlS1M_E_NS1_11comp_targetILNS1_3genE0ELNS1_11target_archE4294967295ELNS1_3gpuE0ELNS1_3repE0EEENS1_30default_config_static_selectorELNS0_4arch9wavefront6targetE0EEEvSZ_.private_seg_size, 0
	.set _ZN7rocprim17ROCPRIM_400000_NS6detail17trampoline_kernelINS0_13select_configILj256ELj13ELNS0_17block_load_methodE3ELS4_3ELS4_3ELNS0_20block_scan_algorithmE0ELj4294967295EEENS1_25partition_config_selectorILNS1_17partition_subalgoE4EjNS0_10empty_typeEbEEZZNS1_14partition_implILS8_4ELb0ES6_15HIP_vector_typeIjLj2EENS0_17counting_iteratorIjlEEPS9_SG_NS0_5tupleIJPjSI_NS0_16reverse_iteratorISI_EEEEENSH_IJSG_SG_SG_EEES9_SI_JZNS1_25segmented_radix_sort_implINS0_14default_configELb1EPKlPlSQ_SR_N2at6native12_GLOBAL__N_18offset_tEEE10hipError_tPvRmT1_PNSt15iterator_traitsISZ_E10value_typeET2_T3_PNS10_IS15_E10value_typeET4_jRbjT5_S1B_jjP12ihipStream_tbEUljE_ZNSN_ISO_Lb1ESQ_SR_SQ_SR_SV_EESW_SX_SY_SZ_S13_S14_S15_S18_S19_jS1A_jS1B_S1B_jjS1D_bEUljE0_EEESW_SX_SY_S15_S19_S1B_T6_T7_T9_mT8_S1D_bDpT10_ENKUlT_T0_E_clISt17integral_constantIbLb0EES1R_EEDaS1M_S1N_EUlS1M_E_NS1_11comp_targetILNS1_3genE0ELNS1_11target_archE4294967295ELNS1_3gpuE0ELNS1_3repE0EEENS1_30default_config_static_selectorELNS0_4arch9wavefront6targetE0EEEvSZ_.uses_vcc, 0
	.set _ZN7rocprim17ROCPRIM_400000_NS6detail17trampoline_kernelINS0_13select_configILj256ELj13ELNS0_17block_load_methodE3ELS4_3ELS4_3ELNS0_20block_scan_algorithmE0ELj4294967295EEENS1_25partition_config_selectorILNS1_17partition_subalgoE4EjNS0_10empty_typeEbEEZZNS1_14partition_implILS8_4ELb0ES6_15HIP_vector_typeIjLj2EENS0_17counting_iteratorIjlEEPS9_SG_NS0_5tupleIJPjSI_NS0_16reverse_iteratorISI_EEEEENSH_IJSG_SG_SG_EEES9_SI_JZNS1_25segmented_radix_sort_implINS0_14default_configELb1EPKlPlSQ_SR_N2at6native12_GLOBAL__N_18offset_tEEE10hipError_tPvRmT1_PNSt15iterator_traitsISZ_E10value_typeET2_T3_PNS10_IS15_E10value_typeET4_jRbjT5_S1B_jjP12ihipStream_tbEUljE_ZNSN_ISO_Lb1ESQ_SR_SQ_SR_SV_EESW_SX_SY_SZ_S13_S14_S15_S18_S19_jS1A_jS1B_S1B_jjS1D_bEUljE0_EEESW_SX_SY_S15_S19_S1B_T6_T7_T9_mT8_S1D_bDpT10_ENKUlT_T0_E_clISt17integral_constantIbLb0EES1R_EEDaS1M_S1N_EUlS1M_E_NS1_11comp_targetILNS1_3genE0ELNS1_11target_archE4294967295ELNS1_3gpuE0ELNS1_3repE0EEENS1_30default_config_static_selectorELNS0_4arch9wavefront6targetE0EEEvSZ_.uses_flat_scratch, 0
	.set _ZN7rocprim17ROCPRIM_400000_NS6detail17trampoline_kernelINS0_13select_configILj256ELj13ELNS0_17block_load_methodE3ELS4_3ELS4_3ELNS0_20block_scan_algorithmE0ELj4294967295EEENS1_25partition_config_selectorILNS1_17partition_subalgoE4EjNS0_10empty_typeEbEEZZNS1_14partition_implILS8_4ELb0ES6_15HIP_vector_typeIjLj2EENS0_17counting_iteratorIjlEEPS9_SG_NS0_5tupleIJPjSI_NS0_16reverse_iteratorISI_EEEEENSH_IJSG_SG_SG_EEES9_SI_JZNS1_25segmented_radix_sort_implINS0_14default_configELb1EPKlPlSQ_SR_N2at6native12_GLOBAL__N_18offset_tEEE10hipError_tPvRmT1_PNSt15iterator_traitsISZ_E10value_typeET2_T3_PNS10_IS15_E10value_typeET4_jRbjT5_S1B_jjP12ihipStream_tbEUljE_ZNSN_ISO_Lb1ESQ_SR_SQ_SR_SV_EESW_SX_SY_SZ_S13_S14_S15_S18_S19_jS1A_jS1B_S1B_jjS1D_bEUljE0_EEESW_SX_SY_S15_S19_S1B_T6_T7_T9_mT8_S1D_bDpT10_ENKUlT_T0_E_clISt17integral_constantIbLb0EES1R_EEDaS1M_S1N_EUlS1M_E_NS1_11comp_targetILNS1_3genE0ELNS1_11target_archE4294967295ELNS1_3gpuE0ELNS1_3repE0EEENS1_30default_config_static_selectorELNS0_4arch9wavefront6targetE0EEEvSZ_.has_dyn_sized_stack, 0
	.set _ZN7rocprim17ROCPRIM_400000_NS6detail17trampoline_kernelINS0_13select_configILj256ELj13ELNS0_17block_load_methodE3ELS4_3ELS4_3ELNS0_20block_scan_algorithmE0ELj4294967295EEENS1_25partition_config_selectorILNS1_17partition_subalgoE4EjNS0_10empty_typeEbEEZZNS1_14partition_implILS8_4ELb0ES6_15HIP_vector_typeIjLj2EENS0_17counting_iteratorIjlEEPS9_SG_NS0_5tupleIJPjSI_NS0_16reverse_iteratorISI_EEEEENSH_IJSG_SG_SG_EEES9_SI_JZNS1_25segmented_radix_sort_implINS0_14default_configELb1EPKlPlSQ_SR_N2at6native12_GLOBAL__N_18offset_tEEE10hipError_tPvRmT1_PNSt15iterator_traitsISZ_E10value_typeET2_T3_PNS10_IS15_E10value_typeET4_jRbjT5_S1B_jjP12ihipStream_tbEUljE_ZNSN_ISO_Lb1ESQ_SR_SQ_SR_SV_EESW_SX_SY_SZ_S13_S14_S15_S18_S19_jS1A_jS1B_S1B_jjS1D_bEUljE0_EEESW_SX_SY_S15_S19_S1B_T6_T7_T9_mT8_S1D_bDpT10_ENKUlT_T0_E_clISt17integral_constantIbLb0EES1R_EEDaS1M_S1N_EUlS1M_E_NS1_11comp_targetILNS1_3genE0ELNS1_11target_archE4294967295ELNS1_3gpuE0ELNS1_3repE0EEENS1_30default_config_static_selectorELNS0_4arch9wavefront6targetE0EEEvSZ_.has_recursion, 0
	.set _ZN7rocprim17ROCPRIM_400000_NS6detail17trampoline_kernelINS0_13select_configILj256ELj13ELNS0_17block_load_methodE3ELS4_3ELS4_3ELNS0_20block_scan_algorithmE0ELj4294967295EEENS1_25partition_config_selectorILNS1_17partition_subalgoE4EjNS0_10empty_typeEbEEZZNS1_14partition_implILS8_4ELb0ES6_15HIP_vector_typeIjLj2EENS0_17counting_iteratorIjlEEPS9_SG_NS0_5tupleIJPjSI_NS0_16reverse_iteratorISI_EEEEENSH_IJSG_SG_SG_EEES9_SI_JZNS1_25segmented_radix_sort_implINS0_14default_configELb1EPKlPlSQ_SR_N2at6native12_GLOBAL__N_18offset_tEEE10hipError_tPvRmT1_PNSt15iterator_traitsISZ_E10value_typeET2_T3_PNS10_IS15_E10value_typeET4_jRbjT5_S1B_jjP12ihipStream_tbEUljE_ZNSN_ISO_Lb1ESQ_SR_SQ_SR_SV_EESW_SX_SY_SZ_S13_S14_S15_S18_S19_jS1A_jS1B_S1B_jjS1D_bEUljE0_EEESW_SX_SY_S15_S19_S1B_T6_T7_T9_mT8_S1D_bDpT10_ENKUlT_T0_E_clISt17integral_constantIbLb0EES1R_EEDaS1M_S1N_EUlS1M_E_NS1_11comp_targetILNS1_3genE0ELNS1_11target_archE4294967295ELNS1_3gpuE0ELNS1_3repE0EEENS1_30default_config_static_selectorELNS0_4arch9wavefront6targetE0EEEvSZ_.has_indirect_call, 0
	.section	.AMDGPU.csdata,"",@progbits
; Kernel info:
; codeLenInByte = 0
; TotalNumSgprs: 0
; NumVgprs: 0
; ScratchSize: 0
; MemoryBound: 0
; FloatMode: 240
; IeeeMode: 1
; LDSByteSize: 0 bytes/workgroup (compile time only)
; SGPRBlocks: 0
; VGPRBlocks: 0
; NumSGPRsForWavesPerEU: 1
; NumVGPRsForWavesPerEU: 1
; Occupancy: 16
; WaveLimiterHint : 0
; COMPUTE_PGM_RSRC2:SCRATCH_EN: 0
; COMPUTE_PGM_RSRC2:USER_SGPR: 2
; COMPUTE_PGM_RSRC2:TRAP_HANDLER: 0
; COMPUTE_PGM_RSRC2:TGID_X_EN: 1
; COMPUTE_PGM_RSRC2:TGID_Y_EN: 0
; COMPUTE_PGM_RSRC2:TGID_Z_EN: 0
; COMPUTE_PGM_RSRC2:TIDIG_COMP_CNT: 0
	.section	.text._ZN7rocprim17ROCPRIM_400000_NS6detail17trampoline_kernelINS0_13select_configILj256ELj13ELNS0_17block_load_methodE3ELS4_3ELS4_3ELNS0_20block_scan_algorithmE0ELj4294967295EEENS1_25partition_config_selectorILNS1_17partition_subalgoE4EjNS0_10empty_typeEbEEZZNS1_14partition_implILS8_4ELb0ES6_15HIP_vector_typeIjLj2EENS0_17counting_iteratorIjlEEPS9_SG_NS0_5tupleIJPjSI_NS0_16reverse_iteratorISI_EEEEENSH_IJSG_SG_SG_EEES9_SI_JZNS1_25segmented_radix_sort_implINS0_14default_configELb1EPKlPlSQ_SR_N2at6native12_GLOBAL__N_18offset_tEEE10hipError_tPvRmT1_PNSt15iterator_traitsISZ_E10value_typeET2_T3_PNS10_IS15_E10value_typeET4_jRbjT5_S1B_jjP12ihipStream_tbEUljE_ZNSN_ISO_Lb1ESQ_SR_SQ_SR_SV_EESW_SX_SY_SZ_S13_S14_S15_S18_S19_jS1A_jS1B_S1B_jjS1D_bEUljE0_EEESW_SX_SY_S15_S19_S1B_T6_T7_T9_mT8_S1D_bDpT10_ENKUlT_T0_E_clISt17integral_constantIbLb0EES1R_EEDaS1M_S1N_EUlS1M_E_NS1_11comp_targetILNS1_3genE5ELNS1_11target_archE942ELNS1_3gpuE9ELNS1_3repE0EEENS1_30default_config_static_selectorELNS0_4arch9wavefront6targetE0EEEvSZ_,"axG",@progbits,_ZN7rocprim17ROCPRIM_400000_NS6detail17trampoline_kernelINS0_13select_configILj256ELj13ELNS0_17block_load_methodE3ELS4_3ELS4_3ELNS0_20block_scan_algorithmE0ELj4294967295EEENS1_25partition_config_selectorILNS1_17partition_subalgoE4EjNS0_10empty_typeEbEEZZNS1_14partition_implILS8_4ELb0ES6_15HIP_vector_typeIjLj2EENS0_17counting_iteratorIjlEEPS9_SG_NS0_5tupleIJPjSI_NS0_16reverse_iteratorISI_EEEEENSH_IJSG_SG_SG_EEES9_SI_JZNS1_25segmented_radix_sort_implINS0_14default_configELb1EPKlPlSQ_SR_N2at6native12_GLOBAL__N_18offset_tEEE10hipError_tPvRmT1_PNSt15iterator_traitsISZ_E10value_typeET2_T3_PNS10_IS15_E10value_typeET4_jRbjT5_S1B_jjP12ihipStream_tbEUljE_ZNSN_ISO_Lb1ESQ_SR_SQ_SR_SV_EESW_SX_SY_SZ_S13_S14_S15_S18_S19_jS1A_jS1B_S1B_jjS1D_bEUljE0_EEESW_SX_SY_S15_S19_S1B_T6_T7_T9_mT8_S1D_bDpT10_ENKUlT_T0_E_clISt17integral_constantIbLb0EES1R_EEDaS1M_S1N_EUlS1M_E_NS1_11comp_targetILNS1_3genE5ELNS1_11target_archE942ELNS1_3gpuE9ELNS1_3repE0EEENS1_30default_config_static_selectorELNS0_4arch9wavefront6targetE0EEEvSZ_,comdat
	.globl	_ZN7rocprim17ROCPRIM_400000_NS6detail17trampoline_kernelINS0_13select_configILj256ELj13ELNS0_17block_load_methodE3ELS4_3ELS4_3ELNS0_20block_scan_algorithmE0ELj4294967295EEENS1_25partition_config_selectorILNS1_17partition_subalgoE4EjNS0_10empty_typeEbEEZZNS1_14partition_implILS8_4ELb0ES6_15HIP_vector_typeIjLj2EENS0_17counting_iteratorIjlEEPS9_SG_NS0_5tupleIJPjSI_NS0_16reverse_iteratorISI_EEEEENSH_IJSG_SG_SG_EEES9_SI_JZNS1_25segmented_radix_sort_implINS0_14default_configELb1EPKlPlSQ_SR_N2at6native12_GLOBAL__N_18offset_tEEE10hipError_tPvRmT1_PNSt15iterator_traitsISZ_E10value_typeET2_T3_PNS10_IS15_E10value_typeET4_jRbjT5_S1B_jjP12ihipStream_tbEUljE_ZNSN_ISO_Lb1ESQ_SR_SQ_SR_SV_EESW_SX_SY_SZ_S13_S14_S15_S18_S19_jS1A_jS1B_S1B_jjS1D_bEUljE0_EEESW_SX_SY_S15_S19_S1B_T6_T7_T9_mT8_S1D_bDpT10_ENKUlT_T0_E_clISt17integral_constantIbLb0EES1R_EEDaS1M_S1N_EUlS1M_E_NS1_11comp_targetILNS1_3genE5ELNS1_11target_archE942ELNS1_3gpuE9ELNS1_3repE0EEENS1_30default_config_static_selectorELNS0_4arch9wavefront6targetE0EEEvSZ_ ; -- Begin function _ZN7rocprim17ROCPRIM_400000_NS6detail17trampoline_kernelINS0_13select_configILj256ELj13ELNS0_17block_load_methodE3ELS4_3ELS4_3ELNS0_20block_scan_algorithmE0ELj4294967295EEENS1_25partition_config_selectorILNS1_17partition_subalgoE4EjNS0_10empty_typeEbEEZZNS1_14partition_implILS8_4ELb0ES6_15HIP_vector_typeIjLj2EENS0_17counting_iteratorIjlEEPS9_SG_NS0_5tupleIJPjSI_NS0_16reverse_iteratorISI_EEEEENSH_IJSG_SG_SG_EEES9_SI_JZNS1_25segmented_radix_sort_implINS0_14default_configELb1EPKlPlSQ_SR_N2at6native12_GLOBAL__N_18offset_tEEE10hipError_tPvRmT1_PNSt15iterator_traitsISZ_E10value_typeET2_T3_PNS10_IS15_E10value_typeET4_jRbjT5_S1B_jjP12ihipStream_tbEUljE_ZNSN_ISO_Lb1ESQ_SR_SQ_SR_SV_EESW_SX_SY_SZ_S13_S14_S15_S18_S19_jS1A_jS1B_S1B_jjS1D_bEUljE0_EEESW_SX_SY_S15_S19_S1B_T6_T7_T9_mT8_S1D_bDpT10_ENKUlT_T0_E_clISt17integral_constantIbLb0EES1R_EEDaS1M_S1N_EUlS1M_E_NS1_11comp_targetILNS1_3genE5ELNS1_11target_archE942ELNS1_3gpuE9ELNS1_3repE0EEENS1_30default_config_static_selectorELNS0_4arch9wavefront6targetE0EEEvSZ_
	.p2align	8
	.type	_ZN7rocprim17ROCPRIM_400000_NS6detail17trampoline_kernelINS0_13select_configILj256ELj13ELNS0_17block_load_methodE3ELS4_3ELS4_3ELNS0_20block_scan_algorithmE0ELj4294967295EEENS1_25partition_config_selectorILNS1_17partition_subalgoE4EjNS0_10empty_typeEbEEZZNS1_14partition_implILS8_4ELb0ES6_15HIP_vector_typeIjLj2EENS0_17counting_iteratorIjlEEPS9_SG_NS0_5tupleIJPjSI_NS0_16reverse_iteratorISI_EEEEENSH_IJSG_SG_SG_EEES9_SI_JZNS1_25segmented_radix_sort_implINS0_14default_configELb1EPKlPlSQ_SR_N2at6native12_GLOBAL__N_18offset_tEEE10hipError_tPvRmT1_PNSt15iterator_traitsISZ_E10value_typeET2_T3_PNS10_IS15_E10value_typeET4_jRbjT5_S1B_jjP12ihipStream_tbEUljE_ZNSN_ISO_Lb1ESQ_SR_SQ_SR_SV_EESW_SX_SY_SZ_S13_S14_S15_S18_S19_jS1A_jS1B_S1B_jjS1D_bEUljE0_EEESW_SX_SY_S15_S19_S1B_T6_T7_T9_mT8_S1D_bDpT10_ENKUlT_T0_E_clISt17integral_constantIbLb0EES1R_EEDaS1M_S1N_EUlS1M_E_NS1_11comp_targetILNS1_3genE5ELNS1_11target_archE942ELNS1_3gpuE9ELNS1_3repE0EEENS1_30default_config_static_selectorELNS0_4arch9wavefront6targetE0EEEvSZ_,@function
_ZN7rocprim17ROCPRIM_400000_NS6detail17trampoline_kernelINS0_13select_configILj256ELj13ELNS0_17block_load_methodE3ELS4_3ELS4_3ELNS0_20block_scan_algorithmE0ELj4294967295EEENS1_25partition_config_selectorILNS1_17partition_subalgoE4EjNS0_10empty_typeEbEEZZNS1_14partition_implILS8_4ELb0ES6_15HIP_vector_typeIjLj2EENS0_17counting_iteratorIjlEEPS9_SG_NS0_5tupleIJPjSI_NS0_16reverse_iteratorISI_EEEEENSH_IJSG_SG_SG_EEES9_SI_JZNS1_25segmented_radix_sort_implINS0_14default_configELb1EPKlPlSQ_SR_N2at6native12_GLOBAL__N_18offset_tEEE10hipError_tPvRmT1_PNSt15iterator_traitsISZ_E10value_typeET2_T3_PNS10_IS15_E10value_typeET4_jRbjT5_S1B_jjP12ihipStream_tbEUljE_ZNSN_ISO_Lb1ESQ_SR_SQ_SR_SV_EESW_SX_SY_SZ_S13_S14_S15_S18_S19_jS1A_jS1B_S1B_jjS1D_bEUljE0_EEESW_SX_SY_S15_S19_S1B_T6_T7_T9_mT8_S1D_bDpT10_ENKUlT_T0_E_clISt17integral_constantIbLb0EES1R_EEDaS1M_S1N_EUlS1M_E_NS1_11comp_targetILNS1_3genE5ELNS1_11target_archE942ELNS1_3gpuE9ELNS1_3repE0EEENS1_30default_config_static_selectorELNS0_4arch9wavefront6targetE0EEEvSZ_: ; @_ZN7rocprim17ROCPRIM_400000_NS6detail17trampoline_kernelINS0_13select_configILj256ELj13ELNS0_17block_load_methodE3ELS4_3ELS4_3ELNS0_20block_scan_algorithmE0ELj4294967295EEENS1_25partition_config_selectorILNS1_17partition_subalgoE4EjNS0_10empty_typeEbEEZZNS1_14partition_implILS8_4ELb0ES6_15HIP_vector_typeIjLj2EENS0_17counting_iteratorIjlEEPS9_SG_NS0_5tupleIJPjSI_NS0_16reverse_iteratorISI_EEEEENSH_IJSG_SG_SG_EEES9_SI_JZNS1_25segmented_radix_sort_implINS0_14default_configELb1EPKlPlSQ_SR_N2at6native12_GLOBAL__N_18offset_tEEE10hipError_tPvRmT1_PNSt15iterator_traitsISZ_E10value_typeET2_T3_PNS10_IS15_E10value_typeET4_jRbjT5_S1B_jjP12ihipStream_tbEUljE_ZNSN_ISO_Lb1ESQ_SR_SQ_SR_SV_EESW_SX_SY_SZ_S13_S14_S15_S18_S19_jS1A_jS1B_S1B_jjS1D_bEUljE0_EEESW_SX_SY_S15_S19_S1B_T6_T7_T9_mT8_S1D_bDpT10_ENKUlT_T0_E_clISt17integral_constantIbLb0EES1R_EEDaS1M_S1N_EUlS1M_E_NS1_11comp_targetILNS1_3genE5ELNS1_11target_archE942ELNS1_3gpuE9ELNS1_3repE0EEENS1_30default_config_static_selectorELNS0_4arch9wavefront6targetE0EEEvSZ_
; %bb.0:
	.section	.rodata,"a",@progbits
	.p2align	6, 0x0
	.amdhsa_kernel _ZN7rocprim17ROCPRIM_400000_NS6detail17trampoline_kernelINS0_13select_configILj256ELj13ELNS0_17block_load_methodE3ELS4_3ELS4_3ELNS0_20block_scan_algorithmE0ELj4294967295EEENS1_25partition_config_selectorILNS1_17partition_subalgoE4EjNS0_10empty_typeEbEEZZNS1_14partition_implILS8_4ELb0ES6_15HIP_vector_typeIjLj2EENS0_17counting_iteratorIjlEEPS9_SG_NS0_5tupleIJPjSI_NS0_16reverse_iteratorISI_EEEEENSH_IJSG_SG_SG_EEES9_SI_JZNS1_25segmented_radix_sort_implINS0_14default_configELb1EPKlPlSQ_SR_N2at6native12_GLOBAL__N_18offset_tEEE10hipError_tPvRmT1_PNSt15iterator_traitsISZ_E10value_typeET2_T3_PNS10_IS15_E10value_typeET4_jRbjT5_S1B_jjP12ihipStream_tbEUljE_ZNSN_ISO_Lb1ESQ_SR_SQ_SR_SV_EESW_SX_SY_SZ_S13_S14_S15_S18_S19_jS1A_jS1B_S1B_jjS1D_bEUljE0_EEESW_SX_SY_S15_S19_S1B_T6_T7_T9_mT8_S1D_bDpT10_ENKUlT_T0_E_clISt17integral_constantIbLb0EES1R_EEDaS1M_S1N_EUlS1M_E_NS1_11comp_targetILNS1_3genE5ELNS1_11target_archE942ELNS1_3gpuE9ELNS1_3repE0EEENS1_30default_config_static_selectorELNS0_4arch9wavefront6targetE0EEEvSZ_
		.amdhsa_group_segment_fixed_size 0
		.amdhsa_private_segment_fixed_size 0
		.amdhsa_kernarg_size 176
		.amdhsa_user_sgpr_count 2
		.amdhsa_user_sgpr_dispatch_ptr 0
		.amdhsa_user_sgpr_queue_ptr 0
		.amdhsa_user_sgpr_kernarg_segment_ptr 1
		.amdhsa_user_sgpr_dispatch_id 0
		.amdhsa_user_sgpr_private_segment_size 0
		.amdhsa_wavefront_size32 1
		.amdhsa_uses_dynamic_stack 0
		.amdhsa_enable_private_segment 0
		.amdhsa_system_sgpr_workgroup_id_x 1
		.amdhsa_system_sgpr_workgroup_id_y 0
		.amdhsa_system_sgpr_workgroup_id_z 0
		.amdhsa_system_sgpr_workgroup_info 0
		.amdhsa_system_vgpr_workitem_id 0
		.amdhsa_next_free_vgpr 1
		.amdhsa_next_free_sgpr 1
		.amdhsa_reserve_vcc 0
		.amdhsa_float_round_mode_32 0
		.amdhsa_float_round_mode_16_64 0
		.amdhsa_float_denorm_mode_32 3
		.amdhsa_float_denorm_mode_16_64 3
		.amdhsa_fp16_overflow 0
		.amdhsa_workgroup_processor_mode 1
		.amdhsa_memory_ordered 1
		.amdhsa_forward_progress 1
		.amdhsa_inst_pref_size 0
		.amdhsa_round_robin_scheduling 0
		.amdhsa_exception_fp_ieee_invalid_op 0
		.amdhsa_exception_fp_denorm_src 0
		.amdhsa_exception_fp_ieee_div_zero 0
		.amdhsa_exception_fp_ieee_overflow 0
		.amdhsa_exception_fp_ieee_underflow 0
		.amdhsa_exception_fp_ieee_inexact 0
		.amdhsa_exception_int_div_zero 0
	.end_amdhsa_kernel
	.section	.text._ZN7rocprim17ROCPRIM_400000_NS6detail17trampoline_kernelINS0_13select_configILj256ELj13ELNS0_17block_load_methodE3ELS4_3ELS4_3ELNS0_20block_scan_algorithmE0ELj4294967295EEENS1_25partition_config_selectorILNS1_17partition_subalgoE4EjNS0_10empty_typeEbEEZZNS1_14partition_implILS8_4ELb0ES6_15HIP_vector_typeIjLj2EENS0_17counting_iteratorIjlEEPS9_SG_NS0_5tupleIJPjSI_NS0_16reverse_iteratorISI_EEEEENSH_IJSG_SG_SG_EEES9_SI_JZNS1_25segmented_radix_sort_implINS0_14default_configELb1EPKlPlSQ_SR_N2at6native12_GLOBAL__N_18offset_tEEE10hipError_tPvRmT1_PNSt15iterator_traitsISZ_E10value_typeET2_T3_PNS10_IS15_E10value_typeET4_jRbjT5_S1B_jjP12ihipStream_tbEUljE_ZNSN_ISO_Lb1ESQ_SR_SQ_SR_SV_EESW_SX_SY_SZ_S13_S14_S15_S18_S19_jS1A_jS1B_S1B_jjS1D_bEUljE0_EEESW_SX_SY_S15_S19_S1B_T6_T7_T9_mT8_S1D_bDpT10_ENKUlT_T0_E_clISt17integral_constantIbLb0EES1R_EEDaS1M_S1N_EUlS1M_E_NS1_11comp_targetILNS1_3genE5ELNS1_11target_archE942ELNS1_3gpuE9ELNS1_3repE0EEENS1_30default_config_static_selectorELNS0_4arch9wavefront6targetE0EEEvSZ_,"axG",@progbits,_ZN7rocprim17ROCPRIM_400000_NS6detail17trampoline_kernelINS0_13select_configILj256ELj13ELNS0_17block_load_methodE3ELS4_3ELS4_3ELNS0_20block_scan_algorithmE0ELj4294967295EEENS1_25partition_config_selectorILNS1_17partition_subalgoE4EjNS0_10empty_typeEbEEZZNS1_14partition_implILS8_4ELb0ES6_15HIP_vector_typeIjLj2EENS0_17counting_iteratorIjlEEPS9_SG_NS0_5tupleIJPjSI_NS0_16reverse_iteratorISI_EEEEENSH_IJSG_SG_SG_EEES9_SI_JZNS1_25segmented_radix_sort_implINS0_14default_configELb1EPKlPlSQ_SR_N2at6native12_GLOBAL__N_18offset_tEEE10hipError_tPvRmT1_PNSt15iterator_traitsISZ_E10value_typeET2_T3_PNS10_IS15_E10value_typeET4_jRbjT5_S1B_jjP12ihipStream_tbEUljE_ZNSN_ISO_Lb1ESQ_SR_SQ_SR_SV_EESW_SX_SY_SZ_S13_S14_S15_S18_S19_jS1A_jS1B_S1B_jjS1D_bEUljE0_EEESW_SX_SY_S15_S19_S1B_T6_T7_T9_mT8_S1D_bDpT10_ENKUlT_T0_E_clISt17integral_constantIbLb0EES1R_EEDaS1M_S1N_EUlS1M_E_NS1_11comp_targetILNS1_3genE5ELNS1_11target_archE942ELNS1_3gpuE9ELNS1_3repE0EEENS1_30default_config_static_selectorELNS0_4arch9wavefront6targetE0EEEvSZ_,comdat
.Lfunc_end641:
	.size	_ZN7rocprim17ROCPRIM_400000_NS6detail17trampoline_kernelINS0_13select_configILj256ELj13ELNS0_17block_load_methodE3ELS4_3ELS4_3ELNS0_20block_scan_algorithmE0ELj4294967295EEENS1_25partition_config_selectorILNS1_17partition_subalgoE4EjNS0_10empty_typeEbEEZZNS1_14partition_implILS8_4ELb0ES6_15HIP_vector_typeIjLj2EENS0_17counting_iteratorIjlEEPS9_SG_NS0_5tupleIJPjSI_NS0_16reverse_iteratorISI_EEEEENSH_IJSG_SG_SG_EEES9_SI_JZNS1_25segmented_radix_sort_implINS0_14default_configELb1EPKlPlSQ_SR_N2at6native12_GLOBAL__N_18offset_tEEE10hipError_tPvRmT1_PNSt15iterator_traitsISZ_E10value_typeET2_T3_PNS10_IS15_E10value_typeET4_jRbjT5_S1B_jjP12ihipStream_tbEUljE_ZNSN_ISO_Lb1ESQ_SR_SQ_SR_SV_EESW_SX_SY_SZ_S13_S14_S15_S18_S19_jS1A_jS1B_S1B_jjS1D_bEUljE0_EEESW_SX_SY_S15_S19_S1B_T6_T7_T9_mT8_S1D_bDpT10_ENKUlT_T0_E_clISt17integral_constantIbLb0EES1R_EEDaS1M_S1N_EUlS1M_E_NS1_11comp_targetILNS1_3genE5ELNS1_11target_archE942ELNS1_3gpuE9ELNS1_3repE0EEENS1_30default_config_static_selectorELNS0_4arch9wavefront6targetE0EEEvSZ_, .Lfunc_end641-_ZN7rocprim17ROCPRIM_400000_NS6detail17trampoline_kernelINS0_13select_configILj256ELj13ELNS0_17block_load_methodE3ELS4_3ELS4_3ELNS0_20block_scan_algorithmE0ELj4294967295EEENS1_25partition_config_selectorILNS1_17partition_subalgoE4EjNS0_10empty_typeEbEEZZNS1_14partition_implILS8_4ELb0ES6_15HIP_vector_typeIjLj2EENS0_17counting_iteratorIjlEEPS9_SG_NS0_5tupleIJPjSI_NS0_16reverse_iteratorISI_EEEEENSH_IJSG_SG_SG_EEES9_SI_JZNS1_25segmented_radix_sort_implINS0_14default_configELb1EPKlPlSQ_SR_N2at6native12_GLOBAL__N_18offset_tEEE10hipError_tPvRmT1_PNSt15iterator_traitsISZ_E10value_typeET2_T3_PNS10_IS15_E10value_typeET4_jRbjT5_S1B_jjP12ihipStream_tbEUljE_ZNSN_ISO_Lb1ESQ_SR_SQ_SR_SV_EESW_SX_SY_SZ_S13_S14_S15_S18_S19_jS1A_jS1B_S1B_jjS1D_bEUljE0_EEESW_SX_SY_S15_S19_S1B_T6_T7_T9_mT8_S1D_bDpT10_ENKUlT_T0_E_clISt17integral_constantIbLb0EES1R_EEDaS1M_S1N_EUlS1M_E_NS1_11comp_targetILNS1_3genE5ELNS1_11target_archE942ELNS1_3gpuE9ELNS1_3repE0EEENS1_30default_config_static_selectorELNS0_4arch9wavefront6targetE0EEEvSZ_
                                        ; -- End function
	.set _ZN7rocprim17ROCPRIM_400000_NS6detail17trampoline_kernelINS0_13select_configILj256ELj13ELNS0_17block_load_methodE3ELS4_3ELS4_3ELNS0_20block_scan_algorithmE0ELj4294967295EEENS1_25partition_config_selectorILNS1_17partition_subalgoE4EjNS0_10empty_typeEbEEZZNS1_14partition_implILS8_4ELb0ES6_15HIP_vector_typeIjLj2EENS0_17counting_iteratorIjlEEPS9_SG_NS0_5tupleIJPjSI_NS0_16reverse_iteratorISI_EEEEENSH_IJSG_SG_SG_EEES9_SI_JZNS1_25segmented_radix_sort_implINS0_14default_configELb1EPKlPlSQ_SR_N2at6native12_GLOBAL__N_18offset_tEEE10hipError_tPvRmT1_PNSt15iterator_traitsISZ_E10value_typeET2_T3_PNS10_IS15_E10value_typeET4_jRbjT5_S1B_jjP12ihipStream_tbEUljE_ZNSN_ISO_Lb1ESQ_SR_SQ_SR_SV_EESW_SX_SY_SZ_S13_S14_S15_S18_S19_jS1A_jS1B_S1B_jjS1D_bEUljE0_EEESW_SX_SY_S15_S19_S1B_T6_T7_T9_mT8_S1D_bDpT10_ENKUlT_T0_E_clISt17integral_constantIbLb0EES1R_EEDaS1M_S1N_EUlS1M_E_NS1_11comp_targetILNS1_3genE5ELNS1_11target_archE942ELNS1_3gpuE9ELNS1_3repE0EEENS1_30default_config_static_selectorELNS0_4arch9wavefront6targetE0EEEvSZ_.num_vgpr, 0
	.set _ZN7rocprim17ROCPRIM_400000_NS6detail17trampoline_kernelINS0_13select_configILj256ELj13ELNS0_17block_load_methodE3ELS4_3ELS4_3ELNS0_20block_scan_algorithmE0ELj4294967295EEENS1_25partition_config_selectorILNS1_17partition_subalgoE4EjNS0_10empty_typeEbEEZZNS1_14partition_implILS8_4ELb0ES6_15HIP_vector_typeIjLj2EENS0_17counting_iteratorIjlEEPS9_SG_NS0_5tupleIJPjSI_NS0_16reverse_iteratorISI_EEEEENSH_IJSG_SG_SG_EEES9_SI_JZNS1_25segmented_radix_sort_implINS0_14default_configELb1EPKlPlSQ_SR_N2at6native12_GLOBAL__N_18offset_tEEE10hipError_tPvRmT1_PNSt15iterator_traitsISZ_E10value_typeET2_T3_PNS10_IS15_E10value_typeET4_jRbjT5_S1B_jjP12ihipStream_tbEUljE_ZNSN_ISO_Lb1ESQ_SR_SQ_SR_SV_EESW_SX_SY_SZ_S13_S14_S15_S18_S19_jS1A_jS1B_S1B_jjS1D_bEUljE0_EEESW_SX_SY_S15_S19_S1B_T6_T7_T9_mT8_S1D_bDpT10_ENKUlT_T0_E_clISt17integral_constantIbLb0EES1R_EEDaS1M_S1N_EUlS1M_E_NS1_11comp_targetILNS1_3genE5ELNS1_11target_archE942ELNS1_3gpuE9ELNS1_3repE0EEENS1_30default_config_static_selectorELNS0_4arch9wavefront6targetE0EEEvSZ_.num_agpr, 0
	.set _ZN7rocprim17ROCPRIM_400000_NS6detail17trampoline_kernelINS0_13select_configILj256ELj13ELNS0_17block_load_methodE3ELS4_3ELS4_3ELNS0_20block_scan_algorithmE0ELj4294967295EEENS1_25partition_config_selectorILNS1_17partition_subalgoE4EjNS0_10empty_typeEbEEZZNS1_14partition_implILS8_4ELb0ES6_15HIP_vector_typeIjLj2EENS0_17counting_iteratorIjlEEPS9_SG_NS0_5tupleIJPjSI_NS0_16reverse_iteratorISI_EEEEENSH_IJSG_SG_SG_EEES9_SI_JZNS1_25segmented_radix_sort_implINS0_14default_configELb1EPKlPlSQ_SR_N2at6native12_GLOBAL__N_18offset_tEEE10hipError_tPvRmT1_PNSt15iterator_traitsISZ_E10value_typeET2_T3_PNS10_IS15_E10value_typeET4_jRbjT5_S1B_jjP12ihipStream_tbEUljE_ZNSN_ISO_Lb1ESQ_SR_SQ_SR_SV_EESW_SX_SY_SZ_S13_S14_S15_S18_S19_jS1A_jS1B_S1B_jjS1D_bEUljE0_EEESW_SX_SY_S15_S19_S1B_T6_T7_T9_mT8_S1D_bDpT10_ENKUlT_T0_E_clISt17integral_constantIbLb0EES1R_EEDaS1M_S1N_EUlS1M_E_NS1_11comp_targetILNS1_3genE5ELNS1_11target_archE942ELNS1_3gpuE9ELNS1_3repE0EEENS1_30default_config_static_selectorELNS0_4arch9wavefront6targetE0EEEvSZ_.numbered_sgpr, 0
	.set _ZN7rocprim17ROCPRIM_400000_NS6detail17trampoline_kernelINS0_13select_configILj256ELj13ELNS0_17block_load_methodE3ELS4_3ELS4_3ELNS0_20block_scan_algorithmE0ELj4294967295EEENS1_25partition_config_selectorILNS1_17partition_subalgoE4EjNS0_10empty_typeEbEEZZNS1_14partition_implILS8_4ELb0ES6_15HIP_vector_typeIjLj2EENS0_17counting_iteratorIjlEEPS9_SG_NS0_5tupleIJPjSI_NS0_16reverse_iteratorISI_EEEEENSH_IJSG_SG_SG_EEES9_SI_JZNS1_25segmented_radix_sort_implINS0_14default_configELb1EPKlPlSQ_SR_N2at6native12_GLOBAL__N_18offset_tEEE10hipError_tPvRmT1_PNSt15iterator_traitsISZ_E10value_typeET2_T3_PNS10_IS15_E10value_typeET4_jRbjT5_S1B_jjP12ihipStream_tbEUljE_ZNSN_ISO_Lb1ESQ_SR_SQ_SR_SV_EESW_SX_SY_SZ_S13_S14_S15_S18_S19_jS1A_jS1B_S1B_jjS1D_bEUljE0_EEESW_SX_SY_S15_S19_S1B_T6_T7_T9_mT8_S1D_bDpT10_ENKUlT_T0_E_clISt17integral_constantIbLb0EES1R_EEDaS1M_S1N_EUlS1M_E_NS1_11comp_targetILNS1_3genE5ELNS1_11target_archE942ELNS1_3gpuE9ELNS1_3repE0EEENS1_30default_config_static_selectorELNS0_4arch9wavefront6targetE0EEEvSZ_.num_named_barrier, 0
	.set _ZN7rocprim17ROCPRIM_400000_NS6detail17trampoline_kernelINS0_13select_configILj256ELj13ELNS0_17block_load_methodE3ELS4_3ELS4_3ELNS0_20block_scan_algorithmE0ELj4294967295EEENS1_25partition_config_selectorILNS1_17partition_subalgoE4EjNS0_10empty_typeEbEEZZNS1_14partition_implILS8_4ELb0ES6_15HIP_vector_typeIjLj2EENS0_17counting_iteratorIjlEEPS9_SG_NS0_5tupleIJPjSI_NS0_16reverse_iteratorISI_EEEEENSH_IJSG_SG_SG_EEES9_SI_JZNS1_25segmented_radix_sort_implINS0_14default_configELb1EPKlPlSQ_SR_N2at6native12_GLOBAL__N_18offset_tEEE10hipError_tPvRmT1_PNSt15iterator_traitsISZ_E10value_typeET2_T3_PNS10_IS15_E10value_typeET4_jRbjT5_S1B_jjP12ihipStream_tbEUljE_ZNSN_ISO_Lb1ESQ_SR_SQ_SR_SV_EESW_SX_SY_SZ_S13_S14_S15_S18_S19_jS1A_jS1B_S1B_jjS1D_bEUljE0_EEESW_SX_SY_S15_S19_S1B_T6_T7_T9_mT8_S1D_bDpT10_ENKUlT_T0_E_clISt17integral_constantIbLb0EES1R_EEDaS1M_S1N_EUlS1M_E_NS1_11comp_targetILNS1_3genE5ELNS1_11target_archE942ELNS1_3gpuE9ELNS1_3repE0EEENS1_30default_config_static_selectorELNS0_4arch9wavefront6targetE0EEEvSZ_.private_seg_size, 0
	.set _ZN7rocprim17ROCPRIM_400000_NS6detail17trampoline_kernelINS0_13select_configILj256ELj13ELNS0_17block_load_methodE3ELS4_3ELS4_3ELNS0_20block_scan_algorithmE0ELj4294967295EEENS1_25partition_config_selectorILNS1_17partition_subalgoE4EjNS0_10empty_typeEbEEZZNS1_14partition_implILS8_4ELb0ES6_15HIP_vector_typeIjLj2EENS0_17counting_iteratorIjlEEPS9_SG_NS0_5tupleIJPjSI_NS0_16reverse_iteratorISI_EEEEENSH_IJSG_SG_SG_EEES9_SI_JZNS1_25segmented_radix_sort_implINS0_14default_configELb1EPKlPlSQ_SR_N2at6native12_GLOBAL__N_18offset_tEEE10hipError_tPvRmT1_PNSt15iterator_traitsISZ_E10value_typeET2_T3_PNS10_IS15_E10value_typeET4_jRbjT5_S1B_jjP12ihipStream_tbEUljE_ZNSN_ISO_Lb1ESQ_SR_SQ_SR_SV_EESW_SX_SY_SZ_S13_S14_S15_S18_S19_jS1A_jS1B_S1B_jjS1D_bEUljE0_EEESW_SX_SY_S15_S19_S1B_T6_T7_T9_mT8_S1D_bDpT10_ENKUlT_T0_E_clISt17integral_constantIbLb0EES1R_EEDaS1M_S1N_EUlS1M_E_NS1_11comp_targetILNS1_3genE5ELNS1_11target_archE942ELNS1_3gpuE9ELNS1_3repE0EEENS1_30default_config_static_selectorELNS0_4arch9wavefront6targetE0EEEvSZ_.uses_vcc, 0
	.set _ZN7rocprim17ROCPRIM_400000_NS6detail17trampoline_kernelINS0_13select_configILj256ELj13ELNS0_17block_load_methodE3ELS4_3ELS4_3ELNS0_20block_scan_algorithmE0ELj4294967295EEENS1_25partition_config_selectorILNS1_17partition_subalgoE4EjNS0_10empty_typeEbEEZZNS1_14partition_implILS8_4ELb0ES6_15HIP_vector_typeIjLj2EENS0_17counting_iteratorIjlEEPS9_SG_NS0_5tupleIJPjSI_NS0_16reverse_iteratorISI_EEEEENSH_IJSG_SG_SG_EEES9_SI_JZNS1_25segmented_radix_sort_implINS0_14default_configELb1EPKlPlSQ_SR_N2at6native12_GLOBAL__N_18offset_tEEE10hipError_tPvRmT1_PNSt15iterator_traitsISZ_E10value_typeET2_T3_PNS10_IS15_E10value_typeET4_jRbjT5_S1B_jjP12ihipStream_tbEUljE_ZNSN_ISO_Lb1ESQ_SR_SQ_SR_SV_EESW_SX_SY_SZ_S13_S14_S15_S18_S19_jS1A_jS1B_S1B_jjS1D_bEUljE0_EEESW_SX_SY_S15_S19_S1B_T6_T7_T9_mT8_S1D_bDpT10_ENKUlT_T0_E_clISt17integral_constantIbLb0EES1R_EEDaS1M_S1N_EUlS1M_E_NS1_11comp_targetILNS1_3genE5ELNS1_11target_archE942ELNS1_3gpuE9ELNS1_3repE0EEENS1_30default_config_static_selectorELNS0_4arch9wavefront6targetE0EEEvSZ_.uses_flat_scratch, 0
	.set _ZN7rocprim17ROCPRIM_400000_NS6detail17trampoline_kernelINS0_13select_configILj256ELj13ELNS0_17block_load_methodE3ELS4_3ELS4_3ELNS0_20block_scan_algorithmE0ELj4294967295EEENS1_25partition_config_selectorILNS1_17partition_subalgoE4EjNS0_10empty_typeEbEEZZNS1_14partition_implILS8_4ELb0ES6_15HIP_vector_typeIjLj2EENS0_17counting_iteratorIjlEEPS9_SG_NS0_5tupleIJPjSI_NS0_16reverse_iteratorISI_EEEEENSH_IJSG_SG_SG_EEES9_SI_JZNS1_25segmented_radix_sort_implINS0_14default_configELb1EPKlPlSQ_SR_N2at6native12_GLOBAL__N_18offset_tEEE10hipError_tPvRmT1_PNSt15iterator_traitsISZ_E10value_typeET2_T3_PNS10_IS15_E10value_typeET4_jRbjT5_S1B_jjP12ihipStream_tbEUljE_ZNSN_ISO_Lb1ESQ_SR_SQ_SR_SV_EESW_SX_SY_SZ_S13_S14_S15_S18_S19_jS1A_jS1B_S1B_jjS1D_bEUljE0_EEESW_SX_SY_S15_S19_S1B_T6_T7_T9_mT8_S1D_bDpT10_ENKUlT_T0_E_clISt17integral_constantIbLb0EES1R_EEDaS1M_S1N_EUlS1M_E_NS1_11comp_targetILNS1_3genE5ELNS1_11target_archE942ELNS1_3gpuE9ELNS1_3repE0EEENS1_30default_config_static_selectorELNS0_4arch9wavefront6targetE0EEEvSZ_.has_dyn_sized_stack, 0
	.set _ZN7rocprim17ROCPRIM_400000_NS6detail17trampoline_kernelINS0_13select_configILj256ELj13ELNS0_17block_load_methodE3ELS4_3ELS4_3ELNS0_20block_scan_algorithmE0ELj4294967295EEENS1_25partition_config_selectorILNS1_17partition_subalgoE4EjNS0_10empty_typeEbEEZZNS1_14partition_implILS8_4ELb0ES6_15HIP_vector_typeIjLj2EENS0_17counting_iteratorIjlEEPS9_SG_NS0_5tupleIJPjSI_NS0_16reverse_iteratorISI_EEEEENSH_IJSG_SG_SG_EEES9_SI_JZNS1_25segmented_radix_sort_implINS0_14default_configELb1EPKlPlSQ_SR_N2at6native12_GLOBAL__N_18offset_tEEE10hipError_tPvRmT1_PNSt15iterator_traitsISZ_E10value_typeET2_T3_PNS10_IS15_E10value_typeET4_jRbjT5_S1B_jjP12ihipStream_tbEUljE_ZNSN_ISO_Lb1ESQ_SR_SQ_SR_SV_EESW_SX_SY_SZ_S13_S14_S15_S18_S19_jS1A_jS1B_S1B_jjS1D_bEUljE0_EEESW_SX_SY_S15_S19_S1B_T6_T7_T9_mT8_S1D_bDpT10_ENKUlT_T0_E_clISt17integral_constantIbLb0EES1R_EEDaS1M_S1N_EUlS1M_E_NS1_11comp_targetILNS1_3genE5ELNS1_11target_archE942ELNS1_3gpuE9ELNS1_3repE0EEENS1_30default_config_static_selectorELNS0_4arch9wavefront6targetE0EEEvSZ_.has_recursion, 0
	.set _ZN7rocprim17ROCPRIM_400000_NS6detail17trampoline_kernelINS0_13select_configILj256ELj13ELNS0_17block_load_methodE3ELS4_3ELS4_3ELNS0_20block_scan_algorithmE0ELj4294967295EEENS1_25partition_config_selectorILNS1_17partition_subalgoE4EjNS0_10empty_typeEbEEZZNS1_14partition_implILS8_4ELb0ES6_15HIP_vector_typeIjLj2EENS0_17counting_iteratorIjlEEPS9_SG_NS0_5tupleIJPjSI_NS0_16reverse_iteratorISI_EEEEENSH_IJSG_SG_SG_EEES9_SI_JZNS1_25segmented_radix_sort_implINS0_14default_configELb1EPKlPlSQ_SR_N2at6native12_GLOBAL__N_18offset_tEEE10hipError_tPvRmT1_PNSt15iterator_traitsISZ_E10value_typeET2_T3_PNS10_IS15_E10value_typeET4_jRbjT5_S1B_jjP12ihipStream_tbEUljE_ZNSN_ISO_Lb1ESQ_SR_SQ_SR_SV_EESW_SX_SY_SZ_S13_S14_S15_S18_S19_jS1A_jS1B_S1B_jjS1D_bEUljE0_EEESW_SX_SY_S15_S19_S1B_T6_T7_T9_mT8_S1D_bDpT10_ENKUlT_T0_E_clISt17integral_constantIbLb0EES1R_EEDaS1M_S1N_EUlS1M_E_NS1_11comp_targetILNS1_3genE5ELNS1_11target_archE942ELNS1_3gpuE9ELNS1_3repE0EEENS1_30default_config_static_selectorELNS0_4arch9wavefront6targetE0EEEvSZ_.has_indirect_call, 0
	.section	.AMDGPU.csdata,"",@progbits
; Kernel info:
; codeLenInByte = 0
; TotalNumSgprs: 0
; NumVgprs: 0
; ScratchSize: 0
; MemoryBound: 0
; FloatMode: 240
; IeeeMode: 1
; LDSByteSize: 0 bytes/workgroup (compile time only)
; SGPRBlocks: 0
; VGPRBlocks: 0
; NumSGPRsForWavesPerEU: 1
; NumVGPRsForWavesPerEU: 1
; Occupancy: 16
; WaveLimiterHint : 0
; COMPUTE_PGM_RSRC2:SCRATCH_EN: 0
; COMPUTE_PGM_RSRC2:USER_SGPR: 2
; COMPUTE_PGM_RSRC2:TRAP_HANDLER: 0
; COMPUTE_PGM_RSRC2:TGID_X_EN: 1
; COMPUTE_PGM_RSRC2:TGID_Y_EN: 0
; COMPUTE_PGM_RSRC2:TGID_Z_EN: 0
; COMPUTE_PGM_RSRC2:TIDIG_COMP_CNT: 0
	.section	.text._ZN7rocprim17ROCPRIM_400000_NS6detail17trampoline_kernelINS0_13select_configILj256ELj13ELNS0_17block_load_methodE3ELS4_3ELS4_3ELNS0_20block_scan_algorithmE0ELj4294967295EEENS1_25partition_config_selectorILNS1_17partition_subalgoE4EjNS0_10empty_typeEbEEZZNS1_14partition_implILS8_4ELb0ES6_15HIP_vector_typeIjLj2EENS0_17counting_iteratorIjlEEPS9_SG_NS0_5tupleIJPjSI_NS0_16reverse_iteratorISI_EEEEENSH_IJSG_SG_SG_EEES9_SI_JZNS1_25segmented_radix_sort_implINS0_14default_configELb1EPKlPlSQ_SR_N2at6native12_GLOBAL__N_18offset_tEEE10hipError_tPvRmT1_PNSt15iterator_traitsISZ_E10value_typeET2_T3_PNS10_IS15_E10value_typeET4_jRbjT5_S1B_jjP12ihipStream_tbEUljE_ZNSN_ISO_Lb1ESQ_SR_SQ_SR_SV_EESW_SX_SY_SZ_S13_S14_S15_S18_S19_jS1A_jS1B_S1B_jjS1D_bEUljE0_EEESW_SX_SY_S15_S19_S1B_T6_T7_T9_mT8_S1D_bDpT10_ENKUlT_T0_E_clISt17integral_constantIbLb0EES1R_EEDaS1M_S1N_EUlS1M_E_NS1_11comp_targetILNS1_3genE4ELNS1_11target_archE910ELNS1_3gpuE8ELNS1_3repE0EEENS1_30default_config_static_selectorELNS0_4arch9wavefront6targetE0EEEvSZ_,"axG",@progbits,_ZN7rocprim17ROCPRIM_400000_NS6detail17trampoline_kernelINS0_13select_configILj256ELj13ELNS0_17block_load_methodE3ELS4_3ELS4_3ELNS0_20block_scan_algorithmE0ELj4294967295EEENS1_25partition_config_selectorILNS1_17partition_subalgoE4EjNS0_10empty_typeEbEEZZNS1_14partition_implILS8_4ELb0ES6_15HIP_vector_typeIjLj2EENS0_17counting_iteratorIjlEEPS9_SG_NS0_5tupleIJPjSI_NS0_16reverse_iteratorISI_EEEEENSH_IJSG_SG_SG_EEES9_SI_JZNS1_25segmented_radix_sort_implINS0_14default_configELb1EPKlPlSQ_SR_N2at6native12_GLOBAL__N_18offset_tEEE10hipError_tPvRmT1_PNSt15iterator_traitsISZ_E10value_typeET2_T3_PNS10_IS15_E10value_typeET4_jRbjT5_S1B_jjP12ihipStream_tbEUljE_ZNSN_ISO_Lb1ESQ_SR_SQ_SR_SV_EESW_SX_SY_SZ_S13_S14_S15_S18_S19_jS1A_jS1B_S1B_jjS1D_bEUljE0_EEESW_SX_SY_S15_S19_S1B_T6_T7_T9_mT8_S1D_bDpT10_ENKUlT_T0_E_clISt17integral_constantIbLb0EES1R_EEDaS1M_S1N_EUlS1M_E_NS1_11comp_targetILNS1_3genE4ELNS1_11target_archE910ELNS1_3gpuE8ELNS1_3repE0EEENS1_30default_config_static_selectorELNS0_4arch9wavefront6targetE0EEEvSZ_,comdat
	.globl	_ZN7rocprim17ROCPRIM_400000_NS6detail17trampoline_kernelINS0_13select_configILj256ELj13ELNS0_17block_load_methodE3ELS4_3ELS4_3ELNS0_20block_scan_algorithmE0ELj4294967295EEENS1_25partition_config_selectorILNS1_17partition_subalgoE4EjNS0_10empty_typeEbEEZZNS1_14partition_implILS8_4ELb0ES6_15HIP_vector_typeIjLj2EENS0_17counting_iteratorIjlEEPS9_SG_NS0_5tupleIJPjSI_NS0_16reverse_iteratorISI_EEEEENSH_IJSG_SG_SG_EEES9_SI_JZNS1_25segmented_radix_sort_implINS0_14default_configELb1EPKlPlSQ_SR_N2at6native12_GLOBAL__N_18offset_tEEE10hipError_tPvRmT1_PNSt15iterator_traitsISZ_E10value_typeET2_T3_PNS10_IS15_E10value_typeET4_jRbjT5_S1B_jjP12ihipStream_tbEUljE_ZNSN_ISO_Lb1ESQ_SR_SQ_SR_SV_EESW_SX_SY_SZ_S13_S14_S15_S18_S19_jS1A_jS1B_S1B_jjS1D_bEUljE0_EEESW_SX_SY_S15_S19_S1B_T6_T7_T9_mT8_S1D_bDpT10_ENKUlT_T0_E_clISt17integral_constantIbLb0EES1R_EEDaS1M_S1N_EUlS1M_E_NS1_11comp_targetILNS1_3genE4ELNS1_11target_archE910ELNS1_3gpuE8ELNS1_3repE0EEENS1_30default_config_static_selectorELNS0_4arch9wavefront6targetE0EEEvSZ_ ; -- Begin function _ZN7rocprim17ROCPRIM_400000_NS6detail17trampoline_kernelINS0_13select_configILj256ELj13ELNS0_17block_load_methodE3ELS4_3ELS4_3ELNS0_20block_scan_algorithmE0ELj4294967295EEENS1_25partition_config_selectorILNS1_17partition_subalgoE4EjNS0_10empty_typeEbEEZZNS1_14partition_implILS8_4ELb0ES6_15HIP_vector_typeIjLj2EENS0_17counting_iteratorIjlEEPS9_SG_NS0_5tupleIJPjSI_NS0_16reverse_iteratorISI_EEEEENSH_IJSG_SG_SG_EEES9_SI_JZNS1_25segmented_radix_sort_implINS0_14default_configELb1EPKlPlSQ_SR_N2at6native12_GLOBAL__N_18offset_tEEE10hipError_tPvRmT1_PNSt15iterator_traitsISZ_E10value_typeET2_T3_PNS10_IS15_E10value_typeET4_jRbjT5_S1B_jjP12ihipStream_tbEUljE_ZNSN_ISO_Lb1ESQ_SR_SQ_SR_SV_EESW_SX_SY_SZ_S13_S14_S15_S18_S19_jS1A_jS1B_S1B_jjS1D_bEUljE0_EEESW_SX_SY_S15_S19_S1B_T6_T7_T9_mT8_S1D_bDpT10_ENKUlT_T0_E_clISt17integral_constantIbLb0EES1R_EEDaS1M_S1N_EUlS1M_E_NS1_11comp_targetILNS1_3genE4ELNS1_11target_archE910ELNS1_3gpuE8ELNS1_3repE0EEENS1_30default_config_static_selectorELNS0_4arch9wavefront6targetE0EEEvSZ_
	.p2align	8
	.type	_ZN7rocprim17ROCPRIM_400000_NS6detail17trampoline_kernelINS0_13select_configILj256ELj13ELNS0_17block_load_methodE3ELS4_3ELS4_3ELNS0_20block_scan_algorithmE0ELj4294967295EEENS1_25partition_config_selectorILNS1_17partition_subalgoE4EjNS0_10empty_typeEbEEZZNS1_14partition_implILS8_4ELb0ES6_15HIP_vector_typeIjLj2EENS0_17counting_iteratorIjlEEPS9_SG_NS0_5tupleIJPjSI_NS0_16reverse_iteratorISI_EEEEENSH_IJSG_SG_SG_EEES9_SI_JZNS1_25segmented_radix_sort_implINS0_14default_configELb1EPKlPlSQ_SR_N2at6native12_GLOBAL__N_18offset_tEEE10hipError_tPvRmT1_PNSt15iterator_traitsISZ_E10value_typeET2_T3_PNS10_IS15_E10value_typeET4_jRbjT5_S1B_jjP12ihipStream_tbEUljE_ZNSN_ISO_Lb1ESQ_SR_SQ_SR_SV_EESW_SX_SY_SZ_S13_S14_S15_S18_S19_jS1A_jS1B_S1B_jjS1D_bEUljE0_EEESW_SX_SY_S15_S19_S1B_T6_T7_T9_mT8_S1D_bDpT10_ENKUlT_T0_E_clISt17integral_constantIbLb0EES1R_EEDaS1M_S1N_EUlS1M_E_NS1_11comp_targetILNS1_3genE4ELNS1_11target_archE910ELNS1_3gpuE8ELNS1_3repE0EEENS1_30default_config_static_selectorELNS0_4arch9wavefront6targetE0EEEvSZ_,@function
_ZN7rocprim17ROCPRIM_400000_NS6detail17trampoline_kernelINS0_13select_configILj256ELj13ELNS0_17block_load_methodE3ELS4_3ELS4_3ELNS0_20block_scan_algorithmE0ELj4294967295EEENS1_25partition_config_selectorILNS1_17partition_subalgoE4EjNS0_10empty_typeEbEEZZNS1_14partition_implILS8_4ELb0ES6_15HIP_vector_typeIjLj2EENS0_17counting_iteratorIjlEEPS9_SG_NS0_5tupleIJPjSI_NS0_16reverse_iteratorISI_EEEEENSH_IJSG_SG_SG_EEES9_SI_JZNS1_25segmented_radix_sort_implINS0_14default_configELb1EPKlPlSQ_SR_N2at6native12_GLOBAL__N_18offset_tEEE10hipError_tPvRmT1_PNSt15iterator_traitsISZ_E10value_typeET2_T3_PNS10_IS15_E10value_typeET4_jRbjT5_S1B_jjP12ihipStream_tbEUljE_ZNSN_ISO_Lb1ESQ_SR_SQ_SR_SV_EESW_SX_SY_SZ_S13_S14_S15_S18_S19_jS1A_jS1B_S1B_jjS1D_bEUljE0_EEESW_SX_SY_S15_S19_S1B_T6_T7_T9_mT8_S1D_bDpT10_ENKUlT_T0_E_clISt17integral_constantIbLb0EES1R_EEDaS1M_S1N_EUlS1M_E_NS1_11comp_targetILNS1_3genE4ELNS1_11target_archE910ELNS1_3gpuE8ELNS1_3repE0EEENS1_30default_config_static_selectorELNS0_4arch9wavefront6targetE0EEEvSZ_: ; @_ZN7rocprim17ROCPRIM_400000_NS6detail17trampoline_kernelINS0_13select_configILj256ELj13ELNS0_17block_load_methodE3ELS4_3ELS4_3ELNS0_20block_scan_algorithmE0ELj4294967295EEENS1_25partition_config_selectorILNS1_17partition_subalgoE4EjNS0_10empty_typeEbEEZZNS1_14partition_implILS8_4ELb0ES6_15HIP_vector_typeIjLj2EENS0_17counting_iteratorIjlEEPS9_SG_NS0_5tupleIJPjSI_NS0_16reverse_iteratorISI_EEEEENSH_IJSG_SG_SG_EEES9_SI_JZNS1_25segmented_radix_sort_implINS0_14default_configELb1EPKlPlSQ_SR_N2at6native12_GLOBAL__N_18offset_tEEE10hipError_tPvRmT1_PNSt15iterator_traitsISZ_E10value_typeET2_T3_PNS10_IS15_E10value_typeET4_jRbjT5_S1B_jjP12ihipStream_tbEUljE_ZNSN_ISO_Lb1ESQ_SR_SQ_SR_SV_EESW_SX_SY_SZ_S13_S14_S15_S18_S19_jS1A_jS1B_S1B_jjS1D_bEUljE0_EEESW_SX_SY_S15_S19_S1B_T6_T7_T9_mT8_S1D_bDpT10_ENKUlT_T0_E_clISt17integral_constantIbLb0EES1R_EEDaS1M_S1N_EUlS1M_E_NS1_11comp_targetILNS1_3genE4ELNS1_11target_archE910ELNS1_3gpuE8ELNS1_3repE0EEENS1_30default_config_static_selectorELNS0_4arch9wavefront6targetE0EEEvSZ_
; %bb.0:
	.section	.rodata,"a",@progbits
	.p2align	6, 0x0
	.amdhsa_kernel _ZN7rocprim17ROCPRIM_400000_NS6detail17trampoline_kernelINS0_13select_configILj256ELj13ELNS0_17block_load_methodE3ELS4_3ELS4_3ELNS0_20block_scan_algorithmE0ELj4294967295EEENS1_25partition_config_selectorILNS1_17partition_subalgoE4EjNS0_10empty_typeEbEEZZNS1_14partition_implILS8_4ELb0ES6_15HIP_vector_typeIjLj2EENS0_17counting_iteratorIjlEEPS9_SG_NS0_5tupleIJPjSI_NS0_16reverse_iteratorISI_EEEEENSH_IJSG_SG_SG_EEES9_SI_JZNS1_25segmented_radix_sort_implINS0_14default_configELb1EPKlPlSQ_SR_N2at6native12_GLOBAL__N_18offset_tEEE10hipError_tPvRmT1_PNSt15iterator_traitsISZ_E10value_typeET2_T3_PNS10_IS15_E10value_typeET4_jRbjT5_S1B_jjP12ihipStream_tbEUljE_ZNSN_ISO_Lb1ESQ_SR_SQ_SR_SV_EESW_SX_SY_SZ_S13_S14_S15_S18_S19_jS1A_jS1B_S1B_jjS1D_bEUljE0_EEESW_SX_SY_S15_S19_S1B_T6_T7_T9_mT8_S1D_bDpT10_ENKUlT_T0_E_clISt17integral_constantIbLb0EES1R_EEDaS1M_S1N_EUlS1M_E_NS1_11comp_targetILNS1_3genE4ELNS1_11target_archE910ELNS1_3gpuE8ELNS1_3repE0EEENS1_30default_config_static_selectorELNS0_4arch9wavefront6targetE0EEEvSZ_
		.amdhsa_group_segment_fixed_size 0
		.amdhsa_private_segment_fixed_size 0
		.amdhsa_kernarg_size 176
		.amdhsa_user_sgpr_count 2
		.amdhsa_user_sgpr_dispatch_ptr 0
		.amdhsa_user_sgpr_queue_ptr 0
		.amdhsa_user_sgpr_kernarg_segment_ptr 1
		.amdhsa_user_sgpr_dispatch_id 0
		.amdhsa_user_sgpr_private_segment_size 0
		.amdhsa_wavefront_size32 1
		.amdhsa_uses_dynamic_stack 0
		.amdhsa_enable_private_segment 0
		.amdhsa_system_sgpr_workgroup_id_x 1
		.amdhsa_system_sgpr_workgroup_id_y 0
		.amdhsa_system_sgpr_workgroup_id_z 0
		.amdhsa_system_sgpr_workgroup_info 0
		.amdhsa_system_vgpr_workitem_id 0
		.amdhsa_next_free_vgpr 1
		.amdhsa_next_free_sgpr 1
		.amdhsa_reserve_vcc 0
		.amdhsa_float_round_mode_32 0
		.amdhsa_float_round_mode_16_64 0
		.amdhsa_float_denorm_mode_32 3
		.amdhsa_float_denorm_mode_16_64 3
		.amdhsa_fp16_overflow 0
		.amdhsa_workgroup_processor_mode 1
		.amdhsa_memory_ordered 1
		.amdhsa_forward_progress 1
		.amdhsa_inst_pref_size 0
		.amdhsa_round_robin_scheduling 0
		.amdhsa_exception_fp_ieee_invalid_op 0
		.amdhsa_exception_fp_denorm_src 0
		.amdhsa_exception_fp_ieee_div_zero 0
		.amdhsa_exception_fp_ieee_overflow 0
		.amdhsa_exception_fp_ieee_underflow 0
		.amdhsa_exception_fp_ieee_inexact 0
		.amdhsa_exception_int_div_zero 0
	.end_amdhsa_kernel
	.section	.text._ZN7rocprim17ROCPRIM_400000_NS6detail17trampoline_kernelINS0_13select_configILj256ELj13ELNS0_17block_load_methodE3ELS4_3ELS4_3ELNS0_20block_scan_algorithmE0ELj4294967295EEENS1_25partition_config_selectorILNS1_17partition_subalgoE4EjNS0_10empty_typeEbEEZZNS1_14partition_implILS8_4ELb0ES6_15HIP_vector_typeIjLj2EENS0_17counting_iteratorIjlEEPS9_SG_NS0_5tupleIJPjSI_NS0_16reverse_iteratorISI_EEEEENSH_IJSG_SG_SG_EEES9_SI_JZNS1_25segmented_radix_sort_implINS0_14default_configELb1EPKlPlSQ_SR_N2at6native12_GLOBAL__N_18offset_tEEE10hipError_tPvRmT1_PNSt15iterator_traitsISZ_E10value_typeET2_T3_PNS10_IS15_E10value_typeET4_jRbjT5_S1B_jjP12ihipStream_tbEUljE_ZNSN_ISO_Lb1ESQ_SR_SQ_SR_SV_EESW_SX_SY_SZ_S13_S14_S15_S18_S19_jS1A_jS1B_S1B_jjS1D_bEUljE0_EEESW_SX_SY_S15_S19_S1B_T6_T7_T9_mT8_S1D_bDpT10_ENKUlT_T0_E_clISt17integral_constantIbLb0EES1R_EEDaS1M_S1N_EUlS1M_E_NS1_11comp_targetILNS1_3genE4ELNS1_11target_archE910ELNS1_3gpuE8ELNS1_3repE0EEENS1_30default_config_static_selectorELNS0_4arch9wavefront6targetE0EEEvSZ_,"axG",@progbits,_ZN7rocprim17ROCPRIM_400000_NS6detail17trampoline_kernelINS0_13select_configILj256ELj13ELNS0_17block_load_methodE3ELS4_3ELS4_3ELNS0_20block_scan_algorithmE0ELj4294967295EEENS1_25partition_config_selectorILNS1_17partition_subalgoE4EjNS0_10empty_typeEbEEZZNS1_14partition_implILS8_4ELb0ES6_15HIP_vector_typeIjLj2EENS0_17counting_iteratorIjlEEPS9_SG_NS0_5tupleIJPjSI_NS0_16reverse_iteratorISI_EEEEENSH_IJSG_SG_SG_EEES9_SI_JZNS1_25segmented_radix_sort_implINS0_14default_configELb1EPKlPlSQ_SR_N2at6native12_GLOBAL__N_18offset_tEEE10hipError_tPvRmT1_PNSt15iterator_traitsISZ_E10value_typeET2_T3_PNS10_IS15_E10value_typeET4_jRbjT5_S1B_jjP12ihipStream_tbEUljE_ZNSN_ISO_Lb1ESQ_SR_SQ_SR_SV_EESW_SX_SY_SZ_S13_S14_S15_S18_S19_jS1A_jS1B_S1B_jjS1D_bEUljE0_EEESW_SX_SY_S15_S19_S1B_T6_T7_T9_mT8_S1D_bDpT10_ENKUlT_T0_E_clISt17integral_constantIbLb0EES1R_EEDaS1M_S1N_EUlS1M_E_NS1_11comp_targetILNS1_3genE4ELNS1_11target_archE910ELNS1_3gpuE8ELNS1_3repE0EEENS1_30default_config_static_selectorELNS0_4arch9wavefront6targetE0EEEvSZ_,comdat
.Lfunc_end642:
	.size	_ZN7rocprim17ROCPRIM_400000_NS6detail17trampoline_kernelINS0_13select_configILj256ELj13ELNS0_17block_load_methodE3ELS4_3ELS4_3ELNS0_20block_scan_algorithmE0ELj4294967295EEENS1_25partition_config_selectorILNS1_17partition_subalgoE4EjNS0_10empty_typeEbEEZZNS1_14partition_implILS8_4ELb0ES6_15HIP_vector_typeIjLj2EENS0_17counting_iteratorIjlEEPS9_SG_NS0_5tupleIJPjSI_NS0_16reverse_iteratorISI_EEEEENSH_IJSG_SG_SG_EEES9_SI_JZNS1_25segmented_radix_sort_implINS0_14default_configELb1EPKlPlSQ_SR_N2at6native12_GLOBAL__N_18offset_tEEE10hipError_tPvRmT1_PNSt15iterator_traitsISZ_E10value_typeET2_T3_PNS10_IS15_E10value_typeET4_jRbjT5_S1B_jjP12ihipStream_tbEUljE_ZNSN_ISO_Lb1ESQ_SR_SQ_SR_SV_EESW_SX_SY_SZ_S13_S14_S15_S18_S19_jS1A_jS1B_S1B_jjS1D_bEUljE0_EEESW_SX_SY_S15_S19_S1B_T6_T7_T9_mT8_S1D_bDpT10_ENKUlT_T0_E_clISt17integral_constantIbLb0EES1R_EEDaS1M_S1N_EUlS1M_E_NS1_11comp_targetILNS1_3genE4ELNS1_11target_archE910ELNS1_3gpuE8ELNS1_3repE0EEENS1_30default_config_static_selectorELNS0_4arch9wavefront6targetE0EEEvSZ_, .Lfunc_end642-_ZN7rocprim17ROCPRIM_400000_NS6detail17trampoline_kernelINS0_13select_configILj256ELj13ELNS0_17block_load_methodE3ELS4_3ELS4_3ELNS0_20block_scan_algorithmE0ELj4294967295EEENS1_25partition_config_selectorILNS1_17partition_subalgoE4EjNS0_10empty_typeEbEEZZNS1_14partition_implILS8_4ELb0ES6_15HIP_vector_typeIjLj2EENS0_17counting_iteratorIjlEEPS9_SG_NS0_5tupleIJPjSI_NS0_16reverse_iteratorISI_EEEEENSH_IJSG_SG_SG_EEES9_SI_JZNS1_25segmented_radix_sort_implINS0_14default_configELb1EPKlPlSQ_SR_N2at6native12_GLOBAL__N_18offset_tEEE10hipError_tPvRmT1_PNSt15iterator_traitsISZ_E10value_typeET2_T3_PNS10_IS15_E10value_typeET4_jRbjT5_S1B_jjP12ihipStream_tbEUljE_ZNSN_ISO_Lb1ESQ_SR_SQ_SR_SV_EESW_SX_SY_SZ_S13_S14_S15_S18_S19_jS1A_jS1B_S1B_jjS1D_bEUljE0_EEESW_SX_SY_S15_S19_S1B_T6_T7_T9_mT8_S1D_bDpT10_ENKUlT_T0_E_clISt17integral_constantIbLb0EES1R_EEDaS1M_S1N_EUlS1M_E_NS1_11comp_targetILNS1_3genE4ELNS1_11target_archE910ELNS1_3gpuE8ELNS1_3repE0EEENS1_30default_config_static_selectorELNS0_4arch9wavefront6targetE0EEEvSZ_
                                        ; -- End function
	.set _ZN7rocprim17ROCPRIM_400000_NS6detail17trampoline_kernelINS0_13select_configILj256ELj13ELNS0_17block_load_methodE3ELS4_3ELS4_3ELNS0_20block_scan_algorithmE0ELj4294967295EEENS1_25partition_config_selectorILNS1_17partition_subalgoE4EjNS0_10empty_typeEbEEZZNS1_14partition_implILS8_4ELb0ES6_15HIP_vector_typeIjLj2EENS0_17counting_iteratorIjlEEPS9_SG_NS0_5tupleIJPjSI_NS0_16reverse_iteratorISI_EEEEENSH_IJSG_SG_SG_EEES9_SI_JZNS1_25segmented_radix_sort_implINS0_14default_configELb1EPKlPlSQ_SR_N2at6native12_GLOBAL__N_18offset_tEEE10hipError_tPvRmT1_PNSt15iterator_traitsISZ_E10value_typeET2_T3_PNS10_IS15_E10value_typeET4_jRbjT5_S1B_jjP12ihipStream_tbEUljE_ZNSN_ISO_Lb1ESQ_SR_SQ_SR_SV_EESW_SX_SY_SZ_S13_S14_S15_S18_S19_jS1A_jS1B_S1B_jjS1D_bEUljE0_EEESW_SX_SY_S15_S19_S1B_T6_T7_T9_mT8_S1D_bDpT10_ENKUlT_T0_E_clISt17integral_constantIbLb0EES1R_EEDaS1M_S1N_EUlS1M_E_NS1_11comp_targetILNS1_3genE4ELNS1_11target_archE910ELNS1_3gpuE8ELNS1_3repE0EEENS1_30default_config_static_selectorELNS0_4arch9wavefront6targetE0EEEvSZ_.num_vgpr, 0
	.set _ZN7rocprim17ROCPRIM_400000_NS6detail17trampoline_kernelINS0_13select_configILj256ELj13ELNS0_17block_load_methodE3ELS4_3ELS4_3ELNS0_20block_scan_algorithmE0ELj4294967295EEENS1_25partition_config_selectorILNS1_17partition_subalgoE4EjNS0_10empty_typeEbEEZZNS1_14partition_implILS8_4ELb0ES6_15HIP_vector_typeIjLj2EENS0_17counting_iteratorIjlEEPS9_SG_NS0_5tupleIJPjSI_NS0_16reverse_iteratorISI_EEEEENSH_IJSG_SG_SG_EEES9_SI_JZNS1_25segmented_radix_sort_implINS0_14default_configELb1EPKlPlSQ_SR_N2at6native12_GLOBAL__N_18offset_tEEE10hipError_tPvRmT1_PNSt15iterator_traitsISZ_E10value_typeET2_T3_PNS10_IS15_E10value_typeET4_jRbjT5_S1B_jjP12ihipStream_tbEUljE_ZNSN_ISO_Lb1ESQ_SR_SQ_SR_SV_EESW_SX_SY_SZ_S13_S14_S15_S18_S19_jS1A_jS1B_S1B_jjS1D_bEUljE0_EEESW_SX_SY_S15_S19_S1B_T6_T7_T9_mT8_S1D_bDpT10_ENKUlT_T0_E_clISt17integral_constantIbLb0EES1R_EEDaS1M_S1N_EUlS1M_E_NS1_11comp_targetILNS1_3genE4ELNS1_11target_archE910ELNS1_3gpuE8ELNS1_3repE0EEENS1_30default_config_static_selectorELNS0_4arch9wavefront6targetE0EEEvSZ_.num_agpr, 0
	.set _ZN7rocprim17ROCPRIM_400000_NS6detail17trampoline_kernelINS0_13select_configILj256ELj13ELNS0_17block_load_methodE3ELS4_3ELS4_3ELNS0_20block_scan_algorithmE0ELj4294967295EEENS1_25partition_config_selectorILNS1_17partition_subalgoE4EjNS0_10empty_typeEbEEZZNS1_14partition_implILS8_4ELb0ES6_15HIP_vector_typeIjLj2EENS0_17counting_iteratorIjlEEPS9_SG_NS0_5tupleIJPjSI_NS0_16reverse_iteratorISI_EEEEENSH_IJSG_SG_SG_EEES9_SI_JZNS1_25segmented_radix_sort_implINS0_14default_configELb1EPKlPlSQ_SR_N2at6native12_GLOBAL__N_18offset_tEEE10hipError_tPvRmT1_PNSt15iterator_traitsISZ_E10value_typeET2_T3_PNS10_IS15_E10value_typeET4_jRbjT5_S1B_jjP12ihipStream_tbEUljE_ZNSN_ISO_Lb1ESQ_SR_SQ_SR_SV_EESW_SX_SY_SZ_S13_S14_S15_S18_S19_jS1A_jS1B_S1B_jjS1D_bEUljE0_EEESW_SX_SY_S15_S19_S1B_T6_T7_T9_mT8_S1D_bDpT10_ENKUlT_T0_E_clISt17integral_constantIbLb0EES1R_EEDaS1M_S1N_EUlS1M_E_NS1_11comp_targetILNS1_3genE4ELNS1_11target_archE910ELNS1_3gpuE8ELNS1_3repE0EEENS1_30default_config_static_selectorELNS0_4arch9wavefront6targetE0EEEvSZ_.numbered_sgpr, 0
	.set _ZN7rocprim17ROCPRIM_400000_NS6detail17trampoline_kernelINS0_13select_configILj256ELj13ELNS0_17block_load_methodE3ELS4_3ELS4_3ELNS0_20block_scan_algorithmE0ELj4294967295EEENS1_25partition_config_selectorILNS1_17partition_subalgoE4EjNS0_10empty_typeEbEEZZNS1_14partition_implILS8_4ELb0ES6_15HIP_vector_typeIjLj2EENS0_17counting_iteratorIjlEEPS9_SG_NS0_5tupleIJPjSI_NS0_16reverse_iteratorISI_EEEEENSH_IJSG_SG_SG_EEES9_SI_JZNS1_25segmented_radix_sort_implINS0_14default_configELb1EPKlPlSQ_SR_N2at6native12_GLOBAL__N_18offset_tEEE10hipError_tPvRmT1_PNSt15iterator_traitsISZ_E10value_typeET2_T3_PNS10_IS15_E10value_typeET4_jRbjT5_S1B_jjP12ihipStream_tbEUljE_ZNSN_ISO_Lb1ESQ_SR_SQ_SR_SV_EESW_SX_SY_SZ_S13_S14_S15_S18_S19_jS1A_jS1B_S1B_jjS1D_bEUljE0_EEESW_SX_SY_S15_S19_S1B_T6_T7_T9_mT8_S1D_bDpT10_ENKUlT_T0_E_clISt17integral_constantIbLb0EES1R_EEDaS1M_S1N_EUlS1M_E_NS1_11comp_targetILNS1_3genE4ELNS1_11target_archE910ELNS1_3gpuE8ELNS1_3repE0EEENS1_30default_config_static_selectorELNS0_4arch9wavefront6targetE0EEEvSZ_.num_named_barrier, 0
	.set _ZN7rocprim17ROCPRIM_400000_NS6detail17trampoline_kernelINS0_13select_configILj256ELj13ELNS0_17block_load_methodE3ELS4_3ELS4_3ELNS0_20block_scan_algorithmE0ELj4294967295EEENS1_25partition_config_selectorILNS1_17partition_subalgoE4EjNS0_10empty_typeEbEEZZNS1_14partition_implILS8_4ELb0ES6_15HIP_vector_typeIjLj2EENS0_17counting_iteratorIjlEEPS9_SG_NS0_5tupleIJPjSI_NS0_16reverse_iteratorISI_EEEEENSH_IJSG_SG_SG_EEES9_SI_JZNS1_25segmented_radix_sort_implINS0_14default_configELb1EPKlPlSQ_SR_N2at6native12_GLOBAL__N_18offset_tEEE10hipError_tPvRmT1_PNSt15iterator_traitsISZ_E10value_typeET2_T3_PNS10_IS15_E10value_typeET4_jRbjT5_S1B_jjP12ihipStream_tbEUljE_ZNSN_ISO_Lb1ESQ_SR_SQ_SR_SV_EESW_SX_SY_SZ_S13_S14_S15_S18_S19_jS1A_jS1B_S1B_jjS1D_bEUljE0_EEESW_SX_SY_S15_S19_S1B_T6_T7_T9_mT8_S1D_bDpT10_ENKUlT_T0_E_clISt17integral_constantIbLb0EES1R_EEDaS1M_S1N_EUlS1M_E_NS1_11comp_targetILNS1_3genE4ELNS1_11target_archE910ELNS1_3gpuE8ELNS1_3repE0EEENS1_30default_config_static_selectorELNS0_4arch9wavefront6targetE0EEEvSZ_.private_seg_size, 0
	.set _ZN7rocprim17ROCPRIM_400000_NS6detail17trampoline_kernelINS0_13select_configILj256ELj13ELNS0_17block_load_methodE3ELS4_3ELS4_3ELNS0_20block_scan_algorithmE0ELj4294967295EEENS1_25partition_config_selectorILNS1_17partition_subalgoE4EjNS0_10empty_typeEbEEZZNS1_14partition_implILS8_4ELb0ES6_15HIP_vector_typeIjLj2EENS0_17counting_iteratorIjlEEPS9_SG_NS0_5tupleIJPjSI_NS0_16reverse_iteratorISI_EEEEENSH_IJSG_SG_SG_EEES9_SI_JZNS1_25segmented_radix_sort_implINS0_14default_configELb1EPKlPlSQ_SR_N2at6native12_GLOBAL__N_18offset_tEEE10hipError_tPvRmT1_PNSt15iterator_traitsISZ_E10value_typeET2_T3_PNS10_IS15_E10value_typeET4_jRbjT5_S1B_jjP12ihipStream_tbEUljE_ZNSN_ISO_Lb1ESQ_SR_SQ_SR_SV_EESW_SX_SY_SZ_S13_S14_S15_S18_S19_jS1A_jS1B_S1B_jjS1D_bEUljE0_EEESW_SX_SY_S15_S19_S1B_T6_T7_T9_mT8_S1D_bDpT10_ENKUlT_T0_E_clISt17integral_constantIbLb0EES1R_EEDaS1M_S1N_EUlS1M_E_NS1_11comp_targetILNS1_3genE4ELNS1_11target_archE910ELNS1_3gpuE8ELNS1_3repE0EEENS1_30default_config_static_selectorELNS0_4arch9wavefront6targetE0EEEvSZ_.uses_vcc, 0
	.set _ZN7rocprim17ROCPRIM_400000_NS6detail17trampoline_kernelINS0_13select_configILj256ELj13ELNS0_17block_load_methodE3ELS4_3ELS4_3ELNS0_20block_scan_algorithmE0ELj4294967295EEENS1_25partition_config_selectorILNS1_17partition_subalgoE4EjNS0_10empty_typeEbEEZZNS1_14partition_implILS8_4ELb0ES6_15HIP_vector_typeIjLj2EENS0_17counting_iteratorIjlEEPS9_SG_NS0_5tupleIJPjSI_NS0_16reverse_iteratorISI_EEEEENSH_IJSG_SG_SG_EEES9_SI_JZNS1_25segmented_radix_sort_implINS0_14default_configELb1EPKlPlSQ_SR_N2at6native12_GLOBAL__N_18offset_tEEE10hipError_tPvRmT1_PNSt15iterator_traitsISZ_E10value_typeET2_T3_PNS10_IS15_E10value_typeET4_jRbjT5_S1B_jjP12ihipStream_tbEUljE_ZNSN_ISO_Lb1ESQ_SR_SQ_SR_SV_EESW_SX_SY_SZ_S13_S14_S15_S18_S19_jS1A_jS1B_S1B_jjS1D_bEUljE0_EEESW_SX_SY_S15_S19_S1B_T6_T7_T9_mT8_S1D_bDpT10_ENKUlT_T0_E_clISt17integral_constantIbLb0EES1R_EEDaS1M_S1N_EUlS1M_E_NS1_11comp_targetILNS1_3genE4ELNS1_11target_archE910ELNS1_3gpuE8ELNS1_3repE0EEENS1_30default_config_static_selectorELNS0_4arch9wavefront6targetE0EEEvSZ_.uses_flat_scratch, 0
	.set _ZN7rocprim17ROCPRIM_400000_NS6detail17trampoline_kernelINS0_13select_configILj256ELj13ELNS0_17block_load_methodE3ELS4_3ELS4_3ELNS0_20block_scan_algorithmE0ELj4294967295EEENS1_25partition_config_selectorILNS1_17partition_subalgoE4EjNS0_10empty_typeEbEEZZNS1_14partition_implILS8_4ELb0ES6_15HIP_vector_typeIjLj2EENS0_17counting_iteratorIjlEEPS9_SG_NS0_5tupleIJPjSI_NS0_16reverse_iteratorISI_EEEEENSH_IJSG_SG_SG_EEES9_SI_JZNS1_25segmented_radix_sort_implINS0_14default_configELb1EPKlPlSQ_SR_N2at6native12_GLOBAL__N_18offset_tEEE10hipError_tPvRmT1_PNSt15iterator_traitsISZ_E10value_typeET2_T3_PNS10_IS15_E10value_typeET4_jRbjT5_S1B_jjP12ihipStream_tbEUljE_ZNSN_ISO_Lb1ESQ_SR_SQ_SR_SV_EESW_SX_SY_SZ_S13_S14_S15_S18_S19_jS1A_jS1B_S1B_jjS1D_bEUljE0_EEESW_SX_SY_S15_S19_S1B_T6_T7_T9_mT8_S1D_bDpT10_ENKUlT_T0_E_clISt17integral_constantIbLb0EES1R_EEDaS1M_S1N_EUlS1M_E_NS1_11comp_targetILNS1_3genE4ELNS1_11target_archE910ELNS1_3gpuE8ELNS1_3repE0EEENS1_30default_config_static_selectorELNS0_4arch9wavefront6targetE0EEEvSZ_.has_dyn_sized_stack, 0
	.set _ZN7rocprim17ROCPRIM_400000_NS6detail17trampoline_kernelINS0_13select_configILj256ELj13ELNS0_17block_load_methodE3ELS4_3ELS4_3ELNS0_20block_scan_algorithmE0ELj4294967295EEENS1_25partition_config_selectorILNS1_17partition_subalgoE4EjNS0_10empty_typeEbEEZZNS1_14partition_implILS8_4ELb0ES6_15HIP_vector_typeIjLj2EENS0_17counting_iteratorIjlEEPS9_SG_NS0_5tupleIJPjSI_NS0_16reverse_iteratorISI_EEEEENSH_IJSG_SG_SG_EEES9_SI_JZNS1_25segmented_radix_sort_implINS0_14default_configELb1EPKlPlSQ_SR_N2at6native12_GLOBAL__N_18offset_tEEE10hipError_tPvRmT1_PNSt15iterator_traitsISZ_E10value_typeET2_T3_PNS10_IS15_E10value_typeET4_jRbjT5_S1B_jjP12ihipStream_tbEUljE_ZNSN_ISO_Lb1ESQ_SR_SQ_SR_SV_EESW_SX_SY_SZ_S13_S14_S15_S18_S19_jS1A_jS1B_S1B_jjS1D_bEUljE0_EEESW_SX_SY_S15_S19_S1B_T6_T7_T9_mT8_S1D_bDpT10_ENKUlT_T0_E_clISt17integral_constantIbLb0EES1R_EEDaS1M_S1N_EUlS1M_E_NS1_11comp_targetILNS1_3genE4ELNS1_11target_archE910ELNS1_3gpuE8ELNS1_3repE0EEENS1_30default_config_static_selectorELNS0_4arch9wavefront6targetE0EEEvSZ_.has_recursion, 0
	.set _ZN7rocprim17ROCPRIM_400000_NS6detail17trampoline_kernelINS0_13select_configILj256ELj13ELNS0_17block_load_methodE3ELS4_3ELS4_3ELNS0_20block_scan_algorithmE0ELj4294967295EEENS1_25partition_config_selectorILNS1_17partition_subalgoE4EjNS0_10empty_typeEbEEZZNS1_14partition_implILS8_4ELb0ES6_15HIP_vector_typeIjLj2EENS0_17counting_iteratorIjlEEPS9_SG_NS0_5tupleIJPjSI_NS0_16reverse_iteratorISI_EEEEENSH_IJSG_SG_SG_EEES9_SI_JZNS1_25segmented_radix_sort_implINS0_14default_configELb1EPKlPlSQ_SR_N2at6native12_GLOBAL__N_18offset_tEEE10hipError_tPvRmT1_PNSt15iterator_traitsISZ_E10value_typeET2_T3_PNS10_IS15_E10value_typeET4_jRbjT5_S1B_jjP12ihipStream_tbEUljE_ZNSN_ISO_Lb1ESQ_SR_SQ_SR_SV_EESW_SX_SY_SZ_S13_S14_S15_S18_S19_jS1A_jS1B_S1B_jjS1D_bEUljE0_EEESW_SX_SY_S15_S19_S1B_T6_T7_T9_mT8_S1D_bDpT10_ENKUlT_T0_E_clISt17integral_constantIbLb0EES1R_EEDaS1M_S1N_EUlS1M_E_NS1_11comp_targetILNS1_3genE4ELNS1_11target_archE910ELNS1_3gpuE8ELNS1_3repE0EEENS1_30default_config_static_selectorELNS0_4arch9wavefront6targetE0EEEvSZ_.has_indirect_call, 0
	.section	.AMDGPU.csdata,"",@progbits
; Kernel info:
; codeLenInByte = 0
; TotalNumSgprs: 0
; NumVgprs: 0
; ScratchSize: 0
; MemoryBound: 0
; FloatMode: 240
; IeeeMode: 1
; LDSByteSize: 0 bytes/workgroup (compile time only)
; SGPRBlocks: 0
; VGPRBlocks: 0
; NumSGPRsForWavesPerEU: 1
; NumVGPRsForWavesPerEU: 1
; Occupancy: 16
; WaveLimiterHint : 0
; COMPUTE_PGM_RSRC2:SCRATCH_EN: 0
; COMPUTE_PGM_RSRC2:USER_SGPR: 2
; COMPUTE_PGM_RSRC2:TRAP_HANDLER: 0
; COMPUTE_PGM_RSRC2:TGID_X_EN: 1
; COMPUTE_PGM_RSRC2:TGID_Y_EN: 0
; COMPUTE_PGM_RSRC2:TGID_Z_EN: 0
; COMPUTE_PGM_RSRC2:TIDIG_COMP_CNT: 0
	.section	.text._ZN7rocprim17ROCPRIM_400000_NS6detail17trampoline_kernelINS0_13select_configILj256ELj13ELNS0_17block_load_methodE3ELS4_3ELS4_3ELNS0_20block_scan_algorithmE0ELj4294967295EEENS1_25partition_config_selectorILNS1_17partition_subalgoE4EjNS0_10empty_typeEbEEZZNS1_14partition_implILS8_4ELb0ES6_15HIP_vector_typeIjLj2EENS0_17counting_iteratorIjlEEPS9_SG_NS0_5tupleIJPjSI_NS0_16reverse_iteratorISI_EEEEENSH_IJSG_SG_SG_EEES9_SI_JZNS1_25segmented_radix_sort_implINS0_14default_configELb1EPKlPlSQ_SR_N2at6native12_GLOBAL__N_18offset_tEEE10hipError_tPvRmT1_PNSt15iterator_traitsISZ_E10value_typeET2_T3_PNS10_IS15_E10value_typeET4_jRbjT5_S1B_jjP12ihipStream_tbEUljE_ZNSN_ISO_Lb1ESQ_SR_SQ_SR_SV_EESW_SX_SY_SZ_S13_S14_S15_S18_S19_jS1A_jS1B_S1B_jjS1D_bEUljE0_EEESW_SX_SY_S15_S19_S1B_T6_T7_T9_mT8_S1D_bDpT10_ENKUlT_T0_E_clISt17integral_constantIbLb0EES1R_EEDaS1M_S1N_EUlS1M_E_NS1_11comp_targetILNS1_3genE3ELNS1_11target_archE908ELNS1_3gpuE7ELNS1_3repE0EEENS1_30default_config_static_selectorELNS0_4arch9wavefront6targetE0EEEvSZ_,"axG",@progbits,_ZN7rocprim17ROCPRIM_400000_NS6detail17trampoline_kernelINS0_13select_configILj256ELj13ELNS0_17block_load_methodE3ELS4_3ELS4_3ELNS0_20block_scan_algorithmE0ELj4294967295EEENS1_25partition_config_selectorILNS1_17partition_subalgoE4EjNS0_10empty_typeEbEEZZNS1_14partition_implILS8_4ELb0ES6_15HIP_vector_typeIjLj2EENS0_17counting_iteratorIjlEEPS9_SG_NS0_5tupleIJPjSI_NS0_16reverse_iteratorISI_EEEEENSH_IJSG_SG_SG_EEES9_SI_JZNS1_25segmented_radix_sort_implINS0_14default_configELb1EPKlPlSQ_SR_N2at6native12_GLOBAL__N_18offset_tEEE10hipError_tPvRmT1_PNSt15iterator_traitsISZ_E10value_typeET2_T3_PNS10_IS15_E10value_typeET4_jRbjT5_S1B_jjP12ihipStream_tbEUljE_ZNSN_ISO_Lb1ESQ_SR_SQ_SR_SV_EESW_SX_SY_SZ_S13_S14_S15_S18_S19_jS1A_jS1B_S1B_jjS1D_bEUljE0_EEESW_SX_SY_S15_S19_S1B_T6_T7_T9_mT8_S1D_bDpT10_ENKUlT_T0_E_clISt17integral_constantIbLb0EES1R_EEDaS1M_S1N_EUlS1M_E_NS1_11comp_targetILNS1_3genE3ELNS1_11target_archE908ELNS1_3gpuE7ELNS1_3repE0EEENS1_30default_config_static_selectorELNS0_4arch9wavefront6targetE0EEEvSZ_,comdat
	.globl	_ZN7rocprim17ROCPRIM_400000_NS6detail17trampoline_kernelINS0_13select_configILj256ELj13ELNS0_17block_load_methodE3ELS4_3ELS4_3ELNS0_20block_scan_algorithmE0ELj4294967295EEENS1_25partition_config_selectorILNS1_17partition_subalgoE4EjNS0_10empty_typeEbEEZZNS1_14partition_implILS8_4ELb0ES6_15HIP_vector_typeIjLj2EENS0_17counting_iteratorIjlEEPS9_SG_NS0_5tupleIJPjSI_NS0_16reverse_iteratorISI_EEEEENSH_IJSG_SG_SG_EEES9_SI_JZNS1_25segmented_radix_sort_implINS0_14default_configELb1EPKlPlSQ_SR_N2at6native12_GLOBAL__N_18offset_tEEE10hipError_tPvRmT1_PNSt15iterator_traitsISZ_E10value_typeET2_T3_PNS10_IS15_E10value_typeET4_jRbjT5_S1B_jjP12ihipStream_tbEUljE_ZNSN_ISO_Lb1ESQ_SR_SQ_SR_SV_EESW_SX_SY_SZ_S13_S14_S15_S18_S19_jS1A_jS1B_S1B_jjS1D_bEUljE0_EEESW_SX_SY_S15_S19_S1B_T6_T7_T9_mT8_S1D_bDpT10_ENKUlT_T0_E_clISt17integral_constantIbLb0EES1R_EEDaS1M_S1N_EUlS1M_E_NS1_11comp_targetILNS1_3genE3ELNS1_11target_archE908ELNS1_3gpuE7ELNS1_3repE0EEENS1_30default_config_static_selectorELNS0_4arch9wavefront6targetE0EEEvSZ_ ; -- Begin function _ZN7rocprim17ROCPRIM_400000_NS6detail17trampoline_kernelINS0_13select_configILj256ELj13ELNS0_17block_load_methodE3ELS4_3ELS4_3ELNS0_20block_scan_algorithmE0ELj4294967295EEENS1_25partition_config_selectorILNS1_17partition_subalgoE4EjNS0_10empty_typeEbEEZZNS1_14partition_implILS8_4ELb0ES6_15HIP_vector_typeIjLj2EENS0_17counting_iteratorIjlEEPS9_SG_NS0_5tupleIJPjSI_NS0_16reverse_iteratorISI_EEEEENSH_IJSG_SG_SG_EEES9_SI_JZNS1_25segmented_radix_sort_implINS0_14default_configELb1EPKlPlSQ_SR_N2at6native12_GLOBAL__N_18offset_tEEE10hipError_tPvRmT1_PNSt15iterator_traitsISZ_E10value_typeET2_T3_PNS10_IS15_E10value_typeET4_jRbjT5_S1B_jjP12ihipStream_tbEUljE_ZNSN_ISO_Lb1ESQ_SR_SQ_SR_SV_EESW_SX_SY_SZ_S13_S14_S15_S18_S19_jS1A_jS1B_S1B_jjS1D_bEUljE0_EEESW_SX_SY_S15_S19_S1B_T6_T7_T9_mT8_S1D_bDpT10_ENKUlT_T0_E_clISt17integral_constantIbLb0EES1R_EEDaS1M_S1N_EUlS1M_E_NS1_11comp_targetILNS1_3genE3ELNS1_11target_archE908ELNS1_3gpuE7ELNS1_3repE0EEENS1_30default_config_static_selectorELNS0_4arch9wavefront6targetE0EEEvSZ_
	.p2align	8
	.type	_ZN7rocprim17ROCPRIM_400000_NS6detail17trampoline_kernelINS0_13select_configILj256ELj13ELNS0_17block_load_methodE3ELS4_3ELS4_3ELNS0_20block_scan_algorithmE0ELj4294967295EEENS1_25partition_config_selectorILNS1_17partition_subalgoE4EjNS0_10empty_typeEbEEZZNS1_14partition_implILS8_4ELb0ES6_15HIP_vector_typeIjLj2EENS0_17counting_iteratorIjlEEPS9_SG_NS0_5tupleIJPjSI_NS0_16reverse_iteratorISI_EEEEENSH_IJSG_SG_SG_EEES9_SI_JZNS1_25segmented_radix_sort_implINS0_14default_configELb1EPKlPlSQ_SR_N2at6native12_GLOBAL__N_18offset_tEEE10hipError_tPvRmT1_PNSt15iterator_traitsISZ_E10value_typeET2_T3_PNS10_IS15_E10value_typeET4_jRbjT5_S1B_jjP12ihipStream_tbEUljE_ZNSN_ISO_Lb1ESQ_SR_SQ_SR_SV_EESW_SX_SY_SZ_S13_S14_S15_S18_S19_jS1A_jS1B_S1B_jjS1D_bEUljE0_EEESW_SX_SY_S15_S19_S1B_T6_T7_T9_mT8_S1D_bDpT10_ENKUlT_T0_E_clISt17integral_constantIbLb0EES1R_EEDaS1M_S1N_EUlS1M_E_NS1_11comp_targetILNS1_3genE3ELNS1_11target_archE908ELNS1_3gpuE7ELNS1_3repE0EEENS1_30default_config_static_selectorELNS0_4arch9wavefront6targetE0EEEvSZ_,@function
_ZN7rocprim17ROCPRIM_400000_NS6detail17trampoline_kernelINS0_13select_configILj256ELj13ELNS0_17block_load_methodE3ELS4_3ELS4_3ELNS0_20block_scan_algorithmE0ELj4294967295EEENS1_25partition_config_selectorILNS1_17partition_subalgoE4EjNS0_10empty_typeEbEEZZNS1_14partition_implILS8_4ELb0ES6_15HIP_vector_typeIjLj2EENS0_17counting_iteratorIjlEEPS9_SG_NS0_5tupleIJPjSI_NS0_16reverse_iteratorISI_EEEEENSH_IJSG_SG_SG_EEES9_SI_JZNS1_25segmented_radix_sort_implINS0_14default_configELb1EPKlPlSQ_SR_N2at6native12_GLOBAL__N_18offset_tEEE10hipError_tPvRmT1_PNSt15iterator_traitsISZ_E10value_typeET2_T3_PNS10_IS15_E10value_typeET4_jRbjT5_S1B_jjP12ihipStream_tbEUljE_ZNSN_ISO_Lb1ESQ_SR_SQ_SR_SV_EESW_SX_SY_SZ_S13_S14_S15_S18_S19_jS1A_jS1B_S1B_jjS1D_bEUljE0_EEESW_SX_SY_S15_S19_S1B_T6_T7_T9_mT8_S1D_bDpT10_ENKUlT_T0_E_clISt17integral_constantIbLb0EES1R_EEDaS1M_S1N_EUlS1M_E_NS1_11comp_targetILNS1_3genE3ELNS1_11target_archE908ELNS1_3gpuE7ELNS1_3repE0EEENS1_30default_config_static_selectorELNS0_4arch9wavefront6targetE0EEEvSZ_: ; @_ZN7rocprim17ROCPRIM_400000_NS6detail17trampoline_kernelINS0_13select_configILj256ELj13ELNS0_17block_load_methodE3ELS4_3ELS4_3ELNS0_20block_scan_algorithmE0ELj4294967295EEENS1_25partition_config_selectorILNS1_17partition_subalgoE4EjNS0_10empty_typeEbEEZZNS1_14partition_implILS8_4ELb0ES6_15HIP_vector_typeIjLj2EENS0_17counting_iteratorIjlEEPS9_SG_NS0_5tupleIJPjSI_NS0_16reverse_iteratorISI_EEEEENSH_IJSG_SG_SG_EEES9_SI_JZNS1_25segmented_radix_sort_implINS0_14default_configELb1EPKlPlSQ_SR_N2at6native12_GLOBAL__N_18offset_tEEE10hipError_tPvRmT1_PNSt15iterator_traitsISZ_E10value_typeET2_T3_PNS10_IS15_E10value_typeET4_jRbjT5_S1B_jjP12ihipStream_tbEUljE_ZNSN_ISO_Lb1ESQ_SR_SQ_SR_SV_EESW_SX_SY_SZ_S13_S14_S15_S18_S19_jS1A_jS1B_S1B_jjS1D_bEUljE0_EEESW_SX_SY_S15_S19_S1B_T6_T7_T9_mT8_S1D_bDpT10_ENKUlT_T0_E_clISt17integral_constantIbLb0EES1R_EEDaS1M_S1N_EUlS1M_E_NS1_11comp_targetILNS1_3genE3ELNS1_11target_archE908ELNS1_3gpuE7ELNS1_3repE0EEENS1_30default_config_static_selectorELNS0_4arch9wavefront6targetE0EEEvSZ_
; %bb.0:
	.section	.rodata,"a",@progbits
	.p2align	6, 0x0
	.amdhsa_kernel _ZN7rocprim17ROCPRIM_400000_NS6detail17trampoline_kernelINS0_13select_configILj256ELj13ELNS0_17block_load_methodE3ELS4_3ELS4_3ELNS0_20block_scan_algorithmE0ELj4294967295EEENS1_25partition_config_selectorILNS1_17partition_subalgoE4EjNS0_10empty_typeEbEEZZNS1_14partition_implILS8_4ELb0ES6_15HIP_vector_typeIjLj2EENS0_17counting_iteratorIjlEEPS9_SG_NS0_5tupleIJPjSI_NS0_16reverse_iteratorISI_EEEEENSH_IJSG_SG_SG_EEES9_SI_JZNS1_25segmented_radix_sort_implINS0_14default_configELb1EPKlPlSQ_SR_N2at6native12_GLOBAL__N_18offset_tEEE10hipError_tPvRmT1_PNSt15iterator_traitsISZ_E10value_typeET2_T3_PNS10_IS15_E10value_typeET4_jRbjT5_S1B_jjP12ihipStream_tbEUljE_ZNSN_ISO_Lb1ESQ_SR_SQ_SR_SV_EESW_SX_SY_SZ_S13_S14_S15_S18_S19_jS1A_jS1B_S1B_jjS1D_bEUljE0_EEESW_SX_SY_S15_S19_S1B_T6_T7_T9_mT8_S1D_bDpT10_ENKUlT_T0_E_clISt17integral_constantIbLb0EES1R_EEDaS1M_S1N_EUlS1M_E_NS1_11comp_targetILNS1_3genE3ELNS1_11target_archE908ELNS1_3gpuE7ELNS1_3repE0EEENS1_30default_config_static_selectorELNS0_4arch9wavefront6targetE0EEEvSZ_
		.amdhsa_group_segment_fixed_size 0
		.amdhsa_private_segment_fixed_size 0
		.amdhsa_kernarg_size 176
		.amdhsa_user_sgpr_count 2
		.amdhsa_user_sgpr_dispatch_ptr 0
		.amdhsa_user_sgpr_queue_ptr 0
		.amdhsa_user_sgpr_kernarg_segment_ptr 1
		.amdhsa_user_sgpr_dispatch_id 0
		.amdhsa_user_sgpr_private_segment_size 0
		.amdhsa_wavefront_size32 1
		.amdhsa_uses_dynamic_stack 0
		.amdhsa_enable_private_segment 0
		.amdhsa_system_sgpr_workgroup_id_x 1
		.amdhsa_system_sgpr_workgroup_id_y 0
		.amdhsa_system_sgpr_workgroup_id_z 0
		.amdhsa_system_sgpr_workgroup_info 0
		.amdhsa_system_vgpr_workitem_id 0
		.amdhsa_next_free_vgpr 1
		.amdhsa_next_free_sgpr 1
		.amdhsa_reserve_vcc 0
		.amdhsa_float_round_mode_32 0
		.amdhsa_float_round_mode_16_64 0
		.amdhsa_float_denorm_mode_32 3
		.amdhsa_float_denorm_mode_16_64 3
		.amdhsa_fp16_overflow 0
		.amdhsa_workgroup_processor_mode 1
		.amdhsa_memory_ordered 1
		.amdhsa_forward_progress 1
		.amdhsa_inst_pref_size 0
		.amdhsa_round_robin_scheduling 0
		.amdhsa_exception_fp_ieee_invalid_op 0
		.amdhsa_exception_fp_denorm_src 0
		.amdhsa_exception_fp_ieee_div_zero 0
		.amdhsa_exception_fp_ieee_overflow 0
		.amdhsa_exception_fp_ieee_underflow 0
		.amdhsa_exception_fp_ieee_inexact 0
		.amdhsa_exception_int_div_zero 0
	.end_amdhsa_kernel
	.section	.text._ZN7rocprim17ROCPRIM_400000_NS6detail17trampoline_kernelINS0_13select_configILj256ELj13ELNS0_17block_load_methodE3ELS4_3ELS4_3ELNS0_20block_scan_algorithmE0ELj4294967295EEENS1_25partition_config_selectorILNS1_17partition_subalgoE4EjNS0_10empty_typeEbEEZZNS1_14partition_implILS8_4ELb0ES6_15HIP_vector_typeIjLj2EENS0_17counting_iteratorIjlEEPS9_SG_NS0_5tupleIJPjSI_NS0_16reverse_iteratorISI_EEEEENSH_IJSG_SG_SG_EEES9_SI_JZNS1_25segmented_radix_sort_implINS0_14default_configELb1EPKlPlSQ_SR_N2at6native12_GLOBAL__N_18offset_tEEE10hipError_tPvRmT1_PNSt15iterator_traitsISZ_E10value_typeET2_T3_PNS10_IS15_E10value_typeET4_jRbjT5_S1B_jjP12ihipStream_tbEUljE_ZNSN_ISO_Lb1ESQ_SR_SQ_SR_SV_EESW_SX_SY_SZ_S13_S14_S15_S18_S19_jS1A_jS1B_S1B_jjS1D_bEUljE0_EEESW_SX_SY_S15_S19_S1B_T6_T7_T9_mT8_S1D_bDpT10_ENKUlT_T0_E_clISt17integral_constantIbLb0EES1R_EEDaS1M_S1N_EUlS1M_E_NS1_11comp_targetILNS1_3genE3ELNS1_11target_archE908ELNS1_3gpuE7ELNS1_3repE0EEENS1_30default_config_static_selectorELNS0_4arch9wavefront6targetE0EEEvSZ_,"axG",@progbits,_ZN7rocprim17ROCPRIM_400000_NS6detail17trampoline_kernelINS0_13select_configILj256ELj13ELNS0_17block_load_methodE3ELS4_3ELS4_3ELNS0_20block_scan_algorithmE0ELj4294967295EEENS1_25partition_config_selectorILNS1_17partition_subalgoE4EjNS0_10empty_typeEbEEZZNS1_14partition_implILS8_4ELb0ES6_15HIP_vector_typeIjLj2EENS0_17counting_iteratorIjlEEPS9_SG_NS0_5tupleIJPjSI_NS0_16reverse_iteratorISI_EEEEENSH_IJSG_SG_SG_EEES9_SI_JZNS1_25segmented_radix_sort_implINS0_14default_configELb1EPKlPlSQ_SR_N2at6native12_GLOBAL__N_18offset_tEEE10hipError_tPvRmT1_PNSt15iterator_traitsISZ_E10value_typeET2_T3_PNS10_IS15_E10value_typeET4_jRbjT5_S1B_jjP12ihipStream_tbEUljE_ZNSN_ISO_Lb1ESQ_SR_SQ_SR_SV_EESW_SX_SY_SZ_S13_S14_S15_S18_S19_jS1A_jS1B_S1B_jjS1D_bEUljE0_EEESW_SX_SY_S15_S19_S1B_T6_T7_T9_mT8_S1D_bDpT10_ENKUlT_T0_E_clISt17integral_constantIbLb0EES1R_EEDaS1M_S1N_EUlS1M_E_NS1_11comp_targetILNS1_3genE3ELNS1_11target_archE908ELNS1_3gpuE7ELNS1_3repE0EEENS1_30default_config_static_selectorELNS0_4arch9wavefront6targetE0EEEvSZ_,comdat
.Lfunc_end643:
	.size	_ZN7rocprim17ROCPRIM_400000_NS6detail17trampoline_kernelINS0_13select_configILj256ELj13ELNS0_17block_load_methodE3ELS4_3ELS4_3ELNS0_20block_scan_algorithmE0ELj4294967295EEENS1_25partition_config_selectorILNS1_17partition_subalgoE4EjNS0_10empty_typeEbEEZZNS1_14partition_implILS8_4ELb0ES6_15HIP_vector_typeIjLj2EENS0_17counting_iteratorIjlEEPS9_SG_NS0_5tupleIJPjSI_NS0_16reverse_iteratorISI_EEEEENSH_IJSG_SG_SG_EEES9_SI_JZNS1_25segmented_radix_sort_implINS0_14default_configELb1EPKlPlSQ_SR_N2at6native12_GLOBAL__N_18offset_tEEE10hipError_tPvRmT1_PNSt15iterator_traitsISZ_E10value_typeET2_T3_PNS10_IS15_E10value_typeET4_jRbjT5_S1B_jjP12ihipStream_tbEUljE_ZNSN_ISO_Lb1ESQ_SR_SQ_SR_SV_EESW_SX_SY_SZ_S13_S14_S15_S18_S19_jS1A_jS1B_S1B_jjS1D_bEUljE0_EEESW_SX_SY_S15_S19_S1B_T6_T7_T9_mT8_S1D_bDpT10_ENKUlT_T0_E_clISt17integral_constantIbLb0EES1R_EEDaS1M_S1N_EUlS1M_E_NS1_11comp_targetILNS1_3genE3ELNS1_11target_archE908ELNS1_3gpuE7ELNS1_3repE0EEENS1_30default_config_static_selectorELNS0_4arch9wavefront6targetE0EEEvSZ_, .Lfunc_end643-_ZN7rocprim17ROCPRIM_400000_NS6detail17trampoline_kernelINS0_13select_configILj256ELj13ELNS0_17block_load_methodE3ELS4_3ELS4_3ELNS0_20block_scan_algorithmE0ELj4294967295EEENS1_25partition_config_selectorILNS1_17partition_subalgoE4EjNS0_10empty_typeEbEEZZNS1_14partition_implILS8_4ELb0ES6_15HIP_vector_typeIjLj2EENS0_17counting_iteratorIjlEEPS9_SG_NS0_5tupleIJPjSI_NS0_16reverse_iteratorISI_EEEEENSH_IJSG_SG_SG_EEES9_SI_JZNS1_25segmented_radix_sort_implINS0_14default_configELb1EPKlPlSQ_SR_N2at6native12_GLOBAL__N_18offset_tEEE10hipError_tPvRmT1_PNSt15iterator_traitsISZ_E10value_typeET2_T3_PNS10_IS15_E10value_typeET4_jRbjT5_S1B_jjP12ihipStream_tbEUljE_ZNSN_ISO_Lb1ESQ_SR_SQ_SR_SV_EESW_SX_SY_SZ_S13_S14_S15_S18_S19_jS1A_jS1B_S1B_jjS1D_bEUljE0_EEESW_SX_SY_S15_S19_S1B_T6_T7_T9_mT8_S1D_bDpT10_ENKUlT_T0_E_clISt17integral_constantIbLb0EES1R_EEDaS1M_S1N_EUlS1M_E_NS1_11comp_targetILNS1_3genE3ELNS1_11target_archE908ELNS1_3gpuE7ELNS1_3repE0EEENS1_30default_config_static_selectorELNS0_4arch9wavefront6targetE0EEEvSZ_
                                        ; -- End function
	.set _ZN7rocprim17ROCPRIM_400000_NS6detail17trampoline_kernelINS0_13select_configILj256ELj13ELNS0_17block_load_methodE3ELS4_3ELS4_3ELNS0_20block_scan_algorithmE0ELj4294967295EEENS1_25partition_config_selectorILNS1_17partition_subalgoE4EjNS0_10empty_typeEbEEZZNS1_14partition_implILS8_4ELb0ES6_15HIP_vector_typeIjLj2EENS0_17counting_iteratorIjlEEPS9_SG_NS0_5tupleIJPjSI_NS0_16reverse_iteratorISI_EEEEENSH_IJSG_SG_SG_EEES9_SI_JZNS1_25segmented_radix_sort_implINS0_14default_configELb1EPKlPlSQ_SR_N2at6native12_GLOBAL__N_18offset_tEEE10hipError_tPvRmT1_PNSt15iterator_traitsISZ_E10value_typeET2_T3_PNS10_IS15_E10value_typeET4_jRbjT5_S1B_jjP12ihipStream_tbEUljE_ZNSN_ISO_Lb1ESQ_SR_SQ_SR_SV_EESW_SX_SY_SZ_S13_S14_S15_S18_S19_jS1A_jS1B_S1B_jjS1D_bEUljE0_EEESW_SX_SY_S15_S19_S1B_T6_T7_T9_mT8_S1D_bDpT10_ENKUlT_T0_E_clISt17integral_constantIbLb0EES1R_EEDaS1M_S1N_EUlS1M_E_NS1_11comp_targetILNS1_3genE3ELNS1_11target_archE908ELNS1_3gpuE7ELNS1_3repE0EEENS1_30default_config_static_selectorELNS0_4arch9wavefront6targetE0EEEvSZ_.num_vgpr, 0
	.set _ZN7rocprim17ROCPRIM_400000_NS6detail17trampoline_kernelINS0_13select_configILj256ELj13ELNS0_17block_load_methodE3ELS4_3ELS4_3ELNS0_20block_scan_algorithmE0ELj4294967295EEENS1_25partition_config_selectorILNS1_17partition_subalgoE4EjNS0_10empty_typeEbEEZZNS1_14partition_implILS8_4ELb0ES6_15HIP_vector_typeIjLj2EENS0_17counting_iteratorIjlEEPS9_SG_NS0_5tupleIJPjSI_NS0_16reverse_iteratorISI_EEEEENSH_IJSG_SG_SG_EEES9_SI_JZNS1_25segmented_radix_sort_implINS0_14default_configELb1EPKlPlSQ_SR_N2at6native12_GLOBAL__N_18offset_tEEE10hipError_tPvRmT1_PNSt15iterator_traitsISZ_E10value_typeET2_T3_PNS10_IS15_E10value_typeET4_jRbjT5_S1B_jjP12ihipStream_tbEUljE_ZNSN_ISO_Lb1ESQ_SR_SQ_SR_SV_EESW_SX_SY_SZ_S13_S14_S15_S18_S19_jS1A_jS1B_S1B_jjS1D_bEUljE0_EEESW_SX_SY_S15_S19_S1B_T6_T7_T9_mT8_S1D_bDpT10_ENKUlT_T0_E_clISt17integral_constantIbLb0EES1R_EEDaS1M_S1N_EUlS1M_E_NS1_11comp_targetILNS1_3genE3ELNS1_11target_archE908ELNS1_3gpuE7ELNS1_3repE0EEENS1_30default_config_static_selectorELNS0_4arch9wavefront6targetE0EEEvSZ_.num_agpr, 0
	.set _ZN7rocprim17ROCPRIM_400000_NS6detail17trampoline_kernelINS0_13select_configILj256ELj13ELNS0_17block_load_methodE3ELS4_3ELS4_3ELNS0_20block_scan_algorithmE0ELj4294967295EEENS1_25partition_config_selectorILNS1_17partition_subalgoE4EjNS0_10empty_typeEbEEZZNS1_14partition_implILS8_4ELb0ES6_15HIP_vector_typeIjLj2EENS0_17counting_iteratorIjlEEPS9_SG_NS0_5tupleIJPjSI_NS0_16reverse_iteratorISI_EEEEENSH_IJSG_SG_SG_EEES9_SI_JZNS1_25segmented_radix_sort_implINS0_14default_configELb1EPKlPlSQ_SR_N2at6native12_GLOBAL__N_18offset_tEEE10hipError_tPvRmT1_PNSt15iterator_traitsISZ_E10value_typeET2_T3_PNS10_IS15_E10value_typeET4_jRbjT5_S1B_jjP12ihipStream_tbEUljE_ZNSN_ISO_Lb1ESQ_SR_SQ_SR_SV_EESW_SX_SY_SZ_S13_S14_S15_S18_S19_jS1A_jS1B_S1B_jjS1D_bEUljE0_EEESW_SX_SY_S15_S19_S1B_T6_T7_T9_mT8_S1D_bDpT10_ENKUlT_T0_E_clISt17integral_constantIbLb0EES1R_EEDaS1M_S1N_EUlS1M_E_NS1_11comp_targetILNS1_3genE3ELNS1_11target_archE908ELNS1_3gpuE7ELNS1_3repE0EEENS1_30default_config_static_selectorELNS0_4arch9wavefront6targetE0EEEvSZ_.numbered_sgpr, 0
	.set _ZN7rocprim17ROCPRIM_400000_NS6detail17trampoline_kernelINS0_13select_configILj256ELj13ELNS0_17block_load_methodE3ELS4_3ELS4_3ELNS0_20block_scan_algorithmE0ELj4294967295EEENS1_25partition_config_selectorILNS1_17partition_subalgoE4EjNS0_10empty_typeEbEEZZNS1_14partition_implILS8_4ELb0ES6_15HIP_vector_typeIjLj2EENS0_17counting_iteratorIjlEEPS9_SG_NS0_5tupleIJPjSI_NS0_16reverse_iteratorISI_EEEEENSH_IJSG_SG_SG_EEES9_SI_JZNS1_25segmented_radix_sort_implINS0_14default_configELb1EPKlPlSQ_SR_N2at6native12_GLOBAL__N_18offset_tEEE10hipError_tPvRmT1_PNSt15iterator_traitsISZ_E10value_typeET2_T3_PNS10_IS15_E10value_typeET4_jRbjT5_S1B_jjP12ihipStream_tbEUljE_ZNSN_ISO_Lb1ESQ_SR_SQ_SR_SV_EESW_SX_SY_SZ_S13_S14_S15_S18_S19_jS1A_jS1B_S1B_jjS1D_bEUljE0_EEESW_SX_SY_S15_S19_S1B_T6_T7_T9_mT8_S1D_bDpT10_ENKUlT_T0_E_clISt17integral_constantIbLb0EES1R_EEDaS1M_S1N_EUlS1M_E_NS1_11comp_targetILNS1_3genE3ELNS1_11target_archE908ELNS1_3gpuE7ELNS1_3repE0EEENS1_30default_config_static_selectorELNS0_4arch9wavefront6targetE0EEEvSZ_.num_named_barrier, 0
	.set _ZN7rocprim17ROCPRIM_400000_NS6detail17trampoline_kernelINS0_13select_configILj256ELj13ELNS0_17block_load_methodE3ELS4_3ELS4_3ELNS0_20block_scan_algorithmE0ELj4294967295EEENS1_25partition_config_selectorILNS1_17partition_subalgoE4EjNS0_10empty_typeEbEEZZNS1_14partition_implILS8_4ELb0ES6_15HIP_vector_typeIjLj2EENS0_17counting_iteratorIjlEEPS9_SG_NS0_5tupleIJPjSI_NS0_16reverse_iteratorISI_EEEEENSH_IJSG_SG_SG_EEES9_SI_JZNS1_25segmented_radix_sort_implINS0_14default_configELb1EPKlPlSQ_SR_N2at6native12_GLOBAL__N_18offset_tEEE10hipError_tPvRmT1_PNSt15iterator_traitsISZ_E10value_typeET2_T3_PNS10_IS15_E10value_typeET4_jRbjT5_S1B_jjP12ihipStream_tbEUljE_ZNSN_ISO_Lb1ESQ_SR_SQ_SR_SV_EESW_SX_SY_SZ_S13_S14_S15_S18_S19_jS1A_jS1B_S1B_jjS1D_bEUljE0_EEESW_SX_SY_S15_S19_S1B_T6_T7_T9_mT8_S1D_bDpT10_ENKUlT_T0_E_clISt17integral_constantIbLb0EES1R_EEDaS1M_S1N_EUlS1M_E_NS1_11comp_targetILNS1_3genE3ELNS1_11target_archE908ELNS1_3gpuE7ELNS1_3repE0EEENS1_30default_config_static_selectorELNS0_4arch9wavefront6targetE0EEEvSZ_.private_seg_size, 0
	.set _ZN7rocprim17ROCPRIM_400000_NS6detail17trampoline_kernelINS0_13select_configILj256ELj13ELNS0_17block_load_methodE3ELS4_3ELS4_3ELNS0_20block_scan_algorithmE0ELj4294967295EEENS1_25partition_config_selectorILNS1_17partition_subalgoE4EjNS0_10empty_typeEbEEZZNS1_14partition_implILS8_4ELb0ES6_15HIP_vector_typeIjLj2EENS0_17counting_iteratorIjlEEPS9_SG_NS0_5tupleIJPjSI_NS0_16reverse_iteratorISI_EEEEENSH_IJSG_SG_SG_EEES9_SI_JZNS1_25segmented_radix_sort_implINS0_14default_configELb1EPKlPlSQ_SR_N2at6native12_GLOBAL__N_18offset_tEEE10hipError_tPvRmT1_PNSt15iterator_traitsISZ_E10value_typeET2_T3_PNS10_IS15_E10value_typeET4_jRbjT5_S1B_jjP12ihipStream_tbEUljE_ZNSN_ISO_Lb1ESQ_SR_SQ_SR_SV_EESW_SX_SY_SZ_S13_S14_S15_S18_S19_jS1A_jS1B_S1B_jjS1D_bEUljE0_EEESW_SX_SY_S15_S19_S1B_T6_T7_T9_mT8_S1D_bDpT10_ENKUlT_T0_E_clISt17integral_constantIbLb0EES1R_EEDaS1M_S1N_EUlS1M_E_NS1_11comp_targetILNS1_3genE3ELNS1_11target_archE908ELNS1_3gpuE7ELNS1_3repE0EEENS1_30default_config_static_selectorELNS0_4arch9wavefront6targetE0EEEvSZ_.uses_vcc, 0
	.set _ZN7rocprim17ROCPRIM_400000_NS6detail17trampoline_kernelINS0_13select_configILj256ELj13ELNS0_17block_load_methodE3ELS4_3ELS4_3ELNS0_20block_scan_algorithmE0ELj4294967295EEENS1_25partition_config_selectorILNS1_17partition_subalgoE4EjNS0_10empty_typeEbEEZZNS1_14partition_implILS8_4ELb0ES6_15HIP_vector_typeIjLj2EENS0_17counting_iteratorIjlEEPS9_SG_NS0_5tupleIJPjSI_NS0_16reverse_iteratorISI_EEEEENSH_IJSG_SG_SG_EEES9_SI_JZNS1_25segmented_radix_sort_implINS0_14default_configELb1EPKlPlSQ_SR_N2at6native12_GLOBAL__N_18offset_tEEE10hipError_tPvRmT1_PNSt15iterator_traitsISZ_E10value_typeET2_T3_PNS10_IS15_E10value_typeET4_jRbjT5_S1B_jjP12ihipStream_tbEUljE_ZNSN_ISO_Lb1ESQ_SR_SQ_SR_SV_EESW_SX_SY_SZ_S13_S14_S15_S18_S19_jS1A_jS1B_S1B_jjS1D_bEUljE0_EEESW_SX_SY_S15_S19_S1B_T6_T7_T9_mT8_S1D_bDpT10_ENKUlT_T0_E_clISt17integral_constantIbLb0EES1R_EEDaS1M_S1N_EUlS1M_E_NS1_11comp_targetILNS1_3genE3ELNS1_11target_archE908ELNS1_3gpuE7ELNS1_3repE0EEENS1_30default_config_static_selectorELNS0_4arch9wavefront6targetE0EEEvSZ_.uses_flat_scratch, 0
	.set _ZN7rocprim17ROCPRIM_400000_NS6detail17trampoline_kernelINS0_13select_configILj256ELj13ELNS0_17block_load_methodE3ELS4_3ELS4_3ELNS0_20block_scan_algorithmE0ELj4294967295EEENS1_25partition_config_selectorILNS1_17partition_subalgoE4EjNS0_10empty_typeEbEEZZNS1_14partition_implILS8_4ELb0ES6_15HIP_vector_typeIjLj2EENS0_17counting_iteratorIjlEEPS9_SG_NS0_5tupleIJPjSI_NS0_16reverse_iteratorISI_EEEEENSH_IJSG_SG_SG_EEES9_SI_JZNS1_25segmented_radix_sort_implINS0_14default_configELb1EPKlPlSQ_SR_N2at6native12_GLOBAL__N_18offset_tEEE10hipError_tPvRmT1_PNSt15iterator_traitsISZ_E10value_typeET2_T3_PNS10_IS15_E10value_typeET4_jRbjT5_S1B_jjP12ihipStream_tbEUljE_ZNSN_ISO_Lb1ESQ_SR_SQ_SR_SV_EESW_SX_SY_SZ_S13_S14_S15_S18_S19_jS1A_jS1B_S1B_jjS1D_bEUljE0_EEESW_SX_SY_S15_S19_S1B_T6_T7_T9_mT8_S1D_bDpT10_ENKUlT_T0_E_clISt17integral_constantIbLb0EES1R_EEDaS1M_S1N_EUlS1M_E_NS1_11comp_targetILNS1_3genE3ELNS1_11target_archE908ELNS1_3gpuE7ELNS1_3repE0EEENS1_30default_config_static_selectorELNS0_4arch9wavefront6targetE0EEEvSZ_.has_dyn_sized_stack, 0
	.set _ZN7rocprim17ROCPRIM_400000_NS6detail17trampoline_kernelINS0_13select_configILj256ELj13ELNS0_17block_load_methodE3ELS4_3ELS4_3ELNS0_20block_scan_algorithmE0ELj4294967295EEENS1_25partition_config_selectorILNS1_17partition_subalgoE4EjNS0_10empty_typeEbEEZZNS1_14partition_implILS8_4ELb0ES6_15HIP_vector_typeIjLj2EENS0_17counting_iteratorIjlEEPS9_SG_NS0_5tupleIJPjSI_NS0_16reverse_iteratorISI_EEEEENSH_IJSG_SG_SG_EEES9_SI_JZNS1_25segmented_radix_sort_implINS0_14default_configELb1EPKlPlSQ_SR_N2at6native12_GLOBAL__N_18offset_tEEE10hipError_tPvRmT1_PNSt15iterator_traitsISZ_E10value_typeET2_T3_PNS10_IS15_E10value_typeET4_jRbjT5_S1B_jjP12ihipStream_tbEUljE_ZNSN_ISO_Lb1ESQ_SR_SQ_SR_SV_EESW_SX_SY_SZ_S13_S14_S15_S18_S19_jS1A_jS1B_S1B_jjS1D_bEUljE0_EEESW_SX_SY_S15_S19_S1B_T6_T7_T9_mT8_S1D_bDpT10_ENKUlT_T0_E_clISt17integral_constantIbLb0EES1R_EEDaS1M_S1N_EUlS1M_E_NS1_11comp_targetILNS1_3genE3ELNS1_11target_archE908ELNS1_3gpuE7ELNS1_3repE0EEENS1_30default_config_static_selectorELNS0_4arch9wavefront6targetE0EEEvSZ_.has_recursion, 0
	.set _ZN7rocprim17ROCPRIM_400000_NS6detail17trampoline_kernelINS0_13select_configILj256ELj13ELNS0_17block_load_methodE3ELS4_3ELS4_3ELNS0_20block_scan_algorithmE0ELj4294967295EEENS1_25partition_config_selectorILNS1_17partition_subalgoE4EjNS0_10empty_typeEbEEZZNS1_14partition_implILS8_4ELb0ES6_15HIP_vector_typeIjLj2EENS0_17counting_iteratorIjlEEPS9_SG_NS0_5tupleIJPjSI_NS0_16reverse_iteratorISI_EEEEENSH_IJSG_SG_SG_EEES9_SI_JZNS1_25segmented_radix_sort_implINS0_14default_configELb1EPKlPlSQ_SR_N2at6native12_GLOBAL__N_18offset_tEEE10hipError_tPvRmT1_PNSt15iterator_traitsISZ_E10value_typeET2_T3_PNS10_IS15_E10value_typeET4_jRbjT5_S1B_jjP12ihipStream_tbEUljE_ZNSN_ISO_Lb1ESQ_SR_SQ_SR_SV_EESW_SX_SY_SZ_S13_S14_S15_S18_S19_jS1A_jS1B_S1B_jjS1D_bEUljE0_EEESW_SX_SY_S15_S19_S1B_T6_T7_T9_mT8_S1D_bDpT10_ENKUlT_T0_E_clISt17integral_constantIbLb0EES1R_EEDaS1M_S1N_EUlS1M_E_NS1_11comp_targetILNS1_3genE3ELNS1_11target_archE908ELNS1_3gpuE7ELNS1_3repE0EEENS1_30default_config_static_selectorELNS0_4arch9wavefront6targetE0EEEvSZ_.has_indirect_call, 0
	.section	.AMDGPU.csdata,"",@progbits
; Kernel info:
; codeLenInByte = 0
; TotalNumSgprs: 0
; NumVgprs: 0
; ScratchSize: 0
; MemoryBound: 0
; FloatMode: 240
; IeeeMode: 1
; LDSByteSize: 0 bytes/workgroup (compile time only)
; SGPRBlocks: 0
; VGPRBlocks: 0
; NumSGPRsForWavesPerEU: 1
; NumVGPRsForWavesPerEU: 1
; Occupancy: 16
; WaveLimiterHint : 0
; COMPUTE_PGM_RSRC2:SCRATCH_EN: 0
; COMPUTE_PGM_RSRC2:USER_SGPR: 2
; COMPUTE_PGM_RSRC2:TRAP_HANDLER: 0
; COMPUTE_PGM_RSRC2:TGID_X_EN: 1
; COMPUTE_PGM_RSRC2:TGID_Y_EN: 0
; COMPUTE_PGM_RSRC2:TGID_Z_EN: 0
; COMPUTE_PGM_RSRC2:TIDIG_COMP_CNT: 0
	.section	.text._ZN7rocprim17ROCPRIM_400000_NS6detail17trampoline_kernelINS0_13select_configILj256ELj13ELNS0_17block_load_methodE3ELS4_3ELS4_3ELNS0_20block_scan_algorithmE0ELj4294967295EEENS1_25partition_config_selectorILNS1_17partition_subalgoE4EjNS0_10empty_typeEbEEZZNS1_14partition_implILS8_4ELb0ES6_15HIP_vector_typeIjLj2EENS0_17counting_iteratorIjlEEPS9_SG_NS0_5tupleIJPjSI_NS0_16reverse_iteratorISI_EEEEENSH_IJSG_SG_SG_EEES9_SI_JZNS1_25segmented_radix_sort_implINS0_14default_configELb1EPKlPlSQ_SR_N2at6native12_GLOBAL__N_18offset_tEEE10hipError_tPvRmT1_PNSt15iterator_traitsISZ_E10value_typeET2_T3_PNS10_IS15_E10value_typeET4_jRbjT5_S1B_jjP12ihipStream_tbEUljE_ZNSN_ISO_Lb1ESQ_SR_SQ_SR_SV_EESW_SX_SY_SZ_S13_S14_S15_S18_S19_jS1A_jS1B_S1B_jjS1D_bEUljE0_EEESW_SX_SY_S15_S19_S1B_T6_T7_T9_mT8_S1D_bDpT10_ENKUlT_T0_E_clISt17integral_constantIbLb0EES1R_EEDaS1M_S1N_EUlS1M_E_NS1_11comp_targetILNS1_3genE2ELNS1_11target_archE906ELNS1_3gpuE6ELNS1_3repE0EEENS1_30default_config_static_selectorELNS0_4arch9wavefront6targetE0EEEvSZ_,"axG",@progbits,_ZN7rocprim17ROCPRIM_400000_NS6detail17trampoline_kernelINS0_13select_configILj256ELj13ELNS0_17block_load_methodE3ELS4_3ELS4_3ELNS0_20block_scan_algorithmE0ELj4294967295EEENS1_25partition_config_selectorILNS1_17partition_subalgoE4EjNS0_10empty_typeEbEEZZNS1_14partition_implILS8_4ELb0ES6_15HIP_vector_typeIjLj2EENS0_17counting_iteratorIjlEEPS9_SG_NS0_5tupleIJPjSI_NS0_16reverse_iteratorISI_EEEEENSH_IJSG_SG_SG_EEES9_SI_JZNS1_25segmented_radix_sort_implINS0_14default_configELb1EPKlPlSQ_SR_N2at6native12_GLOBAL__N_18offset_tEEE10hipError_tPvRmT1_PNSt15iterator_traitsISZ_E10value_typeET2_T3_PNS10_IS15_E10value_typeET4_jRbjT5_S1B_jjP12ihipStream_tbEUljE_ZNSN_ISO_Lb1ESQ_SR_SQ_SR_SV_EESW_SX_SY_SZ_S13_S14_S15_S18_S19_jS1A_jS1B_S1B_jjS1D_bEUljE0_EEESW_SX_SY_S15_S19_S1B_T6_T7_T9_mT8_S1D_bDpT10_ENKUlT_T0_E_clISt17integral_constantIbLb0EES1R_EEDaS1M_S1N_EUlS1M_E_NS1_11comp_targetILNS1_3genE2ELNS1_11target_archE906ELNS1_3gpuE6ELNS1_3repE0EEENS1_30default_config_static_selectorELNS0_4arch9wavefront6targetE0EEEvSZ_,comdat
	.globl	_ZN7rocprim17ROCPRIM_400000_NS6detail17trampoline_kernelINS0_13select_configILj256ELj13ELNS0_17block_load_methodE3ELS4_3ELS4_3ELNS0_20block_scan_algorithmE0ELj4294967295EEENS1_25partition_config_selectorILNS1_17partition_subalgoE4EjNS0_10empty_typeEbEEZZNS1_14partition_implILS8_4ELb0ES6_15HIP_vector_typeIjLj2EENS0_17counting_iteratorIjlEEPS9_SG_NS0_5tupleIJPjSI_NS0_16reverse_iteratorISI_EEEEENSH_IJSG_SG_SG_EEES9_SI_JZNS1_25segmented_radix_sort_implINS0_14default_configELb1EPKlPlSQ_SR_N2at6native12_GLOBAL__N_18offset_tEEE10hipError_tPvRmT1_PNSt15iterator_traitsISZ_E10value_typeET2_T3_PNS10_IS15_E10value_typeET4_jRbjT5_S1B_jjP12ihipStream_tbEUljE_ZNSN_ISO_Lb1ESQ_SR_SQ_SR_SV_EESW_SX_SY_SZ_S13_S14_S15_S18_S19_jS1A_jS1B_S1B_jjS1D_bEUljE0_EEESW_SX_SY_S15_S19_S1B_T6_T7_T9_mT8_S1D_bDpT10_ENKUlT_T0_E_clISt17integral_constantIbLb0EES1R_EEDaS1M_S1N_EUlS1M_E_NS1_11comp_targetILNS1_3genE2ELNS1_11target_archE906ELNS1_3gpuE6ELNS1_3repE0EEENS1_30default_config_static_selectorELNS0_4arch9wavefront6targetE0EEEvSZ_ ; -- Begin function _ZN7rocprim17ROCPRIM_400000_NS6detail17trampoline_kernelINS0_13select_configILj256ELj13ELNS0_17block_load_methodE3ELS4_3ELS4_3ELNS0_20block_scan_algorithmE0ELj4294967295EEENS1_25partition_config_selectorILNS1_17partition_subalgoE4EjNS0_10empty_typeEbEEZZNS1_14partition_implILS8_4ELb0ES6_15HIP_vector_typeIjLj2EENS0_17counting_iteratorIjlEEPS9_SG_NS0_5tupleIJPjSI_NS0_16reverse_iteratorISI_EEEEENSH_IJSG_SG_SG_EEES9_SI_JZNS1_25segmented_radix_sort_implINS0_14default_configELb1EPKlPlSQ_SR_N2at6native12_GLOBAL__N_18offset_tEEE10hipError_tPvRmT1_PNSt15iterator_traitsISZ_E10value_typeET2_T3_PNS10_IS15_E10value_typeET4_jRbjT5_S1B_jjP12ihipStream_tbEUljE_ZNSN_ISO_Lb1ESQ_SR_SQ_SR_SV_EESW_SX_SY_SZ_S13_S14_S15_S18_S19_jS1A_jS1B_S1B_jjS1D_bEUljE0_EEESW_SX_SY_S15_S19_S1B_T6_T7_T9_mT8_S1D_bDpT10_ENKUlT_T0_E_clISt17integral_constantIbLb0EES1R_EEDaS1M_S1N_EUlS1M_E_NS1_11comp_targetILNS1_3genE2ELNS1_11target_archE906ELNS1_3gpuE6ELNS1_3repE0EEENS1_30default_config_static_selectorELNS0_4arch9wavefront6targetE0EEEvSZ_
	.p2align	8
	.type	_ZN7rocprim17ROCPRIM_400000_NS6detail17trampoline_kernelINS0_13select_configILj256ELj13ELNS0_17block_load_methodE3ELS4_3ELS4_3ELNS0_20block_scan_algorithmE0ELj4294967295EEENS1_25partition_config_selectorILNS1_17partition_subalgoE4EjNS0_10empty_typeEbEEZZNS1_14partition_implILS8_4ELb0ES6_15HIP_vector_typeIjLj2EENS0_17counting_iteratorIjlEEPS9_SG_NS0_5tupleIJPjSI_NS0_16reverse_iteratorISI_EEEEENSH_IJSG_SG_SG_EEES9_SI_JZNS1_25segmented_radix_sort_implINS0_14default_configELb1EPKlPlSQ_SR_N2at6native12_GLOBAL__N_18offset_tEEE10hipError_tPvRmT1_PNSt15iterator_traitsISZ_E10value_typeET2_T3_PNS10_IS15_E10value_typeET4_jRbjT5_S1B_jjP12ihipStream_tbEUljE_ZNSN_ISO_Lb1ESQ_SR_SQ_SR_SV_EESW_SX_SY_SZ_S13_S14_S15_S18_S19_jS1A_jS1B_S1B_jjS1D_bEUljE0_EEESW_SX_SY_S15_S19_S1B_T6_T7_T9_mT8_S1D_bDpT10_ENKUlT_T0_E_clISt17integral_constantIbLb0EES1R_EEDaS1M_S1N_EUlS1M_E_NS1_11comp_targetILNS1_3genE2ELNS1_11target_archE906ELNS1_3gpuE6ELNS1_3repE0EEENS1_30default_config_static_selectorELNS0_4arch9wavefront6targetE0EEEvSZ_,@function
_ZN7rocprim17ROCPRIM_400000_NS6detail17trampoline_kernelINS0_13select_configILj256ELj13ELNS0_17block_load_methodE3ELS4_3ELS4_3ELNS0_20block_scan_algorithmE0ELj4294967295EEENS1_25partition_config_selectorILNS1_17partition_subalgoE4EjNS0_10empty_typeEbEEZZNS1_14partition_implILS8_4ELb0ES6_15HIP_vector_typeIjLj2EENS0_17counting_iteratorIjlEEPS9_SG_NS0_5tupleIJPjSI_NS0_16reverse_iteratorISI_EEEEENSH_IJSG_SG_SG_EEES9_SI_JZNS1_25segmented_radix_sort_implINS0_14default_configELb1EPKlPlSQ_SR_N2at6native12_GLOBAL__N_18offset_tEEE10hipError_tPvRmT1_PNSt15iterator_traitsISZ_E10value_typeET2_T3_PNS10_IS15_E10value_typeET4_jRbjT5_S1B_jjP12ihipStream_tbEUljE_ZNSN_ISO_Lb1ESQ_SR_SQ_SR_SV_EESW_SX_SY_SZ_S13_S14_S15_S18_S19_jS1A_jS1B_S1B_jjS1D_bEUljE0_EEESW_SX_SY_S15_S19_S1B_T6_T7_T9_mT8_S1D_bDpT10_ENKUlT_T0_E_clISt17integral_constantIbLb0EES1R_EEDaS1M_S1N_EUlS1M_E_NS1_11comp_targetILNS1_3genE2ELNS1_11target_archE906ELNS1_3gpuE6ELNS1_3repE0EEENS1_30default_config_static_selectorELNS0_4arch9wavefront6targetE0EEEvSZ_: ; @_ZN7rocprim17ROCPRIM_400000_NS6detail17trampoline_kernelINS0_13select_configILj256ELj13ELNS0_17block_load_methodE3ELS4_3ELS4_3ELNS0_20block_scan_algorithmE0ELj4294967295EEENS1_25partition_config_selectorILNS1_17partition_subalgoE4EjNS0_10empty_typeEbEEZZNS1_14partition_implILS8_4ELb0ES6_15HIP_vector_typeIjLj2EENS0_17counting_iteratorIjlEEPS9_SG_NS0_5tupleIJPjSI_NS0_16reverse_iteratorISI_EEEEENSH_IJSG_SG_SG_EEES9_SI_JZNS1_25segmented_radix_sort_implINS0_14default_configELb1EPKlPlSQ_SR_N2at6native12_GLOBAL__N_18offset_tEEE10hipError_tPvRmT1_PNSt15iterator_traitsISZ_E10value_typeET2_T3_PNS10_IS15_E10value_typeET4_jRbjT5_S1B_jjP12ihipStream_tbEUljE_ZNSN_ISO_Lb1ESQ_SR_SQ_SR_SV_EESW_SX_SY_SZ_S13_S14_S15_S18_S19_jS1A_jS1B_S1B_jjS1D_bEUljE0_EEESW_SX_SY_S15_S19_S1B_T6_T7_T9_mT8_S1D_bDpT10_ENKUlT_T0_E_clISt17integral_constantIbLb0EES1R_EEDaS1M_S1N_EUlS1M_E_NS1_11comp_targetILNS1_3genE2ELNS1_11target_archE906ELNS1_3gpuE6ELNS1_3repE0EEENS1_30default_config_static_selectorELNS0_4arch9wavefront6targetE0EEEvSZ_
; %bb.0:
	.section	.rodata,"a",@progbits
	.p2align	6, 0x0
	.amdhsa_kernel _ZN7rocprim17ROCPRIM_400000_NS6detail17trampoline_kernelINS0_13select_configILj256ELj13ELNS0_17block_load_methodE3ELS4_3ELS4_3ELNS0_20block_scan_algorithmE0ELj4294967295EEENS1_25partition_config_selectorILNS1_17partition_subalgoE4EjNS0_10empty_typeEbEEZZNS1_14partition_implILS8_4ELb0ES6_15HIP_vector_typeIjLj2EENS0_17counting_iteratorIjlEEPS9_SG_NS0_5tupleIJPjSI_NS0_16reverse_iteratorISI_EEEEENSH_IJSG_SG_SG_EEES9_SI_JZNS1_25segmented_radix_sort_implINS0_14default_configELb1EPKlPlSQ_SR_N2at6native12_GLOBAL__N_18offset_tEEE10hipError_tPvRmT1_PNSt15iterator_traitsISZ_E10value_typeET2_T3_PNS10_IS15_E10value_typeET4_jRbjT5_S1B_jjP12ihipStream_tbEUljE_ZNSN_ISO_Lb1ESQ_SR_SQ_SR_SV_EESW_SX_SY_SZ_S13_S14_S15_S18_S19_jS1A_jS1B_S1B_jjS1D_bEUljE0_EEESW_SX_SY_S15_S19_S1B_T6_T7_T9_mT8_S1D_bDpT10_ENKUlT_T0_E_clISt17integral_constantIbLb0EES1R_EEDaS1M_S1N_EUlS1M_E_NS1_11comp_targetILNS1_3genE2ELNS1_11target_archE906ELNS1_3gpuE6ELNS1_3repE0EEENS1_30default_config_static_selectorELNS0_4arch9wavefront6targetE0EEEvSZ_
		.amdhsa_group_segment_fixed_size 0
		.amdhsa_private_segment_fixed_size 0
		.amdhsa_kernarg_size 176
		.amdhsa_user_sgpr_count 2
		.amdhsa_user_sgpr_dispatch_ptr 0
		.amdhsa_user_sgpr_queue_ptr 0
		.amdhsa_user_sgpr_kernarg_segment_ptr 1
		.amdhsa_user_sgpr_dispatch_id 0
		.amdhsa_user_sgpr_private_segment_size 0
		.amdhsa_wavefront_size32 1
		.amdhsa_uses_dynamic_stack 0
		.amdhsa_enable_private_segment 0
		.amdhsa_system_sgpr_workgroup_id_x 1
		.amdhsa_system_sgpr_workgroup_id_y 0
		.amdhsa_system_sgpr_workgroup_id_z 0
		.amdhsa_system_sgpr_workgroup_info 0
		.amdhsa_system_vgpr_workitem_id 0
		.amdhsa_next_free_vgpr 1
		.amdhsa_next_free_sgpr 1
		.amdhsa_reserve_vcc 0
		.amdhsa_float_round_mode_32 0
		.amdhsa_float_round_mode_16_64 0
		.amdhsa_float_denorm_mode_32 3
		.amdhsa_float_denorm_mode_16_64 3
		.amdhsa_fp16_overflow 0
		.amdhsa_workgroup_processor_mode 1
		.amdhsa_memory_ordered 1
		.amdhsa_forward_progress 1
		.amdhsa_inst_pref_size 0
		.amdhsa_round_robin_scheduling 0
		.amdhsa_exception_fp_ieee_invalid_op 0
		.amdhsa_exception_fp_denorm_src 0
		.amdhsa_exception_fp_ieee_div_zero 0
		.amdhsa_exception_fp_ieee_overflow 0
		.amdhsa_exception_fp_ieee_underflow 0
		.amdhsa_exception_fp_ieee_inexact 0
		.amdhsa_exception_int_div_zero 0
	.end_amdhsa_kernel
	.section	.text._ZN7rocprim17ROCPRIM_400000_NS6detail17trampoline_kernelINS0_13select_configILj256ELj13ELNS0_17block_load_methodE3ELS4_3ELS4_3ELNS0_20block_scan_algorithmE0ELj4294967295EEENS1_25partition_config_selectorILNS1_17partition_subalgoE4EjNS0_10empty_typeEbEEZZNS1_14partition_implILS8_4ELb0ES6_15HIP_vector_typeIjLj2EENS0_17counting_iteratorIjlEEPS9_SG_NS0_5tupleIJPjSI_NS0_16reverse_iteratorISI_EEEEENSH_IJSG_SG_SG_EEES9_SI_JZNS1_25segmented_radix_sort_implINS0_14default_configELb1EPKlPlSQ_SR_N2at6native12_GLOBAL__N_18offset_tEEE10hipError_tPvRmT1_PNSt15iterator_traitsISZ_E10value_typeET2_T3_PNS10_IS15_E10value_typeET4_jRbjT5_S1B_jjP12ihipStream_tbEUljE_ZNSN_ISO_Lb1ESQ_SR_SQ_SR_SV_EESW_SX_SY_SZ_S13_S14_S15_S18_S19_jS1A_jS1B_S1B_jjS1D_bEUljE0_EEESW_SX_SY_S15_S19_S1B_T6_T7_T9_mT8_S1D_bDpT10_ENKUlT_T0_E_clISt17integral_constantIbLb0EES1R_EEDaS1M_S1N_EUlS1M_E_NS1_11comp_targetILNS1_3genE2ELNS1_11target_archE906ELNS1_3gpuE6ELNS1_3repE0EEENS1_30default_config_static_selectorELNS0_4arch9wavefront6targetE0EEEvSZ_,"axG",@progbits,_ZN7rocprim17ROCPRIM_400000_NS6detail17trampoline_kernelINS0_13select_configILj256ELj13ELNS0_17block_load_methodE3ELS4_3ELS4_3ELNS0_20block_scan_algorithmE0ELj4294967295EEENS1_25partition_config_selectorILNS1_17partition_subalgoE4EjNS0_10empty_typeEbEEZZNS1_14partition_implILS8_4ELb0ES6_15HIP_vector_typeIjLj2EENS0_17counting_iteratorIjlEEPS9_SG_NS0_5tupleIJPjSI_NS0_16reverse_iteratorISI_EEEEENSH_IJSG_SG_SG_EEES9_SI_JZNS1_25segmented_radix_sort_implINS0_14default_configELb1EPKlPlSQ_SR_N2at6native12_GLOBAL__N_18offset_tEEE10hipError_tPvRmT1_PNSt15iterator_traitsISZ_E10value_typeET2_T3_PNS10_IS15_E10value_typeET4_jRbjT5_S1B_jjP12ihipStream_tbEUljE_ZNSN_ISO_Lb1ESQ_SR_SQ_SR_SV_EESW_SX_SY_SZ_S13_S14_S15_S18_S19_jS1A_jS1B_S1B_jjS1D_bEUljE0_EEESW_SX_SY_S15_S19_S1B_T6_T7_T9_mT8_S1D_bDpT10_ENKUlT_T0_E_clISt17integral_constantIbLb0EES1R_EEDaS1M_S1N_EUlS1M_E_NS1_11comp_targetILNS1_3genE2ELNS1_11target_archE906ELNS1_3gpuE6ELNS1_3repE0EEENS1_30default_config_static_selectorELNS0_4arch9wavefront6targetE0EEEvSZ_,comdat
.Lfunc_end644:
	.size	_ZN7rocprim17ROCPRIM_400000_NS6detail17trampoline_kernelINS0_13select_configILj256ELj13ELNS0_17block_load_methodE3ELS4_3ELS4_3ELNS0_20block_scan_algorithmE0ELj4294967295EEENS1_25partition_config_selectorILNS1_17partition_subalgoE4EjNS0_10empty_typeEbEEZZNS1_14partition_implILS8_4ELb0ES6_15HIP_vector_typeIjLj2EENS0_17counting_iteratorIjlEEPS9_SG_NS0_5tupleIJPjSI_NS0_16reverse_iteratorISI_EEEEENSH_IJSG_SG_SG_EEES9_SI_JZNS1_25segmented_radix_sort_implINS0_14default_configELb1EPKlPlSQ_SR_N2at6native12_GLOBAL__N_18offset_tEEE10hipError_tPvRmT1_PNSt15iterator_traitsISZ_E10value_typeET2_T3_PNS10_IS15_E10value_typeET4_jRbjT5_S1B_jjP12ihipStream_tbEUljE_ZNSN_ISO_Lb1ESQ_SR_SQ_SR_SV_EESW_SX_SY_SZ_S13_S14_S15_S18_S19_jS1A_jS1B_S1B_jjS1D_bEUljE0_EEESW_SX_SY_S15_S19_S1B_T6_T7_T9_mT8_S1D_bDpT10_ENKUlT_T0_E_clISt17integral_constantIbLb0EES1R_EEDaS1M_S1N_EUlS1M_E_NS1_11comp_targetILNS1_3genE2ELNS1_11target_archE906ELNS1_3gpuE6ELNS1_3repE0EEENS1_30default_config_static_selectorELNS0_4arch9wavefront6targetE0EEEvSZ_, .Lfunc_end644-_ZN7rocprim17ROCPRIM_400000_NS6detail17trampoline_kernelINS0_13select_configILj256ELj13ELNS0_17block_load_methodE3ELS4_3ELS4_3ELNS0_20block_scan_algorithmE0ELj4294967295EEENS1_25partition_config_selectorILNS1_17partition_subalgoE4EjNS0_10empty_typeEbEEZZNS1_14partition_implILS8_4ELb0ES6_15HIP_vector_typeIjLj2EENS0_17counting_iteratorIjlEEPS9_SG_NS0_5tupleIJPjSI_NS0_16reverse_iteratorISI_EEEEENSH_IJSG_SG_SG_EEES9_SI_JZNS1_25segmented_radix_sort_implINS0_14default_configELb1EPKlPlSQ_SR_N2at6native12_GLOBAL__N_18offset_tEEE10hipError_tPvRmT1_PNSt15iterator_traitsISZ_E10value_typeET2_T3_PNS10_IS15_E10value_typeET4_jRbjT5_S1B_jjP12ihipStream_tbEUljE_ZNSN_ISO_Lb1ESQ_SR_SQ_SR_SV_EESW_SX_SY_SZ_S13_S14_S15_S18_S19_jS1A_jS1B_S1B_jjS1D_bEUljE0_EEESW_SX_SY_S15_S19_S1B_T6_T7_T9_mT8_S1D_bDpT10_ENKUlT_T0_E_clISt17integral_constantIbLb0EES1R_EEDaS1M_S1N_EUlS1M_E_NS1_11comp_targetILNS1_3genE2ELNS1_11target_archE906ELNS1_3gpuE6ELNS1_3repE0EEENS1_30default_config_static_selectorELNS0_4arch9wavefront6targetE0EEEvSZ_
                                        ; -- End function
	.set _ZN7rocprim17ROCPRIM_400000_NS6detail17trampoline_kernelINS0_13select_configILj256ELj13ELNS0_17block_load_methodE3ELS4_3ELS4_3ELNS0_20block_scan_algorithmE0ELj4294967295EEENS1_25partition_config_selectorILNS1_17partition_subalgoE4EjNS0_10empty_typeEbEEZZNS1_14partition_implILS8_4ELb0ES6_15HIP_vector_typeIjLj2EENS0_17counting_iteratorIjlEEPS9_SG_NS0_5tupleIJPjSI_NS0_16reverse_iteratorISI_EEEEENSH_IJSG_SG_SG_EEES9_SI_JZNS1_25segmented_radix_sort_implINS0_14default_configELb1EPKlPlSQ_SR_N2at6native12_GLOBAL__N_18offset_tEEE10hipError_tPvRmT1_PNSt15iterator_traitsISZ_E10value_typeET2_T3_PNS10_IS15_E10value_typeET4_jRbjT5_S1B_jjP12ihipStream_tbEUljE_ZNSN_ISO_Lb1ESQ_SR_SQ_SR_SV_EESW_SX_SY_SZ_S13_S14_S15_S18_S19_jS1A_jS1B_S1B_jjS1D_bEUljE0_EEESW_SX_SY_S15_S19_S1B_T6_T7_T9_mT8_S1D_bDpT10_ENKUlT_T0_E_clISt17integral_constantIbLb0EES1R_EEDaS1M_S1N_EUlS1M_E_NS1_11comp_targetILNS1_3genE2ELNS1_11target_archE906ELNS1_3gpuE6ELNS1_3repE0EEENS1_30default_config_static_selectorELNS0_4arch9wavefront6targetE0EEEvSZ_.num_vgpr, 0
	.set _ZN7rocprim17ROCPRIM_400000_NS6detail17trampoline_kernelINS0_13select_configILj256ELj13ELNS0_17block_load_methodE3ELS4_3ELS4_3ELNS0_20block_scan_algorithmE0ELj4294967295EEENS1_25partition_config_selectorILNS1_17partition_subalgoE4EjNS0_10empty_typeEbEEZZNS1_14partition_implILS8_4ELb0ES6_15HIP_vector_typeIjLj2EENS0_17counting_iteratorIjlEEPS9_SG_NS0_5tupleIJPjSI_NS0_16reverse_iteratorISI_EEEEENSH_IJSG_SG_SG_EEES9_SI_JZNS1_25segmented_radix_sort_implINS0_14default_configELb1EPKlPlSQ_SR_N2at6native12_GLOBAL__N_18offset_tEEE10hipError_tPvRmT1_PNSt15iterator_traitsISZ_E10value_typeET2_T3_PNS10_IS15_E10value_typeET4_jRbjT5_S1B_jjP12ihipStream_tbEUljE_ZNSN_ISO_Lb1ESQ_SR_SQ_SR_SV_EESW_SX_SY_SZ_S13_S14_S15_S18_S19_jS1A_jS1B_S1B_jjS1D_bEUljE0_EEESW_SX_SY_S15_S19_S1B_T6_T7_T9_mT8_S1D_bDpT10_ENKUlT_T0_E_clISt17integral_constantIbLb0EES1R_EEDaS1M_S1N_EUlS1M_E_NS1_11comp_targetILNS1_3genE2ELNS1_11target_archE906ELNS1_3gpuE6ELNS1_3repE0EEENS1_30default_config_static_selectorELNS0_4arch9wavefront6targetE0EEEvSZ_.num_agpr, 0
	.set _ZN7rocprim17ROCPRIM_400000_NS6detail17trampoline_kernelINS0_13select_configILj256ELj13ELNS0_17block_load_methodE3ELS4_3ELS4_3ELNS0_20block_scan_algorithmE0ELj4294967295EEENS1_25partition_config_selectorILNS1_17partition_subalgoE4EjNS0_10empty_typeEbEEZZNS1_14partition_implILS8_4ELb0ES6_15HIP_vector_typeIjLj2EENS0_17counting_iteratorIjlEEPS9_SG_NS0_5tupleIJPjSI_NS0_16reverse_iteratorISI_EEEEENSH_IJSG_SG_SG_EEES9_SI_JZNS1_25segmented_radix_sort_implINS0_14default_configELb1EPKlPlSQ_SR_N2at6native12_GLOBAL__N_18offset_tEEE10hipError_tPvRmT1_PNSt15iterator_traitsISZ_E10value_typeET2_T3_PNS10_IS15_E10value_typeET4_jRbjT5_S1B_jjP12ihipStream_tbEUljE_ZNSN_ISO_Lb1ESQ_SR_SQ_SR_SV_EESW_SX_SY_SZ_S13_S14_S15_S18_S19_jS1A_jS1B_S1B_jjS1D_bEUljE0_EEESW_SX_SY_S15_S19_S1B_T6_T7_T9_mT8_S1D_bDpT10_ENKUlT_T0_E_clISt17integral_constantIbLb0EES1R_EEDaS1M_S1N_EUlS1M_E_NS1_11comp_targetILNS1_3genE2ELNS1_11target_archE906ELNS1_3gpuE6ELNS1_3repE0EEENS1_30default_config_static_selectorELNS0_4arch9wavefront6targetE0EEEvSZ_.numbered_sgpr, 0
	.set _ZN7rocprim17ROCPRIM_400000_NS6detail17trampoline_kernelINS0_13select_configILj256ELj13ELNS0_17block_load_methodE3ELS4_3ELS4_3ELNS0_20block_scan_algorithmE0ELj4294967295EEENS1_25partition_config_selectorILNS1_17partition_subalgoE4EjNS0_10empty_typeEbEEZZNS1_14partition_implILS8_4ELb0ES6_15HIP_vector_typeIjLj2EENS0_17counting_iteratorIjlEEPS9_SG_NS0_5tupleIJPjSI_NS0_16reverse_iteratorISI_EEEEENSH_IJSG_SG_SG_EEES9_SI_JZNS1_25segmented_radix_sort_implINS0_14default_configELb1EPKlPlSQ_SR_N2at6native12_GLOBAL__N_18offset_tEEE10hipError_tPvRmT1_PNSt15iterator_traitsISZ_E10value_typeET2_T3_PNS10_IS15_E10value_typeET4_jRbjT5_S1B_jjP12ihipStream_tbEUljE_ZNSN_ISO_Lb1ESQ_SR_SQ_SR_SV_EESW_SX_SY_SZ_S13_S14_S15_S18_S19_jS1A_jS1B_S1B_jjS1D_bEUljE0_EEESW_SX_SY_S15_S19_S1B_T6_T7_T9_mT8_S1D_bDpT10_ENKUlT_T0_E_clISt17integral_constantIbLb0EES1R_EEDaS1M_S1N_EUlS1M_E_NS1_11comp_targetILNS1_3genE2ELNS1_11target_archE906ELNS1_3gpuE6ELNS1_3repE0EEENS1_30default_config_static_selectorELNS0_4arch9wavefront6targetE0EEEvSZ_.num_named_barrier, 0
	.set _ZN7rocprim17ROCPRIM_400000_NS6detail17trampoline_kernelINS0_13select_configILj256ELj13ELNS0_17block_load_methodE3ELS4_3ELS4_3ELNS0_20block_scan_algorithmE0ELj4294967295EEENS1_25partition_config_selectorILNS1_17partition_subalgoE4EjNS0_10empty_typeEbEEZZNS1_14partition_implILS8_4ELb0ES6_15HIP_vector_typeIjLj2EENS0_17counting_iteratorIjlEEPS9_SG_NS0_5tupleIJPjSI_NS0_16reverse_iteratorISI_EEEEENSH_IJSG_SG_SG_EEES9_SI_JZNS1_25segmented_radix_sort_implINS0_14default_configELb1EPKlPlSQ_SR_N2at6native12_GLOBAL__N_18offset_tEEE10hipError_tPvRmT1_PNSt15iterator_traitsISZ_E10value_typeET2_T3_PNS10_IS15_E10value_typeET4_jRbjT5_S1B_jjP12ihipStream_tbEUljE_ZNSN_ISO_Lb1ESQ_SR_SQ_SR_SV_EESW_SX_SY_SZ_S13_S14_S15_S18_S19_jS1A_jS1B_S1B_jjS1D_bEUljE0_EEESW_SX_SY_S15_S19_S1B_T6_T7_T9_mT8_S1D_bDpT10_ENKUlT_T0_E_clISt17integral_constantIbLb0EES1R_EEDaS1M_S1N_EUlS1M_E_NS1_11comp_targetILNS1_3genE2ELNS1_11target_archE906ELNS1_3gpuE6ELNS1_3repE0EEENS1_30default_config_static_selectorELNS0_4arch9wavefront6targetE0EEEvSZ_.private_seg_size, 0
	.set _ZN7rocprim17ROCPRIM_400000_NS6detail17trampoline_kernelINS0_13select_configILj256ELj13ELNS0_17block_load_methodE3ELS4_3ELS4_3ELNS0_20block_scan_algorithmE0ELj4294967295EEENS1_25partition_config_selectorILNS1_17partition_subalgoE4EjNS0_10empty_typeEbEEZZNS1_14partition_implILS8_4ELb0ES6_15HIP_vector_typeIjLj2EENS0_17counting_iteratorIjlEEPS9_SG_NS0_5tupleIJPjSI_NS0_16reverse_iteratorISI_EEEEENSH_IJSG_SG_SG_EEES9_SI_JZNS1_25segmented_radix_sort_implINS0_14default_configELb1EPKlPlSQ_SR_N2at6native12_GLOBAL__N_18offset_tEEE10hipError_tPvRmT1_PNSt15iterator_traitsISZ_E10value_typeET2_T3_PNS10_IS15_E10value_typeET4_jRbjT5_S1B_jjP12ihipStream_tbEUljE_ZNSN_ISO_Lb1ESQ_SR_SQ_SR_SV_EESW_SX_SY_SZ_S13_S14_S15_S18_S19_jS1A_jS1B_S1B_jjS1D_bEUljE0_EEESW_SX_SY_S15_S19_S1B_T6_T7_T9_mT8_S1D_bDpT10_ENKUlT_T0_E_clISt17integral_constantIbLb0EES1R_EEDaS1M_S1N_EUlS1M_E_NS1_11comp_targetILNS1_3genE2ELNS1_11target_archE906ELNS1_3gpuE6ELNS1_3repE0EEENS1_30default_config_static_selectorELNS0_4arch9wavefront6targetE0EEEvSZ_.uses_vcc, 0
	.set _ZN7rocprim17ROCPRIM_400000_NS6detail17trampoline_kernelINS0_13select_configILj256ELj13ELNS0_17block_load_methodE3ELS4_3ELS4_3ELNS0_20block_scan_algorithmE0ELj4294967295EEENS1_25partition_config_selectorILNS1_17partition_subalgoE4EjNS0_10empty_typeEbEEZZNS1_14partition_implILS8_4ELb0ES6_15HIP_vector_typeIjLj2EENS0_17counting_iteratorIjlEEPS9_SG_NS0_5tupleIJPjSI_NS0_16reverse_iteratorISI_EEEEENSH_IJSG_SG_SG_EEES9_SI_JZNS1_25segmented_radix_sort_implINS0_14default_configELb1EPKlPlSQ_SR_N2at6native12_GLOBAL__N_18offset_tEEE10hipError_tPvRmT1_PNSt15iterator_traitsISZ_E10value_typeET2_T3_PNS10_IS15_E10value_typeET4_jRbjT5_S1B_jjP12ihipStream_tbEUljE_ZNSN_ISO_Lb1ESQ_SR_SQ_SR_SV_EESW_SX_SY_SZ_S13_S14_S15_S18_S19_jS1A_jS1B_S1B_jjS1D_bEUljE0_EEESW_SX_SY_S15_S19_S1B_T6_T7_T9_mT8_S1D_bDpT10_ENKUlT_T0_E_clISt17integral_constantIbLb0EES1R_EEDaS1M_S1N_EUlS1M_E_NS1_11comp_targetILNS1_3genE2ELNS1_11target_archE906ELNS1_3gpuE6ELNS1_3repE0EEENS1_30default_config_static_selectorELNS0_4arch9wavefront6targetE0EEEvSZ_.uses_flat_scratch, 0
	.set _ZN7rocprim17ROCPRIM_400000_NS6detail17trampoline_kernelINS0_13select_configILj256ELj13ELNS0_17block_load_methodE3ELS4_3ELS4_3ELNS0_20block_scan_algorithmE0ELj4294967295EEENS1_25partition_config_selectorILNS1_17partition_subalgoE4EjNS0_10empty_typeEbEEZZNS1_14partition_implILS8_4ELb0ES6_15HIP_vector_typeIjLj2EENS0_17counting_iteratorIjlEEPS9_SG_NS0_5tupleIJPjSI_NS0_16reverse_iteratorISI_EEEEENSH_IJSG_SG_SG_EEES9_SI_JZNS1_25segmented_radix_sort_implINS0_14default_configELb1EPKlPlSQ_SR_N2at6native12_GLOBAL__N_18offset_tEEE10hipError_tPvRmT1_PNSt15iterator_traitsISZ_E10value_typeET2_T3_PNS10_IS15_E10value_typeET4_jRbjT5_S1B_jjP12ihipStream_tbEUljE_ZNSN_ISO_Lb1ESQ_SR_SQ_SR_SV_EESW_SX_SY_SZ_S13_S14_S15_S18_S19_jS1A_jS1B_S1B_jjS1D_bEUljE0_EEESW_SX_SY_S15_S19_S1B_T6_T7_T9_mT8_S1D_bDpT10_ENKUlT_T0_E_clISt17integral_constantIbLb0EES1R_EEDaS1M_S1N_EUlS1M_E_NS1_11comp_targetILNS1_3genE2ELNS1_11target_archE906ELNS1_3gpuE6ELNS1_3repE0EEENS1_30default_config_static_selectorELNS0_4arch9wavefront6targetE0EEEvSZ_.has_dyn_sized_stack, 0
	.set _ZN7rocprim17ROCPRIM_400000_NS6detail17trampoline_kernelINS0_13select_configILj256ELj13ELNS0_17block_load_methodE3ELS4_3ELS4_3ELNS0_20block_scan_algorithmE0ELj4294967295EEENS1_25partition_config_selectorILNS1_17partition_subalgoE4EjNS0_10empty_typeEbEEZZNS1_14partition_implILS8_4ELb0ES6_15HIP_vector_typeIjLj2EENS0_17counting_iteratorIjlEEPS9_SG_NS0_5tupleIJPjSI_NS0_16reverse_iteratorISI_EEEEENSH_IJSG_SG_SG_EEES9_SI_JZNS1_25segmented_radix_sort_implINS0_14default_configELb1EPKlPlSQ_SR_N2at6native12_GLOBAL__N_18offset_tEEE10hipError_tPvRmT1_PNSt15iterator_traitsISZ_E10value_typeET2_T3_PNS10_IS15_E10value_typeET4_jRbjT5_S1B_jjP12ihipStream_tbEUljE_ZNSN_ISO_Lb1ESQ_SR_SQ_SR_SV_EESW_SX_SY_SZ_S13_S14_S15_S18_S19_jS1A_jS1B_S1B_jjS1D_bEUljE0_EEESW_SX_SY_S15_S19_S1B_T6_T7_T9_mT8_S1D_bDpT10_ENKUlT_T0_E_clISt17integral_constantIbLb0EES1R_EEDaS1M_S1N_EUlS1M_E_NS1_11comp_targetILNS1_3genE2ELNS1_11target_archE906ELNS1_3gpuE6ELNS1_3repE0EEENS1_30default_config_static_selectorELNS0_4arch9wavefront6targetE0EEEvSZ_.has_recursion, 0
	.set _ZN7rocprim17ROCPRIM_400000_NS6detail17trampoline_kernelINS0_13select_configILj256ELj13ELNS0_17block_load_methodE3ELS4_3ELS4_3ELNS0_20block_scan_algorithmE0ELj4294967295EEENS1_25partition_config_selectorILNS1_17partition_subalgoE4EjNS0_10empty_typeEbEEZZNS1_14partition_implILS8_4ELb0ES6_15HIP_vector_typeIjLj2EENS0_17counting_iteratorIjlEEPS9_SG_NS0_5tupleIJPjSI_NS0_16reverse_iteratorISI_EEEEENSH_IJSG_SG_SG_EEES9_SI_JZNS1_25segmented_radix_sort_implINS0_14default_configELb1EPKlPlSQ_SR_N2at6native12_GLOBAL__N_18offset_tEEE10hipError_tPvRmT1_PNSt15iterator_traitsISZ_E10value_typeET2_T3_PNS10_IS15_E10value_typeET4_jRbjT5_S1B_jjP12ihipStream_tbEUljE_ZNSN_ISO_Lb1ESQ_SR_SQ_SR_SV_EESW_SX_SY_SZ_S13_S14_S15_S18_S19_jS1A_jS1B_S1B_jjS1D_bEUljE0_EEESW_SX_SY_S15_S19_S1B_T6_T7_T9_mT8_S1D_bDpT10_ENKUlT_T0_E_clISt17integral_constantIbLb0EES1R_EEDaS1M_S1N_EUlS1M_E_NS1_11comp_targetILNS1_3genE2ELNS1_11target_archE906ELNS1_3gpuE6ELNS1_3repE0EEENS1_30default_config_static_selectorELNS0_4arch9wavefront6targetE0EEEvSZ_.has_indirect_call, 0
	.section	.AMDGPU.csdata,"",@progbits
; Kernel info:
; codeLenInByte = 0
; TotalNumSgprs: 0
; NumVgprs: 0
; ScratchSize: 0
; MemoryBound: 0
; FloatMode: 240
; IeeeMode: 1
; LDSByteSize: 0 bytes/workgroup (compile time only)
; SGPRBlocks: 0
; VGPRBlocks: 0
; NumSGPRsForWavesPerEU: 1
; NumVGPRsForWavesPerEU: 1
; Occupancy: 16
; WaveLimiterHint : 0
; COMPUTE_PGM_RSRC2:SCRATCH_EN: 0
; COMPUTE_PGM_RSRC2:USER_SGPR: 2
; COMPUTE_PGM_RSRC2:TRAP_HANDLER: 0
; COMPUTE_PGM_RSRC2:TGID_X_EN: 1
; COMPUTE_PGM_RSRC2:TGID_Y_EN: 0
; COMPUTE_PGM_RSRC2:TGID_Z_EN: 0
; COMPUTE_PGM_RSRC2:TIDIG_COMP_CNT: 0
	.section	.text._ZN7rocprim17ROCPRIM_400000_NS6detail17trampoline_kernelINS0_13select_configILj256ELj13ELNS0_17block_load_methodE3ELS4_3ELS4_3ELNS0_20block_scan_algorithmE0ELj4294967295EEENS1_25partition_config_selectorILNS1_17partition_subalgoE4EjNS0_10empty_typeEbEEZZNS1_14partition_implILS8_4ELb0ES6_15HIP_vector_typeIjLj2EENS0_17counting_iteratorIjlEEPS9_SG_NS0_5tupleIJPjSI_NS0_16reverse_iteratorISI_EEEEENSH_IJSG_SG_SG_EEES9_SI_JZNS1_25segmented_radix_sort_implINS0_14default_configELb1EPKlPlSQ_SR_N2at6native12_GLOBAL__N_18offset_tEEE10hipError_tPvRmT1_PNSt15iterator_traitsISZ_E10value_typeET2_T3_PNS10_IS15_E10value_typeET4_jRbjT5_S1B_jjP12ihipStream_tbEUljE_ZNSN_ISO_Lb1ESQ_SR_SQ_SR_SV_EESW_SX_SY_SZ_S13_S14_S15_S18_S19_jS1A_jS1B_S1B_jjS1D_bEUljE0_EEESW_SX_SY_S15_S19_S1B_T6_T7_T9_mT8_S1D_bDpT10_ENKUlT_T0_E_clISt17integral_constantIbLb0EES1R_EEDaS1M_S1N_EUlS1M_E_NS1_11comp_targetILNS1_3genE10ELNS1_11target_archE1200ELNS1_3gpuE4ELNS1_3repE0EEENS1_30default_config_static_selectorELNS0_4arch9wavefront6targetE0EEEvSZ_,"axG",@progbits,_ZN7rocprim17ROCPRIM_400000_NS6detail17trampoline_kernelINS0_13select_configILj256ELj13ELNS0_17block_load_methodE3ELS4_3ELS4_3ELNS0_20block_scan_algorithmE0ELj4294967295EEENS1_25partition_config_selectorILNS1_17partition_subalgoE4EjNS0_10empty_typeEbEEZZNS1_14partition_implILS8_4ELb0ES6_15HIP_vector_typeIjLj2EENS0_17counting_iteratorIjlEEPS9_SG_NS0_5tupleIJPjSI_NS0_16reverse_iteratorISI_EEEEENSH_IJSG_SG_SG_EEES9_SI_JZNS1_25segmented_radix_sort_implINS0_14default_configELb1EPKlPlSQ_SR_N2at6native12_GLOBAL__N_18offset_tEEE10hipError_tPvRmT1_PNSt15iterator_traitsISZ_E10value_typeET2_T3_PNS10_IS15_E10value_typeET4_jRbjT5_S1B_jjP12ihipStream_tbEUljE_ZNSN_ISO_Lb1ESQ_SR_SQ_SR_SV_EESW_SX_SY_SZ_S13_S14_S15_S18_S19_jS1A_jS1B_S1B_jjS1D_bEUljE0_EEESW_SX_SY_S15_S19_S1B_T6_T7_T9_mT8_S1D_bDpT10_ENKUlT_T0_E_clISt17integral_constantIbLb0EES1R_EEDaS1M_S1N_EUlS1M_E_NS1_11comp_targetILNS1_3genE10ELNS1_11target_archE1200ELNS1_3gpuE4ELNS1_3repE0EEENS1_30default_config_static_selectorELNS0_4arch9wavefront6targetE0EEEvSZ_,comdat
	.globl	_ZN7rocprim17ROCPRIM_400000_NS6detail17trampoline_kernelINS0_13select_configILj256ELj13ELNS0_17block_load_methodE3ELS4_3ELS4_3ELNS0_20block_scan_algorithmE0ELj4294967295EEENS1_25partition_config_selectorILNS1_17partition_subalgoE4EjNS0_10empty_typeEbEEZZNS1_14partition_implILS8_4ELb0ES6_15HIP_vector_typeIjLj2EENS0_17counting_iteratorIjlEEPS9_SG_NS0_5tupleIJPjSI_NS0_16reverse_iteratorISI_EEEEENSH_IJSG_SG_SG_EEES9_SI_JZNS1_25segmented_radix_sort_implINS0_14default_configELb1EPKlPlSQ_SR_N2at6native12_GLOBAL__N_18offset_tEEE10hipError_tPvRmT1_PNSt15iterator_traitsISZ_E10value_typeET2_T3_PNS10_IS15_E10value_typeET4_jRbjT5_S1B_jjP12ihipStream_tbEUljE_ZNSN_ISO_Lb1ESQ_SR_SQ_SR_SV_EESW_SX_SY_SZ_S13_S14_S15_S18_S19_jS1A_jS1B_S1B_jjS1D_bEUljE0_EEESW_SX_SY_S15_S19_S1B_T6_T7_T9_mT8_S1D_bDpT10_ENKUlT_T0_E_clISt17integral_constantIbLb0EES1R_EEDaS1M_S1N_EUlS1M_E_NS1_11comp_targetILNS1_3genE10ELNS1_11target_archE1200ELNS1_3gpuE4ELNS1_3repE0EEENS1_30default_config_static_selectorELNS0_4arch9wavefront6targetE0EEEvSZ_ ; -- Begin function _ZN7rocprim17ROCPRIM_400000_NS6detail17trampoline_kernelINS0_13select_configILj256ELj13ELNS0_17block_load_methodE3ELS4_3ELS4_3ELNS0_20block_scan_algorithmE0ELj4294967295EEENS1_25partition_config_selectorILNS1_17partition_subalgoE4EjNS0_10empty_typeEbEEZZNS1_14partition_implILS8_4ELb0ES6_15HIP_vector_typeIjLj2EENS0_17counting_iteratorIjlEEPS9_SG_NS0_5tupleIJPjSI_NS0_16reverse_iteratorISI_EEEEENSH_IJSG_SG_SG_EEES9_SI_JZNS1_25segmented_radix_sort_implINS0_14default_configELb1EPKlPlSQ_SR_N2at6native12_GLOBAL__N_18offset_tEEE10hipError_tPvRmT1_PNSt15iterator_traitsISZ_E10value_typeET2_T3_PNS10_IS15_E10value_typeET4_jRbjT5_S1B_jjP12ihipStream_tbEUljE_ZNSN_ISO_Lb1ESQ_SR_SQ_SR_SV_EESW_SX_SY_SZ_S13_S14_S15_S18_S19_jS1A_jS1B_S1B_jjS1D_bEUljE0_EEESW_SX_SY_S15_S19_S1B_T6_T7_T9_mT8_S1D_bDpT10_ENKUlT_T0_E_clISt17integral_constantIbLb0EES1R_EEDaS1M_S1N_EUlS1M_E_NS1_11comp_targetILNS1_3genE10ELNS1_11target_archE1200ELNS1_3gpuE4ELNS1_3repE0EEENS1_30default_config_static_selectorELNS0_4arch9wavefront6targetE0EEEvSZ_
	.p2align	8
	.type	_ZN7rocprim17ROCPRIM_400000_NS6detail17trampoline_kernelINS0_13select_configILj256ELj13ELNS0_17block_load_methodE3ELS4_3ELS4_3ELNS0_20block_scan_algorithmE0ELj4294967295EEENS1_25partition_config_selectorILNS1_17partition_subalgoE4EjNS0_10empty_typeEbEEZZNS1_14partition_implILS8_4ELb0ES6_15HIP_vector_typeIjLj2EENS0_17counting_iteratorIjlEEPS9_SG_NS0_5tupleIJPjSI_NS0_16reverse_iteratorISI_EEEEENSH_IJSG_SG_SG_EEES9_SI_JZNS1_25segmented_radix_sort_implINS0_14default_configELb1EPKlPlSQ_SR_N2at6native12_GLOBAL__N_18offset_tEEE10hipError_tPvRmT1_PNSt15iterator_traitsISZ_E10value_typeET2_T3_PNS10_IS15_E10value_typeET4_jRbjT5_S1B_jjP12ihipStream_tbEUljE_ZNSN_ISO_Lb1ESQ_SR_SQ_SR_SV_EESW_SX_SY_SZ_S13_S14_S15_S18_S19_jS1A_jS1B_S1B_jjS1D_bEUljE0_EEESW_SX_SY_S15_S19_S1B_T6_T7_T9_mT8_S1D_bDpT10_ENKUlT_T0_E_clISt17integral_constantIbLb0EES1R_EEDaS1M_S1N_EUlS1M_E_NS1_11comp_targetILNS1_3genE10ELNS1_11target_archE1200ELNS1_3gpuE4ELNS1_3repE0EEENS1_30default_config_static_selectorELNS0_4arch9wavefront6targetE0EEEvSZ_,@function
_ZN7rocprim17ROCPRIM_400000_NS6detail17trampoline_kernelINS0_13select_configILj256ELj13ELNS0_17block_load_methodE3ELS4_3ELS4_3ELNS0_20block_scan_algorithmE0ELj4294967295EEENS1_25partition_config_selectorILNS1_17partition_subalgoE4EjNS0_10empty_typeEbEEZZNS1_14partition_implILS8_4ELb0ES6_15HIP_vector_typeIjLj2EENS0_17counting_iteratorIjlEEPS9_SG_NS0_5tupleIJPjSI_NS0_16reverse_iteratorISI_EEEEENSH_IJSG_SG_SG_EEES9_SI_JZNS1_25segmented_radix_sort_implINS0_14default_configELb1EPKlPlSQ_SR_N2at6native12_GLOBAL__N_18offset_tEEE10hipError_tPvRmT1_PNSt15iterator_traitsISZ_E10value_typeET2_T3_PNS10_IS15_E10value_typeET4_jRbjT5_S1B_jjP12ihipStream_tbEUljE_ZNSN_ISO_Lb1ESQ_SR_SQ_SR_SV_EESW_SX_SY_SZ_S13_S14_S15_S18_S19_jS1A_jS1B_S1B_jjS1D_bEUljE0_EEESW_SX_SY_S15_S19_S1B_T6_T7_T9_mT8_S1D_bDpT10_ENKUlT_T0_E_clISt17integral_constantIbLb0EES1R_EEDaS1M_S1N_EUlS1M_E_NS1_11comp_targetILNS1_3genE10ELNS1_11target_archE1200ELNS1_3gpuE4ELNS1_3repE0EEENS1_30default_config_static_selectorELNS0_4arch9wavefront6targetE0EEEvSZ_: ; @_ZN7rocprim17ROCPRIM_400000_NS6detail17trampoline_kernelINS0_13select_configILj256ELj13ELNS0_17block_load_methodE3ELS4_3ELS4_3ELNS0_20block_scan_algorithmE0ELj4294967295EEENS1_25partition_config_selectorILNS1_17partition_subalgoE4EjNS0_10empty_typeEbEEZZNS1_14partition_implILS8_4ELb0ES6_15HIP_vector_typeIjLj2EENS0_17counting_iteratorIjlEEPS9_SG_NS0_5tupleIJPjSI_NS0_16reverse_iteratorISI_EEEEENSH_IJSG_SG_SG_EEES9_SI_JZNS1_25segmented_radix_sort_implINS0_14default_configELb1EPKlPlSQ_SR_N2at6native12_GLOBAL__N_18offset_tEEE10hipError_tPvRmT1_PNSt15iterator_traitsISZ_E10value_typeET2_T3_PNS10_IS15_E10value_typeET4_jRbjT5_S1B_jjP12ihipStream_tbEUljE_ZNSN_ISO_Lb1ESQ_SR_SQ_SR_SV_EESW_SX_SY_SZ_S13_S14_S15_S18_S19_jS1A_jS1B_S1B_jjS1D_bEUljE0_EEESW_SX_SY_S15_S19_S1B_T6_T7_T9_mT8_S1D_bDpT10_ENKUlT_T0_E_clISt17integral_constantIbLb0EES1R_EEDaS1M_S1N_EUlS1M_E_NS1_11comp_targetILNS1_3genE10ELNS1_11target_archE1200ELNS1_3gpuE4ELNS1_3repE0EEENS1_30default_config_static_selectorELNS0_4arch9wavefront6targetE0EEEvSZ_
; %bb.0:
	s_clause 0x6
	s_load_b32 s6, s[0:1], 0x80
	s_load_b128 s[24:27], s[0:1], 0x58
	s_load_b64 s[34:35], s[0:1], 0x10
	s_load_b64 s[2:3], s[0:1], 0x68
	s_load_b32 s7, s[0:1], 0x8
	s_load_b64 s[42:43], s[0:1], 0xa8
	s_load_b256 s[16:23], s[0:1], 0x88
	s_mov_b32 s5, 0
	s_mul_i32 s40, ttmp9, 0xd00
	s_wait_kmcnt 0x0
	s_mul_i32 s4, s6, 0xd00
	s_load_b128 s[28:31], s[26:27], 0x0
	s_add_co_i32 s8, s4, s34
	s_add_co_i32 s6, s6, -1
	s_sub_co_i32 s33, s2, s8
	s_add_nc_u64 s[4:5], s[34:35], s[4:5]
	s_addk_co_i32 s33, 0xd00
	s_cmp_eq_u32 ttmp9, s6
	v_cmp_gt_u64_e64 s2, s[2:3], s[4:5]
	s_cselect_b32 s15, -1, 0
	s_cmp_lg_u32 ttmp9, s6
	s_mov_b32 s5, -1
	s_cselect_b32 s3, -1, 0
	s_add_co_i32 s4, s7, s40
	s_wait_alu 0xfffe
	s_or_b32 s3, s3, s2
	s_add_co_i32 s4, s4, s34
	s_wait_alu 0xfffe
	s_and_b32 vcc_lo, exec_lo, s3
	v_add_nc_u32_e32 v1, s4, v0
	s_cbranch_vccz .LBB645_2
; %bb.1:
	s_delay_alu instid0(VALU_DEP_1)
	v_add_nc_u32_e32 v2, 0x100, v1
	v_lshlrev_b32_e32 v10, 2, v0
	v_add_nc_u32_e32 v3, 0x200, v1
	v_add_nc_u32_e32 v4, 0x300, v1
	;; [unrolled: 1-line block ×11, first 2 shown]
	ds_store_2addr_stride64_b32 v10, v1, v2 offset1:4
	ds_store_2addr_stride64_b32 v10, v3, v4 offset0:8 offset1:12
	ds_store_2addr_stride64_b32 v10, v5, v6 offset0:16 offset1:20
	;; [unrolled: 1-line block ×5, first 2 shown]
	ds_store_b32 v10, v14 offset:12288
	s_wait_dscnt 0x0
	s_barrier_signal -1
	s_mov_b32 s5, 0
	s_barrier_wait -1
.LBB645_2:
	v_cmp_gt_u32_e64 s2, s33, v0
	v_or_b32_e32 v38, 0x100, v0
	v_or_b32_e32 v37, 0x200, v0
	;; [unrolled: 1-line block ×12, first 2 shown]
	s_wait_alu 0xfffe
	s_and_not1_b32 vcc_lo, exec_lo, s5
	s_cbranch_vccnz .LBB645_4
; %bb.3:
	v_cmp_gt_u32_e32 vcc_lo, s33, v38
	v_add_nc_u32_e32 v3, s4, v37
	v_add_nc_u32_e32 v2, s4, v38
	v_cndmask_b32_e64 v1, 0, v1, s2
	v_lshlrev_b32_e32 v14, 2, v0
	s_delay_alu instid0(VALU_DEP_3)
	v_cndmask_b32_e32 v2, 0, v2, vcc_lo
	v_cmp_gt_u32_e32 vcc_lo, s33, v37
	s_wait_alu 0xfffd
	v_cndmask_b32_e32 v3, 0, v3, vcc_lo
	v_cmp_gt_u32_e32 vcc_lo, s33, v36
	v_add_nc_u32_e32 v5, s4, v35
	v_add_nc_u32_e32 v4, s4, v36
	s_wait_alu 0xfffd
	s_delay_alu instid0(VALU_DEP_1)
	v_cndmask_b32_e32 v4, 0, v4, vcc_lo
	v_cmp_gt_u32_e32 vcc_lo, s33, v35
	s_wait_alu 0xfffd
	v_cndmask_b32_e32 v5, 0, v5, vcc_lo
	v_cmp_gt_u32_e32 vcc_lo, s33, v34
	v_add_nc_u32_e32 v7, s4, v33
	v_add_nc_u32_e32 v6, s4, v34
	s_wait_alu 0xfffd
	s_delay_alu instid0(VALU_DEP_1)
	;; [unrolled: 9-line block ×5, first 2 shown]
	v_cndmask_b32_e32 v12, 0, v12, vcc_lo
	v_cmp_gt_u32_e32 vcc_lo, s33, v27
	s_wait_alu 0xfffd
	v_cndmask_b32_e32 v13, 0, v13, vcc_lo
	ds_store_2addr_stride64_b32 v14, v1, v2 offset1:4
	ds_store_2addr_stride64_b32 v14, v3, v4 offset0:8 offset1:12
	ds_store_2addr_stride64_b32 v14, v5, v6 offset0:16 offset1:20
	;; [unrolled: 1-line block ×5, first 2 shown]
	ds_store_b32 v14, v13 offset:12288
	s_wait_dscnt 0x0
	s_barrier_signal -1
	s_barrier_wait -1
.LBB645_4:
	v_mul_u32_u24_e32 v41, 13, v0
	s_clause 0x1
	s_load_b128 s[36:39], s[0:1], 0x28
	s_load_b64 s[26:27], s[0:1], 0x38
	global_inv scope:SCOPE_SE
	v_cndmask_b32_e64 v39, 0, 1, s3
	s_and_not1_b32 vcc_lo, exec_lo, s3
	v_lshlrev_b32_e32 v1, 2, v41
	ds_load_2addr_b32 v[19:20], v1 offset1:1
	ds_load_2addr_b32 v[17:18], v1 offset0:2 offset1:3
	ds_load_2addr_b32 v[15:16], v1 offset0:4 offset1:5
	ds_load_2addr_b32 v[13:14], v1 offset0:6 offset1:7
	ds_load_2addr_b32 v[11:12], v1 offset0:8 offset1:9
	ds_load_2addr_b32 v[9:10], v1 offset0:10 offset1:11
	ds_load_b32 v40, v1 offset:48
	s_wait_loadcnt_dscnt 0x0
	s_barrier_signal -1
	s_barrier_wait -1
	global_inv scope:SCOPE_SE
	s_wait_alu 0xfffe
	s_cbranch_vccnz .LBB645_32
; %bb.5:
	v_add_nc_u32_e32 v1, s17, v19
	v_add_nc_u32_e32 v2, s19, v19
	s_mov_b32 s44, 0
	s_mov_b32 s41, 0
	s_mov_b32 s3, exec_lo
	v_mul_lo_u32 v1, v1, s16
	v_mul_lo_u32 v2, v2, s18
	s_delay_alu instid0(VALU_DEP_1) | instskip(NEXT) | instid1(VALU_DEP_1)
	v_sub_nc_u32_e32 v1, v1, v2
	v_cmp_lt_u32_e32 vcc_lo, s20, v1
	v_cmpx_ge_u32_e64 s20, v1
	s_cbranch_execz .LBB645_7
; %bb.6:
	v_add_nc_u32_e32 v1, s22, v19
	v_add_nc_u32_e32 v2, s42, v19
	s_delay_alu instid0(VALU_DEP_2) | instskip(NEXT) | instid1(VALU_DEP_2)
	v_mul_lo_u32 v1, v1, s21
	v_mul_lo_u32 v2, v2, s23
	s_delay_alu instid0(VALU_DEP_1) | instskip(NEXT) | instid1(VALU_DEP_1)
	v_sub_nc_u32_e32 v1, v1, v2
	v_cmp_lt_u32_e64 s2, s43, v1
	s_and_b32 s41, s2, exec_lo
.LBB645_7:
	s_wait_alu 0xfffe
	s_or_b32 exec_lo, exec_lo, s3
	v_add_nc_u32_e32 v1, s17, v20
	v_add_nc_u32_e32 v2, s19, v20
	s_mov_b32 s4, exec_lo
	s_delay_alu instid0(VALU_DEP_2) | instskip(NEXT) | instid1(VALU_DEP_2)
	v_mul_lo_u32 v1, v1, s16
	v_mul_lo_u32 v2, v2, s18
	s_delay_alu instid0(VALU_DEP_1) | instskip(NEXT) | instid1(VALU_DEP_1)
	v_sub_nc_u32_e32 v1, v1, v2
	v_cmp_lt_u32_e64 s2, s20, v1
	v_cmpx_ge_u32_e64 s20, v1
	s_cbranch_execz .LBB645_9
; %bb.8:
	v_add_nc_u32_e32 v1, s22, v20
	v_add_nc_u32_e32 v2, s42, v20
	s_delay_alu instid0(VALU_DEP_2) | instskip(NEXT) | instid1(VALU_DEP_2)
	v_mul_lo_u32 v1, v1, s21
	v_mul_lo_u32 v2, v2, s23
	s_delay_alu instid0(VALU_DEP_1) | instskip(NEXT) | instid1(VALU_DEP_1)
	v_sub_nc_u32_e32 v1, v1, v2
	v_cmp_lt_u32_e64 s3, s43, v1
	s_and_b32 s44, s3, exec_lo
.LBB645_9:
	s_wait_alu 0xfffe
	s_or_b32 exec_lo, exec_lo, s4
	v_add_nc_u32_e32 v1, s17, v17
	v_add_nc_u32_e32 v2, s19, v17
	s_mov_b32 s46, 0
	s_mov_b32 s45, 0
	s_mov_b32 s5, exec_lo
	v_mul_lo_u32 v1, v1, s16
	v_mul_lo_u32 v2, v2, s18
	s_delay_alu instid0(VALU_DEP_1) | instskip(NEXT) | instid1(VALU_DEP_1)
	v_sub_nc_u32_e32 v1, v1, v2
	v_cmp_lt_u32_e64 s3, s20, v1
	v_cmpx_ge_u32_e64 s20, v1
	s_cbranch_execz .LBB645_11
; %bb.10:
	v_add_nc_u32_e32 v1, s22, v17
	v_add_nc_u32_e32 v2, s42, v17
	s_delay_alu instid0(VALU_DEP_2) | instskip(NEXT) | instid1(VALU_DEP_2)
	v_mul_lo_u32 v1, v1, s21
	v_mul_lo_u32 v2, v2, s23
	s_delay_alu instid0(VALU_DEP_1) | instskip(NEXT) | instid1(VALU_DEP_1)
	v_sub_nc_u32_e32 v1, v1, v2
	v_cmp_lt_u32_e64 s4, s43, v1
	s_and_b32 s45, s4, exec_lo
.LBB645_11:
	s_wait_alu 0xfffe
	s_or_b32 exec_lo, exec_lo, s5
	v_add_nc_u32_e32 v1, s17, v18
	v_add_nc_u32_e32 v2, s19, v18
	s_mov_b32 s6, exec_lo
	s_delay_alu instid0(VALU_DEP_2) | instskip(NEXT) | instid1(VALU_DEP_2)
	v_mul_lo_u32 v1, v1, s16
	v_mul_lo_u32 v2, v2, s18
	s_delay_alu instid0(VALU_DEP_1) | instskip(NEXT) | instid1(VALU_DEP_1)
	v_sub_nc_u32_e32 v1, v1, v2
	v_cmp_lt_u32_e64 s4, s20, v1
	v_cmpx_ge_u32_e64 s20, v1
	s_cbranch_execz .LBB645_13
; %bb.12:
	v_add_nc_u32_e32 v1, s22, v18
	v_add_nc_u32_e32 v2, s42, v18
	s_delay_alu instid0(VALU_DEP_2) | instskip(NEXT) | instid1(VALU_DEP_2)
	v_mul_lo_u32 v1, v1, s21
	v_mul_lo_u32 v2, v2, s23
	s_delay_alu instid0(VALU_DEP_1) | instskip(NEXT) | instid1(VALU_DEP_1)
	v_sub_nc_u32_e32 v1, v1, v2
	v_cmp_lt_u32_e64 s5, s43, v1
	s_and_b32 s46, s5, exec_lo
.LBB645_13:
	s_or_b32 exec_lo, exec_lo, s6
	v_add_nc_u32_e32 v1, s17, v15
	v_add_nc_u32_e32 v2, s19, v15
	s_mov_b32 s48, 0
	s_mov_b32 s47, 0
	s_mov_b32 s7, exec_lo
	v_mul_lo_u32 v1, v1, s16
	v_mul_lo_u32 v2, v2, s18
	s_delay_alu instid0(VALU_DEP_1) | instskip(NEXT) | instid1(VALU_DEP_1)
	v_sub_nc_u32_e32 v1, v1, v2
	v_cmp_lt_u32_e64 s5, s20, v1
	v_cmpx_ge_u32_e64 s20, v1
	s_cbranch_execz .LBB645_15
; %bb.14:
	v_add_nc_u32_e32 v1, s22, v15
	v_add_nc_u32_e32 v2, s42, v15
	s_delay_alu instid0(VALU_DEP_2) | instskip(NEXT) | instid1(VALU_DEP_2)
	v_mul_lo_u32 v1, v1, s21
	v_mul_lo_u32 v2, v2, s23
	s_delay_alu instid0(VALU_DEP_1) | instskip(NEXT) | instid1(VALU_DEP_1)
	v_sub_nc_u32_e32 v1, v1, v2
	v_cmp_lt_u32_e64 s6, s43, v1
	s_and_b32 s47, s6, exec_lo
.LBB645_15:
	s_or_b32 exec_lo, exec_lo, s7
	v_add_nc_u32_e32 v1, s17, v16
	v_add_nc_u32_e32 v2, s19, v16
	s_mov_b32 s8, exec_lo
	s_delay_alu instid0(VALU_DEP_2) | instskip(NEXT) | instid1(VALU_DEP_2)
	v_mul_lo_u32 v1, v1, s16
	v_mul_lo_u32 v2, v2, s18
	s_delay_alu instid0(VALU_DEP_1) | instskip(NEXT) | instid1(VALU_DEP_1)
	v_sub_nc_u32_e32 v1, v1, v2
	v_cmp_lt_u32_e64 s6, s20, v1
	v_cmpx_ge_u32_e64 s20, v1
	s_cbranch_execz .LBB645_17
; %bb.16:
	v_add_nc_u32_e32 v1, s22, v16
	v_add_nc_u32_e32 v2, s42, v16
	s_delay_alu instid0(VALU_DEP_2) | instskip(NEXT) | instid1(VALU_DEP_2)
	v_mul_lo_u32 v1, v1, s21
	v_mul_lo_u32 v2, v2, s23
	s_delay_alu instid0(VALU_DEP_1) | instskip(NEXT) | instid1(VALU_DEP_1)
	v_sub_nc_u32_e32 v1, v1, v2
	v_cmp_lt_u32_e64 s7, s43, v1
	s_and_b32 s48, s7, exec_lo
.LBB645_17:
	s_or_b32 exec_lo, exec_lo, s8
	v_add_nc_u32_e32 v1, s17, v13
	v_add_nc_u32_e32 v2, s19, v13
	s_mov_b32 s50, 0
	s_mov_b32 s49, 0
	s_mov_b32 s9, exec_lo
	v_mul_lo_u32 v1, v1, s16
	v_mul_lo_u32 v2, v2, s18
	s_delay_alu instid0(VALU_DEP_1) | instskip(NEXT) | instid1(VALU_DEP_1)
	v_sub_nc_u32_e32 v1, v1, v2
	v_cmp_lt_u32_e64 s7, s20, v1
	v_cmpx_ge_u32_e64 s20, v1
	s_cbranch_execz .LBB645_19
; %bb.18:
	v_add_nc_u32_e32 v1, s22, v13
	v_add_nc_u32_e32 v2, s42, v13
	s_delay_alu instid0(VALU_DEP_2) | instskip(NEXT) | instid1(VALU_DEP_2)
	v_mul_lo_u32 v1, v1, s21
	v_mul_lo_u32 v2, v2, s23
	s_delay_alu instid0(VALU_DEP_1) | instskip(NEXT) | instid1(VALU_DEP_1)
	v_sub_nc_u32_e32 v1, v1, v2
	v_cmp_lt_u32_e64 s8, s43, v1
	s_and_b32 s49, s8, exec_lo
.LBB645_19:
	;; [unrolled: 47-line block ×5, first 2 shown]
	s_or_b32 exec_lo, exec_lo, s57
	v_cndmask_b32_e64 v2, 0, 1, s2
	s_wait_alu 0xf1ff
	v_cndmask_b32_e64 v4, 0, 1, s4
	s_wait_alu 0xfffd
	v_cndmask_b32_e64 v1, 0, 1, vcc_lo
	v_cndmask_b32_e64 v3, 0, 1, s3
	v_cndmask_b32_e64 v6, 0, 1, s6
	v_lshlrev_b16 v2, 8, v2
	v_lshlrev_b16 v4, 8, v4
	v_cndmask_b32_e64 v8, 0, 1, s8
	v_cndmask_b32_e64 v22, 0, 1, s10
	;; [unrolled: 1-line block ×3, first 2 shown]
	v_or_b32_e32 v1, v1, v2
	v_or_b32_e32 v2, v3, v4
	v_cndmask_b32_e64 v51, 0, 1, s41
	v_cndmask_b32_e64 v5, 0, 1, s5
	;; [unrolled: 1-line block ×3, first 2 shown]
	v_and_b32_e32 v1, 0xffff, v1
	v_lshlrev_b32_e32 v2, 16, v2
	v_cndmask_b32_e64 v21, 0, 1, s9
	v_cndmask_b32_e64 v23, 0, 1, s11
	;; [unrolled: 1-line block ×8, first 2 shown]
	v_or_b32_e32 v42, v1, v2
	v_lshlrev_b16 v1, 8, v6
	v_lshlrev_b16 v2, 8, v8
	;; [unrolled: 1-line block ×5, first 2 shown]
	v_cndmask_b32_e64 v26, 0, 1, s53
	v_cndmask_b32_e64 v44, 0, 1, s50
	v_cndmask_b32_e64 v47, 0, 1, s48
	v_cndmask_b32_e64 v3, 0, 1, s46
	v_cndmask_b32_e64 v50, 0, 1, s44
	v_or_b32_e32 v1, v5, v1
	v_or_b32_e32 v2, v7, v2
	;; [unrolled: 1-line block ×5, first 2 shown]
	v_lshlrev_b16 v4, 8, v4
	v_lshlrev_b16 v8, 8, v49
	;; [unrolled: 1-line block ×5, first 2 shown]
	v_or_b32_e32 v4, v50, v4
	v_or_b32_e32 v3, v3, v8
	;; [unrolled: 1-line block ×5, first 2 shown]
	v_and_b32_e32 v1, 0xffff, v1
	v_lshlrev_b32_e32 v2, 16, v2
	v_and_b32_e32 v5, 0xffff, v5
	v_lshlrev_b32_e32 v6, 16, v6
	;; [unrolled: 2-line block ×5, first 2 shown]
	v_cndmask_b32_e64 v45, 0, 1, s54
	v_cndmask_b32_e64 v48, 0, 1, s56
	v_or_b32_e32 v44, v1, v2
	v_or_b32_e32 v47, v5, v6
	;; [unrolled: 1-line block ×5, first 2 shown]
	s_load_b64 s[4:5], s[0:1], 0x78
	s_and_b32 vcc_lo, exec_lo, s51
	s_wait_alu 0xfffe
	s_cbranch_vccnz .LBB645_33
	s_branch .LBB645_110
.LBB645_32:
                                        ; implicit-def: $vgpr48
                                        ; implicit-def: $vgpr45
                                        ; implicit-def: $vgpr46
                                        ; implicit-def: $vgpr43
                                        ; implicit-def: $vgpr49
                                        ; implicit-def: $vgpr47
                                        ; implicit-def: $vgpr44
                                        ; implicit-def: $vgpr42
	s_load_b64 s[4:5], s[0:1], 0x78
	s_cbranch_execz .LBB645_110
.LBB645_33:
	v_dual_mov_b32 v2, 0 :: v_dual_mov_b32 v1, 0
	s_mov_b32 s1, exec_lo
	v_cmpx_gt_u32_e64 s33, v41
	s_cbranch_execz .LBB645_37
; %bb.34:
	v_add_nc_u32_e32 v1, s17, v19
	v_add_nc_u32_e32 v2, s19, v19
	s_mov_b32 s3, 0
	s_mov_b32 s2, exec_lo
	s_delay_alu instid0(VALU_DEP_2) | instskip(NEXT) | instid1(VALU_DEP_2)
	v_mul_lo_u32 v1, v1, s16
	v_mul_lo_u32 v2, v2, s18
	s_delay_alu instid0(VALU_DEP_1) | instskip(NEXT) | instid1(VALU_DEP_1)
	v_sub_nc_u32_e32 v1, v1, v2
	v_cmp_lt_u32_e32 vcc_lo, s20, v1
	v_cmpx_ge_u32_e64 s20, v1
	s_cbranch_execz .LBB645_36
; %bb.35:
	v_add_nc_u32_e32 v1, s22, v19
	v_add_nc_u32_e32 v2, s42, v19
	s_delay_alu instid0(VALU_DEP_2) | instskip(NEXT) | instid1(VALU_DEP_2)
	v_mul_lo_u32 v1, v1, s21
	v_mul_lo_u32 v2, v2, s23
	s_delay_alu instid0(VALU_DEP_1) | instskip(NEXT) | instid1(VALU_DEP_1)
	v_sub_nc_u32_e32 v1, v1, v2
	v_cmp_lt_u32_e64 s0, s43, v1
	s_and_b32 s3, s0, exec_lo
.LBB645_36:
	s_wait_alu 0xfffe
	s_or_b32 exec_lo, exec_lo, s2
	v_cndmask_b32_e64 v2, 0, 1, s3
	s_wait_alu 0xfffd
	v_cndmask_b32_e64 v1, 0, 1, vcc_lo
.LBB645_37:
	s_or_b32 exec_lo, exec_lo, s1
	s_delay_alu instid0(VALU_DEP_2) | instskip(SKIP_1) | instid1(VALU_DEP_3)
	v_lshlrev_b16 v2, 8, v2
	v_add_nc_u32_e32 v3, 1, v41
	v_and_b32_e32 v6, 0xff, v1
	v_lshlrev_b16 v1, 8, 0
                                        ; implicit-def: $vgpr5
                                        ; implicit-def: $vgpr8
                                        ; implicit-def: $vgpr4
	s_delay_alu instid0(VALU_DEP_4) | instskip(NEXT) | instid1(VALU_DEP_4)
	v_and_b32_e32 v2, 0xffff, v2
	v_cmp_le_u32_e32 vcc_lo, s33, v3
                                        ; implicit-def: $vgpr3
	s_delay_alu instid0(VALU_DEP_2) | instskip(SKIP_2) | instid1(SALU_CYCLE_1)
	v_lshrrev_b32_e32 v21, 8, v2
	v_and_b32_e32 v7, 0xff, v2
                                        ; implicit-def: $vgpr2
	s_and_saveexec_b32 s0, vcc_lo
	s_xor_b32 s0, exec_lo, s0
	s_cbranch_execz .LBB645_39
; %bb.38:
	v_lshlrev_b16 v2, 8, v21
	v_and_b32_e32 v4, 0xffff, v1
                                        ; implicit-def: $vgpr21
	v_mov_b32_e32 v5, 0
	s_delay_alu instid0(VALU_DEP_3) | instskip(SKIP_1) | instid1(VALU_DEP_2)
	v_or_b32_e32 v3, v7, v2
	v_mov_b32_e32 v2, 0
                                        ; implicit-def: $vgpr7
	v_and_b32_e32 v8, 0xffff, v3
	v_and_b32_e32 v3, 0xffff, v1
                                        ; implicit-def: $vgpr1
.LBB645_39:
	s_and_not1_saveexec_b32 s1, s0
	s_cbranch_execz .LBB645_43
; %bb.40:
	v_add_nc_u32_e32 v2, s17, v20
	v_add_nc_u32_e32 v3, s19, v20
	s_mov_b32 s2, 0
	s_mov_b32 s3, exec_lo
	s_delay_alu instid0(VALU_DEP_2) | instskip(NEXT) | instid1(VALU_DEP_2)
	v_mul_lo_u32 v2, v2, s16
	v_mul_lo_u32 v3, v3, s18
	s_delay_alu instid0(VALU_DEP_1) | instskip(NEXT) | instid1(VALU_DEP_1)
	v_sub_nc_u32_e32 v2, v2, v3
	v_cmp_lt_u32_e32 vcc_lo, s20, v2
	v_cmpx_ge_u32_e64 s20, v2
	s_cbranch_execz .LBB645_42
; %bb.41:
	v_add_nc_u32_e32 v2, s22, v20
	v_add_nc_u32_e32 v3, s42, v20
	s_delay_alu instid0(VALU_DEP_2) | instskip(NEXT) | instid1(VALU_DEP_2)
	v_mul_lo_u32 v2, v2, s21
	v_mul_lo_u32 v3, v3, s23
	s_delay_alu instid0(VALU_DEP_1) | instskip(NEXT) | instid1(VALU_DEP_1)
	v_sub_nc_u32_e32 v2, v2, v3
	v_cmp_lt_u32_e64 s0, s43, v2
	s_and_b32 s2, s0, exec_lo
.LBB645_42:
	s_wait_alu 0xfffe
	s_or_b32 exec_lo, exec_lo, s3
	s_wait_alu 0xfffd
	v_cndmask_b32_e64 v2, 0, 1, vcc_lo
	v_lshlrev_b16 v3, 8, v21
	v_dual_mov_b32 v5, 0 :: v_dual_and_b32 v4, 0xffff, v1
	s_delay_alu instid0(VALU_DEP_3) | instskip(NEXT) | instid1(VALU_DEP_3)
	v_lshlrev_b16 v2, 8, v2
	v_or_b32_e32 v3, v7, v3
	v_cndmask_b32_e64 v7, 0, 1, s2
	s_delay_alu instid0(VALU_DEP_3) | instskip(NEXT) | instid1(VALU_DEP_3)
	v_or_b32_e32 v6, v6, v2
	v_dual_mov_b32 v2, 0 :: v_dual_and_b32 v3, 0xffff, v3
	s_delay_alu instid0(VALU_DEP_2) | instskip(NEXT) | instid1(VALU_DEP_2)
	v_and_b32_e32 v6, 0xffff, v6
	v_lshl_or_b32 v8, v7, 16, v3
	v_and_b32_e32 v3, 0xffff, v1
.LBB645_43:
	s_or_b32 exec_lo, exec_lo, s1
	v_add_nc_u32_e32 v1, 2, v41
	v_and_b32_e32 v21, 0xff, v6
	v_lshrrev_b32_e32 v22, 8, v6
                                        ; implicit-def: $vgpr7
	s_delay_alu instid0(VALU_DEP_3) | instskip(SKIP_1) | instid1(SALU_CYCLE_1)
	v_cmp_le_u32_e32 vcc_lo, s33, v1
                                        ; implicit-def: $vgpr1
	s_and_saveexec_b32 s0, vcc_lo
	s_xor_b32 s0, exec_lo, s0
	s_cbranch_execz .LBB645_45
; %bb.44:
	v_lshlrev_b16 v1, 8, v22
	v_perm_b32 v4, v4, v4, 0x3060504
                                        ; implicit-def: $vgpr22
	s_delay_alu instid0(VALU_DEP_2) | instskip(SKIP_1) | instid1(VALU_DEP_2)
	v_or_b32_e32 v1, v21, v1
	v_and_b32_e32 v21, 0xff0000, v8
	v_and_b32_e32 v1, 0xffff, v1
	s_delay_alu instid0(VALU_DEP_1) | instskip(NEXT) | instid1(VALU_DEP_3)
	v_and_or_b32 v7, 0xff000000, v6, v1
	v_perm_b32 v1, v8, v21, 0x3020504
                                        ; implicit-def: $vgpr21
                                        ; implicit-def: $vgpr6
                                        ; implicit-def: $vgpr8
.LBB645_45:
	s_and_not1_saveexec_b32 s1, s0
	s_cbranch_execz .LBB645_49
; %bb.46:
	v_add_nc_u32_e32 v1, s17, v17
	v_add_nc_u32_e32 v7, s19, v17
	s_mov_b32 s2, 0
	s_mov_b32 s3, exec_lo
	s_delay_alu instid0(VALU_DEP_2) | instskip(NEXT) | instid1(VALU_DEP_2)
	v_mul_lo_u32 v1, v1, s16
	v_mul_lo_u32 v7, v7, s18
	s_delay_alu instid0(VALU_DEP_1) | instskip(NEXT) | instid1(VALU_DEP_1)
	v_sub_nc_u32_e32 v1, v1, v7
	v_cmp_lt_u32_e32 vcc_lo, s20, v1
	v_cmpx_ge_u32_e64 s20, v1
	s_cbranch_execz .LBB645_48
; %bb.47:
	v_add_nc_u32_e32 v1, s22, v17
	v_add_nc_u32_e32 v7, s42, v17
	s_delay_alu instid0(VALU_DEP_2) | instskip(NEXT) | instid1(VALU_DEP_2)
	v_mul_lo_u32 v1, v1, s21
	v_mul_lo_u32 v7, v7, s23
	s_delay_alu instid0(VALU_DEP_1) | instskip(NEXT) | instid1(VALU_DEP_1)
	v_sub_nc_u32_e32 v1, v1, v7
	v_cmp_lt_u32_e64 s0, s43, v1
	s_and_b32 s2, s0, exec_lo
.LBB645_48:
	s_wait_alu 0xfffe
	s_or_b32 exec_lo, exec_lo, s3
	v_lshrrev_b32_e32 v6, 24, v6
	v_cndmask_b32_e64 v7, 0, 1, s2
	v_lshrrev_b32_e32 v23, 8, v8
	v_lshrrev_b32_e32 v24, 16, v8
	s_wait_alu 0xfffd
	v_cndmask_b32_e64 v1, 0, 1, vcc_lo
	v_lshlrev_b16 v22, 8, v22
	v_lshlrev_b16 v6, 8, v6
	v_and_b32_e32 v8, 0xff, v8
	v_lshlrev_b16 v23, 8, v23
	v_lshlrev_b16 v7, 8, v7
	v_and_b32_e32 v24, 0xff, v24
	v_or_b32_e32 v21, v21, v22
	v_or_b32_e32 v1, v1, v6
	;; [unrolled: 1-line block ×3, first 2 shown]
	s_delay_alu instid0(VALU_DEP_4) | instskip(NEXT) | instid1(VALU_DEP_4)
	v_or_b32_e32 v7, v24, v7
	v_and_b32_e32 v8, 0xffff, v21
	s_delay_alu instid0(VALU_DEP_4) | instskip(NEXT) | instid1(VALU_DEP_4)
	v_lshlrev_b32_e32 v1, 16, v1
	v_and_b32_e32 v6, 0xffff, v6
	s_delay_alu instid0(VALU_DEP_4) | instskip(NEXT) | instid1(VALU_DEP_3)
	v_lshlrev_b32_e32 v21, 16, v7
	v_or_b32_e32 v7, v8, v1
	s_delay_alu instid0(VALU_DEP_2)
	v_or_b32_e32 v1, v6, v21
.LBB645_49:
	s_or_b32 exec_lo, exec_lo, s1
	v_add_nc_u32_e32 v6, 3, v41
	v_lshrrev_b32_e32 v8, 24, v5
	v_lshrrev_b32_e32 v21, 16, v5
	;; [unrolled: 1-line block ×3, first 2 shown]
                                        ; implicit-def: $vgpr42
	s_delay_alu instid0(VALU_DEP_4) | instskip(SKIP_1) | instid1(SALU_CYCLE_1)
	v_cmp_le_u32_e32 vcc_lo, s33, v6
                                        ; implicit-def: $vgpr6
	s_and_saveexec_b32 s0, vcc_lo
	s_xor_b32 s0, exec_lo, s0
	s_cbranch_execz .LBB645_51
; %bb.50:
	v_lshlrev_b16 v6, 8, v8
	v_and_b32_e32 v8, 0xff, v21
	v_lshlrev_b16 v5, 8, v5
	v_perm_b32 v4, v4, v4, 0x3060504
	v_perm_b32 v3, v3, v3, 0x3060504
                                        ; implicit-def: $vgpr21
	s_delay_alu instid0(VALU_DEP_4) | instskip(SKIP_2) | instid1(VALU_DEP_3)
	v_or_b32_e32 v6, v8, v6
	v_and_b32_e32 v8, 0xff0000, v7
	v_and_b32_e32 v5, 0xffff, v5
	v_lshlrev_b32_e32 v6, 16, v6
	s_delay_alu instid0(VALU_DEP_3) | instskip(NEXT) | instid1(VALU_DEP_2)
	v_perm_b32 v42, v7, v8, 0x3020504
                                        ; implicit-def: $vgpr7
                                        ; implicit-def: $vgpr8
	v_or_b32_e32 v6, v5, v6
                                        ; implicit-def: $vgpr5
.LBB645_51:
	s_and_not1_saveexec_b32 s1, s0
	s_cbranch_execz .LBB645_55
; %bb.52:
	v_add_nc_u32_e32 v6, s17, v18
	v_add_nc_u32_e32 v22, s19, v18
	s_mov_b32 s2, 0
	s_mov_b32 s3, exec_lo
	s_delay_alu instid0(VALU_DEP_2) | instskip(NEXT) | instid1(VALU_DEP_2)
	v_mul_lo_u32 v6, v6, s16
	v_mul_lo_u32 v22, v22, s18
	s_delay_alu instid0(VALU_DEP_1) | instskip(NEXT) | instid1(VALU_DEP_1)
	v_sub_nc_u32_e32 v6, v6, v22
	v_cmp_lt_u32_e32 vcc_lo, s20, v6
	v_cmpx_ge_u32_e64 s20, v6
	s_cbranch_execz .LBB645_54
; %bb.53:
	v_add_nc_u32_e32 v6, s22, v18
	v_add_nc_u32_e32 v22, s42, v18
	s_delay_alu instid0(VALU_DEP_2) | instskip(NEXT) | instid1(VALU_DEP_2)
	v_mul_lo_u32 v6, v6, s21
	v_mul_lo_u32 v22, v22, s23
	s_delay_alu instid0(VALU_DEP_1) | instskip(NEXT) | instid1(VALU_DEP_1)
	v_sub_nc_u32_e32 v6, v6, v22
	v_cmp_lt_u32_e64 s0, s43, v6
	s_and_b32 s2, s0, exec_lo
.LBB645_54:
	s_wait_alu 0xfffe
	s_or_b32 exec_lo, exec_lo, s3
	v_lshrrev_b32_e32 v6, 8, v7
	s_wait_alu 0xfffd
	v_cndmask_b32_e64 v22, 0, 1, vcc_lo
	v_lshrrev_b32_e32 v23, 16, v7
	v_cndmask_b32_e64 v24, 0, 1, s2
	v_and_b32_e32 v7, 0xff, v7
	v_lshlrev_b16 v6, 8, v6
	v_lshlrev_b16 v22, 8, v22
	v_and_b32_e32 v23, 0xff, v23
	v_lshlrev_b16 v8, 8, v8
	v_and_b32_e32 v21, 0xff, v21
	v_lshlrev_b16 v5, 8, v5
	v_or_b32_e32 v6, v7, v6
	v_or_b32_e32 v7, v23, v22
	s_delay_alu instid0(VALU_DEP_4) | instskip(NEXT) | instid1(VALU_DEP_4)
	v_or_b32_e32 v8, v21, v8
	v_or_b32_e32 v5, v24, v5
	s_delay_alu instid0(VALU_DEP_4) | instskip(NEXT) | instid1(VALU_DEP_4)
	v_and_b32_e32 v6, 0xffff, v6
	v_lshlrev_b32_e32 v7, 16, v7
	s_delay_alu instid0(VALU_DEP_4) | instskip(NEXT) | instid1(VALU_DEP_4)
	v_lshlrev_b32_e32 v8, 16, v8
	v_and_b32_e32 v5, 0xffff, v5
	s_delay_alu instid0(VALU_DEP_3) | instskip(NEXT) | instid1(VALU_DEP_2)
	v_or_b32_e32 v42, v6, v7
	v_or_b32_e32 v6, v5, v8
.LBB645_55:
	s_or_b32 exec_lo, exec_lo, s1
	v_add_nc_u32_e32 v5, 4, v41
	v_lshrrev_b32_e32 v21, 8, v4
	v_lshrrev_b32_e32 v22, 16, v4
	;; [unrolled: 1-line block ×4, first 2 shown]
	v_cmp_le_u32_e32 vcc_lo, s33, v5
	v_lshrrev_b32_e32 v8, 16, v6
                                        ; implicit-def: $vgpr4
                                        ; implicit-def: $vgpr5
	s_and_saveexec_b32 s0, vcc_lo
	s_delay_alu instid0(SALU_CYCLE_1)
	s_xor_b32 s0, exec_lo, s0
	s_cbranch_execz .LBB645_57
; %bb.56:
	v_lshlrev_b16 v4, 8, v23
	v_and_b32_e32 v5, 0xff, v22
	v_lshlrev_b16 v21, 8, v21
	v_lshlrev_b16 v7, 8, v7
	v_and_b32_e32 v8, 0xff, v8
	v_perm_b32 v3, v3, v3, 0x3060504
	v_or_b32_e32 v4, v5, v4
	v_and_b32_e32 v5, 0xffff, v21
                                        ; implicit-def: $vgpr21
                                        ; implicit-def: $vgpr22
                                        ; implicit-def: $vgpr23
	s_delay_alu instid0(VALU_DEP_4) | instskip(NEXT) | instid1(VALU_DEP_3)
	v_or_b32_e32 v7, v8, v7
	v_lshlrev_b32_e32 v8, 16, v4
	s_delay_alu instid0(VALU_DEP_2) | instskip(NEXT) | instid1(VALU_DEP_2)
	v_perm_b32 v4, v7, v6, 0x5040c00
                                        ; implicit-def: $vgpr6
                                        ; implicit-def: $vgpr7
	v_or_b32_e32 v5, v5, v8
                                        ; implicit-def: $vgpr8
.LBB645_57:
	s_and_not1_saveexec_b32 s1, s0
	s_cbranch_execz .LBB645_61
; %bb.58:
	v_add_nc_u32_e32 v4, s17, v15
	v_add_nc_u32_e32 v5, s19, v15
	s_mov_b32 s2, 0
	s_mov_b32 s3, exec_lo
	s_delay_alu instid0(VALU_DEP_2) | instskip(NEXT) | instid1(VALU_DEP_2)
	v_mul_lo_u32 v4, v4, s16
	v_mul_lo_u32 v5, v5, s18
	s_delay_alu instid0(VALU_DEP_1) | instskip(NEXT) | instid1(VALU_DEP_1)
	v_sub_nc_u32_e32 v4, v4, v5
	v_cmp_lt_u32_e32 vcc_lo, s20, v4
	v_cmpx_ge_u32_e64 s20, v4
	s_cbranch_execz .LBB645_60
; %bb.59:
	v_add_nc_u32_e32 v4, s22, v15
	v_add_nc_u32_e32 v5, s42, v15
	s_delay_alu instid0(VALU_DEP_2) | instskip(NEXT) | instid1(VALU_DEP_2)
	v_mul_lo_u32 v4, v4, s21
	v_mul_lo_u32 v5, v5, s23
	s_delay_alu instid0(VALU_DEP_1) | instskip(NEXT) | instid1(VALU_DEP_1)
	v_sub_nc_u32_e32 v4, v4, v5
	v_cmp_lt_u32_e64 s0, s43, v4
	s_and_b32 s2, s0, exec_lo
.LBB645_60:
	s_wait_alu 0xfffe
	s_or_b32 exec_lo, exec_lo, s3
	v_cndmask_b32_e64 v4, 0, 1, s2
	s_wait_alu 0xfffd
	v_cndmask_b32_e64 v5, 0, 1, vcc_lo
	v_lshlrev_b16 v23, 8, v23
	v_and_b32_e32 v22, 0xff, v22
	v_lshlrev_b16 v21, 8, v21
	v_lshlrev_b16 v4, 8, v4
	v_and_b32_e32 v6, 0xff, v6
	v_lshlrev_b16 v7, 8, v7
	v_and_b32_e32 v8, 0xff, v8
	v_or_b32_e32 v22, v22, v23
	v_or_b32_e32 v5, v5, v21
	;; [unrolled: 1-line block ×3, first 2 shown]
	s_delay_alu instid0(VALU_DEP_4) | instskip(NEXT) | instid1(VALU_DEP_4)
	v_or_b32_e32 v6, v8, v7
	v_lshlrev_b32_e32 v7, 16, v22
	s_delay_alu instid0(VALU_DEP_4) | instskip(NEXT) | instid1(VALU_DEP_4)
	v_and_b32_e32 v5, 0xffff, v5
	v_and_b32_e32 v4, 0xffff, v4
	s_delay_alu instid0(VALU_DEP_4) | instskip(NEXT) | instid1(VALU_DEP_3)
	v_lshlrev_b32_e32 v6, 16, v6
	v_or_b32_e32 v5, v5, v7
	s_delay_alu instid0(VALU_DEP_2)
	v_or_b32_e32 v4, v4, v6
.LBB645_61:
	s_or_b32 exec_lo, exec_lo, s1
	v_add_nc_u32_e32 v6, 5, v41
	s_delay_alu instid0(VALU_DEP_2)
	v_lshrrev_b32_e32 v21, 16, v5
	v_lshrrev_b32_e32 v23, 24, v5
	v_and_b32_e32 v8, 0xff, v4
	v_lshrrev_b32_e32 v22, 8, v4
	v_cmp_le_u32_e32 vcc_lo, s33, v6
                                        ; implicit-def: $vgpr6
                                        ; implicit-def: $vgpr7
	s_and_saveexec_b32 s0, vcc_lo
	s_delay_alu instid0(SALU_CYCLE_1)
	s_xor_b32 s0, exec_lo, s0
	s_cbranch_execz .LBB645_63
; %bb.62:
	v_lshlrev_b16 v6, 8, v22
	v_lshlrev_b16 v7, 8, v23
	v_and_b32_e32 v21, 0xff, v21
	v_perm_b32 v3, v3, v3, 0x3060504
                                        ; implicit-def: $vgpr23
                                        ; implicit-def: $vgpr22
	s_delay_alu instid0(VALU_DEP_4) | instskip(NEXT) | instid1(VALU_DEP_3)
	v_or_b32_e32 v6, v8, v6
                                        ; implicit-def: $vgpr8
	v_or_b32_e32 v7, v21, v7
                                        ; implicit-def: $vgpr21
	s_delay_alu instid0(VALU_DEP_2) | instskip(NEXT) | instid1(VALU_DEP_2)
	v_and_b32_e32 v6, 0xffff, v6
	v_perm_b32 v7, v7, v5, 0x5040c00
                                        ; implicit-def: $vgpr5
	s_delay_alu instid0(VALU_DEP_2)
	v_and_or_b32 v6, 0xff000000, v4, v6
                                        ; implicit-def: $vgpr4
.LBB645_63:
	s_and_not1_saveexec_b32 s1, s0
	s_cbranch_execz .LBB645_67
; %bb.64:
	v_add_nc_u32_e32 v6, s17, v16
	v_add_nc_u32_e32 v7, s19, v16
	s_mov_b32 s2, 0
	s_mov_b32 s3, exec_lo
	s_delay_alu instid0(VALU_DEP_2) | instskip(NEXT) | instid1(VALU_DEP_2)
	v_mul_lo_u32 v6, v6, s16
	v_mul_lo_u32 v7, v7, s18
	s_delay_alu instid0(VALU_DEP_1) | instskip(NEXT) | instid1(VALU_DEP_1)
	v_sub_nc_u32_e32 v6, v6, v7
	v_cmp_lt_u32_e32 vcc_lo, s20, v6
	v_cmpx_ge_u32_e64 s20, v6
	s_cbranch_execz .LBB645_66
; %bb.65:
	v_add_nc_u32_e32 v6, s22, v16
	v_add_nc_u32_e32 v7, s42, v16
	s_delay_alu instid0(VALU_DEP_2) | instskip(NEXT) | instid1(VALU_DEP_2)
	v_mul_lo_u32 v6, v6, s21
	v_mul_lo_u32 v7, v7, s23
	s_delay_alu instid0(VALU_DEP_1) | instskip(NEXT) | instid1(VALU_DEP_1)
	v_sub_nc_u32_e32 v6, v6, v7
	v_cmp_lt_u32_e64 s0, s43, v6
	s_and_b32 s2, s0, exec_lo
.LBB645_66:
	s_wait_alu 0xfffe
	s_or_b32 exec_lo, exec_lo, s3
	s_wait_alu 0xfffd
	v_cndmask_b32_e64 v6, 0, 1, vcc_lo
	v_lshrrev_b32_e32 v4, 24, v4
	v_cndmask_b32_e64 v7, 0, 1, s2
	v_lshlrev_b16 v23, 8, v23
	v_and_b32_e32 v21, 0xff, v21
	v_lshlrev_b16 v6, 8, v6
	v_lshlrev_b16 v22, 8, v22
	v_and_b32_e32 v5, 0xff, v5
	v_lshlrev_b16 v4, 8, v4
	v_or_b32_e32 v21, v21, v23
	s_delay_alu instid0(VALU_DEP_4) | instskip(NEXT) | instid1(VALU_DEP_4)
	v_or_b32_e32 v8, v8, v22
	v_or_b32_e32 v5, v5, v6
	s_delay_alu instid0(VALU_DEP_4) | instskip(NEXT) | instid1(VALU_DEP_4)
	v_or_b32_e32 v4, v7, v4
	v_lshlrev_b32_e32 v6, 16, v21
	s_delay_alu instid0(VALU_DEP_4) | instskip(NEXT) | instid1(VALU_DEP_4)
	v_and_b32_e32 v8, 0xffff, v8
	v_and_b32_e32 v5, 0xffff, v5
	s_delay_alu instid0(VALU_DEP_4) | instskip(NEXT) | instid1(VALU_DEP_2)
	v_lshlrev_b32_e32 v4, 16, v4
	v_or_b32_e32 v7, v5, v6
	s_delay_alu instid0(VALU_DEP_2)
	v_or_b32_e32 v6, v8, v4
.LBB645_67:
	s_or_b32 exec_lo, exec_lo, s1
	v_add_nc_u32_e32 v4, 6, v41
	s_delay_alu instid0(VALU_DEP_3) | instskip(NEXT) | instid1(VALU_DEP_2)
	v_lshrrev_b32_e32 v8, 8, v7
                                        ; implicit-def: $vgpr43
                                        ; implicit-def: $vgpr5
	v_cmp_le_u32_e32 vcc_lo, s33, v4
	v_and_b32_e32 v4, 0xff, v7
	s_and_saveexec_b32 s0, vcc_lo
	s_delay_alu instid0(SALU_CYCLE_1)
	s_xor_b32 s0, exec_lo, s0
	s_cbranch_execz .LBB645_69
; %bb.68:
	v_lshlrev_b16 v5, 8, v8
	v_perm_b32 v3, v3, v3, 0x3060504
                                        ; implicit-def: $vgpr8
	s_delay_alu instid0(VALU_DEP_2) | instskip(SKIP_1) | instid1(VALU_DEP_2)
	v_or_b32_e32 v4, v4, v5
	v_and_b32_e32 v5, 0xff0000, v6
	v_and_b32_e32 v4, 0xffff, v4
	s_delay_alu instid0(VALU_DEP_2) | instskip(NEXT) | instid1(VALU_DEP_2)
	v_perm_b32 v43, v6, v5, 0x3020504
                                        ; implicit-def: $vgpr6
	v_and_or_b32 v5, 0xff000000, v7, v4
                                        ; implicit-def: $vgpr4
                                        ; implicit-def: $vgpr7
.LBB645_69:
	s_and_not1_saveexec_b32 s1, s0
	s_cbranch_execz .LBB645_73
; %bb.70:
	v_add_nc_u32_e32 v5, s17, v13
	v_add_nc_u32_e32 v21, s19, v13
	s_mov_b32 s2, 0
	s_mov_b32 s3, exec_lo
	s_delay_alu instid0(VALU_DEP_2) | instskip(NEXT) | instid1(VALU_DEP_2)
	v_mul_lo_u32 v5, v5, s16
	v_mul_lo_u32 v21, v21, s18
	s_delay_alu instid0(VALU_DEP_1) | instskip(NEXT) | instid1(VALU_DEP_1)
	v_sub_nc_u32_e32 v5, v5, v21
	v_cmp_lt_u32_e32 vcc_lo, s20, v5
	v_cmpx_ge_u32_e64 s20, v5
	s_cbranch_execz .LBB645_72
; %bb.71:
	v_add_nc_u32_e32 v5, s22, v13
	v_add_nc_u32_e32 v21, s42, v13
	s_delay_alu instid0(VALU_DEP_2) | instskip(NEXT) | instid1(VALU_DEP_2)
	v_mul_lo_u32 v5, v5, s21
	v_mul_lo_u32 v21, v21, s23
	s_delay_alu instid0(VALU_DEP_1) | instskip(NEXT) | instid1(VALU_DEP_1)
	v_sub_nc_u32_e32 v5, v5, v21
	v_cmp_lt_u32_e64 s0, s43, v5
	s_and_b32 s2, s0, exec_lo
.LBB645_72:
	s_wait_alu 0xfffe
	s_or_b32 exec_lo, exec_lo, s3
	v_lshrrev_b32_e32 v7, 24, v7
	v_cndmask_b32_e64 v21, 0, 1, s2
	v_lshrrev_b32_e32 v22, 8, v6
	v_lshrrev_b32_e32 v23, 16, v6
	s_wait_alu 0xfffd
	v_cndmask_b32_e64 v5, 0, 1, vcc_lo
	v_lshlrev_b16 v8, 8, v8
	v_lshlrev_b16 v7, 8, v7
	v_and_b32_e32 v6, 0xff, v6
	v_lshlrev_b16 v22, 8, v22
	v_lshlrev_b16 v21, 8, v21
	v_and_b32_e32 v23, 0xff, v23
	v_or_b32_e32 v4, v4, v8
	v_or_b32_e32 v5, v5, v7
	;; [unrolled: 1-line block ×3, first 2 shown]
	s_delay_alu instid0(VALU_DEP_4) | instskip(NEXT) | instid1(VALU_DEP_4)
	v_or_b32_e32 v7, v23, v21
	v_and_b32_e32 v4, 0xffff, v4
	s_delay_alu instid0(VALU_DEP_4) | instskip(NEXT) | instid1(VALU_DEP_4)
	v_lshlrev_b32_e32 v5, 16, v5
	v_and_b32_e32 v6, 0xffff, v6
	s_delay_alu instid0(VALU_DEP_4) | instskip(NEXT) | instid1(VALU_DEP_3)
	v_lshlrev_b32_e32 v7, 16, v7
	v_or_b32_e32 v5, v4, v5
	s_delay_alu instid0(VALU_DEP_2)
	v_or_b32_e32 v43, v6, v7
.LBB645_73:
	s_or_b32 exec_lo, exec_lo, s1
	v_add_nc_u32_e32 v4, 7, v41
	v_lshrrev_b32_e32 v6, 8, v3
	v_lshrrev_b32_e32 v7, 16, v3
	v_lshrrev_b32_e32 v3, 24, v3
                                        ; implicit-def: $vgpr44
	s_delay_alu instid0(VALU_DEP_4) | instskip(SKIP_1) | instid1(SALU_CYCLE_1)
	v_cmp_le_u32_e32 vcc_lo, s33, v4
                                        ; implicit-def: $vgpr4
	s_and_saveexec_b32 s0, vcc_lo
	s_xor_b32 s0, exec_lo, s0
	s_cbranch_execz .LBB645_75
; %bb.74:
	v_lshlrev_b16 v3, 8, v3
	v_and_b32_e32 v4, 0xff, v7
                                        ; implicit-def: $vgpr7
	s_delay_alu instid0(VALU_DEP_1) | instskip(SKIP_2) | instid1(VALU_DEP_3)
	v_or_b32_e32 v3, v4, v3
	v_lshlrev_b16 v4, 8, v6
	v_and_b32_e32 v6, 0xff0000, v5
	v_lshlrev_b32_e32 v3, 16, v3
	s_delay_alu instid0(VALU_DEP_3) | instskip(NEXT) | instid1(VALU_DEP_3)
	v_and_b32_e32 v4, 0xffff, v4
	v_perm_b32 v44, v5, v6, 0x3020504
                                        ; implicit-def: $vgpr5
                                        ; implicit-def: $vgpr6
	s_delay_alu instid0(VALU_DEP_2)
	v_or_b32_e32 v4, v4, v3
                                        ; implicit-def: $vgpr3
.LBB645_75:
	s_and_not1_saveexec_b32 s1, s0
	s_cbranch_execz .LBB645_79
; %bb.76:
	v_add_nc_u32_e32 v4, s17, v14
	v_add_nc_u32_e32 v8, s19, v14
	s_mov_b32 s2, 0
	s_mov_b32 s3, exec_lo
	s_delay_alu instid0(VALU_DEP_2) | instskip(NEXT) | instid1(VALU_DEP_2)
	v_mul_lo_u32 v4, v4, s16
	v_mul_lo_u32 v8, v8, s18
	s_delay_alu instid0(VALU_DEP_1) | instskip(NEXT) | instid1(VALU_DEP_1)
	v_sub_nc_u32_e32 v4, v4, v8
	v_cmp_lt_u32_e32 vcc_lo, s20, v4
	v_cmpx_ge_u32_e64 s20, v4
	s_cbranch_execz .LBB645_78
; %bb.77:
	v_add_nc_u32_e32 v4, s22, v14
	v_add_nc_u32_e32 v8, s42, v14
	s_delay_alu instid0(VALU_DEP_2) | instskip(NEXT) | instid1(VALU_DEP_2)
	v_mul_lo_u32 v4, v4, s21
	v_mul_lo_u32 v8, v8, s23
	s_delay_alu instid0(VALU_DEP_1) | instskip(NEXT) | instid1(VALU_DEP_1)
	v_sub_nc_u32_e32 v4, v4, v8
	v_cmp_lt_u32_e64 s0, s43, v4
	s_and_b32 s2, s0, exec_lo
.LBB645_78:
	s_wait_alu 0xfffe
	s_or_b32 exec_lo, exec_lo, s3
	v_lshrrev_b32_e32 v4, 8, v5
	s_wait_alu 0xfffd
	v_cndmask_b32_e64 v8, 0, 1, vcc_lo
	v_lshrrev_b32_e32 v21, 16, v5
	v_cndmask_b32_e64 v22, 0, 1, s2
	v_and_b32_e32 v5, 0xff, v5
	v_lshlrev_b16 v4, 8, v4
	v_lshlrev_b16 v8, 8, v8
	v_and_b32_e32 v21, 0xff, v21
	v_lshlrev_b16 v3, 8, v3
	v_and_b32_e32 v7, 0xff, v7
	v_lshlrev_b16 v6, 8, v6
	v_or_b32_e32 v4, v5, v4
	v_or_b32_e32 v5, v21, v8
	s_delay_alu instid0(VALU_DEP_4) | instskip(NEXT) | instid1(VALU_DEP_4)
	v_or_b32_e32 v3, v7, v3
	v_or_b32_e32 v6, v22, v6
	s_delay_alu instid0(VALU_DEP_4) | instskip(NEXT) | instid1(VALU_DEP_4)
	v_and_b32_e32 v4, 0xffff, v4
	v_lshlrev_b32_e32 v5, 16, v5
	s_delay_alu instid0(VALU_DEP_4) | instskip(NEXT) | instid1(VALU_DEP_4)
	v_lshlrev_b32_e32 v3, 16, v3
	v_and_b32_e32 v6, 0xffff, v6
	s_delay_alu instid0(VALU_DEP_3) | instskip(NEXT) | instid1(VALU_DEP_2)
	v_or_b32_e32 v44, v4, v5
	v_or_b32_e32 v4, v6, v3
.LBB645_79:
	s_or_b32 exec_lo, exec_lo, s1
	v_add_nc_u32_e32 v3, 8, v41
	s_delay_alu instid0(VALU_DEP_2)
	v_lshrrev_b32_e32 v5, 16, v4
	v_lshrrev_b32_e32 v6, 24, v4
	;; [unrolled: 1-line block ×4, first 2 shown]
	v_cmp_le_u32_e32 vcc_lo, s33, v3
	v_lshrrev_b32_e32 v7, 8, v2
                                        ; implicit-def: $vgpr2
                                        ; implicit-def: $vgpr3
	s_and_saveexec_b32 s0, vcc_lo
	s_delay_alu instid0(SALU_CYCLE_1)
	s_xor_b32 s0, exec_lo, s0
	s_cbranch_execz .LBB645_81
; %bb.80:
	v_lshlrev_b16 v2, 8, v8
	v_and_b32_e32 v3, 0xff, v21
	v_lshlrev_b16 v7, 8, v7
	v_lshlrev_b16 v6, 8, v6
	v_perm_b32 v1, v1, v1, 0x3060504
                                        ; implicit-def: $vgpr8
                                        ; implicit-def: $vgpr21
	s_delay_alu instid0(VALU_DEP_4) | instskip(SKIP_2) | instid1(VALU_DEP_3)
	v_or_b32_e32 v2, v3, v2
	v_and_b32_e32 v3, 0xff, v5
	v_and_b32_e32 v5, 0xffff, v7
                                        ; implicit-def: $vgpr7
	v_lshlrev_b32_e32 v2, 16, v2
	s_delay_alu instid0(VALU_DEP_3) | instskip(NEXT) | instid1(VALU_DEP_2)
	v_or_b32_e32 v6, v3, v6
	v_or_b32_e32 v3, v5, v2
	s_delay_alu instid0(VALU_DEP_2)
	v_perm_b32 v2, v6, v4, 0x5040c00
                                        ; implicit-def: $vgpr4
                                        ; implicit-def: $vgpr5
                                        ; implicit-def: $vgpr6
.LBB645_81:
	s_and_not1_saveexec_b32 s1, s0
	s_cbranch_execz .LBB645_85
; %bb.82:
	v_add_nc_u32_e32 v2, s17, v11
	v_add_nc_u32_e32 v3, s19, v11
	s_mov_b32 s2, 0
	s_mov_b32 s3, exec_lo
	s_delay_alu instid0(VALU_DEP_2) | instskip(NEXT) | instid1(VALU_DEP_2)
	v_mul_lo_u32 v2, v2, s16
	v_mul_lo_u32 v3, v3, s18
	s_delay_alu instid0(VALU_DEP_1) | instskip(NEXT) | instid1(VALU_DEP_1)
	v_sub_nc_u32_e32 v2, v2, v3
	v_cmp_lt_u32_e32 vcc_lo, s20, v2
	v_cmpx_ge_u32_e64 s20, v2
	s_cbranch_execz .LBB645_84
; %bb.83:
	v_add_nc_u32_e32 v2, s22, v11
	v_add_nc_u32_e32 v3, s42, v11
	s_delay_alu instid0(VALU_DEP_2) | instskip(NEXT) | instid1(VALU_DEP_2)
	v_mul_lo_u32 v2, v2, s21
	v_mul_lo_u32 v3, v3, s23
	s_delay_alu instid0(VALU_DEP_1) | instskip(NEXT) | instid1(VALU_DEP_1)
	v_sub_nc_u32_e32 v2, v2, v3
	v_cmp_lt_u32_e64 s0, s43, v2
	s_and_b32 s2, s0, exec_lo
.LBB645_84:
	s_wait_alu 0xfffe
	s_or_b32 exec_lo, exec_lo, s3
	v_cndmask_b32_e64 v2, 0, 1, s2
	s_wait_alu 0xfffd
	v_cndmask_b32_e64 v3, 0, 1, vcc_lo
	v_lshlrev_b16 v8, 8, v8
	v_and_b32_e32 v21, 0xff, v21
	v_lshlrev_b16 v7, 8, v7
	v_lshlrev_b16 v2, 8, v2
	v_and_b32_e32 v4, 0xff, v4
	v_lshlrev_b16 v6, 8, v6
	v_and_b32_e32 v5, 0xff, v5
	v_or_b32_e32 v8, v21, v8
	v_or_b32_e32 v3, v3, v7
	;; [unrolled: 1-line block ×3, first 2 shown]
	s_delay_alu instid0(VALU_DEP_4) | instskip(NEXT) | instid1(VALU_DEP_4)
	v_or_b32_e32 v4, v5, v6
	v_lshlrev_b32_e32 v5, 16, v8
	s_delay_alu instid0(VALU_DEP_4) | instskip(NEXT) | instid1(VALU_DEP_4)
	v_and_b32_e32 v3, 0xffff, v3
	v_and_b32_e32 v2, 0xffff, v2
	s_delay_alu instid0(VALU_DEP_4) | instskip(NEXT) | instid1(VALU_DEP_3)
	v_lshlrev_b32_e32 v4, 16, v4
	v_or_b32_e32 v3, v3, v5
	s_delay_alu instid0(VALU_DEP_2)
	v_or_b32_e32 v2, v2, v4
.LBB645_85:
	s_or_b32 exec_lo, exec_lo, s1
	v_add_nc_u32_e32 v4, 9, v41
	s_delay_alu instid0(VALU_DEP_2)
	v_lshrrev_b32_e32 v6, 8, v2
	v_lshrrev_b32_e32 v21, 24, v3
	;; [unrolled: 1-line block ×3, first 2 shown]
	v_and_b32_e32 v7, 0xff, v2
	v_cmp_le_u32_e32 vcc_lo, s33, v4
                                        ; implicit-def: $vgpr4
                                        ; implicit-def: $vgpr5
	s_and_saveexec_b32 s0, vcc_lo
	s_delay_alu instid0(SALU_CYCLE_1)
	s_xor_b32 s0, exec_lo, s0
	s_cbranch_execz .LBB645_87
; %bb.86:
	v_lshlrev_b16 v4, 8, v6
	v_lshlrev_b16 v5, 8, v21
	v_and_b32_e32 v6, 0xff, v8
	v_perm_b32 v1, v1, v1, 0x3060504
                                        ; implicit-def: $vgpr21
                                        ; implicit-def: $vgpr8
	s_delay_alu instid0(VALU_DEP_4) | instskip(NEXT) | instid1(VALU_DEP_3)
	v_or_b32_e32 v4, v7, v4
                                        ; implicit-def: $vgpr7
	v_or_b32_e32 v5, v6, v5
                                        ; implicit-def: $vgpr6
	s_delay_alu instid0(VALU_DEP_2) | instskip(NEXT) | instid1(VALU_DEP_2)
	v_and_b32_e32 v4, 0xffff, v4
	v_perm_b32 v5, v5, v3, 0x5040c00
                                        ; implicit-def: $vgpr3
	s_delay_alu instid0(VALU_DEP_2)
	v_and_or_b32 v4, 0xff000000, v2, v4
                                        ; implicit-def: $vgpr2
.LBB645_87:
	s_and_not1_saveexec_b32 s1, s0
	s_cbranch_execz .LBB645_91
; %bb.88:
	v_add_nc_u32_e32 v4, s17, v12
	v_add_nc_u32_e32 v5, s19, v12
	s_mov_b32 s2, 0
	s_mov_b32 s3, exec_lo
	s_delay_alu instid0(VALU_DEP_2) | instskip(NEXT) | instid1(VALU_DEP_2)
	v_mul_lo_u32 v4, v4, s16
	v_mul_lo_u32 v5, v5, s18
	s_delay_alu instid0(VALU_DEP_1) | instskip(NEXT) | instid1(VALU_DEP_1)
	v_sub_nc_u32_e32 v4, v4, v5
	v_cmp_lt_u32_e32 vcc_lo, s20, v4
	v_cmpx_ge_u32_e64 s20, v4
	s_cbranch_execz .LBB645_90
; %bb.89:
	v_add_nc_u32_e32 v4, s22, v12
	v_add_nc_u32_e32 v5, s42, v12
	s_delay_alu instid0(VALU_DEP_2) | instskip(NEXT) | instid1(VALU_DEP_2)
	v_mul_lo_u32 v4, v4, s21
	v_mul_lo_u32 v5, v5, s23
	s_delay_alu instid0(VALU_DEP_1) | instskip(NEXT) | instid1(VALU_DEP_1)
	v_sub_nc_u32_e32 v4, v4, v5
	v_cmp_lt_u32_e64 s0, s43, v4
	s_and_b32 s2, s0, exec_lo
.LBB645_90:
	s_wait_alu 0xfffe
	s_or_b32 exec_lo, exec_lo, s3
	s_wait_alu 0xfffd
	v_cndmask_b32_e64 v4, 0, 1, vcc_lo
	v_lshrrev_b32_e32 v2, 24, v2
	v_cndmask_b32_e64 v5, 0, 1, s2
	v_lshlrev_b16 v21, 8, v21
	v_and_b32_e32 v8, 0xff, v8
	v_lshlrev_b16 v4, 8, v4
	v_lshlrev_b16 v6, 8, v6
	v_and_b32_e32 v3, 0xff, v3
	v_lshlrev_b16 v2, 8, v2
	v_or_b32_e32 v8, v8, v21
	s_delay_alu instid0(VALU_DEP_4) | instskip(NEXT) | instid1(VALU_DEP_4)
	v_or_b32_e32 v6, v7, v6
	v_or_b32_e32 v3, v3, v4
	s_delay_alu instid0(VALU_DEP_4) | instskip(NEXT) | instid1(VALU_DEP_4)
	v_or_b32_e32 v2, v5, v2
	v_lshlrev_b32_e32 v4, 16, v8
	s_delay_alu instid0(VALU_DEP_4) | instskip(NEXT) | instid1(VALU_DEP_4)
	v_and_b32_e32 v6, 0xffff, v6
	v_and_b32_e32 v3, 0xffff, v3
	s_delay_alu instid0(VALU_DEP_4) | instskip(NEXT) | instid1(VALU_DEP_2)
	v_lshlrev_b32_e32 v2, 16, v2
	v_or_b32_e32 v5, v3, v4
	s_delay_alu instid0(VALU_DEP_2)
	v_or_b32_e32 v4, v6, v2
.LBB645_91:
	s_or_b32 exec_lo, exec_lo, s1
	v_add_nc_u32_e32 v2, 10, v41
	s_delay_alu instid0(VALU_DEP_3) | instskip(SKIP_1) | instid1(VALU_DEP_3)
	v_and_b32_e32 v3, 0xff, v5
	v_lshrrev_b32_e32 v6, 8, v5
                                        ; implicit-def: $vgpr46
	v_cmp_le_u32_e32 vcc_lo, s33, v2
                                        ; implicit-def: $vgpr2
	s_and_saveexec_b32 s0, vcc_lo
	s_delay_alu instid0(SALU_CYCLE_1)
	s_xor_b32 s0, exec_lo, s0
	s_cbranch_execz .LBB645_93
; %bb.92:
	v_lshlrev_b16 v2, 8, v6
	v_perm_b32 v1, v1, v1, 0x3060504
                                        ; implicit-def: $vgpr6
	s_delay_alu instid0(VALU_DEP_2) | instskip(SKIP_1) | instid1(VALU_DEP_2)
	v_or_b32_e32 v2, v3, v2
	v_and_b32_e32 v3, 0xff0000, v4
	v_and_b32_e32 v2, 0xffff, v2
	s_delay_alu instid0(VALU_DEP_2) | instskip(NEXT) | instid1(VALU_DEP_2)
	v_perm_b32 v46, v4, v3, 0x3020504
                                        ; implicit-def: $vgpr3
                                        ; implicit-def: $vgpr4
	v_and_or_b32 v2, 0xff000000, v5, v2
                                        ; implicit-def: $vgpr5
.LBB645_93:
	s_and_not1_saveexec_b32 s1, s0
	s_cbranch_execz .LBB645_97
; %bb.94:
	v_add_nc_u32_e32 v2, s17, v9
	v_add_nc_u32_e32 v7, s19, v9
	s_mov_b32 s2, 0
	s_mov_b32 s3, exec_lo
	s_delay_alu instid0(VALU_DEP_2) | instskip(NEXT) | instid1(VALU_DEP_2)
	v_mul_lo_u32 v2, v2, s16
	v_mul_lo_u32 v7, v7, s18
	s_delay_alu instid0(VALU_DEP_1) | instskip(NEXT) | instid1(VALU_DEP_1)
	v_sub_nc_u32_e32 v2, v2, v7
	v_cmp_lt_u32_e32 vcc_lo, s20, v2
	v_cmpx_ge_u32_e64 s20, v2
	s_cbranch_execz .LBB645_96
; %bb.95:
	v_add_nc_u32_e32 v2, s22, v9
	v_add_nc_u32_e32 v7, s42, v9
	s_delay_alu instid0(VALU_DEP_2) | instskip(NEXT) | instid1(VALU_DEP_2)
	v_mul_lo_u32 v2, v2, s21
	v_mul_lo_u32 v7, v7, s23
	s_delay_alu instid0(VALU_DEP_1) | instskip(NEXT) | instid1(VALU_DEP_1)
	v_sub_nc_u32_e32 v2, v2, v7
	v_cmp_lt_u32_e64 s0, s43, v2
	s_and_b32 s2, s0, exec_lo
.LBB645_96:
	s_wait_alu 0xfffe
	s_or_b32 exec_lo, exec_lo, s3
	v_lshrrev_b32_e32 v5, 24, v5
	v_cndmask_b32_e64 v7, 0, 1, s2
	v_lshrrev_b32_e32 v8, 8, v4
	v_lshrrev_b32_e32 v21, 16, v4
	s_wait_alu 0xfffd
	v_cndmask_b32_e64 v2, 0, 1, vcc_lo
	v_lshlrev_b16 v6, 8, v6
	v_lshlrev_b16 v5, 8, v5
	v_and_b32_e32 v4, 0xff, v4
	v_lshlrev_b16 v8, 8, v8
	v_lshlrev_b16 v7, 8, v7
	v_and_b32_e32 v21, 0xff, v21
	v_or_b32_e32 v3, v3, v6
	v_or_b32_e32 v2, v2, v5
	;; [unrolled: 1-line block ×3, first 2 shown]
	s_delay_alu instid0(VALU_DEP_4) | instskip(NEXT) | instid1(VALU_DEP_4)
	v_or_b32_e32 v5, v21, v7
	v_and_b32_e32 v3, 0xffff, v3
	s_delay_alu instid0(VALU_DEP_4) | instskip(NEXT) | instid1(VALU_DEP_4)
	v_lshlrev_b32_e32 v2, 16, v2
	v_and_b32_e32 v4, 0xffff, v4
	s_delay_alu instid0(VALU_DEP_4) | instskip(NEXT) | instid1(VALU_DEP_3)
	v_lshlrev_b32_e32 v5, 16, v5
	v_or_b32_e32 v2, v3, v2
	s_delay_alu instid0(VALU_DEP_2)
	v_or_b32_e32 v46, v4, v5
.LBB645_97:
	s_or_b32 exec_lo, exec_lo, s1
	v_add_nc_u32_e32 v3, 11, v41
	v_mov_b32_e32 v45, 0
	s_mov_b32 s0, exec_lo
                                        ; implicit-def: $vgpr47
	s_delay_alu instid0(VALU_DEP_2)
	v_cmpx_le_u32_e64 s33, v3
	s_xor_b32 s0, exec_lo, s0
; %bb.98:
	v_and_b32_e32 v3, 0xff0000, v2
	v_perm_b32 v1, v1, v1, 0x3060504
	s_delay_alu instid0(VALU_DEP_2)
	v_perm_b32 v47, v2, v3, 0x3020504
                                        ; implicit-def: $vgpr2
; %bb.99:
	s_and_not1_saveexec_b32 s1, s0
	s_cbranch_execz .LBB645_103
; %bb.100:
	v_add_nc_u32_e32 v3, s17, v10
	v_add_nc_u32_e32 v4, s19, v10
	s_mov_b32 s2, 0
	s_mov_b32 s3, exec_lo
	s_delay_alu instid0(VALU_DEP_2) | instskip(NEXT) | instid1(VALU_DEP_2)
	v_mul_lo_u32 v3, v3, s16
	v_mul_lo_u32 v4, v4, s18
	s_delay_alu instid0(VALU_DEP_1) | instskip(NEXT) | instid1(VALU_DEP_1)
	v_sub_nc_u32_e32 v3, v3, v4
	v_cmp_lt_u32_e32 vcc_lo, s20, v3
	v_cmpx_ge_u32_e64 s20, v3
	s_cbranch_execz .LBB645_102
; %bb.101:
	v_add_nc_u32_e32 v3, s22, v10
	v_add_nc_u32_e32 v4, s42, v10
	s_delay_alu instid0(VALU_DEP_2) | instskip(NEXT) | instid1(VALU_DEP_2)
	v_mul_lo_u32 v3, v3, s21
	v_mul_lo_u32 v4, v4, s23
	s_delay_alu instid0(VALU_DEP_1) | instskip(NEXT) | instid1(VALU_DEP_1)
	v_sub_nc_u32_e32 v3, v3, v4
	v_cmp_lt_u32_e64 s0, s43, v3
	s_and_b32 s2, s0, exec_lo
.LBB645_102:
	s_wait_alu 0xfffe
	s_or_b32 exec_lo, exec_lo, s3
	v_lshrrev_b32_e32 v3, 8, v2
	s_wait_alu 0xfffd
	v_cndmask_b32_e64 v4, 0, 1, vcc_lo
	v_lshrrev_b32_e32 v5, 16, v2
	v_and_b32_e32 v2, 0xff, v2
	v_cndmask_b32_e64 v45, 0, 1, s2
	v_lshlrev_b16 v3, 8, v3
	v_lshlrev_b16 v4, 8, v4
	v_and_b32_e32 v5, 0xff, v5
	s_delay_alu instid0(VALU_DEP_3) | instskip(NEXT) | instid1(VALU_DEP_2)
	v_or_b32_e32 v2, v2, v3
	v_or_b32_e32 v3, v5, v4
	s_delay_alu instid0(VALU_DEP_2) | instskip(NEXT) | instid1(VALU_DEP_2)
	v_and_b32_e32 v2, 0xffff, v2
	v_lshlrev_b32_e32 v3, 16, v3
	s_delay_alu instid0(VALU_DEP_1)
	v_or_b32_e32 v47, v2, v3
.LBB645_103:
	s_or_b32 exec_lo, exec_lo, s1
	v_add_nc_u32_e32 v4, 12, v41
	v_lshrrev_b32_e32 v2, 8, v1
	v_lshrrev_b32_e32 v3, 16, v1
	;; [unrolled: 1-line block ×3, first 2 shown]
	s_mov_b32 s0, exec_lo
                                        ; implicit-def: $vgpr49
	v_cmpx_le_u32_e64 s33, v4
	s_xor_b32 s0, exec_lo, s0
	s_cbranch_execz .LBB645_105
; %bb.104:
	v_lshlrev_b16 v1, 8, v1
	v_and_b32_e32 v3, 0xff, v3
	v_lshlrev_b16 v2, 8, v2
	s_delay_alu instid0(VALU_DEP_2) | instskip(NEXT) | instid1(VALU_DEP_2)
	v_or_b32_e32 v1, v3, v1
	v_and_b32_e32 v2, 0xffff, v2
                                        ; implicit-def: $vgpr3
	s_delay_alu instid0(VALU_DEP_2) | instskip(NEXT) | instid1(VALU_DEP_1)
	v_lshlrev_b32_e32 v1, 16, v1
	v_or_b32_e32 v49, v2, v1
                                        ; implicit-def: $vgpr1
                                        ; implicit-def: $vgpr2
.LBB645_105:
	s_or_saveexec_b32 s1, s0
	v_mov_b32_e32 v48, 0
	s_xor_b32 exec_lo, exec_lo, s1
	s_cbranch_execz .LBB645_109
; %bb.106:
	v_add_nc_u32_e32 v4, s17, v40
	v_add_nc_u32_e32 v5, s19, v40
	s_mov_b32 s2, 0
	s_mov_b32 s3, exec_lo
	s_delay_alu instid0(VALU_DEP_2) | instskip(NEXT) | instid1(VALU_DEP_2)
	v_mul_lo_u32 v4, v4, s16
	v_mul_lo_u32 v5, v5, s18
	s_delay_alu instid0(VALU_DEP_1) | instskip(NEXT) | instid1(VALU_DEP_1)
	v_sub_nc_u32_e32 v4, v4, v5
	v_cmp_lt_u32_e32 vcc_lo, s20, v4
	v_cmpx_ge_u32_e64 s20, v4
	s_cbranch_execz .LBB645_108
; %bb.107:
	v_add_nc_u32_e32 v4, s22, v40
	v_add_nc_u32_e32 v5, s42, v40
	s_delay_alu instid0(VALU_DEP_2) | instskip(NEXT) | instid1(VALU_DEP_2)
	v_mul_lo_u32 v4, v4, s21
	v_mul_lo_u32 v5, v5, s23
	s_delay_alu instid0(VALU_DEP_1) | instskip(NEXT) | instid1(VALU_DEP_1)
	v_sub_nc_u32_e32 v4, v4, v5
	v_cmp_lt_u32_e64 s0, s43, v4
	s_and_b32 s2, s0, exec_lo
.LBB645_108:
	s_wait_alu 0xfffe
	s_or_b32 exec_lo, exec_lo, s3
	s_wait_alu 0xfffd
	v_cndmask_b32_e64 v4, 0, 1, vcc_lo
	v_lshlrev_b16 v1, 8, v1
	v_and_b32_e32 v3, 0xff, v3
	v_lshlrev_b16 v2, 8, v2
	v_cndmask_b32_e64 v48, 0, 1, s2
	s_delay_alu instid0(VALU_DEP_3) | instskip(NEXT) | instid1(VALU_DEP_3)
	v_or_b32_e32 v1, v3, v1
	v_or_b32_e32 v2, v4, v2
	s_delay_alu instid0(VALU_DEP_2) | instskip(NEXT) | instid1(VALU_DEP_2)
	v_lshlrev_b32_e32 v1, 16, v1
	v_and_b32_e32 v2, 0xffff, v2
	s_delay_alu instid0(VALU_DEP_1)
	v_or_b32_e32 v49, v2, v1
.LBB645_109:
	s_or_b32 exec_lo, exec_lo, s1
.LBB645_110:
	v_and_b32_e32 v72, 0xff, v42
	s_delay_alu instid0(VALU_DEP_2)
	v_bfe_u32 v73, v49, 8, 8
	v_bfe_u32 v70, v42, 8, 8
	;; [unrolled: 1-line block ×4, first 2 shown]
	v_lshrrev_b32_e32 v55, 24, v49
	v_lshrrev_b32_e32 v54, 24, v42
	v_and_b32_e32 v68, 0xff, v43
	v_and_b32_e32 v66, 0xff, v44
	v_bfe_u32 v67, v43, 8, 8
	v_add3_u32 v1, v70, v72, v69
	v_add3_u32 v2, v71, v73, v55
	v_bfe_u32 v64, v44, 8, 8
	v_bfe_u32 v65, v43, 16, 8
	v_bfe_u32 v59, v44, 16, 8
	v_lshrrev_b32_e32 v53, 24, v43
	v_add3_u32 v1, v1, v54, v66
	v_add3_u32 v2, v2, v68, v67
	v_lshrrev_b32_e32 v52, 24, v44
	v_and_b32_e32 v63, 0xff, v46
	v_and_b32_e32 v61, 0xff, v47
	v_bfe_u32 v62, v46, 8, 8
	v_add3_u32 v1, v1, v64, v59
	v_add3_u32 v2, v2, v65, v53
	v_bfe_u32 v58, v47, 8, 8
	v_bfe_u32 v60, v46, 16, 8
	;; [unrolled: 1-line block ×3, first 2 shown]
	v_lshrrev_b32_e32 v51, 24, v46
	v_add3_u32 v1, v1, v52, v61
	v_add3_u32 v2, v2, v63, v62
	v_mbcnt_lo_u32_b32 v74, -1, 0
	v_lshrrev_b32_e32 v50, 24, v47
	v_and_b32_e32 v57, 0xff, v45
	v_and_b32_e32 v3, 0xff, v49
	;; [unrolled: 1-line block ×3, first 2 shown]
	v_add3_u32 v1, v1, v58, v56
	v_add3_u32 v2, v2, v60, v51
	v_and_b32_e32 v76, 15, v74
	v_and_b32_e32 v78, 16, v74
	v_lshrrev_b32_e32 v75, 5, v0
	v_add3_u32 v79, v1, v50, v3
	v_add3_u32 v80, v2, v57, v4
	v_cmp_eq_u32_e64 s1, 0, v76
	v_cmp_lt_u32_e64 s0, 1, v76
	v_cmp_lt_u32_e64 s2, 3, v76
	v_or_b32_e32 v77, 31, v0
	s_cmp_lg_u32 ttmp9, 0
	s_mov_b32 s3, -1
	v_cmp_lt_u32_e32 vcc_lo, 7, v76
	s_cbranch_scc0 .LBB645_131
; %bb.111:
	v_mov_b32_dpp v2, v79 row_shr:1 row_mask:0xf bank_mask:0xf
	v_mov_b32_dpp v1, v80 row_shr:1 row_mask:0xf bank_mask:0xf
	s_mov_b32 s3, exec_lo
	s_delay_alu instid0(VALU_DEP_2) | instskip(NEXT) | instid1(VALU_DEP_2)
	v_add_nc_u32_e32 v2, v2, v79
	v_add_nc_u32_e32 v1, v1, v80
	s_delay_alu instid0(VALU_DEP_2) | instskip(NEXT) | instid1(VALU_DEP_2)
	v_cndmask_b32_e64 v2, v2, v79, s1
	v_cndmask_b32_e64 v1, v1, v80, s1
	s_delay_alu instid0(VALU_DEP_2) | instskip(NEXT) | instid1(VALU_DEP_2)
	v_mov_b32_dpp v4, v2 row_shr:2 row_mask:0xf bank_mask:0xf
	v_mov_b32_dpp v3, v1 row_shr:2 row_mask:0xf bank_mask:0xf
	s_delay_alu instid0(VALU_DEP_2) | instskip(NEXT) | instid1(VALU_DEP_1)
	v_add_nc_u32_e32 v4, v2, v4
	v_cndmask_b32_e64 v2, v2, v4, s0
	s_delay_alu instid0(VALU_DEP_1) | instskip(NEXT) | instid1(VALU_DEP_1)
	v_mov_b32_dpp v4, v2 row_shr:4 row_mask:0xf bank_mask:0xf
	v_add_nc_u32_e32 v4, v2, v4
	s_wait_alu 0xf1ff
	s_delay_alu instid0(VALU_DEP_1) | instskip(NEXT) | instid1(VALU_DEP_1)
	v_cndmask_b32_e64 v2, v2, v4, s2
	v_mov_b32_dpp v4, v2 row_shr:8 row_mask:0xf bank_mask:0xf
	s_delay_alu instid0(VALU_DEP_1) | instskip(SKIP_1) | instid1(VALU_DEP_1)
	v_add_nc_u32_e32 v4, v2, v4
	s_wait_alu 0xfffd
	v_dual_cndmask_b32 v2, v2, v4 :: v_dual_add_nc_u32 v3, v1, v3
	s_delay_alu instid0(VALU_DEP_1) | instskip(SKIP_2) | instid1(VALU_DEP_1)
	v_cndmask_b32_e64 v1, v1, v3, s0
	ds_swizzle_b32 v4, v2 offset:swizzle(BROADCAST,32,15)
	v_mov_b32_dpp v3, v1 row_shr:4 row_mask:0xf bank_mask:0xf
	v_add_nc_u32_e32 v3, v1, v3
	s_delay_alu instid0(VALU_DEP_1) | instskip(NEXT) | instid1(VALU_DEP_1)
	v_cndmask_b32_e64 v1, v1, v3, s2
	v_mov_b32_dpp v3, v1 row_shr:8 row_mask:0xf bank_mask:0xf
	s_wait_dscnt 0x0
	v_add_nc_u32_e32 v4, v2, v4
	s_delay_alu instid0(VALU_DEP_2) | instskip(NEXT) | instid1(VALU_DEP_1)
	v_add_nc_u32_e32 v3, v1, v3
	v_cndmask_b32_e32 v1, v1, v3, vcc_lo
	v_cmp_eq_u32_e32 vcc_lo, 0, v78
	ds_swizzle_b32 v3, v1 offset:swizzle(BROADCAST,32,15)
	s_wait_dscnt 0x0
	v_add_nc_u32_e32 v3, v1, v3
	v_cmpx_eq_u32_e64 v0, v77
; %bb.112:
	s_wait_alu 0xfffd
	s_delay_alu instid0(VALU_DEP_2)
	v_dual_cndmask_b32 v6, v3, v1 :: v_dual_lshlrev_b32 v7, 3, v75
	v_cndmask_b32_e32 v5, v4, v2, vcc_lo
	ds_store_b64 v7, v[5:6]
; %bb.113:
	s_wait_alu 0xfffe
	s_or_b32 exec_lo, exec_lo, s3
	s_delay_alu instid0(SALU_CYCLE_1)
	s_mov_b32 s3, exec_lo
	s_wait_loadcnt_dscnt 0x0
	s_barrier_signal -1
	s_barrier_wait -1
	global_inv scope:SCOPE_SE
	v_cmpx_gt_u32_e32 8, v0
	s_cbranch_execz .LBB645_115
; %bb.114:
	v_lshlrev_b32_e32 v7, 3, v0
	v_and_b32_e32 v22, 7, v74
	ds_load_b64 v[5:6], v7
	v_cmp_eq_u32_e64 s2, 0, v22
	s_wait_dscnt 0x0
	v_mov_b32_dpp v8, v5 row_shr:1 row_mask:0xf bank_mask:0xf
	v_mov_b32_dpp v21, v6 row_shr:1 row_mask:0xf bank_mask:0xf
	s_delay_alu instid0(VALU_DEP_2) | instskip(NEXT) | instid1(VALU_DEP_2)
	v_add_nc_u32_e32 v8, v8, v5
	v_add_nc_u32_e32 v21, v21, v6
	s_wait_alu 0xf1ff
	s_delay_alu instid0(VALU_DEP_2) | instskip(NEXT) | instid1(VALU_DEP_2)
	v_cndmask_b32_e64 v5, v8, v5, s2
	v_cndmask_b32_e64 v6, v21, v6, s2
	v_cmp_lt_u32_e64 s2, 1, v22
	s_delay_alu instid0(VALU_DEP_3) | instskip(NEXT) | instid1(VALU_DEP_3)
	v_mov_b32_dpp v8, v5 row_shr:2 row_mask:0xf bank_mask:0xf
	v_mov_b32_dpp v21, v6 row_shr:2 row_mask:0xf bank_mask:0xf
	s_delay_alu instid0(VALU_DEP_2) | instskip(NEXT) | instid1(VALU_DEP_2)
	v_add_nc_u32_e32 v8, v5, v8
	v_add_nc_u32_e32 v21, v6, v21
	s_wait_alu 0xf1ff
	s_delay_alu instid0(VALU_DEP_2) | instskip(NEXT) | instid1(VALU_DEP_2)
	v_cndmask_b32_e64 v5, v5, v8, s2
	v_cndmask_b32_e64 v6, v6, v21, s2
	v_cmp_lt_u32_e64 s2, 3, v22
	s_delay_alu instid0(VALU_DEP_3) | instskip(NEXT) | instid1(VALU_DEP_3)
	v_mov_b32_dpp v8, v5 row_shr:4 row_mask:0xf bank_mask:0xf
	v_mov_b32_dpp v21, v6 row_shr:4 row_mask:0xf bank_mask:0xf
	s_wait_alu 0xf1ff
	s_delay_alu instid0(VALU_DEP_2) | instskip(NEXT) | instid1(VALU_DEP_2)
	v_cndmask_b32_e64 v8, 0, v8, s2
	v_cndmask_b32_e64 v21, 0, v21, s2
	s_delay_alu instid0(VALU_DEP_2) | instskip(NEXT) | instid1(VALU_DEP_2)
	v_add_nc_u32_e32 v5, v8, v5
	v_add_nc_u32_e32 v6, v21, v6
	ds_store_b64 v7, v[5:6]
.LBB645_115:
	s_wait_alu 0xfffe
	s_or_b32 exec_lo, exec_lo, s3
	v_dual_cndmask_b32 v1, v3, v1 :: v_dual_cndmask_b32 v2, v4, v2
	s_mov_b32 s3, exec_lo
	v_cmp_gt_u32_e32 vcc_lo, 32, v0
	s_wait_loadcnt_dscnt 0x0
	s_barrier_signal -1
	s_barrier_wait -1
	global_inv scope:SCOPE_SE
                                        ; implicit-def: $vgpr21
	v_cmpx_lt_u32_e32 31, v0
	s_cbranch_execz .LBB645_117
; %bb.116:
	v_lshl_add_u32 v3, v75, 3, -8
	ds_load_b64 v[21:22], v3
	s_wait_dscnt 0x0
	v_add_nc_u32_e32 v1, v22, v1
	v_add_nc_u32_e32 v2, v21, v2
.LBB645_117:
	s_wait_alu 0xfffe
	s_or_b32 exec_lo, exec_lo, s3
	v_sub_co_u32 v3, s2, v74, 1
	s_delay_alu instid0(VALU_DEP_1) | instskip(SKIP_1) | instid1(VALU_DEP_1)
	v_cmp_gt_i32_e64 s3, 0, v3
	s_wait_alu 0xf1ff
	v_cndmask_b32_e64 v3, v3, v74, s3
	s_delay_alu instid0(VALU_DEP_1)
	v_lshlrev_b32_e32 v3, 2, v3
	ds_bpermute_b32 v81, v3, v2
	ds_bpermute_b32 v82, v3, v1
	s_and_saveexec_b32 s3, vcc_lo
	s_cbranch_execz .LBB645_136
; %bb.118:
	v_mov_b32_e32 v4, 0
	ds_load_b64 v[1:2], v4 offset:56
	s_and_saveexec_b32 s6, s2
	s_cbranch_execz .LBB645_120
; %bb.119:
	s_add_co_i32 s8, ttmp9, 32
	s_mov_b32 s9, 0
	s_wait_alu 0xfffe
	s_lshl_b64 s[8:9], s[8:9], 4
	s_wait_kmcnt 0x0
	s_wait_alu 0xfffe
	s_add_nc_u64 s[8:9], s[4:5], s[8:9]
	v_mov_b32_e32 v3, 1
	s_wait_alu 0xfffe
	v_dual_mov_b32 v5, s8 :: v_dual_mov_b32 v6, s9
	s_wait_dscnt 0x0
	;;#ASMSTART
	global_store_b128 v[5:6], v[1:4] off scope:SCOPE_DEV	
s_wait_storecnt 0x0
	;;#ASMEND
.LBB645_120:
	s_wait_alu 0xfffe
	s_or_b32 exec_lo, exec_lo, s6
	v_xad_u32 v23, v74, -1, ttmp9
	s_mov_b32 s7, 0
	s_mov_b32 s6, exec_lo
	s_delay_alu instid0(VALU_DEP_1) | instskip(NEXT) | instid1(VALU_DEP_1)
	v_add_nc_u32_e32 v3, 32, v23
	v_lshlrev_b64_e32 v[3:4], 4, v[3:4]
	s_wait_kmcnt 0x0
	s_delay_alu instid0(VALU_DEP_1) | instskip(SKIP_1) | instid1(VALU_DEP_2)
	v_add_co_u32 v3, vcc_lo, s4, v3
	s_wait_alu 0xfffd
	v_add_co_ci_u32_e64 v4, null, s5, v4, vcc_lo
	;;#ASMSTART
	global_load_b128 v[5:8], v[3:4] off scope:SCOPE_DEV	
s_wait_loadcnt 0x0
	;;#ASMEND
	v_and_b32_e32 v8, 0xff, v7
	s_delay_alu instid0(VALU_DEP_1)
	v_cmpx_eq_u16_e32 0, v8
	s_cbranch_execz .LBB645_123
.LBB645_121:                            ; =>This Inner Loop Header: Depth=1
	;;#ASMSTART
	global_load_b128 v[5:8], v[3:4] off scope:SCOPE_DEV	
s_wait_loadcnt 0x0
	;;#ASMEND
	v_and_b32_e32 v8, 0xff, v7
	s_delay_alu instid0(VALU_DEP_1)
	v_cmp_ne_u16_e32 vcc_lo, 0, v8
	s_wait_alu 0xfffe
	s_or_b32 s7, vcc_lo, s7
	s_wait_alu 0xfffe
	s_and_not1_b32 exec_lo, exec_lo, s7
	s_cbranch_execnz .LBB645_121
; %bb.122:
	s_or_b32 exec_lo, exec_lo, s7
.LBB645_123:
	s_wait_alu 0xfffe
	s_or_b32 exec_lo, exec_lo, s6
	v_cmp_ne_u32_e32 vcc_lo, 31, v74
	v_lshlrev_b32_e64 v84, v74, -1
	v_add_nc_u32_e32 v86, 2, v74
	v_add_nc_u32_e32 v88, 4, v74
	v_add_nc_u32_e32 v90, 8, v74
	s_wait_alu 0xfffd
	v_add_co_ci_u32_e64 v3, null, 0, v74, vcc_lo
	v_lshl_or_b32 v91, v74, 2, 64
	v_add_nc_u32_e32 v92, 16, v74
	s_delay_alu instid0(VALU_DEP_3)
	v_lshlrev_b32_e32 v83, 2, v3
	v_and_b32_e32 v3, 0xff, v7
	ds_bpermute_b32 v4, v83, v6
	v_cmp_eq_u16_e32 vcc_lo, 2, v3
	s_wait_alu 0xfffd
	v_and_b32_e32 v8, vcc_lo, v84
	v_cmp_gt_u32_e32 vcc_lo, 30, v74
	s_delay_alu instid0(VALU_DEP_2) | instskip(SKIP_2) | instid1(VALU_DEP_2)
	v_or_b32_e32 v8, 0x80000000, v8
	s_wait_alu 0xfffd
	v_cndmask_b32_e64 v24, 0, 2, vcc_lo
	v_ctz_i32_b32_e32 v8, v8
	s_delay_alu instid0(VALU_DEP_2) | instskip(SKIP_2) | instid1(VALU_DEP_3)
	v_add_lshl_u32 v85, v24, v74, 2
	s_wait_dscnt 0x0
	v_add_nc_u32_e32 v4, v4, v6
	v_cmp_lt_u32_e32 vcc_lo, v74, v8
	s_wait_alu 0xfffd
	s_delay_alu instid0(VALU_DEP_2) | instskip(SKIP_3) | instid1(VALU_DEP_1)
	v_cndmask_b32_e32 v4, v6, v4, vcc_lo
	ds_bpermute_b32 v3, v83, v5
	s_wait_dscnt 0x0
	v_add_nc_u32_e32 v3, v3, v5
	v_cndmask_b32_e32 v3, v5, v3, vcc_lo
	ds_bpermute_b32 v5, v85, v4
	v_cmp_gt_u32_e32 vcc_lo, 28, v74
	ds_bpermute_b32 v6, v85, v3
	s_wait_alu 0xfffd
	v_cndmask_b32_e64 v24, 0, 4, vcc_lo
	v_cmp_gt_u32_e32 vcc_lo, v86, v8
	s_delay_alu instid0(VALU_DEP_2)
	v_add_lshl_u32 v87, v24, v74, 2
	s_wait_dscnt 0x1
	v_add_nc_u32_e32 v5, v4, v5
	s_wait_dscnt 0x0
	v_add_nc_u32_e32 v6, v3, v6
	s_wait_alu 0xfffd
	s_delay_alu instid0(VALU_DEP_1)
	v_dual_cndmask_b32 v4, v5, v4 :: v_dual_cndmask_b32 v3, v6, v3
	ds_bpermute_b32 v5, v87, v4
	v_cmp_gt_u32_e32 vcc_lo, 24, v74
	ds_bpermute_b32 v6, v87, v3
	s_wait_alu 0xfffd
	v_cndmask_b32_e64 v24, 0, 8, vcc_lo
	v_cmp_gt_u32_e32 vcc_lo, v88, v8
	s_delay_alu instid0(VALU_DEP_2)
	v_add_lshl_u32 v89, v24, v74, 2
	s_wait_dscnt 0x1
	v_dual_mov_b32 v24, 0 :: v_dual_add_nc_u32 v5, v4, v5
	s_wait_dscnt 0x0
	v_add_nc_u32_e32 v6, v3, v6
	s_wait_alu 0xfffd
	s_delay_alu instid0(VALU_DEP_1)
	v_dual_cndmask_b32 v4, v5, v4 :: v_dual_cndmask_b32 v3, v6, v3
	ds_bpermute_b32 v5, v89, v4
	v_cmp_gt_u32_e32 vcc_lo, v90, v8
	ds_bpermute_b32 v6, v89, v3
	s_wait_dscnt 0x1
	v_add_nc_u32_e32 v5, v4, v5
	s_wait_dscnt 0x0
	v_add_nc_u32_e32 v6, v3, v6
	s_wait_alu 0xfffd
	s_delay_alu instid0(VALU_DEP_1)
	v_dual_cndmask_b32 v4, v5, v4 :: v_dual_cndmask_b32 v3, v6, v3
	ds_bpermute_b32 v6, v91, v4
	v_cmp_le_u32_e32 vcc_lo, v92, v8
	ds_bpermute_b32 v5, v91, v3
	s_wait_dscnt 0x0
	s_wait_alu 0xfffd
	v_dual_cndmask_b32 v6, 0, v6 :: v_dual_cndmask_b32 v5, 0, v5
	s_delay_alu instid0(VALU_DEP_1) | instskip(NEXT) | instid1(VALU_DEP_2)
	v_add_nc_u32_e32 v6, v6, v4
	v_add_nc_u32_e32 v5, v5, v3
	s_branch .LBB645_127
.LBB645_124:                            ;   in Loop: Header=BB645_127 Depth=1
	s_or_b32 exec_lo, exec_lo, s7
.LBB645_125:                            ;   in Loop: Header=BB645_127 Depth=1
	s_wait_alu 0xfffe
	s_or_b32 exec_lo, exec_lo, s6
	ds_bpermute_b32 v8, v83, v5
	ds_bpermute_b32 v25, v83, v6
	v_subrev_nc_u32_e32 v23, 32, v23
	s_mov_b32 s6, 0
	s_wait_dscnt 0x1
	v_add_nc_u32_e32 v8, v8, v5
	v_and_b32_e32 v26, 0xff, v7
	s_wait_dscnt 0x0
	v_add_nc_u32_e32 v25, v25, v6
	s_delay_alu instid0(VALU_DEP_2) | instskip(SKIP_2) | instid1(VALU_DEP_1)
	v_cmp_eq_u16_e32 vcc_lo, 2, v26
	s_wait_alu 0xfffd
	v_and_or_b32 v26, vcc_lo, v84, 0x80000000
	v_ctz_i32_b32_e32 v26, v26
	s_delay_alu instid0(VALU_DEP_1)
	v_cmp_lt_u32_e32 vcc_lo, v74, v26
	s_wait_alu 0xfffd
	v_dual_cndmask_b32 v6, v6, v25 :: v_dual_cndmask_b32 v5, v5, v8
	v_cmp_gt_u32_e32 vcc_lo, v86, v26
	ds_bpermute_b32 v25, v85, v6
	ds_bpermute_b32 v8, v85, v5
	s_wait_dscnt 0x1
	v_add_nc_u32_e32 v25, v6, v25
	s_wait_dscnt 0x0
	v_add_nc_u32_e32 v8, v5, v8
	s_wait_alu 0xfffd
	s_delay_alu instid0(VALU_DEP_1)
	v_dual_cndmask_b32 v6, v25, v6 :: v_dual_cndmask_b32 v5, v8, v5
	v_cmp_gt_u32_e32 vcc_lo, v88, v26
	ds_bpermute_b32 v25, v87, v6
	ds_bpermute_b32 v8, v87, v5
	s_wait_dscnt 0x1
	v_add_nc_u32_e32 v25, v6, v25
	s_wait_dscnt 0x0
	v_add_nc_u32_e32 v8, v5, v8
	s_wait_alu 0xfffd
	s_delay_alu instid0(VALU_DEP_1)
	;; [unrolled: 10-line block ×3, first 2 shown]
	v_dual_cndmask_b32 v6, v25, v6 :: v_dual_cndmask_b32 v5, v8, v5
	v_cmp_le_u32_e32 vcc_lo, v92, v26
	ds_bpermute_b32 v25, v91, v6
	ds_bpermute_b32 v8, v91, v5
	s_wait_dscnt 0x0
	s_wait_alu 0xfffd
	v_dual_cndmask_b32 v25, 0, v25 :: v_dual_cndmask_b32 v8, 0, v8
	s_delay_alu instid0(VALU_DEP_1) | instskip(NEXT) | instid1(VALU_DEP_2)
	v_add3_u32 v6, v6, v4, v25
	v_add3_u32 v5, v5, v3, v8
.LBB645_126:                            ;   in Loop: Header=BB645_127 Depth=1
	s_wait_alu 0xfffe
	s_and_b32 vcc_lo, exec_lo, s6
	s_wait_alu 0xfffe
	s_cbranch_vccnz .LBB645_132
.LBB645_127:                            ; =>This Loop Header: Depth=1
                                        ;     Child Loop BB645_130 Depth 2
	v_and_b32_e32 v3, 0xff, v7
	s_mov_b32 s6, -1
                                        ; implicit-def: $vgpr7
	s_delay_alu instid0(VALU_DEP_1)
	v_cmp_ne_u16_e32 vcc_lo, 2, v3
	v_dual_mov_b32 v3, v5 :: v_dual_mov_b32 v4, v6
                                        ; implicit-def: $vgpr5_vgpr6
	s_cmp_lg_u32 vcc_lo, exec_lo
	s_cbranch_scc1 .LBB645_126
; %bb.128:                              ;   in Loop: Header=BB645_127 Depth=1
	v_lshlrev_b64_e32 v[5:6], 4, v[23:24]
	s_mov_b32 s6, exec_lo
	s_delay_alu instid0(VALU_DEP_1) | instskip(SKIP_1) | instid1(VALU_DEP_2)
	v_add_co_u32 v25, vcc_lo, s4, v5
	s_wait_alu 0xfffd
	v_add_co_ci_u32_e64 v26, null, s5, v6, vcc_lo
	;;#ASMSTART
	global_load_b128 v[5:8], v[25:26] off scope:SCOPE_DEV	
s_wait_loadcnt 0x0
	;;#ASMEND
	v_and_b32_e32 v8, 0xff, v7
	s_delay_alu instid0(VALU_DEP_1)
	v_cmpx_eq_u16_e32 0, v8
	s_cbranch_execz .LBB645_125
; %bb.129:                              ;   in Loop: Header=BB645_127 Depth=1
	s_mov_b32 s7, 0
.LBB645_130:                            ;   Parent Loop BB645_127 Depth=1
                                        ; =>  This Inner Loop Header: Depth=2
	;;#ASMSTART
	global_load_b128 v[5:8], v[25:26] off scope:SCOPE_DEV	
s_wait_loadcnt 0x0
	;;#ASMEND
	v_and_b32_e32 v8, 0xff, v7
	s_delay_alu instid0(VALU_DEP_1)
	v_cmp_ne_u16_e32 vcc_lo, 0, v8
	s_wait_alu 0xfffe
	s_or_b32 s7, vcc_lo, s7
	s_wait_alu 0xfffe
	s_and_not1_b32 exec_lo, exec_lo, s7
	s_cbranch_execnz .LBB645_130
	s_branch .LBB645_124
.LBB645_131:
                                        ; implicit-def: $vgpr81
                                        ; implicit-def: $vgpr3
                                        ; implicit-def: $vgpr82
	s_wait_alu 0xfffe
	s_and_b32 vcc_lo, exec_lo, s3
	s_wait_alu 0xfffe
	s_cbranch_vccnz .LBB645_137
	s_branch .LBB645_146
.LBB645_132:
	s_and_saveexec_b32 s6, s2
	s_cbranch_execnz .LBB645_374
; %bb.133:
	s_wait_alu 0xfffe
	s_or_b32 exec_lo, exec_lo, s6
	s_and_saveexec_b32 s6, s2
	s_cbranch_execnz .LBB645_375
.LBB645_134:
	s_wait_alu 0xfffe
	s_or_b32 exec_lo, exec_lo, s6
	v_cmp_eq_u32_e32 vcc_lo, 0, v0
	s_and_b32 exec_lo, exec_lo, vcc_lo
.LBB645_135:
	v_mov_b32_e32 v1, 0
	ds_store_b64 v1, v[3:4] offset:56
.LBB645_136:
	s_wait_alu 0xfffe
	s_or_b32 exec_lo, exec_lo, s3
	s_wait_dscnt 0x0
	v_cndmask_b32_e64 v8, v82, v22, s2
	v_mov_b32_e32 v1, 0
	s_wait_loadcnt 0x0
	s_barrier_signal -1
	s_barrier_wait -1
	global_inv scope:SCOPE_SE
	ds_load_b64 v[5:6], v1 offset:56
	s_wait_loadcnt_dscnt 0x0
	s_barrier_signal -1
	s_barrier_wait -1
	global_inv scope:SCOPE_SE
	v_cndmask_b32_e64 v7, v81, v21, s2
	v_cmp_eq_u32_e32 vcc_lo, 0, v0
	v_add_nc_u32_e32 v8, v6, v8
	ds_load_b128 v[1:4], v1 offset:13312
	v_add_nc_u32_e32 v7, v5, v7
	s_wait_alu 0xfffd
	s_delay_alu instid0(VALU_DEP_1)
	v_dual_cndmask_b32 v81, v8, v6 :: v_dual_cndmask_b32 v82, v7, v5
	s_branch .LBB645_146
.LBB645_137:
	s_wait_dscnt 0x0
	v_mov_b32_dpp v2, v80 row_shr:1 row_mask:0xf bank_mask:0xf
	v_cmp_lt_u32_e32 vcc_lo, 3, v76
	v_mov_b32_dpp v1, v79 row_shr:1 row_mask:0xf bank_mask:0xf
	s_delay_alu instid0(VALU_DEP_3) | instskip(NEXT) | instid1(VALU_DEP_1)
	v_add_nc_u32_e32 v2, v2, v80
	v_cndmask_b32_e64 v2, v2, v80, s1
	s_delay_alu instid0(VALU_DEP_1) | instskip(NEXT) | instid1(VALU_DEP_1)
	v_mov_b32_dpp v4, v2 row_shr:2 row_mask:0xf bank_mask:0xf
	v_add_nc_u32_e32 v4, v2, v4
	s_delay_alu instid0(VALU_DEP_1) | instskip(NEXT) | instid1(VALU_DEP_1)
	v_cndmask_b32_e64 v2, v2, v4, s0
	v_mov_b32_dpp v4, v2 row_shr:4 row_mask:0xf bank_mask:0xf
	s_delay_alu instid0(VALU_DEP_1) | instskip(SKIP_1) | instid1(VALU_DEP_1)
	v_add_nc_u32_e32 v4, v2, v4
	s_wait_alu 0xfffd
	v_dual_cndmask_b32 v2, v2, v4 :: v_dual_add_nc_u32 v1, v1, v79
	s_delay_alu instid0(VALU_DEP_1) | instskip(SKIP_1) | instid1(VALU_DEP_2)
	v_cndmask_b32_e64 v1, v1, v79, s1
	s_mov_b32 s1, exec_lo
	v_mov_b32_dpp v4, v2 row_shr:8 row_mask:0xf bank_mask:0xf
	s_delay_alu instid0(VALU_DEP_2) | instskip(NEXT) | instid1(VALU_DEP_1)
	v_mov_b32_dpp v3, v1 row_shr:2 row_mask:0xf bank_mask:0xf
	v_add_nc_u32_e32 v3, v1, v3
	s_delay_alu instid0(VALU_DEP_1) | instskip(NEXT) | instid1(VALU_DEP_1)
	v_cndmask_b32_e64 v1, v1, v3, s0
	v_mov_b32_dpp v3, v1 row_shr:4 row_mask:0xf bank_mask:0xf
	s_delay_alu instid0(VALU_DEP_1) | instskip(NEXT) | instid1(VALU_DEP_1)
	v_add_nc_u32_e32 v3, v1, v3
	v_cndmask_b32_e32 v3, v1, v3, vcc_lo
	v_cmp_lt_u32_e32 vcc_lo, 7, v76
	s_delay_alu instid0(VALU_DEP_2) | instskip(NEXT) | instid1(VALU_DEP_1)
	v_mov_b32_dpp v1, v3 row_shr:8 row_mask:0xf bank_mask:0xf
	v_add_nc_u32_e32 v5, v3, v1
	v_add_nc_u32_e32 v1, v2, v4
	s_wait_alu 0xfffd
	s_delay_alu instid0(VALU_DEP_1) | instskip(NEXT) | instid1(VALU_DEP_3)
	v_cndmask_b32_e32 v1, v2, v1, vcc_lo
	v_cndmask_b32_e32 v2, v3, v5, vcc_lo
	v_cmp_eq_u32_e32 vcc_lo, 0, v78
	ds_swizzle_b32 v3, v1 offset:swizzle(BROADCAST,32,15)
	ds_swizzle_b32 v4, v2 offset:swizzle(BROADCAST,32,15)
	s_wait_dscnt 0x1
	v_add_nc_u32_e32 v3, v1, v3
	s_wait_dscnt 0x0
	v_add_nc_u32_e32 v4, v2, v4
	v_cmpx_eq_u32_e64 v0, v77
; %bb.138:
	s_wait_alu 0xfffd
	s_delay_alu instid0(VALU_DEP_2)
	v_dual_cndmask_b32 v5, v4, v2 :: v_dual_cndmask_b32 v6, v3, v1
	v_lshlrev_b32_e32 v7, 3, v75
	ds_store_b64 v7, v[5:6]
; %bb.139:
	s_wait_alu 0xfffe
	s_or_b32 exec_lo, exec_lo, s1
	s_delay_alu instid0(SALU_CYCLE_1)
	s_mov_b32 s1, exec_lo
	s_wait_loadcnt_dscnt 0x0
	s_barrier_signal -1
	s_barrier_wait -1
	global_inv scope:SCOPE_SE
	v_cmpx_gt_u32_e32 8, v0
	s_cbranch_execz .LBB645_141
; %bb.140:
	v_lshlrev_b32_e32 v7, 3, v0
	v_and_b32_e32 v22, 7, v74
	ds_load_b64 v[5:6], v7
	v_cmp_eq_u32_e64 s0, 0, v22
	s_wait_dscnt 0x0
	v_mov_b32_dpp v8, v5 row_shr:1 row_mask:0xf bank_mask:0xf
	v_mov_b32_dpp v21, v6 row_shr:1 row_mask:0xf bank_mask:0xf
	s_delay_alu instid0(VALU_DEP_2) | instskip(NEXT) | instid1(VALU_DEP_2)
	v_add_nc_u32_e32 v8, v8, v5
	v_add_nc_u32_e32 v21, v21, v6
	s_wait_alu 0xf1ff
	s_delay_alu instid0(VALU_DEP_2) | instskip(NEXT) | instid1(VALU_DEP_2)
	v_cndmask_b32_e64 v5, v8, v5, s0
	v_cndmask_b32_e64 v6, v21, v6, s0
	v_cmp_lt_u32_e64 s0, 1, v22
	s_delay_alu instid0(VALU_DEP_3) | instskip(NEXT) | instid1(VALU_DEP_3)
	v_mov_b32_dpp v8, v5 row_shr:2 row_mask:0xf bank_mask:0xf
	v_mov_b32_dpp v21, v6 row_shr:2 row_mask:0xf bank_mask:0xf
	s_delay_alu instid0(VALU_DEP_2) | instskip(NEXT) | instid1(VALU_DEP_2)
	v_add_nc_u32_e32 v8, v5, v8
	v_add_nc_u32_e32 v21, v6, v21
	s_wait_alu 0xf1ff
	s_delay_alu instid0(VALU_DEP_2) | instskip(NEXT) | instid1(VALU_DEP_2)
	v_cndmask_b32_e64 v5, v5, v8, s0
	v_cndmask_b32_e64 v6, v6, v21, s0
	v_cmp_lt_u32_e64 s0, 3, v22
	s_delay_alu instid0(VALU_DEP_3) | instskip(NEXT) | instid1(VALU_DEP_3)
	v_mov_b32_dpp v8, v5 row_shr:4 row_mask:0xf bank_mask:0xf
	v_mov_b32_dpp v21, v6 row_shr:4 row_mask:0xf bank_mask:0xf
	s_wait_alu 0xf1ff
	s_delay_alu instid0(VALU_DEP_2) | instskip(NEXT) | instid1(VALU_DEP_2)
	v_cndmask_b32_e64 v8, 0, v8, s0
	v_cndmask_b32_e64 v21, 0, v21, s0
	s_delay_alu instid0(VALU_DEP_2) | instskip(NEXT) | instid1(VALU_DEP_2)
	v_add_nc_u32_e32 v5, v8, v5
	v_add_nc_u32_e32 v6, v21, v6
	ds_store_b64 v7, v[5:6]
.LBB645_141:
	s_wait_alu 0xfffe
	s_or_b32 exec_lo, exec_lo, s1
	v_dual_mov_b32 v7, 0 :: v_dual_mov_b32 v6, 0
	v_mov_b32_e32 v5, 0
	s_mov_b32 s1, exec_lo
	s_wait_loadcnt_dscnt 0x0
	s_barrier_signal -1
	s_barrier_wait -1
	global_inv scope:SCOPE_SE
	v_cmpx_lt_u32_e32 31, v0
; %bb.142:
	v_lshl_add_u32 v5, v75, 3, -8
	ds_load_b64 v[5:6], v5
; %bb.143:
	s_wait_alu 0xfffe
	s_or_b32 exec_lo, exec_lo, s1
	v_sub_co_u32 v8, s0, v74, 1
	v_dual_cndmask_b32 v2, v4, v2 :: v_dual_cndmask_b32 v1, v3, v1
	v_cmp_eq_u32_e32 vcc_lo, 0, v0
	s_delay_alu instid0(VALU_DEP_3) | instskip(SKIP_1) | instid1(VALU_DEP_3)
	v_cmp_gt_i32_e64 s1, 0, v8
	s_wait_dscnt 0x0
	v_add_nc_u32_e32 v2, v5, v2
	v_add_nc_u32_e32 v1, v6, v1
	s_wait_alu 0xf1ff
	v_cndmask_b32_e64 v4, v8, v74, s1
	s_delay_alu instid0(VALU_DEP_1)
	v_lshlrev_b32_e32 v3, 2, v4
	ds_bpermute_b32 v8, v3, v2
	ds_bpermute_b32 v21, v3, v1
	ds_load_b64 v[1:2], v7 offset:56
	s_and_saveexec_b32 s1, vcc_lo
	s_cbranch_execz .LBB645_145
; %bb.144:
	s_wait_kmcnt 0x0
	s_add_nc_u64 s[2:3], s[4:5], 0x200
	v_dual_mov_b32 v3, 2 :: v_dual_mov_b32 v4, 0
	s_wait_alu 0xfffe
	v_dual_mov_b32 v23, s3 :: v_dual_mov_b32 v22, s2
	s_wait_dscnt 0x0
	;;#ASMSTART
	global_store_b128 v[22:23], v[1:4] off scope:SCOPE_DEV	
s_wait_storecnt 0x0
	;;#ASMEND
.LBB645_145:
	s_wait_alu 0xfffe
	s_or_b32 exec_lo, exec_lo, s1
	s_wait_dscnt 0x1
	v_cndmask_b32_e64 v3, v21, v6, s0
	v_cndmask_b32_e64 v5, v8, v5, s0
	v_mov_b32_e32 v4, 0
	s_wait_loadcnt_dscnt 0x0
	s_barrier_signal -1
	v_cndmask_b32_e64 v81, v3, 0, vcc_lo
	v_cndmask_b32_e64 v82, v5, 0, vcc_lo
	v_mov_b32_e32 v3, 0
	s_barrier_wait -1
	global_inv scope:SCOPE_SE
.LBB645_146:
	v_lshrrev_b32_e32 v77, 8, v49
	s_delay_alu instid0(VALU_DEP_2)
	v_add_nc_u32_e32 v73, v81, v73
	s_wait_dscnt 0x0
	v_sub_nc_u32_e32 v81, v81, v4
	v_lshlrev_b32_e32 v84, 1, v1
	v_lshrrev_b32_e32 v75, 16, v49
	v_and_b32_e32 v77, 1, v77
	v_add_nc_u32_e32 v71, v73, v71
	v_add_nc_u32_e32 v81, v81, v1
	v_add3_u32 v87, v84, v2, v41
	v_and_b32_e32 v75, 1, v75
	v_cmp_eq_u32_e32 vcc_lo, 1, v77
	v_add_nc_u32_e32 v72, v82, v72
	v_sub_nc_u32_e32 v82, v82, v3
	v_sub_nc_u32_e32 v73, v73, v4
	v_lshrrev_b32_e32 v76, 8, v42
	v_lshrrev_b32_e32 v74, 16, v42
	v_and_b32_e32 v42, 1, v42
	v_add_nc_u32_e32 v41, v82, v81
	v_add_nc_u32_e32 v73, v73, v1
	v_and_b32_e32 v76, 1, v76
	s_wait_kmcnt 0x0
	v_add_co_u32 v5, s0, s28, v3
	v_sub_nc_u32_e32 v41, v87, v41
	s_wait_alu 0xf1ff
	v_add_co_ci_u32_e64 v6, null, s29, 0, s0
	v_sub_co_u32 v80, s0, s30, v1
	s_wait_alu 0xfffd
	v_cndmask_b32_e32 v41, v41, v81, vcc_lo
	v_cmp_eq_u32_e32 vcc_lo, 1, v75
	v_add_nc_u32_e32 v78, v71, v55
	v_sub_nc_u32_e32 v71, v71, v4
	s_wait_alu 0xf1ff
	v_sub_co_ci_u32_e64 v83, null, s31, 0, s0
	v_and_b32_e32 v55, 1, v55
	v_and_b32_e32 v74, 1, v74
	v_add_nc_u32_e32 v71, v71, v1
	v_add_nc_u32_e32 v70, v72, v70
	v_sub_nc_u32_e32 v72, v72, v3
	v_lshrrev_b32_e32 v26, 8, v43
	v_lshrrev_b32_e32 v25, 16, v43
	v_and_b32_e32 v43, 1, v43
	v_lshrrev_b32_e32 v23, 16, v44
	v_add_nc_u32_e32 v88, v73, v72
	v_and_b32_e32 v26, 1, v26
	v_lshrrev_b32_e32 v24, 8, v44
	v_and_b32_e32 v44, 1, v44
	v_lshrrev_b32_e32 v8, 16, v46
	v_sub_nc_u32_e32 v88, v87, v88
	v_lshrrev_b32_e32 v22, 8, v46
	v_and_b32_e32 v24, 1, v24
	v_lshrrev_b32_e32 v21, 8, v47
	v_and_b32_e32 v8, 1, v8
	v_add_nc_u32_e32 v88, 1, v88
	v_and_b32_e32 v22, 1, v22
	v_lshrrev_b32_e32 v7, 16, v47
	s_mov_b32 s41, 0
	s_wait_alu 0xfffd
	v_cndmask_b32_e32 v73, v88, v73, vcc_lo
	v_cmp_eq_u32_e32 vcc_lo, 1, v42
	v_add_nc_u32_e32 v68, v78, v68
	v_and_b32_e32 v7, 1, v7
	s_wait_alu 0xfffd
	v_cndmask_b32_e32 v81, v41, v82, vcc_lo
	v_cmp_eq_u32_e32 vcc_lo, 1, v76
	v_add_nc_u32_e32 v69, v70, v69
	v_sub_nc_u32_e32 v70, v70, v3
	v_sub_nc_u32_e32 v76, v78, v4
	s_wait_alu 0xfffd
	v_dual_cndmask_b32 v72, v73, v72 :: v_dual_add_nc_u32 v67, v68, v67
	v_add_co_u32 v41, vcc_lo, v80, v4
	v_add_nc_u32_e32 v75, v71, v70
	s_wait_alu 0xfffd
	v_add_co_ci_u32_e64 v42, null, 0, v83, vcc_lo
	v_cmp_eq_u32_e32 vcc_lo, 1, v55
	v_add_nc_u32_e32 v79, v69, v54
	v_sub_nc_u32_e32 v73, v87, v75
	v_sub_nc_u32_e32 v69, v69, v3
	;; [unrolled: 1-line block ×3, first 2 shown]
	v_lshlrev_b32_e32 v75, 2, v81
	v_lshlrev_b32_e32 v72, 2, v72
	v_add_nc_u32_e32 v73, 2, v73
	ds_store_b32 v75, v19
	ds_store_b32 v72, v20
	s_wait_alu 0xfffd
	v_dual_cndmask_b32 v55, v73, v71 :: v_dual_add_nc_u32 v68, v68, v1
	v_add_nc_u32_e32 v71, v76, v1
	v_cmp_eq_u32_e32 vcc_lo, 1, v74
	v_and_b32_e32 v54, 1, v54
	s_delay_alu instid0(VALU_DEP_3) | instskip(SKIP_4) | instid1(VALU_DEP_3)
	v_add_nc_u32_e32 v73, v69, v71
	s_wait_alu 0xfffd
	v_cndmask_b32_e32 v55, v55, v70, vcc_lo
	v_sub_nc_u32_e32 v70, v79, v3
	v_cmp_eq_u32_e32 vcc_lo, 1, v43
	v_lshlrev_b32_e32 v19, 2, v55
	s_delay_alu instid0(VALU_DEP_3)
	v_add_nc_u32_e32 v20, v70, v68
	v_sub_nc_u32_e32 v55, v87, v73
	ds_store_b32 v19, v17
	v_sub_nc_u32_e32 v20, v87, v20
	v_add_nc_u32_e32 v55, 3, v55
	v_and_b32_e32 v19, 1, v25
	s_wait_alu 0xfffd
	s_delay_alu instid0(VALU_DEP_2) | instskip(SKIP_2) | instid1(VALU_DEP_2)
	v_dual_cndmask_b32 v43, v55, v71 :: v_dual_add_nc_u32 v20, 4, v20
	v_cmp_eq_u32_e32 vcc_lo, 1, v26
	s_wait_alu 0xfffd
	v_cndmask_b32_e32 v20, v20, v68, vcc_lo
	v_cmp_eq_u32_e32 vcc_lo, 1, v54
	s_wait_alu 0xfffd
	v_cndmask_b32_e32 v26, v43, v69, vcc_lo
	v_cmp_eq_u32_e32 vcc_lo, 1, v44
	v_add_nc_u32_e32 v65, v67, v65
	v_sub_nc_u32_e32 v67, v67, v4
	s_delay_alu instid0(VALU_DEP_4)
	v_lshlrev_b32_e32 v17, 2, v26
	s_wait_alu 0xfffd
	v_cndmask_b32_e32 v20, v20, v70, vcc_lo
	v_cmp_eq_u32_e32 vcc_lo, 1, v19
	v_add_nc_u32_e32 v67, v67, v1
	v_add_nc_u32_e32 v66, v79, v66
	;; [unrolled: 1-line block ×3, first 2 shown]
	v_sub_nc_u32_e32 v26, v65, v4
	v_lshlrev_b32_e32 v20, 2, v20
	ds_store_b32 v17, v18
	ds_store_b32 v20, v15
	v_add_nc_u32_e32 v64, v66, v64
	v_sub_nc_u32_e32 v66, v66, v3
	v_add_nc_u32_e32 v26, v26, v1
	v_add_nc_u32_e32 v63, v85, v63
	v_and_b32_e32 v20, 1, v53
	s_delay_alu instid0(VALU_DEP_4) | instskip(NEXT) | instid1(VALU_DEP_1)
	v_add_nc_u32_e32 v55, v66, v67
	v_sub_nc_u32_e32 v43, v87, v55
	s_delay_alu instid0(VALU_DEP_1) | instskip(SKIP_2) | instid1(VALU_DEP_2)
	v_add_nc_u32_e32 v25, 5, v43
	v_sub_nc_u32_e32 v43, v85, v4
	s_wait_alu 0xfffd
	v_cndmask_b32_e32 v19, v25, v67, vcc_lo
	v_cmp_eq_u32_e32 vcc_lo, 1, v24
	s_delay_alu instid0(VALU_DEP_3) | instskip(SKIP_1) | instid1(VALU_DEP_3)
	v_add_nc_u32_e32 v43, v43, v1
	s_wait_alu 0xfffd
	v_cndmask_b32_e32 v19, v19, v66, vcc_lo
	v_add_nc_u32_e32 v59, v64, v59
	v_sub_nc_u32_e32 v25, v64, v3
	v_cmp_eq_u32_e32 vcc_lo, 1, v20
	v_and_b32_e32 v20, 1, v52
	v_lshlrev_b32_e32 v15, 2, v19
	v_sub_nc_u32_e32 v24, v59, v3
	v_add_nc_u32_e32 v44, v25, v26
	v_add_nc_u32_e32 v86, v59, v52
	v_and_b32_e32 v19, 1, v23
	v_sub_nc_u32_e32 v23, v63, v4
	v_add_nc_u32_e32 v17, v24, v43
	v_sub_nc_u32_e32 v18, v87, v44
	v_and_b32_e32 v44, 1, v46
	v_sub_nc_u32_e32 v46, v86, v3
	v_add_nc_u32_e32 v23, v23, v1
	v_sub_nc_u32_e32 v17, v87, v17
	v_add_nc_u32_e32 v18, 6, v18
	v_add_nc_u32_e32 v61, v86, v61
	s_wait_alu 0xfffd
	s_delay_alu instid0(VALU_DEP_2)
	v_dual_cndmask_b32 v18, v18, v26 :: v_dual_add_nc_u32 v17, 7, v17
	v_cmp_eq_u32_e32 vcc_lo, 1, v44
	v_add_nc_u32_e32 v26, v46, v23
	v_add_nc_u32_e32 v58, v61, v58
	s_wait_alu 0xfffd
	v_cndmask_b32_e32 v17, v17, v43, vcc_lo
	v_cmp_eq_u32_e32 vcc_lo, 1, v19
	v_sub_nc_u32_e32 v19, v87, v26
	s_wait_alu 0xfffd
	v_cndmask_b32_e32 v18, v18, v25, vcc_lo
	v_cmp_eq_u32_e32 vcc_lo, 1, v20
	v_add_nc_u32_e32 v62, v63, v62
	v_add_nc_u32_e32 v19, 8, v19
	v_sub_nc_u32_e32 v25, v61, v3
	s_wait_alu 0xfffd
	v_dual_cndmask_b32 v17, v17, v24 :: v_dual_lshlrev_b32 v18, 2, v18
	v_sub_nc_u32_e32 v20, v62, v4
	v_and_b32_e32 v24, 1, v47
	v_cmp_eq_u32_e32 vcc_lo, 1, v22
	s_delay_alu instid0(VALU_DEP_4) | instskip(NEXT) | instid1(VALU_DEP_4)
	v_lshlrev_b32_e32 v17, 2, v17
	v_add_nc_u32_e32 v20, v20, v1
	ds_store_b32 v15, v16
	ds_store_b32 v18, v13
	;; [unrolled: 1-line block ×3, first 2 shown]
	s_wait_alu 0xfffd
	v_cndmask_b32_e32 v19, v19, v23, vcc_lo
	v_cmp_eq_u32_e32 vcc_lo, 1, v24
	v_add_nc_u32_e32 v60, v62, v60
	v_add_nc_u32_e32 v22, v25, v20
	v_sub_nc_u32_e32 v17, v58, v3
	v_and_b32_e32 v15, 1, v21
	s_wait_alu 0xfffd
	v_cndmask_b32_e32 v19, v19, v46, vcc_lo
	v_sub_nc_u32_e32 v16, v60, v4
	v_sub_nc_u32_e32 v13, v87, v22
	v_cmp_eq_u32_e32 vcc_lo, 1, v8
	v_add_nc_u32_e32 v89, v60, v51
	v_lshlrev_b32_e32 v14, 2, v19
	v_add_nc_u32_e32 v16, v16, v1
	v_add_nc_u32_e32 v13, 9, v13
	s_delay_alu instid0(VALU_DEP_4)
	v_sub_nc_u32_e32 v18, v89, v4
	ds_store_b32 v14, v11
	v_add_nc_u32_e32 v19, v17, v16
	s_wait_alu 0xfffd
	v_cndmask_b32_e32 v8, v13, v20, vcc_lo
	v_cmp_eq_u32_e32 vcc_lo, 1, v15
	v_and_b32_e32 v15, 1, v51
	v_and_b32_e32 v20, 1, v45
	v_sub_nc_u32_e32 v14, v87, v19
	v_add_nc_u32_e32 v18, v18, v1
	s_wait_alu 0xfffd
	v_cndmask_b32_e32 v8, v8, v25, vcc_lo
	v_cmp_eq_u32_e32 vcc_lo, 1, v15
	v_add_nc_u32_e32 v57, v89, v57
	v_add_nc_u32_e32 v14, 10, v14
	v_and_b32_e32 v15, 1, v50
	v_lshlrev_b32_e32 v8, 2, v8
	s_delay_alu instid0(VALU_DEP_4)
	v_sub_nc_u32_e32 v19, v57, v4
	s_wait_alu 0xfffd
	v_cndmask_b32_e32 v14, v14, v16, vcc_lo
	v_cmp_eq_u32_e32 vcc_lo, 1, v20
	v_add_nc_u32_e32 v56, v58, v56
	v_add_nc_u32_e32 v19, v19, v1
	s_delay_alu instid0(VALU_DEP_2) | instskip(NEXT) | instid1(VALU_DEP_1)
	v_sub_nc_u32_e32 v13, v56, v3
	v_add_nc_u32_e32 v11, v13, v18
	s_delay_alu instid0(VALU_DEP_1) | instskip(NEXT) | instid1(VALU_DEP_1)
	v_sub_nc_u32_e32 v11, v87, v11
	v_add_nc_u32_e32 v11, 11, v11
	s_wait_alu 0xfffd
	s_delay_alu instid0(VALU_DEP_1) | instskip(SKIP_2) | instid1(VALU_DEP_2)
	v_cndmask_b32_e32 v11, v11, v18, vcc_lo
	v_add_nc_u32_e32 v77, v56, v50
	v_cmp_eq_u32_e32 vcc_lo, 1, v7
	v_sub_nc_u32_e32 v3, v77, v3
	s_wait_alu 0xfffd
	v_cndmask_b32_e32 v7, v14, v17, vcc_lo
	v_cmp_eq_u32_e32 vcc_lo, 1, v15
	v_and_b32_e32 v15, 1, v49
	v_add_nc_u32_e32 v16, v3, v19
	s_delay_alu instid0(VALU_DEP_4) | instskip(SKIP_4) | instid1(VALU_DEP_3)
	v_lshlrev_b32_e32 v7, 2, v7
	s_wait_alu 0xfffd
	v_cndmask_b32_e32 v11, v11, v13, vcc_lo
	v_and_b32_e32 v13, 1, v48
	v_sub_nc_u32_e32 v14, v87, v16
	v_lshlrev_b32_e32 v11, 2, v11
	s_delay_alu instid0(VALU_DEP_3)
	v_cmp_eq_u32_e32 vcc_lo, 1, v13
	ds_store_b32 v8, v12
	ds_store_b32 v7, v9
	;; [unrolled: 1-line block ×3, first 2 shown]
	v_add_nc_u32_e32 v14, 12, v14
	v_add_co_u32 v7, s0, v2, v84
	s_wait_alu 0xf1ff
	v_add_co_ci_u32_e64 v8, null, 0, 0, s0
	s_wait_alu 0xfffd
	v_cndmask_b32_e32 v13, v14, v19, vcc_lo
	v_cmp_eq_u32_e32 vcc_lo, 1, v15
	s_wait_alu 0xfffe
	s_add_nc_u64 s[0:1], s[34:35], s[40:41]
	v_lshlrev_b64_e32 v[9:10], 2, v[5:6]
	v_add_nc_u32_e32 v12, v1, v2
	s_wait_alu 0xfffd
	v_cndmask_b32_e32 v3, v13, v3, vcc_lo
	v_add_co_u32 v7, vcc_lo, v7, v41
	s_wait_alu 0xfffd
	v_add_co_ci_u32_e64 v8, null, v8, v42, vcc_lo
	s_delay_alu instid0(VALU_DEP_3)
	v_lshlrev_b32_e32 v3, 2, v3
	ds_store_b32 v3, v40
	v_add_co_u32 v3, vcc_lo, v7, v5
	s_wait_alu 0xfffd
	v_add_co_ci_u32_e64 v7, null, v8, v6, vcc_lo
	s_wait_loadcnt_dscnt 0x0
	s_wait_alu 0xfffe
	v_sub_co_u32 v3, vcc_lo, s0, v3
	s_wait_alu 0xfffd
	v_sub_co_ci_u32_e64 v11, null, s1, v7, vcc_lo
	v_lshlrev_b64_e32 v[7:8], 2, v[41:42]
	v_add_co_u32 v9, s0, s36, v9
	s_wait_alu 0xf1ff
	v_add_co_ci_u32_e64 v10, null, s37, v10, s0
	s_mov_b32 s0, -1
	v_add_co_u32 v7, vcc_lo, s38, v7
	s_wait_alu 0xfffd
	v_add_co_ci_u32_e64 v8, null, s39, v8, vcc_lo
	v_cmp_ne_u32_e32 vcc_lo, 1, v39
	s_barrier_signal -1
	s_barrier_wait -1
	global_inv scope:SCOPE_SE
	s_cbranch_vccz .LBB645_150
; %bb.147:
	s_wait_alu 0xfffe
	s_and_b32 vcc_lo, exec_lo, s0
	s_wait_alu 0xfffe
	s_cbranch_vccnz .LBB645_255
.LBB645_148:
	v_cmp_eq_u32_e32 vcc_lo, 0, v0
	s_and_b32 s0, vcc_lo, s15
	s_wait_alu 0xfffe
	s_and_saveexec_b32 s1, s0
	s_cbranch_execnz .LBB645_373
.LBB645_149:
	s_endpgm
.LBB645_150:
	s_mov_b32 s0, exec_lo
	v_cmpx_ge_u32_e64 v0, v1
	s_wait_alu 0xfffe
	s_xor_b32 s0, exec_lo, s0
	s_cbranch_execz .LBB645_156
; %bb.151:
	s_mov_b32 s1, exec_lo
	v_cmpx_ge_u32_e64 v0, v12
	s_wait_alu 0xfffe
	s_xor_b32 s1, exec_lo, s1
	s_cbranch_execz .LBB645_153
; %bb.152:
	v_lshlrev_b32_e32 v13, 2, v0
	ds_load_b32 v15, v13
	v_add_co_u32 v13, vcc_lo, v3, v0
	s_wait_alu 0xfffd
	v_add_co_ci_u32_e64 v14, null, 0, v11, vcc_lo
	s_delay_alu instid0(VALU_DEP_1) | instskip(NEXT) | instid1(VALU_DEP_1)
	v_lshlrev_b64_e32 v[13:14], 2, v[13:14]
	v_sub_co_u32 v13, vcc_lo, s26, v13
	s_wait_alu 0xfffd
	s_delay_alu instid0(VALU_DEP_2)
	v_sub_co_ci_u32_e64 v14, null, s27, v14, vcc_lo
	s_wait_dscnt 0x0
	global_store_b32 v[13:14], v15, off offset:-4
.LBB645_153:
	s_wait_alu 0xfffe
	s_and_not1_saveexec_b32 s1, s1
	s_cbranch_execz .LBB645_155
; %bb.154:
	v_lshlrev_b32_e32 v13, 2, v0
	v_readfirstlane_b32 s2, v7
	v_readfirstlane_b32 s3, v8
	ds_load_b32 v14, v13
	s_wait_dscnt 0x0
	global_store_b32 v13, v14, s[2:3]
.LBB645_155:
	s_wait_alu 0xfffe
	s_or_b32 exec_lo, exec_lo, s1
.LBB645_156:
	s_wait_alu 0xfffe
	s_and_not1_saveexec_b32 s0, s0
	s_cbranch_execz .LBB645_158
; %bb.157:
	v_lshlrev_b32_e32 v13, 2, v0
	v_readfirstlane_b32 s2, v9
	v_readfirstlane_b32 s3, v10
	ds_load_b32 v14, v13
	s_wait_dscnt 0x0
	global_store_b32 v13, v14, s[2:3]
.LBB645_158:
	s_wait_alu 0xfffe
	s_or_b32 exec_lo, exec_lo, s0
	s_delay_alu instid0(SALU_CYCLE_1)
	s_mov_b32 s0, exec_lo
	v_cmpx_ge_u32_e64 v38, v1
	s_wait_alu 0xfffe
	s_xor_b32 s0, exec_lo, s0
	s_cbranch_execz .LBB645_164
; %bb.159:
	s_mov_b32 s1, exec_lo
	v_cmpx_ge_u32_e64 v38, v12
	s_wait_alu 0xfffe
	s_xor_b32 s1, exec_lo, s1
	s_cbranch_execz .LBB645_161
; %bb.160:
	v_lshlrev_b32_e32 v13, 2, v0
	ds_load_b32 v15, v13 offset:1024
	v_add_co_u32 v13, vcc_lo, v3, v0
	s_wait_alu 0xfffd
	v_add_co_ci_u32_e64 v14, null, 0, v11, vcc_lo
	s_delay_alu instid0(VALU_DEP_1) | instskip(NEXT) | instid1(VALU_DEP_1)
	v_lshlrev_b64_e32 v[13:14], 2, v[13:14]
	v_sub_co_u32 v13, vcc_lo, s26, v13
	s_wait_alu 0xfffd
	s_delay_alu instid0(VALU_DEP_2)
	v_sub_co_ci_u32_e64 v14, null, s27, v14, vcc_lo
	s_wait_dscnt 0x0
	global_store_b32 v[13:14], v15, off offset:-1028
.LBB645_161:
	s_wait_alu 0xfffe
	s_and_not1_saveexec_b32 s1, s1
	s_cbranch_execz .LBB645_163
; %bb.162:
	v_lshlrev_b32_e32 v13, 2, v0
	v_readfirstlane_b32 s2, v7
	v_readfirstlane_b32 s3, v8
	ds_load_b32 v14, v13 offset:1024
	s_wait_dscnt 0x0
	global_store_b32 v13, v14, s[2:3] offset:1024
.LBB645_163:
	s_wait_alu 0xfffe
	s_or_b32 exec_lo, exec_lo, s1
.LBB645_164:
	s_wait_alu 0xfffe
	s_and_not1_saveexec_b32 s0, s0
	s_cbranch_execz .LBB645_166
; %bb.165:
	v_lshlrev_b32_e32 v13, 2, v0
	v_readfirstlane_b32 s2, v9
	v_readfirstlane_b32 s3, v10
	ds_load_b32 v14, v13 offset:1024
	s_wait_dscnt 0x0
	global_store_b32 v13, v14, s[2:3] offset:1024
.LBB645_166:
	s_wait_alu 0xfffe
	s_or_b32 exec_lo, exec_lo, s0
	s_delay_alu instid0(SALU_CYCLE_1)
	s_mov_b32 s0, exec_lo
	v_cmpx_ge_u32_e64 v37, v1
	s_wait_alu 0xfffe
	s_xor_b32 s0, exec_lo, s0
	s_cbranch_execz .LBB645_172
; %bb.167:
	s_mov_b32 s1, exec_lo
	v_cmpx_ge_u32_e64 v37, v12
	s_wait_alu 0xfffe
	s_xor_b32 s1, exec_lo, s1
	s_cbranch_execz .LBB645_169
; %bb.168:
	v_lshlrev_b32_e32 v13, 2, v0
	ds_load_b32 v15, v13 offset:2048
	v_add_co_u32 v13, vcc_lo, v3, v0
	s_wait_alu 0xfffd
	v_add_co_ci_u32_e64 v14, null, 0, v11, vcc_lo
	s_delay_alu instid0(VALU_DEP_1) | instskip(NEXT) | instid1(VALU_DEP_1)
	v_lshlrev_b64_e32 v[13:14], 2, v[13:14]
	v_sub_co_u32 v13, vcc_lo, s26, v13
	s_wait_alu 0xfffd
	s_delay_alu instid0(VALU_DEP_2)
	v_sub_co_ci_u32_e64 v14, null, s27, v14, vcc_lo
	s_wait_dscnt 0x0
	global_store_b32 v[13:14], v15, off offset:-2052
.LBB645_169:
	s_wait_alu 0xfffe
	s_and_not1_saveexec_b32 s1, s1
	s_cbranch_execz .LBB645_171
; %bb.170:
	v_lshlrev_b32_e32 v13, 2, v0
	v_readfirstlane_b32 s2, v7
	v_readfirstlane_b32 s3, v8
	ds_load_b32 v14, v13 offset:2048
	s_wait_dscnt 0x0
	global_store_b32 v13, v14, s[2:3] offset:2048
.LBB645_171:
	s_wait_alu 0xfffe
	s_or_b32 exec_lo, exec_lo, s1
.LBB645_172:
	s_wait_alu 0xfffe
	s_and_not1_saveexec_b32 s0, s0
	s_cbranch_execz .LBB645_174
; %bb.173:
	v_lshlrev_b32_e32 v13, 2, v0
	v_readfirstlane_b32 s2, v9
	v_readfirstlane_b32 s3, v10
	ds_load_b32 v14, v13 offset:2048
	s_wait_dscnt 0x0
	global_store_b32 v13, v14, s[2:3] offset:2048
.LBB645_174:
	;; [unrolled: 54-line block ×12, first 2 shown]
	s_wait_alu 0xfffe
	s_or_b32 exec_lo, exec_lo, s0
	s_branch .LBB645_148
.LBB645_255:
	s_mov_b32 s0, exec_lo
	v_cmpx_gt_u32_e64 s33, v0
	s_cbranch_execz .LBB645_264
; %bb.256:
	s_mov_b32 s1, exec_lo
	v_cmpx_ge_u32_e64 v0, v1
	s_wait_alu 0xfffe
	s_xor_b32 s1, exec_lo, s1
	s_cbranch_execz .LBB645_262
; %bb.257:
	s_mov_b32 s2, exec_lo
	v_cmpx_ge_u32_e64 v0, v12
	s_wait_alu 0xfffe
	s_xor_b32 s2, exec_lo, s2
	s_cbranch_execz .LBB645_259
; %bb.258:
	v_lshlrev_b32_e32 v13, 2, v0
	ds_load_b32 v15, v13
	v_add_co_u32 v13, vcc_lo, v3, v0
	s_wait_alu 0xfffd
	v_add_co_ci_u32_e64 v14, null, 0, v11, vcc_lo
	s_delay_alu instid0(VALU_DEP_1) | instskip(NEXT) | instid1(VALU_DEP_1)
	v_lshlrev_b64_e32 v[13:14], 2, v[13:14]
	v_sub_co_u32 v13, vcc_lo, s26, v13
	s_wait_alu 0xfffd
	s_delay_alu instid0(VALU_DEP_2)
	v_sub_co_ci_u32_e64 v14, null, s27, v14, vcc_lo
	s_wait_dscnt 0x0
	global_store_b32 v[13:14], v15, off offset:-4
.LBB645_259:
	s_wait_alu 0xfffe
	s_and_not1_saveexec_b32 s2, s2
	s_cbranch_execz .LBB645_261
; %bb.260:
	v_lshlrev_b32_e32 v13, 2, v0
	v_readfirstlane_b32 s4, v7
	v_readfirstlane_b32 s5, v8
	ds_load_b32 v14, v13
	s_wait_dscnt 0x0
	global_store_b32 v13, v14, s[4:5]
.LBB645_261:
	s_wait_alu 0xfffe
	s_or_b32 exec_lo, exec_lo, s2
.LBB645_262:
	s_wait_alu 0xfffe
	s_and_not1_saveexec_b32 s1, s1
	s_cbranch_execz .LBB645_264
; %bb.263:
	v_lshlrev_b32_e32 v13, 2, v0
	v_readfirstlane_b32 s2, v9
	v_readfirstlane_b32 s3, v10
	ds_load_b32 v14, v13
	s_wait_dscnt 0x0
	global_store_b32 v13, v14, s[2:3]
.LBB645_264:
	s_wait_alu 0xfffe
	s_or_b32 exec_lo, exec_lo, s0
	s_delay_alu instid0(SALU_CYCLE_1)
	s_mov_b32 s0, exec_lo
	v_cmpx_gt_u32_e64 s33, v38
	s_cbranch_execz .LBB645_273
; %bb.265:
	s_mov_b32 s1, exec_lo
	v_cmpx_ge_u32_e64 v38, v1
	s_wait_alu 0xfffe
	s_xor_b32 s1, exec_lo, s1
	s_cbranch_execz .LBB645_271
; %bb.266:
	s_mov_b32 s2, exec_lo
	v_cmpx_ge_u32_e64 v38, v12
	s_wait_alu 0xfffe
	s_xor_b32 s2, exec_lo, s2
	s_cbranch_execz .LBB645_268
; %bb.267:
	v_lshlrev_b32_e32 v13, 2, v0
	ds_load_b32 v15, v13 offset:1024
	v_add_co_u32 v13, vcc_lo, v3, v0
	s_wait_alu 0xfffd
	v_add_co_ci_u32_e64 v14, null, 0, v11, vcc_lo
	s_delay_alu instid0(VALU_DEP_1) | instskip(NEXT) | instid1(VALU_DEP_1)
	v_lshlrev_b64_e32 v[13:14], 2, v[13:14]
	v_sub_co_u32 v13, vcc_lo, s26, v13
	s_wait_alu 0xfffd
	s_delay_alu instid0(VALU_DEP_2)
	v_sub_co_ci_u32_e64 v14, null, s27, v14, vcc_lo
	s_wait_dscnt 0x0
	global_store_b32 v[13:14], v15, off offset:-1028
.LBB645_268:
	s_wait_alu 0xfffe
	s_and_not1_saveexec_b32 s2, s2
	s_cbranch_execz .LBB645_270
; %bb.269:
	v_lshlrev_b32_e32 v13, 2, v0
	v_readfirstlane_b32 s4, v7
	v_readfirstlane_b32 s5, v8
	ds_load_b32 v14, v13 offset:1024
	s_wait_dscnt 0x0
	global_store_b32 v13, v14, s[4:5] offset:1024
.LBB645_270:
	s_wait_alu 0xfffe
	s_or_b32 exec_lo, exec_lo, s2
.LBB645_271:
	s_wait_alu 0xfffe
	s_and_not1_saveexec_b32 s1, s1
	s_cbranch_execz .LBB645_273
; %bb.272:
	v_lshlrev_b32_e32 v13, 2, v0
	v_readfirstlane_b32 s2, v9
	v_readfirstlane_b32 s3, v10
	ds_load_b32 v14, v13 offset:1024
	s_wait_dscnt 0x0
	global_store_b32 v13, v14, s[2:3] offset:1024
.LBB645_273:
	s_wait_alu 0xfffe
	s_or_b32 exec_lo, exec_lo, s0
	s_delay_alu instid0(SALU_CYCLE_1)
	s_mov_b32 s0, exec_lo
	v_cmpx_gt_u32_e64 s33, v37
	s_cbranch_execz .LBB645_282
; %bb.274:
	s_mov_b32 s1, exec_lo
	v_cmpx_ge_u32_e64 v37, v1
	s_wait_alu 0xfffe
	s_xor_b32 s1, exec_lo, s1
	s_cbranch_execz .LBB645_280
; %bb.275:
	s_mov_b32 s2, exec_lo
	v_cmpx_ge_u32_e64 v37, v12
	s_wait_alu 0xfffe
	s_xor_b32 s2, exec_lo, s2
	s_cbranch_execz .LBB645_277
; %bb.276:
	v_lshlrev_b32_e32 v13, 2, v0
	ds_load_b32 v15, v13 offset:2048
	v_add_co_u32 v13, vcc_lo, v3, v0
	s_wait_alu 0xfffd
	v_add_co_ci_u32_e64 v14, null, 0, v11, vcc_lo
	s_delay_alu instid0(VALU_DEP_1) | instskip(NEXT) | instid1(VALU_DEP_1)
	v_lshlrev_b64_e32 v[13:14], 2, v[13:14]
	v_sub_co_u32 v13, vcc_lo, s26, v13
	s_wait_alu 0xfffd
	s_delay_alu instid0(VALU_DEP_2)
	v_sub_co_ci_u32_e64 v14, null, s27, v14, vcc_lo
	s_wait_dscnt 0x0
	global_store_b32 v[13:14], v15, off offset:-2052
.LBB645_277:
	s_wait_alu 0xfffe
	s_and_not1_saveexec_b32 s2, s2
	s_cbranch_execz .LBB645_279
; %bb.278:
	v_lshlrev_b32_e32 v13, 2, v0
	v_readfirstlane_b32 s4, v7
	v_readfirstlane_b32 s5, v8
	ds_load_b32 v14, v13 offset:2048
	s_wait_dscnt 0x0
	global_store_b32 v13, v14, s[4:5] offset:2048
.LBB645_279:
	s_wait_alu 0xfffe
	s_or_b32 exec_lo, exec_lo, s2
.LBB645_280:
	s_wait_alu 0xfffe
	s_and_not1_saveexec_b32 s1, s1
	s_cbranch_execz .LBB645_282
; %bb.281:
	v_lshlrev_b32_e32 v13, 2, v0
	v_readfirstlane_b32 s2, v9
	v_readfirstlane_b32 s3, v10
	ds_load_b32 v14, v13 offset:2048
	s_wait_dscnt 0x0
	global_store_b32 v13, v14, s[2:3] offset:2048
.LBB645_282:
	;; [unrolled: 58-line block ×11, first 2 shown]
	s_wait_alu 0xfffe
	s_or_b32 exec_lo, exec_lo, s0
	s_delay_alu instid0(SALU_CYCLE_1)
	s_mov_b32 s0, exec_lo
	v_cmpx_gt_u32_e64 s33, v27
	s_cbranch_execz .LBB645_372
; %bb.364:
	s_mov_b32 s1, exec_lo
	v_cmpx_ge_u32_e64 v27, v1
	s_wait_alu 0xfffe
	s_xor_b32 s1, exec_lo, s1
	s_cbranch_execz .LBB645_370
; %bb.365:
	s_mov_b32 s2, exec_lo
	v_cmpx_ge_u32_e64 v27, v12
	s_wait_alu 0xfffe
	s_xor_b32 s2, exec_lo, s2
	s_cbranch_execz .LBB645_367
; %bb.366:
	v_lshlrev_b32_e32 v7, 2, v0
	ds_load_b32 v9, v7 offset:12288
	v_add_co_u32 v7, vcc_lo, v3, v0
	s_wait_alu 0xfffd
	v_add_co_ci_u32_e64 v8, null, 0, v11, vcc_lo
	s_delay_alu instid0(VALU_DEP_1) | instskip(NEXT) | instid1(VALU_DEP_1)
	v_lshlrev_b64_e32 v[7:8], 2, v[7:8]
	v_sub_co_u32 v7, vcc_lo, s26, v7
	s_wait_alu 0xfffd
	s_delay_alu instid0(VALU_DEP_2)
	v_sub_co_ci_u32_e64 v8, null, s27, v8, vcc_lo
	s_wait_dscnt 0x0
	global_store_b32 v[7:8], v9, off offset:-12292
                                        ; implicit-def: $vgpr7_vgpr8
.LBB645_367:
	s_wait_alu 0xfffe
	s_and_not1_saveexec_b32 s2, s2
	s_cbranch_execz .LBB645_369
; %bb.368:
	v_lshlrev_b32_e32 v3, 2, v0
	v_readfirstlane_b32 s4, v7
	v_readfirstlane_b32 s5, v8
	ds_load_b32 v9, v3 offset:12288
	s_wait_dscnt 0x0
	global_store_b32 v3, v9, s[4:5] offset:12288
.LBB645_369:
	s_wait_alu 0xfffe
	s_or_b32 exec_lo, exec_lo, s2
                                        ; implicit-def: $vgpr9_vgpr10
.LBB645_370:
	s_wait_alu 0xfffe
	s_and_not1_saveexec_b32 s1, s1
	s_cbranch_execz .LBB645_372
; %bb.371:
	v_lshlrev_b32_e32 v3, 2, v0
	v_readfirstlane_b32 s2, v9
	v_readfirstlane_b32 s3, v10
	ds_load_b32 v7, v3 offset:12288
	s_wait_dscnt 0x0
	global_store_b32 v3, v7, s[2:3] offset:12288
.LBB645_372:
	s_wait_alu 0xfffe
	s_or_b32 exec_lo, exec_lo, s0
	v_cmp_eq_u32_e32 vcc_lo, 0, v0
	s_and_b32 s0, vcc_lo, s15
	s_wait_alu 0xfffe
	s_and_saveexec_b32 s1, s0
	s_cbranch_execz .LBB645_149
.LBB645_373:
	v_add_co_u32 v0, s0, s30, v2
	s_wait_alu 0xf1ff
	v_add_co_ci_u32_e64 v3, null, s31, 0, s0
	v_mov_b32_e32 v7, 0
	s_delay_alu instid0(VALU_DEP_3) | instskip(SKIP_1) | instid1(VALU_DEP_3)
	v_add_co_u32 v2, vcc_lo, v0, v4
	s_wait_alu 0xfffd
	v_add_co_ci_u32_e64 v3, null, 0, v3, vcc_lo
	v_add_co_u32 v0, vcc_lo, v5, v1
	s_wait_alu 0xfffd
	v_add_co_ci_u32_e64 v1, null, 0, v6, vcc_lo
	global_store_b128 v7, v[0:3], s[24:25]
	s_endpgm
.LBB645_374:
	s_add_co_i32 s8, ttmp9, 32
	s_mov_b32 s9, 0
	v_dual_mov_b32 v7, 2 :: v_dual_add_nc_u32 v6, v4, v2
	s_wait_alu 0xfffe
	s_lshl_b64 s[8:9], s[8:9], 4
	v_dual_mov_b32 v8, 0 :: v_dual_add_nc_u32 v5, v3, v1
	s_wait_alu 0xfffe
	s_add_nc_u64 s[8:9], s[4:5], s[8:9]
	s_wait_alu 0xfffe
	v_dual_mov_b32 v24, s9 :: v_dual_mov_b32 v23, s8
	;;#ASMSTART
	global_store_b128 v[23:24], v[5:8] off scope:SCOPE_DEV	
s_wait_storecnt 0x0
	;;#ASMEND
	s_or_b32 exec_lo, exec_lo, s6
	s_and_saveexec_b32 s6, s2
	s_cbranch_execz .LBB645_134
.LBB645_375:
	v_mov_b32_e32 v5, 0
	ds_store_b128 v5, v[1:4] offset:13312
	s_wait_alu 0xfffe
	s_or_b32 exec_lo, exec_lo, s6
	v_cmp_eq_u32_e32 vcc_lo, 0, v0
	s_and_b32 exec_lo, exec_lo, vcc_lo
	s_cbranch_execnz .LBB645_135
	s_branch .LBB645_136
	.section	.rodata,"a",@progbits
	.p2align	6, 0x0
	.amdhsa_kernel _ZN7rocprim17ROCPRIM_400000_NS6detail17trampoline_kernelINS0_13select_configILj256ELj13ELNS0_17block_load_methodE3ELS4_3ELS4_3ELNS0_20block_scan_algorithmE0ELj4294967295EEENS1_25partition_config_selectorILNS1_17partition_subalgoE4EjNS0_10empty_typeEbEEZZNS1_14partition_implILS8_4ELb0ES6_15HIP_vector_typeIjLj2EENS0_17counting_iteratorIjlEEPS9_SG_NS0_5tupleIJPjSI_NS0_16reverse_iteratorISI_EEEEENSH_IJSG_SG_SG_EEES9_SI_JZNS1_25segmented_radix_sort_implINS0_14default_configELb1EPKlPlSQ_SR_N2at6native12_GLOBAL__N_18offset_tEEE10hipError_tPvRmT1_PNSt15iterator_traitsISZ_E10value_typeET2_T3_PNS10_IS15_E10value_typeET4_jRbjT5_S1B_jjP12ihipStream_tbEUljE_ZNSN_ISO_Lb1ESQ_SR_SQ_SR_SV_EESW_SX_SY_SZ_S13_S14_S15_S18_S19_jS1A_jS1B_S1B_jjS1D_bEUljE0_EEESW_SX_SY_S15_S19_S1B_T6_T7_T9_mT8_S1D_bDpT10_ENKUlT_T0_E_clISt17integral_constantIbLb0EES1R_EEDaS1M_S1N_EUlS1M_E_NS1_11comp_targetILNS1_3genE10ELNS1_11target_archE1200ELNS1_3gpuE4ELNS1_3repE0EEENS1_30default_config_static_selectorELNS0_4arch9wavefront6targetE0EEEvSZ_
		.amdhsa_group_segment_fixed_size 13328
		.amdhsa_private_segment_fixed_size 0
		.amdhsa_kernarg_size 176
		.amdhsa_user_sgpr_count 2
		.amdhsa_user_sgpr_dispatch_ptr 0
		.amdhsa_user_sgpr_queue_ptr 0
		.amdhsa_user_sgpr_kernarg_segment_ptr 1
		.amdhsa_user_sgpr_dispatch_id 0
		.amdhsa_user_sgpr_private_segment_size 0
		.amdhsa_wavefront_size32 1
		.amdhsa_uses_dynamic_stack 0
		.amdhsa_enable_private_segment 0
		.amdhsa_system_sgpr_workgroup_id_x 1
		.amdhsa_system_sgpr_workgroup_id_y 0
		.amdhsa_system_sgpr_workgroup_id_z 0
		.amdhsa_system_sgpr_workgroup_info 0
		.amdhsa_system_vgpr_workitem_id 0
		.amdhsa_next_free_vgpr 93
		.amdhsa_next_free_sgpr 58
		.amdhsa_reserve_vcc 1
		.amdhsa_float_round_mode_32 0
		.amdhsa_float_round_mode_16_64 0
		.amdhsa_float_denorm_mode_32 3
		.amdhsa_float_denorm_mode_16_64 3
		.amdhsa_fp16_overflow 0
		.amdhsa_workgroup_processor_mode 1
		.amdhsa_memory_ordered 1
		.amdhsa_forward_progress 1
		.amdhsa_inst_pref_size 148
		.amdhsa_round_robin_scheduling 0
		.amdhsa_exception_fp_ieee_invalid_op 0
		.amdhsa_exception_fp_denorm_src 0
		.amdhsa_exception_fp_ieee_div_zero 0
		.amdhsa_exception_fp_ieee_overflow 0
		.amdhsa_exception_fp_ieee_underflow 0
		.amdhsa_exception_fp_ieee_inexact 0
		.amdhsa_exception_int_div_zero 0
	.end_amdhsa_kernel
	.section	.text._ZN7rocprim17ROCPRIM_400000_NS6detail17trampoline_kernelINS0_13select_configILj256ELj13ELNS0_17block_load_methodE3ELS4_3ELS4_3ELNS0_20block_scan_algorithmE0ELj4294967295EEENS1_25partition_config_selectorILNS1_17partition_subalgoE4EjNS0_10empty_typeEbEEZZNS1_14partition_implILS8_4ELb0ES6_15HIP_vector_typeIjLj2EENS0_17counting_iteratorIjlEEPS9_SG_NS0_5tupleIJPjSI_NS0_16reverse_iteratorISI_EEEEENSH_IJSG_SG_SG_EEES9_SI_JZNS1_25segmented_radix_sort_implINS0_14default_configELb1EPKlPlSQ_SR_N2at6native12_GLOBAL__N_18offset_tEEE10hipError_tPvRmT1_PNSt15iterator_traitsISZ_E10value_typeET2_T3_PNS10_IS15_E10value_typeET4_jRbjT5_S1B_jjP12ihipStream_tbEUljE_ZNSN_ISO_Lb1ESQ_SR_SQ_SR_SV_EESW_SX_SY_SZ_S13_S14_S15_S18_S19_jS1A_jS1B_S1B_jjS1D_bEUljE0_EEESW_SX_SY_S15_S19_S1B_T6_T7_T9_mT8_S1D_bDpT10_ENKUlT_T0_E_clISt17integral_constantIbLb0EES1R_EEDaS1M_S1N_EUlS1M_E_NS1_11comp_targetILNS1_3genE10ELNS1_11target_archE1200ELNS1_3gpuE4ELNS1_3repE0EEENS1_30default_config_static_selectorELNS0_4arch9wavefront6targetE0EEEvSZ_,"axG",@progbits,_ZN7rocprim17ROCPRIM_400000_NS6detail17trampoline_kernelINS0_13select_configILj256ELj13ELNS0_17block_load_methodE3ELS4_3ELS4_3ELNS0_20block_scan_algorithmE0ELj4294967295EEENS1_25partition_config_selectorILNS1_17partition_subalgoE4EjNS0_10empty_typeEbEEZZNS1_14partition_implILS8_4ELb0ES6_15HIP_vector_typeIjLj2EENS0_17counting_iteratorIjlEEPS9_SG_NS0_5tupleIJPjSI_NS0_16reverse_iteratorISI_EEEEENSH_IJSG_SG_SG_EEES9_SI_JZNS1_25segmented_radix_sort_implINS0_14default_configELb1EPKlPlSQ_SR_N2at6native12_GLOBAL__N_18offset_tEEE10hipError_tPvRmT1_PNSt15iterator_traitsISZ_E10value_typeET2_T3_PNS10_IS15_E10value_typeET4_jRbjT5_S1B_jjP12ihipStream_tbEUljE_ZNSN_ISO_Lb1ESQ_SR_SQ_SR_SV_EESW_SX_SY_SZ_S13_S14_S15_S18_S19_jS1A_jS1B_S1B_jjS1D_bEUljE0_EEESW_SX_SY_S15_S19_S1B_T6_T7_T9_mT8_S1D_bDpT10_ENKUlT_T0_E_clISt17integral_constantIbLb0EES1R_EEDaS1M_S1N_EUlS1M_E_NS1_11comp_targetILNS1_3genE10ELNS1_11target_archE1200ELNS1_3gpuE4ELNS1_3repE0EEENS1_30default_config_static_selectorELNS0_4arch9wavefront6targetE0EEEvSZ_,comdat
.Lfunc_end645:
	.size	_ZN7rocprim17ROCPRIM_400000_NS6detail17trampoline_kernelINS0_13select_configILj256ELj13ELNS0_17block_load_methodE3ELS4_3ELS4_3ELNS0_20block_scan_algorithmE0ELj4294967295EEENS1_25partition_config_selectorILNS1_17partition_subalgoE4EjNS0_10empty_typeEbEEZZNS1_14partition_implILS8_4ELb0ES6_15HIP_vector_typeIjLj2EENS0_17counting_iteratorIjlEEPS9_SG_NS0_5tupleIJPjSI_NS0_16reverse_iteratorISI_EEEEENSH_IJSG_SG_SG_EEES9_SI_JZNS1_25segmented_radix_sort_implINS0_14default_configELb1EPKlPlSQ_SR_N2at6native12_GLOBAL__N_18offset_tEEE10hipError_tPvRmT1_PNSt15iterator_traitsISZ_E10value_typeET2_T3_PNS10_IS15_E10value_typeET4_jRbjT5_S1B_jjP12ihipStream_tbEUljE_ZNSN_ISO_Lb1ESQ_SR_SQ_SR_SV_EESW_SX_SY_SZ_S13_S14_S15_S18_S19_jS1A_jS1B_S1B_jjS1D_bEUljE0_EEESW_SX_SY_S15_S19_S1B_T6_T7_T9_mT8_S1D_bDpT10_ENKUlT_T0_E_clISt17integral_constantIbLb0EES1R_EEDaS1M_S1N_EUlS1M_E_NS1_11comp_targetILNS1_3genE10ELNS1_11target_archE1200ELNS1_3gpuE4ELNS1_3repE0EEENS1_30default_config_static_selectorELNS0_4arch9wavefront6targetE0EEEvSZ_, .Lfunc_end645-_ZN7rocprim17ROCPRIM_400000_NS6detail17trampoline_kernelINS0_13select_configILj256ELj13ELNS0_17block_load_methodE3ELS4_3ELS4_3ELNS0_20block_scan_algorithmE0ELj4294967295EEENS1_25partition_config_selectorILNS1_17partition_subalgoE4EjNS0_10empty_typeEbEEZZNS1_14partition_implILS8_4ELb0ES6_15HIP_vector_typeIjLj2EENS0_17counting_iteratorIjlEEPS9_SG_NS0_5tupleIJPjSI_NS0_16reverse_iteratorISI_EEEEENSH_IJSG_SG_SG_EEES9_SI_JZNS1_25segmented_radix_sort_implINS0_14default_configELb1EPKlPlSQ_SR_N2at6native12_GLOBAL__N_18offset_tEEE10hipError_tPvRmT1_PNSt15iterator_traitsISZ_E10value_typeET2_T3_PNS10_IS15_E10value_typeET4_jRbjT5_S1B_jjP12ihipStream_tbEUljE_ZNSN_ISO_Lb1ESQ_SR_SQ_SR_SV_EESW_SX_SY_SZ_S13_S14_S15_S18_S19_jS1A_jS1B_S1B_jjS1D_bEUljE0_EEESW_SX_SY_S15_S19_S1B_T6_T7_T9_mT8_S1D_bDpT10_ENKUlT_T0_E_clISt17integral_constantIbLb0EES1R_EEDaS1M_S1N_EUlS1M_E_NS1_11comp_targetILNS1_3genE10ELNS1_11target_archE1200ELNS1_3gpuE4ELNS1_3repE0EEENS1_30default_config_static_selectorELNS0_4arch9wavefront6targetE0EEEvSZ_
                                        ; -- End function
	.set _ZN7rocprim17ROCPRIM_400000_NS6detail17trampoline_kernelINS0_13select_configILj256ELj13ELNS0_17block_load_methodE3ELS4_3ELS4_3ELNS0_20block_scan_algorithmE0ELj4294967295EEENS1_25partition_config_selectorILNS1_17partition_subalgoE4EjNS0_10empty_typeEbEEZZNS1_14partition_implILS8_4ELb0ES6_15HIP_vector_typeIjLj2EENS0_17counting_iteratorIjlEEPS9_SG_NS0_5tupleIJPjSI_NS0_16reverse_iteratorISI_EEEEENSH_IJSG_SG_SG_EEES9_SI_JZNS1_25segmented_radix_sort_implINS0_14default_configELb1EPKlPlSQ_SR_N2at6native12_GLOBAL__N_18offset_tEEE10hipError_tPvRmT1_PNSt15iterator_traitsISZ_E10value_typeET2_T3_PNS10_IS15_E10value_typeET4_jRbjT5_S1B_jjP12ihipStream_tbEUljE_ZNSN_ISO_Lb1ESQ_SR_SQ_SR_SV_EESW_SX_SY_SZ_S13_S14_S15_S18_S19_jS1A_jS1B_S1B_jjS1D_bEUljE0_EEESW_SX_SY_S15_S19_S1B_T6_T7_T9_mT8_S1D_bDpT10_ENKUlT_T0_E_clISt17integral_constantIbLb0EES1R_EEDaS1M_S1N_EUlS1M_E_NS1_11comp_targetILNS1_3genE10ELNS1_11target_archE1200ELNS1_3gpuE4ELNS1_3repE0EEENS1_30default_config_static_selectorELNS0_4arch9wavefront6targetE0EEEvSZ_.num_vgpr, 93
	.set _ZN7rocprim17ROCPRIM_400000_NS6detail17trampoline_kernelINS0_13select_configILj256ELj13ELNS0_17block_load_methodE3ELS4_3ELS4_3ELNS0_20block_scan_algorithmE0ELj4294967295EEENS1_25partition_config_selectorILNS1_17partition_subalgoE4EjNS0_10empty_typeEbEEZZNS1_14partition_implILS8_4ELb0ES6_15HIP_vector_typeIjLj2EENS0_17counting_iteratorIjlEEPS9_SG_NS0_5tupleIJPjSI_NS0_16reverse_iteratorISI_EEEEENSH_IJSG_SG_SG_EEES9_SI_JZNS1_25segmented_radix_sort_implINS0_14default_configELb1EPKlPlSQ_SR_N2at6native12_GLOBAL__N_18offset_tEEE10hipError_tPvRmT1_PNSt15iterator_traitsISZ_E10value_typeET2_T3_PNS10_IS15_E10value_typeET4_jRbjT5_S1B_jjP12ihipStream_tbEUljE_ZNSN_ISO_Lb1ESQ_SR_SQ_SR_SV_EESW_SX_SY_SZ_S13_S14_S15_S18_S19_jS1A_jS1B_S1B_jjS1D_bEUljE0_EEESW_SX_SY_S15_S19_S1B_T6_T7_T9_mT8_S1D_bDpT10_ENKUlT_T0_E_clISt17integral_constantIbLb0EES1R_EEDaS1M_S1N_EUlS1M_E_NS1_11comp_targetILNS1_3genE10ELNS1_11target_archE1200ELNS1_3gpuE4ELNS1_3repE0EEENS1_30default_config_static_selectorELNS0_4arch9wavefront6targetE0EEEvSZ_.num_agpr, 0
	.set _ZN7rocprim17ROCPRIM_400000_NS6detail17trampoline_kernelINS0_13select_configILj256ELj13ELNS0_17block_load_methodE3ELS4_3ELS4_3ELNS0_20block_scan_algorithmE0ELj4294967295EEENS1_25partition_config_selectorILNS1_17partition_subalgoE4EjNS0_10empty_typeEbEEZZNS1_14partition_implILS8_4ELb0ES6_15HIP_vector_typeIjLj2EENS0_17counting_iteratorIjlEEPS9_SG_NS0_5tupleIJPjSI_NS0_16reverse_iteratorISI_EEEEENSH_IJSG_SG_SG_EEES9_SI_JZNS1_25segmented_radix_sort_implINS0_14default_configELb1EPKlPlSQ_SR_N2at6native12_GLOBAL__N_18offset_tEEE10hipError_tPvRmT1_PNSt15iterator_traitsISZ_E10value_typeET2_T3_PNS10_IS15_E10value_typeET4_jRbjT5_S1B_jjP12ihipStream_tbEUljE_ZNSN_ISO_Lb1ESQ_SR_SQ_SR_SV_EESW_SX_SY_SZ_S13_S14_S15_S18_S19_jS1A_jS1B_S1B_jjS1D_bEUljE0_EEESW_SX_SY_S15_S19_S1B_T6_T7_T9_mT8_S1D_bDpT10_ENKUlT_T0_E_clISt17integral_constantIbLb0EES1R_EEDaS1M_S1N_EUlS1M_E_NS1_11comp_targetILNS1_3genE10ELNS1_11target_archE1200ELNS1_3gpuE4ELNS1_3repE0EEENS1_30default_config_static_selectorELNS0_4arch9wavefront6targetE0EEEvSZ_.numbered_sgpr, 58
	.set _ZN7rocprim17ROCPRIM_400000_NS6detail17trampoline_kernelINS0_13select_configILj256ELj13ELNS0_17block_load_methodE3ELS4_3ELS4_3ELNS0_20block_scan_algorithmE0ELj4294967295EEENS1_25partition_config_selectorILNS1_17partition_subalgoE4EjNS0_10empty_typeEbEEZZNS1_14partition_implILS8_4ELb0ES6_15HIP_vector_typeIjLj2EENS0_17counting_iteratorIjlEEPS9_SG_NS0_5tupleIJPjSI_NS0_16reverse_iteratorISI_EEEEENSH_IJSG_SG_SG_EEES9_SI_JZNS1_25segmented_radix_sort_implINS0_14default_configELb1EPKlPlSQ_SR_N2at6native12_GLOBAL__N_18offset_tEEE10hipError_tPvRmT1_PNSt15iterator_traitsISZ_E10value_typeET2_T3_PNS10_IS15_E10value_typeET4_jRbjT5_S1B_jjP12ihipStream_tbEUljE_ZNSN_ISO_Lb1ESQ_SR_SQ_SR_SV_EESW_SX_SY_SZ_S13_S14_S15_S18_S19_jS1A_jS1B_S1B_jjS1D_bEUljE0_EEESW_SX_SY_S15_S19_S1B_T6_T7_T9_mT8_S1D_bDpT10_ENKUlT_T0_E_clISt17integral_constantIbLb0EES1R_EEDaS1M_S1N_EUlS1M_E_NS1_11comp_targetILNS1_3genE10ELNS1_11target_archE1200ELNS1_3gpuE4ELNS1_3repE0EEENS1_30default_config_static_selectorELNS0_4arch9wavefront6targetE0EEEvSZ_.num_named_barrier, 0
	.set _ZN7rocprim17ROCPRIM_400000_NS6detail17trampoline_kernelINS0_13select_configILj256ELj13ELNS0_17block_load_methodE3ELS4_3ELS4_3ELNS0_20block_scan_algorithmE0ELj4294967295EEENS1_25partition_config_selectorILNS1_17partition_subalgoE4EjNS0_10empty_typeEbEEZZNS1_14partition_implILS8_4ELb0ES6_15HIP_vector_typeIjLj2EENS0_17counting_iteratorIjlEEPS9_SG_NS0_5tupleIJPjSI_NS0_16reverse_iteratorISI_EEEEENSH_IJSG_SG_SG_EEES9_SI_JZNS1_25segmented_radix_sort_implINS0_14default_configELb1EPKlPlSQ_SR_N2at6native12_GLOBAL__N_18offset_tEEE10hipError_tPvRmT1_PNSt15iterator_traitsISZ_E10value_typeET2_T3_PNS10_IS15_E10value_typeET4_jRbjT5_S1B_jjP12ihipStream_tbEUljE_ZNSN_ISO_Lb1ESQ_SR_SQ_SR_SV_EESW_SX_SY_SZ_S13_S14_S15_S18_S19_jS1A_jS1B_S1B_jjS1D_bEUljE0_EEESW_SX_SY_S15_S19_S1B_T6_T7_T9_mT8_S1D_bDpT10_ENKUlT_T0_E_clISt17integral_constantIbLb0EES1R_EEDaS1M_S1N_EUlS1M_E_NS1_11comp_targetILNS1_3genE10ELNS1_11target_archE1200ELNS1_3gpuE4ELNS1_3repE0EEENS1_30default_config_static_selectorELNS0_4arch9wavefront6targetE0EEEvSZ_.private_seg_size, 0
	.set _ZN7rocprim17ROCPRIM_400000_NS6detail17trampoline_kernelINS0_13select_configILj256ELj13ELNS0_17block_load_methodE3ELS4_3ELS4_3ELNS0_20block_scan_algorithmE0ELj4294967295EEENS1_25partition_config_selectorILNS1_17partition_subalgoE4EjNS0_10empty_typeEbEEZZNS1_14partition_implILS8_4ELb0ES6_15HIP_vector_typeIjLj2EENS0_17counting_iteratorIjlEEPS9_SG_NS0_5tupleIJPjSI_NS0_16reverse_iteratorISI_EEEEENSH_IJSG_SG_SG_EEES9_SI_JZNS1_25segmented_radix_sort_implINS0_14default_configELb1EPKlPlSQ_SR_N2at6native12_GLOBAL__N_18offset_tEEE10hipError_tPvRmT1_PNSt15iterator_traitsISZ_E10value_typeET2_T3_PNS10_IS15_E10value_typeET4_jRbjT5_S1B_jjP12ihipStream_tbEUljE_ZNSN_ISO_Lb1ESQ_SR_SQ_SR_SV_EESW_SX_SY_SZ_S13_S14_S15_S18_S19_jS1A_jS1B_S1B_jjS1D_bEUljE0_EEESW_SX_SY_S15_S19_S1B_T6_T7_T9_mT8_S1D_bDpT10_ENKUlT_T0_E_clISt17integral_constantIbLb0EES1R_EEDaS1M_S1N_EUlS1M_E_NS1_11comp_targetILNS1_3genE10ELNS1_11target_archE1200ELNS1_3gpuE4ELNS1_3repE0EEENS1_30default_config_static_selectorELNS0_4arch9wavefront6targetE0EEEvSZ_.uses_vcc, 1
	.set _ZN7rocprim17ROCPRIM_400000_NS6detail17trampoline_kernelINS0_13select_configILj256ELj13ELNS0_17block_load_methodE3ELS4_3ELS4_3ELNS0_20block_scan_algorithmE0ELj4294967295EEENS1_25partition_config_selectorILNS1_17partition_subalgoE4EjNS0_10empty_typeEbEEZZNS1_14partition_implILS8_4ELb0ES6_15HIP_vector_typeIjLj2EENS0_17counting_iteratorIjlEEPS9_SG_NS0_5tupleIJPjSI_NS0_16reverse_iteratorISI_EEEEENSH_IJSG_SG_SG_EEES9_SI_JZNS1_25segmented_radix_sort_implINS0_14default_configELb1EPKlPlSQ_SR_N2at6native12_GLOBAL__N_18offset_tEEE10hipError_tPvRmT1_PNSt15iterator_traitsISZ_E10value_typeET2_T3_PNS10_IS15_E10value_typeET4_jRbjT5_S1B_jjP12ihipStream_tbEUljE_ZNSN_ISO_Lb1ESQ_SR_SQ_SR_SV_EESW_SX_SY_SZ_S13_S14_S15_S18_S19_jS1A_jS1B_S1B_jjS1D_bEUljE0_EEESW_SX_SY_S15_S19_S1B_T6_T7_T9_mT8_S1D_bDpT10_ENKUlT_T0_E_clISt17integral_constantIbLb0EES1R_EEDaS1M_S1N_EUlS1M_E_NS1_11comp_targetILNS1_3genE10ELNS1_11target_archE1200ELNS1_3gpuE4ELNS1_3repE0EEENS1_30default_config_static_selectorELNS0_4arch9wavefront6targetE0EEEvSZ_.uses_flat_scratch, 0
	.set _ZN7rocprim17ROCPRIM_400000_NS6detail17trampoline_kernelINS0_13select_configILj256ELj13ELNS0_17block_load_methodE3ELS4_3ELS4_3ELNS0_20block_scan_algorithmE0ELj4294967295EEENS1_25partition_config_selectorILNS1_17partition_subalgoE4EjNS0_10empty_typeEbEEZZNS1_14partition_implILS8_4ELb0ES6_15HIP_vector_typeIjLj2EENS0_17counting_iteratorIjlEEPS9_SG_NS0_5tupleIJPjSI_NS0_16reverse_iteratorISI_EEEEENSH_IJSG_SG_SG_EEES9_SI_JZNS1_25segmented_radix_sort_implINS0_14default_configELb1EPKlPlSQ_SR_N2at6native12_GLOBAL__N_18offset_tEEE10hipError_tPvRmT1_PNSt15iterator_traitsISZ_E10value_typeET2_T3_PNS10_IS15_E10value_typeET4_jRbjT5_S1B_jjP12ihipStream_tbEUljE_ZNSN_ISO_Lb1ESQ_SR_SQ_SR_SV_EESW_SX_SY_SZ_S13_S14_S15_S18_S19_jS1A_jS1B_S1B_jjS1D_bEUljE0_EEESW_SX_SY_S15_S19_S1B_T6_T7_T9_mT8_S1D_bDpT10_ENKUlT_T0_E_clISt17integral_constantIbLb0EES1R_EEDaS1M_S1N_EUlS1M_E_NS1_11comp_targetILNS1_3genE10ELNS1_11target_archE1200ELNS1_3gpuE4ELNS1_3repE0EEENS1_30default_config_static_selectorELNS0_4arch9wavefront6targetE0EEEvSZ_.has_dyn_sized_stack, 0
	.set _ZN7rocprim17ROCPRIM_400000_NS6detail17trampoline_kernelINS0_13select_configILj256ELj13ELNS0_17block_load_methodE3ELS4_3ELS4_3ELNS0_20block_scan_algorithmE0ELj4294967295EEENS1_25partition_config_selectorILNS1_17partition_subalgoE4EjNS0_10empty_typeEbEEZZNS1_14partition_implILS8_4ELb0ES6_15HIP_vector_typeIjLj2EENS0_17counting_iteratorIjlEEPS9_SG_NS0_5tupleIJPjSI_NS0_16reverse_iteratorISI_EEEEENSH_IJSG_SG_SG_EEES9_SI_JZNS1_25segmented_radix_sort_implINS0_14default_configELb1EPKlPlSQ_SR_N2at6native12_GLOBAL__N_18offset_tEEE10hipError_tPvRmT1_PNSt15iterator_traitsISZ_E10value_typeET2_T3_PNS10_IS15_E10value_typeET4_jRbjT5_S1B_jjP12ihipStream_tbEUljE_ZNSN_ISO_Lb1ESQ_SR_SQ_SR_SV_EESW_SX_SY_SZ_S13_S14_S15_S18_S19_jS1A_jS1B_S1B_jjS1D_bEUljE0_EEESW_SX_SY_S15_S19_S1B_T6_T7_T9_mT8_S1D_bDpT10_ENKUlT_T0_E_clISt17integral_constantIbLb0EES1R_EEDaS1M_S1N_EUlS1M_E_NS1_11comp_targetILNS1_3genE10ELNS1_11target_archE1200ELNS1_3gpuE4ELNS1_3repE0EEENS1_30default_config_static_selectorELNS0_4arch9wavefront6targetE0EEEvSZ_.has_recursion, 0
	.set _ZN7rocprim17ROCPRIM_400000_NS6detail17trampoline_kernelINS0_13select_configILj256ELj13ELNS0_17block_load_methodE3ELS4_3ELS4_3ELNS0_20block_scan_algorithmE0ELj4294967295EEENS1_25partition_config_selectorILNS1_17partition_subalgoE4EjNS0_10empty_typeEbEEZZNS1_14partition_implILS8_4ELb0ES6_15HIP_vector_typeIjLj2EENS0_17counting_iteratorIjlEEPS9_SG_NS0_5tupleIJPjSI_NS0_16reverse_iteratorISI_EEEEENSH_IJSG_SG_SG_EEES9_SI_JZNS1_25segmented_radix_sort_implINS0_14default_configELb1EPKlPlSQ_SR_N2at6native12_GLOBAL__N_18offset_tEEE10hipError_tPvRmT1_PNSt15iterator_traitsISZ_E10value_typeET2_T3_PNS10_IS15_E10value_typeET4_jRbjT5_S1B_jjP12ihipStream_tbEUljE_ZNSN_ISO_Lb1ESQ_SR_SQ_SR_SV_EESW_SX_SY_SZ_S13_S14_S15_S18_S19_jS1A_jS1B_S1B_jjS1D_bEUljE0_EEESW_SX_SY_S15_S19_S1B_T6_T7_T9_mT8_S1D_bDpT10_ENKUlT_T0_E_clISt17integral_constantIbLb0EES1R_EEDaS1M_S1N_EUlS1M_E_NS1_11comp_targetILNS1_3genE10ELNS1_11target_archE1200ELNS1_3gpuE4ELNS1_3repE0EEENS1_30default_config_static_selectorELNS0_4arch9wavefront6targetE0EEEvSZ_.has_indirect_call, 0
	.section	.AMDGPU.csdata,"",@progbits
; Kernel info:
; codeLenInByte = 18900
; TotalNumSgprs: 60
; NumVgprs: 93
; ScratchSize: 0
; MemoryBound: 0
; FloatMode: 240
; IeeeMode: 1
; LDSByteSize: 13328 bytes/workgroup (compile time only)
; SGPRBlocks: 0
; VGPRBlocks: 11
; NumSGPRsForWavesPerEU: 60
; NumVGPRsForWavesPerEU: 93
; Occupancy: 16
; WaveLimiterHint : 1
; COMPUTE_PGM_RSRC2:SCRATCH_EN: 0
; COMPUTE_PGM_RSRC2:USER_SGPR: 2
; COMPUTE_PGM_RSRC2:TRAP_HANDLER: 0
; COMPUTE_PGM_RSRC2:TGID_X_EN: 1
; COMPUTE_PGM_RSRC2:TGID_Y_EN: 0
; COMPUTE_PGM_RSRC2:TGID_Z_EN: 0
; COMPUTE_PGM_RSRC2:TIDIG_COMP_CNT: 0
	.section	.text._ZN7rocprim17ROCPRIM_400000_NS6detail17trampoline_kernelINS0_13select_configILj256ELj13ELNS0_17block_load_methodE3ELS4_3ELS4_3ELNS0_20block_scan_algorithmE0ELj4294967295EEENS1_25partition_config_selectorILNS1_17partition_subalgoE4EjNS0_10empty_typeEbEEZZNS1_14partition_implILS8_4ELb0ES6_15HIP_vector_typeIjLj2EENS0_17counting_iteratorIjlEEPS9_SG_NS0_5tupleIJPjSI_NS0_16reverse_iteratorISI_EEEEENSH_IJSG_SG_SG_EEES9_SI_JZNS1_25segmented_radix_sort_implINS0_14default_configELb1EPKlPlSQ_SR_N2at6native12_GLOBAL__N_18offset_tEEE10hipError_tPvRmT1_PNSt15iterator_traitsISZ_E10value_typeET2_T3_PNS10_IS15_E10value_typeET4_jRbjT5_S1B_jjP12ihipStream_tbEUljE_ZNSN_ISO_Lb1ESQ_SR_SQ_SR_SV_EESW_SX_SY_SZ_S13_S14_S15_S18_S19_jS1A_jS1B_S1B_jjS1D_bEUljE0_EEESW_SX_SY_S15_S19_S1B_T6_T7_T9_mT8_S1D_bDpT10_ENKUlT_T0_E_clISt17integral_constantIbLb0EES1R_EEDaS1M_S1N_EUlS1M_E_NS1_11comp_targetILNS1_3genE9ELNS1_11target_archE1100ELNS1_3gpuE3ELNS1_3repE0EEENS1_30default_config_static_selectorELNS0_4arch9wavefront6targetE0EEEvSZ_,"axG",@progbits,_ZN7rocprim17ROCPRIM_400000_NS6detail17trampoline_kernelINS0_13select_configILj256ELj13ELNS0_17block_load_methodE3ELS4_3ELS4_3ELNS0_20block_scan_algorithmE0ELj4294967295EEENS1_25partition_config_selectorILNS1_17partition_subalgoE4EjNS0_10empty_typeEbEEZZNS1_14partition_implILS8_4ELb0ES6_15HIP_vector_typeIjLj2EENS0_17counting_iteratorIjlEEPS9_SG_NS0_5tupleIJPjSI_NS0_16reverse_iteratorISI_EEEEENSH_IJSG_SG_SG_EEES9_SI_JZNS1_25segmented_radix_sort_implINS0_14default_configELb1EPKlPlSQ_SR_N2at6native12_GLOBAL__N_18offset_tEEE10hipError_tPvRmT1_PNSt15iterator_traitsISZ_E10value_typeET2_T3_PNS10_IS15_E10value_typeET4_jRbjT5_S1B_jjP12ihipStream_tbEUljE_ZNSN_ISO_Lb1ESQ_SR_SQ_SR_SV_EESW_SX_SY_SZ_S13_S14_S15_S18_S19_jS1A_jS1B_S1B_jjS1D_bEUljE0_EEESW_SX_SY_S15_S19_S1B_T6_T7_T9_mT8_S1D_bDpT10_ENKUlT_T0_E_clISt17integral_constantIbLb0EES1R_EEDaS1M_S1N_EUlS1M_E_NS1_11comp_targetILNS1_3genE9ELNS1_11target_archE1100ELNS1_3gpuE3ELNS1_3repE0EEENS1_30default_config_static_selectorELNS0_4arch9wavefront6targetE0EEEvSZ_,comdat
	.globl	_ZN7rocprim17ROCPRIM_400000_NS6detail17trampoline_kernelINS0_13select_configILj256ELj13ELNS0_17block_load_methodE3ELS4_3ELS4_3ELNS0_20block_scan_algorithmE0ELj4294967295EEENS1_25partition_config_selectorILNS1_17partition_subalgoE4EjNS0_10empty_typeEbEEZZNS1_14partition_implILS8_4ELb0ES6_15HIP_vector_typeIjLj2EENS0_17counting_iteratorIjlEEPS9_SG_NS0_5tupleIJPjSI_NS0_16reverse_iteratorISI_EEEEENSH_IJSG_SG_SG_EEES9_SI_JZNS1_25segmented_radix_sort_implINS0_14default_configELb1EPKlPlSQ_SR_N2at6native12_GLOBAL__N_18offset_tEEE10hipError_tPvRmT1_PNSt15iterator_traitsISZ_E10value_typeET2_T3_PNS10_IS15_E10value_typeET4_jRbjT5_S1B_jjP12ihipStream_tbEUljE_ZNSN_ISO_Lb1ESQ_SR_SQ_SR_SV_EESW_SX_SY_SZ_S13_S14_S15_S18_S19_jS1A_jS1B_S1B_jjS1D_bEUljE0_EEESW_SX_SY_S15_S19_S1B_T6_T7_T9_mT8_S1D_bDpT10_ENKUlT_T0_E_clISt17integral_constantIbLb0EES1R_EEDaS1M_S1N_EUlS1M_E_NS1_11comp_targetILNS1_3genE9ELNS1_11target_archE1100ELNS1_3gpuE3ELNS1_3repE0EEENS1_30default_config_static_selectorELNS0_4arch9wavefront6targetE0EEEvSZ_ ; -- Begin function _ZN7rocprim17ROCPRIM_400000_NS6detail17trampoline_kernelINS0_13select_configILj256ELj13ELNS0_17block_load_methodE3ELS4_3ELS4_3ELNS0_20block_scan_algorithmE0ELj4294967295EEENS1_25partition_config_selectorILNS1_17partition_subalgoE4EjNS0_10empty_typeEbEEZZNS1_14partition_implILS8_4ELb0ES6_15HIP_vector_typeIjLj2EENS0_17counting_iteratorIjlEEPS9_SG_NS0_5tupleIJPjSI_NS0_16reverse_iteratorISI_EEEEENSH_IJSG_SG_SG_EEES9_SI_JZNS1_25segmented_radix_sort_implINS0_14default_configELb1EPKlPlSQ_SR_N2at6native12_GLOBAL__N_18offset_tEEE10hipError_tPvRmT1_PNSt15iterator_traitsISZ_E10value_typeET2_T3_PNS10_IS15_E10value_typeET4_jRbjT5_S1B_jjP12ihipStream_tbEUljE_ZNSN_ISO_Lb1ESQ_SR_SQ_SR_SV_EESW_SX_SY_SZ_S13_S14_S15_S18_S19_jS1A_jS1B_S1B_jjS1D_bEUljE0_EEESW_SX_SY_S15_S19_S1B_T6_T7_T9_mT8_S1D_bDpT10_ENKUlT_T0_E_clISt17integral_constantIbLb0EES1R_EEDaS1M_S1N_EUlS1M_E_NS1_11comp_targetILNS1_3genE9ELNS1_11target_archE1100ELNS1_3gpuE3ELNS1_3repE0EEENS1_30default_config_static_selectorELNS0_4arch9wavefront6targetE0EEEvSZ_
	.p2align	8
	.type	_ZN7rocprim17ROCPRIM_400000_NS6detail17trampoline_kernelINS0_13select_configILj256ELj13ELNS0_17block_load_methodE3ELS4_3ELS4_3ELNS0_20block_scan_algorithmE0ELj4294967295EEENS1_25partition_config_selectorILNS1_17partition_subalgoE4EjNS0_10empty_typeEbEEZZNS1_14partition_implILS8_4ELb0ES6_15HIP_vector_typeIjLj2EENS0_17counting_iteratorIjlEEPS9_SG_NS0_5tupleIJPjSI_NS0_16reverse_iteratorISI_EEEEENSH_IJSG_SG_SG_EEES9_SI_JZNS1_25segmented_radix_sort_implINS0_14default_configELb1EPKlPlSQ_SR_N2at6native12_GLOBAL__N_18offset_tEEE10hipError_tPvRmT1_PNSt15iterator_traitsISZ_E10value_typeET2_T3_PNS10_IS15_E10value_typeET4_jRbjT5_S1B_jjP12ihipStream_tbEUljE_ZNSN_ISO_Lb1ESQ_SR_SQ_SR_SV_EESW_SX_SY_SZ_S13_S14_S15_S18_S19_jS1A_jS1B_S1B_jjS1D_bEUljE0_EEESW_SX_SY_S15_S19_S1B_T6_T7_T9_mT8_S1D_bDpT10_ENKUlT_T0_E_clISt17integral_constantIbLb0EES1R_EEDaS1M_S1N_EUlS1M_E_NS1_11comp_targetILNS1_3genE9ELNS1_11target_archE1100ELNS1_3gpuE3ELNS1_3repE0EEENS1_30default_config_static_selectorELNS0_4arch9wavefront6targetE0EEEvSZ_,@function
_ZN7rocprim17ROCPRIM_400000_NS6detail17trampoline_kernelINS0_13select_configILj256ELj13ELNS0_17block_load_methodE3ELS4_3ELS4_3ELNS0_20block_scan_algorithmE0ELj4294967295EEENS1_25partition_config_selectorILNS1_17partition_subalgoE4EjNS0_10empty_typeEbEEZZNS1_14partition_implILS8_4ELb0ES6_15HIP_vector_typeIjLj2EENS0_17counting_iteratorIjlEEPS9_SG_NS0_5tupleIJPjSI_NS0_16reverse_iteratorISI_EEEEENSH_IJSG_SG_SG_EEES9_SI_JZNS1_25segmented_radix_sort_implINS0_14default_configELb1EPKlPlSQ_SR_N2at6native12_GLOBAL__N_18offset_tEEE10hipError_tPvRmT1_PNSt15iterator_traitsISZ_E10value_typeET2_T3_PNS10_IS15_E10value_typeET4_jRbjT5_S1B_jjP12ihipStream_tbEUljE_ZNSN_ISO_Lb1ESQ_SR_SQ_SR_SV_EESW_SX_SY_SZ_S13_S14_S15_S18_S19_jS1A_jS1B_S1B_jjS1D_bEUljE0_EEESW_SX_SY_S15_S19_S1B_T6_T7_T9_mT8_S1D_bDpT10_ENKUlT_T0_E_clISt17integral_constantIbLb0EES1R_EEDaS1M_S1N_EUlS1M_E_NS1_11comp_targetILNS1_3genE9ELNS1_11target_archE1100ELNS1_3gpuE3ELNS1_3repE0EEENS1_30default_config_static_selectorELNS0_4arch9wavefront6targetE0EEEvSZ_: ; @_ZN7rocprim17ROCPRIM_400000_NS6detail17trampoline_kernelINS0_13select_configILj256ELj13ELNS0_17block_load_methodE3ELS4_3ELS4_3ELNS0_20block_scan_algorithmE0ELj4294967295EEENS1_25partition_config_selectorILNS1_17partition_subalgoE4EjNS0_10empty_typeEbEEZZNS1_14partition_implILS8_4ELb0ES6_15HIP_vector_typeIjLj2EENS0_17counting_iteratorIjlEEPS9_SG_NS0_5tupleIJPjSI_NS0_16reverse_iteratorISI_EEEEENSH_IJSG_SG_SG_EEES9_SI_JZNS1_25segmented_radix_sort_implINS0_14default_configELb1EPKlPlSQ_SR_N2at6native12_GLOBAL__N_18offset_tEEE10hipError_tPvRmT1_PNSt15iterator_traitsISZ_E10value_typeET2_T3_PNS10_IS15_E10value_typeET4_jRbjT5_S1B_jjP12ihipStream_tbEUljE_ZNSN_ISO_Lb1ESQ_SR_SQ_SR_SV_EESW_SX_SY_SZ_S13_S14_S15_S18_S19_jS1A_jS1B_S1B_jjS1D_bEUljE0_EEESW_SX_SY_S15_S19_S1B_T6_T7_T9_mT8_S1D_bDpT10_ENKUlT_T0_E_clISt17integral_constantIbLb0EES1R_EEDaS1M_S1N_EUlS1M_E_NS1_11comp_targetILNS1_3genE9ELNS1_11target_archE1100ELNS1_3gpuE3ELNS1_3repE0EEENS1_30default_config_static_selectorELNS0_4arch9wavefront6targetE0EEEvSZ_
; %bb.0:
	.section	.rodata,"a",@progbits
	.p2align	6, 0x0
	.amdhsa_kernel _ZN7rocprim17ROCPRIM_400000_NS6detail17trampoline_kernelINS0_13select_configILj256ELj13ELNS0_17block_load_methodE3ELS4_3ELS4_3ELNS0_20block_scan_algorithmE0ELj4294967295EEENS1_25partition_config_selectorILNS1_17partition_subalgoE4EjNS0_10empty_typeEbEEZZNS1_14partition_implILS8_4ELb0ES6_15HIP_vector_typeIjLj2EENS0_17counting_iteratorIjlEEPS9_SG_NS0_5tupleIJPjSI_NS0_16reverse_iteratorISI_EEEEENSH_IJSG_SG_SG_EEES9_SI_JZNS1_25segmented_radix_sort_implINS0_14default_configELb1EPKlPlSQ_SR_N2at6native12_GLOBAL__N_18offset_tEEE10hipError_tPvRmT1_PNSt15iterator_traitsISZ_E10value_typeET2_T3_PNS10_IS15_E10value_typeET4_jRbjT5_S1B_jjP12ihipStream_tbEUljE_ZNSN_ISO_Lb1ESQ_SR_SQ_SR_SV_EESW_SX_SY_SZ_S13_S14_S15_S18_S19_jS1A_jS1B_S1B_jjS1D_bEUljE0_EEESW_SX_SY_S15_S19_S1B_T6_T7_T9_mT8_S1D_bDpT10_ENKUlT_T0_E_clISt17integral_constantIbLb0EES1R_EEDaS1M_S1N_EUlS1M_E_NS1_11comp_targetILNS1_3genE9ELNS1_11target_archE1100ELNS1_3gpuE3ELNS1_3repE0EEENS1_30default_config_static_selectorELNS0_4arch9wavefront6targetE0EEEvSZ_
		.amdhsa_group_segment_fixed_size 0
		.amdhsa_private_segment_fixed_size 0
		.amdhsa_kernarg_size 176
		.amdhsa_user_sgpr_count 2
		.amdhsa_user_sgpr_dispatch_ptr 0
		.amdhsa_user_sgpr_queue_ptr 0
		.amdhsa_user_sgpr_kernarg_segment_ptr 1
		.amdhsa_user_sgpr_dispatch_id 0
		.amdhsa_user_sgpr_private_segment_size 0
		.amdhsa_wavefront_size32 1
		.amdhsa_uses_dynamic_stack 0
		.amdhsa_enable_private_segment 0
		.amdhsa_system_sgpr_workgroup_id_x 1
		.amdhsa_system_sgpr_workgroup_id_y 0
		.amdhsa_system_sgpr_workgroup_id_z 0
		.amdhsa_system_sgpr_workgroup_info 0
		.amdhsa_system_vgpr_workitem_id 0
		.amdhsa_next_free_vgpr 1
		.amdhsa_next_free_sgpr 1
		.amdhsa_reserve_vcc 0
		.amdhsa_float_round_mode_32 0
		.amdhsa_float_round_mode_16_64 0
		.amdhsa_float_denorm_mode_32 3
		.amdhsa_float_denorm_mode_16_64 3
		.amdhsa_fp16_overflow 0
		.amdhsa_workgroup_processor_mode 1
		.amdhsa_memory_ordered 1
		.amdhsa_forward_progress 1
		.amdhsa_inst_pref_size 0
		.amdhsa_round_robin_scheduling 0
		.amdhsa_exception_fp_ieee_invalid_op 0
		.amdhsa_exception_fp_denorm_src 0
		.amdhsa_exception_fp_ieee_div_zero 0
		.amdhsa_exception_fp_ieee_overflow 0
		.amdhsa_exception_fp_ieee_underflow 0
		.amdhsa_exception_fp_ieee_inexact 0
		.amdhsa_exception_int_div_zero 0
	.end_amdhsa_kernel
	.section	.text._ZN7rocprim17ROCPRIM_400000_NS6detail17trampoline_kernelINS0_13select_configILj256ELj13ELNS0_17block_load_methodE3ELS4_3ELS4_3ELNS0_20block_scan_algorithmE0ELj4294967295EEENS1_25partition_config_selectorILNS1_17partition_subalgoE4EjNS0_10empty_typeEbEEZZNS1_14partition_implILS8_4ELb0ES6_15HIP_vector_typeIjLj2EENS0_17counting_iteratorIjlEEPS9_SG_NS0_5tupleIJPjSI_NS0_16reverse_iteratorISI_EEEEENSH_IJSG_SG_SG_EEES9_SI_JZNS1_25segmented_radix_sort_implINS0_14default_configELb1EPKlPlSQ_SR_N2at6native12_GLOBAL__N_18offset_tEEE10hipError_tPvRmT1_PNSt15iterator_traitsISZ_E10value_typeET2_T3_PNS10_IS15_E10value_typeET4_jRbjT5_S1B_jjP12ihipStream_tbEUljE_ZNSN_ISO_Lb1ESQ_SR_SQ_SR_SV_EESW_SX_SY_SZ_S13_S14_S15_S18_S19_jS1A_jS1B_S1B_jjS1D_bEUljE0_EEESW_SX_SY_S15_S19_S1B_T6_T7_T9_mT8_S1D_bDpT10_ENKUlT_T0_E_clISt17integral_constantIbLb0EES1R_EEDaS1M_S1N_EUlS1M_E_NS1_11comp_targetILNS1_3genE9ELNS1_11target_archE1100ELNS1_3gpuE3ELNS1_3repE0EEENS1_30default_config_static_selectorELNS0_4arch9wavefront6targetE0EEEvSZ_,"axG",@progbits,_ZN7rocprim17ROCPRIM_400000_NS6detail17trampoline_kernelINS0_13select_configILj256ELj13ELNS0_17block_load_methodE3ELS4_3ELS4_3ELNS0_20block_scan_algorithmE0ELj4294967295EEENS1_25partition_config_selectorILNS1_17partition_subalgoE4EjNS0_10empty_typeEbEEZZNS1_14partition_implILS8_4ELb0ES6_15HIP_vector_typeIjLj2EENS0_17counting_iteratorIjlEEPS9_SG_NS0_5tupleIJPjSI_NS0_16reverse_iteratorISI_EEEEENSH_IJSG_SG_SG_EEES9_SI_JZNS1_25segmented_radix_sort_implINS0_14default_configELb1EPKlPlSQ_SR_N2at6native12_GLOBAL__N_18offset_tEEE10hipError_tPvRmT1_PNSt15iterator_traitsISZ_E10value_typeET2_T3_PNS10_IS15_E10value_typeET4_jRbjT5_S1B_jjP12ihipStream_tbEUljE_ZNSN_ISO_Lb1ESQ_SR_SQ_SR_SV_EESW_SX_SY_SZ_S13_S14_S15_S18_S19_jS1A_jS1B_S1B_jjS1D_bEUljE0_EEESW_SX_SY_S15_S19_S1B_T6_T7_T9_mT8_S1D_bDpT10_ENKUlT_T0_E_clISt17integral_constantIbLb0EES1R_EEDaS1M_S1N_EUlS1M_E_NS1_11comp_targetILNS1_3genE9ELNS1_11target_archE1100ELNS1_3gpuE3ELNS1_3repE0EEENS1_30default_config_static_selectorELNS0_4arch9wavefront6targetE0EEEvSZ_,comdat
.Lfunc_end646:
	.size	_ZN7rocprim17ROCPRIM_400000_NS6detail17trampoline_kernelINS0_13select_configILj256ELj13ELNS0_17block_load_methodE3ELS4_3ELS4_3ELNS0_20block_scan_algorithmE0ELj4294967295EEENS1_25partition_config_selectorILNS1_17partition_subalgoE4EjNS0_10empty_typeEbEEZZNS1_14partition_implILS8_4ELb0ES6_15HIP_vector_typeIjLj2EENS0_17counting_iteratorIjlEEPS9_SG_NS0_5tupleIJPjSI_NS0_16reverse_iteratorISI_EEEEENSH_IJSG_SG_SG_EEES9_SI_JZNS1_25segmented_radix_sort_implINS0_14default_configELb1EPKlPlSQ_SR_N2at6native12_GLOBAL__N_18offset_tEEE10hipError_tPvRmT1_PNSt15iterator_traitsISZ_E10value_typeET2_T3_PNS10_IS15_E10value_typeET4_jRbjT5_S1B_jjP12ihipStream_tbEUljE_ZNSN_ISO_Lb1ESQ_SR_SQ_SR_SV_EESW_SX_SY_SZ_S13_S14_S15_S18_S19_jS1A_jS1B_S1B_jjS1D_bEUljE0_EEESW_SX_SY_S15_S19_S1B_T6_T7_T9_mT8_S1D_bDpT10_ENKUlT_T0_E_clISt17integral_constantIbLb0EES1R_EEDaS1M_S1N_EUlS1M_E_NS1_11comp_targetILNS1_3genE9ELNS1_11target_archE1100ELNS1_3gpuE3ELNS1_3repE0EEENS1_30default_config_static_selectorELNS0_4arch9wavefront6targetE0EEEvSZ_, .Lfunc_end646-_ZN7rocprim17ROCPRIM_400000_NS6detail17trampoline_kernelINS0_13select_configILj256ELj13ELNS0_17block_load_methodE3ELS4_3ELS4_3ELNS0_20block_scan_algorithmE0ELj4294967295EEENS1_25partition_config_selectorILNS1_17partition_subalgoE4EjNS0_10empty_typeEbEEZZNS1_14partition_implILS8_4ELb0ES6_15HIP_vector_typeIjLj2EENS0_17counting_iteratorIjlEEPS9_SG_NS0_5tupleIJPjSI_NS0_16reverse_iteratorISI_EEEEENSH_IJSG_SG_SG_EEES9_SI_JZNS1_25segmented_radix_sort_implINS0_14default_configELb1EPKlPlSQ_SR_N2at6native12_GLOBAL__N_18offset_tEEE10hipError_tPvRmT1_PNSt15iterator_traitsISZ_E10value_typeET2_T3_PNS10_IS15_E10value_typeET4_jRbjT5_S1B_jjP12ihipStream_tbEUljE_ZNSN_ISO_Lb1ESQ_SR_SQ_SR_SV_EESW_SX_SY_SZ_S13_S14_S15_S18_S19_jS1A_jS1B_S1B_jjS1D_bEUljE0_EEESW_SX_SY_S15_S19_S1B_T6_T7_T9_mT8_S1D_bDpT10_ENKUlT_T0_E_clISt17integral_constantIbLb0EES1R_EEDaS1M_S1N_EUlS1M_E_NS1_11comp_targetILNS1_3genE9ELNS1_11target_archE1100ELNS1_3gpuE3ELNS1_3repE0EEENS1_30default_config_static_selectorELNS0_4arch9wavefront6targetE0EEEvSZ_
                                        ; -- End function
	.set _ZN7rocprim17ROCPRIM_400000_NS6detail17trampoline_kernelINS0_13select_configILj256ELj13ELNS0_17block_load_methodE3ELS4_3ELS4_3ELNS0_20block_scan_algorithmE0ELj4294967295EEENS1_25partition_config_selectorILNS1_17partition_subalgoE4EjNS0_10empty_typeEbEEZZNS1_14partition_implILS8_4ELb0ES6_15HIP_vector_typeIjLj2EENS0_17counting_iteratorIjlEEPS9_SG_NS0_5tupleIJPjSI_NS0_16reverse_iteratorISI_EEEEENSH_IJSG_SG_SG_EEES9_SI_JZNS1_25segmented_radix_sort_implINS0_14default_configELb1EPKlPlSQ_SR_N2at6native12_GLOBAL__N_18offset_tEEE10hipError_tPvRmT1_PNSt15iterator_traitsISZ_E10value_typeET2_T3_PNS10_IS15_E10value_typeET4_jRbjT5_S1B_jjP12ihipStream_tbEUljE_ZNSN_ISO_Lb1ESQ_SR_SQ_SR_SV_EESW_SX_SY_SZ_S13_S14_S15_S18_S19_jS1A_jS1B_S1B_jjS1D_bEUljE0_EEESW_SX_SY_S15_S19_S1B_T6_T7_T9_mT8_S1D_bDpT10_ENKUlT_T0_E_clISt17integral_constantIbLb0EES1R_EEDaS1M_S1N_EUlS1M_E_NS1_11comp_targetILNS1_3genE9ELNS1_11target_archE1100ELNS1_3gpuE3ELNS1_3repE0EEENS1_30default_config_static_selectorELNS0_4arch9wavefront6targetE0EEEvSZ_.num_vgpr, 0
	.set _ZN7rocprim17ROCPRIM_400000_NS6detail17trampoline_kernelINS0_13select_configILj256ELj13ELNS0_17block_load_methodE3ELS4_3ELS4_3ELNS0_20block_scan_algorithmE0ELj4294967295EEENS1_25partition_config_selectorILNS1_17partition_subalgoE4EjNS0_10empty_typeEbEEZZNS1_14partition_implILS8_4ELb0ES6_15HIP_vector_typeIjLj2EENS0_17counting_iteratorIjlEEPS9_SG_NS0_5tupleIJPjSI_NS0_16reverse_iteratorISI_EEEEENSH_IJSG_SG_SG_EEES9_SI_JZNS1_25segmented_radix_sort_implINS0_14default_configELb1EPKlPlSQ_SR_N2at6native12_GLOBAL__N_18offset_tEEE10hipError_tPvRmT1_PNSt15iterator_traitsISZ_E10value_typeET2_T3_PNS10_IS15_E10value_typeET4_jRbjT5_S1B_jjP12ihipStream_tbEUljE_ZNSN_ISO_Lb1ESQ_SR_SQ_SR_SV_EESW_SX_SY_SZ_S13_S14_S15_S18_S19_jS1A_jS1B_S1B_jjS1D_bEUljE0_EEESW_SX_SY_S15_S19_S1B_T6_T7_T9_mT8_S1D_bDpT10_ENKUlT_T0_E_clISt17integral_constantIbLb0EES1R_EEDaS1M_S1N_EUlS1M_E_NS1_11comp_targetILNS1_3genE9ELNS1_11target_archE1100ELNS1_3gpuE3ELNS1_3repE0EEENS1_30default_config_static_selectorELNS0_4arch9wavefront6targetE0EEEvSZ_.num_agpr, 0
	.set _ZN7rocprim17ROCPRIM_400000_NS6detail17trampoline_kernelINS0_13select_configILj256ELj13ELNS0_17block_load_methodE3ELS4_3ELS4_3ELNS0_20block_scan_algorithmE0ELj4294967295EEENS1_25partition_config_selectorILNS1_17partition_subalgoE4EjNS0_10empty_typeEbEEZZNS1_14partition_implILS8_4ELb0ES6_15HIP_vector_typeIjLj2EENS0_17counting_iteratorIjlEEPS9_SG_NS0_5tupleIJPjSI_NS0_16reverse_iteratorISI_EEEEENSH_IJSG_SG_SG_EEES9_SI_JZNS1_25segmented_radix_sort_implINS0_14default_configELb1EPKlPlSQ_SR_N2at6native12_GLOBAL__N_18offset_tEEE10hipError_tPvRmT1_PNSt15iterator_traitsISZ_E10value_typeET2_T3_PNS10_IS15_E10value_typeET4_jRbjT5_S1B_jjP12ihipStream_tbEUljE_ZNSN_ISO_Lb1ESQ_SR_SQ_SR_SV_EESW_SX_SY_SZ_S13_S14_S15_S18_S19_jS1A_jS1B_S1B_jjS1D_bEUljE0_EEESW_SX_SY_S15_S19_S1B_T6_T7_T9_mT8_S1D_bDpT10_ENKUlT_T0_E_clISt17integral_constantIbLb0EES1R_EEDaS1M_S1N_EUlS1M_E_NS1_11comp_targetILNS1_3genE9ELNS1_11target_archE1100ELNS1_3gpuE3ELNS1_3repE0EEENS1_30default_config_static_selectorELNS0_4arch9wavefront6targetE0EEEvSZ_.numbered_sgpr, 0
	.set _ZN7rocprim17ROCPRIM_400000_NS6detail17trampoline_kernelINS0_13select_configILj256ELj13ELNS0_17block_load_methodE3ELS4_3ELS4_3ELNS0_20block_scan_algorithmE0ELj4294967295EEENS1_25partition_config_selectorILNS1_17partition_subalgoE4EjNS0_10empty_typeEbEEZZNS1_14partition_implILS8_4ELb0ES6_15HIP_vector_typeIjLj2EENS0_17counting_iteratorIjlEEPS9_SG_NS0_5tupleIJPjSI_NS0_16reverse_iteratorISI_EEEEENSH_IJSG_SG_SG_EEES9_SI_JZNS1_25segmented_radix_sort_implINS0_14default_configELb1EPKlPlSQ_SR_N2at6native12_GLOBAL__N_18offset_tEEE10hipError_tPvRmT1_PNSt15iterator_traitsISZ_E10value_typeET2_T3_PNS10_IS15_E10value_typeET4_jRbjT5_S1B_jjP12ihipStream_tbEUljE_ZNSN_ISO_Lb1ESQ_SR_SQ_SR_SV_EESW_SX_SY_SZ_S13_S14_S15_S18_S19_jS1A_jS1B_S1B_jjS1D_bEUljE0_EEESW_SX_SY_S15_S19_S1B_T6_T7_T9_mT8_S1D_bDpT10_ENKUlT_T0_E_clISt17integral_constantIbLb0EES1R_EEDaS1M_S1N_EUlS1M_E_NS1_11comp_targetILNS1_3genE9ELNS1_11target_archE1100ELNS1_3gpuE3ELNS1_3repE0EEENS1_30default_config_static_selectorELNS0_4arch9wavefront6targetE0EEEvSZ_.num_named_barrier, 0
	.set _ZN7rocprim17ROCPRIM_400000_NS6detail17trampoline_kernelINS0_13select_configILj256ELj13ELNS0_17block_load_methodE3ELS4_3ELS4_3ELNS0_20block_scan_algorithmE0ELj4294967295EEENS1_25partition_config_selectorILNS1_17partition_subalgoE4EjNS0_10empty_typeEbEEZZNS1_14partition_implILS8_4ELb0ES6_15HIP_vector_typeIjLj2EENS0_17counting_iteratorIjlEEPS9_SG_NS0_5tupleIJPjSI_NS0_16reverse_iteratorISI_EEEEENSH_IJSG_SG_SG_EEES9_SI_JZNS1_25segmented_radix_sort_implINS0_14default_configELb1EPKlPlSQ_SR_N2at6native12_GLOBAL__N_18offset_tEEE10hipError_tPvRmT1_PNSt15iterator_traitsISZ_E10value_typeET2_T3_PNS10_IS15_E10value_typeET4_jRbjT5_S1B_jjP12ihipStream_tbEUljE_ZNSN_ISO_Lb1ESQ_SR_SQ_SR_SV_EESW_SX_SY_SZ_S13_S14_S15_S18_S19_jS1A_jS1B_S1B_jjS1D_bEUljE0_EEESW_SX_SY_S15_S19_S1B_T6_T7_T9_mT8_S1D_bDpT10_ENKUlT_T0_E_clISt17integral_constantIbLb0EES1R_EEDaS1M_S1N_EUlS1M_E_NS1_11comp_targetILNS1_3genE9ELNS1_11target_archE1100ELNS1_3gpuE3ELNS1_3repE0EEENS1_30default_config_static_selectorELNS0_4arch9wavefront6targetE0EEEvSZ_.private_seg_size, 0
	.set _ZN7rocprim17ROCPRIM_400000_NS6detail17trampoline_kernelINS0_13select_configILj256ELj13ELNS0_17block_load_methodE3ELS4_3ELS4_3ELNS0_20block_scan_algorithmE0ELj4294967295EEENS1_25partition_config_selectorILNS1_17partition_subalgoE4EjNS0_10empty_typeEbEEZZNS1_14partition_implILS8_4ELb0ES6_15HIP_vector_typeIjLj2EENS0_17counting_iteratorIjlEEPS9_SG_NS0_5tupleIJPjSI_NS0_16reverse_iteratorISI_EEEEENSH_IJSG_SG_SG_EEES9_SI_JZNS1_25segmented_radix_sort_implINS0_14default_configELb1EPKlPlSQ_SR_N2at6native12_GLOBAL__N_18offset_tEEE10hipError_tPvRmT1_PNSt15iterator_traitsISZ_E10value_typeET2_T3_PNS10_IS15_E10value_typeET4_jRbjT5_S1B_jjP12ihipStream_tbEUljE_ZNSN_ISO_Lb1ESQ_SR_SQ_SR_SV_EESW_SX_SY_SZ_S13_S14_S15_S18_S19_jS1A_jS1B_S1B_jjS1D_bEUljE0_EEESW_SX_SY_S15_S19_S1B_T6_T7_T9_mT8_S1D_bDpT10_ENKUlT_T0_E_clISt17integral_constantIbLb0EES1R_EEDaS1M_S1N_EUlS1M_E_NS1_11comp_targetILNS1_3genE9ELNS1_11target_archE1100ELNS1_3gpuE3ELNS1_3repE0EEENS1_30default_config_static_selectorELNS0_4arch9wavefront6targetE0EEEvSZ_.uses_vcc, 0
	.set _ZN7rocprim17ROCPRIM_400000_NS6detail17trampoline_kernelINS0_13select_configILj256ELj13ELNS0_17block_load_methodE3ELS4_3ELS4_3ELNS0_20block_scan_algorithmE0ELj4294967295EEENS1_25partition_config_selectorILNS1_17partition_subalgoE4EjNS0_10empty_typeEbEEZZNS1_14partition_implILS8_4ELb0ES6_15HIP_vector_typeIjLj2EENS0_17counting_iteratorIjlEEPS9_SG_NS0_5tupleIJPjSI_NS0_16reverse_iteratorISI_EEEEENSH_IJSG_SG_SG_EEES9_SI_JZNS1_25segmented_radix_sort_implINS0_14default_configELb1EPKlPlSQ_SR_N2at6native12_GLOBAL__N_18offset_tEEE10hipError_tPvRmT1_PNSt15iterator_traitsISZ_E10value_typeET2_T3_PNS10_IS15_E10value_typeET4_jRbjT5_S1B_jjP12ihipStream_tbEUljE_ZNSN_ISO_Lb1ESQ_SR_SQ_SR_SV_EESW_SX_SY_SZ_S13_S14_S15_S18_S19_jS1A_jS1B_S1B_jjS1D_bEUljE0_EEESW_SX_SY_S15_S19_S1B_T6_T7_T9_mT8_S1D_bDpT10_ENKUlT_T0_E_clISt17integral_constantIbLb0EES1R_EEDaS1M_S1N_EUlS1M_E_NS1_11comp_targetILNS1_3genE9ELNS1_11target_archE1100ELNS1_3gpuE3ELNS1_3repE0EEENS1_30default_config_static_selectorELNS0_4arch9wavefront6targetE0EEEvSZ_.uses_flat_scratch, 0
	.set _ZN7rocprim17ROCPRIM_400000_NS6detail17trampoline_kernelINS0_13select_configILj256ELj13ELNS0_17block_load_methodE3ELS4_3ELS4_3ELNS0_20block_scan_algorithmE0ELj4294967295EEENS1_25partition_config_selectorILNS1_17partition_subalgoE4EjNS0_10empty_typeEbEEZZNS1_14partition_implILS8_4ELb0ES6_15HIP_vector_typeIjLj2EENS0_17counting_iteratorIjlEEPS9_SG_NS0_5tupleIJPjSI_NS0_16reverse_iteratorISI_EEEEENSH_IJSG_SG_SG_EEES9_SI_JZNS1_25segmented_radix_sort_implINS0_14default_configELb1EPKlPlSQ_SR_N2at6native12_GLOBAL__N_18offset_tEEE10hipError_tPvRmT1_PNSt15iterator_traitsISZ_E10value_typeET2_T3_PNS10_IS15_E10value_typeET4_jRbjT5_S1B_jjP12ihipStream_tbEUljE_ZNSN_ISO_Lb1ESQ_SR_SQ_SR_SV_EESW_SX_SY_SZ_S13_S14_S15_S18_S19_jS1A_jS1B_S1B_jjS1D_bEUljE0_EEESW_SX_SY_S15_S19_S1B_T6_T7_T9_mT8_S1D_bDpT10_ENKUlT_T0_E_clISt17integral_constantIbLb0EES1R_EEDaS1M_S1N_EUlS1M_E_NS1_11comp_targetILNS1_3genE9ELNS1_11target_archE1100ELNS1_3gpuE3ELNS1_3repE0EEENS1_30default_config_static_selectorELNS0_4arch9wavefront6targetE0EEEvSZ_.has_dyn_sized_stack, 0
	.set _ZN7rocprim17ROCPRIM_400000_NS6detail17trampoline_kernelINS0_13select_configILj256ELj13ELNS0_17block_load_methodE3ELS4_3ELS4_3ELNS0_20block_scan_algorithmE0ELj4294967295EEENS1_25partition_config_selectorILNS1_17partition_subalgoE4EjNS0_10empty_typeEbEEZZNS1_14partition_implILS8_4ELb0ES6_15HIP_vector_typeIjLj2EENS0_17counting_iteratorIjlEEPS9_SG_NS0_5tupleIJPjSI_NS0_16reverse_iteratorISI_EEEEENSH_IJSG_SG_SG_EEES9_SI_JZNS1_25segmented_radix_sort_implINS0_14default_configELb1EPKlPlSQ_SR_N2at6native12_GLOBAL__N_18offset_tEEE10hipError_tPvRmT1_PNSt15iterator_traitsISZ_E10value_typeET2_T3_PNS10_IS15_E10value_typeET4_jRbjT5_S1B_jjP12ihipStream_tbEUljE_ZNSN_ISO_Lb1ESQ_SR_SQ_SR_SV_EESW_SX_SY_SZ_S13_S14_S15_S18_S19_jS1A_jS1B_S1B_jjS1D_bEUljE0_EEESW_SX_SY_S15_S19_S1B_T6_T7_T9_mT8_S1D_bDpT10_ENKUlT_T0_E_clISt17integral_constantIbLb0EES1R_EEDaS1M_S1N_EUlS1M_E_NS1_11comp_targetILNS1_3genE9ELNS1_11target_archE1100ELNS1_3gpuE3ELNS1_3repE0EEENS1_30default_config_static_selectorELNS0_4arch9wavefront6targetE0EEEvSZ_.has_recursion, 0
	.set _ZN7rocprim17ROCPRIM_400000_NS6detail17trampoline_kernelINS0_13select_configILj256ELj13ELNS0_17block_load_methodE3ELS4_3ELS4_3ELNS0_20block_scan_algorithmE0ELj4294967295EEENS1_25partition_config_selectorILNS1_17partition_subalgoE4EjNS0_10empty_typeEbEEZZNS1_14partition_implILS8_4ELb0ES6_15HIP_vector_typeIjLj2EENS0_17counting_iteratorIjlEEPS9_SG_NS0_5tupleIJPjSI_NS0_16reverse_iteratorISI_EEEEENSH_IJSG_SG_SG_EEES9_SI_JZNS1_25segmented_radix_sort_implINS0_14default_configELb1EPKlPlSQ_SR_N2at6native12_GLOBAL__N_18offset_tEEE10hipError_tPvRmT1_PNSt15iterator_traitsISZ_E10value_typeET2_T3_PNS10_IS15_E10value_typeET4_jRbjT5_S1B_jjP12ihipStream_tbEUljE_ZNSN_ISO_Lb1ESQ_SR_SQ_SR_SV_EESW_SX_SY_SZ_S13_S14_S15_S18_S19_jS1A_jS1B_S1B_jjS1D_bEUljE0_EEESW_SX_SY_S15_S19_S1B_T6_T7_T9_mT8_S1D_bDpT10_ENKUlT_T0_E_clISt17integral_constantIbLb0EES1R_EEDaS1M_S1N_EUlS1M_E_NS1_11comp_targetILNS1_3genE9ELNS1_11target_archE1100ELNS1_3gpuE3ELNS1_3repE0EEENS1_30default_config_static_selectorELNS0_4arch9wavefront6targetE0EEEvSZ_.has_indirect_call, 0
	.section	.AMDGPU.csdata,"",@progbits
; Kernel info:
; codeLenInByte = 0
; TotalNumSgprs: 0
; NumVgprs: 0
; ScratchSize: 0
; MemoryBound: 0
; FloatMode: 240
; IeeeMode: 1
; LDSByteSize: 0 bytes/workgroup (compile time only)
; SGPRBlocks: 0
; VGPRBlocks: 0
; NumSGPRsForWavesPerEU: 1
; NumVGPRsForWavesPerEU: 1
; Occupancy: 16
; WaveLimiterHint : 0
; COMPUTE_PGM_RSRC2:SCRATCH_EN: 0
; COMPUTE_PGM_RSRC2:USER_SGPR: 2
; COMPUTE_PGM_RSRC2:TRAP_HANDLER: 0
; COMPUTE_PGM_RSRC2:TGID_X_EN: 1
; COMPUTE_PGM_RSRC2:TGID_Y_EN: 0
; COMPUTE_PGM_RSRC2:TGID_Z_EN: 0
; COMPUTE_PGM_RSRC2:TIDIG_COMP_CNT: 0
	.section	.text._ZN7rocprim17ROCPRIM_400000_NS6detail17trampoline_kernelINS0_13select_configILj256ELj13ELNS0_17block_load_methodE3ELS4_3ELS4_3ELNS0_20block_scan_algorithmE0ELj4294967295EEENS1_25partition_config_selectorILNS1_17partition_subalgoE4EjNS0_10empty_typeEbEEZZNS1_14partition_implILS8_4ELb0ES6_15HIP_vector_typeIjLj2EENS0_17counting_iteratorIjlEEPS9_SG_NS0_5tupleIJPjSI_NS0_16reverse_iteratorISI_EEEEENSH_IJSG_SG_SG_EEES9_SI_JZNS1_25segmented_radix_sort_implINS0_14default_configELb1EPKlPlSQ_SR_N2at6native12_GLOBAL__N_18offset_tEEE10hipError_tPvRmT1_PNSt15iterator_traitsISZ_E10value_typeET2_T3_PNS10_IS15_E10value_typeET4_jRbjT5_S1B_jjP12ihipStream_tbEUljE_ZNSN_ISO_Lb1ESQ_SR_SQ_SR_SV_EESW_SX_SY_SZ_S13_S14_S15_S18_S19_jS1A_jS1B_S1B_jjS1D_bEUljE0_EEESW_SX_SY_S15_S19_S1B_T6_T7_T9_mT8_S1D_bDpT10_ENKUlT_T0_E_clISt17integral_constantIbLb0EES1R_EEDaS1M_S1N_EUlS1M_E_NS1_11comp_targetILNS1_3genE8ELNS1_11target_archE1030ELNS1_3gpuE2ELNS1_3repE0EEENS1_30default_config_static_selectorELNS0_4arch9wavefront6targetE0EEEvSZ_,"axG",@progbits,_ZN7rocprim17ROCPRIM_400000_NS6detail17trampoline_kernelINS0_13select_configILj256ELj13ELNS0_17block_load_methodE3ELS4_3ELS4_3ELNS0_20block_scan_algorithmE0ELj4294967295EEENS1_25partition_config_selectorILNS1_17partition_subalgoE4EjNS0_10empty_typeEbEEZZNS1_14partition_implILS8_4ELb0ES6_15HIP_vector_typeIjLj2EENS0_17counting_iteratorIjlEEPS9_SG_NS0_5tupleIJPjSI_NS0_16reverse_iteratorISI_EEEEENSH_IJSG_SG_SG_EEES9_SI_JZNS1_25segmented_radix_sort_implINS0_14default_configELb1EPKlPlSQ_SR_N2at6native12_GLOBAL__N_18offset_tEEE10hipError_tPvRmT1_PNSt15iterator_traitsISZ_E10value_typeET2_T3_PNS10_IS15_E10value_typeET4_jRbjT5_S1B_jjP12ihipStream_tbEUljE_ZNSN_ISO_Lb1ESQ_SR_SQ_SR_SV_EESW_SX_SY_SZ_S13_S14_S15_S18_S19_jS1A_jS1B_S1B_jjS1D_bEUljE0_EEESW_SX_SY_S15_S19_S1B_T6_T7_T9_mT8_S1D_bDpT10_ENKUlT_T0_E_clISt17integral_constantIbLb0EES1R_EEDaS1M_S1N_EUlS1M_E_NS1_11comp_targetILNS1_3genE8ELNS1_11target_archE1030ELNS1_3gpuE2ELNS1_3repE0EEENS1_30default_config_static_selectorELNS0_4arch9wavefront6targetE0EEEvSZ_,comdat
	.globl	_ZN7rocprim17ROCPRIM_400000_NS6detail17trampoline_kernelINS0_13select_configILj256ELj13ELNS0_17block_load_methodE3ELS4_3ELS4_3ELNS0_20block_scan_algorithmE0ELj4294967295EEENS1_25partition_config_selectorILNS1_17partition_subalgoE4EjNS0_10empty_typeEbEEZZNS1_14partition_implILS8_4ELb0ES6_15HIP_vector_typeIjLj2EENS0_17counting_iteratorIjlEEPS9_SG_NS0_5tupleIJPjSI_NS0_16reverse_iteratorISI_EEEEENSH_IJSG_SG_SG_EEES9_SI_JZNS1_25segmented_radix_sort_implINS0_14default_configELb1EPKlPlSQ_SR_N2at6native12_GLOBAL__N_18offset_tEEE10hipError_tPvRmT1_PNSt15iterator_traitsISZ_E10value_typeET2_T3_PNS10_IS15_E10value_typeET4_jRbjT5_S1B_jjP12ihipStream_tbEUljE_ZNSN_ISO_Lb1ESQ_SR_SQ_SR_SV_EESW_SX_SY_SZ_S13_S14_S15_S18_S19_jS1A_jS1B_S1B_jjS1D_bEUljE0_EEESW_SX_SY_S15_S19_S1B_T6_T7_T9_mT8_S1D_bDpT10_ENKUlT_T0_E_clISt17integral_constantIbLb0EES1R_EEDaS1M_S1N_EUlS1M_E_NS1_11comp_targetILNS1_3genE8ELNS1_11target_archE1030ELNS1_3gpuE2ELNS1_3repE0EEENS1_30default_config_static_selectorELNS0_4arch9wavefront6targetE0EEEvSZ_ ; -- Begin function _ZN7rocprim17ROCPRIM_400000_NS6detail17trampoline_kernelINS0_13select_configILj256ELj13ELNS0_17block_load_methodE3ELS4_3ELS4_3ELNS0_20block_scan_algorithmE0ELj4294967295EEENS1_25partition_config_selectorILNS1_17partition_subalgoE4EjNS0_10empty_typeEbEEZZNS1_14partition_implILS8_4ELb0ES6_15HIP_vector_typeIjLj2EENS0_17counting_iteratorIjlEEPS9_SG_NS0_5tupleIJPjSI_NS0_16reverse_iteratorISI_EEEEENSH_IJSG_SG_SG_EEES9_SI_JZNS1_25segmented_radix_sort_implINS0_14default_configELb1EPKlPlSQ_SR_N2at6native12_GLOBAL__N_18offset_tEEE10hipError_tPvRmT1_PNSt15iterator_traitsISZ_E10value_typeET2_T3_PNS10_IS15_E10value_typeET4_jRbjT5_S1B_jjP12ihipStream_tbEUljE_ZNSN_ISO_Lb1ESQ_SR_SQ_SR_SV_EESW_SX_SY_SZ_S13_S14_S15_S18_S19_jS1A_jS1B_S1B_jjS1D_bEUljE0_EEESW_SX_SY_S15_S19_S1B_T6_T7_T9_mT8_S1D_bDpT10_ENKUlT_T0_E_clISt17integral_constantIbLb0EES1R_EEDaS1M_S1N_EUlS1M_E_NS1_11comp_targetILNS1_3genE8ELNS1_11target_archE1030ELNS1_3gpuE2ELNS1_3repE0EEENS1_30default_config_static_selectorELNS0_4arch9wavefront6targetE0EEEvSZ_
	.p2align	8
	.type	_ZN7rocprim17ROCPRIM_400000_NS6detail17trampoline_kernelINS0_13select_configILj256ELj13ELNS0_17block_load_methodE3ELS4_3ELS4_3ELNS0_20block_scan_algorithmE0ELj4294967295EEENS1_25partition_config_selectorILNS1_17partition_subalgoE4EjNS0_10empty_typeEbEEZZNS1_14partition_implILS8_4ELb0ES6_15HIP_vector_typeIjLj2EENS0_17counting_iteratorIjlEEPS9_SG_NS0_5tupleIJPjSI_NS0_16reverse_iteratorISI_EEEEENSH_IJSG_SG_SG_EEES9_SI_JZNS1_25segmented_radix_sort_implINS0_14default_configELb1EPKlPlSQ_SR_N2at6native12_GLOBAL__N_18offset_tEEE10hipError_tPvRmT1_PNSt15iterator_traitsISZ_E10value_typeET2_T3_PNS10_IS15_E10value_typeET4_jRbjT5_S1B_jjP12ihipStream_tbEUljE_ZNSN_ISO_Lb1ESQ_SR_SQ_SR_SV_EESW_SX_SY_SZ_S13_S14_S15_S18_S19_jS1A_jS1B_S1B_jjS1D_bEUljE0_EEESW_SX_SY_S15_S19_S1B_T6_T7_T9_mT8_S1D_bDpT10_ENKUlT_T0_E_clISt17integral_constantIbLb0EES1R_EEDaS1M_S1N_EUlS1M_E_NS1_11comp_targetILNS1_3genE8ELNS1_11target_archE1030ELNS1_3gpuE2ELNS1_3repE0EEENS1_30default_config_static_selectorELNS0_4arch9wavefront6targetE0EEEvSZ_,@function
_ZN7rocprim17ROCPRIM_400000_NS6detail17trampoline_kernelINS0_13select_configILj256ELj13ELNS0_17block_load_methodE3ELS4_3ELS4_3ELNS0_20block_scan_algorithmE0ELj4294967295EEENS1_25partition_config_selectorILNS1_17partition_subalgoE4EjNS0_10empty_typeEbEEZZNS1_14partition_implILS8_4ELb0ES6_15HIP_vector_typeIjLj2EENS0_17counting_iteratorIjlEEPS9_SG_NS0_5tupleIJPjSI_NS0_16reverse_iteratorISI_EEEEENSH_IJSG_SG_SG_EEES9_SI_JZNS1_25segmented_radix_sort_implINS0_14default_configELb1EPKlPlSQ_SR_N2at6native12_GLOBAL__N_18offset_tEEE10hipError_tPvRmT1_PNSt15iterator_traitsISZ_E10value_typeET2_T3_PNS10_IS15_E10value_typeET4_jRbjT5_S1B_jjP12ihipStream_tbEUljE_ZNSN_ISO_Lb1ESQ_SR_SQ_SR_SV_EESW_SX_SY_SZ_S13_S14_S15_S18_S19_jS1A_jS1B_S1B_jjS1D_bEUljE0_EEESW_SX_SY_S15_S19_S1B_T6_T7_T9_mT8_S1D_bDpT10_ENKUlT_T0_E_clISt17integral_constantIbLb0EES1R_EEDaS1M_S1N_EUlS1M_E_NS1_11comp_targetILNS1_3genE8ELNS1_11target_archE1030ELNS1_3gpuE2ELNS1_3repE0EEENS1_30default_config_static_selectorELNS0_4arch9wavefront6targetE0EEEvSZ_: ; @_ZN7rocprim17ROCPRIM_400000_NS6detail17trampoline_kernelINS0_13select_configILj256ELj13ELNS0_17block_load_methodE3ELS4_3ELS4_3ELNS0_20block_scan_algorithmE0ELj4294967295EEENS1_25partition_config_selectorILNS1_17partition_subalgoE4EjNS0_10empty_typeEbEEZZNS1_14partition_implILS8_4ELb0ES6_15HIP_vector_typeIjLj2EENS0_17counting_iteratorIjlEEPS9_SG_NS0_5tupleIJPjSI_NS0_16reverse_iteratorISI_EEEEENSH_IJSG_SG_SG_EEES9_SI_JZNS1_25segmented_radix_sort_implINS0_14default_configELb1EPKlPlSQ_SR_N2at6native12_GLOBAL__N_18offset_tEEE10hipError_tPvRmT1_PNSt15iterator_traitsISZ_E10value_typeET2_T3_PNS10_IS15_E10value_typeET4_jRbjT5_S1B_jjP12ihipStream_tbEUljE_ZNSN_ISO_Lb1ESQ_SR_SQ_SR_SV_EESW_SX_SY_SZ_S13_S14_S15_S18_S19_jS1A_jS1B_S1B_jjS1D_bEUljE0_EEESW_SX_SY_S15_S19_S1B_T6_T7_T9_mT8_S1D_bDpT10_ENKUlT_T0_E_clISt17integral_constantIbLb0EES1R_EEDaS1M_S1N_EUlS1M_E_NS1_11comp_targetILNS1_3genE8ELNS1_11target_archE1030ELNS1_3gpuE2ELNS1_3repE0EEENS1_30default_config_static_selectorELNS0_4arch9wavefront6targetE0EEEvSZ_
; %bb.0:
	.section	.rodata,"a",@progbits
	.p2align	6, 0x0
	.amdhsa_kernel _ZN7rocprim17ROCPRIM_400000_NS6detail17trampoline_kernelINS0_13select_configILj256ELj13ELNS0_17block_load_methodE3ELS4_3ELS4_3ELNS0_20block_scan_algorithmE0ELj4294967295EEENS1_25partition_config_selectorILNS1_17partition_subalgoE4EjNS0_10empty_typeEbEEZZNS1_14partition_implILS8_4ELb0ES6_15HIP_vector_typeIjLj2EENS0_17counting_iteratorIjlEEPS9_SG_NS0_5tupleIJPjSI_NS0_16reverse_iteratorISI_EEEEENSH_IJSG_SG_SG_EEES9_SI_JZNS1_25segmented_radix_sort_implINS0_14default_configELb1EPKlPlSQ_SR_N2at6native12_GLOBAL__N_18offset_tEEE10hipError_tPvRmT1_PNSt15iterator_traitsISZ_E10value_typeET2_T3_PNS10_IS15_E10value_typeET4_jRbjT5_S1B_jjP12ihipStream_tbEUljE_ZNSN_ISO_Lb1ESQ_SR_SQ_SR_SV_EESW_SX_SY_SZ_S13_S14_S15_S18_S19_jS1A_jS1B_S1B_jjS1D_bEUljE0_EEESW_SX_SY_S15_S19_S1B_T6_T7_T9_mT8_S1D_bDpT10_ENKUlT_T0_E_clISt17integral_constantIbLb0EES1R_EEDaS1M_S1N_EUlS1M_E_NS1_11comp_targetILNS1_3genE8ELNS1_11target_archE1030ELNS1_3gpuE2ELNS1_3repE0EEENS1_30default_config_static_selectorELNS0_4arch9wavefront6targetE0EEEvSZ_
		.amdhsa_group_segment_fixed_size 0
		.amdhsa_private_segment_fixed_size 0
		.amdhsa_kernarg_size 176
		.amdhsa_user_sgpr_count 2
		.amdhsa_user_sgpr_dispatch_ptr 0
		.amdhsa_user_sgpr_queue_ptr 0
		.amdhsa_user_sgpr_kernarg_segment_ptr 1
		.amdhsa_user_sgpr_dispatch_id 0
		.amdhsa_user_sgpr_private_segment_size 0
		.amdhsa_wavefront_size32 1
		.amdhsa_uses_dynamic_stack 0
		.amdhsa_enable_private_segment 0
		.amdhsa_system_sgpr_workgroup_id_x 1
		.amdhsa_system_sgpr_workgroup_id_y 0
		.amdhsa_system_sgpr_workgroup_id_z 0
		.amdhsa_system_sgpr_workgroup_info 0
		.amdhsa_system_vgpr_workitem_id 0
		.amdhsa_next_free_vgpr 1
		.amdhsa_next_free_sgpr 1
		.amdhsa_reserve_vcc 0
		.amdhsa_float_round_mode_32 0
		.amdhsa_float_round_mode_16_64 0
		.amdhsa_float_denorm_mode_32 3
		.amdhsa_float_denorm_mode_16_64 3
		.amdhsa_fp16_overflow 0
		.amdhsa_workgroup_processor_mode 1
		.amdhsa_memory_ordered 1
		.amdhsa_forward_progress 1
		.amdhsa_inst_pref_size 0
		.amdhsa_round_robin_scheduling 0
		.amdhsa_exception_fp_ieee_invalid_op 0
		.amdhsa_exception_fp_denorm_src 0
		.amdhsa_exception_fp_ieee_div_zero 0
		.amdhsa_exception_fp_ieee_overflow 0
		.amdhsa_exception_fp_ieee_underflow 0
		.amdhsa_exception_fp_ieee_inexact 0
		.amdhsa_exception_int_div_zero 0
	.end_amdhsa_kernel
	.section	.text._ZN7rocprim17ROCPRIM_400000_NS6detail17trampoline_kernelINS0_13select_configILj256ELj13ELNS0_17block_load_methodE3ELS4_3ELS4_3ELNS0_20block_scan_algorithmE0ELj4294967295EEENS1_25partition_config_selectorILNS1_17partition_subalgoE4EjNS0_10empty_typeEbEEZZNS1_14partition_implILS8_4ELb0ES6_15HIP_vector_typeIjLj2EENS0_17counting_iteratorIjlEEPS9_SG_NS0_5tupleIJPjSI_NS0_16reverse_iteratorISI_EEEEENSH_IJSG_SG_SG_EEES9_SI_JZNS1_25segmented_radix_sort_implINS0_14default_configELb1EPKlPlSQ_SR_N2at6native12_GLOBAL__N_18offset_tEEE10hipError_tPvRmT1_PNSt15iterator_traitsISZ_E10value_typeET2_T3_PNS10_IS15_E10value_typeET4_jRbjT5_S1B_jjP12ihipStream_tbEUljE_ZNSN_ISO_Lb1ESQ_SR_SQ_SR_SV_EESW_SX_SY_SZ_S13_S14_S15_S18_S19_jS1A_jS1B_S1B_jjS1D_bEUljE0_EEESW_SX_SY_S15_S19_S1B_T6_T7_T9_mT8_S1D_bDpT10_ENKUlT_T0_E_clISt17integral_constantIbLb0EES1R_EEDaS1M_S1N_EUlS1M_E_NS1_11comp_targetILNS1_3genE8ELNS1_11target_archE1030ELNS1_3gpuE2ELNS1_3repE0EEENS1_30default_config_static_selectorELNS0_4arch9wavefront6targetE0EEEvSZ_,"axG",@progbits,_ZN7rocprim17ROCPRIM_400000_NS6detail17trampoline_kernelINS0_13select_configILj256ELj13ELNS0_17block_load_methodE3ELS4_3ELS4_3ELNS0_20block_scan_algorithmE0ELj4294967295EEENS1_25partition_config_selectorILNS1_17partition_subalgoE4EjNS0_10empty_typeEbEEZZNS1_14partition_implILS8_4ELb0ES6_15HIP_vector_typeIjLj2EENS0_17counting_iteratorIjlEEPS9_SG_NS0_5tupleIJPjSI_NS0_16reverse_iteratorISI_EEEEENSH_IJSG_SG_SG_EEES9_SI_JZNS1_25segmented_radix_sort_implINS0_14default_configELb1EPKlPlSQ_SR_N2at6native12_GLOBAL__N_18offset_tEEE10hipError_tPvRmT1_PNSt15iterator_traitsISZ_E10value_typeET2_T3_PNS10_IS15_E10value_typeET4_jRbjT5_S1B_jjP12ihipStream_tbEUljE_ZNSN_ISO_Lb1ESQ_SR_SQ_SR_SV_EESW_SX_SY_SZ_S13_S14_S15_S18_S19_jS1A_jS1B_S1B_jjS1D_bEUljE0_EEESW_SX_SY_S15_S19_S1B_T6_T7_T9_mT8_S1D_bDpT10_ENKUlT_T0_E_clISt17integral_constantIbLb0EES1R_EEDaS1M_S1N_EUlS1M_E_NS1_11comp_targetILNS1_3genE8ELNS1_11target_archE1030ELNS1_3gpuE2ELNS1_3repE0EEENS1_30default_config_static_selectorELNS0_4arch9wavefront6targetE0EEEvSZ_,comdat
.Lfunc_end647:
	.size	_ZN7rocprim17ROCPRIM_400000_NS6detail17trampoline_kernelINS0_13select_configILj256ELj13ELNS0_17block_load_methodE3ELS4_3ELS4_3ELNS0_20block_scan_algorithmE0ELj4294967295EEENS1_25partition_config_selectorILNS1_17partition_subalgoE4EjNS0_10empty_typeEbEEZZNS1_14partition_implILS8_4ELb0ES6_15HIP_vector_typeIjLj2EENS0_17counting_iteratorIjlEEPS9_SG_NS0_5tupleIJPjSI_NS0_16reverse_iteratorISI_EEEEENSH_IJSG_SG_SG_EEES9_SI_JZNS1_25segmented_radix_sort_implINS0_14default_configELb1EPKlPlSQ_SR_N2at6native12_GLOBAL__N_18offset_tEEE10hipError_tPvRmT1_PNSt15iterator_traitsISZ_E10value_typeET2_T3_PNS10_IS15_E10value_typeET4_jRbjT5_S1B_jjP12ihipStream_tbEUljE_ZNSN_ISO_Lb1ESQ_SR_SQ_SR_SV_EESW_SX_SY_SZ_S13_S14_S15_S18_S19_jS1A_jS1B_S1B_jjS1D_bEUljE0_EEESW_SX_SY_S15_S19_S1B_T6_T7_T9_mT8_S1D_bDpT10_ENKUlT_T0_E_clISt17integral_constantIbLb0EES1R_EEDaS1M_S1N_EUlS1M_E_NS1_11comp_targetILNS1_3genE8ELNS1_11target_archE1030ELNS1_3gpuE2ELNS1_3repE0EEENS1_30default_config_static_selectorELNS0_4arch9wavefront6targetE0EEEvSZ_, .Lfunc_end647-_ZN7rocprim17ROCPRIM_400000_NS6detail17trampoline_kernelINS0_13select_configILj256ELj13ELNS0_17block_load_methodE3ELS4_3ELS4_3ELNS0_20block_scan_algorithmE0ELj4294967295EEENS1_25partition_config_selectorILNS1_17partition_subalgoE4EjNS0_10empty_typeEbEEZZNS1_14partition_implILS8_4ELb0ES6_15HIP_vector_typeIjLj2EENS0_17counting_iteratorIjlEEPS9_SG_NS0_5tupleIJPjSI_NS0_16reverse_iteratorISI_EEEEENSH_IJSG_SG_SG_EEES9_SI_JZNS1_25segmented_radix_sort_implINS0_14default_configELb1EPKlPlSQ_SR_N2at6native12_GLOBAL__N_18offset_tEEE10hipError_tPvRmT1_PNSt15iterator_traitsISZ_E10value_typeET2_T3_PNS10_IS15_E10value_typeET4_jRbjT5_S1B_jjP12ihipStream_tbEUljE_ZNSN_ISO_Lb1ESQ_SR_SQ_SR_SV_EESW_SX_SY_SZ_S13_S14_S15_S18_S19_jS1A_jS1B_S1B_jjS1D_bEUljE0_EEESW_SX_SY_S15_S19_S1B_T6_T7_T9_mT8_S1D_bDpT10_ENKUlT_T0_E_clISt17integral_constantIbLb0EES1R_EEDaS1M_S1N_EUlS1M_E_NS1_11comp_targetILNS1_3genE8ELNS1_11target_archE1030ELNS1_3gpuE2ELNS1_3repE0EEENS1_30default_config_static_selectorELNS0_4arch9wavefront6targetE0EEEvSZ_
                                        ; -- End function
	.set _ZN7rocprim17ROCPRIM_400000_NS6detail17trampoline_kernelINS0_13select_configILj256ELj13ELNS0_17block_load_methodE3ELS4_3ELS4_3ELNS0_20block_scan_algorithmE0ELj4294967295EEENS1_25partition_config_selectorILNS1_17partition_subalgoE4EjNS0_10empty_typeEbEEZZNS1_14partition_implILS8_4ELb0ES6_15HIP_vector_typeIjLj2EENS0_17counting_iteratorIjlEEPS9_SG_NS0_5tupleIJPjSI_NS0_16reverse_iteratorISI_EEEEENSH_IJSG_SG_SG_EEES9_SI_JZNS1_25segmented_radix_sort_implINS0_14default_configELb1EPKlPlSQ_SR_N2at6native12_GLOBAL__N_18offset_tEEE10hipError_tPvRmT1_PNSt15iterator_traitsISZ_E10value_typeET2_T3_PNS10_IS15_E10value_typeET4_jRbjT5_S1B_jjP12ihipStream_tbEUljE_ZNSN_ISO_Lb1ESQ_SR_SQ_SR_SV_EESW_SX_SY_SZ_S13_S14_S15_S18_S19_jS1A_jS1B_S1B_jjS1D_bEUljE0_EEESW_SX_SY_S15_S19_S1B_T6_T7_T9_mT8_S1D_bDpT10_ENKUlT_T0_E_clISt17integral_constantIbLb0EES1R_EEDaS1M_S1N_EUlS1M_E_NS1_11comp_targetILNS1_3genE8ELNS1_11target_archE1030ELNS1_3gpuE2ELNS1_3repE0EEENS1_30default_config_static_selectorELNS0_4arch9wavefront6targetE0EEEvSZ_.num_vgpr, 0
	.set _ZN7rocprim17ROCPRIM_400000_NS6detail17trampoline_kernelINS0_13select_configILj256ELj13ELNS0_17block_load_methodE3ELS4_3ELS4_3ELNS0_20block_scan_algorithmE0ELj4294967295EEENS1_25partition_config_selectorILNS1_17partition_subalgoE4EjNS0_10empty_typeEbEEZZNS1_14partition_implILS8_4ELb0ES6_15HIP_vector_typeIjLj2EENS0_17counting_iteratorIjlEEPS9_SG_NS0_5tupleIJPjSI_NS0_16reverse_iteratorISI_EEEEENSH_IJSG_SG_SG_EEES9_SI_JZNS1_25segmented_radix_sort_implINS0_14default_configELb1EPKlPlSQ_SR_N2at6native12_GLOBAL__N_18offset_tEEE10hipError_tPvRmT1_PNSt15iterator_traitsISZ_E10value_typeET2_T3_PNS10_IS15_E10value_typeET4_jRbjT5_S1B_jjP12ihipStream_tbEUljE_ZNSN_ISO_Lb1ESQ_SR_SQ_SR_SV_EESW_SX_SY_SZ_S13_S14_S15_S18_S19_jS1A_jS1B_S1B_jjS1D_bEUljE0_EEESW_SX_SY_S15_S19_S1B_T6_T7_T9_mT8_S1D_bDpT10_ENKUlT_T0_E_clISt17integral_constantIbLb0EES1R_EEDaS1M_S1N_EUlS1M_E_NS1_11comp_targetILNS1_3genE8ELNS1_11target_archE1030ELNS1_3gpuE2ELNS1_3repE0EEENS1_30default_config_static_selectorELNS0_4arch9wavefront6targetE0EEEvSZ_.num_agpr, 0
	.set _ZN7rocprim17ROCPRIM_400000_NS6detail17trampoline_kernelINS0_13select_configILj256ELj13ELNS0_17block_load_methodE3ELS4_3ELS4_3ELNS0_20block_scan_algorithmE0ELj4294967295EEENS1_25partition_config_selectorILNS1_17partition_subalgoE4EjNS0_10empty_typeEbEEZZNS1_14partition_implILS8_4ELb0ES6_15HIP_vector_typeIjLj2EENS0_17counting_iteratorIjlEEPS9_SG_NS0_5tupleIJPjSI_NS0_16reverse_iteratorISI_EEEEENSH_IJSG_SG_SG_EEES9_SI_JZNS1_25segmented_radix_sort_implINS0_14default_configELb1EPKlPlSQ_SR_N2at6native12_GLOBAL__N_18offset_tEEE10hipError_tPvRmT1_PNSt15iterator_traitsISZ_E10value_typeET2_T3_PNS10_IS15_E10value_typeET4_jRbjT5_S1B_jjP12ihipStream_tbEUljE_ZNSN_ISO_Lb1ESQ_SR_SQ_SR_SV_EESW_SX_SY_SZ_S13_S14_S15_S18_S19_jS1A_jS1B_S1B_jjS1D_bEUljE0_EEESW_SX_SY_S15_S19_S1B_T6_T7_T9_mT8_S1D_bDpT10_ENKUlT_T0_E_clISt17integral_constantIbLb0EES1R_EEDaS1M_S1N_EUlS1M_E_NS1_11comp_targetILNS1_3genE8ELNS1_11target_archE1030ELNS1_3gpuE2ELNS1_3repE0EEENS1_30default_config_static_selectorELNS0_4arch9wavefront6targetE0EEEvSZ_.numbered_sgpr, 0
	.set _ZN7rocprim17ROCPRIM_400000_NS6detail17trampoline_kernelINS0_13select_configILj256ELj13ELNS0_17block_load_methodE3ELS4_3ELS4_3ELNS0_20block_scan_algorithmE0ELj4294967295EEENS1_25partition_config_selectorILNS1_17partition_subalgoE4EjNS0_10empty_typeEbEEZZNS1_14partition_implILS8_4ELb0ES6_15HIP_vector_typeIjLj2EENS0_17counting_iteratorIjlEEPS9_SG_NS0_5tupleIJPjSI_NS0_16reverse_iteratorISI_EEEEENSH_IJSG_SG_SG_EEES9_SI_JZNS1_25segmented_radix_sort_implINS0_14default_configELb1EPKlPlSQ_SR_N2at6native12_GLOBAL__N_18offset_tEEE10hipError_tPvRmT1_PNSt15iterator_traitsISZ_E10value_typeET2_T3_PNS10_IS15_E10value_typeET4_jRbjT5_S1B_jjP12ihipStream_tbEUljE_ZNSN_ISO_Lb1ESQ_SR_SQ_SR_SV_EESW_SX_SY_SZ_S13_S14_S15_S18_S19_jS1A_jS1B_S1B_jjS1D_bEUljE0_EEESW_SX_SY_S15_S19_S1B_T6_T7_T9_mT8_S1D_bDpT10_ENKUlT_T0_E_clISt17integral_constantIbLb0EES1R_EEDaS1M_S1N_EUlS1M_E_NS1_11comp_targetILNS1_3genE8ELNS1_11target_archE1030ELNS1_3gpuE2ELNS1_3repE0EEENS1_30default_config_static_selectorELNS0_4arch9wavefront6targetE0EEEvSZ_.num_named_barrier, 0
	.set _ZN7rocprim17ROCPRIM_400000_NS6detail17trampoline_kernelINS0_13select_configILj256ELj13ELNS0_17block_load_methodE3ELS4_3ELS4_3ELNS0_20block_scan_algorithmE0ELj4294967295EEENS1_25partition_config_selectorILNS1_17partition_subalgoE4EjNS0_10empty_typeEbEEZZNS1_14partition_implILS8_4ELb0ES6_15HIP_vector_typeIjLj2EENS0_17counting_iteratorIjlEEPS9_SG_NS0_5tupleIJPjSI_NS0_16reverse_iteratorISI_EEEEENSH_IJSG_SG_SG_EEES9_SI_JZNS1_25segmented_radix_sort_implINS0_14default_configELb1EPKlPlSQ_SR_N2at6native12_GLOBAL__N_18offset_tEEE10hipError_tPvRmT1_PNSt15iterator_traitsISZ_E10value_typeET2_T3_PNS10_IS15_E10value_typeET4_jRbjT5_S1B_jjP12ihipStream_tbEUljE_ZNSN_ISO_Lb1ESQ_SR_SQ_SR_SV_EESW_SX_SY_SZ_S13_S14_S15_S18_S19_jS1A_jS1B_S1B_jjS1D_bEUljE0_EEESW_SX_SY_S15_S19_S1B_T6_T7_T9_mT8_S1D_bDpT10_ENKUlT_T0_E_clISt17integral_constantIbLb0EES1R_EEDaS1M_S1N_EUlS1M_E_NS1_11comp_targetILNS1_3genE8ELNS1_11target_archE1030ELNS1_3gpuE2ELNS1_3repE0EEENS1_30default_config_static_selectorELNS0_4arch9wavefront6targetE0EEEvSZ_.private_seg_size, 0
	.set _ZN7rocprim17ROCPRIM_400000_NS6detail17trampoline_kernelINS0_13select_configILj256ELj13ELNS0_17block_load_methodE3ELS4_3ELS4_3ELNS0_20block_scan_algorithmE0ELj4294967295EEENS1_25partition_config_selectorILNS1_17partition_subalgoE4EjNS0_10empty_typeEbEEZZNS1_14partition_implILS8_4ELb0ES6_15HIP_vector_typeIjLj2EENS0_17counting_iteratorIjlEEPS9_SG_NS0_5tupleIJPjSI_NS0_16reverse_iteratorISI_EEEEENSH_IJSG_SG_SG_EEES9_SI_JZNS1_25segmented_radix_sort_implINS0_14default_configELb1EPKlPlSQ_SR_N2at6native12_GLOBAL__N_18offset_tEEE10hipError_tPvRmT1_PNSt15iterator_traitsISZ_E10value_typeET2_T3_PNS10_IS15_E10value_typeET4_jRbjT5_S1B_jjP12ihipStream_tbEUljE_ZNSN_ISO_Lb1ESQ_SR_SQ_SR_SV_EESW_SX_SY_SZ_S13_S14_S15_S18_S19_jS1A_jS1B_S1B_jjS1D_bEUljE0_EEESW_SX_SY_S15_S19_S1B_T6_T7_T9_mT8_S1D_bDpT10_ENKUlT_T0_E_clISt17integral_constantIbLb0EES1R_EEDaS1M_S1N_EUlS1M_E_NS1_11comp_targetILNS1_3genE8ELNS1_11target_archE1030ELNS1_3gpuE2ELNS1_3repE0EEENS1_30default_config_static_selectorELNS0_4arch9wavefront6targetE0EEEvSZ_.uses_vcc, 0
	.set _ZN7rocprim17ROCPRIM_400000_NS6detail17trampoline_kernelINS0_13select_configILj256ELj13ELNS0_17block_load_methodE3ELS4_3ELS4_3ELNS0_20block_scan_algorithmE0ELj4294967295EEENS1_25partition_config_selectorILNS1_17partition_subalgoE4EjNS0_10empty_typeEbEEZZNS1_14partition_implILS8_4ELb0ES6_15HIP_vector_typeIjLj2EENS0_17counting_iteratorIjlEEPS9_SG_NS0_5tupleIJPjSI_NS0_16reverse_iteratorISI_EEEEENSH_IJSG_SG_SG_EEES9_SI_JZNS1_25segmented_radix_sort_implINS0_14default_configELb1EPKlPlSQ_SR_N2at6native12_GLOBAL__N_18offset_tEEE10hipError_tPvRmT1_PNSt15iterator_traitsISZ_E10value_typeET2_T3_PNS10_IS15_E10value_typeET4_jRbjT5_S1B_jjP12ihipStream_tbEUljE_ZNSN_ISO_Lb1ESQ_SR_SQ_SR_SV_EESW_SX_SY_SZ_S13_S14_S15_S18_S19_jS1A_jS1B_S1B_jjS1D_bEUljE0_EEESW_SX_SY_S15_S19_S1B_T6_T7_T9_mT8_S1D_bDpT10_ENKUlT_T0_E_clISt17integral_constantIbLb0EES1R_EEDaS1M_S1N_EUlS1M_E_NS1_11comp_targetILNS1_3genE8ELNS1_11target_archE1030ELNS1_3gpuE2ELNS1_3repE0EEENS1_30default_config_static_selectorELNS0_4arch9wavefront6targetE0EEEvSZ_.uses_flat_scratch, 0
	.set _ZN7rocprim17ROCPRIM_400000_NS6detail17trampoline_kernelINS0_13select_configILj256ELj13ELNS0_17block_load_methodE3ELS4_3ELS4_3ELNS0_20block_scan_algorithmE0ELj4294967295EEENS1_25partition_config_selectorILNS1_17partition_subalgoE4EjNS0_10empty_typeEbEEZZNS1_14partition_implILS8_4ELb0ES6_15HIP_vector_typeIjLj2EENS0_17counting_iteratorIjlEEPS9_SG_NS0_5tupleIJPjSI_NS0_16reverse_iteratorISI_EEEEENSH_IJSG_SG_SG_EEES9_SI_JZNS1_25segmented_radix_sort_implINS0_14default_configELb1EPKlPlSQ_SR_N2at6native12_GLOBAL__N_18offset_tEEE10hipError_tPvRmT1_PNSt15iterator_traitsISZ_E10value_typeET2_T3_PNS10_IS15_E10value_typeET4_jRbjT5_S1B_jjP12ihipStream_tbEUljE_ZNSN_ISO_Lb1ESQ_SR_SQ_SR_SV_EESW_SX_SY_SZ_S13_S14_S15_S18_S19_jS1A_jS1B_S1B_jjS1D_bEUljE0_EEESW_SX_SY_S15_S19_S1B_T6_T7_T9_mT8_S1D_bDpT10_ENKUlT_T0_E_clISt17integral_constantIbLb0EES1R_EEDaS1M_S1N_EUlS1M_E_NS1_11comp_targetILNS1_3genE8ELNS1_11target_archE1030ELNS1_3gpuE2ELNS1_3repE0EEENS1_30default_config_static_selectorELNS0_4arch9wavefront6targetE0EEEvSZ_.has_dyn_sized_stack, 0
	.set _ZN7rocprim17ROCPRIM_400000_NS6detail17trampoline_kernelINS0_13select_configILj256ELj13ELNS0_17block_load_methodE3ELS4_3ELS4_3ELNS0_20block_scan_algorithmE0ELj4294967295EEENS1_25partition_config_selectorILNS1_17partition_subalgoE4EjNS0_10empty_typeEbEEZZNS1_14partition_implILS8_4ELb0ES6_15HIP_vector_typeIjLj2EENS0_17counting_iteratorIjlEEPS9_SG_NS0_5tupleIJPjSI_NS0_16reverse_iteratorISI_EEEEENSH_IJSG_SG_SG_EEES9_SI_JZNS1_25segmented_radix_sort_implINS0_14default_configELb1EPKlPlSQ_SR_N2at6native12_GLOBAL__N_18offset_tEEE10hipError_tPvRmT1_PNSt15iterator_traitsISZ_E10value_typeET2_T3_PNS10_IS15_E10value_typeET4_jRbjT5_S1B_jjP12ihipStream_tbEUljE_ZNSN_ISO_Lb1ESQ_SR_SQ_SR_SV_EESW_SX_SY_SZ_S13_S14_S15_S18_S19_jS1A_jS1B_S1B_jjS1D_bEUljE0_EEESW_SX_SY_S15_S19_S1B_T6_T7_T9_mT8_S1D_bDpT10_ENKUlT_T0_E_clISt17integral_constantIbLb0EES1R_EEDaS1M_S1N_EUlS1M_E_NS1_11comp_targetILNS1_3genE8ELNS1_11target_archE1030ELNS1_3gpuE2ELNS1_3repE0EEENS1_30default_config_static_selectorELNS0_4arch9wavefront6targetE0EEEvSZ_.has_recursion, 0
	.set _ZN7rocprim17ROCPRIM_400000_NS6detail17trampoline_kernelINS0_13select_configILj256ELj13ELNS0_17block_load_methodE3ELS4_3ELS4_3ELNS0_20block_scan_algorithmE0ELj4294967295EEENS1_25partition_config_selectorILNS1_17partition_subalgoE4EjNS0_10empty_typeEbEEZZNS1_14partition_implILS8_4ELb0ES6_15HIP_vector_typeIjLj2EENS0_17counting_iteratorIjlEEPS9_SG_NS0_5tupleIJPjSI_NS0_16reverse_iteratorISI_EEEEENSH_IJSG_SG_SG_EEES9_SI_JZNS1_25segmented_radix_sort_implINS0_14default_configELb1EPKlPlSQ_SR_N2at6native12_GLOBAL__N_18offset_tEEE10hipError_tPvRmT1_PNSt15iterator_traitsISZ_E10value_typeET2_T3_PNS10_IS15_E10value_typeET4_jRbjT5_S1B_jjP12ihipStream_tbEUljE_ZNSN_ISO_Lb1ESQ_SR_SQ_SR_SV_EESW_SX_SY_SZ_S13_S14_S15_S18_S19_jS1A_jS1B_S1B_jjS1D_bEUljE0_EEESW_SX_SY_S15_S19_S1B_T6_T7_T9_mT8_S1D_bDpT10_ENKUlT_T0_E_clISt17integral_constantIbLb0EES1R_EEDaS1M_S1N_EUlS1M_E_NS1_11comp_targetILNS1_3genE8ELNS1_11target_archE1030ELNS1_3gpuE2ELNS1_3repE0EEENS1_30default_config_static_selectorELNS0_4arch9wavefront6targetE0EEEvSZ_.has_indirect_call, 0
	.section	.AMDGPU.csdata,"",@progbits
; Kernel info:
; codeLenInByte = 0
; TotalNumSgprs: 0
; NumVgprs: 0
; ScratchSize: 0
; MemoryBound: 0
; FloatMode: 240
; IeeeMode: 1
; LDSByteSize: 0 bytes/workgroup (compile time only)
; SGPRBlocks: 0
; VGPRBlocks: 0
; NumSGPRsForWavesPerEU: 1
; NumVGPRsForWavesPerEU: 1
; Occupancy: 16
; WaveLimiterHint : 0
; COMPUTE_PGM_RSRC2:SCRATCH_EN: 0
; COMPUTE_PGM_RSRC2:USER_SGPR: 2
; COMPUTE_PGM_RSRC2:TRAP_HANDLER: 0
; COMPUTE_PGM_RSRC2:TGID_X_EN: 1
; COMPUTE_PGM_RSRC2:TGID_Y_EN: 0
; COMPUTE_PGM_RSRC2:TGID_Z_EN: 0
; COMPUTE_PGM_RSRC2:TIDIG_COMP_CNT: 0
	.section	.text._ZN7rocprim17ROCPRIM_400000_NS6detail17trampoline_kernelINS0_13select_configILj256ELj13ELNS0_17block_load_methodE3ELS4_3ELS4_3ELNS0_20block_scan_algorithmE0ELj4294967295EEENS1_25partition_config_selectorILNS1_17partition_subalgoE4EjNS0_10empty_typeEbEEZZNS1_14partition_implILS8_4ELb0ES6_15HIP_vector_typeIjLj2EENS0_17counting_iteratorIjlEEPS9_SG_NS0_5tupleIJPjSI_NS0_16reverse_iteratorISI_EEEEENSH_IJSG_SG_SG_EEES9_SI_JZNS1_25segmented_radix_sort_implINS0_14default_configELb1EPKlPlSQ_SR_N2at6native12_GLOBAL__N_18offset_tEEE10hipError_tPvRmT1_PNSt15iterator_traitsISZ_E10value_typeET2_T3_PNS10_IS15_E10value_typeET4_jRbjT5_S1B_jjP12ihipStream_tbEUljE_ZNSN_ISO_Lb1ESQ_SR_SQ_SR_SV_EESW_SX_SY_SZ_S13_S14_S15_S18_S19_jS1A_jS1B_S1B_jjS1D_bEUljE0_EEESW_SX_SY_S15_S19_S1B_T6_T7_T9_mT8_S1D_bDpT10_ENKUlT_T0_E_clISt17integral_constantIbLb1EES1R_EEDaS1M_S1N_EUlS1M_E_NS1_11comp_targetILNS1_3genE0ELNS1_11target_archE4294967295ELNS1_3gpuE0ELNS1_3repE0EEENS1_30default_config_static_selectorELNS0_4arch9wavefront6targetE0EEEvSZ_,"axG",@progbits,_ZN7rocprim17ROCPRIM_400000_NS6detail17trampoline_kernelINS0_13select_configILj256ELj13ELNS0_17block_load_methodE3ELS4_3ELS4_3ELNS0_20block_scan_algorithmE0ELj4294967295EEENS1_25partition_config_selectorILNS1_17partition_subalgoE4EjNS0_10empty_typeEbEEZZNS1_14partition_implILS8_4ELb0ES6_15HIP_vector_typeIjLj2EENS0_17counting_iteratorIjlEEPS9_SG_NS0_5tupleIJPjSI_NS0_16reverse_iteratorISI_EEEEENSH_IJSG_SG_SG_EEES9_SI_JZNS1_25segmented_radix_sort_implINS0_14default_configELb1EPKlPlSQ_SR_N2at6native12_GLOBAL__N_18offset_tEEE10hipError_tPvRmT1_PNSt15iterator_traitsISZ_E10value_typeET2_T3_PNS10_IS15_E10value_typeET4_jRbjT5_S1B_jjP12ihipStream_tbEUljE_ZNSN_ISO_Lb1ESQ_SR_SQ_SR_SV_EESW_SX_SY_SZ_S13_S14_S15_S18_S19_jS1A_jS1B_S1B_jjS1D_bEUljE0_EEESW_SX_SY_S15_S19_S1B_T6_T7_T9_mT8_S1D_bDpT10_ENKUlT_T0_E_clISt17integral_constantIbLb1EES1R_EEDaS1M_S1N_EUlS1M_E_NS1_11comp_targetILNS1_3genE0ELNS1_11target_archE4294967295ELNS1_3gpuE0ELNS1_3repE0EEENS1_30default_config_static_selectorELNS0_4arch9wavefront6targetE0EEEvSZ_,comdat
	.globl	_ZN7rocprim17ROCPRIM_400000_NS6detail17trampoline_kernelINS0_13select_configILj256ELj13ELNS0_17block_load_methodE3ELS4_3ELS4_3ELNS0_20block_scan_algorithmE0ELj4294967295EEENS1_25partition_config_selectorILNS1_17partition_subalgoE4EjNS0_10empty_typeEbEEZZNS1_14partition_implILS8_4ELb0ES6_15HIP_vector_typeIjLj2EENS0_17counting_iteratorIjlEEPS9_SG_NS0_5tupleIJPjSI_NS0_16reverse_iteratorISI_EEEEENSH_IJSG_SG_SG_EEES9_SI_JZNS1_25segmented_radix_sort_implINS0_14default_configELb1EPKlPlSQ_SR_N2at6native12_GLOBAL__N_18offset_tEEE10hipError_tPvRmT1_PNSt15iterator_traitsISZ_E10value_typeET2_T3_PNS10_IS15_E10value_typeET4_jRbjT5_S1B_jjP12ihipStream_tbEUljE_ZNSN_ISO_Lb1ESQ_SR_SQ_SR_SV_EESW_SX_SY_SZ_S13_S14_S15_S18_S19_jS1A_jS1B_S1B_jjS1D_bEUljE0_EEESW_SX_SY_S15_S19_S1B_T6_T7_T9_mT8_S1D_bDpT10_ENKUlT_T0_E_clISt17integral_constantIbLb1EES1R_EEDaS1M_S1N_EUlS1M_E_NS1_11comp_targetILNS1_3genE0ELNS1_11target_archE4294967295ELNS1_3gpuE0ELNS1_3repE0EEENS1_30default_config_static_selectorELNS0_4arch9wavefront6targetE0EEEvSZ_ ; -- Begin function _ZN7rocprim17ROCPRIM_400000_NS6detail17trampoline_kernelINS0_13select_configILj256ELj13ELNS0_17block_load_methodE3ELS4_3ELS4_3ELNS0_20block_scan_algorithmE0ELj4294967295EEENS1_25partition_config_selectorILNS1_17partition_subalgoE4EjNS0_10empty_typeEbEEZZNS1_14partition_implILS8_4ELb0ES6_15HIP_vector_typeIjLj2EENS0_17counting_iteratorIjlEEPS9_SG_NS0_5tupleIJPjSI_NS0_16reverse_iteratorISI_EEEEENSH_IJSG_SG_SG_EEES9_SI_JZNS1_25segmented_radix_sort_implINS0_14default_configELb1EPKlPlSQ_SR_N2at6native12_GLOBAL__N_18offset_tEEE10hipError_tPvRmT1_PNSt15iterator_traitsISZ_E10value_typeET2_T3_PNS10_IS15_E10value_typeET4_jRbjT5_S1B_jjP12ihipStream_tbEUljE_ZNSN_ISO_Lb1ESQ_SR_SQ_SR_SV_EESW_SX_SY_SZ_S13_S14_S15_S18_S19_jS1A_jS1B_S1B_jjS1D_bEUljE0_EEESW_SX_SY_S15_S19_S1B_T6_T7_T9_mT8_S1D_bDpT10_ENKUlT_T0_E_clISt17integral_constantIbLb1EES1R_EEDaS1M_S1N_EUlS1M_E_NS1_11comp_targetILNS1_3genE0ELNS1_11target_archE4294967295ELNS1_3gpuE0ELNS1_3repE0EEENS1_30default_config_static_selectorELNS0_4arch9wavefront6targetE0EEEvSZ_
	.p2align	8
	.type	_ZN7rocprim17ROCPRIM_400000_NS6detail17trampoline_kernelINS0_13select_configILj256ELj13ELNS0_17block_load_methodE3ELS4_3ELS4_3ELNS0_20block_scan_algorithmE0ELj4294967295EEENS1_25partition_config_selectorILNS1_17partition_subalgoE4EjNS0_10empty_typeEbEEZZNS1_14partition_implILS8_4ELb0ES6_15HIP_vector_typeIjLj2EENS0_17counting_iteratorIjlEEPS9_SG_NS0_5tupleIJPjSI_NS0_16reverse_iteratorISI_EEEEENSH_IJSG_SG_SG_EEES9_SI_JZNS1_25segmented_radix_sort_implINS0_14default_configELb1EPKlPlSQ_SR_N2at6native12_GLOBAL__N_18offset_tEEE10hipError_tPvRmT1_PNSt15iterator_traitsISZ_E10value_typeET2_T3_PNS10_IS15_E10value_typeET4_jRbjT5_S1B_jjP12ihipStream_tbEUljE_ZNSN_ISO_Lb1ESQ_SR_SQ_SR_SV_EESW_SX_SY_SZ_S13_S14_S15_S18_S19_jS1A_jS1B_S1B_jjS1D_bEUljE0_EEESW_SX_SY_S15_S19_S1B_T6_T7_T9_mT8_S1D_bDpT10_ENKUlT_T0_E_clISt17integral_constantIbLb1EES1R_EEDaS1M_S1N_EUlS1M_E_NS1_11comp_targetILNS1_3genE0ELNS1_11target_archE4294967295ELNS1_3gpuE0ELNS1_3repE0EEENS1_30default_config_static_selectorELNS0_4arch9wavefront6targetE0EEEvSZ_,@function
_ZN7rocprim17ROCPRIM_400000_NS6detail17trampoline_kernelINS0_13select_configILj256ELj13ELNS0_17block_load_methodE3ELS4_3ELS4_3ELNS0_20block_scan_algorithmE0ELj4294967295EEENS1_25partition_config_selectorILNS1_17partition_subalgoE4EjNS0_10empty_typeEbEEZZNS1_14partition_implILS8_4ELb0ES6_15HIP_vector_typeIjLj2EENS0_17counting_iteratorIjlEEPS9_SG_NS0_5tupleIJPjSI_NS0_16reverse_iteratorISI_EEEEENSH_IJSG_SG_SG_EEES9_SI_JZNS1_25segmented_radix_sort_implINS0_14default_configELb1EPKlPlSQ_SR_N2at6native12_GLOBAL__N_18offset_tEEE10hipError_tPvRmT1_PNSt15iterator_traitsISZ_E10value_typeET2_T3_PNS10_IS15_E10value_typeET4_jRbjT5_S1B_jjP12ihipStream_tbEUljE_ZNSN_ISO_Lb1ESQ_SR_SQ_SR_SV_EESW_SX_SY_SZ_S13_S14_S15_S18_S19_jS1A_jS1B_S1B_jjS1D_bEUljE0_EEESW_SX_SY_S15_S19_S1B_T6_T7_T9_mT8_S1D_bDpT10_ENKUlT_T0_E_clISt17integral_constantIbLb1EES1R_EEDaS1M_S1N_EUlS1M_E_NS1_11comp_targetILNS1_3genE0ELNS1_11target_archE4294967295ELNS1_3gpuE0ELNS1_3repE0EEENS1_30default_config_static_selectorELNS0_4arch9wavefront6targetE0EEEvSZ_: ; @_ZN7rocprim17ROCPRIM_400000_NS6detail17trampoline_kernelINS0_13select_configILj256ELj13ELNS0_17block_load_methodE3ELS4_3ELS4_3ELNS0_20block_scan_algorithmE0ELj4294967295EEENS1_25partition_config_selectorILNS1_17partition_subalgoE4EjNS0_10empty_typeEbEEZZNS1_14partition_implILS8_4ELb0ES6_15HIP_vector_typeIjLj2EENS0_17counting_iteratorIjlEEPS9_SG_NS0_5tupleIJPjSI_NS0_16reverse_iteratorISI_EEEEENSH_IJSG_SG_SG_EEES9_SI_JZNS1_25segmented_radix_sort_implINS0_14default_configELb1EPKlPlSQ_SR_N2at6native12_GLOBAL__N_18offset_tEEE10hipError_tPvRmT1_PNSt15iterator_traitsISZ_E10value_typeET2_T3_PNS10_IS15_E10value_typeET4_jRbjT5_S1B_jjP12ihipStream_tbEUljE_ZNSN_ISO_Lb1ESQ_SR_SQ_SR_SV_EESW_SX_SY_SZ_S13_S14_S15_S18_S19_jS1A_jS1B_S1B_jjS1D_bEUljE0_EEESW_SX_SY_S15_S19_S1B_T6_T7_T9_mT8_S1D_bDpT10_ENKUlT_T0_E_clISt17integral_constantIbLb1EES1R_EEDaS1M_S1N_EUlS1M_E_NS1_11comp_targetILNS1_3genE0ELNS1_11target_archE4294967295ELNS1_3gpuE0ELNS1_3repE0EEENS1_30default_config_static_selectorELNS0_4arch9wavefront6targetE0EEEvSZ_
; %bb.0:
	.section	.rodata,"a",@progbits
	.p2align	6, 0x0
	.amdhsa_kernel _ZN7rocprim17ROCPRIM_400000_NS6detail17trampoline_kernelINS0_13select_configILj256ELj13ELNS0_17block_load_methodE3ELS4_3ELS4_3ELNS0_20block_scan_algorithmE0ELj4294967295EEENS1_25partition_config_selectorILNS1_17partition_subalgoE4EjNS0_10empty_typeEbEEZZNS1_14partition_implILS8_4ELb0ES6_15HIP_vector_typeIjLj2EENS0_17counting_iteratorIjlEEPS9_SG_NS0_5tupleIJPjSI_NS0_16reverse_iteratorISI_EEEEENSH_IJSG_SG_SG_EEES9_SI_JZNS1_25segmented_radix_sort_implINS0_14default_configELb1EPKlPlSQ_SR_N2at6native12_GLOBAL__N_18offset_tEEE10hipError_tPvRmT1_PNSt15iterator_traitsISZ_E10value_typeET2_T3_PNS10_IS15_E10value_typeET4_jRbjT5_S1B_jjP12ihipStream_tbEUljE_ZNSN_ISO_Lb1ESQ_SR_SQ_SR_SV_EESW_SX_SY_SZ_S13_S14_S15_S18_S19_jS1A_jS1B_S1B_jjS1D_bEUljE0_EEESW_SX_SY_S15_S19_S1B_T6_T7_T9_mT8_S1D_bDpT10_ENKUlT_T0_E_clISt17integral_constantIbLb1EES1R_EEDaS1M_S1N_EUlS1M_E_NS1_11comp_targetILNS1_3genE0ELNS1_11target_archE4294967295ELNS1_3gpuE0ELNS1_3repE0EEENS1_30default_config_static_selectorELNS0_4arch9wavefront6targetE0EEEvSZ_
		.amdhsa_group_segment_fixed_size 0
		.amdhsa_private_segment_fixed_size 0
		.amdhsa_kernarg_size 184
		.amdhsa_user_sgpr_count 2
		.amdhsa_user_sgpr_dispatch_ptr 0
		.amdhsa_user_sgpr_queue_ptr 0
		.amdhsa_user_sgpr_kernarg_segment_ptr 1
		.amdhsa_user_sgpr_dispatch_id 0
		.amdhsa_user_sgpr_private_segment_size 0
		.amdhsa_wavefront_size32 1
		.amdhsa_uses_dynamic_stack 0
		.amdhsa_enable_private_segment 0
		.amdhsa_system_sgpr_workgroup_id_x 1
		.amdhsa_system_sgpr_workgroup_id_y 0
		.amdhsa_system_sgpr_workgroup_id_z 0
		.amdhsa_system_sgpr_workgroup_info 0
		.amdhsa_system_vgpr_workitem_id 0
		.amdhsa_next_free_vgpr 1
		.amdhsa_next_free_sgpr 1
		.amdhsa_reserve_vcc 0
		.amdhsa_float_round_mode_32 0
		.amdhsa_float_round_mode_16_64 0
		.amdhsa_float_denorm_mode_32 3
		.amdhsa_float_denorm_mode_16_64 3
		.amdhsa_fp16_overflow 0
		.amdhsa_workgroup_processor_mode 1
		.amdhsa_memory_ordered 1
		.amdhsa_forward_progress 1
		.amdhsa_inst_pref_size 0
		.amdhsa_round_robin_scheduling 0
		.amdhsa_exception_fp_ieee_invalid_op 0
		.amdhsa_exception_fp_denorm_src 0
		.amdhsa_exception_fp_ieee_div_zero 0
		.amdhsa_exception_fp_ieee_overflow 0
		.amdhsa_exception_fp_ieee_underflow 0
		.amdhsa_exception_fp_ieee_inexact 0
		.amdhsa_exception_int_div_zero 0
	.end_amdhsa_kernel
	.section	.text._ZN7rocprim17ROCPRIM_400000_NS6detail17trampoline_kernelINS0_13select_configILj256ELj13ELNS0_17block_load_methodE3ELS4_3ELS4_3ELNS0_20block_scan_algorithmE0ELj4294967295EEENS1_25partition_config_selectorILNS1_17partition_subalgoE4EjNS0_10empty_typeEbEEZZNS1_14partition_implILS8_4ELb0ES6_15HIP_vector_typeIjLj2EENS0_17counting_iteratorIjlEEPS9_SG_NS0_5tupleIJPjSI_NS0_16reverse_iteratorISI_EEEEENSH_IJSG_SG_SG_EEES9_SI_JZNS1_25segmented_radix_sort_implINS0_14default_configELb1EPKlPlSQ_SR_N2at6native12_GLOBAL__N_18offset_tEEE10hipError_tPvRmT1_PNSt15iterator_traitsISZ_E10value_typeET2_T3_PNS10_IS15_E10value_typeET4_jRbjT5_S1B_jjP12ihipStream_tbEUljE_ZNSN_ISO_Lb1ESQ_SR_SQ_SR_SV_EESW_SX_SY_SZ_S13_S14_S15_S18_S19_jS1A_jS1B_S1B_jjS1D_bEUljE0_EEESW_SX_SY_S15_S19_S1B_T6_T7_T9_mT8_S1D_bDpT10_ENKUlT_T0_E_clISt17integral_constantIbLb1EES1R_EEDaS1M_S1N_EUlS1M_E_NS1_11comp_targetILNS1_3genE0ELNS1_11target_archE4294967295ELNS1_3gpuE0ELNS1_3repE0EEENS1_30default_config_static_selectorELNS0_4arch9wavefront6targetE0EEEvSZ_,"axG",@progbits,_ZN7rocprim17ROCPRIM_400000_NS6detail17trampoline_kernelINS0_13select_configILj256ELj13ELNS0_17block_load_methodE3ELS4_3ELS4_3ELNS0_20block_scan_algorithmE0ELj4294967295EEENS1_25partition_config_selectorILNS1_17partition_subalgoE4EjNS0_10empty_typeEbEEZZNS1_14partition_implILS8_4ELb0ES6_15HIP_vector_typeIjLj2EENS0_17counting_iteratorIjlEEPS9_SG_NS0_5tupleIJPjSI_NS0_16reverse_iteratorISI_EEEEENSH_IJSG_SG_SG_EEES9_SI_JZNS1_25segmented_radix_sort_implINS0_14default_configELb1EPKlPlSQ_SR_N2at6native12_GLOBAL__N_18offset_tEEE10hipError_tPvRmT1_PNSt15iterator_traitsISZ_E10value_typeET2_T3_PNS10_IS15_E10value_typeET4_jRbjT5_S1B_jjP12ihipStream_tbEUljE_ZNSN_ISO_Lb1ESQ_SR_SQ_SR_SV_EESW_SX_SY_SZ_S13_S14_S15_S18_S19_jS1A_jS1B_S1B_jjS1D_bEUljE0_EEESW_SX_SY_S15_S19_S1B_T6_T7_T9_mT8_S1D_bDpT10_ENKUlT_T0_E_clISt17integral_constantIbLb1EES1R_EEDaS1M_S1N_EUlS1M_E_NS1_11comp_targetILNS1_3genE0ELNS1_11target_archE4294967295ELNS1_3gpuE0ELNS1_3repE0EEENS1_30default_config_static_selectorELNS0_4arch9wavefront6targetE0EEEvSZ_,comdat
.Lfunc_end648:
	.size	_ZN7rocprim17ROCPRIM_400000_NS6detail17trampoline_kernelINS0_13select_configILj256ELj13ELNS0_17block_load_methodE3ELS4_3ELS4_3ELNS0_20block_scan_algorithmE0ELj4294967295EEENS1_25partition_config_selectorILNS1_17partition_subalgoE4EjNS0_10empty_typeEbEEZZNS1_14partition_implILS8_4ELb0ES6_15HIP_vector_typeIjLj2EENS0_17counting_iteratorIjlEEPS9_SG_NS0_5tupleIJPjSI_NS0_16reverse_iteratorISI_EEEEENSH_IJSG_SG_SG_EEES9_SI_JZNS1_25segmented_radix_sort_implINS0_14default_configELb1EPKlPlSQ_SR_N2at6native12_GLOBAL__N_18offset_tEEE10hipError_tPvRmT1_PNSt15iterator_traitsISZ_E10value_typeET2_T3_PNS10_IS15_E10value_typeET4_jRbjT5_S1B_jjP12ihipStream_tbEUljE_ZNSN_ISO_Lb1ESQ_SR_SQ_SR_SV_EESW_SX_SY_SZ_S13_S14_S15_S18_S19_jS1A_jS1B_S1B_jjS1D_bEUljE0_EEESW_SX_SY_S15_S19_S1B_T6_T7_T9_mT8_S1D_bDpT10_ENKUlT_T0_E_clISt17integral_constantIbLb1EES1R_EEDaS1M_S1N_EUlS1M_E_NS1_11comp_targetILNS1_3genE0ELNS1_11target_archE4294967295ELNS1_3gpuE0ELNS1_3repE0EEENS1_30default_config_static_selectorELNS0_4arch9wavefront6targetE0EEEvSZ_, .Lfunc_end648-_ZN7rocprim17ROCPRIM_400000_NS6detail17trampoline_kernelINS0_13select_configILj256ELj13ELNS0_17block_load_methodE3ELS4_3ELS4_3ELNS0_20block_scan_algorithmE0ELj4294967295EEENS1_25partition_config_selectorILNS1_17partition_subalgoE4EjNS0_10empty_typeEbEEZZNS1_14partition_implILS8_4ELb0ES6_15HIP_vector_typeIjLj2EENS0_17counting_iteratorIjlEEPS9_SG_NS0_5tupleIJPjSI_NS0_16reverse_iteratorISI_EEEEENSH_IJSG_SG_SG_EEES9_SI_JZNS1_25segmented_radix_sort_implINS0_14default_configELb1EPKlPlSQ_SR_N2at6native12_GLOBAL__N_18offset_tEEE10hipError_tPvRmT1_PNSt15iterator_traitsISZ_E10value_typeET2_T3_PNS10_IS15_E10value_typeET4_jRbjT5_S1B_jjP12ihipStream_tbEUljE_ZNSN_ISO_Lb1ESQ_SR_SQ_SR_SV_EESW_SX_SY_SZ_S13_S14_S15_S18_S19_jS1A_jS1B_S1B_jjS1D_bEUljE0_EEESW_SX_SY_S15_S19_S1B_T6_T7_T9_mT8_S1D_bDpT10_ENKUlT_T0_E_clISt17integral_constantIbLb1EES1R_EEDaS1M_S1N_EUlS1M_E_NS1_11comp_targetILNS1_3genE0ELNS1_11target_archE4294967295ELNS1_3gpuE0ELNS1_3repE0EEENS1_30default_config_static_selectorELNS0_4arch9wavefront6targetE0EEEvSZ_
                                        ; -- End function
	.set _ZN7rocprim17ROCPRIM_400000_NS6detail17trampoline_kernelINS0_13select_configILj256ELj13ELNS0_17block_load_methodE3ELS4_3ELS4_3ELNS0_20block_scan_algorithmE0ELj4294967295EEENS1_25partition_config_selectorILNS1_17partition_subalgoE4EjNS0_10empty_typeEbEEZZNS1_14partition_implILS8_4ELb0ES6_15HIP_vector_typeIjLj2EENS0_17counting_iteratorIjlEEPS9_SG_NS0_5tupleIJPjSI_NS0_16reverse_iteratorISI_EEEEENSH_IJSG_SG_SG_EEES9_SI_JZNS1_25segmented_radix_sort_implINS0_14default_configELb1EPKlPlSQ_SR_N2at6native12_GLOBAL__N_18offset_tEEE10hipError_tPvRmT1_PNSt15iterator_traitsISZ_E10value_typeET2_T3_PNS10_IS15_E10value_typeET4_jRbjT5_S1B_jjP12ihipStream_tbEUljE_ZNSN_ISO_Lb1ESQ_SR_SQ_SR_SV_EESW_SX_SY_SZ_S13_S14_S15_S18_S19_jS1A_jS1B_S1B_jjS1D_bEUljE0_EEESW_SX_SY_S15_S19_S1B_T6_T7_T9_mT8_S1D_bDpT10_ENKUlT_T0_E_clISt17integral_constantIbLb1EES1R_EEDaS1M_S1N_EUlS1M_E_NS1_11comp_targetILNS1_3genE0ELNS1_11target_archE4294967295ELNS1_3gpuE0ELNS1_3repE0EEENS1_30default_config_static_selectorELNS0_4arch9wavefront6targetE0EEEvSZ_.num_vgpr, 0
	.set _ZN7rocprim17ROCPRIM_400000_NS6detail17trampoline_kernelINS0_13select_configILj256ELj13ELNS0_17block_load_methodE3ELS4_3ELS4_3ELNS0_20block_scan_algorithmE0ELj4294967295EEENS1_25partition_config_selectorILNS1_17partition_subalgoE4EjNS0_10empty_typeEbEEZZNS1_14partition_implILS8_4ELb0ES6_15HIP_vector_typeIjLj2EENS0_17counting_iteratorIjlEEPS9_SG_NS0_5tupleIJPjSI_NS0_16reverse_iteratorISI_EEEEENSH_IJSG_SG_SG_EEES9_SI_JZNS1_25segmented_radix_sort_implINS0_14default_configELb1EPKlPlSQ_SR_N2at6native12_GLOBAL__N_18offset_tEEE10hipError_tPvRmT1_PNSt15iterator_traitsISZ_E10value_typeET2_T3_PNS10_IS15_E10value_typeET4_jRbjT5_S1B_jjP12ihipStream_tbEUljE_ZNSN_ISO_Lb1ESQ_SR_SQ_SR_SV_EESW_SX_SY_SZ_S13_S14_S15_S18_S19_jS1A_jS1B_S1B_jjS1D_bEUljE0_EEESW_SX_SY_S15_S19_S1B_T6_T7_T9_mT8_S1D_bDpT10_ENKUlT_T0_E_clISt17integral_constantIbLb1EES1R_EEDaS1M_S1N_EUlS1M_E_NS1_11comp_targetILNS1_3genE0ELNS1_11target_archE4294967295ELNS1_3gpuE0ELNS1_3repE0EEENS1_30default_config_static_selectorELNS0_4arch9wavefront6targetE0EEEvSZ_.num_agpr, 0
	.set _ZN7rocprim17ROCPRIM_400000_NS6detail17trampoline_kernelINS0_13select_configILj256ELj13ELNS0_17block_load_methodE3ELS4_3ELS4_3ELNS0_20block_scan_algorithmE0ELj4294967295EEENS1_25partition_config_selectorILNS1_17partition_subalgoE4EjNS0_10empty_typeEbEEZZNS1_14partition_implILS8_4ELb0ES6_15HIP_vector_typeIjLj2EENS0_17counting_iteratorIjlEEPS9_SG_NS0_5tupleIJPjSI_NS0_16reverse_iteratorISI_EEEEENSH_IJSG_SG_SG_EEES9_SI_JZNS1_25segmented_radix_sort_implINS0_14default_configELb1EPKlPlSQ_SR_N2at6native12_GLOBAL__N_18offset_tEEE10hipError_tPvRmT1_PNSt15iterator_traitsISZ_E10value_typeET2_T3_PNS10_IS15_E10value_typeET4_jRbjT5_S1B_jjP12ihipStream_tbEUljE_ZNSN_ISO_Lb1ESQ_SR_SQ_SR_SV_EESW_SX_SY_SZ_S13_S14_S15_S18_S19_jS1A_jS1B_S1B_jjS1D_bEUljE0_EEESW_SX_SY_S15_S19_S1B_T6_T7_T9_mT8_S1D_bDpT10_ENKUlT_T0_E_clISt17integral_constantIbLb1EES1R_EEDaS1M_S1N_EUlS1M_E_NS1_11comp_targetILNS1_3genE0ELNS1_11target_archE4294967295ELNS1_3gpuE0ELNS1_3repE0EEENS1_30default_config_static_selectorELNS0_4arch9wavefront6targetE0EEEvSZ_.numbered_sgpr, 0
	.set _ZN7rocprim17ROCPRIM_400000_NS6detail17trampoline_kernelINS0_13select_configILj256ELj13ELNS0_17block_load_methodE3ELS4_3ELS4_3ELNS0_20block_scan_algorithmE0ELj4294967295EEENS1_25partition_config_selectorILNS1_17partition_subalgoE4EjNS0_10empty_typeEbEEZZNS1_14partition_implILS8_4ELb0ES6_15HIP_vector_typeIjLj2EENS0_17counting_iteratorIjlEEPS9_SG_NS0_5tupleIJPjSI_NS0_16reverse_iteratorISI_EEEEENSH_IJSG_SG_SG_EEES9_SI_JZNS1_25segmented_radix_sort_implINS0_14default_configELb1EPKlPlSQ_SR_N2at6native12_GLOBAL__N_18offset_tEEE10hipError_tPvRmT1_PNSt15iterator_traitsISZ_E10value_typeET2_T3_PNS10_IS15_E10value_typeET4_jRbjT5_S1B_jjP12ihipStream_tbEUljE_ZNSN_ISO_Lb1ESQ_SR_SQ_SR_SV_EESW_SX_SY_SZ_S13_S14_S15_S18_S19_jS1A_jS1B_S1B_jjS1D_bEUljE0_EEESW_SX_SY_S15_S19_S1B_T6_T7_T9_mT8_S1D_bDpT10_ENKUlT_T0_E_clISt17integral_constantIbLb1EES1R_EEDaS1M_S1N_EUlS1M_E_NS1_11comp_targetILNS1_3genE0ELNS1_11target_archE4294967295ELNS1_3gpuE0ELNS1_3repE0EEENS1_30default_config_static_selectorELNS0_4arch9wavefront6targetE0EEEvSZ_.num_named_barrier, 0
	.set _ZN7rocprim17ROCPRIM_400000_NS6detail17trampoline_kernelINS0_13select_configILj256ELj13ELNS0_17block_load_methodE3ELS4_3ELS4_3ELNS0_20block_scan_algorithmE0ELj4294967295EEENS1_25partition_config_selectorILNS1_17partition_subalgoE4EjNS0_10empty_typeEbEEZZNS1_14partition_implILS8_4ELb0ES6_15HIP_vector_typeIjLj2EENS0_17counting_iteratorIjlEEPS9_SG_NS0_5tupleIJPjSI_NS0_16reverse_iteratorISI_EEEEENSH_IJSG_SG_SG_EEES9_SI_JZNS1_25segmented_radix_sort_implINS0_14default_configELb1EPKlPlSQ_SR_N2at6native12_GLOBAL__N_18offset_tEEE10hipError_tPvRmT1_PNSt15iterator_traitsISZ_E10value_typeET2_T3_PNS10_IS15_E10value_typeET4_jRbjT5_S1B_jjP12ihipStream_tbEUljE_ZNSN_ISO_Lb1ESQ_SR_SQ_SR_SV_EESW_SX_SY_SZ_S13_S14_S15_S18_S19_jS1A_jS1B_S1B_jjS1D_bEUljE0_EEESW_SX_SY_S15_S19_S1B_T6_T7_T9_mT8_S1D_bDpT10_ENKUlT_T0_E_clISt17integral_constantIbLb1EES1R_EEDaS1M_S1N_EUlS1M_E_NS1_11comp_targetILNS1_3genE0ELNS1_11target_archE4294967295ELNS1_3gpuE0ELNS1_3repE0EEENS1_30default_config_static_selectorELNS0_4arch9wavefront6targetE0EEEvSZ_.private_seg_size, 0
	.set _ZN7rocprim17ROCPRIM_400000_NS6detail17trampoline_kernelINS0_13select_configILj256ELj13ELNS0_17block_load_methodE3ELS4_3ELS4_3ELNS0_20block_scan_algorithmE0ELj4294967295EEENS1_25partition_config_selectorILNS1_17partition_subalgoE4EjNS0_10empty_typeEbEEZZNS1_14partition_implILS8_4ELb0ES6_15HIP_vector_typeIjLj2EENS0_17counting_iteratorIjlEEPS9_SG_NS0_5tupleIJPjSI_NS0_16reverse_iteratorISI_EEEEENSH_IJSG_SG_SG_EEES9_SI_JZNS1_25segmented_radix_sort_implINS0_14default_configELb1EPKlPlSQ_SR_N2at6native12_GLOBAL__N_18offset_tEEE10hipError_tPvRmT1_PNSt15iterator_traitsISZ_E10value_typeET2_T3_PNS10_IS15_E10value_typeET4_jRbjT5_S1B_jjP12ihipStream_tbEUljE_ZNSN_ISO_Lb1ESQ_SR_SQ_SR_SV_EESW_SX_SY_SZ_S13_S14_S15_S18_S19_jS1A_jS1B_S1B_jjS1D_bEUljE0_EEESW_SX_SY_S15_S19_S1B_T6_T7_T9_mT8_S1D_bDpT10_ENKUlT_T0_E_clISt17integral_constantIbLb1EES1R_EEDaS1M_S1N_EUlS1M_E_NS1_11comp_targetILNS1_3genE0ELNS1_11target_archE4294967295ELNS1_3gpuE0ELNS1_3repE0EEENS1_30default_config_static_selectorELNS0_4arch9wavefront6targetE0EEEvSZ_.uses_vcc, 0
	.set _ZN7rocprim17ROCPRIM_400000_NS6detail17trampoline_kernelINS0_13select_configILj256ELj13ELNS0_17block_load_methodE3ELS4_3ELS4_3ELNS0_20block_scan_algorithmE0ELj4294967295EEENS1_25partition_config_selectorILNS1_17partition_subalgoE4EjNS0_10empty_typeEbEEZZNS1_14partition_implILS8_4ELb0ES6_15HIP_vector_typeIjLj2EENS0_17counting_iteratorIjlEEPS9_SG_NS0_5tupleIJPjSI_NS0_16reverse_iteratorISI_EEEEENSH_IJSG_SG_SG_EEES9_SI_JZNS1_25segmented_radix_sort_implINS0_14default_configELb1EPKlPlSQ_SR_N2at6native12_GLOBAL__N_18offset_tEEE10hipError_tPvRmT1_PNSt15iterator_traitsISZ_E10value_typeET2_T3_PNS10_IS15_E10value_typeET4_jRbjT5_S1B_jjP12ihipStream_tbEUljE_ZNSN_ISO_Lb1ESQ_SR_SQ_SR_SV_EESW_SX_SY_SZ_S13_S14_S15_S18_S19_jS1A_jS1B_S1B_jjS1D_bEUljE0_EEESW_SX_SY_S15_S19_S1B_T6_T7_T9_mT8_S1D_bDpT10_ENKUlT_T0_E_clISt17integral_constantIbLb1EES1R_EEDaS1M_S1N_EUlS1M_E_NS1_11comp_targetILNS1_3genE0ELNS1_11target_archE4294967295ELNS1_3gpuE0ELNS1_3repE0EEENS1_30default_config_static_selectorELNS0_4arch9wavefront6targetE0EEEvSZ_.uses_flat_scratch, 0
	.set _ZN7rocprim17ROCPRIM_400000_NS6detail17trampoline_kernelINS0_13select_configILj256ELj13ELNS0_17block_load_methodE3ELS4_3ELS4_3ELNS0_20block_scan_algorithmE0ELj4294967295EEENS1_25partition_config_selectorILNS1_17partition_subalgoE4EjNS0_10empty_typeEbEEZZNS1_14partition_implILS8_4ELb0ES6_15HIP_vector_typeIjLj2EENS0_17counting_iteratorIjlEEPS9_SG_NS0_5tupleIJPjSI_NS0_16reverse_iteratorISI_EEEEENSH_IJSG_SG_SG_EEES9_SI_JZNS1_25segmented_radix_sort_implINS0_14default_configELb1EPKlPlSQ_SR_N2at6native12_GLOBAL__N_18offset_tEEE10hipError_tPvRmT1_PNSt15iterator_traitsISZ_E10value_typeET2_T3_PNS10_IS15_E10value_typeET4_jRbjT5_S1B_jjP12ihipStream_tbEUljE_ZNSN_ISO_Lb1ESQ_SR_SQ_SR_SV_EESW_SX_SY_SZ_S13_S14_S15_S18_S19_jS1A_jS1B_S1B_jjS1D_bEUljE0_EEESW_SX_SY_S15_S19_S1B_T6_T7_T9_mT8_S1D_bDpT10_ENKUlT_T0_E_clISt17integral_constantIbLb1EES1R_EEDaS1M_S1N_EUlS1M_E_NS1_11comp_targetILNS1_3genE0ELNS1_11target_archE4294967295ELNS1_3gpuE0ELNS1_3repE0EEENS1_30default_config_static_selectorELNS0_4arch9wavefront6targetE0EEEvSZ_.has_dyn_sized_stack, 0
	.set _ZN7rocprim17ROCPRIM_400000_NS6detail17trampoline_kernelINS0_13select_configILj256ELj13ELNS0_17block_load_methodE3ELS4_3ELS4_3ELNS0_20block_scan_algorithmE0ELj4294967295EEENS1_25partition_config_selectorILNS1_17partition_subalgoE4EjNS0_10empty_typeEbEEZZNS1_14partition_implILS8_4ELb0ES6_15HIP_vector_typeIjLj2EENS0_17counting_iteratorIjlEEPS9_SG_NS0_5tupleIJPjSI_NS0_16reverse_iteratorISI_EEEEENSH_IJSG_SG_SG_EEES9_SI_JZNS1_25segmented_radix_sort_implINS0_14default_configELb1EPKlPlSQ_SR_N2at6native12_GLOBAL__N_18offset_tEEE10hipError_tPvRmT1_PNSt15iterator_traitsISZ_E10value_typeET2_T3_PNS10_IS15_E10value_typeET4_jRbjT5_S1B_jjP12ihipStream_tbEUljE_ZNSN_ISO_Lb1ESQ_SR_SQ_SR_SV_EESW_SX_SY_SZ_S13_S14_S15_S18_S19_jS1A_jS1B_S1B_jjS1D_bEUljE0_EEESW_SX_SY_S15_S19_S1B_T6_T7_T9_mT8_S1D_bDpT10_ENKUlT_T0_E_clISt17integral_constantIbLb1EES1R_EEDaS1M_S1N_EUlS1M_E_NS1_11comp_targetILNS1_3genE0ELNS1_11target_archE4294967295ELNS1_3gpuE0ELNS1_3repE0EEENS1_30default_config_static_selectorELNS0_4arch9wavefront6targetE0EEEvSZ_.has_recursion, 0
	.set _ZN7rocprim17ROCPRIM_400000_NS6detail17trampoline_kernelINS0_13select_configILj256ELj13ELNS0_17block_load_methodE3ELS4_3ELS4_3ELNS0_20block_scan_algorithmE0ELj4294967295EEENS1_25partition_config_selectorILNS1_17partition_subalgoE4EjNS0_10empty_typeEbEEZZNS1_14partition_implILS8_4ELb0ES6_15HIP_vector_typeIjLj2EENS0_17counting_iteratorIjlEEPS9_SG_NS0_5tupleIJPjSI_NS0_16reverse_iteratorISI_EEEEENSH_IJSG_SG_SG_EEES9_SI_JZNS1_25segmented_radix_sort_implINS0_14default_configELb1EPKlPlSQ_SR_N2at6native12_GLOBAL__N_18offset_tEEE10hipError_tPvRmT1_PNSt15iterator_traitsISZ_E10value_typeET2_T3_PNS10_IS15_E10value_typeET4_jRbjT5_S1B_jjP12ihipStream_tbEUljE_ZNSN_ISO_Lb1ESQ_SR_SQ_SR_SV_EESW_SX_SY_SZ_S13_S14_S15_S18_S19_jS1A_jS1B_S1B_jjS1D_bEUljE0_EEESW_SX_SY_S15_S19_S1B_T6_T7_T9_mT8_S1D_bDpT10_ENKUlT_T0_E_clISt17integral_constantIbLb1EES1R_EEDaS1M_S1N_EUlS1M_E_NS1_11comp_targetILNS1_3genE0ELNS1_11target_archE4294967295ELNS1_3gpuE0ELNS1_3repE0EEENS1_30default_config_static_selectorELNS0_4arch9wavefront6targetE0EEEvSZ_.has_indirect_call, 0
	.section	.AMDGPU.csdata,"",@progbits
; Kernel info:
; codeLenInByte = 0
; TotalNumSgprs: 0
; NumVgprs: 0
; ScratchSize: 0
; MemoryBound: 0
; FloatMode: 240
; IeeeMode: 1
; LDSByteSize: 0 bytes/workgroup (compile time only)
; SGPRBlocks: 0
; VGPRBlocks: 0
; NumSGPRsForWavesPerEU: 1
; NumVGPRsForWavesPerEU: 1
; Occupancy: 16
; WaveLimiterHint : 0
; COMPUTE_PGM_RSRC2:SCRATCH_EN: 0
; COMPUTE_PGM_RSRC2:USER_SGPR: 2
; COMPUTE_PGM_RSRC2:TRAP_HANDLER: 0
; COMPUTE_PGM_RSRC2:TGID_X_EN: 1
; COMPUTE_PGM_RSRC2:TGID_Y_EN: 0
; COMPUTE_PGM_RSRC2:TGID_Z_EN: 0
; COMPUTE_PGM_RSRC2:TIDIG_COMP_CNT: 0
	.section	.text._ZN7rocprim17ROCPRIM_400000_NS6detail17trampoline_kernelINS0_13select_configILj256ELj13ELNS0_17block_load_methodE3ELS4_3ELS4_3ELNS0_20block_scan_algorithmE0ELj4294967295EEENS1_25partition_config_selectorILNS1_17partition_subalgoE4EjNS0_10empty_typeEbEEZZNS1_14partition_implILS8_4ELb0ES6_15HIP_vector_typeIjLj2EENS0_17counting_iteratorIjlEEPS9_SG_NS0_5tupleIJPjSI_NS0_16reverse_iteratorISI_EEEEENSH_IJSG_SG_SG_EEES9_SI_JZNS1_25segmented_radix_sort_implINS0_14default_configELb1EPKlPlSQ_SR_N2at6native12_GLOBAL__N_18offset_tEEE10hipError_tPvRmT1_PNSt15iterator_traitsISZ_E10value_typeET2_T3_PNS10_IS15_E10value_typeET4_jRbjT5_S1B_jjP12ihipStream_tbEUljE_ZNSN_ISO_Lb1ESQ_SR_SQ_SR_SV_EESW_SX_SY_SZ_S13_S14_S15_S18_S19_jS1A_jS1B_S1B_jjS1D_bEUljE0_EEESW_SX_SY_S15_S19_S1B_T6_T7_T9_mT8_S1D_bDpT10_ENKUlT_T0_E_clISt17integral_constantIbLb1EES1R_EEDaS1M_S1N_EUlS1M_E_NS1_11comp_targetILNS1_3genE5ELNS1_11target_archE942ELNS1_3gpuE9ELNS1_3repE0EEENS1_30default_config_static_selectorELNS0_4arch9wavefront6targetE0EEEvSZ_,"axG",@progbits,_ZN7rocprim17ROCPRIM_400000_NS6detail17trampoline_kernelINS0_13select_configILj256ELj13ELNS0_17block_load_methodE3ELS4_3ELS4_3ELNS0_20block_scan_algorithmE0ELj4294967295EEENS1_25partition_config_selectorILNS1_17partition_subalgoE4EjNS0_10empty_typeEbEEZZNS1_14partition_implILS8_4ELb0ES6_15HIP_vector_typeIjLj2EENS0_17counting_iteratorIjlEEPS9_SG_NS0_5tupleIJPjSI_NS0_16reverse_iteratorISI_EEEEENSH_IJSG_SG_SG_EEES9_SI_JZNS1_25segmented_radix_sort_implINS0_14default_configELb1EPKlPlSQ_SR_N2at6native12_GLOBAL__N_18offset_tEEE10hipError_tPvRmT1_PNSt15iterator_traitsISZ_E10value_typeET2_T3_PNS10_IS15_E10value_typeET4_jRbjT5_S1B_jjP12ihipStream_tbEUljE_ZNSN_ISO_Lb1ESQ_SR_SQ_SR_SV_EESW_SX_SY_SZ_S13_S14_S15_S18_S19_jS1A_jS1B_S1B_jjS1D_bEUljE0_EEESW_SX_SY_S15_S19_S1B_T6_T7_T9_mT8_S1D_bDpT10_ENKUlT_T0_E_clISt17integral_constantIbLb1EES1R_EEDaS1M_S1N_EUlS1M_E_NS1_11comp_targetILNS1_3genE5ELNS1_11target_archE942ELNS1_3gpuE9ELNS1_3repE0EEENS1_30default_config_static_selectorELNS0_4arch9wavefront6targetE0EEEvSZ_,comdat
	.globl	_ZN7rocprim17ROCPRIM_400000_NS6detail17trampoline_kernelINS0_13select_configILj256ELj13ELNS0_17block_load_methodE3ELS4_3ELS4_3ELNS0_20block_scan_algorithmE0ELj4294967295EEENS1_25partition_config_selectorILNS1_17partition_subalgoE4EjNS0_10empty_typeEbEEZZNS1_14partition_implILS8_4ELb0ES6_15HIP_vector_typeIjLj2EENS0_17counting_iteratorIjlEEPS9_SG_NS0_5tupleIJPjSI_NS0_16reverse_iteratorISI_EEEEENSH_IJSG_SG_SG_EEES9_SI_JZNS1_25segmented_radix_sort_implINS0_14default_configELb1EPKlPlSQ_SR_N2at6native12_GLOBAL__N_18offset_tEEE10hipError_tPvRmT1_PNSt15iterator_traitsISZ_E10value_typeET2_T3_PNS10_IS15_E10value_typeET4_jRbjT5_S1B_jjP12ihipStream_tbEUljE_ZNSN_ISO_Lb1ESQ_SR_SQ_SR_SV_EESW_SX_SY_SZ_S13_S14_S15_S18_S19_jS1A_jS1B_S1B_jjS1D_bEUljE0_EEESW_SX_SY_S15_S19_S1B_T6_T7_T9_mT8_S1D_bDpT10_ENKUlT_T0_E_clISt17integral_constantIbLb1EES1R_EEDaS1M_S1N_EUlS1M_E_NS1_11comp_targetILNS1_3genE5ELNS1_11target_archE942ELNS1_3gpuE9ELNS1_3repE0EEENS1_30default_config_static_selectorELNS0_4arch9wavefront6targetE0EEEvSZ_ ; -- Begin function _ZN7rocprim17ROCPRIM_400000_NS6detail17trampoline_kernelINS0_13select_configILj256ELj13ELNS0_17block_load_methodE3ELS4_3ELS4_3ELNS0_20block_scan_algorithmE0ELj4294967295EEENS1_25partition_config_selectorILNS1_17partition_subalgoE4EjNS0_10empty_typeEbEEZZNS1_14partition_implILS8_4ELb0ES6_15HIP_vector_typeIjLj2EENS0_17counting_iteratorIjlEEPS9_SG_NS0_5tupleIJPjSI_NS0_16reverse_iteratorISI_EEEEENSH_IJSG_SG_SG_EEES9_SI_JZNS1_25segmented_radix_sort_implINS0_14default_configELb1EPKlPlSQ_SR_N2at6native12_GLOBAL__N_18offset_tEEE10hipError_tPvRmT1_PNSt15iterator_traitsISZ_E10value_typeET2_T3_PNS10_IS15_E10value_typeET4_jRbjT5_S1B_jjP12ihipStream_tbEUljE_ZNSN_ISO_Lb1ESQ_SR_SQ_SR_SV_EESW_SX_SY_SZ_S13_S14_S15_S18_S19_jS1A_jS1B_S1B_jjS1D_bEUljE0_EEESW_SX_SY_S15_S19_S1B_T6_T7_T9_mT8_S1D_bDpT10_ENKUlT_T0_E_clISt17integral_constantIbLb1EES1R_EEDaS1M_S1N_EUlS1M_E_NS1_11comp_targetILNS1_3genE5ELNS1_11target_archE942ELNS1_3gpuE9ELNS1_3repE0EEENS1_30default_config_static_selectorELNS0_4arch9wavefront6targetE0EEEvSZ_
	.p2align	8
	.type	_ZN7rocprim17ROCPRIM_400000_NS6detail17trampoline_kernelINS0_13select_configILj256ELj13ELNS0_17block_load_methodE3ELS4_3ELS4_3ELNS0_20block_scan_algorithmE0ELj4294967295EEENS1_25partition_config_selectorILNS1_17partition_subalgoE4EjNS0_10empty_typeEbEEZZNS1_14partition_implILS8_4ELb0ES6_15HIP_vector_typeIjLj2EENS0_17counting_iteratorIjlEEPS9_SG_NS0_5tupleIJPjSI_NS0_16reverse_iteratorISI_EEEEENSH_IJSG_SG_SG_EEES9_SI_JZNS1_25segmented_radix_sort_implINS0_14default_configELb1EPKlPlSQ_SR_N2at6native12_GLOBAL__N_18offset_tEEE10hipError_tPvRmT1_PNSt15iterator_traitsISZ_E10value_typeET2_T3_PNS10_IS15_E10value_typeET4_jRbjT5_S1B_jjP12ihipStream_tbEUljE_ZNSN_ISO_Lb1ESQ_SR_SQ_SR_SV_EESW_SX_SY_SZ_S13_S14_S15_S18_S19_jS1A_jS1B_S1B_jjS1D_bEUljE0_EEESW_SX_SY_S15_S19_S1B_T6_T7_T9_mT8_S1D_bDpT10_ENKUlT_T0_E_clISt17integral_constantIbLb1EES1R_EEDaS1M_S1N_EUlS1M_E_NS1_11comp_targetILNS1_3genE5ELNS1_11target_archE942ELNS1_3gpuE9ELNS1_3repE0EEENS1_30default_config_static_selectorELNS0_4arch9wavefront6targetE0EEEvSZ_,@function
_ZN7rocprim17ROCPRIM_400000_NS6detail17trampoline_kernelINS0_13select_configILj256ELj13ELNS0_17block_load_methodE3ELS4_3ELS4_3ELNS0_20block_scan_algorithmE0ELj4294967295EEENS1_25partition_config_selectorILNS1_17partition_subalgoE4EjNS0_10empty_typeEbEEZZNS1_14partition_implILS8_4ELb0ES6_15HIP_vector_typeIjLj2EENS0_17counting_iteratorIjlEEPS9_SG_NS0_5tupleIJPjSI_NS0_16reverse_iteratorISI_EEEEENSH_IJSG_SG_SG_EEES9_SI_JZNS1_25segmented_radix_sort_implINS0_14default_configELb1EPKlPlSQ_SR_N2at6native12_GLOBAL__N_18offset_tEEE10hipError_tPvRmT1_PNSt15iterator_traitsISZ_E10value_typeET2_T3_PNS10_IS15_E10value_typeET4_jRbjT5_S1B_jjP12ihipStream_tbEUljE_ZNSN_ISO_Lb1ESQ_SR_SQ_SR_SV_EESW_SX_SY_SZ_S13_S14_S15_S18_S19_jS1A_jS1B_S1B_jjS1D_bEUljE0_EEESW_SX_SY_S15_S19_S1B_T6_T7_T9_mT8_S1D_bDpT10_ENKUlT_T0_E_clISt17integral_constantIbLb1EES1R_EEDaS1M_S1N_EUlS1M_E_NS1_11comp_targetILNS1_3genE5ELNS1_11target_archE942ELNS1_3gpuE9ELNS1_3repE0EEENS1_30default_config_static_selectorELNS0_4arch9wavefront6targetE0EEEvSZ_: ; @_ZN7rocprim17ROCPRIM_400000_NS6detail17trampoline_kernelINS0_13select_configILj256ELj13ELNS0_17block_load_methodE3ELS4_3ELS4_3ELNS0_20block_scan_algorithmE0ELj4294967295EEENS1_25partition_config_selectorILNS1_17partition_subalgoE4EjNS0_10empty_typeEbEEZZNS1_14partition_implILS8_4ELb0ES6_15HIP_vector_typeIjLj2EENS0_17counting_iteratorIjlEEPS9_SG_NS0_5tupleIJPjSI_NS0_16reverse_iteratorISI_EEEEENSH_IJSG_SG_SG_EEES9_SI_JZNS1_25segmented_radix_sort_implINS0_14default_configELb1EPKlPlSQ_SR_N2at6native12_GLOBAL__N_18offset_tEEE10hipError_tPvRmT1_PNSt15iterator_traitsISZ_E10value_typeET2_T3_PNS10_IS15_E10value_typeET4_jRbjT5_S1B_jjP12ihipStream_tbEUljE_ZNSN_ISO_Lb1ESQ_SR_SQ_SR_SV_EESW_SX_SY_SZ_S13_S14_S15_S18_S19_jS1A_jS1B_S1B_jjS1D_bEUljE0_EEESW_SX_SY_S15_S19_S1B_T6_T7_T9_mT8_S1D_bDpT10_ENKUlT_T0_E_clISt17integral_constantIbLb1EES1R_EEDaS1M_S1N_EUlS1M_E_NS1_11comp_targetILNS1_3genE5ELNS1_11target_archE942ELNS1_3gpuE9ELNS1_3repE0EEENS1_30default_config_static_selectorELNS0_4arch9wavefront6targetE0EEEvSZ_
; %bb.0:
	.section	.rodata,"a",@progbits
	.p2align	6, 0x0
	.amdhsa_kernel _ZN7rocprim17ROCPRIM_400000_NS6detail17trampoline_kernelINS0_13select_configILj256ELj13ELNS0_17block_load_methodE3ELS4_3ELS4_3ELNS0_20block_scan_algorithmE0ELj4294967295EEENS1_25partition_config_selectorILNS1_17partition_subalgoE4EjNS0_10empty_typeEbEEZZNS1_14partition_implILS8_4ELb0ES6_15HIP_vector_typeIjLj2EENS0_17counting_iteratorIjlEEPS9_SG_NS0_5tupleIJPjSI_NS0_16reverse_iteratorISI_EEEEENSH_IJSG_SG_SG_EEES9_SI_JZNS1_25segmented_radix_sort_implINS0_14default_configELb1EPKlPlSQ_SR_N2at6native12_GLOBAL__N_18offset_tEEE10hipError_tPvRmT1_PNSt15iterator_traitsISZ_E10value_typeET2_T3_PNS10_IS15_E10value_typeET4_jRbjT5_S1B_jjP12ihipStream_tbEUljE_ZNSN_ISO_Lb1ESQ_SR_SQ_SR_SV_EESW_SX_SY_SZ_S13_S14_S15_S18_S19_jS1A_jS1B_S1B_jjS1D_bEUljE0_EEESW_SX_SY_S15_S19_S1B_T6_T7_T9_mT8_S1D_bDpT10_ENKUlT_T0_E_clISt17integral_constantIbLb1EES1R_EEDaS1M_S1N_EUlS1M_E_NS1_11comp_targetILNS1_3genE5ELNS1_11target_archE942ELNS1_3gpuE9ELNS1_3repE0EEENS1_30default_config_static_selectorELNS0_4arch9wavefront6targetE0EEEvSZ_
		.amdhsa_group_segment_fixed_size 0
		.amdhsa_private_segment_fixed_size 0
		.amdhsa_kernarg_size 184
		.amdhsa_user_sgpr_count 2
		.amdhsa_user_sgpr_dispatch_ptr 0
		.amdhsa_user_sgpr_queue_ptr 0
		.amdhsa_user_sgpr_kernarg_segment_ptr 1
		.amdhsa_user_sgpr_dispatch_id 0
		.amdhsa_user_sgpr_private_segment_size 0
		.amdhsa_wavefront_size32 1
		.amdhsa_uses_dynamic_stack 0
		.amdhsa_enable_private_segment 0
		.amdhsa_system_sgpr_workgroup_id_x 1
		.amdhsa_system_sgpr_workgroup_id_y 0
		.amdhsa_system_sgpr_workgroup_id_z 0
		.amdhsa_system_sgpr_workgroup_info 0
		.amdhsa_system_vgpr_workitem_id 0
		.amdhsa_next_free_vgpr 1
		.amdhsa_next_free_sgpr 1
		.amdhsa_reserve_vcc 0
		.amdhsa_float_round_mode_32 0
		.amdhsa_float_round_mode_16_64 0
		.amdhsa_float_denorm_mode_32 3
		.amdhsa_float_denorm_mode_16_64 3
		.amdhsa_fp16_overflow 0
		.amdhsa_workgroup_processor_mode 1
		.amdhsa_memory_ordered 1
		.amdhsa_forward_progress 1
		.amdhsa_inst_pref_size 0
		.amdhsa_round_robin_scheduling 0
		.amdhsa_exception_fp_ieee_invalid_op 0
		.amdhsa_exception_fp_denorm_src 0
		.amdhsa_exception_fp_ieee_div_zero 0
		.amdhsa_exception_fp_ieee_overflow 0
		.amdhsa_exception_fp_ieee_underflow 0
		.amdhsa_exception_fp_ieee_inexact 0
		.amdhsa_exception_int_div_zero 0
	.end_amdhsa_kernel
	.section	.text._ZN7rocprim17ROCPRIM_400000_NS6detail17trampoline_kernelINS0_13select_configILj256ELj13ELNS0_17block_load_methodE3ELS4_3ELS4_3ELNS0_20block_scan_algorithmE0ELj4294967295EEENS1_25partition_config_selectorILNS1_17partition_subalgoE4EjNS0_10empty_typeEbEEZZNS1_14partition_implILS8_4ELb0ES6_15HIP_vector_typeIjLj2EENS0_17counting_iteratorIjlEEPS9_SG_NS0_5tupleIJPjSI_NS0_16reverse_iteratorISI_EEEEENSH_IJSG_SG_SG_EEES9_SI_JZNS1_25segmented_radix_sort_implINS0_14default_configELb1EPKlPlSQ_SR_N2at6native12_GLOBAL__N_18offset_tEEE10hipError_tPvRmT1_PNSt15iterator_traitsISZ_E10value_typeET2_T3_PNS10_IS15_E10value_typeET4_jRbjT5_S1B_jjP12ihipStream_tbEUljE_ZNSN_ISO_Lb1ESQ_SR_SQ_SR_SV_EESW_SX_SY_SZ_S13_S14_S15_S18_S19_jS1A_jS1B_S1B_jjS1D_bEUljE0_EEESW_SX_SY_S15_S19_S1B_T6_T7_T9_mT8_S1D_bDpT10_ENKUlT_T0_E_clISt17integral_constantIbLb1EES1R_EEDaS1M_S1N_EUlS1M_E_NS1_11comp_targetILNS1_3genE5ELNS1_11target_archE942ELNS1_3gpuE9ELNS1_3repE0EEENS1_30default_config_static_selectorELNS0_4arch9wavefront6targetE0EEEvSZ_,"axG",@progbits,_ZN7rocprim17ROCPRIM_400000_NS6detail17trampoline_kernelINS0_13select_configILj256ELj13ELNS0_17block_load_methodE3ELS4_3ELS4_3ELNS0_20block_scan_algorithmE0ELj4294967295EEENS1_25partition_config_selectorILNS1_17partition_subalgoE4EjNS0_10empty_typeEbEEZZNS1_14partition_implILS8_4ELb0ES6_15HIP_vector_typeIjLj2EENS0_17counting_iteratorIjlEEPS9_SG_NS0_5tupleIJPjSI_NS0_16reverse_iteratorISI_EEEEENSH_IJSG_SG_SG_EEES9_SI_JZNS1_25segmented_radix_sort_implINS0_14default_configELb1EPKlPlSQ_SR_N2at6native12_GLOBAL__N_18offset_tEEE10hipError_tPvRmT1_PNSt15iterator_traitsISZ_E10value_typeET2_T3_PNS10_IS15_E10value_typeET4_jRbjT5_S1B_jjP12ihipStream_tbEUljE_ZNSN_ISO_Lb1ESQ_SR_SQ_SR_SV_EESW_SX_SY_SZ_S13_S14_S15_S18_S19_jS1A_jS1B_S1B_jjS1D_bEUljE0_EEESW_SX_SY_S15_S19_S1B_T6_T7_T9_mT8_S1D_bDpT10_ENKUlT_T0_E_clISt17integral_constantIbLb1EES1R_EEDaS1M_S1N_EUlS1M_E_NS1_11comp_targetILNS1_3genE5ELNS1_11target_archE942ELNS1_3gpuE9ELNS1_3repE0EEENS1_30default_config_static_selectorELNS0_4arch9wavefront6targetE0EEEvSZ_,comdat
.Lfunc_end649:
	.size	_ZN7rocprim17ROCPRIM_400000_NS6detail17trampoline_kernelINS0_13select_configILj256ELj13ELNS0_17block_load_methodE3ELS4_3ELS4_3ELNS0_20block_scan_algorithmE0ELj4294967295EEENS1_25partition_config_selectorILNS1_17partition_subalgoE4EjNS0_10empty_typeEbEEZZNS1_14partition_implILS8_4ELb0ES6_15HIP_vector_typeIjLj2EENS0_17counting_iteratorIjlEEPS9_SG_NS0_5tupleIJPjSI_NS0_16reverse_iteratorISI_EEEEENSH_IJSG_SG_SG_EEES9_SI_JZNS1_25segmented_radix_sort_implINS0_14default_configELb1EPKlPlSQ_SR_N2at6native12_GLOBAL__N_18offset_tEEE10hipError_tPvRmT1_PNSt15iterator_traitsISZ_E10value_typeET2_T3_PNS10_IS15_E10value_typeET4_jRbjT5_S1B_jjP12ihipStream_tbEUljE_ZNSN_ISO_Lb1ESQ_SR_SQ_SR_SV_EESW_SX_SY_SZ_S13_S14_S15_S18_S19_jS1A_jS1B_S1B_jjS1D_bEUljE0_EEESW_SX_SY_S15_S19_S1B_T6_T7_T9_mT8_S1D_bDpT10_ENKUlT_T0_E_clISt17integral_constantIbLb1EES1R_EEDaS1M_S1N_EUlS1M_E_NS1_11comp_targetILNS1_3genE5ELNS1_11target_archE942ELNS1_3gpuE9ELNS1_3repE0EEENS1_30default_config_static_selectorELNS0_4arch9wavefront6targetE0EEEvSZ_, .Lfunc_end649-_ZN7rocprim17ROCPRIM_400000_NS6detail17trampoline_kernelINS0_13select_configILj256ELj13ELNS0_17block_load_methodE3ELS4_3ELS4_3ELNS0_20block_scan_algorithmE0ELj4294967295EEENS1_25partition_config_selectorILNS1_17partition_subalgoE4EjNS0_10empty_typeEbEEZZNS1_14partition_implILS8_4ELb0ES6_15HIP_vector_typeIjLj2EENS0_17counting_iteratorIjlEEPS9_SG_NS0_5tupleIJPjSI_NS0_16reverse_iteratorISI_EEEEENSH_IJSG_SG_SG_EEES9_SI_JZNS1_25segmented_radix_sort_implINS0_14default_configELb1EPKlPlSQ_SR_N2at6native12_GLOBAL__N_18offset_tEEE10hipError_tPvRmT1_PNSt15iterator_traitsISZ_E10value_typeET2_T3_PNS10_IS15_E10value_typeET4_jRbjT5_S1B_jjP12ihipStream_tbEUljE_ZNSN_ISO_Lb1ESQ_SR_SQ_SR_SV_EESW_SX_SY_SZ_S13_S14_S15_S18_S19_jS1A_jS1B_S1B_jjS1D_bEUljE0_EEESW_SX_SY_S15_S19_S1B_T6_T7_T9_mT8_S1D_bDpT10_ENKUlT_T0_E_clISt17integral_constantIbLb1EES1R_EEDaS1M_S1N_EUlS1M_E_NS1_11comp_targetILNS1_3genE5ELNS1_11target_archE942ELNS1_3gpuE9ELNS1_3repE0EEENS1_30default_config_static_selectorELNS0_4arch9wavefront6targetE0EEEvSZ_
                                        ; -- End function
	.set _ZN7rocprim17ROCPRIM_400000_NS6detail17trampoline_kernelINS0_13select_configILj256ELj13ELNS0_17block_load_methodE3ELS4_3ELS4_3ELNS0_20block_scan_algorithmE0ELj4294967295EEENS1_25partition_config_selectorILNS1_17partition_subalgoE4EjNS0_10empty_typeEbEEZZNS1_14partition_implILS8_4ELb0ES6_15HIP_vector_typeIjLj2EENS0_17counting_iteratorIjlEEPS9_SG_NS0_5tupleIJPjSI_NS0_16reverse_iteratorISI_EEEEENSH_IJSG_SG_SG_EEES9_SI_JZNS1_25segmented_radix_sort_implINS0_14default_configELb1EPKlPlSQ_SR_N2at6native12_GLOBAL__N_18offset_tEEE10hipError_tPvRmT1_PNSt15iterator_traitsISZ_E10value_typeET2_T3_PNS10_IS15_E10value_typeET4_jRbjT5_S1B_jjP12ihipStream_tbEUljE_ZNSN_ISO_Lb1ESQ_SR_SQ_SR_SV_EESW_SX_SY_SZ_S13_S14_S15_S18_S19_jS1A_jS1B_S1B_jjS1D_bEUljE0_EEESW_SX_SY_S15_S19_S1B_T6_T7_T9_mT8_S1D_bDpT10_ENKUlT_T0_E_clISt17integral_constantIbLb1EES1R_EEDaS1M_S1N_EUlS1M_E_NS1_11comp_targetILNS1_3genE5ELNS1_11target_archE942ELNS1_3gpuE9ELNS1_3repE0EEENS1_30default_config_static_selectorELNS0_4arch9wavefront6targetE0EEEvSZ_.num_vgpr, 0
	.set _ZN7rocprim17ROCPRIM_400000_NS6detail17trampoline_kernelINS0_13select_configILj256ELj13ELNS0_17block_load_methodE3ELS4_3ELS4_3ELNS0_20block_scan_algorithmE0ELj4294967295EEENS1_25partition_config_selectorILNS1_17partition_subalgoE4EjNS0_10empty_typeEbEEZZNS1_14partition_implILS8_4ELb0ES6_15HIP_vector_typeIjLj2EENS0_17counting_iteratorIjlEEPS9_SG_NS0_5tupleIJPjSI_NS0_16reverse_iteratorISI_EEEEENSH_IJSG_SG_SG_EEES9_SI_JZNS1_25segmented_radix_sort_implINS0_14default_configELb1EPKlPlSQ_SR_N2at6native12_GLOBAL__N_18offset_tEEE10hipError_tPvRmT1_PNSt15iterator_traitsISZ_E10value_typeET2_T3_PNS10_IS15_E10value_typeET4_jRbjT5_S1B_jjP12ihipStream_tbEUljE_ZNSN_ISO_Lb1ESQ_SR_SQ_SR_SV_EESW_SX_SY_SZ_S13_S14_S15_S18_S19_jS1A_jS1B_S1B_jjS1D_bEUljE0_EEESW_SX_SY_S15_S19_S1B_T6_T7_T9_mT8_S1D_bDpT10_ENKUlT_T0_E_clISt17integral_constantIbLb1EES1R_EEDaS1M_S1N_EUlS1M_E_NS1_11comp_targetILNS1_3genE5ELNS1_11target_archE942ELNS1_3gpuE9ELNS1_3repE0EEENS1_30default_config_static_selectorELNS0_4arch9wavefront6targetE0EEEvSZ_.num_agpr, 0
	.set _ZN7rocprim17ROCPRIM_400000_NS6detail17trampoline_kernelINS0_13select_configILj256ELj13ELNS0_17block_load_methodE3ELS4_3ELS4_3ELNS0_20block_scan_algorithmE0ELj4294967295EEENS1_25partition_config_selectorILNS1_17partition_subalgoE4EjNS0_10empty_typeEbEEZZNS1_14partition_implILS8_4ELb0ES6_15HIP_vector_typeIjLj2EENS0_17counting_iteratorIjlEEPS9_SG_NS0_5tupleIJPjSI_NS0_16reverse_iteratorISI_EEEEENSH_IJSG_SG_SG_EEES9_SI_JZNS1_25segmented_radix_sort_implINS0_14default_configELb1EPKlPlSQ_SR_N2at6native12_GLOBAL__N_18offset_tEEE10hipError_tPvRmT1_PNSt15iterator_traitsISZ_E10value_typeET2_T3_PNS10_IS15_E10value_typeET4_jRbjT5_S1B_jjP12ihipStream_tbEUljE_ZNSN_ISO_Lb1ESQ_SR_SQ_SR_SV_EESW_SX_SY_SZ_S13_S14_S15_S18_S19_jS1A_jS1B_S1B_jjS1D_bEUljE0_EEESW_SX_SY_S15_S19_S1B_T6_T7_T9_mT8_S1D_bDpT10_ENKUlT_T0_E_clISt17integral_constantIbLb1EES1R_EEDaS1M_S1N_EUlS1M_E_NS1_11comp_targetILNS1_3genE5ELNS1_11target_archE942ELNS1_3gpuE9ELNS1_3repE0EEENS1_30default_config_static_selectorELNS0_4arch9wavefront6targetE0EEEvSZ_.numbered_sgpr, 0
	.set _ZN7rocprim17ROCPRIM_400000_NS6detail17trampoline_kernelINS0_13select_configILj256ELj13ELNS0_17block_load_methodE3ELS4_3ELS4_3ELNS0_20block_scan_algorithmE0ELj4294967295EEENS1_25partition_config_selectorILNS1_17partition_subalgoE4EjNS0_10empty_typeEbEEZZNS1_14partition_implILS8_4ELb0ES6_15HIP_vector_typeIjLj2EENS0_17counting_iteratorIjlEEPS9_SG_NS0_5tupleIJPjSI_NS0_16reverse_iteratorISI_EEEEENSH_IJSG_SG_SG_EEES9_SI_JZNS1_25segmented_radix_sort_implINS0_14default_configELb1EPKlPlSQ_SR_N2at6native12_GLOBAL__N_18offset_tEEE10hipError_tPvRmT1_PNSt15iterator_traitsISZ_E10value_typeET2_T3_PNS10_IS15_E10value_typeET4_jRbjT5_S1B_jjP12ihipStream_tbEUljE_ZNSN_ISO_Lb1ESQ_SR_SQ_SR_SV_EESW_SX_SY_SZ_S13_S14_S15_S18_S19_jS1A_jS1B_S1B_jjS1D_bEUljE0_EEESW_SX_SY_S15_S19_S1B_T6_T7_T9_mT8_S1D_bDpT10_ENKUlT_T0_E_clISt17integral_constantIbLb1EES1R_EEDaS1M_S1N_EUlS1M_E_NS1_11comp_targetILNS1_3genE5ELNS1_11target_archE942ELNS1_3gpuE9ELNS1_3repE0EEENS1_30default_config_static_selectorELNS0_4arch9wavefront6targetE0EEEvSZ_.num_named_barrier, 0
	.set _ZN7rocprim17ROCPRIM_400000_NS6detail17trampoline_kernelINS0_13select_configILj256ELj13ELNS0_17block_load_methodE3ELS4_3ELS4_3ELNS0_20block_scan_algorithmE0ELj4294967295EEENS1_25partition_config_selectorILNS1_17partition_subalgoE4EjNS0_10empty_typeEbEEZZNS1_14partition_implILS8_4ELb0ES6_15HIP_vector_typeIjLj2EENS0_17counting_iteratorIjlEEPS9_SG_NS0_5tupleIJPjSI_NS0_16reverse_iteratorISI_EEEEENSH_IJSG_SG_SG_EEES9_SI_JZNS1_25segmented_radix_sort_implINS0_14default_configELb1EPKlPlSQ_SR_N2at6native12_GLOBAL__N_18offset_tEEE10hipError_tPvRmT1_PNSt15iterator_traitsISZ_E10value_typeET2_T3_PNS10_IS15_E10value_typeET4_jRbjT5_S1B_jjP12ihipStream_tbEUljE_ZNSN_ISO_Lb1ESQ_SR_SQ_SR_SV_EESW_SX_SY_SZ_S13_S14_S15_S18_S19_jS1A_jS1B_S1B_jjS1D_bEUljE0_EEESW_SX_SY_S15_S19_S1B_T6_T7_T9_mT8_S1D_bDpT10_ENKUlT_T0_E_clISt17integral_constantIbLb1EES1R_EEDaS1M_S1N_EUlS1M_E_NS1_11comp_targetILNS1_3genE5ELNS1_11target_archE942ELNS1_3gpuE9ELNS1_3repE0EEENS1_30default_config_static_selectorELNS0_4arch9wavefront6targetE0EEEvSZ_.private_seg_size, 0
	.set _ZN7rocprim17ROCPRIM_400000_NS6detail17trampoline_kernelINS0_13select_configILj256ELj13ELNS0_17block_load_methodE3ELS4_3ELS4_3ELNS0_20block_scan_algorithmE0ELj4294967295EEENS1_25partition_config_selectorILNS1_17partition_subalgoE4EjNS0_10empty_typeEbEEZZNS1_14partition_implILS8_4ELb0ES6_15HIP_vector_typeIjLj2EENS0_17counting_iteratorIjlEEPS9_SG_NS0_5tupleIJPjSI_NS0_16reverse_iteratorISI_EEEEENSH_IJSG_SG_SG_EEES9_SI_JZNS1_25segmented_radix_sort_implINS0_14default_configELb1EPKlPlSQ_SR_N2at6native12_GLOBAL__N_18offset_tEEE10hipError_tPvRmT1_PNSt15iterator_traitsISZ_E10value_typeET2_T3_PNS10_IS15_E10value_typeET4_jRbjT5_S1B_jjP12ihipStream_tbEUljE_ZNSN_ISO_Lb1ESQ_SR_SQ_SR_SV_EESW_SX_SY_SZ_S13_S14_S15_S18_S19_jS1A_jS1B_S1B_jjS1D_bEUljE0_EEESW_SX_SY_S15_S19_S1B_T6_T7_T9_mT8_S1D_bDpT10_ENKUlT_T0_E_clISt17integral_constantIbLb1EES1R_EEDaS1M_S1N_EUlS1M_E_NS1_11comp_targetILNS1_3genE5ELNS1_11target_archE942ELNS1_3gpuE9ELNS1_3repE0EEENS1_30default_config_static_selectorELNS0_4arch9wavefront6targetE0EEEvSZ_.uses_vcc, 0
	.set _ZN7rocprim17ROCPRIM_400000_NS6detail17trampoline_kernelINS0_13select_configILj256ELj13ELNS0_17block_load_methodE3ELS4_3ELS4_3ELNS0_20block_scan_algorithmE0ELj4294967295EEENS1_25partition_config_selectorILNS1_17partition_subalgoE4EjNS0_10empty_typeEbEEZZNS1_14partition_implILS8_4ELb0ES6_15HIP_vector_typeIjLj2EENS0_17counting_iteratorIjlEEPS9_SG_NS0_5tupleIJPjSI_NS0_16reverse_iteratorISI_EEEEENSH_IJSG_SG_SG_EEES9_SI_JZNS1_25segmented_radix_sort_implINS0_14default_configELb1EPKlPlSQ_SR_N2at6native12_GLOBAL__N_18offset_tEEE10hipError_tPvRmT1_PNSt15iterator_traitsISZ_E10value_typeET2_T3_PNS10_IS15_E10value_typeET4_jRbjT5_S1B_jjP12ihipStream_tbEUljE_ZNSN_ISO_Lb1ESQ_SR_SQ_SR_SV_EESW_SX_SY_SZ_S13_S14_S15_S18_S19_jS1A_jS1B_S1B_jjS1D_bEUljE0_EEESW_SX_SY_S15_S19_S1B_T6_T7_T9_mT8_S1D_bDpT10_ENKUlT_T0_E_clISt17integral_constantIbLb1EES1R_EEDaS1M_S1N_EUlS1M_E_NS1_11comp_targetILNS1_3genE5ELNS1_11target_archE942ELNS1_3gpuE9ELNS1_3repE0EEENS1_30default_config_static_selectorELNS0_4arch9wavefront6targetE0EEEvSZ_.uses_flat_scratch, 0
	.set _ZN7rocprim17ROCPRIM_400000_NS6detail17trampoline_kernelINS0_13select_configILj256ELj13ELNS0_17block_load_methodE3ELS4_3ELS4_3ELNS0_20block_scan_algorithmE0ELj4294967295EEENS1_25partition_config_selectorILNS1_17partition_subalgoE4EjNS0_10empty_typeEbEEZZNS1_14partition_implILS8_4ELb0ES6_15HIP_vector_typeIjLj2EENS0_17counting_iteratorIjlEEPS9_SG_NS0_5tupleIJPjSI_NS0_16reverse_iteratorISI_EEEEENSH_IJSG_SG_SG_EEES9_SI_JZNS1_25segmented_radix_sort_implINS0_14default_configELb1EPKlPlSQ_SR_N2at6native12_GLOBAL__N_18offset_tEEE10hipError_tPvRmT1_PNSt15iterator_traitsISZ_E10value_typeET2_T3_PNS10_IS15_E10value_typeET4_jRbjT5_S1B_jjP12ihipStream_tbEUljE_ZNSN_ISO_Lb1ESQ_SR_SQ_SR_SV_EESW_SX_SY_SZ_S13_S14_S15_S18_S19_jS1A_jS1B_S1B_jjS1D_bEUljE0_EEESW_SX_SY_S15_S19_S1B_T6_T7_T9_mT8_S1D_bDpT10_ENKUlT_T0_E_clISt17integral_constantIbLb1EES1R_EEDaS1M_S1N_EUlS1M_E_NS1_11comp_targetILNS1_3genE5ELNS1_11target_archE942ELNS1_3gpuE9ELNS1_3repE0EEENS1_30default_config_static_selectorELNS0_4arch9wavefront6targetE0EEEvSZ_.has_dyn_sized_stack, 0
	.set _ZN7rocprim17ROCPRIM_400000_NS6detail17trampoline_kernelINS0_13select_configILj256ELj13ELNS0_17block_load_methodE3ELS4_3ELS4_3ELNS0_20block_scan_algorithmE0ELj4294967295EEENS1_25partition_config_selectorILNS1_17partition_subalgoE4EjNS0_10empty_typeEbEEZZNS1_14partition_implILS8_4ELb0ES6_15HIP_vector_typeIjLj2EENS0_17counting_iteratorIjlEEPS9_SG_NS0_5tupleIJPjSI_NS0_16reverse_iteratorISI_EEEEENSH_IJSG_SG_SG_EEES9_SI_JZNS1_25segmented_radix_sort_implINS0_14default_configELb1EPKlPlSQ_SR_N2at6native12_GLOBAL__N_18offset_tEEE10hipError_tPvRmT1_PNSt15iterator_traitsISZ_E10value_typeET2_T3_PNS10_IS15_E10value_typeET4_jRbjT5_S1B_jjP12ihipStream_tbEUljE_ZNSN_ISO_Lb1ESQ_SR_SQ_SR_SV_EESW_SX_SY_SZ_S13_S14_S15_S18_S19_jS1A_jS1B_S1B_jjS1D_bEUljE0_EEESW_SX_SY_S15_S19_S1B_T6_T7_T9_mT8_S1D_bDpT10_ENKUlT_T0_E_clISt17integral_constantIbLb1EES1R_EEDaS1M_S1N_EUlS1M_E_NS1_11comp_targetILNS1_3genE5ELNS1_11target_archE942ELNS1_3gpuE9ELNS1_3repE0EEENS1_30default_config_static_selectorELNS0_4arch9wavefront6targetE0EEEvSZ_.has_recursion, 0
	.set _ZN7rocprim17ROCPRIM_400000_NS6detail17trampoline_kernelINS0_13select_configILj256ELj13ELNS0_17block_load_methodE3ELS4_3ELS4_3ELNS0_20block_scan_algorithmE0ELj4294967295EEENS1_25partition_config_selectorILNS1_17partition_subalgoE4EjNS0_10empty_typeEbEEZZNS1_14partition_implILS8_4ELb0ES6_15HIP_vector_typeIjLj2EENS0_17counting_iteratorIjlEEPS9_SG_NS0_5tupleIJPjSI_NS0_16reverse_iteratorISI_EEEEENSH_IJSG_SG_SG_EEES9_SI_JZNS1_25segmented_radix_sort_implINS0_14default_configELb1EPKlPlSQ_SR_N2at6native12_GLOBAL__N_18offset_tEEE10hipError_tPvRmT1_PNSt15iterator_traitsISZ_E10value_typeET2_T3_PNS10_IS15_E10value_typeET4_jRbjT5_S1B_jjP12ihipStream_tbEUljE_ZNSN_ISO_Lb1ESQ_SR_SQ_SR_SV_EESW_SX_SY_SZ_S13_S14_S15_S18_S19_jS1A_jS1B_S1B_jjS1D_bEUljE0_EEESW_SX_SY_S15_S19_S1B_T6_T7_T9_mT8_S1D_bDpT10_ENKUlT_T0_E_clISt17integral_constantIbLb1EES1R_EEDaS1M_S1N_EUlS1M_E_NS1_11comp_targetILNS1_3genE5ELNS1_11target_archE942ELNS1_3gpuE9ELNS1_3repE0EEENS1_30default_config_static_selectorELNS0_4arch9wavefront6targetE0EEEvSZ_.has_indirect_call, 0
	.section	.AMDGPU.csdata,"",@progbits
; Kernel info:
; codeLenInByte = 0
; TotalNumSgprs: 0
; NumVgprs: 0
; ScratchSize: 0
; MemoryBound: 0
; FloatMode: 240
; IeeeMode: 1
; LDSByteSize: 0 bytes/workgroup (compile time only)
; SGPRBlocks: 0
; VGPRBlocks: 0
; NumSGPRsForWavesPerEU: 1
; NumVGPRsForWavesPerEU: 1
; Occupancy: 16
; WaveLimiterHint : 0
; COMPUTE_PGM_RSRC2:SCRATCH_EN: 0
; COMPUTE_PGM_RSRC2:USER_SGPR: 2
; COMPUTE_PGM_RSRC2:TRAP_HANDLER: 0
; COMPUTE_PGM_RSRC2:TGID_X_EN: 1
; COMPUTE_PGM_RSRC2:TGID_Y_EN: 0
; COMPUTE_PGM_RSRC2:TGID_Z_EN: 0
; COMPUTE_PGM_RSRC2:TIDIG_COMP_CNT: 0
	.section	.text._ZN7rocprim17ROCPRIM_400000_NS6detail17trampoline_kernelINS0_13select_configILj256ELj13ELNS0_17block_load_methodE3ELS4_3ELS4_3ELNS0_20block_scan_algorithmE0ELj4294967295EEENS1_25partition_config_selectorILNS1_17partition_subalgoE4EjNS0_10empty_typeEbEEZZNS1_14partition_implILS8_4ELb0ES6_15HIP_vector_typeIjLj2EENS0_17counting_iteratorIjlEEPS9_SG_NS0_5tupleIJPjSI_NS0_16reverse_iteratorISI_EEEEENSH_IJSG_SG_SG_EEES9_SI_JZNS1_25segmented_radix_sort_implINS0_14default_configELb1EPKlPlSQ_SR_N2at6native12_GLOBAL__N_18offset_tEEE10hipError_tPvRmT1_PNSt15iterator_traitsISZ_E10value_typeET2_T3_PNS10_IS15_E10value_typeET4_jRbjT5_S1B_jjP12ihipStream_tbEUljE_ZNSN_ISO_Lb1ESQ_SR_SQ_SR_SV_EESW_SX_SY_SZ_S13_S14_S15_S18_S19_jS1A_jS1B_S1B_jjS1D_bEUljE0_EEESW_SX_SY_S15_S19_S1B_T6_T7_T9_mT8_S1D_bDpT10_ENKUlT_T0_E_clISt17integral_constantIbLb1EES1R_EEDaS1M_S1N_EUlS1M_E_NS1_11comp_targetILNS1_3genE4ELNS1_11target_archE910ELNS1_3gpuE8ELNS1_3repE0EEENS1_30default_config_static_selectorELNS0_4arch9wavefront6targetE0EEEvSZ_,"axG",@progbits,_ZN7rocprim17ROCPRIM_400000_NS6detail17trampoline_kernelINS0_13select_configILj256ELj13ELNS0_17block_load_methodE3ELS4_3ELS4_3ELNS0_20block_scan_algorithmE0ELj4294967295EEENS1_25partition_config_selectorILNS1_17partition_subalgoE4EjNS0_10empty_typeEbEEZZNS1_14partition_implILS8_4ELb0ES6_15HIP_vector_typeIjLj2EENS0_17counting_iteratorIjlEEPS9_SG_NS0_5tupleIJPjSI_NS0_16reverse_iteratorISI_EEEEENSH_IJSG_SG_SG_EEES9_SI_JZNS1_25segmented_radix_sort_implINS0_14default_configELb1EPKlPlSQ_SR_N2at6native12_GLOBAL__N_18offset_tEEE10hipError_tPvRmT1_PNSt15iterator_traitsISZ_E10value_typeET2_T3_PNS10_IS15_E10value_typeET4_jRbjT5_S1B_jjP12ihipStream_tbEUljE_ZNSN_ISO_Lb1ESQ_SR_SQ_SR_SV_EESW_SX_SY_SZ_S13_S14_S15_S18_S19_jS1A_jS1B_S1B_jjS1D_bEUljE0_EEESW_SX_SY_S15_S19_S1B_T6_T7_T9_mT8_S1D_bDpT10_ENKUlT_T0_E_clISt17integral_constantIbLb1EES1R_EEDaS1M_S1N_EUlS1M_E_NS1_11comp_targetILNS1_3genE4ELNS1_11target_archE910ELNS1_3gpuE8ELNS1_3repE0EEENS1_30default_config_static_selectorELNS0_4arch9wavefront6targetE0EEEvSZ_,comdat
	.globl	_ZN7rocprim17ROCPRIM_400000_NS6detail17trampoline_kernelINS0_13select_configILj256ELj13ELNS0_17block_load_methodE3ELS4_3ELS4_3ELNS0_20block_scan_algorithmE0ELj4294967295EEENS1_25partition_config_selectorILNS1_17partition_subalgoE4EjNS0_10empty_typeEbEEZZNS1_14partition_implILS8_4ELb0ES6_15HIP_vector_typeIjLj2EENS0_17counting_iteratorIjlEEPS9_SG_NS0_5tupleIJPjSI_NS0_16reverse_iteratorISI_EEEEENSH_IJSG_SG_SG_EEES9_SI_JZNS1_25segmented_radix_sort_implINS0_14default_configELb1EPKlPlSQ_SR_N2at6native12_GLOBAL__N_18offset_tEEE10hipError_tPvRmT1_PNSt15iterator_traitsISZ_E10value_typeET2_T3_PNS10_IS15_E10value_typeET4_jRbjT5_S1B_jjP12ihipStream_tbEUljE_ZNSN_ISO_Lb1ESQ_SR_SQ_SR_SV_EESW_SX_SY_SZ_S13_S14_S15_S18_S19_jS1A_jS1B_S1B_jjS1D_bEUljE0_EEESW_SX_SY_S15_S19_S1B_T6_T7_T9_mT8_S1D_bDpT10_ENKUlT_T0_E_clISt17integral_constantIbLb1EES1R_EEDaS1M_S1N_EUlS1M_E_NS1_11comp_targetILNS1_3genE4ELNS1_11target_archE910ELNS1_3gpuE8ELNS1_3repE0EEENS1_30default_config_static_selectorELNS0_4arch9wavefront6targetE0EEEvSZ_ ; -- Begin function _ZN7rocprim17ROCPRIM_400000_NS6detail17trampoline_kernelINS0_13select_configILj256ELj13ELNS0_17block_load_methodE3ELS4_3ELS4_3ELNS0_20block_scan_algorithmE0ELj4294967295EEENS1_25partition_config_selectorILNS1_17partition_subalgoE4EjNS0_10empty_typeEbEEZZNS1_14partition_implILS8_4ELb0ES6_15HIP_vector_typeIjLj2EENS0_17counting_iteratorIjlEEPS9_SG_NS0_5tupleIJPjSI_NS0_16reverse_iteratorISI_EEEEENSH_IJSG_SG_SG_EEES9_SI_JZNS1_25segmented_radix_sort_implINS0_14default_configELb1EPKlPlSQ_SR_N2at6native12_GLOBAL__N_18offset_tEEE10hipError_tPvRmT1_PNSt15iterator_traitsISZ_E10value_typeET2_T3_PNS10_IS15_E10value_typeET4_jRbjT5_S1B_jjP12ihipStream_tbEUljE_ZNSN_ISO_Lb1ESQ_SR_SQ_SR_SV_EESW_SX_SY_SZ_S13_S14_S15_S18_S19_jS1A_jS1B_S1B_jjS1D_bEUljE0_EEESW_SX_SY_S15_S19_S1B_T6_T7_T9_mT8_S1D_bDpT10_ENKUlT_T0_E_clISt17integral_constantIbLb1EES1R_EEDaS1M_S1N_EUlS1M_E_NS1_11comp_targetILNS1_3genE4ELNS1_11target_archE910ELNS1_3gpuE8ELNS1_3repE0EEENS1_30default_config_static_selectorELNS0_4arch9wavefront6targetE0EEEvSZ_
	.p2align	8
	.type	_ZN7rocprim17ROCPRIM_400000_NS6detail17trampoline_kernelINS0_13select_configILj256ELj13ELNS0_17block_load_methodE3ELS4_3ELS4_3ELNS0_20block_scan_algorithmE0ELj4294967295EEENS1_25partition_config_selectorILNS1_17partition_subalgoE4EjNS0_10empty_typeEbEEZZNS1_14partition_implILS8_4ELb0ES6_15HIP_vector_typeIjLj2EENS0_17counting_iteratorIjlEEPS9_SG_NS0_5tupleIJPjSI_NS0_16reverse_iteratorISI_EEEEENSH_IJSG_SG_SG_EEES9_SI_JZNS1_25segmented_radix_sort_implINS0_14default_configELb1EPKlPlSQ_SR_N2at6native12_GLOBAL__N_18offset_tEEE10hipError_tPvRmT1_PNSt15iterator_traitsISZ_E10value_typeET2_T3_PNS10_IS15_E10value_typeET4_jRbjT5_S1B_jjP12ihipStream_tbEUljE_ZNSN_ISO_Lb1ESQ_SR_SQ_SR_SV_EESW_SX_SY_SZ_S13_S14_S15_S18_S19_jS1A_jS1B_S1B_jjS1D_bEUljE0_EEESW_SX_SY_S15_S19_S1B_T6_T7_T9_mT8_S1D_bDpT10_ENKUlT_T0_E_clISt17integral_constantIbLb1EES1R_EEDaS1M_S1N_EUlS1M_E_NS1_11comp_targetILNS1_3genE4ELNS1_11target_archE910ELNS1_3gpuE8ELNS1_3repE0EEENS1_30default_config_static_selectorELNS0_4arch9wavefront6targetE0EEEvSZ_,@function
_ZN7rocprim17ROCPRIM_400000_NS6detail17trampoline_kernelINS0_13select_configILj256ELj13ELNS0_17block_load_methodE3ELS4_3ELS4_3ELNS0_20block_scan_algorithmE0ELj4294967295EEENS1_25partition_config_selectorILNS1_17partition_subalgoE4EjNS0_10empty_typeEbEEZZNS1_14partition_implILS8_4ELb0ES6_15HIP_vector_typeIjLj2EENS0_17counting_iteratorIjlEEPS9_SG_NS0_5tupleIJPjSI_NS0_16reverse_iteratorISI_EEEEENSH_IJSG_SG_SG_EEES9_SI_JZNS1_25segmented_radix_sort_implINS0_14default_configELb1EPKlPlSQ_SR_N2at6native12_GLOBAL__N_18offset_tEEE10hipError_tPvRmT1_PNSt15iterator_traitsISZ_E10value_typeET2_T3_PNS10_IS15_E10value_typeET4_jRbjT5_S1B_jjP12ihipStream_tbEUljE_ZNSN_ISO_Lb1ESQ_SR_SQ_SR_SV_EESW_SX_SY_SZ_S13_S14_S15_S18_S19_jS1A_jS1B_S1B_jjS1D_bEUljE0_EEESW_SX_SY_S15_S19_S1B_T6_T7_T9_mT8_S1D_bDpT10_ENKUlT_T0_E_clISt17integral_constantIbLb1EES1R_EEDaS1M_S1N_EUlS1M_E_NS1_11comp_targetILNS1_3genE4ELNS1_11target_archE910ELNS1_3gpuE8ELNS1_3repE0EEENS1_30default_config_static_selectorELNS0_4arch9wavefront6targetE0EEEvSZ_: ; @_ZN7rocprim17ROCPRIM_400000_NS6detail17trampoline_kernelINS0_13select_configILj256ELj13ELNS0_17block_load_methodE3ELS4_3ELS4_3ELNS0_20block_scan_algorithmE0ELj4294967295EEENS1_25partition_config_selectorILNS1_17partition_subalgoE4EjNS0_10empty_typeEbEEZZNS1_14partition_implILS8_4ELb0ES6_15HIP_vector_typeIjLj2EENS0_17counting_iteratorIjlEEPS9_SG_NS0_5tupleIJPjSI_NS0_16reverse_iteratorISI_EEEEENSH_IJSG_SG_SG_EEES9_SI_JZNS1_25segmented_radix_sort_implINS0_14default_configELb1EPKlPlSQ_SR_N2at6native12_GLOBAL__N_18offset_tEEE10hipError_tPvRmT1_PNSt15iterator_traitsISZ_E10value_typeET2_T3_PNS10_IS15_E10value_typeET4_jRbjT5_S1B_jjP12ihipStream_tbEUljE_ZNSN_ISO_Lb1ESQ_SR_SQ_SR_SV_EESW_SX_SY_SZ_S13_S14_S15_S18_S19_jS1A_jS1B_S1B_jjS1D_bEUljE0_EEESW_SX_SY_S15_S19_S1B_T6_T7_T9_mT8_S1D_bDpT10_ENKUlT_T0_E_clISt17integral_constantIbLb1EES1R_EEDaS1M_S1N_EUlS1M_E_NS1_11comp_targetILNS1_3genE4ELNS1_11target_archE910ELNS1_3gpuE8ELNS1_3repE0EEENS1_30default_config_static_selectorELNS0_4arch9wavefront6targetE0EEEvSZ_
; %bb.0:
	.section	.rodata,"a",@progbits
	.p2align	6, 0x0
	.amdhsa_kernel _ZN7rocprim17ROCPRIM_400000_NS6detail17trampoline_kernelINS0_13select_configILj256ELj13ELNS0_17block_load_methodE3ELS4_3ELS4_3ELNS0_20block_scan_algorithmE0ELj4294967295EEENS1_25partition_config_selectorILNS1_17partition_subalgoE4EjNS0_10empty_typeEbEEZZNS1_14partition_implILS8_4ELb0ES6_15HIP_vector_typeIjLj2EENS0_17counting_iteratorIjlEEPS9_SG_NS0_5tupleIJPjSI_NS0_16reverse_iteratorISI_EEEEENSH_IJSG_SG_SG_EEES9_SI_JZNS1_25segmented_radix_sort_implINS0_14default_configELb1EPKlPlSQ_SR_N2at6native12_GLOBAL__N_18offset_tEEE10hipError_tPvRmT1_PNSt15iterator_traitsISZ_E10value_typeET2_T3_PNS10_IS15_E10value_typeET4_jRbjT5_S1B_jjP12ihipStream_tbEUljE_ZNSN_ISO_Lb1ESQ_SR_SQ_SR_SV_EESW_SX_SY_SZ_S13_S14_S15_S18_S19_jS1A_jS1B_S1B_jjS1D_bEUljE0_EEESW_SX_SY_S15_S19_S1B_T6_T7_T9_mT8_S1D_bDpT10_ENKUlT_T0_E_clISt17integral_constantIbLb1EES1R_EEDaS1M_S1N_EUlS1M_E_NS1_11comp_targetILNS1_3genE4ELNS1_11target_archE910ELNS1_3gpuE8ELNS1_3repE0EEENS1_30default_config_static_selectorELNS0_4arch9wavefront6targetE0EEEvSZ_
		.amdhsa_group_segment_fixed_size 0
		.amdhsa_private_segment_fixed_size 0
		.amdhsa_kernarg_size 184
		.amdhsa_user_sgpr_count 2
		.amdhsa_user_sgpr_dispatch_ptr 0
		.amdhsa_user_sgpr_queue_ptr 0
		.amdhsa_user_sgpr_kernarg_segment_ptr 1
		.amdhsa_user_sgpr_dispatch_id 0
		.amdhsa_user_sgpr_private_segment_size 0
		.amdhsa_wavefront_size32 1
		.amdhsa_uses_dynamic_stack 0
		.amdhsa_enable_private_segment 0
		.amdhsa_system_sgpr_workgroup_id_x 1
		.amdhsa_system_sgpr_workgroup_id_y 0
		.amdhsa_system_sgpr_workgroup_id_z 0
		.amdhsa_system_sgpr_workgroup_info 0
		.amdhsa_system_vgpr_workitem_id 0
		.amdhsa_next_free_vgpr 1
		.amdhsa_next_free_sgpr 1
		.amdhsa_reserve_vcc 0
		.amdhsa_float_round_mode_32 0
		.amdhsa_float_round_mode_16_64 0
		.amdhsa_float_denorm_mode_32 3
		.amdhsa_float_denorm_mode_16_64 3
		.amdhsa_fp16_overflow 0
		.amdhsa_workgroup_processor_mode 1
		.amdhsa_memory_ordered 1
		.amdhsa_forward_progress 1
		.amdhsa_inst_pref_size 0
		.amdhsa_round_robin_scheduling 0
		.amdhsa_exception_fp_ieee_invalid_op 0
		.amdhsa_exception_fp_denorm_src 0
		.amdhsa_exception_fp_ieee_div_zero 0
		.amdhsa_exception_fp_ieee_overflow 0
		.amdhsa_exception_fp_ieee_underflow 0
		.amdhsa_exception_fp_ieee_inexact 0
		.amdhsa_exception_int_div_zero 0
	.end_amdhsa_kernel
	.section	.text._ZN7rocprim17ROCPRIM_400000_NS6detail17trampoline_kernelINS0_13select_configILj256ELj13ELNS0_17block_load_methodE3ELS4_3ELS4_3ELNS0_20block_scan_algorithmE0ELj4294967295EEENS1_25partition_config_selectorILNS1_17partition_subalgoE4EjNS0_10empty_typeEbEEZZNS1_14partition_implILS8_4ELb0ES6_15HIP_vector_typeIjLj2EENS0_17counting_iteratorIjlEEPS9_SG_NS0_5tupleIJPjSI_NS0_16reverse_iteratorISI_EEEEENSH_IJSG_SG_SG_EEES9_SI_JZNS1_25segmented_radix_sort_implINS0_14default_configELb1EPKlPlSQ_SR_N2at6native12_GLOBAL__N_18offset_tEEE10hipError_tPvRmT1_PNSt15iterator_traitsISZ_E10value_typeET2_T3_PNS10_IS15_E10value_typeET4_jRbjT5_S1B_jjP12ihipStream_tbEUljE_ZNSN_ISO_Lb1ESQ_SR_SQ_SR_SV_EESW_SX_SY_SZ_S13_S14_S15_S18_S19_jS1A_jS1B_S1B_jjS1D_bEUljE0_EEESW_SX_SY_S15_S19_S1B_T6_T7_T9_mT8_S1D_bDpT10_ENKUlT_T0_E_clISt17integral_constantIbLb1EES1R_EEDaS1M_S1N_EUlS1M_E_NS1_11comp_targetILNS1_3genE4ELNS1_11target_archE910ELNS1_3gpuE8ELNS1_3repE0EEENS1_30default_config_static_selectorELNS0_4arch9wavefront6targetE0EEEvSZ_,"axG",@progbits,_ZN7rocprim17ROCPRIM_400000_NS6detail17trampoline_kernelINS0_13select_configILj256ELj13ELNS0_17block_load_methodE3ELS4_3ELS4_3ELNS0_20block_scan_algorithmE0ELj4294967295EEENS1_25partition_config_selectorILNS1_17partition_subalgoE4EjNS0_10empty_typeEbEEZZNS1_14partition_implILS8_4ELb0ES6_15HIP_vector_typeIjLj2EENS0_17counting_iteratorIjlEEPS9_SG_NS0_5tupleIJPjSI_NS0_16reverse_iteratorISI_EEEEENSH_IJSG_SG_SG_EEES9_SI_JZNS1_25segmented_radix_sort_implINS0_14default_configELb1EPKlPlSQ_SR_N2at6native12_GLOBAL__N_18offset_tEEE10hipError_tPvRmT1_PNSt15iterator_traitsISZ_E10value_typeET2_T3_PNS10_IS15_E10value_typeET4_jRbjT5_S1B_jjP12ihipStream_tbEUljE_ZNSN_ISO_Lb1ESQ_SR_SQ_SR_SV_EESW_SX_SY_SZ_S13_S14_S15_S18_S19_jS1A_jS1B_S1B_jjS1D_bEUljE0_EEESW_SX_SY_S15_S19_S1B_T6_T7_T9_mT8_S1D_bDpT10_ENKUlT_T0_E_clISt17integral_constantIbLb1EES1R_EEDaS1M_S1N_EUlS1M_E_NS1_11comp_targetILNS1_3genE4ELNS1_11target_archE910ELNS1_3gpuE8ELNS1_3repE0EEENS1_30default_config_static_selectorELNS0_4arch9wavefront6targetE0EEEvSZ_,comdat
.Lfunc_end650:
	.size	_ZN7rocprim17ROCPRIM_400000_NS6detail17trampoline_kernelINS0_13select_configILj256ELj13ELNS0_17block_load_methodE3ELS4_3ELS4_3ELNS0_20block_scan_algorithmE0ELj4294967295EEENS1_25partition_config_selectorILNS1_17partition_subalgoE4EjNS0_10empty_typeEbEEZZNS1_14partition_implILS8_4ELb0ES6_15HIP_vector_typeIjLj2EENS0_17counting_iteratorIjlEEPS9_SG_NS0_5tupleIJPjSI_NS0_16reverse_iteratorISI_EEEEENSH_IJSG_SG_SG_EEES9_SI_JZNS1_25segmented_radix_sort_implINS0_14default_configELb1EPKlPlSQ_SR_N2at6native12_GLOBAL__N_18offset_tEEE10hipError_tPvRmT1_PNSt15iterator_traitsISZ_E10value_typeET2_T3_PNS10_IS15_E10value_typeET4_jRbjT5_S1B_jjP12ihipStream_tbEUljE_ZNSN_ISO_Lb1ESQ_SR_SQ_SR_SV_EESW_SX_SY_SZ_S13_S14_S15_S18_S19_jS1A_jS1B_S1B_jjS1D_bEUljE0_EEESW_SX_SY_S15_S19_S1B_T6_T7_T9_mT8_S1D_bDpT10_ENKUlT_T0_E_clISt17integral_constantIbLb1EES1R_EEDaS1M_S1N_EUlS1M_E_NS1_11comp_targetILNS1_3genE4ELNS1_11target_archE910ELNS1_3gpuE8ELNS1_3repE0EEENS1_30default_config_static_selectorELNS0_4arch9wavefront6targetE0EEEvSZ_, .Lfunc_end650-_ZN7rocprim17ROCPRIM_400000_NS6detail17trampoline_kernelINS0_13select_configILj256ELj13ELNS0_17block_load_methodE3ELS4_3ELS4_3ELNS0_20block_scan_algorithmE0ELj4294967295EEENS1_25partition_config_selectorILNS1_17partition_subalgoE4EjNS0_10empty_typeEbEEZZNS1_14partition_implILS8_4ELb0ES6_15HIP_vector_typeIjLj2EENS0_17counting_iteratorIjlEEPS9_SG_NS0_5tupleIJPjSI_NS0_16reverse_iteratorISI_EEEEENSH_IJSG_SG_SG_EEES9_SI_JZNS1_25segmented_radix_sort_implINS0_14default_configELb1EPKlPlSQ_SR_N2at6native12_GLOBAL__N_18offset_tEEE10hipError_tPvRmT1_PNSt15iterator_traitsISZ_E10value_typeET2_T3_PNS10_IS15_E10value_typeET4_jRbjT5_S1B_jjP12ihipStream_tbEUljE_ZNSN_ISO_Lb1ESQ_SR_SQ_SR_SV_EESW_SX_SY_SZ_S13_S14_S15_S18_S19_jS1A_jS1B_S1B_jjS1D_bEUljE0_EEESW_SX_SY_S15_S19_S1B_T6_T7_T9_mT8_S1D_bDpT10_ENKUlT_T0_E_clISt17integral_constantIbLb1EES1R_EEDaS1M_S1N_EUlS1M_E_NS1_11comp_targetILNS1_3genE4ELNS1_11target_archE910ELNS1_3gpuE8ELNS1_3repE0EEENS1_30default_config_static_selectorELNS0_4arch9wavefront6targetE0EEEvSZ_
                                        ; -- End function
	.set _ZN7rocprim17ROCPRIM_400000_NS6detail17trampoline_kernelINS0_13select_configILj256ELj13ELNS0_17block_load_methodE3ELS4_3ELS4_3ELNS0_20block_scan_algorithmE0ELj4294967295EEENS1_25partition_config_selectorILNS1_17partition_subalgoE4EjNS0_10empty_typeEbEEZZNS1_14partition_implILS8_4ELb0ES6_15HIP_vector_typeIjLj2EENS0_17counting_iteratorIjlEEPS9_SG_NS0_5tupleIJPjSI_NS0_16reverse_iteratorISI_EEEEENSH_IJSG_SG_SG_EEES9_SI_JZNS1_25segmented_radix_sort_implINS0_14default_configELb1EPKlPlSQ_SR_N2at6native12_GLOBAL__N_18offset_tEEE10hipError_tPvRmT1_PNSt15iterator_traitsISZ_E10value_typeET2_T3_PNS10_IS15_E10value_typeET4_jRbjT5_S1B_jjP12ihipStream_tbEUljE_ZNSN_ISO_Lb1ESQ_SR_SQ_SR_SV_EESW_SX_SY_SZ_S13_S14_S15_S18_S19_jS1A_jS1B_S1B_jjS1D_bEUljE0_EEESW_SX_SY_S15_S19_S1B_T6_T7_T9_mT8_S1D_bDpT10_ENKUlT_T0_E_clISt17integral_constantIbLb1EES1R_EEDaS1M_S1N_EUlS1M_E_NS1_11comp_targetILNS1_3genE4ELNS1_11target_archE910ELNS1_3gpuE8ELNS1_3repE0EEENS1_30default_config_static_selectorELNS0_4arch9wavefront6targetE0EEEvSZ_.num_vgpr, 0
	.set _ZN7rocprim17ROCPRIM_400000_NS6detail17trampoline_kernelINS0_13select_configILj256ELj13ELNS0_17block_load_methodE3ELS4_3ELS4_3ELNS0_20block_scan_algorithmE0ELj4294967295EEENS1_25partition_config_selectorILNS1_17partition_subalgoE4EjNS0_10empty_typeEbEEZZNS1_14partition_implILS8_4ELb0ES6_15HIP_vector_typeIjLj2EENS0_17counting_iteratorIjlEEPS9_SG_NS0_5tupleIJPjSI_NS0_16reverse_iteratorISI_EEEEENSH_IJSG_SG_SG_EEES9_SI_JZNS1_25segmented_radix_sort_implINS0_14default_configELb1EPKlPlSQ_SR_N2at6native12_GLOBAL__N_18offset_tEEE10hipError_tPvRmT1_PNSt15iterator_traitsISZ_E10value_typeET2_T3_PNS10_IS15_E10value_typeET4_jRbjT5_S1B_jjP12ihipStream_tbEUljE_ZNSN_ISO_Lb1ESQ_SR_SQ_SR_SV_EESW_SX_SY_SZ_S13_S14_S15_S18_S19_jS1A_jS1B_S1B_jjS1D_bEUljE0_EEESW_SX_SY_S15_S19_S1B_T6_T7_T9_mT8_S1D_bDpT10_ENKUlT_T0_E_clISt17integral_constantIbLb1EES1R_EEDaS1M_S1N_EUlS1M_E_NS1_11comp_targetILNS1_3genE4ELNS1_11target_archE910ELNS1_3gpuE8ELNS1_3repE0EEENS1_30default_config_static_selectorELNS0_4arch9wavefront6targetE0EEEvSZ_.num_agpr, 0
	.set _ZN7rocprim17ROCPRIM_400000_NS6detail17trampoline_kernelINS0_13select_configILj256ELj13ELNS0_17block_load_methodE3ELS4_3ELS4_3ELNS0_20block_scan_algorithmE0ELj4294967295EEENS1_25partition_config_selectorILNS1_17partition_subalgoE4EjNS0_10empty_typeEbEEZZNS1_14partition_implILS8_4ELb0ES6_15HIP_vector_typeIjLj2EENS0_17counting_iteratorIjlEEPS9_SG_NS0_5tupleIJPjSI_NS0_16reverse_iteratorISI_EEEEENSH_IJSG_SG_SG_EEES9_SI_JZNS1_25segmented_radix_sort_implINS0_14default_configELb1EPKlPlSQ_SR_N2at6native12_GLOBAL__N_18offset_tEEE10hipError_tPvRmT1_PNSt15iterator_traitsISZ_E10value_typeET2_T3_PNS10_IS15_E10value_typeET4_jRbjT5_S1B_jjP12ihipStream_tbEUljE_ZNSN_ISO_Lb1ESQ_SR_SQ_SR_SV_EESW_SX_SY_SZ_S13_S14_S15_S18_S19_jS1A_jS1B_S1B_jjS1D_bEUljE0_EEESW_SX_SY_S15_S19_S1B_T6_T7_T9_mT8_S1D_bDpT10_ENKUlT_T0_E_clISt17integral_constantIbLb1EES1R_EEDaS1M_S1N_EUlS1M_E_NS1_11comp_targetILNS1_3genE4ELNS1_11target_archE910ELNS1_3gpuE8ELNS1_3repE0EEENS1_30default_config_static_selectorELNS0_4arch9wavefront6targetE0EEEvSZ_.numbered_sgpr, 0
	.set _ZN7rocprim17ROCPRIM_400000_NS6detail17trampoline_kernelINS0_13select_configILj256ELj13ELNS0_17block_load_methodE3ELS4_3ELS4_3ELNS0_20block_scan_algorithmE0ELj4294967295EEENS1_25partition_config_selectorILNS1_17partition_subalgoE4EjNS0_10empty_typeEbEEZZNS1_14partition_implILS8_4ELb0ES6_15HIP_vector_typeIjLj2EENS0_17counting_iteratorIjlEEPS9_SG_NS0_5tupleIJPjSI_NS0_16reverse_iteratorISI_EEEEENSH_IJSG_SG_SG_EEES9_SI_JZNS1_25segmented_radix_sort_implINS0_14default_configELb1EPKlPlSQ_SR_N2at6native12_GLOBAL__N_18offset_tEEE10hipError_tPvRmT1_PNSt15iterator_traitsISZ_E10value_typeET2_T3_PNS10_IS15_E10value_typeET4_jRbjT5_S1B_jjP12ihipStream_tbEUljE_ZNSN_ISO_Lb1ESQ_SR_SQ_SR_SV_EESW_SX_SY_SZ_S13_S14_S15_S18_S19_jS1A_jS1B_S1B_jjS1D_bEUljE0_EEESW_SX_SY_S15_S19_S1B_T6_T7_T9_mT8_S1D_bDpT10_ENKUlT_T0_E_clISt17integral_constantIbLb1EES1R_EEDaS1M_S1N_EUlS1M_E_NS1_11comp_targetILNS1_3genE4ELNS1_11target_archE910ELNS1_3gpuE8ELNS1_3repE0EEENS1_30default_config_static_selectorELNS0_4arch9wavefront6targetE0EEEvSZ_.num_named_barrier, 0
	.set _ZN7rocprim17ROCPRIM_400000_NS6detail17trampoline_kernelINS0_13select_configILj256ELj13ELNS0_17block_load_methodE3ELS4_3ELS4_3ELNS0_20block_scan_algorithmE0ELj4294967295EEENS1_25partition_config_selectorILNS1_17partition_subalgoE4EjNS0_10empty_typeEbEEZZNS1_14partition_implILS8_4ELb0ES6_15HIP_vector_typeIjLj2EENS0_17counting_iteratorIjlEEPS9_SG_NS0_5tupleIJPjSI_NS0_16reverse_iteratorISI_EEEEENSH_IJSG_SG_SG_EEES9_SI_JZNS1_25segmented_radix_sort_implINS0_14default_configELb1EPKlPlSQ_SR_N2at6native12_GLOBAL__N_18offset_tEEE10hipError_tPvRmT1_PNSt15iterator_traitsISZ_E10value_typeET2_T3_PNS10_IS15_E10value_typeET4_jRbjT5_S1B_jjP12ihipStream_tbEUljE_ZNSN_ISO_Lb1ESQ_SR_SQ_SR_SV_EESW_SX_SY_SZ_S13_S14_S15_S18_S19_jS1A_jS1B_S1B_jjS1D_bEUljE0_EEESW_SX_SY_S15_S19_S1B_T6_T7_T9_mT8_S1D_bDpT10_ENKUlT_T0_E_clISt17integral_constantIbLb1EES1R_EEDaS1M_S1N_EUlS1M_E_NS1_11comp_targetILNS1_3genE4ELNS1_11target_archE910ELNS1_3gpuE8ELNS1_3repE0EEENS1_30default_config_static_selectorELNS0_4arch9wavefront6targetE0EEEvSZ_.private_seg_size, 0
	.set _ZN7rocprim17ROCPRIM_400000_NS6detail17trampoline_kernelINS0_13select_configILj256ELj13ELNS0_17block_load_methodE3ELS4_3ELS4_3ELNS0_20block_scan_algorithmE0ELj4294967295EEENS1_25partition_config_selectorILNS1_17partition_subalgoE4EjNS0_10empty_typeEbEEZZNS1_14partition_implILS8_4ELb0ES6_15HIP_vector_typeIjLj2EENS0_17counting_iteratorIjlEEPS9_SG_NS0_5tupleIJPjSI_NS0_16reverse_iteratorISI_EEEEENSH_IJSG_SG_SG_EEES9_SI_JZNS1_25segmented_radix_sort_implINS0_14default_configELb1EPKlPlSQ_SR_N2at6native12_GLOBAL__N_18offset_tEEE10hipError_tPvRmT1_PNSt15iterator_traitsISZ_E10value_typeET2_T3_PNS10_IS15_E10value_typeET4_jRbjT5_S1B_jjP12ihipStream_tbEUljE_ZNSN_ISO_Lb1ESQ_SR_SQ_SR_SV_EESW_SX_SY_SZ_S13_S14_S15_S18_S19_jS1A_jS1B_S1B_jjS1D_bEUljE0_EEESW_SX_SY_S15_S19_S1B_T6_T7_T9_mT8_S1D_bDpT10_ENKUlT_T0_E_clISt17integral_constantIbLb1EES1R_EEDaS1M_S1N_EUlS1M_E_NS1_11comp_targetILNS1_3genE4ELNS1_11target_archE910ELNS1_3gpuE8ELNS1_3repE0EEENS1_30default_config_static_selectorELNS0_4arch9wavefront6targetE0EEEvSZ_.uses_vcc, 0
	.set _ZN7rocprim17ROCPRIM_400000_NS6detail17trampoline_kernelINS0_13select_configILj256ELj13ELNS0_17block_load_methodE3ELS4_3ELS4_3ELNS0_20block_scan_algorithmE0ELj4294967295EEENS1_25partition_config_selectorILNS1_17partition_subalgoE4EjNS0_10empty_typeEbEEZZNS1_14partition_implILS8_4ELb0ES6_15HIP_vector_typeIjLj2EENS0_17counting_iteratorIjlEEPS9_SG_NS0_5tupleIJPjSI_NS0_16reverse_iteratorISI_EEEEENSH_IJSG_SG_SG_EEES9_SI_JZNS1_25segmented_radix_sort_implINS0_14default_configELb1EPKlPlSQ_SR_N2at6native12_GLOBAL__N_18offset_tEEE10hipError_tPvRmT1_PNSt15iterator_traitsISZ_E10value_typeET2_T3_PNS10_IS15_E10value_typeET4_jRbjT5_S1B_jjP12ihipStream_tbEUljE_ZNSN_ISO_Lb1ESQ_SR_SQ_SR_SV_EESW_SX_SY_SZ_S13_S14_S15_S18_S19_jS1A_jS1B_S1B_jjS1D_bEUljE0_EEESW_SX_SY_S15_S19_S1B_T6_T7_T9_mT8_S1D_bDpT10_ENKUlT_T0_E_clISt17integral_constantIbLb1EES1R_EEDaS1M_S1N_EUlS1M_E_NS1_11comp_targetILNS1_3genE4ELNS1_11target_archE910ELNS1_3gpuE8ELNS1_3repE0EEENS1_30default_config_static_selectorELNS0_4arch9wavefront6targetE0EEEvSZ_.uses_flat_scratch, 0
	.set _ZN7rocprim17ROCPRIM_400000_NS6detail17trampoline_kernelINS0_13select_configILj256ELj13ELNS0_17block_load_methodE3ELS4_3ELS4_3ELNS0_20block_scan_algorithmE0ELj4294967295EEENS1_25partition_config_selectorILNS1_17partition_subalgoE4EjNS0_10empty_typeEbEEZZNS1_14partition_implILS8_4ELb0ES6_15HIP_vector_typeIjLj2EENS0_17counting_iteratorIjlEEPS9_SG_NS0_5tupleIJPjSI_NS0_16reverse_iteratorISI_EEEEENSH_IJSG_SG_SG_EEES9_SI_JZNS1_25segmented_radix_sort_implINS0_14default_configELb1EPKlPlSQ_SR_N2at6native12_GLOBAL__N_18offset_tEEE10hipError_tPvRmT1_PNSt15iterator_traitsISZ_E10value_typeET2_T3_PNS10_IS15_E10value_typeET4_jRbjT5_S1B_jjP12ihipStream_tbEUljE_ZNSN_ISO_Lb1ESQ_SR_SQ_SR_SV_EESW_SX_SY_SZ_S13_S14_S15_S18_S19_jS1A_jS1B_S1B_jjS1D_bEUljE0_EEESW_SX_SY_S15_S19_S1B_T6_T7_T9_mT8_S1D_bDpT10_ENKUlT_T0_E_clISt17integral_constantIbLb1EES1R_EEDaS1M_S1N_EUlS1M_E_NS1_11comp_targetILNS1_3genE4ELNS1_11target_archE910ELNS1_3gpuE8ELNS1_3repE0EEENS1_30default_config_static_selectorELNS0_4arch9wavefront6targetE0EEEvSZ_.has_dyn_sized_stack, 0
	.set _ZN7rocprim17ROCPRIM_400000_NS6detail17trampoline_kernelINS0_13select_configILj256ELj13ELNS0_17block_load_methodE3ELS4_3ELS4_3ELNS0_20block_scan_algorithmE0ELj4294967295EEENS1_25partition_config_selectorILNS1_17partition_subalgoE4EjNS0_10empty_typeEbEEZZNS1_14partition_implILS8_4ELb0ES6_15HIP_vector_typeIjLj2EENS0_17counting_iteratorIjlEEPS9_SG_NS0_5tupleIJPjSI_NS0_16reverse_iteratorISI_EEEEENSH_IJSG_SG_SG_EEES9_SI_JZNS1_25segmented_radix_sort_implINS0_14default_configELb1EPKlPlSQ_SR_N2at6native12_GLOBAL__N_18offset_tEEE10hipError_tPvRmT1_PNSt15iterator_traitsISZ_E10value_typeET2_T3_PNS10_IS15_E10value_typeET4_jRbjT5_S1B_jjP12ihipStream_tbEUljE_ZNSN_ISO_Lb1ESQ_SR_SQ_SR_SV_EESW_SX_SY_SZ_S13_S14_S15_S18_S19_jS1A_jS1B_S1B_jjS1D_bEUljE0_EEESW_SX_SY_S15_S19_S1B_T6_T7_T9_mT8_S1D_bDpT10_ENKUlT_T0_E_clISt17integral_constantIbLb1EES1R_EEDaS1M_S1N_EUlS1M_E_NS1_11comp_targetILNS1_3genE4ELNS1_11target_archE910ELNS1_3gpuE8ELNS1_3repE0EEENS1_30default_config_static_selectorELNS0_4arch9wavefront6targetE0EEEvSZ_.has_recursion, 0
	.set _ZN7rocprim17ROCPRIM_400000_NS6detail17trampoline_kernelINS0_13select_configILj256ELj13ELNS0_17block_load_methodE3ELS4_3ELS4_3ELNS0_20block_scan_algorithmE0ELj4294967295EEENS1_25partition_config_selectorILNS1_17partition_subalgoE4EjNS0_10empty_typeEbEEZZNS1_14partition_implILS8_4ELb0ES6_15HIP_vector_typeIjLj2EENS0_17counting_iteratorIjlEEPS9_SG_NS0_5tupleIJPjSI_NS0_16reverse_iteratorISI_EEEEENSH_IJSG_SG_SG_EEES9_SI_JZNS1_25segmented_radix_sort_implINS0_14default_configELb1EPKlPlSQ_SR_N2at6native12_GLOBAL__N_18offset_tEEE10hipError_tPvRmT1_PNSt15iterator_traitsISZ_E10value_typeET2_T3_PNS10_IS15_E10value_typeET4_jRbjT5_S1B_jjP12ihipStream_tbEUljE_ZNSN_ISO_Lb1ESQ_SR_SQ_SR_SV_EESW_SX_SY_SZ_S13_S14_S15_S18_S19_jS1A_jS1B_S1B_jjS1D_bEUljE0_EEESW_SX_SY_S15_S19_S1B_T6_T7_T9_mT8_S1D_bDpT10_ENKUlT_T0_E_clISt17integral_constantIbLb1EES1R_EEDaS1M_S1N_EUlS1M_E_NS1_11comp_targetILNS1_3genE4ELNS1_11target_archE910ELNS1_3gpuE8ELNS1_3repE0EEENS1_30default_config_static_selectorELNS0_4arch9wavefront6targetE0EEEvSZ_.has_indirect_call, 0
	.section	.AMDGPU.csdata,"",@progbits
; Kernel info:
; codeLenInByte = 0
; TotalNumSgprs: 0
; NumVgprs: 0
; ScratchSize: 0
; MemoryBound: 0
; FloatMode: 240
; IeeeMode: 1
; LDSByteSize: 0 bytes/workgroup (compile time only)
; SGPRBlocks: 0
; VGPRBlocks: 0
; NumSGPRsForWavesPerEU: 1
; NumVGPRsForWavesPerEU: 1
; Occupancy: 16
; WaveLimiterHint : 0
; COMPUTE_PGM_RSRC2:SCRATCH_EN: 0
; COMPUTE_PGM_RSRC2:USER_SGPR: 2
; COMPUTE_PGM_RSRC2:TRAP_HANDLER: 0
; COMPUTE_PGM_RSRC2:TGID_X_EN: 1
; COMPUTE_PGM_RSRC2:TGID_Y_EN: 0
; COMPUTE_PGM_RSRC2:TGID_Z_EN: 0
; COMPUTE_PGM_RSRC2:TIDIG_COMP_CNT: 0
	.section	.text._ZN7rocprim17ROCPRIM_400000_NS6detail17trampoline_kernelINS0_13select_configILj256ELj13ELNS0_17block_load_methodE3ELS4_3ELS4_3ELNS0_20block_scan_algorithmE0ELj4294967295EEENS1_25partition_config_selectorILNS1_17partition_subalgoE4EjNS0_10empty_typeEbEEZZNS1_14partition_implILS8_4ELb0ES6_15HIP_vector_typeIjLj2EENS0_17counting_iteratorIjlEEPS9_SG_NS0_5tupleIJPjSI_NS0_16reverse_iteratorISI_EEEEENSH_IJSG_SG_SG_EEES9_SI_JZNS1_25segmented_radix_sort_implINS0_14default_configELb1EPKlPlSQ_SR_N2at6native12_GLOBAL__N_18offset_tEEE10hipError_tPvRmT1_PNSt15iterator_traitsISZ_E10value_typeET2_T3_PNS10_IS15_E10value_typeET4_jRbjT5_S1B_jjP12ihipStream_tbEUljE_ZNSN_ISO_Lb1ESQ_SR_SQ_SR_SV_EESW_SX_SY_SZ_S13_S14_S15_S18_S19_jS1A_jS1B_S1B_jjS1D_bEUljE0_EEESW_SX_SY_S15_S19_S1B_T6_T7_T9_mT8_S1D_bDpT10_ENKUlT_T0_E_clISt17integral_constantIbLb1EES1R_EEDaS1M_S1N_EUlS1M_E_NS1_11comp_targetILNS1_3genE3ELNS1_11target_archE908ELNS1_3gpuE7ELNS1_3repE0EEENS1_30default_config_static_selectorELNS0_4arch9wavefront6targetE0EEEvSZ_,"axG",@progbits,_ZN7rocprim17ROCPRIM_400000_NS6detail17trampoline_kernelINS0_13select_configILj256ELj13ELNS0_17block_load_methodE3ELS4_3ELS4_3ELNS0_20block_scan_algorithmE0ELj4294967295EEENS1_25partition_config_selectorILNS1_17partition_subalgoE4EjNS0_10empty_typeEbEEZZNS1_14partition_implILS8_4ELb0ES6_15HIP_vector_typeIjLj2EENS0_17counting_iteratorIjlEEPS9_SG_NS0_5tupleIJPjSI_NS0_16reverse_iteratorISI_EEEEENSH_IJSG_SG_SG_EEES9_SI_JZNS1_25segmented_radix_sort_implINS0_14default_configELb1EPKlPlSQ_SR_N2at6native12_GLOBAL__N_18offset_tEEE10hipError_tPvRmT1_PNSt15iterator_traitsISZ_E10value_typeET2_T3_PNS10_IS15_E10value_typeET4_jRbjT5_S1B_jjP12ihipStream_tbEUljE_ZNSN_ISO_Lb1ESQ_SR_SQ_SR_SV_EESW_SX_SY_SZ_S13_S14_S15_S18_S19_jS1A_jS1B_S1B_jjS1D_bEUljE0_EEESW_SX_SY_S15_S19_S1B_T6_T7_T9_mT8_S1D_bDpT10_ENKUlT_T0_E_clISt17integral_constantIbLb1EES1R_EEDaS1M_S1N_EUlS1M_E_NS1_11comp_targetILNS1_3genE3ELNS1_11target_archE908ELNS1_3gpuE7ELNS1_3repE0EEENS1_30default_config_static_selectorELNS0_4arch9wavefront6targetE0EEEvSZ_,comdat
	.globl	_ZN7rocprim17ROCPRIM_400000_NS6detail17trampoline_kernelINS0_13select_configILj256ELj13ELNS0_17block_load_methodE3ELS4_3ELS4_3ELNS0_20block_scan_algorithmE0ELj4294967295EEENS1_25partition_config_selectorILNS1_17partition_subalgoE4EjNS0_10empty_typeEbEEZZNS1_14partition_implILS8_4ELb0ES6_15HIP_vector_typeIjLj2EENS0_17counting_iteratorIjlEEPS9_SG_NS0_5tupleIJPjSI_NS0_16reverse_iteratorISI_EEEEENSH_IJSG_SG_SG_EEES9_SI_JZNS1_25segmented_radix_sort_implINS0_14default_configELb1EPKlPlSQ_SR_N2at6native12_GLOBAL__N_18offset_tEEE10hipError_tPvRmT1_PNSt15iterator_traitsISZ_E10value_typeET2_T3_PNS10_IS15_E10value_typeET4_jRbjT5_S1B_jjP12ihipStream_tbEUljE_ZNSN_ISO_Lb1ESQ_SR_SQ_SR_SV_EESW_SX_SY_SZ_S13_S14_S15_S18_S19_jS1A_jS1B_S1B_jjS1D_bEUljE0_EEESW_SX_SY_S15_S19_S1B_T6_T7_T9_mT8_S1D_bDpT10_ENKUlT_T0_E_clISt17integral_constantIbLb1EES1R_EEDaS1M_S1N_EUlS1M_E_NS1_11comp_targetILNS1_3genE3ELNS1_11target_archE908ELNS1_3gpuE7ELNS1_3repE0EEENS1_30default_config_static_selectorELNS0_4arch9wavefront6targetE0EEEvSZ_ ; -- Begin function _ZN7rocprim17ROCPRIM_400000_NS6detail17trampoline_kernelINS0_13select_configILj256ELj13ELNS0_17block_load_methodE3ELS4_3ELS4_3ELNS0_20block_scan_algorithmE0ELj4294967295EEENS1_25partition_config_selectorILNS1_17partition_subalgoE4EjNS0_10empty_typeEbEEZZNS1_14partition_implILS8_4ELb0ES6_15HIP_vector_typeIjLj2EENS0_17counting_iteratorIjlEEPS9_SG_NS0_5tupleIJPjSI_NS0_16reverse_iteratorISI_EEEEENSH_IJSG_SG_SG_EEES9_SI_JZNS1_25segmented_radix_sort_implINS0_14default_configELb1EPKlPlSQ_SR_N2at6native12_GLOBAL__N_18offset_tEEE10hipError_tPvRmT1_PNSt15iterator_traitsISZ_E10value_typeET2_T3_PNS10_IS15_E10value_typeET4_jRbjT5_S1B_jjP12ihipStream_tbEUljE_ZNSN_ISO_Lb1ESQ_SR_SQ_SR_SV_EESW_SX_SY_SZ_S13_S14_S15_S18_S19_jS1A_jS1B_S1B_jjS1D_bEUljE0_EEESW_SX_SY_S15_S19_S1B_T6_T7_T9_mT8_S1D_bDpT10_ENKUlT_T0_E_clISt17integral_constantIbLb1EES1R_EEDaS1M_S1N_EUlS1M_E_NS1_11comp_targetILNS1_3genE3ELNS1_11target_archE908ELNS1_3gpuE7ELNS1_3repE0EEENS1_30default_config_static_selectorELNS0_4arch9wavefront6targetE0EEEvSZ_
	.p2align	8
	.type	_ZN7rocprim17ROCPRIM_400000_NS6detail17trampoline_kernelINS0_13select_configILj256ELj13ELNS0_17block_load_methodE3ELS4_3ELS4_3ELNS0_20block_scan_algorithmE0ELj4294967295EEENS1_25partition_config_selectorILNS1_17partition_subalgoE4EjNS0_10empty_typeEbEEZZNS1_14partition_implILS8_4ELb0ES6_15HIP_vector_typeIjLj2EENS0_17counting_iteratorIjlEEPS9_SG_NS0_5tupleIJPjSI_NS0_16reverse_iteratorISI_EEEEENSH_IJSG_SG_SG_EEES9_SI_JZNS1_25segmented_radix_sort_implINS0_14default_configELb1EPKlPlSQ_SR_N2at6native12_GLOBAL__N_18offset_tEEE10hipError_tPvRmT1_PNSt15iterator_traitsISZ_E10value_typeET2_T3_PNS10_IS15_E10value_typeET4_jRbjT5_S1B_jjP12ihipStream_tbEUljE_ZNSN_ISO_Lb1ESQ_SR_SQ_SR_SV_EESW_SX_SY_SZ_S13_S14_S15_S18_S19_jS1A_jS1B_S1B_jjS1D_bEUljE0_EEESW_SX_SY_S15_S19_S1B_T6_T7_T9_mT8_S1D_bDpT10_ENKUlT_T0_E_clISt17integral_constantIbLb1EES1R_EEDaS1M_S1N_EUlS1M_E_NS1_11comp_targetILNS1_3genE3ELNS1_11target_archE908ELNS1_3gpuE7ELNS1_3repE0EEENS1_30default_config_static_selectorELNS0_4arch9wavefront6targetE0EEEvSZ_,@function
_ZN7rocprim17ROCPRIM_400000_NS6detail17trampoline_kernelINS0_13select_configILj256ELj13ELNS0_17block_load_methodE3ELS4_3ELS4_3ELNS0_20block_scan_algorithmE0ELj4294967295EEENS1_25partition_config_selectorILNS1_17partition_subalgoE4EjNS0_10empty_typeEbEEZZNS1_14partition_implILS8_4ELb0ES6_15HIP_vector_typeIjLj2EENS0_17counting_iteratorIjlEEPS9_SG_NS0_5tupleIJPjSI_NS0_16reverse_iteratorISI_EEEEENSH_IJSG_SG_SG_EEES9_SI_JZNS1_25segmented_radix_sort_implINS0_14default_configELb1EPKlPlSQ_SR_N2at6native12_GLOBAL__N_18offset_tEEE10hipError_tPvRmT1_PNSt15iterator_traitsISZ_E10value_typeET2_T3_PNS10_IS15_E10value_typeET4_jRbjT5_S1B_jjP12ihipStream_tbEUljE_ZNSN_ISO_Lb1ESQ_SR_SQ_SR_SV_EESW_SX_SY_SZ_S13_S14_S15_S18_S19_jS1A_jS1B_S1B_jjS1D_bEUljE0_EEESW_SX_SY_S15_S19_S1B_T6_T7_T9_mT8_S1D_bDpT10_ENKUlT_T0_E_clISt17integral_constantIbLb1EES1R_EEDaS1M_S1N_EUlS1M_E_NS1_11comp_targetILNS1_3genE3ELNS1_11target_archE908ELNS1_3gpuE7ELNS1_3repE0EEENS1_30default_config_static_selectorELNS0_4arch9wavefront6targetE0EEEvSZ_: ; @_ZN7rocprim17ROCPRIM_400000_NS6detail17trampoline_kernelINS0_13select_configILj256ELj13ELNS0_17block_load_methodE3ELS4_3ELS4_3ELNS0_20block_scan_algorithmE0ELj4294967295EEENS1_25partition_config_selectorILNS1_17partition_subalgoE4EjNS0_10empty_typeEbEEZZNS1_14partition_implILS8_4ELb0ES6_15HIP_vector_typeIjLj2EENS0_17counting_iteratorIjlEEPS9_SG_NS0_5tupleIJPjSI_NS0_16reverse_iteratorISI_EEEEENSH_IJSG_SG_SG_EEES9_SI_JZNS1_25segmented_radix_sort_implINS0_14default_configELb1EPKlPlSQ_SR_N2at6native12_GLOBAL__N_18offset_tEEE10hipError_tPvRmT1_PNSt15iterator_traitsISZ_E10value_typeET2_T3_PNS10_IS15_E10value_typeET4_jRbjT5_S1B_jjP12ihipStream_tbEUljE_ZNSN_ISO_Lb1ESQ_SR_SQ_SR_SV_EESW_SX_SY_SZ_S13_S14_S15_S18_S19_jS1A_jS1B_S1B_jjS1D_bEUljE0_EEESW_SX_SY_S15_S19_S1B_T6_T7_T9_mT8_S1D_bDpT10_ENKUlT_T0_E_clISt17integral_constantIbLb1EES1R_EEDaS1M_S1N_EUlS1M_E_NS1_11comp_targetILNS1_3genE3ELNS1_11target_archE908ELNS1_3gpuE7ELNS1_3repE0EEENS1_30default_config_static_selectorELNS0_4arch9wavefront6targetE0EEEvSZ_
; %bb.0:
	.section	.rodata,"a",@progbits
	.p2align	6, 0x0
	.amdhsa_kernel _ZN7rocprim17ROCPRIM_400000_NS6detail17trampoline_kernelINS0_13select_configILj256ELj13ELNS0_17block_load_methodE3ELS4_3ELS4_3ELNS0_20block_scan_algorithmE0ELj4294967295EEENS1_25partition_config_selectorILNS1_17partition_subalgoE4EjNS0_10empty_typeEbEEZZNS1_14partition_implILS8_4ELb0ES6_15HIP_vector_typeIjLj2EENS0_17counting_iteratorIjlEEPS9_SG_NS0_5tupleIJPjSI_NS0_16reverse_iteratorISI_EEEEENSH_IJSG_SG_SG_EEES9_SI_JZNS1_25segmented_radix_sort_implINS0_14default_configELb1EPKlPlSQ_SR_N2at6native12_GLOBAL__N_18offset_tEEE10hipError_tPvRmT1_PNSt15iterator_traitsISZ_E10value_typeET2_T3_PNS10_IS15_E10value_typeET4_jRbjT5_S1B_jjP12ihipStream_tbEUljE_ZNSN_ISO_Lb1ESQ_SR_SQ_SR_SV_EESW_SX_SY_SZ_S13_S14_S15_S18_S19_jS1A_jS1B_S1B_jjS1D_bEUljE0_EEESW_SX_SY_S15_S19_S1B_T6_T7_T9_mT8_S1D_bDpT10_ENKUlT_T0_E_clISt17integral_constantIbLb1EES1R_EEDaS1M_S1N_EUlS1M_E_NS1_11comp_targetILNS1_3genE3ELNS1_11target_archE908ELNS1_3gpuE7ELNS1_3repE0EEENS1_30default_config_static_selectorELNS0_4arch9wavefront6targetE0EEEvSZ_
		.amdhsa_group_segment_fixed_size 0
		.amdhsa_private_segment_fixed_size 0
		.amdhsa_kernarg_size 184
		.amdhsa_user_sgpr_count 2
		.amdhsa_user_sgpr_dispatch_ptr 0
		.amdhsa_user_sgpr_queue_ptr 0
		.amdhsa_user_sgpr_kernarg_segment_ptr 1
		.amdhsa_user_sgpr_dispatch_id 0
		.amdhsa_user_sgpr_private_segment_size 0
		.amdhsa_wavefront_size32 1
		.amdhsa_uses_dynamic_stack 0
		.amdhsa_enable_private_segment 0
		.amdhsa_system_sgpr_workgroup_id_x 1
		.amdhsa_system_sgpr_workgroup_id_y 0
		.amdhsa_system_sgpr_workgroup_id_z 0
		.amdhsa_system_sgpr_workgroup_info 0
		.amdhsa_system_vgpr_workitem_id 0
		.amdhsa_next_free_vgpr 1
		.amdhsa_next_free_sgpr 1
		.amdhsa_reserve_vcc 0
		.amdhsa_float_round_mode_32 0
		.amdhsa_float_round_mode_16_64 0
		.amdhsa_float_denorm_mode_32 3
		.amdhsa_float_denorm_mode_16_64 3
		.amdhsa_fp16_overflow 0
		.amdhsa_workgroup_processor_mode 1
		.amdhsa_memory_ordered 1
		.amdhsa_forward_progress 1
		.amdhsa_inst_pref_size 0
		.amdhsa_round_robin_scheduling 0
		.amdhsa_exception_fp_ieee_invalid_op 0
		.amdhsa_exception_fp_denorm_src 0
		.amdhsa_exception_fp_ieee_div_zero 0
		.amdhsa_exception_fp_ieee_overflow 0
		.amdhsa_exception_fp_ieee_underflow 0
		.amdhsa_exception_fp_ieee_inexact 0
		.amdhsa_exception_int_div_zero 0
	.end_amdhsa_kernel
	.section	.text._ZN7rocprim17ROCPRIM_400000_NS6detail17trampoline_kernelINS0_13select_configILj256ELj13ELNS0_17block_load_methodE3ELS4_3ELS4_3ELNS0_20block_scan_algorithmE0ELj4294967295EEENS1_25partition_config_selectorILNS1_17partition_subalgoE4EjNS0_10empty_typeEbEEZZNS1_14partition_implILS8_4ELb0ES6_15HIP_vector_typeIjLj2EENS0_17counting_iteratorIjlEEPS9_SG_NS0_5tupleIJPjSI_NS0_16reverse_iteratorISI_EEEEENSH_IJSG_SG_SG_EEES9_SI_JZNS1_25segmented_radix_sort_implINS0_14default_configELb1EPKlPlSQ_SR_N2at6native12_GLOBAL__N_18offset_tEEE10hipError_tPvRmT1_PNSt15iterator_traitsISZ_E10value_typeET2_T3_PNS10_IS15_E10value_typeET4_jRbjT5_S1B_jjP12ihipStream_tbEUljE_ZNSN_ISO_Lb1ESQ_SR_SQ_SR_SV_EESW_SX_SY_SZ_S13_S14_S15_S18_S19_jS1A_jS1B_S1B_jjS1D_bEUljE0_EEESW_SX_SY_S15_S19_S1B_T6_T7_T9_mT8_S1D_bDpT10_ENKUlT_T0_E_clISt17integral_constantIbLb1EES1R_EEDaS1M_S1N_EUlS1M_E_NS1_11comp_targetILNS1_3genE3ELNS1_11target_archE908ELNS1_3gpuE7ELNS1_3repE0EEENS1_30default_config_static_selectorELNS0_4arch9wavefront6targetE0EEEvSZ_,"axG",@progbits,_ZN7rocprim17ROCPRIM_400000_NS6detail17trampoline_kernelINS0_13select_configILj256ELj13ELNS0_17block_load_methodE3ELS4_3ELS4_3ELNS0_20block_scan_algorithmE0ELj4294967295EEENS1_25partition_config_selectorILNS1_17partition_subalgoE4EjNS0_10empty_typeEbEEZZNS1_14partition_implILS8_4ELb0ES6_15HIP_vector_typeIjLj2EENS0_17counting_iteratorIjlEEPS9_SG_NS0_5tupleIJPjSI_NS0_16reverse_iteratorISI_EEEEENSH_IJSG_SG_SG_EEES9_SI_JZNS1_25segmented_radix_sort_implINS0_14default_configELb1EPKlPlSQ_SR_N2at6native12_GLOBAL__N_18offset_tEEE10hipError_tPvRmT1_PNSt15iterator_traitsISZ_E10value_typeET2_T3_PNS10_IS15_E10value_typeET4_jRbjT5_S1B_jjP12ihipStream_tbEUljE_ZNSN_ISO_Lb1ESQ_SR_SQ_SR_SV_EESW_SX_SY_SZ_S13_S14_S15_S18_S19_jS1A_jS1B_S1B_jjS1D_bEUljE0_EEESW_SX_SY_S15_S19_S1B_T6_T7_T9_mT8_S1D_bDpT10_ENKUlT_T0_E_clISt17integral_constantIbLb1EES1R_EEDaS1M_S1N_EUlS1M_E_NS1_11comp_targetILNS1_3genE3ELNS1_11target_archE908ELNS1_3gpuE7ELNS1_3repE0EEENS1_30default_config_static_selectorELNS0_4arch9wavefront6targetE0EEEvSZ_,comdat
.Lfunc_end651:
	.size	_ZN7rocprim17ROCPRIM_400000_NS6detail17trampoline_kernelINS0_13select_configILj256ELj13ELNS0_17block_load_methodE3ELS4_3ELS4_3ELNS0_20block_scan_algorithmE0ELj4294967295EEENS1_25partition_config_selectorILNS1_17partition_subalgoE4EjNS0_10empty_typeEbEEZZNS1_14partition_implILS8_4ELb0ES6_15HIP_vector_typeIjLj2EENS0_17counting_iteratorIjlEEPS9_SG_NS0_5tupleIJPjSI_NS0_16reverse_iteratorISI_EEEEENSH_IJSG_SG_SG_EEES9_SI_JZNS1_25segmented_radix_sort_implINS0_14default_configELb1EPKlPlSQ_SR_N2at6native12_GLOBAL__N_18offset_tEEE10hipError_tPvRmT1_PNSt15iterator_traitsISZ_E10value_typeET2_T3_PNS10_IS15_E10value_typeET4_jRbjT5_S1B_jjP12ihipStream_tbEUljE_ZNSN_ISO_Lb1ESQ_SR_SQ_SR_SV_EESW_SX_SY_SZ_S13_S14_S15_S18_S19_jS1A_jS1B_S1B_jjS1D_bEUljE0_EEESW_SX_SY_S15_S19_S1B_T6_T7_T9_mT8_S1D_bDpT10_ENKUlT_T0_E_clISt17integral_constantIbLb1EES1R_EEDaS1M_S1N_EUlS1M_E_NS1_11comp_targetILNS1_3genE3ELNS1_11target_archE908ELNS1_3gpuE7ELNS1_3repE0EEENS1_30default_config_static_selectorELNS0_4arch9wavefront6targetE0EEEvSZ_, .Lfunc_end651-_ZN7rocprim17ROCPRIM_400000_NS6detail17trampoline_kernelINS0_13select_configILj256ELj13ELNS0_17block_load_methodE3ELS4_3ELS4_3ELNS0_20block_scan_algorithmE0ELj4294967295EEENS1_25partition_config_selectorILNS1_17partition_subalgoE4EjNS0_10empty_typeEbEEZZNS1_14partition_implILS8_4ELb0ES6_15HIP_vector_typeIjLj2EENS0_17counting_iteratorIjlEEPS9_SG_NS0_5tupleIJPjSI_NS0_16reverse_iteratorISI_EEEEENSH_IJSG_SG_SG_EEES9_SI_JZNS1_25segmented_radix_sort_implINS0_14default_configELb1EPKlPlSQ_SR_N2at6native12_GLOBAL__N_18offset_tEEE10hipError_tPvRmT1_PNSt15iterator_traitsISZ_E10value_typeET2_T3_PNS10_IS15_E10value_typeET4_jRbjT5_S1B_jjP12ihipStream_tbEUljE_ZNSN_ISO_Lb1ESQ_SR_SQ_SR_SV_EESW_SX_SY_SZ_S13_S14_S15_S18_S19_jS1A_jS1B_S1B_jjS1D_bEUljE0_EEESW_SX_SY_S15_S19_S1B_T6_T7_T9_mT8_S1D_bDpT10_ENKUlT_T0_E_clISt17integral_constantIbLb1EES1R_EEDaS1M_S1N_EUlS1M_E_NS1_11comp_targetILNS1_3genE3ELNS1_11target_archE908ELNS1_3gpuE7ELNS1_3repE0EEENS1_30default_config_static_selectorELNS0_4arch9wavefront6targetE0EEEvSZ_
                                        ; -- End function
	.set _ZN7rocprim17ROCPRIM_400000_NS6detail17trampoline_kernelINS0_13select_configILj256ELj13ELNS0_17block_load_methodE3ELS4_3ELS4_3ELNS0_20block_scan_algorithmE0ELj4294967295EEENS1_25partition_config_selectorILNS1_17partition_subalgoE4EjNS0_10empty_typeEbEEZZNS1_14partition_implILS8_4ELb0ES6_15HIP_vector_typeIjLj2EENS0_17counting_iteratorIjlEEPS9_SG_NS0_5tupleIJPjSI_NS0_16reverse_iteratorISI_EEEEENSH_IJSG_SG_SG_EEES9_SI_JZNS1_25segmented_radix_sort_implINS0_14default_configELb1EPKlPlSQ_SR_N2at6native12_GLOBAL__N_18offset_tEEE10hipError_tPvRmT1_PNSt15iterator_traitsISZ_E10value_typeET2_T3_PNS10_IS15_E10value_typeET4_jRbjT5_S1B_jjP12ihipStream_tbEUljE_ZNSN_ISO_Lb1ESQ_SR_SQ_SR_SV_EESW_SX_SY_SZ_S13_S14_S15_S18_S19_jS1A_jS1B_S1B_jjS1D_bEUljE0_EEESW_SX_SY_S15_S19_S1B_T6_T7_T9_mT8_S1D_bDpT10_ENKUlT_T0_E_clISt17integral_constantIbLb1EES1R_EEDaS1M_S1N_EUlS1M_E_NS1_11comp_targetILNS1_3genE3ELNS1_11target_archE908ELNS1_3gpuE7ELNS1_3repE0EEENS1_30default_config_static_selectorELNS0_4arch9wavefront6targetE0EEEvSZ_.num_vgpr, 0
	.set _ZN7rocprim17ROCPRIM_400000_NS6detail17trampoline_kernelINS0_13select_configILj256ELj13ELNS0_17block_load_methodE3ELS4_3ELS4_3ELNS0_20block_scan_algorithmE0ELj4294967295EEENS1_25partition_config_selectorILNS1_17partition_subalgoE4EjNS0_10empty_typeEbEEZZNS1_14partition_implILS8_4ELb0ES6_15HIP_vector_typeIjLj2EENS0_17counting_iteratorIjlEEPS9_SG_NS0_5tupleIJPjSI_NS0_16reverse_iteratorISI_EEEEENSH_IJSG_SG_SG_EEES9_SI_JZNS1_25segmented_radix_sort_implINS0_14default_configELb1EPKlPlSQ_SR_N2at6native12_GLOBAL__N_18offset_tEEE10hipError_tPvRmT1_PNSt15iterator_traitsISZ_E10value_typeET2_T3_PNS10_IS15_E10value_typeET4_jRbjT5_S1B_jjP12ihipStream_tbEUljE_ZNSN_ISO_Lb1ESQ_SR_SQ_SR_SV_EESW_SX_SY_SZ_S13_S14_S15_S18_S19_jS1A_jS1B_S1B_jjS1D_bEUljE0_EEESW_SX_SY_S15_S19_S1B_T6_T7_T9_mT8_S1D_bDpT10_ENKUlT_T0_E_clISt17integral_constantIbLb1EES1R_EEDaS1M_S1N_EUlS1M_E_NS1_11comp_targetILNS1_3genE3ELNS1_11target_archE908ELNS1_3gpuE7ELNS1_3repE0EEENS1_30default_config_static_selectorELNS0_4arch9wavefront6targetE0EEEvSZ_.num_agpr, 0
	.set _ZN7rocprim17ROCPRIM_400000_NS6detail17trampoline_kernelINS0_13select_configILj256ELj13ELNS0_17block_load_methodE3ELS4_3ELS4_3ELNS0_20block_scan_algorithmE0ELj4294967295EEENS1_25partition_config_selectorILNS1_17partition_subalgoE4EjNS0_10empty_typeEbEEZZNS1_14partition_implILS8_4ELb0ES6_15HIP_vector_typeIjLj2EENS0_17counting_iteratorIjlEEPS9_SG_NS0_5tupleIJPjSI_NS0_16reverse_iteratorISI_EEEEENSH_IJSG_SG_SG_EEES9_SI_JZNS1_25segmented_radix_sort_implINS0_14default_configELb1EPKlPlSQ_SR_N2at6native12_GLOBAL__N_18offset_tEEE10hipError_tPvRmT1_PNSt15iterator_traitsISZ_E10value_typeET2_T3_PNS10_IS15_E10value_typeET4_jRbjT5_S1B_jjP12ihipStream_tbEUljE_ZNSN_ISO_Lb1ESQ_SR_SQ_SR_SV_EESW_SX_SY_SZ_S13_S14_S15_S18_S19_jS1A_jS1B_S1B_jjS1D_bEUljE0_EEESW_SX_SY_S15_S19_S1B_T6_T7_T9_mT8_S1D_bDpT10_ENKUlT_T0_E_clISt17integral_constantIbLb1EES1R_EEDaS1M_S1N_EUlS1M_E_NS1_11comp_targetILNS1_3genE3ELNS1_11target_archE908ELNS1_3gpuE7ELNS1_3repE0EEENS1_30default_config_static_selectorELNS0_4arch9wavefront6targetE0EEEvSZ_.numbered_sgpr, 0
	.set _ZN7rocprim17ROCPRIM_400000_NS6detail17trampoline_kernelINS0_13select_configILj256ELj13ELNS0_17block_load_methodE3ELS4_3ELS4_3ELNS0_20block_scan_algorithmE0ELj4294967295EEENS1_25partition_config_selectorILNS1_17partition_subalgoE4EjNS0_10empty_typeEbEEZZNS1_14partition_implILS8_4ELb0ES6_15HIP_vector_typeIjLj2EENS0_17counting_iteratorIjlEEPS9_SG_NS0_5tupleIJPjSI_NS0_16reverse_iteratorISI_EEEEENSH_IJSG_SG_SG_EEES9_SI_JZNS1_25segmented_radix_sort_implINS0_14default_configELb1EPKlPlSQ_SR_N2at6native12_GLOBAL__N_18offset_tEEE10hipError_tPvRmT1_PNSt15iterator_traitsISZ_E10value_typeET2_T3_PNS10_IS15_E10value_typeET4_jRbjT5_S1B_jjP12ihipStream_tbEUljE_ZNSN_ISO_Lb1ESQ_SR_SQ_SR_SV_EESW_SX_SY_SZ_S13_S14_S15_S18_S19_jS1A_jS1B_S1B_jjS1D_bEUljE0_EEESW_SX_SY_S15_S19_S1B_T6_T7_T9_mT8_S1D_bDpT10_ENKUlT_T0_E_clISt17integral_constantIbLb1EES1R_EEDaS1M_S1N_EUlS1M_E_NS1_11comp_targetILNS1_3genE3ELNS1_11target_archE908ELNS1_3gpuE7ELNS1_3repE0EEENS1_30default_config_static_selectorELNS0_4arch9wavefront6targetE0EEEvSZ_.num_named_barrier, 0
	.set _ZN7rocprim17ROCPRIM_400000_NS6detail17trampoline_kernelINS0_13select_configILj256ELj13ELNS0_17block_load_methodE3ELS4_3ELS4_3ELNS0_20block_scan_algorithmE0ELj4294967295EEENS1_25partition_config_selectorILNS1_17partition_subalgoE4EjNS0_10empty_typeEbEEZZNS1_14partition_implILS8_4ELb0ES6_15HIP_vector_typeIjLj2EENS0_17counting_iteratorIjlEEPS9_SG_NS0_5tupleIJPjSI_NS0_16reverse_iteratorISI_EEEEENSH_IJSG_SG_SG_EEES9_SI_JZNS1_25segmented_radix_sort_implINS0_14default_configELb1EPKlPlSQ_SR_N2at6native12_GLOBAL__N_18offset_tEEE10hipError_tPvRmT1_PNSt15iterator_traitsISZ_E10value_typeET2_T3_PNS10_IS15_E10value_typeET4_jRbjT5_S1B_jjP12ihipStream_tbEUljE_ZNSN_ISO_Lb1ESQ_SR_SQ_SR_SV_EESW_SX_SY_SZ_S13_S14_S15_S18_S19_jS1A_jS1B_S1B_jjS1D_bEUljE0_EEESW_SX_SY_S15_S19_S1B_T6_T7_T9_mT8_S1D_bDpT10_ENKUlT_T0_E_clISt17integral_constantIbLb1EES1R_EEDaS1M_S1N_EUlS1M_E_NS1_11comp_targetILNS1_3genE3ELNS1_11target_archE908ELNS1_3gpuE7ELNS1_3repE0EEENS1_30default_config_static_selectorELNS0_4arch9wavefront6targetE0EEEvSZ_.private_seg_size, 0
	.set _ZN7rocprim17ROCPRIM_400000_NS6detail17trampoline_kernelINS0_13select_configILj256ELj13ELNS0_17block_load_methodE3ELS4_3ELS4_3ELNS0_20block_scan_algorithmE0ELj4294967295EEENS1_25partition_config_selectorILNS1_17partition_subalgoE4EjNS0_10empty_typeEbEEZZNS1_14partition_implILS8_4ELb0ES6_15HIP_vector_typeIjLj2EENS0_17counting_iteratorIjlEEPS9_SG_NS0_5tupleIJPjSI_NS0_16reverse_iteratorISI_EEEEENSH_IJSG_SG_SG_EEES9_SI_JZNS1_25segmented_radix_sort_implINS0_14default_configELb1EPKlPlSQ_SR_N2at6native12_GLOBAL__N_18offset_tEEE10hipError_tPvRmT1_PNSt15iterator_traitsISZ_E10value_typeET2_T3_PNS10_IS15_E10value_typeET4_jRbjT5_S1B_jjP12ihipStream_tbEUljE_ZNSN_ISO_Lb1ESQ_SR_SQ_SR_SV_EESW_SX_SY_SZ_S13_S14_S15_S18_S19_jS1A_jS1B_S1B_jjS1D_bEUljE0_EEESW_SX_SY_S15_S19_S1B_T6_T7_T9_mT8_S1D_bDpT10_ENKUlT_T0_E_clISt17integral_constantIbLb1EES1R_EEDaS1M_S1N_EUlS1M_E_NS1_11comp_targetILNS1_3genE3ELNS1_11target_archE908ELNS1_3gpuE7ELNS1_3repE0EEENS1_30default_config_static_selectorELNS0_4arch9wavefront6targetE0EEEvSZ_.uses_vcc, 0
	.set _ZN7rocprim17ROCPRIM_400000_NS6detail17trampoline_kernelINS0_13select_configILj256ELj13ELNS0_17block_load_methodE3ELS4_3ELS4_3ELNS0_20block_scan_algorithmE0ELj4294967295EEENS1_25partition_config_selectorILNS1_17partition_subalgoE4EjNS0_10empty_typeEbEEZZNS1_14partition_implILS8_4ELb0ES6_15HIP_vector_typeIjLj2EENS0_17counting_iteratorIjlEEPS9_SG_NS0_5tupleIJPjSI_NS0_16reverse_iteratorISI_EEEEENSH_IJSG_SG_SG_EEES9_SI_JZNS1_25segmented_radix_sort_implINS0_14default_configELb1EPKlPlSQ_SR_N2at6native12_GLOBAL__N_18offset_tEEE10hipError_tPvRmT1_PNSt15iterator_traitsISZ_E10value_typeET2_T3_PNS10_IS15_E10value_typeET4_jRbjT5_S1B_jjP12ihipStream_tbEUljE_ZNSN_ISO_Lb1ESQ_SR_SQ_SR_SV_EESW_SX_SY_SZ_S13_S14_S15_S18_S19_jS1A_jS1B_S1B_jjS1D_bEUljE0_EEESW_SX_SY_S15_S19_S1B_T6_T7_T9_mT8_S1D_bDpT10_ENKUlT_T0_E_clISt17integral_constantIbLb1EES1R_EEDaS1M_S1N_EUlS1M_E_NS1_11comp_targetILNS1_3genE3ELNS1_11target_archE908ELNS1_3gpuE7ELNS1_3repE0EEENS1_30default_config_static_selectorELNS0_4arch9wavefront6targetE0EEEvSZ_.uses_flat_scratch, 0
	.set _ZN7rocprim17ROCPRIM_400000_NS6detail17trampoline_kernelINS0_13select_configILj256ELj13ELNS0_17block_load_methodE3ELS4_3ELS4_3ELNS0_20block_scan_algorithmE0ELj4294967295EEENS1_25partition_config_selectorILNS1_17partition_subalgoE4EjNS0_10empty_typeEbEEZZNS1_14partition_implILS8_4ELb0ES6_15HIP_vector_typeIjLj2EENS0_17counting_iteratorIjlEEPS9_SG_NS0_5tupleIJPjSI_NS0_16reverse_iteratorISI_EEEEENSH_IJSG_SG_SG_EEES9_SI_JZNS1_25segmented_radix_sort_implINS0_14default_configELb1EPKlPlSQ_SR_N2at6native12_GLOBAL__N_18offset_tEEE10hipError_tPvRmT1_PNSt15iterator_traitsISZ_E10value_typeET2_T3_PNS10_IS15_E10value_typeET4_jRbjT5_S1B_jjP12ihipStream_tbEUljE_ZNSN_ISO_Lb1ESQ_SR_SQ_SR_SV_EESW_SX_SY_SZ_S13_S14_S15_S18_S19_jS1A_jS1B_S1B_jjS1D_bEUljE0_EEESW_SX_SY_S15_S19_S1B_T6_T7_T9_mT8_S1D_bDpT10_ENKUlT_T0_E_clISt17integral_constantIbLb1EES1R_EEDaS1M_S1N_EUlS1M_E_NS1_11comp_targetILNS1_3genE3ELNS1_11target_archE908ELNS1_3gpuE7ELNS1_3repE0EEENS1_30default_config_static_selectorELNS0_4arch9wavefront6targetE0EEEvSZ_.has_dyn_sized_stack, 0
	.set _ZN7rocprim17ROCPRIM_400000_NS6detail17trampoline_kernelINS0_13select_configILj256ELj13ELNS0_17block_load_methodE3ELS4_3ELS4_3ELNS0_20block_scan_algorithmE0ELj4294967295EEENS1_25partition_config_selectorILNS1_17partition_subalgoE4EjNS0_10empty_typeEbEEZZNS1_14partition_implILS8_4ELb0ES6_15HIP_vector_typeIjLj2EENS0_17counting_iteratorIjlEEPS9_SG_NS0_5tupleIJPjSI_NS0_16reverse_iteratorISI_EEEEENSH_IJSG_SG_SG_EEES9_SI_JZNS1_25segmented_radix_sort_implINS0_14default_configELb1EPKlPlSQ_SR_N2at6native12_GLOBAL__N_18offset_tEEE10hipError_tPvRmT1_PNSt15iterator_traitsISZ_E10value_typeET2_T3_PNS10_IS15_E10value_typeET4_jRbjT5_S1B_jjP12ihipStream_tbEUljE_ZNSN_ISO_Lb1ESQ_SR_SQ_SR_SV_EESW_SX_SY_SZ_S13_S14_S15_S18_S19_jS1A_jS1B_S1B_jjS1D_bEUljE0_EEESW_SX_SY_S15_S19_S1B_T6_T7_T9_mT8_S1D_bDpT10_ENKUlT_T0_E_clISt17integral_constantIbLb1EES1R_EEDaS1M_S1N_EUlS1M_E_NS1_11comp_targetILNS1_3genE3ELNS1_11target_archE908ELNS1_3gpuE7ELNS1_3repE0EEENS1_30default_config_static_selectorELNS0_4arch9wavefront6targetE0EEEvSZ_.has_recursion, 0
	.set _ZN7rocprim17ROCPRIM_400000_NS6detail17trampoline_kernelINS0_13select_configILj256ELj13ELNS0_17block_load_methodE3ELS4_3ELS4_3ELNS0_20block_scan_algorithmE0ELj4294967295EEENS1_25partition_config_selectorILNS1_17partition_subalgoE4EjNS0_10empty_typeEbEEZZNS1_14partition_implILS8_4ELb0ES6_15HIP_vector_typeIjLj2EENS0_17counting_iteratorIjlEEPS9_SG_NS0_5tupleIJPjSI_NS0_16reverse_iteratorISI_EEEEENSH_IJSG_SG_SG_EEES9_SI_JZNS1_25segmented_radix_sort_implINS0_14default_configELb1EPKlPlSQ_SR_N2at6native12_GLOBAL__N_18offset_tEEE10hipError_tPvRmT1_PNSt15iterator_traitsISZ_E10value_typeET2_T3_PNS10_IS15_E10value_typeET4_jRbjT5_S1B_jjP12ihipStream_tbEUljE_ZNSN_ISO_Lb1ESQ_SR_SQ_SR_SV_EESW_SX_SY_SZ_S13_S14_S15_S18_S19_jS1A_jS1B_S1B_jjS1D_bEUljE0_EEESW_SX_SY_S15_S19_S1B_T6_T7_T9_mT8_S1D_bDpT10_ENKUlT_T0_E_clISt17integral_constantIbLb1EES1R_EEDaS1M_S1N_EUlS1M_E_NS1_11comp_targetILNS1_3genE3ELNS1_11target_archE908ELNS1_3gpuE7ELNS1_3repE0EEENS1_30default_config_static_selectorELNS0_4arch9wavefront6targetE0EEEvSZ_.has_indirect_call, 0
	.section	.AMDGPU.csdata,"",@progbits
; Kernel info:
; codeLenInByte = 0
; TotalNumSgprs: 0
; NumVgprs: 0
; ScratchSize: 0
; MemoryBound: 0
; FloatMode: 240
; IeeeMode: 1
; LDSByteSize: 0 bytes/workgroup (compile time only)
; SGPRBlocks: 0
; VGPRBlocks: 0
; NumSGPRsForWavesPerEU: 1
; NumVGPRsForWavesPerEU: 1
; Occupancy: 16
; WaveLimiterHint : 0
; COMPUTE_PGM_RSRC2:SCRATCH_EN: 0
; COMPUTE_PGM_RSRC2:USER_SGPR: 2
; COMPUTE_PGM_RSRC2:TRAP_HANDLER: 0
; COMPUTE_PGM_RSRC2:TGID_X_EN: 1
; COMPUTE_PGM_RSRC2:TGID_Y_EN: 0
; COMPUTE_PGM_RSRC2:TGID_Z_EN: 0
; COMPUTE_PGM_RSRC2:TIDIG_COMP_CNT: 0
	.section	.text._ZN7rocprim17ROCPRIM_400000_NS6detail17trampoline_kernelINS0_13select_configILj256ELj13ELNS0_17block_load_methodE3ELS4_3ELS4_3ELNS0_20block_scan_algorithmE0ELj4294967295EEENS1_25partition_config_selectorILNS1_17partition_subalgoE4EjNS0_10empty_typeEbEEZZNS1_14partition_implILS8_4ELb0ES6_15HIP_vector_typeIjLj2EENS0_17counting_iteratorIjlEEPS9_SG_NS0_5tupleIJPjSI_NS0_16reverse_iteratorISI_EEEEENSH_IJSG_SG_SG_EEES9_SI_JZNS1_25segmented_radix_sort_implINS0_14default_configELb1EPKlPlSQ_SR_N2at6native12_GLOBAL__N_18offset_tEEE10hipError_tPvRmT1_PNSt15iterator_traitsISZ_E10value_typeET2_T3_PNS10_IS15_E10value_typeET4_jRbjT5_S1B_jjP12ihipStream_tbEUljE_ZNSN_ISO_Lb1ESQ_SR_SQ_SR_SV_EESW_SX_SY_SZ_S13_S14_S15_S18_S19_jS1A_jS1B_S1B_jjS1D_bEUljE0_EEESW_SX_SY_S15_S19_S1B_T6_T7_T9_mT8_S1D_bDpT10_ENKUlT_T0_E_clISt17integral_constantIbLb1EES1R_EEDaS1M_S1N_EUlS1M_E_NS1_11comp_targetILNS1_3genE2ELNS1_11target_archE906ELNS1_3gpuE6ELNS1_3repE0EEENS1_30default_config_static_selectorELNS0_4arch9wavefront6targetE0EEEvSZ_,"axG",@progbits,_ZN7rocprim17ROCPRIM_400000_NS6detail17trampoline_kernelINS0_13select_configILj256ELj13ELNS0_17block_load_methodE3ELS4_3ELS4_3ELNS0_20block_scan_algorithmE0ELj4294967295EEENS1_25partition_config_selectorILNS1_17partition_subalgoE4EjNS0_10empty_typeEbEEZZNS1_14partition_implILS8_4ELb0ES6_15HIP_vector_typeIjLj2EENS0_17counting_iteratorIjlEEPS9_SG_NS0_5tupleIJPjSI_NS0_16reverse_iteratorISI_EEEEENSH_IJSG_SG_SG_EEES9_SI_JZNS1_25segmented_radix_sort_implINS0_14default_configELb1EPKlPlSQ_SR_N2at6native12_GLOBAL__N_18offset_tEEE10hipError_tPvRmT1_PNSt15iterator_traitsISZ_E10value_typeET2_T3_PNS10_IS15_E10value_typeET4_jRbjT5_S1B_jjP12ihipStream_tbEUljE_ZNSN_ISO_Lb1ESQ_SR_SQ_SR_SV_EESW_SX_SY_SZ_S13_S14_S15_S18_S19_jS1A_jS1B_S1B_jjS1D_bEUljE0_EEESW_SX_SY_S15_S19_S1B_T6_T7_T9_mT8_S1D_bDpT10_ENKUlT_T0_E_clISt17integral_constantIbLb1EES1R_EEDaS1M_S1N_EUlS1M_E_NS1_11comp_targetILNS1_3genE2ELNS1_11target_archE906ELNS1_3gpuE6ELNS1_3repE0EEENS1_30default_config_static_selectorELNS0_4arch9wavefront6targetE0EEEvSZ_,comdat
	.globl	_ZN7rocprim17ROCPRIM_400000_NS6detail17trampoline_kernelINS0_13select_configILj256ELj13ELNS0_17block_load_methodE3ELS4_3ELS4_3ELNS0_20block_scan_algorithmE0ELj4294967295EEENS1_25partition_config_selectorILNS1_17partition_subalgoE4EjNS0_10empty_typeEbEEZZNS1_14partition_implILS8_4ELb0ES6_15HIP_vector_typeIjLj2EENS0_17counting_iteratorIjlEEPS9_SG_NS0_5tupleIJPjSI_NS0_16reverse_iteratorISI_EEEEENSH_IJSG_SG_SG_EEES9_SI_JZNS1_25segmented_radix_sort_implINS0_14default_configELb1EPKlPlSQ_SR_N2at6native12_GLOBAL__N_18offset_tEEE10hipError_tPvRmT1_PNSt15iterator_traitsISZ_E10value_typeET2_T3_PNS10_IS15_E10value_typeET4_jRbjT5_S1B_jjP12ihipStream_tbEUljE_ZNSN_ISO_Lb1ESQ_SR_SQ_SR_SV_EESW_SX_SY_SZ_S13_S14_S15_S18_S19_jS1A_jS1B_S1B_jjS1D_bEUljE0_EEESW_SX_SY_S15_S19_S1B_T6_T7_T9_mT8_S1D_bDpT10_ENKUlT_T0_E_clISt17integral_constantIbLb1EES1R_EEDaS1M_S1N_EUlS1M_E_NS1_11comp_targetILNS1_3genE2ELNS1_11target_archE906ELNS1_3gpuE6ELNS1_3repE0EEENS1_30default_config_static_selectorELNS0_4arch9wavefront6targetE0EEEvSZ_ ; -- Begin function _ZN7rocprim17ROCPRIM_400000_NS6detail17trampoline_kernelINS0_13select_configILj256ELj13ELNS0_17block_load_methodE3ELS4_3ELS4_3ELNS0_20block_scan_algorithmE0ELj4294967295EEENS1_25partition_config_selectorILNS1_17partition_subalgoE4EjNS0_10empty_typeEbEEZZNS1_14partition_implILS8_4ELb0ES6_15HIP_vector_typeIjLj2EENS0_17counting_iteratorIjlEEPS9_SG_NS0_5tupleIJPjSI_NS0_16reverse_iteratorISI_EEEEENSH_IJSG_SG_SG_EEES9_SI_JZNS1_25segmented_radix_sort_implINS0_14default_configELb1EPKlPlSQ_SR_N2at6native12_GLOBAL__N_18offset_tEEE10hipError_tPvRmT1_PNSt15iterator_traitsISZ_E10value_typeET2_T3_PNS10_IS15_E10value_typeET4_jRbjT5_S1B_jjP12ihipStream_tbEUljE_ZNSN_ISO_Lb1ESQ_SR_SQ_SR_SV_EESW_SX_SY_SZ_S13_S14_S15_S18_S19_jS1A_jS1B_S1B_jjS1D_bEUljE0_EEESW_SX_SY_S15_S19_S1B_T6_T7_T9_mT8_S1D_bDpT10_ENKUlT_T0_E_clISt17integral_constantIbLb1EES1R_EEDaS1M_S1N_EUlS1M_E_NS1_11comp_targetILNS1_3genE2ELNS1_11target_archE906ELNS1_3gpuE6ELNS1_3repE0EEENS1_30default_config_static_selectorELNS0_4arch9wavefront6targetE0EEEvSZ_
	.p2align	8
	.type	_ZN7rocprim17ROCPRIM_400000_NS6detail17trampoline_kernelINS0_13select_configILj256ELj13ELNS0_17block_load_methodE3ELS4_3ELS4_3ELNS0_20block_scan_algorithmE0ELj4294967295EEENS1_25partition_config_selectorILNS1_17partition_subalgoE4EjNS0_10empty_typeEbEEZZNS1_14partition_implILS8_4ELb0ES6_15HIP_vector_typeIjLj2EENS0_17counting_iteratorIjlEEPS9_SG_NS0_5tupleIJPjSI_NS0_16reverse_iteratorISI_EEEEENSH_IJSG_SG_SG_EEES9_SI_JZNS1_25segmented_radix_sort_implINS0_14default_configELb1EPKlPlSQ_SR_N2at6native12_GLOBAL__N_18offset_tEEE10hipError_tPvRmT1_PNSt15iterator_traitsISZ_E10value_typeET2_T3_PNS10_IS15_E10value_typeET4_jRbjT5_S1B_jjP12ihipStream_tbEUljE_ZNSN_ISO_Lb1ESQ_SR_SQ_SR_SV_EESW_SX_SY_SZ_S13_S14_S15_S18_S19_jS1A_jS1B_S1B_jjS1D_bEUljE0_EEESW_SX_SY_S15_S19_S1B_T6_T7_T9_mT8_S1D_bDpT10_ENKUlT_T0_E_clISt17integral_constantIbLb1EES1R_EEDaS1M_S1N_EUlS1M_E_NS1_11comp_targetILNS1_3genE2ELNS1_11target_archE906ELNS1_3gpuE6ELNS1_3repE0EEENS1_30default_config_static_selectorELNS0_4arch9wavefront6targetE0EEEvSZ_,@function
_ZN7rocprim17ROCPRIM_400000_NS6detail17trampoline_kernelINS0_13select_configILj256ELj13ELNS0_17block_load_methodE3ELS4_3ELS4_3ELNS0_20block_scan_algorithmE0ELj4294967295EEENS1_25partition_config_selectorILNS1_17partition_subalgoE4EjNS0_10empty_typeEbEEZZNS1_14partition_implILS8_4ELb0ES6_15HIP_vector_typeIjLj2EENS0_17counting_iteratorIjlEEPS9_SG_NS0_5tupleIJPjSI_NS0_16reverse_iteratorISI_EEEEENSH_IJSG_SG_SG_EEES9_SI_JZNS1_25segmented_radix_sort_implINS0_14default_configELb1EPKlPlSQ_SR_N2at6native12_GLOBAL__N_18offset_tEEE10hipError_tPvRmT1_PNSt15iterator_traitsISZ_E10value_typeET2_T3_PNS10_IS15_E10value_typeET4_jRbjT5_S1B_jjP12ihipStream_tbEUljE_ZNSN_ISO_Lb1ESQ_SR_SQ_SR_SV_EESW_SX_SY_SZ_S13_S14_S15_S18_S19_jS1A_jS1B_S1B_jjS1D_bEUljE0_EEESW_SX_SY_S15_S19_S1B_T6_T7_T9_mT8_S1D_bDpT10_ENKUlT_T0_E_clISt17integral_constantIbLb1EES1R_EEDaS1M_S1N_EUlS1M_E_NS1_11comp_targetILNS1_3genE2ELNS1_11target_archE906ELNS1_3gpuE6ELNS1_3repE0EEENS1_30default_config_static_selectorELNS0_4arch9wavefront6targetE0EEEvSZ_: ; @_ZN7rocprim17ROCPRIM_400000_NS6detail17trampoline_kernelINS0_13select_configILj256ELj13ELNS0_17block_load_methodE3ELS4_3ELS4_3ELNS0_20block_scan_algorithmE0ELj4294967295EEENS1_25partition_config_selectorILNS1_17partition_subalgoE4EjNS0_10empty_typeEbEEZZNS1_14partition_implILS8_4ELb0ES6_15HIP_vector_typeIjLj2EENS0_17counting_iteratorIjlEEPS9_SG_NS0_5tupleIJPjSI_NS0_16reverse_iteratorISI_EEEEENSH_IJSG_SG_SG_EEES9_SI_JZNS1_25segmented_radix_sort_implINS0_14default_configELb1EPKlPlSQ_SR_N2at6native12_GLOBAL__N_18offset_tEEE10hipError_tPvRmT1_PNSt15iterator_traitsISZ_E10value_typeET2_T3_PNS10_IS15_E10value_typeET4_jRbjT5_S1B_jjP12ihipStream_tbEUljE_ZNSN_ISO_Lb1ESQ_SR_SQ_SR_SV_EESW_SX_SY_SZ_S13_S14_S15_S18_S19_jS1A_jS1B_S1B_jjS1D_bEUljE0_EEESW_SX_SY_S15_S19_S1B_T6_T7_T9_mT8_S1D_bDpT10_ENKUlT_T0_E_clISt17integral_constantIbLb1EES1R_EEDaS1M_S1N_EUlS1M_E_NS1_11comp_targetILNS1_3genE2ELNS1_11target_archE906ELNS1_3gpuE6ELNS1_3repE0EEENS1_30default_config_static_selectorELNS0_4arch9wavefront6targetE0EEEvSZ_
; %bb.0:
	.section	.rodata,"a",@progbits
	.p2align	6, 0x0
	.amdhsa_kernel _ZN7rocprim17ROCPRIM_400000_NS6detail17trampoline_kernelINS0_13select_configILj256ELj13ELNS0_17block_load_methodE3ELS4_3ELS4_3ELNS0_20block_scan_algorithmE0ELj4294967295EEENS1_25partition_config_selectorILNS1_17partition_subalgoE4EjNS0_10empty_typeEbEEZZNS1_14partition_implILS8_4ELb0ES6_15HIP_vector_typeIjLj2EENS0_17counting_iteratorIjlEEPS9_SG_NS0_5tupleIJPjSI_NS0_16reverse_iteratorISI_EEEEENSH_IJSG_SG_SG_EEES9_SI_JZNS1_25segmented_radix_sort_implINS0_14default_configELb1EPKlPlSQ_SR_N2at6native12_GLOBAL__N_18offset_tEEE10hipError_tPvRmT1_PNSt15iterator_traitsISZ_E10value_typeET2_T3_PNS10_IS15_E10value_typeET4_jRbjT5_S1B_jjP12ihipStream_tbEUljE_ZNSN_ISO_Lb1ESQ_SR_SQ_SR_SV_EESW_SX_SY_SZ_S13_S14_S15_S18_S19_jS1A_jS1B_S1B_jjS1D_bEUljE0_EEESW_SX_SY_S15_S19_S1B_T6_T7_T9_mT8_S1D_bDpT10_ENKUlT_T0_E_clISt17integral_constantIbLb1EES1R_EEDaS1M_S1N_EUlS1M_E_NS1_11comp_targetILNS1_3genE2ELNS1_11target_archE906ELNS1_3gpuE6ELNS1_3repE0EEENS1_30default_config_static_selectorELNS0_4arch9wavefront6targetE0EEEvSZ_
		.amdhsa_group_segment_fixed_size 0
		.amdhsa_private_segment_fixed_size 0
		.amdhsa_kernarg_size 184
		.amdhsa_user_sgpr_count 2
		.amdhsa_user_sgpr_dispatch_ptr 0
		.amdhsa_user_sgpr_queue_ptr 0
		.amdhsa_user_sgpr_kernarg_segment_ptr 1
		.amdhsa_user_sgpr_dispatch_id 0
		.amdhsa_user_sgpr_private_segment_size 0
		.amdhsa_wavefront_size32 1
		.amdhsa_uses_dynamic_stack 0
		.amdhsa_enable_private_segment 0
		.amdhsa_system_sgpr_workgroup_id_x 1
		.amdhsa_system_sgpr_workgroup_id_y 0
		.amdhsa_system_sgpr_workgroup_id_z 0
		.amdhsa_system_sgpr_workgroup_info 0
		.amdhsa_system_vgpr_workitem_id 0
		.amdhsa_next_free_vgpr 1
		.amdhsa_next_free_sgpr 1
		.amdhsa_reserve_vcc 0
		.amdhsa_float_round_mode_32 0
		.amdhsa_float_round_mode_16_64 0
		.amdhsa_float_denorm_mode_32 3
		.amdhsa_float_denorm_mode_16_64 3
		.amdhsa_fp16_overflow 0
		.amdhsa_workgroup_processor_mode 1
		.amdhsa_memory_ordered 1
		.amdhsa_forward_progress 1
		.amdhsa_inst_pref_size 0
		.amdhsa_round_robin_scheduling 0
		.amdhsa_exception_fp_ieee_invalid_op 0
		.amdhsa_exception_fp_denorm_src 0
		.amdhsa_exception_fp_ieee_div_zero 0
		.amdhsa_exception_fp_ieee_overflow 0
		.amdhsa_exception_fp_ieee_underflow 0
		.amdhsa_exception_fp_ieee_inexact 0
		.amdhsa_exception_int_div_zero 0
	.end_amdhsa_kernel
	.section	.text._ZN7rocprim17ROCPRIM_400000_NS6detail17trampoline_kernelINS0_13select_configILj256ELj13ELNS0_17block_load_methodE3ELS4_3ELS4_3ELNS0_20block_scan_algorithmE0ELj4294967295EEENS1_25partition_config_selectorILNS1_17partition_subalgoE4EjNS0_10empty_typeEbEEZZNS1_14partition_implILS8_4ELb0ES6_15HIP_vector_typeIjLj2EENS0_17counting_iteratorIjlEEPS9_SG_NS0_5tupleIJPjSI_NS0_16reverse_iteratorISI_EEEEENSH_IJSG_SG_SG_EEES9_SI_JZNS1_25segmented_radix_sort_implINS0_14default_configELb1EPKlPlSQ_SR_N2at6native12_GLOBAL__N_18offset_tEEE10hipError_tPvRmT1_PNSt15iterator_traitsISZ_E10value_typeET2_T3_PNS10_IS15_E10value_typeET4_jRbjT5_S1B_jjP12ihipStream_tbEUljE_ZNSN_ISO_Lb1ESQ_SR_SQ_SR_SV_EESW_SX_SY_SZ_S13_S14_S15_S18_S19_jS1A_jS1B_S1B_jjS1D_bEUljE0_EEESW_SX_SY_S15_S19_S1B_T6_T7_T9_mT8_S1D_bDpT10_ENKUlT_T0_E_clISt17integral_constantIbLb1EES1R_EEDaS1M_S1N_EUlS1M_E_NS1_11comp_targetILNS1_3genE2ELNS1_11target_archE906ELNS1_3gpuE6ELNS1_3repE0EEENS1_30default_config_static_selectorELNS0_4arch9wavefront6targetE0EEEvSZ_,"axG",@progbits,_ZN7rocprim17ROCPRIM_400000_NS6detail17trampoline_kernelINS0_13select_configILj256ELj13ELNS0_17block_load_methodE3ELS4_3ELS4_3ELNS0_20block_scan_algorithmE0ELj4294967295EEENS1_25partition_config_selectorILNS1_17partition_subalgoE4EjNS0_10empty_typeEbEEZZNS1_14partition_implILS8_4ELb0ES6_15HIP_vector_typeIjLj2EENS0_17counting_iteratorIjlEEPS9_SG_NS0_5tupleIJPjSI_NS0_16reverse_iteratorISI_EEEEENSH_IJSG_SG_SG_EEES9_SI_JZNS1_25segmented_radix_sort_implINS0_14default_configELb1EPKlPlSQ_SR_N2at6native12_GLOBAL__N_18offset_tEEE10hipError_tPvRmT1_PNSt15iterator_traitsISZ_E10value_typeET2_T3_PNS10_IS15_E10value_typeET4_jRbjT5_S1B_jjP12ihipStream_tbEUljE_ZNSN_ISO_Lb1ESQ_SR_SQ_SR_SV_EESW_SX_SY_SZ_S13_S14_S15_S18_S19_jS1A_jS1B_S1B_jjS1D_bEUljE0_EEESW_SX_SY_S15_S19_S1B_T6_T7_T9_mT8_S1D_bDpT10_ENKUlT_T0_E_clISt17integral_constantIbLb1EES1R_EEDaS1M_S1N_EUlS1M_E_NS1_11comp_targetILNS1_3genE2ELNS1_11target_archE906ELNS1_3gpuE6ELNS1_3repE0EEENS1_30default_config_static_selectorELNS0_4arch9wavefront6targetE0EEEvSZ_,comdat
.Lfunc_end652:
	.size	_ZN7rocprim17ROCPRIM_400000_NS6detail17trampoline_kernelINS0_13select_configILj256ELj13ELNS0_17block_load_methodE3ELS4_3ELS4_3ELNS0_20block_scan_algorithmE0ELj4294967295EEENS1_25partition_config_selectorILNS1_17partition_subalgoE4EjNS0_10empty_typeEbEEZZNS1_14partition_implILS8_4ELb0ES6_15HIP_vector_typeIjLj2EENS0_17counting_iteratorIjlEEPS9_SG_NS0_5tupleIJPjSI_NS0_16reverse_iteratorISI_EEEEENSH_IJSG_SG_SG_EEES9_SI_JZNS1_25segmented_radix_sort_implINS0_14default_configELb1EPKlPlSQ_SR_N2at6native12_GLOBAL__N_18offset_tEEE10hipError_tPvRmT1_PNSt15iterator_traitsISZ_E10value_typeET2_T3_PNS10_IS15_E10value_typeET4_jRbjT5_S1B_jjP12ihipStream_tbEUljE_ZNSN_ISO_Lb1ESQ_SR_SQ_SR_SV_EESW_SX_SY_SZ_S13_S14_S15_S18_S19_jS1A_jS1B_S1B_jjS1D_bEUljE0_EEESW_SX_SY_S15_S19_S1B_T6_T7_T9_mT8_S1D_bDpT10_ENKUlT_T0_E_clISt17integral_constantIbLb1EES1R_EEDaS1M_S1N_EUlS1M_E_NS1_11comp_targetILNS1_3genE2ELNS1_11target_archE906ELNS1_3gpuE6ELNS1_3repE0EEENS1_30default_config_static_selectorELNS0_4arch9wavefront6targetE0EEEvSZ_, .Lfunc_end652-_ZN7rocprim17ROCPRIM_400000_NS6detail17trampoline_kernelINS0_13select_configILj256ELj13ELNS0_17block_load_methodE3ELS4_3ELS4_3ELNS0_20block_scan_algorithmE0ELj4294967295EEENS1_25partition_config_selectorILNS1_17partition_subalgoE4EjNS0_10empty_typeEbEEZZNS1_14partition_implILS8_4ELb0ES6_15HIP_vector_typeIjLj2EENS0_17counting_iteratorIjlEEPS9_SG_NS0_5tupleIJPjSI_NS0_16reverse_iteratorISI_EEEEENSH_IJSG_SG_SG_EEES9_SI_JZNS1_25segmented_radix_sort_implINS0_14default_configELb1EPKlPlSQ_SR_N2at6native12_GLOBAL__N_18offset_tEEE10hipError_tPvRmT1_PNSt15iterator_traitsISZ_E10value_typeET2_T3_PNS10_IS15_E10value_typeET4_jRbjT5_S1B_jjP12ihipStream_tbEUljE_ZNSN_ISO_Lb1ESQ_SR_SQ_SR_SV_EESW_SX_SY_SZ_S13_S14_S15_S18_S19_jS1A_jS1B_S1B_jjS1D_bEUljE0_EEESW_SX_SY_S15_S19_S1B_T6_T7_T9_mT8_S1D_bDpT10_ENKUlT_T0_E_clISt17integral_constantIbLb1EES1R_EEDaS1M_S1N_EUlS1M_E_NS1_11comp_targetILNS1_3genE2ELNS1_11target_archE906ELNS1_3gpuE6ELNS1_3repE0EEENS1_30default_config_static_selectorELNS0_4arch9wavefront6targetE0EEEvSZ_
                                        ; -- End function
	.set _ZN7rocprim17ROCPRIM_400000_NS6detail17trampoline_kernelINS0_13select_configILj256ELj13ELNS0_17block_load_methodE3ELS4_3ELS4_3ELNS0_20block_scan_algorithmE0ELj4294967295EEENS1_25partition_config_selectorILNS1_17partition_subalgoE4EjNS0_10empty_typeEbEEZZNS1_14partition_implILS8_4ELb0ES6_15HIP_vector_typeIjLj2EENS0_17counting_iteratorIjlEEPS9_SG_NS0_5tupleIJPjSI_NS0_16reverse_iteratorISI_EEEEENSH_IJSG_SG_SG_EEES9_SI_JZNS1_25segmented_radix_sort_implINS0_14default_configELb1EPKlPlSQ_SR_N2at6native12_GLOBAL__N_18offset_tEEE10hipError_tPvRmT1_PNSt15iterator_traitsISZ_E10value_typeET2_T3_PNS10_IS15_E10value_typeET4_jRbjT5_S1B_jjP12ihipStream_tbEUljE_ZNSN_ISO_Lb1ESQ_SR_SQ_SR_SV_EESW_SX_SY_SZ_S13_S14_S15_S18_S19_jS1A_jS1B_S1B_jjS1D_bEUljE0_EEESW_SX_SY_S15_S19_S1B_T6_T7_T9_mT8_S1D_bDpT10_ENKUlT_T0_E_clISt17integral_constantIbLb1EES1R_EEDaS1M_S1N_EUlS1M_E_NS1_11comp_targetILNS1_3genE2ELNS1_11target_archE906ELNS1_3gpuE6ELNS1_3repE0EEENS1_30default_config_static_selectorELNS0_4arch9wavefront6targetE0EEEvSZ_.num_vgpr, 0
	.set _ZN7rocprim17ROCPRIM_400000_NS6detail17trampoline_kernelINS0_13select_configILj256ELj13ELNS0_17block_load_methodE3ELS4_3ELS4_3ELNS0_20block_scan_algorithmE0ELj4294967295EEENS1_25partition_config_selectorILNS1_17partition_subalgoE4EjNS0_10empty_typeEbEEZZNS1_14partition_implILS8_4ELb0ES6_15HIP_vector_typeIjLj2EENS0_17counting_iteratorIjlEEPS9_SG_NS0_5tupleIJPjSI_NS0_16reverse_iteratorISI_EEEEENSH_IJSG_SG_SG_EEES9_SI_JZNS1_25segmented_radix_sort_implINS0_14default_configELb1EPKlPlSQ_SR_N2at6native12_GLOBAL__N_18offset_tEEE10hipError_tPvRmT1_PNSt15iterator_traitsISZ_E10value_typeET2_T3_PNS10_IS15_E10value_typeET4_jRbjT5_S1B_jjP12ihipStream_tbEUljE_ZNSN_ISO_Lb1ESQ_SR_SQ_SR_SV_EESW_SX_SY_SZ_S13_S14_S15_S18_S19_jS1A_jS1B_S1B_jjS1D_bEUljE0_EEESW_SX_SY_S15_S19_S1B_T6_T7_T9_mT8_S1D_bDpT10_ENKUlT_T0_E_clISt17integral_constantIbLb1EES1R_EEDaS1M_S1N_EUlS1M_E_NS1_11comp_targetILNS1_3genE2ELNS1_11target_archE906ELNS1_3gpuE6ELNS1_3repE0EEENS1_30default_config_static_selectorELNS0_4arch9wavefront6targetE0EEEvSZ_.num_agpr, 0
	.set _ZN7rocprim17ROCPRIM_400000_NS6detail17trampoline_kernelINS0_13select_configILj256ELj13ELNS0_17block_load_methodE3ELS4_3ELS4_3ELNS0_20block_scan_algorithmE0ELj4294967295EEENS1_25partition_config_selectorILNS1_17partition_subalgoE4EjNS0_10empty_typeEbEEZZNS1_14partition_implILS8_4ELb0ES6_15HIP_vector_typeIjLj2EENS0_17counting_iteratorIjlEEPS9_SG_NS0_5tupleIJPjSI_NS0_16reverse_iteratorISI_EEEEENSH_IJSG_SG_SG_EEES9_SI_JZNS1_25segmented_radix_sort_implINS0_14default_configELb1EPKlPlSQ_SR_N2at6native12_GLOBAL__N_18offset_tEEE10hipError_tPvRmT1_PNSt15iterator_traitsISZ_E10value_typeET2_T3_PNS10_IS15_E10value_typeET4_jRbjT5_S1B_jjP12ihipStream_tbEUljE_ZNSN_ISO_Lb1ESQ_SR_SQ_SR_SV_EESW_SX_SY_SZ_S13_S14_S15_S18_S19_jS1A_jS1B_S1B_jjS1D_bEUljE0_EEESW_SX_SY_S15_S19_S1B_T6_T7_T9_mT8_S1D_bDpT10_ENKUlT_T0_E_clISt17integral_constantIbLb1EES1R_EEDaS1M_S1N_EUlS1M_E_NS1_11comp_targetILNS1_3genE2ELNS1_11target_archE906ELNS1_3gpuE6ELNS1_3repE0EEENS1_30default_config_static_selectorELNS0_4arch9wavefront6targetE0EEEvSZ_.numbered_sgpr, 0
	.set _ZN7rocprim17ROCPRIM_400000_NS6detail17trampoline_kernelINS0_13select_configILj256ELj13ELNS0_17block_load_methodE3ELS4_3ELS4_3ELNS0_20block_scan_algorithmE0ELj4294967295EEENS1_25partition_config_selectorILNS1_17partition_subalgoE4EjNS0_10empty_typeEbEEZZNS1_14partition_implILS8_4ELb0ES6_15HIP_vector_typeIjLj2EENS0_17counting_iteratorIjlEEPS9_SG_NS0_5tupleIJPjSI_NS0_16reverse_iteratorISI_EEEEENSH_IJSG_SG_SG_EEES9_SI_JZNS1_25segmented_radix_sort_implINS0_14default_configELb1EPKlPlSQ_SR_N2at6native12_GLOBAL__N_18offset_tEEE10hipError_tPvRmT1_PNSt15iterator_traitsISZ_E10value_typeET2_T3_PNS10_IS15_E10value_typeET4_jRbjT5_S1B_jjP12ihipStream_tbEUljE_ZNSN_ISO_Lb1ESQ_SR_SQ_SR_SV_EESW_SX_SY_SZ_S13_S14_S15_S18_S19_jS1A_jS1B_S1B_jjS1D_bEUljE0_EEESW_SX_SY_S15_S19_S1B_T6_T7_T9_mT8_S1D_bDpT10_ENKUlT_T0_E_clISt17integral_constantIbLb1EES1R_EEDaS1M_S1N_EUlS1M_E_NS1_11comp_targetILNS1_3genE2ELNS1_11target_archE906ELNS1_3gpuE6ELNS1_3repE0EEENS1_30default_config_static_selectorELNS0_4arch9wavefront6targetE0EEEvSZ_.num_named_barrier, 0
	.set _ZN7rocprim17ROCPRIM_400000_NS6detail17trampoline_kernelINS0_13select_configILj256ELj13ELNS0_17block_load_methodE3ELS4_3ELS4_3ELNS0_20block_scan_algorithmE0ELj4294967295EEENS1_25partition_config_selectorILNS1_17partition_subalgoE4EjNS0_10empty_typeEbEEZZNS1_14partition_implILS8_4ELb0ES6_15HIP_vector_typeIjLj2EENS0_17counting_iteratorIjlEEPS9_SG_NS0_5tupleIJPjSI_NS0_16reverse_iteratorISI_EEEEENSH_IJSG_SG_SG_EEES9_SI_JZNS1_25segmented_radix_sort_implINS0_14default_configELb1EPKlPlSQ_SR_N2at6native12_GLOBAL__N_18offset_tEEE10hipError_tPvRmT1_PNSt15iterator_traitsISZ_E10value_typeET2_T3_PNS10_IS15_E10value_typeET4_jRbjT5_S1B_jjP12ihipStream_tbEUljE_ZNSN_ISO_Lb1ESQ_SR_SQ_SR_SV_EESW_SX_SY_SZ_S13_S14_S15_S18_S19_jS1A_jS1B_S1B_jjS1D_bEUljE0_EEESW_SX_SY_S15_S19_S1B_T6_T7_T9_mT8_S1D_bDpT10_ENKUlT_T0_E_clISt17integral_constantIbLb1EES1R_EEDaS1M_S1N_EUlS1M_E_NS1_11comp_targetILNS1_3genE2ELNS1_11target_archE906ELNS1_3gpuE6ELNS1_3repE0EEENS1_30default_config_static_selectorELNS0_4arch9wavefront6targetE0EEEvSZ_.private_seg_size, 0
	.set _ZN7rocprim17ROCPRIM_400000_NS6detail17trampoline_kernelINS0_13select_configILj256ELj13ELNS0_17block_load_methodE3ELS4_3ELS4_3ELNS0_20block_scan_algorithmE0ELj4294967295EEENS1_25partition_config_selectorILNS1_17partition_subalgoE4EjNS0_10empty_typeEbEEZZNS1_14partition_implILS8_4ELb0ES6_15HIP_vector_typeIjLj2EENS0_17counting_iteratorIjlEEPS9_SG_NS0_5tupleIJPjSI_NS0_16reverse_iteratorISI_EEEEENSH_IJSG_SG_SG_EEES9_SI_JZNS1_25segmented_radix_sort_implINS0_14default_configELb1EPKlPlSQ_SR_N2at6native12_GLOBAL__N_18offset_tEEE10hipError_tPvRmT1_PNSt15iterator_traitsISZ_E10value_typeET2_T3_PNS10_IS15_E10value_typeET4_jRbjT5_S1B_jjP12ihipStream_tbEUljE_ZNSN_ISO_Lb1ESQ_SR_SQ_SR_SV_EESW_SX_SY_SZ_S13_S14_S15_S18_S19_jS1A_jS1B_S1B_jjS1D_bEUljE0_EEESW_SX_SY_S15_S19_S1B_T6_T7_T9_mT8_S1D_bDpT10_ENKUlT_T0_E_clISt17integral_constantIbLb1EES1R_EEDaS1M_S1N_EUlS1M_E_NS1_11comp_targetILNS1_3genE2ELNS1_11target_archE906ELNS1_3gpuE6ELNS1_3repE0EEENS1_30default_config_static_selectorELNS0_4arch9wavefront6targetE0EEEvSZ_.uses_vcc, 0
	.set _ZN7rocprim17ROCPRIM_400000_NS6detail17trampoline_kernelINS0_13select_configILj256ELj13ELNS0_17block_load_methodE3ELS4_3ELS4_3ELNS0_20block_scan_algorithmE0ELj4294967295EEENS1_25partition_config_selectorILNS1_17partition_subalgoE4EjNS0_10empty_typeEbEEZZNS1_14partition_implILS8_4ELb0ES6_15HIP_vector_typeIjLj2EENS0_17counting_iteratorIjlEEPS9_SG_NS0_5tupleIJPjSI_NS0_16reverse_iteratorISI_EEEEENSH_IJSG_SG_SG_EEES9_SI_JZNS1_25segmented_radix_sort_implINS0_14default_configELb1EPKlPlSQ_SR_N2at6native12_GLOBAL__N_18offset_tEEE10hipError_tPvRmT1_PNSt15iterator_traitsISZ_E10value_typeET2_T3_PNS10_IS15_E10value_typeET4_jRbjT5_S1B_jjP12ihipStream_tbEUljE_ZNSN_ISO_Lb1ESQ_SR_SQ_SR_SV_EESW_SX_SY_SZ_S13_S14_S15_S18_S19_jS1A_jS1B_S1B_jjS1D_bEUljE0_EEESW_SX_SY_S15_S19_S1B_T6_T7_T9_mT8_S1D_bDpT10_ENKUlT_T0_E_clISt17integral_constantIbLb1EES1R_EEDaS1M_S1N_EUlS1M_E_NS1_11comp_targetILNS1_3genE2ELNS1_11target_archE906ELNS1_3gpuE6ELNS1_3repE0EEENS1_30default_config_static_selectorELNS0_4arch9wavefront6targetE0EEEvSZ_.uses_flat_scratch, 0
	.set _ZN7rocprim17ROCPRIM_400000_NS6detail17trampoline_kernelINS0_13select_configILj256ELj13ELNS0_17block_load_methodE3ELS4_3ELS4_3ELNS0_20block_scan_algorithmE0ELj4294967295EEENS1_25partition_config_selectorILNS1_17partition_subalgoE4EjNS0_10empty_typeEbEEZZNS1_14partition_implILS8_4ELb0ES6_15HIP_vector_typeIjLj2EENS0_17counting_iteratorIjlEEPS9_SG_NS0_5tupleIJPjSI_NS0_16reverse_iteratorISI_EEEEENSH_IJSG_SG_SG_EEES9_SI_JZNS1_25segmented_radix_sort_implINS0_14default_configELb1EPKlPlSQ_SR_N2at6native12_GLOBAL__N_18offset_tEEE10hipError_tPvRmT1_PNSt15iterator_traitsISZ_E10value_typeET2_T3_PNS10_IS15_E10value_typeET4_jRbjT5_S1B_jjP12ihipStream_tbEUljE_ZNSN_ISO_Lb1ESQ_SR_SQ_SR_SV_EESW_SX_SY_SZ_S13_S14_S15_S18_S19_jS1A_jS1B_S1B_jjS1D_bEUljE0_EEESW_SX_SY_S15_S19_S1B_T6_T7_T9_mT8_S1D_bDpT10_ENKUlT_T0_E_clISt17integral_constantIbLb1EES1R_EEDaS1M_S1N_EUlS1M_E_NS1_11comp_targetILNS1_3genE2ELNS1_11target_archE906ELNS1_3gpuE6ELNS1_3repE0EEENS1_30default_config_static_selectorELNS0_4arch9wavefront6targetE0EEEvSZ_.has_dyn_sized_stack, 0
	.set _ZN7rocprim17ROCPRIM_400000_NS6detail17trampoline_kernelINS0_13select_configILj256ELj13ELNS0_17block_load_methodE3ELS4_3ELS4_3ELNS0_20block_scan_algorithmE0ELj4294967295EEENS1_25partition_config_selectorILNS1_17partition_subalgoE4EjNS0_10empty_typeEbEEZZNS1_14partition_implILS8_4ELb0ES6_15HIP_vector_typeIjLj2EENS0_17counting_iteratorIjlEEPS9_SG_NS0_5tupleIJPjSI_NS0_16reverse_iteratorISI_EEEEENSH_IJSG_SG_SG_EEES9_SI_JZNS1_25segmented_radix_sort_implINS0_14default_configELb1EPKlPlSQ_SR_N2at6native12_GLOBAL__N_18offset_tEEE10hipError_tPvRmT1_PNSt15iterator_traitsISZ_E10value_typeET2_T3_PNS10_IS15_E10value_typeET4_jRbjT5_S1B_jjP12ihipStream_tbEUljE_ZNSN_ISO_Lb1ESQ_SR_SQ_SR_SV_EESW_SX_SY_SZ_S13_S14_S15_S18_S19_jS1A_jS1B_S1B_jjS1D_bEUljE0_EEESW_SX_SY_S15_S19_S1B_T6_T7_T9_mT8_S1D_bDpT10_ENKUlT_T0_E_clISt17integral_constantIbLb1EES1R_EEDaS1M_S1N_EUlS1M_E_NS1_11comp_targetILNS1_3genE2ELNS1_11target_archE906ELNS1_3gpuE6ELNS1_3repE0EEENS1_30default_config_static_selectorELNS0_4arch9wavefront6targetE0EEEvSZ_.has_recursion, 0
	.set _ZN7rocprim17ROCPRIM_400000_NS6detail17trampoline_kernelINS0_13select_configILj256ELj13ELNS0_17block_load_methodE3ELS4_3ELS4_3ELNS0_20block_scan_algorithmE0ELj4294967295EEENS1_25partition_config_selectorILNS1_17partition_subalgoE4EjNS0_10empty_typeEbEEZZNS1_14partition_implILS8_4ELb0ES6_15HIP_vector_typeIjLj2EENS0_17counting_iteratorIjlEEPS9_SG_NS0_5tupleIJPjSI_NS0_16reverse_iteratorISI_EEEEENSH_IJSG_SG_SG_EEES9_SI_JZNS1_25segmented_radix_sort_implINS0_14default_configELb1EPKlPlSQ_SR_N2at6native12_GLOBAL__N_18offset_tEEE10hipError_tPvRmT1_PNSt15iterator_traitsISZ_E10value_typeET2_T3_PNS10_IS15_E10value_typeET4_jRbjT5_S1B_jjP12ihipStream_tbEUljE_ZNSN_ISO_Lb1ESQ_SR_SQ_SR_SV_EESW_SX_SY_SZ_S13_S14_S15_S18_S19_jS1A_jS1B_S1B_jjS1D_bEUljE0_EEESW_SX_SY_S15_S19_S1B_T6_T7_T9_mT8_S1D_bDpT10_ENKUlT_T0_E_clISt17integral_constantIbLb1EES1R_EEDaS1M_S1N_EUlS1M_E_NS1_11comp_targetILNS1_3genE2ELNS1_11target_archE906ELNS1_3gpuE6ELNS1_3repE0EEENS1_30default_config_static_selectorELNS0_4arch9wavefront6targetE0EEEvSZ_.has_indirect_call, 0
	.section	.AMDGPU.csdata,"",@progbits
; Kernel info:
; codeLenInByte = 0
; TotalNumSgprs: 0
; NumVgprs: 0
; ScratchSize: 0
; MemoryBound: 0
; FloatMode: 240
; IeeeMode: 1
; LDSByteSize: 0 bytes/workgroup (compile time only)
; SGPRBlocks: 0
; VGPRBlocks: 0
; NumSGPRsForWavesPerEU: 1
; NumVGPRsForWavesPerEU: 1
; Occupancy: 16
; WaveLimiterHint : 0
; COMPUTE_PGM_RSRC2:SCRATCH_EN: 0
; COMPUTE_PGM_RSRC2:USER_SGPR: 2
; COMPUTE_PGM_RSRC2:TRAP_HANDLER: 0
; COMPUTE_PGM_RSRC2:TGID_X_EN: 1
; COMPUTE_PGM_RSRC2:TGID_Y_EN: 0
; COMPUTE_PGM_RSRC2:TGID_Z_EN: 0
; COMPUTE_PGM_RSRC2:TIDIG_COMP_CNT: 0
	.section	.text._ZN7rocprim17ROCPRIM_400000_NS6detail17trampoline_kernelINS0_13select_configILj256ELj13ELNS0_17block_load_methodE3ELS4_3ELS4_3ELNS0_20block_scan_algorithmE0ELj4294967295EEENS1_25partition_config_selectorILNS1_17partition_subalgoE4EjNS0_10empty_typeEbEEZZNS1_14partition_implILS8_4ELb0ES6_15HIP_vector_typeIjLj2EENS0_17counting_iteratorIjlEEPS9_SG_NS0_5tupleIJPjSI_NS0_16reverse_iteratorISI_EEEEENSH_IJSG_SG_SG_EEES9_SI_JZNS1_25segmented_radix_sort_implINS0_14default_configELb1EPKlPlSQ_SR_N2at6native12_GLOBAL__N_18offset_tEEE10hipError_tPvRmT1_PNSt15iterator_traitsISZ_E10value_typeET2_T3_PNS10_IS15_E10value_typeET4_jRbjT5_S1B_jjP12ihipStream_tbEUljE_ZNSN_ISO_Lb1ESQ_SR_SQ_SR_SV_EESW_SX_SY_SZ_S13_S14_S15_S18_S19_jS1A_jS1B_S1B_jjS1D_bEUljE0_EEESW_SX_SY_S15_S19_S1B_T6_T7_T9_mT8_S1D_bDpT10_ENKUlT_T0_E_clISt17integral_constantIbLb1EES1R_EEDaS1M_S1N_EUlS1M_E_NS1_11comp_targetILNS1_3genE10ELNS1_11target_archE1200ELNS1_3gpuE4ELNS1_3repE0EEENS1_30default_config_static_selectorELNS0_4arch9wavefront6targetE0EEEvSZ_,"axG",@progbits,_ZN7rocprim17ROCPRIM_400000_NS6detail17trampoline_kernelINS0_13select_configILj256ELj13ELNS0_17block_load_methodE3ELS4_3ELS4_3ELNS0_20block_scan_algorithmE0ELj4294967295EEENS1_25partition_config_selectorILNS1_17partition_subalgoE4EjNS0_10empty_typeEbEEZZNS1_14partition_implILS8_4ELb0ES6_15HIP_vector_typeIjLj2EENS0_17counting_iteratorIjlEEPS9_SG_NS0_5tupleIJPjSI_NS0_16reverse_iteratorISI_EEEEENSH_IJSG_SG_SG_EEES9_SI_JZNS1_25segmented_radix_sort_implINS0_14default_configELb1EPKlPlSQ_SR_N2at6native12_GLOBAL__N_18offset_tEEE10hipError_tPvRmT1_PNSt15iterator_traitsISZ_E10value_typeET2_T3_PNS10_IS15_E10value_typeET4_jRbjT5_S1B_jjP12ihipStream_tbEUljE_ZNSN_ISO_Lb1ESQ_SR_SQ_SR_SV_EESW_SX_SY_SZ_S13_S14_S15_S18_S19_jS1A_jS1B_S1B_jjS1D_bEUljE0_EEESW_SX_SY_S15_S19_S1B_T6_T7_T9_mT8_S1D_bDpT10_ENKUlT_T0_E_clISt17integral_constantIbLb1EES1R_EEDaS1M_S1N_EUlS1M_E_NS1_11comp_targetILNS1_3genE10ELNS1_11target_archE1200ELNS1_3gpuE4ELNS1_3repE0EEENS1_30default_config_static_selectorELNS0_4arch9wavefront6targetE0EEEvSZ_,comdat
	.globl	_ZN7rocprim17ROCPRIM_400000_NS6detail17trampoline_kernelINS0_13select_configILj256ELj13ELNS0_17block_load_methodE3ELS4_3ELS4_3ELNS0_20block_scan_algorithmE0ELj4294967295EEENS1_25partition_config_selectorILNS1_17partition_subalgoE4EjNS0_10empty_typeEbEEZZNS1_14partition_implILS8_4ELb0ES6_15HIP_vector_typeIjLj2EENS0_17counting_iteratorIjlEEPS9_SG_NS0_5tupleIJPjSI_NS0_16reverse_iteratorISI_EEEEENSH_IJSG_SG_SG_EEES9_SI_JZNS1_25segmented_radix_sort_implINS0_14default_configELb1EPKlPlSQ_SR_N2at6native12_GLOBAL__N_18offset_tEEE10hipError_tPvRmT1_PNSt15iterator_traitsISZ_E10value_typeET2_T3_PNS10_IS15_E10value_typeET4_jRbjT5_S1B_jjP12ihipStream_tbEUljE_ZNSN_ISO_Lb1ESQ_SR_SQ_SR_SV_EESW_SX_SY_SZ_S13_S14_S15_S18_S19_jS1A_jS1B_S1B_jjS1D_bEUljE0_EEESW_SX_SY_S15_S19_S1B_T6_T7_T9_mT8_S1D_bDpT10_ENKUlT_T0_E_clISt17integral_constantIbLb1EES1R_EEDaS1M_S1N_EUlS1M_E_NS1_11comp_targetILNS1_3genE10ELNS1_11target_archE1200ELNS1_3gpuE4ELNS1_3repE0EEENS1_30default_config_static_selectorELNS0_4arch9wavefront6targetE0EEEvSZ_ ; -- Begin function _ZN7rocprim17ROCPRIM_400000_NS6detail17trampoline_kernelINS0_13select_configILj256ELj13ELNS0_17block_load_methodE3ELS4_3ELS4_3ELNS0_20block_scan_algorithmE0ELj4294967295EEENS1_25partition_config_selectorILNS1_17partition_subalgoE4EjNS0_10empty_typeEbEEZZNS1_14partition_implILS8_4ELb0ES6_15HIP_vector_typeIjLj2EENS0_17counting_iteratorIjlEEPS9_SG_NS0_5tupleIJPjSI_NS0_16reverse_iteratorISI_EEEEENSH_IJSG_SG_SG_EEES9_SI_JZNS1_25segmented_radix_sort_implINS0_14default_configELb1EPKlPlSQ_SR_N2at6native12_GLOBAL__N_18offset_tEEE10hipError_tPvRmT1_PNSt15iterator_traitsISZ_E10value_typeET2_T3_PNS10_IS15_E10value_typeET4_jRbjT5_S1B_jjP12ihipStream_tbEUljE_ZNSN_ISO_Lb1ESQ_SR_SQ_SR_SV_EESW_SX_SY_SZ_S13_S14_S15_S18_S19_jS1A_jS1B_S1B_jjS1D_bEUljE0_EEESW_SX_SY_S15_S19_S1B_T6_T7_T9_mT8_S1D_bDpT10_ENKUlT_T0_E_clISt17integral_constantIbLb1EES1R_EEDaS1M_S1N_EUlS1M_E_NS1_11comp_targetILNS1_3genE10ELNS1_11target_archE1200ELNS1_3gpuE4ELNS1_3repE0EEENS1_30default_config_static_selectorELNS0_4arch9wavefront6targetE0EEEvSZ_
	.p2align	8
	.type	_ZN7rocprim17ROCPRIM_400000_NS6detail17trampoline_kernelINS0_13select_configILj256ELj13ELNS0_17block_load_methodE3ELS4_3ELS4_3ELNS0_20block_scan_algorithmE0ELj4294967295EEENS1_25partition_config_selectorILNS1_17partition_subalgoE4EjNS0_10empty_typeEbEEZZNS1_14partition_implILS8_4ELb0ES6_15HIP_vector_typeIjLj2EENS0_17counting_iteratorIjlEEPS9_SG_NS0_5tupleIJPjSI_NS0_16reverse_iteratorISI_EEEEENSH_IJSG_SG_SG_EEES9_SI_JZNS1_25segmented_radix_sort_implINS0_14default_configELb1EPKlPlSQ_SR_N2at6native12_GLOBAL__N_18offset_tEEE10hipError_tPvRmT1_PNSt15iterator_traitsISZ_E10value_typeET2_T3_PNS10_IS15_E10value_typeET4_jRbjT5_S1B_jjP12ihipStream_tbEUljE_ZNSN_ISO_Lb1ESQ_SR_SQ_SR_SV_EESW_SX_SY_SZ_S13_S14_S15_S18_S19_jS1A_jS1B_S1B_jjS1D_bEUljE0_EEESW_SX_SY_S15_S19_S1B_T6_T7_T9_mT8_S1D_bDpT10_ENKUlT_T0_E_clISt17integral_constantIbLb1EES1R_EEDaS1M_S1N_EUlS1M_E_NS1_11comp_targetILNS1_3genE10ELNS1_11target_archE1200ELNS1_3gpuE4ELNS1_3repE0EEENS1_30default_config_static_selectorELNS0_4arch9wavefront6targetE0EEEvSZ_,@function
_ZN7rocprim17ROCPRIM_400000_NS6detail17trampoline_kernelINS0_13select_configILj256ELj13ELNS0_17block_load_methodE3ELS4_3ELS4_3ELNS0_20block_scan_algorithmE0ELj4294967295EEENS1_25partition_config_selectorILNS1_17partition_subalgoE4EjNS0_10empty_typeEbEEZZNS1_14partition_implILS8_4ELb0ES6_15HIP_vector_typeIjLj2EENS0_17counting_iteratorIjlEEPS9_SG_NS0_5tupleIJPjSI_NS0_16reverse_iteratorISI_EEEEENSH_IJSG_SG_SG_EEES9_SI_JZNS1_25segmented_radix_sort_implINS0_14default_configELb1EPKlPlSQ_SR_N2at6native12_GLOBAL__N_18offset_tEEE10hipError_tPvRmT1_PNSt15iterator_traitsISZ_E10value_typeET2_T3_PNS10_IS15_E10value_typeET4_jRbjT5_S1B_jjP12ihipStream_tbEUljE_ZNSN_ISO_Lb1ESQ_SR_SQ_SR_SV_EESW_SX_SY_SZ_S13_S14_S15_S18_S19_jS1A_jS1B_S1B_jjS1D_bEUljE0_EEESW_SX_SY_S15_S19_S1B_T6_T7_T9_mT8_S1D_bDpT10_ENKUlT_T0_E_clISt17integral_constantIbLb1EES1R_EEDaS1M_S1N_EUlS1M_E_NS1_11comp_targetILNS1_3genE10ELNS1_11target_archE1200ELNS1_3gpuE4ELNS1_3repE0EEENS1_30default_config_static_selectorELNS0_4arch9wavefront6targetE0EEEvSZ_: ; @_ZN7rocprim17ROCPRIM_400000_NS6detail17trampoline_kernelINS0_13select_configILj256ELj13ELNS0_17block_load_methodE3ELS4_3ELS4_3ELNS0_20block_scan_algorithmE0ELj4294967295EEENS1_25partition_config_selectorILNS1_17partition_subalgoE4EjNS0_10empty_typeEbEEZZNS1_14partition_implILS8_4ELb0ES6_15HIP_vector_typeIjLj2EENS0_17counting_iteratorIjlEEPS9_SG_NS0_5tupleIJPjSI_NS0_16reverse_iteratorISI_EEEEENSH_IJSG_SG_SG_EEES9_SI_JZNS1_25segmented_radix_sort_implINS0_14default_configELb1EPKlPlSQ_SR_N2at6native12_GLOBAL__N_18offset_tEEE10hipError_tPvRmT1_PNSt15iterator_traitsISZ_E10value_typeET2_T3_PNS10_IS15_E10value_typeET4_jRbjT5_S1B_jjP12ihipStream_tbEUljE_ZNSN_ISO_Lb1ESQ_SR_SQ_SR_SV_EESW_SX_SY_SZ_S13_S14_S15_S18_S19_jS1A_jS1B_S1B_jjS1D_bEUljE0_EEESW_SX_SY_S15_S19_S1B_T6_T7_T9_mT8_S1D_bDpT10_ENKUlT_T0_E_clISt17integral_constantIbLb1EES1R_EEDaS1M_S1N_EUlS1M_E_NS1_11comp_targetILNS1_3genE10ELNS1_11target_archE1200ELNS1_3gpuE4ELNS1_3repE0EEENS1_30default_config_static_selectorELNS0_4arch9wavefront6targetE0EEEvSZ_
; %bb.0:
	s_endpgm
	.section	.rodata,"a",@progbits
	.p2align	6, 0x0
	.amdhsa_kernel _ZN7rocprim17ROCPRIM_400000_NS6detail17trampoline_kernelINS0_13select_configILj256ELj13ELNS0_17block_load_methodE3ELS4_3ELS4_3ELNS0_20block_scan_algorithmE0ELj4294967295EEENS1_25partition_config_selectorILNS1_17partition_subalgoE4EjNS0_10empty_typeEbEEZZNS1_14partition_implILS8_4ELb0ES6_15HIP_vector_typeIjLj2EENS0_17counting_iteratorIjlEEPS9_SG_NS0_5tupleIJPjSI_NS0_16reverse_iteratorISI_EEEEENSH_IJSG_SG_SG_EEES9_SI_JZNS1_25segmented_radix_sort_implINS0_14default_configELb1EPKlPlSQ_SR_N2at6native12_GLOBAL__N_18offset_tEEE10hipError_tPvRmT1_PNSt15iterator_traitsISZ_E10value_typeET2_T3_PNS10_IS15_E10value_typeET4_jRbjT5_S1B_jjP12ihipStream_tbEUljE_ZNSN_ISO_Lb1ESQ_SR_SQ_SR_SV_EESW_SX_SY_SZ_S13_S14_S15_S18_S19_jS1A_jS1B_S1B_jjS1D_bEUljE0_EEESW_SX_SY_S15_S19_S1B_T6_T7_T9_mT8_S1D_bDpT10_ENKUlT_T0_E_clISt17integral_constantIbLb1EES1R_EEDaS1M_S1N_EUlS1M_E_NS1_11comp_targetILNS1_3genE10ELNS1_11target_archE1200ELNS1_3gpuE4ELNS1_3repE0EEENS1_30default_config_static_selectorELNS0_4arch9wavefront6targetE0EEEvSZ_
		.amdhsa_group_segment_fixed_size 0
		.amdhsa_private_segment_fixed_size 0
		.amdhsa_kernarg_size 184
		.amdhsa_user_sgpr_count 2
		.amdhsa_user_sgpr_dispatch_ptr 0
		.amdhsa_user_sgpr_queue_ptr 0
		.amdhsa_user_sgpr_kernarg_segment_ptr 1
		.amdhsa_user_sgpr_dispatch_id 0
		.amdhsa_user_sgpr_private_segment_size 0
		.amdhsa_wavefront_size32 1
		.amdhsa_uses_dynamic_stack 0
		.amdhsa_enable_private_segment 0
		.amdhsa_system_sgpr_workgroup_id_x 1
		.amdhsa_system_sgpr_workgroup_id_y 0
		.amdhsa_system_sgpr_workgroup_id_z 0
		.amdhsa_system_sgpr_workgroup_info 0
		.amdhsa_system_vgpr_workitem_id 0
		.amdhsa_next_free_vgpr 1
		.amdhsa_next_free_sgpr 1
		.amdhsa_reserve_vcc 0
		.amdhsa_float_round_mode_32 0
		.amdhsa_float_round_mode_16_64 0
		.amdhsa_float_denorm_mode_32 3
		.amdhsa_float_denorm_mode_16_64 3
		.amdhsa_fp16_overflow 0
		.amdhsa_workgroup_processor_mode 1
		.amdhsa_memory_ordered 1
		.amdhsa_forward_progress 1
		.amdhsa_inst_pref_size 1
		.amdhsa_round_robin_scheduling 0
		.amdhsa_exception_fp_ieee_invalid_op 0
		.amdhsa_exception_fp_denorm_src 0
		.amdhsa_exception_fp_ieee_div_zero 0
		.amdhsa_exception_fp_ieee_overflow 0
		.amdhsa_exception_fp_ieee_underflow 0
		.amdhsa_exception_fp_ieee_inexact 0
		.amdhsa_exception_int_div_zero 0
	.end_amdhsa_kernel
	.section	.text._ZN7rocprim17ROCPRIM_400000_NS6detail17trampoline_kernelINS0_13select_configILj256ELj13ELNS0_17block_load_methodE3ELS4_3ELS4_3ELNS0_20block_scan_algorithmE0ELj4294967295EEENS1_25partition_config_selectorILNS1_17partition_subalgoE4EjNS0_10empty_typeEbEEZZNS1_14partition_implILS8_4ELb0ES6_15HIP_vector_typeIjLj2EENS0_17counting_iteratorIjlEEPS9_SG_NS0_5tupleIJPjSI_NS0_16reverse_iteratorISI_EEEEENSH_IJSG_SG_SG_EEES9_SI_JZNS1_25segmented_radix_sort_implINS0_14default_configELb1EPKlPlSQ_SR_N2at6native12_GLOBAL__N_18offset_tEEE10hipError_tPvRmT1_PNSt15iterator_traitsISZ_E10value_typeET2_T3_PNS10_IS15_E10value_typeET4_jRbjT5_S1B_jjP12ihipStream_tbEUljE_ZNSN_ISO_Lb1ESQ_SR_SQ_SR_SV_EESW_SX_SY_SZ_S13_S14_S15_S18_S19_jS1A_jS1B_S1B_jjS1D_bEUljE0_EEESW_SX_SY_S15_S19_S1B_T6_T7_T9_mT8_S1D_bDpT10_ENKUlT_T0_E_clISt17integral_constantIbLb1EES1R_EEDaS1M_S1N_EUlS1M_E_NS1_11comp_targetILNS1_3genE10ELNS1_11target_archE1200ELNS1_3gpuE4ELNS1_3repE0EEENS1_30default_config_static_selectorELNS0_4arch9wavefront6targetE0EEEvSZ_,"axG",@progbits,_ZN7rocprim17ROCPRIM_400000_NS6detail17trampoline_kernelINS0_13select_configILj256ELj13ELNS0_17block_load_methodE3ELS4_3ELS4_3ELNS0_20block_scan_algorithmE0ELj4294967295EEENS1_25partition_config_selectorILNS1_17partition_subalgoE4EjNS0_10empty_typeEbEEZZNS1_14partition_implILS8_4ELb0ES6_15HIP_vector_typeIjLj2EENS0_17counting_iteratorIjlEEPS9_SG_NS0_5tupleIJPjSI_NS0_16reverse_iteratorISI_EEEEENSH_IJSG_SG_SG_EEES9_SI_JZNS1_25segmented_radix_sort_implINS0_14default_configELb1EPKlPlSQ_SR_N2at6native12_GLOBAL__N_18offset_tEEE10hipError_tPvRmT1_PNSt15iterator_traitsISZ_E10value_typeET2_T3_PNS10_IS15_E10value_typeET4_jRbjT5_S1B_jjP12ihipStream_tbEUljE_ZNSN_ISO_Lb1ESQ_SR_SQ_SR_SV_EESW_SX_SY_SZ_S13_S14_S15_S18_S19_jS1A_jS1B_S1B_jjS1D_bEUljE0_EEESW_SX_SY_S15_S19_S1B_T6_T7_T9_mT8_S1D_bDpT10_ENKUlT_T0_E_clISt17integral_constantIbLb1EES1R_EEDaS1M_S1N_EUlS1M_E_NS1_11comp_targetILNS1_3genE10ELNS1_11target_archE1200ELNS1_3gpuE4ELNS1_3repE0EEENS1_30default_config_static_selectorELNS0_4arch9wavefront6targetE0EEEvSZ_,comdat
.Lfunc_end653:
	.size	_ZN7rocprim17ROCPRIM_400000_NS6detail17trampoline_kernelINS0_13select_configILj256ELj13ELNS0_17block_load_methodE3ELS4_3ELS4_3ELNS0_20block_scan_algorithmE0ELj4294967295EEENS1_25partition_config_selectorILNS1_17partition_subalgoE4EjNS0_10empty_typeEbEEZZNS1_14partition_implILS8_4ELb0ES6_15HIP_vector_typeIjLj2EENS0_17counting_iteratorIjlEEPS9_SG_NS0_5tupleIJPjSI_NS0_16reverse_iteratorISI_EEEEENSH_IJSG_SG_SG_EEES9_SI_JZNS1_25segmented_radix_sort_implINS0_14default_configELb1EPKlPlSQ_SR_N2at6native12_GLOBAL__N_18offset_tEEE10hipError_tPvRmT1_PNSt15iterator_traitsISZ_E10value_typeET2_T3_PNS10_IS15_E10value_typeET4_jRbjT5_S1B_jjP12ihipStream_tbEUljE_ZNSN_ISO_Lb1ESQ_SR_SQ_SR_SV_EESW_SX_SY_SZ_S13_S14_S15_S18_S19_jS1A_jS1B_S1B_jjS1D_bEUljE0_EEESW_SX_SY_S15_S19_S1B_T6_T7_T9_mT8_S1D_bDpT10_ENKUlT_T0_E_clISt17integral_constantIbLb1EES1R_EEDaS1M_S1N_EUlS1M_E_NS1_11comp_targetILNS1_3genE10ELNS1_11target_archE1200ELNS1_3gpuE4ELNS1_3repE0EEENS1_30default_config_static_selectorELNS0_4arch9wavefront6targetE0EEEvSZ_, .Lfunc_end653-_ZN7rocprim17ROCPRIM_400000_NS6detail17trampoline_kernelINS0_13select_configILj256ELj13ELNS0_17block_load_methodE3ELS4_3ELS4_3ELNS0_20block_scan_algorithmE0ELj4294967295EEENS1_25partition_config_selectorILNS1_17partition_subalgoE4EjNS0_10empty_typeEbEEZZNS1_14partition_implILS8_4ELb0ES6_15HIP_vector_typeIjLj2EENS0_17counting_iteratorIjlEEPS9_SG_NS0_5tupleIJPjSI_NS0_16reverse_iteratorISI_EEEEENSH_IJSG_SG_SG_EEES9_SI_JZNS1_25segmented_radix_sort_implINS0_14default_configELb1EPKlPlSQ_SR_N2at6native12_GLOBAL__N_18offset_tEEE10hipError_tPvRmT1_PNSt15iterator_traitsISZ_E10value_typeET2_T3_PNS10_IS15_E10value_typeET4_jRbjT5_S1B_jjP12ihipStream_tbEUljE_ZNSN_ISO_Lb1ESQ_SR_SQ_SR_SV_EESW_SX_SY_SZ_S13_S14_S15_S18_S19_jS1A_jS1B_S1B_jjS1D_bEUljE0_EEESW_SX_SY_S15_S19_S1B_T6_T7_T9_mT8_S1D_bDpT10_ENKUlT_T0_E_clISt17integral_constantIbLb1EES1R_EEDaS1M_S1N_EUlS1M_E_NS1_11comp_targetILNS1_3genE10ELNS1_11target_archE1200ELNS1_3gpuE4ELNS1_3repE0EEENS1_30default_config_static_selectorELNS0_4arch9wavefront6targetE0EEEvSZ_
                                        ; -- End function
	.set _ZN7rocprim17ROCPRIM_400000_NS6detail17trampoline_kernelINS0_13select_configILj256ELj13ELNS0_17block_load_methodE3ELS4_3ELS4_3ELNS0_20block_scan_algorithmE0ELj4294967295EEENS1_25partition_config_selectorILNS1_17partition_subalgoE4EjNS0_10empty_typeEbEEZZNS1_14partition_implILS8_4ELb0ES6_15HIP_vector_typeIjLj2EENS0_17counting_iteratorIjlEEPS9_SG_NS0_5tupleIJPjSI_NS0_16reverse_iteratorISI_EEEEENSH_IJSG_SG_SG_EEES9_SI_JZNS1_25segmented_radix_sort_implINS0_14default_configELb1EPKlPlSQ_SR_N2at6native12_GLOBAL__N_18offset_tEEE10hipError_tPvRmT1_PNSt15iterator_traitsISZ_E10value_typeET2_T3_PNS10_IS15_E10value_typeET4_jRbjT5_S1B_jjP12ihipStream_tbEUljE_ZNSN_ISO_Lb1ESQ_SR_SQ_SR_SV_EESW_SX_SY_SZ_S13_S14_S15_S18_S19_jS1A_jS1B_S1B_jjS1D_bEUljE0_EEESW_SX_SY_S15_S19_S1B_T6_T7_T9_mT8_S1D_bDpT10_ENKUlT_T0_E_clISt17integral_constantIbLb1EES1R_EEDaS1M_S1N_EUlS1M_E_NS1_11comp_targetILNS1_3genE10ELNS1_11target_archE1200ELNS1_3gpuE4ELNS1_3repE0EEENS1_30default_config_static_selectorELNS0_4arch9wavefront6targetE0EEEvSZ_.num_vgpr, 0
	.set _ZN7rocprim17ROCPRIM_400000_NS6detail17trampoline_kernelINS0_13select_configILj256ELj13ELNS0_17block_load_methodE3ELS4_3ELS4_3ELNS0_20block_scan_algorithmE0ELj4294967295EEENS1_25partition_config_selectorILNS1_17partition_subalgoE4EjNS0_10empty_typeEbEEZZNS1_14partition_implILS8_4ELb0ES6_15HIP_vector_typeIjLj2EENS0_17counting_iteratorIjlEEPS9_SG_NS0_5tupleIJPjSI_NS0_16reverse_iteratorISI_EEEEENSH_IJSG_SG_SG_EEES9_SI_JZNS1_25segmented_radix_sort_implINS0_14default_configELb1EPKlPlSQ_SR_N2at6native12_GLOBAL__N_18offset_tEEE10hipError_tPvRmT1_PNSt15iterator_traitsISZ_E10value_typeET2_T3_PNS10_IS15_E10value_typeET4_jRbjT5_S1B_jjP12ihipStream_tbEUljE_ZNSN_ISO_Lb1ESQ_SR_SQ_SR_SV_EESW_SX_SY_SZ_S13_S14_S15_S18_S19_jS1A_jS1B_S1B_jjS1D_bEUljE0_EEESW_SX_SY_S15_S19_S1B_T6_T7_T9_mT8_S1D_bDpT10_ENKUlT_T0_E_clISt17integral_constantIbLb1EES1R_EEDaS1M_S1N_EUlS1M_E_NS1_11comp_targetILNS1_3genE10ELNS1_11target_archE1200ELNS1_3gpuE4ELNS1_3repE0EEENS1_30default_config_static_selectorELNS0_4arch9wavefront6targetE0EEEvSZ_.num_agpr, 0
	.set _ZN7rocprim17ROCPRIM_400000_NS6detail17trampoline_kernelINS0_13select_configILj256ELj13ELNS0_17block_load_methodE3ELS4_3ELS4_3ELNS0_20block_scan_algorithmE0ELj4294967295EEENS1_25partition_config_selectorILNS1_17partition_subalgoE4EjNS0_10empty_typeEbEEZZNS1_14partition_implILS8_4ELb0ES6_15HIP_vector_typeIjLj2EENS0_17counting_iteratorIjlEEPS9_SG_NS0_5tupleIJPjSI_NS0_16reverse_iteratorISI_EEEEENSH_IJSG_SG_SG_EEES9_SI_JZNS1_25segmented_radix_sort_implINS0_14default_configELb1EPKlPlSQ_SR_N2at6native12_GLOBAL__N_18offset_tEEE10hipError_tPvRmT1_PNSt15iterator_traitsISZ_E10value_typeET2_T3_PNS10_IS15_E10value_typeET4_jRbjT5_S1B_jjP12ihipStream_tbEUljE_ZNSN_ISO_Lb1ESQ_SR_SQ_SR_SV_EESW_SX_SY_SZ_S13_S14_S15_S18_S19_jS1A_jS1B_S1B_jjS1D_bEUljE0_EEESW_SX_SY_S15_S19_S1B_T6_T7_T9_mT8_S1D_bDpT10_ENKUlT_T0_E_clISt17integral_constantIbLb1EES1R_EEDaS1M_S1N_EUlS1M_E_NS1_11comp_targetILNS1_3genE10ELNS1_11target_archE1200ELNS1_3gpuE4ELNS1_3repE0EEENS1_30default_config_static_selectorELNS0_4arch9wavefront6targetE0EEEvSZ_.numbered_sgpr, 0
	.set _ZN7rocprim17ROCPRIM_400000_NS6detail17trampoline_kernelINS0_13select_configILj256ELj13ELNS0_17block_load_methodE3ELS4_3ELS4_3ELNS0_20block_scan_algorithmE0ELj4294967295EEENS1_25partition_config_selectorILNS1_17partition_subalgoE4EjNS0_10empty_typeEbEEZZNS1_14partition_implILS8_4ELb0ES6_15HIP_vector_typeIjLj2EENS0_17counting_iteratorIjlEEPS9_SG_NS0_5tupleIJPjSI_NS0_16reverse_iteratorISI_EEEEENSH_IJSG_SG_SG_EEES9_SI_JZNS1_25segmented_radix_sort_implINS0_14default_configELb1EPKlPlSQ_SR_N2at6native12_GLOBAL__N_18offset_tEEE10hipError_tPvRmT1_PNSt15iterator_traitsISZ_E10value_typeET2_T3_PNS10_IS15_E10value_typeET4_jRbjT5_S1B_jjP12ihipStream_tbEUljE_ZNSN_ISO_Lb1ESQ_SR_SQ_SR_SV_EESW_SX_SY_SZ_S13_S14_S15_S18_S19_jS1A_jS1B_S1B_jjS1D_bEUljE0_EEESW_SX_SY_S15_S19_S1B_T6_T7_T9_mT8_S1D_bDpT10_ENKUlT_T0_E_clISt17integral_constantIbLb1EES1R_EEDaS1M_S1N_EUlS1M_E_NS1_11comp_targetILNS1_3genE10ELNS1_11target_archE1200ELNS1_3gpuE4ELNS1_3repE0EEENS1_30default_config_static_selectorELNS0_4arch9wavefront6targetE0EEEvSZ_.num_named_barrier, 0
	.set _ZN7rocprim17ROCPRIM_400000_NS6detail17trampoline_kernelINS0_13select_configILj256ELj13ELNS0_17block_load_methodE3ELS4_3ELS4_3ELNS0_20block_scan_algorithmE0ELj4294967295EEENS1_25partition_config_selectorILNS1_17partition_subalgoE4EjNS0_10empty_typeEbEEZZNS1_14partition_implILS8_4ELb0ES6_15HIP_vector_typeIjLj2EENS0_17counting_iteratorIjlEEPS9_SG_NS0_5tupleIJPjSI_NS0_16reverse_iteratorISI_EEEEENSH_IJSG_SG_SG_EEES9_SI_JZNS1_25segmented_radix_sort_implINS0_14default_configELb1EPKlPlSQ_SR_N2at6native12_GLOBAL__N_18offset_tEEE10hipError_tPvRmT1_PNSt15iterator_traitsISZ_E10value_typeET2_T3_PNS10_IS15_E10value_typeET4_jRbjT5_S1B_jjP12ihipStream_tbEUljE_ZNSN_ISO_Lb1ESQ_SR_SQ_SR_SV_EESW_SX_SY_SZ_S13_S14_S15_S18_S19_jS1A_jS1B_S1B_jjS1D_bEUljE0_EEESW_SX_SY_S15_S19_S1B_T6_T7_T9_mT8_S1D_bDpT10_ENKUlT_T0_E_clISt17integral_constantIbLb1EES1R_EEDaS1M_S1N_EUlS1M_E_NS1_11comp_targetILNS1_3genE10ELNS1_11target_archE1200ELNS1_3gpuE4ELNS1_3repE0EEENS1_30default_config_static_selectorELNS0_4arch9wavefront6targetE0EEEvSZ_.private_seg_size, 0
	.set _ZN7rocprim17ROCPRIM_400000_NS6detail17trampoline_kernelINS0_13select_configILj256ELj13ELNS0_17block_load_methodE3ELS4_3ELS4_3ELNS0_20block_scan_algorithmE0ELj4294967295EEENS1_25partition_config_selectorILNS1_17partition_subalgoE4EjNS0_10empty_typeEbEEZZNS1_14partition_implILS8_4ELb0ES6_15HIP_vector_typeIjLj2EENS0_17counting_iteratorIjlEEPS9_SG_NS0_5tupleIJPjSI_NS0_16reverse_iteratorISI_EEEEENSH_IJSG_SG_SG_EEES9_SI_JZNS1_25segmented_radix_sort_implINS0_14default_configELb1EPKlPlSQ_SR_N2at6native12_GLOBAL__N_18offset_tEEE10hipError_tPvRmT1_PNSt15iterator_traitsISZ_E10value_typeET2_T3_PNS10_IS15_E10value_typeET4_jRbjT5_S1B_jjP12ihipStream_tbEUljE_ZNSN_ISO_Lb1ESQ_SR_SQ_SR_SV_EESW_SX_SY_SZ_S13_S14_S15_S18_S19_jS1A_jS1B_S1B_jjS1D_bEUljE0_EEESW_SX_SY_S15_S19_S1B_T6_T7_T9_mT8_S1D_bDpT10_ENKUlT_T0_E_clISt17integral_constantIbLb1EES1R_EEDaS1M_S1N_EUlS1M_E_NS1_11comp_targetILNS1_3genE10ELNS1_11target_archE1200ELNS1_3gpuE4ELNS1_3repE0EEENS1_30default_config_static_selectorELNS0_4arch9wavefront6targetE0EEEvSZ_.uses_vcc, 0
	.set _ZN7rocprim17ROCPRIM_400000_NS6detail17trampoline_kernelINS0_13select_configILj256ELj13ELNS0_17block_load_methodE3ELS4_3ELS4_3ELNS0_20block_scan_algorithmE0ELj4294967295EEENS1_25partition_config_selectorILNS1_17partition_subalgoE4EjNS0_10empty_typeEbEEZZNS1_14partition_implILS8_4ELb0ES6_15HIP_vector_typeIjLj2EENS0_17counting_iteratorIjlEEPS9_SG_NS0_5tupleIJPjSI_NS0_16reverse_iteratorISI_EEEEENSH_IJSG_SG_SG_EEES9_SI_JZNS1_25segmented_radix_sort_implINS0_14default_configELb1EPKlPlSQ_SR_N2at6native12_GLOBAL__N_18offset_tEEE10hipError_tPvRmT1_PNSt15iterator_traitsISZ_E10value_typeET2_T3_PNS10_IS15_E10value_typeET4_jRbjT5_S1B_jjP12ihipStream_tbEUljE_ZNSN_ISO_Lb1ESQ_SR_SQ_SR_SV_EESW_SX_SY_SZ_S13_S14_S15_S18_S19_jS1A_jS1B_S1B_jjS1D_bEUljE0_EEESW_SX_SY_S15_S19_S1B_T6_T7_T9_mT8_S1D_bDpT10_ENKUlT_T0_E_clISt17integral_constantIbLb1EES1R_EEDaS1M_S1N_EUlS1M_E_NS1_11comp_targetILNS1_3genE10ELNS1_11target_archE1200ELNS1_3gpuE4ELNS1_3repE0EEENS1_30default_config_static_selectorELNS0_4arch9wavefront6targetE0EEEvSZ_.uses_flat_scratch, 0
	.set _ZN7rocprim17ROCPRIM_400000_NS6detail17trampoline_kernelINS0_13select_configILj256ELj13ELNS0_17block_load_methodE3ELS4_3ELS4_3ELNS0_20block_scan_algorithmE0ELj4294967295EEENS1_25partition_config_selectorILNS1_17partition_subalgoE4EjNS0_10empty_typeEbEEZZNS1_14partition_implILS8_4ELb0ES6_15HIP_vector_typeIjLj2EENS0_17counting_iteratorIjlEEPS9_SG_NS0_5tupleIJPjSI_NS0_16reverse_iteratorISI_EEEEENSH_IJSG_SG_SG_EEES9_SI_JZNS1_25segmented_radix_sort_implINS0_14default_configELb1EPKlPlSQ_SR_N2at6native12_GLOBAL__N_18offset_tEEE10hipError_tPvRmT1_PNSt15iterator_traitsISZ_E10value_typeET2_T3_PNS10_IS15_E10value_typeET4_jRbjT5_S1B_jjP12ihipStream_tbEUljE_ZNSN_ISO_Lb1ESQ_SR_SQ_SR_SV_EESW_SX_SY_SZ_S13_S14_S15_S18_S19_jS1A_jS1B_S1B_jjS1D_bEUljE0_EEESW_SX_SY_S15_S19_S1B_T6_T7_T9_mT8_S1D_bDpT10_ENKUlT_T0_E_clISt17integral_constantIbLb1EES1R_EEDaS1M_S1N_EUlS1M_E_NS1_11comp_targetILNS1_3genE10ELNS1_11target_archE1200ELNS1_3gpuE4ELNS1_3repE0EEENS1_30default_config_static_selectorELNS0_4arch9wavefront6targetE0EEEvSZ_.has_dyn_sized_stack, 0
	.set _ZN7rocprim17ROCPRIM_400000_NS6detail17trampoline_kernelINS0_13select_configILj256ELj13ELNS0_17block_load_methodE3ELS4_3ELS4_3ELNS0_20block_scan_algorithmE0ELj4294967295EEENS1_25partition_config_selectorILNS1_17partition_subalgoE4EjNS0_10empty_typeEbEEZZNS1_14partition_implILS8_4ELb0ES6_15HIP_vector_typeIjLj2EENS0_17counting_iteratorIjlEEPS9_SG_NS0_5tupleIJPjSI_NS0_16reverse_iteratorISI_EEEEENSH_IJSG_SG_SG_EEES9_SI_JZNS1_25segmented_radix_sort_implINS0_14default_configELb1EPKlPlSQ_SR_N2at6native12_GLOBAL__N_18offset_tEEE10hipError_tPvRmT1_PNSt15iterator_traitsISZ_E10value_typeET2_T3_PNS10_IS15_E10value_typeET4_jRbjT5_S1B_jjP12ihipStream_tbEUljE_ZNSN_ISO_Lb1ESQ_SR_SQ_SR_SV_EESW_SX_SY_SZ_S13_S14_S15_S18_S19_jS1A_jS1B_S1B_jjS1D_bEUljE0_EEESW_SX_SY_S15_S19_S1B_T6_T7_T9_mT8_S1D_bDpT10_ENKUlT_T0_E_clISt17integral_constantIbLb1EES1R_EEDaS1M_S1N_EUlS1M_E_NS1_11comp_targetILNS1_3genE10ELNS1_11target_archE1200ELNS1_3gpuE4ELNS1_3repE0EEENS1_30default_config_static_selectorELNS0_4arch9wavefront6targetE0EEEvSZ_.has_recursion, 0
	.set _ZN7rocprim17ROCPRIM_400000_NS6detail17trampoline_kernelINS0_13select_configILj256ELj13ELNS0_17block_load_methodE3ELS4_3ELS4_3ELNS0_20block_scan_algorithmE0ELj4294967295EEENS1_25partition_config_selectorILNS1_17partition_subalgoE4EjNS0_10empty_typeEbEEZZNS1_14partition_implILS8_4ELb0ES6_15HIP_vector_typeIjLj2EENS0_17counting_iteratorIjlEEPS9_SG_NS0_5tupleIJPjSI_NS0_16reverse_iteratorISI_EEEEENSH_IJSG_SG_SG_EEES9_SI_JZNS1_25segmented_radix_sort_implINS0_14default_configELb1EPKlPlSQ_SR_N2at6native12_GLOBAL__N_18offset_tEEE10hipError_tPvRmT1_PNSt15iterator_traitsISZ_E10value_typeET2_T3_PNS10_IS15_E10value_typeET4_jRbjT5_S1B_jjP12ihipStream_tbEUljE_ZNSN_ISO_Lb1ESQ_SR_SQ_SR_SV_EESW_SX_SY_SZ_S13_S14_S15_S18_S19_jS1A_jS1B_S1B_jjS1D_bEUljE0_EEESW_SX_SY_S15_S19_S1B_T6_T7_T9_mT8_S1D_bDpT10_ENKUlT_T0_E_clISt17integral_constantIbLb1EES1R_EEDaS1M_S1N_EUlS1M_E_NS1_11comp_targetILNS1_3genE10ELNS1_11target_archE1200ELNS1_3gpuE4ELNS1_3repE0EEENS1_30default_config_static_selectorELNS0_4arch9wavefront6targetE0EEEvSZ_.has_indirect_call, 0
	.section	.AMDGPU.csdata,"",@progbits
; Kernel info:
; codeLenInByte = 4
; TotalNumSgprs: 0
; NumVgprs: 0
; ScratchSize: 0
; MemoryBound: 0
; FloatMode: 240
; IeeeMode: 1
; LDSByteSize: 0 bytes/workgroup (compile time only)
; SGPRBlocks: 0
; VGPRBlocks: 0
; NumSGPRsForWavesPerEU: 1
; NumVGPRsForWavesPerEU: 1
; Occupancy: 16
; WaveLimiterHint : 0
; COMPUTE_PGM_RSRC2:SCRATCH_EN: 0
; COMPUTE_PGM_RSRC2:USER_SGPR: 2
; COMPUTE_PGM_RSRC2:TRAP_HANDLER: 0
; COMPUTE_PGM_RSRC2:TGID_X_EN: 1
; COMPUTE_PGM_RSRC2:TGID_Y_EN: 0
; COMPUTE_PGM_RSRC2:TGID_Z_EN: 0
; COMPUTE_PGM_RSRC2:TIDIG_COMP_CNT: 0
	.section	.text._ZN7rocprim17ROCPRIM_400000_NS6detail17trampoline_kernelINS0_13select_configILj256ELj13ELNS0_17block_load_methodE3ELS4_3ELS4_3ELNS0_20block_scan_algorithmE0ELj4294967295EEENS1_25partition_config_selectorILNS1_17partition_subalgoE4EjNS0_10empty_typeEbEEZZNS1_14partition_implILS8_4ELb0ES6_15HIP_vector_typeIjLj2EENS0_17counting_iteratorIjlEEPS9_SG_NS0_5tupleIJPjSI_NS0_16reverse_iteratorISI_EEEEENSH_IJSG_SG_SG_EEES9_SI_JZNS1_25segmented_radix_sort_implINS0_14default_configELb1EPKlPlSQ_SR_N2at6native12_GLOBAL__N_18offset_tEEE10hipError_tPvRmT1_PNSt15iterator_traitsISZ_E10value_typeET2_T3_PNS10_IS15_E10value_typeET4_jRbjT5_S1B_jjP12ihipStream_tbEUljE_ZNSN_ISO_Lb1ESQ_SR_SQ_SR_SV_EESW_SX_SY_SZ_S13_S14_S15_S18_S19_jS1A_jS1B_S1B_jjS1D_bEUljE0_EEESW_SX_SY_S15_S19_S1B_T6_T7_T9_mT8_S1D_bDpT10_ENKUlT_T0_E_clISt17integral_constantIbLb1EES1R_EEDaS1M_S1N_EUlS1M_E_NS1_11comp_targetILNS1_3genE9ELNS1_11target_archE1100ELNS1_3gpuE3ELNS1_3repE0EEENS1_30default_config_static_selectorELNS0_4arch9wavefront6targetE0EEEvSZ_,"axG",@progbits,_ZN7rocprim17ROCPRIM_400000_NS6detail17trampoline_kernelINS0_13select_configILj256ELj13ELNS0_17block_load_methodE3ELS4_3ELS4_3ELNS0_20block_scan_algorithmE0ELj4294967295EEENS1_25partition_config_selectorILNS1_17partition_subalgoE4EjNS0_10empty_typeEbEEZZNS1_14partition_implILS8_4ELb0ES6_15HIP_vector_typeIjLj2EENS0_17counting_iteratorIjlEEPS9_SG_NS0_5tupleIJPjSI_NS0_16reverse_iteratorISI_EEEEENSH_IJSG_SG_SG_EEES9_SI_JZNS1_25segmented_radix_sort_implINS0_14default_configELb1EPKlPlSQ_SR_N2at6native12_GLOBAL__N_18offset_tEEE10hipError_tPvRmT1_PNSt15iterator_traitsISZ_E10value_typeET2_T3_PNS10_IS15_E10value_typeET4_jRbjT5_S1B_jjP12ihipStream_tbEUljE_ZNSN_ISO_Lb1ESQ_SR_SQ_SR_SV_EESW_SX_SY_SZ_S13_S14_S15_S18_S19_jS1A_jS1B_S1B_jjS1D_bEUljE0_EEESW_SX_SY_S15_S19_S1B_T6_T7_T9_mT8_S1D_bDpT10_ENKUlT_T0_E_clISt17integral_constantIbLb1EES1R_EEDaS1M_S1N_EUlS1M_E_NS1_11comp_targetILNS1_3genE9ELNS1_11target_archE1100ELNS1_3gpuE3ELNS1_3repE0EEENS1_30default_config_static_selectorELNS0_4arch9wavefront6targetE0EEEvSZ_,comdat
	.globl	_ZN7rocprim17ROCPRIM_400000_NS6detail17trampoline_kernelINS0_13select_configILj256ELj13ELNS0_17block_load_methodE3ELS4_3ELS4_3ELNS0_20block_scan_algorithmE0ELj4294967295EEENS1_25partition_config_selectorILNS1_17partition_subalgoE4EjNS0_10empty_typeEbEEZZNS1_14partition_implILS8_4ELb0ES6_15HIP_vector_typeIjLj2EENS0_17counting_iteratorIjlEEPS9_SG_NS0_5tupleIJPjSI_NS0_16reverse_iteratorISI_EEEEENSH_IJSG_SG_SG_EEES9_SI_JZNS1_25segmented_radix_sort_implINS0_14default_configELb1EPKlPlSQ_SR_N2at6native12_GLOBAL__N_18offset_tEEE10hipError_tPvRmT1_PNSt15iterator_traitsISZ_E10value_typeET2_T3_PNS10_IS15_E10value_typeET4_jRbjT5_S1B_jjP12ihipStream_tbEUljE_ZNSN_ISO_Lb1ESQ_SR_SQ_SR_SV_EESW_SX_SY_SZ_S13_S14_S15_S18_S19_jS1A_jS1B_S1B_jjS1D_bEUljE0_EEESW_SX_SY_S15_S19_S1B_T6_T7_T9_mT8_S1D_bDpT10_ENKUlT_T0_E_clISt17integral_constantIbLb1EES1R_EEDaS1M_S1N_EUlS1M_E_NS1_11comp_targetILNS1_3genE9ELNS1_11target_archE1100ELNS1_3gpuE3ELNS1_3repE0EEENS1_30default_config_static_selectorELNS0_4arch9wavefront6targetE0EEEvSZ_ ; -- Begin function _ZN7rocprim17ROCPRIM_400000_NS6detail17trampoline_kernelINS0_13select_configILj256ELj13ELNS0_17block_load_methodE3ELS4_3ELS4_3ELNS0_20block_scan_algorithmE0ELj4294967295EEENS1_25partition_config_selectorILNS1_17partition_subalgoE4EjNS0_10empty_typeEbEEZZNS1_14partition_implILS8_4ELb0ES6_15HIP_vector_typeIjLj2EENS0_17counting_iteratorIjlEEPS9_SG_NS0_5tupleIJPjSI_NS0_16reverse_iteratorISI_EEEEENSH_IJSG_SG_SG_EEES9_SI_JZNS1_25segmented_radix_sort_implINS0_14default_configELb1EPKlPlSQ_SR_N2at6native12_GLOBAL__N_18offset_tEEE10hipError_tPvRmT1_PNSt15iterator_traitsISZ_E10value_typeET2_T3_PNS10_IS15_E10value_typeET4_jRbjT5_S1B_jjP12ihipStream_tbEUljE_ZNSN_ISO_Lb1ESQ_SR_SQ_SR_SV_EESW_SX_SY_SZ_S13_S14_S15_S18_S19_jS1A_jS1B_S1B_jjS1D_bEUljE0_EEESW_SX_SY_S15_S19_S1B_T6_T7_T9_mT8_S1D_bDpT10_ENKUlT_T0_E_clISt17integral_constantIbLb1EES1R_EEDaS1M_S1N_EUlS1M_E_NS1_11comp_targetILNS1_3genE9ELNS1_11target_archE1100ELNS1_3gpuE3ELNS1_3repE0EEENS1_30default_config_static_selectorELNS0_4arch9wavefront6targetE0EEEvSZ_
	.p2align	8
	.type	_ZN7rocprim17ROCPRIM_400000_NS6detail17trampoline_kernelINS0_13select_configILj256ELj13ELNS0_17block_load_methodE3ELS4_3ELS4_3ELNS0_20block_scan_algorithmE0ELj4294967295EEENS1_25partition_config_selectorILNS1_17partition_subalgoE4EjNS0_10empty_typeEbEEZZNS1_14partition_implILS8_4ELb0ES6_15HIP_vector_typeIjLj2EENS0_17counting_iteratorIjlEEPS9_SG_NS0_5tupleIJPjSI_NS0_16reverse_iteratorISI_EEEEENSH_IJSG_SG_SG_EEES9_SI_JZNS1_25segmented_radix_sort_implINS0_14default_configELb1EPKlPlSQ_SR_N2at6native12_GLOBAL__N_18offset_tEEE10hipError_tPvRmT1_PNSt15iterator_traitsISZ_E10value_typeET2_T3_PNS10_IS15_E10value_typeET4_jRbjT5_S1B_jjP12ihipStream_tbEUljE_ZNSN_ISO_Lb1ESQ_SR_SQ_SR_SV_EESW_SX_SY_SZ_S13_S14_S15_S18_S19_jS1A_jS1B_S1B_jjS1D_bEUljE0_EEESW_SX_SY_S15_S19_S1B_T6_T7_T9_mT8_S1D_bDpT10_ENKUlT_T0_E_clISt17integral_constantIbLb1EES1R_EEDaS1M_S1N_EUlS1M_E_NS1_11comp_targetILNS1_3genE9ELNS1_11target_archE1100ELNS1_3gpuE3ELNS1_3repE0EEENS1_30default_config_static_selectorELNS0_4arch9wavefront6targetE0EEEvSZ_,@function
_ZN7rocprim17ROCPRIM_400000_NS6detail17trampoline_kernelINS0_13select_configILj256ELj13ELNS0_17block_load_methodE3ELS4_3ELS4_3ELNS0_20block_scan_algorithmE0ELj4294967295EEENS1_25partition_config_selectorILNS1_17partition_subalgoE4EjNS0_10empty_typeEbEEZZNS1_14partition_implILS8_4ELb0ES6_15HIP_vector_typeIjLj2EENS0_17counting_iteratorIjlEEPS9_SG_NS0_5tupleIJPjSI_NS0_16reverse_iteratorISI_EEEEENSH_IJSG_SG_SG_EEES9_SI_JZNS1_25segmented_radix_sort_implINS0_14default_configELb1EPKlPlSQ_SR_N2at6native12_GLOBAL__N_18offset_tEEE10hipError_tPvRmT1_PNSt15iterator_traitsISZ_E10value_typeET2_T3_PNS10_IS15_E10value_typeET4_jRbjT5_S1B_jjP12ihipStream_tbEUljE_ZNSN_ISO_Lb1ESQ_SR_SQ_SR_SV_EESW_SX_SY_SZ_S13_S14_S15_S18_S19_jS1A_jS1B_S1B_jjS1D_bEUljE0_EEESW_SX_SY_S15_S19_S1B_T6_T7_T9_mT8_S1D_bDpT10_ENKUlT_T0_E_clISt17integral_constantIbLb1EES1R_EEDaS1M_S1N_EUlS1M_E_NS1_11comp_targetILNS1_3genE9ELNS1_11target_archE1100ELNS1_3gpuE3ELNS1_3repE0EEENS1_30default_config_static_selectorELNS0_4arch9wavefront6targetE0EEEvSZ_: ; @_ZN7rocprim17ROCPRIM_400000_NS6detail17trampoline_kernelINS0_13select_configILj256ELj13ELNS0_17block_load_methodE3ELS4_3ELS4_3ELNS0_20block_scan_algorithmE0ELj4294967295EEENS1_25partition_config_selectorILNS1_17partition_subalgoE4EjNS0_10empty_typeEbEEZZNS1_14partition_implILS8_4ELb0ES6_15HIP_vector_typeIjLj2EENS0_17counting_iteratorIjlEEPS9_SG_NS0_5tupleIJPjSI_NS0_16reverse_iteratorISI_EEEEENSH_IJSG_SG_SG_EEES9_SI_JZNS1_25segmented_radix_sort_implINS0_14default_configELb1EPKlPlSQ_SR_N2at6native12_GLOBAL__N_18offset_tEEE10hipError_tPvRmT1_PNSt15iterator_traitsISZ_E10value_typeET2_T3_PNS10_IS15_E10value_typeET4_jRbjT5_S1B_jjP12ihipStream_tbEUljE_ZNSN_ISO_Lb1ESQ_SR_SQ_SR_SV_EESW_SX_SY_SZ_S13_S14_S15_S18_S19_jS1A_jS1B_S1B_jjS1D_bEUljE0_EEESW_SX_SY_S15_S19_S1B_T6_T7_T9_mT8_S1D_bDpT10_ENKUlT_T0_E_clISt17integral_constantIbLb1EES1R_EEDaS1M_S1N_EUlS1M_E_NS1_11comp_targetILNS1_3genE9ELNS1_11target_archE1100ELNS1_3gpuE3ELNS1_3repE0EEENS1_30default_config_static_selectorELNS0_4arch9wavefront6targetE0EEEvSZ_
; %bb.0:
	.section	.rodata,"a",@progbits
	.p2align	6, 0x0
	.amdhsa_kernel _ZN7rocprim17ROCPRIM_400000_NS6detail17trampoline_kernelINS0_13select_configILj256ELj13ELNS0_17block_load_methodE3ELS4_3ELS4_3ELNS0_20block_scan_algorithmE0ELj4294967295EEENS1_25partition_config_selectorILNS1_17partition_subalgoE4EjNS0_10empty_typeEbEEZZNS1_14partition_implILS8_4ELb0ES6_15HIP_vector_typeIjLj2EENS0_17counting_iteratorIjlEEPS9_SG_NS0_5tupleIJPjSI_NS0_16reverse_iteratorISI_EEEEENSH_IJSG_SG_SG_EEES9_SI_JZNS1_25segmented_radix_sort_implINS0_14default_configELb1EPKlPlSQ_SR_N2at6native12_GLOBAL__N_18offset_tEEE10hipError_tPvRmT1_PNSt15iterator_traitsISZ_E10value_typeET2_T3_PNS10_IS15_E10value_typeET4_jRbjT5_S1B_jjP12ihipStream_tbEUljE_ZNSN_ISO_Lb1ESQ_SR_SQ_SR_SV_EESW_SX_SY_SZ_S13_S14_S15_S18_S19_jS1A_jS1B_S1B_jjS1D_bEUljE0_EEESW_SX_SY_S15_S19_S1B_T6_T7_T9_mT8_S1D_bDpT10_ENKUlT_T0_E_clISt17integral_constantIbLb1EES1R_EEDaS1M_S1N_EUlS1M_E_NS1_11comp_targetILNS1_3genE9ELNS1_11target_archE1100ELNS1_3gpuE3ELNS1_3repE0EEENS1_30default_config_static_selectorELNS0_4arch9wavefront6targetE0EEEvSZ_
		.amdhsa_group_segment_fixed_size 0
		.amdhsa_private_segment_fixed_size 0
		.amdhsa_kernarg_size 184
		.amdhsa_user_sgpr_count 2
		.amdhsa_user_sgpr_dispatch_ptr 0
		.amdhsa_user_sgpr_queue_ptr 0
		.amdhsa_user_sgpr_kernarg_segment_ptr 1
		.amdhsa_user_sgpr_dispatch_id 0
		.amdhsa_user_sgpr_private_segment_size 0
		.amdhsa_wavefront_size32 1
		.amdhsa_uses_dynamic_stack 0
		.amdhsa_enable_private_segment 0
		.amdhsa_system_sgpr_workgroup_id_x 1
		.amdhsa_system_sgpr_workgroup_id_y 0
		.amdhsa_system_sgpr_workgroup_id_z 0
		.amdhsa_system_sgpr_workgroup_info 0
		.amdhsa_system_vgpr_workitem_id 0
		.amdhsa_next_free_vgpr 1
		.amdhsa_next_free_sgpr 1
		.amdhsa_reserve_vcc 0
		.amdhsa_float_round_mode_32 0
		.amdhsa_float_round_mode_16_64 0
		.amdhsa_float_denorm_mode_32 3
		.amdhsa_float_denorm_mode_16_64 3
		.amdhsa_fp16_overflow 0
		.amdhsa_workgroup_processor_mode 1
		.amdhsa_memory_ordered 1
		.amdhsa_forward_progress 1
		.amdhsa_inst_pref_size 0
		.amdhsa_round_robin_scheduling 0
		.amdhsa_exception_fp_ieee_invalid_op 0
		.amdhsa_exception_fp_denorm_src 0
		.amdhsa_exception_fp_ieee_div_zero 0
		.amdhsa_exception_fp_ieee_overflow 0
		.amdhsa_exception_fp_ieee_underflow 0
		.amdhsa_exception_fp_ieee_inexact 0
		.amdhsa_exception_int_div_zero 0
	.end_amdhsa_kernel
	.section	.text._ZN7rocprim17ROCPRIM_400000_NS6detail17trampoline_kernelINS0_13select_configILj256ELj13ELNS0_17block_load_methodE3ELS4_3ELS4_3ELNS0_20block_scan_algorithmE0ELj4294967295EEENS1_25partition_config_selectorILNS1_17partition_subalgoE4EjNS0_10empty_typeEbEEZZNS1_14partition_implILS8_4ELb0ES6_15HIP_vector_typeIjLj2EENS0_17counting_iteratorIjlEEPS9_SG_NS0_5tupleIJPjSI_NS0_16reverse_iteratorISI_EEEEENSH_IJSG_SG_SG_EEES9_SI_JZNS1_25segmented_radix_sort_implINS0_14default_configELb1EPKlPlSQ_SR_N2at6native12_GLOBAL__N_18offset_tEEE10hipError_tPvRmT1_PNSt15iterator_traitsISZ_E10value_typeET2_T3_PNS10_IS15_E10value_typeET4_jRbjT5_S1B_jjP12ihipStream_tbEUljE_ZNSN_ISO_Lb1ESQ_SR_SQ_SR_SV_EESW_SX_SY_SZ_S13_S14_S15_S18_S19_jS1A_jS1B_S1B_jjS1D_bEUljE0_EEESW_SX_SY_S15_S19_S1B_T6_T7_T9_mT8_S1D_bDpT10_ENKUlT_T0_E_clISt17integral_constantIbLb1EES1R_EEDaS1M_S1N_EUlS1M_E_NS1_11comp_targetILNS1_3genE9ELNS1_11target_archE1100ELNS1_3gpuE3ELNS1_3repE0EEENS1_30default_config_static_selectorELNS0_4arch9wavefront6targetE0EEEvSZ_,"axG",@progbits,_ZN7rocprim17ROCPRIM_400000_NS6detail17trampoline_kernelINS0_13select_configILj256ELj13ELNS0_17block_load_methodE3ELS4_3ELS4_3ELNS0_20block_scan_algorithmE0ELj4294967295EEENS1_25partition_config_selectorILNS1_17partition_subalgoE4EjNS0_10empty_typeEbEEZZNS1_14partition_implILS8_4ELb0ES6_15HIP_vector_typeIjLj2EENS0_17counting_iteratorIjlEEPS9_SG_NS0_5tupleIJPjSI_NS0_16reverse_iteratorISI_EEEEENSH_IJSG_SG_SG_EEES9_SI_JZNS1_25segmented_radix_sort_implINS0_14default_configELb1EPKlPlSQ_SR_N2at6native12_GLOBAL__N_18offset_tEEE10hipError_tPvRmT1_PNSt15iterator_traitsISZ_E10value_typeET2_T3_PNS10_IS15_E10value_typeET4_jRbjT5_S1B_jjP12ihipStream_tbEUljE_ZNSN_ISO_Lb1ESQ_SR_SQ_SR_SV_EESW_SX_SY_SZ_S13_S14_S15_S18_S19_jS1A_jS1B_S1B_jjS1D_bEUljE0_EEESW_SX_SY_S15_S19_S1B_T6_T7_T9_mT8_S1D_bDpT10_ENKUlT_T0_E_clISt17integral_constantIbLb1EES1R_EEDaS1M_S1N_EUlS1M_E_NS1_11comp_targetILNS1_3genE9ELNS1_11target_archE1100ELNS1_3gpuE3ELNS1_3repE0EEENS1_30default_config_static_selectorELNS0_4arch9wavefront6targetE0EEEvSZ_,comdat
.Lfunc_end654:
	.size	_ZN7rocprim17ROCPRIM_400000_NS6detail17trampoline_kernelINS0_13select_configILj256ELj13ELNS0_17block_load_methodE3ELS4_3ELS4_3ELNS0_20block_scan_algorithmE0ELj4294967295EEENS1_25partition_config_selectorILNS1_17partition_subalgoE4EjNS0_10empty_typeEbEEZZNS1_14partition_implILS8_4ELb0ES6_15HIP_vector_typeIjLj2EENS0_17counting_iteratorIjlEEPS9_SG_NS0_5tupleIJPjSI_NS0_16reverse_iteratorISI_EEEEENSH_IJSG_SG_SG_EEES9_SI_JZNS1_25segmented_radix_sort_implINS0_14default_configELb1EPKlPlSQ_SR_N2at6native12_GLOBAL__N_18offset_tEEE10hipError_tPvRmT1_PNSt15iterator_traitsISZ_E10value_typeET2_T3_PNS10_IS15_E10value_typeET4_jRbjT5_S1B_jjP12ihipStream_tbEUljE_ZNSN_ISO_Lb1ESQ_SR_SQ_SR_SV_EESW_SX_SY_SZ_S13_S14_S15_S18_S19_jS1A_jS1B_S1B_jjS1D_bEUljE0_EEESW_SX_SY_S15_S19_S1B_T6_T7_T9_mT8_S1D_bDpT10_ENKUlT_T0_E_clISt17integral_constantIbLb1EES1R_EEDaS1M_S1N_EUlS1M_E_NS1_11comp_targetILNS1_3genE9ELNS1_11target_archE1100ELNS1_3gpuE3ELNS1_3repE0EEENS1_30default_config_static_selectorELNS0_4arch9wavefront6targetE0EEEvSZ_, .Lfunc_end654-_ZN7rocprim17ROCPRIM_400000_NS6detail17trampoline_kernelINS0_13select_configILj256ELj13ELNS0_17block_load_methodE3ELS4_3ELS4_3ELNS0_20block_scan_algorithmE0ELj4294967295EEENS1_25partition_config_selectorILNS1_17partition_subalgoE4EjNS0_10empty_typeEbEEZZNS1_14partition_implILS8_4ELb0ES6_15HIP_vector_typeIjLj2EENS0_17counting_iteratorIjlEEPS9_SG_NS0_5tupleIJPjSI_NS0_16reverse_iteratorISI_EEEEENSH_IJSG_SG_SG_EEES9_SI_JZNS1_25segmented_radix_sort_implINS0_14default_configELb1EPKlPlSQ_SR_N2at6native12_GLOBAL__N_18offset_tEEE10hipError_tPvRmT1_PNSt15iterator_traitsISZ_E10value_typeET2_T3_PNS10_IS15_E10value_typeET4_jRbjT5_S1B_jjP12ihipStream_tbEUljE_ZNSN_ISO_Lb1ESQ_SR_SQ_SR_SV_EESW_SX_SY_SZ_S13_S14_S15_S18_S19_jS1A_jS1B_S1B_jjS1D_bEUljE0_EEESW_SX_SY_S15_S19_S1B_T6_T7_T9_mT8_S1D_bDpT10_ENKUlT_T0_E_clISt17integral_constantIbLb1EES1R_EEDaS1M_S1N_EUlS1M_E_NS1_11comp_targetILNS1_3genE9ELNS1_11target_archE1100ELNS1_3gpuE3ELNS1_3repE0EEENS1_30default_config_static_selectorELNS0_4arch9wavefront6targetE0EEEvSZ_
                                        ; -- End function
	.set _ZN7rocprim17ROCPRIM_400000_NS6detail17trampoline_kernelINS0_13select_configILj256ELj13ELNS0_17block_load_methodE3ELS4_3ELS4_3ELNS0_20block_scan_algorithmE0ELj4294967295EEENS1_25partition_config_selectorILNS1_17partition_subalgoE4EjNS0_10empty_typeEbEEZZNS1_14partition_implILS8_4ELb0ES6_15HIP_vector_typeIjLj2EENS0_17counting_iteratorIjlEEPS9_SG_NS0_5tupleIJPjSI_NS0_16reverse_iteratorISI_EEEEENSH_IJSG_SG_SG_EEES9_SI_JZNS1_25segmented_radix_sort_implINS0_14default_configELb1EPKlPlSQ_SR_N2at6native12_GLOBAL__N_18offset_tEEE10hipError_tPvRmT1_PNSt15iterator_traitsISZ_E10value_typeET2_T3_PNS10_IS15_E10value_typeET4_jRbjT5_S1B_jjP12ihipStream_tbEUljE_ZNSN_ISO_Lb1ESQ_SR_SQ_SR_SV_EESW_SX_SY_SZ_S13_S14_S15_S18_S19_jS1A_jS1B_S1B_jjS1D_bEUljE0_EEESW_SX_SY_S15_S19_S1B_T6_T7_T9_mT8_S1D_bDpT10_ENKUlT_T0_E_clISt17integral_constantIbLb1EES1R_EEDaS1M_S1N_EUlS1M_E_NS1_11comp_targetILNS1_3genE9ELNS1_11target_archE1100ELNS1_3gpuE3ELNS1_3repE0EEENS1_30default_config_static_selectorELNS0_4arch9wavefront6targetE0EEEvSZ_.num_vgpr, 0
	.set _ZN7rocprim17ROCPRIM_400000_NS6detail17trampoline_kernelINS0_13select_configILj256ELj13ELNS0_17block_load_methodE3ELS4_3ELS4_3ELNS0_20block_scan_algorithmE0ELj4294967295EEENS1_25partition_config_selectorILNS1_17partition_subalgoE4EjNS0_10empty_typeEbEEZZNS1_14partition_implILS8_4ELb0ES6_15HIP_vector_typeIjLj2EENS0_17counting_iteratorIjlEEPS9_SG_NS0_5tupleIJPjSI_NS0_16reverse_iteratorISI_EEEEENSH_IJSG_SG_SG_EEES9_SI_JZNS1_25segmented_radix_sort_implINS0_14default_configELb1EPKlPlSQ_SR_N2at6native12_GLOBAL__N_18offset_tEEE10hipError_tPvRmT1_PNSt15iterator_traitsISZ_E10value_typeET2_T3_PNS10_IS15_E10value_typeET4_jRbjT5_S1B_jjP12ihipStream_tbEUljE_ZNSN_ISO_Lb1ESQ_SR_SQ_SR_SV_EESW_SX_SY_SZ_S13_S14_S15_S18_S19_jS1A_jS1B_S1B_jjS1D_bEUljE0_EEESW_SX_SY_S15_S19_S1B_T6_T7_T9_mT8_S1D_bDpT10_ENKUlT_T0_E_clISt17integral_constantIbLb1EES1R_EEDaS1M_S1N_EUlS1M_E_NS1_11comp_targetILNS1_3genE9ELNS1_11target_archE1100ELNS1_3gpuE3ELNS1_3repE0EEENS1_30default_config_static_selectorELNS0_4arch9wavefront6targetE0EEEvSZ_.num_agpr, 0
	.set _ZN7rocprim17ROCPRIM_400000_NS6detail17trampoline_kernelINS0_13select_configILj256ELj13ELNS0_17block_load_methodE3ELS4_3ELS4_3ELNS0_20block_scan_algorithmE0ELj4294967295EEENS1_25partition_config_selectorILNS1_17partition_subalgoE4EjNS0_10empty_typeEbEEZZNS1_14partition_implILS8_4ELb0ES6_15HIP_vector_typeIjLj2EENS0_17counting_iteratorIjlEEPS9_SG_NS0_5tupleIJPjSI_NS0_16reverse_iteratorISI_EEEEENSH_IJSG_SG_SG_EEES9_SI_JZNS1_25segmented_radix_sort_implINS0_14default_configELb1EPKlPlSQ_SR_N2at6native12_GLOBAL__N_18offset_tEEE10hipError_tPvRmT1_PNSt15iterator_traitsISZ_E10value_typeET2_T3_PNS10_IS15_E10value_typeET4_jRbjT5_S1B_jjP12ihipStream_tbEUljE_ZNSN_ISO_Lb1ESQ_SR_SQ_SR_SV_EESW_SX_SY_SZ_S13_S14_S15_S18_S19_jS1A_jS1B_S1B_jjS1D_bEUljE0_EEESW_SX_SY_S15_S19_S1B_T6_T7_T9_mT8_S1D_bDpT10_ENKUlT_T0_E_clISt17integral_constantIbLb1EES1R_EEDaS1M_S1N_EUlS1M_E_NS1_11comp_targetILNS1_3genE9ELNS1_11target_archE1100ELNS1_3gpuE3ELNS1_3repE0EEENS1_30default_config_static_selectorELNS0_4arch9wavefront6targetE0EEEvSZ_.numbered_sgpr, 0
	.set _ZN7rocprim17ROCPRIM_400000_NS6detail17trampoline_kernelINS0_13select_configILj256ELj13ELNS0_17block_load_methodE3ELS4_3ELS4_3ELNS0_20block_scan_algorithmE0ELj4294967295EEENS1_25partition_config_selectorILNS1_17partition_subalgoE4EjNS0_10empty_typeEbEEZZNS1_14partition_implILS8_4ELb0ES6_15HIP_vector_typeIjLj2EENS0_17counting_iteratorIjlEEPS9_SG_NS0_5tupleIJPjSI_NS0_16reverse_iteratorISI_EEEEENSH_IJSG_SG_SG_EEES9_SI_JZNS1_25segmented_radix_sort_implINS0_14default_configELb1EPKlPlSQ_SR_N2at6native12_GLOBAL__N_18offset_tEEE10hipError_tPvRmT1_PNSt15iterator_traitsISZ_E10value_typeET2_T3_PNS10_IS15_E10value_typeET4_jRbjT5_S1B_jjP12ihipStream_tbEUljE_ZNSN_ISO_Lb1ESQ_SR_SQ_SR_SV_EESW_SX_SY_SZ_S13_S14_S15_S18_S19_jS1A_jS1B_S1B_jjS1D_bEUljE0_EEESW_SX_SY_S15_S19_S1B_T6_T7_T9_mT8_S1D_bDpT10_ENKUlT_T0_E_clISt17integral_constantIbLb1EES1R_EEDaS1M_S1N_EUlS1M_E_NS1_11comp_targetILNS1_3genE9ELNS1_11target_archE1100ELNS1_3gpuE3ELNS1_3repE0EEENS1_30default_config_static_selectorELNS0_4arch9wavefront6targetE0EEEvSZ_.num_named_barrier, 0
	.set _ZN7rocprim17ROCPRIM_400000_NS6detail17trampoline_kernelINS0_13select_configILj256ELj13ELNS0_17block_load_methodE3ELS4_3ELS4_3ELNS0_20block_scan_algorithmE0ELj4294967295EEENS1_25partition_config_selectorILNS1_17partition_subalgoE4EjNS0_10empty_typeEbEEZZNS1_14partition_implILS8_4ELb0ES6_15HIP_vector_typeIjLj2EENS0_17counting_iteratorIjlEEPS9_SG_NS0_5tupleIJPjSI_NS0_16reverse_iteratorISI_EEEEENSH_IJSG_SG_SG_EEES9_SI_JZNS1_25segmented_radix_sort_implINS0_14default_configELb1EPKlPlSQ_SR_N2at6native12_GLOBAL__N_18offset_tEEE10hipError_tPvRmT1_PNSt15iterator_traitsISZ_E10value_typeET2_T3_PNS10_IS15_E10value_typeET4_jRbjT5_S1B_jjP12ihipStream_tbEUljE_ZNSN_ISO_Lb1ESQ_SR_SQ_SR_SV_EESW_SX_SY_SZ_S13_S14_S15_S18_S19_jS1A_jS1B_S1B_jjS1D_bEUljE0_EEESW_SX_SY_S15_S19_S1B_T6_T7_T9_mT8_S1D_bDpT10_ENKUlT_T0_E_clISt17integral_constantIbLb1EES1R_EEDaS1M_S1N_EUlS1M_E_NS1_11comp_targetILNS1_3genE9ELNS1_11target_archE1100ELNS1_3gpuE3ELNS1_3repE0EEENS1_30default_config_static_selectorELNS0_4arch9wavefront6targetE0EEEvSZ_.private_seg_size, 0
	.set _ZN7rocprim17ROCPRIM_400000_NS6detail17trampoline_kernelINS0_13select_configILj256ELj13ELNS0_17block_load_methodE3ELS4_3ELS4_3ELNS0_20block_scan_algorithmE0ELj4294967295EEENS1_25partition_config_selectorILNS1_17partition_subalgoE4EjNS0_10empty_typeEbEEZZNS1_14partition_implILS8_4ELb0ES6_15HIP_vector_typeIjLj2EENS0_17counting_iteratorIjlEEPS9_SG_NS0_5tupleIJPjSI_NS0_16reverse_iteratorISI_EEEEENSH_IJSG_SG_SG_EEES9_SI_JZNS1_25segmented_radix_sort_implINS0_14default_configELb1EPKlPlSQ_SR_N2at6native12_GLOBAL__N_18offset_tEEE10hipError_tPvRmT1_PNSt15iterator_traitsISZ_E10value_typeET2_T3_PNS10_IS15_E10value_typeET4_jRbjT5_S1B_jjP12ihipStream_tbEUljE_ZNSN_ISO_Lb1ESQ_SR_SQ_SR_SV_EESW_SX_SY_SZ_S13_S14_S15_S18_S19_jS1A_jS1B_S1B_jjS1D_bEUljE0_EEESW_SX_SY_S15_S19_S1B_T6_T7_T9_mT8_S1D_bDpT10_ENKUlT_T0_E_clISt17integral_constantIbLb1EES1R_EEDaS1M_S1N_EUlS1M_E_NS1_11comp_targetILNS1_3genE9ELNS1_11target_archE1100ELNS1_3gpuE3ELNS1_3repE0EEENS1_30default_config_static_selectorELNS0_4arch9wavefront6targetE0EEEvSZ_.uses_vcc, 0
	.set _ZN7rocprim17ROCPRIM_400000_NS6detail17trampoline_kernelINS0_13select_configILj256ELj13ELNS0_17block_load_methodE3ELS4_3ELS4_3ELNS0_20block_scan_algorithmE0ELj4294967295EEENS1_25partition_config_selectorILNS1_17partition_subalgoE4EjNS0_10empty_typeEbEEZZNS1_14partition_implILS8_4ELb0ES6_15HIP_vector_typeIjLj2EENS0_17counting_iteratorIjlEEPS9_SG_NS0_5tupleIJPjSI_NS0_16reverse_iteratorISI_EEEEENSH_IJSG_SG_SG_EEES9_SI_JZNS1_25segmented_radix_sort_implINS0_14default_configELb1EPKlPlSQ_SR_N2at6native12_GLOBAL__N_18offset_tEEE10hipError_tPvRmT1_PNSt15iterator_traitsISZ_E10value_typeET2_T3_PNS10_IS15_E10value_typeET4_jRbjT5_S1B_jjP12ihipStream_tbEUljE_ZNSN_ISO_Lb1ESQ_SR_SQ_SR_SV_EESW_SX_SY_SZ_S13_S14_S15_S18_S19_jS1A_jS1B_S1B_jjS1D_bEUljE0_EEESW_SX_SY_S15_S19_S1B_T6_T7_T9_mT8_S1D_bDpT10_ENKUlT_T0_E_clISt17integral_constantIbLb1EES1R_EEDaS1M_S1N_EUlS1M_E_NS1_11comp_targetILNS1_3genE9ELNS1_11target_archE1100ELNS1_3gpuE3ELNS1_3repE0EEENS1_30default_config_static_selectorELNS0_4arch9wavefront6targetE0EEEvSZ_.uses_flat_scratch, 0
	.set _ZN7rocprim17ROCPRIM_400000_NS6detail17trampoline_kernelINS0_13select_configILj256ELj13ELNS0_17block_load_methodE3ELS4_3ELS4_3ELNS0_20block_scan_algorithmE0ELj4294967295EEENS1_25partition_config_selectorILNS1_17partition_subalgoE4EjNS0_10empty_typeEbEEZZNS1_14partition_implILS8_4ELb0ES6_15HIP_vector_typeIjLj2EENS0_17counting_iteratorIjlEEPS9_SG_NS0_5tupleIJPjSI_NS0_16reverse_iteratorISI_EEEEENSH_IJSG_SG_SG_EEES9_SI_JZNS1_25segmented_radix_sort_implINS0_14default_configELb1EPKlPlSQ_SR_N2at6native12_GLOBAL__N_18offset_tEEE10hipError_tPvRmT1_PNSt15iterator_traitsISZ_E10value_typeET2_T3_PNS10_IS15_E10value_typeET4_jRbjT5_S1B_jjP12ihipStream_tbEUljE_ZNSN_ISO_Lb1ESQ_SR_SQ_SR_SV_EESW_SX_SY_SZ_S13_S14_S15_S18_S19_jS1A_jS1B_S1B_jjS1D_bEUljE0_EEESW_SX_SY_S15_S19_S1B_T6_T7_T9_mT8_S1D_bDpT10_ENKUlT_T0_E_clISt17integral_constantIbLb1EES1R_EEDaS1M_S1N_EUlS1M_E_NS1_11comp_targetILNS1_3genE9ELNS1_11target_archE1100ELNS1_3gpuE3ELNS1_3repE0EEENS1_30default_config_static_selectorELNS0_4arch9wavefront6targetE0EEEvSZ_.has_dyn_sized_stack, 0
	.set _ZN7rocprim17ROCPRIM_400000_NS6detail17trampoline_kernelINS0_13select_configILj256ELj13ELNS0_17block_load_methodE3ELS4_3ELS4_3ELNS0_20block_scan_algorithmE0ELj4294967295EEENS1_25partition_config_selectorILNS1_17partition_subalgoE4EjNS0_10empty_typeEbEEZZNS1_14partition_implILS8_4ELb0ES6_15HIP_vector_typeIjLj2EENS0_17counting_iteratorIjlEEPS9_SG_NS0_5tupleIJPjSI_NS0_16reverse_iteratorISI_EEEEENSH_IJSG_SG_SG_EEES9_SI_JZNS1_25segmented_radix_sort_implINS0_14default_configELb1EPKlPlSQ_SR_N2at6native12_GLOBAL__N_18offset_tEEE10hipError_tPvRmT1_PNSt15iterator_traitsISZ_E10value_typeET2_T3_PNS10_IS15_E10value_typeET4_jRbjT5_S1B_jjP12ihipStream_tbEUljE_ZNSN_ISO_Lb1ESQ_SR_SQ_SR_SV_EESW_SX_SY_SZ_S13_S14_S15_S18_S19_jS1A_jS1B_S1B_jjS1D_bEUljE0_EEESW_SX_SY_S15_S19_S1B_T6_T7_T9_mT8_S1D_bDpT10_ENKUlT_T0_E_clISt17integral_constantIbLb1EES1R_EEDaS1M_S1N_EUlS1M_E_NS1_11comp_targetILNS1_3genE9ELNS1_11target_archE1100ELNS1_3gpuE3ELNS1_3repE0EEENS1_30default_config_static_selectorELNS0_4arch9wavefront6targetE0EEEvSZ_.has_recursion, 0
	.set _ZN7rocprim17ROCPRIM_400000_NS6detail17trampoline_kernelINS0_13select_configILj256ELj13ELNS0_17block_load_methodE3ELS4_3ELS4_3ELNS0_20block_scan_algorithmE0ELj4294967295EEENS1_25partition_config_selectorILNS1_17partition_subalgoE4EjNS0_10empty_typeEbEEZZNS1_14partition_implILS8_4ELb0ES6_15HIP_vector_typeIjLj2EENS0_17counting_iteratorIjlEEPS9_SG_NS0_5tupleIJPjSI_NS0_16reverse_iteratorISI_EEEEENSH_IJSG_SG_SG_EEES9_SI_JZNS1_25segmented_radix_sort_implINS0_14default_configELb1EPKlPlSQ_SR_N2at6native12_GLOBAL__N_18offset_tEEE10hipError_tPvRmT1_PNSt15iterator_traitsISZ_E10value_typeET2_T3_PNS10_IS15_E10value_typeET4_jRbjT5_S1B_jjP12ihipStream_tbEUljE_ZNSN_ISO_Lb1ESQ_SR_SQ_SR_SV_EESW_SX_SY_SZ_S13_S14_S15_S18_S19_jS1A_jS1B_S1B_jjS1D_bEUljE0_EEESW_SX_SY_S15_S19_S1B_T6_T7_T9_mT8_S1D_bDpT10_ENKUlT_T0_E_clISt17integral_constantIbLb1EES1R_EEDaS1M_S1N_EUlS1M_E_NS1_11comp_targetILNS1_3genE9ELNS1_11target_archE1100ELNS1_3gpuE3ELNS1_3repE0EEENS1_30default_config_static_selectorELNS0_4arch9wavefront6targetE0EEEvSZ_.has_indirect_call, 0
	.section	.AMDGPU.csdata,"",@progbits
; Kernel info:
; codeLenInByte = 0
; TotalNumSgprs: 0
; NumVgprs: 0
; ScratchSize: 0
; MemoryBound: 0
; FloatMode: 240
; IeeeMode: 1
; LDSByteSize: 0 bytes/workgroup (compile time only)
; SGPRBlocks: 0
; VGPRBlocks: 0
; NumSGPRsForWavesPerEU: 1
; NumVGPRsForWavesPerEU: 1
; Occupancy: 16
; WaveLimiterHint : 0
; COMPUTE_PGM_RSRC2:SCRATCH_EN: 0
; COMPUTE_PGM_RSRC2:USER_SGPR: 2
; COMPUTE_PGM_RSRC2:TRAP_HANDLER: 0
; COMPUTE_PGM_RSRC2:TGID_X_EN: 1
; COMPUTE_PGM_RSRC2:TGID_Y_EN: 0
; COMPUTE_PGM_RSRC2:TGID_Z_EN: 0
; COMPUTE_PGM_RSRC2:TIDIG_COMP_CNT: 0
	.section	.text._ZN7rocprim17ROCPRIM_400000_NS6detail17trampoline_kernelINS0_13select_configILj256ELj13ELNS0_17block_load_methodE3ELS4_3ELS4_3ELNS0_20block_scan_algorithmE0ELj4294967295EEENS1_25partition_config_selectorILNS1_17partition_subalgoE4EjNS0_10empty_typeEbEEZZNS1_14partition_implILS8_4ELb0ES6_15HIP_vector_typeIjLj2EENS0_17counting_iteratorIjlEEPS9_SG_NS0_5tupleIJPjSI_NS0_16reverse_iteratorISI_EEEEENSH_IJSG_SG_SG_EEES9_SI_JZNS1_25segmented_radix_sort_implINS0_14default_configELb1EPKlPlSQ_SR_N2at6native12_GLOBAL__N_18offset_tEEE10hipError_tPvRmT1_PNSt15iterator_traitsISZ_E10value_typeET2_T3_PNS10_IS15_E10value_typeET4_jRbjT5_S1B_jjP12ihipStream_tbEUljE_ZNSN_ISO_Lb1ESQ_SR_SQ_SR_SV_EESW_SX_SY_SZ_S13_S14_S15_S18_S19_jS1A_jS1B_S1B_jjS1D_bEUljE0_EEESW_SX_SY_S15_S19_S1B_T6_T7_T9_mT8_S1D_bDpT10_ENKUlT_T0_E_clISt17integral_constantIbLb1EES1R_EEDaS1M_S1N_EUlS1M_E_NS1_11comp_targetILNS1_3genE8ELNS1_11target_archE1030ELNS1_3gpuE2ELNS1_3repE0EEENS1_30default_config_static_selectorELNS0_4arch9wavefront6targetE0EEEvSZ_,"axG",@progbits,_ZN7rocprim17ROCPRIM_400000_NS6detail17trampoline_kernelINS0_13select_configILj256ELj13ELNS0_17block_load_methodE3ELS4_3ELS4_3ELNS0_20block_scan_algorithmE0ELj4294967295EEENS1_25partition_config_selectorILNS1_17partition_subalgoE4EjNS0_10empty_typeEbEEZZNS1_14partition_implILS8_4ELb0ES6_15HIP_vector_typeIjLj2EENS0_17counting_iteratorIjlEEPS9_SG_NS0_5tupleIJPjSI_NS0_16reverse_iteratorISI_EEEEENSH_IJSG_SG_SG_EEES9_SI_JZNS1_25segmented_radix_sort_implINS0_14default_configELb1EPKlPlSQ_SR_N2at6native12_GLOBAL__N_18offset_tEEE10hipError_tPvRmT1_PNSt15iterator_traitsISZ_E10value_typeET2_T3_PNS10_IS15_E10value_typeET4_jRbjT5_S1B_jjP12ihipStream_tbEUljE_ZNSN_ISO_Lb1ESQ_SR_SQ_SR_SV_EESW_SX_SY_SZ_S13_S14_S15_S18_S19_jS1A_jS1B_S1B_jjS1D_bEUljE0_EEESW_SX_SY_S15_S19_S1B_T6_T7_T9_mT8_S1D_bDpT10_ENKUlT_T0_E_clISt17integral_constantIbLb1EES1R_EEDaS1M_S1N_EUlS1M_E_NS1_11comp_targetILNS1_3genE8ELNS1_11target_archE1030ELNS1_3gpuE2ELNS1_3repE0EEENS1_30default_config_static_selectorELNS0_4arch9wavefront6targetE0EEEvSZ_,comdat
	.globl	_ZN7rocprim17ROCPRIM_400000_NS6detail17trampoline_kernelINS0_13select_configILj256ELj13ELNS0_17block_load_methodE3ELS4_3ELS4_3ELNS0_20block_scan_algorithmE0ELj4294967295EEENS1_25partition_config_selectorILNS1_17partition_subalgoE4EjNS0_10empty_typeEbEEZZNS1_14partition_implILS8_4ELb0ES6_15HIP_vector_typeIjLj2EENS0_17counting_iteratorIjlEEPS9_SG_NS0_5tupleIJPjSI_NS0_16reverse_iteratorISI_EEEEENSH_IJSG_SG_SG_EEES9_SI_JZNS1_25segmented_radix_sort_implINS0_14default_configELb1EPKlPlSQ_SR_N2at6native12_GLOBAL__N_18offset_tEEE10hipError_tPvRmT1_PNSt15iterator_traitsISZ_E10value_typeET2_T3_PNS10_IS15_E10value_typeET4_jRbjT5_S1B_jjP12ihipStream_tbEUljE_ZNSN_ISO_Lb1ESQ_SR_SQ_SR_SV_EESW_SX_SY_SZ_S13_S14_S15_S18_S19_jS1A_jS1B_S1B_jjS1D_bEUljE0_EEESW_SX_SY_S15_S19_S1B_T6_T7_T9_mT8_S1D_bDpT10_ENKUlT_T0_E_clISt17integral_constantIbLb1EES1R_EEDaS1M_S1N_EUlS1M_E_NS1_11comp_targetILNS1_3genE8ELNS1_11target_archE1030ELNS1_3gpuE2ELNS1_3repE0EEENS1_30default_config_static_selectorELNS0_4arch9wavefront6targetE0EEEvSZ_ ; -- Begin function _ZN7rocprim17ROCPRIM_400000_NS6detail17trampoline_kernelINS0_13select_configILj256ELj13ELNS0_17block_load_methodE3ELS4_3ELS4_3ELNS0_20block_scan_algorithmE0ELj4294967295EEENS1_25partition_config_selectorILNS1_17partition_subalgoE4EjNS0_10empty_typeEbEEZZNS1_14partition_implILS8_4ELb0ES6_15HIP_vector_typeIjLj2EENS0_17counting_iteratorIjlEEPS9_SG_NS0_5tupleIJPjSI_NS0_16reverse_iteratorISI_EEEEENSH_IJSG_SG_SG_EEES9_SI_JZNS1_25segmented_radix_sort_implINS0_14default_configELb1EPKlPlSQ_SR_N2at6native12_GLOBAL__N_18offset_tEEE10hipError_tPvRmT1_PNSt15iterator_traitsISZ_E10value_typeET2_T3_PNS10_IS15_E10value_typeET4_jRbjT5_S1B_jjP12ihipStream_tbEUljE_ZNSN_ISO_Lb1ESQ_SR_SQ_SR_SV_EESW_SX_SY_SZ_S13_S14_S15_S18_S19_jS1A_jS1B_S1B_jjS1D_bEUljE0_EEESW_SX_SY_S15_S19_S1B_T6_T7_T9_mT8_S1D_bDpT10_ENKUlT_T0_E_clISt17integral_constantIbLb1EES1R_EEDaS1M_S1N_EUlS1M_E_NS1_11comp_targetILNS1_3genE8ELNS1_11target_archE1030ELNS1_3gpuE2ELNS1_3repE0EEENS1_30default_config_static_selectorELNS0_4arch9wavefront6targetE0EEEvSZ_
	.p2align	8
	.type	_ZN7rocprim17ROCPRIM_400000_NS6detail17trampoline_kernelINS0_13select_configILj256ELj13ELNS0_17block_load_methodE3ELS4_3ELS4_3ELNS0_20block_scan_algorithmE0ELj4294967295EEENS1_25partition_config_selectorILNS1_17partition_subalgoE4EjNS0_10empty_typeEbEEZZNS1_14partition_implILS8_4ELb0ES6_15HIP_vector_typeIjLj2EENS0_17counting_iteratorIjlEEPS9_SG_NS0_5tupleIJPjSI_NS0_16reverse_iteratorISI_EEEEENSH_IJSG_SG_SG_EEES9_SI_JZNS1_25segmented_radix_sort_implINS0_14default_configELb1EPKlPlSQ_SR_N2at6native12_GLOBAL__N_18offset_tEEE10hipError_tPvRmT1_PNSt15iterator_traitsISZ_E10value_typeET2_T3_PNS10_IS15_E10value_typeET4_jRbjT5_S1B_jjP12ihipStream_tbEUljE_ZNSN_ISO_Lb1ESQ_SR_SQ_SR_SV_EESW_SX_SY_SZ_S13_S14_S15_S18_S19_jS1A_jS1B_S1B_jjS1D_bEUljE0_EEESW_SX_SY_S15_S19_S1B_T6_T7_T9_mT8_S1D_bDpT10_ENKUlT_T0_E_clISt17integral_constantIbLb1EES1R_EEDaS1M_S1N_EUlS1M_E_NS1_11comp_targetILNS1_3genE8ELNS1_11target_archE1030ELNS1_3gpuE2ELNS1_3repE0EEENS1_30default_config_static_selectorELNS0_4arch9wavefront6targetE0EEEvSZ_,@function
_ZN7rocprim17ROCPRIM_400000_NS6detail17trampoline_kernelINS0_13select_configILj256ELj13ELNS0_17block_load_methodE3ELS4_3ELS4_3ELNS0_20block_scan_algorithmE0ELj4294967295EEENS1_25partition_config_selectorILNS1_17partition_subalgoE4EjNS0_10empty_typeEbEEZZNS1_14partition_implILS8_4ELb0ES6_15HIP_vector_typeIjLj2EENS0_17counting_iteratorIjlEEPS9_SG_NS0_5tupleIJPjSI_NS0_16reverse_iteratorISI_EEEEENSH_IJSG_SG_SG_EEES9_SI_JZNS1_25segmented_radix_sort_implINS0_14default_configELb1EPKlPlSQ_SR_N2at6native12_GLOBAL__N_18offset_tEEE10hipError_tPvRmT1_PNSt15iterator_traitsISZ_E10value_typeET2_T3_PNS10_IS15_E10value_typeET4_jRbjT5_S1B_jjP12ihipStream_tbEUljE_ZNSN_ISO_Lb1ESQ_SR_SQ_SR_SV_EESW_SX_SY_SZ_S13_S14_S15_S18_S19_jS1A_jS1B_S1B_jjS1D_bEUljE0_EEESW_SX_SY_S15_S19_S1B_T6_T7_T9_mT8_S1D_bDpT10_ENKUlT_T0_E_clISt17integral_constantIbLb1EES1R_EEDaS1M_S1N_EUlS1M_E_NS1_11comp_targetILNS1_3genE8ELNS1_11target_archE1030ELNS1_3gpuE2ELNS1_3repE0EEENS1_30default_config_static_selectorELNS0_4arch9wavefront6targetE0EEEvSZ_: ; @_ZN7rocprim17ROCPRIM_400000_NS6detail17trampoline_kernelINS0_13select_configILj256ELj13ELNS0_17block_load_methodE3ELS4_3ELS4_3ELNS0_20block_scan_algorithmE0ELj4294967295EEENS1_25partition_config_selectorILNS1_17partition_subalgoE4EjNS0_10empty_typeEbEEZZNS1_14partition_implILS8_4ELb0ES6_15HIP_vector_typeIjLj2EENS0_17counting_iteratorIjlEEPS9_SG_NS0_5tupleIJPjSI_NS0_16reverse_iteratorISI_EEEEENSH_IJSG_SG_SG_EEES9_SI_JZNS1_25segmented_radix_sort_implINS0_14default_configELb1EPKlPlSQ_SR_N2at6native12_GLOBAL__N_18offset_tEEE10hipError_tPvRmT1_PNSt15iterator_traitsISZ_E10value_typeET2_T3_PNS10_IS15_E10value_typeET4_jRbjT5_S1B_jjP12ihipStream_tbEUljE_ZNSN_ISO_Lb1ESQ_SR_SQ_SR_SV_EESW_SX_SY_SZ_S13_S14_S15_S18_S19_jS1A_jS1B_S1B_jjS1D_bEUljE0_EEESW_SX_SY_S15_S19_S1B_T6_T7_T9_mT8_S1D_bDpT10_ENKUlT_T0_E_clISt17integral_constantIbLb1EES1R_EEDaS1M_S1N_EUlS1M_E_NS1_11comp_targetILNS1_3genE8ELNS1_11target_archE1030ELNS1_3gpuE2ELNS1_3repE0EEENS1_30default_config_static_selectorELNS0_4arch9wavefront6targetE0EEEvSZ_
; %bb.0:
	.section	.rodata,"a",@progbits
	.p2align	6, 0x0
	.amdhsa_kernel _ZN7rocprim17ROCPRIM_400000_NS6detail17trampoline_kernelINS0_13select_configILj256ELj13ELNS0_17block_load_methodE3ELS4_3ELS4_3ELNS0_20block_scan_algorithmE0ELj4294967295EEENS1_25partition_config_selectorILNS1_17partition_subalgoE4EjNS0_10empty_typeEbEEZZNS1_14partition_implILS8_4ELb0ES6_15HIP_vector_typeIjLj2EENS0_17counting_iteratorIjlEEPS9_SG_NS0_5tupleIJPjSI_NS0_16reverse_iteratorISI_EEEEENSH_IJSG_SG_SG_EEES9_SI_JZNS1_25segmented_radix_sort_implINS0_14default_configELb1EPKlPlSQ_SR_N2at6native12_GLOBAL__N_18offset_tEEE10hipError_tPvRmT1_PNSt15iterator_traitsISZ_E10value_typeET2_T3_PNS10_IS15_E10value_typeET4_jRbjT5_S1B_jjP12ihipStream_tbEUljE_ZNSN_ISO_Lb1ESQ_SR_SQ_SR_SV_EESW_SX_SY_SZ_S13_S14_S15_S18_S19_jS1A_jS1B_S1B_jjS1D_bEUljE0_EEESW_SX_SY_S15_S19_S1B_T6_T7_T9_mT8_S1D_bDpT10_ENKUlT_T0_E_clISt17integral_constantIbLb1EES1R_EEDaS1M_S1N_EUlS1M_E_NS1_11comp_targetILNS1_3genE8ELNS1_11target_archE1030ELNS1_3gpuE2ELNS1_3repE0EEENS1_30default_config_static_selectorELNS0_4arch9wavefront6targetE0EEEvSZ_
		.amdhsa_group_segment_fixed_size 0
		.amdhsa_private_segment_fixed_size 0
		.amdhsa_kernarg_size 184
		.amdhsa_user_sgpr_count 2
		.amdhsa_user_sgpr_dispatch_ptr 0
		.amdhsa_user_sgpr_queue_ptr 0
		.amdhsa_user_sgpr_kernarg_segment_ptr 1
		.amdhsa_user_sgpr_dispatch_id 0
		.amdhsa_user_sgpr_private_segment_size 0
		.amdhsa_wavefront_size32 1
		.amdhsa_uses_dynamic_stack 0
		.amdhsa_enable_private_segment 0
		.amdhsa_system_sgpr_workgroup_id_x 1
		.amdhsa_system_sgpr_workgroup_id_y 0
		.amdhsa_system_sgpr_workgroup_id_z 0
		.amdhsa_system_sgpr_workgroup_info 0
		.amdhsa_system_vgpr_workitem_id 0
		.amdhsa_next_free_vgpr 1
		.amdhsa_next_free_sgpr 1
		.amdhsa_reserve_vcc 0
		.amdhsa_float_round_mode_32 0
		.amdhsa_float_round_mode_16_64 0
		.amdhsa_float_denorm_mode_32 3
		.amdhsa_float_denorm_mode_16_64 3
		.amdhsa_fp16_overflow 0
		.amdhsa_workgroup_processor_mode 1
		.amdhsa_memory_ordered 1
		.amdhsa_forward_progress 1
		.amdhsa_inst_pref_size 0
		.amdhsa_round_robin_scheduling 0
		.amdhsa_exception_fp_ieee_invalid_op 0
		.amdhsa_exception_fp_denorm_src 0
		.amdhsa_exception_fp_ieee_div_zero 0
		.amdhsa_exception_fp_ieee_overflow 0
		.amdhsa_exception_fp_ieee_underflow 0
		.amdhsa_exception_fp_ieee_inexact 0
		.amdhsa_exception_int_div_zero 0
	.end_amdhsa_kernel
	.section	.text._ZN7rocprim17ROCPRIM_400000_NS6detail17trampoline_kernelINS0_13select_configILj256ELj13ELNS0_17block_load_methodE3ELS4_3ELS4_3ELNS0_20block_scan_algorithmE0ELj4294967295EEENS1_25partition_config_selectorILNS1_17partition_subalgoE4EjNS0_10empty_typeEbEEZZNS1_14partition_implILS8_4ELb0ES6_15HIP_vector_typeIjLj2EENS0_17counting_iteratorIjlEEPS9_SG_NS0_5tupleIJPjSI_NS0_16reverse_iteratorISI_EEEEENSH_IJSG_SG_SG_EEES9_SI_JZNS1_25segmented_radix_sort_implINS0_14default_configELb1EPKlPlSQ_SR_N2at6native12_GLOBAL__N_18offset_tEEE10hipError_tPvRmT1_PNSt15iterator_traitsISZ_E10value_typeET2_T3_PNS10_IS15_E10value_typeET4_jRbjT5_S1B_jjP12ihipStream_tbEUljE_ZNSN_ISO_Lb1ESQ_SR_SQ_SR_SV_EESW_SX_SY_SZ_S13_S14_S15_S18_S19_jS1A_jS1B_S1B_jjS1D_bEUljE0_EEESW_SX_SY_S15_S19_S1B_T6_T7_T9_mT8_S1D_bDpT10_ENKUlT_T0_E_clISt17integral_constantIbLb1EES1R_EEDaS1M_S1N_EUlS1M_E_NS1_11comp_targetILNS1_3genE8ELNS1_11target_archE1030ELNS1_3gpuE2ELNS1_3repE0EEENS1_30default_config_static_selectorELNS0_4arch9wavefront6targetE0EEEvSZ_,"axG",@progbits,_ZN7rocprim17ROCPRIM_400000_NS6detail17trampoline_kernelINS0_13select_configILj256ELj13ELNS0_17block_load_methodE3ELS4_3ELS4_3ELNS0_20block_scan_algorithmE0ELj4294967295EEENS1_25partition_config_selectorILNS1_17partition_subalgoE4EjNS0_10empty_typeEbEEZZNS1_14partition_implILS8_4ELb0ES6_15HIP_vector_typeIjLj2EENS0_17counting_iteratorIjlEEPS9_SG_NS0_5tupleIJPjSI_NS0_16reverse_iteratorISI_EEEEENSH_IJSG_SG_SG_EEES9_SI_JZNS1_25segmented_radix_sort_implINS0_14default_configELb1EPKlPlSQ_SR_N2at6native12_GLOBAL__N_18offset_tEEE10hipError_tPvRmT1_PNSt15iterator_traitsISZ_E10value_typeET2_T3_PNS10_IS15_E10value_typeET4_jRbjT5_S1B_jjP12ihipStream_tbEUljE_ZNSN_ISO_Lb1ESQ_SR_SQ_SR_SV_EESW_SX_SY_SZ_S13_S14_S15_S18_S19_jS1A_jS1B_S1B_jjS1D_bEUljE0_EEESW_SX_SY_S15_S19_S1B_T6_T7_T9_mT8_S1D_bDpT10_ENKUlT_T0_E_clISt17integral_constantIbLb1EES1R_EEDaS1M_S1N_EUlS1M_E_NS1_11comp_targetILNS1_3genE8ELNS1_11target_archE1030ELNS1_3gpuE2ELNS1_3repE0EEENS1_30default_config_static_selectorELNS0_4arch9wavefront6targetE0EEEvSZ_,comdat
.Lfunc_end655:
	.size	_ZN7rocprim17ROCPRIM_400000_NS6detail17trampoline_kernelINS0_13select_configILj256ELj13ELNS0_17block_load_methodE3ELS4_3ELS4_3ELNS0_20block_scan_algorithmE0ELj4294967295EEENS1_25partition_config_selectorILNS1_17partition_subalgoE4EjNS0_10empty_typeEbEEZZNS1_14partition_implILS8_4ELb0ES6_15HIP_vector_typeIjLj2EENS0_17counting_iteratorIjlEEPS9_SG_NS0_5tupleIJPjSI_NS0_16reverse_iteratorISI_EEEEENSH_IJSG_SG_SG_EEES9_SI_JZNS1_25segmented_radix_sort_implINS0_14default_configELb1EPKlPlSQ_SR_N2at6native12_GLOBAL__N_18offset_tEEE10hipError_tPvRmT1_PNSt15iterator_traitsISZ_E10value_typeET2_T3_PNS10_IS15_E10value_typeET4_jRbjT5_S1B_jjP12ihipStream_tbEUljE_ZNSN_ISO_Lb1ESQ_SR_SQ_SR_SV_EESW_SX_SY_SZ_S13_S14_S15_S18_S19_jS1A_jS1B_S1B_jjS1D_bEUljE0_EEESW_SX_SY_S15_S19_S1B_T6_T7_T9_mT8_S1D_bDpT10_ENKUlT_T0_E_clISt17integral_constantIbLb1EES1R_EEDaS1M_S1N_EUlS1M_E_NS1_11comp_targetILNS1_3genE8ELNS1_11target_archE1030ELNS1_3gpuE2ELNS1_3repE0EEENS1_30default_config_static_selectorELNS0_4arch9wavefront6targetE0EEEvSZ_, .Lfunc_end655-_ZN7rocprim17ROCPRIM_400000_NS6detail17trampoline_kernelINS0_13select_configILj256ELj13ELNS0_17block_load_methodE3ELS4_3ELS4_3ELNS0_20block_scan_algorithmE0ELj4294967295EEENS1_25partition_config_selectorILNS1_17partition_subalgoE4EjNS0_10empty_typeEbEEZZNS1_14partition_implILS8_4ELb0ES6_15HIP_vector_typeIjLj2EENS0_17counting_iteratorIjlEEPS9_SG_NS0_5tupleIJPjSI_NS0_16reverse_iteratorISI_EEEEENSH_IJSG_SG_SG_EEES9_SI_JZNS1_25segmented_radix_sort_implINS0_14default_configELb1EPKlPlSQ_SR_N2at6native12_GLOBAL__N_18offset_tEEE10hipError_tPvRmT1_PNSt15iterator_traitsISZ_E10value_typeET2_T3_PNS10_IS15_E10value_typeET4_jRbjT5_S1B_jjP12ihipStream_tbEUljE_ZNSN_ISO_Lb1ESQ_SR_SQ_SR_SV_EESW_SX_SY_SZ_S13_S14_S15_S18_S19_jS1A_jS1B_S1B_jjS1D_bEUljE0_EEESW_SX_SY_S15_S19_S1B_T6_T7_T9_mT8_S1D_bDpT10_ENKUlT_T0_E_clISt17integral_constantIbLb1EES1R_EEDaS1M_S1N_EUlS1M_E_NS1_11comp_targetILNS1_3genE8ELNS1_11target_archE1030ELNS1_3gpuE2ELNS1_3repE0EEENS1_30default_config_static_selectorELNS0_4arch9wavefront6targetE0EEEvSZ_
                                        ; -- End function
	.set _ZN7rocprim17ROCPRIM_400000_NS6detail17trampoline_kernelINS0_13select_configILj256ELj13ELNS0_17block_load_methodE3ELS4_3ELS4_3ELNS0_20block_scan_algorithmE0ELj4294967295EEENS1_25partition_config_selectorILNS1_17partition_subalgoE4EjNS0_10empty_typeEbEEZZNS1_14partition_implILS8_4ELb0ES6_15HIP_vector_typeIjLj2EENS0_17counting_iteratorIjlEEPS9_SG_NS0_5tupleIJPjSI_NS0_16reverse_iteratorISI_EEEEENSH_IJSG_SG_SG_EEES9_SI_JZNS1_25segmented_radix_sort_implINS0_14default_configELb1EPKlPlSQ_SR_N2at6native12_GLOBAL__N_18offset_tEEE10hipError_tPvRmT1_PNSt15iterator_traitsISZ_E10value_typeET2_T3_PNS10_IS15_E10value_typeET4_jRbjT5_S1B_jjP12ihipStream_tbEUljE_ZNSN_ISO_Lb1ESQ_SR_SQ_SR_SV_EESW_SX_SY_SZ_S13_S14_S15_S18_S19_jS1A_jS1B_S1B_jjS1D_bEUljE0_EEESW_SX_SY_S15_S19_S1B_T6_T7_T9_mT8_S1D_bDpT10_ENKUlT_T0_E_clISt17integral_constantIbLb1EES1R_EEDaS1M_S1N_EUlS1M_E_NS1_11comp_targetILNS1_3genE8ELNS1_11target_archE1030ELNS1_3gpuE2ELNS1_3repE0EEENS1_30default_config_static_selectorELNS0_4arch9wavefront6targetE0EEEvSZ_.num_vgpr, 0
	.set _ZN7rocprim17ROCPRIM_400000_NS6detail17trampoline_kernelINS0_13select_configILj256ELj13ELNS0_17block_load_methodE3ELS4_3ELS4_3ELNS0_20block_scan_algorithmE0ELj4294967295EEENS1_25partition_config_selectorILNS1_17partition_subalgoE4EjNS0_10empty_typeEbEEZZNS1_14partition_implILS8_4ELb0ES6_15HIP_vector_typeIjLj2EENS0_17counting_iteratorIjlEEPS9_SG_NS0_5tupleIJPjSI_NS0_16reverse_iteratorISI_EEEEENSH_IJSG_SG_SG_EEES9_SI_JZNS1_25segmented_radix_sort_implINS0_14default_configELb1EPKlPlSQ_SR_N2at6native12_GLOBAL__N_18offset_tEEE10hipError_tPvRmT1_PNSt15iterator_traitsISZ_E10value_typeET2_T3_PNS10_IS15_E10value_typeET4_jRbjT5_S1B_jjP12ihipStream_tbEUljE_ZNSN_ISO_Lb1ESQ_SR_SQ_SR_SV_EESW_SX_SY_SZ_S13_S14_S15_S18_S19_jS1A_jS1B_S1B_jjS1D_bEUljE0_EEESW_SX_SY_S15_S19_S1B_T6_T7_T9_mT8_S1D_bDpT10_ENKUlT_T0_E_clISt17integral_constantIbLb1EES1R_EEDaS1M_S1N_EUlS1M_E_NS1_11comp_targetILNS1_3genE8ELNS1_11target_archE1030ELNS1_3gpuE2ELNS1_3repE0EEENS1_30default_config_static_selectorELNS0_4arch9wavefront6targetE0EEEvSZ_.num_agpr, 0
	.set _ZN7rocprim17ROCPRIM_400000_NS6detail17trampoline_kernelINS0_13select_configILj256ELj13ELNS0_17block_load_methodE3ELS4_3ELS4_3ELNS0_20block_scan_algorithmE0ELj4294967295EEENS1_25partition_config_selectorILNS1_17partition_subalgoE4EjNS0_10empty_typeEbEEZZNS1_14partition_implILS8_4ELb0ES6_15HIP_vector_typeIjLj2EENS0_17counting_iteratorIjlEEPS9_SG_NS0_5tupleIJPjSI_NS0_16reverse_iteratorISI_EEEEENSH_IJSG_SG_SG_EEES9_SI_JZNS1_25segmented_radix_sort_implINS0_14default_configELb1EPKlPlSQ_SR_N2at6native12_GLOBAL__N_18offset_tEEE10hipError_tPvRmT1_PNSt15iterator_traitsISZ_E10value_typeET2_T3_PNS10_IS15_E10value_typeET4_jRbjT5_S1B_jjP12ihipStream_tbEUljE_ZNSN_ISO_Lb1ESQ_SR_SQ_SR_SV_EESW_SX_SY_SZ_S13_S14_S15_S18_S19_jS1A_jS1B_S1B_jjS1D_bEUljE0_EEESW_SX_SY_S15_S19_S1B_T6_T7_T9_mT8_S1D_bDpT10_ENKUlT_T0_E_clISt17integral_constantIbLb1EES1R_EEDaS1M_S1N_EUlS1M_E_NS1_11comp_targetILNS1_3genE8ELNS1_11target_archE1030ELNS1_3gpuE2ELNS1_3repE0EEENS1_30default_config_static_selectorELNS0_4arch9wavefront6targetE0EEEvSZ_.numbered_sgpr, 0
	.set _ZN7rocprim17ROCPRIM_400000_NS6detail17trampoline_kernelINS0_13select_configILj256ELj13ELNS0_17block_load_methodE3ELS4_3ELS4_3ELNS0_20block_scan_algorithmE0ELj4294967295EEENS1_25partition_config_selectorILNS1_17partition_subalgoE4EjNS0_10empty_typeEbEEZZNS1_14partition_implILS8_4ELb0ES6_15HIP_vector_typeIjLj2EENS0_17counting_iteratorIjlEEPS9_SG_NS0_5tupleIJPjSI_NS0_16reverse_iteratorISI_EEEEENSH_IJSG_SG_SG_EEES9_SI_JZNS1_25segmented_radix_sort_implINS0_14default_configELb1EPKlPlSQ_SR_N2at6native12_GLOBAL__N_18offset_tEEE10hipError_tPvRmT1_PNSt15iterator_traitsISZ_E10value_typeET2_T3_PNS10_IS15_E10value_typeET4_jRbjT5_S1B_jjP12ihipStream_tbEUljE_ZNSN_ISO_Lb1ESQ_SR_SQ_SR_SV_EESW_SX_SY_SZ_S13_S14_S15_S18_S19_jS1A_jS1B_S1B_jjS1D_bEUljE0_EEESW_SX_SY_S15_S19_S1B_T6_T7_T9_mT8_S1D_bDpT10_ENKUlT_T0_E_clISt17integral_constantIbLb1EES1R_EEDaS1M_S1N_EUlS1M_E_NS1_11comp_targetILNS1_3genE8ELNS1_11target_archE1030ELNS1_3gpuE2ELNS1_3repE0EEENS1_30default_config_static_selectorELNS0_4arch9wavefront6targetE0EEEvSZ_.num_named_barrier, 0
	.set _ZN7rocprim17ROCPRIM_400000_NS6detail17trampoline_kernelINS0_13select_configILj256ELj13ELNS0_17block_load_methodE3ELS4_3ELS4_3ELNS0_20block_scan_algorithmE0ELj4294967295EEENS1_25partition_config_selectorILNS1_17partition_subalgoE4EjNS0_10empty_typeEbEEZZNS1_14partition_implILS8_4ELb0ES6_15HIP_vector_typeIjLj2EENS0_17counting_iteratorIjlEEPS9_SG_NS0_5tupleIJPjSI_NS0_16reverse_iteratorISI_EEEEENSH_IJSG_SG_SG_EEES9_SI_JZNS1_25segmented_radix_sort_implINS0_14default_configELb1EPKlPlSQ_SR_N2at6native12_GLOBAL__N_18offset_tEEE10hipError_tPvRmT1_PNSt15iterator_traitsISZ_E10value_typeET2_T3_PNS10_IS15_E10value_typeET4_jRbjT5_S1B_jjP12ihipStream_tbEUljE_ZNSN_ISO_Lb1ESQ_SR_SQ_SR_SV_EESW_SX_SY_SZ_S13_S14_S15_S18_S19_jS1A_jS1B_S1B_jjS1D_bEUljE0_EEESW_SX_SY_S15_S19_S1B_T6_T7_T9_mT8_S1D_bDpT10_ENKUlT_T0_E_clISt17integral_constantIbLb1EES1R_EEDaS1M_S1N_EUlS1M_E_NS1_11comp_targetILNS1_3genE8ELNS1_11target_archE1030ELNS1_3gpuE2ELNS1_3repE0EEENS1_30default_config_static_selectorELNS0_4arch9wavefront6targetE0EEEvSZ_.private_seg_size, 0
	.set _ZN7rocprim17ROCPRIM_400000_NS6detail17trampoline_kernelINS0_13select_configILj256ELj13ELNS0_17block_load_methodE3ELS4_3ELS4_3ELNS0_20block_scan_algorithmE0ELj4294967295EEENS1_25partition_config_selectorILNS1_17partition_subalgoE4EjNS0_10empty_typeEbEEZZNS1_14partition_implILS8_4ELb0ES6_15HIP_vector_typeIjLj2EENS0_17counting_iteratorIjlEEPS9_SG_NS0_5tupleIJPjSI_NS0_16reverse_iteratorISI_EEEEENSH_IJSG_SG_SG_EEES9_SI_JZNS1_25segmented_radix_sort_implINS0_14default_configELb1EPKlPlSQ_SR_N2at6native12_GLOBAL__N_18offset_tEEE10hipError_tPvRmT1_PNSt15iterator_traitsISZ_E10value_typeET2_T3_PNS10_IS15_E10value_typeET4_jRbjT5_S1B_jjP12ihipStream_tbEUljE_ZNSN_ISO_Lb1ESQ_SR_SQ_SR_SV_EESW_SX_SY_SZ_S13_S14_S15_S18_S19_jS1A_jS1B_S1B_jjS1D_bEUljE0_EEESW_SX_SY_S15_S19_S1B_T6_T7_T9_mT8_S1D_bDpT10_ENKUlT_T0_E_clISt17integral_constantIbLb1EES1R_EEDaS1M_S1N_EUlS1M_E_NS1_11comp_targetILNS1_3genE8ELNS1_11target_archE1030ELNS1_3gpuE2ELNS1_3repE0EEENS1_30default_config_static_selectorELNS0_4arch9wavefront6targetE0EEEvSZ_.uses_vcc, 0
	.set _ZN7rocprim17ROCPRIM_400000_NS6detail17trampoline_kernelINS0_13select_configILj256ELj13ELNS0_17block_load_methodE3ELS4_3ELS4_3ELNS0_20block_scan_algorithmE0ELj4294967295EEENS1_25partition_config_selectorILNS1_17partition_subalgoE4EjNS0_10empty_typeEbEEZZNS1_14partition_implILS8_4ELb0ES6_15HIP_vector_typeIjLj2EENS0_17counting_iteratorIjlEEPS9_SG_NS0_5tupleIJPjSI_NS0_16reverse_iteratorISI_EEEEENSH_IJSG_SG_SG_EEES9_SI_JZNS1_25segmented_radix_sort_implINS0_14default_configELb1EPKlPlSQ_SR_N2at6native12_GLOBAL__N_18offset_tEEE10hipError_tPvRmT1_PNSt15iterator_traitsISZ_E10value_typeET2_T3_PNS10_IS15_E10value_typeET4_jRbjT5_S1B_jjP12ihipStream_tbEUljE_ZNSN_ISO_Lb1ESQ_SR_SQ_SR_SV_EESW_SX_SY_SZ_S13_S14_S15_S18_S19_jS1A_jS1B_S1B_jjS1D_bEUljE0_EEESW_SX_SY_S15_S19_S1B_T6_T7_T9_mT8_S1D_bDpT10_ENKUlT_T0_E_clISt17integral_constantIbLb1EES1R_EEDaS1M_S1N_EUlS1M_E_NS1_11comp_targetILNS1_3genE8ELNS1_11target_archE1030ELNS1_3gpuE2ELNS1_3repE0EEENS1_30default_config_static_selectorELNS0_4arch9wavefront6targetE0EEEvSZ_.uses_flat_scratch, 0
	.set _ZN7rocprim17ROCPRIM_400000_NS6detail17trampoline_kernelINS0_13select_configILj256ELj13ELNS0_17block_load_methodE3ELS4_3ELS4_3ELNS0_20block_scan_algorithmE0ELj4294967295EEENS1_25partition_config_selectorILNS1_17partition_subalgoE4EjNS0_10empty_typeEbEEZZNS1_14partition_implILS8_4ELb0ES6_15HIP_vector_typeIjLj2EENS0_17counting_iteratorIjlEEPS9_SG_NS0_5tupleIJPjSI_NS0_16reverse_iteratorISI_EEEEENSH_IJSG_SG_SG_EEES9_SI_JZNS1_25segmented_radix_sort_implINS0_14default_configELb1EPKlPlSQ_SR_N2at6native12_GLOBAL__N_18offset_tEEE10hipError_tPvRmT1_PNSt15iterator_traitsISZ_E10value_typeET2_T3_PNS10_IS15_E10value_typeET4_jRbjT5_S1B_jjP12ihipStream_tbEUljE_ZNSN_ISO_Lb1ESQ_SR_SQ_SR_SV_EESW_SX_SY_SZ_S13_S14_S15_S18_S19_jS1A_jS1B_S1B_jjS1D_bEUljE0_EEESW_SX_SY_S15_S19_S1B_T6_T7_T9_mT8_S1D_bDpT10_ENKUlT_T0_E_clISt17integral_constantIbLb1EES1R_EEDaS1M_S1N_EUlS1M_E_NS1_11comp_targetILNS1_3genE8ELNS1_11target_archE1030ELNS1_3gpuE2ELNS1_3repE0EEENS1_30default_config_static_selectorELNS0_4arch9wavefront6targetE0EEEvSZ_.has_dyn_sized_stack, 0
	.set _ZN7rocprim17ROCPRIM_400000_NS6detail17trampoline_kernelINS0_13select_configILj256ELj13ELNS0_17block_load_methodE3ELS4_3ELS4_3ELNS0_20block_scan_algorithmE0ELj4294967295EEENS1_25partition_config_selectorILNS1_17partition_subalgoE4EjNS0_10empty_typeEbEEZZNS1_14partition_implILS8_4ELb0ES6_15HIP_vector_typeIjLj2EENS0_17counting_iteratorIjlEEPS9_SG_NS0_5tupleIJPjSI_NS0_16reverse_iteratorISI_EEEEENSH_IJSG_SG_SG_EEES9_SI_JZNS1_25segmented_radix_sort_implINS0_14default_configELb1EPKlPlSQ_SR_N2at6native12_GLOBAL__N_18offset_tEEE10hipError_tPvRmT1_PNSt15iterator_traitsISZ_E10value_typeET2_T3_PNS10_IS15_E10value_typeET4_jRbjT5_S1B_jjP12ihipStream_tbEUljE_ZNSN_ISO_Lb1ESQ_SR_SQ_SR_SV_EESW_SX_SY_SZ_S13_S14_S15_S18_S19_jS1A_jS1B_S1B_jjS1D_bEUljE0_EEESW_SX_SY_S15_S19_S1B_T6_T7_T9_mT8_S1D_bDpT10_ENKUlT_T0_E_clISt17integral_constantIbLb1EES1R_EEDaS1M_S1N_EUlS1M_E_NS1_11comp_targetILNS1_3genE8ELNS1_11target_archE1030ELNS1_3gpuE2ELNS1_3repE0EEENS1_30default_config_static_selectorELNS0_4arch9wavefront6targetE0EEEvSZ_.has_recursion, 0
	.set _ZN7rocprim17ROCPRIM_400000_NS6detail17trampoline_kernelINS0_13select_configILj256ELj13ELNS0_17block_load_methodE3ELS4_3ELS4_3ELNS0_20block_scan_algorithmE0ELj4294967295EEENS1_25partition_config_selectorILNS1_17partition_subalgoE4EjNS0_10empty_typeEbEEZZNS1_14partition_implILS8_4ELb0ES6_15HIP_vector_typeIjLj2EENS0_17counting_iteratorIjlEEPS9_SG_NS0_5tupleIJPjSI_NS0_16reverse_iteratorISI_EEEEENSH_IJSG_SG_SG_EEES9_SI_JZNS1_25segmented_radix_sort_implINS0_14default_configELb1EPKlPlSQ_SR_N2at6native12_GLOBAL__N_18offset_tEEE10hipError_tPvRmT1_PNSt15iterator_traitsISZ_E10value_typeET2_T3_PNS10_IS15_E10value_typeET4_jRbjT5_S1B_jjP12ihipStream_tbEUljE_ZNSN_ISO_Lb1ESQ_SR_SQ_SR_SV_EESW_SX_SY_SZ_S13_S14_S15_S18_S19_jS1A_jS1B_S1B_jjS1D_bEUljE0_EEESW_SX_SY_S15_S19_S1B_T6_T7_T9_mT8_S1D_bDpT10_ENKUlT_T0_E_clISt17integral_constantIbLb1EES1R_EEDaS1M_S1N_EUlS1M_E_NS1_11comp_targetILNS1_3genE8ELNS1_11target_archE1030ELNS1_3gpuE2ELNS1_3repE0EEENS1_30default_config_static_selectorELNS0_4arch9wavefront6targetE0EEEvSZ_.has_indirect_call, 0
	.section	.AMDGPU.csdata,"",@progbits
; Kernel info:
; codeLenInByte = 0
; TotalNumSgprs: 0
; NumVgprs: 0
; ScratchSize: 0
; MemoryBound: 0
; FloatMode: 240
; IeeeMode: 1
; LDSByteSize: 0 bytes/workgroup (compile time only)
; SGPRBlocks: 0
; VGPRBlocks: 0
; NumSGPRsForWavesPerEU: 1
; NumVGPRsForWavesPerEU: 1
; Occupancy: 16
; WaveLimiterHint : 0
; COMPUTE_PGM_RSRC2:SCRATCH_EN: 0
; COMPUTE_PGM_RSRC2:USER_SGPR: 2
; COMPUTE_PGM_RSRC2:TRAP_HANDLER: 0
; COMPUTE_PGM_RSRC2:TGID_X_EN: 1
; COMPUTE_PGM_RSRC2:TGID_Y_EN: 0
; COMPUTE_PGM_RSRC2:TGID_Z_EN: 0
; COMPUTE_PGM_RSRC2:TIDIG_COMP_CNT: 0
	.section	.text._ZN7rocprim17ROCPRIM_400000_NS6detail17trampoline_kernelINS0_13select_configILj256ELj13ELNS0_17block_load_methodE3ELS4_3ELS4_3ELNS0_20block_scan_algorithmE0ELj4294967295EEENS1_25partition_config_selectorILNS1_17partition_subalgoE4EjNS0_10empty_typeEbEEZZNS1_14partition_implILS8_4ELb0ES6_15HIP_vector_typeIjLj2EENS0_17counting_iteratorIjlEEPS9_SG_NS0_5tupleIJPjSI_NS0_16reverse_iteratorISI_EEEEENSH_IJSG_SG_SG_EEES9_SI_JZNS1_25segmented_radix_sort_implINS0_14default_configELb1EPKlPlSQ_SR_N2at6native12_GLOBAL__N_18offset_tEEE10hipError_tPvRmT1_PNSt15iterator_traitsISZ_E10value_typeET2_T3_PNS10_IS15_E10value_typeET4_jRbjT5_S1B_jjP12ihipStream_tbEUljE_ZNSN_ISO_Lb1ESQ_SR_SQ_SR_SV_EESW_SX_SY_SZ_S13_S14_S15_S18_S19_jS1A_jS1B_S1B_jjS1D_bEUljE0_EEESW_SX_SY_S15_S19_S1B_T6_T7_T9_mT8_S1D_bDpT10_ENKUlT_T0_E_clISt17integral_constantIbLb1EES1Q_IbLb0EEEEDaS1M_S1N_EUlS1M_E_NS1_11comp_targetILNS1_3genE0ELNS1_11target_archE4294967295ELNS1_3gpuE0ELNS1_3repE0EEENS1_30default_config_static_selectorELNS0_4arch9wavefront6targetE0EEEvSZ_,"axG",@progbits,_ZN7rocprim17ROCPRIM_400000_NS6detail17trampoline_kernelINS0_13select_configILj256ELj13ELNS0_17block_load_methodE3ELS4_3ELS4_3ELNS0_20block_scan_algorithmE0ELj4294967295EEENS1_25partition_config_selectorILNS1_17partition_subalgoE4EjNS0_10empty_typeEbEEZZNS1_14partition_implILS8_4ELb0ES6_15HIP_vector_typeIjLj2EENS0_17counting_iteratorIjlEEPS9_SG_NS0_5tupleIJPjSI_NS0_16reverse_iteratorISI_EEEEENSH_IJSG_SG_SG_EEES9_SI_JZNS1_25segmented_radix_sort_implINS0_14default_configELb1EPKlPlSQ_SR_N2at6native12_GLOBAL__N_18offset_tEEE10hipError_tPvRmT1_PNSt15iterator_traitsISZ_E10value_typeET2_T3_PNS10_IS15_E10value_typeET4_jRbjT5_S1B_jjP12ihipStream_tbEUljE_ZNSN_ISO_Lb1ESQ_SR_SQ_SR_SV_EESW_SX_SY_SZ_S13_S14_S15_S18_S19_jS1A_jS1B_S1B_jjS1D_bEUljE0_EEESW_SX_SY_S15_S19_S1B_T6_T7_T9_mT8_S1D_bDpT10_ENKUlT_T0_E_clISt17integral_constantIbLb1EES1Q_IbLb0EEEEDaS1M_S1N_EUlS1M_E_NS1_11comp_targetILNS1_3genE0ELNS1_11target_archE4294967295ELNS1_3gpuE0ELNS1_3repE0EEENS1_30default_config_static_selectorELNS0_4arch9wavefront6targetE0EEEvSZ_,comdat
	.globl	_ZN7rocprim17ROCPRIM_400000_NS6detail17trampoline_kernelINS0_13select_configILj256ELj13ELNS0_17block_load_methodE3ELS4_3ELS4_3ELNS0_20block_scan_algorithmE0ELj4294967295EEENS1_25partition_config_selectorILNS1_17partition_subalgoE4EjNS0_10empty_typeEbEEZZNS1_14partition_implILS8_4ELb0ES6_15HIP_vector_typeIjLj2EENS0_17counting_iteratorIjlEEPS9_SG_NS0_5tupleIJPjSI_NS0_16reverse_iteratorISI_EEEEENSH_IJSG_SG_SG_EEES9_SI_JZNS1_25segmented_radix_sort_implINS0_14default_configELb1EPKlPlSQ_SR_N2at6native12_GLOBAL__N_18offset_tEEE10hipError_tPvRmT1_PNSt15iterator_traitsISZ_E10value_typeET2_T3_PNS10_IS15_E10value_typeET4_jRbjT5_S1B_jjP12ihipStream_tbEUljE_ZNSN_ISO_Lb1ESQ_SR_SQ_SR_SV_EESW_SX_SY_SZ_S13_S14_S15_S18_S19_jS1A_jS1B_S1B_jjS1D_bEUljE0_EEESW_SX_SY_S15_S19_S1B_T6_T7_T9_mT8_S1D_bDpT10_ENKUlT_T0_E_clISt17integral_constantIbLb1EES1Q_IbLb0EEEEDaS1M_S1N_EUlS1M_E_NS1_11comp_targetILNS1_3genE0ELNS1_11target_archE4294967295ELNS1_3gpuE0ELNS1_3repE0EEENS1_30default_config_static_selectorELNS0_4arch9wavefront6targetE0EEEvSZ_ ; -- Begin function _ZN7rocprim17ROCPRIM_400000_NS6detail17trampoline_kernelINS0_13select_configILj256ELj13ELNS0_17block_load_methodE3ELS4_3ELS4_3ELNS0_20block_scan_algorithmE0ELj4294967295EEENS1_25partition_config_selectorILNS1_17partition_subalgoE4EjNS0_10empty_typeEbEEZZNS1_14partition_implILS8_4ELb0ES6_15HIP_vector_typeIjLj2EENS0_17counting_iteratorIjlEEPS9_SG_NS0_5tupleIJPjSI_NS0_16reverse_iteratorISI_EEEEENSH_IJSG_SG_SG_EEES9_SI_JZNS1_25segmented_radix_sort_implINS0_14default_configELb1EPKlPlSQ_SR_N2at6native12_GLOBAL__N_18offset_tEEE10hipError_tPvRmT1_PNSt15iterator_traitsISZ_E10value_typeET2_T3_PNS10_IS15_E10value_typeET4_jRbjT5_S1B_jjP12ihipStream_tbEUljE_ZNSN_ISO_Lb1ESQ_SR_SQ_SR_SV_EESW_SX_SY_SZ_S13_S14_S15_S18_S19_jS1A_jS1B_S1B_jjS1D_bEUljE0_EEESW_SX_SY_S15_S19_S1B_T6_T7_T9_mT8_S1D_bDpT10_ENKUlT_T0_E_clISt17integral_constantIbLb1EES1Q_IbLb0EEEEDaS1M_S1N_EUlS1M_E_NS1_11comp_targetILNS1_3genE0ELNS1_11target_archE4294967295ELNS1_3gpuE0ELNS1_3repE0EEENS1_30default_config_static_selectorELNS0_4arch9wavefront6targetE0EEEvSZ_
	.p2align	8
	.type	_ZN7rocprim17ROCPRIM_400000_NS6detail17trampoline_kernelINS0_13select_configILj256ELj13ELNS0_17block_load_methodE3ELS4_3ELS4_3ELNS0_20block_scan_algorithmE0ELj4294967295EEENS1_25partition_config_selectorILNS1_17partition_subalgoE4EjNS0_10empty_typeEbEEZZNS1_14partition_implILS8_4ELb0ES6_15HIP_vector_typeIjLj2EENS0_17counting_iteratorIjlEEPS9_SG_NS0_5tupleIJPjSI_NS0_16reverse_iteratorISI_EEEEENSH_IJSG_SG_SG_EEES9_SI_JZNS1_25segmented_radix_sort_implINS0_14default_configELb1EPKlPlSQ_SR_N2at6native12_GLOBAL__N_18offset_tEEE10hipError_tPvRmT1_PNSt15iterator_traitsISZ_E10value_typeET2_T3_PNS10_IS15_E10value_typeET4_jRbjT5_S1B_jjP12ihipStream_tbEUljE_ZNSN_ISO_Lb1ESQ_SR_SQ_SR_SV_EESW_SX_SY_SZ_S13_S14_S15_S18_S19_jS1A_jS1B_S1B_jjS1D_bEUljE0_EEESW_SX_SY_S15_S19_S1B_T6_T7_T9_mT8_S1D_bDpT10_ENKUlT_T0_E_clISt17integral_constantIbLb1EES1Q_IbLb0EEEEDaS1M_S1N_EUlS1M_E_NS1_11comp_targetILNS1_3genE0ELNS1_11target_archE4294967295ELNS1_3gpuE0ELNS1_3repE0EEENS1_30default_config_static_selectorELNS0_4arch9wavefront6targetE0EEEvSZ_,@function
_ZN7rocprim17ROCPRIM_400000_NS6detail17trampoline_kernelINS0_13select_configILj256ELj13ELNS0_17block_load_methodE3ELS4_3ELS4_3ELNS0_20block_scan_algorithmE0ELj4294967295EEENS1_25partition_config_selectorILNS1_17partition_subalgoE4EjNS0_10empty_typeEbEEZZNS1_14partition_implILS8_4ELb0ES6_15HIP_vector_typeIjLj2EENS0_17counting_iteratorIjlEEPS9_SG_NS0_5tupleIJPjSI_NS0_16reverse_iteratorISI_EEEEENSH_IJSG_SG_SG_EEES9_SI_JZNS1_25segmented_radix_sort_implINS0_14default_configELb1EPKlPlSQ_SR_N2at6native12_GLOBAL__N_18offset_tEEE10hipError_tPvRmT1_PNSt15iterator_traitsISZ_E10value_typeET2_T3_PNS10_IS15_E10value_typeET4_jRbjT5_S1B_jjP12ihipStream_tbEUljE_ZNSN_ISO_Lb1ESQ_SR_SQ_SR_SV_EESW_SX_SY_SZ_S13_S14_S15_S18_S19_jS1A_jS1B_S1B_jjS1D_bEUljE0_EEESW_SX_SY_S15_S19_S1B_T6_T7_T9_mT8_S1D_bDpT10_ENKUlT_T0_E_clISt17integral_constantIbLb1EES1Q_IbLb0EEEEDaS1M_S1N_EUlS1M_E_NS1_11comp_targetILNS1_3genE0ELNS1_11target_archE4294967295ELNS1_3gpuE0ELNS1_3repE0EEENS1_30default_config_static_selectorELNS0_4arch9wavefront6targetE0EEEvSZ_: ; @_ZN7rocprim17ROCPRIM_400000_NS6detail17trampoline_kernelINS0_13select_configILj256ELj13ELNS0_17block_load_methodE3ELS4_3ELS4_3ELNS0_20block_scan_algorithmE0ELj4294967295EEENS1_25partition_config_selectorILNS1_17partition_subalgoE4EjNS0_10empty_typeEbEEZZNS1_14partition_implILS8_4ELb0ES6_15HIP_vector_typeIjLj2EENS0_17counting_iteratorIjlEEPS9_SG_NS0_5tupleIJPjSI_NS0_16reverse_iteratorISI_EEEEENSH_IJSG_SG_SG_EEES9_SI_JZNS1_25segmented_radix_sort_implINS0_14default_configELb1EPKlPlSQ_SR_N2at6native12_GLOBAL__N_18offset_tEEE10hipError_tPvRmT1_PNSt15iterator_traitsISZ_E10value_typeET2_T3_PNS10_IS15_E10value_typeET4_jRbjT5_S1B_jjP12ihipStream_tbEUljE_ZNSN_ISO_Lb1ESQ_SR_SQ_SR_SV_EESW_SX_SY_SZ_S13_S14_S15_S18_S19_jS1A_jS1B_S1B_jjS1D_bEUljE0_EEESW_SX_SY_S15_S19_S1B_T6_T7_T9_mT8_S1D_bDpT10_ENKUlT_T0_E_clISt17integral_constantIbLb1EES1Q_IbLb0EEEEDaS1M_S1N_EUlS1M_E_NS1_11comp_targetILNS1_3genE0ELNS1_11target_archE4294967295ELNS1_3gpuE0ELNS1_3repE0EEENS1_30default_config_static_selectorELNS0_4arch9wavefront6targetE0EEEvSZ_
; %bb.0:
	.section	.rodata,"a",@progbits
	.p2align	6, 0x0
	.amdhsa_kernel _ZN7rocprim17ROCPRIM_400000_NS6detail17trampoline_kernelINS0_13select_configILj256ELj13ELNS0_17block_load_methodE3ELS4_3ELS4_3ELNS0_20block_scan_algorithmE0ELj4294967295EEENS1_25partition_config_selectorILNS1_17partition_subalgoE4EjNS0_10empty_typeEbEEZZNS1_14partition_implILS8_4ELb0ES6_15HIP_vector_typeIjLj2EENS0_17counting_iteratorIjlEEPS9_SG_NS0_5tupleIJPjSI_NS0_16reverse_iteratorISI_EEEEENSH_IJSG_SG_SG_EEES9_SI_JZNS1_25segmented_radix_sort_implINS0_14default_configELb1EPKlPlSQ_SR_N2at6native12_GLOBAL__N_18offset_tEEE10hipError_tPvRmT1_PNSt15iterator_traitsISZ_E10value_typeET2_T3_PNS10_IS15_E10value_typeET4_jRbjT5_S1B_jjP12ihipStream_tbEUljE_ZNSN_ISO_Lb1ESQ_SR_SQ_SR_SV_EESW_SX_SY_SZ_S13_S14_S15_S18_S19_jS1A_jS1B_S1B_jjS1D_bEUljE0_EEESW_SX_SY_S15_S19_S1B_T6_T7_T9_mT8_S1D_bDpT10_ENKUlT_T0_E_clISt17integral_constantIbLb1EES1Q_IbLb0EEEEDaS1M_S1N_EUlS1M_E_NS1_11comp_targetILNS1_3genE0ELNS1_11target_archE4294967295ELNS1_3gpuE0ELNS1_3repE0EEENS1_30default_config_static_selectorELNS0_4arch9wavefront6targetE0EEEvSZ_
		.amdhsa_group_segment_fixed_size 0
		.amdhsa_private_segment_fixed_size 0
		.amdhsa_kernarg_size 176
		.amdhsa_user_sgpr_count 2
		.amdhsa_user_sgpr_dispatch_ptr 0
		.amdhsa_user_sgpr_queue_ptr 0
		.amdhsa_user_sgpr_kernarg_segment_ptr 1
		.amdhsa_user_sgpr_dispatch_id 0
		.amdhsa_user_sgpr_private_segment_size 0
		.amdhsa_wavefront_size32 1
		.amdhsa_uses_dynamic_stack 0
		.amdhsa_enable_private_segment 0
		.amdhsa_system_sgpr_workgroup_id_x 1
		.amdhsa_system_sgpr_workgroup_id_y 0
		.amdhsa_system_sgpr_workgroup_id_z 0
		.amdhsa_system_sgpr_workgroup_info 0
		.amdhsa_system_vgpr_workitem_id 0
		.amdhsa_next_free_vgpr 1
		.amdhsa_next_free_sgpr 1
		.amdhsa_reserve_vcc 0
		.amdhsa_float_round_mode_32 0
		.amdhsa_float_round_mode_16_64 0
		.amdhsa_float_denorm_mode_32 3
		.amdhsa_float_denorm_mode_16_64 3
		.amdhsa_fp16_overflow 0
		.amdhsa_workgroup_processor_mode 1
		.amdhsa_memory_ordered 1
		.amdhsa_forward_progress 1
		.amdhsa_inst_pref_size 0
		.amdhsa_round_robin_scheduling 0
		.amdhsa_exception_fp_ieee_invalid_op 0
		.amdhsa_exception_fp_denorm_src 0
		.amdhsa_exception_fp_ieee_div_zero 0
		.amdhsa_exception_fp_ieee_overflow 0
		.amdhsa_exception_fp_ieee_underflow 0
		.amdhsa_exception_fp_ieee_inexact 0
		.amdhsa_exception_int_div_zero 0
	.end_amdhsa_kernel
	.section	.text._ZN7rocprim17ROCPRIM_400000_NS6detail17trampoline_kernelINS0_13select_configILj256ELj13ELNS0_17block_load_methodE3ELS4_3ELS4_3ELNS0_20block_scan_algorithmE0ELj4294967295EEENS1_25partition_config_selectorILNS1_17partition_subalgoE4EjNS0_10empty_typeEbEEZZNS1_14partition_implILS8_4ELb0ES6_15HIP_vector_typeIjLj2EENS0_17counting_iteratorIjlEEPS9_SG_NS0_5tupleIJPjSI_NS0_16reverse_iteratorISI_EEEEENSH_IJSG_SG_SG_EEES9_SI_JZNS1_25segmented_radix_sort_implINS0_14default_configELb1EPKlPlSQ_SR_N2at6native12_GLOBAL__N_18offset_tEEE10hipError_tPvRmT1_PNSt15iterator_traitsISZ_E10value_typeET2_T3_PNS10_IS15_E10value_typeET4_jRbjT5_S1B_jjP12ihipStream_tbEUljE_ZNSN_ISO_Lb1ESQ_SR_SQ_SR_SV_EESW_SX_SY_SZ_S13_S14_S15_S18_S19_jS1A_jS1B_S1B_jjS1D_bEUljE0_EEESW_SX_SY_S15_S19_S1B_T6_T7_T9_mT8_S1D_bDpT10_ENKUlT_T0_E_clISt17integral_constantIbLb1EES1Q_IbLb0EEEEDaS1M_S1N_EUlS1M_E_NS1_11comp_targetILNS1_3genE0ELNS1_11target_archE4294967295ELNS1_3gpuE0ELNS1_3repE0EEENS1_30default_config_static_selectorELNS0_4arch9wavefront6targetE0EEEvSZ_,"axG",@progbits,_ZN7rocprim17ROCPRIM_400000_NS6detail17trampoline_kernelINS0_13select_configILj256ELj13ELNS0_17block_load_methodE3ELS4_3ELS4_3ELNS0_20block_scan_algorithmE0ELj4294967295EEENS1_25partition_config_selectorILNS1_17partition_subalgoE4EjNS0_10empty_typeEbEEZZNS1_14partition_implILS8_4ELb0ES6_15HIP_vector_typeIjLj2EENS0_17counting_iteratorIjlEEPS9_SG_NS0_5tupleIJPjSI_NS0_16reverse_iteratorISI_EEEEENSH_IJSG_SG_SG_EEES9_SI_JZNS1_25segmented_radix_sort_implINS0_14default_configELb1EPKlPlSQ_SR_N2at6native12_GLOBAL__N_18offset_tEEE10hipError_tPvRmT1_PNSt15iterator_traitsISZ_E10value_typeET2_T3_PNS10_IS15_E10value_typeET4_jRbjT5_S1B_jjP12ihipStream_tbEUljE_ZNSN_ISO_Lb1ESQ_SR_SQ_SR_SV_EESW_SX_SY_SZ_S13_S14_S15_S18_S19_jS1A_jS1B_S1B_jjS1D_bEUljE0_EEESW_SX_SY_S15_S19_S1B_T6_T7_T9_mT8_S1D_bDpT10_ENKUlT_T0_E_clISt17integral_constantIbLb1EES1Q_IbLb0EEEEDaS1M_S1N_EUlS1M_E_NS1_11comp_targetILNS1_3genE0ELNS1_11target_archE4294967295ELNS1_3gpuE0ELNS1_3repE0EEENS1_30default_config_static_selectorELNS0_4arch9wavefront6targetE0EEEvSZ_,comdat
.Lfunc_end656:
	.size	_ZN7rocprim17ROCPRIM_400000_NS6detail17trampoline_kernelINS0_13select_configILj256ELj13ELNS0_17block_load_methodE3ELS4_3ELS4_3ELNS0_20block_scan_algorithmE0ELj4294967295EEENS1_25partition_config_selectorILNS1_17partition_subalgoE4EjNS0_10empty_typeEbEEZZNS1_14partition_implILS8_4ELb0ES6_15HIP_vector_typeIjLj2EENS0_17counting_iteratorIjlEEPS9_SG_NS0_5tupleIJPjSI_NS0_16reverse_iteratorISI_EEEEENSH_IJSG_SG_SG_EEES9_SI_JZNS1_25segmented_radix_sort_implINS0_14default_configELb1EPKlPlSQ_SR_N2at6native12_GLOBAL__N_18offset_tEEE10hipError_tPvRmT1_PNSt15iterator_traitsISZ_E10value_typeET2_T3_PNS10_IS15_E10value_typeET4_jRbjT5_S1B_jjP12ihipStream_tbEUljE_ZNSN_ISO_Lb1ESQ_SR_SQ_SR_SV_EESW_SX_SY_SZ_S13_S14_S15_S18_S19_jS1A_jS1B_S1B_jjS1D_bEUljE0_EEESW_SX_SY_S15_S19_S1B_T6_T7_T9_mT8_S1D_bDpT10_ENKUlT_T0_E_clISt17integral_constantIbLb1EES1Q_IbLb0EEEEDaS1M_S1N_EUlS1M_E_NS1_11comp_targetILNS1_3genE0ELNS1_11target_archE4294967295ELNS1_3gpuE0ELNS1_3repE0EEENS1_30default_config_static_selectorELNS0_4arch9wavefront6targetE0EEEvSZ_, .Lfunc_end656-_ZN7rocprim17ROCPRIM_400000_NS6detail17trampoline_kernelINS0_13select_configILj256ELj13ELNS0_17block_load_methodE3ELS4_3ELS4_3ELNS0_20block_scan_algorithmE0ELj4294967295EEENS1_25partition_config_selectorILNS1_17partition_subalgoE4EjNS0_10empty_typeEbEEZZNS1_14partition_implILS8_4ELb0ES6_15HIP_vector_typeIjLj2EENS0_17counting_iteratorIjlEEPS9_SG_NS0_5tupleIJPjSI_NS0_16reverse_iteratorISI_EEEEENSH_IJSG_SG_SG_EEES9_SI_JZNS1_25segmented_radix_sort_implINS0_14default_configELb1EPKlPlSQ_SR_N2at6native12_GLOBAL__N_18offset_tEEE10hipError_tPvRmT1_PNSt15iterator_traitsISZ_E10value_typeET2_T3_PNS10_IS15_E10value_typeET4_jRbjT5_S1B_jjP12ihipStream_tbEUljE_ZNSN_ISO_Lb1ESQ_SR_SQ_SR_SV_EESW_SX_SY_SZ_S13_S14_S15_S18_S19_jS1A_jS1B_S1B_jjS1D_bEUljE0_EEESW_SX_SY_S15_S19_S1B_T6_T7_T9_mT8_S1D_bDpT10_ENKUlT_T0_E_clISt17integral_constantIbLb1EES1Q_IbLb0EEEEDaS1M_S1N_EUlS1M_E_NS1_11comp_targetILNS1_3genE0ELNS1_11target_archE4294967295ELNS1_3gpuE0ELNS1_3repE0EEENS1_30default_config_static_selectorELNS0_4arch9wavefront6targetE0EEEvSZ_
                                        ; -- End function
	.set _ZN7rocprim17ROCPRIM_400000_NS6detail17trampoline_kernelINS0_13select_configILj256ELj13ELNS0_17block_load_methodE3ELS4_3ELS4_3ELNS0_20block_scan_algorithmE0ELj4294967295EEENS1_25partition_config_selectorILNS1_17partition_subalgoE4EjNS0_10empty_typeEbEEZZNS1_14partition_implILS8_4ELb0ES6_15HIP_vector_typeIjLj2EENS0_17counting_iteratorIjlEEPS9_SG_NS0_5tupleIJPjSI_NS0_16reverse_iteratorISI_EEEEENSH_IJSG_SG_SG_EEES9_SI_JZNS1_25segmented_radix_sort_implINS0_14default_configELb1EPKlPlSQ_SR_N2at6native12_GLOBAL__N_18offset_tEEE10hipError_tPvRmT1_PNSt15iterator_traitsISZ_E10value_typeET2_T3_PNS10_IS15_E10value_typeET4_jRbjT5_S1B_jjP12ihipStream_tbEUljE_ZNSN_ISO_Lb1ESQ_SR_SQ_SR_SV_EESW_SX_SY_SZ_S13_S14_S15_S18_S19_jS1A_jS1B_S1B_jjS1D_bEUljE0_EEESW_SX_SY_S15_S19_S1B_T6_T7_T9_mT8_S1D_bDpT10_ENKUlT_T0_E_clISt17integral_constantIbLb1EES1Q_IbLb0EEEEDaS1M_S1N_EUlS1M_E_NS1_11comp_targetILNS1_3genE0ELNS1_11target_archE4294967295ELNS1_3gpuE0ELNS1_3repE0EEENS1_30default_config_static_selectorELNS0_4arch9wavefront6targetE0EEEvSZ_.num_vgpr, 0
	.set _ZN7rocprim17ROCPRIM_400000_NS6detail17trampoline_kernelINS0_13select_configILj256ELj13ELNS0_17block_load_methodE3ELS4_3ELS4_3ELNS0_20block_scan_algorithmE0ELj4294967295EEENS1_25partition_config_selectorILNS1_17partition_subalgoE4EjNS0_10empty_typeEbEEZZNS1_14partition_implILS8_4ELb0ES6_15HIP_vector_typeIjLj2EENS0_17counting_iteratorIjlEEPS9_SG_NS0_5tupleIJPjSI_NS0_16reverse_iteratorISI_EEEEENSH_IJSG_SG_SG_EEES9_SI_JZNS1_25segmented_radix_sort_implINS0_14default_configELb1EPKlPlSQ_SR_N2at6native12_GLOBAL__N_18offset_tEEE10hipError_tPvRmT1_PNSt15iterator_traitsISZ_E10value_typeET2_T3_PNS10_IS15_E10value_typeET4_jRbjT5_S1B_jjP12ihipStream_tbEUljE_ZNSN_ISO_Lb1ESQ_SR_SQ_SR_SV_EESW_SX_SY_SZ_S13_S14_S15_S18_S19_jS1A_jS1B_S1B_jjS1D_bEUljE0_EEESW_SX_SY_S15_S19_S1B_T6_T7_T9_mT8_S1D_bDpT10_ENKUlT_T0_E_clISt17integral_constantIbLb1EES1Q_IbLb0EEEEDaS1M_S1N_EUlS1M_E_NS1_11comp_targetILNS1_3genE0ELNS1_11target_archE4294967295ELNS1_3gpuE0ELNS1_3repE0EEENS1_30default_config_static_selectorELNS0_4arch9wavefront6targetE0EEEvSZ_.num_agpr, 0
	.set _ZN7rocprim17ROCPRIM_400000_NS6detail17trampoline_kernelINS0_13select_configILj256ELj13ELNS0_17block_load_methodE3ELS4_3ELS4_3ELNS0_20block_scan_algorithmE0ELj4294967295EEENS1_25partition_config_selectorILNS1_17partition_subalgoE4EjNS0_10empty_typeEbEEZZNS1_14partition_implILS8_4ELb0ES6_15HIP_vector_typeIjLj2EENS0_17counting_iteratorIjlEEPS9_SG_NS0_5tupleIJPjSI_NS0_16reverse_iteratorISI_EEEEENSH_IJSG_SG_SG_EEES9_SI_JZNS1_25segmented_radix_sort_implINS0_14default_configELb1EPKlPlSQ_SR_N2at6native12_GLOBAL__N_18offset_tEEE10hipError_tPvRmT1_PNSt15iterator_traitsISZ_E10value_typeET2_T3_PNS10_IS15_E10value_typeET4_jRbjT5_S1B_jjP12ihipStream_tbEUljE_ZNSN_ISO_Lb1ESQ_SR_SQ_SR_SV_EESW_SX_SY_SZ_S13_S14_S15_S18_S19_jS1A_jS1B_S1B_jjS1D_bEUljE0_EEESW_SX_SY_S15_S19_S1B_T6_T7_T9_mT8_S1D_bDpT10_ENKUlT_T0_E_clISt17integral_constantIbLb1EES1Q_IbLb0EEEEDaS1M_S1N_EUlS1M_E_NS1_11comp_targetILNS1_3genE0ELNS1_11target_archE4294967295ELNS1_3gpuE0ELNS1_3repE0EEENS1_30default_config_static_selectorELNS0_4arch9wavefront6targetE0EEEvSZ_.numbered_sgpr, 0
	.set _ZN7rocprim17ROCPRIM_400000_NS6detail17trampoline_kernelINS0_13select_configILj256ELj13ELNS0_17block_load_methodE3ELS4_3ELS4_3ELNS0_20block_scan_algorithmE0ELj4294967295EEENS1_25partition_config_selectorILNS1_17partition_subalgoE4EjNS0_10empty_typeEbEEZZNS1_14partition_implILS8_4ELb0ES6_15HIP_vector_typeIjLj2EENS0_17counting_iteratorIjlEEPS9_SG_NS0_5tupleIJPjSI_NS0_16reverse_iteratorISI_EEEEENSH_IJSG_SG_SG_EEES9_SI_JZNS1_25segmented_radix_sort_implINS0_14default_configELb1EPKlPlSQ_SR_N2at6native12_GLOBAL__N_18offset_tEEE10hipError_tPvRmT1_PNSt15iterator_traitsISZ_E10value_typeET2_T3_PNS10_IS15_E10value_typeET4_jRbjT5_S1B_jjP12ihipStream_tbEUljE_ZNSN_ISO_Lb1ESQ_SR_SQ_SR_SV_EESW_SX_SY_SZ_S13_S14_S15_S18_S19_jS1A_jS1B_S1B_jjS1D_bEUljE0_EEESW_SX_SY_S15_S19_S1B_T6_T7_T9_mT8_S1D_bDpT10_ENKUlT_T0_E_clISt17integral_constantIbLb1EES1Q_IbLb0EEEEDaS1M_S1N_EUlS1M_E_NS1_11comp_targetILNS1_3genE0ELNS1_11target_archE4294967295ELNS1_3gpuE0ELNS1_3repE0EEENS1_30default_config_static_selectorELNS0_4arch9wavefront6targetE0EEEvSZ_.num_named_barrier, 0
	.set _ZN7rocprim17ROCPRIM_400000_NS6detail17trampoline_kernelINS0_13select_configILj256ELj13ELNS0_17block_load_methodE3ELS4_3ELS4_3ELNS0_20block_scan_algorithmE0ELj4294967295EEENS1_25partition_config_selectorILNS1_17partition_subalgoE4EjNS0_10empty_typeEbEEZZNS1_14partition_implILS8_4ELb0ES6_15HIP_vector_typeIjLj2EENS0_17counting_iteratorIjlEEPS9_SG_NS0_5tupleIJPjSI_NS0_16reverse_iteratorISI_EEEEENSH_IJSG_SG_SG_EEES9_SI_JZNS1_25segmented_radix_sort_implINS0_14default_configELb1EPKlPlSQ_SR_N2at6native12_GLOBAL__N_18offset_tEEE10hipError_tPvRmT1_PNSt15iterator_traitsISZ_E10value_typeET2_T3_PNS10_IS15_E10value_typeET4_jRbjT5_S1B_jjP12ihipStream_tbEUljE_ZNSN_ISO_Lb1ESQ_SR_SQ_SR_SV_EESW_SX_SY_SZ_S13_S14_S15_S18_S19_jS1A_jS1B_S1B_jjS1D_bEUljE0_EEESW_SX_SY_S15_S19_S1B_T6_T7_T9_mT8_S1D_bDpT10_ENKUlT_T0_E_clISt17integral_constantIbLb1EES1Q_IbLb0EEEEDaS1M_S1N_EUlS1M_E_NS1_11comp_targetILNS1_3genE0ELNS1_11target_archE4294967295ELNS1_3gpuE0ELNS1_3repE0EEENS1_30default_config_static_selectorELNS0_4arch9wavefront6targetE0EEEvSZ_.private_seg_size, 0
	.set _ZN7rocprim17ROCPRIM_400000_NS6detail17trampoline_kernelINS0_13select_configILj256ELj13ELNS0_17block_load_methodE3ELS4_3ELS4_3ELNS0_20block_scan_algorithmE0ELj4294967295EEENS1_25partition_config_selectorILNS1_17partition_subalgoE4EjNS0_10empty_typeEbEEZZNS1_14partition_implILS8_4ELb0ES6_15HIP_vector_typeIjLj2EENS0_17counting_iteratorIjlEEPS9_SG_NS0_5tupleIJPjSI_NS0_16reverse_iteratorISI_EEEEENSH_IJSG_SG_SG_EEES9_SI_JZNS1_25segmented_radix_sort_implINS0_14default_configELb1EPKlPlSQ_SR_N2at6native12_GLOBAL__N_18offset_tEEE10hipError_tPvRmT1_PNSt15iterator_traitsISZ_E10value_typeET2_T3_PNS10_IS15_E10value_typeET4_jRbjT5_S1B_jjP12ihipStream_tbEUljE_ZNSN_ISO_Lb1ESQ_SR_SQ_SR_SV_EESW_SX_SY_SZ_S13_S14_S15_S18_S19_jS1A_jS1B_S1B_jjS1D_bEUljE0_EEESW_SX_SY_S15_S19_S1B_T6_T7_T9_mT8_S1D_bDpT10_ENKUlT_T0_E_clISt17integral_constantIbLb1EES1Q_IbLb0EEEEDaS1M_S1N_EUlS1M_E_NS1_11comp_targetILNS1_3genE0ELNS1_11target_archE4294967295ELNS1_3gpuE0ELNS1_3repE0EEENS1_30default_config_static_selectorELNS0_4arch9wavefront6targetE0EEEvSZ_.uses_vcc, 0
	.set _ZN7rocprim17ROCPRIM_400000_NS6detail17trampoline_kernelINS0_13select_configILj256ELj13ELNS0_17block_load_methodE3ELS4_3ELS4_3ELNS0_20block_scan_algorithmE0ELj4294967295EEENS1_25partition_config_selectorILNS1_17partition_subalgoE4EjNS0_10empty_typeEbEEZZNS1_14partition_implILS8_4ELb0ES6_15HIP_vector_typeIjLj2EENS0_17counting_iteratorIjlEEPS9_SG_NS0_5tupleIJPjSI_NS0_16reverse_iteratorISI_EEEEENSH_IJSG_SG_SG_EEES9_SI_JZNS1_25segmented_radix_sort_implINS0_14default_configELb1EPKlPlSQ_SR_N2at6native12_GLOBAL__N_18offset_tEEE10hipError_tPvRmT1_PNSt15iterator_traitsISZ_E10value_typeET2_T3_PNS10_IS15_E10value_typeET4_jRbjT5_S1B_jjP12ihipStream_tbEUljE_ZNSN_ISO_Lb1ESQ_SR_SQ_SR_SV_EESW_SX_SY_SZ_S13_S14_S15_S18_S19_jS1A_jS1B_S1B_jjS1D_bEUljE0_EEESW_SX_SY_S15_S19_S1B_T6_T7_T9_mT8_S1D_bDpT10_ENKUlT_T0_E_clISt17integral_constantIbLb1EES1Q_IbLb0EEEEDaS1M_S1N_EUlS1M_E_NS1_11comp_targetILNS1_3genE0ELNS1_11target_archE4294967295ELNS1_3gpuE0ELNS1_3repE0EEENS1_30default_config_static_selectorELNS0_4arch9wavefront6targetE0EEEvSZ_.uses_flat_scratch, 0
	.set _ZN7rocprim17ROCPRIM_400000_NS6detail17trampoline_kernelINS0_13select_configILj256ELj13ELNS0_17block_load_methodE3ELS4_3ELS4_3ELNS0_20block_scan_algorithmE0ELj4294967295EEENS1_25partition_config_selectorILNS1_17partition_subalgoE4EjNS0_10empty_typeEbEEZZNS1_14partition_implILS8_4ELb0ES6_15HIP_vector_typeIjLj2EENS0_17counting_iteratorIjlEEPS9_SG_NS0_5tupleIJPjSI_NS0_16reverse_iteratorISI_EEEEENSH_IJSG_SG_SG_EEES9_SI_JZNS1_25segmented_radix_sort_implINS0_14default_configELb1EPKlPlSQ_SR_N2at6native12_GLOBAL__N_18offset_tEEE10hipError_tPvRmT1_PNSt15iterator_traitsISZ_E10value_typeET2_T3_PNS10_IS15_E10value_typeET4_jRbjT5_S1B_jjP12ihipStream_tbEUljE_ZNSN_ISO_Lb1ESQ_SR_SQ_SR_SV_EESW_SX_SY_SZ_S13_S14_S15_S18_S19_jS1A_jS1B_S1B_jjS1D_bEUljE0_EEESW_SX_SY_S15_S19_S1B_T6_T7_T9_mT8_S1D_bDpT10_ENKUlT_T0_E_clISt17integral_constantIbLb1EES1Q_IbLb0EEEEDaS1M_S1N_EUlS1M_E_NS1_11comp_targetILNS1_3genE0ELNS1_11target_archE4294967295ELNS1_3gpuE0ELNS1_3repE0EEENS1_30default_config_static_selectorELNS0_4arch9wavefront6targetE0EEEvSZ_.has_dyn_sized_stack, 0
	.set _ZN7rocprim17ROCPRIM_400000_NS6detail17trampoline_kernelINS0_13select_configILj256ELj13ELNS0_17block_load_methodE3ELS4_3ELS4_3ELNS0_20block_scan_algorithmE0ELj4294967295EEENS1_25partition_config_selectorILNS1_17partition_subalgoE4EjNS0_10empty_typeEbEEZZNS1_14partition_implILS8_4ELb0ES6_15HIP_vector_typeIjLj2EENS0_17counting_iteratorIjlEEPS9_SG_NS0_5tupleIJPjSI_NS0_16reverse_iteratorISI_EEEEENSH_IJSG_SG_SG_EEES9_SI_JZNS1_25segmented_radix_sort_implINS0_14default_configELb1EPKlPlSQ_SR_N2at6native12_GLOBAL__N_18offset_tEEE10hipError_tPvRmT1_PNSt15iterator_traitsISZ_E10value_typeET2_T3_PNS10_IS15_E10value_typeET4_jRbjT5_S1B_jjP12ihipStream_tbEUljE_ZNSN_ISO_Lb1ESQ_SR_SQ_SR_SV_EESW_SX_SY_SZ_S13_S14_S15_S18_S19_jS1A_jS1B_S1B_jjS1D_bEUljE0_EEESW_SX_SY_S15_S19_S1B_T6_T7_T9_mT8_S1D_bDpT10_ENKUlT_T0_E_clISt17integral_constantIbLb1EES1Q_IbLb0EEEEDaS1M_S1N_EUlS1M_E_NS1_11comp_targetILNS1_3genE0ELNS1_11target_archE4294967295ELNS1_3gpuE0ELNS1_3repE0EEENS1_30default_config_static_selectorELNS0_4arch9wavefront6targetE0EEEvSZ_.has_recursion, 0
	.set _ZN7rocprim17ROCPRIM_400000_NS6detail17trampoline_kernelINS0_13select_configILj256ELj13ELNS0_17block_load_methodE3ELS4_3ELS4_3ELNS0_20block_scan_algorithmE0ELj4294967295EEENS1_25partition_config_selectorILNS1_17partition_subalgoE4EjNS0_10empty_typeEbEEZZNS1_14partition_implILS8_4ELb0ES6_15HIP_vector_typeIjLj2EENS0_17counting_iteratorIjlEEPS9_SG_NS0_5tupleIJPjSI_NS0_16reverse_iteratorISI_EEEEENSH_IJSG_SG_SG_EEES9_SI_JZNS1_25segmented_radix_sort_implINS0_14default_configELb1EPKlPlSQ_SR_N2at6native12_GLOBAL__N_18offset_tEEE10hipError_tPvRmT1_PNSt15iterator_traitsISZ_E10value_typeET2_T3_PNS10_IS15_E10value_typeET4_jRbjT5_S1B_jjP12ihipStream_tbEUljE_ZNSN_ISO_Lb1ESQ_SR_SQ_SR_SV_EESW_SX_SY_SZ_S13_S14_S15_S18_S19_jS1A_jS1B_S1B_jjS1D_bEUljE0_EEESW_SX_SY_S15_S19_S1B_T6_T7_T9_mT8_S1D_bDpT10_ENKUlT_T0_E_clISt17integral_constantIbLb1EES1Q_IbLb0EEEEDaS1M_S1N_EUlS1M_E_NS1_11comp_targetILNS1_3genE0ELNS1_11target_archE4294967295ELNS1_3gpuE0ELNS1_3repE0EEENS1_30default_config_static_selectorELNS0_4arch9wavefront6targetE0EEEvSZ_.has_indirect_call, 0
	.section	.AMDGPU.csdata,"",@progbits
; Kernel info:
; codeLenInByte = 0
; TotalNumSgprs: 0
; NumVgprs: 0
; ScratchSize: 0
; MemoryBound: 0
; FloatMode: 240
; IeeeMode: 1
; LDSByteSize: 0 bytes/workgroup (compile time only)
; SGPRBlocks: 0
; VGPRBlocks: 0
; NumSGPRsForWavesPerEU: 1
; NumVGPRsForWavesPerEU: 1
; Occupancy: 16
; WaveLimiterHint : 0
; COMPUTE_PGM_RSRC2:SCRATCH_EN: 0
; COMPUTE_PGM_RSRC2:USER_SGPR: 2
; COMPUTE_PGM_RSRC2:TRAP_HANDLER: 0
; COMPUTE_PGM_RSRC2:TGID_X_EN: 1
; COMPUTE_PGM_RSRC2:TGID_Y_EN: 0
; COMPUTE_PGM_RSRC2:TGID_Z_EN: 0
; COMPUTE_PGM_RSRC2:TIDIG_COMP_CNT: 0
	.section	.text._ZN7rocprim17ROCPRIM_400000_NS6detail17trampoline_kernelINS0_13select_configILj256ELj13ELNS0_17block_load_methodE3ELS4_3ELS4_3ELNS0_20block_scan_algorithmE0ELj4294967295EEENS1_25partition_config_selectorILNS1_17partition_subalgoE4EjNS0_10empty_typeEbEEZZNS1_14partition_implILS8_4ELb0ES6_15HIP_vector_typeIjLj2EENS0_17counting_iteratorIjlEEPS9_SG_NS0_5tupleIJPjSI_NS0_16reverse_iteratorISI_EEEEENSH_IJSG_SG_SG_EEES9_SI_JZNS1_25segmented_radix_sort_implINS0_14default_configELb1EPKlPlSQ_SR_N2at6native12_GLOBAL__N_18offset_tEEE10hipError_tPvRmT1_PNSt15iterator_traitsISZ_E10value_typeET2_T3_PNS10_IS15_E10value_typeET4_jRbjT5_S1B_jjP12ihipStream_tbEUljE_ZNSN_ISO_Lb1ESQ_SR_SQ_SR_SV_EESW_SX_SY_SZ_S13_S14_S15_S18_S19_jS1A_jS1B_S1B_jjS1D_bEUljE0_EEESW_SX_SY_S15_S19_S1B_T6_T7_T9_mT8_S1D_bDpT10_ENKUlT_T0_E_clISt17integral_constantIbLb1EES1Q_IbLb0EEEEDaS1M_S1N_EUlS1M_E_NS1_11comp_targetILNS1_3genE5ELNS1_11target_archE942ELNS1_3gpuE9ELNS1_3repE0EEENS1_30default_config_static_selectorELNS0_4arch9wavefront6targetE0EEEvSZ_,"axG",@progbits,_ZN7rocprim17ROCPRIM_400000_NS6detail17trampoline_kernelINS0_13select_configILj256ELj13ELNS0_17block_load_methodE3ELS4_3ELS4_3ELNS0_20block_scan_algorithmE0ELj4294967295EEENS1_25partition_config_selectorILNS1_17partition_subalgoE4EjNS0_10empty_typeEbEEZZNS1_14partition_implILS8_4ELb0ES6_15HIP_vector_typeIjLj2EENS0_17counting_iteratorIjlEEPS9_SG_NS0_5tupleIJPjSI_NS0_16reverse_iteratorISI_EEEEENSH_IJSG_SG_SG_EEES9_SI_JZNS1_25segmented_radix_sort_implINS0_14default_configELb1EPKlPlSQ_SR_N2at6native12_GLOBAL__N_18offset_tEEE10hipError_tPvRmT1_PNSt15iterator_traitsISZ_E10value_typeET2_T3_PNS10_IS15_E10value_typeET4_jRbjT5_S1B_jjP12ihipStream_tbEUljE_ZNSN_ISO_Lb1ESQ_SR_SQ_SR_SV_EESW_SX_SY_SZ_S13_S14_S15_S18_S19_jS1A_jS1B_S1B_jjS1D_bEUljE0_EEESW_SX_SY_S15_S19_S1B_T6_T7_T9_mT8_S1D_bDpT10_ENKUlT_T0_E_clISt17integral_constantIbLb1EES1Q_IbLb0EEEEDaS1M_S1N_EUlS1M_E_NS1_11comp_targetILNS1_3genE5ELNS1_11target_archE942ELNS1_3gpuE9ELNS1_3repE0EEENS1_30default_config_static_selectorELNS0_4arch9wavefront6targetE0EEEvSZ_,comdat
	.globl	_ZN7rocprim17ROCPRIM_400000_NS6detail17trampoline_kernelINS0_13select_configILj256ELj13ELNS0_17block_load_methodE3ELS4_3ELS4_3ELNS0_20block_scan_algorithmE0ELj4294967295EEENS1_25partition_config_selectorILNS1_17partition_subalgoE4EjNS0_10empty_typeEbEEZZNS1_14partition_implILS8_4ELb0ES6_15HIP_vector_typeIjLj2EENS0_17counting_iteratorIjlEEPS9_SG_NS0_5tupleIJPjSI_NS0_16reverse_iteratorISI_EEEEENSH_IJSG_SG_SG_EEES9_SI_JZNS1_25segmented_radix_sort_implINS0_14default_configELb1EPKlPlSQ_SR_N2at6native12_GLOBAL__N_18offset_tEEE10hipError_tPvRmT1_PNSt15iterator_traitsISZ_E10value_typeET2_T3_PNS10_IS15_E10value_typeET4_jRbjT5_S1B_jjP12ihipStream_tbEUljE_ZNSN_ISO_Lb1ESQ_SR_SQ_SR_SV_EESW_SX_SY_SZ_S13_S14_S15_S18_S19_jS1A_jS1B_S1B_jjS1D_bEUljE0_EEESW_SX_SY_S15_S19_S1B_T6_T7_T9_mT8_S1D_bDpT10_ENKUlT_T0_E_clISt17integral_constantIbLb1EES1Q_IbLb0EEEEDaS1M_S1N_EUlS1M_E_NS1_11comp_targetILNS1_3genE5ELNS1_11target_archE942ELNS1_3gpuE9ELNS1_3repE0EEENS1_30default_config_static_selectorELNS0_4arch9wavefront6targetE0EEEvSZ_ ; -- Begin function _ZN7rocprim17ROCPRIM_400000_NS6detail17trampoline_kernelINS0_13select_configILj256ELj13ELNS0_17block_load_methodE3ELS4_3ELS4_3ELNS0_20block_scan_algorithmE0ELj4294967295EEENS1_25partition_config_selectorILNS1_17partition_subalgoE4EjNS0_10empty_typeEbEEZZNS1_14partition_implILS8_4ELb0ES6_15HIP_vector_typeIjLj2EENS0_17counting_iteratorIjlEEPS9_SG_NS0_5tupleIJPjSI_NS0_16reverse_iteratorISI_EEEEENSH_IJSG_SG_SG_EEES9_SI_JZNS1_25segmented_radix_sort_implINS0_14default_configELb1EPKlPlSQ_SR_N2at6native12_GLOBAL__N_18offset_tEEE10hipError_tPvRmT1_PNSt15iterator_traitsISZ_E10value_typeET2_T3_PNS10_IS15_E10value_typeET4_jRbjT5_S1B_jjP12ihipStream_tbEUljE_ZNSN_ISO_Lb1ESQ_SR_SQ_SR_SV_EESW_SX_SY_SZ_S13_S14_S15_S18_S19_jS1A_jS1B_S1B_jjS1D_bEUljE0_EEESW_SX_SY_S15_S19_S1B_T6_T7_T9_mT8_S1D_bDpT10_ENKUlT_T0_E_clISt17integral_constantIbLb1EES1Q_IbLb0EEEEDaS1M_S1N_EUlS1M_E_NS1_11comp_targetILNS1_3genE5ELNS1_11target_archE942ELNS1_3gpuE9ELNS1_3repE0EEENS1_30default_config_static_selectorELNS0_4arch9wavefront6targetE0EEEvSZ_
	.p2align	8
	.type	_ZN7rocprim17ROCPRIM_400000_NS6detail17trampoline_kernelINS0_13select_configILj256ELj13ELNS0_17block_load_methodE3ELS4_3ELS4_3ELNS0_20block_scan_algorithmE0ELj4294967295EEENS1_25partition_config_selectorILNS1_17partition_subalgoE4EjNS0_10empty_typeEbEEZZNS1_14partition_implILS8_4ELb0ES6_15HIP_vector_typeIjLj2EENS0_17counting_iteratorIjlEEPS9_SG_NS0_5tupleIJPjSI_NS0_16reverse_iteratorISI_EEEEENSH_IJSG_SG_SG_EEES9_SI_JZNS1_25segmented_radix_sort_implINS0_14default_configELb1EPKlPlSQ_SR_N2at6native12_GLOBAL__N_18offset_tEEE10hipError_tPvRmT1_PNSt15iterator_traitsISZ_E10value_typeET2_T3_PNS10_IS15_E10value_typeET4_jRbjT5_S1B_jjP12ihipStream_tbEUljE_ZNSN_ISO_Lb1ESQ_SR_SQ_SR_SV_EESW_SX_SY_SZ_S13_S14_S15_S18_S19_jS1A_jS1B_S1B_jjS1D_bEUljE0_EEESW_SX_SY_S15_S19_S1B_T6_T7_T9_mT8_S1D_bDpT10_ENKUlT_T0_E_clISt17integral_constantIbLb1EES1Q_IbLb0EEEEDaS1M_S1N_EUlS1M_E_NS1_11comp_targetILNS1_3genE5ELNS1_11target_archE942ELNS1_3gpuE9ELNS1_3repE0EEENS1_30default_config_static_selectorELNS0_4arch9wavefront6targetE0EEEvSZ_,@function
_ZN7rocprim17ROCPRIM_400000_NS6detail17trampoline_kernelINS0_13select_configILj256ELj13ELNS0_17block_load_methodE3ELS4_3ELS4_3ELNS0_20block_scan_algorithmE0ELj4294967295EEENS1_25partition_config_selectorILNS1_17partition_subalgoE4EjNS0_10empty_typeEbEEZZNS1_14partition_implILS8_4ELb0ES6_15HIP_vector_typeIjLj2EENS0_17counting_iteratorIjlEEPS9_SG_NS0_5tupleIJPjSI_NS0_16reverse_iteratorISI_EEEEENSH_IJSG_SG_SG_EEES9_SI_JZNS1_25segmented_radix_sort_implINS0_14default_configELb1EPKlPlSQ_SR_N2at6native12_GLOBAL__N_18offset_tEEE10hipError_tPvRmT1_PNSt15iterator_traitsISZ_E10value_typeET2_T3_PNS10_IS15_E10value_typeET4_jRbjT5_S1B_jjP12ihipStream_tbEUljE_ZNSN_ISO_Lb1ESQ_SR_SQ_SR_SV_EESW_SX_SY_SZ_S13_S14_S15_S18_S19_jS1A_jS1B_S1B_jjS1D_bEUljE0_EEESW_SX_SY_S15_S19_S1B_T6_T7_T9_mT8_S1D_bDpT10_ENKUlT_T0_E_clISt17integral_constantIbLb1EES1Q_IbLb0EEEEDaS1M_S1N_EUlS1M_E_NS1_11comp_targetILNS1_3genE5ELNS1_11target_archE942ELNS1_3gpuE9ELNS1_3repE0EEENS1_30default_config_static_selectorELNS0_4arch9wavefront6targetE0EEEvSZ_: ; @_ZN7rocprim17ROCPRIM_400000_NS6detail17trampoline_kernelINS0_13select_configILj256ELj13ELNS0_17block_load_methodE3ELS4_3ELS4_3ELNS0_20block_scan_algorithmE0ELj4294967295EEENS1_25partition_config_selectorILNS1_17partition_subalgoE4EjNS0_10empty_typeEbEEZZNS1_14partition_implILS8_4ELb0ES6_15HIP_vector_typeIjLj2EENS0_17counting_iteratorIjlEEPS9_SG_NS0_5tupleIJPjSI_NS0_16reverse_iteratorISI_EEEEENSH_IJSG_SG_SG_EEES9_SI_JZNS1_25segmented_radix_sort_implINS0_14default_configELb1EPKlPlSQ_SR_N2at6native12_GLOBAL__N_18offset_tEEE10hipError_tPvRmT1_PNSt15iterator_traitsISZ_E10value_typeET2_T3_PNS10_IS15_E10value_typeET4_jRbjT5_S1B_jjP12ihipStream_tbEUljE_ZNSN_ISO_Lb1ESQ_SR_SQ_SR_SV_EESW_SX_SY_SZ_S13_S14_S15_S18_S19_jS1A_jS1B_S1B_jjS1D_bEUljE0_EEESW_SX_SY_S15_S19_S1B_T6_T7_T9_mT8_S1D_bDpT10_ENKUlT_T0_E_clISt17integral_constantIbLb1EES1Q_IbLb0EEEEDaS1M_S1N_EUlS1M_E_NS1_11comp_targetILNS1_3genE5ELNS1_11target_archE942ELNS1_3gpuE9ELNS1_3repE0EEENS1_30default_config_static_selectorELNS0_4arch9wavefront6targetE0EEEvSZ_
; %bb.0:
	.section	.rodata,"a",@progbits
	.p2align	6, 0x0
	.amdhsa_kernel _ZN7rocprim17ROCPRIM_400000_NS6detail17trampoline_kernelINS0_13select_configILj256ELj13ELNS0_17block_load_methodE3ELS4_3ELS4_3ELNS0_20block_scan_algorithmE0ELj4294967295EEENS1_25partition_config_selectorILNS1_17partition_subalgoE4EjNS0_10empty_typeEbEEZZNS1_14partition_implILS8_4ELb0ES6_15HIP_vector_typeIjLj2EENS0_17counting_iteratorIjlEEPS9_SG_NS0_5tupleIJPjSI_NS0_16reverse_iteratorISI_EEEEENSH_IJSG_SG_SG_EEES9_SI_JZNS1_25segmented_radix_sort_implINS0_14default_configELb1EPKlPlSQ_SR_N2at6native12_GLOBAL__N_18offset_tEEE10hipError_tPvRmT1_PNSt15iterator_traitsISZ_E10value_typeET2_T3_PNS10_IS15_E10value_typeET4_jRbjT5_S1B_jjP12ihipStream_tbEUljE_ZNSN_ISO_Lb1ESQ_SR_SQ_SR_SV_EESW_SX_SY_SZ_S13_S14_S15_S18_S19_jS1A_jS1B_S1B_jjS1D_bEUljE0_EEESW_SX_SY_S15_S19_S1B_T6_T7_T9_mT8_S1D_bDpT10_ENKUlT_T0_E_clISt17integral_constantIbLb1EES1Q_IbLb0EEEEDaS1M_S1N_EUlS1M_E_NS1_11comp_targetILNS1_3genE5ELNS1_11target_archE942ELNS1_3gpuE9ELNS1_3repE0EEENS1_30default_config_static_selectorELNS0_4arch9wavefront6targetE0EEEvSZ_
		.amdhsa_group_segment_fixed_size 0
		.amdhsa_private_segment_fixed_size 0
		.amdhsa_kernarg_size 176
		.amdhsa_user_sgpr_count 2
		.amdhsa_user_sgpr_dispatch_ptr 0
		.amdhsa_user_sgpr_queue_ptr 0
		.amdhsa_user_sgpr_kernarg_segment_ptr 1
		.amdhsa_user_sgpr_dispatch_id 0
		.amdhsa_user_sgpr_private_segment_size 0
		.amdhsa_wavefront_size32 1
		.amdhsa_uses_dynamic_stack 0
		.amdhsa_enable_private_segment 0
		.amdhsa_system_sgpr_workgroup_id_x 1
		.amdhsa_system_sgpr_workgroup_id_y 0
		.amdhsa_system_sgpr_workgroup_id_z 0
		.amdhsa_system_sgpr_workgroup_info 0
		.amdhsa_system_vgpr_workitem_id 0
		.amdhsa_next_free_vgpr 1
		.amdhsa_next_free_sgpr 1
		.amdhsa_reserve_vcc 0
		.amdhsa_float_round_mode_32 0
		.amdhsa_float_round_mode_16_64 0
		.amdhsa_float_denorm_mode_32 3
		.amdhsa_float_denorm_mode_16_64 3
		.amdhsa_fp16_overflow 0
		.amdhsa_workgroup_processor_mode 1
		.amdhsa_memory_ordered 1
		.amdhsa_forward_progress 1
		.amdhsa_inst_pref_size 0
		.amdhsa_round_robin_scheduling 0
		.amdhsa_exception_fp_ieee_invalid_op 0
		.amdhsa_exception_fp_denorm_src 0
		.amdhsa_exception_fp_ieee_div_zero 0
		.amdhsa_exception_fp_ieee_overflow 0
		.amdhsa_exception_fp_ieee_underflow 0
		.amdhsa_exception_fp_ieee_inexact 0
		.amdhsa_exception_int_div_zero 0
	.end_amdhsa_kernel
	.section	.text._ZN7rocprim17ROCPRIM_400000_NS6detail17trampoline_kernelINS0_13select_configILj256ELj13ELNS0_17block_load_methodE3ELS4_3ELS4_3ELNS0_20block_scan_algorithmE0ELj4294967295EEENS1_25partition_config_selectorILNS1_17partition_subalgoE4EjNS0_10empty_typeEbEEZZNS1_14partition_implILS8_4ELb0ES6_15HIP_vector_typeIjLj2EENS0_17counting_iteratorIjlEEPS9_SG_NS0_5tupleIJPjSI_NS0_16reverse_iteratorISI_EEEEENSH_IJSG_SG_SG_EEES9_SI_JZNS1_25segmented_radix_sort_implINS0_14default_configELb1EPKlPlSQ_SR_N2at6native12_GLOBAL__N_18offset_tEEE10hipError_tPvRmT1_PNSt15iterator_traitsISZ_E10value_typeET2_T3_PNS10_IS15_E10value_typeET4_jRbjT5_S1B_jjP12ihipStream_tbEUljE_ZNSN_ISO_Lb1ESQ_SR_SQ_SR_SV_EESW_SX_SY_SZ_S13_S14_S15_S18_S19_jS1A_jS1B_S1B_jjS1D_bEUljE0_EEESW_SX_SY_S15_S19_S1B_T6_T7_T9_mT8_S1D_bDpT10_ENKUlT_T0_E_clISt17integral_constantIbLb1EES1Q_IbLb0EEEEDaS1M_S1N_EUlS1M_E_NS1_11comp_targetILNS1_3genE5ELNS1_11target_archE942ELNS1_3gpuE9ELNS1_3repE0EEENS1_30default_config_static_selectorELNS0_4arch9wavefront6targetE0EEEvSZ_,"axG",@progbits,_ZN7rocprim17ROCPRIM_400000_NS6detail17trampoline_kernelINS0_13select_configILj256ELj13ELNS0_17block_load_methodE3ELS4_3ELS4_3ELNS0_20block_scan_algorithmE0ELj4294967295EEENS1_25partition_config_selectorILNS1_17partition_subalgoE4EjNS0_10empty_typeEbEEZZNS1_14partition_implILS8_4ELb0ES6_15HIP_vector_typeIjLj2EENS0_17counting_iteratorIjlEEPS9_SG_NS0_5tupleIJPjSI_NS0_16reverse_iteratorISI_EEEEENSH_IJSG_SG_SG_EEES9_SI_JZNS1_25segmented_radix_sort_implINS0_14default_configELb1EPKlPlSQ_SR_N2at6native12_GLOBAL__N_18offset_tEEE10hipError_tPvRmT1_PNSt15iterator_traitsISZ_E10value_typeET2_T3_PNS10_IS15_E10value_typeET4_jRbjT5_S1B_jjP12ihipStream_tbEUljE_ZNSN_ISO_Lb1ESQ_SR_SQ_SR_SV_EESW_SX_SY_SZ_S13_S14_S15_S18_S19_jS1A_jS1B_S1B_jjS1D_bEUljE0_EEESW_SX_SY_S15_S19_S1B_T6_T7_T9_mT8_S1D_bDpT10_ENKUlT_T0_E_clISt17integral_constantIbLb1EES1Q_IbLb0EEEEDaS1M_S1N_EUlS1M_E_NS1_11comp_targetILNS1_3genE5ELNS1_11target_archE942ELNS1_3gpuE9ELNS1_3repE0EEENS1_30default_config_static_selectorELNS0_4arch9wavefront6targetE0EEEvSZ_,comdat
.Lfunc_end657:
	.size	_ZN7rocprim17ROCPRIM_400000_NS6detail17trampoline_kernelINS0_13select_configILj256ELj13ELNS0_17block_load_methodE3ELS4_3ELS4_3ELNS0_20block_scan_algorithmE0ELj4294967295EEENS1_25partition_config_selectorILNS1_17partition_subalgoE4EjNS0_10empty_typeEbEEZZNS1_14partition_implILS8_4ELb0ES6_15HIP_vector_typeIjLj2EENS0_17counting_iteratorIjlEEPS9_SG_NS0_5tupleIJPjSI_NS0_16reverse_iteratorISI_EEEEENSH_IJSG_SG_SG_EEES9_SI_JZNS1_25segmented_radix_sort_implINS0_14default_configELb1EPKlPlSQ_SR_N2at6native12_GLOBAL__N_18offset_tEEE10hipError_tPvRmT1_PNSt15iterator_traitsISZ_E10value_typeET2_T3_PNS10_IS15_E10value_typeET4_jRbjT5_S1B_jjP12ihipStream_tbEUljE_ZNSN_ISO_Lb1ESQ_SR_SQ_SR_SV_EESW_SX_SY_SZ_S13_S14_S15_S18_S19_jS1A_jS1B_S1B_jjS1D_bEUljE0_EEESW_SX_SY_S15_S19_S1B_T6_T7_T9_mT8_S1D_bDpT10_ENKUlT_T0_E_clISt17integral_constantIbLb1EES1Q_IbLb0EEEEDaS1M_S1N_EUlS1M_E_NS1_11comp_targetILNS1_3genE5ELNS1_11target_archE942ELNS1_3gpuE9ELNS1_3repE0EEENS1_30default_config_static_selectorELNS0_4arch9wavefront6targetE0EEEvSZ_, .Lfunc_end657-_ZN7rocprim17ROCPRIM_400000_NS6detail17trampoline_kernelINS0_13select_configILj256ELj13ELNS0_17block_load_methodE3ELS4_3ELS4_3ELNS0_20block_scan_algorithmE0ELj4294967295EEENS1_25partition_config_selectorILNS1_17partition_subalgoE4EjNS0_10empty_typeEbEEZZNS1_14partition_implILS8_4ELb0ES6_15HIP_vector_typeIjLj2EENS0_17counting_iteratorIjlEEPS9_SG_NS0_5tupleIJPjSI_NS0_16reverse_iteratorISI_EEEEENSH_IJSG_SG_SG_EEES9_SI_JZNS1_25segmented_radix_sort_implINS0_14default_configELb1EPKlPlSQ_SR_N2at6native12_GLOBAL__N_18offset_tEEE10hipError_tPvRmT1_PNSt15iterator_traitsISZ_E10value_typeET2_T3_PNS10_IS15_E10value_typeET4_jRbjT5_S1B_jjP12ihipStream_tbEUljE_ZNSN_ISO_Lb1ESQ_SR_SQ_SR_SV_EESW_SX_SY_SZ_S13_S14_S15_S18_S19_jS1A_jS1B_S1B_jjS1D_bEUljE0_EEESW_SX_SY_S15_S19_S1B_T6_T7_T9_mT8_S1D_bDpT10_ENKUlT_T0_E_clISt17integral_constantIbLb1EES1Q_IbLb0EEEEDaS1M_S1N_EUlS1M_E_NS1_11comp_targetILNS1_3genE5ELNS1_11target_archE942ELNS1_3gpuE9ELNS1_3repE0EEENS1_30default_config_static_selectorELNS0_4arch9wavefront6targetE0EEEvSZ_
                                        ; -- End function
	.set _ZN7rocprim17ROCPRIM_400000_NS6detail17trampoline_kernelINS0_13select_configILj256ELj13ELNS0_17block_load_methodE3ELS4_3ELS4_3ELNS0_20block_scan_algorithmE0ELj4294967295EEENS1_25partition_config_selectorILNS1_17partition_subalgoE4EjNS0_10empty_typeEbEEZZNS1_14partition_implILS8_4ELb0ES6_15HIP_vector_typeIjLj2EENS0_17counting_iteratorIjlEEPS9_SG_NS0_5tupleIJPjSI_NS0_16reverse_iteratorISI_EEEEENSH_IJSG_SG_SG_EEES9_SI_JZNS1_25segmented_radix_sort_implINS0_14default_configELb1EPKlPlSQ_SR_N2at6native12_GLOBAL__N_18offset_tEEE10hipError_tPvRmT1_PNSt15iterator_traitsISZ_E10value_typeET2_T3_PNS10_IS15_E10value_typeET4_jRbjT5_S1B_jjP12ihipStream_tbEUljE_ZNSN_ISO_Lb1ESQ_SR_SQ_SR_SV_EESW_SX_SY_SZ_S13_S14_S15_S18_S19_jS1A_jS1B_S1B_jjS1D_bEUljE0_EEESW_SX_SY_S15_S19_S1B_T6_T7_T9_mT8_S1D_bDpT10_ENKUlT_T0_E_clISt17integral_constantIbLb1EES1Q_IbLb0EEEEDaS1M_S1N_EUlS1M_E_NS1_11comp_targetILNS1_3genE5ELNS1_11target_archE942ELNS1_3gpuE9ELNS1_3repE0EEENS1_30default_config_static_selectorELNS0_4arch9wavefront6targetE0EEEvSZ_.num_vgpr, 0
	.set _ZN7rocprim17ROCPRIM_400000_NS6detail17trampoline_kernelINS0_13select_configILj256ELj13ELNS0_17block_load_methodE3ELS4_3ELS4_3ELNS0_20block_scan_algorithmE0ELj4294967295EEENS1_25partition_config_selectorILNS1_17partition_subalgoE4EjNS0_10empty_typeEbEEZZNS1_14partition_implILS8_4ELb0ES6_15HIP_vector_typeIjLj2EENS0_17counting_iteratorIjlEEPS9_SG_NS0_5tupleIJPjSI_NS0_16reverse_iteratorISI_EEEEENSH_IJSG_SG_SG_EEES9_SI_JZNS1_25segmented_radix_sort_implINS0_14default_configELb1EPKlPlSQ_SR_N2at6native12_GLOBAL__N_18offset_tEEE10hipError_tPvRmT1_PNSt15iterator_traitsISZ_E10value_typeET2_T3_PNS10_IS15_E10value_typeET4_jRbjT5_S1B_jjP12ihipStream_tbEUljE_ZNSN_ISO_Lb1ESQ_SR_SQ_SR_SV_EESW_SX_SY_SZ_S13_S14_S15_S18_S19_jS1A_jS1B_S1B_jjS1D_bEUljE0_EEESW_SX_SY_S15_S19_S1B_T6_T7_T9_mT8_S1D_bDpT10_ENKUlT_T0_E_clISt17integral_constantIbLb1EES1Q_IbLb0EEEEDaS1M_S1N_EUlS1M_E_NS1_11comp_targetILNS1_3genE5ELNS1_11target_archE942ELNS1_3gpuE9ELNS1_3repE0EEENS1_30default_config_static_selectorELNS0_4arch9wavefront6targetE0EEEvSZ_.num_agpr, 0
	.set _ZN7rocprim17ROCPRIM_400000_NS6detail17trampoline_kernelINS0_13select_configILj256ELj13ELNS0_17block_load_methodE3ELS4_3ELS4_3ELNS0_20block_scan_algorithmE0ELj4294967295EEENS1_25partition_config_selectorILNS1_17partition_subalgoE4EjNS0_10empty_typeEbEEZZNS1_14partition_implILS8_4ELb0ES6_15HIP_vector_typeIjLj2EENS0_17counting_iteratorIjlEEPS9_SG_NS0_5tupleIJPjSI_NS0_16reverse_iteratorISI_EEEEENSH_IJSG_SG_SG_EEES9_SI_JZNS1_25segmented_radix_sort_implINS0_14default_configELb1EPKlPlSQ_SR_N2at6native12_GLOBAL__N_18offset_tEEE10hipError_tPvRmT1_PNSt15iterator_traitsISZ_E10value_typeET2_T3_PNS10_IS15_E10value_typeET4_jRbjT5_S1B_jjP12ihipStream_tbEUljE_ZNSN_ISO_Lb1ESQ_SR_SQ_SR_SV_EESW_SX_SY_SZ_S13_S14_S15_S18_S19_jS1A_jS1B_S1B_jjS1D_bEUljE0_EEESW_SX_SY_S15_S19_S1B_T6_T7_T9_mT8_S1D_bDpT10_ENKUlT_T0_E_clISt17integral_constantIbLb1EES1Q_IbLb0EEEEDaS1M_S1N_EUlS1M_E_NS1_11comp_targetILNS1_3genE5ELNS1_11target_archE942ELNS1_3gpuE9ELNS1_3repE0EEENS1_30default_config_static_selectorELNS0_4arch9wavefront6targetE0EEEvSZ_.numbered_sgpr, 0
	.set _ZN7rocprim17ROCPRIM_400000_NS6detail17trampoline_kernelINS0_13select_configILj256ELj13ELNS0_17block_load_methodE3ELS4_3ELS4_3ELNS0_20block_scan_algorithmE0ELj4294967295EEENS1_25partition_config_selectorILNS1_17partition_subalgoE4EjNS0_10empty_typeEbEEZZNS1_14partition_implILS8_4ELb0ES6_15HIP_vector_typeIjLj2EENS0_17counting_iteratorIjlEEPS9_SG_NS0_5tupleIJPjSI_NS0_16reverse_iteratorISI_EEEEENSH_IJSG_SG_SG_EEES9_SI_JZNS1_25segmented_radix_sort_implINS0_14default_configELb1EPKlPlSQ_SR_N2at6native12_GLOBAL__N_18offset_tEEE10hipError_tPvRmT1_PNSt15iterator_traitsISZ_E10value_typeET2_T3_PNS10_IS15_E10value_typeET4_jRbjT5_S1B_jjP12ihipStream_tbEUljE_ZNSN_ISO_Lb1ESQ_SR_SQ_SR_SV_EESW_SX_SY_SZ_S13_S14_S15_S18_S19_jS1A_jS1B_S1B_jjS1D_bEUljE0_EEESW_SX_SY_S15_S19_S1B_T6_T7_T9_mT8_S1D_bDpT10_ENKUlT_T0_E_clISt17integral_constantIbLb1EES1Q_IbLb0EEEEDaS1M_S1N_EUlS1M_E_NS1_11comp_targetILNS1_3genE5ELNS1_11target_archE942ELNS1_3gpuE9ELNS1_3repE0EEENS1_30default_config_static_selectorELNS0_4arch9wavefront6targetE0EEEvSZ_.num_named_barrier, 0
	.set _ZN7rocprim17ROCPRIM_400000_NS6detail17trampoline_kernelINS0_13select_configILj256ELj13ELNS0_17block_load_methodE3ELS4_3ELS4_3ELNS0_20block_scan_algorithmE0ELj4294967295EEENS1_25partition_config_selectorILNS1_17partition_subalgoE4EjNS0_10empty_typeEbEEZZNS1_14partition_implILS8_4ELb0ES6_15HIP_vector_typeIjLj2EENS0_17counting_iteratorIjlEEPS9_SG_NS0_5tupleIJPjSI_NS0_16reverse_iteratorISI_EEEEENSH_IJSG_SG_SG_EEES9_SI_JZNS1_25segmented_radix_sort_implINS0_14default_configELb1EPKlPlSQ_SR_N2at6native12_GLOBAL__N_18offset_tEEE10hipError_tPvRmT1_PNSt15iterator_traitsISZ_E10value_typeET2_T3_PNS10_IS15_E10value_typeET4_jRbjT5_S1B_jjP12ihipStream_tbEUljE_ZNSN_ISO_Lb1ESQ_SR_SQ_SR_SV_EESW_SX_SY_SZ_S13_S14_S15_S18_S19_jS1A_jS1B_S1B_jjS1D_bEUljE0_EEESW_SX_SY_S15_S19_S1B_T6_T7_T9_mT8_S1D_bDpT10_ENKUlT_T0_E_clISt17integral_constantIbLb1EES1Q_IbLb0EEEEDaS1M_S1N_EUlS1M_E_NS1_11comp_targetILNS1_3genE5ELNS1_11target_archE942ELNS1_3gpuE9ELNS1_3repE0EEENS1_30default_config_static_selectorELNS0_4arch9wavefront6targetE0EEEvSZ_.private_seg_size, 0
	.set _ZN7rocprim17ROCPRIM_400000_NS6detail17trampoline_kernelINS0_13select_configILj256ELj13ELNS0_17block_load_methodE3ELS4_3ELS4_3ELNS0_20block_scan_algorithmE0ELj4294967295EEENS1_25partition_config_selectorILNS1_17partition_subalgoE4EjNS0_10empty_typeEbEEZZNS1_14partition_implILS8_4ELb0ES6_15HIP_vector_typeIjLj2EENS0_17counting_iteratorIjlEEPS9_SG_NS0_5tupleIJPjSI_NS0_16reverse_iteratorISI_EEEEENSH_IJSG_SG_SG_EEES9_SI_JZNS1_25segmented_radix_sort_implINS0_14default_configELb1EPKlPlSQ_SR_N2at6native12_GLOBAL__N_18offset_tEEE10hipError_tPvRmT1_PNSt15iterator_traitsISZ_E10value_typeET2_T3_PNS10_IS15_E10value_typeET4_jRbjT5_S1B_jjP12ihipStream_tbEUljE_ZNSN_ISO_Lb1ESQ_SR_SQ_SR_SV_EESW_SX_SY_SZ_S13_S14_S15_S18_S19_jS1A_jS1B_S1B_jjS1D_bEUljE0_EEESW_SX_SY_S15_S19_S1B_T6_T7_T9_mT8_S1D_bDpT10_ENKUlT_T0_E_clISt17integral_constantIbLb1EES1Q_IbLb0EEEEDaS1M_S1N_EUlS1M_E_NS1_11comp_targetILNS1_3genE5ELNS1_11target_archE942ELNS1_3gpuE9ELNS1_3repE0EEENS1_30default_config_static_selectorELNS0_4arch9wavefront6targetE0EEEvSZ_.uses_vcc, 0
	.set _ZN7rocprim17ROCPRIM_400000_NS6detail17trampoline_kernelINS0_13select_configILj256ELj13ELNS0_17block_load_methodE3ELS4_3ELS4_3ELNS0_20block_scan_algorithmE0ELj4294967295EEENS1_25partition_config_selectorILNS1_17partition_subalgoE4EjNS0_10empty_typeEbEEZZNS1_14partition_implILS8_4ELb0ES6_15HIP_vector_typeIjLj2EENS0_17counting_iteratorIjlEEPS9_SG_NS0_5tupleIJPjSI_NS0_16reverse_iteratorISI_EEEEENSH_IJSG_SG_SG_EEES9_SI_JZNS1_25segmented_radix_sort_implINS0_14default_configELb1EPKlPlSQ_SR_N2at6native12_GLOBAL__N_18offset_tEEE10hipError_tPvRmT1_PNSt15iterator_traitsISZ_E10value_typeET2_T3_PNS10_IS15_E10value_typeET4_jRbjT5_S1B_jjP12ihipStream_tbEUljE_ZNSN_ISO_Lb1ESQ_SR_SQ_SR_SV_EESW_SX_SY_SZ_S13_S14_S15_S18_S19_jS1A_jS1B_S1B_jjS1D_bEUljE0_EEESW_SX_SY_S15_S19_S1B_T6_T7_T9_mT8_S1D_bDpT10_ENKUlT_T0_E_clISt17integral_constantIbLb1EES1Q_IbLb0EEEEDaS1M_S1N_EUlS1M_E_NS1_11comp_targetILNS1_3genE5ELNS1_11target_archE942ELNS1_3gpuE9ELNS1_3repE0EEENS1_30default_config_static_selectorELNS0_4arch9wavefront6targetE0EEEvSZ_.uses_flat_scratch, 0
	.set _ZN7rocprim17ROCPRIM_400000_NS6detail17trampoline_kernelINS0_13select_configILj256ELj13ELNS0_17block_load_methodE3ELS4_3ELS4_3ELNS0_20block_scan_algorithmE0ELj4294967295EEENS1_25partition_config_selectorILNS1_17partition_subalgoE4EjNS0_10empty_typeEbEEZZNS1_14partition_implILS8_4ELb0ES6_15HIP_vector_typeIjLj2EENS0_17counting_iteratorIjlEEPS9_SG_NS0_5tupleIJPjSI_NS0_16reverse_iteratorISI_EEEEENSH_IJSG_SG_SG_EEES9_SI_JZNS1_25segmented_radix_sort_implINS0_14default_configELb1EPKlPlSQ_SR_N2at6native12_GLOBAL__N_18offset_tEEE10hipError_tPvRmT1_PNSt15iterator_traitsISZ_E10value_typeET2_T3_PNS10_IS15_E10value_typeET4_jRbjT5_S1B_jjP12ihipStream_tbEUljE_ZNSN_ISO_Lb1ESQ_SR_SQ_SR_SV_EESW_SX_SY_SZ_S13_S14_S15_S18_S19_jS1A_jS1B_S1B_jjS1D_bEUljE0_EEESW_SX_SY_S15_S19_S1B_T6_T7_T9_mT8_S1D_bDpT10_ENKUlT_T0_E_clISt17integral_constantIbLb1EES1Q_IbLb0EEEEDaS1M_S1N_EUlS1M_E_NS1_11comp_targetILNS1_3genE5ELNS1_11target_archE942ELNS1_3gpuE9ELNS1_3repE0EEENS1_30default_config_static_selectorELNS0_4arch9wavefront6targetE0EEEvSZ_.has_dyn_sized_stack, 0
	.set _ZN7rocprim17ROCPRIM_400000_NS6detail17trampoline_kernelINS0_13select_configILj256ELj13ELNS0_17block_load_methodE3ELS4_3ELS4_3ELNS0_20block_scan_algorithmE0ELj4294967295EEENS1_25partition_config_selectorILNS1_17partition_subalgoE4EjNS0_10empty_typeEbEEZZNS1_14partition_implILS8_4ELb0ES6_15HIP_vector_typeIjLj2EENS0_17counting_iteratorIjlEEPS9_SG_NS0_5tupleIJPjSI_NS0_16reverse_iteratorISI_EEEEENSH_IJSG_SG_SG_EEES9_SI_JZNS1_25segmented_radix_sort_implINS0_14default_configELb1EPKlPlSQ_SR_N2at6native12_GLOBAL__N_18offset_tEEE10hipError_tPvRmT1_PNSt15iterator_traitsISZ_E10value_typeET2_T3_PNS10_IS15_E10value_typeET4_jRbjT5_S1B_jjP12ihipStream_tbEUljE_ZNSN_ISO_Lb1ESQ_SR_SQ_SR_SV_EESW_SX_SY_SZ_S13_S14_S15_S18_S19_jS1A_jS1B_S1B_jjS1D_bEUljE0_EEESW_SX_SY_S15_S19_S1B_T6_T7_T9_mT8_S1D_bDpT10_ENKUlT_T0_E_clISt17integral_constantIbLb1EES1Q_IbLb0EEEEDaS1M_S1N_EUlS1M_E_NS1_11comp_targetILNS1_3genE5ELNS1_11target_archE942ELNS1_3gpuE9ELNS1_3repE0EEENS1_30default_config_static_selectorELNS0_4arch9wavefront6targetE0EEEvSZ_.has_recursion, 0
	.set _ZN7rocprim17ROCPRIM_400000_NS6detail17trampoline_kernelINS0_13select_configILj256ELj13ELNS0_17block_load_methodE3ELS4_3ELS4_3ELNS0_20block_scan_algorithmE0ELj4294967295EEENS1_25partition_config_selectorILNS1_17partition_subalgoE4EjNS0_10empty_typeEbEEZZNS1_14partition_implILS8_4ELb0ES6_15HIP_vector_typeIjLj2EENS0_17counting_iteratorIjlEEPS9_SG_NS0_5tupleIJPjSI_NS0_16reverse_iteratorISI_EEEEENSH_IJSG_SG_SG_EEES9_SI_JZNS1_25segmented_radix_sort_implINS0_14default_configELb1EPKlPlSQ_SR_N2at6native12_GLOBAL__N_18offset_tEEE10hipError_tPvRmT1_PNSt15iterator_traitsISZ_E10value_typeET2_T3_PNS10_IS15_E10value_typeET4_jRbjT5_S1B_jjP12ihipStream_tbEUljE_ZNSN_ISO_Lb1ESQ_SR_SQ_SR_SV_EESW_SX_SY_SZ_S13_S14_S15_S18_S19_jS1A_jS1B_S1B_jjS1D_bEUljE0_EEESW_SX_SY_S15_S19_S1B_T6_T7_T9_mT8_S1D_bDpT10_ENKUlT_T0_E_clISt17integral_constantIbLb1EES1Q_IbLb0EEEEDaS1M_S1N_EUlS1M_E_NS1_11comp_targetILNS1_3genE5ELNS1_11target_archE942ELNS1_3gpuE9ELNS1_3repE0EEENS1_30default_config_static_selectorELNS0_4arch9wavefront6targetE0EEEvSZ_.has_indirect_call, 0
	.section	.AMDGPU.csdata,"",@progbits
; Kernel info:
; codeLenInByte = 0
; TotalNumSgprs: 0
; NumVgprs: 0
; ScratchSize: 0
; MemoryBound: 0
; FloatMode: 240
; IeeeMode: 1
; LDSByteSize: 0 bytes/workgroup (compile time only)
; SGPRBlocks: 0
; VGPRBlocks: 0
; NumSGPRsForWavesPerEU: 1
; NumVGPRsForWavesPerEU: 1
; Occupancy: 16
; WaveLimiterHint : 0
; COMPUTE_PGM_RSRC2:SCRATCH_EN: 0
; COMPUTE_PGM_RSRC2:USER_SGPR: 2
; COMPUTE_PGM_RSRC2:TRAP_HANDLER: 0
; COMPUTE_PGM_RSRC2:TGID_X_EN: 1
; COMPUTE_PGM_RSRC2:TGID_Y_EN: 0
; COMPUTE_PGM_RSRC2:TGID_Z_EN: 0
; COMPUTE_PGM_RSRC2:TIDIG_COMP_CNT: 0
	.section	.text._ZN7rocprim17ROCPRIM_400000_NS6detail17trampoline_kernelINS0_13select_configILj256ELj13ELNS0_17block_load_methodE3ELS4_3ELS4_3ELNS0_20block_scan_algorithmE0ELj4294967295EEENS1_25partition_config_selectorILNS1_17partition_subalgoE4EjNS0_10empty_typeEbEEZZNS1_14partition_implILS8_4ELb0ES6_15HIP_vector_typeIjLj2EENS0_17counting_iteratorIjlEEPS9_SG_NS0_5tupleIJPjSI_NS0_16reverse_iteratorISI_EEEEENSH_IJSG_SG_SG_EEES9_SI_JZNS1_25segmented_radix_sort_implINS0_14default_configELb1EPKlPlSQ_SR_N2at6native12_GLOBAL__N_18offset_tEEE10hipError_tPvRmT1_PNSt15iterator_traitsISZ_E10value_typeET2_T3_PNS10_IS15_E10value_typeET4_jRbjT5_S1B_jjP12ihipStream_tbEUljE_ZNSN_ISO_Lb1ESQ_SR_SQ_SR_SV_EESW_SX_SY_SZ_S13_S14_S15_S18_S19_jS1A_jS1B_S1B_jjS1D_bEUljE0_EEESW_SX_SY_S15_S19_S1B_T6_T7_T9_mT8_S1D_bDpT10_ENKUlT_T0_E_clISt17integral_constantIbLb1EES1Q_IbLb0EEEEDaS1M_S1N_EUlS1M_E_NS1_11comp_targetILNS1_3genE4ELNS1_11target_archE910ELNS1_3gpuE8ELNS1_3repE0EEENS1_30default_config_static_selectorELNS0_4arch9wavefront6targetE0EEEvSZ_,"axG",@progbits,_ZN7rocprim17ROCPRIM_400000_NS6detail17trampoline_kernelINS0_13select_configILj256ELj13ELNS0_17block_load_methodE3ELS4_3ELS4_3ELNS0_20block_scan_algorithmE0ELj4294967295EEENS1_25partition_config_selectorILNS1_17partition_subalgoE4EjNS0_10empty_typeEbEEZZNS1_14partition_implILS8_4ELb0ES6_15HIP_vector_typeIjLj2EENS0_17counting_iteratorIjlEEPS9_SG_NS0_5tupleIJPjSI_NS0_16reverse_iteratorISI_EEEEENSH_IJSG_SG_SG_EEES9_SI_JZNS1_25segmented_radix_sort_implINS0_14default_configELb1EPKlPlSQ_SR_N2at6native12_GLOBAL__N_18offset_tEEE10hipError_tPvRmT1_PNSt15iterator_traitsISZ_E10value_typeET2_T3_PNS10_IS15_E10value_typeET4_jRbjT5_S1B_jjP12ihipStream_tbEUljE_ZNSN_ISO_Lb1ESQ_SR_SQ_SR_SV_EESW_SX_SY_SZ_S13_S14_S15_S18_S19_jS1A_jS1B_S1B_jjS1D_bEUljE0_EEESW_SX_SY_S15_S19_S1B_T6_T7_T9_mT8_S1D_bDpT10_ENKUlT_T0_E_clISt17integral_constantIbLb1EES1Q_IbLb0EEEEDaS1M_S1N_EUlS1M_E_NS1_11comp_targetILNS1_3genE4ELNS1_11target_archE910ELNS1_3gpuE8ELNS1_3repE0EEENS1_30default_config_static_selectorELNS0_4arch9wavefront6targetE0EEEvSZ_,comdat
	.globl	_ZN7rocprim17ROCPRIM_400000_NS6detail17trampoline_kernelINS0_13select_configILj256ELj13ELNS0_17block_load_methodE3ELS4_3ELS4_3ELNS0_20block_scan_algorithmE0ELj4294967295EEENS1_25partition_config_selectorILNS1_17partition_subalgoE4EjNS0_10empty_typeEbEEZZNS1_14partition_implILS8_4ELb0ES6_15HIP_vector_typeIjLj2EENS0_17counting_iteratorIjlEEPS9_SG_NS0_5tupleIJPjSI_NS0_16reverse_iteratorISI_EEEEENSH_IJSG_SG_SG_EEES9_SI_JZNS1_25segmented_radix_sort_implINS0_14default_configELb1EPKlPlSQ_SR_N2at6native12_GLOBAL__N_18offset_tEEE10hipError_tPvRmT1_PNSt15iterator_traitsISZ_E10value_typeET2_T3_PNS10_IS15_E10value_typeET4_jRbjT5_S1B_jjP12ihipStream_tbEUljE_ZNSN_ISO_Lb1ESQ_SR_SQ_SR_SV_EESW_SX_SY_SZ_S13_S14_S15_S18_S19_jS1A_jS1B_S1B_jjS1D_bEUljE0_EEESW_SX_SY_S15_S19_S1B_T6_T7_T9_mT8_S1D_bDpT10_ENKUlT_T0_E_clISt17integral_constantIbLb1EES1Q_IbLb0EEEEDaS1M_S1N_EUlS1M_E_NS1_11comp_targetILNS1_3genE4ELNS1_11target_archE910ELNS1_3gpuE8ELNS1_3repE0EEENS1_30default_config_static_selectorELNS0_4arch9wavefront6targetE0EEEvSZ_ ; -- Begin function _ZN7rocprim17ROCPRIM_400000_NS6detail17trampoline_kernelINS0_13select_configILj256ELj13ELNS0_17block_load_methodE3ELS4_3ELS4_3ELNS0_20block_scan_algorithmE0ELj4294967295EEENS1_25partition_config_selectorILNS1_17partition_subalgoE4EjNS0_10empty_typeEbEEZZNS1_14partition_implILS8_4ELb0ES6_15HIP_vector_typeIjLj2EENS0_17counting_iteratorIjlEEPS9_SG_NS0_5tupleIJPjSI_NS0_16reverse_iteratorISI_EEEEENSH_IJSG_SG_SG_EEES9_SI_JZNS1_25segmented_radix_sort_implINS0_14default_configELb1EPKlPlSQ_SR_N2at6native12_GLOBAL__N_18offset_tEEE10hipError_tPvRmT1_PNSt15iterator_traitsISZ_E10value_typeET2_T3_PNS10_IS15_E10value_typeET4_jRbjT5_S1B_jjP12ihipStream_tbEUljE_ZNSN_ISO_Lb1ESQ_SR_SQ_SR_SV_EESW_SX_SY_SZ_S13_S14_S15_S18_S19_jS1A_jS1B_S1B_jjS1D_bEUljE0_EEESW_SX_SY_S15_S19_S1B_T6_T7_T9_mT8_S1D_bDpT10_ENKUlT_T0_E_clISt17integral_constantIbLb1EES1Q_IbLb0EEEEDaS1M_S1N_EUlS1M_E_NS1_11comp_targetILNS1_3genE4ELNS1_11target_archE910ELNS1_3gpuE8ELNS1_3repE0EEENS1_30default_config_static_selectorELNS0_4arch9wavefront6targetE0EEEvSZ_
	.p2align	8
	.type	_ZN7rocprim17ROCPRIM_400000_NS6detail17trampoline_kernelINS0_13select_configILj256ELj13ELNS0_17block_load_methodE3ELS4_3ELS4_3ELNS0_20block_scan_algorithmE0ELj4294967295EEENS1_25partition_config_selectorILNS1_17partition_subalgoE4EjNS0_10empty_typeEbEEZZNS1_14partition_implILS8_4ELb0ES6_15HIP_vector_typeIjLj2EENS0_17counting_iteratorIjlEEPS9_SG_NS0_5tupleIJPjSI_NS0_16reverse_iteratorISI_EEEEENSH_IJSG_SG_SG_EEES9_SI_JZNS1_25segmented_radix_sort_implINS0_14default_configELb1EPKlPlSQ_SR_N2at6native12_GLOBAL__N_18offset_tEEE10hipError_tPvRmT1_PNSt15iterator_traitsISZ_E10value_typeET2_T3_PNS10_IS15_E10value_typeET4_jRbjT5_S1B_jjP12ihipStream_tbEUljE_ZNSN_ISO_Lb1ESQ_SR_SQ_SR_SV_EESW_SX_SY_SZ_S13_S14_S15_S18_S19_jS1A_jS1B_S1B_jjS1D_bEUljE0_EEESW_SX_SY_S15_S19_S1B_T6_T7_T9_mT8_S1D_bDpT10_ENKUlT_T0_E_clISt17integral_constantIbLb1EES1Q_IbLb0EEEEDaS1M_S1N_EUlS1M_E_NS1_11comp_targetILNS1_3genE4ELNS1_11target_archE910ELNS1_3gpuE8ELNS1_3repE0EEENS1_30default_config_static_selectorELNS0_4arch9wavefront6targetE0EEEvSZ_,@function
_ZN7rocprim17ROCPRIM_400000_NS6detail17trampoline_kernelINS0_13select_configILj256ELj13ELNS0_17block_load_methodE3ELS4_3ELS4_3ELNS0_20block_scan_algorithmE0ELj4294967295EEENS1_25partition_config_selectorILNS1_17partition_subalgoE4EjNS0_10empty_typeEbEEZZNS1_14partition_implILS8_4ELb0ES6_15HIP_vector_typeIjLj2EENS0_17counting_iteratorIjlEEPS9_SG_NS0_5tupleIJPjSI_NS0_16reverse_iteratorISI_EEEEENSH_IJSG_SG_SG_EEES9_SI_JZNS1_25segmented_radix_sort_implINS0_14default_configELb1EPKlPlSQ_SR_N2at6native12_GLOBAL__N_18offset_tEEE10hipError_tPvRmT1_PNSt15iterator_traitsISZ_E10value_typeET2_T3_PNS10_IS15_E10value_typeET4_jRbjT5_S1B_jjP12ihipStream_tbEUljE_ZNSN_ISO_Lb1ESQ_SR_SQ_SR_SV_EESW_SX_SY_SZ_S13_S14_S15_S18_S19_jS1A_jS1B_S1B_jjS1D_bEUljE0_EEESW_SX_SY_S15_S19_S1B_T6_T7_T9_mT8_S1D_bDpT10_ENKUlT_T0_E_clISt17integral_constantIbLb1EES1Q_IbLb0EEEEDaS1M_S1N_EUlS1M_E_NS1_11comp_targetILNS1_3genE4ELNS1_11target_archE910ELNS1_3gpuE8ELNS1_3repE0EEENS1_30default_config_static_selectorELNS0_4arch9wavefront6targetE0EEEvSZ_: ; @_ZN7rocprim17ROCPRIM_400000_NS6detail17trampoline_kernelINS0_13select_configILj256ELj13ELNS0_17block_load_methodE3ELS4_3ELS4_3ELNS0_20block_scan_algorithmE0ELj4294967295EEENS1_25partition_config_selectorILNS1_17partition_subalgoE4EjNS0_10empty_typeEbEEZZNS1_14partition_implILS8_4ELb0ES6_15HIP_vector_typeIjLj2EENS0_17counting_iteratorIjlEEPS9_SG_NS0_5tupleIJPjSI_NS0_16reverse_iteratorISI_EEEEENSH_IJSG_SG_SG_EEES9_SI_JZNS1_25segmented_radix_sort_implINS0_14default_configELb1EPKlPlSQ_SR_N2at6native12_GLOBAL__N_18offset_tEEE10hipError_tPvRmT1_PNSt15iterator_traitsISZ_E10value_typeET2_T3_PNS10_IS15_E10value_typeET4_jRbjT5_S1B_jjP12ihipStream_tbEUljE_ZNSN_ISO_Lb1ESQ_SR_SQ_SR_SV_EESW_SX_SY_SZ_S13_S14_S15_S18_S19_jS1A_jS1B_S1B_jjS1D_bEUljE0_EEESW_SX_SY_S15_S19_S1B_T6_T7_T9_mT8_S1D_bDpT10_ENKUlT_T0_E_clISt17integral_constantIbLb1EES1Q_IbLb0EEEEDaS1M_S1N_EUlS1M_E_NS1_11comp_targetILNS1_3genE4ELNS1_11target_archE910ELNS1_3gpuE8ELNS1_3repE0EEENS1_30default_config_static_selectorELNS0_4arch9wavefront6targetE0EEEvSZ_
; %bb.0:
	.section	.rodata,"a",@progbits
	.p2align	6, 0x0
	.amdhsa_kernel _ZN7rocprim17ROCPRIM_400000_NS6detail17trampoline_kernelINS0_13select_configILj256ELj13ELNS0_17block_load_methodE3ELS4_3ELS4_3ELNS0_20block_scan_algorithmE0ELj4294967295EEENS1_25partition_config_selectorILNS1_17partition_subalgoE4EjNS0_10empty_typeEbEEZZNS1_14partition_implILS8_4ELb0ES6_15HIP_vector_typeIjLj2EENS0_17counting_iteratorIjlEEPS9_SG_NS0_5tupleIJPjSI_NS0_16reverse_iteratorISI_EEEEENSH_IJSG_SG_SG_EEES9_SI_JZNS1_25segmented_radix_sort_implINS0_14default_configELb1EPKlPlSQ_SR_N2at6native12_GLOBAL__N_18offset_tEEE10hipError_tPvRmT1_PNSt15iterator_traitsISZ_E10value_typeET2_T3_PNS10_IS15_E10value_typeET4_jRbjT5_S1B_jjP12ihipStream_tbEUljE_ZNSN_ISO_Lb1ESQ_SR_SQ_SR_SV_EESW_SX_SY_SZ_S13_S14_S15_S18_S19_jS1A_jS1B_S1B_jjS1D_bEUljE0_EEESW_SX_SY_S15_S19_S1B_T6_T7_T9_mT8_S1D_bDpT10_ENKUlT_T0_E_clISt17integral_constantIbLb1EES1Q_IbLb0EEEEDaS1M_S1N_EUlS1M_E_NS1_11comp_targetILNS1_3genE4ELNS1_11target_archE910ELNS1_3gpuE8ELNS1_3repE0EEENS1_30default_config_static_selectorELNS0_4arch9wavefront6targetE0EEEvSZ_
		.amdhsa_group_segment_fixed_size 0
		.amdhsa_private_segment_fixed_size 0
		.amdhsa_kernarg_size 176
		.amdhsa_user_sgpr_count 2
		.amdhsa_user_sgpr_dispatch_ptr 0
		.amdhsa_user_sgpr_queue_ptr 0
		.amdhsa_user_sgpr_kernarg_segment_ptr 1
		.amdhsa_user_sgpr_dispatch_id 0
		.amdhsa_user_sgpr_private_segment_size 0
		.amdhsa_wavefront_size32 1
		.amdhsa_uses_dynamic_stack 0
		.amdhsa_enable_private_segment 0
		.amdhsa_system_sgpr_workgroup_id_x 1
		.amdhsa_system_sgpr_workgroup_id_y 0
		.amdhsa_system_sgpr_workgroup_id_z 0
		.amdhsa_system_sgpr_workgroup_info 0
		.amdhsa_system_vgpr_workitem_id 0
		.amdhsa_next_free_vgpr 1
		.amdhsa_next_free_sgpr 1
		.amdhsa_reserve_vcc 0
		.amdhsa_float_round_mode_32 0
		.amdhsa_float_round_mode_16_64 0
		.amdhsa_float_denorm_mode_32 3
		.amdhsa_float_denorm_mode_16_64 3
		.amdhsa_fp16_overflow 0
		.amdhsa_workgroup_processor_mode 1
		.amdhsa_memory_ordered 1
		.amdhsa_forward_progress 1
		.amdhsa_inst_pref_size 0
		.amdhsa_round_robin_scheduling 0
		.amdhsa_exception_fp_ieee_invalid_op 0
		.amdhsa_exception_fp_denorm_src 0
		.amdhsa_exception_fp_ieee_div_zero 0
		.amdhsa_exception_fp_ieee_overflow 0
		.amdhsa_exception_fp_ieee_underflow 0
		.amdhsa_exception_fp_ieee_inexact 0
		.amdhsa_exception_int_div_zero 0
	.end_amdhsa_kernel
	.section	.text._ZN7rocprim17ROCPRIM_400000_NS6detail17trampoline_kernelINS0_13select_configILj256ELj13ELNS0_17block_load_methodE3ELS4_3ELS4_3ELNS0_20block_scan_algorithmE0ELj4294967295EEENS1_25partition_config_selectorILNS1_17partition_subalgoE4EjNS0_10empty_typeEbEEZZNS1_14partition_implILS8_4ELb0ES6_15HIP_vector_typeIjLj2EENS0_17counting_iteratorIjlEEPS9_SG_NS0_5tupleIJPjSI_NS0_16reverse_iteratorISI_EEEEENSH_IJSG_SG_SG_EEES9_SI_JZNS1_25segmented_radix_sort_implINS0_14default_configELb1EPKlPlSQ_SR_N2at6native12_GLOBAL__N_18offset_tEEE10hipError_tPvRmT1_PNSt15iterator_traitsISZ_E10value_typeET2_T3_PNS10_IS15_E10value_typeET4_jRbjT5_S1B_jjP12ihipStream_tbEUljE_ZNSN_ISO_Lb1ESQ_SR_SQ_SR_SV_EESW_SX_SY_SZ_S13_S14_S15_S18_S19_jS1A_jS1B_S1B_jjS1D_bEUljE0_EEESW_SX_SY_S15_S19_S1B_T6_T7_T9_mT8_S1D_bDpT10_ENKUlT_T0_E_clISt17integral_constantIbLb1EES1Q_IbLb0EEEEDaS1M_S1N_EUlS1M_E_NS1_11comp_targetILNS1_3genE4ELNS1_11target_archE910ELNS1_3gpuE8ELNS1_3repE0EEENS1_30default_config_static_selectorELNS0_4arch9wavefront6targetE0EEEvSZ_,"axG",@progbits,_ZN7rocprim17ROCPRIM_400000_NS6detail17trampoline_kernelINS0_13select_configILj256ELj13ELNS0_17block_load_methodE3ELS4_3ELS4_3ELNS0_20block_scan_algorithmE0ELj4294967295EEENS1_25partition_config_selectorILNS1_17partition_subalgoE4EjNS0_10empty_typeEbEEZZNS1_14partition_implILS8_4ELb0ES6_15HIP_vector_typeIjLj2EENS0_17counting_iteratorIjlEEPS9_SG_NS0_5tupleIJPjSI_NS0_16reverse_iteratorISI_EEEEENSH_IJSG_SG_SG_EEES9_SI_JZNS1_25segmented_radix_sort_implINS0_14default_configELb1EPKlPlSQ_SR_N2at6native12_GLOBAL__N_18offset_tEEE10hipError_tPvRmT1_PNSt15iterator_traitsISZ_E10value_typeET2_T3_PNS10_IS15_E10value_typeET4_jRbjT5_S1B_jjP12ihipStream_tbEUljE_ZNSN_ISO_Lb1ESQ_SR_SQ_SR_SV_EESW_SX_SY_SZ_S13_S14_S15_S18_S19_jS1A_jS1B_S1B_jjS1D_bEUljE0_EEESW_SX_SY_S15_S19_S1B_T6_T7_T9_mT8_S1D_bDpT10_ENKUlT_T0_E_clISt17integral_constantIbLb1EES1Q_IbLb0EEEEDaS1M_S1N_EUlS1M_E_NS1_11comp_targetILNS1_3genE4ELNS1_11target_archE910ELNS1_3gpuE8ELNS1_3repE0EEENS1_30default_config_static_selectorELNS0_4arch9wavefront6targetE0EEEvSZ_,comdat
.Lfunc_end658:
	.size	_ZN7rocprim17ROCPRIM_400000_NS6detail17trampoline_kernelINS0_13select_configILj256ELj13ELNS0_17block_load_methodE3ELS4_3ELS4_3ELNS0_20block_scan_algorithmE0ELj4294967295EEENS1_25partition_config_selectorILNS1_17partition_subalgoE4EjNS0_10empty_typeEbEEZZNS1_14partition_implILS8_4ELb0ES6_15HIP_vector_typeIjLj2EENS0_17counting_iteratorIjlEEPS9_SG_NS0_5tupleIJPjSI_NS0_16reverse_iteratorISI_EEEEENSH_IJSG_SG_SG_EEES9_SI_JZNS1_25segmented_radix_sort_implINS0_14default_configELb1EPKlPlSQ_SR_N2at6native12_GLOBAL__N_18offset_tEEE10hipError_tPvRmT1_PNSt15iterator_traitsISZ_E10value_typeET2_T3_PNS10_IS15_E10value_typeET4_jRbjT5_S1B_jjP12ihipStream_tbEUljE_ZNSN_ISO_Lb1ESQ_SR_SQ_SR_SV_EESW_SX_SY_SZ_S13_S14_S15_S18_S19_jS1A_jS1B_S1B_jjS1D_bEUljE0_EEESW_SX_SY_S15_S19_S1B_T6_T7_T9_mT8_S1D_bDpT10_ENKUlT_T0_E_clISt17integral_constantIbLb1EES1Q_IbLb0EEEEDaS1M_S1N_EUlS1M_E_NS1_11comp_targetILNS1_3genE4ELNS1_11target_archE910ELNS1_3gpuE8ELNS1_3repE0EEENS1_30default_config_static_selectorELNS0_4arch9wavefront6targetE0EEEvSZ_, .Lfunc_end658-_ZN7rocprim17ROCPRIM_400000_NS6detail17trampoline_kernelINS0_13select_configILj256ELj13ELNS0_17block_load_methodE3ELS4_3ELS4_3ELNS0_20block_scan_algorithmE0ELj4294967295EEENS1_25partition_config_selectorILNS1_17partition_subalgoE4EjNS0_10empty_typeEbEEZZNS1_14partition_implILS8_4ELb0ES6_15HIP_vector_typeIjLj2EENS0_17counting_iteratorIjlEEPS9_SG_NS0_5tupleIJPjSI_NS0_16reverse_iteratorISI_EEEEENSH_IJSG_SG_SG_EEES9_SI_JZNS1_25segmented_radix_sort_implINS0_14default_configELb1EPKlPlSQ_SR_N2at6native12_GLOBAL__N_18offset_tEEE10hipError_tPvRmT1_PNSt15iterator_traitsISZ_E10value_typeET2_T3_PNS10_IS15_E10value_typeET4_jRbjT5_S1B_jjP12ihipStream_tbEUljE_ZNSN_ISO_Lb1ESQ_SR_SQ_SR_SV_EESW_SX_SY_SZ_S13_S14_S15_S18_S19_jS1A_jS1B_S1B_jjS1D_bEUljE0_EEESW_SX_SY_S15_S19_S1B_T6_T7_T9_mT8_S1D_bDpT10_ENKUlT_T0_E_clISt17integral_constantIbLb1EES1Q_IbLb0EEEEDaS1M_S1N_EUlS1M_E_NS1_11comp_targetILNS1_3genE4ELNS1_11target_archE910ELNS1_3gpuE8ELNS1_3repE0EEENS1_30default_config_static_selectorELNS0_4arch9wavefront6targetE0EEEvSZ_
                                        ; -- End function
	.set _ZN7rocprim17ROCPRIM_400000_NS6detail17trampoline_kernelINS0_13select_configILj256ELj13ELNS0_17block_load_methodE3ELS4_3ELS4_3ELNS0_20block_scan_algorithmE0ELj4294967295EEENS1_25partition_config_selectorILNS1_17partition_subalgoE4EjNS0_10empty_typeEbEEZZNS1_14partition_implILS8_4ELb0ES6_15HIP_vector_typeIjLj2EENS0_17counting_iteratorIjlEEPS9_SG_NS0_5tupleIJPjSI_NS0_16reverse_iteratorISI_EEEEENSH_IJSG_SG_SG_EEES9_SI_JZNS1_25segmented_radix_sort_implINS0_14default_configELb1EPKlPlSQ_SR_N2at6native12_GLOBAL__N_18offset_tEEE10hipError_tPvRmT1_PNSt15iterator_traitsISZ_E10value_typeET2_T3_PNS10_IS15_E10value_typeET4_jRbjT5_S1B_jjP12ihipStream_tbEUljE_ZNSN_ISO_Lb1ESQ_SR_SQ_SR_SV_EESW_SX_SY_SZ_S13_S14_S15_S18_S19_jS1A_jS1B_S1B_jjS1D_bEUljE0_EEESW_SX_SY_S15_S19_S1B_T6_T7_T9_mT8_S1D_bDpT10_ENKUlT_T0_E_clISt17integral_constantIbLb1EES1Q_IbLb0EEEEDaS1M_S1N_EUlS1M_E_NS1_11comp_targetILNS1_3genE4ELNS1_11target_archE910ELNS1_3gpuE8ELNS1_3repE0EEENS1_30default_config_static_selectorELNS0_4arch9wavefront6targetE0EEEvSZ_.num_vgpr, 0
	.set _ZN7rocprim17ROCPRIM_400000_NS6detail17trampoline_kernelINS0_13select_configILj256ELj13ELNS0_17block_load_methodE3ELS4_3ELS4_3ELNS0_20block_scan_algorithmE0ELj4294967295EEENS1_25partition_config_selectorILNS1_17partition_subalgoE4EjNS0_10empty_typeEbEEZZNS1_14partition_implILS8_4ELb0ES6_15HIP_vector_typeIjLj2EENS0_17counting_iteratorIjlEEPS9_SG_NS0_5tupleIJPjSI_NS0_16reverse_iteratorISI_EEEEENSH_IJSG_SG_SG_EEES9_SI_JZNS1_25segmented_radix_sort_implINS0_14default_configELb1EPKlPlSQ_SR_N2at6native12_GLOBAL__N_18offset_tEEE10hipError_tPvRmT1_PNSt15iterator_traitsISZ_E10value_typeET2_T3_PNS10_IS15_E10value_typeET4_jRbjT5_S1B_jjP12ihipStream_tbEUljE_ZNSN_ISO_Lb1ESQ_SR_SQ_SR_SV_EESW_SX_SY_SZ_S13_S14_S15_S18_S19_jS1A_jS1B_S1B_jjS1D_bEUljE0_EEESW_SX_SY_S15_S19_S1B_T6_T7_T9_mT8_S1D_bDpT10_ENKUlT_T0_E_clISt17integral_constantIbLb1EES1Q_IbLb0EEEEDaS1M_S1N_EUlS1M_E_NS1_11comp_targetILNS1_3genE4ELNS1_11target_archE910ELNS1_3gpuE8ELNS1_3repE0EEENS1_30default_config_static_selectorELNS0_4arch9wavefront6targetE0EEEvSZ_.num_agpr, 0
	.set _ZN7rocprim17ROCPRIM_400000_NS6detail17trampoline_kernelINS0_13select_configILj256ELj13ELNS0_17block_load_methodE3ELS4_3ELS4_3ELNS0_20block_scan_algorithmE0ELj4294967295EEENS1_25partition_config_selectorILNS1_17partition_subalgoE4EjNS0_10empty_typeEbEEZZNS1_14partition_implILS8_4ELb0ES6_15HIP_vector_typeIjLj2EENS0_17counting_iteratorIjlEEPS9_SG_NS0_5tupleIJPjSI_NS0_16reverse_iteratorISI_EEEEENSH_IJSG_SG_SG_EEES9_SI_JZNS1_25segmented_radix_sort_implINS0_14default_configELb1EPKlPlSQ_SR_N2at6native12_GLOBAL__N_18offset_tEEE10hipError_tPvRmT1_PNSt15iterator_traitsISZ_E10value_typeET2_T3_PNS10_IS15_E10value_typeET4_jRbjT5_S1B_jjP12ihipStream_tbEUljE_ZNSN_ISO_Lb1ESQ_SR_SQ_SR_SV_EESW_SX_SY_SZ_S13_S14_S15_S18_S19_jS1A_jS1B_S1B_jjS1D_bEUljE0_EEESW_SX_SY_S15_S19_S1B_T6_T7_T9_mT8_S1D_bDpT10_ENKUlT_T0_E_clISt17integral_constantIbLb1EES1Q_IbLb0EEEEDaS1M_S1N_EUlS1M_E_NS1_11comp_targetILNS1_3genE4ELNS1_11target_archE910ELNS1_3gpuE8ELNS1_3repE0EEENS1_30default_config_static_selectorELNS0_4arch9wavefront6targetE0EEEvSZ_.numbered_sgpr, 0
	.set _ZN7rocprim17ROCPRIM_400000_NS6detail17trampoline_kernelINS0_13select_configILj256ELj13ELNS0_17block_load_methodE3ELS4_3ELS4_3ELNS0_20block_scan_algorithmE0ELj4294967295EEENS1_25partition_config_selectorILNS1_17partition_subalgoE4EjNS0_10empty_typeEbEEZZNS1_14partition_implILS8_4ELb0ES6_15HIP_vector_typeIjLj2EENS0_17counting_iteratorIjlEEPS9_SG_NS0_5tupleIJPjSI_NS0_16reverse_iteratorISI_EEEEENSH_IJSG_SG_SG_EEES9_SI_JZNS1_25segmented_radix_sort_implINS0_14default_configELb1EPKlPlSQ_SR_N2at6native12_GLOBAL__N_18offset_tEEE10hipError_tPvRmT1_PNSt15iterator_traitsISZ_E10value_typeET2_T3_PNS10_IS15_E10value_typeET4_jRbjT5_S1B_jjP12ihipStream_tbEUljE_ZNSN_ISO_Lb1ESQ_SR_SQ_SR_SV_EESW_SX_SY_SZ_S13_S14_S15_S18_S19_jS1A_jS1B_S1B_jjS1D_bEUljE0_EEESW_SX_SY_S15_S19_S1B_T6_T7_T9_mT8_S1D_bDpT10_ENKUlT_T0_E_clISt17integral_constantIbLb1EES1Q_IbLb0EEEEDaS1M_S1N_EUlS1M_E_NS1_11comp_targetILNS1_3genE4ELNS1_11target_archE910ELNS1_3gpuE8ELNS1_3repE0EEENS1_30default_config_static_selectorELNS0_4arch9wavefront6targetE0EEEvSZ_.num_named_barrier, 0
	.set _ZN7rocprim17ROCPRIM_400000_NS6detail17trampoline_kernelINS0_13select_configILj256ELj13ELNS0_17block_load_methodE3ELS4_3ELS4_3ELNS0_20block_scan_algorithmE0ELj4294967295EEENS1_25partition_config_selectorILNS1_17partition_subalgoE4EjNS0_10empty_typeEbEEZZNS1_14partition_implILS8_4ELb0ES6_15HIP_vector_typeIjLj2EENS0_17counting_iteratorIjlEEPS9_SG_NS0_5tupleIJPjSI_NS0_16reverse_iteratorISI_EEEEENSH_IJSG_SG_SG_EEES9_SI_JZNS1_25segmented_radix_sort_implINS0_14default_configELb1EPKlPlSQ_SR_N2at6native12_GLOBAL__N_18offset_tEEE10hipError_tPvRmT1_PNSt15iterator_traitsISZ_E10value_typeET2_T3_PNS10_IS15_E10value_typeET4_jRbjT5_S1B_jjP12ihipStream_tbEUljE_ZNSN_ISO_Lb1ESQ_SR_SQ_SR_SV_EESW_SX_SY_SZ_S13_S14_S15_S18_S19_jS1A_jS1B_S1B_jjS1D_bEUljE0_EEESW_SX_SY_S15_S19_S1B_T6_T7_T9_mT8_S1D_bDpT10_ENKUlT_T0_E_clISt17integral_constantIbLb1EES1Q_IbLb0EEEEDaS1M_S1N_EUlS1M_E_NS1_11comp_targetILNS1_3genE4ELNS1_11target_archE910ELNS1_3gpuE8ELNS1_3repE0EEENS1_30default_config_static_selectorELNS0_4arch9wavefront6targetE0EEEvSZ_.private_seg_size, 0
	.set _ZN7rocprim17ROCPRIM_400000_NS6detail17trampoline_kernelINS0_13select_configILj256ELj13ELNS0_17block_load_methodE3ELS4_3ELS4_3ELNS0_20block_scan_algorithmE0ELj4294967295EEENS1_25partition_config_selectorILNS1_17partition_subalgoE4EjNS0_10empty_typeEbEEZZNS1_14partition_implILS8_4ELb0ES6_15HIP_vector_typeIjLj2EENS0_17counting_iteratorIjlEEPS9_SG_NS0_5tupleIJPjSI_NS0_16reverse_iteratorISI_EEEEENSH_IJSG_SG_SG_EEES9_SI_JZNS1_25segmented_radix_sort_implINS0_14default_configELb1EPKlPlSQ_SR_N2at6native12_GLOBAL__N_18offset_tEEE10hipError_tPvRmT1_PNSt15iterator_traitsISZ_E10value_typeET2_T3_PNS10_IS15_E10value_typeET4_jRbjT5_S1B_jjP12ihipStream_tbEUljE_ZNSN_ISO_Lb1ESQ_SR_SQ_SR_SV_EESW_SX_SY_SZ_S13_S14_S15_S18_S19_jS1A_jS1B_S1B_jjS1D_bEUljE0_EEESW_SX_SY_S15_S19_S1B_T6_T7_T9_mT8_S1D_bDpT10_ENKUlT_T0_E_clISt17integral_constantIbLb1EES1Q_IbLb0EEEEDaS1M_S1N_EUlS1M_E_NS1_11comp_targetILNS1_3genE4ELNS1_11target_archE910ELNS1_3gpuE8ELNS1_3repE0EEENS1_30default_config_static_selectorELNS0_4arch9wavefront6targetE0EEEvSZ_.uses_vcc, 0
	.set _ZN7rocprim17ROCPRIM_400000_NS6detail17trampoline_kernelINS0_13select_configILj256ELj13ELNS0_17block_load_methodE3ELS4_3ELS4_3ELNS0_20block_scan_algorithmE0ELj4294967295EEENS1_25partition_config_selectorILNS1_17partition_subalgoE4EjNS0_10empty_typeEbEEZZNS1_14partition_implILS8_4ELb0ES6_15HIP_vector_typeIjLj2EENS0_17counting_iteratorIjlEEPS9_SG_NS0_5tupleIJPjSI_NS0_16reverse_iteratorISI_EEEEENSH_IJSG_SG_SG_EEES9_SI_JZNS1_25segmented_radix_sort_implINS0_14default_configELb1EPKlPlSQ_SR_N2at6native12_GLOBAL__N_18offset_tEEE10hipError_tPvRmT1_PNSt15iterator_traitsISZ_E10value_typeET2_T3_PNS10_IS15_E10value_typeET4_jRbjT5_S1B_jjP12ihipStream_tbEUljE_ZNSN_ISO_Lb1ESQ_SR_SQ_SR_SV_EESW_SX_SY_SZ_S13_S14_S15_S18_S19_jS1A_jS1B_S1B_jjS1D_bEUljE0_EEESW_SX_SY_S15_S19_S1B_T6_T7_T9_mT8_S1D_bDpT10_ENKUlT_T0_E_clISt17integral_constantIbLb1EES1Q_IbLb0EEEEDaS1M_S1N_EUlS1M_E_NS1_11comp_targetILNS1_3genE4ELNS1_11target_archE910ELNS1_3gpuE8ELNS1_3repE0EEENS1_30default_config_static_selectorELNS0_4arch9wavefront6targetE0EEEvSZ_.uses_flat_scratch, 0
	.set _ZN7rocprim17ROCPRIM_400000_NS6detail17trampoline_kernelINS0_13select_configILj256ELj13ELNS0_17block_load_methodE3ELS4_3ELS4_3ELNS0_20block_scan_algorithmE0ELj4294967295EEENS1_25partition_config_selectorILNS1_17partition_subalgoE4EjNS0_10empty_typeEbEEZZNS1_14partition_implILS8_4ELb0ES6_15HIP_vector_typeIjLj2EENS0_17counting_iteratorIjlEEPS9_SG_NS0_5tupleIJPjSI_NS0_16reverse_iteratorISI_EEEEENSH_IJSG_SG_SG_EEES9_SI_JZNS1_25segmented_radix_sort_implINS0_14default_configELb1EPKlPlSQ_SR_N2at6native12_GLOBAL__N_18offset_tEEE10hipError_tPvRmT1_PNSt15iterator_traitsISZ_E10value_typeET2_T3_PNS10_IS15_E10value_typeET4_jRbjT5_S1B_jjP12ihipStream_tbEUljE_ZNSN_ISO_Lb1ESQ_SR_SQ_SR_SV_EESW_SX_SY_SZ_S13_S14_S15_S18_S19_jS1A_jS1B_S1B_jjS1D_bEUljE0_EEESW_SX_SY_S15_S19_S1B_T6_T7_T9_mT8_S1D_bDpT10_ENKUlT_T0_E_clISt17integral_constantIbLb1EES1Q_IbLb0EEEEDaS1M_S1N_EUlS1M_E_NS1_11comp_targetILNS1_3genE4ELNS1_11target_archE910ELNS1_3gpuE8ELNS1_3repE0EEENS1_30default_config_static_selectorELNS0_4arch9wavefront6targetE0EEEvSZ_.has_dyn_sized_stack, 0
	.set _ZN7rocprim17ROCPRIM_400000_NS6detail17trampoline_kernelINS0_13select_configILj256ELj13ELNS0_17block_load_methodE3ELS4_3ELS4_3ELNS0_20block_scan_algorithmE0ELj4294967295EEENS1_25partition_config_selectorILNS1_17partition_subalgoE4EjNS0_10empty_typeEbEEZZNS1_14partition_implILS8_4ELb0ES6_15HIP_vector_typeIjLj2EENS0_17counting_iteratorIjlEEPS9_SG_NS0_5tupleIJPjSI_NS0_16reverse_iteratorISI_EEEEENSH_IJSG_SG_SG_EEES9_SI_JZNS1_25segmented_radix_sort_implINS0_14default_configELb1EPKlPlSQ_SR_N2at6native12_GLOBAL__N_18offset_tEEE10hipError_tPvRmT1_PNSt15iterator_traitsISZ_E10value_typeET2_T3_PNS10_IS15_E10value_typeET4_jRbjT5_S1B_jjP12ihipStream_tbEUljE_ZNSN_ISO_Lb1ESQ_SR_SQ_SR_SV_EESW_SX_SY_SZ_S13_S14_S15_S18_S19_jS1A_jS1B_S1B_jjS1D_bEUljE0_EEESW_SX_SY_S15_S19_S1B_T6_T7_T9_mT8_S1D_bDpT10_ENKUlT_T0_E_clISt17integral_constantIbLb1EES1Q_IbLb0EEEEDaS1M_S1N_EUlS1M_E_NS1_11comp_targetILNS1_3genE4ELNS1_11target_archE910ELNS1_3gpuE8ELNS1_3repE0EEENS1_30default_config_static_selectorELNS0_4arch9wavefront6targetE0EEEvSZ_.has_recursion, 0
	.set _ZN7rocprim17ROCPRIM_400000_NS6detail17trampoline_kernelINS0_13select_configILj256ELj13ELNS0_17block_load_methodE3ELS4_3ELS4_3ELNS0_20block_scan_algorithmE0ELj4294967295EEENS1_25partition_config_selectorILNS1_17partition_subalgoE4EjNS0_10empty_typeEbEEZZNS1_14partition_implILS8_4ELb0ES6_15HIP_vector_typeIjLj2EENS0_17counting_iteratorIjlEEPS9_SG_NS0_5tupleIJPjSI_NS0_16reverse_iteratorISI_EEEEENSH_IJSG_SG_SG_EEES9_SI_JZNS1_25segmented_radix_sort_implINS0_14default_configELb1EPKlPlSQ_SR_N2at6native12_GLOBAL__N_18offset_tEEE10hipError_tPvRmT1_PNSt15iterator_traitsISZ_E10value_typeET2_T3_PNS10_IS15_E10value_typeET4_jRbjT5_S1B_jjP12ihipStream_tbEUljE_ZNSN_ISO_Lb1ESQ_SR_SQ_SR_SV_EESW_SX_SY_SZ_S13_S14_S15_S18_S19_jS1A_jS1B_S1B_jjS1D_bEUljE0_EEESW_SX_SY_S15_S19_S1B_T6_T7_T9_mT8_S1D_bDpT10_ENKUlT_T0_E_clISt17integral_constantIbLb1EES1Q_IbLb0EEEEDaS1M_S1N_EUlS1M_E_NS1_11comp_targetILNS1_3genE4ELNS1_11target_archE910ELNS1_3gpuE8ELNS1_3repE0EEENS1_30default_config_static_selectorELNS0_4arch9wavefront6targetE0EEEvSZ_.has_indirect_call, 0
	.section	.AMDGPU.csdata,"",@progbits
; Kernel info:
; codeLenInByte = 0
; TotalNumSgprs: 0
; NumVgprs: 0
; ScratchSize: 0
; MemoryBound: 0
; FloatMode: 240
; IeeeMode: 1
; LDSByteSize: 0 bytes/workgroup (compile time only)
; SGPRBlocks: 0
; VGPRBlocks: 0
; NumSGPRsForWavesPerEU: 1
; NumVGPRsForWavesPerEU: 1
; Occupancy: 16
; WaveLimiterHint : 0
; COMPUTE_PGM_RSRC2:SCRATCH_EN: 0
; COMPUTE_PGM_RSRC2:USER_SGPR: 2
; COMPUTE_PGM_RSRC2:TRAP_HANDLER: 0
; COMPUTE_PGM_RSRC2:TGID_X_EN: 1
; COMPUTE_PGM_RSRC2:TGID_Y_EN: 0
; COMPUTE_PGM_RSRC2:TGID_Z_EN: 0
; COMPUTE_PGM_RSRC2:TIDIG_COMP_CNT: 0
	.section	.text._ZN7rocprim17ROCPRIM_400000_NS6detail17trampoline_kernelINS0_13select_configILj256ELj13ELNS0_17block_load_methodE3ELS4_3ELS4_3ELNS0_20block_scan_algorithmE0ELj4294967295EEENS1_25partition_config_selectorILNS1_17partition_subalgoE4EjNS0_10empty_typeEbEEZZNS1_14partition_implILS8_4ELb0ES6_15HIP_vector_typeIjLj2EENS0_17counting_iteratorIjlEEPS9_SG_NS0_5tupleIJPjSI_NS0_16reverse_iteratorISI_EEEEENSH_IJSG_SG_SG_EEES9_SI_JZNS1_25segmented_radix_sort_implINS0_14default_configELb1EPKlPlSQ_SR_N2at6native12_GLOBAL__N_18offset_tEEE10hipError_tPvRmT1_PNSt15iterator_traitsISZ_E10value_typeET2_T3_PNS10_IS15_E10value_typeET4_jRbjT5_S1B_jjP12ihipStream_tbEUljE_ZNSN_ISO_Lb1ESQ_SR_SQ_SR_SV_EESW_SX_SY_SZ_S13_S14_S15_S18_S19_jS1A_jS1B_S1B_jjS1D_bEUljE0_EEESW_SX_SY_S15_S19_S1B_T6_T7_T9_mT8_S1D_bDpT10_ENKUlT_T0_E_clISt17integral_constantIbLb1EES1Q_IbLb0EEEEDaS1M_S1N_EUlS1M_E_NS1_11comp_targetILNS1_3genE3ELNS1_11target_archE908ELNS1_3gpuE7ELNS1_3repE0EEENS1_30default_config_static_selectorELNS0_4arch9wavefront6targetE0EEEvSZ_,"axG",@progbits,_ZN7rocprim17ROCPRIM_400000_NS6detail17trampoline_kernelINS0_13select_configILj256ELj13ELNS0_17block_load_methodE3ELS4_3ELS4_3ELNS0_20block_scan_algorithmE0ELj4294967295EEENS1_25partition_config_selectorILNS1_17partition_subalgoE4EjNS0_10empty_typeEbEEZZNS1_14partition_implILS8_4ELb0ES6_15HIP_vector_typeIjLj2EENS0_17counting_iteratorIjlEEPS9_SG_NS0_5tupleIJPjSI_NS0_16reverse_iteratorISI_EEEEENSH_IJSG_SG_SG_EEES9_SI_JZNS1_25segmented_radix_sort_implINS0_14default_configELb1EPKlPlSQ_SR_N2at6native12_GLOBAL__N_18offset_tEEE10hipError_tPvRmT1_PNSt15iterator_traitsISZ_E10value_typeET2_T3_PNS10_IS15_E10value_typeET4_jRbjT5_S1B_jjP12ihipStream_tbEUljE_ZNSN_ISO_Lb1ESQ_SR_SQ_SR_SV_EESW_SX_SY_SZ_S13_S14_S15_S18_S19_jS1A_jS1B_S1B_jjS1D_bEUljE0_EEESW_SX_SY_S15_S19_S1B_T6_T7_T9_mT8_S1D_bDpT10_ENKUlT_T0_E_clISt17integral_constantIbLb1EES1Q_IbLb0EEEEDaS1M_S1N_EUlS1M_E_NS1_11comp_targetILNS1_3genE3ELNS1_11target_archE908ELNS1_3gpuE7ELNS1_3repE0EEENS1_30default_config_static_selectorELNS0_4arch9wavefront6targetE0EEEvSZ_,comdat
	.globl	_ZN7rocprim17ROCPRIM_400000_NS6detail17trampoline_kernelINS0_13select_configILj256ELj13ELNS0_17block_load_methodE3ELS4_3ELS4_3ELNS0_20block_scan_algorithmE0ELj4294967295EEENS1_25partition_config_selectorILNS1_17partition_subalgoE4EjNS0_10empty_typeEbEEZZNS1_14partition_implILS8_4ELb0ES6_15HIP_vector_typeIjLj2EENS0_17counting_iteratorIjlEEPS9_SG_NS0_5tupleIJPjSI_NS0_16reverse_iteratorISI_EEEEENSH_IJSG_SG_SG_EEES9_SI_JZNS1_25segmented_radix_sort_implINS0_14default_configELb1EPKlPlSQ_SR_N2at6native12_GLOBAL__N_18offset_tEEE10hipError_tPvRmT1_PNSt15iterator_traitsISZ_E10value_typeET2_T3_PNS10_IS15_E10value_typeET4_jRbjT5_S1B_jjP12ihipStream_tbEUljE_ZNSN_ISO_Lb1ESQ_SR_SQ_SR_SV_EESW_SX_SY_SZ_S13_S14_S15_S18_S19_jS1A_jS1B_S1B_jjS1D_bEUljE0_EEESW_SX_SY_S15_S19_S1B_T6_T7_T9_mT8_S1D_bDpT10_ENKUlT_T0_E_clISt17integral_constantIbLb1EES1Q_IbLb0EEEEDaS1M_S1N_EUlS1M_E_NS1_11comp_targetILNS1_3genE3ELNS1_11target_archE908ELNS1_3gpuE7ELNS1_3repE0EEENS1_30default_config_static_selectorELNS0_4arch9wavefront6targetE0EEEvSZ_ ; -- Begin function _ZN7rocprim17ROCPRIM_400000_NS6detail17trampoline_kernelINS0_13select_configILj256ELj13ELNS0_17block_load_methodE3ELS4_3ELS4_3ELNS0_20block_scan_algorithmE0ELj4294967295EEENS1_25partition_config_selectorILNS1_17partition_subalgoE4EjNS0_10empty_typeEbEEZZNS1_14partition_implILS8_4ELb0ES6_15HIP_vector_typeIjLj2EENS0_17counting_iteratorIjlEEPS9_SG_NS0_5tupleIJPjSI_NS0_16reverse_iteratorISI_EEEEENSH_IJSG_SG_SG_EEES9_SI_JZNS1_25segmented_radix_sort_implINS0_14default_configELb1EPKlPlSQ_SR_N2at6native12_GLOBAL__N_18offset_tEEE10hipError_tPvRmT1_PNSt15iterator_traitsISZ_E10value_typeET2_T3_PNS10_IS15_E10value_typeET4_jRbjT5_S1B_jjP12ihipStream_tbEUljE_ZNSN_ISO_Lb1ESQ_SR_SQ_SR_SV_EESW_SX_SY_SZ_S13_S14_S15_S18_S19_jS1A_jS1B_S1B_jjS1D_bEUljE0_EEESW_SX_SY_S15_S19_S1B_T6_T7_T9_mT8_S1D_bDpT10_ENKUlT_T0_E_clISt17integral_constantIbLb1EES1Q_IbLb0EEEEDaS1M_S1N_EUlS1M_E_NS1_11comp_targetILNS1_3genE3ELNS1_11target_archE908ELNS1_3gpuE7ELNS1_3repE0EEENS1_30default_config_static_selectorELNS0_4arch9wavefront6targetE0EEEvSZ_
	.p2align	8
	.type	_ZN7rocprim17ROCPRIM_400000_NS6detail17trampoline_kernelINS0_13select_configILj256ELj13ELNS0_17block_load_methodE3ELS4_3ELS4_3ELNS0_20block_scan_algorithmE0ELj4294967295EEENS1_25partition_config_selectorILNS1_17partition_subalgoE4EjNS0_10empty_typeEbEEZZNS1_14partition_implILS8_4ELb0ES6_15HIP_vector_typeIjLj2EENS0_17counting_iteratorIjlEEPS9_SG_NS0_5tupleIJPjSI_NS0_16reverse_iteratorISI_EEEEENSH_IJSG_SG_SG_EEES9_SI_JZNS1_25segmented_radix_sort_implINS0_14default_configELb1EPKlPlSQ_SR_N2at6native12_GLOBAL__N_18offset_tEEE10hipError_tPvRmT1_PNSt15iterator_traitsISZ_E10value_typeET2_T3_PNS10_IS15_E10value_typeET4_jRbjT5_S1B_jjP12ihipStream_tbEUljE_ZNSN_ISO_Lb1ESQ_SR_SQ_SR_SV_EESW_SX_SY_SZ_S13_S14_S15_S18_S19_jS1A_jS1B_S1B_jjS1D_bEUljE0_EEESW_SX_SY_S15_S19_S1B_T6_T7_T9_mT8_S1D_bDpT10_ENKUlT_T0_E_clISt17integral_constantIbLb1EES1Q_IbLb0EEEEDaS1M_S1N_EUlS1M_E_NS1_11comp_targetILNS1_3genE3ELNS1_11target_archE908ELNS1_3gpuE7ELNS1_3repE0EEENS1_30default_config_static_selectorELNS0_4arch9wavefront6targetE0EEEvSZ_,@function
_ZN7rocprim17ROCPRIM_400000_NS6detail17trampoline_kernelINS0_13select_configILj256ELj13ELNS0_17block_load_methodE3ELS4_3ELS4_3ELNS0_20block_scan_algorithmE0ELj4294967295EEENS1_25partition_config_selectorILNS1_17partition_subalgoE4EjNS0_10empty_typeEbEEZZNS1_14partition_implILS8_4ELb0ES6_15HIP_vector_typeIjLj2EENS0_17counting_iteratorIjlEEPS9_SG_NS0_5tupleIJPjSI_NS0_16reverse_iteratorISI_EEEEENSH_IJSG_SG_SG_EEES9_SI_JZNS1_25segmented_radix_sort_implINS0_14default_configELb1EPKlPlSQ_SR_N2at6native12_GLOBAL__N_18offset_tEEE10hipError_tPvRmT1_PNSt15iterator_traitsISZ_E10value_typeET2_T3_PNS10_IS15_E10value_typeET4_jRbjT5_S1B_jjP12ihipStream_tbEUljE_ZNSN_ISO_Lb1ESQ_SR_SQ_SR_SV_EESW_SX_SY_SZ_S13_S14_S15_S18_S19_jS1A_jS1B_S1B_jjS1D_bEUljE0_EEESW_SX_SY_S15_S19_S1B_T6_T7_T9_mT8_S1D_bDpT10_ENKUlT_T0_E_clISt17integral_constantIbLb1EES1Q_IbLb0EEEEDaS1M_S1N_EUlS1M_E_NS1_11comp_targetILNS1_3genE3ELNS1_11target_archE908ELNS1_3gpuE7ELNS1_3repE0EEENS1_30default_config_static_selectorELNS0_4arch9wavefront6targetE0EEEvSZ_: ; @_ZN7rocprim17ROCPRIM_400000_NS6detail17trampoline_kernelINS0_13select_configILj256ELj13ELNS0_17block_load_methodE3ELS4_3ELS4_3ELNS0_20block_scan_algorithmE0ELj4294967295EEENS1_25partition_config_selectorILNS1_17partition_subalgoE4EjNS0_10empty_typeEbEEZZNS1_14partition_implILS8_4ELb0ES6_15HIP_vector_typeIjLj2EENS0_17counting_iteratorIjlEEPS9_SG_NS0_5tupleIJPjSI_NS0_16reverse_iteratorISI_EEEEENSH_IJSG_SG_SG_EEES9_SI_JZNS1_25segmented_radix_sort_implINS0_14default_configELb1EPKlPlSQ_SR_N2at6native12_GLOBAL__N_18offset_tEEE10hipError_tPvRmT1_PNSt15iterator_traitsISZ_E10value_typeET2_T3_PNS10_IS15_E10value_typeET4_jRbjT5_S1B_jjP12ihipStream_tbEUljE_ZNSN_ISO_Lb1ESQ_SR_SQ_SR_SV_EESW_SX_SY_SZ_S13_S14_S15_S18_S19_jS1A_jS1B_S1B_jjS1D_bEUljE0_EEESW_SX_SY_S15_S19_S1B_T6_T7_T9_mT8_S1D_bDpT10_ENKUlT_T0_E_clISt17integral_constantIbLb1EES1Q_IbLb0EEEEDaS1M_S1N_EUlS1M_E_NS1_11comp_targetILNS1_3genE3ELNS1_11target_archE908ELNS1_3gpuE7ELNS1_3repE0EEENS1_30default_config_static_selectorELNS0_4arch9wavefront6targetE0EEEvSZ_
; %bb.0:
	.section	.rodata,"a",@progbits
	.p2align	6, 0x0
	.amdhsa_kernel _ZN7rocprim17ROCPRIM_400000_NS6detail17trampoline_kernelINS0_13select_configILj256ELj13ELNS0_17block_load_methodE3ELS4_3ELS4_3ELNS0_20block_scan_algorithmE0ELj4294967295EEENS1_25partition_config_selectorILNS1_17partition_subalgoE4EjNS0_10empty_typeEbEEZZNS1_14partition_implILS8_4ELb0ES6_15HIP_vector_typeIjLj2EENS0_17counting_iteratorIjlEEPS9_SG_NS0_5tupleIJPjSI_NS0_16reverse_iteratorISI_EEEEENSH_IJSG_SG_SG_EEES9_SI_JZNS1_25segmented_radix_sort_implINS0_14default_configELb1EPKlPlSQ_SR_N2at6native12_GLOBAL__N_18offset_tEEE10hipError_tPvRmT1_PNSt15iterator_traitsISZ_E10value_typeET2_T3_PNS10_IS15_E10value_typeET4_jRbjT5_S1B_jjP12ihipStream_tbEUljE_ZNSN_ISO_Lb1ESQ_SR_SQ_SR_SV_EESW_SX_SY_SZ_S13_S14_S15_S18_S19_jS1A_jS1B_S1B_jjS1D_bEUljE0_EEESW_SX_SY_S15_S19_S1B_T6_T7_T9_mT8_S1D_bDpT10_ENKUlT_T0_E_clISt17integral_constantIbLb1EES1Q_IbLb0EEEEDaS1M_S1N_EUlS1M_E_NS1_11comp_targetILNS1_3genE3ELNS1_11target_archE908ELNS1_3gpuE7ELNS1_3repE0EEENS1_30default_config_static_selectorELNS0_4arch9wavefront6targetE0EEEvSZ_
		.amdhsa_group_segment_fixed_size 0
		.amdhsa_private_segment_fixed_size 0
		.amdhsa_kernarg_size 176
		.amdhsa_user_sgpr_count 2
		.amdhsa_user_sgpr_dispatch_ptr 0
		.amdhsa_user_sgpr_queue_ptr 0
		.amdhsa_user_sgpr_kernarg_segment_ptr 1
		.amdhsa_user_sgpr_dispatch_id 0
		.amdhsa_user_sgpr_private_segment_size 0
		.amdhsa_wavefront_size32 1
		.amdhsa_uses_dynamic_stack 0
		.amdhsa_enable_private_segment 0
		.amdhsa_system_sgpr_workgroup_id_x 1
		.amdhsa_system_sgpr_workgroup_id_y 0
		.amdhsa_system_sgpr_workgroup_id_z 0
		.amdhsa_system_sgpr_workgroup_info 0
		.amdhsa_system_vgpr_workitem_id 0
		.amdhsa_next_free_vgpr 1
		.amdhsa_next_free_sgpr 1
		.amdhsa_reserve_vcc 0
		.amdhsa_float_round_mode_32 0
		.amdhsa_float_round_mode_16_64 0
		.amdhsa_float_denorm_mode_32 3
		.amdhsa_float_denorm_mode_16_64 3
		.amdhsa_fp16_overflow 0
		.amdhsa_workgroup_processor_mode 1
		.amdhsa_memory_ordered 1
		.amdhsa_forward_progress 1
		.amdhsa_inst_pref_size 0
		.amdhsa_round_robin_scheduling 0
		.amdhsa_exception_fp_ieee_invalid_op 0
		.amdhsa_exception_fp_denorm_src 0
		.amdhsa_exception_fp_ieee_div_zero 0
		.amdhsa_exception_fp_ieee_overflow 0
		.amdhsa_exception_fp_ieee_underflow 0
		.amdhsa_exception_fp_ieee_inexact 0
		.amdhsa_exception_int_div_zero 0
	.end_amdhsa_kernel
	.section	.text._ZN7rocprim17ROCPRIM_400000_NS6detail17trampoline_kernelINS0_13select_configILj256ELj13ELNS0_17block_load_methodE3ELS4_3ELS4_3ELNS0_20block_scan_algorithmE0ELj4294967295EEENS1_25partition_config_selectorILNS1_17partition_subalgoE4EjNS0_10empty_typeEbEEZZNS1_14partition_implILS8_4ELb0ES6_15HIP_vector_typeIjLj2EENS0_17counting_iteratorIjlEEPS9_SG_NS0_5tupleIJPjSI_NS0_16reverse_iteratorISI_EEEEENSH_IJSG_SG_SG_EEES9_SI_JZNS1_25segmented_radix_sort_implINS0_14default_configELb1EPKlPlSQ_SR_N2at6native12_GLOBAL__N_18offset_tEEE10hipError_tPvRmT1_PNSt15iterator_traitsISZ_E10value_typeET2_T3_PNS10_IS15_E10value_typeET4_jRbjT5_S1B_jjP12ihipStream_tbEUljE_ZNSN_ISO_Lb1ESQ_SR_SQ_SR_SV_EESW_SX_SY_SZ_S13_S14_S15_S18_S19_jS1A_jS1B_S1B_jjS1D_bEUljE0_EEESW_SX_SY_S15_S19_S1B_T6_T7_T9_mT8_S1D_bDpT10_ENKUlT_T0_E_clISt17integral_constantIbLb1EES1Q_IbLb0EEEEDaS1M_S1N_EUlS1M_E_NS1_11comp_targetILNS1_3genE3ELNS1_11target_archE908ELNS1_3gpuE7ELNS1_3repE0EEENS1_30default_config_static_selectorELNS0_4arch9wavefront6targetE0EEEvSZ_,"axG",@progbits,_ZN7rocprim17ROCPRIM_400000_NS6detail17trampoline_kernelINS0_13select_configILj256ELj13ELNS0_17block_load_methodE3ELS4_3ELS4_3ELNS0_20block_scan_algorithmE0ELj4294967295EEENS1_25partition_config_selectorILNS1_17partition_subalgoE4EjNS0_10empty_typeEbEEZZNS1_14partition_implILS8_4ELb0ES6_15HIP_vector_typeIjLj2EENS0_17counting_iteratorIjlEEPS9_SG_NS0_5tupleIJPjSI_NS0_16reverse_iteratorISI_EEEEENSH_IJSG_SG_SG_EEES9_SI_JZNS1_25segmented_radix_sort_implINS0_14default_configELb1EPKlPlSQ_SR_N2at6native12_GLOBAL__N_18offset_tEEE10hipError_tPvRmT1_PNSt15iterator_traitsISZ_E10value_typeET2_T3_PNS10_IS15_E10value_typeET4_jRbjT5_S1B_jjP12ihipStream_tbEUljE_ZNSN_ISO_Lb1ESQ_SR_SQ_SR_SV_EESW_SX_SY_SZ_S13_S14_S15_S18_S19_jS1A_jS1B_S1B_jjS1D_bEUljE0_EEESW_SX_SY_S15_S19_S1B_T6_T7_T9_mT8_S1D_bDpT10_ENKUlT_T0_E_clISt17integral_constantIbLb1EES1Q_IbLb0EEEEDaS1M_S1N_EUlS1M_E_NS1_11comp_targetILNS1_3genE3ELNS1_11target_archE908ELNS1_3gpuE7ELNS1_3repE0EEENS1_30default_config_static_selectorELNS0_4arch9wavefront6targetE0EEEvSZ_,comdat
.Lfunc_end659:
	.size	_ZN7rocprim17ROCPRIM_400000_NS6detail17trampoline_kernelINS0_13select_configILj256ELj13ELNS0_17block_load_methodE3ELS4_3ELS4_3ELNS0_20block_scan_algorithmE0ELj4294967295EEENS1_25partition_config_selectorILNS1_17partition_subalgoE4EjNS0_10empty_typeEbEEZZNS1_14partition_implILS8_4ELb0ES6_15HIP_vector_typeIjLj2EENS0_17counting_iteratorIjlEEPS9_SG_NS0_5tupleIJPjSI_NS0_16reverse_iteratorISI_EEEEENSH_IJSG_SG_SG_EEES9_SI_JZNS1_25segmented_radix_sort_implINS0_14default_configELb1EPKlPlSQ_SR_N2at6native12_GLOBAL__N_18offset_tEEE10hipError_tPvRmT1_PNSt15iterator_traitsISZ_E10value_typeET2_T3_PNS10_IS15_E10value_typeET4_jRbjT5_S1B_jjP12ihipStream_tbEUljE_ZNSN_ISO_Lb1ESQ_SR_SQ_SR_SV_EESW_SX_SY_SZ_S13_S14_S15_S18_S19_jS1A_jS1B_S1B_jjS1D_bEUljE0_EEESW_SX_SY_S15_S19_S1B_T6_T7_T9_mT8_S1D_bDpT10_ENKUlT_T0_E_clISt17integral_constantIbLb1EES1Q_IbLb0EEEEDaS1M_S1N_EUlS1M_E_NS1_11comp_targetILNS1_3genE3ELNS1_11target_archE908ELNS1_3gpuE7ELNS1_3repE0EEENS1_30default_config_static_selectorELNS0_4arch9wavefront6targetE0EEEvSZ_, .Lfunc_end659-_ZN7rocprim17ROCPRIM_400000_NS6detail17trampoline_kernelINS0_13select_configILj256ELj13ELNS0_17block_load_methodE3ELS4_3ELS4_3ELNS0_20block_scan_algorithmE0ELj4294967295EEENS1_25partition_config_selectorILNS1_17partition_subalgoE4EjNS0_10empty_typeEbEEZZNS1_14partition_implILS8_4ELb0ES6_15HIP_vector_typeIjLj2EENS0_17counting_iteratorIjlEEPS9_SG_NS0_5tupleIJPjSI_NS0_16reverse_iteratorISI_EEEEENSH_IJSG_SG_SG_EEES9_SI_JZNS1_25segmented_radix_sort_implINS0_14default_configELb1EPKlPlSQ_SR_N2at6native12_GLOBAL__N_18offset_tEEE10hipError_tPvRmT1_PNSt15iterator_traitsISZ_E10value_typeET2_T3_PNS10_IS15_E10value_typeET4_jRbjT5_S1B_jjP12ihipStream_tbEUljE_ZNSN_ISO_Lb1ESQ_SR_SQ_SR_SV_EESW_SX_SY_SZ_S13_S14_S15_S18_S19_jS1A_jS1B_S1B_jjS1D_bEUljE0_EEESW_SX_SY_S15_S19_S1B_T6_T7_T9_mT8_S1D_bDpT10_ENKUlT_T0_E_clISt17integral_constantIbLb1EES1Q_IbLb0EEEEDaS1M_S1N_EUlS1M_E_NS1_11comp_targetILNS1_3genE3ELNS1_11target_archE908ELNS1_3gpuE7ELNS1_3repE0EEENS1_30default_config_static_selectorELNS0_4arch9wavefront6targetE0EEEvSZ_
                                        ; -- End function
	.set _ZN7rocprim17ROCPRIM_400000_NS6detail17trampoline_kernelINS0_13select_configILj256ELj13ELNS0_17block_load_methodE3ELS4_3ELS4_3ELNS0_20block_scan_algorithmE0ELj4294967295EEENS1_25partition_config_selectorILNS1_17partition_subalgoE4EjNS0_10empty_typeEbEEZZNS1_14partition_implILS8_4ELb0ES6_15HIP_vector_typeIjLj2EENS0_17counting_iteratorIjlEEPS9_SG_NS0_5tupleIJPjSI_NS0_16reverse_iteratorISI_EEEEENSH_IJSG_SG_SG_EEES9_SI_JZNS1_25segmented_radix_sort_implINS0_14default_configELb1EPKlPlSQ_SR_N2at6native12_GLOBAL__N_18offset_tEEE10hipError_tPvRmT1_PNSt15iterator_traitsISZ_E10value_typeET2_T3_PNS10_IS15_E10value_typeET4_jRbjT5_S1B_jjP12ihipStream_tbEUljE_ZNSN_ISO_Lb1ESQ_SR_SQ_SR_SV_EESW_SX_SY_SZ_S13_S14_S15_S18_S19_jS1A_jS1B_S1B_jjS1D_bEUljE0_EEESW_SX_SY_S15_S19_S1B_T6_T7_T9_mT8_S1D_bDpT10_ENKUlT_T0_E_clISt17integral_constantIbLb1EES1Q_IbLb0EEEEDaS1M_S1N_EUlS1M_E_NS1_11comp_targetILNS1_3genE3ELNS1_11target_archE908ELNS1_3gpuE7ELNS1_3repE0EEENS1_30default_config_static_selectorELNS0_4arch9wavefront6targetE0EEEvSZ_.num_vgpr, 0
	.set _ZN7rocprim17ROCPRIM_400000_NS6detail17trampoline_kernelINS0_13select_configILj256ELj13ELNS0_17block_load_methodE3ELS4_3ELS4_3ELNS0_20block_scan_algorithmE0ELj4294967295EEENS1_25partition_config_selectorILNS1_17partition_subalgoE4EjNS0_10empty_typeEbEEZZNS1_14partition_implILS8_4ELb0ES6_15HIP_vector_typeIjLj2EENS0_17counting_iteratorIjlEEPS9_SG_NS0_5tupleIJPjSI_NS0_16reverse_iteratorISI_EEEEENSH_IJSG_SG_SG_EEES9_SI_JZNS1_25segmented_radix_sort_implINS0_14default_configELb1EPKlPlSQ_SR_N2at6native12_GLOBAL__N_18offset_tEEE10hipError_tPvRmT1_PNSt15iterator_traitsISZ_E10value_typeET2_T3_PNS10_IS15_E10value_typeET4_jRbjT5_S1B_jjP12ihipStream_tbEUljE_ZNSN_ISO_Lb1ESQ_SR_SQ_SR_SV_EESW_SX_SY_SZ_S13_S14_S15_S18_S19_jS1A_jS1B_S1B_jjS1D_bEUljE0_EEESW_SX_SY_S15_S19_S1B_T6_T7_T9_mT8_S1D_bDpT10_ENKUlT_T0_E_clISt17integral_constantIbLb1EES1Q_IbLb0EEEEDaS1M_S1N_EUlS1M_E_NS1_11comp_targetILNS1_3genE3ELNS1_11target_archE908ELNS1_3gpuE7ELNS1_3repE0EEENS1_30default_config_static_selectorELNS0_4arch9wavefront6targetE0EEEvSZ_.num_agpr, 0
	.set _ZN7rocprim17ROCPRIM_400000_NS6detail17trampoline_kernelINS0_13select_configILj256ELj13ELNS0_17block_load_methodE3ELS4_3ELS4_3ELNS0_20block_scan_algorithmE0ELj4294967295EEENS1_25partition_config_selectorILNS1_17partition_subalgoE4EjNS0_10empty_typeEbEEZZNS1_14partition_implILS8_4ELb0ES6_15HIP_vector_typeIjLj2EENS0_17counting_iteratorIjlEEPS9_SG_NS0_5tupleIJPjSI_NS0_16reverse_iteratorISI_EEEEENSH_IJSG_SG_SG_EEES9_SI_JZNS1_25segmented_radix_sort_implINS0_14default_configELb1EPKlPlSQ_SR_N2at6native12_GLOBAL__N_18offset_tEEE10hipError_tPvRmT1_PNSt15iterator_traitsISZ_E10value_typeET2_T3_PNS10_IS15_E10value_typeET4_jRbjT5_S1B_jjP12ihipStream_tbEUljE_ZNSN_ISO_Lb1ESQ_SR_SQ_SR_SV_EESW_SX_SY_SZ_S13_S14_S15_S18_S19_jS1A_jS1B_S1B_jjS1D_bEUljE0_EEESW_SX_SY_S15_S19_S1B_T6_T7_T9_mT8_S1D_bDpT10_ENKUlT_T0_E_clISt17integral_constantIbLb1EES1Q_IbLb0EEEEDaS1M_S1N_EUlS1M_E_NS1_11comp_targetILNS1_3genE3ELNS1_11target_archE908ELNS1_3gpuE7ELNS1_3repE0EEENS1_30default_config_static_selectorELNS0_4arch9wavefront6targetE0EEEvSZ_.numbered_sgpr, 0
	.set _ZN7rocprim17ROCPRIM_400000_NS6detail17trampoline_kernelINS0_13select_configILj256ELj13ELNS0_17block_load_methodE3ELS4_3ELS4_3ELNS0_20block_scan_algorithmE0ELj4294967295EEENS1_25partition_config_selectorILNS1_17partition_subalgoE4EjNS0_10empty_typeEbEEZZNS1_14partition_implILS8_4ELb0ES6_15HIP_vector_typeIjLj2EENS0_17counting_iteratorIjlEEPS9_SG_NS0_5tupleIJPjSI_NS0_16reverse_iteratorISI_EEEEENSH_IJSG_SG_SG_EEES9_SI_JZNS1_25segmented_radix_sort_implINS0_14default_configELb1EPKlPlSQ_SR_N2at6native12_GLOBAL__N_18offset_tEEE10hipError_tPvRmT1_PNSt15iterator_traitsISZ_E10value_typeET2_T3_PNS10_IS15_E10value_typeET4_jRbjT5_S1B_jjP12ihipStream_tbEUljE_ZNSN_ISO_Lb1ESQ_SR_SQ_SR_SV_EESW_SX_SY_SZ_S13_S14_S15_S18_S19_jS1A_jS1B_S1B_jjS1D_bEUljE0_EEESW_SX_SY_S15_S19_S1B_T6_T7_T9_mT8_S1D_bDpT10_ENKUlT_T0_E_clISt17integral_constantIbLb1EES1Q_IbLb0EEEEDaS1M_S1N_EUlS1M_E_NS1_11comp_targetILNS1_3genE3ELNS1_11target_archE908ELNS1_3gpuE7ELNS1_3repE0EEENS1_30default_config_static_selectorELNS0_4arch9wavefront6targetE0EEEvSZ_.num_named_barrier, 0
	.set _ZN7rocprim17ROCPRIM_400000_NS6detail17trampoline_kernelINS0_13select_configILj256ELj13ELNS0_17block_load_methodE3ELS4_3ELS4_3ELNS0_20block_scan_algorithmE0ELj4294967295EEENS1_25partition_config_selectorILNS1_17partition_subalgoE4EjNS0_10empty_typeEbEEZZNS1_14partition_implILS8_4ELb0ES6_15HIP_vector_typeIjLj2EENS0_17counting_iteratorIjlEEPS9_SG_NS0_5tupleIJPjSI_NS0_16reverse_iteratorISI_EEEEENSH_IJSG_SG_SG_EEES9_SI_JZNS1_25segmented_radix_sort_implINS0_14default_configELb1EPKlPlSQ_SR_N2at6native12_GLOBAL__N_18offset_tEEE10hipError_tPvRmT1_PNSt15iterator_traitsISZ_E10value_typeET2_T3_PNS10_IS15_E10value_typeET4_jRbjT5_S1B_jjP12ihipStream_tbEUljE_ZNSN_ISO_Lb1ESQ_SR_SQ_SR_SV_EESW_SX_SY_SZ_S13_S14_S15_S18_S19_jS1A_jS1B_S1B_jjS1D_bEUljE0_EEESW_SX_SY_S15_S19_S1B_T6_T7_T9_mT8_S1D_bDpT10_ENKUlT_T0_E_clISt17integral_constantIbLb1EES1Q_IbLb0EEEEDaS1M_S1N_EUlS1M_E_NS1_11comp_targetILNS1_3genE3ELNS1_11target_archE908ELNS1_3gpuE7ELNS1_3repE0EEENS1_30default_config_static_selectorELNS0_4arch9wavefront6targetE0EEEvSZ_.private_seg_size, 0
	.set _ZN7rocprim17ROCPRIM_400000_NS6detail17trampoline_kernelINS0_13select_configILj256ELj13ELNS0_17block_load_methodE3ELS4_3ELS4_3ELNS0_20block_scan_algorithmE0ELj4294967295EEENS1_25partition_config_selectorILNS1_17partition_subalgoE4EjNS0_10empty_typeEbEEZZNS1_14partition_implILS8_4ELb0ES6_15HIP_vector_typeIjLj2EENS0_17counting_iteratorIjlEEPS9_SG_NS0_5tupleIJPjSI_NS0_16reverse_iteratorISI_EEEEENSH_IJSG_SG_SG_EEES9_SI_JZNS1_25segmented_radix_sort_implINS0_14default_configELb1EPKlPlSQ_SR_N2at6native12_GLOBAL__N_18offset_tEEE10hipError_tPvRmT1_PNSt15iterator_traitsISZ_E10value_typeET2_T3_PNS10_IS15_E10value_typeET4_jRbjT5_S1B_jjP12ihipStream_tbEUljE_ZNSN_ISO_Lb1ESQ_SR_SQ_SR_SV_EESW_SX_SY_SZ_S13_S14_S15_S18_S19_jS1A_jS1B_S1B_jjS1D_bEUljE0_EEESW_SX_SY_S15_S19_S1B_T6_T7_T9_mT8_S1D_bDpT10_ENKUlT_T0_E_clISt17integral_constantIbLb1EES1Q_IbLb0EEEEDaS1M_S1N_EUlS1M_E_NS1_11comp_targetILNS1_3genE3ELNS1_11target_archE908ELNS1_3gpuE7ELNS1_3repE0EEENS1_30default_config_static_selectorELNS0_4arch9wavefront6targetE0EEEvSZ_.uses_vcc, 0
	.set _ZN7rocprim17ROCPRIM_400000_NS6detail17trampoline_kernelINS0_13select_configILj256ELj13ELNS0_17block_load_methodE3ELS4_3ELS4_3ELNS0_20block_scan_algorithmE0ELj4294967295EEENS1_25partition_config_selectorILNS1_17partition_subalgoE4EjNS0_10empty_typeEbEEZZNS1_14partition_implILS8_4ELb0ES6_15HIP_vector_typeIjLj2EENS0_17counting_iteratorIjlEEPS9_SG_NS0_5tupleIJPjSI_NS0_16reverse_iteratorISI_EEEEENSH_IJSG_SG_SG_EEES9_SI_JZNS1_25segmented_radix_sort_implINS0_14default_configELb1EPKlPlSQ_SR_N2at6native12_GLOBAL__N_18offset_tEEE10hipError_tPvRmT1_PNSt15iterator_traitsISZ_E10value_typeET2_T3_PNS10_IS15_E10value_typeET4_jRbjT5_S1B_jjP12ihipStream_tbEUljE_ZNSN_ISO_Lb1ESQ_SR_SQ_SR_SV_EESW_SX_SY_SZ_S13_S14_S15_S18_S19_jS1A_jS1B_S1B_jjS1D_bEUljE0_EEESW_SX_SY_S15_S19_S1B_T6_T7_T9_mT8_S1D_bDpT10_ENKUlT_T0_E_clISt17integral_constantIbLb1EES1Q_IbLb0EEEEDaS1M_S1N_EUlS1M_E_NS1_11comp_targetILNS1_3genE3ELNS1_11target_archE908ELNS1_3gpuE7ELNS1_3repE0EEENS1_30default_config_static_selectorELNS0_4arch9wavefront6targetE0EEEvSZ_.uses_flat_scratch, 0
	.set _ZN7rocprim17ROCPRIM_400000_NS6detail17trampoline_kernelINS0_13select_configILj256ELj13ELNS0_17block_load_methodE3ELS4_3ELS4_3ELNS0_20block_scan_algorithmE0ELj4294967295EEENS1_25partition_config_selectorILNS1_17partition_subalgoE4EjNS0_10empty_typeEbEEZZNS1_14partition_implILS8_4ELb0ES6_15HIP_vector_typeIjLj2EENS0_17counting_iteratorIjlEEPS9_SG_NS0_5tupleIJPjSI_NS0_16reverse_iteratorISI_EEEEENSH_IJSG_SG_SG_EEES9_SI_JZNS1_25segmented_radix_sort_implINS0_14default_configELb1EPKlPlSQ_SR_N2at6native12_GLOBAL__N_18offset_tEEE10hipError_tPvRmT1_PNSt15iterator_traitsISZ_E10value_typeET2_T3_PNS10_IS15_E10value_typeET4_jRbjT5_S1B_jjP12ihipStream_tbEUljE_ZNSN_ISO_Lb1ESQ_SR_SQ_SR_SV_EESW_SX_SY_SZ_S13_S14_S15_S18_S19_jS1A_jS1B_S1B_jjS1D_bEUljE0_EEESW_SX_SY_S15_S19_S1B_T6_T7_T9_mT8_S1D_bDpT10_ENKUlT_T0_E_clISt17integral_constantIbLb1EES1Q_IbLb0EEEEDaS1M_S1N_EUlS1M_E_NS1_11comp_targetILNS1_3genE3ELNS1_11target_archE908ELNS1_3gpuE7ELNS1_3repE0EEENS1_30default_config_static_selectorELNS0_4arch9wavefront6targetE0EEEvSZ_.has_dyn_sized_stack, 0
	.set _ZN7rocprim17ROCPRIM_400000_NS6detail17trampoline_kernelINS0_13select_configILj256ELj13ELNS0_17block_load_methodE3ELS4_3ELS4_3ELNS0_20block_scan_algorithmE0ELj4294967295EEENS1_25partition_config_selectorILNS1_17partition_subalgoE4EjNS0_10empty_typeEbEEZZNS1_14partition_implILS8_4ELb0ES6_15HIP_vector_typeIjLj2EENS0_17counting_iteratorIjlEEPS9_SG_NS0_5tupleIJPjSI_NS0_16reverse_iteratorISI_EEEEENSH_IJSG_SG_SG_EEES9_SI_JZNS1_25segmented_radix_sort_implINS0_14default_configELb1EPKlPlSQ_SR_N2at6native12_GLOBAL__N_18offset_tEEE10hipError_tPvRmT1_PNSt15iterator_traitsISZ_E10value_typeET2_T3_PNS10_IS15_E10value_typeET4_jRbjT5_S1B_jjP12ihipStream_tbEUljE_ZNSN_ISO_Lb1ESQ_SR_SQ_SR_SV_EESW_SX_SY_SZ_S13_S14_S15_S18_S19_jS1A_jS1B_S1B_jjS1D_bEUljE0_EEESW_SX_SY_S15_S19_S1B_T6_T7_T9_mT8_S1D_bDpT10_ENKUlT_T0_E_clISt17integral_constantIbLb1EES1Q_IbLb0EEEEDaS1M_S1N_EUlS1M_E_NS1_11comp_targetILNS1_3genE3ELNS1_11target_archE908ELNS1_3gpuE7ELNS1_3repE0EEENS1_30default_config_static_selectorELNS0_4arch9wavefront6targetE0EEEvSZ_.has_recursion, 0
	.set _ZN7rocprim17ROCPRIM_400000_NS6detail17trampoline_kernelINS0_13select_configILj256ELj13ELNS0_17block_load_methodE3ELS4_3ELS4_3ELNS0_20block_scan_algorithmE0ELj4294967295EEENS1_25partition_config_selectorILNS1_17partition_subalgoE4EjNS0_10empty_typeEbEEZZNS1_14partition_implILS8_4ELb0ES6_15HIP_vector_typeIjLj2EENS0_17counting_iteratorIjlEEPS9_SG_NS0_5tupleIJPjSI_NS0_16reverse_iteratorISI_EEEEENSH_IJSG_SG_SG_EEES9_SI_JZNS1_25segmented_radix_sort_implINS0_14default_configELb1EPKlPlSQ_SR_N2at6native12_GLOBAL__N_18offset_tEEE10hipError_tPvRmT1_PNSt15iterator_traitsISZ_E10value_typeET2_T3_PNS10_IS15_E10value_typeET4_jRbjT5_S1B_jjP12ihipStream_tbEUljE_ZNSN_ISO_Lb1ESQ_SR_SQ_SR_SV_EESW_SX_SY_SZ_S13_S14_S15_S18_S19_jS1A_jS1B_S1B_jjS1D_bEUljE0_EEESW_SX_SY_S15_S19_S1B_T6_T7_T9_mT8_S1D_bDpT10_ENKUlT_T0_E_clISt17integral_constantIbLb1EES1Q_IbLb0EEEEDaS1M_S1N_EUlS1M_E_NS1_11comp_targetILNS1_3genE3ELNS1_11target_archE908ELNS1_3gpuE7ELNS1_3repE0EEENS1_30default_config_static_selectorELNS0_4arch9wavefront6targetE0EEEvSZ_.has_indirect_call, 0
	.section	.AMDGPU.csdata,"",@progbits
; Kernel info:
; codeLenInByte = 0
; TotalNumSgprs: 0
; NumVgprs: 0
; ScratchSize: 0
; MemoryBound: 0
; FloatMode: 240
; IeeeMode: 1
; LDSByteSize: 0 bytes/workgroup (compile time only)
; SGPRBlocks: 0
; VGPRBlocks: 0
; NumSGPRsForWavesPerEU: 1
; NumVGPRsForWavesPerEU: 1
; Occupancy: 16
; WaveLimiterHint : 0
; COMPUTE_PGM_RSRC2:SCRATCH_EN: 0
; COMPUTE_PGM_RSRC2:USER_SGPR: 2
; COMPUTE_PGM_RSRC2:TRAP_HANDLER: 0
; COMPUTE_PGM_RSRC2:TGID_X_EN: 1
; COMPUTE_PGM_RSRC2:TGID_Y_EN: 0
; COMPUTE_PGM_RSRC2:TGID_Z_EN: 0
; COMPUTE_PGM_RSRC2:TIDIG_COMP_CNT: 0
	.section	.text._ZN7rocprim17ROCPRIM_400000_NS6detail17trampoline_kernelINS0_13select_configILj256ELj13ELNS0_17block_load_methodE3ELS4_3ELS4_3ELNS0_20block_scan_algorithmE0ELj4294967295EEENS1_25partition_config_selectorILNS1_17partition_subalgoE4EjNS0_10empty_typeEbEEZZNS1_14partition_implILS8_4ELb0ES6_15HIP_vector_typeIjLj2EENS0_17counting_iteratorIjlEEPS9_SG_NS0_5tupleIJPjSI_NS0_16reverse_iteratorISI_EEEEENSH_IJSG_SG_SG_EEES9_SI_JZNS1_25segmented_radix_sort_implINS0_14default_configELb1EPKlPlSQ_SR_N2at6native12_GLOBAL__N_18offset_tEEE10hipError_tPvRmT1_PNSt15iterator_traitsISZ_E10value_typeET2_T3_PNS10_IS15_E10value_typeET4_jRbjT5_S1B_jjP12ihipStream_tbEUljE_ZNSN_ISO_Lb1ESQ_SR_SQ_SR_SV_EESW_SX_SY_SZ_S13_S14_S15_S18_S19_jS1A_jS1B_S1B_jjS1D_bEUljE0_EEESW_SX_SY_S15_S19_S1B_T6_T7_T9_mT8_S1D_bDpT10_ENKUlT_T0_E_clISt17integral_constantIbLb1EES1Q_IbLb0EEEEDaS1M_S1N_EUlS1M_E_NS1_11comp_targetILNS1_3genE2ELNS1_11target_archE906ELNS1_3gpuE6ELNS1_3repE0EEENS1_30default_config_static_selectorELNS0_4arch9wavefront6targetE0EEEvSZ_,"axG",@progbits,_ZN7rocprim17ROCPRIM_400000_NS6detail17trampoline_kernelINS0_13select_configILj256ELj13ELNS0_17block_load_methodE3ELS4_3ELS4_3ELNS0_20block_scan_algorithmE0ELj4294967295EEENS1_25partition_config_selectorILNS1_17partition_subalgoE4EjNS0_10empty_typeEbEEZZNS1_14partition_implILS8_4ELb0ES6_15HIP_vector_typeIjLj2EENS0_17counting_iteratorIjlEEPS9_SG_NS0_5tupleIJPjSI_NS0_16reverse_iteratorISI_EEEEENSH_IJSG_SG_SG_EEES9_SI_JZNS1_25segmented_radix_sort_implINS0_14default_configELb1EPKlPlSQ_SR_N2at6native12_GLOBAL__N_18offset_tEEE10hipError_tPvRmT1_PNSt15iterator_traitsISZ_E10value_typeET2_T3_PNS10_IS15_E10value_typeET4_jRbjT5_S1B_jjP12ihipStream_tbEUljE_ZNSN_ISO_Lb1ESQ_SR_SQ_SR_SV_EESW_SX_SY_SZ_S13_S14_S15_S18_S19_jS1A_jS1B_S1B_jjS1D_bEUljE0_EEESW_SX_SY_S15_S19_S1B_T6_T7_T9_mT8_S1D_bDpT10_ENKUlT_T0_E_clISt17integral_constantIbLb1EES1Q_IbLb0EEEEDaS1M_S1N_EUlS1M_E_NS1_11comp_targetILNS1_3genE2ELNS1_11target_archE906ELNS1_3gpuE6ELNS1_3repE0EEENS1_30default_config_static_selectorELNS0_4arch9wavefront6targetE0EEEvSZ_,comdat
	.globl	_ZN7rocprim17ROCPRIM_400000_NS6detail17trampoline_kernelINS0_13select_configILj256ELj13ELNS0_17block_load_methodE3ELS4_3ELS4_3ELNS0_20block_scan_algorithmE0ELj4294967295EEENS1_25partition_config_selectorILNS1_17partition_subalgoE4EjNS0_10empty_typeEbEEZZNS1_14partition_implILS8_4ELb0ES6_15HIP_vector_typeIjLj2EENS0_17counting_iteratorIjlEEPS9_SG_NS0_5tupleIJPjSI_NS0_16reverse_iteratorISI_EEEEENSH_IJSG_SG_SG_EEES9_SI_JZNS1_25segmented_radix_sort_implINS0_14default_configELb1EPKlPlSQ_SR_N2at6native12_GLOBAL__N_18offset_tEEE10hipError_tPvRmT1_PNSt15iterator_traitsISZ_E10value_typeET2_T3_PNS10_IS15_E10value_typeET4_jRbjT5_S1B_jjP12ihipStream_tbEUljE_ZNSN_ISO_Lb1ESQ_SR_SQ_SR_SV_EESW_SX_SY_SZ_S13_S14_S15_S18_S19_jS1A_jS1B_S1B_jjS1D_bEUljE0_EEESW_SX_SY_S15_S19_S1B_T6_T7_T9_mT8_S1D_bDpT10_ENKUlT_T0_E_clISt17integral_constantIbLb1EES1Q_IbLb0EEEEDaS1M_S1N_EUlS1M_E_NS1_11comp_targetILNS1_3genE2ELNS1_11target_archE906ELNS1_3gpuE6ELNS1_3repE0EEENS1_30default_config_static_selectorELNS0_4arch9wavefront6targetE0EEEvSZ_ ; -- Begin function _ZN7rocprim17ROCPRIM_400000_NS6detail17trampoline_kernelINS0_13select_configILj256ELj13ELNS0_17block_load_methodE3ELS4_3ELS4_3ELNS0_20block_scan_algorithmE0ELj4294967295EEENS1_25partition_config_selectorILNS1_17partition_subalgoE4EjNS0_10empty_typeEbEEZZNS1_14partition_implILS8_4ELb0ES6_15HIP_vector_typeIjLj2EENS0_17counting_iteratorIjlEEPS9_SG_NS0_5tupleIJPjSI_NS0_16reverse_iteratorISI_EEEEENSH_IJSG_SG_SG_EEES9_SI_JZNS1_25segmented_radix_sort_implINS0_14default_configELb1EPKlPlSQ_SR_N2at6native12_GLOBAL__N_18offset_tEEE10hipError_tPvRmT1_PNSt15iterator_traitsISZ_E10value_typeET2_T3_PNS10_IS15_E10value_typeET4_jRbjT5_S1B_jjP12ihipStream_tbEUljE_ZNSN_ISO_Lb1ESQ_SR_SQ_SR_SV_EESW_SX_SY_SZ_S13_S14_S15_S18_S19_jS1A_jS1B_S1B_jjS1D_bEUljE0_EEESW_SX_SY_S15_S19_S1B_T6_T7_T9_mT8_S1D_bDpT10_ENKUlT_T0_E_clISt17integral_constantIbLb1EES1Q_IbLb0EEEEDaS1M_S1N_EUlS1M_E_NS1_11comp_targetILNS1_3genE2ELNS1_11target_archE906ELNS1_3gpuE6ELNS1_3repE0EEENS1_30default_config_static_selectorELNS0_4arch9wavefront6targetE0EEEvSZ_
	.p2align	8
	.type	_ZN7rocprim17ROCPRIM_400000_NS6detail17trampoline_kernelINS0_13select_configILj256ELj13ELNS0_17block_load_methodE3ELS4_3ELS4_3ELNS0_20block_scan_algorithmE0ELj4294967295EEENS1_25partition_config_selectorILNS1_17partition_subalgoE4EjNS0_10empty_typeEbEEZZNS1_14partition_implILS8_4ELb0ES6_15HIP_vector_typeIjLj2EENS0_17counting_iteratorIjlEEPS9_SG_NS0_5tupleIJPjSI_NS0_16reverse_iteratorISI_EEEEENSH_IJSG_SG_SG_EEES9_SI_JZNS1_25segmented_radix_sort_implINS0_14default_configELb1EPKlPlSQ_SR_N2at6native12_GLOBAL__N_18offset_tEEE10hipError_tPvRmT1_PNSt15iterator_traitsISZ_E10value_typeET2_T3_PNS10_IS15_E10value_typeET4_jRbjT5_S1B_jjP12ihipStream_tbEUljE_ZNSN_ISO_Lb1ESQ_SR_SQ_SR_SV_EESW_SX_SY_SZ_S13_S14_S15_S18_S19_jS1A_jS1B_S1B_jjS1D_bEUljE0_EEESW_SX_SY_S15_S19_S1B_T6_T7_T9_mT8_S1D_bDpT10_ENKUlT_T0_E_clISt17integral_constantIbLb1EES1Q_IbLb0EEEEDaS1M_S1N_EUlS1M_E_NS1_11comp_targetILNS1_3genE2ELNS1_11target_archE906ELNS1_3gpuE6ELNS1_3repE0EEENS1_30default_config_static_selectorELNS0_4arch9wavefront6targetE0EEEvSZ_,@function
_ZN7rocprim17ROCPRIM_400000_NS6detail17trampoline_kernelINS0_13select_configILj256ELj13ELNS0_17block_load_methodE3ELS4_3ELS4_3ELNS0_20block_scan_algorithmE0ELj4294967295EEENS1_25partition_config_selectorILNS1_17partition_subalgoE4EjNS0_10empty_typeEbEEZZNS1_14partition_implILS8_4ELb0ES6_15HIP_vector_typeIjLj2EENS0_17counting_iteratorIjlEEPS9_SG_NS0_5tupleIJPjSI_NS0_16reverse_iteratorISI_EEEEENSH_IJSG_SG_SG_EEES9_SI_JZNS1_25segmented_radix_sort_implINS0_14default_configELb1EPKlPlSQ_SR_N2at6native12_GLOBAL__N_18offset_tEEE10hipError_tPvRmT1_PNSt15iterator_traitsISZ_E10value_typeET2_T3_PNS10_IS15_E10value_typeET4_jRbjT5_S1B_jjP12ihipStream_tbEUljE_ZNSN_ISO_Lb1ESQ_SR_SQ_SR_SV_EESW_SX_SY_SZ_S13_S14_S15_S18_S19_jS1A_jS1B_S1B_jjS1D_bEUljE0_EEESW_SX_SY_S15_S19_S1B_T6_T7_T9_mT8_S1D_bDpT10_ENKUlT_T0_E_clISt17integral_constantIbLb1EES1Q_IbLb0EEEEDaS1M_S1N_EUlS1M_E_NS1_11comp_targetILNS1_3genE2ELNS1_11target_archE906ELNS1_3gpuE6ELNS1_3repE0EEENS1_30default_config_static_selectorELNS0_4arch9wavefront6targetE0EEEvSZ_: ; @_ZN7rocprim17ROCPRIM_400000_NS6detail17trampoline_kernelINS0_13select_configILj256ELj13ELNS0_17block_load_methodE3ELS4_3ELS4_3ELNS0_20block_scan_algorithmE0ELj4294967295EEENS1_25partition_config_selectorILNS1_17partition_subalgoE4EjNS0_10empty_typeEbEEZZNS1_14partition_implILS8_4ELb0ES6_15HIP_vector_typeIjLj2EENS0_17counting_iteratorIjlEEPS9_SG_NS0_5tupleIJPjSI_NS0_16reverse_iteratorISI_EEEEENSH_IJSG_SG_SG_EEES9_SI_JZNS1_25segmented_radix_sort_implINS0_14default_configELb1EPKlPlSQ_SR_N2at6native12_GLOBAL__N_18offset_tEEE10hipError_tPvRmT1_PNSt15iterator_traitsISZ_E10value_typeET2_T3_PNS10_IS15_E10value_typeET4_jRbjT5_S1B_jjP12ihipStream_tbEUljE_ZNSN_ISO_Lb1ESQ_SR_SQ_SR_SV_EESW_SX_SY_SZ_S13_S14_S15_S18_S19_jS1A_jS1B_S1B_jjS1D_bEUljE0_EEESW_SX_SY_S15_S19_S1B_T6_T7_T9_mT8_S1D_bDpT10_ENKUlT_T0_E_clISt17integral_constantIbLb1EES1Q_IbLb0EEEEDaS1M_S1N_EUlS1M_E_NS1_11comp_targetILNS1_3genE2ELNS1_11target_archE906ELNS1_3gpuE6ELNS1_3repE0EEENS1_30default_config_static_selectorELNS0_4arch9wavefront6targetE0EEEvSZ_
; %bb.0:
	.section	.rodata,"a",@progbits
	.p2align	6, 0x0
	.amdhsa_kernel _ZN7rocprim17ROCPRIM_400000_NS6detail17trampoline_kernelINS0_13select_configILj256ELj13ELNS0_17block_load_methodE3ELS4_3ELS4_3ELNS0_20block_scan_algorithmE0ELj4294967295EEENS1_25partition_config_selectorILNS1_17partition_subalgoE4EjNS0_10empty_typeEbEEZZNS1_14partition_implILS8_4ELb0ES6_15HIP_vector_typeIjLj2EENS0_17counting_iteratorIjlEEPS9_SG_NS0_5tupleIJPjSI_NS0_16reverse_iteratorISI_EEEEENSH_IJSG_SG_SG_EEES9_SI_JZNS1_25segmented_radix_sort_implINS0_14default_configELb1EPKlPlSQ_SR_N2at6native12_GLOBAL__N_18offset_tEEE10hipError_tPvRmT1_PNSt15iterator_traitsISZ_E10value_typeET2_T3_PNS10_IS15_E10value_typeET4_jRbjT5_S1B_jjP12ihipStream_tbEUljE_ZNSN_ISO_Lb1ESQ_SR_SQ_SR_SV_EESW_SX_SY_SZ_S13_S14_S15_S18_S19_jS1A_jS1B_S1B_jjS1D_bEUljE0_EEESW_SX_SY_S15_S19_S1B_T6_T7_T9_mT8_S1D_bDpT10_ENKUlT_T0_E_clISt17integral_constantIbLb1EES1Q_IbLb0EEEEDaS1M_S1N_EUlS1M_E_NS1_11comp_targetILNS1_3genE2ELNS1_11target_archE906ELNS1_3gpuE6ELNS1_3repE0EEENS1_30default_config_static_selectorELNS0_4arch9wavefront6targetE0EEEvSZ_
		.amdhsa_group_segment_fixed_size 0
		.amdhsa_private_segment_fixed_size 0
		.amdhsa_kernarg_size 176
		.amdhsa_user_sgpr_count 2
		.amdhsa_user_sgpr_dispatch_ptr 0
		.amdhsa_user_sgpr_queue_ptr 0
		.amdhsa_user_sgpr_kernarg_segment_ptr 1
		.amdhsa_user_sgpr_dispatch_id 0
		.amdhsa_user_sgpr_private_segment_size 0
		.amdhsa_wavefront_size32 1
		.amdhsa_uses_dynamic_stack 0
		.amdhsa_enable_private_segment 0
		.amdhsa_system_sgpr_workgroup_id_x 1
		.amdhsa_system_sgpr_workgroup_id_y 0
		.amdhsa_system_sgpr_workgroup_id_z 0
		.amdhsa_system_sgpr_workgroup_info 0
		.amdhsa_system_vgpr_workitem_id 0
		.amdhsa_next_free_vgpr 1
		.amdhsa_next_free_sgpr 1
		.amdhsa_reserve_vcc 0
		.amdhsa_float_round_mode_32 0
		.amdhsa_float_round_mode_16_64 0
		.amdhsa_float_denorm_mode_32 3
		.amdhsa_float_denorm_mode_16_64 3
		.amdhsa_fp16_overflow 0
		.amdhsa_workgroup_processor_mode 1
		.amdhsa_memory_ordered 1
		.amdhsa_forward_progress 1
		.amdhsa_inst_pref_size 0
		.amdhsa_round_robin_scheduling 0
		.amdhsa_exception_fp_ieee_invalid_op 0
		.amdhsa_exception_fp_denorm_src 0
		.amdhsa_exception_fp_ieee_div_zero 0
		.amdhsa_exception_fp_ieee_overflow 0
		.amdhsa_exception_fp_ieee_underflow 0
		.amdhsa_exception_fp_ieee_inexact 0
		.amdhsa_exception_int_div_zero 0
	.end_amdhsa_kernel
	.section	.text._ZN7rocprim17ROCPRIM_400000_NS6detail17trampoline_kernelINS0_13select_configILj256ELj13ELNS0_17block_load_methodE3ELS4_3ELS4_3ELNS0_20block_scan_algorithmE0ELj4294967295EEENS1_25partition_config_selectorILNS1_17partition_subalgoE4EjNS0_10empty_typeEbEEZZNS1_14partition_implILS8_4ELb0ES6_15HIP_vector_typeIjLj2EENS0_17counting_iteratorIjlEEPS9_SG_NS0_5tupleIJPjSI_NS0_16reverse_iteratorISI_EEEEENSH_IJSG_SG_SG_EEES9_SI_JZNS1_25segmented_radix_sort_implINS0_14default_configELb1EPKlPlSQ_SR_N2at6native12_GLOBAL__N_18offset_tEEE10hipError_tPvRmT1_PNSt15iterator_traitsISZ_E10value_typeET2_T3_PNS10_IS15_E10value_typeET4_jRbjT5_S1B_jjP12ihipStream_tbEUljE_ZNSN_ISO_Lb1ESQ_SR_SQ_SR_SV_EESW_SX_SY_SZ_S13_S14_S15_S18_S19_jS1A_jS1B_S1B_jjS1D_bEUljE0_EEESW_SX_SY_S15_S19_S1B_T6_T7_T9_mT8_S1D_bDpT10_ENKUlT_T0_E_clISt17integral_constantIbLb1EES1Q_IbLb0EEEEDaS1M_S1N_EUlS1M_E_NS1_11comp_targetILNS1_3genE2ELNS1_11target_archE906ELNS1_3gpuE6ELNS1_3repE0EEENS1_30default_config_static_selectorELNS0_4arch9wavefront6targetE0EEEvSZ_,"axG",@progbits,_ZN7rocprim17ROCPRIM_400000_NS6detail17trampoline_kernelINS0_13select_configILj256ELj13ELNS0_17block_load_methodE3ELS4_3ELS4_3ELNS0_20block_scan_algorithmE0ELj4294967295EEENS1_25partition_config_selectorILNS1_17partition_subalgoE4EjNS0_10empty_typeEbEEZZNS1_14partition_implILS8_4ELb0ES6_15HIP_vector_typeIjLj2EENS0_17counting_iteratorIjlEEPS9_SG_NS0_5tupleIJPjSI_NS0_16reverse_iteratorISI_EEEEENSH_IJSG_SG_SG_EEES9_SI_JZNS1_25segmented_radix_sort_implINS0_14default_configELb1EPKlPlSQ_SR_N2at6native12_GLOBAL__N_18offset_tEEE10hipError_tPvRmT1_PNSt15iterator_traitsISZ_E10value_typeET2_T3_PNS10_IS15_E10value_typeET4_jRbjT5_S1B_jjP12ihipStream_tbEUljE_ZNSN_ISO_Lb1ESQ_SR_SQ_SR_SV_EESW_SX_SY_SZ_S13_S14_S15_S18_S19_jS1A_jS1B_S1B_jjS1D_bEUljE0_EEESW_SX_SY_S15_S19_S1B_T6_T7_T9_mT8_S1D_bDpT10_ENKUlT_T0_E_clISt17integral_constantIbLb1EES1Q_IbLb0EEEEDaS1M_S1N_EUlS1M_E_NS1_11comp_targetILNS1_3genE2ELNS1_11target_archE906ELNS1_3gpuE6ELNS1_3repE0EEENS1_30default_config_static_selectorELNS0_4arch9wavefront6targetE0EEEvSZ_,comdat
.Lfunc_end660:
	.size	_ZN7rocprim17ROCPRIM_400000_NS6detail17trampoline_kernelINS0_13select_configILj256ELj13ELNS0_17block_load_methodE3ELS4_3ELS4_3ELNS0_20block_scan_algorithmE0ELj4294967295EEENS1_25partition_config_selectorILNS1_17partition_subalgoE4EjNS0_10empty_typeEbEEZZNS1_14partition_implILS8_4ELb0ES6_15HIP_vector_typeIjLj2EENS0_17counting_iteratorIjlEEPS9_SG_NS0_5tupleIJPjSI_NS0_16reverse_iteratorISI_EEEEENSH_IJSG_SG_SG_EEES9_SI_JZNS1_25segmented_radix_sort_implINS0_14default_configELb1EPKlPlSQ_SR_N2at6native12_GLOBAL__N_18offset_tEEE10hipError_tPvRmT1_PNSt15iterator_traitsISZ_E10value_typeET2_T3_PNS10_IS15_E10value_typeET4_jRbjT5_S1B_jjP12ihipStream_tbEUljE_ZNSN_ISO_Lb1ESQ_SR_SQ_SR_SV_EESW_SX_SY_SZ_S13_S14_S15_S18_S19_jS1A_jS1B_S1B_jjS1D_bEUljE0_EEESW_SX_SY_S15_S19_S1B_T6_T7_T9_mT8_S1D_bDpT10_ENKUlT_T0_E_clISt17integral_constantIbLb1EES1Q_IbLb0EEEEDaS1M_S1N_EUlS1M_E_NS1_11comp_targetILNS1_3genE2ELNS1_11target_archE906ELNS1_3gpuE6ELNS1_3repE0EEENS1_30default_config_static_selectorELNS0_4arch9wavefront6targetE0EEEvSZ_, .Lfunc_end660-_ZN7rocprim17ROCPRIM_400000_NS6detail17trampoline_kernelINS0_13select_configILj256ELj13ELNS0_17block_load_methodE3ELS4_3ELS4_3ELNS0_20block_scan_algorithmE0ELj4294967295EEENS1_25partition_config_selectorILNS1_17partition_subalgoE4EjNS0_10empty_typeEbEEZZNS1_14partition_implILS8_4ELb0ES6_15HIP_vector_typeIjLj2EENS0_17counting_iteratorIjlEEPS9_SG_NS0_5tupleIJPjSI_NS0_16reverse_iteratorISI_EEEEENSH_IJSG_SG_SG_EEES9_SI_JZNS1_25segmented_radix_sort_implINS0_14default_configELb1EPKlPlSQ_SR_N2at6native12_GLOBAL__N_18offset_tEEE10hipError_tPvRmT1_PNSt15iterator_traitsISZ_E10value_typeET2_T3_PNS10_IS15_E10value_typeET4_jRbjT5_S1B_jjP12ihipStream_tbEUljE_ZNSN_ISO_Lb1ESQ_SR_SQ_SR_SV_EESW_SX_SY_SZ_S13_S14_S15_S18_S19_jS1A_jS1B_S1B_jjS1D_bEUljE0_EEESW_SX_SY_S15_S19_S1B_T6_T7_T9_mT8_S1D_bDpT10_ENKUlT_T0_E_clISt17integral_constantIbLb1EES1Q_IbLb0EEEEDaS1M_S1N_EUlS1M_E_NS1_11comp_targetILNS1_3genE2ELNS1_11target_archE906ELNS1_3gpuE6ELNS1_3repE0EEENS1_30default_config_static_selectorELNS0_4arch9wavefront6targetE0EEEvSZ_
                                        ; -- End function
	.set _ZN7rocprim17ROCPRIM_400000_NS6detail17trampoline_kernelINS0_13select_configILj256ELj13ELNS0_17block_load_methodE3ELS4_3ELS4_3ELNS0_20block_scan_algorithmE0ELj4294967295EEENS1_25partition_config_selectorILNS1_17partition_subalgoE4EjNS0_10empty_typeEbEEZZNS1_14partition_implILS8_4ELb0ES6_15HIP_vector_typeIjLj2EENS0_17counting_iteratorIjlEEPS9_SG_NS0_5tupleIJPjSI_NS0_16reverse_iteratorISI_EEEEENSH_IJSG_SG_SG_EEES9_SI_JZNS1_25segmented_radix_sort_implINS0_14default_configELb1EPKlPlSQ_SR_N2at6native12_GLOBAL__N_18offset_tEEE10hipError_tPvRmT1_PNSt15iterator_traitsISZ_E10value_typeET2_T3_PNS10_IS15_E10value_typeET4_jRbjT5_S1B_jjP12ihipStream_tbEUljE_ZNSN_ISO_Lb1ESQ_SR_SQ_SR_SV_EESW_SX_SY_SZ_S13_S14_S15_S18_S19_jS1A_jS1B_S1B_jjS1D_bEUljE0_EEESW_SX_SY_S15_S19_S1B_T6_T7_T9_mT8_S1D_bDpT10_ENKUlT_T0_E_clISt17integral_constantIbLb1EES1Q_IbLb0EEEEDaS1M_S1N_EUlS1M_E_NS1_11comp_targetILNS1_3genE2ELNS1_11target_archE906ELNS1_3gpuE6ELNS1_3repE0EEENS1_30default_config_static_selectorELNS0_4arch9wavefront6targetE0EEEvSZ_.num_vgpr, 0
	.set _ZN7rocprim17ROCPRIM_400000_NS6detail17trampoline_kernelINS0_13select_configILj256ELj13ELNS0_17block_load_methodE3ELS4_3ELS4_3ELNS0_20block_scan_algorithmE0ELj4294967295EEENS1_25partition_config_selectorILNS1_17partition_subalgoE4EjNS0_10empty_typeEbEEZZNS1_14partition_implILS8_4ELb0ES6_15HIP_vector_typeIjLj2EENS0_17counting_iteratorIjlEEPS9_SG_NS0_5tupleIJPjSI_NS0_16reverse_iteratorISI_EEEEENSH_IJSG_SG_SG_EEES9_SI_JZNS1_25segmented_radix_sort_implINS0_14default_configELb1EPKlPlSQ_SR_N2at6native12_GLOBAL__N_18offset_tEEE10hipError_tPvRmT1_PNSt15iterator_traitsISZ_E10value_typeET2_T3_PNS10_IS15_E10value_typeET4_jRbjT5_S1B_jjP12ihipStream_tbEUljE_ZNSN_ISO_Lb1ESQ_SR_SQ_SR_SV_EESW_SX_SY_SZ_S13_S14_S15_S18_S19_jS1A_jS1B_S1B_jjS1D_bEUljE0_EEESW_SX_SY_S15_S19_S1B_T6_T7_T9_mT8_S1D_bDpT10_ENKUlT_T0_E_clISt17integral_constantIbLb1EES1Q_IbLb0EEEEDaS1M_S1N_EUlS1M_E_NS1_11comp_targetILNS1_3genE2ELNS1_11target_archE906ELNS1_3gpuE6ELNS1_3repE0EEENS1_30default_config_static_selectorELNS0_4arch9wavefront6targetE0EEEvSZ_.num_agpr, 0
	.set _ZN7rocprim17ROCPRIM_400000_NS6detail17trampoline_kernelINS0_13select_configILj256ELj13ELNS0_17block_load_methodE3ELS4_3ELS4_3ELNS0_20block_scan_algorithmE0ELj4294967295EEENS1_25partition_config_selectorILNS1_17partition_subalgoE4EjNS0_10empty_typeEbEEZZNS1_14partition_implILS8_4ELb0ES6_15HIP_vector_typeIjLj2EENS0_17counting_iteratorIjlEEPS9_SG_NS0_5tupleIJPjSI_NS0_16reverse_iteratorISI_EEEEENSH_IJSG_SG_SG_EEES9_SI_JZNS1_25segmented_radix_sort_implINS0_14default_configELb1EPKlPlSQ_SR_N2at6native12_GLOBAL__N_18offset_tEEE10hipError_tPvRmT1_PNSt15iterator_traitsISZ_E10value_typeET2_T3_PNS10_IS15_E10value_typeET4_jRbjT5_S1B_jjP12ihipStream_tbEUljE_ZNSN_ISO_Lb1ESQ_SR_SQ_SR_SV_EESW_SX_SY_SZ_S13_S14_S15_S18_S19_jS1A_jS1B_S1B_jjS1D_bEUljE0_EEESW_SX_SY_S15_S19_S1B_T6_T7_T9_mT8_S1D_bDpT10_ENKUlT_T0_E_clISt17integral_constantIbLb1EES1Q_IbLb0EEEEDaS1M_S1N_EUlS1M_E_NS1_11comp_targetILNS1_3genE2ELNS1_11target_archE906ELNS1_3gpuE6ELNS1_3repE0EEENS1_30default_config_static_selectorELNS0_4arch9wavefront6targetE0EEEvSZ_.numbered_sgpr, 0
	.set _ZN7rocprim17ROCPRIM_400000_NS6detail17trampoline_kernelINS0_13select_configILj256ELj13ELNS0_17block_load_methodE3ELS4_3ELS4_3ELNS0_20block_scan_algorithmE0ELj4294967295EEENS1_25partition_config_selectorILNS1_17partition_subalgoE4EjNS0_10empty_typeEbEEZZNS1_14partition_implILS8_4ELb0ES6_15HIP_vector_typeIjLj2EENS0_17counting_iteratorIjlEEPS9_SG_NS0_5tupleIJPjSI_NS0_16reverse_iteratorISI_EEEEENSH_IJSG_SG_SG_EEES9_SI_JZNS1_25segmented_radix_sort_implINS0_14default_configELb1EPKlPlSQ_SR_N2at6native12_GLOBAL__N_18offset_tEEE10hipError_tPvRmT1_PNSt15iterator_traitsISZ_E10value_typeET2_T3_PNS10_IS15_E10value_typeET4_jRbjT5_S1B_jjP12ihipStream_tbEUljE_ZNSN_ISO_Lb1ESQ_SR_SQ_SR_SV_EESW_SX_SY_SZ_S13_S14_S15_S18_S19_jS1A_jS1B_S1B_jjS1D_bEUljE0_EEESW_SX_SY_S15_S19_S1B_T6_T7_T9_mT8_S1D_bDpT10_ENKUlT_T0_E_clISt17integral_constantIbLb1EES1Q_IbLb0EEEEDaS1M_S1N_EUlS1M_E_NS1_11comp_targetILNS1_3genE2ELNS1_11target_archE906ELNS1_3gpuE6ELNS1_3repE0EEENS1_30default_config_static_selectorELNS0_4arch9wavefront6targetE0EEEvSZ_.num_named_barrier, 0
	.set _ZN7rocprim17ROCPRIM_400000_NS6detail17trampoline_kernelINS0_13select_configILj256ELj13ELNS0_17block_load_methodE3ELS4_3ELS4_3ELNS0_20block_scan_algorithmE0ELj4294967295EEENS1_25partition_config_selectorILNS1_17partition_subalgoE4EjNS0_10empty_typeEbEEZZNS1_14partition_implILS8_4ELb0ES6_15HIP_vector_typeIjLj2EENS0_17counting_iteratorIjlEEPS9_SG_NS0_5tupleIJPjSI_NS0_16reverse_iteratorISI_EEEEENSH_IJSG_SG_SG_EEES9_SI_JZNS1_25segmented_radix_sort_implINS0_14default_configELb1EPKlPlSQ_SR_N2at6native12_GLOBAL__N_18offset_tEEE10hipError_tPvRmT1_PNSt15iterator_traitsISZ_E10value_typeET2_T3_PNS10_IS15_E10value_typeET4_jRbjT5_S1B_jjP12ihipStream_tbEUljE_ZNSN_ISO_Lb1ESQ_SR_SQ_SR_SV_EESW_SX_SY_SZ_S13_S14_S15_S18_S19_jS1A_jS1B_S1B_jjS1D_bEUljE0_EEESW_SX_SY_S15_S19_S1B_T6_T7_T9_mT8_S1D_bDpT10_ENKUlT_T0_E_clISt17integral_constantIbLb1EES1Q_IbLb0EEEEDaS1M_S1N_EUlS1M_E_NS1_11comp_targetILNS1_3genE2ELNS1_11target_archE906ELNS1_3gpuE6ELNS1_3repE0EEENS1_30default_config_static_selectorELNS0_4arch9wavefront6targetE0EEEvSZ_.private_seg_size, 0
	.set _ZN7rocprim17ROCPRIM_400000_NS6detail17trampoline_kernelINS0_13select_configILj256ELj13ELNS0_17block_load_methodE3ELS4_3ELS4_3ELNS0_20block_scan_algorithmE0ELj4294967295EEENS1_25partition_config_selectorILNS1_17partition_subalgoE4EjNS0_10empty_typeEbEEZZNS1_14partition_implILS8_4ELb0ES6_15HIP_vector_typeIjLj2EENS0_17counting_iteratorIjlEEPS9_SG_NS0_5tupleIJPjSI_NS0_16reverse_iteratorISI_EEEEENSH_IJSG_SG_SG_EEES9_SI_JZNS1_25segmented_radix_sort_implINS0_14default_configELb1EPKlPlSQ_SR_N2at6native12_GLOBAL__N_18offset_tEEE10hipError_tPvRmT1_PNSt15iterator_traitsISZ_E10value_typeET2_T3_PNS10_IS15_E10value_typeET4_jRbjT5_S1B_jjP12ihipStream_tbEUljE_ZNSN_ISO_Lb1ESQ_SR_SQ_SR_SV_EESW_SX_SY_SZ_S13_S14_S15_S18_S19_jS1A_jS1B_S1B_jjS1D_bEUljE0_EEESW_SX_SY_S15_S19_S1B_T6_T7_T9_mT8_S1D_bDpT10_ENKUlT_T0_E_clISt17integral_constantIbLb1EES1Q_IbLb0EEEEDaS1M_S1N_EUlS1M_E_NS1_11comp_targetILNS1_3genE2ELNS1_11target_archE906ELNS1_3gpuE6ELNS1_3repE0EEENS1_30default_config_static_selectorELNS0_4arch9wavefront6targetE0EEEvSZ_.uses_vcc, 0
	.set _ZN7rocprim17ROCPRIM_400000_NS6detail17trampoline_kernelINS0_13select_configILj256ELj13ELNS0_17block_load_methodE3ELS4_3ELS4_3ELNS0_20block_scan_algorithmE0ELj4294967295EEENS1_25partition_config_selectorILNS1_17partition_subalgoE4EjNS0_10empty_typeEbEEZZNS1_14partition_implILS8_4ELb0ES6_15HIP_vector_typeIjLj2EENS0_17counting_iteratorIjlEEPS9_SG_NS0_5tupleIJPjSI_NS0_16reverse_iteratorISI_EEEEENSH_IJSG_SG_SG_EEES9_SI_JZNS1_25segmented_radix_sort_implINS0_14default_configELb1EPKlPlSQ_SR_N2at6native12_GLOBAL__N_18offset_tEEE10hipError_tPvRmT1_PNSt15iterator_traitsISZ_E10value_typeET2_T3_PNS10_IS15_E10value_typeET4_jRbjT5_S1B_jjP12ihipStream_tbEUljE_ZNSN_ISO_Lb1ESQ_SR_SQ_SR_SV_EESW_SX_SY_SZ_S13_S14_S15_S18_S19_jS1A_jS1B_S1B_jjS1D_bEUljE0_EEESW_SX_SY_S15_S19_S1B_T6_T7_T9_mT8_S1D_bDpT10_ENKUlT_T0_E_clISt17integral_constantIbLb1EES1Q_IbLb0EEEEDaS1M_S1N_EUlS1M_E_NS1_11comp_targetILNS1_3genE2ELNS1_11target_archE906ELNS1_3gpuE6ELNS1_3repE0EEENS1_30default_config_static_selectorELNS0_4arch9wavefront6targetE0EEEvSZ_.uses_flat_scratch, 0
	.set _ZN7rocprim17ROCPRIM_400000_NS6detail17trampoline_kernelINS0_13select_configILj256ELj13ELNS0_17block_load_methodE3ELS4_3ELS4_3ELNS0_20block_scan_algorithmE0ELj4294967295EEENS1_25partition_config_selectorILNS1_17partition_subalgoE4EjNS0_10empty_typeEbEEZZNS1_14partition_implILS8_4ELb0ES6_15HIP_vector_typeIjLj2EENS0_17counting_iteratorIjlEEPS9_SG_NS0_5tupleIJPjSI_NS0_16reverse_iteratorISI_EEEEENSH_IJSG_SG_SG_EEES9_SI_JZNS1_25segmented_radix_sort_implINS0_14default_configELb1EPKlPlSQ_SR_N2at6native12_GLOBAL__N_18offset_tEEE10hipError_tPvRmT1_PNSt15iterator_traitsISZ_E10value_typeET2_T3_PNS10_IS15_E10value_typeET4_jRbjT5_S1B_jjP12ihipStream_tbEUljE_ZNSN_ISO_Lb1ESQ_SR_SQ_SR_SV_EESW_SX_SY_SZ_S13_S14_S15_S18_S19_jS1A_jS1B_S1B_jjS1D_bEUljE0_EEESW_SX_SY_S15_S19_S1B_T6_T7_T9_mT8_S1D_bDpT10_ENKUlT_T0_E_clISt17integral_constantIbLb1EES1Q_IbLb0EEEEDaS1M_S1N_EUlS1M_E_NS1_11comp_targetILNS1_3genE2ELNS1_11target_archE906ELNS1_3gpuE6ELNS1_3repE0EEENS1_30default_config_static_selectorELNS0_4arch9wavefront6targetE0EEEvSZ_.has_dyn_sized_stack, 0
	.set _ZN7rocprim17ROCPRIM_400000_NS6detail17trampoline_kernelINS0_13select_configILj256ELj13ELNS0_17block_load_methodE3ELS4_3ELS4_3ELNS0_20block_scan_algorithmE0ELj4294967295EEENS1_25partition_config_selectorILNS1_17partition_subalgoE4EjNS0_10empty_typeEbEEZZNS1_14partition_implILS8_4ELb0ES6_15HIP_vector_typeIjLj2EENS0_17counting_iteratorIjlEEPS9_SG_NS0_5tupleIJPjSI_NS0_16reverse_iteratorISI_EEEEENSH_IJSG_SG_SG_EEES9_SI_JZNS1_25segmented_radix_sort_implINS0_14default_configELb1EPKlPlSQ_SR_N2at6native12_GLOBAL__N_18offset_tEEE10hipError_tPvRmT1_PNSt15iterator_traitsISZ_E10value_typeET2_T3_PNS10_IS15_E10value_typeET4_jRbjT5_S1B_jjP12ihipStream_tbEUljE_ZNSN_ISO_Lb1ESQ_SR_SQ_SR_SV_EESW_SX_SY_SZ_S13_S14_S15_S18_S19_jS1A_jS1B_S1B_jjS1D_bEUljE0_EEESW_SX_SY_S15_S19_S1B_T6_T7_T9_mT8_S1D_bDpT10_ENKUlT_T0_E_clISt17integral_constantIbLb1EES1Q_IbLb0EEEEDaS1M_S1N_EUlS1M_E_NS1_11comp_targetILNS1_3genE2ELNS1_11target_archE906ELNS1_3gpuE6ELNS1_3repE0EEENS1_30default_config_static_selectorELNS0_4arch9wavefront6targetE0EEEvSZ_.has_recursion, 0
	.set _ZN7rocprim17ROCPRIM_400000_NS6detail17trampoline_kernelINS0_13select_configILj256ELj13ELNS0_17block_load_methodE3ELS4_3ELS4_3ELNS0_20block_scan_algorithmE0ELj4294967295EEENS1_25partition_config_selectorILNS1_17partition_subalgoE4EjNS0_10empty_typeEbEEZZNS1_14partition_implILS8_4ELb0ES6_15HIP_vector_typeIjLj2EENS0_17counting_iteratorIjlEEPS9_SG_NS0_5tupleIJPjSI_NS0_16reverse_iteratorISI_EEEEENSH_IJSG_SG_SG_EEES9_SI_JZNS1_25segmented_radix_sort_implINS0_14default_configELb1EPKlPlSQ_SR_N2at6native12_GLOBAL__N_18offset_tEEE10hipError_tPvRmT1_PNSt15iterator_traitsISZ_E10value_typeET2_T3_PNS10_IS15_E10value_typeET4_jRbjT5_S1B_jjP12ihipStream_tbEUljE_ZNSN_ISO_Lb1ESQ_SR_SQ_SR_SV_EESW_SX_SY_SZ_S13_S14_S15_S18_S19_jS1A_jS1B_S1B_jjS1D_bEUljE0_EEESW_SX_SY_S15_S19_S1B_T6_T7_T9_mT8_S1D_bDpT10_ENKUlT_T0_E_clISt17integral_constantIbLb1EES1Q_IbLb0EEEEDaS1M_S1N_EUlS1M_E_NS1_11comp_targetILNS1_3genE2ELNS1_11target_archE906ELNS1_3gpuE6ELNS1_3repE0EEENS1_30default_config_static_selectorELNS0_4arch9wavefront6targetE0EEEvSZ_.has_indirect_call, 0
	.section	.AMDGPU.csdata,"",@progbits
; Kernel info:
; codeLenInByte = 0
; TotalNumSgprs: 0
; NumVgprs: 0
; ScratchSize: 0
; MemoryBound: 0
; FloatMode: 240
; IeeeMode: 1
; LDSByteSize: 0 bytes/workgroup (compile time only)
; SGPRBlocks: 0
; VGPRBlocks: 0
; NumSGPRsForWavesPerEU: 1
; NumVGPRsForWavesPerEU: 1
; Occupancy: 16
; WaveLimiterHint : 0
; COMPUTE_PGM_RSRC2:SCRATCH_EN: 0
; COMPUTE_PGM_RSRC2:USER_SGPR: 2
; COMPUTE_PGM_RSRC2:TRAP_HANDLER: 0
; COMPUTE_PGM_RSRC2:TGID_X_EN: 1
; COMPUTE_PGM_RSRC2:TGID_Y_EN: 0
; COMPUTE_PGM_RSRC2:TGID_Z_EN: 0
; COMPUTE_PGM_RSRC2:TIDIG_COMP_CNT: 0
	.section	.text._ZN7rocprim17ROCPRIM_400000_NS6detail17trampoline_kernelINS0_13select_configILj256ELj13ELNS0_17block_load_methodE3ELS4_3ELS4_3ELNS0_20block_scan_algorithmE0ELj4294967295EEENS1_25partition_config_selectorILNS1_17partition_subalgoE4EjNS0_10empty_typeEbEEZZNS1_14partition_implILS8_4ELb0ES6_15HIP_vector_typeIjLj2EENS0_17counting_iteratorIjlEEPS9_SG_NS0_5tupleIJPjSI_NS0_16reverse_iteratorISI_EEEEENSH_IJSG_SG_SG_EEES9_SI_JZNS1_25segmented_radix_sort_implINS0_14default_configELb1EPKlPlSQ_SR_N2at6native12_GLOBAL__N_18offset_tEEE10hipError_tPvRmT1_PNSt15iterator_traitsISZ_E10value_typeET2_T3_PNS10_IS15_E10value_typeET4_jRbjT5_S1B_jjP12ihipStream_tbEUljE_ZNSN_ISO_Lb1ESQ_SR_SQ_SR_SV_EESW_SX_SY_SZ_S13_S14_S15_S18_S19_jS1A_jS1B_S1B_jjS1D_bEUljE0_EEESW_SX_SY_S15_S19_S1B_T6_T7_T9_mT8_S1D_bDpT10_ENKUlT_T0_E_clISt17integral_constantIbLb1EES1Q_IbLb0EEEEDaS1M_S1N_EUlS1M_E_NS1_11comp_targetILNS1_3genE10ELNS1_11target_archE1200ELNS1_3gpuE4ELNS1_3repE0EEENS1_30default_config_static_selectorELNS0_4arch9wavefront6targetE0EEEvSZ_,"axG",@progbits,_ZN7rocprim17ROCPRIM_400000_NS6detail17trampoline_kernelINS0_13select_configILj256ELj13ELNS0_17block_load_methodE3ELS4_3ELS4_3ELNS0_20block_scan_algorithmE0ELj4294967295EEENS1_25partition_config_selectorILNS1_17partition_subalgoE4EjNS0_10empty_typeEbEEZZNS1_14partition_implILS8_4ELb0ES6_15HIP_vector_typeIjLj2EENS0_17counting_iteratorIjlEEPS9_SG_NS0_5tupleIJPjSI_NS0_16reverse_iteratorISI_EEEEENSH_IJSG_SG_SG_EEES9_SI_JZNS1_25segmented_radix_sort_implINS0_14default_configELb1EPKlPlSQ_SR_N2at6native12_GLOBAL__N_18offset_tEEE10hipError_tPvRmT1_PNSt15iterator_traitsISZ_E10value_typeET2_T3_PNS10_IS15_E10value_typeET4_jRbjT5_S1B_jjP12ihipStream_tbEUljE_ZNSN_ISO_Lb1ESQ_SR_SQ_SR_SV_EESW_SX_SY_SZ_S13_S14_S15_S18_S19_jS1A_jS1B_S1B_jjS1D_bEUljE0_EEESW_SX_SY_S15_S19_S1B_T6_T7_T9_mT8_S1D_bDpT10_ENKUlT_T0_E_clISt17integral_constantIbLb1EES1Q_IbLb0EEEEDaS1M_S1N_EUlS1M_E_NS1_11comp_targetILNS1_3genE10ELNS1_11target_archE1200ELNS1_3gpuE4ELNS1_3repE0EEENS1_30default_config_static_selectorELNS0_4arch9wavefront6targetE0EEEvSZ_,comdat
	.globl	_ZN7rocprim17ROCPRIM_400000_NS6detail17trampoline_kernelINS0_13select_configILj256ELj13ELNS0_17block_load_methodE3ELS4_3ELS4_3ELNS0_20block_scan_algorithmE0ELj4294967295EEENS1_25partition_config_selectorILNS1_17partition_subalgoE4EjNS0_10empty_typeEbEEZZNS1_14partition_implILS8_4ELb0ES6_15HIP_vector_typeIjLj2EENS0_17counting_iteratorIjlEEPS9_SG_NS0_5tupleIJPjSI_NS0_16reverse_iteratorISI_EEEEENSH_IJSG_SG_SG_EEES9_SI_JZNS1_25segmented_radix_sort_implINS0_14default_configELb1EPKlPlSQ_SR_N2at6native12_GLOBAL__N_18offset_tEEE10hipError_tPvRmT1_PNSt15iterator_traitsISZ_E10value_typeET2_T3_PNS10_IS15_E10value_typeET4_jRbjT5_S1B_jjP12ihipStream_tbEUljE_ZNSN_ISO_Lb1ESQ_SR_SQ_SR_SV_EESW_SX_SY_SZ_S13_S14_S15_S18_S19_jS1A_jS1B_S1B_jjS1D_bEUljE0_EEESW_SX_SY_S15_S19_S1B_T6_T7_T9_mT8_S1D_bDpT10_ENKUlT_T0_E_clISt17integral_constantIbLb1EES1Q_IbLb0EEEEDaS1M_S1N_EUlS1M_E_NS1_11comp_targetILNS1_3genE10ELNS1_11target_archE1200ELNS1_3gpuE4ELNS1_3repE0EEENS1_30default_config_static_selectorELNS0_4arch9wavefront6targetE0EEEvSZ_ ; -- Begin function _ZN7rocprim17ROCPRIM_400000_NS6detail17trampoline_kernelINS0_13select_configILj256ELj13ELNS0_17block_load_methodE3ELS4_3ELS4_3ELNS0_20block_scan_algorithmE0ELj4294967295EEENS1_25partition_config_selectorILNS1_17partition_subalgoE4EjNS0_10empty_typeEbEEZZNS1_14partition_implILS8_4ELb0ES6_15HIP_vector_typeIjLj2EENS0_17counting_iteratorIjlEEPS9_SG_NS0_5tupleIJPjSI_NS0_16reverse_iteratorISI_EEEEENSH_IJSG_SG_SG_EEES9_SI_JZNS1_25segmented_radix_sort_implINS0_14default_configELb1EPKlPlSQ_SR_N2at6native12_GLOBAL__N_18offset_tEEE10hipError_tPvRmT1_PNSt15iterator_traitsISZ_E10value_typeET2_T3_PNS10_IS15_E10value_typeET4_jRbjT5_S1B_jjP12ihipStream_tbEUljE_ZNSN_ISO_Lb1ESQ_SR_SQ_SR_SV_EESW_SX_SY_SZ_S13_S14_S15_S18_S19_jS1A_jS1B_S1B_jjS1D_bEUljE0_EEESW_SX_SY_S15_S19_S1B_T6_T7_T9_mT8_S1D_bDpT10_ENKUlT_T0_E_clISt17integral_constantIbLb1EES1Q_IbLb0EEEEDaS1M_S1N_EUlS1M_E_NS1_11comp_targetILNS1_3genE10ELNS1_11target_archE1200ELNS1_3gpuE4ELNS1_3repE0EEENS1_30default_config_static_selectorELNS0_4arch9wavefront6targetE0EEEvSZ_
	.p2align	8
	.type	_ZN7rocprim17ROCPRIM_400000_NS6detail17trampoline_kernelINS0_13select_configILj256ELj13ELNS0_17block_load_methodE3ELS4_3ELS4_3ELNS0_20block_scan_algorithmE0ELj4294967295EEENS1_25partition_config_selectorILNS1_17partition_subalgoE4EjNS0_10empty_typeEbEEZZNS1_14partition_implILS8_4ELb0ES6_15HIP_vector_typeIjLj2EENS0_17counting_iteratorIjlEEPS9_SG_NS0_5tupleIJPjSI_NS0_16reverse_iteratorISI_EEEEENSH_IJSG_SG_SG_EEES9_SI_JZNS1_25segmented_radix_sort_implINS0_14default_configELb1EPKlPlSQ_SR_N2at6native12_GLOBAL__N_18offset_tEEE10hipError_tPvRmT1_PNSt15iterator_traitsISZ_E10value_typeET2_T3_PNS10_IS15_E10value_typeET4_jRbjT5_S1B_jjP12ihipStream_tbEUljE_ZNSN_ISO_Lb1ESQ_SR_SQ_SR_SV_EESW_SX_SY_SZ_S13_S14_S15_S18_S19_jS1A_jS1B_S1B_jjS1D_bEUljE0_EEESW_SX_SY_S15_S19_S1B_T6_T7_T9_mT8_S1D_bDpT10_ENKUlT_T0_E_clISt17integral_constantIbLb1EES1Q_IbLb0EEEEDaS1M_S1N_EUlS1M_E_NS1_11comp_targetILNS1_3genE10ELNS1_11target_archE1200ELNS1_3gpuE4ELNS1_3repE0EEENS1_30default_config_static_selectorELNS0_4arch9wavefront6targetE0EEEvSZ_,@function
_ZN7rocprim17ROCPRIM_400000_NS6detail17trampoline_kernelINS0_13select_configILj256ELj13ELNS0_17block_load_methodE3ELS4_3ELS4_3ELNS0_20block_scan_algorithmE0ELj4294967295EEENS1_25partition_config_selectorILNS1_17partition_subalgoE4EjNS0_10empty_typeEbEEZZNS1_14partition_implILS8_4ELb0ES6_15HIP_vector_typeIjLj2EENS0_17counting_iteratorIjlEEPS9_SG_NS0_5tupleIJPjSI_NS0_16reverse_iteratorISI_EEEEENSH_IJSG_SG_SG_EEES9_SI_JZNS1_25segmented_radix_sort_implINS0_14default_configELb1EPKlPlSQ_SR_N2at6native12_GLOBAL__N_18offset_tEEE10hipError_tPvRmT1_PNSt15iterator_traitsISZ_E10value_typeET2_T3_PNS10_IS15_E10value_typeET4_jRbjT5_S1B_jjP12ihipStream_tbEUljE_ZNSN_ISO_Lb1ESQ_SR_SQ_SR_SV_EESW_SX_SY_SZ_S13_S14_S15_S18_S19_jS1A_jS1B_S1B_jjS1D_bEUljE0_EEESW_SX_SY_S15_S19_S1B_T6_T7_T9_mT8_S1D_bDpT10_ENKUlT_T0_E_clISt17integral_constantIbLb1EES1Q_IbLb0EEEEDaS1M_S1N_EUlS1M_E_NS1_11comp_targetILNS1_3genE10ELNS1_11target_archE1200ELNS1_3gpuE4ELNS1_3repE0EEENS1_30default_config_static_selectorELNS0_4arch9wavefront6targetE0EEEvSZ_: ; @_ZN7rocprim17ROCPRIM_400000_NS6detail17trampoline_kernelINS0_13select_configILj256ELj13ELNS0_17block_load_methodE3ELS4_3ELS4_3ELNS0_20block_scan_algorithmE0ELj4294967295EEENS1_25partition_config_selectorILNS1_17partition_subalgoE4EjNS0_10empty_typeEbEEZZNS1_14partition_implILS8_4ELb0ES6_15HIP_vector_typeIjLj2EENS0_17counting_iteratorIjlEEPS9_SG_NS0_5tupleIJPjSI_NS0_16reverse_iteratorISI_EEEEENSH_IJSG_SG_SG_EEES9_SI_JZNS1_25segmented_radix_sort_implINS0_14default_configELb1EPKlPlSQ_SR_N2at6native12_GLOBAL__N_18offset_tEEE10hipError_tPvRmT1_PNSt15iterator_traitsISZ_E10value_typeET2_T3_PNS10_IS15_E10value_typeET4_jRbjT5_S1B_jjP12ihipStream_tbEUljE_ZNSN_ISO_Lb1ESQ_SR_SQ_SR_SV_EESW_SX_SY_SZ_S13_S14_S15_S18_S19_jS1A_jS1B_S1B_jjS1D_bEUljE0_EEESW_SX_SY_S15_S19_S1B_T6_T7_T9_mT8_S1D_bDpT10_ENKUlT_T0_E_clISt17integral_constantIbLb1EES1Q_IbLb0EEEEDaS1M_S1N_EUlS1M_E_NS1_11comp_targetILNS1_3genE10ELNS1_11target_archE1200ELNS1_3gpuE4ELNS1_3repE0EEENS1_30default_config_static_selectorELNS0_4arch9wavefront6targetE0EEEvSZ_
; %bb.0:
	s_endpgm
	.section	.rodata,"a",@progbits
	.p2align	6, 0x0
	.amdhsa_kernel _ZN7rocprim17ROCPRIM_400000_NS6detail17trampoline_kernelINS0_13select_configILj256ELj13ELNS0_17block_load_methodE3ELS4_3ELS4_3ELNS0_20block_scan_algorithmE0ELj4294967295EEENS1_25partition_config_selectorILNS1_17partition_subalgoE4EjNS0_10empty_typeEbEEZZNS1_14partition_implILS8_4ELb0ES6_15HIP_vector_typeIjLj2EENS0_17counting_iteratorIjlEEPS9_SG_NS0_5tupleIJPjSI_NS0_16reverse_iteratorISI_EEEEENSH_IJSG_SG_SG_EEES9_SI_JZNS1_25segmented_radix_sort_implINS0_14default_configELb1EPKlPlSQ_SR_N2at6native12_GLOBAL__N_18offset_tEEE10hipError_tPvRmT1_PNSt15iterator_traitsISZ_E10value_typeET2_T3_PNS10_IS15_E10value_typeET4_jRbjT5_S1B_jjP12ihipStream_tbEUljE_ZNSN_ISO_Lb1ESQ_SR_SQ_SR_SV_EESW_SX_SY_SZ_S13_S14_S15_S18_S19_jS1A_jS1B_S1B_jjS1D_bEUljE0_EEESW_SX_SY_S15_S19_S1B_T6_T7_T9_mT8_S1D_bDpT10_ENKUlT_T0_E_clISt17integral_constantIbLb1EES1Q_IbLb0EEEEDaS1M_S1N_EUlS1M_E_NS1_11comp_targetILNS1_3genE10ELNS1_11target_archE1200ELNS1_3gpuE4ELNS1_3repE0EEENS1_30default_config_static_selectorELNS0_4arch9wavefront6targetE0EEEvSZ_
		.amdhsa_group_segment_fixed_size 0
		.amdhsa_private_segment_fixed_size 0
		.amdhsa_kernarg_size 176
		.amdhsa_user_sgpr_count 2
		.amdhsa_user_sgpr_dispatch_ptr 0
		.amdhsa_user_sgpr_queue_ptr 0
		.amdhsa_user_sgpr_kernarg_segment_ptr 1
		.amdhsa_user_sgpr_dispatch_id 0
		.amdhsa_user_sgpr_private_segment_size 0
		.amdhsa_wavefront_size32 1
		.amdhsa_uses_dynamic_stack 0
		.amdhsa_enable_private_segment 0
		.amdhsa_system_sgpr_workgroup_id_x 1
		.amdhsa_system_sgpr_workgroup_id_y 0
		.amdhsa_system_sgpr_workgroup_id_z 0
		.amdhsa_system_sgpr_workgroup_info 0
		.amdhsa_system_vgpr_workitem_id 0
		.amdhsa_next_free_vgpr 1
		.amdhsa_next_free_sgpr 1
		.amdhsa_reserve_vcc 0
		.amdhsa_float_round_mode_32 0
		.amdhsa_float_round_mode_16_64 0
		.amdhsa_float_denorm_mode_32 3
		.amdhsa_float_denorm_mode_16_64 3
		.amdhsa_fp16_overflow 0
		.amdhsa_workgroup_processor_mode 1
		.amdhsa_memory_ordered 1
		.amdhsa_forward_progress 1
		.amdhsa_inst_pref_size 1
		.amdhsa_round_robin_scheduling 0
		.amdhsa_exception_fp_ieee_invalid_op 0
		.amdhsa_exception_fp_denorm_src 0
		.amdhsa_exception_fp_ieee_div_zero 0
		.amdhsa_exception_fp_ieee_overflow 0
		.amdhsa_exception_fp_ieee_underflow 0
		.amdhsa_exception_fp_ieee_inexact 0
		.amdhsa_exception_int_div_zero 0
	.end_amdhsa_kernel
	.section	.text._ZN7rocprim17ROCPRIM_400000_NS6detail17trampoline_kernelINS0_13select_configILj256ELj13ELNS0_17block_load_methodE3ELS4_3ELS4_3ELNS0_20block_scan_algorithmE0ELj4294967295EEENS1_25partition_config_selectorILNS1_17partition_subalgoE4EjNS0_10empty_typeEbEEZZNS1_14partition_implILS8_4ELb0ES6_15HIP_vector_typeIjLj2EENS0_17counting_iteratorIjlEEPS9_SG_NS0_5tupleIJPjSI_NS0_16reverse_iteratorISI_EEEEENSH_IJSG_SG_SG_EEES9_SI_JZNS1_25segmented_radix_sort_implINS0_14default_configELb1EPKlPlSQ_SR_N2at6native12_GLOBAL__N_18offset_tEEE10hipError_tPvRmT1_PNSt15iterator_traitsISZ_E10value_typeET2_T3_PNS10_IS15_E10value_typeET4_jRbjT5_S1B_jjP12ihipStream_tbEUljE_ZNSN_ISO_Lb1ESQ_SR_SQ_SR_SV_EESW_SX_SY_SZ_S13_S14_S15_S18_S19_jS1A_jS1B_S1B_jjS1D_bEUljE0_EEESW_SX_SY_S15_S19_S1B_T6_T7_T9_mT8_S1D_bDpT10_ENKUlT_T0_E_clISt17integral_constantIbLb1EES1Q_IbLb0EEEEDaS1M_S1N_EUlS1M_E_NS1_11comp_targetILNS1_3genE10ELNS1_11target_archE1200ELNS1_3gpuE4ELNS1_3repE0EEENS1_30default_config_static_selectorELNS0_4arch9wavefront6targetE0EEEvSZ_,"axG",@progbits,_ZN7rocprim17ROCPRIM_400000_NS6detail17trampoline_kernelINS0_13select_configILj256ELj13ELNS0_17block_load_methodE3ELS4_3ELS4_3ELNS0_20block_scan_algorithmE0ELj4294967295EEENS1_25partition_config_selectorILNS1_17partition_subalgoE4EjNS0_10empty_typeEbEEZZNS1_14partition_implILS8_4ELb0ES6_15HIP_vector_typeIjLj2EENS0_17counting_iteratorIjlEEPS9_SG_NS0_5tupleIJPjSI_NS0_16reverse_iteratorISI_EEEEENSH_IJSG_SG_SG_EEES9_SI_JZNS1_25segmented_radix_sort_implINS0_14default_configELb1EPKlPlSQ_SR_N2at6native12_GLOBAL__N_18offset_tEEE10hipError_tPvRmT1_PNSt15iterator_traitsISZ_E10value_typeET2_T3_PNS10_IS15_E10value_typeET4_jRbjT5_S1B_jjP12ihipStream_tbEUljE_ZNSN_ISO_Lb1ESQ_SR_SQ_SR_SV_EESW_SX_SY_SZ_S13_S14_S15_S18_S19_jS1A_jS1B_S1B_jjS1D_bEUljE0_EEESW_SX_SY_S15_S19_S1B_T6_T7_T9_mT8_S1D_bDpT10_ENKUlT_T0_E_clISt17integral_constantIbLb1EES1Q_IbLb0EEEEDaS1M_S1N_EUlS1M_E_NS1_11comp_targetILNS1_3genE10ELNS1_11target_archE1200ELNS1_3gpuE4ELNS1_3repE0EEENS1_30default_config_static_selectorELNS0_4arch9wavefront6targetE0EEEvSZ_,comdat
.Lfunc_end661:
	.size	_ZN7rocprim17ROCPRIM_400000_NS6detail17trampoline_kernelINS0_13select_configILj256ELj13ELNS0_17block_load_methodE3ELS4_3ELS4_3ELNS0_20block_scan_algorithmE0ELj4294967295EEENS1_25partition_config_selectorILNS1_17partition_subalgoE4EjNS0_10empty_typeEbEEZZNS1_14partition_implILS8_4ELb0ES6_15HIP_vector_typeIjLj2EENS0_17counting_iteratorIjlEEPS9_SG_NS0_5tupleIJPjSI_NS0_16reverse_iteratorISI_EEEEENSH_IJSG_SG_SG_EEES9_SI_JZNS1_25segmented_radix_sort_implINS0_14default_configELb1EPKlPlSQ_SR_N2at6native12_GLOBAL__N_18offset_tEEE10hipError_tPvRmT1_PNSt15iterator_traitsISZ_E10value_typeET2_T3_PNS10_IS15_E10value_typeET4_jRbjT5_S1B_jjP12ihipStream_tbEUljE_ZNSN_ISO_Lb1ESQ_SR_SQ_SR_SV_EESW_SX_SY_SZ_S13_S14_S15_S18_S19_jS1A_jS1B_S1B_jjS1D_bEUljE0_EEESW_SX_SY_S15_S19_S1B_T6_T7_T9_mT8_S1D_bDpT10_ENKUlT_T0_E_clISt17integral_constantIbLb1EES1Q_IbLb0EEEEDaS1M_S1N_EUlS1M_E_NS1_11comp_targetILNS1_3genE10ELNS1_11target_archE1200ELNS1_3gpuE4ELNS1_3repE0EEENS1_30default_config_static_selectorELNS0_4arch9wavefront6targetE0EEEvSZ_, .Lfunc_end661-_ZN7rocprim17ROCPRIM_400000_NS6detail17trampoline_kernelINS0_13select_configILj256ELj13ELNS0_17block_load_methodE3ELS4_3ELS4_3ELNS0_20block_scan_algorithmE0ELj4294967295EEENS1_25partition_config_selectorILNS1_17partition_subalgoE4EjNS0_10empty_typeEbEEZZNS1_14partition_implILS8_4ELb0ES6_15HIP_vector_typeIjLj2EENS0_17counting_iteratorIjlEEPS9_SG_NS0_5tupleIJPjSI_NS0_16reverse_iteratorISI_EEEEENSH_IJSG_SG_SG_EEES9_SI_JZNS1_25segmented_radix_sort_implINS0_14default_configELb1EPKlPlSQ_SR_N2at6native12_GLOBAL__N_18offset_tEEE10hipError_tPvRmT1_PNSt15iterator_traitsISZ_E10value_typeET2_T3_PNS10_IS15_E10value_typeET4_jRbjT5_S1B_jjP12ihipStream_tbEUljE_ZNSN_ISO_Lb1ESQ_SR_SQ_SR_SV_EESW_SX_SY_SZ_S13_S14_S15_S18_S19_jS1A_jS1B_S1B_jjS1D_bEUljE0_EEESW_SX_SY_S15_S19_S1B_T6_T7_T9_mT8_S1D_bDpT10_ENKUlT_T0_E_clISt17integral_constantIbLb1EES1Q_IbLb0EEEEDaS1M_S1N_EUlS1M_E_NS1_11comp_targetILNS1_3genE10ELNS1_11target_archE1200ELNS1_3gpuE4ELNS1_3repE0EEENS1_30default_config_static_selectorELNS0_4arch9wavefront6targetE0EEEvSZ_
                                        ; -- End function
	.set _ZN7rocprim17ROCPRIM_400000_NS6detail17trampoline_kernelINS0_13select_configILj256ELj13ELNS0_17block_load_methodE3ELS4_3ELS4_3ELNS0_20block_scan_algorithmE0ELj4294967295EEENS1_25partition_config_selectorILNS1_17partition_subalgoE4EjNS0_10empty_typeEbEEZZNS1_14partition_implILS8_4ELb0ES6_15HIP_vector_typeIjLj2EENS0_17counting_iteratorIjlEEPS9_SG_NS0_5tupleIJPjSI_NS0_16reverse_iteratorISI_EEEEENSH_IJSG_SG_SG_EEES9_SI_JZNS1_25segmented_radix_sort_implINS0_14default_configELb1EPKlPlSQ_SR_N2at6native12_GLOBAL__N_18offset_tEEE10hipError_tPvRmT1_PNSt15iterator_traitsISZ_E10value_typeET2_T3_PNS10_IS15_E10value_typeET4_jRbjT5_S1B_jjP12ihipStream_tbEUljE_ZNSN_ISO_Lb1ESQ_SR_SQ_SR_SV_EESW_SX_SY_SZ_S13_S14_S15_S18_S19_jS1A_jS1B_S1B_jjS1D_bEUljE0_EEESW_SX_SY_S15_S19_S1B_T6_T7_T9_mT8_S1D_bDpT10_ENKUlT_T0_E_clISt17integral_constantIbLb1EES1Q_IbLb0EEEEDaS1M_S1N_EUlS1M_E_NS1_11comp_targetILNS1_3genE10ELNS1_11target_archE1200ELNS1_3gpuE4ELNS1_3repE0EEENS1_30default_config_static_selectorELNS0_4arch9wavefront6targetE0EEEvSZ_.num_vgpr, 0
	.set _ZN7rocprim17ROCPRIM_400000_NS6detail17trampoline_kernelINS0_13select_configILj256ELj13ELNS0_17block_load_methodE3ELS4_3ELS4_3ELNS0_20block_scan_algorithmE0ELj4294967295EEENS1_25partition_config_selectorILNS1_17partition_subalgoE4EjNS0_10empty_typeEbEEZZNS1_14partition_implILS8_4ELb0ES6_15HIP_vector_typeIjLj2EENS0_17counting_iteratorIjlEEPS9_SG_NS0_5tupleIJPjSI_NS0_16reverse_iteratorISI_EEEEENSH_IJSG_SG_SG_EEES9_SI_JZNS1_25segmented_radix_sort_implINS0_14default_configELb1EPKlPlSQ_SR_N2at6native12_GLOBAL__N_18offset_tEEE10hipError_tPvRmT1_PNSt15iterator_traitsISZ_E10value_typeET2_T3_PNS10_IS15_E10value_typeET4_jRbjT5_S1B_jjP12ihipStream_tbEUljE_ZNSN_ISO_Lb1ESQ_SR_SQ_SR_SV_EESW_SX_SY_SZ_S13_S14_S15_S18_S19_jS1A_jS1B_S1B_jjS1D_bEUljE0_EEESW_SX_SY_S15_S19_S1B_T6_T7_T9_mT8_S1D_bDpT10_ENKUlT_T0_E_clISt17integral_constantIbLb1EES1Q_IbLb0EEEEDaS1M_S1N_EUlS1M_E_NS1_11comp_targetILNS1_3genE10ELNS1_11target_archE1200ELNS1_3gpuE4ELNS1_3repE0EEENS1_30default_config_static_selectorELNS0_4arch9wavefront6targetE0EEEvSZ_.num_agpr, 0
	.set _ZN7rocprim17ROCPRIM_400000_NS6detail17trampoline_kernelINS0_13select_configILj256ELj13ELNS0_17block_load_methodE3ELS4_3ELS4_3ELNS0_20block_scan_algorithmE0ELj4294967295EEENS1_25partition_config_selectorILNS1_17partition_subalgoE4EjNS0_10empty_typeEbEEZZNS1_14partition_implILS8_4ELb0ES6_15HIP_vector_typeIjLj2EENS0_17counting_iteratorIjlEEPS9_SG_NS0_5tupleIJPjSI_NS0_16reverse_iteratorISI_EEEEENSH_IJSG_SG_SG_EEES9_SI_JZNS1_25segmented_radix_sort_implINS0_14default_configELb1EPKlPlSQ_SR_N2at6native12_GLOBAL__N_18offset_tEEE10hipError_tPvRmT1_PNSt15iterator_traitsISZ_E10value_typeET2_T3_PNS10_IS15_E10value_typeET4_jRbjT5_S1B_jjP12ihipStream_tbEUljE_ZNSN_ISO_Lb1ESQ_SR_SQ_SR_SV_EESW_SX_SY_SZ_S13_S14_S15_S18_S19_jS1A_jS1B_S1B_jjS1D_bEUljE0_EEESW_SX_SY_S15_S19_S1B_T6_T7_T9_mT8_S1D_bDpT10_ENKUlT_T0_E_clISt17integral_constantIbLb1EES1Q_IbLb0EEEEDaS1M_S1N_EUlS1M_E_NS1_11comp_targetILNS1_3genE10ELNS1_11target_archE1200ELNS1_3gpuE4ELNS1_3repE0EEENS1_30default_config_static_selectorELNS0_4arch9wavefront6targetE0EEEvSZ_.numbered_sgpr, 0
	.set _ZN7rocprim17ROCPRIM_400000_NS6detail17trampoline_kernelINS0_13select_configILj256ELj13ELNS0_17block_load_methodE3ELS4_3ELS4_3ELNS0_20block_scan_algorithmE0ELj4294967295EEENS1_25partition_config_selectorILNS1_17partition_subalgoE4EjNS0_10empty_typeEbEEZZNS1_14partition_implILS8_4ELb0ES6_15HIP_vector_typeIjLj2EENS0_17counting_iteratorIjlEEPS9_SG_NS0_5tupleIJPjSI_NS0_16reverse_iteratorISI_EEEEENSH_IJSG_SG_SG_EEES9_SI_JZNS1_25segmented_radix_sort_implINS0_14default_configELb1EPKlPlSQ_SR_N2at6native12_GLOBAL__N_18offset_tEEE10hipError_tPvRmT1_PNSt15iterator_traitsISZ_E10value_typeET2_T3_PNS10_IS15_E10value_typeET4_jRbjT5_S1B_jjP12ihipStream_tbEUljE_ZNSN_ISO_Lb1ESQ_SR_SQ_SR_SV_EESW_SX_SY_SZ_S13_S14_S15_S18_S19_jS1A_jS1B_S1B_jjS1D_bEUljE0_EEESW_SX_SY_S15_S19_S1B_T6_T7_T9_mT8_S1D_bDpT10_ENKUlT_T0_E_clISt17integral_constantIbLb1EES1Q_IbLb0EEEEDaS1M_S1N_EUlS1M_E_NS1_11comp_targetILNS1_3genE10ELNS1_11target_archE1200ELNS1_3gpuE4ELNS1_3repE0EEENS1_30default_config_static_selectorELNS0_4arch9wavefront6targetE0EEEvSZ_.num_named_barrier, 0
	.set _ZN7rocprim17ROCPRIM_400000_NS6detail17trampoline_kernelINS0_13select_configILj256ELj13ELNS0_17block_load_methodE3ELS4_3ELS4_3ELNS0_20block_scan_algorithmE0ELj4294967295EEENS1_25partition_config_selectorILNS1_17partition_subalgoE4EjNS0_10empty_typeEbEEZZNS1_14partition_implILS8_4ELb0ES6_15HIP_vector_typeIjLj2EENS0_17counting_iteratorIjlEEPS9_SG_NS0_5tupleIJPjSI_NS0_16reverse_iteratorISI_EEEEENSH_IJSG_SG_SG_EEES9_SI_JZNS1_25segmented_radix_sort_implINS0_14default_configELb1EPKlPlSQ_SR_N2at6native12_GLOBAL__N_18offset_tEEE10hipError_tPvRmT1_PNSt15iterator_traitsISZ_E10value_typeET2_T3_PNS10_IS15_E10value_typeET4_jRbjT5_S1B_jjP12ihipStream_tbEUljE_ZNSN_ISO_Lb1ESQ_SR_SQ_SR_SV_EESW_SX_SY_SZ_S13_S14_S15_S18_S19_jS1A_jS1B_S1B_jjS1D_bEUljE0_EEESW_SX_SY_S15_S19_S1B_T6_T7_T9_mT8_S1D_bDpT10_ENKUlT_T0_E_clISt17integral_constantIbLb1EES1Q_IbLb0EEEEDaS1M_S1N_EUlS1M_E_NS1_11comp_targetILNS1_3genE10ELNS1_11target_archE1200ELNS1_3gpuE4ELNS1_3repE0EEENS1_30default_config_static_selectorELNS0_4arch9wavefront6targetE0EEEvSZ_.private_seg_size, 0
	.set _ZN7rocprim17ROCPRIM_400000_NS6detail17trampoline_kernelINS0_13select_configILj256ELj13ELNS0_17block_load_methodE3ELS4_3ELS4_3ELNS0_20block_scan_algorithmE0ELj4294967295EEENS1_25partition_config_selectorILNS1_17partition_subalgoE4EjNS0_10empty_typeEbEEZZNS1_14partition_implILS8_4ELb0ES6_15HIP_vector_typeIjLj2EENS0_17counting_iteratorIjlEEPS9_SG_NS0_5tupleIJPjSI_NS0_16reverse_iteratorISI_EEEEENSH_IJSG_SG_SG_EEES9_SI_JZNS1_25segmented_radix_sort_implINS0_14default_configELb1EPKlPlSQ_SR_N2at6native12_GLOBAL__N_18offset_tEEE10hipError_tPvRmT1_PNSt15iterator_traitsISZ_E10value_typeET2_T3_PNS10_IS15_E10value_typeET4_jRbjT5_S1B_jjP12ihipStream_tbEUljE_ZNSN_ISO_Lb1ESQ_SR_SQ_SR_SV_EESW_SX_SY_SZ_S13_S14_S15_S18_S19_jS1A_jS1B_S1B_jjS1D_bEUljE0_EEESW_SX_SY_S15_S19_S1B_T6_T7_T9_mT8_S1D_bDpT10_ENKUlT_T0_E_clISt17integral_constantIbLb1EES1Q_IbLb0EEEEDaS1M_S1N_EUlS1M_E_NS1_11comp_targetILNS1_3genE10ELNS1_11target_archE1200ELNS1_3gpuE4ELNS1_3repE0EEENS1_30default_config_static_selectorELNS0_4arch9wavefront6targetE0EEEvSZ_.uses_vcc, 0
	.set _ZN7rocprim17ROCPRIM_400000_NS6detail17trampoline_kernelINS0_13select_configILj256ELj13ELNS0_17block_load_methodE3ELS4_3ELS4_3ELNS0_20block_scan_algorithmE0ELj4294967295EEENS1_25partition_config_selectorILNS1_17partition_subalgoE4EjNS0_10empty_typeEbEEZZNS1_14partition_implILS8_4ELb0ES6_15HIP_vector_typeIjLj2EENS0_17counting_iteratorIjlEEPS9_SG_NS0_5tupleIJPjSI_NS0_16reverse_iteratorISI_EEEEENSH_IJSG_SG_SG_EEES9_SI_JZNS1_25segmented_radix_sort_implINS0_14default_configELb1EPKlPlSQ_SR_N2at6native12_GLOBAL__N_18offset_tEEE10hipError_tPvRmT1_PNSt15iterator_traitsISZ_E10value_typeET2_T3_PNS10_IS15_E10value_typeET4_jRbjT5_S1B_jjP12ihipStream_tbEUljE_ZNSN_ISO_Lb1ESQ_SR_SQ_SR_SV_EESW_SX_SY_SZ_S13_S14_S15_S18_S19_jS1A_jS1B_S1B_jjS1D_bEUljE0_EEESW_SX_SY_S15_S19_S1B_T6_T7_T9_mT8_S1D_bDpT10_ENKUlT_T0_E_clISt17integral_constantIbLb1EES1Q_IbLb0EEEEDaS1M_S1N_EUlS1M_E_NS1_11comp_targetILNS1_3genE10ELNS1_11target_archE1200ELNS1_3gpuE4ELNS1_3repE0EEENS1_30default_config_static_selectorELNS0_4arch9wavefront6targetE0EEEvSZ_.uses_flat_scratch, 0
	.set _ZN7rocprim17ROCPRIM_400000_NS6detail17trampoline_kernelINS0_13select_configILj256ELj13ELNS0_17block_load_methodE3ELS4_3ELS4_3ELNS0_20block_scan_algorithmE0ELj4294967295EEENS1_25partition_config_selectorILNS1_17partition_subalgoE4EjNS0_10empty_typeEbEEZZNS1_14partition_implILS8_4ELb0ES6_15HIP_vector_typeIjLj2EENS0_17counting_iteratorIjlEEPS9_SG_NS0_5tupleIJPjSI_NS0_16reverse_iteratorISI_EEEEENSH_IJSG_SG_SG_EEES9_SI_JZNS1_25segmented_radix_sort_implINS0_14default_configELb1EPKlPlSQ_SR_N2at6native12_GLOBAL__N_18offset_tEEE10hipError_tPvRmT1_PNSt15iterator_traitsISZ_E10value_typeET2_T3_PNS10_IS15_E10value_typeET4_jRbjT5_S1B_jjP12ihipStream_tbEUljE_ZNSN_ISO_Lb1ESQ_SR_SQ_SR_SV_EESW_SX_SY_SZ_S13_S14_S15_S18_S19_jS1A_jS1B_S1B_jjS1D_bEUljE0_EEESW_SX_SY_S15_S19_S1B_T6_T7_T9_mT8_S1D_bDpT10_ENKUlT_T0_E_clISt17integral_constantIbLb1EES1Q_IbLb0EEEEDaS1M_S1N_EUlS1M_E_NS1_11comp_targetILNS1_3genE10ELNS1_11target_archE1200ELNS1_3gpuE4ELNS1_3repE0EEENS1_30default_config_static_selectorELNS0_4arch9wavefront6targetE0EEEvSZ_.has_dyn_sized_stack, 0
	.set _ZN7rocprim17ROCPRIM_400000_NS6detail17trampoline_kernelINS0_13select_configILj256ELj13ELNS0_17block_load_methodE3ELS4_3ELS4_3ELNS0_20block_scan_algorithmE0ELj4294967295EEENS1_25partition_config_selectorILNS1_17partition_subalgoE4EjNS0_10empty_typeEbEEZZNS1_14partition_implILS8_4ELb0ES6_15HIP_vector_typeIjLj2EENS0_17counting_iteratorIjlEEPS9_SG_NS0_5tupleIJPjSI_NS0_16reverse_iteratorISI_EEEEENSH_IJSG_SG_SG_EEES9_SI_JZNS1_25segmented_radix_sort_implINS0_14default_configELb1EPKlPlSQ_SR_N2at6native12_GLOBAL__N_18offset_tEEE10hipError_tPvRmT1_PNSt15iterator_traitsISZ_E10value_typeET2_T3_PNS10_IS15_E10value_typeET4_jRbjT5_S1B_jjP12ihipStream_tbEUljE_ZNSN_ISO_Lb1ESQ_SR_SQ_SR_SV_EESW_SX_SY_SZ_S13_S14_S15_S18_S19_jS1A_jS1B_S1B_jjS1D_bEUljE0_EEESW_SX_SY_S15_S19_S1B_T6_T7_T9_mT8_S1D_bDpT10_ENKUlT_T0_E_clISt17integral_constantIbLb1EES1Q_IbLb0EEEEDaS1M_S1N_EUlS1M_E_NS1_11comp_targetILNS1_3genE10ELNS1_11target_archE1200ELNS1_3gpuE4ELNS1_3repE0EEENS1_30default_config_static_selectorELNS0_4arch9wavefront6targetE0EEEvSZ_.has_recursion, 0
	.set _ZN7rocprim17ROCPRIM_400000_NS6detail17trampoline_kernelINS0_13select_configILj256ELj13ELNS0_17block_load_methodE3ELS4_3ELS4_3ELNS0_20block_scan_algorithmE0ELj4294967295EEENS1_25partition_config_selectorILNS1_17partition_subalgoE4EjNS0_10empty_typeEbEEZZNS1_14partition_implILS8_4ELb0ES6_15HIP_vector_typeIjLj2EENS0_17counting_iteratorIjlEEPS9_SG_NS0_5tupleIJPjSI_NS0_16reverse_iteratorISI_EEEEENSH_IJSG_SG_SG_EEES9_SI_JZNS1_25segmented_radix_sort_implINS0_14default_configELb1EPKlPlSQ_SR_N2at6native12_GLOBAL__N_18offset_tEEE10hipError_tPvRmT1_PNSt15iterator_traitsISZ_E10value_typeET2_T3_PNS10_IS15_E10value_typeET4_jRbjT5_S1B_jjP12ihipStream_tbEUljE_ZNSN_ISO_Lb1ESQ_SR_SQ_SR_SV_EESW_SX_SY_SZ_S13_S14_S15_S18_S19_jS1A_jS1B_S1B_jjS1D_bEUljE0_EEESW_SX_SY_S15_S19_S1B_T6_T7_T9_mT8_S1D_bDpT10_ENKUlT_T0_E_clISt17integral_constantIbLb1EES1Q_IbLb0EEEEDaS1M_S1N_EUlS1M_E_NS1_11comp_targetILNS1_3genE10ELNS1_11target_archE1200ELNS1_3gpuE4ELNS1_3repE0EEENS1_30default_config_static_selectorELNS0_4arch9wavefront6targetE0EEEvSZ_.has_indirect_call, 0
	.section	.AMDGPU.csdata,"",@progbits
; Kernel info:
; codeLenInByte = 4
; TotalNumSgprs: 0
; NumVgprs: 0
; ScratchSize: 0
; MemoryBound: 0
; FloatMode: 240
; IeeeMode: 1
; LDSByteSize: 0 bytes/workgroup (compile time only)
; SGPRBlocks: 0
; VGPRBlocks: 0
; NumSGPRsForWavesPerEU: 1
; NumVGPRsForWavesPerEU: 1
; Occupancy: 16
; WaveLimiterHint : 0
; COMPUTE_PGM_RSRC2:SCRATCH_EN: 0
; COMPUTE_PGM_RSRC2:USER_SGPR: 2
; COMPUTE_PGM_RSRC2:TRAP_HANDLER: 0
; COMPUTE_PGM_RSRC2:TGID_X_EN: 1
; COMPUTE_PGM_RSRC2:TGID_Y_EN: 0
; COMPUTE_PGM_RSRC2:TGID_Z_EN: 0
; COMPUTE_PGM_RSRC2:TIDIG_COMP_CNT: 0
	.section	.text._ZN7rocprim17ROCPRIM_400000_NS6detail17trampoline_kernelINS0_13select_configILj256ELj13ELNS0_17block_load_methodE3ELS4_3ELS4_3ELNS0_20block_scan_algorithmE0ELj4294967295EEENS1_25partition_config_selectorILNS1_17partition_subalgoE4EjNS0_10empty_typeEbEEZZNS1_14partition_implILS8_4ELb0ES6_15HIP_vector_typeIjLj2EENS0_17counting_iteratorIjlEEPS9_SG_NS0_5tupleIJPjSI_NS0_16reverse_iteratorISI_EEEEENSH_IJSG_SG_SG_EEES9_SI_JZNS1_25segmented_radix_sort_implINS0_14default_configELb1EPKlPlSQ_SR_N2at6native12_GLOBAL__N_18offset_tEEE10hipError_tPvRmT1_PNSt15iterator_traitsISZ_E10value_typeET2_T3_PNS10_IS15_E10value_typeET4_jRbjT5_S1B_jjP12ihipStream_tbEUljE_ZNSN_ISO_Lb1ESQ_SR_SQ_SR_SV_EESW_SX_SY_SZ_S13_S14_S15_S18_S19_jS1A_jS1B_S1B_jjS1D_bEUljE0_EEESW_SX_SY_S15_S19_S1B_T6_T7_T9_mT8_S1D_bDpT10_ENKUlT_T0_E_clISt17integral_constantIbLb1EES1Q_IbLb0EEEEDaS1M_S1N_EUlS1M_E_NS1_11comp_targetILNS1_3genE9ELNS1_11target_archE1100ELNS1_3gpuE3ELNS1_3repE0EEENS1_30default_config_static_selectorELNS0_4arch9wavefront6targetE0EEEvSZ_,"axG",@progbits,_ZN7rocprim17ROCPRIM_400000_NS6detail17trampoline_kernelINS0_13select_configILj256ELj13ELNS0_17block_load_methodE3ELS4_3ELS4_3ELNS0_20block_scan_algorithmE0ELj4294967295EEENS1_25partition_config_selectorILNS1_17partition_subalgoE4EjNS0_10empty_typeEbEEZZNS1_14partition_implILS8_4ELb0ES6_15HIP_vector_typeIjLj2EENS0_17counting_iteratorIjlEEPS9_SG_NS0_5tupleIJPjSI_NS0_16reverse_iteratorISI_EEEEENSH_IJSG_SG_SG_EEES9_SI_JZNS1_25segmented_radix_sort_implINS0_14default_configELb1EPKlPlSQ_SR_N2at6native12_GLOBAL__N_18offset_tEEE10hipError_tPvRmT1_PNSt15iterator_traitsISZ_E10value_typeET2_T3_PNS10_IS15_E10value_typeET4_jRbjT5_S1B_jjP12ihipStream_tbEUljE_ZNSN_ISO_Lb1ESQ_SR_SQ_SR_SV_EESW_SX_SY_SZ_S13_S14_S15_S18_S19_jS1A_jS1B_S1B_jjS1D_bEUljE0_EEESW_SX_SY_S15_S19_S1B_T6_T7_T9_mT8_S1D_bDpT10_ENKUlT_T0_E_clISt17integral_constantIbLb1EES1Q_IbLb0EEEEDaS1M_S1N_EUlS1M_E_NS1_11comp_targetILNS1_3genE9ELNS1_11target_archE1100ELNS1_3gpuE3ELNS1_3repE0EEENS1_30default_config_static_selectorELNS0_4arch9wavefront6targetE0EEEvSZ_,comdat
	.globl	_ZN7rocprim17ROCPRIM_400000_NS6detail17trampoline_kernelINS0_13select_configILj256ELj13ELNS0_17block_load_methodE3ELS4_3ELS4_3ELNS0_20block_scan_algorithmE0ELj4294967295EEENS1_25partition_config_selectorILNS1_17partition_subalgoE4EjNS0_10empty_typeEbEEZZNS1_14partition_implILS8_4ELb0ES6_15HIP_vector_typeIjLj2EENS0_17counting_iteratorIjlEEPS9_SG_NS0_5tupleIJPjSI_NS0_16reverse_iteratorISI_EEEEENSH_IJSG_SG_SG_EEES9_SI_JZNS1_25segmented_radix_sort_implINS0_14default_configELb1EPKlPlSQ_SR_N2at6native12_GLOBAL__N_18offset_tEEE10hipError_tPvRmT1_PNSt15iterator_traitsISZ_E10value_typeET2_T3_PNS10_IS15_E10value_typeET4_jRbjT5_S1B_jjP12ihipStream_tbEUljE_ZNSN_ISO_Lb1ESQ_SR_SQ_SR_SV_EESW_SX_SY_SZ_S13_S14_S15_S18_S19_jS1A_jS1B_S1B_jjS1D_bEUljE0_EEESW_SX_SY_S15_S19_S1B_T6_T7_T9_mT8_S1D_bDpT10_ENKUlT_T0_E_clISt17integral_constantIbLb1EES1Q_IbLb0EEEEDaS1M_S1N_EUlS1M_E_NS1_11comp_targetILNS1_3genE9ELNS1_11target_archE1100ELNS1_3gpuE3ELNS1_3repE0EEENS1_30default_config_static_selectorELNS0_4arch9wavefront6targetE0EEEvSZ_ ; -- Begin function _ZN7rocprim17ROCPRIM_400000_NS6detail17trampoline_kernelINS0_13select_configILj256ELj13ELNS0_17block_load_methodE3ELS4_3ELS4_3ELNS0_20block_scan_algorithmE0ELj4294967295EEENS1_25partition_config_selectorILNS1_17partition_subalgoE4EjNS0_10empty_typeEbEEZZNS1_14partition_implILS8_4ELb0ES6_15HIP_vector_typeIjLj2EENS0_17counting_iteratorIjlEEPS9_SG_NS0_5tupleIJPjSI_NS0_16reverse_iteratorISI_EEEEENSH_IJSG_SG_SG_EEES9_SI_JZNS1_25segmented_radix_sort_implINS0_14default_configELb1EPKlPlSQ_SR_N2at6native12_GLOBAL__N_18offset_tEEE10hipError_tPvRmT1_PNSt15iterator_traitsISZ_E10value_typeET2_T3_PNS10_IS15_E10value_typeET4_jRbjT5_S1B_jjP12ihipStream_tbEUljE_ZNSN_ISO_Lb1ESQ_SR_SQ_SR_SV_EESW_SX_SY_SZ_S13_S14_S15_S18_S19_jS1A_jS1B_S1B_jjS1D_bEUljE0_EEESW_SX_SY_S15_S19_S1B_T6_T7_T9_mT8_S1D_bDpT10_ENKUlT_T0_E_clISt17integral_constantIbLb1EES1Q_IbLb0EEEEDaS1M_S1N_EUlS1M_E_NS1_11comp_targetILNS1_3genE9ELNS1_11target_archE1100ELNS1_3gpuE3ELNS1_3repE0EEENS1_30default_config_static_selectorELNS0_4arch9wavefront6targetE0EEEvSZ_
	.p2align	8
	.type	_ZN7rocprim17ROCPRIM_400000_NS6detail17trampoline_kernelINS0_13select_configILj256ELj13ELNS0_17block_load_methodE3ELS4_3ELS4_3ELNS0_20block_scan_algorithmE0ELj4294967295EEENS1_25partition_config_selectorILNS1_17partition_subalgoE4EjNS0_10empty_typeEbEEZZNS1_14partition_implILS8_4ELb0ES6_15HIP_vector_typeIjLj2EENS0_17counting_iteratorIjlEEPS9_SG_NS0_5tupleIJPjSI_NS0_16reverse_iteratorISI_EEEEENSH_IJSG_SG_SG_EEES9_SI_JZNS1_25segmented_radix_sort_implINS0_14default_configELb1EPKlPlSQ_SR_N2at6native12_GLOBAL__N_18offset_tEEE10hipError_tPvRmT1_PNSt15iterator_traitsISZ_E10value_typeET2_T3_PNS10_IS15_E10value_typeET4_jRbjT5_S1B_jjP12ihipStream_tbEUljE_ZNSN_ISO_Lb1ESQ_SR_SQ_SR_SV_EESW_SX_SY_SZ_S13_S14_S15_S18_S19_jS1A_jS1B_S1B_jjS1D_bEUljE0_EEESW_SX_SY_S15_S19_S1B_T6_T7_T9_mT8_S1D_bDpT10_ENKUlT_T0_E_clISt17integral_constantIbLb1EES1Q_IbLb0EEEEDaS1M_S1N_EUlS1M_E_NS1_11comp_targetILNS1_3genE9ELNS1_11target_archE1100ELNS1_3gpuE3ELNS1_3repE0EEENS1_30default_config_static_selectorELNS0_4arch9wavefront6targetE0EEEvSZ_,@function
_ZN7rocprim17ROCPRIM_400000_NS6detail17trampoline_kernelINS0_13select_configILj256ELj13ELNS0_17block_load_methodE3ELS4_3ELS4_3ELNS0_20block_scan_algorithmE0ELj4294967295EEENS1_25partition_config_selectorILNS1_17partition_subalgoE4EjNS0_10empty_typeEbEEZZNS1_14partition_implILS8_4ELb0ES6_15HIP_vector_typeIjLj2EENS0_17counting_iteratorIjlEEPS9_SG_NS0_5tupleIJPjSI_NS0_16reverse_iteratorISI_EEEEENSH_IJSG_SG_SG_EEES9_SI_JZNS1_25segmented_radix_sort_implINS0_14default_configELb1EPKlPlSQ_SR_N2at6native12_GLOBAL__N_18offset_tEEE10hipError_tPvRmT1_PNSt15iterator_traitsISZ_E10value_typeET2_T3_PNS10_IS15_E10value_typeET4_jRbjT5_S1B_jjP12ihipStream_tbEUljE_ZNSN_ISO_Lb1ESQ_SR_SQ_SR_SV_EESW_SX_SY_SZ_S13_S14_S15_S18_S19_jS1A_jS1B_S1B_jjS1D_bEUljE0_EEESW_SX_SY_S15_S19_S1B_T6_T7_T9_mT8_S1D_bDpT10_ENKUlT_T0_E_clISt17integral_constantIbLb1EES1Q_IbLb0EEEEDaS1M_S1N_EUlS1M_E_NS1_11comp_targetILNS1_3genE9ELNS1_11target_archE1100ELNS1_3gpuE3ELNS1_3repE0EEENS1_30default_config_static_selectorELNS0_4arch9wavefront6targetE0EEEvSZ_: ; @_ZN7rocprim17ROCPRIM_400000_NS6detail17trampoline_kernelINS0_13select_configILj256ELj13ELNS0_17block_load_methodE3ELS4_3ELS4_3ELNS0_20block_scan_algorithmE0ELj4294967295EEENS1_25partition_config_selectorILNS1_17partition_subalgoE4EjNS0_10empty_typeEbEEZZNS1_14partition_implILS8_4ELb0ES6_15HIP_vector_typeIjLj2EENS0_17counting_iteratorIjlEEPS9_SG_NS0_5tupleIJPjSI_NS0_16reverse_iteratorISI_EEEEENSH_IJSG_SG_SG_EEES9_SI_JZNS1_25segmented_radix_sort_implINS0_14default_configELb1EPKlPlSQ_SR_N2at6native12_GLOBAL__N_18offset_tEEE10hipError_tPvRmT1_PNSt15iterator_traitsISZ_E10value_typeET2_T3_PNS10_IS15_E10value_typeET4_jRbjT5_S1B_jjP12ihipStream_tbEUljE_ZNSN_ISO_Lb1ESQ_SR_SQ_SR_SV_EESW_SX_SY_SZ_S13_S14_S15_S18_S19_jS1A_jS1B_S1B_jjS1D_bEUljE0_EEESW_SX_SY_S15_S19_S1B_T6_T7_T9_mT8_S1D_bDpT10_ENKUlT_T0_E_clISt17integral_constantIbLb1EES1Q_IbLb0EEEEDaS1M_S1N_EUlS1M_E_NS1_11comp_targetILNS1_3genE9ELNS1_11target_archE1100ELNS1_3gpuE3ELNS1_3repE0EEENS1_30default_config_static_selectorELNS0_4arch9wavefront6targetE0EEEvSZ_
; %bb.0:
	.section	.rodata,"a",@progbits
	.p2align	6, 0x0
	.amdhsa_kernel _ZN7rocprim17ROCPRIM_400000_NS6detail17trampoline_kernelINS0_13select_configILj256ELj13ELNS0_17block_load_methodE3ELS4_3ELS4_3ELNS0_20block_scan_algorithmE0ELj4294967295EEENS1_25partition_config_selectorILNS1_17partition_subalgoE4EjNS0_10empty_typeEbEEZZNS1_14partition_implILS8_4ELb0ES6_15HIP_vector_typeIjLj2EENS0_17counting_iteratorIjlEEPS9_SG_NS0_5tupleIJPjSI_NS0_16reverse_iteratorISI_EEEEENSH_IJSG_SG_SG_EEES9_SI_JZNS1_25segmented_radix_sort_implINS0_14default_configELb1EPKlPlSQ_SR_N2at6native12_GLOBAL__N_18offset_tEEE10hipError_tPvRmT1_PNSt15iterator_traitsISZ_E10value_typeET2_T3_PNS10_IS15_E10value_typeET4_jRbjT5_S1B_jjP12ihipStream_tbEUljE_ZNSN_ISO_Lb1ESQ_SR_SQ_SR_SV_EESW_SX_SY_SZ_S13_S14_S15_S18_S19_jS1A_jS1B_S1B_jjS1D_bEUljE0_EEESW_SX_SY_S15_S19_S1B_T6_T7_T9_mT8_S1D_bDpT10_ENKUlT_T0_E_clISt17integral_constantIbLb1EES1Q_IbLb0EEEEDaS1M_S1N_EUlS1M_E_NS1_11comp_targetILNS1_3genE9ELNS1_11target_archE1100ELNS1_3gpuE3ELNS1_3repE0EEENS1_30default_config_static_selectorELNS0_4arch9wavefront6targetE0EEEvSZ_
		.amdhsa_group_segment_fixed_size 0
		.amdhsa_private_segment_fixed_size 0
		.amdhsa_kernarg_size 176
		.amdhsa_user_sgpr_count 2
		.amdhsa_user_sgpr_dispatch_ptr 0
		.amdhsa_user_sgpr_queue_ptr 0
		.amdhsa_user_sgpr_kernarg_segment_ptr 1
		.amdhsa_user_sgpr_dispatch_id 0
		.amdhsa_user_sgpr_private_segment_size 0
		.amdhsa_wavefront_size32 1
		.amdhsa_uses_dynamic_stack 0
		.amdhsa_enable_private_segment 0
		.amdhsa_system_sgpr_workgroup_id_x 1
		.amdhsa_system_sgpr_workgroup_id_y 0
		.amdhsa_system_sgpr_workgroup_id_z 0
		.amdhsa_system_sgpr_workgroup_info 0
		.amdhsa_system_vgpr_workitem_id 0
		.amdhsa_next_free_vgpr 1
		.amdhsa_next_free_sgpr 1
		.amdhsa_reserve_vcc 0
		.amdhsa_float_round_mode_32 0
		.amdhsa_float_round_mode_16_64 0
		.amdhsa_float_denorm_mode_32 3
		.amdhsa_float_denorm_mode_16_64 3
		.amdhsa_fp16_overflow 0
		.amdhsa_workgroup_processor_mode 1
		.amdhsa_memory_ordered 1
		.amdhsa_forward_progress 1
		.amdhsa_inst_pref_size 0
		.amdhsa_round_robin_scheduling 0
		.amdhsa_exception_fp_ieee_invalid_op 0
		.amdhsa_exception_fp_denorm_src 0
		.amdhsa_exception_fp_ieee_div_zero 0
		.amdhsa_exception_fp_ieee_overflow 0
		.amdhsa_exception_fp_ieee_underflow 0
		.amdhsa_exception_fp_ieee_inexact 0
		.amdhsa_exception_int_div_zero 0
	.end_amdhsa_kernel
	.section	.text._ZN7rocprim17ROCPRIM_400000_NS6detail17trampoline_kernelINS0_13select_configILj256ELj13ELNS0_17block_load_methodE3ELS4_3ELS4_3ELNS0_20block_scan_algorithmE0ELj4294967295EEENS1_25partition_config_selectorILNS1_17partition_subalgoE4EjNS0_10empty_typeEbEEZZNS1_14partition_implILS8_4ELb0ES6_15HIP_vector_typeIjLj2EENS0_17counting_iteratorIjlEEPS9_SG_NS0_5tupleIJPjSI_NS0_16reverse_iteratorISI_EEEEENSH_IJSG_SG_SG_EEES9_SI_JZNS1_25segmented_radix_sort_implINS0_14default_configELb1EPKlPlSQ_SR_N2at6native12_GLOBAL__N_18offset_tEEE10hipError_tPvRmT1_PNSt15iterator_traitsISZ_E10value_typeET2_T3_PNS10_IS15_E10value_typeET4_jRbjT5_S1B_jjP12ihipStream_tbEUljE_ZNSN_ISO_Lb1ESQ_SR_SQ_SR_SV_EESW_SX_SY_SZ_S13_S14_S15_S18_S19_jS1A_jS1B_S1B_jjS1D_bEUljE0_EEESW_SX_SY_S15_S19_S1B_T6_T7_T9_mT8_S1D_bDpT10_ENKUlT_T0_E_clISt17integral_constantIbLb1EES1Q_IbLb0EEEEDaS1M_S1N_EUlS1M_E_NS1_11comp_targetILNS1_3genE9ELNS1_11target_archE1100ELNS1_3gpuE3ELNS1_3repE0EEENS1_30default_config_static_selectorELNS0_4arch9wavefront6targetE0EEEvSZ_,"axG",@progbits,_ZN7rocprim17ROCPRIM_400000_NS6detail17trampoline_kernelINS0_13select_configILj256ELj13ELNS0_17block_load_methodE3ELS4_3ELS4_3ELNS0_20block_scan_algorithmE0ELj4294967295EEENS1_25partition_config_selectorILNS1_17partition_subalgoE4EjNS0_10empty_typeEbEEZZNS1_14partition_implILS8_4ELb0ES6_15HIP_vector_typeIjLj2EENS0_17counting_iteratorIjlEEPS9_SG_NS0_5tupleIJPjSI_NS0_16reverse_iteratorISI_EEEEENSH_IJSG_SG_SG_EEES9_SI_JZNS1_25segmented_radix_sort_implINS0_14default_configELb1EPKlPlSQ_SR_N2at6native12_GLOBAL__N_18offset_tEEE10hipError_tPvRmT1_PNSt15iterator_traitsISZ_E10value_typeET2_T3_PNS10_IS15_E10value_typeET4_jRbjT5_S1B_jjP12ihipStream_tbEUljE_ZNSN_ISO_Lb1ESQ_SR_SQ_SR_SV_EESW_SX_SY_SZ_S13_S14_S15_S18_S19_jS1A_jS1B_S1B_jjS1D_bEUljE0_EEESW_SX_SY_S15_S19_S1B_T6_T7_T9_mT8_S1D_bDpT10_ENKUlT_T0_E_clISt17integral_constantIbLb1EES1Q_IbLb0EEEEDaS1M_S1N_EUlS1M_E_NS1_11comp_targetILNS1_3genE9ELNS1_11target_archE1100ELNS1_3gpuE3ELNS1_3repE0EEENS1_30default_config_static_selectorELNS0_4arch9wavefront6targetE0EEEvSZ_,comdat
.Lfunc_end662:
	.size	_ZN7rocprim17ROCPRIM_400000_NS6detail17trampoline_kernelINS0_13select_configILj256ELj13ELNS0_17block_load_methodE3ELS4_3ELS4_3ELNS0_20block_scan_algorithmE0ELj4294967295EEENS1_25partition_config_selectorILNS1_17partition_subalgoE4EjNS0_10empty_typeEbEEZZNS1_14partition_implILS8_4ELb0ES6_15HIP_vector_typeIjLj2EENS0_17counting_iteratorIjlEEPS9_SG_NS0_5tupleIJPjSI_NS0_16reverse_iteratorISI_EEEEENSH_IJSG_SG_SG_EEES9_SI_JZNS1_25segmented_radix_sort_implINS0_14default_configELb1EPKlPlSQ_SR_N2at6native12_GLOBAL__N_18offset_tEEE10hipError_tPvRmT1_PNSt15iterator_traitsISZ_E10value_typeET2_T3_PNS10_IS15_E10value_typeET4_jRbjT5_S1B_jjP12ihipStream_tbEUljE_ZNSN_ISO_Lb1ESQ_SR_SQ_SR_SV_EESW_SX_SY_SZ_S13_S14_S15_S18_S19_jS1A_jS1B_S1B_jjS1D_bEUljE0_EEESW_SX_SY_S15_S19_S1B_T6_T7_T9_mT8_S1D_bDpT10_ENKUlT_T0_E_clISt17integral_constantIbLb1EES1Q_IbLb0EEEEDaS1M_S1N_EUlS1M_E_NS1_11comp_targetILNS1_3genE9ELNS1_11target_archE1100ELNS1_3gpuE3ELNS1_3repE0EEENS1_30default_config_static_selectorELNS0_4arch9wavefront6targetE0EEEvSZ_, .Lfunc_end662-_ZN7rocprim17ROCPRIM_400000_NS6detail17trampoline_kernelINS0_13select_configILj256ELj13ELNS0_17block_load_methodE3ELS4_3ELS4_3ELNS0_20block_scan_algorithmE0ELj4294967295EEENS1_25partition_config_selectorILNS1_17partition_subalgoE4EjNS0_10empty_typeEbEEZZNS1_14partition_implILS8_4ELb0ES6_15HIP_vector_typeIjLj2EENS0_17counting_iteratorIjlEEPS9_SG_NS0_5tupleIJPjSI_NS0_16reverse_iteratorISI_EEEEENSH_IJSG_SG_SG_EEES9_SI_JZNS1_25segmented_radix_sort_implINS0_14default_configELb1EPKlPlSQ_SR_N2at6native12_GLOBAL__N_18offset_tEEE10hipError_tPvRmT1_PNSt15iterator_traitsISZ_E10value_typeET2_T3_PNS10_IS15_E10value_typeET4_jRbjT5_S1B_jjP12ihipStream_tbEUljE_ZNSN_ISO_Lb1ESQ_SR_SQ_SR_SV_EESW_SX_SY_SZ_S13_S14_S15_S18_S19_jS1A_jS1B_S1B_jjS1D_bEUljE0_EEESW_SX_SY_S15_S19_S1B_T6_T7_T9_mT8_S1D_bDpT10_ENKUlT_T0_E_clISt17integral_constantIbLb1EES1Q_IbLb0EEEEDaS1M_S1N_EUlS1M_E_NS1_11comp_targetILNS1_3genE9ELNS1_11target_archE1100ELNS1_3gpuE3ELNS1_3repE0EEENS1_30default_config_static_selectorELNS0_4arch9wavefront6targetE0EEEvSZ_
                                        ; -- End function
	.set _ZN7rocprim17ROCPRIM_400000_NS6detail17trampoline_kernelINS0_13select_configILj256ELj13ELNS0_17block_load_methodE3ELS4_3ELS4_3ELNS0_20block_scan_algorithmE0ELj4294967295EEENS1_25partition_config_selectorILNS1_17partition_subalgoE4EjNS0_10empty_typeEbEEZZNS1_14partition_implILS8_4ELb0ES6_15HIP_vector_typeIjLj2EENS0_17counting_iteratorIjlEEPS9_SG_NS0_5tupleIJPjSI_NS0_16reverse_iteratorISI_EEEEENSH_IJSG_SG_SG_EEES9_SI_JZNS1_25segmented_radix_sort_implINS0_14default_configELb1EPKlPlSQ_SR_N2at6native12_GLOBAL__N_18offset_tEEE10hipError_tPvRmT1_PNSt15iterator_traitsISZ_E10value_typeET2_T3_PNS10_IS15_E10value_typeET4_jRbjT5_S1B_jjP12ihipStream_tbEUljE_ZNSN_ISO_Lb1ESQ_SR_SQ_SR_SV_EESW_SX_SY_SZ_S13_S14_S15_S18_S19_jS1A_jS1B_S1B_jjS1D_bEUljE0_EEESW_SX_SY_S15_S19_S1B_T6_T7_T9_mT8_S1D_bDpT10_ENKUlT_T0_E_clISt17integral_constantIbLb1EES1Q_IbLb0EEEEDaS1M_S1N_EUlS1M_E_NS1_11comp_targetILNS1_3genE9ELNS1_11target_archE1100ELNS1_3gpuE3ELNS1_3repE0EEENS1_30default_config_static_selectorELNS0_4arch9wavefront6targetE0EEEvSZ_.num_vgpr, 0
	.set _ZN7rocprim17ROCPRIM_400000_NS6detail17trampoline_kernelINS0_13select_configILj256ELj13ELNS0_17block_load_methodE3ELS4_3ELS4_3ELNS0_20block_scan_algorithmE0ELj4294967295EEENS1_25partition_config_selectorILNS1_17partition_subalgoE4EjNS0_10empty_typeEbEEZZNS1_14partition_implILS8_4ELb0ES6_15HIP_vector_typeIjLj2EENS0_17counting_iteratorIjlEEPS9_SG_NS0_5tupleIJPjSI_NS0_16reverse_iteratorISI_EEEEENSH_IJSG_SG_SG_EEES9_SI_JZNS1_25segmented_radix_sort_implINS0_14default_configELb1EPKlPlSQ_SR_N2at6native12_GLOBAL__N_18offset_tEEE10hipError_tPvRmT1_PNSt15iterator_traitsISZ_E10value_typeET2_T3_PNS10_IS15_E10value_typeET4_jRbjT5_S1B_jjP12ihipStream_tbEUljE_ZNSN_ISO_Lb1ESQ_SR_SQ_SR_SV_EESW_SX_SY_SZ_S13_S14_S15_S18_S19_jS1A_jS1B_S1B_jjS1D_bEUljE0_EEESW_SX_SY_S15_S19_S1B_T6_T7_T9_mT8_S1D_bDpT10_ENKUlT_T0_E_clISt17integral_constantIbLb1EES1Q_IbLb0EEEEDaS1M_S1N_EUlS1M_E_NS1_11comp_targetILNS1_3genE9ELNS1_11target_archE1100ELNS1_3gpuE3ELNS1_3repE0EEENS1_30default_config_static_selectorELNS0_4arch9wavefront6targetE0EEEvSZ_.num_agpr, 0
	.set _ZN7rocprim17ROCPRIM_400000_NS6detail17trampoline_kernelINS0_13select_configILj256ELj13ELNS0_17block_load_methodE3ELS4_3ELS4_3ELNS0_20block_scan_algorithmE0ELj4294967295EEENS1_25partition_config_selectorILNS1_17partition_subalgoE4EjNS0_10empty_typeEbEEZZNS1_14partition_implILS8_4ELb0ES6_15HIP_vector_typeIjLj2EENS0_17counting_iteratorIjlEEPS9_SG_NS0_5tupleIJPjSI_NS0_16reverse_iteratorISI_EEEEENSH_IJSG_SG_SG_EEES9_SI_JZNS1_25segmented_radix_sort_implINS0_14default_configELb1EPKlPlSQ_SR_N2at6native12_GLOBAL__N_18offset_tEEE10hipError_tPvRmT1_PNSt15iterator_traitsISZ_E10value_typeET2_T3_PNS10_IS15_E10value_typeET4_jRbjT5_S1B_jjP12ihipStream_tbEUljE_ZNSN_ISO_Lb1ESQ_SR_SQ_SR_SV_EESW_SX_SY_SZ_S13_S14_S15_S18_S19_jS1A_jS1B_S1B_jjS1D_bEUljE0_EEESW_SX_SY_S15_S19_S1B_T6_T7_T9_mT8_S1D_bDpT10_ENKUlT_T0_E_clISt17integral_constantIbLb1EES1Q_IbLb0EEEEDaS1M_S1N_EUlS1M_E_NS1_11comp_targetILNS1_3genE9ELNS1_11target_archE1100ELNS1_3gpuE3ELNS1_3repE0EEENS1_30default_config_static_selectorELNS0_4arch9wavefront6targetE0EEEvSZ_.numbered_sgpr, 0
	.set _ZN7rocprim17ROCPRIM_400000_NS6detail17trampoline_kernelINS0_13select_configILj256ELj13ELNS0_17block_load_methodE3ELS4_3ELS4_3ELNS0_20block_scan_algorithmE0ELj4294967295EEENS1_25partition_config_selectorILNS1_17partition_subalgoE4EjNS0_10empty_typeEbEEZZNS1_14partition_implILS8_4ELb0ES6_15HIP_vector_typeIjLj2EENS0_17counting_iteratorIjlEEPS9_SG_NS0_5tupleIJPjSI_NS0_16reverse_iteratorISI_EEEEENSH_IJSG_SG_SG_EEES9_SI_JZNS1_25segmented_radix_sort_implINS0_14default_configELb1EPKlPlSQ_SR_N2at6native12_GLOBAL__N_18offset_tEEE10hipError_tPvRmT1_PNSt15iterator_traitsISZ_E10value_typeET2_T3_PNS10_IS15_E10value_typeET4_jRbjT5_S1B_jjP12ihipStream_tbEUljE_ZNSN_ISO_Lb1ESQ_SR_SQ_SR_SV_EESW_SX_SY_SZ_S13_S14_S15_S18_S19_jS1A_jS1B_S1B_jjS1D_bEUljE0_EEESW_SX_SY_S15_S19_S1B_T6_T7_T9_mT8_S1D_bDpT10_ENKUlT_T0_E_clISt17integral_constantIbLb1EES1Q_IbLb0EEEEDaS1M_S1N_EUlS1M_E_NS1_11comp_targetILNS1_3genE9ELNS1_11target_archE1100ELNS1_3gpuE3ELNS1_3repE0EEENS1_30default_config_static_selectorELNS0_4arch9wavefront6targetE0EEEvSZ_.num_named_barrier, 0
	.set _ZN7rocprim17ROCPRIM_400000_NS6detail17trampoline_kernelINS0_13select_configILj256ELj13ELNS0_17block_load_methodE3ELS4_3ELS4_3ELNS0_20block_scan_algorithmE0ELj4294967295EEENS1_25partition_config_selectorILNS1_17partition_subalgoE4EjNS0_10empty_typeEbEEZZNS1_14partition_implILS8_4ELb0ES6_15HIP_vector_typeIjLj2EENS0_17counting_iteratorIjlEEPS9_SG_NS0_5tupleIJPjSI_NS0_16reverse_iteratorISI_EEEEENSH_IJSG_SG_SG_EEES9_SI_JZNS1_25segmented_radix_sort_implINS0_14default_configELb1EPKlPlSQ_SR_N2at6native12_GLOBAL__N_18offset_tEEE10hipError_tPvRmT1_PNSt15iterator_traitsISZ_E10value_typeET2_T3_PNS10_IS15_E10value_typeET4_jRbjT5_S1B_jjP12ihipStream_tbEUljE_ZNSN_ISO_Lb1ESQ_SR_SQ_SR_SV_EESW_SX_SY_SZ_S13_S14_S15_S18_S19_jS1A_jS1B_S1B_jjS1D_bEUljE0_EEESW_SX_SY_S15_S19_S1B_T6_T7_T9_mT8_S1D_bDpT10_ENKUlT_T0_E_clISt17integral_constantIbLb1EES1Q_IbLb0EEEEDaS1M_S1N_EUlS1M_E_NS1_11comp_targetILNS1_3genE9ELNS1_11target_archE1100ELNS1_3gpuE3ELNS1_3repE0EEENS1_30default_config_static_selectorELNS0_4arch9wavefront6targetE0EEEvSZ_.private_seg_size, 0
	.set _ZN7rocprim17ROCPRIM_400000_NS6detail17trampoline_kernelINS0_13select_configILj256ELj13ELNS0_17block_load_methodE3ELS4_3ELS4_3ELNS0_20block_scan_algorithmE0ELj4294967295EEENS1_25partition_config_selectorILNS1_17partition_subalgoE4EjNS0_10empty_typeEbEEZZNS1_14partition_implILS8_4ELb0ES6_15HIP_vector_typeIjLj2EENS0_17counting_iteratorIjlEEPS9_SG_NS0_5tupleIJPjSI_NS0_16reverse_iteratorISI_EEEEENSH_IJSG_SG_SG_EEES9_SI_JZNS1_25segmented_radix_sort_implINS0_14default_configELb1EPKlPlSQ_SR_N2at6native12_GLOBAL__N_18offset_tEEE10hipError_tPvRmT1_PNSt15iterator_traitsISZ_E10value_typeET2_T3_PNS10_IS15_E10value_typeET4_jRbjT5_S1B_jjP12ihipStream_tbEUljE_ZNSN_ISO_Lb1ESQ_SR_SQ_SR_SV_EESW_SX_SY_SZ_S13_S14_S15_S18_S19_jS1A_jS1B_S1B_jjS1D_bEUljE0_EEESW_SX_SY_S15_S19_S1B_T6_T7_T9_mT8_S1D_bDpT10_ENKUlT_T0_E_clISt17integral_constantIbLb1EES1Q_IbLb0EEEEDaS1M_S1N_EUlS1M_E_NS1_11comp_targetILNS1_3genE9ELNS1_11target_archE1100ELNS1_3gpuE3ELNS1_3repE0EEENS1_30default_config_static_selectorELNS0_4arch9wavefront6targetE0EEEvSZ_.uses_vcc, 0
	.set _ZN7rocprim17ROCPRIM_400000_NS6detail17trampoline_kernelINS0_13select_configILj256ELj13ELNS0_17block_load_methodE3ELS4_3ELS4_3ELNS0_20block_scan_algorithmE0ELj4294967295EEENS1_25partition_config_selectorILNS1_17partition_subalgoE4EjNS0_10empty_typeEbEEZZNS1_14partition_implILS8_4ELb0ES6_15HIP_vector_typeIjLj2EENS0_17counting_iteratorIjlEEPS9_SG_NS0_5tupleIJPjSI_NS0_16reverse_iteratorISI_EEEEENSH_IJSG_SG_SG_EEES9_SI_JZNS1_25segmented_radix_sort_implINS0_14default_configELb1EPKlPlSQ_SR_N2at6native12_GLOBAL__N_18offset_tEEE10hipError_tPvRmT1_PNSt15iterator_traitsISZ_E10value_typeET2_T3_PNS10_IS15_E10value_typeET4_jRbjT5_S1B_jjP12ihipStream_tbEUljE_ZNSN_ISO_Lb1ESQ_SR_SQ_SR_SV_EESW_SX_SY_SZ_S13_S14_S15_S18_S19_jS1A_jS1B_S1B_jjS1D_bEUljE0_EEESW_SX_SY_S15_S19_S1B_T6_T7_T9_mT8_S1D_bDpT10_ENKUlT_T0_E_clISt17integral_constantIbLb1EES1Q_IbLb0EEEEDaS1M_S1N_EUlS1M_E_NS1_11comp_targetILNS1_3genE9ELNS1_11target_archE1100ELNS1_3gpuE3ELNS1_3repE0EEENS1_30default_config_static_selectorELNS0_4arch9wavefront6targetE0EEEvSZ_.uses_flat_scratch, 0
	.set _ZN7rocprim17ROCPRIM_400000_NS6detail17trampoline_kernelINS0_13select_configILj256ELj13ELNS0_17block_load_methodE3ELS4_3ELS4_3ELNS0_20block_scan_algorithmE0ELj4294967295EEENS1_25partition_config_selectorILNS1_17partition_subalgoE4EjNS0_10empty_typeEbEEZZNS1_14partition_implILS8_4ELb0ES6_15HIP_vector_typeIjLj2EENS0_17counting_iteratorIjlEEPS9_SG_NS0_5tupleIJPjSI_NS0_16reverse_iteratorISI_EEEEENSH_IJSG_SG_SG_EEES9_SI_JZNS1_25segmented_radix_sort_implINS0_14default_configELb1EPKlPlSQ_SR_N2at6native12_GLOBAL__N_18offset_tEEE10hipError_tPvRmT1_PNSt15iterator_traitsISZ_E10value_typeET2_T3_PNS10_IS15_E10value_typeET4_jRbjT5_S1B_jjP12ihipStream_tbEUljE_ZNSN_ISO_Lb1ESQ_SR_SQ_SR_SV_EESW_SX_SY_SZ_S13_S14_S15_S18_S19_jS1A_jS1B_S1B_jjS1D_bEUljE0_EEESW_SX_SY_S15_S19_S1B_T6_T7_T9_mT8_S1D_bDpT10_ENKUlT_T0_E_clISt17integral_constantIbLb1EES1Q_IbLb0EEEEDaS1M_S1N_EUlS1M_E_NS1_11comp_targetILNS1_3genE9ELNS1_11target_archE1100ELNS1_3gpuE3ELNS1_3repE0EEENS1_30default_config_static_selectorELNS0_4arch9wavefront6targetE0EEEvSZ_.has_dyn_sized_stack, 0
	.set _ZN7rocprim17ROCPRIM_400000_NS6detail17trampoline_kernelINS0_13select_configILj256ELj13ELNS0_17block_load_methodE3ELS4_3ELS4_3ELNS0_20block_scan_algorithmE0ELj4294967295EEENS1_25partition_config_selectorILNS1_17partition_subalgoE4EjNS0_10empty_typeEbEEZZNS1_14partition_implILS8_4ELb0ES6_15HIP_vector_typeIjLj2EENS0_17counting_iteratorIjlEEPS9_SG_NS0_5tupleIJPjSI_NS0_16reverse_iteratorISI_EEEEENSH_IJSG_SG_SG_EEES9_SI_JZNS1_25segmented_radix_sort_implINS0_14default_configELb1EPKlPlSQ_SR_N2at6native12_GLOBAL__N_18offset_tEEE10hipError_tPvRmT1_PNSt15iterator_traitsISZ_E10value_typeET2_T3_PNS10_IS15_E10value_typeET4_jRbjT5_S1B_jjP12ihipStream_tbEUljE_ZNSN_ISO_Lb1ESQ_SR_SQ_SR_SV_EESW_SX_SY_SZ_S13_S14_S15_S18_S19_jS1A_jS1B_S1B_jjS1D_bEUljE0_EEESW_SX_SY_S15_S19_S1B_T6_T7_T9_mT8_S1D_bDpT10_ENKUlT_T0_E_clISt17integral_constantIbLb1EES1Q_IbLb0EEEEDaS1M_S1N_EUlS1M_E_NS1_11comp_targetILNS1_3genE9ELNS1_11target_archE1100ELNS1_3gpuE3ELNS1_3repE0EEENS1_30default_config_static_selectorELNS0_4arch9wavefront6targetE0EEEvSZ_.has_recursion, 0
	.set _ZN7rocprim17ROCPRIM_400000_NS6detail17trampoline_kernelINS0_13select_configILj256ELj13ELNS0_17block_load_methodE3ELS4_3ELS4_3ELNS0_20block_scan_algorithmE0ELj4294967295EEENS1_25partition_config_selectorILNS1_17partition_subalgoE4EjNS0_10empty_typeEbEEZZNS1_14partition_implILS8_4ELb0ES6_15HIP_vector_typeIjLj2EENS0_17counting_iteratorIjlEEPS9_SG_NS0_5tupleIJPjSI_NS0_16reverse_iteratorISI_EEEEENSH_IJSG_SG_SG_EEES9_SI_JZNS1_25segmented_radix_sort_implINS0_14default_configELb1EPKlPlSQ_SR_N2at6native12_GLOBAL__N_18offset_tEEE10hipError_tPvRmT1_PNSt15iterator_traitsISZ_E10value_typeET2_T3_PNS10_IS15_E10value_typeET4_jRbjT5_S1B_jjP12ihipStream_tbEUljE_ZNSN_ISO_Lb1ESQ_SR_SQ_SR_SV_EESW_SX_SY_SZ_S13_S14_S15_S18_S19_jS1A_jS1B_S1B_jjS1D_bEUljE0_EEESW_SX_SY_S15_S19_S1B_T6_T7_T9_mT8_S1D_bDpT10_ENKUlT_T0_E_clISt17integral_constantIbLb1EES1Q_IbLb0EEEEDaS1M_S1N_EUlS1M_E_NS1_11comp_targetILNS1_3genE9ELNS1_11target_archE1100ELNS1_3gpuE3ELNS1_3repE0EEENS1_30default_config_static_selectorELNS0_4arch9wavefront6targetE0EEEvSZ_.has_indirect_call, 0
	.section	.AMDGPU.csdata,"",@progbits
; Kernel info:
; codeLenInByte = 0
; TotalNumSgprs: 0
; NumVgprs: 0
; ScratchSize: 0
; MemoryBound: 0
; FloatMode: 240
; IeeeMode: 1
; LDSByteSize: 0 bytes/workgroup (compile time only)
; SGPRBlocks: 0
; VGPRBlocks: 0
; NumSGPRsForWavesPerEU: 1
; NumVGPRsForWavesPerEU: 1
; Occupancy: 16
; WaveLimiterHint : 0
; COMPUTE_PGM_RSRC2:SCRATCH_EN: 0
; COMPUTE_PGM_RSRC2:USER_SGPR: 2
; COMPUTE_PGM_RSRC2:TRAP_HANDLER: 0
; COMPUTE_PGM_RSRC2:TGID_X_EN: 1
; COMPUTE_PGM_RSRC2:TGID_Y_EN: 0
; COMPUTE_PGM_RSRC2:TGID_Z_EN: 0
; COMPUTE_PGM_RSRC2:TIDIG_COMP_CNT: 0
	.section	.text._ZN7rocprim17ROCPRIM_400000_NS6detail17trampoline_kernelINS0_13select_configILj256ELj13ELNS0_17block_load_methodE3ELS4_3ELS4_3ELNS0_20block_scan_algorithmE0ELj4294967295EEENS1_25partition_config_selectorILNS1_17partition_subalgoE4EjNS0_10empty_typeEbEEZZNS1_14partition_implILS8_4ELb0ES6_15HIP_vector_typeIjLj2EENS0_17counting_iteratorIjlEEPS9_SG_NS0_5tupleIJPjSI_NS0_16reverse_iteratorISI_EEEEENSH_IJSG_SG_SG_EEES9_SI_JZNS1_25segmented_radix_sort_implINS0_14default_configELb1EPKlPlSQ_SR_N2at6native12_GLOBAL__N_18offset_tEEE10hipError_tPvRmT1_PNSt15iterator_traitsISZ_E10value_typeET2_T3_PNS10_IS15_E10value_typeET4_jRbjT5_S1B_jjP12ihipStream_tbEUljE_ZNSN_ISO_Lb1ESQ_SR_SQ_SR_SV_EESW_SX_SY_SZ_S13_S14_S15_S18_S19_jS1A_jS1B_S1B_jjS1D_bEUljE0_EEESW_SX_SY_S15_S19_S1B_T6_T7_T9_mT8_S1D_bDpT10_ENKUlT_T0_E_clISt17integral_constantIbLb1EES1Q_IbLb0EEEEDaS1M_S1N_EUlS1M_E_NS1_11comp_targetILNS1_3genE8ELNS1_11target_archE1030ELNS1_3gpuE2ELNS1_3repE0EEENS1_30default_config_static_selectorELNS0_4arch9wavefront6targetE0EEEvSZ_,"axG",@progbits,_ZN7rocprim17ROCPRIM_400000_NS6detail17trampoline_kernelINS0_13select_configILj256ELj13ELNS0_17block_load_methodE3ELS4_3ELS4_3ELNS0_20block_scan_algorithmE0ELj4294967295EEENS1_25partition_config_selectorILNS1_17partition_subalgoE4EjNS0_10empty_typeEbEEZZNS1_14partition_implILS8_4ELb0ES6_15HIP_vector_typeIjLj2EENS0_17counting_iteratorIjlEEPS9_SG_NS0_5tupleIJPjSI_NS0_16reverse_iteratorISI_EEEEENSH_IJSG_SG_SG_EEES9_SI_JZNS1_25segmented_radix_sort_implINS0_14default_configELb1EPKlPlSQ_SR_N2at6native12_GLOBAL__N_18offset_tEEE10hipError_tPvRmT1_PNSt15iterator_traitsISZ_E10value_typeET2_T3_PNS10_IS15_E10value_typeET4_jRbjT5_S1B_jjP12ihipStream_tbEUljE_ZNSN_ISO_Lb1ESQ_SR_SQ_SR_SV_EESW_SX_SY_SZ_S13_S14_S15_S18_S19_jS1A_jS1B_S1B_jjS1D_bEUljE0_EEESW_SX_SY_S15_S19_S1B_T6_T7_T9_mT8_S1D_bDpT10_ENKUlT_T0_E_clISt17integral_constantIbLb1EES1Q_IbLb0EEEEDaS1M_S1N_EUlS1M_E_NS1_11comp_targetILNS1_3genE8ELNS1_11target_archE1030ELNS1_3gpuE2ELNS1_3repE0EEENS1_30default_config_static_selectorELNS0_4arch9wavefront6targetE0EEEvSZ_,comdat
	.globl	_ZN7rocprim17ROCPRIM_400000_NS6detail17trampoline_kernelINS0_13select_configILj256ELj13ELNS0_17block_load_methodE3ELS4_3ELS4_3ELNS0_20block_scan_algorithmE0ELj4294967295EEENS1_25partition_config_selectorILNS1_17partition_subalgoE4EjNS0_10empty_typeEbEEZZNS1_14partition_implILS8_4ELb0ES6_15HIP_vector_typeIjLj2EENS0_17counting_iteratorIjlEEPS9_SG_NS0_5tupleIJPjSI_NS0_16reverse_iteratorISI_EEEEENSH_IJSG_SG_SG_EEES9_SI_JZNS1_25segmented_radix_sort_implINS0_14default_configELb1EPKlPlSQ_SR_N2at6native12_GLOBAL__N_18offset_tEEE10hipError_tPvRmT1_PNSt15iterator_traitsISZ_E10value_typeET2_T3_PNS10_IS15_E10value_typeET4_jRbjT5_S1B_jjP12ihipStream_tbEUljE_ZNSN_ISO_Lb1ESQ_SR_SQ_SR_SV_EESW_SX_SY_SZ_S13_S14_S15_S18_S19_jS1A_jS1B_S1B_jjS1D_bEUljE0_EEESW_SX_SY_S15_S19_S1B_T6_T7_T9_mT8_S1D_bDpT10_ENKUlT_T0_E_clISt17integral_constantIbLb1EES1Q_IbLb0EEEEDaS1M_S1N_EUlS1M_E_NS1_11comp_targetILNS1_3genE8ELNS1_11target_archE1030ELNS1_3gpuE2ELNS1_3repE0EEENS1_30default_config_static_selectorELNS0_4arch9wavefront6targetE0EEEvSZ_ ; -- Begin function _ZN7rocprim17ROCPRIM_400000_NS6detail17trampoline_kernelINS0_13select_configILj256ELj13ELNS0_17block_load_methodE3ELS4_3ELS4_3ELNS0_20block_scan_algorithmE0ELj4294967295EEENS1_25partition_config_selectorILNS1_17partition_subalgoE4EjNS0_10empty_typeEbEEZZNS1_14partition_implILS8_4ELb0ES6_15HIP_vector_typeIjLj2EENS0_17counting_iteratorIjlEEPS9_SG_NS0_5tupleIJPjSI_NS0_16reverse_iteratorISI_EEEEENSH_IJSG_SG_SG_EEES9_SI_JZNS1_25segmented_radix_sort_implINS0_14default_configELb1EPKlPlSQ_SR_N2at6native12_GLOBAL__N_18offset_tEEE10hipError_tPvRmT1_PNSt15iterator_traitsISZ_E10value_typeET2_T3_PNS10_IS15_E10value_typeET4_jRbjT5_S1B_jjP12ihipStream_tbEUljE_ZNSN_ISO_Lb1ESQ_SR_SQ_SR_SV_EESW_SX_SY_SZ_S13_S14_S15_S18_S19_jS1A_jS1B_S1B_jjS1D_bEUljE0_EEESW_SX_SY_S15_S19_S1B_T6_T7_T9_mT8_S1D_bDpT10_ENKUlT_T0_E_clISt17integral_constantIbLb1EES1Q_IbLb0EEEEDaS1M_S1N_EUlS1M_E_NS1_11comp_targetILNS1_3genE8ELNS1_11target_archE1030ELNS1_3gpuE2ELNS1_3repE0EEENS1_30default_config_static_selectorELNS0_4arch9wavefront6targetE0EEEvSZ_
	.p2align	8
	.type	_ZN7rocprim17ROCPRIM_400000_NS6detail17trampoline_kernelINS0_13select_configILj256ELj13ELNS0_17block_load_methodE3ELS4_3ELS4_3ELNS0_20block_scan_algorithmE0ELj4294967295EEENS1_25partition_config_selectorILNS1_17partition_subalgoE4EjNS0_10empty_typeEbEEZZNS1_14partition_implILS8_4ELb0ES6_15HIP_vector_typeIjLj2EENS0_17counting_iteratorIjlEEPS9_SG_NS0_5tupleIJPjSI_NS0_16reverse_iteratorISI_EEEEENSH_IJSG_SG_SG_EEES9_SI_JZNS1_25segmented_radix_sort_implINS0_14default_configELb1EPKlPlSQ_SR_N2at6native12_GLOBAL__N_18offset_tEEE10hipError_tPvRmT1_PNSt15iterator_traitsISZ_E10value_typeET2_T3_PNS10_IS15_E10value_typeET4_jRbjT5_S1B_jjP12ihipStream_tbEUljE_ZNSN_ISO_Lb1ESQ_SR_SQ_SR_SV_EESW_SX_SY_SZ_S13_S14_S15_S18_S19_jS1A_jS1B_S1B_jjS1D_bEUljE0_EEESW_SX_SY_S15_S19_S1B_T6_T7_T9_mT8_S1D_bDpT10_ENKUlT_T0_E_clISt17integral_constantIbLb1EES1Q_IbLb0EEEEDaS1M_S1N_EUlS1M_E_NS1_11comp_targetILNS1_3genE8ELNS1_11target_archE1030ELNS1_3gpuE2ELNS1_3repE0EEENS1_30default_config_static_selectorELNS0_4arch9wavefront6targetE0EEEvSZ_,@function
_ZN7rocprim17ROCPRIM_400000_NS6detail17trampoline_kernelINS0_13select_configILj256ELj13ELNS0_17block_load_methodE3ELS4_3ELS4_3ELNS0_20block_scan_algorithmE0ELj4294967295EEENS1_25partition_config_selectorILNS1_17partition_subalgoE4EjNS0_10empty_typeEbEEZZNS1_14partition_implILS8_4ELb0ES6_15HIP_vector_typeIjLj2EENS0_17counting_iteratorIjlEEPS9_SG_NS0_5tupleIJPjSI_NS0_16reverse_iteratorISI_EEEEENSH_IJSG_SG_SG_EEES9_SI_JZNS1_25segmented_radix_sort_implINS0_14default_configELb1EPKlPlSQ_SR_N2at6native12_GLOBAL__N_18offset_tEEE10hipError_tPvRmT1_PNSt15iterator_traitsISZ_E10value_typeET2_T3_PNS10_IS15_E10value_typeET4_jRbjT5_S1B_jjP12ihipStream_tbEUljE_ZNSN_ISO_Lb1ESQ_SR_SQ_SR_SV_EESW_SX_SY_SZ_S13_S14_S15_S18_S19_jS1A_jS1B_S1B_jjS1D_bEUljE0_EEESW_SX_SY_S15_S19_S1B_T6_T7_T9_mT8_S1D_bDpT10_ENKUlT_T0_E_clISt17integral_constantIbLb1EES1Q_IbLb0EEEEDaS1M_S1N_EUlS1M_E_NS1_11comp_targetILNS1_3genE8ELNS1_11target_archE1030ELNS1_3gpuE2ELNS1_3repE0EEENS1_30default_config_static_selectorELNS0_4arch9wavefront6targetE0EEEvSZ_: ; @_ZN7rocprim17ROCPRIM_400000_NS6detail17trampoline_kernelINS0_13select_configILj256ELj13ELNS0_17block_load_methodE3ELS4_3ELS4_3ELNS0_20block_scan_algorithmE0ELj4294967295EEENS1_25partition_config_selectorILNS1_17partition_subalgoE4EjNS0_10empty_typeEbEEZZNS1_14partition_implILS8_4ELb0ES6_15HIP_vector_typeIjLj2EENS0_17counting_iteratorIjlEEPS9_SG_NS0_5tupleIJPjSI_NS0_16reverse_iteratorISI_EEEEENSH_IJSG_SG_SG_EEES9_SI_JZNS1_25segmented_radix_sort_implINS0_14default_configELb1EPKlPlSQ_SR_N2at6native12_GLOBAL__N_18offset_tEEE10hipError_tPvRmT1_PNSt15iterator_traitsISZ_E10value_typeET2_T3_PNS10_IS15_E10value_typeET4_jRbjT5_S1B_jjP12ihipStream_tbEUljE_ZNSN_ISO_Lb1ESQ_SR_SQ_SR_SV_EESW_SX_SY_SZ_S13_S14_S15_S18_S19_jS1A_jS1B_S1B_jjS1D_bEUljE0_EEESW_SX_SY_S15_S19_S1B_T6_T7_T9_mT8_S1D_bDpT10_ENKUlT_T0_E_clISt17integral_constantIbLb1EES1Q_IbLb0EEEEDaS1M_S1N_EUlS1M_E_NS1_11comp_targetILNS1_3genE8ELNS1_11target_archE1030ELNS1_3gpuE2ELNS1_3repE0EEENS1_30default_config_static_selectorELNS0_4arch9wavefront6targetE0EEEvSZ_
; %bb.0:
	.section	.rodata,"a",@progbits
	.p2align	6, 0x0
	.amdhsa_kernel _ZN7rocprim17ROCPRIM_400000_NS6detail17trampoline_kernelINS0_13select_configILj256ELj13ELNS0_17block_load_methodE3ELS4_3ELS4_3ELNS0_20block_scan_algorithmE0ELj4294967295EEENS1_25partition_config_selectorILNS1_17partition_subalgoE4EjNS0_10empty_typeEbEEZZNS1_14partition_implILS8_4ELb0ES6_15HIP_vector_typeIjLj2EENS0_17counting_iteratorIjlEEPS9_SG_NS0_5tupleIJPjSI_NS0_16reverse_iteratorISI_EEEEENSH_IJSG_SG_SG_EEES9_SI_JZNS1_25segmented_radix_sort_implINS0_14default_configELb1EPKlPlSQ_SR_N2at6native12_GLOBAL__N_18offset_tEEE10hipError_tPvRmT1_PNSt15iterator_traitsISZ_E10value_typeET2_T3_PNS10_IS15_E10value_typeET4_jRbjT5_S1B_jjP12ihipStream_tbEUljE_ZNSN_ISO_Lb1ESQ_SR_SQ_SR_SV_EESW_SX_SY_SZ_S13_S14_S15_S18_S19_jS1A_jS1B_S1B_jjS1D_bEUljE0_EEESW_SX_SY_S15_S19_S1B_T6_T7_T9_mT8_S1D_bDpT10_ENKUlT_T0_E_clISt17integral_constantIbLb1EES1Q_IbLb0EEEEDaS1M_S1N_EUlS1M_E_NS1_11comp_targetILNS1_3genE8ELNS1_11target_archE1030ELNS1_3gpuE2ELNS1_3repE0EEENS1_30default_config_static_selectorELNS0_4arch9wavefront6targetE0EEEvSZ_
		.amdhsa_group_segment_fixed_size 0
		.amdhsa_private_segment_fixed_size 0
		.amdhsa_kernarg_size 176
		.amdhsa_user_sgpr_count 2
		.amdhsa_user_sgpr_dispatch_ptr 0
		.amdhsa_user_sgpr_queue_ptr 0
		.amdhsa_user_sgpr_kernarg_segment_ptr 1
		.amdhsa_user_sgpr_dispatch_id 0
		.amdhsa_user_sgpr_private_segment_size 0
		.amdhsa_wavefront_size32 1
		.amdhsa_uses_dynamic_stack 0
		.amdhsa_enable_private_segment 0
		.amdhsa_system_sgpr_workgroup_id_x 1
		.amdhsa_system_sgpr_workgroup_id_y 0
		.amdhsa_system_sgpr_workgroup_id_z 0
		.amdhsa_system_sgpr_workgroup_info 0
		.amdhsa_system_vgpr_workitem_id 0
		.amdhsa_next_free_vgpr 1
		.amdhsa_next_free_sgpr 1
		.amdhsa_reserve_vcc 0
		.amdhsa_float_round_mode_32 0
		.amdhsa_float_round_mode_16_64 0
		.amdhsa_float_denorm_mode_32 3
		.amdhsa_float_denorm_mode_16_64 3
		.amdhsa_fp16_overflow 0
		.amdhsa_workgroup_processor_mode 1
		.amdhsa_memory_ordered 1
		.amdhsa_forward_progress 1
		.amdhsa_inst_pref_size 0
		.amdhsa_round_robin_scheduling 0
		.amdhsa_exception_fp_ieee_invalid_op 0
		.amdhsa_exception_fp_denorm_src 0
		.amdhsa_exception_fp_ieee_div_zero 0
		.amdhsa_exception_fp_ieee_overflow 0
		.amdhsa_exception_fp_ieee_underflow 0
		.amdhsa_exception_fp_ieee_inexact 0
		.amdhsa_exception_int_div_zero 0
	.end_amdhsa_kernel
	.section	.text._ZN7rocprim17ROCPRIM_400000_NS6detail17trampoline_kernelINS0_13select_configILj256ELj13ELNS0_17block_load_methodE3ELS4_3ELS4_3ELNS0_20block_scan_algorithmE0ELj4294967295EEENS1_25partition_config_selectorILNS1_17partition_subalgoE4EjNS0_10empty_typeEbEEZZNS1_14partition_implILS8_4ELb0ES6_15HIP_vector_typeIjLj2EENS0_17counting_iteratorIjlEEPS9_SG_NS0_5tupleIJPjSI_NS0_16reverse_iteratorISI_EEEEENSH_IJSG_SG_SG_EEES9_SI_JZNS1_25segmented_radix_sort_implINS0_14default_configELb1EPKlPlSQ_SR_N2at6native12_GLOBAL__N_18offset_tEEE10hipError_tPvRmT1_PNSt15iterator_traitsISZ_E10value_typeET2_T3_PNS10_IS15_E10value_typeET4_jRbjT5_S1B_jjP12ihipStream_tbEUljE_ZNSN_ISO_Lb1ESQ_SR_SQ_SR_SV_EESW_SX_SY_SZ_S13_S14_S15_S18_S19_jS1A_jS1B_S1B_jjS1D_bEUljE0_EEESW_SX_SY_S15_S19_S1B_T6_T7_T9_mT8_S1D_bDpT10_ENKUlT_T0_E_clISt17integral_constantIbLb1EES1Q_IbLb0EEEEDaS1M_S1N_EUlS1M_E_NS1_11comp_targetILNS1_3genE8ELNS1_11target_archE1030ELNS1_3gpuE2ELNS1_3repE0EEENS1_30default_config_static_selectorELNS0_4arch9wavefront6targetE0EEEvSZ_,"axG",@progbits,_ZN7rocprim17ROCPRIM_400000_NS6detail17trampoline_kernelINS0_13select_configILj256ELj13ELNS0_17block_load_methodE3ELS4_3ELS4_3ELNS0_20block_scan_algorithmE0ELj4294967295EEENS1_25partition_config_selectorILNS1_17partition_subalgoE4EjNS0_10empty_typeEbEEZZNS1_14partition_implILS8_4ELb0ES6_15HIP_vector_typeIjLj2EENS0_17counting_iteratorIjlEEPS9_SG_NS0_5tupleIJPjSI_NS0_16reverse_iteratorISI_EEEEENSH_IJSG_SG_SG_EEES9_SI_JZNS1_25segmented_radix_sort_implINS0_14default_configELb1EPKlPlSQ_SR_N2at6native12_GLOBAL__N_18offset_tEEE10hipError_tPvRmT1_PNSt15iterator_traitsISZ_E10value_typeET2_T3_PNS10_IS15_E10value_typeET4_jRbjT5_S1B_jjP12ihipStream_tbEUljE_ZNSN_ISO_Lb1ESQ_SR_SQ_SR_SV_EESW_SX_SY_SZ_S13_S14_S15_S18_S19_jS1A_jS1B_S1B_jjS1D_bEUljE0_EEESW_SX_SY_S15_S19_S1B_T6_T7_T9_mT8_S1D_bDpT10_ENKUlT_T0_E_clISt17integral_constantIbLb1EES1Q_IbLb0EEEEDaS1M_S1N_EUlS1M_E_NS1_11comp_targetILNS1_3genE8ELNS1_11target_archE1030ELNS1_3gpuE2ELNS1_3repE0EEENS1_30default_config_static_selectorELNS0_4arch9wavefront6targetE0EEEvSZ_,comdat
.Lfunc_end663:
	.size	_ZN7rocprim17ROCPRIM_400000_NS6detail17trampoline_kernelINS0_13select_configILj256ELj13ELNS0_17block_load_methodE3ELS4_3ELS4_3ELNS0_20block_scan_algorithmE0ELj4294967295EEENS1_25partition_config_selectorILNS1_17partition_subalgoE4EjNS0_10empty_typeEbEEZZNS1_14partition_implILS8_4ELb0ES6_15HIP_vector_typeIjLj2EENS0_17counting_iteratorIjlEEPS9_SG_NS0_5tupleIJPjSI_NS0_16reverse_iteratorISI_EEEEENSH_IJSG_SG_SG_EEES9_SI_JZNS1_25segmented_radix_sort_implINS0_14default_configELb1EPKlPlSQ_SR_N2at6native12_GLOBAL__N_18offset_tEEE10hipError_tPvRmT1_PNSt15iterator_traitsISZ_E10value_typeET2_T3_PNS10_IS15_E10value_typeET4_jRbjT5_S1B_jjP12ihipStream_tbEUljE_ZNSN_ISO_Lb1ESQ_SR_SQ_SR_SV_EESW_SX_SY_SZ_S13_S14_S15_S18_S19_jS1A_jS1B_S1B_jjS1D_bEUljE0_EEESW_SX_SY_S15_S19_S1B_T6_T7_T9_mT8_S1D_bDpT10_ENKUlT_T0_E_clISt17integral_constantIbLb1EES1Q_IbLb0EEEEDaS1M_S1N_EUlS1M_E_NS1_11comp_targetILNS1_3genE8ELNS1_11target_archE1030ELNS1_3gpuE2ELNS1_3repE0EEENS1_30default_config_static_selectorELNS0_4arch9wavefront6targetE0EEEvSZ_, .Lfunc_end663-_ZN7rocprim17ROCPRIM_400000_NS6detail17trampoline_kernelINS0_13select_configILj256ELj13ELNS0_17block_load_methodE3ELS4_3ELS4_3ELNS0_20block_scan_algorithmE0ELj4294967295EEENS1_25partition_config_selectorILNS1_17partition_subalgoE4EjNS0_10empty_typeEbEEZZNS1_14partition_implILS8_4ELb0ES6_15HIP_vector_typeIjLj2EENS0_17counting_iteratorIjlEEPS9_SG_NS0_5tupleIJPjSI_NS0_16reverse_iteratorISI_EEEEENSH_IJSG_SG_SG_EEES9_SI_JZNS1_25segmented_radix_sort_implINS0_14default_configELb1EPKlPlSQ_SR_N2at6native12_GLOBAL__N_18offset_tEEE10hipError_tPvRmT1_PNSt15iterator_traitsISZ_E10value_typeET2_T3_PNS10_IS15_E10value_typeET4_jRbjT5_S1B_jjP12ihipStream_tbEUljE_ZNSN_ISO_Lb1ESQ_SR_SQ_SR_SV_EESW_SX_SY_SZ_S13_S14_S15_S18_S19_jS1A_jS1B_S1B_jjS1D_bEUljE0_EEESW_SX_SY_S15_S19_S1B_T6_T7_T9_mT8_S1D_bDpT10_ENKUlT_T0_E_clISt17integral_constantIbLb1EES1Q_IbLb0EEEEDaS1M_S1N_EUlS1M_E_NS1_11comp_targetILNS1_3genE8ELNS1_11target_archE1030ELNS1_3gpuE2ELNS1_3repE0EEENS1_30default_config_static_selectorELNS0_4arch9wavefront6targetE0EEEvSZ_
                                        ; -- End function
	.set _ZN7rocprim17ROCPRIM_400000_NS6detail17trampoline_kernelINS0_13select_configILj256ELj13ELNS0_17block_load_methodE3ELS4_3ELS4_3ELNS0_20block_scan_algorithmE0ELj4294967295EEENS1_25partition_config_selectorILNS1_17partition_subalgoE4EjNS0_10empty_typeEbEEZZNS1_14partition_implILS8_4ELb0ES6_15HIP_vector_typeIjLj2EENS0_17counting_iteratorIjlEEPS9_SG_NS0_5tupleIJPjSI_NS0_16reverse_iteratorISI_EEEEENSH_IJSG_SG_SG_EEES9_SI_JZNS1_25segmented_radix_sort_implINS0_14default_configELb1EPKlPlSQ_SR_N2at6native12_GLOBAL__N_18offset_tEEE10hipError_tPvRmT1_PNSt15iterator_traitsISZ_E10value_typeET2_T3_PNS10_IS15_E10value_typeET4_jRbjT5_S1B_jjP12ihipStream_tbEUljE_ZNSN_ISO_Lb1ESQ_SR_SQ_SR_SV_EESW_SX_SY_SZ_S13_S14_S15_S18_S19_jS1A_jS1B_S1B_jjS1D_bEUljE0_EEESW_SX_SY_S15_S19_S1B_T6_T7_T9_mT8_S1D_bDpT10_ENKUlT_T0_E_clISt17integral_constantIbLb1EES1Q_IbLb0EEEEDaS1M_S1N_EUlS1M_E_NS1_11comp_targetILNS1_3genE8ELNS1_11target_archE1030ELNS1_3gpuE2ELNS1_3repE0EEENS1_30default_config_static_selectorELNS0_4arch9wavefront6targetE0EEEvSZ_.num_vgpr, 0
	.set _ZN7rocprim17ROCPRIM_400000_NS6detail17trampoline_kernelINS0_13select_configILj256ELj13ELNS0_17block_load_methodE3ELS4_3ELS4_3ELNS0_20block_scan_algorithmE0ELj4294967295EEENS1_25partition_config_selectorILNS1_17partition_subalgoE4EjNS0_10empty_typeEbEEZZNS1_14partition_implILS8_4ELb0ES6_15HIP_vector_typeIjLj2EENS0_17counting_iteratorIjlEEPS9_SG_NS0_5tupleIJPjSI_NS0_16reverse_iteratorISI_EEEEENSH_IJSG_SG_SG_EEES9_SI_JZNS1_25segmented_radix_sort_implINS0_14default_configELb1EPKlPlSQ_SR_N2at6native12_GLOBAL__N_18offset_tEEE10hipError_tPvRmT1_PNSt15iterator_traitsISZ_E10value_typeET2_T3_PNS10_IS15_E10value_typeET4_jRbjT5_S1B_jjP12ihipStream_tbEUljE_ZNSN_ISO_Lb1ESQ_SR_SQ_SR_SV_EESW_SX_SY_SZ_S13_S14_S15_S18_S19_jS1A_jS1B_S1B_jjS1D_bEUljE0_EEESW_SX_SY_S15_S19_S1B_T6_T7_T9_mT8_S1D_bDpT10_ENKUlT_T0_E_clISt17integral_constantIbLb1EES1Q_IbLb0EEEEDaS1M_S1N_EUlS1M_E_NS1_11comp_targetILNS1_3genE8ELNS1_11target_archE1030ELNS1_3gpuE2ELNS1_3repE0EEENS1_30default_config_static_selectorELNS0_4arch9wavefront6targetE0EEEvSZ_.num_agpr, 0
	.set _ZN7rocprim17ROCPRIM_400000_NS6detail17trampoline_kernelINS0_13select_configILj256ELj13ELNS0_17block_load_methodE3ELS4_3ELS4_3ELNS0_20block_scan_algorithmE0ELj4294967295EEENS1_25partition_config_selectorILNS1_17partition_subalgoE4EjNS0_10empty_typeEbEEZZNS1_14partition_implILS8_4ELb0ES6_15HIP_vector_typeIjLj2EENS0_17counting_iteratorIjlEEPS9_SG_NS0_5tupleIJPjSI_NS0_16reverse_iteratorISI_EEEEENSH_IJSG_SG_SG_EEES9_SI_JZNS1_25segmented_radix_sort_implINS0_14default_configELb1EPKlPlSQ_SR_N2at6native12_GLOBAL__N_18offset_tEEE10hipError_tPvRmT1_PNSt15iterator_traitsISZ_E10value_typeET2_T3_PNS10_IS15_E10value_typeET4_jRbjT5_S1B_jjP12ihipStream_tbEUljE_ZNSN_ISO_Lb1ESQ_SR_SQ_SR_SV_EESW_SX_SY_SZ_S13_S14_S15_S18_S19_jS1A_jS1B_S1B_jjS1D_bEUljE0_EEESW_SX_SY_S15_S19_S1B_T6_T7_T9_mT8_S1D_bDpT10_ENKUlT_T0_E_clISt17integral_constantIbLb1EES1Q_IbLb0EEEEDaS1M_S1N_EUlS1M_E_NS1_11comp_targetILNS1_3genE8ELNS1_11target_archE1030ELNS1_3gpuE2ELNS1_3repE0EEENS1_30default_config_static_selectorELNS0_4arch9wavefront6targetE0EEEvSZ_.numbered_sgpr, 0
	.set _ZN7rocprim17ROCPRIM_400000_NS6detail17trampoline_kernelINS0_13select_configILj256ELj13ELNS0_17block_load_methodE3ELS4_3ELS4_3ELNS0_20block_scan_algorithmE0ELj4294967295EEENS1_25partition_config_selectorILNS1_17partition_subalgoE4EjNS0_10empty_typeEbEEZZNS1_14partition_implILS8_4ELb0ES6_15HIP_vector_typeIjLj2EENS0_17counting_iteratorIjlEEPS9_SG_NS0_5tupleIJPjSI_NS0_16reverse_iteratorISI_EEEEENSH_IJSG_SG_SG_EEES9_SI_JZNS1_25segmented_radix_sort_implINS0_14default_configELb1EPKlPlSQ_SR_N2at6native12_GLOBAL__N_18offset_tEEE10hipError_tPvRmT1_PNSt15iterator_traitsISZ_E10value_typeET2_T3_PNS10_IS15_E10value_typeET4_jRbjT5_S1B_jjP12ihipStream_tbEUljE_ZNSN_ISO_Lb1ESQ_SR_SQ_SR_SV_EESW_SX_SY_SZ_S13_S14_S15_S18_S19_jS1A_jS1B_S1B_jjS1D_bEUljE0_EEESW_SX_SY_S15_S19_S1B_T6_T7_T9_mT8_S1D_bDpT10_ENKUlT_T0_E_clISt17integral_constantIbLb1EES1Q_IbLb0EEEEDaS1M_S1N_EUlS1M_E_NS1_11comp_targetILNS1_3genE8ELNS1_11target_archE1030ELNS1_3gpuE2ELNS1_3repE0EEENS1_30default_config_static_selectorELNS0_4arch9wavefront6targetE0EEEvSZ_.num_named_barrier, 0
	.set _ZN7rocprim17ROCPRIM_400000_NS6detail17trampoline_kernelINS0_13select_configILj256ELj13ELNS0_17block_load_methodE3ELS4_3ELS4_3ELNS0_20block_scan_algorithmE0ELj4294967295EEENS1_25partition_config_selectorILNS1_17partition_subalgoE4EjNS0_10empty_typeEbEEZZNS1_14partition_implILS8_4ELb0ES6_15HIP_vector_typeIjLj2EENS0_17counting_iteratorIjlEEPS9_SG_NS0_5tupleIJPjSI_NS0_16reverse_iteratorISI_EEEEENSH_IJSG_SG_SG_EEES9_SI_JZNS1_25segmented_radix_sort_implINS0_14default_configELb1EPKlPlSQ_SR_N2at6native12_GLOBAL__N_18offset_tEEE10hipError_tPvRmT1_PNSt15iterator_traitsISZ_E10value_typeET2_T3_PNS10_IS15_E10value_typeET4_jRbjT5_S1B_jjP12ihipStream_tbEUljE_ZNSN_ISO_Lb1ESQ_SR_SQ_SR_SV_EESW_SX_SY_SZ_S13_S14_S15_S18_S19_jS1A_jS1B_S1B_jjS1D_bEUljE0_EEESW_SX_SY_S15_S19_S1B_T6_T7_T9_mT8_S1D_bDpT10_ENKUlT_T0_E_clISt17integral_constantIbLb1EES1Q_IbLb0EEEEDaS1M_S1N_EUlS1M_E_NS1_11comp_targetILNS1_3genE8ELNS1_11target_archE1030ELNS1_3gpuE2ELNS1_3repE0EEENS1_30default_config_static_selectorELNS0_4arch9wavefront6targetE0EEEvSZ_.private_seg_size, 0
	.set _ZN7rocprim17ROCPRIM_400000_NS6detail17trampoline_kernelINS0_13select_configILj256ELj13ELNS0_17block_load_methodE3ELS4_3ELS4_3ELNS0_20block_scan_algorithmE0ELj4294967295EEENS1_25partition_config_selectorILNS1_17partition_subalgoE4EjNS0_10empty_typeEbEEZZNS1_14partition_implILS8_4ELb0ES6_15HIP_vector_typeIjLj2EENS0_17counting_iteratorIjlEEPS9_SG_NS0_5tupleIJPjSI_NS0_16reverse_iteratorISI_EEEEENSH_IJSG_SG_SG_EEES9_SI_JZNS1_25segmented_radix_sort_implINS0_14default_configELb1EPKlPlSQ_SR_N2at6native12_GLOBAL__N_18offset_tEEE10hipError_tPvRmT1_PNSt15iterator_traitsISZ_E10value_typeET2_T3_PNS10_IS15_E10value_typeET4_jRbjT5_S1B_jjP12ihipStream_tbEUljE_ZNSN_ISO_Lb1ESQ_SR_SQ_SR_SV_EESW_SX_SY_SZ_S13_S14_S15_S18_S19_jS1A_jS1B_S1B_jjS1D_bEUljE0_EEESW_SX_SY_S15_S19_S1B_T6_T7_T9_mT8_S1D_bDpT10_ENKUlT_T0_E_clISt17integral_constantIbLb1EES1Q_IbLb0EEEEDaS1M_S1N_EUlS1M_E_NS1_11comp_targetILNS1_3genE8ELNS1_11target_archE1030ELNS1_3gpuE2ELNS1_3repE0EEENS1_30default_config_static_selectorELNS0_4arch9wavefront6targetE0EEEvSZ_.uses_vcc, 0
	.set _ZN7rocprim17ROCPRIM_400000_NS6detail17trampoline_kernelINS0_13select_configILj256ELj13ELNS0_17block_load_methodE3ELS4_3ELS4_3ELNS0_20block_scan_algorithmE0ELj4294967295EEENS1_25partition_config_selectorILNS1_17partition_subalgoE4EjNS0_10empty_typeEbEEZZNS1_14partition_implILS8_4ELb0ES6_15HIP_vector_typeIjLj2EENS0_17counting_iteratorIjlEEPS9_SG_NS0_5tupleIJPjSI_NS0_16reverse_iteratorISI_EEEEENSH_IJSG_SG_SG_EEES9_SI_JZNS1_25segmented_radix_sort_implINS0_14default_configELb1EPKlPlSQ_SR_N2at6native12_GLOBAL__N_18offset_tEEE10hipError_tPvRmT1_PNSt15iterator_traitsISZ_E10value_typeET2_T3_PNS10_IS15_E10value_typeET4_jRbjT5_S1B_jjP12ihipStream_tbEUljE_ZNSN_ISO_Lb1ESQ_SR_SQ_SR_SV_EESW_SX_SY_SZ_S13_S14_S15_S18_S19_jS1A_jS1B_S1B_jjS1D_bEUljE0_EEESW_SX_SY_S15_S19_S1B_T6_T7_T9_mT8_S1D_bDpT10_ENKUlT_T0_E_clISt17integral_constantIbLb1EES1Q_IbLb0EEEEDaS1M_S1N_EUlS1M_E_NS1_11comp_targetILNS1_3genE8ELNS1_11target_archE1030ELNS1_3gpuE2ELNS1_3repE0EEENS1_30default_config_static_selectorELNS0_4arch9wavefront6targetE0EEEvSZ_.uses_flat_scratch, 0
	.set _ZN7rocprim17ROCPRIM_400000_NS6detail17trampoline_kernelINS0_13select_configILj256ELj13ELNS0_17block_load_methodE3ELS4_3ELS4_3ELNS0_20block_scan_algorithmE0ELj4294967295EEENS1_25partition_config_selectorILNS1_17partition_subalgoE4EjNS0_10empty_typeEbEEZZNS1_14partition_implILS8_4ELb0ES6_15HIP_vector_typeIjLj2EENS0_17counting_iteratorIjlEEPS9_SG_NS0_5tupleIJPjSI_NS0_16reverse_iteratorISI_EEEEENSH_IJSG_SG_SG_EEES9_SI_JZNS1_25segmented_radix_sort_implINS0_14default_configELb1EPKlPlSQ_SR_N2at6native12_GLOBAL__N_18offset_tEEE10hipError_tPvRmT1_PNSt15iterator_traitsISZ_E10value_typeET2_T3_PNS10_IS15_E10value_typeET4_jRbjT5_S1B_jjP12ihipStream_tbEUljE_ZNSN_ISO_Lb1ESQ_SR_SQ_SR_SV_EESW_SX_SY_SZ_S13_S14_S15_S18_S19_jS1A_jS1B_S1B_jjS1D_bEUljE0_EEESW_SX_SY_S15_S19_S1B_T6_T7_T9_mT8_S1D_bDpT10_ENKUlT_T0_E_clISt17integral_constantIbLb1EES1Q_IbLb0EEEEDaS1M_S1N_EUlS1M_E_NS1_11comp_targetILNS1_3genE8ELNS1_11target_archE1030ELNS1_3gpuE2ELNS1_3repE0EEENS1_30default_config_static_selectorELNS0_4arch9wavefront6targetE0EEEvSZ_.has_dyn_sized_stack, 0
	.set _ZN7rocprim17ROCPRIM_400000_NS6detail17trampoline_kernelINS0_13select_configILj256ELj13ELNS0_17block_load_methodE3ELS4_3ELS4_3ELNS0_20block_scan_algorithmE0ELj4294967295EEENS1_25partition_config_selectorILNS1_17partition_subalgoE4EjNS0_10empty_typeEbEEZZNS1_14partition_implILS8_4ELb0ES6_15HIP_vector_typeIjLj2EENS0_17counting_iteratorIjlEEPS9_SG_NS0_5tupleIJPjSI_NS0_16reverse_iteratorISI_EEEEENSH_IJSG_SG_SG_EEES9_SI_JZNS1_25segmented_radix_sort_implINS0_14default_configELb1EPKlPlSQ_SR_N2at6native12_GLOBAL__N_18offset_tEEE10hipError_tPvRmT1_PNSt15iterator_traitsISZ_E10value_typeET2_T3_PNS10_IS15_E10value_typeET4_jRbjT5_S1B_jjP12ihipStream_tbEUljE_ZNSN_ISO_Lb1ESQ_SR_SQ_SR_SV_EESW_SX_SY_SZ_S13_S14_S15_S18_S19_jS1A_jS1B_S1B_jjS1D_bEUljE0_EEESW_SX_SY_S15_S19_S1B_T6_T7_T9_mT8_S1D_bDpT10_ENKUlT_T0_E_clISt17integral_constantIbLb1EES1Q_IbLb0EEEEDaS1M_S1N_EUlS1M_E_NS1_11comp_targetILNS1_3genE8ELNS1_11target_archE1030ELNS1_3gpuE2ELNS1_3repE0EEENS1_30default_config_static_selectorELNS0_4arch9wavefront6targetE0EEEvSZ_.has_recursion, 0
	.set _ZN7rocprim17ROCPRIM_400000_NS6detail17trampoline_kernelINS0_13select_configILj256ELj13ELNS0_17block_load_methodE3ELS4_3ELS4_3ELNS0_20block_scan_algorithmE0ELj4294967295EEENS1_25partition_config_selectorILNS1_17partition_subalgoE4EjNS0_10empty_typeEbEEZZNS1_14partition_implILS8_4ELb0ES6_15HIP_vector_typeIjLj2EENS0_17counting_iteratorIjlEEPS9_SG_NS0_5tupleIJPjSI_NS0_16reverse_iteratorISI_EEEEENSH_IJSG_SG_SG_EEES9_SI_JZNS1_25segmented_radix_sort_implINS0_14default_configELb1EPKlPlSQ_SR_N2at6native12_GLOBAL__N_18offset_tEEE10hipError_tPvRmT1_PNSt15iterator_traitsISZ_E10value_typeET2_T3_PNS10_IS15_E10value_typeET4_jRbjT5_S1B_jjP12ihipStream_tbEUljE_ZNSN_ISO_Lb1ESQ_SR_SQ_SR_SV_EESW_SX_SY_SZ_S13_S14_S15_S18_S19_jS1A_jS1B_S1B_jjS1D_bEUljE0_EEESW_SX_SY_S15_S19_S1B_T6_T7_T9_mT8_S1D_bDpT10_ENKUlT_T0_E_clISt17integral_constantIbLb1EES1Q_IbLb0EEEEDaS1M_S1N_EUlS1M_E_NS1_11comp_targetILNS1_3genE8ELNS1_11target_archE1030ELNS1_3gpuE2ELNS1_3repE0EEENS1_30default_config_static_selectorELNS0_4arch9wavefront6targetE0EEEvSZ_.has_indirect_call, 0
	.section	.AMDGPU.csdata,"",@progbits
; Kernel info:
; codeLenInByte = 0
; TotalNumSgprs: 0
; NumVgprs: 0
; ScratchSize: 0
; MemoryBound: 0
; FloatMode: 240
; IeeeMode: 1
; LDSByteSize: 0 bytes/workgroup (compile time only)
; SGPRBlocks: 0
; VGPRBlocks: 0
; NumSGPRsForWavesPerEU: 1
; NumVGPRsForWavesPerEU: 1
; Occupancy: 16
; WaveLimiterHint : 0
; COMPUTE_PGM_RSRC2:SCRATCH_EN: 0
; COMPUTE_PGM_RSRC2:USER_SGPR: 2
; COMPUTE_PGM_RSRC2:TRAP_HANDLER: 0
; COMPUTE_PGM_RSRC2:TGID_X_EN: 1
; COMPUTE_PGM_RSRC2:TGID_Y_EN: 0
; COMPUTE_PGM_RSRC2:TGID_Z_EN: 0
; COMPUTE_PGM_RSRC2:TIDIG_COMP_CNT: 0
	.section	.text._ZN7rocprim17ROCPRIM_400000_NS6detail17trampoline_kernelINS0_13select_configILj256ELj13ELNS0_17block_load_methodE3ELS4_3ELS4_3ELNS0_20block_scan_algorithmE0ELj4294967295EEENS1_25partition_config_selectorILNS1_17partition_subalgoE4EjNS0_10empty_typeEbEEZZNS1_14partition_implILS8_4ELb0ES6_15HIP_vector_typeIjLj2EENS0_17counting_iteratorIjlEEPS9_SG_NS0_5tupleIJPjSI_NS0_16reverse_iteratorISI_EEEEENSH_IJSG_SG_SG_EEES9_SI_JZNS1_25segmented_radix_sort_implINS0_14default_configELb1EPKlPlSQ_SR_N2at6native12_GLOBAL__N_18offset_tEEE10hipError_tPvRmT1_PNSt15iterator_traitsISZ_E10value_typeET2_T3_PNS10_IS15_E10value_typeET4_jRbjT5_S1B_jjP12ihipStream_tbEUljE_ZNSN_ISO_Lb1ESQ_SR_SQ_SR_SV_EESW_SX_SY_SZ_S13_S14_S15_S18_S19_jS1A_jS1B_S1B_jjS1D_bEUljE0_EEESW_SX_SY_S15_S19_S1B_T6_T7_T9_mT8_S1D_bDpT10_ENKUlT_T0_E_clISt17integral_constantIbLb0EES1Q_IbLb1EEEEDaS1M_S1N_EUlS1M_E_NS1_11comp_targetILNS1_3genE0ELNS1_11target_archE4294967295ELNS1_3gpuE0ELNS1_3repE0EEENS1_30default_config_static_selectorELNS0_4arch9wavefront6targetE0EEEvSZ_,"axG",@progbits,_ZN7rocprim17ROCPRIM_400000_NS6detail17trampoline_kernelINS0_13select_configILj256ELj13ELNS0_17block_load_methodE3ELS4_3ELS4_3ELNS0_20block_scan_algorithmE0ELj4294967295EEENS1_25partition_config_selectorILNS1_17partition_subalgoE4EjNS0_10empty_typeEbEEZZNS1_14partition_implILS8_4ELb0ES6_15HIP_vector_typeIjLj2EENS0_17counting_iteratorIjlEEPS9_SG_NS0_5tupleIJPjSI_NS0_16reverse_iteratorISI_EEEEENSH_IJSG_SG_SG_EEES9_SI_JZNS1_25segmented_radix_sort_implINS0_14default_configELb1EPKlPlSQ_SR_N2at6native12_GLOBAL__N_18offset_tEEE10hipError_tPvRmT1_PNSt15iterator_traitsISZ_E10value_typeET2_T3_PNS10_IS15_E10value_typeET4_jRbjT5_S1B_jjP12ihipStream_tbEUljE_ZNSN_ISO_Lb1ESQ_SR_SQ_SR_SV_EESW_SX_SY_SZ_S13_S14_S15_S18_S19_jS1A_jS1B_S1B_jjS1D_bEUljE0_EEESW_SX_SY_S15_S19_S1B_T6_T7_T9_mT8_S1D_bDpT10_ENKUlT_T0_E_clISt17integral_constantIbLb0EES1Q_IbLb1EEEEDaS1M_S1N_EUlS1M_E_NS1_11comp_targetILNS1_3genE0ELNS1_11target_archE4294967295ELNS1_3gpuE0ELNS1_3repE0EEENS1_30default_config_static_selectorELNS0_4arch9wavefront6targetE0EEEvSZ_,comdat
	.globl	_ZN7rocprim17ROCPRIM_400000_NS6detail17trampoline_kernelINS0_13select_configILj256ELj13ELNS0_17block_load_methodE3ELS4_3ELS4_3ELNS0_20block_scan_algorithmE0ELj4294967295EEENS1_25partition_config_selectorILNS1_17partition_subalgoE4EjNS0_10empty_typeEbEEZZNS1_14partition_implILS8_4ELb0ES6_15HIP_vector_typeIjLj2EENS0_17counting_iteratorIjlEEPS9_SG_NS0_5tupleIJPjSI_NS0_16reverse_iteratorISI_EEEEENSH_IJSG_SG_SG_EEES9_SI_JZNS1_25segmented_radix_sort_implINS0_14default_configELb1EPKlPlSQ_SR_N2at6native12_GLOBAL__N_18offset_tEEE10hipError_tPvRmT1_PNSt15iterator_traitsISZ_E10value_typeET2_T3_PNS10_IS15_E10value_typeET4_jRbjT5_S1B_jjP12ihipStream_tbEUljE_ZNSN_ISO_Lb1ESQ_SR_SQ_SR_SV_EESW_SX_SY_SZ_S13_S14_S15_S18_S19_jS1A_jS1B_S1B_jjS1D_bEUljE0_EEESW_SX_SY_S15_S19_S1B_T6_T7_T9_mT8_S1D_bDpT10_ENKUlT_T0_E_clISt17integral_constantIbLb0EES1Q_IbLb1EEEEDaS1M_S1N_EUlS1M_E_NS1_11comp_targetILNS1_3genE0ELNS1_11target_archE4294967295ELNS1_3gpuE0ELNS1_3repE0EEENS1_30default_config_static_selectorELNS0_4arch9wavefront6targetE0EEEvSZ_ ; -- Begin function _ZN7rocprim17ROCPRIM_400000_NS6detail17trampoline_kernelINS0_13select_configILj256ELj13ELNS0_17block_load_methodE3ELS4_3ELS4_3ELNS0_20block_scan_algorithmE0ELj4294967295EEENS1_25partition_config_selectorILNS1_17partition_subalgoE4EjNS0_10empty_typeEbEEZZNS1_14partition_implILS8_4ELb0ES6_15HIP_vector_typeIjLj2EENS0_17counting_iteratorIjlEEPS9_SG_NS0_5tupleIJPjSI_NS0_16reverse_iteratorISI_EEEEENSH_IJSG_SG_SG_EEES9_SI_JZNS1_25segmented_radix_sort_implINS0_14default_configELb1EPKlPlSQ_SR_N2at6native12_GLOBAL__N_18offset_tEEE10hipError_tPvRmT1_PNSt15iterator_traitsISZ_E10value_typeET2_T3_PNS10_IS15_E10value_typeET4_jRbjT5_S1B_jjP12ihipStream_tbEUljE_ZNSN_ISO_Lb1ESQ_SR_SQ_SR_SV_EESW_SX_SY_SZ_S13_S14_S15_S18_S19_jS1A_jS1B_S1B_jjS1D_bEUljE0_EEESW_SX_SY_S15_S19_S1B_T6_T7_T9_mT8_S1D_bDpT10_ENKUlT_T0_E_clISt17integral_constantIbLb0EES1Q_IbLb1EEEEDaS1M_S1N_EUlS1M_E_NS1_11comp_targetILNS1_3genE0ELNS1_11target_archE4294967295ELNS1_3gpuE0ELNS1_3repE0EEENS1_30default_config_static_selectorELNS0_4arch9wavefront6targetE0EEEvSZ_
	.p2align	8
	.type	_ZN7rocprim17ROCPRIM_400000_NS6detail17trampoline_kernelINS0_13select_configILj256ELj13ELNS0_17block_load_methodE3ELS4_3ELS4_3ELNS0_20block_scan_algorithmE0ELj4294967295EEENS1_25partition_config_selectorILNS1_17partition_subalgoE4EjNS0_10empty_typeEbEEZZNS1_14partition_implILS8_4ELb0ES6_15HIP_vector_typeIjLj2EENS0_17counting_iteratorIjlEEPS9_SG_NS0_5tupleIJPjSI_NS0_16reverse_iteratorISI_EEEEENSH_IJSG_SG_SG_EEES9_SI_JZNS1_25segmented_radix_sort_implINS0_14default_configELb1EPKlPlSQ_SR_N2at6native12_GLOBAL__N_18offset_tEEE10hipError_tPvRmT1_PNSt15iterator_traitsISZ_E10value_typeET2_T3_PNS10_IS15_E10value_typeET4_jRbjT5_S1B_jjP12ihipStream_tbEUljE_ZNSN_ISO_Lb1ESQ_SR_SQ_SR_SV_EESW_SX_SY_SZ_S13_S14_S15_S18_S19_jS1A_jS1B_S1B_jjS1D_bEUljE0_EEESW_SX_SY_S15_S19_S1B_T6_T7_T9_mT8_S1D_bDpT10_ENKUlT_T0_E_clISt17integral_constantIbLb0EES1Q_IbLb1EEEEDaS1M_S1N_EUlS1M_E_NS1_11comp_targetILNS1_3genE0ELNS1_11target_archE4294967295ELNS1_3gpuE0ELNS1_3repE0EEENS1_30default_config_static_selectorELNS0_4arch9wavefront6targetE0EEEvSZ_,@function
_ZN7rocprim17ROCPRIM_400000_NS6detail17trampoline_kernelINS0_13select_configILj256ELj13ELNS0_17block_load_methodE3ELS4_3ELS4_3ELNS0_20block_scan_algorithmE0ELj4294967295EEENS1_25partition_config_selectorILNS1_17partition_subalgoE4EjNS0_10empty_typeEbEEZZNS1_14partition_implILS8_4ELb0ES6_15HIP_vector_typeIjLj2EENS0_17counting_iteratorIjlEEPS9_SG_NS0_5tupleIJPjSI_NS0_16reverse_iteratorISI_EEEEENSH_IJSG_SG_SG_EEES9_SI_JZNS1_25segmented_radix_sort_implINS0_14default_configELb1EPKlPlSQ_SR_N2at6native12_GLOBAL__N_18offset_tEEE10hipError_tPvRmT1_PNSt15iterator_traitsISZ_E10value_typeET2_T3_PNS10_IS15_E10value_typeET4_jRbjT5_S1B_jjP12ihipStream_tbEUljE_ZNSN_ISO_Lb1ESQ_SR_SQ_SR_SV_EESW_SX_SY_SZ_S13_S14_S15_S18_S19_jS1A_jS1B_S1B_jjS1D_bEUljE0_EEESW_SX_SY_S15_S19_S1B_T6_T7_T9_mT8_S1D_bDpT10_ENKUlT_T0_E_clISt17integral_constantIbLb0EES1Q_IbLb1EEEEDaS1M_S1N_EUlS1M_E_NS1_11comp_targetILNS1_3genE0ELNS1_11target_archE4294967295ELNS1_3gpuE0ELNS1_3repE0EEENS1_30default_config_static_selectorELNS0_4arch9wavefront6targetE0EEEvSZ_: ; @_ZN7rocprim17ROCPRIM_400000_NS6detail17trampoline_kernelINS0_13select_configILj256ELj13ELNS0_17block_load_methodE3ELS4_3ELS4_3ELNS0_20block_scan_algorithmE0ELj4294967295EEENS1_25partition_config_selectorILNS1_17partition_subalgoE4EjNS0_10empty_typeEbEEZZNS1_14partition_implILS8_4ELb0ES6_15HIP_vector_typeIjLj2EENS0_17counting_iteratorIjlEEPS9_SG_NS0_5tupleIJPjSI_NS0_16reverse_iteratorISI_EEEEENSH_IJSG_SG_SG_EEES9_SI_JZNS1_25segmented_radix_sort_implINS0_14default_configELb1EPKlPlSQ_SR_N2at6native12_GLOBAL__N_18offset_tEEE10hipError_tPvRmT1_PNSt15iterator_traitsISZ_E10value_typeET2_T3_PNS10_IS15_E10value_typeET4_jRbjT5_S1B_jjP12ihipStream_tbEUljE_ZNSN_ISO_Lb1ESQ_SR_SQ_SR_SV_EESW_SX_SY_SZ_S13_S14_S15_S18_S19_jS1A_jS1B_S1B_jjS1D_bEUljE0_EEESW_SX_SY_S15_S19_S1B_T6_T7_T9_mT8_S1D_bDpT10_ENKUlT_T0_E_clISt17integral_constantIbLb0EES1Q_IbLb1EEEEDaS1M_S1N_EUlS1M_E_NS1_11comp_targetILNS1_3genE0ELNS1_11target_archE4294967295ELNS1_3gpuE0ELNS1_3repE0EEENS1_30default_config_static_selectorELNS0_4arch9wavefront6targetE0EEEvSZ_
; %bb.0:
	.section	.rodata,"a",@progbits
	.p2align	6, 0x0
	.amdhsa_kernel _ZN7rocprim17ROCPRIM_400000_NS6detail17trampoline_kernelINS0_13select_configILj256ELj13ELNS0_17block_load_methodE3ELS4_3ELS4_3ELNS0_20block_scan_algorithmE0ELj4294967295EEENS1_25partition_config_selectorILNS1_17partition_subalgoE4EjNS0_10empty_typeEbEEZZNS1_14partition_implILS8_4ELb0ES6_15HIP_vector_typeIjLj2EENS0_17counting_iteratorIjlEEPS9_SG_NS0_5tupleIJPjSI_NS0_16reverse_iteratorISI_EEEEENSH_IJSG_SG_SG_EEES9_SI_JZNS1_25segmented_radix_sort_implINS0_14default_configELb1EPKlPlSQ_SR_N2at6native12_GLOBAL__N_18offset_tEEE10hipError_tPvRmT1_PNSt15iterator_traitsISZ_E10value_typeET2_T3_PNS10_IS15_E10value_typeET4_jRbjT5_S1B_jjP12ihipStream_tbEUljE_ZNSN_ISO_Lb1ESQ_SR_SQ_SR_SV_EESW_SX_SY_SZ_S13_S14_S15_S18_S19_jS1A_jS1B_S1B_jjS1D_bEUljE0_EEESW_SX_SY_S15_S19_S1B_T6_T7_T9_mT8_S1D_bDpT10_ENKUlT_T0_E_clISt17integral_constantIbLb0EES1Q_IbLb1EEEEDaS1M_S1N_EUlS1M_E_NS1_11comp_targetILNS1_3genE0ELNS1_11target_archE4294967295ELNS1_3gpuE0ELNS1_3repE0EEENS1_30default_config_static_selectorELNS0_4arch9wavefront6targetE0EEEvSZ_
		.amdhsa_group_segment_fixed_size 0
		.amdhsa_private_segment_fixed_size 0
		.amdhsa_kernarg_size 184
		.amdhsa_user_sgpr_count 2
		.amdhsa_user_sgpr_dispatch_ptr 0
		.amdhsa_user_sgpr_queue_ptr 0
		.amdhsa_user_sgpr_kernarg_segment_ptr 1
		.amdhsa_user_sgpr_dispatch_id 0
		.amdhsa_user_sgpr_private_segment_size 0
		.amdhsa_wavefront_size32 1
		.amdhsa_uses_dynamic_stack 0
		.amdhsa_enable_private_segment 0
		.amdhsa_system_sgpr_workgroup_id_x 1
		.amdhsa_system_sgpr_workgroup_id_y 0
		.amdhsa_system_sgpr_workgroup_id_z 0
		.amdhsa_system_sgpr_workgroup_info 0
		.amdhsa_system_vgpr_workitem_id 0
		.amdhsa_next_free_vgpr 1
		.amdhsa_next_free_sgpr 1
		.amdhsa_reserve_vcc 0
		.amdhsa_float_round_mode_32 0
		.amdhsa_float_round_mode_16_64 0
		.amdhsa_float_denorm_mode_32 3
		.amdhsa_float_denorm_mode_16_64 3
		.amdhsa_fp16_overflow 0
		.amdhsa_workgroup_processor_mode 1
		.amdhsa_memory_ordered 1
		.amdhsa_forward_progress 1
		.amdhsa_inst_pref_size 0
		.amdhsa_round_robin_scheduling 0
		.amdhsa_exception_fp_ieee_invalid_op 0
		.amdhsa_exception_fp_denorm_src 0
		.amdhsa_exception_fp_ieee_div_zero 0
		.amdhsa_exception_fp_ieee_overflow 0
		.amdhsa_exception_fp_ieee_underflow 0
		.amdhsa_exception_fp_ieee_inexact 0
		.amdhsa_exception_int_div_zero 0
	.end_amdhsa_kernel
	.section	.text._ZN7rocprim17ROCPRIM_400000_NS6detail17trampoline_kernelINS0_13select_configILj256ELj13ELNS0_17block_load_methodE3ELS4_3ELS4_3ELNS0_20block_scan_algorithmE0ELj4294967295EEENS1_25partition_config_selectorILNS1_17partition_subalgoE4EjNS0_10empty_typeEbEEZZNS1_14partition_implILS8_4ELb0ES6_15HIP_vector_typeIjLj2EENS0_17counting_iteratorIjlEEPS9_SG_NS0_5tupleIJPjSI_NS0_16reverse_iteratorISI_EEEEENSH_IJSG_SG_SG_EEES9_SI_JZNS1_25segmented_radix_sort_implINS0_14default_configELb1EPKlPlSQ_SR_N2at6native12_GLOBAL__N_18offset_tEEE10hipError_tPvRmT1_PNSt15iterator_traitsISZ_E10value_typeET2_T3_PNS10_IS15_E10value_typeET4_jRbjT5_S1B_jjP12ihipStream_tbEUljE_ZNSN_ISO_Lb1ESQ_SR_SQ_SR_SV_EESW_SX_SY_SZ_S13_S14_S15_S18_S19_jS1A_jS1B_S1B_jjS1D_bEUljE0_EEESW_SX_SY_S15_S19_S1B_T6_T7_T9_mT8_S1D_bDpT10_ENKUlT_T0_E_clISt17integral_constantIbLb0EES1Q_IbLb1EEEEDaS1M_S1N_EUlS1M_E_NS1_11comp_targetILNS1_3genE0ELNS1_11target_archE4294967295ELNS1_3gpuE0ELNS1_3repE0EEENS1_30default_config_static_selectorELNS0_4arch9wavefront6targetE0EEEvSZ_,"axG",@progbits,_ZN7rocprim17ROCPRIM_400000_NS6detail17trampoline_kernelINS0_13select_configILj256ELj13ELNS0_17block_load_methodE3ELS4_3ELS4_3ELNS0_20block_scan_algorithmE0ELj4294967295EEENS1_25partition_config_selectorILNS1_17partition_subalgoE4EjNS0_10empty_typeEbEEZZNS1_14partition_implILS8_4ELb0ES6_15HIP_vector_typeIjLj2EENS0_17counting_iteratorIjlEEPS9_SG_NS0_5tupleIJPjSI_NS0_16reverse_iteratorISI_EEEEENSH_IJSG_SG_SG_EEES9_SI_JZNS1_25segmented_radix_sort_implINS0_14default_configELb1EPKlPlSQ_SR_N2at6native12_GLOBAL__N_18offset_tEEE10hipError_tPvRmT1_PNSt15iterator_traitsISZ_E10value_typeET2_T3_PNS10_IS15_E10value_typeET4_jRbjT5_S1B_jjP12ihipStream_tbEUljE_ZNSN_ISO_Lb1ESQ_SR_SQ_SR_SV_EESW_SX_SY_SZ_S13_S14_S15_S18_S19_jS1A_jS1B_S1B_jjS1D_bEUljE0_EEESW_SX_SY_S15_S19_S1B_T6_T7_T9_mT8_S1D_bDpT10_ENKUlT_T0_E_clISt17integral_constantIbLb0EES1Q_IbLb1EEEEDaS1M_S1N_EUlS1M_E_NS1_11comp_targetILNS1_3genE0ELNS1_11target_archE4294967295ELNS1_3gpuE0ELNS1_3repE0EEENS1_30default_config_static_selectorELNS0_4arch9wavefront6targetE0EEEvSZ_,comdat
.Lfunc_end664:
	.size	_ZN7rocprim17ROCPRIM_400000_NS6detail17trampoline_kernelINS0_13select_configILj256ELj13ELNS0_17block_load_methodE3ELS4_3ELS4_3ELNS0_20block_scan_algorithmE0ELj4294967295EEENS1_25partition_config_selectorILNS1_17partition_subalgoE4EjNS0_10empty_typeEbEEZZNS1_14partition_implILS8_4ELb0ES6_15HIP_vector_typeIjLj2EENS0_17counting_iteratorIjlEEPS9_SG_NS0_5tupleIJPjSI_NS0_16reverse_iteratorISI_EEEEENSH_IJSG_SG_SG_EEES9_SI_JZNS1_25segmented_radix_sort_implINS0_14default_configELb1EPKlPlSQ_SR_N2at6native12_GLOBAL__N_18offset_tEEE10hipError_tPvRmT1_PNSt15iterator_traitsISZ_E10value_typeET2_T3_PNS10_IS15_E10value_typeET4_jRbjT5_S1B_jjP12ihipStream_tbEUljE_ZNSN_ISO_Lb1ESQ_SR_SQ_SR_SV_EESW_SX_SY_SZ_S13_S14_S15_S18_S19_jS1A_jS1B_S1B_jjS1D_bEUljE0_EEESW_SX_SY_S15_S19_S1B_T6_T7_T9_mT8_S1D_bDpT10_ENKUlT_T0_E_clISt17integral_constantIbLb0EES1Q_IbLb1EEEEDaS1M_S1N_EUlS1M_E_NS1_11comp_targetILNS1_3genE0ELNS1_11target_archE4294967295ELNS1_3gpuE0ELNS1_3repE0EEENS1_30default_config_static_selectorELNS0_4arch9wavefront6targetE0EEEvSZ_, .Lfunc_end664-_ZN7rocprim17ROCPRIM_400000_NS6detail17trampoline_kernelINS0_13select_configILj256ELj13ELNS0_17block_load_methodE3ELS4_3ELS4_3ELNS0_20block_scan_algorithmE0ELj4294967295EEENS1_25partition_config_selectorILNS1_17partition_subalgoE4EjNS0_10empty_typeEbEEZZNS1_14partition_implILS8_4ELb0ES6_15HIP_vector_typeIjLj2EENS0_17counting_iteratorIjlEEPS9_SG_NS0_5tupleIJPjSI_NS0_16reverse_iteratorISI_EEEEENSH_IJSG_SG_SG_EEES9_SI_JZNS1_25segmented_radix_sort_implINS0_14default_configELb1EPKlPlSQ_SR_N2at6native12_GLOBAL__N_18offset_tEEE10hipError_tPvRmT1_PNSt15iterator_traitsISZ_E10value_typeET2_T3_PNS10_IS15_E10value_typeET4_jRbjT5_S1B_jjP12ihipStream_tbEUljE_ZNSN_ISO_Lb1ESQ_SR_SQ_SR_SV_EESW_SX_SY_SZ_S13_S14_S15_S18_S19_jS1A_jS1B_S1B_jjS1D_bEUljE0_EEESW_SX_SY_S15_S19_S1B_T6_T7_T9_mT8_S1D_bDpT10_ENKUlT_T0_E_clISt17integral_constantIbLb0EES1Q_IbLb1EEEEDaS1M_S1N_EUlS1M_E_NS1_11comp_targetILNS1_3genE0ELNS1_11target_archE4294967295ELNS1_3gpuE0ELNS1_3repE0EEENS1_30default_config_static_selectorELNS0_4arch9wavefront6targetE0EEEvSZ_
                                        ; -- End function
	.set _ZN7rocprim17ROCPRIM_400000_NS6detail17trampoline_kernelINS0_13select_configILj256ELj13ELNS0_17block_load_methodE3ELS4_3ELS4_3ELNS0_20block_scan_algorithmE0ELj4294967295EEENS1_25partition_config_selectorILNS1_17partition_subalgoE4EjNS0_10empty_typeEbEEZZNS1_14partition_implILS8_4ELb0ES6_15HIP_vector_typeIjLj2EENS0_17counting_iteratorIjlEEPS9_SG_NS0_5tupleIJPjSI_NS0_16reverse_iteratorISI_EEEEENSH_IJSG_SG_SG_EEES9_SI_JZNS1_25segmented_radix_sort_implINS0_14default_configELb1EPKlPlSQ_SR_N2at6native12_GLOBAL__N_18offset_tEEE10hipError_tPvRmT1_PNSt15iterator_traitsISZ_E10value_typeET2_T3_PNS10_IS15_E10value_typeET4_jRbjT5_S1B_jjP12ihipStream_tbEUljE_ZNSN_ISO_Lb1ESQ_SR_SQ_SR_SV_EESW_SX_SY_SZ_S13_S14_S15_S18_S19_jS1A_jS1B_S1B_jjS1D_bEUljE0_EEESW_SX_SY_S15_S19_S1B_T6_T7_T9_mT8_S1D_bDpT10_ENKUlT_T0_E_clISt17integral_constantIbLb0EES1Q_IbLb1EEEEDaS1M_S1N_EUlS1M_E_NS1_11comp_targetILNS1_3genE0ELNS1_11target_archE4294967295ELNS1_3gpuE0ELNS1_3repE0EEENS1_30default_config_static_selectorELNS0_4arch9wavefront6targetE0EEEvSZ_.num_vgpr, 0
	.set _ZN7rocprim17ROCPRIM_400000_NS6detail17trampoline_kernelINS0_13select_configILj256ELj13ELNS0_17block_load_methodE3ELS4_3ELS4_3ELNS0_20block_scan_algorithmE0ELj4294967295EEENS1_25partition_config_selectorILNS1_17partition_subalgoE4EjNS0_10empty_typeEbEEZZNS1_14partition_implILS8_4ELb0ES6_15HIP_vector_typeIjLj2EENS0_17counting_iteratorIjlEEPS9_SG_NS0_5tupleIJPjSI_NS0_16reverse_iteratorISI_EEEEENSH_IJSG_SG_SG_EEES9_SI_JZNS1_25segmented_radix_sort_implINS0_14default_configELb1EPKlPlSQ_SR_N2at6native12_GLOBAL__N_18offset_tEEE10hipError_tPvRmT1_PNSt15iterator_traitsISZ_E10value_typeET2_T3_PNS10_IS15_E10value_typeET4_jRbjT5_S1B_jjP12ihipStream_tbEUljE_ZNSN_ISO_Lb1ESQ_SR_SQ_SR_SV_EESW_SX_SY_SZ_S13_S14_S15_S18_S19_jS1A_jS1B_S1B_jjS1D_bEUljE0_EEESW_SX_SY_S15_S19_S1B_T6_T7_T9_mT8_S1D_bDpT10_ENKUlT_T0_E_clISt17integral_constantIbLb0EES1Q_IbLb1EEEEDaS1M_S1N_EUlS1M_E_NS1_11comp_targetILNS1_3genE0ELNS1_11target_archE4294967295ELNS1_3gpuE0ELNS1_3repE0EEENS1_30default_config_static_selectorELNS0_4arch9wavefront6targetE0EEEvSZ_.num_agpr, 0
	.set _ZN7rocprim17ROCPRIM_400000_NS6detail17trampoline_kernelINS0_13select_configILj256ELj13ELNS0_17block_load_methodE3ELS4_3ELS4_3ELNS0_20block_scan_algorithmE0ELj4294967295EEENS1_25partition_config_selectorILNS1_17partition_subalgoE4EjNS0_10empty_typeEbEEZZNS1_14partition_implILS8_4ELb0ES6_15HIP_vector_typeIjLj2EENS0_17counting_iteratorIjlEEPS9_SG_NS0_5tupleIJPjSI_NS0_16reverse_iteratorISI_EEEEENSH_IJSG_SG_SG_EEES9_SI_JZNS1_25segmented_radix_sort_implINS0_14default_configELb1EPKlPlSQ_SR_N2at6native12_GLOBAL__N_18offset_tEEE10hipError_tPvRmT1_PNSt15iterator_traitsISZ_E10value_typeET2_T3_PNS10_IS15_E10value_typeET4_jRbjT5_S1B_jjP12ihipStream_tbEUljE_ZNSN_ISO_Lb1ESQ_SR_SQ_SR_SV_EESW_SX_SY_SZ_S13_S14_S15_S18_S19_jS1A_jS1B_S1B_jjS1D_bEUljE0_EEESW_SX_SY_S15_S19_S1B_T6_T7_T9_mT8_S1D_bDpT10_ENKUlT_T0_E_clISt17integral_constantIbLb0EES1Q_IbLb1EEEEDaS1M_S1N_EUlS1M_E_NS1_11comp_targetILNS1_3genE0ELNS1_11target_archE4294967295ELNS1_3gpuE0ELNS1_3repE0EEENS1_30default_config_static_selectorELNS0_4arch9wavefront6targetE0EEEvSZ_.numbered_sgpr, 0
	.set _ZN7rocprim17ROCPRIM_400000_NS6detail17trampoline_kernelINS0_13select_configILj256ELj13ELNS0_17block_load_methodE3ELS4_3ELS4_3ELNS0_20block_scan_algorithmE0ELj4294967295EEENS1_25partition_config_selectorILNS1_17partition_subalgoE4EjNS0_10empty_typeEbEEZZNS1_14partition_implILS8_4ELb0ES6_15HIP_vector_typeIjLj2EENS0_17counting_iteratorIjlEEPS9_SG_NS0_5tupleIJPjSI_NS0_16reverse_iteratorISI_EEEEENSH_IJSG_SG_SG_EEES9_SI_JZNS1_25segmented_radix_sort_implINS0_14default_configELb1EPKlPlSQ_SR_N2at6native12_GLOBAL__N_18offset_tEEE10hipError_tPvRmT1_PNSt15iterator_traitsISZ_E10value_typeET2_T3_PNS10_IS15_E10value_typeET4_jRbjT5_S1B_jjP12ihipStream_tbEUljE_ZNSN_ISO_Lb1ESQ_SR_SQ_SR_SV_EESW_SX_SY_SZ_S13_S14_S15_S18_S19_jS1A_jS1B_S1B_jjS1D_bEUljE0_EEESW_SX_SY_S15_S19_S1B_T6_T7_T9_mT8_S1D_bDpT10_ENKUlT_T0_E_clISt17integral_constantIbLb0EES1Q_IbLb1EEEEDaS1M_S1N_EUlS1M_E_NS1_11comp_targetILNS1_3genE0ELNS1_11target_archE4294967295ELNS1_3gpuE0ELNS1_3repE0EEENS1_30default_config_static_selectorELNS0_4arch9wavefront6targetE0EEEvSZ_.num_named_barrier, 0
	.set _ZN7rocprim17ROCPRIM_400000_NS6detail17trampoline_kernelINS0_13select_configILj256ELj13ELNS0_17block_load_methodE3ELS4_3ELS4_3ELNS0_20block_scan_algorithmE0ELj4294967295EEENS1_25partition_config_selectorILNS1_17partition_subalgoE4EjNS0_10empty_typeEbEEZZNS1_14partition_implILS8_4ELb0ES6_15HIP_vector_typeIjLj2EENS0_17counting_iteratorIjlEEPS9_SG_NS0_5tupleIJPjSI_NS0_16reverse_iteratorISI_EEEEENSH_IJSG_SG_SG_EEES9_SI_JZNS1_25segmented_radix_sort_implINS0_14default_configELb1EPKlPlSQ_SR_N2at6native12_GLOBAL__N_18offset_tEEE10hipError_tPvRmT1_PNSt15iterator_traitsISZ_E10value_typeET2_T3_PNS10_IS15_E10value_typeET4_jRbjT5_S1B_jjP12ihipStream_tbEUljE_ZNSN_ISO_Lb1ESQ_SR_SQ_SR_SV_EESW_SX_SY_SZ_S13_S14_S15_S18_S19_jS1A_jS1B_S1B_jjS1D_bEUljE0_EEESW_SX_SY_S15_S19_S1B_T6_T7_T9_mT8_S1D_bDpT10_ENKUlT_T0_E_clISt17integral_constantIbLb0EES1Q_IbLb1EEEEDaS1M_S1N_EUlS1M_E_NS1_11comp_targetILNS1_3genE0ELNS1_11target_archE4294967295ELNS1_3gpuE0ELNS1_3repE0EEENS1_30default_config_static_selectorELNS0_4arch9wavefront6targetE0EEEvSZ_.private_seg_size, 0
	.set _ZN7rocprim17ROCPRIM_400000_NS6detail17trampoline_kernelINS0_13select_configILj256ELj13ELNS0_17block_load_methodE3ELS4_3ELS4_3ELNS0_20block_scan_algorithmE0ELj4294967295EEENS1_25partition_config_selectorILNS1_17partition_subalgoE4EjNS0_10empty_typeEbEEZZNS1_14partition_implILS8_4ELb0ES6_15HIP_vector_typeIjLj2EENS0_17counting_iteratorIjlEEPS9_SG_NS0_5tupleIJPjSI_NS0_16reverse_iteratorISI_EEEEENSH_IJSG_SG_SG_EEES9_SI_JZNS1_25segmented_radix_sort_implINS0_14default_configELb1EPKlPlSQ_SR_N2at6native12_GLOBAL__N_18offset_tEEE10hipError_tPvRmT1_PNSt15iterator_traitsISZ_E10value_typeET2_T3_PNS10_IS15_E10value_typeET4_jRbjT5_S1B_jjP12ihipStream_tbEUljE_ZNSN_ISO_Lb1ESQ_SR_SQ_SR_SV_EESW_SX_SY_SZ_S13_S14_S15_S18_S19_jS1A_jS1B_S1B_jjS1D_bEUljE0_EEESW_SX_SY_S15_S19_S1B_T6_T7_T9_mT8_S1D_bDpT10_ENKUlT_T0_E_clISt17integral_constantIbLb0EES1Q_IbLb1EEEEDaS1M_S1N_EUlS1M_E_NS1_11comp_targetILNS1_3genE0ELNS1_11target_archE4294967295ELNS1_3gpuE0ELNS1_3repE0EEENS1_30default_config_static_selectorELNS0_4arch9wavefront6targetE0EEEvSZ_.uses_vcc, 0
	.set _ZN7rocprim17ROCPRIM_400000_NS6detail17trampoline_kernelINS0_13select_configILj256ELj13ELNS0_17block_load_methodE3ELS4_3ELS4_3ELNS0_20block_scan_algorithmE0ELj4294967295EEENS1_25partition_config_selectorILNS1_17partition_subalgoE4EjNS0_10empty_typeEbEEZZNS1_14partition_implILS8_4ELb0ES6_15HIP_vector_typeIjLj2EENS0_17counting_iteratorIjlEEPS9_SG_NS0_5tupleIJPjSI_NS0_16reverse_iteratorISI_EEEEENSH_IJSG_SG_SG_EEES9_SI_JZNS1_25segmented_radix_sort_implINS0_14default_configELb1EPKlPlSQ_SR_N2at6native12_GLOBAL__N_18offset_tEEE10hipError_tPvRmT1_PNSt15iterator_traitsISZ_E10value_typeET2_T3_PNS10_IS15_E10value_typeET4_jRbjT5_S1B_jjP12ihipStream_tbEUljE_ZNSN_ISO_Lb1ESQ_SR_SQ_SR_SV_EESW_SX_SY_SZ_S13_S14_S15_S18_S19_jS1A_jS1B_S1B_jjS1D_bEUljE0_EEESW_SX_SY_S15_S19_S1B_T6_T7_T9_mT8_S1D_bDpT10_ENKUlT_T0_E_clISt17integral_constantIbLb0EES1Q_IbLb1EEEEDaS1M_S1N_EUlS1M_E_NS1_11comp_targetILNS1_3genE0ELNS1_11target_archE4294967295ELNS1_3gpuE0ELNS1_3repE0EEENS1_30default_config_static_selectorELNS0_4arch9wavefront6targetE0EEEvSZ_.uses_flat_scratch, 0
	.set _ZN7rocprim17ROCPRIM_400000_NS6detail17trampoline_kernelINS0_13select_configILj256ELj13ELNS0_17block_load_methodE3ELS4_3ELS4_3ELNS0_20block_scan_algorithmE0ELj4294967295EEENS1_25partition_config_selectorILNS1_17partition_subalgoE4EjNS0_10empty_typeEbEEZZNS1_14partition_implILS8_4ELb0ES6_15HIP_vector_typeIjLj2EENS0_17counting_iteratorIjlEEPS9_SG_NS0_5tupleIJPjSI_NS0_16reverse_iteratorISI_EEEEENSH_IJSG_SG_SG_EEES9_SI_JZNS1_25segmented_radix_sort_implINS0_14default_configELb1EPKlPlSQ_SR_N2at6native12_GLOBAL__N_18offset_tEEE10hipError_tPvRmT1_PNSt15iterator_traitsISZ_E10value_typeET2_T3_PNS10_IS15_E10value_typeET4_jRbjT5_S1B_jjP12ihipStream_tbEUljE_ZNSN_ISO_Lb1ESQ_SR_SQ_SR_SV_EESW_SX_SY_SZ_S13_S14_S15_S18_S19_jS1A_jS1B_S1B_jjS1D_bEUljE0_EEESW_SX_SY_S15_S19_S1B_T6_T7_T9_mT8_S1D_bDpT10_ENKUlT_T0_E_clISt17integral_constantIbLb0EES1Q_IbLb1EEEEDaS1M_S1N_EUlS1M_E_NS1_11comp_targetILNS1_3genE0ELNS1_11target_archE4294967295ELNS1_3gpuE0ELNS1_3repE0EEENS1_30default_config_static_selectorELNS0_4arch9wavefront6targetE0EEEvSZ_.has_dyn_sized_stack, 0
	.set _ZN7rocprim17ROCPRIM_400000_NS6detail17trampoline_kernelINS0_13select_configILj256ELj13ELNS0_17block_load_methodE3ELS4_3ELS4_3ELNS0_20block_scan_algorithmE0ELj4294967295EEENS1_25partition_config_selectorILNS1_17partition_subalgoE4EjNS0_10empty_typeEbEEZZNS1_14partition_implILS8_4ELb0ES6_15HIP_vector_typeIjLj2EENS0_17counting_iteratorIjlEEPS9_SG_NS0_5tupleIJPjSI_NS0_16reverse_iteratorISI_EEEEENSH_IJSG_SG_SG_EEES9_SI_JZNS1_25segmented_radix_sort_implINS0_14default_configELb1EPKlPlSQ_SR_N2at6native12_GLOBAL__N_18offset_tEEE10hipError_tPvRmT1_PNSt15iterator_traitsISZ_E10value_typeET2_T3_PNS10_IS15_E10value_typeET4_jRbjT5_S1B_jjP12ihipStream_tbEUljE_ZNSN_ISO_Lb1ESQ_SR_SQ_SR_SV_EESW_SX_SY_SZ_S13_S14_S15_S18_S19_jS1A_jS1B_S1B_jjS1D_bEUljE0_EEESW_SX_SY_S15_S19_S1B_T6_T7_T9_mT8_S1D_bDpT10_ENKUlT_T0_E_clISt17integral_constantIbLb0EES1Q_IbLb1EEEEDaS1M_S1N_EUlS1M_E_NS1_11comp_targetILNS1_3genE0ELNS1_11target_archE4294967295ELNS1_3gpuE0ELNS1_3repE0EEENS1_30default_config_static_selectorELNS0_4arch9wavefront6targetE0EEEvSZ_.has_recursion, 0
	.set _ZN7rocprim17ROCPRIM_400000_NS6detail17trampoline_kernelINS0_13select_configILj256ELj13ELNS0_17block_load_methodE3ELS4_3ELS4_3ELNS0_20block_scan_algorithmE0ELj4294967295EEENS1_25partition_config_selectorILNS1_17partition_subalgoE4EjNS0_10empty_typeEbEEZZNS1_14partition_implILS8_4ELb0ES6_15HIP_vector_typeIjLj2EENS0_17counting_iteratorIjlEEPS9_SG_NS0_5tupleIJPjSI_NS0_16reverse_iteratorISI_EEEEENSH_IJSG_SG_SG_EEES9_SI_JZNS1_25segmented_radix_sort_implINS0_14default_configELb1EPKlPlSQ_SR_N2at6native12_GLOBAL__N_18offset_tEEE10hipError_tPvRmT1_PNSt15iterator_traitsISZ_E10value_typeET2_T3_PNS10_IS15_E10value_typeET4_jRbjT5_S1B_jjP12ihipStream_tbEUljE_ZNSN_ISO_Lb1ESQ_SR_SQ_SR_SV_EESW_SX_SY_SZ_S13_S14_S15_S18_S19_jS1A_jS1B_S1B_jjS1D_bEUljE0_EEESW_SX_SY_S15_S19_S1B_T6_T7_T9_mT8_S1D_bDpT10_ENKUlT_T0_E_clISt17integral_constantIbLb0EES1Q_IbLb1EEEEDaS1M_S1N_EUlS1M_E_NS1_11comp_targetILNS1_3genE0ELNS1_11target_archE4294967295ELNS1_3gpuE0ELNS1_3repE0EEENS1_30default_config_static_selectorELNS0_4arch9wavefront6targetE0EEEvSZ_.has_indirect_call, 0
	.section	.AMDGPU.csdata,"",@progbits
; Kernel info:
; codeLenInByte = 0
; TotalNumSgprs: 0
; NumVgprs: 0
; ScratchSize: 0
; MemoryBound: 0
; FloatMode: 240
; IeeeMode: 1
; LDSByteSize: 0 bytes/workgroup (compile time only)
; SGPRBlocks: 0
; VGPRBlocks: 0
; NumSGPRsForWavesPerEU: 1
; NumVGPRsForWavesPerEU: 1
; Occupancy: 16
; WaveLimiterHint : 0
; COMPUTE_PGM_RSRC2:SCRATCH_EN: 0
; COMPUTE_PGM_RSRC2:USER_SGPR: 2
; COMPUTE_PGM_RSRC2:TRAP_HANDLER: 0
; COMPUTE_PGM_RSRC2:TGID_X_EN: 1
; COMPUTE_PGM_RSRC2:TGID_Y_EN: 0
; COMPUTE_PGM_RSRC2:TGID_Z_EN: 0
; COMPUTE_PGM_RSRC2:TIDIG_COMP_CNT: 0
	.section	.text._ZN7rocprim17ROCPRIM_400000_NS6detail17trampoline_kernelINS0_13select_configILj256ELj13ELNS0_17block_load_methodE3ELS4_3ELS4_3ELNS0_20block_scan_algorithmE0ELj4294967295EEENS1_25partition_config_selectorILNS1_17partition_subalgoE4EjNS0_10empty_typeEbEEZZNS1_14partition_implILS8_4ELb0ES6_15HIP_vector_typeIjLj2EENS0_17counting_iteratorIjlEEPS9_SG_NS0_5tupleIJPjSI_NS0_16reverse_iteratorISI_EEEEENSH_IJSG_SG_SG_EEES9_SI_JZNS1_25segmented_radix_sort_implINS0_14default_configELb1EPKlPlSQ_SR_N2at6native12_GLOBAL__N_18offset_tEEE10hipError_tPvRmT1_PNSt15iterator_traitsISZ_E10value_typeET2_T3_PNS10_IS15_E10value_typeET4_jRbjT5_S1B_jjP12ihipStream_tbEUljE_ZNSN_ISO_Lb1ESQ_SR_SQ_SR_SV_EESW_SX_SY_SZ_S13_S14_S15_S18_S19_jS1A_jS1B_S1B_jjS1D_bEUljE0_EEESW_SX_SY_S15_S19_S1B_T6_T7_T9_mT8_S1D_bDpT10_ENKUlT_T0_E_clISt17integral_constantIbLb0EES1Q_IbLb1EEEEDaS1M_S1N_EUlS1M_E_NS1_11comp_targetILNS1_3genE5ELNS1_11target_archE942ELNS1_3gpuE9ELNS1_3repE0EEENS1_30default_config_static_selectorELNS0_4arch9wavefront6targetE0EEEvSZ_,"axG",@progbits,_ZN7rocprim17ROCPRIM_400000_NS6detail17trampoline_kernelINS0_13select_configILj256ELj13ELNS0_17block_load_methodE3ELS4_3ELS4_3ELNS0_20block_scan_algorithmE0ELj4294967295EEENS1_25partition_config_selectorILNS1_17partition_subalgoE4EjNS0_10empty_typeEbEEZZNS1_14partition_implILS8_4ELb0ES6_15HIP_vector_typeIjLj2EENS0_17counting_iteratorIjlEEPS9_SG_NS0_5tupleIJPjSI_NS0_16reverse_iteratorISI_EEEEENSH_IJSG_SG_SG_EEES9_SI_JZNS1_25segmented_radix_sort_implINS0_14default_configELb1EPKlPlSQ_SR_N2at6native12_GLOBAL__N_18offset_tEEE10hipError_tPvRmT1_PNSt15iterator_traitsISZ_E10value_typeET2_T3_PNS10_IS15_E10value_typeET4_jRbjT5_S1B_jjP12ihipStream_tbEUljE_ZNSN_ISO_Lb1ESQ_SR_SQ_SR_SV_EESW_SX_SY_SZ_S13_S14_S15_S18_S19_jS1A_jS1B_S1B_jjS1D_bEUljE0_EEESW_SX_SY_S15_S19_S1B_T6_T7_T9_mT8_S1D_bDpT10_ENKUlT_T0_E_clISt17integral_constantIbLb0EES1Q_IbLb1EEEEDaS1M_S1N_EUlS1M_E_NS1_11comp_targetILNS1_3genE5ELNS1_11target_archE942ELNS1_3gpuE9ELNS1_3repE0EEENS1_30default_config_static_selectorELNS0_4arch9wavefront6targetE0EEEvSZ_,comdat
	.globl	_ZN7rocprim17ROCPRIM_400000_NS6detail17trampoline_kernelINS0_13select_configILj256ELj13ELNS0_17block_load_methodE3ELS4_3ELS4_3ELNS0_20block_scan_algorithmE0ELj4294967295EEENS1_25partition_config_selectorILNS1_17partition_subalgoE4EjNS0_10empty_typeEbEEZZNS1_14partition_implILS8_4ELb0ES6_15HIP_vector_typeIjLj2EENS0_17counting_iteratorIjlEEPS9_SG_NS0_5tupleIJPjSI_NS0_16reverse_iteratorISI_EEEEENSH_IJSG_SG_SG_EEES9_SI_JZNS1_25segmented_radix_sort_implINS0_14default_configELb1EPKlPlSQ_SR_N2at6native12_GLOBAL__N_18offset_tEEE10hipError_tPvRmT1_PNSt15iterator_traitsISZ_E10value_typeET2_T3_PNS10_IS15_E10value_typeET4_jRbjT5_S1B_jjP12ihipStream_tbEUljE_ZNSN_ISO_Lb1ESQ_SR_SQ_SR_SV_EESW_SX_SY_SZ_S13_S14_S15_S18_S19_jS1A_jS1B_S1B_jjS1D_bEUljE0_EEESW_SX_SY_S15_S19_S1B_T6_T7_T9_mT8_S1D_bDpT10_ENKUlT_T0_E_clISt17integral_constantIbLb0EES1Q_IbLb1EEEEDaS1M_S1N_EUlS1M_E_NS1_11comp_targetILNS1_3genE5ELNS1_11target_archE942ELNS1_3gpuE9ELNS1_3repE0EEENS1_30default_config_static_selectorELNS0_4arch9wavefront6targetE0EEEvSZ_ ; -- Begin function _ZN7rocprim17ROCPRIM_400000_NS6detail17trampoline_kernelINS0_13select_configILj256ELj13ELNS0_17block_load_methodE3ELS4_3ELS4_3ELNS0_20block_scan_algorithmE0ELj4294967295EEENS1_25partition_config_selectorILNS1_17partition_subalgoE4EjNS0_10empty_typeEbEEZZNS1_14partition_implILS8_4ELb0ES6_15HIP_vector_typeIjLj2EENS0_17counting_iteratorIjlEEPS9_SG_NS0_5tupleIJPjSI_NS0_16reverse_iteratorISI_EEEEENSH_IJSG_SG_SG_EEES9_SI_JZNS1_25segmented_radix_sort_implINS0_14default_configELb1EPKlPlSQ_SR_N2at6native12_GLOBAL__N_18offset_tEEE10hipError_tPvRmT1_PNSt15iterator_traitsISZ_E10value_typeET2_T3_PNS10_IS15_E10value_typeET4_jRbjT5_S1B_jjP12ihipStream_tbEUljE_ZNSN_ISO_Lb1ESQ_SR_SQ_SR_SV_EESW_SX_SY_SZ_S13_S14_S15_S18_S19_jS1A_jS1B_S1B_jjS1D_bEUljE0_EEESW_SX_SY_S15_S19_S1B_T6_T7_T9_mT8_S1D_bDpT10_ENKUlT_T0_E_clISt17integral_constantIbLb0EES1Q_IbLb1EEEEDaS1M_S1N_EUlS1M_E_NS1_11comp_targetILNS1_3genE5ELNS1_11target_archE942ELNS1_3gpuE9ELNS1_3repE0EEENS1_30default_config_static_selectorELNS0_4arch9wavefront6targetE0EEEvSZ_
	.p2align	8
	.type	_ZN7rocprim17ROCPRIM_400000_NS6detail17trampoline_kernelINS0_13select_configILj256ELj13ELNS0_17block_load_methodE3ELS4_3ELS4_3ELNS0_20block_scan_algorithmE0ELj4294967295EEENS1_25partition_config_selectorILNS1_17partition_subalgoE4EjNS0_10empty_typeEbEEZZNS1_14partition_implILS8_4ELb0ES6_15HIP_vector_typeIjLj2EENS0_17counting_iteratorIjlEEPS9_SG_NS0_5tupleIJPjSI_NS0_16reverse_iteratorISI_EEEEENSH_IJSG_SG_SG_EEES9_SI_JZNS1_25segmented_radix_sort_implINS0_14default_configELb1EPKlPlSQ_SR_N2at6native12_GLOBAL__N_18offset_tEEE10hipError_tPvRmT1_PNSt15iterator_traitsISZ_E10value_typeET2_T3_PNS10_IS15_E10value_typeET4_jRbjT5_S1B_jjP12ihipStream_tbEUljE_ZNSN_ISO_Lb1ESQ_SR_SQ_SR_SV_EESW_SX_SY_SZ_S13_S14_S15_S18_S19_jS1A_jS1B_S1B_jjS1D_bEUljE0_EEESW_SX_SY_S15_S19_S1B_T6_T7_T9_mT8_S1D_bDpT10_ENKUlT_T0_E_clISt17integral_constantIbLb0EES1Q_IbLb1EEEEDaS1M_S1N_EUlS1M_E_NS1_11comp_targetILNS1_3genE5ELNS1_11target_archE942ELNS1_3gpuE9ELNS1_3repE0EEENS1_30default_config_static_selectorELNS0_4arch9wavefront6targetE0EEEvSZ_,@function
_ZN7rocprim17ROCPRIM_400000_NS6detail17trampoline_kernelINS0_13select_configILj256ELj13ELNS0_17block_load_methodE3ELS4_3ELS4_3ELNS0_20block_scan_algorithmE0ELj4294967295EEENS1_25partition_config_selectorILNS1_17partition_subalgoE4EjNS0_10empty_typeEbEEZZNS1_14partition_implILS8_4ELb0ES6_15HIP_vector_typeIjLj2EENS0_17counting_iteratorIjlEEPS9_SG_NS0_5tupleIJPjSI_NS0_16reverse_iteratorISI_EEEEENSH_IJSG_SG_SG_EEES9_SI_JZNS1_25segmented_radix_sort_implINS0_14default_configELb1EPKlPlSQ_SR_N2at6native12_GLOBAL__N_18offset_tEEE10hipError_tPvRmT1_PNSt15iterator_traitsISZ_E10value_typeET2_T3_PNS10_IS15_E10value_typeET4_jRbjT5_S1B_jjP12ihipStream_tbEUljE_ZNSN_ISO_Lb1ESQ_SR_SQ_SR_SV_EESW_SX_SY_SZ_S13_S14_S15_S18_S19_jS1A_jS1B_S1B_jjS1D_bEUljE0_EEESW_SX_SY_S15_S19_S1B_T6_T7_T9_mT8_S1D_bDpT10_ENKUlT_T0_E_clISt17integral_constantIbLb0EES1Q_IbLb1EEEEDaS1M_S1N_EUlS1M_E_NS1_11comp_targetILNS1_3genE5ELNS1_11target_archE942ELNS1_3gpuE9ELNS1_3repE0EEENS1_30default_config_static_selectorELNS0_4arch9wavefront6targetE0EEEvSZ_: ; @_ZN7rocprim17ROCPRIM_400000_NS6detail17trampoline_kernelINS0_13select_configILj256ELj13ELNS0_17block_load_methodE3ELS4_3ELS4_3ELNS0_20block_scan_algorithmE0ELj4294967295EEENS1_25partition_config_selectorILNS1_17partition_subalgoE4EjNS0_10empty_typeEbEEZZNS1_14partition_implILS8_4ELb0ES6_15HIP_vector_typeIjLj2EENS0_17counting_iteratorIjlEEPS9_SG_NS0_5tupleIJPjSI_NS0_16reverse_iteratorISI_EEEEENSH_IJSG_SG_SG_EEES9_SI_JZNS1_25segmented_radix_sort_implINS0_14default_configELb1EPKlPlSQ_SR_N2at6native12_GLOBAL__N_18offset_tEEE10hipError_tPvRmT1_PNSt15iterator_traitsISZ_E10value_typeET2_T3_PNS10_IS15_E10value_typeET4_jRbjT5_S1B_jjP12ihipStream_tbEUljE_ZNSN_ISO_Lb1ESQ_SR_SQ_SR_SV_EESW_SX_SY_SZ_S13_S14_S15_S18_S19_jS1A_jS1B_S1B_jjS1D_bEUljE0_EEESW_SX_SY_S15_S19_S1B_T6_T7_T9_mT8_S1D_bDpT10_ENKUlT_T0_E_clISt17integral_constantIbLb0EES1Q_IbLb1EEEEDaS1M_S1N_EUlS1M_E_NS1_11comp_targetILNS1_3genE5ELNS1_11target_archE942ELNS1_3gpuE9ELNS1_3repE0EEENS1_30default_config_static_selectorELNS0_4arch9wavefront6targetE0EEEvSZ_
; %bb.0:
	.section	.rodata,"a",@progbits
	.p2align	6, 0x0
	.amdhsa_kernel _ZN7rocprim17ROCPRIM_400000_NS6detail17trampoline_kernelINS0_13select_configILj256ELj13ELNS0_17block_load_methodE3ELS4_3ELS4_3ELNS0_20block_scan_algorithmE0ELj4294967295EEENS1_25partition_config_selectorILNS1_17partition_subalgoE4EjNS0_10empty_typeEbEEZZNS1_14partition_implILS8_4ELb0ES6_15HIP_vector_typeIjLj2EENS0_17counting_iteratorIjlEEPS9_SG_NS0_5tupleIJPjSI_NS0_16reverse_iteratorISI_EEEEENSH_IJSG_SG_SG_EEES9_SI_JZNS1_25segmented_radix_sort_implINS0_14default_configELb1EPKlPlSQ_SR_N2at6native12_GLOBAL__N_18offset_tEEE10hipError_tPvRmT1_PNSt15iterator_traitsISZ_E10value_typeET2_T3_PNS10_IS15_E10value_typeET4_jRbjT5_S1B_jjP12ihipStream_tbEUljE_ZNSN_ISO_Lb1ESQ_SR_SQ_SR_SV_EESW_SX_SY_SZ_S13_S14_S15_S18_S19_jS1A_jS1B_S1B_jjS1D_bEUljE0_EEESW_SX_SY_S15_S19_S1B_T6_T7_T9_mT8_S1D_bDpT10_ENKUlT_T0_E_clISt17integral_constantIbLb0EES1Q_IbLb1EEEEDaS1M_S1N_EUlS1M_E_NS1_11comp_targetILNS1_3genE5ELNS1_11target_archE942ELNS1_3gpuE9ELNS1_3repE0EEENS1_30default_config_static_selectorELNS0_4arch9wavefront6targetE0EEEvSZ_
		.amdhsa_group_segment_fixed_size 0
		.amdhsa_private_segment_fixed_size 0
		.amdhsa_kernarg_size 184
		.amdhsa_user_sgpr_count 2
		.amdhsa_user_sgpr_dispatch_ptr 0
		.amdhsa_user_sgpr_queue_ptr 0
		.amdhsa_user_sgpr_kernarg_segment_ptr 1
		.amdhsa_user_sgpr_dispatch_id 0
		.amdhsa_user_sgpr_private_segment_size 0
		.amdhsa_wavefront_size32 1
		.amdhsa_uses_dynamic_stack 0
		.amdhsa_enable_private_segment 0
		.amdhsa_system_sgpr_workgroup_id_x 1
		.amdhsa_system_sgpr_workgroup_id_y 0
		.amdhsa_system_sgpr_workgroup_id_z 0
		.amdhsa_system_sgpr_workgroup_info 0
		.amdhsa_system_vgpr_workitem_id 0
		.amdhsa_next_free_vgpr 1
		.amdhsa_next_free_sgpr 1
		.amdhsa_reserve_vcc 0
		.amdhsa_float_round_mode_32 0
		.amdhsa_float_round_mode_16_64 0
		.amdhsa_float_denorm_mode_32 3
		.amdhsa_float_denorm_mode_16_64 3
		.amdhsa_fp16_overflow 0
		.amdhsa_workgroup_processor_mode 1
		.amdhsa_memory_ordered 1
		.amdhsa_forward_progress 1
		.amdhsa_inst_pref_size 0
		.amdhsa_round_robin_scheduling 0
		.amdhsa_exception_fp_ieee_invalid_op 0
		.amdhsa_exception_fp_denorm_src 0
		.amdhsa_exception_fp_ieee_div_zero 0
		.amdhsa_exception_fp_ieee_overflow 0
		.amdhsa_exception_fp_ieee_underflow 0
		.amdhsa_exception_fp_ieee_inexact 0
		.amdhsa_exception_int_div_zero 0
	.end_amdhsa_kernel
	.section	.text._ZN7rocprim17ROCPRIM_400000_NS6detail17trampoline_kernelINS0_13select_configILj256ELj13ELNS0_17block_load_methodE3ELS4_3ELS4_3ELNS0_20block_scan_algorithmE0ELj4294967295EEENS1_25partition_config_selectorILNS1_17partition_subalgoE4EjNS0_10empty_typeEbEEZZNS1_14partition_implILS8_4ELb0ES6_15HIP_vector_typeIjLj2EENS0_17counting_iteratorIjlEEPS9_SG_NS0_5tupleIJPjSI_NS0_16reverse_iteratorISI_EEEEENSH_IJSG_SG_SG_EEES9_SI_JZNS1_25segmented_radix_sort_implINS0_14default_configELb1EPKlPlSQ_SR_N2at6native12_GLOBAL__N_18offset_tEEE10hipError_tPvRmT1_PNSt15iterator_traitsISZ_E10value_typeET2_T3_PNS10_IS15_E10value_typeET4_jRbjT5_S1B_jjP12ihipStream_tbEUljE_ZNSN_ISO_Lb1ESQ_SR_SQ_SR_SV_EESW_SX_SY_SZ_S13_S14_S15_S18_S19_jS1A_jS1B_S1B_jjS1D_bEUljE0_EEESW_SX_SY_S15_S19_S1B_T6_T7_T9_mT8_S1D_bDpT10_ENKUlT_T0_E_clISt17integral_constantIbLb0EES1Q_IbLb1EEEEDaS1M_S1N_EUlS1M_E_NS1_11comp_targetILNS1_3genE5ELNS1_11target_archE942ELNS1_3gpuE9ELNS1_3repE0EEENS1_30default_config_static_selectorELNS0_4arch9wavefront6targetE0EEEvSZ_,"axG",@progbits,_ZN7rocprim17ROCPRIM_400000_NS6detail17trampoline_kernelINS0_13select_configILj256ELj13ELNS0_17block_load_methodE3ELS4_3ELS4_3ELNS0_20block_scan_algorithmE0ELj4294967295EEENS1_25partition_config_selectorILNS1_17partition_subalgoE4EjNS0_10empty_typeEbEEZZNS1_14partition_implILS8_4ELb0ES6_15HIP_vector_typeIjLj2EENS0_17counting_iteratorIjlEEPS9_SG_NS0_5tupleIJPjSI_NS0_16reverse_iteratorISI_EEEEENSH_IJSG_SG_SG_EEES9_SI_JZNS1_25segmented_radix_sort_implINS0_14default_configELb1EPKlPlSQ_SR_N2at6native12_GLOBAL__N_18offset_tEEE10hipError_tPvRmT1_PNSt15iterator_traitsISZ_E10value_typeET2_T3_PNS10_IS15_E10value_typeET4_jRbjT5_S1B_jjP12ihipStream_tbEUljE_ZNSN_ISO_Lb1ESQ_SR_SQ_SR_SV_EESW_SX_SY_SZ_S13_S14_S15_S18_S19_jS1A_jS1B_S1B_jjS1D_bEUljE0_EEESW_SX_SY_S15_S19_S1B_T6_T7_T9_mT8_S1D_bDpT10_ENKUlT_T0_E_clISt17integral_constantIbLb0EES1Q_IbLb1EEEEDaS1M_S1N_EUlS1M_E_NS1_11comp_targetILNS1_3genE5ELNS1_11target_archE942ELNS1_3gpuE9ELNS1_3repE0EEENS1_30default_config_static_selectorELNS0_4arch9wavefront6targetE0EEEvSZ_,comdat
.Lfunc_end665:
	.size	_ZN7rocprim17ROCPRIM_400000_NS6detail17trampoline_kernelINS0_13select_configILj256ELj13ELNS0_17block_load_methodE3ELS4_3ELS4_3ELNS0_20block_scan_algorithmE0ELj4294967295EEENS1_25partition_config_selectorILNS1_17partition_subalgoE4EjNS0_10empty_typeEbEEZZNS1_14partition_implILS8_4ELb0ES6_15HIP_vector_typeIjLj2EENS0_17counting_iteratorIjlEEPS9_SG_NS0_5tupleIJPjSI_NS0_16reverse_iteratorISI_EEEEENSH_IJSG_SG_SG_EEES9_SI_JZNS1_25segmented_radix_sort_implINS0_14default_configELb1EPKlPlSQ_SR_N2at6native12_GLOBAL__N_18offset_tEEE10hipError_tPvRmT1_PNSt15iterator_traitsISZ_E10value_typeET2_T3_PNS10_IS15_E10value_typeET4_jRbjT5_S1B_jjP12ihipStream_tbEUljE_ZNSN_ISO_Lb1ESQ_SR_SQ_SR_SV_EESW_SX_SY_SZ_S13_S14_S15_S18_S19_jS1A_jS1B_S1B_jjS1D_bEUljE0_EEESW_SX_SY_S15_S19_S1B_T6_T7_T9_mT8_S1D_bDpT10_ENKUlT_T0_E_clISt17integral_constantIbLb0EES1Q_IbLb1EEEEDaS1M_S1N_EUlS1M_E_NS1_11comp_targetILNS1_3genE5ELNS1_11target_archE942ELNS1_3gpuE9ELNS1_3repE0EEENS1_30default_config_static_selectorELNS0_4arch9wavefront6targetE0EEEvSZ_, .Lfunc_end665-_ZN7rocprim17ROCPRIM_400000_NS6detail17trampoline_kernelINS0_13select_configILj256ELj13ELNS0_17block_load_methodE3ELS4_3ELS4_3ELNS0_20block_scan_algorithmE0ELj4294967295EEENS1_25partition_config_selectorILNS1_17partition_subalgoE4EjNS0_10empty_typeEbEEZZNS1_14partition_implILS8_4ELb0ES6_15HIP_vector_typeIjLj2EENS0_17counting_iteratorIjlEEPS9_SG_NS0_5tupleIJPjSI_NS0_16reverse_iteratorISI_EEEEENSH_IJSG_SG_SG_EEES9_SI_JZNS1_25segmented_radix_sort_implINS0_14default_configELb1EPKlPlSQ_SR_N2at6native12_GLOBAL__N_18offset_tEEE10hipError_tPvRmT1_PNSt15iterator_traitsISZ_E10value_typeET2_T3_PNS10_IS15_E10value_typeET4_jRbjT5_S1B_jjP12ihipStream_tbEUljE_ZNSN_ISO_Lb1ESQ_SR_SQ_SR_SV_EESW_SX_SY_SZ_S13_S14_S15_S18_S19_jS1A_jS1B_S1B_jjS1D_bEUljE0_EEESW_SX_SY_S15_S19_S1B_T6_T7_T9_mT8_S1D_bDpT10_ENKUlT_T0_E_clISt17integral_constantIbLb0EES1Q_IbLb1EEEEDaS1M_S1N_EUlS1M_E_NS1_11comp_targetILNS1_3genE5ELNS1_11target_archE942ELNS1_3gpuE9ELNS1_3repE0EEENS1_30default_config_static_selectorELNS0_4arch9wavefront6targetE0EEEvSZ_
                                        ; -- End function
	.set _ZN7rocprim17ROCPRIM_400000_NS6detail17trampoline_kernelINS0_13select_configILj256ELj13ELNS0_17block_load_methodE3ELS4_3ELS4_3ELNS0_20block_scan_algorithmE0ELj4294967295EEENS1_25partition_config_selectorILNS1_17partition_subalgoE4EjNS0_10empty_typeEbEEZZNS1_14partition_implILS8_4ELb0ES6_15HIP_vector_typeIjLj2EENS0_17counting_iteratorIjlEEPS9_SG_NS0_5tupleIJPjSI_NS0_16reverse_iteratorISI_EEEEENSH_IJSG_SG_SG_EEES9_SI_JZNS1_25segmented_radix_sort_implINS0_14default_configELb1EPKlPlSQ_SR_N2at6native12_GLOBAL__N_18offset_tEEE10hipError_tPvRmT1_PNSt15iterator_traitsISZ_E10value_typeET2_T3_PNS10_IS15_E10value_typeET4_jRbjT5_S1B_jjP12ihipStream_tbEUljE_ZNSN_ISO_Lb1ESQ_SR_SQ_SR_SV_EESW_SX_SY_SZ_S13_S14_S15_S18_S19_jS1A_jS1B_S1B_jjS1D_bEUljE0_EEESW_SX_SY_S15_S19_S1B_T6_T7_T9_mT8_S1D_bDpT10_ENKUlT_T0_E_clISt17integral_constantIbLb0EES1Q_IbLb1EEEEDaS1M_S1N_EUlS1M_E_NS1_11comp_targetILNS1_3genE5ELNS1_11target_archE942ELNS1_3gpuE9ELNS1_3repE0EEENS1_30default_config_static_selectorELNS0_4arch9wavefront6targetE0EEEvSZ_.num_vgpr, 0
	.set _ZN7rocprim17ROCPRIM_400000_NS6detail17trampoline_kernelINS0_13select_configILj256ELj13ELNS0_17block_load_methodE3ELS4_3ELS4_3ELNS0_20block_scan_algorithmE0ELj4294967295EEENS1_25partition_config_selectorILNS1_17partition_subalgoE4EjNS0_10empty_typeEbEEZZNS1_14partition_implILS8_4ELb0ES6_15HIP_vector_typeIjLj2EENS0_17counting_iteratorIjlEEPS9_SG_NS0_5tupleIJPjSI_NS0_16reverse_iteratorISI_EEEEENSH_IJSG_SG_SG_EEES9_SI_JZNS1_25segmented_radix_sort_implINS0_14default_configELb1EPKlPlSQ_SR_N2at6native12_GLOBAL__N_18offset_tEEE10hipError_tPvRmT1_PNSt15iterator_traitsISZ_E10value_typeET2_T3_PNS10_IS15_E10value_typeET4_jRbjT5_S1B_jjP12ihipStream_tbEUljE_ZNSN_ISO_Lb1ESQ_SR_SQ_SR_SV_EESW_SX_SY_SZ_S13_S14_S15_S18_S19_jS1A_jS1B_S1B_jjS1D_bEUljE0_EEESW_SX_SY_S15_S19_S1B_T6_T7_T9_mT8_S1D_bDpT10_ENKUlT_T0_E_clISt17integral_constantIbLb0EES1Q_IbLb1EEEEDaS1M_S1N_EUlS1M_E_NS1_11comp_targetILNS1_3genE5ELNS1_11target_archE942ELNS1_3gpuE9ELNS1_3repE0EEENS1_30default_config_static_selectorELNS0_4arch9wavefront6targetE0EEEvSZ_.num_agpr, 0
	.set _ZN7rocprim17ROCPRIM_400000_NS6detail17trampoline_kernelINS0_13select_configILj256ELj13ELNS0_17block_load_methodE3ELS4_3ELS4_3ELNS0_20block_scan_algorithmE0ELj4294967295EEENS1_25partition_config_selectorILNS1_17partition_subalgoE4EjNS0_10empty_typeEbEEZZNS1_14partition_implILS8_4ELb0ES6_15HIP_vector_typeIjLj2EENS0_17counting_iteratorIjlEEPS9_SG_NS0_5tupleIJPjSI_NS0_16reverse_iteratorISI_EEEEENSH_IJSG_SG_SG_EEES9_SI_JZNS1_25segmented_radix_sort_implINS0_14default_configELb1EPKlPlSQ_SR_N2at6native12_GLOBAL__N_18offset_tEEE10hipError_tPvRmT1_PNSt15iterator_traitsISZ_E10value_typeET2_T3_PNS10_IS15_E10value_typeET4_jRbjT5_S1B_jjP12ihipStream_tbEUljE_ZNSN_ISO_Lb1ESQ_SR_SQ_SR_SV_EESW_SX_SY_SZ_S13_S14_S15_S18_S19_jS1A_jS1B_S1B_jjS1D_bEUljE0_EEESW_SX_SY_S15_S19_S1B_T6_T7_T9_mT8_S1D_bDpT10_ENKUlT_T0_E_clISt17integral_constantIbLb0EES1Q_IbLb1EEEEDaS1M_S1N_EUlS1M_E_NS1_11comp_targetILNS1_3genE5ELNS1_11target_archE942ELNS1_3gpuE9ELNS1_3repE0EEENS1_30default_config_static_selectorELNS0_4arch9wavefront6targetE0EEEvSZ_.numbered_sgpr, 0
	.set _ZN7rocprim17ROCPRIM_400000_NS6detail17trampoline_kernelINS0_13select_configILj256ELj13ELNS0_17block_load_methodE3ELS4_3ELS4_3ELNS0_20block_scan_algorithmE0ELj4294967295EEENS1_25partition_config_selectorILNS1_17partition_subalgoE4EjNS0_10empty_typeEbEEZZNS1_14partition_implILS8_4ELb0ES6_15HIP_vector_typeIjLj2EENS0_17counting_iteratorIjlEEPS9_SG_NS0_5tupleIJPjSI_NS0_16reverse_iteratorISI_EEEEENSH_IJSG_SG_SG_EEES9_SI_JZNS1_25segmented_radix_sort_implINS0_14default_configELb1EPKlPlSQ_SR_N2at6native12_GLOBAL__N_18offset_tEEE10hipError_tPvRmT1_PNSt15iterator_traitsISZ_E10value_typeET2_T3_PNS10_IS15_E10value_typeET4_jRbjT5_S1B_jjP12ihipStream_tbEUljE_ZNSN_ISO_Lb1ESQ_SR_SQ_SR_SV_EESW_SX_SY_SZ_S13_S14_S15_S18_S19_jS1A_jS1B_S1B_jjS1D_bEUljE0_EEESW_SX_SY_S15_S19_S1B_T6_T7_T9_mT8_S1D_bDpT10_ENKUlT_T0_E_clISt17integral_constantIbLb0EES1Q_IbLb1EEEEDaS1M_S1N_EUlS1M_E_NS1_11comp_targetILNS1_3genE5ELNS1_11target_archE942ELNS1_3gpuE9ELNS1_3repE0EEENS1_30default_config_static_selectorELNS0_4arch9wavefront6targetE0EEEvSZ_.num_named_barrier, 0
	.set _ZN7rocprim17ROCPRIM_400000_NS6detail17trampoline_kernelINS0_13select_configILj256ELj13ELNS0_17block_load_methodE3ELS4_3ELS4_3ELNS0_20block_scan_algorithmE0ELj4294967295EEENS1_25partition_config_selectorILNS1_17partition_subalgoE4EjNS0_10empty_typeEbEEZZNS1_14partition_implILS8_4ELb0ES6_15HIP_vector_typeIjLj2EENS0_17counting_iteratorIjlEEPS9_SG_NS0_5tupleIJPjSI_NS0_16reverse_iteratorISI_EEEEENSH_IJSG_SG_SG_EEES9_SI_JZNS1_25segmented_radix_sort_implINS0_14default_configELb1EPKlPlSQ_SR_N2at6native12_GLOBAL__N_18offset_tEEE10hipError_tPvRmT1_PNSt15iterator_traitsISZ_E10value_typeET2_T3_PNS10_IS15_E10value_typeET4_jRbjT5_S1B_jjP12ihipStream_tbEUljE_ZNSN_ISO_Lb1ESQ_SR_SQ_SR_SV_EESW_SX_SY_SZ_S13_S14_S15_S18_S19_jS1A_jS1B_S1B_jjS1D_bEUljE0_EEESW_SX_SY_S15_S19_S1B_T6_T7_T9_mT8_S1D_bDpT10_ENKUlT_T0_E_clISt17integral_constantIbLb0EES1Q_IbLb1EEEEDaS1M_S1N_EUlS1M_E_NS1_11comp_targetILNS1_3genE5ELNS1_11target_archE942ELNS1_3gpuE9ELNS1_3repE0EEENS1_30default_config_static_selectorELNS0_4arch9wavefront6targetE0EEEvSZ_.private_seg_size, 0
	.set _ZN7rocprim17ROCPRIM_400000_NS6detail17trampoline_kernelINS0_13select_configILj256ELj13ELNS0_17block_load_methodE3ELS4_3ELS4_3ELNS0_20block_scan_algorithmE0ELj4294967295EEENS1_25partition_config_selectorILNS1_17partition_subalgoE4EjNS0_10empty_typeEbEEZZNS1_14partition_implILS8_4ELb0ES6_15HIP_vector_typeIjLj2EENS0_17counting_iteratorIjlEEPS9_SG_NS0_5tupleIJPjSI_NS0_16reverse_iteratorISI_EEEEENSH_IJSG_SG_SG_EEES9_SI_JZNS1_25segmented_radix_sort_implINS0_14default_configELb1EPKlPlSQ_SR_N2at6native12_GLOBAL__N_18offset_tEEE10hipError_tPvRmT1_PNSt15iterator_traitsISZ_E10value_typeET2_T3_PNS10_IS15_E10value_typeET4_jRbjT5_S1B_jjP12ihipStream_tbEUljE_ZNSN_ISO_Lb1ESQ_SR_SQ_SR_SV_EESW_SX_SY_SZ_S13_S14_S15_S18_S19_jS1A_jS1B_S1B_jjS1D_bEUljE0_EEESW_SX_SY_S15_S19_S1B_T6_T7_T9_mT8_S1D_bDpT10_ENKUlT_T0_E_clISt17integral_constantIbLb0EES1Q_IbLb1EEEEDaS1M_S1N_EUlS1M_E_NS1_11comp_targetILNS1_3genE5ELNS1_11target_archE942ELNS1_3gpuE9ELNS1_3repE0EEENS1_30default_config_static_selectorELNS0_4arch9wavefront6targetE0EEEvSZ_.uses_vcc, 0
	.set _ZN7rocprim17ROCPRIM_400000_NS6detail17trampoline_kernelINS0_13select_configILj256ELj13ELNS0_17block_load_methodE3ELS4_3ELS4_3ELNS0_20block_scan_algorithmE0ELj4294967295EEENS1_25partition_config_selectorILNS1_17partition_subalgoE4EjNS0_10empty_typeEbEEZZNS1_14partition_implILS8_4ELb0ES6_15HIP_vector_typeIjLj2EENS0_17counting_iteratorIjlEEPS9_SG_NS0_5tupleIJPjSI_NS0_16reverse_iteratorISI_EEEEENSH_IJSG_SG_SG_EEES9_SI_JZNS1_25segmented_radix_sort_implINS0_14default_configELb1EPKlPlSQ_SR_N2at6native12_GLOBAL__N_18offset_tEEE10hipError_tPvRmT1_PNSt15iterator_traitsISZ_E10value_typeET2_T3_PNS10_IS15_E10value_typeET4_jRbjT5_S1B_jjP12ihipStream_tbEUljE_ZNSN_ISO_Lb1ESQ_SR_SQ_SR_SV_EESW_SX_SY_SZ_S13_S14_S15_S18_S19_jS1A_jS1B_S1B_jjS1D_bEUljE0_EEESW_SX_SY_S15_S19_S1B_T6_T7_T9_mT8_S1D_bDpT10_ENKUlT_T0_E_clISt17integral_constantIbLb0EES1Q_IbLb1EEEEDaS1M_S1N_EUlS1M_E_NS1_11comp_targetILNS1_3genE5ELNS1_11target_archE942ELNS1_3gpuE9ELNS1_3repE0EEENS1_30default_config_static_selectorELNS0_4arch9wavefront6targetE0EEEvSZ_.uses_flat_scratch, 0
	.set _ZN7rocprim17ROCPRIM_400000_NS6detail17trampoline_kernelINS0_13select_configILj256ELj13ELNS0_17block_load_methodE3ELS4_3ELS4_3ELNS0_20block_scan_algorithmE0ELj4294967295EEENS1_25partition_config_selectorILNS1_17partition_subalgoE4EjNS0_10empty_typeEbEEZZNS1_14partition_implILS8_4ELb0ES6_15HIP_vector_typeIjLj2EENS0_17counting_iteratorIjlEEPS9_SG_NS0_5tupleIJPjSI_NS0_16reverse_iteratorISI_EEEEENSH_IJSG_SG_SG_EEES9_SI_JZNS1_25segmented_radix_sort_implINS0_14default_configELb1EPKlPlSQ_SR_N2at6native12_GLOBAL__N_18offset_tEEE10hipError_tPvRmT1_PNSt15iterator_traitsISZ_E10value_typeET2_T3_PNS10_IS15_E10value_typeET4_jRbjT5_S1B_jjP12ihipStream_tbEUljE_ZNSN_ISO_Lb1ESQ_SR_SQ_SR_SV_EESW_SX_SY_SZ_S13_S14_S15_S18_S19_jS1A_jS1B_S1B_jjS1D_bEUljE0_EEESW_SX_SY_S15_S19_S1B_T6_T7_T9_mT8_S1D_bDpT10_ENKUlT_T0_E_clISt17integral_constantIbLb0EES1Q_IbLb1EEEEDaS1M_S1N_EUlS1M_E_NS1_11comp_targetILNS1_3genE5ELNS1_11target_archE942ELNS1_3gpuE9ELNS1_3repE0EEENS1_30default_config_static_selectorELNS0_4arch9wavefront6targetE0EEEvSZ_.has_dyn_sized_stack, 0
	.set _ZN7rocprim17ROCPRIM_400000_NS6detail17trampoline_kernelINS0_13select_configILj256ELj13ELNS0_17block_load_methodE3ELS4_3ELS4_3ELNS0_20block_scan_algorithmE0ELj4294967295EEENS1_25partition_config_selectorILNS1_17partition_subalgoE4EjNS0_10empty_typeEbEEZZNS1_14partition_implILS8_4ELb0ES6_15HIP_vector_typeIjLj2EENS0_17counting_iteratorIjlEEPS9_SG_NS0_5tupleIJPjSI_NS0_16reverse_iteratorISI_EEEEENSH_IJSG_SG_SG_EEES9_SI_JZNS1_25segmented_radix_sort_implINS0_14default_configELb1EPKlPlSQ_SR_N2at6native12_GLOBAL__N_18offset_tEEE10hipError_tPvRmT1_PNSt15iterator_traitsISZ_E10value_typeET2_T3_PNS10_IS15_E10value_typeET4_jRbjT5_S1B_jjP12ihipStream_tbEUljE_ZNSN_ISO_Lb1ESQ_SR_SQ_SR_SV_EESW_SX_SY_SZ_S13_S14_S15_S18_S19_jS1A_jS1B_S1B_jjS1D_bEUljE0_EEESW_SX_SY_S15_S19_S1B_T6_T7_T9_mT8_S1D_bDpT10_ENKUlT_T0_E_clISt17integral_constantIbLb0EES1Q_IbLb1EEEEDaS1M_S1N_EUlS1M_E_NS1_11comp_targetILNS1_3genE5ELNS1_11target_archE942ELNS1_3gpuE9ELNS1_3repE0EEENS1_30default_config_static_selectorELNS0_4arch9wavefront6targetE0EEEvSZ_.has_recursion, 0
	.set _ZN7rocprim17ROCPRIM_400000_NS6detail17trampoline_kernelINS0_13select_configILj256ELj13ELNS0_17block_load_methodE3ELS4_3ELS4_3ELNS0_20block_scan_algorithmE0ELj4294967295EEENS1_25partition_config_selectorILNS1_17partition_subalgoE4EjNS0_10empty_typeEbEEZZNS1_14partition_implILS8_4ELb0ES6_15HIP_vector_typeIjLj2EENS0_17counting_iteratorIjlEEPS9_SG_NS0_5tupleIJPjSI_NS0_16reverse_iteratorISI_EEEEENSH_IJSG_SG_SG_EEES9_SI_JZNS1_25segmented_radix_sort_implINS0_14default_configELb1EPKlPlSQ_SR_N2at6native12_GLOBAL__N_18offset_tEEE10hipError_tPvRmT1_PNSt15iterator_traitsISZ_E10value_typeET2_T3_PNS10_IS15_E10value_typeET4_jRbjT5_S1B_jjP12ihipStream_tbEUljE_ZNSN_ISO_Lb1ESQ_SR_SQ_SR_SV_EESW_SX_SY_SZ_S13_S14_S15_S18_S19_jS1A_jS1B_S1B_jjS1D_bEUljE0_EEESW_SX_SY_S15_S19_S1B_T6_T7_T9_mT8_S1D_bDpT10_ENKUlT_T0_E_clISt17integral_constantIbLb0EES1Q_IbLb1EEEEDaS1M_S1N_EUlS1M_E_NS1_11comp_targetILNS1_3genE5ELNS1_11target_archE942ELNS1_3gpuE9ELNS1_3repE0EEENS1_30default_config_static_selectorELNS0_4arch9wavefront6targetE0EEEvSZ_.has_indirect_call, 0
	.section	.AMDGPU.csdata,"",@progbits
; Kernel info:
; codeLenInByte = 0
; TotalNumSgprs: 0
; NumVgprs: 0
; ScratchSize: 0
; MemoryBound: 0
; FloatMode: 240
; IeeeMode: 1
; LDSByteSize: 0 bytes/workgroup (compile time only)
; SGPRBlocks: 0
; VGPRBlocks: 0
; NumSGPRsForWavesPerEU: 1
; NumVGPRsForWavesPerEU: 1
; Occupancy: 16
; WaveLimiterHint : 0
; COMPUTE_PGM_RSRC2:SCRATCH_EN: 0
; COMPUTE_PGM_RSRC2:USER_SGPR: 2
; COMPUTE_PGM_RSRC2:TRAP_HANDLER: 0
; COMPUTE_PGM_RSRC2:TGID_X_EN: 1
; COMPUTE_PGM_RSRC2:TGID_Y_EN: 0
; COMPUTE_PGM_RSRC2:TGID_Z_EN: 0
; COMPUTE_PGM_RSRC2:TIDIG_COMP_CNT: 0
	.section	.text._ZN7rocprim17ROCPRIM_400000_NS6detail17trampoline_kernelINS0_13select_configILj256ELj13ELNS0_17block_load_methodE3ELS4_3ELS4_3ELNS0_20block_scan_algorithmE0ELj4294967295EEENS1_25partition_config_selectorILNS1_17partition_subalgoE4EjNS0_10empty_typeEbEEZZNS1_14partition_implILS8_4ELb0ES6_15HIP_vector_typeIjLj2EENS0_17counting_iteratorIjlEEPS9_SG_NS0_5tupleIJPjSI_NS0_16reverse_iteratorISI_EEEEENSH_IJSG_SG_SG_EEES9_SI_JZNS1_25segmented_radix_sort_implINS0_14default_configELb1EPKlPlSQ_SR_N2at6native12_GLOBAL__N_18offset_tEEE10hipError_tPvRmT1_PNSt15iterator_traitsISZ_E10value_typeET2_T3_PNS10_IS15_E10value_typeET4_jRbjT5_S1B_jjP12ihipStream_tbEUljE_ZNSN_ISO_Lb1ESQ_SR_SQ_SR_SV_EESW_SX_SY_SZ_S13_S14_S15_S18_S19_jS1A_jS1B_S1B_jjS1D_bEUljE0_EEESW_SX_SY_S15_S19_S1B_T6_T7_T9_mT8_S1D_bDpT10_ENKUlT_T0_E_clISt17integral_constantIbLb0EES1Q_IbLb1EEEEDaS1M_S1N_EUlS1M_E_NS1_11comp_targetILNS1_3genE4ELNS1_11target_archE910ELNS1_3gpuE8ELNS1_3repE0EEENS1_30default_config_static_selectorELNS0_4arch9wavefront6targetE0EEEvSZ_,"axG",@progbits,_ZN7rocprim17ROCPRIM_400000_NS6detail17trampoline_kernelINS0_13select_configILj256ELj13ELNS0_17block_load_methodE3ELS4_3ELS4_3ELNS0_20block_scan_algorithmE0ELj4294967295EEENS1_25partition_config_selectorILNS1_17partition_subalgoE4EjNS0_10empty_typeEbEEZZNS1_14partition_implILS8_4ELb0ES6_15HIP_vector_typeIjLj2EENS0_17counting_iteratorIjlEEPS9_SG_NS0_5tupleIJPjSI_NS0_16reverse_iteratorISI_EEEEENSH_IJSG_SG_SG_EEES9_SI_JZNS1_25segmented_radix_sort_implINS0_14default_configELb1EPKlPlSQ_SR_N2at6native12_GLOBAL__N_18offset_tEEE10hipError_tPvRmT1_PNSt15iterator_traitsISZ_E10value_typeET2_T3_PNS10_IS15_E10value_typeET4_jRbjT5_S1B_jjP12ihipStream_tbEUljE_ZNSN_ISO_Lb1ESQ_SR_SQ_SR_SV_EESW_SX_SY_SZ_S13_S14_S15_S18_S19_jS1A_jS1B_S1B_jjS1D_bEUljE0_EEESW_SX_SY_S15_S19_S1B_T6_T7_T9_mT8_S1D_bDpT10_ENKUlT_T0_E_clISt17integral_constantIbLb0EES1Q_IbLb1EEEEDaS1M_S1N_EUlS1M_E_NS1_11comp_targetILNS1_3genE4ELNS1_11target_archE910ELNS1_3gpuE8ELNS1_3repE0EEENS1_30default_config_static_selectorELNS0_4arch9wavefront6targetE0EEEvSZ_,comdat
	.globl	_ZN7rocprim17ROCPRIM_400000_NS6detail17trampoline_kernelINS0_13select_configILj256ELj13ELNS0_17block_load_methodE3ELS4_3ELS4_3ELNS0_20block_scan_algorithmE0ELj4294967295EEENS1_25partition_config_selectorILNS1_17partition_subalgoE4EjNS0_10empty_typeEbEEZZNS1_14partition_implILS8_4ELb0ES6_15HIP_vector_typeIjLj2EENS0_17counting_iteratorIjlEEPS9_SG_NS0_5tupleIJPjSI_NS0_16reverse_iteratorISI_EEEEENSH_IJSG_SG_SG_EEES9_SI_JZNS1_25segmented_radix_sort_implINS0_14default_configELb1EPKlPlSQ_SR_N2at6native12_GLOBAL__N_18offset_tEEE10hipError_tPvRmT1_PNSt15iterator_traitsISZ_E10value_typeET2_T3_PNS10_IS15_E10value_typeET4_jRbjT5_S1B_jjP12ihipStream_tbEUljE_ZNSN_ISO_Lb1ESQ_SR_SQ_SR_SV_EESW_SX_SY_SZ_S13_S14_S15_S18_S19_jS1A_jS1B_S1B_jjS1D_bEUljE0_EEESW_SX_SY_S15_S19_S1B_T6_T7_T9_mT8_S1D_bDpT10_ENKUlT_T0_E_clISt17integral_constantIbLb0EES1Q_IbLb1EEEEDaS1M_S1N_EUlS1M_E_NS1_11comp_targetILNS1_3genE4ELNS1_11target_archE910ELNS1_3gpuE8ELNS1_3repE0EEENS1_30default_config_static_selectorELNS0_4arch9wavefront6targetE0EEEvSZ_ ; -- Begin function _ZN7rocprim17ROCPRIM_400000_NS6detail17trampoline_kernelINS0_13select_configILj256ELj13ELNS0_17block_load_methodE3ELS4_3ELS4_3ELNS0_20block_scan_algorithmE0ELj4294967295EEENS1_25partition_config_selectorILNS1_17partition_subalgoE4EjNS0_10empty_typeEbEEZZNS1_14partition_implILS8_4ELb0ES6_15HIP_vector_typeIjLj2EENS0_17counting_iteratorIjlEEPS9_SG_NS0_5tupleIJPjSI_NS0_16reverse_iteratorISI_EEEEENSH_IJSG_SG_SG_EEES9_SI_JZNS1_25segmented_radix_sort_implINS0_14default_configELb1EPKlPlSQ_SR_N2at6native12_GLOBAL__N_18offset_tEEE10hipError_tPvRmT1_PNSt15iterator_traitsISZ_E10value_typeET2_T3_PNS10_IS15_E10value_typeET4_jRbjT5_S1B_jjP12ihipStream_tbEUljE_ZNSN_ISO_Lb1ESQ_SR_SQ_SR_SV_EESW_SX_SY_SZ_S13_S14_S15_S18_S19_jS1A_jS1B_S1B_jjS1D_bEUljE0_EEESW_SX_SY_S15_S19_S1B_T6_T7_T9_mT8_S1D_bDpT10_ENKUlT_T0_E_clISt17integral_constantIbLb0EES1Q_IbLb1EEEEDaS1M_S1N_EUlS1M_E_NS1_11comp_targetILNS1_3genE4ELNS1_11target_archE910ELNS1_3gpuE8ELNS1_3repE0EEENS1_30default_config_static_selectorELNS0_4arch9wavefront6targetE0EEEvSZ_
	.p2align	8
	.type	_ZN7rocprim17ROCPRIM_400000_NS6detail17trampoline_kernelINS0_13select_configILj256ELj13ELNS0_17block_load_methodE3ELS4_3ELS4_3ELNS0_20block_scan_algorithmE0ELj4294967295EEENS1_25partition_config_selectorILNS1_17partition_subalgoE4EjNS0_10empty_typeEbEEZZNS1_14partition_implILS8_4ELb0ES6_15HIP_vector_typeIjLj2EENS0_17counting_iteratorIjlEEPS9_SG_NS0_5tupleIJPjSI_NS0_16reverse_iteratorISI_EEEEENSH_IJSG_SG_SG_EEES9_SI_JZNS1_25segmented_radix_sort_implINS0_14default_configELb1EPKlPlSQ_SR_N2at6native12_GLOBAL__N_18offset_tEEE10hipError_tPvRmT1_PNSt15iterator_traitsISZ_E10value_typeET2_T3_PNS10_IS15_E10value_typeET4_jRbjT5_S1B_jjP12ihipStream_tbEUljE_ZNSN_ISO_Lb1ESQ_SR_SQ_SR_SV_EESW_SX_SY_SZ_S13_S14_S15_S18_S19_jS1A_jS1B_S1B_jjS1D_bEUljE0_EEESW_SX_SY_S15_S19_S1B_T6_T7_T9_mT8_S1D_bDpT10_ENKUlT_T0_E_clISt17integral_constantIbLb0EES1Q_IbLb1EEEEDaS1M_S1N_EUlS1M_E_NS1_11comp_targetILNS1_3genE4ELNS1_11target_archE910ELNS1_3gpuE8ELNS1_3repE0EEENS1_30default_config_static_selectorELNS0_4arch9wavefront6targetE0EEEvSZ_,@function
_ZN7rocprim17ROCPRIM_400000_NS6detail17trampoline_kernelINS0_13select_configILj256ELj13ELNS0_17block_load_methodE3ELS4_3ELS4_3ELNS0_20block_scan_algorithmE0ELj4294967295EEENS1_25partition_config_selectorILNS1_17partition_subalgoE4EjNS0_10empty_typeEbEEZZNS1_14partition_implILS8_4ELb0ES6_15HIP_vector_typeIjLj2EENS0_17counting_iteratorIjlEEPS9_SG_NS0_5tupleIJPjSI_NS0_16reverse_iteratorISI_EEEEENSH_IJSG_SG_SG_EEES9_SI_JZNS1_25segmented_radix_sort_implINS0_14default_configELb1EPKlPlSQ_SR_N2at6native12_GLOBAL__N_18offset_tEEE10hipError_tPvRmT1_PNSt15iterator_traitsISZ_E10value_typeET2_T3_PNS10_IS15_E10value_typeET4_jRbjT5_S1B_jjP12ihipStream_tbEUljE_ZNSN_ISO_Lb1ESQ_SR_SQ_SR_SV_EESW_SX_SY_SZ_S13_S14_S15_S18_S19_jS1A_jS1B_S1B_jjS1D_bEUljE0_EEESW_SX_SY_S15_S19_S1B_T6_T7_T9_mT8_S1D_bDpT10_ENKUlT_T0_E_clISt17integral_constantIbLb0EES1Q_IbLb1EEEEDaS1M_S1N_EUlS1M_E_NS1_11comp_targetILNS1_3genE4ELNS1_11target_archE910ELNS1_3gpuE8ELNS1_3repE0EEENS1_30default_config_static_selectorELNS0_4arch9wavefront6targetE0EEEvSZ_: ; @_ZN7rocprim17ROCPRIM_400000_NS6detail17trampoline_kernelINS0_13select_configILj256ELj13ELNS0_17block_load_methodE3ELS4_3ELS4_3ELNS0_20block_scan_algorithmE0ELj4294967295EEENS1_25partition_config_selectorILNS1_17partition_subalgoE4EjNS0_10empty_typeEbEEZZNS1_14partition_implILS8_4ELb0ES6_15HIP_vector_typeIjLj2EENS0_17counting_iteratorIjlEEPS9_SG_NS0_5tupleIJPjSI_NS0_16reverse_iteratorISI_EEEEENSH_IJSG_SG_SG_EEES9_SI_JZNS1_25segmented_radix_sort_implINS0_14default_configELb1EPKlPlSQ_SR_N2at6native12_GLOBAL__N_18offset_tEEE10hipError_tPvRmT1_PNSt15iterator_traitsISZ_E10value_typeET2_T3_PNS10_IS15_E10value_typeET4_jRbjT5_S1B_jjP12ihipStream_tbEUljE_ZNSN_ISO_Lb1ESQ_SR_SQ_SR_SV_EESW_SX_SY_SZ_S13_S14_S15_S18_S19_jS1A_jS1B_S1B_jjS1D_bEUljE0_EEESW_SX_SY_S15_S19_S1B_T6_T7_T9_mT8_S1D_bDpT10_ENKUlT_T0_E_clISt17integral_constantIbLb0EES1Q_IbLb1EEEEDaS1M_S1N_EUlS1M_E_NS1_11comp_targetILNS1_3genE4ELNS1_11target_archE910ELNS1_3gpuE8ELNS1_3repE0EEENS1_30default_config_static_selectorELNS0_4arch9wavefront6targetE0EEEvSZ_
; %bb.0:
	.section	.rodata,"a",@progbits
	.p2align	6, 0x0
	.amdhsa_kernel _ZN7rocprim17ROCPRIM_400000_NS6detail17trampoline_kernelINS0_13select_configILj256ELj13ELNS0_17block_load_methodE3ELS4_3ELS4_3ELNS0_20block_scan_algorithmE0ELj4294967295EEENS1_25partition_config_selectorILNS1_17partition_subalgoE4EjNS0_10empty_typeEbEEZZNS1_14partition_implILS8_4ELb0ES6_15HIP_vector_typeIjLj2EENS0_17counting_iteratorIjlEEPS9_SG_NS0_5tupleIJPjSI_NS0_16reverse_iteratorISI_EEEEENSH_IJSG_SG_SG_EEES9_SI_JZNS1_25segmented_radix_sort_implINS0_14default_configELb1EPKlPlSQ_SR_N2at6native12_GLOBAL__N_18offset_tEEE10hipError_tPvRmT1_PNSt15iterator_traitsISZ_E10value_typeET2_T3_PNS10_IS15_E10value_typeET4_jRbjT5_S1B_jjP12ihipStream_tbEUljE_ZNSN_ISO_Lb1ESQ_SR_SQ_SR_SV_EESW_SX_SY_SZ_S13_S14_S15_S18_S19_jS1A_jS1B_S1B_jjS1D_bEUljE0_EEESW_SX_SY_S15_S19_S1B_T6_T7_T9_mT8_S1D_bDpT10_ENKUlT_T0_E_clISt17integral_constantIbLb0EES1Q_IbLb1EEEEDaS1M_S1N_EUlS1M_E_NS1_11comp_targetILNS1_3genE4ELNS1_11target_archE910ELNS1_3gpuE8ELNS1_3repE0EEENS1_30default_config_static_selectorELNS0_4arch9wavefront6targetE0EEEvSZ_
		.amdhsa_group_segment_fixed_size 0
		.amdhsa_private_segment_fixed_size 0
		.amdhsa_kernarg_size 184
		.amdhsa_user_sgpr_count 2
		.amdhsa_user_sgpr_dispatch_ptr 0
		.amdhsa_user_sgpr_queue_ptr 0
		.amdhsa_user_sgpr_kernarg_segment_ptr 1
		.amdhsa_user_sgpr_dispatch_id 0
		.amdhsa_user_sgpr_private_segment_size 0
		.amdhsa_wavefront_size32 1
		.amdhsa_uses_dynamic_stack 0
		.amdhsa_enable_private_segment 0
		.amdhsa_system_sgpr_workgroup_id_x 1
		.amdhsa_system_sgpr_workgroup_id_y 0
		.amdhsa_system_sgpr_workgroup_id_z 0
		.amdhsa_system_sgpr_workgroup_info 0
		.amdhsa_system_vgpr_workitem_id 0
		.amdhsa_next_free_vgpr 1
		.amdhsa_next_free_sgpr 1
		.amdhsa_reserve_vcc 0
		.amdhsa_float_round_mode_32 0
		.amdhsa_float_round_mode_16_64 0
		.amdhsa_float_denorm_mode_32 3
		.amdhsa_float_denorm_mode_16_64 3
		.amdhsa_fp16_overflow 0
		.amdhsa_workgroup_processor_mode 1
		.amdhsa_memory_ordered 1
		.amdhsa_forward_progress 1
		.amdhsa_inst_pref_size 0
		.amdhsa_round_robin_scheduling 0
		.amdhsa_exception_fp_ieee_invalid_op 0
		.amdhsa_exception_fp_denorm_src 0
		.amdhsa_exception_fp_ieee_div_zero 0
		.amdhsa_exception_fp_ieee_overflow 0
		.amdhsa_exception_fp_ieee_underflow 0
		.amdhsa_exception_fp_ieee_inexact 0
		.amdhsa_exception_int_div_zero 0
	.end_amdhsa_kernel
	.section	.text._ZN7rocprim17ROCPRIM_400000_NS6detail17trampoline_kernelINS0_13select_configILj256ELj13ELNS0_17block_load_methodE3ELS4_3ELS4_3ELNS0_20block_scan_algorithmE0ELj4294967295EEENS1_25partition_config_selectorILNS1_17partition_subalgoE4EjNS0_10empty_typeEbEEZZNS1_14partition_implILS8_4ELb0ES6_15HIP_vector_typeIjLj2EENS0_17counting_iteratorIjlEEPS9_SG_NS0_5tupleIJPjSI_NS0_16reverse_iteratorISI_EEEEENSH_IJSG_SG_SG_EEES9_SI_JZNS1_25segmented_radix_sort_implINS0_14default_configELb1EPKlPlSQ_SR_N2at6native12_GLOBAL__N_18offset_tEEE10hipError_tPvRmT1_PNSt15iterator_traitsISZ_E10value_typeET2_T3_PNS10_IS15_E10value_typeET4_jRbjT5_S1B_jjP12ihipStream_tbEUljE_ZNSN_ISO_Lb1ESQ_SR_SQ_SR_SV_EESW_SX_SY_SZ_S13_S14_S15_S18_S19_jS1A_jS1B_S1B_jjS1D_bEUljE0_EEESW_SX_SY_S15_S19_S1B_T6_T7_T9_mT8_S1D_bDpT10_ENKUlT_T0_E_clISt17integral_constantIbLb0EES1Q_IbLb1EEEEDaS1M_S1N_EUlS1M_E_NS1_11comp_targetILNS1_3genE4ELNS1_11target_archE910ELNS1_3gpuE8ELNS1_3repE0EEENS1_30default_config_static_selectorELNS0_4arch9wavefront6targetE0EEEvSZ_,"axG",@progbits,_ZN7rocprim17ROCPRIM_400000_NS6detail17trampoline_kernelINS0_13select_configILj256ELj13ELNS0_17block_load_methodE3ELS4_3ELS4_3ELNS0_20block_scan_algorithmE0ELj4294967295EEENS1_25partition_config_selectorILNS1_17partition_subalgoE4EjNS0_10empty_typeEbEEZZNS1_14partition_implILS8_4ELb0ES6_15HIP_vector_typeIjLj2EENS0_17counting_iteratorIjlEEPS9_SG_NS0_5tupleIJPjSI_NS0_16reverse_iteratorISI_EEEEENSH_IJSG_SG_SG_EEES9_SI_JZNS1_25segmented_radix_sort_implINS0_14default_configELb1EPKlPlSQ_SR_N2at6native12_GLOBAL__N_18offset_tEEE10hipError_tPvRmT1_PNSt15iterator_traitsISZ_E10value_typeET2_T3_PNS10_IS15_E10value_typeET4_jRbjT5_S1B_jjP12ihipStream_tbEUljE_ZNSN_ISO_Lb1ESQ_SR_SQ_SR_SV_EESW_SX_SY_SZ_S13_S14_S15_S18_S19_jS1A_jS1B_S1B_jjS1D_bEUljE0_EEESW_SX_SY_S15_S19_S1B_T6_T7_T9_mT8_S1D_bDpT10_ENKUlT_T0_E_clISt17integral_constantIbLb0EES1Q_IbLb1EEEEDaS1M_S1N_EUlS1M_E_NS1_11comp_targetILNS1_3genE4ELNS1_11target_archE910ELNS1_3gpuE8ELNS1_3repE0EEENS1_30default_config_static_selectorELNS0_4arch9wavefront6targetE0EEEvSZ_,comdat
.Lfunc_end666:
	.size	_ZN7rocprim17ROCPRIM_400000_NS6detail17trampoline_kernelINS0_13select_configILj256ELj13ELNS0_17block_load_methodE3ELS4_3ELS4_3ELNS0_20block_scan_algorithmE0ELj4294967295EEENS1_25partition_config_selectorILNS1_17partition_subalgoE4EjNS0_10empty_typeEbEEZZNS1_14partition_implILS8_4ELb0ES6_15HIP_vector_typeIjLj2EENS0_17counting_iteratorIjlEEPS9_SG_NS0_5tupleIJPjSI_NS0_16reverse_iteratorISI_EEEEENSH_IJSG_SG_SG_EEES9_SI_JZNS1_25segmented_radix_sort_implINS0_14default_configELb1EPKlPlSQ_SR_N2at6native12_GLOBAL__N_18offset_tEEE10hipError_tPvRmT1_PNSt15iterator_traitsISZ_E10value_typeET2_T3_PNS10_IS15_E10value_typeET4_jRbjT5_S1B_jjP12ihipStream_tbEUljE_ZNSN_ISO_Lb1ESQ_SR_SQ_SR_SV_EESW_SX_SY_SZ_S13_S14_S15_S18_S19_jS1A_jS1B_S1B_jjS1D_bEUljE0_EEESW_SX_SY_S15_S19_S1B_T6_T7_T9_mT8_S1D_bDpT10_ENKUlT_T0_E_clISt17integral_constantIbLb0EES1Q_IbLb1EEEEDaS1M_S1N_EUlS1M_E_NS1_11comp_targetILNS1_3genE4ELNS1_11target_archE910ELNS1_3gpuE8ELNS1_3repE0EEENS1_30default_config_static_selectorELNS0_4arch9wavefront6targetE0EEEvSZ_, .Lfunc_end666-_ZN7rocprim17ROCPRIM_400000_NS6detail17trampoline_kernelINS0_13select_configILj256ELj13ELNS0_17block_load_methodE3ELS4_3ELS4_3ELNS0_20block_scan_algorithmE0ELj4294967295EEENS1_25partition_config_selectorILNS1_17partition_subalgoE4EjNS0_10empty_typeEbEEZZNS1_14partition_implILS8_4ELb0ES6_15HIP_vector_typeIjLj2EENS0_17counting_iteratorIjlEEPS9_SG_NS0_5tupleIJPjSI_NS0_16reverse_iteratorISI_EEEEENSH_IJSG_SG_SG_EEES9_SI_JZNS1_25segmented_radix_sort_implINS0_14default_configELb1EPKlPlSQ_SR_N2at6native12_GLOBAL__N_18offset_tEEE10hipError_tPvRmT1_PNSt15iterator_traitsISZ_E10value_typeET2_T3_PNS10_IS15_E10value_typeET4_jRbjT5_S1B_jjP12ihipStream_tbEUljE_ZNSN_ISO_Lb1ESQ_SR_SQ_SR_SV_EESW_SX_SY_SZ_S13_S14_S15_S18_S19_jS1A_jS1B_S1B_jjS1D_bEUljE0_EEESW_SX_SY_S15_S19_S1B_T6_T7_T9_mT8_S1D_bDpT10_ENKUlT_T0_E_clISt17integral_constantIbLb0EES1Q_IbLb1EEEEDaS1M_S1N_EUlS1M_E_NS1_11comp_targetILNS1_3genE4ELNS1_11target_archE910ELNS1_3gpuE8ELNS1_3repE0EEENS1_30default_config_static_selectorELNS0_4arch9wavefront6targetE0EEEvSZ_
                                        ; -- End function
	.set _ZN7rocprim17ROCPRIM_400000_NS6detail17trampoline_kernelINS0_13select_configILj256ELj13ELNS0_17block_load_methodE3ELS4_3ELS4_3ELNS0_20block_scan_algorithmE0ELj4294967295EEENS1_25partition_config_selectorILNS1_17partition_subalgoE4EjNS0_10empty_typeEbEEZZNS1_14partition_implILS8_4ELb0ES6_15HIP_vector_typeIjLj2EENS0_17counting_iteratorIjlEEPS9_SG_NS0_5tupleIJPjSI_NS0_16reverse_iteratorISI_EEEEENSH_IJSG_SG_SG_EEES9_SI_JZNS1_25segmented_radix_sort_implINS0_14default_configELb1EPKlPlSQ_SR_N2at6native12_GLOBAL__N_18offset_tEEE10hipError_tPvRmT1_PNSt15iterator_traitsISZ_E10value_typeET2_T3_PNS10_IS15_E10value_typeET4_jRbjT5_S1B_jjP12ihipStream_tbEUljE_ZNSN_ISO_Lb1ESQ_SR_SQ_SR_SV_EESW_SX_SY_SZ_S13_S14_S15_S18_S19_jS1A_jS1B_S1B_jjS1D_bEUljE0_EEESW_SX_SY_S15_S19_S1B_T6_T7_T9_mT8_S1D_bDpT10_ENKUlT_T0_E_clISt17integral_constantIbLb0EES1Q_IbLb1EEEEDaS1M_S1N_EUlS1M_E_NS1_11comp_targetILNS1_3genE4ELNS1_11target_archE910ELNS1_3gpuE8ELNS1_3repE0EEENS1_30default_config_static_selectorELNS0_4arch9wavefront6targetE0EEEvSZ_.num_vgpr, 0
	.set _ZN7rocprim17ROCPRIM_400000_NS6detail17trampoline_kernelINS0_13select_configILj256ELj13ELNS0_17block_load_methodE3ELS4_3ELS4_3ELNS0_20block_scan_algorithmE0ELj4294967295EEENS1_25partition_config_selectorILNS1_17partition_subalgoE4EjNS0_10empty_typeEbEEZZNS1_14partition_implILS8_4ELb0ES6_15HIP_vector_typeIjLj2EENS0_17counting_iteratorIjlEEPS9_SG_NS0_5tupleIJPjSI_NS0_16reverse_iteratorISI_EEEEENSH_IJSG_SG_SG_EEES9_SI_JZNS1_25segmented_radix_sort_implINS0_14default_configELb1EPKlPlSQ_SR_N2at6native12_GLOBAL__N_18offset_tEEE10hipError_tPvRmT1_PNSt15iterator_traitsISZ_E10value_typeET2_T3_PNS10_IS15_E10value_typeET4_jRbjT5_S1B_jjP12ihipStream_tbEUljE_ZNSN_ISO_Lb1ESQ_SR_SQ_SR_SV_EESW_SX_SY_SZ_S13_S14_S15_S18_S19_jS1A_jS1B_S1B_jjS1D_bEUljE0_EEESW_SX_SY_S15_S19_S1B_T6_T7_T9_mT8_S1D_bDpT10_ENKUlT_T0_E_clISt17integral_constantIbLb0EES1Q_IbLb1EEEEDaS1M_S1N_EUlS1M_E_NS1_11comp_targetILNS1_3genE4ELNS1_11target_archE910ELNS1_3gpuE8ELNS1_3repE0EEENS1_30default_config_static_selectorELNS0_4arch9wavefront6targetE0EEEvSZ_.num_agpr, 0
	.set _ZN7rocprim17ROCPRIM_400000_NS6detail17trampoline_kernelINS0_13select_configILj256ELj13ELNS0_17block_load_methodE3ELS4_3ELS4_3ELNS0_20block_scan_algorithmE0ELj4294967295EEENS1_25partition_config_selectorILNS1_17partition_subalgoE4EjNS0_10empty_typeEbEEZZNS1_14partition_implILS8_4ELb0ES6_15HIP_vector_typeIjLj2EENS0_17counting_iteratorIjlEEPS9_SG_NS0_5tupleIJPjSI_NS0_16reverse_iteratorISI_EEEEENSH_IJSG_SG_SG_EEES9_SI_JZNS1_25segmented_radix_sort_implINS0_14default_configELb1EPKlPlSQ_SR_N2at6native12_GLOBAL__N_18offset_tEEE10hipError_tPvRmT1_PNSt15iterator_traitsISZ_E10value_typeET2_T3_PNS10_IS15_E10value_typeET4_jRbjT5_S1B_jjP12ihipStream_tbEUljE_ZNSN_ISO_Lb1ESQ_SR_SQ_SR_SV_EESW_SX_SY_SZ_S13_S14_S15_S18_S19_jS1A_jS1B_S1B_jjS1D_bEUljE0_EEESW_SX_SY_S15_S19_S1B_T6_T7_T9_mT8_S1D_bDpT10_ENKUlT_T0_E_clISt17integral_constantIbLb0EES1Q_IbLb1EEEEDaS1M_S1N_EUlS1M_E_NS1_11comp_targetILNS1_3genE4ELNS1_11target_archE910ELNS1_3gpuE8ELNS1_3repE0EEENS1_30default_config_static_selectorELNS0_4arch9wavefront6targetE0EEEvSZ_.numbered_sgpr, 0
	.set _ZN7rocprim17ROCPRIM_400000_NS6detail17trampoline_kernelINS0_13select_configILj256ELj13ELNS0_17block_load_methodE3ELS4_3ELS4_3ELNS0_20block_scan_algorithmE0ELj4294967295EEENS1_25partition_config_selectorILNS1_17partition_subalgoE4EjNS0_10empty_typeEbEEZZNS1_14partition_implILS8_4ELb0ES6_15HIP_vector_typeIjLj2EENS0_17counting_iteratorIjlEEPS9_SG_NS0_5tupleIJPjSI_NS0_16reverse_iteratorISI_EEEEENSH_IJSG_SG_SG_EEES9_SI_JZNS1_25segmented_radix_sort_implINS0_14default_configELb1EPKlPlSQ_SR_N2at6native12_GLOBAL__N_18offset_tEEE10hipError_tPvRmT1_PNSt15iterator_traitsISZ_E10value_typeET2_T3_PNS10_IS15_E10value_typeET4_jRbjT5_S1B_jjP12ihipStream_tbEUljE_ZNSN_ISO_Lb1ESQ_SR_SQ_SR_SV_EESW_SX_SY_SZ_S13_S14_S15_S18_S19_jS1A_jS1B_S1B_jjS1D_bEUljE0_EEESW_SX_SY_S15_S19_S1B_T6_T7_T9_mT8_S1D_bDpT10_ENKUlT_T0_E_clISt17integral_constantIbLb0EES1Q_IbLb1EEEEDaS1M_S1N_EUlS1M_E_NS1_11comp_targetILNS1_3genE4ELNS1_11target_archE910ELNS1_3gpuE8ELNS1_3repE0EEENS1_30default_config_static_selectorELNS0_4arch9wavefront6targetE0EEEvSZ_.num_named_barrier, 0
	.set _ZN7rocprim17ROCPRIM_400000_NS6detail17trampoline_kernelINS0_13select_configILj256ELj13ELNS0_17block_load_methodE3ELS4_3ELS4_3ELNS0_20block_scan_algorithmE0ELj4294967295EEENS1_25partition_config_selectorILNS1_17partition_subalgoE4EjNS0_10empty_typeEbEEZZNS1_14partition_implILS8_4ELb0ES6_15HIP_vector_typeIjLj2EENS0_17counting_iteratorIjlEEPS9_SG_NS0_5tupleIJPjSI_NS0_16reverse_iteratorISI_EEEEENSH_IJSG_SG_SG_EEES9_SI_JZNS1_25segmented_radix_sort_implINS0_14default_configELb1EPKlPlSQ_SR_N2at6native12_GLOBAL__N_18offset_tEEE10hipError_tPvRmT1_PNSt15iterator_traitsISZ_E10value_typeET2_T3_PNS10_IS15_E10value_typeET4_jRbjT5_S1B_jjP12ihipStream_tbEUljE_ZNSN_ISO_Lb1ESQ_SR_SQ_SR_SV_EESW_SX_SY_SZ_S13_S14_S15_S18_S19_jS1A_jS1B_S1B_jjS1D_bEUljE0_EEESW_SX_SY_S15_S19_S1B_T6_T7_T9_mT8_S1D_bDpT10_ENKUlT_T0_E_clISt17integral_constantIbLb0EES1Q_IbLb1EEEEDaS1M_S1N_EUlS1M_E_NS1_11comp_targetILNS1_3genE4ELNS1_11target_archE910ELNS1_3gpuE8ELNS1_3repE0EEENS1_30default_config_static_selectorELNS0_4arch9wavefront6targetE0EEEvSZ_.private_seg_size, 0
	.set _ZN7rocprim17ROCPRIM_400000_NS6detail17trampoline_kernelINS0_13select_configILj256ELj13ELNS0_17block_load_methodE3ELS4_3ELS4_3ELNS0_20block_scan_algorithmE0ELj4294967295EEENS1_25partition_config_selectorILNS1_17partition_subalgoE4EjNS0_10empty_typeEbEEZZNS1_14partition_implILS8_4ELb0ES6_15HIP_vector_typeIjLj2EENS0_17counting_iteratorIjlEEPS9_SG_NS0_5tupleIJPjSI_NS0_16reverse_iteratorISI_EEEEENSH_IJSG_SG_SG_EEES9_SI_JZNS1_25segmented_radix_sort_implINS0_14default_configELb1EPKlPlSQ_SR_N2at6native12_GLOBAL__N_18offset_tEEE10hipError_tPvRmT1_PNSt15iterator_traitsISZ_E10value_typeET2_T3_PNS10_IS15_E10value_typeET4_jRbjT5_S1B_jjP12ihipStream_tbEUljE_ZNSN_ISO_Lb1ESQ_SR_SQ_SR_SV_EESW_SX_SY_SZ_S13_S14_S15_S18_S19_jS1A_jS1B_S1B_jjS1D_bEUljE0_EEESW_SX_SY_S15_S19_S1B_T6_T7_T9_mT8_S1D_bDpT10_ENKUlT_T0_E_clISt17integral_constantIbLb0EES1Q_IbLb1EEEEDaS1M_S1N_EUlS1M_E_NS1_11comp_targetILNS1_3genE4ELNS1_11target_archE910ELNS1_3gpuE8ELNS1_3repE0EEENS1_30default_config_static_selectorELNS0_4arch9wavefront6targetE0EEEvSZ_.uses_vcc, 0
	.set _ZN7rocprim17ROCPRIM_400000_NS6detail17trampoline_kernelINS0_13select_configILj256ELj13ELNS0_17block_load_methodE3ELS4_3ELS4_3ELNS0_20block_scan_algorithmE0ELj4294967295EEENS1_25partition_config_selectorILNS1_17partition_subalgoE4EjNS0_10empty_typeEbEEZZNS1_14partition_implILS8_4ELb0ES6_15HIP_vector_typeIjLj2EENS0_17counting_iteratorIjlEEPS9_SG_NS0_5tupleIJPjSI_NS0_16reverse_iteratorISI_EEEEENSH_IJSG_SG_SG_EEES9_SI_JZNS1_25segmented_radix_sort_implINS0_14default_configELb1EPKlPlSQ_SR_N2at6native12_GLOBAL__N_18offset_tEEE10hipError_tPvRmT1_PNSt15iterator_traitsISZ_E10value_typeET2_T3_PNS10_IS15_E10value_typeET4_jRbjT5_S1B_jjP12ihipStream_tbEUljE_ZNSN_ISO_Lb1ESQ_SR_SQ_SR_SV_EESW_SX_SY_SZ_S13_S14_S15_S18_S19_jS1A_jS1B_S1B_jjS1D_bEUljE0_EEESW_SX_SY_S15_S19_S1B_T6_T7_T9_mT8_S1D_bDpT10_ENKUlT_T0_E_clISt17integral_constantIbLb0EES1Q_IbLb1EEEEDaS1M_S1N_EUlS1M_E_NS1_11comp_targetILNS1_3genE4ELNS1_11target_archE910ELNS1_3gpuE8ELNS1_3repE0EEENS1_30default_config_static_selectorELNS0_4arch9wavefront6targetE0EEEvSZ_.uses_flat_scratch, 0
	.set _ZN7rocprim17ROCPRIM_400000_NS6detail17trampoline_kernelINS0_13select_configILj256ELj13ELNS0_17block_load_methodE3ELS4_3ELS4_3ELNS0_20block_scan_algorithmE0ELj4294967295EEENS1_25partition_config_selectorILNS1_17partition_subalgoE4EjNS0_10empty_typeEbEEZZNS1_14partition_implILS8_4ELb0ES6_15HIP_vector_typeIjLj2EENS0_17counting_iteratorIjlEEPS9_SG_NS0_5tupleIJPjSI_NS0_16reverse_iteratorISI_EEEEENSH_IJSG_SG_SG_EEES9_SI_JZNS1_25segmented_radix_sort_implINS0_14default_configELb1EPKlPlSQ_SR_N2at6native12_GLOBAL__N_18offset_tEEE10hipError_tPvRmT1_PNSt15iterator_traitsISZ_E10value_typeET2_T3_PNS10_IS15_E10value_typeET4_jRbjT5_S1B_jjP12ihipStream_tbEUljE_ZNSN_ISO_Lb1ESQ_SR_SQ_SR_SV_EESW_SX_SY_SZ_S13_S14_S15_S18_S19_jS1A_jS1B_S1B_jjS1D_bEUljE0_EEESW_SX_SY_S15_S19_S1B_T6_T7_T9_mT8_S1D_bDpT10_ENKUlT_T0_E_clISt17integral_constantIbLb0EES1Q_IbLb1EEEEDaS1M_S1N_EUlS1M_E_NS1_11comp_targetILNS1_3genE4ELNS1_11target_archE910ELNS1_3gpuE8ELNS1_3repE0EEENS1_30default_config_static_selectorELNS0_4arch9wavefront6targetE0EEEvSZ_.has_dyn_sized_stack, 0
	.set _ZN7rocprim17ROCPRIM_400000_NS6detail17trampoline_kernelINS0_13select_configILj256ELj13ELNS0_17block_load_methodE3ELS4_3ELS4_3ELNS0_20block_scan_algorithmE0ELj4294967295EEENS1_25partition_config_selectorILNS1_17partition_subalgoE4EjNS0_10empty_typeEbEEZZNS1_14partition_implILS8_4ELb0ES6_15HIP_vector_typeIjLj2EENS0_17counting_iteratorIjlEEPS9_SG_NS0_5tupleIJPjSI_NS0_16reverse_iteratorISI_EEEEENSH_IJSG_SG_SG_EEES9_SI_JZNS1_25segmented_radix_sort_implINS0_14default_configELb1EPKlPlSQ_SR_N2at6native12_GLOBAL__N_18offset_tEEE10hipError_tPvRmT1_PNSt15iterator_traitsISZ_E10value_typeET2_T3_PNS10_IS15_E10value_typeET4_jRbjT5_S1B_jjP12ihipStream_tbEUljE_ZNSN_ISO_Lb1ESQ_SR_SQ_SR_SV_EESW_SX_SY_SZ_S13_S14_S15_S18_S19_jS1A_jS1B_S1B_jjS1D_bEUljE0_EEESW_SX_SY_S15_S19_S1B_T6_T7_T9_mT8_S1D_bDpT10_ENKUlT_T0_E_clISt17integral_constantIbLb0EES1Q_IbLb1EEEEDaS1M_S1N_EUlS1M_E_NS1_11comp_targetILNS1_3genE4ELNS1_11target_archE910ELNS1_3gpuE8ELNS1_3repE0EEENS1_30default_config_static_selectorELNS0_4arch9wavefront6targetE0EEEvSZ_.has_recursion, 0
	.set _ZN7rocprim17ROCPRIM_400000_NS6detail17trampoline_kernelINS0_13select_configILj256ELj13ELNS0_17block_load_methodE3ELS4_3ELS4_3ELNS0_20block_scan_algorithmE0ELj4294967295EEENS1_25partition_config_selectorILNS1_17partition_subalgoE4EjNS0_10empty_typeEbEEZZNS1_14partition_implILS8_4ELb0ES6_15HIP_vector_typeIjLj2EENS0_17counting_iteratorIjlEEPS9_SG_NS0_5tupleIJPjSI_NS0_16reverse_iteratorISI_EEEEENSH_IJSG_SG_SG_EEES9_SI_JZNS1_25segmented_radix_sort_implINS0_14default_configELb1EPKlPlSQ_SR_N2at6native12_GLOBAL__N_18offset_tEEE10hipError_tPvRmT1_PNSt15iterator_traitsISZ_E10value_typeET2_T3_PNS10_IS15_E10value_typeET4_jRbjT5_S1B_jjP12ihipStream_tbEUljE_ZNSN_ISO_Lb1ESQ_SR_SQ_SR_SV_EESW_SX_SY_SZ_S13_S14_S15_S18_S19_jS1A_jS1B_S1B_jjS1D_bEUljE0_EEESW_SX_SY_S15_S19_S1B_T6_T7_T9_mT8_S1D_bDpT10_ENKUlT_T0_E_clISt17integral_constantIbLb0EES1Q_IbLb1EEEEDaS1M_S1N_EUlS1M_E_NS1_11comp_targetILNS1_3genE4ELNS1_11target_archE910ELNS1_3gpuE8ELNS1_3repE0EEENS1_30default_config_static_selectorELNS0_4arch9wavefront6targetE0EEEvSZ_.has_indirect_call, 0
	.section	.AMDGPU.csdata,"",@progbits
; Kernel info:
; codeLenInByte = 0
; TotalNumSgprs: 0
; NumVgprs: 0
; ScratchSize: 0
; MemoryBound: 0
; FloatMode: 240
; IeeeMode: 1
; LDSByteSize: 0 bytes/workgroup (compile time only)
; SGPRBlocks: 0
; VGPRBlocks: 0
; NumSGPRsForWavesPerEU: 1
; NumVGPRsForWavesPerEU: 1
; Occupancy: 16
; WaveLimiterHint : 0
; COMPUTE_PGM_RSRC2:SCRATCH_EN: 0
; COMPUTE_PGM_RSRC2:USER_SGPR: 2
; COMPUTE_PGM_RSRC2:TRAP_HANDLER: 0
; COMPUTE_PGM_RSRC2:TGID_X_EN: 1
; COMPUTE_PGM_RSRC2:TGID_Y_EN: 0
; COMPUTE_PGM_RSRC2:TGID_Z_EN: 0
; COMPUTE_PGM_RSRC2:TIDIG_COMP_CNT: 0
	.section	.text._ZN7rocprim17ROCPRIM_400000_NS6detail17trampoline_kernelINS0_13select_configILj256ELj13ELNS0_17block_load_methodE3ELS4_3ELS4_3ELNS0_20block_scan_algorithmE0ELj4294967295EEENS1_25partition_config_selectorILNS1_17partition_subalgoE4EjNS0_10empty_typeEbEEZZNS1_14partition_implILS8_4ELb0ES6_15HIP_vector_typeIjLj2EENS0_17counting_iteratorIjlEEPS9_SG_NS0_5tupleIJPjSI_NS0_16reverse_iteratorISI_EEEEENSH_IJSG_SG_SG_EEES9_SI_JZNS1_25segmented_radix_sort_implINS0_14default_configELb1EPKlPlSQ_SR_N2at6native12_GLOBAL__N_18offset_tEEE10hipError_tPvRmT1_PNSt15iterator_traitsISZ_E10value_typeET2_T3_PNS10_IS15_E10value_typeET4_jRbjT5_S1B_jjP12ihipStream_tbEUljE_ZNSN_ISO_Lb1ESQ_SR_SQ_SR_SV_EESW_SX_SY_SZ_S13_S14_S15_S18_S19_jS1A_jS1B_S1B_jjS1D_bEUljE0_EEESW_SX_SY_S15_S19_S1B_T6_T7_T9_mT8_S1D_bDpT10_ENKUlT_T0_E_clISt17integral_constantIbLb0EES1Q_IbLb1EEEEDaS1M_S1N_EUlS1M_E_NS1_11comp_targetILNS1_3genE3ELNS1_11target_archE908ELNS1_3gpuE7ELNS1_3repE0EEENS1_30default_config_static_selectorELNS0_4arch9wavefront6targetE0EEEvSZ_,"axG",@progbits,_ZN7rocprim17ROCPRIM_400000_NS6detail17trampoline_kernelINS0_13select_configILj256ELj13ELNS0_17block_load_methodE3ELS4_3ELS4_3ELNS0_20block_scan_algorithmE0ELj4294967295EEENS1_25partition_config_selectorILNS1_17partition_subalgoE4EjNS0_10empty_typeEbEEZZNS1_14partition_implILS8_4ELb0ES6_15HIP_vector_typeIjLj2EENS0_17counting_iteratorIjlEEPS9_SG_NS0_5tupleIJPjSI_NS0_16reverse_iteratorISI_EEEEENSH_IJSG_SG_SG_EEES9_SI_JZNS1_25segmented_radix_sort_implINS0_14default_configELb1EPKlPlSQ_SR_N2at6native12_GLOBAL__N_18offset_tEEE10hipError_tPvRmT1_PNSt15iterator_traitsISZ_E10value_typeET2_T3_PNS10_IS15_E10value_typeET4_jRbjT5_S1B_jjP12ihipStream_tbEUljE_ZNSN_ISO_Lb1ESQ_SR_SQ_SR_SV_EESW_SX_SY_SZ_S13_S14_S15_S18_S19_jS1A_jS1B_S1B_jjS1D_bEUljE0_EEESW_SX_SY_S15_S19_S1B_T6_T7_T9_mT8_S1D_bDpT10_ENKUlT_T0_E_clISt17integral_constantIbLb0EES1Q_IbLb1EEEEDaS1M_S1N_EUlS1M_E_NS1_11comp_targetILNS1_3genE3ELNS1_11target_archE908ELNS1_3gpuE7ELNS1_3repE0EEENS1_30default_config_static_selectorELNS0_4arch9wavefront6targetE0EEEvSZ_,comdat
	.globl	_ZN7rocprim17ROCPRIM_400000_NS6detail17trampoline_kernelINS0_13select_configILj256ELj13ELNS0_17block_load_methodE3ELS4_3ELS4_3ELNS0_20block_scan_algorithmE0ELj4294967295EEENS1_25partition_config_selectorILNS1_17partition_subalgoE4EjNS0_10empty_typeEbEEZZNS1_14partition_implILS8_4ELb0ES6_15HIP_vector_typeIjLj2EENS0_17counting_iteratorIjlEEPS9_SG_NS0_5tupleIJPjSI_NS0_16reverse_iteratorISI_EEEEENSH_IJSG_SG_SG_EEES9_SI_JZNS1_25segmented_radix_sort_implINS0_14default_configELb1EPKlPlSQ_SR_N2at6native12_GLOBAL__N_18offset_tEEE10hipError_tPvRmT1_PNSt15iterator_traitsISZ_E10value_typeET2_T3_PNS10_IS15_E10value_typeET4_jRbjT5_S1B_jjP12ihipStream_tbEUljE_ZNSN_ISO_Lb1ESQ_SR_SQ_SR_SV_EESW_SX_SY_SZ_S13_S14_S15_S18_S19_jS1A_jS1B_S1B_jjS1D_bEUljE0_EEESW_SX_SY_S15_S19_S1B_T6_T7_T9_mT8_S1D_bDpT10_ENKUlT_T0_E_clISt17integral_constantIbLb0EES1Q_IbLb1EEEEDaS1M_S1N_EUlS1M_E_NS1_11comp_targetILNS1_3genE3ELNS1_11target_archE908ELNS1_3gpuE7ELNS1_3repE0EEENS1_30default_config_static_selectorELNS0_4arch9wavefront6targetE0EEEvSZ_ ; -- Begin function _ZN7rocprim17ROCPRIM_400000_NS6detail17trampoline_kernelINS0_13select_configILj256ELj13ELNS0_17block_load_methodE3ELS4_3ELS4_3ELNS0_20block_scan_algorithmE0ELj4294967295EEENS1_25partition_config_selectorILNS1_17partition_subalgoE4EjNS0_10empty_typeEbEEZZNS1_14partition_implILS8_4ELb0ES6_15HIP_vector_typeIjLj2EENS0_17counting_iteratorIjlEEPS9_SG_NS0_5tupleIJPjSI_NS0_16reverse_iteratorISI_EEEEENSH_IJSG_SG_SG_EEES9_SI_JZNS1_25segmented_radix_sort_implINS0_14default_configELb1EPKlPlSQ_SR_N2at6native12_GLOBAL__N_18offset_tEEE10hipError_tPvRmT1_PNSt15iterator_traitsISZ_E10value_typeET2_T3_PNS10_IS15_E10value_typeET4_jRbjT5_S1B_jjP12ihipStream_tbEUljE_ZNSN_ISO_Lb1ESQ_SR_SQ_SR_SV_EESW_SX_SY_SZ_S13_S14_S15_S18_S19_jS1A_jS1B_S1B_jjS1D_bEUljE0_EEESW_SX_SY_S15_S19_S1B_T6_T7_T9_mT8_S1D_bDpT10_ENKUlT_T0_E_clISt17integral_constantIbLb0EES1Q_IbLb1EEEEDaS1M_S1N_EUlS1M_E_NS1_11comp_targetILNS1_3genE3ELNS1_11target_archE908ELNS1_3gpuE7ELNS1_3repE0EEENS1_30default_config_static_selectorELNS0_4arch9wavefront6targetE0EEEvSZ_
	.p2align	8
	.type	_ZN7rocprim17ROCPRIM_400000_NS6detail17trampoline_kernelINS0_13select_configILj256ELj13ELNS0_17block_load_methodE3ELS4_3ELS4_3ELNS0_20block_scan_algorithmE0ELj4294967295EEENS1_25partition_config_selectorILNS1_17partition_subalgoE4EjNS0_10empty_typeEbEEZZNS1_14partition_implILS8_4ELb0ES6_15HIP_vector_typeIjLj2EENS0_17counting_iteratorIjlEEPS9_SG_NS0_5tupleIJPjSI_NS0_16reverse_iteratorISI_EEEEENSH_IJSG_SG_SG_EEES9_SI_JZNS1_25segmented_radix_sort_implINS0_14default_configELb1EPKlPlSQ_SR_N2at6native12_GLOBAL__N_18offset_tEEE10hipError_tPvRmT1_PNSt15iterator_traitsISZ_E10value_typeET2_T3_PNS10_IS15_E10value_typeET4_jRbjT5_S1B_jjP12ihipStream_tbEUljE_ZNSN_ISO_Lb1ESQ_SR_SQ_SR_SV_EESW_SX_SY_SZ_S13_S14_S15_S18_S19_jS1A_jS1B_S1B_jjS1D_bEUljE0_EEESW_SX_SY_S15_S19_S1B_T6_T7_T9_mT8_S1D_bDpT10_ENKUlT_T0_E_clISt17integral_constantIbLb0EES1Q_IbLb1EEEEDaS1M_S1N_EUlS1M_E_NS1_11comp_targetILNS1_3genE3ELNS1_11target_archE908ELNS1_3gpuE7ELNS1_3repE0EEENS1_30default_config_static_selectorELNS0_4arch9wavefront6targetE0EEEvSZ_,@function
_ZN7rocprim17ROCPRIM_400000_NS6detail17trampoline_kernelINS0_13select_configILj256ELj13ELNS0_17block_load_methodE3ELS4_3ELS4_3ELNS0_20block_scan_algorithmE0ELj4294967295EEENS1_25partition_config_selectorILNS1_17partition_subalgoE4EjNS0_10empty_typeEbEEZZNS1_14partition_implILS8_4ELb0ES6_15HIP_vector_typeIjLj2EENS0_17counting_iteratorIjlEEPS9_SG_NS0_5tupleIJPjSI_NS0_16reverse_iteratorISI_EEEEENSH_IJSG_SG_SG_EEES9_SI_JZNS1_25segmented_radix_sort_implINS0_14default_configELb1EPKlPlSQ_SR_N2at6native12_GLOBAL__N_18offset_tEEE10hipError_tPvRmT1_PNSt15iterator_traitsISZ_E10value_typeET2_T3_PNS10_IS15_E10value_typeET4_jRbjT5_S1B_jjP12ihipStream_tbEUljE_ZNSN_ISO_Lb1ESQ_SR_SQ_SR_SV_EESW_SX_SY_SZ_S13_S14_S15_S18_S19_jS1A_jS1B_S1B_jjS1D_bEUljE0_EEESW_SX_SY_S15_S19_S1B_T6_T7_T9_mT8_S1D_bDpT10_ENKUlT_T0_E_clISt17integral_constantIbLb0EES1Q_IbLb1EEEEDaS1M_S1N_EUlS1M_E_NS1_11comp_targetILNS1_3genE3ELNS1_11target_archE908ELNS1_3gpuE7ELNS1_3repE0EEENS1_30default_config_static_selectorELNS0_4arch9wavefront6targetE0EEEvSZ_: ; @_ZN7rocprim17ROCPRIM_400000_NS6detail17trampoline_kernelINS0_13select_configILj256ELj13ELNS0_17block_load_methodE3ELS4_3ELS4_3ELNS0_20block_scan_algorithmE0ELj4294967295EEENS1_25partition_config_selectorILNS1_17partition_subalgoE4EjNS0_10empty_typeEbEEZZNS1_14partition_implILS8_4ELb0ES6_15HIP_vector_typeIjLj2EENS0_17counting_iteratorIjlEEPS9_SG_NS0_5tupleIJPjSI_NS0_16reverse_iteratorISI_EEEEENSH_IJSG_SG_SG_EEES9_SI_JZNS1_25segmented_radix_sort_implINS0_14default_configELb1EPKlPlSQ_SR_N2at6native12_GLOBAL__N_18offset_tEEE10hipError_tPvRmT1_PNSt15iterator_traitsISZ_E10value_typeET2_T3_PNS10_IS15_E10value_typeET4_jRbjT5_S1B_jjP12ihipStream_tbEUljE_ZNSN_ISO_Lb1ESQ_SR_SQ_SR_SV_EESW_SX_SY_SZ_S13_S14_S15_S18_S19_jS1A_jS1B_S1B_jjS1D_bEUljE0_EEESW_SX_SY_S15_S19_S1B_T6_T7_T9_mT8_S1D_bDpT10_ENKUlT_T0_E_clISt17integral_constantIbLb0EES1Q_IbLb1EEEEDaS1M_S1N_EUlS1M_E_NS1_11comp_targetILNS1_3genE3ELNS1_11target_archE908ELNS1_3gpuE7ELNS1_3repE0EEENS1_30default_config_static_selectorELNS0_4arch9wavefront6targetE0EEEvSZ_
; %bb.0:
	.section	.rodata,"a",@progbits
	.p2align	6, 0x0
	.amdhsa_kernel _ZN7rocprim17ROCPRIM_400000_NS6detail17trampoline_kernelINS0_13select_configILj256ELj13ELNS0_17block_load_methodE3ELS4_3ELS4_3ELNS0_20block_scan_algorithmE0ELj4294967295EEENS1_25partition_config_selectorILNS1_17partition_subalgoE4EjNS0_10empty_typeEbEEZZNS1_14partition_implILS8_4ELb0ES6_15HIP_vector_typeIjLj2EENS0_17counting_iteratorIjlEEPS9_SG_NS0_5tupleIJPjSI_NS0_16reverse_iteratorISI_EEEEENSH_IJSG_SG_SG_EEES9_SI_JZNS1_25segmented_radix_sort_implINS0_14default_configELb1EPKlPlSQ_SR_N2at6native12_GLOBAL__N_18offset_tEEE10hipError_tPvRmT1_PNSt15iterator_traitsISZ_E10value_typeET2_T3_PNS10_IS15_E10value_typeET4_jRbjT5_S1B_jjP12ihipStream_tbEUljE_ZNSN_ISO_Lb1ESQ_SR_SQ_SR_SV_EESW_SX_SY_SZ_S13_S14_S15_S18_S19_jS1A_jS1B_S1B_jjS1D_bEUljE0_EEESW_SX_SY_S15_S19_S1B_T6_T7_T9_mT8_S1D_bDpT10_ENKUlT_T0_E_clISt17integral_constantIbLb0EES1Q_IbLb1EEEEDaS1M_S1N_EUlS1M_E_NS1_11comp_targetILNS1_3genE3ELNS1_11target_archE908ELNS1_3gpuE7ELNS1_3repE0EEENS1_30default_config_static_selectorELNS0_4arch9wavefront6targetE0EEEvSZ_
		.amdhsa_group_segment_fixed_size 0
		.amdhsa_private_segment_fixed_size 0
		.amdhsa_kernarg_size 184
		.amdhsa_user_sgpr_count 2
		.amdhsa_user_sgpr_dispatch_ptr 0
		.amdhsa_user_sgpr_queue_ptr 0
		.amdhsa_user_sgpr_kernarg_segment_ptr 1
		.amdhsa_user_sgpr_dispatch_id 0
		.amdhsa_user_sgpr_private_segment_size 0
		.amdhsa_wavefront_size32 1
		.amdhsa_uses_dynamic_stack 0
		.amdhsa_enable_private_segment 0
		.amdhsa_system_sgpr_workgroup_id_x 1
		.amdhsa_system_sgpr_workgroup_id_y 0
		.amdhsa_system_sgpr_workgroup_id_z 0
		.amdhsa_system_sgpr_workgroup_info 0
		.amdhsa_system_vgpr_workitem_id 0
		.amdhsa_next_free_vgpr 1
		.amdhsa_next_free_sgpr 1
		.amdhsa_reserve_vcc 0
		.amdhsa_float_round_mode_32 0
		.amdhsa_float_round_mode_16_64 0
		.amdhsa_float_denorm_mode_32 3
		.amdhsa_float_denorm_mode_16_64 3
		.amdhsa_fp16_overflow 0
		.amdhsa_workgroup_processor_mode 1
		.amdhsa_memory_ordered 1
		.amdhsa_forward_progress 1
		.amdhsa_inst_pref_size 0
		.amdhsa_round_robin_scheduling 0
		.amdhsa_exception_fp_ieee_invalid_op 0
		.amdhsa_exception_fp_denorm_src 0
		.amdhsa_exception_fp_ieee_div_zero 0
		.amdhsa_exception_fp_ieee_overflow 0
		.amdhsa_exception_fp_ieee_underflow 0
		.amdhsa_exception_fp_ieee_inexact 0
		.amdhsa_exception_int_div_zero 0
	.end_amdhsa_kernel
	.section	.text._ZN7rocprim17ROCPRIM_400000_NS6detail17trampoline_kernelINS0_13select_configILj256ELj13ELNS0_17block_load_methodE3ELS4_3ELS4_3ELNS0_20block_scan_algorithmE0ELj4294967295EEENS1_25partition_config_selectorILNS1_17partition_subalgoE4EjNS0_10empty_typeEbEEZZNS1_14partition_implILS8_4ELb0ES6_15HIP_vector_typeIjLj2EENS0_17counting_iteratorIjlEEPS9_SG_NS0_5tupleIJPjSI_NS0_16reverse_iteratorISI_EEEEENSH_IJSG_SG_SG_EEES9_SI_JZNS1_25segmented_radix_sort_implINS0_14default_configELb1EPKlPlSQ_SR_N2at6native12_GLOBAL__N_18offset_tEEE10hipError_tPvRmT1_PNSt15iterator_traitsISZ_E10value_typeET2_T3_PNS10_IS15_E10value_typeET4_jRbjT5_S1B_jjP12ihipStream_tbEUljE_ZNSN_ISO_Lb1ESQ_SR_SQ_SR_SV_EESW_SX_SY_SZ_S13_S14_S15_S18_S19_jS1A_jS1B_S1B_jjS1D_bEUljE0_EEESW_SX_SY_S15_S19_S1B_T6_T7_T9_mT8_S1D_bDpT10_ENKUlT_T0_E_clISt17integral_constantIbLb0EES1Q_IbLb1EEEEDaS1M_S1N_EUlS1M_E_NS1_11comp_targetILNS1_3genE3ELNS1_11target_archE908ELNS1_3gpuE7ELNS1_3repE0EEENS1_30default_config_static_selectorELNS0_4arch9wavefront6targetE0EEEvSZ_,"axG",@progbits,_ZN7rocprim17ROCPRIM_400000_NS6detail17trampoline_kernelINS0_13select_configILj256ELj13ELNS0_17block_load_methodE3ELS4_3ELS4_3ELNS0_20block_scan_algorithmE0ELj4294967295EEENS1_25partition_config_selectorILNS1_17partition_subalgoE4EjNS0_10empty_typeEbEEZZNS1_14partition_implILS8_4ELb0ES6_15HIP_vector_typeIjLj2EENS0_17counting_iteratorIjlEEPS9_SG_NS0_5tupleIJPjSI_NS0_16reverse_iteratorISI_EEEEENSH_IJSG_SG_SG_EEES9_SI_JZNS1_25segmented_radix_sort_implINS0_14default_configELb1EPKlPlSQ_SR_N2at6native12_GLOBAL__N_18offset_tEEE10hipError_tPvRmT1_PNSt15iterator_traitsISZ_E10value_typeET2_T3_PNS10_IS15_E10value_typeET4_jRbjT5_S1B_jjP12ihipStream_tbEUljE_ZNSN_ISO_Lb1ESQ_SR_SQ_SR_SV_EESW_SX_SY_SZ_S13_S14_S15_S18_S19_jS1A_jS1B_S1B_jjS1D_bEUljE0_EEESW_SX_SY_S15_S19_S1B_T6_T7_T9_mT8_S1D_bDpT10_ENKUlT_T0_E_clISt17integral_constantIbLb0EES1Q_IbLb1EEEEDaS1M_S1N_EUlS1M_E_NS1_11comp_targetILNS1_3genE3ELNS1_11target_archE908ELNS1_3gpuE7ELNS1_3repE0EEENS1_30default_config_static_selectorELNS0_4arch9wavefront6targetE0EEEvSZ_,comdat
.Lfunc_end667:
	.size	_ZN7rocprim17ROCPRIM_400000_NS6detail17trampoline_kernelINS0_13select_configILj256ELj13ELNS0_17block_load_methodE3ELS4_3ELS4_3ELNS0_20block_scan_algorithmE0ELj4294967295EEENS1_25partition_config_selectorILNS1_17partition_subalgoE4EjNS0_10empty_typeEbEEZZNS1_14partition_implILS8_4ELb0ES6_15HIP_vector_typeIjLj2EENS0_17counting_iteratorIjlEEPS9_SG_NS0_5tupleIJPjSI_NS0_16reverse_iteratorISI_EEEEENSH_IJSG_SG_SG_EEES9_SI_JZNS1_25segmented_radix_sort_implINS0_14default_configELb1EPKlPlSQ_SR_N2at6native12_GLOBAL__N_18offset_tEEE10hipError_tPvRmT1_PNSt15iterator_traitsISZ_E10value_typeET2_T3_PNS10_IS15_E10value_typeET4_jRbjT5_S1B_jjP12ihipStream_tbEUljE_ZNSN_ISO_Lb1ESQ_SR_SQ_SR_SV_EESW_SX_SY_SZ_S13_S14_S15_S18_S19_jS1A_jS1B_S1B_jjS1D_bEUljE0_EEESW_SX_SY_S15_S19_S1B_T6_T7_T9_mT8_S1D_bDpT10_ENKUlT_T0_E_clISt17integral_constantIbLb0EES1Q_IbLb1EEEEDaS1M_S1N_EUlS1M_E_NS1_11comp_targetILNS1_3genE3ELNS1_11target_archE908ELNS1_3gpuE7ELNS1_3repE0EEENS1_30default_config_static_selectorELNS0_4arch9wavefront6targetE0EEEvSZ_, .Lfunc_end667-_ZN7rocprim17ROCPRIM_400000_NS6detail17trampoline_kernelINS0_13select_configILj256ELj13ELNS0_17block_load_methodE3ELS4_3ELS4_3ELNS0_20block_scan_algorithmE0ELj4294967295EEENS1_25partition_config_selectorILNS1_17partition_subalgoE4EjNS0_10empty_typeEbEEZZNS1_14partition_implILS8_4ELb0ES6_15HIP_vector_typeIjLj2EENS0_17counting_iteratorIjlEEPS9_SG_NS0_5tupleIJPjSI_NS0_16reverse_iteratorISI_EEEEENSH_IJSG_SG_SG_EEES9_SI_JZNS1_25segmented_radix_sort_implINS0_14default_configELb1EPKlPlSQ_SR_N2at6native12_GLOBAL__N_18offset_tEEE10hipError_tPvRmT1_PNSt15iterator_traitsISZ_E10value_typeET2_T3_PNS10_IS15_E10value_typeET4_jRbjT5_S1B_jjP12ihipStream_tbEUljE_ZNSN_ISO_Lb1ESQ_SR_SQ_SR_SV_EESW_SX_SY_SZ_S13_S14_S15_S18_S19_jS1A_jS1B_S1B_jjS1D_bEUljE0_EEESW_SX_SY_S15_S19_S1B_T6_T7_T9_mT8_S1D_bDpT10_ENKUlT_T0_E_clISt17integral_constantIbLb0EES1Q_IbLb1EEEEDaS1M_S1N_EUlS1M_E_NS1_11comp_targetILNS1_3genE3ELNS1_11target_archE908ELNS1_3gpuE7ELNS1_3repE0EEENS1_30default_config_static_selectorELNS0_4arch9wavefront6targetE0EEEvSZ_
                                        ; -- End function
	.set _ZN7rocprim17ROCPRIM_400000_NS6detail17trampoline_kernelINS0_13select_configILj256ELj13ELNS0_17block_load_methodE3ELS4_3ELS4_3ELNS0_20block_scan_algorithmE0ELj4294967295EEENS1_25partition_config_selectorILNS1_17partition_subalgoE4EjNS0_10empty_typeEbEEZZNS1_14partition_implILS8_4ELb0ES6_15HIP_vector_typeIjLj2EENS0_17counting_iteratorIjlEEPS9_SG_NS0_5tupleIJPjSI_NS0_16reverse_iteratorISI_EEEEENSH_IJSG_SG_SG_EEES9_SI_JZNS1_25segmented_radix_sort_implINS0_14default_configELb1EPKlPlSQ_SR_N2at6native12_GLOBAL__N_18offset_tEEE10hipError_tPvRmT1_PNSt15iterator_traitsISZ_E10value_typeET2_T3_PNS10_IS15_E10value_typeET4_jRbjT5_S1B_jjP12ihipStream_tbEUljE_ZNSN_ISO_Lb1ESQ_SR_SQ_SR_SV_EESW_SX_SY_SZ_S13_S14_S15_S18_S19_jS1A_jS1B_S1B_jjS1D_bEUljE0_EEESW_SX_SY_S15_S19_S1B_T6_T7_T9_mT8_S1D_bDpT10_ENKUlT_T0_E_clISt17integral_constantIbLb0EES1Q_IbLb1EEEEDaS1M_S1N_EUlS1M_E_NS1_11comp_targetILNS1_3genE3ELNS1_11target_archE908ELNS1_3gpuE7ELNS1_3repE0EEENS1_30default_config_static_selectorELNS0_4arch9wavefront6targetE0EEEvSZ_.num_vgpr, 0
	.set _ZN7rocprim17ROCPRIM_400000_NS6detail17trampoline_kernelINS0_13select_configILj256ELj13ELNS0_17block_load_methodE3ELS4_3ELS4_3ELNS0_20block_scan_algorithmE0ELj4294967295EEENS1_25partition_config_selectorILNS1_17partition_subalgoE4EjNS0_10empty_typeEbEEZZNS1_14partition_implILS8_4ELb0ES6_15HIP_vector_typeIjLj2EENS0_17counting_iteratorIjlEEPS9_SG_NS0_5tupleIJPjSI_NS0_16reverse_iteratorISI_EEEEENSH_IJSG_SG_SG_EEES9_SI_JZNS1_25segmented_radix_sort_implINS0_14default_configELb1EPKlPlSQ_SR_N2at6native12_GLOBAL__N_18offset_tEEE10hipError_tPvRmT1_PNSt15iterator_traitsISZ_E10value_typeET2_T3_PNS10_IS15_E10value_typeET4_jRbjT5_S1B_jjP12ihipStream_tbEUljE_ZNSN_ISO_Lb1ESQ_SR_SQ_SR_SV_EESW_SX_SY_SZ_S13_S14_S15_S18_S19_jS1A_jS1B_S1B_jjS1D_bEUljE0_EEESW_SX_SY_S15_S19_S1B_T6_T7_T9_mT8_S1D_bDpT10_ENKUlT_T0_E_clISt17integral_constantIbLb0EES1Q_IbLb1EEEEDaS1M_S1N_EUlS1M_E_NS1_11comp_targetILNS1_3genE3ELNS1_11target_archE908ELNS1_3gpuE7ELNS1_3repE0EEENS1_30default_config_static_selectorELNS0_4arch9wavefront6targetE0EEEvSZ_.num_agpr, 0
	.set _ZN7rocprim17ROCPRIM_400000_NS6detail17trampoline_kernelINS0_13select_configILj256ELj13ELNS0_17block_load_methodE3ELS4_3ELS4_3ELNS0_20block_scan_algorithmE0ELj4294967295EEENS1_25partition_config_selectorILNS1_17partition_subalgoE4EjNS0_10empty_typeEbEEZZNS1_14partition_implILS8_4ELb0ES6_15HIP_vector_typeIjLj2EENS0_17counting_iteratorIjlEEPS9_SG_NS0_5tupleIJPjSI_NS0_16reverse_iteratorISI_EEEEENSH_IJSG_SG_SG_EEES9_SI_JZNS1_25segmented_radix_sort_implINS0_14default_configELb1EPKlPlSQ_SR_N2at6native12_GLOBAL__N_18offset_tEEE10hipError_tPvRmT1_PNSt15iterator_traitsISZ_E10value_typeET2_T3_PNS10_IS15_E10value_typeET4_jRbjT5_S1B_jjP12ihipStream_tbEUljE_ZNSN_ISO_Lb1ESQ_SR_SQ_SR_SV_EESW_SX_SY_SZ_S13_S14_S15_S18_S19_jS1A_jS1B_S1B_jjS1D_bEUljE0_EEESW_SX_SY_S15_S19_S1B_T6_T7_T9_mT8_S1D_bDpT10_ENKUlT_T0_E_clISt17integral_constantIbLb0EES1Q_IbLb1EEEEDaS1M_S1N_EUlS1M_E_NS1_11comp_targetILNS1_3genE3ELNS1_11target_archE908ELNS1_3gpuE7ELNS1_3repE0EEENS1_30default_config_static_selectorELNS0_4arch9wavefront6targetE0EEEvSZ_.numbered_sgpr, 0
	.set _ZN7rocprim17ROCPRIM_400000_NS6detail17trampoline_kernelINS0_13select_configILj256ELj13ELNS0_17block_load_methodE3ELS4_3ELS4_3ELNS0_20block_scan_algorithmE0ELj4294967295EEENS1_25partition_config_selectorILNS1_17partition_subalgoE4EjNS0_10empty_typeEbEEZZNS1_14partition_implILS8_4ELb0ES6_15HIP_vector_typeIjLj2EENS0_17counting_iteratorIjlEEPS9_SG_NS0_5tupleIJPjSI_NS0_16reverse_iteratorISI_EEEEENSH_IJSG_SG_SG_EEES9_SI_JZNS1_25segmented_radix_sort_implINS0_14default_configELb1EPKlPlSQ_SR_N2at6native12_GLOBAL__N_18offset_tEEE10hipError_tPvRmT1_PNSt15iterator_traitsISZ_E10value_typeET2_T3_PNS10_IS15_E10value_typeET4_jRbjT5_S1B_jjP12ihipStream_tbEUljE_ZNSN_ISO_Lb1ESQ_SR_SQ_SR_SV_EESW_SX_SY_SZ_S13_S14_S15_S18_S19_jS1A_jS1B_S1B_jjS1D_bEUljE0_EEESW_SX_SY_S15_S19_S1B_T6_T7_T9_mT8_S1D_bDpT10_ENKUlT_T0_E_clISt17integral_constantIbLb0EES1Q_IbLb1EEEEDaS1M_S1N_EUlS1M_E_NS1_11comp_targetILNS1_3genE3ELNS1_11target_archE908ELNS1_3gpuE7ELNS1_3repE0EEENS1_30default_config_static_selectorELNS0_4arch9wavefront6targetE0EEEvSZ_.num_named_barrier, 0
	.set _ZN7rocprim17ROCPRIM_400000_NS6detail17trampoline_kernelINS0_13select_configILj256ELj13ELNS0_17block_load_methodE3ELS4_3ELS4_3ELNS0_20block_scan_algorithmE0ELj4294967295EEENS1_25partition_config_selectorILNS1_17partition_subalgoE4EjNS0_10empty_typeEbEEZZNS1_14partition_implILS8_4ELb0ES6_15HIP_vector_typeIjLj2EENS0_17counting_iteratorIjlEEPS9_SG_NS0_5tupleIJPjSI_NS0_16reverse_iteratorISI_EEEEENSH_IJSG_SG_SG_EEES9_SI_JZNS1_25segmented_radix_sort_implINS0_14default_configELb1EPKlPlSQ_SR_N2at6native12_GLOBAL__N_18offset_tEEE10hipError_tPvRmT1_PNSt15iterator_traitsISZ_E10value_typeET2_T3_PNS10_IS15_E10value_typeET4_jRbjT5_S1B_jjP12ihipStream_tbEUljE_ZNSN_ISO_Lb1ESQ_SR_SQ_SR_SV_EESW_SX_SY_SZ_S13_S14_S15_S18_S19_jS1A_jS1B_S1B_jjS1D_bEUljE0_EEESW_SX_SY_S15_S19_S1B_T6_T7_T9_mT8_S1D_bDpT10_ENKUlT_T0_E_clISt17integral_constantIbLb0EES1Q_IbLb1EEEEDaS1M_S1N_EUlS1M_E_NS1_11comp_targetILNS1_3genE3ELNS1_11target_archE908ELNS1_3gpuE7ELNS1_3repE0EEENS1_30default_config_static_selectorELNS0_4arch9wavefront6targetE0EEEvSZ_.private_seg_size, 0
	.set _ZN7rocprim17ROCPRIM_400000_NS6detail17trampoline_kernelINS0_13select_configILj256ELj13ELNS0_17block_load_methodE3ELS4_3ELS4_3ELNS0_20block_scan_algorithmE0ELj4294967295EEENS1_25partition_config_selectorILNS1_17partition_subalgoE4EjNS0_10empty_typeEbEEZZNS1_14partition_implILS8_4ELb0ES6_15HIP_vector_typeIjLj2EENS0_17counting_iteratorIjlEEPS9_SG_NS0_5tupleIJPjSI_NS0_16reverse_iteratorISI_EEEEENSH_IJSG_SG_SG_EEES9_SI_JZNS1_25segmented_radix_sort_implINS0_14default_configELb1EPKlPlSQ_SR_N2at6native12_GLOBAL__N_18offset_tEEE10hipError_tPvRmT1_PNSt15iterator_traitsISZ_E10value_typeET2_T3_PNS10_IS15_E10value_typeET4_jRbjT5_S1B_jjP12ihipStream_tbEUljE_ZNSN_ISO_Lb1ESQ_SR_SQ_SR_SV_EESW_SX_SY_SZ_S13_S14_S15_S18_S19_jS1A_jS1B_S1B_jjS1D_bEUljE0_EEESW_SX_SY_S15_S19_S1B_T6_T7_T9_mT8_S1D_bDpT10_ENKUlT_T0_E_clISt17integral_constantIbLb0EES1Q_IbLb1EEEEDaS1M_S1N_EUlS1M_E_NS1_11comp_targetILNS1_3genE3ELNS1_11target_archE908ELNS1_3gpuE7ELNS1_3repE0EEENS1_30default_config_static_selectorELNS0_4arch9wavefront6targetE0EEEvSZ_.uses_vcc, 0
	.set _ZN7rocprim17ROCPRIM_400000_NS6detail17trampoline_kernelINS0_13select_configILj256ELj13ELNS0_17block_load_methodE3ELS4_3ELS4_3ELNS0_20block_scan_algorithmE0ELj4294967295EEENS1_25partition_config_selectorILNS1_17partition_subalgoE4EjNS0_10empty_typeEbEEZZNS1_14partition_implILS8_4ELb0ES6_15HIP_vector_typeIjLj2EENS0_17counting_iteratorIjlEEPS9_SG_NS0_5tupleIJPjSI_NS0_16reverse_iteratorISI_EEEEENSH_IJSG_SG_SG_EEES9_SI_JZNS1_25segmented_radix_sort_implINS0_14default_configELb1EPKlPlSQ_SR_N2at6native12_GLOBAL__N_18offset_tEEE10hipError_tPvRmT1_PNSt15iterator_traitsISZ_E10value_typeET2_T3_PNS10_IS15_E10value_typeET4_jRbjT5_S1B_jjP12ihipStream_tbEUljE_ZNSN_ISO_Lb1ESQ_SR_SQ_SR_SV_EESW_SX_SY_SZ_S13_S14_S15_S18_S19_jS1A_jS1B_S1B_jjS1D_bEUljE0_EEESW_SX_SY_S15_S19_S1B_T6_T7_T9_mT8_S1D_bDpT10_ENKUlT_T0_E_clISt17integral_constantIbLb0EES1Q_IbLb1EEEEDaS1M_S1N_EUlS1M_E_NS1_11comp_targetILNS1_3genE3ELNS1_11target_archE908ELNS1_3gpuE7ELNS1_3repE0EEENS1_30default_config_static_selectorELNS0_4arch9wavefront6targetE0EEEvSZ_.uses_flat_scratch, 0
	.set _ZN7rocprim17ROCPRIM_400000_NS6detail17trampoline_kernelINS0_13select_configILj256ELj13ELNS0_17block_load_methodE3ELS4_3ELS4_3ELNS0_20block_scan_algorithmE0ELj4294967295EEENS1_25partition_config_selectorILNS1_17partition_subalgoE4EjNS0_10empty_typeEbEEZZNS1_14partition_implILS8_4ELb0ES6_15HIP_vector_typeIjLj2EENS0_17counting_iteratorIjlEEPS9_SG_NS0_5tupleIJPjSI_NS0_16reverse_iteratorISI_EEEEENSH_IJSG_SG_SG_EEES9_SI_JZNS1_25segmented_radix_sort_implINS0_14default_configELb1EPKlPlSQ_SR_N2at6native12_GLOBAL__N_18offset_tEEE10hipError_tPvRmT1_PNSt15iterator_traitsISZ_E10value_typeET2_T3_PNS10_IS15_E10value_typeET4_jRbjT5_S1B_jjP12ihipStream_tbEUljE_ZNSN_ISO_Lb1ESQ_SR_SQ_SR_SV_EESW_SX_SY_SZ_S13_S14_S15_S18_S19_jS1A_jS1B_S1B_jjS1D_bEUljE0_EEESW_SX_SY_S15_S19_S1B_T6_T7_T9_mT8_S1D_bDpT10_ENKUlT_T0_E_clISt17integral_constantIbLb0EES1Q_IbLb1EEEEDaS1M_S1N_EUlS1M_E_NS1_11comp_targetILNS1_3genE3ELNS1_11target_archE908ELNS1_3gpuE7ELNS1_3repE0EEENS1_30default_config_static_selectorELNS0_4arch9wavefront6targetE0EEEvSZ_.has_dyn_sized_stack, 0
	.set _ZN7rocprim17ROCPRIM_400000_NS6detail17trampoline_kernelINS0_13select_configILj256ELj13ELNS0_17block_load_methodE3ELS4_3ELS4_3ELNS0_20block_scan_algorithmE0ELj4294967295EEENS1_25partition_config_selectorILNS1_17partition_subalgoE4EjNS0_10empty_typeEbEEZZNS1_14partition_implILS8_4ELb0ES6_15HIP_vector_typeIjLj2EENS0_17counting_iteratorIjlEEPS9_SG_NS0_5tupleIJPjSI_NS0_16reverse_iteratorISI_EEEEENSH_IJSG_SG_SG_EEES9_SI_JZNS1_25segmented_radix_sort_implINS0_14default_configELb1EPKlPlSQ_SR_N2at6native12_GLOBAL__N_18offset_tEEE10hipError_tPvRmT1_PNSt15iterator_traitsISZ_E10value_typeET2_T3_PNS10_IS15_E10value_typeET4_jRbjT5_S1B_jjP12ihipStream_tbEUljE_ZNSN_ISO_Lb1ESQ_SR_SQ_SR_SV_EESW_SX_SY_SZ_S13_S14_S15_S18_S19_jS1A_jS1B_S1B_jjS1D_bEUljE0_EEESW_SX_SY_S15_S19_S1B_T6_T7_T9_mT8_S1D_bDpT10_ENKUlT_T0_E_clISt17integral_constantIbLb0EES1Q_IbLb1EEEEDaS1M_S1N_EUlS1M_E_NS1_11comp_targetILNS1_3genE3ELNS1_11target_archE908ELNS1_3gpuE7ELNS1_3repE0EEENS1_30default_config_static_selectorELNS0_4arch9wavefront6targetE0EEEvSZ_.has_recursion, 0
	.set _ZN7rocprim17ROCPRIM_400000_NS6detail17trampoline_kernelINS0_13select_configILj256ELj13ELNS0_17block_load_methodE3ELS4_3ELS4_3ELNS0_20block_scan_algorithmE0ELj4294967295EEENS1_25partition_config_selectorILNS1_17partition_subalgoE4EjNS0_10empty_typeEbEEZZNS1_14partition_implILS8_4ELb0ES6_15HIP_vector_typeIjLj2EENS0_17counting_iteratorIjlEEPS9_SG_NS0_5tupleIJPjSI_NS0_16reverse_iteratorISI_EEEEENSH_IJSG_SG_SG_EEES9_SI_JZNS1_25segmented_radix_sort_implINS0_14default_configELb1EPKlPlSQ_SR_N2at6native12_GLOBAL__N_18offset_tEEE10hipError_tPvRmT1_PNSt15iterator_traitsISZ_E10value_typeET2_T3_PNS10_IS15_E10value_typeET4_jRbjT5_S1B_jjP12ihipStream_tbEUljE_ZNSN_ISO_Lb1ESQ_SR_SQ_SR_SV_EESW_SX_SY_SZ_S13_S14_S15_S18_S19_jS1A_jS1B_S1B_jjS1D_bEUljE0_EEESW_SX_SY_S15_S19_S1B_T6_T7_T9_mT8_S1D_bDpT10_ENKUlT_T0_E_clISt17integral_constantIbLb0EES1Q_IbLb1EEEEDaS1M_S1N_EUlS1M_E_NS1_11comp_targetILNS1_3genE3ELNS1_11target_archE908ELNS1_3gpuE7ELNS1_3repE0EEENS1_30default_config_static_selectorELNS0_4arch9wavefront6targetE0EEEvSZ_.has_indirect_call, 0
	.section	.AMDGPU.csdata,"",@progbits
; Kernel info:
; codeLenInByte = 0
; TotalNumSgprs: 0
; NumVgprs: 0
; ScratchSize: 0
; MemoryBound: 0
; FloatMode: 240
; IeeeMode: 1
; LDSByteSize: 0 bytes/workgroup (compile time only)
; SGPRBlocks: 0
; VGPRBlocks: 0
; NumSGPRsForWavesPerEU: 1
; NumVGPRsForWavesPerEU: 1
; Occupancy: 16
; WaveLimiterHint : 0
; COMPUTE_PGM_RSRC2:SCRATCH_EN: 0
; COMPUTE_PGM_RSRC2:USER_SGPR: 2
; COMPUTE_PGM_RSRC2:TRAP_HANDLER: 0
; COMPUTE_PGM_RSRC2:TGID_X_EN: 1
; COMPUTE_PGM_RSRC2:TGID_Y_EN: 0
; COMPUTE_PGM_RSRC2:TGID_Z_EN: 0
; COMPUTE_PGM_RSRC2:TIDIG_COMP_CNT: 0
	.section	.text._ZN7rocprim17ROCPRIM_400000_NS6detail17trampoline_kernelINS0_13select_configILj256ELj13ELNS0_17block_load_methodE3ELS4_3ELS4_3ELNS0_20block_scan_algorithmE0ELj4294967295EEENS1_25partition_config_selectorILNS1_17partition_subalgoE4EjNS0_10empty_typeEbEEZZNS1_14partition_implILS8_4ELb0ES6_15HIP_vector_typeIjLj2EENS0_17counting_iteratorIjlEEPS9_SG_NS0_5tupleIJPjSI_NS0_16reverse_iteratorISI_EEEEENSH_IJSG_SG_SG_EEES9_SI_JZNS1_25segmented_radix_sort_implINS0_14default_configELb1EPKlPlSQ_SR_N2at6native12_GLOBAL__N_18offset_tEEE10hipError_tPvRmT1_PNSt15iterator_traitsISZ_E10value_typeET2_T3_PNS10_IS15_E10value_typeET4_jRbjT5_S1B_jjP12ihipStream_tbEUljE_ZNSN_ISO_Lb1ESQ_SR_SQ_SR_SV_EESW_SX_SY_SZ_S13_S14_S15_S18_S19_jS1A_jS1B_S1B_jjS1D_bEUljE0_EEESW_SX_SY_S15_S19_S1B_T6_T7_T9_mT8_S1D_bDpT10_ENKUlT_T0_E_clISt17integral_constantIbLb0EES1Q_IbLb1EEEEDaS1M_S1N_EUlS1M_E_NS1_11comp_targetILNS1_3genE2ELNS1_11target_archE906ELNS1_3gpuE6ELNS1_3repE0EEENS1_30default_config_static_selectorELNS0_4arch9wavefront6targetE0EEEvSZ_,"axG",@progbits,_ZN7rocprim17ROCPRIM_400000_NS6detail17trampoline_kernelINS0_13select_configILj256ELj13ELNS0_17block_load_methodE3ELS4_3ELS4_3ELNS0_20block_scan_algorithmE0ELj4294967295EEENS1_25partition_config_selectorILNS1_17partition_subalgoE4EjNS0_10empty_typeEbEEZZNS1_14partition_implILS8_4ELb0ES6_15HIP_vector_typeIjLj2EENS0_17counting_iteratorIjlEEPS9_SG_NS0_5tupleIJPjSI_NS0_16reverse_iteratorISI_EEEEENSH_IJSG_SG_SG_EEES9_SI_JZNS1_25segmented_radix_sort_implINS0_14default_configELb1EPKlPlSQ_SR_N2at6native12_GLOBAL__N_18offset_tEEE10hipError_tPvRmT1_PNSt15iterator_traitsISZ_E10value_typeET2_T3_PNS10_IS15_E10value_typeET4_jRbjT5_S1B_jjP12ihipStream_tbEUljE_ZNSN_ISO_Lb1ESQ_SR_SQ_SR_SV_EESW_SX_SY_SZ_S13_S14_S15_S18_S19_jS1A_jS1B_S1B_jjS1D_bEUljE0_EEESW_SX_SY_S15_S19_S1B_T6_T7_T9_mT8_S1D_bDpT10_ENKUlT_T0_E_clISt17integral_constantIbLb0EES1Q_IbLb1EEEEDaS1M_S1N_EUlS1M_E_NS1_11comp_targetILNS1_3genE2ELNS1_11target_archE906ELNS1_3gpuE6ELNS1_3repE0EEENS1_30default_config_static_selectorELNS0_4arch9wavefront6targetE0EEEvSZ_,comdat
	.globl	_ZN7rocprim17ROCPRIM_400000_NS6detail17trampoline_kernelINS0_13select_configILj256ELj13ELNS0_17block_load_methodE3ELS4_3ELS4_3ELNS0_20block_scan_algorithmE0ELj4294967295EEENS1_25partition_config_selectorILNS1_17partition_subalgoE4EjNS0_10empty_typeEbEEZZNS1_14partition_implILS8_4ELb0ES6_15HIP_vector_typeIjLj2EENS0_17counting_iteratorIjlEEPS9_SG_NS0_5tupleIJPjSI_NS0_16reverse_iteratorISI_EEEEENSH_IJSG_SG_SG_EEES9_SI_JZNS1_25segmented_radix_sort_implINS0_14default_configELb1EPKlPlSQ_SR_N2at6native12_GLOBAL__N_18offset_tEEE10hipError_tPvRmT1_PNSt15iterator_traitsISZ_E10value_typeET2_T3_PNS10_IS15_E10value_typeET4_jRbjT5_S1B_jjP12ihipStream_tbEUljE_ZNSN_ISO_Lb1ESQ_SR_SQ_SR_SV_EESW_SX_SY_SZ_S13_S14_S15_S18_S19_jS1A_jS1B_S1B_jjS1D_bEUljE0_EEESW_SX_SY_S15_S19_S1B_T6_T7_T9_mT8_S1D_bDpT10_ENKUlT_T0_E_clISt17integral_constantIbLb0EES1Q_IbLb1EEEEDaS1M_S1N_EUlS1M_E_NS1_11comp_targetILNS1_3genE2ELNS1_11target_archE906ELNS1_3gpuE6ELNS1_3repE0EEENS1_30default_config_static_selectorELNS0_4arch9wavefront6targetE0EEEvSZ_ ; -- Begin function _ZN7rocprim17ROCPRIM_400000_NS6detail17trampoline_kernelINS0_13select_configILj256ELj13ELNS0_17block_load_methodE3ELS4_3ELS4_3ELNS0_20block_scan_algorithmE0ELj4294967295EEENS1_25partition_config_selectorILNS1_17partition_subalgoE4EjNS0_10empty_typeEbEEZZNS1_14partition_implILS8_4ELb0ES6_15HIP_vector_typeIjLj2EENS0_17counting_iteratorIjlEEPS9_SG_NS0_5tupleIJPjSI_NS0_16reverse_iteratorISI_EEEEENSH_IJSG_SG_SG_EEES9_SI_JZNS1_25segmented_radix_sort_implINS0_14default_configELb1EPKlPlSQ_SR_N2at6native12_GLOBAL__N_18offset_tEEE10hipError_tPvRmT1_PNSt15iterator_traitsISZ_E10value_typeET2_T3_PNS10_IS15_E10value_typeET4_jRbjT5_S1B_jjP12ihipStream_tbEUljE_ZNSN_ISO_Lb1ESQ_SR_SQ_SR_SV_EESW_SX_SY_SZ_S13_S14_S15_S18_S19_jS1A_jS1B_S1B_jjS1D_bEUljE0_EEESW_SX_SY_S15_S19_S1B_T6_T7_T9_mT8_S1D_bDpT10_ENKUlT_T0_E_clISt17integral_constantIbLb0EES1Q_IbLb1EEEEDaS1M_S1N_EUlS1M_E_NS1_11comp_targetILNS1_3genE2ELNS1_11target_archE906ELNS1_3gpuE6ELNS1_3repE0EEENS1_30default_config_static_selectorELNS0_4arch9wavefront6targetE0EEEvSZ_
	.p2align	8
	.type	_ZN7rocprim17ROCPRIM_400000_NS6detail17trampoline_kernelINS0_13select_configILj256ELj13ELNS0_17block_load_methodE3ELS4_3ELS4_3ELNS0_20block_scan_algorithmE0ELj4294967295EEENS1_25partition_config_selectorILNS1_17partition_subalgoE4EjNS0_10empty_typeEbEEZZNS1_14partition_implILS8_4ELb0ES6_15HIP_vector_typeIjLj2EENS0_17counting_iteratorIjlEEPS9_SG_NS0_5tupleIJPjSI_NS0_16reverse_iteratorISI_EEEEENSH_IJSG_SG_SG_EEES9_SI_JZNS1_25segmented_radix_sort_implINS0_14default_configELb1EPKlPlSQ_SR_N2at6native12_GLOBAL__N_18offset_tEEE10hipError_tPvRmT1_PNSt15iterator_traitsISZ_E10value_typeET2_T3_PNS10_IS15_E10value_typeET4_jRbjT5_S1B_jjP12ihipStream_tbEUljE_ZNSN_ISO_Lb1ESQ_SR_SQ_SR_SV_EESW_SX_SY_SZ_S13_S14_S15_S18_S19_jS1A_jS1B_S1B_jjS1D_bEUljE0_EEESW_SX_SY_S15_S19_S1B_T6_T7_T9_mT8_S1D_bDpT10_ENKUlT_T0_E_clISt17integral_constantIbLb0EES1Q_IbLb1EEEEDaS1M_S1N_EUlS1M_E_NS1_11comp_targetILNS1_3genE2ELNS1_11target_archE906ELNS1_3gpuE6ELNS1_3repE0EEENS1_30default_config_static_selectorELNS0_4arch9wavefront6targetE0EEEvSZ_,@function
_ZN7rocprim17ROCPRIM_400000_NS6detail17trampoline_kernelINS0_13select_configILj256ELj13ELNS0_17block_load_methodE3ELS4_3ELS4_3ELNS0_20block_scan_algorithmE0ELj4294967295EEENS1_25partition_config_selectorILNS1_17partition_subalgoE4EjNS0_10empty_typeEbEEZZNS1_14partition_implILS8_4ELb0ES6_15HIP_vector_typeIjLj2EENS0_17counting_iteratorIjlEEPS9_SG_NS0_5tupleIJPjSI_NS0_16reverse_iteratorISI_EEEEENSH_IJSG_SG_SG_EEES9_SI_JZNS1_25segmented_radix_sort_implINS0_14default_configELb1EPKlPlSQ_SR_N2at6native12_GLOBAL__N_18offset_tEEE10hipError_tPvRmT1_PNSt15iterator_traitsISZ_E10value_typeET2_T3_PNS10_IS15_E10value_typeET4_jRbjT5_S1B_jjP12ihipStream_tbEUljE_ZNSN_ISO_Lb1ESQ_SR_SQ_SR_SV_EESW_SX_SY_SZ_S13_S14_S15_S18_S19_jS1A_jS1B_S1B_jjS1D_bEUljE0_EEESW_SX_SY_S15_S19_S1B_T6_T7_T9_mT8_S1D_bDpT10_ENKUlT_T0_E_clISt17integral_constantIbLb0EES1Q_IbLb1EEEEDaS1M_S1N_EUlS1M_E_NS1_11comp_targetILNS1_3genE2ELNS1_11target_archE906ELNS1_3gpuE6ELNS1_3repE0EEENS1_30default_config_static_selectorELNS0_4arch9wavefront6targetE0EEEvSZ_: ; @_ZN7rocprim17ROCPRIM_400000_NS6detail17trampoline_kernelINS0_13select_configILj256ELj13ELNS0_17block_load_methodE3ELS4_3ELS4_3ELNS0_20block_scan_algorithmE0ELj4294967295EEENS1_25partition_config_selectorILNS1_17partition_subalgoE4EjNS0_10empty_typeEbEEZZNS1_14partition_implILS8_4ELb0ES6_15HIP_vector_typeIjLj2EENS0_17counting_iteratorIjlEEPS9_SG_NS0_5tupleIJPjSI_NS0_16reverse_iteratorISI_EEEEENSH_IJSG_SG_SG_EEES9_SI_JZNS1_25segmented_radix_sort_implINS0_14default_configELb1EPKlPlSQ_SR_N2at6native12_GLOBAL__N_18offset_tEEE10hipError_tPvRmT1_PNSt15iterator_traitsISZ_E10value_typeET2_T3_PNS10_IS15_E10value_typeET4_jRbjT5_S1B_jjP12ihipStream_tbEUljE_ZNSN_ISO_Lb1ESQ_SR_SQ_SR_SV_EESW_SX_SY_SZ_S13_S14_S15_S18_S19_jS1A_jS1B_S1B_jjS1D_bEUljE0_EEESW_SX_SY_S15_S19_S1B_T6_T7_T9_mT8_S1D_bDpT10_ENKUlT_T0_E_clISt17integral_constantIbLb0EES1Q_IbLb1EEEEDaS1M_S1N_EUlS1M_E_NS1_11comp_targetILNS1_3genE2ELNS1_11target_archE906ELNS1_3gpuE6ELNS1_3repE0EEENS1_30default_config_static_selectorELNS0_4arch9wavefront6targetE0EEEvSZ_
; %bb.0:
	.section	.rodata,"a",@progbits
	.p2align	6, 0x0
	.amdhsa_kernel _ZN7rocprim17ROCPRIM_400000_NS6detail17trampoline_kernelINS0_13select_configILj256ELj13ELNS0_17block_load_methodE3ELS4_3ELS4_3ELNS0_20block_scan_algorithmE0ELj4294967295EEENS1_25partition_config_selectorILNS1_17partition_subalgoE4EjNS0_10empty_typeEbEEZZNS1_14partition_implILS8_4ELb0ES6_15HIP_vector_typeIjLj2EENS0_17counting_iteratorIjlEEPS9_SG_NS0_5tupleIJPjSI_NS0_16reverse_iteratorISI_EEEEENSH_IJSG_SG_SG_EEES9_SI_JZNS1_25segmented_radix_sort_implINS0_14default_configELb1EPKlPlSQ_SR_N2at6native12_GLOBAL__N_18offset_tEEE10hipError_tPvRmT1_PNSt15iterator_traitsISZ_E10value_typeET2_T3_PNS10_IS15_E10value_typeET4_jRbjT5_S1B_jjP12ihipStream_tbEUljE_ZNSN_ISO_Lb1ESQ_SR_SQ_SR_SV_EESW_SX_SY_SZ_S13_S14_S15_S18_S19_jS1A_jS1B_S1B_jjS1D_bEUljE0_EEESW_SX_SY_S15_S19_S1B_T6_T7_T9_mT8_S1D_bDpT10_ENKUlT_T0_E_clISt17integral_constantIbLb0EES1Q_IbLb1EEEEDaS1M_S1N_EUlS1M_E_NS1_11comp_targetILNS1_3genE2ELNS1_11target_archE906ELNS1_3gpuE6ELNS1_3repE0EEENS1_30default_config_static_selectorELNS0_4arch9wavefront6targetE0EEEvSZ_
		.amdhsa_group_segment_fixed_size 0
		.amdhsa_private_segment_fixed_size 0
		.amdhsa_kernarg_size 184
		.amdhsa_user_sgpr_count 2
		.amdhsa_user_sgpr_dispatch_ptr 0
		.amdhsa_user_sgpr_queue_ptr 0
		.amdhsa_user_sgpr_kernarg_segment_ptr 1
		.amdhsa_user_sgpr_dispatch_id 0
		.amdhsa_user_sgpr_private_segment_size 0
		.amdhsa_wavefront_size32 1
		.amdhsa_uses_dynamic_stack 0
		.amdhsa_enable_private_segment 0
		.amdhsa_system_sgpr_workgroup_id_x 1
		.amdhsa_system_sgpr_workgroup_id_y 0
		.amdhsa_system_sgpr_workgroup_id_z 0
		.amdhsa_system_sgpr_workgroup_info 0
		.amdhsa_system_vgpr_workitem_id 0
		.amdhsa_next_free_vgpr 1
		.amdhsa_next_free_sgpr 1
		.amdhsa_reserve_vcc 0
		.amdhsa_float_round_mode_32 0
		.amdhsa_float_round_mode_16_64 0
		.amdhsa_float_denorm_mode_32 3
		.amdhsa_float_denorm_mode_16_64 3
		.amdhsa_fp16_overflow 0
		.amdhsa_workgroup_processor_mode 1
		.amdhsa_memory_ordered 1
		.amdhsa_forward_progress 1
		.amdhsa_inst_pref_size 0
		.amdhsa_round_robin_scheduling 0
		.amdhsa_exception_fp_ieee_invalid_op 0
		.amdhsa_exception_fp_denorm_src 0
		.amdhsa_exception_fp_ieee_div_zero 0
		.amdhsa_exception_fp_ieee_overflow 0
		.amdhsa_exception_fp_ieee_underflow 0
		.amdhsa_exception_fp_ieee_inexact 0
		.amdhsa_exception_int_div_zero 0
	.end_amdhsa_kernel
	.section	.text._ZN7rocprim17ROCPRIM_400000_NS6detail17trampoline_kernelINS0_13select_configILj256ELj13ELNS0_17block_load_methodE3ELS4_3ELS4_3ELNS0_20block_scan_algorithmE0ELj4294967295EEENS1_25partition_config_selectorILNS1_17partition_subalgoE4EjNS0_10empty_typeEbEEZZNS1_14partition_implILS8_4ELb0ES6_15HIP_vector_typeIjLj2EENS0_17counting_iteratorIjlEEPS9_SG_NS0_5tupleIJPjSI_NS0_16reverse_iteratorISI_EEEEENSH_IJSG_SG_SG_EEES9_SI_JZNS1_25segmented_radix_sort_implINS0_14default_configELb1EPKlPlSQ_SR_N2at6native12_GLOBAL__N_18offset_tEEE10hipError_tPvRmT1_PNSt15iterator_traitsISZ_E10value_typeET2_T3_PNS10_IS15_E10value_typeET4_jRbjT5_S1B_jjP12ihipStream_tbEUljE_ZNSN_ISO_Lb1ESQ_SR_SQ_SR_SV_EESW_SX_SY_SZ_S13_S14_S15_S18_S19_jS1A_jS1B_S1B_jjS1D_bEUljE0_EEESW_SX_SY_S15_S19_S1B_T6_T7_T9_mT8_S1D_bDpT10_ENKUlT_T0_E_clISt17integral_constantIbLb0EES1Q_IbLb1EEEEDaS1M_S1N_EUlS1M_E_NS1_11comp_targetILNS1_3genE2ELNS1_11target_archE906ELNS1_3gpuE6ELNS1_3repE0EEENS1_30default_config_static_selectorELNS0_4arch9wavefront6targetE0EEEvSZ_,"axG",@progbits,_ZN7rocprim17ROCPRIM_400000_NS6detail17trampoline_kernelINS0_13select_configILj256ELj13ELNS0_17block_load_methodE3ELS4_3ELS4_3ELNS0_20block_scan_algorithmE0ELj4294967295EEENS1_25partition_config_selectorILNS1_17partition_subalgoE4EjNS0_10empty_typeEbEEZZNS1_14partition_implILS8_4ELb0ES6_15HIP_vector_typeIjLj2EENS0_17counting_iteratorIjlEEPS9_SG_NS0_5tupleIJPjSI_NS0_16reverse_iteratorISI_EEEEENSH_IJSG_SG_SG_EEES9_SI_JZNS1_25segmented_radix_sort_implINS0_14default_configELb1EPKlPlSQ_SR_N2at6native12_GLOBAL__N_18offset_tEEE10hipError_tPvRmT1_PNSt15iterator_traitsISZ_E10value_typeET2_T3_PNS10_IS15_E10value_typeET4_jRbjT5_S1B_jjP12ihipStream_tbEUljE_ZNSN_ISO_Lb1ESQ_SR_SQ_SR_SV_EESW_SX_SY_SZ_S13_S14_S15_S18_S19_jS1A_jS1B_S1B_jjS1D_bEUljE0_EEESW_SX_SY_S15_S19_S1B_T6_T7_T9_mT8_S1D_bDpT10_ENKUlT_T0_E_clISt17integral_constantIbLb0EES1Q_IbLb1EEEEDaS1M_S1N_EUlS1M_E_NS1_11comp_targetILNS1_3genE2ELNS1_11target_archE906ELNS1_3gpuE6ELNS1_3repE0EEENS1_30default_config_static_selectorELNS0_4arch9wavefront6targetE0EEEvSZ_,comdat
.Lfunc_end668:
	.size	_ZN7rocprim17ROCPRIM_400000_NS6detail17trampoline_kernelINS0_13select_configILj256ELj13ELNS0_17block_load_methodE3ELS4_3ELS4_3ELNS0_20block_scan_algorithmE0ELj4294967295EEENS1_25partition_config_selectorILNS1_17partition_subalgoE4EjNS0_10empty_typeEbEEZZNS1_14partition_implILS8_4ELb0ES6_15HIP_vector_typeIjLj2EENS0_17counting_iteratorIjlEEPS9_SG_NS0_5tupleIJPjSI_NS0_16reverse_iteratorISI_EEEEENSH_IJSG_SG_SG_EEES9_SI_JZNS1_25segmented_radix_sort_implINS0_14default_configELb1EPKlPlSQ_SR_N2at6native12_GLOBAL__N_18offset_tEEE10hipError_tPvRmT1_PNSt15iterator_traitsISZ_E10value_typeET2_T3_PNS10_IS15_E10value_typeET4_jRbjT5_S1B_jjP12ihipStream_tbEUljE_ZNSN_ISO_Lb1ESQ_SR_SQ_SR_SV_EESW_SX_SY_SZ_S13_S14_S15_S18_S19_jS1A_jS1B_S1B_jjS1D_bEUljE0_EEESW_SX_SY_S15_S19_S1B_T6_T7_T9_mT8_S1D_bDpT10_ENKUlT_T0_E_clISt17integral_constantIbLb0EES1Q_IbLb1EEEEDaS1M_S1N_EUlS1M_E_NS1_11comp_targetILNS1_3genE2ELNS1_11target_archE906ELNS1_3gpuE6ELNS1_3repE0EEENS1_30default_config_static_selectorELNS0_4arch9wavefront6targetE0EEEvSZ_, .Lfunc_end668-_ZN7rocprim17ROCPRIM_400000_NS6detail17trampoline_kernelINS0_13select_configILj256ELj13ELNS0_17block_load_methodE3ELS4_3ELS4_3ELNS0_20block_scan_algorithmE0ELj4294967295EEENS1_25partition_config_selectorILNS1_17partition_subalgoE4EjNS0_10empty_typeEbEEZZNS1_14partition_implILS8_4ELb0ES6_15HIP_vector_typeIjLj2EENS0_17counting_iteratorIjlEEPS9_SG_NS0_5tupleIJPjSI_NS0_16reverse_iteratorISI_EEEEENSH_IJSG_SG_SG_EEES9_SI_JZNS1_25segmented_radix_sort_implINS0_14default_configELb1EPKlPlSQ_SR_N2at6native12_GLOBAL__N_18offset_tEEE10hipError_tPvRmT1_PNSt15iterator_traitsISZ_E10value_typeET2_T3_PNS10_IS15_E10value_typeET4_jRbjT5_S1B_jjP12ihipStream_tbEUljE_ZNSN_ISO_Lb1ESQ_SR_SQ_SR_SV_EESW_SX_SY_SZ_S13_S14_S15_S18_S19_jS1A_jS1B_S1B_jjS1D_bEUljE0_EEESW_SX_SY_S15_S19_S1B_T6_T7_T9_mT8_S1D_bDpT10_ENKUlT_T0_E_clISt17integral_constantIbLb0EES1Q_IbLb1EEEEDaS1M_S1N_EUlS1M_E_NS1_11comp_targetILNS1_3genE2ELNS1_11target_archE906ELNS1_3gpuE6ELNS1_3repE0EEENS1_30default_config_static_selectorELNS0_4arch9wavefront6targetE0EEEvSZ_
                                        ; -- End function
	.set _ZN7rocprim17ROCPRIM_400000_NS6detail17trampoline_kernelINS0_13select_configILj256ELj13ELNS0_17block_load_methodE3ELS4_3ELS4_3ELNS0_20block_scan_algorithmE0ELj4294967295EEENS1_25partition_config_selectorILNS1_17partition_subalgoE4EjNS0_10empty_typeEbEEZZNS1_14partition_implILS8_4ELb0ES6_15HIP_vector_typeIjLj2EENS0_17counting_iteratorIjlEEPS9_SG_NS0_5tupleIJPjSI_NS0_16reverse_iteratorISI_EEEEENSH_IJSG_SG_SG_EEES9_SI_JZNS1_25segmented_radix_sort_implINS0_14default_configELb1EPKlPlSQ_SR_N2at6native12_GLOBAL__N_18offset_tEEE10hipError_tPvRmT1_PNSt15iterator_traitsISZ_E10value_typeET2_T3_PNS10_IS15_E10value_typeET4_jRbjT5_S1B_jjP12ihipStream_tbEUljE_ZNSN_ISO_Lb1ESQ_SR_SQ_SR_SV_EESW_SX_SY_SZ_S13_S14_S15_S18_S19_jS1A_jS1B_S1B_jjS1D_bEUljE0_EEESW_SX_SY_S15_S19_S1B_T6_T7_T9_mT8_S1D_bDpT10_ENKUlT_T0_E_clISt17integral_constantIbLb0EES1Q_IbLb1EEEEDaS1M_S1N_EUlS1M_E_NS1_11comp_targetILNS1_3genE2ELNS1_11target_archE906ELNS1_3gpuE6ELNS1_3repE0EEENS1_30default_config_static_selectorELNS0_4arch9wavefront6targetE0EEEvSZ_.num_vgpr, 0
	.set _ZN7rocprim17ROCPRIM_400000_NS6detail17trampoline_kernelINS0_13select_configILj256ELj13ELNS0_17block_load_methodE3ELS4_3ELS4_3ELNS0_20block_scan_algorithmE0ELj4294967295EEENS1_25partition_config_selectorILNS1_17partition_subalgoE4EjNS0_10empty_typeEbEEZZNS1_14partition_implILS8_4ELb0ES6_15HIP_vector_typeIjLj2EENS0_17counting_iteratorIjlEEPS9_SG_NS0_5tupleIJPjSI_NS0_16reverse_iteratorISI_EEEEENSH_IJSG_SG_SG_EEES9_SI_JZNS1_25segmented_radix_sort_implINS0_14default_configELb1EPKlPlSQ_SR_N2at6native12_GLOBAL__N_18offset_tEEE10hipError_tPvRmT1_PNSt15iterator_traitsISZ_E10value_typeET2_T3_PNS10_IS15_E10value_typeET4_jRbjT5_S1B_jjP12ihipStream_tbEUljE_ZNSN_ISO_Lb1ESQ_SR_SQ_SR_SV_EESW_SX_SY_SZ_S13_S14_S15_S18_S19_jS1A_jS1B_S1B_jjS1D_bEUljE0_EEESW_SX_SY_S15_S19_S1B_T6_T7_T9_mT8_S1D_bDpT10_ENKUlT_T0_E_clISt17integral_constantIbLb0EES1Q_IbLb1EEEEDaS1M_S1N_EUlS1M_E_NS1_11comp_targetILNS1_3genE2ELNS1_11target_archE906ELNS1_3gpuE6ELNS1_3repE0EEENS1_30default_config_static_selectorELNS0_4arch9wavefront6targetE0EEEvSZ_.num_agpr, 0
	.set _ZN7rocprim17ROCPRIM_400000_NS6detail17trampoline_kernelINS0_13select_configILj256ELj13ELNS0_17block_load_methodE3ELS4_3ELS4_3ELNS0_20block_scan_algorithmE0ELj4294967295EEENS1_25partition_config_selectorILNS1_17partition_subalgoE4EjNS0_10empty_typeEbEEZZNS1_14partition_implILS8_4ELb0ES6_15HIP_vector_typeIjLj2EENS0_17counting_iteratorIjlEEPS9_SG_NS0_5tupleIJPjSI_NS0_16reverse_iteratorISI_EEEEENSH_IJSG_SG_SG_EEES9_SI_JZNS1_25segmented_radix_sort_implINS0_14default_configELb1EPKlPlSQ_SR_N2at6native12_GLOBAL__N_18offset_tEEE10hipError_tPvRmT1_PNSt15iterator_traitsISZ_E10value_typeET2_T3_PNS10_IS15_E10value_typeET4_jRbjT5_S1B_jjP12ihipStream_tbEUljE_ZNSN_ISO_Lb1ESQ_SR_SQ_SR_SV_EESW_SX_SY_SZ_S13_S14_S15_S18_S19_jS1A_jS1B_S1B_jjS1D_bEUljE0_EEESW_SX_SY_S15_S19_S1B_T6_T7_T9_mT8_S1D_bDpT10_ENKUlT_T0_E_clISt17integral_constantIbLb0EES1Q_IbLb1EEEEDaS1M_S1N_EUlS1M_E_NS1_11comp_targetILNS1_3genE2ELNS1_11target_archE906ELNS1_3gpuE6ELNS1_3repE0EEENS1_30default_config_static_selectorELNS0_4arch9wavefront6targetE0EEEvSZ_.numbered_sgpr, 0
	.set _ZN7rocprim17ROCPRIM_400000_NS6detail17trampoline_kernelINS0_13select_configILj256ELj13ELNS0_17block_load_methodE3ELS4_3ELS4_3ELNS0_20block_scan_algorithmE0ELj4294967295EEENS1_25partition_config_selectorILNS1_17partition_subalgoE4EjNS0_10empty_typeEbEEZZNS1_14partition_implILS8_4ELb0ES6_15HIP_vector_typeIjLj2EENS0_17counting_iteratorIjlEEPS9_SG_NS0_5tupleIJPjSI_NS0_16reverse_iteratorISI_EEEEENSH_IJSG_SG_SG_EEES9_SI_JZNS1_25segmented_radix_sort_implINS0_14default_configELb1EPKlPlSQ_SR_N2at6native12_GLOBAL__N_18offset_tEEE10hipError_tPvRmT1_PNSt15iterator_traitsISZ_E10value_typeET2_T3_PNS10_IS15_E10value_typeET4_jRbjT5_S1B_jjP12ihipStream_tbEUljE_ZNSN_ISO_Lb1ESQ_SR_SQ_SR_SV_EESW_SX_SY_SZ_S13_S14_S15_S18_S19_jS1A_jS1B_S1B_jjS1D_bEUljE0_EEESW_SX_SY_S15_S19_S1B_T6_T7_T9_mT8_S1D_bDpT10_ENKUlT_T0_E_clISt17integral_constantIbLb0EES1Q_IbLb1EEEEDaS1M_S1N_EUlS1M_E_NS1_11comp_targetILNS1_3genE2ELNS1_11target_archE906ELNS1_3gpuE6ELNS1_3repE0EEENS1_30default_config_static_selectorELNS0_4arch9wavefront6targetE0EEEvSZ_.num_named_barrier, 0
	.set _ZN7rocprim17ROCPRIM_400000_NS6detail17trampoline_kernelINS0_13select_configILj256ELj13ELNS0_17block_load_methodE3ELS4_3ELS4_3ELNS0_20block_scan_algorithmE0ELj4294967295EEENS1_25partition_config_selectorILNS1_17partition_subalgoE4EjNS0_10empty_typeEbEEZZNS1_14partition_implILS8_4ELb0ES6_15HIP_vector_typeIjLj2EENS0_17counting_iteratorIjlEEPS9_SG_NS0_5tupleIJPjSI_NS0_16reverse_iteratorISI_EEEEENSH_IJSG_SG_SG_EEES9_SI_JZNS1_25segmented_radix_sort_implINS0_14default_configELb1EPKlPlSQ_SR_N2at6native12_GLOBAL__N_18offset_tEEE10hipError_tPvRmT1_PNSt15iterator_traitsISZ_E10value_typeET2_T3_PNS10_IS15_E10value_typeET4_jRbjT5_S1B_jjP12ihipStream_tbEUljE_ZNSN_ISO_Lb1ESQ_SR_SQ_SR_SV_EESW_SX_SY_SZ_S13_S14_S15_S18_S19_jS1A_jS1B_S1B_jjS1D_bEUljE0_EEESW_SX_SY_S15_S19_S1B_T6_T7_T9_mT8_S1D_bDpT10_ENKUlT_T0_E_clISt17integral_constantIbLb0EES1Q_IbLb1EEEEDaS1M_S1N_EUlS1M_E_NS1_11comp_targetILNS1_3genE2ELNS1_11target_archE906ELNS1_3gpuE6ELNS1_3repE0EEENS1_30default_config_static_selectorELNS0_4arch9wavefront6targetE0EEEvSZ_.private_seg_size, 0
	.set _ZN7rocprim17ROCPRIM_400000_NS6detail17trampoline_kernelINS0_13select_configILj256ELj13ELNS0_17block_load_methodE3ELS4_3ELS4_3ELNS0_20block_scan_algorithmE0ELj4294967295EEENS1_25partition_config_selectorILNS1_17partition_subalgoE4EjNS0_10empty_typeEbEEZZNS1_14partition_implILS8_4ELb0ES6_15HIP_vector_typeIjLj2EENS0_17counting_iteratorIjlEEPS9_SG_NS0_5tupleIJPjSI_NS0_16reverse_iteratorISI_EEEEENSH_IJSG_SG_SG_EEES9_SI_JZNS1_25segmented_radix_sort_implINS0_14default_configELb1EPKlPlSQ_SR_N2at6native12_GLOBAL__N_18offset_tEEE10hipError_tPvRmT1_PNSt15iterator_traitsISZ_E10value_typeET2_T3_PNS10_IS15_E10value_typeET4_jRbjT5_S1B_jjP12ihipStream_tbEUljE_ZNSN_ISO_Lb1ESQ_SR_SQ_SR_SV_EESW_SX_SY_SZ_S13_S14_S15_S18_S19_jS1A_jS1B_S1B_jjS1D_bEUljE0_EEESW_SX_SY_S15_S19_S1B_T6_T7_T9_mT8_S1D_bDpT10_ENKUlT_T0_E_clISt17integral_constantIbLb0EES1Q_IbLb1EEEEDaS1M_S1N_EUlS1M_E_NS1_11comp_targetILNS1_3genE2ELNS1_11target_archE906ELNS1_3gpuE6ELNS1_3repE0EEENS1_30default_config_static_selectorELNS0_4arch9wavefront6targetE0EEEvSZ_.uses_vcc, 0
	.set _ZN7rocprim17ROCPRIM_400000_NS6detail17trampoline_kernelINS0_13select_configILj256ELj13ELNS0_17block_load_methodE3ELS4_3ELS4_3ELNS0_20block_scan_algorithmE0ELj4294967295EEENS1_25partition_config_selectorILNS1_17partition_subalgoE4EjNS0_10empty_typeEbEEZZNS1_14partition_implILS8_4ELb0ES6_15HIP_vector_typeIjLj2EENS0_17counting_iteratorIjlEEPS9_SG_NS0_5tupleIJPjSI_NS0_16reverse_iteratorISI_EEEEENSH_IJSG_SG_SG_EEES9_SI_JZNS1_25segmented_radix_sort_implINS0_14default_configELb1EPKlPlSQ_SR_N2at6native12_GLOBAL__N_18offset_tEEE10hipError_tPvRmT1_PNSt15iterator_traitsISZ_E10value_typeET2_T3_PNS10_IS15_E10value_typeET4_jRbjT5_S1B_jjP12ihipStream_tbEUljE_ZNSN_ISO_Lb1ESQ_SR_SQ_SR_SV_EESW_SX_SY_SZ_S13_S14_S15_S18_S19_jS1A_jS1B_S1B_jjS1D_bEUljE0_EEESW_SX_SY_S15_S19_S1B_T6_T7_T9_mT8_S1D_bDpT10_ENKUlT_T0_E_clISt17integral_constantIbLb0EES1Q_IbLb1EEEEDaS1M_S1N_EUlS1M_E_NS1_11comp_targetILNS1_3genE2ELNS1_11target_archE906ELNS1_3gpuE6ELNS1_3repE0EEENS1_30default_config_static_selectorELNS0_4arch9wavefront6targetE0EEEvSZ_.uses_flat_scratch, 0
	.set _ZN7rocprim17ROCPRIM_400000_NS6detail17trampoline_kernelINS0_13select_configILj256ELj13ELNS0_17block_load_methodE3ELS4_3ELS4_3ELNS0_20block_scan_algorithmE0ELj4294967295EEENS1_25partition_config_selectorILNS1_17partition_subalgoE4EjNS0_10empty_typeEbEEZZNS1_14partition_implILS8_4ELb0ES6_15HIP_vector_typeIjLj2EENS0_17counting_iteratorIjlEEPS9_SG_NS0_5tupleIJPjSI_NS0_16reverse_iteratorISI_EEEEENSH_IJSG_SG_SG_EEES9_SI_JZNS1_25segmented_radix_sort_implINS0_14default_configELb1EPKlPlSQ_SR_N2at6native12_GLOBAL__N_18offset_tEEE10hipError_tPvRmT1_PNSt15iterator_traitsISZ_E10value_typeET2_T3_PNS10_IS15_E10value_typeET4_jRbjT5_S1B_jjP12ihipStream_tbEUljE_ZNSN_ISO_Lb1ESQ_SR_SQ_SR_SV_EESW_SX_SY_SZ_S13_S14_S15_S18_S19_jS1A_jS1B_S1B_jjS1D_bEUljE0_EEESW_SX_SY_S15_S19_S1B_T6_T7_T9_mT8_S1D_bDpT10_ENKUlT_T0_E_clISt17integral_constantIbLb0EES1Q_IbLb1EEEEDaS1M_S1N_EUlS1M_E_NS1_11comp_targetILNS1_3genE2ELNS1_11target_archE906ELNS1_3gpuE6ELNS1_3repE0EEENS1_30default_config_static_selectorELNS0_4arch9wavefront6targetE0EEEvSZ_.has_dyn_sized_stack, 0
	.set _ZN7rocprim17ROCPRIM_400000_NS6detail17trampoline_kernelINS0_13select_configILj256ELj13ELNS0_17block_load_methodE3ELS4_3ELS4_3ELNS0_20block_scan_algorithmE0ELj4294967295EEENS1_25partition_config_selectorILNS1_17partition_subalgoE4EjNS0_10empty_typeEbEEZZNS1_14partition_implILS8_4ELb0ES6_15HIP_vector_typeIjLj2EENS0_17counting_iteratorIjlEEPS9_SG_NS0_5tupleIJPjSI_NS0_16reverse_iteratorISI_EEEEENSH_IJSG_SG_SG_EEES9_SI_JZNS1_25segmented_radix_sort_implINS0_14default_configELb1EPKlPlSQ_SR_N2at6native12_GLOBAL__N_18offset_tEEE10hipError_tPvRmT1_PNSt15iterator_traitsISZ_E10value_typeET2_T3_PNS10_IS15_E10value_typeET4_jRbjT5_S1B_jjP12ihipStream_tbEUljE_ZNSN_ISO_Lb1ESQ_SR_SQ_SR_SV_EESW_SX_SY_SZ_S13_S14_S15_S18_S19_jS1A_jS1B_S1B_jjS1D_bEUljE0_EEESW_SX_SY_S15_S19_S1B_T6_T7_T9_mT8_S1D_bDpT10_ENKUlT_T0_E_clISt17integral_constantIbLb0EES1Q_IbLb1EEEEDaS1M_S1N_EUlS1M_E_NS1_11comp_targetILNS1_3genE2ELNS1_11target_archE906ELNS1_3gpuE6ELNS1_3repE0EEENS1_30default_config_static_selectorELNS0_4arch9wavefront6targetE0EEEvSZ_.has_recursion, 0
	.set _ZN7rocprim17ROCPRIM_400000_NS6detail17trampoline_kernelINS0_13select_configILj256ELj13ELNS0_17block_load_methodE3ELS4_3ELS4_3ELNS0_20block_scan_algorithmE0ELj4294967295EEENS1_25partition_config_selectorILNS1_17partition_subalgoE4EjNS0_10empty_typeEbEEZZNS1_14partition_implILS8_4ELb0ES6_15HIP_vector_typeIjLj2EENS0_17counting_iteratorIjlEEPS9_SG_NS0_5tupleIJPjSI_NS0_16reverse_iteratorISI_EEEEENSH_IJSG_SG_SG_EEES9_SI_JZNS1_25segmented_radix_sort_implINS0_14default_configELb1EPKlPlSQ_SR_N2at6native12_GLOBAL__N_18offset_tEEE10hipError_tPvRmT1_PNSt15iterator_traitsISZ_E10value_typeET2_T3_PNS10_IS15_E10value_typeET4_jRbjT5_S1B_jjP12ihipStream_tbEUljE_ZNSN_ISO_Lb1ESQ_SR_SQ_SR_SV_EESW_SX_SY_SZ_S13_S14_S15_S18_S19_jS1A_jS1B_S1B_jjS1D_bEUljE0_EEESW_SX_SY_S15_S19_S1B_T6_T7_T9_mT8_S1D_bDpT10_ENKUlT_T0_E_clISt17integral_constantIbLb0EES1Q_IbLb1EEEEDaS1M_S1N_EUlS1M_E_NS1_11comp_targetILNS1_3genE2ELNS1_11target_archE906ELNS1_3gpuE6ELNS1_3repE0EEENS1_30default_config_static_selectorELNS0_4arch9wavefront6targetE0EEEvSZ_.has_indirect_call, 0
	.section	.AMDGPU.csdata,"",@progbits
; Kernel info:
; codeLenInByte = 0
; TotalNumSgprs: 0
; NumVgprs: 0
; ScratchSize: 0
; MemoryBound: 0
; FloatMode: 240
; IeeeMode: 1
; LDSByteSize: 0 bytes/workgroup (compile time only)
; SGPRBlocks: 0
; VGPRBlocks: 0
; NumSGPRsForWavesPerEU: 1
; NumVGPRsForWavesPerEU: 1
; Occupancy: 16
; WaveLimiterHint : 0
; COMPUTE_PGM_RSRC2:SCRATCH_EN: 0
; COMPUTE_PGM_RSRC2:USER_SGPR: 2
; COMPUTE_PGM_RSRC2:TRAP_HANDLER: 0
; COMPUTE_PGM_RSRC2:TGID_X_EN: 1
; COMPUTE_PGM_RSRC2:TGID_Y_EN: 0
; COMPUTE_PGM_RSRC2:TGID_Z_EN: 0
; COMPUTE_PGM_RSRC2:TIDIG_COMP_CNT: 0
	.section	.text._ZN7rocprim17ROCPRIM_400000_NS6detail17trampoline_kernelINS0_13select_configILj256ELj13ELNS0_17block_load_methodE3ELS4_3ELS4_3ELNS0_20block_scan_algorithmE0ELj4294967295EEENS1_25partition_config_selectorILNS1_17partition_subalgoE4EjNS0_10empty_typeEbEEZZNS1_14partition_implILS8_4ELb0ES6_15HIP_vector_typeIjLj2EENS0_17counting_iteratorIjlEEPS9_SG_NS0_5tupleIJPjSI_NS0_16reverse_iteratorISI_EEEEENSH_IJSG_SG_SG_EEES9_SI_JZNS1_25segmented_radix_sort_implINS0_14default_configELb1EPKlPlSQ_SR_N2at6native12_GLOBAL__N_18offset_tEEE10hipError_tPvRmT1_PNSt15iterator_traitsISZ_E10value_typeET2_T3_PNS10_IS15_E10value_typeET4_jRbjT5_S1B_jjP12ihipStream_tbEUljE_ZNSN_ISO_Lb1ESQ_SR_SQ_SR_SV_EESW_SX_SY_SZ_S13_S14_S15_S18_S19_jS1A_jS1B_S1B_jjS1D_bEUljE0_EEESW_SX_SY_S15_S19_S1B_T6_T7_T9_mT8_S1D_bDpT10_ENKUlT_T0_E_clISt17integral_constantIbLb0EES1Q_IbLb1EEEEDaS1M_S1N_EUlS1M_E_NS1_11comp_targetILNS1_3genE10ELNS1_11target_archE1200ELNS1_3gpuE4ELNS1_3repE0EEENS1_30default_config_static_selectorELNS0_4arch9wavefront6targetE0EEEvSZ_,"axG",@progbits,_ZN7rocprim17ROCPRIM_400000_NS6detail17trampoline_kernelINS0_13select_configILj256ELj13ELNS0_17block_load_methodE3ELS4_3ELS4_3ELNS0_20block_scan_algorithmE0ELj4294967295EEENS1_25partition_config_selectorILNS1_17partition_subalgoE4EjNS0_10empty_typeEbEEZZNS1_14partition_implILS8_4ELb0ES6_15HIP_vector_typeIjLj2EENS0_17counting_iteratorIjlEEPS9_SG_NS0_5tupleIJPjSI_NS0_16reverse_iteratorISI_EEEEENSH_IJSG_SG_SG_EEES9_SI_JZNS1_25segmented_radix_sort_implINS0_14default_configELb1EPKlPlSQ_SR_N2at6native12_GLOBAL__N_18offset_tEEE10hipError_tPvRmT1_PNSt15iterator_traitsISZ_E10value_typeET2_T3_PNS10_IS15_E10value_typeET4_jRbjT5_S1B_jjP12ihipStream_tbEUljE_ZNSN_ISO_Lb1ESQ_SR_SQ_SR_SV_EESW_SX_SY_SZ_S13_S14_S15_S18_S19_jS1A_jS1B_S1B_jjS1D_bEUljE0_EEESW_SX_SY_S15_S19_S1B_T6_T7_T9_mT8_S1D_bDpT10_ENKUlT_T0_E_clISt17integral_constantIbLb0EES1Q_IbLb1EEEEDaS1M_S1N_EUlS1M_E_NS1_11comp_targetILNS1_3genE10ELNS1_11target_archE1200ELNS1_3gpuE4ELNS1_3repE0EEENS1_30default_config_static_selectorELNS0_4arch9wavefront6targetE0EEEvSZ_,comdat
	.globl	_ZN7rocprim17ROCPRIM_400000_NS6detail17trampoline_kernelINS0_13select_configILj256ELj13ELNS0_17block_load_methodE3ELS4_3ELS4_3ELNS0_20block_scan_algorithmE0ELj4294967295EEENS1_25partition_config_selectorILNS1_17partition_subalgoE4EjNS0_10empty_typeEbEEZZNS1_14partition_implILS8_4ELb0ES6_15HIP_vector_typeIjLj2EENS0_17counting_iteratorIjlEEPS9_SG_NS0_5tupleIJPjSI_NS0_16reverse_iteratorISI_EEEEENSH_IJSG_SG_SG_EEES9_SI_JZNS1_25segmented_radix_sort_implINS0_14default_configELb1EPKlPlSQ_SR_N2at6native12_GLOBAL__N_18offset_tEEE10hipError_tPvRmT1_PNSt15iterator_traitsISZ_E10value_typeET2_T3_PNS10_IS15_E10value_typeET4_jRbjT5_S1B_jjP12ihipStream_tbEUljE_ZNSN_ISO_Lb1ESQ_SR_SQ_SR_SV_EESW_SX_SY_SZ_S13_S14_S15_S18_S19_jS1A_jS1B_S1B_jjS1D_bEUljE0_EEESW_SX_SY_S15_S19_S1B_T6_T7_T9_mT8_S1D_bDpT10_ENKUlT_T0_E_clISt17integral_constantIbLb0EES1Q_IbLb1EEEEDaS1M_S1N_EUlS1M_E_NS1_11comp_targetILNS1_3genE10ELNS1_11target_archE1200ELNS1_3gpuE4ELNS1_3repE0EEENS1_30default_config_static_selectorELNS0_4arch9wavefront6targetE0EEEvSZ_ ; -- Begin function _ZN7rocprim17ROCPRIM_400000_NS6detail17trampoline_kernelINS0_13select_configILj256ELj13ELNS0_17block_load_methodE3ELS4_3ELS4_3ELNS0_20block_scan_algorithmE0ELj4294967295EEENS1_25partition_config_selectorILNS1_17partition_subalgoE4EjNS0_10empty_typeEbEEZZNS1_14partition_implILS8_4ELb0ES6_15HIP_vector_typeIjLj2EENS0_17counting_iteratorIjlEEPS9_SG_NS0_5tupleIJPjSI_NS0_16reverse_iteratorISI_EEEEENSH_IJSG_SG_SG_EEES9_SI_JZNS1_25segmented_radix_sort_implINS0_14default_configELb1EPKlPlSQ_SR_N2at6native12_GLOBAL__N_18offset_tEEE10hipError_tPvRmT1_PNSt15iterator_traitsISZ_E10value_typeET2_T3_PNS10_IS15_E10value_typeET4_jRbjT5_S1B_jjP12ihipStream_tbEUljE_ZNSN_ISO_Lb1ESQ_SR_SQ_SR_SV_EESW_SX_SY_SZ_S13_S14_S15_S18_S19_jS1A_jS1B_S1B_jjS1D_bEUljE0_EEESW_SX_SY_S15_S19_S1B_T6_T7_T9_mT8_S1D_bDpT10_ENKUlT_T0_E_clISt17integral_constantIbLb0EES1Q_IbLb1EEEEDaS1M_S1N_EUlS1M_E_NS1_11comp_targetILNS1_3genE10ELNS1_11target_archE1200ELNS1_3gpuE4ELNS1_3repE0EEENS1_30default_config_static_selectorELNS0_4arch9wavefront6targetE0EEEvSZ_
	.p2align	8
	.type	_ZN7rocprim17ROCPRIM_400000_NS6detail17trampoline_kernelINS0_13select_configILj256ELj13ELNS0_17block_load_methodE3ELS4_3ELS4_3ELNS0_20block_scan_algorithmE0ELj4294967295EEENS1_25partition_config_selectorILNS1_17partition_subalgoE4EjNS0_10empty_typeEbEEZZNS1_14partition_implILS8_4ELb0ES6_15HIP_vector_typeIjLj2EENS0_17counting_iteratorIjlEEPS9_SG_NS0_5tupleIJPjSI_NS0_16reverse_iteratorISI_EEEEENSH_IJSG_SG_SG_EEES9_SI_JZNS1_25segmented_radix_sort_implINS0_14default_configELb1EPKlPlSQ_SR_N2at6native12_GLOBAL__N_18offset_tEEE10hipError_tPvRmT1_PNSt15iterator_traitsISZ_E10value_typeET2_T3_PNS10_IS15_E10value_typeET4_jRbjT5_S1B_jjP12ihipStream_tbEUljE_ZNSN_ISO_Lb1ESQ_SR_SQ_SR_SV_EESW_SX_SY_SZ_S13_S14_S15_S18_S19_jS1A_jS1B_S1B_jjS1D_bEUljE0_EEESW_SX_SY_S15_S19_S1B_T6_T7_T9_mT8_S1D_bDpT10_ENKUlT_T0_E_clISt17integral_constantIbLb0EES1Q_IbLb1EEEEDaS1M_S1N_EUlS1M_E_NS1_11comp_targetILNS1_3genE10ELNS1_11target_archE1200ELNS1_3gpuE4ELNS1_3repE0EEENS1_30default_config_static_selectorELNS0_4arch9wavefront6targetE0EEEvSZ_,@function
_ZN7rocprim17ROCPRIM_400000_NS6detail17trampoline_kernelINS0_13select_configILj256ELj13ELNS0_17block_load_methodE3ELS4_3ELS4_3ELNS0_20block_scan_algorithmE0ELj4294967295EEENS1_25partition_config_selectorILNS1_17partition_subalgoE4EjNS0_10empty_typeEbEEZZNS1_14partition_implILS8_4ELb0ES6_15HIP_vector_typeIjLj2EENS0_17counting_iteratorIjlEEPS9_SG_NS0_5tupleIJPjSI_NS0_16reverse_iteratorISI_EEEEENSH_IJSG_SG_SG_EEES9_SI_JZNS1_25segmented_radix_sort_implINS0_14default_configELb1EPKlPlSQ_SR_N2at6native12_GLOBAL__N_18offset_tEEE10hipError_tPvRmT1_PNSt15iterator_traitsISZ_E10value_typeET2_T3_PNS10_IS15_E10value_typeET4_jRbjT5_S1B_jjP12ihipStream_tbEUljE_ZNSN_ISO_Lb1ESQ_SR_SQ_SR_SV_EESW_SX_SY_SZ_S13_S14_S15_S18_S19_jS1A_jS1B_S1B_jjS1D_bEUljE0_EEESW_SX_SY_S15_S19_S1B_T6_T7_T9_mT8_S1D_bDpT10_ENKUlT_T0_E_clISt17integral_constantIbLb0EES1Q_IbLb1EEEEDaS1M_S1N_EUlS1M_E_NS1_11comp_targetILNS1_3genE10ELNS1_11target_archE1200ELNS1_3gpuE4ELNS1_3repE0EEENS1_30default_config_static_selectorELNS0_4arch9wavefront6targetE0EEEvSZ_: ; @_ZN7rocprim17ROCPRIM_400000_NS6detail17trampoline_kernelINS0_13select_configILj256ELj13ELNS0_17block_load_methodE3ELS4_3ELS4_3ELNS0_20block_scan_algorithmE0ELj4294967295EEENS1_25partition_config_selectorILNS1_17partition_subalgoE4EjNS0_10empty_typeEbEEZZNS1_14partition_implILS8_4ELb0ES6_15HIP_vector_typeIjLj2EENS0_17counting_iteratorIjlEEPS9_SG_NS0_5tupleIJPjSI_NS0_16reverse_iteratorISI_EEEEENSH_IJSG_SG_SG_EEES9_SI_JZNS1_25segmented_radix_sort_implINS0_14default_configELb1EPKlPlSQ_SR_N2at6native12_GLOBAL__N_18offset_tEEE10hipError_tPvRmT1_PNSt15iterator_traitsISZ_E10value_typeET2_T3_PNS10_IS15_E10value_typeET4_jRbjT5_S1B_jjP12ihipStream_tbEUljE_ZNSN_ISO_Lb1ESQ_SR_SQ_SR_SV_EESW_SX_SY_SZ_S13_S14_S15_S18_S19_jS1A_jS1B_S1B_jjS1D_bEUljE0_EEESW_SX_SY_S15_S19_S1B_T6_T7_T9_mT8_S1D_bDpT10_ENKUlT_T0_E_clISt17integral_constantIbLb0EES1Q_IbLb1EEEEDaS1M_S1N_EUlS1M_E_NS1_11comp_targetILNS1_3genE10ELNS1_11target_archE1200ELNS1_3gpuE4ELNS1_3repE0EEENS1_30default_config_static_selectorELNS0_4arch9wavefront6targetE0EEEvSZ_
; %bb.0:
	s_clause 0x7
	s_load_b64 s[34:35], s[0:1], 0x10
	s_load_b128 s[28:31], s[0:1], 0x28
	s_load_b64 s[14:15], s[0:1], 0x38
	s_load_b128 s[24:27], s[0:1], 0x58
	s_load_b64 s[4:5], s[0:1], 0x68
	s_load_b64 s[36:37], s[0:1], 0x78
	;; [unrolled: 1-line block ×3, first 2 shown]
	s_load_b256 s[16:23], s[0:1], 0x90
	v_cmp_eq_u32_e64 s2, 0, v0
	s_and_saveexec_b32 s3, s2
	s_cbranch_execz .LBB669_4
; %bb.1:
	s_mov_b32 s7, exec_lo
	s_mov_b32 s6, exec_lo
	v_mbcnt_lo_u32_b32 v1, s7, 0
                                        ; implicit-def: $vgpr2
	s_delay_alu instid0(VALU_DEP_1)
	v_cmpx_eq_u32_e32 0, v1
	s_cbranch_execz .LBB669_3
; %bb.2:
	s_load_b64 s[8:9], s[0:1], 0x88
	s_bcnt1_i32_b32 s7, s7
	s_wait_alu 0xfffe
	v_dual_mov_b32 v2, 0 :: v_dual_mov_b32 v3, s7
	s_wait_kmcnt 0x0
	global_atomic_add_u32 v2, v2, v3, s[8:9] th:TH_ATOMIC_RETURN scope:SCOPE_DEV
.LBB669_3:
	s_or_b32 exec_lo, exec_lo, s6
	s_wait_loadcnt 0x0
	v_readfirstlane_b32 s6, v2
	s_wait_alu 0xf1ff
	s_delay_alu instid0(VALU_DEP_1)
	v_dual_mov_b32 v2, 0 :: v_dual_add_nc_u32 v1, s6, v1
	ds_store_b32 v2, v1
.LBB669_4:
	s_or_b32 exec_lo, exec_lo, s3
	v_mov_b32_e32 v1, 0
	s_clause 0x1
	s_load_b32 s3, s[0:1], 0x8
	s_load_b32 s0, s[0:1], 0x80
	s_wait_dscnt 0x0
	s_barrier_signal -1
	s_barrier_wait -1
	global_inv scope:SCOPE_SE
	ds_load_b32 v5, v1
	s_wait_loadcnt_dscnt 0x0
	s_barrier_signal -1
	s_barrier_wait -1
	global_inv scope:SCOPE_SE
	s_wait_kmcnt 0x0
	global_load_b128 v[1:4], v1, s[26:27]
	s_mov_b32 s1, 0
	s_add_co_i32 s3, s3, s34
	s_add_co_i32 s6, s0, -1
	s_mulk_i32 s0, 0xd00
	s_delay_alu instid0(SALU_CYCLE_1)
	s_add_co_i32 s7, s0, s34
	s_add_nc_u64 s[0:1], s[34:35], s[0:1]
	v_readfirstlane_b32 s33, v5
	v_cmp_gt_u64_e64 s0, s[4:5], s[0:1]
	s_wait_alu 0xfffe
	s_sub_co_i32 s27, s4, s7
	v_cmp_ne_u32_e32 vcc_lo, s6, v5
	v_mul_lo_u32 v43, 0xd00, v5
	s_addk_co_i32 s27, 0xd00
	s_cmp_eq_u32 s33, s6
	s_mov_b32 s4, -1
	s_cselect_b32 s26, -1, 0
	s_or_b32 s1, s0, vcc_lo
	s_wait_alu 0xfffe
	s_and_b32 vcc_lo, exec_lo, s1
	s_cbranch_vccz .LBB669_6
; %bb.5:
	v_add3_u32 v5, v43, s3, v0
	v_lshlrev_b32_e32 v14, 2, v0
	s_mov_b32 s4, 0
	s_delay_alu instid0(VALU_DEP_2)
	v_add_nc_u32_e32 v6, 0x100, v5
	v_add_nc_u32_e32 v7, 0x200, v5
	;; [unrolled: 1-line block ×12, first 2 shown]
	ds_store_2addr_stride64_b32 v14, v5, v6 offset1:4
	ds_store_2addr_stride64_b32 v14, v7, v8 offset0:8 offset1:12
	ds_store_2addr_stride64_b32 v14, v9, v10 offset0:16 offset1:20
	;; [unrolled: 1-line block ×5, first 2 shown]
	ds_store_b32 v14, v18 offset:12288
	s_wait_loadcnt_dscnt 0x0
	s_barrier_signal -1
	s_barrier_wait -1
.LBB669_6:
	v_cmp_gt_u32_e64 s0, s27, v0
	v_or_b32_e32 v42, 0x100, v0
	v_or_b32_e32 v41, 0x200, v0
	;; [unrolled: 1-line block ×12, first 2 shown]
	s_wait_alu 0xfffe
	s_and_not1_b32 vcc_lo, exec_lo, s4
	s_cbranch_vccnz .LBB669_8
; %bb.7:
	v_add_nc_u32_e32 v5, s3, v43
	v_cmp_gt_u32_e32 vcc_lo, s27, v42
	s_delay_alu instid0(VALU_DEP_2) | instskip(NEXT) | instid1(VALU_DEP_1)
	v_add_nc_u32_e32 v7, v5, v42
	v_dual_cndmask_b32 v7, 0, v7 :: v_dual_add_nc_u32 v8, v5, v41
	v_cmp_gt_u32_e32 vcc_lo, s27, v41
	s_wait_alu 0xfffd
	s_delay_alu instid0(VALU_DEP_2)
	v_cndmask_b32_e32 v8, 0, v8, vcc_lo
	v_cmp_gt_u32_e32 vcc_lo, s27, v40
	v_add_nc_u32_e32 v17, v5, v32
	v_add_nc_u32_e32 v14, v5, v35
	;; [unrolled: 1-line block ×9, first 2 shown]
	s_wait_alu 0xfffd
	v_cndmask_b32_e32 v9, 0, v9, vcc_lo
	v_cmp_gt_u32_e32 vcc_lo, s27, v39
	v_cndmask_b32_e64 v6, 0, v6, s0
	s_wait_alu 0xfffd
	v_cndmask_b32_e32 v10, 0, v10, vcc_lo
	v_cmp_gt_u32_e32 vcc_lo, s27, v38
	v_add_nc_u32_e32 v12, v5, v37
	v_add_nc_u32_e32 v5, v5, v31
	s_wait_alu 0xfffd
	v_cndmask_b32_e32 v11, 0, v11, vcc_lo
	v_cmp_gt_u32_e32 vcc_lo, s27, v37
	s_wait_alu 0xfffd
	v_cndmask_b32_e32 v12, 0, v12, vcc_lo
	v_cmp_gt_u32_e32 vcc_lo, s27, v36
	;; [unrolled: 3-line block ×7, first 2 shown]
	s_wait_alu 0xfffd
	v_dual_cndmask_b32 v5, 0, v5 :: v_dual_lshlrev_b32 v18, 2, v0
	ds_store_2addr_stride64_b32 v18, v6, v7 offset1:4
	ds_store_2addr_stride64_b32 v18, v8, v9 offset0:8 offset1:12
	ds_store_2addr_stride64_b32 v18, v10, v11 offset0:16 offset1:20
	ds_store_2addr_stride64_b32 v18, v12, v13 offset0:24 offset1:28
	ds_store_2addr_stride64_b32 v18, v14, v15 offset0:32 offset1:36
	ds_store_2addr_stride64_b32 v18, v16, v17 offset0:40 offset1:44
	ds_store_b32 v18, v5 offset:12288
	s_wait_loadcnt_dscnt 0x0
	s_barrier_signal -1
	s_barrier_wait -1
.LBB669_8:
	v_mul_u32_u24_e32 v46, 13, v0
	s_wait_loadcnt 0x0
	global_inv scope:SCOPE_SE
	v_cndmask_b32_e64 v44, 0, 1, s1
	s_and_not1_b32 vcc_lo, exec_lo, s1
	v_lshlrev_b32_e32 v5, 2, v46
	ds_load_2addr_b32 v[23:24], v5 offset1:1
	ds_load_2addr_b32 v[21:22], v5 offset0:2 offset1:3
	ds_load_2addr_b32 v[19:20], v5 offset0:4 offset1:5
	;; [unrolled: 1-line block ×5, first 2 shown]
	ds_load_b32 v45, v5 offset:48
	s_wait_loadcnt_dscnt 0x0
	s_barrier_signal -1
	s_barrier_wait -1
	global_inv scope:SCOPE_SE
	s_wait_alu 0xfffe
	s_cbranch_vccnz .LBB669_36
; %bb.9:
	v_add_nc_u32_e32 v5, s17, v23
	v_add_nc_u32_e32 v6, s19, v23
	s_mov_b32 s41, 0
	s_mov_b32 s40, 0
	s_mov_b32 s1, exec_lo
	v_mul_lo_u32 v5, v5, s16
	v_mul_lo_u32 v6, v6, s18
	s_delay_alu instid0(VALU_DEP_1) | instskip(NEXT) | instid1(VALU_DEP_1)
	v_sub_nc_u32_e32 v5, v5, v6
	v_cmp_lt_u32_e32 vcc_lo, s20, v5
	v_cmpx_ge_u32_e64 s20, v5
	s_cbranch_execz .LBB669_11
; %bb.10:
	v_add_nc_u32_e32 v5, s22, v23
	v_add_nc_u32_e32 v6, s38, v23
	s_delay_alu instid0(VALU_DEP_2) | instskip(NEXT) | instid1(VALU_DEP_2)
	v_mul_lo_u32 v5, v5, s21
	v_mul_lo_u32 v6, v6, s23
	s_delay_alu instid0(VALU_DEP_1) | instskip(NEXT) | instid1(VALU_DEP_1)
	v_sub_nc_u32_e32 v5, v5, v6
	v_cmp_lt_u32_e64 s0, s39, v5
	s_and_b32 s40, s0, exec_lo
.LBB669_11:
	s_wait_alu 0xfffe
	s_or_b32 exec_lo, exec_lo, s1
	v_add_nc_u32_e32 v5, s17, v24
	v_add_nc_u32_e32 v6, s19, v24
	s_mov_b32 s3, exec_lo
	s_delay_alu instid0(VALU_DEP_2) | instskip(NEXT) | instid1(VALU_DEP_2)
	v_mul_lo_u32 v5, v5, s16
	v_mul_lo_u32 v6, v6, s18
	s_delay_alu instid0(VALU_DEP_1) | instskip(NEXT) | instid1(VALU_DEP_1)
	v_sub_nc_u32_e32 v5, v5, v6
	v_cmp_lt_u32_e64 s0, s20, v5
	v_cmpx_ge_u32_e64 s20, v5
	s_cbranch_execz .LBB669_13
; %bb.12:
	v_add_nc_u32_e32 v5, s22, v24
	v_add_nc_u32_e32 v6, s38, v24
	s_delay_alu instid0(VALU_DEP_2) | instskip(NEXT) | instid1(VALU_DEP_2)
	v_mul_lo_u32 v5, v5, s21
	v_mul_lo_u32 v6, v6, s23
	s_delay_alu instid0(VALU_DEP_1) | instskip(NEXT) | instid1(VALU_DEP_1)
	v_sub_nc_u32_e32 v5, v5, v6
	v_cmp_lt_u32_e64 s1, s39, v5
	s_and_b32 s41, s1, exec_lo
.LBB669_13:
	s_wait_alu 0xfffe
	s_or_b32 exec_lo, exec_lo, s3
	v_add_nc_u32_e32 v5, s17, v21
	v_add_nc_u32_e32 v6, s19, v21
	s_mov_b32 s43, 0
	s_mov_b32 s42, 0
	s_mov_b32 s4, exec_lo
	v_mul_lo_u32 v5, v5, s16
	v_mul_lo_u32 v6, v6, s18
	s_delay_alu instid0(VALU_DEP_1) | instskip(NEXT) | instid1(VALU_DEP_1)
	v_sub_nc_u32_e32 v5, v5, v6
	v_cmp_lt_u32_e64 s1, s20, v5
	v_cmpx_ge_u32_e64 s20, v5
	s_cbranch_execz .LBB669_15
; %bb.14:
	v_add_nc_u32_e32 v5, s22, v21
	v_add_nc_u32_e32 v6, s38, v21
	s_delay_alu instid0(VALU_DEP_2) | instskip(NEXT) | instid1(VALU_DEP_2)
	v_mul_lo_u32 v5, v5, s21
	v_mul_lo_u32 v6, v6, s23
	s_delay_alu instid0(VALU_DEP_1) | instskip(NEXT) | instid1(VALU_DEP_1)
	v_sub_nc_u32_e32 v5, v5, v6
	v_cmp_lt_u32_e64 s3, s39, v5
	s_and_b32 s42, s3, exec_lo
.LBB669_15:
	s_wait_alu 0xfffe
	s_or_b32 exec_lo, exec_lo, s4
	v_add_nc_u32_e32 v5, s17, v22
	v_add_nc_u32_e32 v6, s19, v22
	s_mov_b32 s5, exec_lo
	s_delay_alu instid0(VALU_DEP_2) | instskip(NEXT) | instid1(VALU_DEP_2)
	v_mul_lo_u32 v5, v5, s16
	v_mul_lo_u32 v6, v6, s18
	s_delay_alu instid0(VALU_DEP_1) | instskip(NEXT) | instid1(VALU_DEP_1)
	v_sub_nc_u32_e32 v5, v5, v6
	v_cmp_lt_u32_e64 s3, s20, v5
	v_cmpx_ge_u32_e64 s20, v5
	s_cbranch_execz .LBB669_17
; %bb.16:
	v_add_nc_u32_e32 v5, s22, v22
	v_add_nc_u32_e32 v6, s38, v22
	s_delay_alu instid0(VALU_DEP_2) | instskip(NEXT) | instid1(VALU_DEP_2)
	v_mul_lo_u32 v5, v5, s21
	v_mul_lo_u32 v6, v6, s23
	s_delay_alu instid0(VALU_DEP_1) | instskip(NEXT) | instid1(VALU_DEP_1)
	v_sub_nc_u32_e32 v5, v5, v6
	v_cmp_lt_u32_e64 s4, s39, v5
	s_and_b32 s43, s4, exec_lo
.LBB669_17:
	s_wait_alu 0xfffe
	s_or_b32 exec_lo, exec_lo, s5
	v_add_nc_u32_e32 v5, s17, v19
	v_add_nc_u32_e32 v6, s19, v19
	s_mov_b32 s45, 0
	s_mov_b32 s44, 0
	s_mov_b32 s6, exec_lo
	v_mul_lo_u32 v5, v5, s16
	v_mul_lo_u32 v6, v6, s18
	s_delay_alu instid0(VALU_DEP_1) | instskip(NEXT) | instid1(VALU_DEP_1)
	v_sub_nc_u32_e32 v5, v5, v6
	v_cmp_lt_u32_e64 s4, s20, v5
	;; [unrolled: 49-line block ×3, first 2 shown]
	v_cmpx_ge_u32_e64 s20, v5
	s_cbranch_execz .LBB669_23
; %bb.22:
	v_add_nc_u32_e32 v5, s22, v17
	v_add_nc_u32_e32 v6, s38, v17
	s_delay_alu instid0(VALU_DEP_2) | instskip(NEXT) | instid1(VALU_DEP_2)
	v_mul_lo_u32 v5, v5, s21
	v_mul_lo_u32 v6, v6, s23
	s_delay_alu instid0(VALU_DEP_1) | instskip(NEXT) | instid1(VALU_DEP_1)
	v_sub_nc_u32_e32 v5, v5, v6
	v_cmp_lt_u32_e64 s7, s39, v5
	s_and_b32 s46, s7, exec_lo
.LBB669_23:
	s_or_b32 exec_lo, exec_lo, s8
	v_add_nc_u32_e32 v5, s17, v18
	v_add_nc_u32_e32 v6, s19, v18
	s_mov_b32 s9, exec_lo
	s_delay_alu instid0(VALU_DEP_2) | instskip(NEXT) | instid1(VALU_DEP_2)
	v_mul_lo_u32 v5, v5, s16
	v_mul_lo_u32 v6, v6, s18
	s_delay_alu instid0(VALU_DEP_1) | instskip(NEXT) | instid1(VALU_DEP_1)
	v_sub_nc_u32_e32 v5, v5, v6
	v_cmp_lt_u32_e64 s7, s20, v5
	v_cmpx_ge_u32_e64 s20, v5
	s_cbranch_execz .LBB669_25
; %bb.24:
	v_add_nc_u32_e32 v5, s22, v18
	v_add_nc_u32_e32 v6, s38, v18
	s_delay_alu instid0(VALU_DEP_2) | instskip(NEXT) | instid1(VALU_DEP_2)
	v_mul_lo_u32 v5, v5, s21
	v_mul_lo_u32 v6, v6, s23
	s_delay_alu instid0(VALU_DEP_1) | instskip(NEXT) | instid1(VALU_DEP_1)
	v_sub_nc_u32_e32 v5, v5, v6
	v_cmp_lt_u32_e64 s8, s39, v5
	s_and_b32 s47, s8, exec_lo
.LBB669_25:
	s_or_b32 exec_lo, exec_lo, s9
	v_add_nc_u32_e32 v5, s17, v15
	v_add_nc_u32_e32 v6, s19, v15
	s_mov_b32 s50, 0
	s_mov_b32 s49, 0
	s_mov_b32 s10, exec_lo
	v_mul_lo_u32 v5, v5, s16
	v_mul_lo_u32 v6, v6, s18
	s_delay_alu instid0(VALU_DEP_1) | instskip(NEXT) | instid1(VALU_DEP_1)
	v_sub_nc_u32_e32 v5, v5, v6
	v_cmp_lt_u32_e64 s8, s20, v5
	v_cmpx_ge_u32_e64 s20, v5
	s_cbranch_execz .LBB669_27
; %bb.26:
	v_add_nc_u32_e32 v5, s22, v15
	v_add_nc_u32_e32 v6, s38, v15
	s_delay_alu instid0(VALU_DEP_2) | instskip(NEXT) | instid1(VALU_DEP_2)
	v_mul_lo_u32 v5, v5, s21
	v_mul_lo_u32 v6, v6, s23
	s_delay_alu instid0(VALU_DEP_1) | instskip(NEXT) | instid1(VALU_DEP_1)
	v_sub_nc_u32_e32 v5, v5, v6
	v_cmp_lt_u32_e64 s9, s39, v5
	s_and_b32 s49, s9, exec_lo
.LBB669_27:
	s_or_b32 exec_lo, exec_lo, s10
	v_add_nc_u32_e32 v5, s17, v16
	v_add_nc_u32_e32 v6, s19, v16
	s_mov_b32 s11, exec_lo
	s_delay_alu instid0(VALU_DEP_2) | instskip(NEXT) | instid1(VALU_DEP_2)
	v_mul_lo_u32 v5, v5, s16
	v_mul_lo_u32 v6, v6, s18
	s_delay_alu instid0(VALU_DEP_1) | instskip(NEXT) | instid1(VALU_DEP_1)
	v_sub_nc_u32_e32 v5, v5, v6
	v_cmp_lt_u32_e64 s9, s20, v5
	v_cmpx_ge_u32_e64 s20, v5
	s_cbranch_execz .LBB669_29
; %bb.28:
	v_add_nc_u32_e32 v5, s22, v16
	v_add_nc_u32_e32 v6, s38, v16
	s_delay_alu instid0(VALU_DEP_2) | instskip(NEXT) | instid1(VALU_DEP_2)
	v_mul_lo_u32 v5, v5, s21
	v_mul_lo_u32 v6, v6, s23
	s_delay_alu instid0(VALU_DEP_1) | instskip(NEXT) | instid1(VALU_DEP_1)
	v_sub_nc_u32_e32 v5, v5, v6
	v_cmp_lt_u32_e64 s10, s39, v5
	s_and_b32 s50, s10, exec_lo
.LBB669_29:
	s_or_b32 exec_lo, exec_lo, s11
	v_add_nc_u32_e32 v5, s17, v13
	v_add_nc_u32_e32 v6, s19, v13
	s_mov_b32 s51, 0
	s_mov_b32 s52, 0
	s_mov_b32 s12, exec_lo
	v_mul_lo_u32 v5, v5, s16
	v_mul_lo_u32 v6, v6, s18
	s_delay_alu instid0(VALU_DEP_1) | instskip(NEXT) | instid1(VALU_DEP_1)
	v_sub_nc_u32_e32 v5, v5, v6
	v_cmp_lt_u32_e64 s10, s20, v5
	;; [unrolled: 47-line block ×3, first 2 shown]
	v_cmpx_ge_u32_e64 s20, v5
	s_cbranch_execz .LBB669_35
; %bb.34:
	v_add_nc_u32_e32 v5, s22, v45
	v_add_nc_u32_e32 v6, s38, v45
	s_delay_alu instid0(VALU_DEP_2) | instskip(NEXT) | instid1(VALU_DEP_2)
	v_mul_lo_u32 v5, v5, s21
	v_mul_lo_u32 v6, v6, s23
	s_delay_alu instid0(VALU_DEP_1) | instskip(NEXT) | instid1(VALU_DEP_1)
	v_sub_nc_u32_e32 v5, v5, v6
	v_cmp_lt_u32_e64 s13, s39, v5
	s_and_b32 s53, s13, exec_lo
.LBB669_35:
	s_or_b32 exec_lo, exec_lo, s54
	v_cndmask_b32_e64 v6, 0, 1, s0
	v_cndmask_b32_e64 v8, 0, 1, s3
	s_wait_alu 0xfffd
	v_cndmask_b32_e64 v5, 0, 1, vcc_lo
	v_cndmask_b32_e64 v7, 0, 1, s1
	v_cndmask_b32_e64 v10, 0, 1, s5
	v_lshlrev_b16 v6, 8, v6
	v_lshlrev_b16 v8, 8, v8
	s_wait_alu 0xf1ff
	v_cndmask_b32_e64 v12, 0, 1, s7
	v_cndmask_b32_e64 v26, 0, 1, s9
	;; [unrolled: 1-line block ×3, first 2 shown]
	v_or_b32_e32 v5, v5, v6
	v_or_b32_e32 v6, v7, v8
	v_cndmask_b32_e64 v56, 0, 1, s40
	v_cndmask_b32_e64 v9, 0, 1, s4
	;; [unrolled: 1-line block ×3, first 2 shown]
	v_and_b32_e32 v5, 0xffff, v5
	v_lshlrev_b32_e32 v6, 16, v6
	v_cndmask_b32_e64 v25, 0, 1, s8
	v_cndmask_b32_e64 v27, 0, 1, s10
	;; [unrolled: 1-line block ×8, first 2 shown]
	v_or_b32_e32 v47, v5, v6
	v_lshlrev_b16 v5, 8, v10
	v_lshlrev_b16 v6, 8, v12
	;; [unrolled: 1-line block ×5, first 2 shown]
	v_cndmask_b32_e64 v30, 0, 1, s50
	v_cndmask_b32_e64 v49, 0, 1, s47
	;; [unrolled: 1-line block ×5, first 2 shown]
	v_or_b32_e32 v5, v9, v5
	v_or_b32_e32 v6, v11, v6
	;; [unrolled: 1-line block ×5, first 2 shown]
	v_lshlrev_b16 v8, 8, v8
	v_lshlrev_b16 v12, 8, v54
	;; [unrolled: 1-line block ×5, first 2 shown]
	v_or_b32_e32 v8, v55, v8
	v_or_b32_e32 v7, v7, v12
	;; [unrolled: 1-line block ×5, first 2 shown]
	v_and_b32_e32 v5, 0xffff, v5
	v_lshlrev_b32_e32 v6, 16, v6
	v_and_b32_e32 v9, 0xffff, v9
	v_lshlrev_b32_e32 v10, 16, v10
	v_and_b32_e32 v11, 0xffff, v11
	v_lshlrev_b32_e32 v8, 16, v8
	v_and_b32_e32 v7, 0xffff, v7
	v_lshlrev_b32_e32 v12, 16, v12
	v_and_b32_e32 v25, 0xffff, v25
	v_lshlrev_b32_e32 v26, 16, v26
	v_cndmask_b32_e64 v50, 0, 1, s51
	v_cndmask_b32_e64 v53, 0, 1, s53
	v_or_b32_e32 v49, v5, v6
	v_or_b32_e32 v52, v9, v10
	;; [unrolled: 1-line block ×5, first 2 shown]
	s_and_b32 vcc_lo, exec_lo, s48
	s_wait_alu 0xfffe
	s_cbranch_vccnz .LBB669_37
	s_branch .LBB669_114
.LBB669_36:
                                        ; implicit-def: $vgpr53
                                        ; implicit-def: $vgpr50
                                        ; implicit-def: $vgpr51
                                        ; implicit-def: $vgpr48
                                        ; implicit-def: $vgpr54
                                        ; implicit-def: $vgpr52
                                        ; implicit-def: $vgpr49
                                        ; implicit-def: $vgpr47
	s_cbranch_execz .LBB669_114
.LBB669_37:
	v_dual_mov_b32 v6, 0 :: v_dual_mov_b32 v5, 0
	s_mov_b32 s1, exec_lo
	v_cmpx_gt_u32_e64 s27, v46
	s_cbranch_execz .LBB669_41
; %bb.38:
	v_add_nc_u32_e32 v5, s17, v23
	v_add_nc_u32_e32 v6, s19, v23
	s_mov_b32 s4, 0
	s_mov_b32 s3, exec_lo
	s_delay_alu instid0(VALU_DEP_2) | instskip(NEXT) | instid1(VALU_DEP_2)
	v_mul_lo_u32 v5, v5, s16
	v_mul_lo_u32 v6, v6, s18
	s_delay_alu instid0(VALU_DEP_1) | instskip(NEXT) | instid1(VALU_DEP_1)
	v_sub_nc_u32_e32 v5, v5, v6
	v_cmp_lt_u32_e32 vcc_lo, s20, v5
	v_cmpx_ge_u32_e64 s20, v5
	s_cbranch_execz .LBB669_40
; %bb.39:
	v_add_nc_u32_e32 v5, s22, v23
	v_add_nc_u32_e32 v6, s38, v23
	s_delay_alu instid0(VALU_DEP_2) | instskip(NEXT) | instid1(VALU_DEP_2)
	v_mul_lo_u32 v5, v5, s21
	v_mul_lo_u32 v6, v6, s23
	s_delay_alu instid0(VALU_DEP_1) | instskip(NEXT) | instid1(VALU_DEP_1)
	v_sub_nc_u32_e32 v5, v5, v6
	v_cmp_lt_u32_e64 s0, s39, v5
	s_and_b32 s4, s0, exec_lo
.LBB669_40:
	s_wait_alu 0xfffe
	s_or_b32 exec_lo, exec_lo, s3
	v_cndmask_b32_e64 v6, 0, 1, s4
	s_wait_alu 0xfffd
	v_cndmask_b32_e64 v5, 0, 1, vcc_lo
.LBB669_41:
	s_wait_alu 0xfffe
	s_or_b32 exec_lo, exec_lo, s1
	v_lshlrev_b16 v6, 8, v6
	v_add_nc_u32_e32 v7, 1, v46
	v_and_b32_e32 v10, 0xff, v5
	v_lshlrev_b16 v5, 8, 0
                                        ; implicit-def: $vgpr9
                                        ; implicit-def: $vgpr12
                                        ; implicit-def: $vgpr8
	s_delay_alu instid0(VALU_DEP_4) | instskip(NEXT) | instid1(VALU_DEP_4)
	v_and_b32_e32 v6, 0xffff, v6
	v_cmp_le_u32_e32 vcc_lo, s27, v7
                                        ; implicit-def: $vgpr7
	s_delay_alu instid0(VALU_DEP_2)
	v_lshrrev_b32_e32 v25, 8, v6
	v_and_b32_e32 v11, 0xff, v6
                                        ; implicit-def: $vgpr6
	s_and_saveexec_b32 s0, vcc_lo
	s_wait_alu 0xfffe
	s_xor_b32 s0, exec_lo, s0
	s_cbranch_execz .LBB669_43
; %bb.42:
	v_lshlrev_b16 v6, 8, v25
	v_and_b32_e32 v8, 0xffff, v5
                                        ; implicit-def: $vgpr25
	v_mov_b32_e32 v9, 0
	s_delay_alu instid0(VALU_DEP_3) | instskip(SKIP_1) | instid1(VALU_DEP_2)
	v_or_b32_e32 v7, v11, v6
	v_mov_b32_e32 v6, 0
                                        ; implicit-def: $vgpr11
	v_and_b32_e32 v12, 0xffff, v7
	v_and_b32_e32 v7, 0xffff, v5
                                        ; implicit-def: $vgpr5
.LBB669_43:
	s_wait_alu 0xfffe
	s_and_not1_saveexec_b32 s1, s0
	s_cbranch_execz .LBB669_47
; %bb.44:
	v_add_nc_u32_e32 v6, s17, v24
	v_add_nc_u32_e32 v7, s19, v24
	s_mov_b32 s3, 0
	s_mov_b32 s4, exec_lo
	s_delay_alu instid0(VALU_DEP_2) | instskip(NEXT) | instid1(VALU_DEP_2)
	v_mul_lo_u32 v6, v6, s16
	v_mul_lo_u32 v7, v7, s18
	s_delay_alu instid0(VALU_DEP_1) | instskip(NEXT) | instid1(VALU_DEP_1)
	v_sub_nc_u32_e32 v6, v6, v7
	v_cmp_lt_u32_e32 vcc_lo, s20, v6
	v_cmpx_ge_u32_e64 s20, v6
	s_cbranch_execz .LBB669_46
; %bb.45:
	v_add_nc_u32_e32 v6, s22, v24
	v_add_nc_u32_e32 v7, s38, v24
	s_delay_alu instid0(VALU_DEP_2) | instskip(NEXT) | instid1(VALU_DEP_2)
	v_mul_lo_u32 v6, v6, s21
	v_mul_lo_u32 v7, v7, s23
	s_delay_alu instid0(VALU_DEP_1) | instskip(NEXT) | instid1(VALU_DEP_1)
	v_sub_nc_u32_e32 v6, v6, v7
	v_cmp_lt_u32_e64 s0, s39, v6
	s_and_b32 s3, s0, exec_lo
.LBB669_46:
	s_wait_alu 0xfffe
	s_or_b32 exec_lo, exec_lo, s4
	s_wait_alu 0xfffd
	v_cndmask_b32_e64 v6, 0, 1, vcc_lo
	v_lshlrev_b16 v7, 8, v25
	v_dual_mov_b32 v9, 0 :: v_dual_and_b32 v8, 0xffff, v5
	s_delay_alu instid0(VALU_DEP_3) | instskip(NEXT) | instid1(VALU_DEP_3)
	v_lshlrev_b16 v6, 8, v6
	v_or_b32_e32 v7, v11, v7
	v_cndmask_b32_e64 v11, 0, 1, s3
	s_delay_alu instid0(VALU_DEP_3) | instskip(NEXT) | instid1(VALU_DEP_3)
	v_or_b32_e32 v10, v10, v6
	v_dual_mov_b32 v6, 0 :: v_dual_and_b32 v7, 0xffff, v7
	s_delay_alu instid0(VALU_DEP_2) | instskip(NEXT) | instid1(VALU_DEP_2)
	v_and_b32_e32 v10, 0xffff, v10
	v_lshl_or_b32 v12, v11, 16, v7
	v_and_b32_e32 v7, 0xffff, v5
.LBB669_47:
	s_wait_alu 0xfffe
	s_or_b32 exec_lo, exec_lo, s1
	v_add_nc_u32_e32 v5, 2, v46
	v_and_b32_e32 v25, 0xff, v10
	v_lshrrev_b32_e32 v26, 8, v10
                                        ; implicit-def: $vgpr11
	s_delay_alu instid0(VALU_DEP_3)
	v_cmp_le_u32_e32 vcc_lo, s27, v5
                                        ; implicit-def: $vgpr5
	s_and_saveexec_b32 s0, vcc_lo
	s_wait_alu 0xfffe
	s_xor_b32 s0, exec_lo, s0
	s_cbranch_execz .LBB669_49
; %bb.48:
	v_lshlrev_b16 v5, 8, v26
	v_perm_b32 v8, v8, v8, 0x3060504
                                        ; implicit-def: $vgpr26
	s_delay_alu instid0(VALU_DEP_2) | instskip(SKIP_1) | instid1(VALU_DEP_2)
	v_or_b32_e32 v5, v25, v5
	v_and_b32_e32 v25, 0xff0000, v12
	v_and_b32_e32 v5, 0xffff, v5
	s_delay_alu instid0(VALU_DEP_1) | instskip(NEXT) | instid1(VALU_DEP_3)
	v_and_or_b32 v11, 0xff000000, v10, v5
	v_perm_b32 v5, v12, v25, 0x3020504
                                        ; implicit-def: $vgpr25
                                        ; implicit-def: $vgpr10
                                        ; implicit-def: $vgpr12
.LBB669_49:
	s_wait_alu 0xfffe
	s_and_not1_saveexec_b32 s1, s0
	s_cbranch_execz .LBB669_53
; %bb.50:
	v_add_nc_u32_e32 v5, s17, v21
	v_add_nc_u32_e32 v11, s19, v21
	s_mov_b32 s3, 0
	s_mov_b32 s4, exec_lo
	s_delay_alu instid0(VALU_DEP_2) | instskip(NEXT) | instid1(VALU_DEP_2)
	v_mul_lo_u32 v5, v5, s16
	v_mul_lo_u32 v11, v11, s18
	s_delay_alu instid0(VALU_DEP_1) | instskip(NEXT) | instid1(VALU_DEP_1)
	v_sub_nc_u32_e32 v5, v5, v11
	v_cmp_lt_u32_e32 vcc_lo, s20, v5
	v_cmpx_ge_u32_e64 s20, v5
	s_cbranch_execz .LBB669_52
; %bb.51:
	v_add_nc_u32_e32 v5, s22, v21
	v_add_nc_u32_e32 v11, s38, v21
	s_delay_alu instid0(VALU_DEP_2) | instskip(NEXT) | instid1(VALU_DEP_2)
	v_mul_lo_u32 v5, v5, s21
	v_mul_lo_u32 v11, v11, s23
	s_delay_alu instid0(VALU_DEP_1) | instskip(NEXT) | instid1(VALU_DEP_1)
	v_sub_nc_u32_e32 v5, v5, v11
	v_cmp_lt_u32_e64 s0, s39, v5
	s_and_b32 s3, s0, exec_lo
.LBB669_52:
	s_wait_alu 0xfffe
	s_or_b32 exec_lo, exec_lo, s4
	v_lshrrev_b32_e32 v10, 24, v10
	v_cndmask_b32_e64 v11, 0, 1, s3
	v_lshrrev_b32_e32 v27, 8, v12
	v_lshrrev_b32_e32 v28, 16, v12
	s_wait_alu 0xfffd
	v_cndmask_b32_e64 v5, 0, 1, vcc_lo
	v_lshlrev_b16 v26, 8, v26
	v_lshlrev_b16 v10, 8, v10
	v_and_b32_e32 v12, 0xff, v12
	v_lshlrev_b16 v27, 8, v27
	v_lshlrev_b16 v11, 8, v11
	v_and_b32_e32 v28, 0xff, v28
	v_or_b32_e32 v25, v25, v26
	v_or_b32_e32 v5, v5, v10
	;; [unrolled: 1-line block ×3, first 2 shown]
	s_delay_alu instid0(VALU_DEP_4) | instskip(NEXT) | instid1(VALU_DEP_4)
	v_or_b32_e32 v11, v28, v11
	v_and_b32_e32 v12, 0xffff, v25
	s_delay_alu instid0(VALU_DEP_4) | instskip(NEXT) | instid1(VALU_DEP_4)
	v_lshlrev_b32_e32 v5, 16, v5
	v_and_b32_e32 v10, 0xffff, v10
	s_delay_alu instid0(VALU_DEP_4) | instskip(NEXT) | instid1(VALU_DEP_3)
	v_lshlrev_b32_e32 v25, 16, v11
	v_or_b32_e32 v11, v12, v5
	s_delay_alu instid0(VALU_DEP_2)
	v_or_b32_e32 v5, v10, v25
.LBB669_53:
	s_wait_alu 0xfffe
	s_or_b32 exec_lo, exec_lo, s1
	v_add_nc_u32_e32 v10, 3, v46
	v_lshrrev_b32_e32 v12, 24, v9
	v_lshrrev_b32_e32 v25, 16, v9
	;; [unrolled: 1-line block ×3, first 2 shown]
                                        ; implicit-def: $vgpr47
	s_delay_alu instid0(VALU_DEP_4)
	v_cmp_le_u32_e32 vcc_lo, s27, v10
                                        ; implicit-def: $vgpr10
	s_and_saveexec_b32 s0, vcc_lo
	s_wait_alu 0xfffe
	s_xor_b32 s0, exec_lo, s0
	s_cbranch_execz .LBB669_55
; %bb.54:
	v_lshlrev_b16 v10, 8, v12
	v_and_b32_e32 v12, 0xff, v25
	v_lshlrev_b16 v9, 8, v9
	v_perm_b32 v8, v8, v8, 0x3060504
	v_perm_b32 v7, v7, v7, 0x3060504
                                        ; implicit-def: $vgpr25
	s_delay_alu instid0(VALU_DEP_4) | instskip(SKIP_2) | instid1(VALU_DEP_3)
	v_or_b32_e32 v10, v12, v10
	v_and_b32_e32 v12, 0xff0000, v11
	v_and_b32_e32 v9, 0xffff, v9
	v_lshlrev_b32_e32 v10, 16, v10
	s_delay_alu instid0(VALU_DEP_3) | instskip(NEXT) | instid1(VALU_DEP_2)
	v_perm_b32 v47, v11, v12, 0x3020504
                                        ; implicit-def: $vgpr11
                                        ; implicit-def: $vgpr12
	v_or_b32_e32 v10, v9, v10
                                        ; implicit-def: $vgpr9
.LBB669_55:
	s_wait_alu 0xfffe
	s_and_not1_saveexec_b32 s1, s0
	s_cbranch_execz .LBB669_59
; %bb.56:
	v_add_nc_u32_e32 v10, s17, v22
	v_add_nc_u32_e32 v26, s19, v22
	s_mov_b32 s3, 0
	s_mov_b32 s4, exec_lo
	s_delay_alu instid0(VALU_DEP_2) | instskip(NEXT) | instid1(VALU_DEP_2)
	v_mul_lo_u32 v10, v10, s16
	v_mul_lo_u32 v26, v26, s18
	s_delay_alu instid0(VALU_DEP_1) | instskip(NEXT) | instid1(VALU_DEP_1)
	v_sub_nc_u32_e32 v10, v10, v26
	v_cmp_lt_u32_e32 vcc_lo, s20, v10
	v_cmpx_ge_u32_e64 s20, v10
	s_cbranch_execz .LBB669_58
; %bb.57:
	v_add_nc_u32_e32 v10, s22, v22
	v_add_nc_u32_e32 v26, s38, v22
	s_delay_alu instid0(VALU_DEP_2) | instskip(NEXT) | instid1(VALU_DEP_2)
	v_mul_lo_u32 v10, v10, s21
	v_mul_lo_u32 v26, v26, s23
	s_delay_alu instid0(VALU_DEP_1) | instskip(NEXT) | instid1(VALU_DEP_1)
	v_sub_nc_u32_e32 v10, v10, v26
	v_cmp_lt_u32_e64 s0, s39, v10
	s_and_b32 s3, s0, exec_lo
.LBB669_58:
	s_wait_alu 0xfffe
	s_or_b32 exec_lo, exec_lo, s4
	v_lshrrev_b32_e32 v10, 8, v11
	s_wait_alu 0xfffd
	v_cndmask_b32_e64 v26, 0, 1, vcc_lo
	v_lshrrev_b32_e32 v27, 16, v11
	v_cndmask_b32_e64 v28, 0, 1, s3
	v_and_b32_e32 v11, 0xff, v11
	v_lshlrev_b16 v10, 8, v10
	v_lshlrev_b16 v26, 8, v26
	v_and_b32_e32 v27, 0xff, v27
	v_lshlrev_b16 v12, 8, v12
	v_and_b32_e32 v25, 0xff, v25
	v_lshlrev_b16 v9, 8, v9
	v_or_b32_e32 v10, v11, v10
	v_or_b32_e32 v11, v27, v26
	s_delay_alu instid0(VALU_DEP_4) | instskip(NEXT) | instid1(VALU_DEP_4)
	v_or_b32_e32 v12, v25, v12
	v_or_b32_e32 v9, v28, v9
	s_delay_alu instid0(VALU_DEP_4) | instskip(NEXT) | instid1(VALU_DEP_4)
	v_and_b32_e32 v10, 0xffff, v10
	v_lshlrev_b32_e32 v11, 16, v11
	s_delay_alu instid0(VALU_DEP_4) | instskip(NEXT) | instid1(VALU_DEP_4)
	v_lshlrev_b32_e32 v12, 16, v12
	v_and_b32_e32 v9, 0xffff, v9
	s_delay_alu instid0(VALU_DEP_3) | instskip(NEXT) | instid1(VALU_DEP_2)
	v_or_b32_e32 v47, v10, v11
	v_or_b32_e32 v10, v9, v12
.LBB669_59:
	s_wait_alu 0xfffe
	s_or_b32 exec_lo, exec_lo, s1
	v_add_nc_u32_e32 v9, 4, v46
	v_lshrrev_b32_e32 v25, 8, v8
	v_lshrrev_b32_e32 v26, 16, v8
	;; [unrolled: 1-line block ×4, first 2 shown]
	v_cmp_le_u32_e32 vcc_lo, s27, v9
	v_lshrrev_b32_e32 v12, 16, v10
                                        ; implicit-def: $vgpr8
                                        ; implicit-def: $vgpr9
	s_and_saveexec_b32 s0, vcc_lo
	s_wait_alu 0xfffe
	s_xor_b32 s0, exec_lo, s0
	s_cbranch_execz .LBB669_61
; %bb.60:
	v_lshlrev_b16 v8, 8, v27
	v_and_b32_e32 v9, 0xff, v26
	v_lshlrev_b16 v25, 8, v25
	v_lshlrev_b16 v11, 8, v11
	v_and_b32_e32 v12, 0xff, v12
	v_perm_b32 v7, v7, v7, 0x3060504
	v_or_b32_e32 v8, v9, v8
	v_and_b32_e32 v9, 0xffff, v25
                                        ; implicit-def: $vgpr25
                                        ; implicit-def: $vgpr26
                                        ; implicit-def: $vgpr27
	s_delay_alu instid0(VALU_DEP_4) | instskip(NEXT) | instid1(VALU_DEP_3)
	v_or_b32_e32 v11, v12, v11
	v_lshlrev_b32_e32 v12, 16, v8
	s_delay_alu instid0(VALU_DEP_2) | instskip(NEXT) | instid1(VALU_DEP_2)
	v_perm_b32 v8, v11, v10, 0x5040c00
                                        ; implicit-def: $vgpr10
                                        ; implicit-def: $vgpr11
	v_or_b32_e32 v9, v9, v12
                                        ; implicit-def: $vgpr12
.LBB669_61:
	s_wait_alu 0xfffe
	s_and_not1_saveexec_b32 s1, s0
	s_cbranch_execz .LBB669_65
; %bb.62:
	v_add_nc_u32_e32 v8, s17, v19
	v_add_nc_u32_e32 v9, s19, v19
	s_mov_b32 s3, 0
	s_mov_b32 s4, exec_lo
	s_delay_alu instid0(VALU_DEP_2) | instskip(NEXT) | instid1(VALU_DEP_2)
	v_mul_lo_u32 v8, v8, s16
	v_mul_lo_u32 v9, v9, s18
	s_delay_alu instid0(VALU_DEP_1) | instskip(NEXT) | instid1(VALU_DEP_1)
	v_sub_nc_u32_e32 v8, v8, v9
	v_cmp_lt_u32_e32 vcc_lo, s20, v8
	v_cmpx_ge_u32_e64 s20, v8
	s_cbranch_execz .LBB669_64
; %bb.63:
	v_add_nc_u32_e32 v8, s22, v19
	v_add_nc_u32_e32 v9, s38, v19
	s_delay_alu instid0(VALU_DEP_2) | instskip(NEXT) | instid1(VALU_DEP_2)
	v_mul_lo_u32 v8, v8, s21
	v_mul_lo_u32 v9, v9, s23
	s_delay_alu instid0(VALU_DEP_1) | instskip(NEXT) | instid1(VALU_DEP_1)
	v_sub_nc_u32_e32 v8, v8, v9
	v_cmp_lt_u32_e64 s0, s39, v8
	s_and_b32 s3, s0, exec_lo
.LBB669_64:
	s_wait_alu 0xfffe
	s_or_b32 exec_lo, exec_lo, s4
	v_cndmask_b32_e64 v8, 0, 1, s3
	s_wait_alu 0xfffd
	v_cndmask_b32_e64 v9, 0, 1, vcc_lo
	v_lshlrev_b16 v27, 8, v27
	v_and_b32_e32 v26, 0xff, v26
	v_lshlrev_b16 v25, 8, v25
	v_lshlrev_b16 v8, 8, v8
	v_and_b32_e32 v10, 0xff, v10
	v_lshlrev_b16 v11, 8, v11
	v_and_b32_e32 v12, 0xff, v12
	v_or_b32_e32 v26, v26, v27
	v_or_b32_e32 v9, v9, v25
	;; [unrolled: 1-line block ×3, first 2 shown]
	s_delay_alu instid0(VALU_DEP_4) | instskip(NEXT) | instid1(VALU_DEP_4)
	v_or_b32_e32 v10, v12, v11
	v_lshlrev_b32_e32 v11, 16, v26
	s_delay_alu instid0(VALU_DEP_4) | instskip(NEXT) | instid1(VALU_DEP_4)
	v_and_b32_e32 v9, 0xffff, v9
	v_and_b32_e32 v8, 0xffff, v8
	s_delay_alu instid0(VALU_DEP_4) | instskip(NEXT) | instid1(VALU_DEP_3)
	v_lshlrev_b32_e32 v10, 16, v10
	v_or_b32_e32 v9, v9, v11
	s_delay_alu instid0(VALU_DEP_2)
	v_or_b32_e32 v8, v8, v10
.LBB669_65:
	s_wait_alu 0xfffe
	s_or_b32 exec_lo, exec_lo, s1
	v_add_nc_u32_e32 v10, 5, v46
	v_lshrrev_b32_e32 v25, 16, v9
	v_lshrrev_b32_e32 v27, 24, v9
	v_and_b32_e32 v12, 0xff, v8
	v_lshrrev_b32_e32 v26, 8, v8
	v_cmp_le_u32_e32 vcc_lo, s27, v10
                                        ; implicit-def: $vgpr10
                                        ; implicit-def: $vgpr11
	s_and_saveexec_b32 s0, vcc_lo
	s_wait_alu 0xfffe
	s_xor_b32 s0, exec_lo, s0
	s_cbranch_execz .LBB669_67
; %bb.66:
	v_lshlrev_b16 v10, 8, v26
	v_lshlrev_b16 v11, 8, v27
	v_and_b32_e32 v25, 0xff, v25
	v_perm_b32 v7, v7, v7, 0x3060504
                                        ; implicit-def: $vgpr27
                                        ; implicit-def: $vgpr26
	s_delay_alu instid0(VALU_DEP_4) | instskip(NEXT) | instid1(VALU_DEP_3)
	v_or_b32_e32 v10, v12, v10
                                        ; implicit-def: $vgpr12
	v_or_b32_e32 v11, v25, v11
                                        ; implicit-def: $vgpr25
	s_delay_alu instid0(VALU_DEP_2) | instskip(NEXT) | instid1(VALU_DEP_2)
	v_and_b32_e32 v10, 0xffff, v10
	v_perm_b32 v11, v11, v9, 0x5040c00
                                        ; implicit-def: $vgpr9
	s_delay_alu instid0(VALU_DEP_2)
	v_and_or_b32 v10, 0xff000000, v8, v10
                                        ; implicit-def: $vgpr8
.LBB669_67:
	s_wait_alu 0xfffe
	s_and_not1_saveexec_b32 s1, s0
	s_cbranch_execz .LBB669_71
; %bb.68:
	v_add_nc_u32_e32 v10, s17, v20
	v_add_nc_u32_e32 v11, s19, v20
	s_mov_b32 s3, 0
	s_mov_b32 s4, exec_lo
	s_delay_alu instid0(VALU_DEP_2) | instskip(NEXT) | instid1(VALU_DEP_2)
	v_mul_lo_u32 v10, v10, s16
	v_mul_lo_u32 v11, v11, s18
	s_delay_alu instid0(VALU_DEP_1) | instskip(NEXT) | instid1(VALU_DEP_1)
	v_sub_nc_u32_e32 v10, v10, v11
	v_cmp_lt_u32_e32 vcc_lo, s20, v10
	v_cmpx_ge_u32_e64 s20, v10
	s_cbranch_execz .LBB669_70
; %bb.69:
	v_add_nc_u32_e32 v10, s22, v20
	v_add_nc_u32_e32 v11, s38, v20
	s_delay_alu instid0(VALU_DEP_2) | instskip(NEXT) | instid1(VALU_DEP_2)
	v_mul_lo_u32 v10, v10, s21
	v_mul_lo_u32 v11, v11, s23
	s_delay_alu instid0(VALU_DEP_1) | instskip(NEXT) | instid1(VALU_DEP_1)
	v_sub_nc_u32_e32 v10, v10, v11
	v_cmp_lt_u32_e64 s0, s39, v10
	s_and_b32 s3, s0, exec_lo
.LBB669_70:
	s_wait_alu 0xfffe
	s_or_b32 exec_lo, exec_lo, s4
	s_wait_alu 0xfffd
	v_cndmask_b32_e64 v10, 0, 1, vcc_lo
	v_lshrrev_b32_e32 v8, 24, v8
	v_cndmask_b32_e64 v11, 0, 1, s3
	v_lshlrev_b16 v27, 8, v27
	v_and_b32_e32 v25, 0xff, v25
	v_lshlrev_b16 v10, 8, v10
	v_lshlrev_b16 v26, 8, v26
	v_and_b32_e32 v9, 0xff, v9
	v_lshlrev_b16 v8, 8, v8
	v_or_b32_e32 v25, v25, v27
	s_delay_alu instid0(VALU_DEP_4) | instskip(NEXT) | instid1(VALU_DEP_4)
	v_or_b32_e32 v12, v12, v26
	v_or_b32_e32 v9, v9, v10
	s_delay_alu instid0(VALU_DEP_4) | instskip(NEXT) | instid1(VALU_DEP_4)
	v_or_b32_e32 v8, v11, v8
	v_lshlrev_b32_e32 v10, 16, v25
	s_delay_alu instid0(VALU_DEP_4) | instskip(NEXT) | instid1(VALU_DEP_4)
	v_and_b32_e32 v12, 0xffff, v12
	v_and_b32_e32 v9, 0xffff, v9
	s_delay_alu instid0(VALU_DEP_4) | instskip(NEXT) | instid1(VALU_DEP_2)
	v_lshlrev_b32_e32 v8, 16, v8
	v_or_b32_e32 v11, v9, v10
	s_delay_alu instid0(VALU_DEP_2)
	v_or_b32_e32 v10, v12, v8
.LBB669_71:
	s_wait_alu 0xfffe
	s_or_b32 exec_lo, exec_lo, s1
	v_add_nc_u32_e32 v8, 6, v46
	v_lshrrev_b32_e32 v12, 8, v11
                                        ; implicit-def: $vgpr48
                                        ; implicit-def: $vgpr9
	s_delay_alu instid0(VALU_DEP_2)
	v_cmp_le_u32_e32 vcc_lo, s27, v8
	v_and_b32_e32 v8, 0xff, v11
	s_and_saveexec_b32 s0, vcc_lo
	s_wait_alu 0xfffe
	s_xor_b32 s0, exec_lo, s0
	s_cbranch_execz .LBB669_73
; %bb.72:
	v_lshlrev_b16 v9, 8, v12
	v_perm_b32 v7, v7, v7, 0x3060504
                                        ; implicit-def: $vgpr12
	s_delay_alu instid0(VALU_DEP_2) | instskip(SKIP_1) | instid1(VALU_DEP_2)
	v_or_b32_e32 v8, v8, v9
	v_and_b32_e32 v9, 0xff0000, v10
	v_and_b32_e32 v8, 0xffff, v8
	s_delay_alu instid0(VALU_DEP_2) | instskip(NEXT) | instid1(VALU_DEP_2)
	v_perm_b32 v48, v10, v9, 0x3020504
                                        ; implicit-def: $vgpr10
	v_and_or_b32 v9, 0xff000000, v11, v8
                                        ; implicit-def: $vgpr8
                                        ; implicit-def: $vgpr11
.LBB669_73:
	s_wait_alu 0xfffe
	s_and_not1_saveexec_b32 s1, s0
	s_cbranch_execz .LBB669_77
; %bb.74:
	v_add_nc_u32_e32 v9, s17, v17
	v_add_nc_u32_e32 v25, s19, v17
	s_mov_b32 s3, 0
	s_mov_b32 s4, exec_lo
	s_delay_alu instid0(VALU_DEP_2) | instskip(NEXT) | instid1(VALU_DEP_2)
	v_mul_lo_u32 v9, v9, s16
	v_mul_lo_u32 v25, v25, s18
	s_delay_alu instid0(VALU_DEP_1) | instskip(NEXT) | instid1(VALU_DEP_1)
	v_sub_nc_u32_e32 v9, v9, v25
	v_cmp_lt_u32_e32 vcc_lo, s20, v9
	v_cmpx_ge_u32_e64 s20, v9
	s_cbranch_execz .LBB669_76
; %bb.75:
	v_add_nc_u32_e32 v9, s22, v17
	v_add_nc_u32_e32 v25, s38, v17
	s_delay_alu instid0(VALU_DEP_2) | instskip(NEXT) | instid1(VALU_DEP_2)
	v_mul_lo_u32 v9, v9, s21
	v_mul_lo_u32 v25, v25, s23
	s_delay_alu instid0(VALU_DEP_1) | instskip(NEXT) | instid1(VALU_DEP_1)
	v_sub_nc_u32_e32 v9, v9, v25
	v_cmp_lt_u32_e64 s0, s39, v9
	s_and_b32 s3, s0, exec_lo
.LBB669_76:
	s_wait_alu 0xfffe
	s_or_b32 exec_lo, exec_lo, s4
	v_lshrrev_b32_e32 v11, 24, v11
	v_cndmask_b32_e64 v25, 0, 1, s3
	v_lshrrev_b32_e32 v26, 8, v10
	v_lshrrev_b32_e32 v27, 16, v10
	s_wait_alu 0xfffd
	v_cndmask_b32_e64 v9, 0, 1, vcc_lo
	v_lshlrev_b16 v12, 8, v12
	v_lshlrev_b16 v11, 8, v11
	v_and_b32_e32 v10, 0xff, v10
	v_lshlrev_b16 v26, 8, v26
	v_lshlrev_b16 v25, 8, v25
	v_and_b32_e32 v27, 0xff, v27
	v_or_b32_e32 v8, v8, v12
	v_or_b32_e32 v9, v9, v11
	;; [unrolled: 1-line block ×3, first 2 shown]
	s_delay_alu instid0(VALU_DEP_4) | instskip(NEXT) | instid1(VALU_DEP_4)
	v_or_b32_e32 v11, v27, v25
	v_and_b32_e32 v8, 0xffff, v8
	s_delay_alu instid0(VALU_DEP_4) | instskip(NEXT) | instid1(VALU_DEP_4)
	v_lshlrev_b32_e32 v9, 16, v9
	v_and_b32_e32 v10, 0xffff, v10
	s_delay_alu instid0(VALU_DEP_4) | instskip(NEXT) | instid1(VALU_DEP_3)
	v_lshlrev_b32_e32 v11, 16, v11
	v_or_b32_e32 v9, v8, v9
	s_delay_alu instid0(VALU_DEP_2)
	v_or_b32_e32 v48, v10, v11
.LBB669_77:
	s_wait_alu 0xfffe
	s_or_b32 exec_lo, exec_lo, s1
	v_add_nc_u32_e32 v8, 7, v46
	v_lshrrev_b32_e32 v10, 8, v7
	v_lshrrev_b32_e32 v11, 16, v7
	;; [unrolled: 1-line block ×3, first 2 shown]
                                        ; implicit-def: $vgpr49
	s_delay_alu instid0(VALU_DEP_4)
	v_cmp_le_u32_e32 vcc_lo, s27, v8
                                        ; implicit-def: $vgpr8
	s_and_saveexec_b32 s0, vcc_lo
	s_wait_alu 0xfffe
	s_xor_b32 s0, exec_lo, s0
	s_cbranch_execz .LBB669_79
; %bb.78:
	v_lshlrev_b16 v7, 8, v7
	v_and_b32_e32 v8, 0xff, v11
                                        ; implicit-def: $vgpr11
	s_delay_alu instid0(VALU_DEP_1) | instskip(SKIP_2) | instid1(VALU_DEP_3)
	v_or_b32_e32 v7, v8, v7
	v_lshlrev_b16 v8, 8, v10
	v_and_b32_e32 v10, 0xff0000, v9
	v_lshlrev_b32_e32 v7, 16, v7
	s_delay_alu instid0(VALU_DEP_3) | instskip(NEXT) | instid1(VALU_DEP_3)
	v_and_b32_e32 v8, 0xffff, v8
	v_perm_b32 v49, v9, v10, 0x3020504
                                        ; implicit-def: $vgpr9
                                        ; implicit-def: $vgpr10
	s_delay_alu instid0(VALU_DEP_2)
	v_or_b32_e32 v8, v8, v7
                                        ; implicit-def: $vgpr7
.LBB669_79:
	s_wait_alu 0xfffe
	s_and_not1_saveexec_b32 s1, s0
	s_cbranch_execz .LBB669_83
; %bb.80:
	v_add_nc_u32_e32 v8, s17, v18
	v_add_nc_u32_e32 v12, s19, v18
	s_mov_b32 s3, 0
	s_mov_b32 s4, exec_lo
	s_delay_alu instid0(VALU_DEP_2) | instskip(NEXT) | instid1(VALU_DEP_2)
	v_mul_lo_u32 v8, v8, s16
	v_mul_lo_u32 v12, v12, s18
	s_delay_alu instid0(VALU_DEP_1) | instskip(NEXT) | instid1(VALU_DEP_1)
	v_sub_nc_u32_e32 v8, v8, v12
	v_cmp_lt_u32_e32 vcc_lo, s20, v8
	v_cmpx_ge_u32_e64 s20, v8
	s_cbranch_execz .LBB669_82
; %bb.81:
	v_add_nc_u32_e32 v8, s22, v18
	v_add_nc_u32_e32 v12, s38, v18
	s_delay_alu instid0(VALU_DEP_2) | instskip(NEXT) | instid1(VALU_DEP_2)
	v_mul_lo_u32 v8, v8, s21
	v_mul_lo_u32 v12, v12, s23
	s_delay_alu instid0(VALU_DEP_1) | instskip(NEXT) | instid1(VALU_DEP_1)
	v_sub_nc_u32_e32 v8, v8, v12
	v_cmp_lt_u32_e64 s0, s39, v8
	s_and_b32 s3, s0, exec_lo
.LBB669_82:
	s_wait_alu 0xfffe
	s_or_b32 exec_lo, exec_lo, s4
	v_lshrrev_b32_e32 v8, 8, v9
	s_wait_alu 0xfffd
	v_cndmask_b32_e64 v12, 0, 1, vcc_lo
	v_lshrrev_b32_e32 v25, 16, v9
	v_cndmask_b32_e64 v26, 0, 1, s3
	v_and_b32_e32 v9, 0xff, v9
	v_lshlrev_b16 v8, 8, v8
	v_lshlrev_b16 v12, 8, v12
	v_and_b32_e32 v25, 0xff, v25
	v_lshlrev_b16 v7, 8, v7
	v_and_b32_e32 v11, 0xff, v11
	v_lshlrev_b16 v10, 8, v10
	v_or_b32_e32 v8, v9, v8
	v_or_b32_e32 v9, v25, v12
	s_delay_alu instid0(VALU_DEP_4) | instskip(NEXT) | instid1(VALU_DEP_4)
	v_or_b32_e32 v7, v11, v7
	v_or_b32_e32 v10, v26, v10
	s_delay_alu instid0(VALU_DEP_4) | instskip(NEXT) | instid1(VALU_DEP_4)
	v_and_b32_e32 v8, 0xffff, v8
	v_lshlrev_b32_e32 v9, 16, v9
	s_delay_alu instid0(VALU_DEP_4) | instskip(NEXT) | instid1(VALU_DEP_4)
	v_lshlrev_b32_e32 v7, 16, v7
	v_and_b32_e32 v10, 0xffff, v10
	s_delay_alu instid0(VALU_DEP_3) | instskip(NEXT) | instid1(VALU_DEP_2)
	v_or_b32_e32 v49, v8, v9
	v_or_b32_e32 v8, v10, v7
.LBB669_83:
	s_wait_alu 0xfffe
	s_or_b32 exec_lo, exec_lo, s1
	v_add_nc_u32_e32 v7, 8, v46
	s_delay_alu instid0(VALU_DEP_2)
	v_lshrrev_b32_e32 v9, 16, v8
	v_lshrrev_b32_e32 v10, 24, v8
	;; [unrolled: 1-line block ×4, first 2 shown]
	v_cmp_le_u32_e32 vcc_lo, s27, v7
	v_lshrrev_b32_e32 v11, 8, v6
                                        ; implicit-def: $vgpr6
                                        ; implicit-def: $vgpr7
	s_and_saveexec_b32 s0, vcc_lo
	s_wait_alu 0xfffe
	s_xor_b32 s0, exec_lo, s0
	s_cbranch_execz .LBB669_85
; %bb.84:
	v_lshlrev_b16 v6, 8, v12
	v_and_b32_e32 v7, 0xff, v25
	v_lshlrev_b16 v11, 8, v11
	v_lshlrev_b16 v10, 8, v10
	v_perm_b32 v5, v5, v5, 0x3060504
                                        ; implicit-def: $vgpr12
                                        ; implicit-def: $vgpr25
	s_delay_alu instid0(VALU_DEP_4) | instskip(SKIP_2) | instid1(VALU_DEP_3)
	v_or_b32_e32 v6, v7, v6
	v_and_b32_e32 v7, 0xff, v9
	v_and_b32_e32 v9, 0xffff, v11
                                        ; implicit-def: $vgpr11
	v_lshlrev_b32_e32 v6, 16, v6
	s_delay_alu instid0(VALU_DEP_3) | instskip(NEXT) | instid1(VALU_DEP_2)
	v_or_b32_e32 v10, v7, v10
	v_or_b32_e32 v7, v9, v6
	s_delay_alu instid0(VALU_DEP_2)
	v_perm_b32 v6, v10, v8, 0x5040c00
                                        ; implicit-def: $vgpr8
                                        ; implicit-def: $vgpr9
                                        ; implicit-def: $vgpr10
.LBB669_85:
	s_wait_alu 0xfffe
	s_and_not1_saveexec_b32 s1, s0
	s_cbranch_execz .LBB669_89
; %bb.86:
	v_add_nc_u32_e32 v6, s17, v15
	v_add_nc_u32_e32 v7, s19, v15
	s_mov_b32 s3, 0
	s_mov_b32 s4, exec_lo
	s_delay_alu instid0(VALU_DEP_2) | instskip(NEXT) | instid1(VALU_DEP_2)
	v_mul_lo_u32 v6, v6, s16
	v_mul_lo_u32 v7, v7, s18
	s_delay_alu instid0(VALU_DEP_1) | instskip(NEXT) | instid1(VALU_DEP_1)
	v_sub_nc_u32_e32 v6, v6, v7
	v_cmp_lt_u32_e32 vcc_lo, s20, v6
	v_cmpx_ge_u32_e64 s20, v6
	s_cbranch_execz .LBB669_88
; %bb.87:
	v_add_nc_u32_e32 v6, s22, v15
	v_add_nc_u32_e32 v7, s38, v15
	s_delay_alu instid0(VALU_DEP_2) | instskip(NEXT) | instid1(VALU_DEP_2)
	v_mul_lo_u32 v6, v6, s21
	v_mul_lo_u32 v7, v7, s23
	s_delay_alu instid0(VALU_DEP_1) | instskip(NEXT) | instid1(VALU_DEP_1)
	v_sub_nc_u32_e32 v6, v6, v7
	v_cmp_lt_u32_e64 s0, s39, v6
	s_and_b32 s3, s0, exec_lo
.LBB669_88:
	s_wait_alu 0xfffe
	s_or_b32 exec_lo, exec_lo, s4
	v_cndmask_b32_e64 v6, 0, 1, s3
	s_wait_alu 0xfffd
	v_cndmask_b32_e64 v7, 0, 1, vcc_lo
	v_lshlrev_b16 v12, 8, v12
	v_and_b32_e32 v25, 0xff, v25
	v_lshlrev_b16 v11, 8, v11
	v_lshlrev_b16 v6, 8, v6
	v_and_b32_e32 v8, 0xff, v8
	v_lshlrev_b16 v10, 8, v10
	v_and_b32_e32 v9, 0xff, v9
	v_or_b32_e32 v12, v25, v12
	v_or_b32_e32 v7, v7, v11
	;; [unrolled: 1-line block ×3, first 2 shown]
	s_delay_alu instid0(VALU_DEP_4) | instskip(NEXT) | instid1(VALU_DEP_4)
	v_or_b32_e32 v8, v9, v10
	v_lshlrev_b32_e32 v9, 16, v12
	s_delay_alu instid0(VALU_DEP_4) | instskip(NEXT) | instid1(VALU_DEP_4)
	v_and_b32_e32 v7, 0xffff, v7
	v_and_b32_e32 v6, 0xffff, v6
	s_delay_alu instid0(VALU_DEP_4) | instskip(NEXT) | instid1(VALU_DEP_3)
	v_lshlrev_b32_e32 v8, 16, v8
	v_or_b32_e32 v7, v7, v9
	s_delay_alu instid0(VALU_DEP_2)
	v_or_b32_e32 v6, v6, v8
.LBB669_89:
	s_wait_alu 0xfffe
	s_or_b32 exec_lo, exec_lo, s1
	v_add_nc_u32_e32 v8, 9, v46
	s_delay_alu instid0(VALU_DEP_2)
	v_lshrrev_b32_e32 v10, 8, v6
	v_lshrrev_b32_e32 v25, 24, v7
	;; [unrolled: 1-line block ×3, first 2 shown]
	v_and_b32_e32 v11, 0xff, v6
	v_cmp_le_u32_e32 vcc_lo, s27, v8
                                        ; implicit-def: $vgpr8
                                        ; implicit-def: $vgpr9
	s_and_saveexec_b32 s0, vcc_lo
	s_wait_alu 0xfffe
	s_xor_b32 s0, exec_lo, s0
	s_cbranch_execz .LBB669_91
; %bb.90:
	v_lshlrev_b16 v8, 8, v10
	v_lshlrev_b16 v9, 8, v25
	v_and_b32_e32 v10, 0xff, v12
	v_perm_b32 v5, v5, v5, 0x3060504
                                        ; implicit-def: $vgpr25
                                        ; implicit-def: $vgpr12
	s_delay_alu instid0(VALU_DEP_4) | instskip(NEXT) | instid1(VALU_DEP_3)
	v_or_b32_e32 v8, v11, v8
                                        ; implicit-def: $vgpr11
	v_or_b32_e32 v9, v10, v9
                                        ; implicit-def: $vgpr10
	s_delay_alu instid0(VALU_DEP_2) | instskip(NEXT) | instid1(VALU_DEP_2)
	v_and_b32_e32 v8, 0xffff, v8
	v_perm_b32 v9, v9, v7, 0x5040c00
                                        ; implicit-def: $vgpr7
	s_delay_alu instid0(VALU_DEP_2)
	v_and_or_b32 v8, 0xff000000, v6, v8
                                        ; implicit-def: $vgpr6
.LBB669_91:
	s_wait_alu 0xfffe
	s_and_not1_saveexec_b32 s1, s0
	s_cbranch_execz .LBB669_95
; %bb.92:
	v_add_nc_u32_e32 v8, s17, v16
	v_add_nc_u32_e32 v9, s19, v16
	s_mov_b32 s3, 0
	s_mov_b32 s4, exec_lo
	s_delay_alu instid0(VALU_DEP_2) | instskip(NEXT) | instid1(VALU_DEP_2)
	v_mul_lo_u32 v8, v8, s16
	v_mul_lo_u32 v9, v9, s18
	s_delay_alu instid0(VALU_DEP_1) | instskip(NEXT) | instid1(VALU_DEP_1)
	v_sub_nc_u32_e32 v8, v8, v9
	v_cmp_lt_u32_e32 vcc_lo, s20, v8
	v_cmpx_ge_u32_e64 s20, v8
	s_cbranch_execz .LBB669_94
; %bb.93:
	v_add_nc_u32_e32 v8, s22, v16
	v_add_nc_u32_e32 v9, s38, v16
	s_delay_alu instid0(VALU_DEP_2) | instskip(NEXT) | instid1(VALU_DEP_2)
	v_mul_lo_u32 v8, v8, s21
	v_mul_lo_u32 v9, v9, s23
	s_delay_alu instid0(VALU_DEP_1) | instskip(NEXT) | instid1(VALU_DEP_1)
	v_sub_nc_u32_e32 v8, v8, v9
	v_cmp_lt_u32_e64 s0, s39, v8
	s_and_b32 s3, s0, exec_lo
.LBB669_94:
	s_wait_alu 0xfffe
	s_or_b32 exec_lo, exec_lo, s4
	s_wait_alu 0xfffd
	v_cndmask_b32_e64 v8, 0, 1, vcc_lo
	v_lshrrev_b32_e32 v6, 24, v6
	v_cndmask_b32_e64 v9, 0, 1, s3
	v_lshlrev_b16 v25, 8, v25
	v_and_b32_e32 v12, 0xff, v12
	v_lshlrev_b16 v8, 8, v8
	v_lshlrev_b16 v10, 8, v10
	v_and_b32_e32 v7, 0xff, v7
	v_lshlrev_b16 v6, 8, v6
	v_or_b32_e32 v12, v12, v25
	s_delay_alu instid0(VALU_DEP_4) | instskip(NEXT) | instid1(VALU_DEP_4)
	v_or_b32_e32 v10, v11, v10
	v_or_b32_e32 v7, v7, v8
	s_delay_alu instid0(VALU_DEP_4) | instskip(NEXT) | instid1(VALU_DEP_4)
	v_or_b32_e32 v6, v9, v6
	v_lshlrev_b32_e32 v8, 16, v12
	s_delay_alu instid0(VALU_DEP_4) | instskip(NEXT) | instid1(VALU_DEP_4)
	v_and_b32_e32 v10, 0xffff, v10
	v_and_b32_e32 v7, 0xffff, v7
	s_delay_alu instid0(VALU_DEP_4) | instskip(NEXT) | instid1(VALU_DEP_2)
	v_lshlrev_b32_e32 v6, 16, v6
	v_or_b32_e32 v9, v7, v8
	s_delay_alu instid0(VALU_DEP_2)
	v_or_b32_e32 v8, v10, v6
.LBB669_95:
	s_wait_alu 0xfffe
	s_or_b32 exec_lo, exec_lo, s1
	v_add_nc_u32_e32 v6, 10, v46
	v_and_b32_e32 v7, 0xff, v9
	v_lshrrev_b32_e32 v10, 8, v9
                                        ; implicit-def: $vgpr51
	s_delay_alu instid0(VALU_DEP_3)
	v_cmp_le_u32_e32 vcc_lo, s27, v6
                                        ; implicit-def: $vgpr6
	s_and_saveexec_b32 s0, vcc_lo
	s_wait_alu 0xfffe
	s_xor_b32 s0, exec_lo, s0
	s_cbranch_execz .LBB669_97
; %bb.96:
	v_lshlrev_b16 v6, 8, v10
	v_perm_b32 v5, v5, v5, 0x3060504
                                        ; implicit-def: $vgpr10
	s_delay_alu instid0(VALU_DEP_2) | instskip(SKIP_1) | instid1(VALU_DEP_2)
	v_or_b32_e32 v6, v7, v6
	v_and_b32_e32 v7, 0xff0000, v8
	v_and_b32_e32 v6, 0xffff, v6
	s_delay_alu instid0(VALU_DEP_2) | instskip(NEXT) | instid1(VALU_DEP_2)
	v_perm_b32 v51, v8, v7, 0x3020504
                                        ; implicit-def: $vgpr7
                                        ; implicit-def: $vgpr8
	v_and_or_b32 v6, 0xff000000, v9, v6
                                        ; implicit-def: $vgpr9
.LBB669_97:
	s_wait_alu 0xfffe
	s_and_not1_saveexec_b32 s1, s0
	s_cbranch_execz .LBB669_101
; %bb.98:
	v_add_nc_u32_e32 v6, s17, v13
	v_add_nc_u32_e32 v11, s19, v13
	s_mov_b32 s3, 0
	s_mov_b32 s4, exec_lo
	s_delay_alu instid0(VALU_DEP_2) | instskip(NEXT) | instid1(VALU_DEP_2)
	v_mul_lo_u32 v6, v6, s16
	v_mul_lo_u32 v11, v11, s18
	s_delay_alu instid0(VALU_DEP_1) | instskip(NEXT) | instid1(VALU_DEP_1)
	v_sub_nc_u32_e32 v6, v6, v11
	v_cmp_lt_u32_e32 vcc_lo, s20, v6
	v_cmpx_ge_u32_e64 s20, v6
	s_cbranch_execz .LBB669_100
; %bb.99:
	v_add_nc_u32_e32 v6, s22, v13
	v_add_nc_u32_e32 v11, s38, v13
	s_delay_alu instid0(VALU_DEP_2) | instskip(NEXT) | instid1(VALU_DEP_2)
	v_mul_lo_u32 v6, v6, s21
	v_mul_lo_u32 v11, v11, s23
	s_delay_alu instid0(VALU_DEP_1) | instskip(NEXT) | instid1(VALU_DEP_1)
	v_sub_nc_u32_e32 v6, v6, v11
	v_cmp_lt_u32_e64 s0, s39, v6
	s_and_b32 s3, s0, exec_lo
.LBB669_100:
	s_wait_alu 0xfffe
	s_or_b32 exec_lo, exec_lo, s4
	v_lshrrev_b32_e32 v9, 24, v9
	v_cndmask_b32_e64 v11, 0, 1, s3
	v_lshrrev_b32_e32 v12, 8, v8
	v_lshrrev_b32_e32 v25, 16, v8
	s_wait_alu 0xfffd
	v_cndmask_b32_e64 v6, 0, 1, vcc_lo
	v_lshlrev_b16 v10, 8, v10
	v_lshlrev_b16 v9, 8, v9
	v_and_b32_e32 v8, 0xff, v8
	v_lshlrev_b16 v12, 8, v12
	v_lshlrev_b16 v11, 8, v11
	v_and_b32_e32 v25, 0xff, v25
	v_or_b32_e32 v7, v7, v10
	v_or_b32_e32 v6, v6, v9
	;; [unrolled: 1-line block ×3, first 2 shown]
	s_delay_alu instid0(VALU_DEP_4) | instskip(NEXT) | instid1(VALU_DEP_4)
	v_or_b32_e32 v9, v25, v11
	v_and_b32_e32 v7, 0xffff, v7
	s_delay_alu instid0(VALU_DEP_4) | instskip(NEXT) | instid1(VALU_DEP_4)
	v_lshlrev_b32_e32 v6, 16, v6
	v_and_b32_e32 v8, 0xffff, v8
	s_delay_alu instid0(VALU_DEP_4) | instskip(NEXT) | instid1(VALU_DEP_3)
	v_lshlrev_b32_e32 v9, 16, v9
	v_or_b32_e32 v6, v7, v6
	s_delay_alu instid0(VALU_DEP_2)
	v_or_b32_e32 v51, v8, v9
.LBB669_101:
	s_wait_alu 0xfffe
	s_or_b32 exec_lo, exec_lo, s1
	v_dual_mov_b32 v50, 0 :: v_dual_add_nc_u32 v7, 11, v46
	s_mov_b32 s0, exec_lo
                                        ; implicit-def: $vgpr52
	s_delay_alu instid0(VALU_DEP_1)
	v_cmpx_le_u32_e64 s27, v7
	s_wait_alu 0xfffe
	s_xor_b32 s0, exec_lo, s0
; %bb.102:
	v_and_b32_e32 v7, 0xff0000, v6
	v_perm_b32 v5, v5, v5, 0x3060504
	s_delay_alu instid0(VALU_DEP_2)
	v_perm_b32 v52, v6, v7, 0x3020504
                                        ; implicit-def: $vgpr6
; %bb.103:
	s_wait_alu 0xfffe
	s_and_not1_saveexec_b32 s1, s0
	s_cbranch_execz .LBB669_107
; %bb.104:
	v_add_nc_u32_e32 v7, s17, v14
	v_add_nc_u32_e32 v8, s19, v14
	s_mov_b32 s3, 0
	s_mov_b32 s4, exec_lo
	s_delay_alu instid0(VALU_DEP_2) | instskip(NEXT) | instid1(VALU_DEP_2)
	v_mul_lo_u32 v7, v7, s16
	v_mul_lo_u32 v8, v8, s18
	s_delay_alu instid0(VALU_DEP_1) | instskip(NEXT) | instid1(VALU_DEP_1)
	v_sub_nc_u32_e32 v7, v7, v8
	v_cmp_lt_u32_e32 vcc_lo, s20, v7
	v_cmpx_ge_u32_e64 s20, v7
	s_cbranch_execz .LBB669_106
; %bb.105:
	v_add_nc_u32_e32 v7, s22, v14
	v_add_nc_u32_e32 v8, s38, v14
	s_delay_alu instid0(VALU_DEP_2) | instskip(NEXT) | instid1(VALU_DEP_2)
	v_mul_lo_u32 v7, v7, s21
	v_mul_lo_u32 v8, v8, s23
	s_delay_alu instid0(VALU_DEP_1) | instskip(NEXT) | instid1(VALU_DEP_1)
	v_sub_nc_u32_e32 v7, v7, v8
	v_cmp_lt_u32_e64 s0, s39, v7
	s_and_b32 s3, s0, exec_lo
.LBB669_106:
	s_wait_alu 0xfffe
	s_or_b32 exec_lo, exec_lo, s4
	v_lshrrev_b32_e32 v7, 8, v6
	s_wait_alu 0xfffd
	v_cndmask_b32_e64 v8, 0, 1, vcc_lo
	v_lshrrev_b32_e32 v9, 16, v6
	v_and_b32_e32 v6, 0xff, v6
	v_cndmask_b32_e64 v50, 0, 1, s3
	v_lshlrev_b16 v7, 8, v7
	v_lshlrev_b16 v8, 8, v8
	v_and_b32_e32 v9, 0xff, v9
	s_delay_alu instid0(VALU_DEP_3) | instskip(NEXT) | instid1(VALU_DEP_2)
	v_or_b32_e32 v6, v6, v7
	v_or_b32_e32 v7, v9, v8
	s_delay_alu instid0(VALU_DEP_2) | instskip(NEXT) | instid1(VALU_DEP_2)
	v_and_b32_e32 v6, 0xffff, v6
	v_lshlrev_b32_e32 v7, 16, v7
	s_delay_alu instid0(VALU_DEP_1)
	v_or_b32_e32 v52, v6, v7
.LBB669_107:
	s_wait_alu 0xfffe
	s_or_b32 exec_lo, exec_lo, s1
	v_add_nc_u32_e32 v8, 12, v46
	v_lshrrev_b32_e32 v6, 8, v5
	v_lshrrev_b32_e32 v7, 16, v5
	;; [unrolled: 1-line block ×3, first 2 shown]
	s_mov_b32 s0, exec_lo
                                        ; implicit-def: $vgpr54
	v_cmpx_le_u32_e64 s27, v8
	s_wait_alu 0xfffe
	s_xor_b32 s0, exec_lo, s0
	s_cbranch_execz .LBB669_109
; %bb.108:
	v_lshlrev_b16 v5, 8, v5
	v_and_b32_e32 v7, 0xff, v7
	v_lshlrev_b16 v6, 8, v6
	s_delay_alu instid0(VALU_DEP_2) | instskip(NEXT) | instid1(VALU_DEP_2)
	v_or_b32_e32 v5, v7, v5
	v_and_b32_e32 v6, 0xffff, v6
                                        ; implicit-def: $vgpr7
	s_delay_alu instid0(VALU_DEP_2) | instskip(NEXT) | instid1(VALU_DEP_1)
	v_lshlrev_b32_e32 v5, 16, v5
	v_or_b32_e32 v54, v6, v5
                                        ; implicit-def: $vgpr5
                                        ; implicit-def: $vgpr6
.LBB669_109:
	s_wait_alu 0xfffe
	s_or_saveexec_b32 s1, s0
	v_mov_b32_e32 v53, 0
	s_wait_alu 0xfffe
	s_xor_b32 exec_lo, exec_lo, s1
	s_cbranch_execz .LBB669_113
; %bb.110:
	v_add_nc_u32_e32 v8, s17, v45
	v_add_nc_u32_e32 v9, s19, v45
	s_mov_b32 s3, 0
	s_mov_b32 s4, exec_lo
	s_delay_alu instid0(VALU_DEP_2) | instskip(NEXT) | instid1(VALU_DEP_2)
	v_mul_lo_u32 v8, v8, s16
	v_mul_lo_u32 v9, v9, s18
	s_delay_alu instid0(VALU_DEP_1) | instskip(NEXT) | instid1(VALU_DEP_1)
	v_sub_nc_u32_e32 v8, v8, v9
	v_cmp_lt_u32_e32 vcc_lo, s20, v8
	v_cmpx_ge_u32_e64 s20, v8
	s_cbranch_execz .LBB669_112
; %bb.111:
	v_add_nc_u32_e32 v8, s22, v45
	v_add_nc_u32_e32 v9, s38, v45
	s_delay_alu instid0(VALU_DEP_2) | instskip(NEXT) | instid1(VALU_DEP_2)
	v_mul_lo_u32 v8, v8, s21
	v_mul_lo_u32 v9, v9, s23
	s_delay_alu instid0(VALU_DEP_1) | instskip(NEXT) | instid1(VALU_DEP_1)
	v_sub_nc_u32_e32 v8, v8, v9
	v_cmp_lt_u32_e64 s0, s39, v8
	s_and_b32 s3, s0, exec_lo
.LBB669_112:
	s_wait_alu 0xfffe
	s_or_b32 exec_lo, exec_lo, s4
	s_wait_alu 0xfffd
	v_cndmask_b32_e64 v8, 0, 1, vcc_lo
	v_lshlrev_b16 v5, 8, v5
	v_and_b32_e32 v7, 0xff, v7
	v_lshlrev_b16 v6, 8, v6
	v_cndmask_b32_e64 v53, 0, 1, s3
	s_delay_alu instid0(VALU_DEP_3) | instskip(NEXT) | instid1(VALU_DEP_3)
	v_or_b32_e32 v5, v7, v5
	v_or_b32_e32 v6, v8, v6
	s_delay_alu instid0(VALU_DEP_2) | instskip(NEXT) | instid1(VALU_DEP_2)
	v_lshlrev_b32_e32 v5, 16, v5
	v_and_b32_e32 v6, 0xffff, v6
	s_delay_alu instid0(VALU_DEP_1)
	v_or_b32_e32 v54, v6, v5
.LBB669_113:
	s_or_b32 exec_lo, exec_lo, s1
.LBB669_114:
	v_and_b32_e32 v77, 0xff, v47
	s_delay_alu instid0(VALU_DEP_2)
	v_bfe_u32 v78, v54, 8, 8
	v_bfe_u32 v74, v47, 8, 8
	;; [unrolled: 1-line block ×4, first 2 shown]
	v_lshrrev_b32_e32 v60, 24, v54
	v_lshrrev_b32_e32 v59, 24, v47
	v_and_b32_e32 v73, 0xff, v48
	v_and_b32_e32 v71, 0xff, v49
	v_bfe_u32 v72, v48, 8, 8
	v_add3_u32 v5, v74, v77, v76
	v_add3_u32 v6, v75, v78, v60
	v_bfe_u32 v69, v49, 8, 8
	v_bfe_u32 v70, v48, 16, 8
	;; [unrolled: 1-line block ×3, first 2 shown]
	v_lshrrev_b32_e32 v58, 24, v48
	v_add3_u32 v5, v5, v59, v71
	v_add3_u32 v6, v6, v73, v72
	v_lshrrev_b32_e32 v57, 24, v49
	v_and_b32_e32 v68, 0xff, v51
	v_and_b32_e32 v66, 0xff, v52
	v_bfe_u32 v67, v51, 8, 8
	v_add3_u32 v5, v5, v69, v65
	v_add3_u32 v6, v6, v70, v58
	v_bfe_u32 v63, v52, 8, 8
	v_bfe_u32 v64, v51, 16, 8
	;; [unrolled: 1-line block ×3, first 2 shown]
	v_lshrrev_b32_e32 v56, 24, v51
	v_add3_u32 v5, v5, v57, v66
	v_add3_u32 v6, v6, v68, v67
	v_mbcnt_lo_u32_b32 v79, -1, 0
	v_lshrrev_b32_e32 v55, 24, v52
	v_and_b32_e32 v61, 0xff, v50
	v_and_b32_e32 v7, 0xff, v54
	;; [unrolled: 1-line block ×3, first 2 shown]
	v_add3_u32 v5, v5, v63, v62
	v_add3_u32 v6, v6, v64, v56
	v_and_b32_e32 v81, 15, v79
	v_and_b32_e32 v83, 16, v79
	v_lshrrev_b32_e32 v80, 5, v0
	v_add3_u32 v84, v5, v55, v7
	v_add3_u32 v85, v6, v61, v8
	v_cmp_eq_u32_e64 s1, 0, v81
	v_cmp_lt_u32_e64 s0, 1, v81
	v_cmp_lt_u32_e64 s3, 3, v81
	v_or_b32_e32 v82, 31, v0
	s_cmp_lg_u32 s33, 0
	s_mov_b32 s4, -1
	v_cmp_lt_u32_e32 vcc_lo, 7, v81
	s_cbranch_scc0 .LBB669_135
; %bb.115:
	v_mov_b32_dpp v6, v84 row_shr:1 row_mask:0xf bank_mask:0xf
	v_mov_b32_dpp v5, v85 row_shr:1 row_mask:0xf bank_mask:0xf
	s_mov_b32 s4, exec_lo
	s_delay_alu instid0(VALU_DEP_2) | instskip(SKIP_1) | instid1(VALU_DEP_1)
	v_add_nc_u32_e32 v6, v6, v84
	s_wait_alu 0xf1ff
	v_cndmask_b32_e64 v6, v6, v84, s1
	s_delay_alu instid0(VALU_DEP_1) | instskip(NEXT) | instid1(VALU_DEP_1)
	v_mov_b32_dpp v8, v6 row_shr:2 row_mask:0xf bank_mask:0xf
	v_add_nc_u32_e32 v8, v6, v8
	s_delay_alu instid0(VALU_DEP_1) | instskip(NEXT) | instid1(VALU_DEP_1)
	v_cndmask_b32_e64 v6, v6, v8, s0
	v_mov_b32_dpp v8, v6 row_shr:4 row_mask:0xf bank_mask:0xf
	s_delay_alu instid0(VALU_DEP_1) | instskip(NEXT) | instid1(VALU_DEP_1)
	v_add_nc_u32_e32 v8, v6, v8
	v_cndmask_b32_e64 v6, v6, v8, s3
	s_delay_alu instid0(VALU_DEP_1) | instskip(NEXT) | instid1(VALU_DEP_1)
	v_mov_b32_dpp v8, v6 row_shr:8 row_mask:0xf bank_mask:0xf
	v_add_nc_u32_e32 v8, v6, v8
	s_wait_alu 0xfffd
	s_delay_alu instid0(VALU_DEP_1) | instskip(NEXT) | instid1(VALU_DEP_1)
	v_dual_cndmask_b32 v6, v6, v8 :: v_dual_add_nc_u32 v5, v5, v85
	v_cndmask_b32_e64 v5, v5, v85, s1
	ds_swizzle_b32 v8, v6 offset:swizzle(BROADCAST,32,15)
	v_mov_b32_dpp v7, v5 row_shr:2 row_mask:0xf bank_mask:0xf
	s_delay_alu instid0(VALU_DEP_1) | instskip(NEXT) | instid1(VALU_DEP_1)
	v_add_nc_u32_e32 v7, v5, v7
	v_cndmask_b32_e64 v5, v5, v7, s0
	s_delay_alu instid0(VALU_DEP_1) | instskip(SKIP_2) | instid1(VALU_DEP_2)
	v_mov_b32_dpp v7, v5 row_shr:4 row_mask:0xf bank_mask:0xf
	s_wait_dscnt 0x0
	v_add_nc_u32_e32 v8, v6, v8
	v_add_nc_u32_e32 v7, v5, v7
	s_delay_alu instid0(VALU_DEP_1) | instskip(NEXT) | instid1(VALU_DEP_1)
	v_cndmask_b32_e64 v5, v5, v7, s3
	v_mov_b32_dpp v7, v5 row_shr:8 row_mask:0xf bank_mask:0xf
	s_delay_alu instid0(VALU_DEP_1) | instskip(NEXT) | instid1(VALU_DEP_1)
	v_add_nc_u32_e32 v7, v5, v7
	v_cndmask_b32_e32 v5, v5, v7, vcc_lo
	v_cmp_eq_u32_e32 vcc_lo, 0, v83
	ds_swizzle_b32 v7, v5 offset:swizzle(BROADCAST,32,15)
	s_wait_dscnt 0x0
	v_add_nc_u32_e32 v7, v5, v7
	v_cmpx_eq_u32_e64 v0, v82
; %bb.116:
	s_wait_alu 0xfffd
	s_delay_alu instid0(VALU_DEP_2)
	v_dual_cndmask_b32 v10, v7, v5 :: v_dual_lshlrev_b32 v11, 3, v80
	v_cndmask_b32_e32 v9, v8, v6, vcc_lo
	ds_store_b64 v11, v[9:10]
; %bb.117:
	s_wait_alu 0xfffe
	s_or_b32 exec_lo, exec_lo, s4
	s_delay_alu instid0(SALU_CYCLE_1)
	s_mov_b32 s4, exec_lo
	s_wait_loadcnt_dscnt 0x0
	s_barrier_signal -1
	s_barrier_wait -1
	global_inv scope:SCOPE_SE
	v_cmpx_gt_u32_e32 8, v0
	s_cbranch_execz .LBB669_119
; %bb.118:
	v_lshlrev_b32_e32 v11, 3, v0
	v_and_b32_e32 v26, 7, v79
	ds_load_b64 v[9:10], v11
	v_cmp_eq_u32_e64 s3, 0, v26
	s_wait_dscnt 0x0
	v_mov_b32_dpp v12, v9 row_shr:1 row_mask:0xf bank_mask:0xf
	v_mov_b32_dpp v25, v10 row_shr:1 row_mask:0xf bank_mask:0xf
	s_delay_alu instid0(VALU_DEP_2) | instskip(NEXT) | instid1(VALU_DEP_2)
	v_add_nc_u32_e32 v12, v12, v9
	v_add_nc_u32_e32 v25, v25, v10
	s_wait_alu 0xf1ff
	s_delay_alu instid0(VALU_DEP_2) | instskip(NEXT) | instid1(VALU_DEP_2)
	v_cndmask_b32_e64 v9, v12, v9, s3
	v_cndmask_b32_e64 v10, v25, v10, s3
	v_cmp_lt_u32_e64 s3, 1, v26
	s_delay_alu instid0(VALU_DEP_3) | instskip(NEXT) | instid1(VALU_DEP_3)
	v_mov_b32_dpp v12, v9 row_shr:2 row_mask:0xf bank_mask:0xf
	v_mov_b32_dpp v25, v10 row_shr:2 row_mask:0xf bank_mask:0xf
	s_delay_alu instid0(VALU_DEP_2) | instskip(NEXT) | instid1(VALU_DEP_2)
	v_add_nc_u32_e32 v12, v9, v12
	v_add_nc_u32_e32 v25, v10, v25
	s_wait_alu 0xf1ff
	s_delay_alu instid0(VALU_DEP_2) | instskip(NEXT) | instid1(VALU_DEP_2)
	v_cndmask_b32_e64 v9, v9, v12, s3
	v_cndmask_b32_e64 v10, v10, v25, s3
	v_cmp_lt_u32_e64 s3, 3, v26
	s_delay_alu instid0(VALU_DEP_3) | instskip(NEXT) | instid1(VALU_DEP_3)
	v_mov_b32_dpp v12, v9 row_shr:4 row_mask:0xf bank_mask:0xf
	v_mov_b32_dpp v25, v10 row_shr:4 row_mask:0xf bank_mask:0xf
	s_wait_alu 0xf1ff
	s_delay_alu instid0(VALU_DEP_2) | instskip(NEXT) | instid1(VALU_DEP_2)
	v_cndmask_b32_e64 v12, 0, v12, s3
	v_cndmask_b32_e64 v25, 0, v25, s3
	s_delay_alu instid0(VALU_DEP_2) | instskip(NEXT) | instid1(VALU_DEP_2)
	v_add_nc_u32_e32 v9, v12, v9
	v_add_nc_u32_e32 v10, v25, v10
	ds_store_b64 v11, v[9:10]
.LBB669_119:
	s_wait_alu 0xfffe
	s_or_b32 exec_lo, exec_lo, s4
	v_dual_cndmask_b32 v5, v7, v5 :: v_dual_cndmask_b32 v6, v8, v6
	s_mov_b32 s4, exec_lo
	v_cmp_gt_u32_e32 vcc_lo, 32, v0
	s_wait_loadcnt_dscnt 0x0
	s_barrier_signal -1
	s_barrier_wait -1
	global_inv scope:SCOPE_SE
                                        ; implicit-def: $vgpr25
	v_cmpx_lt_u32_e32 31, v0
	s_cbranch_execz .LBB669_121
; %bb.120:
	v_lshl_add_u32 v7, v80, 3, -8
	ds_load_b64 v[25:26], v7
	s_wait_dscnt 0x0
	v_add_nc_u32_e32 v5, v26, v5
	v_add_nc_u32_e32 v6, v25, v6
.LBB669_121:
	s_wait_alu 0xfffe
	s_or_b32 exec_lo, exec_lo, s4
	v_sub_co_u32 v7, s3, v79, 1
	s_delay_alu instid0(VALU_DEP_1) | instskip(SKIP_1) | instid1(VALU_DEP_1)
	v_cmp_gt_i32_e64 s4, 0, v7
	s_wait_alu 0xf1ff
	v_cndmask_b32_e64 v7, v7, v79, s4
	s_delay_alu instid0(VALU_DEP_1)
	v_lshlrev_b32_e32 v7, 2, v7
	ds_bpermute_b32 v86, v7, v6
	ds_bpermute_b32 v87, v7, v5
	s_and_saveexec_b32 s4, vcc_lo
	s_cbranch_execz .LBB669_140
; %bb.122:
	v_mov_b32_e32 v8, 0
	ds_load_b64 v[5:6], v8 offset:56
	s_and_saveexec_b32 s5, s3
	s_cbranch_execz .LBB669_124
; %bb.123:
	s_add_co_i32 s6, s33, 32
	s_mov_b32 s7, 0
	s_wait_alu 0xfffe
	s_lshl_b64 s[6:7], s[6:7], 4
	s_wait_alu 0xfffe
	s_add_nc_u64 s[6:7], s[36:37], s[6:7]
	s_wait_alu 0xfffe
	v_dual_mov_b32 v7, 1 :: v_dual_mov_b32 v10, s7
	v_mov_b32_e32 v9, s6
	s_wait_dscnt 0x0
	;;#ASMSTART
	global_store_b128 v[9:10], v[5:8] off scope:SCOPE_DEV	
s_wait_storecnt 0x0
	;;#ASMEND
.LBB669_124:
	s_wait_alu 0xfffe
	s_or_b32 exec_lo, exec_lo, s5
	v_xad_u32 v27, v79, -1, s33
	s_mov_b32 s6, 0
	s_mov_b32 s5, exec_lo
	s_delay_alu instid0(VALU_DEP_1) | instskip(NEXT) | instid1(VALU_DEP_1)
	v_add_nc_u32_e32 v7, 32, v27
	v_lshlrev_b64_e32 v[7:8], 4, v[7:8]
	s_delay_alu instid0(VALU_DEP_1) | instskip(SKIP_1) | instid1(VALU_DEP_2)
	v_add_co_u32 v7, vcc_lo, s36, v7
	s_wait_alu 0xfffd
	v_add_co_ci_u32_e64 v8, null, s37, v8, vcc_lo
	;;#ASMSTART
	global_load_b128 v[9:12], v[7:8] off scope:SCOPE_DEV	
s_wait_loadcnt 0x0
	;;#ASMEND
	v_and_b32_e32 v12, 0xff, v11
	s_delay_alu instid0(VALU_DEP_1)
	v_cmpx_eq_u16_e32 0, v12
	s_cbranch_execz .LBB669_127
.LBB669_125:                            ; =>This Inner Loop Header: Depth=1
	;;#ASMSTART
	global_load_b128 v[9:12], v[7:8] off scope:SCOPE_DEV	
s_wait_loadcnt 0x0
	;;#ASMEND
	v_and_b32_e32 v12, 0xff, v11
	s_delay_alu instid0(VALU_DEP_1)
	v_cmp_ne_u16_e32 vcc_lo, 0, v12
	s_wait_alu 0xfffe
	s_or_b32 s6, vcc_lo, s6
	s_wait_alu 0xfffe
	s_and_not1_b32 exec_lo, exec_lo, s6
	s_cbranch_execnz .LBB669_125
; %bb.126:
	s_or_b32 exec_lo, exec_lo, s6
.LBB669_127:
	s_wait_alu 0xfffe
	s_or_b32 exec_lo, exec_lo, s5
	v_cmp_ne_u32_e32 vcc_lo, 31, v79
	v_lshlrev_b32_e64 v89, v79, -1
	v_add_nc_u32_e32 v91, 2, v79
	v_add_nc_u32_e32 v93, 4, v79
	;; [unrolled: 1-line block ×3, first 2 shown]
	s_wait_alu 0xfffd
	v_add_co_ci_u32_e64 v7, null, 0, v79, vcc_lo
	v_lshl_or_b32 v96, v79, 2, 64
	v_add_nc_u32_e32 v97, 16, v79
	s_delay_alu instid0(VALU_DEP_3) | instskip(SKIP_4) | instid1(VALU_DEP_1)
	v_lshlrev_b32_e32 v88, 2, v7
	ds_bpermute_b32 v8, v88, v10
	s_wait_dscnt 0x0
	v_add_nc_u32_e32 v8, v8, v10
	v_and_b32_e32 v7, 0xff, v11
	v_cmp_eq_u16_e32 vcc_lo, 2, v7
	ds_bpermute_b32 v7, v88, v9
	s_wait_dscnt 0x0
	v_add_nc_u32_e32 v7, v7, v9
	s_wait_alu 0xfffd
	v_and_b32_e32 v12, vcc_lo, v89
	v_cmp_gt_u32_e32 vcc_lo, 30, v79
	s_delay_alu instid0(VALU_DEP_2) | instskip(SKIP_2) | instid1(VALU_DEP_2)
	v_or_b32_e32 v12, 0x80000000, v12
	s_wait_alu 0xfffd
	v_cndmask_b32_e64 v28, 0, 2, vcc_lo
	v_ctz_i32_b32_e32 v12, v12
	s_delay_alu instid0(VALU_DEP_2) | instskip(NEXT) | instid1(VALU_DEP_2)
	v_add_lshl_u32 v90, v28, v79, 2
	v_cmp_lt_u32_e32 vcc_lo, v79, v12
	s_wait_alu 0xfffd
	v_dual_cndmask_b32 v8, v10, v8 :: v_dual_cndmask_b32 v7, v9, v7
	v_cmp_gt_u32_e32 vcc_lo, 28, v79
	ds_bpermute_b32 v9, v90, v8
	ds_bpermute_b32 v10, v90, v7
	s_wait_alu 0xfffd
	v_cndmask_b32_e64 v28, 0, 4, vcc_lo
	v_cmp_gt_u32_e32 vcc_lo, v91, v12
	s_delay_alu instid0(VALU_DEP_2)
	v_add_lshl_u32 v92, v28, v79, 2
	s_wait_dscnt 0x1
	v_add_nc_u32_e32 v9, v8, v9
	s_wait_dscnt 0x0
	v_add_nc_u32_e32 v10, v7, v10
	s_wait_alu 0xfffd
	s_delay_alu instid0(VALU_DEP_1)
	v_dual_cndmask_b32 v8, v9, v8 :: v_dual_cndmask_b32 v7, v10, v7
	v_cmp_gt_u32_e32 vcc_lo, 24, v79
	ds_bpermute_b32 v9, v92, v8
	ds_bpermute_b32 v10, v92, v7
	s_wait_alu 0xfffd
	v_cndmask_b32_e64 v28, 0, 8, vcc_lo
	v_cmp_gt_u32_e32 vcc_lo, v93, v12
	s_delay_alu instid0(VALU_DEP_2)
	v_add_lshl_u32 v94, v28, v79, 2
	s_wait_dscnt 0x1
	v_dual_mov_b32 v28, 0 :: v_dual_add_nc_u32 v9, v8, v9
	s_wait_dscnt 0x0
	v_add_nc_u32_e32 v10, v7, v10
	s_wait_alu 0xfffd
	s_delay_alu instid0(VALU_DEP_1)
	v_dual_cndmask_b32 v8, v9, v8 :: v_dual_cndmask_b32 v7, v10, v7
	v_cmp_gt_u32_e32 vcc_lo, v95, v12
	ds_bpermute_b32 v9, v94, v8
	ds_bpermute_b32 v10, v94, v7
	s_wait_dscnt 0x1
	v_add_nc_u32_e32 v9, v8, v9
	s_wait_dscnt 0x0
	v_add_nc_u32_e32 v10, v7, v10
	s_wait_alu 0xfffd
	s_delay_alu instid0(VALU_DEP_1)
	v_dual_cndmask_b32 v8, v9, v8 :: v_dual_cndmask_b32 v7, v10, v7
	v_cmp_le_u32_e32 vcc_lo, v97, v12
	ds_bpermute_b32 v10, v96, v8
	ds_bpermute_b32 v9, v96, v7
	s_wait_dscnt 0x0
	s_wait_alu 0xfffd
	v_dual_cndmask_b32 v10, 0, v10 :: v_dual_cndmask_b32 v9, 0, v9
	s_delay_alu instid0(VALU_DEP_1) | instskip(NEXT) | instid1(VALU_DEP_2)
	v_add_nc_u32_e32 v10, v10, v8
	v_add_nc_u32_e32 v9, v9, v7
	s_branch .LBB669_131
.LBB669_128:                            ;   in Loop: Header=BB669_131 Depth=1
	s_or_b32 exec_lo, exec_lo, s6
.LBB669_129:                            ;   in Loop: Header=BB669_131 Depth=1
	s_wait_alu 0xfffe
	s_or_b32 exec_lo, exec_lo, s5
	ds_bpermute_b32 v12, v88, v9
	ds_bpermute_b32 v29, v88, v10
	v_subrev_nc_u32_e32 v27, 32, v27
	s_mov_b32 s5, 0
	s_wait_dscnt 0x1
	v_add_nc_u32_e32 v12, v12, v9
	v_and_b32_e32 v30, 0xff, v11
	s_wait_dscnt 0x0
	v_add_nc_u32_e32 v29, v29, v10
	s_delay_alu instid0(VALU_DEP_2) | instskip(SKIP_2) | instid1(VALU_DEP_1)
	v_cmp_eq_u16_e32 vcc_lo, 2, v30
	s_wait_alu 0xfffd
	v_and_or_b32 v30, vcc_lo, v89, 0x80000000
	v_ctz_i32_b32_e32 v30, v30
	s_delay_alu instid0(VALU_DEP_1)
	v_cmp_lt_u32_e32 vcc_lo, v79, v30
	s_wait_alu 0xfffd
	v_dual_cndmask_b32 v10, v10, v29 :: v_dual_cndmask_b32 v9, v9, v12
	v_cmp_gt_u32_e32 vcc_lo, v91, v30
	ds_bpermute_b32 v29, v90, v10
	ds_bpermute_b32 v12, v90, v9
	s_wait_dscnt 0x1
	v_add_nc_u32_e32 v29, v10, v29
	s_wait_dscnt 0x0
	v_add_nc_u32_e32 v12, v9, v12
	s_wait_alu 0xfffd
	s_delay_alu instid0(VALU_DEP_1)
	v_dual_cndmask_b32 v10, v29, v10 :: v_dual_cndmask_b32 v9, v12, v9
	v_cmp_gt_u32_e32 vcc_lo, v93, v30
	ds_bpermute_b32 v29, v92, v10
	ds_bpermute_b32 v12, v92, v9
	s_wait_dscnt 0x1
	v_add_nc_u32_e32 v29, v10, v29
	s_wait_dscnt 0x0
	v_add_nc_u32_e32 v12, v9, v12
	s_wait_alu 0xfffd
	s_delay_alu instid0(VALU_DEP_1)
	;; [unrolled: 10-line block ×3, first 2 shown]
	v_dual_cndmask_b32 v10, v29, v10 :: v_dual_cndmask_b32 v9, v12, v9
	v_cmp_le_u32_e32 vcc_lo, v97, v30
	ds_bpermute_b32 v29, v96, v10
	ds_bpermute_b32 v12, v96, v9
	s_wait_dscnt 0x0
	s_wait_alu 0xfffd
	v_dual_cndmask_b32 v29, 0, v29 :: v_dual_cndmask_b32 v12, 0, v12
	s_delay_alu instid0(VALU_DEP_1) | instskip(NEXT) | instid1(VALU_DEP_2)
	v_add3_u32 v10, v10, v8, v29
	v_add3_u32 v9, v9, v7, v12
.LBB669_130:                            ;   in Loop: Header=BB669_131 Depth=1
	s_wait_alu 0xfffe
	s_and_b32 vcc_lo, exec_lo, s5
	s_wait_alu 0xfffe
	s_cbranch_vccnz .LBB669_136
.LBB669_131:                            ; =>This Loop Header: Depth=1
                                        ;     Child Loop BB669_134 Depth 2
	v_and_b32_e32 v7, 0xff, v11
	s_mov_b32 s5, -1
                                        ; implicit-def: $vgpr11
	s_delay_alu instid0(VALU_DEP_1)
	v_cmp_ne_u16_e32 vcc_lo, 2, v7
	v_dual_mov_b32 v7, v9 :: v_dual_mov_b32 v8, v10
                                        ; implicit-def: $vgpr9_vgpr10
	s_cmp_lg_u32 vcc_lo, exec_lo
	s_cbranch_scc1 .LBB669_130
; %bb.132:                              ;   in Loop: Header=BB669_131 Depth=1
	v_lshlrev_b64_e32 v[9:10], 4, v[27:28]
	s_mov_b32 s5, exec_lo
	s_delay_alu instid0(VALU_DEP_1) | instskip(SKIP_1) | instid1(VALU_DEP_2)
	v_add_co_u32 v29, vcc_lo, s36, v9
	s_wait_alu 0xfffd
	v_add_co_ci_u32_e64 v30, null, s37, v10, vcc_lo
	;;#ASMSTART
	global_load_b128 v[9:12], v[29:30] off scope:SCOPE_DEV	
s_wait_loadcnt 0x0
	;;#ASMEND
	v_and_b32_e32 v12, 0xff, v11
	s_delay_alu instid0(VALU_DEP_1)
	v_cmpx_eq_u16_e32 0, v12
	s_cbranch_execz .LBB669_129
; %bb.133:                              ;   in Loop: Header=BB669_131 Depth=1
	s_mov_b32 s6, 0
.LBB669_134:                            ;   Parent Loop BB669_131 Depth=1
                                        ; =>  This Inner Loop Header: Depth=2
	;;#ASMSTART
	global_load_b128 v[9:12], v[29:30] off scope:SCOPE_DEV	
s_wait_loadcnt 0x0
	;;#ASMEND
	v_and_b32_e32 v12, 0xff, v11
	s_delay_alu instid0(VALU_DEP_1)
	v_cmp_ne_u16_e32 vcc_lo, 0, v12
	s_wait_alu 0xfffe
	s_or_b32 s6, vcc_lo, s6
	s_wait_alu 0xfffe
	s_and_not1_b32 exec_lo, exec_lo, s6
	s_cbranch_execnz .LBB669_134
	s_branch .LBB669_128
.LBB669_135:
                                        ; implicit-def: $vgpr29
                                        ; implicit-def: $vgpr7
                                        ; implicit-def: $vgpr86
	s_wait_alu 0xfffe
	s_and_b32 vcc_lo, exec_lo, s4
	s_wait_alu 0xfffe
	s_cbranch_vccnz .LBB669_141
	s_branch .LBB669_150
.LBB669_136:
	s_and_saveexec_b32 s5, s3
	s_cbranch_execnz .LBB669_378
; %bb.137:
	s_wait_alu 0xfffe
	s_or_b32 exec_lo, exec_lo, s5
	s_and_saveexec_b32 s5, s3
	s_cbranch_execnz .LBB669_379
.LBB669_138:
	s_wait_alu 0xfffe
	s_or_b32 exec_lo, exec_lo, s5
	s_delay_alu instid0(SALU_CYCLE_1)
	s_and_b32 exec_lo, exec_lo, s2
.LBB669_139:
	v_mov_b32_e32 v5, 0
	ds_store_b64 v5, v[7:8] offset:56
.LBB669_140:
	s_wait_alu 0xfffe
	s_or_b32 exec_lo, exec_lo, s4
	s_wait_dscnt 0x1
	v_cndmask_b32_e64 v12, v86, v25, s3
	v_mov_b32_e32 v5, 0
	s_wait_loadcnt_dscnt 0x0
	s_barrier_signal -1
	s_barrier_wait -1
	global_inv scope:SCOPE_SE
	ds_load_b64 v[9:10], v5 offset:56
	s_wait_loadcnt_dscnt 0x0
	s_barrier_signal -1
	s_barrier_wait -1
	global_inv scope:SCOPE_SE
	v_cndmask_b32_e64 v11, v87, v26, s3
	v_add_nc_u32_e32 v12, v9, v12
	ds_load_b128 v[5:8], v5 offset:13312
	v_add_nc_u32_e32 v11, v10, v11
	v_cndmask_b32_e64 v86, v12, v9, s2
	s_delay_alu instid0(VALU_DEP_2)
	v_cndmask_b32_e64 v29, v11, v10, s2
	s_branch .LBB669_150
.LBB669_141:
	s_wait_dscnt 0x0
	v_mov_b32_dpp v5, v84 row_shr:1 row_mask:0xf bank_mask:0xf
	v_cmp_lt_u32_e32 vcc_lo, 3, v81
	v_mov_b32_dpp v6, v85 row_shr:1 row_mask:0xf bank_mask:0xf
	s_delay_alu instid0(VALU_DEP_3) | instskip(NEXT) | instid1(VALU_DEP_1)
	v_add_nc_u32_e32 v5, v5, v84
	v_cndmask_b32_e64 v5, v5, v84, s1
	s_delay_alu instid0(VALU_DEP_1) | instskip(NEXT) | instid1(VALU_DEP_1)
	v_mov_b32_dpp v7, v5 row_shr:2 row_mask:0xf bank_mask:0xf
	v_add_nc_u32_e32 v7, v5, v7
	s_delay_alu instid0(VALU_DEP_1) | instskip(NEXT) | instid1(VALU_DEP_1)
	v_cndmask_b32_e64 v5, v5, v7, s0
	v_mov_b32_dpp v7, v5 row_shr:4 row_mask:0xf bank_mask:0xf
	s_delay_alu instid0(VALU_DEP_1) | instskip(SKIP_1) | instid1(VALU_DEP_1)
	v_add_nc_u32_e32 v7, v5, v7
	s_wait_alu 0xfffd
	v_dual_cndmask_b32 v7, v5, v7 :: v_dual_add_nc_u32 v6, v6, v85
	s_delay_alu instid0(VALU_DEP_1) | instskip(SKIP_1) | instid1(VALU_DEP_2)
	v_cndmask_b32_e64 v6, v6, v85, s1
	s_mov_b32 s1, exec_lo
	v_mov_b32_dpp v5, v7 row_shr:8 row_mask:0xf bank_mask:0xf
	s_delay_alu instid0(VALU_DEP_2) | instskip(NEXT) | instid1(VALU_DEP_2)
	v_mov_b32_dpp v8, v6 row_shr:2 row_mask:0xf bank_mask:0xf
	v_add_nc_u32_e32 v9, v7, v5
	s_delay_alu instid0(VALU_DEP_2) | instskip(NEXT) | instid1(VALU_DEP_1)
	v_add_nc_u32_e32 v8, v6, v8
	v_cndmask_b32_e64 v6, v6, v8, s0
	s_delay_alu instid0(VALU_DEP_1) | instskip(NEXT) | instid1(VALU_DEP_1)
	v_mov_b32_dpp v8, v6 row_shr:4 row_mask:0xf bank_mask:0xf
	v_add_nc_u32_e32 v8, v6, v8
	s_delay_alu instid0(VALU_DEP_1) | instskip(SKIP_1) | instid1(VALU_DEP_2)
	v_cndmask_b32_e32 v6, v6, v8, vcc_lo
	v_cmp_lt_u32_e32 vcc_lo, 7, v81
	v_mov_b32_dpp v8, v6 row_shr:8 row_mask:0xf bank_mask:0xf
	s_delay_alu instid0(VALU_DEP_1) | instskip(SKIP_1) | instid1(VALU_DEP_1)
	v_add_nc_u32_e32 v5, v6, v8
	s_wait_alu 0xfffd
	v_cndmask_b32_e32 v5, v6, v5, vcc_lo
	v_cndmask_b32_e32 v6, v7, v9, vcc_lo
	v_cmp_eq_u32_e32 vcc_lo, 0, v83
	ds_swizzle_b32 v7, v5 offset:swizzle(BROADCAST,32,15)
	ds_swizzle_b32 v8, v6 offset:swizzle(BROADCAST,32,15)
	s_wait_dscnt 0x1
	v_add_nc_u32_e32 v7, v5, v7
	s_wait_dscnt 0x0
	v_add_nc_u32_e32 v8, v6, v8
	v_cmpx_eq_u32_e64 v0, v82
; %bb.142:
	s_wait_alu 0xfffd
	s_delay_alu instid0(VALU_DEP_2)
	v_dual_cndmask_b32 v9, v8, v6 :: v_dual_cndmask_b32 v10, v7, v5
	v_lshlrev_b32_e32 v11, 3, v80
	ds_store_b64 v11, v[9:10]
; %bb.143:
	s_wait_alu 0xfffe
	s_or_b32 exec_lo, exec_lo, s1
	s_delay_alu instid0(SALU_CYCLE_1)
	s_mov_b32 s1, exec_lo
	s_wait_loadcnt_dscnt 0x0
	s_barrier_signal -1
	s_barrier_wait -1
	global_inv scope:SCOPE_SE
	v_cmpx_gt_u32_e32 8, v0
	s_cbranch_execz .LBB669_145
; %bb.144:
	v_lshlrev_b32_e32 v11, 3, v0
	v_and_b32_e32 v26, 7, v79
	ds_load_b64 v[9:10], v11
	v_cmp_eq_u32_e64 s0, 0, v26
	s_wait_dscnt 0x0
	v_mov_b32_dpp v12, v9 row_shr:1 row_mask:0xf bank_mask:0xf
	v_mov_b32_dpp v25, v10 row_shr:1 row_mask:0xf bank_mask:0xf
	s_delay_alu instid0(VALU_DEP_2) | instskip(NEXT) | instid1(VALU_DEP_2)
	v_add_nc_u32_e32 v12, v12, v9
	v_add_nc_u32_e32 v25, v25, v10
	s_wait_alu 0xf1ff
	s_delay_alu instid0(VALU_DEP_2) | instskip(NEXT) | instid1(VALU_DEP_2)
	v_cndmask_b32_e64 v9, v12, v9, s0
	v_cndmask_b32_e64 v10, v25, v10, s0
	v_cmp_lt_u32_e64 s0, 1, v26
	s_delay_alu instid0(VALU_DEP_3) | instskip(NEXT) | instid1(VALU_DEP_3)
	v_mov_b32_dpp v12, v9 row_shr:2 row_mask:0xf bank_mask:0xf
	v_mov_b32_dpp v25, v10 row_shr:2 row_mask:0xf bank_mask:0xf
	s_delay_alu instid0(VALU_DEP_2) | instskip(NEXT) | instid1(VALU_DEP_2)
	v_add_nc_u32_e32 v12, v9, v12
	v_add_nc_u32_e32 v25, v10, v25
	s_wait_alu 0xf1ff
	s_delay_alu instid0(VALU_DEP_2) | instskip(NEXT) | instid1(VALU_DEP_2)
	v_cndmask_b32_e64 v9, v9, v12, s0
	v_cndmask_b32_e64 v10, v10, v25, s0
	v_cmp_lt_u32_e64 s0, 3, v26
	s_delay_alu instid0(VALU_DEP_3) | instskip(NEXT) | instid1(VALU_DEP_3)
	v_mov_b32_dpp v12, v9 row_shr:4 row_mask:0xf bank_mask:0xf
	v_mov_b32_dpp v25, v10 row_shr:4 row_mask:0xf bank_mask:0xf
	s_wait_alu 0xf1ff
	s_delay_alu instid0(VALU_DEP_2) | instskip(NEXT) | instid1(VALU_DEP_2)
	v_cndmask_b32_e64 v12, 0, v12, s0
	v_cndmask_b32_e64 v25, 0, v25, s0
	s_delay_alu instid0(VALU_DEP_2) | instskip(NEXT) | instid1(VALU_DEP_2)
	v_add_nc_u32_e32 v9, v12, v9
	v_add_nc_u32_e32 v10, v25, v10
	ds_store_b64 v11, v[9:10]
.LBB669_145:
	s_wait_alu 0xfffe
	s_or_b32 exec_lo, exec_lo, s1
	v_dual_mov_b32 v11, 0 :: v_dual_mov_b32 v10, 0
	v_mov_b32_e32 v9, 0
	s_mov_b32 s1, exec_lo
	s_wait_loadcnt_dscnt 0x0
	s_barrier_signal -1
	s_barrier_wait -1
	global_inv scope:SCOPE_SE
	v_cmpx_lt_u32_e32 31, v0
; %bb.146:
	v_lshl_add_u32 v9, v80, 3, -8
	ds_load_b64 v[9:10], v9
; %bb.147:
	s_wait_alu 0xfffe
	s_or_b32 exec_lo, exec_lo, s1
	v_sub_co_u32 v12, s0, v79, 1
	v_dual_cndmask_b32 v6, v8, v6 :: v_dual_cndmask_b32 v5, v7, v5
	s_delay_alu instid0(VALU_DEP_2) | instskip(SKIP_1) | instid1(VALU_DEP_2)
	v_cmp_gt_i32_e64 s1, 0, v12
	s_wait_dscnt 0x0
	v_add_nc_u32_e32 v6, v9, v6
	s_delay_alu instid0(VALU_DEP_3) | instskip(SKIP_2) | instid1(VALU_DEP_1)
	v_add_nc_u32_e32 v5, v10, v5
	s_wait_alu 0xf1ff
	v_cndmask_b32_e64 v8, v12, v79, s1
	v_lshlrev_b32_e32 v7, 2, v8
	ds_bpermute_b32 v12, v7, v6
	ds_bpermute_b32 v25, v7, v5
	ds_load_b64 v[5:6], v11 offset:56
	s_and_saveexec_b32 s1, s2
	s_cbranch_execz .LBB669_149
; %bb.148:
	s_add_nc_u64 s[4:5], s[36:37], 0x200
	v_dual_mov_b32 v7, 2 :: v_dual_mov_b32 v8, 0
	s_wait_alu 0xfffe
	v_dual_mov_b32 v27, s5 :: v_dual_mov_b32 v26, s4
	s_wait_dscnt 0x0
	;;#ASMSTART
	global_store_b128 v[26:27], v[5:8] off scope:SCOPE_DEV	
s_wait_storecnt 0x0
	;;#ASMEND
.LBB669_149:
	s_wait_alu 0xfffe
	s_or_b32 exec_lo, exec_lo, s1
	s_wait_dscnt 0x1
	v_cndmask_b32_e64 v7, v25, v10, s0
	v_cndmask_b32_e64 v9, v12, v9, s0
	v_mov_b32_e32 v8, 0
	s_wait_loadcnt_dscnt 0x0
	s_barrier_signal -1
	v_cndmask_b32_e64 v29, v7, 0, s2
	v_cndmask_b32_e64 v86, v9, 0, s2
	v_mov_b32_e32 v7, 0
	s_barrier_wait -1
	global_inv scope:SCOPE_SE
.LBB669_150:
	v_lshrrev_b32_e32 v81, 8, v54
	s_wait_dscnt 0x0
	v_add_co_u32 v1, vcc_lo, v1, v7
	s_wait_alu 0xfffd
	v_add_co_ci_u32_e64 v2, null, 0, v2, vcc_lo
	v_and_b32_e32 v81, 1, v81
	v_sub_co_u32 v84, vcc_lo, v3, v5
	s_wait_alu 0xfffd
	v_subrev_co_ci_u32_e64 v85, null, 0, v4, vcc_lo
	s_delay_alu instid0(VALU_DEP_3)
	v_cmp_eq_u32_e32 vcc_lo, 1, v81
	v_add_nc_u32_e32 v78, v29, v78
	v_sub_nc_u32_e32 v29, v29, v8
	v_lshlrev_b32_e32 v87, 1, v5
	v_lshrrev_b32_e32 v79, 16, v54
	v_lshrrev_b32_e32 v80, 8, v47
	v_add_nc_u32_e32 v75, v78, v75
	v_sub_nc_u32_e32 v78, v78, v8
	v_add_nc_u32_e32 v29, v29, v5
	v_add3_u32 v90, v87, v6, v46
	v_and_b32_e32 v79, 1, v79
	v_lshrrev_b32_e32 v30, 16, v47
	v_add_nc_u32_e32 v78, v78, v5
	v_add_nc_u32_e32 v77, v86, v77
	v_sub_nc_u32_e32 v86, v86, v7
	v_and_b32_e32 v47, 1, v47
	v_and_b32_e32 v80, 1, v80
	;; [unrolled: 1-line block ×3, first 2 shown]
	v_add_nc_u32_e32 v74, v77, v74
	v_sub_nc_u32_e32 v77, v77, v7
	v_add_nc_u32_e32 v46, v86, v29
	v_lshrrev_b32_e32 v28, 8, v48
	v_lshrrev_b32_e32 v27, 16, v48
	v_and_b32_e32 v48, 1, v48
	v_add_nc_u32_e32 v91, v78, v77
	v_sub_nc_u32_e32 v46, v90, v46
	v_and_b32_e32 v28, 1, v28
	v_lshrrev_b32_e32 v25, 16, v49
	v_lshrrev_b32_e32 v26, 8, v49
	v_sub_nc_u32_e32 v91, v90, v91
	s_wait_alu 0xfffd
	v_cndmask_b32_e32 v29, v46, v29, vcc_lo
	v_cmp_eq_u32_e32 vcc_lo, 1, v79
	v_lshrrev_b32_e32 v12, 8, v51
	v_and_b32_e32 v26, 1, v26
	v_add_nc_u32_e32 v91, 1, v91
	v_lshrrev_b32_e32 v10, 16, v51
	v_lshrrev_b32_e32 v11, 8, v52
	v_and_b32_e32 v12, 1, v12
	v_lshrrev_b32_e32 v9, 16, v52
	s_wait_alu 0xfffd
	v_cndmask_b32_e32 v46, v91, v78, vcc_lo
	v_cmp_eq_u32_e32 vcc_lo, 1, v47
	v_add_nc_u32_e32 v82, v75, v60
	v_sub_nc_u32_e32 v75, v75, v8
	v_and_b32_e32 v60, 1, v60
	v_and_b32_e32 v10, 1, v10
	s_wait_alu 0xfffd
	v_cndmask_b32_e32 v29, v29, v86, vcc_lo
	v_cmp_eq_u32_e32 vcc_lo, 1, v80
	v_add_nc_u32_e32 v75, v75, v5
	v_sub_nc_u32_e32 v80, v82, v8
	v_and_b32_e32 v11, 1, v11
	v_lshlrev_b32_e32 v29, 2, v29
	s_wait_alu 0xfffd
	v_cndmask_b32_e32 v77, v46, v77, vcc_lo
	v_add_nc_u32_e32 v76, v74, v76
	v_sub_nc_u32_e32 v74, v74, v7
	v_add_co_u32 v46, vcc_lo, v84, v8
	s_wait_alu 0xfffd
	v_add_co_ci_u32_e64 v47, null, 0, v85, vcc_lo
	s_delay_alu instid0(VALU_DEP_3)
	v_add_nc_u32_e32 v79, v75, v74
	v_cmp_eq_u32_e32 vcc_lo, 1, v60
	v_add_nc_u32_e32 v83, v76, v59
	v_lshlrev_b32_e32 v77, 2, v77
	ds_store_b32 v29, v23
	ds_store_b32 v77, v24
	v_sub_nc_u32_e32 v79, v90, v79
	v_and_b32_e32 v9, 1, v9
	s_delay_alu instid0(VALU_DEP_2) | instskip(SKIP_1) | instid1(VALU_DEP_1)
	v_add_nc_u32_e32 v79, 2, v79
	s_wait_alu 0xfffd
	v_dual_cndmask_b32 v60, v79, v75 :: v_dual_add_nc_u32 v73, v82, v73
	s_delay_alu instid0(VALU_DEP_1)
	v_add_nc_u32_e32 v72, v73, v72
	v_sub_nc_u32_e32 v75, v76, v7
	v_sub_nc_u32_e32 v73, v73, v8
	v_add_nc_u32_e32 v76, v80, v5
	v_cmp_eq_u32_e32 vcc_lo, 1, v30
	s_wait_alu 0xfffd
	s_delay_alu instid0(VALU_DEP_3)
	v_dual_cndmask_b32 v30, v60, v74 :: v_dual_add_nc_u32 v73, v73, v5
	v_sub_nc_u32_e32 v60, v83, v7
	v_add_nc_u32_e32 v74, v75, v76
	v_cmp_eq_u32_e32 vcc_lo, 1, v48
	v_and_b32_e32 v48, 1, v49
	v_lshlrev_b32_e32 v23, 2, v30
	v_add_nc_u32_e32 v24, v60, v73
	v_sub_nc_u32_e32 v29, v90, v74
	v_and_b32_e32 v30, 1, v59
	v_sub_nc_u32_e32 v59, v72, v8
	ds_store_b32 v23, v21
	v_sub_nc_u32_e32 v24, v90, v24
	v_add_nc_u32_e32 v29, 3, v29
	v_and_b32_e32 v23, 1, v27
	v_add_nc_u32_e32 v59, v59, v5
	s_delay_alu instid0(VALU_DEP_4)
	v_add_nc_u32_e32 v24, 4, v24
	s_wait_alu 0xfffd
	v_cndmask_b32_e32 v29, v29, v76, vcc_lo
	v_cmp_eq_u32_e32 vcc_lo, 1, v28
	s_wait_alu 0xfffd
	v_dual_cndmask_b32 v24, v24, v73 :: v_dual_add_nc_u32 v71, v83, v71
	s_delay_alu instid0(VALU_DEP_1) | instskip(SKIP_2) | instid1(VALU_DEP_3)
	v_add_nc_u32_e32 v69, v71, v69
	v_sub_nc_u32_e32 v71, v71, v7
	v_cmp_eq_u32_e32 vcc_lo, 1, v30
	v_add_nc_u32_e32 v65, v69, v65
	s_delay_alu instid0(VALU_DEP_3)
	v_add_nc_u32_e32 v49, v71, v59
	s_wait_alu 0xfffd
	v_cndmask_b32_e32 v28, v29, v75, vcc_lo
	v_cmp_eq_u32_e32 vcc_lo, 1, v48
	v_add_nc_u32_e32 v89, v65, v57
	v_sub_nc_u32_e32 v29, v90, v49
	s_delay_alu instid0(VALU_DEP_4)
	v_lshlrev_b32_e32 v21, 2, v28
	s_wait_alu 0xfffd
	v_cndmask_b32_e32 v24, v24, v60, vcc_lo
	v_cmp_eq_u32_e32 vcc_lo, 1, v23
	v_sub_nc_u32_e32 v48, v89, v7
	v_add_nc_u32_e32 v27, 5, v29
	v_add_nc_u32_e32 v66, v89, v66
	v_lshlrev_b32_e32 v24, 2, v24
	ds_store_b32 v21, v22
	ds_store_b32 v24, v19
	s_wait_alu 0xfffd
	v_cndmask_b32_e32 v23, v27, v59, vcc_lo
	v_cmp_eq_u32_e32 vcc_lo, 1, v26
	v_sub_nc_u32_e32 v27, v69, v7
	v_sub_nc_u32_e32 v26, v65, v7
	v_and_b32_e32 v24, 1, v58
	v_add_nc_u32_e32 v63, v66, v63
	s_wait_alu 0xfffd
	v_dual_cndmask_b32 v23, v23, v71 :: v_dual_add_nc_u32 v70, v72, v70
	s_delay_alu instid0(VALU_DEP_3) | instskip(SKIP_1) | instid1(VALU_DEP_3)
	v_cmp_eq_u32_e32 vcc_lo, 1, v24
	v_and_b32_e32 v24, 1, v57
	v_lshlrev_b32_e32 v19, 2, v23
	s_delay_alu instid0(VALU_DEP_4) | instskip(SKIP_3) | instid1(VALU_DEP_4)
	v_add_nc_u32_e32 v88, v70, v58
	v_sub_nc_u32_e32 v28, v70, v8
	v_and_b32_e32 v23, 1, v25
	v_add_nc_u32_e32 v62, v63, v62
	v_sub_nc_u32_e32 v29, v88, v8
	s_delay_alu instid0(VALU_DEP_4) | instskip(SKIP_1) | instid1(VALU_DEP_4)
	v_add_nc_u32_e32 v28, v28, v5
	v_add_nc_u32_e32 v68, v88, v68
	;; [unrolled: 1-line block ×3, first 2 shown]
	s_delay_alu instid0(VALU_DEP_4) | instskip(NEXT) | instid1(VALU_DEP_4)
	v_add_nc_u32_e32 v29, v29, v5
	v_add_nc_u32_e32 v30, v27, v28
	s_delay_alu instid0(VALU_DEP_4) | instskip(SKIP_1) | instid1(VALU_DEP_4)
	v_sub_nc_u32_e32 v25, v68, v8
	v_add_nc_u32_e32 v67, v68, v67
	v_add_nc_u32_e32 v21, v26, v29
	s_delay_alu instid0(VALU_DEP_4)
	v_sub_nc_u32_e32 v22, v90, v30
	v_and_b32_e32 v30, 1, v51
	v_add_nc_u32_e32 v25, v25, v5
	v_add_nc_u32_e32 v64, v67, v64
	v_sub_nc_u32_e32 v21, v90, v21
	v_add_nc_u32_e32 v22, 6, v22
	s_delay_alu instid0(VALU_DEP_3) | instskip(SKIP_1) | instid1(VALU_DEP_2)
	v_add_nc_u32_e32 v92, v64, v56
	s_wait_alu 0xfffd
	v_dual_cndmask_b32 v22, v22, v28 :: v_dual_add_nc_u32 v21, 7, v21
	v_cmp_eq_u32_e32 vcc_lo, 1, v30
	v_add_nc_u32_e32 v28, v48, v25
	v_add_nc_u32_e32 v61, v92, v61
	s_wait_alu 0xfffd
	v_cndmask_b32_e32 v21, v21, v29, vcc_lo
	v_cmp_eq_u32_e32 vcc_lo, 1, v23
	v_sub_nc_u32_e32 v23, v90, v28
	s_wait_alu 0xfffd
	v_cndmask_b32_e32 v22, v22, v27, vcc_lo
	v_cmp_eq_u32_e32 vcc_lo, 1, v24
	v_sub_nc_u32_e32 v24, v67, v8
	v_add_nc_u32_e32 v23, 8, v23
	v_sub_nc_u32_e32 v27, v66, v7
	v_lshlrev_b32_e32 v22, 2, v22
	s_wait_alu 0xfffd
	v_dual_cndmask_b32 v21, v21, v26 :: v_dual_add_nc_u32 v24, v24, v5
	v_cmp_eq_u32_e32 vcc_lo, 1, v12
	v_and_b32_e32 v26, 1, v52
	s_delay_alu instid0(VALU_DEP_3)
	v_lshlrev_b32_e32 v21, 2, v21
	ds_store_b32 v19, v20
	ds_store_b32 v22, v17
	;; [unrolled: 1-line block ×3, first 2 shown]
	s_wait_alu 0xfffd
	v_cndmask_b32_e32 v12, v23, v25, vcc_lo
	v_add_nc_u32_e32 v23, v27, v24
	v_cmp_eq_u32_e32 vcc_lo, 1, v26
	v_sub_nc_u32_e32 v18, v64, v8
	v_sub_nc_u32_e32 v19, v63, v7
	;; [unrolled: 1-line block ×4, first 2 shown]
	s_wait_alu 0xfffd
	v_cndmask_b32_e32 v12, v12, v48, vcc_lo
	v_add_nc_u32_e32 v18, v18, v5
	v_cmp_eq_u32_e32 vcc_lo, 1, v10
	v_add_nc_u32_e32 v20, v20, v5
	v_add_nc_u32_e32 v17, 9, v17
	v_lshlrev_b32_e32 v12, 2, v12
	v_add_nc_u32_e32 v21, v19, v18
	v_and_b32_e32 v22, 1, v50
	s_wait_alu 0xfffd
	v_cndmask_b32_e32 v10, v17, v24, vcc_lo
	v_sub_nc_u32_e32 v17, v62, v7
	ds_store_b32 v12, v15
	v_cmp_eq_u32_e32 vcc_lo, 1, v11
	v_sub_nc_u32_e32 v12, v90, v21
	v_and_b32_e32 v15, 1, v56
	v_add_nc_u32_e32 v11, v17, v20
	v_sub_nc_u32_e32 v21, v61, v8
	s_wait_alu 0xfffd
	v_cndmask_b32_e32 v10, v10, v27, vcc_lo
	v_add_nc_u32_e32 v12, 10, v12
	v_cmp_eq_u32_e32 vcc_lo, 1, v15
	v_sub_nc_u32_e32 v11, v90, v11
	v_sub_nc_u32_e32 v7, v78, v7
	v_add_nc_u32_e32 v21, v21, v5
	s_wait_alu 0xfffd
	v_dual_cndmask_b32 v12, v12, v18 :: v_dual_and_b32 v15, 1, v55
	v_add_nc_u32_e32 v11, 11, v11
	v_cmp_eq_u32_e32 vcc_lo, 1, v22
	v_add_nc_u32_e32 v18, v7, v21
	s_wait_alu 0xfffd
	s_delay_alu instid0(VALU_DEP_3)
	v_dual_cndmask_b32 v11, v11, v20 :: v_dual_lshlrev_b32 v10, 2, v10
	v_cmp_eq_u32_e32 vcc_lo, 1, v9
	s_wait_alu 0xfffd
	v_cndmask_b32_e32 v9, v12, v19, vcc_lo
	v_cmp_eq_u32_e32 vcc_lo, 1, v15
	v_sub_nc_u32_e32 v12, v90, v18
	v_and_b32_e32 v15, 1, v53
	s_delay_alu instid0(VALU_DEP_4) | instskip(SKIP_1) | instid1(VALU_DEP_3)
	v_lshlrev_b32_e32 v9, 2, v9
	s_wait_alu 0xfffd
	v_dual_cndmask_b32 v11, v11, v17 :: v_dual_add_nc_u32 v12, 12, v12
	v_and_b32_e32 v17, 1, v54
	v_cmp_eq_u32_e32 vcc_lo, 1, v15
	s_delay_alu instid0(VALU_DEP_3)
	v_lshlrev_b32_e32 v11, 2, v11
	ds_store_b32 v10, v16
	ds_store_b32 v9, v13
	;; [unrolled: 1-line block ×3, first 2 shown]
	s_wait_alu 0xfffd
	v_cndmask_b32_e32 v12, v12, v21, vcc_lo
	v_cmp_eq_u32_e32 vcc_lo, 1, v17
	v_add_co_u32 v9, s0, v6, v87
	s_wait_alu 0xf1ff
	v_add_co_ci_u32_e64 v10, null, 0, 0, s0
	s_wait_alu 0xfffd
	v_cndmask_b32_e32 v7, v12, v7, vcc_lo
	v_add_co_u32 v9, vcc_lo, v9, v46
	s_wait_alu 0xfffd
	v_add_co_ci_u32_e64 v10, null, v10, v47, vcc_lo
	s_delay_alu instid0(VALU_DEP_3)
	v_lshlrev_b32_e32 v7, 2, v7
	v_add_co_u32 v11, s0, s34, v43
	v_add_co_u32 v9, vcc_lo, v9, v1
	s_wait_alu 0xf1ff
	v_add_co_ci_u32_e64 v12, null, s35, 0, s0
	s_wait_alu 0xfffd
	v_add_co_ci_u32_e64 v10, null, v10, v2, vcc_lo
	ds_store_b32 v7, v45
	v_sub_co_u32 v7, vcc_lo, v11, v9
	s_wait_alu 0xfffd
	v_sub_co_ci_u32_e64 v13, null, v12, v10, vcc_lo
	v_lshlrev_b64_e32 v[9:10], 2, v[46:47]
	v_lshlrev_b64_e32 v[11:12], 2, v[1:2]
	v_add_nc_u32_e32 v14, v5, v6
	s_wait_loadcnt_dscnt 0x0
	s_barrier_signal -1
	s_barrier_wait -1
	v_add_co_u32 v9, vcc_lo, s30, v9
	s_wait_alu 0xfffd
	v_add_co_ci_u32_e64 v10, null, s31, v10, vcc_lo
	v_cmp_ne_u32_e32 vcc_lo, 1, v44
	v_add_co_u32 v11, s0, s28, v11
	s_wait_alu 0xf1ff
	v_add_co_ci_u32_e64 v12, null, s29, v12, s0
	s_mov_b32 s0, -1
	global_inv scope:SCOPE_SE
	s_cbranch_vccz .LBB669_154
; %bb.151:
	s_wait_alu 0xfffe
	s_and_b32 vcc_lo, exec_lo, s0
	s_wait_alu 0xfffe
	s_cbranch_vccnz .LBB669_259
.LBB669_152:
	s_and_b32 s0, s2, s26
	s_wait_alu 0xfffe
	s_and_saveexec_b32 s1, s0
	s_cbranch_execnz .LBB669_377
.LBB669_153:
	s_nop 0
	s_sendmsg sendmsg(MSG_DEALLOC_VGPRS)
	s_endpgm
.LBB669_154:
	s_mov_b32 s0, exec_lo
	v_cmpx_ge_u32_e64 v0, v5
	s_wait_alu 0xfffe
	s_xor_b32 s0, exec_lo, s0
	s_cbranch_execz .LBB669_160
; %bb.155:
	s_mov_b32 s1, exec_lo
	v_cmpx_ge_u32_e64 v0, v14
	s_wait_alu 0xfffe
	s_xor_b32 s1, exec_lo, s1
	s_cbranch_execz .LBB669_157
; %bb.156:
	v_lshlrev_b32_e32 v15, 2, v0
	ds_load_b32 v17, v15
	v_add_co_u32 v15, vcc_lo, v7, v0
	s_wait_alu 0xfffd
	v_add_co_ci_u32_e64 v16, null, 0, v13, vcc_lo
	s_delay_alu instid0(VALU_DEP_1) | instskip(NEXT) | instid1(VALU_DEP_1)
	v_lshlrev_b64_e32 v[15:16], 2, v[15:16]
	v_sub_co_u32 v15, vcc_lo, s14, v15
	s_wait_alu 0xfffd
	s_delay_alu instid0(VALU_DEP_2)
	v_sub_co_ci_u32_e64 v16, null, s15, v16, vcc_lo
	s_wait_dscnt 0x0
	global_store_b32 v[15:16], v17, off offset:-4
.LBB669_157:
	s_wait_alu 0xfffe
	s_and_not1_saveexec_b32 s1, s1
	s_cbranch_execz .LBB669_159
; %bb.158:
	v_lshlrev_b32_e32 v15, 2, v0
	v_readfirstlane_b32 s4, v9
	v_readfirstlane_b32 s5, v10
	ds_load_b32 v16, v15
	s_wait_dscnt 0x0
	global_store_b32 v15, v16, s[4:5]
.LBB669_159:
	s_wait_alu 0xfffe
	s_or_b32 exec_lo, exec_lo, s1
.LBB669_160:
	s_wait_alu 0xfffe
	s_and_not1_saveexec_b32 s0, s0
	s_cbranch_execz .LBB669_162
; %bb.161:
	v_lshlrev_b32_e32 v15, 2, v0
	v_readfirstlane_b32 s4, v11
	v_readfirstlane_b32 s5, v12
	ds_load_b32 v16, v15
	s_wait_dscnt 0x0
	global_store_b32 v15, v16, s[4:5]
.LBB669_162:
	s_wait_alu 0xfffe
	s_or_b32 exec_lo, exec_lo, s0
	s_delay_alu instid0(SALU_CYCLE_1)
	s_mov_b32 s0, exec_lo
	v_cmpx_ge_u32_e64 v42, v5
	s_wait_alu 0xfffe
	s_xor_b32 s0, exec_lo, s0
	s_cbranch_execz .LBB669_168
; %bb.163:
	s_mov_b32 s1, exec_lo
	v_cmpx_ge_u32_e64 v42, v14
	s_wait_alu 0xfffe
	s_xor_b32 s1, exec_lo, s1
	s_cbranch_execz .LBB669_165
; %bb.164:
	v_lshlrev_b32_e32 v15, 2, v0
	ds_load_b32 v17, v15 offset:1024
	v_add_co_u32 v15, vcc_lo, v7, v0
	s_wait_alu 0xfffd
	v_add_co_ci_u32_e64 v16, null, 0, v13, vcc_lo
	s_delay_alu instid0(VALU_DEP_1) | instskip(NEXT) | instid1(VALU_DEP_1)
	v_lshlrev_b64_e32 v[15:16], 2, v[15:16]
	v_sub_co_u32 v15, vcc_lo, s14, v15
	s_wait_alu 0xfffd
	s_delay_alu instid0(VALU_DEP_2)
	v_sub_co_ci_u32_e64 v16, null, s15, v16, vcc_lo
	s_wait_dscnt 0x0
	global_store_b32 v[15:16], v17, off offset:-1028
.LBB669_165:
	s_wait_alu 0xfffe
	s_and_not1_saveexec_b32 s1, s1
	s_cbranch_execz .LBB669_167
; %bb.166:
	v_lshlrev_b32_e32 v15, 2, v0
	v_readfirstlane_b32 s4, v9
	v_readfirstlane_b32 s5, v10
	ds_load_b32 v16, v15 offset:1024
	s_wait_dscnt 0x0
	global_store_b32 v15, v16, s[4:5] offset:1024
.LBB669_167:
	s_wait_alu 0xfffe
	s_or_b32 exec_lo, exec_lo, s1
.LBB669_168:
	s_wait_alu 0xfffe
	s_and_not1_saveexec_b32 s0, s0
	s_cbranch_execz .LBB669_170
; %bb.169:
	v_lshlrev_b32_e32 v15, 2, v0
	v_readfirstlane_b32 s4, v11
	v_readfirstlane_b32 s5, v12
	ds_load_b32 v16, v15 offset:1024
	s_wait_dscnt 0x0
	global_store_b32 v15, v16, s[4:5] offset:1024
.LBB669_170:
	s_wait_alu 0xfffe
	s_or_b32 exec_lo, exec_lo, s0
	s_delay_alu instid0(SALU_CYCLE_1)
	s_mov_b32 s0, exec_lo
	v_cmpx_ge_u32_e64 v41, v5
	s_wait_alu 0xfffe
	s_xor_b32 s0, exec_lo, s0
	s_cbranch_execz .LBB669_176
; %bb.171:
	s_mov_b32 s1, exec_lo
	v_cmpx_ge_u32_e64 v41, v14
	s_wait_alu 0xfffe
	s_xor_b32 s1, exec_lo, s1
	s_cbranch_execz .LBB669_173
; %bb.172:
	v_lshlrev_b32_e32 v15, 2, v0
	ds_load_b32 v17, v15 offset:2048
	v_add_co_u32 v15, vcc_lo, v7, v0
	s_wait_alu 0xfffd
	v_add_co_ci_u32_e64 v16, null, 0, v13, vcc_lo
	s_delay_alu instid0(VALU_DEP_1) | instskip(NEXT) | instid1(VALU_DEP_1)
	v_lshlrev_b64_e32 v[15:16], 2, v[15:16]
	v_sub_co_u32 v15, vcc_lo, s14, v15
	s_wait_alu 0xfffd
	s_delay_alu instid0(VALU_DEP_2)
	v_sub_co_ci_u32_e64 v16, null, s15, v16, vcc_lo
	s_wait_dscnt 0x0
	global_store_b32 v[15:16], v17, off offset:-2052
.LBB669_173:
	s_wait_alu 0xfffe
	s_and_not1_saveexec_b32 s1, s1
	s_cbranch_execz .LBB669_175
; %bb.174:
	v_lshlrev_b32_e32 v15, 2, v0
	v_readfirstlane_b32 s4, v9
	v_readfirstlane_b32 s5, v10
	ds_load_b32 v16, v15 offset:2048
	s_wait_dscnt 0x0
	global_store_b32 v15, v16, s[4:5] offset:2048
.LBB669_175:
	s_wait_alu 0xfffe
	s_or_b32 exec_lo, exec_lo, s1
.LBB669_176:
	s_wait_alu 0xfffe
	s_and_not1_saveexec_b32 s0, s0
	s_cbranch_execz .LBB669_178
; %bb.177:
	v_lshlrev_b32_e32 v15, 2, v0
	v_readfirstlane_b32 s4, v11
	v_readfirstlane_b32 s5, v12
	ds_load_b32 v16, v15 offset:2048
	s_wait_dscnt 0x0
	global_store_b32 v15, v16, s[4:5] offset:2048
.LBB669_178:
	;; [unrolled: 54-line block ×12, first 2 shown]
	s_wait_alu 0xfffe
	s_or_b32 exec_lo, exec_lo, s0
	s_branch .LBB669_152
.LBB669_259:
	s_mov_b32 s0, exec_lo
	v_cmpx_gt_u32_e64 s27, v0
	s_cbranch_execz .LBB669_268
; %bb.260:
	s_mov_b32 s1, exec_lo
	v_cmpx_ge_u32_e64 v0, v5
	s_wait_alu 0xfffe
	s_xor_b32 s1, exec_lo, s1
	s_cbranch_execz .LBB669_266
; %bb.261:
	s_mov_b32 s3, exec_lo
	v_cmpx_ge_u32_e64 v0, v14
	s_wait_alu 0xfffe
	s_xor_b32 s3, exec_lo, s3
	s_cbranch_execz .LBB669_263
; %bb.262:
	v_lshlrev_b32_e32 v15, 2, v0
	ds_load_b32 v17, v15
	v_add_co_u32 v15, vcc_lo, v7, v0
	s_wait_alu 0xfffd
	v_add_co_ci_u32_e64 v16, null, 0, v13, vcc_lo
	s_delay_alu instid0(VALU_DEP_1) | instskip(NEXT) | instid1(VALU_DEP_1)
	v_lshlrev_b64_e32 v[15:16], 2, v[15:16]
	v_sub_co_u32 v15, vcc_lo, s14, v15
	s_wait_alu 0xfffd
	s_delay_alu instid0(VALU_DEP_2)
	v_sub_co_ci_u32_e64 v16, null, s15, v16, vcc_lo
	s_wait_dscnt 0x0
	global_store_b32 v[15:16], v17, off offset:-4
.LBB669_263:
	s_wait_alu 0xfffe
	s_and_not1_saveexec_b32 s3, s3
	s_cbranch_execz .LBB669_265
; %bb.264:
	v_lshlrev_b32_e32 v15, 2, v0
	v_readfirstlane_b32 s4, v9
	v_readfirstlane_b32 s5, v10
	ds_load_b32 v16, v15
	s_wait_dscnt 0x0
	global_store_b32 v15, v16, s[4:5]
.LBB669_265:
	s_wait_alu 0xfffe
	s_or_b32 exec_lo, exec_lo, s3
.LBB669_266:
	s_wait_alu 0xfffe
	s_and_not1_saveexec_b32 s1, s1
	s_cbranch_execz .LBB669_268
; %bb.267:
	v_lshlrev_b32_e32 v15, 2, v0
	v_readfirstlane_b32 s4, v11
	v_readfirstlane_b32 s5, v12
	ds_load_b32 v16, v15
	s_wait_dscnt 0x0
	global_store_b32 v15, v16, s[4:5]
.LBB669_268:
	s_wait_alu 0xfffe
	s_or_b32 exec_lo, exec_lo, s0
	s_delay_alu instid0(SALU_CYCLE_1)
	s_mov_b32 s0, exec_lo
	v_cmpx_gt_u32_e64 s27, v42
	s_cbranch_execz .LBB669_277
; %bb.269:
	s_mov_b32 s1, exec_lo
	v_cmpx_ge_u32_e64 v42, v5
	s_wait_alu 0xfffe
	s_xor_b32 s1, exec_lo, s1
	s_cbranch_execz .LBB669_275
; %bb.270:
	s_mov_b32 s3, exec_lo
	v_cmpx_ge_u32_e64 v42, v14
	s_wait_alu 0xfffe
	s_xor_b32 s3, exec_lo, s3
	s_cbranch_execz .LBB669_272
; %bb.271:
	v_lshlrev_b32_e32 v15, 2, v0
	ds_load_b32 v17, v15 offset:1024
	v_add_co_u32 v15, vcc_lo, v7, v0
	s_wait_alu 0xfffd
	v_add_co_ci_u32_e64 v16, null, 0, v13, vcc_lo
	s_delay_alu instid0(VALU_DEP_1) | instskip(NEXT) | instid1(VALU_DEP_1)
	v_lshlrev_b64_e32 v[15:16], 2, v[15:16]
	v_sub_co_u32 v15, vcc_lo, s14, v15
	s_wait_alu 0xfffd
	s_delay_alu instid0(VALU_DEP_2)
	v_sub_co_ci_u32_e64 v16, null, s15, v16, vcc_lo
	s_wait_dscnt 0x0
	global_store_b32 v[15:16], v17, off offset:-1028
.LBB669_272:
	s_wait_alu 0xfffe
	s_and_not1_saveexec_b32 s3, s3
	s_cbranch_execz .LBB669_274
; %bb.273:
	v_lshlrev_b32_e32 v15, 2, v0
	v_readfirstlane_b32 s4, v9
	v_readfirstlane_b32 s5, v10
	ds_load_b32 v16, v15 offset:1024
	s_wait_dscnt 0x0
	global_store_b32 v15, v16, s[4:5] offset:1024
.LBB669_274:
	s_wait_alu 0xfffe
	s_or_b32 exec_lo, exec_lo, s3
.LBB669_275:
	s_wait_alu 0xfffe
	s_and_not1_saveexec_b32 s1, s1
	s_cbranch_execz .LBB669_277
; %bb.276:
	v_lshlrev_b32_e32 v15, 2, v0
	v_readfirstlane_b32 s4, v11
	v_readfirstlane_b32 s5, v12
	ds_load_b32 v16, v15 offset:1024
	s_wait_dscnt 0x0
	global_store_b32 v15, v16, s[4:5] offset:1024
.LBB669_277:
	s_wait_alu 0xfffe
	s_or_b32 exec_lo, exec_lo, s0
	s_delay_alu instid0(SALU_CYCLE_1)
	s_mov_b32 s0, exec_lo
	v_cmpx_gt_u32_e64 s27, v41
	s_cbranch_execz .LBB669_286
; %bb.278:
	s_mov_b32 s1, exec_lo
	v_cmpx_ge_u32_e64 v41, v5
	s_wait_alu 0xfffe
	s_xor_b32 s1, exec_lo, s1
	s_cbranch_execz .LBB669_284
; %bb.279:
	s_mov_b32 s3, exec_lo
	v_cmpx_ge_u32_e64 v41, v14
	s_wait_alu 0xfffe
	s_xor_b32 s3, exec_lo, s3
	s_cbranch_execz .LBB669_281
; %bb.280:
	v_lshlrev_b32_e32 v15, 2, v0
	ds_load_b32 v17, v15 offset:2048
	v_add_co_u32 v15, vcc_lo, v7, v0
	s_wait_alu 0xfffd
	v_add_co_ci_u32_e64 v16, null, 0, v13, vcc_lo
	s_delay_alu instid0(VALU_DEP_1) | instskip(NEXT) | instid1(VALU_DEP_1)
	v_lshlrev_b64_e32 v[15:16], 2, v[15:16]
	v_sub_co_u32 v15, vcc_lo, s14, v15
	s_wait_alu 0xfffd
	s_delay_alu instid0(VALU_DEP_2)
	v_sub_co_ci_u32_e64 v16, null, s15, v16, vcc_lo
	s_wait_dscnt 0x0
	global_store_b32 v[15:16], v17, off offset:-2052
.LBB669_281:
	s_wait_alu 0xfffe
	s_and_not1_saveexec_b32 s3, s3
	s_cbranch_execz .LBB669_283
; %bb.282:
	v_lshlrev_b32_e32 v15, 2, v0
	v_readfirstlane_b32 s4, v9
	v_readfirstlane_b32 s5, v10
	ds_load_b32 v16, v15 offset:2048
	s_wait_dscnt 0x0
	global_store_b32 v15, v16, s[4:5] offset:2048
.LBB669_283:
	s_wait_alu 0xfffe
	s_or_b32 exec_lo, exec_lo, s3
.LBB669_284:
	s_wait_alu 0xfffe
	s_and_not1_saveexec_b32 s1, s1
	s_cbranch_execz .LBB669_286
; %bb.285:
	v_lshlrev_b32_e32 v15, 2, v0
	v_readfirstlane_b32 s4, v11
	v_readfirstlane_b32 s5, v12
	ds_load_b32 v16, v15 offset:2048
	s_wait_dscnt 0x0
	global_store_b32 v15, v16, s[4:5] offset:2048
.LBB669_286:
	;; [unrolled: 58-line block ×11, first 2 shown]
	s_wait_alu 0xfffe
	s_or_b32 exec_lo, exec_lo, s0
	s_delay_alu instid0(SALU_CYCLE_1)
	s_mov_b32 s0, exec_lo
	v_cmpx_gt_u32_e64 s27, v31
	s_cbranch_execz .LBB669_376
; %bb.368:
	s_mov_b32 s1, exec_lo
	v_cmpx_ge_u32_e64 v31, v5
	s_wait_alu 0xfffe
	s_xor_b32 s1, exec_lo, s1
	s_cbranch_execz .LBB669_374
; %bb.369:
	s_mov_b32 s3, exec_lo
	v_cmpx_ge_u32_e64 v31, v14
	s_wait_alu 0xfffe
	s_xor_b32 s3, exec_lo, s3
	s_cbranch_execz .LBB669_371
; %bb.370:
	v_lshlrev_b32_e32 v9, 2, v0
	ds_load_b32 v11, v9 offset:12288
	v_add_co_u32 v9, vcc_lo, v7, v0
	s_wait_alu 0xfffd
	v_add_co_ci_u32_e64 v10, null, 0, v13, vcc_lo
                                        ; implicit-def: $vgpr0
	s_delay_alu instid0(VALU_DEP_1) | instskip(NEXT) | instid1(VALU_DEP_1)
	v_lshlrev_b64_e32 v[9:10], 2, v[9:10]
	v_sub_co_u32 v9, vcc_lo, s14, v9
	s_wait_alu 0xfffd
	s_delay_alu instid0(VALU_DEP_2)
	v_sub_co_ci_u32_e64 v10, null, s15, v10, vcc_lo
	s_wait_dscnt 0x0
	global_store_b32 v[9:10], v11, off offset:-12292
                                        ; implicit-def: $vgpr9_vgpr10
.LBB669_371:
	s_wait_alu 0xfffe
	s_and_not1_saveexec_b32 s3, s3
	s_cbranch_execz .LBB669_373
; %bb.372:
	v_lshlrev_b32_e32 v0, 2, v0
	v_readfirstlane_b32 s4, v9
	v_readfirstlane_b32 s5, v10
	ds_load_b32 v7, v0 offset:12288
	s_wait_dscnt 0x0
	global_store_b32 v0, v7, s[4:5] offset:12288
.LBB669_373:
	s_wait_alu 0xfffe
	s_or_b32 exec_lo, exec_lo, s3
                                        ; implicit-def: $vgpr0
                                        ; implicit-def: $vgpr11_vgpr12
.LBB669_374:
	s_wait_alu 0xfffe
	s_and_not1_saveexec_b32 s1, s1
	s_cbranch_execz .LBB669_376
; %bb.375:
	v_lshlrev_b32_e32 v0, 2, v0
	v_readfirstlane_b32 s4, v11
	v_readfirstlane_b32 s5, v12
	ds_load_b32 v7, v0 offset:12288
	s_wait_dscnt 0x0
	global_store_b32 v0, v7, s[4:5] offset:12288
.LBB669_376:
	s_wait_alu 0xfffe
	s_or_b32 exec_lo, exec_lo, s0
	s_and_b32 s0, s2, s26
	s_wait_alu 0xfffe
	s_and_saveexec_b32 s1, s0
	s_cbranch_execz .LBB669_153
.LBB669_377:
	v_add_co_u32 v0, vcc_lo, v3, v6
	s_wait_alu 0xfffd
	v_add_co_ci_u32_e64 v4, null, 0, v4, vcc_lo
	v_mov_b32_e32 v6, 0
	s_delay_alu instid0(VALU_DEP_3) | instskip(SKIP_1) | instid1(VALU_DEP_3)
	v_add_co_u32 v3, vcc_lo, v0, v8
	s_wait_alu 0xfffd
	v_add_co_ci_u32_e64 v4, null, 0, v4, vcc_lo
	v_add_co_u32 v1, vcc_lo, v1, v5
	s_wait_alu 0xfffd
	v_add_co_ci_u32_e64 v2, null, 0, v2, vcc_lo
	global_store_b128 v6, v[1:4], s[24:25]
	s_nop 0
	s_sendmsg sendmsg(MSG_DEALLOC_VGPRS)
	s_endpgm
.LBB669_378:
	s_add_co_i32 s6, s33, 32
	s_mov_b32 s7, 0
	v_dual_mov_b32 v11, 2 :: v_dual_add_nc_u32 v10, v8, v6
	s_wait_alu 0xfffe
	s_lshl_b64 s[6:7], s[6:7], 4
	v_dual_mov_b32 v12, 0 :: v_dual_add_nc_u32 v9, v7, v5
	s_wait_alu 0xfffe
	s_add_nc_u64 s[6:7], s[36:37], s[6:7]
	s_wait_alu 0xfffe
	v_dual_mov_b32 v28, s7 :: v_dual_mov_b32 v27, s6
	;;#ASMSTART
	global_store_b128 v[27:28], v[9:12] off scope:SCOPE_DEV	
s_wait_storecnt 0x0
	;;#ASMEND
	s_or_b32 exec_lo, exec_lo, s5
	s_and_saveexec_b32 s5, s3
	s_cbranch_execz .LBB669_138
.LBB669_379:
	v_mov_b32_e32 v9, 0
	ds_store_b128 v9, v[5:8] offset:13312
	s_wait_alu 0xfffe
	s_or_b32 exec_lo, exec_lo, s5
	s_delay_alu instid0(SALU_CYCLE_1)
	s_and_b32 exec_lo, exec_lo, s2
	s_cbranch_execnz .LBB669_139
	s_branch .LBB669_140
	.section	.rodata,"a",@progbits
	.p2align	6, 0x0
	.amdhsa_kernel _ZN7rocprim17ROCPRIM_400000_NS6detail17trampoline_kernelINS0_13select_configILj256ELj13ELNS0_17block_load_methodE3ELS4_3ELS4_3ELNS0_20block_scan_algorithmE0ELj4294967295EEENS1_25partition_config_selectorILNS1_17partition_subalgoE4EjNS0_10empty_typeEbEEZZNS1_14partition_implILS8_4ELb0ES6_15HIP_vector_typeIjLj2EENS0_17counting_iteratorIjlEEPS9_SG_NS0_5tupleIJPjSI_NS0_16reverse_iteratorISI_EEEEENSH_IJSG_SG_SG_EEES9_SI_JZNS1_25segmented_radix_sort_implINS0_14default_configELb1EPKlPlSQ_SR_N2at6native12_GLOBAL__N_18offset_tEEE10hipError_tPvRmT1_PNSt15iterator_traitsISZ_E10value_typeET2_T3_PNS10_IS15_E10value_typeET4_jRbjT5_S1B_jjP12ihipStream_tbEUljE_ZNSN_ISO_Lb1ESQ_SR_SQ_SR_SV_EESW_SX_SY_SZ_S13_S14_S15_S18_S19_jS1A_jS1B_S1B_jjS1D_bEUljE0_EEESW_SX_SY_S15_S19_S1B_T6_T7_T9_mT8_S1D_bDpT10_ENKUlT_T0_E_clISt17integral_constantIbLb0EES1Q_IbLb1EEEEDaS1M_S1N_EUlS1M_E_NS1_11comp_targetILNS1_3genE10ELNS1_11target_archE1200ELNS1_3gpuE4ELNS1_3repE0EEENS1_30default_config_static_selectorELNS0_4arch9wavefront6targetE0EEEvSZ_
		.amdhsa_group_segment_fixed_size 13328
		.amdhsa_private_segment_fixed_size 0
		.amdhsa_kernarg_size 184
		.amdhsa_user_sgpr_count 2
		.amdhsa_user_sgpr_dispatch_ptr 0
		.amdhsa_user_sgpr_queue_ptr 0
		.amdhsa_user_sgpr_kernarg_segment_ptr 1
		.amdhsa_user_sgpr_dispatch_id 0
		.amdhsa_user_sgpr_private_segment_size 0
		.amdhsa_wavefront_size32 1
		.amdhsa_uses_dynamic_stack 0
		.amdhsa_enable_private_segment 0
		.amdhsa_system_sgpr_workgroup_id_x 1
		.amdhsa_system_sgpr_workgroup_id_y 0
		.amdhsa_system_sgpr_workgroup_id_z 0
		.amdhsa_system_sgpr_workgroup_info 0
		.amdhsa_system_vgpr_workitem_id 0
		.amdhsa_next_free_vgpr 98
		.amdhsa_next_free_sgpr 55
		.amdhsa_reserve_vcc 1
		.amdhsa_float_round_mode_32 0
		.amdhsa_float_round_mode_16_64 0
		.amdhsa_float_denorm_mode_32 3
		.amdhsa_float_denorm_mode_16_64 3
		.amdhsa_fp16_overflow 0
		.amdhsa_workgroup_processor_mode 1
		.amdhsa_memory_ordered 1
		.amdhsa_forward_progress 1
		.amdhsa_inst_pref_size 151
		.amdhsa_round_robin_scheduling 0
		.amdhsa_exception_fp_ieee_invalid_op 0
		.amdhsa_exception_fp_denorm_src 0
		.amdhsa_exception_fp_ieee_div_zero 0
		.amdhsa_exception_fp_ieee_overflow 0
		.amdhsa_exception_fp_ieee_underflow 0
		.amdhsa_exception_fp_ieee_inexact 0
		.amdhsa_exception_int_div_zero 0
	.end_amdhsa_kernel
	.section	.text._ZN7rocprim17ROCPRIM_400000_NS6detail17trampoline_kernelINS0_13select_configILj256ELj13ELNS0_17block_load_methodE3ELS4_3ELS4_3ELNS0_20block_scan_algorithmE0ELj4294967295EEENS1_25partition_config_selectorILNS1_17partition_subalgoE4EjNS0_10empty_typeEbEEZZNS1_14partition_implILS8_4ELb0ES6_15HIP_vector_typeIjLj2EENS0_17counting_iteratorIjlEEPS9_SG_NS0_5tupleIJPjSI_NS0_16reverse_iteratorISI_EEEEENSH_IJSG_SG_SG_EEES9_SI_JZNS1_25segmented_radix_sort_implINS0_14default_configELb1EPKlPlSQ_SR_N2at6native12_GLOBAL__N_18offset_tEEE10hipError_tPvRmT1_PNSt15iterator_traitsISZ_E10value_typeET2_T3_PNS10_IS15_E10value_typeET4_jRbjT5_S1B_jjP12ihipStream_tbEUljE_ZNSN_ISO_Lb1ESQ_SR_SQ_SR_SV_EESW_SX_SY_SZ_S13_S14_S15_S18_S19_jS1A_jS1B_S1B_jjS1D_bEUljE0_EEESW_SX_SY_S15_S19_S1B_T6_T7_T9_mT8_S1D_bDpT10_ENKUlT_T0_E_clISt17integral_constantIbLb0EES1Q_IbLb1EEEEDaS1M_S1N_EUlS1M_E_NS1_11comp_targetILNS1_3genE10ELNS1_11target_archE1200ELNS1_3gpuE4ELNS1_3repE0EEENS1_30default_config_static_selectorELNS0_4arch9wavefront6targetE0EEEvSZ_,"axG",@progbits,_ZN7rocprim17ROCPRIM_400000_NS6detail17trampoline_kernelINS0_13select_configILj256ELj13ELNS0_17block_load_methodE3ELS4_3ELS4_3ELNS0_20block_scan_algorithmE0ELj4294967295EEENS1_25partition_config_selectorILNS1_17partition_subalgoE4EjNS0_10empty_typeEbEEZZNS1_14partition_implILS8_4ELb0ES6_15HIP_vector_typeIjLj2EENS0_17counting_iteratorIjlEEPS9_SG_NS0_5tupleIJPjSI_NS0_16reverse_iteratorISI_EEEEENSH_IJSG_SG_SG_EEES9_SI_JZNS1_25segmented_radix_sort_implINS0_14default_configELb1EPKlPlSQ_SR_N2at6native12_GLOBAL__N_18offset_tEEE10hipError_tPvRmT1_PNSt15iterator_traitsISZ_E10value_typeET2_T3_PNS10_IS15_E10value_typeET4_jRbjT5_S1B_jjP12ihipStream_tbEUljE_ZNSN_ISO_Lb1ESQ_SR_SQ_SR_SV_EESW_SX_SY_SZ_S13_S14_S15_S18_S19_jS1A_jS1B_S1B_jjS1D_bEUljE0_EEESW_SX_SY_S15_S19_S1B_T6_T7_T9_mT8_S1D_bDpT10_ENKUlT_T0_E_clISt17integral_constantIbLb0EES1Q_IbLb1EEEEDaS1M_S1N_EUlS1M_E_NS1_11comp_targetILNS1_3genE10ELNS1_11target_archE1200ELNS1_3gpuE4ELNS1_3repE0EEENS1_30default_config_static_selectorELNS0_4arch9wavefront6targetE0EEEvSZ_,comdat
.Lfunc_end669:
	.size	_ZN7rocprim17ROCPRIM_400000_NS6detail17trampoline_kernelINS0_13select_configILj256ELj13ELNS0_17block_load_methodE3ELS4_3ELS4_3ELNS0_20block_scan_algorithmE0ELj4294967295EEENS1_25partition_config_selectorILNS1_17partition_subalgoE4EjNS0_10empty_typeEbEEZZNS1_14partition_implILS8_4ELb0ES6_15HIP_vector_typeIjLj2EENS0_17counting_iteratorIjlEEPS9_SG_NS0_5tupleIJPjSI_NS0_16reverse_iteratorISI_EEEEENSH_IJSG_SG_SG_EEES9_SI_JZNS1_25segmented_radix_sort_implINS0_14default_configELb1EPKlPlSQ_SR_N2at6native12_GLOBAL__N_18offset_tEEE10hipError_tPvRmT1_PNSt15iterator_traitsISZ_E10value_typeET2_T3_PNS10_IS15_E10value_typeET4_jRbjT5_S1B_jjP12ihipStream_tbEUljE_ZNSN_ISO_Lb1ESQ_SR_SQ_SR_SV_EESW_SX_SY_SZ_S13_S14_S15_S18_S19_jS1A_jS1B_S1B_jjS1D_bEUljE0_EEESW_SX_SY_S15_S19_S1B_T6_T7_T9_mT8_S1D_bDpT10_ENKUlT_T0_E_clISt17integral_constantIbLb0EES1Q_IbLb1EEEEDaS1M_S1N_EUlS1M_E_NS1_11comp_targetILNS1_3genE10ELNS1_11target_archE1200ELNS1_3gpuE4ELNS1_3repE0EEENS1_30default_config_static_selectorELNS0_4arch9wavefront6targetE0EEEvSZ_, .Lfunc_end669-_ZN7rocprim17ROCPRIM_400000_NS6detail17trampoline_kernelINS0_13select_configILj256ELj13ELNS0_17block_load_methodE3ELS4_3ELS4_3ELNS0_20block_scan_algorithmE0ELj4294967295EEENS1_25partition_config_selectorILNS1_17partition_subalgoE4EjNS0_10empty_typeEbEEZZNS1_14partition_implILS8_4ELb0ES6_15HIP_vector_typeIjLj2EENS0_17counting_iteratorIjlEEPS9_SG_NS0_5tupleIJPjSI_NS0_16reverse_iteratorISI_EEEEENSH_IJSG_SG_SG_EEES9_SI_JZNS1_25segmented_radix_sort_implINS0_14default_configELb1EPKlPlSQ_SR_N2at6native12_GLOBAL__N_18offset_tEEE10hipError_tPvRmT1_PNSt15iterator_traitsISZ_E10value_typeET2_T3_PNS10_IS15_E10value_typeET4_jRbjT5_S1B_jjP12ihipStream_tbEUljE_ZNSN_ISO_Lb1ESQ_SR_SQ_SR_SV_EESW_SX_SY_SZ_S13_S14_S15_S18_S19_jS1A_jS1B_S1B_jjS1D_bEUljE0_EEESW_SX_SY_S15_S19_S1B_T6_T7_T9_mT8_S1D_bDpT10_ENKUlT_T0_E_clISt17integral_constantIbLb0EES1Q_IbLb1EEEEDaS1M_S1N_EUlS1M_E_NS1_11comp_targetILNS1_3genE10ELNS1_11target_archE1200ELNS1_3gpuE4ELNS1_3repE0EEENS1_30default_config_static_selectorELNS0_4arch9wavefront6targetE0EEEvSZ_
                                        ; -- End function
	.set _ZN7rocprim17ROCPRIM_400000_NS6detail17trampoline_kernelINS0_13select_configILj256ELj13ELNS0_17block_load_methodE3ELS4_3ELS4_3ELNS0_20block_scan_algorithmE0ELj4294967295EEENS1_25partition_config_selectorILNS1_17partition_subalgoE4EjNS0_10empty_typeEbEEZZNS1_14partition_implILS8_4ELb0ES6_15HIP_vector_typeIjLj2EENS0_17counting_iteratorIjlEEPS9_SG_NS0_5tupleIJPjSI_NS0_16reverse_iteratorISI_EEEEENSH_IJSG_SG_SG_EEES9_SI_JZNS1_25segmented_radix_sort_implINS0_14default_configELb1EPKlPlSQ_SR_N2at6native12_GLOBAL__N_18offset_tEEE10hipError_tPvRmT1_PNSt15iterator_traitsISZ_E10value_typeET2_T3_PNS10_IS15_E10value_typeET4_jRbjT5_S1B_jjP12ihipStream_tbEUljE_ZNSN_ISO_Lb1ESQ_SR_SQ_SR_SV_EESW_SX_SY_SZ_S13_S14_S15_S18_S19_jS1A_jS1B_S1B_jjS1D_bEUljE0_EEESW_SX_SY_S15_S19_S1B_T6_T7_T9_mT8_S1D_bDpT10_ENKUlT_T0_E_clISt17integral_constantIbLb0EES1Q_IbLb1EEEEDaS1M_S1N_EUlS1M_E_NS1_11comp_targetILNS1_3genE10ELNS1_11target_archE1200ELNS1_3gpuE4ELNS1_3repE0EEENS1_30default_config_static_selectorELNS0_4arch9wavefront6targetE0EEEvSZ_.num_vgpr, 98
	.set _ZN7rocprim17ROCPRIM_400000_NS6detail17trampoline_kernelINS0_13select_configILj256ELj13ELNS0_17block_load_methodE3ELS4_3ELS4_3ELNS0_20block_scan_algorithmE0ELj4294967295EEENS1_25partition_config_selectorILNS1_17partition_subalgoE4EjNS0_10empty_typeEbEEZZNS1_14partition_implILS8_4ELb0ES6_15HIP_vector_typeIjLj2EENS0_17counting_iteratorIjlEEPS9_SG_NS0_5tupleIJPjSI_NS0_16reverse_iteratorISI_EEEEENSH_IJSG_SG_SG_EEES9_SI_JZNS1_25segmented_radix_sort_implINS0_14default_configELb1EPKlPlSQ_SR_N2at6native12_GLOBAL__N_18offset_tEEE10hipError_tPvRmT1_PNSt15iterator_traitsISZ_E10value_typeET2_T3_PNS10_IS15_E10value_typeET4_jRbjT5_S1B_jjP12ihipStream_tbEUljE_ZNSN_ISO_Lb1ESQ_SR_SQ_SR_SV_EESW_SX_SY_SZ_S13_S14_S15_S18_S19_jS1A_jS1B_S1B_jjS1D_bEUljE0_EEESW_SX_SY_S15_S19_S1B_T6_T7_T9_mT8_S1D_bDpT10_ENKUlT_T0_E_clISt17integral_constantIbLb0EES1Q_IbLb1EEEEDaS1M_S1N_EUlS1M_E_NS1_11comp_targetILNS1_3genE10ELNS1_11target_archE1200ELNS1_3gpuE4ELNS1_3repE0EEENS1_30default_config_static_selectorELNS0_4arch9wavefront6targetE0EEEvSZ_.num_agpr, 0
	.set _ZN7rocprim17ROCPRIM_400000_NS6detail17trampoline_kernelINS0_13select_configILj256ELj13ELNS0_17block_load_methodE3ELS4_3ELS4_3ELNS0_20block_scan_algorithmE0ELj4294967295EEENS1_25partition_config_selectorILNS1_17partition_subalgoE4EjNS0_10empty_typeEbEEZZNS1_14partition_implILS8_4ELb0ES6_15HIP_vector_typeIjLj2EENS0_17counting_iteratorIjlEEPS9_SG_NS0_5tupleIJPjSI_NS0_16reverse_iteratorISI_EEEEENSH_IJSG_SG_SG_EEES9_SI_JZNS1_25segmented_radix_sort_implINS0_14default_configELb1EPKlPlSQ_SR_N2at6native12_GLOBAL__N_18offset_tEEE10hipError_tPvRmT1_PNSt15iterator_traitsISZ_E10value_typeET2_T3_PNS10_IS15_E10value_typeET4_jRbjT5_S1B_jjP12ihipStream_tbEUljE_ZNSN_ISO_Lb1ESQ_SR_SQ_SR_SV_EESW_SX_SY_SZ_S13_S14_S15_S18_S19_jS1A_jS1B_S1B_jjS1D_bEUljE0_EEESW_SX_SY_S15_S19_S1B_T6_T7_T9_mT8_S1D_bDpT10_ENKUlT_T0_E_clISt17integral_constantIbLb0EES1Q_IbLb1EEEEDaS1M_S1N_EUlS1M_E_NS1_11comp_targetILNS1_3genE10ELNS1_11target_archE1200ELNS1_3gpuE4ELNS1_3repE0EEENS1_30default_config_static_selectorELNS0_4arch9wavefront6targetE0EEEvSZ_.numbered_sgpr, 55
	.set _ZN7rocprim17ROCPRIM_400000_NS6detail17trampoline_kernelINS0_13select_configILj256ELj13ELNS0_17block_load_methodE3ELS4_3ELS4_3ELNS0_20block_scan_algorithmE0ELj4294967295EEENS1_25partition_config_selectorILNS1_17partition_subalgoE4EjNS0_10empty_typeEbEEZZNS1_14partition_implILS8_4ELb0ES6_15HIP_vector_typeIjLj2EENS0_17counting_iteratorIjlEEPS9_SG_NS0_5tupleIJPjSI_NS0_16reverse_iteratorISI_EEEEENSH_IJSG_SG_SG_EEES9_SI_JZNS1_25segmented_radix_sort_implINS0_14default_configELb1EPKlPlSQ_SR_N2at6native12_GLOBAL__N_18offset_tEEE10hipError_tPvRmT1_PNSt15iterator_traitsISZ_E10value_typeET2_T3_PNS10_IS15_E10value_typeET4_jRbjT5_S1B_jjP12ihipStream_tbEUljE_ZNSN_ISO_Lb1ESQ_SR_SQ_SR_SV_EESW_SX_SY_SZ_S13_S14_S15_S18_S19_jS1A_jS1B_S1B_jjS1D_bEUljE0_EEESW_SX_SY_S15_S19_S1B_T6_T7_T9_mT8_S1D_bDpT10_ENKUlT_T0_E_clISt17integral_constantIbLb0EES1Q_IbLb1EEEEDaS1M_S1N_EUlS1M_E_NS1_11comp_targetILNS1_3genE10ELNS1_11target_archE1200ELNS1_3gpuE4ELNS1_3repE0EEENS1_30default_config_static_selectorELNS0_4arch9wavefront6targetE0EEEvSZ_.num_named_barrier, 0
	.set _ZN7rocprim17ROCPRIM_400000_NS6detail17trampoline_kernelINS0_13select_configILj256ELj13ELNS0_17block_load_methodE3ELS4_3ELS4_3ELNS0_20block_scan_algorithmE0ELj4294967295EEENS1_25partition_config_selectorILNS1_17partition_subalgoE4EjNS0_10empty_typeEbEEZZNS1_14partition_implILS8_4ELb0ES6_15HIP_vector_typeIjLj2EENS0_17counting_iteratorIjlEEPS9_SG_NS0_5tupleIJPjSI_NS0_16reverse_iteratorISI_EEEEENSH_IJSG_SG_SG_EEES9_SI_JZNS1_25segmented_radix_sort_implINS0_14default_configELb1EPKlPlSQ_SR_N2at6native12_GLOBAL__N_18offset_tEEE10hipError_tPvRmT1_PNSt15iterator_traitsISZ_E10value_typeET2_T3_PNS10_IS15_E10value_typeET4_jRbjT5_S1B_jjP12ihipStream_tbEUljE_ZNSN_ISO_Lb1ESQ_SR_SQ_SR_SV_EESW_SX_SY_SZ_S13_S14_S15_S18_S19_jS1A_jS1B_S1B_jjS1D_bEUljE0_EEESW_SX_SY_S15_S19_S1B_T6_T7_T9_mT8_S1D_bDpT10_ENKUlT_T0_E_clISt17integral_constantIbLb0EES1Q_IbLb1EEEEDaS1M_S1N_EUlS1M_E_NS1_11comp_targetILNS1_3genE10ELNS1_11target_archE1200ELNS1_3gpuE4ELNS1_3repE0EEENS1_30default_config_static_selectorELNS0_4arch9wavefront6targetE0EEEvSZ_.private_seg_size, 0
	.set _ZN7rocprim17ROCPRIM_400000_NS6detail17trampoline_kernelINS0_13select_configILj256ELj13ELNS0_17block_load_methodE3ELS4_3ELS4_3ELNS0_20block_scan_algorithmE0ELj4294967295EEENS1_25partition_config_selectorILNS1_17partition_subalgoE4EjNS0_10empty_typeEbEEZZNS1_14partition_implILS8_4ELb0ES6_15HIP_vector_typeIjLj2EENS0_17counting_iteratorIjlEEPS9_SG_NS0_5tupleIJPjSI_NS0_16reverse_iteratorISI_EEEEENSH_IJSG_SG_SG_EEES9_SI_JZNS1_25segmented_radix_sort_implINS0_14default_configELb1EPKlPlSQ_SR_N2at6native12_GLOBAL__N_18offset_tEEE10hipError_tPvRmT1_PNSt15iterator_traitsISZ_E10value_typeET2_T3_PNS10_IS15_E10value_typeET4_jRbjT5_S1B_jjP12ihipStream_tbEUljE_ZNSN_ISO_Lb1ESQ_SR_SQ_SR_SV_EESW_SX_SY_SZ_S13_S14_S15_S18_S19_jS1A_jS1B_S1B_jjS1D_bEUljE0_EEESW_SX_SY_S15_S19_S1B_T6_T7_T9_mT8_S1D_bDpT10_ENKUlT_T0_E_clISt17integral_constantIbLb0EES1Q_IbLb1EEEEDaS1M_S1N_EUlS1M_E_NS1_11comp_targetILNS1_3genE10ELNS1_11target_archE1200ELNS1_3gpuE4ELNS1_3repE0EEENS1_30default_config_static_selectorELNS0_4arch9wavefront6targetE0EEEvSZ_.uses_vcc, 1
	.set _ZN7rocprim17ROCPRIM_400000_NS6detail17trampoline_kernelINS0_13select_configILj256ELj13ELNS0_17block_load_methodE3ELS4_3ELS4_3ELNS0_20block_scan_algorithmE0ELj4294967295EEENS1_25partition_config_selectorILNS1_17partition_subalgoE4EjNS0_10empty_typeEbEEZZNS1_14partition_implILS8_4ELb0ES6_15HIP_vector_typeIjLj2EENS0_17counting_iteratorIjlEEPS9_SG_NS0_5tupleIJPjSI_NS0_16reverse_iteratorISI_EEEEENSH_IJSG_SG_SG_EEES9_SI_JZNS1_25segmented_radix_sort_implINS0_14default_configELb1EPKlPlSQ_SR_N2at6native12_GLOBAL__N_18offset_tEEE10hipError_tPvRmT1_PNSt15iterator_traitsISZ_E10value_typeET2_T3_PNS10_IS15_E10value_typeET4_jRbjT5_S1B_jjP12ihipStream_tbEUljE_ZNSN_ISO_Lb1ESQ_SR_SQ_SR_SV_EESW_SX_SY_SZ_S13_S14_S15_S18_S19_jS1A_jS1B_S1B_jjS1D_bEUljE0_EEESW_SX_SY_S15_S19_S1B_T6_T7_T9_mT8_S1D_bDpT10_ENKUlT_T0_E_clISt17integral_constantIbLb0EES1Q_IbLb1EEEEDaS1M_S1N_EUlS1M_E_NS1_11comp_targetILNS1_3genE10ELNS1_11target_archE1200ELNS1_3gpuE4ELNS1_3repE0EEENS1_30default_config_static_selectorELNS0_4arch9wavefront6targetE0EEEvSZ_.uses_flat_scratch, 0
	.set _ZN7rocprim17ROCPRIM_400000_NS6detail17trampoline_kernelINS0_13select_configILj256ELj13ELNS0_17block_load_methodE3ELS4_3ELS4_3ELNS0_20block_scan_algorithmE0ELj4294967295EEENS1_25partition_config_selectorILNS1_17partition_subalgoE4EjNS0_10empty_typeEbEEZZNS1_14partition_implILS8_4ELb0ES6_15HIP_vector_typeIjLj2EENS0_17counting_iteratorIjlEEPS9_SG_NS0_5tupleIJPjSI_NS0_16reverse_iteratorISI_EEEEENSH_IJSG_SG_SG_EEES9_SI_JZNS1_25segmented_radix_sort_implINS0_14default_configELb1EPKlPlSQ_SR_N2at6native12_GLOBAL__N_18offset_tEEE10hipError_tPvRmT1_PNSt15iterator_traitsISZ_E10value_typeET2_T3_PNS10_IS15_E10value_typeET4_jRbjT5_S1B_jjP12ihipStream_tbEUljE_ZNSN_ISO_Lb1ESQ_SR_SQ_SR_SV_EESW_SX_SY_SZ_S13_S14_S15_S18_S19_jS1A_jS1B_S1B_jjS1D_bEUljE0_EEESW_SX_SY_S15_S19_S1B_T6_T7_T9_mT8_S1D_bDpT10_ENKUlT_T0_E_clISt17integral_constantIbLb0EES1Q_IbLb1EEEEDaS1M_S1N_EUlS1M_E_NS1_11comp_targetILNS1_3genE10ELNS1_11target_archE1200ELNS1_3gpuE4ELNS1_3repE0EEENS1_30default_config_static_selectorELNS0_4arch9wavefront6targetE0EEEvSZ_.has_dyn_sized_stack, 0
	.set _ZN7rocprim17ROCPRIM_400000_NS6detail17trampoline_kernelINS0_13select_configILj256ELj13ELNS0_17block_load_methodE3ELS4_3ELS4_3ELNS0_20block_scan_algorithmE0ELj4294967295EEENS1_25partition_config_selectorILNS1_17partition_subalgoE4EjNS0_10empty_typeEbEEZZNS1_14partition_implILS8_4ELb0ES6_15HIP_vector_typeIjLj2EENS0_17counting_iteratorIjlEEPS9_SG_NS0_5tupleIJPjSI_NS0_16reverse_iteratorISI_EEEEENSH_IJSG_SG_SG_EEES9_SI_JZNS1_25segmented_radix_sort_implINS0_14default_configELb1EPKlPlSQ_SR_N2at6native12_GLOBAL__N_18offset_tEEE10hipError_tPvRmT1_PNSt15iterator_traitsISZ_E10value_typeET2_T3_PNS10_IS15_E10value_typeET4_jRbjT5_S1B_jjP12ihipStream_tbEUljE_ZNSN_ISO_Lb1ESQ_SR_SQ_SR_SV_EESW_SX_SY_SZ_S13_S14_S15_S18_S19_jS1A_jS1B_S1B_jjS1D_bEUljE0_EEESW_SX_SY_S15_S19_S1B_T6_T7_T9_mT8_S1D_bDpT10_ENKUlT_T0_E_clISt17integral_constantIbLb0EES1Q_IbLb1EEEEDaS1M_S1N_EUlS1M_E_NS1_11comp_targetILNS1_3genE10ELNS1_11target_archE1200ELNS1_3gpuE4ELNS1_3repE0EEENS1_30default_config_static_selectorELNS0_4arch9wavefront6targetE0EEEvSZ_.has_recursion, 0
	.set _ZN7rocprim17ROCPRIM_400000_NS6detail17trampoline_kernelINS0_13select_configILj256ELj13ELNS0_17block_load_methodE3ELS4_3ELS4_3ELNS0_20block_scan_algorithmE0ELj4294967295EEENS1_25partition_config_selectorILNS1_17partition_subalgoE4EjNS0_10empty_typeEbEEZZNS1_14partition_implILS8_4ELb0ES6_15HIP_vector_typeIjLj2EENS0_17counting_iteratorIjlEEPS9_SG_NS0_5tupleIJPjSI_NS0_16reverse_iteratorISI_EEEEENSH_IJSG_SG_SG_EEES9_SI_JZNS1_25segmented_radix_sort_implINS0_14default_configELb1EPKlPlSQ_SR_N2at6native12_GLOBAL__N_18offset_tEEE10hipError_tPvRmT1_PNSt15iterator_traitsISZ_E10value_typeET2_T3_PNS10_IS15_E10value_typeET4_jRbjT5_S1B_jjP12ihipStream_tbEUljE_ZNSN_ISO_Lb1ESQ_SR_SQ_SR_SV_EESW_SX_SY_SZ_S13_S14_S15_S18_S19_jS1A_jS1B_S1B_jjS1D_bEUljE0_EEESW_SX_SY_S15_S19_S1B_T6_T7_T9_mT8_S1D_bDpT10_ENKUlT_T0_E_clISt17integral_constantIbLb0EES1Q_IbLb1EEEEDaS1M_S1N_EUlS1M_E_NS1_11comp_targetILNS1_3genE10ELNS1_11target_archE1200ELNS1_3gpuE4ELNS1_3repE0EEENS1_30default_config_static_selectorELNS0_4arch9wavefront6targetE0EEEvSZ_.has_indirect_call, 0
	.section	.AMDGPU.csdata,"",@progbits
; Kernel info:
; codeLenInByte = 19208
; TotalNumSgprs: 57
; NumVgprs: 98
; ScratchSize: 0
; MemoryBound: 0
; FloatMode: 240
; IeeeMode: 1
; LDSByteSize: 13328 bytes/workgroup (compile time only)
; SGPRBlocks: 0
; VGPRBlocks: 12
; NumSGPRsForWavesPerEU: 57
; NumVGPRsForWavesPerEU: 98
; Occupancy: 12
; WaveLimiterHint : 1
; COMPUTE_PGM_RSRC2:SCRATCH_EN: 0
; COMPUTE_PGM_RSRC2:USER_SGPR: 2
; COMPUTE_PGM_RSRC2:TRAP_HANDLER: 0
; COMPUTE_PGM_RSRC2:TGID_X_EN: 1
; COMPUTE_PGM_RSRC2:TGID_Y_EN: 0
; COMPUTE_PGM_RSRC2:TGID_Z_EN: 0
; COMPUTE_PGM_RSRC2:TIDIG_COMP_CNT: 0
	.section	.text._ZN7rocprim17ROCPRIM_400000_NS6detail17trampoline_kernelINS0_13select_configILj256ELj13ELNS0_17block_load_methodE3ELS4_3ELS4_3ELNS0_20block_scan_algorithmE0ELj4294967295EEENS1_25partition_config_selectorILNS1_17partition_subalgoE4EjNS0_10empty_typeEbEEZZNS1_14partition_implILS8_4ELb0ES6_15HIP_vector_typeIjLj2EENS0_17counting_iteratorIjlEEPS9_SG_NS0_5tupleIJPjSI_NS0_16reverse_iteratorISI_EEEEENSH_IJSG_SG_SG_EEES9_SI_JZNS1_25segmented_radix_sort_implINS0_14default_configELb1EPKlPlSQ_SR_N2at6native12_GLOBAL__N_18offset_tEEE10hipError_tPvRmT1_PNSt15iterator_traitsISZ_E10value_typeET2_T3_PNS10_IS15_E10value_typeET4_jRbjT5_S1B_jjP12ihipStream_tbEUljE_ZNSN_ISO_Lb1ESQ_SR_SQ_SR_SV_EESW_SX_SY_SZ_S13_S14_S15_S18_S19_jS1A_jS1B_S1B_jjS1D_bEUljE0_EEESW_SX_SY_S15_S19_S1B_T6_T7_T9_mT8_S1D_bDpT10_ENKUlT_T0_E_clISt17integral_constantIbLb0EES1Q_IbLb1EEEEDaS1M_S1N_EUlS1M_E_NS1_11comp_targetILNS1_3genE9ELNS1_11target_archE1100ELNS1_3gpuE3ELNS1_3repE0EEENS1_30default_config_static_selectorELNS0_4arch9wavefront6targetE0EEEvSZ_,"axG",@progbits,_ZN7rocprim17ROCPRIM_400000_NS6detail17trampoline_kernelINS0_13select_configILj256ELj13ELNS0_17block_load_methodE3ELS4_3ELS4_3ELNS0_20block_scan_algorithmE0ELj4294967295EEENS1_25partition_config_selectorILNS1_17partition_subalgoE4EjNS0_10empty_typeEbEEZZNS1_14partition_implILS8_4ELb0ES6_15HIP_vector_typeIjLj2EENS0_17counting_iteratorIjlEEPS9_SG_NS0_5tupleIJPjSI_NS0_16reverse_iteratorISI_EEEEENSH_IJSG_SG_SG_EEES9_SI_JZNS1_25segmented_radix_sort_implINS0_14default_configELb1EPKlPlSQ_SR_N2at6native12_GLOBAL__N_18offset_tEEE10hipError_tPvRmT1_PNSt15iterator_traitsISZ_E10value_typeET2_T3_PNS10_IS15_E10value_typeET4_jRbjT5_S1B_jjP12ihipStream_tbEUljE_ZNSN_ISO_Lb1ESQ_SR_SQ_SR_SV_EESW_SX_SY_SZ_S13_S14_S15_S18_S19_jS1A_jS1B_S1B_jjS1D_bEUljE0_EEESW_SX_SY_S15_S19_S1B_T6_T7_T9_mT8_S1D_bDpT10_ENKUlT_T0_E_clISt17integral_constantIbLb0EES1Q_IbLb1EEEEDaS1M_S1N_EUlS1M_E_NS1_11comp_targetILNS1_3genE9ELNS1_11target_archE1100ELNS1_3gpuE3ELNS1_3repE0EEENS1_30default_config_static_selectorELNS0_4arch9wavefront6targetE0EEEvSZ_,comdat
	.globl	_ZN7rocprim17ROCPRIM_400000_NS6detail17trampoline_kernelINS0_13select_configILj256ELj13ELNS0_17block_load_methodE3ELS4_3ELS4_3ELNS0_20block_scan_algorithmE0ELj4294967295EEENS1_25partition_config_selectorILNS1_17partition_subalgoE4EjNS0_10empty_typeEbEEZZNS1_14partition_implILS8_4ELb0ES6_15HIP_vector_typeIjLj2EENS0_17counting_iteratorIjlEEPS9_SG_NS0_5tupleIJPjSI_NS0_16reverse_iteratorISI_EEEEENSH_IJSG_SG_SG_EEES9_SI_JZNS1_25segmented_radix_sort_implINS0_14default_configELb1EPKlPlSQ_SR_N2at6native12_GLOBAL__N_18offset_tEEE10hipError_tPvRmT1_PNSt15iterator_traitsISZ_E10value_typeET2_T3_PNS10_IS15_E10value_typeET4_jRbjT5_S1B_jjP12ihipStream_tbEUljE_ZNSN_ISO_Lb1ESQ_SR_SQ_SR_SV_EESW_SX_SY_SZ_S13_S14_S15_S18_S19_jS1A_jS1B_S1B_jjS1D_bEUljE0_EEESW_SX_SY_S15_S19_S1B_T6_T7_T9_mT8_S1D_bDpT10_ENKUlT_T0_E_clISt17integral_constantIbLb0EES1Q_IbLb1EEEEDaS1M_S1N_EUlS1M_E_NS1_11comp_targetILNS1_3genE9ELNS1_11target_archE1100ELNS1_3gpuE3ELNS1_3repE0EEENS1_30default_config_static_selectorELNS0_4arch9wavefront6targetE0EEEvSZ_ ; -- Begin function _ZN7rocprim17ROCPRIM_400000_NS6detail17trampoline_kernelINS0_13select_configILj256ELj13ELNS0_17block_load_methodE3ELS4_3ELS4_3ELNS0_20block_scan_algorithmE0ELj4294967295EEENS1_25partition_config_selectorILNS1_17partition_subalgoE4EjNS0_10empty_typeEbEEZZNS1_14partition_implILS8_4ELb0ES6_15HIP_vector_typeIjLj2EENS0_17counting_iteratorIjlEEPS9_SG_NS0_5tupleIJPjSI_NS0_16reverse_iteratorISI_EEEEENSH_IJSG_SG_SG_EEES9_SI_JZNS1_25segmented_radix_sort_implINS0_14default_configELb1EPKlPlSQ_SR_N2at6native12_GLOBAL__N_18offset_tEEE10hipError_tPvRmT1_PNSt15iterator_traitsISZ_E10value_typeET2_T3_PNS10_IS15_E10value_typeET4_jRbjT5_S1B_jjP12ihipStream_tbEUljE_ZNSN_ISO_Lb1ESQ_SR_SQ_SR_SV_EESW_SX_SY_SZ_S13_S14_S15_S18_S19_jS1A_jS1B_S1B_jjS1D_bEUljE0_EEESW_SX_SY_S15_S19_S1B_T6_T7_T9_mT8_S1D_bDpT10_ENKUlT_T0_E_clISt17integral_constantIbLb0EES1Q_IbLb1EEEEDaS1M_S1N_EUlS1M_E_NS1_11comp_targetILNS1_3genE9ELNS1_11target_archE1100ELNS1_3gpuE3ELNS1_3repE0EEENS1_30default_config_static_selectorELNS0_4arch9wavefront6targetE0EEEvSZ_
	.p2align	8
	.type	_ZN7rocprim17ROCPRIM_400000_NS6detail17trampoline_kernelINS0_13select_configILj256ELj13ELNS0_17block_load_methodE3ELS4_3ELS4_3ELNS0_20block_scan_algorithmE0ELj4294967295EEENS1_25partition_config_selectorILNS1_17partition_subalgoE4EjNS0_10empty_typeEbEEZZNS1_14partition_implILS8_4ELb0ES6_15HIP_vector_typeIjLj2EENS0_17counting_iteratorIjlEEPS9_SG_NS0_5tupleIJPjSI_NS0_16reverse_iteratorISI_EEEEENSH_IJSG_SG_SG_EEES9_SI_JZNS1_25segmented_radix_sort_implINS0_14default_configELb1EPKlPlSQ_SR_N2at6native12_GLOBAL__N_18offset_tEEE10hipError_tPvRmT1_PNSt15iterator_traitsISZ_E10value_typeET2_T3_PNS10_IS15_E10value_typeET4_jRbjT5_S1B_jjP12ihipStream_tbEUljE_ZNSN_ISO_Lb1ESQ_SR_SQ_SR_SV_EESW_SX_SY_SZ_S13_S14_S15_S18_S19_jS1A_jS1B_S1B_jjS1D_bEUljE0_EEESW_SX_SY_S15_S19_S1B_T6_T7_T9_mT8_S1D_bDpT10_ENKUlT_T0_E_clISt17integral_constantIbLb0EES1Q_IbLb1EEEEDaS1M_S1N_EUlS1M_E_NS1_11comp_targetILNS1_3genE9ELNS1_11target_archE1100ELNS1_3gpuE3ELNS1_3repE0EEENS1_30default_config_static_selectorELNS0_4arch9wavefront6targetE0EEEvSZ_,@function
_ZN7rocprim17ROCPRIM_400000_NS6detail17trampoline_kernelINS0_13select_configILj256ELj13ELNS0_17block_load_methodE3ELS4_3ELS4_3ELNS0_20block_scan_algorithmE0ELj4294967295EEENS1_25partition_config_selectorILNS1_17partition_subalgoE4EjNS0_10empty_typeEbEEZZNS1_14partition_implILS8_4ELb0ES6_15HIP_vector_typeIjLj2EENS0_17counting_iteratorIjlEEPS9_SG_NS0_5tupleIJPjSI_NS0_16reverse_iteratorISI_EEEEENSH_IJSG_SG_SG_EEES9_SI_JZNS1_25segmented_radix_sort_implINS0_14default_configELb1EPKlPlSQ_SR_N2at6native12_GLOBAL__N_18offset_tEEE10hipError_tPvRmT1_PNSt15iterator_traitsISZ_E10value_typeET2_T3_PNS10_IS15_E10value_typeET4_jRbjT5_S1B_jjP12ihipStream_tbEUljE_ZNSN_ISO_Lb1ESQ_SR_SQ_SR_SV_EESW_SX_SY_SZ_S13_S14_S15_S18_S19_jS1A_jS1B_S1B_jjS1D_bEUljE0_EEESW_SX_SY_S15_S19_S1B_T6_T7_T9_mT8_S1D_bDpT10_ENKUlT_T0_E_clISt17integral_constantIbLb0EES1Q_IbLb1EEEEDaS1M_S1N_EUlS1M_E_NS1_11comp_targetILNS1_3genE9ELNS1_11target_archE1100ELNS1_3gpuE3ELNS1_3repE0EEENS1_30default_config_static_selectorELNS0_4arch9wavefront6targetE0EEEvSZ_: ; @_ZN7rocprim17ROCPRIM_400000_NS6detail17trampoline_kernelINS0_13select_configILj256ELj13ELNS0_17block_load_methodE3ELS4_3ELS4_3ELNS0_20block_scan_algorithmE0ELj4294967295EEENS1_25partition_config_selectorILNS1_17partition_subalgoE4EjNS0_10empty_typeEbEEZZNS1_14partition_implILS8_4ELb0ES6_15HIP_vector_typeIjLj2EENS0_17counting_iteratorIjlEEPS9_SG_NS0_5tupleIJPjSI_NS0_16reverse_iteratorISI_EEEEENSH_IJSG_SG_SG_EEES9_SI_JZNS1_25segmented_radix_sort_implINS0_14default_configELb1EPKlPlSQ_SR_N2at6native12_GLOBAL__N_18offset_tEEE10hipError_tPvRmT1_PNSt15iterator_traitsISZ_E10value_typeET2_T3_PNS10_IS15_E10value_typeET4_jRbjT5_S1B_jjP12ihipStream_tbEUljE_ZNSN_ISO_Lb1ESQ_SR_SQ_SR_SV_EESW_SX_SY_SZ_S13_S14_S15_S18_S19_jS1A_jS1B_S1B_jjS1D_bEUljE0_EEESW_SX_SY_S15_S19_S1B_T6_T7_T9_mT8_S1D_bDpT10_ENKUlT_T0_E_clISt17integral_constantIbLb0EES1Q_IbLb1EEEEDaS1M_S1N_EUlS1M_E_NS1_11comp_targetILNS1_3genE9ELNS1_11target_archE1100ELNS1_3gpuE3ELNS1_3repE0EEENS1_30default_config_static_selectorELNS0_4arch9wavefront6targetE0EEEvSZ_
; %bb.0:
	.section	.rodata,"a",@progbits
	.p2align	6, 0x0
	.amdhsa_kernel _ZN7rocprim17ROCPRIM_400000_NS6detail17trampoline_kernelINS0_13select_configILj256ELj13ELNS0_17block_load_methodE3ELS4_3ELS4_3ELNS0_20block_scan_algorithmE0ELj4294967295EEENS1_25partition_config_selectorILNS1_17partition_subalgoE4EjNS0_10empty_typeEbEEZZNS1_14partition_implILS8_4ELb0ES6_15HIP_vector_typeIjLj2EENS0_17counting_iteratorIjlEEPS9_SG_NS0_5tupleIJPjSI_NS0_16reverse_iteratorISI_EEEEENSH_IJSG_SG_SG_EEES9_SI_JZNS1_25segmented_radix_sort_implINS0_14default_configELb1EPKlPlSQ_SR_N2at6native12_GLOBAL__N_18offset_tEEE10hipError_tPvRmT1_PNSt15iterator_traitsISZ_E10value_typeET2_T3_PNS10_IS15_E10value_typeET4_jRbjT5_S1B_jjP12ihipStream_tbEUljE_ZNSN_ISO_Lb1ESQ_SR_SQ_SR_SV_EESW_SX_SY_SZ_S13_S14_S15_S18_S19_jS1A_jS1B_S1B_jjS1D_bEUljE0_EEESW_SX_SY_S15_S19_S1B_T6_T7_T9_mT8_S1D_bDpT10_ENKUlT_T0_E_clISt17integral_constantIbLb0EES1Q_IbLb1EEEEDaS1M_S1N_EUlS1M_E_NS1_11comp_targetILNS1_3genE9ELNS1_11target_archE1100ELNS1_3gpuE3ELNS1_3repE0EEENS1_30default_config_static_selectorELNS0_4arch9wavefront6targetE0EEEvSZ_
		.amdhsa_group_segment_fixed_size 0
		.amdhsa_private_segment_fixed_size 0
		.amdhsa_kernarg_size 184
		.amdhsa_user_sgpr_count 2
		.amdhsa_user_sgpr_dispatch_ptr 0
		.amdhsa_user_sgpr_queue_ptr 0
		.amdhsa_user_sgpr_kernarg_segment_ptr 1
		.amdhsa_user_sgpr_dispatch_id 0
		.amdhsa_user_sgpr_private_segment_size 0
		.amdhsa_wavefront_size32 1
		.amdhsa_uses_dynamic_stack 0
		.amdhsa_enable_private_segment 0
		.amdhsa_system_sgpr_workgroup_id_x 1
		.amdhsa_system_sgpr_workgroup_id_y 0
		.amdhsa_system_sgpr_workgroup_id_z 0
		.amdhsa_system_sgpr_workgroup_info 0
		.amdhsa_system_vgpr_workitem_id 0
		.amdhsa_next_free_vgpr 1
		.amdhsa_next_free_sgpr 1
		.amdhsa_reserve_vcc 0
		.amdhsa_float_round_mode_32 0
		.amdhsa_float_round_mode_16_64 0
		.amdhsa_float_denorm_mode_32 3
		.amdhsa_float_denorm_mode_16_64 3
		.amdhsa_fp16_overflow 0
		.amdhsa_workgroup_processor_mode 1
		.amdhsa_memory_ordered 1
		.amdhsa_forward_progress 1
		.amdhsa_inst_pref_size 0
		.amdhsa_round_robin_scheduling 0
		.amdhsa_exception_fp_ieee_invalid_op 0
		.amdhsa_exception_fp_denorm_src 0
		.amdhsa_exception_fp_ieee_div_zero 0
		.amdhsa_exception_fp_ieee_overflow 0
		.amdhsa_exception_fp_ieee_underflow 0
		.amdhsa_exception_fp_ieee_inexact 0
		.amdhsa_exception_int_div_zero 0
	.end_amdhsa_kernel
	.section	.text._ZN7rocprim17ROCPRIM_400000_NS6detail17trampoline_kernelINS0_13select_configILj256ELj13ELNS0_17block_load_methodE3ELS4_3ELS4_3ELNS0_20block_scan_algorithmE0ELj4294967295EEENS1_25partition_config_selectorILNS1_17partition_subalgoE4EjNS0_10empty_typeEbEEZZNS1_14partition_implILS8_4ELb0ES6_15HIP_vector_typeIjLj2EENS0_17counting_iteratorIjlEEPS9_SG_NS0_5tupleIJPjSI_NS0_16reverse_iteratorISI_EEEEENSH_IJSG_SG_SG_EEES9_SI_JZNS1_25segmented_radix_sort_implINS0_14default_configELb1EPKlPlSQ_SR_N2at6native12_GLOBAL__N_18offset_tEEE10hipError_tPvRmT1_PNSt15iterator_traitsISZ_E10value_typeET2_T3_PNS10_IS15_E10value_typeET4_jRbjT5_S1B_jjP12ihipStream_tbEUljE_ZNSN_ISO_Lb1ESQ_SR_SQ_SR_SV_EESW_SX_SY_SZ_S13_S14_S15_S18_S19_jS1A_jS1B_S1B_jjS1D_bEUljE0_EEESW_SX_SY_S15_S19_S1B_T6_T7_T9_mT8_S1D_bDpT10_ENKUlT_T0_E_clISt17integral_constantIbLb0EES1Q_IbLb1EEEEDaS1M_S1N_EUlS1M_E_NS1_11comp_targetILNS1_3genE9ELNS1_11target_archE1100ELNS1_3gpuE3ELNS1_3repE0EEENS1_30default_config_static_selectorELNS0_4arch9wavefront6targetE0EEEvSZ_,"axG",@progbits,_ZN7rocprim17ROCPRIM_400000_NS6detail17trampoline_kernelINS0_13select_configILj256ELj13ELNS0_17block_load_methodE3ELS4_3ELS4_3ELNS0_20block_scan_algorithmE0ELj4294967295EEENS1_25partition_config_selectorILNS1_17partition_subalgoE4EjNS0_10empty_typeEbEEZZNS1_14partition_implILS8_4ELb0ES6_15HIP_vector_typeIjLj2EENS0_17counting_iteratorIjlEEPS9_SG_NS0_5tupleIJPjSI_NS0_16reverse_iteratorISI_EEEEENSH_IJSG_SG_SG_EEES9_SI_JZNS1_25segmented_radix_sort_implINS0_14default_configELb1EPKlPlSQ_SR_N2at6native12_GLOBAL__N_18offset_tEEE10hipError_tPvRmT1_PNSt15iterator_traitsISZ_E10value_typeET2_T3_PNS10_IS15_E10value_typeET4_jRbjT5_S1B_jjP12ihipStream_tbEUljE_ZNSN_ISO_Lb1ESQ_SR_SQ_SR_SV_EESW_SX_SY_SZ_S13_S14_S15_S18_S19_jS1A_jS1B_S1B_jjS1D_bEUljE0_EEESW_SX_SY_S15_S19_S1B_T6_T7_T9_mT8_S1D_bDpT10_ENKUlT_T0_E_clISt17integral_constantIbLb0EES1Q_IbLb1EEEEDaS1M_S1N_EUlS1M_E_NS1_11comp_targetILNS1_3genE9ELNS1_11target_archE1100ELNS1_3gpuE3ELNS1_3repE0EEENS1_30default_config_static_selectorELNS0_4arch9wavefront6targetE0EEEvSZ_,comdat
.Lfunc_end670:
	.size	_ZN7rocprim17ROCPRIM_400000_NS6detail17trampoline_kernelINS0_13select_configILj256ELj13ELNS0_17block_load_methodE3ELS4_3ELS4_3ELNS0_20block_scan_algorithmE0ELj4294967295EEENS1_25partition_config_selectorILNS1_17partition_subalgoE4EjNS0_10empty_typeEbEEZZNS1_14partition_implILS8_4ELb0ES6_15HIP_vector_typeIjLj2EENS0_17counting_iteratorIjlEEPS9_SG_NS0_5tupleIJPjSI_NS0_16reverse_iteratorISI_EEEEENSH_IJSG_SG_SG_EEES9_SI_JZNS1_25segmented_radix_sort_implINS0_14default_configELb1EPKlPlSQ_SR_N2at6native12_GLOBAL__N_18offset_tEEE10hipError_tPvRmT1_PNSt15iterator_traitsISZ_E10value_typeET2_T3_PNS10_IS15_E10value_typeET4_jRbjT5_S1B_jjP12ihipStream_tbEUljE_ZNSN_ISO_Lb1ESQ_SR_SQ_SR_SV_EESW_SX_SY_SZ_S13_S14_S15_S18_S19_jS1A_jS1B_S1B_jjS1D_bEUljE0_EEESW_SX_SY_S15_S19_S1B_T6_T7_T9_mT8_S1D_bDpT10_ENKUlT_T0_E_clISt17integral_constantIbLb0EES1Q_IbLb1EEEEDaS1M_S1N_EUlS1M_E_NS1_11comp_targetILNS1_3genE9ELNS1_11target_archE1100ELNS1_3gpuE3ELNS1_3repE0EEENS1_30default_config_static_selectorELNS0_4arch9wavefront6targetE0EEEvSZ_, .Lfunc_end670-_ZN7rocprim17ROCPRIM_400000_NS6detail17trampoline_kernelINS0_13select_configILj256ELj13ELNS0_17block_load_methodE3ELS4_3ELS4_3ELNS0_20block_scan_algorithmE0ELj4294967295EEENS1_25partition_config_selectorILNS1_17partition_subalgoE4EjNS0_10empty_typeEbEEZZNS1_14partition_implILS8_4ELb0ES6_15HIP_vector_typeIjLj2EENS0_17counting_iteratorIjlEEPS9_SG_NS0_5tupleIJPjSI_NS0_16reverse_iteratorISI_EEEEENSH_IJSG_SG_SG_EEES9_SI_JZNS1_25segmented_radix_sort_implINS0_14default_configELb1EPKlPlSQ_SR_N2at6native12_GLOBAL__N_18offset_tEEE10hipError_tPvRmT1_PNSt15iterator_traitsISZ_E10value_typeET2_T3_PNS10_IS15_E10value_typeET4_jRbjT5_S1B_jjP12ihipStream_tbEUljE_ZNSN_ISO_Lb1ESQ_SR_SQ_SR_SV_EESW_SX_SY_SZ_S13_S14_S15_S18_S19_jS1A_jS1B_S1B_jjS1D_bEUljE0_EEESW_SX_SY_S15_S19_S1B_T6_T7_T9_mT8_S1D_bDpT10_ENKUlT_T0_E_clISt17integral_constantIbLb0EES1Q_IbLb1EEEEDaS1M_S1N_EUlS1M_E_NS1_11comp_targetILNS1_3genE9ELNS1_11target_archE1100ELNS1_3gpuE3ELNS1_3repE0EEENS1_30default_config_static_selectorELNS0_4arch9wavefront6targetE0EEEvSZ_
                                        ; -- End function
	.set _ZN7rocprim17ROCPRIM_400000_NS6detail17trampoline_kernelINS0_13select_configILj256ELj13ELNS0_17block_load_methodE3ELS4_3ELS4_3ELNS0_20block_scan_algorithmE0ELj4294967295EEENS1_25partition_config_selectorILNS1_17partition_subalgoE4EjNS0_10empty_typeEbEEZZNS1_14partition_implILS8_4ELb0ES6_15HIP_vector_typeIjLj2EENS0_17counting_iteratorIjlEEPS9_SG_NS0_5tupleIJPjSI_NS0_16reverse_iteratorISI_EEEEENSH_IJSG_SG_SG_EEES9_SI_JZNS1_25segmented_radix_sort_implINS0_14default_configELb1EPKlPlSQ_SR_N2at6native12_GLOBAL__N_18offset_tEEE10hipError_tPvRmT1_PNSt15iterator_traitsISZ_E10value_typeET2_T3_PNS10_IS15_E10value_typeET4_jRbjT5_S1B_jjP12ihipStream_tbEUljE_ZNSN_ISO_Lb1ESQ_SR_SQ_SR_SV_EESW_SX_SY_SZ_S13_S14_S15_S18_S19_jS1A_jS1B_S1B_jjS1D_bEUljE0_EEESW_SX_SY_S15_S19_S1B_T6_T7_T9_mT8_S1D_bDpT10_ENKUlT_T0_E_clISt17integral_constantIbLb0EES1Q_IbLb1EEEEDaS1M_S1N_EUlS1M_E_NS1_11comp_targetILNS1_3genE9ELNS1_11target_archE1100ELNS1_3gpuE3ELNS1_3repE0EEENS1_30default_config_static_selectorELNS0_4arch9wavefront6targetE0EEEvSZ_.num_vgpr, 0
	.set _ZN7rocprim17ROCPRIM_400000_NS6detail17trampoline_kernelINS0_13select_configILj256ELj13ELNS0_17block_load_methodE3ELS4_3ELS4_3ELNS0_20block_scan_algorithmE0ELj4294967295EEENS1_25partition_config_selectorILNS1_17partition_subalgoE4EjNS0_10empty_typeEbEEZZNS1_14partition_implILS8_4ELb0ES6_15HIP_vector_typeIjLj2EENS0_17counting_iteratorIjlEEPS9_SG_NS0_5tupleIJPjSI_NS0_16reverse_iteratorISI_EEEEENSH_IJSG_SG_SG_EEES9_SI_JZNS1_25segmented_radix_sort_implINS0_14default_configELb1EPKlPlSQ_SR_N2at6native12_GLOBAL__N_18offset_tEEE10hipError_tPvRmT1_PNSt15iterator_traitsISZ_E10value_typeET2_T3_PNS10_IS15_E10value_typeET4_jRbjT5_S1B_jjP12ihipStream_tbEUljE_ZNSN_ISO_Lb1ESQ_SR_SQ_SR_SV_EESW_SX_SY_SZ_S13_S14_S15_S18_S19_jS1A_jS1B_S1B_jjS1D_bEUljE0_EEESW_SX_SY_S15_S19_S1B_T6_T7_T9_mT8_S1D_bDpT10_ENKUlT_T0_E_clISt17integral_constantIbLb0EES1Q_IbLb1EEEEDaS1M_S1N_EUlS1M_E_NS1_11comp_targetILNS1_3genE9ELNS1_11target_archE1100ELNS1_3gpuE3ELNS1_3repE0EEENS1_30default_config_static_selectorELNS0_4arch9wavefront6targetE0EEEvSZ_.num_agpr, 0
	.set _ZN7rocprim17ROCPRIM_400000_NS6detail17trampoline_kernelINS0_13select_configILj256ELj13ELNS0_17block_load_methodE3ELS4_3ELS4_3ELNS0_20block_scan_algorithmE0ELj4294967295EEENS1_25partition_config_selectorILNS1_17partition_subalgoE4EjNS0_10empty_typeEbEEZZNS1_14partition_implILS8_4ELb0ES6_15HIP_vector_typeIjLj2EENS0_17counting_iteratorIjlEEPS9_SG_NS0_5tupleIJPjSI_NS0_16reverse_iteratorISI_EEEEENSH_IJSG_SG_SG_EEES9_SI_JZNS1_25segmented_radix_sort_implINS0_14default_configELb1EPKlPlSQ_SR_N2at6native12_GLOBAL__N_18offset_tEEE10hipError_tPvRmT1_PNSt15iterator_traitsISZ_E10value_typeET2_T3_PNS10_IS15_E10value_typeET4_jRbjT5_S1B_jjP12ihipStream_tbEUljE_ZNSN_ISO_Lb1ESQ_SR_SQ_SR_SV_EESW_SX_SY_SZ_S13_S14_S15_S18_S19_jS1A_jS1B_S1B_jjS1D_bEUljE0_EEESW_SX_SY_S15_S19_S1B_T6_T7_T9_mT8_S1D_bDpT10_ENKUlT_T0_E_clISt17integral_constantIbLb0EES1Q_IbLb1EEEEDaS1M_S1N_EUlS1M_E_NS1_11comp_targetILNS1_3genE9ELNS1_11target_archE1100ELNS1_3gpuE3ELNS1_3repE0EEENS1_30default_config_static_selectorELNS0_4arch9wavefront6targetE0EEEvSZ_.numbered_sgpr, 0
	.set _ZN7rocprim17ROCPRIM_400000_NS6detail17trampoline_kernelINS0_13select_configILj256ELj13ELNS0_17block_load_methodE3ELS4_3ELS4_3ELNS0_20block_scan_algorithmE0ELj4294967295EEENS1_25partition_config_selectorILNS1_17partition_subalgoE4EjNS0_10empty_typeEbEEZZNS1_14partition_implILS8_4ELb0ES6_15HIP_vector_typeIjLj2EENS0_17counting_iteratorIjlEEPS9_SG_NS0_5tupleIJPjSI_NS0_16reverse_iteratorISI_EEEEENSH_IJSG_SG_SG_EEES9_SI_JZNS1_25segmented_radix_sort_implINS0_14default_configELb1EPKlPlSQ_SR_N2at6native12_GLOBAL__N_18offset_tEEE10hipError_tPvRmT1_PNSt15iterator_traitsISZ_E10value_typeET2_T3_PNS10_IS15_E10value_typeET4_jRbjT5_S1B_jjP12ihipStream_tbEUljE_ZNSN_ISO_Lb1ESQ_SR_SQ_SR_SV_EESW_SX_SY_SZ_S13_S14_S15_S18_S19_jS1A_jS1B_S1B_jjS1D_bEUljE0_EEESW_SX_SY_S15_S19_S1B_T6_T7_T9_mT8_S1D_bDpT10_ENKUlT_T0_E_clISt17integral_constantIbLb0EES1Q_IbLb1EEEEDaS1M_S1N_EUlS1M_E_NS1_11comp_targetILNS1_3genE9ELNS1_11target_archE1100ELNS1_3gpuE3ELNS1_3repE0EEENS1_30default_config_static_selectorELNS0_4arch9wavefront6targetE0EEEvSZ_.num_named_barrier, 0
	.set _ZN7rocprim17ROCPRIM_400000_NS6detail17trampoline_kernelINS0_13select_configILj256ELj13ELNS0_17block_load_methodE3ELS4_3ELS4_3ELNS0_20block_scan_algorithmE0ELj4294967295EEENS1_25partition_config_selectorILNS1_17partition_subalgoE4EjNS0_10empty_typeEbEEZZNS1_14partition_implILS8_4ELb0ES6_15HIP_vector_typeIjLj2EENS0_17counting_iteratorIjlEEPS9_SG_NS0_5tupleIJPjSI_NS0_16reverse_iteratorISI_EEEEENSH_IJSG_SG_SG_EEES9_SI_JZNS1_25segmented_radix_sort_implINS0_14default_configELb1EPKlPlSQ_SR_N2at6native12_GLOBAL__N_18offset_tEEE10hipError_tPvRmT1_PNSt15iterator_traitsISZ_E10value_typeET2_T3_PNS10_IS15_E10value_typeET4_jRbjT5_S1B_jjP12ihipStream_tbEUljE_ZNSN_ISO_Lb1ESQ_SR_SQ_SR_SV_EESW_SX_SY_SZ_S13_S14_S15_S18_S19_jS1A_jS1B_S1B_jjS1D_bEUljE0_EEESW_SX_SY_S15_S19_S1B_T6_T7_T9_mT8_S1D_bDpT10_ENKUlT_T0_E_clISt17integral_constantIbLb0EES1Q_IbLb1EEEEDaS1M_S1N_EUlS1M_E_NS1_11comp_targetILNS1_3genE9ELNS1_11target_archE1100ELNS1_3gpuE3ELNS1_3repE0EEENS1_30default_config_static_selectorELNS0_4arch9wavefront6targetE0EEEvSZ_.private_seg_size, 0
	.set _ZN7rocprim17ROCPRIM_400000_NS6detail17trampoline_kernelINS0_13select_configILj256ELj13ELNS0_17block_load_methodE3ELS4_3ELS4_3ELNS0_20block_scan_algorithmE0ELj4294967295EEENS1_25partition_config_selectorILNS1_17partition_subalgoE4EjNS0_10empty_typeEbEEZZNS1_14partition_implILS8_4ELb0ES6_15HIP_vector_typeIjLj2EENS0_17counting_iteratorIjlEEPS9_SG_NS0_5tupleIJPjSI_NS0_16reverse_iteratorISI_EEEEENSH_IJSG_SG_SG_EEES9_SI_JZNS1_25segmented_radix_sort_implINS0_14default_configELb1EPKlPlSQ_SR_N2at6native12_GLOBAL__N_18offset_tEEE10hipError_tPvRmT1_PNSt15iterator_traitsISZ_E10value_typeET2_T3_PNS10_IS15_E10value_typeET4_jRbjT5_S1B_jjP12ihipStream_tbEUljE_ZNSN_ISO_Lb1ESQ_SR_SQ_SR_SV_EESW_SX_SY_SZ_S13_S14_S15_S18_S19_jS1A_jS1B_S1B_jjS1D_bEUljE0_EEESW_SX_SY_S15_S19_S1B_T6_T7_T9_mT8_S1D_bDpT10_ENKUlT_T0_E_clISt17integral_constantIbLb0EES1Q_IbLb1EEEEDaS1M_S1N_EUlS1M_E_NS1_11comp_targetILNS1_3genE9ELNS1_11target_archE1100ELNS1_3gpuE3ELNS1_3repE0EEENS1_30default_config_static_selectorELNS0_4arch9wavefront6targetE0EEEvSZ_.uses_vcc, 0
	.set _ZN7rocprim17ROCPRIM_400000_NS6detail17trampoline_kernelINS0_13select_configILj256ELj13ELNS0_17block_load_methodE3ELS4_3ELS4_3ELNS0_20block_scan_algorithmE0ELj4294967295EEENS1_25partition_config_selectorILNS1_17partition_subalgoE4EjNS0_10empty_typeEbEEZZNS1_14partition_implILS8_4ELb0ES6_15HIP_vector_typeIjLj2EENS0_17counting_iteratorIjlEEPS9_SG_NS0_5tupleIJPjSI_NS0_16reverse_iteratorISI_EEEEENSH_IJSG_SG_SG_EEES9_SI_JZNS1_25segmented_radix_sort_implINS0_14default_configELb1EPKlPlSQ_SR_N2at6native12_GLOBAL__N_18offset_tEEE10hipError_tPvRmT1_PNSt15iterator_traitsISZ_E10value_typeET2_T3_PNS10_IS15_E10value_typeET4_jRbjT5_S1B_jjP12ihipStream_tbEUljE_ZNSN_ISO_Lb1ESQ_SR_SQ_SR_SV_EESW_SX_SY_SZ_S13_S14_S15_S18_S19_jS1A_jS1B_S1B_jjS1D_bEUljE0_EEESW_SX_SY_S15_S19_S1B_T6_T7_T9_mT8_S1D_bDpT10_ENKUlT_T0_E_clISt17integral_constantIbLb0EES1Q_IbLb1EEEEDaS1M_S1N_EUlS1M_E_NS1_11comp_targetILNS1_3genE9ELNS1_11target_archE1100ELNS1_3gpuE3ELNS1_3repE0EEENS1_30default_config_static_selectorELNS0_4arch9wavefront6targetE0EEEvSZ_.uses_flat_scratch, 0
	.set _ZN7rocprim17ROCPRIM_400000_NS6detail17trampoline_kernelINS0_13select_configILj256ELj13ELNS0_17block_load_methodE3ELS4_3ELS4_3ELNS0_20block_scan_algorithmE0ELj4294967295EEENS1_25partition_config_selectorILNS1_17partition_subalgoE4EjNS0_10empty_typeEbEEZZNS1_14partition_implILS8_4ELb0ES6_15HIP_vector_typeIjLj2EENS0_17counting_iteratorIjlEEPS9_SG_NS0_5tupleIJPjSI_NS0_16reverse_iteratorISI_EEEEENSH_IJSG_SG_SG_EEES9_SI_JZNS1_25segmented_radix_sort_implINS0_14default_configELb1EPKlPlSQ_SR_N2at6native12_GLOBAL__N_18offset_tEEE10hipError_tPvRmT1_PNSt15iterator_traitsISZ_E10value_typeET2_T3_PNS10_IS15_E10value_typeET4_jRbjT5_S1B_jjP12ihipStream_tbEUljE_ZNSN_ISO_Lb1ESQ_SR_SQ_SR_SV_EESW_SX_SY_SZ_S13_S14_S15_S18_S19_jS1A_jS1B_S1B_jjS1D_bEUljE0_EEESW_SX_SY_S15_S19_S1B_T6_T7_T9_mT8_S1D_bDpT10_ENKUlT_T0_E_clISt17integral_constantIbLb0EES1Q_IbLb1EEEEDaS1M_S1N_EUlS1M_E_NS1_11comp_targetILNS1_3genE9ELNS1_11target_archE1100ELNS1_3gpuE3ELNS1_3repE0EEENS1_30default_config_static_selectorELNS0_4arch9wavefront6targetE0EEEvSZ_.has_dyn_sized_stack, 0
	.set _ZN7rocprim17ROCPRIM_400000_NS6detail17trampoline_kernelINS0_13select_configILj256ELj13ELNS0_17block_load_methodE3ELS4_3ELS4_3ELNS0_20block_scan_algorithmE0ELj4294967295EEENS1_25partition_config_selectorILNS1_17partition_subalgoE4EjNS0_10empty_typeEbEEZZNS1_14partition_implILS8_4ELb0ES6_15HIP_vector_typeIjLj2EENS0_17counting_iteratorIjlEEPS9_SG_NS0_5tupleIJPjSI_NS0_16reverse_iteratorISI_EEEEENSH_IJSG_SG_SG_EEES9_SI_JZNS1_25segmented_radix_sort_implINS0_14default_configELb1EPKlPlSQ_SR_N2at6native12_GLOBAL__N_18offset_tEEE10hipError_tPvRmT1_PNSt15iterator_traitsISZ_E10value_typeET2_T3_PNS10_IS15_E10value_typeET4_jRbjT5_S1B_jjP12ihipStream_tbEUljE_ZNSN_ISO_Lb1ESQ_SR_SQ_SR_SV_EESW_SX_SY_SZ_S13_S14_S15_S18_S19_jS1A_jS1B_S1B_jjS1D_bEUljE0_EEESW_SX_SY_S15_S19_S1B_T6_T7_T9_mT8_S1D_bDpT10_ENKUlT_T0_E_clISt17integral_constantIbLb0EES1Q_IbLb1EEEEDaS1M_S1N_EUlS1M_E_NS1_11comp_targetILNS1_3genE9ELNS1_11target_archE1100ELNS1_3gpuE3ELNS1_3repE0EEENS1_30default_config_static_selectorELNS0_4arch9wavefront6targetE0EEEvSZ_.has_recursion, 0
	.set _ZN7rocprim17ROCPRIM_400000_NS6detail17trampoline_kernelINS0_13select_configILj256ELj13ELNS0_17block_load_methodE3ELS4_3ELS4_3ELNS0_20block_scan_algorithmE0ELj4294967295EEENS1_25partition_config_selectorILNS1_17partition_subalgoE4EjNS0_10empty_typeEbEEZZNS1_14partition_implILS8_4ELb0ES6_15HIP_vector_typeIjLj2EENS0_17counting_iteratorIjlEEPS9_SG_NS0_5tupleIJPjSI_NS0_16reverse_iteratorISI_EEEEENSH_IJSG_SG_SG_EEES9_SI_JZNS1_25segmented_radix_sort_implINS0_14default_configELb1EPKlPlSQ_SR_N2at6native12_GLOBAL__N_18offset_tEEE10hipError_tPvRmT1_PNSt15iterator_traitsISZ_E10value_typeET2_T3_PNS10_IS15_E10value_typeET4_jRbjT5_S1B_jjP12ihipStream_tbEUljE_ZNSN_ISO_Lb1ESQ_SR_SQ_SR_SV_EESW_SX_SY_SZ_S13_S14_S15_S18_S19_jS1A_jS1B_S1B_jjS1D_bEUljE0_EEESW_SX_SY_S15_S19_S1B_T6_T7_T9_mT8_S1D_bDpT10_ENKUlT_T0_E_clISt17integral_constantIbLb0EES1Q_IbLb1EEEEDaS1M_S1N_EUlS1M_E_NS1_11comp_targetILNS1_3genE9ELNS1_11target_archE1100ELNS1_3gpuE3ELNS1_3repE0EEENS1_30default_config_static_selectorELNS0_4arch9wavefront6targetE0EEEvSZ_.has_indirect_call, 0
	.section	.AMDGPU.csdata,"",@progbits
; Kernel info:
; codeLenInByte = 0
; TotalNumSgprs: 0
; NumVgprs: 0
; ScratchSize: 0
; MemoryBound: 0
; FloatMode: 240
; IeeeMode: 1
; LDSByteSize: 0 bytes/workgroup (compile time only)
; SGPRBlocks: 0
; VGPRBlocks: 0
; NumSGPRsForWavesPerEU: 1
; NumVGPRsForWavesPerEU: 1
; Occupancy: 16
; WaveLimiterHint : 0
; COMPUTE_PGM_RSRC2:SCRATCH_EN: 0
; COMPUTE_PGM_RSRC2:USER_SGPR: 2
; COMPUTE_PGM_RSRC2:TRAP_HANDLER: 0
; COMPUTE_PGM_RSRC2:TGID_X_EN: 1
; COMPUTE_PGM_RSRC2:TGID_Y_EN: 0
; COMPUTE_PGM_RSRC2:TGID_Z_EN: 0
; COMPUTE_PGM_RSRC2:TIDIG_COMP_CNT: 0
	.section	.text._ZN7rocprim17ROCPRIM_400000_NS6detail17trampoline_kernelINS0_13select_configILj256ELj13ELNS0_17block_load_methodE3ELS4_3ELS4_3ELNS0_20block_scan_algorithmE0ELj4294967295EEENS1_25partition_config_selectorILNS1_17partition_subalgoE4EjNS0_10empty_typeEbEEZZNS1_14partition_implILS8_4ELb0ES6_15HIP_vector_typeIjLj2EENS0_17counting_iteratorIjlEEPS9_SG_NS0_5tupleIJPjSI_NS0_16reverse_iteratorISI_EEEEENSH_IJSG_SG_SG_EEES9_SI_JZNS1_25segmented_radix_sort_implINS0_14default_configELb1EPKlPlSQ_SR_N2at6native12_GLOBAL__N_18offset_tEEE10hipError_tPvRmT1_PNSt15iterator_traitsISZ_E10value_typeET2_T3_PNS10_IS15_E10value_typeET4_jRbjT5_S1B_jjP12ihipStream_tbEUljE_ZNSN_ISO_Lb1ESQ_SR_SQ_SR_SV_EESW_SX_SY_SZ_S13_S14_S15_S18_S19_jS1A_jS1B_S1B_jjS1D_bEUljE0_EEESW_SX_SY_S15_S19_S1B_T6_T7_T9_mT8_S1D_bDpT10_ENKUlT_T0_E_clISt17integral_constantIbLb0EES1Q_IbLb1EEEEDaS1M_S1N_EUlS1M_E_NS1_11comp_targetILNS1_3genE8ELNS1_11target_archE1030ELNS1_3gpuE2ELNS1_3repE0EEENS1_30default_config_static_selectorELNS0_4arch9wavefront6targetE0EEEvSZ_,"axG",@progbits,_ZN7rocprim17ROCPRIM_400000_NS6detail17trampoline_kernelINS0_13select_configILj256ELj13ELNS0_17block_load_methodE3ELS4_3ELS4_3ELNS0_20block_scan_algorithmE0ELj4294967295EEENS1_25partition_config_selectorILNS1_17partition_subalgoE4EjNS0_10empty_typeEbEEZZNS1_14partition_implILS8_4ELb0ES6_15HIP_vector_typeIjLj2EENS0_17counting_iteratorIjlEEPS9_SG_NS0_5tupleIJPjSI_NS0_16reverse_iteratorISI_EEEEENSH_IJSG_SG_SG_EEES9_SI_JZNS1_25segmented_radix_sort_implINS0_14default_configELb1EPKlPlSQ_SR_N2at6native12_GLOBAL__N_18offset_tEEE10hipError_tPvRmT1_PNSt15iterator_traitsISZ_E10value_typeET2_T3_PNS10_IS15_E10value_typeET4_jRbjT5_S1B_jjP12ihipStream_tbEUljE_ZNSN_ISO_Lb1ESQ_SR_SQ_SR_SV_EESW_SX_SY_SZ_S13_S14_S15_S18_S19_jS1A_jS1B_S1B_jjS1D_bEUljE0_EEESW_SX_SY_S15_S19_S1B_T6_T7_T9_mT8_S1D_bDpT10_ENKUlT_T0_E_clISt17integral_constantIbLb0EES1Q_IbLb1EEEEDaS1M_S1N_EUlS1M_E_NS1_11comp_targetILNS1_3genE8ELNS1_11target_archE1030ELNS1_3gpuE2ELNS1_3repE0EEENS1_30default_config_static_selectorELNS0_4arch9wavefront6targetE0EEEvSZ_,comdat
	.globl	_ZN7rocprim17ROCPRIM_400000_NS6detail17trampoline_kernelINS0_13select_configILj256ELj13ELNS0_17block_load_methodE3ELS4_3ELS4_3ELNS0_20block_scan_algorithmE0ELj4294967295EEENS1_25partition_config_selectorILNS1_17partition_subalgoE4EjNS0_10empty_typeEbEEZZNS1_14partition_implILS8_4ELb0ES6_15HIP_vector_typeIjLj2EENS0_17counting_iteratorIjlEEPS9_SG_NS0_5tupleIJPjSI_NS0_16reverse_iteratorISI_EEEEENSH_IJSG_SG_SG_EEES9_SI_JZNS1_25segmented_radix_sort_implINS0_14default_configELb1EPKlPlSQ_SR_N2at6native12_GLOBAL__N_18offset_tEEE10hipError_tPvRmT1_PNSt15iterator_traitsISZ_E10value_typeET2_T3_PNS10_IS15_E10value_typeET4_jRbjT5_S1B_jjP12ihipStream_tbEUljE_ZNSN_ISO_Lb1ESQ_SR_SQ_SR_SV_EESW_SX_SY_SZ_S13_S14_S15_S18_S19_jS1A_jS1B_S1B_jjS1D_bEUljE0_EEESW_SX_SY_S15_S19_S1B_T6_T7_T9_mT8_S1D_bDpT10_ENKUlT_T0_E_clISt17integral_constantIbLb0EES1Q_IbLb1EEEEDaS1M_S1N_EUlS1M_E_NS1_11comp_targetILNS1_3genE8ELNS1_11target_archE1030ELNS1_3gpuE2ELNS1_3repE0EEENS1_30default_config_static_selectorELNS0_4arch9wavefront6targetE0EEEvSZ_ ; -- Begin function _ZN7rocprim17ROCPRIM_400000_NS6detail17trampoline_kernelINS0_13select_configILj256ELj13ELNS0_17block_load_methodE3ELS4_3ELS4_3ELNS0_20block_scan_algorithmE0ELj4294967295EEENS1_25partition_config_selectorILNS1_17partition_subalgoE4EjNS0_10empty_typeEbEEZZNS1_14partition_implILS8_4ELb0ES6_15HIP_vector_typeIjLj2EENS0_17counting_iteratorIjlEEPS9_SG_NS0_5tupleIJPjSI_NS0_16reverse_iteratorISI_EEEEENSH_IJSG_SG_SG_EEES9_SI_JZNS1_25segmented_radix_sort_implINS0_14default_configELb1EPKlPlSQ_SR_N2at6native12_GLOBAL__N_18offset_tEEE10hipError_tPvRmT1_PNSt15iterator_traitsISZ_E10value_typeET2_T3_PNS10_IS15_E10value_typeET4_jRbjT5_S1B_jjP12ihipStream_tbEUljE_ZNSN_ISO_Lb1ESQ_SR_SQ_SR_SV_EESW_SX_SY_SZ_S13_S14_S15_S18_S19_jS1A_jS1B_S1B_jjS1D_bEUljE0_EEESW_SX_SY_S15_S19_S1B_T6_T7_T9_mT8_S1D_bDpT10_ENKUlT_T0_E_clISt17integral_constantIbLb0EES1Q_IbLb1EEEEDaS1M_S1N_EUlS1M_E_NS1_11comp_targetILNS1_3genE8ELNS1_11target_archE1030ELNS1_3gpuE2ELNS1_3repE0EEENS1_30default_config_static_selectorELNS0_4arch9wavefront6targetE0EEEvSZ_
	.p2align	8
	.type	_ZN7rocprim17ROCPRIM_400000_NS6detail17trampoline_kernelINS0_13select_configILj256ELj13ELNS0_17block_load_methodE3ELS4_3ELS4_3ELNS0_20block_scan_algorithmE0ELj4294967295EEENS1_25partition_config_selectorILNS1_17partition_subalgoE4EjNS0_10empty_typeEbEEZZNS1_14partition_implILS8_4ELb0ES6_15HIP_vector_typeIjLj2EENS0_17counting_iteratorIjlEEPS9_SG_NS0_5tupleIJPjSI_NS0_16reverse_iteratorISI_EEEEENSH_IJSG_SG_SG_EEES9_SI_JZNS1_25segmented_radix_sort_implINS0_14default_configELb1EPKlPlSQ_SR_N2at6native12_GLOBAL__N_18offset_tEEE10hipError_tPvRmT1_PNSt15iterator_traitsISZ_E10value_typeET2_T3_PNS10_IS15_E10value_typeET4_jRbjT5_S1B_jjP12ihipStream_tbEUljE_ZNSN_ISO_Lb1ESQ_SR_SQ_SR_SV_EESW_SX_SY_SZ_S13_S14_S15_S18_S19_jS1A_jS1B_S1B_jjS1D_bEUljE0_EEESW_SX_SY_S15_S19_S1B_T6_T7_T9_mT8_S1D_bDpT10_ENKUlT_T0_E_clISt17integral_constantIbLb0EES1Q_IbLb1EEEEDaS1M_S1N_EUlS1M_E_NS1_11comp_targetILNS1_3genE8ELNS1_11target_archE1030ELNS1_3gpuE2ELNS1_3repE0EEENS1_30default_config_static_selectorELNS0_4arch9wavefront6targetE0EEEvSZ_,@function
_ZN7rocprim17ROCPRIM_400000_NS6detail17trampoline_kernelINS0_13select_configILj256ELj13ELNS0_17block_load_methodE3ELS4_3ELS4_3ELNS0_20block_scan_algorithmE0ELj4294967295EEENS1_25partition_config_selectorILNS1_17partition_subalgoE4EjNS0_10empty_typeEbEEZZNS1_14partition_implILS8_4ELb0ES6_15HIP_vector_typeIjLj2EENS0_17counting_iteratorIjlEEPS9_SG_NS0_5tupleIJPjSI_NS0_16reverse_iteratorISI_EEEEENSH_IJSG_SG_SG_EEES9_SI_JZNS1_25segmented_radix_sort_implINS0_14default_configELb1EPKlPlSQ_SR_N2at6native12_GLOBAL__N_18offset_tEEE10hipError_tPvRmT1_PNSt15iterator_traitsISZ_E10value_typeET2_T3_PNS10_IS15_E10value_typeET4_jRbjT5_S1B_jjP12ihipStream_tbEUljE_ZNSN_ISO_Lb1ESQ_SR_SQ_SR_SV_EESW_SX_SY_SZ_S13_S14_S15_S18_S19_jS1A_jS1B_S1B_jjS1D_bEUljE0_EEESW_SX_SY_S15_S19_S1B_T6_T7_T9_mT8_S1D_bDpT10_ENKUlT_T0_E_clISt17integral_constantIbLb0EES1Q_IbLb1EEEEDaS1M_S1N_EUlS1M_E_NS1_11comp_targetILNS1_3genE8ELNS1_11target_archE1030ELNS1_3gpuE2ELNS1_3repE0EEENS1_30default_config_static_selectorELNS0_4arch9wavefront6targetE0EEEvSZ_: ; @_ZN7rocprim17ROCPRIM_400000_NS6detail17trampoline_kernelINS0_13select_configILj256ELj13ELNS0_17block_load_methodE3ELS4_3ELS4_3ELNS0_20block_scan_algorithmE0ELj4294967295EEENS1_25partition_config_selectorILNS1_17partition_subalgoE4EjNS0_10empty_typeEbEEZZNS1_14partition_implILS8_4ELb0ES6_15HIP_vector_typeIjLj2EENS0_17counting_iteratorIjlEEPS9_SG_NS0_5tupleIJPjSI_NS0_16reverse_iteratorISI_EEEEENSH_IJSG_SG_SG_EEES9_SI_JZNS1_25segmented_radix_sort_implINS0_14default_configELb1EPKlPlSQ_SR_N2at6native12_GLOBAL__N_18offset_tEEE10hipError_tPvRmT1_PNSt15iterator_traitsISZ_E10value_typeET2_T3_PNS10_IS15_E10value_typeET4_jRbjT5_S1B_jjP12ihipStream_tbEUljE_ZNSN_ISO_Lb1ESQ_SR_SQ_SR_SV_EESW_SX_SY_SZ_S13_S14_S15_S18_S19_jS1A_jS1B_S1B_jjS1D_bEUljE0_EEESW_SX_SY_S15_S19_S1B_T6_T7_T9_mT8_S1D_bDpT10_ENKUlT_T0_E_clISt17integral_constantIbLb0EES1Q_IbLb1EEEEDaS1M_S1N_EUlS1M_E_NS1_11comp_targetILNS1_3genE8ELNS1_11target_archE1030ELNS1_3gpuE2ELNS1_3repE0EEENS1_30default_config_static_selectorELNS0_4arch9wavefront6targetE0EEEvSZ_
; %bb.0:
	.section	.rodata,"a",@progbits
	.p2align	6, 0x0
	.amdhsa_kernel _ZN7rocprim17ROCPRIM_400000_NS6detail17trampoline_kernelINS0_13select_configILj256ELj13ELNS0_17block_load_methodE3ELS4_3ELS4_3ELNS0_20block_scan_algorithmE0ELj4294967295EEENS1_25partition_config_selectorILNS1_17partition_subalgoE4EjNS0_10empty_typeEbEEZZNS1_14partition_implILS8_4ELb0ES6_15HIP_vector_typeIjLj2EENS0_17counting_iteratorIjlEEPS9_SG_NS0_5tupleIJPjSI_NS0_16reverse_iteratorISI_EEEEENSH_IJSG_SG_SG_EEES9_SI_JZNS1_25segmented_radix_sort_implINS0_14default_configELb1EPKlPlSQ_SR_N2at6native12_GLOBAL__N_18offset_tEEE10hipError_tPvRmT1_PNSt15iterator_traitsISZ_E10value_typeET2_T3_PNS10_IS15_E10value_typeET4_jRbjT5_S1B_jjP12ihipStream_tbEUljE_ZNSN_ISO_Lb1ESQ_SR_SQ_SR_SV_EESW_SX_SY_SZ_S13_S14_S15_S18_S19_jS1A_jS1B_S1B_jjS1D_bEUljE0_EEESW_SX_SY_S15_S19_S1B_T6_T7_T9_mT8_S1D_bDpT10_ENKUlT_T0_E_clISt17integral_constantIbLb0EES1Q_IbLb1EEEEDaS1M_S1N_EUlS1M_E_NS1_11comp_targetILNS1_3genE8ELNS1_11target_archE1030ELNS1_3gpuE2ELNS1_3repE0EEENS1_30default_config_static_selectorELNS0_4arch9wavefront6targetE0EEEvSZ_
		.amdhsa_group_segment_fixed_size 0
		.amdhsa_private_segment_fixed_size 0
		.amdhsa_kernarg_size 184
		.amdhsa_user_sgpr_count 2
		.amdhsa_user_sgpr_dispatch_ptr 0
		.amdhsa_user_sgpr_queue_ptr 0
		.amdhsa_user_sgpr_kernarg_segment_ptr 1
		.amdhsa_user_sgpr_dispatch_id 0
		.amdhsa_user_sgpr_private_segment_size 0
		.amdhsa_wavefront_size32 1
		.amdhsa_uses_dynamic_stack 0
		.amdhsa_enable_private_segment 0
		.amdhsa_system_sgpr_workgroup_id_x 1
		.amdhsa_system_sgpr_workgroup_id_y 0
		.amdhsa_system_sgpr_workgroup_id_z 0
		.amdhsa_system_sgpr_workgroup_info 0
		.amdhsa_system_vgpr_workitem_id 0
		.amdhsa_next_free_vgpr 1
		.amdhsa_next_free_sgpr 1
		.amdhsa_reserve_vcc 0
		.amdhsa_float_round_mode_32 0
		.amdhsa_float_round_mode_16_64 0
		.amdhsa_float_denorm_mode_32 3
		.amdhsa_float_denorm_mode_16_64 3
		.amdhsa_fp16_overflow 0
		.amdhsa_workgroup_processor_mode 1
		.amdhsa_memory_ordered 1
		.amdhsa_forward_progress 1
		.amdhsa_inst_pref_size 0
		.amdhsa_round_robin_scheduling 0
		.amdhsa_exception_fp_ieee_invalid_op 0
		.amdhsa_exception_fp_denorm_src 0
		.amdhsa_exception_fp_ieee_div_zero 0
		.amdhsa_exception_fp_ieee_overflow 0
		.amdhsa_exception_fp_ieee_underflow 0
		.amdhsa_exception_fp_ieee_inexact 0
		.amdhsa_exception_int_div_zero 0
	.end_amdhsa_kernel
	.section	.text._ZN7rocprim17ROCPRIM_400000_NS6detail17trampoline_kernelINS0_13select_configILj256ELj13ELNS0_17block_load_methodE3ELS4_3ELS4_3ELNS0_20block_scan_algorithmE0ELj4294967295EEENS1_25partition_config_selectorILNS1_17partition_subalgoE4EjNS0_10empty_typeEbEEZZNS1_14partition_implILS8_4ELb0ES6_15HIP_vector_typeIjLj2EENS0_17counting_iteratorIjlEEPS9_SG_NS0_5tupleIJPjSI_NS0_16reverse_iteratorISI_EEEEENSH_IJSG_SG_SG_EEES9_SI_JZNS1_25segmented_radix_sort_implINS0_14default_configELb1EPKlPlSQ_SR_N2at6native12_GLOBAL__N_18offset_tEEE10hipError_tPvRmT1_PNSt15iterator_traitsISZ_E10value_typeET2_T3_PNS10_IS15_E10value_typeET4_jRbjT5_S1B_jjP12ihipStream_tbEUljE_ZNSN_ISO_Lb1ESQ_SR_SQ_SR_SV_EESW_SX_SY_SZ_S13_S14_S15_S18_S19_jS1A_jS1B_S1B_jjS1D_bEUljE0_EEESW_SX_SY_S15_S19_S1B_T6_T7_T9_mT8_S1D_bDpT10_ENKUlT_T0_E_clISt17integral_constantIbLb0EES1Q_IbLb1EEEEDaS1M_S1N_EUlS1M_E_NS1_11comp_targetILNS1_3genE8ELNS1_11target_archE1030ELNS1_3gpuE2ELNS1_3repE0EEENS1_30default_config_static_selectorELNS0_4arch9wavefront6targetE0EEEvSZ_,"axG",@progbits,_ZN7rocprim17ROCPRIM_400000_NS6detail17trampoline_kernelINS0_13select_configILj256ELj13ELNS0_17block_load_methodE3ELS4_3ELS4_3ELNS0_20block_scan_algorithmE0ELj4294967295EEENS1_25partition_config_selectorILNS1_17partition_subalgoE4EjNS0_10empty_typeEbEEZZNS1_14partition_implILS8_4ELb0ES6_15HIP_vector_typeIjLj2EENS0_17counting_iteratorIjlEEPS9_SG_NS0_5tupleIJPjSI_NS0_16reverse_iteratorISI_EEEEENSH_IJSG_SG_SG_EEES9_SI_JZNS1_25segmented_radix_sort_implINS0_14default_configELb1EPKlPlSQ_SR_N2at6native12_GLOBAL__N_18offset_tEEE10hipError_tPvRmT1_PNSt15iterator_traitsISZ_E10value_typeET2_T3_PNS10_IS15_E10value_typeET4_jRbjT5_S1B_jjP12ihipStream_tbEUljE_ZNSN_ISO_Lb1ESQ_SR_SQ_SR_SV_EESW_SX_SY_SZ_S13_S14_S15_S18_S19_jS1A_jS1B_S1B_jjS1D_bEUljE0_EEESW_SX_SY_S15_S19_S1B_T6_T7_T9_mT8_S1D_bDpT10_ENKUlT_T0_E_clISt17integral_constantIbLb0EES1Q_IbLb1EEEEDaS1M_S1N_EUlS1M_E_NS1_11comp_targetILNS1_3genE8ELNS1_11target_archE1030ELNS1_3gpuE2ELNS1_3repE0EEENS1_30default_config_static_selectorELNS0_4arch9wavefront6targetE0EEEvSZ_,comdat
.Lfunc_end671:
	.size	_ZN7rocprim17ROCPRIM_400000_NS6detail17trampoline_kernelINS0_13select_configILj256ELj13ELNS0_17block_load_methodE3ELS4_3ELS4_3ELNS0_20block_scan_algorithmE0ELj4294967295EEENS1_25partition_config_selectorILNS1_17partition_subalgoE4EjNS0_10empty_typeEbEEZZNS1_14partition_implILS8_4ELb0ES6_15HIP_vector_typeIjLj2EENS0_17counting_iteratorIjlEEPS9_SG_NS0_5tupleIJPjSI_NS0_16reverse_iteratorISI_EEEEENSH_IJSG_SG_SG_EEES9_SI_JZNS1_25segmented_radix_sort_implINS0_14default_configELb1EPKlPlSQ_SR_N2at6native12_GLOBAL__N_18offset_tEEE10hipError_tPvRmT1_PNSt15iterator_traitsISZ_E10value_typeET2_T3_PNS10_IS15_E10value_typeET4_jRbjT5_S1B_jjP12ihipStream_tbEUljE_ZNSN_ISO_Lb1ESQ_SR_SQ_SR_SV_EESW_SX_SY_SZ_S13_S14_S15_S18_S19_jS1A_jS1B_S1B_jjS1D_bEUljE0_EEESW_SX_SY_S15_S19_S1B_T6_T7_T9_mT8_S1D_bDpT10_ENKUlT_T0_E_clISt17integral_constantIbLb0EES1Q_IbLb1EEEEDaS1M_S1N_EUlS1M_E_NS1_11comp_targetILNS1_3genE8ELNS1_11target_archE1030ELNS1_3gpuE2ELNS1_3repE0EEENS1_30default_config_static_selectorELNS0_4arch9wavefront6targetE0EEEvSZ_, .Lfunc_end671-_ZN7rocprim17ROCPRIM_400000_NS6detail17trampoline_kernelINS0_13select_configILj256ELj13ELNS0_17block_load_methodE3ELS4_3ELS4_3ELNS0_20block_scan_algorithmE0ELj4294967295EEENS1_25partition_config_selectorILNS1_17partition_subalgoE4EjNS0_10empty_typeEbEEZZNS1_14partition_implILS8_4ELb0ES6_15HIP_vector_typeIjLj2EENS0_17counting_iteratorIjlEEPS9_SG_NS0_5tupleIJPjSI_NS0_16reverse_iteratorISI_EEEEENSH_IJSG_SG_SG_EEES9_SI_JZNS1_25segmented_radix_sort_implINS0_14default_configELb1EPKlPlSQ_SR_N2at6native12_GLOBAL__N_18offset_tEEE10hipError_tPvRmT1_PNSt15iterator_traitsISZ_E10value_typeET2_T3_PNS10_IS15_E10value_typeET4_jRbjT5_S1B_jjP12ihipStream_tbEUljE_ZNSN_ISO_Lb1ESQ_SR_SQ_SR_SV_EESW_SX_SY_SZ_S13_S14_S15_S18_S19_jS1A_jS1B_S1B_jjS1D_bEUljE0_EEESW_SX_SY_S15_S19_S1B_T6_T7_T9_mT8_S1D_bDpT10_ENKUlT_T0_E_clISt17integral_constantIbLb0EES1Q_IbLb1EEEEDaS1M_S1N_EUlS1M_E_NS1_11comp_targetILNS1_3genE8ELNS1_11target_archE1030ELNS1_3gpuE2ELNS1_3repE0EEENS1_30default_config_static_selectorELNS0_4arch9wavefront6targetE0EEEvSZ_
                                        ; -- End function
	.set _ZN7rocprim17ROCPRIM_400000_NS6detail17trampoline_kernelINS0_13select_configILj256ELj13ELNS0_17block_load_methodE3ELS4_3ELS4_3ELNS0_20block_scan_algorithmE0ELj4294967295EEENS1_25partition_config_selectorILNS1_17partition_subalgoE4EjNS0_10empty_typeEbEEZZNS1_14partition_implILS8_4ELb0ES6_15HIP_vector_typeIjLj2EENS0_17counting_iteratorIjlEEPS9_SG_NS0_5tupleIJPjSI_NS0_16reverse_iteratorISI_EEEEENSH_IJSG_SG_SG_EEES9_SI_JZNS1_25segmented_radix_sort_implINS0_14default_configELb1EPKlPlSQ_SR_N2at6native12_GLOBAL__N_18offset_tEEE10hipError_tPvRmT1_PNSt15iterator_traitsISZ_E10value_typeET2_T3_PNS10_IS15_E10value_typeET4_jRbjT5_S1B_jjP12ihipStream_tbEUljE_ZNSN_ISO_Lb1ESQ_SR_SQ_SR_SV_EESW_SX_SY_SZ_S13_S14_S15_S18_S19_jS1A_jS1B_S1B_jjS1D_bEUljE0_EEESW_SX_SY_S15_S19_S1B_T6_T7_T9_mT8_S1D_bDpT10_ENKUlT_T0_E_clISt17integral_constantIbLb0EES1Q_IbLb1EEEEDaS1M_S1N_EUlS1M_E_NS1_11comp_targetILNS1_3genE8ELNS1_11target_archE1030ELNS1_3gpuE2ELNS1_3repE0EEENS1_30default_config_static_selectorELNS0_4arch9wavefront6targetE0EEEvSZ_.num_vgpr, 0
	.set _ZN7rocprim17ROCPRIM_400000_NS6detail17trampoline_kernelINS0_13select_configILj256ELj13ELNS0_17block_load_methodE3ELS4_3ELS4_3ELNS0_20block_scan_algorithmE0ELj4294967295EEENS1_25partition_config_selectorILNS1_17partition_subalgoE4EjNS0_10empty_typeEbEEZZNS1_14partition_implILS8_4ELb0ES6_15HIP_vector_typeIjLj2EENS0_17counting_iteratorIjlEEPS9_SG_NS0_5tupleIJPjSI_NS0_16reverse_iteratorISI_EEEEENSH_IJSG_SG_SG_EEES9_SI_JZNS1_25segmented_radix_sort_implINS0_14default_configELb1EPKlPlSQ_SR_N2at6native12_GLOBAL__N_18offset_tEEE10hipError_tPvRmT1_PNSt15iterator_traitsISZ_E10value_typeET2_T3_PNS10_IS15_E10value_typeET4_jRbjT5_S1B_jjP12ihipStream_tbEUljE_ZNSN_ISO_Lb1ESQ_SR_SQ_SR_SV_EESW_SX_SY_SZ_S13_S14_S15_S18_S19_jS1A_jS1B_S1B_jjS1D_bEUljE0_EEESW_SX_SY_S15_S19_S1B_T6_T7_T9_mT8_S1D_bDpT10_ENKUlT_T0_E_clISt17integral_constantIbLb0EES1Q_IbLb1EEEEDaS1M_S1N_EUlS1M_E_NS1_11comp_targetILNS1_3genE8ELNS1_11target_archE1030ELNS1_3gpuE2ELNS1_3repE0EEENS1_30default_config_static_selectorELNS0_4arch9wavefront6targetE0EEEvSZ_.num_agpr, 0
	.set _ZN7rocprim17ROCPRIM_400000_NS6detail17trampoline_kernelINS0_13select_configILj256ELj13ELNS0_17block_load_methodE3ELS4_3ELS4_3ELNS0_20block_scan_algorithmE0ELj4294967295EEENS1_25partition_config_selectorILNS1_17partition_subalgoE4EjNS0_10empty_typeEbEEZZNS1_14partition_implILS8_4ELb0ES6_15HIP_vector_typeIjLj2EENS0_17counting_iteratorIjlEEPS9_SG_NS0_5tupleIJPjSI_NS0_16reverse_iteratorISI_EEEEENSH_IJSG_SG_SG_EEES9_SI_JZNS1_25segmented_radix_sort_implINS0_14default_configELb1EPKlPlSQ_SR_N2at6native12_GLOBAL__N_18offset_tEEE10hipError_tPvRmT1_PNSt15iterator_traitsISZ_E10value_typeET2_T3_PNS10_IS15_E10value_typeET4_jRbjT5_S1B_jjP12ihipStream_tbEUljE_ZNSN_ISO_Lb1ESQ_SR_SQ_SR_SV_EESW_SX_SY_SZ_S13_S14_S15_S18_S19_jS1A_jS1B_S1B_jjS1D_bEUljE0_EEESW_SX_SY_S15_S19_S1B_T6_T7_T9_mT8_S1D_bDpT10_ENKUlT_T0_E_clISt17integral_constantIbLb0EES1Q_IbLb1EEEEDaS1M_S1N_EUlS1M_E_NS1_11comp_targetILNS1_3genE8ELNS1_11target_archE1030ELNS1_3gpuE2ELNS1_3repE0EEENS1_30default_config_static_selectorELNS0_4arch9wavefront6targetE0EEEvSZ_.numbered_sgpr, 0
	.set _ZN7rocprim17ROCPRIM_400000_NS6detail17trampoline_kernelINS0_13select_configILj256ELj13ELNS0_17block_load_methodE3ELS4_3ELS4_3ELNS0_20block_scan_algorithmE0ELj4294967295EEENS1_25partition_config_selectorILNS1_17partition_subalgoE4EjNS0_10empty_typeEbEEZZNS1_14partition_implILS8_4ELb0ES6_15HIP_vector_typeIjLj2EENS0_17counting_iteratorIjlEEPS9_SG_NS0_5tupleIJPjSI_NS0_16reverse_iteratorISI_EEEEENSH_IJSG_SG_SG_EEES9_SI_JZNS1_25segmented_radix_sort_implINS0_14default_configELb1EPKlPlSQ_SR_N2at6native12_GLOBAL__N_18offset_tEEE10hipError_tPvRmT1_PNSt15iterator_traitsISZ_E10value_typeET2_T3_PNS10_IS15_E10value_typeET4_jRbjT5_S1B_jjP12ihipStream_tbEUljE_ZNSN_ISO_Lb1ESQ_SR_SQ_SR_SV_EESW_SX_SY_SZ_S13_S14_S15_S18_S19_jS1A_jS1B_S1B_jjS1D_bEUljE0_EEESW_SX_SY_S15_S19_S1B_T6_T7_T9_mT8_S1D_bDpT10_ENKUlT_T0_E_clISt17integral_constantIbLb0EES1Q_IbLb1EEEEDaS1M_S1N_EUlS1M_E_NS1_11comp_targetILNS1_3genE8ELNS1_11target_archE1030ELNS1_3gpuE2ELNS1_3repE0EEENS1_30default_config_static_selectorELNS0_4arch9wavefront6targetE0EEEvSZ_.num_named_barrier, 0
	.set _ZN7rocprim17ROCPRIM_400000_NS6detail17trampoline_kernelINS0_13select_configILj256ELj13ELNS0_17block_load_methodE3ELS4_3ELS4_3ELNS0_20block_scan_algorithmE0ELj4294967295EEENS1_25partition_config_selectorILNS1_17partition_subalgoE4EjNS0_10empty_typeEbEEZZNS1_14partition_implILS8_4ELb0ES6_15HIP_vector_typeIjLj2EENS0_17counting_iteratorIjlEEPS9_SG_NS0_5tupleIJPjSI_NS0_16reverse_iteratorISI_EEEEENSH_IJSG_SG_SG_EEES9_SI_JZNS1_25segmented_radix_sort_implINS0_14default_configELb1EPKlPlSQ_SR_N2at6native12_GLOBAL__N_18offset_tEEE10hipError_tPvRmT1_PNSt15iterator_traitsISZ_E10value_typeET2_T3_PNS10_IS15_E10value_typeET4_jRbjT5_S1B_jjP12ihipStream_tbEUljE_ZNSN_ISO_Lb1ESQ_SR_SQ_SR_SV_EESW_SX_SY_SZ_S13_S14_S15_S18_S19_jS1A_jS1B_S1B_jjS1D_bEUljE0_EEESW_SX_SY_S15_S19_S1B_T6_T7_T9_mT8_S1D_bDpT10_ENKUlT_T0_E_clISt17integral_constantIbLb0EES1Q_IbLb1EEEEDaS1M_S1N_EUlS1M_E_NS1_11comp_targetILNS1_3genE8ELNS1_11target_archE1030ELNS1_3gpuE2ELNS1_3repE0EEENS1_30default_config_static_selectorELNS0_4arch9wavefront6targetE0EEEvSZ_.private_seg_size, 0
	.set _ZN7rocprim17ROCPRIM_400000_NS6detail17trampoline_kernelINS0_13select_configILj256ELj13ELNS0_17block_load_methodE3ELS4_3ELS4_3ELNS0_20block_scan_algorithmE0ELj4294967295EEENS1_25partition_config_selectorILNS1_17partition_subalgoE4EjNS0_10empty_typeEbEEZZNS1_14partition_implILS8_4ELb0ES6_15HIP_vector_typeIjLj2EENS0_17counting_iteratorIjlEEPS9_SG_NS0_5tupleIJPjSI_NS0_16reverse_iteratorISI_EEEEENSH_IJSG_SG_SG_EEES9_SI_JZNS1_25segmented_radix_sort_implINS0_14default_configELb1EPKlPlSQ_SR_N2at6native12_GLOBAL__N_18offset_tEEE10hipError_tPvRmT1_PNSt15iterator_traitsISZ_E10value_typeET2_T3_PNS10_IS15_E10value_typeET4_jRbjT5_S1B_jjP12ihipStream_tbEUljE_ZNSN_ISO_Lb1ESQ_SR_SQ_SR_SV_EESW_SX_SY_SZ_S13_S14_S15_S18_S19_jS1A_jS1B_S1B_jjS1D_bEUljE0_EEESW_SX_SY_S15_S19_S1B_T6_T7_T9_mT8_S1D_bDpT10_ENKUlT_T0_E_clISt17integral_constantIbLb0EES1Q_IbLb1EEEEDaS1M_S1N_EUlS1M_E_NS1_11comp_targetILNS1_3genE8ELNS1_11target_archE1030ELNS1_3gpuE2ELNS1_3repE0EEENS1_30default_config_static_selectorELNS0_4arch9wavefront6targetE0EEEvSZ_.uses_vcc, 0
	.set _ZN7rocprim17ROCPRIM_400000_NS6detail17trampoline_kernelINS0_13select_configILj256ELj13ELNS0_17block_load_methodE3ELS4_3ELS4_3ELNS0_20block_scan_algorithmE0ELj4294967295EEENS1_25partition_config_selectorILNS1_17partition_subalgoE4EjNS0_10empty_typeEbEEZZNS1_14partition_implILS8_4ELb0ES6_15HIP_vector_typeIjLj2EENS0_17counting_iteratorIjlEEPS9_SG_NS0_5tupleIJPjSI_NS0_16reverse_iteratorISI_EEEEENSH_IJSG_SG_SG_EEES9_SI_JZNS1_25segmented_radix_sort_implINS0_14default_configELb1EPKlPlSQ_SR_N2at6native12_GLOBAL__N_18offset_tEEE10hipError_tPvRmT1_PNSt15iterator_traitsISZ_E10value_typeET2_T3_PNS10_IS15_E10value_typeET4_jRbjT5_S1B_jjP12ihipStream_tbEUljE_ZNSN_ISO_Lb1ESQ_SR_SQ_SR_SV_EESW_SX_SY_SZ_S13_S14_S15_S18_S19_jS1A_jS1B_S1B_jjS1D_bEUljE0_EEESW_SX_SY_S15_S19_S1B_T6_T7_T9_mT8_S1D_bDpT10_ENKUlT_T0_E_clISt17integral_constantIbLb0EES1Q_IbLb1EEEEDaS1M_S1N_EUlS1M_E_NS1_11comp_targetILNS1_3genE8ELNS1_11target_archE1030ELNS1_3gpuE2ELNS1_3repE0EEENS1_30default_config_static_selectorELNS0_4arch9wavefront6targetE0EEEvSZ_.uses_flat_scratch, 0
	.set _ZN7rocprim17ROCPRIM_400000_NS6detail17trampoline_kernelINS0_13select_configILj256ELj13ELNS0_17block_load_methodE3ELS4_3ELS4_3ELNS0_20block_scan_algorithmE0ELj4294967295EEENS1_25partition_config_selectorILNS1_17partition_subalgoE4EjNS0_10empty_typeEbEEZZNS1_14partition_implILS8_4ELb0ES6_15HIP_vector_typeIjLj2EENS0_17counting_iteratorIjlEEPS9_SG_NS0_5tupleIJPjSI_NS0_16reverse_iteratorISI_EEEEENSH_IJSG_SG_SG_EEES9_SI_JZNS1_25segmented_radix_sort_implINS0_14default_configELb1EPKlPlSQ_SR_N2at6native12_GLOBAL__N_18offset_tEEE10hipError_tPvRmT1_PNSt15iterator_traitsISZ_E10value_typeET2_T3_PNS10_IS15_E10value_typeET4_jRbjT5_S1B_jjP12ihipStream_tbEUljE_ZNSN_ISO_Lb1ESQ_SR_SQ_SR_SV_EESW_SX_SY_SZ_S13_S14_S15_S18_S19_jS1A_jS1B_S1B_jjS1D_bEUljE0_EEESW_SX_SY_S15_S19_S1B_T6_T7_T9_mT8_S1D_bDpT10_ENKUlT_T0_E_clISt17integral_constantIbLb0EES1Q_IbLb1EEEEDaS1M_S1N_EUlS1M_E_NS1_11comp_targetILNS1_3genE8ELNS1_11target_archE1030ELNS1_3gpuE2ELNS1_3repE0EEENS1_30default_config_static_selectorELNS0_4arch9wavefront6targetE0EEEvSZ_.has_dyn_sized_stack, 0
	.set _ZN7rocprim17ROCPRIM_400000_NS6detail17trampoline_kernelINS0_13select_configILj256ELj13ELNS0_17block_load_methodE3ELS4_3ELS4_3ELNS0_20block_scan_algorithmE0ELj4294967295EEENS1_25partition_config_selectorILNS1_17partition_subalgoE4EjNS0_10empty_typeEbEEZZNS1_14partition_implILS8_4ELb0ES6_15HIP_vector_typeIjLj2EENS0_17counting_iteratorIjlEEPS9_SG_NS0_5tupleIJPjSI_NS0_16reverse_iteratorISI_EEEEENSH_IJSG_SG_SG_EEES9_SI_JZNS1_25segmented_radix_sort_implINS0_14default_configELb1EPKlPlSQ_SR_N2at6native12_GLOBAL__N_18offset_tEEE10hipError_tPvRmT1_PNSt15iterator_traitsISZ_E10value_typeET2_T3_PNS10_IS15_E10value_typeET4_jRbjT5_S1B_jjP12ihipStream_tbEUljE_ZNSN_ISO_Lb1ESQ_SR_SQ_SR_SV_EESW_SX_SY_SZ_S13_S14_S15_S18_S19_jS1A_jS1B_S1B_jjS1D_bEUljE0_EEESW_SX_SY_S15_S19_S1B_T6_T7_T9_mT8_S1D_bDpT10_ENKUlT_T0_E_clISt17integral_constantIbLb0EES1Q_IbLb1EEEEDaS1M_S1N_EUlS1M_E_NS1_11comp_targetILNS1_3genE8ELNS1_11target_archE1030ELNS1_3gpuE2ELNS1_3repE0EEENS1_30default_config_static_selectorELNS0_4arch9wavefront6targetE0EEEvSZ_.has_recursion, 0
	.set _ZN7rocprim17ROCPRIM_400000_NS6detail17trampoline_kernelINS0_13select_configILj256ELj13ELNS0_17block_load_methodE3ELS4_3ELS4_3ELNS0_20block_scan_algorithmE0ELj4294967295EEENS1_25partition_config_selectorILNS1_17partition_subalgoE4EjNS0_10empty_typeEbEEZZNS1_14partition_implILS8_4ELb0ES6_15HIP_vector_typeIjLj2EENS0_17counting_iteratorIjlEEPS9_SG_NS0_5tupleIJPjSI_NS0_16reverse_iteratorISI_EEEEENSH_IJSG_SG_SG_EEES9_SI_JZNS1_25segmented_radix_sort_implINS0_14default_configELb1EPKlPlSQ_SR_N2at6native12_GLOBAL__N_18offset_tEEE10hipError_tPvRmT1_PNSt15iterator_traitsISZ_E10value_typeET2_T3_PNS10_IS15_E10value_typeET4_jRbjT5_S1B_jjP12ihipStream_tbEUljE_ZNSN_ISO_Lb1ESQ_SR_SQ_SR_SV_EESW_SX_SY_SZ_S13_S14_S15_S18_S19_jS1A_jS1B_S1B_jjS1D_bEUljE0_EEESW_SX_SY_S15_S19_S1B_T6_T7_T9_mT8_S1D_bDpT10_ENKUlT_T0_E_clISt17integral_constantIbLb0EES1Q_IbLb1EEEEDaS1M_S1N_EUlS1M_E_NS1_11comp_targetILNS1_3genE8ELNS1_11target_archE1030ELNS1_3gpuE2ELNS1_3repE0EEENS1_30default_config_static_selectorELNS0_4arch9wavefront6targetE0EEEvSZ_.has_indirect_call, 0
	.section	.AMDGPU.csdata,"",@progbits
; Kernel info:
; codeLenInByte = 0
; TotalNumSgprs: 0
; NumVgprs: 0
; ScratchSize: 0
; MemoryBound: 0
; FloatMode: 240
; IeeeMode: 1
; LDSByteSize: 0 bytes/workgroup (compile time only)
; SGPRBlocks: 0
; VGPRBlocks: 0
; NumSGPRsForWavesPerEU: 1
; NumVGPRsForWavesPerEU: 1
; Occupancy: 16
; WaveLimiterHint : 0
; COMPUTE_PGM_RSRC2:SCRATCH_EN: 0
; COMPUTE_PGM_RSRC2:USER_SGPR: 2
; COMPUTE_PGM_RSRC2:TRAP_HANDLER: 0
; COMPUTE_PGM_RSRC2:TGID_X_EN: 1
; COMPUTE_PGM_RSRC2:TGID_Y_EN: 0
; COMPUTE_PGM_RSRC2:TGID_Z_EN: 0
; COMPUTE_PGM_RSRC2:TIDIG_COMP_CNT: 0
	.section	.text._ZN7rocprim17ROCPRIM_400000_NS6detail17trampoline_kernelINS0_13select_configILj256ELj13ELNS0_17block_load_methodE3ELS4_3ELS4_3ELNS0_20block_scan_algorithmE0ELj4294967295EEENS1_25partition_config_selectorILNS1_17partition_subalgoE3EjNS0_10empty_typeEbEEZZNS1_14partition_implILS8_3ELb0ES6_jNS0_17counting_iteratorIjlEEPS9_SE_NS0_5tupleIJPjSE_EEENSF_IJSE_SE_EEES9_SG_JZNS1_25segmented_radix_sort_implINS0_14default_configELb1EPKlPlSM_SN_N2at6native12_GLOBAL__N_18offset_tEEE10hipError_tPvRmT1_PNSt15iterator_traitsISV_E10value_typeET2_T3_PNSW_IS11_E10value_typeET4_jRbjT5_S17_jjP12ihipStream_tbEUljE_EEESS_ST_SU_S11_S15_S17_T6_T7_T9_mT8_S19_bDpT10_ENKUlT_T0_E_clISt17integral_constantIbLb0EES1M_EEDaS1H_S1I_EUlS1H_E_NS1_11comp_targetILNS1_3genE0ELNS1_11target_archE4294967295ELNS1_3gpuE0ELNS1_3repE0EEENS1_30default_config_static_selectorELNS0_4arch9wavefront6targetE0EEEvSV_,"axG",@progbits,_ZN7rocprim17ROCPRIM_400000_NS6detail17trampoline_kernelINS0_13select_configILj256ELj13ELNS0_17block_load_methodE3ELS4_3ELS4_3ELNS0_20block_scan_algorithmE0ELj4294967295EEENS1_25partition_config_selectorILNS1_17partition_subalgoE3EjNS0_10empty_typeEbEEZZNS1_14partition_implILS8_3ELb0ES6_jNS0_17counting_iteratorIjlEEPS9_SE_NS0_5tupleIJPjSE_EEENSF_IJSE_SE_EEES9_SG_JZNS1_25segmented_radix_sort_implINS0_14default_configELb1EPKlPlSM_SN_N2at6native12_GLOBAL__N_18offset_tEEE10hipError_tPvRmT1_PNSt15iterator_traitsISV_E10value_typeET2_T3_PNSW_IS11_E10value_typeET4_jRbjT5_S17_jjP12ihipStream_tbEUljE_EEESS_ST_SU_S11_S15_S17_T6_T7_T9_mT8_S19_bDpT10_ENKUlT_T0_E_clISt17integral_constantIbLb0EES1M_EEDaS1H_S1I_EUlS1H_E_NS1_11comp_targetILNS1_3genE0ELNS1_11target_archE4294967295ELNS1_3gpuE0ELNS1_3repE0EEENS1_30default_config_static_selectorELNS0_4arch9wavefront6targetE0EEEvSV_,comdat
	.globl	_ZN7rocprim17ROCPRIM_400000_NS6detail17trampoline_kernelINS0_13select_configILj256ELj13ELNS0_17block_load_methodE3ELS4_3ELS4_3ELNS0_20block_scan_algorithmE0ELj4294967295EEENS1_25partition_config_selectorILNS1_17partition_subalgoE3EjNS0_10empty_typeEbEEZZNS1_14partition_implILS8_3ELb0ES6_jNS0_17counting_iteratorIjlEEPS9_SE_NS0_5tupleIJPjSE_EEENSF_IJSE_SE_EEES9_SG_JZNS1_25segmented_radix_sort_implINS0_14default_configELb1EPKlPlSM_SN_N2at6native12_GLOBAL__N_18offset_tEEE10hipError_tPvRmT1_PNSt15iterator_traitsISV_E10value_typeET2_T3_PNSW_IS11_E10value_typeET4_jRbjT5_S17_jjP12ihipStream_tbEUljE_EEESS_ST_SU_S11_S15_S17_T6_T7_T9_mT8_S19_bDpT10_ENKUlT_T0_E_clISt17integral_constantIbLb0EES1M_EEDaS1H_S1I_EUlS1H_E_NS1_11comp_targetILNS1_3genE0ELNS1_11target_archE4294967295ELNS1_3gpuE0ELNS1_3repE0EEENS1_30default_config_static_selectorELNS0_4arch9wavefront6targetE0EEEvSV_ ; -- Begin function _ZN7rocprim17ROCPRIM_400000_NS6detail17trampoline_kernelINS0_13select_configILj256ELj13ELNS0_17block_load_methodE3ELS4_3ELS4_3ELNS0_20block_scan_algorithmE0ELj4294967295EEENS1_25partition_config_selectorILNS1_17partition_subalgoE3EjNS0_10empty_typeEbEEZZNS1_14partition_implILS8_3ELb0ES6_jNS0_17counting_iteratorIjlEEPS9_SE_NS0_5tupleIJPjSE_EEENSF_IJSE_SE_EEES9_SG_JZNS1_25segmented_radix_sort_implINS0_14default_configELb1EPKlPlSM_SN_N2at6native12_GLOBAL__N_18offset_tEEE10hipError_tPvRmT1_PNSt15iterator_traitsISV_E10value_typeET2_T3_PNSW_IS11_E10value_typeET4_jRbjT5_S17_jjP12ihipStream_tbEUljE_EEESS_ST_SU_S11_S15_S17_T6_T7_T9_mT8_S19_bDpT10_ENKUlT_T0_E_clISt17integral_constantIbLb0EES1M_EEDaS1H_S1I_EUlS1H_E_NS1_11comp_targetILNS1_3genE0ELNS1_11target_archE4294967295ELNS1_3gpuE0ELNS1_3repE0EEENS1_30default_config_static_selectorELNS0_4arch9wavefront6targetE0EEEvSV_
	.p2align	8
	.type	_ZN7rocprim17ROCPRIM_400000_NS6detail17trampoline_kernelINS0_13select_configILj256ELj13ELNS0_17block_load_methodE3ELS4_3ELS4_3ELNS0_20block_scan_algorithmE0ELj4294967295EEENS1_25partition_config_selectorILNS1_17partition_subalgoE3EjNS0_10empty_typeEbEEZZNS1_14partition_implILS8_3ELb0ES6_jNS0_17counting_iteratorIjlEEPS9_SE_NS0_5tupleIJPjSE_EEENSF_IJSE_SE_EEES9_SG_JZNS1_25segmented_radix_sort_implINS0_14default_configELb1EPKlPlSM_SN_N2at6native12_GLOBAL__N_18offset_tEEE10hipError_tPvRmT1_PNSt15iterator_traitsISV_E10value_typeET2_T3_PNSW_IS11_E10value_typeET4_jRbjT5_S17_jjP12ihipStream_tbEUljE_EEESS_ST_SU_S11_S15_S17_T6_T7_T9_mT8_S19_bDpT10_ENKUlT_T0_E_clISt17integral_constantIbLb0EES1M_EEDaS1H_S1I_EUlS1H_E_NS1_11comp_targetILNS1_3genE0ELNS1_11target_archE4294967295ELNS1_3gpuE0ELNS1_3repE0EEENS1_30default_config_static_selectorELNS0_4arch9wavefront6targetE0EEEvSV_,@function
_ZN7rocprim17ROCPRIM_400000_NS6detail17trampoline_kernelINS0_13select_configILj256ELj13ELNS0_17block_load_methodE3ELS4_3ELS4_3ELNS0_20block_scan_algorithmE0ELj4294967295EEENS1_25partition_config_selectorILNS1_17partition_subalgoE3EjNS0_10empty_typeEbEEZZNS1_14partition_implILS8_3ELb0ES6_jNS0_17counting_iteratorIjlEEPS9_SE_NS0_5tupleIJPjSE_EEENSF_IJSE_SE_EEES9_SG_JZNS1_25segmented_radix_sort_implINS0_14default_configELb1EPKlPlSM_SN_N2at6native12_GLOBAL__N_18offset_tEEE10hipError_tPvRmT1_PNSt15iterator_traitsISV_E10value_typeET2_T3_PNSW_IS11_E10value_typeET4_jRbjT5_S17_jjP12ihipStream_tbEUljE_EEESS_ST_SU_S11_S15_S17_T6_T7_T9_mT8_S19_bDpT10_ENKUlT_T0_E_clISt17integral_constantIbLb0EES1M_EEDaS1H_S1I_EUlS1H_E_NS1_11comp_targetILNS1_3genE0ELNS1_11target_archE4294967295ELNS1_3gpuE0ELNS1_3repE0EEENS1_30default_config_static_selectorELNS0_4arch9wavefront6targetE0EEEvSV_: ; @_ZN7rocprim17ROCPRIM_400000_NS6detail17trampoline_kernelINS0_13select_configILj256ELj13ELNS0_17block_load_methodE3ELS4_3ELS4_3ELNS0_20block_scan_algorithmE0ELj4294967295EEENS1_25partition_config_selectorILNS1_17partition_subalgoE3EjNS0_10empty_typeEbEEZZNS1_14partition_implILS8_3ELb0ES6_jNS0_17counting_iteratorIjlEEPS9_SE_NS0_5tupleIJPjSE_EEENSF_IJSE_SE_EEES9_SG_JZNS1_25segmented_radix_sort_implINS0_14default_configELb1EPKlPlSM_SN_N2at6native12_GLOBAL__N_18offset_tEEE10hipError_tPvRmT1_PNSt15iterator_traitsISV_E10value_typeET2_T3_PNSW_IS11_E10value_typeET4_jRbjT5_S17_jjP12ihipStream_tbEUljE_EEESS_ST_SU_S11_S15_S17_T6_T7_T9_mT8_S19_bDpT10_ENKUlT_T0_E_clISt17integral_constantIbLb0EES1M_EEDaS1H_S1I_EUlS1H_E_NS1_11comp_targetILNS1_3genE0ELNS1_11target_archE4294967295ELNS1_3gpuE0ELNS1_3repE0EEENS1_30default_config_static_selectorELNS0_4arch9wavefront6targetE0EEEvSV_
; %bb.0:
	.section	.rodata,"a",@progbits
	.p2align	6, 0x0
	.amdhsa_kernel _ZN7rocprim17ROCPRIM_400000_NS6detail17trampoline_kernelINS0_13select_configILj256ELj13ELNS0_17block_load_methodE3ELS4_3ELS4_3ELNS0_20block_scan_algorithmE0ELj4294967295EEENS1_25partition_config_selectorILNS1_17partition_subalgoE3EjNS0_10empty_typeEbEEZZNS1_14partition_implILS8_3ELb0ES6_jNS0_17counting_iteratorIjlEEPS9_SE_NS0_5tupleIJPjSE_EEENSF_IJSE_SE_EEES9_SG_JZNS1_25segmented_radix_sort_implINS0_14default_configELb1EPKlPlSM_SN_N2at6native12_GLOBAL__N_18offset_tEEE10hipError_tPvRmT1_PNSt15iterator_traitsISV_E10value_typeET2_T3_PNSW_IS11_E10value_typeET4_jRbjT5_S17_jjP12ihipStream_tbEUljE_EEESS_ST_SU_S11_S15_S17_T6_T7_T9_mT8_S19_bDpT10_ENKUlT_T0_E_clISt17integral_constantIbLb0EES1M_EEDaS1H_S1I_EUlS1H_E_NS1_11comp_targetILNS1_3genE0ELNS1_11target_archE4294967295ELNS1_3gpuE0ELNS1_3repE0EEENS1_30default_config_static_selectorELNS0_4arch9wavefront6targetE0EEEvSV_
		.amdhsa_group_segment_fixed_size 0
		.amdhsa_private_segment_fixed_size 0
		.amdhsa_kernarg_size 144
		.amdhsa_user_sgpr_count 2
		.amdhsa_user_sgpr_dispatch_ptr 0
		.amdhsa_user_sgpr_queue_ptr 0
		.amdhsa_user_sgpr_kernarg_segment_ptr 1
		.amdhsa_user_sgpr_dispatch_id 0
		.amdhsa_user_sgpr_private_segment_size 0
		.amdhsa_wavefront_size32 1
		.amdhsa_uses_dynamic_stack 0
		.amdhsa_enable_private_segment 0
		.amdhsa_system_sgpr_workgroup_id_x 1
		.amdhsa_system_sgpr_workgroup_id_y 0
		.amdhsa_system_sgpr_workgroup_id_z 0
		.amdhsa_system_sgpr_workgroup_info 0
		.amdhsa_system_vgpr_workitem_id 0
		.amdhsa_next_free_vgpr 1
		.amdhsa_next_free_sgpr 1
		.amdhsa_reserve_vcc 0
		.amdhsa_float_round_mode_32 0
		.amdhsa_float_round_mode_16_64 0
		.amdhsa_float_denorm_mode_32 3
		.amdhsa_float_denorm_mode_16_64 3
		.amdhsa_fp16_overflow 0
		.amdhsa_workgroup_processor_mode 1
		.amdhsa_memory_ordered 1
		.amdhsa_forward_progress 1
		.amdhsa_inst_pref_size 0
		.amdhsa_round_robin_scheduling 0
		.amdhsa_exception_fp_ieee_invalid_op 0
		.amdhsa_exception_fp_denorm_src 0
		.amdhsa_exception_fp_ieee_div_zero 0
		.amdhsa_exception_fp_ieee_overflow 0
		.amdhsa_exception_fp_ieee_underflow 0
		.amdhsa_exception_fp_ieee_inexact 0
		.amdhsa_exception_int_div_zero 0
	.end_amdhsa_kernel
	.section	.text._ZN7rocprim17ROCPRIM_400000_NS6detail17trampoline_kernelINS0_13select_configILj256ELj13ELNS0_17block_load_methodE3ELS4_3ELS4_3ELNS0_20block_scan_algorithmE0ELj4294967295EEENS1_25partition_config_selectorILNS1_17partition_subalgoE3EjNS0_10empty_typeEbEEZZNS1_14partition_implILS8_3ELb0ES6_jNS0_17counting_iteratorIjlEEPS9_SE_NS0_5tupleIJPjSE_EEENSF_IJSE_SE_EEES9_SG_JZNS1_25segmented_radix_sort_implINS0_14default_configELb1EPKlPlSM_SN_N2at6native12_GLOBAL__N_18offset_tEEE10hipError_tPvRmT1_PNSt15iterator_traitsISV_E10value_typeET2_T3_PNSW_IS11_E10value_typeET4_jRbjT5_S17_jjP12ihipStream_tbEUljE_EEESS_ST_SU_S11_S15_S17_T6_T7_T9_mT8_S19_bDpT10_ENKUlT_T0_E_clISt17integral_constantIbLb0EES1M_EEDaS1H_S1I_EUlS1H_E_NS1_11comp_targetILNS1_3genE0ELNS1_11target_archE4294967295ELNS1_3gpuE0ELNS1_3repE0EEENS1_30default_config_static_selectorELNS0_4arch9wavefront6targetE0EEEvSV_,"axG",@progbits,_ZN7rocprim17ROCPRIM_400000_NS6detail17trampoline_kernelINS0_13select_configILj256ELj13ELNS0_17block_load_methodE3ELS4_3ELS4_3ELNS0_20block_scan_algorithmE0ELj4294967295EEENS1_25partition_config_selectorILNS1_17partition_subalgoE3EjNS0_10empty_typeEbEEZZNS1_14partition_implILS8_3ELb0ES6_jNS0_17counting_iteratorIjlEEPS9_SE_NS0_5tupleIJPjSE_EEENSF_IJSE_SE_EEES9_SG_JZNS1_25segmented_radix_sort_implINS0_14default_configELb1EPKlPlSM_SN_N2at6native12_GLOBAL__N_18offset_tEEE10hipError_tPvRmT1_PNSt15iterator_traitsISV_E10value_typeET2_T3_PNSW_IS11_E10value_typeET4_jRbjT5_S17_jjP12ihipStream_tbEUljE_EEESS_ST_SU_S11_S15_S17_T6_T7_T9_mT8_S19_bDpT10_ENKUlT_T0_E_clISt17integral_constantIbLb0EES1M_EEDaS1H_S1I_EUlS1H_E_NS1_11comp_targetILNS1_3genE0ELNS1_11target_archE4294967295ELNS1_3gpuE0ELNS1_3repE0EEENS1_30default_config_static_selectorELNS0_4arch9wavefront6targetE0EEEvSV_,comdat
.Lfunc_end672:
	.size	_ZN7rocprim17ROCPRIM_400000_NS6detail17trampoline_kernelINS0_13select_configILj256ELj13ELNS0_17block_load_methodE3ELS4_3ELS4_3ELNS0_20block_scan_algorithmE0ELj4294967295EEENS1_25partition_config_selectorILNS1_17partition_subalgoE3EjNS0_10empty_typeEbEEZZNS1_14partition_implILS8_3ELb0ES6_jNS0_17counting_iteratorIjlEEPS9_SE_NS0_5tupleIJPjSE_EEENSF_IJSE_SE_EEES9_SG_JZNS1_25segmented_radix_sort_implINS0_14default_configELb1EPKlPlSM_SN_N2at6native12_GLOBAL__N_18offset_tEEE10hipError_tPvRmT1_PNSt15iterator_traitsISV_E10value_typeET2_T3_PNSW_IS11_E10value_typeET4_jRbjT5_S17_jjP12ihipStream_tbEUljE_EEESS_ST_SU_S11_S15_S17_T6_T7_T9_mT8_S19_bDpT10_ENKUlT_T0_E_clISt17integral_constantIbLb0EES1M_EEDaS1H_S1I_EUlS1H_E_NS1_11comp_targetILNS1_3genE0ELNS1_11target_archE4294967295ELNS1_3gpuE0ELNS1_3repE0EEENS1_30default_config_static_selectorELNS0_4arch9wavefront6targetE0EEEvSV_, .Lfunc_end672-_ZN7rocprim17ROCPRIM_400000_NS6detail17trampoline_kernelINS0_13select_configILj256ELj13ELNS0_17block_load_methodE3ELS4_3ELS4_3ELNS0_20block_scan_algorithmE0ELj4294967295EEENS1_25partition_config_selectorILNS1_17partition_subalgoE3EjNS0_10empty_typeEbEEZZNS1_14partition_implILS8_3ELb0ES6_jNS0_17counting_iteratorIjlEEPS9_SE_NS0_5tupleIJPjSE_EEENSF_IJSE_SE_EEES9_SG_JZNS1_25segmented_radix_sort_implINS0_14default_configELb1EPKlPlSM_SN_N2at6native12_GLOBAL__N_18offset_tEEE10hipError_tPvRmT1_PNSt15iterator_traitsISV_E10value_typeET2_T3_PNSW_IS11_E10value_typeET4_jRbjT5_S17_jjP12ihipStream_tbEUljE_EEESS_ST_SU_S11_S15_S17_T6_T7_T9_mT8_S19_bDpT10_ENKUlT_T0_E_clISt17integral_constantIbLb0EES1M_EEDaS1H_S1I_EUlS1H_E_NS1_11comp_targetILNS1_3genE0ELNS1_11target_archE4294967295ELNS1_3gpuE0ELNS1_3repE0EEENS1_30default_config_static_selectorELNS0_4arch9wavefront6targetE0EEEvSV_
                                        ; -- End function
	.set _ZN7rocprim17ROCPRIM_400000_NS6detail17trampoline_kernelINS0_13select_configILj256ELj13ELNS0_17block_load_methodE3ELS4_3ELS4_3ELNS0_20block_scan_algorithmE0ELj4294967295EEENS1_25partition_config_selectorILNS1_17partition_subalgoE3EjNS0_10empty_typeEbEEZZNS1_14partition_implILS8_3ELb0ES6_jNS0_17counting_iteratorIjlEEPS9_SE_NS0_5tupleIJPjSE_EEENSF_IJSE_SE_EEES9_SG_JZNS1_25segmented_radix_sort_implINS0_14default_configELb1EPKlPlSM_SN_N2at6native12_GLOBAL__N_18offset_tEEE10hipError_tPvRmT1_PNSt15iterator_traitsISV_E10value_typeET2_T3_PNSW_IS11_E10value_typeET4_jRbjT5_S17_jjP12ihipStream_tbEUljE_EEESS_ST_SU_S11_S15_S17_T6_T7_T9_mT8_S19_bDpT10_ENKUlT_T0_E_clISt17integral_constantIbLb0EES1M_EEDaS1H_S1I_EUlS1H_E_NS1_11comp_targetILNS1_3genE0ELNS1_11target_archE4294967295ELNS1_3gpuE0ELNS1_3repE0EEENS1_30default_config_static_selectorELNS0_4arch9wavefront6targetE0EEEvSV_.num_vgpr, 0
	.set _ZN7rocprim17ROCPRIM_400000_NS6detail17trampoline_kernelINS0_13select_configILj256ELj13ELNS0_17block_load_methodE3ELS4_3ELS4_3ELNS0_20block_scan_algorithmE0ELj4294967295EEENS1_25partition_config_selectorILNS1_17partition_subalgoE3EjNS0_10empty_typeEbEEZZNS1_14partition_implILS8_3ELb0ES6_jNS0_17counting_iteratorIjlEEPS9_SE_NS0_5tupleIJPjSE_EEENSF_IJSE_SE_EEES9_SG_JZNS1_25segmented_radix_sort_implINS0_14default_configELb1EPKlPlSM_SN_N2at6native12_GLOBAL__N_18offset_tEEE10hipError_tPvRmT1_PNSt15iterator_traitsISV_E10value_typeET2_T3_PNSW_IS11_E10value_typeET4_jRbjT5_S17_jjP12ihipStream_tbEUljE_EEESS_ST_SU_S11_S15_S17_T6_T7_T9_mT8_S19_bDpT10_ENKUlT_T0_E_clISt17integral_constantIbLb0EES1M_EEDaS1H_S1I_EUlS1H_E_NS1_11comp_targetILNS1_3genE0ELNS1_11target_archE4294967295ELNS1_3gpuE0ELNS1_3repE0EEENS1_30default_config_static_selectorELNS0_4arch9wavefront6targetE0EEEvSV_.num_agpr, 0
	.set _ZN7rocprim17ROCPRIM_400000_NS6detail17trampoline_kernelINS0_13select_configILj256ELj13ELNS0_17block_load_methodE3ELS4_3ELS4_3ELNS0_20block_scan_algorithmE0ELj4294967295EEENS1_25partition_config_selectorILNS1_17partition_subalgoE3EjNS0_10empty_typeEbEEZZNS1_14partition_implILS8_3ELb0ES6_jNS0_17counting_iteratorIjlEEPS9_SE_NS0_5tupleIJPjSE_EEENSF_IJSE_SE_EEES9_SG_JZNS1_25segmented_radix_sort_implINS0_14default_configELb1EPKlPlSM_SN_N2at6native12_GLOBAL__N_18offset_tEEE10hipError_tPvRmT1_PNSt15iterator_traitsISV_E10value_typeET2_T3_PNSW_IS11_E10value_typeET4_jRbjT5_S17_jjP12ihipStream_tbEUljE_EEESS_ST_SU_S11_S15_S17_T6_T7_T9_mT8_S19_bDpT10_ENKUlT_T0_E_clISt17integral_constantIbLb0EES1M_EEDaS1H_S1I_EUlS1H_E_NS1_11comp_targetILNS1_3genE0ELNS1_11target_archE4294967295ELNS1_3gpuE0ELNS1_3repE0EEENS1_30default_config_static_selectorELNS0_4arch9wavefront6targetE0EEEvSV_.numbered_sgpr, 0
	.set _ZN7rocprim17ROCPRIM_400000_NS6detail17trampoline_kernelINS0_13select_configILj256ELj13ELNS0_17block_load_methodE3ELS4_3ELS4_3ELNS0_20block_scan_algorithmE0ELj4294967295EEENS1_25partition_config_selectorILNS1_17partition_subalgoE3EjNS0_10empty_typeEbEEZZNS1_14partition_implILS8_3ELb0ES6_jNS0_17counting_iteratorIjlEEPS9_SE_NS0_5tupleIJPjSE_EEENSF_IJSE_SE_EEES9_SG_JZNS1_25segmented_radix_sort_implINS0_14default_configELb1EPKlPlSM_SN_N2at6native12_GLOBAL__N_18offset_tEEE10hipError_tPvRmT1_PNSt15iterator_traitsISV_E10value_typeET2_T3_PNSW_IS11_E10value_typeET4_jRbjT5_S17_jjP12ihipStream_tbEUljE_EEESS_ST_SU_S11_S15_S17_T6_T7_T9_mT8_S19_bDpT10_ENKUlT_T0_E_clISt17integral_constantIbLb0EES1M_EEDaS1H_S1I_EUlS1H_E_NS1_11comp_targetILNS1_3genE0ELNS1_11target_archE4294967295ELNS1_3gpuE0ELNS1_3repE0EEENS1_30default_config_static_selectorELNS0_4arch9wavefront6targetE0EEEvSV_.num_named_barrier, 0
	.set _ZN7rocprim17ROCPRIM_400000_NS6detail17trampoline_kernelINS0_13select_configILj256ELj13ELNS0_17block_load_methodE3ELS4_3ELS4_3ELNS0_20block_scan_algorithmE0ELj4294967295EEENS1_25partition_config_selectorILNS1_17partition_subalgoE3EjNS0_10empty_typeEbEEZZNS1_14partition_implILS8_3ELb0ES6_jNS0_17counting_iteratorIjlEEPS9_SE_NS0_5tupleIJPjSE_EEENSF_IJSE_SE_EEES9_SG_JZNS1_25segmented_radix_sort_implINS0_14default_configELb1EPKlPlSM_SN_N2at6native12_GLOBAL__N_18offset_tEEE10hipError_tPvRmT1_PNSt15iterator_traitsISV_E10value_typeET2_T3_PNSW_IS11_E10value_typeET4_jRbjT5_S17_jjP12ihipStream_tbEUljE_EEESS_ST_SU_S11_S15_S17_T6_T7_T9_mT8_S19_bDpT10_ENKUlT_T0_E_clISt17integral_constantIbLb0EES1M_EEDaS1H_S1I_EUlS1H_E_NS1_11comp_targetILNS1_3genE0ELNS1_11target_archE4294967295ELNS1_3gpuE0ELNS1_3repE0EEENS1_30default_config_static_selectorELNS0_4arch9wavefront6targetE0EEEvSV_.private_seg_size, 0
	.set _ZN7rocprim17ROCPRIM_400000_NS6detail17trampoline_kernelINS0_13select_configILj256ELj13ELNS0_17block_load_methodE3ELS4_3ELS4_3ELNS0_20block_scan_algorithmE0ELj4294967295EEENS1_25partition_config_selectorILNS1_17partition_subalgoE3EjNS0_10empty_typeEbEEZZNS1_14partition_implILS8_3ELb0ES6_jNS0_17counting_iteratorIjlEEPS9_SE_NS0_5tupleIJPjSE_EEENSF_IJSE_SE_EEES9_SG_JZNS1_25segmented_radix_sort_implINS0_14default_configELb1EPKlPlSM_SN_N2at6native12_GLOBAL__N_18offset_tEEE10hipError_tPvRmT1_PNSt15iterator_traitsISV_E10value_typeET2_T3_PNSW_IS11_E10value_typeET4_jRbjT5_S17_jjP12ihipStream_tbEUljE_EEESS_ST_SU_S11_S15_S17_T6_T7_T9_mT8_S19_bDpT10_ENKUlT_T0_E_clISt17integral_constantIbLb0EES1M_EEDaS1H_S1I_EUlS1H_E_NS1_11comp_targetILNS1_3genE0ELNS1_11target_archE4294967295ELNS1_3gpuE0ELNS1_3repE0EEENS1_30default_config_static_selectorELNS0_4arch9wavefront6targetE0EEEvSV_.uses_vcc, 0
	.set _ZN7rocprim17ROCPRIM_400000_NS6detail17trampoline_kernelINS0_13select_configILj256ELj13ELNS0_17block_load_methodE3ELS4_3ELS4_3ELNS0_20block_scan_algorithmE0ELj4294967295EEENS1_25partition_config_selectorILNS1_17partition_subalgoE3EjNS0_10empty_typeEbEEZZNS1_14partition_implILS8_3ELb0ES6_jNS0_17counting_iteratorIjlEEPS9_SE_NS0_5tupleIJPjSE_EEENSF_IJSE_SE_EEES9_SG_JZNS1_25segmented_radix_sort_implINS0_14default_configELb1EPKlPlSM_SN_N2at6native12_GLOBAL__N_18offset_tEEE10hipError_tPvRmT1_PNSt15iterator_traitsISV_E10value_typeET2_T3_PNSW_IS11_E10value_typeET4_jRbjT5_S17_jjP12ihipStream_tbEUljE_EEESS_ST_SU_S11_S15_S17_T6_T7_T9_mT8_S19_bDpT10_ENKUlT_T0_E_clISt17integral_constantIbLb0EES1M_EEDaS1H_S1I_EUlS1H_E_NS1_11comp_targetILNS1_3genE0ELNS1_11target_archE4294967295ELNS1_3gpuE0ELNS1_3repE0EEENS1_30default_config_static_selectorELNS0_4arch9wavefront6targetE0EEEvSV_.uses_flat_scratch, 0
	.set _ZN7rocprim17ROCPRIM_400000_NS6detail17trampoline_kernelINS0_13select_configILj256ELj13ELNS0_17block_load_methodE3ELS4_3ELS4_3ELNS0_20block_scan_algorithmE0ELj4294967295EEENS1_25partition_config_selectorILNS1_17partition_subalgoE3EjNS0_10empty_typeEbEEZZNS1_14partition_implILS8_3ELb0ES6_jNS0_17counting_iteratorIjlEEPS9_SE_NS0_5tupleIJPjSE_EEENSF_IJSE_SE_EEES9_SG_JZNS1_25segmented_radix_sort_implINS0_14default_configELb1EPKlPlSM_SN_N2at6native12_GLOBAL__N_18offset_tEEE10hipError_tPvRmT1_PNSt15iterator_traitsISV_E10value_typeET2_T3_PNSW_IS11_E10value_typeET4_jRbjT5_S17_jjP12ihipStream_tbEUljE_EEESS_ST_SU_S11_S15_S17_T6_T7_T9_mT8_S19_bDpT10_ENKUlT_T0_E_clISt17integral_constantIbLb0EES1M_EEDaS1H_S1I_EUlS1H_E_NS1_11comp_targetILNS1_3genE0ELNS1_11target_archE4294967295ELNS1_3gpuE0ELNS1_3repE0EEENS1_30default_config_static_selectorELNS0_4arch9wavefront6targetE0EEEvSV_.has_dyn_sized_stack, 0
	.set _ZN7rocprim17ROCPRIM_400000_NS6detail17trampoline_kernelINS0_13select_configILj256ELj13ELNS0_17block_load_methodE3ELS4_3ELS4_3ELNS0_20block_scan_algorithmE0ELj4294967295EEENS1_25partition_config_selectorILNS1_17partition_subalgoE3EjNS0_10empty_typeEbEEZZNS1_14partition_implILS8_3ELb0ES6_jNS0_17counting_iteratorIjlEEPS9_SE_NS0_5tupleIJPjSE_EEENSF_IJSE_SE_EEES9_SG_JZNS1_25segmented_radix_sort_implINS0_14default_configELb1EPKlPlSM_SN_N2at6native12_GLOBAL__N_18offset_tEEE10hipError_tPvRmT1_PNSt15iterator_traitsISV_E10value_typeET2_T3_PNSW_IS11_E10value_typeET4_jRbjT5_S17_jjP12ihipStream_tbEUljE_EEESS_ST_SU_S11_S15_S17_T6_T7_T9_mT8_S19_bDpT10_ENKUlT_T0_E_clISt17integral_constantIbLb0EES1M_EEDaS1H_S1I_EUlS1H_E_NS1_11comp_targetILNS1_3genE0ELNS1_11target_archE4294967295ELNS1_3gpuE0ELNS1_3repE0EEENS1_30default_config_static_selectorELNS0_4arch9wavefront6targetE0EEEvSV_.has_recursion, 0
	.set _ZN7rocprim17ROCPRIM_400000_NS6detail17trampoline_kernelINS0_13select_configILj256ELj13ELNS0_17block_load_methodE3ELS4_3ELS4_3ELNS0_20block_scan_algorithmE0ELj4294967295EEENS1_25partition_config_selectorILNS1_17partition_subalgoE3EjNS0_10empty_typeEbEEZZNS1_14partition_implILS8_3ELb0ES6_jNS0_17counting_iteratorIjlEEPS9_SE_NS0_5tupleIJPjSE_EEENSF_IJSE_SE_EEES9_SG_JZNS1_25segmented_radix_sort_implINS0_14default_configELb1EPKlPlSM_SN_N2at6native12_GLOBAL__N_18offset_tEEE10hipError_tPvRmT1_PNSt15iterator_traitsISV_E10value_typeET2_T3_PNSW_IS11_E10value_typeET4_jRbjT5_S17_jjP12ihipStream_tbEUljE_EEESS_ST_SU_S11_S15_S17_T6_T7_T9_mT8_S19_bDpT10_ENKUlT_T0_E_clISt17integral_constantIbLb0EES1M_EEDaS1H_S1I_EUlS1H_E_NS1_11comp_targetILNS1_3genE0ELNS1_11target_archE4294967295ELNS1_3gpuE0ELNS1_3repE0EEENS1_30default_config_static_selectorELNS0_4arch9wavefront6targetE0EEEvSV_.has_indirect_call, 0
	.section	.AMDGPU.csdata,"",@progbits
; Kernel info:
; codeLenInByte = 0
; TotalNumSgprs: 0
; NumVgprs: 0
; ScratchSize: 0
; MemoryBound: 0
; FloatMode: 240
; IeeeMode: 1
; LDSByteSize: 0 bytes/workgroup (compile time only)
; SGPRBlocks: 0
; VGPRBlocks: 0
; NumSGPRsForWavesPerEU: 1
; NumVGPRsForWavesPerEU: 1
; Occupancy: 16
; WaveLimiterHint : 0
; COMPUTE_PGM_RSRC2:SCRATCH_EN: 0
; COMPUTE_PGM_RSRC2:USER_SGPR: 2
; COMPUTE_PGM_RSRC2:TRAP_HANDLER: 0
; COMPUTE_PGM_RSRC2:TGID_X_EN: 1
; COMPUTE_PGM_RSRC2:TGID_Y_EN: 0
; COMPUTE_PGM_RSRC2:TGID_Z_EN: 0
; COMPUTE_PGM_RSRC2:TIDIG_COMP_CNT: 0
	.section	.text._ZN7rocprim17ROCPRIM_400000_NS6detail17trampoline_kernelINS0_13select_configILj256ELj13ELNS0_17block_load_methodE3ELS4_3ELS4_3ELNS0_20block_scan_algorithmE0ELj4294967295EEENS1_25partition_config_selectorILNS1_17partition_subalgoE3EjNS0_10empty_typeEbEEZZNS1_14partition_implILS8_3ELb0ES6_jNS0_17counting_iteratorIjlEEPS9_SE_NS0_5tupleIJPjSE_EEENSF_IJSE_SE_EEES9_SG_JZNS1_25segmented_radix_sort_implINS0_14default_configELb1EPKlPlSM_SN_N2at6native12_GLOBAL__N_18offset_tEEE10hipError_tPvRmT1_PNSt15iterator_traitsISV_E10value_typeET2_T3_PNSW_IS11_E10value_typeET4_jRbjT5_S17_jjP12ihipStream_tbEUljE_EEESS_ST_SU_S11_S15_S17_T6_T7_T9_mT8_S19_bDpT10_ENKUlT_T0_E_clISt17integral_constantIbLb0EES1M_EEDaS1H_S1I_EUlS1H_E_NS1_11comp_targetILNS1_3genE5ELNS1_11target_archE942ELNS1_3gpuE9ELNS1_3repE0EEENS1_30default_config_static_selectorELNS0_4arch9wavefront6targetE0EEEvSV_,"axG",@progbits,_ZN7rocprim17ROCPRIM_400000_NS6detail17trampoline_kernelINS0_13select_configILj256ELj13ELNS0_17block_load_methodE3ELS4_3ELS4_3ELNS0_20block_scan_algorithmE0ELj4294967295EEENS1_25partition_config_selectorILNS1_17partition_subalgoE3EjNS0_10empty_typeEbEEZZNS1_14partition_implILS8_3ELb0ES6_jNS0_17counting_iteratorIjlEEPS9_SE_NS0_5tupleIJPjSE_EEENSF_IJSE_SE_EEES9_SG_JZNS1_25segmented_radix_sort_implINS0_14default_configELb1EPKlPlSM_SN_N2at6native12_GLOBAL__N_18offset_tEEE10hipError_tPvRmT1_PNSt15iterator_traitsISV_E10value_typeET2_T3_PNSW_IS11_E10value_typeET4_jRbjT5_S17_jjP12ihipStream_tbEUljE_EEESS_ST_SU_S11_S15_S17_T6_T7_T9_mT8_S19_bDpT10_ENKUlT_T0_E_clISt17integral_constantIbLb0EES1M_EEDaS1H_S1I_EUlS1H_E_NS1_11comp_targetILNS1_3genE5ELNS1_11target_archE942ELNS1_3gpuE9ELNS1_3repE0EEENS1_30default_config_static_selectorELNS0_4arch9wavefront6targetE0EEEvSV_,comdat
	.globl	_ZN7rocprim17ROCPRIM_400000_NS6detail17trampoline_kernelINS0_13select_configILj256ELj13ELNS0_17block_load_methodE3ELS4_3ELS4_3ELNS0_20block_scan_algorithmE0ELj4294967295EEENS1_25partition_config_selectorILNS1_17partition_subalgoE3EjNS0_10empty_typeEbEEZZNS1_14partition_implILS8_3ELb0ES6_jNS0_17counting_iteratorIjlEEPS9_SE_NS0_5tupleIJPjSE_EEENSF_IJSE_SE_EEES9_SG_JZNS1_25segmented_radix_sort_implINS0_14default_configELb1EPKlPlSM_SN_N2at6native12_GLOBAL__N_18offset_tEEE10hipError_tPvRmT1_PNSt15iterator_traitsISV_E10value_typeET2_T3_PNSW_IS11_E10value_typeET4_jRbjT5_S17_jjP12ihipStream_tbEUljE_EEESS_ST_SU_S11_S15_S17_T6_T7_T9_mT8_S19_bDpT10_ENKUlT_T0_E_clISt17integral_constantIbLb0EES1M_EEDaS1H_S1I_EUlS1H_E_NS1_11comp_targetILNS1_3genE5ELNS1_11target_archE942ELNS1_3gpuE9ELNS1_3repE0EEENS1_30default_config_static_selectorELNS0_4arch9wavefront6targetE0EEEvSV_ ; -- Begin function _ZN7rocprim17ROCPRIM_400000_NS6detail17trampoline_kernelINS0_13select_configILj256ELj13ELNS0_17block_load_methodE3ELS4_3ELS4_3ELNS0_20block_scan_algorithmE0ELj4294967295EEENS1_25partition_config_selectorILNS1_17partition_subalgoE3EjNS0_10empty_typeEbEEZZNS1_14partition_implILS8_3ELb0ES6_jNS0_17counting_iteratorIjlEEPS9_SE_NS0_5tupleIJPjSE_EEENSF_IJSE_SE_EEES9_SG_JZNS1_25segmented_radix_sort_implINS0_14default_configELb1EPKlPlSM_SN_N2at6native12_GLOBAL__N_18offset_tEEE10hipError_tPvRmT1_PNSt15iterator_traitsISV_E10value_typeET2_T3_PNSW_IS11_E10value_typeET4_jRbjT5_S17_jjP12ihipStream_tbEUljE_EEESS_ST_SU_S11_S15_S17_T6_T7_T9_mT8_S19_bDpT10_ENKUlT_T0_E_clISt17integral_constantIbLb0EES1M_EEDaS1H_S1I_EUlS1H_E_NS1_11comp_targetILNS1_3genE5ELNS1_11target_archE942ELNS1_3gpuE9ELNS1_3repE0EEENS1_30default_config_static_selectorELNS0_4arch9wavefront6targetE0EEEvSV_
	.p2align	8
	.type	_ZN7rocprim17ROCPRIM_400000_NS6detail17trampoline_kernelINS0_13select_configILj256ELj13ELNS0_17block_load_methodE3ELS4_3ELS4_3ELNS0_20block_scan_algorithmE0ELj4294967295EEENS1_25partition_config_selectorILNS1_17partition_subalgoE3EjNS0_10empty_typeEbEEZZNS1_14partition_implILS8_3ELb0ES6_jNS0_17counting_iteratorIjlEEPS9_SE_NS0_5tupleIJPjSE_EEENSF_IJSE_SE_EEES9_SG_JZNS1_25segmented_radix_sort_implINS0_14default_configELb1EPKlPlSM_SN_N2at6native12_GLOBAL__N_18offset_tEEE10hipError_tPvRmT1_PNSt15iterator_traitsISV_E10value_typeET2_T3_PNSW_IS11_E10value_typeET4_jRbjT5_S17_jjP12ihipStream_tbEUljE_EEESS_ST_SU_S11_S15_S17_T6_T7_T9_mT8_S19_bDpT10_ENKUlT_T0_E_clISt17integral_constantIbLb0EES1M_EEDaS1H_S1I_EUlS1H_E_NS1_11comp_targetILNS1_3genE5ELNS1_11target_archE942ELNS1_3gpuE9ELNS1_3repE0EEENS1_30default_config_static_selectorELNS0_4arch9wavefront6targetE0EEEvSV_,@function
_ZN7rocprim17ROCPRIM_400000_NS6detail17trampoline_kernelINS0_13select_configILj256ELj13ELNS0_17block_load_methodE3ELS4_3ELS4_3ELNS0_20block_scan_algorithmE0ELj4294967295EEENS1_25partition_config_selectorILNS1_17partition_subalgoE3EjNS0_10empty_typeEbEEZZNS1_14partition_implILS8_3ELb0ES6_jNS0_17counting_iteratorIjlEEPS9_SE_NS0_5tupleIJPjSE_EEENSF_IJSE_SE_EEES9_SG_JZNS1_25segmented_radix_sort_implINS0_14default_configELb1EPKlPlSM_SN_N2at6native12_GLOBAL__N_18offset_tEEE10hipError_tPvRmT1_PNSt15iterator_traitsISV_E10value_typeET2_T3_PNSW_IS11_E10value_typeET4_jRbjT5_S17_jjP12ihipStream_tbEUljE_EEESS_ST_SU_S11_S15_S17_T6_T7_T9_mT8_S19_bDpT10_ENKUlT_T0_E_clISt17integral_constantIbLb0EES1M_EEDaS1H_S1I_EUlS1H_E_NS1_11comp_targetILNS1_3genE5ELNS1_11target_archE942ELNS1_3gpuE9ELNS1_3repE0EEENS1_30default_config_static_selectorELNS0_4arch9wavefront6targetE0EEEvSV_: ; @_ZN7rocprim17ROCPRIM_400000_NS6detail17trampoline_kernelINS0_13select_configILj256ELj13ELNS0_17block_load_methodE3ELS4_3ELS4_3ELNS0_20block_scan_algorithmE0ELj4294967295EEENS1_25partition_config_selectorILNS1_17partition_subalgoE3EjNS0_10empty_typeEbEEZZNS1_14partition_implILS8_3ELb0ES6_jNS0_17counting_iteratorIjlEEPS9_SE_NS0_5tupleIJPjSE_EEENSF_IJSE_SE_EEES9_SG_JZNS1_25segmented_radix_sort_implINS0_14default_configELb1EPKlPlSM_SN_N2at6native12_GLOBAL__N_18offset_tEEE10hipError_tPvRmT1_PNSt15iterator_traitsISV_E10value_typeET2_T3_PNSW_IS11_E10value_typeET4_jRbjT5_S17_jjP12ihipStream_tbEUljE_EEESS_ST_SU_S11_S15_S17_T6_T7_T9_mT8_S19_bDpT10_ENKUlT_T0_E_clISt17integral_constantIbLb0EES1M_EEDaS1H_S1I_EUlS1H_E_NS1_11comp_targetILNS1_3genE5ELNS1_11target_archE942ELNS1_3gpuE9ELNS1_3repE0EEENS1_30default_config_static_selectorELNS0_4arch9wavefront6targetE0EEEvSV_
; %bb.0:
	.section	.rodata,"a",@progbits
	.p2align	6, 0x0
	.amdhsa_kernel _ZN7rocprim17ROCPRIM_400000_NS6detail17trampoline_kernelINS0_13select_configILj256ELj13ELNS0_17block_load_methodE3ELS4_3ELS4_3ELNS0_20block_scan_algorithmE0ELj4294967295EEENS1_25partition_config_selectorILNS1_17partition_subalgoE3EjNS0_10empty_typeEbEEZZNS1_14partition_implILS8_3ELb0ES6_jNS0_17counting_iteratorIjlEEPS9_SE_NS0_5tupleIJPjSE_EEENSF_IJSE_SE_EEES9_SG_JZNS1_25segmented_radix_sort_implINS0_14default_configELb1EPKlPlSM_SN_N2at6native12_GLOBAL__N_18offset_tEEE10hipError_tPvRmT1_PNSt15iterator_traitsISV_E10value_typeET2_T3_PNSW_IS11_E10value_typeET4_jRbjT5_S17_jjP12ihipStream_tbEUljE_EEESS_ST_SU_S11_S15_S17_T6_T7_T9_mT8_S19_bDpT10_ENKUlT_T0_E_clISt17integral_constantIbLb0EES1M_EEDaS1H_S1I_EUlS1H_E_NS1_11comp_targetILNS1_3genE5ELNS1_11target_archE942ELNS1_3gpuE9ELNS1_3repE0EEENS1_30default_config_static_selectorELNS0_4arch9wavefront6targetE0EEEvSV_
		.amdhsa_group_segment_fixed_size 0
		.amdhsa_private_segment_fixed_size 0
		.amdhsa_kernarg_size 144
		.amdhsa_user_sgpr_count 2
		.amdhsa_user_sgpr_dispatch_ptr 0
		.amdhsa_user_sgpr_queue_ptr 0
		.amdhsa_user_sgpr_kernarg_segment_ptr 1
		.amdhsa_user_sgpr_dispatch_id 0
		.amdhsa_user_sgpr_private_segment_size 0
		.amdhsa_wavefront_size32 1
		.amdhsa_uses_dynamic_stack 0
		.amdhsa_enable_private_segment 0
		.amdhsa_system_sgpr_workgroup_id_x 1
		.amdhsa_system_sgpr_workgroup_id_y 0
		.amdhsa_system_sgpr_workgroup_id_z 0
		.amdhsa_system_sgpr_workgroup_info 0
		.amdhsa_system_vgpr_workitem_id 0
		.amdhsa_next_free_vgpr 1
		.amdhsa_next_free_sgpr 1
		.amdhsa_reserve_vcc 0
		.amdhsa_float_round_mode_32 0
		.amdhsa_float_round_mode_16_64 0
		.amdhsa_float_denorm_mode_32 3
		.amdhsa_float_denorm_mode_16_64 3
		.amdhsa_fp16_overflow 0
		.amdhsa_workgroup_processor_mode 1
		.amdhsa_memory_ordered 1
		.amdhsa_forward_progress 1
		.amdhsa_inst_pref_size 0
		.amdhsa_round_robin_scheduling 0
		.amdhsa_exception_fp_ieee_invalid_op 0
		.amdhsa_exception_fp_denorm_src 0
		.amdhsa_exception_fp_ieee_div_zero 0
		.amdhsa_exception_fp_ieee_overflow 0
		.amdhsa_exception_fp_ieee_underflow 0
		.amdhsa_exception_fp_ieee_inexact 0
		.amdhsa_exception_int_div_zero 0
	.end_amdhsa_kernel
	.section	.text._ZN7rocprim17ROCPRIM_400000_NS6detail17trampoline_kernelINS0_13select_configILj256ELj13ELNS0_17block_load_methodE3ELS4_3ELS4_3ELNS0_20block_scan_algorithmE0ELj4294967295EEENS1_25partition_config_selectorILNS1_17partition_subalgoE3EjNS0_10empty_typeEbEEZZNS1_14partition_implILS8_3ELb0ES6_jNS0_17counting_iteratorIjlEEPS9_SE_NS0_5tupleIJPjSE_EEENSF_IJSE_SE_EEES9_SG_JZNS1_25segmented_radix_sort_implINS0_14default_configELb1EPKlPlSM_SN_N2at6native12_GLOBAL__N_18offset_tEEE10hipError_tPvRmT1_PNSt15iterator_traitsISV_E10value_typeET2_T3_PNSW_IS11_E10value_typeET4_jRbjT5_S17_jjP12ihipStream_tbEUljE_EEESS_ST_SU_S11_S15_S17_T6_T7_T9_mT8_S19_bDpT10_ENKUlT_T0_E_clISt17integral_constantIbLb0EES1M_EEDaS1H_S1I_EUlS1H_E_NS1_11comp_targetILNS1_3genE5ELNS1_11target_archE942ELNS1_3gpuE9ELNS1_3repE0EEENS1_30default_config_static_selectorELNS0_4arch9wavefront6targetE0EEEvSV_,"axG",@progbits,_ZN7rocprim17ROCPRIM_400000_NS6detail17trampoline_kernelINS0_13select_configILj256ELj13ELNS0_17block_load_methodE3ELS4_3ELS4_3ELNS0_20block_scan_algorithmE0ELj4294967295EEENS1_25partition_config_selectorILNS1_17partition_subalgoE3EjNS0_10empty_typeEbEEZZNS1_14partition_implILS8_3ELb0ES6_jNS0_17counting_iteratorIjlEEPS9_SE_NS0_5tupleIJPjSE_EEENSF_IJSE_SE_EEES9_SG_JZNS1_25segmented_radix_sort_implINS0_14default_configELb1EPKlPlSM_SN_N2at6native12_GLOBAL__N_18offset_tEEE10hipError_tPvRmT1_PNSt15iterator_traitsISV_E10value_typeET2_T3_PNSW_IS11_E10value_typeET4_jRbjT5_S17_jjP12ihipStream_tbEUljE_EEESS_ST_SU_S11_S15_S17_T6_T7_T9_mT8_S19_bDpT10_ENKUlT_T0_E_clISt17integral_constantIbLb0EES1M_EEDaS1H_S1I_EUlS1H_E_NS1_11comp_targetILNS1_3genE5ELNS1_11target_archE942ELNS1_3gpuE9ELNS1_3repE0EEENS1_30default_config_static_selectorELNS0_4arch9wavefront6targetE0EEEvSV_,comdat
.Lfunc_end673:
	.size	_ZN7rocprim17ROCPRIM_400000_NS6detail17trampoline_kernelINS0_13select_configILj256ELj13ELNS0_17block_load_methodE3ELS4_3ELS4_3ELNS0_20block_scan_algorithmE0ELj4294967295EEENS1_25partition_config_selectorILNS1_17partition_subalgoE3EjNS0_10empty_typeEbEEZZNS1_14partition_implILS8_3ELb0ES6_jNS0_17counting_iteratorIjlEEPS9_SE_NS0_5tupleIJPjSE_EEENSF_IJSE_SE_EEES9_SG_JZNS1_25segmented_radix_sort_implINS0_14default_configELb1EPKlPlSM_SN_N2at6native12_GLOBAL__N_18offset_tEEE10hipError_tPvRmT1_PNSt15iterator_traitsISV_E10value_typeET2_T3_PNSW_IS11_E10value_typeET4_jRbjT5_S17_jjP12ihipStream_tbEUljE_EEESS_ST_SU_S11_S15_S17_T6_T7_T9_mT8_S19_bDpT10_ENKUlT_T0_E_clISt17integral_constantIbLb0EES1M_EEDaS1H_S1I_EUlS1H_E_NS1_11comp_targetILNS1_3genE5ELNS1_11target_archE942ELNS1_3gpuE9ELNS1_3repE0EEENS1_30default_config_static_selectorELNS0_4arch9wavefront6targetE0EEEvSV_, .Lfunc_end673-_ZN7rocprim17ROCPRIM_400000_NS6detail17trampoline_kernelINS0_13select_configILj256ELj13ELNS0_17block_load_methodE3ELS4_3ELS4_3ELNS0_20block_scan_algorithmE0ELj4294967295EEENS1_25partition_config_selectorILNS1_17partition_subalgoE3EjNS0_10empty_typeEbEEZZNS1_14partition_implILS8_3ELb0ES6_jNS0_17counting_iteratorIjlEEPS9_SE_NS0_5tupleIJPjSE_EEENSF_IJSE_SE_EEES9_SG_JZNS1_25segmented_radix_sort_implINS0_14default_configELb1EPKlPlSM_SN_N2at6native12_GLOBAL__N_18offset_tEEE10hipError_tPvRmT1_PNSt15iterator_traitsISV_E10value_typeET2_T3_PNSW_IS11_E10value_typeET4_jRbjT5_S17_jjP12ihipStream_tbEUljE_EEESS_ST_SU_S11_S15_S17_T6_T7_T9_mT8_S19_bDpT10_ENKUlT_T0_E_clISt17integral_constantIbLb0EES1M_EEDaS1H_S1I_EUlS1H_E_NS1_11comp_targetILNS1_3genE5ELNS1_11target_archE942ELNS1_3gpuE9ELNS1_3repE0EEENS1_30default_config_static_selectorELNS0_4arch9wavefront6targetE0EEEvSV_
                                        ; -- End function
	.set _ZN7rocprim17ROCPRIM_400000_NS6detail17trampoline_kernelINS0_13select_configILj256ELj13ELNS0_17block_load_methodE3ELS4_3ELS4_3ELNS0_20block_scan_algorithmE0ELj4294967295EEENS1_25partition_config_selectorILNS1_17partition_subalgoE3EjNS0_10empty_typeEbEEZZNS1_14partition_implILS8_3ELb0ES6_jNS0_17counting_iteratorIjlEEPS9_SE_NS0_5tupleIJPjSE_EEENSF_IJSE_SE_EEES9_SG_JZNS1_25segmented_radix_sort_implINS0_14default_configELb1EPKlPlSM_SN_N2at6native12_GLOBAL__N_18offset_tEEE10hipError_tPvRmT1_PNSt15iterator_traitsISV_E10value_typeET2_T3_PNSW_IS11_E10value_typeET4_jRbjT5_S17_jjP12ihipStream_tbEUljE_EEESS_ST_SU_S11_S15_S17_T6_T7_T9_mT8_S19_bDpT10_ENKUlT_T0_E_clISt17integral_constantIbLb0EES1M_EEDaS1H_S1I_EUlS1H_E_NS1_11comp_targetILNS1_3genE5ELNS1_11target_archE942ELNS1_3gpuE9ELNS1_3repE0EEENS1_30default_config_static_selectorELNS0_4arch9wavefront6targetE0EEEvSV_.num_vgpr, 0
	.set _ZN7rocprim17ROCPRIM_400000_NS6detail17trampoline_kernelINS0_13select_configILj256ELj13ELNS0_17block_load_methodE3ELS4_3ELS4_3ELNS0_20block_scan_algorithmE0ELj4294967295EEENS1_25partition_config_selectorILNS1_17partition_subalgoE3EjNS0_10empty_typeEbEEZZNS1_14partition_implILS8_3ELb0ES6_jNS0_17counting_iteratorIjlEEPS9_SE_NS0_5tupleIJPjSE_EEENSF_IJSE_SE_EEES9_SG_JZNS1_25segmented_radix_sort_implINS0_14default_configELb1EPKlPlSM_SN_N2at6native12_GLOBAL__N_18offset_tEEE10hipError_tPvRmT1_PNSt15iterator_traitsISV_E10value_typeET2_T3_PNSW_IS11_E10value_typeET4_jRbjT5_S17_jjP12ihipStream_tbEUljE_EEESS_ST_SU_S11_S15_S17_T6_T7_T9_mT8_S19_bDpT10_ENKUlT_T0_E_clISt17integral_constantIbLb0EES1M_EEDaS1H_S1I_EUlS1H_E_NS1_11comp_targetILNS1_3genE5ELNS1_11target_archE942ELNS1_3gpuE9ELNS1_3repE0EEENS1_30default_config_static_selectorELNS0_4arch9wavefront6targetE0EEEvSV_.num_agpr, 0
	.set _ZN7rocprim17ROCPRIM_400000_NS6detail17trampoline_kernelINS0_13select_configILj256ELj13ELNS0_17block_load_methodE3ELS4_3ELS4_3ELNS0_20block_scan_algorithmE0ELj4294967295EEENS1_25partition_config_selectorILNS1_17partition_subalgoE3EjNS0_10empty_typeEbEEZZNS1_14partition_implILS8_3ELb0ES6_jNS0_17counting_iteratorIjlEEPS9_SE_NS0_5tupleIJPjSE_EEENSF_IJSE_SE_EEES9_SG_JZNS1_25segmented_radix_sort_implINS0_14default_configELb1EPKlPlSM_SN_N2at6native12_GLOBAL__N_18offset_tEEE10hipError_tPvRmT1_PNSt15iterator_traitsISV_E10value_typeET2_T3_PNSW_IS11_E10value_typeET4_jRbjT5_S17_jjP12ihipStream_tbEUljE_EEESS_ST_SU_S11_S15_S17_T6_T7_T9_mT8_S19_bDpT10_ENKUlT_T0_E_clISt17integral_constantIbLb0EES1M_EEDaS1H_S1I_EUlS1H_E_NS1_11comp_targetILNS1_3genE5ELNS1_11target_archE942ELNS1_3gpuE9ELNS1_3repE0EEENS1_30default_config_static_selectorELNS0_4arch9wavefront6targetE0EEEvSV_.numbered_sgpr, 0
	.set _ZN7rocprim17ROCPRIM_400000_NS6detail17trampoline_kernelINS0_13select_configILj256ELj13ELNS0_17block_load_methodE3ELS4_3ELS4_3ELNS0_20block_scan_algorithmE0ELj4294967295EEENS1_25partition_config_selectorILNS1_17partition_subalgoE3EjNS0_10empty_typeEbEEZZNS1_14partition_implILS8_3ELb0ES6_jNS0_17counting_iteratorIjlEEPS9_SE_NS0_5tupleIJPjSE_EEENSF_IJSE_SE_EEES9_SG_JZNS1_25segmented_radix_sort_implINS0_14default_configELb1EPKlPlSM_SN_N2at6native12_GLOBAL__N_18offset_tEEE10hipError_tPvRmT1_PNSt15iterator_traitsISV_E10value_typeET2_T3_PNSW_IS11_E10value_typeET4_jRbjT5_S17_jjP12ihipStream_tbEUljE_EEESS_ST_SU_S11_S15_S17_T6_T7_T9_mT8_S19_bDpT10_ENKUlT_T0_E_clISt17integral_constantIbLb0EES1M_EEDaS1H_S1I_EUlS1H_E_NS1_11comp_targetILNS1_3genE5ELNS1_11target_archE942ELNS1_3gpuE9ELNS1_3repE0EEENS1_30default_config_static_selectorELNS0_4arch9wavefront6targetE0EEEvSV_.num_named_barrier, 0
	.set _ZN7rocprim17ROCPRIM_400000_NS6detail17trampoline_kernelINS0_13select_configILj256ELj13ELNS0_17block_load_methodE3ELS4_3ELS4_3ELNS0_20block_scan_algorithmE0ELj4294967295EEENS1_25partition_config_selectorILNS1_17partition_subalgoE3EjNS0_10empty_typeEbEEZZNS1_14partition_implILS8_3ELb0ES6_jNS0_17counting_iteratorIjlEEPS9_SE_NS0_5tupleIJPjSE_EEENSF_IJSE_SE_EEES9_SG_JZNS1_25segmented_radix_sort_implINS0_14default_configELb1EPKlPlSM_SN_N2at6native12_GLOBAL__N_18offset_tEEE10hipError_tPvRmT1_PNSt15iterator_traitsISV_E10value_typeET2_T3_PNSW_IS11_E10value_typeET4_jRbjT5_S17_jjP12ihipStream_tbEUljE_EEESS_ST_SU_S11_S15_S17_T6_T7_T9_mT8_S19_bDpT10_ENKUlT_T0_E_clISt17integral_constantIbLb0EES1M_EEDaS1H_S1I_EUlS1H_E_NS1_11comp_targetILNS1_3genE5ELNS1_11target_archE942ELNS1_3gpuE9ELNS1_3repE0EEENS1_30default_config_static_selectorELNS0_4arch9wavefront6targetE0EEEvSV_.private_seg_size, 0
	.set _ZN7rocprim17ROCPRIM_400000_NS6detail17trampoline_kernelINS0_13select_configILj256ELj13ELNS0_17block_load_methodE3ELS4_3ELS4_3ELNS0_20block_scan_algorithmE0ELj4294967295EEENS1_25partition_config_selectorILNS1_17partition_subalgoE3EjNS0_10empty_typeEbEEZZNS1_14partition_implILS8_3ELb0ES6_jNS0_17counting_iteratorIjlEEPS9_SE_NS0_5tupleIJPjSE_EEENSF_IJSE_SE_EEES9_SG_JZNS1_25segmented_radix_sort_implINS0_14default_configELb1EPKlPlSM_SN_N2at6native12_GLOBAL__N_18offset_tEEE10hipError_tPvRmT1_PNSt15iterator_traitsISV_E10value_typeET2_T3_PNSW_IS11_E10value_typeET4_jRbjT5_S17_jjP12ihipStream_tbEUljE_EEESS_ST_SU_S11_S15_S17_T6_T7_T9_mT8_S19_bDpT10_ENKUlT_T0_E_clISt17integral_constantIbLb0EES1M_EEDaS1H_S1I_EUlS1H_E_NS1_11comp_targetILNS1_3genE5ELNS1_11target_archE942ELNS1_3gpuE9ELNS1_3repE0EEENS1_30default_config_static_selectorELNS0_4arch9wavefront6targetE0EEEvSV_.uses_vcc, 0
	.set _ZN7rocprim17ROCPRIM_400000_NS6detail17trampoline_kernelINS0_13select_configILj256ELj13ELNS0_17block_load_methodE3ELS4_3ELS4_3ELNS0_20block_scan_algorithmE0ELj4294967295EEENS1_25partition_config_selectorILNS1_17partition_subalgoE3EjNS0_10empty_typeEbEEZZNS1_14partition_implILS8_3ELb0ES6_jNS0_17counting_iteratorIjlEEPS9_SE_NS0_5tupleIJPjSE_EEENSF_IJSE_SE_EEES9_SG_JZNS1_25segmented_radix_sort_implINS0_14default_configELb1EPKlPlSM_SN_N2at6native12_GLOBAL__N_18offset_tEEE10hipError_tPvRmT1_PNSt15iterator_traitsISV_E10value_typeET2_T3_PNSW_IS11_E10value_typeET4_jRbjT5_S17_jjP12ihipStream_tbEUljE_EEESS_ST_SU_S11_S15_S17_T6_T7_T9_mT8_S19_bDpT10_ENKUlT_T0_E_clISt17integral_constantIbLb0EES1M_EEDaS1H_S1I_EUlS1H_E_NS1_11comp_targetILNS1_3genE5ELNS1_11target_archE942ELNS1_3gpuE9ELNS1_3repE0EEENS1_30default_config_static_selectorELNS0_4arch9wavefront6targetE0EEEvSV_.uses_flat_scratch, 0
	.set _ZN7rocprim17ROCPRIM_400000_NS6detail17trampoline_kernelINS0_13select_configILj256ELj13ELNS0_17block_load_methodE3ELS4_3ELS4_3ELNS0_20block_scan_algorithmE0ELj4294967295EEENS1_25partition_config_selectorILNS1_17partition_subalgoE3EjNS0_10empty_typeEbEEZZNS1_14partition_implILS8_3ELb0ES6_jNS0_17counting_iteratorIjlEEPS9_SE_NS0_5tupleIJPjSE_EEENSF_IJSE_SE_EEES9_SG_JZNS1_25segmented_radix_sort_implINS0_14default_configELb1EPKlPlSM_SN_N2at6native12_GLOBAL__N_18offset_tEEE10hipError_tPvRmT1_PNSt15iterator_traitsISV_E10value_typeET2_T3_PNSW_IS11_E10value_typeET4_jRbjT5_S17_jjP12ihipStream_tbEUljE_EEESS_ST_SU_S11_S15_S17_T6_T7_T9_mT8_S19_bDpT10_ENKUlT_T0_E_clISt17integral_constantIbLb0EES1M_EEDaS1H_S1I_EUlS1H_E_NS1_11comp_targetILNS1_3genE5ELNS1_11target_archE942ELNS1_3gpuE9ELNS1_3repE0EEENS1_30default_config_static_selectorELNS0_4arch9wavefront6targetE0EEEvSV_.has_dyn_sized_stack, 0
	.set _ZN7rocprim17ROCPRIM_400000_NS6detail17trampoline_kernelINS0_13select_configILj256ELj13ELNS0_17block_load_methodE3ELS4_3ELS4_3ELNS0_20block_scan_algorithmE0ELj4294967295EEENS1_25partition_config_selectorILNS1_17partition_subalgoE3EjNS0_10empty_typeEbEEZZNS1_14partition_implILS8_3ELb0ES6_jNS0_17counting_iteratorIjlEEPS9_SE_NS0_5tupleIJPjSE_EEENSF_IJSE_SE_EEES9_SG_JZNS1_25segmented_radix_sort_implINS0_14default_configELb1EPKlPlSM_SN_N2at6native12_GLOBAL__N_18offset_tEEE10hipError_tPvRmT1_PNSt15iterator_traitsISV_E10value_typeET2_T3_PNSW_IS11_E10value_typeET4_jRbjT5_S17_jjP12ihipStream_tbEUljE_EEESS_ST_SU_S11_S15_S17_T6_T7_T9_mT8_S19_bDpT10_ENKUlT_T0_E_clISt17integral_constantIbLb0EES1M_EEDaS1H_S1I_EUlS1H_E_NS1_11comp_targetILNS1_3genE5ELNS1_11target_archE942ELNS1_3gpuE9ELNS1_3repE0EEENS1_30default_config_static_selectorELNS0_4arch9wavefront6targetE0EEEvSV_.has_recursion, 0
	.set _ZN7rocprim17ROCPRIM_400000_NS6detail17trampoline_kernelINS0_13select_configILj256ELj13ELNS0_17block_load_methodE3ELS4_3ELS4_3ELNS0_20block_scan_algorithmE0ELj4294967295EEENS1_25partition_config_selectorILNS1_17partition_subalgoE3EjNS0_10empty_typeEbEEZZNS1_14partition_implILS8_3ELb0ES6_jNS0_17counting_iteratorIjlEEPS9_SE_NS0_5tupleIJPjSE_EEENSF_IJSE_SE_EEES9_SG_JZNS1_25segmented_radix_sort_implINS0_14default_configELb1EPKlPlSM_SN_N2at6native12_GLOBAL__N_18offset_tEEE10hipError_tPvRmT1_PNSt15iterator_traitsISV_E10value_typeET2_T3_PNSW_IS11_E10value_typeET4_jRbjT5_S17_jjP12ihipStream_tbEUljE_EEESS_ST_SU_S11_S15_S17_T6_T7_T9_mT8_S19_bDpT10_ENKUlT_T0_E_clISt17integral_constantIbLb0EES1M_EEDaS1H_S1I_EUlS1H_E_NS1_11comp_targetILNS1_3genE5ELNS1_11target_archE942ELNS1_3gpuE9ELNS1_3repE0EEENS1_30default_config_static_selectorELNS0_4arch9wavefront6targetE0EEEvSV_.has_indirect_call, 0
	.section	.AMDGPU.csdata,"",@progbits
; Kernel info:
; codeLenInByte = 0
; TotalNumSgprs: 0
; NumVgprs: 0
; ScratchSize: 0
; MemoryBound: 0
; FloatMode: 240
; IeeeMode: 1
; LDSByteSize: 0 bytes/workgroup (compile time only)
; SGPRBlocks: 0
; VGPRBlocks: 0
; NumSGPRsForWavesPerEU: 1
; NumVGPRsForWavesPerEU: 1
; Occupancy: 16
; WaveLimiterHint : 0
; COMPUTE_PGM_RSRC2:SCRATCH_EN: 0
; COMPUTE_PGM_RSRC2:USER_SGPR: 2
; COMPUTE_PGM_RSRC2:TRAP_HANDLER: 0
; COMPUTE_PGM_RSRC2:TGID_X_EN: 1
; COMPUTE_PGM_RSRC2:TGID_Y_EN: 0
; COMPUTE_PGM_RSRC2:TGID_Z_EN: 0
; COMPUTE_PGM_RSRC2:TIDIG_COMP_CNT: 0
	.section	.text._ZN7rocprim17ROCPRIM_400000_NS6detail17trampoline_kernelINS0_13select_configILj256ELj13ELNS0_17block_load_methodE3ELS4_3ELS4_3ELNS0_20block_scan_algorithmE0ELj4294967295EEENS1_25partition_config_selectorILNS1_17partition_subalgoE3EjNS0_10empty_typeEbEEZZNS1_14partition_implILS8_3ELb0ES6_jNS0_17counting_iteratorIjlEEPS9_SE_NS0_5tupleIJPjSE_EEENSF_IJSE_SE_EEES9_SG_JZNS1_25segmented_radix_sort_implINS0_14default_configELb1EPKlPlSM_SN_N2at6native12_GLOBAL__N_18offset_tEEE10hipError_tPvRmT1_PNSt15iterator_traitsISV_E10value_typeET2_T3_PNSW_IS11_E10value_typeET4_jRbjT5_S17_jjP12ihipStream_tbEUljE_EEESS_ST_SU_S11_S15_S17_T6_T7_T9_mT8_S19_bDpT10_ENKUlT_T0_E_clISt17integral_constantIbLb0EES1M_EEDaS1H_S1I_EUlS1H_E_NS1_11comp_targetILNS1_3genE4ELNS1_11target_archE910ELNS1_3gpuE8ELNS1_3repE0EEENS1_30default_config_static_selectorELNS0_4arch9wavefront6targetE0EEEvSV_,"axG",@progbits,_ZN7rocprim17ROCPRIM_400000_NS6detail17trampoline_kernelINS0_13select_configILj256ELj13ELNS0_17block_load_methodE3ELS4_3ELS4_3ELNS0_20block_scan_algorithmE0ELj4294967295EEENS1_25partition_config_selectorILNS1_17partition_subalgoE3EjNS0_10empty_typeEbEEZZNS1_14partition_implILS8_3ELb0ES6_jNS0_17counting_iteratorIjlEEPS9_SE_NS0_5tupleIJPjSE_EEENSF_IJSE_SE_EEES9_SG_JZNS1_25segmented_radix_sort_implINS0_14default_configELb1EPKlPlSM_SN_N2at6native12_GLOBAL__N_18offset_tEEE10hipError_tPvRmT1_PNSt15iterator_traitsISV_E10value_typeET2_T3_PNSW_IS11_E10value_typeET4_jRbjT5_S17_jjP12ihipStream_tbEUljE_EEESS_ST_SU_S11_S15_S17_T6_T7_T9_mT8_S19_bDpT10_ENKUlT_T0_E_clISt17integral_constantIbLb0EES1M_EEDaS1H_S1I_EUlS1H_E_NS1_11comp_targetILNS1_3genE4ELNS1_11target_archE910ELNS1_3gpuE8ELNS1_3repE0EEENS1_30default_config_static_selectorELNS0_4arch9wavefront6targetE0EEEvSV_,comdat
	.globl	_ZN7rocprim17ROCPRIM_400000_NS6detail17trampoline_kernelINS0_13select_configILj256ELj13ELNS0_17block_load_methodE3ELS4_3ELS4_3ELNS0_20block_scan_algorithmE0ELj4294967295EEENS1_25partition_config_selectorILNS1_17partition_subalgoE3EjNS0_10empty_typeEbEEZZNS1_14partition_implILS8_3ELb0ES6_jNS0_17counting_iteratorIjlEEPS9_SE_NS0_5tupleIJPjSE_EEENSF_IJSE_SE_EEES9_SG_JZNS1_25segmented_radix_sort_implINS0_14default_configELb1EPKlPlSM_SN_N2at6native12_GLOBAL__N_18offset_tEEE10hipError_tPvRmT1_PNSt15iterator_traitsISV_E10value_typeET2_T3_PNSW_IS11_E10value_typeET4_jRbjT5_S17_jjP12ihipStream_tbEUljE_EEESS_ST_SU_S11_S15_S17_T6_T7_T9_mT8_S19_bDpT10_ENKUlT_T0_E_clISt17integral_constantIbLb0EES1M_EEDaS1H_S1I_EUlS1H_E_NS1_11comp_targetILNS1_3genE4ELNS1_11target_archE910ELNS1_3gpuE8ELNS1_3repE0EEENS1_30default_config_static_selectorELNS0_4arch9wavefront6targetE0EEEvSV_ ; -- Begin function _ZN7rocprim17ROCPRIM_400000_NS6detail17trampoline_kernelINS0_13select_configILj256ELj13ELNS0_17block_load_methodE3ELS4_3ELS4_3ELNS0_20block_scan_algorithmE0ELj4294967295EEENS1_25partition_config_selectorILNS1_17partition_subalgoE3EjNS0_10empty_typeEbEEZZNS1_14partition_implILS8_3ELb0ES6_jNS0_17counting_iteratorIjlEEPS9_SE_NS0_5tupleIJPjSE_EEENSF_IJSE_SE_EEES9_SG_JZNS1_25segmented_radix_sort_implINS0_14default_configELb1EPKlPlSM_SN_N2at6native12_GLOBAL__N_18offset_tEEE10hipError_tPvRmT1_PNSt15iterator_traitsISV_E10value_typeET2_T3_PNSW_IS11_E10value_typeET4_jRbjT5_S17_jjP12ihipStream_tbEUljE_EEESS_ST_SU_S11_S15_S17_T6_T7_T9_mT8_S19_bDpT10_ENKUlT_T0_E_clISt17integral_constantIbLb0EES1M_EEDaS1H_S1I_EUlS1H_E_NS1_11comp_targetILNS1_3genE4ELNS1_11target_archE910ELNS1_3gpuE8ELNS1_3repE0EEENS1_30default_config_static_selectorELNS0_4arch9wavefront6targetE0EEEvSV_
	.p2align	8
	.type	_ZN7rocprim17ROCPRIM_400000_NS6detail17trampoline_kernelINS0_13select_configILj256ELj13ELNS0_17block_load_methodE3ELS4_3ELS4_3ELNS0_20block_scan_algorithmE0ELj4294967295EEENS1_25partition_config_selectorILNS1_17partition_subalgoE3EjNS0_10empty_typeEbEEZZNS1_14partition_implILS8_3ELb0ES6_jNS0_17counting_iteratorIjlEEPS9_SE_NS0_5tupleIJPjSE_EEENSF_IJSE_SE_EEES9_SG_JZNS1_25segmented_radix_sort_implINS0_14default_configELb1EPKlPlSM_SN_N2at6native12_GLOBAL__N_18offset_tEEE10hipError_tPvRmT1_PNSt15iterator_traitsISV_E10value_typeET2_T3_PNSW_IS11_E10value_typeET4_jRbjT5_S17_jjP12ihipStream_tbEUljE_EEESS_ST_SU_S11_S15_S17_T6_T7_T9_mT8_S19_bDpT10_ENKUlT_T0_E_clISt17integral_constantIbLb0EES1M_EEDaS1H_S1I_EUlS1H_E_NS1_11comp_targetILNS1_3genE4ELNS1_11target_archE910ELNS1_3gpuE8ELNS1_3repE0EEENS1_30default_config_static_selectorELNS0_4arch9wavefront6targetE0EEEvSV_,@function
_ZN7rocprim17ROCPRIM_400000_NS6detail17trampoline_kernelINS0_13select_configILj256ELj13ELNS0_17block_load_methodE3ELS4_3ELS4_3ELNS0_20block_scan_algorithmE0ELj4294967295EEENS1_25partition_config_selectorILNS1_17partition_subalgoE3EjNS0_10empty_typeEbEEZZNS1_14partition_implILS8_3ELb0ES6_jNS0_17counting_iteratorIjlEEPS9_SE_NS0_5tupleIJPjSE_EEENSF_IJSE_SE_EEES9_SG_JZNS1_25segmented_radix_sort_implINS0_14default_configELb1EPKlPlSM_SN_N2at6native12_GLOBAL__N_18offset_tEEE10hipError_tPvRmT1_PNSt15iterator_traitsISV_E10value_typeET2_T3_PNSW_IS11_E10value_typeET4_jRbjT5_S17_jjP12ihipStream_tbEUljE_EEESS_ST_SU_S11_S15_S17_T6_T7_T9_mT8_S19_bDpT10_ENKUlT_T0_E_clISt17integral_constantIbLb0EES1M_EEDaS1H_S1I_EUlS1H_E_NS1_11comp_targetILNS1_3genE4ELNS1_11target_archE910ELNS1_3gpuE8ELNS1_3repE0EEENS1_30default_config_static_selectorELNS0_4arch9wavefront6targetE0EEEvSV_: ; @_ZN7rocprim17ROCPRIM_400000_NS6detail17trampoline_kernelINS0_13select_configILj256ELj13ELNS0_17block_load_methodE3ELS4_3ELS4_3ELNS0_20block_scan_algorithmE0ELj4294967295EEENS1_25partition_config_selectorILNS1_17partition_subalgoE3EjNS0_10empty_typeEbEEZZNS1_14partition_implILS8_3ELb0ES6_jNS0_17counting_iteratorIjlEEPS9_SE_NS0_5tupleIJPjSE_EEENSF_IJSE_SE_EEES9_SG_JZNS1_25segmented_radix_sort_implINS0_14default_configELb1EPKlPlSM_SN_N2at6native12_GLOBAL__N_18offset_tEEE10hipError_tPvRmT1_PNSt15iterator_traitsISV_E10value_typeET2_T3_PNSW_IS11_E10value_typeET4_jRbjT5_S17_jjP12ihipStream_tbEUljE_EEESS_ST_SU_S11_S15_S17_T6_T7_T9_mT8_S19_bDpT10_ENKUlT_T0_E_clISt17integral_constantIbLb0EES1M_EEDaS1H_S1I_EUlS1H_E_NS1_11comp_targetILNS1_3genE4ELNS1_11target_archE910ELNS1_3gpuE8ELNS1_3repE0EEENS1_30default_config_static_selectorELNS0_4arch9wavefront6targetE0EEEvSV_
; %bb.0:
	.section	.rodata,"a",@progbits
	.p2align	6, 0x0
	.amdhsa_kernel _ZN7rocprim17ROCPRIM_400000_NS6detail17trampoline_kernelINS0_13select_configILj256ELj13ELNS0_17block_load_methodE3ELS4_3ELS4_3ELNS0_20block_scan_algorithmE0ELj4294967295EEENS1_25partition_config_selectorILNS1_17partition_subalgoE3EjNS0_10empty_typeEbEEZZNS1_14partition_implILS8_3ELb0ES6_jNS0_17counting_iteratorIjlEEPS9_SE_NS0_5tupleIJPjSE_EEENSF_IJSE_SE_EEES9_SG_JZNS1_25segmented_radix_sort_implINS0_14default_configELb1EPKlPlSM_SN_N2at6native12_GLOBAL__N_18offset_tEEE10hipError_tPvRmT1_PNSt15iterator_traitsISV_E10value_typeET2_T3_PNSW_IS11_E10value_typeET4_jRbjT5_S17_jjP12ihipStream_tbEUljE_EEESS_ST_SU_S11_S15_S17_T6_T7_T9_mT8_S19_bDpT10_ENKUlT_T0_E_clISt17integral_constantIbLb0EES1M_EEDaS1H_S1I_EUlS1H_E_NS1_11comp_targetILNS1_3genE4ELNS1_11target_archE910ELNS1_3gpuE8ELNS1_3repE0EEENS1_30default_config_static_selectorELNS0_4arch9wavefront6targetE0EEEvSV_
		.amdhsa_group_segment_fixed_size 0
		.amdhsa_private_segment_fixed_size 0
		.amdhsa_kernarg_size 144
		.amdhsa_user_sgpr_count 2
		.amdhsa_user_sgpr_dispatch_ptr 0
		.amdhsa_user_sgpr_queue_ptr 0
		.amdhsa_user_sgpr_kernarg_segment_ptr 1
		.amdhsa_user_sgpr_dispatch_id 0
		.amdhsa_user_sgpr_private_segment_size 0
		.amdhsa_wavefront_size32 1
		.amdhsa_uses_dynamic_stack 0
		.amdhsa_enable_private_segment 0
		.amdhsa_system_sgpr_workgroup_id_x 1
		.amdhsa_system_sgpr_workgroup_id_y 0
		.amdhsa_system_sgpr_workgroup_id_z 0
		.amdhsa_system_sgpr_workgroup_info 0
		.amdhsa_system_vgpr_workitem_id 0
		.amdhsa_next_free_vgpr 1
		.amdhsa_next_free_sgpr 1
		.amdhsa_reserve_vcc 0
		.amdhsa_float_round_mode_32 0
		.amdhsa_float_round_mode_16_64 0
		.amdhsa_float_denorm_mode_32 3
		.amdhsa_float_denorm_mode_16_64 3
		.amdhsa_fp16_overflow 0
		.amdhsa_workgroup_processor_mode 1
		.amdhsa_memory_ordered 1
		.amdhsa_forward_progress 1
		.amdhsa_inst_pref_size 0
		.amdhsa_round_robin_scheduling 0
		.amdhsa_exception_fp_ieee_invalid_op 0
		.amdhsa_exception_fp_denorm_src 0
		.amdhsa_exception_fp_ieee_div_zero 0
		.amdhsa_exception_fp_ieee_overflow 0
		.amdhsa_exception_fp_ieee_underflow 0
		.amdhsa_exception_fp_ieee_inexact 0
		.amdhsa_exception_int_div_zero 0
	.end_amdhsa_kernel
	.section	.text._ZN7rocprim17ROCPRIM_400000_NS6detail17trampoline_kernelINS0_13select_configILj256ELj13ELNS0_17block_load_methodE3ELS4_3ELS4_3ELNS0_20block_scan_algorithmE0ELj4294967295EEENS1_25partition_config_selectorILNS1_17partition_subalgoE3EjNS0_10empty_typeEbEEZZNS1_14partition_implILS8_3ELb0ES6_jNS0_17counting_iteratorIjlEEPS9_SE_NS0_5tupleIJPjSE_EEENSF_IJSE_SE_EEES9_SG_JZNS1_25segmented_radix_sort_implINS0_14default_configELb1EPKlPlSM_SN_N2at6native12_GLOBAL__N_18offset_tEEE10hipError_tPvRmT1_PNSt15iterator_traitsISV_E10value_typeET2_T3_PNSW_IS11_E10value_typeET4_jRbjT5_S17_jjP12ihipStream_tbEUljE_EEESS_ST_SU_S11_S15_S17_T6_T7_T9_mT8_S19_bDpT10_ENKUlT_T0_E_clISt17integral_constantIbLb0EES1M_EEDaS1H_S1I_EUlS1H_E_NS1_11comp_targetILNS1_3genE4ELNS1_11target_archE910ELNS1_3gpuE8ELNS1_3repE0EEENS1_30default_config_static_selectorELNS0_4arch9wavefront6targetE0EEEvSV_,"axG",@progbits,_ZN7rocprim17ROCPRIM_400000_NS6detail17trampoline_kernelINS0_13select_configILj256ELj13ELNS0_17block_load_methodE3ELS4_3ELS4_3ELNS0_20block_scan_algorithmE0ELj4294967295EEENS1_25partition_config_selectorILNS1_17partition_subalgoE3EjNS0_10empty_typeEbEEZZNS1_14partition_implILS8_3ELb0ES6_jNS0_17counting_iteratorIjlEEPS9_SE_NS0_5tupleIJPjSE_EEENSF_IJSE_SE_EEES9_SG_JZNS1_25segmented_radix_sort_implINS0_14default_configELb1EPKlPlSM_SN_N2at6native12_GLOBAL__N_18offset_tEEE10hipError_tPvRmT1_PNSt15iterator_traitsISV_E10value_typeET2_T3_PNSW_IS11_E10value_typeET4_jRbjT5_S17_jjP12ihipStream_tbEUljE_EEESS_ST_SU_S11_S15_S17_T6_T7_T9_mT8_S19_bDpT10_ENKUlT_T0_E_clISt17integral_constantIbLb0EES1M_EEDaS1H_S1I_EUlS1H_E_NS1_11comp_targetILNS1_3genE4ELNS1_11target_archE910ELNS1_3gpuE8ELNS1_3repE0EEENS1_30default_config_static_selectorELNS0_4arch9wavefront6targetE0EEEvSV_,comdat
.Lfunc_end674:
	.size	_ZN7rocprim17ROCPRIM_400000_NS6detail17trampoline_kernelINS0_13select_configILj256ELj13ELNS0_17block_load_methodE3ELS4_3ELS4_3ELNS0_20block_scan_algorithmE0ELj4294967295EEENS1_25partition_config_selectorILNS1_17partition_subalgoE3EjNS0_10empty_typeEbEEZZNS1_14partition_implILS8_3ELb0ES6_jNS0_17counting_iteratorIjlEEPS9_SE_NS0_5tupleIJPjSE_EEENSF_IJSE_SE_EEES9_SG_JZNS1_25segmented_radix_sort_implINS0_14default_configELb1EPKlPlSM_SN_N2at6native12_GLOBAL__N_18offset_tEEE10hipError_tPvRmT1_PNSt15iterator_traitsISV_E10value_typeET2_T3_PNSW_IS11_E10value_typeET4_jRbjT5_S17_jjP12ihipStream_tbEUljE_EEESS_ST_SU_S11_S15_S17_T6_T7_T9_mT8_S19_bDpT10_ENKUlT_T0_E_clISt17integral_constantIbLb0EES1M_EEDaS1H_S1I_EUlS1H_E_NS1_11comp_targetILNS1_3genE4ELNS1_11target_archE910ELNS1_3gpuE8ELNS1_3repE0EEENS1_30default_config_static_selectorELNS0_4arch9wavefront6targetE0EEEvSV_, .Lfunc_end674-_ZN7rocprim17ROCPRIM_400000_NS6detail17trampoline_kernelINS0_13select_configILj256ELj13ELNS0_17block_load_methodE3ELS4_3ELS4_3ELNS0_20block_scan_algorithmE0ELj4294967295EEENS1_25partition_config_selectorILNS1_17partition_subalgoE3EjNS0_10empty_typeEbEEZZNS1_14partition_implILS8_3ELb0ES6_jNS0_17counting_iteratorIjlEEPS9_SE_NS0_5tupleIJPjSE_EEENSF_IJSE_SE_EEES9_SG_JZNS1_25segmented_radix_sort_implINS0_14default_configELb1EPKlPlSM_SN_N2at6native12_GLOBAL__N_18offset_tEEE10hipError_tPvRmT1_PNSt15iterator_traitsISV_E10value_typeET2_T3_PNSW_IS11_E10value_typeET4_jRbjT5_S17_jjP12ihipStream_tbEUljE_EEESS_ST_SU_S11_S15_S17_T6_T7_T9_mT8_S19_bDpT10_ENKUlT_T0_E_clISt17integral_constantIbLb0EES1M_EEDaS1H_S1I_EUlS1H_E_NS1_11comp_targetILNS1_3genE4ELNS1_11target_archE910ELNS1_3gpuE8ELNS1_3repE0EEENS1_30default_config_static_selectorELNS0_4arch9wavefront6targetE0EEEvSV_
                                        ; -- End function
	.set _ZN7rocprim17ROCPRIM_400000_NS6detail17trampoline_kernelINS0_13select_configILj256ELj13ELNS0_17block_load_methodE3ELS4_3ELS4_3ELNS0_20block_scan_algorithmE0ELj4294967295EEENS1_25partition_config_selectorILNS1_17partition_subalgoE3EjNS0_10empty_typeEbEEZZNS1_14partition_implILS8_3ELb0ES6_jNS0_17counting_iteratorIjlEEPS9_SE_NS0_5tupleIJPjSE_EEENSF_IJSE_SE_EEES9_SG_JZNS1_25segmented_radix_sort_implINS0_14default_configELb1EPKlPlSM_SN_N2at6native12_GLOBAL__N_18offset_tEEE10hipError_tPvRmT1_PNSt15iterator_traitsISV_E10value_typeET2_T3_PNSW_IS11_E10value_typeET4_jRbjT5_S17_jjP12ihipStream_tbEUljE_EEESS_ST_SU_S11_S15_S17_T6_T7_T9_mT8_S19_bDpT10_ENKUlT_T0_E_clISt17integral_constantIbLb0EES1M_EEDaS1H_S1I_EUlS1H_E_NS1_11comp_targetILNS1_3genE4ELNS1_11target_archE910ELNS1_3gpuE8ELNS1_3repE0EEENS1_30default_config_static_selectorELNS0_4arch9wavefront6targetE0EEEvSV_.num_vgpr, 0
	.set _ZN7rocprim17ROCPRIM_400000_NS6detail17trampoline_kernelINS0_13select_configILj256ELj13ELNS0_17block_load_methodE3ELS4_3ELS4_3ELNS0_20block_scan_algorithmE0ELj4294967295EEENS1_25partition_config_selectorILNS1_17partition_subalgoE3EjNS0_10empty_typeEbEEZZNS1_14partition_implILS8_3ELb0ES6_jNS0_17counting_iteratorIjlEEPS9_SE_NS0_5tupleIJPjSE_EEENSF_IJSE_SE_EEES9_SG_JZNS1_25segmented_radix_sort_implINS0_14default_configELb1EPKlPlSM_SN_N2at6native12_GLOBAL__N_18offset_tEEE10hipError_tPvRmT1_PNSt15iterator_traitsISV_E10value_typeET2_T3_PNSW_IS11_E10value_typeET4_jRbjT5_S17_jjP12ihipStream_tbEUljE_EEESS_ST_SU_S11_S15_S17_T6_T7_T9_mT8_S19_bDpT10_ENKUlT_T0_E_clISt17integral_constantIbLb0EES1M_EEDaS1H_S1I_EUlS1H_E_NS1_11comp_targetILNS1_3genE4ELNS1_11target_archE910ELNS1_3gpuE8ELNS1_3repE0EEENS1_30default_config_static_selectorELNS0_4arch9wavefront6targetE0EEEvSV_.num_agpr, 0
	.set _ZN7rocprim17ROCPRIM_400000_NS6detail17trampoline_kernelINS0_13select_configILj256ELj13ELNS0_17block_load_methodE3ELS4_3ELS4_3ELNS0_20block_scan_algorithmE0ELj4294967295EEENS1_25partition_config_selectorILNS1_17partition_subalgoE3EjNS0_10empty_typeEbEEZZNS1_14partition_implILS8_3ELb0ES6_jNS0_17counting_iteratorIjlEEPS9_SE_NS0_5tupleIJPjSE_EEENSF_IJSE_SE_EEES9_SG_JZNS1_25segmented_radix_sort_implINS0_14default_configELb1EPKlPlSM_SN_N2at6native12_GLOBAL__N_18offset_tEEE10hipError_tPvRmT1_PNSt15iterator_traitsISV_E10value_typeET2_T3_PNSW_IS11_E10value_typeET4_jRbjT5_S17_jjP12ihipStream_tbEUljE_EEESS_ST_SU_S11_S15_S17_T6_T7_T9_mT8_S19_bDpT10_ENKUlT_T0_E_clISt17integral_constantIbLb0EES1M_EEDaS1H_S1I_EUlS1H_E_NS1_11comp_targetILNS1_3genE4ELNS1_11target_archE910ELNS1_3gpuE8ELNS1_3repE0EEENS1_30default_config_static_selectorELNS0_4arch9wavefront6targetE0EEEvSV_.numbered_sgpr, 0
	.set _ZN7rocprim17ROCPRIM_400000_NS6detail17trampoline_kernelINS0_13select_configILj256ELj13ELNS0_17block_load_methodE3ELS4_3ELS4_3ELNS0_20block_scan_algorithmE0ELj4294967295EEENS1_25partition_config_selectorILNS1_17partition_subalgoE3EjNS0_10empty_typeEbEEZZNS1_14partition_implILS8_3ELb0ES6_jNS0_17counting_iteratorIjlEEPS9_SE_NS0_5tupleIJPjSE_EEENSF_IJSE_SE_EEES9_SG_JZNS1_25segmented_radix_sort_implINS0_14default_configELb1EPKlPlSM_SN_N2at6native12_GLOBAL__N_18offset_tEEE10hipError_tPvRmT1_PNSt15iterator_traitsISV_E10value_typeET2_T3_PNSW_IS11_E10value_typeET4_jRbjT5_S17_jjP12ihipStream_tbEUljE_EEESS_ST_SU_S11_S15_S17_T6_T7_T9_mT8_S19_bDpT10_ENKUlT_T0_E_clISt17integral_constantIbLb0EES1M_EEDaS1H_S1I_EUlS1H_E_NS1_11comp_targetILNS1_3genE4ELNS1_11target_archE910ELNS1_3gpuE8ELNS1_3repE0EEENS1_30default_config_static_selectorELNS0_4arch9wavefront6targetE0EEEvSV_.num_named_barrier, 0
	.set _ZN7rocprim17ROCPRIM_400000_NS6detail17trampoline_kernelINS0_13select_configILj256ELj13ELNS0_17block_load_methodE3ELS4_3ELS4_3ELNS0_20block_scan_algorithmE0ELj4294967295EEENS1_25partition_config_selectorILNS1_17partition_subalgoE3EjNS0_10empty_typeEbEEZZNS1_14partition_implILS8_3ELb0ES6_jNS0_17counting_iteratorIjlEEPS9_SE_NS0_5tupleIJPjSE_EEENSF_IJSE_SE_EEES9_SG_JZNS1_25segmented_radix_sort_implINS0_14default_configELb1EPKlPlSM_SN_N2at6native12_GLOBAL__N_18offset_tEEE10hipError_tPvRmT1_PNSt15iterator_traitsISV_E10value_typeET2_T3_PNSW_IS11_E10value_typeET4_jRbjT5_S17_jjP12ihipStream_tbEUljE_EEESS_ST_SU_S11_S15_S17_T6_T7_T9_mT8_S19_bDpT10_ENKUlT_T0_E_clISt17integral_constantIbLb0EES1M_EEDaS1H_S1I_EUlS1H_E_NS1_11comp_targetILNS1_3genE4ELNS1_11target_archE910ELNS1_3gpuE8ELNS1_3repE0EEENS1_30default_config_static_selectorELNS0_4arch9wavefront6targetE0EEEvSV_.private_seg_size, 0
	.set _ZN7rocprim17ROCPRIM_400000_NS6detail17trampoline_kernelINS0_13select_configILj256ELj13ELNS0_17block_load_methodE3ELS4_3ELS4_3ELNS0_20block_scan_algorithmE0ELj4294967295EEENS1_25partition_config_selectorILNS1_17partition_subalgoE3EjNS0_10empty_typeEbEEZZNS1_14partition_implILS8_3ELb0ES6_jNS0_17counting_iteratorIjlEEPS9_SE_NS0_5tupleIJPjSE_EEENSF_IJSE_SE_EEES9_SG_JZNS1_25segmented_radix_sort_implINS0_14default_configELb1EPKlPlSM_SN_N2at6native12_GLOBAL__N_18offset_tEEE10hipError_tPvRmT1_PNSt15iterator_traitsISV_E10value_typeET2_T3_PNSW_IS11_E10value_typeET4_jRbjT5_S17_jjP12ihipStream_tbEUljE_EEESS_ST_SU_S11_S15_S17_T6_T7_T9_mT8_S19_bDpT10_ENKUlT_T0_E_clISt17integral_constantIbLb0EES1M_EEDaS1H_S1I_EUlS1H_E_NS1_11comp_targetILNS1_3genE4ELNS1_11target_archE910ELNS1_3gpuE8ELNS1_3repE0EEENS1_30default_config_static_selectorELNS0_4arch9wavefront6targetE0EEEvSV_.uses_vcc, 0
	.set _ZN7rocprim17ROCPRIM_400000_NS6detail17trampoline_kernelINS0_13select_configILj256ELj13ELNS0_17block_load_methodE3ELS4_3ELS4_3ELNS0_20block_scan_algorithmE0ELj4294967295EEENS1_25partition_config_selectorILNS1_17partition_subalgoE3EjNS0_10empty_typeEbEEZZNS1_14partition_implILS8_3ELb0ES6_jNS0_17counting_iteratorIjlEEPS9_SE_NS0_5tupleIJPjSE_EEENSF_IJSE_SE_EEES9_SG_JZNS1_25segmented_radix_sort_implINS0_14default_configELb1EPKlPlSM_SN_N2at6native12_GLOBAL__N_18offset_tEEE10hipError_tPvRmT1_PNSt15iterator_traitsISV_E10value_typeET2_T3_PNSW_IS11_E10value_typeET4_jRbjT5_S17_jjP12ihipStream_tbEUljE_EEESS_ST_SU_S11_S15_S17_T6_T7_T9_mT8_S19_bDpT10_ENKUlT_T0_E_clISt17integral_constantIbLb0EES1M_EEDaS1H_S1I_EUlS1H_E_NS1_11comp_targetILNS1_3genE4ELNS1_11target_archE910ELNS1_3gpuE8ELNS1_3repE0EEENS1_30default_config_static_selectorELNS0_4arch9wavefront6targetE0EEEvSV_.uses_flat_scratch, 0
	.set _ZN7rocprim17ROCPRIM_400000_NS6detail17trampoline_kernelINS0_13select_configILj256ELj13ELNS0_17block_load_methodE3ELS4_3ELS4_3ELNS0_20block_scan_algorithmE0ELj4294967295EEENS1_25partition_config_selectorILNS1_17partition_subalgoE3EjNS0_10empty_typeEbEEZZNS1_14partition_implILS8_3ELb0ES6_jNS0_17counting_iteratorIjlEEPS9_SE_NS0_5tupleIJPjSE_EEENSF_IJSE_SE_EEES9_SG_JZNS1_25segmented_radix_sort_implINS0_14default_configELb1EPKlPlSM_SN_N2at6native12_GLOBAL__N_18offset_tEEE10hipError_tPvRmT1_PNSt15iterator_traitsISV_E10value_typeET2_T3_PNSW_IS11_E10value_typeET4_jRbjT5_S17_jjP12ihipStream_tbEUljE_EEESS_ST_SU_S11_S15_S17_T6_T7_T9_mT8_S19_bDpT10_ENKUlT_T0_E_clISt17integral_constantIbLb0EES1M_EEDaS1H_S1I_EUlS1H_E_NS1_11comp_targetILNS1_3genE4ELNS1_11target_archE910ELNS1_3gpuE8ELNS1_3repE0EEENS1_30default_config_static_selectorELNS0_4arch9wavefront6targetE0EEEvSV_.has_dyn_sized_stack, 0
	.set _ZN7rocprim17ROCPRIM_400000_NS6detail17trampoline_kernelINS0_13select_configILj256ELj13ELNS0_17block_load_methodE3ELS4_3ELS4_3ELNS0_20block_scan_algorithmE0ELj4294967295EEENS1_25partition_config_selectorILNS1_17partition_subalgoE3EjNS0_10empty_typeEbEEZZNS1_14partition_implILS8_3ELb0ES6_jNS0_17counting_iteratorIjlEEPS9_SE_NS0_5tupleIJPjSE_EEENSF_IJSE_SE_EEES9_SG_JZNS1_25segmented_radix_sort_implINS0_14default_configELb1EPKlPlSM_SN_N2at6native12_GLOBAL__N_18offset_tEEE10hipError_tPvRmT1_PNSt15iterator_traitsISV_E10value_typeET2_T3_PNSW_IS11_E10value_typeET4_jRbjT5_S17_jjP12ihipStream_tbEUljE_EEESS_ST_SU_S11_S15_S17_T6_T7_T9_mT8_S19_bDpT10_ENKUlT_T0_E_clISt17integral_constantIbLb0EES1M_EEDaS1H_S1I_EUlS1H_E_NS1_11comp_targetILNS1_3genE4ELNS1_11target_archE910ELNS1_3gpuE8ELNS1_3repE0EEENS1_30default_config_static_selectorELNS0_4arch9wavefront6targetE0EEEvSV_.has_recursion, 0
	.set _ZN7rocprim17ROCPRIM_400000_NS6detail17trampoline_kernelINS0_13select_configILj256ELj13ELNS0_17block_load_methodE3ELS4_3ELS4_3ELNS0_20block_scan_algorithmE0ELj4294967295EEENS1_25partition_config_selectorILNS1_17partition_subalgoE3EjNS0_10empty_typeEbEEZZNS1_14partition_implILS8_3ELb0ES6_jNS0_17counting_iteratorIjlEEPS9_SE_NS0_5tupleIJPjSE_EEENSF_IJSE_SE_EEES9_SG_JZNS1_25segmented_radix_sort_implINS0_14default_configELb1EPKlPlSM_SN_N2at6native12_GLOBAL__N_18offset_tEEE10hipError_tPvRmT1_PNSt15iterator_traitsISV_E10value_typeET2_T3_PNSW_IS11_E10value_typeET4_jRbjT5_S17_jjP12ihipStream_tbEUljE_EEESS_ST_SU_S11_S15_S17_T6_T7_T9_mT8_S19_bDpT10_ENKUlT_T0_E_clISt17integral_constantIbLb0EES1M_EEDaS1H_S1I_EUlS1H_E_NS1_11comp_targetILNS1_3genE4ELNS1_11target_archE910ELNS1_3gpuE8ELNS1_3repE0EEENS1_30default_config_static_selectorELNS0_4arch9wavefront6targetE0EEEvSV_.has_indirect_call, 0
	.section	.AMDGPU.csdata,"",@progbits
; Kernel info:
; codeLenInByte = 0
; TotalNumSgprs: 0
; NumVgprs: 0
; ScratchSize: 0
; MemoryBound: 0
; FloatMode: 240
; IeeeMode: 1
; LDSByteSize: 0 bytes/workgroup (compile time only)
; SGPRBlocks: 0
; VGPRBlocks: 0
; NumSGPRsForWavesPerEU: 1
; NumVGPRsForWavesPerEU: 1
; Occupancy: 16
; WaveLimiterHint : 0
; COMPUTE_PGM_RSRC2:SCRATCH_EN: 0
; COMPUTE_PGM_RSRC2:USER_SGPR: 2
; COMPUTE_PGM_RSRC2:TRAP_HANDLER: 0
; COMPUTE_PGM_RSRC2:TGID_X_EN: 1
; COMPUTE_PGM_RSRC2:TGID_Y_EN: 0
; COMPUTE_PGM_RSRC2:TGID_Z_EN: 0
; COMPUTE_PGM_RSRC2:TIDIG_COMP_CNT: 0
	.section	.text._ZN7rocprim17ROCPRIM_400000_NS6detail17trampoline_kernelINS0_13select_configILj256ELj13ELNS0_17block_load_methodE3ELS4_3ELS4_3ELNS0_20block_scan_algorithmE0ELj4294967295EEENS1_25partition_config_selectorILNS1_17partition_subalgoE3EjNS0_10empty_typeEbEEZZNS1_14partition_implILS8_3ELb0ES6_jNS0_17counting_iteratorIjlEEPS9_SE_NS0_5tupleIJPjSE_EEENSF_IJSE_SE_EEES9_SG_JZNS1_25segmented_radix_sort_implINS0_14default_configELb1EPKlPlSM_SN_N2at6native12_GLOBAL__N_18offset_tEEE10hipError_tPvRmT1_PNSt15iterator_traitsISV_E10value_typeET2_T3_PNSW_IS11_E10value_typeET4_jRbjT5_S17_jjP12ihipStream_tbEUljE_EEESS_ST_SU_S11_S15_S17_T6_T7_T9_mT8_S19_bDpT10_ENKUlT_T0_E_clISt17integral_constantIbLb0EES1M_EEDaS1H_S1I_EUlS1H_E_NS1_11comp_targetILNS1_3genE3ELNS1_11target_archE908ELNS1_3gpuE7ELNS1_3repE0EEENS1_30default_config_static_selectorELNS0_4arch9wavefront6targetE0EEEvSV_,"axG",@progbits,_ZN7rocprim17ROCPRIM_400000_NS6detail17trampoline_kernelINS0_13select_configILj256ELj13ELNS0_17block_load_methodE3ELS4_3ELS4_3ELNS0_20block_scan_algorithmE0ELj4294967295EEENS1_25partition_config_selectorILNS1_17partition_subalgoE3EjNS0_10empty_typeEbEEZZNS1_14partition_implILS8_3ELb0ES6_jNS0_17counting_iteratorIjlEEPS9_SE_NS0_5tupleIJPjSE_EEENSF_IJSE_SE_EEES9_SG_JZNS1_25segmented_radix_sort_implINS0_14default_configELb1EPKlPlSM_SN_N2at6native12_GLOBAL__N_18offset_tEEE10hipError_tPvRmT1_PNSt15iterator_traitsISV_E10value_typeET2_T3_PNSW_IS11_E10value_typeET4_jRbjT5_S17_jjP12ihipStream_tbEUljE_EEESS_ST_SU_S11_S15_S17_T6_T7_T9_mT8_S19_bDpT10_ENKUlT_T0_E_clISt17integral_constantIbLb0EES1M_EEDaS1H_S1I_EUlS1H_E_NS1_11comp_targetILNS1_3genE3ELNS1_11target_archE908ELNS1_3gpuE7ELNS1_3repE0EEENS1_30default_config_static_selectorELNS0_4arch9wavefront6targetE0EEEvSV_,comdat
	.globl	_ZN7rocprim17ROCPRIM_400000_NS6detail17trampoline_kernelINS0_13select_configILj256ELj13ELNS0_17block_load_methodE3ELS4_3ELS4_3ELNS0_20block_scan_algorithmE0ELj4294967295EEENS1_25partition_config_selectorILNS1_17partition_subalgoE3EjNS0_10empty_typeEbEEZZNS1_14partition_implILS8_3ELb0ES6_jNS0_17counting_iteratorIjlEEPS9_SE_NS0_5tupleIJPjSE_EEENSF_IJSE_SE_EEES9_SG_JZNS1_25segmented_radix_sort_implINS0_14default_configELb1EPKlPlSM_SN_N2at6native12_GLOBAL__N_18offset_tEEE10hipError_tPvRmT1_PNSt15iterator_traitsISV_E10value_typeET2_T3_PNSW_IS11_E10value_typeET4_jRbjT5_S17_jjP12ihipStream_tbEUljE_EEESS_ST_SU_S11_S15_S17_T6_T7_T9_mT8_S19_bDpT10_ENKUlT_T0_E_clISt17integral_constantIbLb0EES1M_EEDaS1H_S1I_EUlS1H_E_NS1_11comp_targetILNS1_3genE3ELNS1_11target_archE908ELNS1_3gpuE7ELNS1_3repE0EEENS1_30default_config_static_selectorELNS0_4arch9wavefront6targetE0EEEvSV_ ; -- Begin function _ZN7rocprim17ROCPRIM_400000_NS6detail17trampoline_kernelINS0_13select_configILj256ELj13ELNS0_17block_load_methodE3ELS4_3ELS4_3ELNS0_20block_scan_algorithmE0ELj4294967295EEENS1_25partition_config_selectorILNS1_17partition_subalgoE3EjNS0_10empty_typeEbEEZZNS1_14partition_implILS8_3ELb0ES6_jNS0_17counting_iteratorIjlEEPS9_SE_NS0_5tupleIJPjSE_EEENSF_IJSE_SE_EEES9_SG_JZNS1_25segmented_radix_sort_implINS0_14default_configELb1EPKlPlSM_SN_N2at6native12_GLOBAL__N_18offset_tEEE10hipError_tPvRmT1_PNSt15iterator_traitsISV_E10value_typeET2_T3_PNSW_IS11_E10value_typeET4_jRbjT5_S17_jjP12ihipStream_tbEUljE_EEESS_ST_SU_S11_S15_S17_T6_T7_T9_mT8_S19_bDpT10_ENKUlT_T0_E_clISt17integral_constantIbLb0EES1M_EEDaS1H_S1I_EUlS1H_E_NS1_11comp_targetILNS1_3genE3ELNS1_11target_archE908ELNS1_3gpuE7ELNS1_3repE0EEENS1_30default_config_static_selectorELNS0_4arch9wavefront6targetE0EEEvSV_
	.p2align	8
	.type	_ZN7rocprim17ROCPRIM_400000_NS6detail17trampoline_kernelINS0_13select_configILj256ELj13ELNS0_17block_load_methodE3ELS4_3ELS4_3ELNS0_20block_scan_algorithmE0ELj4294967295EEENS1_25partition_config_selectorILNS1_17partition_subalgoE3EjNS0_10empty_typeEbEEZZNS1_14partition_implILS8_3ELb0ES6_jNS0_17counting_iteratorIjlEEPS9_SE_NS0_5tupleIJPjSE_EEENSF_IJSE_SE_EEES9_SG_JZNS1_25segmented_radix_sort_implINS0_14default_configELb1EPKlPlSM_SN_N2at6native12_GLOBAL__N_18offset_tEEE10hipError_tPvRmT1_PNSt15iterator_traitsISV_E10value_typeET2_T3_PNSW_IS11_E10value_typeET4_jRbjT5_S17_jjP12ihipStream_tbEUljE_EEESS_ST_SU_S11_S15_S17_T6_T7_T9_mT8_S19_bDpT10_ENKUlT_T0_E_clISt17integral_constantIbLb0EES1M_EEDaS1H_S1I_EUlS1H_E_NS1_11comp_targetILNS1_3genE3ELNS1_11target_archE908ELNS1_3gpuE7ELNS1_3repE0EEENS1_30default_config_static_selectorELNS0_4arch9wavefront6targetE0EEEvSV_,@function
_ZN7rocprim17ROCPRIM_400000_NS6detail17trampoline_kernelINS0_13select_configILj256ELj13ELNS0_17block_load_methodE3ELS4_3ELS4_3ELNS0_20block_scan_algorithmE0ELj4294967295EEENS1_25partition_config_selectorILNS1_17partition_subalgoE3EjNS0_10empty_typeEbEEZZNS1_14partition_implILS8_3ELb0ES6_jNS0_17counting_iteratorIjlEEPS9_SE_NS0_5tupleIJPjSE_EEENSF_IJSE_SE_EEES9_SG_JZNS1_25segmented_radix_sort_implINS0_14default_configELb1EPKlPlSM_SN_N2at6native12_GLOBAL__N_18offset_tEEE10hipError_tPvRmT1_PNSt15iterator_traitsISV_E10value_typeET2_T3_PNSW_IS11_E10value_typeET4_jRbjT5_S17_jjP12ihipStream_tbEUljE_EEESS_ST_SU_S11_S15_S17_T6_T7_T9_mT8_S19_bDpT10_ENKUlT_T0_E_clISt17integral_constantIbLb0EES1M_EEDaS1H_S1I_EUlS1H_E_NS1_11comp_targetILNS1_3genE3ELNS1_11target_archE908ELNS1_3gpuE7ELNS1_3repE0EEENS1_30default_config_static_selectorELNS0_4arch9wavefront6targetE0EEEvSV_: ; @_ZN7rocprim17ROCPRIM_400000_NS6detail17trampoline_kernelINS0_13select_configILj256ELj13ELNS0_17block_load_methodE3ELS4_3ELS4_3ELNS0_20block_scan_algorithmE0ELj4294967295EEENS1_25partition_config_selectorILNS1_17partition_subalgoE3EjNS0_10empty_typeEbEEZZNS1_14partition_implILS8_3ELb0ES6_jNS0_17counting_iteratorIjlEEPS9_SE_NS0_5tupleIJPjSE_EEENSF_IJSE_SE_EEES9_SG_JZNS1_25segmented_radix_sort_implINS0_14default_configELb1EPKlPlSM_SN_N2at6native12_GLOBAL__N_18offset_tEEE10hipError_tPvRmT1_PNSt15iterator_traitsISV_E10value_typeET2_T3_PNSW_IS11_E10value_typeET4_jRbjT5_S17_jjP12ihipStream_tbEUljE_EEESS_ST_SU_S11_S15_S17_T6_T7_T9_mT8_S19_bDpT10_ENKUlT_T0_E_clISt17integral_constantIbLb0EES1M_EEDaS1H_S1I_EUlS1H_E_NS1_11comp_targetILNS1_3genE3ELNS1_11target_archE908ELNS1_3gpuE7ELNS1_3repE0EEENS1_30default_config_static_selectorELNS0_4arch9wavefront6targetE0EEEvSV_
; %bb.0:
	.section	.rodata,"a",@progbits
	.p2align	6, 0x0
	.amdhsa_kernel _ZN7rocprim17ROCPRIM_400000_NS6detail17trampoline_kernelINS0_13select_configILj256ELj13ELNS0_17block_load_methodE3ELS4_3ELS4_3ELNS0_20block_scan_algorithmE0ELj4294967295EEENS1_25partition_config_selectorILNS1_17partition_subalgoE3EjNS0_10empty_typeEbEEZZNS1_14partition_implILS8_3ELb0ES6_jNS0_17counting_iteratorIjlEEPS9_SE_NS0_5tupleIJPjSE_EEENSF_IJSE_SE_EEES9_SG_JZNS1_25segmented_radix_sort_implINS0_14default_configELb1EPKlPlSM_SN_N2at6native12_GLOBAL__N_18offset_tEEE10hipError_tPvRmT1_PNSt15iterator_traitsISV_E10value_typeET2_T3_PNSW_IS11_E10value_typeET4_jRbjT5_S17_jjP12ihipStream_tbEUljE_EEESS_ST_SU_S11_S15_S17_T6_T7_T9_mT8_S19_bDpT10_ENKUlT_T0_E_clISt17integral_constantIbLb0EES1M_EEDaS1H_S1I_EUlS1H_E_NS1_11comp_targetILNS1_3genE3ELNS1_11target_archE908ELNS1_3gpuE7ELNS1_3repE0EEENS1_30default_config_static_selectorELNS0_4arch9wavefront6targetE0EEEvSV_
		.amdhsa_group_segment_fixed_size 0
		.amdhsa_private_segment_fixed_size 0
		.amdhsa_kernarg_size 144
		.amdhsa_user_sgpr_count 2
		.amdhsa_user_sgpr_dispatch_ptr 0
		.amdhsa_user_sgpr_queue_ptr 0
		.amdhsa_user_sgpr_kernarg_segment_ptr 1
		.amdhsa_user_sgpr_dispatch_id 0
		.amdhsa_user_sgpr_private_segment_size 0
		.amdhsa_wavefront_size32 1
		.amdhsa_uses_dynamic_stack 0
		.amdhsa_enable_private_segment 0
		.amdhsa_system_sgpr_workgroup_id_x 1
		.amdhsa_system_sgpr_workgroup_id_y 0
		.amdhsa_system_sgpr_workgroup_id_z 0
		.amdhsa_system_sgpr_workgroup_info 0
		.amdhsa_system_vgpr_workitem_id 0
		.amdhsa_next_free_vgpr 1
		.amdhsa_next_free_sgpr 1
		.amdhsa_reserve_vcc 0
		.amdhsa_float_round_mode_32 0
		.amdhsa_float_round_mode_16_64 0
		.amdhsa_float_denorm_mode_32 3
		.amdhsa_float_denorm_mode_16_64 3
		.amdhsa_fp16_overflow 0
		.amdhsa_workgroup_processor_mode 1
		.amdhsa_memory_ordered 1
		.amdhsa_forward_progress 1
		.amdhsa_inst_pref_size 0
		.amdhsa_round_robin_scheduling 0
		.amdhsa_exception_fp_ieee_invalid_op 0
		.amdhsa_exception_fp_denorm_src 0
		.amdhsa_exception_fp_ieee_div_zero 0
		.amdhsa_exception_fp_ieee_overflow 0
		.amdhsa_exception_fp_ieee_underflow 0
		.amdhsa_exception_fp_ieee_inexact 0
		.amdhsa_exception_int_div_zero 0
	.end_amdhsa_kernel
	.section	.text._ZN7rocprim17ROCPRIM_400000_NS6detail17trampoline_kernelINS0_13select_configILj256ELj13ELNS0_17block_load_methodE3ELS4_3ELS4_3ELNS0_20block_scan_algorithmE0ELj4294967295EEENS1_25partition_config_selectorILNS1_17partition_subalgoE3EjNS0_10empty_typeEbEEZZNS1_14partition_implILS8_3ELb0ES6_jNS0_17counting_iteratorIjlEEPS9_SE_NS0_5tupleIJPjSE_EEENSF_IJSE_SE_EEES9_SG_JZNS1_25segmented_radix_sort_implINS0_14default_configELb1EPKlPlSM_SN_N2at6native12_GLOBAL__N_18offset_tEEE10hipError_tPvRmT1_PNSt15iterator_traitsISV_E10value_typeET2_T3_PNSW_IS11_E10value_typeET4_jRbjT5_S17_jjP12ihipStream_tbEUljE_EEESS_ST_SU_S11_S15_S17_T6_T7_T9_mT8_S19_bDpT10_ENKUlT_T0_E_clISt17integral_constantIbLb0EES1M_EEDaS1H_S1I_EUlS1H_E_NS1_11comp_targetILNS1_3genE3ELNS1_11target_archE908ELNS1_3gpuE7ELNS1_3repE0EEENS1_30default_config_static_selectorELNS0_4arch9wavefront6targetE0EEEvSV_,"axG",@progbits,_ZN7rocprim17ROCPRIM_400000_NS6detail17trampoline_kernelINS0_13select_configILj256ELj13ELNS0_17block_load_methodE3ELS4_3ELS4_3ELNS0_20block_scan_algorithmE0ELj4294967295EEENS1_25partition_config_selectorILNS1_17partition_subalgoE3EjNS0_10empty_typeEbEEZZNS1_14partition_implILS8_3ELb0ES6_jNS0_17counting_iteratorIjlEEPS9_SE_NS0_5tupleIJPjSE_EEENSF_IJSE_SE_EEES9_SG_JZNS1_25segmented_radix_sort_implINS0_14default_configELb1EPKlPlSM_SN_N2at6native12_GLOBAL__N_18offset_tEEE10hipError_tPvRmT1_PNSt15iterator_traitsISV_E10value_typeET2_T3_PNSW_IS11_E10value_typeET4_jRbjT5_S17_jjP12ihipStream_tbEUljE_EEESS_ST_SU_S11_S15_S17_T6_T7_T9_mT8_S19_bDpT10_ENKUlT_T0_E_clISt17integral_constantIbLb0EES1M_EEDaS1H_S1I_EUlS1H_E_NS1_11comp_targetILNS1_3genE3ELNS1_11target_archE908ELNS1_3gpuE7ELNS1_3repE0EEENS1_30default_config_static_selectorELNS0_4arch9wavefront6targetE0EEEvSV_,comdat
.Lfunc_end675:
	.size	_ZN7rocprim17ROCPRIM_400000_NS6detail17trampoline_kernelINS0_13select_configILj256ELj13ELNS0_17block_load_methodE3ELS4_3ELS4_3ELNS0_20block_scan_algorithmE0ELj4294967295EEENS1_25partition_config_selectorILNS1_17partition_subalgoE3EjNS0_10empty_typeEbEEZZNS1_14partition_implILS8_3ELb0ES6_jNS0_17counting_iteratorIjlEEPS9_SE_NS0_5tupleIJPjSE_EEENSF_IJSE_SE_EEES9_SG_JZNS1_25segmented_radix_sort_implINS0_14default_configELb1EPKlPlSM_SN_N2at6native12_GLOBAL__N_18offset_tEEE10hipError_tPvRmT1_PNSt15iterator_traitsISV_E10value_typeET2_T3_PNSW_IS11_E10value_typeET4_jRbjT5_S17_jjP12ihipStream_tbEUljE_EEESS_ST_SU_S11_S15_S17_T6_T7_T9_mT8_S19_bDpT10_ENKUlT_T0_E_clISt17integral_constantIbLb0EES1M_EEDaS1H_S1I_EUlS1H_E_NS1_11comp_targetILNS1_3genE3ELNS1_11target_archE908ELNS1_3gpuE7ELNS1_3repE0EEENS1_30default_config_static_selectorELNS0_4arch9wavefront6targetE0EEEvSV_, .Lfunc_end675-_ZN7rocprim17ROCPRIM_400000_NS6detail17trampoline_kernelINS0_13select_configILj256ELj13ELNS0_17block_load_methodE3ELS4_3ELS4_3ELNS0_20block_scan_algorithmE0ELj4294967295EEENS1_25partition_config_selectorILNS1_17partition_subalgoE3EjNS0_10empty_typeEbEEZZNS1_14partition_implILS8_3ELb0ES6_jNS0_17counting_iteratorIjlEEPS9_SE_NS0_5tupleIJPjSE_EEENSF_IJSE_SE_EEES9_SG_JZNS1_25segmented_radix_sort_implINS0_14default_configELb1EPKlPlSM_SN_N2at6native12_GLOBAL__N_18offset_tEEE10hipError_tPvRmT1_PNSt15iterator_traitsISV_E10value_typeET2_T3_PNSW_IS11_E10value_typeET4_jRbjT5_S17_jjP12ihipStream_tbEUljE_EEESS_ST_SU_S11_S15_S17_T6_T7_T9_mT8_S19_bDpT10_ENKUlT_T0_E_clISt17integral_constantIbLb0EES1M_EEDaS1H_S1I_EUlS1H_E_NS1_11comp_targetILNS1_3genE3ELNS1_11target_archE908ELNS1_3gpuE7ELNS1_3repE0EEENS1_30default_config_static_selectorELNS0_4arch9wavefront6targetE0EEEvSV_
                                        ; -- End function
	.set _ZN7rocprim17ROCPRIM_400000_NS6detail17trampoline_kernelINS0_13select_configILj256ELj13ELNS0_17block_load_methodE3ELS4_3ELS4_3ELNS0_20block_scan_algorithmE0ELj4294967295EEENS1_25partition_config_selectorILNS1_17partition_subalgoE3EjNS0_10empty_typeEbEEZZNS1_14partition_implILS8_3ELb0ES6_jNS0_17counting_iteratorIjlEEPS9_SE_NS0_5tupleIJPjSE_EEENSF_IJSE_SE_EEES9_SG_JZNS1_25segmented_radix_sort_implINS0_14default_configELb1EPKlPlSM_SN_N2at6native12_GLOBAL__N_18offset_tEEE10hipError_tPvRmT1_PNSt15iterator_traitsISV_E10value_typeET2_T3_PNSW_IS11_E10value_typeET4_jRbjT5_S17_jjP12ihipStream_tbEUljE_EEESS_ST_SU_S11_S15_S17_T6_T7_T9_mT8_S19_bDpT10_ENKUlT_T0_E_clISt17integral_constantIbLb0EES1M_EEDaS1H_S1I_EUlS1H_E_NS1_11comp_targetILNS1_3genE3ELNS1_11target_archE908ELNS1_3gpuE7ELNS1_3repE0EEENS1_30default_config_static_selectorELNS0_4arch9wavefront6targetE0EEEvSV_.num_vgpr, 0
	.set _ZN7rocprim17ROCPRIM_400000_NS6detail17trampoline_kernelINS0_13select_configILj256ELj13ELNS0_17block_load_methodE3ELS4_3ELS4_3ELNS0_20block_scan_algorithmE0ELj4294967295EEENS1_25partition_config_selectorILNS1_17partition_subalgoE3EjNS0_10empty_typeEbEEZZNS1_14partition_implILS8_3ELb0ES6_jNS0_17counting_iteratorIjlEEPS9_SE_NS0_5tupleIJPjSE_EEENSF_IJSE_SE_EEES9_SG_JZNS1_25segmented_radix_sort_implINS0_14default_configELb1EPKlPlSM_SN_N2at6native12_GLOBAL__N_18offset_tEEE10hipError_tPvRmT1_PNSt15iterator_traitsISV_E10value_typeET2_T3_PNSW_IS11_E10value_typeET4_jRbjT5_S17_jjP12ihipStream_tbEUljE_EEESS_ST_SU_S11_S15_S17_T6_T7_T9_mT8_S19_bDpT10_ENKUlT_T0_E_clISt17integral_constantIbLb0EES1M_EEDaS1H_S1I_EUlS1H_E_NS1_11comp_targetILNS1_3genE3ELNS1_11target_archE908ELNS1_3gpuE7ELNS1_3repE0EEENS1_30default_config_static_selectorELNS0_4arch9wavefront6targetE0EEEvSV_.num_agpr, 0
	.set _ZN7rocprim17ROCPRIM_400000_NS6detail17trampoline_kernelINS0_13select_configILj256ELj13ELNS0_17block_load_methodE3ELS4_3ELS4_3ELNS0_20block_scan_algorithmE0ELj4294967295EEENS1_25partition_config_selectorILNS1_17partition_subalgoE3EjNS0_10empty_typeEbEEZZNS1_14partition_implILS8_3ELb0ES6_jNS0_17counting_iteratorIjlEEPS9_SE_NS0_5tupleIJPjSE_EEENSF_IJSE_SE_EEES9_SG_JZNS1_25segmented_radix_sort_implINS0_14default_configELb1EPKlPlSM_SN_N2at6native12_GLOBAL__N_18offset_tEEE10hipError_tPvRmT1_PNSt15iterator_traitsISV_E10value_typeET2_T3_PNSW_IS11_E10value_typeET4_jRbjT5_S17_jjP12ihipStream_tbEUljE_EEESS_ST_SU_S11_S15_S17_T6_T7_T9_mT8_S19_bDpT10_ENKUlT_T0_E_clISt17integral_constantIbLb0EES1M_EEDaS1H_S1I_EUlS1H_E_NS1_11comp_targetILNS1_3genE3ELNS1_11target_archE908ELNS1_3gpuE7ELNS1_3repE0EEENS1_30default_config_static_selectorELNS0_4arch9wavefront6targetE0EEEvSV_.numbered_sgpr, 0
	.set _ZN7rocprim17ROCPRIM_400000_NS6detail17trampoline_kernelINS0_13select_configILj256ELj13ELNS0_17block_load_methodE3ELS4_3ELS4_3ELNS0_20block_scan_algorithmE0ELj4294967295EEENS1_25partition_config_selectorILNS1_17partition_subalgoE3EjNS0_10empty_typeEbEEZZNS1_14partition_implILS8_3ELb0ES6_jNS0_17counting_iteratorIjlEEPS9_SE_NS0_5tupleIJPjSE_EEENSF_IJSE_SE_EEES9_SG_JZNS1_25segmented_radix_sort_implINS0_14default_configELb1EPKlPlSM_SN_N2at6native12_GLOBAL__N_18offset_tEEE10hipError_tPvRmT1_PNSt15iterator_traitsISV_E10value_typeET2_T3_PNSW_IS11_E10value_typeET4_jRbjT5_S17_jjP12ihipStream_tbEUljE_EEESS_ST_SU_S11_S15_S17_T6_T7_T9_mT8_S19_bDpT10_ENKUlT_T0_E_clISt17integral_constantIbLb0EES1M_EEDaS1H_S1I_EUlS1H_E_NS1_11comp_targetILNS1_3genE3ELNS1_11target_archE908ELNS1_3gpuE7ELNS1_3repE0EEENS1_30default_config_static_selectorELNS0_4arch9wavefront6targetE0EEEvSV_.num_named_barrier, 0
	.set _ZN7rocprim17ROCPRIM_400000_NS6detail17trampoline_kernelINS0_13select_configILj256ELj13ELNS0_17block_load_methodE3ELS4_3ELS4_3ELNS0_20block_scan_algorithmE0ELj4294967295EEENS1_25partition_config_selectorILNS1_17partition_subalgoE3EjNS0_10empty_typeEbEEZZNS1_14partition_implILS8_3ELb0ES6_jNS0_17counting_iteratorIjlEEPS9_SE_NS0_5tupleIJPjSE_EEENSF_IJSE_SE_EEES9_SG_JZNS1_25segmented_radix_sort_implINS0_14default_configELb1EPKlPlSM_SN_N2at6native12_GLOBAL__N_18offset_tEEE10hipError_tPvRmT1_PNSt15iterator_traitsISV_E10value_typeET2_T3_PNSW_IS11_E10value_typeET4_jRbjT5_S17_jjP12ihipStream_tbEUljE_EEESS_ST_SU_S11_S15_S17_T6_T7_T9_mT8_S19_bDpT10_ENKUlT_T0_E_clISt17integral_constantIbLb0EES1M_EEDaS1H_S1I_EUlS1H_E_NS1_11comp_targetILNS1_3genE3ELNS1_11target_archE908ELNS1_3gpuE7ELNS1_3repE0EEENS1_30default_config_static_selectorELNS0_4arch9wavefront6targetE0EEEvSV_.private_seg_size, 0
	.set _ZN7rocprim17ROCPRIM_400000_NS6detail17trampoline_kernelINS0_13select_configILj256ELj13ELNS0_17block_load_methodE3ELS4_3ELS4_3ELNS0_20block_scan_algorithmE0ELj4294967295EEENS1_25partition_config_selectorILNS1_17partition_subalgoE3EjNS0_10empty_typeEbEEZZNS1_14partition_implILS8_3ELb0ES6_jNS0_17counting_iteratorIjlEEPS9_SE_NS0_5tupleIJPjSE_EEENSF_IJSE_SE_EEES9_SG_JZNS1_25segmented_radix_sort_implINS0_14default_configELb1EPKlPlSM_SN_N2at6native12_GLOBAL__N_18offset_tEEE10hipError_tPvRmT1_PNSt15iterator_traitsISV_E10value_typeET2_T3_PNSW_IS11_E10value_typeET4_jRbjT5_S17_jjP12ihipStream_tbEUljE_EEESS_ST_SU_S11_S15_S17_T6_T7_T9_mT8_S19_bDpT10_ENKUlT_T0_E_clISt17integral_constantIbLb0EES1M_EEDaS1H_S1I_EUlS1H_E_NS1_11comp_targetILNS1_3genE3ELNS1_11target_archE908ELNS1_3gpuE7ELNS1_3repE0EEENS1_30default_config_static_selectorELNS0_4arch9wavefront6targetE0EEEvSV_.uses_vcc, 0
	.set _ZN7rocprim17ROCPRIM_400000_NS6detail17trampoline_kernelINS0_13select_configILj256ELj13ELNS0_17block_load_methodE3ELS4_3ELS4_3ELNS0_20block_scan_algorithmE0ELj4294967295EEENS1_25partition_config_selectorILNS1_17partition_subalgoE3EjNS0_10empty_typeEbEEZZNS1_14partition_implILS8_3ELb0ES6_jNS0_17counting_iteratorIjlEEPS9_SE_NS0_5tupleIJPjSE_EEENSF_IJSE_SE_EEES9_SG_JZNS1_25segmented_radix_sort_implINS0_14default_configELb1EPKlPlSM_SN_N2at6native12_GLOBAL__N_18offset_tEEE10hipError_tPvRmT1_PNSt15iterator_traitsISV_E10value_typeET2_T3_PNSW_IS11_E10value_typeET4_jRbjT5_S17_jjP12ihipStream_tbEUljE_EEESS_ST_SU_S11_S15_S17_T6_T7_T9_mT8_S19_bDpT10_ENKUlT_T0_E_clISt17integral_constantIbLb0EES1M_EEDaS1H_S1I_EUlS1H_E_NS1_11comp_targetILNS1_3genE3ELNS1_11target_archE908ELNS1_3gpuE7ELNS1_3repE0EEENS1_30default_config_static_selectorELNS0_4arch9wavefront6targetE0EEEvSV_.uses_flat_scratch, 0
	.set _ZN7rocprim17ROCPRIM_400000_NS6detail17trampoline_kernelINS0_13select_configILj256ELj13ELNS0_17block_load_methodE3ELS4_3ELS4_3ELNS0_20block_scan_algorithmE0ELj4294967295EEENS1_25partition_config_selectorILNS1_17partition_subalgoE3EjNS0_10empty_typeEbEEZZNS1_14partition_implILS8_3ELb0ES6_jNS0_17counting_iteratorIjlEEPS9_SE_NS0_5tupleIJPjSE_EEENSF_IJSE_SE_EEES9_SG_JZNS1_25segmented_radix_sort_implINS0_14default_configELb1EPKlPlSM_SN_N2at6native12_GLOBAL__N_18offset_tEEE10hipError_tPvRmT1_PNSt15iterator_traitsISV_E10value_typeET2_T3_PNSW_IS11_E10value_typeET4_jRbjT5_S17_jjP12ihipStream_tbEUljE_EEESS_ST_SU_S11_S15_S17_T6_T7_T9_mT8_S19_bDpT10_ENKUlT_T0_E_clISt17integral_constantIbLb0EES1M_EEDaS1H_S1I_EUlS1H_E_NS1_11comp_targetILNS1_3genE3ELNS1_11target_archE908ELNS1_3gpuE7ELNS1_3repE0EEENS1_30default_config_static_selectorELNS0_4arch9wavefront6targetE0EEEvSV_.has_dyn_sized_stack, 0
	.set _ZN7rocprim17ROCPRIM_400000_NS6detail17trampoline_kernelINS0_13select_configILj256ELj13ELNS0_17block_load_methodE3ELS4_3ELS4_3ELNS0_20block_scan_algorithmE0ELj4294967295EEENS1_25partition_config_selectorILNS1_17partition_subalgoE3EjNS0_10empty_typeEbEEZZNS1_14partition_implILS8_3ELb0ES6_jNS0_17counting_iteratorIjlEEPS9_SE_NS0_5tupleIJPjSE_EEENSF_IJSE_SE_EEES9_SG_JZNS1_25segmented_radix_sort_implINS0_14default_configELb1EPKlPlSM_SN_N2at6native12_GLOBAL__N_18offset_tEEE10hipError_tPvRmT1_PNSt15iterator_traitsISV_E10value_typeET2_T3_PNSW_IS11_E10value_typeET4_jRbjT5_S17_jjP12ihipStream_tbEUljE_EEESS_ST_SU_S11_S15_S17_T6_T7_T9_mT8_S19_bDpT10_ENKUlT_T0_E_clISt17integral_constantIbLb0EES1M_EEDaS1H_S1I_EUlS1H_E_NS1_11comp_targetILNS1_3genE3ELNS1_11target_archE908ELNS1_3gpuE7ELNS1_3repE0EEENS1_30default_config_static_selectorELNS0_4arch9wavefront6targetE0EEEvSV_.has_recursion, 0
	.set _ZN7rocprim17ROCPRIM_400000_NS6detail17trampoline_kernelINS0_13select_configILj256ELj13ELNS0_17block_load_methodE3ELS4_3ELS4_3ELNS0_20block_scan_algorithmE0ELj4294967295EEENS1_25partition_config_selectorILNS1_17partition_subalgoE3EjNS0_10empty_typeEbEEZZNS1_14partition_implILS8_3ELb0ES6_jNS0_17counting_iteratorIjlEEPS9_SE_NS0_5tupleIJPjSE_EEENSF_IJSE_SE_EEES9_SG_JZNS1_25segmented_radix_sort_implINS0_14default_configELb1EPKlPlSM_SN_N2at6native12_GLOBAL__N_18offset_tEEE10hipError_tPvRmT1_PNSt15iterator_traitsISV_E10value_typeET2_T3_PNSW_IS11_E10value_typeET4_jRbjT5_S17_jjP12ihipStream_tbEUljE_EEESS_ST_SU_S11_S15_S17_T6_T7_T9_mT8_S19_bDpT10_ENKUlT_T0_E_clISt17integral_constantIbLb0EES1M_EEDaS1H_S1I_EUlS1H_E_NS1_11comp_targetILNS1_3genE3ELNS1_11target_archE908ELNS1_3gpuE7ELNS1_3repE0EEENS1_30default_config_static_selectorELNS0_4arch9wavefront6targetE0EEEvSV_.has_indirect_call, 0
	.section	.AMDGPU.csdata,"",@progbits
; Kernel info:
; codeLenInByte = 0
; TotalNumSgprs: 0
; NumVgprs: 0
; ScratchSize: 0
; MemoryBound: 0
; FloatMode: 240
; IeeeMode: 1
; LDSByteSize: 0 bytes/workgroup (compile time only)
; SGPRBlocks: 0
; VGPRBlocks: 0
; NumSGPRsForWavesPerEU: 1
; NumVGPRsForWavesPerEU: 1
; Occupancy: 16
; WaveLimiterHint : 0
; COMPUTE_PGM_RSRC2:SCRATCH_EN: 0
; COMPUTE_PGM_RSRC2:USER_SGPR: 2
; COMPUTE_PGM_RSRC2:TRAP_HANDLER: 0
; COMPUTE_PGM_RSRC2:TGID_X_EN: 1
; COMPUTE_PGM_RSRC2:TGID_Y_EN: 0
; COMPUTE_PGM_RSRC2:TGID_Z_EN: 0
; COMPUTE_PGM_RSRC2:TIDIG_COMP_CNT: 0
	.section	.text._ZN7rocprim17ROCPRIM_400000_NS6detail17trampoline_kernelINS0_13select_configILj256ELj13ELNS0_17block_load_methodE3ELS4_3ELS4_3ELNS0_20block_scan_algorithmE0ELj4294967295EEENS1_25partition_config_selectorILNS1_17partition_subalgoE3EjNS0_10empty_typeEbEEZZNS1_14partition_implILS8_3ELb0ES6_jNS0_17counting_iteratorIjlEEPS9_SE_NS0_5tupleIJPjSE_EEENSF_IJSE_SE_EEES9_SG_JZNS1_25segmented_radix_sort_implINS0_14default_configELb1EPKlPlSM_SN_N2at6native12_GLOBAL__N_18offset_tEEE10hipError_tPvRmT1_PNSt15iterator_traitsISV_E10value_typeET2_T3_PNSW_IS11_E10value_typeET4_jRbjT5_S17_jjP12ihipStream_tbEUljE_EEESS_ST_SU_S11_S15_S17_T6_T7_T9_mT8_S19_bDpT10_ENKUlT_T0_E_clISt17integral_constantIbLb0EES1M_EEDaS1H_S1I_EUlS1H_E_NS1_11comp_targetILNS1_3genE2ELNS1_11target_archE906ELNS1_3gpuE6ELNS1_3repE0EEENS1_30default_config_static_selectorELNS0_4arch9wavefront6targetE0EEEvSV_,"axG",@progbits,_ZN7rocprim17ROCPRIM_400000_NS6detail17trampoline_kernelINS0_13select_configILj256ELj13ELNS0_17block_load_methodE3ELS4_3ELS4_3ELNS0_20block_scan_algorithmE0ELj4294967295EEENS1_25partition_config_selectorILNS1_17partition_subalgoE3EjNS0_10empty_typeEbEEZZNS1_14partition_implILS8_3ELb0ES6_jNS0_17counting_iteratorIjlEEPS9_SE_NS0_5tupleIJPjSE_EEENSF_IJSE_SE_EEES9_SG_JZNS1_25segmented_radix_sort_implINS0_14default_configELb1EPKlPlSM_SN_N2at6native12_GLOBAL__N_18offset_tEEE10hipError_tPvRmT1_PNSt15iterator_traitsISV_E10value_typeET2_T3_PNSW_IS11_E10value_typeET4_jRbjT5_S17_jjP12ihipStream_tbEUljE_EEESS_ST_SU_S11_S15_S17_T6_T7_T9_mT8_S19_bDpT10_ENKUlT_T0_E_clISt17integral_constantIbLb0EES1M_EEDaS1H_S1I_EUlS1H_E_NS1_11comp_targetILNS1_3genE2ELNS1_11target_archE906ELNS1_3gpuE6ELNS1_3repE0EEENS1_30default_config_static_selectorELNS0_4arch9wavefront6targetE0EEEvSV_,comdat
	.globl	_ZN7rocprim17ROCPRIM_400000_NS6detail17trampoline_kernelINS0_13select_configILj256ELj13ELNS0_17block_load_methodE3ELS4_3ELS4_3ELNS0_20block_scan_algorithmE0ELj4294967295EEENS1_25partition_config_selectorILNS1_17partition_subalgoE3EjNS0_10empty_typeEbEEZZNS1_14partition_implILS8_3ELb0ES6_jNS0_17counting_iteratorIjlEEPS9_SE_NS0_5tupleIJPjSE_EEENSF_IJSE_SE_EEES9_SG_JZNS1_25segmented_radix_sort_implINS0_14default_configELb1EPKlPlSM_SN_N2at6native12_GLOBAL__N_18offset_tEEE10hipError_tPvRmT1_PNSt15iterator_traitsISV_E10value_typeET2_T3_PNSW_IS11_E10value_typeET4_jRbjT5_S17_jjP12ihipStream_tbEUljE_EEESS_ST_SU_S11_S15_S17_T6_T7_T9_mT8_S19_bDpT10_ENKUlT_T0_E_clISt17integral_constantIbLb0EES1M_EEDaS1H_S1I_EUlS1H_E_NS1_11comp_targetILNS1_3genE2ELNS1_11target_archE906ELNS1_3gpuE6ELNS1_3repE0EEENS1_30default_config_static_selectorELNS0_4arch9wavefront6targetE0EEEvSV_ ; -- Begin function _ZN7rocprim17ROCPRIM_400000_NS6detail17trampoline_kernelINS0_13select_configILj256ELj13ELNS0_17block_load_methodE3ELS4_3ELS4_3ELNS0_20block_scan_algorithmE0ELj4294967295EEENS1_25partition_config_selectorILNS1_17partition_subalgoE3EjNS0_10empty_typeEbEEZZNS1_14partition_implILS8_3ELb0ES6_jNS0_17counting_iteratorIjlEEPS9_SE_NS0_5tupleIJPjSE_EEENSF_IJSE_SE_EEES9_SG_JZNS1_25segmented_radix_sort_implINS0_14default_configELb1EPKlPlSM_SN_N2at6native12_GLOBAL__N_18offset_tEEE10hipError_tPvRmT1_PNSt15iterator_traitsISV_E10value_typeET2_T3_PNSW_IS11_E10value_typeET4_jRbjT5_S17_jjP12ihipStream_tbEUljE_EEESS_ST_SU_S11_S15_S17_T6_T7_T9_mT8_S19_bDpT10_ENKUlT_T0_E_clISt17integral_constantIbLb0EES1M_EEDaS1H_S1I_EUlS1H_E_NS1_11comp_targetILNS1_3genE2ELNS1_11target_archE906ELNS1_3gpuE6ELNS1_3repE0EEENS1_30default_config_static_selectorELNS0_4arch9wavefront6targetE0EEEvSV_
	.p2align	8
	.type	_ZN7rocprim17ROCPRIM_400000_NS6detail17trampoline_kernelINS0_13select_configILj256ELj13ELNS0_17block_load_methodE3ELS4_3ELS4_3ELNS0_20block_scan_algorithmE0ELj4294967295EEENS1_25partition_config_selectorILNS1_17partition_subalgoE3EjNS0_10empty_typeEbEEZZNS1_14partition_implILS8_3ELb0ES6_jNS0_17counting_iteratorIjlEEPS9_SE_NS0_5tupleIJPjSE_EEENSF_IJSE_SE_EEES9_SG_JZNS1_25segmented_radix_sort_implINS0_14default_configELb1EPKlPlSM_SN_N2at6native12_GLOBAL__N_18offset_tEEE10hipError_tPvRmT1_PNSt15iterator_traitsISV_E10value_typeET2_T3_PNSW_IS11_E10value_typeET4_jRbjT5_S17_jjP12ihipStream_tbEUljE_EEESS_ST_SU_S11_S15_S17_T6_T7_T9_mT8_S19_bDpT10_ENKUlT_T0_E_clISt17integral_constantIbLb0EES1M_EEDaS1H_S1I_EUlS1H_E_NS1_11comp_targetILNS1_3genE2ELNS1_11target_archE906ELNS1_3gpuE6ELNS1_3repE0EEENS1_30default_config_static_selectorELNS0_4arch9wavefront6targetE0EEEvSV_,@function
_ZN7rocprim17ROCPRIM_400000_NS6detail17trampoline_kernelINS0_13select_configILj256ELj13ELNS0_17block_load_methodE3ELS4_3ELS4_3ELNS0_20block_scan_algorithmE0ELj4294967295EEENS1_25partition_config_selectorILNS1_17partition_subalgoE3EjNS0_10empty_typeEbEEZZNS1_14partition_implILS8_3ELb0ES6_jNS0_17counting_iteratorIjlEEPS9_SE_NS0_5tupleIJPjSE_EEENSF_IJSE_SE_EEES9_SG_JZNS1_25segmented_radix_sort_implINS0_14default_configELb1EPKlPlSM_SN_N2at6native12_GLOBAL__N_18offset_tEEE10hipError_tPvRmT1_PNSt15iterator_traitsISV_E10value_typeET2_T3_PNSW_IS11_E10value_typeET4_jRbjT5_S17_jjP12ihipStream_tbEUljE_EEESS_ST_SU_S11_S15_S17_T6_T7_T9_mT8_S19_bDpT10_ENKUlT_T0_E_clISt17integral_constantIbLb0EES1M_EEDaS1H_S1I_EUlS1H_E_NS1_11comp_targetILNS1_3genE2ELNS1_11target_archE906ELNS1_3gpuE6ELNS1_3repE0EEENS1_30default_config_static_selectorELNS0_4arch9wavefront6targetE0EEEvSV_: ; @_ZN7rocprim17ROCPRIM_400000_NS6detail17trampoline_kernelINS0_13select_configILj256ELj13ELNS0_17block_load_methodE3ELS4_3ELS4_3ELNS0_20block_scan_algorithmE0ELj4294967295EEENS1_25partition_config_selectorILNS1_17partition_subalgoE3EjNS0_10empty_typeEbEEZZNS1_14partition_implILS8_3ELb0ES6_jNS0_17counting_iteratorIjlEEPS9_SE_NS0_5tupleIJPjSE_EEENSF_IJSE_SE_EEES9_SG_JZNS1_25segmented_radix_sort_implINS0_14default_configELb1EPKlPlSM_SN_N2at6native12_GLOBAL__N_18offset_tEEE10hipError_tPvRmT1_PNSt15iterator_traitsISV_E10value_typeET2_T3_PNSW_IS11_E10value_typeET4_jRbjT5_S17_jjP12ihipStream_tbEUljE_EEESS_ST_SU_S11_S15_S17_T6_T7_T9_mT8_S19_bDpT10_ENKUlT_T0_E_clISt17integral_constantIbLb0EES1M_EEDaS1H_S1I_EUlS1H_E_NS1_11comp_targetILNS1_3genE2ELNS1_11target_archE906ELNS1_3gpuE6ELNS1_3repE0EEENS1_30default_config_static_selectorELNS0_4arch9wavefront6targetE0EEEvSV_
; %bb.0:
	.section	.rodata,"a",@progbits
	.p2align	6, 0x0
	.amdhsa_kernel _ZN7rocprim17ROCPRIM_400000_NS6detail17trampoline_kernelINS0_13select_configILj256ELj13ELNS0_17block_load_methodE3ELS4_3ELS4_3ELNS0_20block_scan_algorithmE0ELj4294967295EEENS1_25partition_config_selectorILNS1_17partition_subalgoE3EjNS0_10empty_typeEbEEZZNS1_14partition_implILS8_3ELb0ES6_jNS0_17counting_iteratorIjlEEPS9_SE_NS0_5tupleIJPjSE_EEENSF_IJSE_SE_EEES9_SG_JZNS1_25segmented_radix_sort_implINS0_14default_configELb1EPKlPlSM_SN_N2at6native12_GLOBAL__N_18offset_tEEE10hipError_tPvRmT1_PNSt15iterator_traitsISV_E10value_typeET2_T3_PNSW_IS11_E10value_typeET4_jRbjT5_S17_jjP12ihipStream_tbEUljE_EEESS_ST_SU_S11_S15_S17_T6_T7_T9_mT8_S19_bDpT10_ENKUlT_T0_E_clISt17integral_constantIbLb0EES1M_EEDaS1H_S1I_EUlS1H_E_NS1_11comp_targetILNS1_3genE2ELNS1_11target_archE906ELNS1_3gpuE6ELNS1_3repE0EEENS1_30default_config_static_selectorELNS0_4arch9wavefront6targetE0EEEvSV_
		.amdhsa_group_segment_fixed_size 0
		.amdhsa_private_segment_fixed_size 0
		.amdhsa_kernarg_size 144
		.amdhsa_user_sgpr_count 2
		.amdhsa_user_sgpr_dispatch_ptr 0
		.amdhsa_user_sgpr_queue_ptr 0
		.amdhsa_user_sgpr_kernarg_segment_ptr 1
		.amdhsa_user_sgpr_dispatch_id 0
		.amdhsa_user_sgpr_private_segment_size 0
		.amdhsa_wavefront_size32 1
		.amdhsa_uses_dynamic_stack 0
		.amdhsa_enable_private_segment 0
		.amdhsa_system_sgpr_workgroup_id_x 1
		.amdhsa_system_sgpr_workgroup_id_y 0
		.amdhsa_system_sgpr_workgroup_id_z 0
		.amdhsa_system_sgpr_workgroup_info 0
		.amdhsa_system_vgpr_workitem_id 0
		.amdhsa_next_free_vgpr 1
		.amdhsa_next_free_sgpr 1
		.amdhsa_reserve_vcc 0
		.amdhsa_float_round_mode_32 0
		.amdhsa_float_round_mode_16_64 0
		.amdhsa_float_denorm_mode_32 3
		.amdhsa_float_denorm_mode_16_64 3
		.amdhsa_fp16_overflow 0
		.amdhsa_workgroup_processor_mode 1
		.amdhsa_memory_ordered 1
		.amdhsa_forward_progress 1
		.amdhsa_inst_pref_size 0
		.amdhsa_round_robin_scheduling 0
		.amdhsa_exception_fp_ieee_invalid_op 0
		.amdhsa_exception_fp_denorm_src 0
		.amdhsa_exception_fp_ieee_div_zero 0
		.amdhsa_exception_fp_ieee_overflow 0
		.amdhsa_exception_fp_ieee_underflow 0
		.amdhsa_exception_fp_ieee_inexact 0
		.amdhsa_exception_int_div_zero 0
	.end_amdhsa_kernel
	.section	.text._ZN7rocprim17ROCPRIM_400000_NS6detail17trampoline_kernelINS0_13select_configILj256ELj13ELNS0_17block_load_methodE3ELS4_3ELS4_3ELNS0_20block_scan_algorithmE0ELj4294967295EEENS1_25partition_config_selectorILNS1_17partition_subalgoE3EjNS0_10empty_typeEbEEZZNS1_14partition_implILS8_3ELb0ES6_jNS0_17counting_iteratorIjlEEPS9_SE_NS0_5tupleIJPjSE_EEENSF_IJSE_SE_EEES9_SG_JZNS1_25segmented_radix_sort_implINS0_14default_configELb1EPKlPlSM_SN_N2at6native12_GLOBAL__N_18offset_tEEE10hipError_tPvRmT1_PNSt15iterator_traitsISV_E10value_typeET2_T3_PNSW_IS11_E10value_typeET4_jRbjT5_S17_jjP12ihipStream_tbEUljE_EEESS_ST_SU_S11_S15_S17_T6_T7_T9_mT8_S19_bDpT10_ENKUlT_T0_E_clISt17integral_constantIbLb0EES1M_EEDaS1H_S1I_EUlS1H_E_NS1_11comp_targetILNS1_3genE2ELNS1_11target_archE906ELNS1_3gpuE6ELNS1_3repE0EEENS1_30default_config_static_selectorELNS0_4arch9wavefront6targetE0EEEvSV_,"axG",@progbits,_ZN7rocprim17ROCPRIM_400000_NS6detail17trampoline_kernelINS0_13select_configILj256ELj13ELNS0_17block_load_methodE3ELS4_3ELS4_3ELNS0_20block_scan_algorithmE0ELj4294967295EEENS1_25partition_config_selectorILNS1_17partition_subalgoE3EjNS0_10empty_typeEbEEZZNS1_14partition_implILS8_3ELb0ES6_jNS0_17counting_iteratorIjlEEPS9_SE_NS0_5tupleIJPjSE_EEENSF_IJSE_SE_EEES9_SG_JZNS1_25segmented_radix_sort_implINS0_14default_configELb1EPKlPlSM_SN_N2at6native12_GLOBAL__N_18offset_tEEE10hipError_tPvRmT1_PNSt15iterator_traitsISV_E10value_typeET2_T3_PNSW_IS11_E10value_typeET4_jRbjT5_S17_jjP12ihipStream_tbEUljE_EEESS_ST_SU_S11_S15_S17_T6_T7_T9_mT8_S19_bDpT10_ENKUlT_T0_E_clISt17integral_constantIbLb0EES1M_EEDaS1H_S1I_EUlS1H_E_NS1_11comp_targetILNS1_3genE2ELNS1_11target_archE906ELNS1_3gpuE6ELNS1_3repE0EEENS1_30default_config_static_selectorELNS0_4arch9wavefront6targetE0EEEvSV_,comdat
.Lfunc_end676:
	.size	_ZN7rocprim17ROCPRIM_400000_NS6detail17trampoline_kernelINS0_13select_configILj256ELj13ELNS0_17block_load_methodE3ELS4_3ELS4_3ELNS0_20block_scan_algorithmE0ELj4294967295EEENS1_25partition_config_selectorILNS1_17partition_subalgoE3EjNS0_10empty_typeEbEEZZNS1_14partition_implILS8_3ELb0ES6_jNS0_17counting_iteratorIjlEEPS9_SE_NS0_5tupleIJPjSE_EEENSF_IJSE_SE_EEES9_SG_JZNS1_25segmented_radix_sort_implINS0_14default_configELb1EPKlPlSM_SN_N2at6native12_GLOBAL__N_18offset_tEEE10hipError_tPvRmT1_PNSt15iterator_traitsISV_E10value_typeET2_T3_PNSW_IS11_E10value_typeET4_jRbjT5_S17_jjP12ihipStream_tbEUljE_EEESS_ST_SU_S11_S15_S17_T6_T7_T9_mT8_S19_bDpT10_ENKUlT_T0_E_clISt17integral_constantIbLb0EES1M_EEDaS1H_S1I_EUlS1H_E_NS1_11comp_targetILNS1_3genE2ELNS1_11target_archE906ELNS1_3gpuE6ELNS1_3repE0EEENS1_30default_config_static_selectorELNS0_4arch9wavefront6targetE0EEEvSV_, .Lfunc_end676-_ZN7rocprim17ROCPRIM_400000_NS6detail17trampoline_kernelINS0_13select_configILj256ELj13ELNS0_17block_load_methodE3ELS4_3ELS4_3ELNS0_20block_scan_algorithmE0ELj4294967295EEENS1_25partition_config_selectorILNS1_17partition_subalgoE3EjNS0_10empty_typeEbEEZZNS1_14partition_implILS8_3ELb0ES6_jNS0_17counting_iteratorIjlEEPS9_SE_NS0_5tupleIJPjSE_EEENSF_IJSE_SE_EEES9_SG_JZNS1_25segmented_radix_sort_implINS0_14default_configELb1EPKlPlSM_SN_N2at6native12_GLOBAL__N_18offset_tEEE10hipError_tPvRmT1_PNSt15iterator_traitsISV_E10value_typeET2_T3_PNSW_IS11_E10value_typeET4_jRbjT5_S17_jjP12ihipStream_tbEUljE_EEESS_ST_SU_S11_S15_S17_T6_T7_T9_mT8_S19_bDpT10_ENKUlT_T0_E_clISt17integral_constantIbLb0EES1M_EEDaS1H_S1I_EUlS1H_E_NS1_11comp_targetILNS1_3genE2ELNS1_11target_archE906ELNS1_3gpuE6ELNS1_3repE0EEENS1_30default_config_static_selectorELNS0_4arch9wavefront6targetE0EEEvSV_
                                        ; -- End function
	.set _ZN7rocprim17ROCPRIM_400000_NS6detail17trampoline_kernelINS0_13select_configILj256ELj13ELNS0_17block_load_methodE3ELS4_3ELS4_3ELNS0_20block_scan_algorithmE0ELj4294967295EEENS1_25partition_config_selectorILNS1_17partition_subalgoE3EjNS0_10empty_typeEbEEZZNS1_14partition_implILS8_3ELb0ES6_jNS0_17counting_iteratorIjlEEPS9_SE_NS0_5tupleIJPjSE_EEENSF_IJSE_SE_EEES9_SG_JZNS1_25segmented_radix_sort_implINS0_14default_configELb1EPKlPlSM_SN_N2at6native12_GLOBAL__N_18offset_tEEE10hipError_tPvRmT1_PNSt15iterator_traitsISV_E10value_typeET2_T3_PNSW_IS11_E10value_typeET4_jRbjT5_S17_jjP12ihipStream_tbEUljE_EEESS_ST_SU_S11_S15_S17_T6_T7_T9_mT8_S19_bDpT10_ENKUlT_T0_E_clISt17integral_constantIbLb0EES1M_EEDaS1H_S1I_EUlS1H_E_NS1_11comp_targetILNS1_3genE2ELNS1_11target_archE906ELNS1_3gpuE6ELNS1_3repE0EEENS1_30default_config_static_selectorELNS0_4arch9wavefront6targetE0EEEvSV_.num_vgpr, 0
	.set _ZN7rocprim17ROCPRIM_400000_NS6detail17trampoline_kernelINS0_13select_configILj256ELj13ELNS0_17block_load_methodE3ELS4_3ELS4_3ELNS0_20block_scan_algorithmE0ELj4294967295EEENS1_25partition_config_selectorILNS1_17partition_subalgoE3EjNS0_10empty_typeEbEEZZNS1_14partition_implILS8_3ELb0ES6_jNS0_17counting_iteratorIjlEEPS9_SE_NS0_5tupleIJPjSE_EEENSF_IJSE_SE_EEES9_SG_JZNS1_25segmented_radix_sort_implINS0_14default_configELb1EPKlPlSM_SN_N2at6native12_GLOBAL__N_18offset_tEEE10hipError_tPvRmT1_PNSt15iterator_traitsISV_E10value_typeET2_T3_PNSW_IS11_E10value_typeET4_jRbjT5_S17_jjP12ihipStream_tbEUljE_EEESS_ST_SU_S11_S15_S17_T6_T7_T9_mT8_S19_bDpT10_ENKUlT_T0_E_clISt17integral_constantIbLb0EES1M_EEDaS1H_S1I_EUlS1H_E_NS1_11comp_targetILNS1_3genE2ELNS1_11target_archE906ELNS1_3gpuE6ELNS1_3repE0EEENS1_30default_config_static_selectorELNS0_4arch9wavefront6targetE0EEEvSV_.num_agpr, 0
	.set _ZN7rocprim17ROCPRIM_400000_NS6detail17trampoline_kernelINS0_13select_configILj256ELj13ELNS0_17block_load_methodE3ELS4_3ELS4_3ELNS0_20block_scan_algorithmE0ELj4294967295EEENS1_25partition_config_selectorILNS1_17partition_subalgoE3EjNS0_10empty_typeEbEEZZNS1_14partition_implILS8_3ELb0ES6_jNS0_17counting_iteratorIjlEEPS9_SE_NS0_5tupleIJPjSE_EEENSF_IJSE_SE_EEES9_SG_JZNS1_25segmented_radix_sort_implINS0_14default_configELb1EPKlPlSM_SN_N2at6native12_GLOBAL__N_18offset_tEEE10hipError_tPvRmT1_PNSt15iterator_traitsISV_E10value_typeET2_T3_PNSW_IS11_E10value_typeET4_jRbjT5_S17_jjP12ihipStream_tbEUljE_EEESS_ST_SU_S11_S15_S17_T6_T7_T9_mT8_S19_bDpT10_ENKUlT_T0_E_clISt17integral_constantIbLb0EES1M_EEDaS1H_S1I_EUlS1H_E_NS1_11comp_targetILNS1_3genE2ELNS1_11target_archE906ELNS1_3gpuE6ELNS1_3repE0EEENS1_30default_config_static_selectorELNS0_4arch9wavefront6targetE0EEEvSV_.numbered_sgpr, 0
	.set _ZN7rocprim17ROCPRIM_400000_NS6detail17trampoline_kernelINS0_13select_configILj256ELj13ELNS0_17block_load_methodE3ELS4_3ELS4_3ELNS0_20block_scan_algorithmE0ELj4294967295EEENS1_25partition_config_selectorILNS1_17partition_subalgoE3EjNS0_10empty_typeEbEEZZNS1_14partition_implILS8_3ELb0ES6_jNS0_17counting_iteratorIjlEEPS9_SE_NS0_5tupleIJPjSE_EEENSF_IJSE_SE_EEES9_SG_JZNS1_25segmented_radix_sort_implINS0_14default_configELb1EPKlPlSM_SN_N2at6native12_GLOBAL__N_18offset_tEEE10hipError_tPvRmT1_PNSt15iterator_traitsISV_E10value_typeET2_T3_PNSW_IS11_E10value_typeET4_jRbjT5_S17_jjP12ihipStream_tbEUljE_EEESS_ST_SU_S11_S15_S17_T6_T7_T9_mT8_S19_bDpT10_ENKUlT_T0_E_clISt17integral_constantIbLb0EES1M_EEDaS1H_S1I_EUlS1H_E_NS1_11comp_targetILNS1_3genE2ELNS1_11target_archE906ELNS1_3gpuE6ELNS1_3repE0EEENS1_30default_config_static_selectorELNS0_4arch9wavefront6targetE0EEEvSV_.num_named_barrier, 0
	.set _ZN7rocprim17ROCPRIM_400000_NS6detail17trampoline_kernelINS0_13select_configILj256ELj13ELNS0_17block_load_methodE3ELS4_3ELS4_3ELNS0_20block_scan_algorithmE0ELj4294967295EEENS1_25partition_config_selectorILNS1_17partition_subalgoE3EjNS0_10empty_typeEbEEZZNS1_14partition_implILS8_3ELb0ES6_jNS0_17counting_iteratorIjlEEPS9_SE_NS0_5tupleIJPjSE_EEENSF_IJSE_SE_EEES9_SG_JZNS1_25segmented_radix_sort_implINS0_14default_configELb1EPKlPlSM_SN_N2at6native12_GLOBAL__N_18offset_tEEE10hipError_tPvRmT1_PNSt15iterator_traitsISV_E10value_typeET2_T3_PNSW_IS11_E10value_typeET4_jRbjT5_S17_jjP12ihipStream_tbEUljE_EEESS_ST_SU_S11_S15_S17_T6_T7_T9_mT8_S19_bDpT10_ENKUlT_T0_E_clISt17integral_constantIbLb0EES1M_EEDaS1H_S1I_EUlS1H_E_NS1_11comp_targetILNS1_3genE2ELNS1_11target_archE906ELNS1_3gpuE6ELNS1_3repE0EEENS1_30default_config_static_selectorELNS0_4arch9wavefront6targetE0EEEvSV_.private_seg_size, 0
	.set _ZN7rocprim17ROCPRIM_400000_NS6detail17trampoline_kernelINS0_13select_configILj256ELj13ELNS0_17block_load_methodE3ELS4_3ELS4_3ELNS0_20block_scan_algorithmE0ELj4294967295EEENS1_25partition_config_selectorILNS1_17partition_subalgoE3EjNS0_10empty_typeEbEEZZNS1_14partition_implILS8_3ELb0ES6_jNS0_17counting_iteratorIjlEEPS9_SE_NS0_5tupleIJPjSE_EEENSF_IJSE_SE_EEES9_SG_JZNS1_25segmented_radix_sort_implINS0_14default_configELb1EPKlPlSM_SN_N2at6native12_GLOBAL__N_18offset_tEEE10hipError_tPvRmT1_PNSt15iterator_traitsISV_E10value_typeET2_T3_PNSW_IS11_E10value_typeET4_jRbjT5_S17_jjP12ihipStream_tbEUljE_EEESS_ST_SU_S11_S15_S17_T6_T7_T9_mT8_S19_bDpT10_ENKUlT_T0_E_clISt17integral_constantIbLb0EES1M_EEDaS1H_S1I_EUlS1H_E_NS1_11comp_targetILNS1_3genE2ELNS1_11target_archE906ELNS1_3gpuE6ELNS1_3repE0EEENS1_30default_config_static_selectorELNS0_4arch9wavefront6targetE0EEEvSV_.uses_vcc, 0
	.set _ZN7rocprim17ROCPRIM_400000_NS6detail17trampoline_kernelINS0_13select_configILj256ELj13ELNS0_17block_load_methodE3ELS4_3ELS4_3ELNS0_20block_scan_algorithmE0ELj4294967295EEENS1_25partition_config_selectorILNS1_17partition_subalgoE3EjNS0_10empty_typeEbEEZZNS1_14partition_implILS8_3ELb0ES6_jNS0_17counting_iteratorIjlEEPS9_SE_NS0_5tupleIJPjSE_EEENSF_IJSE_SE_EEES9_SG_JZNS1_25segmented_radix_sort_implINS0_14default_configELb1EPKlPlSM_SN_N2at6native12_GLOBAL__N_18offset_tEEE10hipError_tPvRmT1_PNSt15iterator_traitsISV_E10value_typeET2_T3_PNSW_IS11_E10value_typeET4_jRbjT5_S17_jjP12ihipStream_tbEUljE_EEESS_ST_SU_S11_S15_S17_T6_T7_T9_mT8_S19_bDpT10_ENKUlT_T0_E_clISt17integral_constantIbLb0EES1M_EEDaS1H_S1I_EUlS1H_E_NS1_11comp_targetILNS1_3genE2ELNS1_11target_archE906ELNS1_3gpuE6ELNS1_3repE0EEENS1_30default_config_static_selectorELNS0_4arch9wavefront6targetE0EEEvSV_.uses_flat_scratch, 0
	.set _ZN7rocprim17ROCPRIM_400000_NS6detail17trampoline_kernelINS0_13select_configILj256ELj13ELNS0_17block_load_methodE3ELS4_3ELS4_3ELNS0_20block_scan_algorithmE0ELj4294967295EEENS1_25partition_config_selectorILNS1_17partition_subalgoE3EjNS0_10empty_typeEbEEZZNS1_14partition_implILS8_3ELb0ES6_jNS0_17counting_iteratorIjlEEPS9_SE_NS0_5tupleIJPjSE_EEENSF_IJSE_SE_EEES9_SG_JZNS1_25segmented_radix_sort_implINS0_14default_configELb1EPKlPlSM_SN_N2at6native12_GLOBAL__N_18offset_tEEE10hipError_tPvRmT1_PNSt15iterator_traitsISV_E10value_typeET2_T3_PNSW_IS11_E10value_typeET4_jRbjT5_S17_jjP12ihipStream_tbEUljE_EEESS_ST_SU_S11_S15_S17_T6_T7_T9_mT8_S19_bDpT10_ENKUlT_T0_E_clISt17integral_constantIbLb0EES1M_EEDaS1H_S1I_EUlS1H_E_NS1_11comp_targetILNS1_3genE2ELNS1_11target_archE906ELNS1_3gpuE6ELNS1_3repE0EEENS1_30default_config_static_selectorELNS0_4arch9wavefront6targetE0EEEvSV_.has_dyn_sized_stack, 0
	.set _ZN7rocprim17ROCPRIM_400000_NS6detail17trampoline_kernelINS0_13select_configILj256ELj13ELNS0_17block_load_methodE3ELS4_3ELS4_3ELNS0_20block_scan_algorithmE0ELj4294967295EEENS1_25partition_config_selectorILNS1_17partition_subalgoE3EjNS0_10empty_typeEbEEZZNS1_14partition_implILS8_3ELb0ES6_jNS0_17counting_iteratorIjlEEPS9_SE_NS0_5tupleIJPjSE_EEENSF_IJSE_SE_EEES9_SG_JZNS1_25segmented_radix_sort_implINS0_14default_configELb1EPKlPlSM_SN_N2at6native12_GLOBAL__N_18offset_tEEE10hipError_tPvRmT1_PNSt15iterator_traitsISV_E10value_typeET2_T3_PNSW_IS11_E10value_typeET4_jRbjT5_S17_jjP12ihipStream_tbEUljE_EEESS_ST_SU_S11_S15_S17_T6_T7_T9_mT8_S19_bDpT10_ENKUlT_T0_E_clISt17integral_constantIbLb0EES1M_EEDaS1H_S1I_EUlS1H_E_NS1_11comp_targetILNS1_3genE2ELNS1_11target_archE906ELNS1_3gpuE6ELNS1_3repE0EEENS1_30default_config_static_selectorELNS0_4arch9wavefront6targetE0EEEvSV_.has_recursion, 0
	.set _ZN7rocprim17ROCPRIM_400000_NS6detail17trampoline_kernelINS0_13select_configILj256ELj13ELNS0_17block_load_methodE3ELS4_3ELS4_3ELNS0_20block_scan_algorithmE0ELj4294967295EEENS1_25partition_config_selectorILNS1_17partition_subalgoE3EjNS0_10empty_typeEbEEZZNS1_14partition_implILS8_3ELb0ES6_jNS0_17counting_iteratorIjlEEPS9_SE_NS0_5tupleIJPjSE_EEENSF_IJSE_SE_EEES9_SG_JZNS1_25segmented_radix_sort_implINS0_14default_configELb1EPKlPlSM_SN_N2at6native12_GLOBAL__N_18offset_tEEE10hipError_tPvRmT1_PNSt15iterator_traitsISV_E10value_typeET2_T3_PNSW_IS11_E10value_typeET4_jRbjT5_S17_jjP12ihipStream_tbEUljE_EEESS_ST_SU_S11_S15_S17_T6_T7_T9_mT8_S19_bDpT10_ENKUlT_T0_E_clISt17integral_constantIbLb0EES1M_EEDaS1H_S1I_EUlS1H_E_NS1_11comp_targetILNS1_3genE2ELNS1_11target_archE906ELNS1_3gpuE6ELNS1_3repE0EEENS1_30default_config_static_selectorELNS0_4arch9wavefront6targetE0EEEvSV_.has_indirect_call, 0
	.section	.AMDGPU.csdata,"",@progbits
; Kernel info:
; codeLenInByte = 0
; TotalNumSgprs: 0
; NumVgprs: 0
; ScratchSize: 0
; MemoryBound: 0
; FloatMode: 240
; IeeeMode: 1
; LDSByteSize: 0 bytes/workgroup (compile time only)
; SGPRBlocks: 0
; VGPRBlocks: 0
; NumSGPRsForWavesPerEU: 1
; NumVGPRsForWavesPerEU: 1
; Occupancy: 16
; WaveLimiterHint : 0
; COMPUTE_PGM_RSRC2:SCRATCH_EN: 0
; COMPUTE_PGM_RSRC2:USER_SGPR: 2
; COMPUTE_PGM_RSRC2:TRAP_HANDLER: 0
; COMPUTE_PGM_RSRC2:TGID_X_EN: 1
; COMPUTE_PGM_RSRC2:TGID_Y_EN: 0
; COMPUTE_PGM_RSRC2:TGID_Z_EN: 0
; COMPUTE_PGM_RSRC2:TIDIG_COMP_CNT: 0
	.section	.text._ZN7rocprim17ROCPRIM_400000_NS6detail17trampoline_kernelINS0_13select_configILj256ELj13ELNS0_17block_load_methodE3ELS4_3ELS4_3ELNS0_20block_scan_algorithmE0ELj4294967295EEENS1_25partition_config_selectorILNS1_17partition_subalgoE3EjNS0_10empty_typeEbEEZZNS1_14partition_implILS8_3ELb0ES6_jNS0_17counting_iteratorIjlEEPS9_SE_NS0_5tupleIJPjSE_EEENSF_IJSE_SE_EEES9_SG_JZNS1_25segmented_radix_sort_implINS0_14default_configELb1EPKlPlSM_SN_N2at6native12_GLOBAL__N_18offset_tEEE10hipError_tPvRmT1_PNSt15iterator_traitsISV_E10value_typeET2_T3_PNSW_IS11_E10value_typeET4_jRbjT5_S17_jjP12ihipStream_tbEUljE_EEESS_ST_SU_S11_S15_S17_T6_T7_T9_mT8_S19_bDpT10_ENKUlT_T0_E_clISt17integral_constantIbLb0EES1M_EEDaS1H_S1I_EUlS1H_E_NS1_11comp_targetILNS1_3genE10ELNS1_11target_archE1200ELNS1_3gpuE4ELNS1_3repE0EEENS1_30default_config_static_selectorELNS0_4arch9wavefront6targetE0EEEvSV_,"axG",@progbits,_ZN7rocprim17ROCPRIM_400000_NS6detail17trampoline_kernelINS0_13select_configILj256ELj13ELNS0_17block_load_methodE3ELS4_3ELS4_3ELNS0_20block_scan_algorithmE0ELj4294967295EEENS1_25partition_config_selectorILNS1_17partition_subalgoE3EjNS0_10empty_typeEbEEZZNS1_14partition_implILS8_3ELb0ES6_jNS0_17counting_iteratorIjlEEPS9_SE_NS0_5tupleIJPjSE_EEENSF_IJSE_SE_EEES9_SG_JZNS1_25segmented_radix_sort_implINS0_14default_configELb1EPKlPlSM_SN_N2at6native12_GLOBAL__N_18offset_tEEE10hipError_tPvRmT1_PNSt15iterator_traitsISV_E10value_typeET2_T3_PNSW_IS11_E10value_typeET4_jRbjT5_S17_jjP12ihipStream_tbEUljE_EEESS_ST_SU_S11_S15_S17_T6_T7_T9_mT8_S19_bDpT10_ENKUlT_T0_E_clISt17integral_constantIbLb0EES1M_EEDaS1H_S1I_EUlS1H_E_NS1_11comp_targetILNS1_3genE10ELNS1_11target_archE1200ELNS1_3gpuE4ELNS1_3repE0EEENS1_30default_config_static_selectorELNS0_4arch9wavefront6targetE0EEEvSV_,comdat
	.globl	_ZN7rocprim17ROCPRIM_400000_NS6detail17trampoline_kernelINS0_13select_configILj256ELj13ELNS0_17block_load_methodE3ELS4_3ELS4_3ELNS0_20block_scan_algorithmE0ELj4294967295EEENS1_25partition_config_selectorILNS1_17partition_subalgoE3EjNS0_10empty_typeEbEEZZNS1_14partition_implILS8_3ELb0ES6_jNS0_17counting_iteratorIjlEEPS9_SE_NS0_5tupleIJPjSE_EEENSF_IJSE_SE_EEES9_SG_JZNS1_25segmented_radix_sort_implINS0_14default_configELb1EPKlPlSM_SN_N2at6native12_GLOBAL__N_18offset_tEEE10hipError_tPvRmT1_PNSt15iterator_traitsISV_E10value_typeET2_T3_PNSW_IS11_E10value_typeET4_jRbjT5_S17_jjP12ihipStream_tbEUljE_EEESS_ST_SU_S11_S15_S17_T6_T7_T9_mT8_S19_bDpT10_ENKUlT_T0_E_clISt17integral_constantIbLb0EES1M_EEDaS1H_S1I_EUlS1H_E_NS1_11comp_targetILNS1_3genE10ELNS1_11target_archE1200ELNS1_3gpuE4ELNS1_3repE0EEENS1_30default_config_static_selectorELNS0_4arch9wavefront6targetE0EEEvSV_ ; -- Begin function _ZN7rocprim17ROCPRIM_400000_NS6detail17trampoline_kernelINS0_13select_configILj256ELj13ELNS0_17block_load_methodE3ELS4_3ELS4_3ELNS0_20block_scan_algorithmE0ELj4294967295EEENS1_25partition_config_selectorILNS1_17partition_subalgoE3EjNS0_10empty_typeEbEEZZNS1_14partition_implILS8_3ELb0ES6_jNS0_17counting_iteratorIjlEEPS9_SE_NS0_5tupleIJPjSE_EEENSF_IJSE_SE_EEES9_SG_JZNS1_25segmented_radix_sort_implINS0_14default_configELb1EPKlPlSM_SN_N2at6native12_GLOBAL__N_18offset_tEEE10hipError_tPvRmT1_PNSt15iterator_traitsISV_E10value_typeET2_T3_PNSW_IS11_E10value_typeET4_jRbjT5_S17_jjP12ihipStream_tbEUljE_EEESS_ST_SU_S11_S15_S17_T6_T7_T9_mT8_S19_bDpT10_ENKUlT_T0_E_clISt17integral_constantIbLb0EES1M_EEDaS1H_S1I_EUlS1H_E_NS1_11comp_targetILNS1_3genE10ELNS1_11target_archE1200ELNS1_3gpuE4ELNS1_3repE0EEENS1_30default_config_static_selectorELNS0_4arch9wavefront6targetE0EEEvSV_
	.p2align	8
	.type	_ZN7rocprim17ROCPRIM_400000_NS6detail17trampoline_kernelINS0_13select_configILj256ELj13ELNS0_17block_load_methodE3ELS4_3ELS4_3ELNS0_20block_scan_algorithmE0ELj4294967295EEENS1_25partition_config_selectorILNS1_17partition_subalgoE3EjNS0_10empty_typeEbEEZZNS1_14partition_implILS8_3ELb0ES6_jNS0_17counting_iteratorIjlEEPS9_SE_NS0_5tupleIJPjSE_EEENSF_IJSE_SE_EEES9_SG_JZNS1_25segmented_radix_sort_implINS0_14default_configELb1EPKlPlSM_SN_N2at6native12_GLOBAL__N_18offset_tEEE10hipError_tPvRmT1_PNSt15iterator_traitsISV_E10value_typeET2_T3_PNSW_IS11_E10value_typeET4_jRbjT5_S17_jjP12ihipStream_tbEUljE_EEESS_ST_SU_S11_S15_S17_T6_T7_T9_mT8_S19_bDpT10_ENKUlT_T0_E_clISt17integral_constantIbLb0EES1M_EEDaS1H_S1I_EUlS1H_E_NS1_11comp_targetILNS1_3genE10ELNS1_11target_archE1200ELNS1_3gpuE4ELNS1_3repE0EEENS1_30default_config_static_selectorELNS0_4arch9wavefront6targetE0EEEvSV_,@function
_ZN7rocprim17ROCPRIM_400000_NS6detail17trampoline_kernelINS0_13select_configILj256ELj13ELNS0_17block_load_methodE3ELS4_3ELS4_3ELNS0_20block_scan_algorithmE0ELj4294967295EEENS1_25partition_config_selectorILNS1_17partition_subalgoE3EjNS0_10empty_typeEbEEZZNS1_14partition_implILS8_3ELb0ES6_jNS0_17counting_iteratorIjlEEPS9_SE_NS0_5tupleIJPjSE_EEENSF_IJSE_SE_EEES9_SG_JZNS1_25segmented_radix_sort_implINS0_14default_configELb1EPKlPlSM_SN_N2at6native12_GLOBAL__N_18offset_tEEE10hipError_tPvRmT1_PNSt15iterator_traitsISV_E10value_typeET2_T3_PNSW_IS11_E10value_typeET4_jRbjT5_S17_jjP12ihipStream_tbEUljE_EEESS_ST_SU_S11_S15_S17_T6_T7_T9_mT8_S19_bDpT10_ENKUlT_T0_E_clISt17integral_constantIbLb0EES1M_EEDaS1H_S1I_EUlS1H_E_NS1_11comp_targetILNS1_3genE10ELNS1_11target_archE1200ELNS1_3gpuE4ELNS1_3repE0EEENS1_30default_config_static_selectorELNS0_4arch9wavefront6targetE0EEEvSV_: ; @_ZN7rocprim17ROCPRIM_400000_NS6detail17trampoline_kernelINS0_13select_configILj256ELj13ELNS0_17block_load_methodE3ELS4_3ELS4_3ELNS0_20block_scan_algorithmE0ELj4294967295EEENS1_25partition_config_selectorILNS1_17partition_subalgoE3EjNS0_10empty_typeEbEEZZNS1_14partition_implILS8_3ELb0ES6_jNS0_17counting_iteratorIjlEEPS9_SE_NS0_5tupleIJPjSE_EEENSF_IJSE_SE_EEES9_SG_JZNS1_25segmented_radix_sort_implINS0_14default_configELb1EPKlPlSM_SN_N2at6native12_GLOBAL__N_18offset_tEEE10hipError_tPvRmT1_PNSt15iterator_traitsISV_E10value_typeET2_T3_PNSW_IS11_E10value_typeET4_jRbjT5_S17_jjP12ihipStream_tbEUljE_EEESS_ST_SU_S11_S15_S17_T6_T7_T9_mT8_S19_bDpT10_ENKUlT_T0_E_clISt17integral_constantIbLb0EES1M_EEDaS1H_S1I_EUlS1H_E_NS1_11comp_targetILNS1_3genE10ELNS1_11target_archE1200ELNS1_3gpuE4ELNS1_3repE0EEENS1_30default_config_static_selectorELNS0_4arch9wavefront6targetE0EEEvSV_
; %bb.0:
	s_clause 0x6
	s_load_b32 s2, s[0:1], 0x70
	s_load_b128 s[8:11], s[0:1], 0x48
	s_load_b64 s[12:13], s[0:1], 0x10
	s_load_b64 s[14:15], s[0:1], 0x58
	s_load_b32 s20, s[0:1], 0x8
	s_load_b32 s3, s[0:1], 0x88
	s_load_b128 s[4:7], s[0:1], 0x78
	s_mov_b32 s17, 0
	v_lshlrev_b32_e32 v42, 2, v0
	s_wait_kmcnt 0x0
	s_mul_i32 s16, s2, 0xd00
	s_load_b64 s[18:19], s[10:11], 0x0
	s_add_co_i32 s10, s16, s12
	s_add_co_i32 s2, s2, -1
	s_sub_co_i32 s23, s14, s10
	s_add_nc_u64 s[10:11], s[12:13], s[16:17]
	s_addk_co_i32 s23, 0xd00
	s_cmp_eq_u32 ttmp9, s2
	s_mul_i32 s16, ttmp9, 0xd00
	s_cselect_b32 s22, -1, 0
	s_cmp_lg_u32 ttmp9, s2
	v_cmp_gt_u64_e64 s10, s[14:15], s[10:11]
	s_cselect_b32 s2, -1, 0
	s_add_co_i32 s11, s20, s16
	s_mov_b32 s17, -1
	s_wait_alu 0xfffe
	s_add_co_i32 s11, s11, s12
	s_wait_alu 0xfffe
	v_add_nc_u32_e32 v1, s11, v0
	s_or_b32 s10, s2, s10
	s_wait_alu 0xfffe
	s_and_b32 vcc_lo, exec_lo, s10
	s_cbranch_vccz .LBB677_2
; %bb.1:
	v_add_nc_u32_e32 v2, 0x100, v1
	v_add_nc_u32_e32 v3, 0x200, v1
	;; [unrolled: 1-line block ×12, first 2 shown]
	ds_store_2addr_stride64_b32 v42, v1, v2 offset1:4
	ds_store_2addr_stride64_b32 v42, v3, v4 offset0:8 offset1:12
	ds_store_2addr_stride64_b32 v42, v5, v6 offset0:16 offset1:20
	;; [unrolled: 1-line block ×5, first 2 shown]
	ds_store_b32 v42, v13 offset:12288
	s_wait_dscnt 0x0
	s_barrier_signal -1
	s_mov_b32 s17, 0
	s_barrier_wait -1
.LBB677_2:
	v_cmp_gt_u32_e64 s2, s23, v0
	v_or_b32_e32 v41, 0x100, v0
	v_or_b32_e32 v40, 0x200, v0
	v_or_b32_e32 v39, 0x300, v0
	v_or_b32_e32 v38, 0x400, v0
	v_or_b32_e32 v37, 0x500, v0
	v_or_b32_e32 v36, 0x600, v0
	v_or_b32_e32 v35, 0x700, v0
	v_or_b32_e32 v34, 0x800, v0
	v_or_b32_e32 v33, 0x900, v0
	v_or_b32_e32 v32, 0xa00, v0
	v_or_b32_e32 v31, 0xb00, v0
	v_or_b32_e32 v30, 0xc00, v0
	s_and_not1_b32 vcc_lo, exec_lo, s17
	s_cbranch_vccnz .LBB677_4
; %bb.3:
	v_cmp_gt_u32_e32 vcc_lo, s23, v41
	v_add_nc_u32_e32 v3, s11, v40
	v_add_nc_u32_e32 v2, s11, v41
	v_cndmask_b32_e64 v1, 0, v1, s2
	s_delay_alu instid0(VALU_DEP_2)
	v_cndmask_b32_e32 v2, 0, v2, vcc_lo
	v_cmp_gt_u32_e32 vcc_lo, s23, v40
	s_wait_alu 0xfffd
	v_cndmask_b32_e32 v3, 0, v3, vcc_lo
	v_cmp_gt_u32_e32 vcc_lo, s23, v39
	v_add_nc_u32_e32 v5, s11, v38
	v_add_nc_u32_e32 v4, s11, v39
	s_wait_alu 0xfffd
	s_delay_alu instid0(VALU_DEP_1)
	v_cndmask_b32_e32 v4, 0, v4, vcc_lo
	v_cmp_gt_u32_e32 vcc_lo, s23, v38
	s_wait_alu 0xfffd
	v_cndmask_b32_e32 v5, 0, v5, vcc_lo
	v_cmp_gt_u32_e32 vcc_lo, s23, v37
	v_add_nc_u32_e32 v7, s11, v36
	v_add_nc_u32_e32 v6, s11, v37
	s_wait_alu 0xfffd
	s_delay_alu instid0(VALU_DEP_1)
	;; [unrolled: 9-line block ×5, first 2 shown]
	v_cndmask_b32_e32 v12, 0, v12, vcc_lo
	v_cmp_gt_u32_e32 vcc_lo, s23, v30
	s_wait_alu 0xfffd
	v_cndmask_b32_e32 v13, 0, v13, vcc_lo
	ds_store_2addr_stride64_b32 v42, v1, v2 offset1:4
	ds_store_2addr_stride64_b32 v42, v3, v4 offset0:8 offset1:12
	ds_store_2addr_stride64_b32 v42, v5, v6 offset0:16 offset1:20
	;; [unrolled: 1-line block ×5, first 2 shown]
	ds_store_b32 v42, v13 offset:12288
	s_wait_dscnt 0x0
	s_barrier_signal -1
	s_barrier_wait -1
.LBB677_4:
	v_mul_u32_u24_e32 v45, 13, v0
	global_inv scope:SCOPE_SE
	v_cndmask_b32_e64 v43, 0, 1, s10
	s_and_not1_b32 vcc_lo, exec_lo, s10
	v_lshlrev_b32_e32 v1, 2, v45
	ds_load_2addr_b32 v[26:27], v1 offset0:2 offset1:3
	ds_load_2addr_b32 v[22:23], v1 offset0:6 offset1:7
	;; [unrolled: 1-line block ×3, first 2 shown]
	ds_load_2addr_b32 v[28:29], v1 offset1:1
	ds_load_2addr_b32 v[18:19], v1 offset0:10 offset1:11
	ds_load_b32 v44, v1 offset:48
	ds_load_2addr_b32 v[20:21], v1 offset0:8 offset1:9
	s_wait_loadcnt_dscnt 0x0
	s_barrier_signal -1
	s_barrier_wait -1
	global_inv scope:SCOPE_SE
	s_wait_alu 0xfffe
	s_cbranch_vccnz .LBB677_6
; %bb.5:
	v_add_nc_u32_e32 v1, s5, v27
	v_add_nc_u32_e32 v2, s7, v27
	;; [unrolled: 1-line block ×5, first 2 shown]
	v_mul_lo_u32 v1, v1, s4
	v_mul_lo_u32 v2, v2, s6
	v_add_nc_u32_e32 v8, s7, v26
	v_add_nc_u32_e32 v3, s5, v29
	;; [unrolled: 1-line block ×3, first 2 shown]
	v_mul_lo_u32 v5, v5, s4
	v_mul_lo_u32 v4, v4, s4
	v_add_nc_u32_e32 v9, s5, v24
	v_mul_lo_u32 v3, v3, s4
	v_sub_nc_u32_e32 v1, v1, v2
	v_mul_lo_u32 v2, v7, s6
	v_mul_lo_u32 v7, v8, s6
	;; [unrolled: 1-line block ×3, first 2 shown]
	v_add_nc_u32_e32 v8, s5, v25
	v_add_nc_u32_e32 v10, s7, v24
	v_mul_lo_u32 v9, v9, s4
	v_cmp_lt_u32_e32 vcc_lo, s3, v1
	v_add_nc_u32_e32 v14, s7, v19
	v_sub_nc_u32_e32 v2, v4, v2
	v_sub_nc_u32_e32 v4, v5, v7
	v_add_nc_u32_e32 v5, s7, v25
	v_sub_nc_u32_e32 v3, v3, v6
	v_add_nc_u32_e32 v6, s5, v23
	v_add_nc_u32_e32 v7, s7, v23
	v_mul_lo_u32 v8, v8, s4
	v_mul_lo_u32 v5, v5, s6
	;; [unrolled: 1-line block ×5, first 2 shown]
	s_wait_alu 0xfffd
	v_cndmask_b32_e64 v1, 0, 1, vcc_lo
	v_cmp_lt_u32_e32 vcc_lo, s3, v3
	v_mul_lo_u32 v14, v14, s6
	v_add_nc_u32_e32 v15, s7, v21
	v_sub_nc_u32_e32 v5, v8, v5
	v_add_nc_u32_e32 v8, s7, v22
	s_wait_alu 0xfffd
	v_cndmask_b32_e64 v3, 0, 1, vcc_lo
	v_sub_nc_u32_e32 v6, v6, v7
	v_mul_lo_u32 v15, v15, s6
	v_cmp_lt_u32_e32 vcc_lo, s3, v5
	v_mul_lo_u32 v7, v8, s6
	v_sub_nc_u32_e32 v8, v9, v10
	v_add_nc_u32_e32 v9, s5, v19
	v_add_nc_u32_e32 v10, s5, v21
	s_wait_alu 0xfffd
	v_cndmask_b32_e64 v5, 0, 1, vcc_lo
	v_cmp_lt_u32_e32 vcc_lo, s3, v6
	v_add_nc_u32_e32 v11, s5, v22
	v_mul_lo_u32 v9, v9, s4
	v_mul_lo_u32 v10, v10, s4
	v_add_nc_u32_e32 v12, s5, v20
	s_wait_alu 0xfffd
	v_cndmask_b32_e64 v6, 0, 1, vcc_lo
	v_mul_lo_u32 v11, v11, s4
	v_add_nc_u32_e32 v16, s7, v20
	v_lshlrev_b16 v3, 8, v3
	v_add_nc_u32_e32 v13, s5, v18
	v_sub_nc_u32_e32 v9, v9, v14
	v_sub_nc_u32_e32 v10, v10, v15
	v_add_nc_u32_e32 v17, s7, v18
	v_mul_lo_u32 v12, v12, s4
	v_mul_lo_u32 v16, v16, s6
	v_cmp_lt_u32_e32 vcc_lo, s3, v9
	v_sub_nc_u32_e32 v7, v11, v7
	v_lshrrev_b32_e32 v3, 8, v3
	v_mul_lo_u32 v11, v13, s4
	v_mul_lo_u32 v13, v17, s6
	s_wait_alu 0xfffd
	v_cndmask_b32_e64 v9, 0, 1, vcc_lo
	v_cmp_lt_u32_e32 vcc_lo, s3, v2
	v_sub_nc_u32_e32 v12, v12, v16
	v_lshlrev_b16 v3, 8, v3
	v_lshlrev_b16 v1, 8, v1
	;; [unrolled: 1-line block ×3, first 2 shown]
	s_wait_alu 0xfffd
	v_cndmask_b32_e64 v2, 0, 1, vcc_lo
	v_cmp_lt_u32_e32 vcc_lo, s3, v10
	v_sub_nc_u32_e32 v11, v11, v13
	v_add_nc_u32_e32 v14, s5, v44
	v_add_nc_u32_e32 v15, s7, v44
	v_or_b32_e32 v2, v2, v3
	s_wait_alu 0xfffd
	v_cndmask_b32_e64 v10, 0, 1, vcc_lo
	v_cmp_lt_u32_e32 vcc_lo, s3, v4
	v_lshlrev_b16 v3, 8, v9
	v_lshrrev_b32_e32 v5, 8, v5
	v_lshrrev_b32_e32 v1, 8, v1
	v_lshlrev_b16 v9, 8, v10
	s_wait_alu 0xfffd
	v_cndmask_b32_e64 v4, 0, 1, vcc_lo
	v_cmp_lt_u32_e32 vcc_lo, s3, v8
	v_lshrrev_b32_e32 v3, 8, v3
	v_mul_lo_u32 v14, v14, s4
	v_lshrrev_b32_e32 v9, 8, v9
	v_mul_lo_u32 v15, v15, s6
	s_wait_alu 0xfffd
	v_cndmask_b32_e64 v8, 0, 1, vcc_lo
	v_cmp_lt_u32_e32 vcc_lo, s3, v7
	v_lshlrev_b16 v6, 8, v6
	v_lshlrev_b16 v1, 8, v1
	;; [unrolled: 1-line block ×4, first 2 shown]
	s_wait_alu 0xfffd
	v_cndmask_b32_e64 v7, 0, 1, vcc_lo
	v_cmp_lt_u32_e32 vcc_lo, s3, v12
	v_lshlrev_b16 v3, 8, v3
	v_sub_nc_u32_e32 v10, v14, v15
	v_or_b32_e32 v1, v4, v1
	v_or_b32_e32 v4, v8, v5
	s_wait_alu 0xfffd
	v_cndmask_b32_e64 v12, 0, 1, vcc_lo
	v_cmp_lt_u32_e32 vcc_lo, s3, v11
	v_or_b32_e32 v5, v7, v6
	v_and_b32_e32 v2, 0xffff, v2
	v_lshlrev_b32_e32 v1, 16, v1
	v_or_b32_e32 v6, v12, v9
	s_wait_alu 0xfffd
	v_cndmask_b32_e64 v11, 0, 1, vcc_lo
	v_and_b32_e32 v4, 0xffff, v4
	v_lshlrev_b32_e32 v5, 16, v5
	v_cmp_lt_u32_e32 vcc_lo, s3, v10
	v_and_b32_e32 v6, 0xffff, v6
	v_or_b32_e32 v3, v11, v3
	v_or_b32_e32 v51, v2, v1
	v_or_b32_e32 v49, v4, v5
	s_wait_alu 0xfffd
	v_cndmask_b32_e64 v46, 0, 1, vcc_lo
	v_lshlrev_b32_e32 v3, 16, v3
	s_delay_alu instid0(VALU_DEP_1)
	v_or_b32_e32 v47, v6, v3
	s_clause 0x1
	s_load_b64 s[10:11], s[0:1], 0x28
	s_load_b64 s[20:21], s[0:1], 0x68
	s_cbranch_execz .LBB677_7
	s_branch .LBB677_34
.LBB677_6:
                                        ; implicit-def: $vgpr46
                                        ; implicit-def: $vgpr47
                                        ; implicit-def: $vgpr49
                                        ; implicit-def: $vgpr51
	s_clause 0x1
	s_load_b64 s[10:11], s[0:1], 0x28
	s_load_b64 s[20:21], s[0:1], 0x68
.LBB677_7:
	v_dual_mov_b32 v2, 0 :: v_dual_mov_b32 v1, 0
	s_mov_b32 s0, exec_lo
	v_cmpx_gt_u32_e64 s23, v45
	s_cbranch_execz .LBB677_9
; %bb.8:
	v_add_nc_u32_e32 v1, s5, v28
	v_add_nc_u32_e32 v3, s7, v28
	s_delay_alu instid0(VALU_DEP_2) | instskip(NEXT) | instid1(VALU_DEP_2)
	v_mul_lo_u32 v1, v1, s4
	v_mul_lo_u32 v3, v3, s6
	s_delay_alu instid0(VALU_DEP_1) | instskip(NEXT) | instid1(VALU_DEP_1)
	v_sub_nc_u32_e32 v1, v1, v3
	v_cmp_lt_u32_e32 vcc_lo, s3, v1
	s_wait_alu 0xfffd
	v_cndmask_b32_e64 v1, 0, 1, vcc_lo
.LBB677_9:
	s_or_b32 exec_lo, exec_lo, s0
	v_add_nc_u32_e32 v3, 1, v45
	s_mov_b32 s0, exec_lo
	s_delay_alu instid0(VALU_DEP_1)
	v_cmpx_gt_u32_e64 s23, v3
	s_cbranch_execz .LBB677_11
; %bb.10:
	v_add_nc_u32_e32 v2, s5, v29
	v_add_nc_u32_e32 v3, s7, v29
	s_delay_alu instid0(VALU_DEP_2) | instskip(NEXT) | instid1(VALU_DEP_2)
	v_mul_lo_u32 v2, v2, s4
	v_mul_lo_u32 v3, v3, s6
	s_delay_alu instid0(VALU_DEP_1) | instskip(NEXT) | instid1(VALU_DEP_1)
	v_sub_nc_u32_e32 v2, v2, v3
	v_cmp_lt_u32_e32 vcc_lo, s3, v2
	s_wait_alu 0xfffd
	v_cndmask_b32_e64 v2, 0, 1, vcc_lo
.LBB677_11:
	s_or_b32 exec_lo, exec_lo, s0
	v_dual_mov_b32 v4, 0 :: v_dual_add_nc_u32 v3, 2, v45
	s_delay_alu instid0(VALU_DEP_1)
	v_cmp_gt_u32_e32 vcc_lo, s23, v3
	v_mov_b32_e32 v3, 0
	s_and_saveexec_b32 s0, vcc_lo
	s_cbranch_execz .LBB677_13
; %bb.12:
	v_add_nc_u32_e32 v3, s5, v26
	v_add_nc_u32_e32 v5, s7, v26
	s_delay_alu instid0(VALU_DEP_2) | instskip(NEXT) | instid1(VALU_DEP_2)
	v_mul_lo_u32 v3, v3, s4
	v_mul_lo_u32 v5, v5, s6
	s_delay_alu instid0(VALU_DEP_1) | instskip(NEXT) | instid1(VALU_DEP_1)
	v_sub_nc_u32_e32 v3, v3, v5
	v_cmp_lt_u32_e32 vcc_lo, s3, v3
	s_wait_alu 0xfffd
	v_cndmask_b32_e64 v3, 0, 1, vcc_lo
.LBB677_13:
	s_or_b32 exec_lo, exec_lo, s0
	v_add_nc_u32_e32 v5, 3, v45
	s_mov_b32 s0, exec_lo
	s_delay_alu instid0(VALU_DEP_1)
	v_cmpx_gt_u32_e64 s23, v5
	s_cbranch_execz .LBB677_15
; %bb.14:
	v_add_nc_u32_e32 v4, s5, v27
	v_add_nc_u32_e32 v5, s7, v27
	s_delay_alu instid0(VALU_DEP_2) | instskip(NEXT) | instid1(VALU_DEP_2)
	v_mul_lo_u32 v4, v4, s4
	v_mul_lo_u32 v5, v5, s6
	s_delay_alu instid0(VALU_DEP_1) | instskip(NEXT) | instid1(VALU_DEP_1)
	v_sub_nc_u32_e32 v4, v4, v5
	v_cmp_lt_u32_e32 vcc_lo, s3, v4
	s_wait_alu 0xfffd
	v_cndmask_b32_e64 v4, 0, 1, vcc_lo
.LBB677_15:
	s_or_b32 exec_lo, exec_lo, s0
	v_dual_mov_b32 v6, 0 :: v_dual_add_nc_u32 v5, 4, v45
	s_delay_alu instid0(VALU_DEP_1)
	v_cmp_gt_u32_e32 vcc_lo, s23, v5
	v_mov_b32_e32 v5, 0
	s_and_saveexec_b32 s0, vcc_lo
	s_cbranch_execz .LBB677_17
; %bb.16:
	v_add_nc_u32_e32 v5, s5, v24
	v_add_nc_u32_e32 v7, s7, v24
	s_delay_alu instid0(VALU_DEP_2) | instskip(NEXT) | instid1(VALU_DEP_2)
	v_mul_lo_u32 v5, v5, s4
	v_mul_lo_u32 v7, v7, s6
	s_delay_alu instid0(VALU_DEP_1) | instskip(NEXT) | instid1(VALU_DEP_1)
	v_sub_nc_u32_e32 v5, v5, v7
	v_cmp_lt_u32_e32 vcc_lo, s3, v5
	s_wait_alu 0xfffd
	v_cndmask_b32_e64 v5, 0, 1, vcc_lo
.LBB677_17:
	s_or_b32 exec_lo, exec_lo, s0
	v_add_nc_u32_e32 v7, 5, v45
	s_mov_b32 s0, exec_lo
	s_delay_alu instid0(VALU_DEP_1)
	v_cmpx_gt_u32_e64 s23, v7
	s_cbranch_execz .LBB677_19
; %bb.18:
	v_add_nc_u32_e32 v6, s5, v25
	v_add_nc_u32_e32 v7, s7, v25
	s_delay_alu instid0(VALU_DEP_2) | instskip(NEXT) | instid1(VALU_DEP_2)
	v_mul_lo_u32 v6, v6, s4
	v_mul_lo_u32 v7, v7, s6
	s_delay_alu instid0(VALU_DEP_1) | instskip(NEXT) | instid1(VALU_DEP_1)
	v_sub_nc_u32_e32 v6, v6, v7
	v_cmp_lt_u32_e32 vcc_lo, s3, v6
	s_wait_alu 0xfffd
	v_cndmask_b32_e64 v6, 0, 1, vcc_lo
.LBB677_19:
	s_or_b32 exec_lo, exec_lo, s0
	v_dual_mov_b32 v8, 0 :: v_dual_add_nc_u32 v7, 6, v45
	s_delay_alu instid0(VALU_DEP_1)
	v_cmp_gt_u32_e32 vcc_lo, s23, v7
	v_mov_b32_e32 v7, 0
	s_and_saveexec_b32 s0, vcc_lo
	s_cbranch_execz .LBB677_21
; %bb.20:
	v_add_nc_u32_e32 v7, s5, v22
	v_add_nc_u32_e32 v9, s7, v22
	s_delay_alu instid0(VALU_DEP_2) | instskip(NEXT) | instid1(VALU_DEP_2)
	v_mul_lo_u32 v7, v7, s4
	v_mul_lo_u32 v9, v9, s6
	s_delay_alu instid0(VALU_DEP_1) | instskip(NEXT) | instid1(VALU_DEP_1)
	v_sub_nc_u32_e32 v7, v7, v9
	v_cmp_lt_u32_e32 vcc_lo, s3, v7
	s_wait_alu 0xfffd
	v_cndmask_b32_e64 v7, 0, 1, vcc_lo
.LBB677_21:
	s_or_b32 exec_lo, exec_lo, s0
	v_add_nc_u32_e32 v9, 7, v45
	s_mov_b32 s0, exec_lo
	s_delay_alu instid0(VALU_DEP_1)
	v_cmpx_gt_u32_e64 s23, v9
	s_cbranch_execz .LBB677_23
; %bb.22:
	v_add_nc_u32_e32 v8, s5, v23
	v_add_nc_u32_e32 v9, s7, v23
	s_delay_alu instid0(VALU_DEP_2) | instskip(NEXT) | instid1(VALU_DEP_2)
	v_mul_lo_u32 v8, v8, s4
	v_mul_lo_u32 v9, v9, s6
	s_delay_alu instid0(VALU_DEP_1) | instskip(NEXT) | instid1(VALU_DEP_1)
	v_sub_nc_u32_e32 v8, v8, v9
	v_cmp_lt_u32_e32 vcc_lo, s3, v8
	s_wait_alu 0xfffd
	v_cndmask_b32_e64 v8, 0, 1, vcc_lo
.LBB677_23:
	s_or_b32 exec_lo, exec_lo, s0
	v_dual_mov_b32 v10, 0 :: v_dual_add_nc_u32 v9, 8, v45
	s_delay_alu instid0(VALU_DEP_1)
	v_cmp_gt_u32_e32 vcc_lo, s23, v9
	v_mov_b32_e32 v9, 0
	s_and_saveexec_b32 s0, vcc_lo
	s_cbranch_execz .LBB677_25
; %bb.24:
	v_add_nc_u32_e32 v9, s5, v20
	v_add_nc_u32_e32 v11, s7, v20
	s_delay_alu instid0(VALU_DEP_2) | instskip(NEXT) | instid1(VALU_DEP_2)
	v_mul_lo_u32 v9, v9, s4
	v_mul_lo_u32 v11, v11, s6
	s_delay_alu instid0(VALU_DEP_1) | instskip(NEXT) | instid1(VALU_DEP_1)
	v_sub_nc_u32_e32 v9, v9, v11
	v_cmp_lt_u32_e32 vcc_lo, s3, v9
	s_wait_alu 0xfffd
	v_cndmask_b32_e64 v9, 0, 1, vcc_lo
.LBB677_25:
	s_or_b32 exec_lo, exec_lo, s0
	v_add_nc_u32_e32 v11, 9, v45
	s_mov_b32 s0, exec_lo
	s_delay_alu instid0(VALU_DEP_1)
	v_cmpx_gt_u32_e64 s23, v11
	s_cbranch_execz .LBB677_27
; %bb.26:
	v_add_nc_u32_e32 v10, s5, v21
	v_add_nc_u32_e32 v11, s7, v21
	s_delay_alu instid0(VALU_DEP_2) | instskip(NEXT) | instid1(VALU_DEP_2)
	v_mul_lo_u32 v10, v10, s4
	v_mul_lo_u32 v11, v11, s6
	s_delay_alu instid0(VALU_DEP_1) | instskip(NEXT) | instid1(VALU_DEP_1)
	v_sub_nc_u32_e32 v10, v10, v11
	v_cmp_lt_u32_e32 vcc_lo, s3, v10
	s_wait_alu 0xfffd
	v_cndmask_b32_e64 v10, 0, 1, vcc_lo
.LBB677_27:
	s_or_b32 exec_lo, exec_lo, s0
	v_dual_mov_b32 v12, 0 :: v_dual_add_nc_u32 v11, 10, v45
	s_delay_alu instid0(VALU_DEP_1)
	v_cmp_gt_u32_e32 vcc_lo, s23, v11
	v_mov_b32_e32 v11, 0
	s_and_saveexec_b32 s0, vcc_lo
	s_cbranch_execz .LBB677_29
; %bb.28:
	v_add_nc_u32_e32 v11, s5, v18
	v_add_nc_u32_e32 v13, s7, v18
	s_delay_alu instid0(VALU_DEP_2) | instskip(NEXT) | instid1(VALU_DEP_2)
	v_mul_lo_u32 v11, v11, s4
	v_mul_lo_u32 v13, v13, s6
	s_delay_alu instid0(VALU_DEP_1) | instskip(NEXT) | instid1(VALU_DEP_1)
	v_sub_nc_u32_e32 v11, v11, v13
	v_cmp_lt_u32_e32 vcc_lo, s3, v11
	s_wait_alu 0xfffd
	v_cndmask_b32_e64 v11, 0, 1, vcc_lo
.LBB677_29:
	s_or_b32 exec_lo, exec_lo, s0
	v_add_nc_u32_e32 v13, 11, v45
	s_mov_b32 s0, exec_lo
	s_delay_alu instid0(VALU_DEP_1)
	v_cmpx_gt_u32_e64 s23, v13
	s_cbranch_execz .LBB677_31
; %bb.30:
	v_add_nc_u32_e32 v12, s5, v19
	v_add_nc_u32_e32 v13, s7, v19
	s_delay_alu instid0(VALU_DEP_2) | instskip(NEXT) | instid1(VALU_DEP_2)
	v_mul_lo_u32 v12, v12, s4
	v_mul_lo_u32 v13, v13, s6
	s_delay_alu instid0(VALU_DEP_1) | instskip(NEXT) | instid1(VALU_DEP_1)
	v_sub_nc_u32_e32 v12, v12, v13
	v_cmp_lt_u32_e32 vcc_lo, s3, v12
	s_wait_alu 0xfffd
	v_cndmask_b32_e64 v12, 0, 1, vcc_lo
.LBB677_31:
	s_or_b32 exec_lo, exec_lo, s0
	v_dual_mov_b32 v46, 0 :: v_dual_add_nc_u32 v13, 12, v45
	s_mov_b32 s0, exec_lo
	s_delay_alu instid0(VALU_DEP_1)
	v_cmpx_gt_u32_e64 s23, v13
	s_cbranch_execz .LBB677_33
; %bb.32:
	v_add_nc_u32_e32 v13, s5, v44
	v_add_nc_u32_e32 v14, s7, v44
	s_delay_alu instid0(VALU_DEP_2) | instskip(NEXT) | instid1(VALU_DEP_2)
	v_mul_lo_u32 v13, v13, s4
	v_mul_lo_u32 v14, v14, s6
	s_delay_alu instid0(VALU_DEP_1) | instskip(NEXT) | instid1(VALU_DEP_1)
	v_sub_nc_u32_e32 v13, v13, v14
	v_cmp_lt_u32_e32 vcc_lo, s3, v13
	s_wait_alu 0xfffd
	v_cndmask_b32_e64 v46, 0, 1, vcc_lo
.LBB677_33:
	s_or_b32 exec_lo, exec_lo, s0
	v_lshlrev_b16 v2, 8, v2
	v_lshlrev_b16 v4, 8, v4
	;; [unrolled: 1-line block ×5, first 2 shown]
	v_or_b32_e32 v1, v1, v2
	v_lshlrev_b16 v2, 8, v12
	v_or_b32_e32 v3, v3, v4
	v_or_b32_e32 v4, v5, v6
	;; [unrolled: 1-line block ×5, first 2 shown]
	v_and_b32_e32 v1, 0xffff, v1
	v_lshlrev_b32_e32 v3, 16, v3
	v_and_b32_e32 v4, 0xffff, v4
	v_lshlrev_b32_e32 v5, 16, v5
	;; [unrolled: 2-line block ×3, first 2 shown]
	v_or_b32_e32 v51, v1, v3
	s_delay_alu instid0(VALU_DEP_4) | instskip(NEXT) | instid1(VALU_DEP_3)
	v_or_b32_e32 v49, v4, v5
	v_or_b32_e32 v47, v6, v2
.LBB677_34:
	s_delay_alu instid0(VALU_DEP_3)
	v_and_b32_e32 v53, 0xff, v51
	v_bfe_u32 v54, v51, 8, 8
	v_bfe_u32 v55, v51, 16, 8
	v_lshrrev_b32_e32 v52, 24, v51
	v_and_b32_e32 v56, 0xff, v49
	v_bfe_u32 v57, v49, 8, 8
	v_bfe_u32 v58, v49, 16, 8
	v_add3_u32 v1, v54, v53, v55
	v_lshrrev_b32_e32 v50, 24, v49
	v_and_b32_e32 v59, 0xff, v47
	v_bfe_u32 v60, v47, 8, 8
	v_mbcnt_lo_u32_b32 v62, -1, 0
	v_add3_u32 v1, v1, v52, v56
	v_bfe_u32 v61, v47, 16, 8
	v_lshrrev_b32_e32 v48, 24, v47
	v_and_b32_e32 v2, 0xff, v46
	v_and_b32_e32 v3, 15, v62
	v_add3_u32 v1, v1, v57, v58
	v_or_b32_e32 v4, 31, v0
	v_and_b32_e32 v5, 16, v62
	v_lshrrev_b32_e32 v63, 5, v0
	v_cmp_eq_u32_e64 s5, 0, v3
	v_add3_u32 v1, v1, v50, v59
	v_cmp_lt_u32_e64 s4, 1, v3
	v_cmp_lt_u32_e64 s3, 3, v3
	;; [unrolled: 1-line block ×3, first 2 shown]
	v_cmp_eq_u32_e64 s1, 0, v5
	v_add3_u32 v1, v1, v60, v61
	v_cmp_eq_u32_e64 s0, v0, v4
	s_cmp_lg_u32 ttmp9, 0
	s_mov_b32 s6, -1
	v_add3_u32 v64, v1, v48, v2
	s_cbranch_scc0 .LBB677_55
; %bb.35:
	s_delay_alu instid0(VALU_DEP_1) | instskip(SKIP_1) | instid1(VALU_DEP_1)
	v_mov_b32_dpp v1, v64 row_shr:1 row_mask:0xf bank_mask:0xf
	s_wait_alu 0xf1ff
	v_cndmask_b32_e64 v1, v1, 0, s5
	s_delay_alu instid0(VALU_DEP_1) | instskip(NEXT) | instid1(VALU_DEP_1)
	v_add_nc_u32_e32 v1, v1, v64
	v_mov_b32_dpp v2, v1 row_shr:2 row_mask:0xf bank_mask:0xf
	s_delay_alu instid0(VALU_DEP_1) | instskip(NEXT) | instid1(VALU_DEP_1)
	v_cndmask_b32_e64 v2, 0, v2, s4
	v_add_nc_u32_e32 v1, v1, v2
	s_delay_alu instid0(VALU_DEP_1) | instskip(NEXT) | instid1(VALU_DEP_1)
	v_mov_b32_dpp v2, v1 row_shr:4 row_mask:0xf bank_mask:0xf
	v_cndmask_b32_e64 v2, 0, v2, s3
	s_delay_alu instid0(VALU_DEP_1) | instskip(NEXT) | instid1(VALU_DEP_1)
	v_add_nc_u32_e32 v1, v1, v2
	v_mov_b32_dpp v2, v1 row_shr:8 row_mask:0xf bank_mask:0xf
	s_delay_alu instid0(VALU_DEP_1) | instskip(NEXT) | instid1(VALU_DEP_1)
	v_cndmask_b32_e64 v2, 0, v2, s2
	v_add_nc_u32_e32 v1, v1, v2
	ds_swizzle_b32 v2, v1 offset:swizzle(BROADCAST,32,15)
	s_wait_dscnt 0x0
	v_cndmask_b32_e64 v2, v2, 0, s1
	s_delay_alu instid0(VALU_DEP_1)
	v_add_nc_u32_e32 v1, v1, v2
	s_and_saveexec_b32 s6, s0
; %bb.36:
	v_lshlrev_b32_e32 v2, 2, v63
	ds_store_b32 v2, v1
; %bb.37:
	s_wait_alu 0xfffe
	s_or_b32 exec_lo, exec_lo, s6
	s_delay_alu instid0(SALU_CYCLE_1)
	s_mov_b32 s6, exec_lo
	s_wait_loadcnt_dscnt 0x0
	s_barrier_signal -1
	s_barrier_wait -1
	global_inv scope:SCOPE_SE
	v_cmpx_gt_u32_e32 8, v0
	s_cbranch_execz .LBB677_39
; %bb.38:
	ds_load_b32 v2, v42
	s_wait_dscnt 0x0
	v_mov_b32_dpp v4, v2 row_shr:1 row_mask:0xf bank_mask:0xf
	v_and_b32_e32 v3, 7, v62
	s_delay_alu instid0(VALU_DEP_1) | instskip(SKIP_1) | instid1(VALU_DEP_3)
	v_cmp_ne_u32_e32 vcc_lo, 0, v3
	s_wait_alu 0xfffd
	v_cndmask_b32_e32 v4, 0, v4, vcc_lo
	v_cmp_lt_u32_e32 vcc_lo, 1, v3
	s_delay_alu instid0(VALU_DEP_2) | instskip(NEXT) | instid1(VALU_DEP_1)
	v_add_nc_u32_e32 v2, v4, v2
	v_mov_b32_dpp v4, v2 row_shr:2 row_mask:0xf bank_mask:0xf
	s_wait_alu 0xfffd
	s_delay_alu instid0(VALU_DEP_1) | instskip(SKIP_1) | instid1(VALU_DEP_2)
	v_cndmask_b32_e32 v4, 0, v4, vcc_lo
	v_cmp_lt_u32_e32 vcc_lo, 3, v3
	v_add_nc_u32_e32 v2, v2, v4
	s_delay_alu instid0(VALU_DEP_1) | instskip(SKIP_1) | instid1(VALU_DEP_1)
	v_mov_b32_dpp v4, v2 row_shr:4 row_mask:0xf bank_mask:0xf
	s_wait_alu 0xfffd
	v_cndmask_b32_e32 v3, 0, v4, vcc_lo
	s_delay_alu instid0(VALU_DEP_1)
	v_add_nc_u32_e32 v2, v2, v3
	ds_store_b32 v42, v2
.LBB677_39:
	s_wait_alu 0xfffe
	s_or_b32 exec_lo, exec_lo, s6
	s_delay_alu instid0(SALU_CYCLE_1)
	s_mov_b32 s7, exec_lo
	v_cmp_gt_u32_e32 vcc_lo, 32, v0
	s_wait_loadcnt_dscnt 0x0
	s_barrier_signal -1
	s_barrier_wait -1
	global_inv scope:SCOPE_SE
                                        ; implicit-def: $vgpr9
	v_cmpx_lt_u32_e32 31, v0
	s_cbranch_execz .LBB677_41
; %bb.40:
	v_lshl_add_u32 v2, v63, 2, -4
	ds_load_b32 v9, v2
	s_wait_dscnt 0x0
	v_add_nc_u32_e32 v1, v9, v1
.LBB677_41:
	s_wait_alu 0xfffe
	s_or_b32 exec_lo, exec_lo, s7
	v_sub_co_u32 v2, s6, v62, 1
	s_delay_alu instid0(VALU_DEP_1) | instskip(SKIP_1) | instid1(VALU_DEP_1)
	v_cmp_gt_i32_e64 s7, 0, v2
	s_wait_alu 0xf1ff
	v_cndmask_b32_e64 v2, v2, v62, s7
	s_delay_alu instid0(VALU_DEP_1)
	v_lshlrev_b32_e32 v2, 2, v2
	ds_bpermute_b32 v10, v2, v1
	s_and_saveexec_b32 s7, vcc_lo
	s_cbranch_execz .LBB677_60
; %bb.42:
	v_mov_b32_e32 v5, 0
	ds_load_b32 v1, v5 offset:28
	s_and_saveexec_b32 s17, s6
	s_cbranch_execz .LBB677_44
; %bb.43:
	s_add_co_i32 s24, ttmp9, 32
	s_mov_b32 s25, 0
	v_mov_b32_e32 v2, 1
	s_lshl_b64 s[24:25], s[24:25], 3
	s_wait_kmcnt 0x0
	s_add_nc_u64 s[24:25], s[20:21], s[24:25]
	s_wait_dscnt 0x0
	global_store_b64 v5, v[1:2], s[24:25] scope:SCOPE_DEV
.LBB677_44:
	s_or_b32 exec_lo, exec_lo, s17
	v_xad_u32 v3, v62, -1, ttmp9
	s_mov_b32 s24, 0
	s_mov_b32 s17, exec_lo
	s_delay_alu instid0(VALU_DEP_1) | instskip(NEXT) | instid1(VALU_DEP_1)
	v_add_nc_u32_e32 v4, 32, v3
	v_lshlrev_b64_e32 v[4:5], 3, v[4:5]
	s_wait_kmcnt 0x0
	s_delay_alu instid0(VALU_DEP_1) | instskip(SKIP_1) | instid1(VALU_DEP_2)
	v_add_co_u32 v7, vcc_lo, s20, v4
	s_wait_alu 0xfffd
	v_add_co_ci_u32_e64 v8, null, s21, v5, vcc_lo
	global_load_b64 v[5:6], v[7:8], off scope:SCOPE_DEV
	s_wait_loadcnt 0x0
	v_and_b32_e32 v2, 0xff, v6
	s_delay_alu instid0(VALU_DEP_1)
	v_cmpx_eq_u16_e32 0, v2
	s_cbranch_execz .LBB677_47
.LBB677_45:                             ; =>This Inner Loop Header: Depth=1
	global_load_b64 v[5:6], v[7:8], off scope:SCOPE_DEV
	s_wait_loadcnt 0x0
	v_and_b32_e32 v2, 0xff, v6
	s_delay_alu instid0(VALU_DEP_1) | instskip(SKIP_1) | instid1(SALU_CYCLE_1)
	v_cmp_ne_u16_e32 vcc_lo, 0, v2
	s_or_b32 s24, vcc_lo, s24
	s_and_not1_b32 exec_lo, exec_lo, s24
	s_cbranch_execnz .LBB677_45
; %bb.46:
	s_or_b32 exec_lo, exec_lo, s24
.LBB677_47:
	s_delay_alu instid0(SALU_CYCLE_1)
	s_or_b32 exec_lo, exec_lo, s17
	v_cmp_ne_u32_e32 vcc_lo, 31, v62
	v_lshlrev_b32_e64 v12, v62, -1
	v_add_nc_u32_e32 v14, 2, v62
	v_add_nc_u32_e32 v16, 4, v62
	;; [unrolled: 1-line block ×3, first 2 shown]
	s_wait_alu 0xfffd
	v_add_co_ci_u32_e64 v2, null, 0, v62, vcc_lo
	v_lshl_or_b32 v66, v62, 2, 64
	v_add_nc_u32_e32 v67, 16, v62
	s_delay_alu instid0(VALU_DEP_3)
	v_lshlrev_b32_e32 v11, 2, v2
	v_and_b32_e32 v2, 0xff, v6
	ds_bpermute_b32 v4, v11, v5
	v_cmp_eq_u16_e32 vcc_lo, 2, v2
	s_wait_alu 0xfffd
	v_and_or_b32 v2, vcc_lo, v12, 0x80000000
	v_cmp_gt_u32_e32 vcc_lo, 30, v62
	s_delay_alu instid0(VALU_DEP_2) | instskip(SKIP_2) | instid1(VALU_DEP_2)
	v_ctz_i32_b32_e32 v2, v2
	s_wait_alu 0xfffd
	v_cndmask_b32_e64 v7, 0, 2, vcc_lo
	v_cmp_lt_u32_e32 vcc_lo, v62, v2
	s_delay_alu instid0(VALU_DEP_2) | instskip(SKIP_4) | instid1(VALU_DEP_2)
	v_add_lshl_u32 v13, v7, v62, 2
	s_wait_dscnt 0x0
	s_wait_alu 0xfffd
	v_cndmask_b32_e32 v4, 0, v4, vcc_lo
	v_cmp_gt_u32_e32 vcc_lo, 28, v62
	v_add_nc_u32_e32 v4, v4, v5
	s_wait_alu 0xfffd
	v_cndmask_b32_e64 v7, 0, 4, vcc_lo
	v_cmp_le_u32_e32 vcc_lo, v14, v2
	ds_bpermute_b32 v5, v13, v4
	v_add_lshl_u32 v15, v7, v62, 2
	s_wait_dscnt 0x0
	s_wait_alu 0xfffd
	v_cndmask_b32_e32 v5, 0, v5, vcc_lo
	v_cmp_gt_u32_e32 vcc_lo, 24, v62
	s_delay_alu instid0(VALU_DEP_2)
	v_add_nc_u32_e32 v4, v4, v5
	s_wait_alu 0xfffd
	v_cndmask_b32_e64 v7, 0, 8, vcc_lo
	v_cmp_le_u32_e32 vcc_lo, v16, v2
	ds_bpermute_b32 v5, v15, v4
	v_add_lshl_u32 v17, v7, v62, 2
	s_wait_dscnt 0x0
	s_wait_alu 0xfffd
	v_cndmask_b32_e32 v5, 0, v5, vcc_lo
	v_cmp_le_u32_e32 vcc_lo, v65, v2
	s_delay_alu instid0(VALU_DEP_2)
	v_add_nc_u32_e32 v4, v4, v5
	ds_bpermute_b32 v5, v17, v4
	s_wait_dscnt 0x0
	s_wait_alu 0xfffd
	v_cndmask_b32_e32 v5, 0, v5, vcc_lo
	v_cmp_le_u32_e32 vcc_lo, v67, v2
	s_delay_alu instid0(VALU_DEP_2) | instskip(SKIP_4) | instid1(VALU_DEP_1)
	v_add_nc_u32_e32 v4, v4, v5
	ds_bpermute_b32 v5, v66, v4
	s_wait_dscnt 0x0
	s_wait_alu 0xfffd
	v_cndmask_b32_e32 v2, 0, v5, vcc_lo
	v_dual_mov_b32 v4, 0 :: v_dual_add_nc_u32 v5, v4, v2
	s_branch .LBB677_51
.LBB677_48:                             ;   in Loop: Header=BB677_51 Depth=1
	s_or_b32 exec_lo, exec_lo, s24
.LBB677_49:                             ;   in Loop: Header=BB677_51 Depth=1
	s_delay_alu instid0(SALU_CYCLE_1) | instskip(SKIP_4) | instid1(VALU_DEP_2)
	s_or_b32 exec_lo, exec_lo, s17
	ds_bpermute_b32 v8, v11, v5
	v_and_b32_e32 v7, 0xff, v6
	v_subrev_nc_u32_e32 v3, 32, v3
	s_mov_b32 s17, 0
	v_cmp_eq_u16_e32 vcc_lo, 2, v7
	s_wait_alu 0xfffd
	v_and_or_b32 v7, vcc_lo, v12, 0x80000000
	s_delay_alu instid0(VALU_DEP_1) | instskip(NEXT) | instid1(VALU_DEP_1)
	v_ctz_i32_b32_e32 v7, v7
	v_cmp_lt_u32_e32 vcc_lo, v62, v7
	s_wait_dscnt 0x0
	s_wait_alu 0xfffd
	v_cndmask_b32_e32 v8, 0, v8, vcc_lo
	v_cmp_le_u32_e32 vcc_lo, v14, v7
	s_delay_alu instid0(VALU_DEP_2)
	v_add_nc_u32_e32 v5, v8, v5
	ds_bpermute_b32 v8, v13, v5
	s_wait_dscnt 0x0
	s_wait_alu 0xfffd
	v_cndmask_b32_e32 v8, 0, v8, vcc_lo
	v_cmp_le_u32_e32 vcc_lo, v16, v7
	s_delay_alu instid0(VALU_DEP_2)
	v_add_nc_u32_e32 v5, v5, v8
	ds_bpermute_b32 v8, v15, v5
	;; [unrolled: 7-line block ×3, first 2 shown]
	s_wait_dscnt 0x0
	s_wait_alu 0xfffd
	v_cndmask_b32_e32 v8, 0, v8, vcc_lo
	v_cmp_le_u32_e32 vcc_lo, v67, v7
	s_delay_alu instid0(VALU_DEP_2) | instskip(SKIP_4) | instid1(VALU_DEP_1)
	v_add_nc_u32_e32 v5, v5, v8
	ds_bpermute_b32 v8, v66, v5
	s_wait_dscnt 0x0
	s_wait_alu 0xfffd
	v_cndmask_b32_e32 v7, 0, v8, vcc_lo
	v_add3_u32 v5, v7, v2, v5
.LBB677_50:                             ;   in Loop: Header=BB677_51 Depth=1
	s_and_b32 vcc_lo, exec_lo, s17
	s_wait_alu 0xfffe
	s_cbranch_vccnz .LBB677_56
.LBB677_51:                             ; =>This Loop Header: Depth=1
                                        ;     Child Loop BB677_54 Depth 2
	v_and_b32_e32 v2, 0xff, v6
	s_mov_b32 s17, -1
                                        ; implicit-def: $vgpr6
	s_delay_alu instid0(VALU_DEP_1)
	v_cmp_ne_u16_e32 vcc_lo, 2, v2
	v_mov_b32_e32 v2, v5
                                        ; implicit-def: $vgpr5
	s_cmp_lg_u32 vcc_lo, exec_lo
	s_cbranch_scc1 .LBB677_50
; %bb.52:                               ;   in Loop: Header=BB677_51 Depth=1
	v_lshlrev_b64_e32 v[5:6], 3, v[3:4]
	s_mov_b32 s17, exec_lo
	s_delay_alu instid0(VALU_DEP_1) | instskip(SKIP_1) | instid1(VALU_DEP_2)
	v_add_co_u32 v7, vcc_lo, s20, v5
	s_wait_alu 0xfffd
	v_add_co_ci_u32_e64 v8, null, s21, v6, vcc_lo
	global_load_b64 v[5:6], v[7:8], off scope:SCOPE_DEV
	s_wait_loadcnt 0x0
	v_and_b32_e32 v68, 0xff, v6
	s_delay_alu instid0(VALU_DEP_1)
	v_cmpx_eq_u16_e32 0, v68
	s_cbranch_execz .LBB677_49
; %bb.53:                               ;   in Loop: Header=BB677_51 Depth=1
	s_mov_b32 s24, 0
.LBB677_54:                             ;   Parent Loop BB677_51 Depth=1
                                        ; =>  This Inner Loop Header: Depth=2
	global_load_b64 v[5:6], v[7:8], off scope:SCOPE_DEV
	s_wait_loadcnt 0x0
	v_and_b32_e32 v68, 0xff, v6
	s_delay_alu instid0(VALU_DEP_1) | instskip(SKIP_1) | instid1(SALU_CYCLE_1)
	v_cmp_ne_u16_e32 vcc_lo, 0, v68
	s_or_b32 s24, vcc_lo, s24
	s_and_not1_b32 exec_lo, exec_lo, s24
	s_cbranch_execnz .LBB677_54
	s_branch .LBB677_48
.LBB677_55:
                                        ; implicit-def: $vgpr17
                                        ; implicit-def: $vgpr1_vgpr2_vgpr3_vgpr4_vgpr5_vgpr6_vgpr7_vgpr8_vgpr9_vgpr10_vgpr11_vgpr12_vgpr13_vgpr14_vgpr15_vgpr16
	s_wait_alu 0xfffe
	s_and_b32 vcc_lo, exec_lo, s6
	s_wait_alu 0xfffe
	s_cbranch_vccnz .LBB677_61
	s_branch .LBB677_70
.LBB677_56:
	s_and_saveexec_b32 s17, s6
	s_cbranch_execz .LBB677_58
; %bb.57:
	s_add_co_i32 s24, ttmp9, 32
	s_mov_b32 s25, 0
	v_dual_mov_b32 v4, 2 :: v_dual_add_nc_u32 v3, v2, v1
	v_mov_b32_e32 v5, 0
	s_lshl_b64 s[24:25], s[24:25], 3
	s_delay_alu instid0(SALU_CYCLE_1)
	s_add_nc_u64 s[24:25], s[20:21], s[24:25]
	global_store_b64 v5, v[3:4], s[24:25] scope:SCOPE_DEV
	ds_store_b64 v5, v[1:2] offset:13312
.LBB677_58:
	s_or_b32 exec_lo, exec_lo, s17
	v_cmp_eq_u32_e32 vcc_lo, 0, v0
	s_and_b32 exec_lo, exec_lo, vcc_lo
; %bb.59:
	v_mov_b32_e32 v1, 0
	ds_store_b32 v1, v2 offset:28
.LBB677_60:
	s_wait_alu 0xfffe
	s_or_b32 exec_lo, exec_lo, s7
	s_wait_dscnt 0x0
	v_cndmask_b32_e64 v2, v10, v9, s6
	v_cmp_ne_u32_e32 vcc_lo, 0, v0
	v_mov_b32_e32 v11, 0
	s_wait_loadcnt 0x0
	s_wait_storecnt 0x0
	s_barrier_signal -1
	s_barrier_wait -1
	global_inv scope:SCOPE_SE
	s_wait_alu 0xfffd
	v_cndmask_b32_e32 v2, 0, v2, vcc_lo
	ds_load_b32 v1, v11 offset:28
	s_wait_loadcnt_dscnt 0x0
	s_barrier_signal -1
	s_barrier_wait -1
	global_inv scope:SCOPE_SE
	ds_load_b64 v[16:17], v11 offset:13312
	v_add_nc_u32_e32 v1, v1, v2
	s_delay_alu instid0(VALU_DEP_1) | instskip(NEXT) | instid1(VALU_DEP_1)
	v_add_nc_u32_e32 v2, v1, v53
	v_add_nc_u32_e32 v3, v2, v54
	s_delay_alu instid0(VALU_DEP_1) | instskip(NEXT) | instid1(VALU_DEP_1)
	v_add_nc_u32_e32 v4, v3, v55
	;; [unrolled: 3-line block ×6, first 2 shown]
	v_add_nc_u32_e32 v13, v12, v48
	s_branch .LBB677_70
.LBB677_61:
	v_mov_b32_dpp v1, v64 row_shr:1 row_mask:0xf bank_mask:0xf
	s_delay_alu instid0(VALU_DEP_1) | instskip(NEXT) | instid1(VALU_DEP_1)
	v_cndmask_b32_e64 v1, v1, 0, s5
	v_add_nc_u32_e32 v1, v1, v64
	s_delay_alu instid0(VALU_DEP_1) | instskip(NEXT) | instid1(VALU_DEP_1)
	v_mov_b32_dpp v2, v1 row_shr:2 row_mask:0xf bank_mask:0xf
	v_cndmask_b32_e64 v2, 0, v2, s4
	s_delay_alu instid0(VALU_DEP_1) | instskip(NEXT) | instid1(VALU_DEP_1)
	v_add_nc_u32_e32 v1, v1, v2
	v_mov_b32_dpp v2, v1 row_shr:4 row_mask:0xf bank_mask:0xf
	s_delay_alu instid0(VALU_DEP_1) | instskip(NEXT) | instid1(VALU_DEP_1)
	v_cndmask_b32_e64 v2, 0, v2, s3
	v_add_nc_u32_e32 v1, v1, v2
	s_delay_alu instid0(VALU_DEP_1) | instskip(NEXT) | instid1(VALU_DEP_1)
	v_mov_b32_dpp v2, v1 row_shr:8 row_mask:0xf bank_mask:0xf
	v_cndmask_b32_e64 v2, 0, v2, s2
	s_delay_alu instid0(VALU_DEP_1) | instskip(SKIP_3) | instid1(VALU_DEP_1)
	v_add_nc_u32_e32 v1, v1, v2
	ds_swizzle_b32 v2, v1 offset:swizzle(BROADCAST,32,15)
	s_wait_dscnt 0x0
	v_cndmask_b32_e64 v2, v2, 0, s1
	v_add_nc_u32_e32 v1, v1, v2
	s_and_saveexec_b32 s1, s0
; %bb.62:
	v_lshlrev_b32_e32 v2, 2, v63
	ds_store_b32 v2, v1
; %bb.63:
	s_wait_alu 0xfffe
	s_or_b32 exec_lo, exec_lo, s1
	s_delay_alu instid0(SALU_CYCLE_1)
	s_mov_b32 s0, exec_lo
	s_wait_loadcnt_dscnt 0x0
	s_barrier_signal -1
	s_barrier_wait -1
	global_inv scope:SCOPE_SE
	v_cmpx_gt_u32_e32 8, v0
	s_cbranch_execz .LBB677_65
; %bb.64:
	ds_load_b32 v2, v42
	s_wait_dscnt 0x0
	v_mov_b32_dpp v4, v2 row_shr:1 row_mask:0xf bank_mask:0xf
	v_and_b32_e32 v3, 7, v62
	s_delay_alu instid0(VALU_DEP_1) | instskip(SKIP_1) | instid1(VALU_DEP_3)
	v_cmp_ne_u32_e32 vcc_lo, 0, v3
	s_wait_alu 0xfffd
	v_cndmask_b32_e32 v4, 0, v4, vcc_lo
	v_cmp_lt_u32_e32 vcc_lo, 1, v3
	s_delay_alu instid0(VALU_DEP_2) | instskip(NEXT) | instid1(VALU_DEP_1)
	v_add_nc_u32_e32 v2, v4, v2
	v_mov_b32_dpp v4, v2 row_shr:2 row_mask:0xf bank_mask:0xf
	s_wait_alu 0xfffd
	s_delay_alu instid0(VALU_DEP_1) | instskip(SKIP_1) | instid1(VALU_DEP_2)
	v_cndmask_b32_e32 v4, 0, v4, vcc_lo
	v_cmp_lt_u32_e32 vcc_lo, 3, v3
	v_add_nc_u32_e32 v2, v2, v4
	s_delay_alu instid0(VALU_DEP_1) | instskip(SKIP_1) | instid1(VALU_DEP_1)
	v_mov_b32_dpp v4, v2 row_shr:4 row_mask:0xf bank_mask:0xf
	s_wait_alu 0xfffd
	v_cndmask_b32_e32 v3, 0, v4, vcc_lo
	s_delay_alu instid0(VALU_DEP_1)
	v_add_nc_u32_e32 v2, v2, v3
	ds_store_b32 v42, v2
.LBB677_65:
	s_wait_alu 0xfffe
	s_or_b32 exec_lo, exec_lo, s0
	v_dual_mov_b32 v3, 0 :: v_dual_mov_b32 v2, 0
	s_mov_b32 s0, exec_lo
	s_wait_loadcnt_dscnt 0x0
	s_barrier_signal -1
	s_barrier_wait -1
	global_inv scope:SCOPE_SE
	v_cmpx_lt_u32_e32 31, v0
; %bb.66:
	v_lshl_add_u32 v2, v63, 2, -4
	ds_load_b32 v2, v2
; %bb.67:
	s_wait_alu 0xfffe
	s_or_b32 exec_lo, exec_lo, s0
	v_sub_co_u32 v4, vcc_lo, v62, 1
	s_wait_dscnt 0x0
	v_add_nc_u32_e32 v1, v2, v1
	ds_load_b32 v16, v3 offset:28
	v_cmp_gt_i32_e64 s0, 0, v4
	s_wait_alu 0xf1ff
	s_delay_alu instid0(VALU_DEP_1) | instskip(SKIP_1) | instid1(VALU_DEP_2)
	v_cndmask_b32_e64 v4, v4, v62, s0
	v_cmp_eq_u32_e64 s0, 0, v0
	v_lshlrev_b32_e32 v4, 2, v4
	ds_bpermute_b32 v1, v4, v1
	s_and_saveexec_b32 s1, s0
	s_cbranch_execz .LBB677_69
; %bb.68:
	v_mov_b32_e32 v3, 0
	v_mov_b32_e32 v17, 2
	s_wait_dscnt 0x1
	s_wait_kmcnt 0x0
	global_store_b64 v3, v[16:17], s[20:21] offset:256 scope:SCOPE_DEV
.LBB677_69:
	s_wait_alu 0xfffe
	s_or_b32 exec_lo, exec_lo, s1
	s_wait_dscnt 0x0
	s_wait_alu 0xfffd
	v_cndmask_b32_e32 v1, v1, v2, vcc_lo
	s_wait_loadcnt 0x0
	s_wait_storecnt 0x0
	s_barrier_signal -1
	s_barrier_wait -1
	global_inv scope:SCOPE_SE
	v_cndmask_b32_e64 v1, v1, 0, s0
	s_delay_alu instid0(VALU_DEP_1) | instskip(NEXT) | instid1(VALU_DEP_1)
	v_dual_mov_b32 v17, 0 :: v_dual_add_nc_u32 v2, v1, v53
	v_add_nc_u32_e32 v3, v2, v54
	s_delay_alu instid0(VALU_DEP_1) | instskip(NEXT) | instid1(VALU_DEP_1)
	v_add_nc_u32_e32 v4, v3, v55
	v_add_nc_u32_e32 v5, v4, v52
	s_delay_alu instid0(VALU_DEP_1) | instskip(NEXT) | instid1(VALU_DEP_1)
	v_add_nc_u32_e32 v6, v5, v56
	;; [unrolled: 3-line block ×5, first 2 shown]
	v_add_nc_u32_e32 v13, v12, v48
.LBB677_70:
	v_lshrrev_b32_e32 v56, 8, v51
	v_lshrrev_b32_e32 v55, 16, v51
	s_wait_dscnt 0x0
	v_sub_nc_u32_e32 v1, v1, v17
	v_and_b32_e32 v51, 1, v51
	v_sub_nc_u32_e32 v3, v3, v17
	v_add_nc_u32_e32 v45, v16, v45
	v_sub_nc_u32_e32 v2, v2, v17
	v_sub_nc_u32_e32 v4, v4, v17
	v_cmp_eq_u32_e32 vcc_lo, 1, v51
	v_and_b32_e32 v51, 1, v55
	v_sub_nc_u32_e32 v57, v45, v1
	v_and_b32_e32 v56, 1, v56
	v_sub_nc_u32_e32 v55, v45, v2
	v_lshrrev_b32_e32 v54, 8, v49
	v_lshrrev_b32_e32 v53, 16, v49
	s_wait_alu 0xfffd
	v_cndmask_b32_e32 v1, v57, v1, vcc_lo
	v_sub_nc_u32_e32 v57, v45, v3
	v_add_nc_u32_e32 v55, 1, v55
	v_cmp_eq_u32_e32 vcc_lo, 1, v56
	v_and_b32_e32 v52, 1, v52
	v_lshlrev_b32_e32 v1, 2, v1
	v_add_nc_u32_e32 v57, 2, v57
	v_lshrrev_b32_e32 v15, 8, v47
	v_lshrrev_b32_e32 v14, 16, v47
	ds_store_b32 v1, v28
	s_wait_alu 0xfffd
	v_cndmask_b32_e32 v1, v55, v2, vcc_lo
	v_cmp_eq_u32_e32 vcc_lo, 1, v51
	s_wait_alu 0xfffd
	s_delay_alu instid0(VALU_DEP_2)
	v_dual_cndmask_b32 v2, v57, v3 :: v_dual_lshlrev_b32 v1, 2, v1
	v_sub_nc_u32_e32 v58, v45, v4
	v_cmp_eq_u32_e32 vcc_lo, 1, v52
	ds_store_b32 v1, v29
	v_lshlrev_b32_e32 v2, 2, v2
	v_add_nc_u32_e32 v58, 3, v58
	s_wait_alu 0xfffd
	s_delay_alu instid0(VALU_DEP_1) | instskip(SKIP_2) | instid1(VALU_DEP_3)
	v_cndmask_b32_e32 v3, v58, v4, vcc_lo
	v_sub_nc_u32_e32 v4, v5, v17
	v_sub_nc_u32_e32 v5, v6, v17
	v_lshlrev_b32_e32 v3, 2, v3
	s_delay_alu instid0(VALU_DEP_3) | instskip(NEXT) | instid1(VALU_DEP_3)
	v_sub_nc_u32_e32 v1, v45, v4
	v_sub_nc_u32_e32 v6, v45, v5
	ds_store_b32 v2, v26
	ds_store_b32 v3, v27
	v_and_b32_e32 v2, 1, v49
	v_add_nc_u32_e32 v1, 4, v1
	v_add_nc_u32_e32 v3, 5, v6
	v_sub_nc_u32_e32 v6, v7, v17
	v_and_b32_e32 v7, 1, v54
	v_cmp_eq_u32_e32 vcc_lo, 1, v2
	v_sub_nc_u32_e32 v2, v8, v17
	s_wait_alu 0xfffd
	v_dual_cndmask_b32 v1, v1, v4 :: v_dual_and_b32 v8, 1, v50
	v_sub_nc_u32_e32 v4, v45, v6
	v_cmp_eq_u32_e32 vcc_lo, 1, v7
	v_and_b32_e32 v7, 1, v53
	s_delay_alu instid0(VALU_DEP_4)
	v_lshlrev_b32_e32 v1, 2, v1
	s_wait_alu 0xfffd
	v_dual_cndmask_b32 v3, v3, v5 :: v_dual_add_nc_u32 v4, 6, v4
	v_sub_nc_u32_e32 v5, v45, v2
	v_cmp_eq_u32_e32 vcc_lo, 1, v7
	v_sub_nc_u32_e32 v7, v13, v17
	s_delay_alu instid0(VALU_DEP_4)
	v_lshlrev_b32_e32 v3, 2, v3
	s_wait_alu 0xfffd
	v_dual_cndmask_b32 v4, v4, v6 :: v_dual_add_nc_u32 v5, 7, v5
	v_cmp_eq_u32_e32 vcc_lo, 1, v8
	v_sub_nc_u32_e32 v6, v9, v17
	ds_store_b32 v1, v24
	ds_store_b32 v3, v25
	s_wait_alu 0xfffd
	v_dual_cndmask_b32 v2, v5, v2 :: v_dual_lshlrev_b32 v3, 2, v4
	v_and_b32_e32 v5, 1, v47
	v_sub_nc_u32_e32 v1, v45, v6
	v_sub_nc_u32_e32 v4, v10, v17
	v_and_b32_e32 v10, 1, v48
	s_delay_alu instid0(VALU_DEP_4) | instskip(SKIP_2) | instid1(VALU_DEP_2)
	v_cmp_eq_u32_e32 vcc_lo, 1, v5
	v_sub_nc_u32_e32 v5, v12, v17
	v_add_nc_u32_e32 v1, 8, v1
	v_sub_nc_u32_e32 v9, v45, v5
	s_wait_alu 0xfffd
	s_delay_alu instid0(VALU_DEP_2)
	v_dual_cndmask_b32 v1, v1, v6 :: v_dual_and_b32 v6, 1, v15
	s_wait_kmcnt 0x0
	v_add_co_u32 v15, s0, s18, v17
	v_add_nc_u32_e32 v9, 11, v9
	v_lshlrev_b32_e32 v2, 2, v2
	ds_store_b32 v3, v22
	ds_store_b32 v2, v23
	v_sub_nc_u32_e32 v3, v11, v17
	v_sub_nc_u32_e32 v2, v45, v4
	v_cmp_eq_u32_e32 vcc_lo, 1, v6
	v_and_b32_e32 v11, 1, v46
	v_lshlrev_b32_e32 v1, 2, v1
	v_sub_nc_u32_e32 v8, v45, v3
	v_add_nc_u32_e32 v2, 9, v2
	s_wait_alu 0xf1ff
	v_add_co_ci_u32_e64 v17, null, s19, 0, s0
	s_delay_alu instid0(VALU_DEP_3) | instskip(SKIP_4) | instid1(VALU_DEP_3)
	v_add_nc_u32_e32 v6, 10, v8
	v_and_b32_e32 v8, 1, v14
	s_wait_alu 0xfffd
	v_cndmask_b32_e32 v2, v2, v4, vcc_lo
	v_sub_nc_u32_e32 v4, v45, v7
	v_cmp_eq_u32_e32 vcc_lo, 1, v8
	s_delay_alu instid0(VALU_DEP_3) | instskip(SKIP_1) | instid1(VALU_DEP_3)
	v_lshlrev_b32_e32 v2, 2, v2
	s_wait_alu 0xfffd
	v_dual_cndmask_b32 v3, v6, v3 :: v_dual_add_nc_u32 v4, 12, v4
	v_cmp_eq_u32_e32 vcc_lo, 1, v10
	s_delay_alu instid0(VALU_DEP_2) | instskip(SKIP_4) | instid1(VALU_DEP_2)
	v_lshlrev_b32_e32 v3, 2, v3
	s_wait_alu 0xfffd
	v_cndmask_b32_e32 v5, v9, v5, vcc_lo
	v_cmp_eq_u32_e32 vcc_lo, 1, v11
	s_wait_alu 0xfffd
	v_dual_cndmask_b32 v4, v4, v7 :: v_dual_lshlrev_b32 v5, 2, v5
	v_cmp_ne_u32_e32 vcc_lo, 1, v43
	s_delay_alu instid0(VALU_DEP_2)
	v_lshlrev_b32_e32 v4, 2, v4
	ds_store_b32 v1, v20
	ds_store_b32 v2, v21
	;; [unrolled: 1-line block ×5, first 2 shown]
	s_wait_loadcnt_dscnt 0x0
	s_barrier_signal -1
	s_barrier_wait -1
	global_inv scope:SCOPE_SE
	ds_load_2addr_stride64_b32 v[11:12], v42 offset1:4
	ds_load_2addr_stride64_b32 v[9:10], v42 offset0:8 offset1:12
	ds_load_2addr_stride64_b32 v[7:8], v42 offset0:16 offset1:20
	;; [unrolled: 1-line block ×5, first 2 shown]
	ds_load_b32 v18, v42 offset:12288
	s_cbranch_vccnz .LBB677_124
; %bb.71:
	s_mov_b32 s17, 0
	v_sub_co_u32 v13, vcc_lo, v15, s12
	s_sub_nc_u64 s[0:1], s[14:15], s[16:17]
	s_wait_alu 0xfffd
	v_subrev_co_ci_u32_e64 v14, null, s13, v17, vcc_lo
	s_wait_alu 0xfffe
	v_add_co_u32 v19, s0, s0, v16
	s_wait_alu 0xf1ff
	v_add_co_ci_u32_e64 v20, null, s1, 0, s0
	s_mov_b32 s0, exec_lo
	v_add_co_u32 v19, vcc_lo, v19, v13
	s_wait_alu 0xfffd
	v_add_co_ci_u32_e64 v20, null, v20, v14, vcc_lo
                                        ; implicit-def: $vgpr13_vgpr14
	v_cmpx_ge_u32_e64 v0, v16
	s_wait_alu 0xfffe
	s_xor_b32 s0, exec_lo, s0
; %bb.72:
	v_not_b32_e32 v13, v0
	s_delay_alu instid0(VALU_DEP_1) | instskip(SKIP_2) | instid1(VALU_DEP_2)
	v_ashrrev_i32_e32 v14, 31, v13
	v_add_co_u32 v13, vcc_lo, v19, v13
	s_wait_alu 0xfffd
	v_add_co_ci_u32_e64 v14, null, v20, v14, vcc_lo
; %bb.73:
	s_wait_alu 0xfffe
	s_and_not1_saveexec_b32 s0, s0
; %bb.74:
	v_add_co_u32 v13, vcc_lo, v15, v0
	s_wait_alu 0xfffd
	v_add_co_ci_u32_e64 v14, null, 0, v17, vcc_lo
; %bb.75:
	s_wait_alu 0xfffe
	s_or_b32 exec_lo, exec_lo, s0
	s_delay_alu instid0(VALU_DEP_1) | instskip(SKIP_1) | instid1(VALU_DEP_1)
	v_lshlrev_b64_e32 v[13:14], 2, v[13:14]
	s_mov_b32 s0, exec_lo
	v_add_co_u32 v13, vcc_lo, s10, v13
	s_wait_alu 0xfffd
	s_delay_alu instid0(VALU_DEP_2)
	v_add_co_ci_u32_e64 v14, null, s11, v14, vcc_lo
	s_wait_dscnt 0x6
	global_store_b32 v[13:14], v11, off
                                        ; implicit-def: $vgpr13_vgpr14
	v_cmpx_ge_u32_e64 v41, v16
	s_wait_alu 0xfffe
	s_xor_b32 s0, exec_lo, s0
; %bb.76:
	v_xor_b32_e32 v13, 0xfffffeff, v0
	s_delay_alu instid0(VALU_DEP_1) | instskip(SKIP_2) | instid1(VALU_DEP_2)
	v_ashrrev_i32_e32 v14, 31, v13
	v_add_co_u32 v13, vcc_lo, v19, v13
	s_wait_alu 0xfffd
	v_add_co_ci_u32_e64 v14, null, v20, v14, vcc_lo
; %bb.77:
	s_wait_alu 0xfffe
	s_and_not1_saveexec_b32 s0, s0
; %bb.78:
	v_add_co_u32 v13, vcc_lo, v15, v41
	s_wait_alu 0xfffd
	v_add_co_ci_u32_e64 v14, null, 0, v17, vcc_lo
; %bb.79:
	s_wait_alu 0xfffe
	s_or_b32 exec_lo, exec_lo, s0
	s_delay_alu instid0(VALU_DEP_1) | instskip(SKIP_1) | instid1(VALU_DEP_1)
	v_lshlrev_b64_e32 v[13:14], 2, v[13:14]
	s_mov_b32 s0, exec_lo
	v_add_co_u32 v13, vcc_lo, s10, v13
	s_wait_alu 0xfffd
	s_delay_alu instid0(VALU_DEP_2)
	v_add_co_ci_u32_e64 v14, null, s11, v14, vcc_lo
	global_store_b32 v[13:14], v12, off
                                        ; implicit-def: $vgpr13_vgpr14
	v_cmpx_ge_u32_e64 v40, v16
	s_wait_alu 0xfffe
	s_xor_b32 s0, exec_lo, s0
; %bb.80:
	v_xor_b32_e32 v13, 0xfffffdff, v0
	s_delay_alu instid0(VALU_DEP_1) | instskip(SKIP_2) | instid1(VALU_DEP_2)
	v_ashrrev_i32_e32 v14, 31, v13
	v_add_co_u32 v13, vcc_lo, v19, v13
	s_wait_alu 0xfffd
	v_add_co_ci_u32_e64 v14, null, v20, v14, vcc_lo
; %bb.81:
	s_wait_alu 0xfffe
	s_and_not1_saveexec_b32 s0, s0
; %bb.82:
	v_add_co_u32 v13, vcc_lo, v15, v40
	s_wait_alu 0xfffd
	v_add_co_ci_u32_e64 v14, null, 0, v17, vcc_lo
; %bb.83:
	s_wait_alu 0xfffe
	s_or_b32 exec_lo, exec_lo, s0
	s_delay_alu instid0(VALU_DEP_1) | instskip(SKIP_1) | instid1(VALU_DEP_1)
	v_lshlrev_b64_e32 v[13:14], 2, v[13:14]
	s_mov_b32 s0, exec_lo
	v_add_co_u32 v13, vcc_lo, s10, v13
	s_wait_alu 0xfffd
	s_delay_alu instid0(VALU_DEP_2)
	v_add_co_ci_u32_e64 v14, null, s11, v14, vcc_lo
	s_wait_dscnt 0x5
	global_store_b32 v[13:14], v9, off
                                        ; implicit-def: $vgpr13_vgpr14
	v_cmpx_ge_u32_e64 v39, v16
	s_wait_alu 0xfffe
	s_xor_b32 s0, exec_lo, s0
; %bb.84:
	v_xor_b32_e32 v13, 0xfffffcff, v0
	s_delay_alu instid0(VALU_DEP_1) | instskip(SKIP_2) | instid1(VALU_DEP_2)
	v_ashrrev_i32_e32 v14, 31, v13
	v_add_co_u32 v13, vcc_lo, v19, v13
	s_wait_alu 0xfffd
	v_add_co_ci_u32_e64 v14, null, v20, v14, vcc_lo
; %bb.85:
	s_wait_alu 0xfffe
	s_and_not1_saveexec_b32 s0, s0
; %bb.86:
	v_add_co_u32 v13, vcc_lo, v15, v39
	s_wait_alu 0xfffd
	v_add_co_ci_u32_e64 v14, null, 0, v17, vcc_lo
; %bb.87:
	s_wait_alu 0xfffe
	s_or_b32 exec_lo, exec_lo, s0
	s_delay_alu instid0(VALU_DEP_1) | instskip(SKIP_1) | instid1(VALU_DEP_1)
	v_lshlrev_b64_e32 v[13:14], 2, v[13:14]
	s_mov_b32 s0, exec_lo
	v_add_co_u32 v13, vcc_lo, s10, v13
	s_wait_alu 0xfffd
	s_delay_alu instid0(VALU_DEP_2)
	v_add_co_ci_u32_e64 v14, null, s11, v14, vcc_lo
	global_store_b32 v[13:14], v10, off
                                        ; implicit-def: $vgpr13_vgpr14
	v_cmpx_ge_u32_e64 v38, v16
	s_wait_alu 0xfffe
	s_xor_b32 s0, exec_lo, s0
; %bb.88:
	v_xor_b32_e32 v13, 0xfffffbff, v0
	;; [unrolled: 59-line block ×6, first 2 shown]
	s_delay_alu instid0(VALU_DEP_1) | instskip(SKIP_2) | instid1(VALU_DEP_2)
	v_ashrrev_i32_e32 v14, 31, v13
	v_add_co_u32 v13, vcc_lo, v19, v13
	s_wait_alu 0xfffd
	v_add_co_ci_u32_e64 v14, null, v20, v14, vcc_lo
; %bb.121:
	s_wait_alu 0xfffe
	s_and_not1_saveexec_b32 s0, s0
; %bb.122:
	v_add_co_u32 v13, vcc_lo, v15, v30
	s_wait_alu 0xfffd
	v_add_co_ci_u32_e64 v14, null, 0, v17, vcc_lo
; %bb.123:
	s_wait_alu 0xfffe
	s_or_b32 exec_lo, exec_lo, s0
	s_mov_b32 s0, -1
	s_branch .LBB677_204
.LBB677_124:
	s_mov_b32 s0, 0
                                        ; implicit-def: $vgpr13_vgpr14
	s_cbranch_execz .LBB677_204
; %bb.125:
	s_mov_b32 s17, 0
	s_delay_alu instid0(SALU_CYCLE_1)
	s_add_nc_u64 s[2:3], s[12:13], s[16:17]
	s_wait_alu 0xfffe
	s_sub_nc_u64 s[2:3], s[14:15], s[2:3]
	s_wait_alu 0xfffe
	v_add_co_u32 v13, s1, s2, v16
	s_wait_alu 0xf1ff
	v_add_co_ci_u32_e64 v14, null, s3, 0, s1
	s_mov_b32 s1, exec_lo
	v_add_co_u32 v19, vcc_lo, v13, v15
	s_wait_alu 0xfffd
	v_add_co_ci_u32_e64 v20, null, v14, v17, vcc_lo
	v_cmpx_gt_u32_e64 s23, v0
	s_cbranch_execz .LBB677_161
; %bb.126:
	s_mov_b32 s2, exec_lo
                                        ; implicit-def: $vgpr13_vgpr14
	v_cmpx_ge_u32_e64 v0, v16
	s_wait_alu 0xfffe
	s_xor_b32 s2, exec_lo, s2
; %bb.127:
	v_not_b32_e32 v13, v0
	s_delay_alu instid0(VALU_DEP_1) | instskip(SKIP_2) | instid1(VALU_DEP_2)
	v_ashrrev_i32_e32 v14, 31, v13
	v_add_co_u32 v13, vcc_lo, v19, v13
	s_wait_alu 0xfffd
	v_add_co_ci_u32_e64 v14, null, v20, v14, vcc_lo
; %bb.128:
	s_wait_alu 0xfffe
	s_and_not1_saveexec_b32 s2, s2
; %bb.129:
	v_add_co_u32 v13, vcc_lo, v15, v0
	s_wait_alu 0xfffd
	v_add_co_ci_u32_e64 v14, null, 0, v17, vcc_lo
; %bb.130:
	s_wait_alu 0xfffe
	s_or_b32 exec_lo, exec_lo, s2
	s_delay_alu instid0(VALU_DEP_1) | instskip(NEXT) | instid1(VALU_DEP_1)
	v_lshlrev_b64_e32 v[13:14], 2, v[13:14]
	v_add_co_u32 v13, vcc_lo, s10, v13
	s_wait_alu 0xfffd
	s_delay_alu instid0(VALU_DEP_2) | instskip(SKIP_3) | instid1(SALU_CYCLE_1)
	v_add_co_ci_u32_e64 v14, null, s11, v14, vcc_lo
	s_wait_dscnt 0x6
	global_store_b32 v[13:14], v11, off
	s_or_b32 exec_lo, exec_lo, s1
	s_mov_b32 s1, exec_lo
	v_cmpx_gt_u32_e64 s23, v41
	s_cbranch_execnz .LBB677_162
.LBB677_131:
	s_wait_alu 0xfffe
	s_or_b32 exec_lo, exec_lo, s1
	s_delay_alu instid0(SALU_CYCLE_1)
	s_mov_b32 s1, exec_lo
	v_cmpx_gt_u32_e64 s23, v40
	s_cbranch_execz .LBB677_167
.LBB677_132:
	s_mov_b32 s2, exec_lo
                                        ; implicit-def: $vgpr11_vgpr12
	v_cmpx_ge_u32_e64 v40, v16
	s_wait_alu 0xfffe
	s_xor_b32 s2, exec_lo, s2
	s_cbranch_execz .LBB677_134
; %bb.133:
	s_wait_dscnt 0x6
	v_xor_b32_e32 v11, 0xfffffdff, v0
                                        ; implicit-def: $vgpr40
	s_delay_alu instid0(VALU_DEP_1) | instskip(SKIP_2) | instid1(VALU_DEP_2)
	v_ashrrev_i32_e32 v12, 31, v11
	v_add_co_u32 v11, vcc_lo, v19, v11
	s_wait_alu 0xfffd
	v_add_co_ci_u32_e64 v12, null, v20, v12, vcc_lo
.LBB677_134:
	s_wait_alu 0xfffe
	s_and_not1_saveexec_b32 s2, s2
	s_cbranch_execz .LBB677_136
; %bb.135:
	s_wait_dscnt 0x6
	v_add_co_u32 v11, vcc_lo, v15, v40
	s_wait_alu 0xfffd
	v_add_co_ci_u32_e64 v12, null, 0, v17, vcc_lo
.LBB677_136:
	s_wait_alu 0xfffe
	s_or_b32 exec_lo, exec_lo, s2
	s_wait_dscnt 0x6
	s_delay_alu instid0(VALU_DEP_1) | instskip(NEXT) | instid1(VALU_DEP_1)
	v_lshlrev_b64_e32 v[11:12], 2, v[11:12]
	v_add_co_u32 v11, vcc_lo, s10, v11
	s_wait_alu 0xfffd
	s_delay_alu instid0(VALU_DEP_2) | instskip(SKIP_3) | instid1(SALU_CYCLE_1)
	v_add_co_ci_u32_e64 v12, null, s11, v12, vcc_lo
	s_wait_dscnt 0x5
	global_store_b32 v[11:12], v9, off
	s_or_b32 exec_lo, exec_lo, s1
	s_mov_b32 s1, exec_lo
	v_cmpx_gt_u32_e64 s23, v39
	s_cbranch_execnz .LBB677_168
.LBB677_137:
	s_wait_alu 0xfffe
	s_or_b32 exec_lo, exec_lo, s1
	s_delay_alu instid0(SALU_CYCLE_1)
	s_mov_b32 s1, exec_lo
	v_cmpx_gt_u32_e64 s23, v38
	s_cbranch_execz .LBB677_173
.LBB677_138:
	s_mov_b32 s2, exec_lo
                                        ; implicit-def: $vgpr9_vgpr10
	v_cmpx_ge_u32_e64 v38, v16
	s_wait_alu 0xfffe
	s_xor_b32 s2, exec_lo, s2
	s_cbranch_execz .LBB677_140
; %bb.139:
	s_wait_dscnt 0x5
	v_xor_b32_e32 v9, 0xfffffbff, v0
                                        ; implicit-def: $vgpr38
	s_delay_alu instid0(VALU_DEP_1) | instskip(SKIP_2) | instid1(VALU_DEP_2)
	v_ashrrev_i32_e32 v10, 31, v9
	v_add_co_u32 v9, vcc_lo, v19, v9
	s_wait_alu 0xfffd
	v_add_co_ci_u32_e64 v10, null, v20, v10, vcc_lo
.LBB677_140:
	s_wait_alu 0xfffe
	s_and_not1_saveexec_b32 s2, s2
	s_cbranch_execz .LBB677_142
; %bb.141:
	s_wait_dscnt 0x5
	v_add_co_u32 v9, vcc_lo, v15, v38
	s_wait_alu 0xfffd
	v_add_co_ci_u32_e64 v10, null, 0, v17, vcc_lo
.LBB677_142:
	s_wait_alu 0xfffe
	s_or_b32 exec_lo, exec_lo, s2
	s_wait_dscnt 0x5
	s_delay_alu instid0(VALU_DEP_1) | instskip(NEXT) | instid1(VALU_DEP_1)
	v_lshlrev_b64_e32 v[9:10], 2, v[9:10]
	v_add_co_u32 v9, vcc_lo, s10, v9
	s_wait_alu 0xfffd
	s_delay_alu instid0(VALU_DEP_2) | instskip(SKIP_3) | instid1(SALU_CYCLE_1)
	v_add_co_ci_u32_e64 v10, null, s11, v10, vcc_lo
	s_wait_dscnt 0x4
	global_store_b32 v[9:10], v7, off
	s_or_b32 exec_lo, exec_lo, s1
	s_mov_b32 s1, exec_lo
	v_cmpx_gt_u32_e64 s23, v37
	s_cbranch_execnz .LBB677_174
.LBB677_143:
	s_wait_alu 0xfffe
	s_or_b32 exec_lo, exec_lo, s1
	s_delay_alu instid0(SALU_CYCLE_1)
	s_mov_b32 s1, exec_lo
	v_cmpx_gt_u32_e64 s23, v36
	s_cbranch_execz .LBB677_179
.LBB677_144:
	s_mov_b32 s2, exec_lo
                                        ; implicit-def: $vgpr7_vgpr8
	v_cmpx_ge_u32_e64 v36, v16
	s_wait_alu 0xfffe
	s_xor_b32 s2, exec_lo, s2
	s_cbranch_execz .LBB677_146
; %bb.145:
	s_wait_dscnt 0x4
	v_xor_b32_e32 v7, 0xfffff9ff, v0
                                        ; implicit-def: $vgpr36
	s_delay_alu instid0(VALU_DEP_1) | instskip(SKIP_2) | instid1(VALU_DEP_2)
	v_ashrrev_i32_e32 v8, 31, v7
	v_add_co_u32 v7, vcc_lo, v19, v7
	s_wait_alu 0xfffd
	v_add_co_ci_u32_e64 v8, null, v20, v8, vcc_lo
.LBB677_146:
	s_wait_alu 0xfffe
	s_and_not1_saveexec_b32 s2, s2
	s_cbranch_execz .LBB677_148
; %bb.147:
	s_wait_dscnt 0x4
	v_add_co_u32 v7, vcc_lo, v15, v36
	s_wait_alu 0xfffd
	v_add_co_ci_u32_e64 v8, null, 0, v17, vcc_lo
.LBB677_148:
	s_wait_alu 0xfffe
	s_or_b32 exec_lo, exec_lo, s2
	s_wait_dscnt 0x4
	s_delay_alu instid0(VALU_DEP_1) | instskip(NEXT) | instid1(VALU_DEP_1)
	v_lshlrev_b64_e32 v[7:8], 2, v[7:8]
	v_add_co_u32 v7, vcc_lo, s10, v7
	s_wait_alu 0xfffd
	s_delay_alu instid0(VALU_DEP_2) | instskip(SKIP_3) | instid1(SALU_CYCLE_1)
	v_add_co_ci_u32_e64 v8, null, s11, v8, vcc_lo
	s_wait_dscnt 0x3
	global_store_b32 v[7:8], v5, off
	s_or_b32 exec_lo, exec_lo, s1
	s_mov_b32 s1, exec_lo
	v_cmpx_gt_u32_e64 s23, v35
	s_cbranch_execnz .LBB677_180
.LBB677_149:
	s_wait_alu 0xfffe
	s_or_b32 exec_lo, exec_lo, s1
	s_delay_alu instid0(SALU_CYCLE_1)
	s_mov_b32 s1, exec_lo
	v_cmpx_gt_u32_e64 s23, v34
	s_cbranch_execz .LBB677_185
.LBB677_150:
	s_mov_b32 s2, exec_lo
                                        ; implicit-def: $vgpr5_vgpr6
	v_cmpx_ge_u32_e64 v34, v16
	s_wait_alu 0xfffe
	s_xor_b32 s2, exec_lo, s2
	s_cbranch_execz .LBB677_152
; %bb.151:
	s_wait_dscnt 0x3
	v_xor_b32_e32 v5, 0xfffff7ff, v0
                                        ; implicit-def: $vgpr34
	s_delay_alu instid0(VALU_DEP_1) | instskip(SKIP_2) | instid1(VALU_DEP_2)
	v_ashrrev_i32_e32 v6, 31, v5
	v_add_co_u32 v5, vcc_lo, v19, v5
	s_wait_alu 0xfffd
	v_add_co_ci_u32_e64 v6, null, v20, v6, vcc_lo
.LBB677_152:
	s_wait_alu 0xfffe
	s_and_not1_saveexec_b32 s2, s2
	s_cbranch_execz .LBB677_154
; %bb.153:
	s_wait_dscnt 0x3
	v_add_co_u32 v5, vcc_lo, v15, v34
	s_wait_alu 0xfffd
	v_add_co_ci_u32_e64 v6, null, 0, v17, vcc_lo
.LBB677_154:
	s_wait_alu 0xfffe
	s_or_b32 exec_lo, exec_lo, s2
	s_wait_dscnt 0x3
	s_delay_alu instid0(VALU_DEP_1) | instskip(NEXT) | instid1(VALU_DEP_1)
	v_lshlrev_b64_e32 v[5:6], 2, v[5:6]
	v_add_co_u32 v5, vcc_lo, s10, v5
	s_wait_alu 0xfffd
	s_delay_alu instid0(VALU_DEP_2) | instskip(SKIP_3) | instid1(SALU_CYCLE_1)
	v_add_co_ci_u32_e64 v6, null, s11, v6, vcc_lo
	s_wait_dscnt 0x2
	global_store_b32 v[5:6], v3, off
	s_or_b32 exec_lo, exec_lo, s1
	s_mov_b32 s1, exec_lo
	v_cmpx_gt_u32_e64 s23, v33
	s_cbranch_execnz .LBB677_186
.LBB677_155:
	s_wait_alu 0xfffe
	s_or_b32 exec_lo, exec_lo, s1
	s_delay_alu instid0(SALU_CYCLE_1)
	s_mov_b32 s1, exec_lo
	v_cmpx_gt_u32_e64 s23, v32
	s_cbranch_execz .LBB677_191
.LBB677_156:
	s_mov_b32 s2, exec_lo
                                        ; implicit-def: $vgpr3_vgpr4
	v_cmpx_ge_u32_e64 v32, v16
	s_wait_alu 0xfffe
	s_xor_b32 s2, exec_lo, s2
	s_cbranch_execz .LBB677_158
; %bb.157:
	s_wait_dscnt 0x2
	v_xor_b32_e32 v3, 0xfffff5ff, v0
                                        ; implicit-def: $vgpr32
	s_delay_alu instid0(VALU_DEP_1) | instskip(SKIP_2) | instid1(VALU_DEP_2)
	v_ashrrev_i32_e32 v4, 31, v3
	v_add_co_u32 v3, vcc_lo, v19, v3
	s_wait_alu 0xfffd
	v_add_co_ci_u32_e64 v4, null, v20, v4, vcc_lo
.LBB677_158:
	s_wait_alu 0xfffe
	s_and_not1_saveexec_b32 s2, s2
	s_cbranch_execz .LBB677_160
; %bb.159:
	s_wait_dscnt 0x2
	v_add_co_u32 v3, vcc_lo, v15, v32
	s_wait_alu 0xfffd
	v_add_co_ci_u32_e64 v4, null, 0, v17, vcc_lo
.LBB677_160:
	s_wait_alu 0xfffe
	s_or_b32 exec_lo, exec_lo, s2
	s_wait_dscnt 0x2
	s_delay_alu instid0(VALU_DEP_1) | instskip(NEXT) | instid1(VALU_DEP_1)
	v_lshlrev_b64_e32 v[3:4], 2, v[3:4]
	v_add_co_u32 v3, vcc_lo, s10, v3
	s_wait_alu 0xfffd
	s_delay_alu instid0(VALU_DEP_2) | instskip(SKIP_3) | instid1(SALU_CYCLE_1)
	v_add_co_ci_u32_e64 v4, null, s11, v4, vcc_lo
	s_wait_dscnt 0x1
	global_store_b32 v[3:4], v1, off
	s_or_b32 exec_lo, exec_lo, s1
	s_mov_b32 s1, exec_lo
	v_cmpx_gt_u32_e64 s23, v31
	s_cbranch_execz .LBB677_197
	s_branch .LBB677_192
.LBB677_161:
	s_wait_alu 0xfffe
	s_or_b32 exec_lo, exec_lo, s1
	s_delay_alu instid0(SALU_CYCLE_1)
	s_mov_b32 s1, exec_lo
	v_cmpx_gt_u32_e64 s23, v41
	s_cbranch_execz .LBB677_131
.LBB677_162:
	s_mov_b32 s2, exec_lo
                                        ; implicit-def: $vgpr13_vgpr14
	v_cmpx_ge_u32_e64 v41, v16
	s_wait_alu 0xfffe
	s_xor_b32 s2, exec_lo, s2
	s_cbranch_execz .LBB677_164
; %bb.163:
	s_wait_dscnt 0x6
	v_xor_b32_e32 v11, 0xfffffeff, v0
                                        ; implicit-def: $vgpr41
	s_delay_alu instid0(VALU_DEP_1) | instskip(SKIP_2) | instid1(VALU_DEP_2)
	v_ashrrev_i32_e32 v14, 31, v11
	v_add_co_u32 v13, vcc_lo, v19, v11
	s_wait_alu 0xfffd
	v_add_co_ci_u32_e64 v14, null, v20, v14, vcc_lo
.LBB677_164:
	s_wait_alu 0xfffe
	s_and_not1_saveexec_b32 s2, s2
; %bb.165:
	v_add_co_u32 v13, vcc_lo, v15, v41
	s_wait_alu 0xfffd
	v_add_co_ci_u32_e64 v14, null, 0, v17, vcc_lo
; %bb.166:
	s_wait_alu 0xfffe
	s_or_b32 exec_lo, exec_lo, s2
	s_delay_alu instid0(VALU_DEP_1) | instskip(NEXT) | instid1(VALU_DEP_1)
	v_lshlrev_b64_e32 v[13:14], 2, v[13:14]
	v_add_co_u32 v13, vcc_lo, s10, v13
	s_wait_alu 0xfffd
	s_delay_alu instid0(VALU_DEP_2) | instskip(SKIP_3) | instid1(SALU_CYCLE_1)
	v_add_co_ci_u32_e64 v14, null, s11, v14, vcc_lo
	s_wait_dscnt 0x6
	global_store_b32 v[13:14], v12, off
	s_or_b32 exec_lo, exec_lo, s1
	s_mov_b32 s1, exec_lo
	v_cmpx_gt_u32_e64 s23, v40
	s_cbranch_execnz .LBB677_132
.LBB677_167:
	s_wait_alu 0xfffe
	s_or_b32 exec_lo, exec_lo, s1
	s_delay_alu instid0(SALU_CYCLE_1)
	s_mov_b32 s1, exec_lo
	v_cmpx_gt_u32_e64 s23, v39
	s_cbranch_execz .LBB677_137
.LBB677_168:
	s_mov_b32 s2, exec_lo
                                        ; implicit-def: $vgpr11_vgpr12
	v_cmpx_ge_u32_e64 v39, v16
	s_wait_alu 0xfffe
	s_xor_b32 s2, exec_lo, s2
	s_cbranch_execz .LBB677_170
; %bb.169:
	s_wait_dscnt 0x5
	v_xor_b32_e32 v9, 0xfffffcff, v0
                                        ; implicit-def: $vgpr39
	s_delay_alu instid0(VALU_DEP_1) | instskip(SKIP_2) | instid1(VALU_DEP_2)
	v_ashrrev_i32_e32 v12, 31, v9
	v_add_co_u32 v11, vcc_lo, v19, v9
	s_wait_alu 0xfffd
	v_add_co_ci_u32_e64 v12, null, v20, v12, vcc_lo
.LBB677_170:
	s_wait_alu 0xfffe
	s_and_not1_saveexec_b32 s2, s2
	s_cbranch_execz .LBB677_172
; %bb.171:
	s_wait_dscnt 0x6
	v_add_co_u32 v11, vcc_lo, v15, v39
	s_wait_alu 0xfffd
	v_add_co_ci_u32_e64 v12, null, 0, v17, vcc_lo
.LBB677_172:
	s_wait_alu 0xfffe
	s_or_b32 exec_lo, exec_lo, s2
	s_wait_dscnt 0x6
	s_delay_alu instid0(VALU_DEP_1) | instskip(NEXT) | instid1(VALU_DEP_1)
	v_lshlrev_b64_e32 v[11:12], 2, v[11:12]
	v_add_co_u32 v11, vcc_lo, s10, v11
	s_wait_alu 0xfffd
	s_delay_alu instid0(VALU_DEP_2) | instskip(SKIP_3) | instid1(SALU_CYCLE_1)
	v_add_co_ci_u32_e64 v12, null, s11, v12, vcc_lo
	s_wait_dscnt 0x5
	global_store_b32 v[11:12], v10, off
	s_or_b32 exec_lo, exec_lo, s1
	s_mov_b32 s1, exec_lo
	v_cmpx_gt_u32_e64 s23, v38
	s_cbranch_execnz .LBB677_138
.LBB677_173:
	s_wait_alu 0xfffe
	s_or_b32 exec_lo, exec_lo, s1
	s_delay_alu instid0(SALU_CYCLE_1)
	s_mov_b32 s1, exec_lo
	v_cmpx_gt_u32_e64 s23, v37
	s_cbranch_execz .LBB677_143
.LBB677_174:
	s_mov_b32 s2, exec_lo
                                        ; implicit-def: $vgpr9_vgpr10
	v_cmpx_ge_u32_e64 v37, v16
	s_wait_alu 0xfffe
	s_xor_b32 s2, exec_lo, s2
	s_cbranch_execz .LBB677_176
; %bb.175:
	s_wait_dscnt 0x4
	v_xor_b32_e32 v7, 0xfffffaff, v0
                                        ; implicit-def: $vgpr37
	s_delay_alu instid0(VALU_DEP_1) | instskip(SKIP_2) | instid1(VALU_DEP_2)
	v_ashrrev_i32_e32 v10, 31, v7
	v_add_co_u32 v9, vcc_lo, v19, v7
	s_wait_alu 0xfffd
	v_add_co_ci_u32_e64 v10, null, v20, v10, vcc_lo
.LBB677_176:
	s_wait_alu 0xfffe
	s_and_not1_saveexec_b32 s2, s2
	s_cbranch_execz .LBB677_178
; %bb.177:
	s_wait_dscnt 0x5
	v_add_co_u32 v9, vcc_lo, v15, v37
	s_wait_alu 0xfffd
	v_add_co_ci_u32_e64 v10, null, 0, v17, vcc_lo
.LBB677_178:
	s_wait_alu 0xfffe
	s_or_b32 exec_lo, exec_lo, s2
	s_wait_dscnt 0x5
	s_delay_alu instid0(VALU_DEP_1) | instskip(NEXT) | instid1(VALU_DEP_1)
	v_lshlrev_b64_e32 v[9:10], 2, v[9:10]
	v_add_co_u32 v9, vcc_lo, s10, v9
	s_wait_alu 0xfffd
	s_delay_alu instid0(VALU_DEP_2) | instskip(SKIP_3) | instid1(SALU_CYCLE_1)
	v_add_co_ci_u32_e64 v10, null, s11, v10, vcc_lo
	s_wait_dscnt 0x4
	global_store_b32 v[9:10], v8, off
	s_or_b32 exec_lo, exec_lo, s1
	s_mov_b32 s1, exec_lo
	v_cmpx_gt_u32_e64 s23, v36
	s_cbranch_execnz .LBB677_144
.LBB677_179:
	s_wait_alu 0xfffe
	s_or_b32 exec_lo, exec_lo, s1
	s_delay_alu instid0(SALU_CYCLE_1)
	s_mov_b32 s1, exec_lo
	v_cmpx_gt_u32_e64 s23, v35
	s_cbranch_execz .LBB677_149
.LBB677_180:
	s_mov_b32 s2, exec_lo
                                        ; implicit-def: $vgpr7_vgpr8
	v_cmpx_ge_u32_e64 v35, v16
	s_wait_alu 0xfffe
	s_xor_b32 s2, exec_lo, s2
	s_cbranch_execz .LBB677_182
; %bb.181:
	s_wait_dscnt 0x3
	v_xor_b32_e32 v5, 0xfffff8ff, v0
                                        ; implicit-def: $vgpr35
	s_delay_alu instid0(VALU_DEP_1) | instskip(SKIP_2) | instid1(VALU_DEP_2)
	v_ashrrev_i32_e32 v8, 31, v5
	v_add_co_u32 v7, vcc_lo, v19, v5
	s_wait_alu 0xfffd
	v_add_co_ci_u32_e64 v8, null, v20, v8, vcc_lo
.LBB677_182:
	s_wait_alu 0xfffe
	s_and_not1_saveexec_b32 s2, s2
	s_cbranch_execz .LBB677_184
; %bb.183:
	s_wait_dscnt 0x4
	v_add_co_u32 v7, vcc_lo, v15, v35
	s_wait_alu 0xfffd
	v_add_co_ci_u32_e64 v8, null, 0, v17, vcc_lo
.LBB677_184:
	s_wait_alu 0xfffe
	s_or_b32 exec_lo, exec_lo, s2
	s_wait_dscnt 0x4
	s_delay_alu instid0(VALU_DEP_1) | instskip(NEXT) | instid1(VALU_DEP_1)
	v_lshlrev_b64_e32 v[7:8], 2, v[7:8]
	v_add_co_u32 v7, vcc_lo, s10, v7
	s_wait_alu 0xfffd
	s_delay_alu instid0(VALU_DEP_2) | instskip(SKIP_3) | instid1(SALU_CYCLE_1)
	v_add_co_ci_u32_e64 v8, null, s11, v8, vcc_lo
	s_wait_dscnt 0x3
	global_store_b32 v[7:8], v6, off
	s_or_b32 exec_lo, exec_lo, s1
	s_mov_b32 s1, exec_lo
	v_cmpx_gt_u32_e64 s23, v34
	s_cbranch_execnz .LBB677_150
.LBB677_185:
	s_wait_alu 0xfffe
	s_or_b32 exec_lo, exec_lo, s1
	s_delay_alu instid0(SALU_CYCLE_1)
	s_mov_b32 s1, exec_lo
	v_cmpx_gt_u32_e64 s23, v33
	s_cbranch_execz .LBB677_155
.LBB677_186:
	s_mov_b32 s2, exec_lo
                                        ; implicit-def: $vgpr5_vgpr6
	v_cmpx_ge_u32_e64 v33, v16
	s_wait_alu 0xfffe
	s_xor_b32 s2, exec_lo, s2
	s_cbranch_execz .LBB677_188
; %bb.187:
	s_wait_dscnt 0x2
	v_xor_b32_e32 v3, 0xfffff6ff, v0
                                        ; implicit-def: $vgpr33
	s_delay_alu instid0(VALU_DEP_1) | instskip(SKIP_2) | instid1(VALU_DEP_2)
	v_ashrrev_i32_e32 v6, 31, v3
	v_add_co_u32 v5, vcc_lo, v19, v3
	s_wait_alu 0xfffd
	v_add_co_ci_u32_e64 v6, null, v20, v6, vcc_lo
.LBB677_188:
	s_wait_alu 0xfffe
	s_and_not1_saveexec_b32 s2, s2
	s_cbranch_execz .LBB677_190
; %bb.189:
	s_wait_dscnt 0x3
	v_add_co_u32 v5, vcc_lo, v15, v33
	s_wait_alu 0xfffd
	v_add_co_ci_u32_e64 v6, null, 0, v17, vcc_lo
.LBB677_190:
	s_wait_alu 0xfffe
	s_or_b32 exec_lo, exec_lo, s2
	s_wait_dscnt 0x3
	s_delay_alu instid0(VALU_DEP_1) | instskip(NEXT) | instid1(VALU_DEP_1)
	v_lshlrev_b64_e32 v[5:6], 2, v[5:6]
	v_add_co_u32 v5, vcc_lo, s10, v5
	s_wait_alu 0xfffd
	s_delay_alu instid0(VALU_DEP_2) | instskip(SKIP_3) | instid1(SALU_CYCLE_1)
	v_add_co_ci_u32_e64 v6, null, s11, v6, vcc_lo
	s_wait_dscnt 0x2
	global_store_b32 v[5:6], v4, off
	s_or_b32 exec_lo, exec_lo, s1
	s_mov_b32 s1, exec_lo
	v_cmpx_gt_u32_e64 s23, v32
	s_cbranch_execnz .LBB677_156
.LBB677_191:
	s_wait_alu 0xfffe
	s_or_b32 exec_lo, exec_lo, s1
	s_delay_alu instid0(SALU_CYCLE_1)
	s_mov_b32 s1, exec_lo
	v_cmpx_gt_u32_e64 s23, v31
	s_cbranch_execz .LBB677_197
.LBB677_192:
	s_mov_b32 s2, exec_lo
                                        ; implicit-def: $vgpr3_vgpr4
	v_cmpx_ge_u32_e64 v31, v16
	s_wait_alu 0xfffe
	s_xor_b32 s2, exec_lo, s2
	s_cbranch_execz .LBB677_194
; %bb.193:
	s_wait_dscnt 0x1
	v_xor_b32_e32 v1, 0xfffff4ff, v0
                                        ; implicit-def: $vgpr31
	s_delay_alu instid0(VALU_DEP_1) | instskip(SKIP_2) | instid1(VALU_DEP_2)
	v_ashrrev_i32_e32 v4, 31, v1
	v_add_co_u32 v3, vcc_lo, v19, v1
	s_wait_alu 0xfffd
	v_add_co_ci_u32_e64 v4, null, v20, v4, vcc_lo
.LBB677_194:
	s_wait_alu 0xfffe
	s_and_not1_saveexec_b32 s2, s2
	s_cbranch_execz .LBB677_196
; %bb.195:
	s_wait_dscnt 0x2
	v_add_co_u32 v3, vcc_lo, v15, v31
	s_wait_alu 0xfffd
	v_add_co_ci_u32_e64 v4, null, 0, v17, vcc_lo
.LBB677_196:
	s_wait_alu 0xfffe
	s_or_b32 exec_lo, exec_lo, s2
	s_wait_dscnt 0x2
	s_delay_alu instid0(VALU_DEP_1) | instskip(NEXT) | instid1(VALU_DEP_1)
	v_lshlrev_b64_e32 v[3:4], 2, v[3:4]
	v_add_co_u32 v3, vcc_lo, s10, v3
	s_wait_alu 0xfffd
	s_delay_alu instid0(VALU_DEP_2)
	v_add_co_ci_u32_e64 v4, null, s11, v4, vcc_lo
	s_wait_dscnt 0x1
	global_store_b32 v[3:4], v2, off
.LBB677_197:
	s_wait_alu 0xfffe
	s_or_b32 exec_lo, exec_lo, s1
	s_delay_alu instid0(SALU_CYCLE_1)
	s_mov_b32 s1, exec_lo
                                        ; implicit-def: $vgpr13_vgpr14
	v_cmpx_gt_u32_e64 s23, v30
	s_cbranch_execz .LBB677_203
; %bb.198:
	s_mov_b32 s2, exec_lo
                                        ; implicit-def: $vgpr13_vgpr14
	v_cmpx_ge_u32_e64 v30, v16
	s_wait_alu 0xfffe
	s_xor_b32 s2, exec_lo, s2
	s_cbranch_execz .LBB677_200
; %bb.199:
	s_wait_dscnt 0x1
	v_xor_b32_e32 v1, 0xfffff3ff, v0
                                        ; implicit-def: $vgpr30
	s_delay_alu instid0(VALU_DEP_1) | instskip(SKIP_2) | instid1(VALU_DEP_2)
	v_ashrrev_i32_e32 v2, 31, v1
	v_add_co_u32 v13, vcc_lo, v19, v1
	s_wait_alu 0xfffd
	v_add_co_ci_u32_e64 v14, null, v20, v2, vcc_lo
.LBB677_200:
	s_wait_alu 0xfffe
	s_and_not1_saveexec_b32 s2, s2
; %bb.201:
	v_add_co_u32 v13, vcc_lo, v15, v30
	s_wait_alu 0xfffd
	v_add_co_ci_u32_e64 v14, null, 0, v17, vcc_lo
; %bb.202:
	s_wait_alu 0xfffe
	s_or_b32 exec_lo, exec_lo, s2
	s_delay_alu instid0(SALU_CYCLE_1)
	s_or_b32 s0, s0, exec_lo
.LBB677_203:
	s_wait_alu 0xfffe
	s_or_b32 exec_lo, exec_lo, s1
.LBB677_204:
	s_wait_alu 0xfffe
	s_and_saveexec_b32 s1, s0
	s_cbranch_execz .LBB677_206
; %bb.205:
	s_wait_dscnt 0x1
	v_lshlrev_b64_e32 v[1:2], 2, v[13:14]
	s_delay_alu instid0(VALU_DEP_1) | instskip(SKIP_1) | instid1(VALU_DEP_2)
	v_add_co_u32 v1, vcc_lo, s10, v1
	s_wait_alu 0xfffd
	v_add_co_ci_u32_e64 v2, null, s11, v2, vcc_lo
	s_wait_dscnt 0x0
	global_store_b32 v[1:2], v18, off
.LBB677_206:
	s_wait_alu 0xfffe
	s_or_b32 exec_lo, exec_lo, s1
	v_cmp_eq_u32_e32 vcc_lo, 0, v0
	s_and_b32 s0, vcc_lo, s22
	s_wait_alu 0xfffe
	s_and_saveexec_b32 s1, s0
	s_cbranch_execz .LBB677_208
; %bb.207:
	v_add_co_u32 v0, vcc_lo, v15, v16
	s_wait_dscnt 0x1
	v_mov_b32_e32 v2, 0
	s_wait_alu 0xfffd
	v_add_co_ci_u32_e64 v1, null, 0, v17, vcc_lo
	global_store_b64 v2, v[0:1], s[8:9]
.LBB677_208:
	s_endpgm
	.section	.rodata,"a",@progbits
	.p2align	6, 0x0
	.amdhsa_kernel _ZN7rocprim17ROCPRIM_400000_NS6detail17trampoline_kernelINS0_13select_configILj256ELj13ELNS0_17block_load_methodE3ELS4_3ELS4_3ELNS0_20block_scan_algorithmE0ELj4294967295EEENS1_25partition_config_selectorILNS1_17partition_subalgoE3EjNS0_10empty_typeEbEEZZNS1_14partition_implILS8_3ELb0ES6_jNS0_17counting_iteratorIjlEEPS9_SE_NS0_5tupleIJPjSE_EEENSF_IJSE_SE_EEES9_SG_JZNS1_25segmented_radix_sort_implINS0_14default_configELb1EPKlPlSM_SN_N2at6native12_GLOBAL__N_18offset_tEEE10hipError_tPvRmT1_PNSt15iterator_traitsISV_E10value_typeET2_T3_PNSW_IS11_E10value_typeET4_jRbjT5_S17_jjP12ihipStream_tbEUljE_EEESS_ST_SU_S11_S15_S17_T6_T7_T9_mT8_S19_bDpT10_ENKUlT_T0_E_clISt17integral_constantIbLb0EES1M_EEDaS1H_S1I_EUlS1H_E_NS1_11comp_targetILNS1_3genE10ELNS1_11target_archE1200ELNS1_3gpuE4ELNS1_3repE0EEENS1_30default_config_static_selectorELNS0_4arch9wavefront6targetE0EEEvSV_
		.amdhsa_group_segment_fixed_size 13320
		.amdhsa_private_segment_fixed_size 0
		.amdhsa_kernarg_size 144
		.amdhsa_user_sgpr_count 2
		.amdhsa_user_sgpr_dispatch_ptr 0
		.amdhsa_user_sgpr_queue_ptr 0
		.amdhsa_user_sgpr_kernarg_segment_ptr 1
		.amdhsa_user_sgpr_dispatch_id 0
		.amdhsa_user_sgpr_private_segment_size 0
		.amdhsa_wavefront_size32 1
		.amdhsa_uses_dynamic_stack 0
		.amdhsa_enable_private_segment 0
		.amdhsa_system_sgpr_workgroup_id_x 1
		.amdhsa_system_sgpr_workgroup_id_y 0
		.amdhsa_system_sgpr_workgroup_id_z 0
		.amdhsa_system_sgpr_workgroup_info 0
		.amdhsa_system_vgpr_workitem_id 0
		.amdhsa_next_free_vgpr 69
		.amdhsa_next_free_sgpr 26
		.amdhsa_reserve_vcc 1
		.amdhsa_float_round_mode_32 0
		.amdhsa_float_round_mode_16_64 0
		.amdhsa_float_denorm_mode_32 3
		.amdhsa_float_denorm_mode_16_64 3
		.amdhsa_fp16_overflow 0
		.amdhsa_workgroup_processor_mode 1
		.amdhsa_memory_ordered 1
		.amdhsa_forward_progress 1
		.amdhsa_inst_pref_size 84
		.amdhsa_round_robin_scheduling 0
		.amdhsa_exception_fp_ieee_invalid_op 0
		.amdhsa_exception_fp_denorm_src 0
		.amdhsa_exception_fp_ieee_div_zero 0
		.amdhsa_exception_fp_ieee_overflow 0
		.amdhsa_exception_fp_ieee_underflow 0
		.amdhsa_exception_fp_ieee_inexact 0
		.amdhsa_exception_int_div_zero 0
	.end_amdhsa_kernel
	.section	.text._ZN7rocprim17ROCPRIM_400000_NS6detail17trampoline_kernelINS0_13select_configILj256ELj13ELNS0_17block_load_methodE3ELS4_3ELS4_3ELNS0_20block_scan_algorithmE0ELj4294967295EEENS1_25partition_config_selectorILNS1_17partition_subalgoE3EjNS0_10empty_typeEbEEZZNS1_14partition_implILS8_3ELb0ES6_jNS0_17counting_iteratorIjlEEPS9_SE_NS0_5tupleIJPjSE_EEENSF_IJSE_SE_EEES9_SG_JZNS1_25segmented_radix_sort_implINS0_14default_configELb1EPKlPlSM_SN_N2at6native12_GLOBAL__N_18offset_tEEE10hipError_tPvRmT1_PNSt15iterator_traitsISV_E10value_typeET2_T3_PNSW_IS11_E10value_typeET4_jRbjT5_S17_jjP12ihipStream_tbEUljE_EEESS_ST_SU_S11_S15_S17_T6_T7_T9_mT8_S19_bDpT10_ENKUlT_T0_E_clISt17integral_constantIbLb0EES1M_EEDaS1H_S1I_EUlS1H_E_NS1_11comp_targetILNS1_3genE10ELNS1_11target_archE1200ELNS1_3gpuE4ELNS1_3repE0EEENS1_30default_config_static_selectorELNS0_4arch9wavefront6targetE0EEEvSV_,"axG",@progbits,_ZN7rocprim17ROCPRIM_400000_NS6detail17trampoline_kernelINS0_13select_configILj256ELj13ELNS0_17block_load_methodE3ELS4_3ELS4_3ELNS0_20block_scan_algorithmE0ELj4294967295EEENS1_25partition_config_selectorILNS1_17partition_subalgoE3EjNS0_10empty_typeEbEEZZNS1_14partition_implILS8_3ELb0ES6_jNS0_17counting_iteratorIjlEEPS9_SE_NS0_5tupleIJPjSE_EEENSF_IJSE_SE_EEES9_SG_JZNS1_25segmented_radix_sort_implINS0_14default_configELb1EPKlPlSM_SN_N2at6native12_GLOBAL__N_18offset_tEEE10hipError_tPvRmT1_PNSt15iterator_traitsISV_E10value_typeET2_T3_PNSW_IS11_E10value_typeET4_jRbjT5_S17_jjP12ihipStream_tbEUljE_EEESS_ST_SU_S11_S15_S17_T6_T7_T9_mT8_S19_bDpT10_ENKUlT_T0_E_clISt17integral_constantIbLb0EES1M_EEDaS1H_S1I_EUlS1H_E_NS1_11comp_targetILNS1_3genE10ELNS1_11target_archE1200ELNS1_3gpuE4ELNS1_3repE0EEENS1_30default_config_static_selectorELNS0_4arch9wavefront6targetE0EEEvSV_,comdat
.Lfunc_end677:
	.size	_ZN7rocprim17ROCPRIM_400000_NS6detail17trampoline_kernelINS0_13select_configILj256ELj13ELNS0_17block_load_methodE3ELS4_3ELS4_3ELNS0_20block_scan_algorithmE0ELj4294967295EEENS1_25partition_config_selectorILNS1_17partition_subalgoE3EjNS0_10empty_typeEbEEZZNS1_14partition_implILS8_3ELb0ES6_jNS0_17counting_iteratorIjlEEPS9_SE_NS0_5tupleIJPjSE_EEENSF_IJSE_SE_EEES9_SG_JZNS1_25segmented_radix_sort_implINS0_14default_configELb1EPKlPlSM_SN_N2at6native12_GLOBAL__N_18offset_tEEE10hipError_tPvRmT1_PNSt15iterator_traitsISV_E10value_typeET2_T3_PNSW_IS11_E10value_typeET4_jRbjT5_S17_jjP12ihipStream_tbEUljE_EEESS_ST_SU_S11_S15_S17_T6_T7_T9_mT8_S19_bDpT10_ENKUlT_T0_E_clISt17integral_constantIbLb0EES1M_EEDaS1H_S1I_EUlS1H_E_NS1_11comp_targetILNS1_3genE10ELNS1_11target_archE1200ELNS1_3gpuE4ELNS1_3repE0EEENS1_30default_config_static_selectorELNS0_4arch9wavefront6targetE0EEEvSV_, .Lfunc_end677-_ZN7rocprim17ROCPRIM_400000_NS6detail17trampoline_kernelINS0_13select_configILj256ELj13ELNS0_17block_load_methodE3ELS4_3ELS4_3ELNS0_20block_scan_algorithmE0ELj4294967295EEENS1_25partition_config_selectorILNS1_17partition_subalgoE3EjNS0_10empty_typeEbEEZZNS1_14partition_implILS8_3ELb0ES6_jNS0_17counting_iteratorIjlEEPS9_SE_NS0_5tupleIJPjSE_EEENSF_IJSE_SE_EEES9_SG_JZNS1_25segmented_radix_sort_implINS0_14default_configELb1EPKlPlSM_SN_N2at6native12_GLOBAL__N_18offset_tEEE10hipError_tPvRmT1_PNSt15iterator_traitsISV_E10value_typeET2_T3_PNSW_IS11_E10value_typeET4_jRbjT5_S17_jjP12ihipStream_tbEUljE_EEESS_ST_SU_S11_S15_S17_T6_T7_T9_mT8_S19_bDpT10_ENKUlT_T0_E_clISt17integral_constantIbLb0EES1M_EEDaS1H_S1I_EUlS1H_E_NS1_11comp_targetILNS1_3genE10ELNS1_11target_archE1200ELNS1_3gpuE4ELNS1_3repE0EEENS1_30default_config_static_selectorELNS0_4arch9wavefront6targetE0EEEvSV_
                                        ; -- End function
	.set _ZN7rocprim17ROCPRIM_400000_NS6detail17trampoline_kernelINS0_13select_configILj256ELj13ELNS0_17block_load_methodE3ELS4_3ELS4_3ELNS0_20block_scan_algorithmE0ELj4294967295EEENS1_25partition_config_selectorILNS1_17partition_subalgoE3EjNS0_10empty_typeEbEEZZNS1_14partition_implILS8_3ELb0ES6_jNS0_17counting_iteratorIjlEEPS9_SE_NS0_5tupleIJPjSE_EEENSF_IJSE_SE_EEES9_SG_JZNS1_25segmented_radix_sort_implINS0_14default_configELb1EPKlPlSM_SN_N2at6native12_GLOBAL__N_18offset_tEEE10hipError_tPvRmT1_PNSt15iterator_traitsISV_E10value_typeET2_T3_PNSW_IS11_E10value_typeET4_jRbjT5_S17_jjP12ihipStream_tbEUljE_EEESS_ST_SU_S11_S15_S17_T6_T7_T9_mT8_S19_bDpT10_ENKUlT_T0_E_clISt17integral_constantIbLb0EES1M_EEDaS1H_S1I_EUlS1H_E_NS1_11comp_targetILNS1_3genE10ELNS1_11target_archE1200ELNS1_3gpuE4ELNS1_3repE0EEENS1_30default_config_static_selectorELNS0_4arch9wavefront6targetE0EEEvSV_.num_vgpr, 69
	.set _ZN7rocprim17ROCPRIM_400000_NS6detail17trampoline_kernelINS0_13select_configILj256ELj13ELNS0_17block_load_methodE3ELS4_3ELS4_3ELNS0_20block_scan_algorithmE0ELj4294967295EEENS1_25partition_config_selectorILNS1_17partition_subalgoE3EjNS0_10empty_typeEbEEZZNS1_14partition_implILS8_3ELb0ES6_jNS0_17counting_iteratorIjlEEPS9_SE_NS0_5tupleIJPjSE_EEENSF_IJSE_SE_EEES9_SG_JZNS1_25segmented_radix_sort_implINS0_14default_configELb1EPKlPlSM_SN_N2at6native12_GLOBAL__N_18offset_tEEE10hipError_tPvRmT1_PNSt15iterator_traitsISV_E10value_typeET2_T3_PNSW_IS11_E10value_typeET4_jRbjT5_S17_jjP12ihipStream_tbEUljE_EEESS_ST_SU_S11_S15_S17_T6_T7_T9_mT8_S19_bDpT10_ENKUlT_T0_E_clISt17integral_constantIbLb0EES1M_EEDaS1H_S1I_EUlS1H_E_NS1_11comp_targetILNS1_3genE10ELNS1_11target_archE1200ELNS1_3gpuE4ELNS1_3repE0EEENS1_30default_config_static_selectorELNS0_4arch9wavefront6targetE0EEEvSV_.num_agpr, 0
	.set _ZN7rocprim17ROCPRIM_400000_NS6detail17trampoline_kernelINS0_13select_configILj256ELj13ELNS0_17block_load_methodE3ELS4_3ELS4_3ELNS0_20block_scan_algorithmE0ELj4294967295EEENS1_25partition_config_selectorILNS1_17partition_subalgoE3EjNS0_10empty_typeEbEEZZNS1_14partition_implILS8_3ELb0ES6_jNS0_17counting_iteratorIjlEEPS9_SE_NS0_5tupleIJPjSE_EEENSF_IJSE_SE_EEES9_SG_JZNS1_25segmented_radix_sort_implINS0_14default_configELb1EPKlPlSM_SN_N2at6native12_GLOBAL__N_18offset_tEEE10hipError_tPvRmT1_PNSt15iterator_traitsISV_E10value_typeET2_T3_PNSW_IS11_E10value_typeET4_jRbjT5_S17_jjP12ihipStream_tbEUljE_EEESS_ST_SU_S11_S15_S17_T6_T7_T9_mT8_S19_bDpT10_ENKUlT_T0_E_clISt17integral_constantIbLb0EES1M_EEDaS1H_S1I_EUlS1H_E_NS1_11comp_targetILNS1_3genE10ELNS1_11target_archE1200ELNS1_3gpuE4ELNS1_3repE0EEENS1_30default_config_static_selectorELNS0_4arch9wavefront6targetE0EEEvSV_.numbered_sgpr, 26
	.set _ZN7rocprim17ROCPRIM_400000_NS6detail17trampoline_kernelINS0_13select_configILj256ELj13ELNS0_17block_load_methodE3ELS4_3ELS4_3ELNS0_20block_scan_algorithmE0ELj4294967295EEENS1_25partition_config_selectorILNS1_17partition_subalgoE3EjNS0_10empty_typeEbEEZZNS1_14partition_implILS8_3ELb0ES6_jNS0_17counting_iteratorIjlEEPS9_SE_NS0_5tupleIJPjSE_EEENSF_IJSE_SE_EEES9_SG_JZNS1_25segmented_radix_sort_implINS0_14default_configELb1EPKlPlSM_SN_N2at6native12_GLOBAL__N_18offset_tEEE10hipError_tPvRmT1_PNSt15iterator_traitsISV_E10value_typeET2_T3_PNSW_IS11_E10value_typeET4_jRbjT5_S17_jjP12ihipStream_tbEUljE_EEESS_ST_SU_S11_S15_S17_T6_T7_T9_mT8_S19_bDpT10_ENKUlT_T0_E_clISt17integral_constantIbLb0EES1M_EEDaS1H_S1I_EUlS1H_E_NS1_11comp_targetILNS1_3genE10ELNS1_11target_archE1200ELNS1_3gpuE4ELNS1_3repE0EEENS1_30default_config_static_selectorELNS0_4arch9wavefront6targetE0EEEvSV_.num_named_barrier, 0
	.set _ZN7rocprim17ROCPRIM_400000_NS6detail17trampoline_kernelINS0_13select_configILj256ELj13ELNS0_17block_load_methodE3ELS4_3ELS4_3ELNS0_20block_scan_algorithmE0ELj4294967295EEENS1_25partition_config_selectorILNS1_17partition_subalgoE3EjNS0_10empty_typeEbEEZZNS1_14partition_implILS8_3ELb0ES6_jNS0_17counting_iteratorIjlEEPS9_SE_NS0_5tupleIJPjSE_EEENSF_IJSE_SE_EEES9_SG_JZNS1_25segmented_radix_sort_implINS0_14default_configELb1EPKlPlSM_SN_N2at6native12_GLOBAL__N_18offset_tEEE10hipError_tPvRmT1_PNSt15iterator_traitsISV_E10value_typeET2_T3_PNSW_IS11_E10value_typeET4_jRbjT5_S17_jjP12ihipStream_tbEUljE_EEESS_ST_SU_S11_S15_S17_T6_T7_T9_mT8_S19_bDpT10_ENKUlT_T0_E_clISt17integral_constantIbLb0EES1M_EEDaS1H_S1I_EUlS1H_E_NS1_11comp_targetILNS1_3genE10ELNS1_11target_archE1200ELNS1_3gpuE4ELNS1_3repE0EEENS1_30default_config_static_selectorELNS0_4arch9wavefront6targetE0EEEvSV_.private_seg_size, 0
	.set _ZN7rocprim17ROCPRIM_400000_NS6detail17trampoline_kernelINS0_13select_configILj256ELj13ELNS0_17block_load_methodE3ELS4_3ELS4_3ELNS0_20block_scan_algorithmE0ELj4294967295EEENS1_25partition_config_selectorILNS1_17partition_subalgoE3EjNS0_10empty_typeEbEEZZNS1_14partition_implILS8_3ELb0ES6_jNS0_17counting_iteratorIjlEEPS9_SE_NS0_5tupleIJPjSE_EEENSF_IJSE_SE_EEES9_SG_JZNS1_25segmented_radix_sort_implINS0_14default_configELb1EPKlPlSM_SN_N2at6native12_GLOBAL__N_18offset_tEEE10hipError_tPvRmT1_PNSt15iterator_traitsISV_E10value_typeET2_T3_PNSW_IS11_E10value_typeET4_jRbjT5_S17_jjP12ihipStream_tbEUljE_EEESS_ST_SU_S11_S15_S17_T6_T7_T9_mT8_S19_bDpT10_ENKUlT_T0_E_clISt17integral_constantIbLb0EES1M_EEDaS1H_S1I_EUlS1H_E_NS1_11comp_targetILNS1_3genE10ELNS1_11target_archE1200ELNS1_3gpuE4ELNS1_3repE0EEENS1_30default_config_static_selectorELNS0_4arch9wavefront6targetE0EEEvSV_.uses_vcc, 1
	.set _ZN7rocprim17ROCPRIM_400000_NS6detail17trampoline_kernelINS0_13select_configILj256ELj13ELNS0_17block_load_methodE3ELS4_3ELS4_3ELNS0_20block_scan_algorithmE0ELj4294967295EEENS1_25partition_config_selectorILNS1_17partition_subalgoE3EjNS0_10empty_typeEbEEZZNS1_14partition_implILS8_3ELb0ES6_jNS0_17counting_iteratorIjlEEPS9_SE_NS0_5tupleIJPjSE_EEENSF_IJSE_SE_EEES9_SG_JZNS1_25segmented_radix_sort_implINS0_14default_configELb1EPKlPlSM_SN_N2at6native12_GLOBAL__N_18offset_tEEE10hipError_tPvRmT1_PNSt15iterator_traitsISV_E10value_typeET2_T3_PNSW_IS11_E10value_typeET4_jRbjT5_S17_jjP12ihipStream_tbEUljE_EEESS_ST_SU_S11_S15_S17_T6_T7_T9_mT8_S19_bDpT10_ENKUlT_T0_E_clISt17integral_constantIbLb0EES1M_EEDaS1H_S1I_EUlS1H_E_NS1_11comp_targetILNS1_3genE10ELNS1_11target_archE1200ELNS1_3gpuE4ELNS1_3repE0EEENS1_30default_config_static_selectorELNS0_4arch9wavefront6targetE0EEEvSV_.uses_flat_scratch, 0
	.set _ZN7rocprim17ROCPRIM_400000_NS6detail17trampoline_kernelINS0_13select_configILj256ELj13ELNS0_17block_load_methodE3ELS4_3ELS4_3ELNS0_20block_scan_algorithmE0ELj4294967295EEENS1_25partition_config_selectorILNS1_17partition_subalgoE3EjNS0_10empty_typeEbEEZZNS1_14partition_implILS8_3ELb0ES6_jNS0_17counting_iteratorIjlEEPS9_SE_NS0_5tupleIJPjSE_EEENSF_IJSE_SE_EEES9_SG_JZNS1_25segmented_radix_sort_implINS0_14default_configELb1EPKlPlSM_SN_N2at6native12_GLOBAL__N_18offset_tEEE10hipError_tPvRmT1_PNSt15iterator_traitsISV_E10value_typeET2_T3_PNSW_IS11_E10value_typeET4_jRbjT5_S17_jjP12ihipStream_tbEUljE_EEESS_ST_SU_S11_S15_S17_T6_T7_T9_mT8_S19_bDpT10_ENKUlT_T0_E_clISt17integral_constantIbLb0EES1M_EEDaS1H_S1I_EUlS1H_E_NS1_11comp_targetILNS1_3genE10ELNS1_11target_archE1200ELNS1_3gpuE4ELNS1_3repE0EEENS1_30default_config_static_selectorELNS0_4arch9wavefront6targetE0EEEvSV_.has_dyn_sized_stack, 0
	.set _ZN7rocprim17ROCPRIM_400000_NS6detail17trampoline_kernelINS0_13select_configILj256ELj13ELNS0_17block_load_methodE3ELS4_3ELS4_3ELNS0_20block_scan_algorithmE0ELj4294967295EEENS1_25partition_config_selectorILNS1_17partition_subalgoE3EjNS0_10empty_typeEbEEZZNS1_14partition_implILS8_3ELb0ES6_jNS0_17counting_iteratorIjlEEPS9_SE_NS0_5tupleIJPjSE_EEENSF_IJSE_SE_EEES9_SG_JZNS1_25segmented_radix_sort_implINS0_14default_configELb1EPKlPlSM_SN_N2at6native12_GLOBAL__N_18offset_tEEE10hipError_tPvRmT1_PNSt15iterator_traitsISV_E10value_typeET2_T3_PNSW_IS11_E10value_typeET4_jRbjT5_S17_jjP12ihipStream_tbEUljE_EEESS_ST_SU_S11_S15_S17_T6_T7_T9_mT8_S19_bDpT10_ENKUlT_T0_E_clISt17integral_constantIbLb0EES1M_EEDaS1H_S1I_EUlS1H_E_NS1_11comp_targetILNS1_3genE10ELNS1_11target_archE1200ELNS1_3gpuE4ELNS1_3repE0EEENS1_30default_config_static_selectorELNS0_4arch9wavefront6targetE0EEEvSV_.has_recursion, 0
	.set _ZN7rocprim17ROCPRIM_400000_NS6detail17trampoline_kernelINS0_13select_configILj256ELj13ELNS0_17block_load_methodE3ELS4_3ELS4_3ELNS0_20block_scan_algorithmE0ELj4294967295EEENS1_25partition_config_selectorILNS1_17partition_subalgoE3EjNS0_10empty_typeEbEEZZNS1_14partition_implILS8_3ELb0ES6_jNS0_17counting_iteratorIjlEEPS9_SE_NS0_5tupleIJPjSE_EEENSF_IJSE_SE_EEES9_SG_JZNS1_25segmented_radix_sort_implINS0_14default_configELb1EPKlPlSM_SN_N2at6native12_GLOBAL__N_18offset_tEEE10hipError_tPvRmT1_PNSt15iterator_traitsISV_E10value_typeET2_T3_PNSW_IS11_E10value_typeET4_jRbjT5_S17_jjP12ihipStream_tbEUljE_EEESS_ST_SU_S11_S15_S17_T6_T7_T9_mT8_S19_bDpT10_ENKUlT_T0_E_clISt17integral_constantIbLb0EES1M_EEDaS1H_S1I_EUlS1H_E_NS1_11comp_targetILNS1_3genE10ELNS1_11target_archE1200ELNS1_3gpuE4ELNS1_3repE0EEENS1_30default_config_static_selectorELNS0_4arch9wavefront6targetE0EEEvSV_.has_indirect_call, 0
	.section	.AMDGPU.csdata,"",@progbits
; Kernel info:
; codeLenInByte = 10676
; TotalNumSgprs: 28
; NumVgprs: 69
; ScratchSize: 0
; MemoryBound: 0
; FloatMode: 240
; IeeeMode: 1
; LDSByteSize: 13320 bytes/workgroup (compile time only)
; SGPRBlocks: 0
; VGPRBlocks: 8
; NumSGPRsForWavesPerEU: 28
; NumVGPRsForWavesPerEU: 69
; Occupancy: 16
; WaveLimiterHint : 0
; COMPUTE_PGM_RSRC2:SCRATCH_EN: 0
; COMPUTE_PGM_RSRC2:USER_SGPR: 2
; COMPUTE_PGM_RSRC2:TRAP_HANDLER: 0
; COMPUTE_PGM_RSRC2:TGID_X_EN: 1
; COMPUTE_PGM_RSRC2:TGID_Y_EN: 0
; COMPUTE_PGM_RSRC2:TGID_Z_EN: 0
; COMPUTE_PGM_RSRC2:TIDIG_COMP_CNT: 0
	.section	.text._ZN7rocprim17ROCPRIM_400000_NS6detail17trampoline_kernelINS0_13select_configILj256ELj13ELNS0_17block_load_methodE3ELS4_3ELS4_3ELNS0_20block_scan_algorithmE0ELj4294967295EEENS1_25partition_config_selectorILNS1_17partition_subalgoE3EjNS0_10empty_typeEbEEZZNS1_14partition_implILS8_3ELb0ES6_jNS0_17counting_iteratorIjlEEPS9_SE_NS0_5tupleIJPjSE_EEENSF_IJSE_SE_EEES9_SG_JZNS1_25segmented_radix_sort_implINS0_14default_configELb1EPKlPlSM_SN_N2at6native12_GLOBAL__N_18offset_tEEE10hipError_tPvRmT1_PNSt15iterator_traitsISV_E10value_typeET2_T3_PNSW_IS11_E10value_typeET4_jRbjT5_S17_jjP12ihipStream_tbEUljE_EEESS_ST_SU_S11_S15_S17_T6_T7_T9_mT8_S19_bDpT10_ENKUlT_T0_E_clISt17integral_constantIbLb0EES1M_EEDaS1H_S1I_EUlS1H_E_NS1_11comp_targetILNS1_3genE9ELNS1_11target_archE1100ELNS1_3gpuE3ELNS1_3repE0EEENS1_30default_config_static_selectorELNS0_4arch9wavefront6targetE0EEEvSV_,"axG",@progbits,_ZN7rocprim17ROCPRIM_400000_NS6detail17trampoline_kernelINS0_13select_configILj256ELj13ELNS0_17block_load_methodE3ELS4_3ELS4_3ELNS0_20block_scan_algorithmE0ELj4294967295EEENS1_25partition_config_selectorILNS1_17partition_subalgoE3EjNS0_10empty_typeEbEEZZNS1_14partition_implILS8_3ELb0ES6_jNS0_17counting_iteratorIjlEEPS9_SE_NS0_5tupleIJPjSE_EEENSF_IJSE_SE_EEES9_SG_JZNS1_25segmented_radix_sort_implINS0_14default_configELb1EPKlPlSM_SN_N2at6native12_GLOBAL__N_18offset_tEEE10hipError_tPvRmT1_PNSt15iterator_traitsISV_E10value_typeET2_T3_PNSW_IS11_E10value_typeET4_jRbjT5_S17_jjP12ihipStream_tbEUljE_EEESS_ST_SU_S11_S15_S17_T6_T7_T9_mT8_S19_bDpT10_ENKUlT_T0_E_clISt17integral_constantIbLb0EES1M_EEDaS1H_S1I_EUlS1H_E_NS1_11comp_targetILNS1_3genE9ELNS1_11target_archE1100ELNS1_3gpuE3ELNS1_3repE0EEENS1_30default_config_static_selectorELNS0_4arch9wavefront6targetE0EEEvSV_,comdat
	.globl	_ZN7rocprim17ROCPRIM_400000_NS6detail17trampoline_kernelINS0_13select_configILj256ELj13ELNS0_17block_load_methodE3ELS4_3ELS4_3ELNS0_20block_scan_algorithmE0ELj4294967295EEENS1_25partition_config_selectorILNS1_17partition_subalgoE3EjNS0_10empty_typeEbEEZZNS1_14partition_implILS8_3ELb0ES6_jNS0_17counting_iteratorIjlEEPS9_SE_NS0_5tupleIJPjSE_EEENSF_IJSE_SE_EEES9_SG_JZNS1_25segmented_radix_sort_implINS0_14default_configELb1EPKlPlSM_SN_N2at6native12_GLOBAL__N_18offset_tEEE10hipError_tPvRmT1_PNSt15iterator_traitsISV_E10value_typeET2_T3_PNSW_IS11_E10value_typeET4_jRbjT5_S17_jjP12ihipStream_tbEUljE_EEESS_ST_SU_S11_S15_S17_T6_T7_T9_mT8_S19_bDpT10_ENKUlT_T0_E_clISt17integral_constantIbLb0EES1M_EEDaS1H_S1I_EUlS1H_E_NS1_11comp_targetILNS1_3genE9ELNS1_11target_archE1100ELNS1_3gpuE3ELNS1_3repE0EEENS1_30default_config_static_selectorELNS0_4arch9wavefront6targetE0EEEvSV_ ; -- Begin function _ZN7rocprim17ROCPRIM_400000_NS6detail17trampoline_kernelINS0_13select_configILj256ELj13ELNS0_17block_load_methodE3ELS4_3ELS4_3ELNS0_20block_scan_algorithmE0ELj4294967295EEENS1_25partition_config_selectorILNS1_17partition_subalgoE3EjNS0_10empty_typeEbEEZZNS1_14partition_implILS8_3ELb0ES6_jNS0_17counting_iteratorIjlEEPS9_SE_NS0_5tupleIJPjSE_EEENSF_IJSE_SE_EEES9_SG_JZNS1_25segmented_radix_sort_implINS0_14default_configELb1EPKlPlSM_SN_N2at6native12_GLOBAL__N_18offset_tEEE10hipError_tPvRmT1_PNSt15iterator_traitsISV_E10value_typeET2_T3_PNSW_IS11_E10value_typeET4_jRbjT5_S17_jjP12ihipStream_tbEUljE_EEESS_ST_SU_S11_S15_S17_T6_T7_T9_mT8_S19_bDpT10_ENKUlT_T0_E_clISt17integral_constantIbLb0EES1M_EEDaS1H_S1I_EUlS1H_E_NS1_11comp_targetILNS1_3genE9ELNS1_11target_archE1100ELNS1_3gpuE3ELNS1_3repE0EEENS1_30default_config_static_selectorELNS0_4arch9wavefront6targetE0EEEvSV_
	.p2align	8
	.type	_ZN7rocprim17ROCPRIM_400000_NS6detail17trampoline_kernelINS0_13select_configILj256ELj13ELNS0_17block_load_methodE3ELS4_3ELS4_3ELNS0_20block_scan_algorithmE0ELj4294967295EEENS1_25partition_config_selectorILNS1_17partition_subalgoE3EjNS0_10empty_typeEbEEZZNS1_14partition_implILS8_3ELb0ES6_jNS0_17counting_iteratorIjlEEPS9_SE_NS0_5tupleIJPjSE_EEENSF_IJSE_SE_EEES9_SG_JZNS1_25segmented_radix_sort_implINS0_14default_configELb1EPKlPlSM_SN_N2at6native12_GLOBAL__N_18offset_tEEE10hipError_tPvRmT1_PNSt15iterator_traitsISV_E10value_typeET2_T3_PNSW_IS11_E10value_typeET4_jRbjT5_S17_jjP12ihipStream_tbEUljE_EEESS_ST_SU_S11_S15_S17_T6_T7_T9_mT8_S19_bDpT10_ENKUlT_T0_E_clISt17integral_constantIbLb0EES1M_EEDaS1H_S1I_EUlS1H_E_NS1_11comp_targetILNS1_3genE9ELNS1_11target_archE1100ELNS1_3gpuE3ELNS1_3repE0EEENS1_30default_config_static_selectorELNS0_4arch9wavefront6targetE0EEEvSV_,@function
_ZN7rocprim17ROCPRIM_400000_NS6detail17trampoline_kernelINS0_13select_configILj256ELj13ELNS0_17block_load_methodE3ELS4_3ELS4_3ELNS0_20block_scan_algorithmE0ELj4294967295EEENS1_25partition_config_selectorILNS1_17partition_subalgoE3EjNS0_10empty_typeEbEEZZNS1_14partition_implILS8_3ELb0ES6_jNS0_17counting_iteratorIjlEEPS9_SE_NS0_5tupleIJPjSE_EEENSF_IJSE_SE_EEES9_SG_JZNS1_25segmented_radix_sort_implINS0_14default_configELb1EPKlPlSM_SN_N2at6native12_GLOBAL__N_18offset_tEEE10hipError_tPvRmT1_PNSt15iterator_traitsISV_E10value_typeET2_T3_PNSW_IS11_E10value_typeET4_jRbjT5_S17_jjP12ihipStream_tbEUljE_EEESS_ST_SU_S11_S15_S17_T6_T7_T9_mT8_S19_bDpT10_ENKUlT_T0_E_clISt17integral_constantIbLb0EES1M_EEDaS1H_S1I_EUlS1H_E_NS1_11comp_targetILNS1_3genE9ELNS1_11target_archE1100ELNS1_3gpuE3ELNS1_3repE0EEENS1_30default_config_static_selectorELNS0_4arch9wavefront6targetE0EEEvSV_: ; @_ZN7rocprim17ROCPRIM_400000_NS6detail17trampoline_kernelINS0_13select_configILj256ELj13ELNS0_17block_load_methodE3ELS4_3ELS4_3ELNS0_20block_scan_algorithmE0ELj4294967295EEENS1_25partition_config_selectorILNS1_17partition_subalgoE3EjNS0_10empty_typeEbEEZZNS1_14partition_implILS8_3ELb0ES6_jNS0_17counting_iteratorIjlEEPS9_SE_NS0_5tupleIJPjSE_EEENSF_IJSE_SE_EEES9_SG_JZNS1_25segmented_radix_sort_implINS0_14default_configELb1EPKlPlSM_SN_N2at6native12_GLOBAL__N_18offset_tEEE10hipError_tPvRmT1_PNSt15iterator_traitsISV_E10value_typeET2_T3_PNSW_IS11_E10value_typeET4_jRbjT5_S17_jjP12ihipStream_tbEUljE_EEESS_ST_SU_S11_S15_S17_T6_T7_T9_mT8_S19_bDpT10_ENKUlT_T0_E_clISt17integral_constantIbLb0EES1M_EEDaS1H_S1I_EUlS1H_E_NS1_11comp_targetILNS1_3genE9ELNS1_11target_archE1100ELNS1_3gpuE3ELNS1_3repE0EEENS1_30default_config_static_selectorELNS0_4arch9wavefront6targetE0EEEvSV_
; %bb.0:
	.section	.rodata,"a",@progbits
	.p2align	6, 0x0
	.amdhsa_kernel _ZN7rocprim17ROCPRIM_400000_NS6detail17trampoline_kernelINS0_13select_configILj256ELj13ELNS0_17block_load_methodE3ELS4_3ELS4_3ELNS0_20block_scan_algorithmE0ELj4294967295EEENS1_25partition_config_selectorILNS1_17partition_subalgoE3EjNS0_10empty_typeEbEEZZNS1_14partition_implILS8_3ELb0ES6_jNS0_17counting_iteratorIjlEEPS9_SE_NS0_5tupleIJPjSE_EEENSF_IJSE_SE_EEES9_SG_JZNS1_25segmented_radix_sort_implINS0_14default_configELb1EPKlPlSM_SN_N2at6native12_GLOBAL__N_18offset_tEEE10hipError_tPvRmT1_PNSt15iterator_traitsISV_E10value_typeET2_T3_PNSW_IS11_E10value_typeET4_jRbjT5_S17_jjP12ihipStream_tbEUljE_EEESS_ST_SU_S11_S15_S17_T6_T7_T9_mT8_S19_bDpT10_ENKUlT_T0_E_clISt17integral_constantIbLb0EES1M_EEDaS1H_S1I_EUlS1H_E_NS1_11comp_targetILNS1_3genE9ELNS1_11target_archE1100ELNS1_3gpuE3ELNS1_3repE0EEENS1_30default_config_static_selectorELNS0_4arch9wavefront6targetE0EEEvSV_
		.amdhsa_group_segment_fixed_size 0
		.amdhsa_private_segment_fixed_size 0
		.amdhsa_kernarg_size 144
		.amdhsa_user_sgpr_count 2
		.amdhsa_user_sgpr_dispatch_ptr 0
		.amdhsa_user_sgpr_queue_ptr 0
		.amdhsa_user_sgpr_kernarg_segment_ptr 1
		.amdhsa_user_sgpr_dispatch_id 0
		.amdhsa_user_sgpr_private_segment_size 0
		.amdhsa_wavefront_size32 1
		.amdhsa_uses_dynamic_stack 0
		.amdhsa_enable_private_segment 0
		.amdhsa_system_sgpr_workgroup_id_x 1
		.amdhsa_system_sgpr_workgroup_id_y 0
		.amdhsa_system_sgpr_workgroup_id_z 0
		.amdhsa_system_sgpr_workgroup_info 0
		.amdhsa_system_vgpr_workitem_id 0
		.amdhsa_next_free_vgpr 1
		.amdhsa_next_free_sgpr 1
		.amdhsa_reserve_vcc 0
		.amdhsa_float_round_mode_32 0
		.amdhsa_float_round_mode_16_64 0
		.amdhsa_float_denorm_mode_32 3
		.amdhsa_float_denorm_mode_16_64 3
		.amdhsa_fp16_overflow 0
		.amdhsa_workgroup_processor_mode 1
		.amdhsa_memory_ordered 1
		.amdhsa_forward_progress 1
		.amdhsa_inst_pref_size 0
		.amdhsa_round_robin_scheduling 0
		.amdhsa_exception_fp_ieee_invalid_op 0
		.amdhsa_exception_fp_denorm_src 0
		.amdhsa_exception_fp_ieee_div_zero 0
		.amdhsa_exception_fp_ieee_overflow 0
		.amdhsa_exception_fp_ieee_underflow 0
		.amdhsa_exception_fp_ieee_inexact 0
		.amdhsa_exception_int_div_zero 0
	.end_amdhsa_kernel
	.section	.text._ZN7rocprim17ROCPRIM_400000_NS6detail17trampoline_kernelINS0_13select_configILj256ELj13ELNS0_17block_load_methodE3ELS4_3ELS4_3ELNS0_20block_scan_algorithmE0ELj4294967295EEENS1_25partition_config_selectorILNS1_17partition_subalgoE3EjNS0_10empty_typeEbEEZZNS1_14partition_implILS8_3ELb0ES6_jNS0_17counting_iteratorIjlEEPS9_SE_NS0_5tupleIJPjSE_EEENSF_IJSE_SE_EEES9_SG_JZNS1_25segmented_radix_sort_implINS0_14default_configELb1EPKlPlSM_SN_N2at6native12_GLOBAL__N_18offset_tEEE10hipError_tPvRmT1_PNSt15iterator_traitsISV_E10value_typeET2_T3_PNSW_IS11_E10value_typeET4_jRbjT5_S17_jjP12ihipStream_tbEUljE_EEESS_ST_SU_S11_S15_S17_T6_T7_T9_mT8_S19_bDpT10_ENKUlT_T0_E_clISt17integral_constantIbLb0EES1M_EEDaS1H_S1I_EUlS1H_E_NS1_11comp_targetILNS1_3genE9ELNS1_11target_archE1100ELNS1_3gpuE3ELNS1_3repE0EEENS1_30default_config_static_selectorELNS0_4arch9wavefront6targetE0EEEvSV_,"axG",@progbits,_ZN7rocprim17ROCPRIM_400000_NS6detail17trampoline_kernelINS0_13select_configILj256ELj13ELNS0_17block_load_methodE3ELS4_3ELS4_3ELNS0_20block_scan_algorithmE0ELj4294967295EEENS1_25partition_config_selectorILNS1_17partition_subalgoE3EjNS0_10empty_typeEbEEZZNS1_14partition_implILS8_3ELb0ES6_jNS0_17counting_iteratorIjlEEPS9_SE_NS0_5tupleIJPjSE_EEENSF_IJSE_SE_EEES9_SG_JZNS1_25segmented_radix_sort_implINS0_14default_configELb1EPKlPlSM_SN_N2at6native12_GLOBAL__N_18offset_tEEE10hipError_tPvRmT1_PNSt15iterator_traitsISV_E10value_typeET2_T3_PNSW_IS11_E10value_typeET4_jRbjT5_S17_jjP12ihipStream_tbEUljE_EEESS_ST_SU_S11_S15_S17_T6_T7_T9_mT8_S19_bDpT10_ENKUlT_T0_E_clISt17integral_constantIbLb0EES1M_EEDaS1H_S1I_EUlS1H_E_NS1_11comp_targetILNS1_3genE9ELNS1_11target_archE1100ELNS1_3gpuE3ELNS1_3repE0EEENS1_30default_config_static_selectorELNS0_4arch9wavefront6targetE0EEEvSV_,comdat
.Lfunc_end678:
	.size	_ZN7rocprim17ROCPRIM_400000_NS6detail17trampoline_kernelINS0_13select_configILj256ELj13ELNS0_17block_load_methodE3ELS4_3ELS4_3ELNS0_20block_scan_algorithmE0ELj4294967295EEENS1_25partition_config_selectorILNS1_17partition_subalgoE3EjNS0_10empty_typeEbEEZZNS1_14partition_implILS8_3ELb0ES6_jNS0_17counting_iteratorIjlEEPS9_SE_NS0_5tupleIJPjSE_EEENSF_IJSE_SE_EEES9_SG_JZNS1_25segmented_radix_sort_implINS0_14default_configELb1EPKlPlSM_SN_N2at6native12_GLOBAL__N_18offset_tEEE10hipError_tPvRmT1_PNSt15iterator_traitsISV_E10value_typeET2_T3_PNSW_IS11_E10value_typeET4_jRbjT5_S17_jjP12ihipStream_tbEUljE_EEESS_ST_SU_S11_S15_S17_T6_T7_T9_mT8_S19_bDpT10_ENKUlT_T0_E_clISt17integral_constantIbLb0EES1M_EEDaS1H_S1I_EUlS1H_E_NS1_11comp_targetILNS1_3genE9ELNS1_11target_archE1100ELNS1_3gpuE3ELNS1_3repE0EEENS1_30default_config_static_selectorELNS0_4arch9wavefront6targetE0EEEvSV_, .Lfunc_end678-_ZN7rocprim17ROCPRIM_400000_NS6detail17trampoline_kernelINS0_13select_configILj256ELj13ELNS0_17block_load_methodE3ELS4_3ELS4_3ELNS0_20block_scan_algorithmE0ELj4294967295EEENS1_25partition_config_selectorILNS1_17partition_subalgoE3EjNS0_10empty_typeEbEEZZNS1_14partition_implILS8_3ELb0ES6_jNS0_17counting_iteratorIjlEEPS9_SE_NS0_5tupleIJPjSE_EEENSF_IJSE_SE_EEES9_SG_JZNS1_25segmented_radix_sort_implINS0_14default_configELb1EPKlPlSM_SN_N2at6native12_GLOBAL__N_18offset_tEEE10hipError_tPvRmT1_PNSt15iterator_traitsISV_E10value_typeET2_T3_PNSW_IS11_E10value_typeET4_jRbjT5_S17_jjP12ihipStream_tbEUljE_EEESS_ST_SU_S11_S15_S17_T6_T7_T9_mT8_S19_bDpT10_ENKUlT_T0_E_clISt17integral_constantIbLb0EES1M_EEDaS1H_S1I_EUlS1H_E_NS1_11comp_targetILNS1_3genE9ELNS1_11target_archE1100ELNS1_3gpuE3ELNS1_3repE0EEENS1_30default_config_static_selectorELNS0_4arch9wavefront6targetE0EEEvSV_
                                        ; -- End function
	.set _ZN7rocprim17ROCPRIM_400000_NS6detail17trampoline_kernelINS0_13select_configILj256ELj13ELNS0_17block_load_methodE3ELS4_3ELS4_3ELNS0_20block_scan_algorithmE0ELj4294967295EEENS1_25partition_config_selectorILNS1_17partition_subalgoE3EjNS0_10empty_typeEbEEZZNS1_14partition_implILS8_3ELb0ES6_jNS0_17counting_iteratorIjlEEPS9_SE_NS0_5tupleIJPjSE_EEENSF_IJSE_SE_EEES9_SG_JZNS1_25segmented_radix_sort_implINS0_14default_configELb1EPKlPlSM_SN_N2at6native12_GLOBAL__N_18offset_tEEE10hipError_tPvRmT1_PNSt15iterator_traitsISV_E10value_typeET2_T3_PNSW_IS11_E10value_typeET4_jRbjT5_S17_jjP12ihipStream_tbEUljE_EEESS_ST_SU_S11_S15_S17_T6_T7_T9_mT8_S19_bDpT10_ENKUlT_T0_E_clISt17integral_constantIbLb0EES1M_EEDaS1H_S1I_EUlS1H_E_NS1_11comp_targetILNS1_3genE9ELNS1_11target_archE1100ELNS1_3gpuE3ELNS1_3repE0EEENS1_30default_config_static_selectorELNS0_4arch9wavefront6targetE0EEEvSV_.num_vgpr, 0
	.set _ZN7rocprim17ROCPRIM_400000_NS6detail17trampoline_kernelINS0_13select_configILj256ELj13ELNS0_17block_load_methodE3ELS4_3ELS4_3ELNS0_20block_scan_algorithmE0ELj4294967295EEENS1_25partition_config_selectorILNS1_17partition_subalgoE3EjNS0_10empty_typeEbEEZZNS1_14partition_implILS8_3ELb0ES6_jNS0_17counting_iteratorIjlEEPS9_SE_NS0_5tupleIJPjSE_EEENSF_IJSE_SE_EEES9_SG_JZNS1_25segmented_radix_sort_implINS0_14default_configELb1EPKlPlSM_SN_N2at6native12_GLOBAL__N_18offset_tEEE10hipError_tPvRmT1_PNSt15iterator_traitsISV_E10value_typeET2_T3_PNSW_IS11_E10value_typeET4_jRbjT5_S17_jjP12ihipStream_tbEUljE_EEESS_ST_SU_S11_S15_S17_T6_T7_T9_mT8_S19_bDpT10_ENKUlT_T0_E_clISt17integral_constantIbLb0EES1M_EEDaS1H_S1I_EUlS1H_E_NS1_11comp_targetILNS1_3genE9ELNS1_11target_archE1100ELNS1_3gpuE3ELNS1_3repE0EEENS1_30default_config_static_selectorELNS0_4arch9wavefront6targetE0EEEvSV_.num_agpr, 0
	.set _ZN7rocprim17ROCPRIM_400000_NS6detail17trampoline_kernelINS0_13select_configILj256ELj13ELNS0_17block_load_methodE3ELS4_3ELS4_3ELNS0_20block_scan_algorithmE0ELj4294967295EEENS1_25partition_config_selectorILNS1_17partition_subalgoE3EjNS0_10empty_typeEbEEZZNS1_14partition_implILS8_3ELb0ES6_jNS0_17counting_iteratorIjlEEPS9_SE_NS0_5tupleIJPjSE_EEENSF_IJSE_SE_EEES9_SG_JZNS1_25segmented_radix_sort_implINS0_14default_configELb1EPKlPlSM_SN_N2at6native12_GLOBAL__N_18offset_tEEE10hipError_tPvRmT1_PNSt15iterator_traitsISV_E10value_typeET2_T3_PNSW_IS11_E10value_typeET4_jRbjT5_S17_jjP12ihipStream_tbEUljE_EEESS_ST_SU_S11_S15_S17_T6_T7_T9_mT8_S19_bDpT10_ENKUlT_T0_E_clISt17integral_constantIbLb0EES1M_EEDaS1H_S1I_EUlS1H_E_NS1_11comp_targetILNS1_3genE9ELNS1_11target_archE1100ELNS1_3gpuE3ELNS1_3repE0EEENS1_30default_config_static_selectorELNS0_4arch9wavefront6targetE0EEEvSV_.numbered_sgpr, 0
	.set _ZN7rocprim17ROCPRIM_400000_NS6detail17trampoline_kernelINS0_13select_configILj256ELj13ELNS0_17block_load_methodE3ELS4_3ELS4_3ELNS0_20block_scan_algorithmE0ELj4294967295EEENS1_25partition_config_selectorILNS1_17partition_subalgoE3EjNS0_10empty_typeEbEEZZNS1_14partition_implILS8_3ELb0ES6_jNS0_17counting_iteratorIjlEEPS9_SE_NS0_5tupleIJPjSE_EEENSF_IJSE_SE_EEES9_SG_JZNS1_25segmented_radix_sort_implINS0_14default_configELb1EPKlPlSM_SN_N2at6native12_GLOBAL__N_18offset_tEEE10hipError_tPvRmT1_PNSt15iterator_traitsISV_E10value_typeET2_T3_PNSW_IS11_E10value_typeET4_jRbjT5_S17_jjP12ihipStream_tbEUljE_EEESS_ST_SU_S11_S15_S17_T6_T7_T9_mT8_S19_bDpT10_ENKUlT_T0_E_clISt17integral_constantIbLb0EES1M_EEDaS1H_S1I_EUlS1H_E_NS1_11comp_targetILNS1_3genE9ELNS1_11target_archE1100ELNS1_3gpuE3ELNS1_3repE0EEENS1_30default_config_static_selectorELNS0_4arch9wavefront6targetE0EEEvSV_.num_named_barrier, 0
	.set _ZN7rocprim17ROCPRIM_400000_NS6detail17trampoline_kernelINS0_13select_configILj256ELj13ELNS0_17block_load_methodE3ELS4_3ELS4_3ELNS0_20block_scan_algorithmE0ELj4294967295EEENS1_25partition_config_selectorILNS1_17partition_subalgoE3EjNS0_10empty_typeEbEEZZNS1_14partition_implILS8_3ELb0ES6_jNS0_17counting_iteratorIjlEEPS9_SE_NS0_5tupleIJPjSE_EEENSF_IJSE_SE_EEES9_SG_JZNS1_25segmented_radix_sort_implINS0_14default_configELb1EPKlPlSM_SN_N2at6native12_GLOBAL__N_18offset_tEEE10hipError_tPvRmT1_PNSt15iterator_traitsISV_E10value_typeET2_T3_PNSW_IS11_E10value_typeET4_jRbjT5_S17_jjP12ihipStream_tbEUljE_EEESS_ST_SU_S11_S15_S17_T6_T7_T9_mT8_S19_bDpT10_ENKUlT_T0_E_clISt17integral_constantIbLb0EES1M_EEDaS1H_S1I_EUlS1H_E_NS1_11comp_targetILNS1_3genE9ELNS1_11target_archE1100ELNS1_3gpuE3ELNS1_3repE0EEENS1_30default_config_static_selectorELNS0_4arch9wavefront6targetE0EEEvSV_.private_seg_size, 0
	.set _ZN7rocprim17ROCPRIM_400000_NS6detail17trampoline_kernelINS0_13select_configILj256ELj13ELNS0_17block_load_methodE3ELS4_3ELS4_3ELNS0_20block_scan_algorithmE0ELj4294967295EEENS1_25partition_config_selectorILNS1_17partition_subalgoE3EjNS0_10empty_typeEbEEZZNS1_14partition_implILS8_3ELb0ES6_jNS0_17counting_iteratorIjlEEPS9_SE_NS0_5tupleIJPjSE_EEENSF_IJSE_SE_EEES9_SG_JZNS1_25segmented_radix_sort_implINS0_14default_configELb1EPKlPlSM_SN_N2at6native12_GLOBAL__N_18offset_tEEE10hipError_tPvRmT1_PNSt15iterator_traitsISV_E10value_typeET2_T3_PNSW_IS11_E10value_typeET4_jRbjT5_S17_jjP12ihipStream_tbEUljE_EEESS_ST_SU_S11_S15_S17_T6_T7_T9_mT8_S19_bDpT10_ENKUlT_T0_E_clISt17integral_constantIbLb0EES1M_EEDaS1H_S1I_EUlS1H_E_NS1_11comp_targetILNS1_3genE9ELNS1_11target_archE1100ELNS1_3gpuE3ELNS1_3repE0EEENS1_30default_config_static_selectorELNS0_4arch9wavefront6targetE0EEEvSV_.uses_vcc, 0
	.set _ZN7rocprim17ROCPRIM_400000_NS6detail17trampoline_kernelINS0_13select_configILj256ELj13ELNS0_17block_load_methodE3ELS4_3ELS4_3ELNS0_20block_scan_algorithmE0ELj4294967295EEENS1_25partition_config_selectorILNS1_17partition_subalgoE3EjNS0_10empty_typeEbEEZZNS1_14partition_implILS8_3ELb0ES6_jNS0_17counting_iteratorIjlEEPS9_SE_NS0_5tupleIJPjSE_EEENSF_IJSE_SE_EEES9_SG_JZNS1_25segmented_radix_sort_implINS0_14default_configELb1EPKlPlSM_SN_N2at6native12_GLOBAL__N_18offset_tEEE10hipError_tPvRmT1_PNSt15iterator_traitsISV_E10value_typeET2_T3_PNSW_IS11_E10value_typeET4_jRbjT5_S17_jjP12ihipStream_tbEUljE_EEESS_ST_SU_S11_S15_S17_T6_T7_T9_mT8_S19_bDpT10_ENKUlT_T0_E_clISt17integral_constantIbLb0EES1M_EEDaS1H_S1I_EUlS1H_E_NS1_11comp_targetILNS1_3genE9ELNS1_11target_archE1100ELNS1_3gpuE3ELNS1_3repE0EEENS1_30default_config_static_selectorELNS0_4arch9wavefront6targetE0EEEvSV_.uses_flat_scratch, 0
	.set _ZN7rocprim17ROCPRIM_400000_NS6detail17trampoline_kernelINS0_13select_configILj256ELj13ELNS0_17block_load_methodE3ELS4_3ELS4_3ELNS0_20block_scan_algorithmE0ELj4294967295EEENS1_25partition_config_selectorILNS1_17partition_subalgoE3EjNS0_10empty_typeEbEEZZNS1_14partition_implILS8_3ELb0ES6_jNS0_17counting_iteratorIjlEEPS9_SE_NS0_5tupleIJPjSE_EEENSF_IJSE_SE_EEES9_SG_JZNS1_25segmented_radix_sort_implINS0_14default_configELb1EPKlPlSM_SN_N2at6native12_GLOBAL__N_18offset_tEEE10hipError_tPvRmT1_PNSt15iterator_traitsISV_E10value_typeET2_T3_PNSW_IS11_E10value_typeET4_jRbjT5_S17_jjP12ihipStream_tbEUljE_EEESS_ST_SU_S11_S15_S17_T6_T7_T9_mT8_S19_bDpT10_ENKUlT_T0_E_clISt17integral_constantIbLb0EES1M_EEDaS1H_S1I_EUlS1H_E_NS1_11comp_targetILNS1_3genE9ELNS1_11target_archE1100ELNS1_3gpuE3ELNS1_3repE0EEENS1_30default_config_static_selectorELNS0_4arch9wavefront6targetE0EEEvSV_.has_dyn_sized_stack, 0
	.set _ZN7rocprim17ROCPRIM_400000_NS6detail17trampoline_kernelINS0_13select_configILj256ELj13ELNS0_17block_load_methodE3ELS4_3ELS4_3ELNS0_20block_scan_algorithmE0ELj4294967295EEENS1_25partition_config_selectorILNS1_17partition_subalgoE3EjNS0_10empty_typeEbEEZZNS1_14partition_implILS8_3ELb0ES6_jNS0_17counting_iteratorIjlEEPS9_SE_NS0_5tupleIJPjSE_EEENSF_IJSE_SE_EEES9_SG_JZNS1_25segmented_radix_sort_implINS0_14default_configELb1EPKlPlSM_SN_N2at6native12_GLOBAL__N_18offset_tEEE10hipError_tPvRmT1_PNSt15iterator_traitsISV_E10value_typeET2_T3_PNSW_IS11_E10value_typeET4_jRbjT5_S17_jjP12ihipStream_tbEUljE_EEESS_ST_SU_S11_S15_S17_T6_T7_T9_mT8_S19_bDpT10_ENKUlT_T0_E_clISt17integral_constantIbLb0EES1M_EEDaS1H_S1I_EUlS1H_E_NS1_11comp_targetILNS1_3genE9ELNS1_11target_archE1100ELNS1_3gpuE3ELNS1_3repE0EEENS1_30default_config_static_selectorELNS0_4arch9wavefront6targetE0EEEvSV_.has_recursion, 0
	.set _ZN7rocprim17ROCPRIM_400000_NS6detail17trampoline_kernelINS0_13select_configILj256ELj13ELNS0_17block_load_methodE3ELS4_3ELS4_3ELNS0_20block_scan_algorithmE0ELj4294967295EEENS1_25partition_config_selectorILNS1_17partition_subalgoE3EjNS0_10empty_typeEbEEZZNS1_14partition_implILS8_3ELb0ES6_jNS0_17counting_iteratorIjlEEPS9_SE_NS0_5tupleIJPjSE_EEENSF_IJSE_SE_EEES9_SG_JZNS1_25segmented_radix_sort_implINS0_14default_configELb1EPKlPlSM_SN_N2at6native12_GLOBAL__N_18offset_tEEE10hipError_tPvRmT1_PNSt15iterator_traitsISV_E10value_typeET2_T3_PNSW_IS11_E10value_typeET4_jRbjT5_S17_jjP12ihipStream_tbEUljE_EEESS_ST_SU_S11_S15_S17_T6_T7_T9_mT8_S19_bDpT10_ENKUlT_T0_E_clISt17integral_constantIbLb0EES1M_EEDaS1H_S1I_EUlS1H_E_NS1_11comp_targetILNS1_3genE9ELNS1_11target_archE1100ELNS1_3gpuE3ELNS1_3repE0EEENS1_30default_config_static_selectorELNS0_4arch9wavefront6targetE0EEEvSV_.has_indirect_call, 0
	.section	.AMDGPU.csdata,"",@progbits
; Kernel info:
; codeLenInByte = 0
; TotalNumSgprs: 0
; NumVgprs: 0
; ScratchSize: 0
; MemoryBound: 0
; FloatMode: 240
; IeeeMode: 1
; LDSByteSize: 0 bytes/workgroup (compile time only)
; SGPRBlocks: 0
; VGPRBlocks: 0
; NumSGPRsForWavesPerEU: 1
; NumVGPRsForWavesPerEU: 1
; Occupancy: 16
; WaveLimiterHint : 0
; COMPUTE_PGM_RSRC2:SCRATCH_EN: 0
; COMPUTE_PGM_RSRC2:USER_SGPR: 2
; COMPUTE_PGM_RSRC2:TRAP_HANDLER: 0
; COMPUTE_PGM_RSRC2:TGID_X_EN: 1
; COMPUTE_PGM_RSRC2:TGID_Y_EN: 0
; COMPUTE_PGM_RSRC2:TGID_Z_EN: 0
; COMPUTE_PGM_RSRC2:TIDIG_COMP_CNT: 0
	.section	.text._ZN7rocprim17ROCPRIM_400000_NS6detail17trampoline_kernelINS0_13select_configILj256ELj13ELNS0_17block_load_methodE3ELS4_3ELS4_3ELNS0_20block_scan_algorithmE0ELj4294967295EEENS1_25partition_config_selectorILNS1_17partition_subalgoE3EjNS0_10empty_typeEbEEZZNS1_14partition_implILS8_3ELb0ES6_jNS0_17counting_iteratorIjlEEPS9_SE_NS0_5tupleIJPjSE_EEENSF_IJSE_SE_EEES9_SG_JZNS1_25segmented_radix_sort_implINS0_14default_configELb1EPKlPlSM_SN_N2at6native12_GLOBAL__N_18offset_tEEE10hipError_tPvRmT1_PNSt15iterator_traitsISV_E10value_typeET2_T3_PNSW_IS11_E10value_typeET4_jRbjT5_S17_jjP12ihipStream_tbEUljE_EEESS_ST_SU_S11_S15_S17_T6_T7_T9_mT8_S19_bDpT10_ENKUlT_T0_E_clISt17integral_constantIbLb0EES1M_EEDaS1H_S1I_EUlS1H_E_NS1_11comp_targetILNS1_3genE8ELNS1_11target_archE1030ELNS1_3gpuE2ELNS1_3repE0EEENS1_30default_config_static_selectorELNS0_4arch9wavefront6targetE0EEEvSV_,"axG",@progbits,_ZN7rocprim17ROCPRIM_400000_NS6detail17trampoline_kernelINS0_13select_configILj256ELj13ELNS0_17block_load_methodE3ELS4_3ELS4_3ELNS0_20block_scan_algorithmE0ELj4294967295EEENS1_25partition_config_selectorILNS1_17partition_subalgoE3EjNS0_10empty_typeEbEEZZNS1_14partition_implILS8_3ELb0ES6_jNS0_17counting_iteratorIjlEEPS9_SE_NS0_5tupleIJPjSE_EEENSF_IJSE_SE_EEES9_SG_JZNS1_25segmented_radix_sort_implINS0_14default_configELb1EPKlPlSM_SN_N2at6native12_GLOBAL__N_18offset_tEEE10hipError_tPvRmT1_PNSt15iterator_traitsISV_E10value_typeET2_T3_PNSW_IS11_E10value_typeET4_jRbjT5_S17_jjP12ihipStream_tbEUljE_EEESS_ST_SU_S11_S15_S17_T6_T7_T9_mT8_S19_bDpT10_ENKUlT_T0_E_clISt17integral_constantIbLb0EES1M_EEDaS1H_S1I_EUlS1H_E_NS1_11comp_targetILNS1_3genE8ELNS1_11target_archE1030ELNS1_3gpuE2ELNS1_3repE0EEENS1_30default_config_static_selectorELNS0_4arch9wavefront6targetE0EEEvSV_,comdat
	.globl	_ZN7rocprim17ROCPRIM_400000_NS6detail17trampoline_kernelINS0_13select_configILj256ELj13ELNS0_17block_load_methodE3ELS4_3ELS4_3ELNS0_20block_scan_algorithmE0ELj4294967295EEENS1_25partition_config_selectorILNS1_17partition_subalgoE3EjNS0_10empty_typeEbEEZZNS1_14partition_implILS8_3ELb0ES6_jNS0_17counting_iteratorIjlEEPS9_SE_NS0_5tupleIJPjSE_EEENSF_IJSE_SE_EEES9_SG_JZNS1_25segmented_radix_sort_implINS0_14default_configELb1EPKlPlSM_SN_N2at6native12_GLOBAL__N_18offset_tEEE10hipError_tPvRmT1_PNSt15iterator_traitsISV_E10value_typeET2_T3_PNSW_IS11_E10value_typeET4_jRbjT5_S17_jjP12ihipStream_tbEUljE_EEESS_ST_SU_S11_S15_S17_T6_T7_T9_mT8_S19_bDpT10_ENKUlT_T0_E_clISt17integral_constantIbLb0EES1M_EEDaS1H_S1I_EUlS1H_E_NS1_11comp_targetILNS1_3genE8ELNS1_11target_archE1030ELNS1_3gpuE2ELNS1_3repE0EEENS1_30default_config_static_selectorELNS0_4arch9wavefront6targetE0EEEvSV_ ; -- Begin function _ZN7rocprim17ROCPRIM_400000_NS6detail17trampoline_kernelINS0_13select_configILj256ELj13ELNS0_17block_load_methodE3ELS4_3ELS4_3ELNS0_20block_scan_algorithmE0ELj4294967295EEENS1_25partition_config_selectorILNS1_17partition_subalgoE3EjNS0_10empty_typeEbEEZZNS1_14partition_implILS8_3ELb0ES6_jNS0_17counting_iteratorIjlEEPS9_SE_NS0_5tupleIJPjSE_EEENSF_IJSE_SE_EEES9_SG_JZNS1_25segmented_radix_sort_implINS0_14default_configELb1EPKlPlSM_SN_N2at6native12_GLOBAL__N_18offset_tEEE10hipError_tPvRmT1_PNSt15iterator_traitsISV_E10value_typeET2_T3_PNSW_IS11_E10value_typeET4_jRbjT5_S17_jjP12ihipStream_tbEUljE_EEESS_ST_SU_S11_S15_S17_T6_T7_T9_mT8_S19_bDpT10_ENKUlT_T0_E_clISt17integral_constantIbLb0EES1M_EEDaS1H_S1I_EUlS1H_E_NS1_11comp_targetILNS1_3genE8ELNS1_11target_archE1030ELNS1_3gpuE2ELNS1_3repE0EEENS1_30default_config_static_selectorELNS0_4arch9wavefront6targetE0EEEvSV_
	.p2align	8
	.type	_ZN7rocprim17ROCPRIM_400000_NS6detail17trampoline_kernelINS0_13select_configILj256ELj13ELNS0_17block_load_methodE3ELS4_3ELS4_3ELNS0_20block_scan_algorithmE0ELj4294967295EEENS1_25partition_config_selectorILNS1_17partition_subalgoE3EjNS0_10empty_typeEbEEZZNS1_14partition_implILS8_3ELb0ES6_jNS0_17counting_iteratorIjlEEPS9_SE_NS0_5tupleIJPjSE_EEENSF_IJSE_SE_EEES9_SG_JZNS1_25segmented_radix_sort_implINS0_14default_configELb1EPKlPlSM_SN_N2at6native12_GLOBAL__N_18offset_tEEE10hipError_tPvRmT1_PNSt15iterator_traitsISV_E10value_typeET2_T3_PNSW_IS11_E10value_typeET4_jRbjT5_S17_jjP12ihipStream_tbEUljE_EEESS_ST_SU_S11_S15_S17_T6_T7_T9_mT8_S19_bDpT10_ENKUlT_T0_E_clISt17integral_constantIbLb0EES1M_EEDaS1H_S1I_EUlS1H_E_NS1_11comp_targetILNS1_3genE8ELNS1_11target_archE1030ELNS1_3gpuE2ELNS1_3repE0EEENS1_30default_config_static_selectorELNS0_4arch9wavefront6targetE0EEEvSV_,@function
_ZN7rocprim17ROCPRIM_400000_NS6detail17trampoline_kernelINS0_13select_configILj256ELj13ELNS0_17block_load_methodE3ELS4_3ELS4_3ELNS0_20block_scan_algorithmE0ELj4294967295EEENS1_25partition_config_selectorILNS1_17partition_subalgoE3EjNS0_10empty_typeEbEEZZNS1_14partition_implILS8_3ELb0ES6_jNS0_17counting_iteratorIjlEEPS9_SE_NS0_5tupleIJPjSE_EEENSF_IJSE_SE_EEES9_SG_JZNS1_25segmented_radix_sort_implINS0_14default_configELb1EPKlPlSM_SN_N2at6native12_GLOBAL__N_18offset_tEEE10hipError_tPvRmT1_PNSt15iterator_traitsISV_E10value_typeET2_T3_PNSW_IS11_E10value_typeET4_jRbjT5_S17_jjP12ihipStream_tbEUljE_EEESS_ST_SU_S11_S15_S17_T6_T7_T9_mT8_S19_bDpT10_ENKUlT_T0_E_clISt17integral_constantIbLb0EES1M_EEDaS1H_S1I_EUlS1H_E_NS1_11comp_targetILNS1_3genE8ELNS1_11target_archE1030ELNS1_3gpuE2ELNS1_3repE0EEENS1_30default_config_static_selectorELNS0_4arch9wavefront6targetE0EEEvSV_: ; @_ZN7rocprim17ROCPRIM_400000_NS6detail17trampoline_kernelINS0_13select_configILj256ELj13ELNS0_17block_load_methodE3ELS4_3ELS4_3ELNS0_20block_scan_algorithmE0ELj4294967295EEENS1_25partition_config_selectorILNS1_17partition_subalgoE3EjNS0_10empty_typeEbEEZZNS1_14partition_implILS8_3ELb0ES6_jNS0_17counting_iteratorIjlEEPS9_SE_NS0_5tupleIJPjSE_EEENSF_IJSE_SE_EEES9_SG_JZNS1_25segmented_radix_sort_implINS0_14default_configELb1EPKlPlSM_SN_N2at6native12_GLOBAL__N_18offset_tEEE10hipError_tPvRmT1_PNSt15iterator_traitsISV_E10value_typeET2_T3_PNSW_IS11_E10value_typeET4_jRbjT5_S17_jjP12ihipStream_tbEUljE_EEESS_ST_SU_S11_S15_S17_T6_T7_T9_mT8_S19_bDpT10_ENKUlT_T0_E_clISt17integral_constantIbLb0EES1M_EEDaS1H_S1I_EUlS1H_E_NS1_11comp_targetILNS1_3genE8ELNS1_11target_archE1030ELNS1_3gpuE2ELNS1_3repE0EEENS1_30default_config_static_selectorELNS0_4arch9wavefront6targetE0EEEvSV_
; %bb.0:
	.section	.rodata,"a",@progbits
	.p2align	6, 0x0
	.amdhsa_kernel _ZN7rocprim17ROCPRIM_400000_NS6detail17trampoline_kernelINS0_13select_configILj256ELj13ELNS0_17block_load_methodE3ELS4_3ELS4_3ELNS0_20block_scan_algorithmE0ELj4294967295EEENS1_25partition_config_selectorILNS1_17partition_subalgoE3EjNS0_10empty_typeEbEEZZNS1_14partition_implILS8_3ELb0ES6_jNS0_17counting_iteratorIjlEEPS9_SE_NS0_5tupleIJPjSE_EEENSF_IJSE_SE_EEES9_SG_JZNS1_25segmented_radix_sort_implINS0_14default_configELb1EPKlPlSM_SN_N2at6native12_GLOBAL__N_18offset_tEEE10hipError_tPvRmT1_PNSt15iterator_traitsISV_E10value_typeET2_T3_PNSW_IS11_E10value_typeET4_jRbjT5_S17_jjP12ihipStream_tbEUljE_EEESS_ST_SU_S11_S15_S17_T6_T7_T9_mT8_S19_bDpT10_ENKUlT_T0_E_clISt17integral_constantIbLb0EES1M_EEDaS1H_S1I_EUlS1H_E_NS1_11comp_targetILNS1_3genE8ELNS1_11target_archE1030ELNS1_3gpuE2ELNS1_3repE0EEENS1_30default_config_static_selectorELNS0_4arch9wavefront6targetE0EEEvSV_
		.amdhsa_group_segment_fixed_size 0
		.amdhsa_private_segment_fixed_size 0
		.amdhsa_kernarg_size 144
		.amdhsa_user_sgpr_count 2
		.amdhsa_user_sgpr_dispatch_ptr 0
		.amdhsa_user_sgpr_queue_ptr 0
		.amdhsa_user_sgpr_kernarg_segment_ptr 1
		.amdhsa_user_sgpr_dispatch_id 0
		.amdhsa_user_sgpr_private_segment_size 0
		.amdhsa_wavefront_size32 1
		.amdhsa_uses_dynamic_stack 0
		.amdhsa_enable_private_segment 0
		.amdhsa_system_sgpr_workgroup_id_x 1
		.amdhsa_system_sgpr_workgroup_id_y 0
		.amdhsa_system_sgpr_workgroup_id_z 0
		.amdhsa_system_sgpr_workgroup_info 0
		.amdhsa_system_vgpr_workitem_id 0
		.amdhsa_next_free_vgpr 1
		.amdhsa_next_free_sgpr 1
		.amdhsa_reserve_vcc 0
		.amdhsa_float_round_mode_32 0
		.amdhsa_float_round_mode_16_64 0
		.amdhsa_float_denorm_mode_32 3
		.amdhsa_float_denorm_mode_16_64 3
		.amdhsa_fp16_overflow 0
		.amdhsa_workgroup_processor_mode 1
		.amdhsa_memory_ordered 1
		.amdhsa_forward_progress 1
		.amdhsa_inst_pref_size 0
		.amdhsa_round_robin_scheduling 0
		.amdhsa_exception_fp_ieee_invalid_op 0
		.amdhsa_exception_fp_denorm_src 0
		.amdhsa_exception_fp_ieee_div_zero 0
		.amdhsa_exception_fp_ieee_overflow 0
		.amdhsa_exception_fp_ieee_underflow 0
		.amdhsa_exception_fp_ieee_inexact 0
		.amdhsa_exception_int_div_zero 0
	.end_amdhsa_kernel
	.section	.text._ZN7rocprim17ROCPRIM_400000_NS6detail17trampoline_kernelINS0_13select_configILj256ELj13ELNS0_17block_load_methodE3ELS4_3ELS4_3ELNS0_20block_scan_algorithmE0ELj4294967295EEENS1_25partition_config_selectorILNS1_17partition_subalgoE3EjNS0_10empty_typeEbEEZZNS1_14partition_implILS8_3ELb0ES6_jNS0_17counting_iteratorIjlEEPS9_SE_NS0_5tupleIJPjSE_EEENSF_IJSE_SE_EEES9_SG_JZNS1_25segmented_radix_sort_implINS0_14default_configELb1EPKlPlSM_SN_N2at6native12_GLOBAL__N_18offset_tEEE10hipError_tPvRmT1_PNSt15iterator_traitsISV_E10value_typeET2_T3_PNSW_IS11_E10value_typeET4_jRbjT5_S17_jjP12ihipStream_tbEUljE_EEESS_ST_SU_S11_S15_S17_T6_T7_T9_mT8_S19_bDpT10_ENKUlT_T0_E_clISt17integral_constantIbLb0EES1M_EEDaS1H_S1I_EUlS1H_E_NS1_11comp_targetILNS1_3genE8ELNS1_11target_archE1030ELNS1_3gpuE2ELNS1_3repE0EEENS1_30default_config_static_selectorELNS0_4arch9wavefront6targetE0EEEvSV_,"axG",@progbits,_ZN7rocprim17ROCPRIM_400000_NS6detail17trampoline_kernelINS0_13select_configILj256ELj13ELNS0_17block_load_methodE3ELS4_3ELS4_3ELNS0_20block_scan_algorithmE0ELj4294967295EEENS1_25partition_config_selectorILNS1_17partition_subalgoE3EjNS0_10empty_typeEbEEZZNS1_14partition_implILS8_3ELb0ES6_jNS0_17counting_iteratorIjlEEPS9_SE_NS0_5tupleIJPjSE_EEENSF_IJSE_SE_EEES9_SG_JZNS1_25segmented_radix_sort_implINS0_14default_configELb1EPKlPlSM_SN_N2at6native12_GLOBAL__N_18offset_tEEE10hipError_tPvRmT1_PNSt15iterator_traitsISV_E10value_typeET2_T3_PNSW_IS11_E10value_typeET4_jRbjT5_S17_jjP12ihipStream_tbEUljE_EEESS_ST_SU_S11_S15_S17_T6_T7_T9_mT8_S19_bDpT10_ENKUlT_T0_E_clISt17integral_constantIbLb0EES1M_EEDaS1H_S1I_EUlS1H_E_NS1_11comp_targetILNS1_3genE8ELNS1_11target_archE1030ELNS1_3gpuE2ELNS1_3repE0EEENS1_30default_config_static_selectorELNS0_4arch9wavefront6targetE0EEEvSV_,comdat
.Lfunc_end679:
	.size	_ZN7rocprim17ROCPRIM_400000_NS6detail17trampoline_kernelINS0_13select_configILj256ELj13ELNS0_17block_load_methodE3ELS4_3ELS4_3ELNS0_20block_scan_algorithmE0ELj4294967295EEENS1_25partition_config_selectorILNS1_17partition_subalgoE3EjNS0_10empty_typeEbEEZZNS1_14partition_implILS8_3ELb0ES6_jNS0_17counting_iteratorIjlEEPS9_SE_NS0_5tupleIJPjSE_EEENSF_IJSE_SE_EEES9_SG_JZNS1_25segmented_radix_sort_implINS0_14default_configELb1EPKlPlSM_SN_N2at6native12_GLOBAL__N_18offset_tEEE10hipError_tPvRmT1_PNSt15iterator_traitsISV_E10value_typeET2_T3_PNSW_IS11_E10value_typeET4_jRbjT5_S17_jjP12ihipStream_tbEUljE_EEESS_ST_SU_S11_S15_S17_T6_T7_T9_mT8_S19_bDpT10_ENKUlT_T0_E_clISt17integral_constantIbLb0EES1M_EEDaS1H_S1I_EUlS1H_E_NS1_11comp_targetILNS1_3genE8ELNS1_11target_archE1030ELNS1_3gpuE2ELNS1_3repE0EEENS1_30default_config_static_selectorELNS0_4arch9wavefront6targetE0EEEvSV_, .Lfunc_end679-_ZN7rocprim17ROCPRIM_400000_NS6detail17trampoline_kernelINS0_13select_configILj256ELj13ELNS0_17block_load_methodE3ELS4_3ELS4_3ELNS0_20block_scan_algorithmE0ELj4294967295EEENS1_25partition_config_selectorILNS1_17partition_subalgoE3EjNS0_10empty_typeEbEEZZNS1_14partition_implILS8_3ELb0ES6_jNS0_17counting_iteratorIjlEEPS9_SE_NS0_5tupleIJPjSE_EEENSF_IJSE_SE_EEES9_SG_JZNS1_25segmented_radix_sort_implINS0_14default_configELb1EPKlPlSM_SN_N2at6native12_GLOBAL__N_18offset_tEEE10hipError_tPvRmT1_PNSt15iterator_traitsISV_E10value_typeET2_T3_PNSW_IS11_E10value_typeET4_jRbjT5_S17_jjP12ihipStream_tbEUljE_EEESS_ST_SU_S11_S15_S17_T6_T7_T9_mT8_S19_bDpT10_ENKUlT_T0_E_clISt17integral_constantIbLb0EES1M_EEDaS1H_S1I_EUlS1H_E_NS1_11comp_targetILNS1_3genE8ELNS1_11target_archE1030ELNS1_3gpuE2ELNS1_3repE0EEENS1_30default_config_static_selectorELNS0_4arch9wavefront6targetE0EEEvSV_
                                        ; -- End function
	.set _ZN7rocprim17ROCPRIM_400000_NS6detail17trampoline_kernelINS0_13select_configILj256ELj13ELNS0_17block_load_methodE3ELS4_3ELS4_3ELNS0_20block_scan_algorithmE0ELj4294967295EEENS1_25partition_config_selectorILNS1_17partition_subalgoE3EjNS0_10empty_typeEbEEZZNS1_14partition_implILS8_3ELb0ES6_jNS0_17counting_iteratorIjlEEPS9_SE_NS0_5tupleIJPjSE_EEENSF_IJSE_SE_EEES9_SG_JZNS1_25segmented_radix_sort_implINS0_14default_configELb1EPKlPlSM_SN_N2at6native12_GLOBAL__N_18offset_tEEE10hipError_tPvRmT1_PNSt15iterator_traitsISV_E10value_typeET2_T3_PNSW_IS11_E10value_typeET4_jRbjT5_S17_jjP12ihipStream_tbEUljE_EEESS_ST_SU_S11_S15_S17_T6_T7_T9_mT8_S19_bDpT10_ENKUlT_T0_E_clISt17integral_constantIbLb0EES1M_EEDaS1H_S1I_EUlS1H_E_NS1_11comp_targetILNS1_3genE8ELNS1_11target_archE1030ELNS1_3gpuE2ELNS1_3repE0EEENS1_30default_config_static_selectorELNS0_4arch9wavefront6targetE0EEEvSV_.num_vgpr, 0
	.set _ZN7rocprim17ROCPRIM_400000_NS6detail17trampoline_kernelINS0_13select_configILj256ELj13ELNS0_17block_load_methodE3ELS4_3ELS4_3ELNS0_20block_scan_algorithmE0ELj4294967295EEENS1_25partition_config_selectorILNS1_17partition_subalgoE3EjNS0_10empty_typeEbEEZZNS1_14partition_implILS8_3ELb0ES6_jNS0_17counting_iteratorIjlEEPS9_SE_NS0_5tupleIJPjSE_EEENSF_IJSE_SE_EEES9_SG_JZNS1_25segmented_radix_sort_implINS0_14default_configELb1EPKlPlSM_SN_N2at6native12_GLOBAL__N_18offset_tEEE10hipError_tPvRmT1_PNSt15iterator_traitsISV_E10value_typeET2_T3_PNSW_IS11_E10value_typeET4_jRbjT5_S17_jjP12ihipStream_tbEUljE_EEESS_ST_SU_S11_S15_S17_T6_T7_T9_mT8_S19_bDpT10_ENKUlT_T0_E_clISt17integral_constantIbLb0EES1M_EEDaS1H_S1I_EUlS1H_E_NS1_11comp_targetILNS1_3genE8ELNS1_11target_archE1030ELNS1_3gpuE2ELNS1_3repE0EEENS1_30default_config_static_selectorELNS0_4arch9wavefront6targetE0EEEvSV_.num_agpr, 0
	.set _ZN7rocprim17ROCPRIM_400000_NS6detail17trampoline_kernelINS0_13select_configILj256ELj13ELNS0_17block_load_methodE3ELS4_3ELS4_3ELNS0_20block_scan_algorithmE0ELj4294967295EEENS1_25partition_config_selectorILNS1_17partition_subalgoE3EjNS0_10empty_typeEbEEZZNS1_14partition_implILS8_3ELb0ES6_jNS0_17counting_iteratorIjlEEPS9_SE_NS0_5tupleIJPjSE_EEENSF_IJSE_SE_EEES9_SG_JZNS1_25segmented_radix_sort_implINS0_14default_configELb1EPKlPlSM_SN_N2at6native12_GLOBAL__N_18offset_tEEE10hipError_tPvRmT1_PNSt15iterator_traitsISV_E10value_typeET2_T3_PNSW_IS11_E10value_typeET4_jRbjT5_S17_jjP12ihipStream_tbEUljE_EEESS_ST_SU_S11_S15_S17_T6_T7_T9_mT8_S19_bDpT10_ENKUlT_T0_E_clISt17integral_constantIbLb0EES1M_EEDaS1H_S1I_EUlS1H_E_NS1_11comp_targetILNS1_3genE8ELNS1_11target_archE1030ELNS1_3gpuE2ELNS1_3repE0EEENS1_30default_config_static_selectorELNS0_4arch9wavefront6targetE0EEEvSV_.numbered_sgpr, 0
	.set _ZN7rocprim17ROCPRIM_400000_NS6detail17trampoline_kernelINS0_13select_configILj256ELj13ELNS0_17block_load_methodE3ELS4_3ELS4_3ELNS0_20block_scan_algorithmE0ELj4294967295EEENS1_25partition_config_selectorILNS1_17partition_subalgoE3EjNS0_10empty_typeEbEEZZNS1_14partition_implILS8_3ELb0ES6_jNS0_17counting_iteratorIjlEEPS9_SE_NS0_5tupleIJPjSE_EEENSF_IJSE_SE_EEES9_SG_JZNS1_25segmented_radix_sort_implINS0_14default_configELb1EPKlPlSM_SN_N2at6native12_GLOBAL__N_18offset_tEEE10hipError_tPvRmT1_PNSt15iterator_traitsISV_E10value_typeET2_T3_PNSW_IS11_E10value_typeET4_jRbjT5_S17_jjP12ihipStream_tbEUljE_EEESS_ST_SU_S11_S15_S17_T6_T7_T9_mT8_S19_bDpT10_ENKUlT_T0_E_clISt17integral_constantIbLb0EES1M_EEDaS1H_S1I_EUlS1H_E_NS1_11comp_targetILNS1_3genE8ELNS1_11target_archE1030ELNS1_3gpuE2ELNS1_3repE0EEENS1_30default_config_static_selectorELNS0_4arch9wavefront6targetE0EEEvSV_.num_named_barrier, 0
	.set _ZN7rocprim17ROCPRIM_400000_NS6detail17trampoline_kernelINS0_13select_configILj256ELj13ELNS0_17block_load_methodE3ELS4_3ELS4_3ELNS0_20block_scan_algorithmE0ELj4294967295EEENS1_25partition_config_selectorILNS1_17partition_subalgoE3EjNS0_10empty_typeEbEEZZNS1_14partition_implILS8_3ELb0ES6_jNS0_17counting_iteratorIjlEEPS9_SE_NS0_5tupleIJPjSE_EEENSF_IJSE_SE_EEES9_SG_JZNS1_25segmented_radix_sort_implINS0_14default_configELb1EPKlPlSM_SN_N2at6native12_GLOBAL__N_18offset_tEEE10hipError_tPvRmT1_PNSt15iterator_traitsISV_E10value_typeET2_T3_PNSW_IS11_E10value_typeET4_jRbjT5_S17_jjP12ihipStream_tbEUljE_EEESS_ST_SU_S11_S15_S17_T6_T7_T9_mT8_S19_bDpT10_ENKUlT_T0_E_clISt17integral_constantIbLb0EES1M_EEDaS1H_S1I_EUlS1H_E_NS1_11comp_targetILNS1_3genE8ELNS1_11target_archE1030ELNS1_3gpuE2ELNS1_3repE0EEENS1_30default_config_static_selectorELNS0_4arch9wavefront6targetE0EEEvSV_.private_seg_size, 0
	.set _ZN7rocprim17ROCPRIM_400000_NS6detail17trampoline_kernelINS0_13select_configILj256ELj13ELNS0_17block_load_methodE3ELS4_3ELS4_3ELNS0_20block_scan_algorithmE0ELj4294967295EEENS1_25partition_config_selectorILNS1_17partition_subalgoE3EjNS0_10empty_typeEbEEZZNS1_14partition_implILS8_3ELb0ES6_jNS0_17counting_iteratorIjlEEPS9_SE_NS0_5tupleIJPjSE_EEENSF_IJSE_SE_EEES9_SG_JZNS1_25segmented_radix_sort_implINS0_14default_configELb1EPKlPlSM_SN_N2at6native12_GLOBAL__N_18offset_tEEE10hipError_tPvRmT1_PNSt15iterator_traitsISV_E10value_typeET2_T3_PNSW_IS11_E10value_typeET4_jRbjT5_S17_jjP12ihipStream_tbEUljE_EEESS_ST_SU_S11_S15_S17_T6_T7_T9_mT8_S19_bDpT10_ENKUlT_T0_E_clISt17integral_constantIbLb0EES1M_EEDaS1H_S1I_EUlS1H_E_NS1_11comp_targetILNS1_3genE8ELNS1_11target_archE1030ELNS1_3gpuE2ELNS1_3repE0EEENS1_30default_config_static_selectorELNS0_4arch9wavefront6targetE0EEEvSV_.uses_vcc, 0
	.set _ZN7rocprim17ROCPRIM_400000_NS6detail17trampoline_kernelINS0_13select_configILj256ELj13ELNS0_17block_load_methodE3ELS4_3ELS4_3ELNS0_20block_scan_algorithmE0ELj4294967295EEENS1_25partition_config_selectorILNS1_17partition_subalgoE3EjNS0_10empty_typeEbEEZZNS1_14partition_implILS8_3ELb0ES6_jNS0_17counting_iteratorIjlEEPS9_SE_NS0_5tupleIJPjSE_EEENSF_IJSE_SE_EEES9_SG_JZNS1_25segmented_radix_sort_implINS0_14default_configELb1EPKlPlSM_SN_N2at6native12_GLOBAL__N_18offset_tEEE10hipError_tPvRmT1_PNSt15iterator_traitsISV_E10value_typeET2_T3_PNSW_IS11_E10value_typeET4_jRbjT5_S17_jjP12ihipStream_tbEUljE_EEESS_ST_SU_S11_S15_S17_T6_T7_T9_mT8_S19_bDpT10_ENKUlT_T0_E_clISt17integral_constantIbLb0EES1M_EEDaS1H_S1I_EUlS1H_E_NS1_11comp_targetILNS1_3genE8ELNS1_11target_archE1030ELNS1_3gpuE2ELNS1_3repE0EEENS1_30default_config_static_selectorELNS0_4arch9wavefront6targetE0EEEvSV_.uses_flat_scratch, 0
	.set _ZN7rocprim17ROCPRIM_400000_NS6detail17trampoline_kernelINS0_13select_configILj256ELj13ELNS0_17block_load_methodE3ELS4_3ELS4_3ELNS0_20block_scan_algorithmE0ELj4294967295EEENS1_25partition_config_selectorILNS1_17partition_subalgoE3EjNS0_10empty_typeEbEEZZNS1_14partition_implILS8_3ELb0ES6_jNS0_17counting_iteratorIjlEEPS9_SE_NS0_5tupleIJPjSE_EEENSF_IJSE_SE_EEES9_SG_JZNS1_25segmented_radix_sort_implINS0_14default_configELb1EPKlPlSM_SN_N2at6native12_GLOBAL__N_18offset_tEEE10hipError_tPvRmT1_PNSt15iterator_traitsISV_E10value_typeET2_T3_PNSW_IS11_E10value_typeET4_jRbjT5_S17_jjP12ihipStream_tbEUljE_EEESS_ST_SU_S11_S15_S17_T6_T7_T9_mT8_S19_bDpT10_ENKUlT_T0_E_clISt17integral_constantIbLb0EES1M_EEDaS1H_S1I_EUlS1H_E_NS1_11comp_targetILNS1_3genE8ELNS1_11target_archE1030ELNS1_3gpuE2ELNS1_3repE0EEENS1_30default_config_static_selectorELNS0_4arch9wavefront6targetE0EEEvSV_.has_dyn_sized_stack, 0
	.set _ZN7rocprim17ROCPRIM_400000_NS6detail17trampoline_kernelINS0_13select_configILj256ELj13ELNS0_17block_load_methodE3ELS4_3ELS4_3ELNS0_20block_scan_algorithmE0ELj4294967295EEENS1_25partition_config_selectorILNS1_17partition_subalgoE3EjNS0_10empty_typeEbEEZZNS1_14partition_implILS8_3ELb0ES6_jNS0_17counting_iteratorIjlEEPS9_SE_NS0_5tupleIJPjSE_EEENSF_IJSE_SE_EEES9_SG_JZNS1_25segmented_radix_sort_implINS0_14default_configELb1EPKlPlSM_SN_N2at6native12_GLOBAL__N_18offset_tEEE10hipError_tPvRmT1_PNSt15iterator_traitsISV_E10value_typeET2_T3_PNSW_IS11_E10value_typeET4_jRbjT5_S17_jjP12ihipStream_tbEUljE_EEESS_ST_SU_S11_S15_S17_T6_T7_T9_mT8_S19_bDpT10_ENKUlT_T0_E_clISt17integral_constantIbLb0EES1M_EEDaS1H_S1I_EUlS1H_E_NS1_11comp_targetILNS1_3genE8ELNS1_11target_archE1030ELNS1_3gpuE2ELNS1_3repE0EEENS1_30default_config_static_selectorELNS0_4arch9wavefront6targetE0EEEvSV_.has_recursion, 0
	.set _ZN7rocprim17ROCPRIM_400000_NS6detail17trampoline_kernelINS0_13select_configILj256ELj13ELNS0_17block_load_methodE3ELS4_3ELS4_3ELNS0_20block_scan_algorithmE0ELj4294967295EEENS1_25partition_config_selectorILNS1_17partition_subalgoE3EjNS0_10empty_typeEbEEZZNS1_14partition_implILS8_3ELb0ES6_jNS0_17counting_iteratorIjlEEPS9_SE_NS0_5tupleIJPjSE_EEENSF_IJSE_SE_EEES9_SG_JZNS1_25segmented_radix_sort_implINS0_14default_configELb1EPKlPlSM_SN_N2at6native12_GLOBAL__N_18offset_tEEE10hipError_tPvRmT1_PNSt15iterator_traitsISV_E10value_typeET2_T3_PNSW_IS11_E10value_typeET4_jRbjT5_S17_jjP12ihipStream_tbEUljE_EEESS_ST_SU_S11_S15_S17_T6_T7_T9_mT8_S19_bDpT10_ENKUlT_T0_E_clISt17integral_constantIbLb0EES1M_EEDaS1H_S1I_EUlS1H_E_NS1_11comp_targetILNS1_3genE8ELNS1_11target_archE1030ELNS1_3gpuE2ELNS1_3repE0EEENS1_30default_config_static_selectorELNS0_4arch9wavefront6targetE0EEEvSV_.has_indirect_call, 0
	.section	.AMDGPU.csdata,"",@progbits
; Kernel info:
; codeLenInByte = 0
; TotalNumSgprs: 0
; NumVgprs: 0
; ScratchSize: 0
; MemoryBound: 0
; FloatMode: 240
; IeeeMode: 1
; LDSByteSize: 0 bytes/workgroup (compile time only)
; SGPRBlocks: 0
; VGPRBlocks: 0
; NumSGPRsForWavesPerEU: 1
; NumVGPRsForWavesPerEU: 1
; Occupancy: 16
; WaveLimiterHint : 0
; COMPUTE_PGM_RSRC2:SCRATCH_EN: 0
; COMPUTE_PGM_RSRC2:USER_SGPR: 2
; COMPUTE_PGM_RSRC2:TRAP_HANDLER: 0
; COMPUTE_PGM_RSRC2:TGID_X_EN: 1
; COMPUTE_PGM_RSRC2:TGID_Y_EN: 0
; COMPUTE_PGM_RSRC2:TGID_Z_EN: 0
; COMPUTE_PGM_RSRC2:TIDIG_COMP_CNT: 0
	.section	.text._ZN7rocprim17ROCPRIM_400000_NS6detail17trampoline_kernelINS0_13select_configILj256ELj13ELNS0_17block_load_methodE3ELS4_3ELS4_3ELNS0_20block_scan_algorithmE0ELj4294967295EEENS1_25partition_config_selectorILNS1_17partition_subalgoE3EjNS0_10empty_typeEbEEZZNS1_14partition_implILS8_3ELb0ES6_jNS0_17counting_iteratorIjlEEPS9_SE_NS0_5tupleIJPjSE_EEENSF_IJSE_SE_EEES9_SG_JZNS1_25segmented_radix_sort_implINS0_14default_configELb1EPKlPlSM_SN_N2at6native12_GLOBAL__N_18offset_tEEE10hipError_tPvRmT1_PNSt15iterator_traitsISV_E10value_typeET2_T3_PNSW_IS11_E10value_typeET4_jRbjT5_S17_jjP12ihipStream_tbEUljE_EEESS_ST_SU_S11_S15_S17_T6_T7_T9_mT8_S19_bDpT10_ENKUlT_T0_E_clISt17integral_constantIbLb1EES1M_EEDaS1H_S1I_EUlS1H_E_NS1_11comp_targetILNS1_3genE0ELNS1_11target_archE4294967295ELNS1_3gpuE0ELNS1_3repE0EEENS1_30default_config_static_selectorELNS0_4arch9wavefront6targetE0EEEvSV_,"axG",@progbits,_ZN7rocprim17ROCPRIM_400000_NS6detail17trampoline_kernelINS0_13select_configILj256ELj13ELNS0_17block_load_methodE3ELS4_3ELS4_3ELNS0_20block_scan_algorithmE0ELj4294967295EEENS1_25partition_config_selectorILNS1_17partition_subalgoE3EjNS0_10empty_typeEbEEZZNS1_14partition_implILS8_3ELb0ES6_jNS0_17counting_iteratorIjlEEPS9_SE_NS0_5tupleIJPjSE_EEENSF_IJSE_SE_EEES9_SG_JZNS1_25segmented_radix_sort_implINS0_14default_configELb1EPKlPlSM_SN_N2at6native12_GLOBAL__N_18offset_tEEE10hipError_tPvRmT1_PNSt15iterator_traitsISV_E10value_typeET2_T3_PNSW_IS11_E10value_typeET4_jRbjT5_S17_jjP12ihipStream_tbEUljE_EEESS_ST_SU_S11_S15_S17_T6_T7_T9_mT8_S19_bDpT10_ENKUlT_T0_E_clISt17integral_constantIbLb1EES1M_EEDaS1H_S1I_EUlS1H_E_NS1_11comp_targetILNS1_3genE0ELNS1_11target_archE4294967295ELNS1_3gpuE0ELNS1_3repE0EEENS1_30default_config_static_selectorELNS0_4arch9wavefront6targetE0EEEvSV_,comdat
	.globl	_ZN7rocprim17ROCPRIM_400000_NS6detail17trampoline_kernelINS0_13select_configILj256ELj13ELNS0_17block_load_methodE3ELS4_3ELS4_3ELNS0_20block_scan_algorithmE0ELj4294967295EEENS1_25partition_config_selectorILNS1_17partition_subalgoE3EjNS0_10empty_typeEbEEZZNS1_14partition_implILS8_3ELb0ES6_jNS0_17counting_iteratorIjlEEPS9_SE_NS0_5tupleIJPjSE_EEENSF_IJSE_SE_EEES9_SG_JZNS1_25segmented_radix_sort_implINS0_14default_configELb1EPKlPlSM_SN_N2at6native12_GLOBAL__N_18offset_tEEE10hipError_tPvRmT1_PNSt15iterator_traitsISV_E10value_typeET2_T3_PNSW_IS11_E10value_typeET4_jRbjT5_S17_jjP12ihipStream_tbEUljE_EEESS_ST_SU_S11_S15_S17_T6_T7_T9_mT8_S19_bDpT10_ENKUlT_T0_E_clISt17integral_constantIbLb1EES1M_EEDaS1H_S1I_EUlS1H_E_NS1_11comp_targetILNS1_3genE0ELNS1_11target_archE4294967295ELNS1_3gpuE0ELNS1_3repE0EEENS1_30default_config_static_selectorELNS0_4arch9wavefront6targetE0EEEvSV_ ; -- Begin function _ZN7rocprim17ROCPRIM_400000_NS6detail17trampoline_kernelINS0_13select_configILj256ELj13ELNS0_17block_load_methodE3ELS4_3ELS4_3ELNS0_20block_scan_algorithmE0ELj4294967295EEENS1_25partition_config_selectorILNS1_17partition_subalgoE3EjNS0_10empty_typeEbEEZZNS1_14partition_implILS8_3ELb0ES6_jNS0_17counting_iteratorIjlEEPS9_SE_NS0_5tupleIJPjSE_EEENSF_IJSE_SE_EEES9_SG_JZNS1_25segmented_radix_sort_implINS0_14default_configELb1EPKlPlSM_SN_N2at6native12_GLOBAL__N_18offset_tEEE10hipError_tPvRmT1_PNSt15iterator_traitsISV_E10value_typeET2_T3_PNSW_IS11_E10value_typeET4_jRbjT5_S17_jjP12ihipStream_tbEUljE_EEESS_ST_SU_S11_S15_S17_T6_T7_T9_mT8_S19_bDpT10_ENKUlT_T0_E_clISt17integral_constantIbLb1EES1M_EEDaS1H_S1I_EUlS1H_E_NS1_11comp_targetILNS1_3genE0ELNS1_11target_archE4294967295ELNS1_3gpuE0ELNS1_3repE0EEENS1_30default_config_static_selectorELNS0_4arch9wavefront6targetE0EEEvSV_
	.p2align	8
	.type	_ZN7rocprim17ROCPRIM_400000_NS6detail17trampoline_kernelINS0_13select_configILj256ELj13ELNS0_17block_load_methodE3ELS4_3ELS4_3ELNS0_20block_scan_algorithmE0ELj4294967295EEENS1_25partition_config_selectorILNS1_17partition_subalgoE3EjNS0_10empty_typeEbEEZZNS1_14partition_implILS8_3ELb0ES6_jNS0_17counting_iteratorIjlEEPS9_SE_NS0_5tupleIJPjSE_EEENSF_IJSE_SE_EEES9_SG_JZNS1_25segmented_radix_sort_implINS0_14default_configELb1EPKlPlSM_SN_N2at6native12_GLOBAL__N_18offset_tEEE10hipError_tPvRmT1_PNSt15iterator_traitsISV_E10value_typeET2_T3_PNSW_IS11_E10value_typeET4_jRbjT5_S17_jjP12ihipStream_tbEUljE_EEESS_ST_SU_S11_S15_S17_T6_T7_T9_mT8_S19_bDpT10_ENKUlT_T0_E_clISt17integral_constantIbLb1EES1M_EEDaS1H_S1I_EUlS1H_E_NS1_11comp_targetILNS1_3genE0ELNS1_11target_archE4294967295ELNS1_3gpuE0ELNS1_3repE0EEENS1_30default_config_static_selectorELNS0_4arch9wavefront6targetE0EEEvSV_,@function
_ZN7rocprim17ROCPRIM_400000_NS6detail17trampoline_kernelINS0_13select_configILj256ELj13ELNS0_17block_load_methodE3ELS4_3ELS4_3ELNS0_20block_scan_algorithmE0ELj4294967295EEENS1_25partition_config_selectorILNS1_17partition_subalgoE3EjNS0_10empty_typeEbEEZZNS1_14partition_implILS8_3ELb0ES6_jNS0_17counting_iteratorIjlEEPS9_SE_NS0_5tupleIJPjSE_EEENSF_IJSE_SE_EEES9_SG_JZNS1_25segmented_radix_sort_implINS0_14default_configELb1EPKlPlSM_SN_N2at6native12_GLOBAL__N_18offset_tEEE10hipError_tPvRmT1_PNSt15iterator_traitsISV_E10value_typeET2_T3_PNSW_IS11_E10value_typeET4_jRbjT5_S17_jjP12ihipStream_tbEUljE_EEESS_ST_SU_S11_S15_S17_T6_T7_T9_mT8_S19_bDpT10_ENKUlT_T0_E_clISt17integral_constantIbLb1EES1M_EEDaS1H_S1I_EUlS1H_E_NS1_11comp_targetILNS1_3genE0ELNS1_11target_archE4294967295ELNS1_3gpuE0ELNS1_3repE0EEENS1_30default_config_static_selectorELNS0_4arch9wavefront6targetE0EEEvSV_: ; @_ZN7rocprim17ROCPRIM_400000_NS6detail17trampoline_kernelINS0_13select_configILj256ELj13ELNS0_17block_load_methodE3ELS4_3ELS4_3ELNS0_20block_scan_algorithmE0ELj4294967295EEENS1_25partition_config_selectorILNS1_17partition_subalgoE3EjNS0_10empty_typeEbEEZZNS1_14partition_implILS8_3ELb0ES6_jNS0_17counting_iteratorIjlEEPS9_SE_NS0_5tupleIJPjSE_EEENSF_IJSE_SE_EEES9_SG_JZNS1_25segmented_radix_sort_implINS0_14default_configELb1EPKlPlSM_SN_N2at6native12_GLOBAL__N_18offset_tEEE10hipError_tPvRmT1_PNSt15iterator_traitsISV_E10value_typeET2_T3_PNSW_IS11_E10value_typeET4_jRbjT5_S17_jjP12ihipStream_tbEUljE_EEESS_ST_SU_S11_S15_S17_T6_T7_T9_mT8_S19_bDpT10_ENKUlT_T0_E_clISt17integral_constantIbLb1EES1M_EEDaS1H_S1I_EUlS1H_E_NS1_11comp_targetILNS1_3genE0ELNS1_11target_archE4294967295ELNS1_3gpuE0ELNS1_3repE0EEENS1_30default_config_static_selectorELNS0_4arch9wavefront6targetE0EEEvSV_
; %bb.0:
	.section	.rodata,"a",@progbits
	.p2align	6, 0x0
	.amdhsa_kernel _ZN7rocprim17ROCPRIM_400000_NS6detail17trampoline_kernelINS0_13select_configILj256ELj13ELNS0_17block_load_methodE3ELS4_3ELS4_3ELNS0_20block_scan_algorithmE0ELj4294967295EEENS1_25partition_config_selectorILNS1_17partition_subalgoE3EjNS0_10empty_typeEbEEZZNS1_14partition_implILS8_3ELb0ES6_jNS0_17counting_iteratorIjlEEPS9_SE_NS0_5tupleIJPjSE_EEENSF_IJSE_SE_EEES9_SG_JZNS1_25segmented_radix_sort_implINS0_14default_configELb1EPKlPlSM_SN_N2at6native12_GLOBAL__N_18offset_tEEE10hipError_tPvRmT1_PNSt15iterator_traitsISV_E10value_typeET2_T3_PNSW_IS11_E10value_typeET4_jRbjT5_S17_jjP12ihipStream_tbEUljE_EEESS_ST_SU_S11_S15_S17_T6_T7_T9_mT8_S19_bDpT10_ENKUlT_T0_E_clISt17integral_constantIbLb1EES1M_EEDaS1H_S1I_EUlS1H_E_NS1_11comp_targetILNS1_3genE0ELNS1_11target_archE4294967295ELNS1_3gpuE0ELNS1_3repE0EEENS1_30default_config_static_selectorELNS0_4arch9wavefront6targetE0EEEvSV_
		.amdhsa_group_segment_fixed_size 0
		.amdhsa_private_segment_fixed_size 0
		.amdhsa_kernarg_size 152
		.amdhsa_user_sgpr_count 2
		.amdhsa_user_sgpr_dispatch_ptr 0
		.amdhsa_user_sgpr_queue_ptr 0
		.amdhsa_user_sgpr_kernarg_segment_ptr 1
		.amdhsa_user_sgpr_dispatch_id 0
		.amdhsa_user_sgpr_private_segment_size 0
		.amdhsa_wavefront_size32 1
		.amdhsa_uses_dynamic_stack 0
		.amdhsa_enable_private_segment 0
		.amdhsa_system_sgpr_workgroup_id_x 1
		.amdhsa_system_sgpr_workgroup_id_y 0
		.amdhsa_system_sgpr_workgroup_id_z 0
		.amdhsa_system_sgpr_workgroup_info 0
		.amdhsa_system_vgpr_workitem_id 0
		.amdhsa_next_free_vgpr 1
		.amdhsa_next_free_sgpr 1
		.amdhsa_reserve_vcc 0
		.amdhsa_float_round_mode_32 0
		.amdhsa_float_round_mode_16_64 0
		.amdhsa_float_denorm_mode_32 3
		.amdhsa_float_denorm_mode_16_64 3
		.amdhsa_fp16_overflow 0
		.amdhsa_workgroup_processor_mode 1
		.amdhsa_memory_ordered 1
		.amdhsa_forward_progress 1
		.amdhsa_inst_pref_size 0
		.amdhsa_round_robin_scheduling 0
		.amdhsa_exception_fp_ieee_invalid_op 0
		.amdhsa_exception_fp_denorm_src 0
		.amdhsa_exception_fp_ieee_div_zero 0
		.amdhsa_exception_fp_ieee_overflow 0
		.amdhsa_exception_fp_ieee_underflow 0
		.amdhsa_exception_fp_ieee_inexact 0
		.amdhsa_exception_int_div_zero 0
	.end_amdhsa_kernel
	.section	.text._ZN7rocprim17ROCPRIM_400000_NS6detail17trampoline_kernelINS0_13select_configILj256ELj13ELNS0_17block_load_methodE3ELS4_3ELS4_3ELNS0_20block_scan_algorithmE0ELj4294967295EEENS1_25partition_config_selectorILNS1_17partition_subalgoE3EjNS0_10empty_typeEbEEZZNS1_14partition_implILS8_3ELb0ES6_jNS0_17counting_iteratorIjlEEPS9_SE_NS0_5tupleIJPjSE_EEENSF_IJSE_SE_EEES9_SG_JZNS1_25segmented_radix_sort_implINS0_14default_configELb1EPKlPlSM_SN_N2at6native12_GLOBAL__N_18offset_tEEE10hipError_tPvRmT1_PNSt15iterator_traitsISV_E10value_typeET2_T3_PNSW_IS11_E10value_typeET4_jRbjT5_S17_jjP12ihipStream_tbEUljE_EEESS_ST_SU_S11_S15_S17_T6_T7_T9_mT8_S19_bDpT10_ENKUlT_T0_E_clISt17integral_constantIbLb1EES1M_EEDaS1H_S1I_EUlS1H_E_NS1_11comp_targetILNS1_3genE0ELNS1_11target_archE4294967295ELNS1_3gpuE0ELNS1_3repE0EEENS1_30default_config_static_selectorELNS0_4arch9wavefront6targetE0EEEvSV_,"axG",@progbits,_ZN7rocprim17ROCPRIM_400000_NS6detail17trampoline_kernelINS0_13select_configILj256ELj13ELNS0_17block_load_methodE3ELS4_3ELS4_3ELNS0_20block_scan_algorithmE0ELj4294967295EEENS1_25partition_config_selectorILNS1_17partition_subalgoE3EjNS0_10empty_typeEbEEZZNS1_14partition_implILS8_3ELb0ES6_jNS0_17counting_iteratorIjlEEPS9_SE_NS0_5tupleIJPjSE_EEENSF_IJSE_SE_EEES9_SG_JZNS1_25segmented_radix_sort_implINS0_14default_configELb1EPKlPlSM_SN_N2at6native12_GLOBAL__N_18offset_tEEE10hipError_tPvRmT1_PNSt15iterator_traitsISV_E10value_typeET2_T3_PNSW_IS11_E10value_typeET4_jRbjT5_S17_jjP12ihipStream_tbEUljE_EEESS_ST_SU_S11_S15_S17_T6_T7_T9_mT8_S19_bDpT10_ENKUlT_T0_E_clISt17integral_constantIbLb1EES1M_EEDaS1H_S1I_EUlS1H_E_NS1_11comp_targetILNS1_3genE0ELNS1_11target_archE4294967295ELNS1_3gpuE0ELNS1_3repE0EEENS1_30default_config_static_selectorELNS0_4arch9wavefront6targetE0EEEvSV_,comdat
.Lfunc_end680:
	.size	_ZN7rocprim17ROCPRIM_400000_NS6detail17trampoline_kernelINS0_13select_configILj256ELj13ELNS0_17block_load_methodE3ELS4_3ELS4_3ELNS0_20block_scan_algorithmE0ELj4294967295EEENS1_25partition_config_selectorILNS1_17partition_subalgoE3EjNS0_10empty_typeEbEEZZNS1_14partition_implILS8_3ELb0ES6_jNS0_17counting_iteratorIjlEEPS9_SE_NS0_5tupleIJPjSE_EEENSF_IJSE_SE_EEES9_SG_JZNS1_25segmented_radix_sort_implINS0_14default_configELb1EPKlPlSM_SN_N2at6native12_GLOBAL__N_18offset_tEEE10hipError_tPvRmT1_PNSt15iterator_traitsISV_E10value_typeET2_T3_PNSW_IS11_E10value_typeET4_jRbjT5_S17_jjP12ihipStream_tbEUljE_EEESS_ST_SU_S11_S15_S17_T6_T7_T9_mT8_S19_bDpT10_ENKUlT_T0_E_clISt17integral_constantIbLb1EES1M_EEDaS1H_S1I_EUlS1H_E_NS1_11comp_targetILNS1_3genE0ELNS1_11target_archE4294967295ELNS1_3gpuE0ELNS1_3repE0EEENS1_30default_config_static_selectorELNS0_4arch9wavefront6targetE0EEEvSV_, .Lfunc_end680-_ZN7rocprim17ROCPRIM_400000_NS6detail17trampoline_kernelINS0_13select_configILj256ELj13ELNS0_17block_load_methodE3ELS4_3ELS4_3ELNS0_20block_scan_algorithmE0ELj4294967295EEENS1_25partition_config_selectorILNS1_17partition_subalgoE3EjNS0_10empty_typeEbEEZZNS1_14partition_implILS8_3ELb0ES6_jNS0_17counting_iteratorIjlEEPS9_SE_NS0_5tupleIJPjSE_EEENSF_IJSE_SE_EEES9_SG_JZNS1_25segmented_radix_sort_implINS0_14default_configELb1EPKlPlSM_SN_N2at6native12_GLOBAL__N_18offset_tEEE10hipError_tPvRmT1_PNSt15iterator_traitsISV_E10value_typeET2_T3_PNSW_IS11_E10value_typeET4_jRbjT5_S17_jjP12ihipStream_tbEUljE_EEESS_ST_SU_S11_S15_S17_T6_T7_T9_mT8_S19_bDpT10_ENKUlT_T0_E_clISt17integral_constantIbLb1EES1M_EEDaS1H_S1I_EUlS1H_E_NS1_11comp_targetILNS1_3genE0ELNS1_11target_archE4294967295ELNS1_3gpuE0ELNS1_3repE0EEENS1_30default_config_static_selectorELNS0_4arch9wavefront6targetE0EEEvSV_
                                        ; -- End function
	.set _ZN7rocprim17ROCPRIM_400000_NS6detail17trampoline_kernelINS0_13select_configILj256ELj13ELNS0_17block_load_methodE3ELS4_3ELS4_3ELNS0_20block_scan_algorithmE0ELj4294967295EEENS1_25partition_config_selectorILNS1_17partition_subalgoE3EjNS0_10empty_typeEbEEZZNS1_14partition_implILS8_3ELb0ES6_jNS0_17counting_iteratorIjlEEPS9_SE_NS0_5tupleIJPjSE_EEENSF_IJSE_SE_EEES9_SG_JZNS1_25segmented_radix_sort_implINS0_14default_configELb1EPKlPlSM_SN_N2at6native12_GLOBAL__N_18offset_tEEE10hipError_tPvRmT1_PNSt15iterator_traitsISV_E10value_typeET2_T3_PNSW_IS11_E10value_typeET4_jRbjT5_S17_jjP12ihipStream_tbEUljE_EEESS_ST_SU_S11_S15_S17_T6_T7_T9_mT8_S19_bDpT10_ENKUlT_T0_E_clISt17integral_constantIbLb1EES1M_EEDaS1H_S1I_EUlS1H_E_NS1_11comp_targetILNS1_3genE0ELNS1_11target_archE4294967295ELNS1_3gpuE0ELNS1_3repE0EEENS1_30default_config_static_selectorELNS0_4arch9wavefront6targetE0EEEvSV_.num_vgpr, 0
	.set _ZN7rocprim17ROCPRIM_400000_NS6detail17trampoline_kernelINS0_13select_configILj256ELj13ELNS0_17block_load_methodE3ELS4_3ELS4_3ELNS0_20block_scan_algorithmE0ELj4294967295EEENS1_25partition_config_selectorILNS1_17partition_subalgoE3EjNS0_10empty_typeEbEEZZNS1_14partition_implILS8_3ELb0ES6_jNS0_17counting_iteratorIjlEEPS9_SE_NS0_5tupleIJPjSE_EEENSF_IJSE_SE_EEES9_SG_JZNS1_25segmented_radix_sort_implINS0_14default_configELb1EPKlPlSM_SN_N2at6native12_GLOBAL__N_18offset_tEEE10hipError_tPvRmT1_PNSt15iterator_traitsISV_E10value_typeET2_T3_PNSW_IS11_E10value_typeET4_jRbjT5_S17_jjP12ihipStream_tbEUljE_EEESS_ST_SU_S11_S15_S17_T6_T7_T9_mT8_S19_bDpT10_ENKUlT_T0_E_clISt17integral_constantIbLb1EES1M_EEDaS1H_S1I_EUlS1H_E_NS1_11comp_targetILNS1_3genE0ELNS1_11target_archE4294967295ELNS1_3gpuE0ELNS1_3repE0EEENS1_30default_config_static_selectorELNS0_4arch9wavefront6targetE0EEEvSV_.num_agpr, 0
	.set _ZN7rocprim17ROCPRIM_400000_NS6detail17trampoline_kernelINS0_13select_configILj256ELj13ELNS0_17block_load_methodE3ELS4_3ELS4_3ELNS0_20block_scan_algorithmE0ELj4294967295EEENS1_25partition_config_selectorILNS1_17partition_subalgoE3EjNS0_10empty_typeEbEEZZNS1_14partition_implILS8_3ELb0ES6_jNS0_17counting_iteratorIjlEEPS9_SE_NS0_5tupleIJPjSE_EEENSF_IJSE_SE_EEES9_SG_JZNS1_25segmented_radix_sort_implINS0_14default_configELb1EPKlPlSM_SN_N2at6native12_GLOBAL__N_18offset_tEEE10hipError_tPvRmT1_PNSt15iterator_traitsISV_E10value_typeET2_T3_PNSW_IS11_E10value_typeET4_jRbjT5_S17_jjP12ihipStream_tbEUljE_EEESS_ST_SU_S11_S15_S17_T6_T7_T9_mT8_S19_bDpT10_ENKUlT_T0_E_clISt17integral_constantIbLb1EES1M_EEDaS1H_S1I_EUlS1H_E_NS1_11comp_targetILNS1_3genE0ELNS1_11target_archE4294967295ELNS1_3gpuE0ELNS1_3repE0EEENS1_30default_config_static_selectorELNS0_4arch9wavefront6targetE0EEEvSV_.numbered_sgpr, 0
	.set _ZN7rocprim17ROCPRIM_400000_NS6detail17trampoline_kernelINS0_13select_configILj256ELj13ELNS0_17block_load_methodE3ELS4_3ELS4_3ELNS0_20block_scan_algorithmE0ELj4294967295EEENS1_25partition_config_selectorILNS1_17partition_subalgoE3EjNS0_10empty_typeEbEEZZNS1_14partition_implILS8_3ELb0ES6_jNS0_17counting_iteratorIjlEEPS9_SE_NS0_5tupleIJPjSE_EEENSF_IJSE_SE_EEES9_SG_JZNS1_25segmented_radix_sort_implINS0_14default_configELb1EPKlPlSM_SN_N2at6native12_GLOBAL__N_18offset_tEEE10hipError_tPvRmT1_PNSt15iterator_traitsISV_E10value_typeET2_T3_PNSW_IS11_E10value_typeET4_jRbjT5_S17_jjP12ihipStream_tbEUljE_EEESS_ST_SU_S11_S15_S17_T6_T7_T9_mT8_S19_bDpT10_ENKUlT_T0_E_clISt17integral_constantIbLb1EES1M_EEDaS1H_S1I_EUlS1H_E_NS1_11comp_targetILNS1_3genE0ELNS1_11target_archE4294967295ELNS1_3gpuE0ELNS1_3repE0EEENS1_30default_config_static_selectorELNS0_4arch9wavefront6targetE0EEEvSV_.num_named_barrier, 0
	.set _ZN7rocprim17ROCPRIM_400000_NS6detail17trampoline_kernelINS0_13select_configILj256ELj13ELNS0_17block_load_methodE3ELS4_3ELS4_3ELNS0_20block_scan_algorithmE0ELj4294967295EEENS1_25partition_config_selectorILNS1_17partition_subalgoE3EjNS0_10empty_typeEbEEZZNS1_14partition_implILS8_3ELb0ES6_jNS0_17counting_iteratorIjlEEPS9_SE_NS0_5tupleIJPjSE_EEENSF_IJSE_SE_EEES9_SG_JZNS1_25segmented_radix_sort_implINS0_14default_configELb1EPKlPlSM_SN_N2at6native12_GLOBAL__N_18offset_tEEE10hipError_tPvRmT1_PNSt15iterator_traitsISV_E10value_typeET2_T3_PNSW_IS11_E10value_typeET4_jRbjT5_S17_jjP12ihipStream_tbEUljE_EEESS_ST_SU_S11_S15_S17_T6_T7_T9_mT8_S19_bDpT10_ENKUlT_T0_E_clISt17integral_constantIbLb1EES1M_EEDaS1H_S1I_EUlS1H_E_NS1_11comp_targetILNS1_3genE0ELNS1_11target_archE4294967295ELNS1_3gpuE0ELNS1_3repE0EEENS1_30default_config_static_selectorELNS0_4arch9wavefront6targetE0EEEvSV_.private_seg_size, 0
	.set _ZN7rocprim17ROCPRIM_400000_NS6detail17trampoline_kernelINS0_13select_configILj256ELj13ELNS0_17block_load_methodE3ELS4_3ELS4_3ELNS0_20block_scan_algorithmE0ELj4294967295EEENS1_25partition_config_selectorILNS1_17partition_subalgoE3EjNS0_10empty_typeEbEEZZNS1_14partition_implILS8_3ELb0ES6_jNS0_17counting_iteratorIjlEEPS9_SE_NS0_5tupleIJPjSE_EEENSF_IJSE_SE_EEES9_SG_JZNS1_25segmented_radix_sort_implINS0_14default_configELb1EPKlPlSM_SN_N2at6native12_GLOBAL__N_18offset_tEEE10hipError_tPvRmT1_PNSt15iterator_traitsISV_E10value_typeET2_T3_PNSW_IS11_E10value_typeET4_jRbjT5_S17_jjP12ihipStream_tbEUljE_EEESS_ST_SU_S11_S15_S17_T6_T7_T9_mT8_S19_bDpT10_ENKUlT_T0_E_clISt17integral_constantIbLb1EES1M_EEDaS1H_S1I_EUlS1H_E_NS1_11comp_targetILNS1_3genE0ELNS1_11target_archE4294967295ELNS1_3gpuE0ELNS1_3repE0EEENS1_30default_config_static_selectorELNS0_4arch9wavefront6targetE0EEEvSV_.uses_vcc, 0
	.set _ZN7rocprim17ROCPRIM_400000_NS6detail17trampoline_kernelINS0_13select_configILj256ELj13ELNS0_17block_load_methodE3ELS4_3ELS4_3ELNS0_20block_scan_algorithmE0ELj4294967295EEENS1_25partition_config_selectorILNS1_17partition_subalgoE3EjNS0_10empty_typeEbEEZZNS1_14partition_implILS8_3ELb0ES6_jNS0_17counting_iteratorIjlEEPS9_SE_NS0_5tupleIJPjSE_EEENSF_IJSE_SE_EEES9_SG_JZNS1_25segmented_radix_sort_implINS0_14default_configELb1EPKlPlSM_SN_N2at6native12_GLOBAL__N_18offset_tEEE10hipError_tPvRmT1_PNSt15iterator_traitsISV_E10value_typeET2_T3_PNSW_IS11_E10value_typeET4_jRbjT5_S17_jjP12ihipStream_tbEUljE_EEESS_ST_SU_S11_S15_S17_T6_T7_T9_mT8_S19_bDpT10_ENKUlT_T0_E_clISt17integral_constantIbLb1EES1M_EEDaS1H_S1I_EUlS1H_E_NS1_11comp_targetILNS1_3genE0ELNS1_11target_archE4294967295ELNS1_3gpuE0ELNS1_3repE0EEENS1_30default_config_static_selectorELNS0_4arch9wavefront6targetE0EEEvSV_.uses_flat_scratch, 0
	.set _ZN7rocprim17ROCPRIM_400000_NS6detail17trampoline_kernelINS0_13select_configILj256ELj13ELNS0_17block_load_methodE3ELS4_3ELS4_3ELNS0_20block_scan_algorithmE0ELj4294967295EEENS1_25partition_config_selectorILNS1_17partition_subalgoE3EjNS0_10empty_typeEbEEZZNS1_14partition_implILS8_3ELb0ES6_jNS0_17counting_iteratorIjlEEPS9_SE_NS0_5tupleIJPjSE_EEENSF_IJSE_SE_EEES9_SG_JZNS1_25segmented_radix_sort_implINS0_14default_configELb1EPKlPlSM_SN_N2at6native12_GLOBAL__N_18offset_tEEE10hipError_tPvRmT1_PNSt15iterator_traitsISV_E10value_typeET2_T3_PNSW_IS11_E10value_typeET4_jRbjT5_S17_jjP12ihipStream_tbEUljE_EEESS_ST_SU_S11_S15_S17_T6_T7_T9_mT8_S19_bDpT10_ENKUlT_T0_E_clISt17integral_constantIbLb1EES1M_EEDaS1H_S1I_EUlS1H_E_NS1_11comp_targetILNS1_3genE0ELNS1_11target_archE4294967295ELNS1_3gpuE0ELNS1_3repE0EEENS1_30default_config_static_selectorELNS0_4arch9wavefront6targetE0EEEvSV_.has_dyn_sized_stack, 0
	.set _ZN7rocprim17ROCPRIM_400000_NS6detail17trampoline_kernelINS0_13select_configILj256ELj13ELNS0_17block_load_methodE3ELS4_3ELS4_3ELNS0_20block_scan_algorithmE0ELj4294967295EEENS1_25partition_config_selectorILNS1_17partition_subalgoE3EjNS0_10empty_typeEbEEZZNS1_14partition_implILS8_3ELb0ES6_jNS0_17counting_iteratorIjlEEPS9_SE_NS0_5tupleIJPjSE_EEENSF_IJSE_SE_EEES9_SG_JZNS1_25segmented_radix_sort_implINS0_14default_configELb1EPKlPlSM_SN_N2at6native12_GLOBAL__N_18offset_tEEE10hipError_tPvRmT1_PNSt15iterator_traitsISV_E10value_typeET2_T3_PNSW_IS11_E10value_typeET4_jRbjT5_S17_jjP12ihipStream_tbEUljE_EEESS_ST_SU_S11_S15_S17_T6_T7_T9_mT8_S19_bDpT10_ENKUlT_T0_E_clISt17integral_constantIbLb1EES1M_EEDaS1H_S1I_EUlS1H_E_NS1_11comp_targetILNS1_3genE0ELNS1_11target_archE4294967295ELNS1_3gpuE0ELNS1_3repE0EEENS1_30default_config_static_selectorELNS0_4arch9wavefront6targetE0EEEvSV_.has_recursion, 0
	.set _ZN7rocprim17ROCPRIM_400000_NS6detail17trampoline_kernelINS0_13select_configILj256ELj13ELNS0_17block_load_methodE3ELS4_3ELS4_3ELNS0_20block_scan_algorithmE0ELj4294967295EEENS1_25partition_config_selectorILNS1_17partition_subalgoE3EjNS0_10empty_typeEbEEZZNS1_14partition_implILS8_3ELb0ES6_jNS0_17counting_iteratorIjlEEPS9_SE_NS0_5tupleIJPjSE_EEENSF_IJSE_SE_EEES9_SG_JZNS1_25segmented_radix_sort_implINS0_14default_configELb1EPKlPlSM_SN_N2at6native12_GLOBAL__N_18offset_tEEE10hipError_tPvRmT1_PNSt15iterator_traitsISV_E10value_typeET2_T3_PNSW_IS11_E10value_typeET4_jRbjT5_S17_jjP12ihipStream_tbEUljE_EEESS_ST_SU_S11_S15_S17_T6_T7_T9_mT8_S19_bDpT10_ENKUlT_T0_E_clISt17integral_constantIbLb1EES1M_EEDaS1H_S1I_EUlS1H_E_NS1_11comp_targetILNS1_3genE0ELNS1_11target_archE4294967295ELNS1_3gpuE0ELNS1_3repE0EEENS1_30default_config_static_selectorELNS0_4arch9wavefront6targetE0EEEvSV_.has_indirect_call, 0
	.section	.AMDGPU.csdata,"",@progbits
; Kernel info:
; codeLenInByte = 0
; TotalNumSgprs: 0
; NumVgprs: 0
; ScratchSize: 0
; MemoryBound: 0
; FloatMode: 240
; IeeeMode: 1
; LDSByteSize: 0 bytes/workgroup (compile time only)
; SGPRBlocks: 0
; VGPRBlocks: 0
; NumSGPRsForWavesPerEU: 1
; NumVGPRsForWavesPerEU: 1
; Occupancy: 16
; WaveLimiterHint : 0
; COMPUTE_PGM_RSRC2:SCRATCH_EN: 0
; COMPUTE_PGM_RSRC2:USER_SGPR: 2
; COMPUTE_PGM_RSRC2:TRAP_HANDLER: 0
; COMPUTE_PGM_RSRC2:TGID_X_EN: 1
; COMPUTE_PGM_RSRC2:TGID_Y_EN: 0
; COMPUTE_PGM_RSRC2:TGID_Z_EN: 0
; COMPUTE_PGM_RSRC2:TIDIG_COMP_CNT: 0
	.section	.text._ZN7rocprim17ROCPRIM_400000_NS6detail17trampoline_kernelINS0_13select_configILj256ELj13ELNS0_17block_load_methodE3ELS4_3ELS4_3ELNS0_20block_scan_algorithmE0ELj4294967295EEENS1_25partition_config_selectorILNS1_17partition_subalgoE3EjNS0_10empty_typeEbEEZZNS1_14partition_implILS8_3ELb0ES6_jNS0_17counting_iteratorIjlEEPS9_SE_NS0_5tupleIJPjSE_EEENSF_IJSE_SE_EEES9_SG_JZNS1_25segmented_radix_sort_implINS0_14default_configELb1EPKlPlSM_SN_N2at6native12_GLOBAL__N_18offset_tEEE10hipError_tPvRmT1_PNSt15iterator_traitsISV_E10value_typeET2_T3_PNSW_IS11_E10value_typeET4_jRbjT5_S17_jjP12ihipStream_tbEUljE_EEESS_ST_SU_S11_S15_S17_T6_T7_T9_mT8_S19_bDpT10_ENKUlT_T0_E_clISt17integral_constantIbLb1EES1M_EEDaS1H_S1I_EUlS1H_E_NS1_11comp_targetILNS1_3genE5ELNS1_11target_archE942ELNS1_3gpuE9ELNS1_3repE0EEENS1_30default_config_static_selectorELNS0_4arch9wavefront6targetE0EEEvSV_,"axG",@progbits,_ZN7rocprim17ROCPRIM_400000_NS6detail17trampoline_kernelINS0_13select_configILj256ELj13ELNS0_17block_load_methodE3ELS4_3ELS4_3ELNS0_20block_scan_algorithmE0ELj4294967295EEENS1_25partition_config_selectorILNS1_17partition_subalgoE3EjNS0_10empty_typeEbEEZZNS1_14partition_implILS8_3ELb0ES6_jNS0_17counting_iteratorIjlEEPS9_SE_NS0_5tupleIJPjSE_EEENSF_IJSE_SE_EEES9_SG_JZNS1_25segmented_radix_sort_implINS0_14default_configELb1EPKlPlSM_SN_N2at6native12_GLOBAL__N_18offset_tEEE10hipError_tPvRmT1_PNSt15iterator_traitsISV_E10value_typeET2_T3_PNSW_IS11_E10value_typeET4_jRbjT5_S17_jjP12ihipStream_tbEUljE_EEESS_ST_SU_S11_S15_S17_T6_T7_T9_mT8_S19_bDpT10_ENKUlT_T0_E_clISt17integral_constantIbLb1EES1M_EEDaS1H_S1I_EUlS1H_E_NS1_11comp_targetILNS1_3genE5ELNS1_11target_archE942ELNS1_3gpuE9ELNS1_3repE0EEENS1_30default_config_static_selectorELNS0_4arch9wavefront6targetE0EEEvSV_,comdat
	.globl	_ZN7rocprim17ROCPRIM_400000_NS6detail17trampoline_kernelINS0_13select_configILj256ELj13ELNS0_17block_load_methodE3ELS4_3ELS4_3ELNS0_20block_scan_algorithmE0ELj4294967295EEENS1_25partition_config_selectorILNS1_17partition_subalgoE3EjNS0_10empty_typeEbEEZZNS1_14partition_implILS8_3ELb0ES6_jNS0_17counting_iteratorIjlEEPS9_SE_NS0_5tupleIJPjSE_EEENSF_IJSE_SE_EEES9_SG_JZNS1_25segmented_radix_sort_implINS0_14default_configELb1EPKlPlSM_SN_N2at6native12_GLOBAL__N_18offset_tEEE10hipError_tPvRmT1_PNSt15iterator_traitsISV_E10value_typeET2_T3_PNSW_IS11_E10value_typeET4_jRbjT5_S17_jjP12ihipStream_tbEUljE_EEESS_ST_SU_S11_S15_S17_T6_T7_T9_mT8_S19_bDpT10_ENKUlT_T0_E_clISt17integral_constantIbLb1EES1M_EEDaS1H_S1I_EUlS1H_E_NS1_11comp_targetILNS1_3genE5ELNS1_11target_archE942ELNS1_3gpuE9ELNS1_3repE0EEENS1_30default_config_static_selectorELNS0_4arch9wavefront6targetE0EEEvSV_ ; -- Begin function _ZN7rocprim17ROCPRIM_400000_NS6detail17trampoline_kernelINS0_13select_configILj256ELj13ELNS0_17block_load_methodE3ELS4_3ELS4_3ELNS0_20block_scan_algorithmE0ELj4294967295EEENS1_25partition_config_selectorILNS1_17partition_subalgoE3EjNS0_10empty_typeEbEEZZNS1_14partition_implILS8_3ELb0ES6_jNS0_17counting_iteratorIjlEEPS9_SE_NS0_5tupleIJPjSE_EEENSF_IJSE_SE_EEES9_SG_JZNS1_25segmented_radix_sort_implINS0_14default_configELb1EPKlPlSM_SN_N2at6native12_GLOBAL__N_18offset_tEEE10hipError_tPvRmT1_PNSt15iterator_traitsISV_E10value_typeET2_T3_PNSW_IS11_E10value_typeET4_jRbjT5_S17_jjP12ihipStream_tbEUljE_EEESS_ST_SU_S11_S15_S17_T6_T7_T9_mT8_S19_bDpT10_ENKUlT_T0_E_clISt17integral_constantIbLb1EES1M_EEDaS1H_S1I_EUlS1H_E_NS1_11comp_targetILNS1_3genE5ELNS1_11target_archE942ELNS1_3gpuE9ELNS1_3repE0EEENS1_30default_config_static_selectorELNS0_4arch9wavefront6targetE0EEEvSV_
	.p2align	8
	.type	_ZN7rocprim17ROCPRIM_400000_NS6detail17trampoline_kernelINS0_13select_configILj256ELj13ELNS0_17block_load_methodE3ELS4_3ELS4_3ELNS0_20block_scan_algorithmE0ELj4294967295EEENS1_25partition_config_selectorILNS1_17partition_subalgoE3EjNS0_10empty_typeEbEEZZNS1_14partition_implILS8_3ELb0ES6_jNS0_17counting_iteratorIjlEEPS9_SE_NS0_5tupleIJPjSE_EEENSF_IJSE_SE_EEES9_SG_JZNS1_25segmented_radix_sort_implINS0_14default_configELb1EPKlPlSM_SN_N2at6native12_GLOBAL__N_18offset_tEEE10hipError_tPvRmT1_PNSt15iterator_traitsISV_E10value_typeET2_T3_PNSW_IS11_E10value_typeET4_jRbjT5_S17_jjP12ihipStream_tbEUljE_EEESS_ST_SU_S11_S15_S17_T6_T7_T9_mT8_S19_bDpT10_ENKUlT_T0_E_clISt17integral_constantIbLb1EES1M_EEDaS1H_S1I_EUlS1H_E_NS1_11comp_targetILNS1_3genE5ELNS1_11target_archE942ELNS1_3gpuE9ELNS1_3repE0EEENS1_30default_config_static_selectorELNS0_4arch9wavefront6targetE0EEEvSV_,@function
_ZN7rocprim17ROCPRIM_400000_NS6detail17trampoline_kernelINS0_13select_configILj256ELj13ELNS0_17block_load_methodE3ELS4_3ELS4_3ELNS0_20block_scan_algorithmE0ELj4294967295EEENS1_25partition_config_selectorILNS1_17partition_subalgoE3EjNS0_10empty_typeEbEEZZNS1_14partition_implILS8_3ELb0ES6_jNS0_17counting_iteratorIjlEEPS9_SE_NS0_5tupleIJPjSE_EEENSF_IJSE_SE_EEES9_SG_JZNS1_25segmented_radix_sort_implINS0_14default_configELb1EPKlPlSM_SN_N2at6native12_GLOBAL__N_18offset_tEEE10hipError_tPvRmT1_PNSt15iterator_traitsISV_E10value_typeET2_T3_PNSW_IS11_E10value_typeET4_jRbjT5_S17_jjP12ihipStream_tbEUljE_EEESS_ST_SU_S11_S15_S17_T6_T7_T9_mT8_S19_bDpT10_ENKUlT_T0_E_clISt17integral_constantIbLb1EES1M_EEDaS1H_S1I_EUlS1H_E_NS1_11comp_targetILNS1_3genE5ELNS1_11target_archE942ELNS1_3gpuE9ELNS1_3repE0EEENS1_30default_config_static_selectorELNS0_4arch9wavefront6targetE0EEEvSV_: ; @_ZN7rocprim17ROCPRIM_400000_NS6detail17trampoline_kernelINS0_13select_configILj256ELj13ELNS0_17block_load_methodE3ELS4_3ELS4_3ELNS0_20block_scan_algorithmE0ELj4294967295EEENS1_25partition_config_selectorILNS1_17partition_subalgoE3EjNS0_10empty_typeEbEEZZNS1_14partition_implILS8_3ELb0ES6_jNS0_17counting_iteratorIjlEEPS9_SE_NS0_5tupleIJPjSE_EEENSF_IJSE_SE_EEES9_SG_JZNS1_25segmented_radix_sort_implINS0_14default_configELb1EPKlPlSM_SN_N2at6native12_GLOBAL__N_18offset_tEEE10hipError_tPvRmT1_PNSt15iterator_traitsISV_E10value_typeET2_T3_PNSW_IS11_E10value_typeET4_jRbjT5_S17_jjP12ihipStream_tbEUljE_EEESS_ST_SU_S11_S15_S17_T6_T7_T9_mT8_S19_bDpT10_ENKUlT_T0_E_clISt17integral_constantIbLb1EES1M_EEDaS1H_S1I_EUlS1H_E_NS1_11comp_targetILNS1_3genE5ELNS1_11target_archE942ELNS1_3gpuE9ELNS1_3repE0EEENS1_30default_config_static_selectorELNS0_4arch9wavefront6targetE0EEEvSV_
; %bb.0:
	.section	.rodata,"a",@progbits
	.p2align	6, 0x0
	.amdhsa_kernel _ZN7rocprim17ROCPRIM_400000_NS6detail17trampoline_kernelINS0_13select_configILj256ELj13ELNS0_17block_load_methodE3ELS4_3ELS4_3ELNS0_20block_scan_algorithmE0ELj4294967295EEENS1_25partition_config_selectorILNS1_17partition_subalgoE3EjNS0_10empty_typeEbEEZZNS1_14partition_implILS8_3ELb0ES6_jNS0_17counting_iteratorIjlEEPS9_SE_NS0_5tupleIJPjSE_EEENSF_IJSE_SE_EEES9_SG_JZNS1_25segmented_radix_sort_implINS0_14default_configELb1EPKlPlSM_SN_N2at6native12_GLOBAL__N_18offset_tEEE10hipError_tPvRmT1_PNSt15iterator_traitsISV_E10value_typeET2_T3_PNSW_IS11_E10value_typeET4_jRbjT5_S17_jjP12ihipStream_tbEUljE_EEESS_ST_SU_S11_S15_S17_T6_T7_T9_mT8_S19_bDpT10_ENKUlT_T0_E_clISt17integral_constantIbLb1EES1M_EEDaS1H_S1I_EUlS1H_E_NS1_11comp_targetILNS1_3genE5ELNS1_11target_archE942ELNS1_3gpuE9ELNS1_3repE0EEENS1_30default_config_static_selectorELNS0_4arch9wavefront6targetE0EEEvSV_
		.amdhsa_group_segment_fixed_size 0
		.amdhsa_private_segment_fixed_size 0
		.amdhsa_kernarg_size 152
		.amdhsa_user_sgpr_count 2
		.amdhsa_user_sgpr_dispatch_ptr 0
		.amdhsa_user_sgpr_queue_ptr 0
		.amdhsa_user_sgpr_kernarg_segment_ptr 1
		.amdhsa_user_sgpr_dispatch_id 0
		.amdhsa_user_sgpr_private_segment_size 0
		.amdhsa_wavefront_size32 1
		.amdhsa_uses_dynamic_stack 0
		.amdhsa_enable_private_segment 0
		.amdhsa_system_sgpr_workgroup_id_x 1
		.amdhsa_system_sgpr_workgroup_id_y 0
		.amdhsa_system_sgpr_workgroup_id_z 0
		.amdhsa_system_sgpr_workgroup_info 0
		.amdhsa_system_vgpr_workitem_id 0
		.amdhsa_next_free_vgpr 1
		.amdhsa_next_free_sgpr 1
		.amdhsa_reserve_vcc 0
		.amdhsa_float_round_mode_32 0
		.amdhsa_float_round_mode_16_64 0
		.amdhsa_float_denorm_mode_32 3
		.amdhsa_float_denorm_mode_16_64 3
		.amdhsa_fp16_overflow 0
		.amdhsa_workgroup_processor_mode 1
		.amdhsa_memory_ordered 1
		.amdhsa_forward_progress 1
		.amdhsa_inst_pref_size 0
		.amdhsa_round_robin_scheduling 0
		.amdhsa_exception_fp_ieee_invalid_op 0
		.amdhsa_exception_fp_denorm_src 0
		.amdhsa_exception_fp_ieee_div_zero 0
		.amdhsa_exception_fp_ieee_overflow 0
		.amdhsa_exception_fp_ieee_underflow 0
		.amdhsa_exception_fp_ieee_inexact 0
		.amdhsa_exception_int_div_zero 0
	.end_amdhsa_kernel
	.section	.text._ZN7rocprim17ROCPRIM_400000_NS6detail17trampoline_kernelINS0_13select_configILj256ELj13ELNS0_17block_load_methodE3ELS4_3ELS4_3ELNS0_20block_scan_algorithmE0ELj4294967295EEENS1_25partition_config_selectorILNS1_17partition_subalgoE3EjNS0_10empty_typeEbEEZZNS1_14partition_implILS8_3ELb0ES6_jNS0_17counting_iteratorIjlEEPS9_SE_NS0_5tupleIJPjSE_EEENSF_IJSE_SE_EEES9_SG_JZNS1_25segmented_radix_sort_implINS0_14default_configELb1EPKlPlSM_SN_N2at6native12_GLOBAL__N_18offset_tEEE10hipError_tPvRmT1_PNSt15iterator_traitsISV_E10value_typeET2_T3_PNSW_IS11_E10value_typeET4_jRbjT5_S17_jjP12ihipStream_tbEUljE_EEESS_ST_SU_S11_S15_S17_T6_T7_T9_mT8_S19_bDpT10_ENKUlT_T0_E_clISt17integral_constantIbLb1EES1M_EEDaS1H_S1I_EUlS1H_E_NS1_11comp_targetILNS1_3genE5ELNS1_11target_archE942ELNS1_3gpuE9ELNS1_3repE0EEENS1_30default_config_static_selectorELNS0_4arch9wavefront6targetE0EEEvSV_,"axG",@progbits,_ZN7rocprim17ROCPRIM_400000_NS6detail17trampoline_kernelINS0_13select_configILj256ELj13ELNS0_17block_load_methodE3ELS4_3ELS4_3ELNS0_20block_scan_algorithmE0ELj4294967295EEENS1_25partition_config_selectorILNS1_17partition_subalgoE3EjNS0_10empty_typeEbEEZZNS1_14partition_implILS8_3ELb0ES6_jNS0_17counting_iteratorIjlEEPS9_SE_NS0_5tupleIJPjSE_EEENSF_IJSE_SE_EEES9_SG_JZNS1_25segmented_radix_sort_implINS0_14default_configELb1EPKlPlSM_SN_N2at6native12_GLOBAL__N_18offset_tEEE10hipError_tPvRmT1_PNSt15iterator_traitsISV_E10value_typeET2_T3_PNSW_IS11_E10value_typeET4_jRbjT5_S17_jjP12ihipStream_tbEUljE_EEESS_ST_SU_S11_S15_S17_T6_T7_T9_mT8_S19_bDpT10_ENKUlT_T0_E_clISt17integral_constantIbLb1EES1M_EEDaS1H_S1I_EUlS1H_E_NS1_11comp_targetILNS1_3genE5ELNS1_11target_archE942ELNS1_3gpuE9ELNS1_3repE0EEENS1_30default_config_static_selectorELNS0_4arch9wavefront6targetE0EEEvSV_,comdat
.Lfunc_end681:
	.size	_ZN7rocprim17ROCPRIM_400000_NS6detail17trampoline_kernelINS0_13select_configILj256ELj13ELNS0_17block_load_methodE3ELS4_3ELS4_3ELNS0_20block_scan_algorithmE0ELj4294967295EEENS1_25partition_config_selectorILNS1_17partition_subalgoE3EjNS0_10empty_typeEbEEZZNS1_14partition_implILS8_3ELb0ES6_jNS0_17counting_iteratorIjlEEPS9_SE_NS0_5tupleIJPjSE_EEENSF_IJSE_SE_EEES9_SG_JZNS1_25segmented_radix_sort_implINS0_14default_configELb1EPKlPlSM_SN_N2at6native12_GLOBAL__N_18offset_tEEE10hipError_tPvRmT1_PNSt15iterator_traitsISV_E10value_typeET2_T3_PNSW_IS11_E10value_typeET4_jRbjT5_S17_jjP12ihipStream_tbEUljE_EEESS_ST_SU_S11_S15_S17_T6_T7_T9_mT8_S19_bDpT10_ENKUlT_T0_E_clISt17integral_constantIbLb1EES1M_EEDaS1H_S1I_EUlS1H_E_NS1_11comp_targetILNS1_3genE5ELNS1_11target_archE942ELNS1_3gpuE9ELNS1_3repE0EEENS1_30default_config_static_selectorELNS0_4arch9wavefront6targetE0EEEvSV_, .Lfunc_end681-_ZN7rocprim17ROCPRIM_400000_NS6detail17trampoline_kernelINS0_13select_configILj256ELj13ELNS0_17block_load_methodE3ELS4_3ELS4_3ELNS0_20block_scan_algorithmE0ELj4294967295EEENS1_25partition_config_selectorILNS1_17partition_subalgoE3EjNS0_10empty_typeEbEEZZNS1_14partition_implILS8_3ELb0ES6_jNS0_17counting_iteratorIjlEEPS9_SE_NS0_5tupleIJPjSE_EEENSF_IJSE_SE_EEES9_SG_JZNS1_25segmented_radix_sort_implINS0_14default_configELb1EPKlPlSM_SN_N2at6native12_GLOBAL__N_18offset_tEEE10hipError_tPvRmT1_PNSt15iterator_traitsISV_E10value_typeET2_T3_PNSW_IS11_E10value_typeET4_jRbjT5_S17_jjP12ihipStream_tbEUljE_EEESS_ST_SU_S11_S15_S17_T6_T7_T9_mT8_S19_bDpT10_ENKUlT_T0_E_clISt17integral_constantIbLb1EES1M_EEDaS1H_S1I_EUlS1H_E_NS1_11comp_targetILNS1_3genE5ELNS1_11target_archE942ELNS1_3gpuE9ELNS1_3repE0EEENS1_30default_config_static_selectorELNS0_4arch9wavefront6targetE0EEEvSV_
                                        ; -- End function
	.set _ZN7rocprim17ROCPRIM_400000_NS6detail17trampoline_kernelINS0_13select_configILj256ELj13ELNS0_17block_load_methodE3ELS4_3ELS4_3ELNS0_20block_scan_algorithmE0ELj4294967295EEENS1_25partition_config_selectorILNS1_17partition_subalgoE3EjNS0_10empty_typeEbEEZZNS1_14partition_implILS8_3ELb0ES6_jNS0_17counting_iteratorIjlEEPS9_SE_NS0_5tupleIJPjSE_EEENSF_IJSE_SE_EEES9_SG_JZNS1_25segmented_radix_sort_implINS0_14default_configELb1EPKlPlSM_SN_N2at6native12_GLOBAL__N_18offset_tEEE10hipError_tPvRmT1_PNSt15iterator_traitsISV_E10value_typeET2_T3_PNSW_IS11_E10value_typeET4_jRbjT5_S17_jjP12ihipStream_tbEUljE_EEESS_ST_SU_S11_S15_S17_T6_T7_T9_mT8_S19_bDpT10_ENKUlT_T0_E_clISt17integral_constantIbLb1EES1M_EEDaS1H_S1I_EUlS1H_E_NS1_11comp_targetILNS1_3genE5ELNS1_11target_archE942ELNS1_3gpuE9ELNS1_3repE0EEENS1_30default_config_static_selectorELNS0_4arch9wavefront6targetE0EEEvSV_.num_vgpr, 0
	.set _ZN7rocprim17ROCPRIM_400000_NS6detail17trampoline_kernelINS0_13select_configILj256ELj13ELNS0_17block_load_methodE3ELS4_3ELS4_3ELNS0_20block_scan_algorithmE0ELj4294967295EEENS1_25partition_config_selectorILNS1_17partition_subalgoE3EjNS0_10empty_typeEbEEZZNS1_14partition_implILS8_3ELb0ES6_jNS0_17counting_iteratorIjlEEPS9_SE_NS0_5tupleIJPjSE_EEENSF_IJSE_SE_EEES9_SG_JZNS1_25segmented_radix_sort_implINS0_14default_configELb1EPKlPlSM_SN_N2at6native12_GLOBAL__N_18offset_tEEE10hipError_tPvRmT1_PNSt15iterator_traitsISV_E10value_typeET2_T3_PNSW_IS11_E10value_typeET4_jRbjT5_S17_jjP12ihipStream_tbEUljE_EEESS_ST_SU_S11_S15_S17_T6_T7_T9_mT8_S19_bDpT10_ENKUlT_T0_E_clISt17integral_constantIbLb1EES1M_EEDaS1H_S1I_EUlS1H_E_NS1_11comp_targetILNS1_3genE5ELNS1_11target_archE942ELNS1_3gpuE9ELNS1_3repE0EEENS1_30default_config_static_selectorELNS0_4arch9wavefront6targetE0EEEvSV_.num_agpr, 0
	.set _ZN7rocprim17ROCPRIM_400000_NS6detail17trampoline_kernelINS0_13select_configILj256ELj13ELNS0_17block_load_methodE3ELS4_3ELS4_3ELNS0_20block_scan_algorithmE0ELj4294967295EEENS1_25partition_config_selectorILNS1_17partition_subalgoE3EjNS0_10empty_typeEbEEZZNS1_14partition_implILS8_3ELb0ES6_jNS0_17counting_iteratorIjlEEPS9_SE_NS0_5tupleIJPjSE_EEENSF_IJSE_SE_EEES9_SG_JZNS1_25segmented_radix_sort_implINS0_14default_configELb1EPKlPlSM_SN_N2at6native12_GLOBAL__N_18offset_tEEE10hipError_tPvRmT1_PNSt15iterator_traitsISV_E10value_typeET2_T3_PNSW_IS11_E10value_typeET4_jRbjT5_S17_jjP12ihipStream_tbEUljE_EEESS_ST_SU_S11_S15_S17_T6_T7_T9_mT8_S19_bDpT10_ENKUlT_T0_E_clISt17integral_constantIbLb1EES1M_EEDaS1H_S1I_EUlS1H_E_NS1_11comp_targetILNS1_3genE5ELNS1_11target_archE942ELNS1_3gpuE9ELNS1_3repE0EEENS1_30default_config_static_selectorELNS0_4arch9wavefront6targetE0EEEvSV_.numbered_sgpr, 0
	.set _ZN7rocprim17ROCPRIM_400000_NS6detail17trampoline_kernelINS0_13select_configILj256ELj13ELNS0_17block_load_methodE3ELS4_3ELS4_3ELNS0_20block_scan_algorithmE0ELj4294967295EEENS1_25partition_config_selectorILNS1_17partition_subalgoE3EjNS0_10empty_typeEbEEZZNS1_14partition_implILS8_3ELb0ES6_jNS0_17counting_iteratorIjlEEPS9_SE_NS0_5tupleIJPjSE_EEENSF_IJSE_SE_EEES9_SG_JZNS1_25segmented_radix_sort_implINS0_14default_configELb1EPKlPlSM_SN_N2at6native12_GLOBAL__N_18offset_tEEE10hipError_tPvRmT1_PNSt15iterator_traitsISV_E10value_typeET2_T3_PNSW_IS11_E10value_typeET4_jRbjT5_S17_jjP12ihipStream_tbEUljE_EEESS_ST_SU_S11_S15_S17_T6_T7_T9_mT8_S19_bDpT10_ENKUlT_T0_E_clISt17integral_constantIbLb1EES1M_EEDaS1H_S1I_EUlS1H_E_NS1_11comp_targetILNS1_3genE5ELNS1_11target_archE942ELNS1_3gpuE9ELNS1_3repE0EEENS1_30default_config_static_selectorELNS0_4arch9wavefront6targetE0EEEvSV_.num_named_barrier, 0
	.set _ZN7rocprim17ROCPRIM_400000_NS6detail17trampoline_kernelINS0_13select_configILj256ELj13ELNS0_17block_load_methodE3ELS4_3ELS4_3ELNS0_20block_scan_algorithmE0ELj4294967295EEENS1_25partition_config_selectorILNS1_17partition_subalgoE3EjNS0_10empty_typeEbEEZZNS1_14partition_implILS8_3ELb0ES6_jNS0_17counting_iteratorIjlEEPS9_SE_NS0_5tupleIJPjSE_EEENSF_IJSE_SE_EEES9_SG_JZNS1_25segmented_radix_sort_implINS0_14default_configELb1EPKlPlSM_SN_N2at6native12_GLOBAL__N_18offset_tEEE10hipError_tPvRmT1_PNSt15iterator_traitsISV_E10value_typeET2_T3_PNSW_IS11_E10value_typeET4_jRbjT5_S17_jjP12ihipStream_tbEUljE_EEESS_ST_SU_S11_S15_S17_T6_T7_T9_mT8_S19_bDpT10_ENKUlT_T0_E_clISt17integral_constantIbLb1EES1M_EEDaS1H_S1I_EUlS1H_E_NS1_11comp_targetILNS1_3genE5ELNS1_11target_archE942ELNS1_3gpuE9ELNS1_3repE0EEENS1_30default_config_static_selectorELNS0_4arch9wavefront6targetE0EEEvSV_.private_seg_size, 0
	.set _ZN7rocprim17ROCPRIM_400000_NS6detail17trampoline_kernelINS0_13select_configILj256ELj13ELNS0_17block_load_methodE3ELS4_3ELS4_3ELNS0_20block_scan_algorithmE0ELj4294967295EEENS1_25partition_config_selectorILNS1_17partition_subalgoE3EjNS0_10empty_typeEbEEZZNS1_14partition_implILS8_3ELb0ES6_jNS0_17counting_iteratorIjlEEPS9_SE_NS0_5tupleIJPjSE_EEENSF_IJSE_SE_EEES9_SG_JZNS1_25segmented_radix_sort_implINS0_14default_configELb1EPKlPlSM_SN_N2at6native12_GLOBAL__N_18offset_tEEE10hipError_tPvRmT1_PNSt15iterator_traitsISV_E10value_typeET2_T3_PNSW_IS11_E10value_typeET4_jRbjT5_S17_jjP12ihipStream_tbEUljE_EEESS_ST_SU_S11_S15_S17_T6_T7_T9_mT8_S19_bDpT10_ENKUlT_T0_E_clISt17integral_constantIbLb1EES1M_EEDaS1H_S1I_EUlS1H_E_NS1_11comp_targetILNS1_3genE5ELNS1_11target_archE942ELNS1_3gpuE9ELNS1_3repE0EEENS1_30default_config_static_selectorELNS0_4arch9wavefront6targetE0EEEvSV_.uses_vcc, 0
	.set _ZN7rocprim17ROCPRIM_400000_NS6detail17trampoline_kernelINS0_13select_configILj256ELj13ELNS0_17block_load_methodE3ELS4_3ELS4_3ELNS0_20block_scan_algorithmE0ELj4294967295EEENS1_25partition_config_selectorILNS1_17partition_subalgoE3EjNS0_10empty_typeEbEEZZNS1_14partition_implILS8_3ELb0ES6_jNS0_17counting_iteratorIjlEEPS9_SE_NS0_5tupleIJPjSE_EEENSF_IJSE_SE_EEES9_SG_JZNS1_25segmented_radix_sort_implINS0_14default_configELb1EPKlPlSM_SN_N2at6native12_GLOBAL__N_18offset_tEEE10hipError_tPvRmT1_PNSt15iterator_traitsISV_E10value_typeET2_T3_PNSW_IS11_E10value_typeET4_jRbjT5_S17_jjP12ihipStream_tbEUljE_EEESS_ST_SU_S11_S15_S17_T6_T7_T9_mT8_S19_bDpT10_ENKUlT_T0_E_clISt17integral_constantIbLb1EES1M_EEDaS1H_S1I_EUlS1H_E_NS1_11comp_targetILNS1_3genE5ELNS1_11target_archE942ELNS1_3gpuE9ELNS1_3repE0EEENS1_30default_config_static_selectorELNS0_4arch9wavefront6targetE0EEEvSV_.uses_flat_scratch, 0
	.set _ZN7rocprim17ROCPRIM_400000_NS6detail17trampoline_kernelINS0_13select_configILj256ELj13ELNS0_17block_load_methodE3ELS4_3ELS4_3ELNS0_20block_scan_algorithmE0ELj4294967295EEENS1_25partition_config_selectorILNS1_17partition_subalgoE3EjNS0_10empty_typeEbEEZZNS1_14partition_implILS8_3ELb0ES6_jNS0_17counting_iteratorIjlEEPS9_SE_NS0_5tupleIJPjSE_EEENSF_IJSE_SE_EEES9_SG_JZNS1_25segmented_radix_sort_implINS0_14default_configELb1EPKlPlSM_SN_N2at6native12_GLOBAL__N_18offset_tEEE10hipError_tPvRmT1_PNSt15iterator_traitsISV_E10value_typeET2_T3_PNSW_IS11_E10value_typeET4_jRbjT5_S17_jjP12ihipStream_tbEUljE_EEESS_ST_SU_S11_S15_S17_T6_T7_T9_mT8_S19_bDpT10_ENKUlT_T0_E_clISt17integral_constantIbLb1EES1M_EEDaS1H_S1I_EUlS1H_E_NS1_11comp_targetILNS1_3genE5ELNS1_11target_archE942ELNS1_3gpuE9ELNS1_3repE0EEENS1_30default_config_static_selectorELNS0_4arch9wavefront6targetE0EEEvSV_.has_dyn_sized_stack, 0
	.set _ZN7rocprim17ROCPRIM_400000_NS6detail17trampoline_kernelINS0_13select_configILj256ELj13ELNS0_17block_load_methodE3ELS4_3ELS4_3ELNS0_20block_scan_algorithmE0ELj4294967295EEENS1_25partition_config_selectorILNS1_17partition_subalgoE3EjNS0_10empty_typeEbEEZZNS1_14partition_implILS8_3ELb0ES6_jNS0_17counting_iteratorIjlEEPS9_SE_NS0_5tupleIJPjSE_EEENSF_IJSE_SE_EEES9_SG_JZNS1_25segmented_radix_sort_implINS0_14default_configELb1EPKlPlSM_SN_N2at6native12_GLOBAL__N_18offset_tEEE10hipError_tPvRmT1_PNSt15iterator_traitsISV_E10value_typeET2_T3_PNSW_IS11_E10value_typeET4_jRbjT5_S17_jjP12ihipStream_tbEUljE_EEESS_ST_SU_S11_S15_S17_T6_T7_T9_mT8_S19_bDpT10_ENKUlT_T0_E_clISt17integral_constantIbLb1EES1M_EEDaS1H_S1I_EUlS1H_E_NS1_11comp_targetILNS1_3genE5ELNS1_11target_archE942ELNS1_3gpuE9ELNS1_3repE0EEENS1_30default_config_static_selectorELNS0_4arch9wavefront6targetE0EEEvSV_.has_recursion, 0
	.set _ZN7rocprim17ROCPRIM_400000_NS6detail17trampoline_kernelINS0_13select_configILj256ELj13ELNS0_17block_load_methodE3ELS4_3ELS4_3ELNS0_20block_scan_algorithmE0ELj4294967295EEENS1_25partition_config_selectorILNS1_17partition_subalgoE3EjNS0_10empty_typeEbEEZZNS1_14partition_implILS8_3ELb0ES6_jNS0_17counting_iteratorIjlEEPS9_SE_NS0_5tupleIJPjSE_EEENSF_IJSE_SE_EEES9_SG_JZNS1_25segmented_radix_sort_implINS0_14default_configELb1EPKlPlSM_SN_N2at6native12_GLOBAL__N_18offset_tEEE10hipError_tPvRmT1_PNSt15iterator_traitsISV_E10value_typeET2_T3_PNSW_IS11_E10value_typeET4_jRbjT5_S17_jjP12ihipStream_tbEUljE_EEESS_ST_SU_S11_S15_S17_T6_T7_T9_mT8_S19_bDpT10_ENKUlT_T0_E_clISt17integral_constantIbLb1EES1M_EEDaS1H_S1I_EUlS1H_E_NS1_11comp_targetILNS1_3genE5ELNS1_11target_archE942ELNS1_3gpuE9ELNS1_3repE0EEENS1_30default_config_static_selectorELNS0_4arch9wavefront6targetE0EEEvSV_.has_indirect_call, 0
	.section	.AMDGPU.csdata,"",@progbits
; Kernel info:
; codeLenInByte = 0
; TotalNumSgprs: 0
; NumVgprs: 0
; ScratchSize: 0
; MemoryBound: 0
; FloatMode: 240
; IeeeMode: 1
; LDSByteSize: 0 bytes/workgroup (compile time only)
; SGPRBlocks: 0
; VGPRBlocks: 0
; NumSGPRsForWavesPerEU: 1
; NumVGPRsForWavesPerEU: 1
; Occupancy: 16
; WaveLimiterHint : 0
; COMPUTE_PGM_RSRC2:SCRATCH_EN: 0
; COMPUTE_PGM_RSRC2:USER_SGPR: 2
; COMPUTE_PGM_RSRC2:TRAP_HANDLER: 0
; COMPUTE_PGM_RSRC2:TGID_X_EN: 1
; COMPUTE_PGM_RSRC2:TGID_Y_EN: 0
; COMPUTE_PGM_RSRC2:TGID_Z_EN: 0
; COMPUTE_PGM_RSRC2:TIDIG_COMP_CNT: 0
	.section	.text._ZN7rocprim17ROCPRIM_400000_NS6detail17trampoline_kernelINS0_13select_configILj256ELj13ELNS0_17block_load_methodE3ELS4_3ELS4_3ELNS0_20block_scan_algorithmE0ELj4294967295EEENS1_25partition_config_selectorILNS1_17partition_subalgoE3EjNS0_10empty_typeEbEEZZNS1_14partition_implILS8_3ELb0ES6_jNS0_17counting_iteratorIjlEEPS9_SE_NS0_5tupleIJPjSE_EEENSF_IJSE_SE_EEES9_SG_JZNS1_25segmented_radix_sort_implINS0_14default_configELb1EPKlPlSM_SN_N2at6native12_GLOBAL__N_18offset_tEEE10hipError_tPvRmT1_PNSt15iterator_traitsISV_E10value_typeET2_T3_PNSW_IS11_E10value_typeET4_jRbjT5_S17_jjP12ihipStream_tbEUljE_EEESS_ST_SU_S11_S15_S17_T6_T7_T9_mT8_S19_bDpT10_ENKUlT_T0_E_clISt17integral_constantIbLb1EES1M_EEDaS1H_S1I_EUlS1H_E_NS1_11comp_targetILNS1_3genE4ELNS1_11target_archE910ELNS1_3gpuE8ELNS1_3repE0EEENS1_30default_config_static_selectorELNS0_4arch9wavefront6targetE0EEEvSV_,"axG",@progbits,_ZN7rocprim17ROCPRIM_400000_NS6detail17trampoline_kernelINS0_13select_configILj256ELj13ELNS0_17block_load_methodE3ELS4_3ELS4_3ELNS0_20block_scan_algorithmE0ELj4294967295EEENS1_25partition_config_selectorILNS1_17partition_subalgoE3EjNS0_10empty_typeEbEEZZNS1_14partition_implILS8_3ELb0ES6_jNS0_17counting_iteratorIjlEEPS9_SE_NS0_5tupleIJPjSE_EEENSF_IJSE_SE_EEES9_SG_JZNS1_25segmented_radix_sort_implINS0_14default_configELb1EPKlPlSM_SN_N2at6native12_GLOBAL__N_18offset_tEEE10hipError_tPvRmT1_PNSt15iterator_traitsISV_E10value_typeET2_T3_PNSW_IS11_E10value_typeET4_jRbjT5_S17_jjP12ihipStream_tbEUljE_EEESS_ST_SU_S11_S15_S17_T6_T7_T9_mT8_S19_bDpT10_ENKUlT_T0_E_clISt17integral_constantIbLb1EES1M_EEDaS1H_S1I_EUlS1H_E_NS1_11comp_targetILNS1_3genE4ELNS1_11target_archE910ELNS1_3gpuE8ELNS1_3repE0EEENS1_30default_config_static_selectorELNS0_4arch9wavefront6targetE0EEEvSV_,comdat
	.globl	_ZN7rocprim17ROCPRIM_400000_NS6detail17trampoline_kernelINS0_13select_configILj256ELj13ELNS0_17block_load_methodE3ELS4_3ELS4_3ELNS0_20block_scan_algorithmE0ELj4294967295EEENS1_25partition_config_selectorILNS1_17partition_subalgoE3EjNS0_10empty_typeEbEEZZNS1_14partition_implILS8_3ELb0ES6_jNS0_17counting_iteratorIjlEEPS9_SE_NS0_5tupleIJPjSE_EEENSF_IJSE_SE_EEES9_SG_JZNS1_25segmented_radix_sort_implINS0_14default_configELb1EPKlPlSM_SN_N2at6native12_GLOBAL__N_18offset_tEEE10hipError_tPvRmT1_PNSt15iterator_traitsISV_E10value_typeET2_T3_PNSW_IS11_E10value_typeET4_jRbjT5_S17_jjP12ihipStream_tbEUljE_EEESS_ST_SU_S11_S15_S17_T6_T7_T9_mT8_S19_bDpT10_ENKUlT_T0_E_clISt17integral_constantIbLb1EES1M_EEDaS1H_S1I_EUlS1H_E_NS1_11comp_targetILNS1_3genE4ELNS1_11target_archE910ELNS1_3gpuE8ELNS1_3repE0EEENS1_30default_config_static_selectorELNS0_4arch9wavefront6targetE0EEEvSV_ ; -- Begin function _ZN7rocprim17ROCPRIM_400000_NS6detail17trampoline_kernelINS0_13select_configILj256ELj13ELNS0_17block_load_methodE3ELS4_3ELS4_3ELNS0_20block_scan_algorithmE0ELj4294967295EEENS1_25partition_config_selectorILNS1_17partition_subalgoE3EjNS0_10empty_typeEbEEZZNS1_14partition_implILS8_3ELb0ES6_jNS0_17counting_iteratorIjlEEPS9_SE_NS0_5tupleIJPjSE_EEENSF_IJSE_SE_EEES9_SG_JZNS1_25segmented_radix_sort_implINS0_14default_configELb1EPKlPlSM_SN_N2at6native12_GLOBAL__N_18offset_tEEE10hipError_tPvRmT1_PNSt15iterator_traitsISV_E10value_typeET2_T3_PNSW_IS11_E10value_typeET4_jRbjT5_S17_jjP12ihipStream_tbEUljE_EEESS_ST_SU_S11_S15_S17_T6_T7_T9_mT8_S19_bDpT10_ENKUlT_T0_E_clISt17integral_constantIbLb1EES1M_EEDaS1H_S1I_EUlS1H_E_NS1_11comp_targetILNS1_3genE4ELNS1_11target_archE910ELNS1_3gpuE8ELNS1_3repE0EEENS1_30default_config_static_selectorELNS0_4arch9wavefront6targetE0EEEvSV_
	.p2align	8
	.type	_ZN7rocprim17ROCPRIM_400000_NS6detail17trampoline_kernelINS0_13select_configILj256ELj13ELNS0_17block_load_methodE3ELS4_3ELS4_3ELNS0_20block_scan_algorithmE0ELj4294967295EEENS1_25partition_config_selectorILNS1_17partition_subalgoE3EjNS0_10empty_typeEbEEZZNS1_14partition_implILS8_3ELb0ES6_jNS0_17counting_iteratorIjlEEPS9_SE_NS0_5tupleIJPjSE_EEENSF_IJSE_SE_EEES9_SG_JZNS1_25segmented_radix_sort_implINS0_14default_configELb1EPKlPlSM_SN_N2at6native12_GLOBAL__N_18offset_tEEE10hipError_tPvRmT1_PNSt15iterator_traitsISV_E10value_typeET2_T3_PNSW_IS11_E10value_typeET4_jRbjT5_S17_jjP12ihipStream_tbEUljE_EEESS_ST_SU_S11_S15_S17_T6_T7_T9_mT8_S19_bDpT10_ENKUlT_T0_E_clISt17integral_constantIbLb1EES1M_EEDaS1H_S1I_EUlS1H_E_NS1_11comp_targetILNS1_3genE4ELNS1_11target_archE910ELNS1_3gpuE8ELNS1_3repE0EEENS1_30default_config_static_selectorELNS0_4arch9wavefront6targetE0EEEvSV_,@function
_ZN7rocprim17ROCPRIM_400000_NS6detail17trampoline_kernelINS0_13select_configILj256ELj13ELNS0_17block_load_methodE3ELS4_3ELS4_3ELNS0_20block_scan_algorithmE0ELj4294967295EEENS1_25partition_config_selectorILNS1_17partition_subalgoE3EjNS0_10empty_typeEbEEZZNS1_14partition_implILS8_3ELb0ES6_jNS0_17counting_iteratorIjlEEPS9_SE_NS0_5tupleIJPjSE_EEENSF_IJSE_SE_EEES9_SG_JZNS1_25segmented_radix_sort_implINS0_14default_configELb1EPKlPlSM_SN_N2at6native12_GLOBAL__N_18offset_tEEE10hipError_tPvRmT1_PNSt15iterator_traitsISV_E10value_typeET2_T3_PNSW_IS11_E10value_typeET4_jRbjT5_S17_jjP12ihipStream_tbEUljE_EEESS_ST_SU_S11_S15_S17_T6_T7_T9_mT8_S19_bDpT10_ENKUlT_T0_E_clISt17integral_constantIbLb1EES1M_EEDaS1H_S1I_EUlS1H_E_NS1_11comp_targetILNS1_3genE4ELNS1_11target_archE910ELNS1_3gpuE8ELNS1_3repE0EEENS1_30default_config_static_selectorELNS0_4arch9wavefront6targetE0EEEvSV_: ; @_ZN7rocprim17ROCPRIM_400000_NS6detail17trampoline_kernelINS0_13select_configILj256ELj13ELNS0_17block_load_methodE3ELS4_3ELS4_3ELNS0_20block_scan_algorithmE0ELj4294967295EEENS1_25partition_config_selectorILNS1_17partition_subalgoE3EjNS0_10empty_typeEbEEZZNS1_14partition_implILS8_3ELb0ES6_jNS0_17counting_iteratorIjlEEPS9_SE_NS0_5tupleIJPjSE_EEENSF_IJSE_SE_EEES9_SG_JZNS1_25segmented_radix_sort_implINS0_14default_configELb1EPKlPlSM_SN_N2at6native12_GLOBAL__N_18offset_tEEE10hipError_tPvRmT1_PNSt15iterator_traitsISV_E10value_typeET2_T3_PNSW_IS11_E10value_typeET4_jRbjT5_S17_jjP12ihipStream_tbEUljE_EEESS_ST_SU_S11_S15_S17_T6_T7_T9_mT8_S19_bDpT10_ENKUlT_T0_E_clISt17integral_constantIbLb1EES1M_EEDaS1H_S1I_EUlS1H_E_NS1_11comp_targetILNS1_3genE4ELNS1_11target_archE910ELNS1_3gpuE8ELNS1_3repE0EEENS1_30default_config_static_selectorELNS0_4arch9wavefront6targetE0EEEvSV_
; %bb.0:
	.section	.rodata,"a",@progbits
	.p2align	6, 0x0
	.amdhsa_kernel _ZN7rocprim17ROCPRIM_400000_NS6detail17trampoline_kernelINS0_13select_configILj256ELj13ELNS0_17block_load_methodE3ELS4_3ELS4_3ELNS0_20block_scan_algorithmE0ELj4294967295EEENS1_25partition_config_selectorILNS1_17partition_subalgoE3EjNS0_10empty_typeEbEEZZNS1_14partition_implILS8_3ELb0ES6_jNS0_17counting_iteratorIjlEEPS9_SE_NS0_5tupleIJPjSE_EEENSF_IJSE_SE_EEES9_SG_JZNS1_25segmented_radix_sort_implINS0_14default_configELb1EPKlPlSM_SN_N2at6native12_GLOBAL__N_18offset_tEEE10hipError_tPvRmT1_PNSt15iterator_traitsISV_E10value_typeET2_T3_PNSW_IS11_E10value_typeET4_jRbjT5_S17_jjP12ihipStream_tbEUljE_EEESS_ST_SU_S11_S15_S17_T6_T7_T9_mT8_S19_bDpT10_ENKUlT_T0_E_clISt17integral_constantIbLb1EES1M_EEDaS1H_S1I_EUlS1H_E_NS1_11comp_targetILNS1_3genE4ELNS1_11target_archE910ELNS1_3gpuE8ELNS1_3repE0EEENS1_30default_config_static_selectorELNS0_4arch9wavefront6targetE0EEEvSV_
		.amdhsa_group_segment_fixed_size 0
		.amdhsa_private_segment_fixed_size 0
		.amdhsa_kernarg_size 152
		.amdhsa_user_sgpr_count 2
		.amdhsa_user_sgpr_dispatch_ptr 0
		.amdhsa_user_sgpr_queue_ptr 0
		.amdhsa_user_sgpr_kernarg_segment_ptr 1
		.amdhsa_user_sgpr_dispatch_id 0
		.amdhsa_user_sgpr_private_segment_size 0
		.amdhsa_wavefront_size32 1
		.amdhsa_uses_dynamic_stack 0
		.amdhsa_enable_private_segment 0
		.amdhsa_system_sgpr_workgroup_id_x 1
		.amdhsa_system_sgpr_workgroup_id_y 0
		.amdhsa_system_sgpr_workgroup_id_z 0
		.amdhsa_system_sgpr_workgroup_info 0
		.amdhsa_system_vgpr_workitem_id 0
		.amdhsa_next_free_vgpr 1
		.amdhsa_next_free_sgpr 1
		.amdhsa_reserve_vcc 0
		.amdhsa_float_round_mode_32 0
		.amdhsa_float_round_mode_16_64 0
		.amdhsa_float_denorm_mode_32 3
		.amdhsa_float_denorm_mode_16_64 3
		.amdhsa_fp16_overflow 0
		.amdhsa_workgroup_processor_mode 1
		.amdhsa_memory_ordered 1
		.amdhsa_forward_progress 1
		.amdhsa_inst_pref_size 0
		.amdhsa_round_robin_scheduling 0
		.amdhsa_exception_fp_ieee_invalid_op 0
		.amdhsa_exception_fp_denorm_src 0
		.amdhsa_exception_fp_ieee_div_zero 0
		.amdhsa_exception_fp_ieee_overflow 0
		.amdhsa_exception_fp_ieee_underflow 0
		.amdhsa_exception_fp_ieee_inexact 0
		.amdhsa_exception_int_div_zero 0
	.end_amdhsa_kernel
	.section	.text._ZN7rocprim17ROCPRIM_400000_NS6detail17trampoline_kernelINS0_13select_configILj256ELj13ELNS0_17block_load_methodE3ELS4_3ELS4_3ELNS0_20block_scan_algorithmE0ELj4294967295EEENS1_25partition_config_selectorILNS1_17partition_subalgoE3EjNS0_10empty_typeEbEEZZNS1_14partition_implILS8_3ELb0ES6_jNS0_17counting_iteratorIjlEEPS9_SE_NS0_5tupleIJPjSE_EEENSF_IJSE_SE_EEES9_SG_JZNS1_25segmented_radix_sort_implINS0_14default_configELb1EPKlPlSM_SN_N2at6native12_GLOBAL__N_18offset_tEEE10hipError_tPvRmT1_PNSt15iterator_traitsISV_E10value_typeET2_T3_PNSW_IS11_E10value_typeET4_jRbjT5_S17_jjP12ihipStream_tbEUljE_EEESS_ST_SU_S11_S15_S17_T6_T7_T9_mT8_S19_bDpT10_ENKUlT_T0_E_clISt17integral_constantIbLb1EES1M_EEDaS1H_S1I_EUlS1H_E_NS1_11comp_targetILNS1_3genE4ELNS1_11target_archE910ELNS1_3gpuE8ELNS1_3repE0EEENS1_30default_config_static_selectorELNS0_4arch9wavefront6targetE0EEEvSV_,"axG",@progbits,_ZN7rocprim17ROCPRIM_400000_NS6detail17trampoline_kernelINS0_13select_configILj256ELj13ELNS0_17block_load_methodE3ELS4_3ELS4_3ELNS0_20block_scan_algorithmE0ELj4294967295EEENS1_25partition_config_selectorILNS1_17partition_subalgoE3EjNS0_10empty_typeEbEEZZNS1_14partition_implILS8_3ELb0ES6_jNS0_17counting_iteratorIjlEEPS9_SE_NS0_5tupleIJPjSE_EEENSF_IJSE_SE_EEES9_SG_JZNS1_25segmented_radix_sort_implINS0_14default_configELb1EPKlPlSM_SN_N2at6native12_GLOBAL__N_18offset_tEEE10hipError_tPvRmT1_PNSt15iterator_traitsISV_E10value_typeET2_T3_PNSW_IS11_E10value_typeET4_jRbjT5_S17_jjP12ihipStream_tbEUljE_EEESS_ST_SU_S11_S15_S17_T6_T7_T9_mT8_S19_bDpT10_ENKUlT_T0_E_clISt17integral_constantIbLb1EES1M_EEDaS1H_S1I_EUlS1H_E_NS1_11comp_targetILNS1_3genE4ELNS1_11target_archE910ELNS1_3gpuE8ELNS1_3repE0EEENS1_30default_config_static_selectorELNS0_4arch9wavefront6targetE0EEEvSV_,comdat
.Lfunc_end682:
	.size	_ZN7rocprim17ROCPRIM_400000_NS6detail17trampoline_kernelINS0_13select_configILj256ELj13ELNS0_17block_load_methodE3ELS4_3ELS4_3ELNS0_20block_scan_algorithmE0ELj4294967295EEENS1_25partition_config_selectorILNS1_17partition_subalgoE3EjNS0_10empty_typeEbEEZZNS1_14partition_implILS8_3ELb0ES6_jNS0_17counting_iteratorIjlEEPS9_SE_NS0_5tupleIJPjSE_EEENSF_IJSE_SE_EEES9_SG_JZNS1_25segmented_radix_sort_implINS0_14default_configELb1EPKlPlSM_SN_N2at6native12_GLOBAL__N_18offset_tEEE10hipError_tPvRmT1_PNSt15iterator_traitsISV_E10value_typeET2_T3_PNSW_IS11_E10value_typeET4_jRbjT5_S17_jjP12ihipStream_tbEUljE_EEESS_ST_SU_S11_S15_S17_T6_T7_T9_mT8_S19_bDpT10_ENKUlT_T0_E_clISt17integral_constantIbLb1EES1M_EEDaS1H_S1I_EUlS1H_E_NS1_11comp_targetILNS1_3genE4ELNS1_11target_archE910ELNS1_3gpuE8ELNS1_3repE0EEENS1_30default_config_static_selectorELNS0_4arch9wavefront6targetE0EEEvSV_, .Lfunc_end682-_ZN7rocprim17ROCPRIM_400000_NS6detail17trampoline_kernelINS0_13select_configILj256ELj13ELNS0_17block_load_methodE3ELS4_3ELS4_3ELNS0_20block_scan_algorithmE0ELj4294967295EEENS1_25partition_config_selectorILNS1_17partition_subalgoE3EjNS0_10empty_typeEbEEZZNS1_14partition_implILS8_3ELb0ES6_jNS0_17counting_iteratorIjlEEPS9_SE_NS0_5tupleIJPjSE_EEENSF_IJSE_SE_EEES9_SG_JZNS1_25segmented_radix_sort_implINS0_14default_configELb1EPKlPlSM_SN_N2at6native12_GLOBAL__N_18offset_tEEE10hipError_tPvRmT1_PNSt15iterator_traitsISV_E10value_typeET2_T3_PNSW_IS11_E10value_typeET4_jRbjT5_S17_jjP12ihipStream_tbEUljE_EEESS_ST_SU_S11_S15_S17_T6_T7_T9_mT8_S19_bDpT10_ENKUlT_T0_E_clISt17integral_constantIbLb1EES1M_EEDaS1H_S1I_EUlS1H_E_NS1_11comp_targetILNS1_3genE4ELNS1_11target_archE910ELNS1_3gpuE8ELNS1_3repE0EEENS1_30default_config_static_selectorELNS0_4arch9wavefront6targetE0EEEvSV_
                                        ; -- End function
	.set _ZN7rocprim17ROCPRIM_400000_NS6detail17trampoline_kernelINS0_13select_configILj256ELj13ELNS0_17block_load_methodE3ELS4_3ELS4_3ELNS0_20block_scan_algorithmE0ELj4294967295EEENS1_25partition_config_selectorILNS1_17partition_subalgoE3EjNS0_10empty_typeEbEEZZNS1_14partition_implILS8_3ELb0ES6_jNS0_17counting_iteratorIjlEEPS9_SE_NS0_5tupleIJPjSE_EEENSF_IJSE_SE_EEES9_SG_JZNS1_25segmented_radix_sort_implINS0_14default_configELb1EPKlPlSM_SN_N2at6native12_GLOBAL__N_18offset_tEEE10hipError_tPvRmT1_PNSt15iterator_traitsISV_E10value_typeET2_T3_PNSW_IS11_E10value_typeET4_jRbjT5_S17_jjP12ihipStream_tbEUljE_EEESS_ST_SU_S11_S15_S17_T6_T7_T9_mT8_S19_bDpT10_ENKUlT_T0_E_clISt17integral_constantIbLb1EES1M_EEDaS1H_S1I_EUlS1H_E_NS1_11comp_targetILNS1_3genE4ELNS1_11target_archE910ELNS1_3gpuE8ELNS1_3repE0EEENS1_30default_config_static_selectorELNS0_4arch9wavefront6targetE0EEEvSV_.num_vgpr, 0
	.set _ZN7rocprim17ROCPRIM_400000_NS6detail17trampoline_kernelINS0_13select_configILj256ELj13ELNS0_17block_load_methodE3ELS4_3ELS4_3ELNS0_20block_scan_algorithmE0ELj4294967295EEENS1_25partition_config_selectorILNS1_17partition_subalgoE3EjNS0_10empty_typeEbEEZZNS1_14partition_implILS8_3ELb0ES6_jNS0_17counting_iteratorIjlEEPS9_SE_NS0_5tupleIJPjSE_EEENSF_IJSE_SE_EEES9_SG_JZNS1_25segmented_radix_sort_implINS0_14default_configELb1EPKlPlSM_SN_N2at6native12_GLOBAL__N_18offset_tEEE10hipError_tPvRmT1_PNSt15iterator_traitsISV_E10value_typeET2_T3_PNSW_IS11_E10value_typeET4_jRbjT5_S17_jjP12ihipStream_tbEUljE_EEESS_ST_SU_S11_S15_S17_T6_T7_T9_mT8_S19_bDpT10_ENKUlT_T0_E_clISt17integral_constantIbLb1EES1M_EEDaS1H_S1I_EUlS1H_E_NS1_11comp_targetILNS1_3genE4ELNS1_11target_archE910ELNS1_3gpuE8ELNS1_3repE0EEENS1_30default_config_static_selectorELNS0_4arch9wavefront6targetE0EEEvSV_.num_agpr, 0
	.set _ZN7rocprim17ROCPRIM_400000_NS6detail17trampoline_kernelINS0_13select_configILj256ELj13ELNS0_17block_load_methodE3ELS4_3ELS4_3ELNS0_20block_scan_algorithmE0ELj4294967295EEENS1_25partition_config_selectorILNS1_17partition_subalgoE3EjNS0_10empty_typeEbEEZZNS1_14partition_implILS8_3ELb0ES6_jNS0_17counting_iteratorIjlEEPS9_SE_NS0_5tupleIJPjSE_EEENSF_IJSE_SE_EEES9_SG_JZNS1_25segmented_radix_sort_implINS0_14default_configELb1EPKlPlSM_SN_N2at6native12_GLOBAL__N_18offset_tEEE10hipError_tPvRmT1_PNSt15iterator_traitsISV_E10value_typeET2_T3_PNSW_IS11_E10value_typeET4_jRbjT5_S17_jjP12ihipStream_tbEUljE_EEESS_ST_SU_S11_S15_S17_T6_T7_T9_mT8_S19_bDpT10_ENKUlT_T0_E_clISt17integral_constantIbLb1EES1M_EEDaS1H_S1I_EUlS1H_E_NS1_11comp_targetILNS1_3genE4ELNS1_11target_archE910ELNS1_3gpuE8ELNS1_3repE0EEENS1_30default_config_static_selectorELNS0_4arch9wavefront6targetE0EEEvSV_.numbered_sgpr, 0
	.set _ZN7rocprim17ROCPRIM_400000_NS6detail17trampoline_kernelINS0_13select_configILj256ELj13ELNS0_17block_load_methodE3ELS4_3ELS4_3ELNS0_20block_scan_algorithmE0ELj4294967295EEENS1_25partition_config_selectorILNS1_17partition_subalgoE3EjNS0_10empty_typeEbEEZZNS1_14partition_implILS8_3ELb0ES6_jNS0_17counting_iteratorIjlEEPS9_SE_NS0_5tupleIJPjSE_EEENSF_IJSE_SE_EEES9_SG_JZNS1_25segmented_radix_sort_implINS0_14default_configELb1EPKlPlSM_SN_N2at6native12_GLOBAL__N_18offset_tEEE10hipError_tPvRmT1_PNSt15iterator_traitsISV_E10value_typeET2_T3_PNSW_IS11_E10value_typeET4_jRbjT5_S17_jjP12ihipStream_tbEUljE_EEESS_ST_SU_S11_S15_S17_T6_T7_T9_mT8_S19_bDpT10_ENKUlT_T0_E_clISt17integral_constantIbLb1EES1M_EEDaS1H_S1I_EUlS1H_E_NS1_11comp_targetILNS1_3genE4ELNS1_11target_archE910ELNS1_3gpuE8ELNS1_3repE0EEENS1_30default_config_static_selectorELNS0_4arch9wavefront6targetE0EEEvSV_.num_named_barrier, 0
	.set _ZN7rocprim17ROCPRIM_400000_NS6detail17trampoline_kernelINS0_13select_configILj256ELj13ELNS0_17block_load_methodE3ELS4_3ELS4_3ELNS0_20block_scan_algorithmE0ELj4294967295EEENS1_25partition_config_selectorILNS1_17partition_subalgoE3EjNS0_10empty_typeEbEEZZNS1_14partition_implILS8_3ELb0ES6_jNS0_17counting_iteratorIjlEEPS9_SE_NS0_5tupleIJPjSE_EEENSF_IJSE_SE_EEES9_SG_JZNS1_25segmented_radix_sort_implINS0_14default_configELb1EPKlPlSM_SN_N2at6native12_GLOBAL__N_18offset_tEEE10hipError_tPvRmT1_PNSt15iterator_traitsISV_E10value_typeET2_T3_PNSW_IS11_E10value_typeET4_jRbjT5_S17_jjP12ihipStream_tbEUljE_EEESS_ST_SU_S11_S15_S17_T6_T7_T9_mT8_S19_bDpT10_ENKUlT_T0_E_clISt17integral_constantIbLb1EES1M_EEDaS1H_S1I_EUlS1H_E_NS1_11comp_targetILNS1_3genE4ELNS1_11target_archE910ELNS1_3gpuE8ELNS1_3repE0EEENS1_30default_config_static_selectorELNS0_4arch9wavefront6targetE0EEEvSV_.private_seg_size, 0
	.set _ZN7rocprim17ROCPRIM_400000_NS6detail17trampoline_kernelINS0_13select_configILj256ELj13ELNS0_17block_load_methodE3ELS4_3ELS4_3ELNS0_20block_scan_algorithmE0ELj4294967295EEENS1_25partition_config_selectorILNS1_17partition_subalgoE3EjNS0_10empty_typeEbEEZZNS1_14partition_implILS8_3ELb0ES6_jNS0_17counting_iteratorIjlEEPS9_SE_NS0_5tupleIJPjSE_EEENSF_IJSE_SE_EEES9_SG_JZNS1_25segmented_radix_sort_implINS0_14default_configELb1EPKlPlSM_SN_N2at6native12_GLOBAL__N_18offset_tEEE10hipError_tPvRmT1_PNSt15iterator_traitsISV_E10value_typeET2_T3_PNSW_IS11_E10value_typeET4_jRbjT5_S17_jjP12ihipStream_tbEUljE_EEESS_ST_SU_S11_S15_S17_T6_T7_T9_mT8_S19_bDpT10_ENKUlT_T0_E_clISt17integral_constantIbLb1EES1M_EEDaS1H_S1I_EUlS1H_E_NS1_11comp_targetILNS1_3genE4ELNS1_11target_archE910ELNS1_3gpuE8ELNS1_3repE0EEENS1_30default_config_static_selectorELNS0_4arch9wavefront6targetE0EEEvSV_.uses_vcc, 0
	.set _ZN7rocprim17ROCPRIM_400000_NS6detail17trampoline_kernelINS0_13select_configILj256ELj13ELNS0_17block_load_methodE3ELS4_3ELS4_3ELNS0_20block_scan_algorithmE0ELj4294967295EEENS1_25partition_config_selectorILNS1_17partition_subalgoE3EjNS0_10empty_typeEbEEZZNS1_14partition_implILS8_3ELb0ES6_jNS0_17counting_iteratorIjlEEPS9_SE_NS0_5tupleIJPjSE_EEENSF_IJSE_SE_EEES9_SG_JZNS1_25segmented_radix_sort_implINS0_14default_configELb1EPKlPlSM_SN_N2at6native12_GLOBAL__N_18offset_tEEE10hipError_tPvRmT1_PNSt15iterator_traitsISV_E10value_typeET2_T3_PNSW_IS11_E10value_typeET4_jRbjT5_S17_jjP12ihipStream_tbEUljE_EEESS_ST_SU_S11_S15_S17_T6_T7_T9_mT8_S19_bDpT10_ENKUlT_T0_E_clISt17integral_constantIbLb1EES1M_EEDaS1H_S1I_EUlS1H_E_NS1_11comp_targetILNS1_3genE4ELNS1_11target_archE910ELNS1_3gpuE8ELNS1_3repE0EEENS1_30default_config_static_selectorELNS0_4arch9wavefront6targetE0EEEvSV_.uses_flat_scratch, 0
	.set _ZN7rocprim17ROCPRIM_400000_NS6detail17trampoline_kernelINS0_13select_configILj256ELj13ELNS0_17block_load_methodE3ELS4_3ELS4_3ELNS0_20block_scan_algorithmE0ELj4294967295EEENS1_25partition_config_selectorILNS1_17partition_subalgoE3EjNS0_10empty_typeEbEEZZNS1_14partition_implILS8_3ELb0ES6_jNS0_17counting_iteratorIjlEEPS9_SE_NS0_5tupleIJPjSE_EEENSF_IJSE_SE_EEES9_SG_JZNS1_25segmented_radix_sort_implINS0_14default_configELb1EPKlPlSM_SN_N2at6native12_GLOBAL__N_18offset_tEEE10hipError_tPvRmT1_PNSt15iterator_traitsISV_E10value_typeET2_T3_PNSW_IS11_E10value_typeET4_jRbjT5_S17_jjP12ihipStream_tbEUljE_EEESS_ST_SU_S11_S15_S17_T6_T7_T9_mT8_S19_bDpT10_ENKUlT_T0_E_clISt17integral_constantIbLb1EES1M_EEDaS1H_S1I_EUlS1H_E_NS1_11comp_targetILNS1_3genE4ELNS1_11target_archE910ELNS1_3gpuE8ELNS1_3repE0EEENS1_30default_config_static_selectorELNS0_4arch9wavefront6targetE0EEEvSV_.has_dyn_sized_stack, 0
	.set _ZN7rocprim17ROCPRIM_400000_NS6detail17trampoline_kernelINS0_13select_configILj256ELj13ELNS0_17block_load_methodE3ELS4_3ELS4_3ELNS0_20block_scan_algorithmE0ELj4294967295EEENS1_25partition_config_selectorILNS1_17partition_subalgoE3EjNS0_10empty_typeEbEEZZNS1_14partition_implILS8_3ELb0ES6_jNS0_17counting_iteratorIjlEEPS9_SE_NS0_5tupleIJPjSE_EEENSF_IJSE_SE_EEES9_SG_JZNS1_25segmented_radix_sort_implINS0_14default_configELb1EPKlPlSM_SN_N2at6native12_GLOBAL__N_18offset_tEEE10hipError_tPvRmT1_PNSt15iterator_traitsISV_E10value_typeET2_T3_PNSW_IS11_E10value_typeET4_jRbjT5_S17_jjP12ihipStream_tbEUljE_EEESS_ST_SU_S11_S15_S17_T6_T7_T9_mT8_S19_bDpT10_ENKUlT_T0_E_clISt17integral_constantIbLb1EES1M_EEDaS1H_S1I_EUlS1H_E_NS1_11comp_targetILNS1_3genE4ELNS1_11target_archE910ELNS1_3gpuE8ELNS1_3repE0EEENS1_30default_config_static_selectorELNS0_4arch9wavefront6targetE0EEEvSV_.has_recursion, 0
	.set _ZN7rocprim17ROCPRIM_400000_NS6detail17trampoline_kernelINS0_13select_configILj256ELj13ELNS0_17block_load_methodE3ELS4_3ELS4_3ELNS0_20block_scan_algorithmE0ELj4294967295EEENS1_25partition_config_selectorILNS1_17partition_subalgoE3EjNS0_10empty_typeEbEEZZNS1_14partition_implILS8_3ELb0ES6_jNS0_17counting_iteratorIjlEEPS9_SE_NS0_5tupleIJPjSE_EEENSF_IJSE_SE_EEES9_SG_JZNS1_25segmented_radix_sort_implINS0_14default_configELb1EPKlPlSM_SN_N2at6native12_GLOBAL__N_18offset_tEEE10hipError_tPvRmT1_PNSt15iterator_traitsISV_E10value_typeET2_T3_PNSW_IS11_E10value_typeET4_jRbjT5_S17_jjP12ihipStream_tbEUljE_EEESS_ST_SU_S11_S15_S17_T6_T7_T9_mT8_S19_bDpT10_ENKUlT_T0_E_clISt17integral_constantIbLb1EES1M_EEDaS1H_S1I_EUlS1H_E_NS1_11comp_targetILNS1_3genE4ELNS1_11target_archE910ELNS1_3gpuE8ELNS1_3repE0EEENS1_30default_config_static_selectorELNS0_4arch9wavefront6targetE0EEEvSV_.has_indirect_call, 0
	.section	.AMDGPU.csdata,"",@progbits
; Kernel info:
; codeLenInByte = 0
; TotalNumSgprs: 0
; NumVgprs: 0
; ScratchSize: 0
; MemoryBound: 0
; FloatMode: 240
; IeeeMode: 1
; LDSByteSize: 0 bytes/workgroup (compile time only)
; SGPRBlocks: 0
; VGPRBlocks: 0
; NumSGPRsForWavesPerEU: 1
; NumVGPRsForWavesPerEU: 1
; Occupancy: 16
; WaveLimiterHint : 0
; COMPUTE_PGM_RSRC2:SCRATCH_EN: 0
; COMPUTE_PGM_RSRC2:USER_SGPR: 2
; COMPUTE_PGM_RSRC2:TRAP_HANDLER: 0
; COMPUTE_PGM_RSRC2:TGID_X_EN: 1
; COMPUTE_PGM_RSRC2:TGID_Y_EN: 0
; COMPUTE_PGM_RSRC2:TGID_Z_EN: 0
; COMPUTE_PGM_RSRC2:TIDIG_COMP_CNT: 0
	.section	.text._ZN7rocprim17ROCPRIM_400000_NS6detail17trampoline_kernelINS0_13select_configILj256ELj13ELNS0_17block_load_methodE3ELS4_3ELS4_3ELNS0_20block_scan_algorithmE0ELj4294967295EEENS1_25partition_config_selectorILNS1_17partition_subalgoE3EjNS0_10empty_typeEbEEZZNS1_14partition_implILS8_3ELb0ES6_jNS0_17counting_iteratorIjlEEPS9_SE_NS0_5tupleIJPjSE_EEENSF_IJSE_SE_EEES9_SG_JZNS1_25segmented_radix_sort_implINS0_14default_configELb1EPKlPlSM_SN_N2at6native12_GLOBAL__N_18offset_tEEE10hipError_tPvRmT1_PNSt15iterator_traitsISV_E10value_typeET2_T3_PNSW_IS11_E10value_typeET4_jRbjT5_S17_jjP12ihipStream_tbEUljE_EEESS_ST_SU_S11_S15_S17_T6_T7_T9_mT8_S19_bDpT10_ENKUlT_T0_E_clISt17integral_constantIbLb1EES1M_EEDaS1H_S1I_EUlS1H_E_NS1_11comp_targetILNS1_3genE3ELNS1_11target_archE908ELNS1_3gpuE7ELNS1_3repE0EEENS1_30default_config_static_selectorELNS0_4arch9wavefront6targetE0EEEvSV_,"axG",@progbits,_ZN7rocprim17ROCPRIM_400000_NS6detail17trampoline_kernelINS0_13select_configILj256ELj13ELNS0_17block_load_methodE3ELS4_3ELS4_3ELNS0_20block_scan_algorithmE0ELj4294967295EEENS1_25partition_config_selectorILNS1_17partition_subalgoE3EjNS0_10empty_typeEbEEZZNS1_14partition_implILS8_3ELb0ES6_jNS0_17counting_iteratorIjlEEPS9_SE_NS0_5tupleIJPjSE_EEENSF_IJSE_SE_EEES9_SG_JZNS1_25segmented_radix_sort_implINS0_14default_configELb1EPKlPlSM_SN_N2at6native12_GLOBAL__N_18offset_tEEE10hipError_tPvRmT1_PNSt15iterator_traitsISV_E10value_typeET2_T3_PNSW_IS11_E10value_typeET4_jRbjT5_S17_jjP12ihipStream_tbEUljE_EEESS_ST_SU_S11_S15_S17_T6_T7_T9_mT8_S19_bDpT10_ENKUlT_T0_E_clISt17integral_constantIbLb1EES1M_EEDaS1H_S1I_EUlS1H_E_NS1_11comp_targetILNS1_3genE3ELNS1_11target_archE908ELNS1_3gpuE7ELNS1_3repE0EEENS1_30default_config_static_selectorELNS0_4arch9wavefront6targetE0EEEvSV_,comdat
	.globl	_ZN7rocprim17ROCPRIM_400000_NS6detail17trampoline_kernelINS0_13select_configILj256ELj13ELNS0_17block_load_methodE3ELS4_3ELS4_3ELNS0_20block_scan_algorithmE0ELj4294967295EEENS1_25partition_config_selectorILNS1_17partition_subalgoE3EjNS0_10empty_typeEbEEZZNS1_14partition_implILS8_3ELb0ES6_jNS0_17counting_iteratorIjlEEPS9_SE_NS0_5tupleIJPjSE_EEENSF_IJSE_SE_EEES9_SG_JZNS1_25segmented_radix_sort_implINS0_14default_configELb1EPKlPlSM_SN_N2at6native12_GLOBAL__N_18offset_tEEE10hipError_tPvRmT1_PNSt15iterator_traitsISV_E10value_typeET2_T3_PNSW_IS11_E10value_typeET4_jRbjT5_S17_jjP12ihipStream_tbEUljE_EEESS_ST_SU_S11_S15_S17_T6_T7_T9_mT8_S19_bDpT10_ENKUlT_T0_E_clISt17integral_constantIbLb1EES1M_EEDaS1H_S1I_EUlS1H_E_NS1_11comp_targetILNS1_3genE3ELNS1_11target_archE908ELNS1_3gpuE7ELNS1_3repE0EEENS1_30default_config_static_selectorELNS0_4arch9wavefront6targetE0EEEvSV_ ; -- Begin function _ZN7rocprim17ROCPRIM_400000_NS6detail17trampoline_kernelINS0_13select_configILj256ELj13ELNS0_17block_load_methodE3ELS4_3ELS4_3ELNS0_20block_scan_algorithmE0ELj4294967295EEENS1_25partition_config_selectorILNS1_17partition_subalgoE3EjNS0_10empty_typeEbEEZZNS1_14partition_implILS8_3ELb0ES6_jNS0_17counting_iteratorIjlEEPS9_SE_NS0_5tupleIJPjSE_EEENSF_IJSE_SE_EEES9_SG_JZNS1_25segmented_radix_sort_implINS0_14default_configELb1EPKlPlSM_SN_N2at6native12_GLOBAL__N_18offset_tEEE10hipError_tPvRmT1_PNSt15iterator_traitsISV_E10value_typeET2_T3_PNSW_IS11_E10value_typeET4_jRbjT5_S17_jjP12ihipStream_tbEUljE_EEESS_ST_SU_S11_S15_S17_T6_T7_T9_mT8_S19_bDpT10_ENKUlT_T0_E_clISt17integral_constantIbLb1EES1M_EEDaS1H_S1I_EUlS1H_E_NS1_11comp_targetILNS1_3genE3ELNS1_11target_archE908ELNS1_3gpuE7ELNS1_3repE0EEENS1_30default_config_static_selectorELNS0_4arch9wavefront6targetE0EEEvSV_
	.p2align	8
	.type	_ZN7rocprim17ROCPRIM_400000_NS6detail17trampoline_kernelINS0_13select_configILj256ELj13ELNS0_17block_load_methodE3ELS4_3ELS4_3ELNS0_20block_scan_algorithmE0ELj4294967295EEENS1_25partition_config_selectorILNS1_17partition_subalgoE3EjNS0_10empty_typeEbEEZZNS1_14partition_implILS8_3ELb0ES6_jNS0_17counting_iteratorIjlEEPS9_SE_NS0_5tupleIJPjSE_EEENSF_IJSE_SE_EEES9_SG_JZNS1_25segmented_radix_sort_implINS0_14default_configELb1EPKlPlSM_SN_N2at6native12_GLOBAL__N_18offset_tEEE10hipError_tPvRmT1_PNSt15iterator_traitsISV_E10value_typeET2_T3_PNSW_IS11_E10value_typeET4_jRbjT5_S17_jjP12ihipStream_tbEUljE_EEESS_ST_SU_S11_S15_S17_T6_T7_T9_mT8_S19_bDpT10_ENKUlT_T0_E_clISt17integral_constantIbLb1EES1M_EEDaS1H_S1I_EUlS1H_E_NS1_11comp_targetILNS1_3genE3ELNS1_11target_archE908ELNS1_3gpuE7ELNS1_3repE0EEENS1_30default_config_static_selectorELNS0_4arch9wavefront6targetE0EEEvSV_,@function
_ZN7rocprim17ROCPRIM_400000_NS6detail17trampoline_kernelINS0_13select_configILj256ELj13ELNS0_17block_load_methodE3ELS4_3ELS4_3ELNS0_20block_scan_algorithmE0ELj4294967295EEENS1_25partition_config_selectorILNS1_17partition_subalgoE3EjNS0_10empty_typeEbEEZZNS1_14partition_implILS8_3ELb0ES6_jNS0_17counting_iteratorIjlEEPS9_SE_NS0_5tupleIJPjSE_EEENSF_IJSE_SE_EEES9_SG_JZNS1_25segmented_radix_sort_implINS0_14default_configELb1EPKlPlSM_SN_N2at6native12_GLOBAL__N_18offset_tEEE10hipError_tPvRmT1_PNSt15iterator_traitsISV_E10value_typeET2_T3_PNSW_IS11_E10value_typeET4_jRbjT5_S17_jjP12ihipStream_tbEUljE_EEESS_ST_SU_S11_S15_S17_T6_T7_T9_mT8_S19_bDpT10_ENKUlT_T0_E_clISt17integral_constantIbLb1EES1M_EEDaS1H_S1I_EUlS1H_E_NS1_11comp_targetILNS1_3genE3ELNS1_11target_archE908ELNS1_3gpuE7ELNS1_3repE0EEENS1_30default_config_static_selectorELNS0_4arch9wavefront6targetE0EEEvSV_: ; @_ZN7rocprim17ROCPRIM_400000_NS6detail17trampoline_kernelINS0_13select_configILj256ELj13ELNS0_17block_load_methodE3ELS4_3ELS4_3ELNS0_20block_scan_algorithmE0ELj4294967295EEENS1_25partition_config_selectorILNS1_17partition_subalgoE3EjNS0_10empty_typeEbEEZZNS1_14partition_implILS8_3ELb0ES6_jNS0_17counting_iteratorIjlEEPS9_SE_NS0_5tupleIJPjSE_EEENSF_IJSE_SE_EEES9_SG_JZNS1_25segmented_radix_sort_implINS0_14default_configELb1EPKlPlSM_SN_N2at6native12_GLOBAL__N_18offset_tEEE10hipError_tPvRmT1_PNSt15iterator_traitsISV_E10value_typeET2_T3_PNSW_IS11_E10value_typeET4_jRbjT5_S17_jjP12ihipStream_tbEUljE_EEESS_ST_SU_S11_S15_S17_T6_T7_T9_mT8_S19_bDpT10_ENKUlT_T0_E_clISt17integral_constantIbLb1EES1M_EEDaS1H_S1I_EUlS1H_E_NS1_11comp_targetILNS1_3genE3ELNS1_11target_archE908ELNS1_3gpuE7ELNS1_3repE0EEENS1_30default_config_static_selectorELNS0_4arch9wavefront6targetE0EEEvSV_
; %bb.0:
	.section	.rodata,"a",@progbits
	.p2align	6, 0x0
	.amdhsa_kernel _ZN7rocprim17ROCPRIM_400000_NS6detail17trampoline_kernelINS0_13select_configILj256ELj13ELNS0_17block_load_methodE3ELS4_3ELS4_3ELNS0_20block_scan_algorithmE0ELj4294967295EEENS1_25partition_config_selectorILNS1_17partition_subalgoE3EjNS0_10empty_typeEbEEZZNS1_14partition_implILS8_3ELb0ES6_jNS0_17counting_iteratorIjlEEPS9_SE_NS0_5tupleIJPjSE_EEENSF_IJSE_SE_EEES9_SG_JZNS1_25segmented_radix_sort_implINS0_14default_configELb1EPKlPlSM_SN_N2at6native12_GLOBAL__N_18offset_tEEE10hipError_tPvRmT1_PNSt15iterator_traitsISV_E10value_typeET2_T3_PNSW_IS11_E10value_typeET4_jRbjT5_S17_jjP12ihipStream_tbEUljE_EEESS_ST_SU_S11_S15_S17_T6_T7_T9_mT8_S19_bDpT10_ENKUlT_T0_E_clISt17integral_constantIbLb1EES1M_EEDaS1H_S1I_EUlS1H_E_NS1_11comp_targetILNS1_3genE3ELNS1_11target_archE908ELNS1_3gpuE7ELNS1_3repE0EEENS1_30default_config_static_selectorELNS0_4arch9wavefront6targetE0EEEvSV_
		.amdhsa_group_segment_fixed_size 0
		.amdhsa_private_segment_fixed_size 0
		.amdhsa_kernarg_size 152
		.amdhsa_user_sgpr_count 2
		.amdhsa_user_sgpr_dispatch_ptr 0
		.amdhsa_user_sgpr_queue_ptr 0
		.amdhsa_user_sgpr_kernarg_segment_ptr 1
		.amdhsa_user_sgpr_dispatch_id 0
		.amdhsa_user_sgpr_private_segment_size 0
		.amdhsa_wavefront_size32 1
		.amdhsa_uses_dynamic_stack 0
		.amdhsa_enable_private_segment 0
		.amdhsa_system_sgpr_workgroup_id_x 1
		.amdhsa_system_sgpr_workgroup_id_y 0
		.amdhsa_system_sgpr_workgroup_id_z 0
		.amdhsa_system_sgpr_workgroup_info 0
		.amdhsa_system_vgpr_workitem_id 0
		.amdhsa_next_free_vgpr 1
		.amdhsa_next_free_sgpr 1
		.amdhsa_reserve_vcc 0
		.amdhsa_float_round_mode_32 0
		.amdhsa_float_round_mode_16_64 0
		.amdhsa_float_denorm_mode_32 3
		.amdhsa_float_denorm_mode_16_64 3
		.amdhsa_fp16_overflow 0
		.amdhsa_workgroup_processor_mode 1
		.amdhsa_memory_ordered 1
		.amdhsa_forward_progress 1
		.amdhsa_inst_pref_size 0
		.amdhsa_round_robin_scheduling 0
		.amdhsa_exception_fp_ieee_invalid_op 0
		.amdhsa_exception_fp_denorm_src 0
		.amdhsa_exception_fp_ieee_div_zero 0
		.amdhsa_exception_fp_ieee_overflow 0
		.amdhsa_exception_fp_ieee_underflow 0
		.amdhsa_exception_fp_ieee_inexact 0
		.amdhsa_exception_int_div_zero 0
	.end_amdhsa_kernel
	.section	.text._ZN7rocprim17ROCPRIM_400000_NS6detail17trampoline_kernelINS0_13select_configILj256ELj13ELNS0_17block_load_methodE3ELS4_3ELS4_3ELNS0_20block_scan_algorithmE0ELj4294967295EEENS1_25partition_config_selectorILNS1_17partition_subalgoE3EjNS0_10empty_typeEbEEZZNS1_14partition_implILS8_3ELb0ES6_jNS0_17counting_iteratorIjlEEPS9_SE_NS0_5tupleIJPjSE_EEENSF_IJSE_SE_EEES9_SG_JZNS1_25segmented_radix_sort_implINS0_14default_configELb1EPKlPlSM_SN_N2at6native12_GLOBAL__N_18offset_tEEE10hipError_tPvRmT1_PNSt15iterator_traitsISV_E10value_typeET2_T3_PNSW_IS11_E10value_typeET4_jRbjT5_S17_jjP12ihipStream_tbEUljE_EEESS_ST_SU_S11_S15_S17_T6_T7_T9_mT8_S19_bDpT10_ENKUlT_T0_E_clISt17integral_constantIbLb1EES1M_EEDaS1H_S1I_EUlS1H_E_NS1_11comp_targetILNS1_3genE3ELNS1_11target_archE908ELNS1_3gpuE7ELNS1_3repE0EEENS1_30default_config_static_selectorELNS0_4arch9wavefront6targetE0EEEvSV_,"axG",@progbits,_ZN7rocprim17ROCPRIM_400000_NS6detail17trampoline_kernelINS0_13select_configILj256ELj13ELNS0_17block_load_methodE3ELS4_3ELS4_3ELNS0_20block_scan_algorithmE0ELj4294967295EEENS1_25partition_config_selectorILNS1_17partition_subalgoE3EjNS0_10empty_typeEbEEZZNS1_14partition_implILS8_3ELb0ES6_jNS0_17counting_iteratorIjlEEPS9_SE_NS0_5tupleIJPjSE_EEENSF_IJSE_SE_EEES9_SG_JZNS1_25segmented_radix_sort_implINS0_14default_configELb1EPKlPlSM_SN_N2at6native12_GLOBAL__N_18offset_tEEE10hipError_tPvRmT1_PNSt15iterator_traitsISV_E10value_typeET2_T3_PNSW_IS11_E10value_typeET4_jRbjT5_S17_jjP12ihipStream_tbEUljE_EEESS_ST_SU_S11_S15_S17_T6_T7_T9_mT8_S19_bDpT10_ENKUlT_T0_E_clISt17integral_constantIbLb1EES1M_EEDaS1H_S1I_EUlS1H_E_NS1_11comp_targetILNS1_3genE3ELNS1_11target_archE908ELNS1_3gpuE7ELNS1_3repE0EEENS1_30default_config_static_selectorELNS0_4arch9wavefront6targetE0EEEvSV_,comdat
.Lfunc_end683:
	.size	_ZN7rocprim17ROCPRIM_400000_NS6detail17trampoline_kernelINS0_13select_configILj256ELj13ELNS0_17block_load_methodE3ELS4_3ELS4_3ELNS0_20block_scan_algorithmE0ELj4294967295EEENS1_25partition_config_selectorILNS1_17partition_subalgoE3EjNS0_10empty_typeEbEEZZNS1_14partition_implILS8_3ELb0ES6_jNS0_17counting_iteratorIjlEEPS9_SE_NS0_5tupleIJPjSE_EEENSF_IJSE_SE_EEES9_SG_JZNS1_25segmented_radix_sort_implINS0_14default_configELb1EPKlPlSM_SN_N2at6native12_GLOBAL__N_18offset_tEEE10hipError_tPvRmT1_PNSt15iterator_traitsISV_E10value_typeET2_T3_PNSW_IS11_E10value_typeET4_jRbjT5_S17_jjP12ihipStream_tbEUljE_EEESS_ST_SU_S11_S15_S17_T6_T7_T9_mT8_S19_bDpT10_ENKUlT_T0_E_clISt17integral_constantIbLb1EES1M_EEDaS1H_S1I_EUlS1H_E_NS1_11comp_targetILNS1_3genE3ELNS1_11target_archE908ELNS1_3gpuE7ELNS1_3repE0EEENS1_30default_config_static_selectorELNS0_4arch9wavefront6targetE0EEEvSV_, .Lfunc_end683-_ZN7rocprim17ROCPRIM_400000_NS6detail17trampoline_kernelINS0_13select_configILj256ELj13ELNS0_17block_load_methodE3ELS4_3ELS4_3ELNS0_20block_scan_algorithmE0ELj4294967295EEENS1_25partition_config_selectorILNS1_17partition_subalgoE3EjNS0_10empty_typeEbEEZZNS1_14partition_implILS8_3ELb0ES6_jNS0_17counting_iteratorIjlEEPS9_SE_NS0_5tupleIJPjSE_EEENSF_IJSE_SE_EEES9_SG_JZNS1_25segmented_radix_sort_implINS0_14default_configELb1EPKlPlSM_SN_N2at6native12_GLOBAL__N_18offset_tEEE10hipError_tPvRmT1_PNSt15iterator_traitsISV_E10value_typeET2_T3_PNSW_IS11_E10value_typeET4_jRbjT5_S17_jjP12ihipStream_tbEUljE_EEESS_ST_SU_S11_S15_S17_T6_T7_T9_mT8_S19_bDpT10_ENKUlT_T0_E_clISt17integral_constantIbLb1EES1M_EEDaS1H_S1I_EUlS1H_E_NS1_11comp_targetILNS1_3genE3ELNS1_11target_archE908ELNS1_3gpuE7ELNS1_3repE0EEENS1_30default_config_static_selectorELNS0_4arch9wavefront6targetE0EEEvSV_
                                        ; -- End function
	.set _ZN7rocprim17ROCPRIM_400000_NS6detail17trampoline_kernelINS0_13select_configILj256ELj13ELNS0_17block_load_methodE3ELS4_3ELS4_3ELNS0_20block_scan_algorithmE0ELj4294967295EEENS1_25partition_config_selectorILNS1_17partition_subalgoE3EjNS0_10empty_typeEbEEZZNS1_14partition_implILS8_3ELb0ES6_jNS0_17counting_iteratorIjlEEPS9_SE_NS0_5tupleIJPjSE_EEENSF_IJSE_SE_EEES9_SG_JZNS1_25segmented_radix_sort_implINS0_14default_configELb1EPKlPlSM_SN_N2at6native12_GLOBAL__N_18offset_tEEE10hipError_tPvRmT1_PNSt15iterator_traitsISV_E10value_typeET2_T3_PNSW_IS11_E10value_typeET4_jRbjT5_S17_jjP12ihipStream_tbEUljE_EEESS_ST_SU_S11_S15_S17_T6_T7_T9_mT8_S19_bDpT10_ENKUlT_T0_E_clISt17integral_constantIbLb1EES1M_EEDaS1H_S1I_EUlS1H_E_NS1_11comp_targetILNS1_3genE3ELNS1_11target_archE908ELNS1_3gpuE7ELNS1_3repE0EEENS1_30default_config_static_selectorELNS0_4arch9wavefront6targetE0EEEvSV_.num_vgpr, 0
	.set _ZN7rocprim17ROCPRIM_400000_NS6detail17trampoline_kernelINS0_13select_configILj256ELj13ELNS0_17block_load_methodE3ELS4_3ELS4_3ELNS0_20block_scan_algorithmE0ELj4294967295EEENS1_25partition_config_selectorILNS1_17partition_subalgoE3EjNS0_10empty_typeEbEEZZNS1_14partition_implILS8_3ELb0ES6_jNS0_17counting_iteratorIjlEEPS9_SE_NS0_5tupleIJPjSE_EEENSF_IJSE_SE_EEES9_SG_JZNS1_25segmented_radix_sort_implINS0_14default_configELb1EPKlPlSM_SN_N2at6native12_GLOBAL__N_18offset_tEEE10hipError_tPvRmT1_PNSt15iterator_traitsISV_E10value_typeET2_T3_PNSW_IS11_E10value_typeET4_jRbjT5_S17_jjP12ihipStream_tbEUljE_EEESS_ST_SU_S11_S15_S17_T6_T7_T9_mT8_S19_bDpT10_ENKUlT_T0_E_clISt17integral_constantIbLb1EES1M_EEDaS1H_S1I_EUlS1H_E_NS1_11comp_targetILNS1_3genE3ELNS1_11target_archE908ELNS1_3gpuE7ELNS1_3repE0EEENS1_30default_config_static_selectorELNS0_4arch9wavefront6targetE0EEEvSV_.num_agpr, 0
	.set _ZN7rocprim17ROCPRIM_400000_NS6detail17trampoline_kernelINS0_13select_configILj256ELj13ELNS0_17block_load_methodE3ELS4_3ELS4_3ELNS0_20block_scan_algorithmE0ELj4294967295EEENS1_25partition_config_selectorILNS1_17partition_subalgoE3EjNS0_10empty_typeEbEEZZNS1_14partition_implILS8_3ELb0ES6_jNS0_17counting_iteratorIjlEEPS9_SE_NS0_5tupleIJPjSE_EEENSF_IJSE_SE_EEES9_SG_JZNS1_25segmented_radix_sort_implINS0_14default_configELb1EPKlPlSM_SN_N2at6native12_GLOBAL__N_18offset_tEEE10hipError_tPvRmT1_PNSt15iterator_traitsISV_E10value_typeET2_T3_PNSW_IS11_E10value_typeET4_jRbjT5_S17_jjP12ihipStream_tbEUljE_EEESS_ST_SU_S11_S15_S17_T6_T7_T9_mT8_S19_bDpT10_ENKUlT_T0_E_clISt17integral_constantIbLb1EES1M_EEDaS1H_S1I_EUlS1H_E_NS1_11comp_targetILNS1_3genE3ELNS1_11target_archE908ELNS1_3gpuE7ELNS1_3repE0EEENS1_30default_config_static_selectorELNS0_4arch9wavefront6targetE0EEEvSV_.numbered_sgpr, 0
	.set _ZN7rocprim17ROCPRIM_400000_NS6detail17trampoline_kernelINS0_13select_configILj256ELj13ELNS0_17block_load_methodE3ELS4_3ELS4_3ELNS0_20block_scan_algorithmE0ELj4294967295EEENS1_25partition_config_selectorILNS1_17partition_subalgoE3EjNS0_10empty_typeEbEEZZNS1_14partition_implILS8_3ELb0ES6_jNS0_17counting_iteratorIjlEEPS9_SE_NS0_5tupleIJPjSE_EEENSF_IJSE_SE_EEES9_SG_JZNS1_25segmented_radix_sort_implINS0_14default_configELb1EPKlPlSM_SN_N2at6native12_GLOBAL__N_18offset_tEEE10hipError_tPvRmT1_PNSt15iterator_traitsISV_E10value_typeET2_T3_PNSW_IS11_E10value_typeET4_jRbjT5_S17_jjP12ihipStream_tbEUljE_EEESS_ST_SU_S11_S15_S17_T6_T7_T9_mT8_S19_bDpT10_ENKUlT_T0_E_clISt17integral_constantIbLb1EES1M_EEDaS1H_S1I_EUlS1H_E_NS1_11comp_targetILNS1_3genE3ELNS1_11target_archE908ELNS1_3gpuE7ELNS1_3repE0EEENS1_30default_config_static_selectorELNS0_4arch9wavefront6targetE0EEEvSV_.num_named_barrier, 0
	.set _ZN7rocprim17ROCPRIM_400000_NS6detail17trampoline_kernelINS0_13select_configILj256ELj13ELNS0_17block_load_methodE3ELS4_3ELS4_3ELNS0_20block_scan_algorithmE0ELj4294967295EEENS1_25partition_config_selectorILNS1_17partition_subalgoE3EjNS0_10empty_typeEbEEZZNS1_14partition_implILS8_3ELb0ES6_jNS0_17counting_iteratorIjlEEPS9_SE_NS0_5tupleIJPjSE_EEENSF_IJSE_SE_EEES9_SG_JZNS1_25segmented_radix_sort_implINS0_14default_configELb1EPKlPlSM_SN_N2at6native12_GLOBAL__N_18offset_tEEE10hipError_tPvRmT1_PNSt15iterator_traitsISV_E10value_typeET2_T3_PNSW_IS11_E10value_typeET4_jRbjT5_S17_jjP12ihipStream_tbEUljE_EEESS_ST_SU_S11_S15_S17_T6_T7_T9_mT8_S19_bDpT10_ENKUlT_T0_E_clISt17integral_constantIbLb1EES1M_EEDaS1H_S1I_EUlS1H_E_NS1_11comp_targetILNS1_3genE3ELNS1_11target_archE908ELNS1_3gpuE7ELNS1_3repE0EEENS1_30default_config_static_selectorELNS0_4arch9wavefront6targetE0EEEvSV_.private_seg_size, 0
	.set _ZN7rocprim17ROCPRIM_400000_NS6detail17trampoline_kernelINS0_13select_configILj256ELj13ELNS0_17block_load_methodE3ELS4_3ELS4_3ELNS0_20block_scan_algorithmE0ELj4294967295EEENS1_25partition_config_selectorILNS1_17partition_subalgoE3EjNS0_10empty_typeEbEEZZNS1_14partition_implILS8_3ELb0ES6_jNS0_17counting_iteratorIjlEEPS9_SE_NS0_5tupleIJPjSE_EEENSF_IJSE_SE_EEES9_SG_JZNS1_25segmented_radix_sort_implINS0_14default_configELb1EPKlPlSM_SN_N2at6native12_GLOBAL__N_18offset_tEEE10hipError_tPvRmT1_PNSt15iterator_traitsISV_E10value_typeET2_T3_PNSW_IS11_E10value_typeET4_jRbjT5_S17_jjP12ihipStream_tbEUljE_EEESS_ST_SU_S11_S15_S17_T6_T7_T9_mT8_S19_bDpT10_ENKUlT_T0_E_clISt17integral_constantIbLb1EES1M_EEDaS1H_S1I_EUlS1H_E_NS1_11comp_targetILNS1_3genE3ELNS1_11target_archE908ELNS1_3gpuE7ELNS1_3repE0EEENS1_30default_config_static_selectorELNS0_4arch9wavefront6targetE0EEEvSV_.uses_vcc, 0
	.set _ZN7rocprim17ROCPRIM_400000_NS6detail17trampoline_kernelINS0_13select_configILj256ELj13ELNS0_17block_load_methodE3ELS4_3ELS4_3ELNS0_20block_scan_algorithmE0ELj4294967295EEENS1_25partition_config_selectorILNS1_17partition_subalgoE3EjNS0_10empty_typeEbEEZZNS1_14partition_implILS8_3ELb0ES6_jNS0_17counting_iteratorIjlEEPS9_SE_NS0_5tupleIJPjSE_EEENSF_IJSE_SE_EEES9_SG_JZNS1_25segmented_radix_sort_implINS0_14default_configELb1EPKlPlSM_SN_N2at6native12_GLOBAL__N_18offset_tEEE10hipError_tPvRmT1_PNSt15iterator_traitsISV_E10value_typeET2_T3_PNSW_IS11_E10value_typeET4_jRbjT5_S17_jjP12ihipStream_tbEUljE_EEESS_ST_SU_S11_S15_S17_T6_T7_T9_mT8_S19_bDpT10_ENKUlT_T0_E_clISt17integral_constantIbLb1EES1M_EEDaS1H_S1I_EUlS1H_E_NS1_11comp_targetILNS1_3genE3ELNS1_11target_archE908ELNS1_3gpuE7ELNS1_3repE0EEENS1_30default_config_static_selectorELNS0_4arch9wavefront6targetE0EEEvSV_.uses_flat_scratch, 0
	.set _ZN7rocprim17ROCPRIM_400000_NS6detail17trampoline_kernelINS0_13select_configILj256ELj13ELNS0_17block_load_methodE3ELS4_3ELS4_3ELNS0_20block_scan_algorithmE0ELj4294967295EEENS1_25partition_config_selectorILNS1_17partition_subalgoE3EjNS0_10empty_typeEbEEZZNS1_14partition_implILS8_3ELb0ES6_jNS0_17counting_iteratorIjlEEPS9_SE_NS0_5tupleIJPjSE_EEENSF_IJSE_SE_EEES9_SG_JZNS1_25segmented_radix_sort_implINS0_14default_configELb1EPKlPlSM_SN_N2at6native12_GLOBAL__N_18offset_tEEE10hipError_tPvRmT1_PNSt15iterator_traitsISV_E10value_typeET2_T3_PNSW_IS11_E10value_typeET4_jRbjT5_S17_jjP12ihipStream_tbEUljE_EEESS_ST_SU_S11_S15_S17_T6_T7_T9_mT8_S19_bDpT10_ENKUlT_T0_E_clISt17integral_constantIbLb1EES1M_EEDaS1H_S1I_EUlS1H_E_NS1_11comp_targetILNS1_3genE3ELNS1_11target_archE908ELNS1_3gpuE7ELNS1_3repE0EEENS1_30default_config_static_selectorELNS0_4arch9wavefront6targetE0EEEvSV_.has_dyn_sized_stack, 0
	.set _ZN7rocprim17ROCPRIM_400000_NS6detail17trampoline_kernelINS0_13select_configILj256ELj13ELNS0_17block_load_methodE3ELS4_3ELS4_3ELNS0_20block_scan_algorithmE0ELj4294967295EEENS1_25partition_config_selectorILNS1_17partition_subalgoE3EjNS0_10empty_typeEbEEZZNS1_14partition_implILS8_3ELb0ES6_jNS0_17counting_iteratorIjlEEPS9_SE_NS0_5tupleIJPjSE_EEENSF_IJSE_SE_EEES9_SG_JZNS1_25segmented_radix_sort_implINS0_14default_configELb1EPKlPlSM_SN_N2at6native12_GLOBAL__N_18offset_tEEE10hipError_tPvRmT1_PNSt15iterator_traitsISV_E10value_typeET2_T3_PNSW_IS11_E10value_typeET4_jRbjT5_S17_jjP12ihipStream_tbEUljE_EEESS_ST_SU_S11_S15_S17_T6_T7_T9_mT8_S19_bDpT10_ENKUlT_T0_E_clISt17integral_constantIbLb1EES1M_EEDaS1H_S1I_EUlS1H_E_NS1_11comp_targetILNS1_3genE3ELNS1_11target_archE908ELNS1_3gpuE7ELNS1_3repE0EEENS1_30default_config_static_selectorELNS0_4arch9wavefront6targetE0EEEvSV_.has_recursion, 0
	.set _ZN7rocprim17ROCPRIM_400000_NS6detail17trampoline_kernelINS0_13select_configILj256ELj13ELNS0_17block_load_methodE3ELS4_3ELS4_3ELNS0_20block_scan_algorithmE0ELj4294967295EEENS1_25partition_config_selectorILNS1_17partition_subalgoE3EjNS0_10empty_typeEbEEZZNS1_14partition_implILS8_3ELb0ES6_jNS0_17counting_iteratorIjlEEPS9_SE_NS0_5tupleIJPjSE_EEENSF_IJSE_SE_EEES9_SG_JZNS1_25segmented_radix_sort_implINS0_14default_configELb1EPKlPlSM_SN_N2at6native12_GLOBAL__N_18offset_tEEE10hipError_tPvRmT1_PNSt15iterator_traitsISV_E10value_typeET2_T3_PNSW_IS11_E10value_typeET4_jRbjT5_S17_jjP12ihipStream_tbEUljE_EEESS_ST_SU_S11_S15_S17_T6_T7_T9_mT8_S19_bDpT10_ENKUlT_T0_E_clISt17integral_constantIbLb1EES1M_EEDaS1H_S1I_EUlS1H_E_NS1_11comp_targetILNS1_3genE3ELNS1_11target_archE908ELNS1_3gpuE7ELNS1_3repE0EEENS1_30default_config_static_selectorELNS0_4arch9wavefront6targetE0EEEvSV_.has_indirect_call, 0
	.section	.AMDGPU.csdata,"",@progbits
; Kernel info:
; codeLenInByte = 0
; TotalNumSgprs: 0
; NumVgprs: 0
; ScratchSize: 0
; MemoryBound: 0
; FloatMode: 240
; IeeeMode: 1
; LDSByteSize: 0 bytes/workgroup (compile time only)
; SGPRBlocks: 0
; VGPRBlocks: 0
; NumSGPRsForWavesPerEU: 1
; NumVGPRsForWavesPerEU: 1
; Occupancy: 16
; WaveLimiterHint : 0
; COMPUTE_PGM_RSRC2:SCRATCH_EN: 0
; COMPUTE_PGM_RSRC2:USER_SGPR: 2
; COMPUTE_PGM_RSRC2:TRAP_HANDLER: 0
; COMPUTE_PGM_RSRC2:TGID_X_EN: 1
; COMPUTE_PGM_RSRC2:TGID_Y_EN: 0
; COMPUTE_PGM_RSRC2:TGID_Z_EN: 0
; COMPUTE_PGM_RSRC2:TIDIG_COMP_CNT: 0
	.section	.text._ZN7rocprim17ROCPRIM_400000_NS6detail17trampoline_kernelINS0_13select_configILj256ELj13ELNS0_17block_load_methodE3ELS4_3ELS4_3ELNS0_20block_scan_algorithmE0ELj4294967295EEENS1_25partition_config_selectorILNS1_17partition_subalgoE3EjNS0_10empty_typeEbEEZZNS1_14partition_implILS8_3ELb0ES6_jNS0_17counting_iteratorIjlEEPS9_SE_NS0_5tupleIJPjSE_EEENSF_IJSE_SE_EEES9_SG_JZNS1_25segmented_radix_sort_implINS0_14default_configELb1EPKlPlSM_SN_N2at6native12_GLOBAL__N_18offset_tEEE10hipError_tPvRmT1_PNSt15iterator_traitsISV_E10value_typeET2_T3_PNSW_IS11_E10value_typeET4_jRbjT5_S17_jjP12ihipStream_tbEUljE_EEESS_ST_SU_S11_S15_S17_T6_T7_T9_mT8_S19_bDpT10_ENKUlT_T0_E_clISt17integral_constantIbLb1EES1M_EEDaS1H_S1I_EUlS1H_E_NS1_11comp_targetILNS1_3genE2ELNS1_11target_archE906ELNS1_3gpuE6ELNS1_3repE0EEENS1_30default_config_static_selectorELNS0_4arch9wavefront6targetE0EEEvSV_,"axG",@progbits,_ZN7rocprim17ROCPRIM_400000_NS6detail17trampoline_kernelINS0_13select_configILj256ELj13ELNS0_17block_load_methodE3ELS4_3ELS4_3ELNS0_20block_scan_algorithmE0ELj4294967295EEENS1_25partition_config_selectorILNS1_17partition_subalgoE3EjNS0_10empty_typeEbEEZZNS1_14partition_implILS8_3ELb0ES6_jNS0_17counting_iteratorIjlEEPS9_SE_NS0_5tupleIJPjSE_EEENSF_IJSE_SE_EEES9_SG_JZNS1_25segmented_radix_sort_implINS0_14default_configELb1EPKlPlSM_SN_N2at6native12_GLOBAL__N_18offset_tEEE10hipError_tPvRmT1_PNSt15iterator_traitsISV_E10value_typeET2_T3_PNSW_IS11_E10value_typeET4_jRbjT5_S17_jjP12ihipStream_tbEUljE_EEESS_ST_SU_S11_S15_S17_T6_T7_T9_mT8_S19_bDpT10_ENKUlT_T0_E_clISt17integral_constantIbLb1EES1M_EEDaS1H_S1I_EUlS1H_E_NS1_11comp_targetILNS1_3genE2ELNS1_11target_archE906ELNS1_3gpuE6ELNS1_3repE0EEENS1_30default_config_static_selectorELNS0_4arch9wavefront6targetE0EEEvSV_,comdat
	.globl	_ZN7rocprim17ROCPRIM_400000_NS6detail17trampoline_kernelINS0_13select_configILj256ELj13ELNS0_17block_load_methodE3ELS4_3ELS4_3ELNS0_20block_scan_algorithmE0ELj4294967295EEENS1_25partition_config_selectorILNS1_17partition_subalgoE3EjNS0_10empty_typeEbEEZZNS1_14partition_implILS8_3ELb0ES6_jNS0_17counting_iteratorIjlEEPS9_SE_NS0_5tupleIJPjSE_EEENSF_IJSE_SE_EEES9_SG_JZNS1_25segmented_radix_sort_implINS0_14default_configELb1EPKlPlSM_SN_N2at6native12_GLOBAL__N_18offset_tEEE10hipError_tPvRmT1_PNSt15iterator_traitsISV_E10value_typeET2_T3_PNSW_IS11_E10value_typeET4_jRbjT5_S17_jjP12ihipStream_tbEUljE_EEESS_ST_SU_S11_S15_S17_T6_T7_T9_mT8_S19_bDpT10_ENKUlT_T0_E_clISt17integral_constantIbLb1EES1M_EEDaS1H_S1I_EUlS1H_E_NS1_11comp_targetILNS1_3genE2ELNS1_11target_archE906ELNS1_3gpuE6ELNS1_3repE0EEENS1_30default_config_static_selectorELNS0_4arch9wavefront6targetE0EEEvSV_ ; -- Begin function _ZN7rocprim17ROCPRIM_400000_NS6detail17trampoline_kernelINS0_13select_configILj256ELj13ELNS0_17block_load_methodE3ELS4_3ELS4_3ELNS0_20block_scan_algorithmE0ELj4294967295EEENS1_25partition_config_selectorILNS1_17partition_subalgoE3EjNS0_10empty_typeEbEEZZNS1_14partition_implILS8_3ELb0ES6_jNS0_17counting_iteratorIjlEEPS9_SE_NS0_5tupleIJPjSE_EEENSF_IJSE_SE_EEES9_SG_JZNS1_25segmented_radix_sort_implINS0_14default_configELb1EPKlPlSM_SN_N2at6native12_GLOBAL__N_18offset_tEEE10hipError_tPvRmT1_PNSt15iterator_traitsISV_E10value_typeET2_T3_PNSW_IS11_E10value_typeET4_jRbjT5_S17_jjP12ihipStream_tbEUljE_EEESS_ST_SU_S11_S15_S17_T6_T7_T9_mT8_S19_bDpT10_ENKUlT_T0_E_clISt17integral_constantIbLb1EES1M_EEDaS1H_S1I_EUlS1H_E_NS1_11comp_targetILNS1_3genE2ELNS1_11target_archE906ELNS1_3gpuE6ELNS1_3repE0EEENS1_30default_config_static_selectorELNS0_4arch9wavefront6targetE0EEEvSV_
	.p2align	8
	.type	_ZN7rocprim17ROCPRIM_400000_NS6detail17trampoline_kernelINS0_13select_configILj256ELj13ELNS0_17block_load_methodE3ELS4_3ELS4_3ELNS0_20block_scan_algorithmE0ELj4294967295EEENS1_25partition_config_selectorILNS1_17partition_subalgoE3EjNS0_10empty_typeEbEEZZNS1_14partition_implILS8_3ELb0ES6_jNS0_17counting_iteratorIjlEEPS9_SE_NS0_5tupleIJPjSE_EEENSF_IJSE_SE_EEES9_SG_JZNS1_25segmented_radix_sort_implINS0_14default_configELb1EPKlPlSM_SN_N2at6native12_GLOBAL__N_18offset_tEEE10hipError_tPvRmT1_PNSt15iterator_traitsISV_E10value_typeET2_T3_PNSW_IS11_E10value_typeET4_jRbjT5_S17_jjP12ihipStream_tbEUljE_EEESS_ST_SU_S11_S15_S17_T6_T7_T9_mT8_S19_bDpT10_ENKUlT_T0_E_clISt17integral_constantIbLb1EES1M_EEDaS1H_S1I_EUlS1H_E_NS1_11comp_targetILNS1_3genE2ELNS1_11target_archE906ELNS1_3gpuE6ELNS1_3repE0EEENS1_30default_config_static_selectorELNS0_4arch9wavefront6targetE0EEEvSV_,@function
_ZN7rocprim17ROCPRIM_400000_NS6detail17trampoline_kernelINS0_13select_configILj256ELj13ELNS0_17block_load_methodE3ELS4_3ELS4_3ELNS0_20block_scan_algorithmE0ELj4294967295EEENS1_25partition_config_selectorILNS1_17partition_subalgoE3EjNS0_10empty_typeEbEEZZNS1_14partition_implILS8_3ELb0ES6_jNS0_17counting_iteratorIjlEEPS9_SE_NS0_5tupleIJPjSE_EEENSF_IJSE_SE_EEES9_SG_JZNS1_25segmented_radix_sort_implINS0_14default_configELb1EPKlPlSM_SN_N2at6native12_GLOBAL__N_18offset_tEEE10hipError_tPvRmT1_PNSt15iterator_traitsISV_E10value_typeET2_T3_PNSW_IS11_E10value_typeET4_jRbjT5_S17_jjP12ihipStream_tbEUljE_EEESS_ST_SU_S11_S15_S17_T6_T7_T9_mT8_S19_bDpT10_ENKUlT_T0_E_clISt17integral_constantIbLb1EES1M_EEDaS1H_S1I_EUlS1H_E_NS1_11comp_targetILNS1_3genE2ELNS1_11target_archE906ELNS1_3gpuE6ELNS1_3repE0EEENS1_30default_config_static_selectorELNS0_4arch9wavefront6targetE0EEEvSV_: ; @_ZN7rocprim17ROCPRIM_400000_NS6detail17trampoline_kernelINS0_13select_configILj256ELj13ELNS0_17block_load_methodE3ELS4_3ELS4_3ELNS0_20block_scan_algorithmE0ELj4294967295EEENS1_25partition_config_selectorILNS1_17partition_subalgoE3EjNS0_10empty_typeEbEEZZNS1_14partition_implILS8_3ELb0ES6_jNS0_17counting_iteratorIjlEEPS9_SE_NS0_5tupleIJPjSE_EEENSF_IJSE_SE_EEES9_SG_JZNS1_25segmented_radix_sort_implINS0_14default_configELb1EPKlPlSM_SN_N2at6native12_GLOBAL__N_18offset_tEEE10hipError_tPvRmT1_PNSt15iterator_traitsISV_E10value_typeET2_T3_PNSW_IS11_E10value_typeET4_jRbjT5_S17_jjP12ihipStream_tbEUljE_EEESS_ST_SU_S11_S15_S17_T6_T7_T9_mT8_S19_bDpT10_ENKUlT_T0_E_clISt17integral_constantIbLb1EES1M_EEDaS1H_S1I_EUlS1H_E_NS1_11comp_targetILNS1_3genE2ELNS1_11target_archE906ELNS1_3gpuE6ELNS1_3repE0EEENS1_30default_config_static_selectorELNS0_4arch9wavefront6targetE0EEEvSV_
; %bb.0:
	.section	.rodata,"a",@progbits
	.p2align	6, 0x0
	.amdhsa_kernel _ZN7rocprim17ROCPRIM_400000_NS6detail17trampoline_kernelINS0_13select_configILj256ELj13ELNS0_17block_load_methodE3ELS4_3ELS4_3ELNS0_20block_scan_algorithmE0ELj4294967295EEENS1_25partition_config_selectorILNS1_17partition_subalgoE3EjNS0_10empty_typeEbEEZZNS1_14partition_implILS8_3ELb0ES6_jNS0_17counting_iteratorIjlEEPS9_SE_NS0_5tupleIJPjSE_EEENSF_IJSE_SE_EEES9_SG_JZNS1_25segmented_radix_sort_implINS0_14default_configELb1EPKlPlSM_SN_N2at6native12_GLOBAL__N_18offset_tEEE10hipError_tPvRmT1_PNSt15iterator_traitsISV_E10value_typeET2_T3_PNSW_IS11_E10value_typeET4_jRbjT5_S17_jjP12ihipStream_tbEUljE_EEESS_ST_SU_S11_S15_S17_T6_T7_T9_mT8_S19_bDpT10_ENKUlT_T0_E_clISt17integral_constantIbLb1EES1M_EEDaS1H_S1I_EUlS1H_E_NS1_11comp_targetILNS1_3genE2ELNS1_11target_archE906ELNS1_3gpuE6ELNS1_3repE0EEENS1_30default_config_static_selectorELNS0_4arch9wavefront6targetE0EEEvSV_
		.amdhsa_group_segment_fixed_size 0
		.amdhsa_private_segment_fixed_size 0
		.amdhsa_kernarg_size 152
		.amdhsa_user_sgpr_count 2
		.amdhsa_user_sgpr_dispatch_ptr 0
		.amdhsa_user_sgpr_queue_ptr 0
		.amdhsa_user_sgpr_kernarg_segment_ptr 1
		.amdhsa_user_sgpr_dispatch_id 0
		.amdhsa_user_sgpr_private_segment_size 0
		.amdhsa_wavefront_size32 1
		.amdhsa_uses_dynamic_stack 0
		.amdhsa_enable_private_segment 0
		.amdhsa_system_sgpr_workgroup_id_x 1
		.amdhsa_system_sgpr_workgroup_id_y 0
		.amdhsa_system_sgpr_workgroup_id_z 0
		.amdhsa_system_sgpr_workgroup_info 0
		.amdhsa_system_vgpr_workitem_id 0
		.amdhsa_next_free_vgpr 1
		.amdhsa_next_free_sgpr 1
		.amdhsa_reserve_vcc 0
		.amdhsa_float_round_mode_32 0
		.amdhsa_float_round_mode_16_64 0
		.amdhsa_float_denorm_mode_32 3
		.amdhsa_float_denorm_mode_16_64 3
		.amdhsa_fp16_overflow 0
		.amdhsa_workgroup_processor_mode 1
		.amdhsa_memory_ordered 1
		.amdhsa_forward_progress 1
		.amdhsa_inst_pref_size 0
		.amdhsa_round_robin_scheduling 0
		.amdhsa_exception_fp_ieee_invalid_op 0
		.amdhsa_exception_fp_denorm_src 0
		.amdhsa_exception_fp_ieee_div_zero 0
		.amdhsa_exception_fp_ieee_overflow 0
		.amdhsa_exception_fp_ieee_underflow 0
		.amdhsa_exception_fp_ieee_inexact 0
		.amdhsa_exception_int_div_zero 0
	.end_amdhsa_kernel
	.section	.text._ZN7rocprim17ROCPRIM_400000_NS6detail17trampoline_kernelINS0_13select_configILj256ELj13ELNS0_17block_load_methodE3ELS4_3ELS4_3ELNS0_20block_scan_algorithmE0ELj4294967295EEENS1_25partition_config_selectorILNS1_17partition_subalgoE3EjNS0_10empty_typeEbEEZZNS1_14partition_implILS8_3ELb0ES6_jNS0_17counting_iteratorIjlEEPS9_SE_NS0_5tupleIJPjSE_EEENSF_IJSE_SE_EEES9_SG_JZNS1_25segmented_radix_sort_implINS0_14default_configELb1EPKlPlSM_SN_N2at6native12_GLOBAL__N_18offset_tEEE10hipError_tPvRmT1_PNSt15iterator_traitsISV_E10value_typeET2_T3_PNSW_IS11_E10value_typeET4_jRbjT5_S17_jjP12ihipStream_tbEUljE_EEESS_ST_SU_S11_S15_S17_T6_T7_T9_mT8_S19_bDpT10_ENKUlT_T0_E_clISt17integral_constantIbLb1EES1M_EEDaS1H_S1I_EUlS1H_E_NS1_11comp_targetILNS1_3genE2ELNS1_11target_archE906ELNS1_3gpuE6ELNS1_3repE0EEENS1_30default_config_static_selectorELNS0_4arch9wavefront6targetE0EEEvSV_,"axG",@progbits,_ZN7rocprim17ROCPRIM_400000_NS6detail17trampoline_kernelINS0_13select_configILj256ELj13ELNS0_17block_load_methodE3ELS4_3ELS4_3ELNS0_20block_scan_algorithmE0ELj4294967295EEENS1_25partition_config_selectorILNS1_17partition_subalgoE3EjNS0_10empty_typeEbEEZZNS1_14partition_implILS8_3ELb0ES6_jNS0_17counting_iteratorIjlEEPS9_SE_NS0_5tupleIJPjSE_EEENSF_IJSE_SE_EEES9_SG_JZNS1_25segmented_radix_sort_implINS0_14default_configELb1EPKlPlSM_SN_N2at6native12_GLOBAL__N_18offset_tEEE10hipError_tPvRmT1_PNSt15iterator_traitsISV_E10value_typeET2_T3_PNSW_IS11_E10value_typeET4_jRbjT5_S17_jjP12ihipStream_tbEUljE_EEESS_ST_SU_S11_S15_S17_T6_T7_T9_mT8_S19_bDpT10_ENKUlT_T0_E_clISt17integral_constantIbLb1EES1M_EEDaS1H_S1I_EUlS1H_E_NS1_11comp_targetILNS1_3genE2ELNS1_11target_archE906ELNS1_3gpuE6ELNS1_3repE0EEENS1_30default_config_static_selectorELNS0_4arch9wavefront6targetE0EEEvSV_,comdat
.Lfunc_end684:
	.size	_ZN7rocprim17ROCPRIM_400000_NS6detail17trampoline_kernelINS0_13select_configILj256ELj13ELNS0_17block_load_methodE3ELS4_3ELS4_3ELNS0_20block_scan_algorithmE0ELj4294967295EEENS1_25partition_config_selectorILNS1_17partition_subalgoE3EjNS0_10empty_typeEbEEZZNS1_14partition_implILS8_3ELb0ES6_jNS0_17counting_iteratorIjlEEPS9_SE_NS0_5tupleIJPjSE_EEENSF_IJSE_SE_EEES9_SG_JZNS1_25segmented_radix_sort_implINS0_14default_configELb1EPKlPlSM_SN_N2at6native12_GLOBAL__N_18offset_tEEE10hipError_tPvRmT1_PNSt15iterator_traitsISV_E10value_typeET2_T3_PNSW_IS11_E10value_typeET4_jRbjT5_S17_jjP12ihipStream_tbEUljE_EEESS_ST_SU_S11_S15_S17_T6_T7_T9_mT8_S19_bDpT10_ENKUlT_T0_E_clISt17integral_constantIbLb1EES1M_EEDaS1H_S1I_EUlS1H_E_NS1_11comp_targetILNS1_3genE2ELNS1_11target_archE906ELNS1_3gpuE6ELNS1_3repE0EEENS1_30default_config_static_selectorELNS0_4arch9wavefront6targetE0EEEvSV_, .Lfunc_end684-_ZN7rocprim17ROCPRIM_400000_NS6detail17trampoline_kernelINS0_13select_configILj256ELj13ELNS0_17block_load_methodE3ELS4_3ELS4_3ELNS0_20block_scan_algorithmE0ELj4294967295EEENS1_25partition_config_selectorILNS1_17partition_subalgoE3EjNS0_10empty_typeEbEEZZNS1_14partition_implILS8_3ELb0ES6_jNS0_17counting_iteratorIjlEEPS9_SE_NS0_5tupleIJPjSE_EEENSF_IJSE_SE_EEES9_SG_JZNS1_25segmented_radix_sort_implINS0_14default_configELb1EPKlPlSM_SN_N2at6native12_GLOBAL__N_18offset_tEEE10hipError_tPvRmT1_PNSt15iterator_traitsISV_E10value_typeET2_T3_PNSW_IS11_E10value_typeET4_jRbjT5_S17_jjP12ihipStream_tbEUljE_EEESS_ST_SU_S11_S15_S17_T6_T7_T9_mT8_S19_bDpT10_ENKUlT_T0_E_clISt17integral_constantIbLb1EES1M_EEDaS1H_S1I_EUlS1H_E_NS1_11comp_targetILNS1_3genE2ELNS1_11target_archE906ELNS1_3gpuE6ELNS1_3repE0EEENS1_30default_config_static_selectorELNS0_4arch9wavefront6targetE0EEEvSV_
                                        ; -- End function
	.set _ZN7rocprim17ROCPRIM_400000_NS6detail17trampoline_kernelINS0_13select_configILj256ELj13ELNS0_17block_load_methodE3ELS4_3ELS4_3ELNS0_20block_scan_algorithmE0ELj4294967295EEENS1_25partition_config_selectorILNS1_17partition_subalgoE3EjNS0_10empty_typeEbEEZZNS1_14partition_implILS8_3ELb0ES6_jNS0_17counting_iteratorIjlEEPS9_SE_NS0_5tupleIJPjSE_EEENSF_IJSE_SE_EEES9_SG_JZNS1_25segmented_radix_sort_implINS0_14default_configELb1EPKlPlSM_SN_N2at6native12_GLOBAL__N_18offset_tEEE10hipError_tPvRmT1_PNSt15iterator_traitsISV_E10value_typeET2_T3_PNSW_IS11_E10value_typeET4_jRbjT5_S17_jjP12ihipStream_tbEUljE_EEESS_ST_SU_S11_S15_S17_T6_T7_T9_mT8_S19_bDpT10_ENKUlT_T0_E_clISt17integral_constantIbLb1EES1M_EEDaS1H_S1I_EUlS1H_E_NS1_11comp_targetILNS1_3genE2ELNS1_11target_archE906ELNS1_3gpuE6ELNS1_3repE0EEENS1_30default_config_static_selectorELNS0_4arch9wavefront6targetE0EEEvSV_.num_vgpr, 0
	.set _ZN7rocprim17ROCPRIM_400000_NS6detail17trampoline_kernelINS0_13select_configILj256ELj13ELNS0_17block_load_methodE3ELS4_3ELS4_3ELNS0_20block_scan_algorithmE0ELj4294967295EEENS1_25partition_config_selectorILNS1_17partition_subalgoE3EjNS0_10empty_typeEbEEZZNS1_14partition_implILS8_3ELb0ES6_jNS0_17counting_iteratorIjlEEPS9_SE_NS0_5tupleIJPjSE_EEENSF_IJSE_SE_EEES9_SG_JZNS1_25segmented_radix_sort_implINS0_14default_configELb1EPKlPlSM_SN_N2at6native12_GLOBAL__N_18offset_tEEE10hipError_tPvRmT1_PNSt15iterator_traitsISV_E10value_typeET2_T3_PNSW_IS11_E10value_typeET4_jRbjT5_S17_jjP12ihipStream_tbEUljE_EEESS_ST_SU_S11_S15_S17_T6_T7_T9_mT8_S19_bDpT10_ENKUlT_T0_E_clISt17integral_constantIbLb1EES1M_EEDaS1H_S1I_EUlS1H_E_NS1_11comp_targetILNS1_3genE2ELNS1_11target_archE906ELNS1_3gpuE6ELNS1_3repE0EEENS1_30default_config_static_selectorELNS0_4arch9wavefront6targetE0EEEvSV_.num_agpr, 0
	.set _ZN7rocprim17ROCPRIM_400000_NS6detail17trampoline_kernelINS0_13select_configILj256ELj13ELNS0_17block_load_methodE3ELS4_3ELS4_3ELNS0_20block_scan_algorithmE0ELj4294967295EEENS1_25partition_config_selectorILNS1_17partition_subalgoE3EjNS0_10empty_typeEbEEZZNS1_14partition_implILS8_3ELb0ES6_jNS0_17counting_iteratorIjlEEPS9_SE_NS0_5tupleIJPjSE_EEENSF_IJSE_SE_EEES9_SG_JZNS1_25segmented_radix_sort_implINS0_14default_configELb1EPKlPlSM_SN_N2at6native12_GLOBAL__N_18offset_tEEE10hipError_tPvRmT1_PNSt15iterator_traitsISV_E10value_typeET2_T3_PNSW_IS11_E10value_typeET4_jRbjT5_S17_jjP12ihipStream_tbEUljE_EEESS_ST_SU_S11_S15_S17_T6_T7_T9_mT8_S19_bDpT10_ENKUlT_T0_E_clISt17integral_constantIbLb1EES1M_EEDaS1H_S1I_EUlS1H_E_NS1_11comp_targetILNS1_3genE2ELNS1_11target_archE906ELNS1_3gpuE6ELNS1_3repE0EEENS1_30default_config_static_selectorELNS0_4arch9wavefront6targetE0EEEvSV_.numbered_sgpr, 0
	.set _ZN7rocprim17ROCPRIM_400000_NS6detail17trampoline_kernelINS0_13select_configILj256ELj13ELNS0_17block_load_methodE3ELS4_3ELS4_3ELNS0_20block_scan_algorithmE0ELj4294967295EEENS1_25partition_config_selectorILNS1_17partition_subalgoE3EjNS0_10empty_typeEbEEZZNS1_14partition_implILS8_3ELb0ES6_jNS0_17counting_iteratorIjlEEPS9_SE_NS0_5tupleIJPjSE_EEENSF_IJSE_SE_EEES9_SG_JZNS1_25segmented_radix_sort_implINS0_14default_configELb1EPKlPlSM_SN_N2at6native12_GLOBAL__N_18offset_tEEE10hipError_tPvRmT1_PNSt15iterator_traitsISV_E10value_typeET2_T3_PNSW_IS11_E10value_typeET4_jRbjT5_S17_jjP12ihipStream_tbEUljE_EEESS_ST_SU_S11_S15_S17_T6_T7_T9_mT8_S19_bDpT10_ENKUlT_T0_E_clISt17integral_constantIbLb1EES1M_EEDaS1H_S1I_EUlS1H_E_NS1_11comp_targetILNS1_3genE2ELNS1_11target_archE906ELNS1_3gpuE6ELNS1_3repE0EEENS1_30default_config_static_selectorELNS0_4arch9wavefront6targetE0EEEvSV_.num_named_barrier, 0
	.set _ZN7rocprim17ROCPRIM_400000_NS6detail17trampoline_kernelINS0_13select_configILj256ELj13ELNS0_17block_load_methodE3ELS4_3ELS4_3ELNS0_20block_scan_algorithmE0ELj4294967295EEENS1_25partition_config_selectorILNS1_17partition_subalgoE3EjNS0_10empty_typeEbEEZZNS1_14partition_implILS8_3ELb0ES6_jNS0_17counting_iteratorIjlEEPS9_SE_NS0_5tupleIJPjSE_EEENSF_IJSE_SE_EEES9_SG_JZNS1_25segmented_radix_sort_implINS0_14default_configELb1EPKlPlSM_SN_N2at6native12_GLOBAL__N_18offset_tEEE10hipError_tPvRmT1_PNSt15iterator_traitsISV_E10value_typeET2_T3_PNSW_IS11_E10value_typeET4_jRbjT5_S17_jjP12ihipStream_tbEUljE_EEESS_ST_SU_S11_S15_S17_T6_T7_T9_mT8_S19_bDpT10_ENKUlT_T0_E_clISt17integral_constantIbLb1EES1M_EEDaS1H_S1I_EUlS1H_E_NS1_11comp_targetILNS1_3genE2ELNS1_11target_archE906ELNS1_3gpuE6ELNS1_3repE0EEENS1_30default_config_static_selectorELNS0_4arch9wavefront6targetE0EEEvSV_.private_seg_size, 0
	.set _ZN7rocprim17ROCPRIM_400000_NS6detail17trampoline_kernelINS0_13select_configILj256ELj13ELNS0_17block_load_methodE3ELS4_3ELS4_3ELNS0_20block_scan_algorithmE0ELj4294967295EEENS1_25partition_config_selectorILNS1_17partition_subalgoE3EjNS0_10empty_typeEbEEZZNS1_14partition_implILS8_3ELb0ES6_jNS0_17counting_iteratorIjlEEPS9_SE_NS0_5tupleIJPjSE_EEENSF_IJSE_SE_EEES9_SG_JZNS1_25segmented_radix_sort_implINS0_14default_configELb1EPKlPlSM_SN_N2at6native12_GLOBAL__N_18offset_tEEE10hipError_tPvRmT1_PNSt15iterator_traitsISV_E10value_typeET2_T3_PNSW_IS11_E10value_typeET4_jRbjT5_S17_jjP12ihipStream_tbEUljE_EEESS_ST_SU_S11_S15_S17_T6_T7_T9_mT8_S19_bDpT10_ENKUlT_T0_E_clISt17integral_constantIbLb1EES1M_EEDaS1H_S1I_EUlS1H_E_NS1_11comp_targetILNS1_3genE2ELNS1_11target_archE906ELNS1_3gpuE6ELNS1_3repE0EEENS1_30default_config_static_selectorELNS0_4arch9wavefront6targetE0EEEvSV_.uses_vcc, 0
	.set _ZN7rocprim17ROCPRIM_400000_NS6detail17trampoline_kernelINS0_13select_configILj256ELj13ELNS0_17block_load_methodE3ELS4_3ELS4_3ELNS0_20block_scan_algorithmE0ELj4294967295EEENS1_25partition_config_selectorILNS1_17partition_subalgoE3EjNS0_10empty_typeEbEEZZNS1_14partition_implILS8_3ELb0ES6_jNS0_17counting_iteratorIjlEEPS9_SE_NS0_5tupleIJPjSE_EEENSF_IJSE_SE_EEES9_SG_JZNS1_25segmented_radix_sort_implINS0_14default_configELb1EPKlPlSM_SN_N2at6native12_GLOBAL__N_18offset_tEEE10hipError_tPvRmT1_PNSt15iterator_traitsISV_E10value_typeET2_T3_PNSW_IS11_E10value_typeET4_jRbjT5_S17_jjP12ihipStream_tbEUljE_EEESS_ST_SU_S11_S15_S17_T6_T7_T9_mT8_S19_bDpT10_ENKUlT_T0_E_clISt17integral_constantIbLb1EES1M_EEDaS1H_S1I_EUlS1H_E_NS1_11comp_targetILNS1_3genE2ELNS1_11target_archE906ELNS1_3gpuE6ELNS1_3repE0EEENS1_30default_config_static_selectorELNS0_4arch9wavefront6targetE0EEEvSV_.uses_flat_scratch, 0
	.set _ZN7rocprim17ROCPRIM_400000_NS6detail17trampoline_kernelINS0_13select_configILj256ELj13ELNS0_17block_load_methodE3ELS4_3ELS4_3ELNS0_20block_scan_algorithmE0ELj4294967295EEENS1_25partition_config_selectorILNS1_17partition_subalgoE3EjNS0_10empty_typeEbEEZZNS1_14partition_implILS8_3ELb0ES6_jNS0_17counting_iteratorIjlEEPS9_SE_NS0_5tupleIJPjSE_EEENSF_IJSE_SE_EEES9_SG_JZNS1_25segmented_radix_sort_implINS0_14default_configELb1EPKlPlSM_SN_N2at6native12_GLOBAL__N_18offset_tEEE10hipError_tPvRmT1_PNSt15iterator_traitsISV_E10value_typeET2_T3_PNSW_IS11_E10value_typeET4_jRbjT5_S17_jjP12ihipStream_tbEUljE_EEESS_ST_SU_S11_S15_S17_T6_T7_T9_mT8_S19_bDpT10_ENKUlT_T0_E_clISt17integral_constantIbLb1EES1M_EEDaS1H_S1I_EUlS1H_E_NS1_11comp_targetILNS1_3genE2ELNS1_11target_archE906ELNS1_3gpuE6ELNS1_3repE0EEENS1_30default_config_static_selectorELNS0_4arch9wavefront6targetE0EEEvSV_.has_dyn_sized_stack, 0
	.set _ZN7rocprim17ROCPRIM_400000_NS6detail17trampoline_kernelINS0_13select_configILj256ELj13ELNS0_17block_load_methodE3ELS4_3ELS4_3ELNS0_20block_scan_algorithmE0ELj4294967295EEENS1_25partition_config_selectorILNS1_17partition_subalgoE3EjNS0_10empty_typeEbEEZZNS1_14partition_implILS8_3ELb0ES6_jNS0_17counting_iteratorIjlEEPS9_SE_NS0_5tupleIJPjSE_EEENSF_IJSE_SE_EEES9_SG_JZNS1_25segmented_radix_sort_implINS0_14default_configELb1EPKlPlSM_SN_N2at6native12_GLOBAL__N_18offset_tEEE10hipError_tPvRmT1_PNSt15iterator_traitsISV_E10value_typeET2_T3_PNSW_IS11_E10value_typeET4_jRbjT5_S17_jjP12ihipStream_tbEUljE_EEESS_ST_SU_S11_S15_S17_T6_T7_T9_mT8_S19_bDpT10_ENKUlT_T0_E_clISt17integral_constantIbLb1EES1M_EEDaS1H_S1I_EUlS1H_E_NS1_11comp_targetILNS1_3genE2ELNS1_11target_archE906ELNS1_3gpuE6ELNS1_3repE0EEENS1_30default_config_static_selectorELNS0_4arch9wavefront6targetE0EEEvSV_.has_recursion, 0
	.set _ZN7rocprim17ROCPRIM_400000_NS6detail17trampoline_kernelINS0_13select_configILj256ELj13ELNS0_17block_load_methodE3ELS4_3ELS4_3ELNS0_20block_scan_algorithmE0ELj4294967295EEENS1_25partition_config_selectorILNS1_17partition_subalgoE3EjNS0_10empty_typeEbEEZZNS1_14partition_implILS8_3ELb0ES6_jNS0_17counting_iteratorIjlEEPS9_SE_NS0_5tupleIJPjSE_EEENSF_IJSE_SE_EEES9_SG_JZNS1_25segmented_radix_sort_implINS0_14default_configELb1EPKlPlSM_SN_N2at6native12_GLOBAL__N_18offset_tEEE10hipError_tPvRmT1_PNSt15iterator_traitsISV_E10value_typeET2_T3_PNSW_IS11_E10value_typeET4_jRbjT5_S17_jjP12ihipStream_tbEUljE_EEESS_ST_SU_S11_S15_S17_T6_T7_T9_mT8_S19_bDpT10_ENKUlT_T0_E_clISt17integral_constantIbLb1EES1M_EEDaS1H_S1I_EUlS1H_E_NS1_11comp_targetILNS1_3genE2ELNS1_11target_archE906ELNS1_3gpuE6ELNS1_3repE0EEENS1_30default_config_static_selectorELNS0_4arch9wavefront6targetE0EEEvSV_.has_indirect_call, 0
	.section	.AMDGPU.csdata,"",@progbits
; Kernel info:
; codeLenInByte = 0
; TotalNumSgprs: 0
; NumVgprs: 0
; ScratchSize: 0
; MemoryBound: 0
; FloatMode: 240
; IeeeMode: 1
; LDSByteSize: 0 bytes/workgroup (compile time only)
; SGPRBlocks: 0
; VGPRBlocks: 0
; NumSGPRsForWavesPerEU: 1
; NumVGPRsForWavesPerEU: 1
; Occupancy: 16
; WaveLimiterHint : 0
; COMPUTE_PGM_RSRC2:SCRATCH_EN: 0
; COMPUTE_PGM_RSRC2:USER_SGPR: 2
; COMPUTE_PGM_RSRC2:TRAP_HANDLER: 0
; COMPUTE_PGM_RSRC2:TGID_X_EN: 1
; COMPUTE_PGM_RSRC2:TGID_Y_EN: 0
; COMPUTE_PGM_RSRC2:TGID_Z_EN: 0
; COMPUTE_PGM_RSRC2:TIDIG_COMP_CNT: 0
	.section	.text._ZN7rocprim17ROCPRIM_400000_NS6detail17trampoline_kernelINS0_13select_configILj256ELj13ELNS0_17block_load_methodE3ELS4_3ELS4_3ELNS0_20block_scan_algorithmE0ELj4294967295EEENS1_25partition_config_selectorILNS1_17partition_subalgoE3EjNS0_10empty_typeEbEEZZNS1_14partition_implILS8_3ELb0ES6_jNS0_17counting_iteratorIjlEEPS9_SE_NS0_5tupleIJPjSE_EEENSF_IJSE_SE_EEES9_SG_JZNS1_25segmented_radix_sort_implINS0_14default_configELb1EPKlPlSM_SN_N2at6native12_GLOBAL__N_18offset_tEEE10hipError_tPvRmT1_PNSt15iterator_traitsISV_E10value_typeET2_T3_PNSW_IS11_E10value_typeET4_jRbjT5_S17_jjP12ihipStream_tbEUljE_EEESS_ST_SU_S11_S15_S17_T6_T7_T9_mT8_S19_bDpT10_ENKUlT_T0_E_clISt17integral_constantIbLb1EES1M_EEDaS1H_S1I_EUlS1H_E_NS1_11comp_targetILNS1_3genE10ELNS1_11target_archE1200ELNS1_3gpuE4ELNS1_3repE0EEENS1_30default_config_static_selectorELNS0_4arch9wavefront6targetE0EEEvSV_,"axG",@progbits,_ZN7rocprim17ROCPRIM_400000_NS6detail17trampoline_kernelINS0_13select_configILj256ELj13ELNS0_17block_load_methodE3ELS4_3ELS4_3ELNS0_20block_scan_algorithmE0ELj4294967295EEENS1_25partition_config_selectorILNS1_17partition_subalgoE3EjNS0_10empty_typeEbEEZZNS1_14partition_implILS8_3ELb0ES6_jNS0_17counting_iteratorIjlEEPS9_SE_NS0_5tupleIJPjSE_EEENSF_IJSE_SE_EEES9_SG_JZNS1_25segmented_radix_sort_implINS0_14default_configELb1EPKlPlSM_SN_N2at6native12_GLOBAL__N_18offset_tEEE10hipError_tPvRmT1_PNSt15iterator_traitsISV_E10value_typeET2_T3_PNSW_IS11_E10value_typeET4_jRbjT5_S17_jjP12ihipStream_tbEUljE_EEESS_ST_SU_S11_S15_S17_T6_T7_T9_mT8_S19_bDpT10_ENKUlT_T0_E_clISt17integral_constantIbLb1EES1M_EEDaS1H_S1I_EUlS1H_E_NS1_11comp_targetILNS1_3genE10ELNS1_11target_archE1200ELNS1_3gpuE4ELNS1_3repE0EEENS1_30default_config_static_selectorELNS0_4arch9wavefront6targetE0EEEvSV_,comdat
	.globl	_ZN7rocprim17ROCPRIM_400000_NS6detail17trampoline_kernelINS0_13select_configILj256ELj13ELNS0_17block_load_methodE3ELS4_3ELS4_3ELNS0_20block_scan_algorithmE0ELj4294967295EEENS1_25partition_config_selectorILNS1_17partition_subalgoE3EjNS0_10empty_typeEbEEZZNS1_14partition_implILS8_3ELb0ES6_jNS0_17counting_iteratorIjlEEPS9_SE_NS0_5tupleIJPjSE_EEENSF_IJSE_SE_EEES9_SG_JZNS1_25segmented_radix_sort_implINS0_14default_configELb1EPKlPlSM_SN_N2at6native12_GLOBAL__N_18offset_tEEE10hipError_tPvRmT1_PNSt15iterator_traitsISV_E10value_typeET2_T3_PNSW_IS11_E10value_typeET4_jRbjT5_S17_jjP12ihipStream_tbEUljE_EEESS_ST_SU_S11_S15_S17_T6_T7_T9_mT8_S19_bDpT10_ENKUlT_T0_E_clISt17integral_constantIbLb1EES1M_EEDaS1H_S1I_EUlS1H_E_NS1_11comp_targetILNS1_3genE10ELNS1_11target_archE1200ELNS1_3gpuE4ELNS1_3repE0EEENS1_30default_config_static_selectorELNS0_4arch9wavefront6targetE0EEEvSV_ ; -- Begin function _ZN7rocprim17ROCPRIM_400000_NS6detail17trampoline_kernelINS0_13select_configILj256ELj13ELNS0_17block_load_methodE3ELS4_3ELS4_3ELNS0_20block_scan_algorithmE0ELj4294967295EEENS1_25partition_config_selectorILNS1_17partition_subalgoE3EjNS0_10empty_typeEbEEZZNS1_14partition_implILS8_3ELb0ES6_jNS0_17counting_iteratorIjlEEPS9_SE_NS0_5tupleIJPjSE_EEENSF_IJSE_SE_EEES9_SG_JZNS1_25segmented_radix_sort_implINS0_14default_configELb1EPKlPlSM_SN_N2at6native12_GLOBAL__N_18offset_tEEE10hipError_tPvRmT1_PNSt15iterator_traitsISV_E10value_typeET2_T3_PNSW_IS11_E10value_typeET4_jRbjT5_S17_jjP12ihipStream_tbEUljE_EEESS_ST_SU_S11_S15_S17_T6_T7_T9_mT8_S19_bDpT10_ENKUlT_T0_E_clISt17integral_constantIbLb1EES1M_EEDaS1H_S1I_EUlS1H_E_NS1_11comp_targetILNS1_3genE10ELNS1_11target_archE1200ELNS1_3gpuE4ELNS1_3repE0EEENS1_30default_config_static_selectorELNS0_4arch9wavefront6targetE0EEEvSV_
	.p2align	8
	.type	_ZN7rocprim17ROCPRIM_400000_NS6detail17trampoline_kernelINS0_13select_configILj256ELj13ELNS0_17block_load_methodE3ELS4_3ELS4_3ELNS0_20block_scan_algorithmE0ELj4294967295EEENS1_25partition_config_selectorILNS1_17partition_subalgoE3EjNS0_10empty_typeEbEEZZNS1_14partition_implILS8_3ELb0ES6_jNS0_17counting_iteratorIjlEEPS9_SE_NS0_5tupleIJPjSE_EEENSF_IJSE_SE_EEES9_SG_JZNS1_25segmented_radix_sort_implINS0_14default_configELb1EPKlPlSM_SN_N2at6native12_GLOBAL__N_18offset_tEEE10hipError_tPvRmT1_PNSt15iterator_traitsISV_E10value_typeET2_T3_PNSW_IS11_E10value_typeET4_jRbjT5_S17_jjP12ihipStream_tbEUljE_EEESS_ST_SU_S11_S15_S17_T6_T7_T9_mT8_S19_bDpT10_ENKUlT_T0_E_clISt17integral_constantIbLb1EES1M_EEDaS1H_S1I_EUlS1H_E_NS1_11comp_targetILNS1_3genE10ELNS1_11target_archE1200ELNS1_3gpuE4ELNS1_3repE0EEENS1_30default_config_static_selectorELNS0_4arch9wavefront6targetE0EEEvSV_,@function
_ZN7rocprim17ROCPRIM_400000_NS6detail17trampoline_kernelINS0_13select_configILj256ELj13ELNS0_17block_load_methodE3ELS4_3ELS4_3ELNS0_20block_scan_algorithmE0ELj4294967295EEENS1_25partition_config_selectorILNS1_17partition_subalgoE3EjNS0_10empty_typeEbEEZZNS1_14partition_implILS8_3ELb0ES6_jNS0_17counting_iteratorIjlEEPS9_SE_NS0_5tupleIJPjSE_EEENSF_IJSE_SE_EEES9_SG_JZNS1_25segmented_radix_sort_implINS0_14default_configELb1EPKlPlSM_SN_N2at6native12_GLOBAL__N_18offset_tEEE10hipError_tPvRmT1_PNSt15iterator_traitsISV_E10value_typeET2_T3_PNSW_IS11_E10value_typeET4_jRbjT5_S17_jjP12ihipStream_tbEUljE_EEESS_ST_SU_S11_S15_S17_T6_T7_T9_mT8_S19_bDpT10_ENKUlT_T0_E_clISt17integral_constantIbLb1EES1M_EEDaS1H_S1I_EUlS1H_E_NS1_11comp_targetILNS1_3genE10ELNS1_11target_archE1200ELNS1_3gpuE4ELNS1_3repE0EEENS1_30default_config_static_selectorELNS0_4arch9wavefront6targetE0EEEvSV_: ; @_ZN7rocprim17ROCPRIM_400000_NS6detail17trampoline_kernelINS0_13select_configILj256ELj13ELNS0_17block_load_methodE3ELS4_3ELS4_3ELNS0_20block_scan_algorithmE0ELj4294967295EEENS1_25partition_config_selectorILNS1_17partition_subalgoE3EjNS0_10empty_typeEbEEZZNS1_14partition_implILS8_3ELb0ES6_jNS0_17counting_iteratorIjlEEPS9_SE_NS0_5tupleIJPjSE_EEENSF_IJSE_SE_EEES9_SG_JZNS1_25segmented_radix_sort_implINS0_14default_configELb1EPKlPlSM_SN_N2at6native12_GLOBAL__N_18offset_tEEE10hipError_tPvRmT1_PNSt15iterator_traitsISV_E10value_typeET2_T3_PNSW_IS11_E10value_typeET4_jRbjT5_S17_jjP12ihipStream_tbEUljE_EEESS_ST_SU_S11_S15_S17_T6_T7_T9_mT8_S19_bDpT10_ENKUlT_T0_E_clISt17integral_constantIbLb1EES1M_EEDaS1H_S1I_EUlS1H_E_NS1_11comp_targetILNS1_3genE10ELNS1_11target_archE1200ELNS1_3gpuE4ELNS1_3repE0EEENS1_30default_config_static_selectorELNS0_4arch9wavefront6targetE0EEEvSV_
; %bb.0:
	s_endpgm
	.section	.rodata,"a",@progbits
	.p2align	6, 0x0
	.amdhsa_kernel _ZN7rocprim17ROCPRIM_400000_NS6detail17trampoline_kernelINS0_13select_configILj256ELj13ELNS0_17block_load_methodE3ELS4_3ELS4_3ELNS0_20block_scan_algorithmE0ELj4294967295EEENS1_25partition_config_selectorILNS1_17partition_subalgoE3EjNS0_10empty_typeEbEEZZNS1_14partition_implILS8_3ELb0ES6_jNS0_17counting_iteratorIjlEEPS9_SE_NS0_5tupleIJPjSE_EEENSF_IJSE_SE_EEES9_SG_JZNS1_25segmented_radix_sort_implINS0_14default_configELb1EPKlPlSM_SN_N2at6native12_GLOBAL__N_18offset_tEEE10hipError_tPvRmT1_PNSt15iterator_traitsISV_E10value_typeET2_T3_PNSW_IS11_E10value_typeET4_jRbjT5_S17_jjP12ihipStream_tbEUljE_EEESS_ST_SU_S11_S15_S17_T6_T7_T9_mT8_S19_bDpT10_ENKUlT_T0_E_clISt17integral_constantIbLb1EES1M_EEDaS1H_S1I_EUlS1H_E_NS1_11comp_targetILNS1_3genE10ELNS1_11target_archE1200ELNS1_3gpuE4ELNS1_3repE0EEENS1_30default_config_static_selectorELNS0_4arch9wavefront6targetE0EEEvSV_
		.amdhsa_group_segment_fixed_size 0
		.amdhsa_private_segment_fixed_size 0
		.amdhsa_kernarg_size 152
		.amdhsa_user_sgpr_count 2
		.amdhsa_user_sgpr_dispatch_ptr 0
		.amdhsa_user_sgpr_queue_ptr 0
		.amdhsa_user_sgpr_kernarg_segment_ptr 1
		.amdhsa_user_sgpr_dispatch_id 0
		.amdhsa_user_sgpr_private_segment_size 0
		.amdhsa_wavefront_size32 1
		.amdhsa_uses_dynamic_stack 0
		.amdhsa_enable_private_segment 0
		.amdhsa_system_sgpr_workgroup_id_x 1
		.amdhsa_system_sgpr_workgroup_id_y 0
		.amdhsa_system_sgpr_workgroup_id_z 0
		.amdhsa_system_sgpr_workgroup_info 0
		.amdhsa_system_vgpr_workitem_id 0
		.amdhsa_next_free_vgpr 1
		.amdhsa_next_free_sgpr 1
		.amdhsa_reserve_vcc 0
		.amdhsa_float_round_mode_32 0
		.amdhsa_float_round_mode_16_64 0
		.amdhsa_float_denorm_mode_32 3
		.amdhsa_float_denorm_mode_16_64 3
		.amdhsa_fp16_overflow 0
		.amdhsa_workgroup_processor_mode 1
		.amdhsa_memory_ordered 1
		.amdhsa_forward_progress 1
		.amdhsa_inst_pref_size 1
		.amdhsa_round_robin_scheduling 0
		.amdhsa_exception_fp_ieee_invalid_op 0
		.amdhsa_exception_fp_denorm_src 0
		.amdhsa_exception_fp_ieee_div_zero 0
		.amdhsa_exception_fp_ieee_overflow 0
		.amdhsa_exception_fp_ieee_underflow 0
		.amdhsa_exception_fp_ieee_inexact 0
		.amdhsa_exception_int_div_zero 0
	.end_amdhsa_kernel
	.section	.text._ZN7rocprim17ROCPRIM_400000_NS6detail17trampoline_kernelINS0_13select_configILj256ELj13ELNS0_17block_load_methodE3ELS4_3ELS4_3ELNS0_20block_scan_algorithmE0ELj4294967295EEENS1_25partition_config_selectorILNS1_17partition_subalgoE3EjNS0_10empty_typeEbEEZZNS1_14partition_implILS8_3ELb0ES6_jNS0_17counting_iteratorIjlEEPS9_SE_NS0_5tupleIJPjSE_EEENSF_IJSE_SE_EEES9_SG_JZNS1_25segmented_radix_sort_implINS0_14default_configELb1EPKlPlSM_SN_N2at6native12_GLOBAL__N_18offset_tEEE10hipError_tPvRmT1_PNSt15iterator_traitsISV_E10value_typeET2_T3_PNSW_IS11_E10value_typeET4_jRbjT5_S17_jjP12ihipStream_tbEUljE_EEESS_ST_SU_S11_S15_S17_T6_T7_T9_mT8_S19_bDpT10_ENKUlT_T0_E_clISt17integral_constantIbLb1EES1M_EEDaS1H_S1I_EUlS1H_E_NS1_11comp_targetILNS1_3genE10ELNS1_11target_archE1200ELNS1_3gpuE4ELNS1_3repE0EEENS1_30default_config_static_selectorELNS0_4arch9wavefront6targetE0EEEvSV_,"axG",@progbits,_ZN7rocprim17ROCPRIM_400000_NS6detail17trampoline_kernelINS0_13select_configILj256ELj13ELNS0_17block_load_methodE3ELS4_3ELS4_3ELNS0_20block_scan_algorithmE0ELj4294967295EEENS1_25partition_config_selectorILNS1_17partition_subalgoE3EjNS0_10empty_typeEbEEZZNS1_14partition_implILS8_3ELb0ES6_jNS0_17counting_iteratorIjlEEPS9_SE_NS0_5tupleIJPjSE_EEENSF_IJSE_SE_EEES9_SG_JZNS1_25segmented_radix_sort_implINS0_14default_configELb1EPKlPlSM_SN_N2at6native12_GLOBAL__N_18offset_tEEE10hipError_tPvRmT1_PNSt15iterator_traitsISV_E10value_typeET2_T3_PNSW_IS11_E10value_typeET4_jRbjT5_S17_jjP12ihipStream_tbEUljE_EEESS_ST_SU_S11_S15_S17_T6_T7_T9_mT8_S19_bDpT10_ENKUlT_T0_E_clISt17integral_constantIbLb1EES1M_EEDaS1H_S1I_EUlS1H_E_NS1_11comp_targetILNS1_3genE10ELNS1_11target_archE1200ELNS1_3gpuE4ELNS1_3repE0EEENS1_30default_config_static_selectorELNS0_4arch9wavefront6targetE0EEEvSV_,comdat
.Lfunc_end685:
	.size	_ZN7rocprim17ROCPRIM_400000_NS6detail17trampoline_kernelINS0_13select_configILj256ELj13ELNS0_17block_load_methodE3ELS4_3ELS4_3ELNS0_20block_scan_algorithmE0ELj4294967295EEENS1_25partition_config_selectorILNS1_17partition_subalgoE3EjNS0_10empty_typeEbEEZZNS1_14partition_implILS8_3ELb0ES6_jNS0_17counting_iteratorIjlEEPS9_SE_NS0_5tupleIJPjSE_EEENSF_IJSE_SE_EEES9_SG_JZNS1_25segmented_radix_sort_implINS0_14default_configELb1EPKlPlSM_SN_N2at6native12_GLOBAL__N_18offset_tEEE10hipError_tPvRmT1_PNSt15iterator_traitsISV_E10value_typeET2_T3_PNSW_IS11_E10value_typeET4_jRbjT5_S17_jjP12ihipStream_tbEUljE_EEESS_ST_SU_S11_S15_S17_T6_T7_T9_mT8_S19_bDpT10_ENKUlT_T0_E_clISt17integral_constantIbLb1EES1M_EEDaS1H_S1I_EUlS1H_E_NS1_11comp_targetILNS1_3genE10ELNS1_11target_archE1200ELNS1_3gpuE4ELNS1_3repE0EEENS1_30default_config_static_selectorELNS0_4arch9wavefront6targetE0EEEvSV_, .Lfunc_end685-_ZN7rocprim17ROCPRIM_400000_NS6detail17trampoline_kernelINS0_13select_configILj256ELj13ELNS0_17block_load_methodE3ELS4_3ELS4_3ELNS0_20block_scan_algorithmE0ELj4294967295EEENS1_25partition_config_selectorILNS1_17partition_subalgoE3EjNS0_10empty_typeEbEEZZNS1_14partition_implILS8_3ELb0ES6_jNS0_17counting_iteratorIjlEEPS9_SE_NS0_5tupleIJPjSE_EEENSF_IJSE_SE_EEES9_SG_JZNS1_25segmented_radix_sort_implINS0_14default_configELb1EPKlPlSM_SN_N2at6native12_GLOBAL__N_18offset_tEEE10hipError_tPvRmT1_PNSt15iterator_traitsISV_E10value_typeET2_T3_PNSW_IS11_E10value_typeET4_jRbjT5_S17_jjP12ihipStream_tbEUljE_EEESS_ST_SU_S11_S15_S17_T6_T7_T9_mT8_S19_bDpT10_ENKUlT_T0_E_clISt17integral_constantIbLb1EES1M_EEDaS1H_S1I_EUlS1H_E_NS1_11comp_targetILNS1_3genE10ELNS1_11target_archE1200ELNS1_3gpuE4ELNS1_3repE0EEENS1_30default_config_static_selectorELNS0_4arch9wavefront6targetE0EEEvSV_
                                        ; -- End function
	.set _ZN7rocprim17ROCPRIM_400000_NS6detail17trampoline_kernelINS0_13select_configILj256ELj13ELNS0_17block_load_methodE3ELS4_3ELS4_3ELNS0_20block_scan_algorithmE0ELj4294967295EEENS1_25partition_config_selectorILNS1_17partition_subalgoE3EjNS0_10empty_typeEbEEZZNS1_14partition_implILS8_3ELb0ES6_jNS0_17counting_iteratorIjlEEPS9_SE_NS0_5tupleIJPjSE_EEENSF_IJSE_SE_EEES9_SG_JZNS1_25segmented_radix_sort_implINS0_14default_configELb1EPKlPlSM_SN_N2at6native12_GLOBAL__N_18offset_tEEE10hipError_tPvRmT1_PNSt15iterator_traitsISV_E10value_typeET2_T3_PNSW_IS11_E10value_typeET4_jRbjT5_S17_jjP12ihipStream_tbEUljE_EEESS_ST_SU_S11_S15_S17_T6_T7_T9_mT8_S19_bDpT10_ENKUlT_T0_E_clISt17integral_constantIbLb1EES1M_EEDaS1H_S1I_EUlS1H_E_NS1_11comp_targetILNS1_3genE10ELNS1_11target_archE1200ELNS1_3gpuE4ELNS1_3repE0EEENS1_30default_config_static_selectorELNS0_4arch9wavefront6targetE0EEEvSV_.num_vgpr, 0
	.set _ZN7rocprim17ROCPRIM_400000_NS6detail17trampoline_kernelINS0_13select_configILj256ELj13ELNS0_17block_load_methodE3ELS4_3ELS4_3ELNS0_20block_scan_algorithmE0ELj4294967295EEENS1_25partition_config_selectorILNS1_17partition_subalgoE3EjNS0_10empty_typeEbEEZZNS1_14partition_implILS8_3ELb0ES6_jNS0_17counting_iteratorIjlEEPS9_SE_NS0_5tupleIJPjSE_EEENSF_IJSE_SE_EEES9_SG_JZNS1_25segmented_radix_sort_implINS0_14default_configELb1EPKlPlSM_SN_N2at6native12_GLOBAL__N_18offset_tEEE10hipError_tPvRmT1_PNSt15iterator_traitsISV_E10value_typeET2_T3_PNSW_IS11_E10value_typeET4_jRbjT5_S17_jjP12ihipStream_tbEUljE_EEESS_ST_SU_S11_S15_S17_T6_T7_T9_mT8_S19_bDpT10_ENKUlT_T0_E_clISt17integral_constantIbLb1EES1M_EEDaS1H_S1I_EUlS1H_E_NS1_11comp_targetILNS1_3genE10ELNS1_11target_archE1200ELNS1_3gpuE4ELNS1_3repE0EEENS1_30default_config_static_selectorELNS0_4arch9wavefront6targetE0EEEvSV_.num_agpr, 0
	.set _ZN7rocprim17ROCPRIM_400000_NS6detail17trampoline_kernelINS0_13select_configILj256ELj13ELNS0_17block_load_methodE3ELS4_3ELS4_3ELNS0_20block_scan_algorithmE0ELj4294967295EEENS1_25partition_config_selectorILNS1_17partition_subalgoE3EjNS0_10empty_typeEbEEZZNS1_14partition_implILS8_3ELb0ES6_jNS0_17counting_iteratorIjlEEPS9_SE_NS0_5tupleIJPjSE_EEENSF_IJSE_SE_EEES9_SG_JZNS1_25segmented_radix_sort_implINS0_14default_configELb1EPKlPlSM_SN_N2at6native12_GLOBAL__N_18offset_tEEE10hipError_tPvRmT1_PNSt15iterator_traitsISV_E10value_typeET2_T3_PNSW_IS11_E10value_typeET4_jRbjT5_S17_jjP12ihipStream_tbEUljE_EEESS_ST_SU_S11_S15_S17_T6_T7_T9_mT8_S19_bDpT10_ENKUlT_T0_E_clISt17integral_constantIbLb1EES1M_EEDaS1H_S1I_EUlS1H_E_NS1_11comp_targetILNS1_3genE10ELNS1_11target_archE1200ELNS1_3gpuE4ELNS1_3repE0EEENS1_30default_config_static_selectorELNS0_4arch9wavefront6targetE0EEEvSV_.numbered_sgpr, 0
	.set _ZN7rocprim17ROCPRIM_400000_NS6detail17trampoline_kernelINS0_13select_configILj256ELj13ELNS0_17block_load_methodE3ELS4_3ELS4_3ELNS0_20block_scan_algorithmE0ELj4294967295EEENS1_25partition_config_selectorILNS1_17partition_subalgoE3EjNS0_10empty_typeEbEEZZNS1_14partition_implILS8_3ELb0ES6_jNS0_17counting_iteratorIjlEEPS9_SE_NS0_5tupleIJPjSE_EEENSF_IJSE_SE_EEES9_SG_JZNS1_25segmented_radix_sort_implINS0_14default_configELb1EPKlPlSM_SN_N2at6native12_GLOBAL__N_18offset_tEEE10hipError_tPvRmT1_PNSt15iterator_traitsISV_E10value_typeET2_T3_PNSW_IS11_E10value_typeET4_jRbjT5_S17_jjP12ihipStream_tbEUljE_EEESS_ST_SU_S11_S15_S17_T6_T7_T9_mT8_S19_bDpT10_ENKUlT_T0_E_clISt17integral_constantIbLb1EES1M_EEDaS1H_S1I_EUlS1H_E_NS1_11comp_targetILNS1_3genE10ELNS1_11target_archE1200ELNS1_3gpuE4ELNS1_3repE0EEENS1_30default_config_static_selectorELNS0_4arch9wavefront6targetE0EEEvSV_.num_named_barrier, 0
	.set _ZN7rocprim17ROCPRIM_400000_NS6detail17trampoline_kernelINS0_13select_configILj256ELj13ELNS0_17block_load_methodE3ELS4_3ELS4_3ELNS0_20block_scan_algorithmE0ELj4294967295EEENS1_25partition_config_selectorILNS1_17partition_subalgoE3EjNS0_10empty_typeEbEEZZNS1_14partition_implILS8_3ELb0ES6_jNS0_17counting_iteratorIjlEEPS9_SE_NS0_5tupleIJPjSE_EEENSF_IJSE_SE_EEES9_SG_JZNS1_25segmented_radix_sort_implINS0_14default_configELb1EPKlPlSM_SN_N2at6native12_GLOBAL__N_18offset_tEEE10hipError_tPvRmT1_PNSt15iterator_traitsISV_E10value_typeET2_T3_PNSW_IS11_E10value_typeET4_jRbjT5_S17_jjP12ihipStream_tbEUljE_EEESS_ST_SU_S11_S15_S17_T6_T7_T9_mT8_S19_bDpT10_ENKUlT_T0_E_clISt17integral_constantIbLb1EES1M_EEDaS1H_S1I_EUlS1H_E_NS1_11comp_targetILNS1_3genE10ELNS1_11target_archE1200ELNS1_3gpuE4ELNS1_3repE0EEENS1_30default_config_static_selectorELNS0_4arch9wavefront6targetE0EEEvSV_.private_seg_size, 0
	.set _ZN7rocprim17ROCPRIM_400000_NS6detail17trampoline_kernelINS0_13select_configILj256ELj13ELNS0_17block_load_methodE3ELS4_3ELS4_3ELNS0_20block_scan_algorithmE0ELj4294967295EEENS1_25partition_config_selectorILNS1_17partition_subalgoE3EjNS0_10empty_typeEbEEZZNS1_14partition_implILS8_3ELb0ES6_jNS0_17counting_iteratorIjlEEPS9_SE_NS0_5tupleIJPjSE_EEENSF_IJSE_SE_EEES9_SG_JZNS1_25segmented_radix_sort_implINS0_14default_configELb1EPKlPlSM_SN_N2at6native12_GLOBAL__N_18offset_tEEE10hipError_tPvRmT1_PNSt15iterator_traitsISV_E10value_typeET2_T3_PNSW_IS11_E10value_typeET4_jRbjT5_S17_jjP12ihipStream_tbEUljE_EEESS_ST_SU_S11_S15_S17_T6_T7_T9_mT8_S19_bDpT10_ENKUlT_T0_E_clISt17integral_constantIbLb1EES1M_EEDaS1H_S1I_EUlS1H_E_NS1_11comp_targetILNS1_3genE10ELNS1_11target_archE1200ELNS1_3gpuE4ELNS1_3repE0EEENS1_30default_config_static_selectorELNS0_4arch9wavefront6targetE0EEEvSV_.uses_vcc, 0
	.set _ZN7rocprim17ROCPRIM_400000_NS6detail17trampoline_kernelINS0_13select_configILj256ELj13ELNS0_17block_load_methodE3ELS4_3ELS4_3ELNS0_20block_scan_algorithmE0ELj4294967295EEENS1_25partition_config_selectorILNS1_17partition_subalgoE3EjNS0_10empty_typeEbEEZZNS1_14partition_implILS8_3ELb0ES6_jNS0_17counting_iteratorIjlEEPS9_SE_NS0_5tupleIJPjSE_EEENSF_IJSE_SE_EEES9_SG_JZNS1_25segmented_radix_sort_implINS0_14default_configELb1EPKlPlSM_SN_N2at6native12_GLOBAL__N_18offset_tEEE10hipError_tPvRmT1_PNSt15iterator_traitsISV_E10value_typeET2_T3_PNSW_IS11_E10value_typeET4_jRbjT5_S17_jjP12ihipStream_tbEUljE_EEESS_ST_SU_S11_S15_S17_T6_T7_T9_mT8_S19_bDpT10_ENKUlT_T0_E_clISt17integral_constantIbLb1EES1M_EEDaS1H_S1I_EUlS1H_E_NS1_11comp_targetILNS1_3genE10ELNS1_11target_archE1200ELNS1_3gpuE4ELNS1_3repE0EEENS1_30default_config_static_selectorELNS0_4arch9wavefront6targetE0EEEvSV_.uses_flat_scratch, 0
	.set _ZN7rocprim17ROCPRIM_400000_NS6detail17trampoline_kernelINS0_13select_configILj256ELj13ELNS0_17block_load_methodE3ELS4_3ELS4_3ELNS0_20block_scan_algorithmE0ELj4294967295EEENS1_25partition_config_selectorILNS1_17partition_subalgoE3EjNS0_10empty_typeEbEEZZNS1_14partition_implILS8_3ELb0ES6_jNS0_17counting_iteratorIjlEEPS9_SE_NS0_5tupleIJPjSE_EEENSF_IJSE_SE_EEES9_SG_JZNS1_25segmented_radix_sort_implINS0_14default_configELb1EPKlPlSM_SN_N2at6native12_GLOBAL__N_18offset_tEEE10hipError_tPvRmT1_PNSt15iterator_traitsISV_E10value_typeET2_T3_PNSW_IS11_E10value_typeET4_jRbjT5_S17_jjP12ihipStream_tbEUljE_EEESS_ST_SU_S11_S15_S17_T6_T7_T9_mT8_S19_bDpT10_ENKUlT_T0_E_clISt17integral_constantIbLb1EES1M_EEDaS1H_S1I_EUlS1H_E_NS1_11comp_targetILNS1_3genE10ELNS1_11target_archE1200ELNS1_3gpuE4ELNS1_3repE0EEENS1_30default_config_static_selectorELNS0_4arch9wavefront6targetE0EEEvSV_.has_dyn_sized_stack, 0
	.set _ZN7rocprim17ROCPRIM_400000_NS6detail17trampoline_kernelINS0_13select_configILj256ELj13ELNS0_17block_load_methodE3ELS4_3ELS4_3ELNS0_20block_scan_algorithmE0ELj4294967295EEENS1_25partition_config_selectorILNS1_17partition_subalgoE3EjNS0_10empty_typeEbEEZZNS1_14partition_implILS8_3ELb0ES6_jNS0_17counting_iteratorIjlEEPS9_SE_NS0_5tupleIJPjSE_EEENSF_IJSE_SE_EEES9_SG_JZNS1_25segmented_radix_sort_implINS0_14default_configELb1EPKlPlSM_SN_N2at6native12_GLOBAL__N_18offset_tEEE10hipError_tPvRmT1_PNSt15iterator_traitsISV_E10value_typeET2_T3_PNSW_IS11_E10value_typeET4_jRbjT5_S17_jjP12ihipStream_tbEUljE_EEESS_ST_SU_S11_S15_S17_T6_T7_T9_mT8_S19_bDpT10_ENKUlT_T0_E_clISt17integral_constantIbLb1EES1M_EEDaS1H_S1I_EUlS1H_E_NS1_11comp_targetILNS1_3genE10ELNS1_11target_archE1200ELNS1_3gpuE4ELNS1_3repE0EEENS1_30default_config_static_selectorELNS0_4arch9wavefront6targetE0EEEvSV_.has_recursion, 0
	.set _ZN7rocprim17ROCPRIM_400000_NS6detail17trampoline_kernelINS0_13select_configILj256ELj13ELNS0_17block_load_methodE3ELS4_3ELS4_3ELNS0_20block_scan_algorithmE0ELj4294967295EEENS1_25partition_config_selectorILNS1_17partition_subalgoE3EjNS0_10empty_typeEbEEZZNS1_14partition_implILS8_3ELb0ES6_jNS0_17counting_iteratorIjlEEPS9_SE_NS0_5tupleIJPjSE_EEENSF_IJSE_SE_EEES9_SG_JZNS1_25segmented_radix_sort_implINS0_14default_configELb1EPKlPlSM_SN_N2at6native12_GLOBAL__N_18offset_tEEE10hipError_tPvRmT1_PNSt15iterator_traitsISV_E10value_typeET2_T3_PNSW_IS11_E10value_typeET4_jRbjT5_S17_jjP12ihipStream_tbEUljE_EEESS_ST_SU_S11_S15_S17_T6_T7_T9_mT8_S19_bDpT10_ENKUlT_T0_E_clISt17integral_constantIbLb1EES1M_EEDaS1H_S1I_EUlS1H_E_NS1_11comp_targetILNS1_3genE10ELNS1_11target_archE1200ELNS1_3gpuE4ELNS1_3repE0EEENS1_30default_config_static_selectorELNS0_4arch9wavefront6targetE0EEEvSV_.has_indirect_call, 0
	.section	.AMDGPU.csdata,"",@progbits
; Kernel info:
; codeLenInByte = 4
; TotalNumSgprs: 0
; NumVgprs: 0
; ScratchSize: 0
; MemoryBound: 0
; FloatMode: 240
; IeeeMode: 1
; LDSByteSize: 0 bytes/workgroup (compile time only)
; SGPRBlocks: 0
; VGPRBlocks: 0
; NumSGPRsForWavesPerEU: 1
; NumVGPRsForWavesPerEU: 1
; Occupancy: 16
; WaveLimiterHint : 0
; COMPUTE_PGM_RSRC2:SCRATCH_EN: 0
; COMPUTE_PGM_RSRC2:USER_SGPR: 2
; COMPUTE_PGM_RSRC2:TRAP_HANDLER: 0
; COMPUTE_PGM_RSRC2:TGID_X_EN: 1
; COMPUTE_PGM_RSRC2:TGID_Y_EN: 0
; COMPUTE_PGM_RSRC2:TGID_Z_EN: 0
; COMPUTE_PGM_RSRC2:TIDIG_COMP_CNT: 0
	.section	.text._ZN7rocprim17ROCPRIM_400000_NS6detail17trampoline_kernelINS0_13select_configILj256ELj13ELNS0_17block_load_methodE3ELS4_3ELS4_3ELNS0_20block_scan_algorithmE0ELj4294967295EEENS1_25partition_config_selectorILNS1_17partition_subalgoE3EjNS0_10empty_typeEbEEZZNS1_14partition_implILS8_3ELb0ES6_jNS0_17counting_iteratorIjlEEPS9_SE_NS0_5tupleIJPjSE_EEENSF_IJSE_SE_EEES9_SG_JZNS1_25segmented_radix_sort_implINS0_14default_configELb1EPKlPlSM_SN_N2at6native12_GLOBAL__N_18offset_tEEE10hipError_tPvRmT1_PNSt15iterator_traitsISV_E10value_typeET2_T3_PNSW_IS11_E10value_typeET4_jRbjT5_S17_jjP12ihipStream_tbEUljE_EEESS_ST_SU_S11_S15_S17_T6_T7_T9_mT8_S19_bDpT10_ENKUlT_T0_E_clISt17integral_constantIbLb1EES1M_EEDaS1H_S1I_EUlS1H_E_NS1_11comp_targetILNS1_3genE9ELNS1_11target_archE1100ELNS1_3gpuE3ELNS1_3repE0EEENS1_30default_config_static_selectorELNS0_4arch9wavefront6targetE0EEEvSV_,"axG",@progbits,_ZN7rocprim17ROCPRIM_400000_NS6detail17trampoline_kernelINS0_13select_configILj256ELj13ELNS0_17block_load_methodE3ELS4_3ELS4_3ELNS0_20block_scan_algorithmE0ELj4294967295EEENS1_25partition_config_selectorILNS1_17partition_subalgoE3EjNS0_10empty_typeEbEEZZNS1_14partition_implILS8_3ELb0ES6_jNS0_17counting_iteratorIjlEEPS9_SE_NS0_5tupleIJPjSE_EEENSF_IJSE_SE_EEES9_SG_JZNS1_25segmented_radix_sort_implINS0_14default_configELb1EPKlPlSM_SN_N2at6native12_GLOBAL__N_18offset_tEEE10hipError_tPvRmT1_PNSt15iterator_traitsISV_E10value_typeET2_T3_PNSW_IS11_E10value_typeET4_jRbjT5_S17_jjP12ihipStream_tbEUljE_EEESS_ST_SU_S11_S15_S17_T6_T7_T9_mT8_S19_bDpT10_ENKUlT_T0_E_clISt17integral_constantIbLb1EES1M_EEDaS1H_S1I_EUlS1H_E_NS1_11comp_targetILNS1_3genE9ELNS1_11target_archE1100ELNS1_3gpuE3ELNS1_3repE0EEENS1_30default_config_static_selectorELNS0_4arch9wavefront6targetE0EEEvSV_,comdat
	.globl	_ZN7rocprim17ROCPRIM_400000_NS6detail17trampoline_kernelINS0_13select_configILj256ELj13ELNS0_17block_load_methodE3ELS4_3ELS4_3ELNS0_20block_scan_algorithmE0ELj4294967295EEENS1_25partition_config_selectorILNS1_17partition_subalgoE3EjNS0_10empty_typeEbEEZZNS1_14partition_implILS8_3ELb0ES6_jNS0_17counting_iteratorIjlEEPS9_SE_NS0_5tupleIJPjSE_EEENSF_IJSE_SE_EEES9_SG_JZNS1_25segmented_radix_sort_implINS0_14default_configELb1EPKlPlSM_SN_N2at6native12_GLOBAL__N_18offset_tEEE10hipError_tPvRmT1_PNSt15iterator_traitsISV_E10value_typeET2_T3_PNSW_IS11_E10value_typeET4_jRbjT5_S17_jjP12ihipStream_tbEUljE_EEESS_ST_SU_S11_S15_S17_T6_T7_T9_mT8_S19_bDpT10_ENKUlT_T0_E_clISt17integral_constantIbLb1EES1M_EEDaS1H_S1I_EUlS1H_E_NS1_11comp_targetILNS1_3genE9ELNS1_11target_archE1100ELNS1_3gpuE3ELNS1_3repE0EEENS1_30default_config_static_selectorELNS0_4arch9wavefront6targetE0EEEvSV_ ; -- Begin function _ZN7rocprim17ROCPRIM_400000_NS6detail17trampoline_kernelINS0_13select_configILj256ELj13ELNS0_17block_load_methodE3ELS4_3ELS4_3ELNS0_20block_scan_algorithmE0ELj4294967295EEENS1_25partition_config_selectorILNS1_17partition_subalgoE3EjNS0_10empty_typeEbEEZZNS1_14partition_implILS8_3ELb0ES6_jNS0_17counting_iteratorIjlEEPS9_SE_NS0_5tupleIJPjSE_EEENSF_IJSE_SE_EEES9_SG_JZNS1_25segmented_radix_sort_implINS0_14default_configELb1EPKlPlSM_SN_N2at6native12_GLOBAL__N_18offset_tEEE10hipError_tPvRmT1_PNSt15iterator_traitsISV_E10value_typeET2_T3_PNSW_IS11_E10value_typeET4_jRbjT5_S17_jjP12ihipStream_tbEUljE_EEESS_ST_SU_S11_S15_S17_T6_T7_T9_mT8_S19_bDpT10_ENKUlT_T0_E_clISt17integral_constantIbLb1EES1M_EEDaS1H_S1I_EUlS1H_E_NS1_11comp_targetILNS1_3genE9ELNS1_11target_archE1100ELNS1_3gpuE3ELNS1_3repE0EEENS1_30default_config_static_selectorELNS0_4arch9wavefront6targetE0EEEvSV_
	.p2align	8
	.type	_ZN7rocprim17ROCPRIM_400000_NS6detail17trampoline_kernelINS0_13select_configILj256ELj13ELNS0_17block_load_methodE3ELS4_3ELS4_3ELNS0_20block_scan_algorithmE0ELj4294967295EEENS1_25partition_config_selectorILNS1_17partition_subalgoE3EjNS0_10empty_typeEbEEZZNS1_14partition_implILS8_3ELb0ES6_jNS0_17counting_iteratorIjlEEPS9_SE_NS0_5tupleIJPjSE_EEENSF_IJSE_SE_EEES9_SG_JZNS1_25segmented_radix_sort_implINS0_14default_configELb1EPKlPlSM_SN_N2at6native12_GLOBAL__N_18offset_tEEE10hipError_tPvRmT1_PNSt15iterator_traitsISV_E10value_typeET2_T3_PNSW_IS11_E10value_typeET4_jRbjT5_S17_jjP12ihipStream_tbEUljE_EEESS_ST_SU_S11_S15_S17_T6_T7_T9_mT8_S19_bDpT10_ENKUlT_T0_E_clISt17integral_constantIbLb1EES1M_EEDaS1H_S1I_EUlS1H_E_NS1_11comp_targetILNS1_3genE9ELNS1_11target_archE1100ELNS1_3gpuE3ELNS1_3repE0EEENS1_30default_config_static_selectorELNS0_4arch9wavefront6targetE0EEEvSV_,@function
_ZN7rocprim17ROCPRIM_400000_NS6detail17trampoline_kernelINS0_13select_configILj256ELj13ELNS0_17block_load_methodE3ELS4_3ELS4_3ELNS0_20block_scan_algorithmE0ELj4294967295EEENS1_25partition_config_selectorILNS1_17partition_subalgoE3EjNS0_10empty_typeEbEEZZNS1_14partition_implILS8_3ELb0ES6_jNS0_17counting_iteratorIjlEEPS9_SE_NS0_5tupleIJPjSE_EEENSF_IJSE_SE_EEES9_SG_JZNS1_25segmented_radix_sort_implINS0_14default_configELb1EPKlPlSM_SN_N2at6native12_GLOBAL__N_18offset_tEEE10hipError_tPvRmT1_PNSt15iterator_traitsISV_E10value_typeET2_T3_PNSW_IS11_E10value_typeET4_jRbjT5_S17_jjP12ihipStream_tbEUljE_EEESS_ST_SU_S11_S15_S17_T6_T7_T9_mT8_S19_bDpT10_ENKUlT_T0_E_clISt17integral_constantIbLb1EES1M_EEDaS1H_S1I_EUlS1H_E_NS1_11comp_targetILNS1_3genE9ELNS1_11target_archE1100ELNS1_3gpuE3ELNS1_3repE0EEENS1_30default_config_static_selectorELNS0_4arch9wavefront6targetE0EEEvSV_: ; @_ZN7rocprim17ROCPRIM_400000_NS6detail17trampoline_kernelINS0_13select_configILj256ELj13ELNS0_17block_load_methodE3ELS4_3ELS4_3ELNS0_20block_scan_algorithmE0ELj4294967295EEENS1_25partition_config_selectorILNS1_17partition_subalgoE3EjNS0_10empty_typeEbEEZZNS1_14partition_implILS8_3ELb0ES6_jNS0_17counting_iteratorIjlEEPS9_SE_NS0_5tupleIJPjSE_EEENSF_IJSE_SE_EEES9_SG_JZNS1_25segmented_radix_sort_implINS0_14default_configELb1EPKlPlSM_SN_N2at6native12_GLOBAL__N_18offset_tEEE10hipError_tPvRmT1_PNSt15iterator_traitsISV_E10value_typeET2_T3_PNSW_IS11_E10value_typeET4_jRbjT5_S17_jjP12ihipStream_tbEUljE_EEESS_ST_SU_S11_S15_S17_T6_T7_T9_mT8_S19_bDpT10_ENKUlT_T0_E_clISt17integral_constantIbLb1EES1M_EEDaS1H_S1I_EUlS1H_E_NS1_11comp_targetILNS1_3genE9ELNS1_11target_archE1100ELNS1_3gpuE3ELNS1_3repE0EEENS1_30default_config_static_selectorELNS0_4arch9wavefront6targetE0EEEvSV_
; %bb.0:
	.section	.rodata,"a",@progbits
	.p2align	6, 0x0
	.amdhsa_kernel _ZN7rocprim17ROCPRIM_400000_NS6detail17trampoline_kernelINS0_13select_configILj256ELj13ELNS0_17block_load_methodE3ELS4_3ELS4_3ELNS0_20block_scan_algorithmE0ELj4294967295EEENS1_25partition_config_selectorILNS1_17partition_subalgoE3EjNS0_10empty_typeEbEEZZNS1_14partition_implILS8_3ELb0ES6_jNS0_17counting_iteratorIjlEEPS9_SE_NS0_5tupleIJPjSE_EEENSF_IJSE_SE_EEES9_SG_JZNS1_25segmented_radix_sort_implINS0_14default_configELb1EPKlPlSM_SN_N2at6native12_GLOBAL__N_18offset_tEEE10hipError_tPvRmT1_PNSt15iterator_traitsISV_E10value_typeET2_T3_PNSW_IS11_E10value_typeET4_jRbjT5_S17_jjP12ihipStream_tbEUljE_EEESS_ST_SU_S11_S15_S17_T6_T7_T9_mT8_S19_bDpT10_ENKUlT_T0_E_clISt17integral_constantIbLb1EES1M_EEDaS1H_S1I_EUlS1H_E_NS1_11comp_targetILNS1_3genE9ELNS1_11target_archE1100ELNS1_3gpuE3ELNS1_3repE0EEENS1_30default_config_static_selectorELNS0_4arch9wavefront6targetE0EEEvSV_
		.amdhsa_group_segment_fixed_size 0
		.amdhsa_private_segment_fixed_size 0
		.amdhsa_kernarg_size 152
		.amdhsa_user_sgpr_count 2
		.amdhsa_user_sgpr_dispatch_ptr 0
		.amdhsa_user_sgpr_queue_ptr 0
		.amdhsa_user_sgpr_kernarg_segment_ptr 1
		.amdhsa_user_sgpr_dispatch_id 0
		.amdhsa_user_sgpr_private_segment_size 0
		.amdhsa_wavefront_size32 1
		.amdhsa_uses_dynamic_stack 0
		.amdhsa_enable_private_segment 0
		.amdhsa_system_sgpr_workgroup_id_x 1
		.amdhsa_system_sgpr_workgroup_id_y 0
		.amdhsa_system_sgpr_workgroup_id_z 0
		.amdhsa_system_sgpr_workgroup_info 0
		.amdhsa_system_vgpr_workitem_id 0
		.amdhsa_next_free_vgpr 1
		.amdhsa_next_free_sgpr 1
		.amdhsa_reserve_vcc 0
		.amdhsa_float_round_mode_32 0
		.amdhsa_float_round_mode_16_64 0
		.amdhsa_float_denorm_mode_32 3
		.amdhsa_float_denorm_mode_16_64 3
		.amdhsa_fp16_overflow 0
		.amdhsa_workgroup_processor_mode 1
		.amdhsa_memory_ordered 1
		.amdhsa_forward_progress 1
		.amdhsa_inst_pref_size 0
		.amdhsa_round_robin_scheduling 0
		.amdhsa_exception_fp_ieee_invalid_op 0
		.amdhsa_exception_fp_denorm_src 0
		.amdhsa_exception_fp_ieee_div_zero 0
		.amdhsa_exception_fp_ieee_overflow 0
		.amdhsa_exception_fp_ieee_underflow 0
		.amdhsa_exception_fp_ieee_inexact 0
		.amdhsa_exception_int_div_zero 0
	.end_amdhsa_kernel
	.section	.text._ZN7rocprim17ROCPRIM_400000_NS6detail17trampoline_kernelINS0_13select_configILj256ELj13ELNS0_17block_load_methodE3ELS4_3ELS4_3ELNS0_20block_scan_algorithmE0ELj4294967295EEENS1_25partition_config_selectorILNS1_17partition_subalgoE3EjNS0_10empty_typeEbEEZZNS1_14partition_implILS8_3ELb0ES6_jNS0_17counting_iteratorIjlEEPS9_SE_NS0_5tupleIJPjSE_EEENSF_IJSE_SE_EEES9_SG_JZNS1_25segmented_radix_sort_implINS0_14default_configELb1EPKlPlSM_SN_N2at6native12_GLOBAL__N_18offset_tEEE10hipError_tPvRmT1_PNSt15iterator_traitsISV_E10value_typeET2_T3_PNSW_IS11_E10value_typeET4_jRbjT5_S17_jjP12ihipStream_tbEUljE_EEESS_ST_SU_S11_S15_S17_T6_T7_T9_mT8_S19_bDpT10_ENKUlT_T0_E_clISt17integral_constantIbLb1EES1M_EEDaS1H_S1I_EUlS1H_E_NS1_11comp_targetILNS1_3genE9ELNS1_11target_archE1100ELNS1_3gpuE3ELNS1_3repE0EEENS1_30default_config_static_selectorELNS0_4arch9wavefront6targetE0EEEvSV_,"axG",@progbits,_ZN7rocprim17ROCPRIM_400000_NS6detail17trampoline_kernelINS0_13select_configILj256ELj13ELNS0_17block_load_methodE3ELS4_3ELS4_3ELNS0_20block_scan_algorithmE0ELj4294967295EEENS1_25partition_config_selectorILNS1_17partition_subalgoE3EjNS0_10empty_typeEbEEZZNS1_14partition_implILS8_3ELb0ES6_jNS0_17counting_iteratorIjlEEPS9_SE_NS0_5tupleIJPjSE_EEENSF_IJSE_SE_EEES9_SG_JZNS1_25segmented_radix_sort_implINS0_14default_configELb1EPKlPlSM_SN_N2at6native12_GLOBAL__N_18offset_tEEE10hipError_tPvRmT1_PNSt15iterator_traitsISV_E10value_typeET2_T3_PNSW_IS11_E10value_typeET4_jRbjT5_S17_jjP12ihipStream_tbEUljE_EEESS_ST_SU_S11_S15_S17_T6_T7_T9_mT8_S19_bDpT10_ENKUlT_T0_E_clISt17integral_constantIbLb1EES1M_EEDaS1H_S1I_EUlS1H_E_NS1_11comp_targetILNS1_3genE9ELNS1_11target_archE1100ELNS1_3gpuE3ELNS1_3repE0EEENS1_30default_config_static_selectorELNS0_4arch9wavefront6targetE0EEEvSV_,comdat
.Lfunc_end686:
	.size	_ZN7rocprim17ROCPRIM_400000_NS6detail17trampoline_kernelINS0_13select_configILj256ELj13ELNS0_17block_load_methodE3ELS4_3ELS4_3ELNS0_20block_scan_algorithmE0ELj4294967295EEENS1_25partition_config_selectorILNS1_17partition_subalgoE3EjNS0_10empty_typeEbEEZZNS1_14partition_implILS8_3ELb0ES6_jNS0_17counting_iteratorIjlEEPS9_SE_NS0_5tupleIJPjSE_EEENSF_IJSE_SE_EEES9_SG_JZNS1_25segmented_radix_sort_implINS0_14default_configELb1EPKlPlSM_SN_N2at6native12_GLOBAL__N_18offset_tEEE10hipError_tPvRmT1_PNSt15iterator_traitsISV_E10value_typeET2_T3_PNSW_IS11_E10value_typeET4_jRbjT5_S17_jjP12ihipStream_tbEUljE_EEESS_ST_SU_S11_S15_S17_T6_T7_T9_mT8_S19_bDpT10_ENKUlT_T0_E_clISt17integral_constantIbLb1EES1M_EEDaS1H_S1I_EUlS1H_E_NS1_11comp_targetILNS1_3genE9ELNS1_11target_archE1100ELNS1_3gpuE3ELNS1_3repE0EEENS1_30default_config_static_selectorELNS0_4arch9wavefront6targetE0EEEvSV_, .Lfunc_end686-_ZN7rocprim17ROCPRIM_400000_NS6detail17trampoline_kernelINS0_13select_configILj256ELj13ELNS0_17block_load_methodE3ELS4_3ELS4_3ELNS0_20block_scan_algorithmE0ELj4294967295EEENS1_25partition_config_selectorILNS1_17partition_subalgoE3EjNS0_10empty_typeEbEEZZNS1_14partition_implILS8_3ELb0ES6_jNS0_17counting_iteratorIjlEEPS9_SE_NS0_5tupleIJPjSE_EEENSF_IJSE_SE_EEES9_SG_JZNS1_25segmented_radix_sort_implINS0_14default_configELb1EPKlPlSM_SN_N2at6native12_GLOBAL__N_18offset_tEEE10hipError_tPvRmT1_PNSt15iterator_traitsISV_E10value_typeET2_T3_PNSW_IS11_E10value_typeET4_jRbjT5_S17_jjP12ihipStream_tbEUljE_EEESS_ST_SU_S11_S15_S17_T6_T7_T9_mT8_S19_bDpT10_ENKUlT_T0_E_clISt17integral_constantIbLb1EES1M_EEDaS1H_S1I_EUlS1H_E_NS1_11comp_targetILNS1_3genE9ELNS1_11target_archE1100ELNS1_3gpuE3ELNS1_3repE0EEENS1_30default_config_static_selectorELNS0_4arch9wavefront6targetE0EEEvSV_
                                        ; -- End function
	.set _ZN7rocprim17ROCPRIM_400000_NS6detail17trampoline_kernelINS0_13select_configILj256ELj13ELNS0_17block_load_methodE3ELS4_3ELS4_3ELNS0_20block_scan_algorithmE0ELj4294967295EEENS1_25partition_config_selectorILNS1_17partition_subalgoE3EjNS0_10empty_typeEbEEZZNS1_14partition_implILS8_3ELb0ES6_jNS0_17counting_iteratorIjlEEPS9_SE_NS0_5tupleIJPjSE_EEENSF_IJSE_SE_EEES9_SG_JZNS1_25segmented_radix_sort_implINS0_14default_configELb1EPKlPlSM_SN_N2at6native12_GLOBAL__N_18offset_tEEE10hipError_tPvRmT1_PNSt15iterator_traitsISV_E10value_typeET2_T3_PNSW_IS11_E10value_typeET4_jRbjT5_S17_jjP12ihipStream_tbEUljE_EEESS_ST_SU_S11_S15_S17_T6_T7_T9_mT8_S19_bDpT10_ENKUlT_T0_E_clISt17integral_constantIbLb1EES1M_EEDaS1H_S1I_EUlS1H_E_NS1_11comp_targetILNS1_3genE9ELNS1_11target_archE1100ELNS1_3gpuE3ELNS1_3repE0EEENS1_30default_config_static_selectorELNS0_4arch9wavefront6targetE0EEEvSV_.num_vgpr, 0
	.set _ZN7rocprim17ROCPRIM_400000_NS6detail17trampoline_kernelINS0_13select_configILj256ELj13ELNS0_17block_load_methodE3ELS4_3ELS4_3ELNS0_20block_scan_algorithmE0ELj4294967295EEENS1_25partition_config_selectorILNS1_17partition_subalgoE3EjNS0_10empty_typeEbEEZZNS1_14partition_implILS8_3ELb0ES6_jNS0_17counting_iteratorIjlEEPS9_SE_NS0_5tupleIJPjSE_EEENSF_IJSE_SE_EEES9_SG_JZNS1_25segmented_radix_sort_implINS0_14default_configELb1EPKlPlSM_SN_N2at6native12_GLOBAL__N_18offset_tEEE10hipError_tPvRmT1_PNSt15iterator_traitsISV_E10value_typeET2_T3_PNSW_IS11_E10value_typeET4_jRbjT5_S17_jjP12ihipStream_tbEUljE_EEESS_ST_SU_S11_S15_S17_T6_T7_T9_mT8_S19_bDpT10_ENKUlT_T0_E_clISt17integral_constantIbLb1EES1M_EEDaS1H_S1I_EUlS1H_E_NS1_11comp_targetILNS1_3genE9ELNS1_11target_archE1100ELNS1_3gpuE3ELNS1_3repE0EEENS1_30default_config_static_selectorELNS0_4arch9wavefront6targetE0EEEvSV_.num_agpr, 0
	.set _ZN7rocprim17ROCPRIM_400000_NS6detail17trampoline_kernelINS0_13select_configILj256ELj13ELNS0_17block_load_methodE3ELS4_3ELS4_3ELNS0_20block_scan_algorithmE0ELj4294967295EEENS1_25partition_config_selectorILNS1_17partition_subalgoE3EjNS0_10empty_typeEbEEZZNS1_14partition_implILS8_3ELb0ES6_jNS0_17counting_iteratorIjlEEPS9_SE_NS0_5tupleIJPjSE_EEENSF_IJSE_SE_EEES9_SG_JZNS1_25segmented_radix_sort_implINS0_14default_configELb1EPKlPlSM_SN_N2at6native12_GLOBAL__N_18offset_tEEE10hipError_tPvRmT1_PNSt15iterator_traitsISV_E10value_typeET2_T3_PNSW_IS11_E10value_typeET4_jRbjT5_S17_jjP12ihipStream_tbEUljE_EEESS_ST_SU_S11_S15_S17_T6_T7_T9_mT8_S19_bDpT10_ENKUlT_T0_E_clISt17integral_constantIbLb1EES1M_EEDaS1H_S1I_EUlS1H_E_NS1_11comp_targetILNS1_3genE9ELNS1_11target_archE1100ELNS1_3gpuE3ELNS1_3repE0EEENS1_30default_config_static_selectorELNS0_4arch9wavefront6targetE0EEEvSV_.numbered_sgpr, 0
	.set _ZN7rocprim17ROCPRIM_400000_NS6detail17trampoline_kernelINS0_13select_configILj256ELj13ELNS0_17block_load_methodE3ELS4_3ELS4_3ELNS0_20block_scan_algorithmE0ELj4294967295EEENS1_25partition_config_selectorILNS1_17partition_subalgoE3EjNS0_10empty_typeEbEEZZNS1_14partition_implILS8_3ELb0ES6_jNS0_17counting_iteratorIjlEEPS9_SE_NS0_5tupleIJPjSE_EEENSF_IJSE_SE_EEES9_SG_JZNS1_25segmented_radix_sort_implINS0_14default_configELb1EPKlPlSM_SN_N2at6native12_GLOBAL__N_18offset_tEEE10hipError_tPvRmT1_PNSt15iterator_traitsISV_E10value_typeET2_T3_PNSW_IS11_E10value_typeET4_jRbjT5_S17_jjP12ihipStream_tbEUljE_EEESS_ST_SU_S11_S15_S17_T6_T7_T9_mT8_S19_bDpT10_ENKUlT_T0_E_clISt17integral_constantIbLb1EES1M_EEDaS1H_S1I_EUlS1H_E_NS1_11comp_targetILNS1_3genE9ELNS1_11target_archE1100ELNS1_3gpuE3ELNS1_3repE0EEENS1_30default_config_static_selectorELNS0_4arch9wavefront6targetE0EEEvSV_.num_named_barrier, 0
	.set _ZN7rocprim17ROCPRIM_400000_NS6detail17trampoline_kernelINS0_13select_configILj256ELj13ELNS0_17block_load_methodE3ELS4_3ELS4_3ELNS0_20block_scan_algorithmE0ELj4294967295EEENS1_25partition_config_selectorILNS1_17partition_subalgoE3EjNS0_10empty_typeEbEEZZNS1_14partition_implILS8_3ELb0ES6_jNS0_17counting_iteratorIjlEEPS9_SE_NS0_5tupleIJPjSE_EEENSF_IJSE_SE_EEES9_SG_JZNS1_25segmented_radix_sort_implINS0_14default_configELb1EPKlPlSM_SN_N2at6native12_GLOBAL__N_18offset_tEEE10hipError_tPvRmT1_PNSt15iterator_traitsISV_E10value_typeET2_T3_PNSW_IS11_E10value_typeET4_jRbjT5_S17_jjP12ihipStream_tbEUljE_EEESS_ST_SU_S11_S15_S17_T6_T7_T9_mT8_S19_bDpT10_ENKUlT_T0_E_clISt17integral_constantIbLb1EES1M_EEDaS1H_S1I_EUlS1H_E_NS1_11comp_targetILNS1_3genE9ELNS1_11target_archE1100ELNS1_3gpuE3ELNS1_3repE0EEENS1_30default_config_static_selectorELNS0_4arch9wavefront6targetE0EEEvSV_.private_seg_size, 0
	.set _ZN7rocprim17ROCPRIM_400000_NS6detail17trampoline_kernelINS0_13select_configILj256ELj13ELNS0_17block_load_methodE3ELS4_3ELS4_3ELNS0_20block_scan_algorithmE0ELj4294967295EEENS1_25partition_config_selectorILNS1_17partition_subalgoE3EjNS0_10empty_typeEbEEZZNS1_14partition_implILS8_3ELb0ES6_jNS0_17counting_iteratorIjlEEPS9_SE_NS0_5tupleIJPjSE_EEENSF_IJSE_SE_EEES9_SG_JZNS1_25segmented_radix_sort_implINS0_14default_configELb1EPKlPlSM_SN_N2at6native12_GLOBAL__N_18offset_tEEE10hipError_tPvRmT1_PNSt15iterator_traitsISV_E10value_typeET2_T3_PNSW_IS11_E10value_typeET4_jRbjT5_S17_jjP12ihipStream_tbEUljE_EEESS_ST_SU_S11_S15_S17_T6_T7_T9_mT8_S19_bDpT10_ENKUlT_T0_E_clISt17integral_constantIbLb1EES1M_EEDaS1H_S1I_EUlS1H_E_NS1_11comp_targetILNS1_3genE9ELNS1_11target_archE1100ELNS1_3gpuE3ELNS1_3repE0EEENS1_30default_config_static_selectorELNS0_4arch9wavefront6targetE0EEEvSV_.uses_vcc, 0
	.set _ZN7rocprim17ROCPRIM_400000_NS6detail17trampoline_kernelINS0_13select_configILj256ELj13ELNS0_17block_load_methodE3ELS4_3ELS4_3ELNS0_20block_scan_algorithmE0ELj4294967295EEENS1_25partition_config_selectorILNS1_17partition_subalgoE3EjNS0_10empty_typeEbEEZZNS1_14partition_implILS8_3ELb0ES6_jNS0_17counting_iteratorIjlEEPS9_SE_NS0_5tupleIJPjSE_EEENSF_IJSE_SE_EEES9_SG_JZNS1_25segmented_radix_sort_implINS0_14default_configELb1EPKlPlSM_SN_N2at6native12_GLOBAL__N_18offset_tEEE10hipError_tPvRmT1_PNSt15iterator_traitsISV_E10value_typeET2_T3_PNSW_IS11_E10value_typeET4_jRbjT5_S17_jjP12ihipStream_tbEUljE_EEESS_ST_SU_S11_S15_S17_T6_T7_T9_mT8_S19_bDpT10_ENKUlT_T0_E_clISt17integral_constantIbLb1EES1M_EEDaS1H_S1I_EUlS1H_E_NS1_11comp_targetILNS1_3genE9ELNS1_11target_archE1100ELNS1_3gpuE3ELNS1_3repE0EEENS1_30default_config_static_selectorELNS0_4arch9wavefront6targetE0EEEvSV_.uses_flat_scratch, 0
	.set _ZN7rocprim17ROCPRIM_400000_NS6detail17trampoline_kernelINS0_13select_configILj256ELj13ELNS0_17block_load_methodE3ELS4_3ELS4_3ELNS0_20block_scan_algorithmE0ELj4294967295EEENS1_25partition_config_selectorILNS1_17partition_subalgoE3EjNS0_10empty_typeEbEEZZNS1_14partition_implILS8_3ELb0ES6_jNS0_17counting_iteratorIjlEEPS9_SE_NS0_5tupleIJPjSE_EEENSF_IJSE_SE_EEES9_SG_JZNS1_25segmented_radix_sort_implINS0_14default_configELb1EPKlPlSM_SN_N2at6native12_GLOBAL__N_18offset_tEEE10hipError_tPvRmT1_PNSt15iterator_traitsISV_E10value_typeET2_T3_PNSW_IS11_E10value_typeET4_jRbjT5_S17_jjP12ihipStream_tbEUljE_EEESS_ST_SU_S11_S15_S17_T6_T7_T9_mT8_S19_bDpT10_ENKUlT_T0_E_clISt17integral_constantIbLb1EES1M_EEDaS1H_S1I_EUlS1H_E_NS1_11comp_targetILNS1_3genE9ELNS1_11target_archE1100ELNS1_3gpuE3ELNS1_3repE0EEENS1_30default_config_static_selectorELNS0_4arch9wavefront6targetE0EEEvSV_.has_dyn_sized_stack, 0
	.set _ZN7rocprim17ROCPRIM_400000_NS6detail17trampoline_kernelINS0_13select_configILj256ELj13ELNS0_17block_load_methodE3ELS4_3ELS4_3ELNS0_20block_scan_algorithmE0ELj4294967295EEENS1_25partition_config_selectorILNS1_17partition_subalgoE3EjNS0_10empty_typeEbEEZZNS1_14partition_implILS8_3ELb0ES6_jNS0_17counting_iteratorIjlEEPS9_SE_NS0_5tupleIJPjSE_EEENSF_IJSE_SE_EEES9_SG_JZNS1_25segmented_radix_sort_implINS0_14default_configELb1EPKlPlSM_SN_N2at6native12_GLOBAL__N_18offset_tEEE10hipError_tPvRmT1_PNSt15iterator_traitsISV_E10value_typeET2_T3_PNSW_IS11_E10value_typeET4_jRbjT5_S17_jjP12ihipStream_tbEUljE_EEESS_ST_SU_S11_S15_S17_T6_T7_T9_mT8_S19_bDpT10_ENKUlT_T0_E_clISt17integral_constantIbLb1EES1M_EEDaS1H_S1I_EUlS1H_E_NS1_11comp_targetILNS1_3genE9ELNS1_11target_archE1100ELNS1_3gpuE3ELNS1_3repE0EEENS1_30default_config_static_selectorELNS0_4arch9wavefront6targetE0EEEvSV_.has_recursion, 0
	.set _ZN7rocprim17ROCPRIM_400000_NS6detail17trampoline_kernelINS0_13select_configILj256ELj13ELNS0_17block_load_methodE3ELS4_3ELS4_3ELNS0_20block_scan_algorithmE0ELj4294967295EEENS1_25partition_config_selectorILNS1_17partition_subalgoE3EjNS0_10empty_typeEbEEZZNS1_14partition_implILS8_3ELb0ES6_jNS0_17counting_iteratorIjlEEPS9_SE_NS0_5tupleIJPjSE_EEENSF_IJSE_SE_EEES9_SG_JZNS1_25segmented_radix_sort_implINS0_14default_configELb1EPKlPlSM_SN_N2at6native12_GLOBAL__N_18offset_tEEE10hipError_tPvRmT1_PNSt15iterator_traitsISV_E10value_typeET2_T3_PNSW_IS11_E10value_typeET4_jRbjT5_S17_jjP12ihipStream_tbEUljE_EEESS_ST_SU_S11_S15_S17_T6_T7_T9_mT8_S19_bDpT10_ENKUlT_T0_E_clISt17integral_constantIbLb1EES1M_EEDaS1H_S1I_EUlS1H_E_NS1_11comp_targetILNS1_3genE9ELNS1_11target_archE1100ELNS1_3gpuE3ELNS1_3repE0EEENS1_30default_config_static_selectorELNS0_4arch9wavefront6targetE0EEEvSV_.has_indirect_call, 0
	.section	.AMDGPU.csdata,"",@progbits
; Kernel info:
; codeLenInByte = 0
; TotalNumSgprs: 0
; NumVgprs: 0
; ScratchSize: 0
; MemoryBound: 0
; FloatMode: 240
; IeeeMode: 1
; LDSByteSize: 0 bytes/workgroup (compile time only)
; SGPRBlocks: 0
; VGPRBlocks: 0
; NumSGPRsForWavesPerEU: 1
; NumVGPRsForWavesPerEU: 1
; Occupancy: 16
; WaveLimiterHint : 0
; COMPUTE_PGM_RSRC2:SCRATCH_EN: 0
; COMPUTE_PGM_RSRC2:USER_SGPR: 2
; COMPUTE_PGM_RSRC2:TRAP_HANDLER: 0
; COMPUTE_PGM_RSRC2:TGID_X_EN: 1
; COMPUTE_PGM_RSRC2:TGID_Y_EN: 0
; COMPUTE_PGM_RSRC2:TGID_Z_EN: 0
; COMPUTE_PGM_RSRC2:TIDIG_COMP_CNT: 0
	.section	.text._ZN7rocprim17ROCPRIM_400000_NS6detail17trampoline_kernelINS0_13select_configILj256ELj13ELNS0_17block_load_methodE3ELS4_3ELS4_3ELNS0_20block_scan_algorithmE0ELj4294967295EEENS1_25partition_config_selectorILNS1_17partition_subalgoE3EjNS0_10empty_typeEbEEZZNS1_14partition_implILS8_3ELb0ES6_jNS0_17counting_iteratorIjlEEPS9_SE_NS0_5tupleIJPjSE_EEENSF_IJSE_SE_EEES9_SG_JZNS1_25segmented_radix_sort_implINS0_14default_configELb1EPKlPlSM_SN_N2at6native12_GLOBAL__N_18offset_tEEE10hipError_tPvRmT1_PNSt15iterator_traitsISV_E10value_typeET2_T3_PNSW_IS11_E10value_typeET4_jRbjT5_S17_jjP12ihipStream_tbEUljE_EEESS_ST_SU_S11_S15_S17_T6_T7_T9_mT8_S19_bDpT10_ENKUlT_T0_E_clISt17integral_constantIbLb1EES1M_EEDaS1H_S1I_EUlS1H_E_NS1_11comp_targetILNS1_3genE8ELNS1_11target_archE1030ELNS1_3gpuE2ELNS1_3repE0EEENS1_30default_config_static_selectorELNS0_4arch9wavefront6targetE0EEEvSV_,"axG",@progbits,_ZN7rocprim17ROCPRIM_400000_NS6detail17trampoline_kernelINS0_13select_configILj256ELj13ELNS0_17block_load_methodE3ELS4_3ELS4_3ELNS0_20block_scan_algorithmE0ELj4294967295EEENS1_25partition_config_selectorILNS1_17partition_subalgoE3EjNS0_10empty_typeEbEEZZNS1_14partition_implILS8_3ELb0ES6_jNS0_17counting_iteratorIjlEEPS9_SE_NS0_5tupleIJPjSE_EEENSF_IJSE_SE_EEES9_SG_JZNS1_25segmented_radix_sort_implINS0_14default_configELb1EPKlPlSM_SN_N2at6native12_GLOBAL__N_18offset_tEEE10hipError_tPvRmT1_PNSt15iterator_traitsISV_E10value_typeET2_T3_PNSW_IS11_E10value_typeET4_jRbjT5_S17_jjP12ihipStream_tbEUljE_EEESS_ST_SU_S11_S15_S17_T6_T7_T9_mT8_S19_bDpT10_ENKUlT_T0_E_clISt17integral_constantIbLb1EES1M_EEDaS1H_S1I_EUlS1H_E_NS1_11comp_targetILNS1_3genE8ELNS1_11target_archE1030ELNS1_3gpuE2ELNS1_3repE0EEENS1_30default_config_static_selectorELNS0_4arch9wavefront6targetE0EEEvSV_,comdat
	.globl	_ZN7rocprim17ROCPRIM_400000_NS6detail17trampoline_kernelINS0_13select_configILj256ELj13ELNS0_17block_load_methodE3ELS4_3ELS4_3ELNS0_20block_scan_algorithmE0ELj4294967295EEENS1_25partition_config_selectorILNS1_17partition_subalgoE3EjNS0_10empty_typeEbEEZZNS1_14partition_implILS8_3ELb0ES6_jNS0_17counting_iteratorIjlEEPS9_SE_NS0_5tupleIJPjSE_EEENSF_IJSE_SE_EEES9_SG_JZNS1_25segmented_radix_sort_implINS0_14default_configELb1EPKlPlSM_SN_N2at6native12_GLOBAL__N_18offset_tEEE10hipError_tPvRmT1_PNSt15iterator_traitsISV_E10value_typeET2_T3_PNSW_IS11_E10value_typeET4_jRbjT5_S17_jjP12ihipStream_tbEUljE_EEESS_ST_SU_S11_S15_S17_T6_T7_T9_mT8_S19_bDpT10_ENKUlT_T0_E_clISt17integral_constantIbLb1EES1M_EEDaS1H_S1I_EUlS1H_E_NS1_11comp_targetILNS1_3genE8ELNS1_11target_archE1030ELNS1_3gpuE2ELNS1_3repE0EEENS1_30default_config_static_selectorELNS0_4arch9wavefront6targetE0EEEvSV_ ; -- Begin function _ZN7rocprim17ROCPRIM_400000_NS6detail17trampoline_kernelINS0_13select_configILj256ELj13ELNS0_17block_load_methodE3ELS4_3ELS4_3ELNS0_20block_scan_algorithmE0ELj4294967295EEENS1_25partition_config_selectorILNS1_17partition_subalgoE3EjNS0_10empty_typeEbEEZZNS1_14partition_implILS8_3ELb0ES6_jNS0_17counting_iteratorIjlEEPS9_SE_NS0_5tupleIJPjSE_EEENSF_IJSE_SE_EEES9_SG_JZNS1_25segmented_radix_sort_implINS0_14default_configELb1EPKlPlSM_SN_N2at6native12_GLOBAL__N_18offset_tEEE10hipError_tPvRmT1_PNSt15iterator_traitsISV_E10value_typeET2_T3_PNSW_IS11_E10value_typeET4_jRbjT5_S17_jjP12ihipStream_tbEUljE_EEESS_ST_SU_S11_S15_S17_T6_T7_T9_mT8_S19_bDpT10_ENKUlT_T0_E_clISt17integral_constantIbLb1EES1M_EEDaS1H_S1I_EUlS1H_E_NS1_11comp_targetILNS1_3genE8ELNS1_11target_archE1030ELNS1_3gpuE2ELNS1_3repE0EEENS1_30default_config_static_selectorELNS0_4arch9wavefront6targetE0EEEvSV_
	.p2align	8
	.type	_ZN7rocprim17ROCPRIM_400000_NS6detail17trampoline_kernelINS0_13select_configILj256ELj13ELNS0_17block_load_methodE3ELS4_3ELS4_3ELNS0_20block_scan_algorithmE0ELj4294967295EEENS1_25partition_config_selectorILNS1_17partition_subalgoE3EjNS0_10empty_typeEbEEZZNS1_14partition_implILS8_3ELb0ES6_jNS0_17counting_iteratorIjlEEPS9_SE_NS0_5tupleIJPjSE_EEENSF_IJSE_SE_EEES9_SG_JZNS1_25segmented_radix_sort_implINS0_14default_configELb1EPKlPlSM_SN_N2at6native12_GLOBAL__N_18offset_tEEE10hipError_tPvRmT1_PNSt15iterator_traitsISV_E10value_typeET2_T3_PNSW_IS11_E10value_typeET4_jRbjT5_S17_jjP12ihipStream_tbEUljE_EEESS_ST_SU_S11_S15_S17_T6_T7_T9_mT8_S19_bDpT10_ENKUlT_T0_E_clISt17integral_constantIbLb1EES1M_EEDaS1H_S1I_EUlS1H_E_NS1_11comp_targetILNS1_3genE8ELNS1_11target_archE1030ELNS1_3gpuE2ELNS1_3repE0EEENS1_30default_config_static_selectorELNS0_4arch9wavefront6targetE0EEEvSV_,@function
_ZN7rocprim17ROCPRIM_400000_NS6detail17trampoline_kernelINS0_13select_configILj256ELj13ELNS0_17block_load_methodE3ELS4_3ELS4_3ELNS0_20block_scan_algorithmE0ELj4294967295EEENS1_25partition_config_selectorILNS1_17partition_subalgoE3EjNS0_10empty_typeEbEEZZNS1_14partition_implILS8_3ELb0ES6_jNS0_17counting_iteratorIjlEEPS9_SE_NS0_5tupleIJPjSE_EEENSF_IJSE_SE_EEES9_SG_JZNS1_25segmented_radix_sort_implINS0_14default_configELb1EPKlPlSM_SN_N2at6native12_GLOBAL__N_18offset_tEEE10hipError_tPvRmT1_PNSt15iterator_traitsISV_E10value_typeET2_T3_PNSW_IS11_E10value_typeET4_jRbjT5_S17_jjP12ihipStream_tbEUljE_EEESS_ST_SU_S11_S15_S17_T6_T7_T9_mT8_S19_bDpT10_ENKUlT_T0_E_clISt17integral_constantIbLb1EES1M_EEDaS1H_S1I_EUlS1H_E_NS1_11comp_targetILNS1_3genE8ELNS1_11target_archE1030ELNS1_3gpuE2ELNS1_3repE0EEENS1_30default_config_static_selectorELNS0_4arch9wavefront6targetE0EEEvSV_: ; @_ZN7rocprim17ROCPRIM_400000_NS6detail17trampoline_kernelINS0_13select_configILj256ELj13ELNS0_17block_load_methodE3ELS4_3ELS4_3ELNS0_20block_scan_algorithmE0ELj4294967295EEENS1_25partition_config_selectorILNS1_17partition_subalgoE3EjNS0_10empty_typeEbEEZZNS1_14partition_implILS8_3ELb0ES6_jNS0_17counting_iteratorIjlEEPS9_SE_NS0_5tupleIJPjSE_EEENSF_IJSE_SE_EEES9_SG_JZNS1_25segmented_radix_sort_implINS0_14default_configELb1EPKlPlSM_SN_N2at6native12_GLOBAL__N_18offset_tEEE10hipError_tPvRmT1_PNSt15iterator_traitsISV_E10value_typeET2_T3_PNSW_IS11_E10value_typeET4_jRbjT5_S17_jjP12ihipStream_tbEUljE_EEESS_ST_SU_S11_S15_S17_T6_T7_T9_mT8_S19_bDpT10_ENKUlT_T0_E_clISt17integral_constantIbLb1EES1M_EEDaS1H_S1I_EUlS1H_E_NS1_11comp_targetILNS1_3genE8ELNS1_11target_archE1030ELNS1_3gpuE2ELNS1_3repE0EEENS1_30default_config_static_selectorELNS0_4arch9wavefront6targetE0EEEvSV_
; %bb.0:
	.section	.rodata,"a",@progbits
	.p2align	6, 0x0
	.amdhsa_kernel _ZN7rocprim17ROCPRIM_400000_NS6detail17trampoline_kernelINS0_13select_configILj256ELj13ELNS0_17block_load_methodE3ELS4_3ELS4_3ELNS0_20block_scan_algorithmE0ELj4294967295EEENS1_25partition_config_selectorILNS1_17partition_subalgoE3EjNS0_10empty_typeEbEEZZNS1_14partition_implILS8_3ELb0ES6_jNS0_17counting_iteratorIjlEEPS9_SE_NS0_5tupleIJPjSE_EEENSF_IJSE_SE_EEES9_SG_JZNS1_25segmented_radix_sort_implINS0_14default_configELb1EPKlPlSM_SN_N2at6native12_GLOBAL__N_18offset_tEEE10hipError_tPvRmT1_PNSt15iterator_traitsISV_E10value_typeET2_T3_PNSW_IS11_E10value_typeET4_jRbjT5_S17_jjP12ihipStream_tbEUljE_EEESS_ST_SU_S11_S15_S17_T6_T7_T9_mT8_S19_bDpT10_ENKUlT_T0_E_clISt17integral_constantIbLb1EES1M_EEDaS1H_S1I_EUlS1H_E_NS1_11comp_targetILNS1_3genE8ELNS1_11target_archE1030ELNS1_3gpuE2ELNS1_3repE0EEENS1_30default_config_static_selectorELNS0_4arch9wavefront6targetE0EEEvSV_
		.amdhsa_group_segment_fixed_size 0
		.amdhsa_private_segment_fixed_size 0
		.amdhsa_kernarg_size 152
		.amdhsa_user_sgpr_count 2
		.amdhsa_user_sgpr_dispatch_ptr 0
		.amdhsa_user_sgpr_queue_ptr 0
		.amdhsa_user_sgpr_kernarg_segment_ptr 1
		.amdhsa_user_sgpr_dispatch_id 0
		.amdhsa_user_sgpr_private_segment_size 0
		.amdhsa_wavefront_size32 1
		.amdhsa_uses_dynamic_stack 0
		.amdhsa_enable_private_segment 0
		.amdhsa_system_sgpr_workgroup_id_x 1
		.amdhsa_system_sgpr_workgroup_id_y 0
		.amdhsa_system_sgpr_workgroup_id_z 0
		.amdhsa_system_sgpr_workgroup_info 0
		.amdhsa_system_vgpr_workitem_id 0
		.amdhsa_next_free_vgpr 1
		.amdhsa_next_free_sgpr 1
		.amdhsa_reserve_vcc 0
		.amdhsa_float_round_mode_32 0
		.amdhsa_float_round_mode_16_64 0
		.amdhsa_float_denorm_mode_32 3
		.amdhsa_float_denorm_mode_16_64 3
		.amdhsa_fp16_overflow 0
		.amdhsa_workgroup_processor_mode 1
		.amdhsa_memory_ordered 1
		.amdhsa_forward_progress 1
		.amdhsa_inst_pref_size 0
		.amdhsa_round_robin_scheduling 0
		.amdhsa_exception_fp_ieee_invalid_op 0
		.amdhsa_exception_fp_denorm_src 0
		.amdhsa_exception_fp_ieee_div_zero 0
		.amdhsa_exception_fp_ieee_overflow 0
		.amdhsa_exception_fp_ieee_underflow 0
		.amdhsa_exception_fp_ieee_inexact 0
		.amdhsa_exception_int_div_zero 0
	.end_amdhsa_kernel
	.section	.text._ZN7rocprim17ROCPRIM_400000_NS6detail17trampoline_kernelINS0_13select_configILj256ELj13ELNS0_17block_load_methodE3ELS4_3ELS4_3ELNS0_20block_scan_algorithmE0ELj4294967295EEENS1_25partition_config_selectorILNS1_17partition_subalgoE3EjNS0_10empty_typeEbEEZZNS1_14partition_implILS8_3ELb0ES6_jNS0_17counting_iteratorIjlEEPS9_SE_NS0_5tupleIJPjSE_EEENSF_IJSE_SE_EEES9_SG_JZNS1_25segmented_radix_sort_implINS0_14default_configELb1EPKlPlSM_SN_N2at6native12_GLOBAL__N_18offset_tEEE10hipError_tPvRmT1_PNSt15iterator_traitsISV_E10value_typeET2_T3_PNSW_IS11_E10value_typeET4_jRbjT5_S17_jjP12ihipStream_tbEUljE_EEESS_ST_SU_S11_S15_S17_T6_T7_T9_mT8_S19_bDpT10_ENKUlT_T0_E_clISt17integral_constantIbLb1EES1M_EEDaS1H_S1I_EUlS1H_E_NS1_11comp_targetILNS1_3genE8ELNS1_11target_archE1030ELNS1_3gpuE2ELNS1_3repE0EEENS1_30default_config_static_selectorELNS0_4arch9wavefront6targetE0EEEvSV_,"axG",@progbits,_ZN7rocprim17ROCPRIM_400000_NS6detail17trampoline_kernelINS0_13select_configILj256ELj13ELNS0_17block_load_methodE3ELS4_3ELS4_3ELNS0_20block_scan_algorithmE0ELj4294967295EEENS1_25partition_config_selectorILNS1_17partition_subalgoE3EjNS0_10empty_typeEbEEZZNS1_14partition_implILS8_3ELb0ES6_jNS0_17counting_iteratorIjlEEPS9_SE_NS0_5tupleIJPjSE_EEENSF_IJSE_SE_EEES9_SG_JZNS1_25segmented_radix_sort_implINS0_14default_configELb1EPKlPlSM_SN_N2at6native12_GLOBAL__N_18offset_tEEE10hipError_tPvRmT1_PNSt15iterator_traitsISV_E10value_typeET2_T3_PNSW_IS11_E10value_typeET4_jRbjT5_S17_jjP12ihipStream_tbEUljE_EEESS_ST_SU_S11_S15_S17_T6_T7_T9_mT8_S19_bDpT10_ENKUlT_T0_E_clISt17integral_constantIbLb1EES1M_EEDaS1H_S1I_EUlS1H_E_NS1_11comp_targetILNS1_3genE8ELNS1_11target_archE1030ELNS1_3gpuE2ELNS1_3repE0EEENS1_30default_config_static_selectorELNS0_4arch9wavefront6targetE0EEEvSV_,comdat
.Lfunc_end687:
	.size	_ZN7rocprim17ROCPRIM_400000_NS6detail17trampoline_kernelINS0_13select_configILj256ELj13ELNS0_17block_load_methodE3ELS4_3ELS4_3ELNS0_20block_scan_algorithmE0ELj4294967295EEENS1_25partition_config_selectorILNS1_17partition_subalgoE3EjNS0_10empty_typeEbEEZZNS1_14partition_implILS8_3ELb0ES6_jNS0_17counting_iteratorIjlEEPS9_SE_NS0_5tupleIJPjSE_EEENSF_IJSE_SE_EEES9_SG_JZNS1_25segmented_radix_sort_implINS0_14default_configELb1EPKlPlSM_SN_N2at6native12_GLOBAL__N_18offset_tEEE10hipError_tPvRmT1_PNSt15iterator_traitsISV_E10value_typeET2_T3_PNSW_IS11_E10value_typeET4_jRbjT5_S17_jjP12ihipStream_tbEUljE_EEESS_ST_SU_S11_S15_S17_T6_T7_T9_mT8_S19_bDpT10_ENKUlT_T0_E_clISt17integral_constantIbLb1EES1M_EEDaS1H_S1I_EUlS1H_E_NS1_11comp_targetILNS1_3genE8ELNS1_11target_archE1030ELNS1_3gpuE2ELNS1_3repE0EEENS1_30default_config_static_selectorELNS0_4arch9wavefront6targetE0EEEvSV_, .Lfunc_end687-_ZN7rocprim17ROCPRIM_400000_NS6detail17trampoline_kernelINS0_13select_configILj256ELj13ELNS0_17block_load_methodE3ELS4_3ELS4_3ELNS0_20block_scan_algorithmE0ELj4294967295EEENS1_25partition_config_selectorILNS1_17partition_subalgoE3EjNS0_10empty_typeEbEEZZNS1_14partition_implILS8_3ELb0ES6_jNS0_17counting_iteratorIjlEEPS9_SE_NS0_5tupleIJPjSE_EEENSF_IJSE_SE_EEES9_SG_JZNS1_25segmented_radix_sort_implINS0_14default_configELb1EPKlPlSM_SN_N2at6native12_GLOBAL__N_18offset_tEEE10hipError_tPvRmT1_PNSt15iterator_traitsISV_E10value_typeET2_T3_PNSW_IS11_E10value_typeET4_jRbjT5_S17_jjP12ihipStream_tbEUljE_EEESS_ST_SU_S11_S15_S17_T6_T7_T9_mT8_S19_bDpT10_ENKUlT_T0_E_clISt17integral_constantIbLb1EES1M_EEDaS1H_S1I_EUlS1H_E_NS1_11comp_targetILNS1_3genE8ELNS1_11target_archE1030ELNS1_3gpuE2ELNS1_3repE0EEENS1_30default_config_static_selectorELNS0_4arch9wavefront6targetE0EEEvSV_
                                        ; -- End function
	.set _ZN7rocprim17ROCPRIM_400000_NS6detail17trampoline_kernelINS0_13select_configILj256ELj13ELNS0_17block_load_methodE3ELS4_3ELS4_3ELNS0_20block_scan_algorithmE0ELj4294967295EEENS1_25partition_config_selectorILNS1_17partition_subalgoE3EjNS0_10empty_typeEbEEZZNS1_14partition_implILS8_3ELb0ES6_jNS0_17counting_iteratorIjlEEPS9_SE_NS0_5tupleIJPjSE_EEENSF_IJSE_SE_EEES9_SG_JZNS1_25segmented_radix_sort_implINS0_14default_configELb1EPKlPlSM_SN_N2at6native12_GLOBAL__N_18offset_tEEE10hipError_tPvRmT1_PNSt15iterator_traitsISV_E10value_typeET2_T3_PNSW_IS11_E10value_typeET4_jRbjT5_S17_jjP12ihipStream_tbEUljE_EEESS_ST_SU_S11_S15_S17_T6_T7_T9_mT8_S19_bDpT10_ENKUlT_T0_E_clISt17integral_constantIbLb1EES1M_EEDaS1H_S1I_EUlS1H_E_NS1_11comp_targetILNS1_3genE8ELNS1_11target_archE1030ELNS1_3gpuE2ELNS1_3repE0EEENS1_30default_config_static_selectorELNS0_4arch9wavefront6targetE0EEEvSV_.num_vgpr, 0
	.set _ZN7rocprim17ROCPRIM_400000_NS6detail17trampoline_kernelINS0_13select_configILj256ELj13ELNS0_17block_load_methodE3ELS4_3ELS4_3ELNS0_20block_scan_algorithmE0ELj4294967295EEENS1_25partition_config_selectorILNS1_17partition_subalgoE3EjNS0_10empty_typeEbEEZZNS1_14partition_implILS8_3ELb0ES6_jNS0_17counting_iteratorIjlEEPS9_SE_NS0_5tupleIJPjSE_EEENSF_IJSE_SE_EEES9_SG_JZNS1_25segmented_radix_sort_implINS0_14default_configELb1EPKlPlSM_SN_N2at6native12_GLOBAL__N_18offset_tEEE10hipError_tPvRmT1_PNSt15iterator_traitsISV_E10value_typeET2_T3_PNSW_IS11_E10value_typeET4_jRbjT5_S17_jjP12ihipStream_tbEUljE_EEESS_ST_SU_S11_S15_S17_T6_T7_T9_mT8_S19_bDpT10_ENKUlT_T0_E_clISt17integral_constantIbLb1EES1M_EEDaS1H_S1I_EUlS1H_E_NS1_11comp_targetILNS1_3genE8ELNS1_11target_archE1030ELNS1_3gpuE2ELNS1_3repE0EEENS1_30default_config_static_selectorELNS0_4arch9wavefront6targetE0EEEvSV_.num_agpr, 0
	.set _ZN7rocprim17ROCPRIM_400000_NS6detail17trampoline_kernelINS0_13select_configILj256ELj13ELNS0_17block_load_methodE3ELS4_3ELS4_3ELNS0_20block_scan_algorithmE0ELj4294967295EEENS1_25partition_config_selectorILNS1_17partition_subalgoE3EjNS0_10empty_typeEbEEZZNS1_14partition_implILS8_3ELb0ES6_jNS0_17counting_iteratorIjlEEPS9_SE_NS0_5tupleIJPjSE_EEENSF_IJSE_SE_EEES9_SG_JZNS1_25segmented_radix_sort_implINS0_14default_configELb1EPKlPlSM_SN_N2at6native12_GLOBAL__N_18offset_tEEE10hipError_tPvRmT1_PNSt15iterator_traitsISV_E10value_typeET2_T3_PNSW_IS11_E10value_typeET4_jRbjT5_S17_jjP12ihipStream_tbEUljE_EEESS_ST_SU_S11_S15_S17_T6_T7_T9_mT8_S19_bDpT10_ENKUlT_T0_E_clISt17integral_constantIbLb1EES1M_EEDaS1H_S1I_EUlS1H_E_NS1_11comp_targetILNS1_3genE8ELNS1_11target_archE1030ELNS1_3gpuE2ELNS1_3repE0EEENS1_30default_config_static_selectorELNS0_4arch9wavefront6targetE0EEEvSV_.numbered_sgpr, 0
	.set _ZN7rocprim17ROCPRIM_400000_NS6detail17trampoline_kernelINS0_13select_configILj256ELj13ELNS0_17block_load_methodE3ELS4_3ELS4_3ELNS0_20block_scan_algorithmE0ELj4294967295EEENS1_25partition_config_selectorILNS1_17partition_subalgoE3EjNS0_10empty_typeEbEEZZNS1_14partition_implILS8_3ELb0ES6_jNS0_17counting_iteratorIjlEEPS9_SE_NS0_5tupleIJPjSE_EEENSF_IJSE_SE_EEES9_SG_JZNS1_25segmented_radix_sort_implINS0_14default_configELb1EPKlPlSM_SN_N2at6native12_GLOBAL__N_18offset_tEEE10hipError_tPvRmT1_PNSt15iterator_traitsISV_E10value_typeET2_T3_PNSW_IS11_E10value_typeET4_jRbjT5_S17_jjP12ihipStream_tbEUljE_EEESS_ST_SU_S11_S15_S17_T6_T7_T9_mT8_S19_bDpT10_ENKUlT_T0_E_clISt17integral_constantIbLb1EES1M_EEDaS1H_S1I_EUlS1H_E_NS1_11comp_targetILNS1_3genE8ELNS1_11target_archE1030ELNS1_3gpuE2ELNS1_3repE0EEENS1_30default_config_static_selectorELNS0_4arch9wavefront6targetE0EEEvSV_.num_named_barrier, 0
	.set _ZN7rocprim17ROCPRIM_400000_NS6detail17trampoline_kernelINS0_13select_configILj256ELj13ELNS0_17block_load_methodE3ELS4_3ELS4_3ELNS0_20block_scan_algorithmE0ELj4294967295EEENS1_25partition_config_selectorILNS1_17partition_subalgoE3EjNS0_10empty_typeEbEEZZNS1_14partition_implILS8_3ELb0ES6_jNS0_17counting_iteratorIjlEEPS9_SE_NS0_5tupleIJPjSE_EEENSF_IJSE_SE_EEES9_SG_JZNS1_25segmented_radix_sort_implINS0_14default_configELb1EPKlPlSM_SN_N2at6native12_GLOBAL__N_18offset_tEEE10hipError_tPvRmT1_PNSt15iterator_traitsISV_E10value_typeET2_T3_PNSW_IS11_E10value_typeET4_jRbjT5_S17_jjP12ihipStream_tbEUljE_EEESS_ST_SU_S11_S15_S17_T6_T7_T9_mT8_S19_bDpT10_ENKUlT_T0_E_clISt17integral_constantIbLb1EES1M_EEDaS1H_S1I_EUlS1H_E_NS1_11comp_targetILNS1_3genE8ELNS1_11target_archE1030ELNS1_3gpuE2ELNS1_3repE0EEENS1_30default_config_static_selectorELNS0_4arch9wavefront6targetE0EEEvSV_.private_seg_size, 0
	.set _ZN7rocprim17ROCPRIM_400000_NS6detail17trampoline_kernelINS0_13select_configILj256ELj13ELNS0_17block_load_methodE3ELS4_3ELS4_3ELNS0_20block_scan_algorithmE0ELj4294967295EEENS1_25partition_config_selectorILNS1_17partition_subalgoE3EjNS0_10empty_typeEbEEZZNS1_14partition_implILS8_3ELb0ES6_jNS0_17counting_iteratorIjlEEPS9_SE_NS0_5tupleIJPjSE_EEENSF_IJSE_SE_EEES9_SG_JZNS1_25segmented_radix_sort_implINS0_14default_configELb1EPKlPlSM_SN_N2at6native12_GLOBAL__N_18offset_tEEE10hipError_tPvRmT1_PNSt15iterator_traitsISV_E10value_typeET2_T3_PNSW_IS11_E10value_typeET4_jRbjT5_S17_jjP12ihipStream_tbEUljE_EEESS_ST_SU_S11_S15_S17_T6_T7_T9_mT8_S19_bDpT10_ENKUlT_T0_E_clISt17integral_constantIbLb1EES1M_EEDaS1H_S1I_EUlS1H_E_NS1_11comp_targetILNS1_3genE8ELNS1_11target_archE1030ELNS1_3gpuE2ELNS1_3repE0EEENS1_30default_config_static_selectorELNS0_4arch9wavefront6targetE0EEEvSV_.uses_vcc, 0
	.set _ZN7rocprim17ROCPRIM_400000_NS6detail17trampoline_kernelINS0_13select_configILj256ELj13ELNS0_17block_load_methodE3ELS4_3ELS4_3ELNS0_20block_scan_algorithmE0ELj4294967295EEENS1_25partition_config_selectorILNS1_17partition_subalgoE3EjNS0_10empty_typeEbEEZZNS1_14partition_implILS8_3ELb0ES6_jNS0_17counting_iteratorIjlEEPS9_SE_NS0_5tupleIJPjSE_EEENSF_IJSE_SE_EEES9_SG_JZNS1_25segmented_radix_sort_implINS0_14default_configELb1EPKlPlSM_SN_N2at6native12_GLOBAL__N_18offset_tEEE10hipError_tPvRmT1_PNSt15iterator_traitsISV_E10value_typeET2_T3_PNSW_IS11_E10value_typeET4_jRbjT5_S17_jjP12ihipStream_tbEUljE_EEESS_ST_SU_S11_S15_S17_T6_T7_T9_mT8_S19_bDpT10_ENKUlT_T0_E_clISt17integral_constantIbLb1EES1M_EEDaS1H_S1I_EUlS1H_E_NS1_11comp_targetILNS1_3genE8ELNS1_11target_archE1030ELNS1_3gpuE2ELNS1_3repE0EEENS1_30default_config_static_selectorELNS0_4arch9wavefront6targetE0EEEvSV_.uses_flat_scratch, 0
	.set _ZN7rocprim17ROCPRIM_400000_NS6detail17trampoline_kernelINS0_13select_configILj256ELj13ELNS0_17block_load_methodE3ELS4_3ELS4_3ELNS0_20block_scan_algorithmE0ELj4294967295EEENS1_25partition_config_selectorILNS1_17partition_subalgoE3EjNS0_10empty_typeEbEEZZNS1_14partition_implILS8_3ELb0ES6_jNS0_17counting_iteratorIjlEEPS9_SE_NS0_5tupleIJPjSE_EEENSF_IJSE_SE_EEES9_SG_JZNS1_25segmented_radix_sort_implINS0_14default_configELb1EPKlPlSM_SN_N2at6native12_GLOBAL__N_18offset_tEEE10hipError_tPvRmT1_PNSt15iterator_traitsISV_E10value_typeET2_T3_PNSW_IS11_E10value_typeET4_jRbjT5_S17_jjP12ihipStream_tbEUljE_EEESS_ST_SU_S11_S15_S17_T6_T7_T9_mT8_S19_bDpT10_ENKUlT_T0_E_clISt17integral_constantIbLb1EES1M_EEDaS1H_S1I_EUlS1H_E_NS1_11comp_targetILNS1_3genE8ELNS1_11target_archE1030ELNS1_3gpuE2ELNS1_3repE0EEENS1_30default_config_static_selectorELNS0_4arch9wavefront6targetE0EEEvSV_.has_dyn_sized_stack, 0
	.set _ZN7rocprim17ROCPRIM_400000_NS6detail17trampoline_kernelINS0_13select_configILj256ELj13ELNS0_17block_load_methodE3ELS4_3ELS4_3ELNS0_20block_scan_algorithmE0ELj4294967295EEENS1_25partition_config_selectorILNS1_17partition_subalgoE3EjNS0_10empty_typeEbEEZZNS1_14partition_implILS8_3ELb0ES6_jNS0_17counting_iteratorIjlEEPS9_SE_NS0_5tupleIJPjSE_EEENSF_IJSE_SE_EEES9_SG_JZNS1_25segmented_radix_sort_implINS0_14default_configELb1EPKlPlSM_SN_N2at6native12_GLOBAL__N_18offset_tEEE10hipError_tPvRmT1_PNSt15iterator_traitsISV_E10value_typeET2_T3_PNSW_IS11_E10value_typeET4_jRbjT5_S17_jjP12ihipStream_tbEUljE_EEESS_ST_SU_S11_S15_S17_T6_T7_T9_mT8_S19_bDpT10_ENKUlT_T0_E_clISt17integral_constantIbLb1EES1M_EEDaS1H_S1I_EUlS1H_E_NS1_11comp_targetILNS1_3genE8ELNS1_11target_archE1030ELNS1_3gpuE2ELNS1_3repE0EEENS1_30default_config_static_selectorELNS0_4arch9wavefront6targetE0EEEvSV_.has_recursion, 0
	.set _ZN7rocprim17ROCPRIM_400000_NS6detail17trampoline_kernelINS0_13select_configILj256ELj13ELNS0_17block_load_methodE3ELS4_3ELS4_3ELNS0_20block_scan_algorithmE0ELj4294967295EEENS1_25partition_config_selectorILNS1_17partition_subalgoE3EjNS0_10empty_typeEbEEZZNS1_14partition_implILS8_3ELb0ES6_jNS0_17counting_iteratorIjlEEPS9_SE_NS0_5tupleIJPjSE_EEENSF_IJSE_SE_EEES9_SG_JZNS1_25segmented_radix_sort_implINS0_14default_configELb1EPKlPlSM_SN_N2at6native12_GLOBAL__N_18offset_tEEE10hipError_tPvRmT1_PNSt15iterator_traitsISV_E10value_typeET2_T3_PNSW_IS11_E10value_typeET4_jRbjT5_S17_jjP12ihipStream_tbEUljE_EEESS_ST_SU_S11_S15_S17_T6_T7_T9_mT8_S19_bDpT10_ENKUlT_T0_E_clISt17integral_constantIbLb1EES1M_EEDaS1H_S1I_EUlS1H_E_NS1_11comp_targetILNS1_3genE8ELNS1_11target_archE1030ELNS1_3gpuE2ELNS1_3repE0EEENS1_30default_config_static_selectorELNS0_4arch9wavefront6targetE0EEEvSV_.has_indirect_call, 0
	.section	.AMDGPU.csdata,"",@progbits
; Kernel info:
; codeLenInByte = 0
; TotalNumSgprs: 0
; NumVgprs: 0
; ScratchSize: 0
; MemoryBound: 0
; FloatMode: 240
; IeeeMode: 1
; LDSByteSize: 0 bytes/workgroup (compile time only)
; SGPRBlocks: 0
; VGPRBlocks: 0
; NumSGPRsForWavesPerEU: 1
; NumVGPRsForWavesPerEU: 1
; Occupancy: 16
; WaveLimiterHint : 0
; COMPUTE_PGM_RSRC2:SCRATCH_EN: 0
; COMPUTE_PGM_RSRC2:USER_SGPR: 2
; COMPUTE_PGM_RSRC2:TRAP_HANDLER: 0
; COMPUTE_PGM_RSRC2:TGID_X_EN: 1
; COMPUTE_PGM_RSRC2:TGID_Y_EN: 0
; COMPUTE_PGM_RSRC2:TGID_Z_EN: 0
; COMPUTE_PGM_RSRC2:TIDIG_COMP_CNT: 0
	.section	.text._ZN7rocprim17ROCPRIM_400000_NS6detail17trampoline_kernelINS0_13select_configILj256ELj13ELNS0_17block_load_methodE3ELS4_3ELS4_3ELNS0_20block_scan_algorithmE0ELj4294967295EEENS1_25partition_config_selectorILNS1_17partition_subalgoE3EjNS0_10empty_typeEbEEZZNS1_14partition_implILS8_3ELb0ES6_jNS0_17counting_iteratorIjlEEPS9_SE_NS0_5tupleIJPjSE_EEENSF_IJSE_SE_EEES9_SG_JZNS1_25segmented_radix_sort_implINS0_14default_configELb1EPKlPlSM_SN_N2at6native12_GLOBAL__N_18offset_tEEE10hipError_tPvRmT1_PNSt15iterator_traitsISV_E10value_typeET2_T3_PNSW_IS11_E10value_typeET4_jRbjT5_S17_jjP12ihipStream_tbEUljE_EEESS_ST_SU_S11_S15_S17_T6_T7_T9_mT8_S19_bDpT10_ENKUlT_T0_E_clISt17integral_constantIbLb1EES1L_IbLb0EEEEDaS1H_S1I_EUlS1H_E_NS1_11comp_targetILNS1_3genE0ELNS1_11target_archE4294967295ELNS1_3gpuE0ELNS1_3repE0EEENS1_30default_config_static_selectorELNS0_4arch9wavefront6targetE0EEEvSV_,"axG",@progbits,_ZN7rocprim17ROCPRIM_400000_NS6detail17trampoline_kernelINS0_13select_configILj256ELj13ELNS0_17block_load_methodE3ELS4_3ELS4_3ELNS0_20block_scan_algorithmE0ELj4294967295EEENS1_25partition_config_selectorILNS1_17partition_subalgoE3EjNS0_10empty_typeEbEEZZNS1_14partition_implILS8_3ELb0ES6_jNS0_17counting_iteratorIjlEEPS9_SE_NS0_5tupleIJPjSE_EEENSF_IJSE_SE_EEES9_SG_JZNS1_25segmented_radix_sort_implINS0_14default_configELb1EPKlPlSM_SN_N2at6native12_GLOBAL__N_18offset_tEEE10hipError_tPvRmT1_PNSt15iterator_traitsISV_E10value_typeET2_T3_PNSW_IS11_E10value_typeET4_jRbjT5_S17_jjP12ihipStream_tbEUljE_EEESS_ST_SU_S11_S15_S17_T6_T7_T9_mT8_S19_bDpT10_ENKUlT_T0_E_clISt17integral_constantIbLb1EES1L_IbLb0EEEEDaS1H_S1I_EUlS1H_E_NS1_11comp_targetILNS1_3genE0ELNS1_11target_archE4294967295ELNS1_3gpuE0ELNS1_3repE0EEENS1_30default_config_static_selectorELNS0_4arch9wavefront6targetE0EEEvSV_,comdat
	.globl	_ZN7rocprim17ROCPRIM_400000_NS6detail17trampoline_kernelINS0_13select_configILj256ELj13ELNS0_17block_load_methodE3ELS4_3ELS4_3ELNS0_20block_scan_algorithmE0ELj4294967295EEENS1_25partition_config_selectorILNS1_17partition_subalgoE3EjNS0_10empty_typeEbEEZZNS1_14partition_implILS8_3ELb0ES6_jNS0_17counting_iteratorIjlEEPS9_SE_NS0_5tupleIJPjSE_EEENSF_IJSE_SE_EEES9_SG_JZNS1_25segmented_radix_sort_implINS0_14default_configELb1EPKlPlSM_SN_N2at6native12_GLOBAL__N_18offset_tEEE10hipError_tPvRmT1_PNSt15iterator_traitsISV_E10value_typeET2_T3_PNSW_IS11_E10value_typeET4_jRbjT5_S17_jjP12ihipStream_tbEUljE_EEESS_ST_SU_S11_S15_S17_T6_T7_T9_mT8_S19_bDpT10_ENKUlT_T0_E_clISt17integral_constantIbLb1EES1L_IbLb0EEEEDaS1H_S1I_EUlS1H_E_NS1_11comp_targetILNS1_3genE0ELNS1_11target_archE4294967295ELNS1_3gpuE0ELNS1_3repE0EEENS1_30default_config_static_selectorELNS0_4arch9wavefront6targetE0EEEvSV_ ; -- Begin function _ZN7rocprim17ROCPRIM_400000_NS6detail17trampoline_kernelINS0_13select_configILj256ELj13ELNS0_17block_load_methodE3ELS4_3ELS4_3ELNS0_20block_scan_algorithmE0ELj4294967295EEENS1_25partition_config_selectorILNS1_17partition_subalgoE3EjNS0_10empty_typeEbEEZZNS1_14partition_implILS8_3ELb0ES6_jNS0_17counting_iteratorIjlEEPS9_SE_NS0_5tupleIJPjSE_EEENSF_IJSE_SE_EEES9_SG_JZNS1_25segmented_radix_sort_implINS0_14default_configELb1EPKlPlSM_SN_N2at6native12_GLOBAL__N_18offset_tEEE10hipError_tPvRmT1_PNSt15iterator_traitsISV_E10value_typeET2_T3_PNSW_IS11_E10value_typeET4_jRbjT5_S17_jjP12ihipStream_tbEUljE_EEESS_ST_SU_S11_S15_S17_T6_T7_T9_mT8_S19_bDpT10_ENKUlT_T0_E_clISt17integral_constantIbLb1EES1L_IbLb0EEEEDaS1H_S1I_EUlS1H_E_NS1_11comp_targetILNS1_3genE0ELNS1_11target_archE4294967295ELNS1_3gpuE0ELNS1_3repE0EEENS1_30default_config_static_selectorELNS0_4arch9wavefront6targetE0EEEvSV_
	.p2align	8
	.type	_ZN7rocprim17ROCPRIM_400000_NS6detail17trampoline_kernelINS0_13select_configILj256ELj13ELNS0_17block_load_methodE3ELS4_3ELS4_3ELNS0_20block_scan_algorithmE0ELj4294967295EEENS1_25partition_config_selectorILNS1_17partition_subalgoE3EjNS0_10empty_typeEbEEZZNS1_14partition_implILS8_3ELb0ES6_jNS0_17counting_iteratorIjlEEPS9_SE_NS0_5tupleIJPjSE_EEENSF_IJSE_SE_EEES9_SG_JZNS1_25segmented_radix_sort_implINS0_14default_configELb1EPKlPlSM_SN_N2at6native12_GLOBAL__N_18offset_tEEE10hipError_tPvRmT1_PNSt15iterator_traitsISV_E10value_typeET2_T3_PNSW_IS11_E10value_typeET4_jRbjT5_S17_jjP12ihipStream_tbEUljE_EEESS_ST_SU_S11_S15_S17_T6_T7_T9_mT8_S19_bDpT10_ENKUlT_T0_E_clISt17integral_constantIbLb1EES1L_IbLb0EEEEDaS1H_S1I_EUlS1H_E_NS1_11comp_targetILNS1_3genE0ELNS1_11target_archE4294967295ELNS1_3gpuE0ELNS1_3repE0EEENS1_30default_config_static_selectorELNS0_4arch9wavefront6targetE0EEEvSV_,@function
_ZN7rocprim17ROCPRIM_400000_NS6detail17trampoline_kernelINS0_13select_configILj256ELj13ELNS0_17block_load_methodE3ELS4_3ELS4_3ELNS0_20block_scan_algorithmE0ELj4294967295EEENS1_25partition_config_selectorILNS1_17partition_subalgoE3EjNS0_10empty_typeEbEEZZNS1_14partition_implILS8_3ELb0ES6_jNS0_17counting_iteratorIjlEEPS9_SE_NS0_5tupleIJPjSE_EEENSF_IJSE_SE_EEES9_SG_JZNS1_25segmented_radix_sort_implINS0_14default_configELb1EPKlPlSM_SN_N2at6native12_GLOBAL__N_18offset_tEEE10hipError_tPvRmT1_PNSt15iterator_traitsISV_E10value_typeET2_T3_PNSW_IS11_E10value_typeET4_jRbjT5_S17_jjP12ihipStream_tbEUljE_EEESS_ST_SU_S11_S15_S17_T6_T7_T9_mT8_S19_bDpT10_ENKUlT_T0_E_clISt17integral_constantIbLb1EES1L_IbLb0EEEEDaS1H_S1I_EUlS1H_E_NS1_11comp_targetILNS1_3genE0ELNS1_11target_archE4294967295ELNS1_3gpuE0ELNS1_3repE0EEENS1_30default_config_static_selectorELNS0_4arch9wavefront6targetE0EEEvSV_: ; @_ZN7rocprim17ROCPRIM_400000_NS6detail17trampoline_kernelINS0_13select_configILj256ELj13ELNS0_17block_load_methodE3ELS4_3ELS4_3ELNS0_20block_scan_algorithmE0ELj4294967295EEENS1_25partition_config_selectorILNS1_17partition_subalgoE3EjNS0_10empty_typeEbEEZZNS1_14partition_implILS8_3ELb0ES6_jNS0_17counting_iteratorIjlEEPS9_SE_NS0_5tupleIJPjSE_EEENSF_IJSE_SE_EEES9_SG_JZNS1_25segmented_radix_sort_implINS0_14default_configELb1EPKlPlSM_SN_N2at6native12_GLOBAL__N_18offset_tEEE10hipError_tPvRmT1_PNSt15iterator_traitsISV_E10value_typeET2_T3_PNSW_IS11_E10value_typeET4_jRbjT5_S17_jjP12ihipStream_tbEUljE_EEESS_ST_SU_S11_S15_S17_T6_T7_T9_mT8_S19_bDpT10_ENKUlT_T0_E_clISt17integral_constantIbLb1EES1L_IbLb0EEEEDaS1H_S1I_EUlS1H_E_NS1_11comp_targetILNS1_3genE0ELNS1_11target_archE4294967295ELNS1_3gpuE0ELNS1_3repE0EEENS1_30default_config_static_selectorELNS0_4arch9wavefront6targetE0EEEvSV_
; %bb.0:
	.section	.rodata,"a",@progbits
	.p2align	6, 0x0
	.amdhsa_kernel _ZN7rocprim17ROCPRIM_400000_NS6detail17trampoline_kernelINS0_13select_configILj256ELj13ELNS0_17block_load_methodE3ELS4_3ELS4_3ELNS0_20block_scan_algorithmE0ELj4294967295EEENS1_25partition_config_selectorILNS1_17partition_subalgoE3EjNS0_10empty_typeEbEEZZNS1_14partition_implILS8_3ELb0ES6_jNS0_17counting_iteratorIjlEEPS9_SE_NS0_5tupleIJPjSE_EEENSF_IJSE_SE_EEES9_SG_JZNS1_25segmented_radix_sort_implINS0_14default_configELb1EPKlPlSM_SN_N2at6native12_GLOBAL__N_18offset_tEEE10hipError_tPvRmT1_PNSt15iterator_traitsISV_E10value_typeET2_T3_PNSW_IS11_E10value_typeET4_jRbjT5_S17_jjP12ihipStream_tbEUljE_EEESS_ST_SU_S11_S15_S17_T6_T7_T9_mT8_S19_bDpT10_ENKUlT_T0_E_clISt17integral_constantIbLb1EES1L_IbLb0EEEEDaS1H_S1I_EUlS1H_E_NS1_11comp_targetILNS1_3genE0ELNS1_11target_archE4294967295ELNS1_3gpuE0ELNS1_3repE0EEENS1_30default_config_static_selectorELNS0_4arch9wavefront6targetE0EEEvSV_
		.amdhsa_group_segment_fixed_size 0
		.amdhsa_private_segment_fixed_size 0
		.amdhsa_kernarg_size 144
		.amdhsa_user_sgpr_count 2
		.amdhsa_user_sgpr_dispatch_ptr 0
		.amdhsa_user_sgpr_queue_ptr 0
		.amdhsa_user_sgpr_kernarg_segment_ptr 1
		.amdhsa_user_sgpr_dispatch_id 0
		.amdhsa_user_sgpr_private_segment_size 0
		.amdhsa_wavefront_size32 1
		.amdhsa_uses_dynamic_stack 0
		.amdhsa_enable_private_segment 0
		.amdhsa_system_sgpr_workgroup_id_x 1
		.amdhsa_system_sgpr_workgroup_id_y 0
		.amdhsa_system_sgpr_workgroup_id_z 0
		.amdhsa_system_sgpr_workgroup_info 0
		.amdhsa_system_vgpr_workitem_id 0
		.amdhsa_next_free_vgpr 1
		.amdhsa_next_free_sgpr 1
		.amdhsa_reserve_vcc 0
		.amdhsa_float_round_mode_32 0
		.amdhsa_float_round_mode_16_64 0
		.amdhsa_float_denorm_mode_32 3
		.amdhsa_float_denorm_mode_16_64 3
		.amdhsa_fp16_overflow 0
		.amdhsa_workgroup_processor_mode 1
		.amdhsa_memory_ordered 1
		.amdhsa_forward_progress 1
		.amdhsa_inst_pref_size 0
		.amdhsa_round_robin_scheduling 0
		.amdhsa_exception_fp_ieee_invalid_op 0
		.amdhsa_exception_fp_denorm_src 0
		.amdhsa_exception_fp_ieee_div_zero 0
		.amdhsa_exception_fp_ieee_overflow 0
		.amdhsa_exception_fp_ieee_underflow 0
		.amdhsa_exception_fp_ieee_inexact 0
		.amdhsa_exception_int_div_zero 0
	.end_amdhsa_kernel
	.section	.text._ZN7rocprim17ROCPRIM_400000_NS6detail17trampoline_kernelINS0_13select_configILj256ELj13ELNS0_17block_load_methodE3ELS4_3ELS4_3ELNS0_20block_scan_algorithmE0ELj4294967295EEENS1_25partition_config_selectorILNS1_17partition_subalgoE3EjNS0_10empty_typeEbEEZZNS1_14partition_implILS8_3ELb0ES6_jNS0_17counting_iteratorIjlEEPS9_SE_NS0_5tupleIJPjSE_EEENSF_IJSE_SE_EEES9_SG_JZNS1_25segmented_radix_sort_implINS0_14default_configELb1EPKlPlSM_SN_N2at6native12_GLOBAL__N_18offset_tEEE10hipError_tPvRmT1_PNSt15iterator_traitsISV_E10value_typeET2_T3_PNSW_IS11_E10value_typeET4_jRbjT5_S17_jjP12ihipStream_tbEUljE_EEESS_ST_SU_S11_S15_S17_T6_T7_T9_mT8_S19_bDpT10_ENKUlT_T0_E_clISt17integral_constantIbLb1EES1L_IbLb0EEEEDaS1H_S1I_EUlS1H_E_NS1_11comp_targetILNS1_3genE0ELNS1_11target_archE4294967295ELNS1_3gpuE0ELNS1_3repE0EEENS1_30default_config_static_selectorELNS0_4arch9wavefront6targetE0EEEvSV_,"axG",@progbits,_ZN7rocprim17ROCPRIM_400000_NS6detail17trampoline_kernelINS0_13select_configILj256ELj13ELNS0_17block_load_methodE3ELS4_3ELS4_3ELNS0_20block_scan_algorithmE0ELj4294967295EEENS1_25partition_config_selectorILNS1_17partition_subalgoE3EjNS0_10empty_typeEbEEZZNS1_14partition_implILS8_3ELb0ES6_jNS0_17counting_iteratorIjlEEPS9_SE_NS0_5tupleIJPjSE_EEENSF_IJSE_SE_EEES9_SG_JZNS1_25segmented_radix_sort_implINS0_14default_configELb1EPKlPlSM_SN_N2at6native12_GLOBAL__N_18offset_tEEE10hipError_tPvRmT1_PNSt15iterator_traitsISV_E10value_typeET2_T3_PNSW_IS11_E10value_typeET4_jRbjT5_S17_jjP12ihipStream_tbEUljE_EEESS_ST_SU_S11_S15_S17_T6_T7_T9_mT8_S19_bDpT10_ENKUlT_T0_E_clISt17integral_constantIbLb1EES1L_IbLb0EEEEDaS1H_S1I_EUlS1H_E_NS1_11comp_targetILNS1_3genE0ELNS1_11target_archE4294967295ELNS1_3gpuE0ELNS1_3repE0EEENS1_30default_config_static_selectorELNS0_4arch9wavefront6targetE0EEEvSV_,comdat
.Lfunc_end688:
	.size	_ZN7rocprim17ROCPRIM_400000_NS6detail17trampoline_kernelINS0_13select_configILj256ELj13ELNS0_17block_load_methodE3ELS4_3ELS4_3ELNS0_20block_scan_algorithmE0ELj4294967295EEENS1_25partition_config_selectorILNS1_17partition_subalgoE3EjNS0_10empty_typeEbEEZZNS1_14partition_implILS8_3ELb0ES6_jNS0_17counting_iteratorIjlEEPS9_SE_NS0_5tupleIJPjSE_EEENSF_IJSE_SE_EEES9_SG_JZNS1_25segmented_radix_sort_implINS0_14default_configELb1EPKlPlSM_SN_N2at6native12_GLOBAL__N_18offset_tEEE10hipError_tPvRmT1_PNSt15iterator_traitsISV_E10value_typeET2_T3_PNSW_IS11_E10value_typeET4_jRbjT5_S17_jjP12ihipStream_tbEUljE_EEESS_ST_SU_S11_S15_S17_T6_T7_T9_mT8_S19_bDpT10_ENKUlT_T0_E_clISt17integral_constantIbLb1EES1L_IbLb0EEEEDaS1H_S1I_EUlS1H_E_NS1_11comp_targetILNS1_3genE0ELNS1_11target_archE4294967295ELNS1_3gpuE0ELNS1_3repE0EEENS1_30default_config_static_selectorELNS0_4arch9wavefront6targetE0EEEvSV_, .Lfunc_end688-_ZN7rocprim17ROCPRIM_400000_NS6detail17trampoline_kernelINS0_13select_configILj256ELj13ELNS0_17block_load_methodE3ELS4_3ELS4_3ELNS0_20block_scan_algorithmE0ELj4294967295EEENS1_25partition_config_selectorILNS1_17partition_subalgoE3EjNS0_10empty_typeEbEEZZNS1_14partition_implILS8_3ELb0ES6_jNS0_17counting_iteratorIjlEEPS9_SE_NS0_5tupleIJPjSE_EEENSF_IJSE_SE_EEES9_SG_JZNS1_25segmented_radix_sort_implINS0_14default_configELb1EPKlPlSM_SN_N2at6native12_GLOBAL__N_18offset_tEEE10hipError_tPvRmT1_PNSt15iterator_traitsISV_E10value_typeET2_T3_PNSW_IS11_E10value_typeET4_jRbjT5_S17_jjP12ihipStream_tbEUljE_EEESS_ST_SU_S11_S15_S17_T6_T7_T9_mT8_S19_bDpT10_ENKUlT_T0_E_clISt17integral_constantIbLb1EES1L_IbLb0EEEEDaS1H_S1I_EUlS1H_E_NS1_11comp_targetILNS1_3genE0ELNS1_11target_archE4294967295ELNS1_3gpuE0ELNS1_3repE0EEENS1_30default_config_static_selectorELNS0_4arch9wavefront6targetE0EEEvSV_
                                        ; -- End function
	.set _ZN7rocprim17ROCPRIM_400000_NS6detail17trampoline_kernelINS0_13select_configILj256ELj13ELNS0_17block_load_methodE3ELS4_3ELS4_3ELNS0_20block_scan_algorithmE0ELj4294967295EEENS1_25partition_config_selectorILNS1_17partition_subalgoE3EjNS0_10empty_typeEbEEZZNS1_14partition_implILS8_3ELb0ES6_jNS0_17counting_iteratorIjlEEPS9_SE_NS0_5tupleIJPjSE_EEENSF_IJSE_SE_EEES9_SG_JZNS1_25segmented_radix_sort_implINS0_14default_configELb1EPKlPlSM_SN_N2at6native12_GLOBAL__N_18offset_tEEE10hipError_tPvRmT1_PNSt15iterator_traitsISV_E10value_typeET2_T3_PNSW_IS11_E10value_typeET4_jRbjT5_S17_jjP12ihipStream_tbEUljE_EEESS_ST_SU_S11_S15_S17_T6_T7_T9_mT8_S19_bDpT10_ENKUlT_T0_E_clISt17integral_constantIbLb1EES1L_IbLb0EEEEDaS1H_S1I_EUlS1H_E_NS1_11comp_targetILNS1_3genE0ELNS1_11target_archE4294967295ELNS1_3gpuE0ELNS1_3repE0EEENS1_30default_config_static_selectorELNS0_4arch9wavefront6targetE0EEEvSV_.num_vgpr, 0
	.set _ZN7rocprim17ROCPRIM_400000_NS6detail17trampoline_kernelINS0_13select_configILj256ELj13ELNS0_17block_load_methodE3ELS4_3ELS4_3ELNS0_20block_scan_algorithmE0ELj4294967295EEENS1_25partition_config_selectorILNS1_17partition_subalgoE3EjNS0_10empty_typeEbEEZZNS1_14partition_implILS8_3ELb0ES6_jNS0_17counting_iteratorIjlEEPS9_SE_NS0_5tupleIJPjSE_EEENSF_IJSE_SE_EEES9_SG_JZNS1_25segmented_radix_sort_implINS0_14default_configELb1EPKlPlSM_SN_N2at6native12_GLOBAL__N_18offset_tEEE10hipError_tPvRmT1_PNSt15iterator_traitsISV_E10value_typeET2_T3_PNSW_IS11_E10value_typeET4_jRbjT5_S17_jjP12ihipStream_tbEUljE_EEESS_ST_SU_S11_S15_S17_T6_T7_T9_mT8_S19_bDpT10_ENKUlT_T0_E_clISt17integral_constantIbLb1EES1L_IbLb0EEEEDaS1H_S1I_EUlS1H_E_NS1_11comp_targetILNS1_3genE0ELNS1_11target_archE4294967295ELNS1_3gpuE0ELNS1_3repE0EEENS1_30default_config_static_selectorELNS0_4arch9wavefront6targetE0EEEvSV_.num_agpr, 0
	.set _ZN7rocprim17ROCPRIM_400000_NS6detail17trampoline_kernelINS0_13select_configILj256ELj13ELNS0_17block_load_methodE3ELS4_3ELS4_3ELNS0_20block_scan_algorithmE0ELj4294967295EEENS1_25partition_config_selectorILNS1_17partition_subalgoE3EjNS0_10empty_typeEbEEZZNS1_14partition_implILS8_3ELb0ES6_jNS0_17counting_iteratorIjlEEPS9_SE_NS0_5tupleIJPjSE_EEENSF_IJSE_SE_EEES9_SG_JZNS1_25segmented_radix_sort_implINS0_14default_configELb1EPKlPlSM_SN_N2at6native12_GLOBAL__N_18offset_tEEE10hipError_tPvRmT1_PNSt15iterator_traitsISV_E10value_typeET2_T3_PNSW_IS11_E10value_typeET4_jRbjT5_S17_jjP12ihipStream_tbEUljE_EEESS_ST_SU_S11_S15_S17_T6_T7_T9_mT8_S19_bDpT10_ENKUlT_T0_E_clISt17integral_constantIbLb1EES1L_IbLb0EEEEDaS1H_S1I_EUlS1H_E_NS1_11comp_targetILNS1_3genE0ELNS1_11target_archE4294967295ELNS1_3gpuE0ELNS1_3repE0EEENS1_30default_config_static_selectorELNS0_4arch9wavefront6targetE0EEEvSV_.numbered_sgpr, 0
	.set _ZN7rocprim17ROCPRIM_400000_NS6detail17trampoline_kernelINS0_13select_configILj256ELj13ELNS0_17block_load_methodE3ELS4_3ELS4_3ELNS0_20block_scan_algorithmE0ELj4294967295EEENS1_25partition_config_selectorILNS1_17partition_subalgoE3EjNS0_10empty_typeEbEEZZNS1_14partition_implILS8_3ELb0ES6_jNS0_17counting_iteratorIjlEEPS9_SE_NS0_5tupleIJPjSE_EEENSF_IJSE_SE_EEES9_SG_JZNS1_25segmented_radix_sort_implINS0_14default_configELb1EPKlPlSM_SN_N2at6native12_GLOBAL__N_18offset_tEEE10hipError_tPvRmT1_PNSt15iterator_traitsISV_E10value_typeET2_T3_PNSW_IS11_E10value_typeET4_jRbjT5_S17_jjP12ihipStream_tbEUljE_EEESS_ST_SU_S11_S15_S17_T6_T7_T9_mT8_S19_bDpT10_ENKUlT_T0_E_clISt17integral_constantIbLb1EES1L_IbLb0EEEEDaS1H_S1I_EUlS1H_E_NS1_11comp_targetILNS1_3genE0ELNS1_11target_archE4294967295ELNS1_3gpuE0ELNS1_3repE0EEENS1_30default_config_static_selectorELNS0_4arch9wavefront6targetE0EEEvSV_.num_named_barrier, 0
	.set _ZN7rocprim17ROCPRIM_400000_NS6detail17trampoline_kernelINS0_13select_configILj256ELj13ELNS0_17block_load_methodE3ELS4_3ELS4_3ELNS0_20block_scan_algorithmE0ELj4294967295EEENS1_25partition_config_selectorILNS1_17partition_subalgoE3EjNS0_10empty_typeEbEEZZNS1_14partition_implILS8_3ELb0ES6_jNS0_17counting_iteratorIjlEEPS9_SE_NS0_5tupleIJPjSE_EEENSF_IJSE_SE_EEES9_SG_JZNS1_25segmented_radix_sort_implINS0_14default_configELb1EPKlPlSM_SN_N2at6native12_GLOBAL__N_18offset_tEEE10hipError_tPvRmT1_PNSt15iterator_traitsISV_E10value_typeET2_T3_PNSW_IS11_E10value_typeET4_jRbjT5_S17_jjP12ihipStream_tbEUljE_EEESS_ST_SU_S11_S15_S17_T6_T7_T9_mT8_S19_bDpT10_ENKUlT_T0_E_clISt17integral_constantIbLb1EES1L_IbLb0EEEEDaS1H_S1I_EUlS1H_E_NS1_11comp_targetILNS1_3genE0ELNS1_11target_archE4294967295ELNS1_3gpuE0ELNS1_3repE0EEENS1_30default_config_static_selectorELNS0_4arch9wavefront6targetE0EEEvSV_.private_seg_size, 0
	.set _ZN7rocprim17ROCPRIM_400000_NS6detail17trampoline_kernelINS0_13select_configILj256ELj13ELNS0_17block_load_methodE3ELS4_3ELS4_3ELNS0_20block_scan_algorithmE0ELj4294967295EEENS1_25partition_config_selectorILNS1_17partition_subalgoE3EjNS0_10empty_typeEbEEZZNS1_14partition_implILS8_3ELb0ES6_jNS0_17counting_iteratorIjlEEPS9_SE_NS0_5tupleIJPjSE_EEENSF_IJSE_SE_EEES9_SG_JZNS1_25segmented_radix_sort_implINS0_14default_configELb1EPKlPlSM_SN_N2at6native12_GLOBAL__N_18offset_tEEE10hipError_tPvRmT1_PNSt15iterator_traitsISV_E10value_typeET2_T3_PNSW_IS11_E10value_typeET4_jRbjT5_S17_jjP12ihipStream_tbEUljE_EEESS_ST_SU_S11_S15_S17_T6_T7_T9_mT8_S19_bDpT10_ENKUlT_T0_E_clISt17integral_constantIbLb1EES1L_IbLb0EEEEDaS1H_S1I_EUlS1H_E_NS1_11comp_targetILNS1_3genE0ELNS1_11target_archE4294967295ELNS1_3gpuE0ELNS1_3repE0EEENS1_30default_config_static_selectorELNS0_4arch9wavefront6targetE0EEEvSV_.uses_vcc, 0
	.set _ZN7rocprim17ROCPRIM_400000_NS6detail17trampoline_kernelINS0_13select_configILj256ELj13ELNS0_17block_load_methodE3ELS4_3ELS4_3ELNS0_20block_scan_algorithmE0ELj4294967295EEENS1_25partition_config_selectorILNS1_17partition_subalgoE3EjNS0_10empty_typeEbEEZZNS1_14partition_implILS8_3ELb0ES6_jNS0_17counting_iteratorIjlEEPS9_SE_NS0_5tupleIJPjSE_EEENSF_IJSE_SE_EEES9_SG_JZNS1_25segmented_radix_sort_implINS0_14default_configELb1EPKlPlSM_SN_N2at6native12_GLOBAL__N_18offset_tEEE10hipError_tPvRmT1_PNSt15iterator_traitsISV_E10value_typeET2_T3_PNSW_IS11_E10value_typeET4_jRbjT5_S17_jjP12ihipStream_tbEUljE_EEESS_ST_SU_S11_S15_S17_T6_T7_T9_mT8_S19_bDpT10_ENKUlT_T0_E_clISt17integral_constantIbLb1EES1L_IbLb0EEEEDaS1H_S1I_EUlS1H_E_NS1_11comp_targetILNS1_3genE0ELNS1_11target_archE4294967295ELNS1_3gpuE0ELNS1_3repE0EEENS1_30default_config_static_selectorELNS0_4arch9wavefront6targetE0EEEvSV_.uses_flat_scratch, 0
	.set _ZN7rocprim17ROCPRIM_400000_NS6detail17trampoline_kernelINS0_13select_configILj256ELj13ELNS0_17block_load_methodE3ELS4_3ELS4_3ELNS0_20block_scan_algorithmE0ELj4294967295EEENS1_25partition_config_selectorILNS1_17partition_subalgoE3EjNS0_10empty_typeEbEEZZNS1_14partition_implILS8_3ELb0ES6_jNS0_17counting_iteratorIjlEEPS9_SE_NS0_5tupleIJPjSE_EEENSF_IJSE_SE_EEES9_SG_JZNS1_25segmented_radix_sort_implINS0_14default_configELb1EPKlPlSM_SN_N2at6native12_GLOBAL__N_18offset_tEEE10hipError_tPvRmT1_PNSt15iterator_traitsISV_E10value_typeET2_T3_PNSW_IS11_E10value_typeET4_jRbjT5_S17_jjP12ihipStream_tbEUljE_EEESS_ST_SU_S11_S15_S17_T6_T7_T9_mT8_S19_bDpT10_ENKUlT_T0_E_clISt17integral_constantIbLb1EES1L_IbLb0EEEEDaS1H_S1I_EUlS1H_E_NS1_11comp_targetILNS1_3genE0ELNS1_11target_archE4294967295ELNS1_3gpuE0ELNS1_3repE0EEENS1_30default_config_static_selectorELNS0_4arch9wavefront6targetE0EEEvSV_.has_dyn_sized_stack, 0
	.set _ZN7rocprim17ROCPRIM_400000_NS6detail17trampoline_kernelINS0_13select_configILj256ELj13ELNS0_17block_load_methodE3ELS4_3ELS4_3ELNS0_20block_scan_algorithmE0ELj4294967295EEENS1_25partition_config_selectorILNS1_17partition_subalgoE3EjNS0_10empty_typeEbEEZZNS1_14partition_implILS8_3ELb0ES6_jNS0_17counting_iteratorIjlEEPS9_SE_NS0_5tupleIJPjSE_EEENSF_IJSE_SE_EEES9_SG_JZNS1_25segmented_radix_sort_implINS0_14default_configELb1EPKlPlSM_SN_N2at6native12_GLOBAL__N_18offset_tEEE10hipError_tPvRmT1_PNSt15iterator_traitsISV_E10value_typeET2_T3_PNSW_IS11_E10value_typeET4_jRbjT5_S17_jjP12ihipStream_tbEUljE_EEESS_ST_SU_S11_S15_S17_T6_T7_T9_mT8_S19_bDpT10_ENKUlT_T0_E_clISt17integral_constantIbLb1EES1L_IbLb0EEEEDaS1H_S1I_EUlS1H_E_NS1_11comp_targetILNS1_3genE0ELNS1_11target_archE4294967295ELNS1_3gpuE0ELNS1_3repE0EEENS1_30default_config_static_selectorELNS0_4arch9wavefront6targetE0EEEvSV_.has_recursion, 0
	.set _ZN7rocprim17ROCPRIM_400000_NS6detail17trampoline_kernelINS0_13select_configILj256ELj13ELNS0_17block_load_methodE3ELS4_3ELS4_3ELNS0_20block_scan_algorithmE0ELj4294967295EEENS1_25partition_config_selectorILNS1_17partition_subalgoE3EjNS0_10empty_typeEbEEZZNS1_14partition_implILS8_3ELb0ES6_jNS0_17counting_iteratorIjlEEPS9_SE_NS0_5tupleIJPjSE_EEENSF_IJSE_SE_EEES9_SG_JZNS1_25segmented_radix_sort_implINS0_14default_configELb1EPKlPlSM_SN_N2at6native12_GLOBAL__N_18offset_tEEE10hipError_tPvRmT1_PNSt15iterator_traitsISV_E10value_typeET2_T3_PNSW_IS11_E10value_typeET4_jRbjT5_S17_jjP12ihipStream_tbEUljE_EEESS_ST_SU_S11_S15_S17_T6_T7_T9_mT8_S19_bDpT10_ENKUlT_T0_E_clISt17integral_constantIbLb1EES1L_IbLb0EEEEDaS1H_S1I_EUlS1H_E_NS1_11comp_targetILNS1_3genE0ELNS1_11target_archE4294967295ELNS1_3gpuE0ELNS1_3repE0EEENS1_30default_config_static_selectorELNS0_4arch9wavefront6targetE0EEEvSV_.has_indirect_call, 0
	.section	.AMDGPU.csdata,"",@progbits
; Kernel info:
; codeLenInByte = 0
; TotalNumSgprs: 0
; NumVgprs: 0
; ScratchSize: 0
; MemoryBound: 0
; FloatMode: 240
; IeeeMode: 1
; LDSByteSize: 0 bytes/workgroup (compile time only)
; SGPRBlocks: 0
; VGPRBlocks: 0
; NumSGPRsForWavesPerEU: 1
; NumVGPRsForWavesPerEU: 1
; Occupancy: 16
; WaveLimiterHint : 0
; COMPUTE_PGM_RSRC2:SCRATCH_EN: 0
; COMPUTE_PGM_RSRC2:USER_SGPR: 2
; COMPUTE_PGM_RSRC2:TRAP_HANDLER: 0
; COMPUTE_PGM_RSRC2:TGID_X_EN: 1
; COMPUTE_PGM_RSRC2:TGID_Y_EN: 0
; COMPUTE_PGM_RSRC2:TGID_Z_EN: 0
; COMPUTE_PGM_RSRC2:TIDIG_COMP_CNT: 0
	.section	.text._ZN7rocprim17ROCPRIM_400000_NS6detail17trampoline_kernelINS0_13select_configILj256ELj13ELNS0_17block_load_methodE3ELS4_3ELS4_3ELNS0_20block_scan_algorithmE0ELj4294967295EEENS1_25partition_config_selectorILNS1_17partition_subalgoE3EjNS0_10empty_typeEbEEZZNS1_14partition_implILS8_3ELb0ES6_jNS0_17counting_iteratorIjlEEPS9_SE_NS0_5tupleIJPjSE_EEENSF_IJSE_SE_EEES9_SG_JZNS1_25segmented_radix_sort_implINS0_14default_configELb1EPKlPlSM_SN_N2at6native12_GLOBAL__N_18offset_tEEE10hipError_tPvRmT1_PNSt15iterator_traitsISV_E10value_typeET2_T3_PNSW_IS11_E10value_typeET4_jRbjT5_S17_jjP12ihipStream_tbEUljE_EEESS_ST_SU_S11_S15_S17_T6_T7_T9_mT8_S19_bDpT10_ENKUlT_T0_E_clISt17integral_constantIbLb1EES1L_IbLb0EEEEDaS1H_S1I_EUlS1H_E_NS1_11comp_targetILNS1_3genE5ELNS1_11target_archE942ELNS1_3gpuE9ELNS1_3repE0EEENS1_30default_config_static_selectorELNS0_4arch9wavefront6targetE0EEEvSV_,"axG",@progbits,_ZN7rocprim17ROCPRIM_400000_NS6detail17trampoline_kernelINS0_13select_configILj256ELj13ELNS0_17block_load_methodE3ELS4_3ELS4_3ELNS0_20block_scan_algorithmE0ELj4294967295EEENS1_25partition_config_selectorILNS1_17partition_subalgoE3EjNS0_10empty_typeEbEEZZNS1_14partition_implILS8_3ELb0ES6_jNS0_17counting_iteratorIjlEEPS9_SE_NS0_5tupleIJPjSE_EEENSF_IJSE_SE_EEES9_SG_JZNS1_25segmented_radix_sort_implINS0_14default_configELb1EPKlPlSM_SN_N2at6native12_GLOBAL__N_18offset_tEEE10hipError_tPvRmT1_PNSt15iterator_traitsISV_E10value_typeET2_T3_PNSW_IS11_E10value_typeET4_jRbjT5_S17_jjP12ihipStream_tbEUljE_EEESS_ST_SU_S11_S15_S17_T6_T7_T9_mT8_S19_bDpT10_ENKUlT_T0_E_clISt17integral_constantIbLb1EES1L_IbLb0EEEEDaS1H_S1I_EUlS1H_E_NS1_11comp_targetILNS1_3genE5ELNS1_11target_archE942ELNS1_3gpuE9ELNS1_3repE0EEENS1_30default_config_static_selectorELNS0_4arch9wavefront6targetE0EEEvSV_,comdat
	.globl	_ZN7rocprim17ROCPRIM_400000_NS6detail17trampoline_kernelINS0_13select_configILj256ELj13ELNS0_17block_load_methodE3ELS4_3ELS4_3ELNS0_20block_scan_algorithmE0ELj4294967295EEENS1_25partition_config_selectorILNS1_17partition_subalgoE3EjNS0_10empty_typeEbEEZZNS1_14partition_implILS8_3ELb0ES6_jNS0_17counting_iteratorIjlEEPS9_SE_NS0_5tupleIJPjSE_EEENSF_IJSE_SE_EEES9_SG_JZNS1_25segmented_radix_sort_implINS0_14default_configELb1EPKlPlSM_SN_N2at6native12_GLOBAL__N_18offset_tEEE10hipError_tPvRmT1_PNSt15iterator_traitsISV_E10value_typeET2_T3_PNSW_IS11_E10value_typeET4_jRbjT5_S17_jjP12ihipStream_tbEUljE_EEESS_ST_SU_S11_S15_S17_T6_T7_T9_mT8_S19_bDpT10_ENKUlT_T0_E_clISt17integral_constantIbLb1EES1L_IbLb0EEEEDaS1H_S1I_EUlS1H_E_NS1_11comp_targetILNS1_3genE5ELNS1_11target_archE942ELNS1_3gpuE9ELNS1_3repE0EEENS1_30default_config_static_selectorELNS0_4arch9wavefront6targetE0EEEvSV_ ; -- Begin function _ZN7rocprim17ROCPRIM_400000_NS6detail17trampoline_kernelINS0_13select_configILj256ELj13ELNS0_17block_load_methodE3ELS4_3ELS4_3ELNS0_20block_scan_algorithmE0ELj4294967295EEENS1_25partition_config_selectorILNS1_17partition_subalgoE3EjNS0_10empty_typeEbEEZZNS1_14partition_implILS8_3ELb0ES6_jNS0_17counting_iteratorIjlEEPS9_SE_NS0_5tupleIJPjSE_EEENSF_IJSE_SE_EEES9_SG_JZNS1_25segmented_radix_sort_implINS0_14default_configELb1EPKlPlSM_SN_N2at6native12_GLOBAL__N_18offset_tEEE10hipError_tPvRmT1_PNSt15iterator_traitsISV_E10value_typeET2_T3_PNSW_IS11_E10value_typeET4_jRbjT5_S17_jjP12ihipStream_tbEUljE_EEESS_ST_SU_S11_S15_S17_T6_T7_T9_mT8_S19_bDpT10_ENKUlT_T0_E_clISt17integral_constantIbLb1EES1L_IbLb0EEEEDaS1H_S1I_EUlS1H_E_NS1_11comp_targetILNS1_3genE5ELNS1_11target_archE942ELNS1_3gpuE9ELNS1_3repE0EEENS1_30default_config_static_selectorELNS0_4arch9wavefront6targetE0EEEvSV_
	.p2align	8
	.type	_ZN7rocprim17ROCPRIM_400000_NS6detail17trampoline_kernelINS0_13select_configILj256ELj13ELNS0_17block_load_methodE3ELS4_3ELS4_3ELNS0_20block_scan_algorithmE0ELj4294967295EEENS1_25partition_config_selectorILNS1_17partition_subalgoE3EjNS0_10empty_typeEbEEZZNS1_14partition_implILS8_3ELb0ES6_jNS0_17counting_iteratorIjlEEPS9_SE_NS0_5tupleIJPjSE_EEENSF_IJSE_SE_EEES9_SG_JZNS1_25segmented_radix_sort_implINS0_14default_configELb1EPKlPlSM_SN_N2at6native12_GLOBAL__N_18offset_tEEE10hipError_tPvRmT1_PNSt15iterator_traitsISV_E10value_typeET2_T3_PNSW_IS11_E10value_typeET4_jRbjT5_S17_jjP12ihipStream_tbEUljE_EEESS_ST_SU_S11_S15_S17_T6_T7_T9_mT8_S19_bDpT10_ENKUlT_T0_E_clISt17integral_constantIbLb1EES1L_IbLb0EEEEDaS1H_S1I_EUlS1H_E_NS1_11comp_targetILNS1_3genE5ELNS1_11target_archE942ELNS1_3gpuE9ELNS1_3repE0EEENS1_30default_config_static_selectorELNS0_4arch9wavefront6targetE0EEEvSV_,@function
_ZN7rocprim17ROCPRIM_400000_NS6detail17trampoline_kernelINS0_13select_configILj256ELj13ELNS0_17block_load_methodE3ELS4_3ELS4_3ELNS0_20block_scan_algorithmE0ELj4294967295EEENS1_25partition_config_selectorILNS1_17partition_subalgoE3EjNS0_10empty_typeEbEEZZNS1_14partition_implILS8_3ELb0ES6_jNS0_17counting_iteratorIjlEEPS9_SE_NS0_5tupleIJPjSE_EEENSF_IJSE_SE_EEES9_SG_JZNS1_25segmented_radix_sort_implINS0_14default_configELb1EPKlPlSM_SN_N2at6native12_GLOBAL__N_18offset_tEEE10hipError_tPvRmT1_PNSt15iterator_traitsISV_E10value_typeET2_T3_PNSW_IS11_E10value_typeET4_jRbjT5_S17_jjP12ihipStream_tbEUljE_EEESS_ST_SU_S11_S15_S17_T6_T7_T9_mT8_S19_bDpT10_ENKUlT_T0_E_clISt17integral_constantIbLb1EES1L_IbLb0EEEEDaS1H_S1I_EUlS1H_E_NS1_11comp_targetILNS1_3genE5ELNS1_11target_archE942ELNS1_3gpuE9ELNS1_3repE0EEENS1_30default_config_static_selectorELNS0_4arch9wavefront6targetE0EEEvSV_: ; @_ZN7rocprim17ROCPRIM_400000_NS6detail17trampoline_kernelINS0_13select_configILj256ELj13ELNS0_17block_load_methodE3ELS4_3ELS4_3ELNS0_20block_scan_algorithmE0ELj4294967295EEENS1_25partition_config_selectorILNS1_17partition_subalgoE3EjNS0_10empty_typeEbEEZZNS1_14partition_implILS8_3ELb0ES6_jNS0_17counting_iteratorIjlEEPS9_SE_NS0_5tupleIJPjSE_EEENSF_IJSE_SE_EEES9_SG_JZNS1_25segmented_radix_sort_implINS0_14default_configELb1EPKlPlSM_SN_N2at6native12_GLOBAL__N_18offset_tEEE10hipError_tPvRmT1_PNSt15iterator_traitsISV_E10value_typeET2_T3_PNSW_IS11_E10value_typeET4_jRbjT5_S17_jjP12ihipStream_tbEUljE_EEESS_ST_SU_S11_S15_S17_T6_T7_T9_mT8_S19_bDpT10_ENKUlT_T0_E_clISt17integral_constantIbLb1EES1L_IbLb0EEEEDaS1H_S1I_EUlS1H_E_NS1_11comp_targetILNS1_3genE5ELNS1_11target_archE942ELNS1_3gpuE9ELNS1_3repE0EEENS1_30default_config_static_selectorELNS0_4arch9wavefront6targetE0EEEvSV_
; %bb.0:
	.section	.rodata,"a",@progbits
	.p2align	6, 0x0
	.amdhsa_kernel _ZN7rocprim17ROCPRIM_400000_NS6detail17trampoline_kernelINS0_13select_configILj256ELj13ELNS0_17block_load_methodE3ELS4_3ELS4_3ELNS0_20block_scan_algorithmE0ELj4294967295EEENS1_25partition_config_selectorILNS1_17partition_subalgoE3EjNS0_10empty_typeEbEEZZNS1_14partition_implILS8_3ELb0ES6_jNS0_17counting_iteratorIjlEEPS9_SE_NS0_5tupleIJPjSE_EEENSF_IJSE_SE_EEES9_SG_JZNS1_25segmented_radix_sort_implINS0_14default_configELb1EPKlPlSM_SN_N2at6native12_GLOBAL__N_18offset_tEEE10hipError_tPvRmT1_PNSt15iterator_traitsISV_E10value_typeET2_T3_PNSW_IS11_E10value_typeET4_jRbjT5_S17_jjP12ihipStream_tbEUljE_EEESS_ST_SU_S11_S15_S17_T6_T7_T9_mT8_S19_bDpT10_ENKUlT_T0_E_clISt17integral_constantIbLb1EES1L_IbLb0EEEEDaS1H_S1I_EUlS1H_E_NS1_11comp_targetILNS1_3genE5ELNS1_11target_archE942ELNS1_3gpuE9ELNS1_3repE0EEENS1_30default_config_static_selectorELNS0_4arch9wavefront6targetE0EEEvSV_
		.amdhsa_group_segment_fixed_size 0
		.amdhsa_private_segment_fixed_size 0
		.amdhsa_kernarg_size 144
		.amdhsa_user_sgpr_count 2
		.amdhsa_user_sgpr_dispatch_ptr 0
		.amdhsa_user_sgpr_queue_ptr 0
		.amdhsa_user_sgpr_kernarg_segment_ptr 1
		.amdhsa_user_sgpr_dispatch_id 0
		.amdhsa_user_sgpr_private_segment_size 0
		.amdhsa_wavefront_size32 1
		.amdhsa_uses_dynamic_stack 0
		.amdhsa_enable_private_segment 0
		.amdhsa_system_sgpr_workgroup_id_x 1
		.amdhsa_system_sgpr_workgroup_id_y 0
		.amdhsa_system_sgpr_workgroup_id_z 0
		.amdhsa_system_sgpr_workgroup_info 0
		.amdhsa_system_vgpr_workitem_id 0
		.amdhsa_next_free_vgpr 1
		.amdhsa_next_free_sgpr 1
		.amdhsa_reserve_vcc 0
		.amdhsa_float_round_mode_32 0
		.amdhsa_float_round_mode_16_64 0
		.amdhsa_float_denorm_mode_32 3
		.amdhsa_float_denorm_mode_16_64 3
		.amdhsa_fp16_overflow 0
		.amdhsa_workgroup_processor_mode 1
		.amdhsa_memory_ordered 1
		.amdhsa_forward_progress 1
		.amdhsa_inst_pref_size 0
		.amdhsa_round_robin_scheduling 0
		.amdhsa_exception_fp_ieee_invalid_op 0
		.amdhsa_exception_fp_denorm_src 0
		.amdhsa_exception_fp_ieee_div_zero 0
		.amdhsa_exception_fp_ieee_overflow 0
		.amdhsa_exception_fp_ieee_underflow 0
		.amdhsa_exception_fp_ieee_inexact 0
		.amdhsa_exception_int_div_zero 0
	.end_amdhsa_kernel
	.section	.text._ZN7rocprim17ROCPRIM_400000_NS6detail17trampoline_kernelINS0_13select_configILj256ELj13ELNS0_17block_load_methodE3ELS4_3ELS4_3ELNS0_20block_scan_algorithmE0ELj4294967295EEENS1_25partition_config_selectorILNS1_17partition_subalgoE3EjNS0_10empty_typeEbEEZZNS1_14partition_implILS8_3ELb0ES6_jNS0_17counting_iteratorIjlEEPS9_SE_NS0_5tupleIJPjSE_EEENSF_IJSE_SE_EEES9_SG_JZNS1_25segmented_radix_sort_implINS0_14default_configELb1EPKlPlSM_SN_N2at6native12_GLOBAL__N_18offset_tEEE10hipError_tPvRmT1_PNSt15iterator_traitsISV_E10value_typeET2_T3_PNSW_IS11_E10value_typeET4_jRbjT5_S17_jjP12ihipStream_tbEUljE_EEESS_ST_SU_S11_S15_S17_T6_T7_T9_mT8_S19_bDpT10_ENKUlT_T0_E_clISt17integral_constantIbLb1EES1L_IbLb0EEEEDaS1H_S1I_EUlS1H_E_NS1_11comp_targetILNS1_3genE5ELNS1_11target_archE942ELNS1_3gpuE9ELNS1_3repE0EEENS1_30default_config_static_selectorELNS0_4arch9wavefront6targetE0EEEvSV_,"axG",@progbits,_ZN7rocprim17ROCPRIM_400000_NS6detail17trampoline_kernelINS0_13select_configILj256ELj13ELNS0_17block_load_methodE3ELS4_3ELS4_3ELNS0_20block_scan_algorithmE0ELj4294967295EEENS1_25partition_config_selectorILNS1_17partition_subalgoE3EjNS0_10empty_typeEbEEZZNS1_14partition_implILS8_3ELb0ES6_jNS0_17counting_iteratorIjlEEPS9_SE_NS0_5tupleIJPjSE_EEENSF_IJSE_SE_EEES9_SG_JZNS1_25segmented_radix_sort_implINS0_14default_configELb1EPKlPlSM_SN_N2at6native12_GLOBAL__N_18offset_tEEE10hipError_tPvRmT1_PNSt15iterator_traitsISV_E10value_typeET2_T3_PNSW_IS11_E10value_typeET4_jRbjT5_S17_jjP12ihipStream_tbEUljE_EEESS_ST_SU_S11_S15_S17_T6_T7_T9_mT8_S19_bDpT10_ENKUlT_T0_E_clISt17integral_constantIbLb1EES1L_IbLb0EEEEDaS1H_S1I_EUlS1H_E_NS1_11comp_targetILNS1_3genE5ELNS1_11target_archE942ELNS1_3gpuE9ELNS1_3repE0EEENS1_30default_config_static_selectorELNS0_4arch9wavefront6targetE0EEEvSV_,comdat
.Lfunc_end689:
	.size	_ZN7rocprim17ROCPRIM_400000_NS6detail17trampoline_kernelINS0_13select_configILj256ELj13ELNS0_17block_load_methodE3ELS4_3ELS4_3ELNS0_20block_scan_algorithmE0ELj4294967295EEENS1_25partition_config_selectorILNS1_17partition_subalgoE3EjNS0_10empty_typeEbEEZZNS1_14partition_implILS8_3ELb0ES6_jNS0_17counting_iteratorIjlEEPS9_SE_NS0_5tupleIJPjSE_EEENSF_IJSE_SE_EEES9_SG_JZNS1_25segmented_radix_sort_implINS0_14default_configELb1EPKlPlSM_SN_N2at6native12_GLOBAL__N_18offset_tEEE10hipError_tPvRmT1_PNSt15iterator_traitsISV_E10value_typeET2_T3_PNSW_IS11_E10value_typeET4_jRbjT5_S17_jjP12ihipStream_tbEUljE_EEESS_ST_SU_S11_S15_S17_T6_T7_T9_mT8_S19_bDpT10_ENKUlT_T0_E_clISt17integral_constantIbLb1EES1L_IbLb0EEEEDaS1H_S1I_EUlS1H_E_NS1_11comp_targetILNS1_3genE5ELNS1_11target_archE942ELNS1_3gpuE9ELNS1_3repE0EEENS1_30default_config_static_selectorELNS0_4arch9wavefront6targetE0EEEvSV_, .Lfunc_end689-_ZN7rocprim17ROCPRIM_400000_NS6detail17trampoline_kernelINS0_13select_configILj256ELj13ELNS0_17block_load_methodE3ELS4_3ELS4_3ELNS0_20block_scan_algorithmE0ELj4294967295EEENS1_25partition_config_selectorILNS1_17partition_subalgoE3EjNS0_10empty_typeEbEEZZNS1_14partition_implILS8_3ELb0ES6_jNS0_17counting_iteratorIjlEEPS9_SE_NS0_5tupleIJPjSE_EEENSF_IJSE_SE_EEES9_SG_JZNS1_25segmented_radix_sort_implINS0_14default_configELb1EPKlPlSM_SN_N2at6native12_GLOBAL__N_18offset_tEEE10hipError_tPvRmT1_PNSt15iterator_traitsISV_E10value_typeET2_T3_PNSW_IS11_E10value_typeET4_jRbjT5_S17_jjP12ihipStream_tbEUljE_EEESS_ST_SU_S11_S15_S17_T6_T7_T9_mT8_S19_bDpT10_ENKUlT_T0_E_clISt17integral_constantIbLb1EES1L_IbLb0EEEEDaS1H_S1I_EUlS1H_E_NS1_11comp_targetILNS1_3genE5ELNS1_11target_archE942ELNS1_3gpuE9ELNS1_3repE0EEENS1_30default_config_static_selectorELNS0_4arch9wavefront6targetE0EEEvSV_
                                        ; -- End function
	.set _ZN7rocprim17ROCPRIM_400000_NS6detail17trampoline_kernelINS0_13select_configILj256ELj13ELNS0_17block_load_methodE3ELS4_3ELS4_3ELNS0_20block_scan_algorithmE0ELj4294967295EEENS1_25partition_config_selectorILNS1_17partition_subalgoE3EjNS0_10empty_typeEbEEZZNS1_14partition_implILS8_3ELb0ES6_jNS0_17counting_iteratorIjlEEPS9_SE_NS0_5tupleIJPjSE_EEENSF_IJSE_SE_EEES9_SG_JZNS1_25segmented_radix_sort_implINS0_14default_configELb1EPKlPlSM_SN_N2at6native12_GLOBAL__N_18offset_tEEE10hipError_tPvRmT1_PNSt15iterator_traitsISV_E10value_typeET2_T3_PNSW_IS11_E10value_typeET4_jRbjT5_S17_jjP12ihipStream_tbEUljE_EEESS_ST_SU_S11_S15_S17_T6_T7_T9_mT8_S19_bDpT10_ENKUlT_T0_E_clISt17integral_constantIbLb1EES1L_IbLb0EEEEDaS1H_S1I_EUlS1H_E_NS1_11comp_targetILNS1_3genE5ELNS1_11target_archE942ELNS1_3gpuE9ELNS1_3repE0EEENS1_30default_config_static_selectorELNS0_4arch9wavefront6targetE0EEEvSV_.num_vgpr, 0
	.set _ZN7rocprim17ROCPRIM_400000_NS6detail17trampoline_kernelINS0_13select_configILj256ELj13ELNS0_17block_load_methodE3ELS4_3ELS4_3ELNS0_20block_scan_algorithmE0ELj4294967295EEENS1_25partition_config_selectorILNS1_17partition_subalgoE3EjNS0_10empty_typeEbEEZZNS1_14partition_implILS8_3ELb0ES6_jNS0_17counting_iteratorIjlEEPS9_SE_NS0_5tupleIJPjSE_EEENSF_IJSE_SE_EEES9_SG_JZNS1_25segmented_radix_sort_implINS0_14default_configELb1EPKlPlSM_SN_N2at6native12_GLOBAL__N_18offset_tEEE10hipError_tPvRmT1_PNSt15iterator_traitsISV_E10value_typeET2_T3_PNSW_IS11_E10value_typeET4_jRbjT5_S17_jjP12ihipStream_tbEUljE_EEESS_ST_SU_S11_S15_S17_T6_T7_T9_mT8_S19_bDpT10_ENKUlT_T0_E_clISt17integral_constantIbLb1EES1L_IbLb0EEEEDaS1H_S1I_EUlS1H_E_NS1_11comp_targetILNS1_3genE5ELNS1_11target_archE942ELNS1_3gpuE9ELNS1_3repE0EEENS1_30default_config_static_selectorELNS0_4arch9wavefront6targetE0EEEvSV_.num_agpr, 0
	.set _ZN7rocprim17ROCPRIM_400000_NS6detail17trampoline_kernelINS0_13select_configILj256ELj13ELNS0_17block_load_methodE3ELS4_3ELS4_3ELNS0_20block_scan_algorithmE0ELj4294967295EEENS1_25partition_config_selectorILNS1_17partition_subalgoE3EjNS0_10empty_typeEbEEZZNS1_14partition_implILS8_3ELb0ES6_jNS0_17counting_iteratorIjlEEPS9_SE_NS0_5tupleIJPjSE_EEENSF_IJSE_SE_EEES9_SG_JZNS1_25segmented_radix_sort_implINS0_14default_configELb1EPKlPlSM_SN_N2at6native12_GLOBAL__N_18offset_tEEE10hipError_tPvRmT1_PNSt15iterator_traitsISV_E10value_typeET2_T3_PNSW_IS11_E10value_typeET4_jRbjT5_S17_jjP12ihipStream_tbEUljE_EEESS_ST_SU_S11_S15_S17_T6_T7_T9_mT8_S19_bDpT10_ENKUlT_T0_E_clISt17integral_constantIbLb1EES1L_IbLb0EEEEDaS1H_S1I_EUlS1H_E_NS1_11comp_targetILNS1_3genE5ELNS1_11target_archE942ELNS1_3gpuE9ELNS1_3repE0EEENS1_30default_config_static_selectorELNS0_4arch9wavefront6targetE0EEEvSV_.numbered_sgpr, 0
	.set _ZN7rocprim17ROCPRIM_400000_NS6detail17trampoline_kernelINS0_13select_configILj256ELj13ELNS0_17block_load_methodE3ELS4_3ELS4_3ELNS0_20block_scan_algorithmE0ELj4294967295EEENS1_25partition_config_selectorILNS1_17partition_subalgoE3EjNS0_10empty_typeEbEEZZNS1_14partition_implILS8_3ELb0ES6_jNS0_17counting_iteratorIjlEEPS9_SE_NS0_5tupleIJPjSE_EEENSF_IJSE_SE_EEES9_SG_JZNS1_25segmented_radix_sort_implINS0_14default_configELb1EPKlPlSM_SN_N2at6native12_GLOBAL__N_18offset_tEEE10hipError_tPvRmT1_PNSt15iterator_traitsISV_E10value_typeET2_T3_PNSW_IS11_E10value_typeET4_jRbjT5_S17_jjP12ihipStream_tbEUljE_EEESS_ST_SU_S11_S15_S17_T6_T7_T9_mT8_S19_bDpT10_ENKUlT_T0_E_clISt17integral_constantIbLb1EES1L_IbLb0EEEEDaS1H_S1I_EUlS1H_E_NS1_11comp_targetILNS1_3genE5ELNS1_11target_archE942ELNS1_3gpuE9ELNS1_3repE0EEENS1_30default_config_static_selectorELNS0_4arch9wavefront6targetE0EEEvSV_.num_named_barrier, 0
	.set _ZN7rocprim17ROCPRIM_400000_NS6detail17trampoline_kernelINS0_13select_configILj256ELj13ELNS0_17block_load_methodE3ELS4_3ELS4_3ELNS0_20block_scan_algorithmE0ELj4294967295EEENS1_25partition_config_selectorILNS1_17partition_subalgoE3EjNS0_10empty_typeEbEEZZNS1_14partition_implILS8_3ELb0ES6_jNS0_17counting_iteratorIjlEEPS9_SE_NS0_5tupleIJPjSE_EEENSF_IJSE_SE_EEES9_SG_JZNS1_25segmented_radix_sort_implINS0_14default_configELb1EPKlPlSM_SN_N2at6native12_GLOBAL__N_18offset_tEEE10hipError_tPvRmT1_PNSt15iterator_traitsISV_E10value_typeET2_T3_PNSW_IS11_E10value_typeET4_jRbjT5_S17_jjP12ihipStream_tbEUljE_EEESS_ST_SU_S11_S15_S17_T6_T7_T9_mT8_S19_bDpT10_ENKUlT_T0_E_clISt17integral_constantIbLb1EES1L_IbLb0EEEEDaS1H_S1I_EUlS1H_E_NS1_11comp_targetILNS1_3genE5ELNS1_11target_archE942ELNS1_3gpuE9ELNS1_3repE0EEENS1_30default_config_static_selectorELNS0_4arch9wavefront6targetE0EEEvSV_.private_seg_size, 0
	.set _ZN7rocprim17ROCPRIM_400000_NS6detail17trampoline_kernelINS0_13select_configILj256ELj13ELNS0_17block_load_methodE3ELS4_3ELS4_3ELNS0_20block_scan_algorithmE0ELj4294967295EEENS1_25partition_config_selectorILNS1_17partition_subalgoE3EjNS0_10empty_typeEbEEZZNS1_14partition_implILS8_3ELb0ES6_jNS0_17counting_iteratorIjlEEPS9_SE_NS0_5tupleIJPjSE_EEENSF_IJSE_SE_EEES9_SG_JZNS1_25segmented_radix_sort_implINS0_14default_configELb1EPKlPlSM_SN_N2at6native12_GLOBAL__N_18offset_tEEE10hipError_tPvRmT1_PNSt15iterator_traitsISV_E10value_typeET2_T3_PNSW_IS11_E10value_typeET4_jRbjT5_S17_jjP12ihipStream_tbEUljE_EEESS_ST_SU_S11_S15_S17_T6_T7_T9_mT8_S19_bDpT10_ENKUlT_T0_E_clISt17integral_constantIbLb1EES1L_IbLb0EEEEDaS1H_S1I_EUlS1H_E_NS1_11comp_targetILNS1_3genE5ELNS1_11target_archE942ELNS1_3gpuE9ELNS1_3repE0EEENS1_30default_config_static_selectorELNS0_4arch9wavefront6targetE0EEEvSV_.uses_vcc, 0
	.set _ZN7rocprim17ROCPRIM_400000_NS6detail17trampoline_kernelINS0_13select_configILj256ELj13ELNS0_17block_load_methodE3ELS4_3ELS4_3ELNS0_20block_scan_algorithmE0ELj4294967295EEENS1_25partition_config_selectorILNS1_17partition_subalgoE3EjNS0_10empty_typeEbEEZZNS1_14partition_implILS8_3ELb0ES6_jNS0_17counting_iteratorIjlEEPS9_SE_NS0_5tupleIJPjSE_EEENSF_IJSE_SE_EEES9_SG_JZNS1_25segmented_radix_sort_implINS0_14default_configELb1EPKlPlSM_SN_N2at6native12_GLOBAL__N_18offset_tEEE10hipError_tPvRmT1_PNSt15iterator_traitsISV_E10value_typeET2_T3_PNSW_IS11_E10value_typeET4_jRbjT5_S17_jjP12ihipStream_tbEUljE_EEESS_ST_SU_S11_S15_S17_T6_T7_T9_mT8_S19_bDpT10_ENKUlT_T0_E_clISt17integral_constantIbLb1EES1L_IbLb0EEEEDaS1H_S1I_EUlS1H_E_NS1_11comp_targetILNS1_3genE5ELNS1_11target_archE942ELNS1_3gpuE9ELNS1_3repE0EEENS1_30default_config_static_selectorELNS0_4arch9wavefront6targetE0EEEvSV_.uses_flat_scratch, 0
	.set _ZN7rocprim17ROCPRIM_400000_NS6detail17trampoline_kernelINS0_13select_configILj256ELj13ELNS0_17block_load_methodE3ELS4_3ELS4_3ELNS0_20block_scan_algorithmE0ELj4294967295EEENS1_25partition_config_selectorILNS1_17partition_subalgoE3EjNS0_10empty_typeEbEEZZNS1_14partition_implILS8_3ELb0ES6_jNS0_17counting_iteratorIjlEEPS9_SE_NS0_5tupleIJPjSE_EEENSF_IJSE_SE_EEES9_SG_JZNS1_25segmented_radix_sort_implINS0_14default_configELb1EPKlPlSM_SN_N2at6native12_GLOBAL__N_18offset_tEEE10hipError_tPvRmT1_PNSt15iterator_traitsISV_E10value_typeET2_T3_PNSW_IS11_E10value_typeET4_jRbjT5_S17_jjP12ihipStream_tbEUljE_EEESS_ST_SU_S11_S15_S17_T6_T7_T9_mT8_S19_bDpT10_ENKUlT_T0_E_clISt17integral_constantIbLb1EES1L_IbLb0EEEEDaS1H_S1I_EUlS1H_E_NS1_11comp_targetILNS1_3genE5ELNS1_11target_archE942ELNS1_3gpuE9ELNS1_3repE0EEENS1_30default_config_static_selectorELNS0_4arch9wavefront6targetE0EEEvSV_.has_dyn_sized_stack, 0
	.set _ZN7rocprim17ROCPRIM_400000_NS6detail17trampoline_kernelINS0_13select_configILj256ELj13ELNS0_17block_load_methodE3ELS4_3ELS4_3ELNS0_20block_scan_algorithmE0ELj4294967295EEENS1_25partition_config_selectorILNS1_17partition_subalgoE3EjNS0_10empty_typeEbEEZZNS1_14partition_implILS8_3ELb0ES6_jNS0_17counting_iteratorIjlEEPS9_SE_NS0_5tupleIJPjSE_EEENSF_IJSE_SE_EEES9_SG_JZNS1_25segmented_radix_sort_implINS0_14default_configELb1EPKlPlSM_SN_N2at6native12_GLOBAL__N_18offset_tEEE10hipError_tPvRmT1_PNSt15iterator_traitsISV_E10value_typeET2_T3_PNSW_IS11_E10value_typeET4_jRbjT5_S17_jjP12ihipStream_tbEUljE_EEESS_ST_SU_S11_S15_S17_T6_T7_T9_mT8_S19_bDpT10_ENKUlT_T0_E_clISt17integral_constantIbLb1EES1L_IbLb0EEEEDaS1H_S1I_EUlS1H_E_NS1_11comp_targetILNS1_3genE5ELNS1_11target_archE942ELNS1_3gpuE9ELNS1_3repE0EEENS1_30default_config_static_selectorELNS0_4arch9wavefront6targetE0EEEvSV_.has_recursion, 0
	.set _ZN7rocprim17ROCPRIM_400000_NS6detail17trampoline_kernelINS0_13select_configILj256ELj13ELNS0_17block_load_methodE3ELS4_3ELS4_3ELNS0_20block_scan_algorithmE0ELj4294967295EEENS1_25partition_config_selectorILNS1_17partition_subalgoE3EjNS0_10empty_typeEbEEZZNS1_14partition_implILS8_3ELb0ES6_jNS0_17counting_iteratorIjlEEPS9_SE_NS0_5tupleIJPjSE_EEENSF_IJSE_SE_EEES9_SG_JZNS1_25segmented_radix_sort_implINS0_14default_configELb1EPKlPlSM_SN_N2at6native12_GLOBAL__N_18offset_tEEE10hipError_tPvRmT1_PNSt15iterator_traitsISV_E10value_typeET2_T3_PNSW_IS11_E10value_typeET4_jRbjT5_S17_jjP12ihipStream_tbEUljE_EEESS_ST_SU_S11_S15_S17_T6_T7_T9_mT8_S19_bDpT10_ENKUlT_T0_E_clISt17integral_constantIbLb1EES1L_IbLb0EEEEDaS1H_S1I_EUlS1H_E_NS1_11comp_targetILNS1_3genE5ELNS1_11target_archE942ELNS1_3gpuE9ELNS1_3repE0EEENS1_30default_config_static_selectorELNS0_4arch9wavefront6targetE0EEEvSV_.has_indirect_call, 0
	.section	.AMDGPU.csdata,"",@progbits
; Kernel info:
; codeLenInByte = 0
; TotalNumSgprs: 0
; NumVgprs: 0
; ScratchSize: 0
; MemoryBound: 0
; FloatMode: 240
; IeeeMode: 1
; LDSByteSize: 0 bytes/workgroup (compile time only)
; SGPRBlocks: 0
; VGPRBlocks: 0
; NumSGPRsForWavesPerEU: 1
; NumVGPRsForWavesPerEU: 1
; Occupancy: 16
; WaveLimiterHint : 0
; COMPUTE_PGM_RSRC2:SCRATCH_EN: 0
; COMPUTE_PGM_RSRC2:USER_SGPR: 2
; COMPUTE_PGM_RSRC2:TRAP_HANDLER: 0
; COMPUTE_PGM_RSRC2:TGID_X_EN: 1
; COMPUTE_PGM_RSRC2:TGID_Y_EN: 0
; COMPUTE_PGM_RSRC2:TGID_Z_EN: 0
; COMPUTE_PGM_RSRC2:TIDIG_COMP_CNT: 0
	.section	.text._ZN7rocprim17ROCPRIM_400000_NS6detail17trampoline_kernelINS0_13select_configILj256ELj13ELNS0_17block_load_methodE3ELS4_3ELS4_3ELNS0_20block_scan_algorithmE0ELj4294967295EEENS1_25partition_config_selectorILNS1_17partition_subalgoE3EjNS0_10empty_typeEbEEZZNS1_14partition_implILS8_3ELb0ES6_jNS0_17counting_iteratorIjlEEPS9_SE_NS0_5tupleIJPjSE_EEENSF_IJSE_SE_EEES9_SG_JZNS1_25segmented_radix_sort_implINS0_14default_configELb1EPKlPlSM_SN_N2at6native12_GLOBAL__N_18offset_tEEE10hipError_tPvRmT1_PNSt15iterator_traitsISV_E10value_typeET2_T3_PNSW_IS11_E10value_typeET4_jRbjT5_S17_jjP12ihipStream_tbEUljE_EEESS_ST_SU_S11_S15_S17_T6_T7_T9_mT8_S19_bDpT10_ENKUlT_T0_E_clISt17integral_constantIbLb1EES1L_IbLb0EEEEDaS1H_S1I_EUlS1H_E_NS1_11comp_targetILNS1_3genE4ELNS1_11target_archE910ELNS1_3gpuE8ELNS1_3repE0EEENS1_30default_config_static_selectorELNS0_4arch9wavefront6targetE0EEEvSV_,"axG",@progbits,_ZN7rocprim17ROCPRIM_400000_NS6detail17trampoline_kernelINS0_13select_configILj256ELj13ELNS0_17block_load_methodE3ELS4_3ELS4_3ELNS0_20block_scan_algorithmE0ELj4294967295EEENS1_25partition_config_selectorILNS1_17partition_subalgoE3EjNS0_10empty_typeEbEEZZNS1_14partition_implILS8_3ELb0ES6_jNS0_17counting_iteratorIjlEEPS9_SE_NS0_5tupleIJPjSE_EEENSF_IJSE_SE_EEES9_SG_JZNS1_25segmented_radix_sort_implINS0_14default_configELb1EPKlPlSM_SN_N2at6native12_GLOBAL__N_18offset_tEEE10hipError_tPvRmT1_PNSt15iterator_traitsISV_E10value_typeET2_T3_PNSW_IS11_E10value_typeET4_jRbjT5_S17_jjP12ihipStream_tbEUljE_EEESS_ST_SU_S11_S15_S17_T6_T7_T9_mT8_S19_bDpT10_ENKUlT_T0_E_clISt17integral_constantIbLb1EES1L_IbLb0EEEEDaS1H_S1I_EUlS1H_E_NS1_11comp_targetILNS1_3genE4ELNS1_11target_archE910ELNS1_3gpuE8ELNS1_3repE0EEENS1_30default_config_static_selectorELNS0_4arch9wavefront6targetE0EEEvSV_,comdat
	.globl	_ZN7rocprim17ROCPRIM_400000_NS6detail17trampoline_kernelINS0_13select_configILj256ELj13ELNS0_17block_load_methodE3ELS4_3ELS4_3ELNS0_20block_scan_algorithmE0ELj4294967295EEENS1_25partition_config_selectorILNS1_17partition_subalgoE3EjNS0_10empty_typeEbEEZZNS1_14partition_implILS8_3ELb0ES6_jNS0_17counting_iteratorIjlEEPS9_SE_NS0_5tupleIJPjSE_EEENSF_IJSE_SE_EEES9_SG_JZNS1_25segmented_radix_sort_implINS0_14default_configELb1EPKlPlSM_SN_N2at6native12_GLOBAL__N_18offset_tEEE10hipError_tPvRmT1_PNSt15iterator_traitsISV_E10value_typeET2_T3_PNSW_IS11_E10value_typeET4_jRbjT5_S17_jjP12ihipStream_tbEUljE_EEESS_ST_SU_S11_S15_S17_T6_T7_T9_mT8_S19_bDpT10_ENKUlT_T0_E_clISt17integral_constantIbLb1EES1L_IbLb0EEEEDaS1H_S1I_EUlS1H_E_NS1_11comp_targetILNS1_3genE4ELNS1_11target_archE910ELNS1_3gpuE8ELNS1_3repE0EEENS1_30default_config_static_selectorELNS0_4arch9wavefront6targetE0EEEvSV_ ; -- Begin function _ZN7rocprim17ROCPRIM_400000_NS6detail17trampoline_kernelINS0_13select_configILj256ELj13ELNS0_17block_load_methodE3ELS4_3ELS4_3ELNS0_20block_scan_algorithmE0ELj4294967295EEENS1_25partition_config_selectorILNS1_17partition_subalgoE3EjNS0_10empty_typeEbEEZZNS1_14partition_implILS8_3ELb0ES6_jNS0_17counting_iteratorIjlEEPS9_SE_NS0_5tupleIJPjSE_EEENSF_IJSE_SE_EEES9_SG_JZNS1_25segmented_radix_sort_implINS0_14default_configELb1EPKlPlSM_SN_N2at6native12_GLOBAL__N_18offset_tEEE10hipError_tPvRmT1_PNSt15iterator_traitsISV_E10value_typeET2_T3_PNSW_IS11_E10value_typeET4_jRbjT5_S17_jjP12ihipStream_tbEUljE_EEESS_ST_SU_S11_S15_S17_T6_T7_T9_mT8_S19_bDpT10_ENKUlT_T0_E_clISt17integral_constantIbLb1EES1L_IbLb0EEEEDaS1H_S1I_EUlS1H_E_NS1_11comp_targetILNS1_3genE4ELNS1_11target_archE910ELNS1_3gpuE8ELNS1_3repE0EEENS1_30default_config_static_selectorELNS0_4arch9wavefront6targetE0EEEvSV_
	.p2align	8
	.type	_ZN7rocprim17ROCPRIM_400000_NS6detail17trampoline_kernelINS0_13select_configILj256ELj13ELNS0_17block_load_methodE3ELS4_3ELS4_3ELNS0_20block_scan_algorithmE0ELj4294967295EEENS1_25partition_config_selectorILNS1_17partition_subalgoE3EjNS0_10empty_typeEbEEZZNS1_14partition_implILS8_3ELb0ES6_jNS0_17counting_iteratorIjlEEPS9_SE_NS0_5tupleIJPjSE_EEENSF_IJSE_SE_EEES9_SG_JZNS1_25segmented_radix_sort_implINS0_14default_configELb1EPKlPlSM_SN_N2at6native12_GLOBAL__N_18offset_tEEE10hipError_tPvRmT1_PNSt15iterator_traitsISV_E10value_typeET2_T3_PNSW_IS11_E10value_typeET4_jRbjT5_S17_jjP12ihipStream_tbEUljE_EEESS_ST_SU_S11_S15_S17_T6_T7_T9_mT8_S19_bDpT10_ENKUlT_T0_E_clISt17integral_constantIbLb1EES1L_IbLb0EEEEDaS1H_S1I_EUlS1H_E_NS1_11comp_targetILNS1_3genE4ELNS1_11target_archE910ELNS1_3gpuE8ELNS1_3repE0EEENS1_30default_config_static_selectorELNS0_4arch9wavefront6targetE0EEEvSV_,@function
_ZN7rocprim17ROCPRIM_400000_NS6detail17trampoline_kernelINS0_13select_configILj256ELj13ELNS0_17block_load_methodE3ELS4_3ELS4_3ELNS0_20block_scan_algorithmE0ELj4294967295EEENS1_25partition_config_selectorILNS1_17partition_subalgoE3EjNS0_10empty_typeEbEEZZNS1_14partition_implILS8_3ELb0ES6_jNS0_17counting_iteratorIjlEEPS9_SE_NS0_5tupleIJPjSE_EEENSF_IJSE_SE_EEES9_SG_JZNS1_25segmented_radix_sort_implINS0_14default_configELb1EPKlPlSM_SN_N2at6native12_GLOBAL__N_18offset_tEEE10hipError_tPvRmT1_PNSt15iterator_traitsISV_E10value_typeET2_T3_PNSW_IS11_E10value_typeET4_jRbjT5_S17_jjP12ihipStream_tbEUljE_EEESS_ST_SU_S11_S15_S17_T6_T7_T9_mT8_S19_bDpT10_ENKUlT_T0_E_clISt17integral_constantIbLb1EES1L_IbLb0EEEEDaS1H_S1I_EUlS1H_E_NS1_11comp_targetILNS1_3genE4ELNS1_11target_archE910ELNS1_3gpuE8ELNS1_3repE0EEENS1_30default_config_static_selectorELNS0_4arch9wavefront6targetE0EEEvSV_: ; @_ZN7rocprim17ROCPRIM_400000_NS6detail17trampoline_kernelINS0_13select_configILj256ELj13ELNS0_17block_load_methodE3ELS4_3ELS4_3ELNS0_20block_scan_algorithmE0ELj4294967295EEENS1_25partition_config_selectorILNS1_17partition_subalgoE3EjNS0_10empty_typeEbEEZZNS1_14partition_implILS8_3ELb0ES6_jNS0_17counting_iteratorIjlEEPS9_SE_NS0_5tupleIJPjSE_EEENSF_IJSE_SE_EEES9_SG_JZNS1_25segmented_radix_sort_implINS0_14default_configELb1EPKlPlSM_SN_N2at6native12_GLOBAL__N_18offset_tEEE10hipError_tPvRmT1_PNSt15iterator_traitsISV_E10value_typeET2_T3_PNSW_IS11_E10value_typeET4_jRbjT5_S17_jjP12ihipStream_tbEUljE_EEESS_ST_SU_S11_S15_S17_T6_T7_T9_mT8_S19_bDpT10_ENKUlT_T0_E_clISt17integral_constantIbLb1EES1L_IbLb0EEEEDaS1H_S1I_EUlS1H_E_NS1_11comp_targetILNS1_3genE4ELNS1_11target_archE910ELNS1_3gpuE8ELNS1_3repE0EEENS1_30default_config_static_selectorELNS0_4arch9wavefront6targetE0EEEvSV_
; %bb.0:
	.section	.rodata,"a",@progbits
	.p2align	6, 0x0
	.amdhsa_kernel _ZN7rocprim17ROCPRIM_400000_NS6detail17trampoline_kernelINS0_13select_configILj256ELj13ELNS0_17block_load_methodE3ELS4_3ELS4_3ELNS0_20block_scan_algorithmE0ELj4294967295EEENS1_25partition_config_selectorILNS1_17partition_subalgoE3EjNS0_10empty_typeEbEEZZNS1_14partition_implILS8_3ELb0ES6_jNS0_17counting_iteratorIjlEEPS9_SE_NS0_5tupleIJPjSE_EEENSF_IJSE_SE_EEES9_SG_JZNS1_25segmented_radix_sort_implINS0_14default_configELb1EPKlPlSM_SN_N2at6native12_GLOBAL__N_18offset_tEEE10hipError_tPvRmT1_PNSt15iterator_traitsISV_E10value_typeET2_T3_PNSW_IS11_E10value_typeET4_jRbjT5_S17_jjP12ihipStream_tbEUljE_EEESS_ST_SU_S11_S15_S17_T6_T7_T9_mT8_S19_bDpT10_ENKUlT_T0_E_clISt17integral_constantIbLb1EES1L_IbLb0EEEEDaS1H_S1I_EUlS1H_E_NS1_11comp_targetILNS1_3genE4ELNS1_11target_archE910ELNS1_3gpuE8ELNS1_3repE0EEENS1_30default_config_static_selectorELNS0_4arch9wavefront6targetE0EEEvSV_
		.amdhsa_group_segment_fixed_size 0
		.amdhsa_private_segment_fixed_size 0
		.amdhsa_kernarg_size 144
		.amdhsa_user_sgpr_count 2
		.amdhsa_user_sgpr_dispatch_ptr 0
		.amdhsa_user_sgpr_queue_ptr 0
		.amdhsa_user_sgpr_kernarg_segment_ptr 1
		.amdhsa_user_sgpr_dispatch_id 0
		.amdhsa_user_sgpr_private_segment_size 0
		.amdhsa_wavefront_size32 1
		.amdhsa_uses_dynamic_stack 0
		.amdhsa_enable_private_segment 0
		.amdhsa_system_sgpr_workgroup_id_x 1
		.amdhsa_system_sgpr_workgroup_id_y 0
		.amdhsa_system_sgpr_workgroup_id_z 0
		.amdhsa_system_sgpr_workgroup_info 0
		.amdhsa_system_vgpr_workitem_id 0
		.amdhsa_next_free_vgpr 1
		.amdhsa_next_free_sgpr 1
		.amdhsa_reserve_vcc 0
		.amdhsa_float_round_mode_32 0
		.amdhsa_float_round_mode_16_64 0
		.amdhsa_float_denorm_mode_32 3
		.amdhsa_float_denorm_mode_16_64 3
		.amdhsa_fp16_overflow 0
		.amdhsa_workgroup_processor_mode 1
		.amdhsa_memory_ordered 1
		.amdhsa_forward_progress 1
		.amdhsa_inst_pref_size 0
		.amdhsa_round_robin_scheduling 0
		.amdhsa_exception_fp_ieee_invalid_op 0
		.amdhsa_exception_fp_denorm_src 0
		.amdhsa_exception_fp_ieee_div_zero 0
		.amdhsa_exception_fp_ieee_overflow 0
		.amdhsa_exception_fp_ieee_underflow 0
		.amdhsa_exception_fp_ieee_inexact 0
		.amdhsa_exception_int_div_zero 0
	.end_amdhsa_kernel
	.section	.text._ZN7rocprim17ROCPRIM_400000_NS6detail17trampoline_kernelINS0_13select_configILj256ELj13ELNS0_17block_load_methodE3ELS4_3ELS4_3ELNS0_20block_scan_algorithmE0ELj4294967295EEENS1_25partition_config_selectorILNS1_17partition_subalgoE3EjNS0_10empty_typeEbEEZZNS1_14partition_implILS8_3ELb0ES6_jNS0_17counting_iteratorIjlEEPS9_SE_NS0_5tupleIJPjSE_EEENSF_IJSE_SE_EEES9_SG_JZNS1_25segmented_radix_sort_implINS0_14default_configELb1EPKlPlSM_SN_N2at6native12_GLOBAL__N_18offset_tEEE10hipError_tPvRmT1_PNSt15iterator_traitsISV_E10value_typeET2_T3_PNSW_IS11_E10value_typeET4_jRbjT5_S17_jjP12ihipStream_tbEUljE_EEESS_ST_SU_S11_S15_S17_T6_T7_T9_mT8_S19_bDpT10_ENKUlT_T0_E_clISt17integral_constantIbLb1EES1L_IbLb0EEEEDaS1H_S1I_EUlS1H_E_NS1_11comp_targetILNS1_3genE4ELNS1_11target_archE910ELNS1_3gpuE8ELNS1_3repE0EEENS1_30default_config_static_selectorELNS0_4arch9wavefront6targetE0EEEvSV_,"axG",@progbits,_ZN7rocprim17ROCPRIM_400000_NS6detail17trampoline_kernelINS0_13select_configILj256ELj13ELNS0_17block_load_methodE3ELS4_3ELS4_3ELNS0_20block_scan_algorithmE0ELj4294967295EEENS1_25partition_config_selectorILNS1_17partition_subalgoE3EjNS0_10empty_typeEbEEZZNS1_14partition_implILS8_3ELb0ES6_jNS0_17counting_iteratorIjlEEPS9_SE_NS0_5tupleIJPjSE_EEENSF_IJSE_SE_EEES9_SG_JZNS1_25segmented_radix_sort_implINS0_14default_configELb1EPKlPlSM_SN_N2at6native12_GLOBAL__N_18offset_tEEE10hipError_tPvRmT1_PNSt15iterator_traitsISV_E10value_typeET2_T3_PNSW_IS11_E10value_typeET4_jRbjT5_S17_jjP12ihipStream_tbEUljE_EEESS_ST_SU_S11_S15_S17_T6_T7_T9_mT8_S19_bDpT10_ENKUlT_T0_E_clISt17integral_constantIbLb1EES1L_IbLb0EEEEDaS1H_S1I_EUlS1H_E_NS1_11comp_targetILNS1_3genE4ELNS1_11target_archE910ELNS1_3gpuE8ELNS1_3repE0EEENS1_30default_config_static_selectorELNS0_4arch9wavefront6targetE0EEEvSV_,comdat
.Lfunc_end690:
	.size	_ZN7rocprim17ROCPRIM_400000_NS6detail17trampoline_kernelINS0_13select_configILj256ELj13ELNS0_17block_load_methodE3ELS4_3ELS4_3ELNS0_20block_scan_algorithmE0ELj4294967295EEENS1_25partition_config_selectorILNS1_17partition_subalgoE3EjNS0_10empty_typeEbEEZZNS1_14partition_implILS8_3ELb0ES6_jNS0_17counting_iteratorIjlEEPS9_SE_NS0_5tupleIJPjSE_EEENSF_IJSE_SE_EEES9_SG_JZNS1_25segmented_radix_sort_implINS0_14default_configELb1EPKlPlSM_SN_N2at6native12_GLOBAL__N_18offset_tEEE10hipError_tPvRmT1_PNSt15iterator_traitsISV_E10value_typeET2_T3_PNSW_IS11_E10value_typeET4_jRbjT5_S17_jjP12ihipStream_tbEUljE_EEESS_ST_SU_S11_S15_S17_T6_T7_T9_mT8_S19_bDpT10_ENKUlT_T0_E_clISt17integral_constantIbLb1EES1L_IbLb0EEEEDaS1H_S1I_EUlS1H_E_NS1_11comp_targetILNS1_3genE4ELNS1_11target_archE910ELNS1_3gpuE8ELNS1_3repE0EEENS1_30default_config_static_selectorELNS0_4arch9wavefront6targetE0EEEvSV_, .Lfunc_end690-_ZN7rocprim17ROCPRIM_400000_NS6detail17trampoline_kernelINS0_13select_configILj256ELj13ELNS0_17block_load_methodE3ELS4_3ELS4_3ELNS0_20block_scan_algorithmE0ELj4294967295EEENS1_25partition_config_selectorILNS1_17partition_subalgoE3EjNS0_10empty_typeEbEEZZNS1_14partition_implILS8_3ELb0ES6_jNS0_17counting_iteratorIjlEEPS9_SE_NS0_5tupleIJPjSE_EEENSF_IJSE_SE_EEES9_SG_JZNS1_25segmented_radix_sort_implINS0_14default_configELb1EPKlPlSM_SN_N2at6native12_GLOBAL__N_18offset_tEEE10hipError_tPvRmT1_PNSt15iterator_traitsISV_E10value_typeET2_T3_PNSW_IS11_E10value_typeET4_jRbjT5_S17_jjP12ihipStream_tbEUljE_EEESS_ST_SU_S11_S15_S17_T6_T7_T9_mT8_S19_bDpT10_ENKUlT_T0_E_clISt17integral_constantIbLb1EES1L_IbLb0EEEEDaS1H_S1I_EUlS1H_E_NS1_11comp_targetILNS1_3genE4ELNS1_11target_archE910ELNS1_3gpuE8ELNS1_3repE0EEENS1_30default_config_static_selectorELNS0_4arch9wavefront6targetE0EEEvSV_
                                        ; -- End function
	.set _ZN7rocprim17ROCPRIM_400000_NS6detail17trampoline_kernelINS0_13select_configILj256ELj13ELNS0_17block_load_methodE3ELS4_3ELS4_3ELNS0_20block_scan_algorithmE0ELj4294967295EEENS1_25partition_config_selectorILNS1_17partition_subalgoE3EjNS0_10empty_typeEbEEZZNS1_14partition_implILS8_3ELb0ES6_jNS0_17counting_iteratorIjlEEPS9_SE_NS0_5tupleIJPjSE_EEENSF_IJSE_SE_EEES9_SG_JZNS1_25segmented_radix_sort_implINS0_14default_configELb1EPKlPlSM_SN_N2at6native12_GLOBAL__N_18offset_tEEE10hipError_tPvRmT1_PNSt15iterator_traitsISV_E10value_typeET2_T3_PNSW_IS11_E10value_typeET4_jRbjT5_S17_jjP12ihipStream_tbEUljE_EEESS_ST_SU_S11_S15_S17_T6_T7_T9_mT8_S19_bDpT10_ENKUlT_T0_E_clISt17integral_constantIbLb1EES1L_IbLb0EEEEDaS1H_S1I_EUlS1H_E_NS1_11comp_targetILNS1_3genE4ELNS1_11target_archE910ELNS1_3gpuE8ELNS1_3repE0EEENS1_30default_config_static_selectorELNS0_4arch9wavefront6targetE0EEEvSV_.num_vgpr, 0
	.set _ZN7rocprim17ROCPRIM_400000_NS6detail17trampoline_kernelINS0_13select_configILj256ELj13ELNS0_17block_load_methodE3ELS4_3ELS4_3ELNS0_20block_scan_algorithmE0ELj4294967295EEENS1_25partition_config_selectorILNS1_17partition_subalgoE3EjNS0_10empty_typeEbEEZZNS1_14partition_implILS8_3ELb0ES6_jNS0_17counting_iteratorIjlEEPS9_SE_NS0_5tupleIJPjSE_EEENSF_IJSE_SE_EEES9_SG_JZNS1_25segmented_radix_sort_implINS0_14default_configELb1EPKlPlSM_SN_N2at6native12_GLOBAL__N_18offset_tEEE10hipError_tPvRmT1_PNSt15iterator_traitsISV_E10value_typeET2_T3_PNSW_IS11_E10value_typeET4_jRbjT5_S17_jjP12ihipStream_tbEUljE_EEESS_ST_SU_S11_S15_S17_T6_T7_T9_mT8_S19_bDpT10_ENKUlT_T0_E_clISt17integral_constantIbLb1EES1L_IbLb0EEEEDaS1H_S1I_EUlS1H_E_NS1_11comp_targetILNS1_3genE4ELNS1_11target_archE910ELNS1_3gpuE8ELNS1_3repE0EEENS1_30default_config_static_selectorELNS0_4arch9wavefront6targetE0EEEvSV_.num_agpr, 0
	.set _ZN7rocprim17ROCPRIM_400000_NS6detail17trampoline_kernelINS0_13select_configILj256ELj13ELNS0_17block_load_methodE3ELS4_3ELS4_3ELNS0_20block_scan_algorithmE0ELj4294967295EEENS1_25partition_config_selectorILNS1_17partition_subalgoE3EjNS0_10empty_typeEbEEZZNS1_14partition_implILS8_3ELb0ES6_jNS0_17counting_iteratorIjlEEPS9_SE_NS0_5tupleIJPjSE_EEENSF_IJSE_SE_EEES9_SG_JZNS1_25segmented_radix_sort_implINS0_14default_configELb1EPKlPlSM_SN_N2at6native12_GLOBAL__N_18offset_tEEE10hipError_tPvRmT1_PNSt15iterator_traitsISV_E10value_typeET2_T3_PNSW_IS11_E10value_typeET4_jRbjT5_S17_jjP12ihipStream_tbEUljE_EEESS_ST_SU_S11_S15_S17_T6_T7_T9_mT8_S19_bDpT10_ENKUlT_T0_E_clISt17integral_constantIbLb1EES1L_IbLb0EEEEDaS1H_S1I_EUlS1H_E_NS1_11comp_targetILNS1_3genE4ELNS1_11target_archE910ELNS1_3gpuE8ELNS1_3repE0EEENS1_30default_config_static_selectorELNS0_4arch9wavefront6targetE0EEEvSV_.numbered_sgpr, 0
	.set _ZN7rocprim17ROCPRIM_400000_NS6detail17trampoline_kernelINS0_13select_configILj256ELj13ELNS0_17block_load_methodE3ELS4_3ELS4_3ELNS0_20block_scan_algorithmE0ELj4294967295EEENS1_25partition_config_selectorILNS1_17partition_subalgoE3EjNS0_10empty_typeEbEEZZNS1_14partition_implILS8_3ELb0ES6_jNS0_17counting_iteratorIjlEEPS9_SE_NS0_5tupleIJPjSE_EEENSF_IJSE_SE_EEES9_SG_JZNS1_25segmented_radix_sort_implINS0_14default_configELb1EPKlPlSM_SN_N2at6native12_GLOBAL__N_18offset_tEEE10hipError_tPvRmT1_PNSt15iterator_traitsISV_E10value_typeET2_T3_PNSW_IS11_E10value_typeET4_jRbjT5_S17_jjP12ihipStream_tbEUljE_EEESS_ST_SU_S11_S15_S17_T6_T7_T9_mT8_S19_bDpT10_ENKUlT_T0_E_clISt17integral_constantIbLb1EES1L_IbLb0EEEEDaS1H_S1I_EUlS1H_E_NS1_11comp_targetILNS1_3genE4ELNS1_11target_archE910ELNS1_3gpuE8ELNS1_3repE0EEENS1_30default_config_static_selectorELNS0_4arch9wavefront6targetE0EEEvSV_.num_named_barrier, 0
	.set _ZN7rocprim17ROCPRIM_400000_NS6detail17trampoline_kernelINS0_13select_configILj256ELj13ELNS0_17block_load_methodE3ELS4_3ELS4_3ELNS0_20block_scan_algorithmE0ELj4294967295EEENS1_25partition_config_selectorILNS1_17partition_subalgoE3EjNS0_10empty_typeEbEEZZNS1_14partition_implILS8_3ELb0ES6_jNS0_17counting_iteratorIjlEEPS9_SE_NS0_5tupleIJPjSE_EEENSF_IJSE_SE_EEES9_SG_JZNS1_25segmented_radix_sort_implINS0_14default_configELb1EPKlPlSM_SN_N2at6native12_GLOBAL__N_18offset_tEEE10hipError_tPvRmT1_PNSt15iterator_traitsISV_E10value_typeET2_T3_PNSW_IS11_E10value_typeET4_jRbjT5_S17_jjP12ihipStream_tbEUljE_EEESS_ST_SU_S11_S15_S17_T6_T7_T9_mT8_S19_bDpT10_ENKUlT_T0_E_clISt17integral_constantIbLb1EES1L_IbLb0EEEEDaS1H_S1I_EUlS1H_E_NS1_11comp_targetILNS1_3genE4ELNS1_11target_archE910ELNS1_3gpuE8ELNS1_3repE0EEENS1_30default_config_static_selectorELNS0_4arch9wavefront6targetE0EEEvSV_.private_seg_size, 0
	.set _ZN7rocprim17ROCPRIM_400000_NS6detail17trampoline_kernelINS0_13select_configILj256ELj13ELNS0_17block_load_methodE3ELS4_3ELS4_3ELNS0_20block_scan_algorithmE0ELj4294967295EEENS1_25partition_config_selectorILNS1_17partition_subalgoE3EjNS0_10empty_typeEbEEZZNS1_14partition_implILS8_3ELb0ES6_jNS0_17counting_iteratorIjlEEPS9_SE_NS0_5tupleIJPjSE_EEENSF_IJSE_SE_EEES9_SG_JZNS1_25segmented_radix_sort_implINS0_14default_configELb1EPKlPlSM_SN_N2at6native12_GLOBAL__N_18offset_tEEE10hipError_tPvRmT1_PNSt15iterator_traitsISV_E10value_typeET2_T3_PNSW_IS11_E10value_typeET4_jRbjT5_S17_jjP12ihipStream_tbEUljE_EEESS_ST_SU_S11_S15_S17_T6_T7_T9_mT8_S19_bDpT10_ENKUlT_T0_E_clISt17integral_constantIbLb1EES1L_IbLb0EEEEDaS1H_S1I_EUlS1H_E_NS1_11comp_targetILNS1_3genE4ELNS1_11target_archE910ELNS1_3gpuE8ELNS1_3repE0EEENS1_30default_config_static_selectorELNS0_4arch9wavefront6targetE0EEEvSV_.uses_vcc, 0
	.set _ZN7rocprim17ROCPRIM_400000_NS6detail17trampoline_kernelINS0_13select_configILj256ELj13ELNS0_17block_load_methodE3ELS4_3ELS4_3ELNS0_20block_scan_algorithmE0ELj4294967295EEENS1_25partition_config_selectorILNS1_17partition_subalgoE3EjNS0_10empty_typeEbEEZZNS1_14partition_implILS8_3ELb0ES6_jNS0_17counting_iteratorIjlEEPS9_SE_NS0_5tupleIJPjSE_EEENSF_IJSE_SE_EEES9_SG_JZNS1_25segmented_radix_sort_implINS0_14default_configELb1EPKlPlSM_SN_N2at6native12_GLOBAL__N_18offset_tEEE10hipError_tPvRmT1_PNSt15iterator_traitsISV_E10value_typeET2_T3_PNSW_IS11_E10value_typeET4_jRbjT5_S17_jjP12ihipStream_tbEUljE_EEESS_ST_SU_S11_S15_S17_T6_T7_T9_mT8_S19_bDpT10_ENKUlT_T0_E_clISt17integral_constantIbLb1EES1L_IbLb0EEEEDaS1H_S1I_EUlS1H_E_NS1_11comp_targetILNS1_3genE4ELNS1_11target_archE910ELNS1_3gpuE8ELNS1_3repE0EEENS1_30default_config_static_selectorELNS0_4arch9wavefront6targetE0EEEvSV_.uses_flat_scratch, 0
	.set _ZN7rocprim17ROCPRIM_400000_NS6detail17trampoline_kernelINS0_13select_configILj256ELj13ELNS0_17block_load_methodE3ELS4_3ELS4_3ELNS0_20block_scan_algorithmE0ELj4294967295EEENS1_25partition_config_selectorILNS1_17partition_subalgoE3EjNS0_10empty_typeEbEEZZNS1_14partition_implILS8_3ELb0ES6_jNS0_17counting_iteratorIjlEEPS9_SE_NS0_5tupleIJPjSE_EEENSF_IJSE_SE_EEES9_SG_JZNS1_25segmented_radix_sort_implINS0_14default_configELb1EPKlPlSM_SN_N2at6native12_GLOBAL__N_18offset_tEEE10hipError_tPvRmT1_PNSt15iterator_traitsISV_E10value_typeET2_T3_PNSW_IS11_E10value_typeET4_jRbjT5_S17_jjP12ihipStream_tbEUljE_EEESS_ST_SU_S11_S15_S17_T6_T7_T9_mT8_S19_bDpT10_ENKUlT_T0_E_clISt17integral_constantIbLb1EES1L_IbLb0EEEEDaS1H_S1I_EUlS1H_E_NS1_11comp_targetILNS1_3genE4ELNS1_11target_archE910ELNS1_3gpuE8ELNS1_3repE0EEENS1_30default_config_static_selectorELNS0_4arch9wavefront6targetE0EEEvSV_.has_dyn_sized_stack, 0
	.set _ZN7rocprim17ROCPRIM_400000_NS6detail17trampoline_kernelINS0_13select_configILj256ELj13ELNS0_17block_load_methodE3ELS4_3ELS4_3ELNS0_20block_scan_algorithmE0ELj4294967295EEENS1_25partition_config_selectorILNS1_17partition_subalgoE3EjNS0_10empty_typeEbEEZZNS1_14partition_implILS8_3ELb0ES6_jNS0_17counting_iteratorIjlEEPS9_SE_NS0_5tupleIJPjSE_EEENSF_IJSE_SE_EEES9_SG_JZNS1_25segmented_radix_sort_implINS0_14default_configELb1EPKlPlSM_SN_N2at6native12_GLOBAL__N_18offset_tEEE10hipError_tPvRmT1_PNSt15iterator_traitsISV_E10value_typeET2_T3_PNSW_IS11_E10value_typeET4_jRbjT5_S17_jjP12ihipStream_tbEUljE_EEESS_ST_SU_S11_S15_S17_T6_T7_T9_mT8_S19_bDpT10_ENKUlT_T0_E_clISt17integral_constantIbLb1EES1L_IbLb0EEEEDaS1H_S1I_EUlS1H_E_NS1_11comp_targetILNS1_3genE4ELNS1_11target_archE910ELNS1_3gpuE8ELNS1_3repE0EEENS1_30default_config_static_selectorELNS0_4arch9wavefront6targetE0EEEvSV_.has_recursion, 0
	.set _ZN7rocprim17ROCPRIM_400000_NS6detail17trampoline_kernelINS0_13select_configILj256ELj13ELNS0_17block_load_methodE3ELS4_3ELS4_3ELNS0_20block_scan_algorithmE0ELj4294967295EEENS1_25partition_config_selectorILNS1_17partition_subalgoE3EjNS0_10empty_typeEbEEZZNS1_14partition_implILS8_3ELb0ES6_jNS0_17counting_iteratorIjlEEPS9_SE_NS0_5tupleIJPjSE_EEENSF_IJSE_SE_EEES9_SG_JZNS1_25segmented_radix_sort_implINS0_14default_configELb1EPKlPlSM_SN_N2at6native12_GLOBAL__N_18offset_tEEE10hipError_tPvRmT1_PNSt15iterator_traitsISV_E10value_typeET2_T3_PNSW_IS11_E10value_typeET4_jRbjT5_S17_jjP12ihipStream_tbEUljE_EEESS_ST_SU_S11_S15_S17_T6_T7_T9_mT8_S19_bDpT10_ENKUlT_T0_E_clISt17integral_constantIbLb1EES1L_IbLb0EEEEDaS1H_S1I_EUlS1H_E_NS1_11comp_targetILNS1_3genE4ELNS1_11target_archE910ELNS1_3gpuE8ELNS1_3repE0EEENS1_30default_config_static_selectorELNS0_4arch9wavefront6targetE0EEEvSV_.has_indirect_call, 0
	.section	.AMDGPU.csdata,"",@progbits
; Kernel info:
; codeLenInByte = 0
; TotalNumSgprs: 0
; NumVgprs: 0
; ScratchSize: 0
; MemoryBound: 0
; FloatMode: 240
; IeeeMode: 1
; LDSByteSize: 0 bytes/workgroup (compile time only)
; SGPRBlocks: 0
; VGPRBlocks: 0
; NumSGPRsForWavesPerEU: 1
; NumVGPRsForWavesPerEU: 1
; Occupancy: 16
; WaveLimiterHint : 0
; COMPUTE_PGM_RSRC2:SCRATCH_EN: 0
; COMPUTE_PGM_RSRC2:USER_SGPR: 2
; COMPUTE_PGM_RSRC2:TRAP_HANDLER: 0
; COMPUTE_PGM_RSRC2:TGID_X_EN: 1
; COMPUTE_PGM_RSRC2:TGID_Y_EN: 0
; COMPUTE_PGM_RSRC2:TGID_Z_EN: 0
; COMPUTE_PGM_RSRC2:TIDIG_COMP_CNT: 0
	.section	.text._ZN7rocprim17ROCPRIM_400000_NS6detail17trampoline_kernelINS0_13select_configILj256ELj13ELNS0_17block_load_methodE3ELS4_3ELS4_3ELNS0_20block_scan_algorithmE0ELj4294967295EEENS1_25partition_config_selectorILNS1_17partition_subalgoE3EjNS0_10empty_typeEbEEZZNS1_14partition_implILS8_3ELb0ES6_jNS0_17counting_iteratorIjlEEPS9_SE_NS0_5tupleIJPjSE_EEENSF_IJSE_SE_EEES9_SG_JZNS1_25segmented_radix_sort_implINS0_14default_configELb1EPKlPlSM_SN_N2at6native12_GLOBAL__N_18offset_tEEE10hipError_tPvRmT1_PNSt15iterator_traitsISV_E10value_typeET2_T3_PNSW_IS11_E10value_typeET4_jRbjT5_S17_jjP12ihipStream_tbEUljE_EEESS_ST_SU_S11_S15_S17_T6_T7_T9_mT8_S19_bDpT10_ENKUlT_T0_E_clISt17integral_constantIbLb1EES1L_IbLb0EEEEDaS1H_S1I_EUlS1H_E_NS1_11comp_targetILNS1_3genE3ELNS1_11target_archE908ELNS1_3gpuE7ELNS1_3repE0EEENS1_30default_config_static_selectorELNS0_4arch9wavefront6targetE0EEEvSV_,"axG",@progbits,_ZN7rocprim17ROCPRIM_400000_NS6detail17trampoline_kernelINS0_13select_configILj256ELj13ELNS0_17block_load_methodE3ELS4_3ELS4_3ELNS0_20block_scan_algorithmE0ELj4294967295EEENS1_25partition_config_selectorILNS1_17partition_subalgoE3EjNS0_10empty_typeEbEEZZNS1_14partition_implILS8_3ELb0ES6_jNS0_17counting_iteratorIjlEEPS9_SE_NS0_5tupleIJPjSE_EEENSF_IJSE_SE_EEES9_SG_JZNS1_25segmented_radix_sort_implINS0_14default_configELb1EPKlPlSM_SN_N2at6native12_GLOBAL__N_18offset_tEEE10hipError_tPvRmT1_PNSt15iterator_traitsISV_E10value_typeET2_T3_PNSW_IS11_E10value_typeET4_jRbjT5_S17_jjP12ihipStream_tbEUljE_EEESS_ST_SU_S11_S15_S17_T6_T7_T9_mT8_S19_bDpT10_ENKUlT_T0_E_clISt17integral_constantIbLb1EES1L_IbLb0EEEEDaS1H_S1I_EUlS1H_E_NS1_11comp_targetILNS1_3genE3ELNS1_11target_archE908ELNS1_3gpuE7ELNS1_3repE0EEENS1_30default_config_static_selectorELNS0_4arch9wavefront6targetE0EEEvSV_,comdat
	.globl	_ZN7rocprim17ROCPRIM_400000_NS6detail17trampoline_kernelINS0_13select_configILj256ELj13ELNS0_17block_load_methodE3ELS4_3ELS4_3ELNS0_20block_scan_algorithmE0ELj4294967295EEENS1_25partition_config_selectorILNS1_17partition_subalgoE3EjNS0_10empty_typeEbEEZZNS1_14partition_implILS8_3ELb0ES6_jNS0_17counting_iteratorIjlEEPS9_SE_NS0_5tupleIJPjSE_EEENSF_IJSE_SE_EEES9_SG_JZNS1_25segmented_radix_sort_implINS0_14default_configELb1EPKlPlSM_SN_N2at6native12_GLOBAL__N_18offset_tEEE10hipError_tPvRmT1_PNSt15iterator_traitsISV_E10value_typeET2_T3_PNSW_IS11_E10value_typeET4_jRbjT5_S17_jjP12ihipStream_tbEUljE_EEESS_ST_SU_S11_S15_S17_T6_T7_T9_mT8_S19_bDpT10_ENKUlT_T0_E_clISt17integral_constantIbLb1EES1L_IbLb0EEEEDaS1H_S1I_EUlS1H_E_NS1_11comp_targetILNS1_3genE3ELNS1_11target_archE908ELNS1_3gpuE7ELNS1_3repE0EEENS1_30default_config_static_selectorELNS0_4arch9wavefront6targetE0EEEvSV_ ; -- Begin function _ZN7rocprim17ROCPRIM_400000_NS6detail17trampoline_kernelINS0_13select_configILj256ELj13ELNS0_17block_load_methodE3ELS4_3ELS4_3ELNS0_20block_scan_algorithmE0ELj4294967295EEENS1_25partition_config_selectorILNS1_17partition_subalgoE3EjNS0_10empty_typeEbEEZZNS1_14partition_implILS8_3ELb0ES6_jNS0_17counting_iteratorIjlEEPS9_SE_NS0_5tupleIJPjSE_EEENSF_IJSE_SE_EEES9_SG_JZNS1_25segmented_radix_sort_implINS0_14default_configELb1EPKlPlSM_SN_N2at6native12_GLOBAL__N_18offset_tEEE10hipError_tPvRmT1_PNSt15iterator_traitsISV_E10value_typeET2_T3_PNSW_IS11_E10value_typeET4_jRbjT5_S17_jjP12ihipStream_tbEUljE_EEESS_ST_SU_S11_S15_S17_T6_T7_T9_mT8_S19_bDpT10_ENKUlT_T0_E_clISt17integral_constantIbLb1EES1L_IbLb0EEEEDaS1H_S1I_EUlS1H_E_NS1_11comp_targetILNS1_3genE3ELNS1_11target_archE908ELNS1_3gpuE7ELNS1_3repE0EEENS1_30default_config_static_selectorELNS0_4arch9wavefront6targetE0EEEvSV_
	.p2align	8
	.type	_ZN7rocprim17ROCPRIM_400000_NS6detail17trampoline_kernelINS0_13select_configILj256ELj13ELNS0_17block_load_methodE3ELS4_3ELS4_3ELNS0_20block_scan_algorithmE0ELj4294967295EEENS1_25partition_config_selectorILNS1_17partition_subalgoE3EjNS0_10empty_typeEbEEZZNS1_14partition_implILS8_3ELb0ES6_jNS0_17counting_iteratorIjlEEPS9_SE_NS0_5tupleIJPjSE_EEENSF_IJSE_SE_EEES9_SG_JZNS1_25segmented_radix_sort_implINS0_14default_configELb1EPKlPlSM_SN_N2at6native12_GLOBAL__N_18offset_tEEE10hipError_tPvRmT1_PNSt15iterator_traitsISV_E10value_typeET2_T3_PNSW_IS11_E10value_typeET4_jRbjT5_S17_jjP12ihipStream_tbEUljE_EEESS_ST_SU_S11_S15_S17_T6_T7_T9_mT8_S19_bDpT10_ENKUlT_T0_E_clISt17integral_constantIbLb1EES1L_IbLb0EEEEDaS1H_S1I_EUlS1H_E_NS1_11comp_targetILNS1_3genE3ELNS1_11target_archE908ELNS1_3gpuE7ELNS1_3repE0EEENS1_30default_config_static_selectorELNS0_4arch9wavefront6targetE0EEEvSV_,@function
_ZN7rocprim17ROCPRIM_400000_NS6detail17trampoline_kernelINS0_13select_configILj256ELj13ELNS0_17block_load_methodE3ELS4_3ELS4_3ELNS0_20block_scan_algorithmE0ELj4294967295EEENS1_25partition_config_selectorILNS1_17partition_subalgoE3EjNS0_10empty_typeEbEEZZNS1_14partition_implILS8_3ELb0ES6_jNS0_17counting_iteratorIjlEEPS9_SE_NS0_5tupleIJPjSE_EEENSF_IJSE_SE_EEES9_SG_JZNS1_25segmented_radix_sort_implINS0_14default_configELb1EPKlPlSM_SN_N2at6native12_GLOBAL__N_18offset_tEEE10hipError_tPvRmT1_PNSt15iterator_traitsISV_E10value_typeET2_T3_PNSW_IS11_E10value_typeET4_jRbjT5_S17_jjP12ihipStream_tbEUljE_EEESS_ST_SU_S11_S15_S17_T6_T7_T9_mT8_S19_bDpT10_ENKUlT_T0_E_clISt17integral_constantIbLb1EES1L_IbLb0EEEEDaS1H_S1I_EUlS1H_E_NS1_11comp_targetILNS1_3genE3ELNS1_11target_archE908ELNS1_3gpuE7ELNS1_3repE0EEENS1_30default_config_static_selectorELNS0_4arch9wavefront6targetE0EEEvSV_: ; @_ZN7rocprim17ROCPRIM_400000_NS6detail17trampoline_kernelINS0_13select_configILj256ELj13ELNS0_17block_load_methodE3ELS4_3ELS4_3ELNS0_20block_scan_algorithmE0ELj4294967295EEENS1_25partition_config_selectorILNS1_17partition_subalgoE3EjNS0_10empty_typeEbEEZZNS1_14partition_implILS8_3ELb0ES6_jNS0_17counting_iteratorIjlEEPS9_SE_NS0_5tupleIJPjSE_EEENSF_IJSE_SE_EEES9_SG_JZNS1_25segmented_radix_sort_implINS0_14default_configELb1EPKlPlSM_SN_N2at6native12_GLOBAL__N_18offset_tEEE10hipError_tPvRmT1_PNSt15iterator_traitsISV_E10value_typeET2_T3_PNSW_IS11_E10value_typeET4_jRbjT5_S17_jjP12ihipStream_tbEUljE_EEESS_ST_SU_S11_S15_S17_T6_T7_T9_mT8_S19_bDpT10_ENKUlT_T0_E_clISt17integral_constantIbLb1EES1L_IbLb0EEEEDaS1H_S1I_EUlS1H_E_NS1_11comp_targetILNS1_3genE3ELNS1_11target_archE908ELNS1_3gpuE7ELNS1_3repE0EEENS1_30default_config_static_selectorELNS0_4arch9wavefront6targetE0EEEvSV_
; %bb.0:
	.section	.rodata,"a",@progbits
	.p2align	6, 0x0
	.amdhsa_kernel _ZN7rocprim17ROCPRIM_400000_NS6detail17trampoline_kernelINS0_13select_configILj256ELj13ELNS0_17block_load_methodE3ELS4_3ELS4_3ELNS0_20block_scan_algorithmE0ELj4294967295EEENS1_25partition_config_selectorILNS1_17partition_subalgoE3EjNS0_10empty_typeEbEEZZNS1_14partition_implILS8_3ELb0ES6_jNS0_17counting_iteratorIjlEEPS9_SE_NS0_5tupleIJPjSE_EEENSF_IJSE_SE_EEES9_SG_JZNS1_25segmented_radix_sort_implINS0_14default_configELb1EPKlPlSM_SN_N2at6native12_GLOBAL__N_18offset_tEEE10hipError_tPvRmT1_PNSt15iterator_traitsISV_E10value_typeET2_T3_PNSW_IS11_E10value_typeET4_jRbjT5_S17_jjP12ihipStream_tbEUljE_EEESS_ST_SU_S11_S15_S17_T6_T7_T9_mT8_S19_bDpT10_ENKUlT_T0_E_clISt17integral_constantIbLb1EES1L_IbLb0EEEEDaS1H_S1I_EUlS1H_E_NS1_11comp_targetILNS1_3genE3ELNS1_11target_archE908ELNS1_3gpuE7ELNS1_3repE0EEENS1_30default_config_static_selectorELNS0_4arch9wavefront6targetE0EEEvSV_
		.amdhsa_group_segment_fixed_size 0
		.amdhsa_private_segment_fixed_size 0
		.amdhsa_kernarg_size 144
		.amdhsa_user_sgpr_count 2
		.amdhsa_user_sgpr_dispatch_ptr 0
		.amdhsa_user_sgpr_queue_ptr 0
		.amdhsa_user_sgpr_kernarg_segment_ptr 1
		.amdhsa_user_sgpr_dispatch_id 0
		.amdhsa_user_sgpr_private_segment_size 0
		.amdhsa_wavefront_size32 1
		.amdhsa_uses_dynamic_stack 0
		.amdhsa_enable_private_segment 0
		.amdhsa_system_sgpr_workgroup_id_x 1
		.amdhsa_system_sgpr_workgroup_id_y 0
		.amdhsa_system_sgpr_workgroup_id_z 0
		.amdhsa_system_sgpr_workgroup_info 0
		.amdhsa_system_vgpr_workitem_id 0
		.amdhsa_next_free_vgpr 1
		.amdhsa_next_free_sgpr 1
		.amdhsa_reserve_vcc 0
		.amdhsa_float_round_mode_32 0
		.amdhsa_float_round_mode_16_64 0
		.amdhsa_float_denorm_mode_32 3
		.amdhsa_float_denorm_mode_16_64 3
		.amdhsa_fp16_overflow 0
		.amdhsa_workgroup_processor_mode 1
		.amdhsa_memory_ordered 1
		.amdhsa_forward_progress 1
		.amdhsa_inst_pref_size 0
		.amdhsa_round_robin_scheduling 0
		.amdhsa_exception_fp_ieee_invalid_op 0
		.amdhsa_exception_fp_denorm_src 0
		.amdhsa_exception_fp_ieee_div_zero 0
		.amdhsa_exception_fp_ieee_overflow 0
		.amdhsa_exception_fp_ieee_underflow 0
		.amdhsa_exception_fp_ieee_inexact 0
		.amdhsa_exception_int_div_zero 0
	.end_amdhsa_kernel
	.section	.text._ZN7rocprim17ROCPRIM_400000_NS6detail17trampoline_kernelINS0_13select_configILj256ELj13ELNS0_17block_load_methodE3ELS4_3ELS4_3ELNS0_20block_scan_algorithmE0ELj4294967295EEENS1_25partition_config_selectorILNS1_17partition_subalgoE3EjNS0_10empty_typeEbEEZZNS1_14partition_implILS8_3ELb0ES6_jNS0_17counting_iteratorIjlEEPS9_SE_NS0_5tupleIJPjSE_EEENSF_IJSE_SE_EEES9_SG_JZNS1_25segmented_radix_sort_implINS0_14default_configELb1EPKlPlSM_SN_N2at6native12_GLOBAL__N_18offset_tEEE10hipError_tPvRmT1_PNSt15iterator_traitsISV_E10value_typeET2_T3_PNSW_IS11_E10value_typeET4_jRbjT5_S17_jjP12ihipStream_tbEUljE_EEESS_ST_SU_S11_S15_S17_T6_T7_T9_mT8_S19_bDpT10_ENKUlT_T0_E_clISt17integral_constantIbLb1EES1L_IbLb0EEEEDaS1H_S1I_EUlS1H_E_NS1_11comp_targetILNS1_3genE3ELNS1_11target_archE908ELNS1_3gpuE7ELNS1_3repE0EEENS1_30default_config_static_selectorELNS0_4arch9wavefront6targetE0EEEvSV_,"axG",@progbits,_ZN7rocprim17ROCPRIM_400000_NS6detail17trampoline_kernelINS0_13select_configILj256ELj13ELNS0_17block_load_methodE3ELS4_3ELS4_3ELNS0_20block_scan_algorithmE0ELj4294967295EEENS1_25partition_config_selectorILNS1_17partition_subalgoE3EjNS0_10empty_typeEbEEZZNS1_14partition_implILS8_3ELb0ES6_jNS0_17counting_iteratorIjlEEPS9_SE_NS0_5tupleIJPjSE_EEENSF_IJSE_SE_EEES9_SG_JZNS1_25segmented_radix_sort_implINS0_14default_configELb1EPKlPlSM_SN_N2at6native12_GLOBAL__N_18offset_tEEE10hipError_tPvRmT1_PNSt15iterator_traitsISV_E10value_typeET2_T3_PNSW_IS11_E10value_typeET4_jRbjT5_S17_jjP12ihipStream_tbEUljE_EEESS_ST_SU_S11_S15_S17_T6_T7_T9_mT8_S19_bDpT10_ENKUlT_T0_E_clISt17integral_constantIbLb1EES1L_IbLb0EEEEDaS1H_S1I_EUlS1H_E_NS1_11comp_targetILNS1_3genE3ELNS1_11target_archE908ELNS1_3gpuE7ELNS1_3repE0EEENS1_30default_config_static_selectorELNS0_4arch9wavefront6targetE0EEEvSV_,comdat
.Lfunc_end691:
	.size	_ZN7rocprim17ROCPRIM_400000_NS6detail17trampoline_kernelINS0_13select_configILj256ELj13ELNS0_17block_load_methodE3ELS4_3ELS4_3ELNS0_20block_scan_algorithmE0ELj4294967295EEENS1_25partition_config_selectorILNS1_17partition_subalgoE3EjNS0_10empty_typeEbEEZZNS1_14partition_implILS8_3ELb0ES6_jNS0_17counting_iteratorIjlEEPS9_SE_NS0_5tupleIJPjSE_EEENSF_IJSE_SE_EEES9_SG_JZNS1_25segmented_radix_sort_implINS0_14default_configELb1EPKlPlSM_SN_N2at6native12_GLOBAL__N_18offset_tEEE10hipError_tPvRmT1_PNSt15iterator_traitsISV_E10value_typeET2_T3_PNSW_IS11_E10value_typeET4_jRbjT5_S17_jjP12ihipStream_tbEUljE_EEESS_ST_SU_S11_S15_S17_T6_T7_T9_mT8_S19_bDpT10_ENKUlT_T0_E_clISt17integral_constantIbLb1EES1L_IbLb0EEEEDaS1H_S1I_EUlS1H_E_NS1_11comp_targetILNS1_3genE3ELNS1_11target_archE908ELNS1_3gpuE7ELNS1_3repE0EEENS1_30default_config_static_selectorELNS0_4arch9wavefront6targetE0EEEvSV_, .Lfunc_end691-_ZN7rocprim17ROCPRIM_400000_NS6detail17trampoline_kernelINS0_13select_configILj256ELj13ELNS0_17block_load_methodE3ELS4_3ELS4_3ELNS0_20block_scan_algorithmE0ELj4294967295EEENS1_25partition_config_selectorILNS1_17partition_subalgoE3EjNS0_10empty_typeEbEEZZNS1_14partition_implILS8_3ELb0ES6_jNS0_17counting_iteratorIjlEEPS9_SE_NS0_5tupleIJPjSE_EEENSF_IJSE_SE_EEES9_SG_JZNS1_25segmented_radix_sort_implINS0_14default_configELb1EPKlPlSM_SN_N2at6native12_GLOBAL__N_18offset_tEEE10hipError_tPvRmT1_PNSt15iterator_traitsISV_E10value_typeET2_T3_PNSW_IS11_E10value_typeET4_jRbjT5_S17_jjP12ihipStream_tbEUljE_EEESS_ST_SU_S11_S15_S17_T6_T7_T9_mT8_S19_bDpT10_ENKUlT_T0_E_clISt17integral_constantIbLb1EES1L_IbLb0EEEEDaS1H_S1I_EUlS1H_E_NS1_11comp_targetILNS1_3genE3ELNS1_11target_archE908ELNS1_3gpuE7ELNS1_3repE0EEENS1_30default_config_static_selectorELNS0_4arch9wavefront6targetE0EEEvSV_
                                        ; -- End function
	.set _ZN7rocprim17ROCPRIM_400000_NS6detail17trampoline_kernelINS0_13select_configILj256ELj13ELNS0_17block_load_methodE3ELS4_3ELS4_3ELNS0_20block_scan_algorithmE0ELj4294967295EEENS1_25partition_config_selectorILNS1_17partition_subalgoE3EjNS0_10empty_typeEbEEZZNS1_14partition_implILS8_3ELb0ES6_jNS0_17counting_iteratorIjlEEPS9_SE_NS0_5tupleIJPjSE_EEENSF_IJSE_SE_EEES9_SG_JZNS1_25segmented_radix_sort_implINS0_14default_configELb1EPKlPlSM_SN_N2at6native12_GLOBAL__N_18offset_tEEE10hipError_tPvRmT1_PNSt15iterator_traitsISV_E10value_typeET2_T3_PNSW_IS11_E10value_typeET4_jRbjT5_S17_jjP12ihipStream_tbEUljE_EEESS_ST_SU_S11_S15_S17_T6_T7_T9_mT8_S19_bDpT10_ENKUlT_T0_E_clISt17integral_constantIbLb1EES1L_IbLb0EEEEDaS1H_S1I_EUlS1H_E_NS1_11comp_targetILNS1_3genE3ELNS1_11target_archE908ELNS1_3gpuE7ELNS1_3repE0EEENS1_30default_config_static_selectorELNS0_4arch9wavefront6targetE0EEEvSV_.num_vgpr, 0
	.set _ZN7rocprim17ROCPRIM_400000_NS6detail17trampoline_kernelINS0_13select_configILj256ELj13ELNS0_17block_load_methodE3ELS4_3ELS4_3ELNS0_20block_scan_algorithmE0ELj4294967295EEENS1_25partition_config_selectorILNS1_17partition_subalgoE3EjNS0_10empty_typeEbEEZZNS1_14partition_implILS8_3ELb0ES6_jNS0_17counting_iteratorIjlEEPS9_SE_NS0_5tupleIJPjSE_EEENSF_IJSE_SE_EEES9_SG_JZNS1_25segmented_radix_sort_implINS0_14default_configELb1EPKlPlSM_SN_N2at6native12_GLOBAL__N_18offset_tEEE10hipError_tPvRmT1_PNSt15iterator_traitsISV_E10value_typeET2_T3_PNSW_IS11_E10value_typeET4_jRbjT5_S17_jjP12ihipStream_tbEUljE_EEESS_ST_SU_S11_S15_S17_T6_T7_T9_mT8_S19_bDpT10_ENKUlT_T0_E_clISt17integral_constantIbLb1EES1L_IbLb0EEEEDaS1H_S1I_EUlS1H_E_NS1_11comp_targetILNS1_3genE3ELNS1_11target_archE908ELNS1_3gpuE7ELNS1_3repE0EEENS1_30default_config_static_selectorELNS0_4arch9wavefront6targetE0EEEvSV_.num_agpr, 0
	.set _ZN7rocprim17ROCPRIM_400000_NS6detail17trampoline_kernelINS0_13select_configILj256ELj13ELNS0_17block_load_methodE3ELS4_3ELS4_3ELNS0_20block_scan_algorithmE0ELj4294967295EEENS1_25partition_config_selectorILNS1_17partition_subalgoE3EjNS0_10empty_typeEbEEZZNS1_14partition_implILS8_3ELb0ES6_jNS0_17counting_iteratorIjlEEPS9_SE_NS0_5tupleIJPjSE_EEENSF_IJSE_SE_EEES9_SG_JZNS1_25segmented_radix_sort_implINS0_14default_configELb1EPKlPlSM_SN_N2at6native12_GLOBAL__N_18offset_tEEE10hipError_tPvRmT1_PNSt15iterator_traitsISV_E10value_typeET2_T3_PNSW_IS11_E10value_typeET4_jRbjT5_S17_jjP12ihipStream_tbEUljE_EEESS_ST_SU_S11_S15_S17_T6_T7_T9_mT8_S19_bDpT10_ENKUlT_T0_E_clISt17integral_constantIbLb1EES1L_IbLb0EEEEDaS1H_S1I_EUlS1H_E_NS1_11comp_targetILNS1_3genE3ELNS1_11target_archE908ELNS1_3gpuE7ELNS1_3repE0EEENS1_30default_config_static_selectorELNS0_4arch9wavefront6targetE0EEEvSV_.numbered_sgpr, 0
	.set _ZN7rocprim17ROCPRIM_400000_NS6detail17trampoline_kernelINS0_13select_configILj256ELj13ELNS0_17block_load_methodE3ELS4_3ELS4_3ELNS0_20block_scan_algorithmE0ELj4294967295EEENS1_25partition_config_selectorILNS1_17partition_subalgoE3EjNS0_10empty_typeEbEEZZNS1_14partition_implILS8_3ELb0ES6_jNS0_17counting_iteratorIjlEEPS9_SE_NS0_5tupleIJPjSE_EEENSF_IJSE_SE_EEES9_SG_JZNS1_25segmented_radix_sort_implINS0_14default_configELb1EPKlPlSM_SN_N2at6native12_GLOBAL__N_18offset_tEEE10hipError_tPvRmT1_PNSt15iterator_traitsISV_E10value_typeET2_T3_PNSW_IS11_E10value_typeET4_jRbjT5_S17_jjP12ihipStream_tbEUljE_EEESS_ST_SU_S11_S15_S17_T6_T7_T9_mT8_S19_bDpT10_ENKUlT_T0_E_clISt17integral_constantIbLb1EES1L_IbLb0EEEEDaS1H_S1I_EUlS1H_E_NS1_11comp_targetILNS1_3genE3ELNS1_11target_archE908ELNS1_3gpuE7ELNS1_3repE0EEENS1_30default_config_static_selectorELNS0_4arch9wavefront6targetE0EEEvSV_.num_named_barrier, 0
	.set _ZN7rocprim17ROCPRIM_400000_NS6detail17trampoline_kernelINS0_13select_configILj256ELj13ELNS0_17block_load_methodE3ELS4_3ELS4_3ELNS0_20block_scan_algorithmE0ELj4294967295EEENS1_25partition_config_selectorILNS1_17partition_subalgoE3EjNS0_10empty_typeEbEEZZNS1_14partition_implILS8_3ELb0ES6_jNS0_17counting_iteratorIjlEEPS9_SE_NS0_5tupleIJPjSE_EEENSF_IJSE_SE_EEES9_SG_JZNS1_25segmented_radix_sort_implINS0_14default_configELb1EPKlPlSM_SN_N2at6native12_GLOBAL__N_18offset_tEEE10hipError_tPvRmT1_PNSt15iterator_traitsISV_E10value_typeET2_T3_PNSW_IS11_E10value_typeET4_jRbjT5_S17_jjP12ihipStream_tbEUljE_EEESS_ST_SU_S11_S15_S17_T6_T7_T9_mT8_S19_bDpT10_ENKUlT_T0_E_clISt17integral_constantIbLb1EES1L_IbLb0EEEEDaS1H_S1I_EUlS1H_E_NS1_11comp_targetILNS1_3genE3ELNS1_11target_archE908ELNS1_3gpuE7ELNS1_3repE0EEENS1_30default_config_static_selectorELNS0_4arch9wavefront6targetE0EEEvSV_.private_seg_size, 0
	.set _ZN7rocprim17ROCPRIM_400000_NS6detail17trampoline_kernelINS0_13select_configILj256ELj13ELNS0_17block_load_methodE3ELS4_3ELS4_3ELNS0_20block_scan_algorithmE0ELj4294967295EEENS1_25partition_config_selectorILNS1_17partition_subalgoE3EjNS0_10empty_typeEbEEZZNS1_14partition_implILS8_3ELb0ES6_jNS0_17counting_iteratorIjlEEPS9_SE_NS0_5tupleIJPjSE_EEENSF_IJSE_SE_EEES9_SG_JZNS1_25segmented_radix_sort_implINS0_14default_configELb1EPKlPlSM_SN_N2at6native12_GLOBAL__N_18offset_tEEE10hipError_tPvRmT1_PNSt15iterator_traitsISV_E10value_typeET2_T3_PNSW_IS11_E10value_typeET4_jRbjT5_S17_jjP12ihipStream_tbEUljE_EEESS_ST_SU_S11_S15_S17_T6_T7_T9_mT8_S19_bDpT10_ENKUlT_T0_E_clISt17integral_constantIbLb1EES1L_IbLb0EEEEDaS1H_S1I_EUlS1H_E_NS1_11comp_targetILNS1_3genE3ELNS1_11target_archE908ELNS1_3gpuE7ELNS1_3repE0EEENS1_30default_config_static_selectorELNS0_4arch9wavefront6targetE0EEEvSV_.uses_vcc, 0
	.set _ZN7rocprim17ROCPRIM_400000_NS6detail17trampoline_kernelINS0_13select_configILj256ELj13ELNS0_17block_load_methodE3ELS4_3ELS4_3ELNS0_20block_scan_algorithmE0ELj4294967295EEENS1_25partition_config_selectorILNS1_17partition_subalgoE3EjNS0_10empty_typeEbEEZZNS1_14partition_implILS8_3ELb0ES6_jNS0_17counting_iteratorIjlEEPS9_SE_NS0_5tupleIJPjSE_EEENSF_IJSE_SE_EEES9_SG_JZNS1_25segmented_radix_sort_implINS0_14default_configELb1EPKlPlSM_SN_N2at6native12_GLOBAL__N_18offset_tEEE10hipError_tPvRmT1_PNSt15iterator_traitsISV_E10value_typeET2_T3_PNSW_IS11_E10value_typeET4_jRbjT5_S17_jjP12ihipStream_tbEUljE_EEESS_ST_SU_S11_S15_S17_T6_T7_T9_mT8_S19_bDpT10_ENKUlT_T0_E_clISt17integral_constantIbLb1EES1L_IbLb0EEEEDaS1H_S1I_EUlS1H_E_NS1_11comp_targetILNS1_3genE3ELNS1_11target_archE908ELNS1_3gpuE7ELNS1_3repE0EEENS1_30default_config_static_selectorELNS0_4arch9wavefront6targetE0EEEvSV_.uses_flat_scratch, 0
	.set _ZN7rocprim17ROCPRIM_400000_NS6detail17trampoline_kernelINS0_13select_configILj256ELj13ELNS0_17block_load_methodE3ELS4_3ELS4_3ELNS0_20block_scan_algorithmE0ELj4294967295EEENS1_25partition_config_selectorILNS1_17partition_subalgoE3EjNS0_10empty_typeEbEEZZNS1_14partition_implILS8_3ELb0ES6_jNS0_17counting_iteratorIjlEEPS9_SE_NS0_5tupleIJPjSE_EEENSF_IJSE_SE_EEES9_SG_JZNS1_25segmented_radix_sort_implINS0_14default_configELb1EPKlPlSM_SN_N2at6native12_GLOBAL__N_18offset_tEEE10hipError_tPvRmT1_PNSt15iterator_traitsISV_E10value_typeET2_T3_PNSW_IS11_E10value_typeET4_jRbjT5_S17_jjP12ihipStream_tbEUljE_EEESS_ST_SU_S11_S15_S17_T6_T7_T9_mT8_S19_bDpT10_ENKUlT_T0_E_clISt17integral_constantIbLb1EES1L_IbLb0EEEEDaS1H_S1I_EUlS1H_E_NS1_11comp_targetILNS1_3genE3ELNS1_11target_archE908ELNS1_3gpuE7ELNS1_3repE0EEENS1_30default_config_static_selectorELNS0_4arch9wavefront6targetE0EEEvSV_.has_dyn_sized_stack, 0
	.set _ZN7rocprim17ROCPRIM_400000_NS6detail17trampoline_kernelINS0_13select_configILj256ELj13ELNS0_17block_load_methodE3ELS4_3ELS4_3ELNS0_20block_scan_algorithmE0ELj4294967295EEENS1_25partition_config_selectorILNS1_17partition_subalgoE3EjNS0_10empty_typeEbEEZZNS1_14partition_implILS8_3ELb0ES6_jNS0_17counting_iteratorIjlEEPS9_SE_NS0_5tupleIJPjSE_EEENSF_IJSE_SE_EEES9_SG_JZNS1_25segmented_radix_sort_implINS0_14default_configELb1EPKlPlSM_SN_N2at6native12_GLOBAL__N_18offset_tEEE10hipError_tPvRmT1_PNSt15iterator_traitsISV_E10value_typeET2_T3_PNSW_IS11_E10value_typeET4_jRbjT5_S17_jjP12ihipStream_tbEUljE_EEESS_ST_SU_S11_S15_S17_T6_T7_T9_mT8_S19_bDpT10_ENKUlT_T0_E_clISt17integral_constantIbLb1EES1L_IbLb0EEEEDaS1H_S1I_EUlS1H_E_NS1_11comp_targetILNS1_3genE3ELNS1_11target_archE908ELNS1_3gpuE7ELNS1_3repE0EEENS1_30default_config_static_selectorELNS0_4arch9wavefront6targetE0EEEvSV_.has_recursion, 0
	.set _ZN7rocprim17ROCPRIM_400000_NS6detail17trampoline_kernelINS0_13select_configILj256ELj13ELNS0_17block_load_methodE3ELS4_3ELS4_3ELNS0_20block_scan_algorithmE0ELj4294967295EEENS1_25partition_config_selectorILNS1_17partition_subalgoE3EjNS0_10empty_typeEbEEZZNS1_14partition_implILS8_3ELb0ES6_jNS0_17counting_iteratorIjlEEPS9_SE_NS0_5tupleIJPjSE_EEENSF_IJSE_SE_EEES9_SG_JZNS1_25segmented_radix_sort_implINS0_14default_configELb1EPKlPlSM_SN_N2at6native12_GLOBAL__N_18offset_tEEE10hipError_tPvRmT1_PNSt15iterator_traitsISV_E10value_typeET2_T3_PNSW_IS11_E10value_typeET4_jRbjT5_S17_jjP12ihipStream_tbEUljE_EEESS_ST_SU_S11_S15_S17_T6_T7_T9_mT8_S19_bDpT10_ENKUlT_T0_E_clISt17integral_constantIbLb1EES1L_IbLb0EEEEDaS1H_S1I_EUlS1H_E_NS1_11comp_targetILNS1_3genE3ELNS1_11target_archE908ELNS1_3gpuE7ELNS1_3repE0EEENS1_30default_config_static_selectorELNS0_4arch9wavefront6targetE0EEEvSV_.has_indirect_call, 0
	.section	.AMDGPU.csdata,"",@progbits
; Kernel info:
; codeLenInByte = 0
; TotalNumSgprs: 0
; NumVgprs: 0
; ScratchSize: 0
; MemoryBound: 0
; FloatMode: 240
; IeeeMode: 1
; LDSByteSize: 0 bytes/workgroup (compile time only)
; SGPRBlocks: 0
; VGPRBlocks: 0
; NumSGPRsForWavesPerEU: 1
; NumVGPRsForWavesPerEU: 1
; Occupancy: 16
; WaveLimiterHint : 0
; COMPUTE_PGM_RSRC2:SCRATCH_EN: 0
; COMPUTE_PGM_RSRC2:USER_SGPR: 2
; COMPUTE_PGM_RSRC2:TRAP_HANDLER: 0
; COMPUTE_PGM_RSRC2:TGID_X_EN: 1
; COMPUTE_PGM_RSRC2:TGID_Y_EN: 0
; COMPUTE_PGM_RSRC2:TGID_Z_EN: 0
; COMPUTE_PGM_RSRC2:TIDIG_COMP_CNT: 0
	.section	.text._ZN7rocprim17ROCPRIM_400000_NS6detail17trampoline_kernelINS0_13select_configILj256ELj13ELNS0_17block_load_methodE3ELS4_3ELS4_3ELNS0_20block_scan_algorithmE0ELj4294967295EEENS1_25partition_config_selectorILNS1_17partition_subalgoE3EjNS0_10empty_typeEbEEZZNS1_14partition_implILS8_3ELb0ES6_jNS0_17counting_iteratorIjlEEPS9_SE_NS0_5tupleIJPjSE_EEENSF_IJSE_SE_EEES9_SG_JZNS1_25segmented_radix_sort_implINS0_14default_configELb1EPKlPlSM_SN_N2at6native12_GLOBAL__N_18offset_tEEE10hipError_tPvRmT1_PNSt15iterator_traitsISV_E10value_typeET2_T3_PNSW_IS11_E10value_typeET4_jRbjT5_S17_jjP12ihipStream_tbEUljE_EEESS_ST_SU_S11_S15_S17_T6_T7_T9_mT8_S19_bDpT10_ENKUlT_T0_E_clISt17integral_constantIbLb1EES1L_IbLb0EEEEDaS1H_S1I_EUlS1H_E_NS1_11comp_targetILNS1_3genE2ELNS1_11target_archE906ELNS1_3gpuE6ELNS1_3repE0EEENS1_30default_config_static_selectorELNS0_4arch9wavefront6targetE0EEEvSV_,"axG",@progbits,_ZN7rocprim17ROCPRIM_400000_NS6detail17trampoline_kernelINS0_13select_configILj256ELj13ELNS0_17block_load_methodE3ELS4_3ELS4_3ELNS0_20block_scan_algorithmE0ELj4294967295EEENS1_25partition_config_selectorILNS1_17partition_subalgoE3EjNS0_10empty_typeEbEEZZNS1_14partition_implILS8_3ELb0ES6_jNS0_17counting_iteratorIjlEEPS9_SE_NS0_5tupleIJPjSE_EEENSF_IJSE_SE_EEES9_SG_JZNS1_25segmented_radix_sort_implINS0_14default_configELb1EPKlPlSM_SN_N2at6native12_GLOBAL__N_18offset_tEEE10hipError_tPvRmT1_PNSt15iterator_traitsISV_E10value_typeET2_T3_PNSW_IS11_E10value_typeET4_jRbjT5_S17_jjP12ihipStream_tbEUljE_EEESS_ST_SU_S11_S15_S17_T6_T7_T9_mT8_S19_bDpT10_ENKUlT_T0_E_clISt17integral_constantIbLb1EES1L_IbLb0EEEEDaS1H_S1I_EUlS1H_E_NS1_11comp_targetILNS1_3genE2ELNS1_11target_archE906ELNS1_3gpuE6ELNS1_3repE0EEENS1_30default_config_static_selectorELNS0_4arch9wavefront6targetE0EEEvSV_,comdat
	.globl	_ZN7rocprim17ROCPRIM_400000_NS6detail17trampoline_kernelINS0_13select_configILj256ELj13ELNS0_17block_load_methodE3ELS4_3ELS4_3ELNS0_20block_scan_algorithmE0ELj4294967295EEENS1_25partition_config_selectorILNS1_17partition_subalgoE3EjNS0_10empty_typeEbEEZZNS1_14partition_implILS8_3ELb0ES6_jNS0_17counting_iteratorIjlEEPS9_SE_NS0_5tupleIJPjSE_EEENSF_IJSE_SE_EEES9_SG_JZNS1_25segmented_radix_sort_implINS0_14default_configELb1EPKlPlSM_SN_N2at6native12_GLOBAL__N_18offset_tEEE10hipError_tPvRmT1_PNSt15iterator_traitsISV_E10value_typeET2_T3_PNSW_IS11_E10value_typeET4_jRbjT5_S17_jjP12ihipStream_tbEUljE_EEESS_ST_SU_S11_S15_S17_T6_T7_T9_mT8_S19_bDpT10_ENKUlT_T0_E_clISt17integral_constantIbLb1EES1L_IbLb0EEEEDaS1H_S1I_EUlS1H_E_NS1_11comp_targetILNS1_3genE2ELNS1_11target_archE906ELNS1_3gpuE6ELNS1_3repE0EEENS1_30default_config_static_selectorELNS0_4arch9wavefront6targetE0EEEvSV_ ; -- Begin function _ZN7rocprim17ROCPRIM_400000_NS6detail17trampoline_kernelINS0_13select_configILj256ELj13ELNS0_17block_load_methodE3ELS4_3ELS4_3ELNS0_20block_scan_algorithmE0ELj4294967295EEENS1_25partition_config_selectorILNS1_17partition_subalgoE3EjNS0_10empty_typeEbEEZZNS1_14partition_implILS8_3ELb0ES6_jNS0_17counting_iteratorIjlEEPS9_SE_NS0_5tupleIJPjSE_EEENSF_IJSE_SE_EEES9_SG_JZNS1_25segmented_radix_sort_implINS0_14default_configELb1EPKlPlSM_SN_N2at6native12_GLOBAL__N_18offset_tEEE10hipError_tPvRmT1_PNSt15iterator_traitsISV_E10value_typeET2_T3_PNSW_IS11_E10value_typeET4_jRbjT5_S17_jjP12ihipStream_tbEUljE_EEESS_ST_SU_S11_S15_S17_T6_T7_T9_mT8_S19_bDpT10_ENKUlT_T0_E_clISt17integral_constantIbLb1EES1L_IbLb0EEEEDaS1H_S1I_EUlS1H_E_NS1_11comp_targetILNS1_3genE2ELNS1_11target_archE906ELNS1_3gpuE6ELNS1_3repE0EEENS1_30default_config_static_selectorELNS0_4arch9wavefront6targetE0EEEvSV_
	.p2align	8
	.type	_ZN7rocprim17ROCPRIM_400000_NS6detail17trampoline_kernelINS0_13select_configILj256ELj13ELNS0_17block_load_methodE3ELS4_3ELS4_3ELNS0_20block_scan_algorithmE0ELj4294967295EEENS1_25partition_config_selectorILNS1_17partition_subalgoE3EjNS0_10empty_typeEbEEZZNS1_14partition_implILS8_3ELb0ES6_jNS0_17counting_iteratorIjlEEPS9_SE_NS0_5tupleIJPjSE_EEENSF_IJSE_SE_EEES9_SG_JZNS1_25segmented_radix_sort_implINS0_14default_configELb1EPKlPlSM_SN_N2at6native12_GLOBAL__N_18offset_tEEE10hipError_tPvRmT1_PNSt15iterator_traitsISV_E10value_typeET2_T3_PNSW_IS11_E10value_typeET4_jRbjT5_S17_jjP12ihipStream_tbEUljE_EEESS_ST_SU_S11_S15_S17_T6_T7_T9_mT8_S19_bDpT10_ENKUlT_T0_E_clISt17integral_constantIbLb1EES1L_IbLb0EEEEDaS1H_S1I_EUlS1H_E_NS1_11comp_targetILNS1_3genE2ELNS1_11target_archE906ELNS1_3gpuE6ELNS1_3repE0EEENS1_30default_config_static_selectorELNS0_4arch9wavefront6targetE0EEEvSV_,@function
_ZN7rocprim17ROCPRIM_400000_NS6detail17trampoline_kernelINS0_13select_configILj256ELj13ELNS0_17block_load_methodE3ELS4_3ELS4_3ELNS0_20block_scan_algorithmE0ELj4294967295EEENS1_25partition_config_selectorILNS1_17partition_subalgoE3EjNS0_10empty_typeEbEEZZNS1_14partition_implILS8_3ELb0ES6_jNS0_17counting_iteratorIjlEEPS9_SE_NS0_5tupleIJPjSE_EEENSF_IJSE_SE_EEES9_SG_JZNS1_25segmented_radix_sort_implINS0_14default_configELb1EPKlPlSM_SN_N2at6native12_GLOBAL__N_18offset_tEEE10hipError_tPvRmT1_PNSt15iterator_traitsISV_E10value_typeET2_T3_PNSW_IS11_E10value_typeET4_jRbjT5_S17_jjP12ihipStream_tbEUljE_EEESS_ST_SU_S11_S15_S17_T6_T7_T9_mT8_S19_bDpT10_ENKUlT_T0_E_clISt17integral_constantIbLb1EES1L_IbLb0EEEEDaS1H_S1I_EUlS1H_E_NS1_11comp_targetILNS1_3genE2ELNS1_11target_archE906ELNS1_3gpuE6ELNS1_3repE0EEENS1_30default_config_static_selectorELNS0_4arch9wavefront6targetE0EEEvSV_: ; @_ZN7rocprim17ROCPRIM_400000_NS6detail17trampoline_kernelINS0_13select_configILj256ELj13ELNS0_17block_load_methodE3ELS4_3ELS4_3ELNS0_20block_scan_algorithmE0ELj4294967295EEENS1_25partition_config_selectorILNS1_17partition_subalgoE3EjNS0_10empty_typeEbEEZZNS1_14partition_implILS8_3ELb0ES6_jNS0_17counting_iteratorIjlEEPS9_SE_NS0_5tupleIJPjSE_EEENSF_IJSE_SE_EEES9_SG_JZNS1_25segmented_radix_sort_implINS0_14default_configELb1EPKlPlSM_SN_N2at6native12_GLOBAL__N_18offset_tEEE10hipError_tPvRmT1_PNSt15iterator_traitsISV_E10value_typeET2_T3_PNSW_IS11_E10value_typeET4_jRbjT5_S17_jjP12ihipStream_tbEUljE_EEESS_ST_SU_S11_S15_S17_T6_T7_T9_mT8_S19_bDpT10_ENKUlT_T0_E_clISt17integral_constantIbLb1EES1L_IbLb0EEEEDaS1H_S1I_EUlS1H_E_NS1_11comp_targetILNS1_3genE2ELNS1_11target_archE906ELNS1_3gpuE6ELNS1_3repE0EEENS1_30default_config_static_selectorELNS0_4arch9wavefront6targetE0EEEvSV_
; %bb.0:
	.section	.rodata,"a",@progbits
	.p2align	6, 0x0
	.amdhsa_kernel _ZN7rocprim17ROCPRIM_400000_NS6detail17trampoline_kernelINS0_13select_configILj256ELj13ELNS0_17block_load_methodE3ELS4_3ELS4_3ELNS0_20block_scan_algorithmE0ELj4294967295EEENS1_25partition_config_selectorILNS1_17partition_subalgoE3EjNS0_10empty_typeEbEEZZNS1_14partition_implILS8_3ELb0ES6_jNS0_17counting_iteratorIjlEEPS9_SE_NS0_5tupleIJPjSE_EEENSF_IJSE_SE_EEES9_SG_JZNS1_25segmented_radix_sort_implINS0_14default_configELb1EPKlPlSM_SN_N2at6native12_GLOBAL__N_18offset_tEEE10hipError_tPvRmT1_PNSt15iterator_traitsISV_E10value_typeET2_T3_PNSW_IS11_E10value_typeET4_jRbjT5_S17_jjP12ihipStream_tbEUljE_EEESS_ST_SU_S11_S15_S17_T6_T7_T9_mT8_S19_bDpT10_ENKUlT_T0_E_clISt17integral_constantIbLb1EES1L_IbLb0EEEEDaS1H_S1I_EUlS1H_E_NS1_11comp_targetILNS1_3genE2ELNS1_11target_archE906ELNS1_3gpuE6ELNS1_3repE0EEENS1_30default_config_static_selectorELNS0_4arch9wavefront6targetE0EEEvSV_
		.amdhsa_group_segment_fixed_size 0
		.amdhsa_private_segment_fixed_size 0
		.amdhsa_kernarg_size 144
		.amdhsa_user_sgpr_count 2
		.amdhsa_user_sgpr_dispatch_ptr 0
		.amdhsa_user_sgpr_queue_ptr 0
		.amdhsa_user_sgpr_kernarg_segment_ptr 1
		.amdhsa_user_sgpr_dispatch_id 0
		.amdhsa_user_sgpr_private_segment_size 0
		.amdhsa_wavefront_size32 1
		.amdhsa_uses_dynamic_stack 0
		.amdhsa_enable_private_segment 0
		.amdhsa_system_sgpr_workgroup_id_x 1
		.amdhsa_system_sgpr_workgroup_id_y 0
		.amdhsa_system_sgpr_workgroup_id_z 0
		.amdhsa_system_sgpr_workgroup_info 0
		.amdhsa_system_vgpr_workitem_id 0
		.amdhsa_next_free_vgpr 1
		.amdhsa_next_free_sgpr 1
		.amdhsa_reserve_vcc 0
		.amdhsa_float_round_mode_32 0
		.amdhsa_float_round_mode_16_64 0
		.amdhsa_float_denorm_mode_32 3
		.amdhsa_float_denorm_mode_16_64 3
		.amdhsa_fp16_overflow 0
		.amdhsa_workgroup_processor_mode 1
		.amdhsa_memory_ordered 1
		.amdhsa_forward_progress 1
		.amdhsa_inst_pref_size 0
		.amdhsa_round_robin_scheduling 0
		.amdhsa_exception_fp_ieee_invalid_op 0
		.amdhsa_exception_fp_denorm_src 0
		.amdhsa_exception_fp_ieee_div_zero 0
		.amdhsa_exception_fp_ieee_overflow 0
		.amdhsa_exception_fp_ieee_underflow 0
		.amdhsa_exception_fp_ieee_inexact 0
		.amdhsa_exception_int_div_zero 0
	.end_amdhsa_kernel
	.section	.text._ZN7rocprim17ROCPRIM_400000_NS6detail17trampoline_kernelINS0_13select_configILj256ELj13ELNS0_17block_load_methodE3ELS4_3ELS4_3ELNS0_20block_scan_algorithmE0ELj4294967295EEENS1_25partition_config_selectorILNS1_17partition_subalgoE3EjNS0_10empty_typeEbEEZZNS1_14partition_implILS8_3ELb0ES6_jNS0_17counting_iteratorIjlEEPS9_SE_NS0_5tupleIJPjSE_EEENSF_IJSE_SE_EEES9_SG_JZNS1_25segmented_radix_sort_implINS0_14default_configELb1EPKlPlSM_SN_N2at6native12_GLOBAL__N_18offset_tEEE10hipError_tPvRmT1_PNSt15iterator_traitsISV_E10value_typeET2_T3_PNSW_IS11_E10value_typeET4_jRbjT5_S17_jjP12ihipStream_tbEUljE_EEESS_ST_SU_S11_S15_S17_T6_T7_T9_mT8_S19_bDpT10_ENKUlT_T0_E_clISt17integral_constantIbLb1EES1L_IbLb0EEEEDaS1H_S1I_EUlS1H_E_NS1_11comp_targetILNS1_3genE2ELNS1_11target_archE906ELNS1_3gpuE6ELNS1_3repE0EEENS1_30default_config_static_selectorELNS0_4arch9wavefront6targetE0EEEvSV_,"axG",@progbits,_ZN7rocprim17ROCPRIM_400000_NS6detail17trampoline_kernelINS0_13select_configILj256ELj13ELNS0_17block_load_methodE3ELS4_3ELS4_3ELNS0_20block_scan_algorithmE0ELj4294967295EEENS1_25partition_config_selectorILNS1_17partition_subalgoE3EjNS0_10empty_typeEbEEZZNS1_14partition_implILS8_3ELb0ES6_jNS0_17counting_iteratorIjlEEPS9_SE_NS0_5tupleIJPjSE_EEENSF_IJSE_SE_EEES9_SG_JZNS1_25segmented_radix_sort_implINS0_14default_configELb1EPKlPlSM_SN_N2at6native12_GLOBAL__N_18offset_tEEE10hipError_tPvRmT1_PNSt15iterator_traitsISV_E10value_typeET2_T3_PNSW_IS11_E10value_typeET4_jRbjT5_S17_jjP12ihipStream_tbEUljE_EEESS_ST_SU_S11_S15_S17_T6_T7_T9_mT8_S19_bDpT10_ENKUlT_T0_E_clISt17integral_constantIbLb1EES1L_IbLb0EEEEDaS1H_S1I_EUlS1H_E_NS1_11comp_targetILNS1_3genE2ELNS1_11target_archE906ELNS1_3gpuE6ELNS1_3repE0EEENS1_30default_config_static_selectorELNS0_4arch9wavefront6targetE0EEEvSV_,comdat
.Lfunc_end692:
	.size	_ZN7rocprim17ROCPRIM_400000_NS6detail17trampoline_kernelINS0_13select_configILj256ELj13ELNS0_17block_load_methodE3ELS4_3ELS4_3ELNS0_20block_scan_algorithmE0ELj4294967295EEENS1_25partition_config_selectorILNS1_17partition_subalgoE3EjNS0_10empty_typeEbEEZZNS1_14partition_implILS8_3ELb0ES6_jNS0_17counting_iteratorIjlEEPS9_SE_NS0_5tupleIJPjSE_EEENSF_IJSE_SE_EEES9_SG_JZNS1_25segmented_radix_sort_implINS0_14default_configELb1EPKlPlSM_SN_N2at6native12_GLOBAL__N_18offset_tEEE10hipError_tPvRmT1_PNSt15iterator_traitsISV_E10value_typeET2_T3_PNSW_IS11_E10value_typeET4_jRbjT5_S17_jjP12ihipStream_tbEUljE_EEESS_ST_SU_S11_S15_S17_T6_T7_T9_mT8_S19_bDpT10_ENKUlT_T0_E_clISt17integral_constantIbLb1EES1L_IbLb0EEEEDaS1H_S1I_EUlS1H_E_NS1_11comp_targetILNS1_3genE2ELNS1_11target_archE906ELNS1_3gpuE6ELNS1_3repE0EEENS1_30default_config_static_selectorELNS0_4arch9wavefront6targetE0EEEvSV_, .Lfunc_end692-_ZN7rocprim17ROCPRIM_400000_NS6detail17trampoline_kernelINS0_13select_configILj256ELj13ELNS0_17block_load_methodE3ELS4_3ELS4_3ELNS0_20block_scan_algorithmE0ELj4294967295EEENS1_25partition_config_selectorILNS1_17partition_subalgoE3EjNS0_10empty_typeEbEEZZNS1_14partition_implILS8_3ELb0ES6_jNS0_17counting_iteratorIjlEEPS9_SE_NS0_5tupleIJPjSE_EEENSF_IJSE_SE_EEES9_SG_JZNS1_25segmented_radix_sort_implINS0_14default_configELb1EPKlPlSM_SN_N2at6native12_GLOBAL__N_18offset_tEEE10hipError_tPvRmT1_PNSt15iterator_traitsISV_E10value_typeET2_T3_PNSW_IS11_E10value_typeET4_jRbjT5_S17_jjP12ihipStream_tbEUljE_EEESS_ST_SU_S11_S15_S17_T6_T7_T9_mT8_S19_bDpT10_ENKUlT_T0_E_clISt17integral_constantIbLb1EES1L_IbLb0EEEEDaS1H_S1I_EUlS1H_E_NS1_11comp_targetILNS1_3genE2ELNS1_11target_archE906ELNS1_3gpuE6ELNS1_3repE0EEENS1_30default_config_static_selectorELNS0_4arch9wavefront6targetE0EEEvSV_
                                        ; -- End function
	.set _ZN7rocprim17ROCPRIM_400000_NS6detail17trampoline_kernelINS0_13select_configILj256ELj13ELNS0_17block_load_methodE3ELS4_3ELS4_3ELNS0_20block_scan_algorithmE0ELj4294967295EEENS1_25partition_config_selectorILNS1_17partition_subalgoE3EjNS0_10empty_typeEbEEZZNS1_14partition_implILS8_3ELb0ES6_jNS0_17counting_iteratorIjlEEPS9_SE_NS0_5tupleIJPjSE_EEENSF_IJSE_SE_EEES9_SG_JZNS1_25segmented_radix_sort_implINS0_14default_configELb1EPKlPlSM_SN_N2at6native12_GLOBAL__N_18offset_tEEE10hipError_tPvRmT1_PNSt15iterator_traitsISV_E10value_typeET2_T3_PNSW_IS11_E10value_typeET4_jRbjT5_S17_jjP12ihipStream_tbEUljE_EEESS_ST_SU_S11_S15_S17_T6_T7_T9_mT8_S19_bDpT10_ENKUlT_T0_E_clISt17integral_constantIbLb1EES1L_IbLb0EEEEDaS1H_S1I_EUlS1H_E_NS1_11comp_targetILNS1_3genE2ELNS1_11target_archE906ELNS1_3gpuE6ELNS1_3repE0EEENS1_30default_config_static_selectorELNS0_4arch9wavefront6targetE0EEEvSV_.num_vgpr, 0
	.set _ZN7rocprim17ROCPRIM_400000_NS6detail17trampoline_kernelINS0_13select_configILj256ELj13ELNS0_17block_load_methodE3ELS4_3ELS4_3ELNS0_20block_scan_algorithmE0ELj4294967295EEENS1_25partition_config_selectorILNS1_17partition_subalgoE3EjNS0_10empty_typeEbEEZZNS1_14partition_implILS8_3ELb0ES6_jNS0_17counting_iteratorIjlEEPS9_SE_NS0_5tupleIJPjSE_EEENSF_IJSE_SE_EEES9_SG_JZNS1_25segmented_radix_sort_implINS0_14default_configELb1EPKlPlSM_SN_N2at6native12_GLOBAL__N_18offset_tEEE10hipError_tPvRmT1_PNSt15iterator_traitsISV_E10value_typeET2_T3_PNSW_IS11_E10value_typeET4_jRbjT5_S17_jjP12ihipStream_tbEUljE_EEESS_ST_SU_S11_S15_S17_T6_T7_T9_mT8_S19_bDpT10_ENKUlT_T0_E_clISt17integral_constantIbLb1EES1L_IbLb0EEEEDaS1H_S1I_EUlS1H_E_NS1_11comp_targetILNS1_3genE2ELNS1_11target_archE906ELNS1_3gpuE6ELNS1_3repE0EEENS1_30default_config_static_selectorELNS0_4arch9wavefront6targetE0EEEvSV_.num_agpr, 0
	.set _ZN7rocprim17ROCPRIM_400000_NS6detail17trampoline_kernelINS0_13select_configILj256ELj13ELNS0_17block_load_methodE3ELS4_3ELS4_3ELNS0_20block_scan_algorithmE0ELj4294967295EEENS1_25partition_config_selectorILNS1_17partition_subalgoE3EjNS0_10empty_typeEbEEZZNS1_14partition_implILS8_3ELb0ES6_jNS0_17counting_iteratorIjlEEPS9_SE_NS0_5tupleIJPjSE_EEENSF_IJSE_SE_EEES9_SG_JZNS1_25segmented_radix_sort_implINS0_14default_configELb1EPKlPlSM_SN_N2at6native12_GLOBAL__N_18offset_tEEE10hipError_tPvRmT1_PNSt15iterator_traitsISV_E10value_typeET2_T3_PNSW_IS11_E10value_typeET4_jRbjT5_S17_jjP12ihipStream_tbEUljE_EEESS_ST_SU_S11_S15_S17_T6_T7_T9_mT8_S19_bDpT10_ENKUlT_T0_E_clISt17integral_constantIbLb1EES1L_IbLb0EEEEDaS1H_S1I_EUlS1H_E_NS1_11comp_targetILNS1_3genE2ELNS1_11target_archE906ELNS1_3gpuE6ELNS1_3repE0EEENS1_30default_config_static_selectorELNS0_4arch9wavefront6targetE0EEEvSV_.numbered_sgpr, 0
	.set _ZN7rocprim17ROCPRIM_400000_NS6detail17trampoline_kernelINS0_13select_configILj256ELj13ELNS0_17block_load_methodE3ELS4_3ELS4_3ELNS0_20block_scan_algorithmE0ELj4294967295EEENS1_25partition_config_selectorILNS1_17partition_subalgoE3EjNS0_10empty_typeEbEEZZNS1_14partition_implILS8_3ELb0ES6_jNS0_17counting_iteratorIjlEEPS9_SE_NS0_5tupleIJPjSE_EEENSF_IJSE_SE_EEES9_SG_JZNS1_25segmented_radix_sort_implINS0_14default_configELb1EPKlPlSM_SN_N2at6native12_GLOBAL__N_18offset_tEEE10hipError_tPvRmT1_PNSt15iterator_traitsISV_E10value_typeET2_T3_PNSW_IS11_E10value_typeET4_jRbjT5_S17_jjP12ihipStream_tbEUljE_EEESS_ST_SU_S11_S15_S17_T6_T7_T9_mT8_S19_bDpT10_ENKUlT_T0_E_clISt17integral_constantIbLb1EES1L_IbLb0EEEEDaS1H_S1I_EUlS1H_E_NS1_11comp_targetILNS1_3genE2ELNS1_11target_archE906ELNS1_3gpuE6ELNS1_3repE0EEENS1_30default_config_static_selectorELNS0_4arch9wavefront6targetE0EEEvSV_.num_named_barrier, 0
	.set _ZN7rocprim17ROCPRIM_400000_NS6detail17trampoline_kernelINS0_13select_configILj256ELj13ELNS0_17block_load_methodE3ELS4_3ELS4_3ELNS0_20block_scan_algorithmE0ELj4294967295EEENS1_25partition_config_selectorILNS1_17partition_subalgoE3EjNS0_10empty_typeEbEEZZNS1_14partition_implILS8_3ELb0ES6_jNS0_17counting_iteratorIjlEEPS9_SE_NS0_5tupleIJPjSE_EEENSF_IJSE_SE_EEES9_SG_JZNS1_25segmented_radix_sort_implINS0_14default_configELb1EPKlPlSM_SN_N2at6native12_GLOBAL__N_18offset_tEEE10hipError_tPvRmT1_PNSt15iterator_traitsISV_E10value_typeET2_T3_PNSW_IS11_E10value_typeET4_jRbjT5_S17_jjP12ihipStream_tbEUljE_EEESS_ST_SU_S11_S15_S17_T6_T7_T9_mT8_S19_bDpT10_ENKUlT_T0_E_clISt17integral_constantIbLb1EES1L_IbLb0EEEEDaS1H_S1I_EUlS1H_E_NS1_11comp_targetILNS1_3genE2ELNS1_11target_archE906ELNS1_3gpuE6ELNS1_3repE0EEENS1_30default_config_static_selectorELNS0_4arch9wavefront6targetE0EEEvSV_.private_seg_size, 0
	.set _ZN7rocprim17ROCPRIM_400000_NS6detail17trampoline_kernelINS0_13select_configILj256ELj13ELNS0_17block_load_methodE3ELS4_3ELS4_3ELNS0_20block_scan_algorithmE0ELj4294967295EEENS1_25partition_config_selectorILNS1_17partition_subalgoE3EjNS0_10empty_typeEbEEZZNS1_14partition_implILS8_3ELb0ES6_jNS0_17counting_iteratorIjlEEPS9_SE_NS0_5tupleIJPjSE_EEENSF_IJSE_SE_EEES9_SG_JZNS1_25segmented_radix_sort_implINS0_14default_configELb1EPKlPlSM_SN_N2at6native12_GLOBAL__N_18offset_tEEE10hipError_tPvRmT1_PNSt15iterator_traitsISV_E10value_typeET2_T3_PNSW_IS11_E10value_typeET4_jRbjT5_S17_jjP12ihipStream_tbEUljE_EEESS_ST_SU_S11_S15_S17_T6_T7_T9_mT8_S19_bDpT10_ENKUlT_T0_E_clISt17integral_constantIbLb1EES1L_IbLb0EEEEDaS1H_S1I_EUlS1H_E_NS1_11comp_targetILNS1_3genE2ELNS1_11target_archE906ELNS1_3gpuE6ELNS1_3repE0EEENS1_30default_config_static_selectorELNS0_4arch9wavefront6targetE0EEEvSV_.uses_vcc, 0
	.set _ZN7rocprim17ROCPRIM_400000_NS6detail17trampoline_kernelINS0_13select_configILj256ELj13ELNS0_17block_load_methodE3ELS4_3ELS4_3ELNS0_20block_scan_algorithmE0ELj4294967295EEENS1_25partition_config_selectorILNS1_17partition_subalgoE3EjNS0_10empty_typeEbEEZZNS1_14partition_implILS8_3ELb0ES6_jNS0_17counting_iteratorIjlEEPS9_SE_NS0_5tupleIJPjSE_EEENSF_IJSE_SE_EEES9_SG_JZNS1_25segmented_radix_sort_implINS0_14default_configELb1EPKlPlSM_SN_N2at6native12_GLOBAL__N_18offset_tEEE10hipError_tPvRmT1_PNSt15iterator_traitsISV_E10value_typeET2_T3_PNSW_IS11_E10value_typeET4_jRbjT5_S17_jjP12ihipStream_tbEUljE_EEESS_ST_SU_S11_S15_S17_T6_T7_T9_mT8_S19_bDpT10_ENKUlT_T0_E_clISt17integral_constantIbLb1EES1L_IbLb0EEEEDaS1H_S1I_EUlS1H_E_NS1_11comp_targetILNS1_3genE2ELNS1_11target_archE906ELNS1_3gpuE6ELNS1_3repE0EEENS1_30default_config_static_selectorELNS0_4arch9wavefront6targetE0EEEvSV_.uses_flat_scratch, 0
	.set _ZN7rocprim17ROCPRIM_400000_NS6detail17trampoline_kernelINS0_13select_configILj256ELj13ELNS0_17block_load_methodE3ELS4_3ELS4_3ELNS0_20block_scan_algorithmE0ELj4294967295EEENS1_25partition_config_selectorILNS1_17partition_subalgoE3EjNS0_10empty_typeEbEEZZNS1_14partition_implILS8_3ELb0ES6_jNS0_17counting_iteratorIjlEEPS9_SE_NS0_5tupleIJPjSE_EEENSF_IJSE_SE_EEES9_SG_JZNS1_25segmented_radix_sort_implINS0_14default_configELb1EPKlPlSM_SN_N2at6native12_GLOBAL__N_18offset_tEEE10hipError_tPvRmT1_PNSt15iterator_traitsISV_E10value_typeET2_T3_PNSW_IS11_E10value_typeET4_jRbjT5_S17_jjP12ihipStream_tbEUljE_EEESS_ST_SU_S11_S15_S17_T6_T7_T9_mT8_S19_bDpT10_ENKUlT_T0_E_clISt17integral_constantIbLb1EES1L_IbLb0EEEEDaS1H_S1I_EUlS1H_E_NS1_11comp_targetILNS1_3genE2ELNS1_11target_archE906ELNS1_3gpuE6ELNS1_3repE0EEENS1_30default_config_static_selectorELNS0_4arch9wavefront6targetE0EEEvSV_.has_dyn_sized_stack, 0
	.set _ZN7rocprim17ROCPRIM_400000_NS6detail17trampoline_kernelINS0_13select_configILj256ELj13ELNS0_17block_load_methodE3ELS4_3ELS4_3ELNS0_20block_scan_algorithmE0ELj4294967295EEENS1_25partition_config_selectorILNS1_17partition_subalgoE3EjNS0_10empty_typeEbEEZZNS1_14partition_implILS8_3ELb0ES6_jNS0_17counting_iteratorIjlEEPS9_SE_NS0_5tupleIJPjSE_EEENSF_IJSE_SE_EEES9_SG_JZNS1_25segmented_radix_sort_implINS0_14default_configELb1EPKlPlSM_SN_N2at6native12_GLOBAL__N_18offset_tEEE10hipError_tPvRmT1_PNSt15iterator_traitsISV_E10value_typeET2_T3_PNSW_IS11_E10value_typeET4_jRbjT5_S17_jjP12ihipStream_tbEUljE_EEESS_ST_SU_S11_S15_S17_T6_T7_T9_mT8_S19_bDpT10_ENKUlT_T0_E_clISt17integral_constantIbLb1EES1L_IbLb0EEEEDaS1H_S1I_EUlS1H_E_NS1_11comp_targetILNS1_3genE2ELNS1_11target_archE906ELNS1_3gpuE6ELNS1_3repE0EEENS1_30default_config_static_selectorELNS0_4arch9wavefront6targetE0EEEvSV_.has_recursion, 0
	.set _ZN7rocprim17ROCPRIM_400000_NS6detail17trampoline_kernelINS0_13select_configILj256ELj13ELNS0_17block_load_methodE3ELS4_3ELS4_3ELNS0_20block_scan_algorithmE0ELj4294967295EEENS1_25partition_config_selectorILNS1_17partition_subalgoE3EjNS0_10empty_typeEbEEZZNS1_14partition_implILS8_3ELb0ES6_jNS0_17counting_iteratorIjlEEPS9_SE_NS0_5tupleIJPjSE_EEENSF_IJSE_SE_EEES9_SG_JZNS1_25segmented_radix_sort_implINS0_14default_configELb1EPKlPlSM_SN_N2at6native12_GLOBAL__N_18offset_tEEE10hipError_tPvRmT1_PNSt15iterator_traitsISV_E10value_typeET2_T3_PNSW_IS11_E10value_typeET4_jRbjT5_S17_jjP12ihipStream_tbEUljE_EEESS_ST_SU_S11_S15_S17_T6_T7_T9_mT8_S19_bDpT10_ENKUlT_T0_E_clISt17integral_constantIbLb1EES1L_IbLb0EEEEDaS1H_S1I_EUlS1H_E_NS1_11comp_targetILNS1_3genE2ELNS1_11target_archE906ELNS1_3gpuE6ELNS1_3repE0EEENS1_30default_config_static_selectorELNS0_4arch9wavefront6targetE0EEEvSV_.has_indirect_call, 0
	.section	.AMDGPU.csdata,"",@progbits
; Kernel info:
; codeLenInByte = 0
; TotalNumSgprs: 0
; NumVgprs: 0
; ScratchSize: 0
; MemoryBound: 0
; FloatMode: 240
; IeeeMode: 1
; LDSByteSize: 0 bytes/workgroup (compile time only)
; SGPRBlocks: 0
; VGPRBlocks: 0
; NumSGPRsForWavesPerEU: 1
; NumVGPRsForWavesPerEU: 1
; Occupancy: 16
; WaveLimiterHint : 0
; COMPUTE_PGM_RSRC2:SCRATCH_EN: 0
; COMPUTE_PGM_RSRC2:USER_SGPR: 2
; COMPUTE_PGM_RSRC2:TRAP_HANDLER: 0
; COMPUTE_PGM_RSRC2:TGID_X_EN: 1
; COMPUTE_PGM_RSRC2:TGID_Y_EN: 0
; COMPUTE_PGM_RSRC2:TGID_Z_EN: 0
; COMPUTE_PGM_RSRC2:TIDIG_COMP_CNT: 0
	.section	.text._ZN7rocprim17ROCPRIM_400000_NS6detail17trampoline_kernelINS0_13select_configILj256ELj13ELNS0_17block_load_methodE3ELS4_3ELS4_3ELNS0_20block_scan_algorithmE0ELj4294967295EEENS1_25partition_config_selectorILNS1_17partition_subalgoE3EjNS0_10empty_typeEbEEZZNS1_14partition_implILS8_3ELb0ES6_jNS0_17counting_iteratorIjlEEPS9_SE_NS0_5tupleIJPjSE_EEENSF_IJSE_SE_EEES9_SG_JZNS1_25segmented_radix_sort_implINS0_14default_configELb1EPKlPlSM_SN_N2at6native12_GLOBAL__N_18offset_tEEE10hipError_tPvRmT1_PNSt15iterator_traitsISV_E10value_typeET2_T3_PNSW_IS11_E10value_typeET4_jRbjT5_S17_jjP12ihipStream_tbEUljE_EEESS_ST_SU_S11_S15_S17_T6_T7_T9_mT8_S19_bDpT10_ENKUlT_T0_E_clISt17integral_constantIbLb1EES1L_IbLb0EEEEDaS1H_S1I_EUlS1H_E_NS1_11comp_targetILNS1_3genE10ELNS1_11target_archE1200ELNS1_3gpuE4ELNS1_3repE0EEENS1_30default_config_static_selectorELNS0_4arch9wavefront6targetE0EEEvSV_,"axG",@progbits,_ZN7rocprim17ROCPRIM_400000_NS6detail17trampoline_kernelINS0_13select_configILj256ELj13ELNS0_17block_load_methodE3ELS4_3ELS4_3ELNS0_20block_scan_algorithmE0ELj4294967295EEENS1_25partition_config_selectorILNS1_17partition_subalgoE3EjNS0_10empty_typeEbEEZZNS1_14partition_implILS8_3ELb0ES6_jNS0_17counting_iteratorIjlEEPS9_SE_NS0_5tupleIJPjSE_EEENSF_IJSE_SE_EEES9_SG_JZNS1_25segmented_radix_sort_implINS0_14default_configELb1EPKlPlSM_SN_N2at6native12_GLOBAL__N_18offset_tEEE10hipError_tPvRmT1_PNSt15iterator_traitsISV_E10value_typeET2_T3_PNSW_IS11_E10value_typeET4_jRbjT5_S17_jjP12ihipStream_tbEUljE_EEESS_ST_SU_S11_S15_S17_T6_T7_T9_mT8_S19_bDpT10_ENKUlT_T0_E_clISt17integral_constantIbLb1EES1L_IbLb0EEEEDaS1H_S1I_EUlS1H_E_NS1_11comp_targetILNS1_3genE10ELNS1_11target_archE1200ELNS1_3gpuE4ELNS1_3repE0EEENS1_30default_config_static_selectorELNS0_4arch9wavefront6targetE0EEEvSV_,comdat
	.globl	_ZN7rocprim17ROCPRIM_400000_NS6detail17trampoline_kernelINS0_13select_configILj256ELj13ELNS0_17block_load_methodE3ELS4_3ELS4_3ELNS0_20block_scan_algorithmE0ELj4294967295EEENS1_25partition_config_selectorILNS1_17partition_subalgoE3EjNS0_10empty_typeEbEEZZNS1_14partition_implILS8_3ELb0ES6_jNS0_17counting_iteratorIjlEEPS9_SE_NS0_5tupleIJPjSE_EEENSF_IJSE_SE_EEES9_SG_JZNS1_25segmented_radix_sort_implINS0_14default_configELb1EPKlPlSM_SN_N2at6native12_GLOBAL__N_18offset_tEEE10hipError_tPvRmT1_PNSt15iterator_traitsISV_E10value_typeET2_T3_PNSW_IS11_E10value_typeET4_jRbjT5_S17_jjP12ihipStream_tbEUljE_EEESS_ST_SU_S11_S15_S17_T6_T7_T9_mT8_S19_bDpT10_ENKUlT_T0_E_clISt17integral_constantIbLb1EES1L_IbLb0EEEEDaS1H_S1I_EUlS1H_E_NS1_11comp_targetILNS1_3genE10ELNS1_11target_archE1200ELNS1_3gpuE4ELNS1_3repE0EEENS1_30default_config_static_selectorELNS0_4arch9wavefront6targetE0EEEvSV_ ; -- Begin function _ZN7rocprim17ROCPRIM_400000_NS6detail17trampoline_kernelINS0_13select_configILj256ELj13ELNS0_17block_load_methodE3ELS4_3ELS4_3ELNS0_20block_scan_algorithmE0ELj4294967295EEENS1_25partition_config_selectorILNS1_17partition_subalgoE3EjNS0_10empty_typeEbEEZZNS1_14partition_implILS8_3ELb0ES6_jNS0_17counting_iteratorIjlEEPS9_SE_NS0_5tupleIJPjSE_EEENSF_IJSE_SE_EEES9_SG_JZNS1_25segmented_radix_sort_implINS0_14default_configELb1EPKlPlSM_SN_N2at6native12_GLOBAL__N_18offset_tEEE10hipError_tPvRmT1_PNSt15iterator_traitsISV_E10value_typeET2_T3_PNSW_IS11_E10value_typeET4_jRbjT5_S17_jjP12ihipStream_tbEUljE_EEESS_ST_SU_S11_S15_S17_T6_T7_T9_mT8_S19_bDpT10_ENKUlT_T0_E_clISt17integral_constantIbLb1EES1L_IbLb0EEEEDaS1H_S1I_EUlS1H_E_NS1_11comp_targetILNS1_3genE10ELNS1_11target_archE1200ELNS1_3gpuE4ELNS1_3repE0EEENS1_30default_config_static_selectorELNS0_4arch9wavefront6targetE0EEEvSV_
	.p2align	8
	.type	_ZN7rocprim17ROCPRIM_400000_NS6detail17trampoline_kernelINS0_13select_configILj256ELj13ELNS0_17block_load_methodE3ELS4_3ELS4_3ELNS0_20block_scan_algorithmE0ELj4294967295EEENS1_25partition_config_selectorILNS1_17partition_subalgoE3EjNS0_10empty_typeEbEEZZNS1_14partition_implILS8_3ELb0ES6_jNS0_17counting_iteratorIjlEEPS9_SE_NS0_5tupleIJPjSE_EEENSF_IJSE_SE_EEES9_SG_JZNS1_25segmented_radix_sort_implINS0_14default_configELb1EPKlPlSM_SN_N2at6native12_GLOBAL__N_18offset_tEEE10hipError_tPvRmT1_PNSt15iterator_traitsISV_E10value_typeET2_T3_PNSW_IS11_E10value_typeET4_jRbjT5_S17_jjP12ihipStream_tbEUljE_EEESS_ST_SU_S11_S15_S17_T6_T7_T9_mT8_S19_bDpT10_ENKUlT_T0_E_clISt17integral_constantIbLb1EES1L_IbLb0EEEEDaS1H_S1I_EUlS1H_E_NS1_11comp_targetILNS1_3genE10ELNS1_11target_archE1200ELNS1_3gpuE4ELNS1_3repE0EEENS1_30default_config_static_selectorELNS0_4arch9wavefront6targetE0EEEvSV_,@function
_ZN7rocprim17ROCPRIM_400000_NS6detail17trampoline_kernelINS0_13select_configILj256ELj13ELNS0_17block_load_methodE3ELS4_3ELS4_3ELNS0_20block_scan_algorithmE0ELj4294967295EEENS1_25partition_config_selectorILNS1_17partition_subalgoE3EjNS0_10empty_typeEbEEZZNS1_14partition_implILS8_3ELb0ES6_jNS0_17counting_iteratorIjlEEPS9_SE_NS0_5tupleIJPjSE_EEENSF_IJSE_SE_EEES9_SG_JZNS1_25segmented_radix_sort_implINS0_14default_configELb1EPKlPlSM_SN_N2at6native12_GLOBAL__N_18offset_tEEE10hipError_tPvRmT1_PNSt15iterator_traitsISV_E10value_typeET2_T3_PNSW_IS11_E10value_typeET4_jRbjT5_S17_jjP12ihipStream_tbEUljE_EEESS_ST_SU_S11_S15_S17_T6_T7_T9_mT8_S19_bDpT10_ENKUlT_T0_E_clISt17integral_constantIbLb1EES1L_IbLb0EEEEDaS1H_S1I_EUlS1H_E_NS1_11comp_targetILNS1_3genE10ELNS1_11target_archE1200ELNS1_3gpuE4ELNS1_3repE0EEENS1_30default_config_static_selectorELNS0_4arch9wavefront6targetE0EEEvSV_: ; @_ZN7rocprim17ROCPRIM_400000_NS6detail17trampoline_kernelINS0_13select_configILj256ELj13ELNS0_17block_load_methodE3ELS4_3ELS4_3ELNS0_20block_scan_algorithmE0ELj4294967295EEENS1_25partition_config_selectorILNS1_17partition_subalgoE3EjNS0_10empty_typeEbEEZZNS1_14partition_implILS8_3ELb0ES6_jNS0_17counting_iteratorIjlEEPS9_SE_NS0_5tupleIJPjSE_EEENSF_IJSE_SE_EEES9_SG_JZNS1_25segmented_radix_sort_implINS0_14default_configELb1EPKlPlSM_SN_N2at6native12_GLOBAL__N_18offset_tEEE10hipError_tPvRmT1_PNSt15iterator_traitsISV_E10value_typeET2_T3_PNSW_IS11_E10value_typeET4_jRbjT5_S17_jjP12ihipStream_tbEUljE_EEESS_ST_SU_S11_S15_S17_T6_T7_T9_mT8_S19_bDpT10_ENKUlT_T0_E_clISt17integral_constantIbLb1EES1L_IbLb0EEEEDaS1H_S1I_EUlS1H_E_NS1_11comp_targetILNS1_3genE10ELNS1_11target_archE1200ELNS1_3gpuE4ELNS1_3repE0EEENS1_30default_config_static_selectorELNS0_4arch9wavefront6targetE0EEEvSV_
; %bb.0:
	s_endpgm
	.section	.rodata,"a",@progbits
	.p2align	6, 0x0
	.amdhsa_kernel _ZN7rocprim17ROCPRIM_400000_NS6detail17trampoline_kernelINS0_13select_configILj256ELj13ELNS0_17block_load_methodE3ELS4_3ELS4_3ELNS0_20block_scan_algorithmE0ELj4294967295EEENS1_25partition_config_selectorILNS1_17partition_subalgoE3EjNS0_10empty_typeEbEEZZNS1_14partition_implILS8_3ELb0ES6_jNS0_17counting_iteratorIjlEEPS9_SE_NS0_5tupleIJPjSE_EEENSF_IJSE_SE_EEES9_SG_JZNS1_25segmented_radix_sort_implINS0_14default_configELb1EPKlPlSM_SN_N2at6native12_GLOBAL__N_18offset_tEEE10hipError_tPvRmT1_PNSt15iterator_traitsISV_E10value_typeET2_T3_PNSW_IS11_E10value_typeET4_jRbjT5_S17_jjP12ihipStream_tbEUljE_EEESS_ST_SU_S11_S15_S17_T6_T7_T9_mT8_S19_bDpT10_ENKUlT_T0_E_clISt17integral_constantIbLb1EES1L_IbLb0EEEEDaS1H_S1I_EUlS1H_E_NS1_11comp_targetILNS1_3genE10ELNS1_11target_archE1200ELNS1_3gpuE4ELNS1_3repE0EEENS1_30default_config_static_selectorELNS0_4arch9wavefront6targetE0EEEvSV_
		.amdhsa_group_segment_fixed_size 0
		.amdhsa_private_segment_fixed_size 0
		.amdhsa_kernarg_size 144
		.amdhsa_user_sgpr_count 2
		.amdhsa_user_sgpr_dispatch_ptr 0
		.amdhsa_user_sgpr_queue_ptr 0
		.amdhsa_user_sgpr_kernarg_segment_ptr 1
		.amdhsa_user_sgpr_dispatch_id 0
		.amdhsa_user_sgpr_private_segment_size 0
		.amdhsa_wavefront_size32 1
		.amdhsa_uses_dynamic_stack 0
		.amdhsa_enable_private_segment 0
		.amdhsa_system_sgpr_workgroup_id_x 1
		.amdhsa_system_sgpr_workgroup_id_y 0
		.amdhsa_system_sgpr_workgroup_id_z 0
		.amdhsa_system_sgpr_workgroup_info 0
		.amdhsa_system_vgpr_workitem_id 0
		.amdhsa_next_free_vgpr 1
		.amdhsa_next_free_sgpr 1
		.amdhsa_reserve_vcc 0
		.amdhsa_float_round_mode_32 0
		.amdhsa_float_round_mode_16_64 0
		.amdhsa_float_denorm_mode_32 3
		.amdhsa_float_denorm_mode_16_64 3
		.amdhsa_fp16_overflow 0
		.amdhsa_workgroup_processor_mode 1
		.amdhsa_memory_ordered 1
		.amdhsa_forward_progress 1
		.amdhsa_inst_pref_size 1
		.amdhsa_round_robin_scheduling 0
		.amdhsa_exception_fp_ieee_invalid_op 0
		.amdhsa_exception_fp_denorm_src 0
		.amdhsa_exception_fp_ieee_div_zero 0
		.amdhsa_exception_fp_ieee_overflow 0
		.amdhsa_exception_fp_ieee_underflow 0
		.amdhsa_exception_fp_ieee_inexact 0
		.amdhsa_exception_int_div_zero 0
	.end_amdhsa_kernel
	.section	.text._ZN7rocprim17ROCPRIM_400000_NS6detail17trampoline_kernelINS0_13select_configILj256ELj13ELNS0_17block_load_methodE3ELS4_3ELS4_3ELNS0_20block_scan_algorithmE0ELj4294967295EEENS1_25partition_config_selectorILNS1_17partition_subalgoE3EjNS0_10empty_typeEbEEZZNS1_14partition_implILS8_3ELb0ES6_jNS0_17counting_iteratorIjlEEPS9_SE_NS0_5tupleIJPjSE_EEENSF_IJSE_SE_EEES9_SG_JZNS1_25segmented_radix_sort_implINS0_14default_configELb1EPKlPlSM_SN_N2at6native12_GLOBAL__N_18offset_tEEE10hipError_tPvRmT1_PNSt15iterator_traitsISV_E10value_typeET2_T3_PNSW_IS11_E10value_typeET4_jRbjT5_S17_jjP12ihipStream_tbEUljE_EEESS_ST_SU_S11_S15_S17_T6_T7_T9_mT8_S19_bDpT10_ENKUlT_T0_E_clISt17integral_constantIbLb1EES1L_IbLb0EEEEDaS1H_S1I_EUlS1H_E_NS1_11comp_targetILNS1_3genE10ELNS1_11target_archE1200ELNS1_3gpuE4ELNS1_3repE0EEENS1_30default_config_static_selectorELNS0_4arch9wavefront6targetE0EEEvSV_,"axG",@progbits,_ZN7rocprim17ROCPRIM_400000_NS6detail17trampoline_kernelINS0_13select_configILj256ELj13ELNS0_17block_load_methodE3ELS4_3ELS4_3ELNS0_20block_scan_algorithmE0ELj4294967295EEENS1_25partition_config_selectorILNS1_17partition_subalgoE3EjNS0_10empty_typeEbEEZZNS1_14partition_implILS8_3ELb0ES6_jNS0_17counting_iteratorIjlEEPS9_SE_NS0_5tupleIJPjSE_EEENSF_IJSE_SE_EEES9_SG_JZNS1_25segmented_radix_sort_implINS0_14default_configELb1EPKlPlSM_SN_N2at6native12_GLOBAL__N_18offset_tEEE10hipError_tPvRmT1_PNSt15iterator_traitsISV_E10value_typeET2_T3_PNSW_IS11_E10value_typeET4_jRbjT5_S17_jjP12ihipStream_tbEUljE_EEESS_ST_SU_S11_S15_S17_T6_T7_T9_mT8_S19_bDpT10_ENKUlT_T0_E_clISt17integral_constantIbLb1EES1L_IbLb0EEEEDaS1H_S1I_EUlS1H_E_NS1_11comp_targetILNS1_3genE10ELNS1_11target_archE1200ELNS1_3gpuE4ELNS1_3repE0EEENS1_30default_config_static_selectorELNS0_4arch9wavefront6targetE0EEEvSV_,comdat
.Lfunc_end693:
	.size	_ZN7rocprim17ROCPRIM_400000_NS6detail17trampoline_kernelINS0_13select_configILj256ELj13ELNS0_17block_load_methodE3ELS4_3ELS4_3ELNS0_20block_scan_algorithmE0ELj4294967295EEENS1_25partition_config_selectorILNS1_17partition_subalgoE3EjNS0_10empty_typeEbEEZZNS1_14partition_implILS8_3ELb0ES6_jNS0_17counting_iteratorIjlEEPS9_SE_NS0_5tupleIJPjSE_EEENSF_IJSE_SE_EEES9_SG_JZNS1_25segmented_radix_sort_implINS0_14default_configELb1EPKlPlSM_SN_N2at6native12_GLOBAL__N_18offset_tEEE10hipError_tPvRmT1_PNSt15iterator_traitsISV_E10value_typeET2_T3_PNSW_IS11_E10value_typeET4_jRbjT5_S17_jjP12ihipStream_tbEUljE_EEESS_ST_SU_S11_S15_S17_T6_T7_T9_mT8_S19_bDpT10_ENKUlT_T0_E_clISt17integral_constantIbLb1EES1L_IbLb0EEEEDaS1H_S1I_EUlS1H_E_NS1_11comp_targetILNS1_3genE10ELNS1_11target_archE1200ELNS1_3gpuE4ELNS1_3repE0EEENS1_30default_config_static_selectorELNS0_4arch9wavefront6targetE0EEEvSV_, .Lfunc_end693-_ZN7rocprim17ROCPRIM_400000_NS6detail17trampoline_kernelINS0_13select_configILj256ELj13ELNS0_17block_load_methodE3ELS4_3ELS4_3ELNS0_20block_scan_algorithmE0ELj4294967295EEENS1_25partition_config_selectorILNS1_17partition_subalgoE3EjNS0_10empty_typeEbEEZZNS1_14partition_implILS8_3ELb0ES6_jNS0_17counting_iteratorIjlEEPS9_SE_NS0_5tupleIJPjSE_EEENSF_IJSE_SE_EEES9_SG_JZNS1_25segmented_radix_sort_implINS0_14default_configELb1EPKlPlSM_SN_N2at6native12_GLOBAL__N_18offset_tEEE10hipError_tPvRmT1_PNSt15iterator_traitsISV_E10value_typeET2_T3_PNSW_IS11_E10value_typeET4_jRbjT5_S17_jjP12ihipStream_tbEUljE_EEESS_ST_SU_S11_S15_S17_T6_T7_T9_mT8_S19_bDpT10_ENKUlT_T0_E_clISt17integral_constantIbLb1EES1L_IbLb0EEEEDaS1H_S1I_EUlS1H_E_NS1_11comp_targetILNS1_3genE10ELNS1_11target_archE1200ELNS1_3gpuE4ELNS1_3repE0EEENS1_30default_config_static_selectorELNS0_4arch9wavefront6targetE0EEEvSV_
                                        ; -- End function
	.set _ZN7rocprim17ROCPRIM_400000_NS6detail17trampoline_kernelINS0_13select_configILj256ELj13ELNS0_17block_load_methodE3ELS4_3ELS4_3ELNS0_20block_scan_algorithmE0ELj4294967295EEENS1_25partition_config_selectorILNS1_17partition_subalgoE3EjNS0_10empty_typeEbEEZZNS1_14partition_implILS8_3ELb0ES6_jNS0_17counting_iteratorIjlEEPS9_SE_NS0_5tupleIJPjSE_EEENSF_IJSE_SE_EEES9_SG_JZNS1_25segmented_radix_sort_implINS0_14default_configELb1EPKlPlSM_SN_N2at6native12_GLOBAL__N_18offset_tEEE10hipError_tPvRmT1_PNSt15iterator_traitsISV_E10value_typeET2_T3_PNSW_IS11_E10value_typeET4_jRbjT5_S17_jjP12ihipStream_tbEUljE_EEESS_ST_SU_S11_S15_S17_T6_T7_T9_mT8_S19_bDpT10_ENKUlT_T0_E_clISt17integral_constantIbLb1EES1L_IbLb0EEEEDaS1H_S1I_EUlS1H_E_NS1_11comp_targetILNS1_3genE10ELNS1_11target_archE1200ELNS1_3gpuE4ELNS1_3repE0EEENS1_30default_config_static_selectorELNS0_4arch9wavefront6targetE0EEEvSV_.num_vgpr, 0
	.set _ZN7rocprim17ROCPRIM_400000_NS6detail17trampoline_kernelINS0_13select_configILj256ELj13ELNS0_17block_load_methodE3ELS4_3ELS4_3ELNS0_20block_scan_algorithmE0ELj4294967295EEENS1_25partition_config_selectorILNS1_17partition_subalgoE3EjNS0_10empty_typeEbEEZZNS1_14partition_implILS8_3ELb0ES6_jNS0_17counting_iteratorIjlEEPS9_SE_NS0_5tupleIJPjSE_EEENSF_IJSE_SE_EEES9_SG_JZNS1_25segmented_radix_sort_implINS0_14default_configELb1EPKlPlSM_SN_N2at6native12_GLOBAL__N_18offset_tEEE10hipError_tPvRmT1_PNSt15iterator_traitsISV_E10value_typeET2_T3_PNSW_IS11_E10value_typeET4_jRbjT5_S17_jjP12ihipStream_tbEUljE_EEESS_ST_SU_S11_S15_S17_T6_T7_T9_mT8_S19_bDpT10_ENKUlT_T0_E_clISt17integral_constantIbLb1EES1L_IbLb0EEEEDaS1H_S1I_EUlS1H_E_NS1_11comp_targetILNS1_3genE10ELNS1_11target_archE1200ELNS1_3gpuE4ELNS1_3repE0EEENS1_30default_config_static_selectorELNS0_4arch9wavefront6targetE0EEEvSV_.num_agpr, 0
	.set _ZN7rocprim17ROCPRIM_400000_NS6detail17trampoline_kernelINS0_13select_configILj256ELj13ELNS0_17block_load_methodE3ELS4_3ELS4_3ELNS0_20block_scan_algorithmE0ELj4294967295EEENS1_25partition_config_selectorILNS1_17partition_subalgoE3EjNS0_10empty_typeEbEEZZNS1_14partition_implILS8_3ELb0ES6_jNS0_17counting_iteratorIjlEEPS9_SE_NS0_5tupleIJPjSE_EEENSF_IJSE_SE_EEES9_SG_JZNS1_25segmented_radix_sort_implINS0_14default_configELb1EPKlPlSM_SN_N2at6native12_GLOBAL__N_18offset_tEEE10hipError_tPvRmT1_PNSt15iterator_traitsISV_E10value_typeET2_T3_PNSW_IS11_E10value_typeET4_jRbjT5_S17_jjP12ihipStream_tbEUljE_EEESS_ST_SU_S11_S15_S17_T6_T7_T9_mT8_S19_bDpT10_ENKUlT_T0_E_clISt17integral_constantIbLb1EES1L_IbLb0EEEEDaS1H_S1I_EUlS1H_E_NS1_11comp_targetILNS1_3genE10ELNS1_11target_archE1200ELNS1_3gpuE4ELNS1_3repE0EEENS1_30default_config_static_selectorELNS0_4arch9wavefront6targetE0EEEvSV_.numbered_sgpr, 0
	.set _ZN7rocprim17ROCPRIM_400000_NS6detail17trampoline_kernelINS0_13select_configILj256ELj13ELNS0_17block_load_methodE3ELS4_3ELS4_3ELNS0_20block_scan_algorithmE0ELj4294967295EEENS1_25partition_config_selectorILNS1_17partition_subalgoE3EjNS0_10empty_typeEbEEZZNS1_14partition_implILS8_3ELb0ES6_jNS0_17counting_iteratorIjlEEPS9_SE_NS0_5tupleIJPjSE_EEENSF_IJSE_SE_EEES9_SG_JZNS1_25segmented_radix_sort_implINS0_14default_configELb1EPKlPlSM_SN_N2at6native12_GLOBAL__N_18offset_tEEE10hipError_tPvRmT1_PNSt15iterator_traitsISV_E10value_typeET2_T3_PNSW_IS11_E10value_typeET4_jRbjT5_S17_jjP12ihipStream_tbEUljE_EEESS_ST_SU_S11_S15_S17_T6_T7_T9_mT8_S19_bDpT10_ENKUlT_T0_E_clISt17integral_constantIbLb1EES1L_IbLb0EEEEDaS1H_S1I_EUlS1H_E_NS1_11comp_targetILNS1_3genE10ELNS1_11target_archE1200ELNS1_3gpuE4ELNS1_3repE0EEENS1_30default_config_static_selectorELNS0_4arch9wavefront6targetE0EEEvSV_.num_named_barrier, 0
	.set _ZN7rocprim17ROCPRIM_400000_NS6detail17trampoline_kernelINS0_13select_configILj256ELj13ELNS0_17block_load_methodE3ELS4_3ELS4_3ELNS0_20block_scan_algorithmE0ELj4294967295EEENS1_25partition_config_selectorILNS1_17partition_subalgoE3EjNS0_10empty_typeEbEEZZNS1_14partition_implILS8_3ELb0ES6_jNS0_17counting_iteratorIjlEEPS9_SE_NS0_5tupleIJPjSE_EEENSF_IJSE_SE_EEES9_SG_JZNS1_25segmented_radix_sort_implINS0_14default_configELb1EPKlPlSM_SN_N2at6native12_GLOBAL__N_18offset_tEEE10hipError_tPvRmT1_PNSt15iterator_traitsISV_E10value_typeET2_T3_PNSW_IS11_E10value_typeET4_jRbjT5_S17_jjP12ihipStream_tbEUljE_EEESS_ST_SU_S11_S15_S17_T6_T7_T9_mT8_S19_bDpT10_ENKUlT_T0_E_clISt17integral_constantIbLb1EES1L_IbLb0EEEEDaS1H_S1I_EUlS1H_E_NS1_11comp_targetILNS1_3genE10ELNS1_11target_archE1200ELNS1_3gpuE4ELNS1_3repE0EEENS1_30default_config_static_selectorELNS0_4arch9wavefront6targetE0EEEvSV_.private_seg_size, 0
	.set _ZN7rocprim17ROCPRIM_400000_NS6detail17trampoline_kernelINS0_13select_configILj256ELj13ELNS0_17block_load_methodE3ELS4_3ELS4_3ELNS0_20block_scan_algorithmE0ELj4294967295EEENS1_25partition_config_selectorILNS1_17partition_subalgoE3EjNS0_10empty_typeEbEEZZNS1_14partition_implILS8_3ELb0ES6_jNS0_17counting_iteratorIjlEEPS9_SE_NS0_5tupleIJPjSE_EEENSF_IJSE_SE_EEES9_SG_JZNS1_25segmented_radix_sort_implINS0_14default_configELb1EPKlPlSM_SN_N2at6native12_GLOBAL__N_18offset_tEEE10hipError_tPvRmT1_PNSt15iterator_traitsISV_E10value_typeET2_T3_PNSW_IS11_E10value_typeET4_jRbjT5_S17_jjP12ihipStream_tbEUljE_EEESS_ST_SU_S11_S15_S17_T6_T7_T9_mT8_S19_bDpT10_ENKUlT_T0_E_clISt17integral_constantIbLb1EES1L_IbLb0EEEEDaS1H_S1I_EUlS1H_E_NS1_11comp_targetILNS1_3genE10ELNS1_11target_archE1200ELNS1_3gpuE4ELNS1_3repE0EEENS1_30default_config_static_selectorELNS0_4arch9wavefront6targetE0EEEvSV_.uses_vcc, 0
	.set _ZN7rocprim17ROCPRIM_400000_NS6detail17trampoline_kernelINS0_13select_configILj256ELj13ELNS0_17block_load_methodE3ELS4_3ELS4_3ELNS0_20block_scan_algorithmE0ELj4294967295EEENS1_25partition_config_selectorILNS1_17partition_subalgoE3EjNS0_10empty_typeEbEEZZNS1_14partition_implILS8_3ELb0ES6_jNS0_17counting_iteratorIjlEEPS9_SE_NS0_5tupleIJPjSE_EEENSF_IJSE_SE_EEES9_SG_JZNS1_25segmented_radix_sort_implINS0_14default_configELb1EPKlPlSM_SN_N2at6native12_GLOBAL__N_18offset_tEEE10hipError_tPvRmT1_PNSt15iterator_traitsISV_E10value_typeET2_T3_PNSW_IS11_E10value_typeET4_jRbjT5_S17_jjP12ihipStream_tbEUljE_EEESS_ST_SU_S11_S15_S17_T6_T7_T9_mT8_S19_bDpT10_ENKUlT_T0_E_clISt17integral_constantIbLb1EES1L_IbLb0EEEEDaS1H_S1I_EUlS1H_E_NS1_11comp_targetILNS1_3genE10ELNS1_11target_archE1200ELNS1_3gpuE4ELNS1_3repE0EEENS1_30default_config_static_selectorELNS0_4arch9wavefront6targetE0EEEvSV_.uses_flat_scratch, 0
	.set _ZN7rocprim17ROCPRIM_400000_NS6detail17trampoline_kernelINS0_13select_configILj256ELj13ELNS0_17block_load_methodE3ELS4_3ELS4_3ELNS0_20block_scan_algorithmE0ELj4294967295EEENS1_25partition_config_selectorILNS1_17partition_subalgoE3EjNS0_10empty_typeEbEEZZNS1_14partition_implILS8_3ELb0ES6_jNS0_17counting_iteratorIjlEEPS9_SE_NS0_5tupleIJPjSE_EEENSF_IJSE_SE_EEES9_SG_JZNS1_25segmented_radix_sort_implINS0_14default_configELb1EPKlPlSM_SN_N2at6native12_GLOBAL__N_18offset_tEEE10hipError_tPvRmT1_PNSt15iterator_traitsISV_E10value_typeET2_T3_PNSW_IS11_E10value_typeET4_jRbjT5_S17_jjP12ihipStream_tbEUljE_EEESS_ST_SU_S11_S15_S17_T6_T7_T9_mT8_S19_bDpT10_ENKUlT_T0_E_clISt17integral_constantIbLb1EES1L_IbLb0EEEEDaS1H_S1I_EUlS1H_E_NS1_11comp_targetILNS1_3genE10ELNS1_11target_archE1200ELNS1_3gpuE4ELNS1_3repE0EEENS1_30default_config_static_selectorELNS0_4arch9wavefront6targetE0EEEvSV_.has_dyn_sized_stack, 0
	.set _ZN7rocprim17ROCPRIM_400000_NS6detail17trampoline_kernelINS0_13select_configILj256ELj13ELNS0_17block_load_methodE3ELS4_3ELS4_3ELNS0_20block_scan_algorithmE0ELj4294967295EEENS1_25partition_config_selectorILNS1_17partition_subalgoE3EjNS0_10empty_typeEbEEZZNS1_14partition_implILS8_3ELb0ES6_jNS0_17counting_iteratorIjlEEPS9_SE_NS0_5tupleIJPjSE_EEENSF_IJSE_SE_EEES9_SG_JZNS1_25segmented_radix_sort_implINS0_14default_configELb1EPKlPlSM_SN_N2at6native12_GLOBAL__N_18offset_tEEE10hipError_tPvRmT1_PNSt15iterator_traitsISV_E10value_typeET2_T3_PNSW_IS11_E10value_typeET4_jRbjT5_S17_jjP12ihipStream_tbEUljE_EEESS_ST_SU_S11_S15_S17_T6_T7_T9_mT8_S19_bDpT10_ENKUlT_T0_E_clISt17integral_constantIbLb1EES1L_IbLb0EEEEDaS1H_S1I_EUlS1H_E_NS1_11comp_targetILNS1_3genE10ELNS1_11target_archE1200ELNS1_3gpuE4ELNS1_3repE0EEENS1_30default_config_static_selectorELNS0_4arch9wavefront6targetE0EEEvSV_.has_recursion, 0
	.set _ZN7rocprim17ROCPRIM_400000_NS6detail17trampoline_kernelINS0_13select_configILj256ELj13ELNS0_17block_load_methodE3ELS4_3ELS4_3ELNS0_20block_scan_algorithmE0ELj4294967295EEENS1_25partition_config_selectorILNS1_17partition_subalgoE3EjNS0_10empty_typeEbEEZZNS1_14partition_implILS8_3ELb0ES6_jNS0_17counting_iteratorIjlEEPS9_SE_NS0_5tupleIJPjSE_EEENSF_IJSE_SE_EEES9_SG_JZNS1_25segmented_radix_sort_implINS0_14default_configELb1EPKlPlSM_SN_N2at6native12_GLOBAL__N_18offset_tEEE10hipError_tPvRmT1_PNSt15iterator_traitsISV_E10value_typeET2_T3_PNSW_IS11_E10value_typeET4_jRbjT5_S17_jjP12ihipStream_tbEUljE_EEESS_ST_SU_S11_S15_S17_T6_T7_T9_mT8_S19_bDpT10_ENKUlT_T0_E_clISt17integral_constantIbLb1EES1L_IbLb0EEEEDaS1H_S1I_EUlS1H_E_NS1_11comp_targetILNS1_3genE10ELNS1_11target_archE1200ELNS1_3gpuE4ELNS1_3repE0EEENS1_30default_config_static_selectorELNS0_4arch9wavefront6targetE0EEEvSV_.has_indirect_call, 0
	.section	.AMDGPU.csdata,"",@progbits
; Kernel info:
; codeLenInByte = 4
; TotalNumSgprs: 0
; NumVgprs: 0
; ScratchSize: 0
; MemoryBound: 0
; FloatMode: 240
; IeeeMode: 1
; LDSByteSize: 0 bytes/workgroup (compile time only)
; SGPRBlocks: 0
; VGPRBlocks: 0
; NumSGPRsForWavesPerEU: 1
; NumVGPRsForWavesPerEU: 1
; Occupancy: 16
; WaveLimiterHint : 0
; COMPUTE_PGM_RSRC2:SCRATCH_EN: 0
; COMPUTE_PGM_RSRC2:USER_SGPR: 2
; COMPUTE_PGM_RSRC2:TRAP_HANDLER: 0
; COMPUTE_PGM_RSRC2:TGID_X_EN: 1
; COMPUTE_PGM_RSRC2:TGID_Y_EN: 0
; COMPUTE_PGM_RSRC2:TGID_Z_EN: 0
; COMPUTE_PGM_RSRC2:TIDIG_COMP_CNT: 0
	.section	.text._ZN7rocprim17ROCPRIM_400000_NS6detail17trampoline_kernelINS0_13select_configILj256ELj13ELNS0_17block_load_methodE3ELS4_3ELS4_3ELNS0_20block_scan_algorithmE0ELj4294967295EEENS1_25partition_config_selectorILNS1_17partition_subalgoE3EjNS0_10empty_typeEbEEZZNS1_14partition_implILS8_3ELb0ES6_jNS0_17counting_iteratorIjlEEPS9_SE_NS0_5tupleIJPjSE_EEENSF_IJSE_SE_EEES9_SG_JZNS1_25segmented_radix_sort_implINS0_14default_configELb1EPKlPlSM_SN_N2at6native12_GLOBAL__N_18offset_tEEE10hipError_tPvRmT1_PNSt15iterator_traitsISV_E10value_typeET2_T3_PNSW_IS11_E10value_typeET4_jRbjT5_S17_jjP12ihipStream_tbEUljE_EEESS_ST_SU_S11_S15_S17_T6_T7_T9_mT8_S19_bDpT10_ENKUlT_T0_E_clISt17integral_constantIbLb1EES1L_IbLb0EEEEDaS1H_S1I_EUlS1H_E_NS1_11comp_targetILNS1_3genE9ELNS1_11target_archE1100ELNS1_3gpuE3ELNS1_3repE0EEENS1_30default_config_static_selectorELNS0_4arch9wavefront6targetE0EEEvSV_,"axG",@progbits,_ZN7rocprim17ROCPRIM_400000_NS6detail17trampoline_kernelINS0_13select_configILj256ELj13ELNS0_17block_load_methodE3ELS4_3ELS4_3ELNS0_20block_scan_algorithmE0ELj4294967295EEENS1_25partition_config_selectorILNS1_17partition_subalgoE3EjNS0_10empty_typeEbEEZZNS1_14partition_implILS8_3ELb0ES6_jNS0_17counting_iteratorIjlEEPS9_SE_NS0_5tupleIJPjSE_EEENSF_IJSE_SE_EEES9_SG_JZNS1_25segmented_radix_sort_implINS0_14default_configELb1EPKlPlSM_SN_N2at6native12_GLOBAL__N_18offset_tEEE10hipError_tPvRmT1_PNSt15iterator_traitsISV_E10value_typeET2_T3_PNSW_IS11_E10value_typeET4_jRbjT5_S17_jjP12ihipStream_tbEUljE_EEESS_ST_SU_S11_S15_S17_T6_T7_T9_mT8_S19_bDpT10_ENKUlT_T0_E_clISt17integral_constantIbLb1EES1L_IbLb0EEEEDaS1H_S1I_EUlS1H_E_NS1_11comp_targetILNS1_3genE9ELNS1_11target_archE1100ELNS1_3gpuE3ELNS1_3repE0EEENS1_30default_config_static_selectorELNS0_4arch9wavefront6targetE0EEEvSV_,comdat
	.globl	_ZN7rocprim17ROCPRIM_400000_NS6detail17trampoline_kernelINS0_13select_configILj256ELj13ELNS0_17block_load_methodE3ELS4_3ELS4_3ELNS0_20block_scan_algorithmE0ELj4294967295EEENS1_25partition_config_selectorILNS1_17partition_subalgoE3EjNS0_10empty_typeEbEEZZNS1_14partition_implILS8_3ELb0ES6_jNS0_17counting_iteratorIjlEEPS9_SE_NS0_5tupleIJPjSE_EEENSF_IJSE_SE_EEES9_SG_JZNS1_25segmented_radix_sort_implINS0_14default_configELb1EPKlPlSM_SN_N2at6native12_GLOBAL__N_18offset_tEEE10hipError_tPvRmT1_PNSt15iterator_traitsISV_E10value_typeET2_T3_PNSW_IS11_E10value_typeET4_jRbjT5_S17_jjP12ihipStream_tbEUljE_EEESS_ST_SU_S11_S15_S17_T6_T7_T9_mT8_S19_bDpT10_ENKUlT_T0_E_clISt17integral_constantIbLb1EES1L_IbLb0EEEEDaS1H_S1I_EUlS1H_E_NS1_11comp_targetILNS1_3genE9ELNS1_11target_archE1100ELNS1_3gpuE3ELNS1_3repE0EEENS1_30default_config_static_selectorELNS0_4arch9wavefront6targetE0EEEvSV_ ; -- Begin function _ZN7rocprim17ROCPRIM_400000_NS6detail17trampoline_kernelINS0_13select_configILj256ELj13ELNS0_17block_load_methodE3ELS4_3ELS4_3ELNS0_20block_scan_algorithmE0ELj4294967295EEENS1_25partition_config_selectorILNS1_17partition_subalgoE3EjNS0_10empty_typeEbEEZZNS1_14partition_implILS8_3ELb0ES6_jNS0_17counting_iteratorIjlEEPS9_SE_NS0_5tupleIJPjSE_EEENSF_IJSE_SE_EEES9_SG_JZNS1_25segmented_radix_sort_implINS0_14default_configELb1EPKlPlSM_SN_N2at6native12_GLOBAL__N_18offset_tEEE10hipError_tPvRmT1_PNSt15iterator_traitsISV_E10value_typeET2_T3_PNSW_IS11_E10value_typeET4_jRbjT5_S17_jjP12ihipStream_tbEUljE_EEESS_ST_SU_S11_S15_S17_T6_T7_T9_mT8_S19_bDpT10_ENKUlT_T0_E_clISt17integral_constantIbLb1EES1L_IbLb0EEEEDaS1H_S1I_EUlS1H_E_NS1_11comp_targetILNS1_3genE9ELNS1_11target_archE1100ELNS1_3gpuE3ELNS1_3repE0EEENS1_30default_config_static_selectorELNS0_4arch9wavefront6targetE0EEEvSV_
	.p2align	8
	.type	_ZN7rocprim17ROCPRIM_400000_NS6detail17trampoline_kernelINS0_13select_configILj256ELj13ELNS0_17block_load_methodE3ELS4_3ELS4_3ELNS0_20block_scan_algorithmE0ELj4294967295EEENS1_25partition_config_selectorILNS1_17partition_subalgoE3EjNS0_10empty_typeEbEEZZNS1_14partition_implILS8_3ELb0ES6_jNS0_17counting_iteratorIjlEEPS9_SE_NS0_5tupleIJPjSE_EEENSF_IJSE_SE_EEES9_SG_JZNS1_25segmented_radix_sort_implINS0_14default_configELb1EPKlPlSM_SN_N2at6native12_GLOBAL__N_18offset_tEEE10hipError_tPvRmT1_PNSt15iterator_traitsISV_E10value_typeET2_T3_PNSW_IS11_E10value_typeET4_jRbjT5_S17_jjP12ihipStream_tbEUljE_EEESS_ST_SU_S11_S15_S17_T6_T7_T9_mT8_S19_bDpT10_ENKUlT_T0_E_clISt17integral_constantIbLb1EES1L_IbLb0EEEEDaS1H_S1I_EUlS1H_E_NS1_11comp_targetILNS1_3genE9ELNS1_11target_archE1100ELNS1_3gpuE3ELNS1_3repE0EEENS1_30default_config_static_selectorELNS0_4arch9wavefront6targetE0EEEvSV_,@function
_ZN7rocprim17ROCPRIM_400000_NS6detail17trampoline_kernelINS0_13select_configILj256ELj13ELNS0_17block_load_methodE3ELS4_3ELS4_3ELNS0_20block_scan_algorithmE0ELj4294967295EEENS1_25partition_config_selectorILNS1_17partition_subalgoE3EjNS0_10empty_typeEbEEZZNS1_14partition_implILS8_3ELb0ES6_jNS0_17counting_iteratorIjlEEPS9_SE_NS0_5tupleIJPjSE_EEENSF_IJSE_SE_EEES9_SG_JZNS1_25segmented_radix_sort_implINS0_14default_configELb1EPKlPlSM_SN_N2at6native12_GLOBAL__N_18offset_tEEE10hipError_tPvRmT1_PNSt15iterator_traitsISV_E10value_typeET2_T3_PNSW_IS11_E10value_typeET4_jRbjT5_S17_jjP12ihipStream_tbEUljE_EEESS_ST_SU_S11_S15_S17_T6_T7_T9_mT8_S19_bDpT10_ENKUlT_T0_E_clISt17integral_constantIbLb1EES1L_IbLb0EEEEDaS1H_S1I_EUlS1H_E_NS1_11comp_targetILNS1_3genE9ELNS1_11target_archE1100ELNS1_3gpuE3ELNS1_3repE0EEENS1_30default_config_static_selectorELNS0_4arch9wavefront6targetE0EEEvSV_: ; @_ZN7rocprim17ROCPRIM_400000_NS6detail17trampoline_kernelINS0_13select_configILj256ELj13ELNS0_17block_load_methodE3ELS4_3ELS4_3ELNS0_20block_scan_algorithmE0ELj4294967295EEENS1_25partition_config_selectorILNS1_17partition_subalgoE3EjNS0_10empty_typeEbEEZZNS1_14partition_implILS8_3ELb0ES6_jNS0_17counting_iteratorIjlEEPS9_SE_NS0_5tupleIJPjSE_EEENSF_IJSE_SE_EEES9_SG_JZNS1_25segmented_radix_sort_implINS0_14default_configELb1EPKlPlSM_SN_N2at6native12_GLOBAL__N_18offset_tEEE10hipError_tPvRmT1_PNSt15iterator_traitsISV_E10value_typeET2_T3_PNSW_IS11_E10value_typeET4_jRbjT5_S17_jjP12ihipStream_tbEUljE_EEESS_ST_SU_S11_S15_S17_T6_T7_T9_mT8_S19_bDpT10_ENKUlT_T0_E_clISt17integral_constantIbLb1EES1L_IbLb0EEEEDaS1H_S1I_EUlS1H_E_NS1_11comp_targetILNS1_3genE9ELNS1_11target_archE1100ELNS1_3gpuE3ELNS1_3repE0EEENS1_30default_config_static_selectorELNS0_4arch9wavefront6targetE0EEEvSV_
; %bb.0:
	.section	.rodata,"a",@progbits
	.p2align	6, 0x0
	.amdhsa_kernel _ZN7rocprim17ROCPRIM_400000_NS6detail17trampoline_kernelINS0_13select_configILj256ELj13ELNS0_17block_load_methodE3ELS4_3ELS4_3ELNS0_20block_scan_algorithmE0ELj4294967295EEENS1_25partition_config_selectorILNS1_17partition_subalgoE3EjNS0_10empty_typeEbEEZZNS1_14partition_implILS8_3ELb0ES6_jNS0_17counting_iteratorIjlEEPS9_SE_NS0_5tupleIJPjSE_EEENSF_IJSE_SE_EEES9_SG_JZNS1_25segmented_radix_sort_implINS0_14default_configELb1EPKlPlSM_SN_N2at6native12_GLOBAL__N_18offset_tEEE10hipError_tPvRmT1_PNSt15iterator_traitsISV_E10value_typeET2_T3_PNSW_IS11_E10value_typeET4_jRbjT5_S17_jjP12ihipStream_tbEUljE_EEESS_ST_SU_S11_S15_S17_T6_T7_T9_mT8_S19_bDpT10_ENKUlT_T0_E_clISt17integral_constantIbLb1EES1L_IbLb0EEEEDaS1H_S1I_EUlS1H_E_NS1_11comp_targetILNS1_3genE9ELNS1_11target_archE1100ELNS1_3gpuE3ELNS1_3repE0EEENS1_30default_config_static_selectorELNS0_4arch9wavefront6targetE0EEEvSV_
		.amdhsa_group_segment_fixed_size 0
		.amdhsa_private_segment_fixed_size 0
		.amdhsa_kernarg_size 144
		.amdhsa_user_sgpr_count 2
		.amdhsa_user_sgpr_dispatch_ptr 0
		.amdhsa_user_sgpr_queue_ptr 0
		.amdhsa_user_sgpr_kernarg_segment_ptr 1
		.amdhsa_user_sgpr_dispatch_id 0
		.amdhsa_user_sgpr_private_segment_size 0
		.amdhsa_wavefront_size32 1
		.amdhsa_uses_dynamic_stack 0
		.amdhsa_enable_private_segment 0
		.amdhsa_system_sgpr_workgroup_id_x 1
		.amdhsa_system_sgpr_workgroup_id_y 0
		.amdhsa_system_sgpr_workgroup_id_z 0
		.amdhsa_system_sgpr_workgroup_info 0
		.amdhsa_system_vgpr_workitem_id 0
		.amdhsa_next_free_vgpr 1
		.amdhsa_next_free_sgpr 1
		.amdhsa_reserve_vcc 0
		.amdhsa_float_round_mode_32 0
		.amdhsa_float_round_mode_16_64 0
		.amdhsa_float_denorm_mode_32 3
		.amdhsa_float_denorm_mode_16_64 3
		.amdhsa_fp16_overflow 0
		.amdhsa_workgroup_processor_mode 1
		.amdhsa_memory_ordered 1
		.amdhsa_forward_progress 1
		.amdhsa_inst_pref_size 0
		.amdhsa_round_robin_scheduling 0
		.amdhsa_exception_fp_ieee_invalid_op 0
		.amdhsa_exception_fp_denorm_src 0
		.amdhsa_exception_fp_ieee_div_zero 0
		.amdhsa_exception_fp_ieee_overflow 0
		.amdhsa_exception_fp_ieee_underflow 0
		.amdhsa_exception_fp_ieee_inexact 0
		.amdhsa_exception_int_div_zero 0
	.end_amdhsa_kernel
	.section	.text._ZN7rocprim17ROCPRIM_400000_NS6detail17trampoline_kernelINS0_13select_configILj256ELj13ELNS0_17block_load_methodE3ELS4_3ELS4_3ELNS0_20block_scan_algorithmE0ELj4294967295EEENS1_25partition_config_selectorILNS1_17partition_subalgoE3EjNS0_10empty_typeEbEEZZNS1_14partition_implILS8_3ELb0ES6_jNS0_17counting_iteratorIjlEEPS9_SE_NS0_5tupleIJPjSE_EEENSF_IJSE_SE_EEES9_SG_JZNS1_25segmented_radix_sort_implINS0_14default_configELb1EPKlPlSM_SN_N2at6native12_GLOBAL__N_18offset_tEEE10hipError_tPvRmT1_PNSt15iterator_traitsISV_E10value_typeET2_T3_PNSW_IS11_E10value_typeET4_jRbjT5_S17_jjP12ihipStream_tbEUljE_EEESS_ST_SU_S11_S15_S17_T6_T7_T9_mT8_S19_bDpT10_ENKUlT_T0_E_clISt17integral_constantIbLb1EES1L_IbLb0EEEEDaS1H_S1I_EUlS1H_E_NS1_11comp_targetILNS1_3genE9ELNS1_11target_archE1100ELNS1_3gpuE3ELNS1_3repE0EEENS1_30default_config_static_selectorELNS0_4arch9wavefront6targetE0EEEvSV_,"axG",@progbits,_ZN7rocprim17ROCPRIM_400000_NS6detail17trampoline_kernelINS0_13select_configILj256ELj13ELNS0_17block_load_methodE3ELS4_3ELS4_3ELNS0_20block_scan_algorithmE0ELj4294967295EEENS1_25partition_config_selectorILNS1_17partition_subalgoE3EjNS0_10empty_typeEbEEZZNS1_14partition_implILS8_3ELb0ES6_jNS0_17counting_iteratorIjlEEPS9_SE_NS0_5tupleIJPjSE_EEENSF_IJSE_SE_EEES9_SG_JZNS1_25segmented_radix_sort_implINS0_14default_configELb1EPKlPlSM_SN_N2at6native12_GLOBAL__N_18offset_tEEE10hipError_tPvRmT1_PNSt15iterator_traitsISV_E10value_typeET2_T3_PNSW_IS11_E10value_typeET4_jRbjT5_S17_jjP12ihipStream_tbEUljE_EEESS_ST_SU_S11_S15_S17_T6_T7_T9_mT8_S19_bDpT10_ENKUlT_T0_E_clISt17integral_constantIbLb1EES1L_IbLb0EEEEDaS1H_S1I_EUlS1H_E_NS1_11comp_targetILNS1_3genE9ELNS1_11target_archE1100ELNS1_3gpuE3ELNS1_3repE0EEENS1_30default_config_static_selectorELNS0_4arch9wavefront6targetE0EEEvSV_,comdat
.Lfunc_end694:
	.size	_ZN7rocprim17ROCPRIM_400000_NS6detail17trampoline_kernelINS0_13select_configILj256ELj13ELNS0_17block_load_methodE3ELS4_3ELS4_3ELNS0_20block_scan_algorithmE0ELj4294967295EEENS1_25partition_config_selectorILNS1_17partition_subalgoE3EjNS0_10empty_typeEbEEZZNS1_14partition_implILS8_3ELb0ES6_jNS0_17counting_iteratorIjlEEPS9_SE_NS0_5tupleIJPjSE_EEENSF_IJSE_SE_EEES9_SG_JZNS1_25segmented_radix_sort_implINS0_14default_configELb1EPKlPlSM_SN_N2at6native12_GLOBAL__N_18offset_tEEE10hipError_tPvRmT1_PNSt15iterator_traitsISV_E10value_typeET2_T3_PNSW_IS11_E10value_typeET4_jRbjT5_S17_jjP12ihipStream_tbEUljE_EEESS_ST_SU_S11_S15_S17_T6_T7_T9_mT8_S19_bDpT10_ENKUlT_T0_E_clISt17integral_constantIbLb1EES1L_IbLb0EEEEDaS1H_S1I_EUlS1H_E_NS1_11comp_targetILNS1_3genE9ELNS1_11target_archE1100ELNS1_3gpuE3ELNS1_3repE0EEENS1_30default_config_static_selectorELNS0_4arch9wavefront6targetE0EEEvSV_, .Lfunc_end694-_ZN7rocprim17ROCPRIM_400000_NS6detail17trampoline_kernelINS0_13select_configILj256ELj13ELNS0_17block_load_methodE3ELS4_3ELS4_3ELNS0_20block_scan_algorithmE0ELj4294967295EEENS1_25partition_config_selectorILNS1_17partition_subalgoE3EjNS0_10empty_typeEbEEZZNS1_14partition_implILS8_3ELb0ES6_jNS0_17counting_iteratorIjlEEPS9_SE_NS0_5tupleIJPjSE_EEENSF_IJSE_SE_EEES9_SG_JZNS1_25segmented_radix_sort_implINS0_14default_configELb1EPKlPlSM_SN_N2at6native12_GLOBAL__N_18offset_tEEE10hipError_tPvRmT1_PNSt15iterator_traitsISV_E10value_typeET2_T3_PNSW_IS11_E10value_typeET4_jRbjT5_S17_jjP12ihipStream_tbEUljE_EEESS_ST_SU_S11_S15_S17_T6_T7_T9_mT8_S19_bDpT10_ENKUlT_T0_E_clISt17integral_constantIbLb1EES1L_IbLb0EEEEDaS1H_S1I_EUlS1H_E_NS1_11comp_targetILNS1_3genE9ELNS1_11target_archE1100ELNS1_3gpuE3ELNS1_3repE0EEENS1_30default_config_static_selectorELNS0_4arch9wavefront6targetE0EEEvSV_
                                        ; -- End function
	.set _ZN7rocprim17ROCPRIM_400000_NS6detail17trampoline_kernelINS0_13select_configILj256ELj13ELNS0_17block_load_methodE3ELS4_3ELS4_3ELNS0_20block_scan_algorithmE0ELj4294967295EEENS1_25partition_config_selectorILNS1_17partition_subalgoE3EjNS0_10empty_typeEbEEZZNS1_14partition_implILS8_3ELb0ES6_jNS0_17counting_iteratorIjlEEPS9_SE_NS0_5tupleIJPjSE_EEENSF_IJSE_SE_EEES9_SG_JZNS1_25segmented_radix_sort_implINS0_14default_configELb1EPKlPlSM_SN_N2at6native12_GLOBAL__N_18offset_tEEE10hipError_tPvRmT1_PNSt15iterator_traitsISV_E10value_typeET2_T3_PNSW_IS11_E10value_typeET4_jRbjT5_S17_jjP12ihipStream_tbEUljE_EEESS_ST_SU_S11_S15_S17_T6_T7_T9_mT8_S19_bDpT10_ENKUlT_T0_E_clISt17integral_constantIbLb1EES1L_IbLb0EEEEDaS1H_S1I_EUlS1H_E_NS1_11comp_targetILNS1_3genE9ELNS1_11target_archE1100ELNS1_3gpuE3ELNS1_3repE0EEENS1_30default_config_static_selectorELNS0_4arch9wavefront6targetE0EEEvSV_.num_vgpr, 0
	.set _ZN7rocprim17ROCPRIM_400000_NS6detail17trampoline_kernelINS0_13select_configILj256ELj13ELNS0_17block_load_methodE3ELS4_3ELS4_3ELNS0_20block_scan_algorithmE0ELj4294967295EEENS1_25partition_config_selectorILNS1_17partition_subalgoE3EjNS0_10empty_typeEbEEZZNS1_14partition_implILS8_3ELb0ES6_jNS0_17counting_iteratorIjlEEPS9_SE_NS0_5tupleIJPjSE_EEENSF_IJSE_SE_EEES9_SG_JZNS1_25segmented_radix_sort_implINS0_14default_configELb1EPKlPlSM_SN_N2at6native12_GLOBAL__N_18offset_tEEE10hipError_tPvRmT1_PNSt15iterator_traitsISV_E10value_typeET2_T3_PNSW_IS11_E10value_typeET4_jRbjT5_S17_jjP12ihipStream_tbEUljE_EEESS_ST_SU_S11_S15_S17_T6_T7_T9_mT8_S19_bDpT10_ENKUlT_T0_E_clISt17integral_constantIbLb1EES1L_IbLb0EEEEDaS1H_S1I_EUlS1H_E_NS1_11comp_targetILNS1_3genE9ELNS1_11target_archE1100ELNS1_3gpuE3ELNS1_3repE0EEENS1_30default_config_static_selectorELNS0_4arch9wavefront6targetE0EEEvSV_.num_agpr, 0
	.set _ZN7rocprim17ROCPRIM_400000_NS6detail17trampoline_kernelINS0_13select_configILj256ELj13ELNS0_17block_load_methodE3ELS4_3ELS4_3ELNS0_20block_scan_algorithmE0ELj4294967295EEENS1_25partition_config_selectorILNS1_17partition_subalgoE3EjNS0_10empty_typeEbEEZZNS1_14partition_implILS8_3ELb0ES6_jNS0_17counting_iteratorIjlEEPS9_SE_NS0_5tupleIJPjSE_EEENSF_IJSE_SE_EEES9_SG_JZNS1_25segmented_radix_sort_implINS0_14default_configELb1EPKlPlSM_SN_N2at6native12_GLOBAL__N_18offset_tEEE10hipError_tPvRmT1_PNSt15iterator_traitsISV_E10value_typeET2_T3_PNSW_IS11_E10value_typeET4_jRbjT5_S17_jjP12ihipStream_tbEUljE_EEESS_ST_SU_S11_S15_S17_T6_T7_T9_mT8_S19_bDpT10_ENKUlT_T0_E_clISt17integral_constantIbLb1EES1L_IbLb0EEEEDaS1H_S1I_EUlS1H_E_NS1_11comp_targetILNS1_3genE9ELNS1_11target_archE1100ELNS1_3gpuE3ELNS1_3repE0EEENS1_30default_config_static_selectorELNS0_4arch9wavefront6targetE0EEEvSV_.numbered_sgpr, 0
	.set _ZN7rocprim17ROCPRIM_400000_NS6detail17trampoline_kernelINS0_13select_configILj256ELj13ELNS0_17block_load_methodE3ELS4_3ELS4_3ELNS0_20block_scan_algorithmE0ELj4294967295EEENS1_25partition_config_selectorILNS1_17partition_subalgoE3EjNS0_10empty_typeEbEEZZNS1_14partition_implILS8_3ELb0ES6_jNS0_17counting_iteratorIjlEEPS9_SE_NS0_5tupleIJPjSE_EEENSF_IJSE_SE_EEES9_SG_JZNS1_25segmented_radix_sort_implINS0_14default_configELb1EPKlPlSM_SN_N2at6native12_GLOBAL__N_18offset_tEEE10hipError_tPvRmT1_PNSt15iterator_traitsISV_E10value_typeET2_T3_PNSW_IS11_E10value_typeET4_jRbjT5_S17_jjP12ihipStream_tbEUljE_EEESS_ST_SU_S11_S15_S17_T6_T7_T9_mT8_S19_bDpT10_ENKUlT_T0_E_clISt17integral_constantIbLb1EES1L_IbLb0EEEEDaS1H_S1I_EUlS1H_E_NS1_11comp_targetILNS1_3genE9ELNS1_11target_archE1100ELNS1_3gpuE3ELNS1_3repE0EEENS1_30default_config_static_selectorELNS0_4arch9wavefront6targetE0EEEvSV_.num_named_barrier, 0
	.set _ZN7rocprim17ROCPRIM_400000_NS6detail17trampoline_kernelINS0_13select_configILj256ELj13ELNS0_17block_load_methodE3ELS4_3ELS4_3ELNS0_20block_scan_algorithmE0ELj4294967295EEENS1_25partition_config_selectorILNS1_17partition_subalgoE3EjNS0_10empty_typeEbEEZZNS1_14partition_implILS8_3ELb0ES6_jNS0_17counting_iteratorIjlEEPS9_SE_NS0_5tupleIJPjSE_EEENSF_IJSE_SE_EEES9_SG_JZNS1_25segmented_radix_sort_implINS0_14default_configELb1EPKlPlSM_SN_N2at6native12_GLOBAL__N_18offset_tEEE10hipError_tPvRmT1_PNSt15iterator_traitsISV_E10value_typeET2_T3_PNSW_IS11_E10value_typeET4_jRbjT5_S17_jjP12ihipStream_tbEUljE_EEESS_ST_SU_S11_S15_S17_T6_T7_T9_mT8_S19_bDpT10_ENKUlT_T0_E_clISt17integral_constantIbLb1EES1L_IbLb0EEEEDaS1H_S1I_EUlS1H_E_NS1_11comp_targetILNS1_3genE9ELNS1_11target_archE1100ELNS1_3gpuE3ELNS1_3repE0EEENS1_30default_config_static_selectorELNS0_4arch9wavefront6targetE0EEEvSV_.private_seg_size, 0
	.set _ZN7rocprim17ROCPRIM_400000_NS6detail17trampoline_kernelINS0_13select_configILj256ELj13ELNS0_17block_load_methodE3ELS4_3ELS4_3ELNS0_20block_scan_algorithmE0ELj4294967295EEENS1_25partition_config_selectorILNS1_17partition_subalgoE3EjNS0_10empty_typeEbEEZZNS1_14partition_implILS8_3ELb0ES6_jNS0_17counting_iteratorIjlEEPS9_SE_NS0_5tupleIJPjSE_EEENSF_IJSE_SE_EEES9_SG_JZNS1_25segmented_radix_sort_implINS0_14default_configELb1EPKlPlSM_SN_N2at6native12_GLOBAL__N_18offset_tEEE10hipError_tPvRmT1_PNSt15iterator_traitsISV_E10value_typeET2_T3_PNSW_IS11_E10value_typeET4_jRbjT5_S17_jjP12ihipStream_tbEUljE_EEESS_ST_SU_S11_S15_S17_T6_T7_T9_mT8_S19_bDpT10_ENKUlT_T0_E_clISt17integral_constantIbLb1EES1L_IbLb0EEEEDaS1H_S1I_EUlS1H_E_NS1_11comp_targetILNS1_3genE9ELNS1_11target_archE1100ELNS1_3gpuE3ELNS1_3repE0EEENS1_30default_config_static_selectorELNS0_4arch9wavefront6targetE0EEEvSV_.uses_vcc, 0
	.set _ZN7rocprim17ROCPRIM_400000_NS6detail17trampoline_kernelINS0_13select_configILj256ELj13ELNS0_17block_load_methodE3ELS4_3ELS4_3ELNS0_20block_scan_algorithmE0ELj4294967295EEENS1_25partition_config_selectorILNS1_17partition_subalgoE3EjNS0_10empty_typeEbEEZZNS1_14partition_implILS8_3ELb0ES6_jNS0_17counting_iteratorIjlEEPS9_SE_NS0_5tupleIJPjSE_EEENSF_IJSE_SE_EEES9_SG_JZNS1_25segmented_radix_sort_implINS0_14default_configELb1EPKlPlSM_SN_N2at6native12_GLOBAL__N_18offset_tEEE10hipError_tPvRmT1_PNSt15iterator_traitsISV_E10value_typeET2_T3_PNSW_IS11_E10value_typeET4_jRbjT5_S17_jjP12ihipStream_tbEUljE_EEESS_ST_SU_S11_S15_S17_T6_T7_T9_mT8_S19_bDpT10_ENKUlT_T0_E_clISt17integral_constantIbLb1EES1L_IbLb0EEEEDaS1H_S1I_EUlS1H_E_NS1_11comp_targetILNS1_3genE9ELNS1_11target_archE1100ELNS1_3gpuE3ELNS1_3repE0EEENS1_30default_config_static_selectorELNS0_4arch9wavefront6targetE0EEEvSV_.uses_flat_scratch, 0
	.set _ZN7rocprim17ROCPRIM_400000_NS6detail17trampoline_kernelINS0_13select_configILj256ELj13ELNS0_17block_load_methodE3ELS4_3ELS4_3ELNS0_20block_scan_algorithmE0ELj4294967295EEENS1_25partition_config_selectorILNS1_17partition_subalgoE3EjNS0_10empty_typeEbEEZZNS1_14partition_implILS8_3ELb0ES6_jNS0_17counting_iteratorIjlEEPS9_SE_NS0_5tupleIJPjSE_EEENSF_IJSE_SE_EEES9_SG_JZNS1_25segmented_radix_sort_implINS0_14default_configELb1EPKlPlSM_SN_N2at6native12_GLOBAL__N_18offset_tEEE10hipError_tPvRmT1_PNSt15iterator_traitsISV_E10value_typeET2_T3_PNSW_IS11_E10value_typeET4_jRbjT5_S17_jjP12ihipStream_tbEUljE_EEESS_ST_SU_S11_S15_S17_T6_T7_T9_mT8_S19_bDpT10_ENKUlT_T0_E_clISt17integral_constantIbLb1EES1L_IbLb0EEEEDaS1H_S1I_EUlS1H_E_NS1_11comp_targetILNS1_3genE9ELNS1_11target_archE1100ELNS1_3gpuE3ELNS1_3repE0EEENS1_30default_config_static_selectorELNS0_4arch9wavefront6targetE0EEEvSV_.has_dyn_sized_stack, 0
	.set _ZN7rocprim17ROCPRIM_400000_NS6detail17trampoline_kernelINS0_13select_configILj256ELj13ELNS0_17block_load_methodE3ELS4_3ELS4_3ELNS0_20block_scan_algorithmE0ELj4294967295EEENS1_25partition_config_selectorILNS1_17partition_subalgoE3EjNS0_10empty_typeEbEEZZNS1_14partition_implILS8_3ELb0ES6_jNS0_17counting_iteratorIjlEEPS9_SE_NS0_5tupleIJPjSE_EEENSF_IJSE_SE_EEES9_SG_JZNS1_25segmented_radix_sort_implINS0_14default_configELb1EPKlPlSM_SN_N2at6native12_GLOBAL__N_18offset_tEEE10hipError_tPvRmT1_PNSt15iterator_traitsISV_E10value_typeET2_T3_PNSW_IS11_E10value_typeET4_jRbjT5_S17_jjP12ihipStream_tbEUljE_EEESS_ST_SU_S11_S15_S17_T6_T7_T9_mT8_S19_bDpT10_ENKUlT_T0_E_clISt17integral_constantIbLb1EES1L_IbLb0EEEEDaS1H_S1I_EUlS1H_E_NS1_11comp_targetILNS1_3genE9ELNS1_11target_archE1100ELNS1_3gpuE3ELNS1_3repE0EEENS1_30default_config_static_selectorELNS0_4arch9wavefront6targetE0EEEvSV_.has_recursion, 0
	.set _ZN7rocprim17ROCPRIM_400000_NS6detail17trampoline_kernelINS0_13select_configILj256ELj13ELNS0_17block_load_methodE3ELS4_3ELS4_3ELNS0_20block_scan_algorithmE0ELj4294967295EEENS1_25partition_config_selectorILNS1_17partition_subalgoE3EjNS0_10empty_typeEbEEZZNS1_14partition_implILS8_3ELb0ES6_jNS0_17counting_iteratorIjlEEPS9_SE_NS0_5tupleIJPjSE_EEENSF_IJSE_SE_EEES9_SG_JZNS1_25segmented_radix_sort_implINS0_14default_configELb1EPKlPlSM_SN_N2at6native12_GLOBAL__N_18offset_tEEE10hipError_tPvRmT1_PNSt15iterator_traitsISV_E10value_typeET2_T3_PNSW_IS11_E10value_typeET4_jRbjT5_S17_jjP12ihipStream_tbEUljE_EEESS_ST_SU_S11_S15_S17_T6_T7_T9_mT8_S19_bDpT10_ENKUlT_T0_E_clISt17integral_constantIbLb1EES1L_IbLb0EEEEDaS1H_S1I_EUlS1H_E_NS1_11comp_targetILNS1_3genE9ELNS1_11target_archE1100ELNS1_3gpuE3ELNS1_3repE0EEENS1_30default_config_static_selectorELNS0_4arch9wavefront6targetE0EEEvSV_.has_indirect_call, 0
	.section	.AMDGPU.csdata,"",@progbits
; Kernel info:
; codeLenInByte = 0
; TotalNumSgprs: 0
; NumVgprs: 0
; ScratchSize: 0
; MemoryBound: 0
; FloatMode: 240
; IeeeMode: 1
; LDSByteSize: 0 bytes/workgroup (compile time only)
; SGPRBlocks: 0
; VGPRBlocks: 0
; NumSGPRsForWavesPerEU: 1
; NumVGPRsForWavesPerEU: 1
; Occupancy: 16
; WaveLimiterHint : 0
; COMPUTE_PGM_RSRC2:SCRATCH_EN: 0
; COMPUTE_PGM_RSRC2:USER_SGPR: 2
; COMPUTE_PGM_RSRC2:TRAP_HANDLER: 0
; COMPUTE_PGM_RSRC2:TGID_X_EN: 1
; COMPUTE_PGM_RSRC2:TGID_Y_EN: 0
; COMPUTE_PGM_RSRC2:TGID_Z_EN: 0
; COMPUTE_PGM_RSRC2:TIDIG_COMP_CNT: 0
	.section	.text._ZN7rocprim17ROCPRIM_400000_NS6detail17trampoline_kernelINS0_13select_configILj256ELj13ELNS0_17block_load_methodE3ELS4_3ELS4_3ELNS0_20block_scan_algorithmE0ELj4294967295EEENS1_25partition_config_selectorILNS1_17partition_subalgoE3EjNS0_10empty_typeEbEEZZNS1_14partition_implILS8_3ELb0ES6_jNS0_17counting_iteratorIjlEEPS9_SE_NS0_5tupleIJPjSE_EEENSF_IJSE_SE_EEES9_SG_JZNS1_25segmented_radix_sort_implINS0_14default_configELb1EPKlPlSM_SN_N2at6native12_GLOBAL__N_18offset_tEEE10hipError_tPvRmT1_PNSt15iterator_traitsISV_E10value_typeET2_T3_PNSW_IS11_E10value_typeET4_jRbjT5_S17_jjP12ihipStream_tbEUljE_EEESS_ST_SU_S11_S15_S17_T6_T7_T9_mT8_S19_bDpT10_ENKUlT_T0_E_clISt17integral_constantIbLb1EES1L_IbLb0EEEEDaS1H_S1I_EUlS1H_E_NS1_11comp_targetILNS1_3genE8ELNS1_11target_archE1030ELNS1_3gpuE2ELNS1_3repE0EEENS1_30default_config_static_selectorELNS0_4arch9wavefront6targetE0EEEvSV_,"axG",@progbits,_ZN7rocprim17ROCPRIM_400000_NS6detail17trampoline_kernelINS0_13select_configILj256ELj13ELNS0_17block_load_methodE3ELS4_3ELS4_3ELNS0_20block_scan_algorithmE0ELj4294967295EEENS1_25partition_config_selectorILNS1_17partition_subalgoE3EjNS0_10empty_typeEbEEZZNS1_14partition_implILS8_3ELb0ES6_jNS0_17counting_iteratorIjlEEPS9_SE_NS0_5tupleIJPjSE_EEENSF_IJSE_SE_EEES9_SG_JZNS1_25segmented_radix_sort_implINS0_14default_configELb1EPKlPlSM_SN_N2at6native12_GLOBAL__N_18offset_tEEE10hipError_tPvRmT1_PNSt15iterator_traitsISV_E10value_typeET2_T3_PNSW_IS11_E10value_typeET4_jRbjT5_S17_jjP12ihipStream_tbEUljE_EEESS_ST_SU_S11_S15_S17_T6_T7_T9_mT8_S19_bDpT10_ENKUlT_T0_E_clISt17integral_constantIbLb1EES1L_IbLb0EEEEDaS1H_S1I_EUlS1H_E_NS1_11comp_targetILNS1_3genE8ELNS1_11target_archE1030ELNS1_3gpuE2ELNS1_3repE0EEENS1_30default_config_static_selectorELNS0_4arch9wavefront6targetE0EEEvSV_,comdat
	.globl	_ZN7rocprim17ROCPRIM_400000_NS6detail17trampoline_kernelINS0_13select_configILj256ELj13ELNS0_17block_load_methodE3ELS4_3ELS4_3ELNS0_20block_scan_algorithmE0ELj4294967295EEENS1_25partition_config_selectorILNS1_17partition_subalgoE3EjNS0_10empty_typeEbEEZZNS1_14partition_implILS8_3ELb0ES6_jNS0_17counting_iteratorIjlEEPS9_SE_NS0_5tupleIJPjSE_EEENSF_IJSE_SE_EEES9_SG_JZNS1_25segmented_radix_sort_implINS0_14default_configELb1EPKlPlSM_SN_N2at6native12_GLOBAL__N_18offset_tEEE10hipError_tPvRmT1_PNSt15iterator_traitsISV_E10value_typeET2_T3_PNSW_IS11_E10value_typeET4_jRbjT5_S17_jjP12ihipStream_tbEUljE_EEESS_ST_SU_S11_S15_S17_T6_T7_T9_mT8_S19_bDpT10_ENKUlT_T0_E_clISt17integral_constantIbLb1EES1L_IbLb0EEEEDaS1H_S1I_EUlS1H_E_NS1_11comp_targetILNS1_3genE8ELNS1_11target_archE1030ELNS1_3gpuE2ELNS1_3repE0EEENS1_30default_config_static_selectorELNS0_4arch9wavefront6targetE0EEEvSV_ ; -- Begin function _ZN7rocprim17ROCPRIM_400000_NS6detail17trampoline_kernelINS0_13select_configILj256ELj13ELNS0_17block_load_methodE3ELS4_3ELS4_3ELNS0_20block_scan_algorithmE0ELj4294967295EEENS1_25partition_config_selectorILNS1_17partition_subalgoE3EjNS0_10empty_typeEbEEZZNS1_14partition_implILS8_3ELb0ES6_jNS0_17counting_iteratorIjlEEPS9_SE_NS0_5tupleIJPjSE_EEENSF_IJSE_SE_EEES9_SG_JZNS1_25segmented_radix_sort_implINS0_14default_configELb1EPKlPlSM_SN_N2at6native12_GLOBAL__N_18offset_tEEE10hipError_tPvRmT1_PNSt15iterator_traitsISV_E10value_typeET2_T3_PNSW_IS11_E10value_typeET4_jRbjT5_S17_jjP12ihipStream_tbEUljE_EEESS_ST_SU_S11_S15_S17_T6_T7_T9_mT8_S19_bDpT10_ENKUlT_T0_E_clISt17integral_constantIbLb1EES1L_IbLb0EEEEDaS1H_S1I_EUlS1H_E_NS1_11comp_targetILNS1_3genE8ELNS1_11target_archE1030ELNS1_3gpuE2ELNS1_3repE0EEENS1_30default_config_static_selectorELNS0_4arch9wavefront6targetE0EEEvSV_
	.p2align	8
	.type	_ZN7rocprim17ROCPRIM_400000_NS6detail17trampoline_kernelINS0_13select_configILj256ELj13ELNS0_17block_load_methodE3ELS4_3ELS4_3ELNS0_20block_scan_algorithmE0ELj4294967295EEENS1_25partition_config_selectorILNS1_17partition_subalgoE3EjNS0_10empty_typeEbEEZZNS1_14partition_implILS8_3ELb0ES6_jNS0_17counting_iteratorIjlEEPS9_SE_NS0_5tupleIJPjSE_EEENSF_IJSE_SE_EEES9_SG_JZNS1_25segmented_radix_sort_implINS0_14default_configELb1EPKlPlSM_SN_N2at6native12_GLOBAL__N_18offset_tEEE10hipError_tPvRmT1_PNSt15iterator_traitsISV_E10value_typeET2_T3_PNSW_IS11_E10value_typeET4_jRbjT5_S17_jjP12ihipStream_tbEUljE_EEESS_ST_SU_S11_S15_S17_T6_T7_T9_mT8_S19_bDpT10_ENKUlT_T0_E_clISt17integral_constantIbLb1EES1L_IbLb0EEEEDaS1H_S1I_EUlS1H_E_NS1_11comp_targetILNS1_3genE8ELNS1_11target_archE1030ELNS1_3gpuE2ELNS1_3repE0EEENS1_30default_config_static_selectorELNS0_4arch9wavefront6targetE0EEEvSV_,@function
_ZN7rocprim17ROCPRIM_400000_NS6detail17trampoline_kernelINS0_13select_configILj256ELj13ELNS0_17block_load_methodE3ELS4_3ELS4_3ELNS0_20block_scan_algorithmE0ELj4294967295EEENS1_25partition_config_selectorILNS1_17partition_subalgoE3EjNS0_10empty_typeEbEEZZNS1_14partition_implILS8_3ELb0ES6_jNS0_17counting_iteratorIjlEEPS9_SE_NS0_5tupleIJPjSE_EEENSF_IJSE_SE_EEES9_SG_JZNS1_25segmented_radix_sort_implINS0_14default_configELb1EPKlPlSM_SN_N2at6native12_GLOBAL__N_18offset_tEEE10hipError_tPvRmT1_PNSt15iterator_traitsISV_E10value_typeET2_T3_PNSW_IS11_E10value_typeET4_jRbjT5_S17_jjP12ihipStream_tbEUljE_EEESS_ST_SU_S11_S15_S17_T6_T7_T9_mT8_S19_bDpT10_ENKUlT_T0_E_clISt17integral_constantIbLb1EES1L_IbLb0EEEEDaS1H_S1I_EUlS1H_E_NS1_11comp_targetILNS1_3genE8ELNS1_11target_archE1030ELNS1_3gpuE2ELNS1_3repE0EEENS1_30default_config_static_selectorELNS0_4arch9wavefront6targetE0EEEvSV_: ; @_ZN7rocprim17ROCPRIM_400000_NS6detail17trampoline_kernelINS0_13select_configILj256ELj13ELNS0_17block_load_methodE3ELS4_3ELS4_3ELNS0_20block_scan_algorithmE0ELj4294967295EEENS1_25partition_config_selectorILNS1_17partition_subalgoE3EjNS0_10empty_typeEbEEZZNS1_14partition_implILS8_3ELb0ES6_jNS0_17counting_iteratorIjlEEPS9_SE_NS0_5tupleIJPjSE_EEENSF_IJSE_SE_EEES9_SG_JZNS1_25segmented_radix_sort_implINS0_14default_configELb1EPKlPlSM_SN_N2at6native12_GLOBAL__N_18offset_tEEE10hipError_tPvRmT1_PNSt15iterator_traitsISV_E10value_typeET2_T3_PNSW_IS11_E10value_typeET4_jRbjT5_S17_jjP12ihipStream_tbEUljE_EEESS_ST_SU_S11_S15_S17_T6_T7_T9_mT8_S19_bDpT10_ENKUlT_T0_E_clISt17integral_constantIbLb1EES1L_IbLb0EEEEDaS1H_S1I_EUlS1H_E_NS1_11comp_targetILNS1_3genE8ELNS1_11target_archE1030ELNS1_3gpuE2ELNS1_3repE0EEENS1_30default_config_static_selectorELNS0_4arch9wavefront6targetE0EEEvSV_
; %bb.0:
	.section	.rodata,"a",@progbits
	.p2align	6, 0x0
	.amdhsa_kernel _ZN7rocprim17ROCPRIM_400000_NS6detail17trampoline_kernelINS0_13select_configILj256ELj13ELNS0_17block_load_methodE3ELS4_3ELS4_3ELNS0_20block_scan_algorithmE0ELj4294967295EEENS1_25partition_config_selectorILNS1_17partition_subalgoE3EjNS0_10empty_typeEbEEZZNS1_14partition_implILS8_3ELb0ES6_jNS0_17counting_iteratorIjlEEPS9_SE_NS0_5tupleIJPjSE_EEENSF_IJSE_SE_EEES9_SG_JZNS1_25segmented_radix_sort_implINS0_14default_configELb1EPKlPlSM_SN_N2at6native12_GLOBAL__N_18offset_tEEE10hipError_tPvRmT1_PNSt15iterator_traitsISV_E10value_typeET2_T3_PNSW_IS11_E10value_typeET4_jRbjT5_S17_jjP12ihipStream_tbEUljE_EEESS_ST_SU_S11_S15_S17_T6_T7_T9_mT8_S19_bDpT10_ENKUlT_T0_E_clISt17integral_constantIbLb1EES1L_IbLb0EEEEDaS1H_S1I_EUlS1H_E_NS1_11comp_targetILNS1_3genE8ELNS1_11target_archE1030ELNS1_3gpuE2ELNS1_3repE0EEENS1_30default_config_static_selectorELNS0_4arch9wavefront6targetE0EEEvSV_
		.amdhsa_group_segment_fixed_size 0
		.amdhsa_private_segment_fixed_size 0
		.amdhsa_kernarg_size 144
		.amdhsa_user_sgpr_count 2
		.amdhsa_user_sgpr_dispatch_ptr 0
		.amdhsa_user_sgpr_queue_ptr 0
		.amdhsa_user_sgpr_kernarg_segment_ptr 1
		.amdhsa_user_sgpr_dispatch_id 0
		.amdhsa_user_sgpr_private_segment_size 0
		.amdhsa_wavefront_size32 1
		.amdhsa_uses_dynamic_stack 0
		.amdhsa_enable_private_segment 0
		.amdhsa_system_sgpr_workgroup_id_x 1
		.amdhsa_system_sgpr_workgroup_id_y 0
		.amdhsa_system_sgpr_workgroup_id_z 0
		.amdhsa_system_sgpr_workgroup_info 0
		.amdhsa_system_vgpr_workitem_id 0
		.amdhsa_next_free_vgpr 1
		.amdhsa_next_free_sgpr 1
		.amdhsa_reserve_vcc 0
		.amdhsa_float_round_mode_32 0
		.amdhsa_float_round_mode_16_64 0
		.amdhsa_float_denorm_mode_32 3
		.amdhsa_float_denorm_mode_16_64 3
		.amdhsa_fp16_overflow 0
		.amdhsa_workgroup_processor_mode 1
		.amdhsa_memory_ordered 1
		.amdhsa_forward_progress 1
		.amdhsa_inst_pref_size 0
		.amdhsa_round_robin_scheduling 0
		.amdhsa_exception_fp_ieee_invalid_op 0
		.amdhsa_exception_fp_denorm_src 0
		.amdhsa_exception_fp_ieee_div_zero 0
		.amdhsa_exception_fp_ieee_overflow 0
		.amdhsa_exception_fp_ieee_underflow 0
		.amdhsa_exception_fp_ieee_inexact 0
		.amdhsa_exception_int_div_zero 0
	.end_amdhsa_kernel
	.section	.text._ZN7rocprim17ROCPRIM_400000_NS6detail17trampoline_kernelINS0_13select_configILj256ELj13ELNS0_17block_load_methodE3ELS4_3ELS4_3ELNS0_20block_scan_algorithmE0ELj4294967295EEENS1_25partition_config_selectorILNS1_17partition_subalgoE3EjNS0_10empty_typeEbEEZZNS1_14partition_implILS8_3ELb0ES6_jNS0_17counting_iteratorIjlEEPS9_SE_NS0_5tupleIJPjSE_EEENSF_IJSE_SE_EEES9_SG_JZNS1_25segmented_radix_sort_implINS0_14default_configELb1EPKlPlSM_SN_N2at6native12_GLOBAL__N_18offset_tEEE10hipError_tPvRmT1_PNSt15iterator_traitsISV_E10value_typeET2_T3_PNSW_IS11_E10value_typeET4_jRbjT5_S17_jjP12ihipStream_tbEUljE_EEESS_ST_SU_S11_S15_S17_T6_T7_T9_mT8_S19_bDpT10_ENKUlT_T0_E_clISt17integral_constantIbLb1EES1L_IbLb0EEEEDaS1H_S1I_EUlS1H_E_NS1_11comp_targetILNS1_3genE8ELNS1_11target_archE1030ELNS1_3gpuE2ELNS1_3repE0EEENS1_30default_config_static_selectorELNS0_4arch9wavefront6targetE0EEEvSV_,"axG",@progbits,_ZN7rocprim17ROCPRIM_400000_NS6detail17trampoline_kernelINS0_13select_configILj256ELj13ELNS0_17block_load_methodE3ELS4_3ELS4_3ELNS0_20block_scan_algorithmE0ELj4294967295EEENS1_25partition_config_selectorILNS1_17partition_subalgoE3EjNS0_10empty_typeEbEEZZNS1_14partition_implILS8_3ELb0ES6_jNS0_17counting_iteratorIjlEEPS9_SE_NS0_5tupleIJPjSE_EEENSF_IJSE_SE_EEES9_SG_JZNS1_25segmented_radix_sort_implINS0_14default_configELb1EPKlPlSM_SN_N2at6native12_GLOBAL__N_18offset_tEEE10hipError_tPvRmT1_PNSt15iterator_traitsISV_E10value_typeET2_T3_PNSW_IS11_E10value_typeET4_jRbjT5_S17_jjP12ihipStream_tbEUljE_EEESS_ST_SU_S11_S15_S17_T6_T7_T9_mT8_S19_bDpT10_ENKUlT_T0_E_clISt17integral_constantIbLb1EES1L_IbLb0EEEEDaS1H_S1I_EUlS1H_E_NS1_11comp_targetILNS1_3genE8ELNS1_11target_archE1030ELNS1_3gpuE2ELNS1_3repE0EEENS1_30default_config_static_selectorELNS0_4arch9wavefront6targetE0EEEvSV_,comdat
.Lfunc_end695:
	.size	_ZN7rocprim17ROCPRIM_400000_NS6detail17trampoline_kernelINS0_13select_configILj256ELj13ELNS0_17block_load_methodE3ELS4_3ELS4_3ELNS0_20block_scan_algorithmE0ELj4294967295EEENS1_25partition_config_selectorILNS1_17partition_subalgoE3EjNS0_10empty_typeEbEEZZNS1_14partition_implILS8_3ELb0ES6_jNS0_17counting_iteratorIjlEEPS9_SE_NS0_5tupleIJPjSE_EEENSF_IJSE_SE_EEES9_SG_JZNS1_25segmented_radix_sort_implINS0_14default_configELb1EPKlPlSM_SN_N2at6native12_GLOBAL__N_18offset_tEEE10hipError_tPvRmT1_PNSt15iterator_traitsISV_E10value_typeET2_T3_PNSW_IS11_E10value_typeET4_jRbjT5_S17_jjP12ihipStream_tbEUljE_EEESS_ST_SU_S11_S15_S17_T6_T7_T9_mT8_S19_bDpT10_ENKUlT_T0_E_clISt17integral_constantIbLb1EES1L_IbLb0EEEEDaS1H_S1I_EUlS1H_E_NS1_11comp_targetILNS1_3genE8ELNS1_11target_archE1030ELNS1_3gpuE2ELNS1_3repE0EEENS1_30default_config_static_selectorELNS0_4arch9wavefront6targetE0EEEvSV_, .Lfunc_end695-_ZN7rocprim17ROCPRIM_400000_NS6detail17trampoline_kernelINS0_13select_configILj256ELj13ELNS0_17block_load_methodE3ELS4_3ELS4_3ELNS0_20block_scan_algorithmE0ELj4294967295EEENS1_25partition_config_selectorILNS1_17partition_subalgoE3EjNS0_10empty_typeEbEEZZNS1_14partition_implILS8_3ELb0ES6_jNS0_17counting_iteratorIjlEEPS9_SE_NS0_5tupleIJPjSE_EEENSF_IJSE_SE_EEES9_SG_JZNS1_25segmented_radix_sort_implINS0_14default_configELb1EPKlPlSM_SN_N2at6native12_GLOBAL__N_18offset_tEEE10hipError_tPvRmT1_PNSt15iterator_traitsISV_E10value_typeET2_T3_PNSW_IS11_E10value_typeET4_jRbjT5_S17_jjP12ihipStream_tbEUljE_EEESS_ST_SU_S11_S15_S17_T6_T7_T9_mT8_S19_bDpT10_ENKUlT_T0_E_clISt17integral_constantIbLb1EES1L_IbLb0EEEEDaS1H_S1I_EUlS1H_E_NS1_11comp_targetILNS1_3genE8ELNS1_11target_archE1030ELNS1_3gpuE2ELNS1_3repE0EEENS1_30default_config_static_selectorELNS0_4arch9wavefront6targetE0EEEvSV_
                                        ; -- End function
	.set _ZN7rocprim17ROCPRIM_400000_NS6detail17trampoline_kernelINS0_13select_configILj256ELj13ELNS0_17block_load_methodE3ELS4_3ELS4_3ELNS0_20block_scan_algorithmE0ELj4294967295EEENS1_25partition_config_selectorILNS1_17partition_subalgoE3EjNS0_10empty_typeEbEEZZNS1_14partition_implILS8_3ELb0ES6_jNS0_17counting_iteratorIjlEEPS9_SE_NS0_5tupleIJPjSE_EEENSF_IJSE_SE_EEES9_SG_JZNS1_25segmented_radix_sort_implINS0_14default_configELb1EPKlPlSM_SN_N2at6native12_GLOBAL__N_18offset_tEEE10hipError_tPvRmT1_PNSt15iterator_traitsISV_E10value_typeET2_T3_PNSW_IS11_E10value_typeET4_jRbjT5_S17_jjP12ihipStream_tbEUljE_EEESS_ST_SU_S11_S15_S17_T6_T7_T9_mT8_S19_bDpT10_ENKUlT_T0_E_clISt17integral_constantIbLb1EES1L_IbLb0EEEEDaS1H_S1I_EUlS1H_E_NS1_11comp_targetILNS1_3genE8ELNS1_11target_archE1030ELNS1_3gpuE2ELNS1_3repE0EEENS1_30default_config_static_selectorELNS0_4arch9wavefront6targetE0EEEvSV_.num_vgpr, 0
	.set _ZN7rocprim17ROCPRIM_400000_NS6detail17trampoline_kernelINS0_13select_configILj256ELj13ELNS0_17block_load_methodE3ELS4_3ELS4_3ELNS0_20block_scan_algorithmE0ELj4294967295EEENS1_25partition_config_selectorILNS1_17partition_subalgoE3EjNS0_10empty_typeEbEEZZNS1_14partition_implILS8_3ELb0ES6_jNS0_17counting_iteratorIjlEEPS9_SE_NS0_5tupleIJPjSE_EEENSF_IJSE_SE_EEES9_SG_JZNS1_25segmented_radix_sort_implINS0_14default_configELb1EPKlPlSM_SN_N2at6native12_GLOBAL__N_18offset_tEEE10hipError_tPvRmT1_PNSt15iterator_traitsISV_E10value_typeET2_T3_PNSW_IS11_E10value_typeET4_jRbjT5_S17_jjP12ihipStream_tbEUljE_EEESS_ST_SU_S11_S15_S17_T6_T7_T9_mT8_S19_bDpT10_ENKUlT_T0_E_clISt17integral_constantIbLb1EES1L_IbLb0EEEEDaS1H_S1I_EUlS1H_E_NS1_11comp_targetILNS1_3genE8ELNS1_11target_archE1030ELNS1_3gpuE2ELNS1_3repE0EEENS1_30default_config_static_selectorELNS0_4arch9wavefront6targetE0EEEvSV_.num_agpr, 0
	.set _ZN7rocprim17ROCPRIM_400000_NS6detail17trampoline_kernelINS0_13select_configILj256ELj13ELNS0_17block_load_methodE3ELS4_3ELS4_3ELNS0_20block_scan_algorithmE0ELj4294967295EEENS1_25partition_config_selectorILNS1_17partition_subalgoE3EjNS0_10empty_typeEbEEZZNS1_14partition_implILS8_3ELb0ES6_jNS0_17counting_iteratorIjlEEPS9_SE_NS0_5tupleIJPjSE_EEENSF_IJSE_SE_EEES9_SG_JZNS1_25segmented_radix_sort_implINS0_14default_configELb1EPKlPlSM_SN_N2at6native12_GLOBAL__N_18offset_tEEE10hipError_tPvRmT1_PNSt15iterator_traitsISV_E10value_typeET2_T3_PNSW_IS11_E10value_typeET4_jRbjT5_S17_jjP12ihipStream_tbEUljE_EEESS_ST_SU_S11_S15_S17_T6_T7_T9_mT8_S19_bDpT10_ENKUlT_T0_E_clISt17integral_constantIbLb1EES1L_IbLb0EEEEDaS1H_S1I_EUlS1H_E_NS1_11comp_targetILNS1_3genE8ELNS1_11target_archE1030ELNS1_3gpuE2ELNS1_3repE0EEENS1_30default_config_static_selectorELNS0_4arch9wavefront6targetE0EEEvSV_.numbered_sgpr, 0
	.set _ZN7rocprim17ROCPRIM_400000_NS6detail17trampoline_kernelINS0_13select_configILj256ELj13ELNS0_17block_load_methodE3ELS4_3ELS4_3ELNS0_20block_scan_algorithmE0ELj4294967295EEENS1_25partition_config_selectorILNS1_17partition_subalgoE3EjNS0_10empty_typeEbEEZZNS1_14partition_implILS8_3ELb0ES6_jNS0_17counting_iteratorIjlEEPS9_SE_NS0_5tupleIJPjSE_EEENSF_IJSE_SE_EEES9_SG_JZNS1_25segmented_radix_sort_implINS0_14default_configELb1EPKlPlSM_SN_N2at6native12_GLOBAL__N_18offset_tEEE10hipError_tPvRmT1_PNSt15iterator_traitsISV_E10value_typeET2_T3_PNSW_IS11_E10value_typeET4_jRbjT5_S17_jjP12ihipStream_tbEUljE_EEESS_ST_SU_S11_S15_S17_T6_T7_T9_mT8_S19_bDpT10_ENKUlT_T0_E_clISt17integral_constantIbLb1EES1L_IbLb0EEEEDaS1H_S1I_EUlS1H_E_NS1_11comp_targetILNS1_3genE8ELNS1_11target_archE1030ELNS1_3gpuE2ELNS1_3repE0EEENS1_30default_config_static_selectorELNS0_4arch9wavefront6targetE0EEEvSV_.num_named_barrier, 0
	.set _ZN7rocprim17ROCPRIM_400000_NS6detail17trampoline_kernelINS0_13select_configILj256ELj13ELNS0_17block_load_methodE3ELS4_3ELS4_3ELNS0_20block_scan_algorithmE0ELj4294967295EEENS1_25partition_config_selectorILNS1_17partition_subalgoE3EjNS0_10empty_typeEbEEZZNS1_14partition_implILS8_3ELb0ES6_jNS0_17counting_iteratorIjlEEPS9_SE_NS0_5tupleIJPjSE_EEENSF_IJSE_SE_EEES9_SG_JZNS1_25segmented_radix_sort_implINS0_14default_configELb1EPKlPlSM_SN_N2at6native12_GLOBAL__N_18offset_tEEE10hipError_tPvRmT1_PNSt15iterator_traitsISV_E10value_typeET2_T3_PNSW_IS11_E10value_typeET4_jRbjT5_S17_jjP12ihipStream_tbEUljE_EEESS_ST_SU_S11_S15_S17_T6_T7_T9_mT8_S19_bDpT10_ENKUlT_T0_E_clISt17integral_constantIbLb1EES1L_IbLb0EEEEDaS1H_S1I_EUlS1H_E_NS1_11comp_targetILNS1_3genE8ELNS1_11target_archE1030ELNS1_3gpuE2ELNS1_3repE0EEENS1_30default_config_static_selectorELNS0_4arch9wavefront6targetE0EEEvSV_.private_seg_size, 0
	.set _ZN7rocprim17ROCPRIM_400000_NS6detail17trampoline_kernelINS0_13select_configILj256ELj13ELNS0_17block_load_methodE3ELS4_3ELS4_3ELNS0_20block_scan_algorithmE0ELj4294967295EEENS1_25partition_config_selectorILNS1_17partition_subalgoE3EjNS0_10empty_typeEbEEZZNS1_14partition_implILS8_3ELb0ES6_jNS0_17counting_iteratorIjlEEPS9_SE_NS0_5tupleIJPjSE_EEENSF_IJSE_SE_EEES9_SG_JZNS1_25segmented_radix_sort_implINS0_14default_configELb1EPKlPlSM_SN_N2at6native12_GLOBAL__N_18offset_tEEE10hipError_tPvRmT1_PNSt15iterator_traitsISV_E10value_typeET2_T3_PNSW_IS11_E10value_typeET4_jRbjT5_S17_jjP12ihipStream_tbEUljE_EEESS_ST_SU_S11_S15_S17_T6_T7_T9_mT8_S19_bDpT10_ENKUlT_T0_E_clISt17integral_constantIbLb1EES1L_IbLb0EEEEDaS1H_S1I_EUlS1H_E_NS1_11comp_targetILNS1_3genE8ELNS1_11target_archE1030ELNS1_3gpuE2ELNS1_3repE0EEENS1_30default_config_static_selectorELNS0_4arch9wavefront6targetE0EEEvSV_.uses_vcc, 0
	.set _ZN7rocprim17ROCPRIM_400000_NS6detail17trampoline_kernelINS0_13select_configILj256ELj13ELNS0_17block_load_methodE3ELS4_3ELS4_3ELNS0_20block_scan_algorithmE0ELj4294967295EEENS1_25partition_config_selectorILNS1_17partition_subalgoE3EjNS0_10empty_typeEbEEZZNS1_14partition_implILS8_3ELb0ES6_jNS0_17counting_iteratorIjlEEPS9_SE_NS0_5tupleIJPjSE_EEENSF_IJSE_SE_EEES9_SG_JZNS1_25segmented_radix_sort_implINS0_14default_configELb1EPKlPlSM_SN_N2at6native12_GLOBAL__N_18offset_tEEE10hipError_tPvRmT1_PNSt15iterator_traitsISV_E10value_typeET2_T3_PNSW_IS11_E10value_typeET4_jRbjT5_S17_jjP12ihipStream_tbEUljE_EEESS_ST_SU_S11_S15_S17_T6_T7_T9_mT8_S19_bDpT10_ENKUlT_T0_E_clISt17integral_constantIbLb1EES1L_IbLb0EEEEDaS1H_S1I_EUlS1H_E_NS1_11comp_targetILNS1_3genE8ELNS1_11target_archE1030ELNS1_3gpuE2ELNS1_3repE0EEENS1_30default_config_static_selectorELNS0_4arch9wavefront6targetE0EEEvSV_.uses_flat_scratch, 0
	.set _ZN7rocprim17ROCPRIM_400000_NS6detail17trampoline_kernelINS0_13select_configILj256ELj13ELNS0_17block_load_methodE3ELS4_3ELS4_3ELNS0_20block_scan_algorithmE0ELj4294967295EEENS1_25partition_config_selectorILNS1_17partition_subalgoE3EjNS0_10empty_typeEbEEZZNS1_14partition_implILS8_3ELb0ES6_jNS0_17counting_iteratorIjlEEPS9_SE_NS0_5tupleIJPjSE_EEENSF_IJSE_SE_EEES9_SG_JZNS1_25segmented_radix_sort_implINS0_14default_configELb1EPKlPlSM_SN_N2at6native12_GLOBAL__N_18offset_tEEE10hipError_tPvRmT1_PNSt15iterator_traitsISV_E10value_typeET2_T3_PNSW_IS11_E10value_typeET4_jRbjT5_S17_jjP12ihipStream_tbEUljE_EEESS_ST_SU_S11_S15_S17_T6_T7_T9_mT8_S19_bDpT10_ENKUlT_T0_E_clISt17integral_constantIbLb1EES1L_IbLb0EEEEDaS1H_S1I_EUlS1H_E_NS1_11comp_targetILNS1_3genE8ELNS1_11target_archE1030ELNS1_3gpuE2ELNS1_3repE0EEENS1_30default_config_static_selectorELNS0_4arch9wavefront6targetE0EEEvSV_.has_dyn_sized_stack, 0
	.set _ZN7rocprim17ROCPRIM_400000_NS6detail17trampoline_kernelINS0_13select_configILj256ELj13ELNS0_17block_load_methodE3ELS4_3ELS4_3ELNS0_20block_scan_algorithmE0ELj4294967295EEENS1_25partition_config_selectorILNS1_17partition_subalgoE3EjNS0_10empty_typeEbEEZZNS1_14partition_implILS8_3ELb0ES6_jNS0_17counting_iteratorIjlEEPS9_SE_NS0_5tupleIJPjSE_EEENSF_IJSE_SE_EEES9_SG_JZNS1_25segmented_radix_sort_implINS0_14default_configELb1EPKlPlSM_SN_N2at6native12_GLOBAL__N_18offset_tEEE10hipError_tPvRmT1_PNSt15iterator_traitsISV_E10value_typeET2_T3_PNSW_IS11_E10value_typeET4_jRbjT5_S17_jjP12ihipStream_tbEUljE_EEESS_ST_SU_S11_S15_S17_T6_T7_T9_mT8_S19_bDpT10_ENKUlT_T0_E_clISt17integral_constantIbLb1EES1L_IbLb0EEEEDaS1H_S1I_EUlS1H_E_NS1_11comp_targetILNS1_3genE8ELNS1_11target_archE1030ELNS1_3gpuE2ELNS1_3repE0EEENS1_30default_config_static_selectorELNS0_4arch9wavefront6targetE0EEEvSV_.has_recursion, 0
	.set _ZN7rocprim17ROCPRIM_400000_NS6detail17trampoline_kernelINS0_13select_configILj256ELj13ELNS0_17block_load_methodE3ELS4_3ELS4_3ELNS0_20block_scan_algorithmE0ELj4294967295EEENS1_25partition_config_selectorILNS1_17partition_subalgoE3EjNS0_10empty_typeEbEEZZNS1_14partition_implILS8_3ELb0ES6_jNS0_17counting_iteratorIjlEEPS9_SE_NS0_5tupleIJPjSE_EEENSF_IJSE_SE_EEES9_SG_JZNS1_25segmented_radix_sort_implINS0_14default_configELb1EPKlPlSM_SN_N2at6native12_GLOBAL__N_18offset_tEEE10hipError_tPvRmT1_PNSt15iterator_traitsISV_E10value_typeET2_T3_PNSW_IS11_E10value_typeET4_jRbjT5_S17_jjP12ihipStream_tbEUljE_EEESS_ST_SU_S11_S15_S17_T6_T7_T9_mT8_S19_bDpT10_ENKUlT_T0_E_clISt17integral_constantIbLb1EES1L_IbLb0EEEEDaS1H_S1I_EUlS1H_E_NS1_11comp_targetILNS1_3genE8ELNS1_11target_archE1030ELNS1_3gpuE2ELNS1_3repE0EEENS1_30default_config_static_selectorELNS0_4arch9wavefront6targetE0EEEvSV_.has_indirect_call, 0
	.section	.AMDGPU.csdata,"",@progbits
; Kernel info:
; codeLenInByte = 0
; TotalNumSgprs: 0
; NumVgprs: 0
; ScratchSize: 0
; MemoryBound: 0
; FloatMode: 240
; IeeeMode: 1
; LDSByteSize: 0 bytes/workgroup (compile time only)
; SGPRBlocks: 0
; VGPRBlocks: 0
; NumSGPRsForWavesPerEU: 1
; NumVGPRsForWavesPerEU: 1
; Occupancy: 16
; WaveLimiterHint : 0
; COMPUTE_PGM_RSRC2:SCRATCH_EN: 0
; COMPUTE_PGM_RSRC2:USER_SGPR: 2
; COMPUTE_PGM_RSRC2:TRAP_HANDLER: 0
; COMPUTE_PGM_RSRC2:TGID_X_EN: 1
; COMPUTE_PGM_RSRC2:TGID_Y_EN: 0
; COMPUTE_PGM_RSRC2:TGID_Z_EN: 0
; COMPUTE_PGM_RSRC2:TIDIG_COMP_CNT: 0
	.section	.text._ZN7rocprim17ROCPRIM_400000_NS6detail17trampoline_kernelINS0_13select_configILj256ELj13ELNS0_17block_load_methodE3ELS4_3ELS4_3ELNS0_20block_scan_algorithmE0ELj4294967295EEENS1_25partition_config_selectorILNS1_17partition_subalgoE3EjNS0_10empty_typeEbEEZZNS1_14partition_implILS8_3ELb0ES6_jNS0_17counting_iteratorIjlEEPS9_SE_NS0_5tupleIJPjSE_EEENSF_IJSE_SE_EEES9_SG_JZNS1_25segmented_radix_sort_implINS0_14default_configELb1EPKlPlSM_SN_N2at6native12_GLOBAL__N_18offset_tEEE10hipError_tPvRmT1_PNSt15iterator_traitsISV_E10value_typeET2_T3_PNSW_IS11_E10value_typeET4_jRbjT5_S17_jjP12ihipStream_tbEUljE_EEESS_ST_SU_S11_S15_S17_T6_T7_T9_mT8_S19_bDpT10_ENKUlT_T0_E_clISt17integral_constantIbLb0EES1L_IbLb1EEEEDaS1H_S1I_EUlS1H_E_NS1_11comp_targetILNS1_3genE0ELNS1_11target_archE4294967295ELNS1_3gpuE0ELNS1_3repE0EEENS1_30default_config_static_selectorELNS0_4arch9wavefront6targetE0EEEvSV_,"axG",@progbits,_ZN7rocprim17ROCPRIM_400000_NS6detail17trampoline_kernelINS0_13select_configILj256ELj13ELNS0_17block_load_methodE3ELS4_3ELS4_3ELNS0_20block_scan_algorithmE0ELj4294967295EEENS1_25partition_config_selectorILNS1_17partition_subalgoE3EjNS0_10empty_typeEbEEZZNS1_14partition_implILS8_3ELb0ES6_jNS0_17counting_iteratorIjlEEPS9_SE_NS0_5tupleIJPjSE_EEENSF_IJSE_SE_EEES9_SG_JZNS1_25segmented_radix_sort_implINS0_14default_configELb1EPKlPlSM_SN_N2at6native12_GLOBAL__N_18offset_tEEE10hipError_tPvRmT1_PNSt15iterator_traitsISV_E10value_typeET2_T3_PNSW_IS11_E10value_typeET4_jRbjT5_S17_jjP12ihipStream_tbEUljE_EEESS_ST_SU_S11_S15_S17_T6_T7_T9_mT8_S19_bDpT10_ENKUlT_T0_E_clISt17integral_constantIbLb0EES1L_IbLb1EEEEDaS1H_S1I_EUlS1H_E_NS1_11comp_targetILNS1_3genE0ELNS1_11target_archE4294967295ELNS1_3gpuE0ELNS1_3repE0EEENS1_30default_config_static_selectorELNS0_4arch9wavefront6targetE0EEEvSV_,comdat
	.globl	_ZN7rocprim17ROCPRIM_400000_NS6detail17trampoline_kernelINS0_13select_configILj256ELj13ELNS0_17block_load_methodE3ELS4_3ELS4_3ELNS0_20block_scan_algorithmE0ELj4294967295EEENS1_25partition_config_selectorILNS1_17partition_subalgoE3EjNS0_10empty_typeEbEEZZNS1_14partition_implILS8_3ELb0ES6_jNS0_17counting_iteratorIjlEEPS9_SE_NS0_5tupleIJPjSE_EEENSF_IJSE_SE_EEES9_SG_JZNS1_25segmented_radix_sort_implINS0_14default_configELb1EPKlPlSM_SN_N2at6native12_GLOBAL__N_18offset_tEEE10hipError_tPvRmT1_PNSt15iterator_traitsISV_E10value_typeET2_T3_PNSW_IS11_E10value_typeET4_jRbjT5_S17_jjP12ihipStream_tbEUljE_EEESS_ST_SU_S11_S15_S17_T6_T7_T9_mT8_S19_bDpT10_ENKUlT_T0_E_clISt17integral_constantIbLb0EES1L_IbLb1EEEEDaS1H_S1I_EUlS1H_E_NS1_11comp_targetILNS1_3genE0ELNS1_11target_archE4294967295ELNS1_3gpuE0ELNS1_3repE0EEENS1_30default_config_static_selectorELNS0_4arch9wavefront6targetE0EEEvSV_ ; -- Begin function _ZN7rocprim17ROCPRIM_400000_NS6detail17trampoline_kernelINS0_13select_configILj256ELj13ELNS0_17block_load_methodE3ELS4_3ELS4_3ELNS0_20block_scan_algorithmE0ELj4294967295EEENS1_25partition_config_selectorILNS1_17partition_subalgoE3EjNS0_10empty_typeEbEEZZNS1_14partition_implILS8_3ELb0ES6_jNS0_17counting_iteratorIjlEEPS9_SE_NS0_5tupleIJPjSE_EEENSF_IJSE_SE_EEES9_SG_JZNS1_25segmented_radix_sort_implINS0_14default_configELb1EPKlPlSM_SN_N2at6native12_GLOBAL__N_18offset_tEEE10hipError_tPvRmT1_PNSt15iterator_traitsISV_E10value_typeET2_T3_PNSW_IS11_E10value_typeET4_jRbjT5_S17_jjP12ihipStream_tbEUljE_EEESS_ST_SU_S11_S15_S17_T6_T7_T9_mT8_S19_bDpT10_ENKUlT_T0_E_clISt17integral_constantIbLb0EES1L_IbLb1EEEEDaS1H_S1I_EUlS1H_E_NS1_11comp_targetILNS1_3genE0ELNS1_11target_archE4294967295ELNS1_3gpuE0ELNS1_3repE0EEENS1_30default_config_static_selectorELNS0_4arch9wavefront6targetE0EEEvSV_
	.p2align	8
	.type	_ZN7rocprim17ROCPRIM_400000_NS6detail17trampoline_kernelINS0_13select_configILj256ELj13ELNS0_17block_load_methodE3ELS4_3ELS4_3ELNS0_20block_scan_algorithmE0ELj4294967295EEENS1_25partition_config_selectorILNS1_17partition_subalgoE3EjNS0_10empty_typeEbEEZZNS1_14partition_implILS8_3ELb0ES6_jNS0_17counting_iteratorIjlEEPS9_SE_NS0_5tupleIJPjSE_EEENSF_IJSE_SE_EEES9_SG_JZNS1_25segmented_radix_sort_implINS0_14default_configELb1EPKlPlSM_SN_N2at6native12_GLOBAL__N_18offset_tEEE10hipError_tPvRmT1_PNSt15iterator_traitsISV_E10value_typeET2_T3_PNSW_IS11_E10value_typeET4_jRbjT5_S17_jjP12ihipStream_tbEUljE_EEESS_ST_SU_S11_S15_S17_T6_T7_T9_mT8_S19_bDpT10_ENKUlT_T0_E_clISt17integral_constantIbLb0EES1L_IbLb1EEEEDaS1H_S1I_EUlS1H_E_NS1_11comp_targetILNS1_3genE0ELNS1_11target_archE4294967295ELNS1_3gpuE0ELNS1_3repE0EEENS1_30default_config_static_selectorELNS0_4arch9wavefront6targetE0EEEvSV_,@function
_ZN7rocprim17ROCPRIM_400000_NS6detail17trampoline_kernelINS0_13select_configILj256ELj13ELNS0_17block_load_methodE3ELS4_3ELS4_3ELNS0_20block_scan_algorithmE0ELj4294967295EEENS1_25partition_config_selectorILNS1_17partition_subalgoE3EjNS0_10empty_typeEbEEZZNS1_14partition_implILS8_3ELb0ES6_jNS0_17counting_iteratorIjlEEPS9_SE_NS0_5tupleIJPjSE_EEENSF_IJSE_SE_EEES9_SG_JZNS1_25segmented_radix_sort_implINS0_14default_configELb1EPKlPlSM_SN_N2at6native12_GLOBAL__N_18offset_tEEE10hipError_tPvRmT1_PNSt15iterator_traitsISV_E10value_typeET2_T3_PNSW_IS11_E10value_typeET4_jRbjT5_S17_jjP12ihipStream_tbEUljE_EEESS_ST_SU_S11_S15_S17_T6_T7_T9_mT8_S19_bDpT10_ENKUlT_T0_E_clISt17integral_constantIbLb0EES1L_IbLb1EEEEDaS1H_S1I_EUlS1H_E_NS1_11comp_targetILNS1_3genE0ELNS1_11target_archE4294967295ELNS1_3gpuE0ELNS1_3repE0EEENS1_30default_config_static_selectorELNS0_4arch9wavefront6targetE0EEEvSV_: ; @_ZN7rocprim17ROCPRIM_400000_NS6detail17trampoline_kernelINS0_13select_configILj256ELj13ELNS0_17block_load_methodE3ELS4_3ELS4_3ELNS0_20block_scan_algorithmE0ELj4294967295EEENS1_25partition_config_selectorILNS1_17partition_subalgoE3EjNS0_10empty_typeEbEEZZNS1_14partition_implILS8_3ELb0ES6_jNS0_17counting_iteratorIjlEEPS9_SE_NS0_5tupleIJPjSE_EEENSF_IJSE_SE_EEES9_SG_JZNS1_25segmented_radix_sort_implINS0_14default_configELb1EPKlPlSM_SN_N2at6native12_GLOBAL__N_18offset_tEEE10hipError_tPvRmT1_PNSt15iterator_traitsISV_E10value_typeET2_T3_PNSW_IS11_E10value_typeET4_jRbjT5_S17_jjP12ihipStream_tbEUljE_EEESS_ST_SU_S11_S15_S17_T6_T7_T9_mT8_S19_bDpT10_ENKUlT_T0_E_clISt17integral_constantIbLb0EES1L_IbLb1EEEEDaS1H_S1I_EUlS1H_E_NS1_11comp_targetILNS1_3genE0ELNS1_11target_archE4294967295ELNS1_3gpuE0ELNS1_3repE0EEENS1_30default_config_static_selectorELNS0_4arch9wavefront6targetE0EEEvSV_
; %bb.0:
	.section	.rodata,"a",@progbits
	.p2align	6, 0x0
	.amdhsa_kernel _ZN7rocprim17ROCPRIM_400000_NS6detail17trampoline_kernelINS0_13select_configILj256ELj13ELNS0_17block_load_methodE3ELS4_3ELS4_3ELNS0_20block_scan_algorithmE0ELj4294967295EEENS1_25partition_config_selectorILNS1_17partition_subalgoE3EjNS0_10empty_typeEbEEZZNS1_14partition_implILS8_3ELb0ES6_jNS0_17counting_iteratorIjlEEPS9_SE_NS0_5tupleIJPjSE_EEENSF_IJSE_SE_EEES9_SG_JZNS1_25segmented_radix_sort_implINS0_14default_configELb1EPKlPlSM_SN_N2at6native12_GLOBAL__N_18offset_tEEE10hipError_tPvRmT1_PNSt15iterator_traitsISV_E10value_typeET2_T3_PNSW_IS11_E10value_typeET4_jRbjT5_S17_jjP12ihipStream_tbEUljE_EEESS_ST_SU_S11_S15_S17_T6_T7_T9_mT8_S19_bDpT10_ENKUlT_T0_E_clISt17integral_constantIbLb0EES1L_IbLb1EEEEDaS1H_S1I_EUlS1H_E_NS1_11comp_targetILNS1_3genE0ELNS1_11target_archE4294967295ELNS1_3gpuE0ELNS1_3repE0EEENS1_30default_config_static_selectorELNS0_4arch9wavefront6targetE0EEEvSV_
		.amdhsa_group_segment_fixed_size 0
		.amdhsa_private_segment_fixed_size 0
		.amdhsa_kernarg_size 152
		.amdhsa_user_sgpr_count 2
		.amdhsa_user_sgpr_dispatch_ptr 0
		.amdhsa_user_sgpr_queue_ptr 0
		.amdhsa_user_sgpr_kernarg_segment_ptr 1
		.amdhsa_user_sgpr_dispatch_id 0
		.amdhsa_user_sgpr_private_segment_size 0
		.amdhsa_wavefront_size32 1
		.amdhsa_uses_dynamic_stack 0
		.amdhsa_enable_private_segment 0
		.amdhsa_system_sgpr_workgroup_id_x 1
		.amdhsa_system_sgpr_workgroup_id_y 0
		.amdhsa_system_sgpr_workgroup_id_z 0
		.amdhsa_system_sgpr_workgroup_info 0
		.amdhsa_system_vgpr_workitem_id 0
		.amdhsa_next_free_vgpr 1
		.amdhsa_next_free_sgpr 1
		.amdhsa_reserve_vcc 0
		.amdhsa_float_round_mode_32 0
		.amdhsa_float_round_mode_16_64 0
		.amdhsa_float_denorm_mode_32 3
		.amdhsa_float_denorm_mode_16_64 3
		.amdhsa_fp16_overflow 0
		.amdhsa_workgroup_processor_mode 1
		.amdhsa_memory_ordered 1
		.amdhsa_forward_progress 1
		.amdhsa_inst_pref_size 0
		.amdhsa_round_robin_scheduling 0
		.amdhsa_exception_fp_ieee_invalid_op 0
		.amdhsa_exception_fp_denorm_src 0
		.amdhsa_exception_fp_ieee_div_zero 0
		.amdhsa_exception_fp_ieee_overflow 0
		.amdhsa_exception_fp_ieee_underflow 0
		.amdhsa_exception_fp_ieee_inexact 0
		.amdhsa_exception_int_div_zero 0
	.end_amdhsa_kernel
	.section	.text._ZN7rocprim17ROCPRIM_400000_NS6detail17trampoline_kernelINS0_13select_configILj256ELj13ELNS0_17block_load_methodE3ELS4_3ELS4_3ELNS0_20block_scan_algorithmE0ELj4294967295EEENS1_25partition_config_selectorILNS1_17partition_subalgoE3EjNS0_10empty_typeEbEEZZNS1_14partition_implILS8_3ELb0ES6_jNS0_17counting_iteratorIjlEEPS9_SE_NS0_5tupleIJPjSE_EEENSF_IJSE_SE_EEES9_SG_JZNS1_25segmented_radix_sort_implINS0_14default_configELb1EPKlPlSM_SN_N2at6native12_GLOBAL__N_18offset_tEEE10hipError_tPvRmT1_PNSt15iterator_traitsISV_E10value_typeET2_T3_PNSW_IS11_E10value_typeET4_jRbjT5_S17_jjP12ihipStream_tbEUljE_EEESS_ST_SU_S11_S15_S17_T6_T7_T9_mT8_S19_bDpT10_ENKUlT_T0_E_clISt17integral_constantIbLb0EES1L_IbLb1EEEEDaS1H_S1I_EUlS1H_E_NS1_11comp_targetILNS1_3genE0ELNS1_11target_archE4294967295ELNS1_3gpuE0ELNS1_3repE0EEENS1_30default_config_static_selectorELNS0_4arch9wavefront6targetE0EEEvSV_,"axG",@progbits,_ZN7rocprim17ROCPRIM_400000_NS6detail17trampoline_kernelINS0_13select_configILj256ELj13ELNS0_17block_load_methodE3ELS4_3ELS4_3ELNS0_20block_scan_algorithmE0ELj4294967295EEENS1_25partition_config_selectorILNS1_17partition_subalgoE3EjNS0_10empty_typeEbEEZZNS1_14partition_implILS8_3ELb0ES6_jNS0_17counting_iteratorIjlEEPS9_SE_NS0_5tupleIJPjSE_EEENSF_IJSE_SE_EEES9_SG_JZNS1_25segmented_radix_sort_implINS0_14default_configELb1EPKlPlSM_SN_N2at6native12_GLOBAL__N_18offset_tEEE10hipError_tPvRmT1_PNSt15iterator_traitsISV_E10value_typeET2_T3_PNSW_IS11_E10value_typeET4_jRbjT5_S17_jjP12ihipStream_tbEUljE_EEESS_ST_SU_S11_S15_S17_T6_T7_T9_mT8_S19_bDpT10_ENKUlT_T0_E_clISt17integral_constantIbLb0EES1L_IbLb1EEEEDaS1H_S1I_EUlS1H_E_NS1_11comp_targetILNS1_3genE0ELNS1_11target_archE4294967295ELNS1_3gpuE0ELNS1_3repE0EEENS1_30default_config_static_selectorELNS0_4arch9wavefront6targetE0EEEvSV_,comdat
.Lfunc_end696:
	.size	_ZN7rocprim17ROCPRIM_400000_NS6detail17trampoline_kernelINS0_13select_configILj256ELj13ELNS0_17block_load_methodE3ELS4_3ELS4_3ELNS0_20block_scan_algorithmE0ELj4294967295EEENS1_25partition_config_selectorILNS1_17partition_subalgoE3EjNS0_10empty_typeEbEEZZNS1_14partition_implILS8_3ELb0ES6_jNS0_17counting_iteratorIjlEEPS9_SE_NS0_5tupleIJPjSE_EEENSF_IJSE_SE_EEES9_SG_JZNS1_25segmented_radix_sort_implINS0_14default_configELb1EPKlPlSM_SN_N2at6native12_GLOBAL__N_18offset_tEEE10hipError_tPvRmT1_PNSt15iterator_traitsISV_E10value_typeET2_T3_PNSW_IS11_E10value_typeET4_jRbjT5_S17_jjP12ihipStream_tbEUljE_EEESS_ST_SU_S11_S15_S17_T6_T7_T9_mT8_S19_bDpT10_ENKUlT_T0_E_clISt17integral_constantIbLb0EES1L_IbLb1EEEEDaS1H_S1I_EUlS1H_E_NS1_11comp_targetILNS1_3genE0ELNS1_11target_archE4294967295ELNS1_3gpuE0ELNS1_3repE0EEENS1_30default_config_static_selectorELNS0_4arch9wavefront6targetE0EEEvSV_, .Lfunc_end696-_ZN7rocprim17ROCPRIM_400000_NS6detail17trampoline_kernelINS0_13select_configILj256ELj13ELNS0_17block_load_methodE3ELS4_3ELS4_3ELNS0_20block_scan_algorithmE0ELj4294967295EEENS1_25partition_config_selectorILNS1_17partition_subalgoE3EjNS0_10empty_typeEbEEZZNS1_14partition_implILS8_3ELb0ES6_jNS0_17counting_iteratorIjlEEPS9_SE_NS0_5tupleIJPjSE_EEENSF_IJSE_SE_EEES9_SG_JZNS1_25segmented_radix_sort_implINS0_14default_configELb1EPKlPlSM_SN_N2at6native12_GLOBAL__N_18offset_tEEE10hipError_tPvRmT1_PNSt15iterator_traitsISV_E10value_typeET2_T3_PNSW_IS11_E10value_typeET4_jRbjT5_S17_jjP12ihipStream_tbEUljE_EEESS_ST_SU_S11_S15_S17_T6_T7_T9_mT8_S19_bDpT10_ENKUlT_T0_E_clISt17integral_constantIbLb0EES1L_IbLb1EEEEDaS1H_S1I_EUlS1H_E_NS1_11comp_targetILNS1_3genE0ELNS1_11target_archE4294967295ELNS1_3gpuE0ELNS1_3repE0EEENS1_30default_config_static_selectorELNS0_4arch9wavefront6targetE0EEEvSV_
                                        ; -- End function
	.set _ZN7rocprim17ROCPRIM_400000_NS6detail17trampoline_kernelINS0_13select_configILj256ELj13ELNS0_17block_load_methodE3ELS4_3ELS4_3ELNS0_20block_scan_algorithmE0ELj4294967295EEENS1_25partition_config_selectorILNS1_17partition_subalgoE3EjNS0_10empty_typeEbEEZZNS1_14partition_implILS8_3ELb0ES6_jNS0_17counting_iteratorIjlEEPS9_SE_NS0_5tupleIJPjSE_EEENSF_IJSE_SE_EEES9_SG_JZNS1_25segmented_radix_sort_implINS0_14default_configELb1EPKlPlSM_SN_N2at6native12_GLOBAL__N_18offset_tEEE10hipError_tPvRmT1_PNSt15iterator_traitsISV_E10value_typeET2_T3_PNSW_IS11_E10value_typeET4_jRbjT5_S17_jjP12ihipStream_tbEUljE_EEESS_ST_SU_S11_S15_S17_T6_T7_T9_mT8_S19_bDpT10_ENKUlT_T0_E_clISt17integral_constantIbLb0EES1L_IbLb1EEEEDaS1H_S1I_EUlS1H_E_NS1_11comp_targetILNS1_3genE0ELNS1_11target_archE4294967295ELNS1_3gpuE0ELNS1_3repE0EEENS1_30default_config_static_selectorELNS0_4arch9wavefront6targetE0EEEvSV_.num_vgpr, 0
	.set _ZN7rocprim17ROCPRIM_400000_NS6detail17trampoline_kernelINS0_13select_configILj256ELj13ELNS0_17block_load_methodE3ELS4_3ELS4_3ELNS0_20block_scan_algorithmE0ELj4294967295EEENS1_25partition_config_selectorILNS1_17partition_subalgoE3EjNS0_10empty_typeEbEEZZNS1_14partition_implILS8_3ELb0ES6_jNS0_17counting_iteratorIjlEEPS9_SE_NS0_5tupleIJPjSE_EEENSF_IJSE_SE_EEES9_SG_JZNS1_25segmented_radix_sort_implINS0_14default_configELb1EPKlPlSM_SN_N2at6native12_GLOBAL__N_18offset_tEEE10hipError_tPvRmT1_PNSt15iterator_traitsISV_E10value_typeET2_T3_PNSW_IS11_E10value_typeET4_jRbjT5_S17_jjP12ihipStream_tbEUljE_EEESS_ST_SU_S11_S15_S17_T6_T7_T9_mT8_S19_bDpT10_ENKUlT_T0_E_clISt17integral_constantIbLb0EES1L_IbLb1EEEEDaS1H_S1I_EUlS1H_E_NS1_11comp_targetILNS1_3genE0ELNS1_11target_archE4294967295ELNS1_3gpuE0ELNS1_3repE0EEENS1_30default_config_static_selectorELNS0_4arch9wavefront6targetE0EEEvSV_.num_agpr, 0
	.set _ZN7rocprim17ROCPRIM_400000_NS6detail17trampoline_kernelINS0_13select_configILj256ELj13ELNS0_17block_load_methodE3ELS4_3ELS4_3ELNS0_20block_scan_algorithmE0ELj4294967295EEENS1_25partition_config_selectorILNS1_17partition_subalgoE3EjNS0_10empty_typeEbEEZZNS1_14partition_implILS8_3ELb0ES6_jNS0_17counting_iteratorIjlEEPS9_SE_NS0_5tupleIJPjSE_EEENSF_IJSE_SE_EEES9_SG_JZNS1_25segmented_radix_sort_implINS0_14default_configELb1EPKlPlSM_SN_N2at6native12_GLOBAL__N_18offset_tEEE10hipError_tPvRmT1_PNSt15iterator_traitsISV_E10value_typeET2_T3_PNSW_IS11_E10value_typeET4_jRbjT5_S17_jjP12ihipStream_tbEUljE_EEESS_ST_SU_S11_S15_S17_T6_T7_T9_mT8_S19_bDpT10_ENKUlT_T0_E_clISt17integral_constantIbLb0EES1L_IbLb1EEEEDaS1H_S1I_EUlS1H_E_NS1_11comp_targetILNS1_3genE0ELNS1_11target_archE4294967295ELNS1_3gpuE0ELNS1_3repE0EEENS1_30default_config_static_selectorELNS0_4arch9wavefront6targetE0EEEvSV_.numbered_sgpr, 0
	.set _ZN7rocprim17ROCPRIM_400000_NS6detail17trampoline_kernelINS0_13select_configILj256ELj13ELNS0_17block_load_methodE3ELS4_3ELS4_3ELNS0_20block_scan_algorithmE0ELj4294967295EEENS1_25partition_config_selectorILNS1_17partition_subalgoE3EjNS0_10empty_typeEbEEZZNS1_14partition_implILS8_3ELb0ES6_jNS0_17counting_iteratorIjlEEPS9_SE_NS0_5tupleIJPjSE_EEENSF_IJSE_SE_EEES9_SG_JZNS1_25segmented_radix_sort_implINS0_14default_configELb1EPKlPlSM_SN_N2at6native12_GLOBAL__N_18offset_tEEE10hipError_tPvRmT1_PNSt15iterator_traitsISV_E10value_typeET2_T3_PNSW_IS11_E10value_typeET4_jRbjT5_S17_jjP12ihipStream_tbEUljE_EEESS_ST_SU_S11_S15_S17_T6_T7_T9_mT8_S19_bDpT10_ENKUlT_T0_E_clISt17integral_constantIbLb0EES1L_IbLb1EEEEDaS1H_S1I_EUlS1H_E_NS1_11comp_targetILNS1_3genE0ELNS1_11target_archE4294967295ELNS1_3gpuE0ELNS1_3repE0EEENS1_30default_config_static_selectorELNS0_4arch9wavefront6targetE0EEEvSV_.num_named_barrier, 0
	.set _ZN7rocprim17ROCPRIM_400000_NS6detail17trampoline_kernelINS0_13select_configILj256ELj13ELNS0_17block_load_methodE3ELS4_3ELS4_3ELNS0_20block_scan_algorithmE0ELj4294967295EEENS1_25partition_config_selectorILNS1_17partition_subalgoE3EjNS0_10empty_typeEbEEZZNS1_14partition_implILS8_3ELb0ES6_jNS0_17counting_iteratorIjlEEPS9_SE_NS0_5tupleIJPjSE_EEENSF_IJSE_SE_EEES9_SG_JZNS1_25segmented_radix_sort_implINS0_14default_configELb1EPKlPlSM_SN_N2at6native12_GLOBAL__N_18offset_tEEE10hipError_tPvRmT1_PNSt15iterator_traitsISV_E10value_typeET2_T3_PNSW_IS11_E10value_typeET4_jRbjT5_S17_jjP12ihipStream_tbEUljE_EEESS_ST_SU_S11_S15_S17_T6_T7_T9_mT8_S19_bDpT10_ENKUlT_T0_E_clISt17integral_constantIbLb0EES1L_IbLb1EEEEDaS1H_S1I_EUlS1H_E_NS1_11comp_targetILNS1_3genE0ELNS1_11target_archE4294967295ELNS1_3gpuE0ELNS1_3repE0EEENS1_30default_config_static_selectorELNS0_4arch9wavefront6targetE0EEEvSV_.private_seg_size, 0
	.set _ZN7rocprim17ROCPRIM_400000_NS6detail17trampoline_kernelINS0_13select_configILj256ELj13ELNS0_17block_load_methodE3ELS4_3ELS4_3ELNS0_20block_scan_algorithmE0ELj4294967295EEENS1_25partition_config_selectorILNS1_17partition_subalgoE3EjNS0_10empty_typeEbEEZZNS1_14partition_implILS8_3ELb0ES6_jNS0_17counting_iteratorIjlEEPS9_SE_NS0_5tupleIJPjSE_EEENSF_IJSE_SE_EEES9_SG_JZNS1_25segmented_radix_sort_implINS0_14default_configELb1EPKlPlSM_SN_N2at6native12_GLOBAL__N_18offset_tEEE10hipError_tPvRmT1_PNSt15iterator_traitsISV_E10value_typeET2_T3_PNSW_IS11_E10value_typeET4_jRbjT5_S17_jjP12ihipStream_tbEUljE_EEESS_ST_SU_S11_S15_S17_T6_T7_T9_mT8_S19_bDpT10_ENKUlT_T0_E_clISt17integral_constantIbLb0EES1L_IbLb1EEEEDaS1H_S1I_EUlS1H_E_NS1_11comp_targetILNS1_3genE0ELNS1_11target_archE4294967295ELNS1_3gpuE0ELNS1_3repE0EEENS1_30default_config_static_selectorELNS0_4arch9wavefront6targetE0EEEvSV_.uses_vcc, 0
	.set _ZN7rocprim17ROCPRIM_400000_NS6detail17trampoline_kernelINS0_13select_configILj256ELj13ELNS0_17block_load_methodE3ELS4_3ELS4_3ELNS0_20block_scan_algorithmE0ELj4294967295EEENS1_25partition_config_selectorILNS1_17partition_subalgoE3EjNS0_10empty_typeEbEEZZNS1_14partition_implILS8_3ELb0ES6_jNS0_17counting_iteratorIjlEEPS9_SE_NS0_5tupleIJPjSE_EEENSF_IJSE_SE_EEES9_SG_JZNS1_25segmented_radix_sort_implINS0_14default_configELb1EPKlPlSM_SN_N2at6native12_GLOBAL__N_18offset_tEEE10hipError_tPvRmT1_PNSt15iterator_traitsISV_E10value_typeET2_T3_PNSW_IS11_E10value_typeET4_jRbjT5_S17_jjP12ihipStream_tbEUljE_EEESS_ST_SU_S11_S15_S17_T6_T7_T9_mT8_S19_bDpT10_ENKUlT_T0_E_clISt17integral_constantIbLb0EES1L_IbLb1EEEEDaS1H_S1I_EUlS1H_E_NS1_11comp_targetILNS1_3genE0ELNS1_11target_archE4294967295ELNS1_3gpuE0ELNS1_3repE0EEENS1_30default_config_static_selectorELNS0_4arch9wavefront6targetE0EEEvSV_.uses_flat_scratch, 0
	.set _ZN7rocprim17ROCPRIM_400000_NS6detail17trampoline_kernelINS0_13select_configILj256ELj13ELNS0_17block_load_methodE3ELS4_3ELS4_3ELNS0_20block_scan_algorithmE0ELj4294967295EEENS1_25partition_config_selectorILNS1_17partition_subalgoE3EjNS0_10empty_typeEbEEZZNS1_14partition_implILS8_3ELb0ES6_jNS0_17counting_iteratorIjlEEPS9_SE_NS0_5tupleIJPjSE_EEENSF_IJSE_SE_EEES9_SG_JZNS1_25segmented_radix_sort_implINS0_14default_configELb1EPKlPlSM_SN_N2at6native12_GLOBAL__N_18offset_tEEE10hipError_tPvRmT1_PNSt15iterator_traitsISV_E10value_typeET2_T3_PNSW_IS11_E10value_typeET4_jRbjT5_S17_jjP12ihipStream_tbEUljE_EEESS_ST_SU_S11_S15_S17_T6_T7_T9_mT8_S19_bDpT10_ENKUlT_T0_E_clISt17integral_constantIbLb0EES1L_IbLb1EEEEDaS1H_S1I_EUlS1H_E_NS1_11comp_targetILNS1_3genE0ELNS1_11target_archE4294967295ELNS1_3gpuE0ELNS1_3repE0EEENS1_30default_config_static_selectorELNS0_4arch9wavefront6targetE0EEEvSV_.has_dyn_sized_stack, 0
	.set _ZN7rocprim17ROCPRIM_400000_NS6detail17trampoline_kernelINS0_13select_configILj256ELj13ELNS0_17block_load_methodE3ELS4_3ELS4_3ELNS0_20block_scan_algorithmE0ELj4294967295EEENS1_25partition_config_selectorILNS1_17partition_subalgoE3EjNS0_10empty_typeEbEEZZNS1_14partition_implILS8_3ELb0ES6_jNS0_17counting_iteratorIjlEEPS9_SE_NS0_5tupleIJPjSE_EEENSF_IJSE_SE_EEES9_SG_JZNS1_25segmented_radix_sort_implINS0_14default_configELb1EPKlPlSM_SN_N2at6native12_GLOBAL__N_18offset_tEEE10hipError_tPvRmT1_PNSt15iterator_traitsISV_E10value_typeET2_T3_PNSW_IS11_E10value_typeET4_jRbjT5_S17_jjP12ihipStream_tbEUljE_EEESS_ST_SU_S11_S15_S17_T6_T7_T9_mT8_S19_bDpT10_ENKUlT_T0_E_clISt17integral_constantIbLb0EES1L_IbLb1EEEEDaS1H_S1I_EUlS1H_E_NS1_11comp_targetILNS1_3genE0ELNS1_11target_archE4294967295ELNS1_3gpuE0ELNS1_3repE0EEENS1_30default_config_static_selectorELNS0_4arch9wavefront6targetE0EEEvSV_.has_recursion, 0
	.set _ZN7rocprim17ROCPRIM_400000_NS6detail17trampoline_kernelINS0_13select_configILj256ELj13ELNS0_17block_load_methodE3ELS4_3ELS4_3ELNS0_20block_scan_algorithmE0ELj4294967295EEENS1_25partition_config_selectorILNS1_17partition_subalgoE3EjNS0_10empty_typeEbEEZZNS1_14partition_implILS8_3ELb0ES6_jNS0_17counting_iteratorIjlEEPS9_SE_NS0_5tupleIJPjSE_EEENSF_IJSE_SE_EEES9_SG_JZNS1_25segmented_radix_sort_implINS0_14default_configELb1EPKlPlSM_SN_N2at6native12_GLOBAL__N_18offset_tEEE10hipError_tPvRmT1_PNSt15iterator_traitsISV_E10value_typeET2_T3_PNSW_IS11_E10value_typeET4_jRbjT5_S17_jjP12ihipStream_tbEUljE_EEESS_ST_SU_S11_S15_S17_T6_T7_T9_mT8_S19_bDpT10_ENKUlT_T0_E_clISt17integral_constantIbLb0EES1L_IbLb1EEEEDaS1H_S1I_EUlS1H_E_NS1_11comp_targetILNS1_3genE0ELNS1_11target_archE4294967295ELNS1_3gpuE0ELNS1_3repE0EEENS1_30default_config_static_selectorELNS0_4arch9wavefront6targetE0EEEvSV_.has_indirect_call, 0
	.section	.AMDGPU.csdata,"",@progbits
; Kernel info:
; codeLenInByte = 0
; TotalNumSgprs: 0
; NumVgprs: 0
; ScratchSize: 0
; MemoryBound: 0
; FloatMode: 240
; IeeeMode: 1
; LDSByteSize: 0 bytes/workgroup (compile time only)
; SGPRBlocks: 0
; VGPRBlocks: 0
; NumSGPRsForWavesPerEU: 1
; NumVGPRsForWavesPerEU: 1
; Occupancy: 16
; WaveLimiterHint : 0
; COMPUTE_PGM_RSRC2:SCRATCH_EN: 0
; COMPUTE_PGM_RSRC2:USER_SGPR: 2
; COMPUTE_PGM_RSRC2:TRAP_HANDLER: 0
; COMPUTE_PGM_RSRC2:TGID_X_EN: 1
; COMPUTE_PGM_RSRC2:TGID_Y_EN: 0
; COMPUTE_PGM_RSRC2:TGID_Z_EN: 0
; COMPUTE_PGM_RSRC2:TIDIG_COMP_CNT: 0
	.section	.text._ZN7rocprim17ROCPRIM_400000_NS6detail17trampoline_kernelINS0_13select_configILj256ELj13ELNS0_17block_load_methodE3ELS4_3ELS4_3ELNS0_20block_scan_algorithmE0ELj4294967295EEENS1_25partition_config_selectorILNS1_17partition_subalgoE3EjNS0_10empty_typeEbEEZZNS1_14partition_implILS8_3ELb0ES6_jNS0_17counting_iteratorIjlEEPS9_SE_NS0_5tupleIJPjSE_EEENSF_IJSE_SE_EEES9_SG_JZNS1_25segmented_radix_sort_implINS0_14default_configELb1EPKlPlSM_SN_N2at6native12_GLOBAL__N_18offset_tEEE10hipError_tPvRmT1_PNSt15iterator_traitsISV_E10value_typeET2_T3_PNSW_IS11_E10value_typeET4_jRbjT5_S17_jjP12ihipStream_tbEUljE_EEESS_ST_SU_S11_S15_S17_T6_T7_T9_mT8_S19_bDpT10_ENKUlT_T0_E_clISt17integral_constantIbLb0EES1L_IbLb1EEEEDaS1H_S1I_EUlS1H_E_NS1_11comp_targetILNS1_3genE5ELNS1_11target_archE942ELNS1_3gpuE9ELNS1_3repE0EEENS1_30default_config_static_selectorELNS0_4arch9wavefront6targetE0EEEvSV_,"axG",@progbits,_ZN7rocprim17ROCPRIM_400000_NS6detail17trampoline_kernelINS0_13select_configILj256ELj13ELNS0_17block_load_methodE3ELS4_3ELS4_3ELNS0_20block_scan_algorithmE0ELj4294967295EEENS1_25partition_config_selectorILNS1_17partition_subalgoE3EjNS0_10empty_typeEbEEZZNS1_14partition_implILS8_3ELb0ES6_jNS0_17counting_iteratorIjlEEPS9_SE_NS0_5tupleIJPjSE_EEENSF_IJSE_SE_EEES9_SG_JZNS1_25segmented_radix_sort_implINS0_14default_configELb1EPKlPlSM_SN_N2at6native12_GLOBAL__N_18offset_tEEE10hipError_tPvRmT1_PNSt15iterator_traitsISV_E10value_typeET2_T3_PNSW_IS11_E10value_typeET4_jRbjT5_S17_jjP12ihipStream_tbEUljE_EEESS_ST_SU_S11_S15_S17_T6_T7_T9_mT8_S19_bDpT10_ENKUlT_T0_E_clISt17integral_constantIbLb0EES1L_IbLb1EEEEDaS1H_S1I_EUlS1H_E_NS1_11comp_targetILNS1_3genE5ELNS1_11target_archE942ELNS1_3gpuE9ELNS1_3repE0EEENS1_30default_config_static_selectorELNS0_4arch9wavefront6targetE0EEEvSV_,comdat
	.globl	_ZN7rocprim17ROCPRIM_400000_NS6detail17trampoline_kernelINS0_13select_configILj256ELj13ELNS0_17block_load_methodE3ELS4_3ELS4_3ELNS0_20block_scan_algorithmE0ELj4294967295EEENS1_25partition_config_selectorILNS1_17partition_subalgoE3EjNS0_10empty_typeEbEEZZNS1_14partition_implILS8_3ELb0ES6_jNS0_17counting_iteratorIjlEEPS9_SE_NS0_5tupleIJPjSE_EEENSF_IJSE_SE_EEES9_SG_JZNS1_25segmented_radix_sort_implINS0_14default_configELb1EPKlPlSM_SN_N2at6native12_GLOBAL__N_18offset_tEEE10hipError_tPvRmT1_PNSt15iterator_traitsISV_E10value_typeET2_T3_PNSW_IS11_E10value_typeET4_jRbjT5_S17_jjP12ihipStream_tbEUljE_EEESS_ST_SU_S11_S15_S17_T6_T7_T9_mT8_S19_bDpT10_ENKUlT_T0_E_clISt17integral_constantIbLb0EES1L_IbLb1EEEEDaS1H_S1I_EUlS1H_E_NS1_11comp_targetILNS1_3genE5ELNS1_11target_archE942ELNS1_3gpuE9ELNS1_3repE0EEENS1_30default_config_static_selectorELNS0_4arch9wavefront6targetE0EEEvSV_ ; -- Begin function _ZN7rocprim17ROCPRIM_400000_NS6detail17trampoline_kernelINS0_13select_configILj256ELj13ELNS0_17block_load_methodE3ELS4_3ELS4_3ELNS0_20block_scan_algorithmE0ELj4294967295EEENS1_25partition_config_selectorILNS1_17partition_subalgoE3EjNS0_10empty_typeEbEEZZNS1_14partition_implILS8_3ELb0ES6_jNS0_17counting_iteratorIjlEEPS9_SE_NS0_5tupleIJPjSE_EEENSF_IJSE_SE_EEES9_SG_JZNS1_25segmented_radix_sort_implINS0_14default_configELb1EPKlPlSM_SN_N2at6native12_GLOBAL__N_18offset_tEEE10hipError_tPvRmT1_PNSt15iterator_traitsISV_E10value_typeET2_T3_PNSW_IS11_E10value_typeET4_jRbjT5_S17_jjP12ihipStream_tbEUljE_EEESS_ST_SU_S11_S15_S17_T6_T7_T9_mT8_S19_bDpT10_ENKUlT_T0_E_clISt17integral_constantIbLb0EES1L_IbLb1EEEEDaS1H_S1I_EUlS1H_E_NS1_11comp_targetILNS1_3genE5ELNS1_11target_archE942ELNS1_3gpuE9ELNS1_3repE0EEENS1_30default_config_static_selectorELNS0_4arch9wavefront6targetE0EEEvSV_
	.p2align	8
	.type	_ZN7rocprim17ROCPRIM_400000_NS6detail17trampoline_kernelINS0_13select_configILj256ELj13ELNS0_17block_load_methodE3ELS4_3ELS4_3ELNS0_20block_scan_algorithmE0ELj4294967295EEENS1_25partition_config_selectorILNS1_17partition_subalgoE3EjNS0_10empty_typeEbEEZZNS1_14partition_implILS8_3ELb0ES6_jNS0_17counting_iteratorIjlEEPS9_SE_NS0_5tupleIJPjSE_EEENSF_IJSE_SE_EEES9_SG_JZNS1_25segmented_radix_sort_implINS0_14default_configELb1EPKlPlSM_SN_N2at6native12_GLOBAL__N_18offset_tEEE10hipError_tPvRmT1_PNSt15iterator_traitsISV_E10value_typeET2_T3_PNSW_IS11_E10value_typeET4_jRbjT5_S17_jjP12ihipStream_tbEUljE_EEESS_ST_SU_S11_S15_S17_T6_T7_T9_mT8_S19_bDpT10_ENKUlT_T0_E_clISt17integral_constantIbLb0EES1L_IbLb1EEEEDaS1H_S1I_EUlS1H_E_NS1_11comp_targetILNS1_3genE5ELNS1_11target_archE942ELNS1_3gpuE9ELNS1_3repE0EEENS1_30default_config_static_selectorELNS0_4arch9wavefront6targetE0EEEvSV_,@function
_ZN7rocprim17ROCPRIM_400000_NS6detail17trampoline_kernelINS0_13select_configILj256ELj13ELNS0_17block_load_methodE3ELS4_3ELS4_3ELNS0_20block_scan_algorithmE0ELj4294967295EEENS1_25partition_config_selectorILNS1_17partition_subalgoE3EjNS0_10empty_typeEbEEZZNS1_14partition_implILS8_3ELb0ES6_jNS0_17counting_iteratorIjlEEPS9_SE_NS0_5tupleIJPjSE_EEENSF_IJSE_SE_EEES9_SG_JZNS1_25segmented_radix_sort_implINS0_14default_configELb1EPKlPlSM_SN_N2at6native12_GLOBAL__N_18offset_tEEE10hipError_tPvRmT1_PNSt15iterator_traitsISV_E10value_typeET2_T3_PNSW_IS11_E10value_typeET4_jRbjT5_S17_jjP12ihipStream_tbEUljE_EEESS_ST_SU_S11_S15_S17_T6_T7_T9_mT8_S19_bDpT10_ENKUlT_T0_E_clISt17integral_constantIbLb0EES1L_IbLb1EEEEDaS1H_S1I_EUlS1H_E_NS1_11comp_targetILNS1_3genE5ELNS1_11target_archE942ELNS1_3gpuE9ELNS1_3repE0EEENS1_30default_config_static_selectorELNS0_4arch9wavefront6targetE0EEEvSV_: ; @_ZN7rocprim17ROCPRIM_400000_NS6detail17trampoline_kernelINS0_13select_configILj256ELj13ELNS0_17block_load_methodE3ELS4_3ELS4_3ELNS0_20block_scan_algorithmE0ELj4294967295EEENS1_25partition_config_selectorILNS1_17partition_subalgoE3EjNS0_10empty_typeEbEEZZNS1_14partition_implILS8_3ELb0ES6_jNS0_17counting_iteratorIjlEEPS9_SE_NS0_5tupleIJPjSE_EEENSF_IJSE_SE_EEES9_SG_JZNS1_25segmented_radix_sort_implINS0_14default_configELb1EPKlPlSM_SN_N2at6native12_GLOBAL__N_18offset_tEEE10hipError_tPvRmT1_PNSt15iterator_traitsISV_E10value_typeET2_T3_PNSW_IS11_E10value_typeET4_jRbjT5_S17_jjP12ihipStream_tbEUljE_EEESS_ST_SU_S11_S15_S17_T6_T7_T9_mT8_S19_bDpT10_ENKUlT_T0_E_clISt17integral_constantIbLb0EES1L_IbLb1EEEEDaS1H_S1I_EUlS1H_E_NS1_11comp_targetILNS1_3genE5ELNS1_11target_archE942ELNS1_3gpuE9ELNS1_3repE0EEENS1_30default_config_static_selectorELNS0_4arch9wavefront6targetE0EEEvSV_
; %bb.0:
	.section	.rodata,"a",@progbits
	.p2align	6, 0x0
	.amdhsa_kernel _ZN7rocprim17ROCPRIM_400000_NS6detail17trampoline_kernelINS0_13select_configILj256ELj13ELNS0_17block_load_methodE3ELS4_3ELS4_3ELNS0_20block_scan_algorithmE0ELj4294967295EEENS1_25partition_config_selectorILNS1_17partition_subalgoE3EjNS0_10empty_typeEbEEZZNS1_14partition_implILS8_3ELb0ES6_jNS0_17counting_iteratorIjlEEPS9_SE_NS0_5tupleIJPjSE_EEENSF_IJSE_SE_EEES9_SG_JZNS1_25segmented_radix_sort_implINS0_14default_configELb1EPKlPlSM_SN_N2at6native12_GLOBAL__N_18offset_tEEE10hipError_tPvRmT1_PNSt15iterator_traitsISV_E10value_typeET2_T3_PNSW_IS11_E10value_typeET4_jRbjT5_S17_jjP12ihipStream_tbEUljE_EEESS_ST_SU_S11_S15_S17_T6_T7_T9_mT8_S19_bDpT10_ENKUlT_T0_E_clISt17integral_constantIbLb0EES1L_IbLb1EEEEDaS1H_S1I_EUlS1H_E_NS1_11comp_targetILNS1_3genE5ELNS1_11target_archE942ELNS1_3gpuE9ELNS1_3repE0EEENS1_30default_config_static_selectorELNS0_4arch9wavefront6targetE0EEEvSV_
		.amdhsa_group_segment_fixed_size 0
		.amdhsa_private_segment_fixed_size 0
		.amdhsa_kernarg_size 152
		.amdhsa_user_sgpr_count 2
		.amdhsa_user_sgpr_dispatch_ptr 0
		.amdhsa_user_sgpr_queue_ptr 0
		.amdhsa_user_sgpr_kernarg_segment_ptr 1
		.amdhsa_user_sgpr_dispatch_id 0
		.amdhsa_user_sgpr_private_segment_size 0
		.amdhsa_wavefront_size32 1
		.amdhsa_uses_dynamic_stack 0
		.amdhsa_enable_private_segment 0
		.amdhsa_system_sgpr_workgroup_id_x 1
		.amdhsa_system_sgpr_workgroup_id_y 0
		.amdhsa_system_sgpr_workgroup_id_z 0
		.amdhsa_system_sgpr_workgroup_info 0
		.amdhsa_system_vgpr_workitem_id 0
		.amdhsa_next_free_vgpr 1
		.amdhsa_next_free_sgpr 1
		.amdhsa_reserve_vcc 0
		.amdhsa_float_round_mode_32 0
		.amdhsa_float_round_mode_16_64 0
		.amdhsa_float_denorm_mode_32 3
		.amdhsa_float_denorm_mode_16_64 3
		.amdhsa_fp16_overflow 0
		.amdhsa_workgroup_processor_mode 1
		.amdhsa_memory_ordered 1
		.amdhsa_forward_progress 1
		.amdhsa_inst_pref_size 0
		.amdhsa_round_robin_scheduling 0
		.amdhsa_exception_fp_ieee_invalid_op 0
		.amdhsa_exception_fp_denorm_src 0
		.amdhsa_exception_fp_ieee_div_zero 0
		.amdhsa_exception_fp_ieee_overflow 0
		.amdhsa_exception_fp_ieee_underflow 0
		.amdhsa_exception_fp_ieee_inexact 0
		.amdhsa_exception_int_div_zero 0
	.end_amdhsa_kernel
	.section	.text._ZN7rocprim17ROCPRIM_400000_NS6detail17trampoline_kernelINS0_13select_configILj256ELj13ELNS0_17block_load_methodE3ELS4_3ELS4_3ELNS0_20block_scan_algorithmE0ELj4294967295EEENS1_25partition_config_selectorILNS1_17partition_subalgoE3EjNS0_10empty_typeEbEEZZNS1_14partition_implILS8_3ELb0ES6_jNS0_17counting_iteratorIjlEEPS9_SE_NS0_5tupleIJPjSE_EEENSF_IJSE_SE_EEES9_SG_JZNS1_25segmented_radix_sort_implINS0_14default_configELb1EPKlPlSM_SN_N2at6native12_GLOBAL__N_18offset_tEEE10hipError_tPvRmT1_PNSt15iterator_traitsISV_E10value_typeET2_T3_PNSW_IS11_E10value_typeET4_jRbjT5_S17_jjP12ihipStream_tbEUljE_EEESS_ST_SU_S11_S15_S17_T6_T7_T9_mT8_S19_bDpT10_ENKUlT_T0_E_clISt17integral_constantIbLb0EES1L_IbLb1EEEEDaS1H_S1I_EUlS1H_E_NS1_11comp_targetILNS1_3genE5ELNS1_11target_archE942ELNS1_3gpuE9ELNS1_3repE0EEENS1_30default_config_static_selectorELNS0_4arch9wavefront6targetE0EEEvSV_,"axG",@progbits,_ZN7rocprim17ROCPRIM_400000_NS6detail17trampoline_kernelINS0_13select_configILj256ELj13ELNS0_17block_load_methodE3ELS4_3ELS4_3ELNS0_20block_scan_algorithmE0ELj4294967295EEENS1_25partition_config_selectorILNS1_17partition_subalgoE3EjNS0_10empty_typeEbEEZZNS1_14partition_implILS8_3ELb0ES6_jNS0_17counting_iteratorIjlEEPS9_SE_NS0_5tupleIJPjSE_EEENSF_IJSE_SE_EEES9_SG_JZNS1_25segmented_radix_sort_implINS0_14default_configELb1EPKlPlSM_SN_N2at6native12_GLOBAL__N_18offset_tEEE10hipError_tPvRmT1_PNSt15iterator_traitsISV_E10value_typeET2_T3_PNSW_IS11_E10value_typeET4_jRbjT5_S17_jjP12ihipStream_tbEUljE_EEESS_ST_SU_S11_S15_S17_T6_T7_T9_mT8_S19_bDpT10_ENKUlT_T0_E_clISt17integral_constantIbLb0EES1L_IbLb1EEEEDaS1H_S1I_EUlS1H_E_NS1_11comp_targetILNS1_3genE5ELNS1_11target_archE942ELNS1_3gpuE9ELNS1_3repE0EEENS1_30default_config_static_selectorELNS0_4arch9wavefront6targetE0EEEvSV_,comdat
.Lfunc_end697:
	.size	_ZN7rocprim17ROCPRIM_400000_NS6detail17trampoline_kernelINS0_13select_configILj256ELj13ELNS0_17block_load_methodE3ELS4_3ELS4_3ELNS0_20block_scan_algorithmE0ELj4294967295EEENS1_25partition_config_selectorILNS1_17partition_subalgoE3EjNS0_10empty_typeEbEEZZNS1_14partition_implILS8_3ELb0ES6_jNS0_17counting_iteratorIjlEEPS9_SE_NS0_5tupleIJPjSE_EEENSF_IJSE_SE_EEES9_SG_JZNS1_25segmented_radix_sort_implINS0_14default_configELb1EPKlPlSM_SN_N2at6native12_GLOBAL__N_18offset_tEEE10hipError_tPvRmT1_PNSt15iterator_traitsISV_E10value_typeET2_T3_PNSW_IS11_E10value_typeET4_jRbjT5_S17_jjP12ihipStream_tbEUljE_EEESS_ST_SU_S11_S15_S17_T6_T7_T9_mT8_S19_bDpT10_ENKUlT_T0_E_clISt17integral_constantIbLb0EES1L_IbLb1EEEEDaS1H_S1I_EUlS1H_E_NS1_11comp_targetILNS1_3genE5ELNS1_11target_archE942ELNS1_3gpuE9ELNS1_3repE0EEENS1_30default_config_static_selectorELNS0_4arch9wavefront6targetE0EEEvSV_, .Lfunc_end697-_ZN7rocprim17ROCPRIM_400000_NS6detail17trampoline_kernelINS0_13select_configILj256ELj13ELNS0_17block_load_methodE3ELS4_3ELS4_3ELNS0_20block_scan_algorithmE0ELj4294967295EEENS1_25partition_config_selectorILNS1_17partition_subalgoE3EjNS0_10empty_typeEbEEZZNS1_14partition_implILS8_3ELb0ES6_jNS0_17counting_iteratorIjlEEPS9_SE_NS0_5tupleIJPjSE_EEENSF_IJSE_SE_EEES9_SG_JZNS1_25segmented_radix_sort_implINS0_14default_configELb1EPKlPlSM_SN_N2at6native12_GLOBAL__N_18offset_tEEE10hipError_tPvRmT1_PNSt15iterator_traitsISV_E10value_typeET2_T3_PNSW_IS11_E10value_typeET4_jRbjT5_S17_jjP12ihipStream_tbEUljE_EEESS_ST_SU_S11_S15_S17_T6_T7_T9_mT8_S19_bDpT10_ENKUlT_T0_E_clISt17integral_constantIbLb0EES1L_IbLb1EEEEDaS1H_S1I_EUlS1H_E_NS1_11comp_targetILNS1_3genE5ELNS1_11target_archE942ELNS1_3gpuE9ELNS1_3repE0EEENS1_30default_config_static_selectorELNS0_4arch9wavefront6targetE0EEEvSV_
                                        ; -- End function
	.set _ZN7rocprim17ROCPRIM_400000_NS6detail17trampoline_kernelINS0_13select_configILj256ELj13ELNS0_17block_load_methodE3ELS4_3ELS4_3ELNS0_20block_scan_algorithmE0ELj4294967295EEENS1_25partition_config_selectorILNS1_17partition_subalgoE3EjNS0_10empty_typeEbEEZZNS1_14partition_implILS8_3ELb0ES6_jNS0_17counting_iteratorIjlEEPS9_SE_NS0_5tupleIJPjSE_EEENSF_IJSE_SE_EEES9_SG_JZNS1_25segmented_radix_sort_implINS0_14default_configELb1EPKlPlSM_SN_N2at6native12_GLOBAL__N_18offset_tEEE10hipError_tPvRmT1_PNSt15iterator_traitsISV_E10value_typeET2_T3_PNSW_IS11_E10value_typeET4_jRbjT5_S17_jjP12ihipStream_tbEUljE_EEESS_ST_SU_S11_S15_S17_T6_T7_T9_mT8_S19_bDpT10_ENKUlT_T0_E_clISt17integral_constantIbLb0EES1L_IbLb1EEEEDaS1H_S1I_EUlS1H_E_NS1_11comp_targetILNS1_3genE5ELNS1_11target_archE942ELNS1_3gpuE9ELNS1_3repE0EEENS1_30default_config_static_selectorELNS0_4arch9wavefront6targetE0EEEvSV_.num_vgpr, 0
	.set _ZN7rocprim17ROCPRIM_400000_NS6detail17trampoline_kernelINS0_13select_configILj256ELj13ELNS0_17block_load_methodE3ELS4_3ELS4_3ELNS0_20block_scan_algorithmE0ELj4294967295EEENS1_25partition_config_selectorILNS1_17partition_subalgoE3EjNS0_10empty_typeEbEEZZNS1_14partition_implILS8_3ELb0ES6_jNS0_17counting_iteratorIjlEEPS9_SE_NS0_5tupleIJPjSE_EEENSF_IJSE_SE_EEES9_SG_JZNS1_25segmented_radix_sort_implINS0_14default_configELb1EPKlPlSM_SN_N2at6native12_GLOBAL__N_18offset_tEEE10hipError_tPvRmT1_PNSt15iterator_traitsISV_E10value_typeET2_T3_PNSW_IS11_E10value_typeET4_jRbjT5_S17_jjP12ihipStream_tbEUljE_EEESS_ST_SU_S11_S15_S17_T6_T7_T9_mT8_S19_bDpT10_ENKUlT_T0_E_clISt17integral_constantIbLb0EES1L_IbLb1EEEEDaS1H_S1I_EUlS1H_E_NS1_11comp_targetILNS1_3genE5ELNS1_11target_archE942ELNS1_3gpuE9ELNS1_3repE0EEENS1_30default_config_static_selectorELNS0_4arch9wavefront6targetE0EEEvSV_.num_agpr, 0
	.set _ZN7rocprim17ROCPRIM_400000_NS6detail17trampoline_kernelINS0_13select_configILj256ELj13ELNS0_17block_load_methodE3ELS4_3ELS4_3ELNS0_20block_scan_algorithmE0ELj4294967295EEENS1_25partition_config_selectorILNS1_17partition_subalgoE3EjNS0_10empty_typeEbEEZZNS1_14partition_implILS8_3ELb0ES6_jNS0_17counting_iteratorIjlEEPS9_SE_NS0_5tupleIJPjSE_EEENSF_IJSE_SE_EEES9_SG_JZNS1_25segmented_radix_sort_implINS0_14default_configELb1EPKlPlSM_SN_N2at6native12_GLOBAL__N_18offset_tEEE10hipError_tPvRmT1_PNSt15iterator_traitsISV_E10value_typeET2_T3_PNSW_IS11_E10value_typeET4_jRbjT5_S17_jjP12ihipStream_tbEUljE_EEESS_ST_SU_S11_S15_S17_T6_T7_T9_mT8_S19_bDpT10_ENKUlT_T0_E_clISt17integral_constantIbLb0EES1L_IbLb1EEEEDaS1H_S1I_EUlS1H_E_NS1_11comp_targetILNS1_3genE5ELNS1_11target_archE942ELNS1_3gpuE9ELNS1_3repE0EEENS1_30default_config_static_selectorELNS0_4arch9wavefront6targetE0EEEvSV_.numbered_sgpr, 0
	.set _ZN7rocprim17ROCPRIM_400000_NS6detail17trampoline_kernelINS0_13select_configILj256ELj13ELNS0_17block_load_methodE3ELS4_3ELS4_3ELNS0_20block_scan_algorithmE0ELj4294967295EEENS1_25partition_config_selectorILNS1_17partition_subalgoE3EjNS0_10empty_typeEbEEZZNS1_14partition_implILS8_3ELb0ES6_jNS0_17counting_iteratorIjlEEPS9_SE_NS0_5tupleIJPjSE_EEENSF_IJSE_SE_EEES9_SG_JZNS1_25segmented_radix_sort_implINS0_14default_configELb1EPKlPlSM_SN_N2at6native12_GLOBAL__N_18offset_tEEE10hipError_tPvRmT1_PNSt15iterator_traitsISV_E10value_typeET2_T3_PNSW_IS11_E10value_typeET4_jRbjT5_S17_jjP12ihipStream_tbEUljE_EEESS_ST_SU_S11_S15_S17_T6_T7_T9_mT8_S19_bDpT10_ENKUlT_T0_E_clISt17integral_constantIbLb0EES1L_IbLb1EEEEDaS1H_S1I_EUlS1H_E_NS1_11comp_targetILNS1_3genE5ELNS1_11target_archE942ELNS1_3gpuE9ELNS1_3repE0EEENS1_30default_config_static_selectorELNS0_4arch9wavefront6targetE0EEEvSV_.num_named_barrier, 0
	.set _ZN7rocprim17ROCPRIM_400000_NS6detail17trampoline_kernelINS0_13select_configILj256ELj13ELNS0_17block_load_methodE3ELS4_3ELS4_3ELNS0_20block_scan_algorithmE0ELj4294967295EEENS1_25partition_config_selectorILNS1_17partition_subalgoE3EjNS0_10empty_typeEbEEZZNS1_14partition_implILS8_3ELb0ES6_jNS0_17counting_iteratorIjlEEPS9_SE_NS0_5tupleIJPjSE_EEENSF_IJSE_SE_EEES9_SG_JZNS1_25segmented_radix_sort_implINS0_14default_configELb1EPKlPlSM_SN_N2at6native12_GLOBAL__N_18offset_tEEE10hipError_tPvRmT1_PNSt15iterator_traitsISV_E10value_typeET2_T3_PNSW_IS11_E10value_typeET4_jRbjT5_S17_jjP12ihipStream_tbEUljE_EEESS_ST_SU_S11_S15_S17_T6_T7_T9_mT8_S19_bDpT10_ENKUlT_T0_E_clISt17integral_constantIbLb0EES1L_IbLb1EEEEDaS1H_S1I_EUlS1H_E_NS1_11comp_targetILNS1_3genE5ELNS1_11target_archE942ELNS1_3gpuE9ELNS1_3repE0EEENS1_30default_config_static_selectorELNS0_4arch9wavefront6targetE0EEEvSV_.private_seg_size, 0
	.set _ZN7rocprim17ROCPRIM_400000_NS6detail17trampoline_kernelINS0_13select_configILj256ELj13ELNS0_17block_load_methodE3ELS4_3ELS4_3ELNS0_20block_scan_algorithmE0ELj4294967295EEENS1_25partition_config_selectorILNS1_17partition_subalgoE3EjNS0_10empty_typeEbEEZZNS1_14partition_implILS8_3ELb0ES6_jNS0_17counting_iteratorIjlEEPS9_SE_NS0_5tupleIJPjSE_EEENSF_IJSE_SE_EEES9_SG_JZNS1_25segmented_radix_sort_implINS0_14default_configELb1EPKlPlSM_SN_N2at6native12_GLOBAL__N_18offset_tEEE10hipError_tPvRmT1_PNSt15iterator_traitsISV_E10value_typeET2_T3_PNSW_IS11_E10value_typeET4_jRbjT5_S17_jjP12ihipStream_tbEUljE_EEESS_ST_SU_S11_S15_S17_T6_T7_T9_mT8_S19_bDpT10_ENKUlT_T0_E_clISt17integral_constantIbLb0EES1L_IbLb1EEEEDaS1H_S1I_EUlS1H_E_NS1_11comp_targetILNS1_3genE5ELNS1_11target_archE942ELNS1_3gpuE9ELNS1_3repE0EEENS1_30default_config_static_selectorELNS0_4arch9wavefront6targetE0EEEvSV_.uses_vcc, 0
	.set _ZN7rocprim17ROCPRIM_400000_NS6detail17trampoline_kernelINS0_13select_configILj256ELj13ELNS0_17block_load_methodE3ELS4_3ELS4_3ELNS0_20block_scan_algorithmE0ELj4294967295EEENS1_25partition_config_selectorILNS1_17partition_subalgoE3EjNS0_10empty_typeEbEEZZNS1_14partition_implILS8_3ELb0ES6_jNS0_17counting_iteratorIjlEEPS9_SE_NS0_5tupleIJPjSE_EEENSF_IJSE_SE_EEES9_SG_JZNS1_25segmented_radix_sort_implINS0_14default_configELb1EPKlPlSM_SN_N2at6native12_GLOBAL__N_18offset_tEEE10hipError_tPvRmT1_PNSt15iterator_traitsISV_E10value_typeET2_T3_PNSW_IS11_E10value_typeET4_jRbjT5_S17_jjP12ihipStream_tbEUljE_EEESS_ST_SU_S11_S15_S17_T6_T7_T9_mT8_S19_bDpT10_ENKUlT_T0_E_clISt17integral_constantIbLb0EES1L_IbLb1EEEEDaS1H_S1I_EUlS1H_E_NS1_11comp_targetILNS1_3genE5ELNS1_11target_archE942ELNS1_3gpuE9ELNS1_3repE0EEENS1_30default_config_static_selectorELNS0_4arch9wavefront6targetE0EEEvSV_.uses_flat_scratch, 0
	.set _ZN7rocprim17ROCPRIM_400000_NS6detail17trampoline_kernelINS0_13select_configILj256ELj13ELNS0_17block_load_methodE3ELS4_3ELS4_3ELNS0_20block_scan_algorithmE0ELj4294967295EEENS1_25partition_config_selectorILNS1_17partition_subalgoE3EjNS0_10empty_typeEbEEZZNS1_14partition_implILS8_3ELb0ES6_jNS0_17counting_iteratorIjlEEPS9_SE_NS0_5tupleIJPjSE_EEENSF_IJSE_SE_EEES9_SG_JZNS1_25segmented_radix_sort_implINS0_14default_configELb1EPKlPlSM_SN_N2at6native12_GLOBAL__N_18offset_tEEE10hipError_tPvRmT1_PNSt15iterator_traitsISV_E10value_typeET2_T3_PNSW_IS11_E10value_typeET4_jRbjT5_S17_jjP12ihipStream_tbEUljE_EEESS_ST_SU_S11_S15_S17_T6_T7_T9_mT8_S19_bDpT10_ENKUlT_T0_E_clISt17integral_constantIbLb0EES1L_IbLb1EEEEDaS1H_S1I_EUlS1H_E_NS1_11comp_targetILNS1_3genE5ELNS1_11target_archE942ELNS1_3gpuE9ELNS1_3repE0EEENS1_30default_config_static_selectorELNS0_4arch9wavefront6targetE0EEEvSV_.has_dyn_sized_stack, 0
	.set _ZN7rocprim17ROCPRIM_400000_NS6detail17trampoline_kernelINS0_13select_configILj256ELj13ELNS0_17block_load_methodE3ELS4_3ELS4_3ELNS0_20block_scan_algorithmE0ELj4294967295EEENS1_25partition_config_selectorILNS1_17partition_subalgoE3EjNS0_10empty_typeEbEEZZNS1_14partition_implILS8_3ELb0ES6_jNS0_17counting_iteratorIjlEEPS9_SE_NS0_5tupleIJPjSE_EEENSF_IJSE_SE_EEES9_SG_JZNS1_25segmented_radix_sort_implINS0_14default_configELb1EPKlPlSM_SN_N2at6native12_GLOBAL__N_18offset_tEEE10hipError_tPvRmT1_PNSt15iterator_traitsISV_E10value_typeET2_T3_PNSW_IS11_E10value_typeET4_jRbjT5_S17_jjP12ihipStream_tbEUljE_EEESS_ST_SU_S11_S15_S17_T6_T7_T9_mT8_S19_bDpT10_ENKUlT_T0_E_clISt17integral_constantIbLb0EES1L_IbLb1EEEEDaS1H_S1I_EUlS1H_E_NS1_11comp_targetILNS1_3genE5ELNS1_11target_archE942ELNS1_3gpuE9ELNS1_3repE0EEENS1_30default_config_static_selectorELNS0_4arch9wavefront6targetE0EEEvSV_.has_recursion, 0
	.set _ZN7rocprim17ROCPRIM_400000_NS6detail17trampoline_kernelINS0_13select_configILj256ELj13ELNS0_17block_load_methodE3ELS4_3ELS4_3ELNS0_20block_scan_algorithmE0ELj4294967295EEENS1_25partition_config_selectorILNS1_17partition_subalgoE3EjNS0_10empty_typeEbEEZZNS1_14partition_implILS8_3ELb0ES6_jNS0_17counting_iteratorIjlEEPS9_SE_NS0_5tupleIJPjSE_EEENSF_IJSE_SE_EEES9_SG_JZNS1_25segmented_radix_sort_implINS0_14default_configELb1EPKlPlSM_SN_N2at6native12_GLOBAL__N_18offset_tEEE10hipError_tPvRmT1_PNSt15iterator_traitsISV_E10value_typeET2_T3_PNSW_IS11_E10value_typeET4_jRbjT5_S17_jjP12ihipStream_tbEUljE_EEESS_ST_SU_S11_S15_S17_T6_T7_T9_mT8_S19_bDpT10_ENKUlT_T0_E_clISt17integral_constantIbLb0EES1L_IbLb1EEEEDaS1H_S1I_EUlS1H_E_NS1_11comp_targetILNS1_3genE5ELNS1_11target_archE942ELNS1_3gpuE9ELNS1_3repE0EEENS1_30default_config_static_selectorELNS0_4arch9wavefront6targetE0EEEvSV_.has_indirect_call, 0
	.section	.AMDGPU.csdata,"",@progbits
; Kernel info:
; codeLenInByte = 0
; TotalNumSgprs: 0
; NumVgprs: 0
; ScratchSize: 0
; MemoryBound: 0
; FloatMode: 240
; IeeeMode: 1
; LDSByteSize: 0 bytes/workgroup (compile time only)
; SGPRBlocks: 0
; VGPRBlocks: 0
; NumSGPRsForWavesPerEU: 1
; NumVGPRsForWavesPerEU: 1
; Occupancy: 16
; WaveLimiterHint : 0
; COMPUTE_PGM_RSRC2:SCRATCH_EN: 0
; COMPUTE_PGM_RSRC2:USER_SGPR: 2
; COMPUTE_PGM_RSRC2:TRAP_HANDLER: 0
; COMPUTE_PGM_RSRC2:TGID_X_EN: 1
; COMPUTE_PGM_RSRC2:TGID_Y_EN: 0
; COMPUTE_PGM_RSRC2:TGID_Z_EN: 0
; COMPUTE_PGM_RSRC2:TIDIG_COMP_CNT: 0
	.section	.text._ZN7rocprim17ROCPRIM_400000_NS6detail17trampoline_kernelINS0_13select_configILj256ELj13ELNS0_17block_load_methodE3ELS4_3ELS4_3ELNS0_20block_scan_algorithmE0ELj4294967295EEENS1_25partition_config_selectorILNS1_17partition_subalgoE3EjNS0_10empty_typeEbEEZZNS1_14partition_implILS8_3ELb0ES6_jNS0_17counting_iteratorIjlEEPS9_SE_NS0_5tupleIJPjSE_EEENSF_IJSE_SE_EEES9_SG_JZNS1_25segmented_radix_sort_implINS0_14default_configELb1EPKlPlSM_SN_N2at6native12_GLOBAL__N_18offset_tEEE10hipError_tPvRmT1_PNSt15iterator_traitsISV_E10value_typeET2_T3_PNSW_IS11_E10value_typeET4_jRbjT5_S17_jjP12ihipStream_tbEUljE_EEESS_ST_SU_S11_S15_S17_T6_T7_T9_mT8_S19_bDpT10_ENKUlT_T0_E_clISt17integral_constantIbLb0EES1L_IbLb1EEEEDaS1H_S1I_EUlS1H_E_NS1_11comp_targetILNS1_3genE4ELNS1_11target_archE910ELNS1_3gpuE8ELNS1_3repE0EEENS1_30default_config_static_selectorELNS0_4arch9wavefront6targetE0EEEvSV_,"axG",@progbits,_ZN7rocprim17ROCPRIM_400000_NS6detail17trampoline_kernelINS0_13select_configILj256ELj13ELNS0_17block_load_methodE3ELS4_3ELS4_3ELNS0_20block_scan_algorithmE0ELj4294967295EEENS1_25partition_config_selectorILNS1_17partition_subalgoE3EjNS0_10empty_typeEbEEZZNS1_14partition_implILS8_3ELb0ES6_jNS0_17counting_iteratorIjlEEPS9_SE_NS0_5tupleIJPjSE_EEENSF_IJSE_SE_EEES9_SG_JZNS1_25segmented_radix_sort_implINS0_14default_configELb1EPKlPlSM_SN_N2at6native12_GLOBAL__N_18offset_tEEE10hipError_tPvRmT1_PNSt15iterator_traitsISV_E10value_typeET2_T3_PNSW_IS11_E10value_typeET4_jRbjT5_S17_jjP12ihipStream_tbEUljE_EEESS_ST_SU_S11_S15_S17_T6_T7_T9_mT8_S19_bDpT10_ENKUlT_T0_E_clISt17integral_constantIbLb0EES1L_IbLb1EEEEDaS1H_S1I_EUlS1H_E_NS1_11comp_targetILNS1_3genE4ELNS1_11target_archE910ELNS1_3gpuE8ELNS1_3repE0EEENS1_30default_config_static_selectorELNS0_4arch9wavefront6targetE0EEEvSV_,comdat
	.globl	_ZN7rocprim17ROCPRIM_400000_NS6detail17trampoline_kernelINS0_13select_configILj256ELj13ELNS0_17block_load_methodE3ELS4_3ELS4_3ELNS0_20block_scan_algorithmE0ELj4294967295EEENS1_25partition_config_selectorILNS1_17partition_subalgoE3EjNS0_10empty_typeEbEEZZNS1_14partition_implILS8_3ELb0ES6_jNS0_17counting_iteratorIjlEEPS9_SE_NS0_5tupleIJPjSE_EEENSF_IJSE_SE_EEES9_SG_JZNS1_25segmented_radix_sort_implINS0_14default_configELb1EPKlPlSM_SN_N2at6native12_GLOBAL__N_18offset_tEEE10hipError_tPvRmT1_PNSt15iterator_traitsISV_E10value_typeET2_T3_PNSW_IS11_E10value_typeET4_jRbjT5_S17_jjP12ihipStream_tbEUljE_EEESS_ST_SU_S11_S15_S17_T6_T7_T9_mT8_S19_bDpT10_ENKUlT_T0_E_clISt17integral_constantIbLb0EES1L_IbLb1EEEEDaS1H_S1I_EUlS1H_E_NS1_11comp_targetILNS1_3genE4ELNS1_11target_archE910ELNS1_3gpuE8ELNS1_3repE0EEENS1_30default_config_static_selectorELNS0_4arch9wavefront6targetE0EEEvSV_ ; -- Begin function _ZN7rocprim17ROCPRIM_400000_NS6detail17trampoline_kernelINS0_13select_configILj256ELj13ELNS0_17block_load_methodE3ELS4_3ELS4_3ELNS0_20block_scan_algorithmE0ELj4294967295EEENS1_25partition_config_selectorILNS1_17partition_subalgoE3EjNS0_10empty_typeEbEEZZNS1_14partition_implILS8_3ELb0ES6_jNS0_17counting_iteratorIjlEEPS9_SE_NS0_5tupleIJPjSE_EEENSF_IJSE_SE_EEES9_SG_JZNS1_25segmented_radix_sort_implINS0_14default_configELb1EPKlPlSM_SN_N2at6native12_GLOBAL__N_18offset_tEEE10hipError_tPvRmT1_PNSt15iterator_traitsISV_E10value_typeET2_T3_PNSW_IS11_E10value_typeET4_jRbjT5_S17_jjP12ihipStream_tbEUljE_EEESS_ST_SU_S11_S15_S17_T6_T7_T9_mT8_S19_bDpT10_ENKUlT_T0_E_clISt17integral_constantIbLb0EES1L_IbLb1EEEEDaS1H_S1I_EUlS1H_E_NS1_11comp_targetILNS1_3genE4ELNS1_11target_archE910ELNS1_3gpuE8ELNS1_3repE0EEENS1_30default_config_static_selectorELNS0_4arch9wavefront6targetE0EEEvSV_
	.p2align	8
	.type	_ZN7rocprim17ROCPRIM_400000_NS6detail17trampoline_kernelINS0_13select_configILj256ELj13ELNS0_17block_load_methodE3ELS4_3ELS4_3ELNS0_20block_scan_algorithmE0ELj4294967295EEENS1_25partition_config_selectorILNS1_17partition_subalgoE3EjNS0_10empty_typeEbEEZZNS1_14partition_implILS8_3ELb0ES6_jNS0_17counting_iteratorIjlEEPS9_SE_NS0_5tupleIJPjSE_EEENSF_IJSE_SE_EEES9_SG_JZNS1_25segmented_radix_sort_implINS0_14default_configELb1EPKlPlSM_SN_N2at6native12_GLOBAL__N_18offset_tEEE10hipError_tPvRmT1_PNSt15iterator_traitsISV_E10value_typeET2_T3_PNSW_IS11_E10value_typeET4_jRbjT5_S17_jjP12ihipStream_tbEUljE_EEESS_ST_SU_S11_S15_S17_T6_T7_T9_mT8_S19_bDpT10_ENKUlT_T0_E_clISt17integral_constantIbLb0EES1L_IbLb1EEEEDaS1H_S1I_EUlS1H_E_NS1_11comp_targetILNS1_3genE4ELNS1_11target_archE910ELNS1_3gpuE8ELNS1_3repE0EEENS1_30default_config_static_selectorELNS0_4arch9wavefront6targetE0EEEvSV_,@function
_ZN7rocprim17ROCPRIM_400000_NS6detail17trampoline_kernelINS0_13select_configILj256ELj13ELNS0_17block_load_methodE3ELS4_3ELS4_3ELNS0_20block_scan_algorithmE0ELj4294967295EEENS1_25partition_config_selectorILNS1_17partition_subalgoE3EjNS0_10empty_typeEbEEZZNS1_14partition_implILS8_3ELb0ES6_jNS0_17counting_iteratorIjlEEPS9_SE_NS0_5tupleIJPjSE_EEENSF_IJSE_SE_EEES9_SG_JZNS1_25segmented_radix_sort_implINS0_14default_configELb1EPKlPlSM_SN_N2at6native12_GLOBAL__N_18offset_tEEE10hipError_tPvRmT1_PNSt15iterator_traitsISV_E10value_typeET2_T3_PNSW_IS11_E10value_typeET4_jRbjT5_S17_jjP12ihipStream_tbEUljE_EEESS_ST_SU_S11_S15_S17_T6_T7_T9_mT8_S19_bDpT10_ENKUlT_T0_E_clISt17integral_constantIbLb0EES1L_IbLb1EEEEDaS1H_S1I_EUlS1H_E_NS1_11comp_targetILNS1_3genE4ELNS1_11target_archE910ELNS1_3gpuE8ELNS1_3repE0EEENS1_30default_config_static_selectorELNS0_4arch9wavefront6targetE0EEEvSV_: ; @_ZN7rocprim17ROCPRIM_400000_NS6detail17trampoline_kernelINS0_13select_configILj256ELj13ELNS0_17block_load_methodE3ELS4_3ELS4_3ELNS0_20block_scan_algorithmE0ELj4294967295EEENS1_25partition_config_selectorILNS1_17partition_subalgoE3EjNS0_10empty_typeEbEEZZNS1_14partition_implILS8_3ELb0ES6_jNS0_17counting_iteratorIjlEEPS9_SE_NS0_5tupleIJPjSE_EEENSF_IJSE_SE_EEES9_SG_JZNS1_25segmented_radix_sort_implINS0_14default_configELb1EPKlPlSM_SN_N2at6native12_GLOBAL__N_18offset_tEEE10hipError_tPvRmT1_PNSt15iterator_traitsISV_E10value_typeET2_T3_PNSW_IS11_E10value_typeET4_jRbjT5_S17_jjP12ihipStream_tbEUljE_EEESS_ST_SU_S11_S15_S17_T6_T7_T9_mT8_S19_bDpT10_ENKUlT_T0_E_clISt17integral_constantIbLb0EES1L_IbLb1EEEEDaS1H_S1I_EUlS1H_E_NS1_11comp_targetILNS1_3genE4ELNS1_11target_archE910ELNS1_3gpuE8ELNS1_3repE0EEENS1_30default_config_static_selectorELNS0_4arch9wavefront6targetE0EEEvSV_
; %bb.0:
	.section	.rodata,"a",@progbits
	.p2align	6, 0x0
	.amdhsa_kernel _ZN7rocprim17ROCPRIM_400000_NS6detail17trampoline_kernelINS0_13select_configILj256ELj13ELNS0_17block_load_methodE3ELS4_3ELS4_3ELNS0_20block_scan_algorithmE0ELj4294967295EEENS1_25partition_config_selectorILNS1_17partition_subalgoE3EjNS0_10empty_typeEbEEZZNS1_14partition_implILS8_3ELb0ES6_jNS0_17counting_iteratorIjlEEPS9_SE_NS0_5tupleIJPjSE_EEENSF_IJSE_SE_EEES9_SG_JZNS1_25segmented_radix_sort_implINS0_14default_configELb1EPKlPlSM_SN_N2at6native12_GLOBAL__N_18offset_tEEE10hipError_tPvRmT1_PNSt15iterator_traitsISV_E10value_typeET2_T3_PNSW_IS11_E10value_typeET4_jRbjT5_S17_jjP12ihipStream_tbEUljE_EEESS_ST_SU_S11_S15_S17_T6_T7_T9_mT8_S19_bDpT10_ENKUlT_T0_E_clISt17integral_constantIbLb0EES1L_IbLb1EEEEDaS1H_S1I_EUlS1H_E_NS1_11comp_targetILNS1_3genE4ELNS1_11target_archE910ELNS1_3gpuE8ELNS1_3repE0EEENS1_30default_config_static_selectorELNS0_4arch9wavefront6targetE0EEEvSV_
		.amdhsa_group_segment_fixed_size 0
		.amdhsa_private_segment_fixed_size 0
		.amdhsa_kernarg_size 152
		.amdhsa_user_sgpr_count 2
		.amdhsa_user_sgpr_dispatch_ptr 0
		.amdhsa_user_sgpr_queue_ptr 0
		.amdhsa_user_sgpr_kernarg_segment_ptr 1
		.amdhsa_user_sgpr_dispatch_id 0
		.amdhsa_user_sgpr_private_segment_size 0
		.amdhsa_wavefront_size32 1
		.amdhsa_uses_dynamic_stack 0
		.amdhsa_enable_private_segment 0
		.amdhsa_system_sgpr_workgroup_id_x 1
		.amdhsa_system_sgpr_workgroup_id_y 0
		.amdhsa_system_sgpr_workgroup_id_z 0
		.amdhsa_system_sgpr_workgroup_info 0
		.amdhsa_system_vgpr_workitem_id 0
		.amdhsa_next_free_vgpr 1
		.amdhsa_next_free_sgpr 1
		.amdhsa_reserve_vcc 0
		.amdhsa_float_round_mode_32 0
		.amdhsa_float_round_mode_16_64 0
		.amdhsa_float_denorm_mode_32 3
		.amdhsa_float_denorm_mode_16_64 3
		.amdhsa_fp16_overflow 0
		.amdhsa_workgroup_processor_mode 1
		.amdhsa_memory_ordered 1
		.amdhsa_forward_progress 1
		.amdhsa_inst_pref_size 0
		.amdhsa_round_robin_scheduling 0
		.amdhsa_exception_fp_ieee_invalid_op 0
		.amdhsa_exception_fp_denorm_src 0
		.amdhsa_exception_fp_ieee_div_zero 0
		.amdhsa_exception_fp_ieee_overflow 0
		.amdhsa_exception_fp_ieee_underflow 0
		.amdhsa_exception_fp_ieee_inexact 0
		.amdhsa_exception_int_div_zero 0
	.end_amdhsa_kernel
	.section	.text._ZN7rocprim17ROCPRIM_400000_NS6detail17trampoline_kernelINS0_13select_configILj256ELj13ELNS0_17block_load_methodE3ELS4_3ELS4_3ELNS0_20block_scan_algorithmE0ELj4294967295EEENS1_25partition_config_selectorILNS1_17partition_subalgoE3EjNS0_10empty_typeEbEEZZNS1_14partition_implILS8_3ELb0ES6_jNS0_17counting_iteratorIjlEEPS9_SE_NS0_5tupleIJPjSE_EEENSF_IJSE_SE_EEES9_SG_JZNS1_25segmented_radix_sort_implINS0_14default_configELb1EPKlPlSM_SN_N2at6native12_GLOBAL__N_18offset_tEEE10hipError_tPvRmT1_PNSt15iterator_traitsISV_E10value_typeET2_T3_PNSW_IS11_E10value_typeET4_jRbjT5_S17_jjP12ihipStream_tbEUljE_EEESS_ST_SU_S11_S15_S17_T6_T7_T9_mT8_S19_bDpT10_ENKUlT_T0_E_clISt17integral_constantIbLb0EES1L_IbLb1EEEEDaS1H_S1I_EUlS1H_E_NS1_11comp_targetILNS1_3genE4ELNS1_11target_archE910ELNS1_3gpuE8ELNS1_3repE0EEENS1_30default_config_static_selectorELNS0_4arch9wavefront6targetE0EEEvSV_,"axG",@progbits,_ZN7rocprim17ROCPRIM_400000_NS6detail17trampoline_kernelINS0_13select_configILj256ELj13ELNS0_17block_load_methodE3ELS4_3ELS4_3ELNS0_20block_scan_algorithmE0ELj4294967295EEENS1_25partition_config_selectorILNS1_17partition_subalgoE3EjNS0_10empty_typeEbEEZZNS1_14partition_implILS8_3ELb0ES6_jNS0_17counting_iteratorIjlEEPS9_SE_NS0_5tupleIJPjSE_EEENSF_IJSE_SE_EEES9_SG_JZNS1_25segmented_radix_sort_implINS0_14default_configELb1EPKlPlSM_SN_N2at6native12_GLOBAL__N_18offset_tEEE10hipError_tPvRmT1_PNSt15iterator_traitsISV_E10value_typeET2_T3_PNSW_IS11_E10value_typeET4_jRbjT5_S17_jjP12ihipStream_tbEUljE_EEESS_ST_SU_S11_S15_S17_T6_T7_T9_mT8_S19_bDpT10_ENKUlT_T0_E_clISt17integral_constantIbLb0EES1L_IbLb1EEEEDaS1H_S1I_EUlS1H_E_NS1_11comp_targetILNS1_3genE4ELNS1_11target_archE910ELNS1_3gpuE8ELNS1_3repE0EEENS1_30default_config_static_selectorELNS0_4arch9wavefront6targetE0EEEvSV_,comdat
.Lfunc_end698:
	.size	_ZN7rocprim17ROCPRIM_400000_NS6detail17trampoline_kernelINS0_13select_configILj256ELj13ELNS0_17block_load_methodE3ELS4_3ELS4_3ELNS0_20block_scan_algorithmE0ELj4294967295EEENS1_25partition_config_selectorILNS1_17partition_subalgoE3EjNS0_10empty_typeEbEEZZNS1_14partition_implILS8_3ELb0ES6_jNS0_17counting_iteratorIjlEEPS9_SE_NS0_5tupleIJPjSE_EEENSF_IJSE_SE_EEES9_SG_JZNS1_25segmented_radix_sort_implINS0_14default_configELb1EPKlPlSM_SN_N2at6native12_GLOBAL__N_18offset_tEEE10hipError_tPvRmT1_PNSt15iterator_traitsISV_E10value_typeET2_T3_PNSW_IS11_E10value_typeET4_jRbjT5_S17_jjP12ihipStream_tbEUljE_EEESS_ST_SU_S11_S15_S17_T6_T7_T9_mT8_S19_bDpT10_ENKUlT_T0_E_clISt17integral_constantIbLb0EES1L_IbLb1EEEEDaS1H_S1I_EUlS1H_E_NS1_11comp_targetILNS1_3genE4ELNS1_11target_archE910ELNS1_3gpuE8ELNS1_3repE0EEENS1_30default_config_static_selectorELNS0_4arch9wavefront6targetE0EEEvSV_, .Lfunc_end698-_ZN7rocprim17ROCPRIM_400000_NS6detail17trampoline_kernelINS0_13select_configILj256ELj13ELNS0_17block_load_methodE3ELS4_3ELS4_3ELNS0_20block_scan_algorithmE0ELj4294967295EEENS1_25partition_config_selectorILNS1_17partition_subalgoE3EjNS0_10empty_typeEbEEZZNS1_14partition_implILS8_3ELb0ES6_jNS0_17counting_iteratorIjlEEPS9_SE_NS0_5tupleIJPjSE_EEENSF_IJSE_SE_EEES9_SG_JZNS1_25segmented_radix_sort_implINS0_14default_configELb1EPKlPlSM_SN_N2at6native12_GLOBAL__N_18offset_tEEE10hipError_tPvRmT1_PNSt15iterator_traitsISV_E10value_typeET2_T3_PNSW_IS11_E10value_typeET4_jRbjT5_S17_jjP12ihipStream_tbEUljE_EEESS_ST_SU_S11_S15_S17_T6_T7_T9_mT8_S19_bDpT10_ENKUlT_T0_E_clISt17integral_constantIbLb0EES1L_IbLb1EEEEDaS1H_S1I_EUlS1H_E_NS1_11comp_targetILNS1_3genE4ELNS1_11target_archE910ELNS1_3gpuE8ELNS1_3repE0EEENS1_30default_config_static_selectorELNS0_4arch9wavefront6targetE0EEEvSV_
                                        ; -- End function
	.set _ZN7rocprim17ROCPRIM_400000_NS6detail17trampoline_kernelINS0_13select_configILj256ELj13ELNS0_17block_load_methodE3ELS4_3ELS4_3ELNS0_20block_scan_algorithmE0ELj4294967295EEENS1_25partition_config_selectorILNS1_17partition_subalgoE3EjNS0_10empty_typeEbEEZZNS1_14partition_implILS8_3ELb0ES6_jNS0_17counting_iteratorIjlEEPS9_SE_NS0_5tupleIJPjSE_EEENSF_IJSE_SE_EEES9_SG_JZNS1_25segmented_radix_sort_implINS0_14default_configELb1EPKlPlSM_SN_N2at6native12_GLOBAL__N_18offset_tEEE10hipError_tPvRmT1_PNSt15iterator_traitsISV_E10value_typeET2_T3_PNSW_IS11_E10value_typeET4_jRbjT5_S17_jjP12ihipStream_tbEUljE_EEESS_ST_SU_S11_S15_S17_T6_T7_T9_mT8_S19_bDpT10_ENKUlT_T0_E_clISt17integral_constantIbLb0EES1L_IbLb1EEEEDaS1H_S1I_EUlS1H_E_NS1_11comp_targetILNS1_3genE4ELNS1_11target_archE910ELNS1_3gpuE8ELNS1_3repE0EEENS1_30default_config_static_selectorELNS0_4arch9wavefront6targetE0EEEvSV_.num_vgpr, 0
	.set _ZN7rocprim17ROCPRIM_400000_NS6detail17trampoline_kernelINS0_13select_configILj256ELj13ELNS0_17block_load_methodE3ELS4_3ELS4_3ELNS0_20block_scan_algorithmE0ELj4294967295EEENS1_25partition_config_selectorILNS1_17partition_subalgoE3EjNS0_10empty_typeEbEEZZNS1_14partition_implILS8_3ELb0ES6_jNS0_17counting_iteratorIjlEEPS9_SE_NS0_5tupleIJPjSE_EEENSF_IJSE_SE_EEES9_SG_JZNS1_25segmented_radix_sort_implINS0_14default_configELb1EPKlPlSM_SN_N2at6native12_GLOBAL__N_18offset_tEEE10hipError_tPvRmT1_PNSt15iterator_traitsISV_E10value_typeET2_T3_PNSW_IS11_E10value_typeET4_jRbjT5_S17_jjP12ihipStream_tbEUljE_EEESS_ST_SU_S11_S15_S17_T6_T7_T9_mT8_S19_bDpT10_ENKUlT_T0_E_clISt17integral_constantIbLb0EES1L_IbLb1EEEEDaS1H_S1I_EUlS1H_E_NS1_11comp_targetILNS1_3genE4ELNS1_11target_archE910ELNS1_3gpuE8ELNS1_3repE0EEENS1_30default_config_static_selectorELNS0_4arch9wavefront6targetE0EEEvSV_.num_agpr, 0
	.set _ZN7rocprim17ROCPRIM_400000_NS6detail17trampoline_kernelINS0_13select_configILj256ELj13ELNS0_17block_load_methodE3ELS4_3ELS4_3ELNS0_20block_scan_algorithmE0ELj4294967295EEENS1_25partition_config_selectorILNS1_17partition_subalgoE3EjNS0_10empty_typeEbEEZZNS1_14partition_implILS8_3ELb0ES6_jNS0_17counting_iteratorIjlEEPS9_SE_NS0_5tupleIJPjSE_EEENSF_IJSE_SE_EEES9_SG_JZNS1_25segmented_radix_sort_implINS0_14default_configELb1EPKlPlSM_SN_N2at6native12_GLOBAL__N_18offset_tEEE10hipError_tPvRmT1_PNSt15iterator_traitsISV_E10value_typeET2_T3_PNSW_IS11_E10value_typeET4_jRbjT5_S17_jjP12ihipStream_tbEUljE_EEESS_ST_SU_S11_S15_S17_T6_T7_T9_mT8_S19_bDpT10_ENKUlT_T0_E_clISt17integral_constantIbLb0EES1L_IbLb1EEEEDaS1H_S1I_EUlS1H_E_NS1_11comp_targetILNS1_3genE4ELNS1_11target_archE910ELNS1_3gpuE8ELNS1_3repE0EEENS1_30default_config_static_selectorELNS0_4arch9wavefront6targetE0EEEvSV_.numbered_sgpr, 0
	.set _ZN7rocprim17ROCPRIM_400000_NS6detail17trampoline_kernelINS0_13select_configILj256ELj13ELNS0_17block_load_methodE3ELS4_3ELS4_3ELNS0_20block_scan_algorithmE0ELj4294967295EEENS1_25partition_config_selectorILNS1_17partition_subalgoE3EjNS0_10empty_typeEbEEZZNS1_14partition_implILS8_3ELb0ES6_jNS0_17counting_iteratorIjlEEPS9_SE_NS0_5tupleIJPjSE_EEENSF_IJSE_SE_EEES9_SG_JZNS1_25segmented_radix_sort_implINS0_14default_configELb1EPKlPlSM_SN_N2at6native12_GLOBAL__N_18offset_tEEE10hipError_tPvRmT1_PNSt15iterator_traitsISV_E10value_typeET2_T3_PNSW_IS11_E10value_typeET4_jRbjT5_S17_jjP12ihipStream_tbEUljE_EEESS_ST_SU_S11_S15_S17_T6_T7_T9_mT8_S19_bDpT10_ENKUlT_T0_E_clISt17integral_constantIbLb0EES1L_IbLb1EEEEDaS1H_S1I_EUlS1H_E_NS1_11comp_targetILNS1_3genE4ELNS1_11target_archE910ELNS1_3gpuE8ELNS1_3repE0EEENS1_30default_config_static_selectorELNS0_4arch9wavefront6targetE0EEEvSV_.num_named_barrier, 0
	.set _ZN7rocprim17ROCPRIM_400000_NS6detail17trampoline_kernelINS0_13select_configILj256ELj13ELNS0_17block_load_methodE3ELS4_3ELS4_3ELNS0_20block_scan_algorithmE0ELj4294967295EEENS1_25partition_config_selectorILNS1_17partition_subalgoE3EjNS0_10empty_typeEbEEZZNS1_14partition_implILS8_3ELb0ES6_jNS0_17counting_iteratorIjlEEPS9_SE_NS0_5tupleIJPjSE_EEENSF_IJSE_SE_EEES9_SG_JZNS1_25segmented_radix_sort_implINS0_14default_configELb1EPKlPlSM_SN_N2at6native12_GLOBAL__N_18offset_tEEE10hipError_tPvRmT1_PNSt15iterator_traitsISV_E10value_typeET2_T3_PNSW_IS11_E10value_typeET4_jRbjT5_S17_jjP12ihipStream_tbEUljE_EEESS_ST_SU_S11_S15_S17_T6_T7_T9_mT8_S19_bDpT10_ENKUlT_T0_E_clISt17integral_constantIbLb0EES1L_IbLb1EEEEDaS1H_S1I_EUlS1H_E_NS1_11comp_targetILNS1_3genE4ELNS1_11target_archE910ELNS1_3gpuE8ELNS1_3repE0EEENS1_30default_config_static_selectorELNS0_4arch9wavefront6targetE0EEEvSV_.private_seg_size, 0
	.set _ZN7rocprim17ROCPRIM_400000_NS6detail17trampoline_kernelINS0_13select_configILj256ELj13ELNS0_17block_load_methodE3ELS4_3ELS4_3ELNS0_20block_scan_algorithmE0ELj4294967295EEENS1_25partition_config_selectorILNS1_17partition_subalgoE3EjNS0_10empty_typeEbEEZZNS1_14partition_implILS8_3ELb0ES6_jNS0_17counting_iteratorIjlEEPS9_SE_NS0_5tupleIJPjSE_EEENSF_IJSE_SE_EEES9_SG_JZNS1_25segmented_radix_sort_implINS0_14default_configELb1EPKlPlSM_SN_N2at6native12_GLOBAL__N_18offset_tEEE10hipError_tPvRmT1_PNSt15iterator_traitsISV_E10value_typeET2_T3_PNSW_IS11_E10value_typeET4_jRbjT5_S17_jjP12ihipStream_tbEUljE_EEESS_ST_SU_S11_S15_S17_T6_T7_T9_mT8_S19_bDpT10_ENKUlT_T0_E_clISt17integral_constantIbLb0EES1L_IbLb1EEEEDaS1H_S1I_EUlS1H_E_NS1_11comp_targetILNS1_3genE4ELNS1_11target_archE910ELNS1_3gpuE8ELNS1_3repE0EEENS1_30default_config_static_selectorELNS0_4arch9wavefront6targetE0EEEvSV_.uses_vcc, 0
	.set _ZN7rocprim17ROCPRIM_400000_NS6detail17trampoline_kernelINS0_13select_configILj256ELj13ELNS0_17block_load_methodE3ELS4_3ELS4_3ELNS0_20block_scan_algorithmE0ELj4294967295EEENS1_25partition_config_selectorILNS1_17partition_subalgoE3EjNS0_10empty_typeEbEEZZNS1_14partition_implILS8_3ELb0ES6_jNS0_17counting_iteratorIjlEEPS9_SE_NS0_5tupleIJPjSE_EEENSF_IJSE_SE_EEES9_SG_JZNS1_25segmented_radix_sort_implINS0_14default_configELb1EPKlPlSM_SN_N2at6native12_GLOBAL__N_18offset_tEEE10hipError_tPvRmT1_PNSt15iterator_traitsISV_E10value_typeET2_T3_PNSW_IS11_E10value_typeET4_jRbjT5_S17_jjP12ihipStream_tbEUljE_EEESS_ST_SU_S11_S15_S17_T6_T7_T9_mT8_S19_bDpT10_ENKUlT_T0_E_clISt17integral_constantIbLb0EES1L_IbLb1EEEEDaS1H_S1I_EUlS1H_E_NS1_11comp_targetILNS1_3genE4ELNS1_11target_archE910ELNS1_3gpuE8ELNS1_3repE0EEENS1_30default_config_static_selectorELNS0_4arch9wavefront6targetE0EEEvSV_.uses_flat_scratch, 0
	.set _ZN7rocprim17ROCPRIM_400000_NS6detail17trampoline_kernelINS0_13select_configILj256ELj13ELNS0_17block_load_methodE3ELS4_3ELS4_3ELNS0_20block_scan_algorithmE0ELj4294967295EEENS1_25partition_config_selectorILNS1_17partition_subalgoE3EjNS0_10empty_typeEbEEZZNS1_14partition_implILS8_3ELb0ES6_jNS0_17counting_iteratorIjlEEPS9_SE_NS0_5tupleIJPjSE_EEENSF_IJSE_SE_EEES9_SG_JZNS1_25segmented_radix_sort_implINS0_14default_configELb1EPKlPlSM_SN_N2at6native12_GLOBAL__N_18offset_tEEE10hipError_tPvRmT1_PNSt15iterator_traitsISV_E10value_typeET2_T3_PNSW_IS11_E10value_typeET4_jRbjT5_S17_jjP12ihipStream_tbEUljE_EEESS_ST_SU_S11_S15_S17_T6_T7_T9_mT8_S19_bDpT10_ENKUlT_T0_E_clISt17integral_constantIbLb0EES1L_IbLb1EEEEDaS1H_S1I_EUlS1H_E_NS1_11comp_targetILNS1_3genE4ELNS1_11target_archE910ELNS1_3gpuE8ELNS1_3repE0EEENS1_30default_config_static_selectorELNS0_4arch9wavefront6targetE0EEEvSV_.has_dyn_sized_stack, 0
	.set _ZN7rocprim17ROCPRIM_400000_NS6detail17trampoline_kernelINS0_13select_configILj256ELj13ELNS0_17block_load_methodE3ELS4_3ELS4_3ELNS0_20block_scan_algorithmE0ELj4294967295EEENS1_25partition_config_selectorILNS1_17partition_subalgoE3EjNS0_10empty_typeEbEEZZNS1_14partition_implILS8_3ELb0ES6_jNS0_17counting_iteratorIjlEEPS9_SE_NS0_5tupleIJPjSE_EEENSF_IJSE_SE_EEES9_SG_JZNS1_25segmented_radix_sort_implINS0_14default_configELb1EPKlPlSM_SN_N2at6native12_GLOBAL__N_18offset_tEEE10hipError_tPvRmT1_PNSt15iterator_traitsISV_E10value_typeET2_T3_PNSW_IS11_E10value_typeET4_jRbjT5_S17_jjP12ihipStream_tbEUljE_EEESS_ST_SU_S11_S15_S17_T6_T7_T9_mT8_S19_bDpT10_ENKUlT_T0_E_clISt17integral_constantIbLb0EES1L_IbLb1EEEEDaS1H_S1I_EUlS1H_E_NS1_11comp_targetILNS1_3genE4ELNS1_11target_archE910ELNS1_3gpuE8ELNS1_3repE0EEENS1_30default_config_static_selectorELNS0_4arch9wavefront6targetE0EEEvSV_.has_recursion, 0
	.set _ZN7rocprim17ROCPRIM_400000_NS6detail17trampoline_kernelINS0_13select_configILj256ELj13ELNS0_17block_load_methodE3ELS4_3ELS4_3ELNS0_20block_scan_algorithmE0ELj4294967295EEENS1_25partition_config_selectorILNS1_17partition_subalgoE3EjNS0_10empty_typeEbEEZZNS1_14partition_implILS8_3ELb0ES6_jNS0_17counting_iteratorIjlEEPS9_SE_NS0_5tupleIJPjSE_EEENSF_IJSE_SE_EEES9_SG_JZNS1_25segmented_radix_sort_implINS0_14default_configELb1EPKlPlSM_SN_N2at6native12_GLOBAL__N_18offset_tEEE10hipError_tPvRmT1_PNSt15iterator_traitsISV_E10value_typeET2_T3_PNSW_IS11_E10value_typeET4_jRbjT5_S17_jjP12ihipStream_tbEUljE_EEESS_ST_SU_S11_S15_S17_T6_T7_T9_mT8_S19_bDpT10_ENKUlT_T0_E_clISt17integral_constantIbLb0EES1L_IbLb1EEEEDaS1H_S1I_EUlS1H_E_NS1_11comp_targetILNS1_3genE4ELNS1_11target_archE910ELNS1_3gpuE8ELNS1_3repE0EEENS1_30default_config_static_selectorELNS0_4arch9wavefront6targetE0EEEvSV_.has_indirect_call, 0
	.section	.AMDGPU.csdata,"",@progbits
; Kernel info:
; codeLenInByte = 0
; TotalNumSgprs: 0
; NumVgprs: 0
; ScratchSize: 0
; MemoryBound: 0
; FloatMode: 240
; IeeeMode: 1
; LDSByteSize: 0 bytes/workgroup (compile time only)
; SGPRBlocks: 0
; VGPRBlocks: 0
; NumSGPRsForWavesPerEU: 1
; NumVGPRsForWavesPerEU: 1
; Occupancy: 16
; WaveLimiterHint : 0
; COMPUTE_PGM_RSRC2:SCRATCH_EN: 0
; COMPUTE_PGM_RSRC2:USER_SGPR: 2
; COMPUTE_PGM_RSRC2:TRAP_HANDLER: 0
; COMPUTE_PGM_RSRC2:TGID_X_EN: 1
; COMPUTE_PGM_RSRC2:TGID_Y_EN: 0
; COMPUTE_PGM_RSRC2:TGID_Z_EN: 0
; COMPUTE_PGM_RSRC2:TIDIG_COMP_CNT: 0
	.section	.text._ZN7rocprim17ROCPRIM_400000_NS6detail17trampoline_kernelINS0_13select_configILj256ELj13ELNS0_17block_load_methodE3ELS4_3ELS4_3ELNS0_20block_scan_algorithmE0ELj4294967295EEENS1_25partition_config_selectorILNS1_17partition_subalgoE3EjNS0_10empty_typeEbEEZZNS1_14partition_implILS8_3ELb0ES6_jNS0_17counting_iteratorIjlEEPS9_SE_NS0_5tupleIJPjSE_EEENSF_IJSE_SE_EEES9_SG_JZNS1_25segmented_radix_sort_implINS0_14default_configELb1EPKlPlSM_SN_N2at6native12_GLOBAL__N_18offset_tEEE10hipError_tPvRmT1_PNSt15iterator_traitsISV_E10value_typeET2_T3_PNSW_IS11_E10value_typeET4_jRbjT5_S17_jjP12ihipStream_tbEUljE_EEESS_ST_SU_S11_S15_S17_T6_T7_T9_mT8_S19_bDpT10_ENKUlT_T0_E_clISt17integral_constantIbLb0EES1L_IbLb1EEEEDaS1H_S1I_EUlS1H_E_NS1_11comp_targetILNS1_3genE3ELNS1_11target_archE908ELNS1_3gpuE7ELNS1_3repE0EEENS1_30default_config_static_selectorELNS0_4arch9wavefront6targetE0EEEvSV_,"axG",@progbits,_ZN7rocprim17ROCPRIM_400000_NS6detail17trampoline_kernelINS0_13select_configILj256ELj13ELNS0_17block_load_methodE3ELS4_3ELS4_3ELNS0_20block_scan_algorithmE0ELj4294967295EEENS1_25partition_config_selectorILNS1_17partition_subalgoE3EjNS0_10empty_typeEbEEZZNS1_14partition_implILS8_3ELb0ES6_jNS0_17counting_iteratorIjlEEPS9_SE_NS0_5tupleIJPjSE_EEENSF_IJSE_SE_EEES9_SG_JZNS1_25segmented_radix_sort_implINS0_14default_configELb1EPKlPlSM_SN_N2at6native12_GLOBAL__N_18offset_tEEE10hipError_tPvRmT1_PNSt15iterator_traitsISV_E10value_typeET2_T3_PNSW_IS11_E10value_typeET4_jRbjT5_S17_jjP12ihipStream_tbEUljE_EEESS_ST_SU_S11_S15_S17_T6_T7_T9_mT8_S19_bDpT10_ENKUlT_T0_E_clISt17integral_constantIbLb0EES1L_IbLb1EEEEDaS1H_S1I_EUlS1H_E_NS1_11comp_targetILNS1_3genE3ELNS1_11target_archE908ELNS1_3gpuE7ELNS1_3repE0EEENS1_30default_config_static_selectorELNS0_4arch9wavefront6targetE0EEEvSV_,comdat
	.globl	_ZN7rocprim17ROCPRIM_400000_NS6detail17trampoline_kernelINS0_13select_configILj256ELj13ELNS0_17block_load_methodE3ELS4_3ELS4_3ELNS0_20block_scan_algorithmE0ELj4294967295EEENS1_25partition_config_selectorILNS1_17partition_subalgoE3EjNS0_10empty_typeEbEEZZNS1_14partition_implILS8_3ELb0ES6_jNS0_17counting_iteratorIjlEEPS9_SE_NS0_5tupleIJPjSE_EEENSF_IJSE_SE_EEES9_SG_JZNS1_25segmented_radix_sort_implINS0_14default_configELb1EPKlPlSM_SN_N2at6native12_GLOBAL__N_18offset_tEEE10hipError_tPvRmT1_PNSt15iterator_traitsISV_E10value_typeET2_T3_PNSW_IS11_E10value_typeET4_jRbjT5_S17_jjP12ihipStream_tbEUljE_EEESS_ST_SU_S11_S15_S17_T6_T7_T9_mT8_S19_bDpT10_ENKUlT_T0_E_clISt17integral_constantIbLb0EES1L_IbLb1EEEEDaS1H_S1I_EUlS1H_E_NS1_11comp_targetILNS1_3genE3ELNS1_11target_archE908ELNS1_3gpuE7ELNS1_3repE0EEENS1_30default_config_static_selectorELNS0_4arch9wavefront6targetE0EEEvSV_ ; -- Begin function _ZN7rocprim17ROCPRIM_400000_NS6detail17trampoline_kernelINS0_13select_configILj256ELj13ELNS0_17block_load_methodE3ELS4_3ELS4_3ELNS0_20block_scan_algorithmE0ELj4294967295EEENS1_25partition_config_selectorILNS1_17partition_subalgoE3EjNS0_10empty_typeEbEEZZNS1_14partition_implILS8_3ELb0ES6_jNS0_17counting_iteratorIjlEEPS9_SE_NS0_5tupleIJPjSE_EEENSF_IJSE_SE_EEES9_SG_JZNS1_25segmented_radix_sort_implINS0_14default_configELb1EPKlPlSM_SN_N2at6native12_GLOBAL__N_18offset_tEEE10hipError_tPvRmT1_PNSt15iterator_traitsISV_E10value_typeET2_T3_PNSW_IS11_E10value_typeET4_jRbjT5_S17_jjP12ihipStream_tbEUljE_EEESS_ST_SU_S11_S15_S17_T6_T7_T9_mT8_S19_bDpT10_ENKUlT_T0_E_clISt17integral_constantIbLb0EES1L_IbLb1EEEEDaS1H_S1I_EUlS1H_E_NS1_11comp_targetILNS1_3genE3ELNS1_11target_archE908ELNS1_3gpuE7ELNS1_3repE0EEENS1_30default_config_static_selectorELNS0_4arch9wavefront6targetE0EEEvSV_
	.p2align	8
	.type	_ZN7rocprim17ROCPRIM_400000_NS6detail17trampoline_kernelINS0_13select_configILj256ELj13ELNS0_17block_load_methodE3ELS4_3ELS4_3ELNS0_20block_scan_algorithmE0ELj4294967295EEENS1_25partition_config_selectorILNS1_17partition_subalgoE3EjNS0_10empty_typeEbEEZZNS1_14partition_implILS8_3ELb0ES6_jNS0_17counting_iteratorIjlEEPS9_SE_NS0_5tupleIJPjSE_EEENSF_IJSE_SE_EEES9_SG_JZNS1_25segmented_radix_sort_implINS0_14default_configELb1EPKlPlSM_SN_N2at6native12_GLOBAL__N_18offset_tEEE10hipError_tPvRmT1_PNSt15iterator_traitsISV_E10value_typeET2_T3_PNSW_IS11_E10value_typeET4_jRbjT5_S17_jjP12ihipStream_tbEUljE_EEESS_ST_SU_S11_S15_S17_T6_T7_T9_mT8_S19_bDpT10_ENKUlT_T0_E_clISt17integral_constantIbLb0EES1L_IbLb1EEEEDaS1H_S1I_EUlS1H_E_NS1_11comp_targetILNS1_3genE3ELNS1_11target_archE908ELNS1_3gpuE7ELNS1_3repE0EEENS1_30default_config_static_selectorELNS0_4arch9wavefront6targetE0EEEvSV_,@function
_ZN7rocprim17ROCPRIM_400000_NS6detail17trampoline_kernelINS0_13select_configILj256ELj13ELNS0_17block_load_methodE3ELS4_3ELS4_3ELNS0_20block_scan_algorithmE0ELj4294967295EEENS1_25partition_config_selectorILNS1_17partition_subalgoE3EjNS0_10empty_typeEbEEZZNS1_14partition_implILS8_3ELb0ES6_jNS0_17counting_iteratorIjlEEPS9_SE_NS0_5tupleIJPjSE_EEENSF_IJSE_SE_EEES9_SG_JZNS1_25segmented_radix_sort_implINS0_14default_configELb1EPKlPlSM_SN_N2at6native12_GLOBAL__N_18offset_tEEE10hipError_tPvRmT1_PNSt15iterator_traitsISV_E10value_typeET2_T3_PNSW_IS11_E10value_typeET4_jRbjT5_S17_jjP12ihipStream_tbEUljE_EEESS_ST_SU_S11_S15_S17_T6_T7_T9_mT8_S19_bDpT10_ENKUlT_T0_E_clISt17integral_constantIbLb0EES1L_IbLb1EEEEDaS1H_S1I_EUlS1H_E_NS1_11comp_targetILNS1_3genE3ELNS1_11target_archE908ELNS1_3gpuE7ELNS1_3repE0EEENS1_30default_config_static_selectorELNS0_4arch9wavefront6targetE0EEEvSV_: ; @_ZN7rocprim17ROCPRIM_400000_NS6detail17trampoline_kernelINS0_13select_configILj256ELj13ELNS0_17block_load_methodE3ELS4_3ELS4_3ELNS0_20block_scan_algorithmE0ELj4294967295EEENS1_25partition_config_selectorILNS1_17partition_subalgoE3EjNS0_10empty_typeEbEEZZNS1_14partition_implILS8_3ELb0ES6_jNS0_17counting_iteratorIjlEEPS9_SE_NS0_5tupleIJPjSE_EEENSF_IJSE_SE_EEES9_SG_JZNS1_25segmented_radix_sort_implINS0_14default_configELb1EPKlPlSM_SN_N2at6native12_GLOBAL__N_18offset_tEEE10hipError_tPvRmT1_PNSt15iterator_traitsISV_E10value_typeET2_T3_PNSW_IS11_E10value_typeET4_jRbjT5_S17_jjP12ihipStream_tbEUljE_EEESS_ST_SU_S11_S15_S17_T6_T7_T9_mT8_S19_bDpT10_ENKUlT_T0_E_clISt17integral_constantIbLb0EES1L_IbLb1EEEEDaS1H_S1I_EUlS1H_E_NS1_11comp_targetILNS1_3genE3ELNS1_11target_archE908ELNS1_3gpuE7ELNS1_3repE0EEENS1_30default_config_static_selectorELNS0_4arch9wavefront6targetE0EEEvSV_
; %bb.0:
	.section	.rodata,"a",@progbits
	.p2align	6, 0x0
	.amdhsa_kernel _ZN7rocprim17ROCPRIM_400000_NS6detail17trampoline_kernelINS0_13select_configILj256ELj13ELNS0_17block_load_methodE3ELS4_3ELS4_3ELNS0_20block_scan_algorithmE0ELj4294967295EEENS1_25partition_config_selectorILNS1_17partition_subalgoE3EjNS0_10empty_typeEbEEZZNS1_14partition_implILS8_3ELb0ES6_jNS0_17counting_iteratorIjlEEPS9_SE_NS0_5tupleIJPjSE_EEENSF_IJSE_SE_EEES9_SG_JZNS1_25segmented_radix_sort_implINS0_14default_configELb1EPKlPlSM_SN_N2at6native12_GLOBAL__N_18offset_tEEE10hipError_tPvRmT1_PNSt15iterator_traitsISV_E10value_typeET2_T3_PNSW_IS11_E10value_typeET4_jRbjT5_S17_jjP12ihipStream_tbEUljE_EEESS_ST_SU_S11_S15_S17_T6_T7_T9_mT8_S19_bDpT10_ENKUlT_T0_E_clISt17integral_constantIbLb0EES1L_IbLb1EEEEDaS1H_S1I_EUlS1H_E_NS1_11comp_targetILNS1_3genE3ELNS1_11target_archE908ELNS1_3gpuE7ELNS1_3repE0EEENS1_30default_config_static_selectorELNS0_4arch9wavefront6targetE0EEEvSV_
		.amdhsa_group_segment_fixed_size 0
		.amdhsa_private_segment_fixed_size 0
		.amdhsa_kernarg_size 152
		.amdhsa_user_sgpr_count 2
		.amdhsa_user_sgpr_dispatch_ptr 0
		.amdhsa_user_sgpr_queue_ptr 0
		.amdhsa_user_sgpr_kernarg_segment_ptr 1
		.amdhsa_user_sgpr_dispatch_id 0
		.amdhsa_user_sgpr_private_segment_size 0
		.amdhsa_wavefront_size32 1
		.amdhsa_uses_dynamic_stack 0
		.amdhsa_enable_private_segment 0
		.amdhsa_system_sgpr_workgroup_id_x 1
		.amdhsa_system_sgpr_workgroup_id_y 0
		.amdhsa_system_sgpr_workgroup_id_z 0
		.amdhsa_system_sgpr_workgroup_info 0
		.amdhsa_system_vgpr_workitem_id 0
		.amdhsa_next_free_vgpr 1
		.amdhsa_next_free_sgpr 1
		.amdhsa_reserve_vcc 0
		.amdhsa_float_round_mode_32 0
		.amdhsa_float_round_mode_16_64 0
		.amdhsa_float_denorm_mode_32 3
		.amdhsa_float_denorm_mode_16_64 3
		.amdhsa_fp16_overflow 0
		.amdhsa_workgroup_processor_mode 1
		.amdhsa_memory_ordered 1
		.amdhsa_forward_progress 1
		.amdhsa_inst_pref_size 0
		.amdhsa_round_robin_scheduling 0
		.amdhsa_exception_fp_ieee_invalid_op 0
		.amdhsa_exception_fp_denorm_src 0
		.amdhsa_exception_fp_ieee_div_zero 0
		.amdhsa_exception_fp_ieee_overflow 0
		.amdhsa_exception_fp_ieee_underflow 0
		.amdhsa_exception_fp_ieee_inexact 0
		.amdhsa_exception_int_div_zero 0
	.end_amdhsa_kernel
	.section	.text._ZN7rocprim17ROCPRIM_400000_NS6detail17trampoline_kernelINS0_13select_configILj256ELj13ELNS0_17block_load_methodE3ELS4_3ELS4_3ELNS0_20block_scan_algorithmE0ELj4294967295EEENS1_25partition_config_selectorILNS1_17partition_subalgoE3EjNS0_10empty_typeEbEEZZNS1_14partition_implILS8_3ELb0ES6_jNS0_17counting_iteratorIjlEEPS9_SE_NS0_5tupleIJPjSE_EEENSF_IJSE_SE_EEES9_SG_JZNS1_25segmented_radix_sort_implINS0_14default_configELb1EPKlPlSM_SN_N2at6native12_GLOBAL__N_18offset_tEEE10hipError_tPvRmT1_PNSt15iterator_traitsISV_E10value_typeET2_T3_PNSW_IS11_E10value_typeET4_jRbjT5_S17_jjP12ihipStream_tbEUljE_EEESS_ST_SU_S11_S15_S17_T6_T7_T9_mT8_S19_bDpT10_ENKUlT_T0_E_clISt17integral_constantIbLb0EES1L_IbLb1EEEEDaS1H_S1I_EUlS1H_E_NS1_11comp_targetILNS1_3genE3ELNS1_11target_archE908ELNS1_3gpuE7ELNS1_3repE0EEENS1_30default_config_static_selectorELNS0_4arch9wavefront6targetE0EEEvSV_,"axG",@progbits,_ZN7rocprim17ROCPRIM_400000_NS6detail17trampoline_kernelINS0_13select_configILj256ELj13ELNS0_17block_load_methodE3ELS4_3ELS4_3ELNS0_20block_scan_algorithmE0ELj4294967295EEENS1_25partition_config_selectorILNS1_17partition_subalgoE3EjNS0_10empty_typeEbEEZZNS1_14partition_implILS8_3ELb0ES6_jNS0_17counting_iteratorIjlEEPS9_SE_NS0_5tupleIJPjSE_EEENSF_IJSE_SE_EEES9_SG_JZNS1_25segmented_radix_sort_implINS0_14default_configELb1EPKlPlSM_SN_N2at6native12_GLOBAL__N_18offset_tEEE10hipError_tPvRmT1_PNSt15iterator_traitsISV_E10value_typeET2_T3_PNSW_IS11_E10value_typeET4_jRbjT5_S17_jjP12ihipStream_tbEUljE_EEESS_ST_SU_S11_S15_S17_T6_T7_T9_mT8_S19_bDpT10_ENKUlT_T0_E_clISt17integral_constantIbLb0EES1L_IbLb1EEEEDaS1H_S1I_EUlS1H_E_NS1_11comp_targetILNS1_3genE3ELNS1_11target_archE908ELNS1_3gpuE7ELNS1_3repE0EEENS1_30default_config_static_selectorELNS0_4arch9wavefront6targetE0EEEvSV_,comdat
.Lfunc_end699:
	.size	_ZN7rocprim17ROCPRIM_400000_NS6detail17trampoline_kernelINS0_13select_configILj256ELj13ELNS0_17block_load_methodE3ELS4_3ELS4_3ELNS0_20block_scan_algorithmE0ELj4294967295EEENS1_25partition_config_selectorILNS1_17partition_subalgoE3EjNS0_10empty_typeEbEEZZNS1_14partition_implILS8_3ELb0ES6_jNS0_17counting_iteratorIjlEEPS9_SE_NS0_5tupleIJPjSE_EEENSF_IJSE_SE_EEES9_SG_JZNS1_25segmented_radix_sort_implINS0_14default_configELb1EPKlPlSM_SN_N2at6native12_GLOBAL__N_18offset_tEEE10hipError_tPvRmT1_PNSt15iterator_traitsISV_E10value_typeET2_T3_PNSW_IS11_E10value_typeET4_jRbjT5_S17_jjP12ihipStream_tbEUljE_EEESS_ST_SU_S11_S15_S17_T6_T7_T9_mT8_S19_bDpT10_ENKUlT_T0_E_clISt17integral_constantIbLb0EES1L_IbLb1EEEEDaS1H_S1I_EUlS1H_E_NS1_11comp_targetILNS1_3genE3ELNS1_11target_archE908ELNS1_3gpuE7ELNS1_3repE0EEENS1_30default_config_static_selectorELNS0_4arch9wavefront6targetE0EEEvSV_, .Lfunc_end699-_ZN7rocprim17ROCPRIM_400000_NS6detail17trampoline_kernelINS0_13select_configILj256ELj13ELNS0_17block_load_methodE3ELS4_3ELS4_3ELNS0_20block_scan_algorithmE0ELj4294967295EEENS1_25partition_config_selectorILNS1_17partition_subalgoE3EjNS0_10empty_typeEbEEZZNS1_14partition_implILS8_3ELb0ES6_jNS0_17counting_iteratorIjlEEPS9_SE_NS0_5tupleIJPjSE_EEENSF_IJSE_SE_EEES9_SG_JZNS1_25segmented_radix_sort_implINS0_14default_configELb1EPKlPlSM_SN_N2at6native12_GLOBAL__N_18offset_tEEE10hipError_tPvRmT1_PNSt15iterator_traitsISV_E10value_typeET2_T3_PNSW_IS11_E10value_typeET4_jRbjT5_S17_jjP12ihipStream_tbEUljE_EEESS_ST_SU_S11_S15_S17_T6_T7_T9_mT8_S19_bDpT10_ENKUlT_T0_E_clISt17integral_constantIbLb0EES1L_IbLb1EEEEDaS1H_S1I_EUlS1H_E_NS1_11comp_targetILNS1_3genE3ELNS1_11target_archE908ELNS1_3gpuE7ELNS1_3repE0EEENS1_30default_config_static_selectorELNS0_4arch9wavefront6targetE0EEEvSV_
                                        ; -- End function
	.set _ZN7rocprim17ROCPRIM_400000_NS6detail17trampoline_kernelINS0_13select_configILj256ELj13ELNS0_17block_load_methodE3ELS4_3ELS4_3ELNS0_20block_scan_algorithmE0ELj4294967295EEENS1_25partition_config_selectorILNS1_17partition_subalgoE3EjNS0_10empty_typeEbEEZZNS1_14partition_implILS8_3ELb0ES6_jNS0_17counting_iteratorIjlEEPS9_SE_NS0_5tupleIJPjSE_EEENSF_IJSE_SE_EEES9_SG_JZNS1_25segmented_radix_sort_implINS0_14default_configELb1EPKlPlSM_SN_N2at6native12_GLOBAL__N_18offset_tEEE10hipError_tPvRmT1_PNSt15iterator_traitsISV_E10value_typeET2_T3_PNSW_IS11_E10value_typeET4_jRbjT5_S17_jjP12ihipStream_tbEUljE_EEESS_ST_SU_S11_S15_S17_T6_T7_T9_mT8_S19_bDpT10_ENKUlT_T0_E_clISt17integral_constantIbLb0EES1L_IbLb1EEEEDaS1H_S1I_EUlS1H_E_NS1_11comp_targetILNS1_3genE3ELNS1_11target_archE908ELNS1_3gpuE7ELNS1_3repE0EEENS1_30default_config_static_selectorELNS0_4arch9wavefront6targetE0EEEvSV_.num_vgpr, 0
	.set _ZN7rocprim17ROCPRIM_400000_NS6detail17trampoline_kernelINS0_13select_configILj256ELj13ELNS0_17block_load_methodE3ELS4_3ELS4_3ELNS0_20block_scan_algorithmE0ELj4294967295EEENS1_25partition_config_selectorILNS1_17partition_subalgoE3EjNS0_10empty_typeEbEEZZNS1_14partition_implILS8_3ELb0ES6_jNS0_17counting_iteratorIjlEEPS9_SE_NS0_5tupleIJPjSE_EEENSF_IJSE_SE_EEES9_SG_JZNS1_25segmented_radix_sort_implINS0_14default_configELb1EPKlPlSM_SN_N2at6native12_GLOBAL__N_18offset_tEEE10hipError_tPvRmT1_PNSt15iterator_traitsISV_E10value_typeET2_T3_PNSW_IS11_E10value_typeET4_jRbjT5_S17_jjP12ihipStream_tbEUljE_EEESS_ST_SU_S11_S15_S17_T6_T7_T9_mT8_S19_bDpT10_ENKUlT_T0_E_clISt17integral_constantIbLb0EES1L_IbLb1EEEEDaS1H_S1I_EUlS1H_E_NS1_11comp_targetILNS1_3genE3ELNS1_11target_archE908ELNS1_3gpuE7ELNS1_3repE0EEENS1_30default_config_static_selectorELNS0_4arch9wavefront6targetE0EEEvSV_.num_agpr, 0
	.set _ZN7rocprim17ROCPRIM_400000_NS6detail17trampoline_kernelINS0_13select_configILj256ELj13ELNS0_17block_load_methodE3ELS4_3ELS4_3ELNS0_20block_scan_algorithmE0ELj4294967295EEENS1_25partition_config_selectorILNS1_17partition_subalgoE3EjNS0_10empty_typeEbEEZZNS1_14partition_implILS8_3ELb0ES6_jNS0_17counting_iteratorIjlEEPS9_SE_NS0_5tupleIJPjSE_EEENSF_IJSE_SE_EEES9_SG_JZNS1_25segmented_radix_sort_implINS0_14default_configELb1EPKlPlSM_SN_N2at6native12_GLOBAL__N_18offset_tEEE10hipError_tPvRmT1_PNSt15iterator_traitsISV_E10value_typeET2_T3_PNSW_IS11_E10value_typeET4_jRbjT5_S17_jjP12ihipStream_tbEUljE_EEESS_ST_SU_S11_S15_S17_T6_T7_T9_mT8_S19_bDpT10_ENKUlT_T0_E_clISt17integral_constantIbLb0EES1L_IbLb1EEEEDaS1H_S1I_EUlS1H_E_NS1_11comp_targetILNS1_3genE3ELNS1_11target_archE908ELNS1_3gpuE7ELNS1_3repE0EEENS1_30default_config_static_selectorELNS0_4arch9wavefront6targetE0EEEvSV_.numbered_sgpr, 0
	.set _ZN7rocprim17ROCPRIM_400000_NS6detail17trampoline_kernelINS0_13select_configILj256ELj13ELNS0_17block_load_methodE3ELS4_3ELS4_3ELNS0_20block_scan_algorithmE0ELj4294967295EEENS1_25partition_config_selectorILNS1_17partition_subalgoE3EjNS0_10empty_typeEbEEZZNS1_14partition_implILS8_3ELb0ES6_jNS0_17counting_iteratorIjlEEPS9_SE_NS0_5tupleIJPjSE_EEENSF_IJSE_SE_EEES9_SG_JZNS1_25segmented_radix_sort_implINS0_14default_configELb1EPKlPlSM_SN_N2at6native12_GLOBAL__N_18offset_tEEE10hipError_tPvRmT1_PNSt15iterator_traitsISV_E10value_typeET2_T3_PNSW_IS11_E10value_typeET4_jRbjT5_S17_jjP12ihipStream_tbEUljE_EEESS_ST_SU_S11_S15_S17_T6_T7_T9_mT8_S19_bDpT10_ENKUlT_T0_E_clISt17integral_constantIbLb0EES1L_IbLb1EEEEDaS1H_S1I_EUlS1H_E_NS1_11comp_targetILNS1_3genE3ELNS1_11target_archE908ELNS1_3gpuE7ELNS1_3repE0EEENS1_30default_config_static_selectorELNS0_4arch9wavefront6targetE0EEEvSV_.num_named_barrier, 0
	.set _ZN7rocprim17ROCPRIM_400000_NS6detail17trampoline_kernelINS0_13select_configILj256ELj13ELNS0_17block_load_methodE3ELS4_3ELS4_3ELNS0_20block_scan_algorithmE0ELj4294967295EEENS1_25partition_config_selectorILNS1_17partition_subalgoE3EjNS0_10empty_typeEbEEZZNS1_14partition_implILS8_3ELb0ES6_jNS0_17counting_iteratorIjlEEPS9_SE_NS0_5tupleIJPjSE_EEENSF_IJSE_SE_EEES9_SG_JZNS1_25segmented_radix_sort_implINS0_14default_configELb1EPKlPlSM_SN_N2at6native12_GLOBAL__N_18offset_tEEE10hipError_tPvRmT1_PNSt15iterator_traitsISV_E10value_typeET2_T3_PNSW_IS11_E10value_typeET4_jRbjT5_S17_jjP12ihipStream_tbEUljE_EEESS_ST_SU_S11_S15_S17_T6_T7_T9_mT8_S19_bDpT10_ENKUlT_T0_E_clISt17integral_constantIbLb0EES1L_IbLb1EEEEDaS1H_S1I_EUlS1H_E_NS1_11comp_targetILNS1_3genE3ELNS1_11target_archE908ELNS1_3gpuE7ELNS1_3repE0EEENS1_30default_config_static_selectorELNS0_4arch9wavefront6targetE0EEEvSV_.private_seg_size, 0
	.set _ZN7rocprim17ROCPRIM_400000_NS6detail17trampoline_kernelINS0_13select_configILj256ELj13ELNS0_17block_load_methodE3ELS4_3ELS4_3ELNS0_20block_scan_algorithmE0ELj4294967295EEENS1_25partition_config_selectorILNS1_17partition_subalgoE3EjNS0_10empty_typeEbEEZZNS1_14partition_implILS8_3ELb0ES6_jNS0_17counting_iteratorIjlEEPS9_SE_NS0_5tupleIJPjSE_EEENSF_IJSE_SE_EEES9_SG_JZNS1_25segmented_radix_sort_implINS0_14default_configELb1EPKlPlSM_SN_N2at6native12_GLOBAL__N_18offset_tEEE10hipError_tPvRmT1_PNSt15iterator_traitsISV_E10value_typeET2_T3_PNSW_IS11_E10value_typeET4_jRbjT5_S17_jjP12ihipStream_tbEUljE_EEESS_ST_SU_S11_S15_S17_T6_T7_T9_mT8_S19_bDpT10_ENKUlT_T0_E_clISt17integral_constantIbLb0EES1L_IbLb1EEEEDaS1H_S1I_EUlS1H_E_NS1_11comp_targetILNS1_3genE3ELNS1_11target_archE908ELNS1_3gpuE7ELNS1_3repE0EEENS1_30default_config_static_selectorELNS0_4arch9wavefront6targetE0EEEvSV_.uses_vcc, 0
	.set _ZN7rocprim17ROCPRIM_400000_NS6detail17trampoline_kernelINS0_13select_configILj256ELj13ELNS0_17block_load_methodE3ELS4_3ELS4_3ELNS0_20block_scan_algorithmE0ELj4294967295EEENS1_25partition_config_selectorILNS1_17partition_subalgoE3EjNS0_10empty_typeEbEEZZNS1_14partition_implILS8_3ELb0ES6_jNS0_17counting_iteratorIjlEEPS9_SE_NS0_5tupleIJPjSE_EEENSF_IJSE_SE_EEES9_SG_JZNS1_25segmented_radix_sort_implINS0_14default_configELb1EPKlPlSM_SN_N2at6native12_GLOBAL__N_18offset_tEEE10hipError_tPvRmT1_PNSt15iterator_traitsISV_E10value_typeET2_T3_PNSW_IS11_E10value_typeET4_jRbjT5_S17_jjP12ihipStream_tbEUljE_EEESS_ST_SU_S11_S15_S17_T6_T7_T9_mT8_S19_bDpT10_ENKUlT_T0_E_clISt17integral_constantIbLb0EES1L_IbLb1EEEEDaS1H_S1I_EUlS1H_E_NS1_11comp_targetILNS1_3genE3ELNS1_11target_archE908ELNS1_3gpuE7ELNS1_3repE0EEENS1_30default_config_static_selectorELNS0_4arch9wavefront6targetE0EEEvSV_.uses_flat_scratch, 0
	.set _ZN7rocprim17ROCPRIM_400000_NS6detail17trampoline_kernelINS0_13select_configILj256ELj13ELNS0_17block_load_methodE3ELS4_3ELS4_3ELNS0_20block_scan_algorithmE0ELj4294967295EEENS1_25partition_config_selectorILNS1_17partition_subalgoE3EjNS0_10empty_typeEbEEZZNS1_14partition_implILS8_3ELb0ES6_jNS0_17counting_iteratorIjlEEPS9_SE_NS0_5tupleIJPjSE_EEENSF_IJSE_SE_EEES9_SG_JZNS1_25segmented_radix_sort_implINS0_14default_configELb1EPKlPlSM_SN_N2at6native12_GLOBAL__N_18offset_tEEE10hipError_tPvRmT1_PNSt15iterator_traitsISV_E10value_typeET2_T3_PNSW_IS11_E10value_typeET4_jRbjT5_S17_jjP12ihipStream_tbEUljE_EEESS_ST_SU_S11_S15_S17_T6_T7_T9_mT8_S19_bDpT10_ENKUlT_T0_E_clISt17integral_constantIbLb0EES1L_IbLb1EEEEDaS1H_S1I_EUlS1H_E_NS1_11comp_targetILNS1_3genE3ELNS1_11target_archE908ELNS1_3gpuE7ELNS1_3repE0EEENS1_30default_config_static_selectorELNS0_4arch9wavefront6targetE0EEEvSV_.has_dyn_sized_stack, 0
	.set _ZN7rocprim17ROCPRIM_400000_NS6detail17trampoline_kernelINS0_13select_configILj256ELj13ELNS0_17block_load_methodE3ELS4_3ELS4_3ELNS0_20block_scan_algorithmE0ELj4294967295EEENS1_25partition_config_selectorILNS1_17partition_subalgoE3EjNS0_10empty_typeEbEEZZNS1_14partition_implILS8_3ELb0ES6_jNS0_17counting_iteratorIjlEEPS9_SE_NS0_5tupleIJPjSE_EEENSF_IJSE_SE_EEES9_SG_JZNS1_25segmented_radix_sort_implINS0_14default_configELb1EPKlPlSM_SN_N2at6native12_GLOBAL__N_18offset_tEEE10hipError_tPvRmT1_PNSt15iterator_traitsISV_E10value_typeET2_T3_PNSW_IS11_E10value_typeET4_jRbjT5_S17_jjP12ihipStream_tbEUljE_EEESS_ST_SU_S11_S15_S17_T6_T7_T9_mT8_S19_bDpT10_ENKUlT_T0_E_clISt17integral_constantIbLb0EES1L_IbLb1EEEEDaS1H_S1I_EUlS1H_E_NS1_11comp_targetILNS1_3genE3ELNS1_11target_archE908ELNS1_3gpuE7ELNS1_3repE0EEENS1_30default_config_static_selectorELNS0_4arch9wavefront6targetE0EEEvSV_.has_recursion, 0
	.set _ZN7rocprim17ROCPRIM_400000_NS6detail17trampoline_kernelINS0_13select_configILj256ELj13ELNS0_17block_load_methodE3ELS4_3ELS4_3ELNS0_20block_scan_algorithmE0ELj4294967295EEENS1_25partition_config_selectorILNS1_17partition_subalgoE3EjNS0_10empty_typeEbEEZZNS1_14partition_implILS8_3ELb0ES6_jNS0_17counting_iteratorIjlEEPS9_SE_NS0_5tupleIJPjSE_EEENSF_IJSE_SE_EEES9_SG_JZNS1_25segmented_radix_sort_implINS0_14default_configELb1EPKlPlSM_SN_N2at6native12_GLOBAL__N_18offset_tEEE10hipError_tPvRmT1_PNSt15iterator_traitsISV_E10value_typeET2_T3_PNSW_IS11_E10value_typeET4_jRbjT5_S17_jjP12ihipStream_tbEUljE_EEESS_ST_SU_S11_S15_S17_T6_T7_T9_mT8_S19_bDpT10_ENKUlT_T0_E_clISt17integral_constantIbLb0EES1L_IbLb1EEEEDaS1H_S1I_EUlS1H_E_NS1_11comp_targetILNS1_3genE3ELNS1_11target_archE908ELNS1_3gpuE7ELNS1_3repE0EEENS1_30default_config_static_selectorELNS0_4arch9wavefront6targetE0EEEvSV_.has_indirect_call, 0
	.section	.AMDGPU.csdata,"",@progbits
; Kernel info:
; codeLenInByte = 0
; TotalNumSgprs: 0
; NumVgprs: 0
; ScratchSize: 0
; MemoryBound: 0
; FloatMode: 240
; IeeeMode: 1
; LDSByteSize: 0 bytes/workgroup (compile time only)
; SGPRBlocks: 0
; VGPRBlocks: 0
; NumSGPRsForWavesPerEU: 1
; NumVGPRsForWavesPerEU: 1
; Occupancy: 16
; WaveLimiterHint : 0
; COMPUTE_PGM_RSRC2:SCRATCH_EN: 0
; COMPUTE_PGM_RSRC2:USER_SGPR: 2
; COMPUTE_PGM_RSRC2:TRAP_HANDLER: 0
; COMPUTE_PGM_RSRC2:TGID_X_EN: 1
; COMPUTE_PGM_RSRC2:TGID_Y_EN: 0
; COMPUTE_PGM_RSRC2:TGID_Z_EN: 0
; COMPUTE_PGM_RSRC2:TIDIG_COMP_CNT: 0
	.section	.text._ZN7rocprim17ROCPRIM_400000_NS6detail17trampoline_kernelINS0_13select_configILj256ELj13ELNS0_17block_load_methodE3ELS4_3ELS4_3ELNS0_20block_scan_algorithmE0ELj4294967295EEENS1_25partition_config_selectorILNS1_17partition_subalgoE3EjNS0_10empty_typeEbEEZZNS1_14partition_implILS8_3ELb0ES6_jNS0_17counting_iteratorIjlEEPS9_SE_NS0_5tupleIJPjSE_EEENSF_IJSE_SE_EEES9_SG_JZNS1_25segmented_radix_sort_implINS0_14default_configELb1EPKlPlSM_SN_N2at6native12_GLOBAL__N_18offset_tEEE10hipError_tPvRmT1_PNSt15iterator_traitsISV_E10value_typeET2_T3_PNSW_IS11_E10value_typeET4_jRbjT5_S17_jjP12ihipStream_tbEUljE_EEESS_ST_SU_S11_S15_S17_T6_T7_T9_mT8_S19_bDpT10_ENKUlT_T0_E_clISt17integral_constantIbLb0EES1L_IbLb1EEEEDaS1H_S1I_EUlS1H_E_NS1_11comp_targetILNS1_3genE2ELNS1_11target_archE906ELNS1_3gpuE6ELNS1_3repE0EEENS1_30default_config_static_selectorELNS0_4arch9wavefront6targetE0EEEvSV_,"axG",@progbits,_ZN7rocprim17ROCPRIM_400000_NS6detail17trampoline_kernelINS0_13select_configILj256ELj13ELNS0_17block_load_methodE3ELS4_3ELS4_3ELNS0_20block_scan_algorithmE0ELj4294967295EEENS1_25partition_config_selectorILNS1_17partition_subalgoE3EjNS0_10empty_typeEbEEZZNS1_14partition_implILS8_3ELb0ES6_jNS0_17counting_iteratorIjlEEPS9_SE_NS0_5tupleIJPjSE_EEENSF_IJSE_SE_EEES9_SG_JZNS1_25segmented_radix_sort_implINS0_14default_configELb1EPKlPlSM_SN_N2at6native12_GLOBAL__N_18offset_tEEE10hipError_tPvRmT1_PNSt15iterator_traitsISV_E10value_typeET2_T3_PNSW_IS11_E10value_typeET4_jRbjT5_S17_jjP12ihipStream_tbEUljE_EEESS_ST_SU_S11_S15_S17_T6_T7_T9_mT8_S19_bDpT10_ENKUlT_T0_E_clISt17integral_constantIbLb0EES1L_IbLb1EEEEDaS1H_S1I_EUlS1H_E_NS1_11comp_targetILNS1_3genE2ELNS1_11target_archE906ELNS1_3gpuE6ELNS1_3repE0EEENS1_30default_config_static_selectorELNS0_4arch9wavefront6targetE0EEEvSV_,comdat
	.globl	_ZN7rocprim17ROCPRIM_400000_NS6detail17trampoline_kernelINS0_13select_configILj256ELj13ELNS0_17block_load_methodE3ELS4_3ELS4_3ELNS0_20block_scan_algorithmE0ELj4294967295EEENS1_25partition_config_selectorILNS1_17partition_subalgoE3EjNS0_10empty_typeEbEEZZNS1_14partition_implILS8_3ELb0ES6_jNS0_17counting_iteratorIjlEEPS9_SE_NS0_5tupleIJPjSE_EEENSF_IJSE_SE_EEES9_SG_JZNS1_25segmented_radix_sort_implINS0_14default_configELb1EPKlPlSM_SN_N2at6native12_GLOBAL__N_18offset_tEEE10hipError_tPvRmT1_PNSt15iterator_traitsISV_E10value_typeET2_T3_PNSW_IS11_E10value_typeET4_jRbjT5_S17_jjP12ihipStream_tbEUljE_EEESS_ST_SU_S11_S15_S17_T6_T7_T9_mT8_S19_bDpT10_ENKUlT_T0_E_clISt17integral_constantIbLb0EES1L_IbLb1EEEEDaS1H_S1I_EUlS1H_E_NS1_11comp_targetILNS1_3genE2ELNS1_11target_archE906ELNS1_3gpuE6ELNS1_3repE0EEENS1_30default_config_static_selectorELNS0_4arch9wavefront6targetE0EEEvSV_ ; -- Begin function _ZN7rocprim17ROCPRIM_400000_NS6detail17trampoline_kernelINS0_13select_configILj256ELj13ELNS0_17block_load_methodE3ELS4_3ELS4_3ELNS0_20block_scan_algorithmE0ELj4294967295EEENS1_25partition_config_selectorILNS1_17partition_subalgoE3EjNS0_10empty_typeEbEEZZNS1_14partition_implILS8_3ELb0ES6_jNS0_17counting_iteratorIjlEEPS9_SE_NS0_5tupleIJPjSE_EEENSF_IJSE_SE_EEES9_SG_JZNS1_25segmented_radix_sort_implINS0_14default_configELb1EPKlPlSM_SN_N2at6native12_GLOBAL__N_18offset_tEEE10hipError_tPvRmT1_PNSt15iterator_traitsISV_E10value_typeET2_T3_PNSW_IS11_E10value_typeET4_jRbjT5_S17_jjP12ihipStream_tbEUljE_EEESS_ST_SU_S11_S15_S17_T6_T7_T9_mT8_S19_bDpT10_ENKUlT_T0_E_clISt17integral_constantIbLb0EES1L_IbLb1EEEEDaS1H_S1I_EUlS1H_E_NS1_11comp_targetILNS1_3genE2ELNS1_11target_archE906ELNS1_3gpuE6ELNS1_3repE0EEENS1_30default_config_static_selectorELNS0_4arch9wavefront6targetE0EEEvSV_
	.p2align	8
	.type	_ZN7rocprim17ROCPRIM_400000_NS6detail17trampoline_kernelINS0_13select_configILj256ELj13ELNS0_17block_load_methodE3ELS4_3ELS4_3ELNS0_20block_scan_algorithmE0ELj4294967295EEENS1_25partition_config_selectorILNS1_17partition_subalgoE3EjNS0_10empty_typeEbEEZZNS1_14partition_implILS8_3ELb0ES6_jNS0_17counting_iteratorIjlEEPS9_SE_NS0_5tupleIJPjSE_EEENSF_IJSE_SE_EEES9_SG_JZNS1_25segmented_radix_sort_implINS0_14default_configELb1EPKlPlSM_SN_N2at6native12_GLOBAL__N_18offset_tEEE10hipError_tPvRmT1_PNSt15iterator_traitsISV_E10value_typeET2_T3_PNSW_IS11_E10value_typeET4_jRbjT5_S17_jjP12ihipStream_tbEUljE_EEESS_ST_SU_S11_S15_S17_T6_T7_T9_mT8_S19_bDpT10_ENKUlT_T0_E_clISt17integral_constantIbLb0EES1L_IbLb1EEEEDaS1H_S1I_EUlS1H_E_NS1_11comp_targetILNS1_3genE2ELNS1_11target_archE906ELNS1_3gpuE6ELNS1_3repE0EEENS1_30default_config_static_selectorELNS0_4arch9wavefront6targetE0EEEvSV_,@function
_ZN7rocprim17ROCPRIM_400000_NS6detail17trampoline_kernelINS0_13select_configILj256ELj13ELNS0_17block_load_methodE3ELS4_3ELS4_3ELNS0_20block_scan_algorithmE0ELj4294967295EEENS1_25partition_config_selectorILNS1_17partition_subalgoE3EjNS0_10empty_typeEbEEZZNS1_14partition_implILS8_3ELb0ES6_jNS0_17counting_iteratorIjlEEPS9_SE_NS0_5tupleIJPjSE_EEENSF_IJSE_SE_EEES9_SG_JZNS1_25segmented_radix_sort_implINS0_14default_configELb1EPKlPlSM_SN_N2at6native12_GLOBAL__N_18offset_tEEE10hipError_tPvRmT1_PNSt15iterator_traitsISV_E10value_typeET2_T3_PNSW_IS11_E10value_typeET4_jRbjT5_S17_jjP12ihipStream_tbEUljE_EEESS_ST_SU_S11_S15_S17_T6_T7_T9_mT8_S19_bDpT10_ENKUlT_T0_E_clISt17integral_constantIbLb0EES1L_IbLb1EEEEDaS1H_S1I_EUlS1H_E_NS1_11comp_targetILNS1_3genE2ELNS1_11target_archE906ELNS1_3gpuE6ELNS1_3repE0EEENS1_30default_config_static_selectorELNS0_4arch9wavefront6targetE0EEEvSV_: ; @_ZN7rocprim17ROCPRIM_400000_NS6detail17trampoline_kernelINS0_13select_configILj256ELj13ELNS0_17block_load_methodE3ELS4_3ELS4_3ELNS0_20block_scan_algorithmE0ELj4294967295EEENS1_25partition_config_selectorILNS1_17partition_subalgoE3EjNS0_10empty_typeEbEEZZNS1_14partition_implILS8_3ELb0ES6_jNS0_17counting_iteratorIjlEEPS9_SE_NS0_5tupleIJPjSE_EEENSF_IJSE_SE_EEES9_SG_JZNS1_25segmented_radix_sort_implINS0_14default_configELb1EPKlPlSM_SN_N2at6native12_GLOBAL__N_18offset_tEEE10hipError_tPvRmT1_PNSt15iterator_traitsISV_E10value_typeET2_T3_PNSW_IS11_E10value_typeET4_jRbjT5_S17_jjP12ihipStream_tbEUljE_EEESS_ST_SU_S11_S15_S17_T6_T7_T9_mT8_S19_bDpT10_ENKUlT_T0_E_clISt17integral_constantIbLb0EES1L_IbLb1EEEEDaS1H_S1I_EUlS1H_E_NS1_11comp_targetILNS1_3genE2ELNS1_11target_archE906ELNS1_3gpuE6ELNS1_3repE0EEENS1_30default_config_static_selectorELNS0_4arch9wavefront6targetE0EEEvSV_
; %bb.0:
	.section	.rodata,"a",@progbits
	.p2align	6, 0x0
	.amdhsa_kernel _ZN7rocprim17ROCPRIM_400000_NS6detail17trampoline_kernelINS0_13select_configILj256ELj13ELNS0_17block_load_methodE3ELS4_3ELS4_3ELNS0_20block_scan_algorithmE0ELj4294967295EEENS1_25partition_config_selectorILNS1_17partition_subalgoE3EjNS0_10empty_typeEbEEZZNS1_14partition_implILS8_3ELb0ES6_jNS0_17counting_iteratorIjlEEPS9_SE_NS0_5tupleIJPjSE_EEENSF_IJSE_SE_EEES9_SG_JZNS1_25segmented_radix_sort_implINS0_14default_configELb1EPKlPlSM_SN_N2at6native12_GLOBAL__N_18offset_tEEE10hipError_tPvRmT1_PNSt15iterator_traitsISV_E10value_typeET2_T3_PNSW_IS11_E10value_typeET4_jRbjT5_S17_jjP12ihipStream_tbEUljE_EEESS_ST_SU_S11_S15_S17_T6_T7_T9_mT8_S19_bDpT10_ENKUlT_T0_E_clISt17integral_constantIbLb0EES1L_IbLb1EEEEDaS1H_S1I_EUlS1H_E_NS1_11comp_targetILNS1_3genE2ELNS1_11target_archE906ELNS1_3gpuE6ELNS1_3repE0EEENS1_30default_config_static_selectorELNS0_4arch9wavefront6targetE0EEEvSV_
		.amdhsa_group_segment_fixed_size 0
		.amdhsa_private_segment_fixed_size 0
		.amdhsa_kernarg_size 152
		.amdhsa_user_sgpr_count 2
		.amdhsa_user_sgpr_dispatch_ptr 0
		.amdhsa_user_sgpr_queue_ptr 0
		.amdhsa_user_sgpr_kernarg_segment_ptr 1
		.amdhsa_user_sgpr_dispatch_id 0
		.amdhsa_user_sgpr_private_segment_size 0
		.amdhsa_wavefront_size32 1
		.amdhsa_uses_dynamic_stack 0
		.amdhsa_enable_private_segment 0
		.amdhsa_system_sgpr_workgroup_id_x 1
		.amdhsa_system_sgpr_workgroup_id_y 0
		.amdhsa_system_sgpr_workgroup_id_z 0
		.amdhsa_system_sgpr_workgroup_info 0
		.amdhsa_system_vgpr_workitem_id 0
		.amdhsa_next_free_vgpr 1
		.amdhsa_next_free_sgpr 1
		.amdhsa_reserve_vcc 0
		.amdhsa_float_round_mode_32 0
		.amdhsa_float_round_mode_16_64 0
		.amdhsa_float_denorm_mode_32 3
		.amdhsa_float_denorm_mode_16_64 3
		.amdhsa_fp16_overflow 0
		.amdhsa_workgroup_processor_mode 1
		.amdhsa_memory_ordered 1
		.amdhsa_forward_progress 1
		.amdhsa_inst_pref_size 0
		.amdhsa_round_robin_scheduling 0
		.amdhsa_exception_fp_ieee_invalid_op 0
		.amdhsa_exception_fp_denorm_src 0
		.amdhsa_exception_fp_ieee_div_zero 0
		.amdhsa_exception_fp_ieee_overflow 0
		.amdhsa_exception_fp_ieee_underflow 0
		.amdhsa_exception_fp_ieee_inexact 0
		.amdhsa_exception_int_div_zero 0
	.end_amdhsa_kernel
	.section	.text._ZN7rocprim17ROCPRIM_400000_NS6detail17trampoline_kernelINS0_13select_configILj256ELj13ELNS0_17block_load_methodE3ELS4_3ELS4_3ELNS0_20block_scan_algorithmE0ELj4294967295EEENS1_25partition_config_selectorILNS1_17partition_subalgoE3EjNS0_10empty_typeEbEEZZNS1_14partition_implILS8_3ELb0ES6_jNS0_17counting_iteratorIjlEEPS9_SE_NS0_5tupleIJPjSE_EEENSF_IJSE_SE_EEES9_SG_JZNS1_25segmented_radix_sort_implINS0_14default_configELb1EPKlPlSM_SN_N2at6native12_GLOBAL__N_18offset_tEEE10hipError_tPvRmT1_PNSt15iterator_traitsISV_E10value_typeET2_T3_PNSW_IS11_E10value_typeET4_jRbjT5_S17_jjP12ihipStream_tbEUljE_EEESS_ST_SU_S11_S15_S17_T6_T7_T9_mT8_S19_bDpT10_ENKUlT_T0_E_clISt17integral_constantIbLb0EES1L_IbLb1EEEEDaS1H_S1I_EUlS1H_E_NS1_11comp_targetILNS1_3genE2ELNS1_11target_archE906ELNS1_3gpuE6ELNS1_3repE0EEENS1_30default_config_static_selectorELNS0_4arch9wavefront6targetE0EEEvSV_,"axG",@progbits,_ZN7rocprim17ROCPRIM_400000_NS6detail17trampoline_kernelINS0_13select_configILj256ELj13ELNS0_17block_load_methodE3ELS4_3ELS4_3ELNS0_20block_scan_algorithmE0ELj4294967295EEENS1_25partition_config_selectorILNS1_17partition_subalgoE3EjNS0_10empty_typeEbEEZZNS1_14partition_implILS8_3ELb0ES6_jNS0_17counting_iteratorIjlEEPS9_SE_NS0_5tupleIJPjSE_EEENSF_IJSE_SE_EEES9_SG_JZNS1_25segmented_radix_sort_implINS0_14default_configELb1EPKlPlSM_SN_N2at6native12_GLOBAL__N_18offset_tEEE10hipError_tPvRmT1_PNSt15iterator_traitsISV_E10value_typeET2_T3_PNSW_IS11_E10value_typeET4_jRbjT5_S17_jjP12ihipStream_tbEUljE_EEESS_ST_SU_S11_S15_S17_T6_T7_T9_mT8_S19_bDpT10_ENKUlT_T0_E_clISt17integral_constantIbLb0EES1L_IbLb1EEEEDaS1H_S1I_EUlS1H_E_NS1_11comp_targetILNS1_3genE2ELNS1_11target_archE906ELNS1_3gpuE6ELNS1_3repE0EEENS1_30default_config_static_selectorELNS0_4arch9wavefront6targetE0EEEvSV_,comdat
.Lfunc_end700:
	.size	_ZN7rocprim17ROCPRIM_400000_NS6detail17trampoline_kernelINS0_13select_configILj256ELj13ELNS0_17block_load_methodE3ELS4_3ELS4_3ELNS0_20block_scan_algorithmE0ELj4294967295EEENS1_25partition_config_selectorILNS1_17partition_subalgoE3EjNS0_10empty_typeEbEEZZNS1_14partition_implILS8_3ELb0ES6_jNS0_17counting_iteratorIjlEEPS9_SE_NS0_5tupleIJPjSE_EEENSF_IJSE_SE_EEES9_SG_JZNS1_25segmented_radix_sort_implINS0_14default_configELb1EPKlPlSM_SN_N2at6native12_GLOBAL__N_18offset_tEEE10hipError_tPvRmT1_PNSt15iterator_traitsISV_E10value_typeET2_T3_PNSW_IS11_E10value_typeET4_jRbjT5_S17_jjP12ihipStream_tbEUljE_EEESS_ST_SU_S11_S15_S17_T6_T7_T9_mT8_S19_bDpT10_ENKUlT_T0_E_clISt17integral_constantIbLb0EES1L_IbLb1EEEEDaS1H_S1I_EUlS1H_E_NS1_11comp_targetILNS1_3genE2ELNS1_11target_archE906ELNS1_3gpuE6ELNS1_3repE0EEENS1_30default_config_static_selectorELNS0_4arch9wavefront6targetE0EEEvSV_, .Lfunc_end700-_ZN7rocprim17ROCPRIM_400000_NS6detail17trampoline_kernelINS0_13select_configILj256ELj13ELNS0_17block_load_methodE3ELS4_3ELS4_3ELNS0_20block_scan_algorithmE0ELj4294967295EEENS1_25partition_config_selectorILNS1_17partition_subalgoE3EjNS0_10empty_typeEbEEZZNS1_14partition_implILS8_3ELb0ES6_jNS0_17counting_iteratorIjlEEPS9_SE_NS0_5tupleIJPjSE_EEENSF_IJSE_SE_EEES9_SG_JZNS1_25segmented_radix_sort_implINS0_14default_configELb1EPKlPlSM_SN_N2at6native12_GLOBAL__N_18offset_tEEE10hipError_tPvRmT1_PNSt15iterator_traitsISV_E10value_typeET2_T3_PNSW_IS11_E10value_typeET4_jRbjT5_S17_jjP12ihipStream_tbEUljE_EEESS_ST_SU_S11_S15_S17_T6_T7_T9_mT8_S19_bDpT10_ENKUlT_T0_E_clISt17integral_constantIbLb0EES1L_IbLb1EEEEDaS1H_S1I_EUlS1H_E_NS1_11comp_targetILNS1_3genE2ELNS1_11target_archE906ELNS1_3gpuE6ELNS1_3repE0EEENS1_30default_config_static_selectorELNS0_4arch9wavefront6targetE0EEEvSV_
                                        ; -- End function
	.set _ZN7rocprim17ROCPRIM_400000_NS6detail17trampoline_kernelINS0_13select_configILj256ELj13ELNS0_17block_load_methodE3ELS4_3ELS4_3ELNS0_20block_scan_algorithmE0ELj4294967295EEENS1_25partition_config_selectorILNS1_17partition_subalgoE3EjNS0_10empty_typeEbEEZZNS1_14partition_implILS8_3ELb0ES6_jNS0_17counting_iteratorIjlEEPS9_SE_NS0_5tupleIJPjSE_EEENSF_IJSE_SE_EEES9_SG_JZNS1_25segmented_radix_sort_implINS0_14default_configELb1EPKlPlSM_SN_N2at6native12_GLOBAL__N_18offset_tEEE10hipError_tPvRmT1_PNSt15iterator_traitsISV_E10value_typeET2_T3_PNSW_IS11_E10value_typeET4_jRbjT5_S17_jjP12ihipStream_tbEUljE_EEESS_ST_SU_S11_S15_S17_T6_T7_T9_mT8_S19_bDpT10_ENKUlT_T0_E_clISt17integral_constantIbLb0EES1L_IbLb1EEEEDaS1H_S1I_EUlS1H_E_NS1_11comp_targetILNS1_3genE2ELNS1_11target_archE906ELNS1_3gpuE6ELNS1_3repE0EEENS1_30default_config_static_selectorELNS0_4arch9wavefront6targetE0EEEvSV_.num_vgpr, 0
	.set _ZN7rocprim17ROCPRIM_400000_NS6detail17trampoline_kernelINS0_13select_configILj256ELj13ELNS0_17block_load_methodE3ELS4_3ELS4_3ELNS0_20block_scan_algorithmE0ELj4294967295EEENS1_25partition_config_selectorILNS1_17partition_subalgoE3EjNS0_10empty_typeEbEEZZNS1_14partition_implILS8_3ELb0ES6_jNS0_17counting_iteratorIjlEEPS9_SE_NS0_5tupleIJPjSE_EEENSF_IJSE_SE_EEES9_SG_JZNS1_25segmented_radix_sort_implINS0_14default_configELb1EPKlPlSM_SN_N2at6native12_GLOBAL__N_18offset_tEEE10hipError_tPvRmT1_PNSt15iterator_traitsISV_E10value_typeET2_T3_PNSW_IS11_E10value_typeET4_jRbjT5_S17_jjP12ihipStream_tbEUljE_EEESS_ST_SU_S11_S15_S17_T6_T7_T9_mT8_S19_bDpT10_ENKUlT_T0_E_clISt17integral_constantIbLb0EES1L_IbLb1EEEEDaS1H_S1I_EUlS1H_E_NS1_11comp_targetILNS1_3genE2ELNS1_11target_archE906ELNS1_3gpuE6ELNS1_3repE0EEENS1_30default_config_static_selectorELNS0_4arch9wavefront6targetE0EEEvSV_.num_agpr, 0
	.set _ZN7rocprim17ROCPRIM_400000_NS6detail17trampoline_kernelINS0_13select_configILj256ELj13ELNS0_17block_load_methodE3ELS4_3ELS4_3ELNS0_20block_scan_algorithmE0ELj4294967295EEENS1_25partition_config_selectorILNS1_17partition_subalgoE3EjNS0_10empty_typeEbEEZZNS1_14partition_implILS8_3ELb0ES6_jNS0_17counting_iteratorIjlEEPS9_SE_NS0_5tupleIJPjSE_EEENSF_IJSE_SE_EEES9_SG_JZNS1_25segmented_radix_sort_implINS0_14default_configELb1EPKlPlSM_SN_N2at6native12_GLOBAL__N_18offset_tEEE10hipError_tPvRmT1_PNSt15iterator_traitsISV_E10value_typeET2_T3_PNSW_IS11_E10value_typeET4_jRbjT5_S17_jjP12ihipStream_tbEUljE_EEESS_ST_SU_S11_S15_S17_T6_T7_T9_mT8_S19_bDpT10_ENKUlT_T0_E_clISt17integral_constantIbLb0EES1L_IbLb1EEEEDaS1H_S1I_EUlS1H_E_NS1_11comp_targetILNS1_3genE2ELNS1_11target_archE906ELNS1_3gpuE6ELNS1_3repE0EEENS1_30default_config_static_selectorELNS0_4arch9wavefront6targetE0EEEvSV_.numbered_sgpr, 0
	.set _ZN7rocprim17ROCPRIM_400000_NS6detail17trampoline_kernelINS0_13select_configILj256ELj13ELNS0_17block_load_methodE3ELS4_3ELS4_3ELNS0_20block_scan_algorithmE0ELj4294967295EEENS1_25partition_config_selectorILNS1_17partition_subalgoE3EjNS0_10empty_typeEbEEZZNS1_14partition_implILS8_3ELb0ES6_jNS0_17counting_iteratorIjlEEPS9_SE_NS0_5tupleIJPjSE_EEENSF_IJSE_SE_EEES9_SG_JZNS1_25segmented_radix_sort_implINS0_14default_configELb1EPKlPlSM_SN_N2at6native12_GLOBAL__N_18offset_tEEE10hipError_tPvRmT1_PNSt15iterator_traitsISV_E10value_typeET2_T3_PNSW_IS11_E10value_typeET4_jRbjT5_S17_jjP12ihipStream_tbEUljE_EEESS_ST_SU_S11_S15_S17_T6_T7_T9_mT8_S19_bDpT10_ENKUlT_T0_E_clISt17integral_constantIbLb0EES1L_IbLb1EEEEDaS1H_S1I_EUlS1H_E_NS1_11comp_targetILNS1_3genE2ELNS1_11target_archE906ELNS1_3gpuE6ELNS1_3repE0EEENS1_30default_config_static_selectorELNS0_4arch9wavefront6targetE0EEEvSV_.num_named_barrier, 0
	.set _ZN7rocprim17ROCPRIM_400000_NS6detail17trampoline_kernelINS0_13select_configILj256ELj13ELNS0_17block_load_methodE3ELS4_3ELS4_3ELNS0_20block_scan_algorithmE0ELj4294967295EEENS1_25partition_config_selectorILNS1_17partition_subalgoE3EjNS0_10empty_typeEbEEZZNS1_14partition_implILS8_3ELb0ES6_jNS0_17counting_iteratorIjlEEPS9_SE_NS0_5tupleIJPjSE_EEENSF_IJSE_SE_EEES9_SG_JZNS1_25segmented_radix_sort_implINS0_14default_configELb1EPKlPlSM_SN_N2at6native12_GLOBAL__N_18offset_tEEE10hipError_tPvRmT1_PNSt15iterator_traitsISV_E10value_typeET2_T3_PNSW_IS11_E10value_typeET4_jRbjT5_S17_jjP12ihipStream_tbEUljE_EEESS_ST_SU_S11_S15_S17_T6_T7_T9_mT8_S19_bDpT10_ENKUlT_T0_E_clISt17integral_constantIbLb0EES1L_IbLb1EEEEDaS1H_S1I_EUlS1H_E_NS1_11comp_targetILNS1_3genE2ELNS1_11target_archE906ELNS1_3gpuE6ELNS1_3repE0EEENS1_30default_config_static_selectorELNS0_4arch9wavefront6targetE0EEEvSV_.private_seg_size, 0
	.set _ZN7rocprim17ROCPRIM_400000_NS6detail17trampoline_kernelINS0_13select_configILj256ELj13ELNS0_17block_load_methodE3ELS4_3ELS4_3ELNS0_20block_scan_algorithmE0ELj4294967295EEENS1_25partition_config_selectorILNS1_17partition_subalgoE3EjNS0_10empty_typeEbEEZZNS1_14partition_implILS8_3ELb0ES6_jNS0_17counting_iteratorIjlEEPS9_SE_NS0_5tupleIJPjSE_EEENSF_IJSE_SE_EEES9_SG_JZNS1_25segmented_radix_sort_implINS0_14default_configELb1EPKlPlSM_SN_N2at6native12_GLOBAL__N_18offset_tEEE10hipError_tPvRmT1_PNSt15iterator_traitsISV_E10value_typeET2_T3_PNSW_IS11_E10value_typeET4_jRbjT5_S17_jjP12ihipStream_tbEUljE_EEESS_ST_SU_S11_S15_S17_T6_T7_T9_mT8_S19_bDpT10_ENKUlT_T0_E_clISt17integral_constantIbLb0EES1L_IbLb1EEEEDaS1H_S1I_EUlS1H_E_NS1_11comp_targetILNS1_3genE2ELNS1_11target_archE906ELNS1_3gpuE6ELNS1_3repE0EEENS1_30default_config_static_selectorELNS0_4arch9wavefront6targetE0EEEvSV_.uses_vcc, 0
	.set _ZN7rocprim17ROCPRIM_400000_NS6detail17trampoline_kernelINS0_13select_configILj256ELj13ELNS0_17block_load_methodE3ELS4_3ELS4_3ELNS0_20block_scan_algorithmE0ELj4294967295EEENS1_25partition_config_selectorILNS1_17partition_subalgoE3EjNS0_10empty_typeEbEEZZNS1_14partition_implILS8_3ELb0ES6_jNS0_17counting_iteratorIjlEEPS9_SE_NS0_5tupleIJPjSE_EEENSF_IJSE_SE_EEES9_SG_JZNS1_25segmented_radix_sort_implINS0_14default_configELb1EPKlPlSM_SN_N2at6native12_GLOBAL__N_18offset_tEEE10hipError_tPvRmT1_PNSt15iterator_traitsISV_E10value_typeET2_T3_PNSW_IS11_E10value_typeET4_jRbjT5_S17_jjP12ihipStream_tbEUljE_EEESS_ST_SU_S11_S15_S17_T6_T7_T9_mT8_S19_bDpT10_ENKUlT_T0_E_clISt17integral_constantIbLb0EES1L_IbLb1EEEEDaS1H_S1I_EUlS1H_E_NS1_11comp_targetILNS1_3genE2ELNS1_11target_archE906ELNS1_3gpuE6ELNS1_3repE0EEENS1_30default_config_static_selectorELNS0_4arch9wavefront6targetE0EEEvSV_.uses_flat_scratch, 0
	.set _ZN7rocprim17ROCPRIM_400000_NS6detail17trampoline_kernelINS0_13select_configILj256ELj13ELNS0_17block_load_methodE3ELS4_3ELS4_3ELNS0_20block_scan_algorithmE0ELj4294967295EEENS1_25partition_config_selectorILNS1_17partition_subalgoE3EjNS0_10empty_typeEbEEZZNS1_14partition_implILS8_3ELb0ES6_jNS0_17counting_iteratorIjlEEPS9_SE_NS0_5tupleIJPjSE_EEENSF_IJSE_SE_EEES9_SG_JZNS1_25segmented_radix_sort_implINS0_14default_configELb1EPKlPlSM_SN_N2at6native12_GLOBAL__N_18offset_tEEE10hipError_tPvRmT1_PNSt15iterator_traitsISV_E10value_typeET2_T3_PNSW_IS11_E10value_typeET4_jRbjT5_S17_jjP12ihipStream_tbEUljE_EEESS_ST_SU_S11_S15_S17_T6_T7_T9_mT8_S19_bDpT10_ENKUlT_T0_E_clISt17integral_constantIbLb0EES1L_IbLb1EEEEDaS1H_S1I_EUlS1H_E_NS1_11comp_targetILNS1_3genE2ELNS1_11target_archE906ELNS1_3gpuE6ELNS1_3repE0EEENS1_30default_config_static_selectorELNS0_4arch9wavefront6targetE0EEEvSV_.has_dyn_sized_stack, 0
	.set _ZN7rocprim17ROCPRIM_400000_NS6detail17trampoline_kernelINS0_13select_configILj256ELj13ELNS0_17block_load_methodE3ELS4_3ELS4_3ELNS0_20block_scan_algorithmE0ELj4294967295EEENS1_25partition_config_selectorILNS1_17partition_subalgoE3EjNS0_10empty_typeEbEEZZNS1_14partition_implILS8_3ELb0ES6_jNS0_17counting_iteratorIjlEEPS9_SE_NS0_5tupleIJPjSE_EEENSF_IJSE_SE_EEES9_SG_JZNS1_25segmented_radix_sort_implINS0_14default_configELb1EPKlPlSM_SN_N2at6native12_GLOBAL__N_18offset_tEEE10hipError_tPvRmT1_PNSt15iterator_traitsISV_E10value_typeET2_T3_PNSW_IS11_E10value_typeET4_jRbjT5_S17_jjP12ihipStream_tbEUljE_EEESS_ST_SU_S11_S15_S17_T6_T7_T9_mT8_S19_bDpT10_ENKUlT_T0_E_clISt17integral_constantIbLb0EES1L_IbLb1EEEEDaS1H_S1I_EUlS1H_E_NS1_11comp_targetILNS1_3genE2ELNS1_11target_archE906ELNS1_3gpuE6ELNS1_3repE0EEENS1_30default_config_static_selectorELNS0_4arch9wavefront6targetE0EEEvSV_.has_recursion, 0
	.set _ZN7rocprim17ROCPRIM_400000_NS6detail17trampoline_kernelINS0_13select_configILj256ELj13ELNS0_17block_load_methodE3ELS4_3ELS4_3ELNS0_20block_scan_algorithmE0ELj4294967295EEENS1_25partition_config_selectorILNS1_17partition_subalgoE3EjNS0_10empty_typeEbEEZZNS1_14partition_implILS8_3ELb0ES6_jNS0_17counting_iteratorIjlEEPS9_SE_NS0_5tupleIJPjSE_EEENSF_IJSE_SE_EEES9_SG_JZNS1_25segmented_radix_sort_implINS0_14default_configELb1EPKlPlSM_SN_N2at6native12_GLOBAL__N_18offset_tEEE10hipError_tPvRmT1_PNSt15iterator_traitsISV_E10value_typeET2_T3_PNSW_IS11_E10value_typeET4_jRbjT5_S17_jjP12ihipStream_tbEUljE_EEESS_ST_SU_S11_S15_S17_T6_T7_T9_mT8_S19_bDpT10_ENKUlT_T0_E_clISt17integral_constantIbLb0EES1L_IbLb1EEEEDaS1H_S1I_EUlS1H_E_NS1_11comp_targetILNS1_3genE2ELNS1_11target_archE906ELNS1_3gpuE6ELNS1_3repE0EEENS1_30default_config_static_selectorELNS0_4arch9wavefront6targetE0EEEvSV_.has_indirect_call, 0
	.section	.AMDGPU.csdata,"",@progbits
; Kernel info:
; codeLenInByte = 0
; TotalNumSgprs: 0
; NumVgprs: 0
; ScratchSize: 0
; MemoryBound: 0
; FloatMode: 240
; IeeeMode: 1
; LDSByteSize: 0 bytes/workgroup (compile time only)
; SGPRBlocks: 0
; VGPRBlocks: 0
; NumSGPRsForWavesPerEU: 1
; NumVGPRsForWavesPerEU: 1
; Occupancy: 16
; WaveLimiterHint : 0
; COMPUTE_PGM_RSRC2:SCRATCH_EN: 0
; COMPUTE_PGM_RSRC2:USER_SGPR: 2
; COMPUTE_PGM_RSRC2:TRAP_HANDLER: 0
; COMPUTE_PGM_RSRC2:TGID_X_EN: 1
; COMPUTE_PGM_RSRC2:TGID_Y_EN: 0
; COMPUTE_PGM_RSRC2:TGID_Z_EN: 0
; COMPUTE_PGM_RSRC2:TIDIG_COMP_CNT: 0
	.section	.text._ZN7rocprim17ROCPRIM_400000_NS6detail17trampoline_kernelINS0_13select_configILj256ELj13ELNS0_17block_load_methodE3ELS4_3ELS4_3ELNS0_20block_scan_algorithmE0ELj4294967295EEENS1_25partition_config_selectorILNS1_17partition_subalgoE3EjNS0_10empty_typeEbEEZZNS1_14partition_implILS8_3ELb0ES6_jNS0_17counting_iteratorIjlEEPS9_SE_NS0_5tupleIJPjSE_EEENSF_IJSE_SE_EEES9_SG_JZNS1_25segmented_radix_sort_implINS0_14default_configELb1EPKlPlSM_SN_N2at6native12_GLOBAL__N_18offset_tEEE10hipError_tPvRmT1_PNSt15iterator_traitsISV_E10value_typeET2_T3_PNSW_IS11_E10value_typeET4_jRbjT5_S17_jjP12ihipStream_tbEUljE_EEESS_ST_SU_S11_S15_S17_T6_T7_T9_mT8_S19_bDpT10_ENKUlT_T0_E_clISt17integral_constantIbLb0EES1L_IbLb1EEEEDaS1H_S1I_EUlS1H_E_NS1_11comp_targetILNS1_3genE10ELNS1_11target_archE1200ELNS1_3gpuE4ELNS1_3repE0EEENS1_30default_config_static_selectorELNS0_4arch9wavefront6targetE0EEEvSV_,"axG",@progbits,_ZN7rocprim17ROCPRIM_400000_NS6detail17trampoline_kernelINS0_13select_configILj256ELj13ELNS0_17block_load_methodE3ELS4_3ELS4_3ELNS0_20block_scan_algorithmE0ELj4294967295EEENS1_25partition_config_selectorILNS1_17partition_subalgoE3EjNS0_10empty_typeEbEEZZNS1_14partition_implILS8_3ELb0ES6_jNS0_17counting_iteratorIjlEEPS9_SE_NS0_5tupleIJPjSE_EEENSF_IJSE_SE_EEES9_SG_JZNS1_25segmented_radix_sort_implINS0_14default_configELb1EPKlPlSM_SN_N2at6native12_GLOBAL__N_18offset_tEEE10hipError_tPvRmT1_PNSt15iterator_traitsISV_E10value_typeET2_T3_PNSW_IS11_E10value_typeET4_jRbjT5_S17_jjP12ihipStream_tbEUljE_EEESS_ST_SU_S11_S15_S17_T6_T7_T9_mT8_S19_bDpT10_ENKUlT_T0_E_clISt17integral_constantIbLb0EES1L_IbLb1EEEEDaS1H_S1I_EUlS1H_E_NS1_11comp_targetILNS1_3genE10ELNS1_11target_archE1200ELNS1_3gpuE4ELNS1_3repE0EEENS1_30default_config_static_selectorELNS0_4arch9wavefront6targetE0EEEvSV_,comdat
	.globl	_ZN7rocprim17ROCPRIM_400000_NS6detail17trampoline_kernelINS0_13select_configILj256ELj13ELNS0_17block_load_methodE3ELS4_3ELS4_3ELNS0_20block_scan_algorithmE0ELj4294967295EEENS1_25partition_config_selectorILNS1_17partition_subalgoE3EjNS0_10empty_typeEbEEZZNS1_14partition_implILS8_3ELb0ES6_jNS0_17counting_iteratorIjlEEPS9_SE_NS0_5tupleIJPjSE_EEENSF_IJSE_SE_EEES9_SG_JZNS1_25segmented_radix_sort_implINS0_14default_configELb1EPKlPlSM_SN_N2at6native12_GLOBAL__N_18offset_tEEE10hipError_tPvRmT1_PNSt15iterator_traitsISV_E10value_typeET2_T3_PNSW_IS11_E10value_typeET4_jRbjT5_S17_jjP12ihipStream_tbEUljE_EEESS_ST_SU_S11_S15_S17_T6_T7_T9_mT8_S19_bDpT10_ENKUlT_T0_E_clISt17integral_constantIbLb0EES1L_IbLb1EEEEDaS1H_S1I_EUlS1H_E_NS1_11comp_targetILNS1_3genE10ELNS1_11target_archE1200ELNS1_3gpuE4ELNS1_3repE0EEENS1_30default_config_static_selectorELNS0_4arch9wavefront6targetE0EEEvSV_ ; -- Begin function _ZN7rocprim17ROCPRIM_400000_NS6detail17trampoline_kernelINS0_13select_configILj256ELj13ELNS0_17block_load_methodE3ELS4_3ELS4_3ELNS0_20block_scan_algorithmE0ELj4294967295EEENS1_25partition_config_selectorILNS1_17partition_subalgoE3EjNS0_10empty_typeEbEEZZNS1_14partition_implILS8_3ELb0ES6_jNS0_17counting_iteratorIjlEEPS9_SE_NS0_5tupleIJPjSE_EEENSF_IJSE_SE_EEES9_SG_JZNS1_25segmented_radix_sort_implINS0_14default_configELb1EPKlPlSM_SN_N2at6native12_GLOBAL__N_18offset_tEEE10hipError_tPvRmT1_PNSt15iterator_traitsISV_E10value_typeET2_T3_PNSW_IS11_E10value_typeET4_jRbjT5_S17_jjP12ihipStream_tbEUljE_EEESS_ST_SU_S11_S15_S17_T6_T7_T9_mT8_S19_bDpT10_ENKUlT_T0_E_clISt17integral_constantIbLb0EES1L_IbLb1EEEEDaS1H_S1I_EUlS1H_E_NS1_11comp_targetILNS1_3genE10ELNS1_11target_archE1200ELNS1_3gpuE4ELNS1_3repE0EEENS1_30default_config_static_selectorELNS0_4arch9wavefront6targetE0EEEvSV_
	.p2align	8
	.type	_ZN7rocprim17ROCPRIM_400000_NS6detail17trampoline_kernelINS0_13select_configILj256ELj13ELNS0_17block_load_methodE3ELS4_3ELS4_3ELNS0_20block_scan_algorithmE0ELj4294967295EEENS1_25partition_config_selectorILNS1_17partition_subalgoE3EjNS0_10empty_typeEbEEZZNS1_14partition_implILS8_3ELb0ES6_jNS0_17counting_iteratorIjlEEPS9_SE_NS0_5tupleIJPjSE_EEENSF_IJSE_SE_EEES9_SG_JZNS1_25segmented_radix_sort_implINS0_14default_configELb1EPKlPlSM_SN_N2at6native12_GLOBAL__N_18offset_tEEE10hipError_tPvRmT1_PNSt15iterator_traitsISV_E10value_typeET2_T3_PNSW_IS11_E10value_typeET4_jRbjT5_S17_jjP12ihipStream_tbEUljE_EEESS_ST_SU_S11_S15_S17_T6_T7_T9_mT8_S19_bDpT10_ENKUlT_T0_E_clISt17integral_constantIbLb0EES1L_IbLb1EEEEDaS1H_S1I_EUlS1H_E_NS1_11comp_targetILNS1_3genE10ELNS1_11target_archE1200ELNS1_3gpuE4ELNS1_3repE0EEENS1_30default_config_static_selectorELNS0_4arch9wavefront6targetE0EEEvSV_,@function
_ZN7rocprim17ROCPRIM_400000_NS6detail17trampoline_kernelINS0_13select_configILj256ELj13ELNS0_17block_load_methodE3ELS4_3ELS4_3ELNS0_20block_scan_algorithmE0ELj4294967295EEENS1_25partition_config_selectorILNS1_17partition_subalgoE3EjNS0_10empty_typeEbEEZZNS1_14partition_implILS8_3ELb0ES6_jNS0_17counting_iteratorIjlEEPS9_SE_NS0_5tupleIJPjSE_EEENSF_IJSE_SE_EEES9_SG_JZNS1_25segmented_radix_sort_implINS0_14default_configELb1EPKlPlSM_SN_N2at6native12_GLOBAL__N_18offset_tEEE10hipError_tPvRmT1_PNSt15iterator_traitsISV_E10value_typeET2_T3_PNSW_IS11_E10value_typeET4_jRbjT5_S17_jjP12ihipStream_tbEUljE_EEESS_ST_SU_S11_S15_S17_T6_T7_T9_mT8_S19_bDpT10_ENKUlT_T0_E_clISt17integral_constantIbLb0EES1L_IbLb1EEEEDaS1H_S1I_EUlS1H_E_NS1_11comp_targetILNS1_3genE10ELNS1_11target_archE1200ELNS1_3gpuE4ELNS1_3repE0EEENS1_30default_config_static_selectorELNS0_4arch9wavefront6targetE0EEEvSV_: ; @_ZN7rocprim17ROCPRIM_400000_NS6detail17trampoline_kernelINS0_13select_configILj256ELj13ELNS0_17block_load_methodE3ELS4_3ELS4_3ELNS0_20block_scan_algorithmE0ELj4294967295EEENS1_25partition_config_selectorILNS1_17partition_subalgoE3EjNS0_10empty_typeEbEEZZNS1_14partition_implILS8_3ELb0ES6_jNS0_17counting_iteratorIjlEEPS9_SE_NS0_5tupleIJPjSE_EEENSF_IJSE_SE_EEES9_SG_JZNS1_25segmented_radix_sort_implINS0_14default_configELb1EPKlPlSM_SN_N2at6native12_GLOBAL__N_18offset_tEEE10hipError_tPvRmT1_PNSt15iterator_traitsISV_E10value_typeET2_T3_PNSW_IS11_E10value_typeET4_jRbjT5_S17_jjP12ihipStream_tbEUljE_EEESS_ST_SU_S11_S15_S17_T6_T7_T9_mT8_S19_bDpT10_ENKUlT_T0_E_clISt17integral_constantIbLb0EES1L_IbLb1EEEEDaS1H_S1I_EUlS1H_E_NS1_11comp_targetILNS1_3genE10ELNS1_11target_archE1200ELNS1_3gpuE4ELNS1_3repE0EEENS1_30default_config_static_selectorELNS0_4arch9wavefront6targetE0EEEvSV_
; %bb.0:
	s_clause 0x6
	s_load_b64 s[16:17], s[0:1], 0x10
	s_load_b64 s[10:11], s[0:1], 0x28
	;; [unrolled: 1-line block ×3, first 2 shown]
	s_load_b128 s[12:15], s[0:1], 0x48
	s_load_b32 s3, s[0:1], 0x90
	s_load_b64 s[20:21], s[0:1], 0x68
	s_load_b128 s[4:7], s[0:1], 0x80
	v_cmp_eq_u32_e64 s2, 0, v0
	s_and_saveexec_b32 s8, s2
	s_cbranch_execz .LBB701_4
; %bb.1:
	s_mov_b32 s22, exec_lo
	s_mov_b32 s9, exec_lo
	v_mbcnt_lo_u32_b32 v1, s22, 0
                                        ; implicit-def: $vgpr2
	s_delay_alu instid0(VALU_DEP_1)
	v_cmpx_eq_u32_e32 0, v1
	s_cbranch_execz .LBB701_3
; %bb.2:
	s_load_b64 s[24:25], s[0:1], 0x78
	s_bcnt1_i32_b32 s22, s22
	s_wait_alu 0xfffe
	v_dual_mov_b32 v2, 0 :: v_dual_mov_b32 v3, s22
	s_wait_kmcnt 0x0
	global_atomic_add_u32 v2, v2, v3, s[24:25] th:TH_ATOMIC_RETURN scope:SCOPE_DEV
.LBB701_3:
	s_or_b32 exec_lo, exec_lo, s9
	s_wait_loadcnt 0x0
	v_readfirstlane_b32 s9, v2
	s_delay_alu instid0(VALU_DEP_1)
	v_dual_mov_b32 v2, 0 :: v_dual_add_nc_u32 v1, s9, v1
	ds_store_b32 v2, v1
.LBB701_4:
	s_or_b32 exec_lo, exec_lo, s8
	v_mov_b32_e32 v1, 0
	s_clause 0x1
	s_load_b32 s8, s[0:1], 0x8
	s_load_b32 s0, s[0:1], 0x70
	s_wait_dscnt 0x0
	s_barrier_signal -1
	s_barrier_wait -1
	global_inv scope:SCOPE_SE
	ds_load_b32 v2, v1
	s_wait_loadcnt_dscnt 0x0
	s_barrier_signal -1
	s_barrier_wait -1
	global_inv scope:SCOPE_SE
	s_wait_kmcnt 0x0
	global_load_b64 v[17:18], v1, s[14:15]
	s_mov_b32 s1, 0
	v_lshlrev_b32_e32 v45, 2, v0
	s_mov_b32 s23, -1
	s_add_co_i32 s8, s8, s16
	s_add_co_i32 s9, s0, -1
	s_mulk_i32 s0, 0xd00
	s_delay_alu instid0(SALU_CYCLE_1)
	s_add_co_i32 s14, s0, s16
	s_add_nc_u64 s[0:1], s[16:17], s[0:1]
	v_readfirstlane_b32 s15, v2
	v_cmp_gt_u64_e64 s0, s[18:19], s[0:1]
	s_sub_co_i32 s22, s18, s14
	s_wait_alu 0xfffe
	v_cmp_ne_u32_e32 vcc_lo, s9, v2
	s_addk_co_i32 s22, 0xd00
	s_cmp_eq_u32 s15, s9
	s_mul_i32 s14, s15, 0xd00
	s_cselect_b32 s9, -1, 0
	s_or_b32 s1, s0, vcc_lo
	s_wait_alu 0xfffe
	s_and_b32 vcc_lo, exec_lo, s1
	s_cbranch_vccz .LBB701_6
; %bb.5:
	v_add3_u32 v1, s14, s8, v0
	s_mov_b32 s23, 0
	s_delay_alu instid0(VALU_DEP_1)
	v_add_nc_u32_e32 v2, 0x100, v1
	v_add_nc_u32_e32 v3, 0x200, v1
	;; [unrolled: 1-line block ×12, first 2 shown]
	ds_store_2addr_stride64_b32 v45, v1, v2 offset1:4
	ds_store_2addr_stride64_b32 v45, v3, v4 offset0:8 offset1:12
	ds_store_2addr_stride64_b32 v45, v5, v6 offset0:16 offset1:20
	;; [unrolled: 1-line block ×5, first 2 shown]
	ds_store_b32 v45, v13 offset:12288
	s_wait_loadcnt_dscnt 0x0
	s_barrier_signal -1
	s_barrier_wait -1
.LBB701_6:
	v_cmp_gt_u32_e64 s0, s22, v0
	v_or_b32_e32 v44, 0x100, v0
	v_or_b32_e32 v43, 0x200, v0
	;; [unrolled: 1-line block ×12, first 2 shown]
	s_wait_alu 0xfffe
	s_and_not1_b32 vcc_lo, exec_lo, s23
	s_cbranch_vccnz .LBB701_8
; %bb.7:
	s_add_co_i32 s8, s14, s8
	v_cmp_gt_u32_e32 vcc_lo, s22, v44
	s_wait_alu 0xfffe
	v_add_nc_u32_e32 v13, s8, v33
	v_add_nc_u32_e32 v12, s8, v34
	;; [unrolled: 1-line block ×12, first 2 shown]
	s_delay_alu instid0(VALU_DEP_1) | instskip(SKIP_1) | instid1(VALU_DEP_2)
	v_dual_cndmask_b32 v2, 0, v2 :: v_dual_add_nc_u32 v1, s8, v0
	v_cmp_gt_u32_e32 vcc_lo, s22, v43
	v_cndmask_b32_e64 v1, 0, v1, s0
	s_wait_alu 0xfffd
	v_cndmask_b32_e32 v3, 0, v3, vcc_lo
	v_cmp_gt_u32_e32 vcc_lo, s22, v42
	s_wait_alu 0xfffd
	v_cndmask_b32_e32 v4, 0, v4, vcc_lo
	v_cmp_gt_u32_e32 vcc_lo, s22, v41
	;; [unrolled: 3-line block ×10, first 2 shown]
	s_wait_alu 0xfffd
	v_cndmask_b32_e32 v13, 0, v13, vcc_lo
	ds_store_2addr_stride64_b32 v45, v1, v2 offset1:4
	ds_store_2addr_stride64_b32 v45, v3, v4 offset0:8 offset1:12
	ds_store_2addr_stride64_b32 v45, v5, v6 offset0:16 offset1:20
	;; [unrolled: 1-line block ×5, first 2 shown]
	ds_store_b32 v45, v13 offset:12288
	s_wait_loadcnt_dscnt 0x0
	s_barrier_signal -1
	s_barrier_wait -1
.LBB701_8:
	v_mul_u32_u24_e32 v48, 13, v0
	s_wait_loadcnt 0x0
	global_inv scope:SCOPE_SE
	v_cndmask_b32_e64 v46, 0, 1, s1
	s_and_not1_b32 vcc_lo, exec_lo, s1
	v_lshlrev_b32_e32 v1, 2, v48
	ds_load_2addr_b32 v[29:30], v1 offset0:2 offset1:3
	ds_load_2addr_b32 v[25:26], v1 offset0:6 offset1:7
	;; [unrolled: 1-line block ×3, first 2 shown]
	ds_load_2addr_b32 v[31:32], v1 offset1:1
	ds_load_2addr_b32 v[21:22], v1 offset0:10 offset1:11
	ds_load_b32 v47, v1 offset:48
	ds_load_2addr_b32 v[23:24], v1 offset0:8 offset1:9
	s_wait_loadcnt_dscnt 0x0
	s_barrier_signal -1
	s_barrier_wait -1
	global_inv scope:SCOPE_SE
	s_wait_alu 0xfffe
	s_cbranch_vccnz .LBB701_10
; %bb.9:
	v_add_nc_u32_e32 v1, s5, v30
	v_add_nc_u32_e32 v2, s7, v30
	;; [unrolled: 1-line block ×5, first 2 shown]
	v_mul_lo_u32 v1, v1, s4
	v_mul_lo_u32 v2, v2, s6
	v_add_nc_u32_e32 v8, s7, v29
	v_add_nc_u32_e32 v3, s5, v32
	;; [unrolled: 1-line block ×3, first 2 shown]
	v_mul_lo_u32 v5, v5, s4
	v_mul_lo_u32 v4, v4, s4
	v_add_nc_u32_e32 v9, s5, v27
	v_mul_lo_u32 v3, v3, s4
	v_sub_nc_u32_e32 v1, v1, v2
	v_mul_lo_u32 v2, v7, s6
	v_mul_lo_u32 v7, v8, s6
	;; [unrolled: 1-line block ×3, first 2 shown]
	v_add_nc_u32_e32 v8, s5, v28
	v_add_nc_u32_e32 v10, s7, v27
	v_mul_lo_u32 v9, v9, s4
	v_cmp_lt_u32_e32 vcc_lo, s3, v1
	v_add_nc_u32_e32 v14, s7, v22
	v_sub_nc_u32_e32 v2, v4, v2
	v_sub_nc_u32_e32 v4, v5, v7
	v_add_nc_u32_e32 v5, s7, v28
	v_sub_nc_u32_e32 v3, v3, v6
	v_add_nc_u32_e32 v6, s5, v26
	v_add_nc_u32_e32 v7, s7, v26
	v_mul_lo_u32 v8, v8, s4
	v_mul_lo_u32 v5, v5, s6
	;; [unrolled: 1-line block ×5, first 2 shown]
	s_wait_alu 0xfffd
	v_cndmask_b32_e64 v1, 0, 1, vcc_lo
	v_cmp_lt_u32_e32 vcc_lo, s3, v3
	v_mul_lo_u32 v14, v14, s6
	v_add_nc_u32_e32 v15, s7, v24
	v_sub_nc_u32_e32 v5, v8, v5
	v_add_nc_u32_e32 v8, s7, v25
	s_wait_alu 0xfffd
	v_cndmask_b32_e64 v3, 0, 1, vcc_lo
	v_sub_nc_u32_e32 v6, v6, v7
	v_mul_lo_u32 v15, v15, s6
	v_cmp_lt_u32_e32 vcc_lo, s3, v5
	v_mul_lo_u32 v7, v8, s6
	v_sub_nc_u32_e32 v8, v9, v10
	v_add_nc_u32_e32 v9, s5, v22
	v_add_nc_u32_e32 v10, s5, v24
	s_wait_alu 0xfffd
	v_cndmask_b32_e64 v5, 0, 1, vcc_lo
	v_cmp_lt_u32_e32 vcc_lo, s3, v6
	v_add_nc_u32_e32 v11, s5, v25
	v_mul_lo_u32 v9, v9, s4
	v_mul_lo_u32 v10, v10, s4
	v_add_nc_u32_e32 v12, s5, v23
	s_wait_alu 0xfffd
	v_cndmask_b32_e64 v6, 0, 1, vcc_lo
	v_mul_lo_u32 v11, v11, s4
	v_add_nc_u32_e32 v16, s7, v23
	v_lshlrev_b16 v3, 8, v3
	v_add_nc_u32_e32 v13, s5, v21
	v_sub_nc_u32_e32 v9, v9, v14
	v_sub_nc_u32_e32 v10, v10, v15
	v_add_nc_u32_e32 v19, s7, v21
	v_mul_lo_u32 v12, v12, s4
	v_mul_lo_u32 v16, v16, s6
	v_cmp_lt_u32_e32 vcc_lo, s3, v9
	v_sub_nc_u32_e32 v7, v11, v7
	v_lshrrev_b32_e32 v3, 8, v3
	v_mul_lo_u32 v11, v13, s4
	v_mul_lo_u32 v13, v19, s6
	s_wait_alu 0xfffd
	v_cndmask_b32_e64 v9, 0, 1, vcc_lo
	v_cmp_lt_u32_e32 vcc_lo, s3, v2
	v_sub_nc_u32_e32 v12, v12, v16
	v_lshlrev_b16 v3, 8, v3
	v_lshlrev_b16 v1, 8, v1
	;; [unrolled: 1-line block ×3, first 2 shown]
	s_wait_alu 0xfffd
	v_cndmask_b32_e64 v2, 0, 1, vcc_lo
	v_cmp_lt_u32_e32 vcc_lo, s3, v10
	v_sub_nc_u32_e32 v11, v11, v13
	v_add_nc_u32_e32 v14, s5, v47
	v_add_nc_u32_e32 v15, s7, v47
	v_or_b32_e32 v2, v2, v3
	s_wait_alu 0xfffd
	v_cndmask_b32_e64 v10, 0, 1, vcc_lo
	v_cmp_lt_u32_e32 vcc_lo, s3, v4
	v_lshlrev_b16 v3, 8, v9
	v_lshrrev_b32_e32 v5, 8, v5
	v_lshrrev_b32_e32 v1, 8, v1
	v_lshlrev_b16 v9, 8, v10
	s_wait_alu 0xfffd
	v_cndmask_b32_e64 v4, 0, 1, vcc_lo
	v_cmp_lt_u32_e32 vcc_lo, s3, v8
	v_lshrrev_b32_e32 v3, 8, v3
	v_mul_lo_u32 v14, v14, s4
	v_lshrrev_b32_e32 v9, 8, v9
	v_mul_lo_u32 v15, v15, s6
	s_wait_alu 0xfffd
	v_cndmask_b32_e64 v8, 0, 1, vcc_lo
	v_cmp_lt_u32_e32 vcc_lo, s3, v7
	v_lshlrev_b16 v6, 8, v6
	v_lshlrev_b16 v1, 8, v1
	;; [unrolled: 1-line block ×4, first 2 shown]
	s_wait_alu 0xfffd
	v_cndmask_b32_e64 v7, 0, 1, vcc_lo
	v_cmp_lt_u32_e32 vcc_lo, s3, v12
	v_lshlrev_b16 v3, 8, v3
	v_sub_nc_u32_e32 v10, v14, v15
	v_or_b32_e32 v1, v4, v1
	v_or_b32_e32 v4, v8, v5
	s_wait_alu 0xfffd
	v_cndmask_b32_e64 v12, 0, 1, vcc_lo
	v_cmp_lt_u32_e32 vcc_lo, s3, v11
	v_or_b32_e32 v5, v7, v6
	v_and_b32_e32 v2, 0xffff, v2
	v_lshlrev_b32_e32 v1, 16, v1
	v_or_b32_e32 v6, v12, v9
	s_wait_alu 0xfffd
	v_cndmask_b32_e64 v11, 0, 1, vcc_lo
	v_and_b32_e32 v4, 0xffff, v4
	v_lshlrev_b32_e32 v5, 16, v5
	v_cmp_lt_u32_e32 vcc_lo, s3, v10
	v_and_b32_e32 v6, 0xffff, v6
	v_or_b32_e32 v3, v11, v3
	v_or_b32_e32 v54, v2, v1
	;; [unrolled: 1-line block ×3, first 2 shown]
	s_wait_alu 0xfffd
	v_cndmask_b32_e64 v49, 0, 1, vcc_lo
	v_lshlrev_b32_e32 v3, 16, v3
	s_delay_alu instid0(VALU_DEP_1)
	v_or_b32_e32 v50, v6, v3
	s_cbranch_execz .LBB701_11
	s_branch .LBB701_38
.LBB701_10:
                                        ; implicit-def: $vgpr49
                                        ; implicit-def: $vgpr50
                                        ; implicit-def: $vgpr52
                                        ; implicit-def: $vgpr54
.LBB701_11:
	v_dual_mov_b32 v2, 0 :: v_dual_mov_b32 v1, 0
	s_mov_b32 s0, exec_lo
	v_cmpx_gt_u32_e64 s22, v48
	s_cbranch_execz .LBB701_13
; %bb.12:
	v_add_nc_u32_e32 v1, s5, v31
	v_add_nc_u32_e32 v3, s7, v31
	s_delay_alu instid0(VALU_DEP_2) | instskip(NEXT) | instid1(VALU_DEP_2)
	v_mul_lo_u32 v1, v1, s4
	v_mul_lo_u32 v3, v3, s6
	s_delay_alu instid0(VALU_DEP_1) | instskip(NEXT) | instid1(VALU_DEP_1)
	v_sub_nc_u32_e32 v1, v1, v3
	v_cmp_lt_u32_e32 vcc_lo, s3, v1
	s_wait_alu 0xfffd
	v_cndmask_b32_e64 v1, 0, 1, vcc_lo
.LBB701_13:
	s_wait_alu 0xfffe
	s_or_b32 exec_lo, exec_lo, s0
	v_add_nc_u32_e32 v3, 1, v48
	s_mov_b32 s0, exec_lo
	s_delay_alu instid0(VALU_DEP_1)
	v_cmpx_gt_u32_e64 s22, v3
	s_cbranch_execz .LBB701_15
; %bb.14:
	v_add_nc_u32_e32 v2, s5, v32
	v_add_nc_u32_e32 v3, s7, v32
	s_delay_alu instid0(VALU_DEP_2) | instskip(NEXT) | instid1(VALU_DEP_2)
	v_mul_lo_u32 v2, v2, s4
	v_mul_lo_u32 v3, v3, s6
	s_delay_alu instid0(VALU_DEP_1) | instskip(NEXT) | instid1(VALU_DEP_1)
	v_sub_nc_u32_e32 v2, v2, v3
	v_cmp_lt_u32_e32 vcc_lo, s3, v2
	s_wait_alu 0xfffd
	v_cndmask_b32_e64 v2, 0, 1, vcc_lo
.LBB701_15:
	s_wait_alu 0xfffe
	s_or_b32 exec_lo, exec_lo, s0
	v_dual_mov_b32 v4, 0 :: v_dual_add_nc_u32 v3, 2, v48
	s_delay_alu instid0(VALU_DEP_1)
	v_cmp_gt_u32_e32 vcc_lo, s22, v3
	v_mov_b32_e32 v3, 0
	s_and_saveexec_b32 s0, vcc_lo
	s_cbranch_execz .LBB701_17
; %bb.16:
	v_add_nc_u32_e32 v3, s5, v29
	v_add_nc_u32_e32 v5, s7, v29
	s_delay_alu instid0(VALU_DEP_2) | instskip(NEXT) | instid1(VALU_DEP_2)
	v_mul_lo_u32 v3, v3, s4
	v_mul_lo_u32 v5, v5, s6
	s_delay_alu instid0(VALU_DEP_1) | instskip(NEXT) | instid1(VALU_DEP_1)
	v_sub_nc_u32_e32 v3, v3, v5
	v_cmp_lt_u32_e32 vcc_lo, s3, v3
	s_wait_alu 0xfffd
	v_cndmask_b32_e64 v3, 0, 1, vcc_lo
.LBB701_17:
	s_wait_alu 0xfffe
	s_or_b32 exec_lo, exec_lo, s0
	v_add_nc_u32_e32 v5, 3, v48
	s_mov_b32 s0, exec_lo
	s_delay_alu instid0(VALU_DEP_1)
	v_cmpx_gt_u32_e64 s22, v5
	s_cbranch_execz .LBB701_19
; %bb.18:
	v_add_nc_u32_e32 v4, s5, v30
	v_add_nc_u32_e32 v5, s7, v30
	s_delay_alu instid0(VALU_DEP_2) | instskip(NEXT) | instid1(VALU_DEP_2)
	v_mul_lo_u32 v4, v4, s4
	v_mul_lo_u32 v5, v5, s6
	s_delay_alu instid0(VALU_DEP_1) | instskip(NEXT) | instid1(VALU_DEP_1)
	v_sub_nc_u32_e32 v4, v4, v5
	v_cmp_lt_u32_e32 vcc_lo, s3, v4
	s_wait_alu 0xfffd
	v_cndmask_b32_e64 v4, 0, 1, vcc_lo
.LBB701_19:
	s_wait_alu 0xfffe
	s_or_b32 exec_lo, exec_lo, s0
	v_dual_mov_b32 v6, 0 :: v_dual_add_nc_u32 v5, 4, v48
	s_delay_alu instid0(VALU_DEP_1)
	v_cmp_gt_u32_e32 vcc_lo, s22, v5
	v_mov_b32_e32 v5, 0
	s_and_saveexec_b32 s0, vcc_lo
	;; [unrolled: 39-line block ×5, first 2 shown]
	s_cbranch_execz .LBB701_33
; %bb.32:
	v_add_nc_u32_e32 v11, s5, v21
	v_add_nc_u32_e32 v13, s7, v21
	s_delay_alu instid0(VALU_DEP_2) | instskip(NEXT) | instid1(VALU_DEP_2)
	v_mul_lo_u32 v11, v11, s4
	v_mul_lo_u32 v13, v13, s6
	s_delay_alu instid0(VALU_DEP_1) | instskip(NEXT) | instid1(VALU_DEP_1)
	v_sub_nc_u32_e32 v11, v11, v13
	v_cmp_lt_u32_e32 vcc_lo, s3, v11
	s_wait_alu 0xfffd
	v_cndmask_b32_e64 v11, 0, 1, vcc_lo
.LBB701_33:
	s_wait_alu 0xfffe
	s_or_b32 exec_lo, exec_lo, s0
	v_add_nc_u32_e32 v13, 11, v48
	s_mov_b32 s0, exec_lo
	s_delay_alu instid0(VALU_DEP_1)
	v_cmpx_gt_u32_e64 s22, v13
	s_cbranch_execz .LBB701_35
; %bb.34:
	v_add_nc_u32_e32 v12, s5, v22
	v_add_nc_u32_e32 v13, s7, v22
	s_delay_alu instid0(VALU_DEP_2) | instskip(NEXT) | instid1(VALU_DEP_2)
	v_mul_lo_u32 v12, v12, s4
	v_mul_lo_u32 v13, v13, s6
	s_delay_alu instid0(VALU_DEP_1) | instskip(NEXT) | instid1(VALU_DEP_1)
	v_sub_nc_u32_e32 v12, v12, v13
	v_cmp_lt_u32_e32 vcc_lo, s3, v12
	s_wait_alu 0xfffd
	v_cndmask_b32_e64 v12, 0, 1, vcc_lo
.LBB701_35:
	s_wait_alu 0xfffe
	s_or_b32 exec_lo, exec_lo, s0
	v_add_nc_u32_e32 v13, 12, v48
	v_mov_b32_e32 v49, 0
	s_mov_b32 s0, exec_lo
	s_delay_alu instid0(VALU_DEP_2)
	v_cmpx_gt_u32_e64 s22, v13
	s_cbranch_execz .LBB701_37
; %bb.36:
	v_add_nc_u32_e32 v13, s5, v47
	v_add_nc_u32_e32 v14, s7, v47
	s_delay_alu instid0(VALU_DEP_2) | instskip(NEXT) | instid1(VALU_DEP_2)
	v_mul_lo_u32 v13, v13, s4
	v_mul_lo_u32 v14, v14, s6
	s_delay_alu instid0(VALU_DEP_1) | instskip(NEXT) | instid1(VALU_DEP_1)
	v_sub_nc_u32_e32 v13, v13, v14
	v_cmp_lt_u32_e32 vcc_lo, s3, v13
	s_wait_alu 0xfffd
	v_cndmask_b32_e64 v49, 0, 1, vcc_lo
.LBB701_37:
	s_wait_alu 0xfffe
	s_or_b32 exec_lo, exec_lo, s0
	v_lshlrev_b16 v2, 8, v2
	v_lshlrev_b16 v4, 8, v4
	;; [unrolled: 1-line block ×5, first 2 shown]
	v_or_b32_e32 v1, v1, v2
	v_lshlrev_b16 v2, 8, v12
	v_or_b32_e32 v3, v3, v4
	v_or_b32_e32 v4, v5, v6
	;; [unrolled: 1-line block ×5, first 2 shown]
	v_and_b32_e32 v1, 0xffff, v1
	v_lshlrev_b32_e32 v3, 16, v3
	v_and_b32_e32 v4, 0xffff, v4
	v_lshlrev_b32_e32 v5, 16, v5
	;; [unrolled: 2-line block ×3, first 2 shown]
	v_or_b32_e32 v54, v1, v3
	s_delay_alu instid0(VALU_DEP_4) | instskip(NEXT) | instid1(VALU_DEP_3)
	v_or_b32_e32 v52, v4, v5
	v_or_b32_e32 v50, v6, v2
.LBB701_38:
	s_delay_alu instid0(VALU_DEP_3)
	v_and_b32_e32 v56, 0xff, v54
	v_bfe_u32 v57, v54, 8, 8
	v_bfe_u32 v58, v54, 16, 8
	v_lshrrev_b32_e32 v55, 24, v54
	v_and_b32_e32 v59, 0xff, v52
	v_bfe_u32 v60, v52, 8, 8
	v_bfe_u32 v61, v52, 16, 8
	v_add3_u32 v1, v57, v56, v58
	v_lshrrev_b32_e32 v53, 24, v52
	v_and_b32_e32 v62, 0xff, v50
	v_bfe_u32 v63, v50, 8, 8
	v_mbcnt_lo_u32_b32 v65, -1, 0
	v_add3_u32 v1, v1, v55, v59
	v_bfe_u32 v64, v50, 16, 8
	v_lshrrev_b32_e32 v51, 24, v50
	v_and_b32_e32 v2, 0xff, v49
	v_and_b32_e32 v3, 15, v65
	v_add3_u32 v1, v1, v60, v61
	v_or_b32_e32 v4, 31, v0
	v_and_b32_e32 v5, 16, v65
	v_lshrrev_b32_e32 v66, 5, v0
	v_cmp_eq_u32_e64 s6, 0, v3
	v_add3_u32 v1, v1, v53, v62
	v_cmp_lt_u32_e64 s5, 1, v3
	v_cmp_lt_u32_e64 s4, 3, v3
	;; [unrolled: 1-line block ×3, first 2 shown]
	v_cmp_eq_u32_e64 s1, 0, v5
	v_add3_u32 v1, v1, v63, v64
	v_cmp_eq_u32_e64 s0, v0, v4
	s_cmp_lg_u32 s15, 0
	s_mov_b32 s7, -1
	v_add3_u32 v67, v1, v51, v2
	s_cbranch_scc0 .LBB701_59
; %bb.39:
	s_delay_alu instid0(VALU_DEP_1) | instskip(NEXT) | instid1(VALU_DEP_1)
	v_mov_b32_dpp v1, v67 row_shr:1 row_mask:0xf bank_mask:0xf
	v_cndmask_b32_e64 v1, v1, 0, s6
	s_delay_alu instid0(VALU_DEP_1) | instskip(NEXT) | instid1(VALU_DEP_1)
	v_add_nc_u32_e32 v1, v1, v67
	v_mov_b32_dpp v2, v1 row_shr:2 row_mask:0xf bank_mask:0xf
	s_delay_alu instid0(VALU_DEP_1) | instskip(NEXT) | instid1(VALU_DEP_1)
	v_cndmask_b32_e64 v2, 0, v2, s5
	v_add_nc_u32_e32 v1, v1, v2
	s_delay_alu instid0(VALU_DEP_1) | instskip(NEXT) | instid1(VALU_DEP_1)
	v_mov_b32_dpp v2, v1 row_shr:4 row_mask:0xf bank_mask:0xf
	v_cndmask_b32_e64 v2, 0, v2, s4
	s_delay_alu instid0(VALU_DEP_1) | instskip(NEXT) | instid1(VALU_DEP_1)
	v_add_nc_u32_e32 v1, v1, v2
	v_mov_b32_dpp v2, v1 row_shr:8 row_mask:0xf bank_mask:0xf
	s_delay_alu instid0(VALU_DEP_1) | instskip(NEXT) | instid1(VALU_DEP_1)
	v_cndmask_b32_e64 v2, 0, v2, s3
	v_add_nc_u32_e32 v1, v1, v2
	ds_swizzle_b32 v2, v1 offset:swizzle(BROADCAST,32,15)
	s_wait_dscnt 0x0
	v_cndmask_b32_e64 v2, v2, 0, s1
	s_delay_alu instid0(VALU_DEP_1)
	v_add_nc_u32_e32 v1, v1, v2
	s_and_saveexec_b32 s7, s0
; %bb.40:
	v_lshlrev_b32_e32 v2, 2, v66
	ds_store_b32 v2, v1
; %bb.41:
	s_wait_alu 0xfffe
	s_or_b32 exec_lo, exec_lo, s7
	s_delay_alu instid0(SALU_CYCLE_1)
	s_mov_b32 s7, exec_lo
	s_wait_loadcnt_dscnt 0x0
	s_barrier_signal -1
	s_barrier_wait -1
	global_inv scope:SCOPE_SE
	v_cmpx_gt_u32_e32 8, v0
	s_cbranch_execz .LBB701_43
; %bb.42:
	ds_load_b32 v2, v45
	s_wait_dscnt 0x0
	v_mov_b32_dpp v4, v2 row_shr:1 row_mask:0xf bank_mask:0xf
	v_and_b32_e32 v3, 7, v65
	s_delay_alu instid0(VALU_DEP_1) | instskip(SKIP_1) | instid1(VALU_DEP_3)
	v_cmp_ne_u32_e32 vcc_lo, 0, v3
	s_wait_alu 0xfffd
	v_cndmask_b32_e32 v4, 0, v4, vcc_lo
	v_cmp_lt_u32_e32 vcc_lo, 1, v3
	s_delay_alu instid0(VALU_DEP_2) | instskip(NEXT) | instid1(VALU_DEP_1)
	v_add_nc_u32_e32 v2, v4, v2
	v_mov_b32_dpp v4, v2 row_shr:2 row_mask:0xf bank_mask:0xf
	s_wait_alu 0xfffd
	s_delay_alu instid0(VALU_DEP_1) | instskip(SKIP_1) | instid1(VALU_DEP_2)
	v_cndmask_b32_e32 v4, 0, v4, vcc_lo
	v_cmp_lt_u32_e32 vcc_lo, 3, v3
	v_add_nc_u32_e32 v2, v2, v4
	s_delay_alu instid0(VALU_DEP_1) | instskip(SKIP_1) | instid1(VALU_DEP_1)
	v_mov_b32_dpp v4, v2 row_shr:4 row_mask:0xf bank_mask:0xf
	s_wait_alu 0xfffd
	v_cndmask_b32_e32 v3, 0, v4, vcc_lo
	s_delay_alu instid0(VALU_DEP_1)
	v_add_nc_u32_e32 v2, v2, v3
	ds_store_b32 v45, v2
.LBB701_43:
	s_wait_alu 0xfffe
	s_or_b32 exec_lo, exec_lo, s7
	s_delay_alu instid0(SALU_CYCLE_1)
	s_mov_b32 s8, exec_lo
	v_cmp_gt_u32_e32 vcc_lo, 32, v0
	s_wait_loadcnt_dscnt 0x0
	s_barrier_signal -1
	s_barrier_wait -1
	global_inv scope:SCOPE_SE
                                        ; implicit-def: $vgpr9
	v_cmpx_lt_u32_e32 31, v0
	s_cbranch_execz .LBB701_45
; %bb.44:
	v_lshl_add_u32 v2, v66, 2, -4
	ds_load_b32 v9, v2
	s_wait_dscnt 0x0
	v_add_nc_u32_e32 v1, v9, v1
.LBB701_45:
	s_wait_alu 0xfffe
	s_or_b32 exec_lo, exec_lo, s8
	v_sub_co_u32 v2, s7, v65, 1
	s_delay_alu instid0(VALU_DEP_1) | instskip(SKIP_1) | instid1(VALU_DEP_1)
	v_cmp_gt_i32_e64 s8, 0, v2
	s_wait_alu 0xf1ff
	v_cndmask_b32_e64 v2, v2, v65, s8
	s_delay_alu instid0(VALU_DEP_1)
	v_lshlrev_b32_e32 v2, 2, v2
	ds_bpermute_b32 v10, v2, v1
	s_and_saveexec_b32 s8, vcc_lo
	s_cbranch_execz .LBB701_64
; %bb.46:
	v_mov_b32_e32 v5, 0
	ds_load_b32 v1, v5 offset:28
	s_and_saveexec_b32 s23, s7
	s_cbranch_execz .LBB701_48
; %bb.47:
	s_add_co_i32 s24, s15, 32
	s_mov_b32 s25, 0
	v_mov_b32_e32 v2, 1
	s_lshl_b64 s[24:25], s[24:25], 3
	s_delay_alu instid0(SALU_CYCLE_1)
	s_add_nc_u64 s[24:25], s[20:21], s[24:25]
	s_wait_dscnt 0x0
	global_store_b64 v5, v[1:2], s[24:25] scope:SCOPE_DEV
.LBB701_48:
	s_wait_alu 0xfffe
	s_or_b32 exec_lo, exec_lo, s23
	v_xad_u32 v3, v65, -1, s15
	s_mov_b32 s24, 0
	s_mov_b32 s23, exec_lo
	s_delay_alu instid0(VALU_DEP_1) | instskip(NEXT) | instid1(VALU_DEP_1)
	v_add_nc_u32_e32 v4, 32, v3
	v_lshlrev_b64_e32 v[4:5], 3, v[4:5]
	s_delay_alu instid0(VALU_DEP_1) | instskip(SKIP_1) | instid1(VALU_DEP_2)
	v_add_co_u32 v7, vcc_lo, s20, v4
	s_wait_alu 0xfffd
	v_add_co_ci_u32_e64 v8, null, s21, v5, vcc_lo
	global_load_b64 v[5:6], v[7:8], off scope:SCOPE_DEV
	s_wait_loadcnt 0x0
	v_and_b32_e32 v2, 0xff, v6
	s_delay_alu instid0(VALU_DEP_1)
	v_cmpx_eq_u16_e32 0, v2
	s_cbranch_execz .LBB701_51
.LBB701_49:                             ; =>This Inner Loop Header: Depth=1
	global_load_b64 v[5:6], v[7:8], off scope:SCOPE_DEV
	s_wait_loadcnt 0x0
	v_and_b32_e32 v2, 0xff, v6
	s_delay_alu instid0(VALU_DEP_1) | instskip(SKIP_1) | instid1(SALU_CYCLE_1)
	v_cmp_ne_u16_e32 vcc_lo, 0, v2
	s_or_b32 s24, vcc_lo, s24
	s_and_not1_b32 exec_lo, exec_lo, s24
	s_cbranch_execnz .LBB701_49
; %bb.50:
	s_or_b32 exec_lo, exec_lo, s24
.LBB701_51:
	s_wait_alu 0xfffe
	s_or_b32 exec_lo, exec_lo, s23
	v_cmp_ne_u32_e32 vcc_lo, 31, v65
	v_lshlrev_b32_e64 v12, v65, -1
	v_add_nc_u32_e32 v14, 2, v65
	v_add_nc_u32_e32 v16, 4, v65
	;; [unrolled: 1-line block ×3, first 2 shown]
	s_wait_alu 0xfffd
	v_add_co_ci_u32_e64 v2, null, 0, v65, vcc_lo
	v_lshl_or_b32 v68, v65, 2, 64
	v_add_nc_u32_e32 v69, 16, v65
	s_delay_alu instid0(VALU_DEP_3)
	v_lshlrev_b32_e32 v11, 2, v2
	v_and_b32_e32 v2, 0xff, v6
	ds_bpermute_b32 v4, v11, v5
	v_cmp_eq_u16_e32 vcc_lo, 2, v2
	s_wait_alu 0xfffd
	v_and_or_b32 v2, vcc_lo, v12, 0x80000000
	v_cmp_gt_u32_e32 vcc_lo, 30, v65
	s_delay_alu instid0(VALU_DEP_2) | instskip(SKIP_2) | instid1(VALU_DEP_2)
	v_ctz_i32_b32_e32 v2, v2
	s_wait_alu 0xfffd
	v_cndmask_b32_e64 v7, 0, 2, vcc_lo
	v_cmp_lt_u32_e32 vcc_lo, v65, v2
	s_delay_alu instid0(VALU_DEP_2) | instskip(SKIP_4) | instid1(VALU_DEP_2)
	v_add_lshl_u32 v13, v7, v65, 2
	s_wait_dscnt 0x0
	s_wait_alu 0xfffd
	v_cndmask_b32_e32 v4, 0, v4, vcc_lo
	v_cmp_gt_u32_e32 vcc_lo, 28, v65
	v_add_nc_u32_e32 v4, v4, v5
	s_wait_alu 0xfffd
	v_cndmask_b32_e64 v7, 0, 4, vcc_lo
	v_cmp_le_u32_e32 vcc_lo, v14, v2
	ds_bpermute_b32 v5, v13, v4
	v_add_lshl_u32 v15, v7, v65, 2
	s_wait_dscnt 0x0
	s_wait_alu 0xfffd
	v_cndmask_b32_e32 v5, 0, v5, vcc_lo
	v_cmp_gt_u32_e32 vcc_lo, 24, v65
	s_delay_alu instid0(VALU_DEP_2)
	v_add_nc_u32_e32 v4, v4, v5
	s_wait_alu 0xfffd
	v_cndmask_b32_e64 v7, 0, 8, vcc_lo
	v_cmp_le_u32_e32 vcc_lo, v16, v2
	ds_bpermute_b32 v5, v15, v4
	v_add_lshl_u32 v19, v7, v65, 2
	s_wait_dscnt 0x0
	s_wait_alu 0xfffd
	v_cndmask_b32_e32 v5, 0, v5, vcc_lo
	v_cmp_le_u32_e32 vcc_lo, v20, v2
	s_delay_alu instid0(VALU_DEP_2)
	v_add_nc_u32_e32 v4, v4, v5
	ds_bpermute_b32 v5, v19, v4
	s_wait_dscnt 0x0
	s_wait_alu 0xfffd
	v_cndmask_b32_e32 v5, 0, v5, vcc_lo
	v_cmp_le_u32_e32 vcc_lo, v69, v2
	s_delay_alu instid0(VALU_DEP_2) | instskip(SKIP_4) | instid1(VALU_DEP_1)
	v_add_nc_u32_e32 v4, v4, v5
	ds_bpermute_b32 v5, v68, v4
	s_wait_dscnt 0x0
	s_wait_alu 0xfffd
	v_cndmask_b32_e32 v2, 0, v5, vcc_lo
	v_dual_mov_b32 v4, 0 :: v_dual_add_nc_u32 v5, v4, v2
	s_branch .LBB701_55
.LBB701_52:                             ;   in Loop: Header=BB701_55 Depth=1
	s_or_b32 exec_lo, exec_lo, s24
.LBB701_53:                             ;   in Loop: Header=BB701_55 Depth=1
	s_wait_alu 0xfffe
	s_or_b32 exec_lo, exec_lo, s23
	ds_bpermute_b32 v8, v11, v5
	v_and_b32_e32 v7, 0xff, v6
	v_subrev_nc_u32_e32 v3, 32, v3
	s_mov_b32 s23, 0
	s_delay_alu instid0(VALU_DEP_2) | instskip(SKIP_2) | instid1(VALU_DEP_1)
	v_cmp_eq_u16_e32 vcc_lo, 2, v7
	s_wait_alu 0xfffd
	v_and_or_b32 v7, vcc_lo, v12, 0x80000000
	v_ctz_i32_b32_e32 v7, v7
	s_delay_alu instid0(VALU_DEP_1) | instskip(SKIP_4) | instid1(VALU_DEP_2)
	v_cmp_lt_u32_e32 vcc_lo, v65, v7
	s_wait_dscnt 0x0
	s_wait_alu 0xfffd
	v_cndmask_b32_e32 v8, 0, v8, vcc_lo
	v_cmp_le_u32_e32 vcc_lo, v14, v7
	v_add_nc_u32_e32 v5, v8, v5
	ds_bpermute_b32 v8, v13, v5
	s_wait_dscnt 0x0
	s_wait_alu 0xfffd
	v_cndmask_b32_e32 v8, 0, v8, vcc_lo
	v_cmp_le_u32_e32 vcc_lo, v16, v7
	s_delay_alu instid0(VALU_DEP_2)
	v_add_nc_u32_e32 v5, v5, v8
	ds_bpermute_b32 v8, v15, v5
	s_wait_dscnt 0x0
	s_wait_alu 0xfffd
	v_cndmask_b32_e32 v8, 0, v8, vcc_lo
	v_cmp_le_u32_e32 vcc_lo, v20, v7
	s_delay_alu instid0(VALU_DEP_2)
	v_add_nc_u32_e32 v5, v5, v8
	ds_bpermute_b32 v8, v19, v5
	s_wait_dscnt 0x0
	s_wait_alu 0xfffd
	v_cndmask_b32_e32 v8, 0, v8, vcc_lo
	v_cmp_le_u32_e32 vcc_lo, v69, v7
	s_delay_alu instid0(VALU_DEP_2) | instskip(SKIP_4) | instid1(VALU_DEP_1)
	v_add_nc_u32_e32 v5, v5, v8
	ds_bpermute_b32 v8, v68, v5
	s_wait_dscnt 0x0
	s_wait_alu 0xfffd
	v_cndmask_b32_e32 v7, 0, v8, vcc_lo
	v_add3_u32 v5, v7, v2, v5
.LBB701_54:                             ;   in Loop: Header=BB701_55 Depth=1
	s_wait_alu 0xfffe
	s_and_b32 vcc_lo, exec_lo, s23
	s_wait_alu 0xfffe
	s_cbranch_vccnz .LBB701_60
.LBB701_55:                             ; =>This Loop Header: Depth=1
                                        ;     Child Loop BB701_58 Depth 2
	v_and_b32_e32 v2, 0xff, v6
	s_mov_b32 s23, -1
                                        ; implicit-def: $vgpr6
	s_delay_alu instid0(VALU_DEP_1)
	v_cmp_ne_u16_e32 vcc_lo, 2, v2
	v_mov_b32_e32 v2, v5
                                        ; implicit-def: $vgpr5
	s_cmp_lg_u32 vcc_lo, exec_lo
	s_cbranch_scc1 .LBB701_54
; %bb.56:                               ;   in Loop: Header=BB701_55 Depth=1
	v_lshlrev_b64_e32 v[5:6], 3, v[3:4]
	s_mov_b32 s23, exec_lo
	s_delay_alu instid0(VALU_DEP_1) | instskip(SKIP_1) | instid1(VALU_DEP_2)
	v_add_co_u32 v7, vcc_lo, s20, v5
	s_wait_alu 0xfffd
	v_add_co_ci_u32_e64 v8, null, s21, v6, vcc_lo
	global_load_b64 v[5:6], v[7:8], off scope:SCOPE_DEV
	s_wait_loadcnt 0x0
	v_and_b32_e32 v70, 0xff, v6
	s_delay_alu instid0(VALU_DEP_1)
	v_cmpx_eq_u16_e32 0, v70
	s_cbranch_execz .LBB701_53
; %bb.57:                               ;   in Loop: Header=BB701_55 Depth=1
	s_mov_b32 s24, 0
.LBB701_58:                             ;   Parent Loop BB701_55 Depth=1
                                        ; =>  This Inner Loop Header: Depth=2
	global_load_b64 v[5:6], v[7:8], off scope:SCOPE_DEV
	s_wait_loadcnt 0x0
	v_and_b32_e32 v70, 0xff, v6
	s_delay_alu instid0(VALU_DEP_1) | instskip(SKIP_1) | instid1(SALU_CYCLE_1)
	v_cmp_ne_u16_e32 vcc_lo, 0, v70
	s_or_b32 s24, vcc_lo, s24
	s_and_not1_b32 exec_lo, exec_lo, s24
	s_cbranch_execnz .LBB701_58
	s_branch .LBB701_52
.LBB701_59:
                                        ; implicit-def: $vgpr20
                                        ; implicit-def: $vgpr1_vgpr2_vgpr3_vgpr4_vgpr5_vgpr6_vgpr7_vgpr8_vgpr9_vgpr10_vgpr11_vgpr12_vgpr13_vgpr14_vgpr15_vgpr16
	s_wait_alu 0xfffe
	s_and_b32 vcc_lo, exec_lo, s7
	s_wait_alu 0xfffe
	s_cbranch_vccnz .LBB701_65
	s_branch .LBB701_74
.LBB701_60:
	s_and_saveexec_b32 s23, s7
	s_cbranch_execz .LBB701_62
; %bb.61:
	s_add_co_i32 s24, s15, 32
	s_mov_b32 s25, 0
	v_dual_mov_b32 v4, 2 :: v_dual_add_nc_u32 v3, v2, v1
	v_mov_b32_e32 v5, 0
	s_lshl_b64 s[24:25], s[24:25], 3
	s_delay_alu instid0(SALU_CYCLE_1)
	s_add_nc_u64 s[24:25], s[20:21], s[24:25]
	global_store_b64 v5, v[3:4], s[24:25] scope:SCOPE_DEV
	ds_store_b64 v5, v[1:2] offset:13312
.LBB701_62:
	s_wait_alu 0xfffe
	s_or_b32 exec_lo, exec_lo, s23
	s_delay_alu instid0(SALU_CYCLE_1)
	s_and_b32 exec_lo, exec_lo, s2
; %bb.63:
	v_mov_b32_e32 v1, 0
	ds_store_b32 v1, v2 offset:28
.LBB701_64:
	s_wait_alu 0xfffe
	s_or_b32 exec_lo, exec_lo, s8
	v_mov_b32_e32 v11, 0
	s_wait_storecnt 0x0
	s_wait_loadcnt_dscnt 0x0
	s_barrier_signal -1
	s_barrier_wait -1
	global_inv scope:SCOPE_SE
	ds_load_b32 v1, v11 offset:28
	v_cndmask_b32_e64 v2, v10, v9, s7
	s_wait_loadcnt_dscnt 0x0
	s_barrier_signal -1
	s_barrier_wait -1
	global_inv scope:SCOPE_SE
	v_cndmask_b32_e64 v2, v2, 0, s2
	s_delay_alu instid0(VALU_DEP_1) | instskip(NEXT) | instid1(VALU_DEP_1)
	v_add_nc_u32_e32 v1, v1, v2
	v_add_nc_u32_e32 v2, v1, v56
	ds_load_b64 v[19:20], v11 offset:13312
	v_add_nc_u32_e32 v3, v2, v57
	s_delay_alu instid0(VALU_DEP_1) | instskip(NEXT) | instid1(VALU_DEP_1)
	v_add_nc_u32_e32 v4, v3, v58
	v_add_nc_u32_e32 v5, v4, v55
	s_delay_alu instid0(VALU_DEP_1) | instskip(NEXT) | instid1(VALU_DEP_1)
	v_add_nc_u32_e32 v6, v5, v59
	;; [unrolled: 3-line block ×5, first 2 shown]
	v_add_nc_u32_e32 v13, v12, v51
	s_branch .LBB701_74
.LBB701_65:
	v_mov_b32_dpp v1, v67 row_shr:1 row_mask:0xf bank_mask:0xf
	s_delay_alu instid0(VALU_DEP_1) | instskip(NEXT) | instid1(VALU_DEP_1)
	v_cndmask_b32_e64 v1, v1, 0, s6
	v_add_nc_u32_e32 v1, v1, v67
	s_delay_alu instid0(VALU_DEP_1) | instskip(NEXT) | instid1(VALU_DEP_1)
	v_mov_b32_dpp v2, v1 row_shr:2 row_mask:0xf bank_mask:0xf
	v_cndmask_b32_e64 v2, 0, v2, s5
	s_delay_alu instid0(VALU_DEP_1) | instskip(NEXT) | instid1(VALU_DEP_1)
	v_add_nc_u32_e32 v1, v1, v2
	v_mov_b32_dpp v2, v1 row_shr:4 row_mask:0xf bank_mask:0xf
	s_delay_alu instid0(VALU_DEP_1) | instskip(NEXT) | instid1(VALU_DEP_1)
	v_cndmask_b32_e64 v2, 0, v2, s4
	v_add_nc_u32_e32 v1, v1, v2
	s_delay_alu instid0(VALU_DEP_1) | instskip(NEXT) | instid1(VALU_DEP_1)
	v_mov_b32_dpp v2, v1 row_shr:8 row_mask:0xf bank_mask:0xf
	v_cndmask_b32_e64 v2, 0, v2, s3
	s_delay_alu instid0(VALU_DEP_1) | instskip(SKIP_3) | instid1(VALU_DEP_1)
	v_add_nc_u32_e32 v1, v1, v2
	ds_swizzle_b32 v2, v1 offset:swizzle(BROADCAST,32,15)
	s_wait_dscnt 0x0
	v_cndmask_b32_e64 v2, v2, 0, s1
	v_add_nc_u32_e32 v1, v1, v2
	s_and_saveexec_b32 s1, s0
; %bb.66:
	v_lshlrev_b32_e32 v2, 2, v66
	ds_store_b32 v2, v1
; %bb.67:
	s_wait_alu 0xfffe
	s_or_b32 exec_lo, exec_lo, s1
	s_delay_alu instid0(SALU_CYCLE_1)
	s_mov_b32 s0, exec_lo
	s_wait_loadcnt_dscnt 0x0
	s_barrier_signal -1
	s_barrier_wait -1
	global_inv scope:SCOPE_SE
	v_cmpx_gt_u32_e32 8, v0
	s_cbranch_execz .LBB701_69
; %bb.68:
	ds_load_b32 v2, v45
	s_wait_dscnt 0x0
	v_mov_b32_dpp v4, v2 row_shr:1 row_mask:0xf bank_mask:0xf
	v_and_b32_e32 v3, 7, v65
	s_delay_alu instid0(VALU_DEP_1) | instskip(SKIP_1) | instid1(VALU_DEP_3)
	v_cmp_ne_u32_e32 vcc_lo, 0, v3
	s_wait_alu 0xfffd
	v_cndmask_b32_e32 v4, 0, v4, vcc_lo
	v_cmp_lt_u32_e32 vcc_lo, 1, v3
	s_delay_alu instid0(VALU_DEP_2) | instskip(NEXT) | instid1(VALU_DEP_1)
	v_add_nc_u32_e32 v2, v4, v2
	v_mov_b32_dpp v4, v2 row_shr:2 row_mask:0xf bank_mask:0xf
	s_wait_alu 0xfffd
	s_delay_alu instid0(VALU_DEP_1) | instskip(SKIP_1) | instid1(VALU_DEP_2)
	v_cndmask_b32_e32 v4, 0, v4, vcc_lo
	v_cmp_lt_u32_e32 vcc_lo, 3, v3
	v_add_nc_u32_e32 v2, v2, v4
	s_delay_alu instid0(VALU_DEP_1) | instskip(SKIP_1) | instid1(VALU_DEP_1)
	v_mov_b32_dpp v4, v2 row_shr:4 row_mask:0xf bank_mask:0xf
	s_wait_alu 0xfffd
	v_cndmask_b32_e32 v3, 0, v4, vcc_lo
	s_delay_alu instid0(VALU_DEP_1)
	v_add_nc_u32_e32 v2, v2, v3
	ds_store_b32 v45, v2
.LBB701_69:
	s_wait_alu 0xfffe
	s_or_b32 exec_lo, exec_lo, s0
	v_dual_mov_b32 v3, 0 :: v_dual_mov_b32 v2, 0
	s_mov_b32 s0, exec_lo
	s_wait_loadcnt_dscnt 0x0
	s_barrier_signal -1
	s_barrier_wait -1
	global_inv scope:SCOPE_SE
	v_cmpx_lt_u32_e32 31, v0
; %bb.70:
	v_lshl_add_u32 v2, v66, 2, -4
	ds_load_b32 v2, v2
; %bb.71:
	s_wait_alu 0xfffe
	s_or_b32 exec_lo, exec_lo, s0
	v_sub_co_u32 v4, vcc_lo, v65, 1
	s_wait_dscnt 0x0
	v_add_nc_u32_e32 v1, v2, v1
	ds_load_b32 v19, v3 offset:28
	v_cmp_gt_i32_e64 s0, 0, v4
	s_wait_alu 0xf1ff
	s_delay_alu instid0(VALU_DEP_1) | instskip(NEXT) | instid1(VALU_DEP_1)
	v_cndmask_b32_e64 v4, v4, v65, s0
	v_lshlrev_b32_e32 v4, 2, v4
	ds_bpermute_b32 v1, v4, v1
	s_and_saveexec_b32 s0, s2
	s_cbranch_execz .LBB701_73
; %bb.72:
	v_dual_mov_b32 v3, 0 :: v_dual_mov_b32 v20, 2
	s_wait_dscnt 0x1
	global_store_b64 v3, v[19:20], s[20:21] offset:256 scope:SCOPE_DEV
.LBB701_73:
	s_wait_alu 0xfffe
	s_or_b32 exec_lo, exec_lo, s0
	s_wait_dscnt 0x0
	s_wait_alu 0xfffd
	v_cndmask_b32_e32 v1, v1, v2, vcc_lo
	s_wait_loadcnt 0x0
	s_wait_storecnt 0x0
	s_barrier_signal -1
	s_barrier_wait -1
	global_inv scope:SCOPE_SE
	v_cndmask_b32_e64 v1, v1, 0, s2
	v_mov_b32_e32 v20, 0
	s_delay_alu instid0(VALU_DEP_2) | instskip(NEXT) | instid1(VALU_DEP_1)
	v_add_nc_u32_e32 v2, v1, v56
	v_add_nc_u32_e32 v3, v2, v57
	s_delay_alu instid0(VALU_DEP_1) | instskip(NEXT) | instid1(VALU_DEP_1)
	v_add_nc_u32_e32 v4, v3, v58
	v_add_nc_u32_e32 v5, v4, v55
	s_delay_alu instid0(VALU_DEP_1) | instskip(NEXT) | instid1(VALU_DEP_1)
	;; [unrolled: 3-line block ×5, first 2 shown]
	v_add_nc_u32_e32 v12, v11, v64
	v_add_nc_u32_e32 v13, v12, v51
.LBB701_74:
	s_wait_dscnt 0x0
	v_sub_nc_u32_e32 v1, v1, v20
	v_sub_nc_u32_e32 v2, v2, v20
	v_add_nc_u32_e32 v48, v19, v48
	v_lshrrev_b32_e32 v58, 8, v54
	v_lshrrev_b32_e32 v57, 16, v54
	v_sub_nc_u32_e32 v4, v4, v20
	v_sub_nc_u32_e32 v3, v3, v20
	;; [unrolled: 1-line block ×3, first 2 shown]
	v_and_b32_e32 v54, 1, v54
	v_and_b32_e32 v58, 1, v58
	;; [unrolled: 1-line block ×3, first 2 shown]
	v_lshrrev_b32_e32 v56, 8, v52
	v_lshrrev_b32_e32 v16, 16, v52
	v_cmp_eq_u32_e32 vcc_lo, 1, v54
	v_and_b32_e32 v54, 1, v57
	v_sub_nc_u32_e32 v57, v48, v2
	v_lshrrev_b32_e32 v15, 8, v50
	v_lshrrev_b32_e32 v14, 16, v50
	s_wait_alu 0xfffd
	v_cndmask_b32_e32 v1, v59, v1, vcc_lo
	v_cmp_eq_u32_e32 vcc_lo, 1, v58
	v_add_nc_u32_e32 v57, 1, v57
	s_delay_alu instid0(VALU_DEP_3)
	v_lshlrev_b32_e32 v1, 2, v1
	ds_store_b32 v1, v31
	s_wait_alu 0xfffd
	v_cndmask_b32_e32 v1, v57, v2, vcc_lo
	v_sub_nc_u32_e32 v59, v48, v3
	v_sub_nc_u32_e32 v60, v48, v4
	v_cmp_eq_u32_e32 vcc_lo, 1, v54
	s_delay_alu instid0(VALU_DEP_4) | instskip(NEXT) | instid1(VALU_DEP_4)
	v_lshlrev_b32_e32 v1, 2, v1
	v_add_nc_u32_e32 v59, 2, v59
	s_delay_alu instid0(VALU_DEP_4)
	v_add_nc_u32_e32 v60, 3, v60
	ds_store_b32 v1, v32
	s_wait_alu 0xfffd
	v_cndmask_b32_e32 v2, v59, v3, vcc_lo
	v_cmp_eq_u32_e32 vcc_lo, 1, v55
	s_wait_alu 0xfffd
	s_delay_alu instid0(VALU_DEP_2) | instskip(SKIP_2) | instid1(VALU_DEP_3)
	v_dual_cndmask_b32 v3, v60, v4 :: v_dual_lshlrev_b32 v2, 2, v2
	v_sub_nc_u32_e32 v4, v5, v20
	v_sub_nc_u32_e32 v5, v6, v20
	v_lshlrev_b32_e32 v3, 2, v3
	s_delay_alu instid0(VALU_DEP_3) | instskip(NEXT) | instid1(VALU_DEP_3)
	v_sub_nc_u32_e32 v1, v48, v4
	v_sub_nc_u32_e32 v6, v48, v5
	ds_store_b32 v2, v29
	ds_store_b32 v3, v30
	v_and_b32_e32 v2, 1, v52
	v_add_nc_u32_e32 v1, 4, v1
	v_add_nc_u32_e32 v3, 5, v6
	v_sub_nc_u32_e32 v6, v7, v20
	v_and_b32_e32 v7, 1, v56
	v_cmp_eq_u32_e32 vcc_lo, 1, v2
	v_sub_nc_u32_e32 v2, v8, v20
	s_wait_alu 0xfffd
	v_dual_cndmask_b32 v1, v1, v4 :: v_dual_and_b32 v8, 1, v53
	v_sub_nc_u32_e32 v4, v48, v6
	v_cmp_eq_u32_e32 vcc_lo, 1, v7
	v_and_b32_e32 v7, 1, v16
	s_delay_alu instid0(VALU_DEP_4)
	v_lshlrev_b32_e32 v1, 2, v1
	s_wait_alu 0xfffd
	v_dual_cndmask_b32 v3, v3, v5 :: v_dual_add_nc_u32 v4, 6, v4
	v_sub_nc_u32_e32 v5, v48, v2
	v_cmp_eq_u32_e32 vcc_lo, 1, v7
	v_sub_nc_u32_e32 v7, v13, v20
	s_delay_alu instid0(VALU_DEP_4)
	v_lshlrev_b32_e32 v3, 2, v3
	s_wait_alu 0xfffd
	v_dual_cndmask_b32 v4, v4, v6 :: v_dual_add_nc_u32 v5, 7, v5
	v_cmp_eq_u32_e32 vcc_lo, 1, v8
	v_sub_nc_u32_e32 v6, v9, v20
	ds_store_b32 v1, v27
	ds_store_b32 v3, v28
	s_wait_alu 0xfffd
	v_dual_cndmask_b32 v2, v5, v2 :: v_dual_lshlrev_b32 v3, 2, v4
	v_sub_nc_u32_e32 v1, v48, v6
	v_and_b32_e32 v5, 1, v50
	v_sub_nc_u32_e32 v4, v10, v20
	v_and_b32_e32 v10, 1, v51
	v_lshlrev_b32_e32 v2, 2, v2
	v_add_nc_u32_e32 v1, 8, v1
	ds_store_b32 v3, v25
	ds_store_b32 v2, v26
	v_cmp_eq_u32_e32 vcc_lo, 1, v5
	v_sub_nc_u32_e32 v3, v11, v20
	v_sub_nc_u32_e32 v2, v48, v4
	;; [unrolled: 1-line block ×3, first 2 shown]
	v_and_b32_e32 v11, 1, v49
	s_wait_alu 0xfffd
	v_dual_cndmask_b32 v1, v1, v6 :: v_dual_and_b32 v6, 1, v15
	v_sub_nc_u32_e32 v8, v48, v3
	v_add_nc_u32_e32 v2, 9, v2
	v_sub_nc_u32_e32 v9, v48, v5
	s_delay_alu instid0(VALU_DEP_4)
	v_lshlrev_b32_e32 v1, 2, v1
	v_cmp_eq_u32_e32 vcc_lo, 1, v6
	v_add_nc_u32_e32 v6, 10, v8
	v_and_b32_e32 v8, 1, v14
	v_add_nc_u32_e32 v9, 11, v9
	v_add_co_u32 v15, s0, v17, v20
	s_wait_alu 0xfffd
	v_cndmask_b32_e32 v2, v2, v4, vcc_lo
	v_cmp_eq_u32_e32 vcc_lo, 1, v8
	v_sub_nc_u32_e32 v4, v48, v7
	s_wait_alu 0xf1ff
	v_add_co_ci_u32_e64 v16, null, 0, v18, s0
	s_wait_alu 0xfffd
	v_dual_cndmask_b32 v3, v6, v3 :: v_dual_lshlrev_b32 v2, 2, v2
	v_cmp_eq_u32_e32 vcc_lo, 1, v10
	v_add_nc_u32_e32 v4, 12, v4
	s_delay_alu instid0(VALU_DEP_3) | instskip(SKIP_4) | instid1(VALU_DEP_2)
	v_lshlrev_b32_e32 v3, 2, v3
	s_wait_alu 0xfffd
	v_cndmask_b32_e32 v5, v9, v5, vcc_lo
	v_cmp_eq_u32_e32 vcc_lo, 1, v11
	s_wait_alu 0xfffd
	v_dual_cndmask_b32 v4, v4, v7 :: v_dual_lshlrev_b32 v5, 2, v5
	v_cmp_ne_u32_e32 vcc_lo, 1, v46
	s_delay_alu instid0(VALU_DEP_2)
	v_lshlrev_b32_e32 v4, 2, v4
	ds_store_b32 v1, v23
	ds_store_b32 v2, v24
	ds_store_b32 v3, v21
	ds_store_b32 v5, v22
	ds_store_b32 v4, v47
	s_wait_loadcnt_dscnt 0x0
	s_barrier_signal -1
	s_barrier_wait -1
	global_inv scope:SCOPE_SE
	ds_load_2addr_stride64_b32 v[11:12], v45 offset1:4
	ds_load_2addr_stride64_b32 v[9:10], v45 offset0:8 offset1:12
	ds_load_2addr_stride64_b32 v[7:8], v45 offset0:16 offset1:20
	;; [unrolled: 1-line block ×5, first 2 shown]
	ds_load_b32 v21, v45 offset:12288
	s_cbranch_vccnz .LBB701_131
; %bb.75:
	s_mov_b32 s15, 0
	v_sub_co_u32 v13, vcc_lo, v15, s16
	s_wait_alu 0xfffe
	s_sub_nc_u64 s[0:1], s[18:19], s[14:15]
	s_wait_alu 0xfffd
	v_subrev_co_ci_u32_e64 v14, null, s17, v16, vcc_lo
	s_wait_alu 0xfffe
	v_add_co_u32 v17, s0, s0, v19
	s_wait_alu 0xf1ff
	v_add_co_ci_u32_e64 v18, null, s1, 0, s0
	s_mov_b32 s0, exec_lo
	v_add_co_u32 v17, vcc_lo, v17, v13
	s_wait_alu 0xfffd
	v_add_co_ci_u32_e64 v18, null, v18, v14, vcc_lo
                                        ; implicit-def: $vgpr13_vgpr14
	v_cmpx_ge_u32_e64 v0, v19
	s_wait_alu 0xfffe
	s_xor_b32 s0, exec_lo, s0
; %bb.76:
	v_not_b32_e32 v13, v0
	s_delay_alu instid0(VALU_DEP_1) | instskip(SKIP_2) | instid1(VALU_DEP_2)
	v_ashrrev_i32_e32 v14, 31, v13
	v_add_co_u32 v13, vcc_lo, v17, v13
	s_wait_alu 0xfffd
	v_add_co_ci_u32_e64 v14, null, v18, v14, vcc_lo
; %bb.77:
	s_wait_alu 0xfffe
	s_and_not1_saveexec_b32 s0, s0
; %bb.78:
	v_add_co_u32 v13, vcc_lo, v15, v0
	s_wait_alu 0xfffd
	v_add_co_ci_u32_e64 v14, null, 0, v16, vcc_lo
; %bb.79:
	s_wait_alu 0xfffe
	s_or_b32 exec_lo, exec_lo, s0
	s_delay_alu instid0(VALU_DEP_1) | instskip(SKIP_1) | instid1(VALU_DEP_1)
	v_lshlrev_b64_e32 v[13:14], 2, v[13:14]
	s_mov_b32 s0, exec_lo
	v_add_co_u32 v13, vcc_lo, s10, v13
	s_wait_alu 0xfffd
	s_delay_alu instid0(VALU_DEP_2)
	v_add_co_ci_u32_e64 v14, null, s11, v14, vcc_lo
	s_wait_dscnt 0x6
	global_store_b32 v[13:14], v11, off
                                        ; implicit-def: $vgpr13_vgpr14
	v_cmpx_ge_u32_e64 v44, v19
	s_wait_alu 0xfffe
	s_xor_b32 s0, exec_lo, s0
; %bb.80:
	v_xor_b32_e32 v13, 0xfffffeff, v0
	s_delay_alu instid0(VALU_DEP_1) | instskip(SKIP_2) | instid1(VALU_DEP_2)
	v_ashrrev_i32_e32 v14, 31, v13
	v_add_co_u32 v13, vcc_lo, v17, v13
	s_wait_alu 0xfffd
	v_add_co_ci_u32_e64 v14, null, v18, v14, vcc_lo
; %bb.81:
	s_wait_alu 0xfffe
	s_and_not1_saveexec_b32 s0, s0
; %bb.82:
	v_add_co_u32 v13, vcc_lo, v15, v44
	s_wait_alu 0xfffd
	v_add_co_ci_u32_e64 v14, null, 0, v16, vcc_lo
; %bb.83:
	s_wait_alu 0xfffe
	s_or_b32 exec_lo, exec_lo, s0
	s_delay_alu instid0(VALU_DEP_1) | instskip(SKIP_1) | instid1(VALU_DEP_1)
	v_lshlrev_b64_e32 v[13:14], 2, v[13:14]
	s_mov_b32 s0, exec_lo
	v_add_co_u32 v13, vcc_lo, s10, v13
	s_wait_alu 0xfffd
	s_delay_alu instid0(VALU_DEP_2)
	v_add_co_ci_u32_e64 v14, null, s11, v14, vcc_lo
	global_store_b32 v[13:14], v12, off
                                        ; implicit-def: $vgpr13_vgpr14
	v_cmpx_ge_u32_e64 v43, v19
	s_wait_alu 0xfffe
	s_xor_b32 s0, exec_lo, s0
; %bb.84:
	v_xor_b32_e32 v13, 0xfffffdff, v0
	s_delay_alu instid0(VALU_DEP_1) | instskip(SKIP_2) | instid1(VALU_DEP_2)
	v_ashrrev_i32_e32 v14, 31, v13
	v_add_co_u32 v13, vcc_lo, v17, v13
	s_wait_alu 0xfffd
	v_add_co_ci_u32_e64 v14, null, v18, v14, vcc_lo
; %bb.85:
	s_wait_alu 0xfffe
	s_and_not1_saveexec_b32 s0, s0
; %bb.86:
	v_add_co_u32 v13, vcc_lo, v15, v43
	s_wait_alu 0xfffd
	v_add_co_ci_u32_e64 v14, null, 0, v16, vcc_lo
; %bb.87:
	s_wait_alu 0xfffe
	s_or_b32 exec_lo, exec_lo, s0
	s_delay_alu instid0(VALU_DEP_1) | instskip(SKIP_1) | instid1(VALU_DEP_1)
	v_lshlrev_b64_e32 v[13:14], 2, v[13:14]
	s_mov_b32 s0, exec_lo
	v_add_co_u32 v13, vcc_lo, s10, v13
	s_wait_alu 0xfffd
	s_delay_alu instid0(VALU_DEP_2)
	v_add_co_ci_u32_e64 v14, null, s11, v14, vcc_lo
	s_wait_dscnt 0x5
	global_store_b32 v[13:14], v9, off
                                        ; implicit-def: $vgpr13_vgpr14
	v_cmpx_ge_u32_e64 v42, v19
	s_wait_alu 0xfffe
	s_xor_b32 s0, exec_lo, s0
; %bb.88:
	v_xor_b32_e32 v13, 0xfffffcff, v0
	s_delay_alu instid0(VALU_DEP_1) | instskip(SKIP_2) | instid1(VALU_DEP_2)
	v_ashrrev_i32_e32 v14, 31, v13
	v_add_co_u32 v13, vcc_lo, v17, v13
	s_wait_alu 0xfffd
	v_add_co_ci_u32_e64 v14, null, v18, v14, vcc_lo
; %bb.89:
	s_wait_alu 0xfffe
	s_and_not1_saveexec_b32 s0, s0
; %bb.90:
	v_add_co_u32 v13, vcc_lo, v15, v42
	s_wait_alu 0xfffd
	v_add_co_ci_u32_e64 v14, null, 0, v16, vcc_lo
; %bb.91:
	s_wait_alu 0xfffe
	s_or_b32 exec_lo, exec_lo, s0
	s_delay_alu instid0(VALU_DEP_1) | instskip(SKIP_1) | instid1(VALU_DEP_1)
	v_lshlrev_b64_e32 v[13:14], 2, v[13:14]
	s_mov_b32 s0, exec_lo
	v_add_co_u32 v13, vcc_lo, s10, v13
	s_wait_alu 0xfffd
	s_delay_alu instid0(VALU_DEP_2)
	v_add_co_ci_u32_e64 v14, null, s11, v14, vcc_lo
	global_store_b32 v[13:14], v10, off
                                        ; implicit-def: $vgpr13_vgpr14
	v_cmpx_ge_u32_e64 v41, v19
	s_wait_alu 0xfffe
	s_xor_b32 s0, exec_lo, s0
; %bb.92:
	v_xor_b32_e32 v13, 0xfffffbff, v0
	;; [unrolled: 59-line block ×6, first 2 shown]
	s_delay_alu instid0(VALU_DEP_1) | instskip(SKIP_2) | instid1(VALU_DEP_2)
	v_ashrrev_i32_e32 v14, 31, v13
	v_add_co_u32 v13, vcc_lo, v17, v13
	s_wait_alu 0xfffd
	v_add_co_ci_u32_e64 v14, null, v18, v14, vcc_lo
; %bb.125:
	s_wait_alu 0xfffe
	s_and_not1_saveexec_b32 s0, s0
; %bb.126:
	v_add_co_u32 v13, vcc_lo, v15, v33
	s_wait_alu 0xfffd
	v_add_co_ci_u32_e64 v14, null, 0, v16, vcc_lo
; %bb.127:
	s_wait_alu 0xfffe
	s_or_b32 exec_lo, exec_lo, s0
	s_mov_b32 s0, -1
.LBB701_128:
	s_wait_alu 0xfffe
	s_and_saveexec_b32 s1, s0
	s_cbranch_execz .LBB701_211
.LBB701_129:
	s_wait_dscnt 0x1
	v_lshlrev_b64_e32 v[0:1], 2, v[13:14]
	s_delay_alu instid0(VALU_DEP_1) | instskip(SKIP_1) | instid1(VALU_DEP_2)
	v_add_co_u32 v0, vcc_lo, s10, v0
	s_wait_alu 0xfffd
	v_add_co_ci_u32_e64 v1, null, s11, v1, vcc_lo
	s_wait_dscnt 0x0
	global_store_b32 v[0:1], v21, off
	s_wait_alu 0xfffe
	s_or_b32 exec_lo, exec_lo, s1
	s_and_b32 s0, s2, s9
	s_wait_alu 0xfffe
	s_and_saveexec_b32 s1, s0
	s_cbranch_execnz .LBB701_212
.LBB701_130:
	s_endpgm
.LBB701_131:
	s_mov_b32 s0, 0
                                        ; implicit-def: $vgpr13_vgpr14
	s_cbranch_execz .LBB701_128
; %bb.132:
	s_mov_b32 s15, 0
	s_wait_alu 0xfffe
	s_add_nc_u64 s[4:5], s[16:17], s[14:15]
	s_wait_alu 0xfffe
	s_sub_nc_u64 s[4:5], s[18:19], s[4:5]
	s_wait_alu 0xfffe
	v_add_co_u32 v13, s1, s4, v19
	s_wait_alu 0xf1ff
	v_add_co_ci_u32_e64 v14, null, s5, 0, s1
	s_mov_b32 s1, exec_lo
	v_add_co_u32 v17, vcc_lo, v13, v15
	s_wait_alu 0xfffd
	v_add_co_ci_u32_e64 v18, null, v14, v16, vcc_lo
	v_cmpx_gt_u32_e64 s22, v0
	s_cbranch_execz .LBB701_168
; %bb.133:
	s_mov_b32 s3, exec_lo
                                        ; implicit-def: $vgpr13_vgpr14
	v_cmpx_ge_u32_e64 v0, v19
	s_wait_alu 0xfffe
	s_xor_b32 s3, exec_lo, s3
; %bb.134:
	v_not_b32_e32 v13, v0
	s_delay_alu instid0(VALU_DEP_1) | instskip(SKIP_2) | instid1(VALU_DEP_2)
	v_ashrrev_i32_e32 v14, 31, v13
	v_add_co_u32 v13, vcc_lo, v17, v13
	s_wait_alu 0xfffd
	v_add_co_ci_u32_e64 v14, null, v18, v14, vcc_lo
; %bb.135:
	s_wait_alu 0xfffe
	s_and_not1_saveexec_b32 s3, s3
; %bb.136:
	v_add_co_u32 v13, vcc_lo, v15, v0
	s_wait_alu 0xfffd
	v_add_co_ci_u32_e64 v14, null, 0, v16, vcc_lo
; %bb.137:
	s_wait_alu 0xfffe
	s_or_b32 exec_lo, exec_lo, s3
	s_delay_alu instid0(VALU_DEP_1) | instskip(NEXT) | instid1(VALU_DEP_1)
	v_lshlrev_b64_e32 v[13:14], 2, v[13:14]
	v_add_co_u32 v13, vcc_lo, s10, v13
	s_wait_alu 0xfffd
	s_delay_alu instid0(VALU_DEP_2) | instskip(SKIP_3) | instid1(SALU_CYCLE_1)
	v_add_co_ci_u32_e64 v14, null, s11, v14, vcc_lo
	s_wait_dscnt 0x6
	global_store_b32 v[13:14], v11, off
	s_or_b32 exec_lo, exec_lo, s1
	s_mov_b32 s1, exec_lo
	v_cmpx_gt_u32_e64 s22, v44
	s_cbranch_execnz .LBB701_169
.LBB701_138:
	s_wait_alu 0xfffe
	s_or_b32 exec_lo, exec_lo, s1
	s_delay_alu instid0(SALU_CYCLE_1)
	s_mov_b32 s1, exec_lo
	v_cmpx_gt_u32_e64 s22, v43
	s_cbranch_execz .LBB701_174
.LBB701_139:
	s_mov_b32 s3, exec_lo
                                        ; implicit-def: $vgpr11_vgpr12
	v_cmpx_ge_u32_e64 v43, v19
	s_wait_alu 0xfffe
	s_xor_b32 s3, exec_lo, s3
	s_cbranch_execz .LBB701_141
; %bb.140:
	s_wait_dscnt 0x6
	v_xor_b32_e32 v11, 0xfffffdff, v0
                                        ; implicit-def: $vgpr43
	s_delay_alu instid0(VALU_DEP_1) | instskip(SKIP_2) | instid1(VALU_DEP_2)
	v_ashrrev_i32_e32 v12, 31, v11
	v_add_co_u32 v11, vcc_lo, v17, v11
	s_wait_alu 0xfffd
	v_add_co_ci_u32_e64 v12, null, v18, v12, vcc_lo
.LBB701_141:
	s_wait_alu 0xfffe
	s_and_not1_saveexec_b32 s3, s3
	s_cbranch_execz .LBB701_143
; %bb.142:
	s_wait_dscnt 0x6
	v_add_co_u32 v11, vcc_lo, v15, v43
	s_wait_alu 0xfffd
	v_add_co_ci_u32_e64 v12, null, 0, v16, vcc_lo
.LBB701_143:
	s_wait_alu 0xfffe
	s_or_b32 exec_lo, exec_lo, s3
	s_wait_dscnt 0x6
	s_delay_alu instid0(VALU_DEP_1) | instskip(NEXT) | instid1(VALU_DEP_1)
	v_lshlrev_b64_e32 v[11:12], 2, v[11:12]
	v_add_co_u32 v11, vcc_lo, s10, v11
	s_wait_alu 0xfffd
	s_delay_alu instid0(VALU_DEP_2) | instskip(SKIP_3) | instid1(SALU_CYCLE_1)
	v_add_co_ci_u32_e64 v12, null, s11, v12, vcc_lo
	s_wait_dscnt 0x5
	global_store_b32 v[11:12], v9, off
	s_or_b32 exec_lo, exec_lo, s1
	s_mov_b32 s1, exec_lo
	v_cmpx_gt_u32_e64 s22, v42
	s_cbranch_execnz .LBB701_175
.LBB701_144:
	s_wait_alu 0xfffe
	s_or_b32 exec_lo, exec_lo, s1
	s_delay_alu instid0(SALU_CYCLE_1)
	s_mov_b32 s1, exec_lo
	v_cmpx_gt_u32_e64 s22, v41
	s_cbranch_execz .LBB701_180
.LBB701_145:
	s_mov_b32 s3, exec_lo
                                        ; implicit-def: $vgpr9_vgpr10
	v_cmpx_ge_u32_e64 v41, v19
	s_wait_alu 0xfffe
	s_xor_b32 s3, exec_lo, s3
	s_cbranch_execz .LBB701_147
; %bb.146:
	s_wait_dscnt 0x5
	v_xor_b32_e32 v9, 0xfffffbff, v0
                                        ; implicit-def: $vgpr41
	s_delay_alu instid0(VALU_DEP_1) | instskip(SKIP_2) | instid1(VALU_DEP_2)
	v_ashrrev_i32_e32 v10, 31, v9
	v_add_co_u32 v9, vcc_lo, v17, v9
	s_wait_alu 0xfffd
	v_add_co_ci_u32_e64 v10, null, v18, v10, vcc_lo
.LBB701_147:
	s_wait_alu 0xfffe
	s_and_not1_saveexec_b32 s3, s3
	s_cbranch_execz .LBB701_149
; %bb.148:
	s_wait_dscnt 0x5
	v_add_co_u32 v9, vcc_lo, v15, v41
	s_wait_alu 0xfffd
	v_add_co_ci_u32_e64 v10, null, 0, v16, vcc_lo
.LBB701_149:
	s_wait_alu 0xfffe
	s_or_b32 exec_lo, exec_lo, s3
	s_wait_dscnt 0x5
	s_delay_alu instid0(VALU_DEP_1) | instskip(NEXT) | instid1(VALU_DEP_1)
	v_lshlrev_b64_e32 v[9:10], 2, v[9:10]
	v_add_co_u32 v9, vcc_lo, s10, v9
	s_wait_alu 0xfffd
	s_delay_alu instid0(VALU_DEP_2) | instskip(SKIP_3) | instid1(SALU_CYCLE_1)
	v_add_co_ci_u32_e64 v10, null, s11, v10, vcc_lo
	s_wait_dscnt 0x4
	global_store_b32 v[9:10], v7, off
	s_or_b32 exec_lo, exec_lo, s1
	s_mov_b32 s1, exec_lo
	v_cmpx_gt_u32_e64 s22, v40
	s_cbranch_execnz .LBB701_181
.LBB701_150:
	s_wait_alu 0xfffe
	s_or_b32 exec_lo, exec_lo, s1
	s_delay_alu instid0(SALU_CYCLE_1)
	s_mov_b32 s1, exec_lo
	v_cmpx_gt_u32_e64 s22, v39
	s_cbranch_execz .LBB701_186
.LBB701_151:
	s_mov_b32 s3, exec_lo
                                        ; implicit-def: $vgpr7_vgpr8
	v_cmpx_ge_u32_e64 v39, v19
	s_wait_alu 0xfffe
	s_xor_b32 s3, exec_lo, s3
	s_cbranch_execz .LBB701_153
; %bb.152:
	s_wait_dscnt 0x4
	v_xor_b32_e32 v7, 0xfffff9ff, v0
                                        ; implicit-def: $vgpr39
	s_delay_alu instid0(VALU_DEP_1) | instskip(SKIP_2) | instid1(VALU_DEP_2)
	v_ashrrev_i32_e32 v8, 31, v7
	v_add_co_u32 v7, vcc_lo, v17, v7
	s_wait_alu 0xfffd
	v_add_co_ci_u32_e64 v8, null, v18, v8, vcc_lo
.LBB701_153:
	s_wait_alu 0xfffe
	s_and_not1_saveexec_b32 s3, s3
	s_cbranch_execz .LBB701_155
; %bb.154:
	s_wait_dscnt 0x4
	v_add_co_u32 v7, vcc_lo, v15, v39
	s_wait_alu 0xfffd
	v_add_co_ci_u32_e64 v8, null, 0, v16, vcc_lo
.LBB701_155:
	s_wait_alu 0xfffe
	s_or_b32 exec_lo, exec_lo, s3
	s_wait_dscnt 0x4
	s_delay_alu instid0(VALU_DEP_1) | instskip(NEXT) | instid1(VALU_DEP_1)
	v_lshlrev_b64_e32 v[7:8], 2, v[7:8]
	v_add_co_u32 v7, vcc_lo, s10, v7
	s_wait_alu 0xfffd
	s_delay_alu instid0(VALU_DEP_2) | instskip(SKIP_3) | instid1(SALU_CYCLE_1)
	v_add_co_ci_u32_e64 v8, null, s11, v8, vcc_lo
	s_wait_dscnt 0x3
	global_store_b32 v[7:8], v5, off
	s_or_b32 exec_lo, exec_lo, s1
	s_mov_b32 s1, exec_lo
	v_cmpx_gt_u32_e64 s22, v38
	s_cbranch_execnz .LBB701_187
.LBB701_156:
	s_wait_alu 0xfffe
	s_or_b32 exec_lo, exec_lo, s1
	s_delay_alu instid0(SALU_CYCLE_1)
	s_mov_b32 s1, exec_lo
	v_cmpx_gt_u32_e64 s22, v37
	s_cbranch_execz .LBB701_192
.LBB701_157:
	s_mov_b32 s3, exec_lo
                                        ; implicit-def: $vgpr5_vgpr6
	v_cmpx_ge_u32_e64 v37, v19
	s_wait_alu 0xfffe
	s_xor_b32 s3, exec_lo, s3
	s_cbranch_execz .LBB701_159
; %bb.158:
	s_wait_dscnt 0x3
	v_xor_b32_e32 v5, 0xfffff7ff, v0
                                        ; implicit-def: $vgpr37
	s_delay_alu instid0(VALU_DEP_1) | instskip(SKIP_2) | instid1(VALU_DEP_2)
	v_ashrrev_i32_e32 v6, 31, v5
	v_add_co_u32 v5, vcc_lo, v17, v5
	s_wait_alu 0xfffd
	v_add_co_ci_u32_e64 v6, null, v18, v6, vcc_lo
.LBB701_159:
	s_wait_alu 0xfffe
	s_and_not1_saveexec_b32 s3, s3
	s_cbranch_execz .LBB701_161
; %bb.160:
	s_wait_dscnt 0x3
	v_add_co_u32 v5, vcc_lo, v15, v37
	s_wait_alu 0xfffd
	v_add_co_ci_u32_e64 v6, null, 0, v16, vcc_lo
.LBB701_161:
	s_wait_alu 0xfffe
	s_or_b32 exec_lo, exec_lo, s3
	s_wait_dscnt 0x3
	s_delay_alu instid0(VALU_DEP_1) | instskip(NEXT) | instid1(VALU_DEP_1)
	v_lshlrev_b64_e32 v[5:6], 2, v[5:6]
	v_add_co_u32 v5, vcc_lo, s10, v5
	s_wait_alu 0xfffd
	s_delay_alu instid0(VALU_DEP_2) | instskip(SKIP_3) | instid1(SALU_CYCLE_1)
	v_add_co_ci_u32_e64 v6, null, s11, v6, vcc_lo
	s_wait_dscnt 0x2
	global_store_b32 v[5:6], v3, off
	s_or_b32 exec_lo, exec_lo, s1
	s_mov_b32 s1, exec_lo
	v_cmpx_gt_u32_e64 s22, v36
	s_cbranch_execnz .LBB701_193
.LBB701_162:
	s_wait_alu 0xfffe
	s_or_b32 exec_lo, exec_lo, s1
	s_delay_alu instid0(SALU_CYCLE_1)
	s_mov_b32 s1, exec_lo
	v_cmpx_gt_u32_e64 s22, v35
	s_cbranch_execz .LBB701_198
.LBB701_163:
	s_mov_b32 s3, exec_lo
                                        ; implicit-def: $vgpr3_vgpr4
	v_cmpx_ge_u32_e64 v35, v19
	s_wait_alu 0xfffe
	s_xor_b32 s3, exec_lo, s3
	s_cbranch_execz .LBB701_165
; %bb.164:
	s_wait_dscnt 0x2
	v_xor_b32_e32 v3, 0xfffff5ff, v0
                                        ; implicit-def: $vgpr35
	s_delay_alu instid0(VALU_DEP_1) | instskip(SKIP_2) | instid1(VALU_DEP_2)
	v_ashrrev_i32_e32 v4, 31, v3
	v_add_co_u32 v3, vcc_lo, v17, v3
	s_wait_alu 0xfffd
	v_add_co_ci_u32_e64 v4, null, v18, v4, vcc_lo
.LBB701_165:
	s_wait_alu 0xfffe
	s_and_not1_saveexec_b32 s3, s3
	s_cbranch_execz .LBB701_167
; %bb.166:
	s_wait_dscnt 0x2
	v_add_co_u32 v3, vcc_lo, v15, v35
	s_wait_alu 0xfffd
	v_add_co_ci_u32_e64 v4, null, 0, v16, vcc_lo
.LBB701_167:
	s_wait_alu 0xfffe
	s_or_b32 exec_lo, exec_lo, s3
	s_wait_dscnt 0x2
	s_delay_alu instid0(VALU_DEP_1) | instskip(NEXT) | instid1(VALU_DEP_1)
	v_lshlrev_b64_e32 v[3:4], 2, v[3:4]
	v_add_co_u32 v3, vcc_lo, s10, v3
	s_wait_alu 0xfffd
	s_delay_alu instid0(VALU_DEP_2) | instskip(SKIP_3) | instid1(SALU_CYCLE_1)
	v_add_co_ci_u32_e64 v4, null, s11, v4, vcc_lo
	s_wait_dscnt 0x1
	global_store_b32 v[3:4], v1, off
	s_or_b32 exec_lo, exec_lo, s1
	s_mov_b32 s1, exec_lo
	v_cmpx_gt_u32_e64 s22, v34
	s_cbranch_execz .LBB701_204
	s_branch .LBB701_199
.LBB701_168:
	s_wait_alu 0xfffe
	s_or_b32 exec_lo, exec_lo, s1
	s_delay_alu instid0(SALU_CYCLE_1)
	s_mov_b32 s1, exec_lo
	v_cmpx_gt_u32_e64 s22, v44
	s_cbranch_execz .LBB701_138
.LBB701_169:
	s_mov_b32 s3, exec_lo
                                        ; implicit-def: $vgpr13_vgpr14
	v_cmpx_ge_u32_e64 v44, v19
	s_wait_alu 0xfffe
	s_xor_b32 s3, exec_lo, s3
	s_cbranch_execz .LBB701_171
; %bb.170:
	s_wait_dscnt 0x6
	v_xor_b32_e32 v11, 0xfffffeff, v0
                                        ; implicit-def: $vgpr44
	s_delay_alu instid0(VALU_DEP_1) | instskip(SKIP_2) | instid1(VALU_DEP_2)
	v_ashrrev_i32_e32 v14, 31, v11
	v_add_co_u32 v13, vcc_lo, v17, v11
	s_wait_alu 0xfffd
	v_add_co_ci_u32_e64 v14, null, v18, v14, vcc_lo
.LBB701_171:
	s_wait_alu 0xfffe
	s_and_not1_saveexec_b32 s3, s3
; %bb.172:
	v_add_co_u32 v13, vcc_lo, v15, v44
	s_wait_alu 0xfffd
	v_add_co_ci_u32_e64 v14, null, 0, v16, vcc_lo
; %bb.173:
	s_wait_alu 0xfffe
	s_or_b32 exec_lo, exec_lo, s3
	s_delay_alu instid0(VALU_DEP_1) | instskip(NEXT) | instid1(VALU_DEP_1)
	v_lshlrev_b64_e32 v[13:14], 2, v[13:14]
	v_add_co_u32 v13, vcc_lo, s10, v13
	s_wait_alu 0xfffd
	s_delay_alu instid0(VALU_DEP_2) | instskip(SKIP_3) | instid1(SALU_CYCLE_1)
	v_add_co_ci_u32_e64 v14, null, s11, v14, vcc_lo
	s_wait_dscnt 0x6
	global_store_b32 v[13:14], v12, off
	s_or_b32 exec_lo, exec_lo, s1
	s_mov_b32 s1, exec_lo
	v_cmpx_gt_u32_e64 s22, v43
	s_cbranch_execnz .LBB701_139
.LBB701_174:
	s_wait_alu 0xfffe
	s_or_b32 exec_lo, exec_lo, s1
	s_delay_alu instid0(SALU_CYCLE_1)
	s_mov_b32 s1, exec_lo
	v_cmpx_gt_u32_e64 s22, v42
	s_cbranch_execz .LBB701_144
.LBB701_175:
	s_mov_b32 s3, exec_lo
                                        ; implicit-def: $vgpr11_vgpr12
	v_cmpx_ge_u32_e64 v42, v19
	s_wait_alu 0xfffe
	s_xor_b32 s3, exec_lo, s3
	s_cbranch_execz .LBB701_177
; %bb.176:
	s_wait_dscnt 0x5
	v_xor_b32_e32 v9, 0xfffffcff, v0
                                        ; implicit-def: $vgpr42
	s_delay_alu instid0(VALU_DEP_1) | instskip(SKIP_2) | instid1(VALU_DEP_2)
	v_ashrrev_i32_e32 v12, 31, v9
	v_add_co_u32 v11, vcc_lo, v17, v9
	s_wait_alu 0xfffd
	v_add_co_ci_u32_e64 v12, null, v18, v12, vcc_lo
.LBB701_177:
	s_wait_alu 0xfffe
	s_and_not1_saveexec_b32 s3, s3
	s_cbranch_execz .LBB701_179
; %bb.178:
	s_wait_dscnt 0x6
	v_add_co_u32 v11, vcc_lo, v15, v42
	s_wait_alu 0xfffd
	v_add_co_ci_u32_e64 v12, null, 0, v16, vcc_lo
.LBB701_179:
	s_wait_alu 0xfffe
	s_or_b32 exec_lo, exec_lo, s3
	s_wait_dscnt 0x6
	s_delay_alu instid0(VALU_DEP_1) | instskip(NEXT) | instid1(VALU_DEP_1)
	v_lshlrev_b64_e32 v[11:12], 2, v[11:12]
	v_add_co_u32 v11, vcc_lo, s10, v11
	s_wait_alu 0xfffd
	s_delay_alu instid0(VALU_DEP_2) | instskip(SKIP_3) | instid1(SALU_CYCLE_1)
	v_add_co_ci_u32_e64 v12, null, s11, v12, vcc_lo
	s_wait_dscnt 0x5
	global_store_b32 v[11:12], v10, off
	s_or_b32 exec_lo, exec_lo, s1
	s_mov_b32 s1, exec_lo
	v_cmpx_gt_u32_e64 s22, v41
	s_cbranch_execnz .LBB701_145
.LBB701_180:
	s_wait_alu 0xfffe
	s_or_b32 exec_lo, exec_lo, s1
	s_delay_alu instid0(SALU_CYCLE_1)
	s_mov_b32 s1, exec_lo
	v_cmpx_gt_u32_e64 s22, v40
	s_cbranch_execz .LBB701_150
.LBB701_181:
	s_mov_b32 s3, exec_lo
                                        ; implicit-def: $vgpr9_vgpr10
	v_cmpx_ge_u32_e64 v40, v19
	s_wait_alu 0xfffe
	s_xor_b32 s3, exec_lo, s3
	s_cbranch_execz .LBB701_183
; %bb.182:
	s_wait_dscnt 0x4
	v_xor_b32_e32 v7, 0xfffffaff, v0
                                        ; implicit-def: $vgpr40
	s_delay_alu instid0(VALU_DEP_1) | instskip(SKIP_2) | instid1(VALU_DEP_2)
	v_ashrrev_i32_e32 v10, 31, v7
	v_add_co_u32 v9, vcc_lo, v17, v7
	s_wait_alu 0xfffd
	v_add_co_ci_u32_e64 v10, null, v18, v10, vcc_lo
.LBB701_183:
	s_wait_alu 0xfffe
	s_and_not1_saveexec_b32 s3, s3
	s_cbranch_execz .LBB701_185
; %bb.184:
	s_wait_dscnt 0x5
	v_add_co_u32 v9, vcc_lo, v15, v40
	s_wait_alu 0xfffd
	v_add_co_ci_u32_e64 v10, null, 0, v16, vcc_lo
.LBB701_185:
	s_wait_alu 0xfffe
	s_or_b32 exec_lo, exec_lo, s3
	s_wait_dscnt 0x5
	s_delay_alu instid0(VALU_DEP_1) | instskip(NEXT) | instid1(VALU_DEP_1)
	v_lshlrev_b64_e32 v[9:10], 2, v[9:10]
	v_add_co_u32 v9, vcc_lo, s10, v9
	s_wait_alu 0xfffd
	s_delay_alu instid0(VALU_DEP_2) | instskip(SKIP_3) | instid1(SALU_CYCLE_1)
	v_add_co_ci_u32_e64 v10, null, s11, v10, vcc_lo
	s_wait_dscnt 0x4
	global_store_b32 v[9:10], v8, off
	s_or_b32 exec_lo, exec_lo, s1
	s_mov_b32 s1, exec_lo
	v_cmpx_gt_u32_e64 s22, v39
	s_cbranch_execnz .LBB701_151
.LBB701_186:
	s_wait_alu 0xfffe
	s_or_b32 exec_lo, exec_lo, s1
	s_delay_alu instid0(SALU_CYCLE_1)
	s_mov_b32 s1, exec_lo
	v_cmpx_gt_u32_e64 s22, v38
	s_cbranch_execz .LBB701_156
.LBB701_187:
	s_mov_b32 s3, exec_lo
                                        ; implicit-def: $vgpr7_vgpr8
	v_cmpx_ge_u32_e64 v38, v19
	s_wait_alu 0xfffe
	s_xor_b32 s3, exec_lo, s3
	s_cbranch_execz .LBB701_189
; %bb.188:
	s_wait_dscnt 0x3
	v_xor_b32_e32 v5, 0xfffff8ff, v0
                                        ; implicit-def: $vgpr38
	s_delay_alu instid0(VALU_DEP_1) | instskip(SKIP_2) | instid1(VALU_DEP_2)
	v_ashrrev_i32_e32 v8, 31, v5
	v_add_co_u32 v7, vcc_lo, v17, v5
	s_wait_alu 0xfffd
	v_add_co_ci_u32_e64 v8, null, v18, v8, vcc_lo
.LBB701_189:
	s_wait_alu 0xfffe
	s_and_not1_saveexec_b32 s3, s3
	s_cbranch_execz .LBB701_191
; %bb.190:
	s_wait_dscnt 0x4
	v_add_co_u32 v7, vcc_lo, v15, v38
	s_wait_alu 0xfffd
	v_add_co_ci_u32_e64 v8, null, 0, v16, vcc_lo
.LBB701_191:
	s_wait_alu 0xfffe
	s_or_b32 exec_lo, exec_lo, s3
	s_wait_dscnt 0x4
	s_delay_alu instid0(VALU_DEP_1) | instskip(NEXT) | instid1(VALU_DEP_1)
	v_lshlrev_b64_e32 v[7:8], 2, v[7:8]
	v_add_co_u32 v7, vcc_lo, s10, v7
	s_wait_alu 0xfffd
	s_delay_alu instid0(VALU_DEP_2) | instskip(SKIP_3) | instid1(SALU_CYCLE_1)
	v_add_co_ci_u32_e64 v8, null, s11, v8, vcc_lo
	s_wait_dscnt 0x3
	global_store_b32 v[7:8], v6, off
	s_or_b32 exec_lo, exec_lo, s1
	s_mov_b32 s1, exec_lo
	v_cmpx_gt_u32_e64 s22, v37
	s_cbranch_execnz .LBB701_157
.LBB701_192:
	s_wait_alu 0xfffe
	s_or_b32 exec_lo, exec_lo, s1
	s_delay_alu instid0(SALU_CYCLE_1)
	s_mov_b32 s1, exec_lo
	v_cmpx_gt_u32_e64 s22, v36
	s_cbranch_execz .LBB701_162
.LBB701_193:
	s_mov_b32 s3, exec_lo
                                        ; implicit-def: $vgpr5_vgpr6
	v_cmpx_ge_u32_e64 v36, v19
	s_wait_alu 0xfffe
	s_xor_b32 s3, exec_lo, s3
	s_cbranch_execz .LBB701_195
; %bb.194:
	s_wait_dscnt 0x2
	v_xor_b32_e32 v3, 0xfffff6ff, v0
                                        ; implicit-def: $vgpr36
	s_delay_alu instid0(VALU_DEP_1) | instskip(SKIP_2) | instid1(VALU_DEP_2)
	v_ashrrev_i32_e32 v6, 31, v3
	v_add_co_u32 v5, vcc_lo, v17, v3
	s_wait_alu 0xfffd
	v_add_co_ci_u32_e64 v6, null, v18, v6, vcc_lo
.LBB701_195:
	s_wait_alu 0xfffe
	s_and_not1_saveexec_b32 s3, s3
	s_cbranch_execz .LBB701_197
; %bb.196:
	s_wait_dscnt 0x3
	v_add_co_u32 v5, vcc_lo, v15, v36
	s_wait_alu 0xfffd
	v_add_co_ci_u32_e64 v6, null, 0, v16, vcc_lo
.LBB701_197:
	s_wait_alu 0xfffe
	s_or_b32 exec_lo, exec_lo, s3
	s_wait_dscnt 0x3
	s_delay_alu instid0(VALU_DEP_1) | instskip(NEXT) | instid1(VALU_DEP_1)
	v_lshlrev_b64_e32 v[5:6], 2, v[5:6]
	v_add_co_u32 v5, vcc_lo, s10, v5
	s_wait_alu 0xfffd
	s_delay_alu instid0(VALU_DEP_2) | instskip(SKIP_3) | instid1(SALU_CYCLE_1)
	v_add_co_ci_u32_e64 v6, null, s11, v6, vcc_lo
	s_wait_dscnt 0x2
	global_store_b32 v[5:6], v4, off
	s_or_b32 exec_lo, exec_lo, s1
	s_mov_b32 s1, exec_lo
	v_cmpx_gt_u32_e64 s22, v35
	s_cbranch_execnz .LBB701_163
.LBB701_198:
	s_wait_alu 0xfffe
	s_or_b32 exec_lo, exec_lo, s1
	s_delay_alu instid0(SALU_CYCLE_1)
	s_mov_b32 s1, exec_lo
	v_cmpx_gt_u32_e64 s22, v34
	s_cbranch_execz .LBB701_204
.LBB701_199:
	s_mov_b32 s3, exec_lo
                                        ; implicit-def: $vgpr3_vgpr4
	v_cmpx_ge_u32_e64 v34, v19
	s_wait_alu 0xfffe
	s_xor_b32 s3, exec_lo, s3
	s_cbranch_execz .LBB701_201
; %bb.200:
	s_wait_dscnt 0x1
	v_xor_b32_e32 v1, 0xfffff4ff, v0
                                        ; implicit-def: $vgpr34
	s_delay_alu instid0(VALU_DEP_1) | instskip(SKIP_2) | instid1(VALU_DEP_2)
	v_ashrrev_i32_e32 v4, 31, v1
	v_add_co_u32 v3, vcc_lo, v17, v1
	s_wait_alu 0xfffd
	v_add_co_ci_u32_e64 v4, null, v18, v4, vcc_lo
.LBB701_201:
	s_wait_alu 0xfffe
	s_and_not1_saveexec_b32 s3, s3
	s_cbranch_execz .LBB701_203
; %bb.202:
	s_wait_dscnt 0x2
	v_add_co_u32 v3, vcc_lo, v15, v34
	s_wait_alu 0xfffd
	v_add_co_ci_u32_e64 v4, null, 0, v16, vcc_lo
.LBB701_203:
	s_wait_alu 0xfffe
	s_or_b32 exec_lo, exec_lo, s3
	s_wait_dscnt 0x2
	s_delay_alu instid0(VALU_DEP_1) | instskip(NEXT) | instid1(VALU_DEP_1)
	v_lshlrev_b64_e32 v[3:4], 2, v[3:4]
	v_add_co_u32 v3, vcc_lo, s10, v3
	s_wait_alu 0xfffd
	s_delay_alu instid0(VALU_DEP_2)
	v_add_co_ci_u32_e64 v4, null, s11, v4, vcc_lo
	s_wait_dscnt 0x1
	global_store_b32 v[3:4], v2, off
.LBB701_204:
	s_wait_alu 0xfffe
	s_or_b32 exec_lo, exec_lo, s1
	s_delay_alu instid0(SALU_CYCLE_1)
	s_mov_b32 s1, exec_lo
                                        ; implicit-def: $vgpr13_vgpr14
	v_cmpx_gt_u32_e64 s22, v33
	s_cbranch_execz .LBB701_210
; %bb.205:
	s_mov_b32 s3, exec_lo
                                        ; implicit-def: $vgpr13_vgpr14
	v_cmpx_ge_u32_e64 v33, v19
	s_wait_alu 0xfffe
	s_xor_b32 s3, exec_lo, s3
	s_cbranch_execz .LBB701_207
; %bb.206:
	v_xor_b32_e32 v0, 0xfffff3ff, v0
                                        ; implicit-def: $vgpr33
	s_wait_dscnt 0x1
	s_delay_alu instid0(VALU_DEP_1) | instskip(SKIP_2) | instid1(VALU_DEP_2)
	v_ashrrev_i32_e32 v1, 31, v0
	v_add_co_u32 v13, vcc_lo, v17, v0
	s_wait_alu 0xfffd
	v_add_co_ci_u32_e64 v14, null, v18, v1, vcc_lo
.LBB701_207:
	s_wait_alu 0xfffe
	s_and_not1_saveexec_b32 s3, s3
; %bb.208:
	v_add_co_u32 v13, vcc_lo, v15, v33
	s_wait_alu 0xfffd
	v_add_co_ci_u32_e64 v14, null, 0, v16, vcc_lo
; %bb.209:
	s_wait_alu 0xfffe
	s_or_b32 exec_lo, exec_lo, s3
	s_delay_alu instid0(SALU_CYCLE_1)
	s_or_b32 s0, s0, exec_lo
.LBB701_210:
	s_wait_alu 0xfffe
	s_or_b32 exec_lo, exec_lo, s1
	s_and_saveexec_b32 s1, s0
	s_cbranch_execnz .LBB701_129
.LBB701_211:
	s_wait_alu 0xfffe
	s_or_b32 exec_lo, exec_lo, s1
	s_and_b32 s0, s2, s9
	s_wait_alu 0xfffe
	s_and_saveexec_b32 s1, s0
	s_cbranch_execz .LBB701_130
.LBB701_212:
	v_add_co_u32 v0, vcc_lo, v15, v19
	s_wait_dscnt 0x1
	v_mov_b32_e32 v2, 0
	s_wait_alu 0xfffd
	v_add_co_ci_u32_e64 v1, null, 0, v16, vcc_lo
	global_store_b64 v2, v[0:1], s[12:13]
	s_endpgm
	.section	.rodata,"a",@progbits
	.p2align	6, 0x0
	.amdhsa_kernel _ZN7rocprim17ROCPRIM_400000_NS6detail17trampoline_kernelINS0_13select_configILj256ELj13ELNS0_17block_load_methodE3ELS4_3ELS4_3ELNS0_20block_scan_algorithmE0ELj4294967295EEENS1_25partition_config_selectorILNS1_17partition_subalgoE3EjNS0_10empty_typeEbEEZZNS1_14partition_implILS8_3ELb0ES6_jNS0_17counting_iteratorIjlEEPS9_SE_NS0_5tupleIJPjSE_EEENSF_IJSE_SE_EEES9_SG_JZNS1_25segmented_radix_sort_implINS0_14default_configELb1EPKlPlSM_SN_N2at6native12_GLOBAL__N_18offset_tEEE10hipError_tPvRmT1_PNSt15iterator_traitsISV_E10value_typeET2_T3_PNSW_IS11_E10value_typeET4_jRbjT5_S17_jjP12ihipStream_tbEUljE_EEESS_ST_SU_S11_S15_S17_T6_T7_T9_mT8_S19_bDpT10_ENKUlT_T0_E_clISt17integral_constantIbLb0EES1L_IbLb1EEEEDaS1H_S1I_EUlS1H_E_NS1_11comp_targetILNS1_3genE10ELNS1_11target_archE1200ELNS1_3gpuE4ELNS1_3repE0EEENS1_30default_config_static_selectorELNS0_4arch9wavefront6targetE0EEEvSV_
		.amdhsa_group_segment_fixed_size 13320
		.amdhsa_private_segment_fixed_size 0
		.amdhsa_kernarg_size 152
		.amdhsa_user_sgpr_count 2
		.amdhsa_user_sgpr_dispatch_ptr 0
		.amdhsa_user_sgpr_queue_ptr 0
		.amdhsa_user_sgpr_kernarg_segment_ptr 1
		.amdhsa_user_sgpr_dispatch_id 0
		.amdhsa_user_sgpr_private_segment_size 0
		.amdhsa_wavefront_size32 1
		.amdhsa_uses_dynamic_stack 0
		.amdhsa_enable_private_segment 0
		.amdhsa_system_sgpr_workgroup_id_x 1
		.amdhsa_system_sgpr_workgroup_id_y 0
		.amdhsa_system_sgpr_workgroup_id_z 0
		.amdhsa_system_sgpr_workgroup_info 0
		.amdhsa_system_vgpr_workitem_id 0
		.amdhsa_next_free_vgpr 71
		.amdhsa_next_free_sgpr 26
		.amdhsa_reserve_vcc 1
		.amdhsa_float_round_mode_32 0
		.amdhsa_float_round_mode_16_64 0
		.amdhsa_float_denorm_mode_32 3
		.amdhsa_float_denorm_mode_16_64 3
		.amdhsa_fp16_overflow 0
		.amdhsa_workgroup_processor_mode 1
		.amdhsa_memory_ordered 1
		.amdhsa_forward_progress 1
		.amdhsa_inst_pref_size 86
		.amdhsa_round_robin_scheduling 0
		.amdhsa_exception_fp_ieee_invalid_op 0
		.amdhsa_exception_fp_denorm_src 0
		.amdhsa_exception_fp_ieee_div_zero 0
		.amdhsa_exception_fp_ieee_overflow 0
		.amdhsa_exception_fp_ieee_underflow 0
		.amdhsa_exception_fp_ieee_inexact 0
		.amdhsa_exception_int_div_zero 0
	.end_amdhsa_kernel
	.section	.text._ZN7rocprim17ROCPRIM_400000_NS6detail17trampoline_kernelINS0_13select_configILj256ELj13ELNS0_17block_load_methodE3ELS4_3ELS4_3ELNS0_20block_scan_algorithmE0ELj4294967295EEENS1_25partition_config_selectorILNS1_17partition_subalgoE3EjNS0_10empty_typeEbEEZZNS1_14partition_implILS8_3ELb0ES6_jNS0_17counting_iteratorIjlEEPS9_SE_NS0_5tupleIJPjSE_EEENSF_IJSE_SE_EEES9_SG_JZNS1_25segmented_radix_sort_implINS0_14default_configELb1EPKlPlSM_SN_N2at6native12_GLOBAL__N_18offset_tEEE10hipError_tPvRmT1_PNSt15iterator_traitsISV_E10value_typeET2_T3_PNSW_IS11_E10value_typeET4_jRbjT5_S17_jjP12ihipStream_tbEUljE_EEESS_ST_SU_S11_S15_S17_T6_T7_T9_mT8_S19_bDpT10_ENKUlT_T0_E_clISt17integral_constantIbLb0EES1L_IbLb1EEEEDaS1H_S1I_EUlS1H_E_NS1_11comp_targetILNS1_3genE10ELNS1_11target_archE1200ELNS1_3gpuE4ELNS1_3repE0EEENS1_30default_config_static_selectorELNS0_4arch9wavefront6targetE0EEEvSV_,"axG",@progbits,_ZN7rocprim17ROCPRIM_400000_NS6detail17trampoline_kernelINS0_13select_configILj256ELj13ELNS0_17block_load_methodE3ELS4_3ELS4_3ELNS0_20block_scan_algorithmE0ELj4294967295EEENS1_25partition_config_selectorILNS1_17partition_subalgoE3EjNS0_10empty_typeEbEEZZNS1_14partition_implILS8_3ELb0ES6_jNS0_17counting_iteratorIjlEEPS9_SE_NS0_5tupleIJPjSE_EEENSF_IJSE_SE_EEES9_SG_JZNS1_25segmented_radix_sort_implINS0_14default_configELb1EPKlPlSM_SN_N2at6native12_GLOBAL__N_18offset_tEEE10hipError_tPvRmT1_PNSt15iterator_traitsISV_E10value_typeET2_T3_PNSW_IS11_E10value_typeET4_jRbjT5_S17_jjP12ihipStream_tbEUljE_EEESS_ST_SU_S11_S15_S17_T6_T7_T9_mT8_S19_bDpT10_ENKUlT_T0_E_clISt17integral_constantIbLb0EES1L_IbLb1EEEEDaS1H_S1I_EUlS1H_E_NS1_11comp_targetILNS1_3genE10ELNS1_11target_archE1200ELNS1_3gpuE4ELNS1_3repE0EEENS1_30default_config_static_selectorELNS0_4arch9wavefront6targetE0EEEvSV_,comdat
.Lfunc_end701:
	.size	_ZN7rocprim17ROCPRIM_400000_NS6detail17trampoline_kernelINS0_13select_configILj256ELj13ELNS0_17block_load_methodE3ELS4_3ELS4_3ELNS0_20block_scan_algorithmE0ELj4294967295EEENS1_25partition_config_selectorILNS1_17partition_subalgoE3EjNS0_10empty_typeEbEEZZNS1_14partition_implILS8_3ELb0ES6_jNS0_17counting_iteratorIjlEEPS9_SE_NS0_5tupleIJPjSE_EEENSF_IJSE_SE_EEES9_SG_JZNS1_25segmented_radix_sort_implINS0_14default_configELb1EPKlPlSM_SN_N2at6native12_GLOBAL__N_18offset_tEEE10hipError_tPvRmT1_PNSt15iterator_traitsISV_E10value_typeET2_T3_PNSW_IS11_E10value_typeET4_jRbjT5_S17_jjP12ihipStream_tbEUljE_EEESS_ST_SU_S11_S15_S17_T6_T7_T9_mT8_S19_bDpT10_ENKUlT_T0_E_clISt17integral_constantIbLb0EES1L_IbLb1EEEEDaS1H_S1I_EUlS1H_E_NS1_11comp_targetILNS1_3genE10ELNS1_11target_archE1200ELNS1_3gpuE4ELNS1_3repE0EEENS1_30default_config_static_selectorELNS0_4arch9wavefront6targetE0EEEvSV_, .Lfunc_end701-_ZN7rocprim17ROCPRIM_400000_NS6detail17trampoline_kernelINS0_13select_configILj256ELj13ELNS0_17block_load_methodE3ELS4_3ELS4_3ELNS0_20block_scan_algorithmE0ELj4294967295EEENS1_25partition_config_selectorILNS1_17partition_subalgoE3EjNS0_10empty_typeEbEEZZNS1_14partition_implILS8_3ELb0ES6_jNS0_17counting_iteratorIjlEEPS9_SE_NS0_5tupleIJPjSE_EEENSF_IJSE_SE_EEES9_SG_JZNS1_25segmented_radix_sort_implINS0_14default_configELb1EPKlPlSM_SN_N2at6native12_GLOBAL__N_18offset_tEEE10hipError_tPvRmT1_PNSt15iterator_traitsISV_E10value_typeET2_T3_PNSW_IS11_E10value_typeET4_jRbjT5_S17_jjP12ihipStream_tbEUljE_EEESS_ST_SU_S11_S15_S17_T6_T7_T9_mT8_S19_bDpT10_ENKUlT_T0_E_clISt17integral_constantIbLb0EES1L_IbLb1EEEEDaS1H_S1I_EUlS1H_E_NS1_11comp_targetILNS1_3genE10ELNS1_11target_archE1200ELNS1_3gpuE4ELNS1_3repE0EEENS1_30default_config_static_selectorELNS0_4arch9wavefront6targetE0EEEvSV_
                                        ; -- End function
	.set _ZN7rocprim17ROCPRIM_400000_NS6detail17trampoline_kernelINS0_13select_configILj256ELj13ELNS0_17block_load_methodE3ELS4_3ELS4_3ELNS0_20block_scan_algorithmE0ELj4294967295EEENS1_25partition_config_selectorILNS1_17partition_subalgoE3EjNS0_10empty_typeEbEEZZNS1_14partition_implILS8_3ELb0ES6_jNS0_17counting_iteratorIjlEEPS9_SE_NS0_5tupleIJPjSE_EEENSF_IJSE_SE_EEES9_SG_JZNS1_25segmented_radix_sort_implINS0_14default_configELb1EPKlPlSM_SN_N2at6native12_GLOBAL__N_18offset_tEEE10hipError_tPvRmT1_PNSt15iterator_traitsISV_E10value_typeET2_T3_PNSW_IS11_E10value_typeET4_jRbjT5_S17_jjP12ihipStream_tbEUljE_EEESS_ST_SU_S11_S15_S17_T6_T7_T9_mT8_S19_bDpT10_ENKUlT_T0_E_clISt17integral_constantIbLb0EES1L_IbLb1EEEEDaS1H_S1I_EUlS1H_E_NS1_11comp_targetILNS1_3genE10ELNS1_11target_archE1200ELNS1_3gpuE4ELNS1_3repE0EEENS1_30default_config_static_selectorELNS0_4arch9wavefront6targetE0EEEvSV_.num_vgpr, 71
	.set _ZN7rocprim17ROCPRIM_400000_NS6detail17trampoline_kernelINS0_13select_configILj256ELj13ELNS0_17block_load_methodE3ELS4_3ELS4_3ELNS0_20block_scan_algorithmE0ELj4294967295EEENS1_25partition_config_selectorILNS1_17partition_subalgoE3EjNS0_10empty_typeEbEEZZNS1_14partition_implILS8_3ELb0ES6_jNS0_17counting_iteratorIjlEEPS9_SE_NS0_5tupleIJPjSE_EEENSF_IJSE_SE_EEES9_SG_JZNS1_25segmented_radix_sort_implINS0_14default_configELb1EPKlPlSM_SN_N2at6native12_GLOBAL__N_18offset_tEEE10hipError_tPvRmT1_PNSt15iterator_traitsISV_E10value_typeET2_T3_PNSW_IS11_E10value_typeET4_jRbjT5_S17_jjP12ihipStream_tbEUljE_EEESS_ST_SU_S11_S15_S17_T6_T7_T9_mT8_S19_bDpT10_ENKUlT_T0_E_clISt17integral_constantIbLb0EES1L_IbLb1EEEEDaS1H_S1I_EUlS1H_E_NS1_11comp_targetILNS1_3genE10ELNS1_11target_archE1200ELNS1_3gpuE4ELNS1_3repE0EEENS1_30default_config_static_selectorELNS0_4arch9wavefront6targetE0EEEvSV_.num_agpr, 0
	.set _ZN7rocprim17ROCPRIM_400000_NS6detail17trampoline_kernelINS0_13select_configILj256ELj13ELNS0_17block_load_methodE3ELS4_3ELS4_3ELNS0_20block_scan_algorithmE0ELj4294967295EEENS1_25partition_config_selectorILNS1_17partition_subalgoE3EjNS0_10empty_typeEbEEZZNS1_14partition_implILS8_3ELb0ES6_jNS0_17counting_iteratorIjlEEPS9_SE_NS0_5tupleIJPjSE_EEENSF_IJSE_SE_EEES9_SG_JZNS1_25segmented_radix_sort_implINS0_14default_configELb1EPKlPlSM_SN_N2at6native12_GLOBAL__N_18offset_tEEE10hipError_tPvRmT1_PNSt15iterator_traitsISV_E10value_typeET2_T3_PNSW_IS11_E10value_typeET4_jRbjT5_S17_jjP12ihipStream_tbEUljE_EEESS_ST_SU_S11_S15_S17_T6_T7_T9_mT8_S19_bDpT10_ENKUlT_T0_E_clISt17integral_constantIbLb0EES1L_IbLb1EEEEDaS1H_S1I_EUlS1H_E_NS1_11comp_targetILNS1_3genE10ELNS1_11target_archE1200ELNS1_3gpuE4ELNS1_3repE0EEENS1_30default_config_static_selectorELNS0_4arch9wavefront6targetE0EEEvSV_.numbered_sgpr, 26
	.set _ZN7rocprim17ROCPRIM_400000_NS6detail17trampoline_kernelINS0_13select_configILj256ELj13ELNS0_17block_load_methodE3ELS4_3ELS4_3ELNS0_20block_scan_algorithmE0ELj4294967295EEENS1_25partition_config_selectorILNS1_17partition_subalgoE3EjNS0_10empty_typeEbEEZZNS1_14partition_implILS8_3ELb0ES6_jNS0_17counting_iteratorIjlEEPS9_SE_NS0_5tupleIJPjSE_EEENSF_IJSE_SE_EEES9_SG_JZNS1_25segmented_radix_sort_implINS0_14default_configELb1EPKlPlSM_SN_N2at6native12_GLOBAL__N_18offset_tEEE10hipError_tPvRmT1_PNSt15iterator_traitsISV_E10value_typeET2_T3_PNSW_IS11_E10value_typeET4_jRbjT5_S17_jjP12ihipStream_tbEUljE_EEESS_ST_SU_S11_S15_S17_T6_T7_T9_mT8_S19_bDpT10_ENKUlT_T0_E_clISt17integral_constantIbLb0EES1L_IbLb1EEEEDaS1H_S1I_EUlS1H_E_NS1_11comp_targetILNS1_3genE10ELNS1_11target_archE1200ELNS1_3gpuE4ELNS1_3repE0EEENS1_30default_config_static_selectorELNS0_4arch9wavefront6targetE0EEEvSV_.num_named_barrier, 0
	.set _ZN7rocprim17ROCPRIM_400000_NS6detail17trampoline_kernelINS0_13select_configILj256ELj13ELNS0_17block_load_methodE3ELS4_3ELS4_3ELNS0_20block_scan_algorithmE0ELj4294967295EEENS1_25partition_config_selectorILNS1_17partition_subalgoE3EjNS0_10empty_typeEbEEZZNS1_14partition_implILS8_3ELb0ES6_jNS0_17counting_iteratorIjlEEPS9_SE_NS0_5tupleIJPjSE_EEENSF_IJSE_SE_EEES9_SG_JZNS1_25segmented_radix_sort_implINS0_14default_configELb1EPKlPlSM_SN_N2at6native12_GLOBAL__N_18offset_tEEE10hipError_tPvRmT1_PNSt15iterator_traitsISV_E10value_typeET2_T3_PNSW_IS11_E10value_typeET4_jRbjT5_S17_jjP12ihipStream_tbEUljE_EEESS_ST_SU_S11_S15_S17_T6_T7_T9_mT8_S19_bDpT10_ENKUlT_T0_E_clISt17integral_constantIbLb0EES1L_IbLb1EEEEDaS1H_S1I_EUlS1H_E_NS1_11comp_targetILNS1_3genE10ELNS1_11target_archE1200ELNS1_3gpuE4ELNS1_3repE0EEENS1_30default_config_static_selectorELNS0_4arch9wavefront6targetE0EEEvSV_.private_seg_size, 0
	.set _ZN7rocprim17ROCPRIM_400000_NS6detail17trampoline_kernelINS0_13select_configILj256ELj13ELNS0_17block_load_methodE3ELS4_3ELS4_3ELNS0_20block_scan_algorithmE0ELj4294967295EEENS1_25partition_config_selectorILNS1_17partition_subalgoE3EjNS0_10empty_typeEbEEZZNS1_14partition_implILS8_3ELb0ES6_jNS0_17counting_iteratorIjlEEPS9_SE_NS0_5tupleIJPjSE_EEENSF_IJSE_SE_EEES9_SG_JZNS1_25segmented_radix_sort_implINS0_14default_configELb1EPKlPlSM_SN_N2at6native12_GLOBAL__N_18offset_tEEE10hipError_tPvRmT1_PNSt15iterator_traitsISV_E10value_typeET2_T3_PNSW_IS11_E10value_typeET4_jRbjT5_S17_jjP12ihipStream_tbEUljE_EEESS_ST_SU_S11_S15_S17_T6_T7_T9_mT8_S19_bDpT10_ENKUlT_T0_E_clISt17integral_constantIbLb0EES1L_IbLb1EEEEDaS1H_S1I_EUlS1H_E_NS1_11comp_targetILNS1_3genE10ELNS1_11target_archE1200ELNS1_3gpuE4ELNS1_3repE0EEENS1_30default_config_static_selectorELNS0_4arch9wavefront6targetE0EEEvSV_.uses_vcc, 1
	.set _ZN7rocprim17ROCPRIM_400000_NS6detail17trampoline_kernelINS0_13select_configILj256ELj13ELNS0_17block_load_methodE3ELS4_3ELS4_3ELNS0_20block_scan_algorithmE0ELj4294967295EEENS1_25partition_config_selectorILNS1_17partition_subalgoE3EjNS0_10empty_typeEbEEZZNS1_14partition_implILS8_3ELb0ES6_jNS0_17counting_iteratorIjlEEPS9_SE_NS0_5tupleIJPjSE_EEENSF_IJSE_SE_EEES9_SG_JZNS1_25segmented_radix_sort_implINS0_14default_configELb1EPKlPlSM_SN_N2at6native12_GLOBAL__N_18offset_tEEE10hipError_tPvRmT1_PNSt15iterator_traitsISV_E10value_typeET2_T3_PNSW_IS11_E10value_typeET4_jRbjT5_S17_jjP12ihipStream_tbEUljE_EEESS_ST_SU_S11_S15_S17_T6_T7_T9_mT8_S19_bDpT10_ENKUlT_T0_E_clISt17integral_constantIbLb0EES1L_IbLb1EEEEDaS1H_S1I_EUlS1H_E_NS1_11comp_targetILNS1_3genE10ELNS1_11target_archE1200ELNS1_3gpuE4ELNS1_3repE0EEENS1_30default_config_static_selectorELNS0_4arch9wavefront6targetE0EEEvSV_.uses_flat_scratch, 0
	.set _ZN7rocprim17ROCPRIM_400000_NS6detail17trampoline_kernelINS0_13select_configILj256ELj13ELNS0_17block_load_methodE3ELS4_3ELS4_3ELNS0_20block_scan_algorithmE0ELj4294967295EEENS1_25partition_config_selectorILNS1_17partition_subalgoE3EjNS0_10empty_typeEbEEZZNS1_14partition_implILS8_3ELb0ES6_jNS0_17counting_iteratorIjlEEPS9_SE_NS0_5tupleIJPjSE_EEENSF_IJSE_SE_EEES9_SG_JZNS1_25segmented_radix_sort_implINS0_14default_configELb1EPKlPlSM_SN_N2at6native12_GLOBAL__N_18offset_tEEE10hipError_tPvRmT1_PNSt15iterator_traitsISV_E10value_typeET2_T3_PNSW_IS11_E10value_typeET4_jRbjT5_S17_jjP12ihipStream_tbEUljE_EEESS_ST_SU_S11_S15_S17_T6_T7_T9_mT8_S19_bDpT10_ENKUlT_T0_E_clISt17integral_constantIbLb0EES1L_IbLb1EEEEDaS1H_S1I_EUlS1H_E_NS1_11comp_targetILNS1_3genE10ELNS1_11target_archE1200ELNS1_3gpuE4ELNS1_3repE0EEENS1_30default_config_static_selectorELNS0_4arch9wavefront6targetE0EEEvSV_.has_dyn_sized_stack, 0
	.set _ZN7rocprim17ROCPRIM_400000_NS6detail17trampoline_kernelINS0_13select_configILj256ELj13ELNS0_17block_load_methodE3ELS4_3ELS4_3ELNS0_20block_scan_algorithmE0ELj4294967295EEENS1_25partition_config_selectorILNS1_17partition_subalgoE3EjNS0_10empty_typeEbEEZZNS1_14partition_implILS8_3ELb0ES6_jNS0_17counting_iteratorIjlEEPS9_SE_NS0_5tupleIJPjSE_EEENSF_IJSE_SE_EEES9_SG_JZNS1_25segmented_radix_sort_implINS0_14default_configELb1EPKlPlSM_SN_N2at6native12_GLOBAL__N_18offset_tEEE10hipError_tPvRmT1_PNSt15iterator_traitsISV_E10value_typeET2_T3_PNSW_IS11_E10value_typeET4_jRbjT5_S17_jjP12ihipStream_tbEUljE_EEESS_ST_SU_S11_S15_S17_T6_T7_T9_mT8_S19_bDpT10_ENKUlT_T0_E_clISt17integral_constantIbLb0EES1L_IbLb1EEEEDaS1H_S1I_EUlS1H_E_NS1_11comp_targetILNS1_3genE10ELNS1_11target_archE1200ELNS1_3gpuE4ELNS1_3repE0EEENS1_30default_config_static_selectorELNS0_4arch9wavefront6targetE0EEEvSV_.has_recursion, 0
	.set _ZN7rocprim17ROCPRIM_400000_NS6detail17trampoline_kernelINS0_13select_configILj256ELj13ELNS0_17block_load_methodE3ELS4_3ELS4_3ELNS0_20block_scan_algorithmE0ELj4294967295EEENS1_25partition_config_selectorILNS1_17partition_subalgoE3EjNS0_10empty_typeEbEEZZNS1_14partition_implILS8_3ELb0ES6_jNS0_17counting_iteratorIjlEEPS9_SE_NS0_5tupleIJPjSE_EEENSF_IJSE_SE_EEES9_SG_JZNS1_25segmented_radix_sort_implINS0_14default_configELb1EPKlPlSM_SN_N2at6native12_GLOBAL__N_18offset_tEEE10hipError_tPvRmT1_PNSt15iterator_traitsISV_E10value_typeET2_T3_PNSW_IS11_E10value_typeET4_jRbjT5_S17_jjP12ihipStream_tbEUljE_EEESS_ST_SU_S11_S15_S17_T6_T7_T9_mT8_S19_bDpT10_ENKUlT_T0_E_clISt17integral_constantIbLb0EES1L_IbLb1EEEEDaS1H_S1I_EUlS1H_E_NS1_11comp_targetILNS1_3genE10ELNS1_11target_archE1200ELNS1_3gpuE4ELNS1_3repE0EEENS1_30default_config_static_selectorELNS0_4arch9wavefront6targetE0EEEvSV_.has_indirect_call, 0
	.section	.AMDGPU.csdata,"",@progbits
; Kernel info:
; codeLenInByte = 10900
; TotalNumSgprs: 28
; NumVgprs: 71
; ScratchSize: 0
; MemoryBound: 0
; FloatMode: 240
; IeeeMode: 1
; LDSByteSize: 13320 bytes/workgroup (compile time only)
; SGPRBlocks: 0
; VGPRBlocks: 8
; NumSGPRsForWavesPerEU: 28
; NumVGPRsForWavesPerEU: 71
; Occupancy: 16
; WaveLimiterHint : 0
; COMPUTE_PGM_RSRC2:SCRATCH_EN: 0
; COMPUTE_PGM_RSRC2:USER_SGPR: 2
; COMPUTE_PGM_RSRC2:TRAP_HANDLER: 0
; COMPUTE_PGM_RSRC2:TGID_X_EN: 1
; COMPUTE_PGM_RSRC2:TGID_Y_EN: 0
; COMPUTE_PGM_RSRC2:TGID_Z_EN: 0
; COMPUTE_PGM_RSRC2:TIDIG_COMP_CNT: 0
	.section	.text._ZN7rocprim17ROCPRIM_400000_NS6detail17trampoline_kernelINS0_13select_configILj256ELj13ELNS0_17block_load_methodE3ELS4_3ELS4_3ELNS0_20block_scan_algorithmE0ELj4294967295EEENS1_25partition_config_selectorILNS1_17partition_subalgoE3EjNS0_10empty_typeEbEEZZNS1_14partition_implILS8_3ELb0ES6_jNS0_17counting_iteratorIjlEEPS9_SE_NS0_5tupleIJPjSE_EEENSF_IJSE_SE_EEES9_SG_JZNS1_25segmented_radix_sort_implINS0_14default_configELb1EPKlPlSM_SN_N2at6native12_GLOBAL__N_18offset_tEEE10hipError_tPvRmT1_PNSt15iterator_traitsISV_E10value_typeET2_T3_PNSW_IS11_E10value_typeET4_jRbjT5_S17_jjP12ihipStream_tbEUljE_EEESS_ST_SU_S11_S15_S17_T6_T7_T9_mT8_S19_bDpT10_ENKUlT_T0_E_clISt17integral_constantIbLb0EES1L_IbLb1EEEEDaS1H_S1I_EUlS1H_E_NS1_11comp_targetILNS1_3genE9ELNS1_11target_archE1100ELNS1_3gpuE3ELNS1_3repE0EEENS1_30default_config_static_selectorELNS0_4arch9wavefront6targetE0EEEvSV_,"axG",@progbits,_ZN7rocprim17ROCPRIM_400000_NS6detail17trampoline_kernelINS0_13select_configILj256ELj13ELNS0_17block_load_methodE3ELS4_3ELS4_3ELNS0_20block_scan_algorithmE0ELj4294967295EEENS1_25partition_config_selectorILNS1_17partition_subalgoE3EjNS0_10empty_typeEbEEZZNS1_14partition_implILS8_3ELb0ES6_jNS0_17counting_iteratorIjlEEPS9_SE_NS0_5tupleIJPjSE_EEENSF_IJSE_SE_EEES9_SG_JZNS1_25segmented_radix_sort_implINS0_14default_configELb1EPKlPlSM_SN_N2at6native12_GLOBAL__N_18offset_tEEE10hipError_tPvRmT1_PNSt15iterator_traitsISV_E10value_typeET2_T3_PNSW_IS11_E10value_typeET4_jRbjT5_S17_jjP12ihipStream_tbEUljE_EEESS_ST_SU_S11_S15_S17_T6_T7_T9_mT8_S19_bDpT10_ENKUlT_T0_E_clISt17integral_constantIbLb0EES1L_IbLb1EEEEDaS1H_S1I_EUlS1H_E_NS1_11comp_targetILNS1_3genE9ELNS1_11target_archE1100ELNS1_3gpuE3ELNS1_3repE0EEENS1_30default_config_static_selectorELNS0_4arch9wavefront6targetE0EEEvSV_,comdat
	.globl	_ZN7rocprim17ROCPRIM_400000_NS6detail17trampoline_kernelINS0_13select_configILj256ELj13ELNS0_17block_load_methodE3ELS4_3ELS4_3ELNS0_20block_scan_algorithmE0ELj4294967295EEENS1_25partition_config_selectorILNS1_17partition_subalgoE3EjNS0_10empty_typeEbEEZZNS1_14partition_implILS8_3ELb0ES6_jNS0_17counting_iteratorIjlEEPS9_SE_NS0_5tupleIJPjSE_EEENSF_IJSE_SE_EEES9_SG_JZNS1_25segmented_radix_sort_implINS0_14default_configELb1EPKlPlSM_SN_N2at6native12_GLOBAL__N_18offset_tEEE10hipError_tPvRmT1_PNSt15iterator_traitsISV_E10value_typeET2_T3_PNSW_IS11_E10value_typeET4_jRbjT5_S17_jjP12ihipStream_tbEUljE_EEESS_ST_SU_S11_S15_S17_T6_T7_T9_mT8_S19_bDpT10_ENKUlT_T0_E_clISt17integral_constantIbLb0EES1L_IbLb1EEEEDaS1H_S1I_EUlS1H_E_NS1_11comp_targetILNS1_3genE9ELNS1_11target_archE1100ELNS1_3gpuE3ELNS1_3repE0EEENS1_30default_config_static_selectorELNS0_4arch9wavefront6targetE0EEEvSV_ ; -- Begin function _ZN7rocprim17ROCPRIM_400000_NS6detail17trampoline_kernelINS0_13select_configILj256ELj13ELNS0_17block_load_methodE3ELS4_3ELS4_3ELNS0_20block_scan_algorithmE0ELj4294967295EEENS1_25partition_config_selectorILNS1_17partition_subalgoE3EjNS0_10empty_typeEbEEZZNS1_14partition_implILS8_3ELb0ES6_jNS0_17counting_iteratorIjlEEPS9_SE_NS0_5tupleIJPjSE_EEENSF_IJSE_SE_EEES9_SG_JZNS1_25segmented_radix_sort_implINS0_14default_configELb1EPKlPlSM_SN_N2at6native12_GLOBAL__N_18offset_tEEE10hipError_tPvRmT1_PNSt15iterator_traitsISV_E10value_typeET2_T3_PNSW_IS11_E10value_typeET4_jRbjT5_S17_jjP12ihipStream_tbEUljE_EEESS_ST_SU_S11_S15_S17_T6_T7_T9_mT8_S19_bDpT10_ENKUlT_T0_E_clISt17integral_constantIbLb0EES1L_IbLb1EEEEDaS1H_S1I_EUlS1H_E_NS1_11comp_targetILNS1_3genE9ELNS1_11target_archE1100ELNS1_3gpuE3ELNS1_3repE0EEENS1_30default_config_static_selectorELNS0_4arch9wavefront6targetE0EEEvSV_
	.p2align	8
	.type	_ZN7rocprim17ROCPRIM_400000_NS6detail17trampoline_kernelINS0_13select_configILj256ELj13ELNS0_17block_load_methodE3ELS4_3ELS4_3ELNS0_20block_scan_algorithmE0ELj4294967295EEENS1_25partition_config_selectorILNS1_17partition_subalgoE3EjNS0_10empty_typeEbEEZZNS1_14partition_implILS8_3ELb0ES6_jNS0_17counting_iteratorIjlEEPS9_SE_NS0_5tupleIJPjSE_EEENSF_IJSE_SE_EEES9_SG_JZNS1_25segmented_radix_sort_implINS0_14default_configELb1EPKlPlSM_SN_N2at6native12_GLOBAL__N_18offset_tEEE10hipError_tPvRmT1_PNSt15iterator_traitsISV_E10value_typeET2_T3_PNSW_IS11_E10value_typeET4_jRbjT5_S17_jjP12ihipStream_tbEUljE_EEESS_ST_SU_S11_S15_S17_T6_T7_T9_mT8_S19_bDpT10_ENKUlT_T0_E_clISt17integral_constantIbLb0EES1L_IbLb1EEEEDaS1H_S1I_EUlS1H_E_NS1_11comp_targetILNS1_3genE9ELNS1_11target_archE1100ELNS1_3gpuE3ELNS1_3repE0EEENS1_30default_config_static_selectorELNS0_4arch9wavefront6targetE0EEEvSV_,@function
_ZN7rocprim17ROCPRIM_400000_NS6detail17trampoline_kernelINS0_13select_configILj256ELj13ELNS0_17block_load_methodE3ELS4_3ELS4_3ELNS0_20block_scan_algorithmE0ELj4294967295EEENS1_25partition_config_selectorILNS1_17partition_subalgoE3EjNS0_10empty_typeEbEEZZNS1_14partition_implILS8_3ELb0ES6_jNS0_17counting_iteratorIjlEEPS9_SE_NS0_5tupleIJPjSE_EEENSF_IJSE_SE_EEES9_SG_JZNS1_25segmented_radix_sort_implINS0_14default_configELb1EPKlPlSM_SN_N2at6native12_GLOBAL__N_18offset_tEEE10hipError_tPvRmT1_PNSt15iterator_traitsISV_E10value_typeET2_T3_PNSW_IS11_E10value_typeET4_jRbjT5_S17_jjP12ihipStream_tbEUljE_EEESS_ST_SU_S11_S15_S17_T6_T7_T9_mT8_S19_bDpT10_ENKUlT_T0_E_clISt17integral_constantIbLb0EES1L_IbLb1EEEEDaS1H_S1I_EUlS1H_E_NS1_11comp_targetILNS1_3genE9ELNS1_11target_archE1100ELNS1_3gpuE3ELNS1_3repE0EEENS1_30default_config_static_selectorELNS0_4arch9wavefront6targetE0EEEvSV_: ; @_ZN7rocprim17ROCPRIM_400000_NS6detail17trampoline_kernelINS0_13select_configILj256ELj13ELNS0_17block_load_methodE3ELS4_3ELS4_3ELNS0_20block_scan_algorithmE0ELj4294967295EEENS1_25partition_config_selectorILNS1_17partition_subalgoE3EjNS0_10empty_typeEbEEZZNS1_14partition_implILS8_3ELb0ES6_jNS0_17counting_iteratorIjlEEPS9_SE_NS0_5tupleIJPjSE_EEENSF_IJSE_SE_EEES9_SG_JZNS1_25segmented_radix_sort_implINS0_14default_configELb1EPKlPlSM_SN_N2at6native12_GLOBAL__N_18offset_tEEE10hipError_tPvRmT1_PNSt15iterator_traitsISV_E10value_typeET2_T3_PNSW_IS11_E10value_typeET4_jRbjT5_S17_jjP12ihipStream_tbEUljE_EEESS_ST_SU_S11_S15_S17_T6_T7_T9_mT8_S19_bDpT10_ENKUlT_T0_E_clISt17integral_constantIbLb0EES1L_IbLb1EEEEDaS1H_S1I_EUlS1H_E_NS1_11comp_targetILNS1_3genE9ELNS1_11target_archE1100ELNS1_3gpuE3ELNS1_3repE0EEENS1_30default_config_static_selectorELNS0_4arch9wavefront6targetE0EEEvSV_
; %bb.0:
	.section	.rodata,"a",@progbits
	.p2align	6, 0x0
	.amdhsa_kernel _ZN7rocprim17ROCPRIM_400000_NS6detail17trampoline_kernelINS0_13select_configILj256ELj13ELNS0_17block_load_methodE3ELS4_3ELS4_3ELNS0_20block_scan_algorithmE0ELj4294967295EEENS1_25partition_config_selectorILNS1_17partition_subalgoE3EjNS0_10empty_typeEbEEZZNS1_14partition_implILS8_3ELb0ES6_jNS0_17counting_iteratorIjlEEPS9_SE_NS0_5tupleIJPjSE_EEENSF_IJSE_SE_EEES9_SG_JZNS1_25segmented_radix_sort_implINS0_14default_configELb1EPKlPlSM_SN_N2at6native12_GLOBAL__N_18offset_tEEE10hipError_tPvRmT1_PNSt15iterator_traitsISV_E10value_typeET2_T3_PNSW_IS11_E10value_typeET4_jRbjT5_S17_jjP12ihipStream_tbEUljE_EEESS_ST_SU_S11_S15_S17_T6_T7_T9_mT8_S19_bDpT10_ENKUlT_T0_E_clISt17integral_constantIbLb0EES1L_IbLb1EEEEDaS1H_S1I_EUlS1H_E_NS1_11comp_targetILNS1_3genE9ELNS1_11target_archE1100ELNS1_3gpuE3ELNS1_3repE0EEENS1_30default_config_static_selectorELNS0_4arch9wavefront6targetE0EEEvSV_
		.amdhsa_group_segment_fixed_size 0
		.amdhsa_private_segment_fixed_size 0
		.amdhsa_kernarg_size 152
		.amdhsa_user_sgpr_count 2
		.amdhsa_user_sgpr_dispatch_ptr 0
		.amdhsa_user_sgpr_queue_ptr 0
		.amdhsa_user_sgpr_kernarg_segment_ptr 1
		.amdhsa_user_sgpr_dispatch_id 0
		.amdhsa_user_sgpr_private_segment_size 0
		.amdhsa_wavefront_size32 1
		.amdhsa_uses_dynamic_stack 0
		.amdhsa_enable_private_segment 0
		.amdhsa_system_sgpr_workgroup_id_x 1
		.amdhsa_system_sgpr_workgroup_id_y 0
		.amdhsa_system_sgpr_workgroup_id_z 0
		.amdhsa_system_sgpr_workgroup_info 0
		.amdhsa_system_vgpr_workitem_id 0
		.amdhsa_next_free_vgpr 1
		.amdhsa_next_free_sgpr 1
		.amdhsa_reserve_vcc 0
		.amdhsa_float_round_mode_32 0
		.amdhsa_float_round_mode_16_64 0
		.amdhsa_float_denorm_mode_32 3
		.amdhsa_float_denorm_mode_16_64 3
		.amdhsa_fp16_overflow 0
		.amdhsa_workgroup_processor_mode 1
		.amdhsa_memory_ordered 1
		.amdhsa_forward_progress 1
		.amdhsa_inst_pref_size 0
		.amdhsa_round_robin_scheduling 0
		.amdhsa_exception_fp_ieee_invalid_op 0
		.amdhsa_exception_fp_denorm_src 0
		.amdhsa_exception_fp_ieee_div_zero 0
		.amdhsa_exception_fp_ieee_overflow 0
		.amdhsa_exception_fp_ieee_underflow 0
		.amdhsa_exception_fp_ieee_inexact 0
		.amdhsa_exception_int_div_zero 0
	.end_amdhsa_kernel
	.section	.text._ZN7rocprim17ROCPRIM_400000_NS6detail17trampoline_kernelINS0_13select_configILj256ELj13ELNS0_17block_load_methodE3ELS4_3ELS4_3ELNS0_20block_scan_algorithmE0ELj4294967295EEENS1_25partition_config_selectorILNS1_17partition_subalgoE3EjNS0_10empty_typeEbEEZZNS1_14partition_implILS8_3ELb0ES6_jNS0_17counting_iteratorIjlEEPS9_SE_NS0_5tupleIJPjSE_EEENSF_IJSE_SE_EEES9_SG_JZNS1_25segmented_radix_sort_implINS0_14default_configELb1EPKlPlSM_SN_N2at6native12_GLOBAL__N_18offset_tEEE10hipError_tPvRmT1_PNSt15iterator_traitsISV_E10value_typeET2_T3_PNSW_IS11_E10value_typeET4_jRbjT5_S17_jjP12ihipStream_tbEUljE_EEESS_ST_SU_S11_S15_S17_T6_T7_T9_mT8_S19_bDpT10_ENKUlT_T0_E_clISt17integral_constantIbLb0EES1L_IbLb1EEEEDaS1H_S1I_EUlS1H_E_NS1_11comp_targetILNS1_3genE9ELNS1_11target_archE1100ELNS1_3gpuE3ELNS1_3repE0EEENS1_30default_config_static_selectorELNS0_4arch9wavefront6targetE0EEEvSV_,"axG",@progbits,_ZN7rocprim17ROCPRIM_400000_NS6detail17trampoline_kernelINS0_13select_configILj256ELj13ELNS0_17block_load_methodE3ELS4_3ELS4_3ELNS0_20block_scan_algorithmE0ELj4294967295EEENS1_25partition_config_selectorILNS1_17partition_subalgoE3EjNS0_10empty_typeEbEEZZNS1_14partition_implILS8_3ELb0ES6_jNS0_17counting_iteratorIjlEEPS9_SE_NS0_5tupleIJPjSE_EEENSF_IJSE_SE_EEES9_SG_JZNS1_25segmented_radix_sort_implINS0_14default_configELb1EPKlPlSM_SN_N2at6native12_GLOBAL__N_18offset_tEEE10hipError_tPvRmT1_PNSt15iterator_traitsISV_E10value_typeET2_T3_PNSW_IS11_E10value_typeET4_jRbjT5_S17_jjP12ihipStream_tbEUljE_EEESS_ST_SU_S11_S15_S17_T6_T7_T9_mT8_S19_bDpT10_ENKUlT_T0_E_clISt17integral_constantIbLb0EES1L_IbLb1EEEEDaS1H_S1I_EUlS1H_E_NS1_11comp_targetILNS1_3genE9ELNS1_11target_archE1100ELNS1_3gpuE3ELNS1_3repE0EEENS1_30default_config_static_selectorELNS0_4arch9wavefront6targetE0EEEvSV_,comdat
.Lfunc_end702:
	.size	_ZN7rocprim17ROCPRIM_400000_NS6detail17trampoline_kernelINS0_13select_configILj256ELj13ELNS0_17block_load_methodE3ELS4_3ELS4_3ELNS0_20block_scan_algorithmE0ELj4294967295EEENS1_25partition_config_selectorILNS1_17partition_subalgoE3EjNS0_10empty_typeEbEEZZNS1_14partition_implILS8_3ELb0ES6_jNS0_17counting_iteratorIjlEEPS9_SE_NS0_5tupleIJPjSE_EEENSF_IJSE_SE_EEES9_SG_JZNS1_25segmented_radix_sort_implINS0_14default_configELb1EPKlPlSM_SN_N2at6native12_GLOBAL__N_18offset_tEEE10hipError_tPvRmT1_PNSt15iterator_traitsISV_E10value_typeET2_T3_PNSW_IS11_E10value_typeET4_jRbjT5_S17_jjP12ihipStream_tbEUljE_EEESS_ST_SU_S11_S15_S17_T6_T7_T9_mT8_S19_bDpT10_ENKUlT_T0_E_clISt17integral_constantIbLb0EES1L_IbLb1EEEEDaS1H_S1I_EUlS1H_E_NS1_11comp_targetILNS1_3genE9ELNS1_11target_archE1100ELNS1_3gpuE3ELNS1_3repE0EEENS1_30default_config_static_selectorELNS0_4arch9wavefront6targetE0EEEvSV_, .Lfunc_end702-_ZN7rocprim17ROCPRIM_400000_NS6detail17trampoline_kernelINS0_13select_configILj256ELj13ELNS0_17block_load_methodE3ELS4_3ELS4_3ELNS0_20block_scan_algorithmE0ELj4294967295EEENS1_25partition_config_selectorILNS1_17partition_subalgoE3EjNS0_10empty_typeEbEEZZNS1_14partition_implILS8_3ELb0ES6_jNS0_17counting_iteratorIjlEEPS9_SE_NS0_5tupleIJPjSE_EEENSF_IJSE_SE_EEES9_SG_JZNS1_25segmented_radix_sort_implINS0_14default_configELb1EPKlPlSM_SN_N2at6native12_GLOBAL__N_18offset_tEEE10hipError_tPvRmT1_PNSt15iterator_traitsISV_E10value_typeET2_T3_PNSW_IS11_E10value_typeET4_jRbjT5_S17_jjP12ihipStream_tbEUljE_EEESS_ST_SU_S11_S15_S17_T6_T7_T9_mT8_S19_bDpT10_ENKUlT_T0_E_clISt17integral_constantIbLb0EES1L_IbLb1EEEEDaS1H_S1I_EUlS1H_E_NS1_11comp_targetILNS1_3genE9ELNS1_11target_archE1100ELNS1_3gpuE3ELNS1_3repE0EEENS1_30default_config_static_selectorELNS0_4arch9wavefront6targetE0EEEvSV_
                                        ; -- End function
	.set _ZN7rocprim17ROCPRIM_400000_NS6detail17trampoline_kernelINS0_13select_configILj256ELj13ELNS0_17block_load_methodE3ELS4_3ELS4_3ELNS0_20block_scan_algorithmE0ELj4294967295EEENS1_25partition_config_selectorILNS1_17partition_subalgoE3EjNS0_10empty_typeEbEEZZNS1_14partition_implILS8_3ELb0ES6_jNS0_17counting_iteratorIjlEEPS9_SE_NS0_5tupleIJPjSE_EEENSF_IJSE_SE_EEES9_SG_JZNS1_25segmented_radix_sort_implINS0_14default_configELb1EPKlPlSM_SN_N2at6native12_GLOBAL__N_18offset_tEEE10hipError_tPvRmT1_PNSt15iterator_traitsISV_E10value_typeET2_T3_PNSW_IS11_E10value_typeET4_jRbjT5_S17_jjP12ihipStream_tbEUljE_EEESS_ST_SU_S11_S15_S17_T6_T7_T9_mT8_S19_bDpT10_ENKUlT_T0_E_clISt17integral_constantIbLb0EES1L_IbLb1EEEEDaS1H_S1I_EUlS1H_E_NS1_11comp_targetILNS1_3genE9ELNS1_11target_archE1100ELNS1_3gpuE3ELNS1_3repE0EEENS1_30default_config_static_selectorELNS0_4arch9wavefront6targetE0EEEvSV_.num_vgpr, 0
	.set _ZN7rocprim17ROCPRIM_400000_NS6detail17trampoline_kernelINS0_13select_configILj256ELj13ELNS0_17block_load_methodE3ELS4_3ELS4_3ELNS0_20block_scan_algorithmE0ELj4294967295EEENS1_25partition_config_selectorILNS1_17partition_subalgoE3EjNS0_10empty_typeEbEEZZNS1_14partition_implILS8_3ELb0ES6_jNS0_17counting_iteratorIjlEEPS9_SE_NS0_5tupleIJPjSE_EEENSF_IJSE_SE_EEES9_SG_JZNS1_25segmented_radix_sort_implINS0_14default_configELb1EPKlPlSM_SN_N2at6native12_GLOBAL__N_18offset_tEEE10hipError_tPvRmT1_PNSt15iterator_traitsISV_E10value_typeET2_T3_PNSW_IS11_E10value_typeET4_jRbjT5_S17_jjP12ihipStream_tbEUljE_EEESS_ST_SU_S11_S15_S17_T6_T7_T9_mT8_S19_bDpT10_ENKUlT_T0_E_clISt17integral_constantIbLb0EES1L_IbLb1EEEEDaS1H_S1I_EUlS1H_E_NS1_11comp_targetILNS1_3genE9ELNS1_11target_archE1100ELNS1_3gpuE3ELNS1_3repE0EEENS1_30default_config_static_selectorELNS0_4arch9wavefront6targetE0EEEvSV_.num_agpr, 0
	.set _ZN7rocprim17ROCPRIM_400000_NS6detail17trampoline_kernelINS0_13select_configILj256ELj13ELNS0_17block_load_methodE3ELS4_3ELS4_3ELNS0_20block_scan_algorithmE0ELj4294967295EEENS1_25partition_config_selectorILNS1_17partition_subalgoE3EjNS0_10empty_typeEbEEZZNS1_14partition_implILS8_3ELb0ES6_jNS0_17counting_iteratorIjlEEPS9_SE_NS0_5tupleIJPjSE_EEENSF_IJSE_SE_EEES9_SG_JZNS1_25segmented_radix_sort_implINS0_14default_configELb1EPKlPlSM_SN_N2at6native12_GLOBAL__N_18offset_tEEE10hipError_tPvRmT1_PNSt15iterator_traitsISV_E10value_typeET2_T3_PNSW_IS11_E10value_typeET4_jRbjT5_S17_jjP12ihipStream_tbEUljE_EEESS_ST_SU_S11_S15_S17_T6_T7_T9_mT8_S19_bDpT10_ENKUlT_T0_E_clISt17integral_constantIbLb0EES1L_IbLb1EEEEDaS1H_S1I_EUlS1H_E_NS1_11comp_targetILNS1_3genE9ELNS1_11target_archE1100ELNS1_3gpuE3ELNS1_3repE0EEENS1_30default_config_static_selectorELNS0_4arch9wavefront6targetE0EEEvSV_.numbered_sgpr, 0
	.set _ZN7rocprim17ROCPRIM_400000_NS6detail17trampoline_kernelINS0_13select_configILj256ELj13ELNS0_17block_load_methodE3ELS4_3ELS4_3ELNS0_20block_scan_algorithmE0ELj4294967295EEENS1_25partition_config_selectorILNS1_17partition_subalgoE3EjNS0_10empty_typeEbEEZZNS1_14partition_implILS8_3ELb0ES6_jNS0_17counting_iteratorIjlEEPS9_SE_NS0_5tupleIJPjSE_EEENSF_IJSE_SE_EEES9_SG_JZNS1_25segmented_radix_sort_implINS0_14default_configELb1EPKlPlSM_SN_N2at6native12_GLOBAL__N_18offset_tEEE10hipError_tPvRmT1_PNSt15iterator_traitsISV_E10value_typeET2_T3_PNSW_IS11_E10value_typeET4_jRbjT5_S17_jjP12ihipStream_tbEUljE_EEESS_ST_SU_S11_S15_S17_T6_T7_T9_mT8_S19_bDpT10_ENKUlT_T0_E_clISt17integral_constantIbLb0EES1L_IbLb1EEEEDaS1H_S1I_EUlS1H_E_NS1_11comp_targetILNS1_3genE9ELNS1_11target_archE1100ELNS1_3gpuE3ELNS1_3repE0EEENS1_30default_config_static_selectorELNS0_4arch9wavefront6targetE0EEEvSV_.num_named_barrier, 0
	.set _ZN7rocprim17ROCPRIM_400000_NS6detail17trampoline_kernelINS0_13select_configILj256ELj13ELNS0_17block_load_methodE3ELS4_3ELS4_3ELNS0_20block_scan_algorithmE0ELj4294967295EEENS1_25partition_config_selectorILNS1_17partition_subalgoE3EjNS0_10empty_typeEbEEZZNS1_14partition_implILS8_3ELb0ES6_jNS0_17counting_iteratorIjlEEPS9_SE_NS0_5tupleIJPjSE_EEENSF_IJSE_SE_EEES9_SG_JZNS1_25segmented_radix_sort_implINS0_14default_configELb1EPKlPlSM_SN_N2at6native12_GLOBAL__N_18offset_tEEE10hipError_tPvRmT1_PNSt15iterator_traitsISV_E10value_typeET2_T3_PNSW_IS11_E10value_typeET4_jRbjT5_S17_jjP12ihipStream_tbEUljE_EEESS_ST_SU_S11_S15_S17_T6_T7_T9_mT8_S19_bDpT10_ENKUlT_T0_E_clISt17integral_constantIbLb0EES1L_IbLb1EEEEDaS1H_S1I_EUlS1H_E_NS1_11comp_targetILNS1_3genE9ELNS1_11target_archE1100ELNS1_3gpuE3ELNS1_3repE0EEENS1_30default_config_static_selectorELNS0_4arch9wavefront6targetE0EEEvSV_.private_seg_size, 0
	.set _ZN7rocprim17ROCPRIM_400000_NS6detail17trampoline_kernelINS0_13select_configILj256ELj13ELNS0_17block_load_methodE3ELS4_3ELS4_3ELNS0_20block_scan_algorithmE0ELj4294967295EEENS1_25partition_config_selectorILNS1_17partition_subalgoE3EjNS0_10empty_typeEbEEZZNS1_14partition_implILS8_3ELb0ES6_jNS0_17counting_iteratorIjlEEPS9_SE_NS0_5tupleIJPjSE_EEENSF_IJSE_SE_EEES9_SG_JZNS1_25segmented_radix_sort_implINS0_14default_configELb1EPKlPlSM_SN_N2at6native12_GLOBAL__N_18offset_tEEE10hipError_tPvRmT1_PNSt15iterator_traitsISV_E10value_typeET2_T3_PNSW_IS11_E10value_typeET4_jRbjT5_S17_jjP12ihipStream_tbEUljE_EEESS_ST_SU_S11_S15_S17_T6_T7_T9_mT8_S19_bDpT10_ENKUlT_T0_E_clISt17integral_constantIbLb0EES1L_IbLb1EEEEDaS1H_S1I_EUlS1H_E_NS1_11comp_targetILNS1_3genE9ELNS1_11target_archE1100ELNS1_3gpuE3ELNS1_3repE0EEENS1_30default_config_static_selectorELNS0_4arch9wavefront6targetE0EEEvSV_.uses_vcc, 0
	.set _ZN7rocprim17ROCPRIM_400000_NS6detail17trampoline_kernelINS0_13select_configILj256ELj13ELNS0_17block_load_methodE3ELS4_3ELS4_3ELNS0_20block_scan_algorithmE0ELj4294967295EEENS1_25partition_config_selectorILNS1_17partition_subalgoE3EjNS0_10empty_typeEbEEZZNS1_14partition_implILS8_3ELb0ES6_jNS0_17counting_iteratorIjlEEPS9_SE_NS0_5tupleIJPjSE_EEENSF_IJSE_SE_EEES9_SG_JZNS1_25segmented_radix_sort_implINS0_14default_configELb1EPKlPlSM_SN_N2at6native12_GLOBAL__N_18offset_tEEE10hipError_tPvRmT1_PNSt15iterator_traitsISV_E10value_typeET2_T3_PNSW_IS11_E10value_typeET4_jRbjT5_S17_jjP12ihipStream_tbEUljE_EEESS_ST_SU_S11_S15_S17_T6_T7_T9_mT8_S19_bDpT10_ENKUlT_T0_E_clISt17integral_constantIbLb0EES1L_IbLb1EEEEDaS1H_S1I_EUlS1H_E_NS1_11comp_targetILNS1_3genE9ELNS1_11target_archE1100ELNS1_3gpuE3ELNS1_3repE0EEENS1_30default_config_static_selectorELNS0_4arch9wavefront6targetE0EEEvSV_.uses_flat_scratch, 0
	.set _ZN7rocprim17ROCPRIM_400000_NS6detail17trampoline_kernelINS0_13select_configILj256ELj13ELNS0_17block_load_methodE3ELS4_3ELS4_3ELNS0_20block_scan_algorithmE0ELj4294967295EEENS1_25partition_config_selectorILNS1_17partition_subalgoE3EjNS0_10empty_typeEbEEZZNS1_14partition_implILS8_3ELb0ES6_jNS0_17counting_iteratorIjlEEPS9_SE_NS0_5tupleIJPjSE_EEENSF_IJSE_SE_EEES9_SG_JZNS1_25segmented_radix_sort_implINS0_14default_configELb1EPKlPlSM_SN_N2at6native12_GLOBAL__N_18offset_tEEE10hipError_tPvRmT1_PNSt15iterator_traitsISV_E10value_typeET2_T3_PNSW_IS11_E10value_typeET4_jRbjT5_S17_jjP12ihipStream_tbEUljE_EEESS_ST_SU_S11_S15_S17_T6_T7_T9_mT8_S19_bDpT10_ENKUlT_T0_E_clISt17integral_constantIbLb0EES1L_IbLb1EEEEDaS1H_S1I_EUlS1H_E_NS1_11comp_targetILNS1_3genE9ELNS1_11target_archE1100ELNS1_3gpuE3ELNS1_3repE0EEENS1_30default_config_static_selectorELNS0_4arch9wavefront6targetE0EEEvSV_.has_dyn_sized_stack, 0
	.set _ZN7rocprim17ROCPRIM_400000_NS6detail17trampoline_kernelINS0_13select_configILj256ELj13ELNS0_17block_load_methodE3ELS4_3ELS4_3ELNS0_20block_scan_algorithmE0ELj4294967295EEENS1_25partition_config_selectorILNS1_17partition_subalgoE3EjNS0_10empty_typeEbEEZZNS1_14partition_implILS8_3ELb0ES6_jNS0_17counting_iteratorIjlEEPS9_SE_NS0_5tupleIJPjSE_EEENSF_IJSE_SE_EEES9_SG_JZNS1_25segmented_radix_sort_implINS0_14default_configELb1EPKlPlSM_SN_N2at6native12_GLOBAL__N_18offset_tEEE10hipError_tPvRmT1_PNSt15iterator_traitsISV_E10value_typeET2_T3_PNSW_IS11_E10value_typeET4_jRbjT5_S17_jjP12ihipStream_tbEUljE_EEESS_ST_SU_S11_S15_S17_T6_T7_T9_mT8_S19_bDpT10_ENKUlT_T0_E_clISt17integral_constantIbLb0EES1L_IbLb1EEEEDaS1H_S1I_EUlS1H_E_NS1_11comp_targetILNS1_3genE9ELNS1_11target_archE1100ELNS1_3gpuE3ELNS1_3repE0EEENS1_30default_config_static_selectorELNS0_4arch9wavefront6targetE0EEEvSV_.has_recursion, 0
	.set _ZN7rocprim17ROCPRIM_400000_NS6detail17trampoline_kernelINS0_13select_configILj256ELj13ELNS0_17block_load_methodE3ELS4_3ELS4_3ELNS0_20block_scan_algorithmE0ELj4294967295EEENS1_25partition_config_selectorILNS1_17partition_subalgoE3EjNS0_10empty_typeEbEEZZNS1_14partition_implILS8_3ELb0ES6_jNS0_17counting_iteratorIjlEEPS9_SE_NS0_5tupleIJPjSE_EEENSF_IJSE_SE_EEES9_SG_JZNS1_25segmented_radix_sort_implINS0_14default_configELb1EPKlPlSM_SN_N2at6native12_GLOBAL__N_18offset_tEEE10hipError_tPvRmT1_PNSt15iterator_traitsISV_E10value_typeET2_T3_PNSW_IS11_E10value_typeET4_jRbjT5_S17_jjP12ihipStream_tbEUljE_EEESS_ST_SU_S11_S15_S17_T6_T7_T9_mT8_S19_bDpT10_ENKUlT_T0_E_clISt17integral_constantIbLb0EES1L_IbLb1EEEEDaS1H_S1I_EUlS1H_E_NS1_11comp_targetILNS1_3genE9ELNS1_11target_archE1100ELNS1_3gpuE3ELNS1_3repE0EEENS1_30default_config_static_selectorELNS0_4arch9wavefront6targetE0EEEvSV_.has_indirect_call, 0
	.section	.AMDGPU.csdata,"",@progbits
; Kernel info:
; codeLenInByte = 0
; TotalNumSgprs: 0
; NumVgprs: 0
; ScratchSize: 0
; MemoryBound: 0
; FloatMode: 240
; IeeeMode: 1
; LDSByteSize: 0 bytes/workgroup (compile time only)
; SGPRBlocks: 0
; VGPRBlocks: 0
; NumSGPRsForWavesPerEU: 1
; NumVGPRsForWavesPerEU: 1
; Occupancy: 16
; WaveLimiterHint : 0
; COMPUTE_PGM_RSRC2:SCRATCH_EN: 0
; COMPUTE_PGM_RSRC2:USER_SGPR: 2
; COMPUTE_PGM_RSRC2:TRAP_HANDLER: 0
; COMPUTE_PGM_RSRC2:TGID_X_EN: 1
; COMPUTE_PGM_RSRC2:TGID_Y_EN: 0
; COMPUTE_PGM_RSRC2:TGID_Z_EN: 0
; COMPUTE_PGM_RSRC2:TIDIG_COMP_CNT: 0
	.section	.text._ZN7rocprim17ROCPRIM_400000_NS6detail17trampoline_kernelINS0_13select_configILj256ELj13ELNS0_17block_load_methodE3ELS4_3ELS4_3ELNS0_20block_scan_algorithmE0ELj4294967295EEENS1_25partition_config_selectorILNS1_17partition_subalgoE3EjNS0_10empty_typeEbEEZZNS1_14partition_implILS8_3ELb0ES6_jNS0_17counting_iteratorIjlEEPS9_SE_NS0_5tupleIJPjSE_EEENSF_IJSE_SE_EEES9_SG_JZNS1_25segmented_radix_sort_implINS0_14default_configELb1EPKlPlSM_SN_N2at6native12_GLOBAL__N_18offset_tEEE10hipError_tPvRmT1_PNSt15iterator_traitsISV_E10value_typeET2_T3_PNSW_IS11_E10value_typeET4_jRbjT5_S17_jjP12ihipStream_tbEUljE_EEESS_ST_SU_S11_S15_S17_T6_T7_T9_mT8_S19_bDpT10_ENKUlT_T0_E_clISt17integral_constantIbLb0EES1L_IbLb1EEEEDaS1H_S1I_EUlS1H_E_NS1_11comp_targetILNS1_3genE8ELNS1_11target_archE1030ELNS1_3gpuE2ELNS1_3repE0EEENS1_30default_config_static_selectorELNS0_4arch9wavefront6targetE0EEEvSV_,"axG",@progbits,_ZN7rocprim17ROCPRIM_400000_NS6detail17trampoline_kernelINS0_13select_configILj256ELj13ELNS0_17block_load_methodE3ELS4_3ELS4_3ELNS0_20block_scan_algorithmE0ELj4294967295EEENS1_25partition_config_selectorILNS1_17partition_subalgoE3EjNS0_10empty_typeEbEEZZNS1_14partition_implILS8_3ELb0ES6_jNS0_17counting_iteratorIjlEEPS9_SE_NS0_5tupleIJPjSE_EEENSF_IJSE_SE_EEES9_SG_JZNS1_25segmented_radix_sort_implINS0_14default_configELb1EPKlPlSM_SN_N2at6native12_GLOBAL__N_18offset_tEEE10hipError_tPvRmT1_PNSt15iterator_traitsISV_E10value_typeET2_T3_PNSW_IS11_E10value_typeET4_jRbjT5_S17_jjP12ihipStream_tbEUljE_EEESS_ST_SU_S11_S15_S17_T6_T7_T9_mT8_S19_bDpT10_ENKUlT_T0_E_clISt17integral_constantIbLb0EES1L_IbLb1EEEEDaS1H_S1I_EUlS1H_E_NS1_11comp_targetILNS1_3genE8ELNS1_11target_archE1030ELNS1_3gpuE2ELNS1_3repE0EEENS1_30default_config_static_selectorELNS0_4arch9wavefront6targetE0EEEvSV_,comdat
	.globl	_ZN7rocprim17ROCPRIM_400000_NS6detail17trampoline_kernelINS0_13select_configILj256ELj13ELNS0_17block_load_methodE3ELS4_3ELS4_3ELNS0_20block_scan_algorithmE0ELj4294967295EEENS1_25partition_config_selectorILNS1_17partition_subalgoE3EjNS0_10empty_typeEbEEZZNS1_14partition_implILS8_3ELb0ES6_jNS0_17counting_iteratorIjlEEPS9_SE_NS0_5tupleIJPjSE_EEENSF_IJSE_SE_EEES9_SG_JZNS1_25segmented_radix_sort_implINS0_14default_configELb1EPKlPlSM_SN_N2at6native12_GLOBAL__N_18offset_tEEE10hipError_tPvRmT1_PNSt15iterator_traitsISV_E10value_typeET2_T3_PNSW_IS11_E10value_typeET4_jRbjT5_S17_jjP12ihipStream_tbEUljE_EEESS_ST_SU_S11_S15_S17_T6_T7_T9_mT8_S19_bDpT10_ENKUlT_T0_E_clISt17integral_constantIbLb0EES1L_IbLb1EEEEDaS1H_S1I_EUlS1H_E_NS1_11comp_targetILNS1_3genE8ELNS1_11target_archE1030ELNS1_3gpuE2ELNS1_3repE0EEENS1_30default_config_static_selectorELNS0_4arch9wavefront6targetE0EEEvSV_ ; -- Begin function _ZN7rocprim17ROCPRIM_400000_NS6detail17trampoline_kernelINS0_13select_configILj256ELj13ELNS0_17block_load_methodE3ELS4_3ELS4_3ELNS0_20block_scan_algorithmE0ELj4294967295EEENS1_25partition_config_selectorILNS1_17partition_subalgoE3EjNS0_10empty_typeEbEEZZNS1_14partition_implILS8_3ELb0ES6_jNS0_17counting_iteratorIjlEEPS9_SE_NS0_5tupleIJPjSE_EEENSF_IJSE_SE_EEES9_SG_JZNS1_25segmented_radix_sort_implINS0_14default_configELb1EPKlPlSM_SN_N2at6native12_GLOBAL__N_18offset_tEEE10hipError_tPvRmT1_PNSt15iterator_traitsISV_E10value_typeET2_T3_PNSW_IS11_E10value_typeET4_jRbjT5_S17_jjP12ihipStream_tbEUljE_EEESS_ST_SU_S11_S15_S17_T6_T7_T9_mT8_S19_bDpT10_ENKUlT_T0_E_clISt17integral_constantIbLb0EES1L_IbLb1EEEEDaS1H_S1I_EUlS1H_E_NS1_11comp_targetILNS1_3genE8ELNS1_11target_archE1030ELNS1_3gpuE2ELNS1_3repE0EEENS1_30default_config_static_selectorELNS0_4arch9wavefront6targetE0EEEvSV_
	.p2align	8
	.type	_ZN7rocprim17ROCPRIM_400000_NS6detail17trampoline_kernelINS0_13select_configILj256ELj13ELNS0_17block_load_methodE3ELS4_3ELS4_3ELNS0_20block_scan_algorithmE0ELj4294967295EEENS1_25partition_config_selectorILNS1_17partition_subalgoE3EjNS0_10empty_typeEbEEZZNS1_14partition_implILS8_3ELb0ES6_jNS0_17counting_iteratorIjlEEPS9_SE_NS0_5tupleIJPjSE_EEENSF_IJSE_SE_EEES9_SG_JZNS1_25segmented_radix_sort_implINS0_14default_configELb1EPKlPlSM_SN_N2at6native12_GLOBAL__N_18offset_tEEE10hipError_tPvRmT1_PNSt15iterator_traitsISV_E10value_typeET2_T3_PNSW_IS11_E10value_typeET4_jRbjT5_S17_jjP12ihipStream_tbEUljE_EEESS_ST_SU_S11_S15_S17_T6_T7_T9_mT8_S19_bDpT10_ENKUlT_T0_E_clISt17integral_constantIbLb0EES1L_IbLb1EEEEDaS1H_S1I_EUlS1H_E_NS1_11comp_targetILNS1_3genE8ELNS1_11target_archE1030ELNS1_3gpuE2ELNS1_3repE0EEENS1_30default_config_static_selectorELNS0_4arch9wavefront6targetE0EEEvSV_,@function
_ZN7rocprim17ROCPRIM_400000_NS6detail17trampoline_kernelINS0_13select_configILj256ELj13ELNS0_17block_load_methodE3ELS4_3ELS4_3ELNS0_20block_scan_algorithmE0ELj4294967295EEENS1_25partition_config_selectorILNS1_17partition_subalgoE3EjNS0_10empty_typeEbEEZZNS1_14partition_implILS8_3ELb0ES6_jNS0_17counting_iteratorIjlEEPS9_SE_NS0_5tupleIJPjSE_EEENSF_IJSE_SE_EEES9_SG_JZNS1_25segmented_radix_sort_implINS0_14default_configELb1EPKlPlSM_SN_N2at6native12_GLOBAL__N_18offset_tEEE10hipError_tPvRmT1_PNSt15iterator_traitsISV_E10value_typeET2_T3_PNSW_IS11_E10value_typeET4_jRbjT5_S17_jjP12ihipStream_tbEUljE_EEESS_ST_SU_S11_S15_S17_T6_T7_T9_mT8_S19_bDpT10_ENKUlT_T0_E_clISt17integral_constantIbLb0EES1L_IbLb1EEEEDaS1H_S1I_EUlS1H_E_NS1_11comp_targetILNS1_3genE8ELNS1_11target_archE1030ELNS1_3gpuE2ELNS1_3repE0EEENS1_30default_config_static_selectorELNS0_4arch9wavefront6targetE0EEEvSV_: ; @_ZN7rocprim17ROCPRIM_400000_NS6detail17trampoline_kernelINS0_13select_configILj256ELj13ELNS0_17block_load_methodE3ELS4_3ELS4_3ELNS0_20block_scan_algorithmE0ELj4294967295EEENS1_25partition_config_selectorILNS1_17partition_subalgoE3EjNS0_10empty_typeEbEEZZNS1_14partition_implILS8_3ELb0ES6_jNS0_17counting_iteratorIjlEEPS9_SE_NS0_5tupleIJPjSE_EEENSF_IJSE_SE_EEES9_SG_JZNS1_25segmented_radix_sort_implINS0_14default_configELb1EPKlPlSM_SN_N2at6native12_GLOBAL__N_18offset_tEEE10hipError_tPvRmT1_PNSt15iterator_traitsISV_E10value_typeET2_T3_PNSW_IS11_E10value_typeET4_jRbjT5_S17_jjP12ihipStream_tbEUljE_EEESS_ST_SU_S11_S15_S17_T6_T7_T9_mT8_S19_bDpT10_ENKUlT_T0_E_clISt17integral_constantIbLb0EES1L_IbLb1EEEEDaS1H_S1I_EUlS1H_E_NS1_11comp_targetILNS1_3genE8ELNS1_11target_archE1030ELNS1_3gpuE2ELNS1_3repE0EEENS1_30default_config_static_selectorELNS0_4arch9wavefront6targetE0EEEvSV_
; %bb.0:
	.section	.rodata,"a",@progbits
	.p2align	6, 0x0
	.amdhsa_kernel _ZN7rocprim17ROCPRIM_400000_NS6detail17trampoline_kernelINS0_13select_configILj256ELj13ELNS0_17block_load_methodE3ELS4_3ELS4_3ELNS0_20block_scan_algorithmE0ELj4294967295EEENS1_25partition_config_selectorILNS1_17partition_subalgoE3EjNS0_10empty_typeEbEEZZNS1_14partition_implILS8_3ELb0ES6_jNS0_17counting_iteratorIjlEEPS9_SE_NS0_5tupleIJPjSE_EEENSF_IJSE_SE_EEES9_SG_JZNS1_25segmented_radix_sort_implINS0_14default_configELb1EPKlPlSM_SN_N2at6native12_GLOBAL__N_18offset_tEEE10hipError_tPvRmT1_PNSt15iterator_traitsISV_E10value_typeET2_T3_PNSW_IS11_E10value_typeET4_jRbjT5_S17_jjP12ihipStream_tbEUljE_EEESS_ST_SU_S11_S15_S17_T6_T7_T9_mT8_S19_bDpT10_ENKUlT_T0_E_clISt17integral_constantIbLb0EES1L_IbLb1EEEEDaS1H_S1I_EUlS1H_E_NS1_11comp_targetILNS1_3genE8ELNS1_11target_archE1030ELNS1_3gpuE2ELNS1_3repE0EEENS1_30default_config_static_selectorELNS0_4arch9wavefront6targetE0EEEvSV_
		.amdhsa_group_segment_fixed_size 0
		.amdhsa_private_segment_fixed_size 0
		.amdhsa_kernarg_size 152
		.amdhsa_user_sgpr_count 2
		.amdhsa_user_sgpr_dispatch_ptr 0
		.amdhsa_user_sgpr_queue_ptr 0
		.amdhsa_user_sgpr_kernarg_segment_ptr 1
		.amdhsa_user_sgpr_dispatch_id 0
		.amdhsa_user_sgpr_private_segment_size 0
		.amdhsa_wavefront_size32 1
		.amdhsa_uses_dynamic_stack 0
		.amdhsa_enable_private_segment 0
		.amdhsa_system_sgpr_workgroup_id_x 1
		.amdhsa_system_sgpr_workgroup_id_y 0
		.amdhsa_system_sgpr_workgroup_id_z 0
		.amdhsa_system_sgpr_workgroup_info 0
		.amdhsa_system_vgpr_workitem_id 0
		.amdhsa_next_free_vgpr 1
		.amdhsa_next_free_sgpr 1
		.amdhsa_reserve_vcc 0
		.amdhsa_float_round_mode_32 0
		.amdhsa_float_round_mode_16_64 0
		.amdhsa_float_denorm_mode_32 3
		.amdhsa_float_denorm_mode_16_64 3
		.amdhsa_fp16_overflow 0
		.amdhsa_workgroup_processor_mode 1
		.amdhsa_memory_ordered 1
		.amdhsa_forward_progress 1
		.amdhsa_inst_pref_size 0
		.amdhsa_round_robin_scheduling 0
		.amdhsa_exception_fp_ieee_invalid_op 0
		.amdhsa_exception_fp_denorm_src 0
		.amdhsa_exception_fp_ieee_div_zero 0
		.amdhsa_exception_fp_ieee_overflow 0
		.amdhsa_exception_fp_ieee_underflow 0
		.amdhsa_exception_fp_ieee_inexact 0
		.amdhsa_exception_int_div_zero 0
	.end_amdhsa_kernel
	.section	.text._ZN7rocprim17ROCPRIM_400000_NS6detail17trampoline_kernelINS0_13select_configILj256ELj13ELNS0_17block_load_methodE3ELS4_3ELS4_3ELNS0_20block_scan_algorithmE0ELj4294967295EEENS1_25partition_config_selectorILNS1_17partition_subalgoE3EjNS0_10empty_typeEbEEZZNS1_14partition_implILS8_3ELb0ES6_jNS0_17counting_iteratorIjlEEPS9_SE_NS0_5tupleIJPjSE_EEENSF_IJSE_SE_EEES9_SG_JZNS1_25segmented_radix_sort_implINS0_14default_configELb1EPKlPlSM_SN_N2at6native12_GLOBAL__N_18offset_tEEE10hipError_tPvRmT1_PNSt15iterator_traitsISV_E10value_typeET2_T3_PNSW_IS11_E10value_typeET4_jRbjT5_S17_jjP12ihipStream_tbEUljE_EEESS_ST_SU_S11_S15_S17_T6_T7_T9_mT8_S19_bDpT10_ENKUlT_T0_E_clISt17integral_constantIbLb0EES1L_IbLb1EEEEDaS1H_S1I_EUlS1H_E_NS1_11comp_targetILNS1_3genE8ELNS1_11target_archE1030ELNS1_3gpuE2ELNS1_3repE0EEENS1_30default_config_static_selectorELNS0_4arch9wavefront6targetE0EEEvSV_,"axG",@progbits,_ZN7rocprim17ROCPRIM_400000_NS6detail17trampoline_kernelINS0_13select_configILj256ELj13ELNS0_17block_load_methodE3ELS4_3ELS4_3ELNS0_20block_scan_algorithmE0ELj4294967295EEENS1_25partition_config_selectorILNS1_17partition_subalgoE3EjNS0_10empty_typeEbEEZZNS1_14partition_implILS8_3ELb0ES6_jNS0_17counting_iteratorIjlEEPS9_SE_NS0_5tupleIJPjSE_EEENSF_IJSE_SE_EEES9_SG_JZNS1_25segmented_radix_sort_implINS0_14default_configELb1EPKlPlSM_SN_N2at6native12_GLOBAL__N_18offset_tEEE10hipError_tPvRmT1_PNSt15iterator_traitsISV_E10value_typeET2_T3_PNSW_IS11_E10value_typeET4_jRbjT5_S17_jjP12ihipStream_tbEUljE_EEESS_ST_SU_S11_S15_S17_T6_T7_T9_mT8_S19_bDpT10_ENKUlT_T0_E_clISt17integral_constantIbLb0EES1L_IbLb1EEEEDaS1H_S1I_EUlS1H_E_NS1_11comp_targetILNS1_3genE8ELNS1_11target_archE1030ELNS1_3gpuE2ELNS1_3repE0EEENS1_30default_config_static_selectorELNS0_4arch9wavefront6targetE0EEEvSV_,comdat
.Lfunc_end703:
	.size	_ZN7rocprim17ROCPRIM_400000_NS6detail17trampoline_kernelINS0_13select_configILj256ELj13ELNS0_17block_load_methodE3ELS4_3ELS4_3ELNS0_20block_scan_algorithmE0ELj4294967295EEENS1_25partition_config_selectorILNS1_17partition_subalgoE3EjNS0_10empty_typeEbEEZZNS1_14partition_implILS8_3ELb0ES6_jNS0_17counting_iteratorIjlEEPS9_SE_NS0_5tupleIJPjSE_EEENSF_IJSE_SE_EEES9_SG_JZNS1_25segmented_radix_sort_implINS0_14default_configELb1EPKlPlSM_SN_N2at6native12_GLOBAL__N_18offset_tEEE10hipError_tPvRmT1_PNSt15iterator_traitsISV_E10value_typeET2_T3_PNSW_IS11_E10value_typeET4_jRbjT5_S17_jjP12ihipStream_tbEUljE_EEESS_ST_SU_S11_S15_S17_T6_T7_T9_mT8_S19_bDpT10_ENKUlT_T0_E_clISt17integral_constantIbLb0EES1L_IbLb1EEEEDaS1H_S1I_EUlS1H_E_NS1_11comp_targetILNS1_3genE8ELNS1_11target_archE1030ELNS1_3gpuE2ELNS1_3repE0EEENS1_30default_config_static_selectorELNS0_4arch9wavefront6targetE0EEEvSV_, .Lfunc_end703-_ZN7rocprim17ROCPRIM_400000_NS6detail17trampoline_kernelINS0_13select_configILj256ELj13ELNS0_17block_load_methodE3ELS4_3ELS4_3ELNS0_20block_scan_algorithmE0ELj4294967295EEENS1_25partition_config_selectorILNS1_17partition_subalgoE3EjNS0_10empty_typeEbEEZZNS1_14partition_implILS8_3ELb0ES6_jNS0_17counting_iteratorIjlEEPS9_SE_NS0_5tupleIJPjSE_EEENSF_IJSE_SE_EEES9_SG_JZNS1_25segmented_radix_sort_implINS0_14default_configELb1EPKlPlSM_SN_N2at6native12_GLOBAL__N_18offset_tEEE10hipError_tPvRmT1_PNSt15iterator_traitsISV_E10value_typeET2_T3_PNSW_IS11_E10value_typeET4_jRbjT5_S17_jjP12ihipStream_tbEUljE_EEESS_ST_SU_S11_S15_S17_T6_T7_T9_mT8_S19_bDpT10_ENKUlT_T0_E_clISt17integral_constantIbLb0EES1L_IbLb1EEEEDaS1H_S1I_EUlS1H_E_NS1_11comp_targetILNS1_3genE8ELNS1_11target_archE1030ELNS1_3gpuE2ELNS1_3repE0EEENS1_30default_config_static_selectorELNS0_4arch9wavefront6targetE0EEEvSV_
                                        ; -- End function
	.set _ZN7rocprim17ROCPRIM_400000_NS6detail17trampoline_kernelINS0_13select_configILj256ELj13ELNS0_17block_load_methodE3ELS4_3ELS4_3ELNS0_20block_scan_algorithmE0ELj4294967295EEENS1_25partition_config_selectorILNS1_17partition_subalgoE3EjNS0_10empty_typeEbEEZZNS1_14partition_implILS8_3ELb0ES6_jNS0_17counting_iteratorIjlEEPS9_SE_NS0_5tupleIJPjSE_EEENSF_IJSE_SE_EEES9_SG_JZNS1_25segmented_radix_sort_implINS0_14default_configELb1EPKlPlSM_SN_N2at6native12_GLOBAL__N_18offset_tEEE10hipError_tPvRmT1_PNSt15iterator_traitsISV_E10value_typeET2_T3_PNSW_IS11_E10value_typeET4_jRbjT5_S17_jjP12ihipStream_tbEUljE_EEESS_ST_SU_S11_S15_S17_T6_T7_T9_mT8_S19_bDpT10_ENKUlT_T0_E_clISt17integral_constantIbLb0EES1L_IbLb1EEEEDaS1H_S1I_EUlS1H_E_NS1_11comp_targetILNS1_3genE8ELNS1_11target_archE1030ELNS1_3gpuE2ELNS1_3repE0EEENS1_30default_config_static_selectorELNS0_4arch9wavefront6targetE0EEEvSV_.num_vgpr, 0
	.set _ZN7rocprim17ROCPRIM_400000_NS6detail17trampoline_kernelINS0_13select_configILj256ELj13ELNS0_17block_load_methodE3ELS4_3ELS4_3ELNS0_20block_scan_algorithmE0ELj4294967295EEENS1_25partition_config_selectorILNS1_17partition_subalgoE3EjNS0_10empty_typeEbEEZZNS1_14partition_implILS8_3ELb0ES6_jNS0_17counting_iteratorIjlEEPS9_SE_NS0_5tupleIJPjSE_EEENSF_IJSE_SE_EEES9_SG_JZNS1_25segmented_radix_sort_implINS0_14default_configELb1EPKlPlSM_SN_N2at6native12_GLOBAL__N_18offset_tEEE10hipError_tPvRmT1_PNSt15iterator_traitsISV_E10value_typeET2_T3_PNSW_IS11_E10value_typeET4_jRbjT5_S17_jjP12ihipStream_tbEUljE_EEESS_ST_SU_S11_S15_S17_T6_T7_T9_mT8_S19_bDpT10_ENKUlT_T0_E_clISt17integral_constantIbLb0EES1L_IbLb1EEEEDaS1H_S1I_EUlS1H_E_NS1_11comp_targetILNS1_3genE8ELNS1_11target_archE1030ELNS1_3gpuE2ELNS1_3repE0EEENS1_30default_config_static_selectorELNS0_4arch9wavefront6targetE0EEEvSV_.num_agpr, 0
	.set _ZN7rocprim17ROCPRIM_400000_NS6detail17trampoline_kernelINS0_13select_configILj256ELj13ELNS0_17block_load_methodE3ELS4_3ELS4_3ELNS0_20block_scan_algorithmE0ELj4294967295EEENS1_25partition_config_selectorILNS1_17partition_subalgoE3EjNS0_10empty_typeEbEEZZNS1_14partition_implILS8_3ELb0ES6_jNS0_17counting_iteratorIjlEEPS9_SE_NS0_5tupleIJPjSE_EEENSF_IJSE_SE_EEES9_SG_JZNS1_25segmented_radix_sort_implINS0_14default_configELb1EPKlPlSM_SN_N2at6native12_GLOBAL__N_18offset_tEEE10hipError_tPvRmT1_PNSt15iterator_traitsISV_E10value_typeET2_T3_PNSW_IS11_E10value_typeET4_jRbjT5_S17_jjP12ihipStream_tbEUljE_EEESS_ST_SU_S11_S15_S17_T6_T7_T9_mT8_S19_bDpT10_ENKUlT_T0_E_clISt17integral_constantIbLb0EES1L_IbLb1EEEEDaS1H_S1I_EUlS1H_E_NS1_11comp_targetILNS1_3genE8ELNS1_11target_archE1030ELNS1_3gpuE2ELNS1_3repE0EEENS1_30default_config_static_selectorELNS0_4arch9wavefront6targetE0EEEvSV_.numbered_sgpr, 0
	.set _ZN7rocprim17ROCPRIM_400000_NS6detail17trampoline_kernelINS0_13select_configILj256ELj13ELNS0_17block_load_methodE3ELS4_3ELS4_3ELNS0_20block_scan_algorithmE0ELj4294967295EEENS1_25partition_config_selectorILNS1_17partition_subalgoE3EjNS0_10empty_typeEbEEZZNS1_14partition_implILS8_3ELb0ES6_jNS0_17counting_iteratorIjlEEPS9_SE_NS0_5tupleIJPjSE_EEENSF_IJSE_SE_EEES9_SG_JZNS1_25segmented_radix_sort_implINS0_14default_configELb1EPKlPlSM_SN_N2at6native12_GLOBAL__N_18offset_tEEE10hipError_tPvRmT1_PNSt15iterator_traitsISV_E10value_typeET2_T3_PNSW_IS11_E10value_typeET4_jRbjT5_S17_jjP12ihipStream_tbEUljE_EEESS_ST_SU_S11_S15_S17_T6_T7_T9_mT8_S19_bDpT10_ENKUlT_T0_E_clISt17integral_constantIbLb0EES1L_IbLb1EEEEDaS1H_S1I_EUlS1H_E_NS1_11comp_targetILNS1_3genE8ELNS1_11target_archE1030ELNS1_3gpuE2ELNS1_3repE0EEENS1_30default_config_static_selectorELNS0_4arch9wavefront6targetE0EEEvSV_.num_named_barrier, 0
	.set _ZN7rocprim17ROCPRIM_400000_NS6detail17trampoline_kernelINS0_13select_configILj256ELj13ELNS0_17block_load_methodE3ELS4_3ELS4_3ELNS0_20block_scan_algorithmE0ELj4294967295EEENS1_25partition_config_selectorILNS1_17partition_subalgoE3EjNS0_10empty_typeEbEEZZNS1_14partition_implILS8_3ELb0ES6_jNS0_17counting_iteratorIjlEEPS9_SE_NS0_5tupleIJPjSE_EEENSF_IJSE_SE_EEES9_SG_JZNS1_25segmented_radix_sort_implINS0_14default_configELb1EPKlPlSM_SN_N2at6native12_GLOBAL__N_18offset_tEEE10hipError_tPvRmT1_PNSt15iterator_traitsISV_E10value_typeET2_T3_PNSW_IS11_E10value_typeET4_jRbjT5_S17_jjP12ihipStream_tbEUljE_EEESS_ST_SU_S11_S15_S17_T6_T7_T9_mT8_S19_bDpT10_ENKUlT_T0_E_clISt17integral_constantIbLb0EES1L_IbLb1EEEEDaS1H_S1I_EUlS1H_E_NS1_11comp_targetILNS1_3genE8ELNS1_11target_archE1030ELNS1_3gpuE2ELNS1_3repE0EEENS1_30default_config_static_selectorELNS0_4arch9wavefront6targetE0EEEvSV_.private_seg_size, 0
	.set _ZN7rocprim17ROCPRIM_400000_NS6detail17trampoline_kernelINS0_13select_configILj256ELj13ELNS0_17block_load_methodE3ELS4_3ELS4_3ELNS0_20block_scan_algorithmE0ELj4294967295EEENS1_25partition_config_selectorILNS1_17partition_subalgoE3EjNS0_10empty_typeEbEEZZNS1_14partition_implILS8_3ELb0ES6_jNS0_17counting_iteratorIjlEEPS9_SE_NS0_5tupleIJPjSE_EEENSF_IJSE_SE_EEES9_SG_JZNS1_25segmented_radix_sort_implINS0_14default_configELb1EPKlPlSM_SN_N2at6native12_GLOBAL__N_18offset_tEEE10hipError_tPvRmT1_PNSt15iterator_traitsISV_E10value_typeET2_T3_PNSW_IS11_E10value_typeET4_jRbjT5_S17_jjP12ihipStream_tbEUljE_EEESS_ST_SU_S11_S15_S17_T6_T7_T9_mT8_S19_bDpT10_ENKUlT_T0_E_clISt17integral_constantIbLb0EES1L_IbLb1EEEEDaS1H_S1I_EUlS1H_E_NS1_11comp_targetILNS1_3genE8ELNS1_11target_archE1030ELNS1_3gpuE2ELNS1_3repE0EEENS1_30default_config_static_selectorELNS0_4arch9wavefront6targetE0EEEvSV_.uses_vcc, 0
	.set _ZN7rocprim17ROCPRIM_400000_NS6detail17trampoline_kernelINS0_13select_configILj256ELj13ELNS0_17block_load_methodE3ELS4_3ELS4_3ELNS0_20block_scan_algorithmE0ELj4294967295EEENS1_25partition_config_selectorILNS1_17partition_subalgoE3EjNS0_10empty_typeEbEEZZNS1_14partition_implILS8_3ELb0ES6_jNS0_17counting_iteratorIjlEEPS9_SE_NS0_5tupleIJPjSE_EEENSF_IJSE_SE_EEES9_SG_JZNS1_25segmented_radix_sort_implINS0_14default_configELb1EPKlPlSM_SN_N2at6native12_GLOBAL__N_18offset_tEEE10hipError_tPvRmT1_PNSt15iterator_traitsISV_E10value_typeET2_T3_PNSW_IS11_E10value_typeET4_jRbjT5_S17_jjP12ihipStream_tbEUljE_EEESS_ST_SU_S11_S15_S17_T6_T7_T9_mT8_S19_bDpT10_ENKUlT_T0_E_clISt17integral_constantIbLb0EES1L_IbLb1EEEEDaS1H_S1I_EUlS1H_E_NS1_11comp_targetILNS1_3genE8ELNS1_11target_archE1030ELNS1_3gpuE2ELNS1_3repE0EEENS1_30default_config_static_selectorELNS0_4arch9wavefront6targetE0EEEvSV_.uses_flat_scratch, 0
	.set _ZN7rocprim17ROCPRIM_400000_NS6detail17trampoline_kernelINS0_13select_configILj256ELj13ELNS0_17block_load_methodE3ELS4_3ELS4_3ELNS0_20block_scan_algorithmE0ELj4294967295EEENS1_25partition_config_selectorILNS1_17partition_subalgoE3EjNS0_10empty_typeEbEEZZNS1_14partition_implILS8_3ELb0ES6_jNS0_17counting_iteratorIjlEEPS9_SE_NS0_5tupleIJPjSE_EEENSF_IJSE_SE_EEES9_SG_JZNS1_25segmented_radix_sort_implINS0_14default_configELb1EPKlPlSM_SN_N2at6native12_GLOBAL__N_18offset_tEEE10hipError_tPvRmT1_PNSt15iterator_traitsISV_E10value_typeET2_T3_PNSW_IS11_E10value_typeET4_jRbjT5_S17_jjP12ihipStream_tbEUljE_EEESS_ST_SU_S11_S15_S17_T6_T7_T9_mT8_S19_bDpT10_ENKUlT_T0_E_clISt17integral_constantIbLb0EES1L_IbLb1EEEEDaS1H_S1I_EUlS1H_E_NS1_11comp_targetILNS1_3genE8ELNS1_11target_archE1030ELNS1_3gpuE2ELNS1_3repE0EEENS1_30default_config_static_selectorELNS0_4arch9wavefront6targetE0EEEvSV_.has_dyn_sized_stack, 0
	.set _ZN7rocprim17ROCPRIM_400000_NS6detail17trampoline_kernelINS0_13select_configILj256ELj13ELNS0_17block_load_methodE3ELS4_3ELS4_3ELNS0_20block_scan_algorithmE0ELj4294967295EEENS1_25partition_config_selectorILNS1_17partition_subalgoE3EjNS0_10empty_typeEbEEZZNS1_14partition_implILS8_3ELb0ES6_jNS0_17counting_iteratorIjlEEPS9_SE_NS0_5tupleIJPjSE_EEENSF_IJSE_SE_EEES9_SG_JZNS1_25segmented_radix_sort_implINS0_14default_configELb1EPKlPlSM_SN_N2at6native12_GLOBAL__N_18offset_tEEE10hipError_tPvRmT1_PNSt15iterator_traitsISV_E10value_typeET2_T3_PNSW_IS11_E10value_typeET4_jRbjT5_S17_jjP12ihipStream_tbEUljE_EEESS_ST_SU_S11_S15_S17_T6_T7_T9_mT8_S19_bDpT10_ENKUlT_T0_E_clISt17integral_constantIbLb0EES1L_IbLb1EEEEDaS1H_S1I_EUlS1H_E_NS1_11comp_targetILNS1_3genE8ELNS1_11target_archE1030ELNS1_3gpuE2ELNS1_3repE0EEENS1_30default_config_static_selectorELNS0_4arch9wavefront6targetE0EEEvSV_.has_recursion, 0
	.set _ZN7rocprim17ROCPRIM_400000_NS6detail17trampoline_kernelINS0_13select_configILj256ELj13ELNS0_17block_load_methodE3ELS4_3ELS4_3ELNS0_20block_scan_algorithmE0ELj4294967295EEENS1_25partition_config_selectorILNS1_17partition_subalgoE3EjNS0_10empty_typeEbEEZZNS1_14partition_implILS8_3ELb0ES6_jNS0_17counting_iteratorIjlEEPS9_SE_NS0_5tupleIJPjSE_EEENSF_IJSE_SE_EEES9_SG_JZNS1_25segmented_radix_sort_implINS0_14default_configELb1EPKlPlSM_SN_N2at6native12_GLOBAL__N_18offset_tEEE10hipError_tPvRmT1_PNSt15iterator_traitsISV_E10value_typeET2_T3_PNSW_IS11_E10value_typeET4_jRbjT5_S17_jjP12ihipStream_tbEUljE_EEESS_ST_SU_S11_S15_S17_T6_T7_T9_mT8_S19_bDpT10_ENKUlT_T0_E_clISt17integral_constantIbLb0EES1L_IbLb1EEEEDaS1H_S1I_EUlS1H_E_NS1_11comp_targetILNS1_3genE8ELNS1_11target_archE1030ELNS1_3gpuE2ELNS1_3repE0EEENS1_30default_config_static_selectorELNS0_4arch9wavefront6targetE0EEEvSV_.has_indirect_call, 0
	.section	.AMDGPU.csdata,"",@progbits
; Kernel info:
; codeLenInByte = 0
; TotalNumSgprs: 0
; NumVgprs: 0
; ScratchSize: 0
; MemoryBound: 0
; FloatMode: 240
; IeeeMode: 1
; LDSByteSize: 0 bytes/workgroup (compile time only)
; SGPRBlocks: 0
; VGPRBlocks: 0
; NumSGPRsForWavesPerEU: 1
; NumVGPRsForWavesPerEU: 1
; Occupancy: 16
; WaveLimiterHint : 0
; COMPUTE_PGM_RSRC2:SCRATCH_EN: 0
; COMPUTE_PGM_RSRC2:USER_SGPR: 2
; COMPUTE_PGM_RSRC2:TRAP_HANDLER: 0
; COMPUTE_PGM_RSRC2:TGID_X_EN: 1
; COMPUTE_PGM_RSRC2:TGID_Y_EN: 0
; COMPUTE_PGM_RSRC2:TGID_Z_EN: 0
; COMPUTE_PGM_RSRC2:TIDIG_COMP_CNT: 0
	.section	.text._ZN7rocprim17ROCPRIM_400000_NS6detail17trampoline_kernelINS0_14default_configENS1_36segmented_radix_sort_config_selectorIllEEZNS1_25segmented_radix_sort_implIS3_Lb1EPKlPlS8_S9_N2at6native12_GLOBAL__N_18offset_tEEE10hipError_tPvRmT1_PNSt15iterator_traitsISH_E10value_typeET2_T3_PNSI_ISN_E10value_typeET4_jRbjT5_ST_jjP12ihipStream_tbEUlT_E_NS1_11comp_targetILNS1_3genE0ELNS1_11target_archE4294967295ELNS1_3gpuE0ELNS1_3repE0EEENS1_30default_config_static_selectorELNS0_4arch9wavefront6targetE0EEEvSH_,"axG",@progbits,_ZN7rocprim17ROCPRIM_400000_NS6detail17trampoline_kernelINS0_14default_configENS1_36segmented_radix_sort_config_selectorIllEEZNS1_25segmented_radix_sort_implIS3_Lb1EPKlPlS8_S9_N2at6native12_GLOBAL__N_18offset_tEEE10hipError_tPvRmT1_PNSt15iterator_traitsISH_E10value_typeET2_T3_PNSI_ISN_E10value_typeET4_jRbjT5_ST_jjP12ihipStream_tbEUlT_E_NS1_11comp_targetILNS1_3genE0ELNS1_11target_archE4294967295ELNS1_3gpuE0ELNS1_3repE0EEENS1_30default_config_static_selectorELNS0_4arch9wavefront6targetE0EEEvSH_,comdat
	.globl	_ZN7rocprim17ROCPRIM_400000_NS6detail17trampoline_kernelINS0_14default_configENS1_36segmented_radix_sort_config_selectorIllEEZNS1_25segmented_radix_sort_implIS3_Lb1EPKlPlS8_S9_N2at6native12_GLOBAL__N_18offset_tEEE10hipError_tPvRmT1_PNSt15iterator_traitsISH_E10value_typeET2_T3_PNSI_ISN_E10value_typeET4_jRbjT5_ST_jjP12ihipStream_tbEUlT_E_NS1_11comp_targetILNS1_3genE0ELNS1_11target_archE4294967295ELNS1_3gpuE0ELNS1_3repE0EEENS1_30default_config_static_selectorELNS0_4arch9wavefront6targetE0EEEvSH_ ; -- Begin function _ZN7rocprim17ROCPRIM_400000_NS6detail17trampoline_kernelINS0_14default_configENS1_36segmented_radix_sort_config_selectorIllEEZNS1_25segmented_radix_sort_implIS3_Lb1EPKlPlS8_S9_N2at6native12_GLOBAL__N_18offset_tEEE10hipError_tPvRmT1_PNSt15iterator_traitsISH_E10value_typeET2_T3_PNSI_ISN_E10value_typeET4_jRbjT5_ST_jjP12ihipStream_tbEUlT_E_NS1_11comp_targetILNS1_3genE0ELNS1_11target_archE4294967295ELNS1_3gpuE0ELNS1_3repE0EEENS1_30default_config_static_selectorELNS0_4arch9wavefront6targetE0EEEvSH_
	.p2align	8
	.type	_ZN7rocprim17ROCPRIM_400000_NS6detail17trampoline_kernelINS0_14default_configENS1_36segmented_radix_sort_config_selectorIllEEZNS1_25segmented_radix_sort_implIS3_Lb1EPKlPlS8_S9_N2at6native12_GLOBAL__N_18offset_tEEE10hipError_tPvRmT1_PNSt15iterator_traitsISH_E10value_typeET2_T3_PNSI_ISN_E10value_typeET4_jRbjT5_ST_jjP12ihipStream_tbEUlT_E_NS1_11comp_targetILNS1_3genE0ELNS1_11target_archE4294967295ELNS1_3gpuE0ELNS1_3repE0EEENS1_30default_config_static_selectorELNS0_4arch9wavefront6targetE0EEEvSH_,@function
_ZN7rocprim17ROCPRIM_400000_NS6detail17trampoline_kernelINS0_14default_configENS1_36segmented_radix_sort_config_selectorIllEEZNS1_25segmented_radix_sort_implIS3_Lb1EPKlPlS8_S9_N2at6native12_GLOBAL__N_18offset_tEEE10hipError_tPvRmT1_PNSt15iterator_traitsISH_E10value_typeET2_T3_PNSI_ISN_E10value_typeET4_jRbjT5_ST_jjP12ihipStream_tbEUlT_E_NS1_11comp_targetILNS1_3genE0ELNS1_11target_archE4294967295ELNS1_3gpuE0ELNS1_3repE0EEENS1_30default_config_static_selectorELNS0_4arch9wavefront6targetE0EEEvSH_: ; @_ZN7rocprim17ROCPRIM_400000_NS6detail17trampoline_kernelINS0_14default_configENS1_36segmented_radix_sort_config_selectorIllEEZNS1_25segmented_radix_sort_implIS3_Lb1EPKlPlS8_S9_N2at6native12_GLOBAL__N_18offset_tEEE10hipError_tPvRmT1_PNSt15iterator_traitsISH_E10value_typeET2_T3_PNSI_ISN_E10value_typeET4_jRbjT5_ST_jjP12ihipStream_tbEUlT_E_NS1_11comp_targetILNS1_3genE0ELNS1_11target_archE4294967295ELNS1_3gpuE0ELNS1_3repE0EEENS1_30default_config_static_selectorELNS0_4arch9wavefront6targetE0EEEvSH_
; %bb.0:
	.section	.rodata,"a",@progbits
	.p2align	6, 0x0
	.amdhsa_kernel _ZN7rocprim17ROCPRIM_400000_NS6detail17trampoline_kernelINS0_14default_configENS1_36segmented_radix_sort_config_selectorIllEEZNS1_25segmented_radix_sort_implIS3_Lb1EPKlPlS8_S9_N2at6native12_GLOBAL__N_18offset_tEEE10hipError_tPvRmT1_PNSt15iterator_traitsISH_E10value_typeET2_T3_PNSI_ISN_E10value_typeET4_jRbjT5_ST_jjP12ihipStream_tbEUlT_E_NS1_11comp_targetILNS1_3genE0ELNS1_11target_archE4294967295ELNS1_3gpuE0ELNS1_3repE0EEENS1_30default_config_static_selectorELNS0_4arch9wavefront6targetE0EEEvSH_
		.amdhsa_group_segment_fixed_size 0
		.amdhsa_private_segment_fixed_size 0
		.amdhsa_kernarg_size 96
		.amdhsa_user_sgpr_count 2
		.amdhsa_user_sgpr_dispatch_ptr 0
		.amdhsa_user_sgpr_queue_ptr 0
		.amdhsa_user_sgpr_kernarg_segment_ptr 1
		.amdhsa_user_sgpr_dispatch_id 0
		.amdhsa_user_sgpr_private_segment_size 0
		.amdhsa_wavefront_size32 1
		.amdhsa_uses_dynamic_stack 0
		.amdhsa_enable_private_segment 0
		.amdhsa_system_sgpr_workgroup_id_x 1
		.amdhsa_system_sgpr_workgroup_id_y 0
		.amdhsa_system_sgpr_workgroup_id_z 0
		.amdhsa_system_sgpr_workgroup_info 0
		.amdhsa_system_vgpr_workitem_id 0
		.amdhsa_next_free_vgpr 1
		.amdhsa_next_free_sgpr 1
		.amdhsa_reserve_vcc 0
		.amdhsa_float_round_mode_32 0
		.amdhsa_float_round_mode_16_64 0
		.amdhsa_float_denorm_mode_32 3
		.amdhsa_float_denorm_mode_16_64 3
		.amdhsa_fp16_overflow 0
		.amdhsa_workgroup_processor_mode 1
		.amdhsa_memory_ordered 1
		.amdhsa_forward_progress 1
		.amdhsa_inst_pref_size 0
		.amdhsa_round_robin_scheduling 0
		.amdhsa_exception_fp_ieee_invalid_op 0
		.amdhsa_exception_fp_denorm_src 0
		.amdhsa_exception_fp_ieee_div_zero 0
		.amdhsa_exception_fp_ieee_overflow 0
		.amdhsa_exception_fp_ieee_underflow 0
		.amdhsa_exception_fp_ieee_inexact 0
		.amdhsa_exception_int_div_zero 0
	.end_amdhsa_kernel
	.section	.text._ZN7rocprim17ROCPRIM_400000_NS6detail17trampoline_kernelINS0_14default_configENS1_36segmented_radix_sort_config_selectorIllEEZNS1_25segmented_radix_sort_implIS3_Lb1EPKlPlS8_S9_N2at6native12_GLOBAL__N_18offset_tEEE10hipError_tPvRmT1_PNSt15iterator_traitsISH_E10value_typeET2_T3_PNSI_ISN_E10value_typeET4_jRbjT5_ST_jjP12ihipStream_tbEUlT_E_NS1_11comp_targetILNS1_3genE0ELNS1_11target_archE4294967295ELNS1_3gpuE0ELNS1_3repE0EEENS1_30default_config_static_selectorELNS0_4arch9wavefront6targetE0EEEvSH_,"axG",@progbits,_ZN7rocprim17ROCPRIM_400000_NS6detail17trampoline_kernelINS0_14default_configENS1_36segmented_radix_sort_config_selectorIllEEZNS1_25segmented_radix_sort_implIS3_Lb1EPKlPlS8_S9_N2at6native12_GLOBAL__N_18offset_tEEE10hipError_tPvRmT1_PNSt15iterator_traitsISH_E10value_typeET2_T3_PNSI_ISN_E10value_typeET4_jRbjT5_ST_jjP12ihipStream_tbEUlT_E_NS1_11comp_targetILNS1_3genE0ELNS1_11target_archE4294967295ELNS1_3gpuE0ELNS1_3repE0EEENS1_30default_config_static_selectorELNS0_4arch9wavefront6targetE0EEEvSH_,comdat
.Lfunc_end704:
	.size	_ZN7rocprim17ROCPRIM_400000_NS6detail17trampoline_kernelINS0_14default_configENS1_36segmented_radix_sort_config_selectorIllEEZNS1_25segmented_radix_sort_implIS3_Lb1EPKlPlS8_S9_N2at6native12_GLOBAL__N_18offset_tEEE10hipError_tPvRmT1_PNSt15iterator_traitsISH_E10value_typeET2_T3_PNSI_ISN_E10value_typeET4_jRbjT5_ST_jjP12ihipStream_tbEUlT_E_NS1_11comp_targetILNS1_3genE0ELNS1_11target_archE4294967295ELNS1_3gpuE0ELNS1_3repE0EEENS1_30default_config_static_selectorELNS0_4arch9wavefront6targetE0EEEvSH_, .Lfunc_end704-_ZN7rocprim17ROCPRIM_400000_NS6detail17trampoline_kernelINS0_14default_configENS1_36segmented_radix_sort_config_selectorIllEEZNS1_25segmented_radix_sort_implIS3_Lb1EPKlPlS8_S9_N2at6native12_GLOBAL__N_18offset_tEEE10hipError_tPvRmT1_PNSt15iterator_traitsISH_E10value_typeET2_T3_PNSI_ISN_E10value_typeET4_jRbjT5_ST_jjP12ihipStream_tbEUlT_E_NS1_11comp_targetILNS1_3genE0ELNS1_11target_archE4294967295ELNS1_3gpuE0ELNS1_3repE0EEENS1_30default_config_static_selectorELNS0_4arch9wavefront6targetE0EEEvSH_
                                        ; -- End function
	.set _ZN7rocprim17ROCPRIM_400000_NS6detail17trampoline_kernelINS0_14default_configENS1_36segmented_radix_sort_config_selectorIllEEZNS1_25segmented_radix_sort_implIS3_Lb1EPKlPlS8_S9_N2at6native12_GLOBAL__N_18offset_tEEE10hipError_tPvRmT1_PNSt15iterator_traitsISH_E10value_typeET2_T3_PNSI_ISN_E10value_typeET4_jRbjT5_ST_jjP12ihipStream_tbEUlT_E_NS1_11comp_targetILNS1_3genE0ELNS1_11target_archE4294967295ELNS1_3gpuE0ELNS1_3repE0EEENS1_30default_config_static_selectorELNS0_4arch9wavefront6targetE0EEEvSH_.num_vgpr, 0
	.set _ZN7rocprim17ROCPRIM_400000_NS6detail17trampoline_kernelINS0_14default_configENS1_36segmented_radix_sort_config_selectorIllEEZNS1_25segmented_radix_sort_implIS3_Lb1EPKlPlS8_S9_N2at6native12_GLOBAL__N_18offset_tEEE10hipError_tPvRmT1_PNSt15iterator_traitsISH_E10value_typeET2_T3_PNSI_ISN_E10value_typeET4_jRbjT5_ST_jjP12ihipStream_tbEUlT_E_NS1_11comp_targetILNS1_3genE0ELNS1_11target_archE4294967295ELNS1_3gpuE0ELNS1_3repE0EEENS1_30default_config_static_selectorELNS0_4arch9wavefront6targetE0EEEvSH_.num_agpr, 0
	.set _ZN7rocprim17ROCPRIM_400000_NS6detail17trampoline_kernelINS0_14default_configENS1_36segmented_radix_sort_config_selectorIllEEZNS1_25segmented_radix_sort_implIS3_Lb1EPKlPlS8_S9_N2at6native12_GLOBAL__N_18offset_tEEE10hipError_tPvRmT1_PNSt15iterator_traitsISH_E10value_typeET2_T3_PNSI_ISN_E10value_typeET4_jRbjT5_ST_jjP12ihipStream_tbEUlT_E_NS1_11comp_targetILNS1_3genE0ELNS1_11target_archE4294967295ELNS1_3gpuE0ELNS1_3repE0EEENS1_30default_config_static_selectorELNS0_4arch9wavefront6targetE0EEEvSH_.numbered_sgpr, 0
	.set _ZN7rocprim17ROCPRIM_400000_NS6detail17trampoline_kernelINS0_14default_configENS1_36segmented_radix_sort_config_selectorIllEEZNS1_25segmented_radix_sort_implIS3_Lb1EPKlPlS8_S9_N2at6native12_GLOBAL__N_18offset_tEEE10hipError_tPvRmT1_PNSt15iterator_traitsISH_E10value_typeET2_T3_PNSI_ISN_E10value_typeET4_jRbjT5_ST_jjP12ihipStream_tbEUlT_E_NS1_11comp_targetILNS1_3genE0ELNS1_11target_archE4294967295ELNS1_3gpuE0ELNS1_3repE0EEENS1_30default_config_static_selectorELNS0_4arch9wavefront6targetE0EEEvSH_.num_named_barrier, 0
	.set _ZN7rocprim17ROCPRIM_400000_NS6detail17trampoline_kernelINS0_14default_configENS1_36segmented_radix_sort_config_selectorIllEEZNS1_25segmented_radix_sort_implIS3_Lb1EPKlPlS8_S9_N2at6native12_GLOBAL__N_18offset_tEEE10hipError_tPvRmT1_PNSt15iterator_traitsISH_E10value_typeET2_T3_PNSI_ISN_E10value_typeET4_jRbjT5_ST_jjP12ihipStream_tbEUlT_E_NS1_11comp_targetILNS1_3genE0ELNS1_11target_archE4294967295ELNS1_3gpuE0ELNS1_3repE0EEENS1_30default_config_static_selectorELNS0_4arch9wavefront6targetE0EEEvSH_.private_seg_size, 0
	.set _ZN7rocprim17ROCPRIM_400000_NS6detail17trampoline_kernelINS0_14default_configENS1_36segmented_radix_sort_config_selectorIllEEZNS1_25segmented_radix_sort_implIS3_Lb1EPKlPlS8_S9_N2at6native12_GLOBAL__N_18offset_tEEE10hipError_tPvRmT1_PNSt15iterator_traitsISH_E10value_typeET2_T3_PNSI_ISN_E10value_typeET4_jRbjT5_ST_jjP12ihipStream_tbEUlT_E_NS1_11comp_targetILNS1_3genE0ELNS1_11target_archE4294967295ELNS1_3gpuE0ELNS1_3repE0EEENS1_30default_config_static_selectorELNS0_4arch9wavefront6targetE0EEEvSH_.uses_vcc, 0
	.set _ZN7rocprim17ROCPRIM_400000_NS6detail17trampoline_kernelINS0_14default_configENS1_36segmented_radix_sort_config_selectorIllEEZNS1_25segmented_radix_sort_implIS3_Lb1EPKlPlS8_S9_N2at6native12_GLOBAL__N_18offset_tEEE10hipError_tPvRmT1_PNSt15iterator_traitsISH_E10value_typeET2_T3_PNSI_ISN_E10value_typeET4_jRbjT5_ST_jjP12ihipStream_tbEUlT_E_NS1_11comp_targetILNS1_3genE0ELNS1_11target_archE4294967295ELNS1_3gpuE0ELNS1_3repE0EEENS1_30default_config_static_selectorELNS0_4arch9wavefront6targetE0EEEvSH_.uses_flat_scratch, 0
	.set _ZN7rocprim17ROCPRIM_400000_NS6detail17trampoline_kernelINS0_14default_configENS1_36segmented_radix_sort_config_selectorIllEEZNS1_25segmented_radix_sort_implIS3_Lb1EPKlPlS8_S9_N2at6native12_GLOBAL__N_18offset_tEEE10hipError_tPvRmT1_PNSt15iterator_traitsISH_E10value_typeET2_T3_PNSI_ISN_E10value_typeET4_jRbjT5_ST_jjP12ihipStream_tbEUlT_E_NS1_11comp_targetILNS1_3genE0ELNS1_11target_archE4294967295ELNS1_3gpuE0ELNS1_3repE0EEENS1_30default_config_static_selectorELNS0_4arch9wavefront6targetE0EEEvSH_.has_dyn_sized_stack, 0
	.set _ZN7rocprim17ROCPRIM_400000_NS6detail17trampoline_kernelINS0_14default_configENS1_36segmented_radix_sort_config_selectorIllEEZNS1_25segmented_radix_sort_implIS3_Lb1EPKlPlS8_S9_N2at6native12_GLOBAL__N_18offset_tEEE10hipError_tPvRmT1_PNSt15iterator_traitsISH_E10value_typeET2_T3_PNSI_ISN_E10value_typeET4_jRbjT5_ST_jjP12ihipStream_tbEUlT_E_NS1_11comp_targetILNS1_3genE0ELNS1_11target_archE4294967295ELNS1_3gpuE0ELNS1_3repE0EEENS1_30default_config_static_selectorELNS0_4arch9wavefront6targetE0EEEvSH_.has_recursion, 0
	.set _ZN7rocprim17ROCPRIM_400000_NS6detail17trampoline_kernelINS0_14default_configENS1_36segmented_radix_sort_config_selectorIllEEZNS1_25segmented_radix_sort_implIS3_Lb1EPKlPlS8_S9_N2at6native12_GLOBAL__N_18offset_tEEE10hipError_tPvRmT1_PNSt15iterator_traitsISH_E10value_typeET2_T3_PNSI_ISN_E10value_typeET4_jRbjT5_ST_jjP12ihipStream_tbEUlT_E_NS1_11comp_targetILNS1_3genE0ELNS1_11target_archE4294967295ELNS1_3gpuE0ELNS1_3repE0EEENS1_30default_config_static_selectorELNS0_4arch9wavefront6targetE0EEEvSH_.has_indirect_call, 0
	.section	.AMDGPU.csdata,"",@progbits
; Kernel info:
; codeLenInByte = 0
; TotalNumSgprs: 0
; NumVgprs: 0
; ScratchSize: 0
; MemoryBound: 0
; FloatMode: 240
; IeeeMode: 1
; LDSByteSize: 0 bytes/workgroup (compile time only)
; SGPRBlocks: 0
; VGPRBlocks: 0
; NumSGPRsForWavesPerEU: 1
; NumVGPRsForWavesPerEU: 1
; Occupancy: 16
; WaveLimiterHint : 0
; COMPUTE_PGM_RSRC2:SCRATCH_EN: 0
; COMPUTE_PGM_RSRC2:USER_SGPR: 2
; COMPUTE_PGM_RSRC2:TRAP_HANDLER: 0
; COMPUTE_PGM_RSRC2:TGID_X_EN: 1
; COMPUTE_PGM_RSRC2:TGID_Y_EN: 0
; COMPUTE_PGM_RSRC2:TGID_Z_EN: 0
; COMPUTE_PGM_RSRC2:TIDIG_COMP_CNT: 0
	.section	.text._ZN7rocprim17ROCPRIM_400000_NS6detail17trampoline_kernelINS0_14default_configENS1_36segmented_radix_sort_config_selectorIllEEZNS1_25segmented_radix_sort_implIS3_Lb1EPKlPlS8_S9_N2at6native12_GLOBAL__N_18offset_tEEE10hipError_tPvRmT1_PNSt15iterator_traitsISH_E10value_typeET2_T3_PNSI_ISN_E10value_typeET4_jRbjT5_ST_jjP12ihipStream_tbEUlT_E_NS1_11comp_targetILNS1_3genE5ELNS1_11target_archE942ELNS1_3gpuE9ELNS1_3repE0EEENS1_30default_config_static_selectorELNS0_4arch9wavefront6targetE0EEEvSH_,"axG",@progbits,_ZN7rocprim17ROCPRIM_400000_NS6detail17trampoline_kernelINS0_14default_configENS1_36segmented_radix_sort_config_selectorIllEEZNS1_25segmented_radix_sort_implIS3_Lb1EPKlPlS8_S9_N2at6native12_GLOBAL__N_18offset_tEEE10hipError_tPvRmT1_PNSt15iterator_traitsISH_E10value_typeET2_T3_PNSI_ISN_E10value_typeET4_jRbjT5_ST_jjP12ihipStream_tbEUlT_E_NS1_11comp_targetILNS1_3genE5ELNS1_11target_archE942ELNS1_3gpuE9ELNS1_3repE0EEENS1_30default_config_static_selectorELNS0_4arch9wavefront6targetE0EEEvSH_,comdat
	.globl	_ZN7rocprim17ROCPRIM_400000_NS6detail17trampoline_kernelINS0_14default_configENS1_36segmented_radix_sort_config_selectorIllEEZNS1_25segmented_radix_sort_implIS3_Lb1EPKlPlS8_S9_N2at6native12_GLOBAL__N_18offset_tEEE10hipError_tPvRmT1_PNSt15iterator_traitsISH_E10value_typeET2_T3_PNSI_ISN_E10value_typeET4_jRbjT5_ST_jjP12ihipStream_tbEUlT_E_NS1_11comp_targetILNS1_3genE5ELNS1_11target_archE942ELNS1_3gpuE9ELNS1_3repE0EEENS1_30default_config_static_selectorELNS0_4arch9wavefront6targetE0EEEvSH_ ; -- Begin function _ZN7rocprim17ROCPRIM_400000_NS6detail17trampoline_kernelINS0_14default_configENS1_36segmented_radix_sort_config_selectorIllEEZNS1_25segmented_radix_sort_implIS3_Lb1EPKlPlS8_S9_N2at6native12_GLOBAL__N_18offset_tEEE10hipError_tPvRmT1_PNSt15iterator_traitsISH_E10value_typeET2_T3_PNSI_ISN_E10value_typeET4_jRbjT5_ST_jjP12ihipStream_tbEUlT_E_NS1_11comp_targetILNS1_3genE5ELNS1_11target_archE942ELNS1_3gpuE9ELNS1_3repE0EEENS1_30default_config_static_selectorELNS0_4arch9wavefront6targetE0EEEvSH_
	.p2align	8
	.type	_ZN7rocprim17ROCPRIM_400000_NS6detail17trampoline_kernelINS0_14default_configENS1_36segmented_radix_sort_config_selectorIllEEZNS1_25segmented_radix_sort_implIS3_Lb1EPKlPlS8_S9_N2at6native12_GLOBAL__N_18offset_tEEE10hipError_tPvRmT1_PNSt15iterator_traitsISH_E10value_typeET2_T3_PNSI_ISN_E10value_typeET4_jRbjT5_ST_jjP12ihipStream_tbEUlT_E_NS1_11comp_targetILNS1_3genE5ELNS1_11target_archE942ELNS1_3gpuE9ELNS1_3repE0EEENS1_30default_config_static_selectorELNS0_4arch9wavefront6targetE0EEEvSH_,@function
_ZN7rocprim17ROCPRIM_400000_NS6detail17trampoline_kernelINS0_14default_configENS1_36segmented_radix_sort_config_selectorIllEEZNS1_25segmented_radix_sort_implIS3_Lb1EPKlPlS8_S9_N2at6native12_GLOBAL__N_18offset_tEEE10hipError_tPvRmT1_PNSt15iterator_traitsISH_E10value_typeET2_T3_PNSI_ISN_E10value_typeET4_jRbjT5_ST_jjP12ihipStream_tbEUlT_E_NS1_11comp_targetILNS1_3genE5ELNS1_11target_archE942ELNS1_3gpuE9ELNS1_3repE0EEENS1_30default_config_static_selectorELNS0_4arch9wavefront6targetE0EEEvSH_: ; @_ZN7rocprim17ROCPRIM_400000_NS6detail17trampoline_kernelINS0_14default_configENS1_36segmented_radix_sort_config_selectorIllEEZNS1_25segmented_radix_sort_implIS3_Lb1EPKlPlS8_S9_N2at6native12_GLOBAL__N_18offset_tEEE10hipError_tPvRmT1_PNSt15iterator_traitsISH_E10value_typeET2_T3_PNSI_ISN_E10value_typeET4_jRbjT5_ST_jjP12ihipStream_tbEUlT_E_NS1_11comp_targetILNS1_3genE5ELNS1_11target_archE942ELNS1_3gpuE9ELNS1_3repE0EEENS1_30default_config_static_selectorELNS0_4arch9wavefront6targetE0EEEvSH_
; %bb.0:
	.section	.rodata,"a",@progbits
	.p2align	6, 0x0
	.amdhsa_kernel _ZN7rocprim17ROCPRIM_400000_NS6detail17trampoline_kernelINS0_14default_configENS1_36segmented_radix_sort_config_selectorIllEEZNS1_25segmented_radix_sort_implIS3_Lb1EPKlPlS8_S9_N2at6native12_GLOBAL__N_18offset_tEEE10hipError_tPvRmT1_PNSt15iterator_traitsISH_E10value_typeET2_T3_PNSI_ISN_E10value_typeET4_jRbjT5_ST_jjP12ihipStream_tbEUlT_E_NS1_11comp_targetILNS1_3genE5ELNS1_11target_archE942ELNS1_3gpuE9ELNS1_3repE0EEENS1_30default_config_static_selectorELNS0_4arch9wavefront6targetE0EEEvSH_
		.amdhsa_group_segment_fixed_size 0
		.amdhsa_private_segment_fixed_size 0
		.amdhsa_kernarg_size 96
		.amdhsa_user_sgpr_count 2
		.amdhsa_user_sgpr_dispatch_ptr 0
		.amdhsa_user_sgpr_queue_ptr 0
		.amdhsa_user_sgpr_kernarg_segment_ptr 1
		.amdhsa_user_sgpr_dispatch_id 0
		.amdhsa_user_sgpr_private_segment_size 0
		.amdhsa_wavefront_size32 1
		.amdhsa_uses_dynamic_stack 0
		.amdhsa_enable_private_segment 0
		.amdhsa_system_sgpr_workgroup_id_x 1
		.amdhsa_system_sgpr_workgroup_id_y 0
		.amdhsa_system_sgpr_workgroup_id_z 0
		.amdhsa_system_sgpr_workgroup_info 0
		.amdhsa_system_vgpr_workitem_id 0
		.amdhsa_next_free_vgpr 1
		.amdhsa_next_free_sgpr 1
		.amdhsa_reserve_vcc 0
		.amdhsa_float_round_mode_32 0
		.amdhsa_float_round_mode_16_64 0
		.amdhsa_float_denorm_mode_32 3
		.amdhsa_float_denorm_mode_16_64 3
		.amdhsa_fp16_overflow 0
		.amdhsa_workgroup_processor_mode 1
		.amdhsa_memory_ordered 1
		.amdhsa_forward_progress 1
		.amdhsa_inst_pref_size 0
		.amdhsa_round_robin_scheduling 0
		.amdhsa_exception_fp_ieee_invalid_op 0
		.amdhsa_exception_fp_denorm_src 0
		.amdhsa_exception_fp_ieee_div_zero 0
		.amdhsa_exception_fp_ieee_overflow 0
		.amdhsa_exception_fp_ieee_underflow 0
		.amdhsa_exception_fp_ieee_inexact 0
		.amdhsa_exception_int_div_zero 0
	.end_amdhsa_kernel
	.section	.text._ZN7rocprim17ROCPRIM_400000_NS6detail17trampoline_kernelINS0_14default_configENS1_36segmented_radix_sort_config_selectorIllEEZNS1_25segmented_radix_sort_implIS3_Lb1EPKlPlS8_S9_N2at6native12_GLOBAL__N_18offset_tEEE10hipError_tPvRmT1_PNSt15iterator_traitsISH_E10value_typeET2_T3_PNSI_ISN_E10value_typeET4_jRbjT5_ST_jjP12ihipStream_tbEUlT_E_NS1_11comp_targetILNS1_3genE5ELNS1_11target_archE942ELNS1_3gpuE9ELNS1_3repE0EEENS1_30default_config_static_selectorELNS0_4arch9wavefront6targetE0EEEvSH_,"axG",@progbits,_ZN7rocprim17ROCPRIM_400000_NS6detail17trampoline_kernelINS0_14default_configENS1_36segmented_radix_sort_config_selectorIllEEZNS1_25segmented_radix_sort_implIS3_Lb1EPKlPlS8_S9_N2at6native12_GLOBAL__N_18offset_tEEE10hipError_tPvRmT1_PNSt15iterator_traitsISH_E10value_typeET2_T3_PNSI_ISN_E10value_typeET4_jRbjT5_ST_jjP12ihipStream_tbEUlT_E_NS1_11comp_targetILNS1_3genE5ELNS1_11target_archE942ELNS1_3gpuE9ELNS1_3repE0EEENS1_30default_config_static_selectorELNS0_4arch9wavefront6targetE0EEEvSH_,comdat
.Lfunc_end705:
	.size	_ZN7rocprim17ROCPRIM_400000_NS6detail17trampoline_kernelINS0_14default_configENS1_36segmented_radix_sort_config_selectorIllEEZNS1_25segmented_radix_sort_implIS3_Lb1EPKlPlS8_S9_N2at6native12_GLOBAL__N_18offset_tEEE10hipError_tPvRmT1_PNSt15iterator_traitsISH_E10value_typeET2_T3_PNSI_ISN_E10value_typeET4_jRbjT5_ST_jjP12ihipStream_tbEUlT_E_NS1_11comp_targetILNS1_3genE5ELNS1_11target_archE942ELNS1_3gpuE9ELNS1_3repE0EEENS1_30default_config_static_selectorELNS0_4arch9wavefront6targetE0EEEvSH_, .Lfunc_end705-_ZN7rocprim17ROCPRIM_400000_NS6detail17trampoline_kernelINS0_14default_configENS1_36segmented_radix_sort_config_selectorIllEEZNS1_25segmented_radix_sort_implIS3_Lb1EPKlPlS8_S9_N2at6native12_GLOBAL__N_18offset_tEEE10hipError_tPvRmT1_PNSt15iterator_traitsISH_E10value_typeET2_T3_PNSI_ISN_E10value_typeET4_jRbjT5_ST_jjP12ihipStream_tbEUlT_E_NS1_11comp_targetILNS1_3genE5ELNS1_11target_archE942ELNS1_3gpuE9ELNS1_3repE0EEENS1_30default_config_static_selectorELNS0_4arch9wavefront6targetE0EEEvSH_
                                        ; -- End function
	.set _ZN7rocprim17ROCPRIM_400000_NS6detail17trampoline_kernelINS0_14default_configENS1_36segmented_radix_sort_config_selectorIllEEZNS1_25segmented_radix_sort_implIS3_Lb1EPKlPlS8_S9_N2at6native12_GLOBAL__N_18offset_tEEE10hipError_tPvRmT1_PNSt15iterator_traitsISH_E10value_typeET2_T3_PNSI_ISN_E10value_typeET4_jRbjT5_ST_jjP12ihipStream_tbEUlT_E_NS1_11comp_targetILNS1_3genE5ELNS1_11target_archE942ELNS1_3gpuE9ELNS1_3repE0EEENS1_30default_config_static_selectorELNS0_4arch9wavefront6targetE0EEEvSH_.num_vgpr, 0
	.set _ZN7rocprim17ROCPRIM_400000_NS6detail17trampoline_kernelINS0_14default_configENS1_36segmented_radix_sort_config_selectorIllEEZNS1_25segmented_radix_sort_implIS3_Lb1EPKlPlS8_S9_N2at6native12_GLOBAL__N_18offset_tEEE10hipError_tPvRmT1_PNSt15iterator_traitsISH_E10value_typeET2_T3_PNSI_ISN_E10value_typeET4_jRbjT5_ST_jjP12ihipStream_tbEUlT_E_NS1_11comp_targetILNS1_3genE5ELNS1_11target_archE942ELNS1_3gpuE9ELNS1_3repE0EEENS1_30default_config_static_selectorELNS0_4arch9wavefront6targetE0EEEvSH_.num_agpr, 0
	.set _ZN7rocprim17ROCPRIM_400000_NS6detail17trampoline_kernelINS0_14default_configENS1_36segmented_radix_sort_config_selectorIllEEZNS1_25segmented_radix_sort_implIS3_Lb1EPKlPlS8_S9_N2at6native12_GLOBAL__N_18offset_tEEE10hipError_tPvRmT1_PNSt15iterator_traitsISH_E10value_typeET2_T3_PNSI_ISN_E10value_typeET4_jRbjT5_ST_jjP12ihipStream_tbEUlT_E_NS1_11comp_targetILNS1_3genE5ELNS1_11target_archE942ELNS1_3gpuE9ELNS1_3repE0EEENS1_30default_config_static_selectorELNS0_4arch9wavefront6targetE0EEEvSH_.numbered_sgpr, 0
	.set _ZN7rocprim17ROCPRIM_400000_NS6detail17trampoline_kernelINS0_14default_configENS1_36segmented_radix_sort_config_selectorIllEEZNS1_25segmented_radix_sort_implIS3_Lb1EPKlPlS8_S9_N2at6native12_GLOBAL__N_18offset_tEEE10hipError_tPvRmT1_PNSt15iterator_traitsISH_E10value_typeET2_T3_PNSI_ISN_E10value_typeET4_jRbjT5_ST_jjP12ihipStream_tbEUlT_E_NS1_11comp_targetILNS1_3genE5ELNS1_11target_archE942ELNS1_3gpuE9ELNS1_3repE0EEENS1_30default_config_static_selectorELNS0_4arch9wavefront6targetE0EEEvSH_.num_named_barrier, 0
	.set _ZN7rocprim17ROCPRIM_400000_NS6detail17trampoline_kernelINS0_14default_configENS1_36segmented_radix_sort_config_selectorIllEEZNS1_25segmented_radix_sort_implIS3_Lb1EPKlPlS8_S9_N2at6native12_GLOBAL__N_18offset_tEEE10hipError_tPvRmT1_PNSt15iterator_traitsISH_E10value_typeET2_T3_PNSI_ISN_E10value_typeET4_jRbjT5_ST_jjP12ihipStream_tbEUlT_E_NS1_11comp_targetILNS1_3genE5ELNS1_11target_archE942ELNS1_3gpuE9ELNS1_3repE0EEENS1_30default_config_static_selectorELNS0_4arch9wavefront6targetE0EEEvSH_.private_seg_size, 0
	.set _ZN7rocprim17ROCPRIM_400000_NS6detail17trampoline_kernelINS0_14default_configENS1_36segmented_radix_sort_config_selectorIllEEZNS1_25segmented_radix_sort_implIS3_Lb1EPKlPlS8_S9_N2at6native12_GLOBAL__N_18offset_tEEE10hipError_tPvRmT1_PNSt15iterator_traitsISH_E10value_typeET2_T3_PNSI_ISN_E10value_typeET4_jRbjT5_ST_jjP12ihipStream_tbEUlT_E_NS1_11comp_targetILNS1_3genE5ELNS1_11target_archE942ELNS1_3gpuE9ELNS1_3repE0EEENS1_30default_config_static_selectorELNS0_4arch9wavefront6targetE0EEEvSH_.uses_vcc, 0
	.set _ZN7rocprim17ROCPRIM_400000_NS6detail17trampoline_kernelINS0_14default_configENS1_36segmented_radix_sort_config_selectorIllEEZNS1_25segmented_radix_sort_implIS3_Lb1EPKlPlS8_S9_N2at6native12_GLOBAL__N_18offset_tEEE10hipError_tPvRmT1_PNSt15iterator_traitsISH_E10value_typeET2_T3_PNSI_ISN_E10value_typeET4_jRbjT5_ST_jjP12ihipStream_tbEUlT_E_NS1_11comp_targetILNS1_3genE5ELNS1_11target_archE942ELNS1_3gpuE9ELNS1_3repE0EEENS1_30default_config_static_selectorELNS0_4arch9wavefront6targetE0EEEvSH_.uses_flat_scratch, 0
	.set _ZN7rocprim17ROCPRIM_400000_NS6detail17trampoline_kernelINS0_14default_configENS1_36segmented_radix_sort_config_selectorIllEEZNS1_25segmented_radix_sort_implIS3_Lb1EPKlPlS8_S9_N2at6native12_GLOBAL__N_18offset_tEEE10hipError_tPvRmT1_PNSt15iterator_traitsISH_E10value_typeET2_T3_PNSI_ISN_E10value_typeET4_jRbjT5_ST_jjP12ihipStream_tbEUlT_E_NS1_11comp_targetILNS1_3genE5ELNS1_11target_archE942ELNS1_3gpuE9ELNS1_3repE0EEENS1_30default_config_static_selectorELNS0_4arch9wavefront6targetE0EEEvSH_.has_dyn_sized_stack, 0
	.set _ZN7rocprim17ROCPRIM_400000_NS6detail17trampoline_kernelINS0_14default_configENS1_36segmented_radix_sort_config_selectorIllEEZNS1_25segmented_radix_sort_implIS3_Lb1EPKlPlS8_S9_N2at6native12_GLOBAL__N_18offset_tEEE10hipError_tPvRmT1_PNSt15iterator_traitsISH_E10value_typeET2_T3_PNSI_ISN_E10value_typeET4_jRbjT5_ST_jjP12ihipStream_tbEUlT_E_NS1_11comp_targetILNS1_3genE5ELNS1_11target_archE942ELNS1_3gpuE9ELNS1_3repE0EEENS1_30default_config_static_selectorELNS0_4arch9wavefront6targetE0EEEvSH_.has_recursion, 0
	.set _ZN7rocprim17ROCPRIM_400000_NS6detail17trampoline_kernelINS0_14default_configENS1_36segmented_radix_sort_config_selectorIllEEZNS1_25segmented_radix_sort_implIS3_Lb1EPKlPlS8_S9_N2at6native12_GLOBAL__N_18offset_tEEE10hipError_tPvRmT1_PNSt15iterator_traitsISH_E10value_typeET2_T3_PNSI_ISN_E10value_typeET4_jRbjT5_ST_jjP12ihipStream_tbEUlT_E_NS1_11comp_targetILNS1_3genE5ELNS1_11target_archE942ELNS1_3gpuE9ELNS1_3repE0EEENS1_30default_config_static_selectorELNS0_4arch9wavefront6targetE0EEEvSH_.has_indirect_call, 0
	.section	.AMDGPU.csdata,"",@progbits
; Kernel info:
; codeLenInByte = 0
; TotalNumSgprs: 0
; NumVgprs: 0
; ScratchSize: 0
; MemoryBound: 0
; FloatMode: 240
; IeeeMode: 1
; LDSByteSize: 0 bytes/workgroup (compile time only)
; SGPRBlocks: 0
; VGPRBlocks: 0
; NumSGPRsForWavesPerEU: 1
; NumVGPRsForWavesPerEU: 1
; Occupancy: 16
; WaveLimiterHint : 0
; COMPUTE_PGM_RSRC2:SCRATCH_EN: 0
; COMPUTE_PGM_RSRC2:USER_SGPR: 2
; COMPUTE_PGM_RSRC2:TRAP_HANDLER: 0
; COMPUTE_PGM_RSRC2:TGID_X_EN: 1
; COMPUTE_PGM_RSRC2:TGID_Y_EN: 0
; COMPUTE_PGM_RSRC2:TGID_Z_EN: 0
; COMPUTE_PGM_RSRC2:TIDIG_COMP_CNT: 0
	.section	.text._ZN7rocprim17ROCPRIM_400000_NS6detail17trampoline_kernelINS0_14default_configENS1_36segmented_radix_sort_config_selectorIllEEZNS1_25segmented_radix_sort_implIS3_Lb1EPKlPlS8_S9_N2at6native12_GLOBAL__N_18offset_tEEE10hipError_tPvRmT1_PNSt15iterator_traitsISH_E10value_typeET2_T3_PNSI_ISN_E10value_typeET4_jRbjT5_ST_jjP12ihipStream_tbEUlT_E_NS1_11comp_targetILNS1_3genE4ELNS1_11target_archE910ELNS1_3gpuE8ELNS1_3repE0EEENS1_30default_config_static_selectorELNS0_4arch9wavefront6targetE0EEEvSH_,"axG",@progbits,_ZN7rocprim17ROCPRIM_400000_NS6detail17trampoline_kernelINS0_14default_configENS1_36segmented_radix_sort_config_selectorIllEEZNS1_25segmented_radix_sort_implIS3_Lb1EPKlPlS8_S9_N2at6native12_GLOBAL__N_18offset_tEEE10hipError_tPvRmT1_PNSt15iterator_traitsISH_E10value_typeET2_T3_PNSI_ISN_E10value_typeET4_jRbjT5_ST_jjP12ihipStream_tbEUlT_E_NS1_11comp_targetILNS1_3genE4ELNS1_11target_archE910ELNS1_3gpuE8ELNS1_3repE0EEENS1_30default_config_static_selectorELNS0_4arch9wavefront6targetE0EEEvSH_,comdat
	.globl	_ZN7rocprim17ROCPRIM_400000_NS6detail17trampoline_kernelINS0_14default_configENS1_36segmented_radix_sort_config_selectorIllEEZNS1_25segmented_radix_sort_implIS3_Lb1EPKlPlS8_S9_N2at6native12_GLOBAL__N_18offset_tEEE10hipError_tPvRmT1_PNSt15iterator_traitsISH_E10value_typeET2_T3_PNSI_ISN_E10value_typeET4_jRbjT5_ST_jjP12ihipStream_tbEUlT_E_NS1_11comp_targetILNS1_3genE4ELNS1_11target_archE910ELNS1_3gpuE8ELNS1_3repE0EEENS1_30default_config_static_selectorELNS0_4arch9wavefront6targetE0EEEvSH_ ; -- Begin function _ZN7rocprim17ROCPRIM_400000_NS6detail17trampoline_kernelINS0_14default_configENS1_36segmented_radix_sort_config_selectorIllEEZNS1_25segmented_radix_sort_implIS3_Lb1EPKlPlS8_S9_N2at6native12_GLOBAL__N_18offset_tEEE10hipError_tPvRmT1_PNSt15iterator_traitsISH_E10value_typeET2_T3_PNSI_ISN_E10value_typeET4_jRbjT5_ST_jjP12ihipStream_tbEUlT_E_NS1_11comp_targetILNS1_3genE4ELNS1_11target_archE910ELNS1_3gpuE8ELNS1_3repE0EEENS1_30default_config_static_selectorELNS0_4arch9wavefront6targetE0EEEvSH_
	.p2align	8
	.type	_ZN7rocprim17ROCPRIM_400000_NS6detail17trampoline_kernelINS0_14default_configENS1_36segmented_radix_sort_config_selectorIllEEZNS1_25segmented_radix_sort_implIS3_Lb1EPKlPlS8_S9_N2at6native12_GLOBAL__N_18offset_tEEE10hipError_tPvRmT1_PNSt15iterator_traitsISH_E10value_typeET2_T3_PNSI_ISN_E10value_typeET4_jRbjT5_ST_jjP12ihipStream_tbEUlT_E_NS1_11comp_targetILNS1_3genE4ELNS1_11target_archE910ELNS1_3gpuE8ELNS1_3repE0EEENS1_30default_config_static_selectorELNS0_4arch9wavefront6targetE0EEEvSH_,@function
_ZN7rocprim17ROCPRIM_400000_NS6detail17trampoline_kernelINS0_14default_configENS1_36segmented_radix_sort_config_selectorIllEEZNS1_25segmented_radix_sort_implIS3_Lb1EPKlPlS8_S9_N2at6native12_GLOBAL__N_18offset_tEEE10hipError_tPvRmT1_PNSt15iterator_traitsISH_E10value_typeET2_T3_PNSI_ISN_E10value_typeET4_jRbjT5_ST_jjP12ihipStream_tbEUlT_E_NS1_11comp_targetILNS1_3genE4ELNS1_11target_archE910ELNS1_3gpuE8ELNS1_3repE0EEENS1_30default_config_static_selectorELNS0_4arch9wavefront6targetE0EEEvSH_: ; @_ZN7rocprim17ROCPRIM_400000_NS6detail17trampoline_kernelINS0_14default_configENS1_36segmented_radix_sort_config_selectorIllEEZNS1_25segmented_radix_sort_implIS3_Lb1EPKlPlS8_S9_N2at6native12_GLOBAL__N_18offset_tEEE10hipError_tPvRmT1_PNSt15iterator_traitsISH_E10value_typeET2_T3_PNSI_ISN_E10value_typeET4_jRbjT5_ST_jjP12ihipStream_tbEUlT_E_NS1_11comp_targetILNS1_3genE4ELNS1_11target_archE910ELNS1_3gpuE8ELNS1_3repE0EEENS1_30default_config_static_selectorELNS0_4arch9wavefront6targetE0EEEvSH_
; %bb.0:
	.section	.rodata,"a",@progbits
	.p2align	6, 0x0
	.amdhsa_kernel _ZN7rocprim17ROCPRIM_400000_NS6detail17trampoline_kernelINS0_14default_configENS1_36segmented_radix_sort_config_selectorIllEEZNS1_25segmented_radix_sort_implIS3_Lb1EPKlPlS8_S9_N2at6native12_GLOBAL__N_18offset_tEEE10hipError_tPvRmT1_PNSt15iterator_traitsISH_E10value_typeET2_T3_PNSI_ISN_E10value_typeET4_jRbjT5_ST_jjP12ihipStream_tbEUlT_E_NS1_11comp_targetILNS1_3genE4ELNS1_11target_archE910ELNS1_3gpuE8ELNS1_3repE0EEENS1_30default_config_static_selectorELNS0_4arch9wavefront6targetE0EEEvSH_
		.amdhsa_group_segment_fixed_size 0
		.amdhsa_private_segment_fixed_size 0
		.amdhsa_kernarg_size 96
		.amdhsa_user_sgpr_count 2
		.amdhsa_user_sgpr_dispatch_ptr 0
		.amdhsa_user_sgpr_queue_ptr 0
		.amdhsa_user_sgpr_kernarg_segment_ptr 1
		.amdhsa_user_sgpr_dispatch_id 0
		.amdhsa_user_sgpr_private_segment_size 0
		.amdhsa_wavefront_size32 1
		.amdhsa_uses_dynamic_stack 0
		.amdhsa_enable_private_segment 0
		.amdhsa_system_sgpr_workgroup_id_x 1
		.amdhsa_system_sgpr_workgroup_id_y 0
		.amdhsa_system_sgpr_workgroup_id_z 0
		.amdhsa_system_sgpr_workgroup_info 0
		.amdhsa_system_vgpr_workitem_id 0
		.amdhsa_next_free_vgpr 1
		.amdhsa_next_free_sgpr 1
		.amdhsa_reserve_vcc 0
		.amdhsa_float_round_mode_32 0
		.amdhsa_float_round_mode_16_64 0
		.amdhsa_float_denorm_mode_32 3
		.amdhsa_float_denorm_mode_16_64 3
		.amdhsa_fp16_overflow 0
		.amdhsa_workgroup_processor_mode 1
		.amdhsa_memory_ordered 1
		.amdhsa_forward_progress 1
		.amdhsa_inst_pref_size 0
		.amdhsa_round_robin_scheduling 0
		.amdhsa_exception_fp_ieee_invalid_op 0
		.amdhsa_exception_fp_denorm_src 0
		.amdhsa_exception_fp_ieee_div_zero 0
		.amdhsa_exception_fp_ieee_overflow 0
		.amdhsa_exception_fp_ieee_underflow 0
		.amdhsa_exception_fp_ieee_inexact 0
		.amdhsa_exception_int_div_zero 0
	.end_amdhsa_kernel
	.section	.text._ZN7rocprim17ROCPRIM_400000_NS6detail17trampoline_kernelINS0_14default_configENS1_36segmented_radix_sort_config_selectorIllEEZNS1_25segmented_radix_sort_implIS3_Lb1EPKlPlS8_S9_N2at6native12_GLOBAL__N_18offset_tEEE10hipError_tPvRmT1_PNSt15iterator_traitsISH_E10value_typeET2_T3_PNSI_ISN_E10value_typeET4_jRbjT5_ST_jjP12ihipStream_tbEUlT_E_NS1_11comp_targetILNS1_3genE4ELNS1_11target_archE910ELNS1_3gpuE8ELNS1_3repE0EEENS1_30default_config_static_selectorELNS0_4arch9wavefront6targetE0EEEvSH_,"axG",@progbits,_ZN7rocprim17ROCPRIM_400000_NS6detail17trampoline_kernelINS0_14default_configENS1_36segmented_radix_sort_config_selectorIllEEZNS1_25segmented_radix_sort_implIS3_Lb1EPKlPlS8_S9_N2at6native12_GLOBAL__N_18offset_tEEE10hipError_tPvRmT1_PNSt15iterator_traitsISH_E10value_typeET2_T3_PNSI_ISN_E10value_typeET4_jRbjT5_ST_jjP12ihipStream_tbEUlT_E_NS1_11comp_targetILNS1_3genE4ELNS1_11target_archE910ELNS1_3gpuE8ELNS1_3repE0EEENS1_30default_config_static_selectorELNS0_4arch9wavefront6targetE0EEEvSH_,comdat
.Lfunc_end706:
	.size	_ZN7rocprim17ROCPRIM_400000_NS6detail17trampoline_kernelINS0_14default_configENS1_36segmented_radix_sort_config_selectorIllEEZNS1_25segmented_radix_sort_implIS3_Lb1EPKlPlS8_S9_N2at6native12_GLOBAL__N_18offset_tEEE10hipError_tPvRmT1_PNSt15iterator_traitsISH_E10value_typeET2_T3_PNSI_ISN_E10value_typeET4_jRbjT5_ST_jjP12ihipStream_tbEUlT_E_NS1_11comp_targetILNS1_3genE4ELNS1_11target_archE910ELNS1_3gpuE8ELNS1_3repE0EEENS1_30default_config_static_selectorELNS0_4arch9wavefront6targetE0EEEvSH_, .Lfunc_end706-_ZN7rocprim17ROCPRIM_400000_NS6detail17trampoline_kernelINS0_14default_configENS1_36segmented_radix_sort_config_selectorIllEEZNS1_25segmented_radix_sort_implIS3_Lb1EPKlPlS8_S9_N2at6native12_GLOBAL__N_18offset_tEEE10hipError_tPvRmT1_PNSt15iterator_traitsISH_E10value_typeET2_T3_PNSI_ISN_E10value_typeET4_jRbjT5_ST_jjP12ihipStream_tbEUlT_E_NS1_11comp_targetILNS1_3genE4ELNS1_11target_archE910ELNS1_3gpuE8ELNS1_3repE0EEENS1_30default_config_static_selectorELNS0_4arch9wavefront6targetE0EEEvSH_
                                        ; -- End function
	.set _ZN7rocprim17ROCPRIM_400000_NS6detail17trampoline_kernelINS0_14default_configENS1_36segmented_radix_sort_config_selectorIllEEZNS1_25segmented_radix_sort_implIS3_Lb1EPKlPlS8_S9_N2at6native12_GLOBAL__N_18offset_tEEE10hipError_tPvRmT1_PNSt15iterator_traitsISH_E10value_typeET2_T3_PNSI_ISN_E10value_typeET4_jRbjT5_ST_jjP12ihipStream_tbEUlT_E_NS1_11comp_targetILNS1_3genE4ELNS1_11target_archE910ELNS1_3gpuE8ELNS1_3repE0EEENS1_30default_config_static_selectorELNS0_4arch9wavefront6targetE0EEEvSH_.num_vgpr, 0
	.set _ZN7rocprim17ROCPRIM_400000_NS6detail17trampoline_kernelINS0_14default_configENS1_36segmented_radix_sort_config_selectorIllEEZNS1_25segmented_radix_sort_implIS3_Lb1EPKlPlS8_S9_N2at6native12_GLOBAL__N_18offset_tEEE10hipError_tPvRmT1_PNSt15iterator_traitsISH_E10value_typeET2_T3_PNSI_ISN_E10value_typeET4_jRbjT5_ST_jjP12ihipStream_tbEUlT_E_NS1_11comp_targetILNS1_3genE4ELNS1_11target_archE910ELNS1_3gpuE8ELNS1_3repE0EEENS1_30default_config_static_selectorELNS0_4arch9wavefront6targetE0EEEvSH_.num_agpr, 0
	.set _ZN7rocprim17ROCPRIM_400000_NS6detail17trampoline_kernelINS0_14default_configENS1_36segmented_radix_sort_config_selectorIllEEZNS1_25segmented_radix_sort_implIS3_Lb1EPKlPlS8_S9_N2at6native12_GLOBAL__N_18offset_tEEE10hipError_tPvRmT1_PNSt15iterator_traitsISH_E10value_typeET2_T3_PNSI_ISN_E10value_typeET4_jRbjT5_ST_jjP12ihipStream_tbEUlT_E_NS1_11comp_targetILNS1_3genE4ELNS1_11target_archE910ELNS1_3gpuE8ELNS1_3repE0EEENS1_30default_config_static_selectorELNS0_4arch9wavefront6targetE0EEEvSH_.numbered_sgpr, 0
	.set _ZN7rocprim17ROCPRIM_400000_NS6detail17trampoline_kernelINS0_14default_configENS1_36segmented_radix_sort_config_selectorIllEEZNS1_25segmented_radix_sort_implIS3_Lb1EPKlPlS8_S9_N2at6native12_GLOBAL__N_18offset_tEEE10hipError_tPvRmT1_PNSt15iterator_traitsISH_E10value_typeET2_T3_PNSI_ISN_E10value_typeET4_jRbjT5_ST_jjP12ihipStream_tbEUlT_E_NS1_11comp_targetILNS1_3genE4ELNS1_11target_archE910ELNS1_3gpuE8ELNS1_3repE0EEENS1_30default_config_static_selectorELNS0_4arch9wavefront6targetE0EEEvSH_.num_named_barrier, 0
	.set _ZN7rocprim17ROCPRIM_400000_NS6detail17trampoline_kernelINS0_14default_configENS1_36segmented_radix_sort_config_selectorIllEEZNS1_25segmented_radix_sort_implIS3_Lb1EPKlPlS8_S9_N2at6native12_GLOBAL__N_18offset_tEEE10hipError_tPvRmT1_PNSt15iterator_traitsISH_E10value_typeET2_T3_PNSI_ISN_E10value_typeET4_jRbjT5_ST_jjP12ihipStream_tbEUlT_E_NS1_11comp_targetILNS1_3genE4ELNS1_11target_archE910ELNS1_3gpuE8ELNS1_3repE0EEENS1_30default_config_static_selectorELNS0_4arch9wavefront6targetE0EEEvSH_.private_seg_size, 0
	.set _ZN7rocprim17ROCPRIM_400000_NS6detail17trampoline_kernelINS0_14default_configENS1_36segmented_radix_sort_config_selectorIllEEZNS1_25segmented_radix_sort_implIS3_Lb1EPKlPlS8_S9_N2at6native12_GLOBAL__N_18offset_tEEE10hipError_tPvRmT1_PNSt15iterator_traitsISH_E10value_typeET2_T3_PNSI_ISN_E10value_typeET4_jRbjT5_ST_jjP12ihipStream_tbEUlT_E_NS1_11comp_targetILNS1_3genE4ELNS1_11target_archE910ELNS1_3gpuE8ELNS1_3repE0EEENS1_30default_config_static_selectorELNS0_4arch9wavefront6targetE0EEEvSH_.uses_vcc, 0
	.set _ZN7rocprim17ROCPRIM_400000_NS6detail17trampoline_kernelINS0_14default_configENS1_36segmented_radix_sort_config_selectorIllEEZNS1_25segmented_radix_sort_implIS3_Lb1EPKlPlS8_S9_N2at6native12_GLOBAL__N_18offset_tEEE10hipError_tPvRmT1_PNSt15iterator_traitsISH_E10value_typeET2_T3_PNSI_ISN_E10value_typeET4_jRbjT5_ST_jjP12ihipStream_tbEUlT_E_NS1_11comp_targetILNS1_3genE4ELNS1_11target_archE910ELNS1_3gpuE8ELNS1_3repE0EEENS1_30default_config_static_selectorELNS0_4arch9wavefront6targetE0EEEvSH_.uses_flat_scratch, 0
	.set _ZN7rocprim17ROCPRIM_400000_NS6detail17trampoline_kernelINS0_14default_configENS1_36segmented_radix_sort_config_selectorIllEEZNS1_25segmented_radix_sort_implIS3_Lb1EPKlPlS8_S9_N2at6native12_GLOBAL__N_18offset_tEEE10hipError_tPvRmT1_PNSt15iterator_traitsISH_E10value_typeET2_T3_PNSI_ISN_E10value_typeET4_jRbjT5_ST_jjP12ihipStream_tbEUlT_E_NS1_11comp_targetILNS1_3genE4ELNS1_11target_archE910ELNS1_3gpuE8ELNS1_3repE0EEENS1_30default_config_static_selectorELNS0_4arch9wavefront6targetE0EEEvSH_.has_dyn_sized_stack, 0
	.set _ZN7rocprim17ROCPRIM_400000_NS6detail17trampoline_kernelINS0_14default_configENS1_36segmented_radix_sort_config_selectorIllEEZNS1_25segmented_radix_sort_implIS3_Lb1EPKlPlS8_S9_N2at6native12_GLOBAL__N_18offset_tEEE10hipError_tPvRmT1_PNSt15iterator_traitsISH_E10value_typeET2_T3_PNSI_ISN_E10value_typeET4_jRbjT5_ST_jjP12ihipStream_tbEUlT_E_NS1_11comp_targetILNS1_3genE4ELNS1_11target_archE910ELNS1_3gpuE8ELNS1_3repE0EEENS1_30default_config_static_selectorELNS0_4arch9wavefront6targetE0EEEvSH_.has_recursion, 0
	.set _ZN7rocprim17ROCPRIM_400000_NS6detail17trampoline_kernelINS0_14default_configENS1_36segmented_radix_sort_config_selectorIllEEZNS1_25segmented_radix_sort_implIS3_Lb1EPKlPlS8_S9_N2at6native12_GLOBAL__N_18offset_tEEE10hipError_tPvRmT1_PNSt15iterator_traitsISH_E10value_typeET2_T3_PNSI_ISN_E10value_typeET4_jRbjT5_ST_jjP12ihipStream_tbEUlT_E_NS1_11comp_targetILNS1_3genE4ELNS1_11target_archE910ELNS1_3gpuE8ELNS1_3repE0EEENS1_30default_config_static_selectorELNS0_4arch9wavefront6targetE0EEEvSH_.has_indirect_call, 0
	.section	.AMDGPU.csdata,"",@progbits
; Kernel info:
; codeLenInByte = 0
; TotalNumSgprs: 0
; NumVgprs: 0
; ScratchSize: 0
; MemoryBound: 0
; FloatMode: 240
; IeeeMode: 1
; LDSByteSize: 0 bytes/workgroup (compile time only)
; SGPRBlocks: 0
; VGPRBlocks: 0
; NumSGPRsForWavesPerEU: 1
; NumVGPRsForWavesPerEU: 1
; Occupancy: 16
; WaveLimiterHint : 0
; COMPUTE_PGM_RSRC2:SCRATCH_EN: 0
; COMPUTE_PGM_RSRC2:USER_SGPR: 2
; COMPUTE_PGM_RSRC2:TRAP_HANDLER: 0
; COMPUTE_PGM_RSRC2:TGID_X_EN: 1
; COMPUTE_PGM_RSRC2:TGID_Y_EN: 0
; COMPUTE_PGM_RSRC2:TGID_Z_EN: 0
; COMPUTE_PGM_RSRC2:TIDIG_COMP_CNT: 0
	.section	.text._ZN7rocprim17ROCPRIM_400000_NS6detail17trampoline_kernelINS0_14default_configENS1_36segmented_radix_sort_config_selectorIllEEZNS1_25segmented_radix_sort_implIS3_Lb1EPKlPlS8_S9_N2at6native12_GLOBAL__N_18offset_tEEE10hipError_tPvRmT1_PNSt15iterator_traitsISH_E10value_typeET2_T3_PNSI_ISN_E10value_typeET4_jRbjT5_ST_jjP12ihipStream_tbEUlT_E_NS1_11comp_targetILNS1_3genE3ELNS1_11target_archE908ELNS1_3gpuE7ELNS1_3repE0EEENS1_30default_config_static_selectorELNS0_4arch9wavefront6targetE0EEEvSH_,"axG",@progbits,_ZN7rocprim17ROCPRIM_400000_NS6detail17trampoline_kernelINS0_14default_configENS1_36segmented_radix_sort_config_selectorIllEEZNS1_25segmented_radix_sort_implIS3_Lb1EPKlPlS8_S9_N2at6native12_GLOBAL__N_18offset_tEEE10hipError_tPvRmT1_PNSt15iterator_traitsISH_E10value_typeET2_T3_PNSI_ISN_E10value_typeET4_jRbjT5_ST_jjP12ihipStream_tbEUlT_E_NS1_11comp_targetILNS1_3genE3ELNS1_11target_archE908ELNS1_3gpuE7ELNS1_3repE0EEENS1_30default_config_static_selectorELNS0_4arch9wavefront6targetE0EEEvSH_,comdat
	.globl	_ZN7rocprim17ROCPRIM_400000_NS6detail17trampoline_kernelINS0_14default_configENS1_36segmented_radix_sort_config_selectorIllEEZNS1_25segmented_radix_sort_implIS3_Lb1EPKlPlS8_S9_N2at6native12_GLOBAL__N_18offset_tEEE10hipError_tPvRmT1_PNSt15iterator_traitsISH_E10value_typeET2_T3_PNSI_ISN_E10value_typeET4_jRbjT5_ST_jjP12ihipStream_tbEUlT_E_NS1_11comp_targetILNS1_3genE3ELNS1_11target_archE908ELNS1_3gpuE7ELNS1_3repE0EEENS1_30default_config_static_selectorELNS0_4arch9wavefront6targetE0EEEvSH_ ; -- Begin function _ZN7rocprim17ROCPRIM_400000_NS6detail17trampoline_kernelINS0_14default_configENS1_36segmented_radix_sort_config_selectorIllEEZNS1_25segmented_radix_sort_implIS3_Lb1EPKlPlS8_S9_N2at6native12_GLOBAL__N_18offset_tEEE10hipError_tPvRmT1_PNSt15iterator_traitsISH_E10value_typeET2_T3_PNSI_ISN_E10value_typeET4_jRbjT5_ST_jjP12ihipStream_tbEUlT_E_NS1_11comp_targetILNS1_3genE3ELNS1_11target_archE908ELNS1_3gpuE7ELNS1_3repE0EEENS1_30default_config_static_selectorELNS0_4arch9wavefront6targetE0EEEvSH_
	.p2align	8
	.type	_ZN7rocprim17ROCPRIM_400000_NS6detail17trampoline_kernelINS0_14default_configENS1_36segmented_radix_sort_config_selectorIllEEZNS1_25segmented_radix_sort_implIS3_Lb1EPKlPlS8_S9_N2at6native12_GLOBAL__N_18offset_tEEE10hipError_tPvRmT1_PNSt15iterator_traitsISH_E10value_typeET2_T3_PNSI_ISN_E10value_typeET4_jRbjT5_ST_jjP12ihipStream_tbEUlT_E_NS1_11comp_targetILNS1_3genE3ELNS1_11target_archE908ELNS1_3gpuE7ELNS1_3repE0EEENS1_30default_config_static_selectorELNS0_4arch9wavefront6targetE0EEEvSH_,@function
_ZN7rocprim17ROCPRIM_400000_NS6detail17trampoline_kernelINS0_14default_configENS1_36segmented_radix_sort_config_selectorIllEEZNS1_25segmented_radix_sort_implIS3_Lb1EPKlPlS8_S9_N2at6native12_GLOBAL__N_18offset_tEEE10hipError_tPvRmT1_PNSt15iterator_traitsISH_E10value_typeET2_T3_PNSI_ISN_E10value_typeET4_jRbjT5_ST_jjP12ihipStream_tbEUlT_E_NS1_11comp_targetILNS1_3genE3ELNS1_11target_archE908ELNS1_3gpuE7ELNS1_3repE0EEENS1_30default_config_static_selectorELNS0_4arch9wavefront6targetE0EEEvSH_: ; @_ZN7rocprim17ROCPRIM_400000_NS6detail17trampoline_kernelINS0_14default_configENS1_36segmented_radix_sort_config_selectorIllEEZNS1_25segmented_radix_sort_implIS3_Lb1EPKlPlS8_S9_N2at6native12_GLOBAL__N_18offset_tEEE10hipError_tPvRmT1_PNSt15iterator_traitsISH_E10value_typeET2_T3_PNSI_ISN_E10value_typeET4_jRbjT5_ST_jjP12ihipStream_tbEUlT_E_NS1_11comp_targetILNS1_3genE3ELNS1_11target_archE908ELNS1_3gpuE7ELNS1_3repE0EEENS1_30default_config_static_selectorELNS0_4arch9wavefront6targetE0EEEvSH_
; %bb.0:
	.section	.rodata,"a",@progbits
	.p2align	6, 0x0
	.amdhsa_kernel _ZN7rocprim17ROCPRIM_400000_NS6detail17trampoline_kernelINS0_14default_configENS1_36segmented_radix_sort_config_selectorIllEEZNS1_25segmented_radix_sort_implIS3_Lb1EPKlPlS8_S9_N2at6native12_GLOBAL__N_18offset_tEEE10hipError_tPvRmT1_PNSt15iterator_traitsISH_E10value_typeET2_T3_PNSI_ISN_E10value_typeET4_jRbjT5_ST_jjP12ihipStream_tbEUlT_E_NS1_11comp_targetILNS1_3genE3ELNS1_11target_archE908ELNS1_3gpuE7ELNS1_3repE0EEENS1_30default_config_static_selectorELNS0_4arch9wavefront6targetE0EEEvSH_
		.amdhsa_group_segment_fixed_size 0
		.amdhsa_private_segment_fixed_size 0
		.amdhsa_kernarg_size 96
		.amdhsa_user_sgpr_count 2
		.amdhsa_user_sgpr_dispatch_ptr 0
		.amdhsa_user_sgpr_queue_ptr 0
		.amdhsa_user_sgpr_kernarg_segment_ptr 1
		.amdhsa_user_sgpr_dispatch_id 0
		.amdhsa_user_sgpr_private_segment_size 0
		.amdhsa_wavefront_size32 1
		.amdhsa_uses_dynamic_stack 0
		.amdhsa_enable_private_segment 0
		.amdhsa_system_sgpr_workgroup_id_x 1
		.amdhsa_system_sgpr_workgroup_id_y 0
		.amdhsa_system_sgpr_workgroup_id_z 0
		.amdhsa_system_sgpr_workgroup_info 0
		.amdhsa_system_vgpr_workitem_id 0
		.amdhsa_next_free_vgpr 1
		.amdhsa_next_free_sgpr 1
		.amdhsa_reserve_vcc 0
		.amdhsa_float_round_mode_32 0
		.amdhsa_float_round_mode_16_64 0
		.amdhsa_float_denorm_mode_32 3
		.amdhsa_float_denorm_mode_16_64 3
		.amdhsa_fp16_overflow 0
		.amdhsa_workgroup_processor_mode 1
		.amdhsa_memory_ordered 1
		.amdhsa_forward_progress 1
		.amdhsa_inst_pref_size 0
		.amdhsa_round_robin_scheduling 0
		.amdhsa_exception_fp_ieee_invalid_op 0
		.amdhsa_exception_fp_denorm_src 0
		.amdhsa_exception_fp_ieee_div_zero 0
		.amdhsa_exception_fp_ieee_overflow 0
		.amdhsa_exception_fp_ieee_underflow 0
		.amdhsa_exception_fp_ieee_inexact 0
		.amdhsa_exception_int_div_zero 0
	.end_amdhsa_kernel
	.section	.text._ZN7rocprim17ROCPRIM_400000_NS6detail17trampoline_kernelINS0_14default_configENS1_36segmented_radix_sort_config_selectorIllEEZNS1_25segmented_radix_sort_implIS3_Lb1EPKlPlS8_S9_N2at6native12_GLOBAL__N_18offset_tEEE10hipError_tPvRmT1_PNSt15iterator_traitsISH_E10value_typeET2_T3_PNSI_ISN_E10value_typeET4_jRbjT5_ST_jjP12ihipStream_tbEUlT_E_NS1_11comp_targetILNS1_3genE3ELNS1_11target_archE908ELNS1_3gpuE7ELNS1_3repE0EEENS1_30default_config_static_selectorELNS0_4arch9wavefront6targetE0EEEvSH_,"axG",@progbits,_ZN7rocprim17ROCPRIM_400000_NS6detail17trampoline_kernelINS0_14default_configENS1_36segmented_radix_sort_config_selectorIllEEZNS1_25segmented_radix_sort_implIS3_Lb1EPKlPlS8_S9_N2at6native12_GLOBAL__N_18offset_tEEE10hipError_tPvRmT1_PNSt15iterator_traitsISH_E10value_typeET2_T3_PNSI_ISN_E10value_typeET4_jRbjT5_ST_jjP12ihipStream_tbEUlT_E_NS1_11comp_targetILNS1_3genE3ELNS1_11target_archE908ELNS1_3gpuE7ELNS1_3repE0EEENS1_30default_config_static_selectorELNS0_4arch9wavefront6targetE0EEEvSH_,comdat
.Lfunc_end707:
	.size	_ZN7rocprim17ROCPRIM_400000_NS6detail17trampoline_kernelINS0_14default_configENS1_36segmented_radix_sort_config_selectorIllEEZNS1_25segmented_radix_sort_implIS3_Lb1EPKlPlS8_S9_N2at6native12_GLOBAL__N_18offset_tEEE10hipError_tPvRmT1_PNSt15iterator_traitsISH_E10value_typeET2_T3_PNSI_ISN_E10value_typeET4_jRbjT5_ST_jjP12ihipStream_tbEUlT_E_NS1_11comp_targetILNS1_3genE3ELNS1_11target_archE908ELNS1_3gpuE7ELNS1_3repE0EEENS1_30default_config_static_selectorELNS0_4arch9wavefront6targetE0EEEvSH_, .Lfunc_end707-_ZN7rocprim17ROCPRIM_400000_NS6detail17trampoline_kernelINS0_14default_configENS1_36segmented_radix_sort_config_selectorIllEEZNS1_25segmented_radix_sort_implIS3_Lb1EPKlPlS8_S9_N2at6native12_GLOBAL__N_18offset_tEEE10hipError_tPvRmT1_PNSt15iterator_traitsISH_E10value_typeET2_T3_PNSI_ISN_E10value_typeET4_jRbjT5_ST_jjP12ihipStream_tbEUlT_E_NS1_11comp_targetILNS1_3genE3ELNS1_11target_archE908ELNS1_3gpuE7ELNS1_3repE0EEENS1_30default_config_static_selectorELNS0_4arch9wavefront6targetE0EEEvSH_
                                        ; -- End function
	.set _ZN7rocprim17ROCPRIM_400000_NS6detail17trampoline_kernelINS0_14default_configENS1_36segmented_radix_sort_config_selectorIllEEZNS1_25segmented_radix_sort_implIS3_Lb1EPKlPlS8_S9_N2at6native12_GLOBAL__N_18offset_tEEE10hipError_tPvRmT1_PNSt15iterator_traitsISH_E10value_typeET2_T3_PNSI_ISN_E10value_typeET4_jRbjT5_ST_jjP12ihipStream_tbEUlT_E_NS1_11comp_targetILNS1_3genE3ELNS1_11target_archE908ELNS1_3gpuE7ELNS1_3repE0EEENS1_30default_config_static_selectorELNS0_4arch9wavefront6targetE0EEEvSH_.num_vgpr, 0
	.set _ZN7rocprim17ROCPRIM_400000_NS6detail17trampoline_kernelINS0_14default_configENS1_36segmented_radix_sort_config_selectorIllEEZNS1_25segmented_radix_sort_implIS3_Lb1EPKlPlS8_S9_N2at6native12_GLOBAL__N_18offset_tEEE10hipError_tPvRmT1_PNSt15iterator_traitsISH_E10value_typeET2_T3_PNSI_ISN_E10value_typeET4_jRbjT5_ST_jjP12ihipStream_tbEUlT_E_NS1_11comp_targetILNS1_3genE3ELNS1_11target_archE908ELNS1_3gpuE7ELNS1_3repE0EEENS1_30default_config_static_selectorELNS0_4arch9wavefront6targetE0EEEvSH_.num_agpr, 0
	.set _ZN7rocprim17ROCPRIM_400000_NS6detail17trampoline_kernelINS0_14default_configENS1_36segmented_radix_sort_config_selectorIllEEZNS1_25segmented_radix_sort_implIS3_Lb1EPKlPlS8_S9_N2at6native12_GLOBAL__N_18offset_tEEE10hipError_tPvRmT1_PNSt15iterator_traitsISH_E10value_typeET2_T3_PNSI_ISN_E10value_typeET4_jRbjT5_ST_jjP12ihipStream_tbEUlT_E_NS1_11comp_targetILNS1_3genE3ELNS1_11target_archE908ELNS1_3gpuE7ELNS1_3repE0EEENS1_30default_config_static_selectorELNS0_4arch9wavefront6targetE0EEEvSH_.numbered_sgpr, 0
	.set _ZN7rocprim17ROCPRIM_400000_NS6detail17trampoline_kernelINS0_14default_configENS1_36segmented_radix_sort_config_selectorIllEEZNS1_25segmented_radix_sort_implIS3_Lb1EPKlPlS8_S9_N2at6native12_GLOBAL__N_18offset_tEEE10hipError_tPvRmT1_PNSt15iterator_traitsISH_E10value_typeET2_T3_PNSI_ISN_E10value_typeET4_jRbjT5_ST_jjP12ihipStream_tbEUlT_E_NS1_11comp_targetILNS1_3genE3ELNS1_11target_archE908ELNS1_3gpuE7ELNS1_3repE0EEENS1_30default_config_static_selectorELNS0_4arch9wavefront6targetE0EEEvSH_.num_named_barrier, 0
	.set _ZN7rocprim17ROCPRIM_400000_NS6detail17trampoline_kernelINS0_14default_configENS1_36segmented_radix_sort_config_selectorIllEEZNS1_25segmented_radix_sort_implIS3_Lb1EPKlPlS8_S9_N2at6native12_GLOBAL__N_18offset_tEEE10hipError_tPvRmT1_PNSt15iterator_traitsISH_E10value_typeET2_T3_PNSI_ISN_E10value_typeET4_jRbjT5_ST_jjP12ihipStream_tbEUlT_E_NS1_11comp_targetILNS1_3genE3ELNS1_11target_archE908ELNS1_3gpuE7ELNS1_3repE0EEENS1_30default_config_static_selectorELNS0_4arch9wavefront6targetE0EEEvSH_.private_seg_size, 0
	.set _ZN7rocprim17ROCPRIM_400000_NS6detail17trampoline_kernelINS0_14default_configENS1_36segmented_radix_sort_config_selectorIllEEZNS1_25segmented_radix_sort_implIS3_Lb1EPKlPlS8_S9_N2at6native12_GLOBAL__N_18offset_tEEE10hipError_tPvRmT1_PNSt15iterator_traitsISH_E10value_typeET2_T3_PNSI_ISN_E10value_typeET4_jRbjT5_ST_jjP12ihipStream_tbEUlT_E_NS1_11comp_targetILNS1_3genE3ELNS1_11target_archE908ELNS1_3gpuE7ELNS1_3repE0EEENS1_30default_config_static_selectorELNS0_4arch9wavefront6targetE0EEEvSH_.uses_vcc, 0
	.set _ZN7rocprim17ROCPRIM_400000_NS6detail17trampoline_kernelINS0_14default_configENS1_36segmented_radix_sort_config_selectorIllEEZNS1_25segmented_radix_sort_implIS3_Lb1EPKlPlS8_S9_N2at6native12_GLOBAL__N_18offset_tEEE10hipError_tPvRmT1_PNSt15iterator_traitsISH_E10value_typeET2_T3_PNSI_ISN_E10value_typeET4_jRbjT5_ST_jjP12ihipStream_tbEUlT_E_NS1_11comp_targetILNS1_3genE3ELNS1_11target_archE908ELNS1_3gpuE7ELNS1_3repE0EEENS1_30default_config_static_selectorELNS0_4arch9wavefront6targetE0EEEvSH_.uses_flat_scratch, 0
	.set _ZN7rocprim17ROCPRIM_400000_NS6detail17trampoline_kernelINS0_14default_configENS1_36segmented_radix_sort_config_selectorIllEEZNS1_25segmented_radix_sort_implIS3_Lb1EPKlPlS8_S9_N2at6native12_GLOBAL__N_18offset_tEEE10hipError_tPvRmT1_PNSt15iterator_traitsISH_E10value_typeET2_T3_PNSI_ISN_E10value_typeET4_jRbjT5_ST_jjP12ihipStream_tbEUlT_E_NS1_11comp_targetILNS1_3genE3ELNS1_11target_archE908ELNS1_3gpuE7ELNS1_3repE0EEENS1_30default_config_static_selectorELNS0_4arch9wavefront6targetE0EEEvSH_.has_dyn_sized_stack, 0
	.set _ZN7rocprim17ROCPRIM_400000_NS6detail17trampoline_kernelINS0_14default_configENS1_36segmented_radix_sort_config_selectorIllEEZNS1_25segmented_radix_sort_implIS3_Lb1EPKlPlS8_S9_N2at6native12_GLOBAL__N_18offset_tEEE10hipError_tPvRmT1_PNSt15iterator_traitsISH_E10value_typeET2_T3_PNSI_ISN_E10value_typeET4_jRbjT5_ST_jjP12ihipStream_tbEUlT_E_NS1_11comp_targetILNS1_3genE3ELNS1_11target_archE908ELNS1_3gpuE7ELNS1_3repE0EEENS1_30default_config_static_selectorELNS0_4arch9wavefront6targetE0EEEvSH_.has_recursion, 0
	.set _ZN7rocprim17ROCPRIM_400000_NS6detail17trampoline_kernelINS0_14default_configENS1_36segmented_radix_sort_config_selectorIllEEZNS1_25segmented_radix_sort_implIS3_Lb1EPKlPlS8_S9_N2at6native12_GLOBAL__N_18offset_tEEE10hipError_tPvRmT1_PNSt15iterator_traitsISH_E10value_typeET2_T3_PNSI_ISN_E10value_typeET4_jRbjT5_ST_jjP12ihipStream_tbEUlT_E_NS1_11comp_targetILNS1_3genE3ELNS1_11target_archE908ELNS1_3gpuE7ELNS1_3repE0EEENS1_30default_config_static_selectorELNS0_4arch9wavefront6targetE0EEEvSH_.has_indirect_call, 0
	.section	.AMDGPU.csdata,"",@progbits
; Kernel info:
; codeLenInByte = 0
; TotalNumSgprs: 0
; NumVgprs: 0
; ScratchSize: 0
; MemoryBound: 0
; FloatMode: 240
; IeeeMode: 1
; LDSByteSize: 0 bytes/workgroup (compile time only)
; SGPRBlocks: 0
; VGPRBlocks: 0
; NumSGPRsForWavesPerEU: 1
; NumVGPRsForWavesPerEU: 1
; Occupancy: 16
; WaveLimiterHint : 0
; COMPUTE_PGM_RSRC2:SCRATCH_EN: 0
; COMPUTE_PGM_RSRC2:USER_SGPR: 2
; COMPUTE_PGM_RSRC2:TRAP_HANDLER: 0
; COMPUTE_PGM_RSRC2:TGID_X_EN: 1
; COMPUTE_PGM_RSRC2:TGID_Y_EN: 0
; COMPUTE_PGM_RSRC2:TGID_Z_EN: 0
; COMPUTE_PGM_RSRC2:TIDIG_COMP_CNT: 0
	.section	.text._ZN7rocprim17ROCPRIM_400000_NS6detail17trampoline_kernelINS0_14default_configENS1_36segmented_radix_sort_config_selectorIllEEZNS1_25segmented_radix_sort_implIS3_Lb1EPKlPlS8_S9_N2at6native12_GLOBAL__N_18offset_tEEE10hipError_tPvRmT1_PNSt15iterator_traitsISH_E10value_typeET2_T3_PNSI_ISN_E10value_typeET4_jRbjT5_ST_jjP12ihipStream_tbEUlT_E_NS1_11comp_targetILNS1_3genE2ELNS1_11target_archE906ELNS1_3gpuE6ELNS1_3repE0EEENS1_30default_config_static_selectorELNS0_4arch9wavefront6targetE0EEEvSH_,"axG",@progbits,_ZN7rocprim17ROCPRIM_400000_NS6detail17trampoline_kernelINS0_14default_configENS1_36segmented_radix_sort_config_selectorIllEEZNS1_25segmented_radix_sort_implIS3_Lb1EPKlPlS8_S9_N2at6native12_GLOBAL__N_18offset_tEEE10hipError_tPvRmT1_PNSt15iterator_traitsISH_E10value_typeET2_T3_PNSI_ISN_E10value_typeET4_jRbjT5_ST_jjP12ihipStream_tbEUlT_E_NS1_11comp_targetILNS1_3genE2ELNS1_11target_archE906ELNS1_3gpuE6ELNS1_3repE0EEENS1_30default_config_static_selectorELNS0_4arch9wavefront6targetE0EEEvSH_,comdat
	.globl	_ZN7rocprim17ROCPRIM_400000_NS6detail17trampoline_kernelINS0_14default_configENS1_36segmented_radix_sort_config_selectorIllEEZNS1_25segmented_radix_sort_implIS3_Lb1EPKlPlS8_S9_N2at6native12_GLOBAL__N_18offset_tEEE10hipError_tPvRmT1_PNSt15iterator_traitsISH_E10value_typeET2_T3_PNSI_ISN_E10value_typeET4_jRbjT5_ST_jjP12ihipStream_tbEUlT_E_NS1_11comp_targetILNS1_3genE2ELNS1_11target_archE906ELNS1_3gpuE6ELNS1_3repE0EEENS1_30default_config_static_selectorELNS0_4arch9wavefront6targetE0EEEvSH_ ; -- Begin function _ZN7rocprim17ROCPRIM_400000_NS6detail17trampoline_kernelINS0_14default_configENS1_36segmented_radix_sort_config_selectorIllEEZNS1_25segmented_radix_sort_implIS3_Lb1EPKlPlS8_S9_N2at6native12_GLOBAL__N_18offset_tEEE10hipError_tPvRmT1_PNSt15iterator_traitsISH_E10value_typeET2_T3_PNSI_ISN_E10value_typeET4_jRbjT5_ST_jjP12ihipStream_tbEUlT_E_NS1_11comp_targetILNS1_3genE2ELNS1_11target_archE906ELNS1_3gpuE6ELNS1_3repE0EEENS1_30default_config_static_selectorELNS0_4arch9wavefront6targetE0EEEvSH_
	.p2align	8
	.type	_ZN7rocprim17ROCPRIM_400000_NS6detail17trampoline_kernelINS0_14default_configENS1_36segmented_radix_sort_config_selectorIllEEZNS1_25segmented_radix_sort_implIS3_Lb1EPKlPlS8_S9_N2at6native12_GLOBAL__N_18offset_tEEE10hipError_tPvRmT1_PNSt15iterator_traitsISH_E10value_typeET2_T3_PNSI_ISN_E10value_typeET4_jRbjT5_ST_jjP12ihipStream_tbEUlT_E_NS1_11comp_targetILNS1_3genE2ELNS1_11target_archE906ELNS1_3gpuE6ELNS1_3repE0EEENS1_30default_config_static_selectorELNS0_4arch9wavefront6targetE0EEEvSH_,@function
_ZN7rocprim17ROCPRIM_400000_NS6detail17trampoline_kernelINS0_14default_configENS1_36segmented_radix_sort_config_selectorIllEEZNS1_25segmented_radix_sort_implIS3_Lb1EPKlPlS8_S9_N2at6native12_GLOBAL__N_18offset_tEEE10hipError_tPvRmT1_PNSt15iterator_traitsISH_E10value_typeET2_T3_PNSI_ISN_E10value_typeET4_jRbjT5_ST_jjP12ihipStream_tbEUlT_E_NS1_11comp_targetILNS1_3genE2ELNS1_11target_archE906ELNS1_3gpuE6ELNS1_3repE0EEENS1_30default_config_static_selectorELNS0_4arch9wavefront6targetE0EEEvSH_: ; @_ZN7rocprim17ROCPRIM_400000_NS6detail17trampoline_kernelINS0_14default_configENS1_36segmented_radix_sort_config_selectorIllEEZNS1_25segmented_radix_sort_implIS3_Lb1EPKlPlS8_S9_N2at6native12_GLOBAL__N_18offset_tEEE10hipError_tPvRmT1_PNSt15iterator_traitsISH_E10value_typeET2_T3_PNSI_ISN_E10value_typeET4_jRbjT5_ST_jjP12ihipStream_tbEUlT_E_NS1_11comp_targetILNS1_3genE2ELNS1_11target_archE906ELNS1_3gpuE6ELNS1_3repE0EEENS1_30default_config_static_selectorELNS0_4arch9wavefront6targetE0EEEvSH_
; %bb.0:
	.section	.rodata,"a",@progbits
	.p2align	6, 0x0
	.amdhsa_kernel _ZN7rocprim17ROCPRIM_400000_NS6detail17trampoline_kernelINS0_14default_configENS1_36segmented_radix_sort_config_selectorIllEEZNS1_25segmented_radix_sort_implIS3_Lb1EPKlPlS8_S9_N2at6native12_GLOBAL__N_18offset_tEEE10hipError_tPvRmT1_PNSt15iterator_traitsISH_E10value_typeET2_T3_PNSI_ISN_E10value_typeET4_jRbjT5_ST_jjP12ihipStream_tbEUlT_E_NS1_11comp_targetILNS1_3genE2ELNS1_11target_archE906ELNS1_3gpuE6ELNS1_3repE0EEENS1_30default_config_static_selectorELNS0_4arch9wavefront6targetE0EEEvSH_
		.amdhsa_group_segment_fixed_size 0
		.amdhsa_private_segment_fixed_size 0
		.amdhsa_kernarg_size 96
		.amdhsa_user_sgpr_count 2
		.amdhsa_user_sgpr_dispatch_ptr 0
		.amdhsa_user_sgpr_queue_ptr 0
		.amdhsa_user_sgpr_kernarg_segment_ptr 1
		.amdhsa_user_sgpr_dispatch_id 0
		.amdhsa_user_sgpr_private_segment_size 0
		.amdhsa_wavefront_size32 1
		.amdhsa_uses_dynamic_stack 0
		.amdhsa_enable_private_segment 0
		.amdhsa_system_sgpr_workgroup_id_x 1
		.amdhsa_system_sgpr_workgroup_id_y 0
		.amdhsa_system_sgpr_workgroup_id_z 0
		.amdhsa_system_sgpr_workgroup_info 0
		.amdhsa_system_vgpr_workitem_id 0
		.amdhsa_next_free_vgpr 1
		.amdhsa_next_free_sgpr 1
		.amdhsa_reserve_vcc 0
		.amdhsa_float_round_mode_32 0
		.amdhsa_float_round_mode_16_64 0
		.amdhsa_float_denorm_mode_32 3
		.amdhsa_float_denorm_mode_16_64 3
		.amdhsa_fp16_overflow 0
		.amdhsa_workgroup_processor_mode 1
		.amdhsa_memory_ordered 1
		.amdhsa_forward_progress 1
		.amdhsa_inst_pref_size 0
		.amdhsa_round_robin_scheduling 0
		.amdhsa_exception_fp_ieee_invalid_op 0
		.amdhsa_exception_fp_denorm_src 0
		.amdhsa_exception_fp_ieee_div_zero 0
		.amdhsa_exception_fp_ieee_overflow 0
		.amdhsa_exception_fp_ieee_underflow 0
		.amdhsa_exception_fp_ieee_inexact 0
		.amdhsa_exception_int_div_zero 0
	.end_amdhsa_kernel
	.section	.text._ZN7rocprim17ROCPRIM_400000_NS6detail17trampoline_kernelINS0_14default_configENS1_36segmented_radix_sort_config_selectorIllEEZNS1_25segmented_radix_sort_implIS3_Lb1EPKlPlS8_S9_N2at6native12_GLOBAL__N_18offset_tEEE10hipError_tPvRmT1_PNSt15iterator_traitsISH_E10value_typeET2_T3_PNSI_ISN_E10value_typeET4_jRbjT5_ST_jjP12ihipStream_tbEUlT_E_NS1_11comp_targetILNS1_3genE2ELNS1_11target_archE906ELNS1_3gpuE6ELNS1_3repE0EEENS1_30default_config_static_selectorELNS0_4arch9wavefront6targetE0EEEvSH_,"axG",@progbits,_ZN7rocprim17ROCPRIM_400000_NS6detail17trampoline_kernelINS0_14default_configENS1_36segmented_radix_sort_config_selectorIllEEZNS1_25segmented_radix_sort_implIS3_Lb1EPKlPlS8_S9_N2at6native12_GLOBAL__N_18offset_tEEE10hipError_tPvRmT1_PNSt15iterator_traitsISH_E10value_typeET2_T3_PNSI_ISN_E10value_typeET4_jRbjT5_ST_jjP12ihipStream_tbEUlT_E_NS1_11comp_targetILNS1_3genE2ELNS1_11target_archE906ELNS1_3gpuE6ELNS1_3repE0EEENS1_30default_config_static_selectorELNS0_4arch9wavefront6targetE0EEEvSH_,comdat
.Lfunc_end708:
	.size	_ZN7rocprim17ROCPRIM_400000_NS6detail17trampoline_kernelINS0_14default_configENS1_36segmented_radix_sort_config_selectorIllEEZNS1_25segmented_radix_sort_implIS3_Lb1EPKlPlS8_S9_N2at6native12_GLOBAL__N_18offset_tEEE10hipError_tPvRmT1_PNSt15iterator_traitsISH_E10value_typeET2_T3_PNSI_ISN_E10value_typeET4_jRbjT5_ST_jjP12ihipStream_tbEUlT_E_NS1_11comp_targetILNS1_3genE2ELNS1_11target_archE906ELNS1_3gpuE6ELNS1_3repE0EEENS1_30default_config_static_selectorELNS0_4arch9wavefront6targetE0EEEvSH_, .Lfunc_end708-_ZN7rocprim17ROCPRIM_400000_NS6detail17trampoline_kernelINS0_14default_configENS1_36segmented_radix_sort_config_selectorIllEEZNS1_25segmented_radix_sort_implIS3_Lb1EPKlPlS8_S9_N2at6native12_GLOBAL__N_18offset_tEEE10hipError_tPvRmT1_PNSt15iterator_traitsISH_E10value_typeET2_T3_PNSI_ISN_E10value_typeET4_jRbjT5_ST_jjP12ihipStream_tbEUlT_E_NS1_11comp_targetILNS1_3genE2ELNS1_11target_archE906ELNS1_3gpuE6ELNS1_3repE0EEENS1_30default_config_static_selectorELNS0_4arch9wavefront6targetE0EEEvSH_
                                        ; -- End function
	.set _ZN7rocprim17ROCPRIM_400000_NS6detail17trampoline_kernelINS0_14default_configENS1_36segmented_radix_sort_config_selectorIllEEZNS1_25segmented_radix_sort_implIS3_Lb1EPKlPlS8_S9_N2at6native12_GLOBAL__N_18offset_tEEE10hipError_tPvRmT1_PNSt15iterator_traitsISH_E10value_typeET2_T3_PNSI_ISN_E10value_typeET4_jRbjT5_ST_jjP12ihipStream_tbEUlT_E_NS1_11comp_targetILNS1_3genE2ELNS1_11target_archE906ELNS1_3gpuE6ELNS1_3repE0EEENS1_30default_config_static_selectorELNS0_4arch9wavefront6targetE0EEEvSH_.num_vgpr, 0
	.set _ZN7rocprim17ROCPRIM_400000_NS6detail17trampoline_kernelINS0_14default_configENS1_36segmented_radix_sort_config_selectorIllEEZNS1_25segmented_radix_sort_implIS3_Lb1EPKlPlS8_S9_N2at6native12_GLOBAL__N_18offset_tEEE10hipError_tPvRmT1_PNSt15iterator_traitsISH_E10value_typeET2_T3_PNSI_ISN_E10value_typeET4_jRbjT5_ST_jjP12ihipStream_tbEUlT_E_NS1_11comp_targetILNS1_3genE2ELNS1_11target_archE906ELNS1_3gpuE6ELNS1_3repE0EEENS1_30default_config_static_selectorELNS0_4arch9wavefront6targetE0EEEvSH_.num_agpr, 0
	.set _ZN7rocprim17ROCPRIM_400000_NS6detail17trampoline_kernelINS0_14default_configENS1_36segmented_radix_sort_config_selectorIllEEZNS1_25segmented_radix_sort_implIS3_Lb1EPKlPlS8_S9_N2at6native12_GLOBAL__N_18offset_tEEE10hipError_tPvRmT1_PNSt15iterator_traitsISH_E10value_typeET2_T3_PNSI_ISN_E10value_typeET4_jRbjT5_ST_jjP12ihipStream_tbEUlT_E_NS1_11comp_targetILNS1_3genE2ELNS1_11target_archE906ELNS1_3gpuE6ELNS1_3repE0EEENS1_30default_config_static_selectorELNS0_4arch9wavefront6targetE0EEEvSH_.numbered_sgpr, 0
	.set _ZN7rocprim17ROCPRIM_400000_NS6detail17trampoline_kernelINS0_14default_configENS1_36segmented_radix_sort_config_selectorIllEEZNS1_25segmented_radix_sort_implIS3_Lb1EPKlPlS8_S9_N2at6native12_GLOBAL__N_18offset_tEEE10hipError_tPvRmT1_PNSt15iterator_traitsISH_E10value_typeET2_T3_PNSI_ISN_E10value_typeET4_jRbjT5_ST_jjP12ihipStream_tbEUlT_E_NS1_11comp_targetILNS1_3genE2ELNS1_11target_archE906ELNS1_3gpuE6ELNS1_3repE0EEENS1_30default_config_static_selectorELNS0_4arch9wavefront6targetE0EEEvSH_.num_named_barrier, 0
	.set _ZN7rocprim17ROCPRIM_400000_NS6detail17trampoline_kernelINS0_14default_configENS1_36segmented_radix_sort_config_selectorIllEEZNS1_25segmented_radix_sort_implIS3_Lb1EPKlPlS8_S9_N2at6native12_GLOBAL__N_18offset_tEEE10hipError_tPvRmT1_PNSt15iterator_traitsISH_E10value_typeET2_T3_PNSI_ISN_E10value_typeET4_jRbjT5_ST_jjP12ihipStream_tbEUlT_E_NS1_11comp_targetILNS1_3genE2ELNS1_11target_archE906ELNS1_3gpuE6ELNS1_3repE0EEENS1_30default_config_static_selectorELNS0_4arch9wavefront6targetE0EEEvSH_.private_seg_size, 0
	.set _ZN7rocprim17ROCPRIM_400000_NS6detail17trampoline_kernelINS0_14default_configENS1_36segmented_radix_sort_config_selectorIllEEZNS1_25segmented_radix_sort_implIS3_Lb1EPKlPlS8_S9_N2at6native12_GLOBAL__N_18offset_tEEE10hipError_tPvRmT1_PNSt15iterator_traitsISH_E10value_typeET2_T3_PNSI_ISN_E10value_typeET4_jRbjT5_ST_jjP12ihipStream_tbEUlT_E_NS1_11comp_targetILNS1_3genE2ELNS1_11target_archE906ELNS1_3gpuE6ELNS1_3repE0EEENS1_30default_config_static_selectorELNS0_4arch9wavefront6targetE0EEEvSH_.uses_vcc, 0
	.set _ZN7rocprim17ROCPRIM_400000_NS6detail17trampoline_kernelINS0_14default_configENS1_36segmented_radix_sort_config_selectorIllEEZNS1_25segmented_radix_sort_implIS3_Lb1EPKlPlS8_S9_N2at6native12_GLOBAL__N_18offset_tEEE10hipError_tPvRmT1_PNSt15iterator_traitsISH_E10value_typeET2_T3_PNSI_ISN_E10value_typeET4_jRbjT5_ST_jjP12ihipStream_tbEUlT_E_NS1_11comp_targetILNS1_3genE2ELNS1_11target_archE906ELNS1_3gpuE6ELNS1_3repE0EEENS1_30default_config_static_selectorELNS0_4arch9wavefront6targetE0EEEvSH_.uses_flat_scratch, 0
	.set _ZN7rocprim17ROCPRIM_400000_NS6detail17trampoline_kernelINS0_14default_configENS1_36segmented_radix_sort_config_selectorIllEEZNS1_25segmented_radix_sort_implIS3_Lb1EPKlPlS8_S9_N2at6native12_GLOBAL__N_18offset_tEEE10hipError_tPvRmT1_PNSt15iterator_traitsISH_E10value_typeET2_T3_PNSI_ISN_E10value_typeET4_jRbjT5_ST_jjP12ihipStream_tbEUlT_E_NS1_11comp_targetILNS1_3genE2ELNS1_11target_archE906ELNS1_3gpuE6ELNS1_3repE0EEENS1_30default_config_static_selectorELNS0_4arch9wavefront6targetE0EEEvSH_.has_dyn_sized_stack, 0
	.set _ZN7rocprim17ROCPRIM_400000_NS6detail17trampoline_kernelINS0_14default_configENS1_36segmented_radix_sort_config_selectorIllEEZNS1_25segmented_radix_sort_implIS3_Lb1EPKlPlS8_S9_N2at6native12_GLOBAL__N_18offset_tEEE10hipError_tPvRmT1_PNSt15iterator_traitsISH_E10value_typeET2_T3_PNSI_ISN_E10value_typeET4_jRbjT5_ST_jjP12ihipStream_tbEUlT_E_NS1_11comp_targetILNS1_3genE2ELNS1_11target_archE906ELNS1_3gpuE6ELNS1_3repE0EEENS1_30default_config_static_selectorELNS0_4arch9wavefront6targetE0EEEvSH_.has_recursion, 0
	.set _ZN7rocprim17ROCPRIM_400000_NS6detail17trampoline_kernelINS0_14default_configENS1_36segmented_radix_sort_config_selectorIllEEZNS1_25segmented_radix_sort_implIS3_Lb1EPKlPlS8_S9_N2at6native12_GLOBAL__N_18offset_tEEE10hipError_tPvRmT1_PNSt15iterator_traitsISH_E10value_typeET2_T3_PNSI_ISN_E10value_typeET4_jRbjT5_ST_jjP12ihipStream_tbEUlT_E_NS1_11comp_targetILNS1_3genE2ELNS1_11target_archE906ELNS1_3gpuE6ELNS1_3repE0EEENS1_30default_config_static_selectorELNS0_4arch9wavefront6targetE0EEEvSH_.has_indirect_call, 0
	.section	.AMDGPU.csdata,"",@progbits
; Kernel info:
; codeLenInByte = 0
; TotalNumSgprs: 0
; NumVgprs: 0
; ScratchSize: 0
; MemoryBound: 0
; FloatMode: 240
; IeeeMode: 1
; LDSByteSize: 0 bytes/workgroup (compile time only)
; SGPRBlocks: 0
; VGPRBlocks: 0
; NumSGPRsForWavesPerEU: 1
; NumVGPRsForWavesPerEU: 1
; Occupancy: 16
; WaveLimiterHint : 0
; COMPUTE_PGM_RSRC2:SCRATCH_EN: 0
; COMPUTE_PGM_RSRC2:USER_SGPR: 2
; COMPUTE_PGM_RSRC2:TRAP_HANDLER: 0
; COMPUTE_PGM_RSRC2:TGID_X_EN: 1
; COMPUTE_PGM_RSRC2:TGID_Y_EN: 0
; COMPUTE_PGM_RSRC2:TGID_Z_EN: 0
; COMPUTE_PGM_RSRC2:TIDIG_COMP_CNT: 0
	.text
	.p2align	2                               ; -- Begin function _ZN7rocprim17ROCPRIM_400000_NS6detail40segmented_radix_sort_single_block_helperIllLj256ELj16ELb1EE4sortIPKlPlS6_S7_EEbT_T0_T1_T2_jjjjRNS3_12storage_typeE
	.type	_ZN7rocprim17ROCPRIM_400000_NS6detail40segmented_radix_sort_single_block_helperIllLj256ELj16ELb1EE4sortIPKlPlS6_S7_EEbT_T0_T1_T2_jjjjRNS3_12storage_typeE,@function
_ZN7rocprim17ROCPRIM_400000_NS6detail40segmented_radix_sort_single_block_helperIllLj256ELj16ELb1EE4sortIPKlPlS6_S7_EEbT_T0_T1_T2_jjjjRNS3_12storage_typeE: ; @_ZN7rocprim17ROCPRIM_400000_NS6detail40segmented_radix_sort_single_block_helperIllLj256ELj16ELb1EE4sortIPKlPlS6_S7_EEbT_T0_T1_T2_jjjjRNS3_12storage_typeE
; %bb.0:
	s_wait_loadcnt_dscnt 0x0
	s_wait_expcnt 0x0
	s_wait_samplecnt 0x0
	s_wait_bvhcnt 0x0
	s_wait_kmcnt 0x0
	s_clause 0x1f
	scratch_store_b32 off, v40, s32 offset:168
	; meta instruction
	scratch_store_b32 off, v41, s32 offset:164
	; meta instruction
	;; [unrolled: 2-line block ×31, first 2 shown]
	scratch_store_b32 off, v95, s32 offset:44
	s_clause 0xa
	scratch_store_b32 off, v104, s32 offset:40
	; meta instruction
	scratch_store_b32 off, v105, s32 offset:36
	; meta instruction
	;; [unrolled: 2-line block ×10, first 2 shown]
	scratch_store_b32 off, v122, s32
	v_mov_b32_e32 v15, v7
	v_sub_nc_u32_e32 v40, v9, v8
	s_mov_b32 s18, exec_lo
	s_delay_alu instid0(VALU_DEP_1)
	v_cmpx_gt_u32_e32 0x1001, v40
	s_cbranch_execz .LBB709_372
; %bb.1:
	v_bfe_u32 v7, v31, 10, 10
	v_bfe_u32 v9, v31, 20, 10
	v_and_b32_e32 v16, 0x3ff, v31
	v_mbcnt_lo_u32_b32 v28, -1, 0
	s_mov_b32 s0, exec_lo
	v_cmpx_lt_u32_e32 0x800, v40
	s_wait_alu 0xfffe
	s_xor_b32 s19, exec_lo, s0
	s_cbranch_execz .LBB709_143
; %bb.2:
	s_load_b64 s[0:1], s[8:9], 0x0
	s_and_b32 s2, ttmp7, 0xffff
	s_mov_b32 s3, 0
	v_dual_mov_b32 v128, -1 :: v_dual_lshlrev_b32 v13, 3, v28
	v_mov_b32_e32 v130, -1
	v_mov_b32_e32 v131, -1
	s_wait_kmcnt 0x0
	s_wait_alu 0xfffe
	s_cmp_lt_u32 s2, s1
	s_cselect_b32 s2, 14, 20
	s_cmp_lt_u32 ttmp9, s0
	s_wait_alu 0xfffe
	s_add_nc_u64 s[4:5], s[8:9], s[2:3]
	s_cselect_b32 s2, 12, 18
	s_load_u16 s4, s[4:5], 0x0
	s_add_nc_u64 s[0:1], s[8:9], s[2:3]
	s_load_u16 s0, s[0:1], 0x0
	s_wait_kmcnt 0x0
	v_mad_u32_u24 v7, v9, s4, v7
	v_mov_b32_e32 v9, 0
	s_delay_alu instid0(VALU_DEP_2) | instskip(NEXT) | instid1(VALU_DEP_2)
	v_mad_co_u64_u32 v[114:115], null, v7, s0, v[16:17]
	v_lshlrev_b64_e32 v[112:113], 3, v[8:9]
	s_delay_alu instid0(VALU_DEP_2) | instskip(NEXT) | instid1(VALU_DEP_1)
	v_lshlrev_b32_e32 v7, 4, v114
	v_dual_mov_b32 v129, -1 :: v_dual_and_b32 v8, 0xfffffe00, v7
	s_delay_alu instid0(VALU_DEP_3) | instskip(SKIP_1) | instid1(VALU_DEP_4)
	v_add_co_u32 v7, vcc_lo, v0, v112
	s_wait_alu 0xfffd
	v_add_co_ci_u32_e64 v14, null, v1, v113, vcc_lo
	s_delay_alu instid0(VALU_DEP_3) | instskip(NEXT) | instid1(VALU_DEP_3)
	v_lshlrev_b64_e32 v[0:1], 3, v[8:9]
	v_add_co_u32 v7, vcc_lo, v7, v13
	s_wait_alu 0xfffd
	s_delay_alu instid0(VALU_DEP_3) | instskip(SKIP_1) | instid1(VALU_DEP_3)
	v_add_co_ci_u32_e64 v14, null, 0, v14, vcc_lo
	v_or_b32_e32 v9, v8, v28
	v_add_co_u32 v7, vcc_lo, v7, v0
	s_wait_alu 0xfffd
	s_delay_alu instid0(VALU_DEP_3) | instskip(NEXT) | instid1(VALU_DEP_3)
	v_add_co_ci_u32_e64 v8, null, v14, v1, vcc_lo
	v_cmp_lt_u32_e32 vcc_lo, v9, v40
	s_and_saveexec_b32 s0, vcc_lo
	s_cbranch_execz .LBB709_4
; %bb.3:
	flat_load_b64 v[17:18], v[7:8]
	s_wait_loadcnt_dscnt 0x0
	v_xor_b32_e32 v131, 0x7fffffff, v18
	v_not_b32_e32 v130, v17
.LBB709_4:
	s_wait_alu 0xfffe
	s_or_b32 exec_lo, exec_lo, s0
	v_or_b32_e32 v14, 32, v9
	s_delay_alu instid0(VALU_DEP_1)
	v_cmp_lt_u32_e64 s0, v14, v40
	s_and_saveexec_b32 s1, s0
	s_cbranch_execz .LBB709_6
; %bb.5:
	flat_load_b64 v[17:18], v[7:8] offset:256
	s_wait_loadcnt_dscnt 0x0
	v_xor_b32_e32 v129, 0x7fffffff, v18
	v_not_b32_e32 v128, v17
.LBB709_6:
	s_wait_alu 0xfffe
	s_or_b32 exec_lo, exec_lo, s1
	v_or_b32_e32 v14, 64, v9
	v_mov_b32_e32 v132, -1
	v_dual_mov_b32 v133, -1 :: v_dual_mov_b32 v134, -1
	v_mov_b32_e32 v135, -1
	s_delay_alu instid0(VALU_DEP_4)
	v_cmp_lt_u32_e64 s1, v14, v40
	s_and_saveexec_b32 s2, s1
	s_cbranch_execz .LBB709_8
; %bb.7:
	flat_load_b64 v[17:18], v[7:8] offset:512
	s_wait_loadcnt_dscnt 0x0
	v_xor_b32_e32 v135, 0x7fffffff, v18
	v_not_b32_e32 v134, v17
.LBB709_8:
	s_wait_alu 0xfffe
	s_or_b32 exec_lo, exec_lo, s2
	v_or_b32_e32 v14, 0x60, v9
	s_delay_alu instid0(VALU_DEP_1)
	v_cmp_lt_u32_e64 s2, v14, v40
	s_and_saveexec_b32 s3, s2
	s_cbranch_execz .LBB709_10
; %bb.9:
	flat_load_b64 v[17:18], v[7:8] offset:768
	s_wait_loadcnt_dscnt 0x0
	v_xor_b32_e32 v133, 0x7fffffff, v18
	v_not_b32_e32 v132, v17
.LBB709_10:
	s_wait_alu 0xfffe
	s_or_b32 exec_lo, exec_lo, s3
	v_or_b32_e32 v14, 0x80, v9
	v_mov_b32_e32 v144, -1
	v_dual_mov_b32 v145, -1 :: v_dual_mov_b32 v146, -1
	v_mov_b32_e32 v147, -1
	s_delay_alu instid0(VALU_DEP_4)
	v_cmp_lt_u32_e64 s3, v14, v40
	s_and_saveexec_b32 s4, s3
	s_cbranch_execz .LBB709_12
; %bb.11:
	flat_load_b64 v[17:18], v[7:8] offset:1024
	s_wait_loadcnt_dscnt 0x0
	v_xor_b32_e32 v147, 0x7fffffff, v18
	v_not_b32_e32 v146, v17
.LBB709_12:
	;; [unrolled: 29-line block ×7, first 2 shown]
	s_wait_alu 0xfffe
	s_or_b32 exec_lo, exec_lo, s16
	v_or_b32_e32 v9, 0x1e0, v9
	s_delay_alu instid0(VALU_DEP_1)
	v_cmp_lt_u32_e64 s16, v9, v40
	s_and_saveexec_b32 s17, s16
	s_cbranch_execz .LBB709_34
; %bb.33:
	flat_load_b64 v[7:8], v[7:8] offset:3840
	s_wait_loadcnt_dscnt 0x0
	v_xor_b32_e32 v181, 0x7fffffff, v8
	v_not_b32_e32 v180, v7
.LBB709_34:
	s_wait_alu 0xfffe
	s_or_b32 exec_lo, exec_lo, s17
	v_add_co_u32 v4, s17, v4, v112
	s_wait_alu 0xf1ff
	v_add_co_ci_u32_e64 v5, null, v5, v113, s17
                                        ; implicit-def: $vgpr194_vgpr195
	s_delay_alu instid0(VALU_DEP_2) | instskip(SKIP_1) | instid1(VALU_DEP_2)
	v_add_co_u32 v4, s17, v4, v13
	s_wait_alu 0xf1ff
	v_add_co_ci_u32_e64 v5, null, 0, v5, s17
	s_delay_alu instid0(VALU_DEP_2) | instskip(SKIP_1) | instid1(VALU_DEP_2)
	v_add_co_u32 v0, s17, v4, v0
	s_wait_alu 0xf1ff
	v_add_co_ci_u32_e64 v1, null, v5, v1, s17
	s_and_saveexec_b32 s17, vcc_lo
	s_cbranch_execnz .LBB709_196
; %bb.35:
	s_wait_alu 0xfffe
	s_or_b32 exec_lo, exec_lo, s17
                                        ; implicit-def: $vgpr198_vgpr199
	s_and_saveexec_b32 s17, s0
	s_cbranch_execnz .LBB709_197
.LBB709_36:
	s_wait_alu 0xfffe
	s_or_b32 exec_lo, exec_lo, s17
                                        ; implicit-def: $vgpr192_vgpr193
	s_and_saveexec_b32 s0, s1
	s_cbranch_execnz .LBB709_198
.LBB709_37:
	s_wait_alu 0xfffe
	s_or_b32 exec_lo, exec_lo, s0
                                        ; implicit-def: $vgpr196_vgpr197
	s_and_saveexec_b32 s0, s2
	s_cbranch_execnz .LBB709_199
.LBB709_38:
	s_wait_alu 0xfffe
	s_or_b32 exec_lo, exec_lo, s0
                                        ; implicit-def: $vgpr210_vgpr211
	s_and_saveexec_b32 s0, s3
	s_cbranch_execnz .LBB709_200
.LBB709_39:
	s_wait_alu 0xfffe
	s_or_b32 exec_lo, exec_lo, s0
                                        ; implicit-def: $vgpr208_vgpr209
	s_and_saveexec_b32 s0, s4
	s_cbranch_execnz .LBB709_201
.LBB709_40:
	s_wait_alu 0xfffe
	s_or_b32 exec_lo, exec_lo, s0
                                        ; implicit-def: $vgpr212_vgpr213
	s_and_saveexec_b32 s0, s5
	s_cbranch_execnz .LBB709_202
.LBB709_41:
	s_wait_alu 0xfffe
	s_or_b32 exec_lo, exec_lo, s0
                                        ; implicit-def: $vgpr214_vgpr215
	s_and_saveexec_b32 s0, s6
	s_cbranch_execnz .LBB709_203
.LBB709_42:
	s_wait_alu 0xfffe
	s_or_b32 exec_lo, exec_lo, s0
                                        ; implicit-def: $vgpr224_vgpr225
	s_and_saveexec_b32 s0, s7
	s_cbranch_execnz .LBB709_204
.LBB709_43:
	s_wait_alu 0xfffe
	s_or_b32 exec_lo, exec_lo, s0
                                        ; implicit-def: $vgpr226_vgpr227
	s_and_saveexec_b32 s0, s10
	s_cbranch_execnz .LBB709_205
.LBB709_44:
	s_wait_alu 0xfffe
	s_or_b32 exec_lo, exec_lo, s0
                                        ; implicit-def: $vgpr228_vgpr229
	s_and_saveexec_b32 s0, s11
	s_cbranch_execnz .LBB709_206
.LBB709_45:
	s_wait_alu 0xfffe
	s_or_b32 exec_lo, exec_lo, s0
                                        ; implicit-def: $vgpr230_vgpr231
	s_and_saveexec_b32 s0, s12
	s_cbranch_execnz .LBB709_207
.LBB709_46:
	s_wait_alu 0xfffe
	s_or_b32 exec_lo, exec_lo, s0
                                        ; implicit-def: $vgpr240_vgpr241
	s_and_saveexec_b32 s0, s13
	s_cbranch_execnz .LBB709_208
.LBB709_47:
	s_wait_alu 0xfffe
	s_or_b32 exec_lo, exec_lo, s0
                                        ; implicit-def: $vgpr242_vgpr243
	s_and_saveexec_b32 s0, s14
	s_cbranch_execnz .LBB709_209
.LBB709_48:
	s_wait_alu 0xfffe
	s_or_b32 exec_lo, exec_lo, s0
                                        ; implicit-def: $vgpr244_vgpr245
	s_and_saveexec_b32 s0, s15
	s_cbranch_execnz .LBB709_210
.LBB709_49:
	s_wait_alu 0xfffe
	s_or_b32 exec_lo, exec_lo, s0
                                        ; implicit-def: $vgpr246_vgpr247
	s_and_saveexec_b32 s0, s16
	s_cbranch_execz .LBB709_51
.LBB709_50:
	flat_load_b64 v[246:247], v[0:1] offset:3840
.LBB709_51:
	s_wait_alu 0xfffe
	s_or_b32 exec_lo, exec_lo, s0
	v_lshl_add_u32 v0, v16, 5, v12
	v_and_b32_e32 v1, 0x3e0, v16
	v_and_b32_e32 v4, 15, v28
	s_getpc_b64 s[0:1]
	s_wait_alu 0xfffe
	s_sext_i32_i16 s1, s1
	s_add_co_u32 s0, s0, _ZN7rocprim17ROCPRIM_400000_NS16block_radix_sortIlLj256ELj16ElLj1ELj1ELj8ELNS0_26block_radix_rank_algorithmE2ELNS0_18block_padding_hintE2ELNS0_4arch9wavefront6targetE0EE19radix_bits_per_passE@rel32@lo+12
	s_wait_alu 0xfffe
	s_add_co_ci_u32 s1, s1, _ZN7rocprim17ROCPRIM_400000_NS16block_radix_sortIlLj256ELj16ElLj1ELj1ELj8ELNS0_26block_radix_rank_algorithmE2ELNS0_18block_padding_hintE2ELNS0_4arch9wavefront6targetE0EE19radix_bits_per_passE@rel32@hi+24
	v_sub_co_u32 v5, s2, v28, 1
	v_add_nc_u32_e32 v9, 32, v0
	v_add_nc_u32_e32 v39, 36, v0
	;; [unrolled: 1-line block ×8, first 2 shown]
	v_min_u32_e32 v0, 0xe0, v1
	s_load_b32 s16, s[0:1], 0x0
	v_cmp_eq_u32_e32 vcc_lo, 0, v4
	v_cmp_lt_u32_e64 s0, 1, v4
	v_cmp_lt_u32_e64 s1, 3, v4
	v_or_b32_e32 v0, 31, v0
	v_cmp_lt_u32_e64 s3, 7, v4
	v_lshlrev_b32_e32 v4, 4, v16
	v_and_b32_e32 v1, 16, v28
	v_cmp_gt_i32_e64 s6, 0, v5
	v_cmp_eq_u32_e64 s5, v16, v0
	v_lshrrev_b32_e32 v0, 3, v16
	v_and_or_b32 v4, 0x3e00, v4, v28
	v_cmp_eq_u32_e64 s4, 0, v1
	s_wait_alu 0xf1ff
	v_cndmask_b32_e64 v1, v5, v28, s6
	v_and_b32_e32 v5, 7, v28
	v_and_b32_e32 v0, 0x7c, v0
	v_lshl_add_u32 v58, v4, 3, v12
	v_lshrrev_b32_e32 v46, 5, v114
	v_cmp_gt_u32_e64 s6, 8, v16
	v_cmp_lt_u32_e64 s7, 31, v16
	v_add_nc_u32_e32 v56, v12, v0
	v_lshlrev_b32_e32 v47, 2, v1
	v_cmp_eq_u32_e64 s10, 0, v16
	v_mov_b32_e32 v1, 0
	v_lshl_add_u32 v57, v16, 2, v12
	v_cmp_eq_u32_e64 s11, 0, v5
	v_cmp_lt_u32_e64 s12, 1, v5
	v_cmp_lt_u32_e64 s13, 3, v5
	v_add_nc_u32_e32 v59, -4, v56
	v_add_nc_u32_e32 v60, 0x100, v58
	v_add_nc_u32_e32 v61, 0x200, v58
	;; [unrolled: 1-line block ×15, first 2 shown]
	v_sub_nc_u32_e32 v91, v11, v10
	s_mov_b32 s17, 0
	s_wait_storecnt 0x0
	s_wait_loadcnt_dscnt 0x0
	s_barrier_signal -1
	s_barrier_wait -1
	global_inv scope:SCOPE_SE
	s_branch .LBB709_53
.LBB709_52:                             ;   in Loop: Header=BB709_53 Depth=1
	s_wait_alu 0xfffe
	s_or_b32 exec_lo, exec_lo, s15
	s_delay_alu instid0(SALU_CYCLE_1)
	s_and_b32 s14, exec_lo, s20
	s_wait_alu 0xfffe
	s_or_b32 s17, s14, s17
	s_wait_alu 0xfffe
	s_and_not1_b32 exec_lo, exec_lo, s17
	s_cbranch_execz .LBB709_93
.LBB709_53:                             ; =>This Inner Loop Header: Depth=1
	s_wait_kmcnt 0x0
	v_min_u32_e32 v0, s16, v91
	v_dual_mov_b32 v35, v130 :: v_dual_mov_b32 v36, v131
	v_dual_mov_b32 v19, v192 :: v_dual_mov_b32 v20, v193
	s_delay_alu instid0(VALU_DEP_3) | instskip(SKIP_1) | instid1(VALU_DEP_4)
	v_lshlrev_b32_e64 v0, v0, -1
	v_mov_b32_e32 v52, v134
	v_lshrrev_b64 v[37:38], v10, v[35:36]
	v_mov_b32_e32 v54, v128
	v_dual_mov_b32 v48, v246 :: v_dual_mov_b32 v55, v129
	v_not_b32_e32 v192, v0
	v_dual_mov_b32 v50, v244 :: v_dual_mov_b32 v49, v247
	v_dual_mov_b32 v68, v144 :: v_dual_mov_b32 v117, v240
	s_delay_alu instid0(VALU_DEP_3) | instskip(SKIP_2) | instid1(VALU_DEP_3)
	v_dual_mov_b32 v37, v132 :: v_dual_and_b32 v0, v37, v192
	v_mov_b32_e32 v38, v133
	v_dual_mov_b32 v80, v162 :: v_dual_mov_b32 v53, v135
	v_and_b32_e32 v64, 1, v0
	v_lshlrev_b32_e32 v83, 30, v0
	v_lshlrev_b32_e32 v85, 29, v0
	;; [unrolled: 1-line block ×4, first 2 shown]
	v_add_co_u32 v82, s14, v64, -1
	s_wait_alu 0xf1ff
	v_cndmask_b32_e64 v70, 0, 1, s14
	v_not_b32_e32 v84, v83
	v_not_b32_e32 v87, v85
	v_lshlrev_b32_e32 v130, 24, v0
	v_dual_mov_b32 v118, v241 :: v_dual_mov_b32 v115, v242
	v_cmp_ne_u32_e64 s14, 0, v70
	v_ashrrev_i32_e32 v84, 31, v84
	v_ashrrev_i32_e32 v87, 31, v87
	v_not_b32_e32 v132, v130
	v_dual_mov_b32 v64, v146 :: v_dual_mov_b32 v69, v145
	s_wait_alu 0xf1ff
	v_xor_b32_e32 v86, s14, v82
	v_cmp_gt_i32_e64 s14, 0, v83
	v_dual_mov_b32 v66, v150 :: v_dual_lshlrev_b32 v99, 27, v0
	v_dual_mov_b32 v70, v148 :: v_dual_mov_b32 v81, v163
	s_delay_alu instid0(VALU_DEP_4)
	v_and_b32_e32 v86, exec_lo, v86
	s_wait_alu 0xf1ff
	v_xor_b32_e32 v97, s14, v84
	v_cmp_gt_i32_e64 s14, 0, v85
	v_dual_mov_b32 v84, v166 :: v_dual_mov_b32 v85, v167
	v_dual_mov_b32 v7, v194 :: v_dual_mov_b32 v8, v195
	s_delay_alu instid0(VALU_DEP_4)
	v_and_b32_e32 v97, v86, v97
	s_wait_alu 0xf1ff
	v_xor_b32_e32 v100, s14, v87
	v_dual_mov_b32 v86, v164 :: v_dual_mov_b32 v87, v165
	v_not_b32_e32 v98, v96
	v_cmp_gt_i32_e64 s14, 0, v96
	s_delay_alu instid0(VALU_DEP_4) | instskip(SKIP_1) | instid1(VALU_DEP_4)
	v_and_b32_e32 v100, v97, v100
	v_dual_mov_b32 v4, v198 :: v_dual_mov_b32 v5, v199
	v_ashrrev_i32_e32 v96, 31, v98
	v_not_b32_e32 v98, v99
	v_dual_mov_b32 v17, v196 :: v_dual_mov_b32 v18, v197
	v_dual_mov_b32 v13, v210 :: v_dual_mov_b32 v14, v211
	s_wait_alu 0xf1ff
	v_xor_b32_e32 v102, s14, v96
	v_cmp_gt_i32_e64 s14, 0, v99
	v_ashrrev_i32_e32 v98, 31, v98
	v_mov_b32_e32 v96, v178
	v_not_b32_e32 v99, v101
	v_dual_mov_b32 v97, v179 :: v_dual_and_b32 v100, v100, v102
	s_wait_alu 0xf1ff
	v_xor_b32_e32 v103, s14, v98
	v_cmp_gt_i32_e64 s14, 0, v101
	v_ashrrev_i32_e32 v101, 31, v99
	v_lshlrev_b32_e32 v102, 25, v0
	v_dual_mov_b32 v98, v176 :: v_dual_mov_b32 v99, v177
	v_and_b32_e32 v129, v100, v103
	s_wait_alu 0xf1ff
	v_xor_b32_e32 v131, s14, v101
	v_dual_mov_b32 v100, v182 :: v_dual_mov_b32 v101, v183
	v_not_b32_e32 v128, v102
	v_cmp_gt_i32_e64 s14, 0, v102
	s_delay_alu instid0(VALU_DEP_4) | instskip(SKIP_1) | instid1(VALU_DEP_4)
	v_dual_mov_b32 v102, v180 :: v_dual_and_b32 v129, v129, v131
	v_lshl_add_u32 v0, v0, 3, v46
	v_ashrrev_i32_e32 v128, 31, v128
	v_dual_mov_b32 v25, v208 :: v_dual_mov_b32 v26, v209
	v_dual_mov_b32 v23, v212 :: v_dual_mov_b32 v24, v213
	s_wait_alu 0xf1ff
	s_delay_alu instid0(VALU_DEP_3) | instskip(SKIP_3) | instid1(VALU_DEP_4)
	v_xor_b32_e32 v128, s14, v128
	v_cmp_gt_i32_e64 s14, 0, v130
	v_ashrrev_i32_e32 v130, 31, v132
	v_dual_mov_b32 v21, v214 :: v_dual_mov_b32 v22, v215
	v_dual_mov_b32 v33, v224 :: v_dual_and_b32 v128, v129, v128
	v_mov_b32_e32 v34, v225
	s_wait_alu 0xf1ff
	v_xor_b32_e32 v129, s14, v130
	v_lshlrev_b64_e32 v[130:131], 2, v[0:1]
	v_dual_mov_b32 v31, v226 :: v_dual_mov_b32 v32, v227
	v_dual_mov_b32 v29, v228 :: v_dual_mov_b32 v30, v229
	s_delay_alu instid0(VALU_DEP_4) | instskip(NEXT) | instid1(VALU_DEP_4)
	v_and_b32_e32 v129, v128, v129
	v_add_co_u32 v128, null, v12, v130
	v_dual_mov_b32 v27, v230 :: v_dual_mov_b32 v28, v231
	s_delay_alu instid0(VALU_DEP_3) | instskip(SKIP_3) | instid1(VALU_DEP_4)
	v_mbcnt_lo_u32_b32 v0, v129, 0
	v_cmp_ne_u32_e64 s15, 0, v129
	v_dual_mov_b32 v116, v243 :: v_dual_mov_b32 v51, v245
	v_mov_b32_e32 v65, v147
	v_cmp_eq_u32_e64 s14, 0, v0
	v_mov_b32_e32 v67, v151
	v_dual_mov_b32 v71, v149 :: v_dual_mov_b32 v82, v160
	v_mov_b32_e32 v83, v161
	v_mov_b32_e32 v103, v181
	v_add_co_u32 v128, null, v128, 32
	s_and_b32 s15, s15, s14
	ds_store_b32 v9, v1
	ds_store_b32 v39, v1
	;; [unrolled: 1-line block ×8, first 2 shown]
	s_wait_loadcnt_dscnt 0x0
	s_barrier_signal -1
	s_barrier_wait -1
	global_inv scope:SCOPE_SE
	; wave barrier
	s_wait_alu 0xfffe
	s_and_saveexec_b32 s14, s15
; %bb.54:                               ;   in Loop: Header=BB709_53 Depth=1
	v_bcnt_u32_b32 v129, v129, 0
	ds_store_b32 v128, v129
; %bb.55:                               ;   in Loop: Header=BB709_53 Depth=1
	s_wait_alu 0xfffe
	s_or_b32 exec_lo, exec_lo, s14
	v_lshrrev_b64 v[129:130], v10, v[54:55]
	; wave barrier
	s_delay_alu instid0(VALU_DEP_1) | instskip(NEXT) | instid1(VALU_DEP_1)
	v_and_b32_e32 v129, v129, v192
	v_and_b32_e32 v130, 1, v129
	v_lshlrev_b32_e32 v131, 30, v129
	v_lshlrev_b32_e32 v132, 29, v129
	;; [unrolled: 1-line block ×4, first 2 shown]
	v_add_co_u32 v130, s14, v130, -1
	s_wait_alu 0xf1ff
	v_cndmask_b32_e64 v134, 0, 1, s14
	v_not_b32_e32 v146, v131
	v_cmp_gt_i32_e64 s15, 0, v131
	v_not_b32_e32 v131, v132
	v_lshlrev_b32_e32 v144, 26, v129
	v_cmp_ne_u32_e64 s14, 0, v134
	v_ashrrev_i32_e32 v146, 31, v146
	v_lshlrev_b32_e32 v145, 25, v129
	v_ashrrev_i32_e32 v131, 31, v131
	v_lshlrev_b32_e32 v134, 24, v129
	s_wait_alu 0xf1ff
	v_xor_b32_e32 v130, s14, v130
	v_cmp_gt_i32_e64 s14, 0, v132
	v_not_b32_e32 v132, v133
	v_xor_b32_e32 v146, s15, v146
	v_cmp_gt_i32_e64 s15, 0, v133
	v_and_b32_e32 v130, exec_lo, v130
	v_not_b32_e32 v133, v135
	v_ashrrev_i32_e32 v132, 31, v132
	s_wait_alu 0xf1ff
	v_xor_b32_e32 v131, s14, v131
	v_cmp_gt_i32_e64 s14, 0, v135
	v_and_b32_e32 v130, v130, v146
	v_not_b32_e32 v135, v144
	v_ashrrev_i32_e32 v133, 31, v133
	v_xor_b32_e32 v132, s15, v132
	v_cmp_gt_i32_e64 s15, 0, v144
	v_and_b32_e32 v130, v130, v131
	v_not_b32_e32 v131, v145
	v_ashrrev_i32_e32 v135, 31, v135
	s_wait_alu 0xf1ff
	v_xor_b32_e32 v133, s14, v133
	v_cmp_gt_i32_e64 s14, 0, v145
	v_and_b32_e32 v130, v130, v132
	v_not_b32_e32 v132, v134
	v_ashrrev_i32_e32 v131, 31, v131
	v_xor_b32_e32 v135, s15, v135
	v_lshl_add_u32 v129, v129, 3, v46
	v_and_b32_e32 v130, v130, v133
	v_cmp_gt_i32_e64 s15, 0, v134
	v_ashrrev_i32_e32 v132, 31, v132
	s_wait_alu 0xf1ff
	v_xor_b32_e32 v131, s14, v131
	v_lshl_add_u32 v133, v129, 2, v12
	v_and_b32_e32 v130, v130, v135
	v_xor_b32_e32 v132, s15, v132
	ds_load_b32 v129, v133 offset:32
	v_and_b32_e32 v130, v130, v131
	v_add_nc_u32_e32 v131, 32, v133
	; wave barrier
	s_delay_alu instid0(VALU_DEP_2) | instskip(NEXT) | instid1(VALU_DEP_1)
	v_and_b32_e32 v132, v130, v132
	v_mbcnt_lo_u32_b32 v130, v132, 0
	v_cmp_ne_u32_e64 s15, 0, v132
	s_delay_alu instid0(VALU_DEP_2)
	v_cmp_eq_u32_e64 s14, 0, v130
	s_and_b32 s15, s15, s14
	s_wait_alu 0xfffe
	s_and_saveexec_b32 s14, s15
	s_cbranch_execz .LBB709_57
; %bb.56:                               ;   in Loop: Header=BB709_53 Depth=1
	s_wait_dscnt 0x0
	v_bcnt_u32_b32 v132, v132, v129
	ds_store_b32 v131, v132
.LBB709_57:                             ;   in Loop: Header=BB709_53 Depth=1
	s_wait_alu 0xfffe
	s_or_b32 exec_lo, exec_lo, s14
	v_lshrrev_b64 v[132:133], v10, v[52:53]
	; wave barrier
	s_delay_alu instid0(VALU_DEP_1) | instskip(NEXT) | instid1(VALU_DEP_1)
	v_and_b32_e32 v132, v132, v192
	v_and_b32_e32 v133, 1, v132
	v_lshlrev_b32_e32 v134, 30, v132
	v_lshlrev_b32_e32 v135, 29, v132
	;; [unrolled: 1-line block ×4, first 2 shown]
	v_add_co_u32 v133, s14, v133, -1
	s_wait_alu 0xf1ff
	v_cndmask_b32_e64 v145, 0, 1, s14
	v_not_b32_e32 v149, v134
	v_cmp_gt_i32_e64 s15, 0, v134
	v_not_b32_e32 v134, v135
	v_lshlrev_b32_e32 v147, 26, v132
	v_cmp_ne_u32_e64 s14, 0, v145
	v_ashrrev_i32_e32 v149, 31, v149
	v_lshlrev_b32_e32 v148, 25, v132
	v_ashrrev_i32_e32 v134, 31, v134
	v_lshlrev_b32_e32 v145, 24, v132
	s_wait_alu 0xf1ff
	v_xor_b32_e32 v133, s14, v133
	v_cmp_gt_i32_e64 s14, 0, v135
	v_not_b32_e32 v135, v144
	v_xor_b32_e32 v149, s15, v149
	v_cmp_gt_i32_e64 s15, 0, v144
	v_and_b32_e32 v133, exec_lo, v133
	v_not_b32_e32 v144, v146
	v_ashrrev_i32_e32 v135, 31, v135
	s_wait_alu 0xf1ff
	v_xor_b32_e32 v134, s14, v134
	v_cmp_gt_i32_e64 s14, 0, v146
	v_and_b32_e32 v133, v133, v149
	v_not_b32_e32 v146, v147
	v_ashrrev_i32_e32 v144, 31, v144
	v_xor_b32_e32 v135, s15, v135
	v_cmp_gt_i32_e64 s15, 0, v147
	v_and_b32_e32 v133, v133, v134
	v_not_b32_e32 v134, v148
	v_ashrrev_i32_e32 v146, 31, v146
	s_wait_alu 0xf1ff
	v_xor_b32_e32 v144, s14, v144
	v_cmp_gt_i32_e64 s14, 0, v148
	v_and_b32_e32 v133, v133, v135
	v_not_b32_e32 v135, v145
	v_ashrrev_i32_e32 v134, 31, v134
	v_xor_b32_e32 v146, s15, v146
	v_lshl_add_u32 v132, v132, 3, v46
	v_and_b32_e32 v133, v133, v144
	v_cmp_gt_i32_e64 s15, 0, v145
	v_ashrrev_i32_e32 v135, 31, v135
	s_wait_alu 0xf1ff
	v_xor_b32_e32 v134, s14, v134
	v_lshl_add_u32 v144, v132, 2, v12
	v_and_b32_e32 v133, v133, v146
	v_xor_b32_e32 v135, s15, v135
	ds_load_b32 v132, v144 offset:32
	v_and_b32_e32 v133, v133, v134
	v_add_nc_u32_e32 v134, 32, v144
	; wave barrier
	s_delay_alu instid0(VALU_DEP_2) | instskip(NEXT) | instid1(VALU_DEP_1)
	v_and_b32_e32 v135, v133, v135
	v_mbcnt_lo_u32_b32 v133, v135, 0
	v_cmp_ne_u32_e64 s15, 0, v135
	s_delay_alu instid0(VALU_DEP_2)
	v_cmp_eq_u32_e64 s14, 0, v133
	s_and_b32 s15, s15, s14
	s_wait_alu 0xfffe
	s_and_saveexec_b32 s14, s15
	s_cbranch_execz .LBB709_59
; %bb.58:                               ;   in Loop: Header=BB709_53 Depth=1
	s_wait_dscnt 0x0
	v_bcnt_u32_b32 v135, v135, v132
	ds_store_b32 v134, v135
.LBB709_59:                             ;   in Loop: Header=BB709_53 Depth=1
	s_wait_alu 0xfffe
	s_or_b32 exec_lo, exec_lo, s14
	v_lshrrev_b64 v[144:145], v10, v[37:38]
	; wave barrier
	s_delay_alu instid0(VALU_DEP_1) | instskip(NEXT) | instid1(VALU_DEP_1)
	v_and_b32_e32 v135, v144, v192
	v_and_b32_e32 v144, 1, v135
	v_lshlrev_b32_e32 v145, 30, v135
	v_lshlrev_b32_e32 v146, 29, v135
	;; [unrolled: 1-line block ×4, first 2 shown]
	v_add_co_u32 v144, s14, v144, -1
	s_wait_alu 0xf1ff
	v_cndmask_b32_e64 v148, 0, 1, s14
	v_not_b32_e32 v160, v145
	v_cmp_gt_i32_e64 s15, 0, v145
	v_not_b32_e32 v145, v146
	v_lshlrev_b32_e32 v150, 26, v135
	v_cmp_ne_u32_e64 s14, 0, v148
	v_ashrrev_i32_e32 v160, 31, v160
	v_lshlrev_b32_e32 v151, 25, v135
	v_ashrrev_i32_e32 v145, 31, v145
	v_lshlrev_b32_e32 v148, 24, v135
	s_wait_alu 0xf1ff
	v_xor_b32_e32 v144, s14, v144
	v_cmp_gt_i32_e64 s14, 0, v146
	v_not_b32_e32 v146, v147
	v_xor_b32_e32 v160, s15, v160
	v_cmp_gt_i32_e64 s15, 0, v147
	v_and_b32_e32 v144, exec_lo, v144
	v_not_b32_e32 v147, v149
	v_ashrrev_i32_e32 v146, 31, v146
	s_wait_alu 0xf1ff
	v_xor_b32_e32 v145, s14, v145
	v_cmp_gt_i32_e64 s14, 0, v149
	v_and_b32_e32 v144, v144, v160
	v_not_b32_e32 v149, v150
	v_ashrrev_i32_e32 v147, 31, v147
	v_xor_b32_e32 v146, s15, v146
	v_cmp_gt_i32_e64 s15, 0, v150
	v_and_b32_e32 v144, v144, v145
	v_not_b32_e32 v145, v151
	v_ashrrev_i32_e32 v149, 31, v149
	s_wait_alu 0xf1ff
	v_xor_b32_e32 v147, s14, v147
	v_cmp_gt_i32_e64 s14, 0, v151
	v_and_b32_e32 v144, v144, v146
	v_not_b32_e32 v146, v148
	v_ashrrev_i32_e32 v145, 31, v145
	v_xor_b32_e32 v149, s15, v149
	v_lshl_add_u32 v135, v135, 3, v46
	v_and_b32_e32 v144, v144, v147
	v_cmp_gt_i32_e64 s15, 0, v148
	v_ashrrev_i32_e32 v146, 31, v146
	s_wait_alu 0xf1ff
	v_xor_b32_e32 v145, s14, v145
	v_lshl_add_u32 v147, v135, 2, v12
	v_and_b32_e32 v144, v144, v149
	v_xor_b32_e32 v146, s15, v146
	ds_load_b32 v135, v147 offset:32
	v_and_b32_e32 v144, v144, v145
	v_add_nc_u32_e32 v145, 32, v147
	; wave barrier
	s_delay_alu instid0(VALU_DEP_2) | instskip(NEXT) | instid1(VALU_DEP_1)
	v_and_b32_e32 v146, v144, v146
	v_mbcnt_lo_u32_b32 v144, v146, 0
	v_cmp_ne_u32_e64 s15, 0, v146
	s_delay_alu instid0(VALU_DEP_2)
	v_cmp_eq_u32_e64 s14, 0, v144
	s_and_b32 s15, s15, s14
	s_wait_alu 0xfffe
	s_and_saveexec_b32 s14, s15
	s_cbranch_execz .LBB709_61
; %bb.60:                               ;   in Loop: Header=BB709_53 Depth=1
	s_wait_dscnt 0x0
	v_bcnt_u32_b32 v146, v146, v135
	ds_store_b32 v145, v146
.LBB709_61:                             ;   in Loop: Header=BB709_53 Depth=1
	s_wait_alu 0xfffe
	s_or_b32 exec_lo, exec_lo, s14
	v_lshrrev_b64 v[146:147], v10, v[64:65]
	; wave barrier
	s_delay_alu instid0(VALU_DEP_1) | instskip(NEXT) | instid1(VALU_DEP_1)
	v_and_b32_e32 v146, v146, v192
	v_and_b32_e32 v147, 1, v146
	v_lshlrev_b32_e32 v148, 30, v146
	v_lshlrev_b32_e32 v149, 29, v146
	;; [unrolled: 1-line block ×4, first 2 shown]
	v_add_co_u32 v147, s14, v147, -1
	s_wait_alu 0xf1ff
	v_cndmask_b32_e64 v151, 0, 1, s14
	v_not_b32_e32 v163, v148
	v_cmp_gt_i32_e64 s15, 0, v148
	v_not_b32_e32 v148, v149
	v_lshlrev_b32_e32 v161, 26, v146
	v_cmp_ne_u32_e64 s14, 0, v151
	v_ashrrev_i32_e32 v163, 31, v163
	v_lshlrev_b32_e32 v162, 25, v146
	v_ashrrev_i32_e32 v148, 31, v148
	v_lshlrev_b32_e32 v151, 24, v146
	s_wait_alu 0xf1ff
	v_xor_b32_e32 v147, s14, v147
	v_cmp_gt_i32_e64 s14, 0, v149
	v_not_b32_e32 v149, v150
	v_xor_b32_e32 v163, s15, v163
	v_cmp_gt_i32_e64 s15, 0, v150
	v_and_b32_e32 v147, exec_lo, v147
	v_not_b32_e32 v150, v160
	v_ashrrev_i32_e32 v149, 31, v149
	s_wait_alu 0xf1ff
	v_xor_b32_e32 v148, s14, v148
	v_cmp_gt_i32_e64 s14, 0, v160
	v_and_b32_e32 v147, v147, v163
	v_not_b32_e32 v160, v161
	v_ashrrev_i32_e32 v150, 31, v150
	v_xor_b32_e32 v149, s15, v149
	v_cmp_gt_i32_e64 s15, 0, v161
	v_and_b32_e32 v147, v147, v148
	v_not_b32_e32 v148, v162
	v_ashrrev_i32_e32 v160, 31, v160
	s_wait_alu 0xf1ff
	v_xor_b32_e32 v150, s14, v150
	v_cmp_gt_i32_e64 s14, 0, v162
	v_and_b32_e32 v147, v147, v149
	v_not_b32_e32 v149, v151
	v_ashrrev_i32_e32 v148, 31, v148
	v_xor_b32_e32 v160, s15, v160
	v_lshl_add_u32 v146, v146, 3, v46
	v_and_b32_e32 v147, v147, v150
	v_cmp_gt_i32_e64 s15, 0, v151
	v_ashrrev_i32_e32 v149, 31, v149
	s_wait_alu 0xf1ff
	v_xor_b32_e32 v148, s14, v148
	v_lshl_add_u32 v150, v146, 2, v12
	v_and_b32_e32 v147, v147, v160
	v_xor_b32_e32 v149, s15, v149
	ds_load_b32 v146, v150 offset:32
	v_and_b32_e32 v147, v147, v148
	v_add_nc_u32_e32 v148, 32, v150
	; wave barrier
	s_delay_alu instid0(VALU_DEP_2) | instskip(NEXT) | instid1(VALU_DEP_1)
	v_and_b32_e32 v149, v147, v149
	v_mbcnt_lo_u32_b32 v147, v149, 0
	v_cmp_ne_u32_e64 s15, 0, v149
	s_delay_alu instid0(VALU_DEP_2)
	v_cmp_eq_u32_e64 s14, 0, v147
	s_and_b32 s15, s15, s14
	s_wait_alu 0xfffe
	s_and_saveexec_b32 s14, s15
	s_cbranch_execz .LBB709_63
; %bb.62:                               ;   in Loop: Header=BB709_53 Depth=1
	s_wait_dscnt 0x0
	v_bcnt_u32_b32 v149, v149, v146
	ds_store_b32 v148, v149
.LBB709_63:                             ;   in Loop: Header=BB709_53 Depth=1
	s_wait_alu 0xfffe
	s_or_b32 exec_lo, exec_lo, s14
	v_lshrrev_b64 v[149:150], v10, v[68:69]
	; wave barrier
	s_delay_alu instid0(VALU_DEP_1) | instskip(NEXT) | instid1(VALU_DEP_1)
	v_and_b32_e32 v149, v149, v192
	v_and_b32_e32 v150, 1, v149
	v_lshlrev_b32_e32 v151, 30, v149
	v_lshlrev_b32_e32 v160, 29, v149
	;; [unrolled: 1-line block ×4, first 2 shown]
	v_add_co_u32 v150, s14, v150, -1
	s_wait_alu 0xf1ff
	v_cndmask_b32_e64 v162, 0, 1, s14
	v_not_b32_e32 v166, v151
	v_cmp_gt_i32_e64 s15, 0, v151
	v_not_b32_e32 v151, v160
	v_lshlrev_b32_e32 v164, 26, v149
	v_cmp_ne_u32_e64 s14, 0, v162
	v_ashrrev_i32_e32 v166, 31, v166
	v_lshlrev_b32_e32 v165, 25, v149
	v_ashrrev_i32_e32 v151, 31, v151
	v_lshlrev_b32_e32 v162, 24, v149
	s_wait_alu 0xf1ff
	v_xor_b32_e32 v150, s14, v150
	v_cmp_gt_i32_e64 s14, 0, v160
	v_not_b32_e32 v160, v161
	v_xor_b32_e32 v166, s15, v166
	v_cmp_gt_i32_e64 s15, 0, v161
	v_and_b32_e32 v150, exec_lo, v150
	v_not_b32_e32 v161, v163
	v_ashrrev_i32_e32 v160, 31, v160
	s_wait_alu 0xf1ff
	v_xor_b32_e32 v151, s14, v151
	v_cmp_gt_i32_e64 s14, 0, v163
	v_and_b32_e32 v150, v150, v166
	v_not_b32_e32 v163, v164
	v_ashrrev_i32_e32 v161, 31, v161
	v_xor_b32_e32 v160, s15, v160
	v_cmp_gt_i32_e64 s15, 0, v164
	v_and_b32_e32 v150, v150, v151
	v_not_b32_e32 v151, v165
	v_ashrrev_i32_e32 v163, 31, v163
	s_wait_alu 0xf1ff
	v_xor_b32_e32 v161, s14, v161
	v_cmp_gt_i32_e64 s14, 0, v165
	v_and_b32_e32 v150, v150, v160
	v_not_b32_e32 v160, v162
	v_ashrrev_i32_e32 v151, 31, v151
	v_xor_b32_e32 v163, s15, v163
	v_lshl_add_u32 v149, v149, 3, v46
	v_and_b32_e32 v150, v150, v161
	v_cmp_gt_i32_e64 s15, 0, v162
	v_ashrrev_i32_e32 v160, 31, v160
	s_wait_alu 0xf1ff
	v_xor_b32_e32 v151, s14, v151
	v_lshl_add_u32 v161, v149, 2, v12
	v_and_b32_e32 v150, v150, v163
	v_xor_b32_e32 v160, s15, v160
	ds_load_b32 v149, v161 offset:32
	v_and_b32_e32 v150, v150, v151
	v_add_nc_u32_e32 v151, 32, v161
	; wave barrier
	s_delay_alu instid0(VALU_DEP_2) | instskip(NEXT) | instid1(VALU_DEP_1)
	v_and_b32_e32 v160, v150, v160
	v_mbcnt_lo_u32_b32 v150, v160, 0
	v_cmp_ne_u32_e64 s15, 0, v160
	s_delay_alu instid0(VALU_DEP_2)
	v_cmp_eq_u32_e64 s14, 0, v150
	s_and_b32 s15, s15, s14
	s_wait_alu 0xfffe
	s_and_saveexec_b32 s14, s15
	s_cbranch_execz .LBB709_65
; %bb.64:                               ;   in Loop: Header=BB709_53 Depth=1
	s_wait_dscnt 0x0
	v_bcnt_u32_b32 v160, v160, v149
	ds_store_b32 v151, v160
.LBB709_65:                             ;   in Loop: Header=BB709_53 Depth=1
	s_wait_alu 0xfffe
	s_or_b32 exec_lo, exec_lo, s14
	v_lshrrev_b64 v[160:161], v10, v[66:67]
	; wave barrier
	s_delay_alu instid0(VALU_DEP_1) | instskip(NEXT) | instid1(VALU_DEP_1)
	v_and_b32_e32 v160, v160, v192
	v_and_b32_e32 v161, 1, v160
	v_lshlrev_b32_e32 v162, 30, v160
	v_lshlrev_b32_e32 v163, 29, v160
	;; [unrolled: 1-line block ×4, first 2 shown]
	v_add_co_u32 v161, s14, v161, -1
	s_wait_alu 0xf1ff
	v_cndmask_b32_e64 v165, 0, 1, s14
	v_not_b32_e32 v177, v162
	v_cmp_gt_i32_e64 s15, 0, v162
	v_not_b32_e32 v162, v163
	v_lshlrev_b32_e32 v167, 26, v160
	v_cmp_ne_u32_e64 s14, 0, v165
	v_ashrrev_i32_e32 v177, 31, v177
	v_lshlrev_b32_e32 v176, 25, v160
	v_ashrrev_i32_e32 v162, 31, v162
	v_lshlrev_b32_e32 v165, 24, v160
	s_wait_alu 0xf1ff
	v_xor_b32_e32 v161, s14, v161
	v_cmp_gt_i32_e64 s14, 0, v163
	v_not_b32_e32 v163, v164
	v_xor_b32_e32 v177, s15, v177
	v_cmp_gt_i32_e64 s15, 0, v164
	v_and_b32_e32 v161, exec_lo, v161
	v_not_b32_e32 v164, v166
	v_ashrrev_i32_e32 v163, 31, v163
	s_wait_alu 0xf1ff
	v_xor_b32_e32 v162, s14, v162
	v_cmp_gt_i32_e64 s14, 0, v166
	v_and_b32_e32 v161, v161, v177
	v_not_b32_e32 v166, v167
	v_ashrrev_i32_e32 v164, 31, v164
	v_xor_b32_e32 v163, s15, v163
	v_cmp_gt_i32_e64 s15, 0, v167
	v_and_b32_e32 v161, v161, v162
	v_not_b32_e32 v162, v176
	v_ashrrev_i32_e32 v166, 31, v166
	s_wait_alu 0xf1ff
	v_xor_b32_e32 v164, s14, v164
	v_cmp_gt_i32_e64 s14, 0, v176
	v_and_b32_e32 v161, v161, v163
	v_not_b32_e32 v163, v165
	v_ashrrev_i32_e32 v162, 31, v162
	v_xor_b32_e32 v166, s15, v166
	v_lshl_add_u32 v160, v160, 3, v46
	v_and_b32_e32 v161, v161, v164
	v_cmp_gt_i32_e64 s15, 0, v165
	v_ashrrev_i32_e32 v163, 31, v163
	s_wait_alu 0xf1ff
	v_xor_b32_e32 v162, s14, v162
	v_lshl_add_u32 v164, v160, 2, v12
	v_and_b32_e32 v161, v161, v166
	v_xor_b32_e32 v163, s15, v163
	ds_load_b32 v160, v164 offset:32
	v_and_b32_e32 v161, v161, v162
	v_add_nc_u32_e32 v162, 32, v164
	; wave barrier
	s_delay_alu instid0(VALU_DEP_2) | instskip(NEXT) | instid1(VALU_DEP_1)
	v_and_b32_e32 v163, v161, v163
	v_mbcnt_lo_u32_b32 v161, v163, 0
	v_cmp_ne_u32_e64 s15, 0, v163
	s_delay_alu instid0(VALU_DEP_2)
	v_cmp_eq_u32_e64 s14, 0, v161
	s_and_b32 s15, s15, s14
	s_wait_alu 0xfffe
	s_and_saveexec_b32 s14, s15
	s_cbranch_execz .LBB709_67
; %bb.66:                               ;   in Loop: Header=BB709_53 Depth=1
	s_wait_dscnt 0x0
	v_bcnt_u32_b32 v163, v163, v160
	ds_store_b32 v162, v163
.LBB709_67:                             ;   in Loop: Header=BB709_53 Depth=1
	s_wait_alu 0xfffe
	s_or_b32 exec_lo, exec_lo, s14
	v_lshrrev_b64 v[163:164], v10, v[70:71]
	; wave barrier
	s_delay_alu instid0(VALU_DEP_1) | instskip(NEXT) | instid1(VALU_DEP_1)
	v_and_b32_e32 v163, v163, v192
	v_and_b32_e32 v164, 1, v163
	v_lshlrev_b32_e32 v165, 30, v163
	v_lshlrev_b32_e32 v166, 29, v163
	;; [unrolled: 1-line block ×4, first 2 shown]
	v_add_co_u32 v164, s14, v164, -1
	s_wait_alu 0xf1ff
	v_cndmask_b32_e64 v176, 0, 1, s14
	v_not_b32_e32 v180, v165
	v_cmp_gt_i32_e64 s15, 0, v165
	v_not_b32_e32 v165, v166
	v_lshlrev_b32_e32 v178, 26, v163
	v_cmp_ne_u32_e64 s14, 0, v176
	v_ashrrev_i32_e32 v180, 31, v180
	v_lshlrev_b32_e32 v179, 25, v163
	v_ashrrev_i32_e32 v165, 31, v165
	v_lshlrev_b32_e32 v176, 24, v163
	s_wait_alu 0xf1ff
	v_xor_b32_e32 v164, s14, v164
	v_cmp_gt_i32_e64 s14, 0, v166
	v_not_b32_e32 v166, v167
	v_xor_b32_e32 v180, s15, v180
	v_cmp_gt_i32_e64 s15, 0, v167
	v_and_b32_e32 v164, exec_lo, v164
	v_not_b32_e32 v167, v177
	v_ashrrev_i32_e32 v166, 31, v166
	s_wait_alu 0xf1ff
	v_xor_b32_e32 v165, s14, v165
	v_cmp_gt_i32_e64 s14, 0, v177
	v_and_b32_e32 v164, v164, v180
	v_not_b32_e32 v177, v178
	v_ashrrev_i32_e32 v167, 31, v167
	v_xor_b32_e32 v166, s15, v166
	v_cmp_gt_i32_e64 s15, 0, v178
	v_and_b32_e32 v164, v164, v165
	v_not_b32_e32 v165, v179
	v_ashrrev_i32_e32 v177, 31, v177
	s_wait_alu 0xf1ff
	v_xor_b32_e32 v167, s14, v167
	v_cmp_gt_i32_e64 s14, 0, v179
	v_and_b32_e32 v164, v164, v166
	v_not_b32_e32 v166, v176
	v_ashrrev_i32_e32 v165, 31, v165
	v_xor_b32_e32 v177, s15, v177
	v_lshl_add_u32 v163, v163, 3, v46
	v_and_b32_e32 v164, v164, v167
	v_cmp_gt_i32_e64 s15, 0, v176
	v_ashrrev_i32_e32 v166, 31, v166
	s_wait_alu 0xf1ff
	v_xor_b32_e32 v165, s14, v165
	v_lshl_add_u32 v167, v163, 2, v12
	v_and_b32_e32 v164, v164, v177
	v_xor_b32_e32 v166, s15, v166
	ds_load_b32 v163, v167 offset:32
	v_and_b32_e32 v164, v164, v165
	v_add_nc_u32_e32 v165, 32, v167
	; wave barrier
	s_delay_alu instid0(VALU_DEP_2) | instskip(NEXT) | instid1(VALU_DEP_1)
	v_and_b32_e32 v166, v164, v166
	v_mbcnt_lo_u32_b32 v164, v166, 0
	v_cmp_ne_u32_e64 s15, 0, v166
	s_delay_alu instid0(VALU_DEP_2)
	v_cmp_eq_u32_e64 s14, 0, v164
	s_and_b32 s15, s15, s14
	s_wait_alu 0xfffe
	s_and_saveexec_b32 s14, s15
	s_cbranch_execz .LBB709_69
; %bb.68:                               ;   in Loop: Header=BB709_53 Depth=1
	s_wait_dscnt 0x0
	v_bcnt_u32_b32 v166, v166, v163
	ds_store_b32 v165, v166
.LBB709_69:                             ;   in Loop: Header=BB709_53 Depth=1
	s_wait_alu 0xfffe
	s_or_b32 exec_lo, exec_lo, s14
	v_lshrrev_b64 v[166:167], v10, v[80:81]
	; wave barrier
	s_delay_alu instid0(VALU_DEP_1) | instskip(NEXT) | instid1(VALU_DEP_1)
	v_and_b32_e32 v166, v166, v192
	v_and_b32_e32 v167, 1, v166
	v_lshlrev_b32_e32 v176, 30, v166
	v_lshlrev_b32_e32 v177, 29, v166
	v_lshlrev_b32_e32 v178, 28, v166
	v_lshlrev_b32_e32 v180, 27, v166
	v_add_co_u32 v167, s14, v167, -1
	s_wait_alu 0xf1ff
	v_cndmask_b32_e64 v179, 0, 1, s14
	v_not_b32_e32 v183, v176
	v_cmp_gt_i32_e64 s15, 0, v176
	v_not_b32_e32 v176, v177
	v_lshlrev_b32_e32 v181, 26, v166
	v_cmp_ne_u32_e64 s14, 0, v179
	v_ashrrev_i32_e32 v183, 31, v183
	v_lshlrev_b32_e32 v182, 25, v166
	v_ashrrev_i32_e32 v176, 31, v176
	v_lshlrev_b32_e32 v179, 24, v166
	s_wait_alu 0xf1ff
	v_xor_b32_e32 v167, s14, v167
	v_cmp_gt_i32_e64 s14, 0, v177
	v_not_b32_e32 v177, v178
	v_xor_b32_e32 v183, s15, v183
	v_cmp_gt_i32_e64 s15, 0, v178
	v_and_b32_e32 v167, exec_lo, v167
	v_not_b32_e32 v178, v180
	v_ashrrev_i32_e32 v177, 31, v177
	s_wait_alu 0xf1ff
	v_xor_b32_e32 v176, s14, v176
	v_cmp_gt_i32_e64 s14, 0, v180
	v_and_b32_e32 v167, v167, v183
	v_not_b32_e32 v180, v181
	v_ashrrev_i32_e32 v178, 31, v178
	v_xor_b32_e32 v177, s15, v177
	v_cmp_gt_i32_e64 s15, 0, v181
	v_and_b32_e32 v167, v167, v176
	v_not_b32_e32 v176, v182
	v_ashrrev_i32_e32 v180, 31, v180
	s_wait_alu 0xf1ff
	v_xor_b32_e32 v178, s14, v178
	v_cmp_gt_i32_e64 s14, 0, v182
	v_and_b32_e32 v167, v167, v177
	v_not_b32_e32 v177, v179
	v_ashrrev_i32_e32 v176, 31, v176
	v_xor_b32_e32 v180, s15, v180
	v_lshl_add_u32 v166, v166, 3, v46
	v_and_b32_e32 v167, v167, v178
	v_cmp_gt_i32_e64 s15, 0, v179
	v_ashrrev_i32_e32 v177, 31, v177
	s_wait_alu 0xf1ff
	v_xor_b32_e32 v176, s14, v176
	v_lshl_add_u32 v178, v166, 2, v12
	v_and_b32_e32 v167, v167, v180
	v_xor_b32_e32 v177, s15, v177
	ds_load_b32 v166, v178 offset:32
	v_and_b32_e32 v167, v167, v176
	v_add_nc_u32_e32 v176, 32, v178
	; wave barrier
	s_delay_alu instid0(VALU_DEP_2) | instskip(NEXT) | instid1(VALU_DEP_1)
	v_and_b32_e32 v177, v167, v177
	v_mbcnt_lo_u32_b32 v167, v177, 0
	v_cmp_ne_u32_e64 s15, 0, v177
	s_delay_alu instid0(VALU_DEP_2)
	v_cmp_eq_u32_e64 s14, 0, v167
	s_and_b32 s15, s15, s14
	s_wait_alu 0xfffe
	s_and_saveexec_b32 s14, s15
	s_cbranch_execz .LBB709_71
; %bb.70:                               ;   in Loop: Header=BB709_53 Depth=1
	s_wait_dscnt 0x0
	v_bcnt_u32_b32 v177, v177, v166
	ds_store_b32 v176, v177
.LBB709_71:                             ;   in Loop: Header=BB709_53 Depth=1
	s_wait_alu 0xfffe
	s_or_b32 exec_lo, exec_lo, s14
	v_lshrrev_b64 v[177:178], v10, v[82:83]
	; wave barrier
	s_delay_alu instid0(VALU_DEP_1) | instskip(NEXT) | instid1(VALU_DEP_1)
	v_and_b32_e32 v177, v177, v192
	v_and_b32_e32 v178, 1, v177
	v_lshlrev_b32_e32 v179, 30, v177
	v_lshlrev_b32_e32 v180, 29, v177
	;; [unrolled: 1-line block ×4, first 2 shown]
	v_add_co_u32 v178, s14, v178, -1
	s_wait_alu 0xf1ff
	v_cndmask_b32_e64 v182, 0, 1, s14
	v_not_b32_e32 v195, v179
	v_cmp_gt_i32_e64 s15, 0, v179
	v_not_b32_e32 v179, v180
	v_lshlrev_b32_e32 v193, 26, v177
	v_cmp_ne_u32_e64 s14, 0, v182
	v_ashrrev_i32_e32 v195, 31, v195
	v_lshlrev_b32_e32 v194, 25, v177
	v_ashrrev_i32_e32 v179, 31, v179
	v_lshlrev_b32_e32 v182, 24, v177
	s_wait_alu 0xf1ff
	v_xor_b32_e32 v178, s14, v178
	v_cmp_gt_i32_e64 s14, 0, v180
	v_not_b32_e32 v180, v181
	v_xor_b32_e32 v195, s15, v195
	v_cmp_gt_i32_e64 s15, 0, v181
	v_and_b32_e32 v178, exec_lo, v178
	v_not_b32_e32 v181, v183
	v_ashrrev_i32_e32 v180, 31, v180
	s_wait_alu 0xf1ff
	v_xor_b32_e32 v179, s14, v179
	v_cmp_gt_i32_e64 s14, 0, v183
	v_and_b32_e32 v178, v178, v195
	v_not_b32_e32 v183, v193
	v_ashrrev_i32_e32 v181, 31, v181
	v_xor_b32_e32 v180, s15, v180
	v_cmp_gt_i32_e64 s15, 0, v193
	v_and_b32_e32 v178, v178, v179
	v_not_b32_e32 v179, v194
	v_ashrrev_i32_e32 v183, 31, v183
	s_wait_alu 0xf1ff
	v_xor_b32_e32 v181, s14, v181
	v_cmp_gt_i32_e64 s14, 0, v194
	v_and_b32_e32 v178, v178, v180
	v_not_b32_e32 v180, v182
	v_ashrrev_i32_e32 v179, 31, v179
	v_xor_b32_e32 v183, s15, v183
	v_lshl_add_u32 v177, v177, 3, v46
	v_and_b32_e32 v178, v178, v181
	v_cmp_gt_i32_e64 s15, 0, v182
	v_ashrrev_i32_e32 v180, 31, v180
	s_wait_alu 0xf1ff
	v_xor_b32_e32 v179, s14, v179
	v_lshl_add_u32 v181, v177, 2, v12
	v_and_b32_e32 v178, v178, v183
	v_xor_b32_e32 v180, s15, v180
	ds_load_b32 v177, v181 offset:32
	v_and_b32_e32 v178, v178, v179
	v_add_nc_u32_e32 v179, 32, v181
	; wave barrier
	s_delay_alu instid0(VALU_DEP_2) | instskip(NEXT) | instid1(VALU_DEP_1)
	v_and_b32_e32 v180, v178, v180
	v_mbcnt_lo_u32_b32 v178, v180, 0
	v_cmp_ne_u32_e64 s15, 0, v180
	s_delay_alu instid0(VALU_DEP_2)
	v_cmp_eq_u32_e64 s14, 0, v178
	s_and_b32 s15, s15, s14
	s_wait_alu 0xfffe
	s_and_saveexec_b32 s14, s15
	s_cbranch_execz .LBB709_73
; %bb.72:                               ;   in Loop: Header=BB709_53 Depth=1
	s_wait_dscnt 0x0
	v_bcnt_u32_b32 v180, v180, v177
	ds_store_b32 v179, v180
.LBB709_73:                             ;   in Loop: Header=BB709_53 Depth=1
	s_wait_alu 0xfffe
	s_or_b32 exec_lo, exec_lo, s14
	v_lshrrev_b64 v[180:181], v10, v[84:85]
	; wave barrier
	s_delay_alu instid0(VALU_DEP_1) | instskip(NEXT) | instid1(VALU_DEP_1)
	v_and_b32_e32 v180, v180, v192
	v_and_b32_e32 v181, 1, v180
	v_lshlrev_b32_e32 v182, 30, v180
	v_lshlrev_b32_e32 v183, 29, v180
	;; [unrolled: 1-line block ×4, first 2 shown]
	v_add_co_u32 v181, s14, v181, -1
	s_wait_alu 0xf1ff
	v_cndmask_b32_e64 v194, 0, 1, s14
	v_not_b32_e32 v198, v182
	v_cmp_gt_i32_e64 s15, 0, v182
	v_not_b32_e32 v182, v183
	v_lshlrev_b32_e32 v196, 26, v180
	v_cmp_ne_u32_e64 s14, 0, v194
	v_ashrrev_i32_e32 v198, 31, v198
	v_lshlrev_b32_e32 v197, 25, v180
	v_ashrrev_i32_e32 v182, 31, v182
	v_lshlrev_b32_e32 v194, 24, v180
	s_wait_alu 0xf1ff
	v_xor_b32_e32 v181, s14, v181
	v_cmp_gt_i32_e64 s14, 0, v183
	v_not_b32_e32 v183, v193
	v_xor_b32_e32 v198, s15, v198
	v_cmp_gt_i32_e64 s15, 0, v193
	v_and_b32_e32 v181, exec_lo, v181
	v_not_b32_e32 v193, v195
	v_ashrrev_i32_e32 v183, 31, v183
	s_wait_alu 0xf1ff
	v_xor_b32_e32 v182, s14, v182
	v_cmp_gt_i32_e64 s14, 0, v195
	v_and_b32_e32 v181, v181, v198
	v_not_b32_e32 v195, v196
	v_ashrrev_i32_e32 v193, 31, v193
	v_xor_b32_e32 v183, s15, v183
	v_cmp_gt_i32_e64 s15, 0, v196
	v_and_b32_e32 v181, v181, v182
	v_not_b32_e32 v182, v197
	v_ashrrev_i32_e32 v195, 31, v195
	s_wait_alu 0xf1ff
	v_xor_b32_e32 v193, s14, v193
	v_cmp_gt_i32_e64 s14, 0, v197
	v_and_b32_e32 v181, v181, v183
	v_not_b32_e32 v183, v194
	v_ashrrev_i32_e32 v182, 31, v182
	v_xor_b32_e32 v195, s15, v195
	v_lshl_add_u32 v180, v180, 3, v46
	v_and_b32_e32 v181, v181, v193
	v_cmp_gt_i32_e64 s15, 0, v194
	v_ashrrev_i32_e32 v183, 31, v183
	s_wait_alu 0xf1ff
	v_xor_b32_e32 v182, s14, v182
	v_lshl_add_u32 v193, v180, 2, v12
	v_and_b32_e32 v181, v181, v195
	v_xor_b32_e32 v183, s15, v183
	ds_load_b32 v180, v193 offset:32
	v_and_b32_e32 v181, v181, v182
	v_add_nc_u32_e32 v182, 32, v193
	; wave barrier
	s_delay_alu instid0(VALU_DEP_2) | instskip(NEXT) | instid1(VALU_DEP_1)
	v_and_b32_e32 v183, v181, v183
	v_mbcnt_lo_u32_b32 v181, v183, 0
	v_cmp_ne_u32_e64 s15, 0, v183
	s_delay_alu instid0(VALU_DEP_2)
	v_cmp_eq_u32_e64 s14, 0, v181
	s_and_b32 s15, s15, s14
	s_wait_alu 0xfffe
	s_and_saveexec_b32 s14, s15
	s_cbranch_execz .LBB709_75
; %bb.74:                               ;   in Loop: Header=BB709_53 Depth=1
	s_wait_dscnt 0x0
	v_bcnt_u32_b32 v183, v183, v180
	ds_store_b32 v182, v183
.LBB709_75:                             ;   in Loop: Header=BB709_53 Depth=1
	s_wait_alu 0xfffe
	s_or_b32 exec_lo, exec_lo, s14
	v_lshrrev_b64 v[193:194], v10, v[86:87]
	; wave barrier
	s_delay_alu instid0(VALU_DEP_1) | instskip(NEXT) | instid1(VALU_DEP_1)
	v_and_b32_e32 v183, v193, v192
	v_and_b32_e32 v193, 1, v183
	v_lshlrev_b32_e32 v194, 30, v183
	v_lshlrev_b32_e32 v195, 29, v183
	v_lshlrev_b32_e32 v196, 28, v183
	v_lshlrev_b32_e32 v198, 27, v183
	v_add_co_u32 v193, s14, v193, -1
	s_wait_alu 0xf1ff
	v_cndmask_b32_e64 v197, 0, 1, s14
	v_not_b32_e32 v209, v194
	v_cmp_gt_i32_e64 s15, 0, v194
	v_not_b32_e32 v194, v195
	v_lshlrev_b32_e32 v199, 26, v183
	v_cmp_ne_u32_e64 s14, 0, v197
	v_ashrrev_i32_e32 v209, 31, v209
	v_lshlrev_b32_e32 v208, 25, v183
	v_ashrrev_i32_e32 v194, 31, v194
	v_lshlrev_b32_e32 v197, 24, v183
	s_wait_alu 0xf1ff
	v_xor_b32_e32 v193, s14, v193
	v_cmp_gt_i32_e64 s14, 0, v195
	v_not_b32_e32 v195, v196
	v_xor_b32_e32 v209, s15, v209
	v_cmp_gt_i32_e64 s15, 0, v196
	v_and_b32_e32 v193, exec_lo, v193
	v_not_b32_e32 v196, v198
	v_ashrrev_i32_e32 v195, 31, v195
	s_wait_alu 0xf1ff
	v_xor_b32_e32 v194, s14, v194
	v_cmp_gt_i32_e64 s14, 0, v198
	v_and_b32_e32 v193, v193, v209
	v_not_b32_e32 v198, v199
	v_ashrrev_i32_e32 v196, 31, v196
	v_xor_b32_e32 v195, s15, v195
	v_cmp_gt_i32_e64 s15, 0, v199
	v_and_b32_e32 v193, v193, v194
	v_not_b32_e32 v194, v208
	v_ashrrev_i32_e32 v198, 31, v198
	s_wait_alu 0xf1ff
	v_xor_b32_e32 v196, s14, v196
	v_cmp_gt_i32_e64 s14, 0, v208
	v_and_b32_e32 v193, v193, v195
	v_not_b32_e32 v195, v197
	v_ashrrev_i32_e32 v194, 31, v194
	v_xor_b32_e32 v198, s15, v198
	v_lshl_add_u32 v183, v183, 3, v46
	v_and_b32_e32 v193, v193, v196
	v_cmp_gt_i32_e64 s15, 0, v197
	v_ashrrev_i32_e32 v195, 31, v195
	s_wait_alu 0xf1ff
	v_xor_b32_e32 v194, s14, v194
	v_lshl_add_u32 v196, v183, 2, v12
	v_and_b32_e32 v193, v193, v198
	v_xor_b32_e32 v195, s15, v195
	ds_load_b32 v183, v196 offset:32
	v_and_b32_e32 v193, v193, v194
	v_add_nc_u32_e32 v194, 32, v196
	; wave barrier
	s_delay_alu instid0(VALU_DEP_2) | instskip(NEXT) | instid1(VALU_DEP_1)
	v_and_b32_e32 v195, v193, v195
	v_mbcnt_lo_u32_b32 v193, v195, 0
	v_cmp_ne_u32_e64 s15, 0, v195
	s_delay_alu instid0(VALU_DEP_2)
	v_cmp_eq_u32_e64 s14, 0, v193
	s_and_b32 s15, s15, s14
	s_wait_alu 0xfffe
	s_and_saveexec_b32 s14, s15
	s_cbranch_execz .LBB709_77
; %bb.76:                               ;   in Loop: Header=BB709_53 Depth=1
	s_wait_dscnt 0x0
	v_bcnt_u32_b32 v195, v195, v183
	ds_store_b32 v194, v195
.LBB709_77:                             ;   in Loop: Header=BB709_53 Depth=1
	s_wait_alu 0xfffe
	s_or_b32 exec_lo, exec_lo, s14
	v_lshrrev_b64 v[195:196], v10, v[96:97]
	; wave barrier
	s_delay_alu instid0(VALU_DEP_1) | instskip(NEXT) | instid1(VALU_DEP_1)
	v_and_b32_e32 v195, v195, v192
	v_and_b32_e32 v196, 1, v195
	v_lshlrev_b32_e32 v197, 30, v195
	v_lshlrev_b32_e32 v198, 29, v195
	;; [unrolled: 1-line block ×4, first 2 shown]
	v_add_co_u32 v196, s14, v196, -1
	s_wait_alu 0xf1ff
	v_cndmask_b32_e64 v208, 0, 1, s14
	v_not_b32_e32 v212, v197
	v_cmp_gt_i32_e64 s15, 0, v197
	v_not_b32_e32 v197, v198
	v_lshlrev_b32_e32 v210, 26, v195
	v_cmp_ne_u32_e64 s14, 0, v208
	v_ashrrev_i32_e32 v212, 31, v212
	v_lshlrev_b32_e32 v211, 25, v195
	v_ashrrev_i32_e32 v197, 31, v197
	v_lshlrev_b32_e32 v208, 24, v195
	s_wait_alu 0xf1ff
	v_xor_b32_e32 v196, s14, v196
	v_cmp_gt_i32_e64 s14, 0, v198
	v_not_b32_e32 v198, v199
	v_xor_b32_e32 v212, s15, v212
	v_cmp_gt_i32_e64 s15, 0, v199
	v_and_b32_e32 v196, exec_lo, v196
	v_not_b32_e32 v199, v209
	v_ashrrev_i32_e32 v198, 31, v198
	s_wait_alu 0xf1ff
	v_xor_b32_e32 v197, s14, v197
	v_cmp_gt_i32_e64 s14, 0, v209
	v_and_b32_e32 v196, v196, v212
	v_not_b32_e32 v209, v210
	v_ashrrev_i32_e32 v199, 31, v199
	v_xor_b32_e32 v198, s15, v198
	v_cmp_gt_i32_e64 s15, 0, v210
	v_and_b32_e32 v196, v196, v197
	v_not_b32_e32 v197, v211
	v_ashrrev_i32_e32 v209, 31, v209
	s_wait_alu 0xf1ff
	v_xor_b32_e32 v199, s14, v199
	v_cmp_gt_i32_e64 s14, 0, v211
	v_and_b32_e32 v196, v196, v198
	v_not_b32_e32 v198, v208
	v_ashrrev_i32_e32 v197, 31, v197
	v_xor_b32_e32 v209, s15, v209
	v_lshl_add_u32 v195, v195, 3, v46
	v_and_b32_e32 v196, v196, v199
	v_cmp_gt_i32_e64 s15, 0, v208
	v_ashrrev_i32_e32 v198, 31, v198
	s_wait_alu 0xf1ff
	v_xor_b32_e32 v197, s14, v197
	v_lshl_add_u32 v199, v195, 2, v12
	v_and_b32_e32 v196, v196, v209
	v_xor_b32_e32 v198, s15, v198
	ds_load_b32 v195, v199 offset:32
	v_and_b32_e32 v196, v196, v197
	v_add_nc_u32_e32 v197, 32, v199
	; wave barrier
	s_delay_alu instid0(VALU_DEP_2) | instskip(NEXT) | instid1(VALU_DEP_1)
	v_and_b32_e32 v198, v196, v198
	v_mbcnt_lo_u32_b32 v196, v198, 0
	v_cmp_ne_u32_e64 s15, 0, v198
	s_delay_alu instid0(VALU_DEP_2)
	v_cmp_eq_u32_e64 s14, 0, v196
	s_and_b32 s15, s15, s14
	s_wait_alu 0xfffe
	s_and_saveexec_b32 s14, s15
	s_cbranch_execz .LBB709_79
; %bb.78:                               ;   in Loop: Header=BB709_53 Depth=1
	s_wait_dscnt 0x0
	v_bcnt_u32_b32 v198, v198, v195
	ds_store_b32 v197, v198
.LBB709_79:                             ;   in Loop: Header=BB709_53 Depth=1
	s_wait_alu 0xfffe
	s_or_b32 exec_lo, exec_lo, s14
	v_lshrrev_b64 v[198:199], v10, v[98:99]
	; wave barrier
	s_delay_alu instid0(VALU_DEP_1) | instskip(NEXT) | instid1(VALU_DEP_1)
	v_and_b32_e32 v198, v198, v192
	v_and_b32_e32 v199, 1, v198
	v_lshlrev_b32_e32 v208, 30, v198
	v_lshlrev_b32_e32 v209, 29, v198
	;; [unrolled: 1-line block ×4, first 2 shown]
	v_add_co_u32 v199, s14, v199, -1
	s_wait_alu 0xf1ff
	v_cndmask_b32_e64 v211, 0, 1, s14
	v_not_b32_e32 v215, v208
	v_cmp_gt_i32_e64 s15, 0, v208
	v_not_b32_e32 v208, v209
	v_lshlrev_b32_e32 v213, 26, v198
	v_cmp_ne_u32_e64 s14, 0, v211
	v_ashrrev_i32_e32 v215, 31, v215
	v_lshlrev_b32_e32 v214, 25, v198
	v_ashrrev_i32_e32 v208, 31, v208
	v_lshlrev_b32_e32 v211, 24, v198
	s_wait_alu 0xf1ff
	v_xor_b32_e32 v199, s14, v199
	v_cmp_gt_i32_e64 s14, 0, v209
	v_not_b32_e32 v209, v210
	v_xor_b32_e32 v215, s15, v215
	v_cmp_gt_i32_e64 s15, 0, v210
	v_and_b32_e32 v199, exec_lo, v199
	v_not_b32_e32 v210, v212
	v_ashrrev_i32_e32 v209, 31, v209
	s_wait_alu 0xf1ff
	v_xor_b32_e32 v208, s14, v208
	v_cmp_gt_i32_e64 s14, 0, v212
	v_and_b32_e32 v199, v199, v215
	v_not_b32_e32 v212, v213
	v_ashrrev_i32_e32 v210, 31, v210
	v_xor_b32_e32 v209, s15, v209
	v_cmp_gt_i32_e64 s15, 0, v213
	v_and_b32_e32 v199, v199, v208
	v_not_b32_e32 v208, v214
	v_ashrrev_i32_e32 v212, 31, v212
	s_wait_alu 0xf1ff
	v_xor_b32_e32 v210, s14, v210
	v_cmp_gt_i32_e64 s14, 0, v214
	v_and_b32_e32 v199, v199, v209
	v_not_b32_e32 v209, v211
	v_ashrrev_i32_e32 v208, 31, v208
	v_xor_b32_e32 v212, s15, v212
	v_lshl_add_u32 v198, v198, 3, v46
	v_and_b32_e32 v199, v199, v210
	v_cmp_gt_i32_e64 s15, 0, v211
	v_ashrrev_i32_e32 v209, 31, v209
	s_wait_alu 0xf1ff
	v_xor_b32_e32 v208, s14, v208
	v_lshl_add_u32 v210, v198, 2, v12
	v_and_b32_e32 v199, v199, v212
	v_xor_b32_e32 v209, s15, v209
	ds_load_b32 v198, v210 offset:32
	v_and_b32_e32 v199, v199, v208
	v_add_nc_u32_e32 v208, 32, v210
	; wave barrier
	s_delay_alu instid0(VALU_DEP_2) | instskip(NEXT) | instid1(VALU_DEP_1)
	v_and_b32_e32 v209, v199, v209
	v_mbcnt_lo_u32_b32 v199, v209, 0
	v_cmp_ne_u32_e64 s15, 0, v209
	s_delay_alu instid0(VALU_DEP_2)
	v_cmp_eq_u32_e64 s14, 0, v199
	s_and_b32 s15, s15, s14
	s_wait_alu 0xfffe
	s_and_saveexec_b32 s14, s15
	s_cbranch_execz .LBB709_81
; %bb.80:                               ;   in Loop: Header=BB709_53 Depth=1
	s_wait_dscnt 0x0
	v_bcnt_u32_b32 v209, v209, v198
	ds_store_b32 v208, v209
.LBB709_81:                             ;   in Loop: Header=BB709_53 Depth=1
	s_wait_alu 0xfffe
	s_or_b32 exec_lo, exec_lo, s14
	v_lshrrev_b64 v[209:210], v10, v[100:101]
	; wave barrier
	s_delay_alu instid0(VALU_DEP_1) | instskip(NEXT) | instid1(VALU_DEP_1)
	v_and_b32_e32 v209, v209, v192
	v_and_b32_e32 v210, 1, v209
	v_lshlrev_b32_e32 v211, 30, v209
	v_lshlrev_b32_e32 v212, 29, v209
	;; [unrolled: 1-line block ×4, first 2 shown]
	v_add_co_u32 v210, s14, v210, -1
	s_wait_alu 0xf1ff
	v_cndmask_b32_e64 v214, 0, 1, s14
	v_not_b32_e32 v226, v211
	v_cmp_gt_i32_e64 s15, 0, v211
	v_not_b32_e32 v211, v212
	v_lshlrev_b32_e32 v224, 26, v209
	v_cmp_ne_u32_e64 s14, 0, v214
	v_ashrrev_i32_e32 v226, 31, v226
	v_lshlrev_b32_e32 v225, 25, v209
	v_ashrrev_i32_e32 v211, 31, v211
	v_lshlrev_b32_e32 v214, 24, v209
	s_wait_alu 0xf1ff
	v_xor_b32_e32 v210, s14, v210
	v_cmp_gt_i32_e64 s14, 0, v212
	v_not_b32_e32 v212, v213
	v_xor_b32_e32 v226, s15, v226
	v_cmp_gt_i32_e64 s15, 0, v213
	v_and_b32_e32 v210, exec_lo, v210
	v_not_b32_e32 v213, v215
	v_ashrrev_i32_e32 v212, 31, v212
	s_wait_alu 0xf1ff
	v_xor_b32_e32 v211, s14, v211
	v_cmp_gt_i32_e64 s14, 0, v215
	v_and_b32_e32 v210, v210, v226
	v_not_b32_e32 v215, v224
	v_ashrrev_i32_e32 v213, 31, v213
	v_xor_b32_e32 v212, s15, v212
	v_cmp_gt_i32_e64 s15, 0, v224
	v_and_b32_e32 v210, v210, v211
	v_not_b32_e32 v211, v225
	v_ashrrev_i32_e32 v215, 31, v215
	s_wait_alu 0xf1ff
	v_xor_b32_e32 v213, s14, v213
	v_cmp_gt_i32_e64 s14, 0, v225
	v_and_b32_e32 v210, v210, v212
	v_not_b32_e32 v212, v214
	v_ashrrev_i32_e32 v211, 31, v211
	v_xor_b32_e32 v215, s15, v215
	v_lshl_add_u32 v209, v209, 3, v46
	v_and_b32_e32 v210, v210, v213
	v_cmp_gt_i32_e64 s15, 0, v214
	v_ashrrev_i32_e32 v212, 31, v212
	s_wait_alu 0xf1ff
	v_xor_b32_e32 v211, s14, v211
	v_lshl_add_u32 v213, v209, 2, v12
	v_and_b32_e32 v210, v210, v215
	v_xor_b32_e32 v212, s15, v212
	ds_load_b32 v209, v213 offset:32
	v_and_b32_e32 v210, v210, v211
	v_add_nc_u32_e32 v211, 32, v213
	; wave barrier
	s_delay_alu instid0(VALU_DEP_2) | instskip(NEXT) | instid1(VALU_DEP_1)
	v_and_b32_e32 v212, v210, v212
	v_mbcnt_lo_u32_b32 v210, v212, 0
	v_cmp_ne_u32_e64 s15, 0, v212
	s_delay_alu instid0(VALU_DEP_2)
	v_cmp_eq_u32_e64 s14, 0, v210
	s_and_b32 s15, s15, s14
	s_wait_alu 0xfffe
	s_and_saveexec_b32 s14, s15
	s_cbranch_execz .LBB709_83
; %bb.82:                               ;   in Loop: Header=BB709_53 Depth=1
	s_wait_dscnt 0x0
	v_bcnt_u32_b32 v212, v212, v209
	ds_store_b32 v211, v212
.LBB709_83:                             ;   in Loop: Header=BB709_53 Depth=1
	s_wait_alu 0xfffe
	s_or_b32 exec_lo, exec_lo, s14
	v_lshrrev_b64 v[212:213], v10, v[102:103]
	; wave barrier
	s_delay_alu instid0(VALU_DEP_1) | instskip(NEXT) | instid1(VALU_DEP_1)
	v_and_b32_e32 v192, v212, v192
	v_and_b32_e32 v212, 1, v192
	v_lshlrev_b32_e32 v213, 30, v192
	v_lshlrev_b32_e32 v214, 29, v192
	v_lshlrev_b32_e32 v215, 28, v192
	v_lshlrev_b32_e32 v225, 27, v192
	v_add_co_u32 v212, s14, v212, -1
	s_wait_alu 0xf1ff
	v_cndmask_b32_e64 v224, 0, 1, s14
	v_not_b32_e32 v228, v213
	v_cmp_gt_i32_e64 s15, 0, v213
	v_not_b32_e32 v213, v214
	v_lshlrev_b32_e32 v226, 26, v192
	v_cmp_ne_u32_e64 s14, 0, v224
	v_ashrrev_i32_e32 v228, 31, v228
	v_lshlrev_b32_e32 v227, 25, v192
	v_ashrrev_i32_e32 v213, 31, v213
	v_lshlrev_b32_e32 v224, 24, v192
	s_wait_alu 0xf1ff
	v_xor_b32_e32 v212, s14, v212
	v_cmp_gt_i32_e64 s14, 0, v214
	v_not_b32_e32 v214, v215
	v_xor_b32_e32 v228, s15, v228
	v_cmp_gt_i32_e64 s15, 0, v215
	v_and_b32_e32 v212, exec_lo, v212
	v_not_b32_e32 v215, v225
	v_ashrrev_i32_e32 v214, 31, v214
	s_wait_alu 0xf1ff
	v_xor_b32_e32 v213, s14, v213
	v_cmp_gt_i32_e64 s14, 0, v225
	v_and_b32_e32 v212, v212, v228
	v_not_b32_e32 v225, v226
	v_ashrrev_i32_e32 v215, 31, v215
	v_xor_b32_e32 v214, s15, v214
	v_cmp_gt_i32_e64 s15, 0, v226
	v_and_b32_e32 v212, v212, v213
	v_not_b32_e32 v213, v227
	v_ashrrev_i32_e32 v225, 31, v225
	s_wait_alu 0xf1ff
	v_xor_b32_e32 v215, s14, v215
	v_cmp_gt_i32_e64 s14, 0, v227
	v_and_b32_e32 v212, v212, v214
	v_not_b32_e32 v214, v224
	v_ashrrev_i32_e32 v213, 31, v213
	v_xor_b32_e32 v225, s15, v225
	v_lshl_add_u32 v192, v192, 3, v46
	v_and_b32_e32 v212, v212, v215
	v_cmp_gt_i32_e64 s15, 0, v224
	v_ashrrev_i32_e32 v214, 31, v214
	s_wait_alu 0xf1ff
	v_xor_b32_e32 v213, s14, v213
	v_lshl_add_u32 v215, v192, 2, v12
	v_and_b32_e32 v212, v212, v225
	v_xor_b32_e32 v214, s15, v214
	ds_load_b32 v192, v215 offset:32
	v_and_b32_e32 v212, v212, v213
	v_add_nc_u32_e32 v213, 32, v215
	; wave barrier
	s_delay_alu instid0(VALU_DEP_2) | instskip(NEXT) | instid1(VALU_DEP_1)
	v_and_b32_e32 v214, v212, v214
	v_mbcnt_lo_u32_b32 v212, v214, 0
	v_cmp_ne_u32_e64 s15, 0, v214
	s_delay_alu instid0(VALU_DEP_2)
	v_cmp_eq_u32_e64 s14, 0, v212
	s_and_b32 s15, s15, s14
	s_wait_alu 0xfffe
	s_and_saveexec_b32 s14, s15
	s_cbranch_execz .LBB709_85
; %bb.84:                               ;   in Loop: Header=BB709_53 Depth=1
	s_wait_dscnt 0x0
	v_bcnt_u32_b32 v214, v214, v192
	ds_store_b32 v213, v214
.LBB709_85:                             ;   in Loop: Header=BB709_53 Depth=1
	s_wait_alu 0xfffe
	s_or_b32 exec_lo, exec_lo, s14
	; wave barrier
	s_wait_loadcnt_dscnt 0x0
	s_barrier_signal -1
	s_barrier_wait -1
	global_inv scope:SCOPE_SE
	ds_load_b32 v226, v9
	ds_load_b32 v227, v39
	;; [unrolled: 1-line block ×8, first 2 shown]
	s_wait_dscnt 0x6
	v_add_nc_u32_e32 v230, v227, v226
	s_wait_dscnt 0x4
	s_delay_alu instid0(VALU_DEP_1) | instskip(SKIP_1) | instid1(VALU_DEP_1)
	v_add3_u32 v230, v230, v228, v225
	s_wait_dscnt 0x2
	v_add3_u32 v230, v230, v224, v215
	s_wait_dscnt 0x0
	s_delay_alu instid0(VALU_DEP_1) | instskip(NEXT) | instid1(VALU_DEP_1)
	v_add3_u32 v229, v230, v214, v229
	v_mov_b32_dpp v230, v229 row_shr:1 row_mask:0xf bank_mask:0xf
	s_wait_alu 0xfffd
	s_delay_alu instid0(VALU_DEP_1) | instskip(NEXT) | instid1(VALU_DEP_1)
	v_cndmask_b32_e64 v230, v230, 0, vcc_lo
	v_add_nc_u32_e32 v229, v230, v229
	s_delay_alu instid0(VALU_DEP_1) | instskip(NEXT) | instid1(VALU_DEP_1)
	v_mov_b32_dpp v230, v229 row_shr:2 row_mask:0xf bank_mask:0xf
	v_cndmask_b32_e64 v230, 0, v230, s0
	s_delay_alu instid0(VALU_DEP_1) | instskip(NEXT) | instid1(VALU_DEP_1)
	v_add_nc_u32_e32 v229, v229, v230
	v_mov_b32_dpp v230, v229 row_shr:4 row_mask:0xf bank_mask:0xf
	s_delay_alu instid0(VALU_DEP_1) | instskip(NEXT) | instid1(VALU_DEP_1)
	v_cndmask_b32_e64 v230, 0, v230, s1
	v_add_nc_u32_e32 v229, v229, v230
	s_delay_alu instid0(VALU_DEP_1) | instskip(NEXT) | instid1(VALU_DEP_1)
	v_mov_b32_dpp v230, v229 row_shr:8 row_mask:0xf bank_mask:0xf
	v_cndmask_b32_e64 v230, 0, v230, s3
	s_delay_alu instid0(VALU_DEP_1) | instskip(SKIP_3) | instid1(VALU_DEP_1)
	v_add_nc_u32_e32 v229, v229, v230
	ds_swizzle_b32 v230, v229 offset:swizzle(BROADCAST,32,15)
	s_wait_dscnt 0x0
	v_cndmask_b32_e64 v230, v230, 0, s4
	v_add_nc_u32_e32 v229, v229, v230
	s_and_saveexec_b32 s14, s5
; %bb.86:                               ;   in Loop: Header=BB709_53 Depth=1
	ds_store_b32 v56, v229
; %bb.87:                               ;   in Loop: Header=BB709_53 Depth=1
	s_wait_alu 0xfffe
	s_or_b32 exec_lo, exec_lo, s14
	s_wait_loadcnt_dscnt 0x0
	s_barrier_signal -1
	s_barrier_wait -1
	global_inv scope:SCOPE_SE
	s_and_saveexec_b32 s14, s6
	s_cbranch_execz .LBB709_89
; %bb.88:                               ;   in Loop: Header=BB709_53 Depth=1
	ds_load_b32 v230, v57
	s_wait_dscnt 0x0
	v_mov_b32_dpp v231, v230 row_shr:1 row_mask:0xf bank_mask:0xf
	s_delay_alu instid0(VALU_DEP_1) | instskip(NEXT) | instid1(VALU_DEP_1)
	v_cndmask_b32_e64 v231, v231, 0, s11
	v_add_nc_u32_e32 v230, v231, v230
	s_delay_alu instid0(VALU_DEP_1) | instskip(NEXT) | instid1(VALU_DEP_1)
	v_mov_b32_dpp v231, v230 row_shr:2 row_mask:0xf bank_mask:0xf
	v_cndmask_b32_e64 v231, 0, v231, s12
	s_delay_alu instid0(VALU_DEP_1) | instskip(NEXT) | instid1(VALU_DEP_1)
	v_add_nc_u32_e32 v230, v230, v231
	v_mov_b32_dpp v231, v230 row_shr:4 row_mask:0xf bank_mask:0xf
	s_delay_alu instid0(VALU_DEP_1) | instskip(NEXT) | instid1(VALU_DEP_1)
	v_cndmask_b32_e64 v231, 0, v231, s13
	v_add_nc_u32_e32 v230, v230, v231
	ds_store_b32 v57, v230
.LBB709_89:                             ;   in Loop: Header=BB709_53 Depth=1
	s_wait_alu 0xfffe
	s_or_b32 exec_lo, exec_lo, s14
	v_mov_b32_e32 v230, 0
	s_wait_loadcnt_dscnt 0x0
	s_barrier_signal -1
	s_barrier_wait -1
	global_inv scope:SCOPE_SE
	s_and_saveexec_b32 s14, s7
; %bb.90:                               ;   in Loop: Header=BB709_53 Depth=1
	ds_load_b32 v230, v59
; %bb.91:                               ;   in Loop: Header=BB709_53 Depth=1
	s_wait_alu 0xfffe
	s_or_b32 exec_lo, exec_lo, s14
	s_wait_dscnt 0x0
	v_add_nc_u32_e32 v229, v230, v229
	v_dual_mov_b32 v231, v1 :: v_dual_add_nc_u32 v10, 8, v10
	s_mov_b32 s20, -1
	v_mov_b32_e32 v241, v1
	ds_bpermute_b32 v229, v47, v229
	v_cmp_lt_u32_e64 s14, v10, v11
	v_mov_b32_e32 v243, v1
	s_wait_dscnt 0x0
	v_cndmask_b32_e64 v229, v229, v230, s2
	s_delay_alu instid0(VALU_DEP_1) | instskip(NEXT) | instid1(VALU_DEP_1)
	v_cndmask_b32_e64 v230, v229, 0, s10
	v_dual_mov_b32 v229, v1 :: v_dual_add_nc_u32 v226, v230, v226
	s_delay_alu instid0(VALU_DEP_1) | instskip(NEXT) | instid1(VALU_DEP_1)
	v_dual_mov_b32 v227, v1 :: v_dual_add_nc_u32 v240, v226, v227
	v_add_nc_u32_e32 v228, v240, v228
	s_delay_alu instid0(VALU_DEP_1) | instskip(SKIP_4) | instid1(VALU_DEP_1)
	v_dual_mov_b32 v225, v1 :: v_dual_add_nc_u32 v242, v228, v225
	ds_store_b32 v9, v230
	ds_store_b32 v39, v226
	;; [unrolled: 1-line block ×3, first 2 shown]
	v_dual_mov_b32 v245, v1 :: v_dual_add_nc_u32 v224, v242, v224
	v_dual_mov_b32 v247, v1 :: v_dual_add_nc_u32 v244, v224, v215
	s_delay_alu instid0(VALU_DEP_1)
	v_add_nc_u32_e32 v214, v244, v214
	ds_store_b32 v41, v228
	ds_store_b32 v42, v242
	;; [unrolled: 1-line block ×5, first 2 shown]
	s_wait_loadcnt_dscnt 0x0
	s_barrier_signal -1
	s_barrier_wait -1
	global_inv scope:SCOPE_SE
	ds_load_b32 v128, v128
	ds_load_b32 v214, v131
	;; [unrolled: 1-line block ×16, first 2 shown]
	v_mov_b32_e32 v131, v1
	v_dual_mov_b32 v215, v1 :: v_dual_mov_b32 v134, v1
	s_wait_dscnt 0xf
	v_dual_mov_b32 v145, v1 :: v_dual_add_nc_u32 v0, v128, v0
	s_wait_dscnt 0xe
	v_add3_u32 v224, v130, v129, v214
	s_wait_dscnt 0xd
	v_add3_u32 v226, v133, v132, v226
	;; [unrolled: 2-line block ×4, first 2 shown]
	v_lshlrev_b64_e32 v[147:148], 3, v[0:1]
	s_wait_dscnt 0xa
	v_add3_u32 v240, v150, v149, v151
	s_wait_dscnt 0x9
	v_add3_u32 v242, v161, v160, v162
	;; [unrolled: 2-line block ×6, first 2 shown]
	v_add3_u32 v214, v178, v177, v179
	s_wait_dscnt 0x2
	v_add3_u32 v128, v199, v198, v208
	s_wait_dscnt 0x1
	v_add3_u32 v132, v210, v209, v211
	v_lshlrev_b64_e32 v[129:130], 3, v[130:131]
	v_lshlrev_b64_e32 v[130:131], 3, v[133:134]
	v_mov_b32_e32 v133, v1
	v_add3_u32 v144, v196, v195, v197
	s_wait_dscnt 0x0
	v_add3_u32 v146, v212, v192, v213
	v_lshlrev_b64_e32 v[160:161], 3, v[230:231]
	v_add_co_u32 v109, null, v12, v129
	v_mov_b32_e32 v129, v1
	v_add_co_u32 v0, null, v12, v147
	v_mov_b32_e32 v147, v1
	v_lshlrev_b64_e32 v[161:162], 3, v[240:241]
	v_lshlrev_b64_e32 v[162:163], 3, v[242:243]
	v_lshlrev_b64_e32 v[148:149], 3, v[224:225]
	v_lshlrev_b64_e32 v[163:164], 3, v[244:245]
	v_lshlrev_b64_e32 v[128:129], 3, v[128:129]
	v_lshlrev_b64_e32 v[149:150], 3, v[226:227]
	v_lshlrev_b64_e32 v[164:165], 3, v[246:247]
	v_add_co_u32 v110, null, v12, v130
	v_lshlrev_b64_e32 v[129:130], 3, v[132:133]
	v_lshlrev_b64_e32 v[150:151], 3, v[228:229]
	;; [unrolled: 1-line block ×5, first 2 shown]
	v_add_co_u32 v92, null, v12, v148
	v_add_co_u32 v93, null, v12, v149
	;; [unrolled: 1-line block ×13, first 2 shown]
	s_wait_loadcnt 0x0
                                        ; implicit-def: $vgpr194_vgpr195
                                        ; implicit-def: $vgpr198_vgpr199
                                        ; implicit-def: $vgpr192_vgpr193
                                        ; implicit-def: $vgpr196_vgpr197
                                        ; implicit-def: $vgpr210_vgpr211
                                        ; implicit-def: $vgpr208_vgpr209
                                        ; implicit-def: $vgpr212_vgpr213
                                        ; implicit-def: $vgpr214_vgpr215
                                        ; implicit-def: $vgpr224_vgpr225
                                        ; implicit-def: $vgpr226_vgpr227
                                        ; implicit-def: $vgpr228_vgpr229
                                        ; implicit-def: $vgpr230_vgpr231
                                        ; implicit-def: $vgpr240_vgpr241
                                        ; implicit-def: $vgpr242_vgpr243
                                        ; implicit-def: $vgpr244_vgpr245
                                        ; implicit-def: $vgpr246_vgpr247
                                        ; implicit-def: $vgpr130_vgpr131
                                        ; implicit-def: $vgpr128_vgpr129
                                        ; implicit-def: $vgpr134_vgpr135
                                        ; implicit-def: $vgpr132_vgpr133
                                        ; implicit-def: $vgpr146_vgpr147
                                        ; implicit-def: $vgpr144_vgpr145
                                        ; implicit-def: $vgpr150_vgpr151
                                        ; implicit-def: $vgpr148_vgpr149
                                        ; implicit-def: $vgpr162_vgpr163
                                        ; implicit-def: $vgpr160_vgpr161
                                        ; implicit-def: $vgpr166_vgpr167
                                        ; implicit-def: $vgpr164_vgpr165
                                        ; implicit-def: $vgpr178_vgpr179
                                        ; implicit-def: $vgpr176_vgpr177
                                        ; implicit-def: $vgpr182_vgpr183
                                        ; implicit-def: $vgpr180_vgpr181
	s_and_saveexec_b32 s15, s14
	s_cbranch_execz .LBB709_52
; %bb.92:                               ;   in Loop: Header=BB709_53 Depth=1
	s_barrier_signal -1
	s_barrier_wait -1
	global_inv scope:SCOPE_SE
	ds_store_b64 v0, v[35:36]
	ds_store_b64 v92, v[54:55]
	;; [unrolled: 1-line block ×16, first 2 shown]
	s_wait_loadcnt_dscnt 0x0
	s_barrier_signal -1
	s_barrier_wait -1
	global_inv scope:SCOPE_SE
	ds_load_b64 v[130:131], v58
	ds_load_b64 v[128:129], v60
	;; [unrolled: 1-line block ×16, first 2 shown]
	s_wait_loadcnt_dscnt 0x0
	s_barrier_signal -1
	s_barrier_wait -1
	global_inv scope:SCOPE_SE
	ds_store_b64 v0, v[7:8]
	ds_store_b64 v92, v[4:5]
	;; [unrolled: 1-line block ×16, first 2 shown]
	s_wait_loadcnt_dscnt 0x0
	s_barrier_signal -1
	s_barrier_wait -1
	global_inv scope:SCOPE_SE
	ds_load_b64 v[194:195], v58
	ds_load_b64 v[198:199], v60
	;; [unrolled: 1-line block ×16, first 2 shown]
	v_add_nc_u32_e32 v91, -8, v91
	s_xor_b32 s20, exec_lo, -1
	s_wait_loadcnt_dscnt 0x0
	s_barrier_signal -1
	s_barrier_wait -1
	global_inv scope:SCOPE_SE
	s_branch .LBB709_52
.LBB709_93:
	s_or_b32 exec_lo, exec_lo, s17
	v_lshl_add_u32 v1, v16, 3, v12
	s_barrier_signal -1
	s_barrier_wait -1
	s_wait_loadcnt 0x0
	global_inv scope:SCOPE_SE
	ds_store_b64 v0, v[35:36]
	ds_store_b64 v92, v[54:55]
	;; [unrolled: 1-line block ×16, first 2 shown]
	s_wait_loadcnt_dscnt 0x0
	s_barrier_signal -1
	s_barrier_wait -1
	global_inv scope:SCOPE_SE
	ds_load_2addr_stride64_b64 v[100:103], v1 offset1:4
	ds_load_2addr_stride64_b64 v[96:99], v1 offset0:8 offset1:12
	ds_load_2addr_stride64_b64 v[84:87], v1 offset0:16 offset1:20
	;; [unrolled: 1-line block ×7, first 2 shown]
	s_wait_loadcnt_dscnt 0x0
	s_barrier_signal -1
	s_barrier_wait -1
	global_inv scope:SCOPE_SE
	ds_store_b64 v0, v[7:8]
	ds_store_b64 v92, v[4:5]
	;; [unrolled: 1-line block ×16, first 2 shown]
	s_wait_loadcnt_dscnt 0x0
	s_barrier_signal -1
	s_barrier_wait -1
	global_inv scope:SCOPE_SE
	ds_load_2addr_stride64_b64 v[48:51], v1 offset1:4
	ds_load_2addr_stride64_b64 v[32:35], v1 offset0:8 offset1:12
	ds_load_2addr_stride64_b64 v[28:31], v1 offset0:16 offset1:20
	;; [unrolled: 1-line block ×7, first 2 shown]
	v_mov_b32_e32 v115, 0
	v_add_co_u32 v2, vcc_lo, v2, v112
	s_wait_alu 0xfffd
	v_add_co_ci_u32_e64 v3, null, v3, v113, vcc_lo
	s_delay_alu instid0(VALU_DEP_3)
	v_lshlrev_b64_e32 v[0:1], 3, v[114:115]
	s_wait_loadcnt_dscnt 0x0
	s_barrier_signal -1
	s_barrier_wait -1
	global_inv scope:SCOPE_SE
	v_add_co_u32 v2, vcc_lo, v2, v0
	s_wait_alu 0xfffd
	v_add_co_ci_u32_e64 v3, null, v3, v1, vcc_lo
	v_cmp_lt_u32_e32 vcc_lo, v114, v40
	s_and_saveexec_b32 s0, vcc_lo
	s_cbranch_execz .LBB709_95
; %bb.94:
	v_xor_b32_e32 v5, 0x7fffffff, v101
	v_not_b32_e32 v4, v100
	flat_store_b64 v[2:3], v[4:5]
.LBB709_95:
	s_wait_alu 0xfffe
	s_or_b32 exec_lo, exec_lo, s0
	v_add_nc_u32_e32 v4, 0x100, v114
	s_delay_alu instid0(VALU_DEP_1)
	v_cmp_lt_u32_e64 s0, v4, v40
	s_and_saveexec_b32 s1, s0
	s_cbranch_execz .LBB709_97
; %bb.96:
	v_xor_b32_e32 v5, 0x7fffffff, v103
	v_not_b32_e32 v4, v102
	flat_store_b64 v[2:3], v[4:5] offset:2048
.LBB709_97:
	s_wait_alu 0xfffe
	s_or_b32 exec_lo, exec_lo, s1
	v_add_nc_u32_e32 v4, 0x200, v114
	s_delay_alu instid0(VALU_DEP_1)
	v_cmp_lt_u32_e64 s1, v4, v40
	s_and_saveexec_b32 s2, s1
	s_cbranch_execz .LBB709_99
; %bb.98:
	v_xor_b32_e32 v5, 0x7fffffff, v97
	v_not_b32_e32 v4, v96
	flat_store_b64 v[2:3], v[4:5] offset:4096
.LBB709_99:
	;; [unrolled: 12-line block ×15, first 2 shown]
	s_wait_alu 0xfffe
	s_or_b32 exec_lo, exec_lo, s17
	v_add_co_u32 v2, s17, v6, v112
	s_wait_alu 0xf1ff
	v_add_co_ci_u32_e64 v3, null, v15, v113, s17
	s_delay_alu instid0(VALU_DEP_2) | instskip(SKIP_1) | instid1(VALU_DEP_2)
	v_add_co_u32 v0, s17, v2, v0
	s_wait_alu 0xf1ff
	v_add_co_ci_u32_e64 v1, null, v3, v1, s17
	s_and_saveexec_b32 s17, vcc_lo
	s_cbranch_execnz .LBB709_211
; %bb.126:
	s_wait_alu 0xfffe
	s_or_b32 exec_lo, exec_lo, s17
	s_and_saveexec_b32 s17, s0
	s_cbranch_execnz .LBB709_212
.LBB709_127:
	s_wait_alu 0xfffe
	s_or_b32 exec_lo, exec_lo, s17
	s_and_saveexec_b32 s0, s1
	s_cbranch_execnz .LBB709_213
.LBB709_128:
	s_wait_alu 0xfffe
	s_or_b32 exec_lo, exec_lo, s0
	s_and_saveexec_b32 s0, s2
	s_cbranch_execnz .LBB709_214
.LBB709_129:
	s_wait_alu 0xfffe
	s_or_b32 exec_lo, exec_lo, s0
	s_and_saveexec_b32 s0, s3
	s_cbranch_execnz .LBB709_215
.LBB709_130:
	s_wait_alu 0xfffe
	s_or_b32 exec_lo, exec_lo, s0
	s_and_saveexec_b32 s0, s4
	s_cbranch_execnz .LBB709_216
.LBB709_131:
	s_wait_alu 0xfffe
	s_or_b32 exec_lo, exec_lo, s0
	s_and_saveexec_b32 s0, s5
	s_cbranch_execnz .LBB709_217
.LBB709_132:
	s_wait_alu 0xfffe
	s_or_b32 exec_lo, exec_lo, s0
	s_and_saveexec_b32 s0, s6
	s_cbranch_execnz .LBB709_218
.LBB709_133:
	s_wait_alu 0xfffe
	s_or_b32 exec_lo, exec_lo, s0
	s_and_saveexec_b32 s0, s7
	s_cbranch_execnz .LBB709_219
.LBB709_134:
	s_wait_alu 0xfffe
	s_or_b32 exec_lo, exec_lo, s0
	s_and_saveexec_b32 s0, s10
	s_cbranch_execnz .LBB709_220
.LBB709_135:
	s_wait_alu 0xfffe
	s_or_b32 exec_lo, exec_lo, s0
	s_and_saveexec_b32 s0, s11
	s_cbranch_execnz .LBB709_221
.LBB709_136:
	s_wait_alu 0xfffe
	s_or_b32 exec_lo, exec_lo, s0
	s_and_saveexec_b32 s0, s12
	s_cbranch_execnz .LBB709_222
.LBB709_137:
	s_wait_alu 0xfffe
	s_or_b32 exec_lo, exec_lo, s0
	s_and_saveexec_b32 s0, s13
	s_cbranch_execnz .LBB709_223
.LBB709_138:
	s_wait_alu 0xfffe
	s_or_b32 exec_lo, exec_lo, s0
	s_and_saveexec_b32 s0, s14
	s_cbranch_execnz .LBB709_224
.LBB709_139:
	s_wait_alu 0xfffe
	s_or_b32 exec_lo, exec_lo, s0
	s_and_saveexec_b32 s0, s15
	s_cbranch_execnz .LBB709_225
.LBB709_140:
	s_wait_alu 0xfffe
	s_or_b32 exec_lo, exec_lo, s0
	s_and_saveexec_b32 s0, s16
	s_cbranch_execz .LBB709_142
.LBB709_141:
	flat_store_b64 v[0:1], v[9:10] offset:30720
.LBB709_142:
	s_wait_alu 0xfffe
	s_or_b32 exec_lo, exec_lo, s0
                                        ; implicit-def: $vgpr40
                                        ; implicit-def: $vgpr0
                                        ; implicit-def: $vgpr1
                                        ; implicit-def: $vgpr2
                                        ; implicit-def: $vgpr3
                                        ; implicit-def: $vgpr4
                                        ; implicit-def: $vgpr5
                                        ; implicit-def: $vgpr6
                                        ; implicit-def: $vgpr15
                                        ; implicit-def: $vgpr8
                                        ; implicit-def: $vgpr10
                                        ; implicit-def: $vgpr11
                                        ; implicit-def: $vgpr12
                                        ; implicit-def: $vgpr7
                                        ; implicit-def: $vgpr9
                                        ; implicit-def: $vgpr16
                                        ; implicit-def: $vgpr28
.LBB709_143:
	s_wait_alu 0xfffe
	s_and_not1_saveexec_b32 s0, s19
	s_cbranch_execz .LBB709_372
; %bb.144:
	s_mov_b32 s0, exec_lo
	v_cmpx_lt_u32_e32 0x400, v40
	s_wait_alu 0xfffe
	s_xor_b32 s16, exec_lo, s0
	s_cbranch_execz .LBB709_252
; %bb.145:
	s_load_b64 s[0:1], s[8:9], 0x0
	s_and_b32 s2, ttmp7, 0xffff
	s_mov_b32 s3, 0
	v_dual_mov_b32 v64, -1 :: v_dual_lshlrev_b32 v13, 3, v28
	v_mov_b32_e32 v66, -1
	v_mov_b32_e32 v67, -1
	s_wait_kmcnt 0x0
	s_wait_alu 0xfffe
	s_cmp_lt_u32 s2, s1
	s_cselect_b32 s2, 14, 20
	s_cmp_lt_u32 ttmp9, s0
	s_wait_alu 0xfffe
	s_add_nc_u64 s[4:5], s[8:9], s[2:3]
	s_cselect_b32 s2, 12, 18
	s_load_u16 s4, s[4:5], 0x0
	s_add_nc_u64 s[0:1], s[8:9], s[2:3]
	s_load_u16 s0, s[0:1], 0x0
	s_wait_kmcnt 0x0
	v_mad_u32_u24 v7, v9, s4, v7
	v_mov_b32_e32 v9, 0
	s_delay_alu instid0(VALU_DEP_2) | instskip(NEXT) | instid1(VALU_DEP_2)
	v_mad_co_u64_u32 v[50:51], null, v7, s0, v[16:17]
	v_lshlrev_b64_e32 v[48:49], 3, v[8:9]
	s_delay_alu instid0(VALU_DEP_2) | instskip(NEXT) | instid1(VALU_DEP_1)
	v_lshlrev_b32_e32 v7, 3, v50
	v_dual_mov_b32 v65, -1 :: v_dual_and_b32 v8, 0xffffff00, v7
	s_delay_alu instid0(VALU_DEP_3) | instskip(SKIP_1) | instid1(VALU_DEP_4)
	v_add_co_u32 v7, vcc_lo, v0, v48
	s_wait_alu 0xfffd
	v_add_co_ci_u32_e64 v14, null, v1, v49, vcc_lo
	s_delay_alu instid0(VALU_DEP_3) | instskip(NEXT) | instid1(VALU_DEP_3)
	v_lshlrev_b64_e32 v[0:1], 3, v[8:9]
	v_add_co_u32 v7, vcc_lo, v7, v13
	s_wait_alu 0xfffd
	s_delay_alu instid0(VALU_DEP_3) | instskip(SKIP_1) | instid1(VALU_DEP_3)
	v_add_co_ci_u32_e64 v14, null, 0, v14, vcc_lo
	v_or_b32_e32 v9, v8, v28
	v_add_co_u32 v7, vcc_lo, v7, v0
	s_wait_alu 0xfffd
	s_delay_alu instid0(VALU_DEP_3) | instskip(NEXT) | instid1(VALU_DEP_3)
	v_add_co_ci_u32_e64 v8, null, v14, v1, vcc_lo
	v_cmp_lt_u32_e32 vcc_lo, v9, v40
	s_and_saveexec_b32 s0, vcc_lo
	s_cbranch_execz .LBB709_147
; %bb.146:
	flat_load_b64 v[17:18], v[7:8]
	s_wait_loadcnt_dscnt 0x0
	v_xor_b32_e32 v67, 0x7fffffff, v18
	v_not_b32_e32 v66, v17
.LBB709_147:
	s_wait_alu 0xfffe
	s_or_b32 exec_lo, exec_lo, s0
	v_or_b32_e32 v14, 32, v9
	s_delay_alu instid0(VALU_DEP_1)
	v_cmp_lt_u32_e64 s0, v14, v40
	s_and_saveexec_b32 s1, s0
	s_cbranch_execz .LBB709_149
; %bb.148:
	flat_load_b64 v[17:18], v[7:8] offset:256
	s_wait_loadcnt_dscnt 0x0
	v_xor_b32_e32 v65, 0x7fffffff, v18
	v_not_b32_e32 v64, v17
.LBB709_149:
	s_wait_alu 0xfffe
	s_or_b32 exec_lo, exec_lo, s1
	v_or_b32_e32 v14, 64, v9
	v_mov_b32_e32 v68, -1
	v_dual_mov_b32 v69, -1 :: v_dual_mov_b32 v70, -1
	v_mov_b32_e32 v71, -1
	s_delay_alu instid0(VALU_DEP_4)
	v_cmp_lt_u32_e64 s1, v14, v40
	s_and_saveexec_b32 s2, s1
	s_cbranch_execz .LBB709_151
; %bb.150:
	flat_load_b64 v[17:18], v[7:8] offset:512
	s_wait_loadcnt_dscnt 0x0
	v_xor_b32_e32 v71, 0x7fffffff, v18
	v_not_b32_e32 v70, v17
.LBB709_151:
	s_wait_alu 0xfffe
	s_or_b32 exec_lo, exec_lo, s2
	v_or_b32_e32 v14, 0x60, v9
	s_delay_alu instid0(VALU_DEP_1)
	v_cmp_lt_u32_e64 s2, v14, v40
	s_and_saveexec_b32 s3, s2
	s_cbranch_execz .LBB709_153
; %bb.152:
	flat_load_b64 v[17:18], v[7:8] offset:768
	s_wait_loadcnt_dscnt 0x0
	v_xor_b32_e32 v69, 0x7fffffff, v18
	v_not_b32_e32 v68, v17
.LBB709_153:
	s_wait_alu 0xfffe
	s_or_b32 exec_lo, exec_lo, s3
	v_or_b32_e32 v14, 0x80, v9
	v_mov_b32_e32 v82, -1
	v_dual_mov_b32 v83, -1 :: v_dual_mov_b32 v84, -1
	v_mov_b32_e32 v85, -1
	s_delay_alu instid0(VALU_DEP_4)
	v_cmp_lt_u32_e64 s3, v14, v40
	s_and_saveexec_b32 s4, s3
	s_cbranch_execz .LBB709_155
; %bb.154:
	flat_load_b64 v[17:18], v[7:8] offset:1024
	s_wait_loadcnt_dscnt 0x0
	v_xor_b32_e32 v85, 0x7fffffff, v18
	v_not_b32_e32 v84, v17
.LBB709_155:
	;; [unrolled: 29-line block ×3, first 2 shown]
	s_wait_alu 0xfffe
	s_or_b32 exec_lo, exec_lo, s6
	v_or_b32_e32 v9, 0xe0, v9
	s_delay_alu instid0(VALU_DEP_1)
	v_cmp_lt_u32_e64 s6, v9, v40
	s_and_saveexec_b32 s7, s6
	s_cbranch_execz .LBB709_161
; %bb.160:
	flat_load_b64 v[7:8], v[7:8] offset:1792
	s_wait_loadcnt_dscnt 0x0
	v_xor_b32_e32 v81, 0x7fffffff, v8
	v_not_b32_e32 v80, v7
.LBB709_161:
	s_wait_alu 0xfffe
	s_or_b32 exec_lo, exec_lo, s7
	v_add_co_u32 v4, s7, v4, v48
	s_wait_alu 0xf1ff
	v_add_co_ci_u32_e64 v5, null, v5, v49, s7
                                        ; implicit-def: $vgpr96_vgpr97
	s_delay_alu instid0(VALU_DEP_2) | instskip(SKIP_1) | instid1(VALU_DEP_2)
	v_add_co_u32 v4, s7, v4, v13
	s_wait_alu 0xf1ff
	v_add_co_ci_u32_e64 v5, null, 0, v5, s7
	s_delay_alu instid0(VALU_DEP_2) | instskip(SKIP_1) | instid1(VALU_DEP_2)
	v_add_co_u32 v0, s7, v4, v0
	s_wait_alu 0xf1ff
	v_add_co_ci_u32_e64 v1, null, v5, v1, s7
	s_and_saveexec_b32 s7, vcc_lo
	s_cbranch_execnz .LBB709_285
; %bb.162:
	s_wait_alu 0xfffe
	s_or_b32 exec_lo, exec_lo, s7
                                        ; implicit-def: $vgpr100_vgpr101
	s_and_saveexec_b32 s7, s0
	s_cbranch_execnz .LBB709_286
.LBB709_163:
	s_wait_alu 0xfffe
	s_or_b32 exec_lo, exec_lo, s7
                                        ; implicit-def: $vgpr98_vgpr99
	s_and_saveexec_b32 s0, s1
	s_cbranch_execnz .LBB709_287
.LBB709_164:
	s_wait_alu 0xfffe
	s_or_b32 exec_lo, exec_lo, s0
                                        ; implicit-def: $vgpr102_vgpr103
	s_and_saveexec_b32 s0, s2
	s_cbranch_execnz .LBB709_288
.LBB709_165:
	s_wait_alu 0xfffe
	s_or_b32 exec_lo, exec_lo, s0
                                        ; implicit-def: $vgpr112_vgpr113
	s_and_saveexec_b32 s0, s3
	s_cbranch_execnz .LBB709_289
.LBB709_166:
	s_wait_alu 0xfffe
	s_or_b32 exec_lo, exec_lo, s0
                                        ; implicit-def: $vgpr114_vgpr115
	s_and_saveexec_b32 s0, s4
	s_cbranch_execnz .LBB709_290
.LBB709_167:
	s_wait_alu 0xfffe
	s_or_b32 exec_lo, exec_lo, s0
                                        ; implicit-def: $vgpr116_vgpr117
	s_and_saveexec_b32 s0, s5
	s_cbranch_execnz .LBB709_291
.LBB709_168:
	s_wait_alu 0xfffe
	s_or_b32 exec_lo, exec_lo, s0
                                        ; implicit-def: $vgpr118_vgpr119
	s_and_saveexec_b32 s0, s6
	s_cbranch_execz .LBB709_170
.LBB709_169:
	flat_load_b64 v[118:119], v[0:1] offset:1792
.LBB709_170:
	s_wait_alu 0xfffe
	s_or_b32 exec_lo, exec_lo, s0
	v_lshl_add_u32 v0, v16, 5, v12
	v_and_b32_e32 v4, 15, v28
	v_sub_co_u32 v7, s2, v28, 1
	s_getpc_b64 s[0:1]
	s_wait_alu 0xfffe
	s_sext_i32_i16 s1, s1
	s_add_co_u32 s0, s0, _ZN7rocprim17ROCPRIM_400000_NS16block_radix_sortIlLj256ELj8ElLj1ELj1ELj8ELNS0_26block_radix_rank_algorithmE2ELNS0_18block_padding_hintE2ELNS0_4arch9wavefront6targetE0EE19radix_bits_per_passE@rel32@lo+12
	s_wait_alu 0xfffe
	s_add_co_ci_u32 s1, s1, _ZN7rocprim17ROCPRIM_400000_NS16block_radix_sortIlLj256ELj8ElLj1ELj1ELj8ELNS0_26block_radix_rank_algorithmE2ELNS0_18block_padding_hintE2ELNS0_4arch9wavefront6targetE0EE19radix_bits_per_passE@rel32@hi+24
	v_add_nc_u32_e32 v9, 32, v0
	v_add_nc_u32_e32 v39, 36, v0
	;; [unrolled: 1-line block ×8, first 2 shown]
	v_and_b32_e32 v0, 0x3e0, v16
	v_lshlrev_b32_e32 v1, 3, v16
	s_load_b32 s17, s[0:1], 0x0
	v_cmp_eq_u32_e32 vcc_lo, 0, v4
	v_cmp_lt_u32_e64 s0, 1, v4
	v_min_u32_e32 v0, 0xe0, v0
	v_cmp_lt_u32_e64 s1, 3, v4
	v_and_b32_e32 v5, 16, v28
	v_cmp_lt_u32_e64 s3, 7, v4
	v_lshrrev_b32_e32 v4, 3, v16
	v_or_b32_e32 v0, 31, v0
	v_cmp_gt_i32_e64 s5, 0, v7
	v_cmp_eq_u32_e64 s4, 0, v5
	v_lshrrev_b32_e32 v133, 5, v50
	v_cmp_gt_u32_e64 s6, 8, v16
	v_cmp_lt_u32_e64 s7, 31, v16
	s_wait_alu 0xf1ff
	v_cndmask_b32_e64 v5, v7, v28, s5
	v_cmp_eq_u32_e64 s5, v16, v0
	v_and_b32_e32 v0, 0x7c, v4
	v_and_or_b32 v4, 0x1f00, v1, v28
	v_cmp_eq_u32_e64 s10, 0, v16
	v_lshlrev_b32_e32 v134, 2, v5
	v_and_b32_e32 v5, 7, v28
	v_add_nc_u32_e32 v135, v12, v0
	v_lshl_add_u32 v145, v4, 3, v12
	v_mov_b32_e32 v1, 0
	v_lshl_add_u32 v144, v16, 2, v12
	v_cmp_eq_u32_e64 s11, 0, v5
	v_cmp_lt_u32_e64 s12, 1, v5
	v_cmp_lt_u32_e64 s13, 3, v5
	v_add_nc_u32_e32 v146, -4, v135
	v_add_nc_u32_e32 v147, 0x100, v145
	v_add_nc_u32_e32 v148, 0x200, v145
	;; [unrolled: 1-line block ×7, first 2 shown]
	v_sub_nc_u32_e32 v162, v11, v10
	s_mov_b32 s19, 0
	s_wait_storecnt 0x0
	s_wait_loadcnt_dscnt 0x0
	s_barrier_signal -1
	s_barrier_wait -1
	global_inv scope:SCOPE_SE
	s_branch .LBB709_172
.LBB709_171:                            ;   in Loop: Header=BB709_172 Depth=1
	s_wait_alu 0xfffe
	s_or_b32 exec_lo, exec_lo, s15
	s_delay_alu instid0(SALU_CYCLE_1)
	s_and_b32 s14, exec_lo, s20
	s_wait_alu 0xfffe
	s_or_b32 s19, s14, s19
	s_wait_alu 0xfffe
	s_and_not1_b32 exec_lo, exec_lo, s19
	s_cbranch_execz .LBB709_226
.LBB709_172:                            ; =>This Inner Loop Header: Depth=1
	s_wait_kmcnt 0x0
	v_min_u32_e32 v0, s17, v162
	v_dual_mov_b32 v23, v66 :: v_dual_mov_b32 v24, v67
	v_dual_mov_b32 v25, v64 :: v_dual_mov_b32 v26, v65
	s_delay_alu instid0(VALU_DEP_3) | instskip(SKIP_1) | instid1(VALU_DEP_4)
	v_lshlrev_b32_e64 v0, v0, -1
	v_dual_mov_b32 v7, v96 :: v_dual_mov_b32 v8, v97
	v_lshrrev_b64 v[27:28], v10, v[23:24]
	v_dual_mov_b32 v4, v100 :: v_dual_mov_b32 v5, v101
	s_delay_alu instid0(VALU_DEP_4) | instskip(SKIP_2) | instid1(VALU_DEP_3)
	v_not_b32_e32 v67, v0
	v_dual_mov_b32 v19, v98 :: v_dual_mov_b32 v20, v99
	v_dual_mov_b32 v17, v102 :: v_dual_mov_b32 v18, v103
	v_dual_mov_b32 v33, v70 :: v_dual_and_b32 v0, v27, v67
	v_dual_mov_b32 v34, v71 :: v_dual_mov_b32 v31, v68
	v_dual_mov_b32 v32, v69 :: v_dual_mov_b32 v29, v84
	;; [unrolled: 1-line block ×3, first 2 shown]
	s_delay_alu instid0(VALU_DEP_4)
	v_dual_mov_b32 v28, v83 :: v_dual_and_b32 v37, 1, v0
	v_lshlrev_b32_e32 v38, 30, v0
	v_lshlrev_b32_e32 v64, 29, v0
	v_lshlrev_b32_e32 v66, 28, v0
	v_lshlrev_b32_e32 v68, 27, v0
	v_add_co_u32 v37, s14, v37, -1
	s_wait_alu 0xf1ff
	v_cndmask_b32_e64 v65, 0, 1, s14
	v_not_b32_e32 v70, v38
	v_cmp_gt_i32_e64 s15, 0, v38
	v_not_b32_e32 v38, v64
	v_lshlrev_b32_e32 v69, 26, v0
	v_cmp_ne_u32_e64 s14, 0, v65
	v_ashrrev_i32_e32 v70, 31, v70
	v_lshlrev_b32_e32 v65, 25, v0
	v_ashrrev_i32_e32 v38, 31, v38
	v_dual_mov_b32 v13, v112 :: v_dual_mov_b32 v14, v113
	s_wait_alu 0xf1ff
	v_xor_b32_e32 v37, s14, v37
	v_cmp_gt_i32_e64 s14, 0, v64
	v_not_b32_e32 v64, v66
	v_xor_b32_e32 v70, s15, v70
	v_cmp_gt_i32_e64 s15, 0, v66
	v_and_b32_e32 v37, exec_lo, v37
	v_not_b32_e32 v66, v68
	v_ashrrev_i32_e32 v64, 31, v64
	s_wait_alu 0xf1ff
	v_xor_b32_e32 v38, s14, v38
	v_cmp_gt_i32_e64 s14, 0, v68
	v_and_b32_e32 v37, v37, v70
	v_ashrrev_i32_e32 v66, 31, v66
	v_xor_b32_e32 v64, s15, v64
	v_dual_mov_b32 v53, v114 :: v_dual_mov_b32 v54, v115
	s_delay_alu instid0(VALU_DEP_4)
	v_and_b32_e32 v37, v37, v38
	v_not_b32_e32 v38, v65
	s_wait_alu 0xf1ff
	v_xor_b32_e32 v66, s14, v66
	v_cmp_gt_i32_e64 s14, 0, v65
	v_dual_mov_b32 v51, v116 :: v_dual_mov_b32 v52, v117
	v_and_b32_e32 v37, v37, v64
	v_ashrrev_i32_e32 v65, 31, v38
	v_lshlrev_b32_e32 v64, 24, v0
	v_lshl_add_u32 v0, v0, 3, v133
	v_dual_mov_b32 v21, v118 :: v_dual_mov_b32 v22, v119
	v_dual_mov_b32 v37, v80 :: v_dual_and_b32 v66, v37, v66
	v_mov_b32_e32 v38, v81
	v_not_b32_e32 v68, v69
	v_cmp_gt_i32_e64 s15, 0, v69
	v_not_b32_e32 v69, v64
	v_dual_mov_b32 v35, v86 :: v_dual_mov_b32 v36, v87
	s_delay_alu instid0(VALU_DEP_4)
	v_ashrrev_i32_e32 v68, 31, v68
	ds_store_b32 v9, v1
	ds_store_b32 v39, v1
	;; [unrolled: 1-line block ×7, first 2 shown]
	s_wait_alu 0xf1ff
	v_xor_b32_e32 v68, s15, v68
	v_cmp_gt_i32_e64 s15, 0, v64
	v_xor_b32_e32 v64, s14, v65
	ds_store_b32 v132, v1
	s_wait_loadcnt_dscnt 0x0
	v_and_b32_e32 v65, v66, v68
	v_ashrrev_i32_e32 v66, 31, v69
	v_lshlrev_b64_e32 v[68:69], 2, v[0:1]
	s_barrier_signal -1
	s_barrier_wait -1
	v_and_b32_e32 v64, v65, v64
	s_wait_alu 0xf1ff
	v_xor_b32_e32 v65, s15, v66
	global_inv scope:SCOPE_SE
	; wave barrier
	v_and_b32_e32 v65, v64, v65
	v_add_co_u32 v64, null, v12, v68
	s_delay_alu instid0(VALU_DEP_2) | instskip(SKIP_1) | instid1(VALU_DEP_3)
	v_mbcnt_lo_u32_b32 v0, v65, 0
	v_cmp_ne_u32_e64 s15, 0, v65
	v_add_co_u32 v64, null, v64, 32
	s_delay_alu instid0(VALU_DEP_3)
	v_cmp_eq_u32_e64 s14, 0, v0
	s_and_b32 s15, s15, s14
	s_wait_alu 0xfffe
	s_and_saveexec_b32 s14, s15
; %bb.173:                              ;   in Loop: Header=BB709_172 Depth=1
	v_bcnt_u32_b32 v65, v65, 0
	ds_store_b32 v64, v65
; %bb.174:                              ;   in Loop: Header=BB709_172 Depth=1
	s_wait_alu 0xfffe
	s_or_b32 exec_lo, exec_lo, s14
	v_lshrrev_b64 v[65:66], v10, v[25:26]
	; wave barrier
	s_delay_alu instid0(VALU_DEP_1) | instskip(NEXT) | instid1(VALU_DEP_1)
	v_and_b32_e32 v65, v65, v67
	v_and_b32_e32 v66, 1, v65
	v_lshlrev_b32_e32 v68, 30, v65
	v_lshlrev_b32_e32 v69, 29, v65
	v_lshlrev_b32_e32 v70, 28, v65
	v_lshlrev_b32_e32 v80, 27, v65
	v_add_co_u32 v66, s14, v66, -1
	s_wait_alu 0xf1ff
	v_cndmask_b32_e64 v71, 0, 1, s14
	v_not_b32_e32 v83, v68
	v_cmp_gt_i32_e64 s15, 0, v68
	v_not_b32_e32 v68, v69
	v_lshlrev_b32_e32 v81, 26, v65
	v_cmp_ne_u32_e64 s14, 0, v71
	v_ashrrev_i32_e32 v83, 31, v83
	v_lshlrev_b32_e32 v82, 25, v65
	v_ashrrev_i32_e32 v68, 31, v68
	v_lshlrev_b32_e32 v71, 24, v65
	s_wait_alu 0xf1ff
	v_xor_b32_e32 v66, s14, v66
	v_cmp_gt_i32_e64 s14, 0, v69
	v_not_b32_e32 v69, v70
	v_xor_b32_e32 v83, s15, v83
	v_cmp_gt_i32_e64 s15, 0, v70
	v_and_b32_e32 v66, exec_lo, v66
	v_not_b32_e32 v70, v80
	v_ashrrev_i32_e32 v69, 31, v69
	s_wait_alu 0xf1ff
	v_xor_b32_e32 v68, s14, v68
	v_cmp_gt_i32_e64 s14, 0, v80
	v_and_b32_e32 v66, v66, v83
	v_not_b32_e32 v80, v81
	v_ashrrev_i32_e32 v70, 31, v70
	v_xor_b32_e32 v69, s15, v69
	v_cmp_gt_i32_e64 s15, 0, v81
	v_and_b32_e32 v66, v66, v68
	v_not_b32_e32 v68, v82
	v_ashrrev_i32_e32 v80, 31, v80
	s_wait_alu 0xf1ff
	v_xor_b32_e32 v70, s14, v70
	v_cmp_gt_i32_e64 s14, 0, v82
	v_and_b32_e32 v66, v66, v69
	v_not_b32_e32 v69, v71
	v_ashrrev_i32_e32 v68, 31, v68
	v_xor_b32_e32 v80, s15, v80
	v_lshl_add_u32 v65, v65, 3, v133
	v_and_b32_e32 v66, v66, v70
	v_cmp_gt_i32_e64 s15, 0, v71
	v_ashrrev_i32_e32 v69, 31, v69
	s_wait_alu 0xf1ff
	v_xor_b32_e32 v68, s14, v68
	v_lshl_add_u32 v70, v65, 2, v12
	v_and_b32_e32 v66, v66, v80
	v_xor_b32_e32 v69, s15, v69
	ds_load_b32 v65, v70 offset:32
	v_and_b32_e32 v66, v66, v68
	v_add_nc_u32_e32 v68, 32, v70
	; wave barrier
	s_delay_alu instid0(VALU_DEP_2) | instskip(NEXT) | instid1(VALU_DEP_1)
	v_and_b32_e32 v69, v66, v69
	v_mbcnt_lo_u32_b32 v66, v69, 0
	v_cmp_ne_u32_e64 s15, 0, v69
	s_delay_alu instid0(VALU_DEP_2)
	v_cmp_eq_u32_e64 s14, 0, v66
	s_and_b32 s15, s15, s14
	s_wait_alu 0xfffe
	s_and_saveexec_b32 s14, s15
	s_cbranch_execz .LBB709_176
; %bb.175:                              ;   in Loop: Header=BB709_172 Depth=1
	s_wait_dscnt 0x0
	v_bcnt_u32_b32 v69, v69, v65
	ds_store_b32 v68, v69
.LBB709_176:                            ;   in Loop: Header=BB709_172 Depth=1
	s_wait_alu 0xfffe
	s_or_b32 exec_lo, exec_lo, s14
	v_lshrrev_b64 v[69:70], v10, v[33:34]
	; wave barrier
	s_delay_alu instid0(VALU_DEP_1) | instskip(NEXT) | instid1(VALU_DEP_1)
	v_and_b32_e32 v69, v69, v67
	v_and_b32_e32 v70, 1, v69
	v_lshlrev_b32_e32 v71, 30, v69
	v_lshlrev_b32_e32 v80, 29, v69
	;; [unrolled: 1-line block ×4, first 2 shown]
	v_add_co_u32 v70, s14, v70, -1
	s_wait_alu 0xf1ff
	v_cndmask_b32_e64 v82, 0, 1, s14
	v_not_b32_e32 v86, v71
	v_cmp_gt_i32_e64 s15, 0, v71
	v_not_b32_e32 v71, v80
	v_lshlrev_b32_e32 v84, 26, v69
	v_cmp_ne_u32_e64 s14, 0, v82
	v_ashrrev_i32_e32 v86, 31, v86
	v_lshlrev_b32_e32 v85, 25, v69
	v_ashrrev_i32_e32 v71, 31, v71
	v_lshlrev_b32_e32 v82, 24, v69
	s_wait_alu 0xf1ff
	v_xor_b32_e32 v70, s14, v70
	v_cmp_gt_i32_e64 s14, 0, v80
	v_not_b32_e32 v80, v81
	v_xor_b32_e32 v86, s15, v86
	v_cmp_gt_i32_e64 s15, 0, v81
	v_and_b32_e32 v70, exec_lo, v70
	v_not_b32_e32 v81, v83
	v_ashrrev_i32_e32 v80, 31, v80
	s_wait_alu 0xf1ff
	v_xor_b32_e32 v71, s14, v71
	v_cmp_gt_i32_e64 s14, 0, v83
	v_and_b32_e32 v70, v70, v86
	v_not_b32_e32 v83, v84
	v_ashrrev_i32_e32 v81, 31, v81
	v_xor_b32_e32 v80, s15, v80
	v_cmp_gt_i32_e64 s15, 0, v84
	v_and_b32_e32 v70, v70, v71
	v_not_b32_e32 v71, v85
	v_ashrrev_i32_e32 v83, 31, v83
	s_wait_alu 0xf1ff
	v_xor_b32_e32 v81, s14, v81
	v_cmp_gt_i32_e64 s14, 0, v85
	v_and_b32_e32 v70, v70, v80
	v_not_b32_e32 v80, v82
	v_ashrrev_i32_e32 v71, 31, v71
	v_xor_b32_e32 v83, s15, v83
	v_lshl_add_u32 v69, v69, 3, v133
	v_and_b32_e32 v70, v70, v81
	v_cmp_gt_i32_e64 s15, 0, v82
	v_ashrrev_i32_e32 v80, 31, v80
	s_wait_alu 0xf1ff
	v_xor_b32_e32 v71, s14, v71
	v_lshl_add_u32 v81, v69, 2, v12
	v_and_b32_e32 v70, v70, v83
	v_xor_b32_e32 v80, s15, v80
	ds_load_b32 v69, v81 offset:32
	v_and_b32_e32 v70, v70, v71
	v_add_nc_u32_e32 v71, 32, v81
	; wave barrier
	s_delay_alu instid0(VALU_DEP_2) | instskip(NEXT) | instid1(VALU_DEP_1)
	v_and_b32_e32 v80, v70, v80
	v_mbcnt_lo_u32_b32 v70, v80, 0
	v_cmp_ne_u32_e64 s15, 0, v80
	s_delay_alu instid0(VALU_DEP_2)
	v_cmp_eq_u32_e64 s14, 0, v70
	s_and_b32 s15, s15, s14
	s_wait_alu 0xfffe
	s_and_saveexec_b32 s14, s15
	s_cbranch_execz .LBB709_178
; %bb.177:                              ;   in Loop: Header=BB709_172 Depth=1
	s_wait_dscnt 0x0
	v_bcnt_u32_b32 v80, v80, v69
	ds_store_b32 v71, v80
.LBB709_178:                            ;   in Loop: Header=BB709_172 Depth=1
	s_wait_alu 0xfffe
	s_or_b32 exec_lo, exec_lo, s14
	v_lshrrev_b64 v[80:81], v10, v[31:32]
	; wave barrier
	s_delay_alu instid0(VALU_DEP_1) | instskip(NEXT) | instid1(VALU_DEP_1)
	v_and_b32_e32 v80, v80, v67
	v_and_b32_e32 v81, 1, v80
	v_lshlrev_b32_e32 v82, 30, v80
	v_lshlrev_b32_e32 v83, 29, v80
	v_lshlrev_b32_e32 v84, 28, v80
	v_lshlrev_b32_e32 v86, 27, v80
	v_add_co_u32 v81, s14, v81, -1
	s_wait_alu 0xf1ff
	v_cndmask_b32_e64 v85, 0, 1, s14
	v_not_b32_e32 v97, v82
	v_cmp_gt_i32_e64 s15, 0, v82
	v_not_b32_e32 v82, v83
	v_lshlrev_b32_e32 v87, 26, v80
	v_cmp_ne_u32_e64 s14, 0, v85
	v_ashrrev_i32_e32 v97, 31, v97
	v_lshlrev_b32_e32 v96, 25, v80
	v_ashrrev_i32_e32 v82, 31, v82
	v_lshlrev_b32_e32 v85, 24, v80
	s_wait_alu 0xf1ff
	v_xor_b32_e32 v81, s14, v81
	v_cmp_gt_i32_e64 s14, 0, v83
	v_not_b32_e32 v83, v84
	v_xor_b32_e32 v97, s15, v97
	v_cmp_gt_i32_e64 s15, 0, v84
	v_and_b32_e32 v81, exec_lo, v81
	v_not_b32_e32 v84, v86
	v_ashrrev_i32_e32 v83, 31, v83
	s_wait_alu 0xf1ff
	v_xor_b32_e32 v82, s14, v82
	v_cmp_gt_i32_e64 s14, 0, v86
	v_and_b32_e32 v81, v81, v97
	v_not_b32_e32 v86, v87
	v_ashrrev_i32_e32 v84, 31, v84
	v_xor_b32_e32 v83, s15, v83
	v_cmp_gt_i32_e64 s15, 0, v87
	v_and_b32_e32 v81, v81, v82
	v_not_b32_e32 v82, v96
	v_ashrrev_i32_e32 v86, 31, v86
	s_wait_alu 0xf1ff
	v_xor_b32_e32 v84, s14, v84
	v_cmp_gt_i32_e64 s14, 0, v96
	v_and_b32_e32 v81, v81, v83
	v_not_b32_e32 v83, v85
	v_ashrrev_i32_e32 v82, 31, v82
	v_xor_b32_e32 v86, s15, v86
	v_lshl_add_u32 v80, v80, 3, v133
	v_and_b32_e32 v81, v81, v84
	v_cmp_gt_i32_e64 s15, 0, v85
	v_ashrrev_i32_e32 v83, 31, v83
	s_wait_alu 0xf1ff
	v_xor_b32_e32 v82, s14, v82
	v_lshl_add_u32 v84, v80, 2, v12
	v_and_b32_e32 v81, v81, v86
	v_xor_b32_e32 v83, s15, v83
	ds_load_b32 v80, v84 offset:32
	v_and_b32_e32 v81, v81, v82
	v_add_nc_u32_e32 v82, 32, v84
	; wave barrier
	s_delay_alu instid0(VALU_DEP_2) | instskip(NEXT) | instid1(VALU_DEP_1)
	v_and_b32_e32 v83, v81, v83
	v_mbcnt_lo_u32_b32 v81, v83, 0
	v_cmp_ne_u32_e64 s15, 0, v83
	s_delay_alu instid0(VALU_DEP_2)
	v_cmp_eq_u32_e64 s14, 0, v81
	s_and_b32 s15, s15, s14
	s_wait_alu 0xfffe
	s_and_saveexec_b32 s14, s15
	s_cbranch_execz .LBB709_180
; %bb.179:                              ;   in Loop: Header=BB709_172 Depth=1
	s_wait_dscnt 0x0
	v_bcnt_u32_b32 v83, v83, v80
	ds_store_b32 v82, v83
.LBB709_180:                            ;   in Loop: Header=BB709_172 Depth=1
	s_wait_alu 0xfffe
	s_or_b32 exec_lo, exec_lo, s14
	v_lshrrev_b64 v[83:84], v10, v[29:30]
	; wave barrier
	s_delay_alu instid0(VALU_DEP_1) | instskip(NEXT) | instid1(VALU_DEP_1)
	v_and_b32_e32 v83, v83, v67
	v_and_b32_e32 v84, 1, v83
	v_lshlrev_b32_e32 v85, 30, v83
	v_lshlrev_b32_e32 v86, 29, v83
	;; [unrolled: 1-line block ×4, first 2 shown]
	v_add_co_u32 v84, s14, v84, -1
	s_wait_alu 0xf1ff
	v_cndmask_b32_e64 v96, 0, 1, s14
	v_not_b32_e32 v100, v85
	v_cmp_gt_i32_e64 s15, 0, v85
	v_not_b32_e32 v85, v86
	v_lshlrev_b32_e32 v98, 26, v83
	v_cmp_ne_u32_e64 s14, 0, v96
	v_ashrrev_i32_e32 v100, 31, v100
	v_lshlrev_b32_e32 v99, 25, v83
	v_ashrrev_i32_e32 v85, 31, v85
	v_lshlrev_b32_e32 v96, 24, v83
	s_wait_alu 0xf1ff
	v_xor_b32_e32 v84, s14, v84
	v_cmp_gt_i32_e64 s14, 0, v86
	v_not_b32_e32 v86, v87
	v_xor_b32_e32 v100, s15, v100
	v_cmp_gt_i32_e64 s15, 0, v87
	v_and_b32_e32 v84, exec_lo, v84
	v_not_b32_e32 v87, v97
	v_ashrrev_i32_e32 v86, 31, v86
	s_wait_alu 0xf1ff
	v_xor_b32_e32 v85, s14, v85
	v_cmp_gt_i32_e64 s14, 0, v97
	v_and_b32_e32 v84, v84, v100
	v_not_b32_e32 v97, v98
	v_ashrrev_i32_e32 v87, 31, v87
	v_xor_b32_e32 v86, s15, v86
	v_cmp_gt_i32_e64 s15, 0, v98
	v_and_b32_e32 v84, v84, v85
	v_not_b32_e32 v85, v99
	v_ashrrev_i32_e32 v97, 31, v97
	s_wait_alu 0xf1ff
	v_xor_b32_e32 v87, s14, v87
	v_cmp_gt_i32_e64 s14, 0, v99
	v_and_b32_e32 v84, v84, v86
	v_not_b32_e32 v86, v96
	v_ashrrev_i32_e32 v85, 31, v85
	v_xor_b32_e32 v97, s15, v97
	v_lshl_add_u32 v83, v83, 3, v133
	v_and_b32_e32 v84, v84, v87
	v_cmp_gt_i32_e64 s15, 0, v96
	v_ashrrev_i32_e32 v86, 31, v86
	s_wait_alu 0xf1ff
	v_xor_b32_e32 v85, s14, v85
	v_lshl_add_u32 v87, v83, 2, v12
	v_and_b32_e32 v84, v84, v97
	v_xor_b32_e32 v86, s15, v86
	ds_load_b32 v83, v87 offset:32
	v_and_b32_e32 v84, v84, v85
	v_add_nc_u32_e32 v85, 32, v87
	; wave barrier
	s_delay_alu instid0(VALU_DEP_2) | instskip(NEXT) | instid1(VALU_DEP_1)
	v_and_b32_e32 v86, v84, v86
	v_mbcnt_lo_u32_b32 v84, v86, 0
	v_cmp_ne_u32_e64 s15, 0, v86
	s_delay_alu instid0(VALU_DEP_2)
	v_cmp_eq_u32_e64 s14, 0, v84
	s_and_b32 s15, s15, s14
	s_wait_alu 0xfffe
	s_and_saveexec_b32 s14, s15
	s_cbranch_execz .LBB709_182
; %bb.181:                              ;   in Loop: Header=BB709_172 Depth=1
	s_wait_dscnt 0x0
	v_bcnt_u32_b32 v86, v86, v83
	ds_store_b32 v85, v86
.LBB709_182:                            ;   in Loop: Header=BB709_172 Depth=1
	s_wait_alu 0xfffe
	s_or_b32 exec_lo, exec_lo, s14
	v_lshrrev_b64 v[86:87], v10, v[27:28]
	; wave barrier
	s_delay_alu instid0(VALU_DEP_1) | instskip(NEXT) | instid1(VALU_DEP_1)
	v_and_b32_e32 v86, v86, v67
	v_and_b32_e32 v87, 1, v86
	v_lshlrev_b32_e32 v96, 30, v86
	v_lshlrev_b32_e32 v97, 29, v86
	;; [unrolled: 1-line block ×4, first 2 shown]
	v_add_co_u32 v87, s14, v87, -1
	s_wait_alu 0xf1ff
	v_cndmask_b32_e64 v99, 0, 1, s14
	v_not_b32_e32 v103, v96
	v_cmp_gt_i32_e64 s15, 0, v96
	v_not_b32_e32 v96, v97
	v_lshlrev_b32_e32 v101, 26, v86
	v_cmp_ne_u32_e64 s14, 0, v99
	v_ashrrev_i32_e32 v103, 31, v103
	v_lshlrev_b32_e32 v102, 25, v86
	v_ashrrev_i32_e32 v96, 31, v96
	v_lshlrev_b32_e32 v99, 24, v86
	s_wait_alu 0xf1ff
	v_xor_b32_e32 v87, s14, v87
	v_cmp_gt_i32_e64 s14, 0, v97
	v_not_b32_e32 v97, v98
	v_xor_b32_e32 v103, s15, v103
	v_cmp_gt_i32_e64 s15, 0, v98
	v_and_b32_e32 v87, exec_lo, v87
	v_not_b32_e32 v98, v100
	v_ashrrev_i32_e32 v97, 31, v97
	s_wait_alu 0xf1ff
	v_xor_b32_e32 v96, s14, v96
	v_cmp_gt_i32_e64 s14, 0, v100
	v_and_b32_e32 v87, v87, v103
	v_not_b32_e32 v100, v101
	v_ashrrev_i32_e32 v98, 31, v98
	v_xor_b32_e32 v97, s15, v97
	v_cmp_gt_i32_e64 s15, 0, v101
	v_and_b32_e32 v87, v87, v96
	v_not_b32_e32 v96, v102
	v_ashrrev_i32_e32 v100, 31, v100
	s_wait_alu 0xf1ff
	v_xor_b32_e32 v98, s14, v98
	v_cmp_gt_i32_e64 s14, 0, v102
	v_and_b32_e32 v87, v87, v97
	v_not_b32_e32 v97, v99
	v_ashrrev_i32_e32 v96, 31, v96
	v_xor_b32_e32 v100, s15, v100
	v_lshl_add_u32 v86, v86, 3, v133
	v_and_b32_e32 v87, v87, v98
	v_cmp_gt_i32_e64 s15, 0, v99
	v_ashrrev_i32_e32 v97, 31, v97
	s_wait_alu 0xf1ff
	v_xor_b32_e32 v96, s14, v96
	v_lshl_add_u32 v98, v86, 2, v12
	v_and_b32_e32 v87, v87, v100
	v_xor_b32_e32 v97, s15, v97
	ds_load_b32 v86, v98 offset:32
	v_and_b32_e32 v87, v87, v96
	v_add_nc_u32_e32 v96, 32, v98
	; wave barrier
	s_delay_alu instid0(VALU_DEP_2) | instskip(NEXT) | instid1(VALU_DEP_1)
	v_and_b32_e32 v97, v87, v97
	v_mbcnt_lo_u32_b32 v87, v97, 0
	v_cmp_ne_u32_e64 s15, 0, v97
	s_delay_alu instid0(VALU_DEP_2)
	v_cmp_eq_u32_e64 s14, 0, v87
	s_and_b32 s15, s15, s14
	s_wait_alu 0xfffe
	s_and_saveexec_b32 s14, s15
	s_cbranch_execz .LBB709_184
; %bb.183:                              ;   in Loop: Header=BB709_172 Depth=1
	s_wait_dscnt 0x0
	v_bcnt_u32_b32 v97, v97, v86
	ds_store_b32 v96, v97
.LBB709_184:                            ;   in Loop: Header=BB709_172 Depth=1
	s_wait_alu 0xfffe
	s_or_b32 exec_lo, exec_lo, s14
	v_lshrrev_b64 v[97:98], v10, v[35:36]
	; wave barrier
	s_delay_alu instid0(VALU_DEP_1) | instskip(NEXT) | instid1(VALU_DEP_1)
	v_and_b32_e32 v97, v97, v67
	v_and_b32_e32 v98, 1, v97
	v_lshlrev_b32_e32 v99, 30, v97
	v_lshlrev_b32_e32 v100, 29, v97
	;; [unrolled: 1-line block ×4, first 2 shown]
	v_add_co_u32 v98, s14, v98, -1
	s_wait_alu 0xf1ff
	v_cndmask_b32_e64 v102, 0, 1, s14
	v_not_b32_e32 v114, v99
	v_cmp_gt_i32_e64 s15, 0, v99
	v_not_b32_e32 v99, v100
	v_lshlrev_b32_e32 v112, 26, v97
	v_cmp_ne_u32_e64 s14, 0, v102
	v_ashrrev_i32_e32 v114, 31, v114
	v_lshlrev_b32_e32 v113, 25, v97
	v_ashrrev_i32_e32 v99, 31, v99
	v_lshlrev_b32_e32 v102, 24, v97
	s_wait_alu 0xf1ff
	v_xor_b32_e32 v98, s14, v98
	v_cmp_gt_i32_e64 s14, 0, v100
	v_not_b32_e32 v100, v101
	v_xor_b32_e32 v114, s15, v114
	v_cmp_gt_i32_e64 s15, 0, v101
	v_and_b32_e32 v98, exec_lo, v98
	v_not_b32_e32 v101, v103
	v_ashrrev_i32_e32 v100, 31, v100
	s_wait_alu 0xf1ff
	v_xor_b32_e32 v99, s14, v99
	v_cmp_gt_i32_e64 s14, 0, v103
	v_and_b32_e32 v98, v98, v114
	v_not_b32_e32 v103, v112
	v_ashrrev_i32_e32 v101, 31, v101
	v_xor_b32_e32 v100, s15, v100
	v_cmp_gt_i32_e64 s15, 0, v112
	v_and_b32_e32 v98, v98, v99
	v_not_b32_e32 v99, v113
	v_ashrrev_i32_e32 v103, 31, v103
	s_wait_alu 0xf1ff
	v_xor_b32_e32 v101, s14, v101
	v_cmp_gt_i32_e64 s14, 0, v113
	v_and_b32_e32 v98, v98, v100
	v_not_b32_e32 v100, v102
	v_ashrrev_i32_e32 v99, 31, v99
	v_xor_b32_e32 v103, s15, v103
	v_lshl_add_u32 v97, v97, 3, v133
	v_and_b32_e32 v98, v98, v101
	v_cmp_gt_i32_e64 s15, 0, v102
	v_ashrrev_i32_e32 v100, 31, v100
	s_wait_alu 0xf1ff
	v_xor_b32_e32 v99, s14, v99
	v_lshl_add_u32 v101, v97, 2, v12
	v_and_b32_e32 v98, v98, v103
	v_xor_b32_e32 v100, s15, v100
	ds_load_b32 v97, v101 offset:32
	v_and_b32_e32 v98, v98, v99
	v_add_nc_u32_e32 v99, 32, v101
	; wave barrier
	s_delay_alu instid0(VALU_DEP_2) | instskip(NEXT) | instid1(VALU_DEP_1)
	v_and_b32_e32 v100, v98, v100
	v_mbcnt_lo_u32_b32 v98, v100, 0
	v_cmp_ne_u32_e64 s15, 0, v100
	s_delay_alu instid0(VALU_DEP_2)
	v_cmp_eq_u32_e64 s14, 0, v98
	s_and_b32 s15, s15, s14
	s_wait_alu 0xfffe
	s_and_saveexec_b32 s14, s15
	s_cbranch_execz .LBB709_186
; %bb.185:                              ;   in Loop: Header=BB709_172 Depth=1
	s_wait_dscnt 0x0
	v_bcnt_u32_b32 v100, v100, v97
	ds_store_b32 v99, v100
.LBB709_186:                            ;   in Loop: Header=BB709_172 Depth=1
	s_wait_alu 0xfffe
	s_or_b32 exec_lo, exec_lo, s14
	v_lshrrev_b64 v[100:101], v10, v[37:38]
	; wave barrier
	s_delay_alu instid0(VALU_DEP_1) | instskip(NEXT) | instid1(VALU_DEP_1)
	v_and_b32_e32 v67, v100, v67
	v_and_b32_e32 v100, 1, v67
	v_lshlrev_b32_e32 v101, 30, v67
	v_lshlrev_b32_e32 v102, 29, v67
	;; [unrolled: 1-line block ×4, first 2 shown]
	v_add_co_u32 v100, s14, v100, -1
	s_wait_alu 0xf1ff
	v_cndmask_b32_e64 v112, 0, 1, s14
	v_not_b32_e32 v116, v101
	v_cmp_gt_i32_e64 s15, 0, v101
	v_not_b32_e32 v101, v102
	v_lshlrev_b32_e32 v114, 26, v67
	v_cmp_ne_u32_e64 s14, 0, v112
	v_ashrrev_i32_e32 v116, 31, v116
	v_lshlrev_b32_e32 v115, 25, v67
	v_ashrrev_i32_e32 v101, 31, v101
	v_lshlrev_b32_e32 v112, 24, v67
	s_wait_alu 0xf1ff
	v_xor_b32_e32 v100, s14, v100
	v_cmp_gt_i32_e64 s14, 0, v102
	v_not_b32_e32 v102, v103
	v_xor_b32_e32 v116, s15, v116
	v_cmp_gt_i32_e64 s15, 0, v103
	v_and_b32_e32 v100, exec_lo, v100
	v_not_b32_e32 v103, v113
	v_ashrrev_i32_e32 v102, 31, v102
	s_wait_alu 0xf1ff
	v_xor_b32_e32 v101, s14, v101
	v_cmp_gt_i32_e64 s14, 0, v113
	v_and_b32_e32 v100, v100, v116
	v_not_b32_e32 v113, v114
	v_ashrrev_i32_e32 v103, 31, v103
	v_xor_b32_e32 v102, s15, v102
	v_cmp_gt_i32_e64 s15, 0, v114
	v_and_b32_e32 v100, v100, v101
	v_not_b32_e32 v101, v115
	v_ashrrev_i32_e32 v113, 31, v113
	s_wait_alu 0xf1ff
	v_xor_b32_e32 v103, s14, v103
	v_cmp_gt_i32_e64 s14, 0, v115
	v_and_b32_e32 v100, v100, v102
	v_not_b32_e32 v102, v112
	v_ashrrev_i32_e32 v101, 31, v101
	v_xor_b32_e32 v113, s15, v113
	v_lshl_add_u32 v67, v67, 3, v133
	v_and_b32_e32 v100, v100, v103
	v_cmp_gt_i32_e64 s15, 0, v112
	v_ashrrev_i32_e32 v102, 31, v102
	s_wait_alu 0xf1ff
	v_xor_b32_e32 v101, s14, v101
	v_lshl_add_u32 v103, v67, 2, v12
	v_and_b32_e32 v100, v100, v113
	v_xor_b32_e32 v102, s15, v102
	ds_load_b32 v67, v103 offset:32
	v_and_b32_e32 v100, v100, v101
	v_add_nc_u32_e32 v101, 32, v103
	; wave barrier
	s_delay_alu instid0(VALU_DEP_2) | instskip(NEXT) | instid1(VALU_DEP_1)
	v_and_b32_e32 v102, v100, v102
	v_mbcnt_lo_u32_b32 v100, v102, 0
	v_cmp_ne_u32_e64 s15, 0, v102
	s_delay_alu instid0(VALU_DEP_2)
	v_cmp_eq_u32_e64 s14, 0, v100
	s_and_b32 s15, s15, s14
	s_wait_alu 0xfffe
	s_and_saveexec_b32 s14, s15
	s_cbranch_execz .LBB709_188
; %bb.187:                              ;   in Loop: Header=BB709_172 Depth=1
	s_wait_dscnt 0x0
	v_bcnt_u32_b32 v102, v102, v67
	ds_store_b32 v101, v102
.LBB709_188:                            ;   in Loop: Header=BB709_172 Depth=1
	s_wait_alu 0xfffe
	s_or_b32 exec_lo, exec_lo, s14
	; wave barrier
	s_wait_loadcnt_dscnt 0x0
	s_barrier_signal -1
	s_barrier_wait -1
	global_inv scope:SCOPE_SE
	ds_load_b32 v103, v9
	ds_load_b32 v112, v39
	;; [unrolled: 1-line block ×8, first 2 shown]
	s_wait_dscnt 0x6
	v_add_nc_u32_e32 v118, v112, v103
	s_wait_dscnt 0x4
	s_delay_alu instid0(VALU_DEP_1) | instskip(SKIP_1) | instid1(VALU_DEP_1)
	v_add3_u32 v118, v118, v113, v114
	s_wait_dscnt 0x2
	v_add3_u32 v118, v118, v115, v116
	s_wait_dscnt 0x0
	s_delay_alu instid0(VALU_DEP_1) | instskip(NEXT) | instid1(VALU_DEP_1)
	v_add3_u32 v117, v118, v102, v117
	v_mov_b32_dpp v118, v117 row_shr:1 row_mask:0xf bank_mask:0xf
	s_wait_alu 0xfffd
	s_delay_alu instid0(VALU_DEP_1) | instskip(NEXT) | instid1(VALU_DEP_1)
	v_cndmask_b32_e64 v118, v118, 0, vcc_lo
	v_add_nc_u32_e32 v117, v118, v117
	s_delay_alu instid0(VALU_DEP_1) | instskip(NEXT) | instid1(VALU_DEP_1)
	v_mov_b32_dpp v118, v117 row_shr:2 row_mask:0xf bank_mask:0xf
	v_cndmask_b32_e64 v118, 0, v118, s0
	s_delay_alu instid0(VALU_DEP_1) | instskip(NEXT) | instid1(VALU_DEP_1)
	v_add_nc_u32_e32 v117, v117, v118
	v_mov_b32_dpp v118, v117 row_shr:4 row_mask:0xf bank_mask:0xf
	s_delay_alu instid0(VALU_DEP_1) | instskip(NEXT) | instid1(VALU_DEP_1)
	v_cndmask_b32_e64 v118, 0, v118, s1
	v_add_nc_u32_e32 v117, v117, v118
	s_delay_alu instid0(VALU_DEP_1) | instskip(NEXT) | instid1(VALU_DEP_1)
	v_mov_b32_dpp v118, v117 row_shr:8 row_mask:0xf bank_mask:0xf
	v_cndmask_b32_e64 v118, 0, v118, s3
	s_delay_alu instid0(VALU_DEP_1) | instskip(SKIP_3) | instid1(VALU_DEP_1)
	v_add_nc_u32_e32 v117, v117, v118
	ds_swizzle_b32 v118, v117 offset:swizzle(BROADCAST,32,15)
	s_wait_dscnt 0x0
	v_cndmask_b32_e64 v118, v118, 0, s4
	v_add_nc_u32_e32 v117, v117, v118
	s_and_saveexec_b32 s14, s5
; %bb.189:                              ;   in Loop: Header=BB709_172 Depth=1
	ds_store_b32 v135, v117
; %bb.190:                              ;   in Loop: Header=BB709_172 Depth=1
	s_wait_alu 0xfffe
	s_or_b32 exec_lo, exec_lo, s14
	s_wait_loadcnt_dscnt 0x0
	s_barrier_signal -1
	s_barrier_wait -1
	global_inv scope:SCOPE_SE
	s_and_saveexec_b32 s14, s6
	s_cbranch_execz .LBB709_192
; %bb.191:                              ;   in Loop: Header=BB709_172 Depth=1
	ds_load_b32 v118, v144
	s_wait_dscnt 0x0
	v_mov_b32_dpp v119, v118 row_shr:1 row_mask:0xf bank_mask:0xf
	s_delay_alu instid0(VALU_DEP_1) | instskip(NEXT) | instid1(VALU_DEP_1)
	v_cndmask_b32_e64 v119, v119, 0, s11
	v_add_nc_u32_e32 v118, v119, v118
	s_delay_alu instid0(VALU_DEP_1) | instskip(NEXT) | instid1(VALU_DEP_1)
	v_mov_b32_dpp v119, v118 row_shr:2 row_mask:0xf bank_mask:0xf
	v_cndmask_b32_e64 v119, 0, v119, s12
	s_delay_alu instid0(VALU_DEP_1) | instskip(NEXT) | instid1(VALU_DEP_1)
	v_add_nc_u32_e32 v118, v118, v119
	v_mov_b32_dpp v119, v118 row_shr:4 row_mask:0xf bank_mask:0xf
	s_delay_alu instid0(VALU_DEP_1) | instskip(NEXT) | instid1(VALU_DEP_1)
	v_cndmask_b32_e64 v119, 0, v119, s13
	v_add_nc_u32_e32 v118, v118, v119
	ds_store_b32 v144, v118
.LBB709_192:                            ;   in Loop: Header=BB709_172 Depth=1
	s_wait_alu 0xfffe
	s_or_b32 exec_lo, exec_lo, s14
	v_mov_b32_e32 v118, 0
	s_wait_loadcnt_dscnt 0x0
	s_barrier_signal -1
	s_barrier_wait -1
	global_inv scope:SCOPE_SE
	s_and_saveexec_b32 s14, s7
; %bb.193:                              ;   in Loop: Header=BB709_172 Depth=1
	ds_load_b32 v118, v146
; %bb.194:                              ;   in Loop: Header=BB709_172 Depth=1
	s_wait_alu 0xfffe
	s_or_b32 exec_lo, exec_lo, s14
	s_wait_dscnt 0x0
	v_add_nc_u32_e32 v117, v118, v117
	v_add_nc_u32_e32 v10, 8, v10
	s_mov_b32 s20, -1
	ds_bpermute_b32 v117, v134, v117
	s_wait_dscnt 0x0
	v_cndmask_b32_e64 v117, v117, v118, s2
                                        ; implicit-def: $vgpr118_vgpr119
	s_delay_alu instid0(VALU_DEP_1) | instskip(NEXT) | instid1(VALU_DEP_1)
	v_cndmask_b32_e64 v117, v117, 0, s10
	v_add_nc_u32_e32 v103, v117, v103
	s_delay_alu instid0(VALU_DEP_1) | instskip(SKIP_4) | instid1(VALU_DEP_1)
	v_add_nc_u32_e32 v112, v103, v112
	ds_store_b32 v9, v117
	ds_store_b32 v39, v103
	;; [unrolled: 1-line block ×3, first 2 shown]
	v_add_nc_u32_e32 v113, v112, v113
	v_add_nc_u32_e32 v114, v113, v114
	s_delay_alu instid0(VALU_DEP_1) | instskip(NEXT) | instid1(VALU_DEP_1)
	v_add_nc_u32_e32 v115, v114, v115
	v_add_nc_u32_e32 v116, v115, v116
	s_delay_alu instid0(VALU_DEP_1)
	v_add_nc_u32_e32 v102, v116, v102
	ds_store_b32 v128, v113
	ds_store_b32 v129, v114
	;; [unrolled: 1-line block ×5, first 2 shown]
	s_wait_loadcnt_dscnt 0x0
	s_barrier_signal -1
	s_barrier_wait -1
	global_inv scope:SCOPE_SE
	ds_load_b32 v64, v64
	ds_load_b32 v103, v68
	;; [unrolled: 1-line block ×8, first 2 shown]
	v_dual_mov_b32 v71, v1 :: v_dual_mov_b32 v82, v1
	v_dual_mov_b32 v85, v1 :: v_dual_mov_b32 v102, v1
	v_mov_b32_e32 v113, v1
	v_dual_mov_b32 v99, v1 :: v_dual_mov_b32 v68, v1
	v_cmp_lt_u32_e64 s14, v10, v11
	s_wait_loadcnt_dscnt 0x0
	v_add_nc_u32_e32 v0, v64, v0
	v_add3_u32 v101, v66, v65, v103
	v_add3_u32 v70, v70, v69, v112
	;; [unrolled: 1-line block ×7, first 2 shown]
	v_lshlrev_b64_e32 v[69:70], 3, v[70:71]
	v_lshlrev_b64_e32 v[64:65], 3, v[0:1]
	;; [unrolled: 1-line block ×8, first 2 shown]
	v_add_co_u32 v0, null, v12, v64
	v_add_co_u32 v163, null, v12, v65
	;; [unrolled: 1-line block ×8, first 2 shown]
                                        ; implicit-def: $vgpr96_vgpr97
                                        ; implicit-def: $vgpr100_vgpr101
                                        ; implicit-def: $vgpr98_vgpr99
                                        ; implicit-def: $vgpr102_vgpr103
                                        ; implicit-def: $vgpr112_vgpr113
                                        ; implicit-def: $vgpr114_vgpr115
                                        ; implicit-def: $vgpr116_vgpr117
                                        ; implicit-def: $vgpr66_vgpr67
                                        ; implicit-def: $vgpr64_vgpr65
                                        ; implicit-def: $vgpr70_vgpr71
                                        ; implicit-def: $vgpr68_vgpr69
                                        ; implicit-def: $vgpr84_vgpr85
                                        ; implicit-def: $vgpr82_vgpr83
                                        ; implicit-def: $vgpr86_vgpr87
                                        ; implicit-def: $vgpr80_vgpr81
	s_and_saveexec_b32 s15, s14
	s_cbranch_execz .LBB709_171
; %bb.195:                              ;   in Loop: Header=BB709_172 Depth=1
	s_barrier_signal -1
	s_barrier_wait -1
	global_inv scope:SCOPE_SE
	ds_store_b64 v0, v[23:24]
	ds_store_b64 v163, v[25:26]
	;; [unrolled: 1-line block ×8, first 2 shown]
	s_wait_loadcnt_dscnt 0x0
	s_barrier_signal -1
	s_barrier_wait -1
	global_inv scope:SCOPE_SE
	ds_load_b64 v[66:67], v145
	ds_load_b64 v[64:65], v147
	;; [unrolled: 1-line block ×8, first 2 shown]
	s_wait_loadcnt_dscnt 0x0
	s_barrier_signal -1
	s_barrier_wait -1
	global_inv scope:SCOPE_SE
	ds_store_b64 v0, v[7:8]
	ds_store_b64 v163, v[4:5]
	;; [unrolled: 1-line block ×8, first 2 shown]
	s_wait_loadcnt_dscnt 0x0
	s_barrier_signal -1
	s_barrier_wait -1
	global_inv scope:SCOPE_SE
	ds_load_b64 v[96:97], v145
	ds_load_b64 v[100:101], v147
	;; [unrolled: 1-line block ×8, first 2 shown]
	v_add_nc_u32_e32 v162, -8, v162
	s_xor_b32 s20, exec_lo, -1
	s_wait_loadcnt_dscnt 0x0
	s_barrier_signal -1
	s_barrier_wait -1
	global_inv scope:SCOPE_SE
	s_branch .LBB709_171
.LBB709_196:
	flat_load_b64 v[194:195], v[0:1]
	s_wait_alu 0xfffe
	s_or_b32 exec_lo, exec_lo, s17
                                        ; implicit-def: $vgpr198_vgpr199
	s_and_saveexec_b32 s17, s0
	s_cbranch_execz .LBB709_36
.LBB709_197:
	flat_load_b64 v[198:199], v[0:1] offset:256
	s_wait_alu 0xfffe
	s_or_b32 exec_lo, exec_lo, s17
                                        ; implicit-def: $vgpr192_vgpr193
	s_and_saveexec_b32 s0, s1
	s_cbranch_execz .LBB709_37
.LBB709_198:
	flat_load_b64 v[192:193], v[0:1] offset:512
	s_wait_alu 0xfffe
	s_or_b32 exec_lo, exec_lo, s0
                                        ; implicit-def: $vgpr196_vgpr197
	s_and_saveexec_b32 s0, s2
	s_cbranch_execz .LBB709_38
.LBB709_199:
	flat_load_b64 v[196:197], v[0:1] offset:768
	s_wait_alu 0xfffe
	s_or_b32 exec_lo, exec_lo, s0
                                        ; implicit-def: $vgpr210_vgpr211
	s_and_saveexec_b32 s0, s3
	s_cbranch_execz .LBB709_39
.LBB709_200:
	flat_load_b64 v[210:211], v[0:1] offset:1024
	s_wait_alu 0xfffe
	s_or_b32 exec_lo, exec_lo, s0
                                        ; implicit-def: $vgpr208_vgpr209
	s_and_saveexec_b32 s0, s4
	s_cbranch_execz .LBB709_40
.LBB709_201:
	flat_load_b64 v[208:209], v[0:1] offset:1280
	s_wait_alu 0xfffe
	s_or_b32 exec_lo, exec_lo, s0
                                        ; implicit-def: $vgpr212_vgpr213
	s_and_saveexec_b32 s0, s5
	s_cbranch_execz .LBB709_41
.LBB709_202:
	flat_load_b64 v[212:213], v[0:1] offset:1536
	s_wait_alu 0xfffe
	s_or_b32 exec_lo, exec_lo, s0
                                        ; implicit-def: $vgpr214_vgpr215
	s_and_saveexec_b32 s0, s6
	s_cbranch_execz .LBB709_42
.LBB709_203:
	flat_load_b64 v[214:215], v[0:1] offset:1792
	s_wait_alu 0xfffe
	s_or_b32 exec_lo, exec_lo, s0
                                        ; implicit-def: $vgpr224_vgpr225
	s_and_saveexec_b32 s0, s7
	s_cbranch_execz .LBB709_43
.LBB709_204:
	flat_load_b64 v[224:225], v[0:1] offset:2048
	s_wait_alu 0xfffe
	s_or_b32 exec_lo, exec_lo, s0
                                        ; implicit-def: $vgpr226_vgpr227
	s_and_saveexec_b32 s0, s10
	s_cbranch_execz .LBB709_44
.LBB709_205:
	flat_load_b64 v[226:227], v[0:1] offset:2304
	s_wait_alu 0xfffe
	s_or_b32 exec_lo, exec_lo, s0
                                        ; implicit-def: $vgpr228_vgpr229
	s_and_saveexec_b32 s0, s11
	s_cbranch_execz .LBB709_45
.LBB709_206:
	flat_load_b64 v[228:229], v[0:1] offset:2560
	s_wait_alu 0xfffe
	s_or_b32 exec_lo, exec_lo, s0
                                        ; implicit-def: $vgpr230_vgpr231
	s_and_saveexec_b32 s0, s12
	s_cbranch_execz .LBB709_46
.LBB709_207:
	flat_load_b64 v[230:231], v[0:1] offset:2816
	s_wait_alu 0xfffe
	s_or_b32 exec_lo, exec_lo, s0
                                        ; implicit-def: $vgpr240_vgpr241
	s_and_saveexec_b32 s0, s13
	s_cbranch_execz .LBB709_47
.LBB709_208:
	flat_load_b64 v[240:241], v[0:1] offset:3072
	s_wait_alu 0xfffe
	s_or_b32 exec_lo, exec_lo, s0
                                        ; implicit-def: $vgpr242_vgpr243
	s_and_saveexec_b32 s0, s14
	s_cbranch_execz .LBB709_48
.LBB709_209:
	flat_load_b64 v[242:243], v[0:1] offset:3328
	s_wait_alu 0xfffe
	s_or_b32 exec_lo, exec_lo, s0
                                        ; implicit-def: $vgpr244_vgpr245
	s_and_saveexec_b32 s0, s15
	s_cbranch_execz .LBB709_49
.LBB709_210:
	flat_load_b64 v[244:245], v[0:1] offset:3584
	s_wait_alu 0xfffe
	s_or_b32 exec_lo, exec_lo, s0
                                        ; implicit-def: $vgpr246_vgpr247
	s_and_saveexec_b32 s0, s16
	s_cbranch_execnz .LBB709_50
	s_branch .LBB709_51
.LBB709_211:
	flat_store_b64 v[0:1], v[48:49]
	s_wait_alu 0xfffe
	s_or_b32 exec_lo, exec_lo, s17
	s_and_saveexec_b32 s17, s0
	s_cbranch_execz .LBB709_127
.LBB709_212:
	flat_store_b64 v[0:1], v[50:51] offset:2048
	s_wait_alu 0xfffe
	s_or_b32 exec_lo, exec_lo, s17
	s_and_saveexec_b32 s0, s1
	s_cbranch_execz .LBB709_128
.LBB709_213:
	flat_store_b64 v[0:1], v[32:33] offset:4096
	s_wait_alu 0xfffe
	s_or_b32 exec_lo, exec_lo, s0
	s_and_saveexec_b32 s0, s2
	s_cbranch_execz .LBB709_129
.LBB709_214:
	flat_store_b64 v[0:1], v[34:35] offset:6144
	s_wait_alu 0xfffe
	s_or_b32 exec_lo, exec_lo, s0
	s_and_saveexec_b32 s0, s3
	s_cbranch_execz .LBB709_130
.LBB709_215:
	flat_store_b64 v[0:1], v[28:29] offset:8192
	s_wait_alu 0xfffe
	s_or_b32 exec_lo, exec_lo, s0
	s_and_saveexec_b32 s0, s4
	s_cbranch_execz .LBB709_131
.LBB709_216:
	flat_store_b64 v[0:1], v[30:31] offset:10240
	s_wait_alu 0xfffe
	s_or_b32 exec_lo, exec_lo, s0
	s_and_saveexec_b32 s0, s5
	s_cbranch_execz .LBB709_132
.LBB709_217:
	flat_store_b64 v[0:1], v[24:25] offset:12288
	s_wait_alu 0xfffe
	s_or_b32 exec_lo, exec_lo, s0
	s_and_saveexec_b32 s0, s6
	s_cbranch_execz .LBB709_133
.LBB709_218:
	flat_store_b64 v[0:1], v[26:27] offset:14336
	s_wait_alu 0xfffe
	s_or_b32 exec_lo, exec_lo, s0
	s_and_saveexec_b32 s0, s7
	s_cbranch_execz .LBB709_134
.LBB709_219:
	flat_store_b64 v[0:1], v[20:21] offset:16384
	s_wait_alu 0xfffe
	s_or_b32 exec_lo, exec_lo, s0
	s_and_saveexec_b32 s0, s10
	s_cbranch_execz .LBB709_135
.LBB709_220:
	flat_store_b64 v[0:1], v[22:23] offset:18432
	s_wait_alu 0xfffe
	s_or_b32 exec_lo, exec_lo, s0
	s_and_saveexec_b32 s0, s11
	s_cbranch_execz .LBB709_136
.LBB709_221:
	flat_store_b64 v[0:1], v[16:17] offset:20480
	s_wait_alu 0xfffe
	s_or_b32 exec_lo, exec_lo, s0
	s_and_saveexec_b32 s0, s12
	s_cbranch_execz .LBB709_137
.LBB709_222:
	flat_store_b64 v[0:1], v[18:19] offset:22528
	s_wait_alu 0xfffe
	s_or_b32 exec_lo, exec_lo, s0
	s_and_saveexec_b32 s0, s13
	s_cbranch_execz .LBB709_138
.LBB709_223:
	flat_store_b64 v[0:1], v[11:12] offset:24576
	s_wait_alu 0xfffe
	s_or_b32 exec_lo, exec_lo, s0
	s_and_saveexec_b32 s0, s14
	s_cbranch_execz .LBB709_139
.LBB709_224:
	flat_store_b64 v[0:1], v[13:14] offset:26624
	s_wait_alu 0xfffe
	s_or_b32 exec_lo, exec_lo, s0
	s_and_saveexec_b32 s0, s15
	s_cbranch_execz .LBB709_140
.LBB709_225:
	flat_store_b64 v[0:1], v[7:8] offset:28672
	s_wait_alu 0xfffe
	s_or_b32 exec_lo, exec_lo, s0
	s_and_saveexec_b32 s0, s16
	s_cbranch_execnz .LBB709_141
	s_branch .LBB709_142
.LBB709_226:
	s_or_b32 exec_lo, exec_lo, s19
	v_lshl_add_u32 v1, v16, 3, v12
	s_barrier_signal -1
	s_barrier_wait -1
	s_wait_loadcnt 0x0
	global_inv scope:SCOPE_SE
	ds_store_b64 v0, v[23:24]
	ds_store_b64 v163, v[25:26]
	;; [unrolled: 1-line block ×8, first 2 shown]
	s_wait_loadcnt_dscnt 0x0
	s_barrier_signal -1
	s_barrier_wait -1
	global_inv scope:SCOPE_SE
	ds_load_2addr_stride64_b64 v[36:39], v1 offset1:4
	ds_load_2addr_stride64_b64 v[32:35], v1 offset0:8 offset1:12
	ds_load_2addr_stride64_b64 v[28:31], v1 offset0:16 offset1:20
	;; [unrolled: 1-line block ×3, first 2 shown]
	s_wait_loadcnt_dscnt 0x0
	s_barrier_signal -1
	s_barrier_wait -1
	global_inv scope:SCOPE_SE
	ds_store_b64 v0, v[7:8]
	ds_store_b64 v163, v[4:5]
	;; [unrolled: 1-line block ×8, first 2 shown]
	s_wait_loadcnt_dscnt 0x0
	s_barrier_signal -1
	s_barrier_wait -1
	global_inv scope:SCOPE_SE
	ds_load_2addr_stride64_b64 v[20:23], v1 offset1:4
	ds_load_2addr_stride64_b64 v[16:19], v1 offset0:8 offset1:12
	ds_load_2addr_stride64_b64 v[11:14], v1 offset0:16 offset1:20
	;; [unrolled: 1-line block ×3, first 2 shown]
	v_mov_b32_e32 v51, 0
	v_add_co_u32 v2, vcc_lo, v2, v48
	s_wait_alu 0xfffd
	v_add_co_ci_u32_e64 v3, null, v3, v49, vcc_lo
	s_delay_alu instid0(VALU_DEP_3)
	v_lshlrev_b64_e32 v[0:1], 3, v[50:51]
	s_wait_loadcnt_dscnt 0x0
	s_barrier_signal -1
	s_barrier_wait -1
	global_inv scope:SCOPE_SE
	v_add_co_u32 v2, vcc_lo, v2, v0
	s_wait_alu 0xfffd
	v_add_co_ci_u32_e64 v3, null, v3, v1, vcc_lo
	v_cmp_lt_u32_e32 vcc_lo, v50, v40
	s_and_saveexec_b32 s0, vcc_lo
	s_cbranch_execz .LBB709_228
; %bb.227:
	v_xor_b32_e32 v5, 0x7fffffff, v37
	v_not_b32_e32 v4, v36
	flat_store_b64 v[2:3], v[4:5]
.LBB709_228:
	s_wait_alu 0xfffe
	s_or_b32 exec_lo, exec_lo, s0
	v_add_nc_u32_e32 v4, 0x100, v50
	s_delay_alu instid0(VALU_DEP_1)
	v_cmp_lt_u32_e64 s0, v4, v40
	s_and_saveexec_b32 s1, s0
	s_cbranch_execz .LBB709_230
; %bb.229:
	v_xor_b32_e32 v5, 0x7fffffff, v39
	v_not_b32_e32 v4, v38
	flat_store_b64 v[2:3], v[4:5] offset:2048
.LBB709_230:
	s_wait_alu 0xfffe
	s_or_b32 exec_lo, exec_lo, s1
	v_add_nc_u32_e32 v4, 0x200, v50
	s_delay_alu instid0(VALU_DEP_1)
	v_cmp_lt_u32_e64 s1, v4, v40
	s_and_saveexec_b32 s2, s1
	s_cbranch_execz .LBB709_232
; %bb.231:
	v_xor_b32_e32 v5, 0x7fffffff, v33
	v_not_b32_e32 v4, v32
	flat_store_b64 v[2:3], v[4:5] offset:4096
.LBB709_232:
	;; [unrolled: 12-line block ×7, first 2 shown]
	s_wait_alu 0xfffe
	s_or_b32 exec_lo, exec_lo, s7
	v_add_co_u32 v2, s7, v6, v48
	s_wait_alu 0xf1ff
	v_add_co_ci_u32_e64 v3, null, v15, v49, s7
	s_delay_alu instid0(VALU_DEP_2) | instskip(SKIP_1) | instid1(VALU_DEP_2)
	v_add_co_u32 v0, s7, v2, v0
	s_wait_alu 0xf1ff
	v_add_co_ci_u32_e64 v1, null, v3, v1, s7
	s_and_saveexec_b32 s7, vcc_lo
	s_cbranch_execnz .LBB709_292
; %bb.243:
	s_wait_alu 0xfffe
	s_or_b32 exec_lo, exec_lo, s7
	s_and_saveexec_b32 s7, s0
	s_cbranch_execnz .LBB709_293
.LBB709_244:
	s_wait_alu 0xfffe
	s_or_b32 exec_lo, exec_lo, s7
	s_and_saveexec_b32 s0, s1
	s_cbranch_execnz .LBB709_294
.LBB709_245:
	s_wait_alu 0xfffe
	s_or_b32 exec_lo, exec_lo, s0
	s_and_saveexec_b32 s0, s2
	s_cbranch_execnz .LBB709_295
.LBB709_246:
	s_wait_alu 0xfffe
	s_or_b32 exec_lo, exec_lo, s0
	s_and_saveexec_b32 s0, s3
	s_cbranch_execnz .LBB709_296
.LBB709_247:
	s_wait_alu 0xfffe
	s_or_b32 exec_lo, exec_lo, s0
	s_and_saveexec_b32 s0, s4
	s_cbranch_execnz .LBB709_297
.LBB709_248:
	s_wait_alu 0xfffe
	s_or_b32 exec_lo, exec_lo, s0
	s_and_saveexec_b32 s0, s5
	s_cbranch_execnz .LBB709_298
.LBB709_249:
	s_wait_alu 0xfffe
	s_or_b32 exec_lo, exec_lo, s0
	s_and_saveexec_b32 s0, s6
	s_cbranch_execz .LBB709_251
.LBB709_250:
	flat_store_b64 v[0:1], v[9:10] offset:14336
.LBB709_251:
	s_wait_alu 0xfffe
	s_or_b32 exec_lo, exec_lo, s0
                                        ; implicit-def: $vgpr40
                                        ; implicit-def: $vgpr0
                                        ; implicit-def: $vgpr1
                                        ; implicit-def: $vgpr2
                                        ; implicit-def: $vgpr3
                                        ; implicit-def: $vgpr4
                                        ; implicit-def: $vgpr5
                                        ; implicit-def: $vgpr6
                                        ; implicit-def: $vgpr15
                                        ; implicit-def: $vgpr8
                                        ; implicit-def: $vgpr10
                                        ; implicit-def: $vgpr11
                                        ; implicit-def: $vgpr12
                                        ; implicit-def: $vgpr7
                                        ; implicit-def: $vgpr9
                                        ; implicit-def: $vgpr16
                                        ; implicit-def: $vgpr28
.LBB709_252:
	s_wait_alu 0xfffe
	s_and_not1_saveexec_b32 s0, s16
	s_cbranch_execz .LBB709_372
; %bb.253:
	s_mov_b32 s0, exec_lo
	v_cmpx_lt_u32_e32 0x200, v40
	s_wait_alu 0xfffe
	s_xor_b32 s16, exec_lo, s0
	s_cbranch_execz .LBB709_313
; %bb.254:
	s_load_b64 s[0:1], s[8:9], 0x0
	s_and_b32 s2, ttmp7, 0xffff
	s_mov_b32 s3, 0
	v_dual_mov_b32 v85, v11 :: v_dual_mov_b32 v84, v10
	s_wait_kmcnt 0x0
	s_wait_alu 0xfffe
	s_cmp_lt_u32 s2, s1
	s_cselect_b32 s2, 14, 20
	s_cmp_lt_u32 ttmp9, s0
	s_wait_alu 0xfffe
	s_add_nc_u64 s[4:5], s[8:9], s[2:3]
	s_cselect_b32 s2, 12, 18
	s_load_u16 s4, s[4:5], 0x0
	s_add_nc_u64 s[0:1], s[8:9], s[2:3]
	s_load_u16 s0, s[0:1], 0x0
	s_wait_kmcnt 0x0
	v_mad_u32_u24 v7, v9, s4, v7
	s_delay_alu instid0(VALU_DEP_1) | instskip(NEXT) | instid1(VALU_DEP_1)
	v_mad_co_u64_u32 v[26:27], null, v7, s0, v[16:17]
	v_dual_mov_b32 v23, v12 :: v_dual_lshlrev_b32 v10, 2, v26
	v_mov_b32_e32 v9, 0
	s_delay_alu instid0(VALU_DEP_1) | instskip(NEXT) | instid1(VALU_DEP_3)
	v_lshlrev_b64_e32 v[24:25], 3, v[8:9]
	v_dual_mov_b32 v13, v9 :: v_dual_and_b32 v8, 0xffffff80, v10
	s_delay_alu instid0(VALU_DEP_1) | instskip(NEXT) | instid1(VALU_DEP_3)
	v_or_b32_e32 v20, v8, v28
	v_add_co_u32 v10, vcc_lo, v0, v24
	s_wait_alu 0xfffd
	s_delay_alu instid0(VALU_DEP_4)
	v_add_co_ci_u32_e64 v12, null, v1, v25, vcc_lo
	v_lshlrev_b64_e32 v[0:1], 3, v[8:9]
	v_bfrev_b32_e32 v8, 1
	v_lshlrev_b32_e32 v19, 3, v28
	v_mov_b32_e32 v7, v9
	v_mov_b32_e32 v11, v9
	s_delay_alu instid0(VALU_DEP_3) | instskip(SKIP_3) | instid1(VALU_DEP_3)
	v_add_co_u32 v14, vcc_lo, v10, v19
	s_wait_alu 0xfffd
	v_add_co_ci_u32_e64 v18, null, 0, v12, vcc_lo
	v_cmp_lt_u32_e32 vcc_lo, v20, v40
	v_add_co_u32 v17, s0, v14, v0
	v_mov_b32_e32 v10, v8
	v_mov_b32_e32 v12, v8
	s_wait_alu 0xf1ff
	v_add_co_ci_u32_e64 v18, null, v18, v1, s0
	v_mov_b32_e32 v14, v8
	s_and_saveexec_b32 s0, vcc_lo
	s_cbranch_execz .LBB709_256
; %bb.255:
	flat_load_b64 v[29:30], v[17:18]
	v_dual_mov_b32 v31, v9 :: v_dual_mov_b32 v32, v8
	v_dual_mov_b32 v33, v9 :: v_dual_mov_b32 v34, v8
	;; [unrolled: 1-line block ×3, first 2 shown]
	s_wait_loadcnt_dscnt 0x0
	v_dual_mov_b32 v7, v29 :: v_dual_mov_b32 v8, v30
	v_dual_mov_b32 v9, v31 :: v_dual_mov_b32 v10, v32
	;; [unrolled: 1-line block ×4, first 2 shown]
.LBB709_256:
	s_wait_alu 0xfffe
	s_or_b32 exec_lo, exec_lo, s0
	v_or_b32_e32 v21, 32, v20
	s_delay_alu instid0(VALU_DEP_1)
	v_cmp_lt_u32_e64 s0, v21, v40
	s_and_saveexec_b32 s1, s0
	s_cbranch_execz .LBB709_258
; %bb.257:
	flat_load_b64 v[9:10], v[17:18] offset:256
.LBB709_258:
	s_wait_alu 0xfffe
	s_or_b32 exec_lo, exec_lo, s1
	v_or_b32_e32 v21, 64, v20
	s_delay_alu instid0(VALU_DEP_1)
	v_cmp_lt_u32_e64 s1, v21, v40
	s_and_saveexec_b32 s2, s1
	s_cbranch_execz .LBB709_260
; %bb.259:
	flat_load_b64 v[11:12], v[17:18] offset:512
.LBB709_260:
	;; [unrolled: 10-line block ×3, first 2 shown]
	s_wait_alu 0xfffe
	s_or_b32 exec_lo, exec_lo, s3
	v_add_co_u32 v4, s3, v4, v24
	s_wait_alu 0xf1ff
	v_add_co_ci_u32_e64 v5, null, v5, v25, s3
                                        ; implicit-def: $vgpr29_vgpr30
	s_delay_alu instid0(VALU_DEP_2) | instskip(SKIP_1) | instid1(VALU_DEP_2)
	v_add_co_u32 v4, s3, v4, v19
	s_wait_alu 0xf1ff
	v_add_co_ci_u32_e64 v5, null, 0, v5, s3
	s_delay_alu instid0(VALU_DEP_2) | instskip(SKIP_1) | instid1(VALU_DEP_2)
	v_add_co_u32 v0, s3, v4, v0
	s_wait_alu 0xf1ff
	v_add_co_ci_u32_e64 v1, null, v5, v1, s3
	s_and_saveexec_b32 s3, vcc_lo
	s_cbranch_execnz .LBB709_337
; %bb.263:
	s_wait_alu 0xfffe
	s_or_b32 exec_lo, exec_lo, s3
                                        ; implicit-def: $vgpr31_vgpr32
	s_and_saveexec_b32 s3, s0
	s_cbranch_execnz .LBB709_338
.LBB709_264:
	s_wait_alu 0xfffe
	s_or_b32 exec_lo, exec_lo, s3
                                        ; implicit-def: $vgpr33_vgpr34
	s_and_saveexec_b32 s0, s1
	s_cbranch_execnz .LBB709_339
.LBB709_265:
	s_wait_alu 0xfffe
	s_or_b32 exec_lo, exec_lo, s0
                                        ; implicit-def: $vgpr21_vgpr22
	s_and_saveexec_b32 s0, s2
	s_cbranch_execz .LBB709_267
.LBB709_266:
	flat_load_b64 v[21:22], v[0:1] offset:768
.LBB709_267:
	s_wait_alu 0xfffe
	s_or_b32 exec_lo, exec_lo, s0
	v_lshl_add_u32 v0, v16, 5, v23
	v_and_b32_e32 v1, 0x3e0, v16
	v_and_b32_e32 v4, 15, v28
	v_sub_co_u32 v5, s2, v28, 1
	s_delay_alu instid0(VALU_DEP_4)
	v_add_nc_u32_e32 v39, 32, v0
	v_add_nc_u32_e32 v52, 36, v0
	;; [unrolled: 1-line block ×8, first 2 shown]
	v_min_u32_e32 v0, 0xe0, v1
	s_getpc_b64 s[0:1]
	s_wait_alu 0xfffe
	s_sext_i32_i16 s1, s1
	s_add_co_u32 s0, s0, _ZN7rocprim17ROCPRIM_400000_NS16block_radix_sortIlLj256ELj4ElLj1ELj1ELj8ELNS0_26block_radix_rank_algorithmE2ELNS0_18block_padding_hintE2ELNS0_4arch9wavefront6targetE0EE19radix_bits_per_passE@rel32@lo+12
	s_wait_alu 0xfffe
	s_add_co_ci_u32 s1, s1, _ZN7rocprim17ROCPRIM_400000_NS16block_radix_sortIlLj256ELj4ElLj1ELj1ELj8ELNS0_26block_radix_rank_algorithmE2ELNS0_18block_padding_hintE2ELNS0_4arch9wavefront6targetE0EE19radix_bits_per_passE@rel32@hi+24
	v_cmp_eq_u32_e32 vcc_lo, 0, v4
	s_load_b32 s17, s[0:1], 0x0
	v_cmp_lt_u32_e64 s0, 1, v4
	v_or_b32_e32 v0, 31, v0
	v_cmp_lt_u32_e64 s1, 3, v4
	v_and_b32_e32 v1, 16, v28
	v_cmp_lt_u32_e64 s3, 7, v4
	v_cmp_gt_i32_e64 s6, 0, v5
	v_cmp_eq_u32_e64 s5, v16, v0
	v_lshrrev_b32_e32 v0, 3, v16
	v_lshlrev_b32_e32 v4, 2, v16
	v_cmp_eq_u32_e64 s4, 0, v1
	s_wait_alu 0xf1ff
	v_cndmask_b32_e64 v1, v5, v28, s6
	v_xor_b32_e32 v48, -1, v7
	v_and_b32_e32 v0, 0x7c, v0
	v_and_or_b32 v5, 0xf80, v4, v28
	v_and_b32_e32 v7, 7, v28
	v_xor_b32_e32 v49, 0x7fffffff, v8
	s_wait_loadcnt_dscnt 0x0
	v_xor_b32_e32 v36, 0x7fffffff, v10
	v_add_nc_u32_e32 v69, v23, v0
	v_lshl_add_u32 v71, v5, 3, v23
	v_xor_b32_e32 v35, -1, v9
	v_xor_b32_e32 v38, 0x7fffffff, v12
	v_xor_b32_e32 v37, -1, v11
	v_xor_b32_e32 v51, 0x7fffffff, v14
	v_xor_b32_e32 v50, -1, v13
	v_lshrrev_b32_e32 v67, 5, v26
	v_cmp_gt_u32_e64 s6, 8, v16
	v_cmp_lt_u32_e64 s7, 31, v16
	v_lshlrev_b32_e32 v68, 2, v1
	v_cmp_eq_u32_e64 s10, 0, v16
	v_dual_mov_b32 v1, 0 :: v_dual_add_nc_u32 v70, v23, v4
	v_cmp_eq_u32_e64 s11, 0, v7
	v_cmp_lt_u32_e64 s12, 1, v7
	v_cmp_lt_u32_e64 s13, 3, v7
	v_add_nc_u32_e32 v80, -4, v69
	v_add_nc_u32_e32 v81, 0x100, v71
	v_add_nc_u32_e32 v82, 0x200, v71
	;; [unrolled: 1-line block ×3, first 2 shown]
	v_sub_nc_u32_e32 v86, v85, v84
	s_mov_b32 s19, 0
	s_wait_storecnt 0x0
	s_barrier_signal -1
	s_barrier_wait -1
	global_inv scope:SCOPE_SE
	s_branch .LBB709_269
.LBB709_268:                            ;   in Loop: Header=BB709_269 Depth=1
	s_wait_alu 0xfffe
	s_or_b32 exec_lo, exec_lo, s15
	s_delay_alu instid0(SALU_CYCLE_1)
	s_and_b32 s14, exec_lo, s20
	s_wait_alu 0xfffe
	s_or_b32 s19, s14, s19
	s_wait_alu 0xfffe
	s_and_not1_b32 exec_lo, exec_lo, s19
	s_cbranch_execz .LBB709_299
.LBB709_269:                            ; =>This Inner Loop Header: Depth=1
	s_wait_kmcnt 0x0
	v_min_u32_e32 v0, s17, v86
	v_dual_mov_b32 v11, v48 :: v_dual_mov_b32 v12, v49
	v_dual_mov_b32 v13, v50 :: v_dual_mov_b32 v14, v51
	s_delay_alu instid0(VALU_DEP_3) | instskip(SKIP_1) | instid1(VALU_DEP_4)
	v_lshlrev_b32_e64 v0, v0, -1
	v_dual_mov_b32 v17, v37 :: v_dual_mov_b32 v18, v38
	v_lshrrev_b64 v[4:5], v84, v[11:12]
	ds_store_b32 v39, v1
	ds_store_b32 v52, v1
	;; [unrolled: 1-line block ×3, first 2 shown]
	v_not_b32_e32 v48, v0
	ds_store_b32 v54, v1
	ds_store_b32 v55, v1
	;; [unrolled: 1-line block ×5, first 2 shown]
	v_dual_mov_b32 v19, v35 :: v_dual_and_b32 v0, v4, v48
	v_mov_b32_e32 v4, v33
	v_dual_mov_b32 v20, v36 :: v_dual_mov_b32 v9, v29
	s_delay_alu instid0(VALU_DEP_3) | instskip(SKIP_2) | instid1(VALU_DEP_3)
	v_dual_mov_b32 v10, v30 :: v_dual_and_b32 v27, 1, v0
	v_dual_mov_b32 v7, v31 :: v_dual_mov_b32 v8, v32
	v_mov_b32_e32 v5, v34
	v_add_co_u32 v27, s14, v27, -1
	v_lshlrev_b32_e32 v28, 30, v0
	s_wait_alu 0xf1ff
	v_cndmask_b32_e64 v31, 0, 1, s14
	v_lshlrev_b32_e32 v29, 29, v0
	v_lshlrev_b32_e32 v30, 28, v0
	;; [unrolled: 1-line block ×3, first 2 shown]
	v_not_b32_e32 v35, v28
	v_cmp_ne_u32_e64 s14, 0, v31
	v_cmp_gt_i32_e64 s15, 0, v28
	v_not_b32_e32 v28, v29
	v_lshlrev_b32_e32 v33, 26, v0
	v_ashrrev_i32_e32 v35, 31, v35
	s_wait_alu 0xf1ff
	v_xor_b32_e32 v27, s14, v27
	v_cmp_gt_i32_e64 s14, 0, v29
	v_not_b32_e32 v29, v30
	v_ashrrev_i32_e32 v28, 31, v28
	v_xor_b32_e32 v35, s15, v35
	v_and_b32_e32 v27, exec_lo, v27
	v_cmp_gt_i32_e64 s15, 0, v30
	v_not_b32_e32 v30, v32
	v_ashrrev_i32_e32 v29, 31, v29
	s_wait_alu 0xf1ff
	v_xor_b32_e32 v28, s14, v28
	v_and_b32_e32 v27, v27, v35
	v_lshlrev_b32_e32 v34, 25, v0
	v_cmp_gt_i32_e64 s14, 0, v32
	v_not_b32_e32 v32, v33
	v_ashrrev_i32_e32 v30, 31, v30
	v_xor_b32_e32 v29, s15, v29
	v_and_b32_e32 v27, v27, v28
	v_lshlrev_b32_e32 v31, 24, v0
	v_cmp_gt_i32_e64 s15, 0, v33
	v_not_b32_e32 v28, v34
	v_ashrrev_i32_e32 v32, 31, v32
	s_wait_alu 0xf1ff
	v_xor_b32_e32 v30, s14, v30
	v_and_b32_e32 v27, v27, v29
	v_cmp_gt_i32_e64 s14, 0, v34
	v_not_b32_e32 v29, v31
	v_ashrrev_i32_e32 v33, 31, v28
	v_xor_b32_e32 v32, s15, v32
	v_and_b32_e32 v30, v27, v30
	v_dual_mov_b32 v28, v22 :: v_dual_mov_b32 v27, v21
	v_cmp_gt_i32_e64 s15, 0, v31
	v_ashrrev_i32_e32 v21, 31, v29
	s_wait_alu 0xf1ff
	v_xor_b32_e32 v22, s14, v33
	v_and_b32_e32 v29, v30, v32
	v_lshl_add_u32 v0, v0, 3, v67
	s_wait_loadcnt_dscnt 0x0
	v_xor_b32_e32 v21, s15, v21
	s_barrier_signal -1
	v_and_b32_e32 v22, v29, v22
	v_lshlrev_b64_e32 v[29:30], 2, v[0:1]
	s_barrier_wait -1
	global_inv scope:SCOPE_SE
	v_and_b32_e32 v22, v22, v21
	; wave barrier
	v_add_co_u32 v21, null, v23, v29
	s_delay_alu instid0(VALU_DEP_2) | instskip(SKIP_1) | instid1(VALU_DEP_3)
	v_mbcnt_lo_u32_b32 v0, v22, 0
	v_cmp_ne_u32_e64 s15, 0, v22
	v_add_co_u32 v21, null, v21, 32
	s_delay_alu instid0(VALU_DEP_3)
	v_cmp_eq_u32_e64 s14, 0, v0
	s_and_b32 s15, s15, s14
	s_wait_alu 0xfffe
	s_and_saveexec_b32 s14, s15
; %bb.270:                              ;   in Loop: Header=BB709_269 Depth=1
	v_bcnt_u32_b32 v22, v22, 0
	ds_store_b32 v21, v22
; %bb.271:                              ;   in Loop: Header=BB709_269 Depth=1
	s_wait_alu 0xfffe
	s_or_b32 exec_lo, exec_lo, s14
	v_lshrrev_b64 v[29:30], v84, v[19:20]
	; wave barrier
	s_delay_alu instid0(VALU_DEP_1) | instskip(NEXT) | instid1(VALU_DEP_1)
	v_and_b32_e32 v22, v29, v48
	v_and_b32_e32 v29, 1, v22
	v_lshlrev_b32_e32 v30, 30, v22
	v_lshlrev_b32_e32 v31, 29, v22
	;; [unrolled: 1-line block ×4, first 2 shown]
	v_add_co_u32 v29, s14, v29, -1
	s_wait_alu 0xf1ff
	v_cndmask_b32_e64 v33, 0, 1, s14
	v_not_b32_e32 v37, v30
	v_cmp_gt_i32_e64 s15, 0, v30
	v_not_b32_e32 v30, v31
	v_lshlrev_b32_e32 v35, 26, v22
	v_cmp_ne_u32_e64 s14, 0, v33
	v_ashrrev_i32_e32 v37, 31, v37
	v_lshlrev_b32_e32 v36, 25, v22
	v_ashrrev_i32_e32 v30, 31, v30
	v_lshlrev_b32_e32 v33, 24, v22
	s_wait_alu 0xf1ff
	v_xor_b32_e32 v29, s14, v29
	v_cmp_gt_i32_e64 s14, 0, v31
	v_not_b32_e32 v31, v32
	v_xor_b32_e32 v37, s15, v37
	v_cmp_gt_i32_e64 s15, 0, v32
	v_and_b32_e32 v29, exec_lo, v29
	v_not_b32_e32 v32, v34
	v_ashrrev_i32_e32 v31, 31, v31
	s_wait_alu 0xf1ff
	v_xor_b32_e32 v30, s14, v30
	v_cmp_gt_i32_e64 s14, 0, v34
	v_and_b32_e32 v29, v29, v37
	v_not_b32_e32 v34, v35
	v_ashrrev_i32_e32 v32, 31, v32
	v_xor_b32_e32 v31, s15, v31
	v_cmp_gt_i32_e64 s15, 0, v35
	v_and_b32_e32 v29, v29, v30
	v_not_b32_e32 v30, v36
	v_ashrrev_i32_e32 v34, 31, v34
	s_wait_alu 0xf1ff
	v_xor_b32_e32 v32, s14, v32
	v_cmp_gt_i32_e64 s14, 0, v36
	v_and_b32_e32 v29, v29, v31
	v_not_b32_e32 v31, v33
	v_ashrrev_i32_e32 v30, 31, v30
	v_xor_b32_e32 v34, s15, v34
	v_lshl_add_u32 v22, v22, 3, v67
	v_and_b32_e32 v29, v29, v32
	v_cmp_gt_i32_e64 s15, 0, v33
	v_ashrrev_i32_e32 v31, 31, v31
	s_wait_alu 0xf1ff
	v_xor_b32_e32 v30, s14, v30
	v_lshl_add_u32 v32, v22, 2, v23
	v_and_b32_e32 v29, v29, v34
	v_xor_b32_e32 v31, s15, v31
	ds_load_b32 v22, v32 offset:32
	v_and_b32_e32 v29, v29, v30
	v_add_nc_u32_e32 v30, 32, v32
	; wave barrier
	s_delay_alu instid0(VALU_DEP_2) | instskip(NEXT) | instid1(VALU_DEP_1)
	v_and_b32_e32 v31, v29, v31
	v_mbcnt_lo_u32_b32 v29, v31, 0
	v_cmp_ne_u32_e64 s15, 0, v31
	s_delay_alu instid0(VALU_DEP_2)
	v_cmp_eq_u32_e64 s14, 0, v29
	s_and_b32 s15, s15, s14
	s_wait_alu 0xfffe
	s_and_saveexec_b32 s14, s15
	s_cbranch_execz .LBB709_273
; %bb.272:                              ;   in Loop: Header=BB709_269 Depth=1
	s_wait_dscnt 0x0
	v_bcnt_u32_b32 v31, v31, v22
	ds_store_b32 v30, v31
.LBB709_273:                            ;   in Loop: Header=BB709_269 Depth=1
	s_wait_alu 0xfffe
	s_or_b32 exec_lo, exec_lo, s14
	v_lshrrev_b64 v[31:32], v84, v[17:18]
	; wave barrier
	s_delay_alu instid0(VALU_DEP_1) | instskip(NEXT) | instid1(VALU_DEP_1)
	v_and_b32_e32 v31, v31, v48
	v_and_b32_e32 v32, 1, v31
	v_lshlrev_b32_e32 v33, 30, v31
	v_lshlrev_b32_e32 v34, 29, v31
	;; [unrolled: 1-line block ×4, first 2 shown]
	v_add_co_u32 v32, s14, v32, -1
	s_wait_alu 0xf1ff
	v_cndmask_b32_e64 v36, 0, 1, s14
	v_not_b32_e32 v50, v33
	v_cmp_gt_i32_e64 s15, 0, v33
	v_not_b32_e32 v33, v34
	v_lshlrev_b32_e32 v38, 26, v31
	v_cmp_ne_u32_e64 s14, 0, v36
	v_ashrrev_i32_e32 v50, 31, v50
	v_lshlrev_b32_e32 v49, 25, v31
	v_ashrrev_i32_e32 v33, 31, v33
	v_lshlrev_b32_e32 v36, 24, v31
	s_wait_alu 0xf1ff
	v_xor_b32_e32 v32, s14, v32
	v_cmp_gt_i32_e64 s14, 0, v34
	v_not_b32_e32 v34, v35
	v_xor_b32_e32 v50, s15, v50
	v_cmp_gt_i32_e64 s15, 0, v35
	v_and_b32_e32 v32, exec_lo, v32
	v_not_b32_e32 v35, v37
	v_ashrrev_i32_e32 v34, 31, v34
	s_wait_alu 0xf1ff
	v_xor_b32_e32 v33, s14, v33
	v_cmp_gt_i32_e64 s14, 0, v37
	v_and_b32_e32 v32, v32, v50
	v_not_b32_e32 v37, v38
	v_ashrrev_i32_e32 v35, 31, v35
	v_xor_b32_e32 v34, s15, v34
	v_cmp_gt_i32_e64 s15, 0, v38
	v_and_b32_e32 v32, v32, v33
	v_not_b32_e32 v33, v49
	v_ashrrev_i32_e32 v37, 31, v37
	s_wait_alu 0xf1ff
	v_xor_b32_e32 v35, s14, v35
	v_cmp_gt_i32_e64 s14, 0, v49
	v_and_b32_e32 v32, v32, v34
	v_not_b32_e32 v34, v36
	v_ashrrev_i32_e32 v33, 31, v33
	v_xor_b32_e32 v37, s15, v37
	v_lshl_add_u32 v31, v31, 3, v67
	v_and_b32_e32 v32, v32, v35
	v_cmp_gt_i32_e64 s15, 0, v36
	v_ashrrev_i32_e32 v34, 31, v34
	s_wait_alu 0xf1ff
	v_xor_b32_e32 v33, s14, v33
	v_lshl_add_u32 v35, v31, 2, v23
	v_and_b32_e32 v32, v32, v37
	v_xor_b32_e32 v34, s15, v34
	ds_load_b32 v31, v35 offset:32
	v_and_b32_e32 v32, v32, v33
	v_add_nc_u32_e32 v33, 32, v35
	; wave barrier
	s_delay_alu instid0(VALU_DEP_2) | instskip(NEXT) | instid1(VALU_DEP_1)
	v_and_b32_e32 v34, v32, v34
	v_mbcnt_lo_u32_b32 v32, v34, 0
	v_cmp_ne_u32_e64 s15, 0, v34
	s_delay_alu instid0(VALU_DEP_2)
	v_cmp_eq_u32_e64 s14, 0, v32
	s_and_b32 s15, s15, s14
	s_wait_alu 0xfffe
	s_and_saveexec_b32 s14, s15
	s_cbranch_execz .LBB709_275
; %bb.274:                              ;   in Loop: Header=BB709_269 Depth=1
	s_wait_dscnt 0x0
	v_bcnt_u32_b32 v34, v34, v31
	ds_store_b32 v33, v34
.LBB709_275:                            ;   in Loop: Header=BB709_269 Depth=1
	s_wait_alu 0xfffe
	s_or_b32 exec_lo, exec_lo, s14
	v_lshrrev_b64 v[34:35], v84, v[13:14]
	; wave barrier
	s_delay_alu instid0(VALU_DEP_1) | instskip(NEXT) | instid1(VALU_DEP_1)
	v_and_b32_e32 v34, v34, v48
	v_and_b32_e32 v35, 1, v34
	v_lshlrev_b32_e32 v36, 30, v34
	v_lshlrev_b32_e32 v37, 29, v34
	;; [unrolled: 1-line block ×4, first 2 shown]
	v_add_co_u32 v35, s14, v35, -1
	s_wait_alu 0xf1ff
	v_cndmask_b32_e64 v48, 0, 1, s14
	v_not_b32_e32 v87, v36
	v_cmp_gt_i32_e64 s15, 0, v36
	v_not_b32_e32 v36, v37
	v_lshlrev_b32_e32 v50, 26, v34
	v_cmp_ne_u32_e64 s14, 0, v48
	v_ashrrev_i32_e32 v87, 31, v87
	v_lshlrev_b32_e32 v51, 25, v34
	v_ashrrev_i32_e32 v36, 31, v36
	v_lshlrev_b32_e32 v48, 24, v34
	s_wait_alu 0xf1ff
	v_xor_b32_e32 v35, s14, v35
	v_cmp_gt_i32_e64 s14, 0, v37
	v_not_b32_e32 v37, v38
	v_xor_b32_e32 v87, s15, v87
	v_cmp_gt_i32_e64 s15, 0, v38
	v_and_b32_e32 v35, exec_lo, v35
	v_not_b32_e32 v38, v49
	v_ashrrev_i32_e32 v37, 31, v37
	s_wait_alu 0xf1ff
	v_xor_b32_e32 v36, s14, v36
	v_cmp_gt_i32_e64 s14, 0, v49
	v_and_b32_e32 v35, v35, v87
	v_not_b32_e32 v49, v50
	v_ashrrev_i32_e32 v38, 31, v38
	v_xor_b32_e32 v37, s15, v37
	v_cmp_gt_i32_e64 s15, 0, v50
	v_and_b32_e32 v35, v35, v36
	v_not_b32_e32 v36, v51
	v_ashrrev_i32_e32 v49, 31, v49
	s_wait_alu 0xf1ff
	v_xor_b32_e32 v38, s14, v38
	v_cmp_gt_i32_e64 s14, 0, v51
	v_and_b32_e32 v35, v35, v37
	v_not_b32_e32 v37, v48
	v_ashrrev_i32_e32 v36, 31, v36
	v_xor_b32_e32 v49, s15, v49
	v_lshl_add_u32 v34, v34, 3, v67
	v_and_b32_e32 v35, v35, v38
	v_cmp_gt_i32_e64 s15, 0, v48
	v_ashrrev_i32_e32 v37, 31, v37
	s_wait_alu 0xf1ff
	v_xor_b32_e32 v36, s14, v36
	v_lshl_add_u32 v38, v34, 2, v23
	v_and_b32_e32 v35, v35, v49
	v_xor_b32_e32 v37, s15, v37
	ds_load_b32 v34, v38 offset:32
	v_and_b32_e32 v35, v35, v36
	v_add_nc_u32_e32 v36, 32, v38
	; wave barrier
	s_delay_alu instid0(VALU_DEP_2) | instskip(NEXT) | instid1(VALU_DEP_1)
	v_and_b32_e32 v37, v35, v37
	v_mbcnt_lo_u32_b32 v35, v37, 0
	v_cmp_ne_u32_e64 s15, 0, v37
	s_delay_alu instid0(VALU_DEP_2)
	v_cmp_eq_u32_e64 s14, 0, v35
	s_and_b32 s15, s15, s14
	s_wait_alu 0xfffe
	s_and_saveexec_b32 s14, s15
	s_cbranch_execz .LBB709_277
; %bb.276:                              ;   in Loop: Header=BB709_269 Depth=1
	s_wait_dscnt 0x0
	v_bcnt_u32_b32 v37, v37, v34
	ds_store_b32 v36, v37
.LBB709_277:                            ;   in Loop: Header=BB709_269 Depth=1
	s_wait_alu 0xfffe
	s_or_b32 exec_lo, exec_lo, s14
	; wave barrier
	s_wait_loadcnt_dscnt 0x0
	s_barrier_signal -1
	s_barrier_wait -1
	global_inv scope:SCOPE_SE
	ds_load_b32 v38, v39
	ds_load_b32 v48, v52
	;; [unrolled: 1-line block ×8, first 2 shown]
	s_wait_dscnt 0x6
	v_add_nc_u32_e32 v97, v48, v38
	s_wait_dscnt 0x4
	s_delay_alu instid0(VALU_DEP_1) | instskip(SKIP_1) | instid1(VALU_DEP_1)
	v_add3_u32 v97, v97, v49, v50
	s_wait_dscnt 0x2
	v_add3_u32 v97, v97, v51, v87
	s_wait_dscnt 0x0
	s_delay_alu instid0(VALU_DEP_1) | instskip(NEXT) | instid1(VALU_DEP_1)
	v_add3_u32 v96, v97, v37, v96
	v_mov_b32_dpp v97, v96 row_shr:1 row_mask:0xf bank_mask:0xf
	s_delay_alu instid0(VALU_DEP_1) | instskip(NEXT) | instid1(VALU_DEP_1)
	v_cndmask_b32_e64 v97, v97, 0, vcc_lo
	v_add_nc_u32_e32 v96, v97, v96
	s_delay_alu instid0(VALU_DEP_1) | instskip(NEXT) | instid1(VALU_DEP_1)
	v_mov_b32_dpp v97, v96 row_shr:2 row_mask:0xf bank_mask:0xf
	v_cndmask_b32_e64 v97, 0, v97, s0
	s_delay_alu instid0(VALU_DEP_1) | instskip(NEXT) | instid1(VALU_DEP_1)
	v_add_nc_u32_e32 v96, v96, v97
	v_mov_b32_dpp v97, v96 row_shr:4 row_mask:0xf bank_mask:0xf
	s_delay_alu instid0(VALU_DEP_1) | instskip(NEXT) | instid1(VALU_DEP_1)
	v_cndmask_b32_e64 v97, 0, v97, s1
	v_add_nc_u32_e32 v96, v96, v97
	s_delay_alu instid0(VALU_DEP_1) | instskip(NEXT) | instid1(VALU_DEP_1)
	v_mov_b32_dpp v97, v96 row_shr:8 row_mask:0xf bank_mask:0xf
	v_cndmask_b32_e64 v97, 0, v97, s3
	s_delay_alu instid0(VALU_DEP_1) | instskip(SKIP_3) | instid1(VALU_DEP_1)
	v_add_nc_u32_e32 v96, v96, v97
	ds_swizzle_b32 v97, v96 offset:swizzle(BROADCAST,32,15)
	s_wait_dscnt 0x0
	v_cndmask_b32_e64 v97, v97, 0, s4
	v_add_nc_u32_e32 v96, v96, v97
	s_and_saveexec_b32 s14, s5
; %bb.278:                              ;   in Loop: Header=BB709_269 Depth=1
	ds_store_b32 v69, v96
; %bb.279:                              ;   in Loop: Header=BB709_269 Depth=1
	s_wait_alu 0xfffe
	s_or_b32 exec_lo, exec_lo, s14
	s_wait_loadcnt_dscnt 0x0
	s_barrier_signal -1
	s_barrier_wait -1
	global_inv scope:SCOPE_SE
	s_and_saveexec_b32 s14, s6
	s_cbranch_execz .LBB709_281
; %bb.280:                              ;   in Loop: Header=BB709_269 Depth=1
	ds_load_b32 v97, v70
	s_wait_dscnt 0x0
	v_mov_b32_dpp v98, v97 row_shr:1 row_mask:0xf bank_mask:0xf
	s_delay_alu instid0(VALU_DEP_1) | instskip(NEXT) | instid1(VALU_DEP_1)
	v_cndmask_b32_e64 v98, v98, 0, s11
	v_add_nc_u32_e32 v97, v98, v97
	s_delay_alu instid0(VALU_DEP_1) | instskip(NEXT) | instid1(VALU_DEP_1)
	v_mov_b32_dpp v98, v97 row_shr:2 row_mask:0xf bank_mask:0xf
	v_cndmask_b32_e64 v98, 0, v98, s12
	s_delay_alu instid0(VALU_DEP_1) | instskip(NEXT) | instid1(VALU_DEP_1)
	v_add_nc_u32_e32 v97, v97, v98
	v_mov_b32_dpp v98, v97 row_shr:4 row_mask:0xf bank_mask:0xf
	s_delay_alu instid0(VALU_DEP_1) | instskip(NEXT) | instid1(VALU_DEP_1)
	v_cndmask_b32_e64 v98, 0, v98, s13
	v_add_nc_u32_e32 v97, v97, v98
	ds_store_b32 v70, v97
.LBB709_281:                            ;   in Loop: Header=BB709_269 Depth=1
	s_wait_alu 0xfffe
	s_or_b32 exec_lo, exec_lo, s14
	v_mov_b32_e32 v97, 0
	s_wait_loadcnt_dscnt 0x0
	s_barrier_signal -1
	s_barrier_wait -1
	global_inv scope:SCOPE_SE
	s_and_saveexec_b32 s14, s7
; %bb.282:                              ;   in Loop: Header=BB709_269 Depth=1
	ds_load_b32 v97, v80
; %bb.283:                              ;   in Loop: Header=BB709_269 Depth=1
	s_wait_alu 0xfffe
	s_or_b32 exec_lo, exec_lo, s14
	s_wait_dscnt 0x0
	v_add_nc_u32_e32 v96, v97, v96
	v_add_nc_u32_e32 v84, 8, v84
	s_mov_b32 s20, -1
	s_mov_b32 s15, exec_lo
	ds_bpermute_b32 v96, v68, v96
	s_wait_dscnt 0x0
	v_cndmask_b32_e64 v96, v96, v97, s2
	s_delay_alu instid0(VALU_DEP_1) | instskip(NEXT) | instid1(VALU_DEP_1)
	v_cndmask_b32_e64 v96, v96, 0, s10
	v_add_nc_u32_e32 v38, v96, v38
	s_delay_alu instid0(VALU_DEP_1) | instskip(SKIP_4) | instid1(VALU_DEP_1)
	v_add_nc_u32_e32 v48, v38, v48
	ds_store_b32 v39, v96
	ds_store_b32 v52, v38
	;; [unrolled: 1-line block ×3, first 2 shown]
	v_add_nc_u32_e32 v49, v48, v49
	v_add_nc_u32_e32 v50, v49, v50
	s_delay_alu instid0(VALU_DEP_1) | instskip(NEXT) | instid1(VALU_DEP_1)
	v_add_nc_u32_e32 v51, v50, v51
	v_add_nc_u32_e32 v87, v51, v87
	s_delay_alu instid0(VALU_DEP_1)
	v_add_nc_u32_e32 v37, v87, v37
	ds_store_b32 v54, v49
	ds_store_b32 v55, v50
	;; [unrolled: 1-line block ×5, first 2 shown]
	s_wait_loadcnt_dscnt 0x0
	s_barrier_signal -1
	s_barrier_wait -1
	global_inv scope:SCOPE_SE
	ds_load_b32 v21, v21
	ds_load_b32 v37, v30
	;; [unrolled: 1-line block ×4, first 2 shown]
	v_dual_mov_b32 v30, v1 :: v_dual_mov_b32 v33, v1
	v_mov_b32_e32 v36, v1
                                        ; implicit-def: $vgpr50_vgpr51
	s_wait_loadcnt_dscnt 0x0
	v_add_nc_u32_e32 v0, v21, v0
	v_add3_u32 v29, v29, v22, v37
	v_add3_u32 v32, v32, v31, v38
	;; [unrolled: 1-line block ×3, first 2 shown]
                                        ; implicit-def: $vgpr37_vgpr38
                                        ; implicit-def: $vgpr48_vgpr49
	s_delay_alu instid0(VALU_DEP_4) | instskip(NEXT) | instid1(VALU_DEP_4)
	v_lshlrev_b64_e32 v[21:22], 3, v[0:1]
	v_lshlrev_b64_e32 v[29:30], 3, v[29:30]
	s_delay_alu instid0(VALU_DEP_4) | instskip(NEXT) | instid1(VALU_DEP_4)
	v_lshlrev_b64_e32 v[30:31], 3, v[32:33]
	v_lshlrev_b64_e32 v[31:32], 3, v[35:36]
                                        ; implicit-def: $vgpr35_vgpr36
                                        ; implicit-def: $vgpr33_vgpr34
	s_delay_alu instid0(VALU_DEP_4) | instskip(NEXT) | instid1(VALU_DEP_4)
	v_add_co_u32 v0, null, v23, v21
	v_add_co_u32 v87, null, v23, v29
	s_delay_alu instid0(VALU_DEP_4) | instskip(NEXT) | instid1(VALU_DEP_4)
	v_add_co_u32 v96, null, v23, v30
	v_add_co_u32 v97, null, v23, v31
                                        ; implicit-def: $vgpr29_vgpr30
                                        ; implicit-def: $vgpr31_vgpr32
                                        ; implicit-def: $vgpr21_vgpr22
	v_cmpx_lt_u32_e64 v84, v85
	s_cbranch_execz .LBB709_268
; %bb.284:                              ;   in Loop: Header=BB709_269 Depth=1
	s_barrier_signal -1
	s_barrier_wait -1
	global_inv scope:SCOPE_SE
	ds_store_b64 v0, v[11:12]
	ds_store_b64 v87, v[19:20]
	ds_store_b64 v96, v[17:18]
	ds_store_b64 v97, v[13:14]
	s_wait_loadcnt_dscnt 0x0
	s_barrier_signal -1
	s_barrier_wait -1
	global_inv scope:SCOPE_SE
	ds_load_b64 v[48:49], v71
	ds_load_b64 v[35:36], v81
	;; [unrolled: 1-line block ×4, first 2 shown]
	s_wait_loadcnt_dscnt 0x0
	s_barrier_signal -1
	s_barrier_wait -1
	global_inv scope:SCOPE_SE
	ds_store_b64 v0, v[9:10]
	ds_store_b64 v87, v[7:8]
	;; [unrolled: 1-line block ×4, first 2 shown]
	s_wait_loadcnt_dscnt 0x0
	s_barrier_signal -1
	s_barrier_wait -1
	global_inv scope:SCOPE_SE
	ds_load_b64 v[29:30], v71
	ds_load_b64 v[31:32], v81
	;; [unrolled: 1-line block ×4, first 2 shown]
	v_add_nc_u32_e32 v86, -8, v86
	s_xor_b32 s20, exec_lo, -1
	s_wait_loadcnt_dscnt 0x0
	s_barrier_signal -1
	s_barrier_wait -1
	global_inv scope:SCOPE_SE
	s_branch .LBB709_268
.LBB709_285:
	flat_load_b64 v[96:97], v[0:1]
	s_wait_alu 0xfffe
	s_or_b32 exec_lo, exec_lo, s7
                                        ; implicit-def: $vgpr100_vgpr101
	s_and_saveexec_b32 s7, s0
	s_cbranch_execz .LBB709_163
.LBB709_286:
	flat_load_b64 v[100:101], v[0:1] offset:256
	s_wait_alu 0xfffe
	s_or_b32 exec_lo, exec_lo, s7
                                        ; implicit-def: $vgpr98_vgpr99
	s_and_saveexec_b32 s0, s1
	s_cbranch_execz .LBB709_164
.LBB709_287:
	flat_load_b64 v[98:99], v[0:1] offset:512
	s_wait_alu 0xfffe
	s_or_b32 exec_lo, exec_lo, s0
                                        ; implicit-def: $vgpr102_vgpr103
	s_and_saveexec_b32 s0, s2
	s_cbranch_execz .LBB709_165
.LBB709_288:
	flat_load_b64 v[102:103], v[0:1] offset:768
	s_wait_alu 0xfffe
	s_or_b32 exec_lo, exec_lo, s0
                                        ; implicit-def: $vgpr112_vgpr113
	s_and_saveexec_b32 s0, s3
	s_cbranch_execz .LBB709_166
.LBB709_289:
	flat_load_b64 v[112:113], v[0:1] offset:1024
	s_wait_alu 0xfffe
	s_or_b32 exec_lo, exec_lo, s0
                                        ; implicit-def: $vgpr114_vgpr115
	s_and_saveexec_b32 s0, s4
	s_cbranch_execz .LBB709_167
.LBB709_290:
	flat_load_b64 v[114:115], v[0:1] offset:1280
	s_wait_alu 0xfffe
	s_or_b32 exec_lo, exec_lo, s0
                                        ; implicit-def: $vgpr116_vgpr117
	s_and_saveexec_b32 s0, s5
	s_cbranch_execz .LBB709_168
.LBB709_291:
	flat_load_b64 v[116:117], v[0:1] offset:1536
	s_wait_alu 0xfffe
	s_or_b32 exec_lo, exec_lo, s0
                                        ; implicit-def: $vgpr118_vgpr119
	s_and_saveexec_b32 s0, s6
	s_cbranch_execnz .LBB709_169
	s_branch .LBB709_170
.LBB709_292:
	flat_store_b64 v[0:1], v[20:21]
	s_wait_alu 0xfffe
	s_or_b32 exec_lo, exec_lo, s7
	s_and_saveexec_b32 s7, s0
	s_cbranch_execz .LBB709_244
.LBB709_293:
	flat_store_b64 v[0:1], v[22:23] offset:2048
	s_wait_alu 0xfffe
	s_or_b32 exec_lo, exec_lo, s7
	s_and_saveexec_b32 s0, s1
	s_cbranch_execz .LBB709_245
.LBB709_294:
	flat_store_b64 v[0:1], v[16:17] offset:4096
	s_wait_alu 0xfffe
	s_or_b32 exec_lo, exec_lo, s0
	s_and_saveexec_b32 s0, s2
	s_cbranch_execz .LBB709_246
.LBB709_295:
	flat_store_b64 v[0:1], v[18:19] offset:6144
	s_wait_alu 0xfffe
	s_or_b32 exec_lo, exec_lo, s0
	s_and_saveexec_b32 s0, s3
	s_cbranch_execz .LBB709_247
.LBB709_296:
	flat_store_b64 v[0:1], v[11:12] offset:8192
	s_wait_alu 0xfffe
	s_or_b32 exec_lo, exec_lo, s0
	s_and_saveexec_b32 s0, s4
	s_cbranch_execz .LBB709_248
.LBB709_297:
	flat_store_b64 v[0:1], v[13:14] offset:10240
	s_wait_alu 0xfffe
	s_or_b32 exec_lo, exec_lo, s0
	s_and_saveexec_b32 s0, s5
	s_cbranch_execz .LBB709_249
.LBB709_298:
	flat_store_b64 v[0:1], v[7:8] offset:12288
	s_wait_alu 0xfffe
	s_or_b32 exec_lo, exec_lo, s0
	s_and_saveexec_b32 s0, s6
	s_cbranch_execnz .LBB709_250
	s_branch .LBB709_251
.LBB709_299:
	s_or_b32 exec_lo, exec_lo, s19
	v_lshl_add_u32 v1, v16, 3, v23
	s_barrier_signal -1
	s_barrier_wait -1
	s_wait_loadcnt 0x0
	global_inv scope:SCOPE_SE
	ds_store_b64 v0, v[11:12]
	ds_store_b64 v87, v[19:20]
	;; [unrolled: 1-line block ×4, first 2 shown]
	s_wait_loadcnt_dscnt 0x0
	s_barrier_signal -1
	s_barrier_wait -1
	global_inv scope:SCOPE_SE
	ds_load_2addr_stride64_b64 v[20:23], v1 offset1:4
	ds_load_2addr_stride64_b64 v[16:19], v1 offset0:8 offset1:12
	s_wait_loadcnt_dscnt 0x0
	s_barrier_signal -1
	s_barrier_wait -1
	global_inv scope:SCOPE_SE
	ds_store_b64 v0, v[9:10]
	ds_store_b64 v87, v[7:8]
	;; [unrolled: 1-line block ×4, first 2 shown]
	s_wait_loadcnt_dscnt 0x0
	s_barrier_signal -1
	s_barrier_wait -1
	global_inv scope:SCOPE_SE
	ds_load_2addr_stride64_b64 v[11:14], v1 offset1:4
	ds_load_2addr_stride64_b64 v[7:10], v1 offset0:8 offset1:12
	v_mov_b32_e32 v27, 0
	v_add_co_u32 v2, vcc_lo, v2, v24
	s_wait_alu 0xfffd
	v_add_co_ci_u32_e64 v3, null, v3, v25, vcc_lo
	s_delay_alu instid0(VALU_DEP_3)
	v_lshlrev_b64_e32 v[0:1], 3, v[26:27]
	s_wait_loadcnt_dscnt 0x0
	s_barrier_signal -1
	s_barrier_wait -1
	global_inv scope:SCOPE_SE
	v_add_co_u32 v2, vcc_lo, v2, v0
	s_wait_alu 0xfffd
	v_add_co_ci_u32_e64 v3, null, v3, v1, vcc_lo
	v_cmp_lt_u32_e32 vcc_lo, v26, v40
	s_and_saveexec_b32 s0, vcc_lo
	s_cbranch_execz .LBB709_301
; %bb.300:
	v_xor_b32_e32 v5, 0x7fffffff, v21
	v_not_b32_e32 v4, v20
	flat_store_b64 v[2:3], v[4:5]
.LBB709_301:
	s_wait_alu 0xfffe
	s_or_b32 exec_lo, exec_lo, s0
	v_add_nc_u32_e32 v4, 0x100, v26
	s_delay_alu instid0(VALU_DEP_1)
	v_cmp_lt_u32_e64 s0, v4, v40
	s_and_saveexec_b32 s1, s0
	s_cbranch_execz .LBB709_303
; %bb.302:
	v_xor_b32_e32 v5, 0x7fffffff, v23
	v_not_b32_e32 v4, v22
	flat_store_b64 v[2:3], v[4:5] offset:2048
.LBB709_303:
	s_wait_alu 0xfffe
	s_or_b32 exec_lo, exec_lo, s1
	v_add_nc_u32_e32 v4, 0x200, v26
	s_delay_alu instid0(VALU_DEP_1)
	v_cmp_lt_u32_e64 s1, v4, v40
	s_and_saveexec_b32 s2, s1
	s_cbranch_execz .LBB709_305
; %bb.304:
	v_xor_b32_e32 v5, 0x7fffffff, v17
	v_not_b32_e32 v4, v16
	flat_store_b64 v[2:3], v[4:5] offset:4096
.LBB709_305:
	;; [unrolled: 12-line block ×3, first 2 shown]
	s_wait_alu 0xfffe
	s_or_b32 exec_lo, exec_lo, s3
	v_add_co_u32 v2, s3, v6, v24
	s_wait_alu 0xf1ff
	v_add_co_ci_u32_e64 v3, null, v15, v25, s3
	s_delay_alu instid0(VALU_DEP_2) | instskip(SKIP_1) | instid1(VALU_DEP_2)
	v_add_co_u32 v0, s3, v2, v0
	s_wait_alu 0xf1ff
	v_add_co_ci_u32_e64 v1, null, v3, v1, s3
	s_and_saveexec_b32 s3, vcc_lo
	s_cbranch_execnz .LBB709_340
; %bb.308:
	s_wait_alu 0xfffe
	s_or_b32 exec_lo, exec_lo, s3
	s_and_saveexec_b32 s3, s0
	s_cbranch_execnz .LBB709_341
.LBB709_309:
	s_wait_alu 0xfffe
	s_or_b32 exec_lo, exec_lo, s3
	s_and_saveexec_b32 s0, s1
	s_cbranch_execnz .LBB709_342
.LBB709_310:
	s_wait_alu 0xfffe
	s_or_b32 exec_lo, exec_lo, s0
	s_and_saveexec_b32 s0, s2
	s_cbranch_execz .LBB709_312
.LBB709_311:
	flat_store_b64 v[0:1], v[9:10] offset:6144
.LBB709_312:
	s_wait_alu 0xfffe
	s_or_b32 exec_lo, exec_lo, s0
                                        ; implicit-def: $vgpr40
                                        ; implicit-def: $vgpr0
                                        ; implicit-def: $vgpr1
                                        ; implicit-def: $vgpr2
                                        ; implicit-def: $vgpr3
                                        ; implicit-def: $vgpr4
                                        ; implicit-def: $vgpr5
                                        ; implicit-def: $vgpr6
                                        ; implicit-def: $vgpr15
                                        ; implicit-def: $vgpr8
                                        ; implicit-def: $vgpr10
                                        ; implicit-def: $vgpr11
                                        ; implicit-def: $vgpr12
                                        ; implicit-def: $vgpr7
                                        ; implicit-def: $vgpr9
                                        ; implicit-def: $vgpr16
                                        ; implicit-def: $vgpr28
.LBB709_313:
	s_wait_alu 0xfffe
	s_and_not1_saveexec_b32 s0, s16
	s_cbranch_execz .LBB709_372
; %bb.314:
	s_load_b64 s[0:1], s[8:9], 0x0
	s_and_b32 s2, ttmp7, 0xffff
	s_mov_b32 s3, 0
	s_wait_kmcnt 0x0
	s_wait_alu 0xfffe
	s_cmp_lt_u32 s2, s1
	s_cselect_b32 s2, 14, 20
	s_cmp_lt_u32 ttmp9, s0
	s_wait_alu 0xfffe
	s_add_nc_u64 s[4:5], s[8:9], s[2:3]
	s_cselect_b32 s2, 12, 18
	s_load_u16 s4, s[4:5], 0x0
	s_add_nc_u64 s[0:1], s[8:9], s[2:3]
	s_load_u16 s0, s[0:1], 0x0
	s_wait_kmcnt 0x0
	v_mad_u32_u24 v7, v9, s4, v7
	v_mov_b32_e32 v9, 0
	s_delay_alu instid0(VALU_DEP_2) | instskip(NEXT) | instid1(VALU_DEP_2)
	v_mad_co_u64_u32 v[19:20], null, v7, s0, v[16:17]
	v_lshlrev_b64_e32 v[17:18], 3, v[8:9]
	s_mov_b32 s0, exec_lo
	v_cmpx_lt_u32_e32 0x100, v40
	s_wait_alu 0xfffe
	s_xor_b32 s14, exec_lo, s0
	s_cbranch_execz .LBB709_352
; %bb.315:
	s_delay_alu instid0(VALU_DEP_3) | instskip(SKIP_1) | instid1(VALU_DEP_2)
	v_lshlrev_b32_e32 v7, 1, v19
	v_dual_mov_b32 v51, v10 :: v_dual_lshlrev_b32 v20, 3, v28
	v_and_b32_e32 v8, 0xffffffc0, v7
	v_add_co_u32 v7, vcc_lo, v0, v17
	s_wait_alu 0xfffd
	v_add_co_ci_u32_e64 v10, null, v1, v18, vcc_lo
	s_delay_alu instid0(VALU_DEP_3) | instskip(NEXT) | instid1(VALU_DEP_3)
	v_lshlrev_b64_e32 v[0:1], 3, v[8:9]
	v_add_co_u32 v7, vcc_lo, v7, v20
	s_wait_alu 0xfffd
	s_delay_alu instid0(VALU_DEP_3) | instskip(NEXT) | instid1(VALU_DEP_2)
	v_add_co_ci_u32_e64 v10, null, 0, v10, vcc_lo
	v_add_co_u32 v13, vcc_lo, v7, v0
	v_mov_b32_e32 v7, v9
	v_or_b32_e32 v21, v28, v8
	v_bfrev_b32_e32 v8, 1
	s_wait_alu 0xfffd
	v_add_co_ci_u32_e64 v14, null, v10, v1, vcc_lo
	s_delay_alu instid0(VALU_DEP_3) | instskip(NEXT) | instid1(VALU_DEP_3)
	v_cmp_lt_u32_e32 vcc_lo, v21, v40
	v_mov_b32_e32 v10, v8
	s_and_saveexec_b32 s0, vcc_lo
	s_cbranch_execz .LBB709_317
; %bb.316:
	flat_load_b64 v[22:23], v[13:14]
	v_dual_mov_b32 v24, 0 :: v_dual_mov_b32 v25, v8
	s_wait_loadcnt_dscnt 0x0
	v_dual_mov_b32 v7, v22 :: v_dual_mov_b32 v8, v23
	s_delay_alu instid0(VALU_DEP_2)
	v_dual_mov_b32 v9, v24 :: v_dual_mov_b32 v10, v25
.LBB709_317:
	s_wait_alu 0xfffe
	s_or_b32 exec_lo, exec_lo, s0
	v_or_b32_e32 v21, 32, v21
	s_delay_alu instid0(VALU_DEP_1)
	v_cmp_lt_u32_e64 s0, v21, v40
	s_and_saveexec_b32 s1, s0
	s_cbranch_execz .LBB709_319
; %bb.318:
	flat_load_b64 v[9:10], v[13:14] offset:256
.LBB709_319:
	s_wait_alu 0xfffe
	s_or_b32 exec_lo, exec_lo, s1
	v_add_co_u32 v4, s1, v4, v17
	s_wait_alu 0xf1ff
	v_add_co_ci_u32_e64 v5, null, v5, v18, s1
	v_dual_mov_b32 v22, 0 :: v_dual_mov_b32 v13, 0
	s_delay_alu instid0(VALU_DEP_3) | instskip(SKIP_1) | instid1(VALU_DEP_3)
	v_add_co_u32 v4, s1, v4, v20
	s_wait_alu 0xf1ff
	v_add_co_ci_u32_e64 v5, null, 0, v5, s1
	v_dual_mov_b32 v23, 0 :: v_dual_mov_b32 v14, 0
	s_delay_alu instid0(VALU_DEP_3) | instskip(SKIP_1) | instid1(VALU_DEP_3)
	v_add_co_u32 v0, s1, v4, v0
	s_wait_alu 0xf1ff
	v_add_co_ci_u32_e64 v1, null, v5, v1, s1
	s_and_saveexec_b32 s1, vcc_lo
	s_cbranch_execz .LBB709_321
; %bb.320:
	flat_load_b64 v[13:14], v[0:1]
.LBB709_321:
	s_wait_alu 0xfffe
	s_or_b32 exec_lo, exec_lo, s1
	s_and_saveexec_b32 s1, s0
	s_cbranch_execz .LBB709_323
; %bb.322:
	flat_load_b64 v[22:23], v[0:1] offset:256
.LBB709_323:
	s_wait_alu 0xfffe
	s_or_b32 exec_lo, exec_lo, s1
	v_lshl_add_u32 v0, v16, 5, v12
	v_and_b32_e32 v1, 0x3e0, v16
	v_and_b32_e32 v4, 15, v28
	s_getpc_b64 s[0:1]
	s_wait_alu 0xfffe
	s_sext_i32_i16 s1, s1
	s_add_co_u32 s0, s0, _ZN7rocprim17ROCPRIM_400000_NS16block_radix_sortIlLj256ELj2ElLj1ELj1ELj8ELNS0_26block_radix_rank_algorithmE2ELNS0_18block_padding_hintE2ELNS0_4arch9wavefront6targetE0EE19radix_bits_per_passE@rel32@lo+12
	s_wait_alu 0xfffe
	s_add_co_ci_u32 s1, s1, _ZN7rocprim17ROCPRIM_400000_NS16block_radix_sortIlLj256ELj2ElLj1ELj1ELj8ELNS0_26block_radix_rank_algorithmE2ELNS0_18block_padding_hintE2ELNS0_4arch9wavefront6targetE0EE19radix_bits_per_passE@rel32@hi+24
	v_sub_co_u32 v5, s2, v28, 1
	v_add_nc_u32_e32 v29, 32, v0
	v_add_nc_u32_e32 v30, 36, v0
	;; [unrolled: 1-line block ×8, first 2 shown]
	v_min_u32_e32 v0, 0xe0, v1
	s_load_b32 s15, s[0:1], 0x0
	v_cmp_eq_u32_e32 vcc_lo, 0, v4
	v_cmp_lt_u32_e64 s0, 1, v4
	v_cmp_lt_u32_e64 s1, 3, v4
	v_or_b32_e32 v0, 31, v0
	v_cmp_lt_u32_e64 s3, 7, v4
	v_lshlrev_b32_e32 v4, 1, v16
	v_and_b32_e32 v1, 16, v28
	v_cmp_gt_i32_e64 s6, 0, v5
	v_cmp_eq_u32_e64 s5, v16, v0
	v_lshrrev_b32_e32 v0, 3, v16
	v_and_or_b32 v4, 0x7c0, v4, v28
	v_cmp_eq_u32_e64 s4, 0, v1
	s_wait_alu 0xf1ff
	v_cndmask_b32_e64 v1, v5, v28, s6
	v_and_b32_e32 v5, 7, v28
	v_and_b32_e32 v0, 0x7c, v0
	v_lshl_add_u32 v48, v4, 3, v12
	v_xor_b32_e32 v27, 0x7fffffff, v8
	v_xor_b32_e32 v26, -1, v7
	s_wait_loadcnt_dscnt 0x0
	v_xor_b32_e32 v25, 0x7fffffff, v10
	v_add_nc_u32_e32 v28, v12, v0
	v_xor_b32_e32 v24, -1, v9
	v_lshrrev_b32_e32 v37, 5, v19
	v_cmp_gt_u32_e64 s6, 8, v16
	v_cmp_lt_u32_e64 s7, 31, v16
	v_lshlrev_b32_e32 v38, 2, v1
	v_cmp_eq_u32_e64 s8, 0, v16
	v_mov_b32_e32 v1, 0
	v_lshl_add_u32 v39, v16, 2, v12
	v_cmp_eq_u32_e64 s9, 0, v5
	v_cmp_lt_u32_e64 s10, 1, v5
	v_cmp_lt_u32_e64 s11, 3, v5
	v_add_nc_u32_e32 v49, -4, v28
	v_add_nc_u32_e32 v50, 0x100, v48
	v_sub_nc_u32_e32 v52, v11, v51
	s_mov_b32 s16, 0
	s_wait_storecnt 0x0
	s_barrier_signal -1
	s_barrier_wait -1
	global_inv scope:SCOPE_SE
	s_branch .LBB709_325
.LBB709_324:                            ;   in Loop: Header=BB709_325 Depth=1
	s_wait_alu 0xfffe
	s_or_b32 exec_lo, exec_lo, s13
	s_delay_alu instid0(SALU_CYCLE_1)
	s_and_b32 s12, exec_lo, s17
	s_wait_alu 0xfffe
	s_or_b32 s16, s12, s16
	s_wait_alu 0xfffe
	s_and_not1_b32 exec_lo, exec_lo, s16
	s_cbranch_execz .LBB709_343
.LBB709_325:                            ; =>This Inner Loop Header: Depth=1
	s_wait_kmcnt 0x0
	v_min_u32_e32 v0, s15, v52
	v_dual_mov_b32 v7, v26 :: v_dual_mov_b32 v8, v27
	v_dual_mov_b32 v9, v24 :: v_dual_mov_b32 v10, v25
	s_delay_alu instid0(VALU_DEP_3)
	v_lshlrev_b32_e64 v0, v0, -1
	ds_store_b32 v29, v1
	ds_store_b32 v30, v1
	;; [unrolled: 1-line block ×3, first 2 shown]
	v_lshrrev_b64 v[4:5], v51, v[7:8]
	ds_store_b32 v32, v1
	ds_store_b32 v33, v1
	;; [unrolled: 1-line block ×3, first 2 shown]
	v_not_b32_e32 v26, v0
	ds_store_b32 v35, v1
	ds_store_b32 v36, v1
	s_wait_loadcnt_dscnt 0x0
	s_barrier_signal -1
	v_and_b32_e32 v0, v4, v26
	v_dual_mov_b32 v4, v22 :: v_dual_mov_b32 v5, v23
	s_barrier_wait -1
	global_inv scope:SCOPE_SE
	v_and_b32_e32 v20, 1, v0
	v_lshlrev_b32_e32 v21, 30, v0
	v_lshlrev_b32_e32 v22, 29, v0
	;; [unrolled: 1-line block ×4, first 2 shown]
	v_add_co_u32 v20, s12, v20, -1
	s_wait_alu 0xf1ff
	v_cndmask_b32_e64 v24, 0, 1, s12
	v_not_b32_e32 v54, v21
	v_cmp_gt_i32_e64 s13, 0, v21
	v_not_b32_e32 v21, v22
	v_lshlrev_b32_e32 v27, 26, v0
	v_cmp_ne_u32_e64 s12, 0, v24
	v_ashrrev_i32_e32 v54, 31, v54
	v_lshlrev_b32_e32 v53, 25, v0
	v_ashrrev_i32_e32 v21, 31, v21
	v_lshlrev_b32_e32 v24, 24, v0
	s_wait_alu 0xf1ff
	v_xor_b32_e32 v20, s12, v20
	v_cmp_gt_i32_e64 s12, 0, v22
	v_not_b32_e32 v22, v23
	v_xor_b32_e32 v54, s13, v54
	v_cmp_gt_i32_e64 s13, 0, v23
	v_and_b32_e32 v20, exec_lo, v20
	v_not_b32_e32 v23, v25
	v_ashrrev_i32_e32 v22, 31, v22
	s_wait_alu 0xf1ff
	v_xor_b32_e32 v21, s12, v21
	v_cmp_gt_i32_e64 s12, 0, v25
	v_and_b32_e32 v20, v20, v54
	v_not_b32_e32 v25, v27
	v_ashrrev_i32_e32 v23, 31, v23
	v_xor_b32_e32 v22, s13, v22
	v_cmp_gt_i32_e64 s13, 0, v27
	v_and_b32_e32 v20, v20, v21
	v_not_b32_e32 v21, v53
	v_ashrrev_i32_e32 v25, 31, v25
	s_wait_alu 0xf1ff
	v_xor_b32_e32 v23, s12, v23
	v_cmp_gt_i32_e64 s12, 0, v53
	v_and_b32_e32 v20, v20, v22
	v_not_b32_e32 v22, v24
	v_ashrrev_i32_e32 v27, 31, v21
	v_xor_b32_e32 v25, s13, v25
	v_cmp_gt_i32_e64 s13, 0, v24
	v_and_b32_e32 v23, v20, v23
	v_dual_mov_b32 v21, v14 :: v_dual_mov_b32 v20, v13
	v_ashrrev_i32_e32 v13, 31, v22
	s_wait_alu 0xf1ff
	v_xor_b32_e32 v14, s12, v27
	v_and_b32_e32 v22, v23, v25
	v_lshl_add_u32 v0, v0, 3, v37
	v_xor_b32_e32 v13, s13, v13
	; wave barrier
	s_delay_alu instid0(VALU_DEP_3) | instskip(NEXT) | instid1(VALU_DEP_3)
	v_and_b32_e32 v14, v22, v14
	v_lshlrev_b64_e32 v[22:23], 2, v[0:1]
	s_delay_alu instid0(VALU_DEP_2) | instskip(NEXT) | instid1(VALU_DEP_2)
	v_and_b32_e32 v14, v14, v13
	v_add_co_u32 v13, null, v12, v22
	s_delay_alu instid0(VALU_DEP_2) | instskip(SKIP_1) | instid1(VALU_DEP_3)
	v_mbcnt_lo_u32_b32 v0, v14, 0
	v_cmp_ne_u32_e64 s13, 0, v14
	v_add_co_u32 v13, null, v13, 32
	s_delay_alu instid0(VALU_DEP_3)
	v_cmp_eq_u32_e64 s12, 0, v0
	s_and_b32 s13, s13, s12
	s_wait_alu 0xfffe
	s_and_saveexec_b32 s12, s13
; %bb.326:                              ;   in Loop: Header=BB709_325 Depth=1
	v_bcnt_u32_b32 v14, v14, 0
	ds_store_b32 v13, v14
; %bb.327:                              ;   in Loop: Header=BB709_325 Depth=1
	s_wait_alu 0xfffe
	s_or_b32 exec_lo, exec_lo, s12
	v_lshrrev_b64 v[22:23], v51, v[9:10]
	; wave barrier
	s_delay_alu instid0(VALU_DEP_1) | instskip(NEXT) | instid1(VALU_DEP_1)
	v_and_b32_e32 v14, v22, v26
	v_and_b32_e32 v22, 1, v14
	v_lshlrev_b32_e32 v23, 30, v14
	v_lshlrev_b32_e32 v24, 29, v14
	;; [unrolled: 1-line block ×4, first 2 shown]
	v_add_co_u32 v22, s12, v22, -1
	s_wait_alu 0xf1ff
	v_cndmask_b32_e64 v26, 0, 1, s12
	v_not_b32_e32 v55, v23
	v_cmp_gt_i32_e64 s13, 0, v23
	v_not_b32_e32 v23, v24
	v_lshlrev_b32_e32 v53, 26, v14
	v_cmp_ne_u32_e64 s12, 0, v26
	v_ashrrev_i32_e32 v55, 31, v55
	v_lshlrev_b32_e32 v54, 25, v14
	v_ashrrev_i32_e32 v23, 31, v23
	v_lshlrev_b32_e32 v26, 24, v14
	s_wait_alu 0xf1ff
	v_xor_b32_e32 v22, s12, v22
	v_cmp_gt_i32_e64 s12, 0, v24
	v_not_b32_e32 v24, v25
	v_xor_b32_e32 v55, s13, v55
	v_cmp_gt_i32_e64 s13, 0, v25
	v_and_b32_e32 v22, exec_lo, v22
	v_not_b32_e32 v25, v27
	v_ashrrev_i32_e32 v24, 31, v24
	s_wait_alu 0xf1ff
	v_xor_b32_e32 v23, s12, v23
	v_cmp_gt_i32_e64 s12, 0, v27
	v_and_b32_e32 v22, v22, v55
	v_not_b32_e32 v27, v53
	v_ashrrev_i32_e32 v25, 31, v25
	v_xor_b32_e32 v24, s13, v24
	v_cmp_gt_i32_e64 s13, 0, v53
	v_and_b32_e32 v22, v22, v23
	v_not_b32_e32 v23, v54
	v_ashrrev_i32_e32 v27, 31, v27
	s_wait_alu 0xf1ff
	v_xor_b32_e32 v25, s12, v25
	v_cmp_gt_i32_e64 s12, 0, v54
	v_and_b32_e32 v22, v22, v24
	v_not_b32_e32 v24, v26
	v_ashrrev_i32_e32 v23, 31, v23
	v_xor_b32_e32 v27, s13, v27
	v_lshl_add_u32 v14, v14, 3, v37
	v_and_b32_e32 v22, v22, v25
	v_cmp_gt_i32_e64 s13, 0, v26
	v_ashrrev_i32_e32 v24, 31, v24
	s_wait_alu 0xf1ff
	v_xor_b32_e32 v23, s12, v23
	v_lshl_add_u32 v25, v14, 2, v12
	v_and_b32_e32 v22, v22, v27
	v_xor_b32_e32 v24, s13, v24
	ds_load_b32 v14, v25 offset:32
	v_and_b32_e32 v22, v22, v23
	v_add_nc_u32_e32 v23, 32, v25
	; wave barrier
	s_delay_alu instid0(VALU_DEP_2) | instskip(NEXT) | instid1(VALU_DEP_1)
	v_and_b32_e32 v24, v22, v24
	v_mbcnt_lo_u32_b32 v22, v24, 0
	v_cmp_ne_u32_e64 s13, 0, v24
	s_delay_alu instid0(VALU_DEP_2)
	v_cmp_eq_u32_e64 s12, 0, v22
	s_and_b32 s13, s13, s12
	s_wait_alu 0xfffe
	s_and_saveexec_b32 s12, s13
	s_cbranch_execz .LBB709_329
; %bb.328:                              ;   in Loop: Header=BB709_325 Depth=1
	s_wait_dscnt 0x0
	v_bcnt_u32_b32 v24, v24, v14
	ds_store_b32 v23, v24
.LBB709_329:                            ;   in Loop: Header=BB709_325 Depth=1
	s_wait_alu 0xfffe
	s_or_b32 exec_lo, exec_lo, s12
	; wave barrier
	s_wait_loadcnt_dscnt 0x0
	s_barrier_signal -1
	s_barrier_wait -1
	global_inv scope:SCOPE_SE
	ds_load_b32 v25, v29
	ds_load_b32 v26, v30
	;; [unrolled: 1-line block ×8, first 2 shown]
	s_wait_dscnt 0x6
	v_add_nc_u32_e32 v65, v26, v25
	s_wait_dscnt 0x4
	s_delay_alu instid0(VALU_DEP_1) | instskip(SKIP_1) | instid1(VALU_DEP_1)
	v_add3_u32 v65, v65, v27, v53
	s_wait_dscnt 0x2
	v_add3_u32 v65, v65, v54, v55
	s_wait_dscnt 0x0
	s_delay_alu instid0(VALU_DEP_1) | instskip(NEXT) | instid1(VALU_DEP_1)
	v_add3_u32 v64, v65, v24, v64
	v_mov_b32_dpp v65, v64 row_shr:1 row_mask:0xf bank_mask:0xf
	s_wait_alu 0xfffd
	s_delay_alu instid0(VALU_DEP_1) | instskip(NEXT) | instid1(VALU_DEP_1)
	v_cndmask_b32_e64 v65, v65, 0, vcc_lo
	v_add_nc_u32_e32 v64, v65, v64
	s_delay_alu instid0(VALU_DEP_1) | instskip(NEXT) | instid1(VALU_DEP_1)
	v_mov_b32_dpp v65, v64 row_shr:2 row_mask:0xf bank_mask:0xf
	v_cndmask_b32_e64 v65, 0, v65, s0
	s_delay_alu instid0(VALU_DEP_1) | instskip(NEXT) | instid1(VALU_DEP_1)
	v_add_nc_u32_e32 v64, v64, v65
	v_mov_b32_dpp v65, v64 row_shr:4 row_mask:0xf bank_mask:0xf
	s_delay_alu instid0(VALU_DEP_1) | instskip(NEXT) | instid1(VALU_DEP_1)
	v_cndmask_b32_e64 v65, 0, v65, s1
	v_add_nc_u32_e32 v64, v64, v65
	s_delay_alu instid0(VALU_DEP_1) | instskip(NEXT) | instid1(VALU_DEP_1)
	v_mov_b32_dpp v65, v64 row_shr:8 row_mask:0xf bank_mask:0xf
	v_cndmask_b32_e64 v65, 0, v65, s3
	s_delay_alu instid0(VALU_DEP_1) | instskip(SKIP_3) | instid1(VALU_DEP_1)
	v_add_nc_u32_e32 v64, v64, v65
	ds_swizzle_b32 v65, v64 offset:swizzle(BROADCAST,32,15)
	s_wait_dscnt 0x0
	v_cndmask_b32_e64 v65, v65, 0, s4
	v_add_nc_u32_e32 v64, v64, v65
	s_and_saveexec_b32 s12, s5
; %bb.330:                              ;   in Loop: Header=BB709_325 Depth=1
	ds_store_b32 v28, v64
; %bb.331:                              ;   in Loop: Header=BB709_325 Depth=1
	s_wait_alu 0xfffe
	s_or_b32 exec_lo, exec_lo, s12
	s_wait_loadcnt_dscnt 0x0
	s_barrier_signal -1
	s_barrier_wait -1
	global_inv scope:SCOPE_SE
	s_and_saveexec_b32 s12, s6
	s_cbranch_execz .LBB709_333
; %bb.332:                              ;   in Loop: Header=BB709_325 Depth=1
	ds_load_b32 v65, v39
	s_wait_dscnt 0x0
	v_mov_b32_dpp v66, v65 row_shr:1 row_mask:0xf bank_mask:0xf
	s_delay_alu instid0(VALU_DEP_1) | instskip(NEXT) | instid1(VALU_DEP_1)
	v_cndmask_b32_e64 v66, v66, 0, s9
	v_add_nc_u32_e32 v65, v66, v65
	s_delay_alu instid0(VALU_DEP_1) | instskip(NEXT) | instid1(VALU_DEP_1)
	v_mov_b32_dpp v66, v65 row_shr:2 row_mask:0xf bank_mask:0xf
	v_cndmask_b32_e64 v66, 0, v66, s10
	s_delay_alu instid0(VALU_DEP_1) | instskip(NEXT) | instid1(VALU_DEP_1)
	v_add_nc_u32_e32 v65, v65, v66
	v_mov_b32_dpp v66, v65 row_shr:4 row_mask:0xf bank_mask:0xf
	s_delay_alu instid0(VALU_DEP_1) | instskip(NEXT) | instid1(VALU_DEP_1)
	v_cndmask_b32_e64 v66, 0, v66, s11
	v_add_nc_u32_e32 v65, v65, v66
	ds_store_b32 v39, v65
.LBB709_333:                            ;   in Loop: Header=BB709_325 Depth=1
	s_wait_alu 0xfffe
	s_or_b32 exec_lo, exec_lo, s12
	v_mov_b32_e32 v65, 0
	s_wait_loadcnt_dscnt 0x0
	s_barrier_signal -1
	s_barrier_wait -1
	global_inv scope:SCOPE_SE
	s_and_saveexec_b32 s12, s7
; %bb.334:                              ;   in Loop: Header=BB709_325 Depth=1
	ds_load_b32 v65, v49
; %bb.335:                              ;   in Loop: Header=BB709_325 Depth=1
	s_wait_alu 0xfffe
	s_or_b32 exec_lo, exec_lo, s12
	s_wait_dscnt 0x0
	v_add_nc_u32_e32 v64, v65, v64
	v_add_nc_u32_e32 v51, 8, v51
	s_mov_b32 s17, -1
	s_mov_b32 s13, exec_lo
	ds_bpermute_b32 v64, v38, v64
	s_wait_dscnt 0x0
	v_cndmask_b32_e64 v64, v64, v65, s2
	s_delay_alu instid0(VALU_DEP_1) | instskip(NEXT) | instid1(VALU_DEP_1)
	v_cndmask_b32_e64 v64, v64, 0, s8
	v_add_nc_u32_e32 v25, v64, v25
	s_delay_alu instid0(VALU_DEP_1) | instskip(SKIP_4) | instid1(VALU_DEP_1)
	v_add_nc_u32_e32 v26, v25, v26
	ds_store_b32 v29, v64
	ds_store_b32 v30, v25
	ds_store_b32 v31, v26
	v_add_nc_u32_e32 v27, v26, v27
	v_add_nc_u32_e32 v53, v27, v53
	s_delay_alu instid0(VALU_DEP_1) | instskip(NEXT) | instid1(VALU_DEP_1)
	v_add_nc_u32_e32 v54, v53, v54
	v_add_nc_u32_e32 v55, v54, v55
	s_delay_alu instid0(VALU_DEP_1)
	v_add_nc_u32_e32 v24, v55, v24
	ds_store_b32 v32, v27
	ds_store_b32 v33, v53
	;; [unrolled: 1-line block ×5, first 2 shown]
	s_wait_loadcnt_dscnt 0x0
	s_barrier_signal -1
	s_barrier_wait -1
	global_inv scope:SCOPE_SE
	ds_load_b32 v13, v13
	ds_load_b32 v24, v23
	v_mov_b32_e32 v23, v1
                                        ; implicit-def: $vgpr26_vgpr27
	s_wait_loadcnt_dscnt 0x0
	v_add_nc_u32_e32 v0, v13, v0
	v_add3_u32 v22, v22, v14, v24
                                        ; implicit-def: $vgpr24_vgpr25
	s_delay_alu instid0(VALU_DEP_2) | instskip(NEXT) | instid1(VALU_DEP_2)
	v_lshlrev_b64_e32 v[13:14], 3, v[0:1]
	v_lshlrev_b64_e32 v[22:23], 3, v[22:23]
	s_delay_alu instid0(VALU_DEP_2) | instskip(NEXT) | instid1(VALU_DEP_2)
	v_add_co_u32 v0, null, v12, v13
	v_add_co_u32 v53, null, v12, v22
                                        ; implicit-def: $vgpr22_vgpr23
                                        ; implicit-def: $vgpr13_vgpr14
	v_cmpx_lt_u32_e64 v51, v11
	s_cbranch_execz .LBB709_324
; %bb.336:                              ;   in Loop: Header=BB709_325 Depth=1
	s_barrier_signal -1
	s_barrier_wait -1
	global_inv scope:SCOPE_SE
	ds_store_b64 v0, v[7:8]
	ds_store_b64 v53, v[9:10]
	s_wait_loadcnt_dscnt 0x0
	s_barrier_signal -1
	s_barrier_wait -1
	global_inv scope:SCOPE_SE
	ds_load_b64 v[26:27], v48
	ds_load_b64 v[24:25], v50
	s_wait_loadcnt_dscnt 0x0
	s_barrier_signal -1
	s_barrier_wait -1
	global_inv scope:SCOPE_SE
	ds_store_b64 v0, v[20:21]
	ds_store_b64 v53, v[4:5]
	s_wait_loadcnt_dscnt 0x0
	s_barrier_signal -1
	s_barrier_wait -1
	global_inv scope:SCOPE_SE
	ds_load_b64 v[13:14], v48
	ds_load_b64 v[22:23], v50
	v_add_nc_u32_e32 v52, -8, v52
	s_xor_b32 s17, exec_lo, -1
	s_wait_loadcnt_dscnt 0x0
	s_barrier_signal -1
	s_barrier_wait -1
	global_inv scope:SCOPE_SE
	s_branch .LBB709_324
.LBB709_337:
	flat_load_b64 v[29:30], v[0:1]
	s_wait_alu 0xfffe
	s_or_b32 exec_lo, exec_lo, s3
                                        ; implicit-def: $vgpr31_vgpr32
	s_and_saveexec_b32 s3, s0
	s_cbranch_execz .LBB709_264
.LBB709_338:
	flat_load_b64 v[31:32], v[0:1] offset:256
	s_wait_alu 0xfffe
	s_or_b32 exec_lo, exec_lo, s3
                                        ; implicit-def: $vgpr33_vgpr34
	s_and_saveexec_b32 s0, s1
	s_cbranch_execz .LBB709_265
.LBB709_339:
	flat_load_b64 v[33:34], v[0:1] offset:512
	s_wait_alu 0xfffe
	s_or_b32 exec_lo, exec_lo, s0
                                        ; implicit-def: $vgpr21_vgpr22
	s_and_saveexec_b32 s0, s2
	s_cbranch_execnz .LBB709_266
	s_branch .LBB709_267
.LBB709_340:
	flat_store_b64 v[0:1], v[11:12]
	s_wait_alu 0xfffe
	s_or_b32 exec_lo, exec_lo, s3
	s_and_saveexec_b32 s3, s0
	s_cbranch_execz .LBB709_309
.LBB709_341:
	flat_store_b64 v[0:1], v[13:14] offset:2048
	s_wait_alu 0xfffe
	s_or_b32 exec_lo, exec_lo, s3
	s_and_saveexec_b32 s0, s1
	s_cbranch_execz .LBB709_310
.LBB709_342:
	flat_store_b64 v[0:1], v[7:8] offset:4096
	s_wait_alu 0xfffe
	s_or_b32 exec_lo, exec_lo, s0
	s_and_saveexec_b32 s0, s2
	s_cbranch_execnz .LBB709_311
	s_branch .LBB709_312
.LBB709_343:
	s_or_b32 exec_lo, exec_lo, s16
	v_lshl_add_u32 v1, v16, 3, v12
	s_barrier_signal -1
	s_barrier_wait -1
	s_wait_loadcnt 0x0
	global_inv scope:SCOPE_SE
	ds_store_b64 v0, v[7:8]
	ds_store_b64 v53, v[9:10]
	s_wait_loadcnt_dscnt 0x0
	s_barrier_signal -1
	s_barrier_wait -1
	global_inv scope:SCOPE_SE
	ds_load_2addr_stride64_b64 v[11:14], v1 offset1:4
	s_wait_loadcnt_dscnt 0x0
	s_barrier_signal -1
	s_barrier_wait -1
	global_inv scope:SCOPE_SE
	ds_store_b64 v0, v[20:21]
	ds_store_b64 v53, v[4:5]
	s_wait_loadcnt_dscnt 0x0
	s_barrier_signal -1
	s_barrier_wait -1
	global_inv scope:SCOPE_SE
	ds_load_2addr_stride64_b64 v[7:10], v1 offset1:4
	v_mov_b32_e32 v20, 0
	v_add_co_u32 v2, vcc_lo, v2, v17
	s_wait_alu 0xfffd
	v_add_co_ci_u32_e64 v3, null, v3, v18, vcc_lo
	s_delay_alu instid0(VALU_DEP_3)
	v_lshlrev_b64_e32 v[0:1], 3, v[19:20]
	s_wait_loadcnt_dscnt 0x0
	s_barrier_signal -1
	s_barrier_wait -1
	global_inv scope:SCOPE_SE
	v_add_co_u32 v2, vcc_lo, v2, v0
	s_wait_alu 0xfffd
	v_add_co_ci_u32_e64 v3, null, v3, v1, vcc_lo
	v_cmp_lt_u32_e32 vcc_lo, v19, v40
	s_and_saveexec_b32 s0, vcc_lo
	s_cbranch_execz .LBB709_345
; %bb.344:
	v_xor_b32_e32 v5, 0x7fffffff, v12
	v_not_b32_e32 v4, v11
	flat_store_b64 v[2:3], v[4:5]
.LBB709_345:
	s_wait_alu 0xfffe
	s_or_b32 exec_lo, exec_lo, s0
	v_add_nc_u32_e32 v4, 0x100, v19
	s_delay_alu instid0(VALU_DEP_1)
	v_cmp_lt_u32_e64 s0, v4, v40
	s_and_saveexec_b32 s1, s0
	s_cbranch_execz .LBB709_347
; %bb.346:
	v_xor_b32_e32 v5, 0x7fffffff, v14
	v_not_b32_e32 v4, v13
	flat_store_b64 v[2:3], v[4:5] offset:2048
.LBB709_347:
	s_wait_alu 0xfffe
	s_or_b32 exec_lo, exec_lo, s1
	v_add_co_u32 v2, s1, v6, v17
	s_wait_alu 0xf1ff
	v_add_co_ci_u32_e64 v3, null, v15, v18, s1
	s_delay_alu instid0(VALU_DEP_2) | instskip(SKIP_1) | instid1(VALU_DEP_2)
	v_add_co_u32 v0, s1, v2, v0
	s_wait_alu 0xf1ff
	v_add_co_ci_u32_e64 v1, null, v3, v1, s1
	s_and_saveexec_b32 s1, vcc_lo
	s_cbranch_execz .LBB709_349
; %bb.348:
	flat_store_b64 v[0:1], v[7:8]
.LBB709_349:
	s_wait_alu 0xfffe
	s_or_b32 exec_lo, exec_lo, s1
	s_and_saveexec_b32 s1, s0
	s_cbranch_execz .LBB709_351
; %bb.350:
	flat_store_b64 v[0:1], v[9:10] offset:2048
.LBB709_351:
	s_wait_alu 0xfffe
	s_or_b32 exec_lo, exec_lo, s1
                                        ; implicit-def: $vgpr19_vgpr20
                                        ; implicit-def: $vgpr17_vgpr18
                                        ; implicit-def: $vgpr40
                                        ; implicit-def: $vgpr0
                                        ; implicit-def: $vgpr1
                                        ; implicit-def: $vgpr2
                                        ; implicit-def: $vgpr3
                                        ; implicit-def: $vgpr4
                                        ; implicit-def: $vgpr5
                                        ; implicit-def: $vgpr6
                                        ; implicit-def: $vgpr15
                                        ; implicit-def: $vgpr10
                                        ; implicit-def: $vgpr11
                                        ; implicit-def: $vgpr12
                                        ; implicit-def: $vgpr16
                                        ; implicit-def: $vgpr28
.LBB709_352:
	s_wait_alu 0xfffe
	s_and_not1_saveexec_b32 s0, s14
	s_cbranch_execz .LBB709_372
; %bb.353:
	v_dual_mov_b32 v20, -1 :: v_dual_and_b32 v7, 0xffffffe0, v19
	v_mov_b32_e32 v21, -1
	v_lshlrev_b32_e32 v9, 3, v28
	s_delay_alu instid0(VALU_DEP_3) | instskip(NEXT) | instid1(VALU_DEP_1)
	v_or_b32_e32 v8, v28, v7
	v_cmp_lt_u32_e32 vcc_lo, v8, v40
	s_and_saveexec_b32 s1, vcc_lo
	s_cbranch_execz .LBB709_355
; %bb.354:
	v_mov_b32_e32 v8, 0
	v_add_co_u32 v13, s0, v0, v17
	s_wait_alu 0xf1fe
	v_add_co_ci_u32_e64 v14, null, v1, v18, s0
	s_delay_alu instid0(VALU_DEP_3) | instskip(NEXT) | instid1(VALU_DEP_3)
	v_lshlrev_b64_e32 v[0:1], 3, v[7:8]
	v_add_co_u32 v8, s0, v13, v9
	s_wait_alu 0xf1ff
	s_delay_alu instid0(VALU_DEP_3) | instskip(NEXT) | instid1(VALU_DEP_2)
	v_add_co_ci_u32_e64 v13, null, 0, v14, s0
	v_add_co_u32 v0, s0, v8, v0
	s_wait_alu 0xf1ff
	s_delay_alu instid0(VALU_DEP_2)
	v_add_co_ci_u32_e64 v1, null, v13, v1, s0
	flat_load_b64 v[0:1], v[0:1]
	s_wait_loadcnt_dscnt 0x0
	v_xor_b32_e32 v21, 0x7fffffff, v1
	v_not_b32_e32 v20, v0
.LBB709_355:
	s_wait_alu 0xfffe
	s_or_b32 exec_lo, exec_lo, s1
                                        ; implicit-def: $vgpr13_vgpr14
	s_and_saveexec_b32 s0, vcc_lo
	s_cbranch_execz .LBB709_357
; %bb.356:
	v_mov_b32_e32 v8, 0
	v_add_co_u32 v4, vcc_lo, v4, v17
	s_wait_alu 0xfffd
	v_add_co_ci_u32_e64 v5, null, v5, v18, vcc_lo
	s_delay_alu instid0(VALU_DEP_3) | instskip(NEXT) | instid1(VALU_DEP_3)
	v_lshlrev_b64_e32 v[0:1], 3, v[7:8]
	v_add_co_u32 v4, vcc_lo, v4, v9
	s_wait_alu 0xfffd
	s_delay_alu instid0(VALU_DEP_3) | instskip(NEXT) | instid1(VALU_DEP_2)
	v_add_co_ci_u32_e64 v5, null, 0, v5, vcc_lo
	v_add_co_u32 v0, vcc_lo, v4, v0
	s_wait_alu 0xfffd
	s_delay_alu instid0(VALU_DEP_2)
	v_add_co_ci_u32_e64 v1, null, v5, v1, vcc_lo
	flat_load_b64 v[13:14], v[0:1]
.LBB709_357:
	s_wait_alu 0xfffe
	s_or_b32 exec_lo, exec_lo, s0
	v_lshl_add_u32 v0, v16, 5, v12
	v_and_b32_e32 v1, 15, v28
	v_sub_co_u32 v7, s2, v28, 1
	s_getpc_b64 s[0:1]
	s_wait_alu 0xfffe
	s_sext_i32_i16 s1, s1
	s_add_co_u32 s0, s0, _ZN7rocprim17ROCPRIM_400000_NS16block_radix_sortIlLj256ELj1ElLj1ELj1ELj8ELNS0_26block_radix_rank_algorithmE2ELNS0_18block_padding_hintE2ELNS0_4arch9wavefront6targetE0EE19radix_bits_per_passE@rel32@lo+12
	s_wait_alu 0xfffe
	s_add_co_ci_u32 s1, s1, _ZN7rocprim17ROCPRIM_400000_NS16block_radix_sortIlLj256ELj1ElLj1ELj1ELj8ELNS0_26block_radix_rank_algorithmE2ELNS0_18block_padding_hintE2ELNS0_4arch9wavefront6targetE0EE19radix_bits_per_passE@rel32@hi+24
	v_add_nc_u32_e32 v9, 32, v0
	v_add_nc_u32_e32 v22, 36, v0
	;; [unrolled: 1-line block ×8, first 2 shown]
	v_and_b32_e32 v0, 0x3e0, v16
	s_load_b32 s14, s[0:1], 0x0
	v_cmp_eq_u32_e32 vcc_lo, 0, v1
	v_cmp_lt_u32_e64 s0, 1, v1
	v_cmp_lt_u32_e64 s1, 3, v1
	v_min_u32_e32 v4, 0xe0, v0
	v_and_b32_e32 v5, 16, v28
	v_cmp_lt_u32_e64 s3, 7, v1
	v_cmp_gt_i32_e64 s5, 0, v7
	v_or_b32_e32 v0, v28, v0
	v_or_b32_e32 v1, 31, v4
	v_lshrrev_b32_e32 v4, 3, v16
	v_cmp_eq_u32_e64 s4, 0, v5
	s_wait_alu 0xf1ff
	v_cndmask_b32_e64 v5, v7, v28, s5
	v_lshrrev_b32_e32 v30, 5, v19
	v_cmp_eq_u32_e64 s5, v16, v1
	v_and_b32_e32 v1, 0x7c, v4
	v_and_b32_e32 v4, 7, v28
	v_cmp_gt_u32_e64 s6, 8, v16
	v_cmp_lt_u32_e64 s7, 31, v16
	v_lshlrev_b32_e32 v31, 2, v5
	v_add_nc_u32_e32 v32, v12, v1
	v_cmp_eq_u32_e64 s8, 0, v16
	v_mov_b32_e32 v1, 0
	v_lshl_add_u32 v33, v16, 2, v12
	v_cmp_eq_u32_e64 s9, 0, v4
	v_cmp_lt_u32_e64 s10, 1, v4
	v_cmp_lt_u32_e64 s11, 3, v4
	v_add_nc_u32_e32 v28, -4, v32
	v_lshl_add_u32 v34, v0, 3, v12
	v_sub_nc_u32_e32 v35, v11, v10
	s_mov_b32 s15, 0
	s_wait_storecnt 0x0
	s_wait_loadcnt_dscnt 0x0
	s_barrier_signal -1
	s_barrier_wait -1
	global_inv scope:SCOPE_SE
	s_branch .LBB709_359
.LBB709_358:                            ;   in Loop: Header=BB709_359 Depth=1
	s_wait_alu 0xfffe
	s_or_b32 exec_lo, exec_lo, s13
	s_delay_alu instid0(SALU_CYCLE_1)
	s_and_b32 s12, exec_lo, s16
	s_wait_alu 0xfffe
	s_or_b32 s15, s12, s15
	s_wait_alu 0xfffe
	s_and_not1_b32 exec_lo, exec_lo, s15
	s_cbranch_execz .LBB709_369
.LBB709_359:                            ; =>This Inner Loop Header: Depth=1
	v_dual_mov_b32 v4, v20 :: v_dual_mov_b32 v5, v21
	s_wait_kmcnt 0x0
	v_min_u32_e32 v0, s14, v35
	ds_store_b32 v9, v1
	ds_store_b32 v22, v1
	ds_store_b32 v23, v1
	ds_store_b32 v24, v1
	ds_store_b32 v25, v1
	ds_store_b32 v26, v1
	v_lshrrev_b64 v[7:8], v10, v[4:5]
	ds_store_b32 v27, v1
	ds_store_b32 v29, v1
	s_wait_loadcnt_dscnt 0x0
	s_barrier_signal -1
	s_barrier_wait -1
	v_bfe_u32 v0, v7, 0, v0
	global_inv scope:SCOPE_SE
	; wave barrier
	v_and_b32_e32 v7, 1, v0
	v_lshlrev_b32_e32 v8, 30, v0
	v_lshlrev_b32_e32 v20, 29, v0
	;; [unrolled: 1-line block ×4, first 2 shown]
	v_add_co_u32 v7, s12, v7, -1
	s_wait_alu 0xf1ff
	v_cndmask_b32_e64 v36, 0, 1, s12
	v_not_b32_e32 v48, v8
	v_cmp_gt_i32_e64 s13, 0, v8
	v_not_b32_e32 v8, v20
	v_lshlrev_b32_e32 v38, 26, v0
	v_cmp_ne_u32_e64 s12, 0, v36
	v_ashrrev_i32_e32 v48, 31, v48
	v_lshlrev_b32_e32 v39, 25, v0
	v_ashrrev_i32_e32 v8, 31, v8
	v_lshlrev_b32_e32 v36, 24, v0
	s_wait_alu 0xf1ff
	v_xor_b32_e32 v7, s12, v7
	v_cmp_gt_i32_e64 s12, 0, v20
	v_not_b32_e32 v20, v21
	v_xor_b32_e32 v48, s13, v48
	v_cmp_gt_i32_e64 s13, 0, v21
	v_and_b32_e32 v7, exec_lo, v7
	v_not_b32_e32 v21, v37
	v_ashrrev_i32_e32 v20, 31, v20
	s_wait_alu 0xf1ff
	v_xor_b32_e32 v8, s12, v8
	v_cmp_gt_i32_e64 s12, 0, v37
	v_and_b32_e32 v7, v7, v48
	v_not_b32_e32 v37, v38
	v_ashrrev_i32_e32 v21, 31, v21
	v_xor_b32_e32 v20, s13, v20
	v_cmp_gt_i32_e64 s13, 0, v38
	v_and_b32_e32 v7, v7, v8
	v_not_b32_e32 v8, v39
	v_ashrrev_i32_e32 v37, 31, v37
	s_wait_alu 0xf1ff
	v_xor_b32_e32 v21, s12, v21
	v_cmp_gt_i32_e64 s12, 0, v39
	v_and_b32_e32 v7, v7, v20
	v_not_b32_e32 v20, v36
	v_ashrrev_i32_e32 v38, 31, v8
	v_xor_b32_e32 v37, s13, v37
	v_cmp_gt_i32_e64 s13, 0, v36
	v_and_b32_e32 v21, v7, v21
	v_dual_mov_b32 v7, v13 :: v_dual_mov_b32 v8, v14
	v_ashrrev_i32_e32 v13, 31, v20
	s_wait_alu 0xf1ff
	v_xor_b32_e32 v14, s12, v38
	v_and_b32_e32 v20, v21, v37
	v_lshl_add_u32 v0, v0, 3, v30
	v_xor_b32_e32 v13, s13, v13
	s_delay_alu instid0(VALU_DEP_3) | instskip(NEXT) | instid1(VALU_DEP_3)
	v_and_b32_e32 v14, v20, v14
	v_lshlrev_b64_e32 v[20:21], 2, v[0:1]
	s_delay_alu instid0(VALU_DEP_2) | instskip(NEXT) | instid1(VALU_DEP_2)
	v_and_b32_e32 v14, v14, v13
	v_add_co_u32 v13, null, v12, v20
	s_delay_alu instid0(VALU_DEP_2) | instskip(SKIP_1) | instid1(VALU_DEP_3)
	v_mbcnt_lo_u32_b32 v0, v14, 0
	v_cmp_ne_u32_e64 s13, 0, v14
	v_add_co_u32 v13, null, v13, 32
	s_delay_alu instid0(VALU_DEP_3)
	v_cmp_eq_u32_e64 s12, 0, v0
	s_and_b32 s13, s13, s12
	s_wait_alu 0xfffe
	s_and_saveexec_b32 s12, s13
; %bb.360:                              ;   in Loop: Header=BB709_359 Depth=1
	v_bcnt_u32_b32 v14, v14, 0
	ds_store_b32 v13, v14
; %bb.361:                              ;   in Loop: Header=BB709_359 Depth=1
	s_wait_alu 0xfffe
	s_or_b32 exec_lo, exec_lo, s12
	; wave barrier
	s_wait_loadcnt_dscnt 0x0
	s_barrier_signal -1
	s_barrier_wait -1
	global_inv scope:SCOPE_SE
	ds_load_b32 v20, v9
	ds_load_b32 v21, v22
	;; [unrolled: 1-line block ×8, first 2 shown]
	s_wait_dscnt 0x6
	v_add_nc_u32_e32 v49, v21, v20
	s_wait_dscnt 0x4
	s_delay_alu instid0(VALU_DEP_1) | instskip(SKIP_1) | instid1(VALU_DEP_1)
	v_add3_u32 v49, v49, v36, v37
	s_wait_dscnt 0x2
	v_add3_u32 v49, v49, v38, v39
	s_wait_dscnt 0x0
	s_delay_alu instid0(VALU_DEP_1) | instskip(NEXT) | instid1(VALU_DEP_1)
	v_add3_u32 v48, v49, v14, v48
	v_mov_b32_dpp v49, v48 row_shr:1 row_mask:0xf bank_mask:0xf
	s_wait_alu 0xfffd
	s_delay_alu instid0(VALU_DEP_1) | instskip(NEXT) | instid1(VALU_DEP_1)
	v_cndmask_b32_e64 v49, v49, 0, vcc_lo
	v_add_nc_u32_e32 v48, v49, v48
	s_delay_alu instid0(VALU_DEP_1) | instskip(NEXT) | instid1(VALU_DEP_1)
	v_mov_b32_dpp v49, v48 row_shr:2 row_mask:0xf bank_mask:0xf
	v_cndmask_b32_e64 v49, 0, v49, s0
	s_delay_alu instid0(VALU_DEP_1) | instskip(NEXT) | instid1(VALU_DEP_1)
	v_add_nc_u32_e32 v48, v48, v49
	v_mov_b32_dpp v49, v48 row_shr:4 row_mask:0xf bank_mask:0xf
	s_delay_alu instid0(VALU_DEP_1) | instskip(NEXT) | instid1(VALU_DEP_1)
	v_cndmask_b32_e64 v49, 0, v49, s1
	v_add_nc_u32_e32 v48, v48, v49
	s_delay_alu instid0(VALU_DEP_1) | instskip(NEXT) | instid1(VALU_DEP_1)
	v_mov_b32_dpp v49, v48 row_shr:8 row_mask:0xf bank_mask:0xf
	v_cndmask_b32_e64 v49, 0, v49, s3
	s_delay_alu instid0(VALU_DEP_1) | instskip(SKIP_3) | instid1(VALU_DEP_1)
	v_add_nc_u32_e32 v48, v48, v49
	ds_swizzle_b32 v49, v48 offset:swizzle(BROADCAST,32,15)
	s_wait_dscnt 0x0
	v_cndmask_b32_e64 v49, v49, 0, s4
	v_add_nc_u32_e32 v48, v48, v49
	s_and_saveexec_b32 s12, s5
; %bb.362:                              ;   in Loop: Header=BB709_359 Depth=1
	ds_store_b32 v32, v48
; %bb.363:                              ;   in Loop: Header=BB709_359 Depth=1
	s_wait_alu 0xfffe
	s_or_b32 exec_lo, exec_lo, s12
	s_wait_loadcnt_dscnt 0x0
	s_barrier_signal -1
	s_barrier_wait -1
	global_inv scope:SCOPE_SE
	s_and_saveexec_b32 s12, s6
	s_cbranch_execz .LBB709_365
; %bb.364:                              ;   in Loop: Header=BB709_359 Depth=1
	ds_load_b32 v49, v33
	s_wait_dscnt 0x0
	v_mov_b32_dpp v50, v49 row_shr:1 row_mask:0xf bank_mask:0xf
	s_delay_alu instid0(VALU_DEP_1) | instskip(NEXT) | instid1(VALU_DEP_1)
	v_cndmask_b32_e64 v50, v50, 0, s9
	v_add_nc_u32_e32 v49, v50, v49
	s_delay_alu instid0(VALU_DEP_1) | instskip(NEXT) | instid1(VALU_DEP_1)
	v_mov_b32_dpp v50, v49 row_shr:2 row_mask:0xf bank_mask:0xf
	v_cndmask_b32_e64 v50, 0, v50, s10
	s_delay_alu instid0(VALU_DEP_1) | instskip(NEXT) | instid1(VALU_DEP_1)
	v_add_nc_u32_e32 v49, v49, v50
	v_mov_b32_dpp v50, v49 row_shr:4 row_mask:0xf bank_mask:0xf
	s_delay_alu instid0(VALU_DEP_1) | instskip(NEXT) | instid1(VALU_DEP_1)
	v_cndmask_b32_e64 v50, 0, v50, s11
	v_add_nc_u32_e32 v49, v49, v50
	ds_store_b32 v33, v49
.LBB709_365:                            ;   in Loop: Header=BB709_359 Depth=1
	s_wait_alu 0xfffe
	s_or_b32 exec_lo, exec_lo, s12
	v_mov_b32_e32 v49, 0
	s_wait_loadcnt_dscnt 0x0
	s_barrier_signal -1
	s_barrier_wait -1
	global_inv scope:SCOPE_SE
	s_and_saveexec_b32 s12, s7
; %bb.366:                              ;   in Loop: Header=BB709_359 Depth=1
	ds_load_b32 v49, v28
; %bb.367:                              ;   in Loop: Header=BB709_359 Depth=1
	s_wait_alu 0xfffe
	s_or_b32 exec_lo, exec_lo, s12
	s_wait_dscnt 0x0
	v_add_nc_u32_e32 v48, v49, v48
	v_add_nc_u32_e32 v10, 8, v10
	s_mov_b32 s16, -1
	s_mov_b32 s13, exec_lo
	ds_bpermute_b32 v48, v31, v48
	s_wait_dscnt 0x0
	v_cndmask_b32_e64 v48, v48, v49, s2
	s_delay_alu instid0(VALU_DEP_1) | instskip(NEXT) | instid1(VALU_DEP_1)
	v_cndmask_b32_e64 v48, v48, 0, s8
	v_add_nc_u32_e32 v20, v48, v20
	s_delay_alu instid0(VALU_DEP_1) | instskip(SKIP_4) | instid1(VALU_DEP_1)
	v_add_nc_u32_e32 v21, v20, v21
	ds_store_b32 v9, v48
	ds_store_b32 v22, v20
	;; [unrolled: 1-line block ×3, first 2 shown]
	v_add_nc_u32_e32 v36, v21, v36
                                        ; implicit-def: $vgpr20_vgpr21
	v_add_nc_u32_e32 v37, v36, v37
	s_delay_alu instid0(VALU_DEP_1) | instskip(NEXT) | instid1(VALU_DEP_1)
	v_add_nc_u32_e32 v38, v37, v38
	v_add_nc_u32_e32 v39, v38, v39
	s_delay_alu instid0(VALU_DEP_1)
	v_add_nc_u32_e32 v14, v39, v14
	ds_store_b32 v24, v36
	ds_store_b32 v25, v37
	;; [unrolled: 1-line block ×5, first 2 shown]
	s_wait_loadcnt_dscnt 0x0
	s_barrier_signal -1
	s_barrier_wait -1
	global_inv scope:SCOPE_SE
	ds_load_b32 v13, v13
	s_wait_loadcnt_dscnt 0x0
	v_add_nc_u32_e32 v0, v13, v0
	s_delay_alu instid0(VALU_DEP_1) | instskip(NEXT) | instid1(VALU_DEP_1)
	v_lshlrev_b64_e32 v[13:14], 3, v[0:1]
	v_add_co_u32 v36, null, v12, v13
                                        ; implicit-def: $vgpr13_vgpr14
	v_cmpx_lt_u32_e64 v10, v11
	s_cbranch_execz .LBB709_358
; %bb.368:                              ;   in Loop: Header=BB709_359 Depth=1
	s_barrier_signal -1
	s_barrier_wait -1
	global_inv scope:SCOPE_SE
	ds_store_b64 v36, v[4:5]
	s_wait_loadcnt_dscnt 0x0
	s_barrier_signal -1
	s_barrier_wait -1
	global_inv scope:SCOPE_SE
	ds_load_b64 v[20:21], v34
	s_wait_loadcnt_dscnt 0x0
	s_barrier_signal -1
	s_barrier_wait -1
	global_inv scope:SCOPE_SE
	ds_store_b64 v36, v[7:8]
	s_wait_loadcnt_dscnt 0x0
	s_barrier_signal -1
	s_barrier_wait -1
	global_inv scope:SCOPE_SE
	ds_load_b64 v[13:14], v34
	v_add_nc_u32_e32 v35, -8, v35
	s_xor_b32 s16, exec_lo, -1
	s_wait_loadcnt_dscnt 0x0
	s_barrier_signal -1
	s_barrier_wait -1
	global_inv scope:SCOPE_SE
	s_branch .LBB709_358
.LBB709_369:
	s_or_b32 exec_lo, exec_lo, s15
	s_barrier_signal -1
	s_barrier_wait -1
	s_wait_loadcnt 0x0
	global_inv scope:SCOPE_SE
	ds_store_b64 v36, v[4:5]
	v_lshl_add_u32 v4, v16, 3, v12
	s_wait_loadcnt_dscnt 0x0
	s_barrier_signal -1
	s_barrier_wait -1
	global_inv scope:SCOPE_SE
	ds_load_b64 v[0:1], v4
	s_wait_loadcnt_dscnt 0x0
	s_barrier_signal -1
	s_barrier_wait -1
	global_inv scope:SCOPE_SE
	ds_store_b64 v36, v[7:8]
	s_wait_loadcnt_dscnt 0x0
	s_barrier_signal -1
	s_barrier_wait -1
	global_inv scope:SCOPE_SE
	ds_load_b64 v[4:5], v4
	s_mov_b32 s0, exec_lo
	s_wait_loadcnt_dscnt 0x0
	s_barrier_signal -1
	s_barrier_wait -1
	global_inv scope:SCOPE_SE
	v_cmpx_lt_u32_e64 v19, v40
	s_cbranch_execz .LBB709_371
; %bb.370:
	v_mov_b32_e32 v20, 0
	v_add_co_u32 v2, vcc_lo, v2, v17
	s_wait_alu 0xfffd
	v_add_co_ci_u32_e64 v3, null, v3, v18, vcc_lo
	s_delay_alu instid0(VALU_DEP_3) | instskip(SKIP_2) | instid1(VALU_DEP_3)
	v_lshlrev_b64_e32 v[7:8], 3, v[19:20]
	v_xor_b32_e32 v1, 0x7fffffff, v1
	v_not_b32_e32 v0, v0
	v_add_co_u32 v2, vcc_lo, v2, v7
	s_wait_alu 0xfffd
	s_delay_alu instid0(VALU_DEP_4) | instskip(SKIP_3) | instid1(VALU_DEP_2)
	v_add_co_ci_u32_e64 v3, null, v3, v8, vcc_lo
	v_add_co_u32 v6, vcc_lo, v6, v17
	s_wait_alu 0xfffd
	v_add_co_ci_u32_e64 v9, null, v15, v18, vcc_lo
	v_add_co_u32 v6, vcc_lo, v6, v7
	s_wait_alu 0xfffd
	s_delay_alu instid0(VALU_DEP_2)
	v_add_co_ci_u32_e64 v7, null, v9, v8, vcc_lo
	flat_store_b64 v[2:3], v[0:1]
	flat_store_b64 v[6:7], v[4:5]
.LBB709_371:
	s_wait_alu 0xfffe
	s_or_b32 exec_lo, exec_lo, s0
.LBB709_372:
	s_wait_alu 0xfffe
	s_or_b32 exec_lo, exec_lo, s18
	s_clause 0x1f
	scratch_load_b32 v122, off, s32
	scratch_load_b32 v121, off, s32 offset:4
	scratch_load_b32 v120, off, s32 offset:8
	;; [unrolled: 1-line block ×31, first 2 shown]
	s_clause 0xa
	scratch_load_b32 v58, off, s32 offset:128
	scratch_load_b32 v57, off, s32 offset:132
	;; [unrolled: 1-line block ×11, first 2 shown]
	s_wait_loadcnt_dscnt 0x0
	s_setpc_b64 s[30:31]
.Lfunc_end709:
	.size	_ZN7rocprim17ROCPRIM_400000_NS6detail40segmented_radix_sort_single_block_helperIllLj256ELj16ELb1EE4sortIPKlPlS6_S7_EEbT_T0_T1_T2_jjjjRNS3_12storage_typeE, .Lfunc_end709-_ZN7rocprim17ROCPRIM_400000_NS6detail40segmented_radix_sort_single_block_helperIllLj256ELj16ELb1EE4sortIPKlPlS6_S7_EEbT_T0_T1_T2_jjjjRNS3_12storage_typeE
                                        ; -- End function
	.set .L_ZN7rocprim17ROCPRIM_400000_NS6detail40segmented_radix_sort_single_block_helperIllLj256ELj16ELb1EE4sortIPKlPlS6_S7_EEbT_T0_T1_T2_jjjjRNS3_12storage_typeE.num_vgpr, 248
	.set .L_ZN7rocprim17ROCPRIM_400000_NS6detail40segmented_radix_sort_single_block_helperIllLj256ELj16ELb1EE4sortIPKlPlS6_S7_EEbT_T0_T1_T2_jjjjRNS3_12storage_typeE.num_agpr, 0
	.set .L_ZN7rocprim17ROCPRIM_400000_NS6detail40segmented_radix_sort_single_block_helperIllLj256ELj16ELb1EE4sortIPKlPlS6_S7_EEbT_T0_T1_T2_jjjjRNS3_12storage_typeE.numbered_sgpr, 33
	.set .L_ZN7rocprim17ROCPRIM_400000_NS6detail40segmented_radix_sort_single_block_helperIllLj256ELj16ELb1EE4sortIPKlPlS6_S7_EEbT_T0_T1_T2_jjjjRNS3_12storage_typeE.num_named_barrier, 0
	.set .L_ZN7rocprim17ROCPRIM_400000_NS6detail40segmented_radix_sort_single_block_helperIllLj256ELj16ELb1EE4sortIPKlPlS6_S7_EEbT_T0_T1_T2_jjjjRNS3_12storage_typeE.private_seg_size, 176
	.set .L_ZN7rocprim17ROCPRIM_400000_NS6detail40segmented_radix_sort_single_block_helperIllLj256ELj16ELb1EE4sortIPKlPlS6_S7_EEbT_T0_T1_T2_jjjjRNS3_12storage_typeE.uses_vcc, 1
	.set .L_ZN7rocprim17ROCPRIM_400000_NS6detail40segmented_radix_sort_single_block_helperIllLj256ELj16ELb1EE4sortIPKlPlS6_S7_EEbT_T0_T1_T2_jjjjRNS3_12storage_typeE.uses_flat_scratch, 1
	.set .L_ZN7rocprim17ROCPRIM_400000_NS6detail40segmented_radix_sort_single_block_helperIllLj256ELj16ELb1EE4sortIPKlPlS6_S7_EEbT_T0_T1_T2_jjjjRNS3_12storage_typeE.has_dyn_sized_stack, 0
	.set .L_ZN7rocprim17ROCPRIM_400000_NS6detail40segmented_radix_sort_single_block_helperIllLj256ELj16ELb1EE4sortIPKlPlS6_S7_EEbT_T0_T1_T2_jjjjRNS3_12storage_typeE.has_recursion, 0
	.set .L_ZN7rocprim17ROCPRIM_400000_NS6detail40segmented_radix_sort_single_block_helperIllLj256ELj16ELb1EE4sortIPKlPlS6_S7_EEbT_T0_T1_T2_jjjjRNS3_12storage_typeE.has_indirect_call, 0
	.section	.AMDGPU.csdata,"",@progbits
; Function info:
; codeLenInByte = 31680
; TotalNumSgprs: 35
; NumVgprs: 248
; ScratchSize: 176
; MemoryBound: 1
	.section	.text._ZN7rocprim17ROCPRIM_400000_NS6detail17trampoline_kernelINS0_14default_configENS1_36segmented_radix_sort_config_selectorIllEEZNS1_25segmented_radix_sort_implIS3_Lb1EPKlPlS8_S9_N2at6native12_GLOBAL__N_18offset_tEEE10hipError_tPvRmT1_PNSt15iterator_traitsISH_E10value_typeET2_T3_PNSI_ISN_E10value_typeET4_jRbjT5_ST_jjP12ihipStream_tbEUlT_E_NS1_11comp_targetILNS1_3genE10ELNS1_11target_archE1201ELNS1_3gpuE5ELNS1_3repE0EEENS1_30default_config_static_selectorELNS0_4arch9wavefront6targetE0EEEvSH_,"axG",@progbits,_ZN7rocprim17ROCPRIM_400000_NS6detail17trampoline_kernelINS0_14default_configENS1_36segmented_radix_sort_config_selectorIllEEZNS1_25segmented_radix_sort_implIS3_Lb1EPKlPlS8_S9_N2at6native12_GLOBAL__N_18offset_tEEE10hipError_tPvRmT1_PNSt15iterator_traitsISH_E10value_typeET2_T3_PNSI_ISN_E10value_typeET4_jRbjT5_ST_jjP12ihipStream_tbEUlT_E_NS1_11comp_targetILNS1_3genE10ELNS1_11target_archE1201ELNS1_3gpuE5ELNS1_3repE0EEENS1_30default_config_static_selectorELNS0_4arch9wavefront6targetE0EEEvSH_,comdat
	.globl	_ZN7rocprim17ROCPRIM_400000_NS6detail17trampoline_kernelINS0_14default_configENS1_36segmented_radix_sort_config_selectorIllEEZNS1_25segmented_radix_sort_implIS3_Lb1EPKlPlS8_S9_N2at6native12_GLOBAL__N_18offset_tEEE10hipError_tPvRmT1_PNSt15iterator_traitsISH_E10value_typeET2_T3_PNSI_ISN_E10value_typeET4_jRbjT5_ST_jjP12ihipStream_tbEUlT_E_NS1_11comp_targetILNS1_3genE10ELNS1_11target_archE1201ELNS1_3gpuE5ELNS1_3repE0EEENS1_30default_config_static_selectorELNS0_4arch9wavefront6targetE0EEEvSH_ ; -- Begin function _ZN7rocprim17ROCPRIM_400000_NS6detail17trampoline_kernelINS0_14default_configENS1_36segmented_radix_sort_config_selectorIllEEZNS1_25segmented_radix_sort_implIS3_Lb1EPKlPlS8_S9_N2at6native12_GLOBAL__N_18offset_tEEE10hipError_tPvRmT1_PNSt15iterator_traitsISH_E10value_typeET2_T3_PNSI_ISN_E10value_typeET4_jRbjT5_ST_jjP12ihipStream_tbEUlT_E_NS1_11comp_targetILNS1_3genE10ELNS1_11target_archE1201ELNS1_3gpuE5ELNS1_3repE0EEENS1_30default_config_static_selectorELNS0_4arch9wavefront6targetE0EEEvSH_
	.p2align	8
	.type	_ZN7rocprim17ROCPRIM_400000_NS6detail17trampoline_kernelINS0_14default_configENS1_36segmented_radix_sort_config_selectorIllEEZNS1_25segmented_radix_sort_implIS3_Lb1EPKlPlS8_S9_N2at6native12_GLOBAL__N_18offset_tEEE10hipError_tPvRmT1_PNSt15iterator_traitsISH_E10value_typeET2_T3_PNSI_ISN_E10value_typeET4_jRbjT5_ST_jjP12ihipStream_tbEUlT_E_NS1_11comp_targetILNS1_3genE10ELNS1_11target_archE1201ELNS1_3gpuE5ELNS1_3repE0EEENS1_30default_config_static_selectorELNS0_4arch9wavefront6targetE0EEEvSH_,@function
_ZN7rocprim17ROCPRIM_400000_NS6detail17trampoline_kernelINS0_14default_configENS1_36segmented_radix_sort_config_selectorIllEEZNS1_25segmented_radix_sort_implIS3_Lb1EPKlPlS8_S9_N2at6native12_GLOBAL__N_18offset_tEEE10hipError_tPvRmT1_PNSt15iterator_traitsISH_E10value_typeET2_T3_PNSI_ISN_E10value_typeET4_jRbjT5_ST_jjP12ihipStream_tbEUlT_E_NS1_11comp_targetILNS1_3genE10ELNS1_11target_archE1201ELNS1_3gpuE5ELNS1_3repE0EEENS1_30default_config_static_selectorELNS0_4arch9wavefront6targetE0EEEvSH_: ; @_ZN7rocprim17ROCPRIM_400000_NS6detail17trampoline_kernelINS0_14default_configENS1_36segmented_radix_sort_config_selectorIllEEZNS1_25segmented_radix_sort_implIS3_Lb1EPKlPlS8_S9_N2at6native12_GLOBAL__N_18offset_tEEE10hipError_tPvRmT1_PNSt15iterator_traitsISH_E10value_typeET2_T3_PNSI_ISN_E10value_typeET4_jRbjT5_ST_jjP12ihipStream_tbEUlT_E_NS1_11comp_targetILNS1_3genE10ELNS1_11target_archE1201ELNS1_3gpuE5ELNS1_3repE0EEENS1_30default_config_static_selectorELNS0_4arch9wavefront6targetE0EEEvSH_
; %bb.0:
	s_clause 0x1
	s_load_b64 s[8:9], s[0:1], 0x38
	s_load_b128 s[4:7], s[0:1], 0x40
	s_mov_b32 s2, ttmp9
	s_mov_b32 s3, 0
	s_mov_b32 s32, 0
	s_lshl_b64 s[2:3], s[2:3], 2
	s_wait_kmcnt 0x0
	s_add_nc_u64 s[2:3], s[8:9], s[2:3]
	s_load_b32 s2, s[2:3], 0x0
	s_wait_kmcnt 0x0
	s_add_co_i32 s33, s2, s5
	s_add_co_i32 s51, s2, s7
	s_mul_i32 s33, s33, s4
	s_mul_i32 s51, s51, s6
	s_delay_alu instid0(SALU_CYCLE_1)
	s_cmp_le_u32 s51, s33
	s_cbranch_scc1 .LBB710_1182
; %bb.1:
	s_clause 0x3
	s_load_b32 s2, s[0:1], 0x30
	s_load_b128 s[44:47], s[0:1], 0x20
	s_load_b96 s[48:50], s[0:1], 0x50
	s_load_b256 s[36:43], s[0:1], 0x0
	s_wait_kmcnt 0x0
	s_bitcmp1_b32 s2, 0
	s_mov_b32 s2, -1
	s_cselect_b32 s52, -1, 0
	s_sub_co_i32 s53, s51, s33
	s_delay_alu instid0(SALU_CYCLE_1)
	s_cmp_lt_u32 s53, 0x1001
	s_cbranch_scc0 .LBB710_7
; %bb.2:
	v_cndmask_b32_e64 v1, 0, 1, s52
	s_and_b32 s2, s48, 1
	s_delay_alu instid0(VALU_DEP_1) | instid1(SALU_CYCLE_1)
	v_cmp_ne_u32_e32 vcc_lo, s2, v1
	s_mov_b32 s2, -1
	s_cbranch_vccnz .LBB710_4
; %bb.3:
	s_mov_b64 s[2:3], src_shared_base
	v_dual_mov_b32 v31, v0 :: v_dual_mov_b32 v40, v0
	v_dual_mov_b32 v0, s36 :: v_dual_mov_b32 v1, s37
	;; [unrolled: 1-line block ×7, first 2 shown]
	s_wait_alu 0xfffe
	v_dual_mov_b32 v12, 0 :: v_dual_mov_b32 v13, s3
	s_add_nc_u64 s[8:9], s[0:1], 0x60
	s_getpc_b64 s[4:5]
	s_sext_i32_i16 s5, s5
	s_add_co_u32 s4, s4, _ZN7rocprim17ROCPRIM_400000_NS6detail40segmented_radix_sort_single_block_helperIllLj256ELj16ELb1EE4sortIPKlPlS6_S7_EEbT_T0_T1_T2_jjjjRNS3_12storage_typeE@rel32@lo+8
	s_add_co_ci_u32 s5, s5, _ZN7rocprim17ROCPRIM_400000_NS6detail40segmented_radix_sort_single_block_helperIllLj256ELj16ELb1EE4sortIPKlPlS6_S7_EEbT_T0_T1_T2_jjjjRNS3_12storage_typeE@rel32@hi+16
	s_mov_b64 s[22:23], s[0:1]
	s_swappc_b64 s[30:31], s[4:5]
	v_mov_b32_e32 v0, v40
	s_mov_b64 s[0:1], s[22:23]
	s_mov_b32 s2, 0
.LBB710_4:
	s_wait_alu 0xfffe
	s_and_not1_b32 vcc_lo, exec_lo, s2
	s_wait_alu 0xfffe
	s_cbranch_vccnz .LBB710_6
; %bb.5:
	s_mov_b64 s[2:3], src_shared_base
	v_dual_mov_b32 v31, v0 :: v_dual_mov_b32 v40, v0
	v_dual_mov_b32 v0, s36 :: v_dual_mov_b32 v1, s37
	v_dual_mov_b32 v2, s38 :: v_dual_mov_b32 v3, s39
	v_dual_mov_b32 v4, s42 :: v_dual_mov_b32 v5, s43
	v_dual_mov_b32 v6, s44 :: v_dual_mov_b32 v7, s45
	v_dual_mov_b32 v8, s33 :: v_dual_mov_b32 v9, s51
	v_dual_mov_b32 v10, s49 :: v_dual_mov_b32 v11, s50
	s_wait_alu 0xfffe
	v_dual_mov_b32 v12, 0 :: v_dual_mov_b32 v13, s3
	s_add_nc_u64 s[8:9], s[0:1], 0x60
	s_getpc_b64 s[4:5]
	s_wait_alu 0xfffe
	s_sext_i32_i16 s5, s5
	s_add_co_u32 s4, s4, _ZN7rocprim17ROCPRIM_400000_NS6detail40segmented_radix_sort_single_block_helperIllLj256ELj16ELb1EE4sortIPKlPlS6_S7_EEbT_T0_T1_T2_jjjjRNS3_12storage_typeE@rel32@lo+12
	s_wait_alu 0xfffe
	s_add_co_ci_u32 s5, s5, _ZN7rocprim17ROCPRIM_400000_NS6detail40segmented_radix_sort_single_block_helperIllLj256ELj16ELb1EE4sortIPKlPlS6_S7_EEbT_T0_T1_T2_jjjjRNS3_12storage_typeE@rel32@hi+24
	s_mov_b64 s[22:23], s[0:1]
	s_wait_alu 0xfffe
	s_swappc_b64 s[30:31], s[4:5]
	v_mov_b32_e32 v0, v40
	s_mov_b64 s[0:1], s[22:23]
.LBB710_6:
	s_mov_b32 s2, 0
.LBB710_7:
	s_wait_alu 0xfffe
	s_and_not1_b32 vcc_lo, exec_lo, s2
	s_wait_alu 0xfffe
	s_cbranch_vccnz .LBB710_1182
; %bb.8:
	s_cmp_ge_u32 s49, s50
	s_cbranch_scc1 .LBB710_1182
; %bb.9:
	v_dual_mov_b32 v2, 0 :: v_dual_and_b32 v1, 0x3ff, v0
	v_lshrrev_b32_e32 v5, 3, v0
	v_and_b32_e32 v3, 3, v0
	v_bfe_u32 v102, v0, 20, 10
	s_delay_alu instid0(VALU_DEP_4) | instskip(NEXT) | instid1(VALU_DEP_4)
	v_dual_mov_b32 v121, 1 :: v_dual_lshlrev_b32 v76, 2, v1
	v_and_b32_e32 v95, 28, v5
	v_lshlrev_b32_e32 v5, 4, v1
	v_lshlrev_b32_e32 v4, 3, v1
	;; [unrolled: 1-line block ×3, first 2 shown]
	v_or_b32_e32 v3, 31, v1
	v_mad_u32_u24 v96, v1, 12, v76
	v_and_b32_e32 v99, 0xe00, v5
	v_add_co_u32 v80, s2, s40, v4
	s_delay_alu instid0(VALU_DEP_4) | instskip(NEXT) | instid1(VALU_DEP_4)
	v_cmp_eq_u32_e64 s3, v1, v3
	v_mad_u32_u24 v100, v1, 20, v96
	s_delay_alu instid0(VALU_DEP_4)
	v_lshlrev_b32_e32 v5, 3, v99
	v_lshlrev_b32_e32 v3, 5, v1
	v_or_b32_e32 v77, 0x100, v1
	v_or_b32_e32 v78, 0x200, v1
	;; [unrolled: 1-line block ×3, first 2 shown]
	v_add_co_u32 v104, s8, s46, v5
	s_wait_alu 0xf1ff
	v_add_co_ci_u32_e64 v105, null, s47, 0, s8
	v_add_co_u32 v106, s8, s40, v5
	s_wait_alu 0xf1ff
	v_add_co_ci_u32_e64 v107, null, s41, 0, s8
	;; [unrolled: 3-line block ×5, first 2 shown]
	v_add_co_u32 v115, s8, s36, v4
	v_sub_nc_u32_e32 v103, v100, v3
	s_wait_alu 0xf1ff
	v_add_co_ci_u32_e64 v116, null, s37, 0, s8
	v_add_co_u32 v117, s8, s42, v5
	s_wait_alu 0xf1ff
	v_add_co_ci_u32_e64 v118, null, s43, 0, s8
	v_add_co_u32 v119, s8, s36, v5
	v_add_co_ci_u32_e64 v81, null, s41, 0, s2
	v_or_b32_e32 v82, 0x400, v1
	v_or_b32_e32 v83, 0x500, v1
	;; [unrolled: 1-line block ×12, first 2 shown]
	v_cmp_gt_u32_e64 s2, 0x100, v1
	v_or_b32_e32 v97, 0x8400, v95
	v_cmp_gt_u32_e64 s4, 8, v1
	v_add_nc_u32_e32 v98, 0x8400, v76
	v_cmp_lt_u32_e64 s5, 31, v1
	v_add_nc_u32_e32 v101, 0x83fc, v95
	v_bfe_u32 v0, v0, 10, 10
	v_cmp_eq_u32_e64 s6, 0, v1
	v_cmp_ne_u32_e64 s7, 0xff, v1
	v_add_nc_u32_e32 v108, v103, v76
	s_wait_alu 0xf1ff
	v_add_co_ci_u32_e64 v120, null, s37, 0, s8
	v_lshlrev_b32_e32 v122, 3, v1
	v_mbcnt_lo_u32_b32 v123, -1, 0
	v_bfrev_b32_e32 v3, 1
	s_mov_b32 s35, 0
	s_add_nc_u64 s[42:43], s[0:1], 0x60
	s_mov_b32 s31, s49
	s_mov_b32 s48, s49
	s_branch .LBB710_12
.LBB710_10:                             ;   in Loop: Header=BB710_12 Depth=1
	s_wait_loadcnt_dscnt 0x0
	s_barrier_signal -1
	s_barrier_wait -1
.LBB710_11:                             ;   in Loop: Header=BB710_12 Depth=1
	s_add_co_i32 s48, s48, 8
	global_inv scope:SCOPE_SE
	s_wait_alu 0xfffe
	s_cmp_ge_u32 s48, s50
	s_cbranch_scc1 .LBB710_1182
.LBB710_12:                             ; =>This Loop Header: Depth=1
                                        ;     Child Loop BB710_16 Depth 2
                                        ;     Child Loop BB710_96 Depth 2
	;; [unrolled: 1-line block ×8, first 2 shown]
	s_wait_alu 0xfffe
	s_sub_co_i32 s0, s50, s48
	s_xor_b32 s52, s52, -1
	s_wait_alu 0xfffe
	s_min_u32 s54, s0, 8
	s_cmp_lg_u32 s48, s49
	s_mov_b32 s0, -1
	ds_store_2addr_stride64_b32 v76, v2, v2 offset1:4
	ds_store_2addr_stride64_b32 v76, v2, v2 offset0:8 offset1:12
	s_wait_storecnt_dscnt 0x0
	s_cbranch_scc0 .LBB710_598
; %bb.13:                               ;   in Loop: Header=BB710_12 Depth=1
	s_wait_alu 0xfffe
	s_lshl_b32 s0, -1, s54
	s_and_b32 vcc_lo, exec_lo, s52
	s_wait_alu 0xfffe
	s_not_b32 s55, s0
	s_mov_b32 s0, -1
	s_cbranch_vccz .LBB710_305
; %bb.14:                               ;   in Loop: Header=BB710_12 Depth=1
	s_mov_b32 s8, s53
	s_mov_b32 s34, s33
	s_barrier_signal -1
	s_barrier_wait -1
	global_inv scope:SCOPE_SE
                                        ; implicit-def: $vgpr4_vgpr5
                                        ; implicit-def: $vgpr6_vgpr7
                                        ; implicit-def: $vgpr8_vgpr9
                                        ; implicit-def: $vgpr10_vgpr11
                                        ; implicit-def: $vgpr12_vgpr13
                                        ; implicit-def: $vgpr14_vgpr15
                                        ; implicit-def: $vgpr16_vgpr17
                                        ; implicit-def: $vgpr18_vgpr19
                                        ; implicit-def: $vgpr20_vgpr21
                                        ; implicit-def: $vgpr22_vgpr23
                                        ; implicit-def: $vgpr24_vgpr25
                                        ; implicit-def: $vgpr26_vgpr27
                                        ; implicit-def: $vgpr28_vgpr29
                                        ; implicit-def: $vgpr30_vgpr31
                                        ; implicit-def: $vgpr32_vgpr33
                                        ; implicit-def: $vgpr34_vgpr35
	s_branch .LBB710_16
.LBB710_15:                             ;   in Loop: Header=BB710_16 Depth=2
	s_wait_alu 0xfffe
	s_or_b32 exec_lo, exec_lo, s0
	s_addk_co_i32 s8, 0xf000
	s_cmp_ge_u32 s9, s51
	s_mov_b32 s34, s9
	s_cbranch_scc1 .LBB710_84
.LBB710_16:                             ;   Parent Loop BB710_12 Depth=1
                                        ; =>  This Inner Loop Header: Depth=2
	s_wait_alu 0xfffe
	s_add_co_i32 s9, s34, 0x1000
	s_mov_b32 s0, -1
	s_wait_alu 0xfffe
	s_cmp_gt_u32 s9, s51
                                        ; implicit-def: $vgpr36_vgpr37
                                        ; implicit-def: $vgpr38_vgpr39
                                        ; implicit-def: $vgpr40_vgpr41
                                        ; implicit-def: $vgpr42_vgpr43
                                        ; implicit-def: $vgpr44_vgpr45
                                        ; implicit-def: $vgpr46_vgpr47
                                        ; implicit-def: $vgpr48_vgpr49
                                        ; implicit-def: $vgpr50_vgpr51
                                        ; implicit-def: $vgpr52_vgpr53
                                        ; implicit-def: $vgpr54_vgpr55
                                        ; implicit-def: $vgpr56_vgpr57
                                        ; implicit-def: $vgpr58_vgpr59
                                        ; implicit-def: $vgpr60_vgpr61
                                        ; implicit-def: $vgpr62_vgpr63
                                        ; implicit-def: $vgpr64_vgpr65
                                        ; implicit-def: $vgpr66_vgpr67
	s_cbranch_scc1 .LBB710_18
; %bb.17:                               ;   in Loop: Header=BB710_16 Depth=2
	s_lshl_b64 s[0:1], s[34:35], 3
	s_wait_alu 0xfffe
	v_add_co_u32 v66, vcc_lo, v80, s0
	s_wait_alu 0xfffd
	v_add_co_ci_u32_e64 v67, null, s1, v81, vcc_lo
	s_mov_b32 s0, 0
	s_clause 0xf
	global_load_b64 v[36:37], v[66:67], off
	global_load_b64 v[38:39], v[66:67], off offset:2048
	global_load_b64 v[40:41], v[66:67], off offset:4096
	;; [unrolled: 1-line block ×15, first 2 shown]
.LBB710_18:                             ;   in Loop: Header=BB710_16 Depth=2
	s_wait_alu 0xfffe
	s_and_not1_b32 vcc_lo, exec_lo, s0
	s_movk_i32 s0, 0x1000
	s_wait_alu 0xfffe
	s_cbranch_vccnz .LBB710_37
; %bb.19:                               ;   in Loop: Header=BB710_16 Depth=2
	s_lshl_b64 s[0:1], s[34:35], 3
	s_mov_b32 s10, exec_lo
	s_wait_alu 0xfffe
	s_add_nc_u64 s[0:1], s[40:41], s[0:1]
	v_cmpx_gt_u32_e64 s8, v1
	s_cbranch_execnz .LBB710_69
; %bb.20:                               ;   in Loop: Header=BB710_16 Depth=2
	s_or_b32 exec_lo, exec_lo, s10
	s_delay_alu instid0(SALU_CYCLE_1)
	s_mov_b32 s10, exec_lo
	v_cmpx_gt_u32_e64 s8, v77
	s_cbranch_execnz .LBB710_70
.LBB710_21:                             ;   in Loop: Header=BB710_16 Depth=2
	s_wait_alu 0xfffe
	s_or_b32 exec_lo, exec_lo, s10
	s_delay_alu instid0(SALU_CYCLE_1)
	s_mov_b32 s10, exec_lo
	v_cmpx_gt_u32_e64 s8, v78
	s_cbranch_execnz .LBB710_71
.LBB710_22:                             ;   in Loop: Header=BB710_16 Depth=2
	s_wait_alu 0xfffe
	s_or_b32 exec_lo, exec_lo, s10
	s_delay_alu instid0(SALU_CYCLE_1)
	s_mov_b32 s10, exec_lo
	v_cmpx_gt_u32_e64 s8, v79
	s_cbranch_execnz .LBB710_72
.LBB710_23:                             ;   in Loop: Header=BB710_16 Depth=2
	s_wait_alu 0xfffe
	s_or_b32 exec_lo, exec_lo, s10
	s_delay_alu instid0(SALU_CYCLE_1)
	s_mov_b32 s10, exec_lo
	v_cmpx_gt_u32_e64 s8, v82
	s_cbranch_execnz .LBB710_73
.LBB710_24:                             ;   in Loop: Header=BB710_16 Depth=2
	s_wait_alu 0xfffe
	s_or_b32 exec_lo, exec_lo, s10
	s_delay_alu instid0(SALU_CYCLE_1)
	s_mov_b32 s10, exec_lo
	v_cmpx_gt_u32_e64 s8, v83
	s_cbranch_execnz .LBB710_74
.LBB710_25:                             ;   in Loop: Header=BB710_16 Depth=2
	s_wait_alu 0xfffe
	s_or_b32 exec_lo, exec_lo, s10
	s_delay_alu instid0(SALU_CYCLE_1)
	s_mov_b32 s10, exec_lo
	v_cmpx_gt_u32_e64 s8, v84
	s_cbranch_execnz .LBB710_75
.LBB710_26:                             ;   in Loop: Header=BB710_16 Depth=2
	s_wait_alu 0xfffe
	s_or_b32 exec_lo, exec_lo, s10
	s_delay_alu instid0(SALU_CYCLE_1)
	s_mov_b32 s10, exec_lo
	v_cmpx_gt_u32_e64 s8, v85
	s_cbranch_execnz .LBB710_76
.LBB710_27:                             ;   in Loop: Header=BB710_16 Depth=2
	s_wait_alu 0xfffe
	s_or_b32 exec_lo, exec_lo, s10
	s_delay_alu instid0(SALU_CYCLE_1)
	s_mov_b32 s10, exec_lo
	v_cmpx_gt_u32_e64 s8, v86
	s_cbranch_execnz .LBB710_77
.LBB710_28:                             ;   in Loop: Header=BB710_16 Depth=2
	s_wait_alu 0xfffe
	s_or_b32 exec_lo, exec_lo, s10
	s_delay_alu instid0(SALU_CYCLE_1)
	s_mov_b32 s10, exec_lo
	v_cmpx_gt_u32_e64 s8, v87
	s_cbranch_execnz .LBB710_78
.LBB710_29:                             ;   in Loop: Header=BB710_16 Depth=2
	s_wait_alu 0xfffe
	s_or_b32 exec_lo, exec_lo, s10
	s_delay_alu instid0(SALU_CYCLE_1)
	s_mov_b32 s10, exec_lo
	v_cmpx_gt_u32_e64 s8, v88
	s_cbranch_execnz .LBB710_79
.LBB710_30:                             ;   in Loop: Header=BB710_16 Depth=2
	s_wait_alu 0xfffe
	s_or_b32 exec_lo, exec_lo, s10
	s_delay_alu instid0(SALU_CYCLE_1)
	s_mov_b32 s10, exec_lo
	v_cmpx_gt_u32_e64 s8, v89
	s_cbranch_execnz .LBB710_80
.LBB710_31:                             ;   in Loop: Header=BB710_16 Depth=2
	s_wait_alu 0xfffe
	s_or_b32 exec_lo, exec_lo, s10
	s_delay_alu instid0(SALU_CYCLE_1)
	s_mov_b32 s10, exec_lo
	v_cmpx_gt_u32_e64 s8, v90
	s_cbranch_execnz .LBB710_81
.LBB710_32:                             ;   in Loop: Header=BB710_16 Depth=2
	s_wait_alu 0xfffe
	s_or_b32 exec_lo, exec_lo, s10
	s_delay_alu instid0(SALU_CYCLE_1)
	s_mov_b32 s10, exec_lo
	v_cmpx_gt_u32_e64 s8, v91
	s_cbranch_execnz .LBB710_82
.LBB710_33:                             ;   in Loop: Header=BB710_16 Depth=2
	s_wait_alu 0xfffe
	s_or_b32 exec_lo, exec_lo, s10
	s_delay_alu instid0(SALU_CYCLE_1)
	s_mov_b32 s10, exec_lo
	v_cmpx_gt_u32_e64 s8, v92
	s_cbranch_execnz .LBB710_83
.LBB710_34:                             ;   in Loop: Header=BB710_16 Depth=2
	s_wait_alu 0xfffe
	s_or_b32 exec_lo, exec_lo, s10
	s_delay_alu instid0(SALU_CYCLE_1)
	s_mov_b32 s10, exec_lo
	v_cmpx_gt_u32_e64 s8, v93
	s_cbranch_execz .LBB710_36
.LBB710_35:                             ;   in Loop: Header=BB710_16 Depth=2
	global_load_b64 v[4:5], v122, s[0:1] offset:30720
.LBB710_36:                             ;   in Loop: Header=BB710_16 Depth=2
	s_wait_alu 0xfffe
	s_or_b32 exec_lo, exec_lo, s10
	s_wait_loadcnt 0x0
	v_dual_mov_b32 v37, v35 :: v_dual_mov_b32 v36, v34
	v_dual_mov_b32 v39, v33 :: v_dual_mov_b32 v38, v32
	v_dual_mov_b32 v41, v31 :: v_dual_mov_b32 v40, v30
	v_dual_mov_b32 v43, v29 :: v_dual_mov_b32 v42, v28
	v_dual_mov_b32 v45, v27 :: v_dual_mov_b32 v44, v26
	v_dual_mov_b32 v47, v25 :: v_dual_mov_b32 v46, v24
	v_dual_mov_b32 v49, v23 :: v_dual_mov_b32 v48, v22
	v_dual_mov_b32 v51, v21 :: v_dual_mov_b32 v50, v20
	v_dual_mov_b32 v53, v19 :: v_dual_mov_b32 v52, v18
	v_dual_mov_b32 v55, v17 :: v_dual_mov_b32 v54, v16
	v_dual_mov_b32 v57, v15 :: v_dual_mov_b32 v56, v14
	v_dual_mov_b32 v59, v13 :: v_dual_mov_b32 v58, v12
	v_dual_mov_b32 v61, v11 :: v_dual_mov_b32 v60, v10
	v_dual_mov_b32 v63, v9 :: v_dual_mov_b32 v62, v8
	v_dual_mov_b32 v65, v7 :: v_dual_mov_b32 v64, v6
	v_dual_mov_b32 v67, v5 :: v_dual_mov_b32 v66, v4
	s_mov_b32 s0, s8
.LBB710_37:                             ;   in Loop: Header=BB710_16 Depth=2
	s_wait_loadcnt 0x0
	s_delay_alu instid0(VALU_DEP_1)
	v_dual_mov_b32 v4, v66 :: v_dual_mov_b32 v5, v67
	v_dual_mov_b32 v6, v64 :: v_dual_mov_b32 v7, v65
	;; [unrolled: 1-line block ×16, first 2 shown]
	s_mov_b32 s1, exec_lo
	s_wait_alu 0xfffe
	v_cmpx_gt_u32_e64 s0, v1
	s_cbranch_execnz .LBB710_53
; %bb.38:                               ;   in Loop: Header=BB710_16 Depth=2
	s_or_b32 exec_lo, exec_lo, s1
	s_delay_alu instid0(SALU_CYCLE_1)
	s_mov_b32 s1, exec_lo
	v_cmpx_gt_u32_e64 s0, v77
	s_cbranch_execnz .LBB710_54
.LBB710_39:                             ;   in Loop: Header=BB710_16 Depth=2
	s_wait_alu 0xfffe
	s_or_b32 exec_lo, exec_lo, s1
	s_delay_alu instid0(SALU_CYCLE_1)
	s_mov_b32 s1, exec_lo
	v_cmpx_gt_u32_e64 s0, v78
	s_cbranch_execnz .LBB710_55
.LBB710_40:                             ;   in Loop: Header=BB710_16 Depth=2
	s_wait_alu 0xfffe
	s_or_b32 exec_lo, exec_lo, s1
	s_delay_alu instid0(SALU_CYCLE_1)
	s_mov_b32 s1, exec_lo
	v_cmpx_gt_u32_e64 s0, v79
	s_cbranch_execnz .LBB710_56
.LBB710_41:                             ;   in Loop: Header=BB710_16 Depth=2
	s_wait_alu 0xfffe
	s_or_b32 exec_lo, exec_lo, s1
	s_delay_alu instid0(SALU_CYCLE_1)
	s_mov_b32 s1, exec_lo
	v_cmpx_gt_u32_e64 s0, v82
	s_cbranch_execnz .LBB710_57
.LBB710_42:                             ;   in Loop: Header=BB710_16 Depth=2
	s_wait_alu 0xfffe
	s_or_b32 exec_lo, exec_lo, s1
	s_delay_alu instid0(SALU_CYCLE_1)
	s_mov_b32 s1, exec_lo
	v_cmpx_gt_u32_e64 s0, v83
	s_cbranch_execnz .LBB710_58
.LBB710_43:                             ;   in Loop: Header=BB710_16 Depth=2
	s_wait_alu 0xfffe
	s_or_b32 exec_lo, exec_lo, s1
	s_delay_alu instid0(SALU_CYCLE_1)
	s_mov_b32 s1, exec_lo
	v_cmpx_gt_u32_e64 s0, v84
	s_cbranch_execnz .LBB710_59
.LBB710_44:                             ;   in Loop: Header=BB710_16 Depth=2
	s_wait_alu 0xfffe
	s_or_b32 exec_lo, exec_lo, s1
	s_delay_alu instid0(SALU_CYCLE_1)
	s_mov_b32 s1, exec_lo
	v_cmpx_gt_u32_e64 s0, v85
	s_cbranch_execnz .LBB710_60
.LBB710_45:                             ;   in Loop: Header=BB710_16 Depth=2
	s_wait_alu 0xfffe
	s_or_b32 exec_lo, exec_lo, s1
	s_delay_alu instid0(SALU_CYCLE_1)
	s_mov_b32 s1, exec_lo
	v_cmpx_gt_u32_e64 s0, v86
	s_cbranch_execnz .LBB710_61
.LBB710_46:                             ;   in Loop: Header=BB710_16 Depth=2
	s_wait_alu 0xfffe
	s_or_b32 exec_lo, exec_lo, s1
	s_delay_alu instid0(SALU_CYCLE_1)
	s_mov_b32 s1, exec_lo
	v_cmpx_gt_u32_e64 s0, v87
	s_cbranch_execnz .LBB710_62
.LBB710_47:                             ;   in Loop: Header=BB710_16 Depth=2
	s_wait_alu 0xfffe
	s_or_b32 exec_lo, exec_lo, s1
	s_delay_alu instid0(SALU_CYCLE_1)
	s_mov_b32 s1, exec_lo
	v_cmpx_gt_u32_e64 s0, v88
	s_cbranch_execnz .LBB710_63
.LBB710_48:                             ;   in Loop: Header=BB710_16 Depth=2
	s_wait_alu 0xfffe
	s_or_b32 exec_lo, exec_lo, s1
	s_delay_alu instid0(SALU_CYCLE_1)
	s_mov_b32 s1, exec_lo
	v_cmpx_gt_u32_e64 s0, v89
	s_cbranch_execnz .LBB710_64
.LBB710_49:                             ;   in Loop: Header=BB710_16 Depth=2
	s_wait_alu 0xfffe
	s_or_b32 exec_lo, exec_lo, s1
	s_delay_alu instid0(SALU_CYCLE_1)
	s_mov_b32 s1, exec_lo
	v_cmpx_gt_u32_e64 s0, v90
	s_cbranch_execnz .LBB710_65
.LBB710_50:                             ;   in Loop: Header=BB710_16 Depth=2
	s_wait_alu 0xfffe
	s_or_b32 exec_lo, exec_lo, s1
	s_delay_alu instid0(SALU_CYCLE_1)
	s_mov_b32 s1, exec_lo
	v_cmpx_gt_u32_e64 s0, v91
	s_cbranch_execnz .LBB710_66
.LBB710_51:                             ;   in Loop: Header=BB710_16 Depth=2
	s_wait_alu 0xfffe
	s_or_b32 exec_lo, exec_lo, s1
	s_delay_alu instid0(SALU_CYCLE_1)
	s_mov_b32 s1, exec_lo
	v_cmpx_gt_u32_e64 s0, v92
	s_cbranch_execnz .LBB710_67
.LBB710_52:                             ;   in Loop: Header=BB710_16 Depth=2
	s_wait_alu 0xfffe
	s_or_b32 exec_lo, exec_lo, s1
	v_cmp_gt_u32_e32 vcc_lo, s0, v93
	s_and_saveexec_b32 s0, vcc_lo
	s_cbranch_execz .LBB710_15
	s_branch .LBB710_68
.LBB710_53:                             ;   in Loop: Header=BB710_16 Depth=2
	v_xor_b32_e32 v37, 0x7fffffff, v35
	v_not_b32_e32 v36, v34
	s_delay_alu instid0(VALU_DEP_1) | instskip(NEXT) | instid1(VALU_DEP_1)
	v_lshrrev_b64 v[36:37], s48, v[36:37]
	v_and_b32_e32 v36, s55, v36
	s_delay_alu instid0(VALU_DEP_1) | instskip(SKIP_2) | instid1(SALU_CYCLE_1)
	v_lshl_or_b32 v36, v36, 4, v94
	ds_add_u32 v36, v121
	s_or_b32 exec_lo, exec_lo, s1
	s_mov_b32 s1, exec_lo
	v_cmpx_gt_u32_e64 s0, v77
	s_cbranch_execz .LBB710_39
.LBB710_54:                             ;   in Loop: Header=BB710_16 Depth=2
	v_xor_b32_e32 v37, 0x7fffffff, v33
	v_not_b32_e32 v36, v32
	s_delay_alu instid0(VALU_DEP_1) | instskip(NEXT) | instid1(VALU_DEP_1)
	v_lshrrev_b64 v[36:37], s48, v[36:37]
	v_and_b32_e32 v36, s55, v36
	s_delay_alu instid0(VALU_DEP_1) | instskip(SKIP_3) | instid1(SALU_CYCLE_1)
	v_lshl_or_b32 v36, v36, 4, v94
	ds_add_u32 v36, v121
	s_wait_alu 0xfffe
	s_or_b32 exec_lo, exec_lo, s1
	s_mov_b32 s1, exec_lo
	v_cmpx_gt_u32_e64 s0, v78
	s_cbranch_execz .LBB710_40
.LBB710_55:                             ;   in Loop: Header=BB710_16 Depth=2
	v_xor_b32_e32 v37, 0x7fffffff, v31
	v_not_b32_e32 v36, v30
	s_delay_alu instid0(VALU_DEP_1) | instskip(NEXT) | instid1(VALU_DEP_1)
	v_lshrrev_b64 v[36:37], s48, v[36:37]
	v_and_b32_e32 v36, s55, v36
	s_delay_alu instid0(VALU_DEP_1) | instskip(SKIP_3) | instid1(SALU_CYCLE_1)
	v_lshl_or_b32 v36, v36, 4, v94
	ds_add_u32 v36, v121
	s_wait_alu 0xfffe
	s_or_b32 exec_lo, exec_lo, s1
	s_mov_b32 s1, exec_lo
	v_cmpx_gt_u32_e64 s0, v79
	s_cbranch_execz .LBB710_41
.LBB710_56:                             ;   in Loop: Header=BB710_16 Depth=2
	v_xor_b32_e32 v37, 0x7fffffff, v29
	v_not_b32_e32 v36, v28
	s_delay_alu instid0(VALU_DEP_1) | instskip(NEXT) | instid1(VALU_DEP_1)
	v_lshrrev_b64 v[36:37], s48, v[36:37]
	v_and_b32_e32 v36, s55, v36
	s_delay_alu instid0(VALU_DEP_1) | instskip(SKIP_3) | instid1(SALU_CYCLE_1)
	v_lshl_or_b32 v36, v36, 4, v94
	ds_add_u32 v36, v121
	s_wait_alu 0xfffe
	s_or_b32 exec_lo, exec_lo, s1
	s_mov_b32 s1, exec_lo
	v_cmpx_gt_u32_e64 s0, v82
	s_cbranch_execz .LBB710_42
.LBB710_57:                             ;   in Loop: Header=BB710_16 Depth=2
	v_xor_b32_e32 v37, 0x7fffffff, v27
	v_not_b32_e32 v36, v26
	s_delay_alu instid0(VALU_DEP_1) | instskip(NEXT) | instid1(VALU_DEP_1)
	v_lshrrev_b64 v[36:37], s48, v[36:37]
	v_and_b32_e32 v36, s55, v36
	s_delay_alu instid0(VALU_DEP_1) | instskip(SKIP_3) | instid1(SALU_CYCLE_1)
	v_lshl_or_b32 v36, v36, 4, v94
	ds_add_u32 v36, v121
	s_wait_alu 0xfffe
	s_or_b32 exec_lo, exec_lo, s1
	s_mov_b32 s1, exec_lo
	v_cmpx_gt_u32_e64 s0, v83
	s_cbranch_execz .LBB710_43
.LBB710_58:                             ;   in Loop: Header=BB710_16 Depth=2
	v_xor_b32_e32 v37, 0x7fffffff, v25
	v_not_b32_e32 v36, v24
	s_delay_alu instid0(VALU_DEP_1) | instskip(NEXT) | instid1(VALU_DEP_1)
	v_lshrrev_b64 v[36:37], s48, v[36:37]
	v_and_b32_e32 v36, s55, v36
	s_delay_alu instid0(VALU_DEP_1) | instskip(SKIP_3) | instid1(SALU_CYCLE_1)
	v_lshl_or_b32 v36, v36, 4, v94
	ds_add_u32 v36, v121
	s_wait_alu 0xfffe
	s_or_b32 exec_lo, exec_lo, s1
	s_mov_b32 s1, exec_lo
	v_cmpx_gt_u32_e64 s0, v84
	s_cbranch_execz .LBB710_44
.LBB710_59:                             ;   in Loop: Header=BB710_16 Depth=2
	v_xor_b32_e32 v37, 0x7fffffff, v23
	v_not_b32_e32 v36, v22
	s_delay_alu instid0(VALU_DEP_1) | instskip(NEXT) | instid1(VALU_DEP_1)
	v_lshrrev_b64 v[36:37], s48, v[36:37]
	v_and_b32_e32 v36, s55, v36
	s_delay_alu instid0(VALU_DEP_1) | instskip(SKIP_3) | instid1(SALU_CYCLE_1)
	v_lshl_or_b32 v36, v36, 4, v94
	ds_add_u32 v36, v121
	s_wait_alu 0xfffe
	s_or_b32 exec_lo, exec_lo, s1
	s_mov_b32 s1, exec_lo
	v_cmpx_gt_u32_e64 s0, v85
	s_cbranch_execz .LBB710_45
.LBB710_60:                             ;   in Loop: Header=BB710_16 Depth=2
	v_xor_b32_e32 v37, 0x7fffffff, v21
	v_not_b32_e32 v36, v20
	s_delay_alu instid0(VALU_DEP_1) | instskip(NEXT) | instid1(VALU_DEP_1)
	v_lshrrev_b64 v[36:37], s48, v[36:37]
	v_and_b32_e32 v36, s55, v36
	s_delay_alu instid0(VALU_DEP_1) | instskip(SKIP_3) | instid1(SALU_CYCLE_1)
	v_lshl_or_b32 v36, v36, 4, v94
	ds_add_u32 v36, v121
	s_wait_alu 0xfffe
	s_or_b32 exec_lo, exec_lo, s1
	s_mov_b32 s1, exec_lo
	v_cmpx_gt_u32_e64 s0, v86
	s_cbranch_execz .LBB710_46
.LBB710_61:                             ;   in Loop: Header=BB710_16 Depth=2
	v_xor_b32_e32 v37, 0x7fffffff, v19
	v_not_b32_e32 v36, v18
	s_delay_alu instid0(VALU_DEP_1) | instskip(NEXT) | instid1(VALU_DEP_1)
	v_lshrrev_b64 v[36:37], s48, v[36:37]
	v_and_b32_e32 v36, s55, v36
	s_delay_alu instid0(VALU_DEP_1) | instskip(SKIP_3) | instid1(SALU_CYCLE_1)
	v_lshl_or_b32 v36, v36, 4, v94
	ds_add_u32 v36, v121
	s_wait_alu 0xfffe
	s_or_b32 exec_lo, exec_lo, s1
	s_mov_b32 s1, exec_lo
	v_cmpx_gt_u32_e64 s0, v87
	s_cbranch_execz .LBB710_47
.LBB710_62:                             ;   in Loop: Header=BB710_16 Depth=2
	v_xor_b32_e32 v37, 0x7fffffff, v17
	v_not_b32_e32 v36, v16
	s_delay_alu instid0(VALU_DEP_1) | instskip(NEXT) | instid1(VALU_DEP_1)
	v_lshrrev_b64 v[36:37], s48, v[36:37]
	v_and_b32_e32 v36, s55, v36
	s_delay_alu instid0(VALU_DEP_1) | instskip(SKIP_3) | instid1(SALU_CYCLE_1)
	v_lshl_or_b32 v36, v36, 4, v94
	ds_add_u32 v36, v121
	s_wait_alu 0xfffe
	s_or_b32 exec_lo, exec_lo, s1
	s_mov_b32 s1, exec_lo
	v_cmpx_gt_u32_e64 s0, v88
	s_cbranch_execz .LBB710_48
.LBB710_63:                             ;   in Loop: Header=BB710_16 Depth=2
	v_xor_b32_e32 v37, 0x7fffffff, v15
	v_not_b32_e32 v36, v14
	s_delay_alu instid0(VALU_DEP_1) | instskip(NEXT) | instid1(VALU_DEP_1)
	v_lshrrev_b64 v[36:37], s48, v[36:37]
	v_and_b32_e32 v36, s55, v36
	s_delay_alu instid0(VALU_DEP_1) | instskip(SKIP_3) | instid1(SALU_CYCLE_1)
	v_lshl_or_b32 v36, v36, 4, v94
	ds_add_u32 v36, v121
	s_wait_alu 0xfffe
	s_or_b32 exec_lo, exec_lo, s1
	s_mov_b32 s1, exec_lo
	v_cmpx_gt_u32_e64 s0, v89
	s_cbranch_execz .LBB710_49
.LBB710_64:                             ;   in Loop: Header=BB710_16 Depth=2
	v_xor_b32_e32 v37, 0x7fffffff, v13
	v_not_b32_e32 v36, v12
	s_delay_alu instid0(VALU_DEP_1) | instskip(NEXT) | instid1(VALU_DEP_1)
	v_lshrrev_b64 v[36:37], s48, v[36:37]
	v_and_b32_e32 v36, s55, v36
	s_delay_alu instid0(VALU_DEP_1) | instskip(SKIP_3) | instid1(SALU_CYCLE_1)
	v_lshl_or_b32 v36, v36, 4, v94
	ds_add_u32 v36, v121
	s_wait_alu 0xfffe
	s_or_b32 exec_lo, exec_lo, s1
	s_mov_b32 s1, exec_lo
	v_cmpx_gt_u32_e64 s0, v90
	s_cbranch_execz .LBB710_50
.LBB710_65:                             ;   in Loop: Header=BB710_16 Depth=2
	v_xor_b32_e32 v37, 0x7fffffff, v11
	v_not_b32_e32 v36, v10
	s_delay_alu instid0(VALU_DEP_1) | instskip(NEXT) | instid1(VALU_DEP_1)
	v_lshrrev_b64 v[36:37], s48, v[36:37]
	v_and_b32_e32 v36, s55, v36
	s_delay_alu instid0(VALU_DEP_1) | instskip(SKIP_3) | instid1(SALU_CYCLE_1)
	v_lshl_or_b32 v36, v36, 4, v94
	ds_add_u32 v36, v121
	s_wait_alu 0xfffe
	s_or_b32 exec_lo, exec_lo, s1
	s_mov_b32 s1, exec_lo
	v_cmpx_gt_u32_e64 s0, v91
	s_cbranch_execz .LBB710_51
.LBB710_66:                             ;   in Loop: Header=BB710_16 Depth=2
	v_xor_b32_e32 v37, 0x7fffffff, v9
	v_not_b32_e32 v36, v8
	s_delay_alu instid0(VALU_DEP_1) | instskip(NEXT) | instid1(VALU_DEP_1)
	v_lshrrev_b64 v[36:37], s48, v[36:37]
	v_and_b32_e32 v36, s55, v36
	s_delay_alu instid0(VALU_DEP_1) | instskip(SKIP_3) | instid1(SALU_CYCLE_1)
	v_lshl_or_b32 v36, v36, 4, v94
	ds_add_u32 v36, v121
	s_wait_alu 0xfffe
	s_or_b32 exec_lo, exec_lo, s1
	s_mov_b32 s1, exec_lo
	v_cmpx_gt_u32_e64 s0, v92
	s_cbranch_execz .LBB710_52
.LBB710_67:                             ;   in Loop: Header=BB710_16 Depth=2
	v_xor_b32_e32 v37, 0x7fffffff, v7
	v_not_b32_e32 v36, v6
	s_delay_alu instid0(VALU_DEP_1) | instskip(NEXT) | instid1(VALU_DEP_1)
	v_lshrrev_b64 v[36:37], s48, v[36:37]
	v_and_b32_e32 v36, s55, v36
	s_delay_alu instid0(VALU_DEP_1)
	v_lshl_or_b32 v36, v36, 4, v94
	ds_add_u32 v36, v121
	s_wait_alu 0xfffe
	s_or_b32 exec_lo, exec_lo, s1
	v_cmp_gt_u32_e32 vcc_lo, s0, v93
	s_and_saveexec_b32 s0, vcc_lo
	s_cbranch_execz .LBB710_15
.LBB710_68:                             ;   in Loop: Header=BB710_16 Depth=2
	v_xor_b32_e32 v37, 0x7fffffff, v5
	v_not_b32_e32 v36, v4
	s_delay_alu instid0(VALU_DEP_1) | instskip(NEXT) | instid1(VALU_DEP_1)
	v_lshrrev_b64 v[36:37], s48, v[36:37]
	v_and_b32_e32 v36, s55, v36
	s_delay_alu instid0(VALU_DEP_1)
	v_lshl_or_b32 v36, v36, 4, v94
	ds_add_u32 v36, v121
	s_branch .LBB710_15
.LBB710_69:                             ;   in Loop: Header=BB710_16 Depth=2
	global_load_b64 v[34:35], v122, s[0:1]
	s_or_b32 exec_lo, exec_lo, s10
	s_delay_alu instid0(SALU_CYCLE_1)
	s_mov_b32 s10, exec_lo
	v_cmpx_gt_u32_e64 s8, v77
	s_cbranch_execz .LBB710_21
.LBB710_70:                             ;   in Loop: Header=BB710_16 Depth=2
	global_load_b64 v[32:33], v122, s[0:1] offset:2048
	s_wait_alu 0xfffe
	s_or_b32 exec_lo, exec_lo, s10
	s_delay_alu instid0(SALU_CYCLE_1)
	s_mov_b32 s10, exec_lo
	v_cmpx_gt_u32_e64 s8, v78
	s_cbranch_execz .LBB710_22
.LBB710_71:                             ;   in Loop: Header=BB710_16 Depth=2
	global_load_b64 v[30:31], v122, s[0:1] offset:4096
	s_wait_alu 0xfffe
	s_or_b32 exec_lo, exec_lo, s10
	s_delay_alu instid0(SALU_CYCLE_1)
	s_mov_b32 s10, exec_lo
	v_cmpx_gt_u32_e64 s8, v79
	s_cbranch_execz .LBB710_23
.LBB710_72:                             ;   in Loop: Header=BB710_16 Depth=2
	global_load_b64 v[28:29], v122, s[0:1] offset:6144
	s_wait_alu 0xfffe
	s_or_b32 exec_lo, exec_lo, s10
	s_delay_alu instid0(SALU_CYCLE_1)
	s_mov_b32 s10, exec_lo
	v_cmpx_gt_u32_e64 s8, v82
	s_cbranch_execz .LBB710_24
.LBB710_73:                             ;   in Loop: Header=BB710_16 Depth=2
	global_load_b64 v[26:27], v122, s[0:1] offset:8192
	s_wait_alu 0xfffe
	s_or_b32 exec_lo, exec_lo, s10
	s_delay_alu instid0(SALU_CYCLE_1)
	s_mov_b32 s10, exec_lo
	v_cmpx_gt_u32_e64 s8, v83
	s_cbranch_execz .LBB710_25
.LBB710_74:                             ;   in Loop: Header=BB710_16 Depth=2
	global_load_b64 v[24:25], v122, s[0:1] offset:10240
	s_wait_alu 0xfffe
	s_or_b32 exec_lo, exec_lo, s10
	s_delay_alu instid0(SALU_CYCLE_1)
	s_mov_b32 s10, exec_lo
	v_cmpx_gt_u32_e64 s8, v84
	s_cbranch_execz .LBB710_26
.LBB710_75:                             ;   in Loop: Header=BB710_16 Depth=2
	global_load_b64 v[22:23], v122, s[0:1] offset:12288
	s_wait_alu 0xfffe
	s_or_b32 exec_lo, exec_lo, s10
	s_delay_alu instid0(SALU_CYCLE_1)
	s_mov_b32 s10, exec_lo
	v_cmpx_gt_u32_e64 s8, v85
	s_cbranch_execz .LBB710_27
.LBB710_76:                             ;   in Loop: Header=BB710_16 Depth=2
	global_load_b64 v[20:21], v122, s[0:1] offset:14336
	s_wait_alu 0xfffe
	s_or_b32 exec_lo, exec_lo, s10
	s_delay_alu instid0(SALU_CYCLE_1)
	s_mov_b32 s10, exec_lo
	v_cmpx_gt_u32_e64 s8, v86
	s_cbranch_execz .LBB710_28
.LBB710_77:                             ;   in Loop: Header=BB710_16 Depth=2
	global_load_b64 v[18:19], v122, s[0:1] offset:16384
	s_wait_alu 0xfffe
	s_or_b32 exec_lo, exec_lo, s10
	s_delay_alu instid0(SALU_CYCLE_1)
	s_mov_b32 s10, exec_lo
	v_cmpx_gt_u32_e64 s8, v87
	s_cbranch_execz .LBB710_29
.LBB710_78:                             ;   in Loop: Header=BB710_16 Depth=2
	global_load_b64 v[16:17], v122, s[0:1] offset:18432
	s_wait_alu 0xfffe
	s_or_b32 exec_lo, exec_lo, s10
	s_delay_alu instid0(SALU_CYCLE_1)
	s_mov_b32 s10, exec_lo
	v_cmpx_gt_u32_e64 s8, v88
	s_cbranch_execz .LBB710_30
.LBB710_79:                             ;   in Loop: Header=BB710_16 Depth=2
	global_load_b64 v[14:15], v122, s[0:1] offset:20480
	s_wait_alu 0xfffe
	s_or_b32 exec_lo, exec_lo, s10
	s_delay_alu instid0(SALU_CYCLE_1)
	s_mov_b32 s10, exec_lo
	v_cmpx_gt_u32_e64 s8, v89
	s_cbranch_execz .LBB710_31
.LBB710_80:                             ;   in Loop: Header=BB710_16 Depth=2
	global_load_b64 v[12:13], v122, s[0:1] offset:22528
	s_wait_alu 0xfffe
	s_or_b32 exec_lo, exec_lo, s10
	s_delay_alu instid0(SALU_CYCLE_1)
	s_mov_b32 s10, exec_lo
	v_cmpx_gt_u32_e64 s8, v90
	s_cbranch_execz .LBB710_32
.LBB710_81:                             ;   in Loop: Header=BB710_16 Depth=2
	global_load_b64 v[10:11], v122, s[0:1] offset:24576
	s_wait_alu 0xfffe
	s_or_b32 exec_lo, exec_lo, s10
	s_delay_alu instid0(SALU_CYCLE_1)
	s_mov_b32 s10, exec_lo
	v_cmpx_gt_u32_e64 s8, v91
	s_cbranch_execz .LBB710_33
.LBB710_82:                             ;   in Loop: Header=BB710_16 Depth=2
	global_load_b64 v[8:9], v122, s[0:1] offset:26624
	s_wait_alu 0xfffe
	s_or_b32 exec_lo, exec_lo, s10
	s_delay_alu instid0(SALU_CYCLE_1)
	s_mov_b32 s10, exec_lo
	v_cmpx_gt_u32_e64 s8, v92
	s_cbranch_execz .LBB710_34
.LBB710_83:                             ;   in Loop: Header=BB710_16 Depth=2
	global_load_b64 v[6:7], v122, s[0:1] offset:28672
	s_wait_alu 0xfffe
	s_or_b32 exec_lo, exec_lo, s10
	s_delay_alu instid0(SALU_CYCLE_1)
	s_mov_b32 s10, exec_lo
	v_cmpx_gt_u32_e64 s8, v93
	s_cbranch_execnz .LBB710_35
	s_branch .LBB710_36
.LBB710_84:                             ;   in Loop: Header=BB710_12 Depth=1
	v_mov_b32_e32 v4, 0
	s_wait_dscnt 0x0
	s_barrier_signal -1
	s_barrier_wait -1
	global_inv scope:SCOPE_SE
	s_and_saveexec_b32 s0, s2
	s_cbranch_execz .LBB710_86
; %bb.85:                               ;   in Loop: Header=BB710_12 Depth=1
	ds_load_2addr_b64 v[4:7], v96 offset1:1
	s_wait_dscnt 0x0
	v_add_nc_u32_e32 v4, v5, v4
	s_delay_alu instid0(VALU_DEP_1)
	v_add3_u32 v4, v4, v6, v7
.LBB710_86:                             ;   in Loop: Header=BB710_12 Depth=1
	s_wait_alu 0xfffe
	s_or_b32 exec_lo, exec_lo, s0
	v_and_b32_e32 v5, 15, v123
	s_delay_alu instid0(VALU_DEP_2) | instskip(SKIP_1) | instid1(VALU_DEP_3)
	v_mov_b32_dpp v6, v4 row_shr:1 row_mask:0xf bank_mask:0xf
	v_and_b32_e32 v7, 16, v123
	v_cmp_eq_u32_e64 s0, 0, v5
	v_cmp_lt_u32_e64 s1, 1, v5
	v_cmp_lt_u32_e64 s8, 3, v5
	;; [unrolled: 1-line block ×3, first 2 shown]
	v_cmp_eq_u32_e64 s10, 0, v7
	s_wait_alu 0xf1ff
	v_cndmask_b32_e64 v6, v6, 0, s0
	s_delay_alu instid0(VALU_DEP_1) | instskip(NEXT) | instid1(VALU_DEP_1)
	v_add_nc_u32_e32 v4, v6, v4
	v_mov_b32_dpp v6, v4 row_shr:2 row_mask:0xf bank_mask:0xf
	s_delay_alu instid0(VALU_DEP_1) | instskip(NEXT) | instid1(VALU_DEP_1)
	v_cndmask_b32_e64 v6, 0, v6, s1
	v_add_nc_u32_e32 v4, v4, v6
	s_delay_alu instid0(VALU_DEP_1) | instskip(NEXT) | instid1(VALU_DEP_1)
	v_mov_b32_dpp v6, v4 row_shr:4 row_mask:0xf bank_mask:0xf
	v_cndmask_b32_e64 v6, 0, v6, s8
	s_delay_alu instid0(VALU_DEP_1) | instskip(NEXT) | instid1(VALU_DEP_1)
	v_add_nc_u32_e32 v4, v4, v6
	v_mov_b32_dpp v6, v4 row_shr:8 row_mask:0xf bank_mask:0xf
	s_delay_alu instid0(VALU_DEP_1) | instskip(SKIP_1) | instid1(VALU_DEP_2)
	v_cndmask_b32_e64 v5, 0, v6, s9
	v_bfe_i32 v6, v123, 4, 1
	v_add_nc_u32_e32 v4, v4, v5
	ds_swizzle_b32 v5, v4 offset:swizzle(BROADCAST,32,15)
	s_wait_dscnt 0x0
	v_and_b32_e32 v5, v6, v5
	s_delay_alu instid0(VALU_DEP_1)
	v_add_nc_u32_e32 v5, v4, v5
	s_and_saveexec_b32 s11, s3
; %bb.87:                               ;   in Loop: Header=BB710_12 Depth=1
	ds_store_b32 v97, v5
; %bb.88:                               ;   in Loop: Header=BB710_12 Depth=1
	s_wait_alu 0xfffe
	s_or_b32 exec_lo, exec_lo, s11
	v_and_b32_e32 v4, 7, v123
	s_wait_loadcnt_dscnt 0x0
	s_barrier_signal -1
	s_barrier_wait -1
	global_inv scope:SCOPE_SE
	s_and_saveexec_b32 s11, s4
	s_cbranch_execz .LBB710_90
; %bb.89:                               ;   in Loop: Header=BB710_12 Depth=1
	ds_load_b32 v6, v98
	v_cmp_ne_u32_e32 vcc_lo, 0, v4
	s_wait_dscnt 0x0
	v_mov_b32_dpp v7, v6 row_shr:1 row_mask:0xf bank_mask:0xf
	s_wait_alu 0xfffd
	s_delay_alu instid0(VALU_DEP_1) | instskip(SKIP_1) | instid1(VALU_DEP_2)
	v_cndmask_b32_e32 v7, 0, v7, vcc_lo
	v_cmp_lt_u32_e32 vcc_lo, 1, v4
	v_add_nc_u32_e32 v6, v7, v6
	s_delay_alu instid0(VALU_DEP_1) | instskip(SKIP_1) | instid1(VALU_DEP_1)
	v_mov_b32_dpp v7, v6 row_shr:2 row_mask:0xf bank_mask:0xf
	s_wait_alu 0xfffd
	v_cndmask_b32_e32 v7, 0, v7, vcc_lo
	v_cmp_lt_u32_e32 vcc_lo, 3, v4
	s_delay_alu instid0(VALU_DEP_2) | instskip(NEXT) | instid1(VALU_DEP_1)
	v_add_nc_u32_e32 v6, v6, v7
	v_mov_b32_dpp v7, v6 row_shr:4 row_mask:0xf bank_mask:0xf
	s_wait_alu 0xfffd
	s_delay_alu instid0(VALU_DEP_1) | instskip(NEXT) | instid1(VALU_DEP_1)
	v_cndmask_b32_e32 v7, 0, v7, vcc_lo
	v_add_nc_u32_e32 v6, v6, v7
	ds_store_b32 v98, v6
.LBB710_90:                             ;   in Loop: Header=BB710_12 Depth=1
	s_wait_alu 0xfffe
	s_or_b32 exec_lo, exec_lo, s11
	v_mov_b32_e32 v6, 0
	s_wait_loadcnt_dscnt 0x0
	s_barrier_signal -1
	s_barrier_wait -1
	global_inv scope:SCOPE_SE
	s_and_saveexec_b32 s11, s5
; %bb.91:                               ;   in Loop: Header=BB710_12 Depth=1
	ds_load_b32 v6, v101
; %bb.92:                               ;   in Loop: Header=BB710_12 Depth=1
	s_wait_alu 0xfffe
	s_or_b32 exec_lo, exec_lo, s11
	v_sub_co_u32 v7, s11, v123, 1
	s_wait_dscnt 0x0
	v_add_nc_u32_e32 v5, v6, v5
	s_wait_loadcnt 0x0
	s_barrier_signal -1
	v_cmp_gt_i32_e32 vcc_lo, 0, v7
	s_barrier_wait -1
	global_inv scope:SCOPE_SE
	s_wait_alu 0xfffd
	v_cndmask_b32_e32 v7, v7, v123, vcc_lo
	s_delay_alu instid0(VALU_DEP_1)
	v_lshlrev_b32_e32 v124, 2, v7
	ds_bpermute_b32 v5, v124, v5
	s_and_saveexec_b32 s12, s2
	s_cbranch_execz .LBB710_94
; %bb.93:                               ;   in Loop: Header=BB710_12 Depth=1
	s_wait_dscnt 0x0
	v_cndmask_b32_e64 v5, v5, v6, s11
	s_delay_alu instid0(VALU_DEP_1)
	v_add_nc_u32_e32 v5, s33, v5
	ds_store_b32 v76, v5
.LBB710_94:                             ;   in Loop: Header=BB710_12 Depth=1
	s_wait_alu 0xfffe
	s_or_b32 exec_lo, exec_lo, s12
	s_clause 0x1
	s_load_b32 s12, s[42:43], 0x4
	s_load_b32 s15, s[42:43], 0xc
	v_cmp_lt_u32_e64 s14, 3, v4
	v_lshlrev_b32_e32 v6, 3, v123
	v_or_b32_e32 v125, v123, v99
	s_mov_b32 s56, s53
                                        ; implicit-def: $vgpr8_vgpr9
                                        ; implicit-def: $vgpr10_vgpr11
                                        ; implicit-def: $vgpr12_vgpr13
                                        ; implicit-def: $vgpr14_vgpr15
                                        ; implicit-def: $vgpr16_vgpr17
                                        ; implicit-def: $vgpr18_vgpr19
                                        ; implicit-def: $vgpr20_vgpr21
                                        ; implicit-def: $vgpr22_vgpr23
                                        ; implicit-def: $vgpr24_vgpr25
                                        ; implicit-def: $vgpr26_vgpr27
                                        ; implicit-def: $vgpr28_vgpr29
                                        ; implicit-def: $vgpr30_vgpr31
                                        ; implicit-def: $vgpr32_vgpr33
                                        ; implicit-def: $vgpr34_vgpr35
                                        ; implicit-def: $vgpr146
                                        ; implicit-def: $vgpr147
                                        ; implicit-def: $vgpr148
                                        ; implicit-def: $vgpr149
                                        ; implicit-def: $vgpr150
                                        ; implicit-def: $vgpr151
                                        ; implicit-def: $vgpr152
                                        ; implicit-def: $vgpr153
                                        ; implicit-def: $vgpr154
                                        ; implicit-def: $vgpr155
                                        ; implicit-def: $vgpr156
                                        ; implicit-def: $vgpr157
                                        ; implicit-def: $vgpr158
                                        ; implicit-def: $vgpr159
                                        ; implicit-def: $vgpr160
                                        ; implicit-def: $vgpr161
	s_delay_alu instid0(VALU_DEP_2)
	v_add_co_u32 v126, vcc_lo, v104, v6
	s_wait_alu 0xfffd
	v_add_co_ci_u32_e64 v127, null, 0, v105, vcc_lo
	v_add_co_u32 v143, vcc_lo, v106, v6
	v_or_b32_e32 v128, 32, v125
	v_or_b32_e32 v129, 64, v125
	;; [unrolled: 1-line block ×6, first 2 shown]
	s_wait_kmcnt 0x0
	s_cmp_lt_u32 ttmp7, s12
	v_or_b32_e32 v134, 0xe0, v125
	s_cselect_b32 s34, 14, 20
	s_and_b32 s15, s15, 0xffff
	s_wait_alu 0xfffe
	s_add_nc_u64 s[12:13], s[42:43], s[34:35]
	v_or_b32_e32 v135, 0x100, v125
	s_load_u16 s16, s[12:13], 0x0
	v_cmp_eq_u32_e64 s12, 0, v4
	v_cmp_lt_u32_e64 s13, 1, v4
	v_or_b32_e32 v136, 0x120, v125
	v_or_b32_e32 v137, 0x140, v125
	;; [unrolled: 1-line block ×7, first 2 shown]
	v_add_co_ci_u32_e64 v144, null, 0, v107, vcc_lo
	s_mov_b32 s34, s33
                                        ; implicit-def: $vgpr6_vgpr7
	s_wait_kmcnt 0x0
	v_mad_u32_u24 v4, v102, s16, v0
	s_wait_dscnt 0x0
	s_delay_alu instid0(VALU_DEP_1) | instskip(NEXT) | instid1(VALU_DEP_1)
	v_mad_co_u64_u32 v[4:5], null, v4, s15, v[1:2]
	v_lshrrev_b32_e32 v4, 3, v4
	s_delay_alu instid0(VALU_DEP_1)
	v_and_b32_e32 v145, 0x1ffffffc, v4
                                        ; implicit-def: $vgpr4_vgpr5
	s_branch .LBB710_96
.LBB710_95:                             ;   in Loop: Header=BB710_96 Depth=2
	s_wait_alu 0xfffe
	s_or_b32 exec_lo, exec_lo, s15
	s_addk_co_i32 s56, 0xf000
	s_cmp_lt_u32 s57, s51
	s_mov_b32 s34, s57
	s_cbranch_scc0 .LBB710_304
.LBB710_96:                             ;   Parent Loop BB710_12 Depth=1
                                        ; =>  This Inner Loop Header: Depth=2
	s_wait_alu 0xfffe
	s_add_co_i32 s57, s34, 0x1000
	s_wait_alu 0xfffe
	s_cmp_gt_u32 s57, s51
	s_cbranch_scc1 .LBB710_98
; %bb.97:                               ;   in Loop: Header=BB710_96 Depth=2
	s_lshl_b64 s[16:17], s[34:35], 3
	s_mov_b32 s15, -1
	s_wait_alu 0xfffe
	v_add_co_u32 v36, vcc_lo, v143, s16
	s_wait_alu 0xfffd
	v_add_co_ci_u32_e64 v37, null, s17, v144, vcc_lo
	s_clause 0xe
	global_load_b64 v[38:39], v[36:37], off
	global_load_b64 v[40:41], v[36:37], off offset:256
	global_load_b64 v[42:43], v[36:37], off offset:512
	;; [unrolled: 1-line block ×14, first 2 shown]
	s_movk_i32 s16, 0x1000
	s_cbranch_execz .LBB710_99
	s_branch .LBB710_130
.LBB710_98:                             ;   in Loop: Header=BB710_96 Depth=2
	s_mov_b32 s15, 0
                                        ; implicit-def: $vgpr38_vgpr39
                                        ; implicit-def: $vgpr40_vgpr41
                                        ; implicit-def: $vgpr42_vgpr43
                                        ; implicit-def: $vgpr46_vgpr47
                                        ; implicit-def: $vgpr52_vgpr53
                                        ; implicit-def: $vgpr56_vgpr57
                                        ; implicit-def: $vgpr60_vgpr61
                                        ; implicit-def: $vgpr64_vgpr65
                                        ; implicit-def: $vgpr66_vgpr67
                                        ; implicit-def: $vgpr62_vgpr63
                                        ; implicit-def: $vgpr58_vgpr59
                                        ; implicit-def: $vgpr54_vgpr55
                                        ; implicit-def: $vgpr50_vgpr51
                                        ; implicit-def: $vgpr48_vgpr49
                                        ; implicit-def: $vgpr44_vgpr45
	s_movk_i32 s16, 0x1000
.LBB710_99:                             ;   in Loop: Header=BB710_96 Depth=2
	s_wait_loadcnt 0xd
	v_dual_mov_b32 v40, v2 :: v_dual_mov_b32 v41, v3
	s_lshl_b64 s[16:17], s[34:35], 3
	s_mov_b32 s15, exec_lo
	s_wait_alu 0xfffe
	v_add_co_u32 v36, vcc_lo, v143, s16
	s_wait_alu 0xfffd
	v_add_co_ci_u32_e64 v37, null, s17, v144, vcc_lo
	v_dual_mov_b32 v38, v40 :: v_dual_mov_b32 v39, v41
	v_cmpx_gt_u32_e64 s56, v125
	s_cbranch_execz .LBB710_101
; %bb.100:                              ;   in Loop: Header=BB710_96 Depth=2
	global_load_b64 v[38:39], v[36:37], off
.LBB710_101:                            ;   in Loop: Header=BB710_96 Depth=2
	s_or_b32 exec_lo, exec_lo, s15
	s_delay_alu instid0(SALU_CYCLE_1)
	s_mov_b32 s15, exec_lo
	v_cmpx_gt_u32_e64 s56, v128
	s_cbranch_execz .LBB710_103
; %bb.102:                              ;   in Loop: Header=BB710_96 Depth=2
	global_load_b64 v[40:41], v[36:37], off offset:256
.LBB710_103:                            ;   in Loop: Header=BB710_96 Depth=2
	s_wait_alu 0xfffe
	s_or_b32 exec_lo, exec_lo, s15
	s_wait_loadcnt 0xc
	v_dual_mov_b32 v43, v3 :: v_dual_mov_b32 v42, v2
	s_mov_b32 s15, exec_lo
	v_cmpx_gt_u32_e64 s56, v129
	s_cbranch_execz .LBB710_105
; %bb.104:                              ;   in Loop: Header=BB710_96 Depth=2
	global_load_b64 v[42:43], v[36:37], off offset:512
.LBB710_105:                            ;   in Loop: Header=BB710_96 Depth=2
	s_wait_alu 0xfffe
	s_or_b32 exec_lo, exec_lo, s15
	s_wait_loadcnt 0xb
	v_dual_mov_b32 v47, v3 :: v_dual_mov_b32 v46, v2
	;; [unrolled: 10-line block ×13, first 2 shown]
	s_mov_b32 s15, exec_lo
	v_cmpx_gt_u32_e64 s56, v141
	s_cbranch_execz .LBB710_129
; %bb.128:                              ;   in Loop: Header=BB710_96 Depth=2
	global_load_b64 v[44:45], v[36:37], off offset:3584
.LBB710_129:                            ;   in Loop: Header=BB710_96 Depth=2
	s_wait_alu 0xfffe
	s_or_b32 exec_lo, exec_lo, s15
	v_cmp_gt_u32_e64 s15, s56, v142
	s_sub_co_i32 s16, s51, s34
.LBB710_130:                            ;   in Loop: Header=BB710_96 Depth=2
	v_mov_b32_e32 v36, -1
	v_dual_mov_b32 v37, -1 :: v_dual_mov_b32 v162, s56
	s_and_saveexec_b32 s17, s15
	s_cbranch_execz .LBB710_132
; %bb.131:                              ;   in Loop: Header=BB710_96 Depth=2
	s_lshl_b64 s[18:19], s[34:35], 3
	s_wait_alu 0xfffe
	v_mov_b32_e32 v162, s16
	v_add_co_u32 v36, vcc_lo, v143, s18
	s_wait_alu 0xfffd
	v_add_co_ci_u32_e64 v37, null, s19, v144, vcc_lo
	global_load_b64 v[36:37], v[36:37], off offset:3840
	s_wait_loadcnt 0x0
	v_xor_b32_e32 v37, 0x7fffffff, v37
	v_not_b32_e32 v36, v36
.LBB710_132:                            ;   in Loop: Header=BB710_96 Depth=2
	s_wait_alu 0xfffe
	s_or_b32 exec_lo, exec_lo, s17
	s_wait_loadcnt 0xe
	v_xor_b32_e32 v39, 0x7fffffff, v39
	v_not_b32_e32 v38, v38
	v_add_nc_u32_e32 v165, 0x420, v100
	v_add_nc_u32_e32 v166, 0x428, v100
	;; [unrolled: 1-line block ×3, first 2 shown]
	s_delay_alu instid0(VALU_DEP_4) | instskip(NEXT) | instid1(VALU_DEP_1)
	v_lshrrev_b64 v[68:69], s48, v[38:39]
	v_and_b32_e32 v69, s55, v68
	s_delay_alu instid0(VALU_DEP_1)
	v_and_b32_e32 v68, 1, v69
	v_lshlrev_b32_e32 v70, 30, v69
	v_lshlrev_b32_e32 v71, 29, v69
	;; [unrolled: 1-line block ×4, first 2 shown]
	v_add_co_u32 v68, s15, v68, -1
	s_wait_alu 0xf1ff
	v_cndmask_b32_e64 v73, 0, 1, s15
	v_not_b32_e32 v164, v70
	v_cmp_gt_i32_e64 s15, 0, v70
	v_not_b32_e32 v70, v71
	v_lshlrev_b32_e32 v75, 26, v69
	v_cmp_ne_u32_e32 vcc_lo, 0, v73
	v_ashrrev_i32_e32 v164, 31, v164
	v_lshlrev_b32_e32 v163, 25, v69
	v_ashrrev_i32_e32 v70, 31, v70
	v_lshlrev_b32_e32 v73, 24, v69
	s_wait_alu 0xfffd
	v_xor_b32_e32 v68, vcc_lo, v68
	v_cmp_gt_i32_e32 vcc_lo, 0, v71
	v_not_b32_e32 v71, v72
	s_wait_alu 0xf1ff
	v_xor_b32_e32 v164, s15, v164
	v_cmp_gt_i32_e64 s15, 0, v72
	v_and_b32_e32 v68, exec_lo, v68
	v_not_b32_e32 v72, v74
	v_ashrrev_i32_e32 v71, 31, v71
	s_wait_alu 0xfffd
	v_xor_b32_e32 v70, vcc_lo, v70
	v_cmp_gt_i32_e32 vcc_lo, 0, v74
	v_and_b32_e32 v68, v68, v164
	v_not_b32_e32 v74, v75
	v_ashrrev_i32_e32 v72, 31, v72
	s_wait_alu 0xf1ff
	v_xor_b32_e32 v71, s15, v71
	v_cmp_gt_i32_e64 s15, 0, v75
	v_and_b32_e32 v68, v68, v70
	v_not_b32_e32 v70, v163
	v_ashrrev_i32_e32 v74, 31, v74
	s_wait_alu 0xfffd
	v_xor_b32_e32 v72, vcc_lo, v72
	v_cmp_gt_i32_e32 vcc_lo, 0, v163
	v_and_b32_e32 v68, v68, v71
	v_not_b32_e32 v71, v73
	v_ashrrev_i32_e32 v70, 31, v70
	s_wait_alu 0xf1ff
	v_xor_b32_e32 v74, s15, v74
	v_cmp_gt_i32_e64 s15, 0, v73
	v_and_b32_e32 v68, v68, v72
	v_ashrrev_i32_e32 v71, 31, v71
	s_wait_alu 0xfffd
	v_xor_b32_e32 v70, vcc_lo, v70
	v_mul_u32_u24_e32 v69, 36, v69
	v_add_nc_u32_e32 v164, 0x438, v100
	v_and_b32_e32 v68, v68, v74
	s_wait_alu 0xf1ff
	v_xor_b32_e32 v71, s15, v71
	v_add_nc_u32_e32 v168, v145, v69
	ds_store_2addr_b32 v164, v2, v2 offset1:1
	v_and_b32_e32 v68, v68, v70
	ds_store_2addr_b32 v165, v2, v2 offset1:1
	ds_store_2addr_b32 v166, v2, v2 offset1:1
	;; [unrolled: 1-line block ×3, first 2 shown]
	ds_store_b32 v100, v2 offset:1088
	s_wait_loadcnt_dscnt 0x0
	s_barrier_signal -1
	s_barrier_wait -1
	v_and_b32_e32 v68, v68, v71
	global_inv scope:SCOPE_SE
	; wave barrier
	v_mbcnt_lo_u32_b32 v163, v68, 0
	v_cmp_ne_u32_e64 s15, 0, v68
	s_delay_alu instid0(VALU_DEP_2)
	v_cmp_eq_u32_e32 vcc_lo, 0, v163
	s_and_b32 s16, s15, vcc_lo
	s_wait_alu 0xfffe
	s_and_saveexec_b32 s15, s16
; %bb.133:                              ;   in Loop: Header=BB710_96 Depth=2
	v_bcnt_u32_b32 v68, v68, 0
	ds_store_b32 v168, v68 offset:1056
; %bb.134:                              ;   in Loop: Header=BB710_96 Depth=2
	s_wait_alu 0xfffe
	s_or_b32 exec_lo, exec_lo, s15
	v_xor_b32_e32 v41, 0x7fffffff, v41
	v_not_b32_e32 v40, v40
	; wave barrier
	s_delay_alu instid0(VALU_DEP_1) | instskip(NEXT) | instid1(VALU_DEP_1)
	v_lshrrev_b64 v[68:69], s48, v[40:41]
	v_and_b32_e32 v69, s55, v68
	s_delay_alu instid0(VALU_DEP_1)
	v_and_b32_e32 v68, 1, v69
	v_lshlrev_b32_e32 v70, 30, v69
	v_lshlrev_b32_e32 v71, 29, v69
	;; [unrolled: 1-line block ×4, first 2 shown]
	v_add_co_u32 v68, s15, v68, -1
	s_wait_alu 0xf1ff
	v_cndmask_b32_e64 v73, 0, 1, s15
	v_not_b32_e32 v170, v70
	v_cmp_gt_i32_e64 s15, 0, v70
	v_not_b32_e32 v70, v71
	v_lshlrev_b32_e32 v75, 26, v69
	v_cmp_ne_u32_e32 vcc_lo, 0, v73
	v_ashrrev_i32_e32 v170, 31, v170
	v_lshlrev_b32_e32 v169, 25, v69
	v_ashrrev_i32_e32 v70, 31, v70
	v_lshlrev_b32_e32 v73, 24, v69
	s_wait_alu 0xfffd
	v_xor_b32_e32 v68, vcc_lo, v68
	v_cmp_gt_i32_e32 vcc_lo, 0, v71
	v_not_b32_e32 v71, v72
	s_wait_alu 0xf1ff
	v_xor_b32_e32 v170, s15, v170
	v_cmp_gt_i32_e64 s15, 0, v72
	v_and_b32_e32 v68, exec_lo, v68
	v_not_b32_e32 v72, v74
	v_ashrrev_i32_e32 v71, 31, v71
	s_wait_alu 0xfffd
	v_xor_b32_e32 v70, vcc_lo, v70
	v_cmp_gt_i32_e32 vcc_lo, 0, v74
	v_and_b32_e32 v68, v68, v170
	v_not_b32_e32 v74, v75
	v_ashrrev_i32_e32 v72, 31, v72
	s_wait_alu 0xf1ff
	v_xor_b32_e32 v71, s15, v71
	v_cmp_gt_i32_e64 s15, 0, v75
	v_and_b32_e32 v68, v68, v70
	v_not_b32_e32 v70, v169
	v_ashrrev_i32_e32 v74, 31, v74
	s_wait_alu 0xfffd
	v_xor_b32_e32 v72, vcc_lo, v72
	v_cmp_gt_i32_e32 vcc_lo, 0, v169
	v_and_b32_e32 v68, v68, v71
	v_not_b32_e32 v71, v73
	v_ashrrev_i32_e32 v70, 31, v70
	s_wait_alu 0xf1ff
	v_xor_b32_e32 v74, s15, v74
	v_cmp_gt_i32_e64 s15, 0, v73
	v_and_b32_e32 v68, v68, v72
	v_ashrrev_i32_e32 v71, 31, v71
	s_wait_alu 0xfffd
	v_xor_b32_e32 v70, vcc_lo, v70
	v_mad_u32_u24 v72, v69, 36, v145
	v_mul_u32_u24_e32 v69, 36, v69
	v_and_b32_e32 v68, v68, v74
	s_wait_alu 0xf1ff
	v_xor_b32_e32 v71, s15, v71
	ds_load_b32 v169, v72 offset:1056
	v_add_nc_u32_e32 v171, v145, v69
	v_and_b32_e32 v68, v68, v70
	; wave barrier
	s_delay_alu instid0(VALU_DEP_1) | instskip(NEXT) | instid1(VALU_DEP_1)
	v_and_b32_e32 v68, v68, v71
	v_mbcnt_lo_u32_b32 v170, v68, 0
	v_cmp_ne_u32_e64 s15, 0, v68
	s_delay_alu instid0(VALU_DEP_2)
	v_cmp_eq_u32_e32 vcc_lo, 0, v170
	s_and_b32 s16, s15, vcc_lo
	s_wait_alu 0xfffe
	s_and_saveexec_b32 s15, s16
	s_cbranch_execz .LBB710_136
; %bb.135:                              ;   in Loop: Header=BB710_96 Depth=2
	s_wait_dscnt 0x0
	v_bcnt_u32_b32 v68, v68, v169
	ds_store_b32 v171, v68 offset:1056
.LBB710_136:                            ;   in Loop: Header=BB710_96 Depth=2
	s_wait_alu 0xfffe
	s_or_b32 exec_lo, exec_lo, s15
	v_xor_b32_e32 v43, 0x7fffffff, v43
	v_not_b32_e32 v42, v42
	; wave barrier
	s_delay_alu instid0(VALU_DEP_1) | instskip(NEXT) | instid1(VALU_DEP_1)
	v_lshrrev_b64 v[68:69], s48, v[42:43]
	v_and_b32_e32 v69, s55, v68
	s_delay_alu instid0(VALU_DEP_1)
	v_and_b32_e32 v68, 1, v69
	v_lshlrev_b32_e32 v70, 30, v69
	v_lshlrev_b32_e32 v71, 29, v69
	;; [unrolled: 1-line block ×4, first 2 shown]
	v_add_co_u32 v68, s15, v68, -1
	s_wait_alu 0xf1ff
	v_cndmask_b32_e64 v73, 0, 1, s15
	v_not_b32_e32 v173, v70
	v_cmp_gt_i32_e64 s15, 0, v70
	v_not_b32_e32 v70, v71
	v_lshlrev_b32_e32 v75, 26, v69
	v_cmp_ne_u32_e32 vcc_lo, 0, v73
	v_ashrrev_i32_e32 v173, 31, v173
	v_lshlrev_b32_e32 v172, 25, v69
	v_ashrrev_i32_e32 v70, 31, v70
	v_lshlrev_b32_e32 v73, 24, v69
	s_wait_alu 0xfffd
	v_xor_b32_e32 v68, vcc_lo, v68
	v_cmp_gt_i32_e32 vcc_lo, 0, v71
	v_not_b32_e32 v71, v72
	s_wait_alu 0xf1ff
	v_xor_b32_e32 v173, s15, v173
	v_cmp_gt_i32_e64 s15, 0, v72
	v_and_b32_e32 v68, exec_lo, v68
	v_not_b32_e32 v72, v74
	v_ashrrev_i32_e32 v71, 31, v71
	s_wait_alu 0xfffd
	v_xor_b32_e32 v70, vcc_lo, v70
	v_cmp_gt_i32_e32 vcc_lo, 0, v74
	v_and_b32_e32 v68, v68, v173
	v_not_b32_e32 v74, v75
	v_ashrrev_i32_e32 v72, 31, v72
	s_wait_alu 0xf1ff
	v_xor_b32_e32 v71, s15, v71
	v_cmp_gt_i32_e64 s15, 0, v75
	v_and_b32_e32 v68, v68, v70
	v_not_b32_e32 v70, v172
	v_ashrrev_i32_e32 v74, 31, v74
	s_wait_alu 0xfffd
	v_xor_b32_e32 v72, vcc_lo, v72
	v_cmp_gt_i32_e32 vcc_lo, 0, v172
	v_and_b32_e32 v68, v68, v71
	v_not_b32_e32 v71, v73
	v_ashrrev_i32_e32 v70, 31, v70
	s_wait_alu 0xf1ff
	v_xor_b32_e32 v74, s15, v74
	v_cmp_gt_i32_e64 s15, 0, v73
	v_and_b32_e32 v68, v68, v72
	v_ashrrev_i32_e32 v71, 31, v71
	s_wait_alu 0xfffd
	v_xor_b32_e32 v70, vcc_lo, v70
	v_mad_u32_u24 v72, v69, 36, v145
	v_mul_u32_u24_e32 v69, 36, v69
	v_and_b32_e32 v68, v68, v74
	s_wait_alu 0xf1ff
	v_xor_b32_e32 v71, s15, v71
	ds_load_b32 v172, v72 offset:1056
	v_add_nc_u32_e32 v174, v145, v69
	v_and_b32_e32 v68, v68, v70
	; wave barrier
	s_delay_alu instid0(VALU_DEP_1) | instskip(NEXT) | instid1(VALU_DEP_1)
	v_and_b32_e32 v68, v68, v71
	v_mbcnt_lo_u32_b32 v173, v68, 0
	v_cmp_ne_u32_e64 s15, 0, v68
	s_delay_alu instid0(VALU_DEP_2)
	v_cmp_eq_u32_e32 vcc_lo, 0, v173
	s_and_b32 s16, s15, vcc_lo
	s_wait_alu 0xfffe
	s_and_saveexec_b32 s15, s16
	s_cbranch_execz .LBB710_138
; %bb.137:                              ;   in Loop: Header=BB710_96 Depth=2
	s_wait_dscnt 0x0
	v_bcnt_u32_b32 v68, v68, v172
	ds_store_b32 v174, v68 offset:1056
.LBB710_138:                            ;   in Loop: Header=BB710_96 Depth=2
	s_wait_alu 0xfffe
	s_or_b32 exec_lo, exec_lo, s15
	v_xor_b32_e32 v47, 0x7fffffff, v47
	v_not_b32_e32 v46, v46
	; wave barrier
	s_delay_alu instid0(VALU_DEP_1) | instskip(NEXT) | instid1(VALU_DEP_1)
	v_lshrrev_b64 v[68:69], s48, v[46:47]
	v_and_b32_e32 v69, s55, v68
	s_delay_alu instid0(VALU_DEP_1)
	v_and_b32_e32 v68, 1, v69
	v_lshlrev_b32_e32 v70, 30, v69
	v_lshlrev_b32_e32 v71, 29, v69
	;; [unrolled: 1-line block ×4, first 2 shown]
	v_add_co_u32 v68, s15, v68, -1
	s_wait_alu 0xf1ff
	v_cndmask_b32_e64 v73, 0, 1, s15
	v_not_b32_e32 v176, v70
	v_cmp_gt_i32_e64 s15, 0, v70
	v_not_b32_e32 v70, v71
	v_lshlrev_b32_e32 v75, 26, v69
	v_cmp_ne_u32_e32 vcc_lo, 0, v73
	v_ashrrev_i32_e32 v176, 31, v176
	v_lshlrev_b32_e32 v175, 25, v69
	v_ashrrev_i32_e32 v70, 31, v70
	v_lshlrev_b32_e32 v73, 24, v69
	s_wait_alu 0xfffd
	v_xor_b32_e32 v68, vcc_lo, v68
	v_cmp_gt_i32_e32 vcc_lo, 0, v71
	v_not_b32_e32 v71, v72
	s_wait_alu 0xf1ff
	v_xor_b32_e32 v176, s15, v176
	v_cmp_gt_i32_e64 s15, 0, v72
	v_and_b32_e32 v68, exec_lo, v68
	v_not_b32_e32 v72, v74
	v_ashrrev_i32_e32 v71, 31, v71
	s_wait_alu 0xfffd
	v_xor_b32_e32 v70, vcc_lo, v70
	v_cmp_gt_i32_e32 vcc_lo, 0, v74
	v_and_b32_e32 v68, v68, v176
	v_not_b32_e32 v74, v75
	v_ashrrev_i32_e32 v72, 31, v72
	s_wait_alu 0xf1ff
	v_xor_b32_e32 v71, s15, v71
	v_cmp_gt_i32_e64 s15, 0, v75
	v_and_b32_e32 v68, v68, v70
	v_not_b32_e32 v70, v175
	v_ashrrev_i32_e32 v74, 31, v74
	s_wait_alu 0xfffd
	v_xor_b32_e32 v72, vcc_lo, v72
	v_cmp_gt_i32_e32 vcc_lo, 0, v175
	v_and_b32_e32 v68, v68, v71
	v_not_b32_e32 v71, v73
	v_ashrrev_i32_e32 v70, 31, v70
	s_wait_alu 0xf1ff
	v_xor_b32_e32 v74, s15, v74
	v_cmp_gt_i32_e64 s15, 0, v73
	v_and_b32_e32 v68, v68, v72
	v_ashrrev_i32_e32 v71, 31, v71
	s_wait_alu 0xfffd
	v_xor_b32_e32 v70, vcc_lo, v70
	v_mad_u32_u24 v72, v69, 36, v145
	v_mul_u32_u24_e32 v69, 36, v69
	v_and_b32_e32 v68, v68, v74
	s_wait_alu 0xf1ff
	v_xor_b32_e32 v71, s15, v71
	ds_load_b32 v175, v72 offset:1056
	v_add_nc_u32_e32 v177, v145, v69
	v_and_b32_e32 v68, v68, v70
	; wave barrier
	s_delay_alu instid0(VALU_DEP_1) | instskip(NEXT) | instid1(VALU_DEP_1)
	v_and_b32_e32 v68, v68, v71
	v_mbcnt_lo_u32_b32 v176, v68, 0
	v_cmp_ne_u32_e64 s15, 0, v68
	s_delay_alu instid0(VALU_DEP_2)
	v_cmp_eq_u32_e32 vcc_lo, 0, v176
	s_and_b32 s16, s15, vcc_lo
	s_wait_alu 0xfffe
	s_and_saveexec_b32 s15, s16
	s_cbranch_execz .LBB710_140
; %bb.139:                              ;   in Loop: Header=BB710_96 Depth=2
	s_wait_dscnt 0x0
	v_bcnt_u32_b32 v68, v68, v175
	ds_store_b32 v177, v68 offset:1056
.LBB710_140:                            ;   in Loop: Header=BB710_96 Depth=2
	s_wait_alu 0xfffe
	s_or_b32 exec_lo, exec_lo, s15
	v_xor_b32_e32 v53, 0x7fffffff, v53
	v_not_b32_e32 v52, v52
	; wave barrier
	s_delay_alu instid0(VALU_DEP_1) | instskip(NEXT) | instid1(VALU_DEP_1)
	v_lshrrev_b64 v[68:69], s48, v[52:53]
	v_and_b32_e32 v69, s55, v68
	s_delay_alu instid0(VALU_DEP_1)
	v_and_b32_e32 v68, 1, v69
	v_lshlrev_b32_e32 v70, 30, v69
	v_lshlrev_b32_e32 v71, 29, v69
	;; [unrolled: 1-line block ×4, first 2 shown]
	v_add_co_u32 v68, s15, v68, -1
	s_wait_alu 0xf1ff
	v_cndmask_b32_e64 v73, 0, 1, s15
	v_not_b32_e32 v179, v70
	v_cmp_gt_i32_e64 s15, 0, v70
	v_not_b32_e32 v70, v71
	v_lshlrev_b32_e32 v75, 26, v69
	v_cmp_ne_u32_e32 vcc_lo, 0, v73
	v_ashrrev_i32_e32 v179, 31, v179
	v_lshlrev_b32_e32 v178, 25, v69
	v_ashrrev_i32_e32 v70, 31, v70
	v_lshlrev_b32_e32 v73, 24, v69
	s_wait_alu 0xfffd
	v_xor_b32_e32 v68, vcc_lo, v68
	v_cmp_gt_i32_e32 vcc_lo, 0, v71
	v_not_b32_e32 v71, v72
	s_wait_alu 0xf1ff
	v_xor_b32_e32 v179, s15, v179
	v_cmp_gt_i32_e64 s15, 0, v72
	v_and_b32_e32 v68, exec_lo, v68
	v_not_b32_e32 v72, v74
	v_ashrrev_i32_e32 v71, 31, v71
	s_wait_alu 0xfffd
	v_xor_b32_e32 v70, vcc_lo, v70
	v_cmp_gt_i32_e32 vcc_lo, 0, v74
	v_and_b32_e32 v68, v68, v179
	v_not_b32_e32 v74, v75
	v_ashrrev_i32_e32 v72, 31, v72
	s_wait_alu 0xf1ff
	v_xor_b32_e32 v71, s15, v71
	v_cmp_gt_i32_e64 s15, 0, v75
	v_and_b32_e32 v68, v68, v70
	v_not_b32_e32 v70, v178
	v_ashrrev_i32_e32 v74, 31, v74
	s_wait_alu 0xfffd
	v_xor_b32_e32 v72, vcc_lo, v72
	v_cmp_gt_i32_e32 vcc_lo, 0, v178
	v_and_b32_e32 v68, v68, v71
	v_not_b32_e32 v71, v73
	v_ashrrev_i32_e32 v70, 31, v70
	s_wait_alu 0xf1ff
	v_xor_b32_e32 v74, s15, v74
	v_cmp_gt_i32_e64 s15, 0, v73
	v_and_b32_e32 v68, v68, v72
	v_ashrrev_i32_e32 v71, 31, v71
	s_wait_alu 0xfffd
	v_xor_b32_e32 v70, vcc_lo, v70
	v_mad_u32_u24 v72, v69, 36, v145
	v_mul_u32_u24_e32 v69, 36, v69
	v_and_b32_e32 v68, v68, v74
	s_wait_alu 0xf1ff
	v_xor_b32_e32 v71, s15, v71
	ds_load_b32 v178, v72 offset:1056
	v_add_nc_u32_e32 v180, v145, v69
	v_and_b32_e32 v68, v68, v70
	; wave barrier
	s_delay_alu instid0(VALU_DEP_1) | instskip(NEXT) | instid1(VALU_DEP_1)
	v_and_b32_e32 v68, v68, v71
	v_mbcnt_lo_u32_b32 v179, v68, 0
	v_cmp_ne_u32_e64 s15, 0, v68
	s_delay_alu instid0(VALU_DEP_2)
	v_cmp_eq_u32_e32 vcc_lo, 0, v179
	s_and_b32 s16, s15, vcc_lo
	s_wait_alu 0xfffe
	s_and_saveexec_b32 s15, s16
	s_cbranch_execz .LBB710_142
; %bb.141:                              ;   in Loop: Header=BB710_96 Depth=2
	s_wait_dscnt 0x0
	v_bcnt_u32_b32 v68, v68, v178
	ds_store_b32 v180, v68 offset:1056
.LBB710_142:                            ;   in Loop: Header=BB710_96 Depth=2
	s_wait_alu 0xfffe
	s_or_b32 exec_lo, exec_lo, s15
	v_xor_b32_e32 v57, 0x7fffffff, v57
	v_not_b32_e32 v56, v56
	; wave barrier
	s_delay_alu instid0(VALU_DEP_1) | instskip(NEXT) | instid1(VALU_DEP_1)
	v_lshrrev_b64 v[68:69], s48, v[56:57]
	v_and_b32_e32 v69, s55, v68
	s_delay_alu instid0(VALU_DEP_1)
	v_and_b32_e32 v68, 1, v69
	v_lshlrev_b32_e32 v70, 30, v69
	v_lshlrev_b32_e32 v71, 29, v69
	;; [unrolled: 1-line block ×4, first 2 shown]
	v_add_co_u32 v68, s15, v68, -1
	s_wait_alu 0xf1ff
	v_cndmask_b32_e64 v73, 0, 1, s15
	v_not_b32_e32 v182, v70
	v_cmp_gt_i32_e64 s15, 0, v70
	v_not_b32_e32 v70, v71
	v_lshlrev_b32_e32 v75, 26, v69
	v_cmp_ne_u32_e32 vcc_lo, 0, v73
	v_ashrrev_i32_e32 v182, 31, v182
	v_lshlrev_b32_e32 v181, 25, v69
	v_ashrrev_i32_e32 v70, 31, v70
	v_lshlrev_b32_e32 v73, 24, v69
	s_wait_alu 0xfffd
	v_xor_b32_e32 v68, vcc_lo, v68
	v_cmp_gt_i32_e32 vcc_lo, 0, v71
	v_not_b32_e32 v71, v72
	s_wait_alu 0xf1ff
	v_xor_b32_e32 v182, s15, v182
	v_cmp_gt_i32_e64 s15, 0, v72
	v_and_b32_e32 v68, exec_lo, v68
	v_not_b32_e32 v72, v74
	v_ashrrev_i32_e32 v71, 31, v71
	s_wait_alu 0xfffd
	v_xor_b32_e32 v70, vcc_lo, v70
	v_cmp_gt_i32_e32 vcc_lo, 0, v74
	v_and_b32_e32 v68, v68, v182
	v_not_b32_e32 v74, v75
	v_ashrrev_i32_e32 v72, 31, v72
	s_wait_alu 0xf1ff
	v_xor_b32_e32 v71, s15, v71
	v_cmp_gt_i32_e64 s15, 0, v75
	v_and_b32_e32 v68, v68, v70
	v_not_b32_e32 v70, v181
	v_ashrrev_i32_e32 v74, 31, v74
	s_wait_alu 0xfffd
	v_xor_b32_e32 v72, vcc_lo, v72
	v_cmp_gt_i32_e32 vcc_lo, 0, v181
	v_and_b32_e32 v68, v68, v71
	v_not_b32_e32 v71, v73
	v_ashrrev_i32_e32 v70, 31, v70
	s_wait_alu 0xf1ff
	v_xor_b32_e32 v74, s15, v74
	v_cmp_gt_i32_e64 s15, 0, v73
	v_and_b32_e32 v68, v68, v72
	v_ashrrev_i32_e32 v71, 31, v71
	s_wait_alu 0xfffd
	v_xor_b32_e32 v70, vcc_lo, v70
	v_mad_u32_u24 v72, v69, 36, v145
	v_mul_u32_u24_e32 v69, 36, v69
	v_and_b32_e32 v68, v68, v74
	s_wait_alu 0xf1ff
	v_xor_b32_e32 v71, s15, v71
	ds_load_b32 v181, v72 offset:1056
	v_add_nc_u32_e32 v183, v145, v69
	v_and_b32_e32 v68, v68, v70
	; wave barrier
	s_delay_alu instid0(VALU_DEP_1) | instskip(NEXT) | instid1(VALU_DEP_1)
	v_and_b32_e32 v68, v68, v71
	v_mbcnt_lo_u32_b32 v182, v68, 0
	v_cmp_ne_u32_e64 s15, 0, v68
	s_delay_alu instid0(VALU_DEP_2)
	v_cmp_eq_u32_e32 vcc_lo, 0, v182
	s_and_b32 s16, s15, vcc_lo
	s_wait_alu 0xfffe
	s_and_saveexec_b32 s15, s16
	s_cbranch_execz .LBB710_144
; %bb.143:                              ;   in Loop: Header=BB710_96 Depth=2
	s_wait_dscnt 0x0
	v_bcnt_u32_b32 v68, v68, v181
	ds_store_b32 v183, v68 offset:1056
.LBB710_144:                            ;   in Loop: Header=BB710_96 Depth=2
	s_wait_alu 0xfffe
	s_or_b32 exec_lo, exec_lo, s15
	v_xor_b32_e32 v61, 0x7fffffff, v61
	v_not_b32_e32 v60, v60
	; wave barrier
	s_delay_alu instid0(VALU_DEP_1) | instskip(NEXT) | instid1(VALU_DEP_1)
	v_lshrrev_b64 v[68:69], s48, v[60:61]
	v_and_b32_e32 v69, s55, v68
	s_delay_alu instid0(VALU_DEP_1)
	v_and_b32_e32 v68, 1, v69
	v_lshlrev_b32_e32 v70, 30, v69
	v_lshlrev_b32_e32 v71, 29, v69
	;; [unrolled: 1-line block ×4, first 2 shown]
	v_add_co_u32 v68, s15, v68, -1
	s_wait_alu 0xf1ff
	v_cndmask_b32_e64 v73, 0, 1, s15
	v_not_b32_e32 v185, v70
	v_cmp_gt_i32_e64 s15, 0, v70
	v_not_b32_e32 v70, v71
	v_lshlrev_b32_e32 v75, 26, v69
	v_cmp_ne_u32_e32 vcc_lo, 0, v73
	v_ashrrev_i32_e32 v185, 31, v185
	v_lshlrev_b32_e32 v184, 25, v69
	v_ashrrev_i32_e32 v70, 31, v70
	v_lshlrev_b32_e32 v73, 24, v69
	s_wait_alu 0xfffd
	v_xor_b32_e32 v68, vcc_lo, v68
	v_cmp_gt_i32_e32 vcc_lo, 0, v71
	v_not_b32_e32 v71, v72
	s_wait_alu 0xf1ff
	v_xor_b32_e32 v185, s15, v185
	v_cmp_gt_i32_e64 s15, 0, v72
	v_and_b32_e32 v68, exec_lo, v68
	v_not_b32_e32 v72, v74
	v_ashrrev_i32_e32 v71, 31, v71
	s_wait_alu 0xfffd
	v_xor_b32_e32 v70, vcc_lo, v70
	v_cmp_gt_i32_e32 vcc_lo, 0, v74
	v_and_b32_e32 v68, v68, v185
	v_not_b32_e32 v74, v75
	v_ashrrev_i32_e32 v72, 31, v72
	s_wait_alu 0xf1ff
	v_xor_b32_e32 v71, s15, v71
	v_cmp_gt_i32_e64 s15, 0, v75
	v_and_b32_e32 v68, v68, v70
	v_not_b32_e32 v70, v184
	v_ashrrev_i32_e32 v74, 31, v74
	s_wait_alu 0xfffd
	v_xor_b32_e32 v72, vcc_lo, v72
	v_cmp_gt_i32_e32 vcc_lo, 0, v184
	v_and_b32_e32 v68, v68, v71
	v_not_b32_e32 v71, v73
	v_ashrrev_i32_e32 v70, 31, v70
	s_wait_alu 0xf1ff
	v_xor_b32_e32 v74, s15, v74
	v_cmp_gt_i32_e64 s15, 0, v73
	v_and_b32_e32 v68, v68, v72
	v_ashrrev_i32_e32 v71, 31, v71
	s_wait_alu 0xfffd
	v_xor_b32_e32 v70, vcc_lo, v70
	v_mad_u32_u24 v72, v69, 36, v145
	v_mul_u32_u24_e32 v69, 36, v69
	v_and_b32_e32 v68, v68, v74
	s_wait_alu 0xf1ff
	v_xor_b32_e32 v71, s15, v71
	ds_load_b32 v184, v72 offset:1056
	v_add_nc_u32_e32 v186, v145, v69
	v_and_b32_e32 v68, v68, v70
	; wave barrier
	s_delay_alu instid0(VALU_DEP_1) | instskip(NEXT) | instid1(VALU_DEP_1)
	v_and_b32_e32 v68, v68, v71
	v_mbcnt_lo_u32_b32 v185, v68, 0
	v_cmp_ne_u32_e64 s15, 0, v68
	s_delay_alu instid0(VALU_DEP_2)
	v_cmp_eq_u32_e32 vcc_lo, 0, v185
	s_and_b32 s16, s15, vcc_lo
	s_wait_alu 0xfffe
	s_and_saveexec_b32 s15, s16
	s_cbranch_execz .LBB710_146
; %bb.145:                              ;   in Loop: Header=BB710_96 Depth=2
	s_wait_dscnt 0x0
	v_bcnt_u32_b32 v68, v68, v184
	ds_store_b32 v186, v68 offset:1056
.LBB710_146:                            ;   in Loop: Header=BB710_96 Depth=2
	s_wait_alu 0xfffe
	s_or_b32 exec_lo, exec_lo, s15
	v_xor_b32_e32 v65, 0x7fffffff, v65
	v_not_b32_e32 v64, v64
	; wave barrier
	s_delay_alu instid0(VALU_DEP_1) | instskip(NEXT) | instid1(VALU_DEP_1)
	v_lshrrev_b64 v[68:69], s48, v[64:65]
	v_and_b32_e32 v69, s55, v68
	s_delay_alu instid0(VALU_DEP_1)
	v_and_b32_e32 v68, 1, v69
	v_lshlrev_b32_e32 v70, 30, v69
	v_lshlrev_b32_e32 v71, 29, v69
	;; [unrolled: 1-line block ×4, first 2 shown]
	v_add_co_u32 v68, s15, v68, -1
	s_wait_alu 0xf1ff
	v_cndmask_b32_e64 v73, 0, 1, s15
	v_not_b32_e32 v188, v70
	v_cmp_gt_i32_e64 s15, 0, v70
	v_not_b32_e32 v70, v71
	v_lshlrev_b32_e32 v75, 26, v69
	v_cmp_ne_u32_e32 vcc_lo, 0, v73
	v_ashrrev_i32_e32 v188, 31, v188
	v_lshlrev_b32_e32 v187, 25, v69
	v_ashrrev_i32_e32 v70, 31, v70
	v_lshlrev_b32_e32 v73, 24, v69
	s_wait_alu 0xfffd
	v_xor_b32_e32 v68, vcc_lo, v68
	v_cmp_gt_i32_e32 vcc_lo, 0, v71
	v_not_b32_e32 v71, v72
	s_wait_alu 0xf1ff
	v_xor_b32_e32 v188, s15, v188
	v_cmp_gt_i32_e64 s15, 0, v72
	v_and_b32_e32 v68, exec_lo, v68
	v_not_b32_e32 v72, v74
	v_ashrrev_i32_e32 v71, 31, v71
	s_wait_alu 0xfffd
	v_xor_b32_e32 v70, vcc_lo, v70
	v_cmp_gt_i32_e32 vcc_lo, 0, v74
	v_and_b32_e32 v68, v68, v188
	v_not_b32_e32 v74, v75
	v_ashrrev_i32_e32 v72, 31, v72
	s_wait_alu 0xf1ff
	v_xor_b32_e32 v71, s15, v71
	v_cmp_gt_i32_e64 s15, 0, v75
	v_and_b32_e32 v68, v68, v70
	v_not_b32_e32 v70, v187
	v_ashrrev_i32_e32 v74, 31, v74
	s_wait_alu 0xfffd
	v_xor_b32_e32 v72, vcc_lo, v72
	v_cmp_gt_i32_e32 vcc_lo, 0, v187
	v_and_b32_e32 v68, v68, v71
	v_not_b32_e32 v71, v73
	v_ashrrev_i32_e32 v70, 31, v70
	s_wait_alu 0xf1ff
	v_xor_b32_e32 v74, s15, v74
	v_cmp_gt_i32_e64 s15, 0, v73
	v_and_b32_e32 v68, v68, v72
	v_ashrrev_i32_e32 v71, 31, v71
	s_wait_alu 0xfffd
	v_xor_b32_e32 v70, vcc_lo, v70
	v_mad_u32_u24 v72, v69, 36, v145
	v_mul_u32_u24_e32 v69, 36, v69
	v_and_b32_e32 v68, v68, v74
	s_wait_alu 0xf1ff
	v_xor_b32_e32 v71, s15, v71
	ds_load_b32 v187, v72 offset:1056
	v_add_nc_u32_e32 v189, v145, v69
	v_and_b32_e32 v68, v68, v70
	; wave barrier
	s_delay_alu instid0(VALU_DEP_1) | instskip(NEXT) | instid1(VALU_DEP_1)
	v_and_b32_e32 v68, v68, v71
	v_mbcnt_lo_u32_b32 v188, v68, 0
	v_cmp_ne_u32_e64 s15, 0, v68
	s_delay_alu instid0(VALU_DEP_2)
	v_cmp_eq_u32_e32 vcc_lo, 0, v188
	s_and_b32 s16, s15, vcc_lo
	s_wait_alu 0xfffe
	s_and_saveexec_b32 s15, s16
	s_cbranch_execz .LBB710_148
; %bb.147:                              ;   in Loop: Header=BB710_96 Depth=2
	s_wait_dscnt 0x0
	v_bcnt_u32_b32 v68, v68, v187
	ds_store_b32 v189, v68 offset:1056
.LBB710_148:                            ;   in Loop: Header=BB710_96 Depth=2
	s_wait_alu 0xfffe
	s_or_b32 exec_lo, exec_lo, s15
	v_xor_b32_e32 v67, 0x7fffffff, v67
	v_not_b32_e32 v66, v66
	; wave barrier
	s_delay_alu instid0(VALU_DEP_1) | instskip(NEXT) | instid1(VALU_DEP_1)
	v_lshrrev_b64 v[68:69], s48, v[66:67]
	v_and_b32_e32 v69, s55, v68
	s_delay_alu instid0(VALU_DEP_1)
	v_and_b32_e32 v68, 1, v69
	v_lshlrev_b32_e32 v70, 30, v69
	v_lshlrev_b32_e32 v71, 29, v69
	;; [unrolled: 1-line block ×4, first 2 shown]
	v_add_co_u32 v68, s15, v68, -1
	s_wait_alu 0xf1ff
	v_cndmask_b32_e64 v73, 0, 1, s15
	v_not_b32_e32 v191, v70
	v_cmp_gt_i32_e64 s15, 0, v70
	v_not_b32_e32 v70, v71
	v_lshlrev_b32_e32 v75, 26, v69
	v_cmp_ne_u32_e32 vcc_lo, 0, v73
	v_ashrrev_i32_e32 v191, 31, v191
	v_lshlrev_b32_e32 v190, 25, v69
	v_ashrrev_i32_e32 v70, 31, v70
	v_lshlrev_b32_e32 v73, 24, v69
	s_wait_alu 0xfffd
	v_xor_b32_e32 v68, vcc_lo, v68
	v_cmp_gt_i32_e32 vcc_lo, 0, v71
	v_not_b32_e32 v71, v72
	s_wait_alu 0xf1ff
	v_xor_b32_e32 v191, s15, v191
	v_cmp_gt_i32_e64 s15, 0, v72
	v_and_b32_e32 v68, exec_lo, v68
	v_not_b32_e32 v72, v74
	v_ashrrev_i32_e32 v71, 31, v71
	s_wait_alu 0xfffd
	v_xor_b32_e32 v70, vcc_lo, v70
	v_cmp_gt_i32_e32 vcc_lo, 0, v74
	v_and_b32_e32 v68, v68, v191
	v_not_b32_e32 v74, v75
	v_ashrrev_i32_e32 v72, 31, v72
	s_wait_alu 0xf1ff
	v_xor_b32_e32 v71, s15, v71
	v_cmp_gt_i32_e64 s15, 0, v75
	v_and_b32_e32 v68, v68, v70
	v_not_b32_e32 v70, v190
	v_ashrrev_i32_e32 v74, 31, v74
	s_wait_alu 0xfffd
	v_xor_b32_e32 v72, vcc_lo, v72
	v_cmp_gt_i32_e32 vcc_lo, 0, v190
	v_and_b32_e32 v68, v68, v71
	v_not_b32_e32 v71, v73
	v_ashrrev_i32_e32 v70, 31, v70
	s_wait_alu 0xf1ff
	v_xor_b32_e32 v74, s15, v74
	v_cmp_gt_i32_e64 s15, 0, v73
	v_and_b32_e32 v68, v68, v72
	v_ashrrev_i32_e32 v71, 31, v71
	s_wait_alu 0xfffd
	v_xor_b32_e32 v70, vcc_lo, v70
	v_mad_u32_u24 v72, v69, 36, v145
	v_mul_u32_u24_e32 v69, 36, v69
	v_and_b32_e32 v68, v68, v74
	s_wait_alu 0xf1ff
	v_xor_b32_e32 v71, s15, v71
	ds_load_b32 v190, v72 offset:1056
	v_add_nc_u32_e32 v192, v145, v69
	v_and_b32_e32 v68, v68, v70
	; wave barrier
	s_delay_alu instid0(VALU_DEP_1) | instskip(NEXT) | instid1(VALU_DEP_1)
	v_and_b32_e32 v68, v68, v71
	v_mbcnt_lo_u32_b32 v191, v68, 0
	v_cmp_ne_u32_e64 s15, 0, v68
	s_delay_alu instid0(VALU_DEP_2)
	v_cmp_eq_u32_e32 vcc_lo, 0, v191
	s_and_b32 s16, s15, vcc_lo
	s_wait_alu 0xfffe
	s_and_saveexec_b32 s15, s16
	s_cbranch_execz .LBB710_150
; %bb.149:                              ;   in Loop: Header=BB710_96 Depth=2
	s_wait_dscnt 0x0
	v_bcnt_u32_b32 v68, v68, v190
	ds_store_b32 v192, v68 offset:1056
.LBB710_150:                            ;   in Loop: Header=BB710_96 Depth=2
	s_wait_alu 0xfffe
	s_or_b32 exec_lo, exec_lo, s15
	v_xor_b32_e32 v63, 0x7fffffff, v63
	v_not_b32_e32 v62, v62
	; wave barrier
	s_delay_alu instid0(VALU_DEP_1) | instskip(NEXT) | instid1(VALU_DEP_1)
	v_lshrrev_b64 v[68:69], s48, v[62:63]
	v_and_b32_e32 v69, s55, v68
	s_delay_alu instid0(VALU_DEP_1)
	v_and_b32_e32 v68, 1, v69
	v_lshlrev_b32_e32 v70, 30, v69
	v_lshlrev_b32_e32 v71, 29, v69
	v_lshlrev_b32_e32 v72, 28, v69
	v_lshlrev_b32_e32 v74, 27, v69
	v_add_co_u32 v68, s15, v68, -1
	s_wait_alu 0xf1ff
	v_cndmask_b32_e64 v73, 0, 1, s15
	v_not_b32_e32 v194, v70
	v_cmp_gt_i32_e64 s15, 0, v70
	v_not_b32_e32 v70, v71
	v_lshlrev_b32_e32 v75, 26, v69
	v_cmp_ne_u32_e32 vcc_lo, 0, v73
	v_ashrrev_i32_e32 v194, 31, v194
	v_lshlrev_b32_e32 v193, 25, v69
	v_ashrrev_i32_e32 v70, 31, v70
	v_lshlrev_b32_e32 v73, 24, v69
	s_wait_alu 0xfffd
	v_xor_b32_e32 v68, vcc_lo, v68
	v_cmp_gt_i32_e32 vcc_lo, 0, v71
	v_not_b32_e32 v71, v72
	s_wait_alu 0xf1ff
	v_xor_b32_e32 v194, s15, v194
	v_cmp_gt_i32_e64 s15, 0, v72
	v_and_b32_e32 v68, exec_lo, v68
	v_not_b32_e32 v72, v74
	v_ashrrev_i32_e32 v71, 31, v71
	s_wait_alu 0xfffd
	v_xor_b32_e32 v70, vcc_lo, v70
	v_cmp_gt_i32_e32 vcc_lo, 0, v74
	v_and_b32_e32 v68, v68, v194
	v_not_b32_e32 v74, v75
	v_ashrrev_i32_e32 v72, 31, v72
	s_wait_alu 0xf1ff
	v_xor_b32_e32 v71, s15, v71
	v_cmp_gt_i32_e64 s15, 0, v75
	v_and_b32_e32 v68, v68, v70
	v_not_b32_e32 v70, v193
	v_ashrrev_i32_e32 v74, 31, v74
	s_wait_alu 0xfffd
	v_xor_b32_e32 v72, vcc_lo, v72
	v_cmp_gt_i32_e32 vcc_lo, 0, v193
	v_and_b32_e32 v68, v68, v71
	v_not_b32_e32 v71, v73
	v_ashrrev_i32_e32 v70, 31, v70
	s_wait_alu 0xf1ff
	v_xor_b32_e32 v74, s15, v74
	v_cmp_gt_i32_e64 s15, 0, v73
	v_and_b32_e32 v68, v68, v72
	v_ashrrev_i32_e32 v71, 31, v71
	s_wait_alu 0xfffd
	v_xor_b32_e32 v70, vcc_lo, v70
	v_mad_u32_u24 v72, v69, 36, v145
	v_mul_u32_u24_e32 v69, 36, v69
	v_and_b32_e32 v68, v68, v74
	s_wait_alu 0xf1ff
	v_xor_b32_e32 v71, s15, v71
	ds_load_b32 v193, v72 offset:1056
	v_add_nc_u32_e32 v195, v145, v69
	v_and_b32_e32 v68, v68, v70
	; wave barrier
	s_delay_alu instid0(VALU_DEP_1) | instskip(NEXT) | instid1(VALU_DEP_1)
	v_and_b32_e32 v68, v68, v71
	v_mbcnt_lo_u32_b32 v194, v68, 0
	v_cmp_ne_u32_e64 s15, 0, v68
	s_delay_alu instid0(VALU_DEP_2)
	v_cmp_eq_u32_e32 vcc_lo, 0, v194
	s_and_b32 s16, s15, vcc_lo
	s_wait_alu 0xfffe
	s_and_saveexec_b32 s15, s16
	s_cbranch_execz .LBB710_152
; %bb.151:                              ;   in Loop: Header=BB710_96 Depth=2
	s_wait_dscnt 0x0
	v_bcnt_u32_b32 v68, v68, v193
	ds_store_b32 v195, v68 offset:1056
.LBB710_152:                            ;   in Loop: Header=BB710_96 Depth=2
	s_wait_alu 0xfffe
	s_or_b32 exec_lo, exec_lo, s15
	v_xor_b32_e32 v59, 0x7fffffff, v59
	v_not_b32_e32 v58, v58
	; wave barrier
	s_delay_alu instid0(VALU_DEP_1) | instskip(NEXT) | instid1(VALU_DEP_1)
	v_lshrrev_b64 v[68:69], s48, v[58:59]
	v_and_b32_e32 v69, s55, v68
	s_delay_alu instid0(VALU_DEP_1)
	v_and_b32_e32 v68, 1, v69
	v_lshlrev_b32_e32 v70, 30, v69
	v_lshlrev_b32_e32 v71, 29, v69
	;; [unrolled: 1-line block ×4, first 2 shown]
	v_add_co_u32 v68, s15, v68, -1
	s_wait_alu 0xf1ff
	v_cndmask_b32_e64 v73, 0, 1, s15
	v_not_b32_e32 v197, v70
	v_cmp_gt_i32_e64 s15, 0, v70
	v_not_b32_e32 v70, v71
	v_lshlrev_b32_e32 v75, 26, v69
	v_cmp_ne_u32_e32 vcc_lo, 0, v73
	v_ashrrev_i32_e32 v197, 31, v197
	v_lshlrev_b32_e32 v196, 25, v69
	v_ashrrev_i32_e32 v70, 31, v70
	v_lshlrev_b32_e32 v73, 24, v69
	s_wait_alu 0xfffd
	v_xor_b32_e32 v68, vcc_lo, v68
	v_cmp_gt_i32_e32 vcc_lo, 0, v71
	v_not_b32_e32 v71, v72
	s_wait_alu 0xf1ff
	v_xor_b32_e32 v197, s15, v197
	v_cmp_gt_i32_e64 s15, 0, v72
	v_and_b32_e32 v68, exec_lo, v68
	v_not_b32_e32 v72, v74
	v_ashrrev_i32_e32 v71, 31, v71
	s_wait_alu 0xfffd
	v_xor_b32_e32 v70, vcc_lo, v70
	v_cmp_gt_i32_e32 vcc_lo, 0, v74
	v_and_b32_e32 v68, v68, v197
	v_not_b32_e32 v74, v75
	v_ashrrev_i32_e32 v72, 31, v72
	s_wait_alu 0xf1ff
	v_xor_b32_e32 v71, s15, v71
	v_cmp_gt_i32_e64 s15, 0, v75
	v_and_b32_e32 v68, v68, v70
	v_not_b32_e32 v70, v196
	v_ashrrev_i32_e32 v74, 31, v74
	s_wait_alu 0xfffd
	v_xor_b32_e32 v72, vcc_lo, v72
	v_cmp_gt_i32_e32 vcc_lo, 0, v196
	v_and_b32_e32 v68, v68, v71
	v_not_b32_e32 v71, v73
	v_ashrrev_i32_e32 v70, 31, v70
	s_wait_alu 0xf1ff
	v_xor_b32_e32 v74, s15, v74
	v_cmp_gt_i32_e64 s15, 0, v73
	v_and_b32_e32 v68, v68, v72
	v_ashrrev_i32_e32 v71, 31, v71
	s_wait_alu 0xfffd
	v_xor_b32_e32 v70, vcc_lo, v70
	v_mad_u32_u24 v72, v69, 36, v145
	v_mul_u32_u24_e32 v69, 36, v69
	v_and_b32_e32 v68, v68, v74
	s_wait_alu 0xf1ff
	v_xor_b32_e32 v71, s15, v71
	ds_load_b32 v196, v72 offset:1056
	v_add_nc_u32_e32 v198, v145, v69
	v_and_b32_e32 v68, v68, v70
	; wave barrier
	s_delay_alu instid0(VALU_DEP_1) | instskip(NEXT) | instid1(VALU_DEP_1)
	v_and_b32_e32 v68, v68, v71
	v_mbcnt_lo_u32_b32 v197, v68, 0
	v_cmp_ne_u32_e64 s15, 0, v68
	s_delay_alu instid0(VALU_DEP_2)
	v_cmp_eq_u32_e32 vcc_lo, 0, v197
	s_and_b32 s16, s15, vcc_lo
	s_wait_alu 0xfffe
	s_and_saveexec_b32 s15, s16
	s_cbranch_execz .LBB710_154
; %bb.153:                              ;   in Loop: Header=BB710_96 Depth=2
	s_wait_dscnt 0x0
	v_bcnt_u32_b32 v68, v68, v196
	ds_store_b32 v198, v68 offset:1056
.LBB710_154:                            ;   in Loop: Header=BB710_96 Depth=2
	s_wait_alu 0xfffe
	s_or_b32 exec_lo, exec_lo, s15
	v_xor_b32_e32 v55, 0x7fffffff, v55
	v_not_b32_e32 v54, v54
	; wave barrier
	s_delay_alu instid0(VALU_DEP_1) | instskip(NEXT) | instid1(VALU_DEP_1)
	v_lshrrev_b64 v[68:69], s48, v[54:55]
	v_and_b32_e32 v69, s55, v68
	s_delay_alu instid0(VALU_DEP_1)
	v_and_b32_e32 v68, 1, v69
	v_lshlrev_b32_e32 v70, 30, v69
	v_lshlrev_b32_e32 v71, 29, v69
	;; [unrolled: 1-line block ×4, first 2 shown]
	v_add_co_u32 v68, s15, v68, -1
	s_wait_alu 0xf1ff
	v_cndmask_b32_e64 v73, 0, 1, s15
	v_not_b32_e32 v200, v70
	v_cmp_gt_i32_e64 s15, 0, v70
	v_not_b32_e32 v70, v71
	v_lshlrev_b32_e32 v75, 26, v69
	v_cmp_ne_u32_e32 vcc_lo, 0, v73
	v_ashrrev_i32_e32 v200, 31, v200
	v_lshlrev_b32_e32 v199, 25, v69
	v_ashrrev_i32_e32 v70, 31, v70
	v_lshlrev_b32_e32 v73, 24, v69
	s_wait_alu 0xfffd
	v_xor_b32_e32 v68, vcc_lo, v68
	v_cmp_gt_i32_e32 vcc_lo, 0, v71
	v_not_b32_e32 v71, v72
	s_wait_alu 0xf1ff
	v_xor_b32_e32 v200, s15, v200
	v_cmp_gt_i32_e64 s15, 0, v72
	v_and_b32_e32 v68, exec_lo, v68
	v_not_b32_e32 v72, v74
	v_ashrrev_i32_e32 v71, 31, v71
	s_wait_alu 0xfffd
	v_xor_b32_e32 v70, vcc_lo, v70
	v_cmp_gt_i32_e32 vcc_lo, 0, v74
	v_and_b32_e32 v68, v68, v200
	v_not_b32_e32 v74, v75
	v_ashrrev_i32_e32 v72, 31, v72
	s_wait_alu 0xf1ff
	v_xor_b32_e32 v71, s15, v71
	v_cmp_gt_i32_e64 s15, 0, v75
	v_and_b32_e32 v68, v68, v70
	v_not_b32_e32 v70, v199
	v_ashrrev_i32_e32 v74, 31, v74
	s_wait_alu 0xfffd
	v_xor_b32_e32 v72, vcc_lo, v72
	v_cmp_gt_i32_e32 vcc_lo, 0, v199
	v_and_b32_e32 v68, v68, v71
	v_not_b32_e32 v71, v73
	v_ashrrev_i32_e32 v70, 31, v70
	s_wait_alu 0xf1ff
	v_xor_b32_e32 v74, s15, v74
	v_cmp_gt_i32_e64 s15, 0, v73
	v_and_b32_e32 v68, v68, v72
	v_ashrrev_i32_e32 v71, 31, v71
	s_wait_alu 0xfffd
	v_xor_b32_e32 v70, vcc_lo, v70
	v_mad_u32_u24 v72, v69, 36, v145
	v_mul_u32_u24_e32 v69, 36, v69
	v_and_b32_e32 v68, v68, v74
	s_wait_alu 0xf1ff
	v_xor_b32_e32 v71, s15, v71
	ds_load_b32 v199, v72 offset:1056
	v_add_nc_u32_e32 v201, v145, v69
	v_and_b32_e32 v68, v68, v70
	; wave barrier
	s_delay_alu instid0(VALU_DEP_1) | instskip(NEXT) | instid1(VALU_DEP_1)
	v_and_b32_e32 v68, v68, v71
	v_mbcnt_lo_u32_b32 v200, v68, 0
	v_cmp_ne_u32_e64 s15, 0, v68
	s_delay_alu instid0(VALU_DEP_2)
	v_cmp_eq_u32_e32 vcc_lo, 0, v200
	s_and_b32 s16, s15, vcc_lo
	s_wait_alu 0xfffe
	s_and_saveexec_b32 s15, s16
	s_cbranch_execz .LBB710_156
; %bb.155:                              ;   in Loop: Header=BB710_96 Depth=2
	s_wait_dscnt 0x0
	v_bcnt_u32_b32 v68, v68, v199
	ds_store_b32 v201, v68 offset:1056
.LBB710_156:                            ;   in Loop: Header=BB710_96 Depth=2
	s_wait_alu 0xfffe
	s_or_b32 exec_lo, exec_lo, s15
	v_xor_b32_e32 v51, 0x7fffffff, v51
	v_not_b32_e32 v50, v50
	; wave barrier
	s_delay_alu instid0(VALU_DEP_1) | instskip(NEXT) | instid1(VALU_DEP_1)
	v_lshrrev_b64 v[68:69], s48, v[50:51]
	v_and_b32_e32 v69, s55, v68
	s_delay_alu instid0(VALU_DEP_1)
	v_and_b32_e32 v68, 1, v69
	v_lshlrev_b32_e32 v70, 30, v69
	v_lshlrev_b32_e32 v71, 29, v69
	v_lshlrev_b32_e32 v72, 28, v69
	v_lshlrev_b32_e32 v74, 27, v69
	v_add_co_u32 v68, s15, v68, -1
	s_wait_alu 0xf1ff
	v_cndmask_b32_e64 v73, 0, 1, s15
	v_not_b32_e32 v203, v70
	v_cmp_gt_i32_e64 s15, 0, v70
	v_not_b32_e32 v70, v71
	v_lshlrev_b32_e32 v75, 26, v69
	v_cmp_ne_u32_e32 vcc_lo, 0, v73
	v_ashrrev_i32_e32 v203, 31, v203
	v_lshlrev_b32_e32 v202, 25, v69
	v_ashrrev_i32_e32 v70, 31, v70
	v_lshlrev_b32_e32 v73, 24, v69
	s_wait_alu 0xfffd
	v_xor_b32_e32 v68, vcc_lo, v68
	v_cmp_gt_i32_e32 vcc_lo, 0, v71
	v_not_b32_e32 v71, v72
	s_wait_alu 0xf1ff
	v_xor_b32_e32 v203, s15, v203
	v_cmp_gt_i32_e64 s15, 0, v72
	v_and_b32_e32 v68, exec_lo, v68
	v_not_b32_e32 v72, v74
	v_ashrrev_i32_e32 v71, 31, v71
	s_wait_alu 0xfffd
	v_xor_b32_e32 v70, vcc_lo, v70
	v_cmp_gt_i32_e32 vcc_lo, 0, v74
	v_and_b32_e32 v68, v68, v203
	v_not_b32_e32 v74, v75
	v_ashrrev_i32_e32 v72, 31, v72
	s_wait_alu 0xf1ff
	v_xor_b32_e32 v71, s15, v71
	v_cmp_gt_i32_e64 s15, 0, v75
	v_and_b32_e32 v68, v68, v70
	v_not_b32_e32 v70, v202
	v_ashrrev_i32_e32 v74, 31, v74
	s_wait_alu 0xfffd
	v_xor_b32_e32 v72, vcc_lo, v72
	v_cmp_gt_i32_e32 vcc_lo, 0, v202
	v_and_b32_e32 v68, v68, v71
	v_not_b32_e32 v71, v73
	v_ashrrev_i32_e32 v70, 31, v70
	s_wait_alu 0xf1ff
	v_xor_b32_e32 v74, s15, v74
	v_cmp_gt_i32_e64 s15, 0, v73
	v_and_b32_e32 v68, v68, v72
	v_ashrrev_i32_e32 v71, 31, v71
	s_wait_alu 0xfffd
	v_xor_b32_e32 v70, vcc_lo, v70
	v_mad_u32_u24 v72, v69, 36, v145
	v_mul_u32_u24_e32 v69, 36, v69
	v_and_b32_e32 v68, v68, v74
	s_wait_alu 0xf1ff
	v_xor_b32_e32 v71, s15, v71
	ds_load_b32 v202, v72 offset:1056
	v_add_nc_u32_e32 v205, v145, v69
	v_and_b32_e32 v68, v68, v70
	; wave barrier
	s_delay_alu instid0(VALU_DEP_1) | instskip(NEXT) | instid1(VALU_DEP_1)
	v_and_b32_e32 v68, v68, v71
	v_mbcnt_lo_u32_b32 v203, v68, 0
	v_cmp_ne_u32_e64 s15, 0, v68
	s_delay_alu instid0(VALU_DEP_2)
	v_cmp_eq_u32_e32 vcc_lo, 0, v203
	s_and_b32 s16, s15, vcc_lo
	s_wait_alu 0xfffe
	s_and_saveexec_b32 s15, s16
	s_cbranch_execz .LBB710_158
; %bb.157:                              ;   in Loop: Header=BB710_96 Depth=2
	s_wait_dscnt 0x0
	v_bcnt_u32_b32 v68, v68, v202
	ds_store_b32 v205, v68 offset:1056
.LBB710_158:                            ;   in Loop: Header=BB710_96 Depth=2
	s_wait_alu 0xfffe
	s_or_b32 exec_lo, exec_lo, s15
	v_xor_b32_e32 v49, 0x7fffffff, v49
	v_not_b32_e32 v48, v48
	; wave barrier
	s_delay_alu instid0(VALU_DEP_1) | instskip(NEXT) | instid1(VALU_DEP_1)
	v_lshrrev_b64 v[68:69], s48, v[48:49]
	v_and_b32_e32 v69, s55, v68
	s_delay_alu instid0(VALU_DEP_1)
	v_and_b32_e32 v68, 1, v69
	v_lshlrev_b32_e32 v70, 30, v69
	v_lshlrev_b32_e32 v71, 29, v69
	;; [unrolled: 1-line block ×4, first 2 shown]
	v_add_co_u32 v68, s15, v68, -1
	s_wait_alu 0xf1ff
	v_cndmask_b32_e64 v73, 0, 1, s15
	v_not_b32_e32 v206, v70
	v_cmp_gt_i32_e64 s15, 0, v70
	v_not_b32_e32 v70, v71
	v_lshlrev_b32_e32 v75, 26, v69
	v_cmp_ne_u32_e32 vcc_lo, 0, v73
	v_ashrrev_i32_e32 v206, 31, v206
	v_lshlrev_b32_e32 v204, 25, v69
	v_ashrrev_i32_e32 v70, 31, v70
	v_lshlrev_b32_e32 v73, 24, v69
	s_wait_alu 0xfffd
	v_xor_b32_e32 v68, vcc_lo, v68
	v_cmp_gt_i32_e32 vcc_lo, 0, v71
	v_not_b32_e32 v71, v72
	s_wait_alu 0xf1ff
	v_xor_b32_e32 v206, s15, v206
	v_cmp_gt_i32_e64 s15, 0, v72
	v_and_b32_e32 v68, exec_lo, v68
	v_not_b32_e32 v72, v74
	v_ashrrev_i32_e32 v71, 31, v71
	s_wait_alu 0xfffd
	v_xor_b32_e32 v70, vcc_lo, v70
	v_cmp_gt_i32_e32 vcc_lo, 0, v74
	v_and_b32_e32 v68, v68, v206
	v_not_b32_e32 v74, v75
	v_ashrrev_i32_e32 v72, 31, v72
	s_wait_alu 0xf1ff
	v_xor_b32_e32 v71, s15, v71
	v_cmp_gt_i32_e64 s15, 0, v75
	v_and_b32_e32 v68, v68, v70
	v_not_b32_e32 v70, v204
	v_ashrrev_i32_e32 v74, 31, v74
	s_wait_alu 0xfffd
	v_xor_b32_e32 v72, vcc_lo, v72
	v_cmp_gt_i32_e32 vcc_lo, 0, v204
	v_and_b32_e32 v68, v68, v71
	v_not_b32_e32 v71, v73
	v_ashrrev_i32_e32 v70, 31, v70
	s_wait_alu 0xf1ff
	v_xor_b32_e32 v74, s15, v74
	v_cmp_gt_i32_e64 s15, 0, v73
	v_and_b32_e32 v68, v68, v72
	v_ashrrev_i32_e32 v71, 31, v71
	s_wait_alu 0xfffd
	v_xor_b32_e32 v70, vcc_lo, v70
	v_mad_u32_u24 v72, v69, 36, v145
	v_mul_u32_u24_e32 v69, 36, v69
	v_and_b32_e32 v68, v68, v74
	s_wait_alu 0xf1ff
	v_xor_b32_e32 v71, s15, v71
	ds_load_b32 v204, v72 offset:1056
	v_add_nc_u32_e32 v208, v145, v69
	v_and_b32_e32 v68, v68, v70
	; wave barrier
	s_delay_alu instid0(VALU_DEP_1) | instskip(NEXT) | instid1(VALU_DEP_1)
	v_and_b32_e32 v68, v68, v71
	v_mbcnt_lo_u32_b32 v206, v68, 0
	v_cmp_ne_u32_e64 s15, 0, v68
	s_delay_alu instid0(VALU_DEP_2)
	v_cmp_eq_u32_e32 vcc_lo, 0, v206
	s_and_b32 s16, s15, vcc_lo
	s_wait_alu 0xfffe
	s_and_saveexec_b32 s15, s16
	s_cbranch_execz .LBB710_160
; %bb.159:                              ;   in Loop: Header=BB710_96 Depth=2
	s_wait_dscnt 0x0
	v_bcnt_u32_b32 v68, v68, v204
	ds_store_b32 v208, v68 offset:1056
.LBB710_160:                            ;   in Loop: Header=BB710_96 Depth=2
	s_wait_alu 0xfffe
	s_or_b32 exec_lo, exec_lo, s15
	v_xor_b32_e32 v45, 0x7fffffff, v45
	v_not_b32_e32 v44, v44
	; wave barrier
	s_delay_alu instid0(VALU_DEP_1) | instskip(NEXT) | instid1(VALU_DEP_1)
	v_lshrrev_b64 v[68:69], s48, v[44:45]
	v_and_b32_e32 v69, s55, v68
	s_delay_alu instid0(VALU_DEP_1)
	v_and_b32_e32 v68, 1, v69
	v_lshlrev_b32_e32 v70, 30, v69
	v_lshlrev_b32_e32 v71, 29, v69
	;; [unrolled: 1-line block ×4, first 2 shown]
	v_add_co_u32 v68, s15, v68, -1
	s_wait_alu 0xf1ff
	v_cndmask_b32_e64 v73, 0, 1, s15
	v_not_b32_e32 v209, v70
	v_cmp_gt_i32_e64 s15, 0, v70
	v_not_b32_e32 v70, v71
	v_lshlrev_b32_e32 v75, 26, v69
	v_cmp_ne_u32_e32 vcc_lo, 0, v73
	v_ashrrev_i32_e32 v209, 31, v209
	v_lshlrev_b32_e32 v207, 25, v69
	v_ashrrev_i32_e32 v70, 31, v70
	v_lshlrev_b32_e32 v73, 24, v69
	s_wait_alu 0xfffd
	v_xor_b32_e32 v68, vcc_lo, v68
	v_cmp_gt_i32_e32 vcc_lo, 0, v71
	v_not_b32_e32 v71, v72
	s_wait_alu 0xf1ff
	v_xor_b32_e32 v209, s15, v209
	v_cmp_gt_i32_e64 s15, 0, v72
	v_and_b32_e32 v68, exec_lo, v68
	v_not_b32_e32 v72, v74
	v_ashrrev_i32_e32 v71, 31, v71
	s_wait_alu 0xfffd
	v_xor_b32_e32 v70, vcc_lo, v70
	v_cmp_gt_i32_e32 vcc_lo, 0, v74
	v_and_b32_e32 v68, v68, v209
	v_not_b32_e32 v74, v75
	v_ashrrev_i32_e32 v72, 31, v72
	s_wait_alu 0xf1ff
	v_xor_b32_e32 v71, s15, v71
	v_cmp_gt_i32_e64 s15, 0, v75
	v_and_b32_e32 v68, v68, v70
	v_not_b32_e32 v70, v207
	v_ashrrev_i32_e32 v74, 31, v74
	s_wait_alu 0xfffd
	v_xor_b32_e32 v72, vcc_lo, v72
	v_cmp_gt_i32_e32 vcc_lo, 0, v207
	v_and_b32_e32 v68, v68, v71
	v_not_b32_e32 v71, v73
	v_ashrrev_i32_e32 v70, 31, v70
	s_wait_alu 0xf1ff
	v_xor_b32_e32 v74, s15, v74
	v_cmp_gt_i32_e64 s15, 0, v73
	v_and_b32_e32 v68, v68, v72
	v_ashrrev_i32_e32 v71, 31, v71
	s_wait_alu 0xfffd
	v_xor_b32_e32 v70, vcc_lo, v70
	v_mad_u32_u24 v72, v69, 36, v145
	v_mul_u32_u24_e32 v69, 36, v69
	v_and_b32_e32 v68, v68, v74
	s_wait_alu 0xf1ff
	v_xor_b32_e32 v71, s15, v71
	ds_load_b32 v207, v72 offset:1056
	v_add_nc_u32_e32 v212, v145, v69
	v_and_b32_e32 v68, v68, v70
	; wave barrier
	s_delay_alu instid0(VALU_DEP_1) | instskip(NEXT) | instid1(VALU_DEP_1)
	v_and_b32_e32 v68, v68, v71
	v_mbcnt_lo_u32_b32 v209, v68, 0
	v_cmp_ne_u32_e64 s15, 0, v68
	s_delay_alu instid0(VALU_DEP_2)
	v_cmp_eq_u32_e32 vcc_lo, 0, v209
	s_and_b32 s16, s15, vcc_lo
	s_wait_alu 0xfffe
	s_and_saveexec_b32 s15, s16
	s_cbranch_execz .LBB710_162
; %bb.161:                              ;   in Loop: Header=BB710_96 Depth=2
	s_wait_dscnt 0x0
	v_bcnt_u32_b32 v68, v68, v207
	ds_store_b32 v212, v68 offset:1056
.LBB710_162:                            ;   in Loop: Header=BB710_96 Depth=2
	s_wait_alu 0xfffe
	s_or_b32 exec_lo, exec_lo, s15
	v_lshrrev_b64 v[68:69], s48, v[36:37]
	; wave barrier
	s_delay_alu instid0(VALU_DEP_1) | instskip(NEXT) | instid1(VALU_DEP_1)
	v_and_b32_e32 v69, s55, v68
	v_and_b32_e32 v68, 1, v69
	v_lshlrev_b32_e32 v70, 30, v69
	v_lshlrev_b32_e32 v71, 29, v69
	v_lshlrev_b32_e32 v72, 28, v69
	v_lshlrev_b32_e32 v74, 27, v69
	v_add_co_u32 v68, s15, v68, -1
	s_wait_alu 0xf1ff
	v_cndmask_b32_e64 v73, 0, 1, s15
	v_not_b32_e32 v211, v70
	v_cmp_gt_i32_e64 s15, 0, v70
	v_not_b32_e32 v70, v71
	v_lshlrev_b32_e32 v75, 26, v69
	v_cmp_ne_u32_e32 vcc_lo, 0, v73
	v_ashrrev_i32_e32 v211, 31, v211
	v_lshlrev_b32_e32 v210, 25, v69
	v_ashrrev_i32_e32 v70, 31, v70
	v_lshlrev_b32_e32 v73, 24, v69
	s_wait_alu 0xfffd
	v_xor_b32_e32 v68, vcc_lo, v68
	v_cmp_gt_i32_e32 vcc_lo, 0, v71
	v_not_b32_e32 v71, v72
	s_wait_alu 0xf1ff
	v_xor_b32_e32 v211, s15, v211
	v_cmp_gt_i32_e64 s15, 0, v72
	v_and_b32_e32 v68, exec_lo, v68
	v_not_b32_e32 v72, v74
	v_ashrrev_i32_e32 v71, 31, v71
	s_wait_alu 0xfffd
	v_xor_b32_e32 v70, vcc_lo, v70
	v_cmp_gt_i32_e32 vcc_lo, 0, v74
	v_and_b32_e32 v68, v68, v211
	v_not_b32_e32 v74, v75
	v_ashrrev_i32_e32 v72, 31, v72
	s_wait_alu 0xf1ff
	v_xor_b32_e32 v71, s15, v71
	v_cmp_gt_i32_e64 s15, 0, v75
	v_and_b32_e32 v68, v68, v70
	v_not_b32_e32 v70, v210
	v_ashrrev_i32_e32 v74, 31, v74
	s_wait_alu 0xfffd
	v_xor_b32_e32 v72, vcc_lo, v72
	v_cmp_gt_i32_e32 vcc_lo, 0, v210
	v_and_b32_e32 v68, v68, v71
	v_not_b32_e32 v71, v73
	v_ashrrev_i32_e32 v70, 31, v70
	s_wait_alu 0xf1ff
	v_xor_b32_e32 v74, s15, v74
	v_cmp_gt_i32_e64 s15, 0, v73
	v_and_b32_e32 v68, v68, v72
	v_ashrrev_i32_e32 v71, 31, v71
	s_wait_alu 0xfffd
	v_xor_b32_e32 v70, vcc_lo, v70
	v_mad_u32_u24 v72, v69, 36, v145
	v_mul_u32_u24_e32 v69, 36, v69
	v_and_b32_e32 v68, v68, v74
	s_wait_alu 0xf1ff
	v_xor_b32_e32 v71, s15, v71
	ds_load_b32 v210, v72 offset:1056
	v_add_nc_u32_e32 v213, v145, v69
	v_and_b32_e32 v68, v68, v70
	; wave barrier
	s_delay_alu instid0(VALU_DEP_1) | instskip(NEXT) | instid1(VALU_DEP_1)
	v_and_b32_e32 v68, v68, v71
	v_mbcnt_lo_u32_b32 v211, v68, 0
	v_cmp_ne_u32_e64 s15, 0, v68
	s_delay_alu instid0(VALU_DEP_2)
	v_cmp_eq_u32_e32 vcc_lo, 0, v211
	s_and_b32 s16, s15, vcc_lo
	s_wait_alu 0xfffe
	s_and_saveexec_b32 s15, s16
	s_cbranch_execz .LBB710_164
; %bb.163:                              ;   in Loop: Header=BB710_96 Depth=2
	s_wait_dscnt 0x0
	v_bcnt_u32_b32 v68, v68, v210
	ds_store_b32 v213, v68 offset:1056
.LBB710_164:                            ;   in Loop: Header=BB710_96 Depth=2
	s_wait_alu 0xfffe
	s_or_b32 exec_lo, exec_lo, s15
	; wave barrier
	s_wait_loadcnt_dscnt 0x0
	s_barrier_signal -1
	s_barrier_wait -1
	global_inv scope:SCOPE_SE
	ds_load_2addr_b32 v[74:75], v165 offset1:1
	ds_load_2addr_b32 v[72:73], v166 offset1:1
	ds_load_2addr_b32 v[70:71], v167 offset1:1
	ds_load_2addr_b32 v[68:69], v164 offset1:1
	ds_load_b32 v214, v100 offset:1088
	s_wait_dscnt 0x3
	v_add3_u32 v215, v75, v74, v72
	s_wait_dscnt 0x2
	s_delay_alu instid0(VALU_DEP_1) | instskip(SKIP_1) | instid1(VALU_DEP_1)
	v_add3_u32 v215, v215, v73, v70
	s_wait_dscnt 0x1
	v_add3_u32 v215, v215, v71, v68
	s_wait_dscnt 0x0
	s_delay_alu instid0(VALU_DEP_1) | instskip(NEXT) | instid1(VALU_DEP_1)
	v_add3_u32 v214, v215, v69, v214
	v_mov_b32_dpp v215, v214 row_shr:1 row_mask:0xf bank_mask:0xf
	s_delay_alu instid0(VALU_DEP_1) | instskip(NEXT) | instid1(VALU_DEP_1)
	v_cndmask_b32_e64 v215, v215, 0, s0
	v_add_nc_u32_e32 v214, v215, v214
	s_delay_alu instid0(VALU_DEP_1) | instskip(NEXT) | instid1(VALU_DEP_1)
	v_mov_b32_dpp v215, v214 row_shr:2 row_mask:0xf bank_mask:0xf
	v_cndmask_b32_e64 v215, 0, v215, s1
	s_delay_alu instid0(VALU_DEP_1) | instskip(NEXT) | instid1(VALU_DEP_1)
	v_add_nc_u32_e32 v214, v214, v215
	v_mov_b32_dpp v215, v214 row_shr:4 row_mask:0xf bank_mask:0xf
	s_delay_alu instid0(VALU_DEP_1) | instskip(NEXT) | instid1(VALU_DEP_1)
	v_cndmask_b32_e64 v215, 0, v215, s8
	v_add_nc_u32_e32 v214, v214, v215
	s_delay_alu instid0(VALU_DEP_1) | instskip(NEXT) | instid1(VALU_DEP_1)
	v_mov_b32_dpp v215, v214 row_shr:8 row_mask:0xf bank_mask:0xf
	v_cndmask_b32_e64 v215, 0, v215, s9
	s_delay_alu instid0(VALU_DEP_1) | instskip(SKIP_3) | instid1(VALU_DEP_1)
	v_add_nc_u32_e32 v214, v214, v215
	ds_swizzle_b32 v215, v214 offset:swizzle(BROADCAST,32,15)
	s_wait_dscnt 0x0
	v_cndmask_b32_e64 v215, v215, 0, s10
	v_add_nc_u32_e32 v214, v214, v215
	s_and_saveexec_b32 s15, s3
; %bb.165:                              ;   in Loop: Header=BB710_96 Depth=2
	ds_store_b32 v95, v214 offset:1024
; %bb.166:                              ;   in Loop: Header=BB710_96 Depth=2
	s_wait_alu 0xfffe
	s_or_b32 exec_lo, exec_lo, s15
	s_wait_loadcnt_dscnt 0x0
	s_barrier_signal -1
	s_barrier_wait -1
	global_inv scope:SCOPE_SE
	s_and_saveexec_b32 s15, s4
	s_cbranch_execz .LBB710_168
; %bb.167:                              ;   in Loop: Header=BB710_96 Depth=2
	ds_load_b32 v215, v103 offset:1024
	s_wait_dscnt 0x0
	v_mov_b32_dpp v216, v215 row_shr:1 row_mask:0xf bank_mask:0xf
	s_delay_alu instid0(VALU_DEP_1) | instskip(NEXT) | instid1(VALU_DEP_1)
	v_cndmask_b32_e64 v216, v216, 0, s12
	v_add_nc_u32_e32 v215, v216, v215
	s_delay_alu instid0(VALU_DEP_1) | instskip(NEXT) | instid1(VALU_DEP_1)
	v_mov_b32_dpp v216, v215 row_shr:2 row_mask:0xf bank_mask:0xf
	v_cndmask_b32_e64 v216, 0, v216, s13
	s_delay_alu instid0(VALU_DEP_1) | instskip(NEXT) | instid1(VALU_DEP_1)
	v_add_nc_u32_e32 v215, v215, v216
	v_mov_b32_dpp v216, v215 row_shr:4 row_mask:0xf bank_mask:0xf
	s_delay_alu instid0(VALU_DEP_1) | instskip(NEXT) | instid1(VALU_DEP_1)
	v_cndmask_b32_e64 v216, 0, v216, s14
	v_add_nc_u32_e32 v215, v215, v216
	ds_store_b32 v103, v215 offset:1024
.LBB710_168:                            ;   in Loop: Header=BB710_96 Depth=2
	s_wait_alu 0xfffe
	s_or_b32 exec_lo, exec_lo, s15
	v_mov_b32_e32 v215, 0
	s_wait_loadcnt_dscnt 0x0
	s_barrier_signal -1
	s_barrier_wait -1
	global_inv scope:SCOPE_SE
	s_and_saveexec_b32 s15, s5
; %bb.169:                              ;   in Loop: Header=BB710_96 Depth=2
	ds_load_b32 v215, v95 offset:1020
; %bb.170:                              ;   in Loop: Header=BB710_96 Depth=2
	s_wait_alu 0xfffe
	s_or_b32 exec_lo, exec_lo, s15
	s_wait_dscnt 0x0
	v_add_nc_u32_e32 v214, v215, v214
	ds_bpermute_b32 v214, v124, v214
	s_wait_dscnt 0x0
	v_cndmask_b32_e64 v214, v214, v215, s11
	s_delay_alu instid0(VALU_DEP_1) | instskip(NEXT) | instid1(VALU_DEP_1)
	v_cndmask_b32_e64 v214, v214, 0, s6
	v_add_nc_u32_e32 v74, v214, v74
	s_delay_alu instid0(VALU_DEP_1) | instskip(NEXT) | instid1(VALU_DEP_1)
	v_add_nc_u32_e32 v75, v74, v75
	v_add_nc_u32_e32 v72, v75, v72
	s_delay_alu instid0(VALU_DEP_1) | instskip(NEXT) | instid1(VALU_DEP_1)
	v_add_nc_u32_e32 v73, v72, v73
	;; [unrolled: 3-line block ×3, first 2 shown]
	v_add_nc_u32_e32 v68, v71, v68
	s_delay_alu instid0(VALU_DEP_1)
	v_add_nc_u32_e32 v69, v68, v69
	ds_store_2addr_b32 v164, v71, v68 offset1:1
	ds_store_2addr_b32 v165, v214, v74 offset1:1
	;; [unrolled: 1-line block ×4, first 2 shown]
	ds_store_b32 v100, v69 offset:1088
	s_wait_loadcnt_dscnt 0x0
	s_barrier_signal -1
	s_barrier_wait -1
	global_inv scope:SCOPE_SE
	ds_load_b32 v69, v168 offset:1056
	ds_load_b32 v215, v171 offset:1056
	;; [unrolled: 1-line block ×17, first 2 shown]
	v_mov_b32_e32 v68, 0x1000
	s_and_saveexec_b32 s15, s7
; %bb.171:                              ;   in Loop: Header=BB710_96 Depth=2
	ds_load_b32 v68, v100 offset:1092
; %bb.172:                              ;   in Loop: Header=BB710_96 Depth=2
	s_wait_alu 0xfffe
	s_or_b32 exec_lo, exec_lo, s15
	s_wait_loadcnt_dscnt 0x0
	s_barrier_signal -1
	s_barrier_wait -1
	global_inv scope:SCOPE_SE
	s_and_saveexec_b32 s15, s2
	s_cbranch_execz .LBB710_174
; %bb.173:                              ;   in Loop: Header=BB710_96 Depth=2
	ds_load_b32 v180, v76
	s_wait_dscnt 0x0
	v_sub_nc_u32_e32 v177, v180, v177
	ds_store_b32 v76, v177
.LBB710_174:                            ;   in Loop: Header=BB710_96 Depth=2
	s_wait_alu 0xfffe
	s_or_b32 exec_lo, exec_lo, s15
	v_lshlrev_b32_e32 v163, 3, v163
	v_lshlrev_b32_e32 v170, 3, v170
	;; [unrolled: 1-line block ×5, first 2 shown]
	v_lshl_add_u32 v69, v69, 3, v163
	v_lshlrev_b32_e32 v163, 3, v172
	v_lshlrev_b32_e32 v172, 3, v214
	;; [unrolled: 1-line block ×11, first 2 shown]
	ds_store_b64 v69, v[38:39] offset:1024
	v_add3_u32 v38, v170, v169, v177
	v_add3_u32 v39, v173, v163, v172
	;; [unrolled: 1-line block ×5, first 2 shown]
	ds_store_b64 v38, v[40:41] offset:1024
	ds_store_b64 v39, v[42:43] offset:1024
	;; [unrolled: 1-line block ×5, first 2 shown]
	v_lshlrev_b32_e32 v40, 3, v185
	v_lshlrev_b32_e32 v41, 3, v184
	;; [unrolled: 1-line block ×15, first 2 shown]
	v_add3_u32 v40, v40, v41, v42
	v_add3_u32 v41, v43, v46, v47
	;; [unrolled: 1-line block ×5, first 2 shown]
	ds_store_b64 v40, v[60:61] offset:1024
	ds_store_b64 v41, v[64:65] offset:1024
	;; [unrolled: 1-line block ×5, first 2 shown]
	v_lshlrev_b32_e32 v47, 3, v200
	v_lshlrev_b32_e32 v52, 3, v199
	;; [unrolled: 1-line block ×15, first 2 shown]
	v_add3_u32 v47, v47, v52, v53
	v_add3_u32 v52, v56, v57, v58
	;; [unrolled: 1-line block ×5, first 2 shown]
	v_cmp_lt_u32_e32 vcc_lo, v1, v162
	ds_store_b64 v47, v[54:55] offset:1024
	ds_store_b64 v52, v[50:51] offset:1024
	;; [unrolled: 1-line block ×5, first 2 shown]
	s_wait_loadcnt_dscnt 0x0
	s_barrier_signal -1
	s_barrier_wait -1
	global_inv scope:SCOPE_SE
	s_and_saveexec_b32 s16, vcc_lo
	s_cbranch_execnz .LBB710_243
; %bb.175:                              ;   in Loop: Header=BB710_96 Depth=2
	s_wait_alu 0xfffe
	s_or_b32 exec_lo, exec_lo, s16
	v_cmp_lt_u32_e64 s15, v77, v162
	s_and_saveexec_b32 s17, s15
	s_cbranch_execnz .LBB710_244
.LBB710_176:                            ;   in Loop: Header=BB710_96 Depth=2
	s_wait_alu 0xfffe
	s_or_b32 exec_lo, exec_lo, s17
	v_cmp_lt_u32_e64 s16, v78, v162
	s_and_saveexec_b32 s18, s16
	s_cbranch_execnz .LBB710_245
.LBB710_177:                            ;   in Loop: Header=BB710_96 Depth=2
	s_wait_alu 0xfffe
	s_or_b32 exec_lo, exec_lo, s18
	v_cmp_lt_u32_e64 s17, v79, v162
	s_and_saveexec_b32 s19, s17
	s_cbranch_execnz .LBB710_246
.LBB710_178:                            ;   in Loop: Header=BB710_96 Depth=2
	s_wait_alu 0xfffe
	s_or_b32 exec_lo, exec_lo, s19
	v_cmp_lt_u32_e64 s18, v82, v162
	s_and_saveexec_b32 s20, s18
	s_cbranch_execnz .LBB710_247
.LBB710_179:                            ;   in Loop: Header=BB710_96 Depth=2
	s_wait_alu 0xfffe
	s_or_b32 exec_lo, exec_lo, s20
	v_cmp_lt_u32_e64 s19, v83, v162
	s_and_saveexec_b32 s21, s19
	s_cbranch_execnz .LBB710_248
.LBB710_180:                            ;   in Loop: Header=BB710_96 Depth=2
	s_wait_alu 0xfffe
	s_or_b32 exec_lo, exec_lo, s21
	v_cmp_lt_u32_e64 s20, v84, v162
	s_and_saveexec_b32 s22, s20
	s_cbranch_execnz .LBB710_249
.LBB710_181:                            ;   in Loop: Header=BB710_96 Depth=2
	s_wait_alu 0xfffe
	s_or_b32 exec_lo, exec_lo, s22
	v_cmp_lt_u32_e64 s21, v85, v162
	s_and_saveexec_b32 s23, s21
	s_cbranch_execnz .LBB710_250
.LBB710_182:                            ;   in Loop: Header=BB710_96 Depth=2
	s_wait_alu 0xfffe
	s_or_b32 exec_lo, exec_lo, s23
	v_cmp_lt_u32_e64 s22, v86, v162
	s_and_saveexec_b32 s24, s22
	s_cbranch_execnz .LBB710_251
.LBB710_183:                            ;   in Loop: Header=BB710_96 Depth=2
	s_wait_alu 0xfffe
	s_or_b32 exec_lo, exec_lo, s24
	v_cmp_lt_u32_e64 s23, v87, v162
	s_and_saveexec_b32 s25, s23
	s_cbranch_execnz .LBB710_252
.LBB710_184:                            ;   in Loop: Header=BB710_96 Depth=2
	s_wait_alu 0xfffe
	s_or_b32 exec_lo, exec_lo, s25
	v_cmp_lt_u32_e64 s24, v88, v162
	s_and_saveexec_b32 s26, s24
	s_cbranch_execnz .LBB710_253
.LBB710_185:                            ;   in Loop: Header=BB710_96 Depth=2
	s_wait_alu 0xfffe
	s_or_b32 exec_lo, exec_lo, s26
	v_cmp_lt_u32_e64 s25, v89, v162
	s_and_saveexec_b32 s27, s25
	s_cbranch_execnz .LBB710_254
.LBB710_186:                            ;   in Loop: Header=BB710_96 Depth=2
	s_wait_alu 0xfffe
	s_or_b32 exec_lo, exec_lo, s27
	v_cmp_lt_u32_e64 s26, v90, v162
	s_and_saveexec_b32 s28, s26
	s_cbranch_execnz .LBB710_255
.LBB710_187:                            ;   in Loop: Header=BB710_96 Depth=2
	s_wait_alu 0xfffe
	s_or_b32 exec_lo, exec_lo, s28
	v_cmp_lt_u32_e64 s27, v91, v162
	s_and_saveexec_b32 s29, s27
	s_cbranch_execnz .LBB710_256
.LBB710_188:                            ;   in Loop: Header=BB710_96 Depth=2
	s_wait_alu 0xfffe
	s_or_b32 exec_lo, exec_lo, s29
	v_cmp_lt_u32_e64 s28, v92, v162
	s_and_saveexec_b32 s30, s28
	s_cbranch_execnz .LBB710_257
.LBB710_189:                            ;   in Loop: Header=BB710_96 Depth=2
	s_wait_alu 0xfffe
	s_or_b32 exec_lo, exec_lo, s30
	v_cmp_lt_u32_e64 s29, v93, v162
	s_and_saveexec_b32 s58, s29
	s_cbranch_execz .LBB710_191
.LBB710_190:                            ;   in Loop: Header=BB710_96 Depth=2
	ds_load_b64 v[36:37], v108 offset:31744
	s_wait_dscnt 0x0
	v_lshrrev_b64 v[44:45], s48, v[36:37]
	v_xor_b32_e32 v37, 0x7fffffff, v37
	v_not_b32_e32 v36, v36
	s_delay_alu instid0(VALU_DEP_3) | instskip(NEXT) | instid1(VALU_DEP_1)
	v_dual_mov_b32 v45, v2 :: v_dual_and_b32 v44, s55, v44
	v_lshlrev_b32_e32 v44, 2, v44
	ds_load_b32 v44, v44
	s_wait_dscnt 0x0
	v_add_nc_u32_e32 v44, v44, v93
	s_delay_alu instid0(VALU_DEP_1) | instskip(NEXT) | instid1(VALU_DEP_1)
	v_lshlrev_b64_e32 v[44:45], 3, v[44:45]
	v_add_co_u32 v44, s30, s38, v44
	s_wait_alu 0xf1ff
	s_delay_alu instid0(VALU_DEP_2)
	v_add_co_ci_u32_e64 v45, null, s39, v45, s30
	global_store_b64 v[44:45], v[36:37], off
.LBB710_191:                            ;   in Loop: Header=BB710_96 Depth=2
	s_wait_alu 0xfffe
	s_or_b32 exec_lo, exec_lo, s58
	s_lshl_b64 s[58:59], s[34:35], 3
	s_wait_alu 0xfffe
	v_add_co_u32 v36, s30, v126, s58
	s_wait_alu 0xf1ff
	v_add_co_ci_u32_e64 v37, null, s59, v127, s30
	v_cmp_lt_u32_e64 s30, v125, v162
	s_and_saveexec_b32 s34, s30
	s_wait_alu 0xfffe
	s_xor_b32 s30, exec_lo, s34
	s_cbranch_execnz .LBB710_258
; %bb.192:                              ;   in Loop: Header=BB710_96 Depth=2
	s_wait_alu 0xfffe
	s_or_b32 exec_lo, exec_lo, s30
	s_delay_alu instid0(SALU_CYCLE_1)
	s_mov_b32 s34, exec_lo
	v_cmpx_lt_u32_e64 v128, v162
	s_cbranch_execnz .LBB710_259
.LBB710_193:                            ;   in Loop: Header=BB710_96 Depth=2
	s_wait_alu 0xfffe
	s_or_b32 exec_lo, exec_lo, s34
	s_delay_alu instid0(SALU_CYCLE_1)
	s_mov_b32 s34, exec_lo
	v_cmpx_lt_u32_e64 v129, v162
	s_cbranch_execnz .LBB710_260
.LBB710_194:                            ;   in Loop: Header=BB710_96 Depth=2
	s_wait_alu 0xfffe
	s_or_b32 exec_lo, exec_lo, s34
	s_delay_alu instid0(SALU_CYCLE_1)
	s_mov_b32 s34, exec_lo
	v_cmpx_lt_u32_e64 v130, v162
	s_cbranch_execnz .LBB710_261
.LBB710_195:                            ;   in Loop: Header=BB710_96 Depth=2
	s_wait_alu 0xfffe
	s_or_b32 exec_lo, exec_lo, s34
	s_delay_alu instid0(SALU_CYCLE_1)
	s_mov_b32 s34, exec_lo
	v_cmpx_lt_u32_e64 v131, v162
	s_cbranch_execnz .LBB710_262
.LBB710_196:                            ;   in Loop: Header=BB710_96 Depth=2
	s_wait_alu 0xfffe
	s_or_b32 exec_lo, exec_lo, s34
	s_delay_alu instid0(SALU_CYCLE_1)
	s_mov_b32 s34, exec_lo
	v_cmpx_lt_u32_e64 v132, v162
	s_cbranch_execnz .LBB710_263
.LBB710_197:                            ;   in Loop: Header=BB710_96 Depth=2
	s_wait_alu 0xfffe
	s_or_b32 exec_lo, exec_lo, s34
	s_delay_alu instid0(SALU_CYCLE_1)
	s_mov_b32 s34, exec_lo
	v_cmpx_lt_u32_e64 v133, v162
	s_cbranch_execnz .LBB710_264
.LBB710_198:                            ;   in Loop: Header=BB710_96 Depth=2
	s_wait_alu 0xfffe
	s_or_b32 exec_lo, exec_lo, s34
	s_delay_alu instid0(SALU_CYCLE_1)
	s_mov_b32 s34, exec_lo
	v_cmpx_lt_u32_e64 v134, v162
	s_cbranch_execnz .LBB710_265
.LBB710_199:                            ;   in Loop: Header=BB710_96 Depth=2
	s_wait_alu 0xfffe
	s_or_b32 exec_lo, exec_lo, s34
	s_delay_alu instid0(SALU_CYCLE_1)
	s_mov_b32 s34, exec_lo
	v_cmpx_lt_u32_e64 v135, v162
	s_cbranch_execnz .LBB710_266
.LBB710_200:                            ;   in Loop: Header=BB710_96 Depth=2
	s_wait_alu 0xfffe
	s_or_b32 exec_lo, exec_lo, s34
	s_delay_alu instid0(SALU_CYCLE_1)
	s_mov_b32 s34, exec_lo
	v_cmpx_lt_u32_e64 v136, v162
	s_cbranch_execnz .LBB710_267
.LBB710_201:                            ;   in Loop: Header=BB710_96 Depth=2
	s_wait_alu 0xfffe
	s_or_b32 exec_lo, exec_lo, s34
	s_delay_alu instid0(SALU_CYCLE_1)
	s_mov_b32 s34, exec_lo
	v_cmpx_lt_u32_e64 v137, v162
	s_cbranch_execnz .LBB710_268
.LBB710_202:                            ;   in Loop: Header=BB710_96 Depth=2
	s_wait_alu 0xfffe
	s_or_b32 exec_lo, exec_lo, s34
	s_delay_alu instid0(SALU_CYCLE_1)
	s_mov_b32 s34, exec_lo
	v_cmpx_lt_u32_e64 v138, v162
	s_cbranch_execnz .LBB710_269
.LBB710_203:                            ;   in Loop: Header=BB710_96 Depth=2
	s_wait_alu 0xfffe
	s_or_b32 exec_lo, exec_lo, s34
	s_delay_alu instid0(SALU_CYCLE_1)
	s_mov_b32 s34, exec_lo
	v_cmpx_lt_u32_e64 v139, v162
	s_cbranch_execnz .LBB710_270
.LBB710_204:                            ;   in Loop: Header=BB710_96 Depth=2
	s_wait_alu 0xfffe
	s_or_b32 exec_lo, exec_lo, s34
	s_delay_alu instid0(SALU_CYCLE_1)
	s_mov_b32 s34, exec_lo
	v_cmpx_lt_u32_e64 v140, v162
	s_cbranch_execnz .LBB710_271
.LBB710_205:                            ;   in Loop: Header=BB710_96 Depth=2
	s_wait_alu 0xfffe
	s_or_b32 exec_lo, exec_lo, s34
	s_delay_alu instid0(SALU_CYCLE_1)
	s_mov_b32 s34, exec_lo
	v_cmpx_lt_u32_e64 v141, v162
	s_cbranch_execnz .LBB710_272
.LBB710_206:                            ;   in Loop: Header=BB710_96 Depth=2
	s_wait_alu 0xfffe
	s_or_b32 exec_lo, exec_lo, s34
	s_delay_alu instid0(SALU_CYCLE_1)
	s_mov_b32 s34, exec_lo
	v_cmpx_lt_u32_e64 v142, v162
	s_cbranch_execnz .LBB710_273
.LBB710_207:                            ;   in Loop: Header=BB710_96 Depth=2
	s_wait_alu 0xfffe
	s_or_b32 exec_lo, exec_lo, s34
	s_and_saveexec_b32 s30, vcc_lo
	s_cbranch_execnz .LBB710_274
.LBB710_208:                            ;   in Loop: Header=BB710_96 Depth=2
	s_wait_alu 0xfffe
	s_or_b32 exec_lo, exec_lo, s30
	s_and_saveexec_b32 s30, s15
	s_cbranch_execnz .LBB710_275
.LBB710_209:                            ;   in Loop: Header=BB710_96 Depth=2
	s_wait_alu 0xfffe
	s_or_b32 exec_lo, exec_lo, s30
	s_and_saveexec_b32 s30, s16
	s_cbranch_execnz .LBB710_276
.LBB710_210:                            ;   in Loop: Header=BB710_96 Depth=2
	s_wait_alu 0xfffe
	s_or_b32 exec_lo, exec_lo, s30
	s_and_saveexec_b32 s30, s17
	s_cbranch_execnz .LBB710_277
.LBB710_211:                            ;   in Loop: Header=BB710_96 Depth=2
	s_wait_alu 0xfffe
	s_or_b32 exec_lo, exec_lo, s30
	s_and_saveexec_b32 s30, s18
	s_cbranch_execnz .LBB710_278
.LBB710_212:                            ;   in Loop: Header=BB710_96 Depth=2
	s_wait_alu 0xfffe
	s_or_b32 exec_lo, exec_lo, s30
	s_and_saveexec_b32 s30, s19
	s_cbranch_execnz .LBB710_279
.LBB710_213:                            ;   in Loop: Header=BB710_96 Depth=2
	s_wait_alu 0xfffe
	s_or_b32 exec_lo, exec_lo, s30
	s_and_saveexec_b32 s30, s20
	s_cbranch_execnz .LBB710_280
.LBB710_214:                            ;   in Loop: Header=BB710_96 Depth=2
	s_wait_alu 0xfffe
	s_or_b32 exec_lo, exec_lo, s30
	s_and_saveexec_b32 s30, s21
	s_cbranch_execnz .LBB710_281
.LBB710_215:                            ;   in Loop: Header=BB710_96 Depth=2
	s_wait_alu 0xfffe
	s_or_b32 exec_lo, exec_lo, s30
	s_and_saveexec_b32 s30, s22
	s_cbranch_execnz .LBB710_282
.LBB710_216:                            ;   in Loop: Header=BB710_96 Depth=2
	s_wait_alu 0xfffe
	s_or_b32 exec_lo, exec_lo, s30
	s_and_saveexec_b32 s30, s23
	s_cbranch_execnz .LBB710_283
.LBB710_217:                            ;   in Loop: Header=BB710_96 Depth=2
	s_wait_alu 0xfffe
	s_or_b32 exec_lo, exec_lo, s30
	s_and_saveexec_b32 s30, s24
	s_cbranch_execnz .LBB710_284
.LBB710_218:                            ;   in Loop: Header=BB710_96 Depth=2
	s_wait_alu 0xfffe
	s_or_b32 exec_lo, exec_lo, s30
	s_and_saveexec_b32 s30, s25
	s_cbranch_execnz .LBB710_285
.LBB710_219:                            ;   in Loop: Header=BB710_96 Depth=2
	s_wait_alu 0xfffe
	s_or_b32 exec_lo, exec_lo, s30
	s_and_saveexec_b32 s30, s26
	s_cbranch_execnz .LBB710_286
.LBB710_220:                            ;   in Loop: Header=BB710_96 Depth=2
	s_wait_alu 0xfffe
	s_or_b32 exec_lo, exec_lo, s30
	s_and_saveexec_b32 s30, s27
	s_cbranch_execnz .LBB710_287
.LBB710_221:                            ;   in Loop: Header=BB710_96 Depth=2
	s_wait_alu 0xfffe
	s_or_b32 exec_lo, exec_lo, s30
	s_and_saveexec_b32 s30, s28
	s_cbranch_execnz .LBB710_288
.LBB710_222:                            ;   in Loop: Header=BB710_96 Depth=2
	s_wait_alu 0xfffe
	s_or_b32 exec_lo, exec_lo, s30
	s_and_saveexec_b32 s30, s29
	s_cbranch_execz .LBB710_224
.LBB710_223:                            ;   in Loop: Header=BB710_96 Depth=2
	ds_load_b64 v[36:37], v108 offset:31744
	s_wait_dscnt 0x0
	v_lshrrev_b64 v[36:37], s48, v[36:37]
	s_delay_alu instid0(VALU_DEP_1)
	v_and_b32_e32 v146, s55, v36
.LBB710_224:                            ;   in Loop: Header=BB710_96 Depth=2
	s_wait_alu 0xfffe
	s_or_b32 exec_lo, exec_lo, s30
	s_wait_loadcnt 0x0
	s_wait_storecnt 0x0
	s_barrier_signal -1
	s_barrier_wait -1
	global_inv scope:SCOPE_SE
	ds_store_b64 v69, v[34:35] offset:1024
	ds_store_b64 v38, v[32:33] offset:1024
	ds_store_b64 v39, v[30:31] offset:1024
	ds_store_b64 v70, v[28:29] offset:1024
	ds_store_b64 v71, v[26:27] offset:1024
	ds_store_b64 v72, v[24:25] offset:1024
	ds_store_b64 v40, v[22:23] offset:1024
	ds_store_b64 v41, v[20:21] offset:1024
	ds_store_b64 v42, v[18:19] offset:1024
	ds_store_b64 v43, v[16:17] offset:1024
	ds_store_b64 v46, v[14:15] offset:1024
	ds_store_b64 v47, v[12:13] offset:1024
	ds_store_b64 v52, v[10:11] offset:1024
	ds_store_b64 v53, v[8:9] offset:1024
	ds_store_b64 v56, v[6:7] offset:1024
	ds_store_b64 v57, v[4:5] offset:1024
	s_wait_loadcnt_dscnt 0x0
	s_barrier_signal -1
	s_barrier_wait -1
	global_inv scope:SCOPE_SE
	s_and_saveexec_b32 s30, vcc_lo
	s_cbranch_execnz .LBB710_289
; %bb.225:                              ;   in Loop: Header=BB710_96 Depth=2
	s_wait_alu 0xfffe
	s_or_b32 exec_lo, exec_lo, s30
	s_and_saveexec_b32 s30, s15
	s_cbranch_execnz .LBB710_290
.LBB710_226:                            ;   in Loop: Header=BB710_96 Depth=2
	s_wait_alu 0xfffe
	s_or_b32 exec_lo, exec_lo, s30
	s_and_saveexec_b32 s15, s16
	s_cbranch_execnz .LBB710_291
.LBB710_227:                            ;   in Loop: Header=BB710_96 Depth=2
	s_wait_alu 0xfffe
	s_or_b32 exec_lo, exec_lo, s15
	s_and_saveexec_b32 s15, s17
	s_cbranch_execnz .LBB710_292
.LBB710_228:                            ;   in Loop: Header=BB710_96 Depth=2
	s_wait_alu 0xfffe
	s_or_b32 exec_lo, exec_lo, s15
	s_and_saveexec_b32 s15, s18
	s_cbranch_execnz .LBB710_293
.LBB710_229:                            ;   in Loop: Header=BB710_96 Depth=2
	s_wait_alu 0xfffe
	s_or_b32 exec_lo, exec_lo, s15
	s_and_saveexec_b32 s15, s19
	s_cbranch_execnz .LBB710_294
.LBB710_230:                            ;   in Loop: Header=BB710_96 Depth=2
	s_wait_alu 0xfffe
	s_or_b32 exec_lo, exec_lo, s15
	s_and_saveexec_b32 s15, s20
	s_cbranch_execnz .LBB710_295
.LBB710_231:                            ;   in Loop: Header=BB710_96 Depth=2
	s_wait_alu 0xfffe
	s_or_b32 exec_lo, exec_lo, s15
	s_and_saveexec_b32 s15, s21
	s_cbranch_execnz .LBB710_296
.LBB710_232:                            ;   in Loop: Header=BB710_96 Depth=2
	s_wait_alu 0xfffe
	s_or_b32 exec_lo, exec_lo, s15
	s_and_saveexec_b32 s15, s22
	s_cbranch_execnz .LBB710_297
.LBB710_233:                            ;   in Loop: Header=BB710_96 Depth=2
	s_wait_alu 0xfffe
	s_or_b32 exec_lo, exec_lo, s15
	s_and_saveexec_b32 s15, s23
	s_cbranch_execnz .LBB710_298
.LBB710_234:                            ;   in Loop: Header=BB710_96 Depth=2
	s_wait_alu 0xfffe
	s_or_b32 exec_lo, exec_lo, s15
	s_and_saveexec_b32 s15, s24
	s_cbranch_execnz .LBB710_299
.LBB710_235:                            ;   in Loop: Header=BB710_96 Depth=2
	s_wait_alu 0xfffe
	s_or_b32 exec_lo, exec_lo, s15
	s_and_saveexec_b32 s15, s25
	s_cbranch_execnz .LBB710_300
.LBB710_236:                            ;   in Loop: Header=BB710_96 Depth=2
	s_wait_alu 0xfffe
	s_or_b32 exec_lo, exec_lo, s15
	s_and_saveexec_b32 s15, s26
	s_cbranch_execnz .LBB710_301
.LBB710_237:                            ;   in Loop: Header=BB710_96 Depth=2
	s_wait_alu 0xfffe
	s_or_b32 exec_lo, exec_lo, s15
	s_and_saveexec_b32 s15, s27
	s_cbranch_execnz .LBB710_302
.LBB710_238:                            ;   in Loop: Header=BB710_96 Depth=2
	s_wait_alu 0xfffe
	s_or_b32 exec_lo, exec_lo, s15
	s_and_saveexec_b32 s15, s28
	s_cbranch_execnz .LBB710_303
.LBB710_239:                            ;   in Loop: Header=BB710_96 Depth=2
	s_wait_alu 0xfffe
	s_or_b32 exec_lo, exec_lo, s15
	s_and_saveexec_b32 s15, s29
	s_cbranch_execz .LBB710_241
.LBB710_240:                            ;   in Loop: Header=BB710_96 Depth=2
	v_dual_mov_b32 v39, v2 :: v_dual_lshlrev_b32 v36, 2, v146
	ds_load_b32 v38, v36
	ds_load_b64 v[36:37], v108 offset:31744
	s_wait_dscnt 0x1
	v_add_nc_u32_e32 v38, v38, v93
	s_delay_alu instid0(VALU_DEP_1) | instskip(NEXT) | instid1(VALU_DEP_1)
	v_lshlrev_b64_e32 v[38:39], 3, v[38:39]
	v_add_co_u32 v38, vcc_lo, s44, v38
	s_wait_alu 0xfffd
	s_delay_alu instid0(VALU_DEP_2)
	v_add_co_ci_u32_e64 v39, null, s45, v39, vcc_lo
	s_wait_dscnt 0x0
	global_store_b64 v[38:39], v[36:37], off
.LBB710_241:                            ;   in Loop: Header=BB710_96 Depth=2
	s_wait_alu 0xfffe
	s_or_b32 exec_lo, exec_lo, s15
	s_wait_loadcnt 0x0
	s_wait_storecnt 0x0
	s_barrier_signal -1
	s_barrier_wait -1
	global_inv scope:SCOPE_SE
	s_and_saveexec_b32 s15, s2
	s_cbranch_execz .LBB710_95
; %bb.242:                              ;   in Loop: Header=BB710_96 Depth=2
	ds_load_b32 v36, v76
	s_wait_dscnt 0x0
	v_add_nc_u32_e32 v36, v36, v68
	ds_store_b32 v76, v36
	s_branch .LBB710_95
.LBB710_243:                            ;   in Loop: Header=BB710_96 Depth=2
	ds_load_b64 v[36:37], v108 offset:1024
	s_wait_dscnt 0x0
	v_lshrrev_b64 v[44:45], s48, v[36:37]
	v_xor_b32_e32 v37, 0x7fffffff, v37
	v_not_b32_e32 v36, v36
	s_delay_alu instid0(VALU_DEP_3) | instskip(NEXT) | instid1(VALU_DEP_1)
	v_dual_mov_b32 v45, v2 :: v_dual_and_b32 v44, s55, v44
	v_lshlrev_b32_e32 v44, 2, v44
	ds_load_b32 v44, v44
	s_wait_dscnt 0x0
	v_add_nc_u32_e32 v44, v44, v1
	s_delay_alu instid0(VALU_DEP_1) | instskip(NEXT) | instid1(VALU_DEP_1)
	v_lshlrev_b64_e32 v[44:45], 3, v[44:45]
	v_add_co_u32 v44, s15, s38, v44
	s_wait_alu 0xf1ff
	s_delay_alu instid0(VALU_DEP_2)
	v_add_co_ci_u32_e64 v45, null, s39, v45, s15
	global_store_b64 v[44:45], v[36:37], off
	s_wait_alu 0xfffe
	s_or_b32 exec_lo, exec_lo, s16
	v_cmp_lt_u32_e64 s15, v77, v162
	s_and_saveexec_b32 s17, s15
	s_cbranch_execz .LBB710_176
.LBB710_244:                            ;   in Loop: Header=BB710_96 Depth=2
	ds_load_b64 v[36:37], v108 offset:3072
	s_wait_dscnt 0x0
	v_lshrrev_b64 v[44:45], s48, v[36:37]
	v_xor_b32_e32 v37, 0x7fffffff, v37
	v_not_b32_e32 v36, v36
	s_delay_alu instid0(VALU_DEP_3) | instskip(NEXT) | instid1(VALU_DEP_1)
	v_dual_mov_b32 v45, v2 :: v_dual_and_b32 v44, s55, v44
	v_lshlrev_b32_e32 v44, 2, v44
	ds_load_b32 v44, v44
	s_wait_dscnt 0x0
	v_add_nc_u32_e32 v44, v44, v77
	s_delay_alu instid0(VALU_DEP_1) | instskip(NEXT) | instid1(VALU_DEP_1)
	v_lshlrev_b64_e32 v[44:45], 3, v[44:45]
	v_add_co_u32 v44, s16, s38, v44
	s_wait_alu 0xf1ff
	s_delay_alu instid0(VALU_DEP_2)
	v_add_co_ci_u32_e64 v45, null, s39, v45, s16
	global_store_b64 v[44:45], v[36:37], off
	s_wait_alu 0xfffe
	s_or_b32 exec_lo, exec_lo, s17
	v_cmp_lt_u32_e64 s16, v78, v162
	s_and_saveexec_b32 s18, s16
	s_cbranch_execz .LBB710_177
.LBB710_245:                            ;   in Loop: Header=BB710_96 Depth=2
	ds_load_b64 v[36:37], v108 offset:5120
	s_wait_dscnt 0x0
	v_lshrrev_b64 v[44:45], s48, v[36:37]
	v_xor_b32_e32 v37, 0x7fffffff, v37
	v_not_b32_e32 v36, v36
	s_delay_alu instid0(VALU_DEP_3) | instskip(NEXT) | instid1(VALU_DEP_1)
	v_dual_mov_b32 v45, v2 :: v_dual_and_b32 v44, s55, v44
	v_lshlrev_b32_e32 v44, 2, v44
	ds_load_b32 v44, v44
	s_wait_dscnt 0x0
	v_add_nc_u32_e32 v44, v44, v78
	s_delay_alu instid0(VALU_DEP_1) | instskip(NEXT) | instid1(VALU_DEP_1)
	v_lshlrev_b64_e32 v[44:45], 3, v[44:45]
	v_add_co_u32 v44, s17, s38, v44
	s_wait_alu 0xf1ff
	s_delay_alu instid0(VALU_DEP_2)
	v_add_co_ci_u32_e64 v45, null, s39, v45, s17
	global_store_b64 v[44:45], v[36:37], off
	s_wait_alu 0xfffe
	s_or_b32 exec_lo, exec_lo, s18
	v_cmp_lt_u32_e64 s17, v79, v162
	s_and_saveexec_b32 s19, s17
	s_cbranch_execz .LBB710_178
.LBB710_246:                            ;   in Loop: Header=BB710_96 Depth=2
	ds_load_b64 v[36:37], v108 offset:7168
	s_wait_dscnt 0x0
	v_lshrrev_b64 v[44:45], s48, v[36:37]
	v_xor_b32_e32 v37, 0x7fffffff, v37
	v_not_b32_e32 v36, v36
	s_delay_alu instid0(VALU_DEP_3) | instskip(NEXT) | instid1(VALU_DEP_1)
	v_dual_mov_b32 v45, v2 :: v_dual_and_b32 v44, s55, v44
	v_lshlrev_b32_e32 v44, 2, v44
	ds_load_b32 v44, v44
	s_wait_dscnt 0x0
	v_add_nc_u32_e32 v44, v44, v79
	s_delay_alu instid0(VALU_DEP_1) | instskip(NEXT) | instid1(VALU_DEP_1)
	v_lshlrev_b64_e32 v[44:45], 3, v[44:45]
	v_add_co_u32 v44, s18, s38, v44
	s_wait_alu 0xf1ff
	s_delay_alu instid0(VALU_DEP_2)
	v_add_co_ci_u32_e64 v45, null, s39, v45, s18
	global_store_b64 v[44:45], v[36:37], off
	s_wait_alu 0xfffe
	s_or_b32 exec_lo, exec_lo, s19
	v_cmp_lt_u32_e64 s18, v82, v162
	s_and_saveexec_b32 s20, s18
	s_cbranch_execz .LBB710_179
.LBB710_247:                            ;   in Loop: Header=BB710_96 Depth=2
	ds_load_b64 v[36:37], v108 offset:9216
	s_wait_dscnt 0x0
	v_lshrrev_b64 v[44:45], s48, v[36:37]
	v_xor_b32_e32 v37, 0x7fffffff, v37
	v_not_b32_e32 v36, v36
	s_delay_alu instid0(VALU_DEP_3) | instskip(NEXT) | instid1(VALU_DEP_1)
	v_dual_mov_b32 v45, v2 :: v_dual_and_b32 v44, s55, v44
	v_lshlrev_b32_e32 v44, 2, v44
	ds_load_b32 v44, v44
	s_wait_dscnt 0x0
	v_add_nc_u32_e32 v44, v44, v82
	s_delay_alu instid0(VALU_DEP_1) | instskip(NEXT) | instid1(VALU_DEP_1)
	v_lshlrev_b64_e32 v[44:45], 3, v[44:45]
	v_add_co_u32 v44, s19, s38, v44
	s_wait_alu 0xf1ff
	s_delay_alu instid0(VALU_DEP_2)
	v_add_co_ci_u32_e64 v45, null, s39, v45, s19
	global_store_b64 v[44:45], v[36:37], off
	s_wait_alu 0xfffe
	s_or_b32 exec_lo, exec_lo, s20
	v_cmp_lt_u32_e64 s19, v83, v162
	s_and_saveexec_b32 s21, s19
	s_cbranch_execz .LBB710_180
.LBB710_248:                            ;   in Loop: Header=BB710_96 Depth=2
	ds_load_b64 v[36:37], v108 offset:11264
	s_wait_dscnt 0x0
	v_lshrrev_b64 v[44:45], s48, v[36:37]
	v_xor_b32_e32 v37, 0x7fffffff, v37
	v_not_b32_e32 v36, v36
	s_delay_alu instid0(VALU_DEP_3) | instskip(NEXT) | instid1(VALU_DEP_1)
	v_dual_mov_b32 v45, v2 :: v_dual_and_b32 v44, s55, v44
	v_lshlrev_b32_e32 v44, 2, v44
	ds_load_b32 v44, v44
	s_wait_dscnt 0x0
	v_add_nc_u32_e32 v44, v44, v83
	s_delay_alu instid0(VALU_DEP_1) | instskip(NEXT) | instid1(VALU_DEP_1)
	v_lshlrev_b64_e32 v[44:45], 3, v[44:45]
	v_add_co_u32 v44, s20, s38, v44
	s_wait_alu 0xf1ff
	s_delay_alu instid0(VALU_DEP_2)
	v_add_co_ci_u32_e64 v45, null, s39, v45, s20
	global_store_b64 v[44:45], v[36:37], off
	s_wait_alu 0xfffe
	s_or_b32 exec_lo, exec_lo, s21
	v_cmp_lt_u32_e64 s20, v84, v162
	s_and_saveexec_b32 s22, s20
	s_cbranch_execz .LBB710_181
.LBB710_249:                            ;   in Loop: Header=BB710_96 Depth=2
	ds_load_b64 v[36:37], v108 offset:13312
	s_wait_dscnt 0x0
	v_lshrrev_b64 v[44:45], s48, v[36:37]
	v_xor_b32_e32 v37, 0x7fffffff, v37
	v_not_b32_e32 v36, v36
	s_delay_alu instid0(VALU_DEP_3) | instskip(NEXT) | instid1(VALU_DEP_1)
	v_dual_mov_b32 v45, v2 :: v_dual_and_b32 v44, s55, v44
	v_lshlrev_b32_e32 v44, 2, v44
	ds_load_b32 v44, v44
	s_wait_dscnt 0x0
	v_add_nc_u32_e32 v44, v44, v84
	s_delay_alu instid0(VALU_DEP_1) | instskip(NEXT) | instid1(VALU_DEP_1)
	v_lshlrev_b64_e32 v[44:45], 3, v[44:45]
	v_add_co_u32 v44, s21, s38, v44
	s_wait_alu 0xf1ff
	s_delay_alu instid0(VALU_DEP_2)
	v_add_co_ci_u32_e64 v45, null, s39, v45, s21
	global_store_b64 v[44:45], v[36:37], off
	s_wait_alu 0xfffe
	s_or_b32 exec_lo, exec_lo, s22
	v_cmp_lt_u32_e64 s21, v85, v162
	s_and_saveexec_b32 s23, s21
	s_cbranch_execz .LBB710_182
.LBB710_250:                            ;   in Loop: Header=BB710_96 Depth=2
	ds_load_b64 v[36:37], v108 offset:15360
	s_wait_dscnt 0x0
	v_lshrrev_b64 v[44:45], s48, v[36:37]
	v_xor_b32_e32 v37, 0x7fffffff, v37
	v_not_b32_e32 v36, v36
	s_delay_alu instid0(VALU_DEP_3) | instskip(NEXT) | instid1(VALU_DEP_1)
	v_dual_mov_b32 v45, v2 :: v_dual_and_b32 v44, s55, v44
	v_lshlrev_b32_e32 v44, 2, v44
	ds_load_b32 v44, v44
	s_wait_dscnt 0x0
	v_add_nc_u32_e32 v44, v44, v85
	s_delay_alu instid0(VALU_DEP_1) | instskip(NEXT) | instid1(VALU_DEP_1)
	v_lshlrev_b64_e32 v[44:45], 3, v[44:45]
	v_add_co_u32 v44, s22, s38, v44
	s_wait_alu 0xf1ff
	s_delay_alu instid0(VALU_DEP_2)
	v_add_co_ci_u32_e64 v45, null, s39, v45, s22
	global_store_b64 v[44:45], v[36:37], off
	s_wait_alu 0xfffe
	s_or_b32 exec_lo, exec_lo, s23
	v_cmp_lt_u32_e64 s22, v86, v162
	s_and_saveexec_b32 s24, s22
	s_cbranch_execz .LBB710_183
.LBB710_251:                            ;   in Loop: Header=BB710_96 Depth=2
	ds_load_b64 v[36:37], v108 offset:17408
	s_wait_dscnt 0x0
	v_lshrrev_b64 v[44:45], s48, v[36:37]
	v_xor_b32_e32 v37, 0x7fffffff, v37
	v_not_b32_e32 v36, v36
	s_delay_alu instid0(VALU_DEP_3) | instskip(NEXT) | instid1(VALU_DEP_1)
	v_dual_mov_b32 v45, v2 :: v_dual_and_b32 v44, s55, v44
	v_lshlrev_b32_e32 v44, 2, v44
	ds_load_b32 v44, v44
	s_wait_dscnt 0x0
	v_add_nc_u32_e32 v44, v44, v86
	s_delay_alu instid0(VALU_DEP_1) | instskip(NEXT) | instid1(VALU_DEP_1)
	v_lshlrev_b64_e32 v[44:45], 3, v[44:45]
	v_add_co_u32 v44, s23, s38, v44
	s_wait_alu 0xf1ff
	s_delay_alu instid0(VALU_DEP_2)
	v_add_co_ci_u32_e64 v45, null, s39, v45, s23
	global_store_b64 v[44:45], v[36:37], off
	s_wait_alu 0xfffe
	s_or_b32 exec_lo, exec_lo, s24
	v_cmp_lt_u32_e64 s23, v87, v162
	s_and_saveexec_b32 s25, s23
	s_cbranch_execz .LBB710_184
.LBB710_252:                            ;   in Loop: Header=BB710_96 Depth=2
	ds_load_b64 v[36:37], v108 offset:19456
	s_wait_dscnt 0x0
	v_lshrrev_b64 v[44:45], s48, v[36:37]
	v_xor_b32_e32 v37, 0x7fffffff, v37
	v_not_b32_e32 v36, v36
	s_delay_alu instid0(VALU_DEP_3) | instskip(NEXT) | instid1(VALU_DEP_1)
	v_dual_mov_b32 v45, v2 :: v_dual_and_b32 v44, s55, v44
	v_lshlrev_b32_e32 v44, 2, v44
	ds_load_b32 v44, v44
	s_wait_dscnt 0x0
	v_add_nc_u32_e32 v44, v44, v87
	s_delay_alu instid0(VALU_DEP_1) | instskip(NEXT) | instid1(VALU_DEP_1)
	v_lshlrev_b64_e32 v[44:45], 3, v[44:45]
	v_add_co_u32 v44, s24, s38, v44
	s_wait_alu 0xf1ff
	s_delay_alu instid0(VALU_DEP_2)
	v_add_co_ci_u32_e64 v45, null, s39, v45, s24
	global_store_b64 v[44:45], v[36:37], off
	s_wait_alu 0xfffe
	s_or_b32 exec_lo, exec_lo, s25
	v_cmp_lt_u32_e64 s24, v88, v162
	s_and_saveexec_b32 s26, s24
	s_cbranch_execz .LBB710_185
.LBB710_253:                            ;   in Loop: Header=BB710_96 Depth=2
	ds_load_b64 v[36:37], v108 offset:21504
	s_wait_dscnt 0x0
	v_lshrrev_b64 v[44:45], s48, v[36:37]
	v_xor_b32_e32 v37, 0x7fffffff, v37
	v_not_b32_e32 v36, v36
	s_delay_alu instid0(VALU_DEP_3) | instskip(NEXT) | instid1(VALU_DEP_1)
	v_dual_mov_b32 v45, v2 :: v_dual_and_b32 v44, s55, v44
	v_lshlrev_b32_e32 v44, 2, v44
	ds_load_b32 v44, v44
	s_wait_dscnt 0x0
	v_add_nc_u32_e32 v44, v44, v88
	s_delay_alu instid0(VALU_DEP_1) | instskip(NEXT) | instid1(VALU_DEP_1)
	v_lshlrev_b64_e32 v[44:45], 3, v[44:45]
	v_add_co_u32 v44, s25, s38, v44
	s_wait_alu 0xf1ff
	s_delay_alu instid0(VALU_DEP_2)
	v_add_co_ci_u32_e64 v45, null, s39, v45, s25
	global_store_b64 v[44:45], v[36:37], off
	s_wait_alu 0xfffe
	s_or_b32 exec_lo, exec_lo, s26
	v_cmp_lt_u32_e64 s25, v89, v162
	s_and_saveexec_b32 s27, s25
	s_cbranch_execz .LBB710_186
.LBB710_254:                            ;   in Loop: Header=BB710_96 Depth=2
	ds_load_b64 v[36:37], v108 offset:23552
	s_wait_dscnt 0x0
	v_lshrrev_b64 v[44:45], s48, v[36:37]
	v_xor_b32_e32 v37, 0x7fffffff, v37
	v_not_b32_e32 v36, v36
	s_delay_alu instid0(VALU_DEP_3) | instskip(NEXT) | instid1(VALU_DEP_1)
	v_dual_mov_b32 v45, v2 :: v_dual_and_b32 v44, s55, v44
	v_lshlrev_b32_e32 v44, 2, v44
	ds_load_b32 v44, v44
	s_wait_dscnt 0x0
	v_add_nc_u32_e32 v44, v44, v89
	s_delay_alu instid0(VALU_DEP_1) | instskip(NEXT) | instid1(VALU_DEP_1)
	v_lshlrev_b64_e32 v[44:45], 3, v[44:45]
	v_add_co_u32 v44, s26, s38, v44
	s_wait_alu 0xf1ff
	s_delay_alu instid0(VALU_DEP_2)
	v_add_co_ci_u32_e64 v45, null, s39, v45, s26
	global_store_b64 v[44:45], v[36:37], off
	s_wait_alu 0xfffe
	s_or_b32 exec_lo, exec_lo, s27
	v_cmp_lt_u32_e64 s26, v90, v162
	s_and_saveexec_b32 s28, s26
	s_cbranch_execz .LBB710_187
.LBB710_255:                            ;   in Loop: Header=BB710_96 Depth=2
	ds_load_b64 v[36:37], v108 offset:25600
	s_wait_dscnt 0x0
	v_lshrrev_b64 v[44:45], s48, v[36:37]
	v_xor_b32_e32 v37, 0x7fffffff, v37
	v_not_b32_e32 v36, v36
	s_delay_alu instid0(VALU_DEP_3) | instskip(NEXT) | instid1(VALU_DEP_1)
	v_dual_mov_b32 v45, v2 :: v_dual_and_b32 v44, s55, v44
	v_lshlrev_b32_e32 v44, 2, v44
	ds_load_b32 v44, v44
	s_wait_dscnt 0x0
	v_add_nc_u32_e32 v44, v44, v90
	s_delay_alu instid0(VALU_DEP_1) | instskip(NEXT) | instid1(VALU_DEP_1)
	v_lshlrev_b64_e32 v[44:45], 3, v[44:45]
	v_add_co_u32 v44, s27, s38, v44
	s_wait_alu 0xf1ff
	s_delay_alu instid0(VALU_DEP_2)
	v_add_co_ci_u32_e64 v45, null, s39, v45, s27
	global_store_b64 v[44:45], v[36:37], off
	s_wait_alu 0xfffe
	s_or_b32 exec_lo, exec_lo, s28
	v_cmp_lt_u32_e64 s27, v91, v162
	s_and_saveexec_b32 s29, s27
	s_cbranch_execz .LBB710_188
.LBB710_256:                            ;   in Loop: Header=BB710_96 Depth=2
	ds_load_b64 v[36:37], v108 offset:27648
	s_wait_dscnt 0x0
	v_lshrrev_b64 v[44:45], s48, v[36:37]
	v_xor_b32_e32 v37, 0x7fffffff, v37
	v_not_b32_e32 v36, v36
	s_delay_alu instid0(VALU_DEP_3) | instskip(NEXT) | instid1(VALU_DEP_1)
	v_dual_mov_b32 v45, v2 :: v_dual_and_b32 v44, s55, v44
	v_lshlrev_b32_e32 v44, 2, v44
	ds_load_b32 v44, v44
	s_wait_dscnt 0x0
	v_add_nc_u32_e32 v44, v44, v91
	s_delay_alu instid0(VALU_DEP_1) | instskip(NEXT) | instid1(VALU_DEP_1)
	v_lshlrev_b64_e32 v[44:45], 3, v[44:45]
	v_add_co_u32 v44, s28, s38, v44
	s_wait_alu 0xf1ff
	s_delay_alu instid0(VALU_DEP_2)
	v_add_co_ci_u32_e64 v45, null, s39, v45, s28
	global_store_b64 v[44:45], v[36:37], off
	s_wait_alu 0xfffe
	s_or_b32 exec_lo, exec_lo, s29
	v_cmp_lt_u32_e64 s28, v92, v162
	s_and_saveexec_b32 s30, s28
	s_cbranch_execz .LBB710_189
.LBB710_257:                            ;   in Loop: Header=BB710_96 Depth=2
	ds_load_b64 v[36:37], v108 offset:29696
	s_wait_dscnt 0x0
	v_lshrrev_b64 v[44:45], s48, v[36:37]
	v_xor_b32_e32 v37, 0x7fffffff, v37
	v_not_b32_e32 v36, v36
	s_delay_alu instid0(VALU_DEP_3) | instskip(NEXT) | instid1(VALU_DEP_1)
	v_dual_mov_b32 v45, v2 :: v_dual_and_b32 v44, s55, v44
	v_lshlrev_b32_e32 v44, 2, v44
	ds_load_b32 v44, v44
	s_wait_dscnt 0x0
	v_add_nc_u32_e32 v44, v44, v92
	s_delay_alu instid0(VALU_DEP_1) | instskip(NEXT) | instid1(VALU_DEP_1)
	v_lshlrev_b64_e32 v[44:45], 3, v[44:45]
	v_add_co_u32 v44, s29, s38, v44
	s_wait_alu 0xf1ff
	s_delay_alu instid0(VALU_DEP_2)
	v_add_co_ci_u32_e64 v45, null, s39, v45, s29
	global_store_b64 v[44:45], v[36:37], off
	s_wait_alu 0xfffe
	s_or_b32 exec_lo, exec_lo, s30
	v_cmp_lt_u32_e64 s29, v93, v162
	s_and_saveexec_b32 s58, s29
	s_cbranch_execnz .LBB710_190
	s_branch .LBB710_191
.LBB710_258:                            ;   in Loop: Header=BB710_96 Depth=2
	global_load_b64 v[34:35], v[36:37], off
	s_wait_alu 0xfffe
	s_or_b32 exec_lo, exec_lo, s30
	s_delay_alu instid0(SALU_CYCLE_1)
	s_mov_b32 s34, exec_lo
	v_cmpx_lt_u32_e64 v128, v162
	s_cbranch_execz .LBB710_193
.LBB710_259:                            ;   in Loop: Header=BB710_96 Depth=2
	global_load_b64 v[32:33], v[36:37], off offset:256
	s_wait_alu 0xfffe
	s_or_b32 exec_lo, exec_lo, s34
	s_delay_alu instid0(SALU_CYCLE_1)
	s_mov_b32 s34, exec_lo
	v_cmpx_lt_u32_e64 v129, v162
	s_cbranch_execz .LBB710_194
.LBB710_260:                            ;   in Loop: Header=BB710_96 Depth=2
	global_load_b64 v[30:31], v[36:37], off offset:512
	s_wait_alu 0xfffe
	s_or_b32 exec_lo, exec_lo, s34
	s_delay_alu instid0(SALU_CYCLE_1)
	s_mov_b32 s34, exec_lo
	v_cmpx_lt_u32_e64 v130, v162
	s_cbranch_execz .LBB710_195
.LBB710_261:                            ;   in Loop: Header=BB710_96 Depth=2
	global_load_b64 v[28:29], v[36:37], off offset:768
	s_wait_alu 0xfffe
	s_or_b32 exec_lo, exec_lo, s34
	s_delay_alu instid0(SALU_CYCLE_1)
	s_mov_b32 s34, exec_lo
	v_cmpx_lt_u32_e64 v131, v162
	s_cbranch_execz .LBB710_196
.LBB710_262:                            ;   in Loop: Header=BB710_96 Depth=2
	global_load_b64 v[26:27], v[36:37], off offset:1024
	s_wait_alu 0xfffe
	s_or_b32 exec_lo, exec_lo, s34
	s_delay_alu instid0(SALU_CYCLE_1)
	s_mov_b32 s34, exec_lo
	v_cmpx_lt_u32_e64 v132, v162
	s_cbranch_execz .LBB710_197
.LBB710_263:                            ;   in Loop: Header=BB710_96 Depth=2
	global_load_b64 v[24:25], v[36:37], off offset:1280
	s_wait_alu 0xfffe
	s_or_b32 exec_lo, exec_lo, s34
	s_delay_alu instid0(SALU_CYCLE_1)
	s_mov_b32 s34, exec_lo
	v_cmpx_lt_u32_e64 v133, v162
	s_cbranch_execz .LBB710_198
.LBB710_264:                            ;   in Loop: Header=BB710_96 Depth=2
	global_load_b64 v[22:23], v[36:37], off offset:1536
	s_wait_alu 0xfffe
	s_or_b32 exec_lo, exec_lo, s34
	s_delay_alu instid0(SALU_CYCLE_1)
	s_mov_b32 s34, exec_lo
	v_cmpx_lt_u32_e64 v134, v162
	s_cbranch_execz .LBB710_199
.LBB710_265:                            ;   in Loop: Header=BB710_96 Depth=2
	global_load_b64 v[20:21], v[36:37], off offset:1792
	s_wait_alu 0xfffe
	s_or_b32 exec_lo, exec_lo, s34
	s_delay_alu instid0(SALU_CYCLE_1)
	s_mov_b32 s34, exec_lo
	v_cmpx_lt_u32_e64 v135, v162
	s_cbranch_execz .LBB710_200
.LBB710_266:                            ;   in Loop: Header=BB710_96 Depth=2
	global_load_b64 v[18:19], v[36:37], off offset:2048
	s_wait_alu 0xfffe
	s_or_b32 exec_lo, exec_lo, s34
	s_delay_alu instid0(SALU_CYCLE_1)
	s_mov_b32 s34, exec_lo
	v_cmpx_lt_u32_e64 v136, v162
	s_cbranch_execz .LBB710_201
.LBB710_267:                            ;   in Loop: Header=BB710_96 Depth=2
	global_load_b64 v[16:17], v[36:37], off offset:2304
	s_wait_alu 0xfffe
	s_or_b32 exec_lo, exec_lo, s34
	s_delay_alu instid0(SALU_CYCLE_1)
	s_mov_b32 s34, exec_lo
	v_cmpx_lt_u32_e64 v137, v162
	s_cbranch_execz .LBB710_202
.LBB710_268:                            ;   in Loop: Header=BB710_96 Depth=2
	global_load_b64 v[14:15], v[36:37], off offset:2560
	s_wait_alu 0xfffe
	s_or_b32 exec_lo, exec_lo, s34
	s_delay_alu instid0(SALU_CYCLE_1)
	s_mov_b32 s34, exec_lo
	v_cmpx_lt_u32_e64 v138, v162
	s_cbranch_execz .LBB710_203
.LBB710_269:                            ;   in Loop: Header=BB710_96 Depth=2
	global_load_b64 v[12:13], v[36:37], off offset:2816
	s_wait_alu 0xfffe
	s_or_b32 exec_lo, exec_lo, s34
	s_delay_alu instid0(SALU_CYCLE_1)
	s_mov_b32 s34, exec_lo
	v_cmpx_lt_u32_e64 v139, v162
	s_cbranch_execz .LBB710_204
.LBB710_270:                            ;   in Loop: Header=BB710_96 Depth=2
	global_load_b64 v[10:11], v[36:37], off offset:3072
	s_wait_alu 0xfffe
	s_or_b32 exec_lo, exec_lo, s34
	s_delay_alu instid0(SALU_CYCLE_1)
	s_mov_b32 s34, exec_lo
	v_cmpx_lt_u32_e64 v140, v162
	s_cbranch_execz .LBB710_205
.LBB710_271:                            ;   in Loop: Header=BB710_96 Depth=2
	global_load_b64 v[8:9], v[36:37], off offset:3328
	s_wait_alu 0xfffe
	s_or_b32 exec_lo, exec_lo, s34
	s_delay_alu instid0(SALU_CYCLE_1)
	s_mov_b32 s34, exec_lo
	v_cmpx_lt_u32_e64 v141, v162
	s_cbranch_execz .LBB710_206
.LBB710_272:                            ;   in Loop: Header=BB710_96 Depth=2
	global_load_b64 v[6:7], v[36:37], off offset:3584
	s_wait_alu 0xfffe
	s_or_b32 exec_lo, exec_lo, s34
	s_delay_alu instid0(SALU_CYCLE_1)
	s_mov_b32 s34, exec_lo
	v_cmpx_lt_u32_e64 v142, v162
	s_cbranch_execz .LBB710_207
.LBB710_273:                            ;   in Loop: Header=BB710_96 Depth=2
	global_load_b64 v[4:5], v[36:37], off offset:3840
	s_wait_alu 0xfffe
	s_or_b32 exec_lo, exec_lo, s34
	s_and_saveexec_b32 s30, vcc_lo
	s_cbranch_execz .LBB710_208
.LBB710_274:                            ;   in Loop: Header=BB710_96 Depth=2
	ds_load_b64 v[36:37], v108 offset:1024
	s_wait_dscnt 0x0
	v_lshrrev_b64 v[36:37], s48, v[36:37]
	s_delay_alu instid0(VALU_DEP_1)
	v_and_b32_e32 v161, s55, v36
	s_wait_alu 0xfffe
	s_or_b32 exec_lo, exec_lo, s30
	s_and_saveexec_b32 s30, s15
	s_cbranch_execz .LBB710_209
.LBB710_275:                            ;   in Loop: Header=BB710_96 Depth=2
	ds_load_b64 v[36:37], v108 offset:3072
	s_wait_dscnt 0x0
	v_lshrrev_b64 v[36:37], s48, v[36:37]
	s_delay_alu instid0(VALU_DEP_1)
	v_and_b32_e32 v160, s55, v36
	s_wait_alu 0xfffe
	s_or_b32 exec_lo, exec_lo, s30
	s_and_saveexec_b32 s30, s16
	s_cbranch_execz .LBB710_210
.LBB710_276:                            ;   in Loop: Header=BB710_96 Depth=2
	ds_load_b64 v[36:37], v108 offset:5120
	s_wait_dscnt 0x0
	v_lshrrev_b64 v[36:37], s48, v[36:37]
	s_delay_alu instid0(VALU_DEP_1)
	v_and_b32_e32 v159, s55, v36
	s_wait_alu 0xfffe
	s_or_b32 exec_lo, exec_lo, s30
	s_and_saveexec_b32 s30, s17
	s_cbranch_execz .LBB710_211
.LBB710_277:                            ;   in Loop: Header=BB710_96 Depth=2
	ds_load_b64 v[36:37], v108 offset:7168
	s_wait_dscnt 0x0
	v_lshrrev_b64 v[36:37], s48, v[36:37]
	s_delay_alu instid0(VALU_DEP_1)
	v_and_b32_e32 v158, s55, v36
	s_wait_alu 0xfffe
	s_or_b32 exec_lo, exec_lo, s30
	s_and_saveexec_b32 s30, s18
	s_cbranch_execz .LBB710_212
.LBB710_278:                            ;   in Loop: Header=BB710_96 Depth=2
	ds_load_b64 v[36:37], v108 offset:9216
	s_wait_dscnt 0x0
	v_lshrrev_b64 v[36:37], s48, v[36:37]
	s_delay_alu instid0(VALU_DEP_1)
	v_and_b32_e32 v157, s55, v36
	s_wait_alu 0xfffe
	s_or_b32 exec_lo, exec_lo, s30
	s_and_saveexec_b32 s30, s19
	s_cbranch_execz .LBB710_213
.LBB710_279:                            ;   in Loop: Header=BB710_96 Depth=2
	ds_load_b64 v[36:37], v108 offset:11264
	s_wait_dscnt 0x0
	v_lshrrev_b64 v[36:37], s48, v[36:37]
	s_delay_alu instid0(VALU_DEP_1)
	v_and_b32_e32 v156, s55, v36
	s_wait_alu 0xfffe
	s_or_b32 exec_lo, exec_lo, s30
	s_and_saveexec_b32 s30, s20
	s_cbranch_execz .LBB710_214
.LBB710_280:                            ;   in Loop: Header=BB710_96 Depth=2
	ds_load_b64 v[36:37], v108 offset:13312
	s_wait_dscnt 0x0
	v_lshrrev_b64 v[36:37], s48, v[36:37]
	s_delay_alu instid0(VALU_DEP_1)
	v_and_b32_e32 v155, s55, v36
	s_wait_alu 0xfffe
	s_or_b32 exec_lo, exec_lo, s30
	s_and_saveexec_b32 s30, s21
	s_cbranch_execz .LBB710_215
.LBB710_281:                            ;   in Loop: Header=BB710_96 Depth=2
	ds_load_b64 v[36:37], v108 offset:15360
	s_wait_dscnt 0x0
	v_lshrrev_b64 v[36:37], s48, v[36:37]
	s_delay_alu instid0(VALU_DEP_1)
	v_and_b32_e32 v154, s55, v36
	s_wait_alu 0xfffe
	s_or_b32 exec_lo, exec_lo, s30
	s_and_saveexec_b32 s30, s22
	s_cbranch_execz .LBB710_216
.LBB710_282:                            ;   in Loop: Header=BB710_96 Depth=2
	ds_load_b64 v[36:37], v108 offset:17408
	s_wait_dscnt 0x0
	v_lshrrev_b64 v[36:37], s48, v[36:37]
	s_delay_alu instid0(VALU_DEP_1)
	v_and_b32_e32 v153, s55, v36
	s_wait_alu 0xfffe
	s_or_b32 exec_lo, exec_lo, s30
	s_and_saveexec_b32 s30, s23
	s_cbranch_execz .LBB710_217
.LBB710_283:                            ;   in Loop: Header=BB710_96 Depth=2
	ds_load_b64 v[36:37], v108 offset:19456
	s_wait_dscnt 0x0
	v_lshrrev_b64 v[36:37], s48, v[36:37]
	s_delay_alu instid0(VALU_DEP_1)
	v_and_b32_e32 v152, s55, v36
	s_wait_alu 0xfffe
	s_or_b32 exec_lo, exec_lo, s30
	s_and_saveexec_b32 s30, s24
	s_cbranch_execz .LBB710_218
.LBB710_284:                            ;   in Loop: Header=BB710_96 Depth=2
	ds_load_b64 v[36:37], v108 offset:21504
	s_wait_dscnt 0x0
	v_lshrrev_b64 v[36:37], s48, v[36:37]
	s_delay_alu instid0(VALU_DEP_1)
	v_and_b32_e32 v151, s55, v36
	s_wait_alu 0xfffe
	s_or_b32 exec_lo, exec_lo, s30
	s_and_saveexec_b32 s30, s25
	s_cbranch_execz .LBB710_219
.LBB710_285:                            ;   in Loop: Header=BB710_96 Depth=2
	ds_load_b64 v[36:37], v108 offset:23552
	s_wait_dscnt 0x0
	v_lshrrev_b64 v[36:37], s48, v[36:37]
	s_delay_alu instid0(VALU_DEP_1)
	v_and_b32_e32 v150, s55, v36
	s_wait_alu 0xfffe
	s_or_b32 exec_lo, exec_lo, s30
	s_and_saveexec_b32 s30, s26
	s_cbranch_execz .LBB710_220
.LBB710_286:                            ;   in Loop: Header=BB710_96 Depth=2
	ds_load_b64 v[36:37], v108 offset:25600
	s_wait_dscnt 0x0
	v_lshrrev_b64 v[36:37], s48, v[36:37]
	s_delay_alu instid0(VALU_DEP_1)
	v_and_b32_e32 v149, s55, v36
	s_wait_alu 0xfffe
	s_or_b32 exec_lo, exec_lo, s30
	s_and_saveexec_b32 s30, s27
	s_cbranch_execz .LBB710_221
.LBB710_287:                            ;   in Loop: Header=BB710_96 Depth=2
	ds_load_b64 v[36:37], v108 offset:27648
	s_wait_dscnt 0x0
	v_lshrrev_b64 v[36:37], s48, v[36:37]
	s_delay_alu instid0(VALU_DEP_1)
	v_and_b32_e32 v148, s55, v36
	s_wait_alu 0xfffe
	s_or_b32 exec_lo, exec_lo, s30
	s_and_saveexec_b32 s30, s28
	s_cbranch_execz .LBB710_222
.LBB710_288:                            ;   in Loop: Header=BB710_96 Depth=2
	ds_load_b64 v[36:37], v108 offset:29696
	s_wait_dscnt 0x0
	v_lshrrev_b64 v[36:37], s48, v[36:37]
	s_delay_alu instid0(VALU_DEP_1)
	v_and_b32_e32 v147, s55, v36
	s_wait_alu 0xfffe
	s_or_b32 exec_lo, exec_lo, s30
	s_and_saveexec_b32 s30, s29
	s_cbranch_execnz .LBB710_223
	s_branch .LBB710_224
.LBB710_289:                            ;   in Loop: Header=BB710_96 Depth=2
	v_dual_mov_b32 v39, v2 :: v_dual_lshlrev_b32 v36, 2, v161
	ds_load_b32 v38, v36
	ds_load_b64 v[36:37], v108 offset:1024
	s_wait_dscnt 0x1
	v_add_nc_u32_e32 v38, v38, v1
	s_delay_alu instid0(VALU_DEP_1) | instskip(NEXT) | instid1(VALU_DEP_1)
	v_lshlrev_b64_e32 v[38:39], 3, v[38:39]
	v_add_co_u32 v38, vcc_lo, s44, v38
	s_wait_alu 0xfffd
	s_delay_alu instid0(VALU_DEP_2)
	v_add_co_ci_u32_e64 v39, null, s45, v39, vcc_lo
	s_wait_dscnt 0x0
	global_store_b64 v[38:39], v[36:37], off
	s_wait_alu 0xfffe
	s_or_b32 exec_lo, exec_lo, s30
	s_and_saveexec_b32 s30, s15
	s_cbranch_execz .LBB710_226
.LBB710_290:                            ;   in Loop: Header=BB710_96 Depth=2
	v_dual_mov_b32 v39, v2 :: v_dual_lshlrev_b32 v36, 2, v160
	ds_load_b32 v38, v36
	ds_load_b64 v[36:37], v108 offset:3072
	s_wait_dscnt 0x1
	v_add_nc_u32_e32 v38, v38, v77
	s_delay_alu instid0(VALU_DEP_1) | instskip(NEXT) | instid1(VALU_DEP_1)
	v_lshlrev_b64_e32 v[38:39], 3, v[38:39]
	v_add_co_u32 v38, vcc_lo, s44, v38
	s_wait_alu 0xfffd
	s_delay_alu instid0(VALU_DEP_2)
	v_add_co_ci_u32_e64 v39, null, s45, v39, vcc_lo
	s_wait_dscnt 0x0
	global_store_b64 v[38:39], v[36:37], off
	s_wait_alu 0xfffe
	s_or_b32 exec_lo, exec_lo, s30
	s_and_saveexec_b32 s15, s16
	s_cbranch_execz .LBB710_227
.LBB710_291:                            ;   in Loop: Header=BB710_96 Depth=2
	v_dual_mov_b32 v39, v2 :: v_dual_lshlrev_b32 v36, 2, v159
	ds_load_b32 v38, v36
	ds_load_b64 v[36:37], v108 offset:5120
	s_wait_dscnt 0x1
	v_add_nc_u32_e32 v38, v38, v78
	s_delay_alu instid0(VALU_DEP_1) | instskip(NEXT) | instid1(VALU_DEP_1)
	v_lshlrev_b64_e32 v[38:39], 3, v[38:39]
	v_add_co_u32 v38, vcc_lo, s44, v38
	s_wait_alu 0xfffd
	s_delay_alu instid0(VALU_DEP_2)
	v_add_co_ci_u32_e64 v39, null, s45, v39, vcc_lo
	s_wait_dscnt 0x0
	global_store_b64 v[38:39], v[36:37], off
	s_wait_alu 0xfffe
	s_or_b32 exec_lo, exec_lo, s15
	s_and_saveexec_b32 s15, s17
	s_cbranch_execz .LBB710_228
.LBB710_292:                            ;   in Loop: Header=BB710_96 Depth=2
	v_dual_mov_b32 v39, v2 :: v_dual_lshlrev_b32 v36, 2, v158
	ds_load_b32 v38, v36
	ds_load_b64 v[36:37], v108 offset:7168
	s_wait_dscnt 0x1
	v_add_nc_u32_e32 v38, v38, v79
	s_delay_alu instid0(VALU_DEP_1) | instskip(NEXT) | instid1(VALU_DEP_1)
	v_lshlrev_b64_e32 v[38:39], 3, v[38:39]
	v_add_co_u32 v38, vcc_lo, s44, v38
	s_wait_alu 0xfffd
	s_delay_alu instid0(VALU_DEP_2)
	v_add_co_ci_u32_e64 v39, null, s45, v39, vcc_lo
	s_wait_dscnt 0x0
	global_store_b64 v[38:39], v[36:37], off
	s_wait_alu 0xfffe
	s_or_b32 exec_lo, exec_lo, s15
	s_and_saveexec_b32 s15, s18
	s_cbranch_execz .LBB710_229
.LBB710_293:                            ;   in Loop: Header=BB710_96 Depth=2
	v_dual_mov_b32 v39, v2 :: v_dual_lshlrev_b32 v36, 2, v157
	ds_load_b32 v38, v36
	ds_load_b64 v[36:37], v108 offset:9216
	s_wait_dscnt 0x1
	v_add_nc_u32_e32 v38, v38, v82
	s_delay_alu instid0(VALU_DEP_1) | instskip(NEXT) | instid1(VALU_DEP_1)
	v_lshlrev_b64_e32 v[38:39], 3, v[38:39]
	v_add_co_u32 v38, vcc_lo, s44, v38
	s_wait_alu 0xfffd
	s_delay_alu instid0(VALU_DEP_2)
	v_add_co_ci_u32_e64 v39, null, s45, v39, vcc_lo
	s_wait_dscnt 0x0
	global_store_b64 v[38:39], v[36:37], off
	s_wait_alu 0xfffe
	s_or_b32 exec_lo, exec_lo, s15
	s_and_saveexec_b32 s15, s19
	s_cbranch_execz .LBB710_230
.LBB710_294:                            ;   in Loop: Header=BB710_96 Depth=2
	v_dual_mov_b32 v39, v2 :: v_dual_lshlrev_b32 v36, 2, v156
	ds_load_b32 v38, v36
	ds_load_b64 v[36:37], v108 offset:11264
	s_wait_dscnt 0x1
	v_add_nc_u32_e32 v38, v38, v83
	s_delay_alu instid0(VALU_DEP_1) | instskip(NEXT) | instid1(VALU_DEP_1)
	v_lshlrev_b64_e32 v[38:39], 3, v[38:39]
	v_add_co_u32 v38, vcc_lo, s44, v38
	s_wait_alu 0xfffd
	s_delay_alu instid0(VALU_DEP_2)
	v_add_co_ci_u32_e64 v39, null, s45, v39, vcc_lo
	s_wait_dscnt 0x0
	global_store_b64 v[38:39], v[36:37], off
	s_wait_alu 0xfffe
	s_or_b32 exec_lo, exec_lo, s15
	s_and_saveexec_b32 s15, s20
	s_cbranch_execz .LBB710_231
.LBB710_295:                            ;   in Loop: Header=BB710_96 Depth=2
	v_dual_mov_b32 v39, v2 :: v_dual_lshlrev_b32 v36, 2, v155
	ds_load_b32 v38, v36
	ds_load_b64 v[36:37], v108 offset:13312
	s_wait_dscnt 0x1
	v_add_nc_u32_e32 v38, v38, v84
	s_delay_alu instid0(VALU_DEP_1) | instskip(NEXT) | instid1(VALU_DEP_1)
	v_lshlrev_b64_e32 v[38:39], 3, v[38:39]
	v_add_co_u32 v38, vcc_lo, s44, v38
	s_wait_alu 0xfffd
	s_delay_alu instid0(VALU_DEP_2)
	v_add_co_ci_u32_e64 v39, null, s45, v39, vcc_lo
	s_wait_dscnt 0x0
	global_store_b64 v[38:39], v[36:37], off
	s_wait_alu 0xfffe
	s_or_b32 exec_lo, exec_lo, s15
	s_and_saveexec_b32 s15, s21
	s_cbranch_execz .LBB710_232
.LBB710_296:                            ;   in Loop: Header=BB710_96 Depth=2
	v_dual_mov_b32 v39, v2 :: v_dual_lshlrev_b32 v36, 2, v154
	ds_load_b32 v38, v36
	ds_load_b64 v[36:37], v108 offset:15360
	s_wait_dscnt 0x1
	v_add_nc_u32_e32 v38, v38, v85
	s_delay_alu instid0(VALU_DEP_1) | instskip(NEXT) | instid1(VALU_DEP_1)
	v_lshlrev_b64_e32 v[38:39], 3, v[38:39]
	v_add_co_u32 v38, vcc_lo, s44, v38
	s_wait_alu 0xfffd
	s_delay_alu instid0(VALU_DEP_2)
	v_add_co_ci_u32_e64 v39, null, s45, v39, vcc_lo
	s_wait_dscnt 0x0
	global_store_b64 v[38:39], v[36:37], off
	s_wait_alu 0xfffe
	s_or_b32 exec_lo, exec_lo, s15
	s_and_saveexec_b32 s15, s22
	s_cbranch_execz .LBB710_233
.LBB710_297:                            ;   in Loop: Header=BB710_96 Depth=2
	v_dual_mov_b32 v39, v2 :: v_dual_lshlrev_b32 v36, 2, v153
	ds_load_b32 v38, v36
	ds_load_b64 v[36:37], v108 offset:17408
	s_wait_dscnt 0x1
	v_add_nc_u32_e32 v38, v38, v86
	s_delay_alu instid0(VALU_DEP_1) | instskip(NEXT) | instid1(VALU_DEP_1)
	v_lshlrev_b64_e32 v[38:39], 3, v[38:39]
	v_add_co_u32 v38, vcc_lo, s44, v38
	s_wait_alu 0xfffd
	s_delay_alu instid0(VALU_DEP_2)
	v_add_co_ci_u32_e64 v39, null, s45, v39, vcc_lo
	s_wait_dscnt 0x0
	global_store_b64 v[38:39], v[36:37], off
	s_wait_alu 0xfffe
	s_or_b32 exec_lo, exec_lo, s15
	s_and_saveexec_b32 s15, s23
	s_cbranch_execz .LBB710_234
.LBB710_298:                            ;   in Loop: Header=BB710_96 Depth=2
	v_dual_mov_b32 v39, v2 :: v_dual_lshlrev_b32 v36, 2, v152
	ds_load_b32 v38, v36
	ds_load_b64 v[36:37], v108 offset:19456
	s_wait_dscnt 0x1
	v_add_nc_u32_e32 v38, v38, v87
	s_delay_alu instid0(VALU_DEP_1) | instskip(NEXT) | instid1(VALU_DEP_1)
	v_lshlrev_b64_e32 v[38:39], 3, v[38:39]
	v_add_co_u32 v38, vcc_lo, s44, v38
	s_wait_alu 0xfffd
	s_delay_alu instid0(VALU_DEP_2)
	v_add_co_ci_u32_e64 v39, null, s45, v39, vcc_lo
	s_wait_dscnt 0x0
	global_store_b64 v[38:39], v[36:37], off
	s_wait_alu 0xfffe
	s_or_b32 exec_lo, exec_lo, s15
	s_and_saveexec_b32 s15, s24
	s_cbranch_execz .LBB710_235
.LBB710_299:                            ;   in Loop: Header=BB710_96 Depth=2
	v_dual_mov_b32 v39, v2 :: v_dual_lshlrev_b32 v36, 2, v151
	ds_load_b32 v38, v36
	ds_load_b64 v[36:37], v108 offset:21504
	s_wait_dscnt 0x1
	v_add_nc_u32_e32 v38, v38, v88
	s_delay_alu instid0(VALU_DEP_1) | instskip(NEXT) | instid1(VALU_DEP_1)
	v_lshlrev_b64_e32 v[38:39], 3, v[38:39]
	v_add_co_u32 v38, vcc_lo, s44, v38
	s_wait_alu 0xfffd
	s_delay_alu instid0(VALU_DEP_2)
	v_add_co_ci_u32_e64 v39, null, s45, v39, vcc_lo
	s_wait_dscnt 0x0
	global_store_b64 v[38:39], v[36:37], off
	s_wait_alu 0xfffe
	s_or_b32 exec_lo, exec_lo, s15
	s_and_saveexec_b32 s15, s25
	s_cbranch_execz .LBB710_236
.LBB710_300:                            ;   in Loop: Header=BB710_96 Depth=2
	v_dual_mov_b32 v39, v2 :: v_dual_lshlrev_b32 v36, 2, v150
	ds_load_b32 v38, v36
	ds_load_b64 v[36:37], v108 offset:23552
	s_wait_dscnt 0x1
	v_add_nc_u32_e32 v38, v38, v89
	s_delay_alu instid0(VALU_DEP_1) | instskip(NEXT) | instid1(VALU_DEP_1)
	v_lshlrev_b64_e32 v[38:39], 3, v[38:39]
	v_add_co_u32 v38, vcc_lo, s44, v38
	s_wait_alu 0xfffd
	s_delay_alu instid0(VALU_DEP_2)
	v_add_co_ci_u32_e64 v39, null, s45, v39, vcc_lo
	s_wait_dscnt 0x0
	global_store_b64 v[38:39], v[36:37], off
	s_wait_alu 0xfffe
	s_or_b32 exec_lo, exec_lo, s15
	s_and_saveexec_b32 s15, s26
	s_cbranch_execz .LBB710_237
.LBB710_301:                            ;   in Loop: Header=BB710_96 Depth=2
	v_dual_mov_b32 v39, v2 :: v_dual_lshlrev_b32 v36, 2, v149
	ds_load_b32 v38, v36
	ds_load_b64 v[36:37], v108 offset:25600
	s_wait_dscnt 0x1
	v_add_nc_u32_e32 v38, v38, v90
	s_delay_alu instid0(VALU_DEP_1) | instskip(NEXT) | instid1(VALU_DEP_1)
	v_lshlrev_b64_e32 v[38:39], 3, v[38:39]
	v_add_co_u32 v38, vcc_lo, s44, v38
	s_wait_alu 0xfffd
	s_delay_alu instid0(VALU_DEP_2)
	v_add_co_ci_u32_e64 v39, null, s45, v39, vcc_lo
	s_wait_dscnt 0x0
	global_store_b64 v[38:39], v[36:37], off
	s_wait_alu 0xfffe
	s_or_b32 exec_lo, exec_lo, s15
	s_and_saveexec_b32 s15, s27
	s_cbranch_execz .LBB710_238
.LBB710_302:                            ;   in Loop: Header=BB710_96 Depth=2
	v_dual_mov_b32 v39, v2 :: v_dual_lshlrev_b32 v36, 2, v148
	ds_load_b32 v38, v36
	ds_load_b64 v[36:37], v108 offset:27648
	s_wait_dscnt 0x1
	v_add_nc_u32_e32 v38, v38, v91
	s_delay_alu instid0(VALU_DEP_1) | instskip(NEXT) | instid1(VALU_DEP_1)
	v_lshlrev_b64_e32 v[38:39], 3, v[38:39]
	v_add_co_u32 v38, vcc_lo, s44, v38
	s_wait_alu 0xfffd
	s_delay_alu instid0(VALU_DEP_2)
	v_add_co_ci_u32_e64 v39, null, s45, v39, vcc_lo
	s_wait_dscnt 0x0
	global_store_b64 v[38:39], v[36:37], off
	s_wait_alu 0xfffe
	s_or_b32 exec_lo, exec_lo, s15
	s_and_saveexec_b32 s15, s28
	s_cbranch_execz .LBB710_239
.LBB710_303:                            ;   in Loop: Header=BB710_96 Depth=2
	v_dual_mov_b32 v39, v2 :: v_dual_lshlrev_b32 v36, 2, v147
	ds_load_b32 v38, v36
	ds_load_b64 v[36:37], v108 offset:29696
	s_wait_dscnt 0x1
	v_add_nc_u32_e32 v38, v38, v92
	s_delay_alu instid0(VALU_DEP_1) | instskip(NEXT) | instid1(VALU_DEP_1)
	v_lshlrev_b64_e32 v[38:39], 3, v[38:39]
	v_add_co_u32 v38, vcc_lo, s44, v38
	s_wait_alu 0xfffd
	s_delay_alu instid0(VALU_DEP_2)
	v_add_co_ci_u32_e64 v39, null, s45, v39, vcc_lo
	s_wait_dscnt 0x0
	global_store_b64 v[38:39], v[36:37], off
	s_wait_alu 0xfffe
	s_or_b32 exec_lo, exec_lo, s15
	s_and_saveexec_b32 s15, s29
	s_cbranch_execnz .LBB710_240
	s_branch .LBB710_241
.LBB710_304:                            ;   in Loop: Header=BB710_12 Depth=1
	s_wait_loadcnt_dscnt 0x0
	s_barrier_signal -1
	s_mov_b32 s0, 0
	s_barrier_wait -1
.LBB710_305:                            ;   in Loop: Header=BB710_12 Depth=1
	s_wait_alu 0xfffe
	s_and_b32 vcc_lo, exec_lo, s0
	s_wait_alu 0xfffe
	s_cbranch_vccz .LBB710_597
; %bb.306:                              ;   in Loop: Header=BB710_12 Depth=1
	s_mov_b32 s8, s53
	s_mov_b32 s34, s33
	s_barrier_signal -1
	s_barrier_wait -1
	global_inv scope:SCOPE_SE
                                        ; implicit-def: $vgpr4_vgpr5
                                        ; implicit-def: $vgpr6_vgpr7
                                        ; implicit-def: $vgpr8_vgpr9
                                        ; implicit-def: $vgpr10_vgpr11
                                        ; implicit-def: $vgpr12_vgpr13
                                        ; implicit-def: $vgpr14_vgpr15
                                        ; implicit-def: $vgpr16_vgpr17
                                        ; implicit-def: $vgpr18_vgpr19
                                        ; implicit-def: $vgpr20_vgpr21
                                        ; implicit-def: $vgpr22_vgpr23
                                        ; implicit-def: $vgpr24_vgpr25
                                        ; implicit-def: $vgpr26_vgpr27
                                        ; implicit-def: $vgpr28_vgpr29
                                        ; implicit-def: $vgpr30_vgpr31
                                        ; implicit-def: $vgpr32_vgpr33
                                        ; implicit-def: $vgpr34_vgpr35
	s_branch .LBB710_308
.LBB710_307:                            ;   in Loop: Header=BB710_308 Depth=2
	s_wait_alu 0xfffe
	s_or_b32 exec_lo, exec_lo, s0
	s_addk_co_i32 s8, 0xf000
	s_cmp_ge_u32 s9, s51
	s_mov_b32 s34, s9
	s_cbranch_scc1 .LBB710_376
.LBB710_308:                            ;   Parent Loop BB710_12 Depth=1
                                        ; =>  This Inner Loop Header: Depth=2
	s_wait_alu 0xfffe
	s_add_co_i32 s9, s34, 0x1000
	s_mov_b32 s0, -1
	s_wait_alu 0xfffe
	s_cmp_gt_u32 s9, s51
                                        ; implicit-def: $vgpr36_vgpr37
                                        ; implicit-def: $vgpr38_vgpr39
                                        ; implicit-def: $vgpr40_vgpr41
                                        ; implicit-def: $vgpr42_vgpr43
                                        ; implicit-def: $vgpr44_vgpr45
                                        ; implicit-def: $vgpr46_vgpr47
                                        ; implicit-def: $vgpr48_vgpr49
                                        ; implicit-def: $vgpr50_vgpr51
                                        ; implicit-def: $vgpr52_vgpr53
                                        ; implicit-def: $vgpr54_vgpr55
                                        ; implicit-def: $vgpr56_vgpr57
                                        ; implicit-def: $vgpr58_vgpr59
                                        ; implicit-def: $vgpr60_vgpr61
                                        ; implicit-def: $vgpr62_vgpr63
                                        ; implicit-def: $vgpr64_vgpr65
                                        ; implicit-def: $vgpr66_vgpr67
	s_cbranch_scc1 .LBB710_310
; %bb.309:                              ;   in Loop: Header=BB710_308 Depth=2
	s_lshl_b64 s[0:1], s[34:35], 3
	s_wait_alu 0xfffe
	v_add_co_u32 v66, vcc_lo, v109, s0
	s_wait_alu 0xfffd
	v_add_co_ci_u32_e64 v67, null, s1, v110, vcc_lo
	s_mov_b32 s0, 0
	s_clause 0xf
	global_load_b64 v[36:37], v[66:67], off
	global_load_b64 v[38:39], v[66:67], off offset:2048
	global_load_b64 v[40:41], v[66:67], off offset:4096
	;; [unrolled: 1-line block ×15, first 2 shown]
.LBB710_310:                            ;   in Loop: Header=BB710_308 Depth=2
	s_wait_alu 0xfffe
	s_and_not1_b32 vcc_lo, exec_lo, s0
	s_movk_i32 s0, 0x1000
	s_wait_alu 0xfffe
	s_cbranch_vccnz .LBB710_329
; %bb.311:                              ;   in Loop: Header=BB710_308 Depth=2
	s_lshl_b64 s[0:1], s[34:35], 3
	s_mov_b32 s10, exec_lo
	s_wait_alu 0xfffe
	s_add_nc_u64 s[0:1], s[38:39], s[0:1]
	v_cmpx_gt_u32_e64 s8, v1
	s_cbranch_execnz .LBB710_361
; %bb.312:                              ;   in Loop: Header=BB710_308 Depth=2
	s_or_b32 exec_lo, exec_lo, s10
	s_delay_alu instid0(SALU_CYCLE_1)
	s_mov_b32 s10, exec_lo
	v_cmpx_gt_u32_e64 s8, v77
	s_cbranch_execnz .LBB710_362
.LBB710_313:                            ;   in Loop: Header=BB710_308 Depth=2
	s_wait_alu 0xfffe
	s_or_b32 exec_lo, exec_lo, s10
	s_delay_alu instid0(SALU_CYCLE_1)
	s_mov_b32 s10, exec_lo
	v_cmpx_gt_u32_e64 s8, v78
	s_cbranch_execnz .LBB710_363
.LBB710_314:                            ;   in Loop: Header=BB710_308 Depth=2
	s_wait_alu 0xfffe
	s_or_b32 exec_lo, exec_lo, s10
	s_delay_alu instid0(SALU_CYCLE_1)
	s_mov_b32 s10, exec_lo
	v_cmpx_gt_u32_e64 s8, v79
	s_cbranch_execnz .LBB710_364
.LBB710_315:                            ;   in Loop: Header=BB710_308 Depth=2
	s_wait_alu 0xfffe
	s_or_b32 exec_lo, exec_lo, s10
	s_delay_alu instid0(SALU_CYCLE_1)
	s_mov_b32 s10, exec_lo
	v_cmpx_gt_u32_e64 s8, v82
	s_cbranch_execnz .LBB710_365
.LBB710_316:                            ;   in Loop: Header=BB710_308 Depth=2
	s_wait_alu 0xfffe
	s_or_b32 exec_lo, exec_lo, s10
	s_delay_alu instid0(SALU_CYCLE_1)
	s_mov_b32 s10, exec_lo
	v_cmpx_gt_u32_e64 s8, v83
	s_cbranch_execnz .LBB710_366
.LBB710_317:                            ;   in Loop: Header=BB710_308 Depth=2
	s_wait_alu 0xfffe
	s_or_b32 exec_lo, exec_lo, s10
	s_delay_alu instid0(SALU_CYCLE_1)
	s_mov_b32 s10, exec_lo
	v_cmpx_gt_u32_e64 s8, v84
	s_cbranch_execnz .LBB710_367
.LBB710_318:                            ;   in Loop: Header=BB710_308 Depth=2
	s_wait_alu 0xfffe
	s_or_b32 exec_lo, exec_lo, s10
	s_delay_alu instid0(SALU_CYCLE_1)
	s_mov_b32 s10, exec_lo
	v_cmpx_gt_u32_e64 s8, v85
	s_cbranch_execnz .LBB710_368
.LBB710_319:                            ;   in Loop: Header=BB710_308 Depth=2
	s_wait_alu 0xfffe
	s_or_b32 exec_lo, exec_lo, s10
	s_delay_alu instid0(SALU_CYCLE_1)
	s_mov_b32 s10, exec_lo
	v_cmpx_gt_u32_e64 s8, v86
	s_cbranch_execnz .LBB710_369
.LBB710_320:                            ;   in Loop: Header=BB710_308 Depth=2
	s_wait_alu 0xfffe
	s_or_b32 exec_lo, exec_lo, s10
	s_delay_alu instid0(SALU_CYCLE_1)
	s_mov_b32 s10, exec_lo
	v_cmpx_gt_u32_e64 s8, v87
	s_cbranch_execnz .LBB710_370
.LBB710_321:                            ;   in Loop: Header=BB710_308 Depth=2
	s_wait_alu 0xfffe
	s_or_b32 exec_lo, exec_lo, s10
	s_delay_alu instid0(SALU_CYCLE_1)
	s_mov_b32 s10, exec_lo
	v_cmpx_gt_u32_e64 s8, v88
	s_cbranch_execnz .LBB710_371
.LBB710_322:                            ;   in Loop: Header=BB710_308 Depth=2
	s_wait_alu 0xfffe
	s_or_b32 exec_lo, exec_lo, s10
	s_delay_alu instid0(SALU_CYCLE_1)
	s_mov_b32 s10, exec_lo
	v_cmpx_gt_u32_e64 s8, v89
	s_cbranch_execnz .LBB710_372
.LBB710_323:                            ;   in Loop: Header=BB710_308 Depth=2
	s_wait_alu 0xfffe
	s_or_b32 exec_lo, exec_lo, s10
	s_delay_alu instid0(SALU_CYCLE_1)
	s_mov_b32 s10, exec_lo
	v_cmpx_gt_u32_e64 s8, v90
	s_cbranch_execnz .LBB710_373
.LBB710_324:                            ;   in Loop: Header=BB710_308 Depth=2
	s_wait_alu 0xfffe
	s_or_b32 exec_lo, exec_lo, s10
	s_delay_alu instid0(SALU_CYCLE_1)
	s_mov_b32 s10, exec_lo
	v_cmpx_gt_u32_e64 s8, v91
	s_cbranch_execnz .LBB710_374
.LBB710_325:                            ;   in Loop: Header=BB710_308 Depth=2
	s_wait_alu 0xfffe
	s_or_b32 exec_lo, exec_lo, s10
	s_delay_alu instid0(SALU_CYCLE_1)
	s_mov_b32 s10, exec_lo
	v_cmpx_gt_u32_e64 s8, v92
	s_cbranch_execnz .LBB710_375
.LBB710_326:                            ;   in Loop: Header=BB710_308 Depth=2
	s_wait_alu 0xfffe
	s_or_b32 exec_lo, exec_lo, s10
	s_delay_alu instid0(SALU_CYCLE_1)
	s_mov_b32 s10, exec_lo
	v_cmpx_gt_u32_e64 s8, v93
	s_cbranch_execz .LBB710_328
.LBB710_327:                            ;   in Loop: Header=BB710_308 Depth=2
	global_load_b64 v[4:5], v122, s[0:1] offset:30720
.LBB710_328:                            ;   in Loop: Header=BB710_308 Depth=2
	s_wait_alu 0xfffe
	s_or_b32 exec_lo, exec_lo, s10
	s_wait_loadcnt 0x0
	v_dual_mov_b32 v37, v35 :: v_dual_mov_b32 v36, v34
	v_dual_mov_b32 v39, v33 :: v_dual_mov_b32 v38, v32
	;; [unrolled: 1-line block ×16, first 2 shown]
	s_mov_b32 s0, s8
.LBB710_329:                            ;   in Loop: Header=BB710_308 Depth=2
	s_wait_loadcnt 0x0
	s_delay_alu instid0(VALU_DEP_1)
	v_dual_mov_b32 v4, v66 :: v_dual_mov_b32 v5, v67
	v_dual_mov_b32 v6, v64 :: v_dual_mov_b32 v7, v65
	;; [unrolled: 1-line block ×16, first 2 shown]
	s_mov_b32 s1, exec_lo
	s_wait_alu 0xfffe
	v_cmpx_gt_u32_e64 s0, v1
	s_cbranch_execnz .LBB710_345
; %bb.330:                              ;   in Loop: Header=BB710_308 Depth=2
	s_or_b32 exec_lo, exec_lo, s1
	s_delay_alu instid0(SALU_CYCLE_1)
	s_mov_b32 s1, exec_lo
	v_cmpx_gt_u32_e64 s0, v77
	s_cbranch_execnz .LBB710_346
.LBB710_331:                            ;   in Loop: Header=BB710_308 Depth=2
	s_wait_alu 0xfffe
	s_or_b32 exec_lo, exec_lo, s1
	s_delay_alu instid0(SALU_CYCLE_1)
	s_mov_b32 s1, exec_lo
	v_cmpx_gt_u32_e64 s0, v78
	s_cbranch_execnz .LBB710_347
.LBB710_332:                            ;   in Loop: Header=BB710_308 Depth=2
	s_wait_alu 0xfffe
	s_or_b32 exec_lo, exec_lo, s1
	s_delay_alu instid0(SALU_CYCLE_1)
	s_mov_b32 s1, exec_lo
	v_cmpx_gt_u32_e64 s0, v79
	s_cbranch_execnz .LBB710_348
.LBB710_333:                            ;   in Loop: Header=BB710_308 Depth=2
	s_wait_alu 0xfffe
	s_or_b32 exec_lo, exec_lo, s1
	s_delay_alu instid0(SALU_CYCLE_1)
	s_mov_b32 s1, exec_lo
	v_cmpx_gt_u32_e64 s0, v82
	s_cbranch_execnz .LBB710_349
.LBB710_334:                            ;   in Loop: Header=BB710_308 Depth=2
	s_wait_alu 0xfffe
	s_or_b32 exec_lo, exec_lo, s1
	s_delay_alu instid0(SALU_CYCLE_1)
	s_mov_b32 s1, exec_lo
	v_cmpx_gt_u32_e64 s0, v83
	s_cbranch_execnz .LBB710_350
.LBB710_335:                            ;   in Loop: Header=BB710_308 Depth=2
	s_wait_alu 0xfffe
	s_or_b32 exec_lo, exec_lo, s1
	s_delay_alu instid0(SALU_CYCLE_1)
	s_mov_b32 s1, exec_lo
	v_cmpx_gt_u32_e64 s0, v84
	s_cbranch_execnz .LBB710_351
.LBB710_336:                            ;   in Loop: Header=BB710_308 Depth=2
	s_wait_alu 0xfffe
	s_or_b32 exec_lo, exec_lo, s1
	s_delay_alu instid0(SALU_CYCLE_1)
	s_mov_b32 s1, exec_lo
	v_cmpx_gt_u32_e64 s0, v85
	s_cbranch_execnz .LBB710_352
.LBB710_337:                            ;   in Loop: Header=BB710_308 Depth=2
	s_wait_alu 0xfffe
	s_or_b32 exec_lo, exec_lo, s1
	s_delay_alu instid0(SALU_CYCLE_1)
	s_mov_b32 s1, exec_lo
	v_cmpx_gt_u32_e64 s0, v86
	s_cbranch_execnz .LBB710_353
.LBB710_338:                            ;   in Loop: Header=BB710_308 Depth=2
	s_wait_alu 0xfffe
	s_or_b32 exec_lo, exec_lo, s1
	s_delay_alu instid0(SALU_CYCLE_1)
	s_mov_b32 s1, exec_lo
	v_cmpx_gt_u32_e64 s0, v87
	s_cbranch_execnz .LBB710_354
.LBB710_339:                            ;   in Loop: Header=BB710_308 Depth=2
	s_wait_alu 0xfffe
	s_or_b32 exec_lo, exec_lo, s1
	s_delay_alu instid0(SALU_CYCLE_1)
	s_mov_b32 s1, exec_lo
	v_cmpx_gt_u32_e64 s0, v88
	s_cbranch_execnz .LBB710_355
.LBB710_340:                            ;   in Loop: Header=BB710_308 Depth=2
	s_wait_alu 0xfffe
	s_or_b32 exec_lo, exec_lo, s1
	s_delay_alu instid0(SALU_CYCLE_1)
	s_mov_b32 s1, exec_lo
	v_cmpx_gt_u32_e64 s0, v89
	s_cbranch_execnz .LBB710_356
.LBB710_341:                            ;   in Loop: Header=BB710_308 Depth=2
	s_wait_alu 0xfffe
	s_or_b32 exec_lo, exec_lo, s1
	s_delay_alu instid0(SALU_CYCLE_1)
	s_mov_b32 s1, exec_lo
	v_cmpx_gt_u32_e64 s0, v90
	s_cbranch_execnz .LBB710_357
.LBB710_342:                            ;   in Loop: Header=BB710_308 Depth=2
	s_wait_alu 0xfffe
	s_or_b32 exec_lo, exec_lo, s1
	s_delay_alu instid0(SALU_CYCLE_1)
	s_mov_b32 s1, exec_lo
	v_cmpx_gt_u32_e64 s0, v91
	s_cbranch_execnz .LBB710_358
.LBB710_343:                            ;   in Loop: Header=BB710_308 Depth=2
	s_wait_alu 0xfffe
	s_or_b32 exec_lo, exec_lo, s1
	s_delay_alu instid0(SALU_CYCLE_1)
	s_mov_b32 s1, exec_lo
	v_cmpx_gt_u32_e64 s0, v92
	s_cbranch_execnz .LBB710_359
.LBB710_344:                            ;   in Loop: Header=BB710_308 Depth=2
	s_wait_alu 0xfffe
	s_or_b32 exec_lo, exec_lo, s1
	v_cmp_gt_u32_e32 vcc_lo, s0, v93
	s_and_saveexec_b32 s0, vcc_lo
	s_cbranch_execz .LBB710_307
	s_branch .LBB710_360
.LBB710_345:                            ;   in Loop: Header=BB710_308 Depth=2
	v_xor_b32_e32 v37, 0x7fffffff, v35
	v_not_b32_e32 v36, v34
	s_delay_alu instid0(VALU_DEP_1) | instskip(NEXT) | instid1(VALU_DEP_1)
	v_lshrrev_b64 v[36:37], s48, v[36:37]
	v_and_b32_e32 v36, s55, v36
	s_delay_alu instid0(VALU_DEP_1) | instskip(SKIP_2) | instid1(SALU_CYCLE_1)
	v_lshl_or_b32 v36, v36, 4, v94
	ds_add_u32 v36, v121
	s_or_b32 exec_lo, exec_lo, s1
	s_mov_b32 s1, exec_lo
	v_cmpx_gt_u32_e64 s0, v77
	s_cbranch_execz .LBB710_331
.LBB710_346:                            ;   in Loop: Header=BB710_308 Depth=2
	v_xor_b32_e32 v37, 0x7fffffff, v33
	v_not_b32_e32 v36, v32
	s_delay_alu instid0(VALU_DEP_1) | instskip(NEXT) | instid1(VALU_DEP_1)
	v_lshrrev_b64 v[36:37], s48, v[36:37]
	v_and_b32_e32 v36, s55, v36
	s_delay_alu instid0(VALU_DEP_1) | instskip(SKIP_3) | instid1(SALU_CYCLE_1)
	v_lshl_or_b32 v36, v36, 4, v94
	ds_add_u32 v36, v121
	s_wait_alu 0xfffe
	s_or_b32 exec_lo, exec_lo, s1
	s_mov_b32 s1, exec_lo
	v_cmpx_gt_u32_e64 s0, v78
	s_cbranch_execz .LBB710_332
.LBB710_347:                            ;   in Loop: Header=BB710_308 Depth=2
	v_xor_b32_e32 v37, 0x7fffffff, v31
	v_not_b32_e32 v36, v30
	s_delay_alu instid0(VALU_DEP_1) | instskip(NEXT) | instid1(VALU_DEP_1)
	v_lshrrev_b64 v[36:37], s48, v[36:37]
	v_and_b32_e32 v36, s55, v36
	s_delay_alu instid0(VALU_DEP_1) | instskip(SKIP_3) | instid1(SALU_CYCLE_1)
	v_lshl_or_b32 v36, v36, 4, v94
	ds_add_u32 v36, v121
	s_wait_alu 0xfffe
	s_or_b32 exec_lo, exec_lo, s1
	s_mov_b32 s1, exec_lo
	v_cmpx_gt_u32_e64 s0, v79
	s_cbranch_execz .LBB710_333
.LBB710_348:                            ;   in Loop: Header=BB710_308 Depth=2
	v_xor_b32_e32 v37, 0x7fffffff, v29
	v_not_b32_e32 v36, v28
	s_delay_alu instid0(VALU_DEP_1) | instskip(NEXT) | instid1(VALU_DEP_1)
	v_lshrrev_b64 v[36:37], s48, v[36:37]
	v_and_b32_e32 v36, s55, v36
	s_delay_alu instid0(VALU_DEP_1) | instskip(SKIP_3) | instid1(SALU_CYCLE_1)
	v_lshl_or_b32 v36, v36, 4, v94
	ds_add_u32 v36, v121
	s_wait_alu 0xfffe
	s_or_b32 exec_lo, exec_lo, s1
	s_mov_b32 s1, exec_lo
	v_cmpx_gt_u32_e64 s0, v82
	s_cbranch_execz .LBB710_334
.LBB710_349:                            ;   in Loop: Header=BB710_308 Depth=2
	v_xor_b32_e32 v37, 0x7fffffff, v27
	v_not_b32_e32 v36, v26
	s_delay_alu instid0(VALU_DEP_1) | instskip(NEXT) | instid1(VALU_DEP_1)
	v_lshrrev_b64 v[36:37], s48, v[36:37]
	v_and_b32_e32 v36, s55, v36
	s_delay_alu instid0(VALU_DEP_1) | instskip(SKIP_3) | instid1(SALU_CYCLE_1)
	v_lshl_or_b32 v36, v36, 4, v94
	ds_add_u32 v36, v121
	s_wait_alu 0xfffe
	s_or_b32 exec_lo, exec_lo, s1
	s_mov_b32 s1, exec_lo
	v_cmpx_gt_u32_e64 s0, v83
	s_cbranch_execz .LBB710_335
.LBB710_350:                            ;   in Loop: Header=BB710_308 Depth=2
	v_xor_b32_e32 v37, 0x7fffffff, v25
	v_not_b32_e32 v36, v24
	s_delay_alu instid0(VALU_DEP_1) | instskip(NEXT) | instid1(VALU_DEP_1)
	v_lshrrev_b64 v[36:37], s48, v[36:37]
	v_and_b32_e32 v36, s55, v36
	s_delay_alu instid0(VALU_DEP_1) | instskip(SKIP_3) | instid1(SALU_CYCLE_1)
	v_lshl_or_b32 v36, v36, 4, v94
	ds_add_u32 v36, v121
	s_wait_alu 0xfffe
	s_or_b32 exec_lo, exec_lo, s1
	s_mov_b32 s1, exec_lo
	v_cmpx_gt_u32_e64 s0, v84
	s_cbranch_execz .LBB710_336
.LBB710_351:                            ;   in Loop: Header=BB710_308 Depth=2
	v_xor_b32_e32 v37, 0x7fffffff, v23
	v_not_b32_e32 v36, v22
	s_delay_alu instid0(VALU_DEP_1) | instskip(NEXT) | instid1(VALU_DEP_1)
	v_lshrrev_b64 v[36:37], s48, v[36:37]
	v_and_b32_e32 v36, s55, v36
	s_delay_alu instid0(VALU_DEP_1) | instskip(SKIP_3) | instid1(SALU_CYCLE_1)
	v_lshl_or_b32 v36, v36, 4, v94
	ds_add_u32 v36, v121
	s_wait_alu 0xfffe
	s_or_b32 exec_lo, exec_lo, s1
	s_mov_b32 s1, exec_lo
	v_cmpx_gt_u32_e64 s0, v85
	s_cbranch_execz .LBB710_337
.LBB710_352:                            ;   in Loop: Header=BB710_308 Depth=2
	v_xor_b32_e32 v37, 0x7fffffff, v21
	v_not_b32_e32 v36, v20
	s_delay_alu instid0(VALU_DEP_1) | instskip(NEXT) | instid1(VALU_DEP_1)
	v_lshrrev_b64 v[36:37], s48, v[36:37]
	v_and_b32_e32 v36, s55, v36
	s_delay_alu instid0(VALU_DEP_1) | instskip(SKIP_3) | instid1(SALU_CYCLE_1)
	v_lshl_or_b32 v36, v36, 4, v94
	ds_add_u32 v36, v121
	s_wait_alu 0xfffe
	s_or_b32 exec_lo, exec_lo, s1
	s_mov_b32 s1, exec_lo
	v_cmpx_gt_u32_e64 s0, v86
	s_cbranch_execz .LBB710_338
.LBB710_353:                            ;   in Loop: Header=BB710_308 Depth=2
	v_xor_b32_e32 v37, 0x7fffffff, v19
	v_not_b32_e32 v36, v18
	s_delay_alu instid0(VALU_DEP_1) | instskip(NEXT) | instid1(VALU_DEP_1)
	v_lshrrev_b64 v[36:37], s48, v[36:37]
	v_and_b32_e32 v36, s55, v36
	s_delay_alu instid0(VALU_DEP_1) | instskip(SKIP_3) | instid1(SALU_CYCLE_1)
	v_lshl_or_b32 v36, v36, 4, v94
	ds_add_u32 v36, v121
	s_wait_alu 0xfffe
	s_or_b32 exec_lo, exec_lo, s1
	s_mov_b32 s1, exec_lo
	v_cmpx_gt_u32_e64 s0, v87
	s_cbranch_execz .LBB710_339
.LBB710_354:                            ;   in Loop: Header=BB710_308 Depth=2
	v_xor_b32_e32 v37, 0x7fffffff, v17
	v_not_b32_e32 v36, v16
	s_delay_alu instid0(VALU_DEP_1) | instskip(NEXT) | instid1(VALU_DEP_1)
	v_lshrrev_b64 v[36:37], s48, v[36:37]
	v_and_b32_e32 v36, s55, v36
	s_delay_alu instid0(VALU_DEP_1) | instskip(SKIP_3) | instid1(SALU_CYCLE_1)
	v_lshl_or_b32 v36, v36, 4, v94
	ds_add_u32 v36, v121
	s_wait_alu 0xfffe
	s_or_b32 exec_lo, exec_lo, s1
	s_mov_b32 s1, exec_lo
	v_cmpx_gt_u32_e64 s0, v88
	s_cbranch_execz .LBB710_340
.LBB710_355:                            ;   in Loop: Header=BB710_308 Depth=2
	v_xor_b32_e32 v37, 0x7fffffff, v15
	v_not_b32_e32 v36, v14
	s_delay_alu instid0(VALU_DEP_1) | instskip(NEXT) | instid1(VALU_DEP_1)
	v_lshrrev_b64 v[36:37], s48, v[36:37]
	v_and_b32_e32 v36, s55, v36
	s_delay_alu instid0(VALU_DEP_1) | instskip(SKIP_3) | instid1(SALU_CYCLE_1)
	v_lshl_or_b32 v36, v36, 4, v94
	ds_add_u32 v36, v121
	s_wait_alu 0xfffe
	s_or_b32 exec_lo, exec_lo, s1
	s_mov_b32 s1, exec_lo
	v_cmpx_gt_u32_e64 s0, v89
	s_cbranch_execz .LBB710_341
.LBB710_356:                            ;   in Loop: Header=BB710_308 Depth=2
	v_xor_b32_e32 v37, 0x7fffffff, v13
	v_not_b32_e32 v36, v12
	s_delay_alu instid0(VALU_DEP_1) | instskip(NEXT) | instid1(VALU_DEP_1)
	v_lshrrev_b64 v[36:37], s48, v[36:37]
	v_and_b32_e32 v36, s55, v36
	s_delay_alu instid0(VALU_DEP_1) | instskip(SKIP_3) | instid1(SALU_CYCLE_1)
	v_lshl_or_b32 v36, v36, 4, v94
	ds_add_u32 v36, v121
	s_wait_alu 0xfffe
	s_or_b32 exec_lo, exec_lo, s1
	s_mov_b32 s1, exec_lo
	v_cmpx_gt_u32_e64 s0, v90
	s_cbranch_execz .LBB710_342
.LBB710_357:                            ;   in Loop: Header=BB710_308 Depth=2
	v_xor_b32_e32 v37, 0x7fffffff, v11
	v_not_b32_e32 v36, v10
	s_delay_alu instid0(VALU_DEP_1) | instskip(NEXT) | instid1(VALU_DEP_1)
	v_lshrrev_b64 v[36:37], s48, v[36:37]
	v_and_b32_e32 v36, s55, v36
	s_delay_alu instid0(VALU_DEP_1) | instskip(SKIP_3) | instid1(SALU_CYCLE_1)
	v_lshl_or_b32 v36, v36, 4, v94
	ds_add_u32 v36, v121
	s_wait_alu 0xfffe
	s_or_b32 exec_lo, exec_lo, s1
	s_mov_b32 s1, exec_lo
	v_cmpx_gt_u32_e64 s0, v91
	s_cbranch_execz .LBB710_343
.LBB710_358:                            ;   in Loop: Header=BB710_308 Depth=2
	v_xor_b32_e32 v37, 0x7fffffff, v9
	v_not_b32_e32 v36, v8
	s_delay_alu instid0(VALU_DEP_1) | instskip(NEXT) | instid1(VALU_DEP_1)
	v_lshrrev_b64 v[36:37], s48, v[36:37]
	v_and_b32_e32 v36, s55, v36
	s_delay_alu instid0(VALU_DEP_1) | instskip(SKIP_3) | instid1(SALU_CYCLE_1)
	v_lshl_or_b32 v36, v36, 4, v94
	ds_add_u32 v36, v121
	s_wait_alu 0xfffe
	s_or_b32 exec_lo, exec_lo, s1
	s_mov_b32 s1, exec_lo
	v_cmpx_gt_u32_e64 s0, v92
	s_cbranch_execz .LBB710_344
.LBB710_359:                            ;   in Loop: Header=BB710_308 Depth=2
	v_xor_b32_e32 v37, 0x7fffffff, v7
	v_not_b32_e32 v36, v6
	s_delay_alu instid0(VALU_DEP_1) | instskip(NEXT) | instid1(VALU_DEP_1)
	v_lshrrev_b64 v[36:37], s48, v[36:37]
	v_and_b32_e32 v36, s55, v36
	s_delay_alu instid0(VALU_DEP_1)
	v_lshl_or_b32 v36, v36, 4, v94
	ds_add_u32 v36, v121
	s_wait_alu 0xfffe
	s_or_b32 exec_lo, exec_lo, s1
	v_cmp_gt_u32_e32 vcc_lo, s0, v93
	s_and_saveexec_b32 s0, vcc_lo
	s_cbranch_execz .LBB710_307
.LBB710_360:                            ;   in Loop: Header=BB710_308 Depth=2
	v_xor_b32_e32 v37, 0x7fffffff, v5
	v_not_b32_e32 v36, v4
	s_delay_alu instid0(VALU_DEP_1) | instskip(NEXT) | instid1(VALU_DEP_1)
	v_lshrrev_b64 v[36:37], s48, v[36:37]
	v_and_b32_e32 v36, s55, v36
	s_delay_alu instid0(VALU_DEP_1)
	v_lshl_or_b32 v36, v36, 4, v94
	ds_add_u32 v36, v121
	s_branch .LBB710_307
.LBB710_361:                            ;   in Loop: Header=BB710_308 Depth=2
	global_load_b64 v[34:35], v122, s[0:1]
	s_or_b32 exec_lo, exec_lo, s10
	s_delay_alu instid0(SALU_CYCLE_1)
	s_mov_b32 s10, exec_lo
	v_cmpx_gt_u32_e64 s8, v77
	s_cbranch_execz .LBB710_313
.LBB710_362:                            ;   in Loop: Header=BB710_308 Depth=2
	global_load_b64 v[32:33], v122, s[0:1] offset:2048
	s_wait_alu 0xfffe
	s_or_b32 exec_lo, exec_lo, s10
	s_delay_alu instid0(SALU_CYCLE_1)
	s_mov_b32 s10, exec_lo
	v_cmpx_gt_u32_e64 s8, v78
	s_cbranch_execz .LBB710_314
.LBB710_363:                            ;   in Loop: Header=BB710_308 Depth=2
	global_load_b64 v[30:31], v122, s[0:1] offset:4096
	s_wait_alu 0xfffe
	s_or_b32 exec_lo, exec_lo, s10
	s_delay_alu instid0(SALU_CYCLE_1)
	s_mov_b32 s10, exec_lo
	v_cmpx_gt_u32_e64 s8, v79
	s_cbranch_execz .LBB710_315
.LBB710_364:                            ;   in Loop: Header=BB710_308 Depth=2
	global_load_b64 v[28:29], v122, s[0:1] offset:6144
	s_wait_alu 0xfffe
	s_or_b32 exec_lo, exec_lo, s10
	s_delay_alu instid0(SALU_CYCLE_1)
	s_mov_b32 s10, exec_lo
	v_cmpx_gt_u32_e64 s8, v82
	s_cbranch_execz .LBB710_316
.LBB710_365:                            ;   in Loop: Header=BB710_308 Depth=2
	global_load_b64 v[26:27], v122, s[0:1] offset:8192
	s_wait_alu 0xfffe
	s_or_b32 exec_lo, exec_lo, s10
	s_delay_alu instid0(SALU_CYCLE_1)
	s_mov_b32 s10, exec_lo
	v_cmpx_gt_u32_e64 s8, v83
	s_cbranch_execz .LBB710_317
.LBB710_366:                            ;   in Loop: Header=BB710_308 Depth=2
	global_load_b64 v[24:25], v122, s[0:1] offset:10240
	s_wait_alu 0xfffe
	s_or_b32 exec_lo, exec_lo, s10
	s_delay_alu instid0(SALU_CYCLE_1)
	s_mov_b32 s10, exec_lo
	v_cmpx_gt_u32_e64 s8, v84
	s_cbranch_execz .LBB710_318
.LBB710_367:                            ;   in Loop: Header=BB710_308 Depth=2
	global_load_b64 v[22:23], v122, s[0:1] offset:12288
	s_wait_alu 0xfffe
	s_or_b32 exec_lo, exec_lo, s10
	s_delay_alu instid0(SALU_CYCLE_1)
	s_mov_b32 s10, exec_lo
	v_cmpx_gt_u32_e64 s8, v85
	s_cbranch_execz .LBB710_319
.LBB710_368:                            ;   in Loop: Header=BB710_308 Depth=2
	global_load_b64 v[20:21], v122, s[0:1] offset:14336
	s_wait_alu 0xfffe
	s_or_b32 exec_lo, exec_lo, s10
	s_delay_alu instid0(SALU_CYCLE_1)
	s_mov_b32 s10, exec_lo
	v_cmpx_gt_u32_e64 s8, v86
	s_cbranch_execz .LBB710_320
.LBB710_369:                            ;   in Loop: Header=BB710_308 Depth=2
	global_load_b64 v[18:19], v122, s[0:1] offset:16384
	s_wait_alu 0xfffe
	s_or_b32 exec_lo, exec_lo, s10
	s_delay_alu instid0(SALU_CYCLE_1)
	s_mov_b32 s10, exec_lo
	v_cmpx_gt_u32_e64 s8, v87
	s_cbranch_execz .LBB710_321
.LBB710_370:                            ;   in Loop: Header=BB710_308 Depth=2
	global_load_b64 v[16:17], v122, s[0:1] offset:18432
	s_wait_alu 0xfffe
	s_or_b32 exec_lo, exec_lo, s10
	s_delay_alu instid0(SALU_CYCLE_1)
	s_mov_b32 s10, exec_lo
	v_cmpx_gt_u32_e64 s8, v88
	s_cbranch_execz .LBB710_322
.LBB710_371:                            ;   in Loop: Header=BB710_308 Depth=2
	global_load_b64 v[14:15], v122, s[0:1] offset:20480
	s_wait_alu 0xfffe
	s_or_b32 exec_lo, exec_lo, s10
	s_delay_alu instid0(SALU_CYCLE_1)
	s_mov_b32 s10, exec_lo
	v_cmpx_gt_u32_e64 s8, v89
	s_cbranch_execz .LBB710_323
.LBB710_372:                            ;   in Loop: Header=BB710_308 Depth=2
	global_load_b64 v[12:13], v122, s[0:1] offset:22528
	s_wait_alu 0xfffe
	s_or_b32 exec_lo, exec_lo, s10
	s_delay_alu instid0(SALU_CYCLE_1)
	s_mov_b32 s10, exec_lo
	v_cmpx_gt_u32_e64 s8, v90
	s_cbranch_execz .LBB710_324
.LBB710_373:                            ;   in Loop: Header=BB710_308 Depth=2
	global_load_b64 v[10:11], v122, s[0:1] offset:24576
	s_wait_alu 0xfffe
	s_or_b32 exec_lo, exec_lo, s10
	s_delay_alu instid0(SALU_CYCLE_1)
	s_mov_b32 s10, exec_lo
	v_cmpx_gt_u32_e64 s8, v91
	s_cbranch_execz .LBB710_325
.LBB710_374:                            ;   in Loop: Header=BB710_308 Depth=2
	global_load_b64 v[8:9], v122, s[0:1] offset:26624
	s_wait_alu 0xfffe
	s_or_b32 exec_lo, exec_lo, s10
	s_delay_alu instid0(SALU_CYCLE_1)
	s_mov_b32 s10, exec_lo
	v_cmpx_gt_u32_e64 s8, v92
	s_cbranch_execz .LBB710_326
.LBB710_375:                            ;   in Loop: Header=BB710_308 Depth=2
	global_load_b64 v[6:7], v122, s[0:1] offset:28672
	s_wait_alu 0xfffe
	s_or_b32 exec_lo, exec_lo, s10
	s_delay_alu instid0(SALU_CYCLE_1)
	s_mov_b32 s10, exec_lo
	v_cmpx_gt_u32_e64 s8, v93
	s_cbranch_execnz .LBB710_327
	s_branch .LBB710_328
.LBB710_376:                            ;   in Loop: Header=BB710_12 Depth=1
	v_mov_b32_e32 v4, 0
	s_wait_dscnt 0x0
	s_barrier_signal -1
	s_barrier_wait -1
	global_inv scope:SCOPE_SE
	s_and_saveexec_b32 s0, s2
	s_cbranch_execz .LBB710_378
; %bb.377:                              ;   in Loop: Header=BB710_12 Depth=1
	ds_load_2addr_b64 v[4:7], v96 offset1:1
	s_wait_dscnt 0x0
	v_add_nc_u32_e32 v4, v5, v4
	s_delay_alu instid0(VALU_DEP_1)
	v_add3_u32 v4, v4, v6, v7
.LBB710_378:                            ;   in Loop: Header=BB710_12 Depth=1
	s_wait_alu 0xfffe
	s_or_b32 exec_lo, exec_lo, s0
	v_and_b32_e32 v5, 15, v123
	s_delay_alu instid0(VALU_DEP_2) | instskip(SKIP_1) | instid1(VALU_DEP_3)
	v_mov_b32_dpp v6, v4 row_shr:1 row_mask:0xf bank_mask:0xf
	v_and_b32_e32 v7, 16, v123
	v_cmp_eq_u32_e64 s0, 0, v5
	v_cmp_lt_u32_e64 s1, 1, v5
	v_cmp_lt_u32_e64 s8, 3, v5
	;; [unrolled: 1-line block ×3, first 2 shown]
	v_cmp_eq_u32_e64 s10, 0, v7
	s_wait_alu 0xf1ff
	v_cndmask_b32_e64 v6, v6, 0, s0
	s_delay_alu instid0(VALU_DEP_1) | instskip(NEXT) | instid1(VALU_DEP_1)
	v_add_nc_u32_e32 v4, v6, v4
	v_mov_b32_dpp v6, v4 row_shr:2 row_mask:0xf bank_mask:0xf
	s_delay_alu instid0(VALU_DEP_1) | instskip(NEXT) | instid1(VALU_DEP_1)
	v_cndmask_b32_e64 v6, 0, v6, s1
	v_add_nc_u32_e32 v4, v4, v6
	s_delay_alu instid0(VALU_DEP_1) | instskip(NEXT) | instid1(VALU_DEP_1)
	v_mov_b32_dpp v6, v4 row_shr:4 row_mask:0xf bank_mask:0xf
	v_cndmask_b32_e64 v6, 0, v6, s8
	s_delay_alu instid0(VALU_DEP_1) | instskip(NEXT) | instid1(VALU_DEP_1)
	v_add_nc_u32_e32 v4, v4, v6
	v_mov_b32_dpp v6, v4 row_shr:8 row_mask:0xf bank_mask:0xf
	s_delay_alu instid0(VALU_DEP_1) | instskip(SKIP_1) | instid1(VALU_DEP_2)
	v_cndmask_b32_e64 v5, 0, v6, s9
	v_bfe_i32 v6, v123, 4, 1
	v_add_nc_u32_e32 v4, v4, v5
	ds_swizzle_b32 v5, v4 offset:swizzle(BROADCAST,32,15)
	s_wait_dscnt 0x0
	v_and_b32_e32 v5, v6, v5
	s_delay_alu instid0(VALU_DEP_1)
	v_add_nc_u32_e32 v5, v4, v5
	s_and_saveexec_b32 s11, s3
; %bb.379:                              ;   in Loop: Header=BB710_12 Depth=1
	ds_store_b32 v97, v5
; %bb.380:                              ;   in Loop: Header=BB710_12 Depth=1
	s_wait_alu 0xfffe
	s_or_b32 exec_lo, exec_lo, s11
	v_and_b32_e32 v4, 7, v123
	s_wait_loadcnt_dscnt 0x0
	s_barrier_signal -1
	s_barrier_wait -1
	global_inv scope:SCOPE_SE
	s_and_saveexec_b32 s11, s4
	s_cbranch_execz .LBB710_382
; %bb.381:                              ;   in Loop: Header=BB710_12 Depth=1
	ds_load_b32 v6, v98
	v_cmp_ne_u32_e32 vcc_lo, 0, v4
	s_wait_dscnt 0x0
	v_mov_b32_dpp v7, v6 row_shr:1 row_mask:0xf bank_mask:0xf
	s_wait_alu 0xfffd
	s_delay_alu instid0(VALU_DEP_1) | instskip(SKIP_1) | instid1(VALU_DEP_2)
	v_cndmask_b32_e32 v7, 0, v7, vcc_lo
	v_cmp_lt_u32_e32 vcc_lo, 1, v4
	v_add_nc_u32_e32 v6, v7, v6
	s_delay_alu instid0(VALU_DEP_1) | instskip(SKIP_1) | instid1(VALU_DEP_1)
	v_mov_b32_dpp v7, v6 row_shr:2 row_mask:0xf bank_mask:0xf
	s_wait_alu 0xfffd
	v_cndmask_b32_e32 v7, 0, v7, vcc_lo
	v_cmp_lt_u32_e32 vcc_lo, 3, v4
	s_delay_alu instid0(VALU_DEP_2) | instskip(NEXT) | instid1(VALU_DEP_1)
	v_add_nc_u32_e32 v6, v6, v7
	v_mov_b32_dpp v7, v6 row_shr:4 row_mask:0xf bank_mask:0xf
	s_wait_alu 0xfffd
	s_delay_alu instid0(VALU_DEP_1) | instskip(NEXT) | instid1(VALU_DEP_1)
	v_cndmask_b32_e32 v7, 0, v7, vcc_lo
	v_add_nc_u32_e32 v6, v6, v7
	ds_store_b32 v98, v6
.LBB710_382:                            ;   in Loop: Header=BB710_12 Depth=1
	s_wait_alu 0xfffe
	s_or_b32 exec_lo, exec_lo, s11
	v_mov_b32_e32 v6, 0
	s_wait_loadcnt_dscnt 0x0
	s_barrier_signal -1
	s_barrier_wait -1
	global_inv scope:SCOPE_SE
	s_and_saveexec_b32 s11, s5
; %bb.383:                              ;   in Loop: Header=BB710_12 Depth=1
	ds_load_b32 v6, v101
; %bb.384:                              ;   in Loop: Header=BB710_12 Depth=1
	s_wait_alu 0xfffe
	s_or_b32 exec_lo, exec_lo, s11
	v_sub_co_u32 v7, s11, v123, 1
	s_wait_dscnt 0x0
	v_add_nc_u32_e32 v5, v6, v5
	s_wait_loadcnt 0x0
	s_barrier_signal -1
	v_cmp_gt_i32_e32 vcc_lo, 0, v7
	s_barrier_wait -1
	global_inv scope:SCOPE_SE
	s_wait_alu 0xfffd
	v_cndmask_b32_e32 v7, v7, v123, vcc_lo
	s_delay_alu instid0(VALU_DEP_1)
	v_lshlrev_b32_e32 v124, 2, v7
	ds_bpermute_b32 v5, v124, v5
	s_and_saveexec_b32 s12, s2
	s_cbranch_execz .LBB710_386
; %bb.385:                              ;   in Loop: Header=BB710_12 Depth=1
	s_wait_dscnt 0x0
	v_cndmask_b32_e64 v5, v5, v6, s11
	s_delay_alu instid0(VALU_DEP_1)
	v_add_nc_u32_e32 v5, s33, v5
	ds_store_b32 v76, v5
.LBB710_386:                            ;   in Loop: Header=BB710_12 Depth=1
	s_wait_alu 0xfffe
	s_or_b32 exec_lo, exec_lo, s12
	s_load_b64 s[12:13], s[42:43], 0x0
	v_lshlrev_b32_e32 v6, 3, v123
	v_or_b32_e32 v125, v123, v99
	s_mov_b32 s56, s53
                                        ; implicit-def: $vgpr8_vgpr9
                                        ; implicit-def: $vgpr10_vgpr11
                                        ; implicit-def: $vgpr12_vgpr13
                                        ; implicit-def: $vgpr14_vgpr15
                                        ; implicit-def: $vgpr16_vgpr17
                                        ; implicit-def: $vgpr18_vgpr19
                                        ; implicit-def: $vgpr20_vgpr21
                                        ; implicit-def: $vgpr22_vgpr23
                                        ; implicit-def: $vgpr24_vgpr25
                                        ; implicit-def: $vgpr26_vgpr27
                                        ; implicit-def: $vgpr28_vgpr29
                                        ; implicit-def: $vgpr30_vgpr31
                                        ; implicit-def: $vgpr32_vgpr33
                                        ; implicit-def: $vgpr34_vgpr35
                                        ; implicit-def: $vgpr146
                                        ; implicit-def: $vgpr147
                                        ; implicit-def: $vgpr148
                                        ; implicit-def: $vgpr149
                                        ; implicit-def: $vgpr150
                                        ; implicit-def: $vgpr151
                                        ; implicit-def: $vgpr152
                                        ; implicit-def: $vgpr153
                                        ; implicit-def: $vgpr154
                                        ; implicit-def: $vgpr155
                                        ; implicit-def: $vgpr156
                                        ; implicit-def: $vgpr157
                                        ; implicit-def: $vgpr158
                                        ; implicit-def: $vgpr159
                                        ; implicit-def: $vgpr160
                                        ; implicit-def: $vgpr161
	s_delay_alu instid0(VALU_DEP_2)
	v_add_co_u32 v126, vcc_lo, v111, v6
	s_wait_alu 0xfffd
	v_add_co_ci_u32_e64 v127, null, 0, v112, vcc_lo
	v_add_co_u32 v143, vcc_lo, v113, v6
	v_or_b32_e32 v128, 32, v125
	v_or_b32_e32 v129, 64, v125
	;; [unrolled: 1-line block ×8, first 2 shown]
	s_wait_kmcnt 0x0
	s_cmp_lt_u32 ttmp7, s13
	v_or_b32_e32 v136, 0x120, v125
	s_cselect_b32 s34, 14, 20
	s_cmp_lt_u32 ttmp9, s12
	s_wait_alu 0xfffe
	s_add_nc_u64 s[14:15], s[42:43], s[34:35]
	s_cselect_b32 s34, 12, 18
	s_load_u16 s15, s[14:15], 0x0
	s_add_nc_u64 s[12:13], s[42:43], s[34:35]
	v_or_b32_e32 v137, 0x140, v125
	s_load_u16 s16, s[12:13], 0x0
	v_cmp_eq_u32_e64 s12, 0, v4
	v_cmp_lt_u32_e64 s13, 1, v4
	v_cmp_lt_u32_e64 s14, 3, v4
	v_or_b32_e32 v138, 0x160, v125
	v_or_b32_e32 v139, 0x180, v125
	;; [unrolled: 1-line block ×5, first 2 shown]
	v_add_co_ci_u32_e64 v144, null, 0, v114, vcc_lo
	s_mov_b32 s34, s33
                                        ; implicit-def: $vgpr6_vgpr7
	s_wait_kmcnt 0x0
	v_mad_u32_u24 v4, v102, s15, v0
	s_wait_dscnt 0x0
	s_delay_alu instid0(VALU_DEP_1) | instskip(NEXT) | instid1(VALU_DEP_1)
	v_mad_co_u64_u32 v[4:5], null, v4, s16, v[1:2]
	v_lshrrev_b32_e32 v4, 3, v4
	s_delay_alu instid0(VALU_DEP_1)
	v_and_b32_e32 v145, 0x1ffffffc, v4
                                        ; implicit-def: $vgpr4_vgpr5
	s_branch .LBB710_388
.LBB710_387:                            ;   in Loop: Header=BB710_388 Depth=2
	s_wait_alu 0xfffe
	s_or_b32 exec_lo, exec_lo, s15
	s_addk_co_i32 s56, 0xf000
	s_cmp_lt_u32 s57, s51
	s_mov_b32 s34, s57
	s_cbranch_scc0 .LBB710_596
.LBB710_388:                            ;   Parent Loop BB710_12 Depth=1
                                        ; =>  This Inner Loop Header: Depth=2
	s_wait_alu 0xfffe
	s_add_co_i32 s57, s34, 0x1000
	s_wait_alu 0xfffe
	s_cmp_gt_u32 s57, s51
	s_cbranch_scc1 .LBB710_390
; %bb.389:                              ;   in Loop: Header=BB710_388 Depth=2
	s_lshl_b64 s[16:17], s[34:35], 3
	s_mov_b32 s15, -1
	s_wait_alu 0xfffe
	v_add_co_u32 v36, vcc_lo, v143, s16
	s_wait_alu 0xfffd
	v_add_co_ci_u32_e64 v37, null, s17, v144, vcc_lo
	s_clause 0xe
	global_load_b64 v[38:39], v[36:37], off
	global_load_b64 v[40:41], v[36:37], off offset:256
	global_load_b64 v[42:43], v[36:37], off offset:512
	global_load_b64 v[46:47], v[36:37], off offset:768
	global_load_b64 v[52:53], v[36:37], off offset:1024
	global_load_b64 v[56:57], v[36:37], off offset:1280
	global_load_b64 v[60:61], v[36:37], off offset:1536
	global_load_b64 v[64:65], v[36:37], off offset:1792
	global_load_b64 v[66:67], v[36:37], off offset:2048
	global_load_b64 v[62:63], v[36:37], off offset:2304
	global_load_b64 v[58:59], v[36:37], off offset:2560
	global_load_b64 v[54:55], v[36:37], off offset:2816
	global_load_b64 v[50:51], v[36:37], off offset:3072
	global_load_b64 v[48:49], v[36:37], off offset:3328
	global_load_b64 v[44:45], v[36:37], off offset:3584
	s_movk_i32 s16, 0x1000
	s_cbranch_execz .LBB710_391
	s_branch .LBB710_422
.LBB710_390:                            ;   in Loop: Header=BB710_388 Depth=2
	s_mov_b32 s15, 0
                                        ; implicit-def: $vgpr38_vgpr39
                                        ; implicit-def: $vgpr40_vgpr41
                                        ; implicit-def: $vgpr42_vgpr43
                                        ; implicit-def: $vgpr46_vgpr47
                                        ; implicit-def: $vgpr52_vgpr53
                                        ; implicit-def: $vgpr56_vgpr57
                                        ; implicit-def: $vgpr60_vgpr61
                                        ; implicit-def: $vgpr64_vgpr65
                                        ; implicit-def: $vgpr66_vgpr67
                                        ; implicit-def: $vgpr62_vgpr63
                                        ; implicit-def: $vgpr58_vgpr59
                                        ; implicit-def: $vgpr54_vgpr55
                                        ; implicit-def: $vgpr50_vgpr51
                                        ; implicit-def: $vgpr48_vgpr49
                                        ; implicit-def: $vgpr44_vgpr45
	s_movk_i32 s16, 0x1000
.LBB710_391:                            ;   in Loop: Header=BB710_388 Depth=2
	s_wait_loadcnt 0xd
	v_dual_mov_b32 v40, v2 :: v_dual_mov_b32 v41, v3
	s_lshl_b64 s[16:17], s[34:35], 3
	s_mov_b32 s15, exec_lo
	s_wait_alu 0xfffe
	v_add_co_u32 v36, vcc_lo, v143, s16
	s_wait_alu 0xfffd
	v_add_co_ci_u32_e64 v37, null, s17, v144, vcc_lo
	v_dual_mov_b32 v38, v40 :: v_dual_mov_b32 v39, v41
	v_cmpx_gt_u32_e64 s56, v125
	s_cbranch_execz .LBB710_393
; %bb.392:                              ;   in Loop: Header=BB710_388 Depth=2
	global_load_b64 v[38:39], v[36:37], off
.LBB710_393:                            ;   in Loop: Header=BB710_388 Depth=2
	s_or_b32 exec_lo, exec_lo, s15
	s_delay_alu instid0(SALU_CYCLE_1)
	s_mov_b32 s15, exec_lo
	v_cmpx_gt_u32_e64 s56, v128
	s_cbranch_execz .LBB710_395
; %bb.394:                              ;   in Loop: Header=BB710_388 Depth=2
	global_load_b64 v[40:41], v[36:37], off offset:256
.LBB710_395:                            ;   in Loop: Header=BB710_388 Depth=2
	s_wait_alu 0xfffe
	s_or_b32 exec_lo, exec_lo, s15
	s_wait_loadcnt 0xc
	v_dual_mov_b32 v43, v3 :: v_dual_mov_b32 v42, v2
	s_mov_b32 s15, exec_lo
	v_cmpx_gt_u32_e64 s56, v129
	s_cbranch_execz .LBB710_397
; %bb.396:                              ;   in Loop: Header=BB710_388 Depth=2
	global_load_b64 v[42:43], v[36:37], off offset:512
.LBB710_397:                            ;   in Loop: Header=BB710_388 Depth=2
	s_wait_alu 0xfffe
	s_or_b32 exec_lo, exec_lo, s15
	s_wait_loadcnt 0xb
	v_dual_mov_b32 v47, v3 :: v_dual_mov_b32 v46, v2
	;; [unrolled: 10-line block ×13, first 2 shown]
	s_mov_b32 s15, exec_lo
	v_cmpx_gt_u32_e64 s56, v141
	s_cbranch_execz .LBB710_421
; %bb.420:                              ;   in Loop: Header=BB710_388 Depth=2
	global_load_b64 v[44:45], v[36:37], off offset:3584
.LBB710_421:                            ;   in Loop: Header=BB710_388 Depth=2
	s_wait_alu 0xfffe
	s_or_b32 exec_lo, exec_lo, s15
	v_cmp_gt_u32_e64 s15, s56, v142
	s_sub_co_i32 s16, s51, s34
.LBB710_422:                            ;   in Loop: Header=BB710_388 Depth=2
	v_mov_b32_e32 v36, -1
	v_dual_mov_b32 v37, -1 :: v_dual_mov_b32 v162, s56
	s_and_saveexec_b32 s17, s15
	s_cbranch_execz .LBB710_424
; %bb.423:                              ;   in Loop: Header=BB710_388 Depth=2
	s_lshl_b64 s[18:19], s[34:35], 3
	s_wait_alu 0xfffe
	v_mov_b32_e32 v162, s16
	v_add_co_u32 v36, vcc_lo, v143, s18
	s_wait_alu 0xfffd
	v_add_co_ci_u32_e64 v37, null, s19, v144, vcc_lo
	global_load_b64 v[36:37], v[36:37], off offset:3840
	s_wait_loadcnt 0x0
	v_xor_b32_e32 v37, 0x7fffffff, v37
	v_not_b32_e32 v36, v36
.LBB710_424:                            ;   in Loop: Header=BB710_388 Depth=2
	s_wait_alu 0xfffe
	s_or_b32 exec_lo, exec_lo, s17
	s_wait_loadcnt 0xe
	v_xor_b32_e32 v39, 0x7fffffff, v39
	v_not_b32_e32 v38, v38
	v_add_nc_u32_e32 v165, 0x420, v100
	v_add_nc_u32_e32 v166, 0x428, v100
	;; [unrolled: 1-line block ×3, first 2 shown]
	s_delay_alu instid0(VALU_DEP_4) | instskip(NEXT) | instid1(VALU_DEP_1)
	v_lshrrev_b64 v[68:69], s48, v[38:39]
	v_and_b32_e32 v69, s55, v68
	s_delay_alu instid0(VALU_DEP_1)
	v_and_b32_e32 v68, 1, v69
	v_lshlrev_b32_e32 v70, 30, v69
	v_lshlrev_b32_e32 v71, 29, v69
	;; [unrolled: 1-line block ×4, first 2 shown]
	v_add_co_u32 v68, s15, v68, -1
	s_wait_alu 0xf1ff
	v_cndmask_b32_e64 v73, 0, 1, s15
	v_not_b32_e32 v164, v70
	v_cmp_gt_i32_e64 s15, 0, v70
	v_not_b32_e32 v70, v71
	v_lshlrev_b32_e32 v75, 26, v69
	v_cmp_ne_u32_e32 vcc_lo, 0, v73
	v_ashrrev_i32_e32 v164, 31, v164
	v_lshlrev_b32_e32 v163, 25, v69
	v_ashrrev_i32_e32 v70, 31, v70
	v_lshlrev_b32_e32 v73, 24, v69
	s_wait_alu 0xfffd
	v_xor_b32_e32 v68, vcc_lo, v68
	v_cmp_gt_i32_e32 vcc_lo, 0, v71
	v_not_b32_e32 v71, v72
	s_wait_alu 0xf1ff
	v_xor_b32_e32 v164, s15, v164
	v_cmp_gt_i32_e64 s15, 0, v72
	v_and_b32_e32 v68, exec_lo, v68
	v_not_b32_e32 v72, v74
	v_ashrrev_i32_e32 v71, 31, v71
	s_wait_alu 0xfffd
	v_xor_b32_e32 v70, vcc_lo, v70
	v_cmp_gt_i32_e32 vcc_lo, 0, v74
	v_and_b32_e32 v68, v68, v164
	v_not_b32_e32 v74, v75
	v_ashrrev_i32_e32 v72, 31, v72
	s_wait_alu 0xf1ff
	v_xor_b32_e32 v71, s15, v71
	v_cmp_gt_i32_e64 s15, 0, v75
	v_and_b32_e32 v68, v68, v70
	v_not_b32_e32 v70, v163
	v_ashrrev_i32_e32 v74, 31, v74
	s_wait_alu 0xfffd
	v_xor_b32_e32 v72, vcc_lo, v72
	v_cmp_gt_i32_e32 vcc_lo, 0, v163
	v_and_b32_e32 v68, v68, v71
	v_not_b32_e32 v71, v73
	v_ashrrev_i32_e32 v70, 31, v70
	s_wait_alu 0xf1ff
	v_xor_b32_e32 v74, s15, v74
	v_cmp_gt_i32_e64 s15, 0, v73
	v_and_b32_e32 v68, v68, v72
	v_ashrrev_i32_e32 v71, 31, v71
	s_wait_alu 0xfffd
	v_xor_b32_e32 v70, vcc_lo, v70
	v_mul_u32_u24_e32 v69, 36, v69
	v_add_nc_u32_e32 v164, 0x438, v100
	v_and_b32_e32 v68, v68, v74
	s_wait_alu 0xf1ff
	v_xor_b32_e32 v71, s15, v71
	v_add_nc_u32_e32 v168, v145, v69
	ds_store_2addr_b32 v164, v2, v2 offset1:1
	v_and_b32_e32 v68, v68, v70
	ds_store_2addr_b32 v165, v2, v2 offset1:1
	ds_store_2addr_b32 v166, v2, v2 offset1:1
	;; [unrolled: 1-line block ×3, first 2 shown]
	ds_store_b32 v100, v2 offset:1088
	s_wait_loadcnt_dscnt 0x0
	s_barrier_signal -1
	s_barrier_wait -1
	v_and_b32_e32 v68, v68, v71
	global_inv scope:SCOPE_SE
	; wave barrier
	v_mbcnt_lo_u32_b32 v163, v68, 0
	v_cmp_ne_u32_e64 s15, 0, v68
	s_delay_alu instid0(VALU_DEP_2)
	v_cmp_eq_u32_e32 vcc_lo, 0, v163
	s_and_b32 s16, s15, vcc_lo
	s_wait_alu 0xfffe
	s_and_saveexec_b32 s15, s16
; %bb.425:                              ;   in Loop: Header=BB710_388 Depth=2
	v_bcnt_u32_b32 v68, v68, 0
	ds_store_b32 v168, v68 offset:1056
; %bb.426:                              ;   in Loop: Header=BB710_388 Depth=2
	s_wait_alu 0xfffe
	s_or_b32 exec_lo, exec_lo, s15
	v_xor_b32_e32 v41, 0x7fffffff, v41
	v_not_b32_e32 v40, v40
	; wave barrier
	s_delay_alu instid0(VALU_DEP_1) | instskip(NEXT) | instid1(VALU_DEP_1)
	v_lshrrev_b64 v[68:69], s48, v[40:41]
	v_and_b32_e32 v69, s55, v68
	s_delay_alu instid0(VALU_DEP_1)
	v_and_b32_e32 v68, 1, v69
	v_lshlrev_b32_e32 v70, 30, v69
	v_lshlrev_b32_e32 v71, 29, v69
	;; [unrolled: 1-line block ×4, first 2 shown]
	v_add_co_u32 v68, s15, v68, -1
	s_wait_alu 0xf1ff
	v_cndmask_b32_e64 v73, 0, 1, s15
	v_not_b32_e32 v170, v70
	v_cmp_gt_i32_e64 s15, 0, v70
	v_not_b32_e32 v70, v71
	v_lshlrev_b32_e32 v75, 26, v69
	v_cmp_ne_u32_e32 vcc_lo, 0, v73
	v_ashrrev_i32_e32 v170, 31, v170
	v_lshlrev_b32_e32 v169, 25, v69
	v_ashrrev_i32_e32 v70, 31, v70
	v_lshlrev_b32_e32 v73, 24, v69
	s_wait_alu 0xfffd
	v_xor_b32_e32 v68, vcc_lo, v68
	v_cmp_gt_i32_e32 vcc_lo, 0, v71
	v_not_b32_e32 v71, v72
	s_wait_alu 0xf1ff
	v_xor_b32_e32 v170, s15, v170
	v_cmp_gt_i32_e64 s15, 0, v72
	v_and_b32_e32 v68, exec_lo, v68
	v_not_b32_e32 v72, v74
	v_ashrrev_i32_e32 v71, 31, v71
	s_wait_alu 0xfffd
	v_xor_b32_e32 v70, vcc_lo, v70
	v_cmp_gt_i32_e32 vcc_lo, 0, v74
	v_and_b32_e32 v68, v68, v170
	v_not_b32_e32 v74, v75
	v_ashrrev_i32_e32 v72, 31, v72
	s_wait_alu 0xf1ff
	v_xor_b32_e32 v71, s15, v71
	v_cmp_gt_i32_e64 s15, 0, v75
	v_and_b32_e32 v68, v68, v70
	v_not_b32_e32 v70, v169
	v_ashrrev_i32_e32 v74, 31, v74
	s_wait_alu 0xfffd
	v_xor_b32_e32 v72, vcc_lo, v72
	v_cmp_gt_i32_e32 vcc_lo, 0, v169
	v_and_b32_e32 v68, v68, v71
	v_not_b32_e32 v71, v73
	v_ashrrev_i32_e32 v70, 31, v70
	s_wait_alu 0xf1ff
	v_xor_b32_e32 v74, s15, v74
	v_cmp_gt_i32_e64 s15, 0, v73
	v_and_b32_e32 v68, v68, v72
	v_ashrrev_i32_e32 v71, 31, v71
	s_wait_alu 0xfffd
	v_xor_b32_e32 v70, vcc_lo, v70
	v_mad_u32_u24 v72, v69, 36, v145
	v_mul_u32_u24_e32 v69, 36, v69
	v_and_b32_e32 v68, v68, v74
	s_wait_alu 0xf1ff
	v_xor_b32_e32 v71, s15, v71
	ds_load_b32 v169, v72 offset:1056
	v_add_nc_u32_e32 v171, v145, v69
	v_and_b32_e32 v68, v68, v70
	; wave barrier
	s_delay_alu instid0(VALU_DEP_1) | instskip(NEXT) | instid1(VALU_DEP_1)
	v_and_b32_e32 v68, v68, v71
	v_mbcnt_lo_u32_b32 v170, v68, 0
	v_cmp_ne_u32_e64 s15, 0, v68
	s_delay_alu instid0(VALU_DEP_2)
	v_cmp_eq_u32_e32 vcc_lo, 0, v170
	s_and_b32 s16, s15, vcc_lo
	s_wait_alu 0xfffe
	s_and_saveexec_b32 s15, s16
	s_cbranch_execz .LBB710_428
; %bb.427:                              ;   in Loop: Header=BB710_388 Depth=2
	s_wait_dscnt 0x0
	v_bcnt_u32_b32 v68, v68, v169
	ds_store_b32 v171, v68 offset:1056
.LBB710_428:                            ;   in Loop: Header=BB710_388 Depth=2
	s_wait_alu 0xfffe
	s_or_b32 exec_lo, exec_lo, s15
	v_xor_b32_e32 v43, 0x7fffffff, v43
	v_not_b32_e32 v42, v42
	; wave barrier
	s_delay_alu instid0(VALU_DEP_1) | instskip(NEXT) | instid1(VALU_DEP_1)
	v_lshrrev_b64 v[68:69], s48, v[42:43]
	v_and_b32_e32 v69, s55, v68
	s_delay_alu instid0(VALU_DEP_1)
	v_and_b32_e32 v68, 1, v69
	v_lshlrev_b32_e32 v70, 30, v69
	v_lshlrev_b32_e32 v71, 29, v69
	;; [unrolled: 1-line block ×4, first 2 shown]
	v_add_co_u32 v68, s15, v68, -1
	s_wait_alu 0xf1ff
	v_cndmask_b32_e64 v73, 0, 1, s15
	v_not_b32_e32 v173, v70
	v_cmp_gt_i32_e64 s15, 0, v70
	v_not_b32_e32 v70, v71
	v_lshlrev_b32_e32 v75, 26, v69
	v_cmp_ne_u32_e32 vcc_lo, 0, v73
	v_ashrrev_i32_e32 v173, 31, v173
	v_lshlrev_b32_e32 v172, 25, v69
	v_ashrrev_i32_e32 v70, 31, v70
	v_lshlrev_b32_e32 v73, 24, v69
	s_wait_alu 0xfffd
	v_xor_b32_e32 v68, vcc_lo, v68
	v_cmp_gt_i32_e32 vcc_lo, 0, v71
	v_not_b32_e32 v71, v72
	s_wait_alu 0xf1ff
	v_xor_b32_e32 v173, s15, v173
	v_cmp_gt_i32_e64 s15, 0, v72
	v_and_b32_e32 v68, exec_lo, v68
	v_not_b32_e32 v72, v74
	v_ashrrev_i32_e32 v71, 31, v71
	s_wait_alu 0xfffd
	v_xor_b32_e32 v70, vcc_lo, v70
	v_cmp_gt_i32_e32 vcc_lo, 0, v74
	v_and_b32_e32 v68, v68, v173
	v_not_b32_e32 v74, v75
	v_ashrrev_i32_e32 v72, 31, v72
	s_wait_alu 0xf1ff
	v_xor_b32_e32 v71, s15, v71
	v_cmp_gt_i32_e64 s15, 0, v75
	v_and_b32_e32 v68, v68, v70
	v_not_b32_e32 v70, v172
	v_ashrrev_i32_e32 v74, 31, v74
	s_wait_alu 0xfffd
	v_xor_b32_e32 v72, vcc_lo, v72
	v_cmp_gt_i32_e32 vcc_lo, 0, v172
	v_and_b32_e32 v68, v68, v71
	v_not_b32_e32 v71, v73
	v_ashrrev_i32_e32 v70, 31, v70
	s_wait_alu 0xf1ff
	v_xor_b32_e32 v74, s15, v74
	v_cmp_gt_i32_e64 s15, 0, v73
	v_and_b32_e32 v68, v68, v72
	v_ashrrev_i32_e32 v71, 31, v71
	s_wait_alu 0xfffd
	v_xor_b32_e32 v70, vcc_lo, v70
	v_mad_u32_u24 v72, v69, 36, v145
	v_mul_u32_u24_e32 v69, 36, v69
	v_and_b32_e32 v68, v68, v74
	s_wait_alu 0xf1ff
	v_xor_b32_e32 v71, s15, v71
	ds_load_b32 v172, v72 offset:1056
	v_add_nc_u32_e32 v174, v145, v69
	v_and_b32_e32 v68, v68, v70
	; wave barrier
	s_delay_alu instid0(VALU_DEP_1) | instskip(NEXT) | instid1(VALU_DEP_1)
	v_and_b32_e32 v68, v68, v71
	v_mbcnt_lo_u32_b32 v173, v68, 0
	v_cmp_ne_u32_e64 s15, 0, v68
	s_delay_alu instid0(VALU_DEP_2)
	v_cmp_eq_u32_e32 vcc_lo, 0, v173
	s_and_b32 s16, s15, vcc_lo
	s_wait_alu 0xfffe
	s_and_saveexec_b32 s15, s16
	s_cbranch_execz .LBB710_430
; %bb.429:                              ;   in Loop: Header=BB710_388 Depth=2
	s_wait_dscnt 0x0
	v_bcnt_u32_b32 v68, v68, v172
	ds_store_b32 v174, v68 offset:1056
.LBB710_430:                            ;   in Loop: Header=BB710_388 Depth=2
	s_wait_alu 0xfffe
	s_or_b32 exec_lo, exec_lo, s15
	v_xor_b32_e32 v47, 0x7fffffff, v47
	v_not_b32_e32 v46, v46
	; wave barrier
	s_delay_alu instid0(VALU_DEP_1) | instskip(NEXT) | instid1(VALU_DEP_1)
	v_lshrrev_b64 v[68:69], s48, v[46:47]
	v_and_b32_e32 v69, s55, v68
	s_delay_alu instid0(VALU_DEP_1)
	v_and_b32_e32 v68, 1, v69
	v_lshlrev_b32_e32 v70, 30, v69
	v_lshlrev_b32_e32 v71, 29, v69
	;; [unrolled: 1-line block ×4, first 2 shown]
	v_add_co_u32 v68, s15, v68, -1
	s_wait_alu 0xf1ff
	v_cndmask_b32_e64 v73, 0, 1, s15
	v_not_b32_e32 v176, v70
	v_cmp_gt_i32_e64 s15, 0, v70
	v_not_b32_e32 v70, v71
	v_lshlrev_b32_e32 v75, 26, v69
	v_cmp_ne_u32_e32 vcc_lo, 0, v73
	v_ashrrev_i32_e32 v176, 31, v176
	v_lshlrev_b32_e32 v175, 25, v69
	v_ashrrev_i32_e32 v70, 31, v70
	v_lshlrev_b32_e32 v73, 24, v69
	s_wait_alu 0xfffd
	v_xor_b32_e32 v68, vcc_lo, v68
	v_cmp_gt_i32_e32 vcc_lo, 0, v71
	v_not_b32_e32 v71, v72
	s_wait_alu 0xf1ff
	v_xor_b32_e32 v176, s15, v176
	v_cmp_gt_i32_e64 s15, 0, v72
	v_and_b32_e32 v68, exec_lo, v68
	v_not_b32_e32 v72, v74
	v_ashrrev_i32_e32 v71, 31, v71
	s_wait_alu 0xfffd
	v_xor_b32_e32 v70, vcc_lo, v70
	v_cmp_gt_i32_e32 vcc_lo, 0, v74
	v_and_b32_e32 v68, v68, v176
	v_not_b32_e32 v74, v75
	v_ashrrev_i32_e32 v72, 31, v72
	s_wait_alu 0xf1ff
	v_xor_b32_e32 v71, s15, v71
	v_cmp_gt_i32_e64 s15, 0, v75
	v_and_b32_e32 v68, v68, v70
	v_not_b32_e32 v70, v175
	v_ashrrev_i32_e32 v74, 31, v74
	s_wait_alu 0xfffd
	v_xor_b32_e32 v72, vcc_lo, v72
	v_cmp_gt_i32_e32 vcc_lo, 0, v175
	v_and_b32_e32 v68, v68, v71
	v_not_b32_e32 v71, v73
	v_ashrrev_i32_e32 v70, 31, v70
	s_wait_alu 0xf1ff
	v_xor_b32_e32 v74, s15, v74
	v_cmp_gt_i32_e64 s15, 0, v73
	v_and_b32_e32 v68, v68, v72
	v_ashrrev_i32_e32 v71, 31, v71
	s_wait_alu 0xfffd
	v_xor_b32_e32 v70, vcc_lo, v70
	v_mad_u32_u24 v72, v69, 36, v145
	v_mul_u32_u24_e32 v69, 36, v69
	v_and_b32_e32 v68, v68, v74
	s_wait_alu 0xf1ff
	v_xor_b32_e32 v71, s15, v71
	ds_load_b32 v175, v72 offset:1056
	v_add_nc_u32_e32 v177, v145, v69
	v_and_b32_e32 v68, v68, v70
	; wave barrier
	s_delay_alu instid0(VALU_DEP_1) | instskip(NEXT) | instid1(VALU_DEP_1)
	v_and_b32_e32 v68, v68, v71
	v_mbcnt_lo_u32_b32 v176, v68, 0
	v_cmp_ne_u32_e64 s15, 0, v68
	s_delay_alu instid0(VALU_DEP_2)
	v_cmp_eq_u32_e32 vcc_lo, 0, v176
	s_and_b32 s16, s15, vcc_lo
	s_wait_alu 0xfffe
	s_and_saveexec_b32 s15, s16
	s_cbranch_execz .LBB710_432
; %bb.431:                              ;   in Loop: Header=BB710_388 Depth=2
	s_wait_dscnt 0x0
	v_bcnt_u32_b32 v68, v68, v175
	ds_store_b32 v177, v68 offset:1056
.LBB710_432:                            ;   in Loop: Header=BB710_388 Depth=2
	s_wait_alu 0xfffe
	s_or_b32 exec_lo, exec_lo, s15
	v_xor_b32_e32 v53, 0x7fffffff, v53
	v_not_b32_e32 v52, v52
	; wave barrier
	s_delay_alu instid0(VALU_DEP_1) | instskip(NEXT) | instid1(VALU_DEP_1)
	v_lshrrev_b64 v[68:69], s48, v[52:53]
	v_and_b32_e32 v69, s55, v68
	s_delay_alu instid0(VALU_DEP_1)
	v_and_b32_e32 v68, 1, v69
	v_lshlrev_b32_e32 v70, 30, v69
	v_lshlrev_b32_e32 v71, 29, v69
	;; [unrolled: 1-line block ×4, first 2 shown]
	v_add_co_u32 v68, s15, v68, -1
	s_wait_alu 0xf1ff
	v_cndmask_b32_e64 v73, 0, 1, s15
	v_not_b32_e32 v179, v70
	v_cmp_gt_i32_e64 s15, 0, v70
	v_not_b32_e32 v70, v71
	v_lshlrev_b32_e32 v75, 26, v69
	v_cmp_ne_u32_e32 vcc_lo, 0, v73
	v_ashrrev_i32_e32 v179, 31, v179
	v_lshlrev_b32_e32 v178, 25, v69
	v_ashrrev_i32_e32 v70, 31, v70
	v_lshlrev_b32_e32 v73, 24, v69
	s_wait_alu 0xfffd
	v_xor_b32_e32 v68, vcc_lo, v68
	v_cmp_gt_i32_e32 vcc_lo, 0, v71
	v_not_b32_e32 v71, v72
	s_wait_alu 0xf1ff
	v_xor_b32_e32 v179, s15, v179
	v_cmp_gt_i32_e64 s15, 0, v72
	v_and_b32_e32 v68, exec_lo, v68
	v_not_b32_e32 v72, v74
	v_ashrrev_i32_e32 v71, 31, v71
	s_wait_alu 0xfffd
	v_xor_b32_e32 v70, vcc_lo, v70
	v_cmp_gt_i32_e32 vcc_lo, 0, v74
	v_and_b32_e32 v68, v68, v179
	v_not_b32_e32 v74, v75
	v_ashrrev_i32_e32 v72, 31, v72
	s_wait_alu 0xf1ff
	v_xor_b32_e32 v71, s15, v71
	v_cmp_gt_i32_e64 s15, 0, v75
	v_and_b32_e32 v68, v68, v70
	v_not_b32_e32 v70, v178
	v_ashrrev_i32_e32 v74, 31, v74
	s_wait_alu 0xfffd
	v_xor_b32_e32 v72, vcc_lo, v72
	v_cmp_gt_i32_e32 vcc_lo, 0, v178
	v_and_b32_e32 v68, v68, v71
	v_not_b32_e32 v71, v73
	v_ashrrev_i32_e32 v70, 31, v70
	s_wait_alu 0xf1ff
	v_xor_b32_e32 v74, s15, v74
	v_cmp_gt_i32_e64 s15, 0, v73
	v_and_b32_e32 v68, v68, v72
	v_ashrrev_i32_e32 v71, 31, v71
	s_wait_alu 0xfffd
	v_xor_b32_e32 v70, vcc_lo, v70
	v_mad_u32_u24 v72, v69, 36, v145
	v_mul_u32_u24_e32 v69, 36, v69
	v_and_b32_e32 v68, v68, v74
	s_wait_alu 0xf1ff
	v_xor_b32_e32 v71, s15, v71
	ds_load_b32 v178, v72 offset:1056
	v_add_nc_u32_e32 v180, v145, v69
	v_and_b32_e32 v68, v68, v70
	; wave barrier
	s_delay_alu instid0(VALU_DEP_1) | instskip(NEXT) | instid1(VALU_DEP_1)
	v_and_b32_e32 v68, v68, v71
	v_mbcnt_lo_u32_b32 v179, v68, 0
	v_cmp_ne_u32_e64 s15, 0, v68
	s_delay_alu instid0(VALU_DEP_2)
	v_cmp_eq_u32_e32 vcc_lo, 0, v179
	s_and_b32 s16, s15, vcc_lo
	s_wait_alu 0xfffe
	s_and_saveexec_b32 s15, s16
	s_cbranch_execz .LBB710_434
; %bb.433:                              ;   in Loop: Header=BB710_388 Depth=2
	s_wait_dscnt 0x0
	v_bcnt_u32_b32 v68, v68, v178
	ds_store_b32 v180, v68 offset:1056
.LBB710_434:                            ;   in Loop: Header=BB710_388 Depth=2
	s_wait_alu 0xfffe
	s_or_b32 exec_lo, exec_lo, s15
	v_xor_b32_e32 v57, 0x7fffffff, v57
	v_not_b32_e32 v56, v56
	; wave barrier
	s_delay_alu instid0(VALU_DEP_1) | instskip(NEXT) | instid1(VALU_DEP_1)
	v_lshrrev_b64 v[68:69], s48, v[56:57]
	v_and_b32_e32 v69, s55, v68
	s_delay_alu instid0(VALU_DEP_1)
	v_and_b32_e32 v68, 1, v69
	v_lshlrev_b32_e32 v70, 30, v69
	v_lshlrev_b32_e32 v71, 29, v69
	;; [unrolled: 1-line block ×4, first 2 shown]
	v_add_co_u32 v68, s15, v68, -1
	s_wait_alu 0xf1ff
	v_cndmask_b32_e64 v73, 0, 1, s15
	v_not_b32_e32 v182, v70
	v_cmp_gt_i32_e64 s15, 0, v70
	v_not_b32_e32 v70, v71
	v_lshlrev_b32_e32 v75, 26, v69
	v_cmp_ne_u32_e32 vcc_lo, 0, v73
	v_ashrrev_i32_e32 v182, 31, v182
	v_lshlrev_b32_e32 v181, 25, v69
	v_ashrrev_i32_e32 v70, 31, v70
	v_lshlrev_b32_e32 v73, 24, v69
	s_wait_alu 0xfffd
	v_xor_b32_e32 v68, vcc_lo, v68
	v_cmp_gt_i32_e32 vcc_lo, 0, v71
	v_not_b32_e32 v71, v72
	s_wait_alu 0xf1ff
	v_xor_b32_e32 v182, s15, v182
	v_cmp_gt_i32_e64 s15, 0, v72
	v_and_b32_e32 v68, exec_lo, v68
	v_not_b32_e32 v72, v74
	v_ashrrev_i32_e32 v71, 31, v71
	s_wait_alu 0xfffd
	v_xor_b32_e32 v70, vcc_lo, v70
	v_cmp_gt_i32_e32 vcc_lo, 0, v74
	v_and_b32_e32 v68, v68, v182
	v_not_b32_e32 v74, v75
	v_ashrrev_i32_e32 v72, 31, v72
	s_wait_alu 0xf1ff
	v_xor_b32_e32 v71, s15, v71
	v_cmp_gt_i32_e64 s15, 0, v75
	v_and_b32_e32 v68, v68, v70
	v_not_b32_e32 v70, v181
	v_ashrrev_i32_e32 v74, 31, v74
	s_wait_alu 0xfffd
	v_xor_b32_e32 v72, vcc_lo, v72
	v_cmp_gt_i32_e32 vcc_lo, 0, v181
	v_and_b32_e32 v68, v68, v71
	v_not_b32_e32 v71, v73
	v_ashrrev_i32_e32 v70, 31, v70
	s_wait_alu 0xf1ff
	v_xor_b32_e32 v74, s15, v74
	v_cmp_gt_i32_e64 s15, 0, v73
	v_and_b32_e32 v68, v68, v72
	v_ashrrev_i32_e32 v71, 31, v71
	s_wait_alu 0xfffd
	v_xor_b32_e32 v70, vcc_lo, v70
	v_mad_u32_u24 v72, v69, 36, v145
	v_mul_u32_u24_e32 v69, 36, v69
	v_and_b32_e32 v68, v68, v74
	s_wait_alu 0xf1ff
	v_xor_b32_e32 v71, s15, v71
	ds_load_b32 v181, v72 offset:1056
	v_add_nc_u32_e32 v183, v145, v69
	v_and_b32_e32 v68, v68, v70
	; wave barrier
	s_delay_alu instid0(VALU_DEP_1) | instskip(NEXT) | instid1(VALU_DEP_1)
	v_and_b32_e32 v68, v68, v71
	v_mbcnt_lo_u32_b32 v182, v68, 0
	v_cmp_ne_u32_e64 s15, 0, v68
	s_delay_alu instid0(VALU_DEP_2)
	v_cmp_eq_u32_e32 vcc_lo, 0, v182
	s_and_b32 s16, s15, vcc_lo
	s_wait_alu 0xfffe
	s_and_saveexec_b32 s15, s16
	s_cbranch_execz .LBB710_436
; %bb.435:                              ;   in Loop: Header=BB710_388 Depth=2
	s_wait_dscnt 0x0
	v_bcnt_u32_b32 v68, v68, v181
	ds_store_b32 v183, v68 offset:1056
.LBB710_436:                            ;   in Loop: Header=BB710_388 Depth=2
	s_wait_alu 0xfffe
	s_or_b32 exec_lo, exec_lo, s15
	v_xor_b32_e32 v61, 0x7fffffff, v61
	v_not_b32_e32 v60, v60
	; wave barrier
	s_delay_alu instid0(VALU_DEP_1) | instskip(NEXT) | instid1(VALU_DEP_1)
	v_lshrrev_b64 v[68:69], s48, v[60:61]
	v_and_b32_e32 v69, s55, v68
	s_delay_alu instid0(VALU_DEP_1)
	v_and_b32_e32 v68, 1, v69
	v_lshlrev_b32_e32 v70, 30, v69
	v_lshlrev_b32_e32 v71, 29, v69
	;; [unrolled: 1-line block ×4, first 2 shown]
	v_add_co_u32 v68, s15, v68, -1
	s_wait_alu 0xf1ff
	v_cndmask_b32_e64 v73, 0, 1, s15
	v_not_b32_e32 v185, v70
	v_cmp_gt_i32_e64 s15, 0, v70
	v_not_b32_e32 v70, v71
	v_lshlrev_b32_e32 v75, 26, v69
	v_cmp_ne_u32_e32 vcc_lo, 0, v73
	v_ashrrev_i32_e32 v185, 31, v185
	v_lshlrev_b32_e32 v184, 25, v69
	v_ashrrev_i32_e32 v70, 31, v70
	v_lshlrev_b32_e32 v73, 24, v69
	s_wait_alu 0xfffd
	v_xor_b32_e32 v68, vcc_lo, v68
	v_cmp_gt_i32_e32 vcc_lo, 0, v71
	v_not_b32_e32 v71, v72
	s_wait_alu 0xf1ff
	v_xor_b32_e32 v185, s15, v185
	v_cmp_gt_i32_e64 s15, 0, v72
	v_and_b32_e32 v68, exec_lo, v68
	v_not_b32_e32 v72, v74
	v_ashrrev_i32_e32 v71, 31, v71
	s_wait_alu 0xfffd
	v_xor_b32_e32 v70, vcc_lo, v70
	v_cmp_gt_i32_e32 vcc_lo, 0, v74
	v_and_b32_e32 v68, v68, v185
	v_not_b32_e32 v74, v75
	v_ashrrev_i32_e32 v72, 31, v72
	s_wait_alu 0xf1ff
	v_xor_b32_e32 v71, s15, v71
	v_cmp_gt_i32_e64 s15, 0, v75
	v_and_b32_e32 v68, v68, v70
	v_not_b32_e32 v70, v184
	v_ashrrev_i32_e32 v74, 31, v74
	s_wait_alu 0xfffd
	v_xor_b32_e32 v72, vcc_lo, v72
	v_cmp_gt_i32_e32 vcc_lo, 0, v184
	v_and_b32_e32 v68, v68, v71
	v_not_b32_e32 v71, v73
	v_ashrrev_i32_e32 v70, 31, v70
	s_wait_alu 0xf1ff
	v_xor_b32_e32 v74, s15, v74
	v_cmp_gt_i32_e64 s15, 0, v73
	v_and_b32_e32 v68, v68, v72
	v_ashrrev_i32_e32 v71, 31, v71
	s_wait_alu 0xfffd
	v_xor_b32_e32 v70, vcc_lo, v70
	v_mad_u32_u24 v72, v69, 36, v145
	v_mul_u32_u24_e32 v69, 36, v69
	v_and_b32_e32 v68, v68, v74
	s_wait_alu 0xf1ff
	v_xor_b32_e32 v71, s15, v71
	ds_load_b32 v184, v72 offset:1056
	v_add_nc_u32_e32 v186, v145, v69
	v_and_b32_e32 v68, v68, v70
	; wave barrier
	s_delay_alu instid0(VALU_DEP_1) | instskip(NEXT) | instid1(VALU_DEP_1)
	v_and_b32_e32 v68, v68, v71
	v_mbcnt_lo_u32_b32 v185, v68, 0
	v_cmp_ne_u32_e64 s15, 0, v68
	s_delay_alu instid0(VALU_DEP_2)
	v_cmp_eq_u32_e32 vcc_lo, 0, v185
	s_and_b32 s16, s15, vcc_lo
	s_wait_alu 0xfffe
	s_and_saveexec_b32 s15, s16
	s_cbranch_execz .LBB710_438
; %bb.437:                              ;   in Loop: Header=BB710_388 Depth=2
	s_wait_dscnt 0x0
	v_bcnt_u32_b32 v68, v68, v184
	ds_store_b32 v186, v68 offset:1056
.LBB710_438:                            ;   in Loop: Header=BB710_388 Depth=2
	s_wait_alu 0xfffe
	s_or_b32 exec_lo, exec_lo, s15
	v_xor_b32_e32 v65, 0x7fffffff, v65
	v_not_b32_e32 v64, v64
	; wave barrier
	s_delay_alu instid0(VALU_DEP_1) | instskip(NEXT) | instid1(VALU_DEP_1)
	v_lshrrev_b64 v[68:69], s48, v[64:65]
	v_and_b32_e32 v69, s55, v68
	s_delay_alu instid0(VALU_DEP_1)
	v_and_b32_e32 v68, 1, v69
	v_lshlrev_b32_e32 v70, 30, v69
	v_lshlrev_b32_e32 v71, 29, v69
	;; [unrolled: 1-line block ×4, first 2 shown]
	v_add_co_u32 v68, s15, v68, -1
	s_wait_alu 0xf1ff
	v_cndmask_b32_e64 v73, 0, 1, s15
	v_not_b32_e32 v188, v70
	v_cmp_gt_i32_e64 s15, 0, v70
	v_not_b32_e32 v70, v71
	v_lshlrev_b32_e32 v75, 26, v69
	v_cmp_ne_u32_e32 vcc_lo, 0, v73
	v_ashrrev_i32_e32 v188, 31, v188
	v_lshlrev_b32_e32 v187, 25, v69
	v_ashrrev_i32_e32 v70, 31, v70
	v_lshlrev_b32_e32 v73, 24, v69
	s_wait_alu 0xfffd
	v_xor_b32_e32 v68, vcc_lo, v68
	v_cmp_gt_i32_e32 vcc_lo, 0, v71
	v_not_b32_e32 v71, v72
	s_wait_alu 0xf1ff
	v_xor_b32_e32 v188, s15, v188
	v_cmp_gt_i32_e64 s15, 0, v72
	v_and_b32_e32 v68, exec_lo, v68
	v_not_b32_e32 v72, v74
	v_ashrrev_i32_e32 v71, 31, v71
	s_wait_alu 0xfffd
	v_xor_b32_e32 v70, vcc_lo, v70
	v_cmp_gt_i32_e32 vcc_lo, 0, v74
	v_and_b32_e32 v68, v68, v188
	v_not_b32_e32 v74, v75
	v_ashrrev_i32_e32 v72, 31, v72
	s_wait_alu 0xf1ff
	v_xor_b32_e32 v71, s15, v71
	v_cmp_gt_i32_e64 s15, 0, v75
	v_and_b32_e32 v68, v68, v70
	v_not_b32_e32 v70, v187
	v_ashrrev_i32_e32 v74, 31, v74
	s_wait_alu 0xfffd
	v_xor_b32_e32 v72, vcc_lo, v72
	v_cmp_gt_i32_e32 vcc_lo, 0, v187
	v_and_b32_e32 v68, v68, v71
	v_not_b32_e32 v71, v73
	v_ashrrev_i32_e32 v70, 31, v70
	s_wait_alu 0xf1ff
	v_xor_b32_e32 v74, s15, v74
	v_cmp_gt_i32_e64 s15, 0, v73
	v_and_b32_e32 v68, v68, v72
	v_ashrrev_i32_e32 v71, 31, v71
	s_wait_alu 0xfffd
	v_xor_b32_e32 v70, vcc_lo, v70
	v_mad_u32_u24 v72, v69, 36, v145
	v_mul_u32_u24_e32 v69, 36, v69
	v_and_b32_e32 v68, v68, v74
	s_wait_alu 0xf1ff
	v_xor_b32_e32 v71, s15, v71
	ds_load_b32 v187, v72 offset:1056
	v_add_nc_u32_e32 v189, v145, v69
	v_and_b32_e32 v68, v68, v70
	; wave barrier
	s_delay_alu instid0(VALU_DEP_1) | instskip(NEXT) | instid1(VALU_DEP_1)
	v_and_b32_e32 v68, v68, v71
	v_mbcnt_lo_u32_b32 v188, v68, 0
	v_cmp_ne_u32_e64 s15, 0, v68
	s_delay_alu instid0(VALU_DEP_2)
	v_cmp_eq_u32_e32 vcc_lo, 0, v188
	s_and_b32 s16, s15, vcc_lo
	s_wait_alu 0xfffe
	s_and_saveexec_b32 s15, s16
	s_cbranch_execz .LBB710_440
; %bb.439:                              ;   in Loop: Header=BB710_388 Depth=2
	s_wait_dscnt 0x0
	v_bcnt_u32_b32 v68, v68, v187
	ds_store_b32 v189, v68 offset:1056
.LBB710_440:                            ;   in Loop: Header=BB710_388 Depth=2
	s_wait_alu 0xfffe
	s_or_b32 exec_lo, exec_lo, s15
	v_xor_b32_e32 v67, 0x7fffffff, v67
	v_not_b32_e32 v66, v66
	; wave barrier
	s_delay_alu instid0(VALU_DEP_1) | instskip(NEXT) | instid1(VALU_DEP_1)
	v_lshrrev_b64 v[68:69], s48, v[66:67]
	v_and_b32_e32 v69, s55, v68
	s_delay_alu instid0(VALU_DEP_1)
	v_and_b32_e32 v68, 1, v69
	v_lshlrev_b32_e32 v70, 30, v69
	v_lshlrev_b32_e32 v71, 29, v69
	;; [unrolled: 1-line block ×4, first 2 shown]
	v_add_co_u32 v68, s15, v68, -1
	s_wait_alu 0xf1ff
	v_cndmask_b32_e64 v73, 0, 1, s15
	v_not_b32_e32 v191, v70
	v_cmp_gt_i32_e64 s15, 0, v70
	v_not_b32_e32 v70, v71
	v_lshlrev_b32_e32 v75, 26, v69
	v_cmp_ne_u32_e32 vcc_lo, 0, v73
	v_ashrrev_i32_e32 v191, 31, v191
	v_lshlrev_b32_e32 v190, 25, v69
	v_ashrrev_i32_e32 v70, 31, v70
	v_lshlrev_b32_e32 v73, 24, v69
	s_wait_alu 0xfffd
	v_xor_b32_e32 v68, vcc_lo, v68
	v_cmp_gt_i32_e32 vcc_lo, 0, v71
	v_not_b32_e32 v71, v72
	s_wait_alu 0xf1ff
	v_xor_b32_e32 v191, s15, v191
	v_cmp_gt_i32_e64 s15, 0, v72
	v_and_b32_e32 v68, exec_lo, v68
	v_not_b32_e32 v72, v74
	v_ashrrev_i32_e32 v71, 31, v71
	s_wait_alu 0xfffd
	v_xor_b32_e32 v70, vcc_lo, v70
	v_cmp_gt_i32_e32 vcc_lo, 0, v74
	v_and_b32_e32 v68, v68, v191
	v_not_b32_e32 v74, v75
	v_ashrrev_i32_e32 v72, 31, v72
	s_wait_alu 0xf1ff
	v_xor_b32_e32 v71, s15, v71
	v_cmp_gt_i32_e64 s15, 0, v75
	v_and_b32_e32 v68, v68, v70
	v_not_b32_e32 v70, v190
	v_ashrrev_i32_e32 v74, 31, v74
	s_wait_alu 0xfffd
	v_xor_b32_e32 v72, vcc_lo, v72
	v_cmp_gt_i32_e32 vcc_lo, 0, v190
	v_and_b32_e32 v68, v68, v71
	v_not_b32_e32 v71, v73
	v_ashrrev_i32_e32 v70, 31, v70
	s_wait_alu 0xf1ff
	v_xor_b32_e32 v74, s15, v74
	v_cmp_gt_i32_e64 s15, 0, v73
	v_and_b32_e32 v68, v68, v72
	v_ashrrev_i32_e32 v71, 31, v71
	s_wait_alu 0xfffd
	v_xor_b32_e32 v70, vcc_lo, v70
	v_mad_u32_u24 v72, v69, 36, v145
	v_mul_u32_u24_e32 v69, 36, v69
	v_and_b32_e32 v68, v68, v74
	s_wait_alu 0xf1ff
	v_xor_b32_e32 v71, s15, v71
	ds_load_b32 v190, v72 offset:1056
	v_add_nc_u32_e32 v192, v145, v69
	v_and_b32_e32 v68, v68, v70
	; wave barrier
	s_delay_alu instid0(VALU_DEP_1) | instskip(NEXT) | instid1(VALU_DEP_1)
	v_and_b32_e32 v68, v68, v71
	v_mbcnt_lo_u32_b32 v191, v68, 0
	v_cmp_ne_u32_e64 s15, 0, v68
	s_delay_alu instid0(VALU_DEP_2)
	v_cmp_eq_u32_e32 vcc_lo, 0, v191
	s_and_b32 s16, s15, vcc_lo
	s_wait_alu 0xfffe
	s_and_saveexec_b32 s15, s16
	s_cbranch_execz .LBB710_442
; %bb.441:                              ;   in Loop: Header=BB710_388 Depth=2
	s_wait_dscnt 0x0
	v_bcnt_u32_b32 v68, v68, v190
	ds_store_b32 v192, v68 offset:1056
.LBB710_442:                            ;   in Loop: Header=BB710_388 Depth=2
	s_wait_alu 0xfffe
	s_or_b32 exec_lo, exec_lo, s15
	v_xor_b32_e32 v63, 0x7fffffff, v63
	v_not_b32_e32 v62, v62
	; wave barrier
	s_delay_alu instid0(VALU_DEP_1) | instskip(NEXT) | instid1(VALU_DEP_1)
	v_lshrrev_b64 v[68:69], s48, v[62:63]
	v_and_b32_e32 v69, s55, v68
	s_delay_alu instid0(VALU_DEP_1)
	v_and_b32_e32 v68, 1, v69
	v_lshlrev_b32_e32 v70, 30, v69
	v_lshlrev_b32_e32 v71, 29, v69
	;; [unrolled: 1-line block ×4, first 2 shown]
	v_add_co_u32 v68, s15, v68, -1
	s_wait_alu 0xf1ff
	v_cndmask_b32_e64 v73, 0, 1, s15
	v_not_b32_e32 v194, v70
	v_cmp_gt_i32_e64 s15, 0, v70
	v_not_b32_e32 v70, v71
	v_lshlrev_b32_e32 v75, 26, v69
	v_cmp_ne_u32_e32 vcc_lo, 0, v73
	v_ashrrev_i32_e32 v194, 31, v194
	v_lshlrev_b32_e32 v193, 25, v69
	v_ashrrev_i32_e32 v70, 31, v70
	v_lshlrev_b32_e32 v73, 24, v69
	s_wait_alu 0xfffd
	v_xor_b32_e32 v68, vcc_lo, v68
	v_cmp_gt_i32_e32 vcc_lo, 0, v71
	v_not_b32_e32 v71, v72
	s_wait_alu 0xf1ff
	v_xor_b32_e32 v194, s15, v194
	v_cmp_gt_i32_e64 s15, 0, v72
	v_and_b32_e32 v68, exec_lo, v68
	v_not_b32_e32 v72, v74
	v_ashrrev_i32_e32 v71, 31, v71
	s_wait_alu 0xfffd
	v_xor_b32_e32 v70, vcc_lo, v70
	v_cmp_gt_i32_e32 vcc_lo, 0, v74
	v_and_b32_e32 v68, v68, v194
	v_not_b32_e32 v74, v75
	v_ashrrev_i32_e32 v72, 31, v72
	s_wait_alu 0xf1ff
	v_xor_b32_e32 v71, s15, v71
	v_cmp_gt_i32_e64 s15, 0, v75
	v_and_b32_e32 v68, v68, v70
	v_not_b32_e32 v70, v193
	v_ashrrev_i32_e32 v74, 31, v74
	s_wait_alu 0xfffd
	v_xor_b32_e32 v72, vcc_lo, v72
	v_cmp_gt_i32_e32 vcc_lo, 0, v193
	v_and_b32_e32 v68, v68, v71
	v_not_b32_e32 v71, v73
	v_ashrrev_i32_e32 v70, 31, v70
	s_wait_alu 0xf1ff
	v_xor_b32_e32 v74, s15, v74
	v_cmp_gt_i32_e64 s15, 0, v73
	v_and_b32_e32 v68, v68, v72
	v_ashrrev_i32_e32 v71, 31, v71
	s_wait_alu 0xfffd
	v_xor_b32_e32 v70, vcc_lo, v70
	v_mad_u32_u24 v72, v69, 36, v145
	v_mul_u32_u24_e32 v69, 36, v69
	v_and_b32_e32 v68, v68, v74
	s_wait_alu 0xf1ff
	v_xor_b32_e32 v71, s15, v71
	ds_load_b32 v193, v72 offset:1056
	v_add_nc_u32_e32 v195, v145, v69
	v_and_b32_e32 v68, v68, v70
	; wave barrier
	s_delay_alu instid0(VALU_DEP_1) | instskip(NEXT) | instid1(VALU_DEP_1)
	v_and_b32_e32 v68, v68, v71
	v_mbcnt_lo_u32_b32 v194, v68, 0
	v_cmp_ne_u32_e64 s15, 0, v68
	s_delay_alu instid0(VALU_DEP_2)
	v_cmp_eq_u32_e32 vcc_lo, 0, v194
	s_and_b32 s16, s15, vcc_lo
	s_wait_alu 0xfffe
	s_and_saveexec_b32 s15, s16
	s_cbranch_execz .LBB710_444
; %bb.443:                              ;   in Loop: Header=BB710_388 Depth=2
	s_wait_dscnt 0x0
	v_bcnt_u32_b32 v68, v68, v193
	ds_store_b32 v195, v68 offset:1056
.LBB710_444:                            ;   in Loop: Header=BB710_388 Depth=2
	s_wait_alu 0xfffe
	s_or_b32 exec_lo, exec_lo, s15
	v_xor_b32_e32 v59, 0x7fffffff, v59
	v_not_b32_e32 v58, v58
	; wave barrier
	s_delay_alu instid0(VALU_DEP_1) | instskip(NEXT) | instid1(VALU_DEP_1)
	v_lshrrev_b64 v[68:69], s48, v[58:59]
	v_and_b32_e32 v69, s55, v68
	s_delay_alu instid0(VALU_DEP_1)
	v_and_b32_e32 v68, 1, v69
	v_lshlrev_b32_e32 v70, 30, v69
	v_lshlrev_b32_e32 v71, 29, v69
	v_lshlrev_b32_e32 v72, 28, v69
	v_lshlrev_b32_e32 v74, 27, v69
	v_add_co_u32 v68, s15, v68, -1
	s_wait_alu 0xf1ff
	v_cndmask_b32_e64 v73, 0, 1, s15
	v_not_b32_e32 v197, v70
	v_cmp_gt_i32_e64 s15, 0, v70
	v_not_b32_e32 v70, v71
	v_lshlrev_b32_e32 v75, 26, v69
	v_cmp_ne_u32_e32 vcc_lo, 0, v73
	v_ashrrev_i32_e32 v197, 31, v197
	v_lshlrev_b32_e32 v196, 25, v69
	v_ashrrev_i32_e32 v70, 31, v70
	v_lshlrev_b32_e32 v73, 24, v69
	s_wait_alu 0xfffd
	v_xor_b32_e32 v68, vcc_lo, v68
	v_cmp_gt_i32_e32 vcc_lo, 0, v71
	v_not_b32_e32 v71, v72
	s_wait_alu 0xf1ff
	v_xor_b32_e32 v197, s15, v197
	v_cmp_gt_i32_e64 s15, 0, v72
	v_and_b32_e32 v68, exec_lo, v68
	v_not_b32_e32 v72, v74
	v_ashrrev_i32_e32 v71, 31, v71
	s_wait_alu 0xfffd
	v_xor_b32_e32 v70, vcc_lo, v70
	v_cmp_gt_i32_e32 vcc_lo, 0, v74
	v_and_b32_e32 v68, v68, v197
	v_not_b32_e32 v74, v75
	v_ashrrev_i32_e32 v72, 31, v72
	s_wait_alu 0xf1ff
	v_xor_b32_e32 v71, s15, v71
	v_cmp_gt_i32_e64 s15, 0, v75
	v_and_b32_e32 v68, v68, v70
	v_not_b32_e32 v70, v196
	v_ashrrev_i32_e32 v74, 31, v74
	s_wait_alu 0xfffd
	v_xor_b32_e32 v72, vcc_lo, v72
	v_cmp_gt_i32_e32 vcc_lo, 0, v196
	v_and_b32_e32 v68, v68, v71
	v_not_b32_e32 v71, v73
	v_ashrrev_i32_e32 v70, 31, v70
	s_wait_alu 0xf1ff
	v_xor_b32_e32 v74, s15, v74
	v_cmp_gt_i32_e64 s15, 0, v73
	v_and_b32_e32 v68, v68, v72
	v_ashrrev_i32_e32 v71, 31, v71
	s_wait_alu 0xfffd
	v_xor_b32_e32 v70, vcc_lo, v70
	v_mad_u32_u24 v72, v69, 36, v145
	v_mul_u32_u24_e32 v69, 36, v69
	v_and_b32_e32 v68, v68, v74
	s_wait_alu 0xf1ff
	v_xor_b32_e32 v71, s15, v71
	ds_load_b32 v196, v72 offset:1056
	v_add_nc_u32_e32 v198, v145, v69
	v_and_b32_e32 v68, v68, v70
	; wave barrier
	s_delay_alu instid0(VALU_DEP_1) | instskip(NEXT) | instid1(VALU_DEP_1)
	v_and_b32_e32 v68, v68, v71
	v_mbcnt_lo_u32_b32 v197, v68, 0
	v_cmp_ne_u32_e64 s15, 0, v68
	s_delay_alu instid0(VALU_DEP_2)
	v_cmp_eq_u32_e32 vcc_lo, 0, v197
	s_and_b32 s16, s15, vcc_lo
	s_wait_alu 0xfffe
	s_and_saveexec_b32 s15, s16
	s_cbranch_execz .LBB710_446
; %bb.445:                              ;   in Loop: Header=BB710_388 Depth=2
	s_wait_dscnt 0x0
	v_bcnt_u32_b32 v68, v68, v196
	ds_store_b32 v198, v68 offset:1056
.LBB710_446:                            ;   in Loop: Header=BB710_388 Depth=2
	s_wait_alu 0xfffe
	s_or_b32 exec_lo, exec_lo, s15
	v_xor_b32_e32 v55, 0x7fffffff, v55
	v_not_b32_e32 v54, v54
	; wave barrier
	s_delay_alu instid0(VALU_DEP_1) | instskip(NEXT) | instid1(VALU_DEP_1)
	v_lshrrev_b64 v[68:69], s48, v[54:55]
	v_and_b32_e32 v69, s55, v68
	s_delay_alu instid0(VALU_DEP_1)
	v_and_b32_e32 v68, 1, v69
	v_lshlrev_b32_e32 v70, 30, v69
	v_lshlrev_b32_e32 v71, 29, v69
	;; [unrolled: 1-line block ×4, first 2 shown]
	v_add_co_u32 v68, s15, v68, -1
	s_wait_alu 0xf1ff
	v_cndmask_b32_e64 v73, 0, 1, s15
	v_not_b32_e32 v200, v70
	v_cmp_gt_i32_e64 s15, 0, v70
	v_not_b32_e32 v70, v71
	v_lshlrev_b32_e32 v75, 26, v69
	v_cmp_ne_u32_e32 vcc_lo, 0, v73
	v_ashrrev_i32_e32 v200, 31, v200
	v_lshlrev_b32_e32 v199, 25, v69
	v_ashrrev_i32_e32 v70, 31, v70
	v_lshlrev_b32_e32 v73, 24, v69
	s_wait_alu 0xfffd
	v_xor_b32_e32 v68, vcc_lo, v68
	v_cmp_gt_i32_e32 vcc_lo, 0, v71
	v_not_b32_e32 v71, v72
	s_wait_alu 0xf1ff
	v_xor_b32_e32 v200, s15, v200
	v_cmp_gt_i32_e64 s15, 0, v72
	v_and_b32_e32 v68, exec_lo, v68
	v_not_b32_e32 v72, v74
	v_ashrrev_i32_e32 v71, 31, v71
	s_wait_alu 0xfffd
	v_xor_b32_e32 v70, vcc_lo, v70
	v_cmp_gt_i32_e32 vcc_lo, 0, v74
	v_and_b32_e32 v68, v68, v200
	v_not_b32_e32 v74, v75
	v_ashrrev_i32_e32 v72, 31, v72
	s_wait_alu 0xf1ff
	v_xor_b32_e32 v71, s15, v71
	v_cmp_gt_i32_e64 s15, 0, v75
	v_and_b32_e32 v68, v68, v70
	v_not_b32_e32 v70, v199
	v_ashrrev_i32_e32 v74, 31, v74
	s_wait_alu 0xfffd
	v_xor_b32_e32 v72, vcc_lo, v72
	v_cmp_gt_i32_e32 vcc_lo, 0, v199
	v_and_b32_e32 v68, v68, v71
	v_not_b32_e32 v71, v73
	v_ashrrev_i32_e32 v70, 31, v70
	s_wait_alu 0xf1ff
	v_xor_b32_e32 v74, s15, v74
	v_cmp_gt_i32_e64 s15, 0, v73
	v_and_b32_e32 v68, v68, v72
	v_ashrrev_i32_e32 v71, 31, v71
	s_wait_alu 0xfffd
	v_xor_b32_e32 v70, vcc_lo, v70
	v_mad_u32_u24 v72, v69, 36, v145
	v_mul_u32_u24_e32 v69, 36, v69
	v_and_b32_e32 v68, v68, v74
	s_wait_alu 0xf1ff
	v_xor_b32_e32 v71, s15, v71
	ds_load_b32 v199, v72 offset:1056
	v_add_nc_u32_e32 v201, v145, v69
	v_and_b32_e32 v68, v68, v70
	; wave barrier
	s_delay_alu instid0(VALU_DEP_1) | instskip(NEXT) | instid1(VALU_DEP_1)
	v_and_b32_e32 v68, v68, v71
	v_mbcnt_lo_u32_b32 v200, v68, 0
	v_cmp_ne_u32_e64 s15, 0, v68
	s_delay_alu instid0(VALU_DEP_2)
	v_cmp_eq_u32_e32 vcc_lo, 0, v200
	s_and_b32 s16, s15, vcc_lo
	s_wait_alu 0xfffe
	s_and_saveexec_b32 s15, s16
	s_cbranch_execz .LBB710_448
; %bb.447:                              ;   in Loop: Header=BB710_388 Depth=2
	s_wait_dscnt 0x0
	v_bcnt_u32_b32 v68, v68, v199
	ds_store_b32 v201, v68 offset:1056
.LBB710_448:                            ;   in Loop: Header=BB710_388 Depth=2
	s_wait_alu 0xfffe
	s_or_b32 exec_lo, exec_lo, s15
	v_xor_b32_e32 v51, 0x7fffffff, v51
	v_not_b32_e32 v50, v50
	; wave barrier
	s_delay_alu instid0(VALU_DEP_1) | instskip(NEXT) | instid1(VALU_DEP_1)
	v_lshrrev_b64 v[68:69], s48, v[50:51]
	v_and_b32_e32 v69, s55, v68
	s_delay_alu instid0(VALU_DEP_1)
	v_and_b32_e32 v68, 1, v69
	v_lshlrev_b32_e32 v70, 30, v69
	v_lshlrev_b32_e32 v71, 29, v69
	v_lshlrev_b32_e32 v72, 28, v69
	v_lshlrev_b32_e32 v74, 27, v69
	v_add_co_u32 v68, s15, v68, -1
	s_wait_alu 0xf1ff
	v_cndmask_b32_e64 v73, 0, 1, s15
	v_not_b32_e32 v203, v70
	v_cmp_gt_i32_e64 s15, 0, v70
	v_not_b32_e32 v70, v71
	v_lshlrev_b32_e32 v75, 26, v69
	v_cmp_ne_u32_e32 vcc_lo, 0, v73
	v_ashrrev_i32_e32 v203, 31, v203
	v_lshlrev_b32_e32 v202, 25, v69
	v_ashrrev_i32_e32 v70, 31, v70
	v_lshlrev_b32_e32 v73, 24, v69
	s_wait_alu 0xfffd
	v_xor_b32_e32 v68, vcc_lo, v68
	v_cmp_gt_i32_e32 vcc_lo, 0, v71
	v_not_b32_e32 v71, v72
	s_wait_alu 0xf1ff
	v_xor_b32_e32 v203, s15, v203
	v_cmp_gt_i32_e64 s15, 0, v72
	v_and_b32_e32 v68, exec_lo, v68
	v_not_b32_e32 v72, v74
	v_ashrrev_i32_e32 v71, 31, v71
	s_wait_alu 0xfffd
	v_xor_b32_e32 v70, vcc_lo, v70
	v_cmp_gt_i32_e32 vcc_lo, 0, v74
	v_and_b32_e32 v68, v68, v203
	v_not_b32_e32 v74, v75
	v_ashrrev_i32_e32 v72, 31, v72
	s_wait_alu 0xf1ff
	v_xor_b32_e32 v71, s15, v71
	v_cmp_gt_i32_e64 s15, 0, v75
	v_and_b32_e32 v68, v68, v70
	v_not_b32_e32 v70, v202
	v_ashrrev_i32_e32 v74, 31, v74
	s_wait_alu 0xfffd
	v_xor_b32_e32 v72, vcc_lo, v72
	v_cmp_gt_i32_e32 vcc_lo, 0, v202
	v_and_b32_e32 v68, v68, v71
	v_not_b32_e32 v71, v73
	v_ashrrev_i32_e32 v70, 31, v70
	s_wait_alu 0xf1ff
	v_xor_b32_e32 v74, s15, v74
	v_cmp_gt_i32_e64 s15, 0, v73
	v_and_b32_e32 v68, v68, v72
	v_ashrrev_i32_e32 v71, 31, v71
	s_wait_alu 0xfffd
	v_xor_b32_e32 v70, vcc_lo, v70
	v_mad_u32_u24 v72, v69, 36, v145
	v_mul_u32_u24_e32 v69, 36, v69
	v_and_b32_e32 v68, v68, v74
	s_wait_alu 0xf1ff
	v_xor_b32_e32 v71, s15, v71
	ds_load_b32 v202, v72 offset:1056
	v_add_nc_u32_e32 v205, v145, v69
	v_and_b32_e32 v68, v68, v70
	; wave barrier
	s_delay_alu instid0(VALU_DEP_1) | instskip(NEXT) | instid1(VALU_DEP_1)
	v_and_b32_e32 v68, v68, v71
	v_mbcnt_lo_u32_b32 v203, v68, 0
	v_cmp_ne_u32_e64 s15, 0, v68
	s_delay_alu instid0(VALU_DEP_2)
	v_cmp_eq_u32_e32 vcc_lo, 0, v203
	s_and_b32 s16, s15, vcc_lo
	s_wait_alu 0xfffe
	s_and_saveexec_b32 s15, s16
	s_cbranch_execz .LBB710_450
; %bb.449:                              ;   in Loop: Header=BB710_388 Depth=2
	s_wait_dscnt 0x0
	v_bcnt_u32_b32 v68, v68, v202
	ds_store_b32 v205, v68 offset:1056
.LBB710_450:                            ;   in Loop: Header=BB710_388 Depth=2
	s_wait_alu 0xfffe
	s_or_b32 exec_lo, exec_lo, s15
	v_xor_b32_e32 v49, 0x7fffffff, v49
	v_not_b32_e32 v48, v48
	; wave barrier
	s_delay_alu instid0(VALU_DEP_1) | instskip(NEXT) | instid1(VALU_DEP_1)
	v_lshrrev_b64 v[68:69], s48, v[48:49]
	v_and_b32_e32 v69, s55, v68
	s_delay_alu instid0(VALU_DEP_1)
	v_and_b32_e32 v68, 1, v69
	v_lshlrev_b32_e32 v70, 30, v69
	v_lshlrev_b32_e32 v71, 29, v69
	;; [unrolled: 1-line block ×4, first 2 shown]
	v_add_co_u32 v68, s15, v68, -1
	s_wait_alu 0xf1ff
	v_cndmask_b32_e64 v73, 0, 1, s15
	v_not_b32_e32 v206, v70
	v_cmp_gt_i32_e64 s15, 0, v70
	v_not_b32_e32 v70, v71
	v_lshlrev_b32_e32 v75, 26, v69
	v_cmp_ne_u32_e32 vcc_lo, 0, v73
	v_ashrrev_i32_e32 v206, 31, v206
	v_lshlrev_b32_e32 v204, 25, v69
	v_ashrrev_i32_e32 v70, 31, v70
	v_lshlrev_b32_e32 v73, 24, v69
	s_wait_alu 0xfffd
	v_xor_b32_e32 v68, vcc_lo, v68
	v_cmp_gt_i32_e32 vcc_lo, 0, v71
	v_not_b32_e32 v71, v72
	s_wait_alu 0xf1ff
	v_xor_b32_e32 v206, s15, v206
	v_cmp_gt_i32_e64 s15, 0, v72
	v_and_b32_e32 v68, exec_lo, v68
	v_not_b32_e32 v72, v74
	v_ashrrev_i32_e32 v71, 31, v71
	s_wait_alu 0xfffd
	v_xor_b32_e32 v70, vcc_lo, v70
	v_cmp_gt_i32_e32 vcc_lo, 0, v74
	v_and_b32_e32 v68, v68, v206
	v_not_b32_e32 v74, v75
	v_ashrrev_i32_e32 v72, 31, v72
	s_wait_alu 0xf1ff
	v_xor_b32_e32 v71, s15, v71
	v_cmp_gt_i32_e64 s15, 0, v75
	v_and_b32_e32 v68, v68, v70
	v_not_b32_e32 v70, v204
	v_ashrrev_i32_e32 v74, 31, v74
	s_wait_alu 0xfffd
	v_xor_b32_e32 v72, vcc_lo, v72
	v_cmp_gt_i32_e32 vcc_lo, 0, v204
	v_and_b32_e32 v68, v68, v71
	v_not_b32_e32 v71, v73
	v_ashrrev_i32_e32 v70, 31, v70
	s_wait_alu 0xf1ff
	v_xor_b32_e32 v74, s15, v74
	v_cmp_gt_i32_e64 s15, 0, v73
	v_and_b32_e32 v68, v68, v72
	v_ashrrev_i32_e32 v71, 31, v71
	s_wait_alu 0xfffd
	v_xor_b32_e32 v70, vcc_lo, v70
	v_mad_u32_u24 v72, v69, 36, v145
	v_mul_u32_u24_e32 v69, 36, v69
	v_and_b32_e32 v68, v68, v74
	s_wait_alu 0xf1ff
	v_xor_b32_e32 v71, s15, v71
	ds_load_b32 v204, v72 offset:1056
	v_add_nc_u32_e32 v208, v145, v69
	v_and_b32_e32 v68, v68, v70
	; wave barrier
	s_delay_alu instid0(VALU_DEP_1) | instskip(NEXT) | instid1(VALU_DEP_1)
	v_and_b32_e32 v68, v68, v71
	v_mbcnt_lo_u32_b32 v206, v68, 0
	v_cmp_ne_u32_e64 s15, 0, v68
	s_delay_alu instid0(VALU_DEP_2)
	v_cmp_eq_u32_e32 vcc_lo, 0, v206
	s_and_b32 s16, s15, vcc_lo
	s_wait_alu 0xfffe
	s_and_saveexec_b32 s15, s16
	s_cbranch_execz .LBB710_452
; %bb.451:                              ;   in Loop: Header=BB710_388 Depth=2
	s_wait_dscnt 0x0
	v_bcnt_u32_b32 v68, v68, v204
	ds_store_b32 v208, v68 offset:1056
.LBB710_452:                            ;   in Loop: Header=BB710_388 Depth=2
	s_wait_alu 0xfffe
	s_or_b32 exec_lo, exec_lo, s15
	v_xor_b32_e32 v45, 0x7fffffff, v45
	v_not_b32_e32 v44, v44
	; wave barrier
	s_delay_alu instid0(VALU_DEP_1) | instskip(NEXT) | instid1(VALU_DEP_1)
	v_lshrrev_b64 v[68:69], s48, v[44:45]
	v_and_b32_e32 v69, s55, v68
	s_delay_alu instid0(VALU_DEP_1)
	v_and_b32_e32 v68, 1, v69
	v_lshlrev_b32_e32 v70, 30, v69
	v_lshlrev_b32_e32 v71, 29, v69
	;; [unrolled: 1-line block ×4, first 2 shown]
	v_add_co_u32 v68, s15, v68, -1
	s_wait_alu 0xf1ff
	v_cndmask_b32_e64 v73, 0, 1, s15
	v_not_b32_e32 v209, v70
	v_cmp_gt_i32_e64 s15, 0, v70
	v_not_b32_e32 v70, v71
	v_lshlrev_b32_e32 v75, 26, v69
	v_cmp_ne_u32_e32 vcc_lo, 0, v73
	v_ashrrev_i32_e32 v209, 31, v209
	v_lshlrev_b32_e32 v207, 25, v69
	v_ashrrev_i32_e32 v70, 31, v70
	v_lshlrev_b32_e32 v73, 24, v69
	s_wait_alu 0xfffd
	v_xor_b32_e32 v68, vcc_lo, v68
	v_cmp_gt_i32_e32 vcc_lo, 0, v71
	v_not_b32_e32 v71, v72
	s_wait_alu 0xf1ff
	v_xor_b32_e32 v209, s15, v209
	v_cmp_gt_i32_e64 s15, 0, v72
	v_and_b32_e32 v68, exec_lo, v68
	v_not_b32_e32 v72, v74
	v_ashrrev_i32_e32 v71, 31, v71
	s_wait_alu 0xfffd
	v_xor_b32_e32 v70, vcc_lo, v70
	v_cmp_gt_i32_e32 vcc_lo, 0, v74
	v_and_b32_e32 v68, v68, v209
	v_not_b32_e32 v74, v75
	v_ashrrev_i32_e32 v72, 31, v72
	s_wait_alu 0xf1ff
	v_xor_b32_e32 v71, s15, v71
	v_cmp_gt_i32_e64 s15, 0, v75
	v_and_b32_e32 v68, v68, v70
	v_not_b32_e32 v70, v207
	v_ashrrev_i32_e32 v74, 31, v74
	s_wait_alu 0xfffd
	v_xor_b32_e32 v72, vcc_lo, v72
	v_cmp_gt_i32_e32 vcc_lo, 0, v207
	v_and_b32_e32 v68, v68, v71
	v_not_b32_e32 v71, v73
	v_ashrrev_i32_e32 v70, 31, v70
	s_wait_alu 0xf1ff
	v_xor_b32_e32 v74, s15, v74
	v_cmp_gt_i32_e64 s15, 0, v73
	v_and_b32_e32 v68, v68, v72
	v_ashrrev_i32_e32 v71, 31, v71
	s_wait_alu 0xfffd
	v_xor_b32_e32 v70, vcc_lo, v70
	v_mad_u32_u24 v72, v69, 36, v145
	v_mul_u32_u24_e32 v69, 36, v69
	v_and_b32_e32 v68, v68, v74
	s_wait_alu 0xf1ff
	v_xor_b32_e32 v71, s15, v71
	ds_load_b32 v207, v72 offset:1056
	v_add_nc_u32_e32 v212, v145, v69
	v_and_b32_e32 v68, v68, v70
	; wave barrier
	s_delay_alu instid0(VALU_DEP_1) | instskip(NEXT) | instid1(VALU_DEP_1)
	v_and_b32_e32 v68, v68, v71
	v_mbcnt_lo_u32_b32 v209, v68, 0
	v_cmp_ne_u32_e64 s15, 0, v68
	s_delay_alu instid0(VALU_DEP_2)
	v_cmp_eq_u32_e32 vcc_lo, 0, v209
	s_and_b32 s16, s15, vcc_lo
	s_wait_alu 0xfffe
	s_and_saveexec_b32 s15, s16
	s_cbranch_execz .LBB710_454
; %bb.453:                              ;   in Loop: Header=BB710_388 Depth=2
	s_wait_dscnt 0x0
	v_bcnt_u32_b32 v68, v68, v207
	ds_store_b32 v212, v68 offset:1056
.LBB710_454:                            ;   in Loop: Header=BB710_388 Depth=2
	s_wait_alu 0xfffe
	s_or_b32 exec_lo, exec_lo, s15
	v_lshrrev_b64 v[68:69], s48, v[36:37]
	; wave barrier
	s_delay_alu instid0(VALU_DEP_1) | instskip(NEXT) | instid1(VALU_DEP_1)
	v_and_b32_e32 v69, s55, v68
	v_and_b32_e32 v68, 1, v69
	v_lshlrev_b32_e32 v70, 30, v69
	v_lshlrev_b32_e32 v71, 29, v69
	;; [unrolled: 1-line block ×4, first 2 shown]
	v_add_co_u32 v68, s15, v68, -1
	s_wait_alu 0xf1ff
	v_cndmask_b32_e64 v73, 0, 1, s15
	v_not_b32_e32 v211, v70
	v_cmp_gt_i32_e64 s15, 0, v70
	v_not_b32_e32 v70, v71
	v_lshlrev_b32_e32 v75, 26, v69
	v_cmp_ne_u32_e32 vcc_lo, 0, v73
	v_ashrrev_i32_e32 v211, 31, v211
	v_lshlrev_b32_e32 v210, 25, v69
	v_ashrrev_i32_e32 v70, 31, v70
	v_lshlrev_b32_e32 v73, 24, v69
	s_wait_alu 0xfffd
	v_xor_b32_e32 v68, vcc_lo, v68
	v_cmp_gt_i32_e32 vcc_lo, 0, v71
	v_not_b32_e32 v71, v72
	s_wait_alu 0xf1ff
	v_xor_b32_e32 v211, s15, v211
	v_cmp_gt_i32_e64 s15, 0, v72
	v_and_b32_e32 v68, exec_lo, v68
	v_not_b32_e32 v72, v74
	v_ashrrev_i32_e32 v71, 31, v71
	s_wait_alu 0xfffd
	v_xor_b32_e32 v70, vcc_lo, v70
	v_cmp_gt_i32_e32 vcc_lo, 0, v74
	v_and_b32_e32 v68, v68, v211
	v_not_b32_e32 v74, v75
	v_ashrrev_i32_e32 v72, 31, v72
	s_wait_alu 0xf1ff
	v_xor_b32_e32 v71, s15, v71
	v_cmp_gt_i32_e64 s15, 0, v75
	v_and_b32_e32 v68, v68, v70
	v_not_b32_e32 v70, v210
	v_ashrrev_i32_e32 v74, 31, v74
	s_wait_alu 0xfffd
	v_xor_b32_e32 v72, vcc_lo, v72
	v_cmp_gt_i32_e32 vcc_lo, 0, v210
	v_and_b32_e32 v68, v68, v71
	v_not_b32_e32 v71, v73
	v_ashrrev_i32_e32 v70, 31, v70
	s_wait_alu 0xf1ff
	v_xor_b32_e32 v74, s15, v74
	v_cmp_gt_i32_e64 s15, 0, v73
	v_and_b32_e32 v68, v68, v72
	v_ashrrev_i32_e32 v71, 31, v71
	s_wait_alu 0xfffd
	v_xor_b32_e32 v70, vcc_lo, v70
	v_mad_u32_u24 v72, v69, 36, v145
	v_mul_u32_u24_e32 v69, 36, v69
	v_and_b32_e32 v68, v68, v74
	s_wait_alu 0xf1ff
	v_xor_b32_e32 v71, s15, v71
	ds_load_b32 v210, v72 offset:1056
	v_add_nc_u32_e32 v213, v145, v69
	v_and_b32_e32 v68, v68, v70
	; wave barrier
	s_delay_alu instid0(VALU_DEP_1) | instskip(NEXT) | instid1(VALU_DEP_1)
	v_and_b32_e32 v68, v68, v71
	v_mbcnt_lo_u32_b32 v211, v68, 0
	v_cmp_ne_u32_e64 s15, 0, v68
	s_delay_alu instid0(VALU_DEP_2)
	v_cmp_eq_u32_e32 vcc_lo, 0, v211
	s_and_b32 s16, s15, vcc_lo
	s_wait_alu 0xfffe
	s_and_saveexec_b32 s15, s16
	s_cbranch_execz .LBB710_456
; %bb.455:                              ;   in Loop: Header=BB710_388 Depth=2
	s_wait_dscnt 0x0
	v_bcnt_u32_b32 v68, v68, v210
	ds_store_b32 v213, v68 offset:1056
.LBB710_456:                            ;   in Loop: Header=BB710_388 Depth=2
	s_wait_alu 0xfffe
	s_or_b32 exec_lo, exec_lo, s15
	; wave barrier
	s_wait_loadcnt_dscnt 0x0
	s_barrier_signal -1
	s_barrier_wait -1
	global_inv scope:SCOPE_SE
	ds_load_2addr_b32 v[74:75], v165 offset1:1
	ds_load_2addr_b32 v[72:73], v166 offset1:1
	;; [unrolled: 1-line block ×4, first 2 shown]
	ds_load_b32 v214, v100 offset:1088
	s_wait_dscnt 0x3
	v_add3_u32 v215, v75, v74, v72
	s_wait_dscnt 0x2
	s_delay_alu instid0(VALU_DEP_1) | instskip(SKIP_1) | instid1(VALU_DEP_1)
	v_add3_u32 v215, v215, v73, v70
	s_wait_dscnt 0x1
	v_add3_u32 v215, v215, v71, v68
	s_wait_dscnt 0x0
	s_delay_alu instid0(VALU_DEP_1) | instskip(NEXT) | instid1(VALU_DEP_1)
	v_add3_u32 v214, v215, v69, v214
	v_mov_b32_dpp v215, v214 row_shr:1 row_mask:0xf bank_mask:0xf
	s_delay_alu instid0(VALU_DEP_1) | instskip(NEXT) | instid1(VALU_DEP_1)
	v_cndmask_b32_e64 v215, v215, 0, s0
	v_add_nc_u32_e32 v214, v215, v214
	s_delay_alu instid0(VALU_DEP_1) | instskip(NEXT) | instid1(VALU_DEP_1)
	v_mov_b32_dpp v215, v214 row_shr:2 row_mask:0xf bank_mask:0xf
	v_cndmask_b32_e64 v215, 0, v215, s1
	s_delay_alu instid0(VALU_DEP_1) | instskip(NEXT) | instid1(VALU_DEP_1)
	v_add_nc_u32_e32 v214, v214, v215
	v_mov_b32_dpp v215, v214 row_shr:4 row_mask:0xf bank_mask:0xf
	s_delay_alu instid0(VALU_DEP_1) | instskip(NEXT) | instid1(VALU_DEP_1)
	v_cndmask_b32_e64 v215, 0, v215, s8
	v_add_nc_u32_e32 v214, v214, v215
	s_delay_alu instid0(VALU_DEP_1) | instskip(NEXT) | instid1(VALU_DEP_1)
	v_mov_b32_dpp v215, v214 row_shr:8 row_mask:0xf bank_mask:0xf
	v_cndmask_b32_e64 v215, 0, v215, s9
	s_delay_alu instid0(VALU_DEP_1) | instskip(SKIP_3) | instid1(VALU_DEP_1)
	v_add_nc_u32_e32 v214, v214, v215
	ds_swizzle_b32 v215, v214 offset:swizzle(BROADCAST,32,15)
	s_wait_dscnt 0x0
	v_cndmask_b32_e64 v215, v215, 0, s10
	v_add_nc_u32_e32 v214, v214, v215
	s_and_saveexec_b32 s15, s3
; %bb.457:                              ;   in Loop: Header=BB710_388 Depth=2
	ds_store_b32 v95, v214 offset:1024
; %bb.458:                              ;   in Loop: Header=BB710_388 Depth=2
	s_wait_alu 0xfffe
	s_or_b32 exec_lo, exec_lo, s15
	s_wait_loadcnt_dscnt 0x0
	s_barrier_signal -1
	s_barrier_wait -1
	global_inv scope:SCOPE_SE
	s_and_saveexec_b32 s15, s4
	s_cbranch_execz .LBB710_460
; %bb.459:                              ;   in Loop: Header=BB710_388 Depth=2
	ds_load_b32 v215, v103 offset:1024
	s_wait_dscnt 0x0
	v_mov_b32_dpp v216, v215 row_shr:1 row_mask:0xf bank_mask:0xf
	s_delay_alu instid0(VALU_DEP_1) | instskip(NEXT) | instid1(VALU_DEP_1)
	v_cndmask_b32_e64 v216, v216, 0, s12
	v_add_nc_u32_e32 v215, v216, v215
	s_delay_alu instid0(VALU_DEP_1) | instskip(NEXT) | instid1(VALU_DEP_1)
	v_mov_b32_dpp v216, v215 row_shr:2 row_mask:0xf bank_mask:0xf
	v_cndmask_b32_e64 v216, 0, v216, s13
	s_delay_alu instid0(VALU_DEP_1) | instskip(NEXT) | instid1(VALU_DEP_1)
	v_add_nc_u32_e32 v215, v215, v216
	v_mov_b32_dpp v216, v215 row_shr:4 row_mask:0xf bank_mask:0xf
	s_delay_alu instid0(VALU_DEP_1) | instskip(NEXT) | instid1(VALU_DEP_1)
	v_cndmask_b32_e64 v216, 0, v216, s14
	v_add_nc_u32_e32 v215, v215, v216
	ds_store_b32 v103, v215 offset:1024
.LBB710_460:                            ;   in Loop: Header=BB710_388 Depth=2
	s_wait_alu 0xfffe
	s_or_b32 exec_lo, exec_lo, s15
	v_mov_b32_e32 v215, 0
	s_wait_loadcnt_dscnt 0x0
	s_barrier_signal -1
	s_barrier_wait -1
	global_inv scope:SCOPE_SE
	s_and_saveexec_b32 s15, s5
; %bb.461:                              ;   in Loop: Header=BB710_388 Depth=2
	ds_load_b32 v215, v95 offset:1020
; %bb.462:                              ;   in Loop: Header=BB710_388 Depth=2
	s_wait_alu 0xfffe
	s_or_b32 exec_lo, exec_lo, s15
	s_wait_dscnt 0x0
	v_add_nc_u32_e32 v214, v215, v214
	ds_bpermute_b32 v214, v124, v214
	s_wait_dscnt 0x0
	v_cndmask_b32_e64 v214, v214, v215, s11
	s_delay_alu instid0(VALU_DEP_1) | instskip(NEXT) | instid1(VALU_DEP_1)
	v_cndmask_b32_e64 v214, v214, 0, s6
	v_add_nc_u32_e32 v74, v214, v74
	s_delay_alu instid0(VALU_DEP_1) | instskip(NEXT) | instid1(VALU_DEP_1)
	v_add_nc_u32_e32 v75, v74, v75
	v_add_nc_u32_e32 v72, v75, v72
	s_delay_alu instid0(VALU_DEP_1) | instskip(NEXT) | instid1(VALU_DEP_1)
	v_add_nc_u32_e32 v73, v72, v73
	v_add_nc_u32_e32 v70, v73, v70
	s_delay_alu instid0(VALU_DEP_1) | instskip(NEXT) | instid1(VALU_DEP_1)
	v_add_nc_u32_e32 v71, v70, v71
	v_add_nc_u32_e32 v68, v71, v68
	s_delay_alu instid0(VALU_DEP_1)
	v_add_nc_u32_e32 v69, v68, v69
	ds_store_2addr_b32 v164, v71, v68 offset1:1
	ds_store_2addr_b32 v165, v214, v74 offset1:1
	;; [unrolled: 1-line block ×4, first 2 shown]
	ds_store_b32 v100, v69 offset:1088
	s_wait_loadcnt_dscnt 0x0
	s_barrier_signal -1
	s_barrier_wait -1
	global_inv scope:SCOPE_SE
	ds_load_b32 v69, v168 offset:1056
	ds_load_b32 v215, v171 offset:1056
	;; [unrolled: 1-line block ×17, first 2 shown]
	v_mov_b32_e32 v68, 0x1000
	s_and_saveexec_b32 s15, s7
; %bb.463:                              ;   in Loop: Header=BB710_388 Depth=2
	ds_load_b32 v68, v100 offset:1092
; %bb.464:                              ;   in Loop: Header=BB710_388 Depth=2
	s_wait_alu 0xfffe
	s_or_b32 exec_lo, exec_lo, s15
	s_wait_loadcnt_dscnt 0x0
	s_barrier_signal -1
	s_barrier_wait -1
	global_inv scope:SCOPE_SE
	s_and_saveexec_b32 s15, s2
	s_cbranch_execz .LBB710_466
; %bb.465:                              ;   in Loop: Header=BB710_388 Depth=2
	ds_load_b32 v180, v76
	s_wait_dscnt 0x0
	v_sub_nc_u32_e32 v177, v180, v177
	ds_store_b32 v76, v177
.LBB710_466:                            ;   in Loop: Header=BB710_388 Depth=2
	s_wait_alu 0xfffe
	s_or_b32 exec_lo, exec_lo, s15
	v_lshlrev_b32_e32 v163, 3, v163
	v_lshlrev_b32_e32 v170, 3, v170
	;; [unrolled: 1-line block ×5, first 2 shown]
	v_lshl_add_u32 v69, v69, 3, v163
	v_lshlrev_b32_e32 v163, 3, v172
	v_lshlrev_b32_e32 v172, 3, v214
	;; [unrolled: 1-line block ×11, first 2 shown]
	ds_store_b64 v69, v[38:39] offset:1024
	v_add3_u32 v38, v170, v169, v177
	v_add3_u32 v39, v173, v163, v172
	;; [unrolled: 1-line block ×5, first 2 shown]
	ds_store_b64 v38, v[40:41] offset:1024
	ds_store_b64 v39, v[42:43] offset:1024
	;; [unrolled: 1-line block ×5, first 2 shown]
	v_lshlrev_b32_e32 v40, 3, v185
	v_lshlrev_b32_e32 v41, 3, v184
	;; [unrolled: 1-line block ×15, first 2 shown]
	v_add3_u32 v40, v40, v41, v42
	v_add3_u32 v41, v43, v46, v47
	;; [unrolled: 1-line block ×5, first 2 shown]
	ds_store_b64 v40, v[60:61] offset:1024
	ds_store_b64 v41, v[64:65] offset:1024
	;; [unrolled: 1-line block ×5, first 2 shown]
	v_lshlrev_b32_e32 v47, 3, v200
	v_lshlrev_b32_e32 v52, 3, v199
	;; [unrolled: 1-line block ×15, first 2 shown]
	v_add3_u32 v47, v47, v52, v53
	v_add3_u32 v52, v56, v57, v58
	;; [unrolled: 1-line block ×5, first 2 shown]
	v_cmp_lt_u32_e32 vcc_lo, v1, v162
	ds_store_b64 v47, v[54:55] offset:1024
	ds_store_b64 v52, v[50:51] offset:1024
	;; [unrolled: 1-line block ×5, first 2 shown]
	s_wait_loadcnt_dscnt 0x0
	s_barrier_signal -1
	s_barrier_wait -1
	global_inv scope:SCOPE_SE
	s_and_saveexec_b32 s16, vcc_lo
	s_cbranch_execnz .LBB710_535
; %bb.467:                              ;   in Loop: Header=BB710_388 Depth=2
	s_wait_alu 0xfffe
	s_or_b32 exec_lo, exec_lo, s16
	v_cmp_lt_u32_e64 s15, v77, v162
	s_and_saveexec_b32 s17, s15
	s_cbranch_execnz .LBB710_536
.LBB710_468:                            ;   in Loop: Header=BB710_388 Depth=2
	s_wait_alu 0xfffe
	s_or_b32 exec_lo, exec_lo, s17
	v_cmp_lt_u32_e64 s16, v78, v162
	s_and_saveexec_b32 s18, s16
	s_cbranch_execnz .LBB710_537
.LBB710_469:                            ;   in Loop: Header=BB710_388 Depth=2
	s_wait_alu 0xfffe
	s_or_b32 exec_lo, exec_lo, s18
	v_cmp_lt_u32_e64 s17, v79, v162
	s_and_saveexec_b32 s19, s17
	s_cbranch_execnz .LBB710_538
.LBB710_470:                            ;   in Loop: Header=BB710_388 Depth=2
	s_wait_alu 0xfffe
	s_or_b32 exec_lo, exec_lo, s19
	v_cmp_lt_u32_e64 s18, v82, v162
	s_and_saveexec_b32 s20, s18
	s_cbranch_execnz .LBB710_539
.LBB710_471:                            ;   in Loop: Header=BB710_388 Depth=2
	s_wait_alu 0xfffe
	s_or_b32 exec_lo, exec_lo, s20
	v_cmp_lt_u32_e64 s19, v83, v162
	s_and_saveexec_b32 s21, s19
	s_cbranch_execnz .LBB710_540
.LBB710_472:                            ;   in Loop: Header=BB710_388 Depth=2
	s_wait_alu 0xfffe
	s_or_b32 exec_lo, exec_lo, s21
	v_cmp_lt_u32_e64 s20, v84, v162
	s_and_saveexec_b32 s22, s20
	s_cbranch_execnz .LBB710_541
.LBB710_473:                            ;   in Loop: Header=BB710_388 Depth=2
	s_wait_alu 0xfffe
	s_or_b32 exec_lo, exec_lo, s22
	v_cmp_lt_u32_e64 s21, v85, v162
	s_and_saveexec_b32 s23, s21
	s_cbranch_execnz .LBB710_542
.LBB710_474:                            ;   in Loop: Header=BB710_388 Depth=2
	s_wait_alu 0xfffe
	s_or_b32 exec_lo, exec_lo, s23
	v_cmp_lt_u32_e64 s22, v86, v162
	s_and_saveexec_b32 s24, s22
	s_cbranch_execnz .LBB710_543
.LBB710_475:                            ;   in Loop: Header=BB710_388 Depth=2
	s_wait_alu 0xfffe
	s_or_b32 exec_lo, exec_lo, s24
	v_cmp_lt_u32_e64 s23, v87, v162
	s_and_saveexec_b32 s25, s23
	s_cbranch_execnz .LBB710_544
.LBB710_476:                            ;   in Loop: Header=BB710_388 Depth=2
	s_wait_alu 0xfffe
	s_or_b32 exec_lo, exec_lo, s25
	v_cmp_lt_u32_e64 s24, v88, v162
	s_and_saveexec_b32 s26, s24
	s_cbranch_execnz .LBB710_545
.LBB710_477:                            ;   in Loop: Header=BB710_388 Depth=2
	s_wait_alu 0xfffe
	s_or_b32 exec_lo, exec_lo, s26
	v_cmp_lt_u32_e64 s25, v89, v162
	s_and_saveexec_b32 s27, s25
	s_cbranch_execnz .LBB710_546
.LBB710_478:                            ;   in Loop: Header=BB710_388 Depth=2
	s_wait_alu 0xfffe
	s_or_b32 exec_lo, exec_lo, s27
	v_cmp_lt_u32_e64 s26, v90, v162
	s_and_saveexec_b32 s28, s26
	s_cbranch_execnz .LBB710_547
.LBB710_479:                            ;   in Loop: Header=BB710_388 Depth=2
	s_wait_alu 0xfffe
	s_or_b32 exec_lo, exec_lo, s28
	v_cmp_lt_u32_e64 s27, v91, v162
	s_and_saveexec_b32 s29, s27
	s_cbranch_execnz .LBB710_548
.LBB710_480:                            ;   in Loop: Header=BB710_388 Depth=2
	s_wait_alu 0xfffe
	s_or_b32 exec_lo, exec_lo, s29
	v_cmp_lt_u32_e64 s28, v92, v162
	s_and_saveexec_b32 s30, s28
	s_cbranch_execnz .LBB710_549
.LBB710_481:                            ;   in Loop: Header=BB710_388 Depth=2
	s_wait_alu 0xfffe
	s_or_b32 exec_lo, exec_lo, s30
	v_cmp_lt_u32_e64 s29, v93, v162
	s_and_saveexec_b32 s58, s29
	s_cbranch_execz .LBB710_483
.LBB710_482:                            ;   in Loop: Header=BB710_388 Depth=2
	ds_load_b64 v[36:37], v108 offset:31744
	s_wait_dscnt 0x0
	v_lshrrev_b64 v[44:45], s48, v[36:37]
	v_xor_b32_e32 v37, 0x7fffffff, v37
	v_not_b32_e32 v36, v36
	s_delay_alu instid0(VALU_DEP_3) | instskip(NEXT) | instid1(VALU_DEP_1)
	v_dual_mov_b32 v45, v2 :: v_dual_and_b32 v44, s55, v44
	v_lshlrev_b32_e32 v44, 2, v44
	ds_load_b32 v44, v44
	s_wait_dscnt 0x0
	v_add_nc_u32_e32 v44, v44, v93
	s_delay_alu instid0(VALU_DEP_1) | instskip(NEXT) | instid1(VALU_DEP_1)
	v_lshlrev_b64_e32 v[44:45], 3, v[44:45]
	v_add_co_u32 v44, s30, s40, v44
	s_wait_alu 0xf1ff
	s_delay_alu instid0(VALU_DEP_2)
	v_add_co_ci_u32_e64 v45, null, s41, v45, s30
	global_store_b64 v[44:45], v[36:37], off
.LBB710_483:                            ;   in Loop: Header=BB710_388 Depth=2
	s_wait_alu 0xfffe
	s_or_b32 exec_lo, exec_lo, s58
	s_lshl_b64 s[58:59], s[34:35], 3
	s_wait_alu 0xfffe
	v_add_co_u32 v36, s30, v126, s58
	s_wait_alu 0xf1ff
	v_add_co_ci_u32_e64 v37, null, s59, v127, s30
	v_cmp_lt_u32_e64 s30, v125, v162
	s_and_saveexec_b32 s34, s30
	s_wait_alu 0xfffe
	s_xor_b32 s30, exec_lo, s34
	s_cbranch_execnz .LBB710_550
; %bb.484:                              ;   in Loop: Header=BB710_388 Depth=2
	s_wait_alu 0xfffe
	s_or_b32 exec_lo, exec_lo, s30
	s_delay_alu instid0(SALU_CYCLE_1)
	s_mov_b32 s34, exec_lo
	v_cmpx_lt_u32_e64 v128, v162
	s_cbranch_execnz .LBB710_551
.LBB710_485:                            ;   in Loop: Header=BB710_388 Depth=2
	s_wait_alu 0xfffe
	s_or_b32 exec_lo, exec_lo, s34
	s_delay_alu instid0(SALU_CYCLE_1)
	s_mov_b32 s34, exec_lo
	v_cmpx_lt_u32_e64 v129, v162
	s_cbranch_execnz .LBB710_552
.LBB710_486:                            ;   in Loop: Header=BB710_388 Depth=2
	s_wait_alu 0xfffe
	s_or_b32 exec_lo, exec_lo, s34
	s_delay_alu instid0(SALU_CYCLE_1)
	s_mov_b32 s34, exec_lo
	v_cmpx_lt_u32_e64 v130, v162
	s_cbranch_execnz .LBB710_553
.LBB710_487:                            ;   in Loop: Header=BB710_388 Depth=2
	s_wait_alu 0xfffe
	s_or_b32 exec_lo, exec_lo, s34
	s_delay_alu instid0(SALU_CYCLE_1)
	s_mov_b32 s34, exec_lo
	v_cmpx_lt_u32_e64 v131, v162
	s_cbranch_execnz .LBB710_554
.LBB710_488:                            ;   in Loop: Header=BB710_388 Depth=2
	s_wait_alu 0xfffe
	s_or_b32 exec_lo, exec_lo, s34
	s_delay_alu instid0(SALU_CYCLE_1)
	s_mov_b32 s34, exec_lo
	v_cmpx_lt_u32_e64 v132, v162
	s_cbranch_execnz .LBB710_555
.LBB710_489:                            ;   in Loop: Header=BB710_388 Depth=2
	s_wait_alu 0xfffe
	s_or_b32 exec_lo, exec_lo, s34
	s_delay_alu instid0(SALU_CYCLE_1)
	s_mov_b32 s34, exec_lo
	v_cmpx_lt_u32_e64 v133, v162
	s_cbranch_execnz .LBB710_556
.LBB710_490:                            ;   in Loop: Header=BB710_388 Depth=2
	s_wait_alu 0xfffe
	s_or_b32 exec_lo, exec_lo, s34
	s_delay_alu instid0(SALU_CYCLE_1)
	s_mov_b32 s34, exec_lo
	v_cmpx_lt_u32_e64 v134, v162
	s_cbranch_execnz .LBB710_557
.LBB710_491:                            ;   in Loop: Header=BB710_388 Depth=2
	s_wait_alu 0xfffe
	s_or_b32 exec_lo, exec_lo, s34
	s_delay_alu instid0(SALU_CYCLE_1)
	s_mov_b32 s34, exec_lo
	v_cmpx_lt_u32_e64 v135, v162
	s_cbranch_execnz .LBB710_558
.LBB710_492:                            ;   in Loop: Header=BB710_388 Depth=2
	s_wait_alu 0xfffe
	s_or_b32 exec_lo, exec_lo, s34
	s_delay_alu instid0(SALU_CYCLE_1)
	s_mov_b32 s34, exec_lo
	v_cmpx_lt_u32_e64 v136, v162
	s_cbranch_execnz .LBB710_559
.LBB710_493:                            ;   in Loop: Header=BB710_388 Depth=2
	s_wait_alu 0xfffe
	s_or_b32 exec_lo, exec_lo, s34
	s_delay_alu instid0(SALU_CYCLE_1)
	s_mov_b32 s34, exec_lo
	v_cmpx_lt_u32_e64 v137, v162
	s_cbranch_execnz .LBB710_560
.LBB710_494:                            ;   in Loop: Header=BB710_388 Depth=2
	s_wait_alu 0xfffe
	s_or_b32 exec_lo, exec_lo, s34
	s_delay_alu instid0(SALU_CYCLE_1)
	s_mov_b32 s34, exec_lo
	v_cmpx_lt_u32_e64 v138, v162
	s_cbranch_execnz .LBB710_561
.LBB710_495:                            ;   in Loop: Header=BB710_388 Depth=2
	s_wait_alu 0xfffe
	s_or_b32 exec_lo, exec_lo, s34
	s_delay_alu instid0(SALU_CYCLE_1)
	s_mov_b32 s34, exec_lo
	v_cmpx_lt_u32_e64 v139, v162
	s_cbranch_execnz .LBB710_562
.LBB710_496:                            ;   in Loop: Header=BB710_388 Depth=2
	s_wait_alu 0xfffe
	s_or_b32 exec_lo, exec_lo, s34
	s_delay_alu instid0(SALU_CYCLE_1)
	s_mov_b32 s34, exec_lo
	v_cmpx_lt_u32_e64 v140, v162
	s_cbranch_execnz .LBB710_563
.LBB710_497:                            ;   in Loop: Header=BB710_388 Depth=2
	s_wait_alu 0xfffe
	s_or_b32 exec_lo, exec_lo, s34
	s_delay_alu instid0(SALU_CYCLE_1)
	s_mov_b32 s34, exec_lo
	v_cmpx_lt_u32_e64 v141, v162
	s_cbranch_execnz .LBB710_564
.LBB710_498:                            ;   in Loop: Header=BB710_388 Depth=2
	s_wait_alu 0xfffe
	s_or_b32 exec_lo, exec_lo, s34
	s_delay_alu instid0(SALU_CYCLE_1)
	s_mov_b32 s34, exec_lo
	v_cmpx_lt_u32_e64 v142, v162
	s_cbranch_execnz .LBB710_565
.LBB710_499:                            ;   in Loop: Header=BB710_388 Depth=2
	s_wait_alu 0xfffe
	s_or_b32 exec_lo, exec_lo, s34
	s_and_saveexec_b32 s30, vcc_lo
	s_cbranch_execnz .LBB710_566
.LBB710_500:                            ;   in Loop: Header=BB710_388 Depth=2
	s_wait_alu 0xfffe
	s_or_b32 exec_lo, exec_lo, s30
	s_and_saveexec_b32 s30, s15
	s_cbranch_execnz .LBB710_567
.LBB710_501:                            ;   in Loop: Header=BB710_388 Depth=2
	s_wait_alu 0xfffe
	s_or_b32 exec_lo, exec_lo, s30
	s_and_saveexec_b32 s30, s16
	s_cbranch_execnz .LBB710_568
.LBB710_502:                            ;   in Loop: Header=BB710_388 Depth=2
	s_wait_alu 0xfffe
	s_or_b32 exec_lo, exec_lo, s30
	s_and_saveexec_b32 s30, s17
	s_cbranch_execnz .LBB710_569
.LBB710_503:                            ;   in Loop: Header=BB710_388 Depth=2
	s_wait_alu 0xfffe
	s_or_b32 exec_lo, exec_lo, s30
	s_and_saveexec_b32 s30, s18
	s_cbranch_execnz .LBB710_570
.LBB710_504:                            ;   in Loop: Header=BB710_388 Depth=2
	s_wait_alu 0xfffe
	s_or_b32 exec_lo, exec_lo, s30
	s_and_saveexec_b32 s30, s19
	s_cbranch_execnz .LBB710_571
.LBB710_505:                            ;   in Loop: Header=BB710_388 Depth=2
	s_wait_alu 0xfffe
	s_or_b32 exec_lo, exec_lo, s30
	s_and_saveexec_b32 s30, s20
	s_cbranch_execnz .LBB710_572
.LBB710_506:                            ;   in Loop: Header=BB710_388 Depth=2
	s_wait_alu 0xfffe
	s_or_b32 exec_lo, exec_lo, s30
	s_and_saveexec_b32 s30, s21
	s_cbranch_execnz .LBB710_573
.LBB710_507:                            ;   in Loop: Header=BB710_388 Depth=2
	s_wait_alu 0xfffe
	s_or_b32 exec_lo, exec_lo, s30
	s_and_saveexec_b32 s30, s22
	s_cbranch_execnz .LBB710_574
.LBB710_508:                            ;   in Loop: Header=BB710_388 Depth=2
	s_wait_alu 0xfffe
	s_or_b32 exec_lo, exec_lo, s30
	s_and_saveexec_b32 s30, s23
	s_cbranch_execnz .LBB710_575
.LBB710_509:                            ;   in Loop: Header=BB710_388 Depth=2
	s_wait_alu 0xfffe
	s_or_b32 exec_lo, exec_lo, s30
	s_and_saveexec_b32 s30, s24
	s_cbranch_execnz .LBB710_576
.LBB710_510:                            ;   in Loop: Header=BB710_388 Depth=2
	s_wait_alu 0xfffe
	s_or_b32 exec_lo, exec_lo, s30
	s_and_saveexec_b32 s30, s25
	s_cbranch_execnz .LBB710_577
.LBB710_511:                            ;   in Loop: Header=BB710_388 Depth=2
	s_wait_alu 0xfffe
	s_or_b32 exec_lo, exec_lo, s30
	s_and_saveexec_b32 s30, s26
	s_cbranch_execnz .LBB710_578
.LBB710_512:                            ;   in Loop: Header=BB710_388 Depth=2
	s_wait_alu 0xfffe
	s_or_b32 exec_lo, exec_lo, s30
	s_and_saveexec_b32 s30, s27
	s_cbranch_execnz .LBB710_579
.LBB710_513:                            ;   in Loop: Header=BB710_388 Depth=2
	s_wait_alu 0xfffe
	s_or_b32 exec_lo, exec_lo, s30
	s_and_saveexec_b32 s30, s28
	s_cbranch_execnz .LBB710_580
.LBB710_514:                            ;   in Loop: Header=BB710_388 Depth=2
	s_wait_alu 0xfffe
	s_or_b32 exec_lo, exec_lo, s30
	s_and_saveexec_b32 s30, s29
	s_cbranch_execz .LBB710_516
.LBB710_515:                            ;   in Loop: Header=BB710_388 Depth=2
	ds_load_b64 v[36:37], v108 offset:31744
	s_wait_dscnt 0x0
	v_lshrrev_b64 v[36:37], s48, v[36:37]
	s_delay_alu instid0(VALU_DEP_1)
	v_and_b32_e32 v146, s55, v36
.LBB710_516:                            ;   in Loop: Header=BB710_388 Depth=2
	s_wait_alu 0xfffe
	s_or_b32 exec_lo, exec_lo, s30
	s_wait_loadcnt 0x0
	s_wait_storecnt 0x0
	s_barrier_signal -1
	s_barrier_wait -1
	global_inv scope:SCOPE_SE
	ds_store_b64 v69, v[34:35] offset:1024
	ds_store_b64 v38, v[32:33] offset:1024
	;; [unrolled: 1-line block ×16, first 2 shown]
	s_wait_loadcnt_dscnt 0x0
	s_barrier_signal -1
	s_barrier_wait -1
	global_inv scope:SCOPE_SE
	s_and_saveexec_b32 s30, vcc_lo
	s_cbranch_execnz .LBB710_581
; %bb.517:                              ;   in Loop: Header=BB710_388 Depth=2
	s_wait_alu 0xfffe
	s_or_b32 exec_lo, exec_lo, s30
	s_and_saveexec_b32 s30, s15
	s_cbranch_execnz .LBB710_582
.LBB710_518:                            ;   in Loop: Header=BB710_388 Depth=2
	s_wait_alu 0xfffe
	s_or_b32 exec_lo, exec_lo, s30
	s_and_saveexec_b32 s15, s16
	s_cbranch_execnz .LBB710_583
.LBB710_519:                            ;   in Loop: Header=BB710_388 Depth=2
	s_wait_alu 0xfffe
	s_or_b32 exec_lo, exec_lo, s15
	s_and_saveexec_b32 s15, s17
	s_cbranch_execnz .LBB710_584
.LBB710_520:                            ;   in Loop: Header=BB710_388 Depth=2
	s_wait_alu 0xfffe
	s_or_b32 exec_lo, exec_lo, s15
	s_and_saveexec_b32 s15, s18
	s_cbranch_execnz .LBB710_585
.LBB710_521:                            ;   in Loop: Header=BB710_388 Depth=2
	s_wait_alu 0xfffe
	s_or_b32 exec_lo, exec_lo, s15
	s_and_saveexec_b32 s15, s19
	s_cbranch_execnz .LBB710_586
.LBB710_522:                            ;   in Loop: Header=BB710_388 Depth=2
	s_wait_alu 0xfffe
	s_or_b32 exec_lo, exec_lo, s15
	s_and_saveexec_b32 s15, s20
	s_cbranch_execnz .LBB710_587
.LBB710_523:                            ;   in Loop: Header=BB710_388 Depth=2
	s_wait_alu 0xfffe
	s_or_b32 exec_lo, exec_lo, s15
	s_and_saveexec_b32 s15, s21
	s_cbranch_execnz .LBB710_588
.LBB710_524:                            ;   in Loop: Header=BB710_388 Depth=2
	s_wait_alu 0xfffe
	s_or_b32 exec_lo, exec_lo, s15
	s_and_saveexec_b32 s15, s22
	s_cbranch_execnz .LBB710_589
.LBB710_525:                            ;   in Loop: Header=BB710_388 Depth=2
	s_wait_alu 0xfffe
	s_or_b32 exec_lo, exec_lo, s15
	s_and_saveexec_b32 s15, s23
	s_cbranch_execnz .LBB710_590
.LBB710_526:                            ;   in Loop: Header=BB710_388 Depth=2
	s_wait_alu 0xfffe
	s_or_b32 exec_lo, exec_lo, s15
	s_and_saveexec_b32 s15, s24
	s_cbranch_execnz .LBB710_591
.LBB710_527:                            ;   in Loop: Header=BB710_388 Depth=2
	s_wait_alu 0xfffe
	s_or_b32 exec_lo, exec_lo, s15
	s_and_saveexec_b32 s15, s25
	s_cbranch_execnz .LBB710_592
.LBB710_528:                            ;   in Loop: Header=BB710_388 Depth=2
	s_wait_alu 0xfffe
	s_or_b32 exec_lo, exec_lo, s15
	s_and_saveexec_b32 s15, s26
	s_cbranch_execnz .LBB710_593
.LBB710_529:                            ;   in Loop: Header=BB710_388 Depth=2
	s_wait_alu 0xfffe
	s_or_b32 exec_lo, exec_lo, s15
	s_and_saveexec_b32 s15, s27
	s_cbranch_execnz .LBB710_594
.LBB710_530:                            ;   in Loop: Header=BB710_388 Depth=2
	s_wait_alu 0xfffe
	s_or_b32 exec_lo, exec_lo, s15
	s_and_saveexec_b32 s15, s28
	s_cbranch_execnz .LBB710_595
.LBB710_531:                            ;   in Loop: Header=BB710_388 Depth=2
	s_wait_alu 0xfffe
	s_or_b32 exec_lo, exec_lo, s15
	s_and_saveexec_b32 s15, s29
	s_cbranch_execz .LBB710_533
.LBB710_532:                            ;   in Loop: Header=BB710_388 Depth=2
	v_dual_mov_b32 v39, v2 :: v_dual_lshlrev_b32 v36, 2, v146
	ds_load_b32 v38, v36
	ds_load_b64 v[36:37], v108 offset:31744
	s_wait_dscnt 0x1
	v_add_nc_u32_e32 v38, v38, v93
	s_delay_alu instid0(VALU_DEP_1) | instskip(NEXT) | instid1(VALU_DEP_1)
	v_lshlrev_b64_e32 v[38:39], 3, v[38:39]
	v_add_co_u32 v38, vcc_lo, s46, v38
	s_wait_alu 0xfffd
	s_delay_alu instid0(VALU_DEP_2)
	v_add_co_ci_u32_e64 v39, null, s47, v39, vcc_lo
	s_wait_dscnt 0x0
	global_store_b64 v[38:39], v[36:37], off
.LBB710_533:                            ;   in Loop: Header=BB710_388 Depth=2
	s_wait_alu 0xfffe
	s_or_b32 exec_lo, exec_lo, s15
	s_wait_loadcnt 0x0
	s_wait_storecnt 0x0
	s_barrier_signal -1
	s_barrier_wait -1
	global_inv scope:SCOPE_SE
	s_and_saveexec_b32 s15, s2
	s_cbranch_execz .LBB710_387
; %bb.534:                              ;   in Loop: Header=BB710_388 Depth=2
	ds_load_b32 v36, v76
	s_wait_dscnt 0x0
	v_add_nc_u32_e32 v36, v36, v68
	ds_store_b32 v76, v36
	s_branch .LBB710_387
.LBB710_535:                            ;   in Loop: Header=BB710_388 Depth=2
	ds_load_b64 v[36:37], v108 offset:1024
	s_wait_dscnt 0x0
	v_lshrrev_b64 v[44:45], s48, v[36:37]
	v_xor_b32_e32 v37, 0x7fffffff, v37
	v_not_b32_e32 v36, v36
	s_delay_alu instid0(VALU_DEP_3) | instskip(NEXT) | instid1(VALU_DEP_1)
	v_dual_mov_b32 v45, v2 :: v_dual_and_b32 v44, s55, v44
	v_lshlrev_b32_e32 v44, 2, v44
	ds_load_b32 v44, v44
	s_wait_dscnt 0x0
	v_add_nc_u32_e32 v44, v44, v1
	s_delay_alu instid0(VALU_DEP_1) | instskip(NEXT) | instid1(VALU_DEP_1)
	v_lshlrev_b64_e32 v[44:45], 3, v[44:45]
	v_add_co_u32 v44, s15, s40, v44
	s_wait_alu 0xf1ff
	s_delay_alu instid0(VALU_DEP_2)
	v_add_co_ci_u32_e64 v45, null, s41, v45, s15
	global_store_b64 v[44:45], v[36:37], off
	s_wait_alu 0xfffe
	s_or_b32 exec_lo, exec_lo, s16
	v_cmp_lt_u32_e64 s15, v77, v162
	s_and_saveexec_b32 s17, s15
	s_cbranch_execz .LBB710_468
.LBB710_536:                            ;   in Loop: Header=BB710_388 Depth=2
	ds_load_b64 v[36:37], v108 offset:3072
	s_wait_dscnt 0x0
	v_lshrrev_b64 v[44:45], s48, v[36:37]
	v_xor_b32_e32 v37, 0x7fffffff, v37
	v_not_b32_e32 v36, v36
	s_delay_alu instid0(VALU_DEP_3) | instskip(NEXT) | instid1(VALU_DEP_1)
	v_dual_mov_b32 v45, v2 :: v_dual_and_b32 v44, s55, v44
	v_lshlrev_b32_e32 v44, 2, v44
	ds_load_b32 v44, v44
	s_wait_dscnt 0x0
	v_add_nc_u32_e32 v44, v44, v77
	s_delay_alu instid0(VALU_DEP_1) | instskip(NEXT) | instid1(VALU_DEP_1)
	v_lshlrev_b64_e32 v[44:45], 3, v[44:45]
	v_add_co_u32 v44, s16, s40, v44
	s_wait_alu 0xf1ff
	s_delay_alu instid0(VALU_DEP_2)
	v_add_co_ci_u32_e64 v45, null, s41, v45, s16
	global_store_b64 v[44:45], v[36:37], off
	s_wait_alu 0xfffe
	s_or_b32 exec_lo, exec_lo, s17
	v_cmp_lt_u32_e64 s16, v78, v162
	s_and_saveexec_b32 s18, s16
	s_cbranch_execz .LBB710_469
.LBB710_537:                            ;   in Loop: Header=BB710_388 Depth=2
	ds_load_b64 v[36:37], v108 offset:5120
	s_wait_dscnt 0x0
	v_lshrrev_b64 v[44:45], s48, v[36:37]
	v_xor_b32_e32 v37, 0x7fffffff, v37
	v_not_b32_e32 v36, v36
	s_delay_alu instid0(VALU_DEP_3) | instskip(NEXT) | instid1(VALU_DEP_1)
	v_dual_mov_b32 v45, v2 :: v_dual_and_b32 v44, s55, v44
	v_lshlrev_b32_e32 v44, 2, v44
	ds_load_b32 v44, v44
	s_wait_dscnt 0x0
	v_add_nc_u32_e32 v44, v44, v78
	s_delay_alu instid0(VALU_DEP_1) | instskip(NEXT) | instid1(VALU_DEP_1)
	v_lshlrev_b64_e32 v[44:45], 3, v[44:45]
	v_add_co_u32 v44, s17, s40, v44
	s_wait_alu 0xf1ff
	s_delay_alu instid0(VALU_DEP_2)
	v_add_co_ci_u32_e64 v45, null, s41, v45, s17
	global_store_b64 v[44:45], v[36:37], off
	s_wait_alu 0xfffe
	s_or_b32 exec_lo, exec_lo, s18
	v_cmp_lt_u32_e64 s17, v79, v162
	s_and_saveexec_b32 s19, s17
	s_cbranch_execz .LBB710_470
.LBB710_538:                            ;   in Loop: Header=BB710_388 Depth=2
	ds_load_b64 v[36:37], v108 offset:7168
	s_wait_dscnt 0x0
	v_lshrrev_b64 v[44:45], s48, v[36:37]
	v_xor_b32_e32 v37, 0x7fffffff, v37
	v_not_b32_e32 v36, v36
	s_delay_alu instid0(VALU_DEP_3) | instskip(NEXT) | instid1(VALU_DEP_1)
	v_dual_mov_b32 v45, v2 :: v_dual_and_b32 v44, s55, v44
	v_lshlrev_b32_e32 v44, 2, v44
	ds_load_b32 v44, v44
	s_wait_dscnt 0x0
	v_add_nc_u32_e32 v44, v44, v79
	s_delay_alu instid0(VALU_DEP_1) | instskip(NEXT) | instid1(VALU_DEP_1)
	v_lshlrev_b64_e32 v[44:45], 3, v[44:45]
	v_add_co_u32 v44, s18, s40, v44
	s_wait_alu 0xf1ff
	s_delay_alu instid0(VALU_DEP_2)
	v_add_co_ci_u32_e64 v45, null, s41, v45, s18
	global_store_b64 v[44:45], v[36:37], off
	s_wait_alu 0xfffe
	s_or_b32 exec_lo, exec_lo, s19
	v_cmp_lt_u32_e64 s18, v82, v162
	s_and_saveexec_b32 s20, s18
	s_cbranch_execz .LBB710_471
.LBB710_539:                            ;   in Loop: Header=BB710_388 Depth=2
	ds_load_b64 v[36:37], v108 offset:9216
	s_wait_dscnt 0x0
	v_lshrrev_b64 v[44:45], s48, v[36:37]
	v_xor_b32_e32 v37, 0x7fffffff, v37
	v_not_b32_e32 v36, v36
	s_delay_alu instid0(VALU_DEP_3) | instskip(NEXT) | instid1(VALU_DEP_1)
	v_dual_mov_b32 v45, v2 :: v_dual_and_b32 v44, s55, v44
	v_lshlrev_b32_e32 v44, 2, v44
	ds_load_b32 v44, v44
	s_wait_dscnt 0x0
	v_add_nc_u32_e32 v44, v44, v82
	s_delay_alu instid0(VALU_DEP_1) | instskip(NEXT) | instid1(VALU_DEP_1)
	v_lshlrev_b64_e32 v[44:45], 3, v[44:45]
	v_add_co_u32 v44, s19, s40, v44
	s_wait_alu 0xf1ff
	s_delay_alu instid0(VALU_DEP_2)
	v_add_co_ci_u32_e64 v45, null, s41, v45, s19
	global_store_b64 v[44:45], v[36:37], off
	s_wait_alu 0xfffe
	s_or_b32 exec_lo, exec_lo, s20
	v_cmp_lt_u32_e64 s19, v83, v162
	s_and_saveexec_b32 s21, s19
	s_cbranch_execz .LBB710_472
.LBB710_540:                            ;   in Loop: Header=BB710_388 Depth=2
	ds_load_b64 v[36:37], v108 offset:11264
	s_wait_dscnt 0x0
	v_lshrrev_b64 v[44:45], s48, v[36:37]
	v_xor_b32_e32 v37, 0x7fffffff, v37
	v_not_b32_e32 v36, v36
	s_delay_alu instid0(VALU_DEP_3) | instskip(NEXT) | instid1(VALU_DEP_1)
	v_dual_mov_b32 v45, v2 :: v_dual_and_b32 v44, s55, v44
	v_lshlrev_b32_e32 v44, 2, v44
	ds_load_b32 v44, v44
	s_wait_dscnt 0x0
	v_add_nc_u32_e32 v44, v44, v83
	s_delay_alu instid0(VALU_DEP_1) | instskip(NEXT) | instid1(VALU_DEP_1)
	v_lshlrev_b64_e32 v[44:45], 3, v[44:45]
	v_add_co_u32 v44, s20, s40, v44
	s_wait_alu 0xf1ff
	s_delay_alu instid0(VALU_DEP_2)
	v_add_co_ci_u32_e64 v45, null, s41, v45, s20
	global_store_b64 v[44:45], v[36:37], off
	s_wait_alu 0xfffe
	s_or_b32 exec_lo, exec_lo, s21
	v_cmp_lt_u32_e64 s20, v84, v162
	s_and_saveexec_b32 s22, s20
	s_cbranch_execz .LBB710_473
.LBB710_541:                            ;   in Loop: Header=BB710_388 Depth=2
	ds_load_b64 v[36:37], v108 offset:13312
	s_wait_dscnt 0x0
	v_lshrrev_b64 v[44:45], s48, v[36:37]
	v_xor_b32_e32 v37, 0x7fffffff, v37
	v_not_b32_e32 v36, v36
	s_delay_alu instid0(VALU_DEP_3) | instskip(NEXT) | instid1(VALU_DEP_1)
	v_dual_mov_b32 v45, v2 :: v_dual_and_b32 v44, s55, v44
	v_lshlrev_b32_e32 v44, 2, v44
	ds_load_b32 v44, v44
	s_wait_dscnt 0x0
	v_add_nc_u32_e32 v44, v44, v84
	s_delay_alu instid0(VALU_DEP_1) | instskip(NEXT) | instid1(VALU_DEP_1)
	v_lshlrev_b64_e32 v[44:45], 3, v[44:45]
	v_add_co_u32 v44, s21, s40, v44
	s_wait_alu 0xf1ff
	s_delay_alu instid0(VALU_DEP_2)
	v_add_co_ci_u32_e64 v45, null, s41, v45, s21
	global_store_b64 v[44:45], v[36:37], off
	s_wait_alu 0xfffe
	s_or_b32 exec_lo, exec_lo, s22
	v_cmp_lt_u32_e64 s21, v85, v162
	s_and_saveexec_b32 s23, s21
	s_cbranch_execz .LBB710_474
.LBB710_542:                            ;   in Loop: Header=BB710_388 Depth=2
	ds_load_b64 v[36:37], v108 offset:15360
	s_wait_dscnt 0x0
	v_lshrrev_b64 v[44:45], s48, v[36:37]
	v_xor_b32_e32 v37, 0x7fffffff, v37
	v_not_b32_e32 v36, v36
	s_delay_alu instid0(VALU_DEP_3) | instskip(NEXT) | instid1(VALU_DEP_1)
	v_dual_mov_b32 v45, v2 :: v_dual_and_b32 v44, s55, v44
	v_lshlrev_b32_e32 v44, 2, v44
	ds_load_b32 v44, v44
	s_wait_dscnt 0x0
	v_add_nc_u32_e32 v44, v44, v85
	s_delay_alu instid0(VALU_DEP_1) | instskip(NEXT) | instid1(VALU_DEP_1)
	v_lshlrev_b64_e32 v[44:45], 3, v[44:45]
	v_add_co_u32 v44, s22, s40, v44
	s_wait_alu 0xf1ff
	s_delay_alu instid0(VALU_DEP_2)
	v_add_co_ci_u32_e64 v45, null, s41, v45, s22
	global_store_b64 v[44:45], v[36:37], off
	s_wait_alu 0xfffe
	s_or_b32 exec_lo, exec_lo, s23
	v_cmp_lt_u32_e64 s22, v86, v162
	s_and_saveexec_b32 s24, s22
	s_cbranch_execz .LBB710_475
.LBB710_543:                            ;   in Loop: Header=BB710_388 Depth=2
	ds_load_b64 v[36:37], v108 offset:17408
	s_wait_dscnt 0x0
	v_lshrrev_b64 v[44:45], s48, v[36:37]
	v_xor_b32_e32 v37, 0x7fffffff, v37
	v_not_b32_e32 v36, v36
	s_delay_alu instid0(VALU_DEP_3) | instskip(NEXT) | instid1(VALU_DEP_1)
	v_dual_mov_b32 v45, v2 :: v_dual_and_b32 v44, s55, v44
	v_lshlrev_b32_e32 v44, 2, v44
	ds_load_b32 v44, v44
	s_wait_dscnt 0x0
	v_add_nc_u32_e32 v44, v44, v86
	s_delay_alu instid0(VALU_DEP_1) | instskip(NEXT) | instid1(VALU_DEP_1)
	v_lshlrev_b64_e32 v[44:45], 3, v[44:45]
	v_add_co_u32 v44, s23, s40, v44
	s_wait_alu 0xf1ff
	s_delay_alu instid0(VALU_DEP_2)
	v_add_co_ci_u32_e64 v45, null, s41, v45, s23
	global_store_b64 v[44:45], v[36:37], off
	s_wait_alu 0xfffe
	s_or_b32 exec_lo, exec_lo, s24
	v_cmp_lt_u32_e64 s23, v87, v162
	s_and_saveexec_b32 s25, s23
	s_cbranch_execz .LBB710_476
.LBB710_544:                            ;   in Loop: Header=BB710_388 Depth=2
	ds_load_b64 v[36:37], v108 offset:19456
	s_wait_dscnt 0x0
	v_lshrrev_b64 v[44:45], s48, v[36:37]
	v_xor_b32_e32 v37, 0x7fffffff, v37
	v_not_b32_e32 v36, v36
	s_delay_alu instid0(VALU_DEP_3) | instskip(NEXT) | instid1(VALU_DEP_1)
	v_dual_mov_b32 v45, v2 :: v_dual_and_b32 v44, s55, v44
	v_lshlrev_b32_e32 v44, 2, v44
	ds_load_b32 v44, v44
	s_wait_dscnt 0x0
	v_add_nc_u32_e32 v44, v44, v87
	s_delay_alu instid0(VALU_DEP_1) | instskip(NEXT) | instid1(VALU_DEP_1)
	v_lshlrev_b64_e32 v[44:45], 3, v[44:45]
	v_add_co_u32 v44, s24, s40, v44
	s_wait_alu 0xf1ff
	s_delay_alu instid0(VALU_DEP_2)
	v_add_co_ci_u32_e64 v45, null, s41, v45, s24
	global_store_b64 v[44:45], v[36:37], off
	s_wait_alu 0xfffe
	s_or_b32 exec_lo, exec_lo, s25
	v_cmp_lt_u32_e64 s24, v88, v162
	s_and_saveexec_b32 s26, s24
	s_cbranch_execz .LBB710_477
.LBB710_545:                            ;   in Loop: Header=BB710_388 Depth=2
	ds_load_b64 v[36:37], v108 offset:21504
	s_wait_dscnt 0x0
	v_lshrrev_b64 v[44:45], s48, v[36:37]
	v_xor_b32_e32 v37, 0x7fffffff, v37
	v_not_b32_e32 v36, v36
	s_delay_alu instid0(VALU_DEP_3) | instskip(NEXT) | instid1(VALU_DEP_1)
	v_dual_mov_b32 v45, v2 :: v_dual_and_b32 v44, s55, v44
	v_lshlrev_b32_e32 v44, 2, v44
	ds_load_b32 v44, v44
	s_wait_dscnt 0x0
	v_add_nc_u32_e32 v44, v44, v88
	s_delay_alu instid0(VALU_DEP_1) | instskip(NEXT) | instid1(VALU_DEP_1)
	v_lshlrev_b64_e32 v[44:45], 3, v[44:45]
	v_add_co_u32 v44, s25, s40, v44
	s_wait_alu 0xf1ff
	s_delay_alu instid0(VALU_DEP_2)
	v_add_co_ci_u32_e64 v45, null, s41, v45, s25
	global_store_b64 v[44:45], v[36:37], off
	s_wait_alu 0xfffe
	s_or_b32 exec_lo, exec_lo, s26
	v_cmp_lt_u32_e64 s25, v89, v162
	s_and_saveexec_b32 s27, s25
	s_cbranch_execz .LBB710_478
.LBB710_546:                            ;   in Loop: Header=BB710_388 Depth=2
	ds_load_b64 v[36:37], v108 offset:23552
	s_wait_dscnt 0x0
	v_lshrrev_b64 v[44:45], s48, v[36:37]
	v_xor_b32_e32 v37, 0x7fffffff, v37
	v_not_b32_e32 v36, v36
	s_delay_alu instid0(VALU_DEP_3) | instskip(NEXT) | instid1(VALU_DEP_1)
	v_dual_mov_b32 v45, v2 :: v_dual_and_b32 v44, s55, v44
	v_lshlrev_b32_e32 v44, 2, v44
	ds_load_b32 v44, v44
	s_wait_dscnt 0x0
	v_add_nc_u32_e32 v44, v44, v89
	s_delay_alu instid0(VALU_DEP_1) | instskip(NEXT) | instid1(VALU_DEP_1)
	v_lshlrev_b64_e32 v[44:45], 3, v[44:45]
	v_add_co_u32 v44, s26, s40, v44
	s_wait_alu 0xf1ff
	s_delay_alu instid0(VALU_DEP_2)
	v_add_co_ci_u32_e64 v45, null, s41, v45, s26
	global_store_b64 v[44:45], v[36:37], off
	s_wait_alu 0xfffe
	s_or_b32 exec_lo, exec_lo, s27
	v_cmp_lt_u32_e64 s26, v90, v162
	s_and_saveexec_b32 s28, s26
	s_cbranch_execz .LBB710_479
.LBB710_547:                            ;   in Loop: Header=BB710_388 Depth=2
	ds_load_b64 v[36:37], v108 offset:25600
	s_wait_dscnt 0x0
	v_lshrrev_b64 v[44:45], s48, v[36:37]
	v_xor_b32_e32 v37, 0x7fffffff, v37
	v_not_b32_e32 v36, v36
	s_delay_alu instid0(VALU_DEP_3) | instskip(NEXT) | instid1(VALU_DEP_1)
	v_dual_mov_b32 v45, v2 :: v_dual_and_b32 v44, s55, v44
	v_lshlrev_b32_e32 v44, 2, v44
	ds_load_b32 v44, v44
	s_wait_dscnt 0x0
	v_add_nc_u32_e32 v44, v44, v90
	s_delay_alu instid0(VALU_DEP_1) | instskip(NEXT) | instid1(VALU_DEP_1)
	v_lshlrev_b64_e32 v[44:45], 3, v[44:45]
	v_add_co_u32 v44, s27, s40, v44
	s_wait_alu 0xf1ff
	s_delay_alu instid0(VALU_DEP_2)
	v_add_co_ci_u32_e64 v45, null, s41, v45, s27
	global_store_b64 v[44:45], v[36:37], off
	s_wait_alu 0xfffe
	s_or_b32 exec_lo, exec_lo, s28
	v_cmp_lt_u32_e64 s27, v91, v162
	s_and_saveexec_b32 s29, s27
	s_cbranch_execz .LBB710_480
.LBB710_548:                            ;   in Loop: Header=BB710_388 Depth=2
	ds_load_b64 v[36:37], v108 offset:27648
	s_wait_dscnt 0x0
	v_lshrrev_b64 v[44:45], s48, v[36:37]
	v_xor_b32_e32 v37, 0x7fffffff, v37
	v_not_b32_e32 v36, v36
	s_delay_alu instid0(VALU_DEP_3) | instskip(NEXT) | instid1(VALU_DEP_1)
	v_dual_mov_b32 v45, v2 :: v_dual_and_b32 v44, s55, v44
	v_lshlrev_b32_e32 v44, 2, v44
	ds_load_b32 v44, v44
	s_wait_dscnt 0x0
	v_add_nc_u32_e32 v44, v44, v91
	s_delay_alu instid0(VALU_DEP_1) | instskip(NEXT) | instid1(VALU_DEP_1)
	v_lshlrev_b64_e32 v[44:45], 3, v[44:45]
	v_add_co_u32 v44, s28, s40, v44
	s_wait_alu 0xf1ff
	s_delay_alu instid0(VALU_DEP_2)
	v_add_co_ci_u32_e64 v45, null, s41, v45, s28
	global_store_b64 v[44:45], v[36:37], off
	s_wait_alu 0xfffe
	s_or_b32 exec_lo, exec_lo, s29
	v_cmp_lt_u32_e64 s28, v92, v162
	s_and_saveexec_b32 s30, s28
	s_cbranch_execz .LBB710_481
.LBB710_549:                            ;   in Loop: Header=BB710_388 Depth=2
	ds_load_b64 v[36:37], v108 offset:29696
	s_wait_dscnt 0x0
	v_lshrrev_b64 v[44:45], s48, v[36:37]
	v_xor_b32_e32 v37, 0x7fffffff, v37
	v_not_b32_e32 v36, v36
	s_delay_alu instid0(VALU_DEP_3) | instskip(NEXT) | instid1(VALU_DEP_1)
	v_dual_mov_b32 v45, v2 :: v_dual_and_b32 v44, s55, v44
	v_lshlrev_b32_e32 v44, 2, v44
	ds_load_b32 v44, v44
	s_wait_dscnt 0x0
	v_add_nc_u32_e32 v44, v44, v92
	s_delay_alu instid0(VALU_DEP_1) | instskip(NEXT) | instid1(VALU_DEP_1)
	v_lshlrev_b64_e32 v[44:45], 3, v[44:45]
	v_add_co_u32 v44, s29, s40, v44
	s_wait_alu 0xf1ff
	s_delay_alu instid0(VALU_DEP_2)
	v_add_co_ci_u32_e64 v45, null, s41, v45, s29
	global_store_b64 v[44:45], v[36:37], off
	s_wait_alu 0xfffe
	s_or_b32 exec_lo, exec_lo, s30
	v_cmp_lt_u32_e64 s29, v93, v162
	s_and_saveexec_b32 s58, s29
	s_cbranch_execnz .LBB710_482
	s_branch .LBB710_483
.LBB710_550:                            ;   in Loop: Header=BB710_388 Depth=2
	global_load_b64 v[34:35], v[36:37], off
	s_wait_alu 0xfffe
	s_or_b32 exec_lo, exec_lo, s30
	s_delay_alu instid0(SALU_CYCLE_1)
	s_mov_b32 s34, exec_lo
	v_cmpx_lt_u32_e64 v128, v162
	s_cbranch_execz .LBB710_485
.LBB710_551:                            ;   in Loop: Header=BB710_388 Depth=2
	global_load_b64 v[32:33], v[36:37], off offset:256
	s_wait_alu 0xfffe
	s_or_b32 exec_lo, exec_lo, s34
	s_delay_alu instid0(SALU_CYCLE_1)
	s_mov_b32 s34, exec_lo
	v_cmpx_lt_u32_e64 v129, v162
	s_cbranch_execz .LBB710_486
.LBB710_552:                            ;   in Loop: Header=BB710_388 Depth=2
	global_load_b64 v[30:31], v[36:37], off offset:512
	s_wait_alu 0xfffe
	s_or_b32 exec_lo, exec_lo, s34
	s_delay_alu instid0(SALU_CYCLE_1)
	s_mov_b32 s34, exec_lo
	v_cmpx_lt_u32_e64 v130, v162
	s_cbranch_execz .LBB710_487
.LBB710_553:                            ;   in Loop: Header=BB710_388 Depth=2
	global_load_b64 v[28:29], v[36:37], off offset:768
	s_wait_alu 0xfffe
	s_or_b32 exec_lo, exec_lo, s34
	s_delay_alu instid0(SALU_CYCLE_1)
	s_mov_b32 s34, exec_lo
	v_cmpx_lt_u32_e64 v131, v162
	s_cbranch_execz .LBB710_488
.LBB710_554:                            ;   in Loop: Header=BB710_388 Depth=2
	global_load_b64 v[26:27], v[36:37], off offset:1024
	s_wait_alu 0xfffe
	s_or_b32 exec_lo, exec_lo, s34
	s_delay_alu instid0(SALU_CYCLE_1)
	s_mov_b32 s34, exec_lo
	v_cmpx_lt_u32_e64 v132, v162
	s_cbranch_execz .LBB710_489
.LBB710_555:                            ;   in Loop: Header=BB710_388 Depth=2
	global_load_b64 v[24:25], v[36:37], off offset:1280
	s_wait_alu 0xfffe
	s_or_b32 exec_lo, exec_lo, s34
	s_delay_alu instid0(SALU_CYCLE_1)
	s_mov_b32 s34, exec_lo
	v_cmpx_lt_u32_e64 v133, v162
	s_cbranch_execz .LBB710_490
.LBB710_556:                            ;   in Loop: Header=BB710_388 Depth=2
	global_load_b64 v[22:23], v[36:37], off offset:1536
	s_wait_alu 0xfffe
	s_or_b32 exec_lo, exec_lo, s34
	s_delay_alu instid0(SALU_CYCLE_1)
	s_mov_b32 s34, exec_lo
	v_cmpx_lt_u32_e64 v134, v162
	s_cbranch_execz .LBB710_491
.LBB710_557:                            ;   in Loop: Header=BB710_388 Depth=2
	global_load_b64 v[20:21], v[36:37], off offset:1792
	s_wait_alu 0xfffe
	s_or_b32 exec_lo, exec_lo, s34
	s_delay_alu instid0(SALU_CYCLE_1)
	s_mov_b32 s34, exec_lo
	v_cmpx_lt_u32_e64 v135, v162
	s_cbranch_execz .LBB710_492
.LBB710_558:                            ;   in Loop: Header=BB710_388 Depth=2
	global_load_b64 v[18:19], v[36:37], off offset:2048
	s_wait_alu 0xfffe
	s_or_b32 exec_lo, exec_lo, s34
	s_delay_alu instid0(SALU_CYCLE_1)
	s_mov_b32 s34, exec_lo
	v_cmpx_lt_u32_e64 v136, v162
	s_cbranch_execz .LBB710_493
.LBB710_559:                            ;   in Loop: Header=BB710_388 Depth=2
	global_load_b64 v[16:17], v[36:37], off offset:2304
	s_wait_alu 0xfffe
	s_or_b32 exec_lo, exec_lo, s34
	s_delay_alu instid0(SALU_CYCLE_1)
	s_mov_b32 s34, exec_lo
	v_cmpx_lt_u32_e64 v137, v162
	s_cbranch_execz .LBB710_494
.LBB710_560:                            ;   in Loop: Header=BB710_388 Depth=2
	global_load_b64 v[14:15], v[36:37], off offset:2560
	s_wait_alu 0xfffe
	s_or_b32 exec_lo, exec_lo, s34
	s_delay_alu instid0(SALU_CYCLE_1)
	s_mov_b32 s34, exec_lo
	v_cmpx_lt_u32_e64 v138, v162
	s_cbranch_execz .LBB710_495
.LBB710_561:                            ;   in Loop: Header=BB710_388 Depth=2
	global_load_b64 v[12:13], v[36:37], off offset:2816
	s_wait_alu 0xfffe
	s_or_b32 exec_lo, exec_lo, s34
	s_delay_alu instid0(SALU_CYCLE_1)
	s_mov_b32 s34, exec_lo
	v_cmpx_lt_u32_e64 v139, v162
	s_cbranch_execz .LBB710_496
.LBB710_562:                            ;   in Loop: Header=BB710_388 Depth=2
	global_load_b64 v[10:11], v[36:37], off offset:3072
	s_wait_alu 0xfffe
	s_or_b32 exec_lo, exec_lo, s34
	s_delay_alu instid0(SALU_CYCLE_1)
	s_mov_b32 s34, exec_lo
	v_cmpx_lt_u32_e64 v140, v162
	s_cbranch_execz .LBB710_497
.LBB710_563:                            ;   in Loop: Header=BB710_388 Depth=2
	global_load_b64 v[8:9], v[36:37], off offset:3328
	s_wait_alu 0xfffe
	s_or_b32 exec_lo, exec_lo, s34
	s_delay_alu instid0(SALU_CYCLE_1)
	s_mov_b32 s34, exec_lo
	v_cmpx_lt_u32_e64 v141, v162
	s_cbranch_execz .LBB710_498
.LBB710_564:                            ;   in Loop: Header=BB710_388 Depth=2
	global_load_b64 v[6:7], v[36:37], off offset:3584
	s_wait_alu 0xfffe
	s_or_b32 exec_lo, exec_lo, s34
	s_delay_alu instid0(SALU_CYCLE_1)
	s_mov_b32 s34, exec_lo
	v_cmpx_lt_u32_e64 v142, v162
	s_cbranch_execz .LBB710_499
.LBB710_565:                            ;   in Loop: Header=BB710_388 Depth=2
	global_load_b64 v[4:5], v[36:37], off offset:3840
	s_wait_alu 0xfffe
	s_or_b32 exec_lo, exec_lo, s34
	s_and_saveexec_b32 s30, vcc_lo
	s_cbranch_execz .LBB710_500
.LBB710_566:                            ;   in Loop: Header=BB710_388 Depth=2
	ds_load_b64 v[36:37], v108 offset:1024
	s_wait_dscnt 0x0
	v_lshrrev_b64 v[36:37], s48, v[36:37]
	s_delay_alu instid0(VALU_DEP_1)
	v_and_b32_e32 v161, s55, v36
	s_wait_alu 0xfffe
	s_or_b32 exec_lo, exec_lo, s30
	s_and_saveexec_b32 s30, s15
	s_cbranch_execz .LBB710_501
.LBB710_567:                            ;   in Loop: Header=BB710_388 Depth=2
	ds_load_b64 v[36:37], v108 offset:3072
	s_wait_dscnt 0x0
	v_lshrrev_b64 v[36:37], s48, v[36:37]
	s_delay_alu instid0(VALU_DEP_1)
	v_and_b32_e32 v160, s55, v36
	s_wait_alu 0xfffe
	s_or_b32 exec_lo, exec_lo, s30
	s_and_saveexec_b32 s30, s16
	s_cbranch_execz .LBB710_502
.LBB710_568:                            ;   in Loop: Header=BB710_388 Depth=2
	ds_load_b64 v[36:37], v108 offset:5120
	s_wait_dscnt 0x0
	v_lshrrev_b64 v[36:37], s48, v[36:37]
	s_delay_alu instid0(VALU_DEP_1)
	v_and_b32_e32 v159, s55, v36
	s_wait_alu 0xfffe
	s_or_b32 exec_lo, exec_lo, s30
	s_and_saveexec_b32 s30, s17
	s_cbranch_execz .LBB710_503
.LBB710_569:                            ;   in Loop: Header=BB710_388 Depth=2
	ds_load_b64 v[36:37], v108 offset:7168
	s_wait_dscnt 0x0
	v_lshrrev_b64 v[36:37], s48, v[36:37]
	s_delay_alu instid0(VALU_DEP_1)
	v_and_b32_e32 v158, s55, v36
	s_wait_alu 0xfffe
	s_or_b32 exec_lo, exec_lo, s30
	s_and_saveexec_b32 s30, s18
	s_cbranch_execz .LBB710_504
.LBB710_570:                            ;   in Loop: Header=BB710_388 Depth=2
	ds_load_b64 v[36:37], v108 offset:9216
	s_wait_dscnt 0x0
	v_lshrrev_b64 v[36:37], s48, v[36:37]
	s_delay_alu instid0(VALU_DEP_1)
	v_and_b32_e32 v157, s55, v36
	s_wait_alu 0xfffe
	s_or_b32 exec_lo, exec_lo, s30
	s_and_saveexec_b32 s30, s19
	s_cbranch_execz .LBB710_505
.LBB710_571:                            ;   in Loop: Header=BB710_388 Depth=2
	ds_load_b64 v[36:37], v108 offset:11264
	s_wait_dscnt 0x0
	v_lshrrev_b64 v[36:37], s48, v[36:37]
	s_delay_alu instid0(VALU_DEP_1)
	v_and_b32_e32 v156, s55, v36
	s_wait_alu 0xfffe
	s_or_b32 exec_lo, exec_lo, s30
	s_and_saveexec_b32 s30, s20
	s_cbranch_execz .LBB710_506
.LBB710_572:                            ;   in Loop: Header=BB710_388 Depth=2
	ds_load_b64 v[36:37], v108 offset:13312
	s_wait_dscnt 0x0
	v_lshrrev_b64 v[36:37], s48, v[36:37]
	s_delay_alu instid0(VALU_DEP_1)
	v_and_b32_e32 v155, s55, v36
	s_wait_alu 0xfffe
	s_or_b32 exec_lo, exec_lo, s30
	s_and_saveexec_b32 s30, s21
	s_cbranch_execz .LBB710_507
.LBB710_573:                            ;   in Loop: Header=BB710_388 Depth=2
	ds_load_b64 v[36:37], v108 offset:15360
	s_wait_dscnt 0x0
	v_lshrrev_b64 v[36:37], s48, v[36:37]
	s_delay_alu instid0(VALU_DEP_1)
	v_and_b32_e32 v154, s55, v36
	s_wait_alu 0xfffe
	s_or_b32 exec_lo, exec_lo, s30
	s_and_saveexec_b32 s30, s22
	s_cbranch_execz .LBB710_508
.LBB710_574:                            ;   in Loop: Header=BB710_388 Depth=2
	ds_load_b64 v[36:37], v108 offset:17408
	s_wait_dscnt 0x0
	v_lshrrev_b64 v[36:37], s48, v[36:37]
	s_delay_alu instid0(VALU_DEP_1)
	v_and_b32_e32 v153, s55, v36
	s_wait_alu 0xfffe
	s_or_b32 exec_lo, exec_lo, s30
	s_and_saveexec_b32 s30, s23
	s_cbranch_execz .LBB710_509
.LBB710_575:                            ;   in Loop: Header=BB710_388 Depth=2
	ds_load_b64 v[36:37], v108 offset:19456
	s_wait_dscnt 0x0
	v_lshrrev_b64 v[36:37], s48, v[36:37]
	s_delay_alu instid0(VALU_DEP_1)
	v_and_b32_e32 v152, s55, v36
	s_wait_alu 0xfffe
	s_or_b32 exec_lo, exec_lo, s30
	s_and_saveexec_b32 s30, s24
	s_cbranch_execz .LBB710_510
.LBB710_576:                            ;   in Loop: Header=BB710_388 Depth=2
	ds_load_b64 v[36:37], v108 offset:21504
	s_wait_dscnt 0x0
	v_lshrrev_b64 v[36:37], s48, v[36:37]
	s_delay_alu instid0(VALU_DEP_1)
	v_and_b32_e32 v151, s55, v36
	s_wait_alu 0xfffe
	s_or_b32 exec_lo, exec_lo, s30
	s_and_saveexec_b32 s30, s25
	s_cbranch_execz .LBB710_511
.LBB710_577:                            ;   in Loop: Header=BB710_388 Depth=2
	ds_load_b64 v[36:37], v108 offset:23552
	s_wait_dscnt 0x0
	v_lshrrev_b64 v[36:37], s48, v[36:37]
	s_delay_alu instid0(VALU_DEP_1)
	v_and_b32_e32 v150, s55, v36
	s_wait_alu 0xfffe
	s_or_b32 exec_lo, exec_lo, s30
	s_and_saveexec_b32 s30, s26
	s_cbranch_execz .LBB710_512
.LBB710_578:                            ;   in Loop: Header=BB710_388 Depth=2
	ds_load_b64 v[36:37], v108 offset:25600
	s_wait_dscnt 0x0
	v_lshrrev_b64 v[36:37], s48, v[36:37]
	s_delay_alu instid0(VALU_DEP_1)
	v_and_b32_e32 v149, s55, v36
	s_wait_alu 0xfffe
	s_or_b32 exec_lo, exec_lo, s30
	s_and_saveexec_b32 s30, s27
	s_cbranch_execz .LBB710_513
.LBB710_579:                            ;   in Loop: Header=BB710_388 Depth=2
	ds_load_b64 v[36:37], v108 offset:27648
	s_wait_dscnt 0x0
	v_lshrrev_b64 v[36:37], s48, v[36:37]
	s_delay_alu instid0(VALU_DEP_1)
	v_and_b32_e32 v148, s55, v36
	s_wait_alu 0xfffe
	s_or_b32 exec_lo, exec_lo, s30
	s_and_saveexec_b32 s30, s28
	s_cbranch_execz .LBB710_514
.LBB710_580:                            ;   in Loop: Header=BB710_388 Depth=2
	ds_load_b64 v[36:37], v108 offset:29696
	s_wait_dscnt 0x0
	v_lshrrev_b64 v[36:37], s48, v[36:37]
	s_delay_alu instid0(VALU_DEP_1)
	v_and_b32_e32 v147, s55, v36
	s_wait_alu 0xfffe
	s_or_b32 exec_lo, exec_lo, s30
	s_and_saveexec_b32 s30, s29
	s_cbranch_execnz .LBB710_515
	s_branch .LBB710_516
.LBB710_581:                            ;   in Loop: Header=BB710_388 Depth=2
	v_dual_mov_b32 v39, v2 :: v_dual_lshlrev_b32 v36, 2, v161
	ds_load_b32 v38, v36
	ds_load_b64 v[36:37], v108 offset:1024
	s_wait_dscnt 0x1
	v_add_nc_u32_e32 v38, v38, v1
	s_delay_alu instid0(VALU_DEP_1) | instskip(NEXT) | instid1(VALU_DEP_1)
	v_lshlrev_b64_e32 v[38:39], 3, v[38:39]
	v_add_co_u32 v38, vcc_lo, s46, v38
	s_wait_alu 0xfffd
	s_delay_alu instid0(VALU_DEP_2)
	v_add_co_ci_u32_e64 v39, null, s47, v39, vcc_lo
	s_wait_dscnt 0x0
	global_store_b64 v[38:39], v[36:37], off
	s_wait_alu 0xfffe
	s_or_b32 exec_lo, exec_lo, s30
	s_and_saveexec_b32 s30, s15
	s_cbranch_execz .LBB710_518
.LBB710_582:                            ;   in Loop: Header=BB710_388 Depth=2
	v_dual_mov_b32 v39, v2 :: v_dual_lshlrev_b32 v36, 2, v160
	ds_load_b32 v38, v36
	ds_load_b64 v[36:37], v108 offset:3072
	s_wait_dscnt 0x1
	v_add_nc_u32_e32 v38, v38, v77
	s_delay_alu instid0(VALU_DEP_1) | instskip(NEXT) | instid1(VALU_DEP_1)
	v_lshlrev_b64_e32 v[38:39], 3, v[38:39]
	v_add_co_u32 v38, vcc_lo, s46, v38
	s_wait_alu 0xfffd
	s_delay_alu instid0(VALU_DEP_2)
	v_add_co_ci_u32_e64 v39, null, s47, v39, vcc_lo
	s_wait_dscnt 0x0
	global_store_b64 v[38:39], v[36:37], off
	s_wait_alu 0xfffe
	s_or_b32 exec_lo, exec_lo, s30
	s_and_saveexec_b32 s15, s16
	s_cbranch_execz .LBB710_519
.LBB710_583:                            ;   in Loop: Header=BB710_388 Depth=2
	v_dual_mov_b32 v39, v2 :: v_dual_lshlrev_b32 v36, 2, v159
	ds_load_b32 v38, v36
	ds_load_b64 v[36:37], v108 offset:5120
	s_wait_dscnt 0x1
	v_add_nc_u32_e32 v38, v38, v78
	s_delay_alu instid0(VALU_DEP_1) | instskip(NEXT) | instid1(VALU_DEP_1)
	v_lshlrev_b64_e32 v[38:39], 3, v[38:39]
	v_add_co_u32 v38, vcc_lo, s46, v38
	s_wait_alu 0xfffd
	s_delay_alu instid0(VALU_DEP_2)
	v_add_co_ci_u32_e64 v39, null, s47, v39, vcc_lo
	s_wait_dscnt 0x0
	global_store_b64 v[38:39], v[36:37], off
	s_wait_alu 0xfffe
	s_or_b32 exec_lo, exec_lo, s15
	s_and_saveexec_b32 s15, s17
	s_cbranch_execz .LBB710_520
.LBB710_584:                            ;   in Loop: Header=BB710_388 Depth=2
	v_dual_mov_b32 v39, v2 :: v_dual_lshlrev_b32 v36, 2, v158
	ds_load_b32 v38, v36
	ds_load_b64 v[36:37], v108 offset:7168
	s_wait_dscnt 0x1
	v_add_nc_u32_e32 v38, v38, v79
	s_delay_alu instid0(VALU_DEP_1) | instskip(NEXT) | instid1(VALU_DEP_1)
	v_lshlrev_b64_e32 v[38:39], 3, v[38:39]
	v_add_co_u32 v38, vcc_lo, s46, v38
	s_wait_alu 0xfffd
	s_delay_alu instid0(VALU_DEP_2)
	v_add_co_ci_u32_e64 v39, null, s47, v39, vcc_lo
	s_wait_dscnt 0x0
	global_store_b64 v[38:39], v[36:37], off
	s_wait_alu 0xfffe
	s_or_b32 exec_lo, exec_lo, s15
	s_and_saveexec_b32 s15, s18
	s_cbranch_execz .LBB710_521
.LBB710_585:                            ;   in Loop: Header=BB710_388 Depth=2
	v_dual_mov_b32 v39, v2 :: v_dual_lshlrev_b32 v36, 2, v157
	ds_load_b32 v38, v36
	ds_load_b64 v[36:37], v108 offset:9216
	s_wait_dscnt 0x1
	v_add_nc_u32_e32 v38, v38, v82
	s_delay_alu instid0(VALU_DEP_1) | instskip(NEXT) | instid1(VALU_DEP_1)
	v_lshlrev_b64_e32 v[38:39], 3, v[38:39]
	v_add_co_u32 v38, vcc_lo, s46, v38
	s_wait_alu 0xfffd
	s_delay_alu instid0(VALU_DEP_2)
	v_add_co_ci_u32_e64 v39, null, s47, v39, vcc_lo
	s_wait_dscnt 0x0
	global_store_b64 v[38:39], v[36:37], off
	s_wait_alu 0xfffe
	s_or_b32 exec_lo, exec_lo, s15
	s_and_saveexec_b32 s15, s19
	s_cbranch_execz .LBB710_522
.LBB710_586:                            ;   in Loop: Header=BB710_388 Depth=2
	v_dual_mov_b32 v39, v2 :: v_dual_lshlrev_b32 v36, 2, v156
	ds_load_b32 v38, v36
	ds_load_b64 v[36:37], v108 offset:11264
	s_wait_dscnt 0x1
	v_add_nc_u32_e32 v38, v38, v83
	s_delay_alu instid0(VALU_DEP_1) | instskip(NEXT) | instid1(VALU_DEP_1)
	v_lshlrev_b64_e32 v[38:39], 3, v[38:39]
	v_add_co_u32 v38, vcc_lo, s46, v38
	s_wait_alu 0xfffd
	s_delay_alu instid0(VALU_DEP_2)
	v_add_co_ci_u32_e64 v39, null, s47, v39, vcc_lo
	s_wait_dscnt 0x0
	global_store_b64 v[38:39], v[36:37], off
	s_wait_alu 0xfffe
	s_or_b32 exec_lo, exec_lo, s15
	s_and_saveexec_b32 s15, s20
	s_cbranch_execz .LBB710_523
.LBB710_587:                            ;   in Loop: Header=BB710_388 Depth=2
	v_dual_mov_b32 v39, v2 :: v_dual_lshlrev_b32 v36, 2, v155
	ds_load_b32 v38, v36
	ds_load_b64 v[36:37], v108 offset:13312
	s_wait_dscnt 0x1
	v_add_nc_u32_e32 v38, v38, v84
	s_delay_alu instid0(VALU_DEP_1) | instskip(NEXT) | instid1(VALU_DEP_1)
	v_lshlrev_b64_e32 v[38:39], 3, v[38:39]
	v_add_co_u32 v38, vcc_lo, s46, v38
	s_wait_alu 0xfffd
	s_delay_alu instid0(VALU_DEP_2)
	v_add_co_ci_u32_e64 v39, null, s47, v39, vcc_lo
	s_wait_dscnt 0x0
	global_store_b64 v[38:39], v[36:37], off
	s_wait_alu 0xfffe
	s_or_b32 exec_lo, exec_lo, s15
	s_and_saveexec_b32 s15, s21
	s_cbranch_execz .LBB710_524
.LBB710_588:                            ;   in Loop: Header=BB710_388 Depth=2
	v_dual_mov_b32 v39, v2 :: v_dual_lshlrev_b32 v36, 2, v154
	ds_load_b32 v38, v36
	ds_load_b64 v[36:37], v108 offset:15360
	s_wait_dscnt 0x1
	v_add_nc_u32_e32 v38, v38, v85
	s_delay_alu instid0(VALU_DEP_1) | instskip(NEXT) | instid1(VALU_DEP_1)
	v_lshlrev_b64_e32 v[38:39], 3, v[38:39]
	v_add_co_u32 v38, vcc_lo, s46, v38
	s_wait_alu 0xfffd
	s_delay_alu instid0(VALU_DEP_2)
	v_add_co_ci_u32_e64 v39, null, s47, v39, vcc_lo
	s_wait_dscnt 0x0
	global_store_b64 v[38:39], v[36:37], off
	s_wait_alu 0xfffe
	s_or_b32 exec_lo, exec_lo, s15
	s_and_saveexec_b32 s15, s22
	s_cbranch_execz .LBB710_525
.LBB710_589:                            ;   in Loop: Header=BB710_388 Depth=2
	v_dual_mov_b32 v39, v2 :: v_dual_lshlrev_b32 v36, 2, v153
	ds_load_b32 v38, v36
	ds_load_b64 v[36:37], v108 offset:17408
	s_wait_dscnt 0x1
	v_add_nc_u32_e32 v38, v38, v86
	s_delay_alu instid0(VALU_DEP_1) | instskip(NEXT) | instid1(VALU_DEP_1)
	v_lshlrev_b64_e32 v[38:39], 3, v[38:39]
	v_add_co_u32 v38, vcc_lo, s46, v38
	s_wait_alu 0xfffd
	s_delay_alu instid0(VALU_DEP_2)
	v_add_co_ci_u32_e64 v39, null, s47, v39, vcc_lo
	s_wait_dscnt 0x0
	global_store_b64 v[38:39], v[36:37], off
	s_wait_alu 0xfffe
	s_or_b32 exec_lo, exec_lo, s15
	s_and_saveexec_b32 s15, s23
	s_cbranch_execz .LBB710_526
.LBB710_590:                            ;   in Loop: Header=BB710_388 Depth=2
	v_dual_mov_b32 v39, v2 :: v_dual_lshlrev_b32 v36, 2, v152
	ds_load_b32 v38, v36
	ds_load_b64 v[36:37], v108 offset:19456
	s_wait_dscnt 0x1
	v_add_nc_u32_e32 v38, v38, v87
	s_delay_alu instid0(VALU_DEP_1) | instskip(NEXT) | instid1(VALU_DEP_1)
	v_lshlrev_b64_e32 v[38:39], 3, v[38:39]
	v_add_co_u32 v38, vcc_lo, s46, v38
	s_wait_alu 0xfffd
	s_delay_alu instid0(VALU_DEP_2)
	v_add_co_ci_u32_e64 v39, null, s47, v39, vcc_lo
	s_wait_dscnt 0x0
	global_store_b64 v[38:39], v[36:37], off
	s_wait_alu 0xfffe
	s_or_b32 exec_lo, exec_lo, s15
	s_and_saveexec_b32 s15, s24
	s_cbranch_execz .LBB710_527
.LBB710_591:                            ;   in Loop: Header=BB710_388 Depth=2
	v_dual_mov_b32 v39, v2 :: v_dual_lshlrev_b32 v36, 2, v151
	ds_load_b32 v38, v36
	ds_load_b64 v[36:37], v108 offset:21504
	s_wait_dscnt 0x1
	v_add_nc_u32_e32 v38, v38, v88
	s_delay_alu instid0(VALU_DEP_1) | instskip(NEXT) | instid1(VALU_DEP_1)
	v_lshlrev_b64_e32 v[38:39], 3, v[38:39]
	v_add_co_u32 v38, vcc_lo, s46, v38
	s_wait_alu 0xfffd
	s_delay_alu instid0(VALU_DEP_2)
	v_add_co_ci_u32_e64 v39, null, s47, v39, vcc_lo
	s_wait_dscnt 0x0
	global_store_b64 v[38:39], v[36:37], off
	s_wait_alu 0xfffe
	s_or_b32 exec_lo, exec_lo, s15
	s_and_saveexec_b32 s15, s25
	s_cbranch_execz .LBB710_528
.LBB710_592:                            ;   in Loop: Header=BB710_388 Depth=2
	v_dual_mov_b32 v39, v2 :: v_dual_lshlrev_b32 v36, 2, v150
	ds_load_b32 v38, v36
	ds_load_b64 v[36:37], v108 offset:23552
	s_wait_dscnt 0x1
	v_add_nc_u32_e32 v38, v38, v89
	s_delay_alu instid0(VALU_DEP_1) | instskip(NEXT) | instid1(VALU_DEP_1)
	v_lshlrev_b64_e32 v[38:39], 3, v[38:39]
	v_add_co_u32 v38, vcc_lo, s46, v38
	s_wait_alu 0xfffd
	s_delay_alu instid0(VALU_DEP_2)
	v_add_co_ci_u32_e64 v39, null, s47, v39, vcc_lo
	s_wait_dscnt 0x0
	global_store_b64 v[38:39], v[36:37], off
	s_wait_alu 0xfffe
	s_or_b32 exec_lo, exec_lo, s15
	s_and_saveexec_b32 s15, s26
	s_cbranch_execz .LBB710_529
.LBB710_593:                            ;   in Loop: Header=BB710_388 Depth=2
	v_dual_mov_b32 v39, v2 :: v_dual_lshlrev_b32 v36, 2, v149
	ds_load_b32 v38, v36
	ds_load_b64 v[36:37], v108 offset:25600
	s_wait_dscnt 0x1
	v_add_nc_u32_e32 v38, v38, v90
	s_delay_alu instid0(VALU_DEP_1) | instskip(NEXT) | instid1(VALU_DEP_1)
	v_lshlrev_b64_e32 v[38:39], 3, v[38:39]
	v_add_co_u32 v38, vcc_lo, s46, v38
	s_wait_alu 0xfffd
	s_delay_alu instid0(VALU_DEP_2)
	v_add_co_ci_u32_e64 v39, null, s47, v39, vcc_lo
	s_wait_dscnt 0x0
	global_store_b64 v[38:39], v[36:37], off
	s_wait_alu 0xfffe
	s_or_b32 exec_lo, exec_lo, s15
	s_and_saveexec_b32 s15, s27
	s_cbranch_execz .LBB710_530
.LBB710_594:                            ;   in Loop: Header=BB710_388 Depth=2
	v_dual_mov_b32 v39, v2 :: v_dual_lshlrev_b32 v36, 2, v148
	ds_load_b32 v38, v36
	ds_load_b64 v[36:37], v108 offset:27648
	s_wait_dscnt 0x1
	v_add_nc_u32_e32 v38, v38, v91
	s_delay_alu instid0(VALU_DEP_1) | instskip(NEXT) | instid1(VALU_DEP_1)
	v_lshlrev_b64_e32 v[38:39], 3, v[38:39]
	v_add_co_u32 v38, vcc_lo, s46, v38
	s_wait_alu 0xfffd
	s_delay_alu instid0(VALU_DEP_2)
	v_add_co_ci_u32_e64 v39, null, s47, v39, vcc_lo
	s_wait_dscnt 0x0
	global_store_b64 v[38:39], v[36:37], off
	s_wait_alu 0xfffe
	s_or_b32 exec_lo, exec_lo, s15
	s_and_saveexec_b32 s15, s28
	s_cbranch_execz .LBB710_531
.LBB710_595:                            ;   in Loop: Header=BB710_388 Depth=2
	v_dual_mov_b32 v39, v2 :: v_dual_lshlrev_b32 v36, 2, v147
	ds_load_b32 v38, v36
	ds_load_b64 v[36:37], v108 offset:29696
	s_wait_dscnt 0x1
	v_add_nc_u32_e32 v38, v38, v92
	s_delay_alu instid0(VALU_DEP_1) | instskip(NEXT) | instid1(VALU_DEP_1)
	v_lshlrev_b64_e32 v[38:39], 3, v[38:39]
	v_add_co_u32 v38, vcc_lo, s46, v38
	s_wait_alu 0xfffd
	s_delay_alu instid0(VALU_DEP_2)
	v_add_co_ci_u32_e64 v39, null, s47, v39, vcc_lo
	s_wait_dscnt 0x0
	global_store_b64 v[38:39], v[36:37], off
	s_wait_alu 0xfffe
	s_or_b32 exec_lo, exec_lo, s15
	s_and_saveexec_b32 s15, s29
	s_cbranch_execnz .LBB710_532
	s_branch .LBB710_533
.LBB710_596:                            ;   in Loop: Header=BB710_12 Depth=1
	s_wait_loadcnt_dscnt 0x0
	s_barrier_signal -1
	s_barrier_wait -1
.LBB710_597:                            ;   in Loop: Header=BB710_12 Depth=1
	s_mov_b32 s0, 0
.LBB710_598:                            ;   in Loop: Header=BB710_12 Depth=1
	s_wait_alu 0xfffe
	s_and_not1_b32 vcc_lo, exec_lo, s0
	s_wait_alu 0xfffe
	s_cbranch_vccnz .LBB710_11
; %bb.599:                              ;   in Loop: Header=BB710_12 Depth=1
	s_lshl_b32 s0, -1, s54
	s_and_b32 vcc_lo, exec_lo, s52
	s_wait_alu 0xfffe
	s_not_b32 s54, s0
	s_mov_b32 s0, -1
	s_cbranch_vccz .LBB710_891
; %bb.600:                              ;   in Loop: Header=BB710_12 Depth=1
	s_mov_b32 s8, s53
	s_mov_b32 s34, s33
	s_barrier_signal -1
	s_barrier_wait -1
	global_inv scope:SCOPE_SE
                                        ; implicit-def: $vgpr4_vgpr5
                                        ; implicit-def: $vgpr6_vgpr7
                                        ; implicit-def: $vgpr8_vgpr9
                                        ; implicit-def: $vgpr10_vgpr11
                                        ; implicit-def: $vgpr12_vgpr13
                                        ; implicit-def: $vgpr14_vgpr15
                                        ; implicit-def: $vgpr16_vgpr17
                                        ; implicit-def: $vgpr18_vgpr19
                                        ; implicit-def: $vgpr20_vgpr21
                                        ; implicit-def: $vgpr22_vgpr23
                                        ; implicit-def: $vgpr24_vgpr25
                                        ; implicit-def: $vgpr26_vgpr27
                                        ; implicit-def: $vgpr28_vgpr29
                                        ; implicit-def: $vgpr30_vgpr31
                                        ; implicit-def: $vgpr32_vgpr33
                                        ; implicit-def: $vgpr34_vgpr35
	s_branch .LBB710_602
.LBB710_601:                            ;   in Loop: Header=BB710_602 Depth=2
	s_wait_alu 0xfffe
	s_or_b32 exec_lo, exec_lo, s0
	s_addk_co_i32 s8, 0xf000
	s_cmp_ge_u32 s9, s51
	s_mov_b32 s34, s9
	s_cbranch_scc1 .LBB710_670
.LBB710_602:                            ;   Parent Loop BB710_12 Depth=1
                                        ; =>  This Inner Loop Header: Depth=2
	s_wait_alu 0xfffe
	s_add_co_i32 s9, s34, 0x1000
	s_mov_b32 s0, -1
	s_wait_alu 0xfffe
	s_cmp_gt_u32 s9, s51
                                        ; implicit-def: $vgpr36_vgpr37
                                        ; implicit-def: $vgpr38_vgpr39
                                        ; implicit-def: $vgpr40_vgpr41
                                        ; implicit-def: $vgpr42_vgpr43
                                        ; implicit-def: $vgpr44_vgpr45
                                        ; implicit-def: $vgpr46_vgpr47
                                        ; implicit-def: $vgpr48_vgpr49
                                        ; implicit-def: $vgpr50_vgpr51
                                        ; implicit-def: $vgpr52_vgpr53
                                        ; implicit-def: $vgpr54_vgpr55
                                        ; implicit-def: $vgpr56_vgpr57
                                        ; implicit-def: $vgpr58_vgpr59
                                        ; implicit-def: $vgpr60_vgpr61
                                        ; implicit-def: $vgpr62_vgpr63
                                        ; implicit-def: $vgpr64_vgpr65
                                        ; implicit-def: $vgpr66_vgpr67
	s_cbranch_scc1 .LBB710_604
; %bb.603:                              ;   in Loop: Header=BB710_602 Depth=2
	s_lshl_b64 s[0:1], s[34:35], 3
	s_wait_alu 0xfffe
	v_add_co_u32 v66, vcc_lo, v115, s0
	s_wait_alu 0xfffd
	v_add_co_ci_u32_e64 v67, null, s1, v116, vcc_lo
	s_mov_b32 s0, 0
	s_clause 0xf
	global_load_b64 v[36:37], v[66:67], off
	global_load_b64 v[38:39], v[66:67], off offset:2048
	global_load_b64 v[40:41], v[66:67], off offset:4096
	;; [unrolled: 1-line block ×15, first 2 shown]
.LBB710_604:                            ;   in Loop: Header=BB710_602 Depth=2
	s_wait_alu 0xfffe
	s_and_not1_b32 vcc_lo, exec_lo, s0
	s_movk_i32 s0, 0x1000
	s_wait_alu 0xfffe
	s_cbranch_vccnz .LBB710_623
; %bb.605:                              ;   in Loop: Header=BB710_602 Depth=2
	s_lshl_b64 s[0:1], s[34:35], 3
	s_mov_b32 s10, exec_lo
	s_wait_alu 0xfffe
	s_add_nc_u64 s[0:1], s[36:37], s[0:1]
	v_cmpx_gt_u32_e64 s8, v1
	s_cbranch_execnz .LBB710_655
; %bb.606:                              ;   in Loop: Header=BB710_602 Depth=2
	s_or_b32 exec_lo, exec_lo, s10
	s_delay_alu instid0(SALU_CYCLE_1)
	s_mov_b32 s10, exec_lo
	v_cmpx_gt_u32_e64 s8, v77
	s_cbranch_execnz .LBB710_656
.LBB710_607:                            ;   in Loop: Header=BB710_602 Depth=2
	s_wait_alu 0xfffe
	s_or_b32 exec_lo, exec_lo, s10
	s_delay_alu instid0(SALU_CYCLE_1)
	s_mov_b32 s10, exec_lo
	v_cmpx_gt_u32_e64 s8, v78
	s_cbranch_execnz .LBB710_657
.LBB710_608:                            ;   in Loop: Header=BB710_602 Depth=2
	s_wait_alu 0xfffe
	s_or_b32 exec_lo, exec_lo, s10
	s_delay_alu instid0(SALU_CYCLE_1)
	s_mov_b32 s10, exec_lo
	v_cmpx_gt_u32_e64 s8, v79
	s_cbranch_execnz .LBB710_658
.LBB710_609:                            ;   in Loop: Header=BB710_602 Depth=2
	s_wait_alu 0xfffe
	s_or_b32 exec_lo, exec_lo, s10
	s_delay_alu instid0(SALU_CYCLE_1)
	s_mov_b32 s10, exec_lo
	v_cmpx_gt_u32_e64 s8, v82
	s_cbranch_execnz .LBB710_659
.LBB710_610:                            ;   in Loop: Header=BB710_602 Depth=2
	s_wait_alu 0xfffe
	s_or_b32 exec_lo, exec_lo, s10
	s_delay_alu instid0(SALU_CYCLE_1)
	s_mov_b32 s10, exec_lo
	v_cmpx_gt_u32_e64 s8, v83
	s_cbranch_execnz .LBB710_660
.LBB710_611:                            ;   in Loop: Header=BB710_602 Depth=2
	s_wait_alu 0xfffe
	s_or_b32 exec_lo, exec_lo, s10
	s_delay_alu instid0(SALU_CYCLE_1)
	s_mov_b32 s10, exec_lo
	v_cmpx_gt_u32_e64 s8, v84
	s_cbranch_execnz .LBB710_661
.LBB710_612:                            ;   in Loop: Header=BB710_602 Depth=2
	s_wait_alu 0xfffe
	s_or_b32 exec_lo, exec_lo, s10
	s_delay_alu instid0(SALU_CYCLE_1)
	s_mov_b32 s10, exec_lo
	v_cmpx_gt_u32_e64 s8, v85
	s_cbranch_execnz .LBB710_662
.LBB710_613:                            ;   in Loop: Header=BB710_602 Depth=2
	s_wait_alu 0xfffe
	s_or_b32 exec_lo, exec_lo, s10
	s_delay_alu instid0(SALU_CYCLE_1)
	s_mov_b32 s10, exec_lo
	v_cmpx_gt_u32_e64 s8, v86
	s_cbranch_execnz .LBB710_663
.LBB710_614:                            ;   in Loop: Header=BB710_602 Depth=2
	s_wait_alu 0xfffe
	s_or_b32 exec_lo, exec_lo, s10
	s_delay_alu instid0(SALU_CYCLE_1)
	s_mov_b32 s10, exec_lo
	v_cmpx_gt_u32_e64 s8, v87
	s_cbranch_execnz .LBB710_664
.LBB710_615:                            ;   in Loop: Header=BB710_602 Depth=2
	s_wait_alu 0xfffe
	s_or_b32 exec_lo, exec_lo, s10
	s_delay_alu instid0(SALU_CYCLE_1)
	s_mov_b32 s10, exec_lo
	v_cmpx_gt_u32_e64 s8, v88
	s_cbranch_execnz .LBB710_665
.LBB710_616:                            ;   in Loop: Header=BB710_602 Depth=2
	s_wait_alu 0xfffe
	s_or_b32 exec_lo, exec_lo, s10
	s_delay_alu instid0(SALU_CYCLE_1)
	s_mov_b32 s10, exec_lo
	v_cmpx_gt_u32_e64 s8, v89
	s_cbranch_execnz .LBB710_666
.LBB710_617:                            ;   in Loop: Header=BB710_602 Depth=2
	s_wait_alu 0xfffe
	s_or_b32 exec_lo, exec_lo, s10
	s_delay_alu instid0(SALU_CYCLE_1)
	s_mov_b32 s10, exec_lo
	v_cmpx_gt_u32_e64 s8, v90
	s_cbranch_execnz .LBB710_667
.LBB710_618:                            ;   in Loop: Header=BB710_602 Depth=2
	s_wait_alu 0xfffe
	s_or_b32 exec_lo, exec_lo, s10
	s_delay_alu instid0(SALU_CYCLE_1)
	s_mov_b32 s10, exec_lo
	v_cmpx_gt_u32_e64 s8, v91
	s_cbranch_execnz .LBB710_668
.LBB710_619:                            ;   in Loop: Header=BB710_602 Depth=2
	s_wait_alu 0xfffe
	s_or_b32 exec_lo, exec_lo, s10
	s_delay_alu instid0(SALU_CYCLE_1)
	s_mov_b32 s10, exec_lo
	v_cmpx_gt_u32_e64 s8, v92
	s_cbranch_execnz .LBB710_669
.LBB710_620:                            ;   in Loop: Header=BB710_602 Depth=2
	s_wait_alu 0xfffe
	s_or_b32 exec_lo, exec_lo, s10
	s_delay_alu instid0(SALU_CYCLE_1)
	s_mov_b32 s10, exec_lo
	v_cmpx_gt_u32_e64 s8, v93
	s_cbranch_execz .LBB710_622
.LBB710_621:                            ;   in Loop: Header=BB710_602 Depth=2
	global_load_b64 v[4:5], v122, s[0:1] offset:30720
.LBB710_622:                            ;   in Loop: Header=BB710_602 Depth=2
	s_wait_alu 0xfffe
	s_or_b32 exec_lo, exec_lo, s10
	s_wait_loadcnt 0x0
	v_dual_mov_b32 v37, v35 :: v_dual_mov_b32 v36, v34
	v_dual_mov_b32 v39, v33 :: v_dual_mov_b32 v38, v32
	;; [unrolled: 1-line block ×16, first 2 shown]
	s_mov_b32 s0, s8
.LBB710_623:                            ;   in Loop: Header=BB710_602 Depth=2
	s_wait_loadcnt 0x0
	s_delay_alu instid0(VALU_DEP_1)
	v_dual_mov_b32 v4, v66 :: v_dual_mov_b32 v5, v67
	v_dual_mov_b32 v6, v64 :: v_dual_mov_b32 v7, v65
	;; [unrolled: 1-line block ×16, first 2 shown]
	s_mov_b32 s1, exec_lo
	s_wait_alu 0xfffe
	v_cmpx_gt_u32_e64 s0, v1
	s_cbranch_execnz .LBB710_639
; %bb.624:                              ;   in Loop: Header=BB710_602 Depth=2
	s_or_b32 exec_lo, exec_lo, s1
	s_delay_alu instid0(SALU_CYCLE_1)
	s_mov_b32 s1, exec_lo
	v_cmpx_gt_u32_e64 s0, v77
	s_cbranch_execnz .LBB710_640
.LBB710_625:                            ;   in Loop: Header=BB710_602 Depth=2
	s_wait_alu 0xfffe
	s_or_b32 exec_lo, exec_lo, s1
	s_delay_alu instid0(SALU_CYCLE_1)
	s_mov_b32 s1, exec_lo
	v_cmpx_gt_u32_e64 s0, v78
	s_cbranch_execnz .LBB710_641
.LBB710_626:                            ;   in Loop: Header=BB710_602 Depth=2
	s_wait_alu 0xfffe
	s_or_b32 exec_lo, exec_lo, s1
	s_delay_alu instid0(SALU_CYCLE_1)
	s_mov_b32 s1, exec_lo
	v_cmpx_gt_u32_e64 s0, v79
	s_cbranch_execnz .LBB710_642
.LBB710_627:                            ;   in Loop: Header=BB710_602 Depth=2
	s_wait_alu 0xfffe
	s_or_b32 exec_lo, exec_lo, s1
	s_delay_alu instid0(SALU_CYCLE_1)
	s_mov_b32 s1, exec_lo
	v_cmpx_gt_u32_e64 s0, v82
	s_cbranch_execnz .LBB710_643
.LBB710_628:                            ;   in Loop: Header=BB710_602 Depth=2
	s_wait_alu 0xfffe
	s_or_b32 exec_lo, exec_lo, s1
	s_delay_alu instid0(SALU_CYCLE_1)
	s_mov_b32 s1, exec_lo
	v_cmpx_gt_u32_e64 s0, v83
	s_cbranch_execnz .LBB710_644
.LBB710_629:                            ;   in Loop: Header=BB710_602 Depth=2
	s_wait_alu 0xfffe
	s_or_b32 exec_lo, exec_lo, s1
	s_delay_alu instid0(SALU_CYCLE_1)
	s_mov_b32 s1, exec_lo
	v_cmpx_gt_u32_e64 s0, v84
	s_cbranch_execnz .LBB710_645
.LBB710_630:                            ;   in Loop: Header=BB710_602 Depth=2
	s_wait_alu 0xfffe
	s_or_b32 exec_lo, exec_lo, s1
	s_delay_alu instid0(SALU_CYCLE_1)
	s_mov_b32 s1, exec_lo
	v_cmpx_gt_u32_e64 s0, v85
	s_cbranch_execnz .LBB710_646
.LBB710_631:                            ;   in Loop: Header=BB710_602 Depth=2
	s_wait_alu 0xfffe
	s_or_b32 exec_lo, exec_lo, s1
	s_delay_alu instid0(SALU_CYCLE_1)
	s_mov_b32 s1, exec_lo
	v_cmpx_gt_u32_e64 s0, v86
	s_cbranch_execnz .LBB710_647
.LBB710_632:                            ;   in Loop: Header=BB710_602 Depth=2
	s_wait_alu 0xfffe
	s_or_b32 exec_lo, exec_lo, s1
	s_delay_alu instid0(SALU_CYCLE_1)
	s_mov_b32 s1, exec_lo
	v_cmpx_gt_u32_e64 s0, v87
	s_cbranch_execnz .LBB710_648
.LBB710_633:                            ;   in Loop: Header=BB710_602 Depth=2
	s_wait_alu 0xfffe
	s_or_b32 exec_lo, exec_lo, s1
	s_delay_alu instid0(SALU_CYCLE_1)
	s_mov_b32 s1, exec_lo
	v_cmpx_gt_u32_e64 s0, v88
	s_cbranch_execnz .LBB710_649
.LBB710_634:                            ;   in Loop: Header=BB710_602 Depth=2
	s_wait_alu 0xfffe
	s_or_b32 exec_lo, exec_lo, s1
	s_delay_alu instid0(SALU_CYCLE_1)
	s_mov_b32 s1, exec_lo
	v_cmpx_gt_u32_e64 s0, v89
	s_cbranch_execnz .LBB710_650
.LBB710_635:                            ;   in Loop: Header=BB710_602 Depth=2
	s_wait_alu 0xfffe
	s_or_b32 exec_lo, exec_lo, s1
	s_delay_alu instid0(SALU_CYCLE_1)
	s_mov_b32 s1, exec_lo
	v_cmpx_gt_u32_e64 s0, v90
	s_cbranch_execnz .LBB710_651
.LBB710_636:                            ;   in Loop: Header=BB710_602 Depth=2
	s_wait_alu 0xfffe
	s_or_b32 exec_lo, exec_lo, s1
	s_delay_alu instid0(SALU_CYCLE_1)
	s_mov_b32 s1, exec_lo
	v_cmpx_gt_u32_e64 s0, v91
	s_cbranch_execnz .LBB710_652
.LBB710_637:                            ;   in Loop: Header=BB710_602 Depth=2
	s_wait_alu 0xfffe
	s_or_b32 exec_lo, exec_lo, s1
	s_delay_alu instid0(SALU_CYCLE_1)
	s_mov_b32 s1, exec_lo
	v_cmpx_gt_u32_e64 s0, v92
	s_cbranch_execnz .LBB710_653
.LBB710_638:                            ;   in Loop: Header=BB710_602 Depth=2
	s_wait_alu 0xfffe
	s_or_b32 exec_lo, exec_lo, s1
	v_cmp_gt_u32_e32 vcc_lo, s0, v93
	s_and_saveexec_b32 s0, vcc_lo
	s_cbranch_execz .LBB710_601
	s_branch .LBB710_654
.LBB710_639:                            ;   in Loop: Header=BB710_602 Depth=2
	v_xor_b32_e32 v37, 0x7fffffff, v35
	v_not_b32_e32 v36, v34
	s_delay_alu instid0(VALU_DEP_1) | instskip(NEXT) | instid1(VALU_DEP_1)
	v_lshrrev_b64 v[36:37], s31, v[36:37]
	v_and_b32_e32 v36, s54, v36
	s_delay_alu instid0(VALU_DEP_1) | instskip(SKIP_2) | instid1(SALU_CYCLE_1)
	v_lshl_or_b32 v36, v36, 4, v94
	ds_add_u32 v36, v121
	s_or_b32 exec_lo, exec_lo, s1
	s_mov_b32 s1, exec_lo
	v_cmpx_gt_u32_e64 s0, v77
	s_cbranch_execz .LBB710_625
.LBB710_640:                            ;   in Loop: Header=BB710_602 Depth=2
	v_xor_b32_e32 v37, 0x7fffffff, v33
	v_not_b32_e32 v36, v32
	s_delay_alu instid0(VALU_DEP_1) | instskip(NEXT) | instid1(VALU_DEP_1)
	v_lshrrev_b64 v[36:37], s31, v[36:37]
	v_and_b32_e32 v36, s54, v36
	s_delay_alu instid0(VALU_DEP_1) | instskip(SKIP_3) | instid1(SALU_CYCLE_1)
	v_lshl_or_b32 v36, v36, 4, v94
	ds_add_u32 v36, v121
	s_wait_alu 0xfffe
	s_or_b32 exec_lo, exec_lo, s1
	s_mov_b32 s1, exec_lo
	v_cmpx_gt_u32_e64 s0, v78
	s_cbranch_execz .LBB710_626
.LBB710_641:                            ;   in Loop: Header=BB710_602 Depth=2
	v_xor_b32_e32 v37, 0x7fffffff, v31
	v_not_b32_e32 v36, v30
	s_delay_alu instid0(VALU_DEP_1) | instskip(NEXT) | instid1(VALU_DEP_1)
	v_lshrrev_b64 v[36:37], s31, v[36:37]
	v_and_b32_e32 v36, s54, v36
	s_delay_alu instid0(VALU_DEP_1) | instskip(SKIP_3) | instid1(SALU_CYCLE_1)
	v_lshl_or_b32 v36, v36, 4, v94
	ds_add_u32 v36, v121
	s_wait_alu 0xfffe
	s_or_b32 exec_lo, exec_lo, s1
	s_mov_b32 s1, exec_lo
	v_cmpx_gt_u32_e64 s0, v79
	s_cbranch_execz .LBB710_627
.LBB710_642:                            ;   in Loop: Header=BB710_602 Depth=2
	v_xor_b32_e32 v37, 0x7fffffff, v29
	v_not_b32_e32 v36, v28
	s_delay_alu instid0(VALU_DEP_1) | instskip(NEXT) | instid1(VALU_DEP_1)
	v_lshrrev_b64 v[36:37], s31, v[36:37]
	v_and_b32_e32 v36, s54, v36
	s_delay_alu instid0(VALU_DEP_1) | instskip(SKIP_3) | instid1(SALU_CYCLE_1)
	v_lshl_or_b32 v36, v36, 4, v94
	ds_add_u32 v36, v121
	s_wait_alu 0xfffe
	s_or_b32 exec_lo, exec_lo, s1
	s_mov_b32 s1, exec_lo
	v_cmpx_gt_u32_e64 s0, v82
	s_cbranch_execz .LBB710_628
.LBB710_643:                            ;   in Loop: Header=BB710_602 Depth=2
	v_xor_b32_e32 v37, 0x7fffffff, v27
	v_not_b32_e32 v36, v26
	s_delay_alu instid0(VALU_DEP_1) | instskip(NEXT) | instid1(VALU_DEP_1)
	v_lshrrev_b64 v[36:37], s31, v[36:37]
	v_and_b32_e32 v36, s54, v36
	s_delay_alu instid0(VALU_DEP_1) | instskip(SKIP_3) | instid1(SALU_CYCLE_1)
	v_lshl_or_b32 v36, v36, 4, v94
	ds_add_u32 v36, v121
	s_wait_alu 0xfffe
	s_or_b32 exec_lo, exec_lo, s1
	s_mov_b32 s1, exec_lo
	v_cmpx_gt_u32_e64 s0, v83
	s_cbranch_execz .LBB710_629
.LBB710_644:                            ;   in Loop: Header=BB710_602 Depth=2
	v_xor_b32_e32 v37, 0x7fffffff, v25
	v_not_b32_e32 v36, v24
	s_delay_alu instid0(VALU_DEP_1) | instskip(NEXT) | instid1(VALU_DEP_1)
	v_lshrrev_b64 v[36:37], s31, v[36:37]
	v_and_b32_e32 v36, s54, v36
	s_delay_alu instid0(VALU_DEP_1) | instskip(SKIP_3) | instid1(SALU_CYCLE_1)
	v_lshl_or_b32 v36, v36, 4, v94
	ds_add_u32 v36, v121
	s_wait_alu 0xfffe
	s_or_b32 exec_lo, exec_lo, s1
	s_mov_b32 s1, exec_lo
	v_cmpx_gt_u32_e64 s0, v84
	s_cbranch_execz .LBB710_630
.LBB710_645:                            ;   in Loop: Header=BB710_602 Depth=2
	v_xor_b32_e32 v37, 0x7fffffff, v23
	v_not_b32_e32 v36, v22
	s_delay_alu instid0(VALU_DEP_1) | instskip(NEXT) | instid1(VALU_DEP_1)
	v_lshrrev_b64 v[36:37], s31, v[36:37]
	v_and_b32_e32 v36, s54, v36
	s_delay_alu instid0(VALU_DEP_1) | instskip(SKIP_3) | instid1(SALU_CYCLE_1)
	v_lshl_or_b32 v36, v36, 4, v94
	ds_add_u32 v36, v121
	s_wait_alu 0xfffe
	s_or_b32 exec_lo, exec_lo, s1
	s_mov_b32 s1, exec_lo
	v_cmpx_gt_u32_e64 s0, v85
	s_cbranch_execz .LBB710_631
.LBB710_646:                            ;   in Loop: Header=BB710_602 Depth=2
	v_xor_b32_e32 v37, 0x7fffffff, v21
	v_not_b32_e32 v36, v20
	s_delay_alu instid0(VALU_DEP_1) | instskip(NEXT) | instid1(VALU_DEP_1)
	v_lshrrev_b64 v[36:37], s31, v[36:37]
	v_and_b32_e32 v36, s54, v36
	s_delay_alu instid0(VALU_DEP_1) | instskip(SKIP_3) | instid1(SALU_CYCLE_1)
	v_lshl_or_b32 v36, v36, 4, v94
	ds_add_u32 v36, v121
	s_wait_alu 0xfffe
	s_or_b32 exec_lo, exec_lo, s1
	s_mov_b32 s1, exec_lo
	v_cmpx_gt_u32_e64 s0, v86
	s_cbranch_execz .LBB710_632
.LBB710_647:                            ;   in Loop: Header=BB710_602 Depth=2
	v_xor_b32_e32 v37, 0x7fffffff, v19
	v_not_b32_e32 v36, v18
	s_delay_alu instid0(VALU_DEP_1) | instskip(NEXT) | instid1(VALU_DEP_1)
	v_lshrrev_b64 v[36:37], s31, v[36:37]
	v_and_b32_e32 v36, s54, v36
	s_delay_alu instid0(VALU_DEP_1) | instskip(SKIP_3) | instid1(SALU_CYCLE_1)
	v_lshl_or_b32 v36, v36, 4, v94
	ds_add_u32 v36, v121
	s_wait_alu 0xfffe
	s_or_b32 exec_lo, exec_lo, s1
	s_mov_b32 s1, exec_lo
	v_cmpx_gt_u32_e64 s0, v87
	s_cbranch_execz .LBB710_633
.LBB710_648:                            ;   in Loop: Header=BB710_602 Depth=2
	v_xor_b32_e32 v37, 0x7fffffff, v17
	v_not_b32_e32 v36, v16
	s_delay_alu instid0(VALU_DEP_1) | instskip(NEXT) | instid1(VALU_DEP_1)
	v_lshrrev_b64 v[36:37], s31, v[36:37]
	v_and_b32_e32 v36, s54, v36
	s_delay_alu instid0(VALU_DEP_1) | instskip(SKIP_3) | instid1(SALU_CYCLE_1)
	v_lshl_or_b32 v36, v36, 4, v94
	ds_add_u32 v36, v121
	s_wait_alu 0xfffe
	s_or_b32 exec_lo, exec_lo, s1
	s_mov_b32 s1, exec_lo
	v_cmpx_gt_u32_e64 s0, v88
	s_cbranch_execz .LBB710_634
.LBB710_649:                            ;   in Loop: Header=BB710_602 Depth=2
	v_xor_b32_e32 v37, 0x7fffffff, v15
	v_not_b32_e32 v36, v14
	s_delay_alu instid0(VALU_DEP_1) | instskip(NEXT) | instid1(VALU_DEP_1)
	v_lshrrev_b64 v[36:37], s31, v[36:37]
	v_and_b32_e32 v36, s54, v36
	s_delay_alu instid0(VALU_DEP_1) | instskip(SKIP_3) | instid1(SALU_CYCLE_1)
	v_lshl_or_b32 v36, v36, 4, v94
	ds_add_u32 v36, v121
	s_wait_alu 0xfffe
	s_or_b32 exec_lo, exec_lo, s1
	s_mov_b32 s1, exec_lo
	v_cmpx_gt_u32_e64 s0, v89
	s_cbranch_execz .LBB710_635
.LBB710_650:                            ;   in Loop: Header=BB710_602 Depth=2
	v_xor_b32_e32 v37, 0x7fffffff, v13
	v_not_b32_e32 v36, v12
	s_delay_alu instid0(VALU_DEP_1) | instskip(NEXT) | instid1(VALU_DEP_1)
	v_lshrrev_b64 v[36:37], s31, v[36:37]
	v_and_b32_e32 v36, s54, v36
	s_delay_alu instid0(VALU_DEP_1) | instskip(SKIP_3) | instid1(SALU_CYCLE_1)
	v_lshl_or_b32 v36, v36, 4, v94
	ds_add_u32 v36, v121
	s_wait_alu 0xfffe
	s_or_b32 exec_lo, exec_lo, s1
	s_mov_b32 s1, exec_lo
	v_cmpx_gt_u32_e64 s0, v90
	s_cbranch_execz .LBB710_636
.LBB710_651:                            ;   in Loop: Header=BB710_602 Depth=2
	v_xor_b32_e32 v37, 0x7fffffff, v11
	v_not_b32_e32 v36, v10
	s_delay_alu instid0(VALU_DEP_1) | instskip(NEXT) | instid1(VALU_DEP_1)
	v_lshrrev_b64 v[36:37], s31, v[36:37]
	v_and_b32_e32 v36, s54, v36
	s_delay_alu instid0(VALU_DEP_1) | instskip(SKIP_3) | instid1(SALU_CYCLE_1)
	v_lshl_or_b32 v36, v36, 4, v94
	ds_add_u32 v36, v121
	s_wait_alu 0xfffe
	s_or_b32 exec_lo, exec_lo, s1
	s_mov_b32 s1, exec_lo
	v_cmpx_gt_u32_e64 s0, v91
	s_cbranch_execz .LBB710_637
.LBB710_652:                            ;   in Loop: Header=BB710_602 Depth=2
	v_xor_b32_e32 v37, 0x7fffffff, v9
	v_not_b32_e32 v36, v8
	s_delay_alu instid0(VALU_DEP_1) | instskip(NEXT) | instid1(VALU_DEP_1)
	v_lshrrev_b64 v[36:37], s31, v[36:37]
	v_and_b32_e32 v36, s54, v36
	s_delay_alu instid0(VALU_DEP_1) | instskip(SKIP_3) | instid1(SALU_CYCLE_1)
	v_lshl_or_b32 v36, v36, 4, v94
	ds_add_u32 v36, v121
	s_wait_alu 0xfffe
	s_or_b32 exec_lo, exec_lo, s1
	s_mov_b32 s1, exec_lo
	v_cmpx_gt_u32_e64 s0, v92
	s_cbranch_execz .LBB710_638
.LBB710_653:                            ;   in Loop: Header=BB710_602 Depth=2
	v_xor_b32_e32 v37, 0x7fffffff, v7
	v_not_b32_e32 v36, v6
	s_delay_alu instid0(VALU_DEP_1) | instskip(NEXT) | instid1(VALU_DEP_1)
	v_lshrrev_b64 v[36:37], s31, v[36:37]
	v_and_b32_e32 v36, s54, v36
	s_delay_alu instid0(VALU_DEP_1)
	v_lshl_or_b32 v36, v36, 4, v94
	ds_add_u32 v36, v121
	s_wait_alu 0xfffe
	s_or_b32 exec_lo, exec_lo, s1
	v_cmp_gt_u32_e32 vcc_lo, s0, v93
	s_and_saveexec_b32 s0, vcc_lo
	s_cbranch_execz .LBB710_601
.LBB710_654:                            ;   in Loop: Header=BB710_602 Depth=2
	v_xor_b32_e32 v37, 0x7fffffff, v5
	v_not_b32_e32 v36, v4
	s_delay_alu instid0(VALU_DEP_1) | instskip(NEXT) | instid1(VALU_DEP_1)
	v_lshrrev_b64 v[36:37], s31, v[36:37]
	v_and_b32_e32 v36, s54, v36
	s_delay_alu instid0(VALU_DEP_1)
	v_lshl_or_b32 v36, v36, 4, v94
	ds_add_u32 v36, v121
	s_branch .LBB710_601
.LBB710_655:                            ;   in Loop: Header=BB710_602 Depth=2
	global_load_b64 v[34:35], v122, s[0:1]
	s_or_b32 exec_lo, exec_lo, s10
	s_delay_alu instid0(SALU_CYCLE_1)
	s_mov_b32 s10, exec_lo
	v_cmpx_gt_u32_e64 s8, v77
	s_cbranch_execz .LBB710_607
.LBB710_656:                            ;   in Loop: Header=BB710_602 Depth=2
	global_load_b64 v[32:33], v122, s[0:1] offset:2048
	s_wait_alu 0xfffe
	s_or_b32 exec_lo, exec_lo, s10
	s_delay_alu instid0(SALU_CYCLE_1)
	s_mov_b32 s10, exec_lo
	v_cmpx_gt_u32_e64 s8, v78
	s_cbranch_execz .LBB710_608
.LBB710_657:                            ;   in Loop: Header=BB710_602 Depth=2
	global_load_b64 v[30:31], v122, s[0:1] offset:4096
	s_wait_alu 0xfffe
	s_or_b32 exec_lo, exec_lo, s10
	s_delay_alu instid0(SALU_CYCLE_1)
	s_mov_b32 s10, exec_lo
	v_cmpx_gt_u32_e64 s8, v79
	s_cbranch_execz .LBB710_609
.LBB710_658:                            ;   in Loop: Header=BB710_602 Depth=2
	global_load_b64 v[28:29], v122, s[0:1] offset:6144
	s_wait_alu 0xfffe
	s_or_b32 exec_lo, exec_lo, s10
	s_delay_alu instid0(SALU_CYCLE_1)
	s_mov_b32 s10, exec_lo
	v_cmpx_gt_u32_e64 s8, v82
	s_cbranch_execz .LBB710_610
.LBB710_659:                            ;   in Loop: Header=BB710_602 Depth=2
	global_load_b64 v[26:27], v122, s[0:1] offset:8192
	s_wait_alu 0xfffe
	s_or_b32 exec_lo, exec_lo, s10
	s_delay_alu instid0(SALU_CYCLE_1)
	s_mov_b32 s10, exec_lo
	v_cmpx_gt_u32_e64 s8, v83
	s_cbranch_execz .LBB710_611
.LBB710_660:                            ;   in Loop: Header=BB710_602 Depth=2
	global_load_b64 v[24:25], v122, s[0:1] offset:10240
	s_wait_alu 0xfffe
	s_or_b32 exec_lo, exec_lo, s10
	s_delay_alu instid0(SALU_CYCLE_1)
	s_mov_b32 s10, exec_lo
	v_cmpx_gt_u32_e64 s8, v84
	s_cbranch_execz .LBB710_612
.LBB710_661:                            ;   in Loop: Header=BB710_602 Depth=2
	global_load_b64 v[22:23], v122, s[0:1] offset:12288
	s_wait_alu 0xfffe
	s_or_b32 exec_lo, exec_lo, s10
	s_delay_alu instid0(SALU_CYCLE_1)
	s_mov_b32 s10, exec_lo
	v_cmpx_gt_u32_e64 s8, v85
	s_cbranch_execz .LBB710_613
.LBB710_662:                            ;   in Loop: Header=BB710_602 Depth=2
	global_load_b64 v[20:21], v122, s[0:1] offset:14336
	s_wait_alu 0xfffe
	s_or_b32 exec_lo, exec_lo, s10
	s_delay_alu instid0(SALU_CYCLE_1)
	s_mov_b32 s10, exec_lo
	v_cmpx_gt_u32_e64 s8, v86
	s_cbranch_execz .LBB710_614
.LBB710_663:                            ;   in Loop: Header=BB710_602 Depth=2
	global_load_b64 v[18:19], v122, s[0:1] offset:16384
	s_wait_alu 0xfffe
	s_or_b32 exec_lo, exec_lo, s10
	s_delay_alu instid0(SALU_CYCLE_1)
	s_mov_b32 s10, exec_lo
	v_cmpx_gt_u32_e64 s8, v87
	s_cbranch_execz .LBB710_615
.LBB710_664:                            ;   in Loop: Header=BB710_602 Depth=2
	global_load_b64 v[16:17], v122, s[0:1] offset:18432
	s_wait_alu 0xfffe
	s_or_b32 exec_lo, exec_lo, s10
	s_delay_alu instid0(SALU_CYCLE_1)
	s_mov_b32 s10, exec_lo
	v_cmpx_gt_u32_e64 s8, v88
	s_cbranch_execz .LBB710_616
.LBB710_665:                            ;   in Loop: Header=BB710_602 Depth=2
	global_load_b64 v[14:15], v122, s[0:1] offset:20480
	s_wait_alu 0xfffe
	s_or_b32 exec_lo, exec_lo, s10
	s_delay_alu instid0(SALU_CYCLE_1)
	s_mov_b32 s10, exec_lo
	v_cmpx_gt_u32_e64 s8, v89
	s_cbranch_execz .LBB710_617
.LBB710_666:                            ;   in Loop: Header=BB710_602 Depth=2
	global_load_b64 v[12:13], v122, s[0:1] offset:22528
	s_wait_alu 0xfffe
	s_or_b32 exec_lo, exec_lo, s10
	s_delay_alu instid0(SALU_CYCLE_1)
	s_mov_b32 s10, exec_lo
	v_cmpx_gt_u32_e64 s8, v90
	s_cbranch_execz .LBB710_618
.LBB710_667:                            ;   in Loop: Header=BB710_602 Depth=2
	global_load_b64 v[10:11], v122, s[0:1] offset:24576
	s_wait_alu 0xfffe
	s_or_b32 exec_lo, exec_lo, s10
	s_delay_alu instid0(SALU_CYCLE_1)
	s_mov_b32 s10, exec_lo
	v_cmpx_gt_u32_e64 s8, v91
	s_cbranch_execz .LBB710_619
.LBB710_668:                            ;   in Loop: Header=BB710_602 Depth=2
	global_load_b64 v[8:9], v122, s[0:1] offset:26624
	s_wait_alu 0xfffe
	s_or_b32 exec_lo, exec_lo, s10
	s_delay_alu instid0(SALU_CYCLE_1)
	s_mov_b32 s10, exec_lo
	v_cmpx_gt_u32_e64 s8, v92
	s_cbranch_execz .LBB710_620
.LBB710_669:                            ;   in Loop: Header=BB710_602 Depth=2
	global_load_b64 v[6:7], v122, s[0:1] offset:28672
	s_wait_alu 0xfffe
	s_or_b32 exec_lo, exec_lo, s10
	s_delay_alu instid0(SALU_CYCLE_1)
	s_mov_b32 s10, exec_lo
	v_cmpx_gt_u32_e64 s8, v93
	s_cbranch_execnz .LBB710_621
	s_branch .LBB710_622
.LBB710_670:                            ;   in Loop: Header=BB710_12 Depth=1
	v_mov_b32_e32 v4, 0
	s_wait_dscnt 0x0
	s_barrier_signal -1
	s_barrier_wait -1
	global_inv scope:SCOPE_SE
	s_and_saveexec_b32 s0, s2
	s_cbranch_execz .LBB710_672
; %bb.671:                              ;   in Loop: Header=BB710_12 Depth=1
	ds_load_2addr_b64 v[4:7], v96 offset1:1
	s_wait_dscnt 0x0
	v_add_nc_u32_e32 v4, v5, v4
	s_delay_alu instid0(VALU_DEP_1)
	v_add3_u32 v4, v4, v6, v7
.LBB710_672:                            ;   in Loop: Header=BB710_12 Depth=1
	s_wait_alu 0xfffe
	s_or_b32 exec_lo, exec_lo, s0
	v_and_b32_e32 v5, 15, v123
	s_delay_alu instid0(VALU_DEP_2) | instskip(SKIP_1) | instid1(VALU_DEP_3)
	v_mov_b32_dpp v6, v4 row_shr:1 row_mask:0xf bank_mask:0xf
	v_and_b32_e32 v7, 16, v123
	v_cmp_eq_u32_e64 s0, 0, v5
	v_cmp_lt_u32_e64 s1, 1, v5
	v_cmp_lt_u32_e64 s8, 3, v5
	;; [unrolled: 1-line block ×3, first 2 shown]
	v_cmp_eq_u32_e64 s10, 0, v7
	s_wait_alu 0xf1ff
	v_cndmask_b32_e64 v6, v6, 0, s0
	s_delay_alu instid0(VALU_DEP_1) | instskip(NEXT) | instid1(VALU_DEP_1)
	v_add_nc_u32_e32 v4, v6, v4
	v_mov_b32_dpp v6, v4 row_shr:2 row_mask:0xf bank_mask:0xf
	s_delay_alu instid0(VALU_DEP_1) | instskip(NEXT) | instid1(VALU_DEP_1)
	v_cndmask_b32_e64 v6, 0, v6, s1
	v_add_nc_u32_e32 v4, v4, v6
	s_delay_alu instid0(VALU_DEP_1) | instskip(NEXT) | instid1(VALU_DEP_1)
	v_mov_b32_dpp v6, v4 row_shr:4 row_mask:0xf bank_mask:0xf
	v_cndmask_b32_e64 v6, 0, v6, s8
	s_delay_alu instid0(VALU_DEP_1) | instskip(NEXT) | instid1(VALU_DEP_1)
	v_add_nc_u32_e32 v4, v4, v6
	v_mov_b32_dpp v6, v4 row_shr:8 row_mask:0xf bank_mask:0xf
	s_delay_alu instid0(VALU_DEP_1) | instskip(SKIP_1) | instid1(VALU_DEP_2)
	v_cndmask_b32_e64 v5, 0, v6, s9
	v_bfe_i32 v6, v123, 4, 1
	v_add_nc_u32_e32 v4, v4, v5
	ds_swizzle_b32 v5, v4 offset:swizzle(BROADCAST,32,15)
	s_wait_dscnt 0x0
	v_and_b32_e32 v5, v6, v5
	s_delay_alu instid0(VALU_DEP_1)
	v_add_nc_u32_e32 v5, v4, v5
	s_and_saveexec_b32 s11, s3
; %bb.673:                              ;   in Loop: Header=BB710_12 Depth=1
	ds_store_b32 v97, v5
; %bb.674:                              ;   in Loop: Header=BB710_12 Depth=1
	s_wait_alu 0xfffe
	s_or_b32 exec_lo, exec_lo, s11
	v_and_b32_e32 v4, 7, v123
	s_wait_loadcnt_dscnt 0x0
	s_barrier_signal -1
	s_barrier_wait -1
	global_inv scope:SCOPE_SE
	s_and_saveexec_b32 s11, s4
	s_cbranch_execz .LBB710_676
; %bb.675:                              ;   in Loop: Header=BB710_12 Depth=1
	ds_load_b32 v6, v98
	v_cmp_ne_u32_e32 vcc_lo, 0, v4
	s_wait_dscnt 0x0
	v_mov_b32_dpp v7, v6 row_shr:1 row_mask:0xf bank_mask:0xf
	s_wait_alu 0xfffd
	s_delay_alu instid0(VALU_DEP_1) | instskip(SKIP_1) | instid1(VALU_DEP_2)
	v_cndmask_b32_e32 v7, 0, v7, vcc_lo
	v_cmp_lt_u32_e32 vcc_lo, 1, v4
	v_add_nc_u32_e32 v6, v7, v6
	s_delay_alu instid0(VALU_DEP_1) | instskip(SKIP_1) | instid1(VALU_DEP_1)
	v_mov_b32_dpp v7, v6 row_shr:2 row_mask:0xf bank_mask:0xf
	s_wait_alu 0xfffd
	v_cndmask_b32_e32 v7, 0, v7, vcc_lo
	v_cmp_lt_u32_e32 vcc_lo, 3, v4
	s_delay_alu instid0(VALU_DEP_2) | instskip(NEXT) | instid1(VALU_DEP_1)
	v_add_nc_u32_e32 v6, v6, v7
	v_mov_b32_dpp v7, v6 row_shr:4 row_mask:0xf bank_mask:0xf
	s_wait_alu 0xfffd
	s_delay_alu instid0(VALU_DEP_1) | instskip(NEXT) | instid1(VALU_DEP_1)
	v_cndmask_b32_e32 v7, 0, v7, vcc_lo
	v_add_nc_u32_e32 v6, v6, v7
	ds_store_b32 v98, v6
.LBB710_676:                            ;   in Loop: Header=BB710_12 Depth=1
	s_wait_alu 0xfffe
	s_or_b32 exec_lo, exec_lo, s11
	v_mov_b32_e32 v6, 0
	s_wait_loadcnt_dscnt 0x0
	s_barrier_signal -1
	s_barrier_wait -1
	global_inv scope:SCOPE_SE
	s_and_saveexec_b32 s11, s5
; %bb.677:                              ;   in Loop: Header=BB710_12 Depth=1
	ds_load_b32 v6, v101
; %bb.678:                              ;   in Loop: Header=BB710_12 Depth=1
	s_wait_alu 0xfffe
	s_or_b32 exec_lo, exec_lo, s11
	v_sub_co_u32 v7, s11, v123, 1
	s_wait_dscnt 0x0
	v_add_nc_u32_e32 v5, v6, v5
	s_wait_loadcnt 0x0
	s_barrier_signal -1
	v_cmp_gt_i32_e32 vcc_lo, 0, v7
	s_barrier_wait -1
	global_inv scope:SCOPE_SE
	s_wait_alu 0xfffd
	v_cndmask_b32_e32 v7, v7, v123, vcc_lo
	s_delay_alu instid0(VALU_DEP_1)
	v_lshlrev_b32_e32 v124, 2, v7
	ds_bpermute_b32 v5, v124, v5
	s_and_saveexec_b32 s12, s2
	s_cbranch_execz .LBB710_680
; %bb.679:                              ;   in Loop: Header=BB710_12 Depth=1
	s_wait_dscnt 0x0
	v_cndmask_b32_e64 v5, v5, v6, s11
	s_delay_alu instid0(VALU_DEP_1)
	v_add_nc_u32_e32 v5, s33, v5
	ds_store_b32 v76, v5
.LBB710_680:                            ;   in Loop: Header=BB710_12 Depth=1
	s_wait_alu 0xfffe
	s_or_b32 exec_lo, exec_lo, s12
	s_load_b64 s[12:13], s[42:43], 0x0
	v_lshlrev_b32_e32 v6, 3, v123
	v_or_b32_e32 v125, v123, v99
	s_mov_b32 s55, s53
                                        ; implicit-def: $vgpr8_vgpr9
                                        ; implicit-def: $vgpr10_vgpr11
                                        ; implicit-def: $vgpr12_vgpr13
                                        ; implicit-def: $vgpr14_vgpr15
                                        ; implicit-def: $vgpr16_vgpr17
                                        ; implicit-def: $vgpr18_vgpr19
                                        ; implicit-def: $vgpr20_vgpr21
                                        ; implicit-def: $vgpr22_vgpr23
                                        ; implicit-def: $vgpr24_vgpr25
                                        ; implicit-def: $vgpr26_vgpr27
                                        ; implicit-def: $vgpr28_vgpr29
                                        ; implicit-def: $vgpr30_vgpr31
                                        ; implicit-def: $vgpr32_vgpr33
                                        ; implicit-def: $vgpr34_vgpr35
                                        ; implicit-def: $vgpr146
                                        ; implicit-def: $vgpr147
                                        ; implicit-def: $vgpr148
                                        ; implicit-def: $vgpr149
                                        ; implicit-def: $vgpr150
                                        ; implicit-def: $vgpr151
                                        ; implicit-def: $vgpr152
                                        ; implicit-def: $vgpr153
                                        ; implicit-def: $vgpr154
                                        ; implicit-def: $vgpr155
                                        ; implicit-def: $vgpr156
                                        ; implicit-def: $vgpr157
                                        ; implicit-def: $vgpr158
                                        ; implicit-def: $vgpr159
                                        ; implicit-def: $vgpr160
                                        ; implicit-def: $vgpr161
	s_delay_alu instid0(VALU_DEP_2)
	v_add_co_u32 v126, vcc_lo, v117, v6
	s_wait_alu 0xfffd
	v_add_co_ci_u32_e64 v127, null, 0, v118, vcc_lo
	v_add_co_u32 v143, vcc_lo, v119, v6
	v_or_b32_e32 v128, 32, v125
	v_or_b32_e32 v129, 64, v125
	;; [unrolled: 1-line block ×8, first 2 shown]
	s_wait_kmcnt 0x0
	s_cmp_lt_u32 ttmp7, s13
	v_or_b32_e32 v136, 0x120, v125
	s_cselect_b32 s34, 14, 20
	s_cmp_lt_u32 ttmp9, s12
	s_wait_alu 0xfffe
	s_add_nc_u64 s[14:15], s[42:43], s[34:35]
	s_cselect_b32 s34, 12, 18
	s_load_u16 s15, s[14:15], 0x0
	s_add_nc_u64 s[12:13], s[42:43], s[34:35]
	v_or_b32_e32 v137, 0x140, v125
	s_load_u16 s16, s[12:13], 0x0
	v_cmp_eq_u32_e64 s12, 0, v4
	v_cmp_lt_u32_e64 s13, 1, v4
	v_cmp_lt_u32_e64 s14, 3, v4
	v_or_b32_e32 v138, 0x160, v125
	v_or_b32_e32 v139, 0x180, v125
	;; [unrolled: 1-line block ×5, first 2 shown]
	v_add_co_ci_u32_e64 v144, null, 0, v120, vcc_lo
	s_mov_b32 s34, s33
                                        ; implicit-def: $vgpr6_vgpr7
	s_wait_kmcnt 0x0
	v_mad_u32_u24 v4, v102, s15, v0
	s_wait_dscnt 0x0
	s_delay_alu instid0(VALU_DEP_1) | instskip(NEXT) | instid1(VALU_DEP_1)
	v_mad_co_u64_u32 v[4:5], null, v4, s16, v[1:2]
	v_lshrrev_b32_e32 v4, 3, v4
	s_delay_alu instid0(VALU_DEP_1)
	v_and_b32_e32 v145, 0x1ffffffc, v4
                                        ; implicit-def: $vgpr4_vgpr5
	s_branch .LBB710_682
.LBB710_681:                            ;   in Loop: Header=BB710_682 Depth=2
	s_wait_alu 0xfffe
	s_or_b32 exec_lo, exec_lo, s15
	s_addk_co_i32 s55, 0xf000
	s_cmp_lt_u32 s56, s51
	s_mov_b32 s34, s56
	s_cbranch_scc0 .LBB710_890
.LBB710_682:                            ;   Parent Loop BB710_12 Depth=1
                                        ; =>  This Inner Loop Header: Depth=2
	s_wait_alu 0xfffe
	s_add_co_i32 s56, s34, 0x1000
	s_wait_alu 0xfffe
	s_cmp_gt_u32 s56, s51
	s_cbranch_scc1 .LBB710_684
; %bb.683:                              ;   in Loop: Header=BB710_682 Depth=2
	s_lshl_b64 s[16:17], s[34:35], 3
	s_mov_b32 s15, -1
	s_wait_alu 0xfffe
	v_add_co_u32 v36, vcc_lo, v143, s16
	s_wait_alu 0xfffd
	v_add_co_ci_u32_e64 v37, null, s17, v144, vcc_lo
	s_clause 0xe
	global_load_b64 v[38:39], v[36:37], off
	global_load_b64 v[40:41], v[36:37], off offset:256
	global_load_b64 v[42:43], v[36:37], off offset:512
	;; [unrolled: 1-line block ×14, first 2 shown]
	s_movk_i32 s16, 0x1000
	s_cbranch_execz .LBB710_685
	s_branch .LBB710_716
.LBB710_684:                            ;   in Loop: Header=BB710_682 Depth=2
	s_mov_b32 s15, 0
                                        ; implicit-def: $vgpr38_vgpr39
                                        ; implicit-def: $vgpr40_vgpr41
                                        ; implicit-def: $vgpr42_vgpr43
                                        ; implicit-def: $vgpr46_vgpr47
                                        ; implicit-def: $vgpr52_vgpr53
                                        ; implicit-def: $vgpr56_vgpr57
                                        ; implicit-def: $vgpr60_vgpr61
                                        ; implicit-def: $vgpr64_vgpr65
                                        ; implicit-def: $vgpr66_vgpr67
                                        ; implicit-def: $vgpr62_vgpr63
                                        ; implicit-def: $vgpr58_vgpr59
                                        ; implicit-def: $vgpr54_vgpr55
                                        ; implicit-def: $vgpr50_vgpr51
                                        ; implicit-def: $vgpr48_vgpr49
                                        ; implicit-def: $vgpr44_vgpr45
	s_movk_i32 s16, 0x1000
.LBB710_685:                            ;   in Loop: Header=BB710_682 Depth=2
	s_wait_loadcnt 0xd
	v_dual_mov_b32 v40, v2 :: v_dual_mov_b32 v41, v3
	s_lshl_b64 s[16:17], s[34:35], 3
	s_mov_b32 s15, exec_lo
	s_wait_alu 0xfffe
	v_add_co_u32 v36, vcc_lo, v143, s16
	s_wait_alu 0xfffd
	v_add_co_ci_u32_e64 v37, null, s17, v144, vcc_lo
	v_dual_mov_b32 v38, v40 :: v_dual_mov_b32 v39, v41
	v_cmpx_gt_u32_e64 s55, v125
	s_cbranch_execz .LBB710_687
; %bb.686:                              ;   in Loop: Header=BB710_682 Depth=2
	global_load_b64 v[38:39], v[36:37], off
.LBB710_687:                            ;   in Loop: Header=BB710_682 Depth=2
	s_or_b32 exec_lo, exec_lo, s15
	s_delay_alu instid0(SALU_CYCLE_1)
	s_mov_b32 s15, exec_lo
	v_cmpx_gt_u32_e64 s55, v128
	s_cbranch_execz .LBB710_689
; %bb.688:                              ;   in Loop: Header=BB710_682 Depth=2
	global_load_b64 v[40:41], v[36:37], off offset:256
.LBB710_689:                            ;   in Loop: Header=BB710_682 Depth=2
	s_wait_alu 0xfffe
	s_or_b32 exec_lo, exec_lo, s15
	s_wait_loadcnt 0xc
	v_dual_mov_b32 v43, v3 :: v_dual_mov_b32 v42, v2
	s_mov_b32 s15, exec_lo
	v_cmpx_gt_u32_e64 s55, v129
	s_cbranch_execz .LBB710_691
; %bb.690:                              ;   in Loop: Header=BB710_682 Depth=2
	global_load_b64 v[42:43], v[36:37], off offset:512
.LBB710_691:                            ;   in Loop: Header=BB710_682 Depth=2
	s_wait_alu 0xfffe
	s_or_b32 exec_lo, exec_lo, s15
	s_wait_loadcnt 0xb
	v_dual_mov_b32 v47, v3 :: v_dual_mov_b32 v46, v2
	;; [unrolled: 10-line block ×13, first 2 shown]
	s_mov_b32 s15, exec_lo
	v_cmpx_gt_u32_e64 s55, v141
	s_cbranch_execz .LBB710_715
; %bb.714:                              ;   in Loop: Header=BB710_682 Depth=2
	global_load_b64 v[44:45], v[36:37], off offset:3584
.LBB710_715:                            ;   in Loop: Header=BB710_682 Depth=2
	s_wait_alu 0xfffe
	s_or_b32 exec_lo, exec_lo, s15
	v_cmp_gt_u32_e64 s15, s55, v142
	s_sub_co_i32 s16, s51, s34
.LBB710_716:                            ;   in Loop: Header=BB710_682 Depth=2
	v_mov_b32_e32 v36, -1
	v_dual_mov_b32 v37, -1 :: v_dual_mov_b32 v162, s55
	s_and_saveexec_b32 s17, s15
	s_cbranch_execz .LBB710_718
; %bb.717:                              ;   in Loop: Header=BB710_682 Depth=2
	s_lshl_b64 s[18:19], s[34:35], 3
	s_wait_alu 0xfffe
	v_mov_b32_e32 v162, s16
	v_add_co_u32 v36, vcc_lo, v143, s18
	s_wait_alu 0xfffd
	v_add_co_ci_u32_e64 v37, null, s19, v144, vcc_lo
	global_load_b64 v[36:37], v[36:37], off offset:3840
	s_wait_loadcnt 0x0
	v_xor_b32_e32 v37, 0x7fffffff, v37
	v_not_b32_e32 v36, v36
.LBB710_718:                            ;   in Loop: Header=BB710_682 Depth=2
	s_wait_alu 0xfffe
	s_or_b32 exec_lo, exec_lo, s17
	s_wait_loadcnt 0xe
	v_xor_b32_e32 v39, 0x7fffffff, v39
	v_not_b32_e32 v38, v38
	v_add_nc_u32_e32 v165, 0x420, v100
	v_add_nc_u32_e32 v166, 0x428, v100
	;; [unrolled: 1-line block ×3, first 2 shown]
	s_delay_alu instid0(VALU_DEP_4) | instskip(NEXT) | instid1(VALU_DEP_1)
	v_lshrrev_b64 v[68:69], s31, v[38:39]
	v_and_b32_e32 v69, s54, v68
	s_delay_alu instid0(VALU_DEP_1)
	v_and_b32_e32 v68, 1, v69
	v_lshlrev_b32_e32 v70, 30, v69
	v_lshlrev_b32_e32 v71, 29, v69
	;; [unrolled: 1-line block ×4, first 2 shown]
	v_add_co_u32 v68, s15, v68, -1
	s_wait_alu 0xf1ff
	v_cndmask_b32_e64 v73, 0, 1, s15
	v_not_b32_e32 v164, v70
	v_cmp_gt_i32_e64 s15, 0, v70
	v_not_b32_e32 v70, v71
	v_lshlrev_b32_e32 v75, 26, v69
	v_cmp_ne_u32_e32 vcc_lo, 0, v73
	v_ashrrev_i32_e32 v164, 31, v164
	v_lshlrev_b32_e32 v163, 25, v69
	v_ashrrev_i32_e32 v70, 31, v70
	v_lshlrev_b32_e32 v73, 24, v69
	s_wait_alu 0xfffd
	v_xor_b32_e32 v68, vcc_lo, v68
	v_cmp_gt_i32_e32 vcc_lo, 0, v71
	v_not_b32_e32 v71, v72
	s_wait_alu 0xf1ff
	v_xor_b32_e32 v164, s15, v164
	v_cmp_gt_i32_e64 s15, 0, v72
	v_and_b32_e32 v68, exec_lo, v68
	v_not_b32_e32 v72, v74
	v_ashrrev_i32_e32 v71, 31, v71
	s_wait_alu 0xfffd
	v_xor_b32_e32 v70, vcc_lo, v70
	v_cmp_gt_i32_e32 vcc_lo, 0, v74
	v_and_b32_e32 v68, v68, v164
	v_not_b32_e32 v74, v75
	v_ashrrev_i32_e32 v72, 31, v72
	s_wait_alu 0xf1ff
	v_xor_b32_e32 v71, s15, v71
	v_cmp_gt_i32_e64 s15, 0, v75
	v_and_b32_e32 v68, v68, v70
	v_not_b32_e32 v70, v163
	v_ashrrev_i32_e32 v74, 31, v74
	s_wait_alu 0xfffd
	v_xor_b32_e32 v72, vcc_lo, v72
	v_cmp_gt_i32_e32 vcc_lo, 0, v163
	v_and_b32_e32 v68, v68, v71
	v_not_b32_e32 v71, v73
	v_ashrrev_i32_e32 v70, 31, v70
	s_wait_alu 0xf1ff
	v_xor_b32_e32 v74, s15, v74
	v_cmp_gt_i32_e64 s15, 0, v73
	v_and_b32_e32 v68, v68, v72
	v_ashrrev_i32_e32 v71, 31, v71
	s_wait_alu 0xfffd
	v_xor_b32_e32 v70, vcc_lo, v70
	v_mul_u32_u24_e32 v69, 36, v69
	v_add_nc_u32_e32 v164, 0x438, v100
	v_and_b32_e32 v68, v68, v74
	s_wait_alu 0xf1ff
	v_xor_b32_e32 v71, s15, v71
	v_add_nc_u32_e32 v168, v145, v69
	ds_store_2addr_b32 v164, v2, v2 offset1:1
	v_and_b32_e32 v68, v68, v70
	ds_store_2addr_b32 v165, v2, v2 offset1:1
	ds_store_2addr_b32 v166, v2, v2 offset1:1
	;; [unrolled: 1-line block ×3, first 2 shown]
	ds_store_b32 v100, v2 offset:1088
	s_wait_loadcnt_dscnt 0x0
	s_barrier_signal -1
	s_barrier_wait -1
	v_and_b32_e32 v68, v68, v71
	global_inv scope:SCOPE_SE
	; wave barrier
	v_mbcnt_lo_u32_b32 v163, v68, 0
	v_cmp_ne_u32_e64 s15, 0, v68
	s_delay_alu instid0(VALU_DEP_2)
	v_cmp_eq_u32_e32 vcc_lo, 0, v163
	s_and_b32 s16, s15, vcc_lo
	s_wait_alu 0xfffe
	s_and_saveexec_b32 s15, s16
; %bb.719:                              ;   in Loop: Header=BB710_682 Depth=2
	v_bcnt_u32_b32 v68, v68, 0
	ds_store_b32 v168, v68 offset:1056
; %bb.720:                              ;   in Loop: Header=BB710_682 Depth=2
	s_wait_alu 0xfffe
	s_or_b32 exec_lo, exec_lo, s15
	v_xor_b32_e32 v41, 0x7fffffff, v41
	v_not_b32_e32 v40, v40
	; wave barrier
	s_delay_alu instid0(VALU_DEP_1) | instskip(NEXT) | instid1(VALU_DEP_1)
	v_lshrrev_b64 v[68:69], s31, v[40:41]
	v_and_b32_e32 v69, s54, v68
	s_delay_alu instid0(VALU_DEP_1)
	v_and_b32_e32 v68, 1, v69
	v_lshlrev_b32_e32 v70, 30, v69
	v_lshlrev_b32_e32 v71, 29, v69
	;; [unrolled: 1-line block ×4, first 2 shown]
	v_add_co_u32 v68, s15, v68, -1
	s_wait_alu 0xf1ff
	v_cndmask_b32_e64 v73, 0, 1, s15
	v_not_b32_e32 v170, v70
	v_cmp_gt_i32_e64 s15, 0, v70
	v_not_b32_e32 v70, v71
	v_lshlrev_b32_e32 v75, 26, v69
	v_cmp_ne_u32_e32 vcc_lo, 0, v73
	v_ashrrev_i32_e32 v170, 31, v170
	v_lshlrev_b32_e32 v169, 25, v69
	v_ashrrev_i32_e32 v70, 31, v70
	v_lshlrev_b32_e32 v73, 24, v69
	s_wait_alu 0xfffd
	v_xor_b32_e32 v68, vcc_lo, v68
	v_cmp_gt_i32_e32 vcc_lo, 0, v71
	v_not_b32_e32 v71, v72
	s_wait_alu 0xf1ff
	v_xor_b32_e32 v170, s15, v170
	v_cmp_gt_i32_e64 s15, 0, v72
	v_and_b32_e32 v68, exec_lo, v68
	v_not_b32_e32 v72, v74
	v_ashrrev_i32_e32 v71, 31, v71
	s_wait_alu 0xfffd
	v_xor_b32_e32 v70, vcc_lo, v70
	v_cmp_gt_i32_e32 vcc_lo, 0, v74
	v_and_b32_e32 v68, v68, v170
	v_not_b32_e32 v74, v75
	v_ashrrev_i32_e32 v72, 31, v72
	s_wait_alu 0xf1ff
	v_xor_b32_e32 v71, s15, v71
	v_cmp_gt_i32_e64 s15, 0, v75
	v_and_b32_e32 v68, v68, v70
	v_not_b32_e32 v70, v169
	v_ashrrev_i32_e32 v74, 31, v74
	s_wait_alu 0xfffd
	v_xor_b32_e32 v72, vcc_lo, v72
	v_cmp_gt_i32_e32 vcc_lo, 0, v169
	v_and_b32_e32 v68, v68, v71
	v_not_b32_e32 v71, v73
	v_ashrrev_i32_e32 v70, 31, v70
	s_wait_alu 0xf1ff
	v_xor_b32_e32 v74, s15, v74
	v_cmp_gt_i32_e64 s15, 0, v73
	v_and_b32_e32 v68, v68, v72
	v_ashrrev_i32_e32 v71, 31, v71
	s_wait_alu 0xfffd
	v_xor_b32_e32 v70, vcc_lo, v70
	v_mad_u32_u24 v72, v69, 36, v145
	v_mul_u32_u24_e32 v69, 36, v69
	v_and_b32_e32 v68, v68, v74
	s_wait_alu 0xf1ff
	v_xor_b32_e32 v71, s15, v71
	ds_load_b32 v169, v72 offset:1056
	v_add_nc_u32_e32 v171, v145, v69
	v_and_b32_e32 v68, v68, v70
	; wave barrier
	s_delay_alu instid0(VALU_DEP_1) | instskip(NEXT) | instid1(VALU_DEP_1)
	v_and_b32_e32 v68, v68, v71
	v_mbcnt_lo_u32_b32 v170, v68, 0
	v_cmp_ne_u32_e64 s15, 0, v68
	s_delay_alu instid0(VALU_DEP_2)
	v_cmp_eq_u32_e32 vcc_lo, 0, v170
	s_and_b32 s16, s15, vcc_lo
	s_wait_alu 0xfffe
	s_and_saveexec_b32 s15, s16
	s_cbranch_execz .LBB710_722
; %bb.721:                              ;   in Loop: Header=BB710_682 Depth=2
	s_wait_dscnt 0x0
	v_bcnt_u32_b32 v68, v68, v169
	ds_store_b32 v171, v68 offset:1056
.LBB710_722:                            ;   in Loop: Header=BB710_682 Depth=2
	s_wait_alu 0xfffe
	s_or_b32 exec_lo, exec_lo, s15
	v_xor_b32_e32 v43, 0x7fffffff, v43
	v_not_b32_e32 v42, v42
	; wave barrier
	s_delay_alu instid0(VALU_DEP_1) | instskip(NEXT) | instid1(VALU_DEP_1)
	v_lshrrev_b64 v[68:69], s31, v[42:43]
	v_and_b32_e32 v69, s54, v68
	s_delay_alu instid0(VALU_DEP_1)
	v_and_b32_e32 v68, 1, v69
	v_lshlrev_b32_e32 v70, 30, v69
	v_lshlrev_b32_e32 v71, 29, v69
	;; [unrolled: 1-line block ×4, first 2 shown]
	v_add_co_u32 v68, s15, v68, -1
	s_wait_alu 0xf1ff
	v_cndmask_b32_e64 v73, 0, 1, s15
	v_not_b32_e32 v173, v70
	v_cmp_gt_i32_e64 s15, 0, v70
	v_not_b32_e32 v70, v71
	v_lshlrev_b32_e32 v75, 26, v69
	v_cmp_ne_u32_e32 vcc_lo, 0, v73
	v_ashrrev_i32_e32 v173, 31, v173
	v_lshlrev_b32_e32 v172, 25, v69
	v_ashrrev_i32_e32 v70, 31, v70
	v_lshlrev_b32_e32 v73, 24, v69
	s_wait_alu 0xfffd
	v_xor_b32_e32 v68, vcc_lo, v68
	v_cmp_gt_i32_e32 vcc_lo, 0, v71
	v_not_b32_e32 v71, v72
	s_wait_alu 0xf1ff
	v_xor_b32_e32 v173, s15, v173
	v_cmp_gt_i32_e64 s15, 0, v72
	v_and_b32_e32 v68, exec_lo, v68
	v_not_b32_e32 v72, v74
	v_ashrrev_i32_e32 v71, 31, v71
	s_wait_alu 0xfffd
	v_xor_b32_e32 v70, vcc_lo, v70
	v_cmp_gt_i32_e32 vcc_lo, 0, v74
	v_and_b32_e32 v68, v68, v173
	v_not_b32_e32 v74, v75
	v_ashrrev_i32_e32 v72, 31, v72
	s_wait_alu 0xf1ff
	v_xor_b32_e32 v71, s15, v71
	v_cmp_gt_i32_e64 s15, 0, v75
	v_and_b32_e32 v68, v68, v70
	v_not_b32_e32 v70, v172
	v_ashrrev_i32_e32 v74, 31, v74
	s_wait_alu 0xfffd
	v_xor_b32_e32 v72, vcc_lo, v72
	v_cmp_gt_i32_e32 vcc_lo, 0, v172
	v_and_b32_e32 v68, v68, v71
	v_not_b32_e32 v71, v73
	v_ashrrev_i32_e32 v70, 31, v70
	s_wait_alu 0xf1ff
	v_xor_b32_e32 v74, s15, v74
	v_cmp_gt_i32_e64 s15, 0, v73
	v_and_b32_e32 v68, v68, v72
	v_ashrrev_i32_e32 v71, 31, v71
	s_wait_alu 0xfffd
	v_xor_b32_e32 v70, vcc_lo, v70
	v_mad_u32_u24 v72, v69, 36, v145
	v_mul_u32_u24_e32 v69, 36, v69
	v_and_b32_e32 v68, v68, v74
	s_wait_alu 0xf1ff
	v_xor_b32_e32 v71, s15, v71
	ds_load_b32 v172, v72 offset:1056
	v_add_nc_u32_e32 v174, v145, v69
	v_and_b32_e32 v68, v68, v70
	; wave barrier
	s_delay_alu instid0(VALU_DEP_1) | instskip(NEXT) | instid1(VALU_DEP_1)
	v_and_b32_e32 v68, v68, v71
	v_mbcnt_lo_u32_b32 v173, v68, 0
	v_cmp_ne_u32_e64 s15, 0, v68
	s_delay_alu instid0(VALU_DEP_2)
	v_cmp_eq_u32_e32 vcc_lo, 0, v173
	s_and_b32 s16, s15, vcc_lo
	s_wait_alu 0xfffe
	s_and_saveexec_b32 s15, s16
	s_cbranch_execz .LBB710_724
; %bb.723:                              ;   in Loop: Header=BB710_682 Depth=2
	s_wait_dscnt 0x0
	v_bcnt_u32_b32 v68, v68, v172
	ds_store_b32 v174, v68 offset:1056
.LBB710_724:                            ;   in Loop: Header=BB710_682 Depth=2
	s_wait_alu 0xfffe
	s_or_b32 exec_lo, exec_lo, s15
	v_xor_b32_e32 v47, 0x7fffffff, v47
	v_not_b32_e32 v46, v46
	; wave barrier
	s_delay_alu instid0(VALU_DEP_1) | instskip(NEXT) | instid1(VALU_DEP_1)
	v_lshrrev_b64 v[68:69], s31, v[46:47]
	v_and_b32_e32 v69, s54, v68
	s_delay_alu instid0(VALU_DEP_1)
	v_and_b32_e32 v68, 1, v69
	v_lshlrev_b32_e32 v70, 30, v69
	v_lshlrev_b32_e32 v71, 29, v69
	;; [unrolled: 1-line block ×4, first 2 shown]
	v_add_co_u32 v68, s15, v68, -1
	s_wait_alu 0xf1ff
	v_cndmask_b32_e64 v73, 0, 1, s15
	v_not_b32_e32 v176, v70
	v_cmp_gt_i32_e64 s15, 0, v70
	v_not_b32_e32 v70, v71
	v_lshlrev_b32_e32 v75, 26, v69
	v_cmp_ne_u32_e32 vcc_lo, 0, v73
	v_ashrrev_i32_e32 v176, 31, v176
	v_lshlrev_b32_e32 v175, 25, v69
	v_ashrrev_i32_e32 v70, 31, v70
	v_lshlrev_b32_e32 v73, 24, v69
	s_wait_alu 0xfffd
	v_xor_b32_e32 v68, vcc_lo, v68
	v_cmp_gt_i32_e32 vcc_lo, 0, v71
	v_not_b32_e32 v71, v72
	s_wait_alu 0xf1ff
	v_xor_b32_e32 v176, s15, v176
	v_cmp_gt_i32_e64 s15, 0, v72
	v_and_b32_e32 v68, exec_lo, v68
	v_not_b32_e32 v72, v74
	v_ashrrev_i32_e32 v71, 31, v71
	s_wait_alu 0xfffd
	v_xor_b32_e32 v70, vcc_lo, v70
	v_cmp_gt_i32_e32 vcc_lo, 0, v74
	v_and_b32_e32 v68, v68, v176
	v_not_b32_e32 v74, v75
	v_ashrrev_i32_e32 v72, 31, v72
	s_wait_alu 0xf1ff
	v_xor_b32_e32 v71, s15, v71
	v_cmp_gt_i32_e64 s15, 0, v75
	v_and_b32_e32 v68, v68, v70
	v_not_b32_e32 v70, v175
	v_ashrrev_i32_e32 v74, 31, v74
	s_wait_alu 0xfffd
	v_xor_b32_e32 v72, vcc_lo, v72
	v_cmp_gt_i32_e32 vcc_lo, 0, v175
	v_and_b32_e32 v68, v68, v71
	v_not_b32_e32 v71, v73
	v_ashrrev_i32_e32 v70, 31, v70
	s_wait_alu 0xf1ff
	v_xor_b32_e32 v74, s15, v74
	v_cmp_gt_i32_e64 s15, 0, v73
	v_and_b32_e32 v68, v68, v72
	v_ashrrev_i32_e32 v71, 31, v71
	s_wait_alu 0xfffd
	v_xor_b32_e32 v70, vcc_lo, v70
	v_mad_u32_u24 v72, v69, 36, v145
	v_mul_u32_u24_e32 v69, 36, v69
	v_and_b32_e32 v68, v68, v74
	s_wait_alu 0xf1ff
	v_xor_b32_e32 v71, s15, v71
	ds_load_b32 v175, v72 offset:1056
	v_add_nc_u32_e32 v177, v145, v69
	v_and_b32_e32 v68, v68, v70
	; wave barrier
	s_delay_alu instid0(VALU_DEP_1) | instskip(NEXT) | instid1(VALU_DEP_1)
	v_and_b32_e32 v68, v68, v71
	v_mbcnt_lo_u32_b32 v176, v68, 0
	v_cmp_ne_u32_e64 s15, 0, v68
	s_delay_alu instid0(VALU_DEP_2)
	v_cmp_eq_u32_e32 vcc_lo, 0, v176
	s_and_b32 s16, s15, vcc_lo
	s_wait_alu 0xfffe
	s_and_saveexec_b32 s15, s16
	s_cbranch_execz .LBB710_726
; %bb.725:                              ;   in Loop: Header=BB710_682 Depth=2
	s_wait_dscnt 0x0
	v_bcnt_u32_b32 v68, v68, v175
	ds_store_b32 v177, v68 offset:1056
.LBB710_726:                            ;   in Loop: Header=BB710_682 Depth=2
	s_wait_alu 0xfffe
	s_or_b32 exec_lo, exec_lo, s15
	v_xor_b32_e32 v53, 0x7fffffff, v53
	v_not_b32_e32 v52, v52
	; wave barrier
	s_delay_alu instid0(VALU_DEP_1) | instskip(NEXT) | instid1(VALU_DEP_1)
	v_lshrrev_b64 v[68:69], s31, v[52:53]
	v_and_b32_e32 v69, s54, v68
	s_delay_alu instid0(VALU_DEP_1)
	v_and_b32_e32 v68, 1, v69
	v_lshlrev_b32_e32 v70, 30, v69
	v_lshlrev_b32_e32 v71, 29, v69
	v_lshlrev_b32_e32 v72, 28, v69
	v_lshlrev_b32_e32 v74, 27, v69
	v_add_co_u32 v68, s15, v68, -1
	s_wait_alu 0xf1ff
	v_cndmask_b32_e64 v73, 0, 1, s15
	v_not_b32_e32 v179, v70
	v_cmp_gt_i32_e64 s15, 0, v70
	v_not_b32_e32 v70, v71
	v_lshlrev_b32_e32 v75, 26, v69
	v_cmp_ne_u32_e32 vcc_lo, 0, v73
	v_ashrrev_i32_e32 v179, 31, v179
	v_lshlrev_b32_e32 v178, 25, v69
	v_ashrrev_i32_e32 v70, 31, v70
	v_lshlrev_b32_e32 v73, 24, v69
	s_wait_alu 0xfffd
	v_xor_b32_e32 v68, vcc_lo, v68
	v_cmp_gt_i32_e32 vcc_lo, 0, v71
	v_not_b32_e32 v71, v72
	s_wait_alu 0xf1ff
	v_xor_b32_e32 v179, s15, v179
	v_cmp_gt_i32_e64 s15, 0, v72
	v_and_b32_e32 v68, exec_lo, v68
	v_not_b32_e32 v72, v74
	v_ashrrev_i32_e32 v71, 31, v71
	s_wait_alu 0xfffd
	v_xor_b32_e32 v70, vcc_lo, v70
	v_cmp_gt_i32_e32 vcc_lo, 0, v74
	v_and_b32_e32 v68, v68, v179
	v_not_b32_e32 v74, v75
	v_ashrrev_i32_e32 v72, 31, v72
	s_wait_alu 0xf1ff
	v_xor_b32_e32 v71, s15, v71
	v_cmp_gt_i32_e64 s15, 0, v75
	v_and_b32_e32 v68, v68, v70
	v_not_b32_e32 v70, v178
	v_ashrrev_i32_e32 v74, 31, v74
	s_wait_alu 0xfffd
	v_xor_b32_e32 v72, vcc_lo, v72
	v_cmp_gt_i32_e32 vcc_lo, 0, v178
	v_and_b32_e32 v68, v68, v71
	v_not_b32_e32 v71, v73
	v_ashrrev_i32_e32 v70, 31, v70
	s_wait_alu 0xf1ff
	v_xor_b32_e32 v74, s15, v74
	v_cmp_gt_i32_e64 s15, 0, v73
	v_and_b32_e32 v68, v68, v72
	v_ashrrev_i32_e32 v71, 31, v71
	s_wait_alu 0xfffd
	v_xor_b32_e32 v70, vcc_lo, v70
	v_mad_u32_u24 v72, v69, 36, v145
	v_mul_u32_u24_e32 v69, 36, v69
	v_and_b32_e32 v68, v68, v74
	s_wait_alu 0xf1ff
	v_xor_b32_e32 v71, s15, v71
	ds_load_b32 v178, v72 offset:1056
	v_add_nc_u32_e32 v180, v145, v69
	v_and_b32_e32 v68, v68, v70
	; wave barrier
	s_delay_alu instid0(VALU_DEP_1) | instskip(NEXT) | instid1(VALU_DEP_1)
	v_and_b32_e32 v68, v68, v71
	v_mbcnt_lo_u32_b32 v179, v68, 0
	v_cmp_ne_u32_e64 s15, 0, v68
	s_delay_alu instid0(VALU_DEP_2)
	v_cmp_eq_u32_e32 vcc_lo, 0, v179
	s_and_b32 s16, s15, vcc_lo
	s_wait_alu 0xfffe
	s_and_saveexec_b32 s15, s16
	s_cbranch_execz .LBB710_728
; %bb.727:                              ;   in Loop: Header=BB710_682 Depth=2
	s_wait_dscnt 0x0
	v_bcnt_u32_b32 v68, v68, v178
	ds_store_b32 v180, v68 offset:1056
.LBB710_728:                            ;   in Loop: Header=BB710_682 Depth=2
	s_wait_alu 0xfffe
	s_or_b32 exec_lo, exec_lo, s15
	v_xor_b32_e32 v57, 0x7fffffff, v57
	v_not_b32_e32 v56, v56
	; wave barrier
	s_delay_alu instid0(VALU_DEP_1) | instskip(NEXT) | instid1(VALU_DEP_1)
	v_lshrrev_b64 v[68:69], s31, v[56:57]
	v_and_b32_e32 v69, s54, v68
	s_delay_alu instid0(VALU_DEP_1)
	v_and_b32_e32 v68, 1, v69
	v_lshlrev_b32_e32 v70, 30, v69
	v_lshlrev_b32_e32 v71, 29, v69
	;; [unrolled: 1-line block ×4, first 2 shown]
	v_add_co_u32 v68, s15, v68, -1
	s_wait_alu 0xf1ff
	v_cndmask_b32_e64 v73, 0, 1, s15
	v_not_b32_e32 v182, v70
	v_cmp_gt_i32_e64 s15, 0, v70
	v_not_b32_e32 v70, v71
	v_lshlrev_b32_e32 v75, 26, v69
	v_cmp_ne_u32_e32 vcc_lo, 0, v73
	v_ashrrev_i32_e32 v182, 31, v182
	v_lshlrev_b32_e32 v181, 25, v69
	v_ashrrev_i32_e32 v70, 31, v70
	v_lshlrev_b32_e32 v73, 24, v69
	s_wait_alu 0xfffd
	v_xor_b32_e32 v68, vcc_lo, v68
	v_cmp_gt_i32_e32 vcc_lo, 0, v71
	v_not_b32_e32 v71, v72
	s_wait_alu 0xf1ff
	v_xor_b32_e32 v182, s15, v182
	v_cmp_gt_i32_e64 s15, 0, v72
	v_and_b32_e32 v68, exec_lo, v68
	v_not_b32_e32 v72, v74
	v_ashrrev_i32_e32 v71, 31, v71
	s_wait_alu 0xfffd
	v_xor_b32_e32 v70, vcc_lo, v70
	v_cmp_gt_i32_e32 vcc_lo, 0, v74
	v_and_b32_e32 v68, v68, v182
	v_not_b32_e32 v74, v75
	v_ashrrev_i32_e32 v72, 31, v72
	s_wait_alu 0xf1ff
	v_xor_b32_e32 v71, s15, v71
	v_cmp_gt_i32_e64 s15, 0, v75
	v_and_b32_e32 v68, v68, v70
	v_not_b32_e32 v70, v181
	v_ashrrev_i32_e32 v74, 31, v74
	s_wait_alu 0xfffd
	v_xor_b32_e32 v72, vcc_lo, v72
	v_cmp_gt_i32_e32 vcc_lo, 0, v181
	v_and_b32_e32 v68, v68, v71
	v_not_b32_e32 v71, v73
	v_ashrrev_i32_e32 v70, 31, v70
	s_wait_alu 0xf1ff
	v_xor_b32_e32 v74, s15, v74
	v_cmp_gt_i32_e64 s15, 0, v73
	v_and_b32_e32 v68, v68, v72
	v_ashrrev_i32_e32 v71, 31, v71
	s_wait_alu 0xfffd
	v_xor_b32_e32 v70, vcc_lo, v70
	v_mad_u32_u24 v72, v69, 36, v145
	v_mul_u32_u24_e32 v69, 36, v69
	v_and_b32_e32 v68, v68, v74
	s_wait_alu 0xf1ff
	v_xor_b32_e32 v71, s15, v71
	ds_load_b32 v181, v72 offset:1056
	v_add_nc_u32_e32 v183, v145, v69
	v_and_b32_e32 v68, v68, v70
	; wave barrier
	s_delay_alu instid0(VALU_DEP_1) | instskip(NEXT) | instid1(VALU_DEP_1)
	v_and_b32_e32 v68, v68, v71
	v_mbcnt_lo_u32_b32 v182, v68, 0
	v_cmp_ne_u32_e64 s15, 0, v68
	s_delay_alu instid0(VALU_DEP_2)
	v_cmp_eq_u32_e32 vcc_lo, 0, v182
	s_and_b32 s16, s15, vcc_lo
	s_wait_alu 0xfffe
	s_and_saveexec_b32 s15, s16
	s_cbranch_execz .LBB710_730
; %bb.729:                              ;   in Loop: Header=BB710_682 Depth=2
	s_wait_dscnt 0x0
	v_bcnt_u32_b32 v68, v68, v181
	ds_store_b32 v183, v68 offset:1056
.LBB710_730:                            ;   in Loop: Header=BB710_682 Depth=2
	s_wait_alu 0xfffe
	s_or_b32 exec_lo, exec_lo, s15
	v_xor_b32_e32 v61, 0x7fffffff, v61
	v_not_b32_e32 v60, v60
	; wave barrier
	s_delay_alu instid0(VALU_DEP_1) | instskip(NEXT) | instid1(VALU_DEP_1)
	v_lshrrev_b64 v[68:69], s31, v[60:61]
	v_and_b32_e32 v69, s54, v68
	s_delay_alu instid0(VALU_DEP_1)
	v_and_b32_e32 v68, 1, v69
	v_lshlrev_b32_e32 v70, 30, v69
	v_lshlrev_b32_e32 v71, 29, v69
	v_lshlrev_b32_e32 v72, 28, v69
	v_lshlrev_b32_e32 v74, 27, v69
	v_add_co_u32 v68, s15, v68, -1
	s_wait_alu 0xf1ff
	v_cndmask_b32_e64 v73, 0, 1, s15
	v_not_b32_e32 v185, v70
	v_cmp_gt_i32_e64 s15, 0, v70
	v_not_b32_e32 v70, v71
	v_lshlrev_b32_e32 v75, 26, v69
	v_cmp_ne_u32_e32 vcc_lo, 0, v73
	v_ashrrev_i32_e32 v185, 31, v185
	v_lshlrev_b32_e32 v184, 25, v69
	v_ashrrev_i32_e32 v70, 31, v70
	v_lshlrev_b32_e32 v73, 24, v69
	s_wait_alu 0xfffd
	v_xor_b32_e32 v68, vcc_lo, v68
	v_cmp_gt_i32_e32 vcc_lo, 0, v71
	v_not_b32_e32 v71, v72
	s_wait_alu 0xf1ff
	v_xor_b32_e32 v185, s15, v185
	v_cmp_gt_i32_e64 s15, 0, v72
	v_and_b32_e32 v68, exec_lo, v68
	v_not_b32_e32 v72, v74
	v_ashrrev_i32_e32 v71, 31, v71
	s_wait_alu 0xfffd
	v_xor_b32_e32 v70, vcc_lo, v70
	v_cmp_gt_i32_e32 vcc_lo, 0, v74
	v_and_b32_e32 v68, v68, v185
	v_not_b32_e32 v74, v75
	v_ashrrev_i32_e32 v72, 31, v72
	s_wait_alu 0xf1ff
	v_xor_b32_e32 v71, s15, v71
	v_cmp_gt_i32_e64 s15, 0, v75
	v_and_b32_e32 v68, v68, v70
	v_not_b32_e32 v70, v184
	v_ashrrev_i32_e32 v74, 31, v74
	s_wait_alu 0xfffd
	v_xor_b32_e32 v72, vcc_lo, v72
	v_cmp_gt_i32_e32 vcc_lo, 0, v184
	v_and_b32_e32 v68, v68, v71
	v_not_b32_e32 v71, v73
	v_ashrrev_i32_e32 v70, 31, v70
	s_wait_alu 0xf1ff
	v_xor_b32_e32 v74, s15, v74
	v_cmp_gt_i32_e64 s15, 0, v73
	v_and_b32_e32 v68, v68, v72
	v_ashrrev_i32_e32 v71, 31, v71
	s_wait_alu 0xfffd
	v_xor_b32_e32 v70, vcc_lo, v70
	v_mad_u32_u24 v72, v69, 36, v145
	v_mul_u32_u24_e32 v69, 36, v69
	v_and_b32_e32 v68, v68, v74
	s_wait_alu 0xf1ff
	v_xor_b32_e32 v71, s15, v71
	ds_load_b32 v184, v72 offset:1056
	v_add_nc_u32_e32 v186, v145, v69
	v_and_b32_e32 v68, v68, v70
	; wave barrier
	s_delay_alu instid0(VALU_DEP_1) | instskip(NEXT) | instid1(VALU_DEP_1)
	v_and_b32_e32 v68, v68, v71
	v_mbcnt_lo_u32_b32 v185, v68, 0
	v_cmp_ne_u32_e64 s15, 0, v68
	s_delay_alu instid0(VALU_DEP_2)
	v_cmp_eq_u32_e32 vcc_lo, 0, v185
	s_and_b32 s16, s15, vcc_lo
	s_wait_alu 0xfffe
	s_and_saveexec_b32 s15, s16
	s_cbranch_execz .LBB710_732
; %bb.731:                              ;   in Loop: Header=BB710_682 Depth=2
	s_wait_dscnt 0x0
	v_bcnt_u32_b32 v68, v68, v184
	ds_store_b32 v186, v68 offset:1056
.LBB710_732:                            ;   in Loop: Header=BB710_682 Depth=2
	s_wait_alu 0xfffe
	s_or_b32 exec_lo, exec_lo, s15
	v_xor_b32_e32 v65, 0x7fffffff, v65
	v_not_b32_e32 v64, v64
	; wave barrier
	s_delay_alu instid0(VALU_DEP_1) | instskip(NEXT) | instid1(VALU_DEP_1)
	v_lshrrev_b64 v[68:69], s31, v[64:65]
	v_and_b32_e32 v69, s54, v68
	s_delay_alu instid0(VALU_DEP_1)
	v_and_b32_e32 v68, 1, v69
	v_lshlrev_b32_e32 v70, 30, v69
	v_lshlrev_b32_e32 v71, 29, v69
	;; [unrolled: 1-line block ×4, first 2 shown]
	v_add_co_u32 v68, s15, v68, -1
	s_wait_alu 0xf1ff
	v_cndmask_b32_e64 v73, 0, 1, s15
	v_not_b32_e32 v188, v70
	v_cmp_gt_i32_e64 s15, 0, v70
	v_not_b32_e32 v70, v71
	v_lshlrev_b32_e32 v75, 26, v69
	v_cmp_ne_u32_e32 vcc_lo, 0, v73
	v_ashrrev_i32_e32 v188, 31, v188
	v_lshlrev_b32_e32 v187, 25, v69
	v_ashrrev_i32_e32 v70, 31, v70
	v_lshlrev_b32_e32 v73, 24, v69
	s_wait_alu 0xfffd
	v_xor_b32_e32 v68, vcc_lo, v68
	v_cmp_gt_i32_e32 vcc_lo, 0, v71
	v_not_b32_e32 v71, v72
	s_wait_alu 0xf1ff
	v_xor_b32_e32 v188, s15, v188
	v_cmp_gt_i32_e64 s15, 0, v72
	v_and_b32_e32 v68, exec_lo, v68
	v_not_b32_e32 v72, v74
	v_ashrrev_i32_e32 v71, 31, v71
	s_wait_alu 0xfffd
	v_xor_b32_e32 v70, vcc_lo, v70
	v_cmp_gt_i32_e32 vcc_lo, 0, v74
	v_and_b32_e32 v68, v68, v188
	v_not_b32_e32 v74, v75
	v_ashrrev_i32_e32 v72, 31, v72
	s_wait_alu 0xf1ff
	v_xor_b32_e32 v71, s15, v71
	v_cmp_gt_i32_e64 s15, 0, v75
	v_and_b32_e32 v68, v68, v70
	v_not_b32_e32 v70, v187
	v_ashrrev_i32_e32 v74, 31, v74
	s_wait_alu 0xfffd
	v_xor_b32_e32 v72, vcc_lo, v72
	v_cmp_gt_i32_e32 vcc_lo, 0, v187
	v_and_b32_e32 v68, v68, v71
	v_not_b32_e32 v71, v73
	v_ashrrev_i32_e32 v70, 31, v70
	s_wait_alu 0xf1ff
	v_xor_b32_e32 v74, s15, v74
	v_cmp_gt_i32_e64 s15, 0, v73
	v_and_b32_e32 v68, v68, v72
	v_ashrrev_i32_e32 v71, 31, v71
	s_wait_alu 0xfffd
	v_xor_b32_e32 v70, vcc_lo, v70
	v_mad_u32_u24 v72, v69, 36, v145
	v_mul_u32_u24_e32 v69, 36, v69
	v_and_b32_e32 v68, v68, v74
	s_wait_alu 0xf1ff
	v_xor_b32_e32 v71, s15, v71
	ds_load_b32 v187, v72 offset:1056
	v_add_nc_u32_e32 v189, v145, v69
	v_and_b32_e32 v68, v68, v70
	; wave barrier
	s_delay_alu instid0(VALU_DEP_1) | instskip(NEXT) | instid1(VALU_DEP_1)
	v_and_b32_e32 v68, v68, v71
	v_mbcnt_lo_u32_b32 v188, v68, 0
	v_cmp_ne_u32_e64 s15, 0, v68
	s_delay_alu instid0(VALU_DEP_2)
	v_cmp_eq_u32_e32 vcc_lo, 0, v188
	s_and_b32 s16, s15, vcc_lo
	s_wait_alu 0xfffe
	s_and_saveexec_b32 s15, s16
	s_cbranch_execz .LBB710_734
; %bb.733:                              ;   in Loop: Header=BB710_682 Depth=2
	s_wait_dscnt 0x0
	v_bcnt_u32_b32 v68, v68, v187
	ds_store_b32 v189, v68 offset:1056
.LBB710_734:                            ;   in Loop: Header=BB710_682 Depth=2
	s_wait_alu 0xfffe
	s_or_b32 exec_lo, exec_lo, s15
	v_xor_b32_e32 v67, 0x7fffffff, v67
	v_not_b32_e32 v66, v66
	; wave barrier
	s_delay_alu instid0(VALU_DEP_1) | instskip(NEXT) | instid1(VALU_DEP_1)
	v_lshrrev_b64 v[68:69], s31, v[66:67]
	v_and_b32_e32 v69, s54, v68
	s_delay_alu instid0(VALU_DEP_1)
	v_and_b32_e32 v68, 1, v69
	v_lshlrev_b32_e32 v70, 30, v69
	v_lshlrev_b32_e32 v71, 29, v69
	;; [unrolled: 1-line block ×4, first 2 shown]
	v_add_co_u32 v68, s15, v68, -1
	s_wait_alu 0xf1ff
	v_cndmask_b32_e64 v73, 0, 1, s15
	v_not_b32_e32 v191, v70
	v_cmp_gt_i32_e64 s15, 0, v70
	v_not_b32_e32 v70, v71
	v_lshlrev_b32_e32 v75, 26, v69
	v_cmp_ne_u32_e32 vcc_lo, 0, v73
	v_ashrrev_i32_e32 v191, 31, v191
	v_lshlrev_b32_e32 v190, 25, v69
	v_ashrrev_i32_e32 v70, 31, v70
	v_lshlrev_b32_e32 v73, 24, v69
	s_wait_alu 0xfffd
	v_xor_b32_e32 v68, vcc_lo, v68
	v_cmp_gt_i32_e32 vcc_lo, 0, v71
	v_not_b32_e32 v71, v72
	s_wait_alu 0xf1ff
	v_xor_b32_e32 v191, s15, v191
	v_cmp_gt_i32_e64 s15, 0, v72
	v_and_b32_e32 v68, exec_lo, v68
	v_not_b32_e32 v72, v74
	v_ashrrev_i32_e32 v71, 31, v71
	s_wait_alu 0xfffd
	v_xor_b32_e32 v70, vcc_lo, v70
	v_cmp_gt_i32_e32 vcc_lo, 0, v74
	v_and_b32_e32 v68, v68, v191
	v_not_b32_e32 v74, v75
	v_ashrrev_i32_e32 v72, 31, v72
	s_wait_alu 0xf1ff
	v_xor_b32_e32 v71, s15, v71
	v_cmp_gt_i32_e64 s15, 0, v75
	v_and_b32_e32 v68, v68, v70
	v_not_b32_e32 v70, v190
	v_ashrrev_i32_e32 v74, 31, v74
	s_wait_alu 0xfffd
	v_xor_b32_e32 v72, vcc_lo, v72
	v_cmp_gt_i32_e32 vcc_lo, 0, v190
	v_and_b32_e32 v68, v68, v71
	v_not_b32_e32 v71, v73
	v_ashrrev_i32_e32 v70, 31, v70
	s_wait_alu 0xf1ff
	v_xor_b32_e32 v74, s15, v74
	v_cmp_gt_i32_e64 s15, 0, v73
	v_and_b32_e32 v68, v68, v72
	v_ashrrev_i32_e32 v71, 31, v71
	s_wait_alu 0xfffd
	v_xor_b32_e32 v70, vcc_lo, v70
	v_mad_u32_u24 v72, v69, 36, v145
	v_mul_u32_u24_e32 v69, 36, v69
	v_and_b32_e32 v68, v68, v74
	s_wait_alu 0xf1ff
	v_xor_b32_e32 v71, s15, v71
	ds_load_b32 v190, v72 offset:1056
	v_add_nc_u32_e32 v192, v145, v69
	v_and_b32_e32 v68, v68, v70
	; wave barrier
	s_delay_alu instid0(VALU_DEP_1) | instskip(NEXT) | instid1(VALU_DEP_1)
	v_and_b32_e32 v68, v68, v71
	v_mbcnt_lo_u32_b32 v191, v68, 0
	v_cmp_ne_u32_e64 s15, 0, v68
	s_delay_alu instid0(VALU_DEP_2)
	v_cmp_eq_u32_e32 vcc_lo, 0, v191
	s_and_b32 s16, s15, vcc_lo
	s_wait_alu 0xfffe
	s_and_saveexec_b32 s15, s16
	s_cbranch_execz .LBB710_736
; %bb.735:                              ;   in Loop: Header=BB710_682 Depth=2
	s_wait_dscnt 0x0
	v_bcnt_u32_b32 v68, v68, v190
	ds_store_b32 v192, v68 offset:1056
.LBB710_736:                            ;   in Loop: Header=BB710_682 Depth=2
	s_wait_alu 0xfffe
	s_or_b32 exec_lo, exec_lo, s15
	v_xor_b32_e32 v63, 0x7fffffff, v63
	v_not_b32_e32 v62, v62
	; wave barrier
	s_delay_alu instid0(VALU_DEP_1) | instskip(NEXT) | instid1(VALU_DEP_1)
	v_lshrrev_b64 v[68:69], s31, v[62:63]
	v_and_b32_e32 v69, s54, v68
	s_delay_alu instid0(VALU_DEP_1)
	v_and_b32_e32 v68, 1, v69
	v_lshlrev_b32_e32 v70, 30, v69
	v_lshlrev_b32_e32 v71, 29, v69
	v_lshlrev_b32_e32 v72, 28, v69
	v_lshlrev_b32_e32 v74, 27, v69
	v_add_co_u32 v68, s15, v68, -1
	s_wait_alu 0xf1ff
	v_cndmask_b32_e64 v73, 0, 1, s15
	v_not_b32_e32 v194, v70
	v_cmp_gt_i32_e64 s15, 0, v70
	v_not_b32_e32 v70, v71
	v_lshlrev_b32_e32 v75, 26, v69
	v_cmp_ne_u32_e32 vcc_lo, 0, v73
	v_ashrrev_i32_e32 v194, 31, v194
	v_lshlrev_b32_e32 v193, 25, v69
	v_ashrrev_i32_e32 v70, 31, v70
	v_lshlrev_b32_e32 v73, 24, v69
	s_wait_alu 0xfffd
	v_xor_b32_e32 v68, vcc_lo, v68
	v_cmp_gt_i32_e32 vcc_lo, 0, v71
	v_not_b32_e32 v71, v72
	s_wait_alu 0xf1ff
	v_xor_b32_e32 v194, s15, v194
	v_cmp_gt_i32_e64 s15, 0, v72
	v_and_b32_e32 v68, exec_lo, v68
	v_not_b32_e32 v72, v74
	v_ashrrev_i32_e32 v71, 31, v71
	s_wait_alu 0xfffd
	v_xor_b32_e32 v70, vcc_lo, v70
	v_cmp_gt_i32_e32 vcc_lo, 0, v74
	v_and_b32_e32 v68, v68, v194
	v_not_b32_e32 v74, v75
	v_ashrrev_i32_e32 v72, 31, v72
	s_wait_alu 0xf1ff
	v_xor_b32_e32 v71, s15, v71
	v_cmp_gt_i32_e64 s15, 0, v75
	v_and_b32_e32 v68, v68, v70
	v_not_b32_e32 v70, v193
	v_ashrrev_i32_e32 v74, 31, v74
	s_wait_alu 0xfffd
	v_xor_b32_e32 v72, vcc_lo, v72
	v_cmp_gt_i32_e32 vcc_lo, 0, v193
	v_and_b32_e32 v68, v68, v71
	v_not_b32_e32 v71, v73
	v_ashrrev_i32_e32 v70, 31, v70
	s_wait_alu 0xf1ff
	v_xor_b32_e32 v74, s15, v74
	v_cmp_gt_i32_e64 s15, 0, v73
	v_and_b32_e32 v68, v68, v72
	v_ashrrev_i32_e32 v71, 31, v71
	s_wait_alu 0xfffd
	v_xor_b32_e32 v70, vcc_lo, v70
	v_mad_u32_u24 v72, v69, 36, v145
	v_mul_u32_u24_e32 v69, 36, v69
	v_and_b32_e32 v68, v68, v74
	s_wait_alu 0xf1ff
	v_xor_b32_e32 v71, s15, v71
	ds_load_b32 v193, v72 offset:1056
	v_add_nc_u32_e32 v195, v145, v69
	v_and_b32_e32 v68, v68, v70
	; wave barrier
	s_delay_alu instid0(VALU_DEP_1) | instskip(NEXT) | instid1(VALU_DEP_1)
	v_and_b32_e32 v68, v68, v71
	v_mbcnt_lo_u32_b32 v194, v68, 0
	v_cmp_ne_u32_e64 s15, 0, v68
	s_delay_alu instid0(VALU_DEP_2)
	v_cmp_eq_u32_e32 vcc_lo, 0, v194
	s_and_b32 s16, s15, vcc_lo
	s_wait_alu 0xfffe
	s_and_saveexec_b32 s15, s16
	s_cbranch_execz .LBB710_738
; %bb.737:                              ;   in Loop: Header=BB710_682 Depth=2
	s_wait_dscnt 0x0
	v_bcnt_u32_b32 v68, v68, v193
	ds_store_b32 v195, v68 offset:1056
.LBB710_738:                            ;   in Loop: Header=BB710_682 Depth=2
	s_wait_alu 0xfffe
	s_or_b32 exec_lo, exec_lo, s15
	v_xor_b32_e32 v59, 0x7fffffff, v59
	v_not_b32_e32 v58, v58
	; wave barrier
	s_delay_alu instid0(VALU_DEP_1) | instskip(NEXT) | instid1(VALU_DEP_1)
	v_lshrrev_b64 v[68:69], s31, v[58:59]
	v_and_b32_e32 v69, s54, v68
	s_delay_alu instid0(VALU_DEP_1)
	v_and_b32_e32 v68, 1, v69
	v_lshlrev_b32_e32 v70, 30, v69
	v_lshlrev_b32_e32 v71, 29, v69
	;; [unrolled: 1-line block ×4, first 2 shown]
	v_add_co_u32 v68, s15, v68, -1
	s_wait_alu 0xf1ff
	v_cndmask_b32_e64 v73, 0, 1, s15
	v_not_b32_e32 v197, v70
	v_cmp_gt_i32_e64 s15, 0, v70
	v_not_b32_e32 v70, v71
	v_lshlrev_b32_e32 v75, 26, v69
	v_cmp_ne_u32_e32 vcc_lo, 0, v73
	v_ashrrev_i32_e32 v197, 31, v197
	v_lshlrev_b32_e32 v196, 25, v69
	v_ashrrev_i32_e32 v70, 31, v70
	v_lshlrev_b32_e32 v73, 24, v69
	s_wait_alu 0xfffd
	v_xor_b32_e32 v68, vcc_lo, v68
	v_cmp_gt_i32_e32 vcc_lo, 0, v71
	v_not_b32_e32 v71, v72
	s_wait_alu 0xf1ff
	v_xor_b32_e32 v197, s15, v197
	v_cmp_gt_i32_e64 s15, 0, v72
	v_and_b32_e32 v68, exec_lo, v68
	v_not_b32_e32 v72, v74
	v_ashrrev_i32_e32 v71, 31, v71
	s_wait_alu 0xfffd
	v_xor_b32_e32 v70, vcc_lo, v70
	v_cmp_gt_i32_e32 vcc_lo, 0, v74
	v_and_b32_e32 v68, v68, v197
	v_not_b32_e32 v74, v75
	v_ashrrev_i32_e32 v72, 31, v72
	s_wait_alu 0xf1ff
	v_xor_b32_e32 v71, s15, v71
	v_cmp_gt_i32_e64 s15, 0, v75
	v_and_b32_e32 v68, v68, v70
	v_not_b32_e32 v70, v196
	v_ashrrev_i32_e32 v74, 31, v74
	s_wait_alu 0xfffd
	v_xor_b32_e32 v72, vcc_lo, v72
	v_cmp_gt_i32_e32 vcc_lo, 0, v196
	v_and_b32_e32 v68, v68, v71
	v_not_b32_e32 v71, v73
	v_ashrrev_i32_e32 v70, 31, v70
	s_wait_alu 0xf1ff
	v_xor_b32_e32 v74, s15, v74
	v_cmp_gt_i32_e64 s15, 0, v73
	v_and_b32_e32 v68, v68, v72
	v_ashrrev_i32_e32 v71, 31, v71
	s_wait_alu 0xfffd
	v_xor_b32_e32 v70, vcc_lo, v70
	v_mad_u32_u24 v72, v69, 36, v145
	v_mul_u32_u24_e32 v69, 36, v69
	v_and_b32_e32 v68, v68, v74
	s_wait_alu 0xf1ff
	v_xor_b32_e32 v71, s15, v71
	ds_load_b32 v196, v72 offset:1056
	v_add_nc_u32_e32 v198, v145, v69
	v_and_b32_e32 v68, v68, v70
	; wave barrier
	s_delay_alu instid0(VALU_DEP_1) | instskip(NEXT) | instid1(VALU_DEP_1)
	v_and_b32_e32 v68, v68, v71
	v_mbcnt_lo_u32_b32 v197, v68, 0
	v_cmp_ne_u32_e64 s15, 0, v68
	s_delay_alu instid0(VALU_DEP_2)
	v_cmp_eq_u32_e32 vcc_lo, 0, v197
	s_and_b32 s16, s15, vcc_lo
	s_wait_alu 0xfffe
	s_and_saveexec_b32 s15, s16
	s_cbranch_execz .LBB710_740
; %bb.739:                              ;   in Loop: Header=BB710_682 Depth=2
	s_wait_dscnt 0x0
	v_bcnt_u32_b32 v68, v68, v196
	ds_store_b32 v198, v68 offset:1056
.LBB710_740:                            ;   in Loop: Header=BB710_682 Depth=2
	s_wait_alu 0xfffe
	s_or_b32 exec_lo, exec_lo, s15
	v_xor_b32_e32 v55, 0x7fffffff, v55
	v_not_b32_e32 v54, v54
	; wave barrier
	s_delay_alu instid0(VALU_DEP_1) | instskip(NEXT) | instid1(VALU_DEP_1)
	v_lshrrev_b64 v[68:69], s31, v[54:55]
	v_and_b32_e32 v69, s54, v68
	s_delay_alu instid0(VALU_DEP_1)
	v_and_b32_e32 v68, 1, v69
	v_lshlrev_b32_e32 v70, 30, v69
	v_lshlrev_b32_e32 v71, 29, v69
	;; [unrolled: 1-line block ×4, first 2 shown]
	v_add_co_u32 v68, s15, v68, -1
	s_wait_alu 0xf1ff
	v_cndmask_b32_e64 v73, 0, 1, s15
	v_not_b32_e32 v200, v70
	v_cmp_gt_i32_e64 s15, 0, v70
	v_not_b32_e32 v70, v71
	v_lshlrev_b32_e32 v75, 26, v69
	v_cmp_ne_u32_e32 vcc_lo, 0, v73
	v_ashrrev_i32_e32 v200, 31, v200
	v_lshlrev_b32_e32 v199, 25, v69
	v_ashrrev_i32_e32 v70, 31, v70
	v_lshlrev_b32_e32 v73, 24, v69
	s_wait_alu 0xfffd
	v_xor_b32_e32 v68, vcc_lo, v68
	v_cmp_gt_i32_e32 vcc_lo, 0, v71
	v_not_b32_e32 v71, v72
	s_wait_alu 0xf1ff
	v_xor_b32_e32 v200, s15, v200
	v_cmp_gt_i32_e64 s15, 0, v72
	v_and_b32_e32 v68, exec_lo, v68
	v_not_b32_e32 v72, v74
	v_ashrrev_i32_e32 v71, 31, v71
	s_wait_alu 0xfffd
	v_xor_b32_e32 v70, vcc_lo, v70
	v_cmp_gt_i32_e32 vcc_lo, 0, v74
	v_and_b32_e32 v68, v68, v200
	v_not_b32_e32 v74, v75
	v_ashrrev_i32_e32 v72, 31, v72
	s_wait_alu 0xf1ff
	v_xor_b32_e32 v71, s15, v71
	v_cmp_gt_i32_e64 s15, 0, v75
	v_and_b32_e32 v68, v68, v70
	v_not_b32_e32 v70, v199
	v_ashrrev_i32_e32 v74, 31, v74
	s_wait_alu 0xfffd
	v_xor_b32_e32 v72, vcc_lo, v72
	v_cmp_gt_i32_e32 vcc_lo, 0, v199
	v_and_b32_e32 v68, v68, v71
	v_not_b32_e32 v71, v73
	v_ashrrev_i32_e32 v70, 31, v70
	s_wait_alu 0xf1ff
	v_xor_b32_e32 v74, s15, v74
	v_cmp_gt_i32_e64 s15, 0, v73
	v_and_b32_e32 v68, v68, v72
	v_ashrrev_i32_e32 v71, 31, v71
	s_wait_alu 0xfffd
	v_xor_b32_e32 v70, vcc_lo, v70
	v_mad_u32_u24 v72, v69, 36, v145
	v_mul_u32_u24_e32 v69, 36, v69
	v_and_b32_e32 v68, v68, v74
	s_wait_alu 0xf1ff
	v_xor_b32_e32 v71, s15, v71
	ds_load_b32 v199, v72 offset:1056
	v_add_nc_u32_e32 v201, v145, v69
	v_and_b32_e32 v68, v68, v70
	; wave barrier
	s_delay_alu instid0(VALU_DEP_1) | instskip(NEXT) | instid1(VALU_DEP_1)
	v_and_b32_e32 v68, v68, v71
	v_mbcnt_lo_u32_b32 v200, v68, 0
	v_cmp_ne_u32_e64 s15, 0, v68
	s_delay_alu instid0(VALU_DEP_2)
	v_cmp_eq_u32_e32 vcc_lo, 0, v200
	s_and_b32 s16, s15, vcc_lo
	s_wait_alu 0xfffe
	s_and_saveexec_b32 s15, s16
	s_cbranch_execz .LBB710_742
; %bb.741:                              ;   in Loop: Header=BB710_682 Depth=2
	s_wait_dscnt 0x0
	v_bcnt_u32_b32 v68, v68, v199
	ds_store_b32 v201, v68 offset:1056
.LBB710_742:                            ;   in Loop: Header=BB710_682 Depth=2
	s_wait_alu 0xfffe
	s_or_b32 exec_lo, exec_lo, s15
	v_xor_b32_e32 v51, 0x7fffffff, v51
	v_not_b32_e32 v50, v50
	; wave barrier
	s_delay_alu instid0(VALU_DEP_1) | instskip(NEXT) | instid1(VALU_DEP_1)
	v_lshrrev_b64 v[68:69], s31, v[50:51]
	v_and_b32_e32 v69, s54, v68
	s_delay_alu instid0(VALU_DEP_1)
	v_and_b32_e32 v68, 1, v69
	v_lshlrev_b32_e32 v70, 30, v69
	v_lshlrev_b32_e32 v71, 29, v69
	;; [unrolled: 1-line block ×4, first 2 shown]
	v_add_co_u32 v68, s15, v68, -1
	s_wait_alu 0xf1ff
	v_cndmask_b32_e64 v73, 0, 1, s15
	v_not_b32_e32 v203, v70
	v_cmp_gt_i32_e64 s15, 0, v70
	v_not_b32_e32 v70, v71
	v_lshlrev_b32_e32 v75, 26, v69
	v_cmp_ne_u32_e32 vcc_lo, 0, v73
	v_ashrrev_i32_e32 v203, 31, v203
	v_lshlrev_b32_e32 v202, 25, v69
	v_ashrrev_i32_e32 v70, 31, v70
	v_lshlrev_b32_e32 v73, 24, v69
	s_wait_alu 0xfffd
	v_xor_b32_e32 v68, vcc_lo, v68
	v_cmp_gt_i32_e32 vcc_lo, 0, v71
	v_not_b32_e32 v71, v72
	s_wait_alu 0xf1ff
	v_xor_b32_e32 v203, s15, v203
	v_cmp_gt_i32_e64 s15, 0, v72
	v_and_b32_e32 v68, exec_lo, v68
	v_not_b32_e32 v72, v74
	v_ashrrev_i32_e32 v71, 31, v71
	s_wait_alu 0xfffd
	v_xor_b32_e32 v70, vcc_lo, v70
	v_cmp_gt_i32_e32 vcc_lo, 0, v74
	v_and_b32_e32 v68, v68, v203
	v_not_b32_e32 v74, v75
	v_ashrrev_i32_e32 v72, 31, v72
	s_wait_alu 0xf1ff
	v_xor_b32_e32 v71, s15, v71
	v_cmp_gt_i32_e64 s15, 0, v75
	v_and_b32_e32 v68, v68, v70
	v_not_b32_e32 v70, v202
	v_ashrrev_i32_e32 v74, 31, v74
	s_wait_alu 0xfffd
	v_xor_b32_e32 v72, vcc_lo, v72
	v_cmp_gt_i32_e32 vcc_lo, 0, v202
	v_and_b32_e32 v68, v68, v71
	v_not_b32_e32 v71, v73
	v_ashrrev_i32_e32 v70, 31, v70
	s_wait_alu 0xf1ff
	v_xor_b32_e32 v74, s15, v74
	v_cmp_gt_i32_e64 s15, 0, v73
	v_and_b32_e32 v68, v68, v72
	v_ashrrev_i32_e32 v71, 31, v71
	s_wait_alu 0xfffd
	v_xor_b32_e32 v70, vcc_lo, v70
	v_mad_u32_u24 v72, v69, 36, v145
	v_mul_u32_u24_e32 v69, 36, v69
	v_and_b32_e32 v68, v68, v74
	s_wait_alu 0xf1ff
	v_xor_b32_e32 v71, s15, v71
	ds_load_b32 v202, v72 offset:1056
	v_add_nc_u32_e32 v205, v145, v69
	v_and_b32_e32 v68, v68, v70
	; wave barrier
	s_delay_alu instid0(VALU_DEP_1) | instskip(NEXT) | instid1(VALU_DEP_1)
	v_and_b32_e32 v68, v68, v71
	v_mbcnt_lo_u32_b32 v203, v68, 0
	v_cmp_ne_u32_e64 s15, 0, v68
	s_delay_alu instid0(VALU_DEP_2)
	v_cmp_eq_u32_e32 vcc_lo, 0, v203
	s_and_b32 s16, s15, vcc_lo
	s_wait_alu 0xfffe
	s_and_saveexec_b32 s15, s16
	s_cbranch_execz .LBB710_744
; %bb.743:                              ;   in Loop: Header=BB710_682 Depth=2
	s_wait_dscnt 0x0
	v_bcnt_u32_b32 v68, v68, v202
	ds_store_b32 v205, v68 offset:1056
.LBB710_744:                            ;   in Loop: Header=BB710_682 Depth=2
	s_wait_alu 0xfffe
	s_or_b32 exec_lo, exec_lo, s15
	v_xor_b32_e32 v49, 0x7fffffff, v49
	v_not_b32_e32 v48, v48
	; wave barrier
	s_delay_alu instid0(VALU_DEP_1) | instskip(NEXT) | instid1(VALU_DEP_1)
	v_lshrrev_b64 v[68:69], s31, v[48:49]
	v_and_b32_e32 v69, s54, v68
	s_delay_alu instid0(VALU_DEP_1)
	v_and_b32_e32 v68, 1, v69
	v_lshlrev_b32_e32 v70, 30, v69
	v_lshlrev_b32_e32 v71, 29, v69
	;; [unrolled: 1-line block ×4, first 2 shown]
	v_add_co_u32 v68, s15, v68, -1
	s_wait_alu 0xf1ff
	v_cndmask_b32_e64 v73, 0, 1, s15
	v_not_b32_e32 v206, v70
	v_cmp_gt_i32_e64 s15, 0, v70
	v_not_b32_e32 v70, v71
	v_lshlrev_b32_e32 v75, 26, v69
	v_cmp_ne_u32_e32 vcc_lo, 0, v73
	v_ashrrev_i32_e32 v206, 31, v206
	v_lshlrev_b32_e32 v204, 25, v69
	v_ashrrev_i32_e32 v70, 31, v70
	v_lshlrev_b32_e32 v73, 24, v69
	s_wait_alu 0xfffd
	v_xor_b32_e32 v68, vcc_lo, v68
	v_cmp_gt_i32_e32 vcc_lo, 0, v71
	v_not_b32_e32 v71, v72
	s_wait_alu 0xf1ff
	v_xor_b32_e32 v206, s15, v206
	v_cmp_gt_i32_e64 s15, 0, v72
	v_and_b32_e32 v68, exec_lo, v68
	v_not_b32_e32 v72, v74
	v_ashrrev_i32_e32 v71, 31, v71
	s_wait_alu 0xfffd
	v_xor_b32_e32 v70, vcc_lo, v70
	v_cmp_gt_i32_e32 vcc_lo, 0, v74
	v_and_b32_e32 v68, v68, v206
	v_not_b32_e32 v74, v75
	v_ashrrev_i32_e32 v72, 31, v72
	s_wait_alu 0xf1ff
	v_xor_b32_e32 v71, s15, v71
	v_cmp_gt_i32_e64 s15, 0, v75
	v_and_b32_e32 v68, v68, v70
	v_not_b32_e32 v70, v204
	v_ashrrev_i32_e32 v74, 31, v74
	s_wait_alu 0xfffd
	v_xor_b32_e32 v72, vcc_lo, v72
	v_cmp_gt_i32_e32 vcc_lo, 0, v204
	v_and_b32_e32 v68, v68, v71
	v_not_b32_e32 v71, v73
	v_ashrrev_i32_e32 v70, 31, v70
	s_wait_alu 0xf1ff
	v_xor_b32_e32 v74, s15, v74
	v_cmp_gt_i32_e64 s15, 0, v73
	v_and_b32_e32 v68, v68, v72
	v_ashrrev_i32_e32 v71, 31, v71
	s_wait_alu 0xfffd
	v_xor_b32_e32 v70, vcc_lo, v70
	v_mad_u32_u24 v72, v69, 36, v145
	v_mul_u32_u24_e32 v69, 36, v69
	v_and_b32_e32 v68, v68, v74
	s_wait_alu 0xf1ff
	v_xor_b32_e32 v71, s15, v71
	ds_load_b32 v204, v72 offset:1056
	v_add_nc_u32_e32 v208, v145, v69
	v_and_b32_e32 v68, v68, v70
	; wave barrier
	s_delay_alu instid0(VALU_DEP_1) | instskip(NEXT) | instid1(VALU_DEP_1)
	v_and_b32_e32 v68, v68, v71
	v_mbcnt_lo_u32_b32 v206, v68, 0
	v_cmp_ne_u32_e64 s15, 0, v68
	s_delay_alu instid0(VALU_DEP_2)
	v_cmp_eq_u32_e32 vcc_lo, 0, v206
	s_and_b32 s16, s15, vcc_lo
	s_wait_alu 0xfffe
	s_and_saveexec_b32 s15, s16
	s_cbranch_execz .LBB710_746
; %bb.745:                              ;   in Loop: Header=BB710_682 Depth=2
	s_wait_dscnt 0x0
	v_bcnt_u32_b32 v68, v68, v204
	ds_store_b32 v208, v68 offset:1056
.LBB710_746:                            ;   in Loop: Header=BB710_682 Depth=2
	s_wait_alu 0xfffe
	s_or_b32 exec_lo, exec_lo, s15
	v_xor_b32_e32 v45, 0x7fffffff, v45
	v_not_b32_e32 v44, v44
	; wave barrier
	s_delay_alu instid0(VALU_DEP_1) | instskip(NEXT) | instid1(VALU_DEP_1)
	v_lshrrev_b64 v[68:69], s31, v[44:45]
	v_and_b32_e32 v69, s54, v68
	s_delay_alu instid0(VALU_DEP_1)
	v_and_b32_e32 v68, 1, v69
	v_lshlrev_b32_e32 v70, 30, v69
	v_lshlrev_b32_e32 v71, 29, v69
	;; [unrolled: 1-line block ×4, first 2 shown]
	v_add_co_u32 v68, s15, v68, -1
	s_wait_alu 0xf1ff
	v_cndmask_b32_e64 v73, 0, 1, s15
	v_not_b32_e32 v209, v70
	v_cmp_gt_i32_e64 s15, 0, v70
	v_not_b32_e32 v70, v71
	v_lshlrev_b32_e32 v75, 26, v69
	v_cmp_ne_u32_e32 vcc_lo, 0, v73
	v_ashrrev_i32_e32 v209, 31, v209
	v_lshlrev_b32_e32 v207, 25, v69
	v_ashrrev_i32_e32 v70, 31, v70
	v_lshlrev_b32_e32 v73, 24, v69
	s_wait_alu 0xfffd
	v_xor_b32_e32 v68, vcc_lo, v68
	v_cmp_gt_i32_e32 vcc_lo, 0, v71
	v_not_b32_e32 v71, v72
	s_wait_alu 0xf1ff
	v_xor_b32_e32 v209, s15, v209
	v_cmp_gt_i32_e64 s15, 0, v72
	v_and_b32_e32 v68, exec_lo, v68
	v_not_b32_e32 v72, v74
	v_ashrrev_i32_e32 v71, 31, v71
	s_wait_alu 0xfffd
	v_xor_b32_e32 v70, vcc_lo, v70
	v_cmp_gt_i32_e32 vcc_lo, 0, v74
	v_and_b32_e32 v68, v68, v209
	v_not_b32_e32 v74, v75
	v_ashrrev_i32_e32 v72, 31, v72
	s_wait_alu 0xf1ff
	v_xor_b32_e32 v71, s15, v71
	v_cmp_gt_i32_e64 s15, 0, v75
	v_and_b32_e32 v68, v68, v70
	v_not_b32_e32 v70, v207
	v_ashrrev_i32_e32 v74, 31, v74
	s_wait_alu 0xfffd
	v_xor_b32_e32 v72, vcc_lo, v72
	v_cmp_gt_i32_e32 vcc_lo, 0, v207
	v_and_b32_e32 v68, v68, v71
	v_not_b32_e32 v71, v73
	v_ashrrev_i32_e32 v70, 31, v70
	s_wait_alu 0xf1ff
	v_xor_b32_e32 v74, s15, v74
	v_cmp_gt_i32_e64 s15, 0, v73
	v_and_b32_e32 v68, v68, v72
	v_ashrrev_i32_e32 v71, 31, v71
	s_wait_alu 0xfffd
	v_xor_b32_e32 v70, vcc_lo, v70
	v_mad_u32_u24 v72, v69, 36, v145
	v_mul_u32_u24_e32 v69, 36, v69
	v_and_b32_e32 v68, v68, v74
	s_wait_alu 0xf1ff
	v_xor_b32_e32 v71, s15, v71
	ds_load_b32 v207, v72 offset:1056
	v_add_nc_u32_e32 v212, v145, v69
	v_and_b32_e32 v68, v68, v70
	; wave barrier
	s_delay_alu instid0(VALU_DEP_1) | instskip(NEXT) | instid1(VALU_DEP_1)
	v_and_b32_e32 v68, v68, v71
	v_mbcnt_lo_u32_b32 v209, v68, 0
	v_cmp_ne_u32_e64 s15, 0, v68
	s_delay_alu instid0(VALU_DEP_2)
	v_cmp_eq_u32_e32 vcc_lo, 0, v209
	s_and_b32 s16, s15, vcc_lo
	s_wait_alu 0xfffe
	s_and_saveexec_b32 s15, s16
	s_cbranch_execz .LBB710_748
; %bb.747:                              ;   in Loop: Header=BB710_682 Depth=2
	s_wait_dscnt 0x0
	v_bcnt_u32_b32 v68, v68, v207
	ds_store_b32 v212, v68 offset:1056
.LBB710_748:                            ;   in Loop: Header=BB710_682 Depth=2
	s_wait_alu 0xfffe
	s_or_b32 exec_lo, exec_lo, s15
	v_lshrrev_b64 v[68:69], s31, v[36:37]
	; wave barrier
	s_delay_alu instid0(VALU_DEP_1) | instskip(NEXT) | instid1(VALU_DEP_1)
	v_and_b32_e32 v69, s54, v68
	v_and_b32_e32 v68, 1, v69
	v_lshlrev_b32_e32 v70, 30, v69
	v_lshlrev_b32_e32 v71, 29, v69
	;; [unrolled: 1-line block ×4, first 2 shown]
	v_add_co_u32 v68, s15, v68, -1
	s_wait_alu 0xf1ff
	v_cndmask_b32_e64 v73, 0, 1, s15
	v_not_b32_e32 v211, v70
	v_cmp_gt_i32_e64 s15, 0, v70
	v_not_b32_e32 v70, v71
	v_lshlrev_b32_e32 v75, 26, v69
	v_cmp_ne_u32_e32 vcc_lo, 0, v73
	v_ashrrev_i32_e32 v211, 31, v211
	v_lshlrev_b32_e32 v210, 25, v69
	v_ashrrev_i32_e32 v70, 31, v70
	v_lshlrev_b32_e32 v73, 24, v69
	s_wait_alu 0xfffd
	v_xor_b32_e32 v68, vcc_lo, v68
	v_cmp_gt_i32_e32 vcc_lo, 0, v71
	v_not_b32_e32 v71, v72
	s_wait_alu 0xf1ff
	v_xor_b32_e32 v211, s15, v211
	v_cmp_gt_i32_e64 s15, 0, v72
	v_and_b32_e32 v68, exec_lo, v68
	v_not_b32_e32 v72, v74
	v_ashrrev_i32_e32 v71, 31, v71
	s_wait_alu 0xfffd
	v_xor_b32_e32 v70, vcc_lo, v70
	v_cmp_gt_i32_e32 vcc_lo, 0, v74
	v_and_b32_e32 v68, v68, v211
	v_not_b32_e32 v74, v75
	v_ashrrev_i32_e32 v72, 31, v72
	s_wait_alu 0xf1ff
	v_xor_b32_e32 v71, s15, v71
	v_cmp_gt_i32_e64 s15, 0, v75
	v_and_b32_e32 v68, v68, v70
	v_not_b32_e32 v70, v210
	v_ashrrev_i32_e32 v74, 31, v74
	s_wait_alu 0xfffd
	v_xor_b32_e32 v72, vcc_lo, v72
	v_cmp_gt_i32_e32 vcc_lo, 0, v210
	v_and_b32_e32 v68, v68, v71
	v_not_b32_e32 v71, v73
	v_ashrrev_i32_e32 v70, 31, v70
	s_wait_alu 0xf1ff
	v_xor_b32_e32 v74, s15, v74
	v_cmp_gt_i32_e64 s15, 0, v73
	v_and_b32_e32 v68, v68, v72
	v_ashrrev_i32_e32 v71, 31, v71
	s_wait_alu 0xfffd
	v_xor_b32_e32 v70, vcc_lo, v70
	v_mad_u32_u24 v72, v69, 36, v145
	v_mul_u32_u24_e32 v69, 36, v69
	v_and_b32_e32 v68, v68, v74
	s_wait_alu 0xf1ff
	v_xor_b32_e32 v71, s15, v71
	ds_load_b32 v210, v72 offset:1056
	v_add_nc_u32_e32 v213, v145, v69
	v_and_b32_e32 v68, v68, v70
	; wave barrier
	s_delay_alu instid0(VALU_DEP_1) | instskip(NEXT) | instid1(VALU_DEP_1)
	v_and_b32_e32 v68, v68, v71
	v_mbcnt_lo_u32_b32 v211, v68, 0
	v_cmp_ne_u32_e64 s15, 0, v68
	s_delay_alu instid0(VALU_DEP_2)
	v_cmp_eq_u32_e32 vcc_lo, 0, v211
	s_and_b32 s16, s15, vcc_lo
	s_wait_alu 0xfffe
	s_and_saveexec_b32 s15, s16
	s_cbranch_execz .LBB710_750
; %bb.749:                              ;   in Loop: Header=BB710_682 Depth=2
	s_wait_dscnt 0x0
	v_bcnt_u32_b32 v68, v68, v210
	ds_store_b32 v213, v68 offset:1056
.LBB710_750:                            ;   in Loop: Header=BB710_682 Depth=2
	s_wait_alu 0xfffe
	s_or_b32 exec_lo, exec_lo, s15
	; wave barrier
	s_wait_loadcnt_dscnt 0x0
	s_barrier_signal -1
	s_barrier_wait -1
	global_inv scope:SCOPE_SE
	ds_load_2addr_b32 v[74:75], v165 offset1:1
	ds_load_2addr_b32 v[72:73], v166 offset1:1
	;; [unrolled: 1-line block ×4, first 2 shown]
	ds_load_b32 v214, v100 offset:1088
	s_wait_dscnt 0x3
	v_add3_u32 v215, v75, v74, v72
	s_wait_dscnt 0x2
	s_delay_alu instid0(VALU_DEP_1) | instskip(SKIP_1) | instid1(VALU_DEP_1)
	v_add3_u32 v215, v215, v73, v70
	s_wait_dscnt 0x1
	v_add3_u32 v215, v215, v71, v68
	s_wait_dscnt 0x0
	s_delay_alu instid0(VALU_DEP_1) | instskip(NEXT) | instid1(VALU_DEP_1)
	v_add3_u32 v214, v215, v69, v214
	v_mov_b32_dpp v215, v214 row_shr:1 row_mask:0xf bank_mask:0xf
	s_delay_alu instid0(VALU_DEP_1) | instskip(NEXT) | instid1(VALU_DEP_1)
	v_cndmask_b32_e64 v215, v215, 0, s0
	v_add_nc_u32_e32 v214, v215, v214
	s_delay_alu instid0(VALU_DEP_1) | instskip(NEXT) | instid1(VALU_DEP_1)
	v_mov_b32_dpp v215, v214 row_shr:2 row_mask:0xf bank_mask:0xf
	v_cndmask_b32_e64 v215, 0, v215, s1
	s_delay_alu instid0(VALU_DEP_1) | instskip(NEXT) | instid1(VALU_DEP_1)
	v_add_nc_u32_e32 v214, v214, v215
	v_mov_b32_dpp v215, v214 row_shr:4 row_mask:0xf bank_mask:0xf
	s_delay_alu instid0(VALU_DEP_1) | instskip(NEXT) | instid1(VALU_DEP_1)
	v_cndmask_b32_e64 v215, 0, v215, s8
	v_add_nc_u32_e32 v214, v214, v215
	s_delay_alu instid0(VALU_DEP_1) | instskip(NEXT) | instid1(VALU_DEP_1)
	v_mov_b32_dpp v215, v214 row_shr:8 row_mask:0xf bank_mask:0xf
	v_cndmask_b32_e64 v215, 0, v215, s9
	s_delay_alu instid0(VALU_DEP_1) | instskip(SKIP_3) | instid1(VALU_DEP_1)
	v_add_nc_u32_e32 v214, v214, v215
	ds_swizzle_b32 v215, v214 offset:swizzle(BROADCAST,32,15)
	s_wait_dscnt 0x0
	v_cndmask_b32_e64 v215, v215, 0, s10
	v_add_nc_u32_e32 v214, v214, v215
	s_and_saveexec_b32 s15, s3
; %bb.751:                              ;   in Loop: Header=BB710_682 Depth=2
	ds_store_b32 v95, v214 offset:1024
; %bb.752:                              ;   in Loop: Header=BB710_682 Depth=2
	s_wait_alu 0xfffe
	s_or_b32 exec_lo, exec_lo, s15
	s_wait_loadcnt_dscnt 0x0
	s_barrier_signal -1
	s_barrier_wait -1
	global_inv scope:SCOPE_SE
	s_and_saveexec_b32 s15, s4
	s_cbranch_execz .LBB710_754
; %bb.753:                              ;   in Loop: Header=BB710_682 Depth=2
	ds_load_b32 v215, v103 offset:1024
	s_wait_dscnt 0x0
	v_mov_b32_dpp v216, v215 row_shr:1 row_mask:0xf bank_mask:0xf
	s_delay_alu instid0(VALU_DEP_1) | instskip(NEXT) | instid1(VALU_DEP_1)
	v_cndmask_b32_e64 v216, v216, 0, s12
	v_add_nc_u32_e32 v215, v216, v215
	s_delay_alu instid0(VALU_DEP_1) | instskip(NEXT) | instid1(VALU_DEP_1)
	v_mov_b32_dpp v216, v215 row_shr:2 row_mask:0xf bank_mask:0xf
	v_cndmask_b32_e64 v216, 0, v216, s13
	s_delay_alu instid0(VALU_DEP_1) | instskip(NEXT) | instid1(VALU_DEP_1)
	v_add_nc_u32_e32 v215, v215, v216
	v_mov_b32_dpp v216, v215 row_shr:4 row_mask:0xf bank_mask:0xf
	s_delay_alu instid0(VALU_DEP_1) | instskip(NEXT) | instid1(VALU_DEP_1)
	v_cndmask_b32_e64 v216, 0, v216, s14
	v_add_nc_u32_e32 v215, v215, v216
	ds_store_b32 v103, v215 offset:1024
.LBB710_754:                            ;   in Loop: Header=BB710_682 Depth=2
	s_wait_alu 0xfffe
	s_or_b32 exec_lo, exec_lo, s15
	v_mov_b32_e32 v215, 0
	s_wait_loadcnt_dscnt 0x0
	s_barrier_signal -1
	s_barrier_wait -1
	global_inv scope:SCOPE_SE
	s_and_saveexec_b32 s15, s5
; %bb.755:                              ;   in Loop: Header=BB710_682 Depth=2
	ds_load_b32 v215, v95 offset:1020
; %bb.756:                              ;   in Loop: Header=BB710_682 Depth=2
	s_wait_alu 0xfffe
	s_or_b32 exec_lo, exec_lo, s15
	s_wait_dscnt 0x0
	v_add_nc_u32_e32 v214, v215, v214
	ds_bpermute_b32 v214, v124, v214
	s_wait_dscnt 0x0
	v_cndmask_b32_e64 v214, v214, v215, s11
	s_delay_alu instid0(VALU_DEP_1) | instskip(NEXT) | instid1(VALU_DEP_1)
	v_cndmask_b32_e64 v214, v214, 0, s6
	v_add_nc_u32_e32 v74, v214, v74
	s_delay_alu instid0(VALU_DEP_1) | instskip(NEXT) | instid1(VALU_DEP_1)
	v_add_nc_u32_e32 v75, v74, v75
	v_add_nc_u32_e32 v72, v75, v72
	s_delay_alu instid0(VALU_DEP_1) | instskip(NEXT) | instid1(VALU_DEP_1)
	v_add_nc_u32_e32 v73, v72, v73
	;; [unrolled: 3-line block ×3, first 2 shown]
	v_add_nc_u32_e32 v68, v71, v68
	s_delay_alu instid0(VALU_DEP_1)
	v_add_nc_u32_e32 v69, v68, v69
	ds_store_2addr_b32 v164, v71, v68 offset1:1
	ds_store_2addr_b32 v165, v214, v74 offset1:1
	;; [unrolled: 1-line block ×4, first 2 shown]
	ds_store_b32 v100, v69 offset:1088
	s_wait_loadcnt_dscnt 0x0
	s_barrier_signal -1
	s_barrier_wait -1
	global_inv scope:SCOPE_SE
	ds_load_b32 v69, v168 offset:1056
	ds_load_b32 v215, v171 offset:1056
	;; [unrolled: 1-line block ×17, first 2 shown]
	v_mov_b32_e32 v68, 0x1000
	s_and_saveexec_b32 s15, s7
; %bb.757:                              ;   in Loop: Header=BB710_682 Depth=2
	ds_load_b32 v68, v100 offset:1092
; %bb.758:                              ;   in Loop: Header=BB710_682 Depth=2
	s_wait_alu 0xfffe
	s_or_b32 exec_lo, exec_lo, s15
	s_wait_loadcnt_dscnt 0x0
	s_barrier_signal -1
	s_barrier_wait -1
	global_inv scope:SCOPE_SE
	s_and_saveexec_b32 s15, s2
	s_cbranch_execz .LBB710_760
; %bb.759:                              ;   in Loop: Header=BB710_682 Depth=2
	ds_load_b32 v180, v76
	s_wait_dscnt 0x0
	v_sub_nc_u32_e32 v177, v180, v177
	ds_store_b32 v76, v177
.LBB710_760:                            ;   in Loop: Header=BB710_682 Depth=2
	s_wait_alu 0xfffe
	s_or_b32 exec_lo, exec_lo, s15
	v_lshlrev_b32_e32 v163, 3, v163
	v_lshlrev_b32_e32 v170, 3, v170
	;; [unrolled: 1-line block ×5, first 2 shown]
	v_lshl_add_u32 v69, v69, 3, v163
	v_lshlrev_b32_e32 v163, 3, v172
	v_lshlrev_b32_e32 v172, 3, v214
	v_lshlrev_b32_e32 v176, 3, v176
	v_lshlrev_b32_e32 v175, 3, v175
	v_lshlrev_b32_e32 v72, 3, v72
	v_lshlrev_b32_e32 v179, 3, v179
	v_lshlrev_b32_e32 v178, 3, v178
	v_lshlrev_b32_e32 v71, 3, v71
	v_lshlrev_b32_e32 v180, 3, v182
	v_lshlrev_b32_e32 v181, 3, v181
	v_lshlrev_b32_e32 v182, 3, v70
	ds_store_b64 v69, v[38:39] offset:1024
	v_add3_u32 v38, v170, v169, v177
	v_add3_u32 v39, v173, v163, v172
	;; [unrolled: 1-line block ×5, first 2 shown]
	ds_store_b64 v38, v[40:41] offset:1024
	ds_store_b64 v39, v[42:43] offset:1024
	;; [unrolled: 1-line block ×5, first 2 shown]
	v_lshlrev_b32_e32 v40, 3, v185
	v_lshlrev_b32_e32 v41, 3, v184
	v_lshlrev_b32_e32 v42, 3, v174
	v_lshlrev_b32_e32 v43, 3, v188
	v_lshlrev_b32_e32 v46, 3, v187
	v_lshlrev_b32_e32 v47, 3, v171
	v_lshlrev_b32_e32 v52, 3, v191
	v_lshlrev_b32_e32 v53, 3, v190
	v_lshlrev_b32_e32 v56, 3, v168
	v_lshlrev_b32_e32 v57, 3, v194
	v_lshlrev_b32_e32 v163, 3, v193
	v_lshlrev_b32_e32 v167, 3, v167
	v_lshlrev_b32_e32 v168, 3, v197
	v_lshlrev_b32_e32 v169, 3, v196
	v_lshlrev_b32_e32 v166, 3, v166
	v_add3_u32 v40, v40, v41, v42
	v_add3_u32 v41, v43, v46, v47
	;; [unrolled: 1-line block ×5, first 2 shown]
	ds_store_b64 v40, v[60:61] offset:1024
	ds_store_b64 v41, v[64:65] offset:1024
	;; [unrolled: 1-line block ×5, first 2 shown]
	v_lshlrev_b32_e32 v47, 3, v200
	v_lshlrev_b32_e32 v52, 3, v199
	;; [unrolled: 1-line block ×15, first 2 shown]
	v_add3_u32 v47, v47, v52, v53
	v_add3_u32 v52, v56, v57, v58
	;; [unrolled: 1-line block ×5, first 2 shown]
	v_cmp_lt_u32_e32 vcc_lo, v1, v162
	ds_store_b64 v47, v[54:55] offset:1024
	ds_store_b64 v52, v[50:51] offset:1024
	;; [unrolled: 1-line block ×5, first 2 shown]
	s_wait_loadcnt_dscnt 0x0
	s_barrier_signal -1
	s_barrier_wait -1
	global_inv scope:SCOPE_SE
	s_and_saveexec_b32 s16, vcc_lo
	s_cbranch_execnz .LBB710_829
; %bb.761:                              ;   in Loop: Header=BB710_682 Depth=2
	s_wait_alu 0xfffe
	s_or_b32 exec_lo, exec_lo, s16
	v_cmp_lt_u32_e64 s15, v77, v162
	s_and_saveexec_b32 s17, s15
	s_cbranch_execnz .LBB710_830
.LBB710_762:                            ;   in Loop: Header=BB710_682 Depth=2
	s_wait_alu 0xfffe
	s_or_b32 exec_lo, exec_lo, s17
	v_cmp_lt_u32_e64 s16, v78, v162
	s_and_saveexec_b32 s18, s16
	s_cbranch_execnz .LBB710_831
.LBB710_763:                            ;   in Loop: Header=BB710_682 Depth=2
	s_wait_alu 0xfffe
	s_or_b32 exec_lo, exec_lo, s18
	v_cmp_lt_u32_e64 s17, v79, v162
	s_and_saveexec_b32 s19, s17
	s_cbranch_execnz .LBB710_832
.LBB710_764:                            ;   in Loop: Header=BB710_682 Depth=2
	s_wait_alu 0xfffe
	s_or_b32 exec_lo, exec_lo, s19
	v_cmp_lt_u32_e64 s18, v82, v162
	s_and_saveexec_b32 s20, s18
	s_cbranch_execnz .LBB710_833
.LBB710_765:                            ;   in Loop: Header=BB710_682 Depth=2
	s_wait_alu 0xfffe
	s_or_b32 exec_lo, exec_lo, s20
	v_cmp_lt_u32_e64 s19, v83, v162
	s_and_saveexec_b32 s21, s19
	s_cbranch_execnz .LBB710_834
.LBB710_766:                            ;   in Loop: Header=BB710_682 Depth=2
	s_wait_alu 0xfffe
	s_or_b32 exec_lo, exec_lo, s21
	v_cmp_lt_u32_e64 s20, v84, v162
	s_and_saveexec_b32 s22, s20
	s_cbranch_execnz .LBB710_835
.LBB710_767:                            ;   in Loop: Header=BB710_682 Depth=2
	s_wait_alu 0xfffe
	s_or_b32 exec_lo, exec_lo, s22
	v_cmp_lt_u32_e64 s21, v85, v162
	s_and_saveexec_b32 s23, s21
	s_cbranch_execnz .LBB710_836
.LBB710_768:                            ;   in Loop: Header=BB710_682 Depth=2
	s_wait_alu 0xfffe
	s_or_b32 exec_lo, exec_lo, s23
	v_cmp_lt_u32_e64 s22, v86, v162
	s_and_saveexec_b32 s24, s22
	s_cbranch_execnz .LBB710_837
.LBB710_769:                            ;   in Loop: Header=BB710_682 Depth=2
	s_wait_alu 0xfffe
	s_or_b32 exec_lo, exec_lo, s24
	v_cmp_lt_u32_e64 s23, v87, v162
	s_and_saveexec_b32 s25, s23
	s_cbranch_execnz .LBB710_838
.LBB710_770:                            ;   in Loop: Header=BB710_682 Depth=2
	s_wait_alu 0xfffe
	s_or_b32 exec_lo, exec_lo, s25
	v_cmp_lt_u32_e64 s24, v88, v162
	s_and_saveexec_b32 s26, s24
	s_cbranch_execnz .LBB710_839
.LBB710_771:                            ;   in Loop: Header=BB710_682 Depth=2
	s_wait_alu 0xfffe
	s_or_b32 exec_lo, exec_lo, s26
	v_cmp_lt_u32_e64 s25, v89, v162
	s_and_saveexec_b32 s27, s25
	s_cbranch_execnz .LBB710_840
.LBB710_772:                            ;   in Loop: Header=BB710_682 Depth=2
	s_wait_alu 0xfffe
	s_or_b32 exec_lo, exec_lo, s27
	v_cmp_lt_u32_e64 s26, v90, v162
	s_and_saveexec_b32 s28, s26
	s_cbranch_execnz .LBB710_841
.LBB710_773:                            ;   in Loop: Header=BB710_682 Depth=2
	s_wait_alu 0xfffe
	s_or_b32 exec_lo, exec_lo, s28
	v_cmp_lt_u32_e64 s27, v91, v162
	s_and_saveexec_b32 s29, s27
	s_cbranch_execnz .LBB710_842
.LBB710_774:                            ;   in Loop: Header=BB710_682 Depth=2
	s_wait_alu 0xfffe
	s_or_b32 exec_lo, exec_lo, s29
	v_cmp_lt_u32_e64 s28, v92, v162
	s_and_saveexec_b32 s30, s28
	s_cbranch_execnz .LBB710_843
.LBB710_775:                            ;   in Loop: Header=BB710_682 Depth=2
	s_wait_alu 0xfffe
	s_or_b32 exec_lo, exec_lo, s30
	v_cmp_lt_u32_e64 s29, v93, v162
	s_and_saveexec_b32 s57, s29
	s_cbranch_execz .LBB710_777
.LBB710_776:                            ;   in Loop: Header=BB710_682 Depth=2
	ds_load_b64 v[36:37], v108 offset:31744
	s_wait_dscnt 0x0
	v_lshrrev_b64 v[44:45], s31, v[36:37]
	v_xor_b32_e32 v37, 0x7fffffff, v37
	v_not_b32_e32 v36, v36
	s_delay_alu instid0(VALU_DEP_3) | instskip(NEXT) | instid1(VALU_DEP_1)
	v_dual_mov_b32 v45, v2 :: v_dual_and_b32 v44, s54, v44
	v_lshlrev_b32_e32 v44, 2, v44
	ds_load_b32 v44, v44
	s_wait_dscnt 0x0
	v_add_nc_u32_e32 v44, v44, v93
	s_delay_alu instid0(VALU_DEP_1) | instskip(NEXT) | instid1(VALU_DEP_1)
	v_lshlrev_b64_e32 v[44:45], 3, v[44:45]
	v_add_co_u32 v44, s30, s38, v44
	s_wait_alu 0xf1ff
	s_delay_alu instid0(VALU_DEP_2)
	v_add_co_ci_u32_e64 v45, null, s39, v45, s30
	global_store_b64 v[44:45], v[36:37], off
.LBB710_777:                            ;   in Loop: Header=BB710_682 Depth=2
	s_wait_alu 0xfffe
	s_or_b32 exec_lo, exec_lo, s57
	s_lshl_b64 s[58:59], s[34:35], 3
	s_wait_alu 0xfffe
	v_add_co_u32 v36, s30, v126, s58
	s_wait_alu 0xf1ff
	v_add_co_ci_u32_e64 v37, null, s59, v127, s30
	v_cmp_lt_u32_e64 s30, v125, v162
	s_and_saveexec_b32 s34, s30
	s_wait_alu 0xfffe
	s_xor_b32 s30, exec_lo, s34
	s_cbranch_execnz .LBB710_844
; %bb.778:                              ;   in Loop: Header=BB710_682 Depth=2
	s_wait_alu 0xfffe
	s_or_b32 exec_lo, exec_lo, s30
	s_delay_alu instid0(SALU_CYCLE_1)
	s_mov_b32 s34, exec_lo
	v_cmpx_lt_u32_e64 v128, v162
	s_cbranch_execnz .LBB710_845
.LBB710_779:                            ;   in Loop: Header=BB710_682 Depth=2
	s_wait_alu 0xfffe
	s_or_b32 exec_lo, exec_lo, s34
	s_delay_alu instid0(SALU_CYCLE_1)
	s_mov_b32 s34, exec_lo
	v_cmpx_lt_u32_e64 v129, v162
	s_cbranch_execnz .LBB710_846
.LBB710_780:                            ;   in Loop: Header=BB710_682 Depth=2
	s_wait_alu 0xfffe
	s_or_b32 exec_lo, exec_lo, s34
	s_delay_alu instid0(SALU_CYCLE_1)
	s_mov_b32 s34, exec_lo
	v_cmpx_lt_u32_e64 v130, v162
	s_cbranch_execnz .LBB710_847
.LBB710_781:                            ;   in Loop: Header=BB710_682 Depth=2
	s_wait_alu 0xfffe
	s_or_b32 exec_lo, exec_lo, s34
	s_delay_alu instid0(SALU_CYCLE_1)
	s_mov_b32 s34, exec_lo
	v_cmpx_lt_u32_e64 v131, v162
	s_cbranch_execnz .LBB710_848
.LBB710_782:                            ;   in Loop: Header=BB710_682 Depth=2
	s_wait_alu 0xfffe
	s_or_b32 exec_lo, exec_lo, s34
	s_delay_alu instid0(SALU_CYCLE_1)
	s_mov_b32 s34, exec_lo
	v_cmpx_lt_u32_e64 v132, v162
	s_cbranch_execnz .LBB710_849
.LBB710_783:                            ;   in Loop: Header=BB710_682 Depth=2
	s_wait_alu 0xfffe
	s_or_b32 exec_lo, exec_lo, s34
	s_delay_alu instid0(SALU_CYCLE_1)
	s_mov_b32 s34, exec_lo
	v_cmpx_lt_u32_e64 v133, v162
	s_cbranch_execnz .LBB710_850
.LBB710_784:                            ;   in Loop: Header=BB710_682 Depth=2
	s_wait_alu 0xfffe
	s_or_b32 exec_lo, exec_lo, s34
	s_delay_alu instid0(SALU_CYCLE_1)
	s_mov_b32 s34, exec_lo
	v_cmpx_lt_u32_e64 v134, v162
	s_cbranch_execnz .LBB710_851
.LBB710_785:                            ;   in Loop: Header=BB710_682 Depth=2
	s_wait_alu 0xfffe
	s_or_b32 exec_lo, exec_lo, s34
	s_delay_alu instid0(SALU_CYCLE_1)
	s_mov_b32 s34, exec_lo
	v_cmpx_lt_u32_e64 v135, v162
	s_cbranch_execnz .LBB710_852
.LBB710_786:                            ;   in Loop: Header=BB710_682 Depth=2
	s_wait_alu 0xfffe
	s_or_b32 exec_lo, exec_lo, s34
	s_delay_alu instid0(SALU_CYCLE_1)
	s_mov_b32 s34, exec_lo
	v_cmpx_lt_u32_e64 v136, v162
	s_cbranch_execnz .LBB710_853
.LBB710_787:                            ;   in Loop: Header=BB710_682 Depth=2
	s_wait_alu 0xfffe
	s_or_b32 exec_lo, exec_lo, s34
	s_delay_alu instid0(SALU_CYCLE_1)
	s_mov_b32 s34, exec_lo
	v_cmpx_lt_u32_e64 v137, v162
	s_cbranch_execnz .LBB710_854
.LBB710_788:                            ;   in Loop: Header=BB710_682 Depth=2
	s_wait_alu 0xfffe
	s_or_b32 exec_lo, exec_lo, s34
	s_delay_alu instid0(SALU_CYCLE_1)
	s_mov_b32 s34, exec_lo
	v_cmpx_lt_u32_e64 v138, v162
	s_cbranch_execnz .LBB710_855
.LBB710_789:                            ;   in Loop: Header=BB710_682 Depth=2
	s_wait_alu 0xfffe
	s_or_b32 exec_lo, exec_lo, s34
	s_delay_alu instid0(SALU_CYCLE_1)
	s_mov_b32 s34, exec_lo
	v_cmpx_lt_u32_e64 v139, v162
	s_cbranch_execnz .LBB710_856
.LBB710_790:                            ;   in Loop: Header=BB710_682 Depth=2
	s_wait_alu 0xfffe
	s_or_b32 exec_lo, exec_lo, s34
	s_delay_alu instid0(SALU_CYCLE_1)
	s_mov_b32 s34, exec_lo
	v_cmpx_lt_u32_e64 v140, v162
	s_cbranch_execnz .LBB710_857
.LBB710_791:                            ;   in Loop: Header=BB710_682 Depth=2
	s_wait_alu 0xfffe
	s_or_b32 exec_lo, exec_lo, s34
	s_delay_alu instid0(SALU_CYCLE_1)
	s_mov_b32 s34, exec_lo
	v_cmpx_lt_u32_e64 v141, v162
	s_cbranch_execnz .LBB710_858
.LBB710_792:                            ;   in Loop: Header=BB710_682 Depth=2
	s_wait_alu 0xfffe
	s_or_b32 exec_lo, exec_lo, s34
	s_delay_alu instid0(SALU_CYCLE_1)
	s_mov_b32 s34, exec_lo
	v_cmpx_lt_u32_e64 v142, v162
	s_cbranch_execnz .LBB710_859
.LBB710_793:                            ;   in Loop: Header=BB710_682 Depth=2
	s_wait_alu 0xfffe
	s_or_b32 exec_lo, exec_lo, s34
	s_and_saveexec_b32 s30, vcc_lo
	s_cbranch_execnz .LBB710_860
.LBB710_794:                            ;   in Loop: Header=BB710_682 Depth=2
	s_wait_alu 0xfffe
	s_or_b32 exec_lo, exec_lo, s30
	s_and_saveexec_b32 s30, s15
	s_cbranch_execnz .LBB710_861
.LBB710_795:                            ;   in Loop: Header=BB710_682 Depth=2
	s_wait_alu 0xfffe
	s_or_b32 exec_lo, exec_lo, s30
	s_and_saveexec_b32 s30, s16
	s_cbranch_execnz .LBB710_862
.LBB710_796:                            ;   in Loop: Header=BB710_682 Depth=2
	s_wait_alu 0xfffe
	s_or_b32 exec_lo, exec_lo, s30
	s_and_saveexec_b32 s30, s17
	s_cbranch_execnz .LBB710_863
.LBB710_797:                            ;   in Loop: Header=BB710_682 Depth=2
	s_wait_alu 0xfffe
	s_or_b32 exec_lo, exec_lo, s30
	s_and_saveexec_b32 s30, s18
	s_cbranch_execnz .LBB710_864
.LBB710_798:                            ;   in Loop: Header=BB710_682 Depth=2
	s_wait_alu 0xfffe
	s_or_b32 exec_lo, exec_lo, s30
	s_and_saveexec_b32 s30, s19
	s_cbranch_execnz .LBB710_865
.LBB710_799:                            ;   in Loop: Header=BB710_682 Depth=2
	s_wait_alu 0xfffe
	s_or_b32 exec_lo, exec_lo, s30
	s_and_saveexec_b32 s30, s20
	s_cbranch_execnz .LBB710_866
.LBB710_800:                            ;   in Loop: Header=BB710_682 Depth=2
	s_wait_alu 0xfffe
	s_or_b32 exec_lo, exec_lo, s30
	s_and_saveexec_b32 s30, s21
	s_cbranch_execnz .LBB710_867
.LBB710_801:                            ;   in Loop: Header=BB710_682 Depth=2
	s_wait_alu 0xfffe
	s_or_b32 exec_lo, exec_lo, s30
	s_and_saveexec_b32 s30, s22
	s_cbranch_execnz .LBB710_868
.LBB710_802:                            ;   in Loop: Header=BB710_682 Depth=2
	s_wait_alu 0xfffe
	s_or_b32 exec_lo, exec_lo, s30
	s_and_saveexec_b32 s30, s23
	s_cbranch_execnz .LBB710_869
.LBB710_803:                            ;   in Loop: Header=BB710_682 Depth=2
	s_wait_alu 0xfffe
	s_or_b32 exec_lo, exec_lo, s30
	s_and_saveexec_b32 s30, s24
	s_cbranch_execnz .LBB710_870
.LBB710_804:                            ;   in Loop: Header=BB710_682 Depth=2
	s_wait_alu 0xfffe
	s_or_b32 exec_lo, exec_lo, s30
	s_and_saveexec_b32 s30, s25
	s_cbranch_execnz .LBB710_871
.LBB710_805:                            ;   in Loop: Header=BB710_682 Depth=2
	s_wait_alu 0xfffe
	s_or_b32 exec_lo, exec_lo, s30
	s_and_saveexec_b32 s30, s26
	s_cbranch_execnz .LBB710_872
.LBB710_806:                            ;   in Loop: Header=BB710_682 Depth=2
	s_wait_alu 0xfffe
	s_or_b32 exec_lo, exec_lo, s30
	s_and_saveexec_b32 s30, s27
	s_cbranch_execnz .LBB710_873
.LBB710_807:                            ;   in Loop: Header=BB710_682 Depth=2
	s_wait_alu 0xfffe
	s_or_b32 exec_lo, exec_lo, s30
	s_and_saveexec_b32 s30, s28
	s_cbranch_execnz .LBB710_874
.LBB710_808:                            ;   in Loop: Header=BB710_682 Depth=2
	s_wait_alu 0xfffe
	s_or_b32 exec_lo, exec_lo, s30
	s_and_saveexec_b32 s30, s29
	s_cbranch_execz .LBB710_810
.LBB710_809:                            ;   in Loop: Header=BB710_682 Depth=2
	ds_load_b64 v[36:37], v108 offset:31744
	s_wait_dscnt 0x0
	v_lshrrev_b64 v[36:37], s31, v[36:37]
	s_delay_alu instid0(VALU_DEP_1)
	v_and_b32_e32 v146, s54, v36
.LBB710_810:                            ;   in Loop: Header=BB710_682 Depth=2
	s_wait_alu 0xfffe
	s_or_b32 exec_lo, exec_lo, s30
	s_wait_loadcnt 0x0
	s_wait_storecnt 0x0
	s_barrier_signal -1
	s_barrier_wait -1
	global_inv scope:SCOPE_SE
	ds_store_b64 v69, v[34:35] offset:1024
	ds_store_b64 v38, v[32:33] offset:1024
	;; [unrolled: 1-line block ×16, first 2 shown]
	s_wait_loadcnt_dscnt 0x0
	s_barrier_signal -1
	s_barrier_wait -1
	global_inv scope:SCOPE_SE
	s_and_saveexec_b32 s30, vcc_lo
	s_cbranch_execnz .LBB710_875
; %bb.811:                              ;   in Loop: Header=BB710_682 Depth=2
	s_wait_alu 0xfffe
	s_or_b32 exec_lo, exec_lo, s30
	s_and_saveexec_b32 s30, s15
	s_cbranch_execnz .LBB710_876
.LBB710_812:                            ;   in Loop: Header=BB710_682 Depth=2
	s_wait_alu 0xfffe
	s_or_b32 exec_lo, exec_lo, s30
	s_and_saveexec_b32 s15, s16
	s_cbranch_execnz .LBB710_877
.LBB710_813:                            ;   in Loop: Header=BB710_682 Depth=2
	s_wait_alu 0xfffe
	s_or_b32 exec_lo, exec_lo, s15
	s_and_saveexec_b32 s15, s17
	s_cbranch_execnz .LBB710_878
.LBB710_814:                            ;   in Loop: Header=BB710_682 Depth=2
	s_wait_alu 0xfffe
	s_or_b32 exec_lo, exec_lo, s15
	s_and_saveexec_b32 s15, s18
	s_cbranch_execnz .LBB710_879
.LBB710_815:                            ;   in Loop: Header=BB710_682 Depth=2
	s_wait_alu 0xfffe
	s_or_b32 exec_lo, exec_lo, s15
	s_and_saveexec_b32 s15, s19
	s_cbranch_execnz .LBB710_880
.LBB710_816:                            ;   in Loop: Header=BB710_682 Depth=2
	s_wait_alu 0xfffe
	s_or_b32 exec_lo, exec_lo, s15
	s_and_saveexec_b32 s15, s20
	s_cbranch_execnz .LBB710_881
.LBB710_817:                            ;   in Loop: Header=BB710_682 Depth=2
	s_wait_alu 0xfffe
	s_or_b32 exec_lo, exec_lo, s15
	s_and_saveexec_b32 s15, s21
	s_cbranch_execnz .LBB710_882
.LBB710_818:                            ;   in Loop: Header=BB710_682 Depth=2
	s_wait_alu 0xfffe
	s_or_b32 exec_lo, exec_lo, s15
	s_and_saveexec_b32 s15, s22
	s_cbranch_execnz .LBB710_883
.LBB710_819:                            ;   in Loop: Header=BB710_682 Depth=2
	s_wait_alu 0xfffe
	s_or_b32 exec_lo, exec_lo, s15
	s_and_saveexec_b32 s15, s23
	s_cbranch_execnz .LBB710_884
.LBB710_820:                            ;   in Loop: Header=BB710_682 Depth=2
	s_wait_alu 0xfffe
	s_or_b32 exec_lo, exec_lo, s15
	s_and_saveexec_b32 s15, s24
	s_cbranch_execnz .LBB710_885
.LBB710_821:                            ;   in Loop: Header=BB710_682 Depth=2
	s_wait_alu 0xfffe
	s_or_b32 exec_lo, exec_lo, s15
	s_and_saveexec_b32 s15, s25
	s_cbranch_execnz .LBB710_886
.LBB710_822:                            ;   in Loop: Header=BB710_682 Depth=2
	s_wait_alu 0xfffe
	s_or_b32 exec_lo, exec_lo, s15
	s_and_saveexec_b32 s15, s26
	s_cbranch_execnz .LBB710_887
.LBB710_823:                            ;   in Loop: Header=BB710_682 Depth=2
	s_wait_alu 0xfffe
	s_or_b32 exec_lo, exec_lo, s15
	s_and_saveexec_b32 s15, s27
	s_cbranch_execnz .LBB710_888
.LBB710_824:                            ;   in Loop: Header=BB710_682 Depth=2
	s_wait_alu 0xfffe
	s_or_b32 exec_lo, exec_lo, s15
	s_and_saveexec_b32 s15, s28
	s_cbranch_execnz .LBB710_889
.LBB710_825:                            ;   in Loop: Header=BB710_682 Depth=2
	s_wait_alu 0xfffe
	s_or_b32 exec_lo, exec_lo, s15
	s_and_saveexec_b32 s15, s29
	s_cbranch_execz .LBB710_827
.LBB710_826:                            ;   in Loop: Header=BB710_682 Depth=2
	v_dual_mov_b32 v39, v2 :: v_dual_lshlrev_b32 v36, 2, v146
	ds_load_b32 v38, v36
	ds_load_b64 v[36:37], v108 offset:31744
	s_wait_dscnt 0x1
	v_add_nc_u32_e32 v38, v38, v93
	s_delay_alu instid0(VALU_DEP_1) | instskip(NEXT) | instid1(VALU_DEP_1)
	v_lshlrev_b64_e32 v[38:39], 3, v[38:39]
	v_add_co_u32 v38, vcc_lo, s44, v38
	s_wait_alu 0xfffd
	s_delay_alu instid0(VALU_DEP_2)
	v_add_co_ci_u32_e64 v39, null, s45, v39, vcc_lo
	s_wait_dscnt 0x0
	global_store_b64 v[38:39], v[36:37], off
.LBB710_827:                            ;   in Loop: Header=BB710_682 Depth=2
	s_wait_alu 0xfffe
	s_or_b32 exec_lo, exec_lo, s15
	s_wait_loadcnt 0x0
	s_wait_storecnt 0x0
	s_barrier_signal -1
	s_barrier_wait -1
	global_inv scope:SCOPE_SE
	s_and_saveexec_b32 s15, s2
	s_cbranch_execz .LBB710_681
; %bb.828:                              ;   in Loop: Header=BB710_682 Depth=2
	ds_load_b32 v36, v76
	s_wait_dscnt 0x0
	v_add_nc_u32_e32 v36, v36, v68
	ds_store_b32 v76, v36
	s_branch .LBB710_681
.LBB710_829:                            ;   in Loop: Header=BB710_682 Depth=2
	ds_load_b64 v[36:37], v108 offset:1024
	s_wait_dscnt 0x0
	v_lshrrev_b64 v[44:45], s31, v[36:37]
	v_xor_b32_e32 v37, 0x7fffffff, v37
	v_not_b32_e32 v36, v36
	s_delay_alu instid0(VALU_DEP_3) | instskip(NEXT) | instid1(VALU_DEP_1)
	v_dual_mov_b32 v45, v2 :: v_dual_and_b32 v44, s54, v44
	v_lshlrev_b32_e32 v44, 2, v44
	ds_load_b32 v44, v44
	s_wait_dscnt 0x0
	v_add_nc_u32_e32 v44, v44, v1
	s_delay_alu instid0(VALU_DEP_1) | instskip(NEXT) | instid1(VALU_DEP_1)
	v_lshlrev_b64_e32 v[44:45], 3, v[44:45]
	v_add_co_u32 v44, s15, s38, v44
	s_wait_alu 0xf1ff
	s_delay_alu instid0(VALU_DEP_2)
	v_add_co_ci_u32_e64 v45, null, s39, v45, s15
	global_store_b64 v[44:45], v[36:37], off
	s_wait_alu 0xfffe
	s_or_b32 exec_lo, exec_lo, s16
	v_cmp_lt_u32_e64 s15, v77, v162
	s_and_saveexec_b32 s17, s15
	s_cbranch_execz .LBB710_762
.LBB710_830:                            ;   in Loop: Header=BB710_682 Depth=2
	ds_load_b64 v[36:37], v108 offset:3072
	s_wait_dscnt 0x0
	v_lshrrev_b64 v[44:45], s31, v[36:37]
	v_xor_b32_e32 v37, 0x7fffffff, v37
	v_not_b32_e32 v36, v36
	s_delay_alu instid0(VALU_DEP_3) | instskip(NEXT) | instid1(VALU_DEP_1)
	v_dual_mov_b32 v45, v2 :: v_dual_and_b32 v44, s54, v44
	v_lshlrev_b32_e32 v44, 2, v44
	ds_load_b32 v44, v44
	s_wait_dscnt 0x0
	v_add_nc_u32_e32 v44, v44, v77
	s_delay_alu instid0(VALU_DEP_1) | instskip(NEXT) | instid1(VALU_DEP_1)
	v_lshlrev_b64_e32 v[44:45], 3, v[44:45]
	v_add_co_u32 v44, s16, s38, v44
	s_wait_alu 0xf1ff
	s_delay_alu instid0(VALU_DEP_2)
	v_add_co_ci_u32_e64 v45, null, s39, v45, s16
	global_store_b64 v[44:45], v[36:37], off
	s_wait_alu 0xfffe
	s_or_b32 exec_lo, exec_lo, s17
	v_cmp_lt_u32_e64 s16, v78, v162
	s_and_saveexec_b32 s18, s16
	s_cbranch_execz .LBB710_763
.LBB710_831:                            ;   in Loop: Header=BB710_682 Depth=2
	ds_load_b64 v[36:37], v108 offset:5120
	s_wait_dscnt 0x0
	v_lshrrev_b64 v[44:45], s31, v[36:37]
	v_xor_b32_e32 v37, 0x7fffffff, v37
	v_not_b32_e32 v36, v36
	s_delay_alu instid0(VALU_DEP_3) | instskip(NEXT) | instid1(VALU_DEP_1)
	v_dual_mov_b32 v45, v2 :: v_dual_and_b32 v44, s54, v44
	v_lshlrev_b32_e32 v44, 2, v44
	ds_load_b32 v44, v44
	s_wait_dscnt 0x0
	v_add_nc_u32_e32 v44, v44, v78
	s_delay_alu instid0(VALU_DEP_1) | instskip(NEXT) | instid1(VALU_DEP_1)
	v_lshlrev_b64_e32 v[44:45], 3, v[44:45]
	v_add_co_u32 v44, s17, s38, v44
	s_wait_alu 0xf1ff
	s_delay_alu instid0(VALU_DEP_2)
	v_add_co_ci_u32_e64 v45, null, s39, v45, s17
	global_store_b64 v[44:45], v[36:37], off
	s_wait_alu 0xfffe
	s_or_b32 exec_lo, exec_lo, s18
	v_cmp_lt_u32_e64 s17, v79, v162
	s_and_saveexec_b32 s19, s17
	s_cbranch_execz .LBB710_764
.LBB710_832:                            ;   in Loop: Header=BB710_682 Depth=2
	ds_load_b64 v[36:37], v108 offset:7168
	s_wait_dscnt 0x0
	v_lshrrev_b64 v[44:45], s31, v[36:37]
	v_xor_b32_e32 v37, 0x7fffffff, v37
	v_not_b32_e32 v36, v36
	s_delay_alu instid0(VALU_DEP_3) | instskip(NEXT) | instid1(VALU_DEP_1)
	v_dual_mov_b32 v45, v2 :: v_dual_and_b32 v44, s54, v44
	v_lshlrev_b32_e32 v44, 2, v44
	ds_load_b32 v44, v44
	s_wait_dscnt 0x0
	v_add_nc_u32_e32 v44, v44, v79
	s_delay_alu instid0(VALU_DEP_1) | instskip(NEXT) | instid1(VALU_DEP_1)
	v_lshlrev_b64_e32 v[44:45], 3, v[44:45]
	v_add_co_u32 v44, s18, s38, v44
	s_wait_alu 0xf1ff
	s_delay_alu instid0(VALU_DEP_2)
	v_add_co_ci_u32_e64 v45, null, s39, v45, s18
	global_store_b64 v[44:45], v[36:37], off
	s_wait_alu 0xfffe
	s_or_b32 exec_lo, exec_lo, s19
	v_cmp_lt_u32_e64 s18, v82, v162
	s_and_saveexec_b32 s20, s18
	s_cbranch_execz .LBB710_765
.LBB710_833:                            ;   in Loop: Header=BB710_682 Depth=2
	ds_load_b64 v[36:37], v108 offset:9216
	s_wait_dscnt 0x0
	v_lshrrev_b64 v[44:45], s31, v[36:37]
	v_xor_b32_e32 v37, 0x7fffffff, v37
	v_not_b32_e32 v36, v36
	s_delay_alu instid0(VALU_DEP_3) | instskip(NEXT) | instid1(VALU_DEP_1)
	v_dual_mov_b32 v45, v2 :: v_dual_and_b32 v44, s54, v44
	v_lshlrev_b32_e32 v44, 2, v44
	ds_load_b32 v44, v44
	s_wait_dscnt 0x0
	v_add_nc_u32_e32 v44, v44, v82
	s_delay_alu instid0(VALU_DEP_1) | instskip(NEXT) | instid1(VALU_DEP_1)
	v_lshlrev_b64_e32 v[44:45], 3, v[44:45]
	v_add_co_u32 v44, s19, s38, v44
	s_wait_alu 0xf1ff
	s_delay_alu instid0(VALU_DEP_2)
	v_add_co_ci_u32_e64 v45, null, s39, v45, s19
	global_store_b64 v[44:45], v[36:37], off
	s_wait_alu 0xfffe
	s_or_b32 exec_lo, exec_lo, s20
	v_cmp_lt_u32_e64 s19, v83, v162
	s_and_saveexec_b32 s21, s19
	s_cbranch_execz .LBB710_766
.LBB710_834:                            ;   in Loop: Header=BB710_682 Depth=2
	ds_load_b64 v[36:37], v108 offset:11264
	s_wait_dscnt 0x0
	v_lshrrev_b64 v[44:45], s31, v[36:37]
	v_xor_b32_e32 v37, 0x7fffffff, v37
	v_not_b32_e32 v36, v36
	s_delay_alu instid0(VALU_DEP_3) | instskip(NEXT) | instid1(VALU_DEP_1)
	v_dual_mov_b32 v45, v2 :: v_dual_and_b32 v44, s54, v44
	v_lshlrev_b32_e32 v44, 2, v44
	ds_load_b32 v44, v44
	s_wait_dscnt 0x0
	v_add_nc_u32_e32 v44, v44, v83
	s_delay_alu instid0(VALU_DEP_1) | instskip(NEXT) | instid1(VALU_DEP_1)
	v_lshlrev_b64_e32 v[44:45], 3, v[44:45]
	v_add_co_u32 v44, s20, s38, v44
	s_wait_alu 0xf1ff
	s_delay_alu instid0(VALU_DEP_2)
	v_add_co_ci_u32_e64 v45, null, s39, v45, s20
	global_store_b64 v[44:45], v[36:37], off
	s_wait_alu 0xfffe
	s_or_b32 exec_lo, exec_lo, s21
	v_cmp_lt_u32_e64 s20, v84, v162
	s_and_saveexec_b32 s22, s20
	s_cbranch_execz .LBB710_767
.LBB710_835:                            ;   in Loop: Header=BB710_682 Depth=2
	ds_load_b64 v[36:37], v108 offset:13312
	s_wait_dscnt 0x0
	v_lshrrev_b64 v[44:45], s31, v[36:37]
	v_xor_b32_e32 v37, 0x7fffffff, v37
	v_not_b32_e32 v36, v36
	s_delay_alu instid0(VALU_DEP_3) | instskip(NEXT) | instid1(VALU_DEP_1)
	v_dual_mov_b32 v45, v2 :: v_dual_and_b32 v44, s54, v44
	v_lshlrev_b32_e32 v44, 2, v44
	ds_load_b32 v44, v44
	s_wait_dscnt 0x0
	v_add_nc_u32_e32 v44, v44, v84
	s_delay_alu instid0(VALU_DEP_1) | instskip(NEXT) | instid1(VALU_DEP_1)
	v_lshlrev_b64_e32 v[44:45], 3, v[44:45]
	v_add_co_u32 v44, s21, s38, v44
	s_wait_alu 0xf1ff
	s_delay_alu instid0(VALU_DEP_2)
	v_add_co_ci_u32_e64 v45, null, s39, v45, s21
	global_store_b64 v[44:45], v[36:37], off
	s_wait_alu 0xfffe
	s_or_b32 exec_lo, exec_lo, s22
	v_cmp_lt_u32_e64 s21, v85, v162
	s_and_saveexec_b32 s23, s21
	s_cbranch_execz .LBB710_768
.LBB710_836:                            ;   in Loop: Header=BB710_682 Depth=2
	ds_load_b64 v[36:37], v108 offset:15360
	s_wait_dscnt 0x0
	v_lshrrev_b64 v[44:45], s31, v[36:37]
	v_xor_b32_e32 v37, 0x7fffffff, v37
	v_not_b32_e32 v36, v36
	s_delay_alu instid0(VALU_DEP_3) | instskip(NEXT) | instid1(VALU_DEP_1)
	v_dual_mov_b32 v45, v2 :: v_dual_and_b32 v44, s54, v44
	v_lshlrev_b32_e32 v44, 2, v44
	ds_load_b32 v44, v44
	s_wait_dscnt 0x0
	v_add_nc_u32_e32 v44, v44, v85
	s_delay_alu instid0(VALU_DEP_1) | instskip(NEXT) | instid1(VALU_DEP_1)
	v_lshlrev_b64_e32 v[44:45], 3, v[44:45]
	v_add_co_u32 v44, s22, s38, v44
	s_wait_alu 0xf1ff
	s_delay_alu instid0(VALU_DEP_2)
	v_add_co_ci_u32_e64 v45, null, s39, v45, s22
	global_store_b64 v[44:45], v[36:37], off
	s_wait_alu 0xfffe
	s_or_b32 exec_lo, exec_lo, s23
	v_cmp_lt_u32_e64 s22, v86, v162
	s_and_saveexec_b32 s24, s22
	s_cbranch_execz .LBB710_769
.LBB710_837:                            ;   in Loop: Header=BB710_682 Depth=2
	ds_load_b64 v[36:37], v108 offset:17408
	s_wait_dscnt 0x0
	v_lshrrev_b64 v[44:45], s31, v[36:37]
	v_xor_b32_e32 v37, 0x7fffffff, v37
	v_not_b32_e32 v36, v36
	s_delay_alu instid0(VALU_DEP_3) | instskip(NEXT) | instid1(VALU_DEP_1)
	v_dual_mov_b32 v45, v2 :: v_dual_and_b32 v44, s54, v44
	v_lshlrev_b32_e32 v44, 2, v44
	ds_load_b32 v44, v44
	s_wait_dscnt 0x0
	v_add_nc_u32_e32 v44, v44, v86
	s_delay_alu instid0(VALU_DEP_1) | instskip(NEXT) | instid1(VALU_DEP_1)
	v_lshlrev_b64_e32 v[44:45], 3, v[44:45]
	v_add_co_u32 v44, s23, s38, v44
	s_wait_alu 0xf1ff
	s_delay_alu instid0(VALU_DEP_2)
	v_add_co_ci_u32_e64 v45, null, s39, v45, s23
	global_store_b64 v[44:45], v[36:37], off
	s_wait_alu 0xfffe
	s_or_b32 exec_lo, exec_lo, s24
	v_cmp_lt_u32_e64 s23, v87, v162
	s_and_saveexec_b32 s25, s23
	s_cbranch_execz .LBB710_770
.LBB710_838:                            ;   in Loop: Header=BB710_682 Depth=2
	ds_load_b64 v[36:37], v108 offset:19456
	s_wait_dscnt 0x0
	v_lshrrev_b64 v[44:45], s31, v[36:37]
	v_xor_b32_e32 v37, 0x7fffffff, v37
	v_not_b32_e32 v36, v36
	s_delay_alu instid0(VALU_DEP_3) | instskip(NEXT) | instid1(VALU_DEP_1)
	v_dual_mov_b32 v45, v2 :: v_dual_and_b32 v44, s54, v44
	v_lshlrev_b32_e32 v44, 2, v44
	ds_load_b32 v44, v44
	s_wait_dscnt 0x0
	v_add_nc_u32_e32 v44, v44, v87
	s_delay_alu instid0(VALU_DEP_1) | instskip(NEXT) | instid1(VALU_DEP_1)
	v_lshlrev_b64_e32 v[44:45], 3, v[44:45]
	v_add_co_u32 v44, s24, s38, v44
	s_wait_alu 0xf1ff
	s_delay_alu instid0(VALU_DEP_2)
	v_add_co_ci_u32_e64 v45, null, s39, v45, s24
	global_store_b64 v[44:45], v[36:37], off
	s_wait_alu 0xfffe
	s_or_b32 exec_lo, exec_lo, s25
	v_cmp_lt_u32_e64 s24, v88, v162
	s_and_saveexec_b32 s26, s24
	s_cbranch_execz .LBB710_771
.LBB710_839:                            ;   in Loop: Header=BB710_682 Depth=2
	ds_load_b64 v[36:37], v108 offset:21504
	s_wait_dscnt 0x0
	v_lshrrev_b64 v[44:45], s31, v[36:37]
	v_xor_b32_e32 v37, 0x7fffffff, v37
	v_not_b32_e32 v36, v36
	s_delay_alu instid0(VALU_DEP_3) | instskip(NEXT) | instid1(VALU_DEP_1)
	v_dual_mov_b32 v45, v2 :: v_dual_and_b32 v44, s54, v44
	v_lshlrev_b32_e32 v44, 2, v44
	ds_load_b32 v44, v44
	s_wait_dscnt 0x0
	v_add_nc_u32_e32 v44, v44, v88
	s_delay_alu instid0(VALU_DEP_1) | instskip(NEXT) | instid1(VALU_DEP_1)
	v_lshlrev_b64_e32 v[44:45], 3, v[44:45]
	v_add_co_u32 v44, s25, s38, v44
	s_wait_alu 0xf1ff
	s_delay_alu instid0(VALU_DEP_2)
	v_add_co_ci_u32_e64 v45, null, s39, v45, s25
	global_store_b64 v[44:45], v[36:37], off
	s_wait_alu 0xfffe
	s_or_b32 exec_lo, exec_lo, s26
	v_cmp_lt_u32_e64 s25, v89, v162
	s_and_saveexec_b32 s27, s25
	s_cbranch_execz .LBB710_772
.LBB710_840:                            ;   in Loop: Header=BB710_682 Depth=2
	ds_load_b64 v[36:37], v108 offset:23552
	s_wait_dscnt 0x0
	v_lshrrev_b64 v[44:45], s31, v[36:37]
	v_xor_b32_e32 v37, 0x7fffffff, v37
	v_not_b32_e32 v36, v36
	s_delay_alu instid0(VALU_DEP_3) | instskip(NEXT) | instid1(VALU_DEP_1)
	v_dual_mov_b32 v45, v2 :: v_dual_and_b32 v44, s54, v44
	v_lshlrev_b32_e32 v44, 2, v44
	ds_load_b32 v44, v44
	s_wait_dscnt 0x0
	v_add_nc_u32_e32 v44, v44, v89
	s_delay_alu instid0(VALU_DEP_1) | instskip(NEXT) | instid1(VALU_DEP_1)
	v_lshlrev_b64_e32 v[44:45], 3, v[44:45]
	v_add_co_u32 v44, s26, s38, v44
	s_wait_alu 0xf1ff
	s_delay_alu instid0(VALU_DEP_2)
	v_add_co_ci_u32_e64 v45, null, s39, v45, s26
	global_store_b64 v[44:45], v[36:37], off
	s_wait_alu 0xfffe
	s_or_b32 exec_lo, exec_lo, s27
	v_cmp_lt_u32_e64 s26, v90, v162
	s_and_saveexec_b32 s28, s26
	s_cbranch_execz .LBB710_773
.LBB710_841:                            ;   in Loop: Header=BB710_682 Depth=2
	ds_load_b64 v[36:37], v108 offset:25600
	s_wait_dscnt 0x0
	v_lshrrev_b64 v[44:45], s31, v[36:37]
	v_xor_b32_e32 v37, 0x7fffffff, v37
	v_not_b32_e32 v36, v36
	s_delay_alu instid0(VALU_DEP_3) | instskip(NEXT) | instid1(VALU_DEP_1)
	v_dual_mov_b32 v45, v2 :: v_dual_and_b32 v44, s54, v44
	v_lshlrev_b32_e32 v44, 2, v44
	ds_load_b32 v44, v44
	s_wait_dscnt 0x0
	v_add_nc_u32_e32 v44, v44, v90
	s_delay_alu instid0(VALU_DEP_1) | instskip(NEXT) | instid1(VALU_DEP_1)
	v_lshlrev_b64_e32 v[44:45], 3, v[44:45]
	v_add_co_u32 v44, s27, s38, v44
	s_wait_alu 0xf1ff
	s_delay_alu instid0(VALU_DEP_2)
	v_add_co_ci_u32_e64 v45, null, s39, v45, s27
	global_store_b64 v[44:45], v[36:37], off
	s_wait_alu 0xfffe
	s_or_b32 exec_lo, exec_lo, s28
	v_cmp_lt_u32_e64 s27, v91, v162
	s_and_saveexec_b32 s29, s27
	s_cbranch_execz .LBB710_774
.LBB710_842:                            ;   in Loop: Header=BB710_682 Depth=2
	ds_load_b64 v[36:37], v108 offset:27648
	s_wait_dscnt 0x0
	v_lshrrev_b64 v[44:45], s31, v[36:37]
	v_xor_b32_e32 v37, 0x7fffffff, v37
	v_not_b32_e32 v36, v36
	s_delay_alu instid0(VALU_DEP_3) | instskip(NEXT) | instid1(VALU_DEP_1)
	v_dual_mov_b32 v45, v2 :: v_dual_and_b32 v44, s54, v44
	v_lshlrev_b32_e32 v44, 2, v44
	ds_load_b32 v44, v44
	s_wait_dscnt 0x0
	v_add_nc_u32_e32 v44, v44, v91
	s_delay_alu instid0(VALU_DEP_1) | instskip(NEXT) | instid1(VALU_DEP_1)
	v_lshlrev_b64_e32 v[44:45], 3, v[44:45]
	v_add_co_u32 v44, s28, s38, v44
	s_wait_alu 0xf1ff
	s_delay_alu instid0(VALU_DEP_2)
	v_add_co_ci_u32_e64 v45, null, s39, v45, s28
	global_store_b64 v[44:45], v[36:37], off
	s_wait_alu 0xfffe
	s_or_b32 exec_lo, exec_lo, s29
	v_cmp_lt_u32_e64 s28, v92, v162
	s_and_saveexec_b32 s30, s28
	s_cbranch_execz .LBB710_775
.LBB710_843:                            ;   in Loop: Header=BB710_682 Depth=2
	ds_load_b64 v[36:37], v108 offset:29696
	s_wait_dscnt 0x0
	v_lshrrev_b64 v[44:45], s31, v[36:37]
	v_xor_b32_e32 v37, 0x7fffffff, v37
	v_not_b32_e32 v36, v36
	s_delay_alu instid0(VALU_DEP_3) | instskip(NEXT) | instid1(VALU_DEP_1)
	v_dual_mov_b32 v45, v2 :: v_dual_and_b32 v44, s54, v44
	v_lshlrev_b32_e32 v44, 2, v44
	ds_load_b32 v44, v44
	s_wait_dscnt 0x0
	v_add_nc_u32_e32 v44, v44, v92
	s_delay_alu instid0(VALU_DEP_1) | instskip(NEXT) | instid1(VALU_DEP_1)
	v_lshlrev_b64_e32 v[44:45], 3, v[44:45]
	v_add_co_u32 v44, s29, s38, v44
	s_wait_alu 0xf1ff
	s_delay_alu instid0(VALU_DEP_2)
	v_add_co_ci_u32_e64 v45, null, s39, v45, s29
	global_store_b64 v[44:45], v[36:37], off
	s_wait_alu 0xfffe
	s_or_b32 exec_lo, exec_lo, s30
	v_cmp_lt_u32_e64 s29, v93, v162
	s_and_saveexec_b32 s57, s29
	s_cbranch_execnz .LBB710_776
	s_branch .LBB710_777
.LBB710_844:                            ;   in Loop: Header=BB710_682 Depth=2
	global_load_b64 v[34:35], v[36:37], off
	s_wait_alu 0xfffe
	s_or_b32 exec_lo, exec_lo, s30
	s_delay_alu instid0(SALU_CYCLE_1)
	s_mov_b32 s34, exec_lo
	v_cmpx_lt_u32_e64 v128, v162
	s_cbranch_execz .LBB710_779
.LBB710_845:                            ;   in Loop: Header=BB710_682 Depth=2
	global_load_b64 v[32:33], v[36:37], off offset:256
	s_wait_alu 0xfffe
	s_or_b32 exec_lo, exec_lo, s34
	s_delay_alu instid0(SALU_CYCLE_1)
	s_mov_b32 s34, exec_lo
	v_cmpx_lt_u32_e64 v129, v162
	s_cbranch_execz .LBB710_780
.LBB710_846:                            ;   in Loop: Header=BB710_682 Depth=2
	global_load_b64 v[30:31], v[36:37], off offset:512
	s_wait_alu 0xfffe
	s_or_b32 exec_lo, exec_lo, s34
	s_delay_alu instid0(SALU_CYCLE_1)
	s_mov_b32 s34, exec_lo
	v_cmpx_lt_u32_e64 v130, v162
	s_cbranch_execz .LBB710_781
.LBB710_847:                            ;   in Loop: Header=BB710_682 Depth=2
	global_load_b64 v[28:29], v[36:37], off offset:768
	s_wait_alu 0xfffe
	s_or_b32 exec_lo, exec_lo, s34
	s_delay_alu instid0(SALU_CYCLE_1)
	s_mov_b32 s34, exec_lo
	v_cmpx_lt_u32_e64 v131, v162
	s_cbranch_execz .LBB710_782
.LBB710_848:                            ;   in Loop: Header=BB710_682 Depth=2
	global_load_b64 v[26:27], v[36:37], off offset:1024
	s_wait_alu 0xfffe
	s_or_b32 exec_lo, exec_lo, s34
	s_delay_alu instid0(SALU_CYCLE_1)
	s_mov_b32 s34, exec_lo
	v_cmpx_lt_u32_e64 v132, v162
	s_cbranch_execz .LBB710_783
.LBB710_849:                            ;   in Loop: Header=BB710_682 Depth=2
	global_load_b64 v[24:25], v[36:37], off offset:1280
	s_wait_alu 0xfffe
	s_or_b32 exec_lo, exec_lo, s34
	s_delay_alu instid0(SALU_CYCLE_1)
	s_mov_b32 s34, exec_lo
	v_cmpx_lt_u32_e64 v133, v162
	s_cbranch_execz .LBB710_784
.LBB710_850:                            ;   in Loop: Header=BB710_682 Depth=2
	global_load_b64 v[22:23], v[36:37], off offset:1536
	s_wait_alu 0xfffe
	s_or_b32 exec_lo, exec_lo, s34
	s_delay_alu instid0(SALU_CYCLE_1)
	s_mov_b32 s34, exec_lo
	v_cmpx_lt_u32_e64 v134, v162
	s_cbranch_execz .LBB710_785
.LBB710_851:                            ;   in Loop: Header=BB710_682 Depth=2
	global_load_b64 v[20:21], v[36:37], off offset:1792
	s_wait_alu 0xfffe
	s_or_b32 exec_lo, exec_lo, s34
	s_delay_alu instid0(SALU_CYCLE_1)
	s_mov_b32 s34, exec_lo
	v_cmpx_lt_u32_e64 v135, v162
	s_cbranch_execz .LBB710_786
.LBB710_852:                            ;   in Loop: Header=BB710_682 Depth=2
	global_load_b64 v[18:19], v[36:37], off offset:2048
	s_wait_alu 0xfffe
	s_or_b32 exec_lo, exec_lo, s34
	s_delay_alu instid0(SALU_CYCLE_1)
	s_mov_b32 s34, exec_lo
	v_cmpx_lt_u32_e64 v136, v162
	s_cbranch_execz .LBB710_787
.LBB710_853:                            ;   in Loop: Header=BB710_682 Depth=2
	global_load_b64 v[16:17], v[36:37], off offset:2304
	s_wait_alu 0xfffe
	s_or_b32 exec_lo, exec_lo, s34
	s_delay_alu instid0(SALU_CYCLE_1)
	s_mov_b32 s34, exec_lo
	v_cmpx_lt_u32_e64 v137, v162
	s_cbranch_execz .LBB710_788
.LBB710_854:                            ;   in Loop: Header=BB710_682 Depth=2
	global_load_b64 v[14:15], v[36:37], off offset:2560
	s_wait_alu 0xfffe
	s_or_b32 exec_lo, exec_lo, s34
	s_delay_alu instid0(SALU_CYCLE_1)
	s_mov_b32 s34, exec_lo
	v_cmpx_lt_u32_e64 v138, v162
	s_cbranch_execz .LBB710_789
.LBB710_855:                            ;   in Loop: Header=BB710_682 Depth=2
	global_load_b64 v[12:13], v[36:37], off offset:2816
	s_wait_alu 0xfffe
	s_or_b32 exec_lo, exec_lo, s34
	s_delay_alu instid0(SALU_CYCLE_1)
	s_mov_b32 s34, exec_lo
	v_cmpx_lt_u32_e64 v139, v162
	s_cbranch_execz .LBB710_790
.LBB710_856:                            ;   in Loop: Header=BB710_682 Depth=2
	global_load_b64 v[10:11], v[36:37], off offset:3072
	s_wait_alu 0xfffe
	s_or_b32 exec_lo, exec_lo, s34
	s_delay_alu instid0(SALU_CYCLE_1)
	s_mov_b32 s34, exec_lo
	v_cmpx_lt_u32_e64 v140, v162
	s_cbranch_execz .LBB710_791
.LBB710_857:                            ;   in Loop: Header=BB710_682 Depth=2
	global_load_b64 v[8:9], v[36:37], off offset:3328
	s_wait_alu 0xfffe
	s_or_b32 exec_lo, exec_lo, s34
	s_delay_alu instid0(SALU_CYCLE_1)
	s_mov_b32 s34, exec_lo
	v_cmpx_lt_u32_e64 v141, v162
	s_cbranch_execz .LBB710_792
.LBB710_858:                            ;   in Loop: Header=BB710_682 Depth=2
	global_load_b64 v[6:7], v[36:37], off offset:3584
	s_wait_alu 0xfffe
	s_or_b32 exec_lo, exec_lo, s34
	s_delay_alu instid0(SALU_CYCLE_1)
	s_mov_b32 s34, exec_lo
	v_cmpx_lt_u32_e64 v142, v162
	s_cbranch_execz .LBB710_793
.LBB710_859:                            ;   in Loop: Header=BB710_682 Depth=2
	global_load_b64 v[4:5], v[36:37], off offset:3840
	s_wait_alu 0xfffe
	s_or_b32 exec_lo, exec_lo, s34
	s_and_saveexec_b32 s30, vcc_lo
	s_cbranch_execz .LBB710_794
.LBB710_860:                            ;   in Loop: Header=BB710_682 Depth=2
	ds_load_b64 v[36:37], v108 offset:1024
	s_wait_dscnt 0x0
	v_lshrrev_b64 v[36:37], s31, v[36:37]
	s_delay_alu instid0(VALU_DEP_1)
	v_and_b32_e32 v161, s54, v36
	s_wait_alu 0xfffe
	s_or_b32 exec_lo, exec_lo, s30
	s_and_saveexec_b32 s30, s15
	s_cbranch_execz .LBB710_795
.LBB710_861:                            ;   in Loop: Header=BB710_682 Depth=2
	ds_load_b64 v[36:37], v108 offset:3072
	s_wait_dscnt 0x0
	v_lshrrev_b64 v[36:37], s31, v[36:37]
	s_delay_alu instid0(VALU_DEP_1)
	v_and_b32_e32 v160, s54, v36
	s_wait_alu 0xfffe
	s_or_b32 exec_lo, exec_lo, s30
	s_and_saveexec_b32 s30, s16
	s_cbranch_execz .LBB710_796
.LBB710_862:                            ;   in Loop: Header=BB710_682 Depth=2
	ds_load_b64 v[36:37], v108 offset:5120
	s_wait_dscnt 0x0
	v_lshrrev_b64 v[36:37], s31, v[36:37]
	s_delay_alu instid0(VALU_DEP_1)
	v_and_b32_e32 v159, s54, v36
	s_wait_alu 0xfffe
	s_or_b32 exec_lo, exec_lo, s30
	s_and_saveexec_b32 s30, s17
	s_cbranch_execz .LBB710_797
.LBB710_863:                            ;   in Loop: Header=BB710_682 Depth=2
	ds_load_b64 v[36:37], v108 offset:7168
	s_wait_dscnt 0x0
	v_lshrrev_b64 v[36:37], s31, v[36:37]
	s_delay_alu instid0(VALU_DEP_1)
	v_and_b32_e32 v158, s54, v36
	s_wait_alu 0xfffe
	s_or_b32 exec_lo, exec_lo, s30
	s_and_saveexec_b32 s30, s18
	s_cbranch_execz .LBB710_798
.LBB710_864:                            ;   in Loop: Header=BB710_682 Depth=2
	ds_load_b64 v[36:37], v108 offset:9216
	s_wait_dscnt 0x0
	v_lshrrev_b64 v[36:37], s31, v[36:37]
	s_delay_alu instid0(VALU_DEP_1)
	v_and_b32_e32 v157, s54, v36
	s_wait_alu 0xfffe
	s_or_b32 exec_lo, exec_lo, s30
	s_and_saveexec_b32 s30, s19
	s_cbranch_execz .LBB710_799
.LBB710_865:                            ;   in Loop: Header=BB710_682 Depth=2
	ds_load_b64 v[36:37], v108 offset:11264
	s_wait_dscnt 0x0
	v_lshrrev_b64 v[36:37], s31, v[36:37]
	s_delay_alu instid0(VALU_DEP_1)
	v_and_b32_e32 v156, s54, v36
	s_wait_alu 0xfffe
	s_or_b32 exec_lo, exec_lo, s30
	s_and_saveexec_b32 s30, s20
	s_cbranch_execz .LBB710_800
.LBB710_866:                            ;   in Loop: Header=BB710_682 Depth=2
	ds_load_b64 v[36:37], v108 offset:13312
	s_wait_dscnt 0x0
	v_lshrrev_b64 v[36:37], s31, v[36:37]
	s_delay_alu instid0(VALU_DEP_1)
	v_and_b32_e32 v155, s54, v36
	s_wait_alu 0xfffe
	s_or_b32 exec_lo, exec_lo, s30
	s_and_saveexec_b32 s30, s21
	s_cbranch_execz .LBB710_801
.LBB710_867:                            ;   in Loop: Header=BB710_682 Depth=2
	ds_load_b64 v[36:37], v108 offset:15360
	s_wait_dscnt 0x0
	v_lshrrev_b64 v[36:37], s31, v[36:37]
	s_delay_alu instid0(VALU_DEP_1)
	v_and_b32_e32 v154, s54, v36
	s_wait_alu 0xfffe
	s_or_b32 exec_lo, exec_lo, s30
	s_and_saveexec_b32 s30, s22
	s_cbranch_execz .LBB710_802
.LBB710_868:                            ;   in Loop: Header=BB710_682 Depth=2
	ds_load_b64 v[36:37], v108 offset:17408
	s_wait_dscnt 0x0
	v_lshrrev_b64 v[36:37], s31, v[36:37]
	s_delay_alu instid0(VALU_DEP_1)
	v_and_b32_e32 v153, s54, v36
	s_wait_alu 0xfffe
	s_or_b32 exec_lo, exec_lo, s30
	s_and_saveexec_b32 s30, s23
	s_cbranch_execz .LBB710_803
.LBB710_869:                            ;   in Loop: Header=BB710_682 Depth=2
	ds_load_b64 v[36:37], v108 offset:19456
	s_wait_dscnt 0x0
	v_lshrrev_b64 v[36:37], s31, v[36:37]
	s_delay_alu instid0(VALU_DEP_1)
	v_and_b32_e32 v152, s54, v36
	s_wait_alu 0xfffe
	s_or_b32 exec_lo, exec_lo, s30
	s_and_saveexec_b32 s30, s24
	s_cbranch_execz .LBB710_804
.LBB710_870:                            ;   in Loop: Header=BB710_682 Depth=2
	ds_load_b64 v[36:37], v108 offset:21504
	s_wait_dscnt 0x0
	v_lshrrev_b64 v[36:37], s31, v[36:37]
	s_delay_alu instid0(VALU_DEP_1)
	v_and_b32_e32 v151, s54, v36
	s_wait_alu 0xfffe
	s_or_b32 exec_lo, exec_lo, s30
	s_and_saveexec_b32 s30, s25
	s_cbranch_execz .LBB710_805
.LBB710_871:                            ;   in Loop: Header=BB710_682 Depth=2
	ds_load_b64 v[36:37], v108 offset:23552
	s_wait_dscnt 0x0
	v_lshrrev_b64 v[36:37], s31, v[36:37]
	s_delay_alu instid0(VALU_DEP_1)
	v_and_b32_e32 v150, s54, v36
	s_wait_alu 0xfffe
	s_or_b32 exec_lo, exec_lo, s30
	s_and_saveexec_b32 s30, s26
	s_cbranch_execz .LBB710_806
.LBB710_872:                            ;   in Loop: Header=BB710_682 Depth=2
	ds_load_b64 v[36:37], v108 offset:25600
	s_wait_dscnt 0x0
	v_lshrrev_b64 v[36:37], s31, v[36:37]
	s_delay_alu instid0(VALU_DEP_1)
	v_and_b32_e32 v149, s54, v36
	s_wait_alu 0xfffe
	s_or_b32 exec_lo, exec_lo, s30
	s_and_saveexec_b32 s30, s27
	s_cbranch_execz .LBB710_807
.LBB710_873:                            ;   in Loop: Header=BB710_682 Depth=2
	ds_load_b64 v[36:37], v108 offset:27648
	s_wait_dscnt 0x0
	v_lshrrev_b64 v[36:37], s31, v[36:37]
	s_delay_alu instid0(VALU_DEP_1)
	v_and_b32_e32 v148, s54, v36
	s_wait_alu 0xfffe
	s_or_b32 exec_lo, exec_lo, s30
	s_and_saveexec_b32 s30, s28
	s_cbranch_execz .LBB710_808
.LBB710_874:                            ;   in Loop: Header=BB710_682 Depth=2
	ds_load_b64 v[36:37], v108 offset:29696
	s_wait_dscnt 0x0
	v_lshrrev_b64 v[36:37], s31, v[36:37]
	s_delay_alu instid0(VALU_DEP_1)
	v_and_b32_e32 v147, s54, v36
	s_wait_alu 0xfffe
	s_or_b32 exec_lo, exec_lo, s30
	s_and_saveexec_b32 s30, s29
	s_cbranch_execnz .LBB710_809
	s_branch .LBB710_810
.LBB710_875:                            ;   in Loop: Header=BB710_682 Depth=2
	v_dual_mov_b32 v39, v2 :: v_dual_lshlrev_b32 v36, 2, v161
	ds_load_b32 v38, v36
	ds_load_b64 v[36:37], v108 offset:1024
	s_wait_dscnt 0x1
	v_add_nc_u32_e32 v38, v38, v1
	s_delay_alu instid0(VALU_DEP_1) | instskip(NEXT) | instid1(VALU_DEP_1)
	v_lshlrev_b64_e32 v[38:39], 3, v[38:39]
	v_add_co_u32 v38, vcc_lo, s44, v38
	s_wait_alu 0xfffd
	s_delay_alu instid0(VALU_DEP_2)
	v_add_co_ci_u32_e64 v39, null, s45, v39, vcc_lo
	s_wait_dscnt 0x0
	global_store_b64 v[38:39], v[36:37], off
	s_wait_alu 0xfffe
	s_or_b32 exec_lo, exec_lo, s30
	s_and_saveexec_b32 s30, s15
	s_cbranch_execz .LBB710_812
.LBB710_876:                            ;   in Loop: Header=BB710_682 Depth=2
	v_dual_mov_b32 v39, v2 :: v_dual_lshlrev_b32 v36, 2, v160
	ds_load_b32 v38, v36
	ds_load_b64 v[36:37], v108 offset:3072
	s_wait_dscnt 0x1
	v_add_nc_u32_e32 v38, v38, v77
	s_delay_alu instid0(VALU_DEP_1) | instskip(NEXT) | instid1(VALU_DEP_1)
	v_lshlrev_b64_e32 v[38:39], 3, v[38:39]
	v_add_co_u32 v38, vcc_lo, s44, v38
	s_wait_alu 0xfffd
	s_delay_alu instid0(VALU_DEP_2)
	v_add_co_ci_u32_e64 v39, null, s45, v39, vcc_lo
	s_wait_dscnt 0x0
	global_store_b64 v[38:39], v[36:37], off
	s_wait_alu 0xfffe
	s_or_b32 exec_lo, exec_lo, s30
	s_and_saveexec_b32 s15, s16
	s_cbranch_execz .LBB710_813
.LBB710_877:                            ;   in Loop: Header=BB710_682 Depth=2
	v_dual_mov_b32 v39, v2 :: v_dual_lshlrev_b32 v36, 2, v159
	ds_load_b32 v38, v36
	ds_load_b64 v[36:37], v108 offset:5120
	s_wait_dscnt 0x1
	v_add_nc_u32_e32 v38, v38, v78
	s_delay_alu instid0(VALU_DEP_1) | instskip(NEXT) | instid1(VALU_DEP_1)
	v_lshlrev_b64_e32 v[38:39], 3, v[38:39]
	v_add_co_u32 v38, vcc_lo, s44, v38
	s_wait_alu 0xfffd
	s_delay_alu instid0(VALU_DEP_2)
	v_add_co_ci_u32_e64 v39, null, s45, v39, vcc_lo
	s_wait_dscnt 0x0
	global_store_b64 v[38:39], v[36:37], off
	s_wait_alu 0xfffe
	s_or_b32 exec_lo, exec_lo, s15
	s_and_saveexec_b32 s15, s17
	s_cbranch_execz .LBB710_814
.LBB710_878:                            ;   in Loop: Header=BB710_682 Depth=2
	v_dual_mov_b32 v39, v2 :: v_dual_lshlrev_b32 v36, 2, v158
	ds_load_b32 v38, v36
	ds_load_b64 v[36:37], v108 offset:7168
	s_wait_dscnt 0x1
	v_add_nc_u32_e32 v38, v38, v79
	s_delay_alu instid0(VALU_DEP_1) | instskip(NEXT) | instid1(VALU_DEP_1)
	v_lshlrev_b64_e32 v[38:39], 3, v[38:39]
	v_add_co_u32 v38, vcc_lo, s44, v38
	s_wait_alu 0xfffd
	s_delay_alu instid0(VALU_DEP_2)
	v_add_co_ci_u32_e64 v39, null, s45, v39, vcc_lo
	s_wait_dscnt 0x0
	global_store_b64 v[38:39], v[36:37], off
	s_wait_alu 0xfffe
	s_or_b32 exec_lo, exec_lo, s15
	s_and_saveexec_b32 s15, s18
	s_cbranch_execz .LBB710_815
.LBB710_879:                            ;   in Loop: Header=BB710_682 Depth=2
	v_dual_mov_b32 v39, v2 :: v_dual_lshlrev_b32 v36, 2, v157
	ds_load_b32 v38, v36
	ds_load_b64 v[36:37], v108 offset:9216
	s_wait_dscnt 0x1
	v_add_nc_u32_e32 v38, v38, v82
	s_delay_alu instid0(VALU_DEP_1) | instskip(NEXT) | instid1(VALU_DEP_1)
	v_lshlrev_b64_e32 v[38:39], 3, v[38:39]
	v_add_co_u32 v38, vcc_lo, s44, v38
	s_wait_alu 0xfffd
	s_delay_alu instid0(VALU_DEP_2)
	v_add_co_ci_u32_e64 v39, null, s45, v39, vcc_lo
	s_wait_dscnt 0x0
	global_store_b64 v[38:39], v[36:37], off
	s_wait_alu 0xfffe
	s_or_b32 exec_lo, exec_lo, s15
	s_and_saveexec_b32 s15, s19
	s_cbranch_execz .LBB710_816
.LBB710_880:                            ;   in Loop: Header=BB710_682 Depth=2
	v_dual_mov_b32 v39, v2 :: v_dual_lshlrev_b32 v36, 2, v156
	ds_load_b32 v38, v36
	ds_load_b64 v[36:37], v108 offset:11264
	s_wait_dscnt 0x1
	v_add_nc_u32_e32 v38, v38, v83
	s_delay_alu instid0(VALU_DEP_1) | instskip(NEXT) | instid1(VALU_DEP_1)
	v_lshlrev_b64_e32 v[38:39], 3, v[38:39]
	v_add_co_u32 v38, vcc_lo, s44, v38
	s_wait_alu 0xfffd
	s_delay_alu instid0(VALU_DEP_2)
	v_add_co_ci_u32_e64 v39, null, s45, v39, vcc_lo
	s_wait_dscnt 0x0
	global_store_b64 v[38:39], v[36:37], off
	s_wait_alu 0xfffe
	s_or_b32 exec_lo, exec_lo, s15
	s_and_saveexec_b32 s15, s20
	s_cbranch_execz .LBB710_817
.LBB710_881:                            ;   in Loop: Header=BB710_682 Depth=2
	v_dual_mov_b32 v39, v2 :: v_dual_lshlrev_b32 v36, 2, v155
	ds_load_b32 v38, v36
	ds_load_b64 v[36:37], v108 offset:13312
	s_wait_dscnt 0x1
	v_add_nc_u32_e32 v38, v38, v84
	s_delay_alu instid0(VALU_DEP_1) | instskip(NEXT) | instid1(VALU_DEP_1)
	v_lshlrev_b64_e32 v[38:39], 3, v[38:39]
	v_add_co_u32 v38, vcc_lo, s44, v38
	s_wait_alu 0xfffd
	s_delay_alu instid0(VALU_DEP_2)
	v_add_co_ci_u32_e64 v39, null, s45, v39, vcc_lo
	s_wait_dscnt 0x0
	global_store_b64 v[38:39], v[36:37], off
	s_wait_alu 0xfffe
	s_or_b32 exec_lo, exec_lo, s15
	s_and_saveexec_b32 s15, s21
	s_cbranch_execz .LBB710_818
.LBB710_882:                            ;   in Loop: Header=BB710_682 Depth=2
	v_dual_mov_b32 v39, v2 :: v_dual_lshlrev_b32 v36, 2, v154
	ds_load_b32 v38, v36
	ds_load_b64 v[36:37], v108 offset:15360
	s_wait_dscnt 0x1
	v_add_nc_u32_e32 v38, v38, v85
	s_delay_alu instid0(VALU_DEP_1) | instskip(NEXT) | instid1(VALU_DEP_1)
	v_lshlrev_b64_e32 v[38:39], 3, v[38:39]
	v_add_co_u32 v38, vcc_lo, s44, v38
	s_wait_alu 0xfffd
	s_delay_alu instid0(VALU_DEP_2)
	v_add_co_ci_u32_e64 v39, null, s45, v39, vcc_lo
	s_wait_dscnt 0x0
	global_store_b64 v[38:39], v[36:37], off
	s_wait_alu 0xfffe
	s_or_b32 exec_lo, exec_lo, s15
	s_and_saveexec_b32 s15, s22
	s_cbranch_execz .LBB710_819
.LBB710_883:                            ;   in Loop: Header=BB710_682 Depth=2
	v_dual_mov_b32 v39, v2 :: v_dual_lshlrev_b32 v36, 2, v153
	ds_load_b32 v38, v36
	ds_load_b64 v[36:37], v108 offset:17408
	s_wait_dscnt 0x1
	v_add_nc_u32_e32 v38, v38, v86
	s_delay_alu instid0(VALU_DEP_1) | instskip(NEXT) | instid1(VALU_DEP_1)
	v_lshlrev_b64_e32 v[38:39], 3, v[38:39]
	v_add_co_u32 v38, vcc_lo, s44, v38
	s_wait_alu 0xfffd
	s_delay_alu instid0(VALU_DEP_2)
	v_add_co_ci_u32_e64 v39, null, s45, v39, vcc_lo
	s_wait_dscnt 0x0
	global_store_b64 v[38:39], v[36:37], off
	s_wait_alu 0xfffe
	s_or_b32 exec_lo, exec_lo, s15
	s_and_saveexec_b32 s15, s23
	s_cbranch_execz .LBB710_820
.LBB710_884:                            ;   in Loop: Header=BB710_682 Depth=2
	v_dual_mov_b32 v39, v2 :: v_dual_lshlrev_b32 v36, 2, v152
	ds_load_b32 v38, v36
	ds_load_b64 v[36:37], v108 offset:19456
	s_wait_dscnt 0x1
	v_add_nc_u32_e32 v38, v38, v87
	s_delay_alu instid0(VALU_DEP_1) | instskip(NEXT) | instid1(VALU_DEP_1)
	v_lshlrev_b64_e32 v[38:39], 3, v[38:39]
	v_add_co_u32 v38, vcc_lo, s44, v38
	s_wait_alu 0xfffd
	s_delay_alu instid0(VALU_DEP_2)
	v_add_co_ci_u32_e64 v39, null, s45, v39, vcc_lo
	s_wait_dscnt 0x0
	global_store_b64 v[38:39], v[36:37], off
	s_wait_alu 0xfffe
	s_or_b32 exec_lo, exec_lo, s15
	s_and_saveexec_b32 s15, s24
	s_cbranch_execz .LBB710_821
.LBB710_885:                            ;   in Loop: Header=BB710_682 Depth=2
	v_dual_mov_b32 v39, v2 :: v_dual_lshlrev_b32 v36, 2, v151
	ds_load_b32 v38, v36
	ds_load_b64 v[36:37], v108 offset:21504
	s_wait_dscnt 0x1
	v_add_nc_u32_e32 v38, v38, v88
	s_delay_alu instid0(VALU_DEP_1) | instskip(NEXT) | instid1(VALU_DEP_1)
	v_lshlrev_b64_e32 v[38:39], 3, v[38:39]
	v_add_co_u32 v38, vcc_lo, s44, v38
	s_wait_alu 0xfffd
	s_delay_alu instid0(VALU_DEP_2)
	v_add_co_ci_u32_e64 v39, null, s45, v39, vcc_lo
	s_wait_dscnt 0x0
	global_store_b64 v[38:39], v[36:37], off
	s_wait_alu 0xfffe
	s_or_b32 exec_lo, exec_lo, s15
	s_and_saveexec_b32 s15, s25
	s_cbranch_execz .LBB710_822
.LBB710_886:                            ;   in Loop: Header=BB710_682 Depth=2
	v_dual_mov_b32 v39, v2 :: v_dual_lshlrev_b32 v36, 2, v150
	ds_load_b32 v38, v36
	ds_load_b64 v[36:37], v108 offset:23552
	s_wait_dscnt 0x1
	v_add_nc_u32_e32 v38, v38, v89
	s_delay_alu instid0(VALU_DEP_1) | instskip(NEXT) | instid1(VALU_DEP_1)
	v_lshlrev_b64_e32 v[38:39], 3, v[38:39]
	v_add_co_u32 v38, vcc_lo, s44, v38
	s_wait_alu 0xfffd
	s_delay_alu instid0(VALU_DEP_2)
	v_add_co_ci_u32_e64 v39, null, s45, v39, vcc_lo
	s_wait_dscnt 0x0
	global_store_b64 v[38:39], v[36:37], off
	s_wait_alu 0xfffe
	s_or_b32 exec_lo, exec_lo, s15
	s_and_saveexec_b32 s15, s26
	s_cbranch_execz .LBB710_823
.LBB710_887:                            ;   in Loop: Header=BB710_682 Depth=2
	v_dual_mov_b32 v39, v2 :: v_dual_lshlrev_b32 v36, 2, v149
	ds_load_b32 v38, v36
	ds_load_b64 v[36:37], v108 offset:25600
	s_wait_dscnt 0x1
	v_add_nc_u32_e32 v38, v38, v90
	s_delay_alu instid0(VALU_DEP_1) | instskip(NEXT) | instid1(VALU_DEP_1)
	v_lshlrev_b64_e32 v[38:39], 3, v[38:39]
	v_add_co_u32 v38, vcc_lo, s44, v38
	s_wait_alu 0xfffd
	s_delay_alu instid0(VALU_DEP_2)
	v_add_co_ci_u32_e64 v39, null, s45, v39, vcc_lo
	s_wait_dscnt 0x0
	global_store_b64 v[38:39], v[36:37], off
	s_wait_alu 0xfffe
	s_or_b32 exec_lo, exec_lo, s15
	s_and_saveexec_b32 s15, s27
	s_cbranch_execz .LBB710_824
.LBB710_888:                            ;   in Loop: Header=BB710_682 Depth=2
	v_dual_mov_b32 v39, v2 :: v_dual_lshlrev_b32 v36, 2, v148
	ds_load_b32 v38, v36
	ds_load_b64 v[36:37], v108 offset:27648
	s_wait_dscnt 0x1
	v_add_nc_u32_e32 v38, v38, v91
	s_delay_alu instid0(VALU_DEP_1) | instskip(NEXT) | instid1(VALU_DEP_1)
	v_lshlrev_b64_e32 v[38:39], 3, v[38:39]
	v_add_co_u32 v38, vcc_lo, s44, v38
	s_wait_alu 0xfffd
	s_delay_alu instid0(VALU_DEP_2)
	v_add_co_ci_u32_e64 v39, null, s45, v39, vcc_lo
	s_wait_dscnt 0x0
	global_store_b64 v[38:39], v[36:37], off
	s_wait_alu 0xfffe
	s_or_b32 exec_lo, exec_lo, s15
	s_and_saveexec_b32 s15, s28
	s_cbranch_execz .LBB710_825
.LBB710_889:                            ;   in Loop: Header=BB710_682 Depth=2
	v_dual_mov_b32 v39, v2 :: v_dual_lshlrev_b32 v36, 2, v147
	ds_load_b32 v38, v36
	ds_load_b64 v[36:37], v108 offset:29696
	s_wait_dscnt 0x1
	v_add_nc_u32_e32 v38, v38, v92
	s_delay_alu instid0(VALU_DEP_1) | instskip(NEXT) | instid1(VALU_DEP_1)
	v_lshlrev_b64_e32 v[38:39], 3, v[38:39]
	v_add_co_u32 v38, vcc_lo, s44, v38
	s_wait_alu 0xfffd
	s_delay_alu instid0(VALU_DEP_2)
	v_add_co_ci_u32_e64 v39, null, s45, v39, vcc_lo
	s_wait_dscnt 0x0
	global_store_b64 v[38:39], v[36:37], off
	s_wait_alu 0xfffe
	s_or_b32 exec_lo, exec_lo, s15
	s_and_saveexec_b32 s15, s29
	s_cbranch_execnz .LBB710_826
	s_branch .LBB710_827
.LBB710_890:                            ;   in Loop: Header=BB710_12 Depth=1
	s_wait_loadcnt_dscnt 0x0
	s_barrier_signal -1
	s_mov_b32 s0, 0
	s_barrier_wait -1
.LBB710_891:                            ;   in Loop: Header=BB710_12 Depth=1
	s_wait_alu 0xfffe
	s_and_b32 vcc_lo, exec_lo, s0
	s_wait_alu 0xfffe
	s_cbranch_vccz .LBB710_11
; %bb.892:                              ;   in Loop: Header=BB710_12 Depth=1
	s_mov_b32 s8, s53
	s_mov_b32 s34, s33
	s_barrier_signal -1
	s_barrier_wait -1
	global_inv scope:SCOPE_SE
                                        ; implicit-def: $vgpr4_vgpr5
                                        ; implicit-def: $vgpr6_vgpr7
                                        ; implicit-def: $vgpr8_vgpr9
                                        ; implicit-def: $vgpr10_vgpr11
                                        ; implicit-def: $vgpr12_vgpr13
                                        ; implicit-def: $vgpr14_vgpr15
                                        ; implicit-def: $vgpr16_vgpr17
                                        ; implicit-def: $vgpr18_vgpr19
                                        ; implicit-def: $vgpr20_vgpr21
                                        ; implicit-def: $vgpr22_vgpr23
                                        ; implicit-def: $vgpr24_vgpr25
                                        ; implicit-def: $vgpr26_vgpr27
                                        ; implicit-def: $vgpr28_vgpr29
                                        ; implicit-def: $vgpr30_vgpr31
                                        ; implicit-def: $vgpr32_vgpr33
                                        ; implicit-def: $vgpr34_vgpr35
	s_branch .LBB710_894
.LBB710_893:                            ;   in Loop: Header=BB710_894 Depth=2
	s_wait_alu 0xfffe
	s_or_b32 exec_lo, exec_lo, s0
	s_addk_co_i32 s8, 0xf000
	s_cmp_ge_u32 s9, s51
	s_mov_b32 s34, s9
	s_cbranch_scc1 .LBB710_962
.LBB710_894:                            ;   Parent Loop BB710_12 Depth=1
                                        ; =>  This Inner Loop Header: Depth=2
	s_wait_alu 0xfffe
	s_add_co_i32 s9, s34, 0x1000
	s_mov_b32 s0, -1
	s_wait_alu 0xfffe
	s_cmp_gt_u32 s9, s51
                                        ; implicit-def: $vgpr36_vgpr37
                                        ; implicit-def: $vgpr38_vgpr39
                                        ; implicit-def: $vgpr40_vgpr41
                                        ; implicit-def: $vgpr42_vgpr43
                                        ; implicit-def: $vgpr44_vgpr45
                                        ; implicit-def: $vgpr46_vgpr47
                                        ; implicit-def: $vgpr48_vgpr49
                                        ; implicit-def: $vgpr50_vgpr51
                                        ; implicit-def: $vgpr52_vgpr53
                                        ; implicit-def: $vgpr54_vgpr55
                                        ; implicit-def: $vgpr56_vgpr57
                                        ; implicit-def: $vgpr58_vgpr59
                                        ; implicit-def: $vgpr60_vgpr61
                                        ; implicit-def: $vgpr62_vgpr63
                                        ; implicit-def: $vgpr64_vgpr65
                                        ; implicit-def: $vgpr66_vgpr67
	s_cbranch_scc1 .LBB710_896
; %bb.895:                              ;   in Loop: Header=BB710_894 Depth=2
	s_lshl_b64 s[0:1], s[34:35], 3
	s_wait_alu 0xfffe
	v_add_co_u32 v66, vcc_lo, v115, s0
	s_wait_alu 0xfffd
	v_add_co_ci_u32_e64 v67, null, s1, v116, vcc_lo
	s_mov_b32 s0, 0
	s_clause 0xf
	global_load_b64 v[36:37], v[66:67], off
	global_load_b64 v[38:39], v[66:67], off offset:2048
	global_load_b64 v[40:41], v[66:67], off offset:4096
	;; [unrolled: 1-line block ×15, first 2 shown]
.LBB710_896:                            ;   in Loop: Header=BB710_894 Depth=2
	s_wait_alu 0xfffe
	s_and_not1_b32 vcc_lo, exec_lo, s0
	s_movk_i32 s0, 0x1000
	s_wait_alu 0xfffe
	s_cbranch_vccnz .LBB710_915
; %bb.897:                              ;   in Loop: Header=BB710_894 Depth=2
	s_lshl_b64 s[0:1], s[34:35], 3
	s_mov_b32 s10, exec_lo
	s_wait_alu 0xfffe
	s_add_nc_u64 s[0:1], s[36:37], s[0:1]
	v_cmpx_gt_u32_e64 s8, v1
	s_cbranch_execnz .LBB710_947
; %bb.898:                              ;   in Loop: Header=BB710_894 Depth=2
	s_or_b32 exec_lo, exec_lo, s10
	s_delay_alu instid0(SALU_CYCLE_1)
	s_mov_b32 s10, exec_lo
	v_cmpx_gt_u32_e64 s8, v77
	s_cbranch_execnz .LBB710_948
.LBB710_899:                            ;   in Loop: Header=BB710_894 Depth=2
	s_wait_alu 0xfffe
	s_or_b32 exec_lo, exec_lo, s10
	s_delay_alu instid0(SALU_CYCLE_1)
	s_mov_b32 s10, exec_lo
	v_cmpx_gt_u32_e64 s8, v78
	s_cbranch_execnz .LBB710_949
.LBB710_900:                            ;   in Loop: Header=BB710_894 Depth=2
	s_wait_alu 0xfffe
	s_or_b32 exec_lo, exec_lo, s10
	s_delay_alu instid0(SALU_CYCLE_1)
	s_mov_b32 s10, exec_lo
	v_cmpx_gt_u32_e64 s8, v79
	s_cbranch_execnz .LBB710_950
.LBB710_901:                            ;   in Loop: Header=BB710_894 Depth=2
	s_wait_alu 0xfffe
	s_or_b32 exec_lo, exec_lo, s10
	s_delay_alu instid0(SALU_CYCLE_1)
	s_mov_b32 s10, exec_lo
	v_cmpx_gt_u32_e64 s8, v82
	s_cbranch_execnz .LBB710_951
.LBB710_902:                            ;   in Loop: Header=BB710_894 Depth=2
	s_wait_alu 0xfffe
	s_or_b32 exec_lo, exec_lo, s10
	s_delay_alu instid0(SALU_CYCLE_1)
	s_mov_b32 s10, exec_lo
	v_cmpx_gt_u32_e64 s8, v83
	s_cbranch_execnz .LBB710_952
.LBB710_903:                            ;   in Loop: Header=BB710_894 Depth=2
	s_wait_alu 0xfffe
	s_or_b32 exec_lo, exec_lo, s10
	s_delay_alu instid0(SALU_CYCLE_1)
	s_mov_b32 s10, exec_lo
	v_cmpx_gt_u32_e64 s8, v84
	s_cbranch_execnz .LBB710_953
.LBB710_904:                            ;   in Loop: Header=BB710_894 Depth=2
	s_wait_alu 0xfffe
	s_or_b32 exec_lo, exec_lo, s10
	s_delay_alu instid0(SALU_CYCLE_1)
	s_mov_b32 s10, exec_lo
	v_cmpx_gt_u32_e64 s8, v85
	s_cbranch_execnz .LBB710_954
.LBB710_905:                            ;   in Loop: Header=BB710_894 Depth=2
	s_wait_alu 0xfffe
	s_or_b32 exec_lo, exec_lo, s10
	s_delay_alu instid0(SALU_CYCLE_1)
	s_mov_b32 s10, exec_lo
	v_cmpx_gt_u32_e64 s8, v86
	s_cbranch_execnz .LBB710_955
.LBB710_906:                            ;   in Loop: Header=BB710_894 Depth=2
	s_wait_alu 0xfffe
	s_or_b32 exec_lo, exec_lo, s10
	s_delay_alu instid0(SALU_CYCLE_1)
	s_mov_b32 s10, exec_lo
	v_cmpx_gt_u32_e64 s8, v87
	s_cbranch_execnz .LBB710_956
.LBB710_907:                            ;   in Loop: Header=BB710_894 Depth=2
	s_wait_alu 0xfffe
	s_or_b32 exec_lo, exec_lo, s10
	s_delay_alu instid0(SALU_CYCLE_1)
	s_mov_b32 s10, exec_lo
	v_cmpx_gt_u32_e64 s8, v88
	s_cbranch_execnz .LBB710_957
.LBB710_908:                            ;   in Loop: Header=BB710_894 Depth=2
	s_wait_alu 0xfffe
	s_or_b32 exec_lo, exec_lo, s10
	s_delay_alu instid0(SALU_CYCLE_1)
	s_mov_b32 s10, exec_lo
	v_cmpx_gt_u32_e64 s8, v89
	s_cbranch_execnz .LBB710_958
.LBB710_909:                            ;   in Loop: Header=BB710_894 Depth=2
	s_wait_alu 0xfffe
	s_or_b32 exec_lo, exec_lo, s10
	s_delay_alu instid0(SALU_CYCLE_1)
	s_mov_b32 s10, exec_lo
	v_cmpx_gt_u32_e64 s8, v90
	s_cbranch_execnz .LBB710_959
.LBB710_910:                            ;   in Loop: Header=BB710_894 Depth=2
	s_wait_alu 0xfffe
	s_or_b32 exec_lo, exec_lo, s10
	s_delay_alu instid0(SALU_CYCLE_1)
	s_mov_b32 s10, exec_lo
	v_cmpx_gt_u32_e64 s8, v91
	s_cbranch_execnz .LBB710_960
.LBB710_911:                            ;   in Loop: Header=BB710_894 Depth=2
	s_wait_alu 0xfffe
	s_or_b32 exec_lo, exec_lo, s10
	s_delay_alu instid0(SALU_CYCLE_1)
	s_mov_b32 s10, exec_lo
	v_cmpx_gt_u32_e64 s8, v92
	s_cbranch_execnz .LBB710_961
.LBB710_912:                            ;   in Loop: Header=BB710_894 Depth=2
	s_wait_alu 0xfffe
	s_or_b32 exec_lo, exec_lo, s10
	s_delay_alu instid0(SALU_CYCLE_1)
	s_mov_b32 s10, exec_lo
	v_cmpx_gt_u32_e64 s8, v93
	s_cbranch_execz .LBB710_914
.LBB710_913:                            ;   in Loop: Header=BB710_894 Depth=2
	global_load_b64 v[4:5], v122, s[0:1] offset:30720
.LBB710_914:                            ;   in Loop: Header=BB710_894 Depth=2
	s_wait_alu 0xfffe
	s_or_b32 exec_lo, exec_lo, s10
	s_wait_loadcnt 0x0
	v_dual_mov_b32 v37, v35 :: v_dual_mov_b32 v36, v34
	v_dual_mov_b32 v39, v33 :: v_dual_mov_b32 v38, v32
	;; [unrolled: 1-line block ×16, first 2 shown]
	s_mov_b32 s0, s8
.LBB710_915:                            ;   in Loop: Header=BB710_894 Depth=2
	s_wait_loadcnt 0x0
	s_delay_alu instid0(VALU_DEP_1)
	v_dual_mov_b32 v4, v66 :: v_dual_mov_b32 v5, v67
	v_dual_mov_b32 v6, v64 :: v_dual_mov_b32 v7, v65
	;; [unrolled: 1-line block ×16, first 2 shown]
	s_mov_b32 s1, exec_lo
	s_wait_alu 0xfffe
	v_cmpx_gt_u32_e64 s0, v1
	s_cbranch_execnz .LBB710_931
; %bb.916:                              ;   in Loop: Header=BB710_894 Depth=2
	s_or_b32 exec_lo, exec_lo, s1
	s_delay_alu instid0(SALU_CYCLE_1)
	s_mov_b32 s1, exec_lo
	v_cmpx_gt_u32_e64 s0, v77
	s_cbranch_execnz .LBB710_932
.LBB710_917:                            ;   in Loop: Header=BB710_894 Depth=2
	s_wait_alu 0xfffe
	s_or_b32 exec_lo, exec_lo, s1
	s_delay_alu instid0(SALU_CYCLE_1)
	s_mov_b32 s1, exec_lo
	v_cmpx_gt_u32_e64 s0, v78
	s_cbranch_execnz .LBB710_933
.LBB710_918:                            ;   in Loop: Header=BB710_894 Depth=2
	s_wait_alu 0xfffe
	s_or_b32 exec_lo, exec_lo, s1
	s_delay_alu instid0(SALU_CYCLE_1)
	s_mov_b32 s1, exec_lo
	v_cmpx_gt_u32_e64 s0, v79
	s_cbranch_execnz .LBB710_934
.LBB710_919:                            ;   in Loop: Header=BB710_894 Depth=2
	s_wait_alu 0xfffe
	s_or_b32 exec_lo, exec_lo, s1
	s_delay_alu instid0(SALU_CYCLE_1)
	s_mov_b32 s1, exec_lo
	v_cmpx_gt_u32_e64 s0, v82
	s_cbranch_execnz .LBB710_935
.LBB710_920:                            ;   in Loop: Header=BB710_894 Depth=2
	s_wait_alu 0xfffe
	s_or_b32 exec_lo, exec_lo, s1
	s_delay_alu instid0(SALU_CYCLE_1)
	s_mov_b32 s1, exec_lo
	v_cmpx_gt_u32_e64 s0, v83
	s_cbranch_execnz .LBB710_936
.LBB710_921:                            ;   in Loop: Header=BB710_894 Depth=2
	s_wait_alu 0xfffe
	s_or_b32 exec_lo, exec_lo, s1
	s_delay_alu instid0(SALU_CYCLE_1)
	s_mov_b32 s1, exec_lo
	v_cmpx_gt_u32_e64 s0, v84
	s_cbranch_execnz .LBB710_937
.LBB710_922:                            ;   in Loop: Header=BB710_894 Depth=2
	s_wait_alu 0xfffe
	s_or_b32 exec_lo, exec_lo, s1
	s_delay_alu instid0(SALU_CYCLE_1)
	s_mov_b32 s1, exec_lo
	v_cmpx_gt_u32_e64 s0, v85
	s_cbranch_execnz .LBB710_938
.LBB710_923:                            ;   in Loop: Header=BB710_894 Depth=2
	s_wait_alu 0xfffe
	s_or_b32 exec_lo, exec_lo, s1
	s_delay_alu instid0(SALU_CYCLE_1)
	s_mov_b32 s1, exec_lo
	v_cmpx_gt_u32_e64 s0, v86
	s_cbranch_execnz .LBB710_939
.LBB710_924:                            ;   in Loop: Header=BB710_894 Depth=2
	s_wait_alu 0xfffe
	s_or_b32 exec_lo, exec_lo, s1
	s_delay_alu instid0(SALU_CYCLE_1)
	s_mov_b32 s1, exec_lo
	v_cmpx_gt_u32_e64 s0, v87
	s_cbranch_execnz .LBB710_940
.LBB710_925:                            ;   in Loop: Header=BB710_894 Depth=2
	s_wait_alu 0xfffe
	s_or_b32 exec_lo, exec_lo, s1
	s_delay_alu instid0(SALU_CYCLE_1)
	s_mov_b32 s1, exec_lo
	v_cmpx_gt_u32_e64 s0, v88
	s_cbranch_execnz .LBB710_941
.LBB710_926:                            ;   in Loop: Header=BB710_894 Depth=2
	s_wait_alu 0xfffe
	s_or_b32 exec_lo, exec_lo, s1
	s_delay_alu instid0(SALU_CYCLE_1)
	s_mov_b32 s1, exec_lo
	v_cmpx_gt_u32_e64 s0, v89
	s_cbranch_execnz .LBB710_942
.LBB710_927:                            ;   in Loop: Header=BB710_894 Depth=2
	s_wait_alu 0xfffe
	s_or_b32 exec_lo, exec_lo, s1
	s_delay_alu instid0(SALU_CYCLE_1)
	s_mov_b32 s1, exec_lo
	v_cmpx_gt_u32_e64 s0, v90
	s_cbranch_execnz .LBB710_943
.LBB710_928:                            ;   in Loop: Header=BB710_894 Depth=2
	s_wait_alu 0xfffe
	s_or_b32 exec_lo, exec_lo, s1
	s_delay_alu instid0(SALU_CYCLE_1)
	s_mov_b32 s1, exec_lo
	v_cmpx_gt_u32_e64 s0, v91
	s_cbranch_execnz .LBB710_944
.LBB710_929:                            ;   in Loop: Header=BB710_894 Depth=2
	s_wait_alu 0xfffe
	s_or_b32 exec_lo, exec_lo, s1
	s_delay_alu instid0(SALU_CYCLE_1)
	s_mov_b32 s1, exec_lo
	v_cmpx_gt_u32_e64 s0, v92
	s_cbranch_execnz .LBB710_945
.LBB710_930:                            ;   in Loop: Header=BB710_894 Depth=2
	s_wait_alu 0xfffe
	s_or_b32 exec_lo, exec_lo, s1
	v_cmp_gt_u32_e32 vcc_lo, s0, v93
	s_and_saveexec_b32 s0, vcc_lo
	s_cbranch_execz .LBB710_893
	s_branch .LBB710_946
.LBB710_931:                            ;   in Loop: Header=BB710_894 Depth=2
	v_xor_b32_e32 v37, 0x7fffffff, v35
	v_not_b32_e32 v36, v34
	s_delay_alu instid0(VALU_DEP_1) | instskip(NEXT) | instid1(VALU_DEP_1)
	v_lshrrev_b64 v[36:37], s31, v[36:37]
	v_and_b32_e32 v36, s54, v36
	s_delay_alu instid0(VALU_DEP_1) | instskip(SKIP_2) | instid1(SALU_CYCLE_1)
	v_lshl_or_b32 v36, v36, 4, v94
	ds_add_u32 v36, v121
	s_or_b32 exec_lo, exec_lo, s1
	s_mov_b32 s1, exec_lo
	v_cmpx_gt_u32_e64 s0, v77
	s_cbranch_execz .LBB710_917
.LBB710_932:                            ;   in Loop: Header=BB710_894 Depth=2
	v_xor_b32_e32 v37, 0x7fffffff, v33
	v_not_b32_e32 v36, v32
	s_delay_alu instid0(VALU_DEP_1) | instskip(NEXT) | instid1(VALU_DEP_1)
	v_lshrrev_b64 v[36:37], s31, v[36:37]
	v_and_b32_e32 v36, s54, v36
	s_delay_alu instid0(VALU_DEP_1) | instskip(SKIP_3) | instid1(SALU_CYCLE_1)
	v_lshl_or_b32 v36, v36, 4, v94
	ds_add_u32 v36, v121
	s_wait_alu 0xfffe
	s_or_b32 exec_lo, exec_lo, s1
	s_mov_b32 s1, exec_lo
	v_cmpx_gt_u32_e64 s0, v78
	s_cbranch_execz .LBB710_918
.LBB710_933:                            ;   in Loop: Header=BB710_894 Depth=2
	v_xor_b32_e32 v37, 0x7fffffff, v31
	v_not_b32_e32 v36, v30
	s_delay_alu instid0(VALU_DEP_1) | instskip(NEXT) | instid1(VALU_DEP_1)
	v_lshrrev_b64 v[36:37], s31, v[36:37]
	v_and_b32_e32 v36, s54, v36
	s_delay_alu instid0(VALU_DEP_1) | instskip(SKIP_3) | instid1(SALU_CYCLE_1)
	v_lshl_or_b32 v36, v36, 4, v94
	ds_add_u32 v36, v121
	s_wait_alu 0xfffe
	s_or_b32 exec_lo, exec_lo, s1
	s_mov_b32 s1, exec_lo
	v_cmpx_gt_u32_e64 s0, v79
	s_cbranch_execz .LBB710_919
.LBB710_934:                            ;   in Loop: Header=BB710_894 Depth=2
	v_xor_b32_e32 v37, 0x7fffffff, v29
	v_not_b32_e32 v36, v28
	s_delay_alu instid0(VALU_DEP_1) | instskip(NEXT) | instid1(VALU_DEP_1)
	v_lshrrev_b64 v[36:37], s31, v[36:37]
	v_and_b32_e32 v36, s54, v36
	s_delay_alu instid0(VALU_DEP_1) | instskip(SKIP_3) | instid1(SALU_CYCLE_1)
	v_lshl_or_b32 v36, v36, 4, v94
	ds_add_u32 v36, v121
	s_wait_alu 0xfffe
	s_or_b32 exec_lo, exec_lo, s1
	s_mov_b32 s1, exec_lo
	v_cmpx_gt_u32_e64 s0, v82
	s_cbranch_execz .LBB710_920
.LBB710_935:                            ;   in Loop: Header=BB710_894 Depth=2
	v_xor_b32_e32 v37, 0x7fffffff, v27
	v_not_b32_e32 v36, v26
	s_delay_alu instid0(VALU_DEP_1) | instskip(NEXT) | instid1(VALU_DEP_1)
	v_lshrrev_b64 v[36:37], s31, v[36:37]
	v_and_b32_e32 v36, s54, v36
	s_delay_alu instid0(VALU_DEP_1) | instskip(SKIP_3) | instid1(SALU_CYCLE_1)
	v_lshl_or_b32 v36, v36, 4, v94
	ds_add_u32 v36, v121
	s_wait_alu 0xfffe
	s_or_b32 exec_lo, exec_lo, s1
	s_mov_b32 s1, exec_lo
	v_cmpx_gt_u32_e64 s0, v83
	s_cbranch_execz .LBB710_921
.LBB710_936:                            ;   in Loop: Header=BB710_894 Depth=2
	v_xor_b32_e32 v37, 0x7fffffff, v25
	v_not_b32_e32 v36, v24
	s_delay_alu instid0(VALU_DEP_1) | instskip(NEXT) | instid1(VALU_DEP_1)
	v_lshrrev_b64 v[36:37], s31, v[36:37]
	v_and_b32_e32 v36, s54, v36
	s_delay_alu instid0(VALU_DEP_1) | instskip(SKIP_3) | instid1(SALU_CYCLE_1)
	v_lshl_or_b32 v36, v36, 4, v94
	ds_add_u32 v36, v121
	s_wait_alu 0xfffe
	s_or_b32 exec_lo, exec_lo, s1
	s_mov_b32 s1, exec_lo
	v_cmpx_gt_u32_e64 s0, v84
	s_cbranch_execz .LBB710_922
.LBB710_937:                            ;   in Loop: Header=BB710_894 Depth=2
	v_xor_b32_e32 v37, 0x7fffffff, v23
	v_not_b32_e32 v36, v22
	s_delay_alu instid0(VALU_DEP_1) | instskip(NEXT) | instid1(VALU_DEP_1)
	v_lshrrev_b64 v[36:37], s31, v[36:37]
	v_and_b32_e32 v36, s54, v36
	s_delay_alu instid0(VALU_DEP_1) | instskip(SKIP_3) | instid1(SALU_CYCLE_1)
	v_lshl_or_b32 v36, v36, 4, v94
	ds_add_u32 v36, v121
	s_wait_alu 0xfffe
	s_or_b32 exec_lo, exec_lo, s1
	s_mov_b32 s1, exec_lo
	v_cmpx_gt_u32_e64 s0, v85
	s_cbranch_execz .LBB710_923
.LBB710_938:                            ;   in Loop: Header=BB710_894 Depth=2
	v_xor_b32_e32 v37, 0x7fffffff, v21
	v_not_b32_e32 v36, v20
	s_delay_alu instid0(VALU_DEP_1) | instskip(NEXT) | instid1(VALU_DEP_1)
	v_lshrrev_b64 v[36:37], s31, v[36:37]
	v_and_b32_e32 v36, s54, v36
	s_delay_alu instid0(VALU_DEP_1) | instskip(SKIP_3) | instid1(SALU_CYCLE_1)
	v_lshl_or_b32 v36, v36, 4, v94
	ds_add_u32 v36, v121
	s_wait_alu 0xfffe
	s_or_b32 exec_lo, exec_lo, s1
	s_mov_b32 s1, exec_lo
	v_cmpx_gt_u32_e64 s0, v86
	s_cbranch_execz .LBB710_924
.LBB710_939:                            ;   in Loop: Header=BB710_894 Depth=2
	v_xor_b32_e32 v37, 0x7fffffff, v19
	v_not_b32_e32 v36, v18
	s_delay_alu instid0(VALU_DEP_1) | instskip(NEXT) | instid1(VALU_DEP_1)
	v_lshrrev_b64 v[36:37], s31, v[36:37]
	v_and_b32_e32 v36, s54, v36
	s_delay_alu instid0(VALU_DEP_1) | instskip(SKIP_3) | instid1(SALU_CYCLE_1)
	v_lshl_or_b32 v36, v36, 4, v94
	ds_add_u32 v36, v121
	s_wait_alu 0xfffe
	s_or_b32 exec_lo, exec_lo, s1
	s_mov_b32 s1, exec_lo
	v_cmpx_gt_u32_e64 s0, v87
	s_cbranch_execz .LBB710_925
.LBB710_940:                            ;   in Loop: Header=BB710_894 Depth=2
	v_xor_b32_e32 v37, 0x7fffffff, v17
	v_not_b32_e32 v36, v16
	s_delay_alu instid0(VALU_DEP_1) | instskip(NEXT) | instid1(VALU_DEP_1)
	v_lshrrev_b64 v[36:37], s31, v[36:37]
	v_and_b32_e32 v36, s54, v36
	s_delay_alu instid0(VALU_DEP_1) | instskip(SKIP_3) | instid1(SALU_CYCLE_1)
	v_lshl_or_b32 v36, v36, 4, v94
	ds_add_u32 v36, v121
	s_wait_alu 0xfffe
	s_or_b32 exec_lo, exec_lo, s1
	s_mov_b32 s1, exec_lo
	v_cmpx_gt_u32_e64 s0, v88
	s_cbranch_execz .LBB710_926
.LBB710_941:                            ;   in Loop: Header=BB710_894 Depth=2
	v_xor_b32_e32 v37, 0x7fffffff, v15
	v_not_b32_e32 v36, v14
	s_delay_alu instid0(VALU_DEP_1) | instskip(NEXT) | instid1(VALU_DEP_1)
	v_lshrrev_b64 v[36:37], s31, v[36:37]
	v_and_b32_e32 v36, s54, v36
	s_delay_alu instid0(VALU_DEP_1) | instskip(SKIP_3) | instid1(SALU_CYCLE_1)
	v_lshl_or_b32 v36, v36, 4, v94
	ds_add_u32 v36, v121
	s_wait_alu 0xfffe
	s_or_b32 exec_lo, exec_lo, s1
	s_mov_b32 s1, exec_lo
	v_cmpx_gt_u32_e64 s0, v89
	s_cbranch_execz .LBB710_927
.LBB710_942:                            ;   in Loop: Header=BB710_894 Depth=2
	v_xor_b32_e32 v37, 0x7fffffff, v13
	v_not_b32_e32 v36, v12
	s_delay_alu instid0(VALU_DEP_1) | instskip(NEXT) | instid1(VALU_DEP_1)
	v_lshrrev_b64 v[36:37], s31, v[36:37]
	v_and_b32_e32 v36, s54, v36
	s_delay_alu instid0(VALU_DEP_1) | instskip(SKIP_3) | instid1(SALU_CYCLE_1)
	v_lshl_or_b32 v36, v36, 4, v94
	ds_add_u32 v36, v121
	s_wait_alu 0xfffe
	s_or_b32 exec_lo, exec_lo, s1
	s_mov_b32 s1, exec_lo
	v_cmpx_gt_u32_e64 s0, v90
	s_cbranch_execz .LBB710_928
.LBB710_943:                            ;   in Loop: Header=BB710_894 Depth=2
	v_xor_b32_e32 v37, 0x7fffffff, v11
	v_not_b32_e32 v36, v10
	s_delay_alu instid0(VALU_DEP_1) | instskip(NEXT) | instid1(VALU_DEP_1)
	v_lshrrev_b64 v[36:37], s31, v[36:37]
	v_and_b32_e32 v36, s54, v36
	s_delay_alu instid0(VALU_DEP_1) | instskip(SKIP_3) | instid1(SALU_CYCLE_1)
	v_lshl_or_b32 v36, v36, 4, v94
	ds_add_u32 v36, v121
	s_wait_alu 0xfffe
	s_or_b32 exec_lo, exec_lo, s1
	s_mov_b32 s1, exec_lo
	v_cmpx_gt_u32_e64 s0, v91
	s_cbranch_execz .LBB710_929
.LBB710_944:                            ;   in Loop: Header=BB710_894 Depth=2
	v_xor_b32_e32 v37, 0x7fffffff, v9
	v_not_b32_e32 v36, v8
	s_delay_alu instid0(VALU_DEP_1) | instskip(NEXT) | instid1(VALU_DEP_1)
	v_lshrrev_b64 v[36:37], s31, v[36:37]
	v_and_b32_e32 v36, s54, v36
	s_delay_alu instid0(VALU_DEP_1) | instskip(SKIP_3) | instid1(SALU_CYCLE_1)
	v_lshl_or_b32 v36, v36, 4, v94
	ds_add_u32 v36, v121
	s_wait_alu 0xfffe
	s_or_b32 exec_lo, exec_lo, s1
	s_mov_b32 s1, exec_lo
	v_cmpx_gt_u32_e64 s0, v92
	s_cbranch_execz .LBB710_930
.LBB710_945:                            ;   in Loop: Header=BB710_894 Depth=2
	v_xor_b32_e32 v37, 0x7fffffff, v7
	v_not_b32_e32 v36, v6
	s_delay_alu instid0(VALU_DEP_1) | instskip(NEXT) | instid1(VALU_DEP_1)
	v_lshrrev_b64 v[36:37], s31, v[36:37]
	v_and_b32_e32 v36, s54, v36
	s_delay_alu instid0(VALU_DEP_1)
	v_lshl_or_b32 v36, v36, 4, v94
	ds_add_u32 v36, v121
	s_wait_alu 0xfffe
	s_or_b32 exec_lo, exec_lo, s1
	v_cmp_gt_u32_e32 vcc_lo, s0, v93
	s_and_saveexec_b32 s0, vcc_lo
	s_cbranch_execz .LBB710_893
.LBB710_946:                            ;   in Loop: Header=BB710_894 Depth=2
	v_xor_b32_e32 v37, 0x7fffffff, v5
	v_not_b32_e32 v36, v4
	s_delay_alu instid0(VALU_DEP_1) | instskip(NEXT) | instid1(VALU_DEP_1)
	v_lshrrev_b64 v[36:37], s31, v[36:37]
	v_and_b32_e32 v36, s54, v36
	s_delay_alu instid0(VALU_DEP_1)
	v_lshl_or_b32 v36, v36, 4, v94
	ds_add_u32 v36, v121
	s_branch .LBB710_893
.LBB710_947:                            ;   in Loop: Header=BB710_894 Depth=2
	global_load_b64 v[34:35], v122, s[0:1]
	s_or_b32 exec_lo, exec_lo, s10
	s_delay_alu instid0(SALU_CYCLE_1)
	s_mov_b32 s10, exec_lo
	v_cmpx_gt_u32_e64 s8, v77
	s_cbranch_execz .LBB710_899
.LBB710_948:                            ;   in Loop: Header=BB710_894 Depth=2
	global_load_b64 v[32:33], v122, s[0:1] offset:2048
	s_wait_alu 0xfffe
	s_or_b32 exec_lo, exec_lo, s10
	s_delay_alu instid0(SALU_CYCLE_1)
	s_mov_b32 s10, exec_lo
	v_cmpx_gt_u32_e64 s8, v78
	s_cbranch_execz .LBB710_900
.LBB710_949:                            ;   in Loop: Header=BB710_894 Depth=2
	global_load_b64 v[30:31], v122, s[0:1] offset:4096
	s_wait_alu 0xfffe
	s_or_b32 exec_lo, exec_lo, s10
	s_delay_alu instid0(SALU_CYCLE_1)
	s_mov_b32 s10, exec_lo
	v_cmpx_gt_u32_e64 s8, v79
	s_cbranch_execz .LBB710_901
.LBB710_950:                            ;   in Loop: Header=BB710_894 Depth=2
	global_load_b64 v[28:29], v122, s[0:1] offset:6144
	s_wait_alu 0xfffe
	s_or_b32 exec_lo, exec_lo, s10
	s_delay_alu instid0(SALU_CYCLE_1)
	s_mov_b32 s10, exec_lo
	v_cmpx_gt_u32_e64 s8, v82
	s_cbranch_execz .LBB710_902
.LBB710_951:                            ;   in Loop: Header=BB710_894 Depth=2
	global_load_b64 v[26:27], v122, s[0:1] offset:8192
	s_wait_alu 0xfffe
	s_or_b32 exec_lo, exec_lo, s10
	s_delay_alu instid0(SALU_CYCLE_1)
	s_mov_b32 s10, exec_lo
	v_cmpx_gt_u32_e64 s8, v83
	s_cbranch_execz .LBB710_903
.LBB710_952:                            ;   in Loop: Header=BB710_894 Depth=2
	global_load_b64 v[24:25], v122, s[0:1] offset:10240
	s_wait_alu 0xfffe
	s_or_b32 exec_lo, exec_lo, s10
	s_delay_alu instid0(SALU_CYCLE_1)
	s_mov_b32 s10, exec_lo
	v_cmpx_gt_u32_e64 s8, v84
	s_cbranch_execz .LBB710_904
.LBB710_953:                            ;   in Loop: Header=BB710_894 Depth=2
	global_load_b64 v[22:23], v122, s[0:1] offset:12288
	s_wait_alu 0xfffe
	s_or_b32 exec_lo, exec_lo, s10
	s_delay_alu instid0(SALU_CYCLE_1)
	s_mov_b32 s10, exec_lo
	v_cmpx_gt_u32_e64 s8, v85
	s_cbranch_execz .LBB710_905
.LBB710_954:                            ;   in Loop: Header=BB710_894 Depth=2
	global_load_b64 v[20:21], v122, s[0:1] offset:14336
	s_wait_alu 0xfffe
	s_or_b32 exec_lo, exec_lo, s10
	s_delay_alu instid0(SALU_CYCLE_1)
	s_mov_b32 s10, exec_lo
	v_cmpx_gt_u32_e64 s8, v86
	s_cbranch_execz .LBB710_906
.LBB710_955:                            ;   in Loop: Header=BB710_894 Depth=2
	global_load_b64 v[18:19], v122, s[0:1] offset:16384
	s_wait_alu 0xfffe
	s_or_b32 exec_lo, exec_lo, s10
	s_delay_alu instid0(SALU_CYCLE_1)
	s_mov_b32 s10, exec_lo
	v_cmpx_gt_u32_e64 s8, v87
	s_cbranch_execz .LBB710_907
.LBB710_956:                            ;   in Loop: Header=BB710_894 Depth=2
	global_load_b64 v[16:17], v122, s[0:1] offset:18432
	s_wait_alu 0xfffe
	s_or_b32 exec_lo, exec_lo, s10
	s_delay_alu instid0(SALU_CYCLE_1)
	s_mov_b32 s10, exec_lo
	v_cmpx_gt_u32_e64 s8, v88
	s_cbranch_execz .LBB710_908
.LBB710_957:                            ;   in Loop: Header=BB710_894 Depth=2
	global_load_b64 v[14:15], v122, s[0:1] offset:20480
	s_wait_alu 0xfffe
	s_or_b32 exec_lo, exec_lo, s10
	s_delay_alu instid0(SALU_CYCLE_1)
	s_mov_b32 s10, exec_lo
	v_cmpx_gt_u32_e64 s8, v89
	s_cbranch_execz .LBB710_909
.LBB710_958:                            ;   in Loop: Header=BB710_894 Depth=2
	global_load_b64 v[12:13], v122, s[0:1] offset:22528
	s_wait_alu 0xfffe
	s_or_b32 exec_lo, exec_lo, s10
	s_delay_alu instid0(SALU_CYCLE_1)
	s_mov_b32 s10, exec_lo
	v_cmpx_gt_u32_e64 s8, v90
	s_cbranch_execz .LBB710_910
.LBB710_959:                            ;   in Loop: Header=BB710_894 Depth=2
	global_load_b64 v[10:11], v122, s[0:1] offset:24576
	s_wait_alu 0xfffe
	s_or_b32 exec_lo, exec_lo, s10
	s_delay_alu instid0(SALU_CYCLE_1)
	s_mov_b32 s10, exec_lo
	v_cmpx_gt_u32_e64 s8, v91
	s_cbranch_execz .LBB710_911
.LBB710_960:                            ;   in Loop: Header=BB710_894 Depth=2
	global_load_b64 v[8:9], v122, s[0:1] offset:26624
	s_wait_alu 0xfffe
	s_or_b32 exec_lo, exec_lo, s10
	s_delay_alu instid0(SALU_CYCLE_1)
	s_mov_b32 s10, exec_lo
	v_cmpx_gt_u32_e64 s8, v92
	s_cbranch_execz .LBB710_912
.LBB710_961:                            ;   in Loop: Header=BB710_894 Depth=2
	global_load_b64 v[6:7], v122, s[0:1] offset:28672
	s_wait_alu 0xfffe
	s_or_b32 exec_lo, exec_lo, s10
	s_delay_alu instid0(SALU_CYCLE_1)
	s_mov_b32 s10, exec_lo
	v_cmpx_gt_u32_e64 s8, v93
	s_cbranch_execnz .LBB710_913
	s_branch .LBB710_914
.LBB710_962:                            ;   in Loop: Header=BB710_12 Depth=1
	v_mov_b32_e32 v4, 0
	s_wait_dscnt 0x0
	s_barrier_signal -1
	s_barrier_wait -1
	global_inv scope:SCOPE_SE
	s_and_saveexec_b32 s0, s2
	s_cbranch_execz .LBB710_964
; %bb.963:                              ;   in Loop: Header=BB710_12 Depth=1
	ds_load_2addr_b64 v[4:7], v96 offset1:1
	s_wait_dscnt 0x0
	v_add_nc_u32_e32 v4, v5, v4
	s_delay_alu instid0(VALU_DEP_1)
	v_add3_u32 v4, v4, v6, v7
.LBB710_964:                            ;   in Loop: Header=BB710_12 Depth=1
	s_wait_alu 0xfffe
	s_or_b32 exec_lo, exec_lo, s0
	v_and_b32_e32 v5, 15, v123
	s_delay_alu instid0(VALU_DEP_2) | instskip(SKIP_1) | instid1(VALU_DEP_3)
	v_mov_b32_dpp v6, v4 row_shr:1 row_mask:0xf bank_mask:0xf
	v_and_b32_e32 v7, 16, v123
	v_cmp_eq_u32_e64 s0, 0, v5
	v_cmp_lt_u32_e64 s1, 1, v5
	v_cmp_lt_u32_e64 s8, 3, v5
	v_cmp_lt_u32_e64 s9, 7, v5
	v_cmp_eq_u32_e64 s10, 0, v7
	s_wait_alu 0xf1ff
	v_cndmask_b32_e64 v6, v6, 0, s0
	s_delay_alu instid0(VALU_DEP_1) | instskip(NEXT) | instid1(VALU_DEP_1)
	v_add_nc_u32_e32 v4, v6, v4
	v_mov_b32_dpp v6, v4 row_shr:2 row_mask:0xf bank_mask:0xf
	s_delay_alu instid0(VALU_DEP_1) | instskip(NEXT) | instid1(VALU_DEP_1)
	v_cndmask_b32_e64 v6, 0, v6, s1
	v_add_nc_u32_e32 v4, v4, v6
	s_delay_alu instid0(VALU_DEP_1) | instskip(NEXT) | instid1(VALU_DEP_1)
	v_mov_b32_dpp v6, v4 row_shr:4 row_mask:0xf bank_mask:0xf
	v_cndmask_b32_e64 v6, 0, v6, s8
	s_delay_alu instid0(VALU_DEP_1) | instskip(NEXT) | instid1(VALU_DEP_1)
	v_add_nc_u32_e32 v4, v4, v6
	v_mov_b32_dpp v6, v4 row_shr:8 row_mask:0xf bank_mask:0xf
	s_delay_alu instid0(VALU_DEP_1) | instskip(SKIP_1) | instid1(VALU_DEP_2)
	v_cndmask_b32_e64 v5, 0, v6, s9
	v_bfe_i32 v6, v123, 4, 1
	v_add_nc_u32_e32 v4, v4, v5
	ds_swizzle_b32 v5, v4 offset:swizzle(BROADCAST,32,15)
	s_wait_dscnt 0x0
	v_and_b32_e32 v5, v6, v5
	s_delay_alu instid0(VALU_DEP_1)
	v_add_nc_u32_e32 v5, v4, v5
	s_and_saveexec_b32 s11, s3
; %bb.965:                              ;   in Loop: Header=BB710_12 Depth=1
	ds_store_b32 v97, v5
; %bb.966:                              ;   in Loop: Header=BB710_12 Depth=1
	s_wait_alu 0xfffe
	s_or_b32 exec_lo, exec_lo, s11
	v_and_b32_e32 v4, 7, v123
	s_wait_loadcnt_dscnt 0x0
	s_barrier_signal -1
	s_barrier_wait -1
	global_inv scope:SCOPE_SE
	s_and_saveexec_b32 s11, s4
	s_cbranch_execz .LBB710_968
; %bb.967:                              ;   in Loop: Header=BB710_12 Depth=1
	ds_load_b32 v6, v98
	v_cmp_ne_u32_e32 vcc_lo, 0, v4
	s_wait_dscnt 0x0
	v_mov_b32_dpp v7, v6 row_shr:1 row_mask:0xf bank_mask:0xf
	s_wait_alu 0xfffd
	s_delay_alu instid0(VALU_DEP_1) | instskip(SKIP_1) | instid1(VALU_DEP_2)
	v_cndmask_b32_e32 v7, 0, v7, vcc_lo
	v_cmp_lt_u32_e32 vcc_lo, 1, v4
	v_add_nc_u32_e32 v6, v7, v6
	s_delay_alu instid0(VALU_DEP_1) | instskip(SKIP_1) | instid1(VALU_DEP_1)
	v_mov_b32_dpp v7, v6 row_shr:2 row_mask:0xf bank_mask:0xf
	s_wait_alu 0xfffd
	v_cndmask_b32_e32 v7, 0, v7, vcc_lo
	v_cmp_lt_u32_e32 vcc_lo, 3, v4
	s_delay_alu instid0(VALU_DEP_2) | instskip(NEXT) | instid1(VALU_DEP_1)
	v_add_nc_u32_e32 v6, v6, v7
	v_mov_b32_dpp v7, v6 row_shr:4 row_mask:0xf bank_mask:0xf
	s_wait_alu 0xfffd
	s_delay_alu instid0(VALU_DEP_1) | instskip(NEXT) | instid1(VALU_DEP_1)
	v_cndmask_b32_e32 v7, 0, v7, vcc_lo
	v_add_nc_u32_e32 v6, v6, v7
	ds_store_b32 v98, v6
.LBB710_968:                            ;   in Loop: Header=BB710_12 Depth=1
	s_wait_alu 0xfffe
	s_or_b32 exec_lo, exec_lo, s11
	v_mov_b32_e32 v6, 0
	s_wait_loadcnt_dscnt 0x0
	s_barrier_signal -1
	s_barrier_wait -1
	global_inv scope:SCOPE_SE
	s_and_saveexec_b32 s11, s5
; %bb.969:                              ;   in Loop: Header=BB710_12 Depth=1
	ds_load_b32 v6, v101
; %bb.970:                              ;   in Loop: Header=BB710_12 Depth=1
	s_wait_alu 0xfffe
	s_or_b32 exec_lo, exec_lo, s11
	v_sub_co_u32 v7, s11, v123, 1
	s_wait_dscnt 0x0
	v_add_nc_u32_e32 v5, v6, v5
	s_wait_loadcnt 0x0
	s_barrier_signal -1
	v_cmp_gt_i32_e32 vcc_lo, 0, v7
	s_barrier_wait -1
	global_inv scope:SCOPE_SE
	s_wait_alu 0xfffd
	v_cndmask_b32_e32 v7, v7, v123, vcc_lo
	s_delay_alu instid0(VALU_DEP_1)
	v_lshlrev_b32_e32 v124, 2, v7
	ds_bpermute_b32 v5, v124, v5
	s_and_saveexec_b32 s12, s2
	s_cbranch_execz .LBB710_972
; %bb.971:                              ;   in Loop: Header=BB710_12 Depth=1
	s_wait_dscnt 0x0
	v_cndmask_b32_e64 v5, v5, v6, s11
	s_delay_alu instid0(VALU_DEP_1)
	v_add_nc_u32_e32 v5, s33, v5
	ds_store_b32 v76, v5
.LBB710_972:                            ;   in Loop: Header=BB710_12 Depth=1
	s_wait_alu 0xfffe
	s_or_b32 exec_lo, exec_lo, s12
	s_load_b64 s[12:13], s[42:43], 0x0
	v_lshlrev_b32_e32 v6, 3, v123
	v_or_b32_e32 v125, v123, v99
	s_mov_b32 s55, s53
                                        ; implicit-def: $vgpr8_vgpr9
                                        ; implicit-def: $vgpr10_vgpr11
                                        ; implicit-def: $vgpr12_vgpr13
                                        ; implicit-def: $vgpr14_vgpr15
                                        ; implicit-def: $vgpr16_vgpr17
                                        ; implicit-def: $vgpr18_vgpr19
                                        ; implicit-def: $vgpr20_vgpr21
                                        ; implicit-def: $vgpr22_vgpr23
                                        ; implicit-def: $vgpr24_vgpr25
                                        ; implicit-def: $vgpr26_vgpr27
                                        ; implicit-def: $vgpr28_vgpr29
                                        ; implicit-def: $vgpr30_vgpr31
                                        ; implicit-def: $vgpr32_vgpr33
                                        ; implicit-def: $vgpr34_vgpr35
                                        ; implicit-def: $vgpr146
                                        ; implicit-def: $vgpr147
                                        ; implicit-def: $vgpr148
                                        ; implicit-def: $vgpr149
                                        ; implicit-def: $vgpr150
                                        ; implicit-def: $vgpr151
                                        ; implicit-def: $vgpr152
                                        ; implicit-def: $vgpr153
                                        ; implicit-def: $vgpr154
                                        ; implicit-def: $vgpr155
                                        ; implicit-def: $vgpr156
                                        ; implicit-def: $vgpr157
                                        ; implicit-def: $vgpr158
                                        ; implicit-def: $vgpr159
                                        ; implicit-def: $vgpr160
                                        ; implicit-def: $vgpr161
	s_delay_alu instid0(VALU_DEP_2)
	v_add_co_u32 v126, vcc_lo, v117, v6
	s_wait_alu 0xfffd
	v_add_co_ci_u32_e64 v127, null, 0, v118, vcc_lo
	v_add_co_u32 v143, vcc_lo, v119, v6
	v_or_b32_e32 v128, 32, v125
	v_or_b32_e32 v129, 64, v125
	;; [unrolled: 1-line block ×8, first 2 shown]
	s_wait_kmcnt 0x0
	s_cmp_lt_u32 ttmp7, s13
	v_or_b32_e32 v136, 0x120, v125
	s_cselect_b32 s34, 14, 20
	s_cmp_lt_u32 ttmp9, s12
	s_wait_alu 0xfffe
	s_add_nc_u64 s[14:15], s[42:43], s[34:35]
	s_cselect_b32 s34, 12, 18
	s_load_u16 s15, s[14:15], 0x0
	s_add_nc_u64 s[12:13], s[42:43], s[34:35]
	v_or_b32_e32 v137, 0x140, v125
	s_load_u16 s16, s[12:13], 0x0
	v_cmp_eq_u32_e64 s12, 0, v4
	v_cmp_lt_u32_e64 s13, 1, v4
	v_cmp_lt_u32_e64 s14, 3, v4
	v_or_b32_e32 v138, 0x160, v125
	v_or_b32_e32 v139, 0x180, v125
	;; [unrolled: 1-line block ×5, first 2 shown]
	v_add_co_ci_u32_e64 v144, null, 0, v120, vcc_lo
	s_mov_b32 s34, s33
                                        ; implicit-def: $vgpr6_vgpr7
	s_wait_kmcnt 0x0
	v_mad_u32_u24 v4, v102, s15, v0
	s_wait_dscnt 0x0
	s_delay_alu instid0(VALU_DEP_1) | instskip(NEXT) | instid1(VALU_DEP_1)
	v_mad_co_u64_u32 v[4:5], null, v4, s16, v[1:2]
	v_lshrrev_b32_e32 v4, 3, v4
	s_delay_alu instid0(VALU_DEP_1)
	v_and_b32_e32 v145, 0x1ffffffc, v4
                                        ; implicit-def: $vgpr4_vgpr5
	s_branch .LBB710_974
.LBB710_973:                            ;   in Loop: Header=BB710_974 Depth=2
	s_wait_alu 0xfffe
	s_or_b32 exec_lo, exec_lo, s15
	s_addk_co_i32 s55, 0xf000
	s_cmp_lt_u32 s56, s51
	s_mov_b32 s34, s56
	s_cbranch_scc0 .LBB710_10
.LBB710_974:                            ;   Parent Loop BB710_12 Depth=1
                                        ; =>  This Inner Loop Header: Depth=2
	s_wait_alu 0xfffe
	s_add_co_i32 s56, s34, 0x1000
	s_wait_alu 0xfffe
	s_cmp_gt_u32 s56, s51
	s_cbranch_scc1 .LBB710_976
; %bb.975:                              ;   in Loop: Header=BB710_974 Depth=2
	s_lshl_b64 s[16:17], s[34:35], 3
	s_mov_b32 s15, -1
	s_wait_alu 0xfffe
	v_add_co_u32 v36, vcc_lo, v143, s16
	s_wait_alu 0xfffd
	v_add_co_ci_u32_e64 v37, null, s17, v144, vcc_lo
	s_clause 0xe
	global_load_b64 v[38:39], v[36:37], off
	global_load_b64 v[40:41], v[36:37], off offset:256
	global_load_b64 v[42:43], v[36:37], off offset:512
	;; [unrolled: 1-line block ×14, first 2 shown]
	s_movk_i32 s16, 0x1000
	s_cbranch_execz .LBB710_977
	s_branch .LBB710_1008
.LBB710_976:                            ;   in Loop: Header=BB710_974 Depth=2
	s_mov_b32 s15, 0
                                        ; implicit-def: $vgpr38_vgpr39
                                        ; implicit-def: $vgpr40_vgpr41
                                        ; implicit-def: $vgpr42_vgpr43
                                        ; implicit-def: $vgpr46_vgpr47
                                        ; implicit-def: $vgpr52_vgpr53
                                        ; implicit-def: $vgpr56_vgpr57
                                        ; implicit-def: $vgpr60_vgpr61
                                        ; implicit-def: $vgpr64_vgpr65
                                        ; implicit-def: $vgpr66_vgpr67
                                        ; implicit-def: $vgpr62_vgpr63
                                        ; implicit-def: $vgpr58_vgpr59
                                        ; implicit-def: $vgpr54_vgpr55
                                        ; implicit-def: $vgpr50_vgpr51
                                        ; implicit-def: $vgpr48_vgpr49
                                        ; implicit-def: $vgpr44_vgpr45
	s_movk_i32 s16, 0x1000
.LBB710_977:                            ;   in Loop: Header=BB710_974 Depth=2
	s_wait_loadcnt 0xd
	v_dual_mov_b32 v40, v2 :: v_dual_mov_b32 v41, v3
	s_lshl_b64 s[16:17], s[34:35], 3
	s_mov_b32 s15, exec_lo
	s_wait_alu 0xfffe
	v_add_co_u32 v36, vcc_lo, v143, s16
	s_wait_alu 0xfffd
	v_add_co_ci_u32_e64 v37, null, s17, v144, vcc_lo
	v_dual_mov_b32 v38, v40 :: v_dual_mov_b32 v39, v41
	v_cmpx_gt_u32_e64 s55, v125
	s_cbranch_execz .LBB710_979
; %bb.978:                              ;   in Loop: Header=BB710_974 Depth=2
	global_load_b64 v[38:39], v[36:37], off
.LBB710_979:                            ;   in Loop: Header=BB710_974 Depth=2
	s_or_b32 exec_lo, exec_lo, s15
	s_delay_alu instid0(SALU_CYCLE_1)
	s_mov_b32 s15, exec_lo
	v_cmpx_gt_u32_e64 s55, v128
	s_cbranch_execz .LBB710_981
; %bb.980:                              ;   in Loop: Header=BB710_974 Depth=2
	global_load_b64 v[40:41], v[36:37], off offset:256
.LBB710_981:                            ;   in Loop: Header=BB710_974 Depth=2
	s_wait_alu 0xfffe
	s_or_b32 exec_lo, exec_lo, s15
	s_wait_loadcnt 0xc
	v_dual_mov_b32 v43, v3 :: v_dual_mov_b32 v42, v2
	s_mov_b32 s15, exec_lo
	v_cmpx_gt_u32_e64 s55, v129
	s_cbranch_execz .LBB710_983
; %bb.982:                              ;   in Loop: Header=BB710_974 Depth=2
	global_load_b64 v[42:43], v[36:37], off offset:512
.LBB710_983:                            ;   in Loop: Header=BB710_974 Depth=2
	s_wait_alu 0xfffe
	s_or_b32 exec_lo, exec_lo, s15
	s_wait_loadcnt 0xb
	v_dual_mov_b32 v47, v3 :: v_dual_mov_b32 v46, v2
	;; [unrolled: 10-line block ×10, first 2 shown]
	s_mov_b32 s15, exec_lo
	v_cmpx_gt_u32_e64 s55, v138
	s_cbranch_execz .LBB710_1001
; %bb.1000:                             ;   in Loop: Header=BB710_974 Depth=2
	global_load_b64 v[54:55], v[36:37], off offset:2816
.LBB710_1001:                           ;   in Loop: Header=BB710_974 Depth=2
	s_wait_alu 0xfffe
	s_or_b32 exec_lo, exec_lo, s15
	s_wait_loadcnt 0x2
	v_dual_mov_b32 v51, v3 :: v_dual_mov_b32 v50, v2
	s_mov_b32 s15, exec_lo
	v_cmpx_gt_u32_e64 s55, v139
	s_cbranch_execz .LBB710_1003
; %bb.1002:                             ;   in Loop: Header=BB710_974 Depth=2
	global_load_b64 v[50:51], v[36:37], off offset:3072
.LBB710_1003:                           ;   in Loop: Header=BB710_974 Depth=2
	s_wait_alu 0xfffe
	s_or_b32 exec_lo, exec_lo, s15
	s_wait_loadcnt 0x1
	v_dual_mov_b32 v49, v3 :: v_dual_mov_b32 v48, v2
	;; [unrolled: 10-line block ×3, first 2 shown]
	s_mov_b32 s15, exec_lo
	v_cmpx_gt_u32_e64 s55, v141
	s_cbranch_execz .LBB710_1007
; %bb.1006:                             ;   in Loop: Header=BB710_974 Depth=2
	global_load_b64 v[44:45], v[36:37], off offset:3584
.LBB710_1007:                           ;   in Loop: Header=BB710_974 Depth=2
	s_wait_alu 0xfffe
	s_or_b32 exec_lo, exec_lo, s15
	v_cmp_gt_u32_e64 s15, s55, v142
	s_sub_co_i32 s16, s51, s34
.LBB710_1008:                           ;   in Loop: Header=BB710_974 Depth=2
	v_mov_b32_e32 v36, -1
	v_dual_mov_b32 v37, -1 :: v_dual_mov_b32 v162, s55
	s_and_saveexec_b32 s17, s15
	s_cbranch_execz .LBB710_1010
; %bb.1009:                             ;   in Loop: Header=BB710_974 Depth=2
	s_lshl_b64 s[18:19], s[34:35], 3
	s_wait_alu 0xfffe
	v_mov_b32_e32 v162, s16
	v_add_co_u32 v36, vcc_lo, v143, s18
	s_wait_alu 0xfffd
	v_add_co_ci_u32_e64 v37, null, s19, v144, vcc_lo
	global_load_b64 v[36:37], v[36:37], off offset:3840
	s_wait_loadcnt 0x0
	v_xor_b32_e32 v37, 0x7fffffff, v37
	v_not_b32_e32 v36, v36
.LBB710_1010:                           ;   in Loop: Header=BB710_974 Depth=2
	s_wait_alu 0xfffe
	s_or_b32 exec_lo, exec_lo, s17
	s_wait_loadcnt 0xe
	v_xor_b32_e32 v39, 0x7fffffff, v39
	v_not_b32_e32 v38, v38
	v_add_nc_u32_e32 v165, 0x420, v100
	v_add_nc_u32_e32 v166, 0x428, v100
	;; [unrolled: 1-line block ×3, first 2 shown]
	s_delay_alu instid0(VALU_DEP_4) | instskip(NEXT) | instid1(VALU_DEP_1)
	v_lshrrev_b64 v[68:69], s31, v[38:39]
	v_and_b32_e32 v69, s54, v68
	s_delay_alu instid0(VALU_DEP_1)
	v_and_b32_e32 v68, 1, v69
	v_lshlrev_b32_e32 v70, 30, v69
	v_lshlrev_b32_e32 v71, 29, v69
	;; [unrolled: 1-line block ×4, first 2 shown]
	v_add_co_u32 v68, s15, v68, -1
	s_wait_alu 0xf1ff
	v_cndmask_b32_e64 v73, 0, 1, s15
	v_not_b32_e32 v164, v70
	v_cmp_gt_i32_e64 s15, 0, v70
	v_not_b32_e32 v70, v71
	v_lshlrev_b32_e32 v75, 26, v69
	v_cmp_ne_u32_e32 vcc_lo, 0, v73
	v_ashrrev_i32_e32 v164, 31, v164
	v_lshlrev_b32_e32 v163, 25, v69
	v_ashrrev_i32_e32 v70, 31, v70
	v_lshlrev_b32_e32 v73, 24, v69
	s_wait_alu 0xfffd
	v_xor_b32_e32 v68, vcc_lo, v68
	v_cmp_gt_i32_e32 vcc_lo, 0, v71
	v_not_b32_e32 v71, v72
	s_wait_alu 0xf1ff
	v_xor_b32_e32 v164, s15, v164
	v_cmp_gt_i32_e64 s15, 0, v72
	v_and_b32_e32 v68, exec_lo, v68
	v_not_b32_e32 v72, v74
	v_ashrrev_i32_e32 v71, 31, v71
	s_wait_alu 0xfffd
	v_xor_b32_e32 v70, vcc_lo, v70
	v_cmp_gt_i32_e32 vcc_lo, 0, v74
	v_and_b32_e32 v68, v68, v164
	v_not_b32_e32 v74, v75
	v_ashrrev_i32_e32 v72, 31, v72
	s_wait_alu 0xf1ff
	v_xor_b32_e32 v71, s15, v71
	v_cmp_gt_i32_e64 s15, 0, v75
	v_and_b32_e32 v68, v68, v70
	v_not_b32_e32 v70, v163
	v_ashrrev_i32_e32 v74, 31, v74
	s_wait_alu 0xfffd
	v_xor_b32_e32 v72, vcc_lo, v72
	v_cmp_gt_i32_e32 vcc_lo, 0, v163
	v_and_b32_e32 v68, v68, v71
	v_not_b32_e32 v71, v73
	v_ashrrev_i32_e32 v70, 31, v70
	s_wait_alu 0xf1ff
	v_xor_b32_e32 v74, s15, v74
	v_cmp_gt_i32_e64 s15, 0, v73
	v_and_b32_e32 v68, v68, v72
	v_ashrrev_i32_e32 v71, 31, v71
	s_wait_alu 0xfffd
	v_xor_b32_e32 v70, vcc_lo, v70
	v_mul_u32_u24_e32 v69, 36, v69
	v_add_nc_u32_e32 v164, 0x438, v100
	v_and_b32_e32 v68, v68, v74
	s_wait_alu 0xf1ff
	v_xor_b32_e32 v71, s15, v71
	v_add_nc_u32_e32 v168, v145, v69
	ds_store_2addr_b32 v164, v2, v2 offset1:1
	v_and_b32_e32 v68, v68, v70
	ds_store_2addr_b32 v165, v2, v2 offset1:1
	ds_store_2addr_b32 v166, v2, v2 offset1:1
	;; [unrolled: 1-line block ×3, first 2 shown]
	ds_store_b32 v100, v2 offset:1088
	s_wait_loadcnt_dscnt 0x0
	s_barrier_signal -1
	s_barrier_wait -1
	v_and_b32_e32 v68, v68, v71
	global_inv scope:SCOPE_SE
	; wave barrier
	v_mbcnt_lo_u32_b32 v163, v68, 0
	v_cmp_ne_u32_e64 s15, 0, v68
	s_delay_alu instid0(VALU_DEP_2)
	v_cmp_eq_u32_e32 vcc_lo, 0, v163
	s_and_b32 s16, s15, vcc_lo
	s_wait_alu 0xfffe
	s_and_saveexec_b32 s15, s16
; %bb.1011:                             ;   in Loop: Header=BB710_974 Depth=2
	v_bcnt_u32_b32 v68, v68, 0
	ds_store_b32 v168, v68 offset:1056
; %bb.1012:                             ;   in Loop: Header=BB710_974 Depth=2
	s_wait_alu 0xfffe
	s_or_b32 exec_lo, exec_lo, s15
	v_xor_b32_e32 v41, 0x7fffffff, v41
	v_not_b32_e32 v40, v40
	; wave barrier
	s_delay_alu instid0(VALU_DEP_1) | instskip(NEXT) | instid1(VALU_DEP_1)
	v_lshrrev_b64 v[68:69], s31, v[40:41]
	v_and_b32_e32 v69, s54, v68
	s_delay_alu instid0(VALU_DEP_1)
	v_and_b32_e32 v68, 1, v69
	v_lshlrev_b32_e32 v70, 30, v69
	v_lshlrev_b32_e32 v71, 29, v69
	;; [unrolled: 1-line block ×4, first 2 shown]
	v_add_co_u32 v68, s15, v68, -1
	s_wait_alu 0xf1ff
	v_cndmask_b32_e64 v73, 0, 1, s15
	v_not_b32_e32 v170, v70
	v_cmp_gt_i32_e64 s15, 0, v70
	v_not_b32_e32 v70, v71
	v_lshlrev_b32_e32 v75, 26, v69
	v_cmp_ne_u32_e32 vcc_lo, 0, v73
	v_ashrrev_i32_e32 v170, 31, v170
	v_lshlrev_b32_e32 v169, 25, v69
	v_ashrrev_i32_e32 v70, 31, v70
	v_lshlrev_b32_e32 v73, 24, v69
	s_wait_alu 0xfffd
	v_xor_b32_e32 v68, vcc_lo, v68
	v_cmp_gt_i32_e32 vcc_lo, 0, v71
	v_not_b32_e32 v71, v72
	s_wait_alu 0xf1ff
	v_xor_b32_e32 v170, s15, v170
	v_cmp_gt_i32_e64 s15, 0, v72
	v_and_b32_e32 v68, exec_lo, v68
	v_not_b32_e32 v72, v74
	v_ashrrev_i32_e32 v71, 31, v71
	s_wait_alu 0xfffd
	v_xor_b32_e32 v70, vcc_lo, v70
	v_cmp_gt_i32_e32 vcc_lo, 0, v74
	v_and_b32_e32 v68, v68, v170
	v_not_b32_e32 v74, v75
	v_ashrrev_i32_e32 v72, 31, v72
	s_wait_alu 0xf1ff
	v_xor_b32_e32 v71, s15, v71
	v_cmp_gt_i32_e64 s15, 0, v75
	v_and_b32_e32 v68, v68, v70
	v_not_b32_e32 v70, v169
	v_ashrrev_i32_e32 v74, 31, v74
	s_wait_alu 0xfffd
	v_xor_b32_e32 v72, vcc_lo, v72
	v_cmp_gt_i32_e32 vcc_lo, 0, v169
	v_and_b32_e32 v68, v68, v71
	v_not_b32_e32 v71, v73
	v_ashrrev_i32_e32 v70, 31, v70
	s_wait_alu 0xf1ff
	v_xor_b32_e32 v74, s15, v74
	v_cmp_gt_i32_e64 s15, 0, v73
	v_and_b32_e32 v68, v68, v72
	v_ashrrev_i32_e32 v71, 31, v71
	s_wait_alu 0xfffd
	v_xor_b32_e32 v70, vcc_lo, v70
	v_mad_u32_u24 v72, v69, 36, v145
	v_mul_u32_u24_e32 v69, 36, v69
	v_and_b32_e32 v68, v68, v74
	s_wait_alu 0xf1ff
	v_xor_b32_e32 v71, s15, v71
	ds_load_b32 v169, v72 offset:1056
	v_add_nc_u32_e32 v171, v145, v69
	v_and_b32_e32 v68, v68, v70
	; wave barrier
	s_delay_alu instid0(VALU_DEP_1) | instskip(NEXT) | instid1(VALU_DEP_1)
	v_and_b32_e32 v68, v68, v71
	v_mbcnt_lo_u32_b32 v170, v68, 0
	v_cmp_ne_u32_e64 s15, 0, v68
	s_delay_alu instid0(VALU_DEP_2)
	v_cmp_eq_u32_e32 vcc_lo, 0, v170
	s_and_b32 s16, s15, vcc_lo
	s_wait_alu 0xfffe
	s_and_saveexec_b32 s15, s16
	s_cbranch_execz .LBB710_1014
; %bb.1013:                             ;   in Loop: Header=BB710_974 Depth=2
	s_wait_dscnt 0x0
	v_bcnt_u32_b32 v68, v68, v169
	ds_store_b32 v171, v68 offset:1056
.LBB710_1014:                           ;   in Loop: Header=BB710_974 Depth=2
	s_wait_alu 0xfffe
	s_or_b32 exec_lo, exec_lo, s15
	v_xor_b32_e32 v43, 0x7fffffff, v43
	v_not_b32_e32 v42, v42
	; wave barrier
	s_delay_alu instid0(VALU_DEP_1) | instskip(NEXT) | instid1(VALU_DEP_1)
	v_lshrrev_b64 v[68:69], s31, v[42:43]
	v_and_b32_e32 v69, s54, v68
	s_delay_alu instid0(VALU_DEP_1)
	v_and_b32_e32 v68, 1, v69
	v_lshlrev_b32_e32 v70, 30, v69
	v_lshlrev_b32_e32 v71, 29, v69
	;; [unrolled: 1-line block ×4, first 2 shown]
	v_add_co_u32 v68, s15, v68, -1
	s_wait_alu 0xf1ff
	v_cndmask_b32_e64 v73, 0, 1, s15
	v_not_b32_e32 v173, v70
	v_cmp_gt_i32_e64 s15, 0, v70
	v_not_b32_e32 v70, v71
	v_lshlrev_b32_e32 v75, 26, v69
	v_cmp_ne_u32_e32 vcc_lo, 0, v73
	v_ashrrev_i32_e32 v173, 31, v173
	v_lshlrev_b32_e32 v172, 25, v69
	v_ashrrev_i32_e32 v70, 31, v70
	v_lshlrev_b32_e32 v73, 24, v69
	s_wait_alu 0xfffd
	v_xor_b32_e32 v68, vcc_lo, v68
	v_cmp_gt_i32_e32 vcc_lo, 0, v71
	v_not_b32_e32 v71, v72
	s_wait_alu 0xf1ff
	v_xor_b32_e32 v173, s15, v173
	v_cmp_gt_i32_e64 s15, 0, v72
	v_and_b32_e32 v68, exec_lo, v68
	v_not_b32_e32 v72, v74
	v_ashrrev_i32_e32 v71, 31, v71
	s_wait_alu 0xfffd
	v_xor_b32_e32 v70, vcc_lo, v70
	v_cmp_gt_i32_e32 vcc_lo, 0, v74
	v_and_b32_e32 v68, v68, v173
	v_not_b32_e32 v74, v75
	v_ashrrev_i32_e32 v72, 31, v72
	s_wait_alu 0xf1ff
	v_xor_b32_e32 v71, s15, v71
	v_cmp_gt_i32_e64 s15, 0, v75
	v_and_b32_e32 v68, v68, v70
	v_not_b32_e32 v70, v172
	v_ashrrev_i32_e32 v74, 31, v74
	s_wait_alu 0xfffd
	v_xor_b32_e32 v72, vcc_lo, v72
	v_cmp_gt_i32_e32 vcc_lo, 0, v172
	v_and_b32_e32 v68, v68, v71
	v_not_b32_e32 v71, v73
	v_ashrrev_i32_e32 v70, 31, v70
	s_wait_alu 0xf1ff
	v_xor_b32_e32 v74, s15, v74
	v_cmp_gt_i32_e64 s15, 0, v73
	v_and_b32_e32 v68, v68, v72
	v_ashrrev_i32_e32 v71, 31, v71
	s_wait_alu 0xfffd
	v_xor_b32_e32 v70, vcc_lo, v70
	v_mad_u32_u24 v72, v69, 36, v145
	v_mul_u32_u24_e32 v69, 36, v69
	v_and_b32_e32 v68, v68, v74
	s_wait_alu 0xf1ff
	v_xor_b32_e32 v71, s15, v71
	ds_load_b32 v172, v72 offset:1056
	v_add_nc_u32_e32 v174, v145, v69
	v_and_b32_e32 v68, v68, v70
	; wave barrier
	s_delay_alu instid0(VALU_DEP_1) | instskip(NEXT) | instid1(VALU_DEP_1)
	v_and_b32_e32 v68, v68, v71
	v_mbcnt_lo_u32_b32 v173, v68, 0
	v_cmp_ne_u32_e64 s15, 0, v68
	s_delay_alu instid0(VALU_DEP_2)
	v_cmp_eq_u32_e32 vcc_lo, 0, v173
	s_and_b32 s16, s15, vcc_lo
	s_wait_alu 0xfffe
	s_and_saveexec_b32 s15, s16
	s_cbranch_execz .LBB710_1016
; %bb.1015:                             ;   in Loop: Header=BB710_974 Depth=2
	s_wait_dscnt 0x0
	v_bcnt_u32_b32 v68, v68, v172
	ds_store_b32 v174, v68 offset:1056
.LBB710_1016:                           ;   in Loop: Header=BB710_974 Depth=2
	s_wait_alu 0xfffe
	s_or_b32 exec_lo, exec_lo, s15
	v_xor_b32_e32 v47, 0x7fffffff, v47
	v_not_b32_e32 v46, v46
	; wave barrier
	s_delay_alu instid0(VALU_DEP_1) | instskip(NEXT) | instid1(VALU_DEP_1)
	v_lshrrev_b64 v[68:69], s31, v[46:47]
	v_and_b32_e32 v69, s54, v68
	s_delay_alu instid0(VALU_DEP_1)
	v_and_b32_e32 v68, 1, v69
	v_lshlrev_b32_e32 v70, 30, v69
	v_lshlrev_b32_e32 v71, 29, v69
	;; [unrolled: 1-line block ×4, first 2 shown]
	v_add_co_u32 v68, s15, v68, -1
	s_wait_alu 0xf1ff
	v_cndmask_b32_e64 v73, 0, 1, s15
	v_not_b32_e32 v176, v70
	v_cmp_gt_i32_e64 s15, 0, v70
	v_not_b32_e32 v70, v71
	v_lshlrev_b32_e32 v75, 26, v69
	v_cmp_ne_u32_e32 vcc_lo, 0, v73
	v_ashrrev_i32_e32 v176, 31, v176
	v_lshlrev_b32_e32 v175, 25, v69
	v_ashrrev_i32_e32 v70, 31, v70
	v_lshlrev_b32_e32 v73, 24, v69
	s_wait_alu 0xfffd
	v_xor_b32_e32 v68, vcc_lo, v68
	v_cmp_gt_i32_e32 vcc_lo, 0, v71
	v_not_b32_e32 v71, v72
	s_wait_alu 0xf1ff
	v_xor_b32_e32 v176, s15, v176
	v_cmp_gt_i32_e64 s15, 0, v72
	v_and_b32_e32 v68, exec_lo, v68
	v_not_b32_e32 v72, v74
	v_ashrrev_i32_e32 v71, 31, v71
	s_wait_alu 0xfffd
	v_xor_b32_e32 v70, vcc_lo, v70
	v_cmp_gt_i32_e32 vcc_lo, 0, v74
	v_and_b32_e32 v68, v68, v176
	v_not_b32_e32 v74, v75
	v_ashrrev_i32_e32 v72, 31, v72
	s_wait_alu 0xf1ff
	v_xor_b32_e32 v71, s15, v71
	v_cmp_gt_i32_e64 s15, 0, v75
	v_and_b32_e32 v68, v68, v70
	v_not_b32_e32 v70, v175
	v_ashrrev_i32_e32 v74, 31, v74
	s_wait_alu 0xfffd
	v_xor_b32_e32 v72, vcc_lo, v72
	v_cmp_gt_i32_e32 vcc_lo, 0, v175
	v_and_b32_e32 v68, v68, v71
	v_not_b32_e32 v71, v73
	v_ashrrev_i32_e32 v70, 31, v70
	s_wait_alu 0xf1ff
	v_xor_b32_e32 v74, s15, v74
	v_cmp_gt_i32_e64 s15, 0, v73
	v_and_b32_e32 v68, v68, v72
	v_ashrrev_i32_e32 v71, 31, v71
	s_wait_alu 0xfffd
	v_xor_b32_e32 v70, vcc_lo, v70
	v_mad_u32_u24 v72, v69, 36, v145
	v_mul_u32_u24_e32 v69, 36, v69
	v_and_b32_e32 v68, v68, v74
	s_wait_alu 0xf1ff
	v_xor_b32_e32 v71, s15, v71
	ds_load_b32 v175, v72 offset:1056
	v_add_nc_u32_e32 v177, v145, v69
	v_and_b32_e32 v68, v68, v70
	; wave barrier
	s_delay_alu instid0(VALU_DEP_1) | instskip(NEXT) | instid1(VALU_DEP_1)
	v_and_b32_e32 v68, v68, v71
	v_mbcnt_lo_u32_b32 v176, v68, 0
	v_cmp_ne_u32_e64 s15, 0, v68
	s_delay_alu instid0(VALU_DEP_2)
	v_cmp_eq_u32_e32 vcc_lo, 0, v176
	s_and_b32 s16, s15, vcc_lo
	s_wait_alu 0xfffe
	s_and_saveexec_b32 s15, s16
	s_cbranch_execz .LBB710_1018
; %bb.1017:                             ;   in Loop: Header=BB710_974 Depth=2
	s_wait_dscnt 0x0
	v_bcnt_u32_b32 v68, v68, v175
	ds_store_b32 v177, v68 offset:1056
.LBB710_1018:                           ;   in Loop: Header=BB710_974 Depth=2
	s_wait_alu 0xfffe
	s_or_b32 exec_lo, exec_lo, s15
	v_xor_b32_e32 v53, 0x7fffffff, v53
	v_not_b32_e32 v52, v52
	; wave barrier
	s_delay_alu instid0(VALU_DEP_1) | instskip(NEXT) | instid1(VALU_DEP_1)
	v_lshrrev_b64 v[68:69], s31, v[52:53]
	v_and_b32_e32 v69, s54, v68
	s_delay_alu instid0(VALU_DEP_1)
	v_and_b32_e32 v68, 1, v69
	v_lshlrev_b32_e32 v70, 30, v69
	v_lshlrev_b32_e32 v71, 29, v69
	;; [unrolled: 1-line block ×4, first 2 shown]
	v_add_co_u32 v68, s15, v68, -1
	s_wait_alu 0xf1ff
	v_cndmask_b32_e64 v73, 0, 1, s15
	v_not_b32_e32 v179, v70
	v_cmp_gt_i32_e64 s15, 0, v70
	v_not_b32_e32 v70, v71
	v_lshlrev_b32_e32 v75, 26, v69
	v_cmp_ne_u32_e32 vcc_lo, 0, v73
	v_ashrrev_i32_e32 v179, 31, v179
	v_lshlrev_b32_e32 v178, 25, v69
	v_ashrrev_i32_e32 v70, 31, v70
	v_lshlrev_b32_e32 v73, 24, v69
	s_wait_alu 0xfffd
	v_xor_b32_e32 v68, vcc_lo, v68
	v_cmp_gt_i32_e32 vcc_lo, 0, v71
	v_not_b32_e32 v71, v72
	s_wait_alu 0xf1ff
	v_xor_b32_e32 v179, s15, v179
	v_cmp_gt_i32_e64 s15, 0, v72
	v_and_b32_e32 v68, exec_lo, v68
	v_not_b32_e32 v72, v74
	v_ashrrev_i32_e32 v71, 31, v71
	s_wait_alu 0xfffd
	v_xor_b32_e32 v70, vcc_lo, v70
	v_cmp_gt_i32_e32 vcc_lo, 0, v74
	v_and_b32_e32 v68, v68, v179
	v_not_b32_e32 v74, v75
	v_ashrrev_i32_e32 v72, 31, v72
	s_wait_alu 0xf1ff
	v_xor_b32_e32 v71, s15, v71
	v_cmp_gt_i32_e64 s15, 0, v75
	v_and_b32_e32 v68, v68, v70
	v_not_b32_e32 v70, v178
	v_ashrrev_i32_e32 v74, 31, v74
	s_wait_alu 0xfffd
	v_xor_b32_e32 v72, vcc_lo, v72
	v_cmp_gt_i32_e32 vcc_lo, 0, v178
	v_and_b32_e32 v68, v68, v71
	v_not_b32_e32 v71, v73
	v_ashrrev_i32_e32 v70, 31, v70
	s_wait_alu 0xf1ff
	v_xor_b32_e32 v74, s15, v74
	v_cmp_gt_i32_e64 s15, 0, v73
	v_and_b32_e32 v68, v68, v72
	v_ashrrev_i32_e32 v71, 31, v71
	s_wait_alu 0xfffd
	v_xor_b32_e32 v70, vcc_lo, v70
	v_mad_u32_u24 v72, v69, 36, v145
	v_mul_u32_u24_e32 v69, 36, v69
	v_and_b32_e32 v68, v68, v74
	s_wait_alu 0xf1ff
	v_xor_b32_e32 v71, s15, v71
	ds_load_b32 v178, v72 offset:1056
	v_add_nc_u32_e32 v180, v145, v69
	v_and_b32_e32 v68, v68, v70
	; wave barrier
	s_delay_alu instid0(VALU_DEP_1) | instskip(NEXT) | instid1(VALU_DEP_1)
	v_and_b32_e32 v68, v68, v71
	v_mbcnt_lo_u32_b32 v179, v68, 0
	v_cmp_ne_u32_e64 s15, 0, v68
	s_delay_alu instid0(VALU_DEP_2)
	v_cmp_eq_u32_e32 vcc_lo, 0, v179
	s_and_b32 s16, s15, vcc_lo
	s_wait_alu 0xfffe
	s_and_saveexec_b32 s15, s16
	s_cbranch_execz .LBB710_1020
; %bb.1019:                             ;   in Loop: Header=BB710_974 Depth=2
	s_wait_dscnt 0x0
	v_bcnt_u32_b32 v68, v68, v178
	ds_store_b32 v180, v68 offset:1056
.LBB710_1020:                           ;   in Loop: Header=BB710_974 Depth=2
	s_wait_alu 0xfffe
	s_or_b32 exec_lo, exec_lo, s15
	v_xor_b32_e32 v57, 0x7fffffff, v57
	v_not_b32_e32 v56, v56
	; wave barrier
	s_delay_alu instid0(VALU_DEP_1) | instskip(NEXT) | instid1(VALU_DEP_1)
	v_lshrrev_b64 v[68:69], s31, v[56:57]
	v_and_b32_e32 v69, s54, v68
	s_delay_alu instid0(VALU_DEP_1)
	v_and_b32_e32 v68, 1, v69
	v_lshlrev_b32_e32 v70, 30, v69
	v_lshlrev_b32_e32 v71, 29, v69
	;; [unrolled: 1-line block ×4, first 2 shown]
	v_add_co_u32 v68, s15, v68, -1
	s_wait_alu 0xf1ff
	v_cndmask_b32_e64 v73, 0, 1, s15
	v_not_b32_e32 v182, v70
	v_cmp_gt_i32_e64 s15, 0, v70
	v_not_b32_e32 v70, v71
	v_lshlrev_b32_e32 v75, 26, v69
	v_cmp_ne_u32_e32 vcc_lo, 0, v73
	v_ashrrev_i32_e32 v182, 31, v182
	v_lshlrev_b32_e32 v181, 25, v69
	v_ashrrev_i32_e32 v70, 31, v70
	v_lshlrev_b32_e32 v73, 24, v69
	s_wait_alu 0xfffd
	v_xor_b32_e32 v68, vcc_lo, v68
	v_cmp_gt_i32_e32 vcc_lo, 0, v71
	v_not_b32_e32 v71, v72
	s_wait_alu 0xf1ff
	v_xor_b32_e32 v182, s15, v182
	v_cmp_gt_i32_e64 s15, 0, v72
	v_and_b32_e32 v68, exec_lo, v68
	v_not_b32_e32 v72, v74
	v_ashrrev_i32_e32 v71, 31, v71
	s_wait_alu 0xfffd
	v_xor_b32_e32 v70, vcc_lo, v70
	v_cmp_gt_i32_e32 vcc_lo, 0, v74
	v_and_b32_e32 v68, v68, v182
	v_not_b32_e32 v74, v75
	v_ashrrev_i32_e32 v72, 31, v72
	s_wait_alu 0xf1ff
	v_xor_b32_e32 v71, s15, v71
	v_cmp_gt_i32_e64 s15, 0, v75
	v_and_b32_e32 v68, v68, v70
	v_not_b32_e32 v70, v181
	v_ashrrev_i32_e32 v74, 31, v74
	s_wait_alu 0xfffd
	v_xor_b32_e32 v72, vcc_lo, v72
	v_cmp_gt_i32_e32 vcc_lo, 0, v181
	v_and_b32_e32 v68, v68, v71
	v_not_b32_e32 v71, v73
	v_ashrrev_i32_e32 v70, 31, v70
	s_wait_alu 0xf1ff
	v_xor_b32_e32 v74, s15, v74
	v_cmp_gt_i32_e64 s15, 0, v73
	v_and_b32_e32 v68, v68, v72
	v_ashrrev_i32_e32 v71, 31, v71
	s_wait_alu 0xfffd
	v_xor_b32_e32 v70, vcc_lo, v70
	v_mad_u32_u24 v72, v69, 36, v145
	v_mul_u32_u24_e32 v69, 36, v69
	v_and_b32_e32 v68, v68, v74
	s_wait_alu 0xf1ff
	v_xor_b32_e32 v71, s15, v71
	ds_load_b32 v181, v72 offset:1056
	v_add_nc_u32_e32 v183, v145, v69
	v_and_b32_e32 v68, v68, v70
	; wave barrier
	s_delay_alu instid0(VALU_DEP_1) | instskip(NEXT) | instid1(VALU_DEP_1)
	v_and_b32_e32 v68, v68, v71
	v_mbcnt_lo_u32_b32 v182, v68, 0
	v_cmp_ne_u32_e64 s15, 0, v68
	s_delay_alu instid0(VALU_DEP_2)
	v_cmp_eq_u32_e32 vcc_lo, 0, v182
	s_and_b32 s16, s15, vcc_lo
	s_wait_alu 0xfffe
	s_and_saveexec_b32 s15, s16
	s_cbranch_execz .LBB710_1022
; %bb.1021:                             ;   in Loop: Header=BB710_974 Depth=2
	s_wait_dscnt 0x0
	v_bcnt_u32_b32 v68, v68, v181
	ds_store_b32 v183, v68 offset:1056
.LBB710_1022:                           ;   in Loop: Header=BB710_974 Depth=2
	s_wait_alu 0xfffe
	s_or_b32 exec_lo, exec_lo, s15
	v_xor_b32_e32 v61, 0x7fffffff, v61
	v_not_b32_e32 v60, v60
	; wave barrier
	s_delay_alu instid0(VALU_DEP_1) | instskip(NEXT) | instid1(VALU_DEP_1)
	v_lshrrev_b64 v[68:69], s31, v[60:61]
	v_and_b32_e32 v69, s54, v68
	s_delay_alu instid0(VALU_DEP_1)
	v_and_b32_e32 v68, 1, v69
	v_lshlrev_b32_e32 v70, 30, v69
	v_lshlrev_b32_e32 v71, 29, v69
	;; [unrolled: 1-line block ×4, first 2 shown]
	v_add_co_u32 v68, s15, v68, -1
	s_wait_alu 0xf1ff
	v_cndmask_b32_e64 v73, 0, 1, s15
	v_not_b32_e32 v185, v70
	v_cmp_gt_i32_e64 s15, 0, v70
	v_not_b32_e32 v70, v71
	v_lshlrev_b32_e32 v75, 26, v69
	v_cmp_ne_u32_e32 vcc_lo, 0, v73
	v_ashrrev_i32_e32 v185, 31, v185
	v_lshlrev_b32_e32 v184, 25, v69
	v_ashrrev_i32_e32 v70, 31, v70
	v_lshlrev_b32_e32 v73, 24, v69
	s_wait_alu 0xfffd
	v_xor_b32_e32 v68, vcc_lo, v68
	v_cmp_gt_i32_e32 vcc_lo, 0, v71
	v_not_b32_e32 v71, v72
	s_wait_alu 0xf1ff
	v_xor_b32_e32 v185, s15, v185
	v_cmp_gt_i32_e64 s15, 0, v72
	v_and_b32_e32 v68, exec_lo, v68
	v_not_b32_e32 v72, v74
	v_ashrrev_i32_e32 v71, 31, v71
	s_wait_alu 0xfffd
	v_xor_b32_e32 v70, vcc_lo, v70
	v_cmp_gt_i32_e32 vcc_lo, 0, v74
	v_and_b32_e32 v68, v68, v185
	v_not_b32_e32 v74, v75
	v_ashrrev_i32_e32 v72, 31, v72
	s_wait_alu 0xf1ff
	v_xor_b32_e32 v71, s15, v71
	v_cmp_gt_i32_e64 s15, 0, v75
	v_and_b32_e32 v68, v68, v70
	v_not_b32_e32 v70, v184
	v_ashrrev_i32_e32 v74, 31, v74
	s_wait_alu 0xfffd
	v_xor_b32_e32 v72, vcc_lo, v72
	v_cmp_gt_i32_e32 vcc_lo, 0, v184
	v_and_b32_e32 v68, v68, v71
	v_not_b32_e32 v71, v73
	v_ashrrev_i32_e32 v70, 31, v70
	s_wait_alu 0xf1ff
	v_xor_b32_e32 v74, s15, v74
	v_cmp_gt_i32_e64 s15, 0, v73
	v_and_b32_e32 v68, v68, v72
	v_ashrrev_i32_e32 v71, 31, v71
	s_wait_alu 0xfffd
	v_xor_b32_e32 v70, vcc_lo, v70
	v_mad_u32_u24 v72, v69, 36, v145
	v_mul_u32_u24_e32 v69, 36, v69
	v_and_b32_e32 v68, v68, v74
	s_wait_alu 0xf1ff
	v_xor_b32_e32 v71, s15, v71
	ds_load_b32 v184, v72 offset:1056
	v_add_nc_u32_e32 v186, v145, v69
	v_and_b32_e32 v68, v68, v70
	; wave barrier
	s_delay_alu instid0(VALU_DEP_1) | instskip(NEXT) | instid1(VALU_DEP_1)
	v_and_b32_e32 v68, v68, v71
	v_mbcnt_lo_u32_b32 v185, v68, 0
	v_cmp_ne_u32_e64 s15, 0, v68
	s_delay_alu instid0(VALU_DEP_2)
	v_cmp_eq_u32_e32 vcc_lo, 0, v185
	s_and_b32 s16, s15, vcc_lo
	s_wait_alu 0xfffe
	s_and_saveexec_b32 s15, s16
	s_cbranch_execz .LBB710_1024
; %bb.1023:                             ;   in Loop: Header=BB710_974 Depth=2
	s_wait_dscnt 0x0
	v_bcnt_u32_b32 v68, v68, v184
	ds_store_b32 v186, v68 offset:1056
.LBB710_1024:                           ;   in Loop: Header=BB710_974 Depth=2
	s_wait_alu 0xfffe
	s_or_b32 exec_lo, exec_lo, s15
	v_xor_b32_e32 v65, 0x7fffffff, v65
	v_not_b32_e32 v64, v64
	; wave barrier
	s_delay_alu instid0(VALU_DEP_1) | instskip(NEXT) | instid1(VALU_DEP_1)
	v_lshrrev_b64 v[68:69], s31, v[64:65]
	v_and_b32_e32 v69, s54, v68
	s_delay_alu instid0(VALU_DEP_1)
	v_and_b32_e32 v68, 1, v69
	v_lshlrev_b32_e32 v70, 30, v69
	v_lshlrev_b32_e32 v71, 29, v69
	;; [unrolled: 1-line block ×4, first 2 shown]
	v_add_co_u32 v68, s15, v68, -1
	s_wait_alu 0xf1ff
	v_cndmask_b32_e64 v73, 0, 1, s15
	v_not_b32_e32 v188, v70
	v_cmp_gt_i32_e64 s15, 0, v70
	v_not_b32_e32 v70, v71
	v_lshlrev_b32_e32 v75, 26, v69
	v_cmp_ne_u32_e32 vcc_lo, 0, v73
	v_ashrrev_i32_e32 v188, 31, v188
	v_lshlrev_b32_e32 v187, 25, v69
	v_ashrrev_i32_e32 v70, 31, v70
	v_lshlrev_b32_e32 v73, 24, v69
	s_wait_alu 0xfffd
	v_xor_b32_e32 v68, vcc_lo, v68
	v_cmp_gt_i32_e32 vcc_lo, 0, v71
	v_not_b32_e32 v71, v72
	s_wait_alu 0xf1ff
	v_xor_b32_e32 v188, s15, v188
	v_cmp_gt_i32_e64 s15, 0, v72
	v_and_b32_e32 v68, exec_lo, v68
	v_not_b32_e32 v72, v74
	v_ashrrev_i32_e32 v71, 31, v71
	s_wait_alu 0xfffd
	v_xor_b32_e32 v70, vcc_lo, v70
	v_cmp_gt_i32_e32 vcc_lo, 0, v74
	v_and_b32_e32 v68, v68, v188
	v_not_b32_e32 v74, v75
	v_ashrrev_i32_e32 v72, 31, v72
	s_wait_alu 0xf1ff
	v_xor_b32_e32 v71, s15, v71
	v_cmp_gt_i32_e64 s15, 0, v75
	v_and_b32_e32 v68, v68, v70
	v_not_b32_e32 v70, v187
	v_ashrrev_i32_e32 v74, 31, v74
	s_wait_alu 0xfffd
	v_xor_b32_e32 v72, vcc_lo, v72
	v_cmp_gt_i32_e32 vcc_lo, 0, v187
	v_and_b32_e32 v68, v68, v71
	v_not_b32_e32 v71, v73
	v_ashrrev_i32_e32 v70, 31, v70
	s_wait_alu 0xf1ff
	v_xor_b32_e32 v74, s15, v74
	v_cmp_gt_i32_e64 s15, 0, v73
	v_and_b32_e32 v68, v68, v72
	v_ashrrev_i32_e32 v71, 31, v71
	s_wait_alu 0xfffd
	v_xor_b32_e32 v70, vcc_lo, v70
	v_mad_u32_u24 v72, v69, 36, v145
	v_mul_u32_u24_e32 v69, 36, v69
	v_and_b32_e32 v68, v68, v74
	s_wait_alu 0xf1ff
	v_xor_b32_e32 v71, s15, v71
	ds_load_b32 v187, v72 offset:1056
	v_add_nc_u32_e32 v189, v145, v69
	v_and_b32_e32 v68, v68, v70
	; wave barrier
	s_delay_alu instid0(VALU_DEP_1) | instskip(NEXT) | instid1(VALU_DEP_1)
	v_and_b32_e32 v68, v68, v71
	v_mbcnt_lo_u32_b32 v188, v68, 0
	v_cmp_ne_u32_e64 s15, 0, v68
	s_delay_alu instid0(VALU_DEP_2)
	v_cmp_eq_u32_e32 vcc_lo, 0, v188
	s_and_b32 s16, s15, vcc_lo
	s_wait_alu 0xfffe
	s_and_saveexec_b32 s15, s16
	s_cbranch_execz .LBB710_1026
; %bb.1025:                             ;   in Loop: Header=BB710_974 Depth=2
	s_wait_dscnt 0x0
	v_bcnt_u32_b32 v68, v68, v187
	ds_store_b32 v189, v68 offset:1056
.LBB710_1026:                           ;   in Loop: Header=BB710_974 Depth=2
	s_wait_alu 0xfffe
	s_or_b32 exec_lo, exec_lo, s15
	v_xor_b32_e32 v67, 0x7fffffff, v67
	v_not_b32_e32 v66, v66
	; wave barrier
	s_delay_alu instid0(VALU_DEP_1) | instskip(NEXT) | instid1(VALU_DEP_1)
	v_lshrrev_b64 v[68:69], s31, v[66:67]
	v_and_b32_e32 v69, s54, v68
	s_delay_alu instid0(VALU_DEP_1)
	v_and_b32_e32 v68, 1, v69
	v_lshlrev_b32_e32 v70, 30, v69
	v_lshlrev_b32_e32 v71, 29, v69
	;; [unrolled: 1-line block ×4, first 2 shown]
	v_add_co_u32 v68, s15, v68, -1
	s_wait_alu 0xf1ff
	v_cndmask_b32_e64 v73, 0, 1, s15
	v_not_b32_e32 v191, v70
	v_cmp_gt_i32_e64 s15, 0, v70
	v_not_b32_e32 v70, v71
	v_lshlrev_b32_e32 v75, 26, v69
	v_cmp_ne_u32_e32 vcc_lo, 0, v73
	v_ashrrev_i32_e32 v191, 31, v191
	v_lshlrev_b32_e32 v190, 25, v69
	v_ashrrev_i32_e32 v70, 31, v70
	v_lshlrev_b32_e32 v73, 24, v69
	s_wait_alu 0xfffd
	v_xor_b32_e32 v68, vcc_lo, v68
	v_cmp_gt_i32_e32 vcc_lo, 0, v71
	v_not_b32_e32 v71, v72
	s_wait_alu 0xf1ff
	v_xor_b32_e32 v191, s15, v191
	v_cmp_gt_i32_e64 s15, 0, v72
	v_and_b32_e32 v68, exec_lo, v68
	v_not_b32_e32 v72, v74
	v_ashrrev_i32_e32 v71, 31, v71
	s_wait_alu 0xfffd
	v_xor_b32_e32 v70, vcc_lo, v70
	v_cmp_gt_i32_e32 vcc_lo, 0, v74
	v_and_b32_e32 v68, v68, v191
	v_not_b32_e32 v74, v75
	v_ashrrev_i32_e32 v72, 31, v72
	s_wait_alu 0xf1ff
	v_xor_b32_e32 v71, s15, v71
	v_cmp_gt_i32_e64 s15, 0, v75
	v_and_b32_e32 v68, v68, v70
	v_not_b32_e32 v70, v190
	v_ashrrev_i32_e32 v74, 31, v74
	s_wait_alu 0xfffd
	v_xor_b32_e32 v72, vcc_lo, v72
	v_cmp_gt_i32_e32 vcc_lo, 0, v190
	v_and_b32_e32 v68, v68, v71
	v_not_b32_e32 v71, v73
	v_ashrrev_i32_e32 v70, 31, v70
	s_wait_alu 0xf1ff
	v_xor_b32_e32 v74, s15, v74
	v_cmp_gt_i32_e64 s15, 0, v73
	v_and_b32_e32 v68, v68, v72
	v_ashrrev_i32_e32 v71, 31, v71
	s_wait_alu 0xfffd
	v_xor_b32_e32 v70, vcc_lo, v70
	v_mad_u32_u24 v72, v69, 36, v145
	v_mul_u32_u24_e32 v69, 36, v69
	v_and_b32_e32 v68, v68, v74
	s_wait_alu 0xf1ff
	v_xor_b32_e32 v71, s15, v71
	ds_load_b32 v190, v72 offset:1056
	v_add_nc_u32_e32 v192, v145, v69
	v_and_b32_e32 v68, v68, v70
	; wave barrier
	s_delay_alu instid0(VALU_DEP_1) | instskip(NEXT) | instid1(VALU_DEP_1)
	v_and_b32_e32 v68, v68, v71
	v_mbcnt_lo_u32_b32 v191, v68, 0
	v_cmp_ne_u32_e64 s15, 0, v68
	s_delay_alu instid0(VALU_DEP_2)
	v_cmp_eq_u32_e32 vcc_lo, 0, v191
	s_and_b32 s16, s15, vcc_lo
	s_wait_alu 0xfffe
	s_and_saveexec_b32 s15, s16
	s_cbranch_execz .LBB710_1028
; %bb.1027:                             ;   in Loop: Header=BB710_974 Depth=2
	s_wait_dscnt 0x0
	v_bcnt_u32_b32 v68, v68, v190
	ds_store_b32 v192, v68 offset:1056
.LBB710_1028:                           ;   in Loop: Header=BB710_974 Depth=2
	s_wait_alu 0xfffe
	s_or_b32 exec_lo, exec_lo, s15
	v_xor_b32_e32 v63, 0x7fffffff, v63
	v_not_b32_e32 v62, v62
	; wave barrier
	s_delay_alu instid0(VALU_DEP_1) | instskip(NEXT) | instid1(VALU_DEP_1)
	v_lshrrev_b64 v[68:69], s31, v[62:63]
	v_and_b32_e32 v69, s54, v68
	s_delay_alu instid0(VALU_DEP_1)
	v_and_b32_e32 v68, 1, v69
	v_lshlrev_b32_e32 v70, 30, v69
	v_lshlrev_b32_e32 v71, 29, v69
	;; [unrolled: 1-line block ×4, first 2 shown]
	v_add_co_u32 v68, s15, v68, -1
	s_wait_alu 0xf1ff
	v_cndmask_b32_e64 v73, 0, 1, s15
	v_not_b32_e32 v194, v70
	v_cmp_gt_i32_e64 s15, 0, v70
	v_not_b32_e32 v70, v71
	v_lshlrev_b32_e32 v75, 26, v69
	v_cmp_ne_u32_e32 vcc_lo, 0, v73
	v_ashrrev_i32_e32 v194, 31, v194
	v_lshlrev_b32_e32 v193, 25, v69
	v_ashrrev_i32_e32 v70, 31, v70
	v_lshlrev_b32_e32 v73, 24, v69
	s_wait_alu 0xfffd
	v_xor_b32_e32 v68, vcc_lo, v68
	v_cmp_gt_i32_e32 vcc_lo, 0, v71
	v_not_b32_e32 v71, v72
	s_wait_alu 0xf1ff
	v_xor_b32_e32 v194, s15, v194
	v_cmp_gt_i32_e64 s15, 0, v72
	v_and_b32_e32 v68, exec_lo, v68
	v_not_b32_e32 v72, v74
	v_ashrrev_i32_e32 v71, 31, v71
	s_wait_alu 0xfffd
	v_xor_b32_e32 v70, vcc_lo, v70
	v_cmp_gt_i32_e32 vcc_lo, 0, v74
	v_and_b32_e32 v68, v68, v194
	v_not_b32_e32 v74, v75
	v_ashrrev_i32_e32 v72, 31, v72
	s_wait_alu 0xf1ff
	v_xor_b32_e32 v71, s15, v71
	v_cmp_gt_i32_e64 s15, 0, v75
	v_and_b32_e32 v68, v68, v70
	v_not_b32_e32 v70, v193
	v_ashrrev_i32_e32 v74, 31, v74
	s_wait_alu 0xfffd
	v_xor_b32_e32 v72, vcc_lo, v72
	v_cmp_gt_i32_e32 vcc_lo, 0, v193
	v_and_b32_e32 v68, v68, v71
	v_not_b32_e32 v71, v73
	v_ashrrev_i32_e32 v70, 31, v70
	s_wait_alu 0xf1ff
	v_xor_b32_e32 v74, s15, v74
	v_cmp_gt_i32_e64 s15, 0, v73
	v_and_b32_e32 v68, v68, v72
	v_ashrrev_i32_e32 v71, 31, v71
	s_wait_alu 0xfffd
	v_xor_b32_e32 v70, vcc_lo, v70
	v_mad_u32_u24 v72, v69, 36, v145
	v_mul_u32_u24_e32 v69, 36, v69
	v_and_b32_e32 v68, v68, v74
	s_wait_alu 0xf1ff
	v_xor_b32_e32 v71, s15, v71
	ds_load_b32 v193, v72 offset:1056
	v_add_nc_u32_e32 v195, v145, v69
	v_and_b32_e32 v68, v68, v70
	; wave barrier
	s_delay_alu instid0(VALU_DEP_1) | instskip(NEXT) | instid1(VALU_DEP_1)
	v_and_b32_e32 v68, v68, v71
	v_mbcnt_lo_u32_b32 v194, v68, 0
	v_cmp_ne_u32_e64 s15, 0, v68
	s_delay_alu instid0(VALU_DEP_2)
	v_cmp_eq_u32_e32 vcc_lo, 0, v194
	s_and_b32 s16, s15, vcc_lo
	s_wait_alu 0xfffe
	s_and_saveexec_b32 s15, s16
	s_cbranch_execz .LBB710_1030
; %bb.1029:                             ;   in Loop: Header=BB710_974 Depth=2
	s_wait_dscnt 0x0
	v_bcnt_u32_b32 v68, v68, v193
	ds_store_b32 v195, v68 offset:1056
.LBB710_1030:                           ;   in Loop: Header=BB710_974 Depth=2
	s_wait_alu 0xfffe
	s_or_b32 exec_lo, exec_lo, s15
	v_xor_b32_e32 v59, 0x7fffffff, v59
	v_not_b32_e32 v58, v58
	; wave barrier
	s_delay_alu instid0(VALU_DEP_1) | instskip(NEXT) | instid1(VALU_DEP_1)
	v_lshrrev_b64 v[68:69], s31, v[58:59]
	v_and_b32_e32 v69, s54, v68
	s_delay_alu instid0(VALU_DEP_1)
	v_and_b32_e32 v68, 1, v69
	v_lshlrev_b32_e32 v70, 30, v69
	v_lshlrev_b32_e32 v71, 29, v69
	v_lshlrev_b32_e32 v72, 28, v69
	v_lshlrev_b32_e32 v74, 27, v69
	v_add_co_u32 v68, s15, v68, -1
	s_wait_alu 0xf1ff
	v_cndmask_b32_e64 v73, 0, 1, s15
	v_not_b32_e32 v197, v70
	v_cmp_gt_i32_e64 s15, 0, v70
	v_not_b32_e32 v70, v71
	v_lshlrev_b32_e32 v75, 26, v69
	v_cmp_ne_u32_e32 vcc_lo, 0, v73
	v_ashrrev_i32_e32 v197, 31, v197
	v_lshlrev_b32_e32 v196, 25, v69
	v_ashrrev_i32_e32 v70, 31, v70
	v_lshlrev_b32_e32 v73, 24, v69
	s_wait_alu 0xfffd
	v_xor_b32_e32 v68, vcc_lo, v68
	v_cmp_gt_i32_e32 vcc_lo, 0, v71
	v_not_b32_e32 v71, v72
	s_wait_alu 0xf1ff
	v_xor_b32_e32 v197, s15, v197
	v_cmp_gt_i32_e64 s15, 0, v72
	v_and_b32_e32 v68, exec_lo, v68
	v_not_b32_e32 v72, v74
	v_ashrrev_i32_e32 v71, 31, v71
	s_wait_alu 0xfffd
	v_xor_b32_e32 v70, vcc_lo, v70
	v_cmp_gt_i32_e32 vcc_lo, 0, v74
	v_and_b32_e32 v68, v68, v197
	v_not_b32_e32 v74, v75
	v_ashrrev_i32_e32 v72, 31, v72
	s_wait_alu 0xf1ff
	v_xor_b32_e32 v71, s15, v71
	v_cmp_gt_i32_e64 s15, 0, v75
	v_and_b32_e32 v68, v68, v70
	v_not_b32_e32 v70, v196
	v_ashrrev_i32_e32 v74, 31, v74
	s_wait_alu 0xfffd
	v_xor_b32_e32 v72, vcc_lo, v72
	v_cmp_gt_i32_e32 vcc_lo, 0, v196
	v_and_b32_e32 v68, v68, v71
	v_not_b32_e32 v71, v73
	v_ashrrev_i32_e32 v70, 31, v70
	s_wait_alu 0xf1ff
	v_xor_b32_e32 v74, s15, v74
	v_cmp_gt_i32_e64 s15, 0, v73
	v_and_b32_e32 v68, v68, v72
	v_ashrrev_i32_e32 v71, 31, v71
	s_wait_alu 0xfffd
	v_xor_b32_e32 v70, vcc_lo, v70
	v_mad_u32_u24 v72, v69, 36, v145
	v_mul_u32_u24_e32 v69, 36, v69
	v_and_b32_e32 v68, v68, v74
	s_wait_alu 0xf1ff
	v_xor_b32_e32 v71, s15, v71
	ds_load_b32 v196, v72 offset:1056
	v_add_nc_u32_e32 v198, v145, v69
	v_and_b32_e32 v68, v68, v70
	; wave barrier
	s_delay_alu instid0(VALU_DEP_1) | instskip(NEXT) | instid1(VALU_DEP_1)
	v_and_b32_e32 v68, v68, v71
	v_mbcnt_lo_u32_b32 v197, v68, 0
	v_cmp_ne_u32_e64 s15, 0, v68
	s_delay_alu instid0(VALU_DEP_2)
	v_cmp_eq_u32_e32 vcc_lo, 0, v197
	s_and_b32 s16, s15, vcc_lo
	s_wait_alu 0xfffe
	s_and_saveexec_b32 s15, s16
	s_cbranch_execz .LBB710_1032
; %bb.1031:                             ;   in Loop: Header=BB710_974 Depth=2
	s_wait_dscnt 0x0
	v_bcnt_u32_b32 v68, v68, v196
	ds_store_b32 v198, v68 offset:1056
.LBB710_1032:                           ;   in Loop: Header=BB710_974 Depth=2
	s_wait_alu 0xfffe
	s_or_b32 exec_lo, exec_lo, s15
	v_xor_b32_e32 v55, 0x7fffffff, v55
	v_not_b32_e32 v54, v54
	; wave barrier
	s_delay_alu instid0(VALU_DEP_1) | instskip(NEXT) | instid1(VALU_DEP_1)
	v_lshrrev_b64 v[68:69], s31, v[54:55]
	v_and_b32_e32 v69, s54, v68
	s_delay_alu instid0(VALU_DEP_1)
	v_and_b32_e32 v68, 1, v69
	v_lshlrev_b32_e32 v70, 30, v69
	v_lshlrev_b32_e32 v71, 29, v69
	;; [unrolled: 1-line block ×4, first 2 shown]
	v_add_co_u32 v68, s15, v68, -1
	s_wait_alu 0xf1ff
	v_cndmask_b32_e64 v73, 0, 1, s15
	v_not_b32_e32 v200, v70
	v_cmp_gt_i32_e64 s15, 0, v70
	v_not_b32_e32 v70, v71
	v_lshlrev_b32_e32 v75, 26, v69
	v_cmp_ne_u32_e32 vcc_lo, 0, v73
	v_ashrrev_i32_e32 v200, 31, v200
	v_lshlrev_b32_e32 v199, 25, v69
	v_ashrrev_i32_e32 v70, 31, v70
	v_lshlrev_b32_e32 v73, 24, v69
	s_wait_alu 0xfffd
	v_xor_b32_e32 v68, vcc_lo, v68
	v_cmp_gt_i32_e32 vcc_lo, 0, v71
	v_not_b32_e32 v71, v72
	s_wait_alu 0xf1ff
	v_xor_b32_e32 v200, s15, v200
	v_cmp_gt_i32_e64 s15, 0, v72
	v_and_b32_e32 v68, exec_lo, v68
	v_not_b32_e32 v72, v74
	v_ashrrev_i32_e32 v71, 31, v71
	s_wait_alu 0xfffd
	v_xor_b32_e32 v70, vcc_lo, v70
	v_cmp_gt_i32_e32 vcc_lo, 0, v74
	v_and_b32_e32 v68, v68, v200
	v_not_b32_e32 v74, v75
	v_ashrrev_i32_e32 v72, 31, v72
	s_wait_alu 0xf1ff
	v_xor_b32_e32 v71, s15, v71
	v_cmp_gt_i32_e64 s15, 0, v75
	v_and_b32_e32 v68, v68, v70
	v_not_b32_e32 v70, v199
	v_ashrrev_i32_e32 v74, 31, v74
	s_wait_alu 0xfffd
	v_xor_b32_e32 v72, vcc_lo, v72
	v_cmp_gt_i32_e32 vcc_lo, 0, v199
	v_and_b32_e32 v68, v68, v71
	v_not_b32_e32 v71, v73
	v_ashrrev_i32_e32 v70, 31, v70
	s_wait_alu 0xf1ff
	v_xor_b32_e32 v74, s15, v74
	v_cmp_gt_i32_e64 s15, 0, v73
	v_and_b32_e32 v68, v68, v72
	v_ashrrev_i32_e32 v71, 31, v71
	s_wait_alu 0xfffd
	v_xor_b32_e32 v70, vcc_lo, v70
	v_mad_u32_u24 v72, v69, 36, v145
	v_mul_u32_u24_e32 v69, 36, v69
	v_and_b32_e32 v68, v68, v74
	s_wait_alu 0xf1ff
	v_xor_b32_e32 v71, s15, v71
	ds_load_b32 v199, v72 offset:1056
	v_add_nc_u32_e32 v201, v145, v69
	v_and_b32_e32 v68, v68, v70
	; wave barrier
	s_delay_alu instid0(VALU_DEP_1) | instskip(NEXT) | instid1(VALU_DEP_1)
	v_and_b32_e32 v68, v68, v71
	v_mbcnt_lo_u32_b32 v200, v68, 0
	v_cmp_ne_u32_e64 s15, 0, v68
	s_delay_alu instid0(VALU_DEP_2)
	v_cmp_eq_u32_e32 vcc_lo, 0, v200
	s_and_b32 s16, s15, vcc_lo
	s_wait_alu 0xfffe
	s_and_saveexec_b32 s15, s16
	s_cbranch_execz .LBB710_1034
; %bb.1033:                             ;   in Loop: Header=BB710_974 Depth=2
	s_wait_dscnt 0x0
	v_bcnt_u32_b32 v68, v68, v199
	ds_store_b32 v201, v68 offset:1056
.LBB710_1034:                           ;   in Loop: Header=BB710_974 Depth=2
	s_wait_alu 0xfffe
	s_or_b32 exec_lo, exec_lo, s15
	v_xor_b32_e32 v51, 0x7fffffff, v51
	v_not_b32_e32 v50, v50
	; wave barrier
	s_delay_alu instid0(VALU_DEP_1) | instskip(NEXT) | instid1(VALU_DEP_1)
	v_lshrrev_b64 v[68:69], s31, v[50:51]
	v_and_b32_e32 v69, s54, v68
	s_delay_alu instid0(VALU_DEP_1)
	v_and_b32_e32 v68, 1, v69
	v_lshlrev_b32_e32 v70, 30, v69
	v_lshlrev_b32_e32 v71, 29, v69
	;; [unrolled: 1-line block ×4, first 2 shown]
	v_add_co_u32 v68, s15, v68, -1
	s_wait_alu 0xf1ff
	v_cndmask_b32_e64 v73, 0, 1, s15
	v_not_b32_e32 v203, v70
	v_cmp_gt_i32_e64 s15, 0, v70
	v_not_b32_e32 v70, v71
	v_lshlrev_b32_e32 v75, 26, v69
	v_cmp_ne_u32_e32 vcc_lo, 0, v73
	v_ashrrev_i32_e32 v203, 31, v203
	v_lshlrev_b32_e32 v202, 25, v69
	v_ashrrev_i32_e32 v70, 31, v70
	v_lshlrev_b32_e32 v73, 24, v69
	s_wait_alu 0xfffd
	v_xor_b32_e32 v68, vcc_lo, v68
	v_cmp_gt_i32_e32 vcc_lo, 0, v71
	v_not_b32_e32 v71, v72
	s_wait_alu 0xf1ff
	v_xor_b32_e32 v203, s15, v203
	v_cmp_gt_i32_e64 s15, 0, v72
	v_and_b32_e32 v68, exec_lo, v68
	v_not_b32_e32 v72, v74
	v_ashrrev_i32_e32 v71, 31, v71
	s_wait_alu 0xfffd
	v_xor_b32_e32 v70, vcc_lo, v70
	v_cmp_gt_i32_e32 vcc_lo, 0, v74
	v_and_b32_e32 v68, v68, v203
	v_not_b32_e32 v74, v75
	v_ashrrev_i32_e32 v72, 31, v72
	s_wait_alu 0xf1ff
	v_xor_b32_e32 v71, s15, v71
	v_cmp_gt_i32_e64 s15, 0, v75
	v_and_b32_e32 v68, v68, v70
	v_not_b32_e32 v70, v202
	v_ashrrev_i32_e32 v74, 31, v74
	s_wait_alu 0xfffd
	v_xor_b32_e32 v72, vcc_lo, v72
	v_cmp_gt_i32_e32 vcc_lo, 0, v202
	v_and_b32_e32 v68, v68, v71
	v_not_b32_e32 v71, v73
	v_ashrrev_i32_e32 v70, 31, v70
	s_wait_alu 0xf1ff
	v_xor_b32_e32 v74, s15, v74
	v_cmp_gt_i32_e64 s15, 0, v73
	v_and_b32_e32 v68, v68, v72
	v_ashrrev_i32_e32 v71, 31, v71
	s_wait_alu 0xfffd
	v_xor_b32_e32 v70, vcc_lo, v70
	v_mad_u32_u24 v72, v69, 36, v145
	v_mul_u32_u24_e32 v69, 36, v69
	v_and_b32_e32 v68, v68, v74
	s_wait_alu 0xf1ff
	v_xor_b32_e32 v71, s15, v71
	ds_load_b32 v202, v72 offset:1056
	v_add_nc_u32_e32 v205, v145, v69
	v_and_b32_e32 v68, v68, v70
	; wave barrier
	s_delay_alu instid0(VALU_DEP_1) | instskip(NEXT) | instid1(VALU_DEP_1)
	v_and_b32_e32 v68, v68, v71
	v_mbcnt_lo_u32_b32 v203, v68, 0
	v_cmp_ne_u32_e64 s15, 0, v68
	s_delay_alu instid0(VALU_DEP_2)
	v_cmp_eq_u32_e32 vcc_lo, 0, v203
	s_and_b32 s16, s15, vcc_lo
	s_wait_alu 0xfffe
	s_and_saveexec_b32 s15, s16
	s_cbranch_execz .LBB710_1036
; %bb.1035:                             ;   in Loop: Header=BB710_974 Depth=2
	s_wait_dscnt 0x0
	v_bcnt_u32_b32 v68, v68, v202
	ds_store_b32 v205, v68 offset:1056
.LBB710_1036:                           ;   in Loop: Header=BB710_974 Depth=2
	s_wait_alu 0xfffe
	s_or_b32 exec_lo, exec_lo, s15
	v_xor_b32_e32 v49, 0x7fffffff, v49
	v_not_b32_e32 v48, v48
	; wave barrier
	s_delay_alu instid0(VALU_DEP_1) | instskip(NEXT) | instid1(VALU_DEP_1)
	v_lshrrev_b64 v[68:69], s31, v[48:49]
	v_and_b32_e32 v69, s54, v68
	s_delay_alu instid0(VALU_DEP_1)
	v_and_b32_e32 v68, 1, v69
	v_lshlrev_b32_e32 v70, 30, v69
	v_lshlrev_b32_e32 v71, 29, v69
	;; [unrolled: 1-line block ×4, first 2 shown]
	v_add_co_u32 v68, s15, v68, -1
	s_wait_alu 0xf1ff
	v_cndmask_b32_e64 v73, 0, 1, s15
	v_not_b32_e32 v206, v70
	v_cmp_gt_i32_e64 s15, 0, v70
	v_not_b32_e32 v70, v71
	v_lshlrev_b32_e32 v75, 26, v69
	v_cmp_ne_u32_e32 vcc_lo, 0, v73
	v_ashrrev_i32_e32 v206, 31, v206
	v_lshlrev_b32_e32 v204, 25, v69
	v_ashrrev_i32_e32 v70, 31, v70
	v_lshlrev_b32_e32 v73, 24, v69
	s_wait_alu 0xfffd
	v_xor_b32_e32 v68, vcc_lo, v68
	v_cmp_gt_i32_e32 vcc_lo, 0, v71
	v_not_b32_e32 v71, v72
	s_wait_alu 0xf1ff
	v_xor_b32_e32 v206, s15, v206
	v_cmp_gt_i32_e64 s15, 0, v72
	v_and_b32_e32 v68, exec_lo, v68
	v_not_b32_e32 v72, v74
	v_ashrrev_i32_e32 v71, 31, v71
	s_wait_alu 0xfffd
	v_xor_b32_e32 v70, vcc_lo, v70
	v_cmp_gt_i32_e32 vcc_lo, 0, v74
	v_and_b32_e32 v68, v68, v206
	v_not_b32_e32 v74, v75
	v_ashrrev_i32_e32 v72, 31, v72
	s_wait_alu 0xf1ff
	v_xor_b32_e32 v71, s15, v71
	v_cmp_gt_i32_e64 s15, 0, v75
	v_and_b32_e32 v68, v68, v70
	v_not_b32_e32 v70, v204
	v_ashrrev_i32_e32 v74, 31, v74
	s_wait_alu 0xfffd
	v_xor_b32_e32 v72, vcc_lo, v72
	v_cmp_gt_i32_e32 vcc_lo, 0, v204
	v_and_b32_e32 v68, v68, v71
	v_not_b32_e32 v71, v73
	v_ashrrev_i32_e32 v70, 31, v70
	s_wait_alu 0xf1ff
	v_xor_b32_e32 v74, s15, v74
	v_cmp_gt_i32_e64 s15, 0, v73
	v_and_b32_e32 v68, v68, v72
	v_ashrrev_i32_e32 v71, 31, v71
	s_wait_alu 0xfffd
	v_xor_b32_e32 v70, vcc_lo, v70
	v_mad_u32_u24 v72, v69, 36, v145
	v_mul_u32_u24_e32 v69, 36, v69
	v_and_b32_e32 v68, v68, v74
	s_wait_alu 0xf1ff
	v_xor_b32_e32 v71, s15, v71
	ds_load_b32 v204, v72 offset:1056
	v_add_nc_u32_e32 v208, v145, v69
	v_and_b32_e32 v68, v68, v70
	; wave barrier
	s_delay_alu instid0(VALU_DEP_1) | instskip(NEXT) | instid1(VALU_DEP_1)
	v_and_b32_e32 v68, v68, v71
	v_mbcnt_lo_u32_b32 v206, v68, 0
	v_cmp_ne_u32_e64 s15, 0, v68
	s_delay_alu instid0(VALU_DEP_2)
	v_cmp_eq_u32_e32 vcc_lo, 0, v206
	s_and_b32 s16, s15, vcc_lo
	s_wait_alu 0xfffe
	s_and_saveexec_b32 s15, s16
	s_cbranch_execz .LBB710_1038
; %bb.1037:                             ;   in Loop: Header=BB710_974 Depth=2
	s_wait_dscnt 0x0
	v_bcnt_u32_b32 v68, v68, v204
	ds_store_b32 v208, v68 offset:1056
.LBB710_1038:                           ;   in Loop: Header=BB710_974 Depth=2
	s_wait_alu 0xfffe
	s_or_b32 exec_lo, exec_lo, s15
	v_xor_b32_e32 v45, 0x7fffffff, v45
	v_not_b32_e32 v44, v44
	; wave barrier
	s_delay_alu instid0(VALU_DEP_1) | instskip(NEXT) | instid1(VALU_DEP_1)
	v_lshrrev_b64 v[68:69], s31, v[44:45]
	v_and_b32_e32 v69, s54, v68
	s_delay_alu instid0(VALU_DEP_1)
	v_and_b32_e32 v68, 1, v69
	v_lshlrev_b32_e32 v70, 30, v69
	v_lshlrev_b32_e32 v71, 29, v69
	;; [unrolled: 1-line block ×4, first 2 shown]
	v_add_co_u32 v68, s15, v68, -1
	s_wait_alu 0xf1ff
	v_cndmask_b32_e64 v73, 0, 1, s15
	v_not_b32_e32 v209, v70
	v_cmp_gt_i32_e64 s15, 0, v70
	v_not_b32_e32 v70, v71
	v_lshlrev_b32_e32 v75, 26, v69
	v_cmp_ne_u32_e32 vcc_lo, 0, v73
	v_ashrrev_i32_e32 v209, 31, v209
	v_lshlrev_b32_e32 v207, 25, v69
	v_ashrrev_i32_e32 v70, 31, v70
	v_lshlrev_b32_e32 v73, 24, v69
	s_wait_alu 0xfffd
	v_xor_b32_e32 v68, vcc_lo, v68
	v_cmp_gt_i32_e32 vcc_lo, 0, v71
	v_not_b32_e32 v71, v72
	s_wait_alu 0xf1ff
	v_xor_b32_e32 v209, s15, v209
	v_cmp_gt_i32_e64 s15, 0, v72
	v_and_b32_e32 v68, exec_lo, v68
	v_not_b32_e32 v72, v74
	v_ashrrev_i32_e32 v71, 31, v71
	s_wait_alu 0xfffd
	v_xor_b32_e32 v70, vcc_lo, v70
	v_cmp_gt_i32_e32 vcc_lo, 0, v74
	v_and_b32_e32 v68, v68, v209
	v_not_b32_e32 v74, v75
	v_ashrrev_i32_e32 v72, 31, v72
	s_wait_alu 0xf1ff
	v_xor_b32_e32 v71, s15, v71
	v_cmp_gt_i32_e64 s15, 0, v75
	v_and_b32_e32 v68, v68, v70
	v_not_b32_e32 v70, v207
	v_ashrrev_i32_e32 v74, 31, v74
	s_wait_alu 0xfffd
	v_xor_b32_e32 v72, vcc_lo, v72
	v_cmp_gt_i32_e32 vcc_lo, 0, v207
	v_and_b32_e32 v68, v68, v71
	v_not_b32_e32 v71, v73
	v_ashrrev_i32_e32 v70, 31, v70
	s_wait_alu 0xf1ff
	v_xor_b32_e32 v74, s15, v74
	v_cmp_gt_i32_e64 s15, 0, v73
	v_and_b32_e32 v68, v68, v72
	v_ashrrev_i32_e32 v71, 31, v71
	s_wait_alu 0xfffd
	v_xor_b32_e32 v70, vcc_lo, v70
	v_mad_u32_u24 v72, v69, 36, v145
	v_mul_u32_u24_e32 v69, 36, v69
	v_and_b32_e32 v68, v68, v74
	s_wait_alu 0xf1ff
	v_xor_b32_e32 v71, s15, v71
	ds_load_b32 v207, v72 offset:1056
	v_add_nc_u32_e32 v212, v145, v69
	v_and_b32_e32 v68, v68, v70
	; wave barrier
	s_delay_alu instid0(VALU_DEP_1) | instskip(NEXT) | instid1(VALU_DEP_1)
	v_and_b32_e32 v68, v68, v71
	v_mbcnt_lo_u32_b32 v209, v68, 0
	v_cmp_ne_u32_e64 s15, 0, v68
	s_delay_alu instid0(VALU_DEP_2)
	v_cmp_eq_u32_e32 vcc_lo, 0, v209
	s_and_b32 s16, s15, vcc_lo
	s_wait_alu 0xfffe
	s_and_saveexec_b32 s15, s16
	s_cbranch_execz .LBB710_1040
; %bb.1039:                             ;   in Loop: Header=BB710_974 Depth=2
	s_wait_dscnt 0x0
	v_bcnt_u32_b32 v68, v68, v207
	ds_store_b32 v212, v68 offset:1056
.LBB710_1040:                           ;   in Loop: Header=BB710_974 Depth=2
	s_wait_alu 0xfffe
	s_or_b32 exec_lo, exec_lo, s15
	v_lshrrev_b64 v[68:69], s31, v[36:37]
	; wave barrier
	s_delay_alu instid0(VALU_DEP_1) | instskip(NEXT) | instid1(VALU_DEP_1)
	v_and_b32_e32 v69, s54, v68
	v_and_b32_e32 v68, 1, v69
	v_lshlrev_b32_e32 v70, 30, v69
	v_lshlrev_b32_e32 v71, 29, v69
	;; [unrolled: 1-line block ×4, first 2 shown]
	v_add_co_u32 v68, s15, v68, -1
	s_wait_alu 0xf1ff
	v_cndmask_b32_e64 v73, 0, 1, s15
	v_not_b32_e32 v211, v70
	v_cmp_gt_i32_e64 s15, 0, v70
	v_not_b32_e32 v70, v71
	v_lshlrev_b32_e32 v75, 26, v69
	v_cmp_ne_u32_e32 vcc_lo, 0, v73
	v_ashrrev_i32_e32 v211, 31, v211
	v_lshlrev_b32_e32 v210, 25, v69
	v_ashrrev_i32_e32 v70, 31, v70
	v_lshlrev_b32_e32 v73, 24, v69
	s_wait_alu 0xfffd
	v_xor_b32_e32 v68, vcc_lo, v68
	v_cmp_gt_i32_e32 vcc_lo, 0, v71
	v_not_b32_e32 v71, v72
	s_wait_alu 0xf1ff
	v_xor_b32_e32 v211, s15, v211
	v_cmp_gt_i32_e64 s15, 0, v72
	v_and_b32_e32 v68, exec_lo, v68
	v_not_b32_e32 v72, v74
	v_ashrrev_i32_e32 v71, 31, v71
	s_wait_alu 0xfffd
	v_xor_b32_e32 v70, vcc_lo, v70
	v_cmp_gt_i32_e32 vcc_lo, 0, v74
	v_and_b32_e32 v68, v68, v211
	v_not_b32_e32 v74, v75
	v_ashrrev_i32_e32 v72, 31, v72
	s_wait_alu 0xf1ff
	v_xor_b32_e32 v71, s15, v71
	v_cmp_gt_i32_e64 s15, 0, v75
	v_and_b32_e32 v68, v68, v70
	v_not_b32_e32 v70, v210
	v_ashrrev_i32_e32 v74, 31, v74
	s_wait_alu 0xfffd
	v_xor_b32_e32 v72, vcc_lo, v72
	v_cmp_gt_i32_e32 vcc_lo, 0, v210
	v_and_b32_e32 v68, v68, v71
	v_not_b32_e32 v71, v73
	v_ashrrev_i32_e32 v70, 31, v70
	s_wait_alu 0xf1ff
	v_xor_b32_e32 v74, s15, v74
	v_cmp_gt_i32_e64 s15, 0, v73
	v_and_b32_e32 v68, v68, v72
	v_ashrrev_i32_e32 v71, 31, v71
	s_wait_alu 0xfffd
	v_xor_b32_e32 v70, vcc_lo, v70
	v_mad_u32_u24 v72, v69, 36, v145
	v_mul_u32_u24_e32 v69, 36, v69
	v_and_b32_e32 v68, v68, v74
	s_wait_alu 0xf1ff
	v_xor_b32_e32 v71, s15, v71
	ds_load_b32 v210, v72 offset:1056
	v_add_nc_u32_e32 v213, v145, v69
	v_and_b32_e32 v68, v68, v70
	; wave barrier
	s_delay_alu instid0(VALU_DEP_1) | instskip(NEXT) | instid1(VALU_DEP_1)
	v_and_b32_e32 v68, v68, v71
	v_mbcnt_lo_u32_b32 v211, v68, 0
	v_cmp_ne_u32_e64 s15, 0, v68
	s_delay_alu instid0(VALU_DEP_2)
	v_cmp_eq_u32_e32 vcc_lo, 0, v211
	s_and_b32 s16, s15, vcc_lo
	s_wait_alu 0xfffe
	s_and_saveexec_b32 s15, s16
	s_cbranch_execz .LBB710_1042
; %bb.1041:                             ;   in Loop: Header=BB710_974 Depth=2
	s_wait_dscnt 0x0
	v_bcnt_u32_b32 v68, v68, v210
	ds_store_b32 v213, v68 offset:1056
.LBB710_1042:                           ;   in Loop: Header=BB710_974 Depth=2
	s_wait_alu 0xfffe
	s_or_b32 exec_lo, exec_lo, s15
	; wave barrier
	s_wait_loadcnt_dscnt 0x0
	s_barrier_signal -1
	s_barrier_wait -1
	global_inv scope:SCOPE_SE
	ds_load_2addr_b32 v[74:75], v165 offset1:1
	ds_load_2addr_b32 v[72:73], v166 offset1:1
	;; [unrolled: 1-line block ×4, first 2 shown]
	ds_load_b32 v214, v100 offset:1088
	s_wait_dscnt 0x3
	v_add3_u32 v215, v75, v74, v72
	s_wait_dscnt 0x2
	s_delay_alu instid0(VALU_DEP_1) | instskip(SKIP_1) | instid1(VALU_DEP_1)
	v_add3_u32 v215, v215, v73, v70
	s_wait_dscnt 0x1
	v_add3_u32 v215, v215, v71, v68
	s_wait_dscnt 0x0
	s_delay_alu instid0(VALU_DEP_1) | instskip(NEXT) | instid1(VALU_DEP_1)
	v_add3_u32 v214, v215, v69, v214
	v_mov_b32_dpp v215, v214 row_shr:1 row_mask:0xf bank_mask:0xf
	s_delay_alu instid0(VALU_DEP_1) | instskip(NEXT) | instid1(VALU_DEP_1)
	v_cndmask_b32_e64 v215, v215, 0, s0
	v_add_nc_u32_e32 v214, v215, v214
	s_delay_alu instid0(VALU_DEP_1) | instskip(NEXT) | instid1(VALU_DEP_1)
	v_mov_b32_dpp v215, v214 row_shr:2 row_mask:0xf bank_mask:0xf
	v_cndmask_b32_e64 v215, 0, v215, s1
	s_delay_alu instid0(VALU_DEP_1) | instskip(NEXT) | instid1(VALU_DEP_1)
	v_add_nc_u32_e32 v214, v214, v215
	v_mov_b32_dpp v215, v214 row_shr:4 row_mask:0xf bank_mask:0xf
	s_delay_alu instid0(VALU_DEP_1) | instskip(NEXT) | instid1(VALU_DEP_1)
	v_cndmask_b32_e64 v215, 0, v215, s8
	v_add_nc_u32_e32 v214, v214, v215
	s_delay_alu instid0(VALU_DEP_1) | instskip(NEXT) | instid1(VALU_DEP_1)
	v_mov_b32_dpp v215, v214 row_shr:8 row_mask:0xf bank_mask:0xf
	v_cndmask_b32_e64 v215, 0, v215, s9
	s_delay_alu instid0(VALU_DEP_1) | instskip(SKIP_3) | instid1(VALU_DEP_1)
	v_add_nc_u32_e32 v214, v214, v215
	ds_swizzle_b32 v215, v214 offset:swizzle(BROADCAST,32,15)
	s_wait_dscnt 0x0
	v_cndmask_b32_e64 v215, v215, 0, s10
	v_add_nc_u32_e32 v214, v214, v215
	s_and_saveexec_b32 s15, s3
; %bb.1043:                             ;   in Loop: Header=BB710_974 Depth=2
	ds_store_b32 v95, v214 offset:1024
; %bb.1044:                             ;   in Loop: Header=BB710_974 Depth=2
	s_wait_alu 0xfffe
	s_or_b32 exec_lo, exec_lo, s15
	s_wait_loadcnt_dscnt 0x0
	s_barrier_signal -1
	s_barrier_wait -1
	global_inv scope:SCOPE_SE
	s_and_saveexec_b32 s15, s4
	s_cbranch_execz .LBB710_1046
; %bb.1045:                             ;   in Loop: Header=BB710_974 Depth=2
	ds_load_b32 v215, v103 offset:1024
	s_wait_dscnt 0x0
	v_mov_b32_dpp v216, v215 row_shr:1 row_mask:0xf bank_mask:0xf
	s_delay_alu instid0(VALU_DEP_1) | instskip(NEXT) | instid1(VALU_DEP_1)
	v_cndmask_b32_e64 v216, v216, 0, s12
	v_add_nc_u32_e32 v215, v216, v215
	s_delay_alu instid0(VALU_DEP_1) | instskip(NEXT) | instid1(VALU_DEP_1)
	v_mov_b32_dpp v216, v215 row_shr:2 row_mask:0xf bank_mask:0xf
	v_cndmask_b32_e64 v216, 0, v216, s13
	s_delay_alu instid0(VALU_DEP_1) | instskip(NEXT) | instid1(VALU_DEP_1)
	v_add_nc_u32_e32 v215, v215, v216
	v_mov_b32_dpp v216, v215 row_shr:4 row_mask:0xf bank_mask:0xf
	s_delay_alu instid0(VALU_DEP_1) | instskip(NEXT) | instid1(VALU_DEP_1)
	v_cndmask_b32_e64 v216, 0, v216, s14
	v_add_nc_u32_e32 v215, v215, v216
	ds_store_b32 v103, v215 offset:1024
.LBB710_1046:                           ;   in Loop: Header=BB710_974 Depth=2
	s_wait_alu 0xfffe
	s_or_b32 exec_lo, exec_lo, s15
	v_mov_b32_e32 v215, 0
	s_wait_loadcnt_dscnt 0x0
	s_barrier_signal -1
	s_barrier_wait -1
	global_inv scope:SCOPE_SE
	s_and_saveexec_b32 s15, s5
; %bb.1047:                             ;   in Loop: Header=BB710_974 Depth=2
	ds_load_b32 v215, v95 offset:1020
; %bb.1048:                             ;   in Loop: Header=BB710_974 Depth=2
	s_wait_alu 0xfffe
	s_or_b32 exec_lo, exec_lo, s15
	s_wait_dscnt 0x0
	v_add_nc_u32_e32 v214, v215, v214
	ds_bpermute_b32 v214, v124, v214
	s_wait_dscnt 0x0
	v_cndmask_b32_e64 v214, v214, v215, s11
	s_delay_alu instid0(VALU_DEP_1) | instskip(NEXT) | instid1(VALU_DEP_1)
	v_cndmask_b32_e64 v214, v214, 0, s6
	v_add_nc_u32_e32 v74, v214, v74
	s_delay_alu instid0(VALU_DEP_1) | instskip(NEXT) | instid1(VALU_DEP_1)
	v_add_nc_u32_e32 v75, v74, v75
	v_add_nc_u32_e32 v72, v75, v72
	s_delay_alu instid0(VALU_DEP_1) | instskip(NEXT) | instid1(VALU_DEP_1)
	v_add_nc_u32_e32 v73, v72, v73
	v_add_nc_u32_e32 v70, v73, v70
	s_delay_alu instid0(VALU_DEP_1) | instskip(NEXT) | instid1(VALU_DEP_1)
	v_add_nc_u32_e32 v71, v70, v71
	v_add_nc_u32_e32 v68, v71, v68
	s_delay_alu instid0(VALU_DEP_1)
	v_add_nc_u32_e32 v69, v68, v69
	ds_store_2addr_b32 v164, v71, v68 offset1:1
	ds_store_2addr_b32 v165, v214, v74 offset1:1
	ds_store_2addr_b32 v166, v75, v72 offset1:1
	ds_store_2addr_b32 v167, v73, v70 offset1:1
	ds_store_b32 v100, v69 offset:1088
	s_wait_loadcnt_dscnt 0x0
	s_barrier_signal -1
	s_barrier_wait -1
	global_inv scope:SCOPE_SE
	ds_load_b32 v69, v168 offset:1056
	ds_load_b32 v215, v171 offset:1056
	;; [unrolled: 1-line block ×17, first 2 shown]
	v_mov_b32_e32 v68, 0x1000
	s_and_saveexec_b32 s15, s7
; %bb.1049:                             ;   in Loop: Header=BB710_974 Depth=2
	ds_load_b32 v68, v100 offset:1092
; %bb.1050:                             ;   in Loop: Header=BB710_974 Depth=2
	s_wait_alu 0xfffe
	s_or_b32 exec_lo, exec_lo, s15
	s_wait_loadcnt_dscnt 0x0
	s_barrier_signal -1
	s_barrier_wait -1
	global_inv scope:SCOPE_SE
	s_and_saveexec_b32 s15, s2
	s_cbranch_execz .LBB710_1052
; %bb.1051:                             ;   in Loop: Header=BB710_974 Depth=2
	ds_load_b32 v180, v76
	s_wait_dscnt 0x0
	v_sub_nc_u32_e32 v177, v180, v177
	ds_store_b32 v76, v177
.LBB710_1052:                           ;   in Loop: Header=BB710_974 Depth=2
	s_wait_alu 0xfffe
	s_or_b32 exec_lo, exec_lo, s15
	v_lshlrev_b32_e32 v163, 3, v163
	v_lshlrev_b32_e32 v170, 3, v170
	;; [unrolled: 1-line block ×5, first 2 shown]
	v_lshl_add_u32 v69, v69, 3, v163
	v_lshlrev_b32_e32 v163, 3, v172
	v_lshlrev_b32_e32 v172, 3, v214
	;; [unrolled: 1-line block ×11, first 2 shown]
	ds_store_b64 v69, v[38:39] offset:1024
	v_add3_u32 v38, v170, v169, v177
	v_add3_u32 v39, v173, v163, v172
	;; [unrolled: 1-line block ×5, first 2 shown]
	ds_store_b64 v38, v[40:41] offset:1024
	ds_store_b64 v39, v[42:43] offset:1024
	;; [unrolled: 1-line block ×5, first 2 shown]
	v_lshlrev_b32_e32 v40, 3, v185
	v_lshlrev_b32_e32 v41, 3, v184
	;; [unrolled: 1-line block ×15, first 2 shown]
	v_add3_u32 v40, v40, v41, v42
	v_add3_u32 v41, v43, v46, v47
	;; [unrolled: 1-line block ×5, first 2 shown]
	ds_store_b64 v40, v[60:61] offset:1024
	ds_store_b64 v41, v[64:65] offset:1024
	;; [unrolled: 1-line block ×5, first 2 shown]
	v_lshlrev_b32_e32 v47, 3, v200
	v_lshlrev_b32_e32 v52, 3, v199
	;; [unrolled: 1-line block ×15, first 2 shown]
	v_add3_u32 v47, v47, v52, v53
	v_add3_u32 v52, v56, v57, v58
	;; [unrolled: 1-line block ×5, first 2 shown]
	v_cmp_lt_u32_e32 vcc_lo, v1, v162
	ds_store_b64 v47, v[54:55] offset:1024
	ds_store_b64 v52, v[50:51] offset:1024
	;; [unrolled: 1-line block ×5, first 2 shown]
	s_wait_loadcnt_dscnt 0x0
	s_barrier_signal -1
	s_barrier_wait -1
	global_inv scope:SCOPE_SE
	s_and_saveexec_b32 s16, vcc_lo
	s_cbranch_execnz .LBB710_1121
; %bb.1053:                             ;   in Loop: Header=BB710_974 Depth=2
	s_wait_alu 0xfffe
	s_or_b32 exec_lo, exec_lo, s16
	v_cmp_lt_u32_e64 s15, v77, v162
	s_and_saveexec_b32 s17, s15
	s_cbranch_execnz .LBB710_1122
.LBB710_1054:                           ;   in Loop: Header=BB710_974 Depth=2
	s_wait_alu 0xfffe
	s_or_b32 exec_lo, exec_lo, s17
	v_cmp_lt_u32_e64 s16, v78, v162
	s_and_saveexec_b32 s18, s16
	s_cbranch_execnz .LBB710_1123
.LBB710_1055:                           ;   in Loop: Header=BB710_974 Depth=2
	s_wait_alu 0xfffe
	s_or_b32 exec_lo, exec_lo, s18
	v_cmp_lt_u32_e64 s17, v79, v162
	s_and_saveexec_b32 s19, s17
	s_cbranch_execnz .LBB710_1124
.LBB710_1056:                           ;   in Loop: Header=BB710_974 Depth=2
	s_wait_alu 0xfffe
	s_or_b32 exec_lo, exec_lo, s19
	v_cmp_lt_u32_e64 s18, v82, v162
	s_and_saveexec_b32 s20, s18
	s_cbranch_execnz .LBB710_1125
.LBB710_1057:                           ;   in Loop: Header=BB710_974 Depth=2
	s_wait_alu 0xfffe
	s_or_b32 exec_lo, exec_lo, s20
	v_cmp_lt_u32_e64 s19, v83, v162
	s_and_saveexec_b32 s21, s19
	s_cbranch_execnz .LBB710_1126
.LBB710_1058:                           ;   in Loop: Header=BB710_974 Depth=2
	s_wait_alu 0xfffe
	s_or_b32 exec_lo, exec_lo, s21
	v_cmp_lt_u32_e64 s20, v84, v162
	s_and_saveexec_b32 s22, s20
	s_cbranch_execnz .LBB710_1127
.LBB710_1059:                           ;   in Loop: Header=BB710_974 Depth=2
	s_wait_alu 0xfffe
	s_or_b32 exec_lo, exec_lo, s22
	v_cmp_lt_u32_e64 s21, v85, v162
	s_and_saveexec_b32 s23, s21
	s_cbranch_execnz .LBB710_1128
.LBB710_1060:                           ;   in Loop: Header=BB710_974 Depth=2
	s_wait_alu 0xfffe
	s_or_b32 exec_lo, exec_lo, s23
	v_cmp_lt_u32_e64 s22, v86, v162
	s_and_saveexec_b32 s24, s22
	s_cbranch_execnz .LBB710_1129
.LBB710_1061:                           ;   in Loop: Header=BB710_974 Depth=2
	s_wait_alu 0xfffe
	s_or_b32 exec_lo, exec_lo, s24
	v_cmp_lt_u32_e64 s23, v87, v162
	s_and_saveexec_b32 s25, s23
	s_cbranch_execnz .LBB710_1130
.LBB710_1062:                           ;   in Loop: Header=BB710_974 Depth=2
	s_wait_alu 0xfffe
	s_or_b32 exec_lo, exec_lo, s25
	v_cmp_lt_u32_e64 s24, v88, v162
	s_and_saveexec_b32 s26, s24
	s_cbranch_execnz .LBB710_1131
.LBB710_1063:                           ;   in Loop: Header=BB710_974 Depth=2
	s_wait_alu 0xfffe
	s_or_b32 exec_lo, exec_lo, s26
	v_cmp_lt_u32_e64 s25, v89, v162
	s_and_saveexec_b32 s27, s25
	s_cbranch_execnz .LBB710_1132
.LBB710_1064:                           ;   in Loop: Header=BB710_974 Depth=2
	s_wait_alu 0xfffe
	s_or_b32 exec_lo, exec_lo, s27
	v_cmp_lt_u32_e64 s26, v90, v162
	s_and_saveexec_b32 s28, s26
	s_cbranch_execnz .LBB710_1133
.LBB710_1065:                           ;   in Loop: Header=BB710_974 Depth=2
	s_wait_alu 0xfffe
	s_or_b32 exec_lo, exec_lo, s28
	v_cmp_lt_u32_e64 s27, v91, v162
	s_and_saveexec_b32 s29, s27
	s_cbranch_execnz .LBB710_1134
.LBB710_1066:                           ;   in Loop: Header=BB710_974 Depth=2
	s_wait_alu 0xfffe
	s_or_b32 exec_lo, exec_lo, s29
	v_cmp_lt_u32_e64 s28, v92, v162
	s_and_saveexec_b32 s30, s28
	s_cbranch_execnz .LBB710_1135
.LBB710_1067:                           ;   in Loop: Header=BB710_974 Depth=2
	s_wait_alu 0xfffe
	s_or_b32 exec_lo, exec_lo, s30
	v_cmp_lt_u32_e64 s29, v93, v162
	s_and_saveexec_b32 s57, s29
	s_cbranch_execz .LBB710_1069
.LBB710_1068:                           ;   in Loop: Header=BB710_974 Depth=2
	ds_load_b64 v[36:37], v108 offset:31744
	s_wait_dscnt 0x0
	v_lshrrev_b64 v[44:45], s31, v[36:37]
	v_xor_b32_e32 v37, 0x7fffffff, v37
	v_not_b32_e32 v36, v36
	s_delay_alu instid0(VALU_DEP_3) | instskip(NEXT) | instid1(VALU_DEP_1)
	v_dual_mov_b32 v45, v2 :: v_dual_and_b32 v44, s54, v44
	v_lshlrev_b32_e32 v44, 2, v44
	ds_load_b32 v44, v44
	s_wait_dscnt 0x0
	v_add_nc_u32_e32 v44, v44, v93
	s_delay_alu instid0(VALU_DEP_1) | instskip(NEXT) | instid1(VALU_DEP_1)
	v_lshlrev_b64_e32 v[44:45], 3, v[44:45]
	v_add_co_u32 v44, s30, s40, v44
	s_wait_alu 0xf1ff
	s_delay_alu instid0(VALU_DEP_2)
	v_add_co_ci_u32_e64 v45, null, s41, v45, s30
	global_store_b64 v[44:45], v[36:37], off
.LBB710_1069:                           ;   in Loop: Header=BB710_974 Depth=2
	s_wait_alu 0xfffe
	s_or_b32 exec_lo, exec_lo, s57
	s_lshl_b64 s[58:59], s[34:35], 3
	s_wait_alu 0xfffe
	v_add_co_u32 v36, s30, v126, s58
	s_wait_alu 0xf1ff
	v_add_co_ci_u32_e64 v37, null, s59, v127, s30
	v_cmp_lt_u32_e64 s30, v125, v162
	s_and_saveexec_b32 s34, s30
	s_wait_alu 0xfffe
	s_xor_b32 s30, exec_lo, s34
	s_cbranch_execnz .LBB710_1136
; %bb.1070:                             ;   in Loop: Header=BB710_974 Depth=2
	s_wait_alu 0xfffe
	s_or_b32 exec_lo, exec_lo, s30
	s_delay_alu instid0(SALU_CYCLE_1)
	s_mov_b32 s34, exec_lo
	v_cmpx_lt_u32_e64 v128, v162
	s_cbranch_execnz .LBB710_1137
.LBB710_1071:                           ;   in Loop: Header=BB710_974 Depth=2
	s_wait_alu 0xfffe
	s_or_b32 exec_lo, exec_lo, s34
	s_delay_alu instid0(SALU_CYCLE_1)
	s_mov_b32 s34, exec_lo
	v_cmpx_lt_u32_e64 v129, v162
	s_cbranch_execnz .LBB710_1138
.LBB710_1072:                           ;   in Loop: Header=BB710_974 Depth=2
	s_wait_alu 0xfffe
	s_or_b32 exec_lo, exec_lo, s34
	s_delay_alu instid0(SALU_CYCLE_1)
	s_mov_b32 s34, exec_lo
	v_cmpx_lt_u32_e64 v130, v162
	s_cbranch_execnz .LBB710_1139
.LBB710_1073:                           ;   in Loop: Header=BB710_974 Depth=2
	s_wait_alu 0xfffe
	s_or_b32 exec_lo, exec_lo, s34
	s_delay_alu instid0(SALU_CYCLE_1)
	s_mov_b32 s34, exec_lo
	v_cmpx_lt_u32_e64 v131, v162
	s_cbranch_execnz .LBB710_1140
.LBB710_1074:                           ;   in Loop: Header=BB710_974 Depth=2
	s_wait_alu 0xfffe
	s_or_b32 exec_lo, exec_lo, s34
	s_delay_alu instid0(SALU_CYCLE_1)
	s_mov_b32 s34, exec_lo
	v_cmpx_lt_u32_e64 v132, v162
	s_cbranch_execnz .LBB710_1141
.LBB710_1075:                           ;   in Loop: Header=BB710_974 Depth=2
	s_wait_alu 0xfffe
	s_or_b32 exec_lo, exec_lo, s34
	s_delay_alu instid0(SALU_CYCLE_1)
	s_mov_b32 s34, exec_lo
	v_cmpx_lt_u32_e64 v133, v162
	s_cbranch_execnz .LBB710_1142
.LBB710_1076:                           ;   in Loop: Header=BB710_974 Depth=2
	s_wait_alu 0xfffe
	s_or_b32 exec_lo, exec_lo, s34
	s_delay_alu instid0(SALU_CYCLE_1)
	s_mov_b32 s34, exec_lo
	v_cmpx_lt_u32_e64 v134, v162
	s_cbranch_execnz .LBB710_1143
.LBB710_1077:                           ;   in Loop: Header=BB710_974 Depth=2
	s_wait_alu 0xfffe
	s_or_b32 exec_lo, exec_lo, s34
	s_delay_alu instid0(SALU_CYCLE_1)
	s_mov_b32 s34, exec_lo
	v_cmpx_lt_u32_e64 v135, v162
	s_cbranch_execnz .LBB710_1144
.LBB710_1078:                           ;   in Loop: Header=BB710_974 Depth=2
	s_wait_alu 0xfffe
	s_or_b32 exec_lo, exec_lo, s34
	s_delay_alu instid0(SALU_CYCLE_1)
	s_mov_b32 s34, exec_lo
	v_cmpx_lt_u32_e64 v136, v162
	s_cbranch_execnz .LBB710_1145
.LBB710_1079:                           ;   in Loop: Header=BB710_974 Depth=2
	s_wait_alu 0xfffe
	s_or_b32 exec_lo, exec_lo, s34
	s_delay_alu instid0(SALU_CYCLE_1)
	s_mov_b32 s34, exec_lo
	v_cmpx_lt_u32_e64 v137, v162
	s_cbranch_execnz .LBB710_1146
.LBB710_1080:                           ;   in Loop: Header=BB710_974 Depth=2
	s_wait_alu 0xfffe
	s_or_b32 exec_lo, exec_lo, s34
	s_delay_alu instid0(SALU_CYCLE_1)
	s_mov_b32 s34, exec_lo
	v_cmpx_lt_u32_e64 v138, v162
	s_cbranch_execnz .LBB710_1147
.LBB710_1081:                           ;   in Loop: Header=BB710_974 Depth=2
	s_wait_alu 0xfffe
	s_or_b32 exec_lo, exec_lo, s34
	s_delay_alu instid0(SALU_CYCLE_1)
	s_mov_b32 s34, exec_lo
	v_cmpx_lt_u32_e64 v139, v162
	s_cbranch_execnz .LBB710_1148
.LBB710_1082:                           ;   in Loop: Header=BB710_974 Depth=2
	s_wait_alu 0xfffe
	s_or_b32 exec_lo, exec_lo, s34
	s_delay_alu instid0(SALU_CYCLE_1)
	s_mov_b32 s34, exec_lo
	v_cmpx_lt_u32_e64 v140, v162
	s_cbranch_execnz .LBB710_1149
.LBB710_1083:                           ;   in Loop: Header=BB710_974 Depth=2
	s_wait_alu 0xfffe
	s_or_b32 exec_lo, exec_lo, s34
	s_delay_alu instid0(SALU_CYCLE_1)
	s_mov_b32 s34, exec_lo
	v_cmpx_lt_u32_e64 v141, v162
	s_cbranch_execnz .LBB710_1150
.LBB710_1084:                           ;   in Loop: Header=BB710_974 Depth=2
	s_wait_alu 0xfffe
	s_or_b32 exec_lo, exec_lo, s34
	s_delay_alu instid0(SALU_CYCLE_1)
	s_mov_b32 s34, exec_lo
	v_cmpx_lt_u32_e64 v142, v162
	s_cbranch_execnz .LBB710_1151
.LBB710_1085:                           ;   in Loop: Header=BB710_974 Depth=2
	s_wait_alu 0xfffe
	s_or_b32 exec_lo, exec_lo, s34
	s_and_saveexec_b32 s30, vcc_lo
	s_cbranch_execnz .LBB710_1152
.LBB710_1086:                           ;   in Loop: Header=BB710_974 Depth=2
	s_wait_alu 0xfffe
	s_or_b32 exec_lo, exec_lo, s30
	s_and_saveexec_b32 s30, s15
	s_cbranch_execnz .LBB710_1153
.LBB710_1087:                           ;   in Loop: Header=BB710_974 Depth=2
	s_wait_alu 0xfffe
	s_or_b32 exec_lo, exec_lo, s30
	s_and_saveexec_b32 s30, s16
	s_cbranch_execnz .LBB710_1154
.LBB710_1088:                           ;   in Loop: Header=BB710_974 Depth=2
	s_wait_alu 0xfffe
	s_or_b32 exec_lo, exec_lo, s30
	s_and_saveexec_b32 s30, s17
	s_cbranch_execnz .LBB710_1155
.LBB710_1089:                           ;   in Loop: Header=BB710_974 Depth=2
	s_wait_alu 0xfffe
	s_or_b32 exec_lo, exec_lo, s30
	s_and_saveexec_b32 s30, s18
	s_cbranch_execnz .LBB710_1156
.LBB710_1090:                           ;   in Loop: Header=BB710_974 Depth=2
	s_wait_alu 0xfffe
	s_or_b32 exec_lo, exec_lo, s30
	s_and_saveexec_b32 s30, s19
	s_cbranch_execnz .LBB710_1157
.LBB710_1091:                           ;   in Loop: Header=BB710_974 Depth=2
	s_wait_alu 0xfffe
	s_or_b32 exec_lo, exec_lo, s30
	s_and_saveexec_b32 s30, s20
	s_cbranch_execnz .LBB710_1158
.LBB710_1092:                           ;   in Loop: Header=BB710_974 Depth=2
	s_wait_alu 0xfffe
	s_or_b32 exec_lo, exec_lo, s30
	s_and_saveexec_b32 s30, s21
	s_cbranch_execnz .LBB710_1159
.LBB710_1093:                           ;   in Loop: Header=BB710_974 Depth=2
	s_wait_alu 0xfffe
	s_or_b32 exec_lo, exec_lo, s30
	s_and_saveexec_b32 s30, s22
	s_cbranch_execnz .LBB710_1160
.LBB710_1094:                           ;   in Loop: Header=BB710_974 Depth=2
	s_wait_alu 0xfffe
	s_or_b32 exec_lo, exec_lo, s30
	s_and_saveexec_b32 s30, s23
	s_cbranch_execnz .LBB710_1161
.LBB710_1095:                           ;   in Loop: Header=BB710_974 Depth=2
	s_wait_alu 0xfffe
	s_or_b32 exec_lo, exec_lo, s30
	s_and_saveexec_b32 s30, s24
	s_cbranch_execnz .LBB710_1162
.LBB710_1096:                           ;   in Loop: Header=BB710_974 Depth=2
	s_wait_alu 0xfffe
	s_or_b32 exec_lo, exec_lo, s30
	s_and_saveexec_b32 s30, s25
	s_cbranch_execnz .LBB710_1163
.LBB710_1097:                           ;   in Loop: Header=BB710_974 Depth=2
	s_wait_alu 0xfffe
	s_or_b32 exec_lo, exec_lo, s30
	s_and_saveexec_b32 s30, s26
	s_cbranch_execnz .LBB710_1164
.LBB710_1098:                           ;   in Loop: Header=BB710_974 Depth=2
	s_wait_alu 0xfffe
	s_or_b32 exec_lo, exec_lo, s30
	s_and_saveexec_b32 s30, s27
	s_cbranch_execnz .LBB710_1165
.LBB710_1099:                           ;   in Loop: Header=BB710_974 Depth=2
	s_wait_alu 0xfffe
	s_or_b32 exec_lo, exec_lo, s30
	s_and_saveexec_b32 s30, s28
	s_cbranch_execnz .LBB710_1166
.LBB710_1100:                           ;   in Loop: Header=BB710_974 Depth=2
	s_wait_alu 0xfffe
	s_or_b32 exec_lo, exec_lo, s30
	s_and_saveexec_b32 s30, s29
	s_cbranch_execz .LBB710_1102
.LBB710_1101:                           ;   in Loop: Header=BB710_974 Depth=2
	ds_load_b64 v[36:37], v108 offset:31744
	s_wait_dscnt 0x0
	v_lshrrev_b64 v[36:37], s31, v[36:37]
	s_delay_alu instid0(VALU_DEP_1)
	v_and_b32_e32 v146, s54, v36
.LBB710_1102:                           ;   in Loop: Header=BB710_974 Depth=2
	s_wait_alu 0xfffe
	s_or_b32 exec_lo, exec_lo, s30
	s_wait_loadcnt 0x0
	s_wait_storecnt 0x0
	s_barrier_signal -1
	s_barrier_wait -1
	global_inv scope:SCOPE_SE
	ds_store_b64 v69, v[34:35] offset:1024
	ds_store_b64 v38, v[32:33] offset:1024
	;; [unrolled: 1-line block ×16, first 2 shown]
	s_wait_loadcnt_dscnt 0x0
	s_barrier_signal -1
	s_barrier_wait -1
	global_inv scope:SCOPE_SE
	s_and_saveexec_b32 s30, vcc_lo
	s_cbranch_execnz .LBB710_1167
; %bb.1103:                             ;   in Loop: Header=BB710_974 Depth=2
	s_wait_alu 0xfffe
	s_or_b32 exec_lo, exec_lo, s30
	s_and_saveexec_b32 s30, s15
	s_cbranch_execnz .LBB710_1168
.LBB710_1104:                           ;   in Loop: Header=BB710_974 Depth=2
	s_wait_alu 0xfffe
	s_or_b32 exec_lo, exec_lo, s30
	s_and_saveexec_b32 s15, s16
	s_cbranch_execnz .LBB710_1169
.LBB710_1105:                           ;   in Loop: Header=BB710_974 Depth=2
	s_wait_alu 0xfffe
	s_or_b32 exec_lo, exec_lo, s15
	s_and_saveexec_b32 s15, s17
	s_cbranch_execnz .LBB710_1170
.LBB710_1106:                           ;   in Loop: Header=BB710_974 Depth=2
	s_wait_alu 0xfffe
	s_or_b32 exec_lo, exec_lo, s15
	s_and_saveexec_b32 s15, s18
	s_cbranch_execnz .LBB710_1171
.LBB710_1107:                           ;   in Loop: Header=BB710_974 Depth=2
	s_wait_alu 0xfffe
	s_or_b32 exec_lo, exec_lo, s15
	s_and_saveexec_b32 s15, s19
	s_cbranch_execnz .LBB710_1172
.LBB710_1108:                           ;   in Loop: Header=BB710_974 Depth=2
	s_wait_alu 0xfffe
	s_or_b32 exec_lo, exec_lo, s15
	s_and_saveexec_b32 s15, s20
	s_cbranch_execnz .LBB710_1173
.LBB710_1109:                           ;   in Loop: Header=BB710_974 Depth=2
	s_wait_alu 0xfffe
	s_or_b32 exec_lo, exec_lo, s15
	s_and_saveexec_b32 s15, s21
	s_cbranch_execnz .LBB710_1174
.LBB710_1110:                           ;   in Loop: Header=BB710_974 Depth=2
	s_wait_alu 0xfffe
	s_or_b32 exec_lo, exec_lo, s15
	s_and_saveexec_b32 s15, s22
	s_cbranch_execnz .LBB710_1175
.LBB710_1111:                           ;   in Loop: Header=BB710_974 Depth=2
	s_wait_alu 0xfffe
	s_or_b32 exec_lo, exec_lo, s15
	s_and_saveexec_b32 s15, s23
	s_cbranch_execnz .LBB710_1176
.LBB710_1112:                           ;   in Loop: Header=BB710_974 Depth=2
	s_wait_alu 0xfffe
	s_or_b32 exec_lo, exec_lo, s15
	s_and_saveexec_b32 s15, s24
	s_cbranch_execnz .LBB710_1177
.LBB710_1113:                           ;   in Loop: Header=BB710_974 Depth=2
	s_wait_alu 0xfffe
	s_or_b32 exec_lo, exec_lo, s15
	s_and_saveexec_b32 s15, s25
	s_cbranch_execnz .LBB710_1178
.LBB710_1114:                           ;   in Loop: Header=BB710_974 Depth=2
	s_wait_alu 0xfffe
	s_or_b32 exec_lo, exec_lo, s15
	s_and_saveexec_b32 s15, s26
	s_cbranch_execnz .LBB710_1179
.LBB710_1115:                           ;   in Loop: Header=BB710_974 Depth=2
	s_wait_alu 0xfffe
	s_or_b32 exec_lo, exec_lo, s15
	s_and_saveexec_b32 s15, s27
	s_cbranch_execnz .LBB710_1180
.LBB710_1116:                           ;   in Loop: Header=BB710_974 Depth=2
	s_wait_alu 0xfffe
	s_or_b32 exec_lo, exec_lo, s15
	s_and_saveexec_b32 s15, s28
	s_cbranch_execnz .LBB710_1181
.LBB710_1117:                           ;   in Loop: Header=BB710_974 Depth=2
	s_wait_alu 0xfffe
	s_or_b32 exec_lo, exec_lo, s15
	s_and_saveexec_b32 s15, s29
	s_cbranch_execz .LBB710_1119
.LBB710_1118:                           ;   in Loop: Header=BB710_974 Depth=2
	v_dual_mov_b32 v39, v2 :: v_dual_lshlrev_b32 v36, 2, v146
	ds_load_b32 v38, v36
	ds_load_b64 v[36:37], v108 offset:31744
	s_wait_dscnt 0x1
	v_add_nc_u32_e32 v38, v38, v93
	s_delay_alu instid0(VALU_DEP_1) | instskip(NEXT) | instid1(VALU_DEP_1)
	v_lshlrev_b64_e32 v[38:39], 3, v[38:39]
	v_add_co_u32 v38, vcc_lo, s46, v38
	s_wait_alu 0xfffd
	s_delay_alu instid0(VALU_DEP_2)
	v_add_co_ci_u32_e64 v39, null, s47, v39, vcc_lo
	s_wait_dscnt 0x0
	global_store_b64 v[38:39], v[36:37], off
.LBB710_1119:                           ;   in Loop: Header=BB710_974 Depth=2
	s_wait_alu 0xfffe
	s_or_b32 exec_lo, exec_lo, s15
	s_wait_loadcnt 0x0
	s_wait_storecnt 0x0
	s_barrier_signal -1
	s_barrier_wait -1
	global_inv scope:SCOPE_SE
	s_and_saveexec_b32 s15, s2
	s_cbranch_execz .LBB710_973
; %bb.1120:                             ;   in Loop: Header=BB710_974 Depth=2
	ds_load_b32 v36, v76
	s_wait_dscnt 0x0
	v_add_nc_u32_e32 v36, v36, v68
	ds_store_b32 v76, v36
	s_branch .LBB710_973
.LBB710_1121:                           ;   in Loop: Header=BB710_974 Depth=2
	ds_load_b64 v[36:37], v108 offset:1024
	s_wait_dscnt 0x0
	v_lshrrev_b64 v[44:45], s31, v[36:37]
	v_xor_b32_e32 v37, 0x7fffffff, v37
	v_not_b32_e32 v36, v36
	s_delay_alu instid0(VALU_DEP_3) | instskip(NEXT) | instid1(VALU_DEP_1)
	v_dual_mov_b32 v45, v2 :: v_dual_and_b32 v44, s54, v44
	v_lshlrev_b32_e32 v44, 2, v44
	ds_load_b32 v44, v44
	s_wait_dscnt 0x0
	v_add_nc_u32_e32 v44, v44, v1
	s_delay_alu instid0(VALU_DEP_1) | instskip(NEXT) | instid1(VALU_DEP_1)
	v_lshlrev_b64_e32 v[44:45], 3, v[44:45]
	v_add_co_u32 v44, s15, s40, v44
	s_wait_alu 0xf1ff
	s_delay_alu instid0(VALU_DEP_2)
	v_add_co_ci_u32_e64 v45, null, s41, v45, s15
	global_store_b64 v[44:45], v[36:37], off
	s_wait_alu 0xfffe
	s_or_b32 exec_lo, exec_lo, s16
	v_cmp_lt_u32_e64 s15, v77, v162
	s_and_saveexec_b32 s17, s15
	s_cbranch_execz .LBB710_1054
.LBB710_1122:                           ;   in Loop: Header=BB710_974 Depth=2
	ds_load_b64 v[36:37], v108 offset:3072
	s_wait_dscnt 0x0
	v_lshrrev_b64 v[44:45], s31, v[36:37]
	v_xor_b32_e32 v37, 0x7fffffff, v37
	v_not_b32_e32 v36, v36
	s_delay_alu instid0(VALU_DEP_3) | instskip(NEXT) | instid1(VALU_DEP_1)
	v_dual_mov_b32 v45, v2 :: v_dual_and_b32 v44, s54, v44
	v_lshlrev_b32_e32 v44, 2, v44
	ds_load_b32 v44, v44
	s_wait_dscnt 0x0
	v_add_nc_u32_e32 v44, v44, v77
	s_delay_alu instid0(VALU_DEP_1) | instskip(NEXT) | instid1(VALU_DEP_1)
	v_lshlrev_b64_e32 v[44:45], 3, v[44:45]
	v_add_co_u32 v44, s16, s40, v44
	s_wait_alu 0xf1ff
	s_delay_alu instid0(VALU_DEP_2)
	v_add_co_ci_u32_e64 v45, null, s41, v45, s16
	global_store_b64 v[44:45], v[36:37], off
	s_wait_alu 0xfffe
	s_or_b32 exec_lo, exec_lo, s17
	v_cmp_lt_u32_e64 s16, v78, v162
	s_and_saveexec_b32 s18, s16
	s_cbranch_execz .LBB710_1055
.LBB710_1123:                           ;   in Loop: Header=BB710_974 Depth=2
	ds_load_b64 v[36:37], v108 offset:5120
	s_wait_dscnt 0x0
	v_lshrrev_b64 v[44:45], s31, v[36:37]
	v_xor_b32_e32 v37, 0x7fffffff, v37
	v_not_b32_e32 v36, v36
	s_delay_alu instid0(VALU_DEP_3) | instskip(NEXT) | instid1(VALU_DEP_1)
	v_dual_mov_b32 v45, v2 :: v_dual_and_b32 v44, s54, v44
	v_lshlrev_b32_e32 v44, 2, v44
	ds_load_b32 v44, v44
	s_wait_dscnt 0x0
	v_add_nc_u32_e32 v44, v44, v78
	s_delay_alu instid0(VALU_DEP_1) | instskip(NEXT) | instid1(VALU_DEP_1)
	v_lshlrev_b64_e32 v[44:45], 3, v[44:45]
	v_add_co_u32 v44, s17, s40, v44
	s_wait_alu 0xf1ff
	s_delay_alu instid0(VALU_DEP_2)
	v_add_co_ci_u32_e64 v45, null, s41, v45, s17
	global_store_b64 v[44:45], v[36:37], off
	s_wait_alu 0xfffe
	s_or_b32 exec_lo, exec_lo, s18
	v_cmp_lt_u32_e64 s17, v79, v162
	s_and_saveexec_b32 s19, s17
	s_cbranch_execz .LBB710_1056
.LBB710_1124:                           ;   in Loop: Header=BB710_974 Depth=2
	ds_load_b64 v[36:37], v108 offset:7168
	s_wait_dscnt 0x0
	v_lshrrev_b64 v[44:45], s31, v[36:37]
	v_xor_b32_e32 v37, 0x7fffffff, v37
	v_not_b32_e32 v36, v36
	s_delay_alu instid0(VALU_DEP_3) | instskip(NEXT) | instid1(VALU_DEP_1)
	v_dual_mov_b32 v45, v2 :: v_dual_and_b32 v44, s54, v44
	v_lshlrev_b32_e32 v44, 2, v44
	ds_load_b32 v44, v44
	s_wait_dscnt 0x0
	v_add_nc_u32_e32 v44, v44, v79
	s_delay_alu instid0(VALU_DEP_1) | instskip(NEXT) | instid1(VALU_DEP_1)
	v_lshlrev_b64_e32 v[44:45], 3, v[44:45]
	v_add_co_u32 v44, s18, s40, v44
	s_wait_alu 0xf1ff
	s_delay_alu instid0(VALU_DEP_2)
	v_add_co_ci_u32_e64 v45, null, s41, v45, s18
	global_store_b64 v[44:45], v[36:37], off
	s_wait_alu 0xfffe
	s_or_b32 exec_lo, exec_lo, s19
	v_cmp_lt_u32_e64 s18, v82, v162
	s_and_saveexec_b32 s20, s18
	s_cbranch_execz .LBB710_1057
.LBB710_1125:                           ;   in Loop: Header=BB710_974 Depth=2
	ds_load_b64 v[36:37], v108 offset:9216
	s_wait_dscnt 0x0
	v_lshrrev_b64 v[44:45], s31, v[36:37]
	v_xor_b32_e32 v37, 0x7fffffff, v37
	v_not_b32_e32 v36, v36
	s_delay_alu instid0(VALU_DEP_3) | instskip(NEXT) | instid1(VALU_DEP_1)
	v_dual_mov_b32 v45, v2 :: v_dual_and_b32 v44, s54, v44
	v_lshlrev_b32_e32 v44, 2, v44
	ds_load_b32 v44, v44
	s_wait_dscnt 0x0
	v_add_nc_u32_e32 v44, v44, v82
	s_delay_alu instid0(VALU_DEP_1) | instskip(NEXT) | instid1(VALU_DEP_1)
	v_lshlrev_b64_e32 v[44:45], 3, v[44:45]
	v_add_co_u32 v44, s19, s40, v44
	s_wait_alu 0xf1ff
	s_delay_alu instid0(VALU_DEP_2)
	v_add_co_ci_u32_e64 v45, null, s41, v45, s19
	global_store_b64 v[44:45], v[36:37], off
	s_wait_alu 0xfffe
	s_or_b32 exec_lo, exec_lo, s20
	v_cmp_lt_u32_e64 s19, v83, v162
	s_and_saveexec_b32 s21, s19
	s_cbranch_execz .LBB710_1058
.LBB710_1126:                           ;   in Loop: Header=BB710_974 Depth=2
	ds_load_b64 v[36:37], v108 offset:11264
	s_wait_dscnt 0x0
	v_lshrrev_b64 v[44:45], s31, v[36:37]
	v_xor_b32_e32 v37, 0x7fffffff, v37
	v_not_b32_e32 v36, v36
	s_delay_alu instid0(VALU_DEP_3) | instskip(NEXT) | instid1(VALU_DEP_1)
	v_dual_mov_b32 v45, v2 :: v_dual_and_b32 v44, s54, v44
	v_lshlrev_b32_e32 v44, 2, v44
	ds_load_b32 v44, v44
	s_wait_dscnt 0x0
	v_add_nc_u32_e32 v44, v44, v83
	s_delay_alu instid0(VALU_DEP_1) | instskip(NEXT) | instid1(VALU_DEP_1)
	v_lshlrev_b64_e32 v[44:45], 3, v[44:45]
	v_add_co_u32 v44, s20, s40, v44
	s_wait_alu 0xf1ff
	s_delay_alu instid0(VALU_DEP_2)
	v_add_co_ci_u32_e64 v45, null, s41, v45, s20
	global_store_b64 v[44:45], v[36:37], off
	s_wait_alu 0xfffe
	s_or_b32 exec_lo, exec_lo, s21
	v_cmp_lt_u32_e64 s20, v84, v162
	s_and_saveexec_b32 s22, s20
	s_cbranch_execz .LBB710_1059
.LBB710_1127:                           ;   in Loop: Header=BB710_974 Depth=2
	ds_load_b64 v[36:37], v108 offset:13312
	s_wait_dscnt 0x0
	v_lshrrev_b64 v[44:45], s31, v[36:37]
	v_xor_b32_e32 v37, 0x7fffffff, v37
	v_not_b32_e32 v36, v36
	s_delay_alu instid0(VALU_DEP_3) | instskip(NEXT) | instid1(VALU_DEP_1)
	v_dual_mov_b32 v45, v2 :: v_dual_and_b32 v44, s54, v44
	v_lshlrev_b32_e32 v44, 2, v44
	ds_load_b32 v44, v44
	s_wait_dscnt 0x0
	v_add_nc_u32_e32 v44, v44, v84
	s_delay_alu instid0(VALU_DEP_1) | instskip(NEXT) | instid1(VALU_DEP_1)
	v_lshlrev_b64_e32 v[44:45], 3, v[44:45]
	v_add_co_u32 v44, s21, s40, v44
	s_wait_alu 0xf1ff
	s_delay_alu instid0(VALU_DEP_2)
	v_add_co_ci_u32_e64 v45, null, s41, v45, s21
	global_store_b64 v[44:45], v[36:37], off
	s_wait_alu 0xfffe
	s_or_b32 exec_lo, exec_lo, s22
	v_cmp_lt_u32_e64 s21, v85, v162
	s_and_saveexec_b32 s23, s21
	s_cbranch_execz .LBB710_1060
.LBB710_1128:                           ;   in Loop: Header=BB710_974 Depth=2
	ds_load_b64 v[36:37], v108 offset:15360
	s_wait_dscnt 0x0
	v_lshrrev_b64 v[44:45], s31, v[36:37]
	v_xor_b32_e32 v37, 0x7fffffff, v37
	v_not_b32_e32 v36, v36
	s_delay_alu instid0(VALU_DEP_3) | instskip(NEXT) | instid1(VALU_DEP_1)
	v_dual_mov_b32 v45, v2 :: v_dual_and_b32 v44, s54, v44
	v_lshlrev_b32_e32 v44, 2, v44
	ds_load_b32 v44, v44
	s_wait_dscnt 0x0
	v_add_nc_u32_e32 v44, v44, v85
	s_delay_alu instid0(VALU_DEP_1) | instskip(NEXT) | instid1(VALU_DEP_1)
	v_lshlrev_b64_e32 v[44:45], 3, v[44:45]
	v_add_co_u32 v44, s22, s40, v44
	s_wait_alu 0xf1ff
	s_delay_alu instid0(VALU_DEP_2)
	v_add_co_ci_u32_e64 v45, null, s41, v45, s22
	global_store_b64 v[44:45], v[36:37], off
	s_wait_alu 0xfffe
	s_or_b32 exec_lo, exec_lo, s23
	v_cmp_lt_u32_e64 s22, v86, v162
	s_and_saveexec_b32 s24, s22
	s_cbranch_execz .LBB710_1061
.LBB710_1129:                           ;   in Loop: Header=BB710_974 Depth=2
	ds_load_b64 v[36:37], v108 offset:17408
	s_wait_dscnt 0x0
	v_lshrrev_b64 v[44:45], s31, v[36:37]
	v_xor_b32_e32 v37, 0x7fffffff, v37
	v_not_b32_e32 v36, v36
	s_delay_alu instid0(VALU_DEP_3) | instskip(NEXT) | instid1(VALU_DEP_1)
	v_dual_mov_b32 v45, v2 :: v_dual_and_b32 v44, s54, v44
	v_lshlrev_b32_e32 v44, 2, v44
	ds_load_b32 v44, v44
	s_wait_dscnt 0x0
	v_add_nc_u32_e32 v44, v44, v86
	s_delay_alu instid0(VALU_DEP_1) | instskip(NEXT) | instid1(VALU_DEP_1)
	v_lshlrev_b64_e32 v[44:45], 3, v[44:45]
	v_add_co_u32 v44, s23, s40, v44
	s_wait_alu 0xf1ff
	s_delay_alu instid0(VALU_DEP_2)
	v_add_co_ci_u32_e64 v45, null, s41, v45, s23
	global_store_b64 v[44:45], v[36:37], off
	s_wait_alu 0xfffe
	s_or_b32 exec_lo, exec_lo, s24
	v_cmp_lt_u32_e64 s23, v87, v162
	s_and_saveexec_b32 s25, s23
	s_cbranch_execz .LBB710_1062
.LBB710_1130:                           ;   in Loop: Header=BB710_974 Depth=2
	ds_load_b64 v[36:37], v108 offset:19456
	s_wait_dscnt 0x0
	v_lshrrev_b64 v[44:45], s31, v[36:37]
	v_xor_b32_e32 v37, 0x7fffffff, v37
	v_not_b32_e32 v36, v36
	s_delay_alu instid0(VALU_DEP_3) | instskip(NEXT) | instid1(VALU_DEP_1)
	v_dual_mov_b32 v45, v2 :: v_dual_and_b32 v44, s54, v44
	v_lshlrev_b32_e32 v44, 2, v44
	ds_load_b32 v44, v44
	s_wait_dscnt 0x0
	v_add_nc_u32_e32 v44, v44, v87
	s_delay_alu instid0(VALU_DEP_1) | instskip(NEXT) | instid1(VALU_DEP_1)
	v_lshlrev_b64_e32 v[44:45], 3, v[44:45]
	v_add_co_u32 v44, s24, s40, v44
	s_wait_alu 0xf1ff
	s_delay_alu instid0(VALU_DEP_2)
	v_add_co_ci_u32_e64 v45, null, s41, v45, s24
	global_store_b64 v[44:45], v[36:37], off
	s_wait_alu 0xfffe
	s_or_b32 exec_lo, exec_lo, s25
	v_cmp_lt_u32_e64 s24, v88, v162
	s_and_saveexec_b32 s26, s24
	s_cbranch_execz .LBB710_1063
.LBB710_1131:                           ;   in Loop: Header=BB710_974 Depth=2
	ds_load_b64 v[36:37], v108 offset:21504
	s_wait_dscnt 0x0
	v_lshrrev_b64 v[44:45], s31, v[36:37]
	v_xor_b32_e32 v37, 0x7fffffff, v37
	v_not_b32_e32 v36, v36
	s_delay_alu instid0(VALU_DEP_3) | instskip(NEXT) | instid1(VALU_DEP_1)
	v_dual_mov_b32 v45, v2 :: v_dual_and_b32 v44, s54, v44
	v_lshlrev_b32_e32 v44, 2, v44
	ds_load_b32 v44, v44
	s_wait_dscnt 0x0
	v_add_nc_u32_e32 v44, v44, v88
	s_delay_alu instid0(VALU_DEP_1) | instskip(NEXT) | instid1(VALU_DEP_1)
	v_lshlrev_b64_e32 v[44:45], 3, v[44:45]
	v_add_co_u32 v44, s25, s40, v44
	s_wait_alu 0xf1ff
	s_delay_alu instid0(VALU_DEP_2)
	v_add_co_ci_u32_e64 v45, null, s41, v45, s25
	global_store_b64 v[44:45], v[36:37], off
	s_wait_alu 0xfffe
	s_or_b32 exec_lo, exec_lo, s26
	v_cmp_lt_u32_e64 s25, v89, v162
	s_and_saveexec_b32 s27, s25
	s_cbranch_execz .LBB710_1064
.LBB710_1132:                           ;   in Loop: Header=BB710_974 Depth=2
	ds_load_b64 v[36:37], v108 offset:23552
	s_wait_dscnt 0x0
	v_lshrrev_b64 v[44:45], s31, v[36:37]
	v_xor_b32_e32 v37, 0x7fffffff, v37
	v_not_b32_e32 v36, v36
	s_delay_alu instid0(VALU_DEP_3) | instskip(NEXT) | instid1(VALU_DEP_1)
	v_dual_mov_b32 v45, v2 :: v_dual_and_b32 v44, s54, v44
	v_lshlrev_b32_e32 v44, 2, v44
	ds_load_b32 v44, v44
	s_wait_dscnt 0x0
	v_add_nc_u32_e32 v44, v44, v89
	s_delay_alu instid0(VALU_DEP_1) | instskip(NEXT) | instid1(VALU_DEP_1)
	v_lshlrev_b64_e32 v[44:45], 3, v[44:45]
	v_add_co_u32 v44, s26, s40, v44
	s_wait_alu 0xf1ff
	s_delay_alu instid0(VALU_DEP_2)
	v_add_co_ci_u32_e64 v45, null, s41, v45, s26
	global_store_b64 v[44:45], v[36:37], off
	s_wait_alu 0xfffe
	s_or_b32 exec_lo, exec_lo, s27
	v_cmp_lt_u32_e64 s26, v90, v162
	s_and_saveexec_b32 s28, s26
	s_cbranch_execz .LBB710_1065
.LBB710_1133:                           ;   in Loop: Header=BB710_974 Depth=2
	ds_load_b64 v[36:37], v108 offset:25600
	s_wait_dscnt 0x0
	v_lshrrev_b64 v[44:45], s31, v[36:37]
	v_xor_b32_e32 v37, 0x7fffffff, v37
	v_not_b32_e32 v36, v36
	s_delay_alu instid0(VALU_DEP_3) | instskip(NEXT) | instid1(VALU_DEP_1)
	v_dual_mov_b32 v45, v2 :: v_dual_and_b32 v44, s54, v44
	v_lshlrev_b32_e32 v44, 2, v44
	ds_load_b32 v44, v44
	s_wait_dscnt 0x0
	v_add_nc_u32_e32 v44, v44, v90
	s_delay_alu instid0(VALU_DEP_1) | instskip(NEXT) | instid1(VALU_DEP_1)
	v_lshlrev_b64_e32 v[44:45], 3, v[44:45]
	v_add_co_u32 v44, s27, s40, v44
	s_wait_alu 0xf1ff
	s_delay_alu instid0(VALU_DEP_2)
	v_add_co_ci_u32_e64 v45, null, s41, v45, s27
	global_store_b64 v[44:45], v[36:37], off
	s_wait_alu 0xfffe
	s_or_b32 exec_lo, exec_lo, s28
	v_cmp_lt_u32_e64 s27, v91, v162
	s_and_saveexec_b32 s29, s27
	s_cbranch_execz .LBB710_1066
.LBB710_1134:                           ;   in Loop: Header=BB710_974 Depth=2
	ds_load_b64 v[36:37], v108 offset:27648
	s_wait_dscnt 0x0
	v_lshrrev_b64 v[44:45], s31, v[36:37]
	v_xor_b32_e32 v37, 0x7fffffff, v37
	v_not_b32_e32 v36, v36
	s_delay_alu instid0(VALU_DEP_3) | instskip(NEXT) | instid1(VALU_DEP_1)
	v_dual_mov_b32 v45, v2 :: v_dual_and_b32 v44, s54, v44
	v_lshlrev_b32_e32 v44, 2, v44
	ds_load_b32 v44, v44
	s_wait_dscnt 0x0
	v_add_nc_u32_e32 v44, v44, v91
	s_delay_alu instid0(VALU_DEP_1) | instskip(NEXT) | instid1(VALU_DEP_1)
	v_lshlrev_b64_e32 v[44:45], 3, v[44:45]
	v_add_co_u32 v44, s28, s40, v44
	s_wait_alu 0xf1ff
	s_delay_alu instid0(VALU_DEP_2)
	v_add_co_ci_u32_e64 v45, null, s41, v45, s28
	global_store_b64 v[44:45], v[36:37], off
	s_wait_alu 0xfffe
	s_or_b32 exec_lo, exec_lo, s29
	v_cmp_lt_u32_e64 s28, v92, v162
	s_and_saveexec_b32 s30, s28
	s_cbranch_execz .LBB710_1067
.LBB710_1135:                           ;   in Loop: Header=BB710_974 Depth=2
	ds_load_b64 v[36:37], v108 offset:29696
	s_wait_dscnt 0x0
	v_lshrrev_b64 v[44:45], s31, v[36:37]
	v_xor_b32_e32 v37, 0x7fffffff, v37
	v_not_b32_e32 v36, v36
	s_delay_alu instid0(VALU_DEP_3) | instskip(NEXT) | instid1(VALU_DEP_1)
	v_dual_mov_b32 v45, v2 :: v_dual_and_b32 v44, s54, v44
	v_lshlrev_b32_e32 v44, 2, v44
	ds_load_b32 v44, v44
	s_wait_dscnt 0x0
	v_add_nc_u32_e32 v44, v44, v92
	s_delay_alu instid0(VALU_DEP_1) | instskip(NEXT) | instid1(VALU_DEP_1)
	v_lshlrev_b64_e32 v[44:45], 3, v[44:45]
	v_add_co_u32 v44, s29, s40, v44
	s_wait_alu 0xf1ff
	s_delay_alu instid0(VALU_DEP_2)
	v_add_co_ci_u32_e64 v45, null, s41, v45, s29
	global_store_b64 v[44:45], v[36:37], off
	s_wait_alu 0xfffe
	s_or_b32 exec_lo, exec_lo, s30
	v_cmp_lt_u32_e64 s29, v93, v162
	s_and_saveexec_b32 s57, s29
	s_cbranch_execnz .LBB710_1068
	s_branch .LBB710_1069
.LBB710_1136:                           ;   in Loop: Header=BB710_974 Depth=2
	global_load_b64 v[34:35], v[36:37], off
	s_wait_alu 0xfffe
	s_or_b32 exec_lo, exec_lo, s30
	s_delay_alu instid0(SALU_CYCLE_1)
	s_mov_b32 s34, exec_lo
	v_cmpx_lt_u32_e64 v128, v162
	s_cbranch_execz .LBB710_1071
.LBB710_1137:                           ;   in Loop: Header=BB710_974 Depth=2
	global_load_b64 v[32:33], v[36:37], off offset:256
	s_wait_alu 0xfffe
	s_or_b32 exec_lo, exec_lo, s34
	s_delay_alu instid0(SALU_CYCLE_1)
	s_mov_b32 s34, exec_lo
	v_cmpx_lt_u32_e64 v129, v162
	s_cbranch_execz .LBB710_1072
.LBB710_1138:                           ;   in Loop: Header=BB710_974 Depth=2
	global_load_b64 v[30:31], v[36:37], off offset:512
	s_wait_alu 0xfffe
	s_or_b32 exec_lo, exec_lo, s34
	s_delay_alu instid0(SALU_CYCLE_1)
	s_mov_b32 s34, exec_lo
	v_cmpx_lt_u32_e64 v130, v162
	s_cbranch_execz .LBB710_1073
.LBB710_1139:                           ;   in Loop: Header=BB710_974 Depth=2
	global_load_b64 v[28:29], v[36:37], off offset:768
	s_wait_alu 0xfffe
	s_or_b32 exec_lo, exec_lo, s34
	s_delay_alu instid0(SALU_CYCLE_1)
	s_mov_b32 s34, exec_lo
	v_cmpx_lt_u32_e64 v131, v162
	s_cbranch_execz .LBB710_1074
.LBB710_1140:                           ;   in Loop: Header=BB710_974 Depth=2
	global_load_b64 v[26:27], v[36:37], off offset:1024
	s_wait_alu 0xfffe
	s_or_b32 exec_lo, exec_lo, s34
	s_delay_alu instid0(SALU_CYCLE_1)
	s_mov_b32 s34, exec_lo
	v_cmpx_lt_u32_e64 v132, v162
	s_cbranch_execz .LBB710_1075
.LBB710_1141:                           ;   in Loop: Header=BB710_974 Depth=2
	global_load_b64 v[24:25], v[36:37], off offset:1280
	s_wait_alu 0xfffe
	s_or_b32 exec_lo, exec_lo, s34
	s_delay_alu instid0(SALU_CYCLE_1)
	s_mov_b32 s34, exec_lo
	v_cmpx_lt_u32_e64 v133, v162
	s_cbranch_execz .LBB710_1076
.LBB710_1142:                           ;   in Loop: Header=BB710_974 Depth=2
	global_load_b64 v[22:23], v[36:37], off offset:1536
	s_wait_alu 0xfffe
	s_or_b32 exec_lo, exec_lo, s34
	s_delay_alu instid0(SALU_CYCLE_1)
	s_mov_b32 s34, exec_lo
	v_cmpx_lt_u32_e64 v134, v162
	s_cbranch_execz .LBB710_1077
.LBB710_1143:                           ;   in Loop: Header=BB710_974 Depth=2
	global_load_b64 v[20:21], v[36:37], off offset:1792
	s_wait_alu 0xfffe
	s_or_b32 exec_lo, exec_lo, s34
	s_delay_alu instid0(SALU_CYCLE_1)
	s_mov_b32 s34, exec_lo
	v_cmpx_lt_u32_e64 v135, v162
	s_cbranch_execz .LBB710_1078
.LBB710_1144:                           ;   in Loop: Header=BB710_974 Depth=2
	global_load_b64 v[18:19], v[36:37], off offset:2048
	s_wait_alu 0xfffe
	s_or_b32 exec_lo, exec_lo, s34
	s_delay_alu instid0(SALU_CYCLE_1)
	s_mov_b32 s34, exec_lo
	v_cmpx_lt_u32_e64 v136, v162
	s_cbranch_execz .LBB710_1079
.LBB710_1145:                           ;   in Loop: Header=BB710_974 Depth=2
	global_load_b64 v[16:17], v[36:37], off offset:2304
	s_wait_alu 0xfffe
	s_or_b32 exec_lo, exec_lo, s34
	s_delay_alu instid0(SALU_CYCLE_1)
	s_mov_b32 s34, exec_lo
	v_cmpx_lt_u32_e64 v137, v162
	s_cbranch_execz .LBB710_1080
.LBB710_1146:                           ;   in Loop: Header=BB710_974 Depth=2
	global_load_b64 v[14:15], v[36:37], off offset:2560
	s_wait_alu 0xfffe
	s_or_b32 exec_lo, exec_lo, s34
	s_delay_alu instid0(SALU_CYCLE_1)
	s_mov_b32 s34, exec_lo
	v_cmpx_lt_u32_e64 v138, v162
	s_cbranch_execz .LBB710_1081
.LBB710_1147:                           ;   in Loop: Header=BB710_974 Depth=2
	global_load_b64 v[12:13], v[36:37], off offset:2816
	s_wait_alu 0xfffe
	s_or_b32 exec_lo, exec_lo, s34
	s_delay_alu instid0(SALU_CYCLE_1)
	s_mov_b32 s34, exec_lo
	v_cmpx_lt_u32_e64 v139, v162
	s_cbranch_execz .LBB710_1082
.LBB710_1148:                           ;   in Loop: Header=BB710_974 Depth=2
	global_load_b64 v[10:11], v[36:37], off offset:3072
	s_wait_alu 0xfffe
	s_or_b32 exec_lo, exec_lo, s34
	s_delay_alu instid0(SALU_CYCLE_1)
	s_mov_b32 s34, exec_lo
	v_cmpx_lt_u32_e64 v140, v162
	s_cbranch_execz .LBB710_1083
.LBB710_1149:                           ;   in Loop: Header=BB710_974 Depth=2
	global_load_b64 v[8:9], v[36:37], off offset:3328
	s_wait_alu 0xfffe
	s_or_b32 exec_lo, exec_lo, s34
	s_delay_alu instid0(SALU_CYCLE_1)
	s_mov_b32 s34, exec_lo
	v_cmpx_lt_u32_e64 v141, v162
	s_cbranch_execz .LBB710_1084
.LBB710_1150:                           ;   in Loop: Header=BB710_974 Depth=2
	global_load_b64 v[6:7], v[36:37], off offset:3584
	s_wait_alu 0xfffe
	s_or_b32 exec_lo, exec_lo, s34
	s_delay_alu instid0(SALU_CYCLE_1)
	s_mov_b32 s34, exec_lo
	v_cmpx_lt_u32_e64 v142, v162
	s_cbranch_execz .LBB710_1085
.LBB710_1151:                           ;   in Loop: Header=BB710_974 Depth=2
	global_load_b64 v[4:5], v[36:37], off offset:3840
	s_wait_alu 0xfffe
	s_or_b32 exec_lo, exec_lo, s34
	s_and_saveexec_b32 s30, vcc_lo
	s_cbranch_execz .LBB710_1086
.LBB710_1152:                           ;   in Loop: Header=BB710_974 Depth=2
	ds_load_b64 v[36:37], v108 offset:1024
	s_wait_dscnt 0x0
	v_lshrrev_b64 v[36:37], s31, v[36:37]
	s_delay_alu instid0(VALU_DEP_1)
	v_and_b32_e32 v161, s54, v36
	s_wait_alu 0xfffe
	s_or_b32 exec_lo, exec_lo, s30
	s_and_saveexec_b32 s30, s15
	s_cbranch_execz .LBB710_1087
.LBB710_1153:                           ;   in Loop: Header=BB710_974 Depth=2
	ds_load_b64 v[36:37], v108 offset:3072
	s_wait_dscnt 0x0
	v_lshrrev_b64 v[36:37], s31, v[36:37]
	s_delay_alu instid0(VALU_DEP_1)
	v_and_b32_e32 v160, s54, v36
	s_wait_alu 0xfffe
	s_or_b32 exec_lo, exec_lo, s30
	s_and_saveexec_b32 s30, s16
	s_cbranch_execz .LBB710_1088
.LBB710_1154:                           ;   in Loop: Header=BB710_974 Depth=2
	ds_load_b64 v[36:37], v108 offset:5120
	s_wait_dscnt 0x0
	v_lshrrev_b64 v[36:37], s31, v[36:37]
	s_delay_alu instid0(VALU_DEP_1)
	v_and_b32_e32 v159, s54, v36
	s_wait_alu 0xfffe
	s_or_b32 exec_lo, exec_lo, s30
	s_and_saveexec_b32 s30, s17
	s_cbranch_execz .LBB710_1089
.LBB710_1155:                           ;   in Loop: Header=BB710_974 Depth=2
	ds_load_b64 v[36:37], v108 offset:7168
	s_wait_dscnt 0x0
	v_lshrrev_b64 v[36:37], s31, v[36:37]
	s_delay_alu instid0(VALU_DEP_1)
	v_and_b32_e32 v158, s54, v36
	s_wait_alu 0xfffe
	s_or_b32 exec_lo, exec_lo, s30
	s_and_saveexec_b32 s30, s18
	s_cbranch_execz .LBB710_1090
.LBB710_1156:                           ;   in Loop: Header=BB710_974 Depth=2
	ds_load_b64 v[36:37], v108 offset:9216
	s_wait_dscnt 0x0
	v_lshrrev_b64 v[36:37], s31, v[36:37]
	s_delay_alu instid0(VALU_DEP_1)
	v_and_b32_e32 v157, s54, v36
	s_wait_alu 0xfffe
	s_or_b32 exec_lo, exec_lo, s30
	s_and_saveexec_b32 s30, s19
	s_cbranch_execz .LBB710_1091
.LBB710_1157:                           ;   in Loop: Header=BB710_974 Depth=2
	ds_load_b64 v[36:37], v108 offset:11264
	s_wait_dscnt 0x0
	v_lshrrev_b64 v[36:37], s31, v[36:37]
	s_delay_alu instid0(VALU_DEP_1)
	v_and_b32_e32 v156, s54, v36
	s_wait_alu 0xfffe
	s_or_b32 exec_lo, exec_lo, s30
	s_and_saveexec_b32 s30, s20
	s_cbranch_execz .LBB710_1092
.LBB710_1158:                           ;   in Loop: Header=BB710_974 Depth=2
	ds_load_b64 v[36:37], v108 offset:13312
	s_wait_dscnt 0x0
	v_lshrrev_b64 v[36:37], s31, v[36:37]
	s_delay_alu instid0(VALU_DEP_1)
	v_and_b32_e32 v155, s54, v36
	s_wait_alu 0xfffe
	s_or_b32 exec_lo, exec_lo, s30
	s_and_saveexec_b32 s30, s21
	s_cbranch_execz .LBB710_1093
.LBB710_1159:                           ;   in Loop: Header=BB710_974 Depth=2
	ds_load_b64 v[36:37], v108 offset:15360
	s_wait_dscnt 0x0
	v_lshrrev_b64 v[36:37], s31, v[36:37]
	s_delay_alu instid0(VALU_DEP_1)
	v_and_b32_e32 v154, s54, v36
	s_wait_alu 0xfffe
	s_or_b32 exec_lo, exec_lo, s30
	s_and_saveexec_b32 s30, s22
	s_cbranch_execz .LBB710_1094
.LBB710_1160:                           ;   in Loop: Header=BB710_974 Depth=2
	ds_load_b64 v[36:37], v108 offset:17408
	s_wait_dscnt 0x0
	v_lshrrev_b64 v[36:37], s31, v[36:37]
	s_delay_alu instid0(VALU_DEP_1)
	v_and_b32_e32 v153, s54, v36
	s_wait_alu 0xfffe
	s_or_b32 exec_lo, exec_lo, s30
	s_and_saveexec_b32 s30, s23
	s_cbranch_execz .LBB710_1095
.LBB710_1161:                           ;   in Loop: Header=BB710_974 Depth=2
	ds_load_b64 v[36:37], v108 offset:19456
	s_wait_dscnt 0x0
	v_lshrrev_b64 v[36:37], s31, v[36:37]
	s_delay_alu instid0(VALU_DEP_1)
	v_and_b32_e32 v152, s54, v36
	s_wait_alu 0xfffe
	s_or_b32 exec_lo, exec_lo, s30
	s_and_saveexec_b32 s30, s24
	s_cbranch_execz .LBB710_1096
.LBB710_1162:                           ;   in Loop: Header=BB710_974 Depth=2
	ds_load_b64 v[36:37], v108 offset:21504
	s_wait_dscnt 0x0
	v_lshrrev_b64 v[36:37], s31, v[36:37]
	s_delay_alu instid0(VALU_DEP_1)
	v_and_b32_e32 v151, s54, v36
	s_wait_alu 0xfffe
	s_or_b32 exec_lo, exec_lo, s30
	s_and_saveexec_b32 s30, s25
	s_cbranch_execz .LBB710_1097
.LBB710_1163:                           ;   in Loop: Header=BB710_974 Depth=2
	ds_load_b64 v[36:37], v108 offset:23552
	s_wait_dscnt 0x0
	v_lshrrev_b64 v[36:37], s31, v[36:37]
	s_delay_alu instid0(VALU_DEP_1)
	v_and_b32_e32 v150, s54, v36
	s_wait_alu 0xfffe
	s_or_b32 exec_lo, exec_lo, s30
	s_and_saveexec_b32 s30, s26
	s_cbranch_execz .LBB710_1098
.LBB710_1164:                           ;   in Loop: Header=BB710_974 Depth=2
	ds_load_b64 v[36:37], v108 offset:25600
	s_wait_dscnt 0x0
	v_lshrrev_b64 v[36:37], s31, v[36:37]
	s_delay_alu instid0(VALU_DEP_1)
	v_and_b32_e32 v149, s54, v36
	s_wait_alu 0xfffe
	s_or_b32 exec_lo, exec_lo, s30
	s_and_saveexec_b32 s30, s27
	s_cbranch_execz .LBB710_1099
.LBB710_1165:                           ;   in Loop: Header=BB710_974 Depth=2
	ds_load_b64 v[36:37], v108 offset:27648
	s_wait_dscnt 0x0
	v_lshrrev_b64 v[36:37], s31, v[36:37]
	s_delay_alu instid0(VALU_DEP_1)
	v_and_b32_e32 v148, s54, v36
	s_wait_alu 0xfffe
	s_or_b32 exec_lo, exec_lo, s30
	s_and_saveexec_b32 s30, s28
	s_cbranch_execz .LBB710_1100
.LBB710_1166:                           ;   in Loop: Header=BB710_974 Depth=2
	ds_load_b64 v[36:37], v108 offset:29696
	s_wait_dscnt 0x0
	v_lshrrev_b64 v[36:37], s31, v[36:37]
	s_delay_alu instid0(VALU_DEP_1)
	v_and_b32_e32 v147, s54, v36
	s_wait_alu 0xfffe
	s_or_b32 exec_lo, exec_lo, s30
	s_and_saveexec_b32 s30, s29
	s_cbranch_execnz .LBB710_1101
	s_branch .LBB710_1102
.LBB710_1167:                           ;   in Loop: Header=BB710_974 Depth=2
	v_dual_mov_b32 v39, v2 :: v_dual_lshlrev_b32 v36, 2, v161
	ds_load_b32 v38, v36
	ds_load_b64 v[36:37], v108 offset:1024
	s_wait_dscnt 0x1
	v_add_nc_u32_e32 v38, v38, v1
	s_delay_alu instid0(VALU_DEP_1) | instskip(NEXT) | instid1(VALU_DEP_1)
	v_lshlrev_b64_e32 v[38:39], 3, v[38:39]
	v_add_co_u32 v38, vcc_lo, s46, v38
	s_wait_alu 0xfffd
	s_delay_alu instid0(VALU_DEP_2)
	v_add_co_ci_u32_e64 v39, null, s47, v39, vcc_lo
	s_wait_dscnt 0x0
	global_store_b64 v[38:39], v[36:37], off
	s_wait_alu 0xfffe
	s_or_b32 exec_lo, exec_lo, s30
	s_and_saveexec_b32 s30, s15
	s_cbranch_execz .LBB710_1104
.LBB710_1168:                           ;   in Loop: Header=BB710_974 Depth=2
	v_dual_mov_b32 v39, v2 :: v_dual_lshlrev_b32 v36, 2, v160
	ds_load_b32 v38, v36
	ds_load_b64 v[36:37], v108 offset:3072
	s_wait_dscnt 0x1
	v_add_nc_u32_e32 v38, v38, v77
	s_delay_alu instid0(VALU_DEP_1) | instskip(NEXT) | instid1(VALU_DEP_1)
	v_lshlrev_b64_e32 v[38:39], 3, v[38:39]
	v_add_co_u32 v38, vcc_lo, s46, v38
	s_wait_alu 0xfffd
	s_delay_alu instid0(VALU_DEP_2)
	v_add_co_ci_u32_e64 v39, null, s47, v39, vcc_lo
	s_wait_dscnt 0x0
	global_store_b64 v[38:39], v[36:37], off
	s_wait_alu 0xfffe
	s_or_b32 exec_lo, exec_lo, s30
	s_and_saveexec_b32 s15, s16
	s_cbranch_execz .LBB710_1105
.LBB710_1169:                           ;   in Loop: Header=BB710_974 Depth=2
	v_dual_mov_b32 v39, v2 :: v_dual_lshlrev_b32 v36, 2, v159
	ds_load_b32 v38, v36
	ds_load_b64 v[36:37], v108 offset:5120
	s_wait_dscnt 0x1
	v_add_nc_u32_e32 v38, v38, v78
	s_delay_alu instid0(VALU_DEP_1) | instskip(NEXT) | instid1(VALU_DEP_1)
	v_lshlrev_b64_e32 v[38:39], 3, v[38:39]
	v_add_co_u32 v38, vcc_lo, s46, v38
	s_wait_alu 0xfffd
	s_delay_alu instid0(VALU_DEP_2)
	v_add_co_ci_u32_e64 v39, null, s47, v39, vcc_lo
	s_wait_dscnt 0x0
	global_store_b64 v[38:39], v[36:37], off
	s_wait_alu 0xfffe
	s_or_b32 exec_lo, exec_lo, s15
	s_and_saveexec_b32 s15, s17
	s_cbranch_execz .LBB710_1106
.LBB710_1170:                           ;   in Loop: Header=BB710_974 Depth=2
	v_dual_mov_b32 v39, v2 :: v_dual_lshlrev_b32 v36, 2, v158
	ds_load_b32 v38, v36
	ds_load_b64 v[36:37], v108 offset:7168
	s_wait_dscnt 0x1
	v_add_nc_u32_e32 v38, v38, v79
	s_delay_alu instid0(VALU_DEP_1) | instskip(NEXT) | instid1(VALU_DEP_1)
	v_lshlrev_b64_e32 v[38:39], 3, v[38:39]
	v_add_co_u32 v38, vcc_lo, s46, v38
	s_wait_alu 0xfffd
	s_delay_alu instid0(VALU_DEP_2)
	v_add_co_ci_u32_e64 v39, null, s47, v39, vcc_lo
	s_wait_dscnt 0x0
	global_store_b64 v[38:39], v[36:37], off
	s_wait_alu 0xfffe
	s_or_b32 exec_lo, exec_lo, s15
	s_and_saveexec_b32 s15, s18
	s_cbranch_execz .LBB710_1107
.LBB710_1171:                           ;   in Loop: Header=BB710_974 Depth=2
	v_dual_mov_b32 v39, v2 :: v_dual_lshlrev_b32 v36, 2, v157
	ds_load_b32 v38, v36
	ds_load_b64 v[36:37], v108 offset:9216
	s_wait_dscnt 0x1
	v_add_nc_u32_e32 v38, v38, v82
	s_delay_alu instid0(VALU_DEP_1) | instskip(NEXT) | instid1(VALU_DEP_1)
	v_lshlrev_b64_e32 v[38:39], 3, v[38:39]
	v_add_co_u32 v38, vcc_lo, s46, v38
	s_wait_alu 0xfffd
	s_delay_alu instid0(VALU_DEP_2)
	v_add_co_ci_u32_e64 v39, null, s47, v39, vcc_lo
	s_wait_dscnt 0x0
	global_store_b64 v[38:39], v[36:37], off
	s_wait_alu 0xfffe
	s_or_b32 exec_lo, exec_lo, s15
	s_and_saveexec_b32 s15, s19
	s_cbranch_execz .LBB710_1108
.LBB710_1172:                           ;   in Loop: Header=BB710_974 Depth=2
	v_dual_mov_b32 v39, v2 :: v_dual_lshlrev_b32 v36, 2, v156
	ds_load_b32 v38, v36
	ds_load_b64 v[36:37], v108 offset:11264
	s_wait_dscnt 0x1
	v_add_nc_u32_e32 v38, v38, v83
	s_delay_alu instid0(VALU_DEP_1) | instskip(NEXT) | instid1(VALU_DEP_1)
	v_lshlrev_b64_e32 v[38:39], 3, v[38:39]
	v_add_co_u32 v38, vcc_lo, s46, v38
	s_wait_alu 0xfffd
	s_delay_alu instid0(VALU_DEP_2)
	v_add_co_ci_u32_e64 v39, null, s47, v39, vcc_lo
	s_wait_dscnt 0x0
	global_store_b64 v[38:39], v[36:37], off
	s_wait_alu 0xfffe
	s_or_b32 exec_lo, exec_lo, s15
	s_and_saveexec_b32 s15, s20
	s_cbranch_execz .LBB710_1109
.LBB710_1173:                           ;   in Loop: Header=BB710_974 Depth=2
	v_dual_mov_b32 v39, v2 :: v_dual_lshlrev_b32 v36, 2, v155
	ds_load_b32 v38, v36
	ds_load_b64 v[36:37], v108 offset:13312
	s_wait_dscnt 0x1
	v_add_nc_u32_e32 v38, v38, v84
	s_delay_alu instid0(VALU_DEP_1) | instskip(NEXT) | instid1(VALU_DEP_1)
	v_lshlrev_b64_e32 v[38:39], 3, v[38:39]
	v_add_co_u32 v38, vcc_lo, s46, v38
	s_wait_alu 0xfffd
	s_delay_alu instid0(VALU_DEP_2)
	v_add_co_ci_u32_e64 v39, null, s47, v39, vcc_lo
	s_wait_dscnt 0x0
	global_store_b64 v[38:39], v[36:37], off
	s_wait_alu 0xfffe
	s_or_b32 exec_lo, exec_lo, s15
	s_and_saveexec_b32 s15, s21
	s_cbranch_execz .LBB710_1110
.LBB710_1174:                           ;   in Loop: Header=BB710_974 Depth=2
	v_dual_mov_b32 v39, v2 :: v_dual_lshlrev_b32 v36, 2, v154
	ds_load_b32 v38, v36
	ds_load_b64 v[36:37], v108 offset:15360
	s_wait_dscnt 0x1
	v_add_nc_u32_e32 v38, v38, v85
	s_delay_alu instid0(VALU_DEP_1) | instskip(NEXT) | instid1(VALU_DEP_1)
	v_lshlrev_b64_e32 v[38:39], 3, v[38:39]
	v_add_co_u32 v38, vcc_lo, s46, v38
	s_wait_alu 0xfffd
	s_delay_alu instid0(VALU_DEP_2)
	v_add_co_ci_u32_e64 v39, null, s47, v39, vcc_lo
	s_wait_dscnt 0x0
	global_store_b64 v[38:39], v[36:37], off
	s_wait_alu 0xfffe
	s_or_b32 exec_lo, exec_lo, s15
	s_and_saveexec_b32 s15, s22
	s_cbranch_execz .LBB710_1111
.LBB710_1175:                           ;   in Loop: Header=BB710_974 Depth=2
	v_dual_mov_b32 v39, v2 :: v_dual_lshlrev_b32 v36, 2, v153
	ds_load_b32 v38, v36
	ds_load_b64 v[36:37], v108 offset:17408
	s_wait_dscnt 0x1
	v_add_nc_u32_e32 v38, v38, v86
	s_delay_alu instid0(VALU_DEP_1) | instskip(NEXT) | instid1(VALU_DEP_1)
	v_lshlrev_b64_e32 v[38:39], 3, v[38:39]
	v_add_co_u32 v38, vcc_lo, s46, v38
	s_wait_alu 0xfffd
	s_delay_alu instid0(VALU_DEP_2)
	v_add_co_ci_u32_e64 v39, null, s47, v39, vcc_lo
	s_wait_dscnt 0x0
	global_store_b64 v[38:39], v[36:37], off
	s_wait_alu 0xfffe
	s_or_b32 exec_lo, exec_lo, s15
	s_and_saveexec_b32 s15, s23
	s_cbranch_execz .LBB710_1112
.LBB710_1176:                           ;   in Loop: Header=BB710_974 Depth=2
	v_dual_mov_b32 v39, v2 :: v_dual_lshlrev_b32 v36, 2, v152
	ds_load_b32 v38, v36
	ds_load_b64 v[36:37], v108 offset:19456
	s_wait_dscnt 0x1
	v_add_nc_u32_e32 v38, v38, v87
	s_delay_alu instid0(VALU_DEP_1) | instskip(NEXT) | instid1(VALU_DEP_1)
	v_lshlrev_b64_e32 v[38:39], 3, v[38:39]
	v_add_co_u32 v38, vcc_lo, s46, v38
	s_wait_alu 0xfffd
	s_delay_alu instid0(VALU_DEP_2)
	v_add_co_ci_u32_e64 v39, null, s47, v39, vcc_lo
	s_wait_dscnt 0x0
	global_store_b64 v[38:39], v[36:37], off
	s_wait_alu 0xfffe
	s_or_b32 exec_lo, exec_lo, s15
	s_and_saveexec_b32 s15, s24
	s_cbranch_execz .LBB710_1113
.LBB710_1177:                           ;   in Loop: Header=BB710_974 Depth=2
	v_dual_mov_b32 v39, v2 :: v_dual_lshlrev_b32 v36, 2, v151
	ds_load_b32 v38, v36
	ds_load_b64 v[36:37], v108 offset:21504
	s_wait_dscnt 0x1
	v_add_nc_u32_e32 v38, v38, v88
	s_delay_alu instid0(VALU_DEP_1) | instskip(NEXT) | instid1(VALU_DEP_1)
	v_lshlrev_b64_e32 v[38:39], 3, v[38:39]
	v_add_co_u32 v38, vcc_lo, s46, v38
	s_wait_alu 0xfffd
	s_delay_alu instid0(VALU_DEP_2)
	v_add_co_ci_u32_e64 v39, null, s47, v39, vcc_lo
	s_wait_dscnt 0x0
	global_store_b64 v[38:39], v[36:37], off
	s_wait_alu 0xfffe
	s_or_b32 exec_lo, exec_lo, s15
	s_and_saveexec_b32 s15, s25
	s_cbranch_execz .LBB710_1114
.LBB710_1178:                           ;   in Loop: Header=BB710_974 Depth=2
	v_dual_mov_b32 v39, v2 :: v_dual_lshlrev_b32 v36, 2, v150
	ds_load_b32 v38, v36
	ds_load_b64 v[36:37], v108 offset:23552
	s_wait_dscnt 0x1
	v_add_nc_u32_e32 v38, v38, v89
	s_delay_alu instid0(VALU_DEP_1) | instskip(NEXT) | instid1(VALU_DEP_1)
	v_lshlrev_b64_e32 v[38:39], 3, v[38:39]
	v_add_co_u32 v38, vcc_lo, s46, v38
	s_wait_alu 0xfffd
	s_delay_alu instid0(VALU_DEP_2)
	v_add_co_ci_u32_e64 v39, null, s47, v39, vcc_lo
	s_wait_dscnt 0x0
	global_store_b64 v[38:39], v[36:37], off
	s_wait_alu 0xfffe
	s_or_b32 exec_lo, exec_lo, s15
	s_and_saveexec_b32 s15, s26
	s_cbranch_execz .LBB710_1115
.LBB710_1179:                           ;   in Loop: Header=BB710_974 Depth=2
	v_dual_mov_b32 v39, v2 :: v_dual_lshlrev_b32 v36, 2, v149
	ds_load_b32 v38, v36
	ds_load_b64 v[36:37], v108 offset:25600
	s_wait_dscnt 0x1
	v_add_nc_u32_e32 v38, v38, v90
	s_delay_alu instid0(VALU_DEP_1) | instskip(NEXT) | instid1(VALU_DEP_1)
	v_lshlrev_b64_e32 v[38:39], 3, v[38:39]
	v_add_co_u32 v38, vcc_lo, s46, v38
	s_wait_alu 0xfffd
	s_delay_alu instid0(VALU_DEP_2)
	v_add_co_ci_u32_e64 v39, null, s47, v39, vcc_lo
	s_wait_dscnt 0x0
	global_store_b64 v[38:39], v[36:37], off
	s_wait_alu 0xfffe
	s_or_b32 exec_lo, exec_lo, s15
	s_and_saveexec_b32 s15, s27
	s_cbranch_execz .LBB710_1116
.LBB710_1180:                           ;   in Loop: Header=BB710_974 Depth=2
	v_dual_mov_b32 v39, v2 :: v_dual_lshlrev_b32 v36, 2, v148
	ds_load_b32 v38, v36
	ds_load_b64 v[36:37], v108 offset:27648
	s_wait_dscnt 0x1
	v_add_nc_u32_e32 v38, v38, v91
	s_delay_alu instid0(VALU_DEP_1) | instskip(NEXT) | instid1(VALU_DEP_1)
	v_lshlrev_b64_e32 v[38:39], 3, v[38:39]
	v_add_co_u32 v38, vcc_lo, s46, v38
	s_wait_alu 0xfffd
	s_delay_alu instid0(VALU_DEP_2)
	v_add_co_ci_u32_e64 v39, null, s47, v39, vcc_lo
	s_wait_dscnt 0x0
	global_store_b64 v[38:39], v[36:37], off
	s_wait_alu 0xfffe
	s_or_b32 exec_lo, exec_lo, s15
	s_and_saveexec_b32 s15, s28
	s_cbranch_execz .LBB710_1117
.LBB710_1181:                           ;   in Loop: Header=BB710_974 Depth=2
	v_dual_mov_b32 v39, v2 :: v_dual_lshlrev_b32 v36, 2, v147
	ds_load_b32 v38, v36
	ds_load_b64 v[36:37], v108 offset:29696
	s_wait_dscnt 0x1
	v_add_nc_u32_e32 v38, v38, v92
	s_delay_alu instid0(VALU_DEP_1) | instskip(NEXT) | instid1(VALU_DEP_1)
	v_lshlrev_b64_e32 v[38:39], 3, v[38:39]
	v_add_co_u32 v38, vcc_lo, s46, v38
	s_wait_alu 0xfffd
	s_delay_alu instid0(VALU_DEP_2)
	v_add_co_ci_u32_e64 v39, null, s47, v39, vcc_lo
	s_wait_dscnt 0x0
	global_store_b64 v[38:39], v[36:37], off
	s_wait_alu 0xfffe
	s_or_b32 exec_lo, exec_lo, s15
	s_and_saveexec_b32 s15, s29
	s_cbranch_execnz .LBB710_1118
	s_branch .LBB710_1119
.LBB710_1182:
	s_endpgm
	.section	.rodata,"a",@progbits
	.p2align	6, 0x0
	.amdhsa_kernel _ZN7rocprim17ROCPRIM_400000_NS6detail17trampoline_kernelINS0_14default_configENS1_36segmented_radix_sort_config_selectorIllEEZNS1_25segmented_radix_sort_implIS3_Lb1EPKlPlS8_S9_N2at6native12_GLOBAL__N_18offset_tEEE10hipError_tPvRmT1_PNSt15iterator_traitsISH_E10value_typeET2_T3_PNSI_ISN_E10value_typeET4_jRbjT5_ST_jjP12ihipStream_tbEUlT_E_NS1_11comp_targetILNS1_3genE10ELNS1_11target_archE1201ELNS1_3gpuE5ELNS1_3repE0EEENS1_30default_config_static_selectorELNS0_4arch9wavefront6targetE0EEEvSH_
		.amdhsa_group_segment_fixed_size 33824
		.amdhsa_private_segment_fixed_size 176
		.amdhsa_kernarg_size 352
		.amdhsa_user_sgpr_count 2
		.amdhsa_user_sgpr_dispatch_ptr 0
		.amdhsa_user_sgpr_queue_ptr 0
		.amdhsa_user_sgpr_kernarg_segment_ptr 1
		.amdhsa_user_sgpr_dispatch_id 0
		.amdhsa_user_sgpr_private_segment_size 0
		.amdhsa_wavefront_size32 1
		.amdhsa_uses_dynamic_stack 0
		.amdhsa_enable_private_segment 1
		.amdhsa_system_sgpr_workgroup_id_x 1
		.amdhsa_system_sgpr_workgroup_id_y 1
		.amdhsa_system_sgpr_workgroup_id_z 0
		.amdhsa_system_sgpr_workgroup_info 0
		.amdhsa_system_vgpr_workitem_id 2
		.amdhsa_next_free_vgpr 248
		.amdhsa_next_free_sgpr 60
		.amdhsa_reserve_vcc 1
		.amdhsa_float_round_mode_32 0
		.amdhsa_float_round_mode_16_64 0
		.amdhsa_float_denorm_mode_32 3
		.amdhsa_float_denorm_mode_16_64 3
		.amdhsa_fp16_overflow 0
		.amdhsa_workgroup_processor_mode 1
		.amdhsa_memory_ordered 1
		.amdhsa_forward_progress 1
		.amdhsa_inst_pref_size 255
		.amdhsa_round_robin_scheduling 0
		.amdhsa_exception_fp_ieee_invalid_op 0
		.amdhsa_exception_fp_denorm_src 0
		.amdhsa_exception_fp_ieee_div_zero 0
		.amdhsa_exception_fp_ieee_overflow 0
		.amdhsa_exception_fp_ieee_underflow 0
		.amdhsa_exception_fp_ieee_inexact 0
		.amdhsa_exception_int_div_zero 0
	.end_amdhsa_kernel
	.section	.text._ZN7rocprim17ROCPRIM_400000_NS6detail17trampoline_kernelINS0_14default_configENS1_36segmented_radix_sort_config_selectorIllEEZNS1_25segmented_radix_sort_implIS3_Lb1EPKlPlS8_S9_N2at6native12_GLOBAL__N_18offset_tEEE10hipError_tPvRmT1_PNSt15iterator_traitsISH_E10value_typeET2_T3_PNSI_ISN_E10value_typeET4_jRbjT5_ST_jjP12ihipStream_tbEUlT_E_NS1_11comp_targetILNS1_3genE10ELNS1_11target_archE1201ELNS1_3gpuE5ELNS1_3repE0EEENS1_30default_config_static_selectorELNS0_4arch9wavefront6targetE0EEEvSH_,"axG",@progbits,_ZN7rocprim17ROCPRIM_400000_NS6detail17trampoline_kernelINS0_14default_configENS1_36segmented_radix_sort_config_selectorIllEEZNS1_25segmented_radix_sort_implIS3_Lb1EPKlPlS8_S9_N2at6native12_GLOBAL__N_18offset_tEEE10hipError_tPvRmT1_PNSt15iterator_traitsISH_E10value_typeET2_T3_PNSI_ISN_E10value_typeET4_jRbjT5_ST_jjP12ihipStream_tbEUlT_E_NS1_11comp_targetILNS1_3genE10ELNS1_11target_archE1201ELNS1_3gpuE5ELNS1_3repE0EEENS1_30default_config_static_selectorELNS0_4arch9wavefront6targetE0EEEvSH_,comdat
.Lfunc_end710:
	.size	_ZN7rocprim17ROCPRIM_400000_NS6detail17trampoline_kernelINS0_14default_configENS1_36segmented_radix_sort_config_selectorIllEEZNS1_25segmented_radix_sort_implIS3_Lb1EPKlPlS8_S9_N2at6native12_GLOBAL__N_18offset_tEEE10hipError_tPvRmT1_PNSt15iterator_traitsISH_E10value_typeET2_T3_PNSI_ISN_E10value_typeET4_jRbjT5_ST_jjP12ihipStream_tbEUlT_E_NS1_11comp_targetILNS1_3genE10ELNS1_11target_archE1201ELNS1_3gpuE5ELNS1_3repE0EEENS1_30default_config_static_selectorELNS0_4arch9wavefront6targetE0EEEvSH_, .Lfunc_end710-_ZN7rocprim17ROCPRIM_400000_NS6detail17trampoline_kernelINS0_14default_configENS1_36segmented_radix_sort_config_selectorIllEEZNS1_25segmented_radix_sort_implIS3_Lb1EPKlPlS8_S9_N2at6native12_GLOBAL__N_18offset_tEEE10hipError_tPvRmT1_PNSt15iterator_traitsISH_E10value_typeET2_T3_PNSI_ISN_E10value_typeET4_jRbjT5_ST_jjP12ihipStream_tbEUlT_E_NS1_11comp_targetILNS1_3genE10ELNS1_11target_archE1201ELNS1_3gpuE5ELNS1_3repE0EEENS1_30default_config_static_selectorELNS0_4arch9wavefront6targetE0EEEvSH_
                                        ; -- End function
	.set _ZN7rocprim17ROCPRIM_400000_NS6detail17trampoline_kernelINS0_14default_configENS1_36segmented_radix_sort_config_selectorIllEEZNS1_25segmented_radix_sort_implIS3_Lb1EPKlPlS8_S9_N2at6native12_GLOBAL__N_18offset_tEEE10hipError_tPvRmT1_PNSt15iterator_traitsISH_E10value_typeET2_T3_PNSI_ISN_E10value_typeET4_jRbjT5_ST_jjP12ihipStream_tbEUlT_E_NS1_11comp_targetILNS1_3genE10ELNS1_11target_archE1201ELNS1_3gpuE5ELNS1_3repE0EEENS1_30default_config_static_selectorELNS0_4arch9wavefront6targetE0EEEvSH_.num_vgpr, max(217, .L_ZN7rocprim17ROCPRIM_400000_NS6detail40segmented_radix_sort_single_block_helperIllLj256ELj16ELb1EE4sortIPKlPlS6_S7_EEbT_T0_T1_T2_jjjjRNS3_12storage_typeE.num_vgpr)
	.set _ZN7rocprim17ROCPRIM_400000_NS6detail17trampoline_kernelINS0_14default_configENS1_36segmented_radix_sort_config_selectorIllEEZNS1_25segmented_radix_sort_implIS3_Lb1EPKlPlS8_S9_N2at6native12_GLOBAL__N_18offset_tEEE10hipError_tPvRmT1_PNSt15iterator_traitsISH_E10value_typeET2_T3_PNSI_ISN_E10value_typeET4_jRbjT5_ST_jjP12ihipStream_tbEUlT_E_NS1_11comp_targetILNS1_3genE10ELNS1_11target_archE1201ELNS1_3gpuE5ELNS1_3repE0EEENS1_30default_config_static_selectorELNS0_4arch9wavefront6targetE0EEEvSH_.num_agpr, max(0, .L_ZN7rocprim17ROCPRIM_400000_NS6detail40segmented_radix_sort_single_block_helperIllLj256ELj16ELb1EE4sortIPKlPlS6_S7_EEbT_T0_T1_T2_jjjjRNS3_12storage_typeE.num_agpr)
	.set _ZN7rocprim17ROCPRIM_400000_NS6detail17trampoline_kernelINS0_14default_configENS1_36segmented_radix_sort_config_selectorIllEEZNS1_25segmented_radix_sort_implIS3_Lb1EPKlPlS8_S9_N2at6native12_GLOBAL__N_18offset_tEEE10hipError_tPvRmT1_PNSt15iterator_traitsISH_E10value_typeET2_T3_PNSI_ISN_E10value_typeET4_jRbjT5_ST_jjP12ihipStream_tbEUlT_E_NS1_11comp_targetILNS1_3genE10ELNS1_11target_archE1201ELNS1_3gpuE5ELNS1_3repE0EEENS1_30default_config_static_selectorELNS0_4arch9wavefront6targetE0EEEvSH_.numbered_sgpr, max(60, .L_ZN7rocprim17ROCPRIM_400000_NS6detail40segmented_radix_sort_single_block_helperIllLj256ELj16ELb1EE4sortIPKlPlS6_S7_EEbT_T0_T1_T2_jjjjRNS3_12storage_typeE.numbered_sgpr)
	.set _ZN7rocprim17ROCPRIM_400000_NS6detail17trampoline_kernelINS0_14default_configENS1_36segmented_radix_sort_config_selectorIllEEZNS1_25segmented_radix_sort_implIS3_Lb1EPKlPlS8_S9_N2at6native12_GLOBAL__N_18offset_tEEE10hipError_tPvRmT1_PNSt15iterator_traitsISH_E10value_typeET2_T3_PNSI_ISN_E10value_typeET4_jRbjT5_ST_jjP12ihipStream_tbEUlT_E_NS1_11comp_targetILNS1_3genE10ELNS1_11target_archE1201ELNS1_3gpuE5ELNS1_3repE0EEENS1_30default_config_static_selectorELNS0_4arch9wavefront6targetE0EEEvSH_.num_named_barrier, max(0, .L_ZN7rocprim17ROCPRIM_400000_NS6detail40segmented_radix_sort_single_block_helperIllLj256ELj16ELb1EE4sortIPKlPlS6_S7_EEbT_T0_T1_T2_jjjjRNS3_12storage_typeE.num_named_barrier)
	.set _ZN7rocprim17ROCPRIM_400000_NS6detail17trampoline_kernelINS0_14default_configENS1_36segmented_radix_sort_config_selectorIllEEZNS1_25segmented_radix_sort_implIS3_Lb1EPKlPlS8_S9_N2at6native12_GLOBAL__N_18offset_tEEE10hipError_tPvRmT1_PNSt15iterator_traitsISH_E10value_typeET2_T3_PNSI_ISN_E10value_typeET4_jRbjT5_ST_jjP12ihipStream_tbEUlT_E_NS1_11comp_targetILNS1_3genE10ELNS1_11target_archE1201ELNS1_3gpuE5ELNS1_3repE0EEENS1_30default_config_static_selectorELNS0_4arch9wavefront6targetE0EEEvSH_.private_seg_size, 0+max(.L_ZN7rocprim17ROCPRIM_400000_NS6detail40segmented_radix_sort_single_block_helperIllLj256ELj16ELb1EE4sortIPKlPlS6_S7_EEbT_T0_T1_T2_jjjjRNS3_12storage_typeE.private_seg_size)
	.set _ZN7rocprim17ROCPRIM_400000_NS6detail17trampoline_kernelINS0_14default_configENS1_36segmented_radix_sort_config_selectorIllEEZNS1_25segmented_radix_sort_implIS3_Lb1EPKlPlS8_S9_N2at6native12_GLOBAL__N_18offset_tEEE10hipError_tPvRmT1_PNSt15iterator_traitsISH_E10value_typeET2_T3_PNSI_ISN_E10value_typeET4_jRbjT5_ST_jjP12ihipStream_tbEUlT_E_NS1_11comp_targetILNS1_3genE10ELNS1_11target_archE1201ELNS1_3gpuE5ELNS1_3repE0EEENS1_30default_config_static_selectorELNS0_4arch9wavefront6targetE0EEEvSH_.uses_vcc, or(1, .L_ZN7rocprim17ROCPRIM_400000_NS6detail40segmented_radix_sort_single_block_helperIllLj256ELj16ELb1EE4sortIPKlPlS6_S7_EEbT_T0_T1_T2_jjjjRNS3_12storage_typeE.uses_vcc)
	.set _ZN7rocprim17ROCPRIM_400000_NS6detail17trampoline_kernelINS0_14default_configENS1_36segmented_radix_sort_config_selectorIllEEZNS1_25segmented_radix_sort_implIS3_Lb1EPKlPlS8_S9_N2at6native12_GLOBAL__N_18offset_tEEE10hipError_tPvRmT1_PNSt15iterator_traitsISH_E10value_typeET2_T3_PNSI_ISN_E10value_typeET4_jRbjT5_ST_jjP12ihipStream_tbEUlT_E_NS1_11comp_targetILNS1_3genE10ELNS1_11target_archE1201ELNS1_3gpuE5ELNS1_3repE0EEENS1_30default_config_static_selectorELNS0_4arch9wavefront6targetE0EEEvSH_.uses_flat_scratch, or(0, .L_ZN7rocprim17ROCPRIM_400000_NS6detail40segmented_radix_sort_single_block_helperIllLj256ELj16ELb1EE4sortIPKlPlS6_S7_EEbT_T0_T1_T2_jjjjRNS3_12storage_typeE.uses_flat_scratch)
	.set _ZN7rocprim17ROCPRIM_400000_NS6detail17trampoline_kernelINS0_14default_configENS1_36segmented_radix_sort_config_selectorIllEEZNS1_25segmented_radix_sort_implIS3_Lb1EPKlPlS8_S9_N2at6native12_GLOBAL__N_18offset_tEEE10hipError_tPvRmT1_PNSt15iterator_traitsISH_E10value_typeET2_T3_PNSI_ISN_E10value_typeET4_jRbjT5_ST_jjP12ihipStream_tbEUlT_E_NS1_11comp_targetILNS1_3genE10ELNS1_11target_archE1201ELNS1_3gpuE5ELNS1_3repE0EEENS1_30default_config_static_selectorELNS0_4arch9wavefront6targetE0EEEvSH_.has_dyn_sized_stack, or(0, .L_ZN7rocprim17ROCPRIM_400000_NS6detail40segmented_radix_sort_single_block_helperIllLj256ELj16ELb1EE4sortIPKlPlS6_S7_EEbT_T0_T1_T2_jjjjRNS3_12storage_typeE.has_dyn_sized_stack)
	.set _ZN7rocprim17ROCPRIM_400000_NS6detail17trampoline_kernelINS0_14default_configENS1_36segmented_radix_sort_config_selectorIllEEZNS1_25segmented_radix_sort_implIS3_Lb1EPKlPlS8_S9_N2at6native12_GLOBAL__N_18offset_tEEE10hipError_tPvRmT1_PNSt15iterator_traitsISH_E10value_typeET2_T3_PNSI_ISN_E10value_typeET4_jRbjT5_ST_jjP12ihipStream_tbEUlT_E_NS1_11comp_targetILNS1_3genE10ELNS1_11target_archE1201ELNS1_3gpuE5ELNS1_3repE0EEENS1_30default_config_static_selectorELNS0_4arch9wavefront6targetE0EEEvSH_.has_recursion, or(0, .L_ZN7rocprim17ROCPRIM_400000_NS6detail40segmented_radix_sort_single_block_helperIllLj256ELj16ELb1EE4sortIPKlPlS6_S7_EEbT_T0_T1_T2_jjjjRNS3_12storage_typeE.has_recursion)
	.set _ZN7rocprim17ROCPRIM_400000_NS6detail17trampoline_kernelINS0_14default_configENS1_36segmented_radix_sort_config_selectorIllEEZNS1_25segmented_radix_sort_implIS3_Lb1EPKlPlS8_S9_N2at6native12_GLOBAL__N_18offset_tEEE10hipError_tPvRmT1_PNSt15iterator_traitsISH_E10value_typeET2_T3_PNSI_ISN_E10value_typeET4_jRbjT5_ST_jjP12ihipStream_tbEUlT_E_NS1_11comp_targetILNS1_3genE10ELNS1_11target_archE1201ELNS1_3gpuE5ELNS1_3repE0EEENS1_30default_config_static_selectorELNS0_4arch9wavefront6targetE0EEEvSH_.has_indirect_call, or(0, .L_ZN7rocprim17ROCPRIM_400000_NS6detail40segmented_radix_sort_single_block_helperIllLj256ELj16ELb1EE4sortIPKlPlS6_S7_EEbT_T0_T1_T2_jjjjRNS3_12storage_typeE.has_indirect_call)
	.section	.AMDGPU.csdata,"",@progbits
; Kernel info:
; codeLenInByte = 78156
; TotalNumSgprs: 62
; NumVgprs: 248
; ScratchSize: 176
; MemoryBound: 0
; FloatMode: 240
; IeeeMode: 1
; LDSByteSize: 33824 bytes/workgroup (compile time only)
; SGPRBlocks: 0
; VGPRBlocks: 30
; NumSGPRsForWavesPerEU: 62
; NumVGPRsForWavesPerEU: 248
; Occupancy: 5
; WaveLimiterHint : 1
; COMPUTE_PGM_RSRC2:SCRATCH_EN: 1
; COMPUTE_PGM_RSRC2:USER_SGPR: 2
; COMPUTE_PGM_RSRC2:TRAP_HANDLER: 0
; COMPUTE_PGM_RSRC2:TGID_X_EN: 1
; COMPUTE_PGM_RSRC2:TGID_Y_EN: 1
; COMPUTE_PGM_RSRC2:TGID_Z_EN: 0
; COMPUTE_PGM_RSRC2:TIDIG_COMP_CNT: 2
	.section	.text._ZN7rocprim17ROCPRIM_400000_NS6detail17trampoline_kernelINS0_14default_configENS1_36segmented_radix_sort_config_selectorIllEEZNS1_25segmented_radix_sort_implIS3_Lb1EPKlPlS8_S9_N2at6native12_GLOBAL__N_18offset_tEEE10hipError_tPvRmT1_PNSt15iterator_traitsISH_E10value_typeET2_T3_PNSI_ISN_E10value_typeET4_jRbjT5_ST_jjP12ihipStream_tbEUlT_E_NS1_11comp_targetILNS1_3genE10ELNS1_11target_archE1200ELNS1_3gpuE4ELNS1_3repE0EEENS1_30default_config_static_selectorELNS0_4arch9wavefront6targetE0EEEvSH_,"axG",@progbits,_ZN7rocprim17ROCPRIM_400000_NS6detail17trampoline_kernelINS0_14default_configENS1_36segmented_radix_sort_config_selectorIllEEZNS1_25segmented_radix_sort_implIS3_Lb1EPKlPlS8_S9_N2at6native12_GLOBAL__N_18offset_tEEE10hipError_tPvRmT1_PNSt15iterator_traitsISH_E10value_typeET2_T3_PNSI_ISN_E10value_typeET4_jRbjT5_ST_jjP12ihipStream_tbEUlT_E_NS1_11comp_targetILNS1_3genE10ELNS1_11target_archE1200ELNS1_3gpuE4ELNS1_3repE0EEENS1_30default_config_static_selectorELNS0_4arch9wavefront6targetE0EEEvSH_,comdat
	.globl	_ZN7rocprim17ROCPRIM_400000_NS6detail17trampoline_kernelINS0_14default_configENS1_36segmented_radix_sort_config_selectorIllEEZNS1_25segmented_radix_sort_implIS3_Lb1EPKlPlS8_S9_N2at6native12_GLOBAL__N_18offset_tEEE10hipError_tPvRmT1_PNSt15iterator_traitsISH_E10value_typeET2_T3_PNSI_ISN_E10value_typeET4_jRbjT5_ST_jjP12ihipStream_tbEUlT_E_NS1_11comp_targetILNS1_3genE10ELNS1_11target_archE1200ELNS1_3gpuE4ELNS1_3repE0EEENS1_30default_config_static_selectorELNS0_4arch9wavefront6targetE0EEEvSH_ ; -- Begin function _ZN7rocprim17ROCPRIM_400000_NS6detail17trampoline_kernelINS0_14default_configENS1_36segmented_radix_sort_config_selectorIllEEZNS1_25segmented_radix_sort_implIS3_Lb1EPKlPlS8_S9_N2at6native12_GLOBAL__N_18offset_tEEE10hipError_tPvRmT1_PNSt15iterator_traitsISH_E10value_typeET2_T3_PNSI_ISN_E10value_typeET4_jRbjT5_ST_jjP12ihipStream_tbEUlT_E_NS1_11comp_targetILNS1_3genE10ELNS1_11target_archE1200ELNS1_3gpuE4ELNS1_3repE0EEENS1_30default_config_static_selectorELNS0_4arch9wavefront6targetE0EEEvSH_
	.p2align	8
	.type	_ZN7rocprim17ROCPRIM_400000_NS6detail17trampoline_kernelINS0_14default_configENS1_36segmented_radix_sort_config_selectorIllEEZNS1_25segmented_radix_sort_implIS3_Lb1EPKlPlS8_S9_N2at6native12_GLOBAL__N_18offset_tEEE10hipError_tPvRmT1_PNSt15iterator_traitsISH_E10value_typeET2_T3_PNSI_ISN_E10value_typeET4_jRbjT5_ST_jjP12ihipStream_tbEUlT_E_NS1_11comp_targetILNS1_3genE10ELNS1_11target_archE1200ELNS1_3gpuE4ELNS1_3repE0EEENS1_30default_config_static_selectorELNS0_4arch9wavefront6targetE0EEEvSH_,@function
_ZN7rocprim17ROCPRIM_400000_NS6detail17trampoline_kernelINS0_14default_configENS1_36segmented_radix_sort_config_selectorIllEEZNS1_25segmented_radix_sort_implIS3_Lb1EPKlPlS8_S9_N2at6native12_GLOBAL__N_18offset_tEEE10hipError_tPvRmT1_PNSt15iterator_traitsISH_E10value_typeET2_T3_PNSI_ISN_E10value_typeET4_jRbjT5_ST_jjP12ihipStream_tbEUlT_E_NS1_11comp_targetILNS1_3genE10ELNS1_11target_archE1200ELNS1_3gpuE4ELNS1_3repE0EEENS1_30default_config_static_selectorELNS0_4arch9wavefront6targetE0EEEvSH_: ; @_ZN7rocprim17ROCPRIM_400000_NS6detail17trampoline_kernelINS0_14default_configENS1_36segmented_radix_sort_config_selectorIllEEZNS1_25segmented_radix_sort_implIS3_Lb1EPKlPlS8_S9_N2at6native12_GLOBAL__N_18offset_tEEE10hipError_tPvRmT1_PNSt15iterator_traitsISH_E10value_typeET2_T3_PNSI_ISN_E10value_typeET4_jRbjT5_ST_jjP12ihipStream_tbEUlT_E_NS1_11comp_targetILNS1_3genE10ELNS1_11target_archE1200ELNS1_3gpuE4ELNS1_3repE0EEENS1_30default_config_static_selectorELNS0_4arch9wavefront6targetE0EEEvSH_
; %bb.0:
	.section	.rodata,"a",@progbits
	.p2align	6, 0x0
	.amdhsa_kernel _ZN7rocprim17ROCPRIM_400000_NS6detail17trampoline_kernelINS0_14default_configENS1_36segmented_radix_sort_config_selectorIllEEZNS1_25segmented_radix_sort_implIS3_Lb1EPKlPlS8_S9_N2at6native12_GLOBAL__N_18offset_tEEE10hipError_tPvRmT1_PNSt15iterator_traitsISH_E10value_typeET2_T3_PNSI_ISN_E10value_typeET4_jRbjT5_ST_jjP12ihipStream_tbEUlT_E_NS1_11comp_targetILNS1_3genE10ELNS1_11target_archE1200ELNS1_3gpuE4ELNS1_3repE0EEENS1_30default_config_static_selectorELNS0_4arch9wavefront6targetE0EEEvSH_
		.amdhsa_group_segment_fixed_size 0
		.amdhsa_private_segment_fixed_size 0
		.amdhsa_kernarg_size 96
		.amdhsa_user_sgpr_count 2
		.amdhsa_user_sgpr_dispatch_ptr 0
		.amdhsa_user_sgpr_queue_ptr 0
		.amdhsa_user_sgpr_kernarg_segment_ptr 1
		.amdhsa_user_sgpr_dispatch_id 0
		.amdhsa_user_sgpr_private_segment_size 0
		.amdhsa_wavefront_size32 1
		.amdhsa_uses_dynamic_stack 0
		.amdhsa_enable_private_segment 0
		.amdhsa_system_sgpr_workgroup_id_x 1
		.amdhsa_system_sgpr_workgroup_id_y 0
		.amdhsa_system_sgpr_workgroup_id_z 0
		.amdhsa_system_sgpr_workgroup_info 0
		.amdhsa_system_vgpr_workitem_id 0
		.amdhsa_next_free_vgpr 1
		.amdhsa_next_free_sgpr 1
		.amdhsa_reserve_vcc 0
		.amdhsa_float_round_mode_32 0
		.amdhsa_float_round_mode_16_64 0
		.amdhsa_float_denorm_mode_32 3
		.amdhsa_float_denorm_mode_16_64 3
		.amdhsa_fp16_overflow 0
		.amdhsa_workgroup_processor_mode 1
		.amdhsa_memory_ordered 1
		.amdhsa_forward_progress 1
		.amdhsa_inst_pref_size 0
		.amdhsa_round_robin_scheduling 0
		.amdhsa_exception_fp_ieee_invalid_op 0
		.amdhsa_exception_fp_denorm_src 0
		.amdhsa_exception_fp_ieee_div_zero 0
		.amdhsa_exception_fp_ieee_overflow 0
		.amdhsa_exception_fp_ieee_underflow 0
		.amdhsa_exception_fp_ieee_inexact 0
		.amdhsa_exception_int_div_zero 0
	.end_amdhsa_kernel
	.section	.text._ZN7rocprim17ROCPRIM_400000_NS6detail17trampoline_kernelINS0_14default_configENS1_36segmented_radix_sort_config_selectorIllEEZNS1_25segmented_radix_sort_implIS3_Lb1EPKlPlS8_S9_N2at6native12_GLOBAL__N_18offset_tEEE10hipError_tPvRmT1_PNSt15iterator_traitsISH_E10value_typeET2_T3_PNSI_ISN_E10value_typeET4_jRbjT5_ST_jjP12ihipStream_tbEUlT_E_NS1_11comp_targetILNS1_3genE10ELNS1_11target_archE1200ELNS1_3gpuE4ELNS1_3repE0EEENS1_30default_config_static_selectorELNS0_4arch9wavefront6targetE0EEEvSH_,"axG",@progbits,_ZN7rocprim17ROCPRIM_400000_NS6detail17trampoline_kernelINS0_14default_configENS1_36segmented_radix_sort_config_selectorIllEEZNS1_25segmented_radix_sort_implIS3_Lb1EPKlPlS8_S9_N2at6native12_GLOBAL__N_18offset_tEEE10hipError_tPvRmT1_PNSt15iterator_traitsISH_E10value_typeET2_T3_PNSI_ISN_E10value_typeET4_jRbjT5_ST_jjP12ihipStream_tbEUlT_E_NS1_11comp_targetILNS1_3genE10ELNS1_11target_archE1200ELNS1_3gpuE4ELNS1_3repE0EEENS1_30default_config_static_selectorELNS0_4arch9wavefront6targetE0EEEvSH_,comdat
.Lfunc_end711:
	.size	_ZN7rocprim17ROCPRIM_400000_NS6detail17trampoline_kernelINS0_14default_configENS1_36segmented_radix_sort_config_selectorIllEEZNS1_25segmented_radix_sort_implIS3_Lb1EPKlPlS8_S9_N2at6native12_GLOBAL__N_18offset_tEEE10hipError_tPvRmT1_PNSt15iterator_traitsISH_E10value_typeET2_T3_PNSI_ISN_E10value_typeET4_jRbjT5_ST_jjP12ihipStream_tbEUlT_E_NS1_11comp_targetILNS1_3genE10ELNS1_11target_archE1200ELNS1_3gpuE4ELNS1_3repE0EEENS1_30default_config_static_selectorELNS0_4arch9wavefront6targetE0EEEvSH_, .Lfunc_end711-_ZN7rocprim17ROCPRIM_400000_NS6detail17trampoline_kernelINS0_14default_configENS1_36segmented_radix_sort_config_selectorIllEEZNS1_25segmented_radix_sort_implIS3_Lb1EPKlPlS8_S9_N2at6native12_GLOBAL__N_18offset_tEEE10hipError_tPvRmT1_PNSt15iterator_traitsISH_E10value_typeET2_T3_PNSI_ISN_E10value_typeET4_jRbjT5_ST_jjP12ihipStream_tbEUlT_E_NS1_11comp_targetILNS1_3genE10ELNS1_11target_archE1200ELNS1_3gpuE4ELNS1_3repE0EEENS1_30default_config_static_selectorELNS0_4arch9wavefront6targetE0EEEvSH_
                                        ; -- End function
	.set _ZN7rocprim17ROCPRIM_400000_NS6detail17trampoline_kernelINS0_14default_configENS1_36segmented_radix_sort_config_selectorIllEEZNS1_25segmented_radix_sort_implIS3_Lb1EPKlPlS8_S9_N2at6native12_GLOBAL__N_18offset_tEEE10hipError_tPvRmT1_PNSt15iterator_traitsISH_E10value_typeET2_T3_PNSI_ISN_E10value_typeET4_jRbjT5_ST_jjP12ihipStream_tbEUlT_E_NS1_11comp_targetILNS1_3genE10ELNS1_11target_archE1200ELNS1_3gpuE4ELNS1_3repE0EEENS1_30default_config_static_selectorELNS0_4arch9wavefront6targetE0EEEvSH_.num_vgpr, 0
	.set _ZN7rocprim17ROCPRIM_400000_NS6detail17trampoline_kernelINS0_14default_configENS1_36segmented_radix_sort_config_selectorIllEEZNS1_25segmented_radix_sort_implIS3_Lb1EPKlPlS8_S9_N2at6native12_GLOBAL__N_18offset_tEEE10hipError_tPvRmT1_PNSt15iterator_traitsISH_E10value_typeET2_T3_PNSI_ISN_E10value_typeET4_jRbjT5_ST_jjP12ihipStream_tbEUlT_E_NS1_11comp_targetILNS1_3genE10ELNS1_11target_archE1200ELNS1_3gpuE4ELNS1_3repE0EEENS1_30default_config_static_selectorELNS0_4arch9wavefront6targetE0EEEvSH_.num_agpr, 0
	.set _ZN7rocprim17ROCPRIM_400000_NS6detail17trampoline_kernelINS0_14default_configENS1_36segmented_radix_sort_config_selectorIllEEZNS1_25segmented_radix_sort_implIS3_Lb1EPKlPlS8_S9_N2at6native12_GLOBAL__N_18offset_tEEE10hipError_tPvRmT1_PNSt15iterator_traitsISH_E10value_typeET2_T3_PNSI_ISN_E10value_typeET4_jRbjT5_ST_jjP12ihipStream_tbEUlT_E_NS1_11comp_targetILNS1_3genE10ELNS1_11target_archE1200ELNS1_3gpuE4ELNS1_3repE0EEENS1_30default_config_static_selectorELNS0_4arch9wavefront6targetE0EEEvSH_.numbered_sgpr, 0
	.set _ZN7rocprim17ROCPRIM_400000_NS6detail17trampoline_kernelINS0_14default_configENS1_36segmented_radix_sort_config_selectorIllEEZNS1_25segmented_radix_sort_implIS3_Lb1EPKlPlS8_S9_N2at6native12_GLOBAL__N_18offset_tEEE10hipError_tPvRmT1_PNSt15iterator_traitsISH_E10value_typeET2_T3_PNSI_ISN_E10value_typeET4_jRbjT5_ST_jjP12ihipStream_tbEUlT_E_NS1_11comp_targetILNS1_3genE10ELNS1_11target_archE1200ELNS1_3gpuE4ELNS1_3repE0EEENS1_30default_config_static_selectorELNS0_4arch9wavefront6targetE0EEEvSH_.num_named_barrier, 0
	.set _ZN7rocprim17ROCPRIM_400000_NS6detail17trampoline_kernelINS0_14default_configENS1_36segmented_radix_sort_config_selectorIllEEZNS1_25segmented_radix_sort_implIS3_Lb1EPKlPlS8_S9_N2at6native12_GLOBAL__N_18offset_tEEE10hipError_tPvRmT1_PNSt15iterator_traitsISH_E10value_typeET2_T3_PNSI_ISN_E10value_typeET4_jRbjT5_ST_jjP12ihipStream_tbEUlT_E_NS1_11comp_targetILNS1_3genE10ELNS1_11target_archE1200ELNS1_3gpuE4ELNS1_3repE0EEENS1_30default_config_static_selectorELNS0_4arch9wavefront6targetE0EEEvSH_.private_seg_size, 0
	.set _ZN7rocprim17ROCPRIM_400000_NS6detail17trampoline_kernelINS0_14default_configENS1_36segmented_radix_sort_config_selectorIllEEZNS1_25segmented_radix_sort_implIS3_Lb1EPKlPlS8_S9_N2at6native12_GLOBAL__N_18offset_tEEE10hipError_tPvRmT1_PNSt15iterator_traitsISH_E10value_typeET2_T3_PNSI_ISN_E10value_typeET4_jRbjT5_ST_jjP12ihipStream_tbEUlT_E_NS1_11comp_targetILNS1_3genE10ELNS1_11target_archE1200ELNS1_3gpuE4ELNS1_3repE0EEENS1_30default_config_static_selectorELNS0_4arch9wavefront6targetE0EEEvSH_.uses_vcc, 0
	.set _ZN7rocprim17ROCPRIM_400000_NS6detail17trampoline_kernelINS0_14default_configENS1_36segmented_radix_sort_config_selectorIllEEZNS1_25segmented_radix_sort_implIS3_Lb1EPKlPlS8_S9_N2at6native12_GLOBAL__N_18offset_tEEE10hipError_tPvRmT1_PNSt15iterator_traitsISH_E10value_typeET2_T3_PNSI_ISN_E10value_typeET4_jRbjT5_ST_jjP12ihipStream_tbEUlT_E_NS1_11comp_targetILNS1_3genE10ELNS1_11target_archE1200ELNS1_3gpuE4ELNS1_3repE0EEENS1_30default_config_static_selectorELNS0_4arch9wavefront6targetE0EEEvSH_.uses_flat_scratch, 0
	.set _ZN7rocprim17ROCPRIM_400000_NS6detail17trampoline_kernelINS0_14default_configENS1_36segmented_radix_sort_config_selectorIllEEZNS1_25segmented_radix_sort_implIS3_Lb1EPKlPlS8_S9_N2at6native12_GLOBAL__N_18offset_tEEE10hipError_tPvRmT1_PNSt15iterator_traitsISH_E10value_typeET2_T3_PNSI_ISN_E10value_typeET4_jRbjT5_ST_jjP12ihipStream_tbEUlT_E_NS1_11comp_targetILNS1_3genE10ELNS1_11target_archE1200ELNS1_3gpuE4ELNS1_3repE0EEENS1_30default_config_static_selectorELNS0_4arch9wavefront6targetE0EEEvSH_.has_dyn_sized_stack, 0
	.set _ZN7rocprim17ROCPRIM_400000_NS6detail17trampoline_kernelINS0_14default_configENS1_36segmented_radix_sort_config_selectorIllEEZNS1_25segmented_radix_sort_implIS3_Lb1EPKlPlS8_S9_N2at6native12_GLOBAL__N_18offset_tEEE10hipError_tPvRmT1_PNSt15iterator_traitsISH_E10value_typeET2_T3_PNSI_ISN_E10value_typeET4_jRbjT5_ST_jjP12ihipStream_tbEUlT_E_NS1_11comp_targetILNS1_3genE10ELNS1_11target_archE1200ELNS1_3gpuE4ELNS1_3repE0EEENS1_30default_config_static_selectorELNS0_4arch9wavefront6targetE0EEEvSH_.has_recursion, 0
	.set _ZN7rocprim17ROCPRIM_400000_NS6detail17trampoline_kernelINS0_14default_configENS1_36segmented_radix_sort_config_selectorIllEEZNS1_25segmented_radix_sort_implIS3_Lb1EPKlPlS8_S9_N2at6native12_GLOBAL__N_18offset_tEEE10hipError_tPvRmT1_PNSt15iterator_traitsISH_E10value_typeET2_T3_PNSI_ISN_E10value_typeET4_jRbjT5_ST_jjP12ihipStream_tbEUlT_E_NS1_11comp_targetILNS1_3genE10ELNS1_11target_archE1200ELNS1_3gpuE4ELNS1_3repE0EEENS1_30default_config_static_selectorELNS0_4arch9wavefront6targetE0EEEvSH_.has_indirect_call, 0
	.section	.AMDGPU.csdata,"",@progbits
; Kernel info:
; codeLenInByte = 0
; TotalNumSgprs: 0
; NumVgprs: 0
; ScratchSize: 0
; MemoryBound: 0
; FloatMode: 240
; IeeeMode: 1
; LDSByteSize: 0 bytes/workgroup (compile time only)
; SGPRBlocks: 0
; VGPRBlocks: 0
; NumSGPRsForWavesPerEU: 1
; NumVGPRsForWavesPerEU: 1
; Occupancy: 16
; WaveLimiterHint : 0
; COMPUTE_PGM_RSRC2:SCRATCH_EN: 0
; COMPUTE_PGM_RSRC2:USER_SGPR: 2
; COMPUTE_PGM_RSRC2:TRAP_HANDLER: 0
; COMPUTE_PGM_RSRC2:TGID_X_EN: 1
; COMPUTE_PGM_RSRC2:TGID_Y_EN: 0
; COMPUTE_PGM_RSRC2:TGID_Z_EN: 0
; COMPUTE_PGM_RSRC2:TIDIG_COMP_CNT: 0
	.section	.text._ZN7rocprim17ROCPRIM_400000_NS6detail17trampoline_kernelINS0_14default_configENS1_36segmented_radix_sort_config_selectorIllEEZNS1_25segmented_radix_sort_implIS3_Lb1EPKlPlS8_S9_N2at6native12_GLOBAL__N_18offset_tEEE10hipError_tPvRmT1_PNSt15iterator_traitsISH_E10value_typeET2_T3_PNSI_ISN_E10value_typeET4_jRbjT5_ST_jjP12ihipStream_tbEUlT_E_NS1_11comp_targetILNS1_3genE9ELNS1_11target_archE1100ELNS1_3gpuE3ELNS1_3repE0EEENS1_30default_config_static_selectorELNS0_4arch9wavefront6targetE0EEEvSH_,"axG",@progbits,_ZN7rocprim17ROCPRIM_400000_NS6detail17trampoline_kernelINS0_14default_configENS1_36segmented_radix_sort_config_selectorIllEEZNS1_25segmented_radix_sort_implIS3_Lb1EPKlPlS8_S9_N2at6native12_GLOBAL__N_18offset_tEEE10hipError_tPvRmT1_PNSt15iterator_traitsISH_E10value_typeET2_T3_PNSI_ISN_E10value_typeET4_jRbjT5_ST_jjP12ihipStream_tbEUlT_E_NS1_11comp_targetILNS1_3genE9ELNS1_11target_archE1100ELNS1_3gpuE3ELNS1_3repE0EEENS1_30default_config_static_selectorELNS0_4arch9wavefront6targetE0EEEvSH_,comdat
	.globl	_ZN7rocprim17ROCPRIM_400000_NS6detail17trampoline_kernelINS0_14default_configENS1_36segmented_radix_sort_config_selectorIllEEZNS1_25segmented_radix_sort_implIS3_Lb1EPKlPlS8_S9_N2at6native12_GLOBAL__N_18offset_tEEE10hipError_tPvRmT1_PNSt15iterator_traitsISH_E10value_typeET2_T3_PNSI_ISN_E10value_typeET4_jRbjT5_ST_jjP12ihipStream_tbEUlT_E_NS1_11comp_targetILNS1_3genE9ELNS1_11target_archE1100ELNS1_3gpuE3ELNS1_3repE0EEENS1_30default_config_static_selectorELNS0_4arch9wavefront6targetE0EEEvSH_ ; -- Begin function _ZN7rocprim17ROCPRIM_400000_NS6detail17trampoline_kernelINS0_14default_configENS1_36segmented_radix_sort_config_selectorIllEEZNS1_25segmented_radix_sort_implIS3_Lb1EPKlPlS8_S9_N2at6native12_GLOBAL__N_18offset_tEEE10hipError_tPvRmT1_PNSt15iterator_traitsISH_E10value_typeET2_T3_PNSI_ISN_E10value_typeET4_jRbjT5_ST_jjP12ihipStream_tbEUlT_E_NS1_11comp_targetILNS1_3genE9ELNS1_11target_archE1100ELNS1_3gpuE3ELNS1_3repE0EEENS1_30default_config_static_selectorELNS0_4arch9wavefront6targetE0EEEvSH_
	.p2align	8
	.type	_ZN7rocprim17ROCPRIM_400000_NS6detail17trampoline_kernelINS0_14default_configENS1_36segmented_radix_sort_config_selectorIllEEZNS1_25segmented_radix_sort_implIS3_Lb1EPKlPlS8_S9_N2at6native12_GLOBAL__N_18offset_tEEE10hipError_tPvRmT1_PNSt15iterator_traitsISH_E10value_typeET2_T3_PNSI_ISN_E10value_typeET4_jRbjT5_ST_jjP12ihipStream_tbEUlT_E_NS1_11comp_targetILNS1_3genE9ELNS1_11target_archE1100ELNS1_3gpuE3ELNS1_3repE0EEENS1_30default_config_static_selectorELNS0_4arch9wavefront6targetE0EEEvSH_,@function
_ZN7rocprim17ROCPRIM_400000_NS6detail17trampoline_kernelINS0_14default_configENS1_36segmented_radix_sort_config_selectorIllEEZNS1_25segmented_radix_sort_implIS3_Lb1EPKlPlS8_S9_N2at6native12_GLOBAL__N_18offset_tEEE10hipError_tPvRmT1_PNSt15iterator_traitsISH_E10value_typeET2_T3_PNSI_ISN_E10value_typeET4_jRbjT5_ST_jjP12ihipStream_tbEUlT_E_NS1_11comp_targetILNS1_3genE9ELNS1_11target_archE1100ELNS1_3gpuE3ELNS1_3repE0EEENS1_30default_config_static_selectorELNS0_4arch9wavefront6targetE0EEEvSH_: ; @_ZN7rocprim17ROCPRIM_400000_NS6detail17trampoline_kernelINS0_14default_configENS1_36segmented_radix_sort_config_selectorIllEEZNS1_25segmented_radix_sort_implIS3_Lb1EPKlPlS8_S9_N2at6native12_GLOBAL__N_18offset_tEEE10hipError_tPvRmT1_PNSt15iterator_traitsISH_E10value_typeET2_T3_PNSI_ISN_E10value_typeET4_jRbjT5_ST_jjP12ihipStream_tbEUlT_E_NS1_11comp_targetILNS1_3genE9ELNS1_11target_archE1100ELNS1_3gpuE3ELNS1_3repE0EEENS1_30default_config_static_selectorELNS0_4arch9wavefront6targetE0EEEvSH_
; %bb.0:
	.section	.rodata,"a",@progbits
	.p2align	6, 0x0
	.amdhsa_kernel _ZN7rocprim17ROCPRIM_400000_NS6detail17trampoline_kernelINS0_14default_configENS1_36segmented_radix_sort_config_selectorIllEEZNS1_25segmented_radix_sort_implIS3_Lb1EPKlPlS8_S9_N2at6native12_GLOBAL__N_18offset_tEEE10hipError_tPvRmT1_PNSt15iterator_traitsISH_E10value_typeET2_T3_PNSI_ISN_E10value_typeET4_jRbjT5_ST_jjP12ihipStream_tbEUlT_E_NS1_11comp_targetILNS1_3genE9ELNS1_11target_archE1100ELNS1_3gpuE3ELNS1_3repE0EEENS1_30default_config_static_selectorELNS0_4arch9wavefront6targetE0EEEvSH_
		.amdhsa_group_segment_fixed_size 0
		.amdhsa_private_segment_fixed_size 0
		.amdhsa_kernarg_size 96
		.amdhsa_user_sgpr_count 2
		.amdhsa_user_sgpr_dispatch_ptr 0
		.amdhsa_user_sgpr_queue_ptr 0
		.amdhsa_user_sgpr_kernarg_segment_ptr 1
		.amdhsa_user_sgpr_dispatch_id 0
		.amdhsa_user_sgpr_private_segment_size 0
		.amdhsa_wavefront_size32 1
		.amdhsa_uses_dynamic_stack 0
		.amdhsa_enable_private_segment 0
		.amdhsa_system_sgpr_workgroup_id_x 1
		.amdhsa_system_sgpr_workgroup_id_y 0
		.amdhsa_system_sgpr_workgroup_id_z 0
		.amdhsa_system_sgpr_workgroup_info 0
		.amdhsa_system_vgpr_workitem_id 0
		.amdhsa_next_free_vgpr 1
		.amdhsa_next_free_sgpr 1
		.amdhsa_reserve_vcc 0
		.amdhsa_float_round_mode_32 0
		.amdhsa_float_round_mode_16_64 0
		.amdhsa_float_denorm_mode_32 3
		.amdhsa_float_denorm_mode_16_64 3
		.amdhsa_fp16_overflow 0
		.amdhsa_workgroup_processor_mode 1
		.amdhsa_memory_ordered 1
		.amdhsa_forward_progress 1
		.amdhsa_inst_pref_size 0
		.amdhsa_round_robin_scheduling 0
		.amdhsa_exception_fp_ieee_invalid_op 0
		.amdhsa_exception_fp_denorm_src 0
		.amdhsa_exception_fp_ieee_div_zero 0
		.amdhsa_exception_fp_ieee_overflow 0
		.amdhsa_exception_fp_ieee_underflow 0
		.amdhsa_exception_fp_ieee_inexact 0
		.amdhsa_exception_int_div_zero 0
	.end_amdhsa_kernel
	.section	.text._ZN7rocprim17ROCPRIM_400000_NS6detail17trampoline_kernelINS0_14default_configENS1_36segmented_radix_sort_config_selectorIllEEZNS1_25segmented_radix_sort_implIS3_Lb1EPKlPlS8_S9_N2at6native12_GLOBAL__N_18offset_tEEE10hipError_tPvRmT1_PNSt15iterator_traitsISH_E10value_typeET2_T3_PNSI_ISN_E10value_typeET4_jRbjT5_ST_jjP12ihipStream_tbEUlT_E_NS1_11comp_targetILNS1_3genE9ELNS1_11target_archE1100ELNS1_3gpuE3ELNS1_3repE0EEENS1_30default_config_static_selectorELNS0_4arch9wavefront6targetE0EEEvSH_,"axG",@progbits,_ZN7rocprim17ROCPRIM_400000_NS6detail17trampoline_kernelINS0_14default_configENS1_36segmented_radix_sort_config_selectorIllEEZNS1_25segmented_radix_sort_implIS3_Lb1EPKlPlS8_S9_N2at6native12_GLOBAL__N_18offset_tEEE10hipError_tPvRmT1_PNSt15iterator_traitsISH_E10value_typeET2_T3_PNSI_ISN_E10value_typeET4_jRbjT5_ST_jjP12ihipStream_tbEUlT_E_NS1_11comp_targetILNS1_3genE9ELNS1_11target_archE1100ELNS1_3gpuE3ELNS1_3repE0EEENS1_30default_config_static_selectorELNS0_4arch9wavefront6targetE0EEEvSH_,comdat
.Lfunc_end712:
	.size	_ZN7rocprim17ROCPRIM_400000_NS6detail17trampoline_kernelINS0_14default_configENS1_36segmented_radix_sort_config_selectorIllEEZNS1_25segmented_radix_sort_implIS3_Lb1EPKlPlS8_S9_N2at6native12_GLOBAL__N_18offset_tEEE10hipError_tPvRmT1_PNSt15iterator_traitsISH_E10value_typeET2_T3_PNSI_ISN_E10value_typeET4_jRbjT5_ST_jjP12ihipStream_tbEUlT_E_NS1_11comp_targetILNS1_3genE9ELNS1_11target_archE1100ELNS1_3gpuE3ELNS1_3repE0EEENS1_30default_config_static_selectorELNS0_4arch9wavefront6targetE0EEEvSH_, .Lfunc_end712-_ZN7rocprim17ROCPRIM_400000_NS6detail17trampoline_kernelINS0_14default_configENS1_36segmented_radix_sort_config_selectorIllEEZNS1_25segmented_radix_sort_implIS3_Lb1EPKlPlS8_S9_N2at6native12_GLOBAL__N_18offset_tEEE10hipError_tPvRmT1_PNSt15iterator_traitsISH_E10value_typeET2_T3_PNSI_ISN_E10value_typeET4_jRbjT5_ST_jjP12ihipStream_tbEUlT_E_NS1_11comp_targetILNS1_3genE9ELNS1_11target_archE1100ELNS1_3gpuE3ELNS1_3repE0EEENS1_30default_config_static_selectorELNS0_4arch9wavefront6targetE0EEEvSH_
                                        ; -- End function
	.set _ZN7rocprim17ROCPRIM_400000_NS6detail17trampoline_kernelINS0_14default_configENS1_36segmented_radix_sort_config_selectorIllEEZNS1_25segmented_radix_sort_implIS3_Lb1EPKlPlS8_S9_N2at6native12_GLOBAL__N_18offset_tEEE10hipError_tPvRmT1_PNSt15iterator_traitsISH_E10value_typeET2_T3_PNSI_ISN_E10value_typeET4_jRbjT5_ST_jjP12ihipStream_tbEUlT_E_NS1_11comp_targetILNS1_3genE9ELNS1_11target_archE1100ELNS1_3gpuE3ELNS1_3repE0EEENS1_30default_config_static_selectorELNS0_4arch9wavefront6targetE0EEEvSH_.num_vgpr, 0
	.set _ZN7rocprim17ROCPRIM_400000_NS6detail17trampoline_kernelINS0_14default_configENS1_36segmented_radix_sort_config_selectorIllEEZNS1_25segmented_radix_sort_implIS3_Lb1EPKlPlS8_S9_N2at6native12_GLOBAL__N_18offset_tEEE10hipError_tPvRmT1_PNSt15iterator_traitsISH_E10value_typeET2_T3_PNSI_ISN_E10value_typeET4_jRbjT5_ST_jjP12ihipStream_tbEUlT_E_NS1_11comp_targetILNS1_3genE9ELNS1_11target_archE1100ELNS1_3gpuE3ELNS1_3repE0EEENS1_30default_config_static_selectorELNS0_4arch9wavefront6targetE0EEEvSH_.num_agpr, 0
	.set _ZN7rocprim17ROCPRIM_400000_NS6detail17trampoline_kernelINS0_14default_configENS1_36segmented_radix_sort_config_selectorIllEEZNS1_25segmented_radix_sort_implIS3_Lb1EPKlPlS8_S9_N2at6native12_GLOBAL__N_18offset_tEEE10hipError_tPvRmT1_PNSt15iterator_traitsISH_E10value_typeET2_T3_PNSI_ISN_E10value_typeET4_jRbjT5_ST_jjP12ihipStream_tbEUlT_E_NS1_11comp_targetILNS1_3genE9ELNS1_11target_archE1100ELNS1_3gpuE3ELNS1_3repE0EEENS1_30default_config_static_selectorELNS0_4arch9wavefront6targetE0EEEvSH_.numbered_sgpr, 0
	.set _ZN7rocprim17ROCPRIM_400000_NS6detail17trampoline_kernelINS0_14default_configENS1_36segmented_radix_sort_config_selectorIllEEZNS1_25segmented_radix_sort_implIS3_Lb1EPKlPlS8_S9_N2at6native12_GLOBAL__N_18offset_tEEE10hipError_tPvRmT1_PNSt15iterator_traitsISH_E10value_typeET2_T3_PNSI_ISN_E10value_typeET4_jRbjT5_ST_jjP12ihipStream_tbEUlT_E_NS1_11comp_targetILNS1_3genE9ELNS1_11target_archE1100ELNS1_3gpuE3ELNS1_3repE0EEENS1_30default_config_static_selectorELNS0_4arch9wavefront6targetE0EEEvSH_.num_named_barrier, 0
	.set _ZN7rocprim17ROCPRIM_400000_NS6detail17trampoline_kernelINS0_14default_configENS1_36segmented_radix_sort_config_selectorIllEEZNS1_25segmented_radix_sort_implIS3_Lb1EPKlPlS8_S9_N2at6native12_GLOBAL__N_18offset_tEEE10hipError_tPvRmT1_PNSt15iterator_traitsISH_E10value_typeET2_T3_PNSI_ISN_E10value_typeET4_jRbjT5_ST_jjP12ihipStream_tbEUlT_E_NS1_11comp_targetILNS1_3genE9ELNS1_11target_archE1100ELNS1_3gpuE3ELNS1_3repE0EEENS1_30default_config_static_selectorELNS0_4arch9wavefront6targetE0EEEvSH_.private_seg_size, 0
	.set _ZN7rocprim17ROCPRIM_400000_NS6detail17trampoline_kernelINS0_14default_configENS1_36segmented_radix_sort_config_selectorIllEEZNS1_25segmented_radix_sort_implIS3_Lb1EPKlPlS8_S9_N2at6native12_GLOBAL__N_18offset_tEEE10hipError_tPvRmT1_PNSt15iterator_traitsISH_E10value_typeET2_T3_PNSI_ISN_E10value_typeET4_jRbjT5_ST_jjP12ihipStream_tbEUlT_E_NS1_11comp_targetILNS1_3genE9ELNS1_11target_archE1100ELNS1_3gpuE3ELNS1_3repE0EEENS1_30default_config_static_selectorELNS0_4arch9wavefront6targetE0EEEvSH_.uses_vcc, 0
	.set _ZN7rocprim17ROCPRIM_400000_NS6detail17trampoline_kernelINS0_14default_configENS1_36segmented_radix_sort_config_selectorIllEEZNS1_25segmented_radix_sort_implIS3_Lb1EPKlPlS8_S9_N2at6native12_GLOBAL__N_18offset_tEEE10hipError_tPvRmT1_PNSt15iterator_traitsISH_E10value_typeET2_T3_PNSI_ISN_E10value_typeET4_jRbjT5_ST_jjP12ihipStream_tbEUlT_E_NS1_11comp_targetILNS1_3genE9ELNS1_11target_archE1100ELNS1_3gpuE3ELNS1_3repE0EEENS1_30default_config_static_selectorELNS0_4arch9wavefront6targetE0EEEvSH_.uses_flat_scratch, 0
	.set _ZN7rocprim17ROCPRIM_400000_NS6detail17trampoline_kernelINS0_14default_configENS1_36segmented_radix_sort_config_selectorIllEEZNS1_25segmented_radix_sort_implIS3_Lb1EPKlPlS8_S9_N2at6native12_GLOBAL__N_18offset_tEEE10hipError_tPvRmT1_PNSt15iterator_traitsISH_E10value_typeET2_T3_PNSI_ISN_E10value_typeET4_jRbjT5_ST_jjP12ihipStream_tbEUlT_E_NS1_11comp_targetILNS1_3genE9ELNS1_11target_archE1100ELNS1_3gpuE3ELNS1_3repE0EEENS1_30default_config_static_selectorELNS0_4arch9wavefront6targetE0EEEvSH_.has_dyn_sized_stack, 0
	.set _ZN7rocprim17ROCPRIM_400000_NS6detail17trampoline_kernelINS0_14default_configENS1_36segmented_radix_sort_config_selectorIllEEZNS1_25segmented_radix_sort_implIS3_Lb1EPKlPlS8_S9_N2at6native12_GLOBAL__N_18offset_tEEE10hipError_tPvRmT1_PNSt15iterator_traitsISH_E10value_typeET2_T3_PNSI_ISN_E10value_typeET4_jRbjT5_ST_jjP12ihipStream_tbEUlT_E_NS1_11comp_targetILNS1_3genE9ELNS1_11target_archE1100ELNS1_3gpuE3ELNS1_3repE0EEENS1_30default_config_static_selectorELNS0_4arch9wavefront6targetE0EEEvSH_.has_recursion, 0
	.set _ZN7rocprim17ROCPRIM_400000_NS6detail17trampoline_kernelINS0_14default_configENS1_36segmented_radix_sort_config_selectorIllEEZNS1_25segmented_radix_sort_implIS3_Lb1EPKlPlS8_S9_N2at6native12_GLOBAL__N_18offset_tEEE10hipError_tPvRmT1_PNSt15iterator_traitsISH_E10value_typeET2_T3_PNSI_ISN_E10value_typeET4_jRbjT5_ST_jjP12ihipStream_tbEUlT_E_NS1_11comp_targetILNS1_3genE9ELNS1_11target_archE1100ELNS1_3gpuE3ELNS1_3repE0EEENS1_30default_config_static_selectorELNS0_4arch9wavefront6targetE0EEEvSH_.has_indirect_call, 0
	.section	.AMDGPU.csdata,"",@progbits
; Kernel info:
; codeLenInByte = 0
; TotalNumSgprs: 0
; NumVgprs: 0
; ScratchSize: 0
; MemoryBound: 0
; FloatMode: 240
; IeeeMode: 1
; LDSByteSize: 0 bytes/workgroup (compile time only)
; SGPRBlocks: 0
; VGPRBlocks: 0
; NumSGPRsForWavesPerEU: 1
; NumVGPRsForWavesPerEU: 1
; Occupancy: 16
; WaveLimiterHint : 0
; COMPUTE_PGM_RSRC2:SCRATCH_EN: 0
; COMPUTE_PGM_RSRC2:USER_SGPR: 2
; COMPUTE_PGM_RSRC2:TRAP_HANDLER: 0
; COMPUTE_PGM_RSRC2:TGID_X_EN: 1
; COMPUTE_PGM_RSRC2:TGID_Y_EN: 0
; COMPUTE_PGM_RSRC2:TGID_Z_EN: 0
; COMPUTE_PGM_RSRC2:TIDIG_COMP_CNT: 0
	.section	.text._ZN7rocprim17ROCPRIM_400000_NS6detail17trampoline_kernelINS0_14default_configENS1_36segmented_radix_sort_config_selectorIllEEZNS1_25segmented_radix_sort_implIS3_Lb1EPKlPlS8_S9_N2at6native12_GLOBAL__N_18offset_tEEE10hipError_tPvRmT1_PNSt15iterator_traitsISH_E10value_typeET2_T3_PNSI_ISN_E10value_typeET4_jRbjT5_ST_jjP12ihipStream_tbEUlT_E_NS1_11comp_targetILNS1_3genE8ELNS1_11target_archE1030ELNS1_3gpuE2ELNS1_3repE0EEENS1_30default_config_static_selectorELNS0_4arch9wavefront6targetE0EEEvSH_,"axG",@progbits,_ZN7rocprim17ROCPRIM_400000_NS6detail17trampoline_kernelINS0_14default_configENS1_36segmented_radix_sort_config_selectorIllEEZNS1_25segmented_radix_sort_implIS3_Lb1EPKlPlS8_S9_N2at6native12_GLOBAL__N_18offset_tEEE10hipError_tPvRmT1_PNSt15iterator_traitsISH_E10value_typeET2_T3_PNSI_ISN_E10value_typeET4_jRbjT5_ST_jjP12ihipStream_tbEUlT_E_NS1_11comp_targetILNS1_3genE8ELNS1_11target_archE1030ELNS1_3gpuE2ELNS1_3repE0EEENS1_30default_config_static_selectorELNS0_4arch9wavefront6targetE0EEEvSH_,comdat
	.globl	_ZN7rocprim17ROCPRIM_400000_NS6detail17trampoline_kernelINS0_14default_configENS1_36segmented_radix_sort_config_selectorIllEEZNS1_25segmented_radix_sort_implIS3_Lb1EPKlPlS8_S9_N2at6native12_GLOBAL__N_18offset_tEEE10hipError_tPvRmT1_PNSt15iterator_traitsISH_E10value_typeET2_T3_PNSI_ISN_E10value_typeET4_jRbjT5_ST_jjP12ihipStream_tbEUlT_E_NS1_11comp_targetILNS1_3genE8ELNS1_11target_archE1030ELNS1_3gpuE2ELNS1_3repE0EEENS1_30default_config_static_selectorELNS0_4arch9wavefront6targetE0EEEvSH_ ; -- Begin function _ZN7rocprim17ROCPRIM_400000_NS6detail17trampoline_kernelINS0_14default_configENS1_36segmented_radix_sort_config_selectorIllEEZNS1_25segmented_radix_sort_implIS3_Lb1EPKlPlS8_S9_N2at6native12_GLOBAL__N_18offset_tEEE10hipError_tPvRmT1_PNSt15iterator_traitsISH_E10value_typeET2_T3_PNSI_ISN_E10value_typeET4_jRbjT5_ST_jjP12ihipStream_tbEUlT_E_NS1_11comp_targetILNS1_3genE8ELNS1_11target_archE1030ELNS1_3gpuE2ELNS1_3repE0EEENS1_30default_config_static_selectorELNS0_4arch9wavefront6targetE0EEEvSH_
	.p2align	8
	.type	_ZN7rocprim17ROCPRIM_400000_NS6detail17trampoline_kernelINS0_14default_configENS1_36segmented_radix_sort_config_selectorIllEEZNS1_25segmented_radix_sort_implIS3_Lb1EPKlPlS8_S9_N2at6native12_GLOBAL__N_18offset_tEEE10hipError_tPvRmT1_PNSt15iterator_traitsISH_E10value_typeET2_T3_PNSI_ISN_E10value_typeET4_jRbjT5_ST_jjP12ihipStream_tbEUlT_E_NS1_11comp_targetILNS1_3genE8ELNS1_11target_archE1030ELNS1_3gpuE2ELNS1_3repE0EEENS1_30default_config_static_selectorELNS0_4arch9wavefront6targetE0EEEvSH_,@function
_ZN7rocprim17ROCPRIM_400000_NS6detail17trampoline_kernelINS0_14default_configENS1_36segmented_radix_sort_config_selectorIllEEZNS1_25segmented_radix_sort_implIS3_Lb1EPKlPlS8_S9_N2at6native12_GLOBAL__N_18offset_tEEE10hipError_tPvRmT1_PNSt15iterator_traitsISH_E10value_typeET2_T3_PNSI_ISN_E10value_typeET4_jRbjT5_ST_jjP12ihipStream_tbEUlT_E_NS1_11comp_targetILNS1_3genE8ELNS1_11target_archE1030ELNS1_3gpuE2ELNS1_3repE0EEENS1_30default_config_static_selectorELNS0_4arch9wavefront6targetE0EEEvSH_: ; @_ZN7rocprim17ROCPRIM_400000_NS6detail17trampoline_kernelINS0_14default_configENS1_36segmented_radix_sort_config_selectorIllEEZNS1_25segmented_radix_sort_implIS3_Lb1EPKlPlS8_S9_N2at6native12_GLOBAL__N_18offset_tEEE10hipError_tPvRmT1_PNSt15iterator_traitsISH_E10value_typeET2_T3_PNSI_ISN_E10value_typeET4_jRbjT5_ST_jjP12ihipStream_tbEUlT_E_NS1_11comp_targetILNS1_3genE8ELNS1_11target_archE1030ELNS1_3gpuE2ELNS1_3repE0EEENS1_30default_config_static_selectorELNS0_4arch9wavefront6targetE0EEEvSH_
; %bb.0:
	.section	.rodata,"a",@progbits
	.p2align	6, 0x0
	.amdhsa_kernel _ZN7rocprim17ROCPRIM_400000_NS6detail17trampoline_kernelINS0_14default_configENS1_36segmented_radix_sort_config_selectorIllEEZNS1_25segmented_radix_sort_implIS3_Lb1EPKlPlS8_S9_N2at6native12_GLOBAL__N_18offset_tEEE10hipError_tPvRmT1_PNSt15iterator_traitsISH_E10value_typeET2_T3_PNSI_ISN_E10value_typeET4_jRbjT5_ST_jjP12ihipStream_tbEUlT_E_NS1_11comp_targetILNS1_3genE8ELNS1_11target_archE1030ELNS1_3gpuE2ELNS1_3repE0EEENS1_30default_config_static_selectorELNS0_4arch9wavefront6targetE0EEEvSH_
		.amdhsa_group_segment_fixed_size 0
		.amdhsa_private_segment_fixed_size 0
		.amdhsa_kernarg_size 96
		.amdhsa_user_sgpr_count 2
		.amdhsa_user_sgpr_dispatch_ptr 0
		.amdhsa_user_sgpr_queue_ptr 0
		.amdhsa_user_sgpr_kernarg_segment_ptr 1
		.amdhsa_user_sgpr_dispatch_id 0
		.amdhsa_user_sgpr_private_segment_size 0
		.amdhsa_wavefront_size32 1
		.amdhsa_uses_dynamic_stack 0
		.amdhsa_enable_private_segment 0
		.amdhsa_system_sgpr_workgroup_id_x 1
		.amdhsa_system_sgpr_workgroup_id_y 0
		.amdhsa_system_sgpr_workgroup_id_z 0
		.amdhsa_system_sgpr_workgroup_info 0
		.amdhsa_system_vgpr_workitem_id 0
		.amdhsa_next_free_vgpr 1
		.amdhsa_next_free_sgpr 1
		.amdhsa_reserve_vcc 0
		.amdhsa_float_round_mode_32 0
		.amdhsa_float_round_mode_16_64 0
		.amdhsa_float_denorm_mode_32 3
		.amdhsa_float_denorm_mode_16_64 3
		.amdhsa_fp16_overflow 0
		.amdhsa_workgroup_processor_mode 1
		.amdhsa_memory_ordered 1
		.amdhsa_forward_progress 1
		.amdhsa_inst_pref_size 0
		.amdhsa_round_robin_scheduling 0
		.amdhsa_exception_fp_ieee_invalid_op 0
		.amdhsa_exception_fp_denorm_src 0
		.amdhsa_exception_fp_ieee_div_zero 0
		.amdhsa_exception_fp_ieee_overflow 0
		.amdhsa_exception_fp_ieee_underflow 0
		.amdhsa_exception_fp_ieee_inexact 0
		.amdhsa_exception_int_div_zero 0
	.end_amdhsa_kernel
	.section	.text._ZN7rocprim17ROCPRIM_400000_NS6detail17trampoline_kernelINS0_14default_configENS1_36segmented_radix_sort_config_selectorIllEEZNS1_25segmented_radix_sort_implIS3_Lb1EPKlPlS8_S9_N2at6native12_GLOBAL__N_18offset_tEEE10hipError_tPvRmT1_PNSt15iterator_traitsISH_E10value_typeET2_T3_PNSI_ISN_E10value_typeET4_jRbjT5_ST_jjP12ihipStream_tbEUlT_E_NS1_11comp_targetILNS1_3genE8ELNS1_11target_archE1030ELNS1_3gpuE2ELNS1_3repE0EEENS1_30default_config_static_selectorELNS0_4arch9wavefront6targetE0EEEvSH_,"axG",@progbits,_ZN7rocprim17ROCPRIM_400000_NS6detail17trampoline_kernelINS0_14default_configENS1_36segmented_radix_sort_config_selectorIllEEZNS1_25segmented_radix_sort_implIS3_Lb1EPKlPlS8_S9_N2at6native12_GLOBAL__N_18offset_tEEE10hipError_tPvRmT1_PNSt15iterator_traitsISH_E10value_typeET2_T3_PNSI_ISN_E10value_typeET4_jRbjT5_ST_jjP12ihipStream_tbEUlT_E_NS1_11comp_targetILNS1_3genE8ELNS1_11target_archE1030ELNS1_3gpuE2ELNS1_3repE0EEENS1_30default_config_static_selectorELNS0_4arch9wavefront6targetE0EEEvSH_,comdat
.Lfunc_end713:
	.size	_ZN7rocprim17ROCPRIM_400000_NS6detail17trampoline_kernelINS0_14default_configENS1_36segmented_radix_sort_config_selectorIllEEZNS1_25segmented_radix_sort_implIS3_Lb1EPKlPlS8_S9_N2at6native12_GLOBAL__N_18offset_tEEE10hipError_tPvRmT1_PNSt15iterator_traitsISH_E10value_typeET2_T3_PNSI_ISN_E10value_typeET4_jRbjT5_ST_jjP12ihipStream_tbEUlT_E_NS1_11comp_targetILNS1_3genE8ELNS1_11target_archE1030ELNS1_3gpuE2ELNS1_3repE0EEENS1_30default_config_static_selectorELNS0_4arch9wavefront6targetE0EEEvSH_, .Lfunc_end713-_ZN7rocprim17ROCPRIM_400000_NS6detail17trampoline_kernelINS0_14default_configENS1_36segmented_radix_sort_config_selectorIllEEZNS1_25segmented_radix_sort_implIS3_Lb1EPKlPlS8_S9_N2at6native12_GLOBAL__N_18offset_tEEE10hipError_tPvRmT1_PNSt15iterator_traitsISH_E10value_typeET2_T3_PNSI_ISN_E10value_typeET4_jRbjT5_ST_jjP12ihipStream_tbEUlT_E_NS1_11comp_targetILNS1_3genE8ELNS1_11target_archE1030ELNS1_3gpuE2ELNS1_3repE0EEENS1_30default_config_static_selectorELNS0_4arch9wavefront6targetE0EEEvSH_
                                        ; -- End function
	.set _ZN7rocprim17ROCPRIM_400000_NS6detail17trampoline_kernelINS0_14default_configENS1_36segmented_radix_sort_config_selectorIllEEZNS1_25segmented_radix_sort_implIS3_Lb1EPKlPlS8_S9_N2at6native12_GLOBAL__N_18offset_tEEE10hipError_tPvRmT1_PNSt15iterator_traitsISH_E10value_typeET2_T3_PNSI_ISN_E10value_typeET4_jRbjT5_ST_jjP12ihipStream_tbEUlT_E_NS1_11comp_targetILNS1_3genE8ELNS1_11target_archE1030ELNS1_3gpuE2ELNS1_3repE0EEENS1_30default_config_static_selectorELNS0_4arch9wavefront6targetE0EEEvSH_.num_vgpr, 0
	.set _ZN7rocprim17ROCPRIM_400000_NS6detail17trampoline_kernelINS0_14default_configENS1_36segmented_radix_sort_config_selectorIllEEZNS1_25segmented_radix_sort_implIS3_Lb1EPKlPlS8_S9_N2at6native12_GLOBAL__N_18offset_tEEE10hipError_tPvRmT1_PNSt15iterator_traitsISH_E10value_typeET2_T3_PNSI_ISN_E10value_typeET4_jRbjT5_ST_jjP12ihipStream_tbEUlT_E_NS1_11comp_targetILNS1_3genE8ELNS1_11target_archE1030ELNS1_3gpuE2ELNS1_3repE0EEENS1_30default_config_static_selectorELNS0_4arch9wavefront6targetE0EEEvSH_.num_agpr, 0
	.set _ZN7rocprim17ROCPRIM_400000_NS6detail17trampoline_kernelINS0_14default_configENS1_36segmented_radix_sort_config_selectorIllEEZNS1_25segmented_radix_sort_implIS3_Lb1EPKlPlS8_S9_N2at6native12_GLOBAL__N_18offset_tEEE10hipError_tPvRmT1_PNSt15iterator_traitsISH_E10value_typeET2_T3_PNSI_ISN_E10value_typeET4_jRbjT5_ST_jjP12ihipStream_tbEUlT_E_NS1_11comp_targetILNS1_3genE8ELNS1_11target_archE1030ELNS1_3gpuE2ELNS1_3repE0EEENS1_30default_config_static_selectorELNS0_4arch9wavefront6targetE0EEEvSH_.numbered_sgpr, 0
	.set _ZN7rocprim17ROCPRIM_400000_NS6detail17trampoline_kernelINS0_14default_configENS1_36segmented_radix_sort_config_selectorIllEEZNS1_25segmented_radix_sort_implIS3_Lb1EPKlPlS8_S9_N2at6native12_GLOBAL__N_18offset_tEEE10hipError_tPvRmT1_PNSt15iterator_traitsISH_E10value_typeET2_T3_PNSI_ISN_E10value_typeET4_jRbjT5_ST_jjP12ihipStream_tbEUlT_E_NS1_11comp_targetILNS1_3genE8ELNS1_11target_archE1030ELNS1_3gpuE2ELNS1_3repE0EEENS1_30default_config_static_selectorELNS0_4arch9wavefront6targetE0EEEvSH_.num_named_barrier, 0
	.set _ZN7rocprim17ROCPRIM_400000_NS6detail17trampoline_kernelINS0_14default_configENS1_36segmented_radix_sort_config_selectorIllEEZNS1_25segmented_radix_sort_implIS3_Lb1EPKlPlS8_S9_N2at6native12_GLOBAL__N_18offset_tEEE10hipError_tPvRmT1_PNSt15iterator_traitsISH_E10value_typeET2_T3_PNSI_ISN_E10value_typeET4_jRbjT5_ST_jjP12ihipStream_tbEUlT_E_NS1_11comp_targetILNS1_3genE8ELNS1_11target_archE1030ELNS1_3gpuE2ELNS1_3repE0EEENS1_30default_config_static_selectorELNS0_4arch9wavefront6targetE0EEEvSH_.private_seg_size, 0
	.set _ZN7rocprim17ROCPRIM_400000_NS6detail17trampoline_kernelINS0_14default_configENS1_36segmented_radix_sort_config_selectorIllEEZNS1_25segmented_radix_sort_implIS3_Lb1EPKlPlS8_S9_N2at6native12_GLOBAL__N_18offset_tEEE10hipError_tPvRmT1_PNSt15iterator_traitsISH_E10value_typeET2_T3_PNSI_ISN_E10value_typeET4_jRbjT5_ST_jjP12ihipStream_tbEUlT_E_NS1_11comp_targetILNS1_3genE8ELNS1_11target_archE1030ELNS1_3gpuE2ELNS1_3repE0EEENS1_30default_config_static_selectorELNS0_4arch9wavefront6targetE0EEEvSH_.uses_vcc, 0
	.set _ZN7rocprim17ROCPRIM_400000_NS6detail17trampoline_kernelINS0_14default_configENS1_36segmented_radix_sort_config_selectorIllEEZNS1_25segmented_radix_sort_implIS3_Lb1EPKlPlS8_S9_N2at6native12_GLOBAL__N_18offset_tEEE10hipError_tPvRmT1_PNSt15iterator_traitsISH_E10value_typeET2_T3_PNSI_ISN_E10value_typeET4_jRbjT5_ST_jjP12ihipStream_tbEUlT_E_NS1_11comp_targetILNS1_3genE8ELNS1_11target_archE1030ELNS1_3gpuE2ELNS1_3repE0EEENS1_30default_config_static_selectorELNS0_4arch9wavefront6targetE0EEEvSH_.uses_flat_scratch, 0
	.set _ZN7rocprim17ROCPRIM_400000_NS6detail17trampoline_kernelINS0_14default_configENS1_36segmented_radix_sort_config_selectorIllEEZNS1_25segmented_radix_sort_implIS3_Lb1EPKlPlS8_S9_N2at6native12_GLOBAL__N_18offset_tEEE10hipError_tPvRmT1_PNSt15iterator_traitsISH_E10value_typeET2_T3_PNSI_ISN_E10value_typeET4_jRbjT5_ST_jjP12ihipStream_tbEUlT_E_NS1_11comp_targetILNS1_3genE8ELNS1_11target_archE1030ELNS1_3gpuE2ELNS1_3repE0EEENS1_30default_config_static_selectorELNS0_4arch9wavefront6targetE0EEEvSH_.has_dyn_sized_stack, 0
	.set _ZN7rocprim17ROCPRIM_400000_NS6detail17trampoline_kernelINS0_14default_configENS1_36segmented_radix_sort_config_selectorIllEEZNS1_25segmented_radix_sort_implIS3_Lb1EPKlPlS8_S9_N2at6native12_GLOBAL__N_18offset_tEEE10hipError_tPvRmT1_PNSt15iterator_traitsISH_E10value_typeET2_T3_PNSI_ISN_E10value_typeET4_jRbjT5_ST_jjP12ihipStream_tbEUlT_E_NS1_11comp_targetILNS1_3genE8ELNS1_11target_archE1030ELNS1_3gpuE2ELNS1_3repE0EEENS1_30default_config_static_selectorELNS0_4arch9wavefront6targetE0EEEvSH_.has_recursion, 0
	.set _ZN7rocprim17ROCPRIM_400000_NS6detail17trampoline_kernelINS0_14default_configENS1_36segmented_radix_sort_config_selectorIllEEZNS1_25segmented_radix_sort_implIS3_Lb1EPKlPlS8_S9_N2at6native12_GLOBAL__N_18offset_tEEE10hipError_tPvRmT1_PNSt15iterator_traitsISH_E10value_typeET2_T3_PNSI_ISN_E10value_typeET4_jRbjT5_ST_jjP12ihipStream_tbEUlT_E_NS1_11comp_targetILNS1_3genE8ELNS1_11target_archE1030ELNS1_3gpuE2ELNS1_3repE0EEENS1_30default_config_static_selectorELNS0_4arch9wavefront6targetE0EEEvSH_.has_indirect_call, 0
	.section	.AMDGPU.csdata,"",@progbits
; Kernel info:
; codeLenInByte = 0
; TotalNumSgprs: 0
; NumVgprs: 0
; ScratchSize: 0
; MemoryBound: 0
; FloatMode: 240
; IeeeMode: 1
; LDSByteSize: 0 bytes/workgroup (compile time only)
; SGPRBlocks: 0
; VGPRBlocks: 0
; NumSGPRsForWavesPerEU: 1
; NumVGPRsForWavesPerEU: 1
; Occupancy: 16
; WaveLimiterHint : 0
; COMPUTE_PGM_RSRC2:SCRATCH_EN: 0
; COMPUTE_PGM_RSRC2:USER_SGPR: 2
; COMPUTE_PGM_RSRC2:TRAP_HANDLER: 0
; COMPUTE_PGM_RSRC2:TGID_X_EN: 1
; COMPUTE_PGM_RSRC2:TGID_Y_EN: 0
; COMPUTE_PGM_RSRC2:TGID_Z_EN: 0
; COMPUTE_PGM_RSRC2:TIDIG_COMP_CNT: 0
	.section	.text._ZN7rocprim17ROCPRIM_400000_NS6detail17trampoline_kernelINS0_14default_configENS1_36segmented_radix_sort_config_selectorIllEEZNS1_25segmented_radix_sort_implIS3_Lb1EPKlPlS8_S9_N2at6native12_GLOBAL__N_18offset_tEEE10hipError_tPvRmT1_PNSt15iterator_traitsISH_E10value_typeET2_T3_PNSI_ISN_E10value_typeET4_jRbjT5_ST_jjP12ihipStream_tbEUlT_E0_NS1_11comp_targetILNS1_3genE0ELNS1_11target_archE4294967295ELNS1_3gpuE0ELNS1_3repE0EEENS1_60segmented_radix_sort_warp_sort_medium_config_static_selectorELNS0_4arch9wavefront6targetE0EEEvSH_,"axG",@progbits,_ZN7rocprim17ROCPRIM_400000_NS6detail17trampoline_kernelINS0_14default_configENS1_36segmented_radix_sort_config_selectorIllEEZNS1_25segmented_radix_sort_implIS3_Lb1EPKlPlS8_S9_N2at6native12_GLOBAL__N_18offset_tEEE10hipError_tPvRmT1_PNSt15iterator_traitsISH_E10value_typeET2_T3_PNSI_ISN_E10value_typeET4_jRbjT5_ST_jjP12ihipStream_tbEUlT_E0_NS1_11comp_targetILNS1_3genE0ELNS1_11target_archE4294967295ELNS1_3gpuE0ELNS1_3repE0EEENS1_60segmented_radix_sort_warp_sort_medium_config_static_selectorELNS0_4arch9wavefront6targetE0EEEvSH_,comdat
	.globl	_ZN7rocprim17ROCPRIM_400000_NS6detail17trampoline_kernelINS0_14default_configENS1_36segmented_radix_sort_config_selectorIllEEZNS1_25segmented_radix_sort_implIS3_Lb1EPKlPlS8_S9_N2at6native12_GLOBAL__N_18offset_tEEE10hipError_tPvRmT1_PNSt15iterator_traitsISH_E10value_typeET2_T3_PNSI_ISN_E10value_typeET4_jRbjT5_ST_jjP12ihipStream_tbEUlT_E0_NS1_11comp_targetILNS1_3genE0ELNS1_11target_archE4294967295ELNS1_3gpuE0ELNS1_3repE0EEENS1_60segmented_radix_sort_warp_sort_medium_config_static_selectorELNS0_4arch9wavefront6targetE0EEEvSH_ ; -- Begin function _ZN7rocprim17ROCPRIM_400000_NS6detail17trampoline_kernelINS0_14default_configENS1_36segmented_radix_sort_config_selectorIllEEZNS1_25segmented_radix_sort_implIS3_Lb1EPKlPlS8_S9_N2at6native12_GLOBAL__N_18offset_tEEE10hipError_tPvRmT1_PNSt15iterator_traitsISH_E10value_typeET2_T3_PNSI_ISN_E10value_typeET4_jRbjT5_ST_jjP12ihipStream_tbEUlT_E0_NS1_11comp_targetILNS1_3genE0ELNS1_11target_archE4294967295ELNS1_3gpuE0ELNS1_3repE0EEENS1_60segmented_radix_sort_warp_sort_medium_config_static_selectorELNS0_4arch9wavefront6targetE0EEEvSH_
	.p2align	8
	.type	_ZN7rocprim17ROCPRIM_400000_NS6detail17trampoline_kernelINS0_14default_configENS1_36segmented_radix_sort_config_selectorIllEEZNS1_25segmented_radix_sort_implIS3_Lb1EPKlPlS8_S9_N2at6native12_GLOBAL__N_18offset_tEEE10hipError_tPvRmT1_PNSt15iterator_traitsISH_E10value_typeET2_T3_PNSI_ISN_E10value_typeET4_jRbjT5_ST_jjP12ihipStream_tbEUlT_E0_NS1_11comp_targetILNS1_3genE0ELNS1_11target_archE4294967295ELNS1_3gpuE0ELNS1_3repE0EEENS1_60segmented_radix_sort_warp_sort_medium_config_static_selectorELNS0_4arch9wavefront6targetE0EEEvSH_,@function
_ZN7rocprim17ROCPRIM_400000_NS6detail17trampoline_kernelINS0_14default_configENS1_36segmented_radix_sort_config_selectorIllEEZNS1_25segmented_radix_sort_implIS3_Lb1EPKlPlS8_S9_N2at6native12_GLOBAL__N_18offset_tEEE10hipError_tPvRmT1_PNSt15iterator_traitsISH_E10value_typeET2_T3_PNSI_ISN_E10value_typeET4_jRbjT5_ST_jjP12ihipStream_tbEUlT_E0_NS1_11comp_targetILNS1_3genE0ELNS1_11target_archE4294967295ELNS1_3gpuE0ELNS1_3repE0EEENS1_60segmented_radix_sort_warp_sort_medium_config_static_selectorELNS0_4arch9wavefront6targetE0EEEvSH_: ; @_ZN7rocprim17ROCPRIM_400000_NS6detail17trampoline_kernelINS0_14default_configENS1_36segmented_radix_sort_config_selectorIllEEZNS1_25segmented_radix_sort_implIS3_Lb1EPKlPlS8_S9_N2at6native12_GLOBAL__N_18offset_tEEE10hipError_tPvRmT1_PNSt15iterator_traitsISH_E10value_typeET2_T3_PNSI_ISN_E10value_typeET4_jRbjT5_ST_jjP12ihipStream_tbEUlT_E0_NS1_11comp_targetILNS1_3genE0ELNS1_11target_archE4294967295ELNS1_3gpuE0ELNS1_3repE0EEENS1_60segmented_radix_sort_warp_sort_medium_config_static_selectorELNS0_4arch9wavefront6targetE0EEEvSH_
; %bb.0:
	.section	.rodata,"a",@progbits
	.p2align	6, 0x0
	.amdhsa_kernel _ZN7rocprim17ROCPRIM_400000_NS6detail17trampoline_kernelINS0_14default_configENS1_36segmented_radix_sort_config_selectorIllEEZNS1_25segmented_radix_sort_implIS3_Lb1EPKlPlS8_S9_N2at6native12_GLOBAL__N_18offset_tEEE10hipError_tPvRmT1_PNSt15iterator_traitsISH_E10value_typeET2_T3_PNSI_ISN_E10value_typeET4_jRbjT5_ST_jjP12ihipStream_tbEUlT_E0_NS1_11comp_targetILNS1_3genE0ELNS1_11target_archE4294967295ELNS1_3gpuE0ELNS1_3repE0EEENS1_60segmented_radix_sort_warp_sort_medium_config_static_selectorELNS0_4arch9wavefront6targetE0EEEvSH_
		.amdhsa_group_segment_fixed_size 0
		.amdhsa_private_segment_fixed_size 0
		.amdhsa_kernarg_size 88
		.amdhsa_user_sgpr_count 2
		.amdhsa_user_sgpr_dispatch_ptr 0
		.amdhsa_user_sgpr_queue_ptr 0
		.amdhsa_user_sgpr_kernarg_segment_ptr 1
		.amdhsa_user_sgpr_dispatch_id 0
		.amdhsa_user_sgpr_private_segment_size 0
		.amdhsa_wavefront_size32 1
		.amdhsa_uses_dynamic_stack 0
		.amdhsa_enable_private_segment 0
		.amdhsa_system_sgpr_workgroup_id_x 1
		.amdhsa_system_sgpr_workgroup_id_y 0
		.amdhsa_system_sgpr_workgroup_id_z 0
		.amdhsa_system_sgpr_workgroup_info 0
		.amdhsa_system_vgpr_workitem_id 0
		.amdhsa_next_free_vgpr 1
		.amdhsa_next_free_sgpr 1
		.amdhsa_reserve_vcc 0
		.amdhsa_float_round_mode_32 0
		.amdhsa_float_round_mode_16_64 0
		.amdhsa_float_denorm_mode_32 3
		.amdhsa_float_denorm_mode_16_64 3
		.amdhsa_fp16_overflow 0
		.amdhsa_workgroup_processor_mode 1
		.amdhsa_memory_ordered 1
		.amdhsa_forward_progress 1
		.amdhsa_inst_pref_size 0
		.amdhsa_round_robin_scheduling 0
		.amdhsa_exception_fp_ieee_invalid_op 0
		.amdhsa_exception_fp_denorm_src 0
		.amdhsa_exception_fp_ieee_div_zero 0
		.amdhsa_exception_fp_ieee_overflow 0
		.amdhsa_exception_fp_ieee_underflow 0
		.amdhsa_exception_fp_ieee_inexact 0
		.amdhsa_exception_int_div_zero 0
	.end_amdhsa_kernel
	.section	.text._ZN7rocprim17ROCPRIM_400000_NS6detail17trampoline_kernelINS0_14default_configENS1_36segmented_radix_sort_config_selectorIllEEZNS1_25segmented_radix_sort_implIS3_Lb1EPKlPlS8_S9_N2at6native12_GLOBAL__N_18offset_tEEE10hipError_tPvRmT1_PNSt15iterator_traitsISH_E10value_typeET2_T3_PNSI_ISN_E10value_typeET4_jRbjT5_ST_jjP12ihipStream_tbEUlT_E0_NS1_11comp_targetILNS1_3genE0ELNS1_11target_archE4294967295ELNS1_3gpuE0ELNS1_3repE0EEENS1_60segmented_radix_sort_warp_sort_medium_config_static_selectorELNS0_4arch9wavefront6targetE0EEEvSH_,"axG",@progbits,_ZN7rocprim17ROCPRIM_400000_NS6detail17trampoline_kernelINS0_14default_configENS1_36segmented_radix_sort_config_selectorIllEEZNS1_25segmented_radix_sort_implIS3_Lb1EPKlPlS8_S9_N2at6native12_GLOBAL__N_18offset_tEEE10hipError_tPvRmT1_PNSt15iterator_traitsISH_E10value_typeET2_T3_PNSI_ISN_E10value_typeET4_jRbjT5_ST_jjP12ihipStream_tbEUlT_E0_NS1_11comp_targetILNS1_3genE0ELNS1_11target_archE4294967295ELNS1_3gpuE0ELNS1_3repE0EEENS1_60segmented_radix_sort_warp_sort_medium_config_static_selectorELNS0_4arch9wavefront6targetE0EEEvSH_,comdat
.Lfunc_end714:
	.size	_ZN7rocprim17ROCPRIM_400000_NS6detail17trampoline_kernelINS0_14default_configENS1_36segmented_radix_sort_config_selectorIllEEZNS1_25segmented_radix_sort_implIS3_Lb1EPKlPlS8_S9_N2at6native12_GLOBAL__N_18offset_tEEE10hipError_tPvRmT1_PNSt15iterator_traitsISH_E10value_typeET2_T3_PNSI_ISN_E10value_typeET4_jRbjT5_ST_jjP12ihipStream_tbEUlT_E0_NS1_11comp_targetILNS1_3genE0ELNS1_11target_archE4294967295ELNS1_3gpuE0ELNS1_3repE0EEENS1_60segmented_radix_sort_warp_sort_medium_config_static_selectorELNS0_4arch9wavefront6targetE0EEEvSH_, .Lfunc_end714-_ZN7rocprim17ROCPRIM_400000_NS6detail17trampoline_kernelINS0_14default_configENS1_36segmented_radix_sort_config_selectorIllEEZNS1_25segmented_radix_sort_implIS3_Lb1EPKlPlS8_S9_N2at6native12_GLOBAL__N_18offset_tEEE10hipError_tPvRmT1_PNSt15iterator_traitsISH_E10value_typeET2_T3_PNSI_ISN_E10value_typeET4_jRbjT5_ST_jjP12ihipStream_tbEUlT_E0_NS1_11comp_targetILNS1_3genE0ELNS1_11target_archE4294967295ELNS1_3gpuE0ELNS1_3repE0EEENS1_60segmented_radix_sort_warp_sort_medium_config_static_selectorELNS0_4arch9wavefront6targetE0EEEvSH_
                                        ; -- End function
	.set _ZN7rocprim17ROCPRIM_400000_NS6detail17trampoline_kernelINS0_14default_configENS1_36segmented_radix_sort_config_selectorIllEEZNS1_25segmented_radix_sort_implIS3_Lb1EPKlPlS8_S9_N2at6native12_GLOBAL__N_18offset_tEEE10hipError_tPvRmT1_PNSt15iterator_traitsISH_E10value_typeET2_T3_PNSI_ISN_E10value_typeET4_jRbjT5_ST_jjP12ihipStream_tbEUlT_E0_NS1_11comp_targetILNS1_3genE0ELNS1_11target_archE4294967295ELNS1_3gpuE0ELNS1_3repE0EEENS1_60segmented_radix_sort_warp_sort_medium_config_static_selectorELNS0_4arch9wavefront6targetE0EEEvSH_.num_vgpr, 0
	.set _ZN7rocprim17ROCPRIM_400000_NS6detail17trampoline_kernelINS0_14default_configENS1_36segmented_radix_sort_config_selectorIllEEZNS1_25segmented_radix_sort_implIS3_Lb1EPKlPlS8_S9_N2at6native12_GLOBAL__N_18offset_tEEE10hipError_tPvRmT1_PNSt15iterator_traitsISH_E10value_typeET2_T3_PNSI_ISN_E10value_typeET4_jRbjT5_ST_jjP12ihipStream_tbEUlT_E0_NS1_11comp_targetILNS1_3genE0ELNS1_11target_archE4294967295ELNS1_3gpuE0ELNS1_3repE0EEENS1_60segmented_radix_sort_warp_sort_medium_config_static_selectorELNS0_4arch9wavefront6targetE0EEEvSH_.num_agpr, 0
	.set _ZN7rocprim17ROCPRIM_400000_NS6detail17trampoline_kernelINS0_14default_configENS1_36segmented_radix_sort_config_selectorIllEEZNS1_25segmented_radix_sort_implIS3_Lb1EPKlPlS8_S9_N2at6native12_GLOBAL__N_18offset_tEEE10hipError_tPvRmT1_PNSt15iterator_traitsISH_E10value_typeET2_T3_PNSI_ISN_E10value_typeET4_jRbjT5_ST_jjP12ihipStream_tbEUlT_E0_NS1_11comp_targetILNS1_3genE0ELNS1_11target_archE4294967295ELNS1_3gpuE0ELNS1_3repE0EEENS1_60segmented_radix_sort_warp_sort_medium_config_static_selectorELNS0_4arch9wavefront6targetE0EEEvSH_.numbered_sgpr, 0
	.set _ZN7rocprim17ROCPRIM_400000_NS6detail17trampoline_kernelINS0_14default_configENS1_36segmented_radix_sort_config_selectorIllEEZNS1_25segmented_radix_sort_implIS3_Lb1EPKlPlS8_S9_N2at6native12_GLOBAL__N_18offset_tEEE10hipError_tPvRmT1_PNSt15iterator_traitsISH_E10value_typeET2_T3_PNSI_ISN_E10value_typeET4_jRbjT5_ST_jjP12ihipStream_tbEUlT_E0_NS1_11comp_targetILNS1_3genE0ELNS1_11target_archE4294967295ELNS1_3gpuE0ELNS1_3repE0EEENS1_60segmented_radix_sort_warp_sort_medium_config_static_selectorELNS0_4arch9wavefront6targetE0EEEvSH_.num_named_barrier, 0
	.set _ZN7rocprim17ROCPRIM_400000_NS6detail17trampoline_kernelINS0_14default_configENS1_36segmented_radix_sort_config_selectorIllEEZNS1_25segmented_radix_sort_implIS3_Lb1EPKlPlS8_S9_N2at6native12_GLOBAL__N_18offset_tEEE10hipError_tPvRmT1_PNSt15iterator_traitsISH_E10value_typeET2_T3_PNSI_ISN_E10value_typeET4_jRbjT5_ST_jjP12ihipStream_tbEUlT_E0_NS1_11comp_targetILNS1_3genE0ELNS1_11target_archE4294967295ELNS1_3gpuE0ELNS1_3repE0EEENS1_60segmented_radix_sort_warp_sort_medium_config_static_selectorELNS0_4arch9wavefront6targetE0EEEvSH_.private_seg_size, 0
	.set _ZN7rocprim17ROCPRIM_400000_NS6detail17trampoline_kernelINS0_14default_configENS1_36segmented_radix_sort_config_selectorIllEEZNS1_25segmented_radix_sort_implIS3_Lb1EPKlPlS8_S9_N2at6native12_GLOBAL__N_18offset_tEEE10hipError_tPvRmT1_PNSt15iterator_traitsISH_E10value_typeET2_T3_PNSI_ISN_E10value_typeET4_jRbjT5_ST_jjP12ihipStream_tbEUlT_E0_NS1_11comp_targetILNS1_3genE0ELNS1_11target_archE4294967295ELNS1_3gpuE0ELNS1_3repE0EEENS1_60segmented_radix_sort_warp_sort_medium_config_static_selectorELNS0_4arch9wavefront6targetE0EEEvSH_.uses_vcc, 0
	.set _ZN7rocprim17ROCPRIM_400000_NS6detail17trampoline_kernelINS0_14default_configENS1_36segmented_radix_sort_config_selectorIllEEZNS1_25segmented_radix_sort_implIS3_Lb1EPKlPlS8_S9_N2at6native12_GLOBAL__N_18offset_tEEE10hipError_tPvRmT1_PNSt15iterator_traitsISH_E10value_typeET2_T3_PNSI_ISN_E10value_typeET4_jRbjT5_ST_jjP12ihipStream_tbEUlT_E0_NS1_11comp_targetILNS1_3genE0ELNS1_11target_archE4294967295ELNS1_3gpuE0ELNS1_3repE0EEENS1_60segmented_radix_sort_warp_sort_medium_config_static_selectorELNS0_4arch9wavefront6targetE0EEEvSH_.uses_flat_scratch, 0
	.set _ZN7rocprim17ROCPRIM_400000_NS6detail17trampoline_kernelINS0_14default_configENS1_36segmented_radix_sort_config_selectorIllEEZNS1_25segmented_radix_sort_implIS3_Lb1EPKlPlS8_S9_N2at6native12_GLOBAL__N_18offset_tEEE10hipError_tPvRmT1_PNSt15iterator_traitsISH_E10value_typeET2_T3_PNSI_ISN_E10value_typeET4_jRbjT5_ST_jjP12ihipStream_tbEUlT_E0_NS1_11comp_targetILNS1_3genE0ELNS1_11target_archE4294967295ELNS1_3gpuE0ELNS1_3repE0EEENS1_60segmented_radix_sort_warp_sort_medium_config_static_selectorELNS0_4arch9wavefront6targetE0EEEvSH_.has_dyn_sized_stack, 0
	.set _ZN7rocprim17ROCPRIM_400000_NS6detail17trampoline_kernelINS0_14default_configENS1_36segmented_radix_sort_config_selectorIllEEZNS1_25segmented_radix_sort_implIS3_Lb1EPKlPlS8_S9_N2at6native12_GLOBAL__N_18offset_tEEE10hipError_tPvRmT1_PNSt15iterator_traitsISH_E10value_typeET2_T3_PNSI_ISN_E10value_typeET4_jRbjT5_ST_jjP12ihipStream_tbEUlT_E0_NS1_11comp_targetILNS1_3genE0ELNS1_11target_archE4294967295ELNS1_3gpuE0ELNS1_3repE0EEENS1_60segmented_radix_sort_warp_sort_medium_config_static_selectorELNS0_4arch9wavefront6targetE0EEEvSH_.has_recursion, 0
	.set _ZN7rocprim17ROCPRIM_400000_NS6detail17trampoline_kernelINS0_14default_configENS1_36segmented_radix_sort_config_selectorIllEEZNS1_25segmented_radix_sort_implIS3_Lb1EPKlPlS8_S9_N2at6native12_GLOBAL__N_18offset_tEEE10hipError_tPvRmT1_PNSt15iterator_traitsISH_E10value_typeET2_T3_PNSI_ISN_E10value_typeET4_jRbjT5_ST_jjP12ihipStream_tbEUlT_E0_NS1_11comp_targetILNS1_3genE0ELNS1_11target_archE4294967295ELNS1_3gpuE0ELNS1_3repE0EEENS1_60segmented_radix_sort_warp_sort_medium_config_static_selectorELNS0_4arch9wavefront6targetE0EEEvSH_.has_indirect_call, 0
	.section	.AMDGPU.csdata,"",@progbits
; Kernel info:
; codeLenInByte = 0
; TotalNumSgprs: 0
; NumVgprs: 0
; ScratchSize: 0
; MemoryBound: 0
; FloatMode: 240
; IeeeMode: 1
; LDSByteSize: 0 bytes/workgroup (compile time only)
; SGPRBlocks: 0
; VGPRBlocks: 0
; NumSGPRsForWavesPerEU: 1
; NumVGPRsForWavesPerEU: 1
; Occupancy: 16
; WaveLimiterHint : 0
; COMPUTE_PGM_RSRC2:SCRATCH_EN: 0
; COMPUTE_PGM_RSRC2:USER_SGPR: 2
; COMPUTE_PGM_RSRC2:TRAP_HANDLER: 0
; COMPUTE_PGM_RSRC2:TGID_X_EN: 1
; COMPUTE_PGM_RSRC2:TGID_Y_EN: 0
; COMPUTE_PGM_RSRC2:TGID_Z_EN: 0
; COMPUTE_PGM_RSRC2:TIDIG_COMP_CNT: 0
	.section	.text._ZN7rocprim17ROCPRIM_400000_NS6detail17trampoline_kernelINS0_14default_configENS1_36segmented_radix_sort_config_selectorIllEEZNS1_25segmented_radix_sort_implIS3_Lb1EPKlPlS8_S9_N2at6native12_GLOBAL__N_18offset_tEEE10hipError_tPvRmT1_PNSt15iterator_traitsISH_E10value_typeET2_T3_PNSI_ISN_E10value_typeET4_jRbjT5_ST_jjP12ihipStream_tbEUlT_E0_NS1_11comp_targetILNS1_3genE5ELNS1_11target_archE942ELNS1_3gpuE9ELNS1_3repE0EEENS1_60segmented_radix_sort_warp_sort_medium_config_static_selectorELNS0_4arch9wavefront6targetE0EEEvSH_,"axG",@progbits,_ZN7rocprim17ROCPRIM_400000_NS6detail17trampoline_kernelINS0_14default_configENS1_36segmented_radix_sort_config_selectorIllEEZNS1_25segmented_radix_sort_implIS3_Lb1EPKlPlS8_S9_N2at6native12_GLOBAL__N_18offset_tEEE10hipError_tPvRmT1_PNSt15iterator_traitsISH_E10value_typeET2_T3_PNSI_ISN_E10value_typeET4_jRbjT5_ST_jjP12ihipStream_tbEUlT_E0_NS1_11comp_targetILNS1_3genE5ELNS1_11target_archE942ELNS1_3gpuE9ELNS1_3repE0EEENS1_60segmented_radix_sort_warp_sort_medium_config_static_selectorELNS0_4arch9wavefront6targetE0EEEvSH_,comdat
	.globl	_ZN7rocprim17ROCPRIM_400000_NS6detail17trampoline_kernelINS0_14default_configENS1_36segmented_radix_sort_config_selectorIllEEZNS1_25segmented_radix_sort_implIS3_Lb1EPKlPlS8_S9_N2at6native12_GLOBAL__N_18offset_tEEE10hipError_tPvRmT1_PNSt15iterator_traitsISH_E10value_typeET2_T3_PNSI_ISN_E10value_typeET4_jRbjT5_ST_jjP12ihipStream_tbEUlT_E0_NS1_11comp_targetILNS1_3genE5ELNS1_11target_archE942ELNS1_3gpuE9ELNS1_3repE0EEENS1_60segmented_radix_sort_warp_sort_medium_config_static_selectorELNS0_4arch9wavefront6targetE0EEEvSH_ ; -- Begin function _ZN7rocprim17ROCPRIM_400000_NS6detail17trampoline_kernelINS0_14default_configENS1_36segmented_radix_sort_config_selectorIllEEZNS1_25segmented_radix_sort_implIS3_Lb1EPKlPlS8_S9_N2at6native12_GLOBAL__N_18offset_tEEE10hipError_tPvRmT1_PNSt15iterator_traitsISH_E10value_typeET2_T3_PNSI_ISN_E10value_typeET4_jRbjT5_ST_jjP12ihipStream_tbEUlT_E0_NS1_11comp_targetILNS1_3genE5ELNS1_11target_archE942ELNS1_3gpuE9ELNS1_3repE0EEENS1_60segmented_radix_sort_warp_sort_medium_config_static_selectorELNS0_4arch9wavefront6targetE0EEEvSH_
	.p2align	8
	.type	_ZN7rocprim17ROCPRIM_400000_NS6detail17trampoline_kernelINS0_14default_configENS1_36segmented_radix_sort_config_selectorIllEEZNS1_25segmented_radix_sort_implIS3_Lb1EPKlPlS8_S9_N2at6native12_GLOBAL__N_18offset_tEEE10hipError_tPvRmT1_PNSt15iterator_traitsISH_E10value_typeET2_T3_PNSI_ISN_E10value_typeET4_jRbjT5_ST_jjP12ihipStream_tbEUlT_E0_NS1_11comp_targetILNS1_3genE5ELNS1_11target_archE942ELNS1_3gpuE9ELNS1_3repE0EEENS1_60segmented_radix_sort_warp_sort_medium_config_static_selectorELNS0_4arch9wavefront6targetE0EEEvSH_,@function
_ZN7rocprim17ROCPRIM_400000_NS6detail17trampoline_kernelINS0_14default_configENS1_36segmented_radix_sort_config_selectorIllEEZNS1_25segmented_radix_sort_implIS3_Lb1EPKlPlS8_S9_N2at6native12_GLOBAL__N_18offset_tEEE10hipError_tPvRmT1_PNSt15iterator_traitsISH_E10value_typeET2_T3_PNSI_ISN_E10value_typeET4_jRbjT5_ST_jjP12ihipStream_tbEUlT_E0_NS1_11comp_targetILNS1_3genE5ELNS1_11target_archE942ELNS1_3gpuE9ELNS1_3repE0EEENS1_60segmented_radix_sort_warp_sort_medium_config_static_selectorELNS0_4arch9wavefront6targetE0EEEvSH_: ; @_ZN7rocprim17ROCPRIM_400000_NS6detail17trampoline_kernelINS0_14default_configENS1_36segmented_radix_sort_config_selectorIllEEZNS1_25segmented_radix_sort_implIS3_Lb1EPKlPlS8_S9_N2at6native12_GLOBAL__N_18offset_tEEE10hipError_tPvRmT1_PNSt15iterator_traitsISH_E10value_typeET2_T3_PNSI_ISN_E10value_typeET4_jRbjT5_ST_jjP12ihipStream_tbEUlT_E0_NS1_11comp_targetILNS1_3genE5ELNS1_11target_archE942ELNS1_3gpuE9ELNS1_3repE0EEENS1_60segmented_radix_sort_warp_sort_medium_config_static_selectorELNS0_4arch9wavefront6targetE0EEEvSH_
; %bb.0:
	.section	.rodata,"a",@progbits
	.p2align	6, 0x0
	.amdhsa_kernel _ZN7rocprim17ROCPRIM_400000_NS6detail17trampoline_kernelINS0_14default_configENS1_36segmented_radix_sort_config_selectorIllEEZNS1_25segmented_radix_sort_implIS3_Lb1EPKlPlS8_S9_N2at6native12_GLOBAL__N_18offset_tEEE10hipError_tPvRmT1_PNSt15iterator_traitsISH_E10value_typeET2_T3_PNSI_ISN_E10value_typeET4_jRbjT5_ST_jjP12ihipStream_tbEUlT_E0_NS1_11comp_targetILNS1_3genE5ELNS1_11target_archE942ELNS1_3gpuE9ELNS1_3repE0EEENS1_60segmented_radix_sort_warp_sort_medium_config_static_selectorELNS0_4arch9wavefront6targetE0EEEvSH_
		.amdhsa_group_segment_fixed_size 0
		.amdhsa_private_segment_fixed_size 0
		.amdhsa_kernarg_size 88
		.amdhsa_user_sgpr_count 2
		.amdhsa_user_sgpr_dispatch_ptr 0
		.amdhsa_user_sgpr_queue_ptr 0
		.amdhsa_user_sgpr_kernarg_segment_ptr 1
		.amdhsa_user_sgpr_dispatch_id 0
		.amdhsa_user_sgpr_private_segment_size 0
		.amdhsa_wavefront_size32 1
		.amdhsa_uses_dynamic_stack 0
		.amdhsa_enable_private_segment 0
		.amdhsa_system_sgpr_workgroup_id_x 1
		.amdhsa_system_sgpr_workgroup_id_y 0
		.amdhsa_system_sgpr_workgroup_id_z 0
		.amdhsa_system_sgpr_workgroup_info 0
		.amdhsa_system_vgpr_workitem_id 0
		.amdhsa_next_free_vgpr 1
		.amdhsa_next_free_sgpr 1
		.amdhsa_reserve_vcc 0
		.amdhsa_float_round_mode_32 0
		.amdhsa_float_round_mode_16_64 0
		.amdhsa_float_denorm_mode_32 3
		.amdhsa_float_denorm_mode_16_64 3
		.amdhsa_fp16_overflow 0
		.amdhsa_workgroup_processor_mode 1
		.amdhsa_memory_ordered 1
		.amdhsa_forward_progress 1
		.amdhsa_inst_pref_size 0
		.amdhsa_round_robin_scheduling 0
		.amdhsa_exception_fp_ieee_invalid_op 0
		.amdhsa_exception_fp_denorm_src 0
		.amdhsa_exception_fp_ieee_div_zero 0
		.amdhsa_exception_fp_ieee_overflow 0
		.amdhsa_exception_fp_ieee_underflow 0
		.amdhsa_exception_fp_ieee_inexact 0
		.amdhsa_exception_int_div_zero 0
	.end_amdhsa_kernel
	.section	.text._ZN7rocprim17ROCPRIM_400000_NS6detail17trampoline_kernelINS0_14default_configENS1_36segmented_radix_sort_config_selectorIllEEZNS1_25segmented_radix_sort_implIS3_Lb1EPKlPlS8_S9_N2at6native12_GLOBAL__N_18offset_tEEE10hipError_tPvRmT1_PNSt15iterator_traitsISH_E10value_typeET2_T3_PNSI_ISN_E10value_typeET4_jRbjT5_ST_jjP12ihipStream_tbEUlT_E0_NS1_11comp_targetILNS1_3genE5ELNS1_11target_archE942ELNS1_3gpuE9ELNS1_3repE0EEENS1_60segmented_radix_sort_warp_sort_medium_config_static_selectorELNS0_4arch9wavefront6targetE0EEEvSH_,"axG",@progbits,_ZN7rocprim17ROCPRIM_400000_NS6detail17trampoline_kernelINS0_14default_configENS1_36segmented_radix_sort_config_selectorIllEEZNS1_25segmented_radix_sort_implIS3_Lb1EPKlPlS8_S9_N2at6native12_GLOBAL__N_18offset_tEEE10hipError_tPvRmT1_PNSt15iterator_traitsISH_E10value_typeET2_T3_PNSI_ISN_E10value_typeET4_jRbjT5_ST_jjP12ihipStream_tbEUlT_E0_NS1_11comp_targetILNS1_3genE5ELNS1_11target_archE942ELNS1_3gpuE9ELNS1_3repE0EEENS1_60segmented_radix_sort_warp_sort_medium_config_static_selectorELNS0_4arch9wavefront6targetE0EEEvSH_,comdat
.Lfunc_end715:
	.size	_ZN7rocprim17ROCPRIM_400000_NS6detail17trampoline_kernelINS0_14default_configENS1_36segmented_radix_sort_config_selectorIllEEZNS1_25segmented_radix_sort_implIS3_Lb1EPKlPlS8_S9_N2at6native12_GLOBAL__N_18offset_tEEE10hipError_tPvRmT1_PNSt15iterator_traitsISH_E10value_typeET2_T3_PNSI_ISN_E10value_typeET4_jRbjT5_ST_jjP12ihipStream_tbEUlT_E0_NS1_11comp_targetILNS1_3genE5ELNS1_11target_archE942ELNS1_3gpuE9ELNS1_3repE0EEENS1_60segmented_radix_sort_warp_sort_medium_config_static_selectorELNS0_4arch9wavefront6targetE0EEEvSH_, .Lfunc_end715-_ZN7rocprim17ROCPRIM_400000_NS6detail17trampoline_kernelINS0_14default_configENS1_36segmented_radix_sort_config_selectorIllEEZNS1_25segmented_radix_sort_implIS3_Lb1EPKlPlS8_S9_N2at6native12_GLOBAL__N_18offset_tEEE10hipError_tPvRmT1_PNSt15iterator_traitsISH_E10value_typeET2_T3_PNSI_ISN_E10value_typeET4_jRbjT5_ST_jjP12ihipStream_tbEUlT_E0_NS1_11comp_targetILNS1_3genE5ELNS1_11target_archE942ELNS1_3gpuE9ELNS1_3repE0EEENS1_60segmented_radix_sort_warp_sort_medium_config_static_selectorELNS0_4arch9wavefront6targetE0EEEvSH_
                                        ; -- End function
	.set _ZN7rocprim17ROCPRIM_400000_NS6detail17trampoline_kernelINS0_14default_configENS1_36segmented_radix_sort_config_selectorIllEEZNS1_25segmented_radix_sort_implIS3_Lb1EPKlPlS8_S9_N2at6native12_GLOBAL__N_18offset_tEEE10hipError_tPvRmT1_PNSt15iterator_traitsISH_E10value_typeET2_T3_PNSI_ISN_E10value_typeET4_jRbjT5_ST_jjP12ihipStream_tbEUlT_E0_NS1_11comp_targetILNS1_3genE5ELNS1_11target_archE942ELNS1_3gpuE9ELNS1_3repE0EEENS1_60segmented_radix_sort_warp_sort_medium_config_static_selectorELNS0_4arch9wavefront6targetE0EEEvSH_.num_vgpr, 0
	.set _ZN7rocprim17ROCPRIM_400000_NS6detail17trampoline_kernelINS0_14default_configENS1_36segmented_radix_sort_config_selectorIllEEZNS1_25segmented_radix_sort_implIS3_Lb1EPKlPlS8_S9_N2at6native12_GLOBAL__N_18offset_tEEE10hipError_tPvRmT1_PNSt15iterator_traitsISH_E10value_typeET2_T3_PNSI_ISN_E10value_typeET4_jRbjT5_ST_jjP12ihipStream_tbEUlT_E0_NS1_11comp_targetILNS1_3genE5ELNS1_11target_archE942ELNS1_3gpuE9ELNS1_3repE0EEENS1_60segmented_radix_sort_warp_sort_medium_config_static_selectorELNS0_4arch9wavefront6targetE0EEEvSH_.num_agpr, 0
	.set _ZN7rocprim17ROCPRIM_400000_NS6detail17trampoline_kernelINS0_14default_configENS1_36segmented_radix_sort_config_selectorIllEEZNS1_25segmented_radix_sort_implIS3_Lb1EPKlPlS8_S9_N2at6native12_GLOBAL__N_18offset_tEEE10hipError_tPvRmT1_PNSt15iterator_traitsISH_E10value_typeET2_T3_PNSI_ISN_E10value_typeET4_jRbjT5_ST_jjP12ihipStream_tbEUlT_E0_NS1_11comp_targetILNS1_3genE5ELNS1_11target_archE942ELNS1_3gpuE9ELNS1_3repE0EEENS1_60segmented_radix_sort_warp_sort_medium_config_static_selectorELNS0_4arch9wavefront6targetE0EEEvSH_.numbered_sgpr, 0
	.set _ZN7rocprim17ROCPRIM_400000_NS6detail17trampoline_kernelINS0_14default_configENS1_36segmented_radix_sort_config_selectorIllEEZNS1_25segmented_radix_sort_implIS3_Lb1EPKlPlS8_S9_N2at6native12_GLOBAL__N_18offset_tEEE10hipError_tPvRmT1_PNSt15iterator_traitsISH_E10value_typeET2_T3_PNSI_ISN_E10value_typeET4_jRbjT5_ST_jjP12ihipStream_tbEUlT_E0_NS1_11comp_targetILNS1_3genE5ELNS1_11target_archE942ELNS1_3gpuE9ELNS1_3repE0EEENS1_60segmented_radix_sort_warp_sort_medium_config_static_selectorELNS0_4arch9wavefront6targetE0EEEvSH_.num_named_barrier, 0
	.set _ZN7rocprim17ROCPRIM_400000_NS6detail17trampoline_kernelINS0_14default_configENS1_36segmented_radix_sort_config_selectorIllEEZNS1_25segmented_radix_sort_implIS3_Lb1EPKlPlS8_S9_N2at6native12_GLOBAL__N_18offset_tEEE10hipError_tPvRmT1_PNSt15iterator_traitsISH_E10value_typeET2_T3_PNSI_ISN_E10value_typeET4_jRbjT5_ST_jjP12ihipStream_tbEUlT_E0_NS1_11comp_targetILNS1_3genE5ELNS1_11target_archE942ELNS1_3gpuE9ELNS1_3repE0EEENS1_60segmented_radix_sort_warp_sort_medium_config_static_selectorELNS0_4arch9wavefront6targetE0EEEvSH_.private_seg_size, 0
	.set _ZN7rocprim17ROCPRIM_400000_NS6detail17trampoline_kernelINS0_14default_configENS1_36segmented_radix_sort_config_selectorIllEEZNS1_25segmented_radix_sort_implIS3_Lb1EPKlPlS8_S9_N2at6native12_GLOBAL__N_18offset_tEEE10hipError_tPvRmT1_PNSt15iterator_traitsISH_E10value_typeET2_T3_PNSI_ISN_E10value_typeET4_jRbjT5_ST_jjP12ihipStream_tbEUlT_E0_NS1_11comp_targetILNS1_3genE5ELNS1_11target_archE942ELNS1_3gpuE9ELNS1_3repE0EEENS1_60segmented_radix_sort_warp_sort_medium_config_static_selectorELNS0_4arch9wavefront6targetE0EEEvSH_.uses_vcc, 0
	.set _ZN7rocprim17ROCPRIM_400000_NS6detail17trampoline_kernelINS0_14default_configENS1_36segmented_radix_sort_config_selectorIllEEZNS1_25segmented_radix_sort_implIS3_Lb1EPKlPlS8_S9_N2at6native12_GLOBAL__N_18offset_tEEE10hipError_tPvRmT1_PNSt15iterator_traitsISH_E10value_typeET2_T3_PNSI_ISN_E10value_typeET4_jRbjT5_ST_jjP12ihipStream_tbEUlT_E0_NS1_11comp_targetILNS1_3genE5ELNS1_11target_archE942ELNS1_3gpuE9ELNS1_3repE0EEENS1_60segmented_radix_sort_warp_sort_medium_config_static_selectorELNS0_4arch9wavefront6targetE0EEEvSH_.uses_flat_scratch, 0
	.set _ZN7rocprim17ROCPRIM_400000_NS6detail17trampoline_kernelINS0_14default_configENS1_36segmented_radix_sort_config_selectorIllEEZNS1_25segmented_radix_sort_implIS3_Lb1EPKlPlS8_S9_N2at6native12_GLOBAL__N_18offset_tEEE10hipError_tPvRmT1_PNSt15iterator_traitsISH_E10value_typeET2_T3_PNSI_ISN_E10value_typeET4_jRbjT5_ST_jjP12ihipStream_tbEUlT_E0_NS1_11comp_targetILNS1_3genE5ELNS1_11target_archE942ELNS1_3gpuE9ELNS1_3repE0EEENS1_60segmented_radix_sort_warp_sort_medium_config_static_selectorELNS0_4arch9wavefront6targetE0EEEvSH_.has_dyn_sized_stack, 0
	.set _ZN7rocprim17ROCPRIM_400000_NS6detail17trampoline_kernelINS0_14default_configENS1_36segmented_radix_sort_config_selectorIllEEZNS1_25segmented_radix_sort_implIS3_Lb1EPKlPlS8_S9_N2at6native12_GLOBAL__N_18offset_tEEE10hipError_tPvRmT1_PNSt15iterator_traitsISH_E10value_typeET2_T3_PNSI_ISN_E10value_typeET4_jRbjT5_ST_jjP12ihipStream_tbEUlT_E0_NS1_11comp_targetILNS1_3genE5ELNS1_11target_archE942ELNS1_3gpuE9ELNS1_3repE0EEENS1_60segmented_radix_sort_warp_sort_medium_config_static_selectorELNS0_4arch9wavefront6targetE0EEEvSH_.has_recursion, 0
	.set _ZN7rocprim17ROCPRIM_400000_NS6detail17trampoline_kernelINS0_14default_configENS1_36segmented_radix_sort_config_selectorIllEEZNS1_25segmented_radix_sort_implIS3_Lb1EPKlPlS8_S9_N2at6native12_GLOBAL__N_18offset_tEEE10hipError_tPvRmT1_PNSt15iterator_traitsISH_E10value_typeET2_T3_PNSI_ISN_E10value_typeET4_jRbjT5_ST_jjP12ihipStream_tbEUlT_E0_NS1_11comp_targetILNS1_3genE5ELNS1_11target_archE942ELNS1_3gpuE9ELNS1_3repE0EEENS1_60segmented_radix_sort_warp_sort_medium_config_static_selectorELNS0_4arch9wavefront6targetE0EEEvSH_.has_indirect_call, 0
	.section	.AMDGPU.csdata,"",@progbits
; Kernel info:
; codeLenInByte = 0
; TotalNumSgprs: 0
; NumVgprs: 0
; ScratchSize: 0
; MemoryBound: 0
; FloatMode: 240
; IeeeMode: 1
; LDSByteSize: 0 bytes/workgroup (compile time only)
; SGPRBlocks: 0
; VGPRBlocks: 0
; NumSGPRsForWavesPerEU: 1
; NumVGPRsForWavesPerEU: 1
; Occupancy: 16
; WaveLimiterHint : 0
; COMPUTE_PGM_RSRC2:SCRATCH_EN: 0
; COMPUTE_PGM_RSRC2:USER_SGPR: 2
; COMPUTE_PGM_RSRC2:TRAP_HANDLER: 0
; COMPUTE_PGM_RSRC2:TGID_X_EN: 1
; COMPUTE_PGM_RSRC2:TGID_Y_EN: 0
; COMPUTE_PGM_RSRC2:TGID_Z_EN: 0
; COMPUTE_PGM_RSRC2:TIDIG_COMP_CNT: 0
	.section	.text._ZN7rocprim17ROCPRIM_400000_NS6detail17trampoline_kernelINS0_14default_configENS1_36segmented_radix_sort_config_selectorIllEEZNS1_25segmented_radix_sort_implIS3_Lb1EPKlPlS8_S9_N2at6native12_GLOBAL__N_18offset_tEEE10hipError_tPvRmT1_PNSt15iterator_traitsISH_E10value_typeET2_T3_PNSI_ISN_E10value_typeET4_jRbjT5_ST_jjP12ihipStream_tbEUlT_E0_NS1_11comp_targetILNS1_3genE4ELNS1_11target_archE910ELNS1_3gpuE8ELNS1_3repE0EEENS1_60segmented_radix_sort_warp_sort_medium_config_static_selectorELNS0_4arch9wavefront6targetE0EEEvSH_,"axG",@progbits,_ZN7rocprim17ROCPRIM_400000_NS6detail17trampoline_kernelINS0_14default_configENS1_36segmented_radix_sort_config_selectorIllEEZNS1_25segmented_radix_sort_implIS3_Lb1EPKlPlS8_S9_N2at6native12_GLOBAL__N_18offset_tEEE10hipError_tPvRmT1_PNSt15iterator_traitsISH_E10value_typeET2_T3_PNSI_ISN_E10value_typeET4_jRbjT5_ST_jjP12ihipStream_tbEUlT_E0_NS1_11comp_targetILNS1_3genE4ELNS1_11target_archE910ELNS1_3gpuE8ELNS1_3repE0EEENS1_60segmented_radix_sort_warp_sort_medium_config_static_selectorELNS0_4arch9wavefront6targetE0EEEvSH_,comdat
	.globl	_ZN7rocprim17ROCPRIM_400000_NS6detail17trampoline_kernelINS0_14default_configENS1_36segmented_radix_sort_config_selectorIllEEZNS1_25segmented_radix_sort_implIS3_Lb1EPKlPlS8_S9_N2at6native12_GLOBAL__N_18offset_tEEE10hipError_tPvRmT1_PNSt15iterator_traitsISH_E10value_typeET2_T3_PNSI_ISN_E10value_typeET4_jRbjT5_ST_jjP12ihipStream_tbEUlT_E0_NS1_11comp_targetILNS1_3genE4ELNS1_11target_archE910ELNS1_3gpuE8ELNS1_3repE0EEENS1_60segmented_radix_sort_warp_sort_medium_config_static_selectorELNS0_4arch9wavefront6targetE0EEEvSH_ ; -- Begin function _ZN7rocprim17ROCPRIM_400000_NS6detail17trampoline_kernelINS0_14default_configENS1_36segmented_radix_sort_config_selectorIllEEZNS1_25segmented_radix_sort_implIS3_Lb1EPKlPlS8_S9_N2at6native12_GLOBAL__N_18offset_tEEE10hipError_tPvRmT1_PNSt15iterator_traitsISH_E10value_typeET2_T3_PNSI_ISN_E10value_typeET4_jRbjT5_ST_jjP12ihipStream_tbEUlT_E0_NS1_11comp_targetILNS1_3genE4ELNS1_11target_archE910ELNS1_3gpuE8ELNS1_3repE0EEENS1_60segmented_radix_sort_warp_sort_medium_config_static_selectorELNS0_4arch9wavefront6targetE0EEEvSH_
	.p2align	8
	.type	_ZN7rocprim17ROCPRIM_400000_NS6detail17trampoline_kernelINS0_14default_configENS1_36segmented_radix_sort_config_selectorIllEEZNS1_25segmented_radix_sort_implIS3_Lb1EPKlPlS8_S9_N2at6native12_GLOBAL__N_18offset_tEEE10hipError_tPvRmT1_PNSt15iterator_traitsISH_E10value_typeET2_T3_PNSI_ISN_E10value_typeET4_jRbjT5_ST_jjP12ihipStream_tbEUlT_E0_NS1_11comp_targetILNS1_3genE4ELNS1_11target_archE910ELNS1_3gpuE8ELNS1_3repE0EEENS1_60segmented_radix_sort_warp_sort_medium_config_static_selectorELNS0_4arch9wavefront6targetE0EEEvSH_,@function
_ZN7rocprim17ROCPRIM_400000_NS6detail17trampoline_kernelINS0_14default_configENS1_36segmented_radix_sort_config_selectorIllEEZNS1_25segmented_radix_sort_implIS3_Lb1EPKlPlS8_S9_N2at6native12_GLOBAL__N_18offset_tEEE10hipError_tPvRmT1_PNSt15iterator_traitsISH_E10value_typeET2_T3_PNSI_ISN_E10value_typeET4_jRbjT5_ST_jjP12ihipStream_tbEUlT_E0_NS1_11comp_targetILNS1_3genE4ELNS1_11target_archE910ELNS1_3gpuE8ELNS1_3repE0EEENS1_60segmented_radix_sort_warp_sort_medium_config_static_selectorELNS0_4arch9wavefront6targetE0EEEvSH_: ; @_ZN7rocprim17ROCPRIM_400000_NS6detail17trampoline_kernelINS0_14default_configENS1_36segmented_radix_sort_config_selectorIllEEZNS1_25segmented_radix_sort_implIS3_Lb1EPKlPlS8_S9_N2at6native12_GLOBAL__N_18offset_tEEE10hipError_tPvRmT1_PNSt15iterator_traitsISH_E10value_typeET2_T3_PNSI_ISN_E10value_typeET4_jRbjT5_ST_jjP12ihipStream_tbEUlT_E0_NS1_11comp_targetILNS1_3genE4ELNS1_11target_archE910ELNS1_3gpuE8ELNS1_3repE0EEENS1_60segmented_radix_sort_warp_sort_medium_config_static_selectorELNS0_4arch9wavefront6targetE0EEEvSH_
; %bb.0:
	.section	.rodata,"a",@progbits
	.p2align	6, 0x0
	.amdhsa_kernel _ZN7rocprim17ROCPRIM_400000_NS6detail17trampoline_kernelINS0_14default_configENS1_36segmented_radix_sort_config_selectorIllEEZNS1_25segmented_radix_sort_implIS3_Lb1EPKlPlS8_S9_N2at6native12_GLOBAL__N_18offset_tEEE10hipError_tPvRmT1_PNSt15iterator_traitsISH_E10value_typeET2_T3_PNSI_ISN_E10value_typeET4_jRbjT5_ST_jjP12ihipStream_tbEUlT_E0_NS1_11comp_targetILNS1_3genE4ELNS1_11target_archE910ELNS1_3gpuE8ELNS1_3repE0EEENS1_60segmented_radix_sort_warp_sort_medium_config_static_selectorELNS0_4arch9wavefront6targetE0EEEvSH_
		.amdhsa_group_segment_fixed_size 0
		.amdhsa_private_segment_fixed_size 0
		.amdhsa_kernarg_size 88
		.amdhsa_user_sgpr_count 2
		.amdhsa_user_sgpr_dispatch_ptr 0
		.amdhsa_user_sgpr_queue_ptr 0
		.amdhsa_user_sgpr_kernarg_segment_ptr 1
		.amdhsa_user_sgpr_dispatch_id 0
		.amdhsa_user_sgpr_private_segment_size 0
		.amdhsa_wavefront_size32 1
		.amdhsa_uses_dynamic_stack 0
		.amdhsa_enable_private_segment 0
		.amdhsa_system_sgpr_workgroup_id_x 1
		.amdhsa_system_sgpr_workgroup_id_y 0
		.amdhsa_system_sgpr_workgroup_id_z 0
		.amdhsa_system_sgpr_workgroup_info 0
		.amdhsa_system_vgpr_workitem_id 0
		.amdhsa_next_free_vgpr 1
		.amdhsa_next_free_sgpr 1
		.amdhsa_reserve_vcc 0
		.amdhsa_float_round_mode_32 0
		.amdhsa_float_round_mode_16_64 0
		.amdhsa_float_denorm_mode_32 3
		.amdhsa_float_denorm_mode_16_64 3
		.amdhsa_fp16_overflow 0
		.amdhsa_workgroup_processor_mode 1
		.amdhsa_memory_ordered 1
		.amdhsa_forward_progress 1
		.amdhsa_inst_pref_size 0
		.amdhsa_round_robin_scheduling 0
		.amdhsa_exception_fp_ieee_invalid_op 0
		.amdhsa_exception_fp_denorm_src 0
		.amdhsa_exception_fp_ieee_div_zero 0
		.amdhsa_exception_fp_ieee_overflow 0
		.amdhsa_exception_fp_ieee_underflow 0
		.amdhsa_exception_fp_ieee_inexact 0
		.amdhsa_exception_int_div_zero 0
	.end_amdhsa_kernel
	.section	.text._ZN7rocprim17ROCPRIM_400000_NS6detail17trampoline_kernelINS0_14default_configENS1_36segmented_radix_sort_config_selectorIllEEZNS1_25segmented_radix_sort_implIS3_Lb1EPKlPlS8_S9_N2at6native12_GLOBAL__N_18offset_tEEE10hipError_tPvRmT1_PNSt15iterator_traitsISH_E10value_typeET2_T3_PNSI_ISN_E10value_typeET4_jRbjT5_ST_jjP12ihipStream_tbEUlT_E0_NS1_11comp_targetILNS1_3genE4ELNS1_11target_archE910ELNS1_3gpuE8ELNS1_3repE0EEENS1_60segmented_radix_sort_warp_sort_medium_config_static_selectorELNS0_4arch9wavefront6targetE0EEEvSH_,"axG",@progbits,_ZN7rocprim17ROCPRIM_400000_NS6detail17trampoline_kernelINS0_14default_configENS1_36segmented_radix_sort_config_selectorIllEEZNS1_25segmented_radix_sort_implIS3_Lb1EPKlPlS8_S9_N2at6native12_GLOBAL__N_18offset_tEEE10hipError_tPvRmT1_PNSt15iterator_traitsISH_E10value_typeET2_T3_PNSI_ISN_E10value_typeET4_jRbjT5_ST_jjP12ihipStream_tbEUlT_E0_NS1_11comp_targetILNS1_3genE4ELNS1_11target_archE910ELNS1_3gpuE8ELNS1_3repE0EEENS1_60segmented_radix_sort_warp_sort_medium_config_static_selectorELNS0_4arch9wavefront6targetE0EEEvSH_,comdat
.Lfunc_end716:
	.size	_ZN7rocprim17ROCPRIM_400000_NS6detail17trampoline_kernelINS0_14default_configENS1_36segmented_radix_sort_config_selectorIllEEZNS1_25segmented_radix_sort_implIS3_Lb1EPKlPlS8_S9_N2at6native12_GLOBAL__N_18offset_tEEE10hipError_tPvRmT1_PNSt15iterator_traitsISH_E10value_typeET2_T3_PNSI_ISN_E10value_typeET4_jRbjT5_ST_jjP12ihipStream_tbEUlT_E0_NS1_11comp_targetILNS1_3genE4ELNS1_11target_archE910ELNS1_3gpuE8ELNS1_3repE0EEENS1_60segmented_radix_sort_warp_sort_medium_config_static_selectorELNS0_4arch9wavefront6targetE0EEEvSH_, .Lfunc_end716-_ZN7rocprim17ROCPRIM_400000_NS6detail17trampoline_kernelINS0_14default_configENS1_36segmented_radix_sort_config_selectorIllEEZNS1_25segmented_radix_sort_implIS3_Lb1EPKlPlS8_S9_N2at6native12_GLOBAL__N_18offset_tEEE10hipError_tPvRmT1_PNSt15iterator_traitsISH_E10value_typeET2_T3_PNSI_ISN_E10value_typeET4_jRbjT5_ST_jjP12ihipStream_tbEUlT_E0_NS1_11comp_targetILNS1_3genE4ELNS1_11target_archE910ELNS1_3gpuE8ELNS1_3repE0EEENS1_60segmented_radix_sort_warp_sort_medium_config_static_selectorELNS0_4arch9wavefront6targetE0EEEvSH_
                                        ; -- End function
	.set _ZN7rocprim17ROCPRIM_400000_NS6detail17trampoline_kernelINS0_14default_configENS1_36segmented_radix_sort_config_selectorIllEEZNS1_25segmented_radix_sort_implIS3_Lb1EPKlPlS8_S9_N2at6native12_GLOBAL__N_18offset_tEEE10hipError_tPvRmT1_PNSt15iterator_traitsISH_E10value_typeET2_T3_PNSI_ISN_E10value_typeET4_jRbjT5_ST_jjP12ihipStream_tbEUlT_E0_NS1_11comp_targetILNS1_3genE4ELNS1_11target_archE910ELNS1_3gpuE8ELNS1_3repE0EEENS1_60segmented_radix_sort_warp_sort_medium_config_static_selectorELNS0_4arch9wavefront6targetE0EEEvSH_.num_vgpr, 0
	.set _ZN7rocprim17ROCPRIM_400000_NS6detail17trampoline_kernelINS0_14default_configENS1_36segmented_radix_sort_config_selectorIllEEZNS1_25segmented_radix_sort_implIS3_Lb1EPKlPlS8_S9_N2at6native12_GLOBAL__N_18offset_tEEE10hipError_tPvRmT1_PNSt15iterator_traitsISH_E10value_typeET2_T3_PNSI_ISN_E10value_typeET4_jRbjT5_ST_jjP12ihipStream_tbEUlT_E0_NS1_11comp_targetILNS1_3genE4ELNS1_11target_archE910ELNS1_3gpuE8ELNS1_3repE0EEENS1_60segmented_radix_sort_warp_sort_medium_config_static_selectorELNS0_4arch9wavefront6targetE0EEEvSH_.num_agpr, 0
	.set _ZN7rocprim17ROCPRIM_400000_NS6detail17trampoline_kernelINS0_14default_configENS1_36segmented_radix_sort_config_selectorIllEEZNS1_25segmented_radix_sort_implIS3_Lb1EPKlPlS8_S9_N2at6native12_GLOBAL__N_18offset_tEEE10hipError_tPvRmT1_PNSt15iterator_traitsISH_E10value_typeET2_T3_PNSI_ISN_E10value_typeET4_jRbjT5_ST_jjP12ihipStream_tbEUlT_E0_NS1_11comp_targetILNS1_3genE4ELNS1_11target_archE910ELNS1_3gpuE8ELNS1_3repE0EEENS1_60segmented_radix_sort_warp_sort_medium_config_static_selectorELNS0_4arch9wavefront6targetE0EEEvSH_.numbered_sgpr, 0
	.set _ZN7rocprim17ROCPRIM_400000_NS6detail17trampoline_kernelINS0_14default_configENS1_36segmented_radix_sort_config_selectorIllEEZNS1_25segmented_radix_sort_implIS3_Lb1EPKlPlS8_S9_N2at6native12_GLOBAL__N_18offset_tEEE10hipError_tPvRmT1_PNSt15iterator_traitsISH_E10value_typeET2_T3_PNSI_ISN_E10value_typeET4_jRbjT5_ST_jjP12ihipStream_tbEUlT_E0_NS1_11comp_targetILNS1_3genE4ELNS1_11target_archE910ELNS1_3gpuE8ELNS1_3repE0EEENS1_60segmented_radix_sort_warp_sort_medium_config_static_selectorELNS0_4arch9wavefront6targetE0EEEvSH_.num_named_barrier, 0
	.set _ZN7rocprim17ROCPRIM_400000_NS6detail17trampoline_kernelINS0_14default_configENS1_36segmented_radix_sort_config_selectorIllEEZNS1_25segmented_radix_sort_implIS3_Lb1EPKlPlS8_S9_N2at6native12_GLOBAL__N_18offset_tEEE10hipError_tPvRmT1_PNSt15iterator_traitsISH_E10value_typeET2_T3_PNSI_ISN_E10value_typeET4_jRbjT5_ST_jjP12ihipStream_tbEUlT_E0_NS1_11comp_targetILNS1_3genE4ELNS1_11target_archE910ELNS1_3gpuE8ELNS1_3repE0EEENS1_60segmented_radix_sort_warp_sort_medium_config_static_selectorELNS0_4arch9wavefront6targetE0EEEvSH_.private_seg_size, 0
	.set _ZN7rocprim17ROCPRIM_400000_NS6detail17trampoline_kernelINS0_14default_configENS1_36segmented_radix_sort_config_selectorIllEEZNS1_25segmented_radix_sort_implIS3_Lb1EPKlPlS8_S9_N2at6native12_GLOBAL__N_18offset_tEEE10hipError_tPvRmT1_PNSt15iterator_traitsISH_E10value_typeET2_T3_PNSI_ISN_E10value_typeET4_jRbjT5_ST_jjP12ihipStream_tbEUlT_E0_NS1_11comp_targetILNS1_3genE4ELNS1_11target_archE910ELNS1_3gpuE8ELNS1_3repE0EEENS1_60segmented_radix_sort_warp_sort_medium_config_static_selectorELNS0_4arch9wavefront6targetE0EEEvSH_.uses_vcc, 0
	.set _ZN7rocprim17ROCPRIM_400000_NS6detail17trampoline_kernelINS0_14default_configENS1_36segmented_radix_sort_config_selectorIllEEZNS1_25segmented_radix_sort_implIS3_Lb1EPKlPlS8_S9_N2at6native12_GLOBAL__N_18offset_tEEE10hipError_tPvRmT1_PNSt15iterator_traitsISH_E10value_typeET2_T3_PNSI_ISN_E10value_typeET4_jRbjT5_ST_jjP12ihipStream_tbEUlT_E0_NS1_11comp_targetILNS1_3genE4ELNS1_11target_archE910ELNS1_3gpuE8ELNS1_3repE0EEENS1_60segmented_radix_sort_warp_sort_medium_config_static_selectorELNS0_4arch9wavefront6targetE0EEEvSH_.uses_flat_scratch, 0
	.set _ZN7rocprim17ROCPRIM_400000_NS6detail17trampoline_kernelINS0_14default_configENS1_36segmented_radix_sort_config_selectorIllEEZNS1_25segmented_radix_sort_implIS3_Lb1EPKlPlS8_S9_N2at6native12_GLOBAL__N_18offset_tEEE10hipError_tPvRmT1_PNSt15iterator_traitsISH_E10value_typeET2_T3_PNSI_ISN_E10value_typeET4_jRbjT5_ST_jjP12ihipStream_tbEUlT_E0_NS1_11comp_targetILNS1_3genE4ELNS1_11target_archE910ELNS1_3gpuE8ELNS1_3repE0EEENS1_60segmented_radix_sort_warp_sort_medium_config_static_selectorELNS0_4arch9wavefront6targetE0EEEvSH_.has_dyn_sized_stack, 0
	.set _ZN7rocprim17ROCPRIM_400000_NS6detail17trampoline_kernelINS0_14default_configENS1_36segmented_radix_sort_config_selectorIllEEZNS1_25segmented_radix_sort_implIS3_Lb1EPKlPlS8_S9_N2at6native12_GLOBAL__N_18offset_tEEE10hipError_tPvRmT1_PNSt15iterator_traitsISH_E10value_typeET2_T3_PNSI_ISN_E10value_typeET4_jRbjT5_ST_jjP12ihipStream_tbEUlT_E0_NS1_11comp_targetILNS1_3genE4ELNS1_11target_archE910ELNS1_3gpuE8ELNS1_3repE0EEENS1_60segmented_radix_sort_warp_sort_medium_config_static_selectorELNS0_4arch9wavefront6targetE0EEEvSH_.has_recursion, 0
	.set _ZN7rocprim17ROCPRIM_400000_NS6detail17trampoline_kernelINS0_14default_configENS1_36segmented_radix_sort_config_selectorIllEEZNS1_25segmented_radix_sort_implIS3_Lb1EPKlPlS8_S9_N2at6native12_GLOBAL__N_18offset_tEEE10hipError_tPvRmT1_PNSt15iterator_traitsISH_E10value_typeET2_T3_PNSI_ISN_E10value_typeET4_jRbjT5_ST_jjP12ihipStream_tbEUlT_E0_NS1_11comp_targetILNS1_3genE4ELNS1_11target_archE910ELNS1_3gpuE8ELNS1_3repE0EEENS1_60segmented_radix_sort_warp_sort_medium_config_static_selectorELNS0_4arch9wavefront6targetE0EEEvSH_.has_indirect_call, 0
	.section	.AMDGPU.csdata,"",@progbits
; Kernel info:
; codeLenInByte = 0
; TotalNumSgprs: 0
; NumVgprs: 0
; ScratchSize: 0
; MemoryBound: 0
; FloatMode: 240
; IeeeMode: 1
; LDSByteSize: 0 bytes/workgroup (compile time only)
; SGPRBlocks: 0
; VGPRBlocks: 0
; NumSGPRsForWavesPerEU: 1
; NumVGPRsForWavesPerEU: 1
; Occupancy: 16
; WaveLimiterHint : 0
; COMPUTE_PGM_RSRC2:SCRATCH_EN: 0
; COMPUTE_PGM_RSRC2:USER_SGPR: 2
; COMPUTE_PGM_RSRC2:TRAP_HANDLER: 0
; COMPUTE_PGM_RSRC2:TGID_X_EN: 1
; COMPUTE_PGM_RSRC2:TGID_Y_EN: 0
; COMPUTE_PGM_RSRC2:TGID_Z_EN: 0
; COMPUTE_PGM_RSRC2:TIDIG_COMP_CNT: 0
	.section	.text._ZN7rocprim17ROCPRIM_400000_NS6detail17trampoline_kernelINS0_14default_configENS1_36segmented_radix_sort_config_selectorIllEEZNS1_25segmented_radix_sort_implIS3_Lb1EPKlPlS8_S9_N2at6native12_GLOBAL__N_18offset_tEEE10hipError_tPvRmT1_PNSt15iterator_traitsISH_E10value_typeET2_T3_PNSI_ISN_E10value_typeET4_jRbjT5_ST_jjP12ihipStream_tbEUlT_E0_NS1_11comp_targetILNS1_3genE3ELNS1_11target_archE908ELNS1_3gpuE7ELNS1_3repE0EEENS1_60segmented_radix_sort_warp_sort_medium_config_static_selectorELNS0_4arch9wavefront6targetE0EEEvSH_,"axG",@progbits,_ZN7rocprim17ROCPRIM_400000_NS6detail17trampoline_kernelINS0_14default_configENS1_36segmented_radix_sort_config_selectorIllEEZNS1_25segmented_radix_sort_implIS3_Lb1EPKlPlS8_S9_N2at6native12_GLOBAL__N_18offset_tEEE10hipError_tPvRmT1_PNSt15iterator_traitsISH_E10value_typeET2_T3_PNSI_ISN_E10value_typeET4_jRbjT5_ST_jjP12ihipStream_tbEUlT_E0_NS1_11comp_targetILNS1_3genE3ELNS1_11target_archE908ELNS1_3gpuE7ELNS1_3repE0EEENS1_60segmented_radix_sort_warp_sort_medium_config_static_selectorELNS0_4arch9wavefront6targetE0EEEvSH_,comdat
	.globl	_ZN7rocprim17ROCPRIM_400000_NS6detail17trampoline_kernelINS0_14default_configENS1_36segmented_radix_sort_config_selectorIllEEZNS1_25segmented_radix_sort_implIS3_Lb1EPKlPlS8_S9_N2at6native12_GLOBAL__N_18offset_tEEE10hipError_tPvRmT1_PNSt15iterator_traitsISH_E10value_typeET2_T3_PNSI_ISN_E10value_typeET4_jRbjT5_ST_jjP12ihipStream_tbEUlT_E0_NS1_11comp_targetILNS1_3genE3ELNS1_11target_archE908ELNS1_3gpuE7ELNS1_3repE0EEENS1_60segmented_radix_sort_warp_sort_medium_config_static_selectorELNS0_4arch9wavefront6targetE0EEEvSH_ ; -- Begin function _ZN7rocprim17ROCPRIM_400000_NS6detail17trampoline_kernelINS0_14default_configENS1_36segmented_radix_sort_config_selectorIllEEZNS1_25segmented_radix_sort_implIS3_Lb1EPKlPlS8_S9_N2at6native12_GLOBAL__N_18offset_tEEE10hipError_tPvRmT1_PNSt15iterator_traitsISH_E10value_typeET2_T3_PNSI_ISN_E10value_typeET4_jRbjT5_ST_jjP12ihipStream_tbEUlT_E0_NS1_11comp_targetILNS1_3genE3ELNS1_11target_archE908ELNS1_3gpuE7ELNS1_3repE0EEENS1_60segmented_radix_sort_warp_sort_medium_config_static_selectorELNS0_4arch9wavefront6targetE0EEEvSH_
	.p2align	8
	.type	_ZN7rocprim17ROCPRIM_400000_NS6detail17trampoline_kernelINS0_14default_configENS1_36segmented_radix_sort_config_selectorIllEEZNS1_25segmented_radix_sort_implIS3_Lb1EPKlPlS8_S9_N2at6native12_GLOBAL__N_18offset_tEEE10hipError_tPvRmT1_PNSt15iterator_traitsISH_E10value_typeET2_T3_PNSI_ISN_E10value_typeET4_jRbjT5_ST_jjP12ihipStream_tbEUlT_E0_NS1_11comp_targetILNS1_3genE3ELNS1_11target_archE908ELNS1_3gpuE7ELNS1_3repE0EEENS1_60segmented_radix_sort_warp_sort_medium_config_static_selectorELNS0_4arch9wavefront6targetE0EEEvSH_,@function
_ZN7rocprim17ROCPRIM_400000_NS6detail17trampoline_kernelINS0_14default_configENS1_36segmented_radix_sort_config_selectorIllEEZNS1_25segmented_radix_sort_implIS3_Lb1EPKlPlS8_S9_N2at6native12_GLOBAL__N_18offset_tEEE10hipError_tPvRmT1_PNSt15iterator_traitsISH_E10value_typeET2_T3_PNSI_ISN_E10value_typeET4_jRbjT5_ST_jjP12ihipStream_tbEUlT_E0_NS1_11comp_targetILNS1_3genE3ELNS1_11target_archE908ELNS1_3gpuE7ELNS1_3repE0EEENS1_60segmented_radix_sort_warp_sort_medium_config_static_selectorELNS0_4arch9wavefront6targetE0EEEvSH_: ; @_ZN7rocprim17ROCPRIM_400000_NS6detail17trampoline_kernelINS0_14default_configENS1_36segmented_radix_sort_config_selectorIllEEZNS1_25segmented_radix_sort_implIS3_Lb1EPKlPlS8_S9_N2at6native12_GLOBAL__N_18offset_tEEE10hipError_tPvRmT1_PNSt15iterator_traitsISH_E10value_typeET2_T3_PNSI_ISN_E10value_typeET4_jRbjT5_ST_jjP12ihipStream_tbEUlT_E0_NS1_11comp_targetILNS1_3genE3ELNS1_11target_archE908ELNS1_3gpuE7ELNS1_3repE0EEENS1_60segmented_radix_sort_warp_sort_medium_config_static_selectorELNS0_4arch9wavefront6targetE0EEEvSH_
; %bb.0:
	.section	.rodata,"a",@progbits
	.p2align	6, 0x0
	.amdhsa_kernel _ZN7rocprim17ROCPRIM_400000_NS6detail17trampoline_kernelINS0_14default_configENS1_36segmented_radix_sort_config_selectorIllEEZNS1_25segmented_radix_sort_implIS3_Lb1EPKlPlS8_S9_N2at6native12_GLOBAL__N_18offset_tEEE10hipError_tPvRmT1_PNSt15iterator_traitsISH_E10value_typeET2_T3_PNSI_ISN_E10value_typeET4_jRbjT5_ST_jjP12ihipStream_tbEUlT_E0_NS1_11comp_targetILNS1_3genE3ELNS1_11target_archE908ELNS1_3gpuE7ELNS1_3repE0EEENS1_60segmented_radix_sort_warp_sort_medium_config_static_selectorELNS0_4arch9wavefront6targetE0EEEvSH_
		.amdhsa_group_segment_fixed_size 0
		.amdhsa_private_segment_fixed_size 0
		.amdhsa_kernarg_size 88
		.amdhsa_user_sgpr_count 2
		.amdhsa_user_sgpr_dispatch_ptr 0
		.amdhsa_user_sgpr_queue_ptr 0
		.amdhsa_user_sgpr_kernarg_segment_ptr 1
		.amdhsa_user_sgpr_dispatch_id 0
		.amdhsa_user_sgpr_private_segment_size 0
		.amdhsa_wavefront_size32 1
		.amdhsa_uses_dynamic_stack 0
		.amdhsa_enable_private_segment 0
		.amdhsa_system_sgpr_workgroup_id_x 1
		.amdhsa_system_sgpr_workgroup_id_y 0
		.amdhsa_system_sgpr_workgroup_id_z 0
		.amdhsa_system_sgpr_workgroup_info 0
		.amdhsa_system_vgpr_workitem_id 0
		.amdhsa_next_free_vgpr 1
		.amdhsa_next_free_sgpr 1
		.amdhsa_reserve_vcc 0
		.amdhsa_float_round_mode_32 0
		.amdhsa_float_round_mode_16_64 0
		.amdhsa_float_denorm_mode_32 3
		.amdhsa_float_denorm_mode_16_64 3
		.amdhsa_fp16_overflow 0
		.amdhsa_workgroup_processor_mode 1
		.amdhsa_memory_ordered 1
		.amdhsa_forward_progress 1
		.amdhsa_inst_pref_size 0
		.amdhsa_round_robin_scheduling 0
		.amdhsa_exception_fp_ieee_invalid_op 0
		.amdhsa_exception_fp_denorm_src 0
		.amdhsa_exception_fp_ieee_div_zero 0
		.amdhsa_exception_fp_ieee_overflow 0
		.amdhsa_exception_fp_ieee_underflow 0
		.amdhsa_exception_fp_ieee_inexact 0
		.amdhsa_exception_int_div_zero 0
	.end_amdhsa_kernel
	.section	.text._ZN7rocprim17ROCPRIM_400000_NS6detail17trampoline_kernelINS0_14default_configENS1_36segmented_radix_sort_config_selectorIllEEZNS1_25segmented_radix_sort_implIS3_Lb1EPKlPlS8_S9_N2at6native12_GLOBAL__N_18offset_tEEE10hipError_tPvRmT1_PNSt15iterator_traitsISH_E10value_typeET2_T3_PNSI_ISN_E10value_typeET4_jRbjT5_ST_jjP12ihipStream_tbEUlT_E0_NS1_11comp_targetILNS1_3genE3ELNS1_11target_archE908ELNS1_3gpuE7ELNS1_3repE0EEENS1_60segmented_radix_sort_warp_sort_medium_config_static_selectorELNS0_4arch9wavefront6targetE0EEEvSH_,"axG",@progbits,_ZN7rocprim17ROCPRIM_400000_NS6detail17trampoline_kernelINS0_14default_configENS1_36segmented_radix_sort_config_selectorIllEEZNS1_25segmented_radix_sort_implIS3_Lb1EPKlPlS8_S9_N2at6native12_GLOBAL__N_18offset_tEEE10hipError_tPvRmT1_PNSt15iterator_traitsISH_E10value_typeET2_T3_PNSI_ISN_E10value_typeET4_jRbjT5_ST_jjP12ihipStream_tbEUlT_E0_NS1_11comp_targetILNS1_3genE3ELNS1_11target_archE908ELNS1_3gpuE7ELNS1_3repE0EEENS1_60segmented_radix_sort_warp_sort_medium_config_static_selectorELNS0_4arch9wavefront6targetE0EEEvSH_,comdat
.Lfunc_end717:
	.size	_ZN7rocprim17ROCPRIM_400000_NS6detail17trampoline_kernelINS0_14default_configENS1_36segmented_radix_sort_config_selectorIllEEZNS1_25segmented_radix_sort_implIS3_Lb1EPKlPlS8_S9_N2at6native12_GLOBAL__N_18offset_tEEE10hipError_tPvRmT1_PNSt15iterator_traitsISH_E10value_typeET2_T3_PNSI_ISN_E10value_typeET4_jRbjT5_ST_jjP12ihipStream_tbEUlT_E0_NS1_11comp_targetILNS1_3genE3ELNS1_11target_archE908ELNS1_3gpuE7ELNS1_3repE0EEENS1_60segmented_radix_sort_warp_sort_medium_config_static_selectorELNS0_4arch9wavefront6targetE0EEEvSH_, .Lfunc_end717-_ZN7rocprim17ROCPRIM_400000_NS6detail17trampoline_kernelINS0_14default_configENS1_36segmented_radix_sort_config_selectorIllEEZNS1_25segmented_radix_sort_implIS3_Lb1EPKlPlS8_S9_N2at6native12_GLOBAL__N_18offset_tEEE10hipError_tPvRmT1_PNSt15iterator_traitsISH_E10value_typeET2_T3_PNSI_ISN_E10value_typeET4_jRbjT5_ST_jjP12ihipStream_tbEUlT_E0_NS1_11comp_targetILNS1_3genE3ELNS1_11target_archE908ELNS1_3gpuE7ELNS1_3repE0EEENS1_60segmented_radix_sort_warp_sort_medium_config_static_selectorELNS0_4arch9wavefront6targetE0EEEvSH_
                                        ; -- End function
	.set _ZN7rocprim17ROCPRIM_400000_NS6detail17trampoline_kernelINS0_14default_configENS1_36segmented_radix_sort_config_selectorIllEEZNS1_25segmented_radix_sort_implIS3_Lb1EPKlPlS8_S9_N2at6native12_GLOBAL__N_18offset_tEEE10hipError_tPvRmT1_PNSt15iterator_traitsISH_E10value_typeET2_T3_PNSI_ISN_E10value_typeET4_jRbjT5_ST_jjP12ihipStream_tbEUlT_E0_NS1_11comp_targetILNS1_3genE3ELNS1_11target_archE908ELNS1_3gpuE7ELNS1_3repE0EEENS1_60segmented_radix_sort_warp_sort_medium_config_static_selectorELNS0_4arch9wavefront6targetE0EEEvSH_.num_vgpr, 0
	.set _ZN7rocprim17ROCPRIM_400000_NS6detail17trampoline_kernelINS0_14default_configENS1_36segmented_radix_sort_config_selectorIllEEZNS1_25segmented_radix_sort_implIS3_Lb1EPKlPlS8_S9_N2at6native12_GLOBAL__N_18offset_tEEE10hipError_tPvRmT1_PNSt15iterator_traitsISH_E10value_typeET2_T3_PNSI_ISN_E10value_typeET4_jRbjT5_ST_jjP12ihipStream_tbEUlT_E0_NS1_11comp_targetILNS1_3genE3ELNS1_11target_archE908ELNS1_3gpuE7ELNS1_3repE0EEENS1_60segmented_radix_sort_warp_sort_medium_config_static_selectorELNS0_4arch9wavefront6targetE0EEEvSH_.num_agpr, 0
	.set _ZN7rocprim17ROCPRIM_400000_NS6detail17trampoline_kernelINS0_14default_configENS1_36segmented_radix_sort_config_selectorIllEEZNS1_25segmented_radix_sort_implIS3_Lb1EPKlPlS8_S9_N2at6native12_GLOBAL__N_18offset_tEEE10hipError_tPvRmT1_PNSt15iterator_traitsISH_E10value_typeET2_T3_PNSI_ISN_E10value_typeET4_jRbjT5_ST_jjP12ihipStream_tbEUlT_E0_NS1_11comp_targetILNS1_3genE3ELNS1_11target_archE908ELNS1_3gpuE7ELNS1_3repE0EEENS1_60segmented_radix_sort_warp_sort_medium_config_static_selectorELNS0_4arch9wavefront6targetE0EEEvSH_.numbered_sgpr, 0
	.set _ZN7rocprim17ROCPRIM_400000_NS6detail17trampoline_kernelINS0_14default_configENS1_36segmented_radix_sort_config_selectorIllEEZNS1_25segmented_radix_sort_implIS3_Lb1EPKlPlS8_S9_N2at6native12_GLOBAL__N_18offset_tEEE10hipError_tPvRmT1_PNSt15iterator_traitsISH_E10value_typeET2_T3_PNSI_ISN_E10value_typeET4_jRbjT5_ST_jjP12ihipStream_tbEUlT_E0_NS1_11comp_targetILNS1_3genE3ELNS1_11target_archE908ELNS1_3gpuE7ELNS1_3repE0EEENS1_60segmented_radix_sort_warp_sort_medium_config_static_selectorELNS0_4arch9wavefront6targetE0EEEvSH_.num_named_barrier, 0
	.set _ZN7rocprim17ROCPRIM_400000_NS6detail17trampoline_kernelINS0_14default_configENS1_36segmented_radix_sort_config_selectorIllEEZNS1_25segmented_radix_sort_implIS3_Lb1EPKlPlS8_S9_N2at6native12_GLOBAL__N_18offset_tEEE10hipError_tPvRmT1_PNSt15iterator_traitsISH_E10value_typeET2_T3_PNSI_ISN_E10value_typeET4_jRbjT5_ST_jjP12ihipStream_tbEUlT_E0_NS1_11comp_targetILNS1_3genE3ELNS1_11target_archE908ELNS1_3gpuE7ELNS1_3repE0EEENS1_60segmented_radix_sort_warp_sort_medium_config_static_selectorELNS0_4arch9wavefront6targetE0EEEvSH_.private_seg_size, 0
	.set _ZN7rocprim17ROCPRIM_400000_NS6detail17trampoline_kernelINS0_14default_configENS1_36segmented_radix_sort_config_selectorIllEEZNS1_25segmented_radix_sort_implIS3_Lb1EPKlPlS8_S9_N2at6native12_GLOBAL__N_18offset_tEEE10hipError_tPvRmT1_PNSt15iterator_traitsISH_E10value_typeET2_T3_PNSI_ISN_E10value_typeET4_jRbjT5_ST_jjP12ihipStream_tbEUlT_E0_NS1_11comp_targetILNS1_3genE3ELNS1_11target_archE908ELNS1_3gpuE7ELNS1_3repE0EEENS1_60segmented_radix_sort_warp_sort_medium_config_static_selectorELNS0_4arch9wavefront6targetE0EEEvSH_.uses_vcc, 0
	.set _ZN7rocprim17ROCPRIM_400000_NS6detail17trampoline_kernelINS0_14default_configENS1_36segmented_radix_sort_config_selectorIllEEZNS1_25segmented_radix_sort_implIS3_Lb1EPKlPlS8_S9_N2at6native12_GLOBAL__N_18offset_tEEE10hipError_tPvRmT1_PNSt15iterator_traitsISH_E10value_typeET2_T3_PNSI_ISN_E10value_typeET4_jRbjT5_ST_jjP12ihipStream_tbEUlT_E0_NS1_11comp_targetILNS1_3genE3ELNS1_11target_archE908ELNS1_3gpuE7ELNS1_3repE0EEENS1_60segmented_radix_sort_warp_sort_medium_config_static_selectorELNS0_4arch9wavefront6targetE0EEEvSH_.uses_flat_scratch, 0
	.set _ZN7rocprim17ROCPRIM_400000_NS6detail17trampoline_kernelINS0_14default_configENS1_36segmented_radix_sort_config_selectorIllEEZNS1_25segmented_radix_sort_implIS3_Lb1EPKlPlS8_S9_N2at6native12_GLOBAL__N_18offset_tEEE10hipError_tPvRmT1_PNSt15iterator_traitsISH_E10value_typeET2_T3_PNSI_ISN_E10value_typeET4_jRbjT5_ST_jjP12ihipStream_tbEUlT_E0_NS1_11comp_targetILNS1_3genE3ELNS1_11target_archE908ELNS1_3gpuE7ELNS1_3repE0EEENS1_60segmented_radix_sort_warp_sort_medium_config_static_selectorELNS0_4arch9wavefront6targetE0EEEvSH_.has_dyn_sized_stack, 0
	.set _ZN7rocprim17ROCPRIM_400000_NS6detail17trampoline_kernelINS0_14default_configENS1_36segmented_radix_sort_config_selectorIllEEZNS1_25segmented_radix_sort_implIS3_Lb1EPKlPlS8_S9_N2at6native12_GLOBAL__N_18offset_tEEE10hipError_tPvRmT1_PNSt15iterator_traitsISH_E10value_typeET2_T3_PNSI_ISN_E10value_typeET4_jRbjT5_ST_jjP12ihipStream_tbEUlT_E0_NS1_11comp_targetILNS1_3genE3ELNS1_11target_archE908ELNS1_3gpuE7ELNS1_3repE0EEENS1_60segmented_radix_sort_warp_sort_medium_config_static_selectorELNS0_4arch9wavefront6targetE0EEEvSH_.has_recursion, 0
	.set _ZN7rocprim17ROCPRIM_400000_NS6detail17trampoline_kernelINS0_14default_configENS1_36segmented_radix_sort_config_selectorIllEEZNS1_25segmented_radix_sort_implIS3_Lb1EPKlPlS8_S9_N2at6native12_GLOBAL__N_18offset_tEEE10hipError_tPvRmT1_PNSt15iterator_traitsISH_E10value_typeET2_T3_PNSI_ISN_E10value_typeET4_jRbjT5_ST_jjP12ihipStream_tbEUlT_E0_NS1_11comp_targetILNS1_3genE3ELNS1_11target_archE908ELNS1_3gpuE7ELNS1_3repE0EEENS1_60segmented_radix_sort_warp_sort_medium_config_static_selectorELNS0_4arch9wavefront6targetE0EEEvSH_.has_indirect_call, 0
	.section	.AMDGPU.csdata,"",@progbits
; Kernel info:
; codeLenInByte = 0
; TotalNumSgprs: 0
; NumVgprs: 0
; ScratchSize: 0
; MemoryBound: 0
; FloatMode: 240
; IeeeMode: 1
; LDSByteSize: 0 bytes/workgroup (compile time only)
; SGPRBlocks: 0
; VGPRBlocks: 0
; NumSGPRsForWavesPerEU: 1
; NumVGPRsForWavesPerEU: 1
; Occupancy: 16
; WaveLimiterHint : 0
; COMPUTE_PGM_RSRC2:SCRATCH_EN: 0
; COMPUTE_PGM_RSRC2:USER_SGPR: 2
; COMPUTE_PGM_RSRC2:TRAP_HANDLER: 0
; COMPUTE_PGM_RSRC2:TGID_X_EN: 1
; COMPUTE_PGM_RSRC2:TGID_Y_EN: 0
; COMPUTE_PGM_RSRC2:TGID_Z_EN: 0
; COMPUTE_PGM_RSRC2:TIDIG_COMP_CNT: 0
	.section	.text._ZN7rocprim17ROCPRIM_400000_NS6detail17trampoline_kernelINS0_14default_configENS1_36segmented_radix_sort_config_selectorIllEEZNS1_25segmented_radix_sort_implIS3_Lb1EPKlPlS8_S9_N2at6native12_GLOBAL__N_18offset_tEEE10hipError_tPvRmT1_PNSt15iterator_traitsISH_E10value_typeET2_T3_PNSI_ISN_E10value_typeET4_jRbjT5_ST_jjP12ihipStream_tbEUlT_E0_NS1_11comp_targetILNS1_3genE2ELNS1_11target_archE906ELNS1_3gpuE6ELNS1_3repE0EEENS1_60segmented_radix_sort_warp_sort_medium_config_static_selectorELNS0_4arch9wavefront6targetE0EEEvSH_,"axG",@progbits,_ZN7rocprim17ROCPRIM_400000_NS6detail17trampoline_kernelINS0_14default_configENS1_36segmented_radix_sort_config_selectorIllEEZNS1_25segmented_radix_sort_implIS3_Lb1EPKlPlS8_S9_N2at6native12_GLOBAL__N_18offset_tEEE10hipError_tPvRmT1_PNSt15iterator_traitsISH_E10value_typeET2_T3_PNSI_ISN_E10value_typeET4_jRbjT5_ST_jjP12ihipStream_tbEUlT_E0_NS1_11comp_targetILNS1_3genE2ELNS1_11target_archE906ELNS1_3gpuE6ELNS1_3repE0EEENS1_60segmented_radix_sort_warp_sort_medium_config_static_selectorELNS0_4arch9wavefront6targetE0EEEvSH_,comdat
	.globl	_ZN7rocprim17ROCPRIM_400000_NS6detail17trampoline_kernelINS0_14default_configENS1_36segmented_radix_sort_config_selectorIllEEZNS1_25segmented_radix_sort_implIS3_Lb1EPKlPlS8_S9_N2at6native12_GLOBAL__N_18offset_tEEE10hipError_tPvRmT1_PNSt15iterator_traitsISH_E10value_typeET2_T3_PNSI_ISN_E10value_typeET4_jRbjT5_ST_jjP12ihipStream_tbEUlT_E0_NS1_11comp_targetILNS1_3genE2ELNS1_11target_archE906ELNS1_3gpuE6ELNS1_3repE0EEENS1_60segmented_radix_sort_warp_sort_medium_config_static_selectorELNS0_4arch9wavefront6targetE0EEEvSH_ ; -- Begin function _ZN7rocprim17ROCPRIM_400000_NS6detail17trampoline_kernelINS0_14default_configENS1_36segmented_radix_sort_config_selectorIllEEZNS1_25segmented_radix_sort_implIS3_Lb1EPKlPlS8_S9_N2at6native12_GLOBAL__N_18offset_tEEE10hipError_tPvRmT1_PNSt15iterator_traitsISH_E10value_typeET2_T3_PNSI_ISN_E10value_typeET4_jRbjT5_ST_jjP12ihipStream_tbEUlT_E0_NS1_11comp_targetILNS1_3genE2ELNS1_11target_archE906ELNS1_3gpuE6ELNS1_3repE0EEENS1_60segmented_radix_sort_warp_sort_medium_config_static_selectorELNS0_4arch9wavefront6targetE0EEEvSH_
	.p2align	8
	.type	_ZN7rocprim17ROCPRIM_400000_NS6detail17trampoline_kernelINS0_14default_configENS1_36segmented_radix_sort_config_selectorIllEEZNS1_25segmented_radix_sort_implIS3_Lb1EPKlPlS8_S9_N2at6native12_GLOBAL__N_18offset_tEEE10hipError_tPvRmT1_PNSt15iterator_traitsISH_E10value_typeET2_T3_PNSI_ISN_E10value_typeET4_jRbjT5_ST_jjP12ihipStream_tbEUlT_E0_NS1_11comp_targetILNS1_3genE2ELNS1_11target_archE906ELNS1_3gpuE6ELNS1_3repE0EEENS1_60segmented_radix_sort_warp_sort_medium_config_static_selectorELNS0_4arch9wavefront6targetE0EEEvSH_,@function
_ZN7rocprim17ROCPRIM_400000_NS6detail17trampoline_kernelINS0_14default_configENS1_36segmented_radix_sort_config_selectorIllEEZNS1_25segmented_radix_sort_implIS3_Lb1EPKlPlS8_S9_N2at6native12_GLOBAL__N_18offset_tEEE10hipError_tPvRmT1_PNSt15iterator_traitsISH_E10value_typeET2_T3_PNSI_ISN_E10value_typeET4_jRbjT5_ST_jjP12ihipStream_tbEUlT_E0_NS1_11comp_targetILNS1_3genE2ELNS1_11target_archE906ELNS1_3gpuE6ELNS1_3repE0EEENS1_60segmented_radix_sort_warp_sort_medium_config_static_selectorELNS0_4arch9wavefront6targetE0EEEvSH_: ; @_ZN7rocprim17ROCPRIM_400000_NS6detail17trampoline_kernelINS0_14default_configENS1_36segmented_radix_sort_config_selectorIllEEZNS1_25segmented_radix_sort_implIS3_Lb1EPKlPlS8_S9_N2at6native12_GLOBAL__N_18offset_tEEE10hipError_tPvRmT1_PNSt15iterator_traitsISH_E10value_typeET2_T3_PNSI_ISN_E10value_typeET4_jRbjT5_ST_jjP12ihipStream_tbEUlT_E0_NS1_11comp_targetILNS1_3genE2ELNS1_11target_archE906ELNS1_3gpuE6ELNS1_3repE0EEENS1_60segmented_radix_sort_warp_sort_medium_config_static_selectorELNS0_4arch9wavefront6targetE0EEEvSH_
; %bb.0:
	.section	.rodata,"a",@progbits
	.p2align	6, 0x0
	.amdhsa_kernel _ZN7rocprim17ROCPRIM_400000_NS6detail17trampoline_kernelINS0_14default_configENS1_36segmented_radix_sort_config_selectorIllEEZNS1_25segmented_radix_sort_implIS3_Lb1EPKlPlS8_S9_N2at6native12_GLOBAL__N_18offset_tEEE10hipError_tPvRmT1_PNSt15iterator_traitsISH_E10value_typeET2_T3_PNSI_ISN_E10value_typeET4_jRbjT5_ST_jjP12ihipStream_tbEUlT_E0_NS1_11comp_targetILNS1_3genE2ELNS1_11target_archE906ELNS1_3gpuE6ELNS1_3repE0EEENS1_60segmented_radix_sort_warp_sort_medium_config_static_selectorELNS0_4arch9wavefront6targetE0EEEvSH_
		.amdhsa_group_segment_fixed_size 0
		.amdhsa_private_segment_fixed_size 0
		.amdhsa_kernarg_size 88
		.amdhsa_user_sgpr_count 2
		.amdhsa_user_sgpr_dispatch_ptr 0
		.amdhsa_user_sgpr_queue_ptr 0
		.amdhsa_user_sgpr_kernarg_segment_ptr 1
		.amdhsa_user_sgpr_dispatch_id 0
		.amdhsa_user_sgpr_private_segment_size 0
		.amdhsa_wavefront_size32 1
		.amdhsa_uses_dynamic_stack 0
		.amdhsa_enable_private_segment 0
		.amdhsa_system_sgpr_workgroup_id_x 1
		.amdhsa_system_sgpr_workgroup_id_y 0
		.amdhsa_system_sgpr_workgroup_id_z 0
		.amdhsa_system_sgpr_workgroup_info 0
		.amdhsa_system_vgpr_workitem_id 0
		.amdhsa_next_free_vgpr 1
		.amdhsa_next_free_sgpr 1
		.amdhsa_reserve_vcc 0
		.amdhsa_float_round_mode_32 0
		.amdhsa_float_round_mode_16_64 0
		.amdhsa_float_denorm_mode_32 3
		.amdhsa_float_denorm_mode_16_64 3
		.amdhsa_fp16_overflow 0
		.amdhsa_workgroup_processor_mode 1
		.amdhsa_memory_ordered 1
		.amdhsa_forward_progress 1
		.amdhsa_inst_pref_size 0
		.amdhsa_round_robin_scheduling 0
		.amdhsa_exception_fp_ieee_invalid_op 0
		.amdhsa_exception_fp_denorm_src 0
		.amdhsa_exception_fp_ieee_div_zero 0
		.amdhsa_exception_fp_ieee_overflow 0
		.amdhsa_exception_fp_ieee_underflow 0
		.amdhsa_exception_fp_ieee_inexact 0
		.amdhsa_exception_int_div_zero 0
	.end_amdhsa_kernel
	.section	.text._ZN7rocprim17ROCPRIM_400000_NS6detail17trampoline_kernelINS0_14default_configENS1_36segmented_radix_sort_config_selectorIllEEZNS1_25segmented_radix_sort_implIS3_Lb1EPKlPlS8_S9_N2at6native12_GLOBAL__N_18offset_tEEE10hipError_tPvRmT1_PNSt15iterator_traitsISH_E10value_typeET2_T3_PNSI_ISN_E10value_typeET4_jRbjT5_ST_jjP12ihipStream_tbEUlT_E0_NS1_11comp_targetILNS1_3genE2ELNS1_11target_archE906ELNS1_3gpuE6ELNS1_3repE0EEENS1_60segmented_radix_sort_warp_sort_medium_config_static_selectorELNS0_4arch9wavefront6targetE0EEEvSH_,"axG",@progbits,_ZN7rocprim17ROCPRIM_400000_NS6detail17trampoline_kernelINS0_14default_configENS1_36segmented_radix_sort_config_selectorIllEEZNS1_25segmented_radix_sort_implIS3_Lb1EPKlPlS8_S9_N2at6native12_GLOBAL__N_18offset_tEEE10hipError_tPvRmT1_PNSt15iterator_traitsISH_E10value_typeET2_T3_PNSI_ISN_E10value_typeET4_jRbjT5_ST_jjP12ihipStream_tbEUlT_E0_NS1_11comp_targetILNS1_3genE2ELNS1_11target_archE906ELNS1_3gpuE6ELNS1_3repE0EEENS1_60segmented_radix_sort_warp_sort_medium_config_static_selectorELNS0_4arch9wavefront6targetE0EEEvSH_,comdat
.Lfunc_end718:
	.size	_ZN7rocprim17ROCPRIM_400000_NS6detail17trampoline_kernelINS0_14default_configENS1_36segmented_radix_sort_config_selectorIllEEZNS1_25segmented_radix_sort_implIS3_Lb1EPKlPlS8_S9_N2at6native12_GLOBAL__N_18offset_tEEE10hipError_tPvRmT1_PNSt15iterator_traitsISH_E10value_typeET2_T3_PNSI_ISN_E10value_typeET4_jRbjT5_ST_jjP12ihipStream_tbEUlT_E0_NS1_11comp_targetILNS1_3genE2ELNS1_11target_archE906ELNS1_3gpuE6ELNS1_3repE0EEENS1_60segmented_radix_sort_warp_sort_medium_config_static_selectorELNS0_4arch9wavefront6targetE0EEEvSH_, .Lfunc_end718-_ZN7rocprim17ROCPRIM_400000_NS6detail17trampoline_kernelINS0_14default_configENS1_36segmented_radix_sort_config_selectorIllEEZNS1_25segmented_radix_sort_implIS3_Lb1EPKlPlS8_S9_N2at6native12_GLOBAL__N_18offset_tEEE10hipError_tPvRmT1_PNSt15iterator_traitsISH_E10value_typeET2_T3_PNSI_ISN_E10value_typeET4_jRbjT5_ST_jjP12ihipStream_tbEUlT_E0_NS1_11comp_targetILNS1_3genE2ELNS1_11target_archE906ELNS1_3gpuE6ELNS1_3repE0EEENS1_60segmented_radix_sort_warp_sort_medium_config_static_selectorELNS0_4arch9wavefront6targetE0EEEvSH_
                                        ; -- End function
	.set _ZN7rocprim17ROCPRIM_400000_NS6detail17trampoline_kernelINS0_14default_configENS1_36segmented_radix_sort_config_selectorIllEEZNS1_25segmented_radix_sort_implIS3_Lb1EPKlPlS8_S9_N2at6native12_GLOBAL__N_18offset_tEEE10hipError_tPvRmT1_PNSt15iterator_traitsISH_E10value_typeET2_T3_PNSI_ISN_E10value_typeET4_jRbjT5_ST_jjP12ihipStream_tbEUlT_E0_NS1_11comp_targetILNS1_3genE2ELNS1_11target_archE906ELNS1_3gpuE6ELNS1_3repE0EEENS1_60segmented_radix_sort_warp_sort_medium_config_static_selectorELNS0_4arch9wavefront6targetE0EEEvSH_.num_vgpr, 0
	.set _ZN7rocprim17ROCPRIM_400000_NS6detail17trampoline_kernelINS0_14default_configENS1_36segmented_radix_sort_config_selectorIllEEZNS1_25segmented_radix_sort_implIS3_Lb1EPKlPlS8_S9_N2at6native12_GLOBAL__N_18offset_tEEE10hipError_tPvRmT1_PNSt15iterator_traitsISH_E10value_typeET2_T3_PNSI_ISN_E10value_typeET4_jRbjT5_ST_jjP12ihipStream_tbEUlT_E0_NS1_11comp_targetILNS1_3genE2ELNS1_11target_archE906ELNS1_3gpuE6ELNS1_3repE0EEENS1_60segmented_radix_sort_warp_sort_medium_config_static_selectorELNS0_4arch9wavefront6targetE0EEEvSH_.num_agpr, 0
	.set _ZN7rocprim17ROCPRIM_400000_NS6detail17trampoline_kernelINS0_14default_configENS1_36segmented_radix_sort_config_selectorIllEEZNS1_25segmented_radix_sort_implIS3_Lb1EPKlPlS8_S9_N2at6native12_GLOBAL__N_18offset_tEEE10hipError_tPvRmT1_PNSt15iterator_traitsISH_E10value_typeET2_T3_PNSI_ISN_E10value_typeET4_jRbjT5_ST_jjP12ihipStream_tbEUlT_E0_NS1_11comp_targetILNS1_3genE2ELNS1_11target_archE906ELNS1_3gpuE6ELNS1_3repE0EEENS1_60segmented_radix_sort_warp_sort_medium_config_static_selectorELNS0_4arch9wavefront6targetE0EEEvSH_.numbered_sgpr, 0
	.set _ZN7rocprim17ROCPRIM_400000_NS6detail17trampoline_kernelINS0_14default_configENS1_36segmented_radix_sort_config_selectorIllEEZNS1_25segmented_radix_sort_implIS3_Lb1EPKlPlS8_S9_N2at6native12_GLOBAL__N_18offset_tEEE10hipError_tPvRmT1_PNSt15iterator_traitsISH_E10value_typeET2_T3_PNSI_ISN_E10value_typeET4_jRbjT5_ST_jjP12ihipStream_tbEUlT_E0_NS1_11comp_targetILNS1_3genE2ELNS1_11target_archE906ELNS1_3gpuE6ELNS1_3repE0EEENS1_60segmented_radix_sort_warp_sort_medium_config_static_selectorELNS0_4arch9wavefront6targetE0EEEvSH_.num_named_barrier, 0
	.set _ZN7rocprim17ROCPRIM_400000_NS6detail17trampoline_kernelINS0_14default_configENS1_36segmented_radix_sort_config_selectorIllEEZNS1_25segmented_radix_sort_implIS3_Lb1EPKlPlS8_S9_N2at6native12_GLOBAL__N_18offset_tEEE10hipError_tPvRmT1_PNSt15iterator_traitsISH_E10value_typeET2_T3_PNSI_ISN_E10value_typeET4_jRbjT5_ST_jjP12ihipStream_tbEUlT_E0_NS1_11comp_targetILNS1_3genE2ELNS1_11target_archE906ELNS1_3gpuE6ELNS1_3repE0EEENS1_60segmented_radix_sort_warp_sort_medium_config_static_selectorELNS0_4arch9wavefront6targetE0EEEvSH_.private_seg_size, 0
	.set _ZN7rocprim17ROCPRIM_400000_NS6detail17trampoline_kernelINS0_14default_configENS1_36segmented_radix_sort_config_selectorIllEEZNS1_25segmented_radix_sort_implIS3_Lb1EPKlPlS8_S9_N2at6native12_GLOBAL__N_18offset_tEEE10hipError_tPvRmT1_PNSt15iterator_traitsISH_E10value_typeET2_T3_PNSI_ISN_E10value_typeET4_jRbjT5_ST_jjP12ihipStream_tbEUlT_E0_NS1_11comp_targetILNS1_3genE2ELNS1_11target_archE906ELNS1_3gpuE6ELNS1_3repE0EEENS1_60segmented_radix_sort_warp_sort_medium_config_static_selectorELNS0_4arch9wavefront6targetE0EEEvSH_.uses_vcc, 0
	.set _ZN7rocprim17ROCPRIM_400000_NS6detail17trampoline_kernelINS0_14default_configENS1_36segmented_radix_sort_config_selectorIllEEZNS1_25segmented_radix_sort_implIS3_Lb1EPKlPlS8_S9_N2at6native12_GLOBAL__N_18offset_tEEE10hipError_tPvRmT1_PNSt15iterator_traitsISH_E10value_typeET2_T3_PNSI_ISN_E10value_typeET4_jRbjT5_ST_jjP12ihipStream_tbEUlT_E0_NS1_11comp_targetILNS1_3genE2ELNS1_11target_archE906ELNS1_3gpuE6ELNS1_3repE0EEENS1_60segmented_radix_sort_warp_sort_medium_config_static_selectorELNS0_4arch9wavefront6targetE0EEEvSH_.uses_flat_scratch, 0
	.set _ZN7rocprim17ROCPRIM_400000_NS6detail17trampoline_kernelINS0_14default_configENS1_36segmented_radix_sort_config_selectorIllEEZNS1_25segmented_radix_sort_implIS3_Lb1EPKlPlS8_S9_N2at6native12_GLOBAL__N_18offset_tEEE10hipError_tPvRmT1_PNSt15iterator_traitsISH_E10value_typeET2_T3_PNSI_ISN_E10value_typeET4_jRbjT5_ST_jjP12ihipStream_tbEUlT_E0_NS1_11comp_targetILNS1_3genE2ELNS1_11target_archE906ELNS1_3gpuE6ELNS1_3repE0EEENS1_60segmented_radix_sort_warp_sort_medium_config_static_selectorELNS0_4arch9wavefront6targetE0EEEvSH_.has_dyn_sized_stack, 0
	.set _ZN7rocprim17ROCPRIM_400000_NS6detail17trampoline_kernelINS0_14default_configENS1_36segmented_radix_sort_config_selectorIllEEZNS1_25segmented_radix_sort_implIS3_Lb1EPKlPlS8_S9_N2at6native12_GLOBAL__N_18offset_tEEE10hipError_tPvRmT1_PNSt15iterator_traitsISH_E10value_typeET2_T3_PNSI_ISN_E10value_typeET4_jRbjT5_ST_jjP12ihipStream_tbEUlT_E0_NS1_11comp_targetILNS1_3genE2ELNS1_11target_archE906ELNS1_3gpuE6ELNS1_3repE0EEENS1_60segmented_radix_sort_warp_sort_medium_config_static_selectorELNS0_4arch9wavefront6targetE0EEEvSH_.has_recursion, 0
	.set _ZN7rocprim17ROCPRIM_400000_NS6detail17trampoline_kernelINS0_14default_configENS1_36segmented_radix_sort_config_selectorIllEEZNS1_25segmented_radix_sort_implIS3_Lb1EPKlPlS8_S9_N2at6native12_GLOBAL__N_18offset_tEEE10hipError_tPvRmT1_PNSt15iterator_traitsISH_E10value_typeET2_T3_PNSI_ISN_E10value_typeET4_jRbjT5_ST_jjP12ihipStream_tbEUlT_E0_NS1_11comp_targetILNS1_3genE2ELNS1_11target_archE906ELNS1_3gpuE6ELNS1_3repE0EEENS1_60segmented_radix_sort_warp_sort_medium_config_static_selectorELNS0_4arch9wavefront6targetE0EEEvSH_.has_indirect_call, 0
	.section	.AMDGPU.csdata,"",@progbits
; Kernel info:
; codeLenInByte = 0
; TotalNumSgprs: 0
; NumVgprs: 0
; ScratchSize: 0
; MemoryBound: 0
; FloatMode: 240
; IeeeMode: 1
; LDSByteSize: 0 bytes/workgroup (compile time only)
; SGPRBlocks: 0
; VGPRBlocks: 0
; NumSGPRsForWavesPerEU: 1
; NumVGPRsForWavesPerEU: 1
; Occupancy: 16
; WaveLimiterHint : 0
; COMPUTE_PGM_RSRC2:SCRATCH_EN: 0
; COMPUTE_PGM_RSRC2:USER_SGPR: 2
; COMPUTE_PGM_RSRC2:TRAP_HANDLER: 0
; COMPUTE_PGM_RSRC2:TGID_X_EN: 1
; COMPUTE_PGM_RSRC2:TGID_Y_EN: 0
; COMPUTE_PGM_RSRC2:TGID_Z_EN: 0
; COMPUTE_PGM_RSRC2:TIDIG_COMP_CNT: 0
	.text
	.p2align	2                               ; -- Begin function _ZN7rocprim17ROCPRIM_400000_NS6detail26segmented_warp_sort_helperINS1_20WarpSortHelperConfigILj16ELj8ELj256EEEllLi256ELb1EvE4sortIPKlPlS8_S9_EEvT_T0_T1_T2_jjjjRNS5_12storage_typeE
	.type	_ZN7rocprim17ROCPRIM_400000_NS6detail26segmented_warp_sort_helperINS1_20WarpSortHelperConfigILj16ELj8ELj256EEEllLi256ELb1EvE4sortIPKlPlS8_S9_EEvT_T0_T1_T2_jjjjRNS5_12storage_typeE,@function
_ZN7rocprim17ROCPRIM_400000_NS6detail26segmented_warp_sort_helperINS1_20WarpSortHelperConfigILj16ELj8ELj256EEEllLi256ELb1EvE4sortIPKlPlS8_S9_EEvT_T0_T1_T2_jjjjRNS5_12storage_typeE: ; @_ZN7rocprim17ROCPRIM_400000_NS6detail26segmented_warp_sort_helperINS1_20WarpSortHelperConfigILj16ELj8ELj256EEEllLi256ELb1EvE4sortIPKlPlS8_S9_EEvT_T0_T1_T2_jjjjRNS5_12storage_typeE
; %bb.0:
	s_wait_loadcnt_dscnt 0x0
	s_wait_expcnt 0x0
	s_wait_samplecnt 0x0
	s_wait_bvhcnt 0x0
	s_wait_kmcnt 0x0
	v_mov_b32_e32 v12, v10
	v_mov_b32_e32 v10, v9
	v_mbcnt_lo_u32_b32 v9, -1, 0
	s_delay_alu instid0(VALU_DEP_1) | instskip(SKIP_1) | instid1(VALU_DEP_1)
	v_lshlrev_b32_e32 v67, 3, v9
	v_mov_b32_e32 v9, 0
	v_lshlrev_b64_e32 v[13:14], 3, v[8:9]
	v_sub_nc_u32_e32 v8, v10, v8
	v_bfrev_b32_e32 v10, 1
	v_and_b32_e32 v68, 0x78, v67
	s_delay_alu instid0(VALU_DEP_4) | instskip(NEXT) | instid1(VALU_DEP_3)
	v_add_co_u32 v0, vcc_lo, v0, v13
	v_dual_mov_b32 v16, v10 :: v_dual_mov_b32 v15, v9
	s_delay_alu instid0(VALU_DEP_3) | instskip(SKIP_2) | instid1(VALU_DEP_2)
	v_lshlrev_b32_e32 v66, 3, v68
	s_wait_alu 0xfffd
	v_add_co_ci_u32_e64 v1, null, v1, v14, vcc_lo
	v_add_co_u32 v0, vcc_lo, v0, v66
	s_wait_alu 0xfffd
	s_delay_alu instid0(VALU_DEP_2)
	v_add_co_ci_u32_e64 v1, null, 0, v1, vcc_lo
	v_cmp_lt_u32_e32 vcc_lo, v68, v8
	s_and_saveexec_b32 s0, vcc_lo
	s_cbranch_execz .LBB719_2
; %bb.1:
	flat_load_b64 v[15:16], v[0:1]
.LBB719_2:
	s_wait_alu 0xfffe
	s_or_b32 exec_lo, exec_lo, s0
	v_or_b32_e32 v17, 1, v68
	s_delay_alu instid0(VALU_DEP_1)
	v_cmp_lt_u32_e64 s0, v17, v8
	s_and_saveexec_b32 s1, s0
	s_cbranch_execz .LBB719_4
; %bb.3:
	flat_load_b64 v[9:10], v[0:1] offset:8
.LBB719_4:
	s_wait_alu 0xfffe
	s_or_b32 exec_lo, exec_lo, s1
	v_or_b32_e32 v17, 2, v68
	v_mov_b32_e32 v36, 0
	v_bfrev_b32_e32 v37, 1
	s_delay_alu instid0(VALU_DEP_3) | instskip(NEXT) | instid1(VALU_DEP_2)
	v_cmp_lt_u32_e64 s1, v17, v8
	v_dual_mov_b32 v29, v36 :: v_dual_mov_b32 v30, v37
	s_and_saveexec_b32 s2, s1
	s_cbranch_execz .LBB719_6
; %bb.5:
	flat_load_b64 v[29:30], v[0:1] offset:16
.LBB719_6:
	s_wait_alu 0xfffe
	s_or_b32 exec_lo, exec_lo, s2
	v_or_b32_e32 v17, 3, v68
	s_delay_alu instid0(VALU_DEP_1)
	v_cmp_lt_u32_e64 s2, v17, v8
	s_and_saveexec_b32 s3, s2
	s_cbranch_execz .LBB719_8
; %bb.7:
	flat_load_b64 v[36:37], v[0:1] offset:24
.LBB719_8:
	s_wait_alu 0xfffe
	s_or_b32 exec_lo, exec_lo, s3
	v_or_b32_e32 v17, 4, v68
	v_mov_b32_e32 v19, 0
	v_bfrev_b32_e32 v20, 1
	s_delay_alu instid0(VALU_DEP_3) | instskip(NEXT) | instid1(VALU_DEP_2)
	v_cmp_lt_u32_e64 s3, v17, v8
	v_dual_mov_b32 v35, v20 :: v_dual_mov_b32 v34, v19
	s_and_saveexec_b32 s4, s3
	s_cbranch_execz .LBB719_10
; %bb.9:
	flat_load_b64 v[34:35], v[0:1] offset:32
.LBB719_10:
	;; [unrolled: 23-line block ×3, first 2 shown]
	s_wait_alu 0xfffe
	s_or_b32 exec_lo, exec_lo, s6
	v_or_b32_e32 v21, 7, v68
	s_delay_alu instid0(VALU_DEP_1)
	v_cmp_lt_u32_e64 s6, v21, v8
	s_and_saveexec_b32 s7, s6
	s_cbranch_execz .LBB719_16
; %bb.15:
	flat_load_b64 v[17:18], v[0:1] offset:56
.LBB719_16:
	s_wait_alu 0xfffe
	s_or_b32 exec_lo, exec_lo, s7
	v_add_co_u32 v0, s7, v4, v13
	s_wait_alu 0xf1ff
	v_add_co_ci_u32_e64 v1, null, v5, v14, s7
	s_delay_alu instid0(VALU_DEP_2) | instskip(SKIP_1) | instid1(VALU_DEP_2)
	v_add_co_u32 v50, s7, v0, v66
	s_wait_alu 0xf1ff
	v_add_co_ci_u32_e64 v51, null, 0, v1, s7
	; wave barrier
                                        ; implicit-def: $vgpr0_vgpr1
	s_and_saveexec_b32 s7, vcc_lo
	s_cbranch_execnz .LBB719_243
; %bb.17:
	s_wait_alu 0xfffe
	s_or_b32 exec_lo, exec_lo, s7
	s_and_saveexec_b32 s7, s0
                                        ; implicit-def: $vgpr21_vgpr22
	s_cbranch_execnz .LBB719_244
.LBB719_18:
	s_wait_alu 0xfffe
	s_or_b32 exec_lo, exec_lo, s7
                                        ; implicit-def: $vgpr23_vgpr24
	s_and_saveexec_b32 s7, s1
	s_cbranch_execnz .LBB719_245
.LBB719_19:
	s_wait_alu 0xfffe
	s_or_b32 exec_lo, exec_lo, s7
	s_and_saveexec_b32 s7, s2
                                        ; implicit-def: $vgpr25_vgpr26
	s_cbranch_execnz .LBB719_246
.LBB719_20:
	s_wait_alu 0xfffe
	s_or_b32 exec_lo, exec_lo, s7
                                        ; implicit-def: $vgpr27_vgpr28
	s_and_saveexec_b32 s7, s3
	s_cbranch_execnz .LBB719_247
.LBB719_21:
	s_wait_alu 0xfffe
	s_or_b32 exec_lo, exec_lo, s7
	s_and_saveexec_b32 s7, s4
                                        ; implicit-def: $vgpr38_vgpr39
	s_cbranch_execnz .LBB719_248
.LBB719_22:
	s_wait_alu 0xfffe
	s_or_b32 exec_lo, exec_lo, s7
                                        ; implicit-def: $vgpr4_vgpr5
	s_and_saveexec_b32 s7, s5
	s_cbranch_execnz .LBB719_249
.LBB719_23:
	s_wait_alu 0xfffe
	s_or_b32 exec_lo, exec_lo, s7
	s_and_saveexec_b32 s7, s6
                                        ; implicit-def: $vgpr32_vgpr33
	s_cbranch_execz .LBB719_25
.LBB719_24:
	flat_load_b64 v[32:33], v[50:51] offset:56
.LBB719_25:
	s_wait_alu 0xfffe
	s_or_b32 exec_lo, exec_lo, s7
	v_cmp_ne_u32_e64 s7, 0, v12
	v_cmp_ne_u32_e64 s10, 64, v11
	v_bfe_u32 v50, v31, 10, 10
	v_bfe_u32 v51, v31, 20, 10
	v_and_b32_e32 v8, 0x3ff, v31
	s_mov_b32 s11, 0
	s_or_b32 s7, s7, s10
	; wave barrier
	s_wait_alu 0xfffe
	s_and_saveexec_b32 s10, s7
	s_wait_alu 0xfffe
	s_xor_b32 s19, exec_lo, s10
	s_cbranch_execz .LBB719_125
; %bb.26:
	s_load_b64 s[12:13], s[8:9], 0x0
	s_and_b32 s7, ttmp7, 0xffff
	s_wait_kmcnt 0x0
	s_wait_alu 0xfffe
	s_cmp_lt_u32 s7, s13
	s_cselect_b32 s10, 14, 20
	s_cmp_lt_u32 ttmp9, s12
	s_wait_alu 0xfffe
	s_add_nc_u64 s[14:15], s[8:9], s[10:11]
	s_cselect_b32 s10, 12, 18
	s_load_u16 s7, s[14:15], 0x0
	s_add_nc_u64 s[10:11], s[8:9], s[10:11]
	s_load_u16 s10, s[10:11], 0x0
	s_wait_kmcnt 0x0
	v_mad_u32_u24 v31, v51, s7, v50
	v_lshlrev_b64_e64 v[50:51], v11, -1
	v_lshlrev_b64_e64 v[11:12], v12, -1
	s_delay_alu instid0(VALU_DEP_3) | instskip(SKIP_1) | instid1(VALU_DEP_2)
	v_mul_lo_u32 v31, v31, s10
	s_mov_b32 s10, exec_lo
	v_xor_b32_e32 v70, v51, v12
	s_delay_alu instid0(VALU_DEP_3) | instskip(NEXT) | instid1(VALU_DEP_3)
	v_xor_b32_e32 v69, v50, v11
	v_add_lshl_u32 v71, v31, v8, 3
	s_delay_alu instid0(VALU_DEP_1)
	v_cmpx_gt_u32_e32 0x800, v71
	s_cbranch_execz .LBB719_84
; %bb.27:
	s_wait_loadcnt_dscnt 0x0
	v_and_b32_e32 v12, v10, v70
	v_and_b32_e32 v11, v9, v69
	;; [unrolled: 1-line block ×4, first 2 shown]
	s_delay_alu instid0(VALU_DEP_1)
	v_cmp_gt_u64_e64 s7, v[11:12], v[50:51]
	v_dual_mov_b32 v12, v10 :: v_dual_mov_b32 v11, v9
	v_dual_mov_b32 v51, v22 :: v_dual_mov_b32 v50, v21
	s_and_saveexec_b32 s11, s7
; %bb.28:
	v_dual_mov_b32 v11, v15 :: v_dual_mov_b32 v12, v16
	v_dual_mov_b32 v16, v10 :: v_dual_mov_b32 v15, v9
	v_dual_mov_b32 v51, v1 :: v_dual_mov_b32 v50, v0
	v_dual_mov_b32 v0, v21 :: v_dual_mov_b32 v1, v22
; %bb.29:
	s_wait_alu 0xfffe
	s_or_b32 exec_lo, exec_lo, s11
	v_dual_mov_b32 v65, v37 :: v_dual_and_b32 v8, v36, v69
	v_dual_mov_b32 v64, v36 :: v_dual_and_b32 v9, v37, v70
	v_and_b32_e32 v22, v30, v70
	v_and_b32_e32 v21, v29, v69
	v_dual_mov_b32 v53, v26 :: v_dual_mov_b32 v52, v25
	s_mov_b32 s11, exec_lo
	s_delay_alu instid0(VALU_DEP_2)
	v_cmpx_gt_u64_e64 v[8:9], v[21:22]
; %bb.30:
	v_dual_mov_b32 v65, v30 :: v_dual_mov_b32 v64, v29
	v_dual_mov_b32 v29, v36 :: v_dual_mov_b32 v30, v37
	;; [unrolled: 1-line block ×4, first 2 shown]
; %bb.31:
	s_wait_alu 0xfffe
	s_or_b32 exec_lo, exec_lo, s11
	v_and_b32_e32 v9, v20, v70
	v_and_b32_e32 v8, v19, v69
	;; [unrolled: 1-line block ×4, first 2 shown]
	v_dual_mov_b32 v55, v35 :: v_dual_mov_b32 v54, v34
	s_delay_alu instid0(VALU_DEP_2)
	v_cmp_gt_u64_e64 s7, v[8:9], v[21:22]
	v_dual_mov_b32 v21, v38 :: v_dual_mov_b32 v22, v39
	s_and_saveexec_b32 s11, s7
; %bb.32:
	v_dual_mov_b32 v21, v27 :: v_dual_mov_b32 v22, v28
	v_dual_mov_b32 v27, v38 :: v_dual_mov_b32 v28, v39
	;; [unrolled: 1-line block ×4, first 2 shown]
; %bb.33:
	s_wait_alu 0xfffe
	s_or_b32 exec_lo, exec_lo, s11
	v_dual_mov_b32 v34, v48 :: v_dual_and_b32 v9, v18, v70
	v_and_b32_e32 v8, v17, v69
	v_and_b32_e32 v26, v49, v70
	;; [unrolled: 1-line block ×3, first 2 shown]
	v_mov_b32_e32 v35, v49
	s_delay_alu instid0(VALU_DEP_2)
	v_cmp_gt_u64_e64 s7, v[8:9], v[25:26]
	v_dual_mov_b32 v8, v32 :: v_dual_mov_b32 v9, v33
	s_and_saveexec_b32 s11, s7
; %bb.34:
	v_dual_mov_b32 v9, v5 :: v_dual_mov_b32 v8, v4
	v_dual_mov_b32 v4, v32 :: v_dual_mov_b32 v5, v33
	;; [unrolled: 1-line block ×4, first 2 shown]
; %bb.35:
	s_wait_alu 0xfffe
	s_or_b32 exec_lo, exec_lo, s11
	v_and_b32_e32 v26, v30, v70
	v_and_b32_e32 v25, v29, v69
	;; [unrolled: 1-line block ×4, first 2 shown]
	s_delay_alu instid0(VALU_DEP_1)
	v_cmp_gt_u64_e64 s7, v[25:26], v[31:32]
	v_dual_mov_b32 v25, v29 :: v_dual_mov_b32 v32, v24
	v_dual_mov_b32 v26, v30 :: v_dual_mov_b32 v31, v23
	s_and_saveexec_b32 s11, s7
	s_wait_alu 0xfffe
	s_xor_b32 s7, exec_lo, s11
; %bb.36:
	v_dual_mov_b32 v26, v12 :: v_dual_mov_b32 v25, v11
	v_dual_mov_b32 v11, v29 :: v_dual_mov_b32 v12, v30
	;; [unrolled: 1-line block ×4, first 2 shown]
; %bb.37:
	s_wait_alu 0xfffe
	s_or_b32 exec_lo, exec_lo, s7
	v_and_b32_e32 v24, v55, v70
	v_dual_mov_b32 v48, v64 :: v_dual_and_b32 v23, v54, v69
	v_and_b32_e32 v30, v65, v70
	v_and_b32_e32 v29, v64, v69
	v_mov_b32_e32 v49, v65
	s_delay_alu instid0(VALU_DEP_2)
	v_cmp_gt_u64_e64 s7, v[23:24], v[29:30]
	v_dual_mov_b32 v30, v28 :: v_dual_mov_b32 v29, v27
	s_and_saveexec_b32 s11, s7
; %bb.38:
	v_dual_mov_b32 v48, v54 :: v_dual_mov_b32 v49, v55
	v_dual_mov_b32 v29, v52 :: v_dual_mov_b32 v30, v53
	;; [unrolled: 1-line block ×4, first 2 shown]
; %bb.39:
	s_wait_alu 0xfffe
	s_or_b32 exec_lo, exec_lo, s11
	v_and_b32_e32 v24, v35, v70
	v_and_b32_e32 v23, v34, v69
	;; [unrolled: 1-line block ×4, first 2 shown]
	s_delay_alu instid0(VALU_DEP_1)
	v_cmp_gt_u64_e64 s7, v[23:24], v[27:28]
	v_mov_b32_e32 v24, v5
	v_dual_mov_b32 v28, v20 :: v_dual_mov_b32 v23, v4
	v_mov_b32_e32 v27, v19
	s_and_saveexec_b32 s11, s7
; %bb.40:
	v_dual_mov_b32 v24, v22 :: v_dual_mov_b32 v23, v21
	v_dual_mov_b32 v22, v5 :: v_dual_mov_b32 v21, v4
	;; [unrolled: 1-line block ×4, first 2 shown]
; %bb.41:
	s_wait_alu 0xfffe
	s_or_b32 exec_lo, exec_lo, s11
	v_dual_mov_b32 v36, v50 :: v_dual_and_b32 v5, v12, v70
	v_and_b32_e32 v4, v11, v69
	v_and_b32_e32 v20, v16, v70
	;; [unrolled: 1-line block ×3, first 2 shown]
	v_mov_b32_e32 v37, v51
	s_delay_alu instid0(VALU_DEP_2)
	v_cmp_gt_u64_e64 s7, v[4:5], v[19:20]
	v_dual_mov_b32 v20, v12 :: v_dual_mov_b32 v19, v11
	s_and_saveexec_b32 s11, s7
; %bb.42:
	v_dual_mov_b32 v20, v16 :: v_dual_mov_b32 v19, v15
	v_dual_mov_b32 v16, v12 :: v_dual_mov_b32 v15, v11
	;; [unrolled: 1-line block ×4, first 2 shown]
; %bb.43:
	s_wait_alu 0xfffe
	s_or_b32 exec_lo, exec_lo, s11
	v_dual_mov_b32 v51, v49 :: v_dual_and_b32 v4, v48, v69
	v_dual_mov_b32 v38, v52 :: v_dual_and_b32 v11, v26, v70
	;; [unrolled: 1-line block ×3, first 2 shown]
	v_and_b32_e32 v10, v25, v69
	v_mov_b32_e32 v39, v53
	s_mov_b32 s11, exec_lo
	s_delay_alu instid0(VALU_DEP_2)
	v_cmpx_gt_u64_e64 v[4:5], v[10:11]
; %bb.44:
	v_dual_mov_b32 v51, v26 :: v_dual_mov_b32 v50, v25
	v_dual_mov_b32 v25, v48 :: v_dual_mov_b32 v26, v49
	;; [unrolled: 1-line block ×4, first 2 shown]
; %bb.45:
	s_wait_alu 0xfffe
	s_or_b32 exec_lo, exec_lo, s11
	v_and_b32_e32 v5, v28, v70
	v_and_b32_e32 v4, v27, v69
	v_dual_mov_b32 v52, v54 :: v_dual_and_b32 v11, v55, v70
	v_dual_mov_b32 v53, v55 :: v_dual_and_b32 v10, v54, v69
	s_delay_alu instid0(VALU_DEP_1)
	v_cmp_gt_u64_e64 s7, v[4:5], v[10:11]
	v_dual_mov_b32 v10, v21 :: v_dual_mov_b32 v11, v22
	s_and_saveexec_b32 s11, s7
; %bb.46:
	v_dual_mov_b32 v10, v29 :: v_dual_mov_b32 v11, v30
	v_dual_mov_b32 v30, v22 :: v_dual_mov_b32 v29, v21
	;; [unrolled: 1-line block ×4, first 2 shown]
; %bb.47:
	s_wait_alu 0xfffe
	s_or_b32 exec_lo, exec_lo, s11
	v_and_b32_e32 v5, v18, v70
	v_dual_mov_b32 v49, v35 :: v_dual_and_b32 v4, v17, v69
	v_and_b32_e32 v22, v35, v70
	v_and_b32_e32 v21, v34, v69
	v_mov_b32_e32 v48, v34
	s_delay_alu instid0(VALU_DEP_2)
	v_cmp_gt_u64_e64 s7, v[4:5], v[21:22]
	v_dual_mov_b32 v4, v8 :: v_dual_mov_b32 v5, v9
	s_and_saveexec_b32 s11, s7
; %bb.48:
	v_dual_mov_b32 v4, v23 :: v_dual_mov_b32 v5, v24
	v_dual_mov_b32 v24, v9 :: v_dual_mov_b32 v23, v8
	;; [unrolled: 1-line block ×4, first 2 shown]
; %bb.49:
	s_wait_alu 0xfffe
	s_or_b32 exec_lo, exec_lo, s11
	v_dual_mov_b32 v34, v32 :: v_dual_and_b32 v9, v26, v70
	v_and_b32_e32 v8, v25, v69
	v_dual_mov_b32 v33, v31 :: v_dual_and_b32 v22, v20, v70
	v_and_b32_e32 v21, v19, v69
	s_delay_alu instid0(VALU_DEP_1)
	v_cmp_gt_u64_e64 s7, v[8:9], v[21:22]
	v_dual_mov_b32 v8, v25 :: v_dual_mov_b32 v9, v26
	s_and_saveexec_b32 s11, s7
; %bb.50:
	v_dual_mov_b32 v8, v19 :: v_dual_mov_b32 v9, v20
	v_dual_mov_b32 v19, v25 :: v_dual_mov_b32 v20, v26
	;; [unrolled: 1-line block ×4, first 2 shown]
; %bb.51:
	s_wait_alu 0xfffe
	s_or_b32 exec_lo, exec_lo, s11
	v_dual_mov_b32 v55, v51 :: v_dual_and_b32 v22, v53, v70
	v_dual_mov_b32 v54, v50 :: v_dual_and_b32 v21, v52, v69
	v_and_b32_e32 v26, v51, v70
	v_and_b32_e32 v25, v50, v69
	s_delay_alu instid0(VALU_DEP_1)
	v_cmp_gt_u64_e64 s7, v[21:22], v[25:26]
	v_dual_mov_b32 v25, v29 :: v_dual_mov_b32 v26, v30
	s_and_saveexec_b32 s11, s7
; %bb.52:
	v_dual_mov_b32 v55, v53 :: v_dual_mov_b32 v54, v52
	v_dual_mov_b32 v25, v38 :: v_dual_mov_b32 v26, v39
	v_dual_mov_b32 v39, v30 :: v_dual_mov_b32 v38, v29
	v_dual_mov_b32 v53, v51 :: v_dual_mov_b32 v52, v50
; %bb.53:
	s_wait_alu 0xfffe
	s_or_b32 exec_lo, exec_lo, s11
	v_and_b32_e32 v22, v49, v70
	v_and_b32_e32 v21, v48, v69
	;; [unrolled: 1-line block ×4, first 2 shown]
	s_delay_alu instid0(VALU_DEP_1)
	v_cmp_gt_u64_e64 s7, v[21:22], v[29:30]
	v_dual_mov_b32 v21, v23 :: v_dual_mov_b32 v30, v28
	v_dual_mov_b32 v22, v24 :: v_dual_mov_b32 v29, v27
	s_and_saveexec_b32 s11, s7
; %bb.54:
	v_dual_mov_b32 v22, v11 :: v_dual_mov_b32 v21, v10
	v_dual_mov_b32 v10, v23 :: v_dual_mov_b32 v11, v24
	;; [unrolled: 1-line block ×4, first 2 shown]
; %bb.55:
	s_wait_alu 0xfffe
	s_or_b32 exec_lo, exec_lo, s11
	v_and_b32_e32 v24, v20, v70
	v_and_b32_e32 v23, v19, v69
	;; [unrolled: 1-line block ×4, first 2 shown]
	v_dual_mov_b32 v31, v36 :: v_dual_mov_b32 v32, v37
	s_delay_alu instid0(VALU_DEP_2)
	v_cmp_gt_u64_e64 s7, v[23:24], v[27:28]
	v_dual_mov_b32 v24, v20 :: v_dual_mov_b32 v23, v19
	s_and_saveexec_b32 s11, s7
; %bb.56:
	v_dual_mov_b32 v24, v16 :: v_dual_mov_b32 v23, v15
	v_dual_mov_b32 v15, v19 :: v_dual_mov_b32 v16, v20
	;; [unrolled: 1-line block ×4, first 2 shown]
; %bb.57:
	s_wait_alu 0xfffe
	s_or_b32 exec_lo, exec_lo, s11
	v_and_b32_e32 v20, v55, v70
	v_and_b32_e32 v19, v54, v69
	;; [unrolled: 1-line block ×4, first 2 shown]
	v_dual_mov_b32 v51, v39 :: v_dual_mov_b32 v50, v38
	s_delay_alu instid0(VALU_DEP_2)
	v_cmp_gt_u64_e64 s7, v[19:20], v[27:28]
	v_dual_mov_b32 v19, v54 :: v_dual_mov_b32 v20, v55
	s_and_saveexec_b32 s11, s7
; %bb.58:
	v_dual_mov_b32 v20, v9 :: v_dual_mov_b32 v19, v8
	v_dual_mov_b32 v8, v54 :: v_dual_mov_b32 v9, v55
	;; [unrolled: 1-line block ×4, first 2 shown]
; %bb.59:
	s_wait_alu 0xfffe
	s_or_b32 exec_lo, exec_lo, s11
	v_dual_mov_b32 v55, v53 :: v_dual_and_b32 v28, v30, v70
	v_dual_mov_b32 v54, v52 :: v_dual_and_b32 v27, v29, v69
	v_and_b32_e32 v36, v53, v70
	v_and_b32_e32 v35, v52, v69
	s_delay_alu instid0(VALU_DEP_1)
	v_cmp_gt_u64_e64 s7, v[27:28], v[35:36]
	v_dual_mov_b32 v28, v11 :: v_dual_mov_b32 v27, v10
	s_and_saveexec_b32 s11, s7
; %bb.60:
	v_dual_mov_b32 v28, v26 :: v_dual_mov_b32 v27, v25
	v_dual_mov_b32 v26, v11 :: v_dual_mov_b32 v25, v10
	;; [unrolled: 1-line block ×4, first 2 shown]
; %bb.61:
	s_wait_alu 0xfffe
	s_or_b32 exec_lo, exec_lo, s11
	v_and_b32_e32 v11, v18, v70
	v_and_b32_e32 v10, v17, v69
	;; [unrolled: 1-line block ×4, first 2 shown]
	v_dual_mov_b32 v53, v49 :: v_dual_mov_b32 v52, v48
	s_delay_alu instid0(VALU_DEP_2)
	v_cmp_gt_u64_e64 s7, v[10:11], v[35:36]
	v_dual_mov_b32 v12, v5 :: v_dual_mov_b32 v11, v4
	s_and_saveexec_b32 s11, s7
; %bb.62:
	v_dual_mov_b32 v11, v21 :: v_dual_mov_b32 v12, v22
	v_dual_mov_b32 v22, v5 :: v_dual_mov_b32 v21, v4
	;; [unrolled: 1-line block ×4, first 2 shown]
; %bb.63:
	s_wait_alu 0xfffe
	s_or_b32 exec_lo, exec_lo, s11
	v_and_b32_e32 v5, v9, v70
	v_and_b32_e32 v4, v8, v69
	v_dual_mov_b32 v49, v34 :: v_dual_and_b32 v36, v24, v70
	v_dual_mov_b32 v48, v33 :: v_dual_and_b32 v35, v23, v69
	s_delay_alu instid0(VALU_DEP_1)
	v_cmp_gt_u64_e64 s7, v[4:5], v[35:36]
	v_dual_mov_b32 v37, v9 :: v_dual_mov_b32 v36, v8
	s_and_saveexec_b32 s11, s7
; %bb.64:
	v_dual_mov_b32 v37, v24 :: v_dual_mov_b32 v36, v23
	v_dual_mov_b32 v24, v9 :: v_dual_mov_b32 v23, v8
	;; [unrolled: 1-line block ×4, first 2 shown]
; %bb.65:
	s_wait_alu 0xfffe
	s_or_b32 exec_lo, exec_lo, s11
	v_dual_mov_b32 v34, v20 :: v_dual_and_b32 v5, v55, v70
	v_dual_mov_b32 v39, v26 :: v_dual_and_b32 v8, v19, v69
	;; [unrolled: 1-line block ×4, first 2 shown]
	s_mov_b32 s11, exec_lo
	s_delay_alu instid0(VALU_DEP_1)
	v_cmpx_gt_u64_e64 v[4:5], v[8:9]
; %bb.66:
	v_dual_mov_b32 v33, v54 :: v_dual_mov_b32 v34, v55
	v_dual_mov_b32 v38, v50 :: v_dual_mov_b32 v39, v51
	;; [unrolled: 1-line block ×4, first 2 shown]
; %bb.67:
	s_wait_alu 0xfffe
	s_or_b32 exec_lo, exec_lo, s11
	v_and_b32_e32 v5, v53, v70
	v_and_b32_e32 v4, v52, v69
	;; [unrolled: 1-line block ×4, first 2 shown]
	v_dual_mov_b32 v19, v29 :: v_dual_mov_b32 v20, v30
	s_delay_alu instid0(VALU_DEP_2)
	v_cmp_gt_u64_e64 s7, v[4:5], v[8:9]
	v_dual_mov_b32 v4, v21 :: v_dual_mov_b32 v5, v22
	s_and_saveexec_b32 s11, s7
; %bb.68:
	v_dual_mov_b32 v4, v27 :: v_dual_mov_b32 v5, v28
	v_dual_mov_b32 v28, v22 :: v_dual_mov_b32 v27, v21
	;; [unrolled: 1-line block ×4, first 2 shown]
; %bb.69:
	s_wait_alu 0xfffe
	s_or_b32 exec_lo, exec_lo, s11
	v_and_b32_e32 v9, v24, v70
	v_and_b32_e32 v8, v23, v69
	;; [unrolled: 1-line block ×4, first 2 shown]
	s_delay_alu instid0(VALU_DEP_1)
	v_cmp_gt_u64_e64 s7, v[8:9], v[21:22]
	v_dual_mov_b32 v9, v23 :: v_dual_mov_b32 v10, v24
	v_dual_mov_b32 v21, v31 :: v_dual_mov_b32 v22, v32
	s_and_saveexec_b32 s11, s7
; %bb.70:
	v_dual_mov_b32 v9, v15 :: v_dual_mov_b32 v10, v16
	v_dual_mov_b32 v15, v23 :: v_dual_mov_b32 v16, v24
	;; [unrolled: 1-line block ×4, first 2 shown]
; %bb.71:
	s_wait_alu 0xfffe
	s_or_b32 exec_lo, exec_lo, s11
	v_and_b32_e32 v24, v34, v70
	v_and_b32_e32 v23, v33, v69
	v_dual_mov_b32 v65, v34 :: v_dual_and_b32 v26, v37, v70
	v_dual_mov_b32 v64, v33 :: v_dual_and_b32 v25, v36, v69
	s_delay_alu instid0(VALU_DEP_1)
	v_cmp_gt_u64_e64 s7, v[23:24], v[25:26]
	v_dual_mov_b32 v25, v50 :: v_dual_mov_b32 v26, v51
	s_and_saveexec_b32 s11, s7
; %bb.72:
	v_dual_mov_b32 v65, v37 :: v_dual_mov_b32 v64, v36
	v_dual_mov_b32 v37, v34 :: v_dual_mov_b32 v36, v33
	;; [unrolled: 1-line block ×4, first 2 shown]
; %bb.73:
	s_wait_alu 0xfffe
	s_or_b32 exec_lo, exec_lo, s11
	v_dual_mov_b32 v34, v54 :: v_dual_and_b32 v23, v19, v69
	v_dual_mov_b32 v51, v28 :: v_dual_and_b32 v30, v55, v70
	;; [unrolled: 1-line block ×4, first 2 shown]
	s_mov_b32 s11, exec_lo
	s_delay_alu instid0(VALU_DEP_1)
	v_cmpx_gt_u64_e64 v[23:24], v[29:30]
; %bb.74:
	v_dual_mov_b32 v51, v39 :: v_dual_mov_b32 v50, v38
	v_dual_mov_b32 v39, v28 :: v_dual_mov_b32 v38, v27
	;; [unrolled: 1-line block ×4, first 2 shown]
; %bb.75:
	s_wait_alu 0xfffe
	s_or_b32 exec_lo, exec_lo, s11
	v_dual_mov_b32 v33, v12 :: v_dual_and_b32 v24, v18, v70
	v_dual_mov_b32 v32, v11 :: v_dual_and_b32 v23, v17, v69
	v_and_b32_e32 v28, v53, v70
	v_and_b32_e32 v27, v52, v69
	v_dual_mov_b32 v55, v53 :: v_dual_mov_b32 v54, v52
	s_mov_b32 s11, exec_lo
	s_delay_alu instid0(VALU_DEP_2)
	v_cmpx_gt_u64_e64 v[23:24], v[27:28]
; %bb.76:
	v_dual_mov_b32 v33, v5 :: v_dual_mov_b32 v32, v4
	v_dual_mov_b32 v4, v11 :: v_dual_mov_b32 v5, v12
	;; [unrolled: 1-line block ×4, first 2 shown]
; %bb.77:
	s_wait_alu 0xfffe
	s_or_b32 exec_lo, exec_lo, s11
	v_dual_mov_b32 v29, v36 :: v_dual_and_b32 v12, v37, v70
	v_dual_mov_b32 v30, v37 :: v_dual_and_b32 v11, v36, v69
	v_and_b32_e32 v24, v10, v70
	v_and_b32_e32 v23, v9, v69
	s_delay_alu instid0(VALU_DEP_1)
	v_cmp_gt_u64_e64 s7, v[11:12], v[23:24]
	v_dual_mov_b32 v23, v48 :: v_dual_mov_b32 v24, v49
	s_and_saveexec_b32 s11, s7
; %bb.78:
	v_dual_mov_b32 v30, v10 :: v_dual_mov_b32 v29, v9
	v_dual_mov_b32 v9, v36 :: v_dual_mov_b32 v10, v37
	;; [unrolled: 1-line block ×4, first 2 shown]
; %bb.79:
	s_wait_alu 0xfffe
	s_or_b32 exec_lo, exec_lo, s11
	v_and_b32_e32 v12, v35, v70
	v_dual_mov_b32 v36, v64 :: v_dual_and_b32 v11, v34, v69
	v_and_b32_e32 v28, v65, v70
	v_and_b32_e32 v27, v64, v69
	v_mov_b32_e32 v37, v65
	s_delay_alu instid0(VALU_DEP_2)
	v_cmp_gt_u64_e64 s7, v[11:12], v[27:28]
	v_dual_mov_b32 v27, v38 :: v_dual_mov_b32 v28, v39
	s_and_saveexec_b32 s11, s7
; %bb.80:
	v_dual_mov_b32 v37, v35 :: v_dual_mov_b32 v36, v34
	v_dual_mov_b32 v28, v26 :: v_dual_mov_b32 v27, v25
	;; [unrolled: 1-line block ×4, first 2 shown]
; %bb.81:
	s_wait_alu 0xfffe
	s_or_b32 exec_lo, exec_lo, s11
	v_and_b32_e32 v12, v55, v70
	v_and_b32_e32 v11, v54, v69
	v_dual_mov_b32 v48, v54 :: v_dual_and_b32 v39, v20, v70
	v_and_b32_e32 v38, v19, v69
	v_mov_b32_e32 v49, v55
	s_delay_alu instid0(VALU_DEP_2)
	v_cmp_gt_u64_e64 s7, v[11:12], v[38:39]
	v_dual_mov_b32 v38, v50 :: v_dual_mov_b32 v39, v51
	s_and_saveexec_b32 s11, s7
; %bb.82:
	v_dual_mov_b32 v49, v20 :: v_dual_mov_b32 v48, v19
	v_dual_mov_b32 v19, v54 :: v_dual_mov_b32 v20, v55
	v_dual_mov_b32 v39, v5 :: v_dual_mov_b32 v38, v4
	v_dual_mov_b32 v4, v50 :: v_dual_mov_b32 v5, v51
; %bb.83:
	s_wait_alu 0xfffe
	s_or_b32 exec_lo, exec_lo, s11
.LBB719_84:
	s_wait_alu 0xfffe
	s_or_b32 exec_lo, exec_lo, s10
	v_and_b32_e32 v8, 0xffffff00, v71
	v_or_b32_e32 v11, 8, v67
	s_mov_b32 s10, exec_lo
	s_delay_alu instid0(VALU_DEP_2) | instskip(SKIP_2) | instid1(VALU_DEP_3)
	v_sub_nc_u32_e64 v50, 0x800, v8 clamp
	v_lshlrev_b32_e32 v12, 3, v8
	v_and_b32_e32 v8, 0xf0, v67
	v_min_u32_e32 v55, v50, v11
	v_and_b32_e32 v11, 8, v67
	s_delay_alu instid0(VALU_DEP_4) | instskip(NEXT) | instid1(VALU_DEP_4)
	v_lshl_or_b32 v31, v67, 3, v12
	v_lshl_or_b32 v65, v8, 3, v12
	s_wait_loadcnt_dscnt 0x0
	ds_store_2addr_b64 v31, v[15:16], v[9:10] offset1:1
	ds_store_2addr_b64 v31, v[29:30], v[36:37] offset0:2 offset1:3
	v_add_nc_u32_e32 v51, 8, v55
	v_min_u32_e32 v71, v50, v11
	v_sub_nc_u32_e32 v54, v55, v8
	v_add_nc_u32_e32 v52, 0x4010, v31
	v_add_nc_u32_e32 v53, 0x4020, v31
	v_min_u32_e32 v64, v50, v51
	v_add_nc_u32_e32 v51, 0x4000, v31
	v_min_u32_e32 v80, v71, v54
	v_add_nc_u32_e32 v54, 0x4030, v31
	ds_store_2addr_b64 v51, v[0:1], v[21:22] offset1:1
	ds_store_2addr_b64 v52, v[23:24], v[25:26] offset1:1
	v_sub_nc_u32_e32 v11, v64, v55
	ds_store_2addr_b64 v31, v[34:35], v[19:20] offset0:4 offset1:5
	ds_store_2addr_b64 v31, v[48:49], v[17:18] offset0:6 offset1:7
	ds_store_2addr_b64 v53, v[27:28], v[38:39] offset1:1
	ds_store_2addr_b64 v54, v[4:5], v[32:33] offset1:1
	; wave barrier
	v_sub_nc_u32_e64 v11, v71, v11 clamp
	s_delay_alu instid0(VALU_DEP_1)
	v_cmpx_lt_u32_e64 v11, v80
	s_cbranch_execz .LBB719_88
; %bb.85:
	v_lshlrev_b32_e32 v81, 3, v55
	v_lshlrev_b32_e32 v82, 3, v71
	s_mov_b32 s11, 0
	s_delay_alu instid0(VALU_DEP_1)
	v_add3_u32 v81, v12, v81, v82
.LBB719_86:                             ; =>This Inner Loop Header: Depth=1
	v_add_nc_u32_e32 v82, v80, v11
	s_delay_alu instid0(VALU_DEP_1) | instskip(NEXT) | instid1(VALU_DEP_1)
	v_lshrrev_b32_e32 v86, 1, v82
	v_not_b32_e32 v82, v86
	v_lshl_add_u32 v83, v86, 3, v65
	s_delay_alu instid0(VALU_DEP_2)
	v_lshl_add_u32 v84, v82, 3, v81
	ds_load_b64 v[82:83], v83
	ds_load_b64 v[84:85], v84
	s_wait_dscnt 0x1
	v_and_b32_e32 v83, v83, v70
	v_and_b32_e32 v82, v82, v69
	s_wait_dscnt 0x0
	v_and_b32_e32 v85, v85, v70
	v_and_b32_e32 v84, v84, v69
	s_delay_alu instid0(VALU_DEP_1) | instskip(SKIP_2) | instid1(VALU_DEP_2)
	v_cmp_gt_u64_e64 s7, v[84:85], v[82:83]
	v_add_nc_u32_e32 v82, 1, v86
	s_wait_alu 0xf1ff
	v_cndmask_b32_e64 v80, v80, v86, s7
	s_delay_alu instid0(VALU_DEP_2) | instskip(NEXT) | instid1(VALU_DEP_1)
	v_cndmask_b32_e64 v11, v82, v11, s7
	v_cmp_ge_u32_e64 s7, v11, v80
	s_wait_alu 0xfffe
	s_or_b32 s11, s7, s11
	s_wait_alu 0xfffe
	s_and_not1_b32 exec_lo, exec_lo, s11
	s_cbranch_execnz .LBB719_86
; %bb.87:
	s_or_b32 exec_lo, exec_lo, s11
.LBB719_88:
	s_wait_alu 0xfffe
	s_or_b32 exec_lo, exec_lo, s10
	v_add_nc_u32_e32 v80, v55, v71
	v_add_nc_u32_e32 v71, v11, v8
	s_delay_alu instid0(VALU_DEP_2) | instskip(NEXT) | instid1(VALU_DEP_2)
	v_sub_nc_u32_e32 v80, v80, v11
	v_cmp_le_u32_e64 s7, v71, v55
	s_delay_alu instid0(VALU_DEP_2)
	v_cmp_le_u32_e64 s10, v80, v64
	s_or_b32 s7, s7, s10
	s_wait_alu 0xfffe
	s_and_saveexec_b32 s20, s7
	s_cbranch_execz .LBB719_94
; %bb.89:
	v_cmp_lt_u32_e64 s7, v71, v55
                                        ; implicit-def: $vgpr8_vgpr9
	s_and_saveexec_b32 s10, s7
; %bb.90:
	v_lshl_add_u32 v0, v11, 3, v65
	ds_load_b64 v[8:9], v0
; %bb.91:
	s_wait_alu 0xfffe
	s_or_b32 exec_lo, exec_lo, s10
	v_cmp_ge_u32_e64 s10, v80, v64
	s_mov_b32 s12, exec_lo
                                        ; implicit-def: $vgpr10_vgpr11
	v_cmpx_lt_u32_e64 v80, v64
; %bb.92:
	v_lshl_add_u32 v0, v80, 3, v12
	ds_load_b64 v[10:11], v0
; %bb.93:
	s_wait_alu 0xfffe
	s_or_b32 exec_lo, exec_lo, s12
	s_wait_dscnt 0x0
	v_and_b32_e32 v1, v11, v70
	v_and_b32_e32 v0, v10, v69
	;; [unrolled: 1-line block ×4, first 2 shown]
	s_delay_alu instid0(VALU_DEP_1)
	v_cmp_le_u64_e64 s11, v[0:1], v[4:5]
	s_and_b32 s7, s7, s11
	s_wait_alu 0xfffe
	s_or_b32 s7, s10, s7
	s_wait_alu 0xfffe
	v_cndmask_b32_e64 v15, v80, v71, s7
	v_cndmask_b32_e64 v0, v64, v55, s7
	s_delay_alu instid0(VALU_DEP_2) | instskip(NEXT) | instid1(VALU_DEP_2)
	v_add_nc_u32_e32 v16, 1, v15
	v_add_nc_u32_e32 v0, -1, v0
	v_lshl_add_u32 v15, v15, 3, v12
	s_delay_alu instid0(VALU_DEP_3) | instskip(NEXT) | instid1(VALU_DEP_3)
	v_cndmask_b32_e64 v21, v71, v16, s7
	v_min_u32_e32 v0, v16, v0
	v_cndmask_b32_e64 v16, v16, v80, s7
	s_delay_alu instid0(VALU_DEP_3) | instskip(NEXT) | instid1(VALU_DEP_3)
	v_cmp_lt_u32_e64 s11, v21, v55
	v_lshl_add_u32 v0, v0, 3, v12
	s_delay_alu instid0(VALU_DEP_3)
	v_cmp_ge_u32_e64 s12, v16, v64
	ds_load_b64 v[0:1], v0
	s_wait_dscnt 0x0
	v_cndmask_b32_e64 v17, v1, v11, s7
	v_cndmask_b32_e64 v18, v0, v10, s7
	;; [unrolled: 1-line block ×4, first 2 shown]
	s_delay_alu instid0(VALU_DEP_4) | instskip(NEXT) | instid1(VALU_DEP_4)
	v_and_b32_e32 v1, v17, v70
	v_and_b32_e32 v0, v18, v69
	s_delay_alu instid0(VALU_DEP_4) | instskip(NEXT) | instid1(VALU_DEP_4)
	v_and_b32_e32 v5, v19, v70
	v_and_b32_e32 v4, v20, v69
	s_delay_alu instid0(VALU_DEP_1)
	v_cmp_le_u64_e64 s10, v[0:1], v[4:5]
	s_and_b32 s10, s11, s10
	s_wait_alu 0xfffe
	s_or_b32 s10, s12, s10
	s_wait_alu 0xfffe
	v_cndmask_b32_e64 v22, v16, v21, s10
	v_cndmask_b32_e64 v0, v64, v55, s10
	s_delay_alu instid0(VALU_DEP_2) | instskip(NEXT) | instid1(VALU_DEP_2)
	v_add_nc_u32_e32 v23, 1, v22
	v_add_nc_u32_e32 v0, -1, v0
	s_delay_alu instid0(VALU_DEP_2) | instskip(NEXT) | instid1(VALU_DEP_2)
	v_cndmask_b32_e64 v21, v21, v23, s10
	v_min_u32_e32 v0, v23, v0
	v_cndmask_b32_e64 v16, v23, v16, s10
	s_delay_alu instid0(VALU_DEP_3) | instskip(NEXT) | instid1(VALU_DEP_3)
	v_cmp_lt_u32_e64 s12, v21, v55
	v_lshl_add_u32 v0, v0, 3, v12
	s_delay_alu instid0(VALU_DEP_3)
	v_cmp_ge_u32_e64 s13, v16, v64
	ds_load_b64 v[0:1], v0
	s_wait_dscnt 0x0
	v_cndmask_b32_e64 v29, v1, v17, s10
	v_cndmask_b32_e64 v34, v0, v18, s10
	;; [unrolled: 1-line block ×4, first 2 shown]
	s_delay_alu instid0(VALU_DEP_4) | instskip(NEXT) | instid1(VALU_DEP_4)
	v_and_b32_e32 v1, v29, v70
	v_and_b32_e32 v0, v34, v69
	s_delay_alu instid0(VALU_DEP_4) | instskip(NEXT) | instid1(VALU_DEP_4)
	v_and_b32_e32 v5, v30, v70
	v_and_b32_e32 v4, v35, v69
	s_delay_alu instid0(VALU_DEP_1)
	v_cmp_le_u64_e64 s11, v[0:1], v[4:5]
	s_and_b32 s11, s12, s11
	s_wait_alu 0xfffe
	s_or_b32 s11, s13, s11
	s_wait_alu 0xfffe
	v_cndmask_b32_e64 v23, v16, v21, s11
	v_cndmask_b32_e64 v0, v64, v55, s11
	s_delay_alu instid0(VALU_DEP_2) | instskip(NEXT) | instid1(VALU_DEP_2)
	v_add_nc_u32_e32 v24, 1, v23
	v_add_nc_u32_e32 v0, -1, v0
	v_lshl_add_u32 v23, v23, 3, v12
	s_delay_alu instid0(VALU_DEP_3) | instskip(NEXT) | instid1(VALU_DEP_3)
	v_cndmask_b32_e64 v21, v21, v24, s11
	v_min_u32_e32 v0, v24, v0
	v_cndmask_b32_e64 v16, v24, v16, s11
	s_delay_alu instid0(VALU_DEP_3) | instskip(NEXT) | instid1(VALU_DEP_3)
	v_cmp_lt_u32_e64 s13, v21, v55
	v_lshl_add_u32 v0, v0, 3, v12
	s_delay_alu instid0(VALU_DEP_3)
	v_cmp_ge_u32_e64 s14, v16, v64
	ds_load_b64 v[0:1], v0
	s_wait_dscnt 0x0
	v_cndmask_b32_e64 v36, v1, v29, s11
	v_cndmask_b32_e64 v48, v0, v34, s11
	;; [unrolled: 1-line block ×5, first 2 shown]
	v_and_b32_e32 v1, v36, v70
	v_and_b32_e32 v0, v48, v69
	;; [unrolled: 1-line block ×4, first 2 shown]
	v_cndmask_b32_e64 v29, v34, v35, s11
	s_delay_alu instid0(VALU_DEP_2)
	v_cmp_le_u64_e64 s12, v[0:1], v[4:5]
	s_and_b32 s12, s13, s12
	s_wait_alu 0xfffe
	s_or_b32 s12, s14, s12
	s_wait_alu 0xfffe
	v_cndmask_b32_e64 v25, v16, v21, s12
	v_cndmask_b32_e64 v0, v64, v55, s12
	s_delay_alu instid0(VALU_DEP_2) | instskip(NEXT) | instid1(VALU_DEP_2)
	v_add_nc_u32_e32 v24, 1, v25
	v_add_nc_u32_e32 v0, -1, v0
	s_delay_alu instid0(VALU_DEP_2) | instskip(NEXT) | instid1(VALU_DEP_2)
	v_cndmask_b32_e64 v21, v21, v24, s12
	v_min_u32_e32 v0, v24, v0
	v_cndmask_b32_e64 v16, v24, v16, s12
	s_delay_alu instid0(VALU_DEP_3) | instskip(NEXT) | instid1(VALU_DEP_3)
	v_cmp_lt_u32_e64 s14, v21, v55
	v_lshl_add_u32 v0, v0, 3, v12
	s_delay_alu instid0(VALU_DEP_3)
	v_cmp_ge_u32_e64 s15, v16, v64
	ds_load_b64 v[0:1], v0
	s_wait_dscnt 0x0
	v_cndmask_b32_e64 v65, v1, v36, s12
	v_cndmask_b32_e64 v71, v0, v48, s12
	;; [unrolled: 1-line block ×5, first 2 shown]
	v_and_b32_e32 v1, v65, v70
	v_and_b32_e32 v0, v71, v69
	;; [unrolled: 1-line block ×4, first 2 shown]
	v_cndmask_b32_e64 v36, v48, v49, s12
	s_delay_alu instid0(VALU_DEP_2)
	v_cmp_le_u64_e64 s13, v[0:1], v[4:5]
	s_and_b32 s13, s14, s13
	s_wait_alu 0xfffe
	s_or_b32 s13, s15, s13
	s_wait_alu 0xfffe
	v_cndmask_b32_e64 v26, v16, v21, s13
	v_cndmask_b32_e64 v0, v64, v55, s13
	;; [unrolled: 1-line block ×4, first 2 shown]
	s_delay_alu instid0(VALU_DEP_4) | instskip(NEXT) | instid1(VALU_DEP_4)
	v_add_nc_u32_e32 v24, 1, v26
	v_add_nc_u32_e32 v0, -1, v0
	s_delay_alu instid0(VALU_DEP_2) | instskip(NEXT) | instid1(VALU_DEP_2)
	v_cndmask_b32_e64 v21, v21, v24, s13
	v_min_u32_e32 v0, v24, v0
	v_cndmask_b32_e64 v16, v24, v16, s13
	s_delay_alu instid0(VALU_DEP_3) | instskip(NEXT) | instid1(VALU_DEP_3)
	v_cmp_lt_u32_e64 s15, v21, v55
	v_lshl_add_u32 v0, v0, 3, v12
	s_delay_alu instid0(VALU_DEP_3)
	v_cmp_ge_u32_e64 s16, v16, v64
	ds_load_b64 v[0:1], v0
	s_wait_dscnt 0x0
	v_cndmask_b32_e64 v82, v1, v65, s13
	v_cndmask_b32_e64 v83, v0, v71, s13
	;; [unrolled: 1-line block ×4, first 2 shown]
	s_delay_alu instid0(VALU_DEP_4) | instskip(NEXT) | instid1(VALU_DEP_4)
	v_and_b32_e32 v1, v82, v70
	v_and_b32_e32 v0, v83, v69
	s_delay_alu instid0(VALU_DEP_4) | instskip(NEXT) | instid1(VALU_DEP_4)
	v_and_b32_e32 v5, v84, v70
	v_and_b32_e32 v4, v85, v69
	s_delay_alu instid0(VALU_DEP_1)
	v_cmp_le_u64_e64 s14, v[0:1], v[4:5]
	s_and_b32 s14, s15, s14
	s_wait_alu 0xfffe
	s_or_b32 s14, s16, s14
	s_wait_alu 0xfffe
	v_cndmask_b32_e64 v27, v16, v21, s14
	v_cndmask_b32_e64 v0, v64, v55, s14
	s_delay_alu instid0(VALU_DEP_2) | instskip(NEXT) | instid1(VALU_DEP_2)
	v_add_nc_u32_e32 v24, 1, v27
	v_add_nc_u32_e32 v0, -1, v0
	s_delay_alu instid0(VALU_DEP_2) | instskip(NEXT) | instid1(VALU_DEP_2)
	v_cndmask_b32_e64 v21, v21, v24, s14
	v_min_u32_e32 v0, v24, v0
	v_cndmask_b32_e64 v16, v24, v16, s14
	s_delay_alu instid0(VALU_DEP_3) | instskip(NEXT) | instid1(VALU_DEP_3)
	v_cmp_lt_u32_e64 s16, v21, v55
	v_lshl_add_u32 v0, v0, 3, v12
	s_delay_alu instid0(VALU_DEP_3)
	v_cmp_ge_u32_e64 s17, v16, v64
	ds_load_b64 v[0:1], v0
	s_wait_dscnt 0x0
	v_cndmask_b32_e64 v86, v1, v82, s14
	v_cndmask_b32_e64 v87, v0, v83, s14
	;; [unrolled: 1-line block ×4, first 2 shown]
	s_delay_alu instid0(VALU_DEP_4) | instskip(NEXT) | instid1(VALU_DEP_4)
	v_and_b32_e32 v1, v86, v70
	v_and_b32_e32 v0, v87, v69
	s_delay_alu instid0(VALU_DEP_4) | instskip(NEXT) | instid1(VALU_DEP_4)
	v_and_b32_e32 v5, v96, v70
	v_and_b32_e32 v4, v97, v69
	s_delay_alu instid0(VALU_DEP_1)
	v_cmp_le_u64_e64 s15, v[0:1], v[4:5]
	s_and_b32 s15, s16, s15
	s_wait_alu 0xfffe
	s_or_b32 s15, s17, s15
	s_wait_alu 0xfffe
	v_cndmask_b32_e64 v28, v16, v21, s15
	v_cndmask_b32_e64 v0, v64, v55, s15
	;; [unrolled: 1-line block ×4, first 2 shown]
	s_delay_alu instid0(VALU_DEP_4) | instskip(NEXT) | instid1(VALU_DEP_4)
	v_add_nc_u32_e32 v24, 1, v28
	v_add_nc_u32_e32 v0, -1, v0
	s_delay_alu instid0(VALU_DEP_2) | instskip(NEXT) | instid1(VALU_DEP_2)
	v_cndmask_b32_e64 v32, v21, v24, s15
	v_min_u32_e32 v0, v24, v0
	v_cndmask_b32_e64 v16, v24, v16, s15
	v_lshl_add_u32 v21, v22, 3, v12
	s_delay_alu instid0(VALU_DEP_4) | instskip(NEXT) | instid1(VALU_DEP_4)
	v_cmp_lt_u32_e64 s17, v32, v55
	v_lshl_add_u32 v0, v0, 3, v12
	s_delay_alu instid0(VALU_DEP_4)
	v_cmp_ge_u32_e64 s18, v16, v64
	ds_load_b64 v[0:1], v0
	s_wait_dscnt 0x0
	v_cndmask_b32_e64 v98, v1, v86, s15
	v_cndmask_b32_e64 v99, v0, v87, s15
	;; [unrolled: 1-line block ×4, first 2 shown]
	s_delay_alu instid0(VALU_DEP_4) | instskip(NEXT) | instid1(VALU_DEP_4)
	v_and_b32_e32 v1, v98, v70
	v_and_b32_e32 v0, v99, v69
	s_delay_alu instid0(VALU_DEP_4) | instskip(NEXT) | instid1(VALU_DEP_4)
	v_and_b32_e32 v5, v100, v70
	v_and_b32_e32 v4, v101, v69
	s_delay_alu instid0(VALU_DEP_1)
	v_cmp_le_u64_e64 s16, v[0:1], v[4:5]
	ds_load_b64 v[0:1], v15 offset:16384
	v_lshl_add_u32 v4, v25, 3, v12
	v_lshl_add_u32 v15, v26, 3, v12
	ds_load_b64 v[21:22], v21 offset:16384
	ds_load_b64 v[23:24], v23 offset:16384
	s_and_b32 s16, s17, s16
	ds_load_b64 v[25:26], v4 offset:16384
	s_wait_alu 0xfffe
	s_or_b32 s16, s18, s16
	s_wait_alu 0xfffe
	v_cndmask_b32_e64 v5, v16, v32, s16
	v_lshl_add_u32 v16, v27, 3, v12
	v_lshl_add_u32 v32, v28, 3, v12
	s_delay_alu instid0(VALU_DEP_3)
	v_lshl_add_u32 v33, v5, 3, v12
	ds_load_b64 v[27:28], v15 offset:16384
	ds_load_b64 v[38:39], v16 offset:16384
	;; [unrolled: 1-line block ×3, first 2 shown]
	v_cndmask_b32_e64 v16, v11, v9, s7
	v_cndmask_b32_e64 v15, v10, v8, s7
	;; [unrolled: 1-line block ×3, first 2 shown]
	ds_load_b64 v[32:33], v33 offset:16384
	v_cndmask_b32_e64 v9, v18, v20, s10
	v_cndmask_b32_e64 v20, v82, v84, s14
	;; [unrolled: 1-line block ×5, first 2 shown]
.LBB719_94:
	s_wait_alu 0xfffe
	s_or_b32 exec_lo, exec_lo, s20
	v_and_b32_e32 v8, 0xe0, v67
	v_and_b32_e32 v65, 24, v67
	s_mov_b32 s10, exec_lo
	; wave barrier
	s_delay_alu instid0(VALU_DEP_2) | instskip(NEXT) | instid1(VALU_DEP_2)
	v_or_b32_e32 v11, 16, v8
	v_min_u32_e32 v71, v50, v65
	ds_store_2addr_b64 v31, v[15:16], v[9:10] offset1:1
	ds_store_2addr_b64 v31, v[29:30], v[36:37] offset0:2 offset1:3
	s_wait_dscnt 0x8
	ds_store_2addr_b64 v51, v[0:1], v[21:22] offset1:1
	s_wait_dscnt 0x7
	ds_store_2addr_b64 v52, v[23:24], v[25:26] offset1:1
	ds_store_2addr_b64 v31, v[34:35], v[19:20] offset0:4 offset1:5
	ds_store_2addr_b64 v31, v[48:49], v[17:18] offset0:6 offset1:7
	s_wait_dscnt 0x8
	ds_store_2addr_b64 v53, v[27:28], v[38:39] offset1:1
	s_wait_dscnt 0x7
	ds_store_2addr_b64 v54, v[4:5], v[32:33] offset1:1
	v_min_u32_e32 v55, v50, v11
	; wave barrier
	s_delay_alu instid0(VALU_DEP_1) | instskip(NEXT) | instid1(VALU_DEP_1)
	v_add_nc_u32_e32 v11, 16, v55
	v_min_u32_e32 v64, v50, v11
	v_sub_nc_u32_e32 v11, v55, v8
	s_delay_alu instid0(VALU_DEP_2) | instskip(NEXT) | instid1(VALU_DEP_2)
	v_sub_nc_u32_e32 v65, v64, v55
	v_min_u32_e32 v80, v71, v11
	s_delay_alu instid0(VALU_DEP_2) | instskip(SKIP_1) | instid1(VALU_DEP_2)
	v_sub_nc_u32_e64 v11, v71, v65 clamp
	v_lshl_add_u32 v65, v8, 3, v12
	v_cmpx_lt_u32_e64 v11, v80
	s_cbranch_execz .LBB719_98
; %bb.95:
	v_lshlrev_b32_e32 v81, 3, v55
	v_lshlrev_b32_e32 v82, 3, v71
	s_mov_b32 s11, 0
	s_delay_alu instid0(VALU_DEP_1)
	v_add3_u32 v81, v12, v81, v82
.LBB719_96:                             ; =>This Inner Loop Header: Depth=1
	v_add_nc_u32_e32 v82, v80, v11
	s_delay_alu instid0(VALU_DEP_1) | instskip(NEXT) | instid1(VALU_DEP_1)
	v_lshrrev_b32_e32 v86, 1, v82
	v_not_b32_e32 v82, v86
	v_lshl_add_u32 v83, v86, 3, v65
	s_delay_alu instid0(VALU_DEP_2)
	v_lshl_add_u32 v84, v82, 3, v81
	ds_load_b64 v[82:83], v83
	ds_load_b64 v[84:85], v84
	s_wait_dscnt 0x1
	v_and_b32_e32 v83, v83, v70
	v_and_b32_e32 v82, v82, v69
	s_wait_dscnt 0x0
	v_and_b32_e32 v85, v85, v70
	v_and_b32_e32 v84, v84, v69
	s_delay_alu instid0(VALU_DEP_1) | instskip(SKIP_2) | instid1(VALU_DEP_2)
	v_cmp_gt_u64_e64 s7, v[84:85], v[82:83]
	v_add_nc_u32_e32 v82, 1, v86
	s_wait_alu 0xf1ff
	v_cndmask_b32_e64 v80, v80, v86, s7
	s_delay_alu instid0(VALU_DEP_2) | instskip(NEXT) | instid1(VALU_DEP_1)
	v_cndmask_b32_e64 v11, v82, v11, s7
	v_cmp_ge_u32_e64 s7, v11, v80
	s_wait_alu 0xfffe
	s_or_b32 s11, s7, s11
	s_wait_alu 0xfffe
	s_and_not1_b32 exec_lo, exec_lo, s11
	s_cbranch_execnz .LBB719_96
; %bb.97:
	s_or_b32 exec_lo, exec_lo, s11
.LBB719_98:
	s_wait_alu 0xfffe
	s_or_b32 exec_lo, exec_lo, s10
	v_add_nc_u32_e32 v80, v55, v71
	v_add_nc_u32_e32 v71, v11, v8
	s_delay_alu instid0(VALU_DEP_2) | instskip(NEXT) | instid1(VALU_DEP_2)
	v_sub_nc_u32_e32 v80, v80, v11
	v_cmp_le_u32_e64 s7, v71, v55
	s_delay_alu instid0(VALU_DEP_2)
	v_cmp_le_u32_e64 s10, v80, v64
	s_or_b32 s7, s7, s10
	s_wait_alu 0xfffe
	s_and_saveexec_b32 s20, s7
	s_cbranch_execz .LBB719_104
; %bb.99:
	v_cmp_lt_u32_e64 s7, v71, v55
                                        ; implicit-def: $vgpr8_vgpr9
	s_and_saveexec_b32 s10, s7
; %bb.100:
	v_lshl_add_u32 v0, v11, 3, v65
	ds_load_b64 v[8:9], v0
; %bb.101:
	s_wait_alu 0xfffe
	s_or_b32 exec_lo, exec_lo, s10
	v_cmp_ge_u32_e64 s10, v80, v64
	s_mov_b32 s12, exec_lo
                                        ; implicit-def: $vgpr10_vgpr11
	v_cmpx_lt_u32_e64 v80, v64
; %bb.102:
	v_lshl_add_u32 v0, v80, 3, v12
	ds_load_b64 v[10:11], v0
; %bb.103:
	s_wait_alu 0xfffe
	s_or_b32 exec_lo, exec_lo, s12
	s_wait_dscnt 0x0
	v_and_b32_e32 v1, v11, v70
	v_and_b32_e32 v0, v10, v69
	;; [unrolled: 1-line block ×4, first 2 shown]
	s_delay_alu instid0(VALU_DEP_1)
	v_cmp_le_u64_e64 s11, v[0:1], v[4:5]
	s_and_b32 s7, s7, s11
	s_wait_alu 0xfffe
	s_or_b32 s7, s10, s7
	s_wait_alu 0xfffe
	v_cndmask_b32_e64 v15, v80, v71, s7
	v_cndmask_b32_e64 v0, v64, v55, s7
	s_delay_alu instid0(VALU_DEP_2) | instskip(NEXT) | instid1(VALU_DEP_2)
	v_add_nc_u32_e32 v16, 1, v15
	v_add_nc_u32_e32 v0, -1, v0
	v_lshl_add_u32 v15, v15, 3, v12
	s_delay_alu instid0(VALU_DEP_3) | instskip(NEXT) | instid1(VALU_DEP_3)
	v_cndmask_b32_e64 v21, v71, v16, s7
	v_min_u32_e32 v0, v16, v0
	v_cndmask_b32_e64 v16, v16, v80, s7
	s_delay_alu instid0(VALU_DEP_3) | instskip(NEXT) | instid1(VALU_DEP_3)
	v_cmp_lt_u32_e64 s11, v21, v55
	v_lshl_add_u32 v0, v0, 3, v12
	s_delay_alu instid0(VALU_DEP_3)
	v_cmp_ge_u32_e64 s12, v16, v64
	ds_load_b64 v[0:1], v0
	s_wait_dscnt 0x0
	v_cndmask_b32_e64 v17, v1, v11, s7
	v_cndmask_b32_e64 v18, v0, v10, s7
	;; [unrolled: 1-line block ×4, first 2 shown]
	s_delay_alu instid0(VALU_DEP_4) | instskip(NEXT) | instid1(VALU_DEP_4)
	v_and_b32_e32 v1, v17, v70
	v_and_b32_e32 v0, v18, v69
	s_delay_alu instid0(VALU_DEP_4) | instskip(NEXT) | instid1(VALU_DEP_4)
	v_and_b32_e32 v5, v19, v70
	v_and_b32_e32 v4, v20, v69
	s_delay_alu instid0(VALU_DEP_1)
	v_cmp_le_u64_e64 s10, v[0:1], v[4:5]
	s_and_b32 s10, s11, s10
	s_wait_alu 0xfffe
	s_or_b32 s10, s12, s10
	s_wait_alu 0xfffe
	v_cndmask_b32_e64 v22, v16, v21, s10
	v_cndmask_b32_e64 v0, v64, v55, s10
	s_delay_alu instid0(VALU_DEP_2) | instskip(NEXT) | instid1(VALU_DEP_2)
	v_add_nc_u32_e32 v23, 1, v22
	v_add_nc_u32_e32 v0, -1, v0
	s_delay_alu instid0(VALU_DEP_2) | instskip(NEXT) | instid1(VALU_DEP_2)
	v_cndmask_b32_e64 v21, v21, v23, s10
	v_min_u32_e32 v0, v23, v0
	v_cndmask_b32_e64 v16, v23, v16, s10
	s_delay_alu instid0(VALU_DEP_3) | instskip(NEXT) | instid1(VALU_DEP_3)
	v_cmp_lt_u32_e64 s12, v21, v55
	v_lshl_add_u32 v0, v0, 3, v12
	s_delay_alu instid0(VALU_DEP_3)
	v_cmp_ge_u32_e64 s13, v16, v64
	ds_load_b64 v[0:1], v0
	s_wait_dscnt 0x0
	v_cndmask_b32_e64 v29, v1, v17, s10
	v_cndmask_b32_e64 v34, v0, v18, s10
	;; [unrolled: 1-line block ×4, first 2 shown]
	s_delay_alu instid0(VALU_DEP_4) | instskip(NEXT) | instid1(VALU_DEP_4)
	v_and_b32_e32 v1, v29, v70
	v_and_b32_e32 v0, v34, v69
	s_delay_alu instid0(VALU_DEP_4) | instskip(NEXT) | instid1(VALU_DEP_4)
	v_and_b32_e32 v5, v30, v70
	v_and_b32_e32 v4, v35, v69
	s_delay_alu instid0(VALU_DEP_1)
	v_cmp_le_u64_e64 s11, v[0:1], v[4:5]
	s_and_b32 s11, s12, s11
	s_wait_alu 0xfffe
	s_or_b32 s11, s13, s11
	s_wait_alu 0xfffe
	v_cndmask_b32_e64 v23, v16, v21, s11
	v_cndmask_b32_e64 v0, v64, v55, s11
	s_delay_alu instid0(VALU_DEP_2) | instskip(NEXT) | instid1(VALU_DEP_2)
	v_add_nc_u32_e32 v24, 1, v23
	v_add_nc_u32_e32 v0, -1, v0
	v_lshl_add_u32 v23, v23, 3, v12
	s_delay_alu instid0(VALU_DEP_3) | instskip(NEXT) | instid1(VALU_DEP_3)
	v_cndmask_b32_e64 v21, v21, v24, s11
	v_min_u32_e32 v0, v24, v0
	v_cndmask_b32_e64 v16, v24, v16, s11
	s_delay_alu instid0(VALU_DEP_3) | instskip(NEXT) | instid1(VALU_DEP_3)
	v_cmp_lt_u32_e64 s13, v21, v55
	v_lshl_add_u32 v0, v0, 3, v12
	s_delay_alu instid0(VALU_DEP_3)
	v_cmp_ge_u32_e64 s14, v16, v64
	ds_load_b64 v[0:1], v0
	s_wait_dscnt 0x0
	v_cndmask_b32_e64 v36, v1, v29, s11
	v_cndmask_b32_e64 v48, v0, v34, s11
	;; [unrolled: 1-line block ×5, first 2 shown]
	v_and_b32_e32 v1, v36, v70
	v_and_b32_e32 v0, v48, v69
	;; [unrolled: 1-line block ×4, first 2 shown]
	v_cndmask_b32_e64 v29, v34, v35, s11
	s_delay_alu instid0(VALU_DEP_2)
	v_cmp_le_u64_e64 s12, v[0:1], v[4:5]
	s_and_b32 s12, s13, s12
	s_wait_alu 0xfffe
	s_or_b32 s12, s14, s12
	s_wait_alu 0xfffe
	v_cndmask_b32_e64 v25, v16, v21, s12
	v_cndmask_b32_e64 v0, v64, v55, s12
	s_delay_alu instid0(VALU_DEP_2) | instskip(NEXT) | instid1(VALU_DEP_2)
	v_add_nc_u32_e32 v24, 1, v25
	v_add_nc_u32_e32 v0, -1, v0
	s_delay_alu instid0(VALU_DEP_2) | instskip(NEXT) | instid1(VALU_DEP_2)
	v_cndmask_b32_e64 v21, v21, v24, s12
	v_min_u32_e32 v0, v24, v0
	v_cndmask_b32_e64 v16, v24, v16, s12
	s_delay_alu instid0(VALU_DEP_3) | instskip(NEXT) | instid1(VALU_DEP_3)
	v_cmp_lt_u32_e64 s14, v21, v55
	v_lshl_add_u32 v0, v0, 3, v12
	s_delay_alu instid0(VALU_DEP_3)
	v_cmp_ge_u32_e64 s15, v16, v64
	ds_load_b64 v[0:1], v0
	s_wait_dscnt 0x0
	v_cndmask_b32_e64 v65, v1, v36, s12
	v_cndmask_b32_e64 v71, v0, v48, s12
	;; [unrolled: 1-line block ×5, first 2 shown]
	v_and_b32_e32 v1, v65, v70
	v_and_b32_e32 v0, v71, v69
	;; [unrolled: 1-line block ×4, first 2 shown]
	v_cndmask_b32_e64 v36, v48, v49, s12
	s_delay_alu instid0(VALU_DEP_2)
	v_cmp_le_u64_e64 s13, v[0:1], v[4:5]
	s_and_b32 s13, s14, s13
	s_wait_alu 0xfffe
	s_or_b32 s13, s15, s13
	s_wait_alu 0xfffe
	v_cndmask_b32_e64 v26, v16, v21, s13
	v_cndmask_b32_e64 v0, v64, v55, s13
	;; [unrolled: 1-line block ×4, first 2 shown]
	s_delay_alu instid0(VALU_DEP_4) | instskip(NEXT) | instid1(VALU_DEP_4)
	v_add_nc_u32_e32 v24, 1, v26
	v_add_nc_u32_e32 v0, -1, v0
	s_delay_alu instid0(VALU_DEP_2) | instskip(NEXT) | instid1(VALU_DEP_2)
	v_cndmask_b32_e64 v21, v21, v24, s13
	v_min_u32_e32 v0, v24, v0
	v_cndmask_b32_e64 v16, v24, v16, s13
	s_delay_alu instid0(VALU_DEP_3) | instskip(NEXT) | instid1(VALU_DEP_3)
	v_cmp_lt_u32_e64 s15, v21, v55
	v_lshl_add_u32 v0, v0, 3, v12
	s_delay_alu instid0(VALU_DEP_3)
	v_cmp_ge_u32_e64 s16, v16, v64
	ds_load_b64 v[0:1], v0
	s_wait_dscnt 0x0
	v_cndmask_b32_e64 v82, v1, v65, s13
	v_cndmask_b32_e64 v83, v0, v71, s13
	;; [unrolled: 1-line block ×4, first 2 shown]
	s_delay_alu instid0(VALU_DEP_4) | instskip(NEXT) | instid1(VALU_DEP_4)
	v_and_b32_e32 v1, v82, v70
	v_and_b32_e32 v0, v83, v69
	s_delay_alu instid0(VALU_DEP_4) | instskip(NEXT) | instid1(VALU_DEP_4)
	v_and_b32_e32 v5, v84, v70
	v_and_b32_e32 v4, v85, v69
	s_delay_alu instid0(VALU_DEP_1)
	v_cmp_le_u64_e64 s14, v[0:1], v[4:5]
	s_and_b32 s14, s15, s14
	s_wait_alu 0xfffe
	s_or_b32 s14, s16, s14
	s_wait_alu 0xfffe
	v_cndmask_b32_e64 v27, v16, v21, s14
	v_cndmask_b32_e64 v0, v64, v55, s14
	s_delay_alu instid0(VALU_DEP_2) | instskip(NEXT) | instid1(VALU_DEP_2)
	v_add_nc_u32_e32 v24, 1, v27
	v_add_nc_u32_e32 v0, -1, v0
	s_delay_alu instid0(VALU_DEP_2) | instskip(NEXT) | instid1(VALU_DEP_2)
	v_cndmask_b32_e64 v21, v21, v24, s14
	v_min_u32_e32 v0, v24, v0
	v_cndmask_b32_e64 v16, v24, v16, s14
	s_delay_alu instid0(VALU_DEP_3) | instskip(NEXT) | instid1(VALU_DEP_3)
	v_cmp_lt_u32_e64 s16, v21, v55
	v_lshl_add_u32 v0, v0, 3, v12
	s_delay_alu instid0(VALU_DEP_3)
	v_cmp_ge_u32_e64 s17, v16, v64
	ds_load_b64 v[0:1], v0
	s_wait_dscnt 0x0
	v_cndmask_b32_e64 v86, v1, v82, s14
	v_cndmask_b32_e64 v87, v0, v83, s14
	;; [unrolled: 1-line block ×4, first 2 shown]
	s_delay_alu instid0(VALU_DEP_4) | instskip(NEXT) | instid1(VALU_DEP_4)
	v_and_b32_e32 v1, v86, v70
	v_and_b32_e32 v0, v87, v69
	s_delay_alu instid0(VALU_DEP_4) | instskip(NEXT) | instid1(VALU_DEP_4)
	v_and_b32_e32 v5, v96, v70
	v_and_b32_e32 v4, v97, v69
	s_delay_alu instid0(VALU_DEP_1)
	v_cmp_le_u64_e64 s15, v[0:1], v[4:5]
	s_and_b32 s15, s16, s15
	s_wait_alu 0xfffe
	s_or_b32 s15, s17, s15
	s_wait_alu 0xfffe
	v_cndmask_b32_e64 v28, v16, v21, s15
	v_cndmask_b32_e64 v0, v64, v55, s15
	;; [unrolled: 1-line block ×4, first 2 shown]
	s_delay_alu instid0(VALU_DEP_4) | instskip(NEXT) | instid1(VALU_DEP_4)
	v_add_nc_u32_e32 v24, 1, v28
	v_add_nc_u32_e32 v0, -1, v0
	s_delay_alu instid0(VALU_DEP_2) | instskip(NEXT) | instid1(VALU_DEP_2)
	v_cndmask_b32_e64 v32, v21, v24, s15
	v_min_u32_e32 v0, v24, v0
	v_cndmask_b32_e64 v16, v24, v16, s15
	v_lshl_add_u32 v21, v22, 3, v12
	s_delay_alu instid0(VALU_DEP_4) | instskip(NEXT) | instid1(VALU_DEP_4)
	v_cmp_lt_u32_e64 s17, v32, v55
	v_lshl_add_u32 v0, v0, 3, v12
	s_delay_alu instid0(VALU_DEP_4)
	v_cmp_ge_u32_e64 s18, v16, v64
	ds_load_b64 v[0:1], v0
	s_wait_dscnt 0x0
	v_cndmask_b32_e64 v98, v1, v86, s15
	v_cndmask_b32_e64 v99, v0, v87, s15
	;; [unrolled: 1-line block ×4, first 2 shown]
	s_delay_alu instid0(VALU_DEP_4) | instskip(NEXT) | instid1(VALU_DEP_4)
	v_and_b32_e32 v1, v98, v70
	v_and_b32_e32 v0, v99, v69
	s_delay_alu instid0(VALU_DEP_4) | instskip(NEXT) | instid1(VALU_DEP_4)
	v_and_b32_e32 v5, v100, v70
	v_and_b32_e32 v4, v101, v69
	s_delay_alu instid0(VALU_DEP_1)
	v_cmp_le_u64_e64 s16, v[0:1], v[4:5]
	ds_load_b64 v[0:1], v15 offset:16384
	v_lshl_add_u32 v4, v25, 3, v12
	v_lshl_add_u32 v15, v26, 3, v12
	ds_load_b64 v[21:22], v21 offset:16384
	ds_load_b64 v[23:24], v23 offset:16384
	s_and_b32 s16, s17, s16
	ds_load_b64 v[25:26], v4 offset:16384
	s_wait_alu 0xfffe
	s_or_b32 s16, s18, s16
	s_wait_alu 0xfffe
	v_cndmask_b32_e64 v5, v16, v32, s16
	v_lshl_add_u32 v16, v27, 3, v12
	v_lshl_add_u32 v32, v28, 3, v12
	s_delay_alu instid0(VALU_DEP_3)
	v_lshl_add_u32 v33, v5, 3, v12
	ds_load_b64 v[27:28], v15 offset:16384
	ds_load_b64 v[38:39], v16 offset:16384
	;; [unrolled: 1-line block ×3, first 2 shown]
	v_cndmask_b32_e64 v16, v11, v9, s7
	v_cndmask_b32_e64 v15, v10, v8, s7
	;; [unrolled: 1-line block ×3, first 2 shown]
	ds_load_b64 v[32:33], v33 offset:16384
	v_cndmask_b32_e64 v9, v18, v20, s10
	v_cndmask_b32_e64 v20, v82, v84, s14
	;; [unrolled: 1-line block ×5, first 2 shown]
.LBB719_104:
	s_wait_alu 0xfffe
	s_or_b32 exec_lo, exec_lo, s20
	v_and_b32_e32 v8, 0xc0, v67
	v_and_b32_e32 v65, 56, v67
	s_mov_b32 s10, exec_lo
	; wave barrier
	s_delay_alu instid0(VALU_DEP_2) | instskip(NEXT) | instid1(VALU_DEP_2)
	v_or_b32_e32 v11, 32, v8
	v_min_u32_e32 v71, v50, v65
	ds_store_2addr_b64 v31, v[15:16], v[9:10] offset1:1
	ds_store_2addr_b64 v31, v[29:30], v[36:37] offset0:2 offset1:3
	s_wait_dscnt 0x8
	ds_store_2addr_b64 v51, v[0:1], v[21:22] offset1:1
	s_wait_dscnt 0x7
	ds_store_2addr_b64 v52, v[23:24], v[25:26] offset1:1
	ds_store_2addr_b64 v31, v[34:35], v[19:20] offset0:4 offset1:5
	ds_store_2addr_b64 v31, v[48:49], v[17:18] offset0:6 offset1:7
	s_wait_dscnt 0x8
	ds_store_2addr_b64 v53, v[27:28], v[38:39] offset1:1
	s_wait_dscnt 0x7
	ds_store_2addr_b64 v54, v[4:5], v[32:33] offset1:1
	v_min_u32_e32 v55, v50, v11
	; wave barrier
	s_delay_alu instid0(VALU_DEP_1) | instskip(NEXT) | instid1(VALU_DEP_1)
	v_add_nc_u32_e32 v11, 32, v55
	v_min_u32_e32 v64, v50, v11
	v_sub_nc_u32_e32 v11, v55, v8
	s_delay_alu instid0(VALU_DEP_2) | instskip(NEXT) | instid1(VALU_DEP_2)
	v_sub_nc_u32_e32 v65, v64, v55
	v_min_u32_e32 v80, v71, v11
	s_delay_alu instid0(VALU_DEP_2) | instskip(SKIP_1) | instid1(VALU_DEP_2)
	v_sub_nc_u32_e64 v11, v71, v65 clamp
	v_lshl_add_u32 v65, v8, 3, v12
	v_cmpx_lt_u32_e64 v11, v80
	s_cbranch_execz .LBB719_108
; %bb.105:
	v_lshlrev_b32_e32 v81, 3, v55
	v_lshlrev_b32_e32 v82, 3, v71
	s_mov_b32 s11, 0
	s_delay_alu instid0(VALU_DEP_1)
	v_add3_u32 v81, v12, v81, v82
.LBB719_106:                            ; =>This Inner Loop Header: Depth=1
	v_add_nc_u32_e32 v82, v80, v11
	s_delay_alu instid0(VALU_DEP_1) | instskip(NEXT) | instid1(VALU_DEP_1)
	v_lshrrev_b32_e32 v86, 1, v82
	v_not_b32_e32 v82, v86
	v_lshl_add_u32 v83, v86, 3, v65
	s_delay_alu instid0(VALU_DEP_2)
	v_lshl_add_u32 v84, v82, 3, v81
	ds_load_b64 v[82:83], v83
	ds_load_b64 v[84:85], v84
	s_wait_dscnt 0x1
	v_and_b32_e32 v83, v83, v70
	v_and_b32_e32 v82, v82, v69
	s_wait_dscnt 0x0
	v_and_b32_e32 v85, v85, v70
	v_and_b32_e32 v84, v84, v69
	s_delay_alu instid0(VALU_DEP_1) | instskip(SKIP_2) | instid1(VALU_DEP_2)
	v_cmp_gt_u64_e64 s7, v[84:85], v[82:83]
	v_add_nc_u32_e32 v82, 1, v86
	s_wait_alu 0xf1ff
	v_cndmask_b32_e64 v80, v80, v86, s7
	s_delay_alu instid0(VALU_DEP_2) | instskip(NEXT) | instid1(VALU_DEP_1)
	v_cndmask_b32_e64 v11, v82, v11, s7
	v_cmp_ge_u32_e64 s7, v11, v80
	s_wait_alu 0xfffe
	s_or_b32 s11, s7, s11
	s_wait_alu 0xfffe
	s_and_not1_b32 exec_lo, exec_lo, s11
	s_cbranch_execnz .LBB719_106
; %bb.107:
	s_or_b32 exec_lo, exec_lo, s11
.LBB719_108:
	s_wait_alu 0xfffe
	s_or_b32 exec_lo, exec_lo, s10
	v_add_nc_u32_e32 v80, v55, v71
	v_add_nc_u32_e32 v71, v11, v8
	s_delay_alu instid0(VALU_DEP_2) | instskip(NEXT) | instid1(VALU_DEP_2)
	v_sub_nc_u32_e32 v80, v80, v11
	v_cmp_le_u32_e64 s7, v71, v55
	s_delay_alu instid0(VALU_DEP_2)
	v_cmp_le_u32_e64 s10, v80, v64
	s_or_b32 s7, s7, s10
	s_wait_alu 0xfffe
	s_and_saveexec_b32 s20, s7
	s_cbranch_execz .LBB719_114
; %bb.109:
	v_cmp_lt_u32_e64 s7, v71, v55
                                        ; implicit-def: $vgpr8_vgpr9
	s_and_saveexec_b32 s10, s7
; %bb.110:
	v_lshl_add_u32 v0, v11, 3, v65
	ds_load_b64 v[8:9], v0
; %bb.111:
	s_wait_alu 0xfffe
	s_or_b32 exec_lo, exec_lo, s10
	v_cmp_ge_u32_e64 s10, v80, v64
	s_mov_b32 s12, exec_lo
                                        ; implicit-def: $vgpr10_vgpr11
	v_cmpx_lt_u32_e64 v80, v64
; %bb.112:
	v_lshl_add_u32 v0, v80, 3, v12
	ds_load_b64 v[10:11], v0
; %bb.113:
	s_wait_alu 0xfffe
	s_or_b32 exec_lo, exec_lo, s12
	s_wait_dscnt 0x0
	v_and_b32_e32 v1, v11, v70
	v_and_b32_e32 v0, v10, v69
	v_and_b32_e32 v5, v9, v70
	v_and_b32_e32 v4, v8, v69
	s_delay_alu instid0(VALU_DEP_1)
	v_cmp_le_u64_e64 s11, v[0:1], v[4:5]
	s_and_b32 s7, s7, s11
	s_wait_alu 0xfffe
	s_or_b32 s7, s10, s7
	s_wait_alu 0xfffe
	v_cndmask_b32_e64 v15, v80, v71, s7
	v_cndmask_b32_e64 v0, v64, v55, s7
	s_delay_alu instid0(VALU_DEP_2) | instskip(NEXT) | instid1(VALU_DEP_2)
	v_add_nc_u32_e32 v16, 1, v15
	v_add_nc_u32_e32 v0, -1, v0
	v_lshl_add_u32 v15, v15, 3, v12
	s_delay_alu instid0(VALU_DEP_3) | instskip(NEXT) | instid1(VALU_DEP_3)
	v_cndmask_b32_e64 v21, v71, v16, s7
	v_min_u32_e32 v0, v16, v0
	v_cndmask_b32_e64 v16, v16, v80, s7
	s_delay_alu instid0(VALU_DEP_3) | instskip(NEXT) | instid1(VALU_DEP_3)
	v_cmp_lt_u32_e64 s11, v21, v55
	v_lshl_add_u32 v0, v0, 3, v12
	s_delay_alu instid0(VALU_DEP_3)
	v_cmp_ge_u32_e64 s12, v16, v64
	ds_load_b64 v[0:1], v0
	s_wait_dscnt 0x0
	v_cndmask_b32_e64 v17, v1, v11, s7
	v_cndmask_b32_e64 v18, v0, v10, s7
	;; [unrolled: 1-line block ×4, first 2 shown]
	s_delay_alu instid0(VALU_DEP_4) | instskip(NEXT) | instid1(VALU_DEP_4)
	v_and_b32_e32 v1, v17, v70
	v_and_b32_e32 v0, v18, v69
	s_delay_alu instid0(VALU_DEP_4) | instskip(NEXT) | instid1(VALU_DEP_4)
	v_and_b32_e32 v5, v19, v70
	v_and_b32_e32 v4, v20, v69
	s_delay_alu instid0(VALU_DEP_1)
	v_cmp_le_u64_e64 s10, v[0:1], v[4:5]
	s_and_b32 s10, s11, s10
	s_wait_alu 0xfffe
	s_or_b32 s10, s12, s10
	s_wait_alu 0xfffe
	v_cndmask_b32_e64 v22, v16, v21, s10
	v_cndmask_b32_e64 v0, v64, v55, s10
	s_delay_alu instid0(VALU_DEP_2) | instskip(NEXT) | instid1(VALU_DEP_2)
	v_add_nc_u32_e32 v23, 1, v22
	v_add_nc_u32_e32 v0, -1, v0
	s_delay_alu instid0(VALU_DEP_2) | instskip(NEXT) | instid1(VALU_DEP_2)
	v_cndmask_b32_e64 v21, v21, v23, s10
	v_min_u32_e32 v0, v23, v0
	v_cndmask_b32_e64 v16, v23, v16, s10
	s_delay_alu instid0(VALU_DEP_3) | instskip(NEXT) | instid1(VALU_DEP_3)
	v_cmp_lt_u32_e64 s12, v21, v55
	v_lshl_add_u32 v0, v0, 3, v12
	s_delay_alu instid0(VALU_DEP_3)
	v_cmp_ge_u32_e64 s13, v16, v64
	ds_load_b64 v[0:1], v0
	s_wait_dscnt 0x0
	v_cndmask_b32_e64 v29, v1, v17, s10
	v_cndmask_b32_e64 v34, v0, v18, s10
	;; [unrolled: 1-line block ×4, first 2 shown]
	s_delay_alu instid0(VALU_DEP_4) | instskip(NEXT) | instid1(VALU_DEP_4)
	v_and_b32_e32 v1, v29, v70
	v_and_b32_e32 v0, v34, v69
	s_delay_alu instid0(VALU_DEP_4) | instskip(NEXT) | instid1(VALU_DEP_4)
	v_and_b32_e32 v5, v30, v70
	v_and_b32_e32 v4, v35, v69
	s_delay_alu instid0(VALU_DEP_1)
	v_cmp_le_u64_e64 s11, v[0:1], v[4:5]
	s_and_b32 s11, s12, s11
	s_wait_alu 0xfffe
	s_or_b32 s11, s13, s11
	s_wait_alu 0xfffe
	v_cndmask_b32_e64 v23, v16, v21, s11
	v_cndmask_b32_e64 v0, v64, v55, s11
	s_delay_alu instid0(VALU_DEP_2) | instskip(NEXT) | instid1(VALU_DEP_2)
	v_add_nc_u32_e32 v24, 1, v23
	v_add_nc_u32_e32 v0, -1, v0
	v_lshl_add_u32 v23, v23, 3, v12
	s_delay_alu instid0(VALU_DEP_3) | instskip(NEXT) | instid1(VALU_DEP_3)
	v_cndmask_b32_e64 v21, v21, v24, s11
	v_min_u32_e32 v0, v24, v0
	v_cndmask_b32_e64 v16, v24, v16, s11
	s_delay_alu instid0(VALU_DEP_3) | instskip(NEXT) | instid1(VALU_DEP_3)
	v_cmp_lt_u32_e64 s13, v21, v55
	v_lshl_add_u32 v0, v0, 3, v12
	s_delay_alu instid0(VALU_DEP_3)
	v_cmp_ge_u32_e64 s14, v16, v64
	ds_load_b64 v[0:1], v0
	s_wait_dscnt 0x0
	v_cndmask_b32_e64 v36, v1, v29, s11
	v_cndmask_b32_e64 v48, v0, v34, s11
	;; [unrolled: 1-line block ×5, first 2 shown]
	v_and_b32_e32 v1, v36, v70
	v_and_b32_e32 v0, v48, v69
	;; [unrolled: 1-line block ×4, first 2 shown]
	v_cndmask_b32_e64 v29, v34, v35, s11
	s_delay_alu instid0(VALU_DEP_2)
	v_cmp_le_u64_e64 s12, v[0:1], v[4:5]
	s_and_b32 s12, s13, s12
	s_wait_alu 0xfffe
	s_or_b32 s12, s14, s12
	s_wait_alu 0xfffe
	v_cndmask_b32_e64 v25, v16, v21, s12
	v_cndmask_b32_e64 v0, v64, v55, s12
	s_delay_alu instid0(VALU_DEP_2) | instskip(NEXT) | instid1(VALU_DEP_2)
	v_add_nc_u32_e32 v24, 1, v25
	v_add_nc_u32_e32 v0, -1, v0
	s_delay_alu instid0(VALU_DEP_2) | instskip(NEXT) | instid1(VALU_DEP_2)
	v_cndmask_b32_e64 v21, v21, v24, s12
	v_min_u32_e32 v0, v24, v0
	v_cndmask_b32_e64 v16, v24, v16, s12
	s_delay_alu instid0(VALU_DEP_3) | instskip(NEXT) | instid1(VALU_DEP_3)
	v_cmp_lt_u32_e64 s14, v21, v55
	v_lshl_add_u32 v0, v0, 3, v12
	s_delay_alu instid0(VALU_DEP_3)
	v_cmp_ge_u32_e64 s15, v16, v64
	ds_load_b64 v[0:1], v0
	s_wait_dscnt 0x0
	v_cndmask_b32_e64 v65, v1, v36, s12
	v_cndmask_b32_e64 v71, v0, v48, s12
	v_cndmask_b32_e64 v80, v37, v1, s12
	v_cndmask_b32_e64 v81, v49, v0, s12
	v_cndmask_b32_e64 v37, v36, v37, s12
	v_and_b32_e32 v1, v65, v70
	v_and_b32_e32 v0, v71, v69
	;; [unrolled: 1-line block ×4, first 2 shown]
	v_cndmask_b32_e64 v36, v48, v49, s12
	s_delay_alu instid0(VALU_DEP_2)
	v_cmp_le_u64_e64 s13, v[0:1], v[4:5]
	s_and_b32 s13, s14, s13
	s_wait_alu 0xfffe
	s_or_b32 s13, s15, s13
	s_wait_alu 0xfffe
	v_cndmask_b32_e64 v26, v16, v21, s13
	v_cndmask_b32_e64 v0, v64, v55, s13
	;; [unrolled: 1-line block ×4, first 2 shown]
	s_delay_alu instid0(VALU_DEP_4) | instskip(NEXT) | instid1(VALU_DEP_4)
	v_add_nc_u32_e32 v24, 1, v26
	v_add_nc_u32_e32 v0, -1, v0
	s_delay_alu instid0(VALU_DEP_2) | instskip(NEXT) | instid1(VALU_DEP_2)
	v_cndmask_b32_e64 v21, v21, v24, s13
	v_min_u32_e32 v0, v24, v0
	v_cndmask_b32_e64 v16, v24, v16, s13
	s_delay_alu instid0(VALU_DEP_3) | instskip(NEXT) | instid1(VALU_DEP_3)
	v_cmp_lt_u32_e64 s15, v21, v55
	v_lshl_add_u32 v0, v0, 3, v12
	s_delay_alu instid0(VALU_DEP_3)
	v_cmp_ge_u32_e64 s16, v16, v64
	ds_load_b64 v[0:1], v0
	s_wait_dscnt 0x0
	v_cndmask_b32_e64 v82, v1, v65, s13
	v_cndmask_b32_e64 v83, v0, v71, s13
	;; [unrolled: 1-line block ×4, first 2 shown]
	s_delay_alu instid0(VALU_DEP_4) | instskip(NEXT) | instid1(VALU_DEP_4)
	v_and_b32_e32 v1, v82, v70
	v_and_b32_e32 v0, v83, v69
	s_delay_alu instid0(VALU_DEP_4) | instskip(NEXT) | instid1(VALU_DEP_4)
	v_and_b32_e32 v5, v84, v70
	v_and_b32_e32 v4, v85, v69
	s_delay_alu instid0(VALU_DEP_1)
	v_cmp_le_u64_e64 s14, v[0:1], v[4:5]
	s_and_b32 s14, s15, s14
	s_wait_alu 0xfffe
	s_or_b32 s14, s16, s14
	s_wait_alu 0xfffe
	v_cndmask_b32_e64 v27, v16, v21, s14
	v_cndmask_b32_e64 v0, v64, v55, s14
	s_delay_alu instid0(VALU_DEP_2) | instskip(NEXT) | instid1(VALU_DEP_2)
	v_add_nc_u32_e32 v24, 1, v27
	v_add_nc_u32_e32 v0, -1, v0
	s_delay_alu instid0(VALU_DEP_2) | instskip(NEXT) | instid1(VALU_DEP_2)
	v_cndmask_b32_e64 v21, v21, v24, s14
	v_min_u32_e32 v0, v24, v0
	v_cndmask_b32_e64 v16, v24, v16, s14
	s_delay_alu instid0(VALU_DEP_3) | instskip(NEXT) | instid1(VALU_DEP_3)
	v_cmp_lt_u32_e64 s16, v21, v55
	v_lshl_add_u32 v0, v0, 3, v12
	s_delay_alu instid0(VALU_DEP_3)
	v_cmp_ge_u32_e64 s17, v16, v64
	ds_load_b64 v[0:1], v0
	s_wait_dscnt 0x0
	v_cndmask_b32_e64 v86, v1, v82, s14
	v_cndmask_b32_e64 v87, v0, v83, s14
	;; [unrolled: 1-line block ×4, first 2 shown]
	s_delay_alu instid0(VALU_DEP_4) | instskip(NEXT) | instid1(VALU_DEP_4)
	v_and_b32_e32 v1, v86, v70
	v_and_b32_e32 v0, v87, v69
	s_delay_alu instid0(VALU_DEP_4) | instskip(NEXT) | instid1(VALU_DEP_4)
	v_and_b32_e32 v5, v96, v70
	v_and_b32_e32 v4, v97, v69
	s_delay_alu instid0(VALU_DEP_1)
	v_cmp_le_u64_e64 s15, v[0:1], v[4:5]
	s_and_b32 s15, s16, s15
	s_wait_alu 0xfffe
	s_or_b32 s15, s17, s15
	s_wait_alu 0xfffe
	v_cndmask_b32_e64 v28, v16, v21, s15
	v_cndmask_b32_e64 v0, v64, v55, s15
	;; [unrolled: 1-line block ×4, first 2 shown]
	s_delay_alu instid0(VALU_DEP_4) | instskip(NEXT) | instid1(VALU_DEP_4)
	v_add_nc_u32_e32 v24, 1, v28
	v_add_nc_u32_e32 v0, -1, v0
	s_delay_alu instid0(VALU_DEP_2) | instskip(NEXT) | instid1(VALU_DEP_2)
	v_cndmask_b32_e64 v32, v21, v24, s15
	v_min_u32_e32 v0, v24, v0
	v_cndmask_b32_e64 v16, v24, v16, s15
	v_lshl_add_u32 v21, v22, 3, v12
	s_delay_alu instid0(VALU_DEP_4) | instskip(NEXT) | instid1(VALU_DEP_4)
	v_cmp_lt_u32_e64 s17, v32, v55
	v_lshl_add_u32 v0, v0, 3, v12
	s_delay_alu instid0(VALU_DEP_4)
	v_cmp_ge_u32_e64 s18, v16, v64
	ds_load_b64 v[0:1], v0
	s_wait_dscnt 0x0
	v_cndmask_b32_e64 v98, v1, v86, s15
	v_cndmask_b32_e64 v99, v0, v87, s15
	;; [unrolled: 1-line block ×4, first 2 shown]
	s_delay_alu instid0(VALU_DEP_4) | instskip(NEXT) | instid1(VALU_DEP_4)
	v_and_b32_e32 v1, v98, v70
	v_and_b32_e32 v0, v99, v69
	s_delay_alu instid0(VALU_DEP_4) | instskip(NEXT) | instid1(VALU_DEP_4)
	v_and_b32_e32 v5, v100, v70
	v_and_b32_e32 v4, v101, v69
	s_delay_alu instid0(VALU_DEP_1)
	v_cmp_le_u64_e64 s16, v[0:1], v[4:5]
	ds_load_b64 v[0:1], v15 offset:16384
	v_lshl_add_u32 v4, v25, 3, v12
	v_lshl_add_u32 v15, v26, 3, v12
	ds_load_b64 v[21:22], v21 offset:16384
	ds_load_b64 v[23:24], v23 offset:16384
	s_and_b32 s16, s17, s16
	ds_load_b64 v[25:26], v4 offset:16384
	s_wait_alu 0xfffe
	s_or_b32 s16, s18, s16
	s_wait_alu 0xfffe
	v_cndmask_b32_e64 v5, v16, v32, s16
	v_lshl_add_u32 v16, v27, 3, v12
	v_lshl_add_u32 v32, v28, 3, v12
	s_delay_alu instid0(VALU_DEP_3)
	v_lshl_add_u32 v33, v5, 3, v12
	ds_load_b64 v[27:28], v15 offset:16384
	ds_load_b64 v[38:39], v16 offset:16384
	;; [unrolled: 1-line block ×3, first 2 shown]
	v_cndmask_b32_e64 v16, v11, v9, s7
	v_cndmask_b32_e64 v15, v10, v8, s7
	;; [unrolled: 1-line block ×3, first 2 shown]
	ds_load_b64 v[32:33], v33 offset:16384
	v_cndmask_b32_e64 v9, v18, v20, s10
	v_cndmask_b32_e64 v20, v82, v84, s14
	;; [unrolled: 1-line block ×5, first 2 shown]
.LBB719_114:
	s_wait_alu 0xfffe
	s_or_b32 exec_lo, exec_lo, s20
	v_and_b32_e32 v8, 0x80, v67
	; wave barrier
	ds_store_2addr_b64 v31, v[15:16], v[9:10] offset1:1
	ds_store_2addr_b64 v31, v[29:30], v[36:37] offset0:2 offset1:3
	s_wait_dscnt 0x8
	ds_store_2addr_b64 v51, v[0:1], v[21:22] offset1:1
	s_wait_dscnt 0x7
	ds_store_2addr_b64 v52, v[23:24], v[25:26] offset1:1
	ds_store_2addr_b64 v31, v[34:35], v[19:20] offset0:4 offset1:5
	ds_store_2addr_b64 v31, v[48:49], v[17:18] offset0:6 offset1:7
	v_or_b32_e32 v11, 64, v8
	v_lshl_add_u32 v31, v8, 3, v12
	s_mov_b32 s10, exec_lo
	s_wait_dscnt 0x8
	ds_store_2addr_b64 v53, v[27:28], v[38:39] offset1:1
	s_wait_dscnt 0x7
	ds_store_2addr_b64 v54, v[4:5], v[32:33] offset1:1
	v_min_u32_e32 v55, v50, v11
	; wave barrier
	s_delay_alu instid0(VALU_DEP_1) | instskip(NEXT) | instid1(VALU_DEP_1)
	v_add_nc_u32_e32 v11, 64, v55
	v_min_u32_e32 v64, v50, v11
	v_min_u32_e32 v50, v50, v68
	v_sub_nc_u32_e32 v11, v55, v8
	s_delay_alu instid0(VALU_DEP_3) | instskip(NEXT) | instid1(VALU_DEP_2)
	v_sub_nc_u32_e32 v67, v64, v55
	v_min_u32_e32 v65, v50, v11
	s_delay_alu instid0(VALU_DEP_2) | instskip(NEXT) | instid1(VALU_DEP_1)
	v_sub_nc_u32_e64 v11, v50, v67 clamp
	v_cmpx_lt_u32_e64 v11, v65
	s_cbranch_execz .LBB719_118
; %bb.115:
	v_lshlrev_b32_e32 v51, 3, v55
	v_lshlrev_b32_e32 v52, 3, v50
	s_mov_b32 s11, 0
	s_delay_alu instid0(VALU_DEP_1)
	v_add3_u32 v51, v12, v51, v52
.LBB719_116:                            ; =>This Inner Loop Header: Depth=1
	v_add_nc_u32_e32 v52, v65, v11
	s_delay_alu instid0(VALU_DEP_1) | instskip(NEXT) | instid1(VALU_DEP_1)
	v_lshrrev_b32_e32 v54, 1, v52
	v_not_b32_e32 v52, v54
	v_lshl_add_u32 v53, v54, 3, v31
	s_delay_alu instid0(VALU_DEP_2)
	v_lshl_add_u32 v67, v52, 3, v51
	ds_load_b64 v[52:53], v53
	ds_load_b64 v[67:68], v67
	s_wait_dscnt 0x1
	v_and_b32_e32 v53, v53, v70
	v_and_b32_e32 v52, v52, v69
	s_wait_dscnt 0x0
	v_and_b32_e32 v68, v68, v70
	v_and_b32_e32 v67, v67, v69
	s_delay_alu instid0(VALU_DEP_1) | instskip(SKIP_2) | instid1(VALU_DEP_2)
	v_cmp_gt_u64_e64 s7, v[67:68], v[52:53]
	v_add_nc_u32_e32 v52, 1, v54
	s_wait_alu 0xf1ff
	v_cndmask_b32_e64 v65, v65, v54, s7
	s_delay_alu instid0(VALU_DEP_2) | instskip(NEXT) | instid1(VALU_DEP_1)
	v_cndmask_b32_e64 v11, v52, v11, s7
	v_cmp_ge_u32_e64 s7, v11, v65
	s_wait_alu 0xfffe
	s_or_b32 s11, s7, s11
	s_wait_alu 0xfffe
	s_and_not1_b32 exec_lo, exec_lo, s11
	s_cbranch_execnz .LBB719_116
; %bb.117:
	s_or_b32 exec_lo, exec_lo, s11
.LBB719_118:
	s_wait_alu 0xfffe
	s_or_b32 exec_lo, exec_lo, s10
	v_add_nc_u32_e32 v51, v55, v50
	v_add_nc_u32_e32 v50, v11, v8
	s_delay_alu instid0(VALU_DEP_2) | instskip(NEXT) | instid1(VALU_DEP_2)
	v_sub_nc_u32_e32 v51, v51, v11
	v_cmp_le_u32_e64 s7, v50, v55
	s_delay_alu instid0(VALU_DEP_2)
	v_cmp_le_u32_e64 s10, v51, v64
	s_or_b32 s7, s7, s10
	s_wait_alu 0xfffe
	s_and_saveexec_b32 s20, s7
	s_cbranch_execz .LBB719_124
; %bb.119:
	v_cmp_lt_u32_e64 s7, v50, v55
                                        ; implicit-def: $vgpr8_vgpr9
	s_and_saveexec_b32 s10, s7
; %bb.120:
	v_lshl_add_u32 v0, v11, 3, v31
	ds_load_b64 v[8:9], v0
; %bb.121:
	s_wait_alu 0xfffe
	s_or_b32 exec_lo, exec_lo, s10
	v_cmp_ge_u32_e64 s10, v51, v64
	s_mov_b32 s12, exec_lo
                                        ; implicit-def: $vgpr10_vgpr11
	v_cmpx_lt_u32_e64 v51, v64
; %bb.122:
	v_lshl_add_u32 v0, v51, 3, v12
	ds_load_b64 v[10:11], v0
; %bb.123:
	s_wait_alu 0xfffe
	s_or_b32 exec_lo, exec_lo, s12
	s_wait_dscnt 0x0
	v_and_b32_e32 v1, v11, v70
	v_and_b32_e32 v0, v10, v69
	;; [unrolled: 1-line block ×4, first 2 shown]
	s_delay_alu instid0(VALU_DEP_1)
	v_cmp_le_u64_e64 s11, v[0:1], v[4:5]
	s_and_b32 s7, s7, s11
	s_wait_alu 0xfffe
	s_or_b32 s7, s10, s7
	s_wait_alu 0xfffe
	v_cndmask_b32_e64 v15, v51, v50, s7
	v_cndmask_b32_e64 v0, v64, v55, s7
	s_delay_alu instid0(VALU_DEP_2) | instskip(NEXT) | instid1(VALU_DEP_2)
	v_add_nc_u32_e32 v16, 1, v15
	v_add_nc_u32_e32 v0, -1, v0
	v_lshl_add_u32 v15, v15, 3, v12
	s_delay_alu instid0(VALU_DEP_3) | instskip(NEXT) | instid1(VALU_DEP_3)
	v_cndmask_b32_e64 v21, v50, v16, s7
	v_min_u32_e32 v0, v16, v0
	v_cndmask_b32_e64 v16, v16, v51, s7
	s_delay_alu instid0(VALU_DEP_3) | instskip(NEXT) | instid1(VALU_DEP_3)
	v_cmp_lt_u32_e64 s11, v21, v55
	v_lshl_add_u32 v0, v0, 3, v12
	s_delay_alu instid0(VALU_DEP_3)
	v_cmp_ge_u32_e64 s12, v16, v64
	ds_load_b64 v[0:1], v0
	s_wait_dscnt 0x0
	v_cndmask_b32_e64 v17, v1, v11, s7
	v_cndmask_b32_e64 v18, v0, v10, s7
	;; [unrolled: 1-line block ×4, first 2 shown]
	s_delay_alu instid0(VALU_DEP_4) | instskip(NEXT) | instid1(VALU_DEP_4)
	v_and_b32_e32 v1, v17, v70
	v_and_b32_e32 v0, v18, v69
	s_delay_alu instid0(VALU_DEP_4) | instskip(NEXT) | instid1(VALU_DEP_4)
	v_and_b32_e32 v5, v19, v70
	v_and_b32_e32 v4, v20, v69
	s_delay_alu instid0(VALU_DEP_1)
	v_cmp_le_u64_e64 s10, v[0:1], v[4:5]
	s_and_b32 s10, s11, s10
	s_wait_alu 0xfffe
	s_or_b32 s10, s12, s10
	s_wait_alu 0xfffe
	v_cndmask_b32_e64 v22, v16, v21, s10
	v_cndmask_b32_e64 v0, v64, v55, s10
	s_delay_alu instid0(VALU_DEP_2) | instskip(NEXT) | instid1(VALU_DEP_2)
	v_add_nc_u32_e32 v23, 1, v22
	v_add_nc_u32_e32 v0, -1, v0
	s_delay_alu instid0(VALU_DEP_2) | instskip(NEXT) | instid1(VALU_DEP_2)
	v_cndmask_b32_e64 v21, v21, v23, s10
	v_min_u32_e32 v0, v23, v0
	v_cndmask_b32_e64 v16, v23, v16, s10
	s_delay_alu instid0(VALU_DEP_3) | instskip(NEXT) | instid1(VALU_DEP_3)
	v_cmp_lt_u32_e64 s12, v21, v55
	v_lshl_add_u32 v0, v0, 3, v12
	s_delay_alu instid0(VALU_DEP_3)
	v_cmp_ge_u32_e64 s13, v16, v64
	ds_load_b64 v[0:1], v0
	s_wait_dscnt 0x0
	v_cndmask_b32_e64 v29, v1, v17, s10
	v_cndmask_b32_e64 v31, v0, v18, s10
	;; [unrolled: 1-line block ×4, first 2 shown]
	s_delay_alu instid0(VALU_DEP_4) | instskip(NEXT) | instid1(VALU_DEP_4)
	v_and_b32_e32 v1, v29, v70
	v_and_b32_e32 v0, v31, v69
	s_delay_alu instid0(VALU_DEP_4) | instskip(NEXT) | instid1(VALU_DEP_4)
	v_and_b32_e32 v5, v30, v70
	v_and_b32_e32 v4, v34, v69
	s_delay_alu instid0(VALU_DEP_1)
	v_cmp_le_u64_e64 s11, v[0:1], v[4:5]
	s_and_b32 s11, s12, s11
	s_wait_alu 0xfffe
	s_or_b32 s11, s13, s11
	s_wait_alu 0xfffe
	v_cndmask_b32_e64 v23, v16, v21, s11
	v_cndmask_b32_e64 v0, v64, v55, s11
	s_delay_alu instid0(VALU_DEP_2) | instskip(NEXT) | instid1(VALU_DEP_2)
	v_add_nc_u32_e32 v24, 1, v23
	v_add_nc_u32_e32 v0, -1, v0
	v_lshl_add_u32 v23, v23, 3, v12
	s_delay_alu instid0(VALU_DEP_3) | instskip(NEXT) | instid1(VALU_DEP_3)
	v_cndmask_b32_e64 v21, v21, v24, s11
	v_min_u32_e32 v0, v24, v0
	v_cndmask_b32_e64 v16, v24, v16, s11
	s_delay_alu instid0(VALU_DEP_3) | instskip(NEXT) | instid1(VALU_DEP_3)
	v_cmp_lt_u32_e64 s13, v21, v55
	v_lshl_add_u32 v0, v0, 3, v12
	s_delay_alu instid0(VALU_DEP_3)
	v_cmp_ge_u32_e64 s14, v16, v64
	ds_load_b64 v[0:1], v0
	s_wait_dscnt 0x0
	v_cndmask_b32_e64 v35, v1, v29, s11
	v_cndmask_b32_e64 v36, v0, v31, s11
	;; [unrolled: 1-line block ×5, first 2 shown]
	v_and_b32_e32 v1, v35, v70
	v_and_b32_e32 v0, v36, v69
	;; [unrolled: 1-line block ×4, first 2 shown]
	v_cndmask_b32_e64 v29, v31, v34, s11
	s_delay_alu instid0(VALU_DEP_2)
	v_cmp_le_u64_e64 s12, v[0:1], v[4:5]
	s_and_b32 s12, s13, s12
	s_wait_alu 0xfffe
	s_or_b32 s12, s14, s12
	s_wait_alu 0xfffe
	v_cndmask_b32_e64 v25, v16, v21, s12
	v_cndmask_b32_e64 v0, v64, v55, s12
	s_delay_alu instid0(VALU_DEP_2) | instskip(NEXT) | instid1(VALU_DEP_2)
	v_add_nc_u32_e32 v24, 1, v25
	v_add_nc_u32_e32 v0, -1, v0
	s_delay_alu instid0(VALU_DEP_2) | instskip(NEXT) | instid1(VALU_DEP_2)
	v_cndmask_b32_e64 v21, v21, v24, s12
	v_min_u32_e32 v0, v24, v0
	v_cndmask_b32_e64 v16, v24, v16, s12
	s_delay_alu instid0(VALU_DEP_3) | instskip(NEXT) | instid1(VALU_DEP_3)
	v_cmp_lt_u32_e64 s14, v21, v55
	v_lshl_add_u32 v0, v0, 3, v12
	s_delay_alu instid0(VALU_DEP_3)
	v_cmp_ge_u32_e64 s15, v16, v64
	ds_load_b64 v[0:1], v0
	s_wait_dscnt 0x0
	v_cndmask_b32_e64 v49, v1, v35, s12
	v_cndmask_b32_e64 v50, v0, v36, s12
	;; [unrolled: 1-line block ×5, first 2 shown]
	v_and_b32_e32 v1, v49, v70
	v_and_b32_e32 v0, v50, v69
	;; [unrolled: 1-line block ×4, first 2 shown]
	v_cndmask_b32_e64 v36, v36, v48, s12
	s_delay_alu instid0(VALU_DEP_2)
	v_cmp_le_u64_e64 s13, v[0:1], v[4:5]
	s_and_b32 s13, s14, s13
	s_wait_alu 0xfffe
	s_or_b32 s13, s15, s13
	s_wait_alu 0xfffe
	v_cndmask_b32_e64 v26, v16, v21, s13
	v_cndmask_b32_e64 v0, v64, v55, s13
	v_cndmask_b32_e64 v35, v49, v51, s13
	v_cndmask_b32_e64 v34, v50, v52, s13
	s_delay_alu instid0(VALU_DEP_4) | instskip(NEXT) | instid1(VALU_DEP_4)
	v_add_nc_u32_e32 v24, 1, v26
	v_add_nc_u32_e32 v0, -1, v0
	s_delay_alu instid0(VALU_DEP_2) | instskip(NEXT) | instid1(VALU_DEP_2)
	v_cndmask_b32_e64 v21, v21, v24, s13
	v_min_u32_e32 v0, v24, v0
	v_cndmask_b32_e64 v16, v24, v16, s13
	s_delay_alu instid0(VALU_DEP_3) | instskip(NEXT) | instid1(VALU_DEP_3)
	v_cmp_lt_u32_e64 s15, v21, v55
	v_lshl_add_u32 v0, v0, 3, v12
	s_delay_alu instid0(VALU_DEP_3)
	v_cmp_ge_u32_e64 s16, v16, v64
	ds_load_b64 v[0:1], v0
	s_wait_dscnt 0x0
	v_cndmask_b32_e64 v53, v1, v49, s13
	v_cndmask_b32_e64 v54, v0, v50, s13
	v_cndmask_b32_e64 v65, v51, v1, s13
	v_cndmask_b32_e64 v67, v52, v0, s13
	s_delay_alu instid0(VALU_DEP_4) | instskip(NEXT) | instid1(VALU_DEP_4)
	v_and_b32_e32 v1, v53, v70
	v_and_b32_e32 v0, v54, v69
	s_delay_alu instid0(VALU_DEP_4) | instskip(NEXT) | instid1(VALU_DEP_4)
	v_and_b32_e32 v5, v65, v70
	v_and_b32_e32 v4, v67, v69
	s_delay_alu instid0(VALU_DEP_1)
	v_cmp_le_u64_e64 s14, v[0:1], v[4:5]
	s_and_b32 s14, s15, s14
	s_wait_alu 0xfffe
	s_or_b32 s14, s16, s14
	s_wait_alu 0xfffe
	v_cndmask_b32_e64 v27, v16, v21, s14
	v_cndmask_b32_e64 v0, v64, v55, s14
	s_delay_alu instid0(VALU_DEP_2) | instskip(NEXT) | instid1(VALU_DEP_2)
	v_add_nc_u32_e32 v24, 1, v27
	v_add_nc_u32_e32 v0, -1, v0
	s_delay_alu instid0(VALU_DEP_2) | instskip(NEXT) | instid1(VALU_DEP_2)
	v_cndmask_b32_e64 v21, v21, v24, s14
	v_min_u32_e32 v0, v24, v0
	v_cndmask_b32_e64 v16, v24, v16, s14
	s_delay_alu instid0(VALU_DEP_3) | instskip(NEXT) | instid1(VALU_DEP_3)
	v_cmp_lt_u32_e64 s16, v21, v55
	v_lshl_add_u32 v0, v0, 3, v12
	s_delay_alu instid0(VALU_DEP_3)
	v_cmp_ge_u32_e64 s17, v16, v64
	ds_load_b64 v[0:1], v0
	s_wait_dscnt 0x0
	v_cndmask_b32_e64 v68, v1, v53, s14
	v_cndmask_b32_e64 v71, v0, v54, s14
	;; [unrolled: 1-line block ×4, first 2 shown]
	s_delay_alu instid0(VALU_DEP_4) | instskip(NEXT) | instid1(VALU_DEP_4)
	v_and_b32_e32 v1, v68, v70
	v_and_b32_e32 v0, v71, v69
	s_delay_alu instid0(VALU_DEP_4) | instskip(NEXT) | instid1(VALU_DEP_4)
	v_and_b32_e32 v5, v80, v70
	v_and_b32_e32 v4, v81, v69
	s_delay_alu instid0(VALU_DEP_1)
	v_cmp_le_u64_e64 s15, v[0:1], v[4:5]
	s_and_b32 s15, s16, s15
	s_wait_alu 0xfffe
	s_or_b32 s15, s17, s15
	s_wait_alu 0xfffe
	v_cndmask_b32_e64 v28, v16, v21, s15
	v_cndmask_b32_e64 v0, v64, v55, s15
	;; [unrolled: 1-line block ×4, first 2 shown]
	s_delay_alu instid0(VALU_DEP_4) | instskip(NEXT) | instid1(VALU_DEP_4)
	v_add_nc_u32_e32 v24, 1, v28
	v_add_nc_u32_e32 v0, -1, v0
	s_delay_alu instid0(VALU_DEP_2) | instskip(NEXT) | instid1(VALU_DEP_2)
	v_cndmask_b32_e64 v32, v21, v24, s15
	v_min_u32_e32 v0, v24, v0
	v_cndmask_b32_e64 v16, v24, v16, s15
	v_lshl_add_u32 v21, v22, 3, v12
	s_delay_alu instid0(VALU_DEP_4) | instskip(NEXT) | instid1(VALU_DEP_4)
	v_cmp_lt_u32_e64 s17, v32, v55
	v_lshl_add_u32 v0, v0, 3, v12
	s_delay_alu instid0(VALU_DEP_4)
	v_cmp_ge_u32_e64 s18, v16, v64
	ds_load_b64 v[0:1], v0
	s_wait_dscnt 0x0
	v_cndmask_b32_e64 v82, v1, v68, s15
	v_cndmask_b32_e64 v83, v0, v71, s15
	;; [unrolled: 1-line block ×4, first 2 shown]
	s_delay_alu instid0(VALU_DEP_4) | instskip(NEXT) | instid1(VALU_DEP_4)
	v_and_b32_e32 v1, v82, v70
	v_and_b32_e32 v0, v83, v69
	s_delay_alu instid0(VALU_DEP_4) | instskip(NEXT) | instid1(VALU_DEP_4)
	v_and_b32_e32 v5, v84, v70
	v_and_b32_e32 v4, v85, v69
	s_delay_alu instid0(VALU_DEP_1)
	v_cmp_le_u64_e64 s16, v[0:1], v[4:5]
	ds_load_b64 v[0:1], v15 offset:16384
	v_lshl_add_u32 v4, v25, 3, v12
	v_lshl_add_u32 v15, v26, 3, v12
	ds_load_b64 v[21:22], v21 offset:16384
	ds_load_b64 v[23:24], v23 offset:16384
	s_and_b32 s16, s17, s16
	ds_load_b64 v[25:26], v4 offset:16384
	s_wait_alu 0xfffe
	s_or_b32 s16, s18, s16
	s_wait_alu 0xfffe
	v_cndmask_b32_e64 v5, v16, v32, s16
	v_lshl_add_u32 v16, v27, 3, v12
	v_lshl_add_u32 v32, v28, 3, v12
	s_delay_alu instid0(VALU_DEP_3)
	v_lshl_add_u32 v12, v5, 3, v12
	ds_load_b64 v[27:28], v15 offset:16384
	ds_load_b64 v[38:39], v16 offset:16384
	;; [unrolled: 1-line block ×3, first 2 shown]
	v_cndmask_b32_e64 v16, v11, v9, s7
	v_cndmask_b32_e64 v15, v10, v8, s7
	;; [unrolled: 1-line block ×3, first 2 shown]
	ds_load_b64 v[32:33], v12 offset:16384
	v_cndmask_b32_e64 v9, v18, v20, s10
	v_cndmask_b32_e64 v20, v53, v65, s14
	;; [unrolled: 1-line block ×5, first 2 shown]
.LBB719_124:
	s_wait_alu 0xfffe
	s_or_b32 exec_lo, exec_lo, s20
	; wave barrier
	s_wait_storecnt_dscnt 0x0
	s_barrier_signal -1
	s_barrier_wait -1
                                        ; implicit-def: $vgpr67
                                        ; implicit-def: $vgpr68
                                        ; implicit-def: $vgpr50
                                        ; implicit-def: $vgpr51
                                        ; implicit-def: $vgpr8
.LBB719_125:
	s_wait_alu 0xfffe
	s_and_not1_saveexec_b32 s17, s19
	s_cbranch_execz .LBB719_225
; %bb.126:
	s_load_b64 s[10:11], s[8:9], 0x0
	s_and_b32 s7, ttmp7, 0xffff
	s_mov_b32 s13, 0
	s_wait_kmcnt 0x0
	s_wait_alu 0xfffe
	s_cmp_lt_u32 s7, s11
	s_cselect_b32 s12, 14, 20
	s_cmp_lt_u32 ttmp9, s10
	s_wait_alu 0xfffe
	s_add_nc_u64 s[14:15], s[8:9], s[12:13]
	s_cselect_b32 s12, 12, 18
	s_load_u16 s7, s[14:15], 0x0
	s_add_nc_u64 s[8:9], s[8:9], s[12:13]
	s_load_u16 s8, s[8:9], 0x0
	s_wait_kmcnt 0x0
	v_mad_u32_u24 v11, v51, s7, v50
	s_delay_alu instid0(VALU_DEP_1) | instskip(SKIP_1) | instid1(VALU_DEP_1)
	v_mul_lo_u32 v11, v11, s8
	s_mov_b32 s8, exec_lo
	v_add_lshl_u32 v69, v11, v8, 3
	s_delay_alu instid0(VALU_DEP_1)
	v_cmpx_gt_u32_e32 0x800, v69
	s_cbranch_execz .LBB719_184
; %bb.127:
	s_wait_loadcnt_dscnt 0x0
	v_dual_mov_b32 v12, v10 :: v_dual_mov_b32 v11, v9
	v_dual_mov_b32 v51, v22 :: v_dual_mov_b32 v50, v21
	s_mov_b32 s9, exec_lo
	v_cmpx_gt_i64_e64 v[9:10], v[15:16]
; %bb.128:
	v_dual_mov_b32 v11, v15 :: v_dual_mov_b32 v12, v16
	v_dual_mov_b32 v16, v10 :: v_dual_mov_b32 v15, v9
	v_dual_mov_b32 v51, v1 :: v_dual_mov_b32 v50, v0
	v_dual_mov_b32 v0, v21 :: v_dual_mov_b32 v1, v22
; %bb.129:
	s_wait_alu 0xfffe
	s_or_b32 exec_lo, exec_lo, s9
	v_dual_mov_b32 v65, v37 :: v_dual_mov_b32 v64, v36
	v_dual_mov_b32 v53, v26 :: v_dual_mov_b32 v52, v25
	s_mov_b32 s9, exec_lo
	v_cmpx_gt_i64_e64 v[36:37], v[29:30]
; %bb.130:
	v_dual_mov_b32 v65, v30 :: v_dual_mov_b32 v64, v29
	v_dual_mov_b32 v29, v36 :: v_dual_mov_b32 v30, v37
	v_dual_mov_b32 v53, v24 :: v_dual_mov_b32 v52, v23
	v_dual_mov_b32 v23, v25 :: v_dual_mov_b32 v24, v26
; %bb.131:
	s_wait_alu 0xfffe
	s_or_b32 exec_lo, exec_lo, s9
	;; [unrolled: 12-line block ×4, first 2 shown]
	v_cmp_gt_i64_e64 s7, v[29:30], v[11:12]
	v_dual_mov_b32 v25, v29 :: v_dual_mov_b32 v26, v30
	v_dual_mov_b32 v32, v24 :: v_dual_mov_b32 v31, v23
	s_and_saveexec_b32 s9, s7
	s_wait_alu 0xfffe
	s_xor_b32 s7, exec_lo, s9
; %bb.136:
	v_dual_mov_b32 v26, v12 :: v_dual_mov_b32 v25, v11
	v_dual_mov_b32 v11, v29 :: v_dual_mov_b32 v12, v30
	v_dual_mov_b32 v31, v50 :: v_dual_mov_b32 v32, v51
	v_dual_mov_b32 v51, v24 :: v_dual_mov_b32 v50, v23
; %bb.137:
	s_wait_alu 0xfffe
	s_or_b32 exec_lo, exec_lo, s7
	v_dual_mov_b32 v48, v64 :: v_dual_mov_b32 v49, v65
	v_dual_mov_b32 v30, v28 :: v_dual_mov_b32 v29, v27
	s_mov_b32 s9, exec_lo
	v_cmpx_gt_i64_e64 v[54:55], v[64:65]
; %bb.138:
	v_dual_mov_b32 v48, v54 :: v_dual_mov_b32 v49, v55
	v_dual_mov_b32 v29, v52 :: v_dual_mov_b32 v30, v53
	v_dual_mov_b32 v53, v28 :: v_dual_mov_b32 v52, v27
	v_dual_mov_b32 v54, v64 :: v_dual_mov_b32 v55, v65
; %bb.139:
	s_wait_alu 0xfffe
	s_or_b32 exec_lo, exec_lo, s9
	v_dual_mov_b32 v24, v5 :: v_dual_mov_b32 v23, v4
	v_dual_mov_b32 v28, v20 :: v_dual_mov_b32 v27, v19
	s_mov_b32 s9, exec_lo
	v_cmpx_gt_i64_e64 v[34:35], v[19:20]
	;; [unrolled: 12-line block ×23, first 2 shown]
; %bb.182:
	v_dual_mov_b32 v49, v20 :: v_dual_mov_b32 v48, v19
	v_dual_mov_b32 v19, v54 :: v_dual_mov_b32 v20, v55
	;; [unrolled: 1-line block ×4, first 2 shown]
; %bb.183:
	s_wait_alu 0xfffe
	s_or_b32 exec_lo, exec_lo, s9
.LBB719_184:
	s_wait_alu 0xfffe
	s_or_b32 exec_lo, exec_lo, s8
	v_and_b32_e32 v8, 0xffffff00, v69
	v_or_b32_e32 v11, 8, v67
	s_mov_b32 s8, exec_lo
	s_delay_alu instid0(VALU_DEP_2) | instskip(SKIP_2) | instid1(VALU_DEP_3)
	v_sub_nc_u32_e64 v50, 0x800, v8 clamp
	v_lshlrev_b32_e32 v12, 3, v8
	v_and_b32_e32 v8, 0xf0, v67
	v_min_u32_e32 v55, v50, v11
	v_and_b32_e32 v11, 8, v67
	s_delay_alu instid0(VALU_DEP_4) | instskip(NEXT) | instid1(VALU_DEP_4)
	v_lshl_or_b32 v31, v67, 3, v12
	v_lshl_or_b32 v65, v8, 3, v12
	s_wait_loadcnt_dscnt 0x0
	ds_store_2addr_b64 v31, v[15:16], v[9:10] offset1:1
	ds_store_2addr_b64 v31, v[29:30], v[36:37] offset0:2 offset1:3
	v_add_nc_u32_e32 v51, 8, v55
	v_min_u32_e32 v69, v50, v11
	v_sub_nc_u32_e32 v54, v55, v8
	v_add_nc_u32_e32 v52, 0x4010, v31
	v_add_nc_u32_e32 v53, 0x4020, v31
	v_min_u32_e32 v64, v50, v51
	v_add_nc_u32_e32 v51, 0x4000, v31
	v_min_u32_e32 v70, v69, v54
	v_add_nc_u32_e32 v54, 0x4030, v31
	ds_store_2addr_b64 v51, v[0:1], v[21:22] offset1:1
	ds_store_2addr_b64 v52, v[23:24], v[25:26] offset1:1
	v_sub_nc_u32_e32 v11, v64, v55
	ds_store_2addr_b64 v31, v[34:35], v[19:20] offset0:4 offset1:5
	ds_store_2addr_b64 v31, v[48:49], v[17:18] offset0:6 offset1:7
	ds_store_2addr_b64 v53, v[27:28], v[38:39] offset1:1
	ds_store_2addr_b64 v54, v[4:5], v[32:33] offset1:1
	; wave barrier
	v_sub_nc_u32_e64 v11, v69, v11 clamp
	s_delay_alu instid0(VALU_DEP_1)
	v_cmpx_lt_u32_e64 v11, v70
	s_cbranch_execz .LBB719_188
; %bb.185:
	v_lshlrev_b32_e32 v71, 3, v55
	v_lshlrev_b32_e32 v80, 3, v69
	s_mov_b32 s9, 0
	s_delay_alu instid0(VALU_DEP_1)
	v_add3_u32 v71, v12, v71, v80
.LBB719_186:                            ; =>This Inner Loop Header: Depth=1
	v_add_nc_u32_e32 v80, v70, v11
	s_delay_alu instid0(VALU_DEP_1) | instskip(NEXT) | instid1(VALU_DEP_1)
	v_lshrrev_b32_e32 v84, 1, v80
	v_not_b32_e32 v80, v84
	v_lshl_add_u32 v81, v84, 3, v65
	s_delay_alu instid0(VALU_DEP_2)
	v_lshl_add_u32 v82, v80, 3, v71
	ds_load_b64 v[80:81], v81
	ds_load_b64 v[82:83], v82
	s_wait_dscnt 0x0
	v_cmp_gt_i64_e64 s7, v[82:83], v[80:81]
	v_add_nc_u32_e32 v80, 1, v84
	s_wait_alu 0xf1ff
	s_delay_alu instid0(VALU_DEP_2) | instskip(NEXT) | instid1(VALU_DEP_2)
	v_cndmask_b32_e64 v70, v70, v84, s7
	v_cndmask_b32_e64 v11, v80, v11, s7
	s_delay_alu instid0(VALU_DEP_1)
	v_cmp_ge_u32_e64 s7, v11, v70
	s_wait_alu 0xfffe
	s_or_b32 s9, s7, s9
	s_wait_alu 0xfffe
	s_and_not1_b32 exec_lo, exec_lo, s9
	s_cbranch_execnz .LBB719_186
; %bb.187:
	s_or_b32 exec_lo, exec_lo, s9
.LBB719_188:
	s_wait_alu 0xfffe
	s_or_b32 exec_lo, exec_lo, s8
	v_add_nc_u32_e32 v70, v55, v69
	v_add_nc_u32_e32 v69, v11, v8
	s_delay_alu instid0(VALU_DEP_2) | instskip(NEXT) | instid1(VALU_DEP_2)
	v_sub_nc_u32_e32 v70, v70, v11
	v_cmp_le_u32_e64 s7, v69, v55
	s_delay_alu instid0(VALU_DEP_2)
	v_cmp_le_u32_e64 s8, v70, v64
	s_or_b32 s7, s7, s8
	s_wait_alu 0xfffe
	s_and_saveexec_b32 s18, s7
	s_cbranch_execz .LBB719_194
; %bb.189:
	v_cmp_lt_u32_e64 s7, v69, v55
                                        ; implicit-def: $vgpr8_vgpr9
	s_and_saveexec_b32 s8, s7
; %bb.190:
	v_lshl_add_u32 v0, v11, 3, v65
	ds_load_b64 v[8:9], v0
; %bb.191:
	s_wait_alu 0xfffe
	s_or_b32 exec_lo, exec_lo, s8
	v_cmp_ge_u32_e64 s8, v70, v64
	s_mov_b32 s10, exec_lo
                                        ; implicit-def: $vgpr10_vgpr11
	v_cmpx_lt_u32_e64 v70, v64
; %bb.192:
	v_lshl_add_u32 v0, v70, 3, v12
	ds_load_b64 v[10:11], v0
; %bb.193:
	s_wait_alu 0xfffe
	s_or_b32 exec_lo, exec_lo, s10
	s_wait_dscnt 0x0
	v_cmp_le_i64_e64 s9, v[10:11], v[8:9]
	s_and_b32 s7, s7, s9
	s_wait_alu 0xfffe
	s_or_b32 s7, s8, s7
	s_wait_alu 0xfffe
	v_cndmask_b32_e64 v4, v70, v69, s7
	v_cndmask_b32_e64 v0, v64, v55, s7
	s_delay_alu instid0(VALU_DEP_2) | instskip(NEXT) | instid1(VALU_DEP_2)
	v_add_nc_u32_e32 v5, 1, v4
	v_add_nc_u32_e32 v0, -1, v0
	v_lshl_add_u32 v4, v4, 3, v12
	s_delay_alu instid0(VALU_DEP_3) | instskip(NEXT) | instid1(VALU_DEP_3)
	v_cndmask_b32_e64 v15, v69, v5, s7
	v_min_u32_e32 v0, v5, v0
	v_cndmask_b32_e64 v5, v5, v70, s7
	s_delay_alu instid0(VALU_DEP_3) | instskip(NEXT) | instid1(VALU_DEP_3)
	v_cmp_lt_u32_e64 s9, v15, v55
	v_lshl_add_u32 v0, v0, 3, v12
	s_delay_alu instid0(VALU_DEP_3)
	v_cmp_ge_u32_e64 s10, v5, v64
	ds_load_b64 v[0:1], v0
	s_wait_dscnt 0x0
	v_cndmask_b32_e64 v18, v1, v11, s7
	v_cndmask_b32_e64 v17, v0, v10, s7
	;; [unrolled: 1-line block ×4, first 2 shown]
	s_delay_alu instid0(VALU_DEP_1)
	v_cmp_le_i64_e64 s8, v[17:18], v[19:20]
	s_and_b32 s8, s9, s8
	s_wait_alu 0xfffe
	s_or_b32 s8, s10, s8
	s_wait_alu 0xfffe
	v_cndmask_b32_e64 v16, v5, v15, s8
	v_cndmask_b32_e64 v0, v64, v55, s8
	s_delay_alu instid0(VALU_DEP_2) | instskip(NEXT) | instid1(VALU_DEP_2)
	v_add_nc_u32_e32 v21, 1, v16
	v_add_nc_u32_e32 v0, -1, v0
	v_lshl_add_u32 v16, v16, 3, v12
	s_delay_alu instid0(VALU_DEP_3) | instskip(NEXT) | instid1(VALU_DEP_3)
	v_cndmask_b32_e64 v15, v15, v21, s8
	v_min_u32_e32 v0, v21, v0
	v_cndmask_b32_e64 v5, v21, v5, s8
	s_delay_alu instid0(VALU_DEP_3) | instskip(NEXT) | instid1(VALU_DEP_3)
	v_cmp_lt_u32_e64 s10, v15, v55
	v_lshl_add_u32 v0, v0, 3, v12
	s_delay_alu instid0(VALU_DEP_3)
	v_cmp_ge_u32_e64 s11, v5, v64
	ds_load_b64 v[0:1], v0
	s_wait_dscnt 0x0
	v_cndmask_b32_e64 v30, v1, v18, s8
	v_cndmask_b32_e64 v29, v0, v17, s8
	;; [unrolled: 1-line block ×4, first 2 shown]
	s_delay_alu instid0(VALU_DEP_1)
	v_cmp_le_i64_e64 s9, v[29:30], v[34:35]
	s_and_b32 s9, s10, s9
	s_wait_alu 0xfffe
	s_or_b32 s9, s11, s9
	s_wait_alu 0xfffe
	v_cndmask_b32_e64 v21, v5, v15, s9
	v_cndmask_b32_e64 v0, v64, v55, s9
	s_delay_alu instid0(VALU_DEP_2) | instskip(NEXT) | instid1(VALU_DEP_2)
	v_add_nc_u32_e32 v22, 1, v21
	v_add_nc_u32_e32 v0, -1, v0
	v_lshl_add_u32 v23, v21, 3, v12
	s_delay_alu instid0(VALU_DEP_3) | instskip(NEXT) | instid1(VALU_DEP_3)
	v_cndmask_b32_e64 v15, v15, v22, s9
	v_min_u32_e32 v0, v22, v0
	v_cndmask_b32_e64 v5, v22, v5, s9
	s_delay_alu instid0(VALU_DEP_3) | instskip(NEXT) | instid1(VALU_DEP_3)
	v_cmp_lt_u32_e64 s11, v15, v55
	v_lshl_add_u32 v0, v0, 3, v12
	s_delay_alu instid0(VALU_DEP_3)
	v_cmp_ge_u32_e64 s12, v5, v64
	ds_load_b64 v[0:1], v0
	s_wait_dscnt 0x0
	v_cndmask_b32_e64 v37, v1, v30, s9
	v_cndmask_b32_e64 v36, v0, v29, s9
	;; [unrolled: 1-line block ×6, first 2 shown]
	s_delay_alu instid0(VALU_DEP_3)
	v_cmp_le_i64_e64 s10, v[36:37], v[48:49]
	s_and_b32 s10, s11, s10
	s_wait_alu 0xfffe
	s_or_b32 s10, s12, s10
	s_wait_alu 0xfffe
	v_cndmask_b32_e64 v25, v5, v15, s10
	v_cndmask_b32_e64 v0, v64, v55, s10
	s_delay_alu instid0(VALU_DEP_2) | instskip(NEXT) | instid1(VALU_DEP_2)
	v_add_nc_u32_e32 v22, 1, v25
	v_add_nc_u32_e32 v0, -1, v0
	s_delay_alu instid0(VALU_DEP_2) | instskip(NEXT) | instid1(VALU_DEP_2)
	v_cndmask_b32_e64 v15, v15, v22, s10
	v_min_u32_e32 v0, v22, v0
	v_cndmask_b32_e64 v5, v22, v5, s10
	s_delay_alu instid0(VALU_DEP_3) | instskip(NEXT) | instid1(VALU_DEP_3)
	v_cmp_lt_u32_e64 s12, v15, v55
	v_lshl_add_u32 v0, v0, 3, v12
	s_delay_alu instid0(VALU_DEP_3)
	v_cmp_ge_u32_e64 s13, v5, v64
	ds_load_b64 v[0:1], v0
	s_wait_dscnt 0x0
	v_cndmask_b32_e64 v70, v1, v37, s10
	v_cndmask_b32_e64 v69, v0, v36, s10
	;; [unrolled: 1-line block ×6, first 2 shown]
	s_delay_alu instid0(VALU_DEP_3)
	v_cmp_le_i64_e64 s11, v[69:70], v[80:81]
	s_and_b32 s11, s12, s11
	s_wait_alu 0xfffe
	s_or_b32 s11, s13, s11
	s_wait_alu 0xfffe
	v_cndmask_b32_e64 v26, v5, v15, s11
	v_cndmask_b32_e64 v0, v64, v55, s11
	;; [unrolled: 1-line block ×4, first 2 shown]
	s_delay_alu instid0(VALU_DEP_4) | instskip(NEXT) | instid1(VALU_DEP_4)
	v_add_nc_u32_e32 v22, 1, v26
	v_add_nc_u32_e32 v0, -1, v0
	s_delay_alu instid0(VALU_DEP_2) | instskip(NEXT) | instid1(VALU_DEP_2)
	v_cndmask_b32_e64 v15, v15, v22, s11
	v_min_u32_e32 v0, v22, v0
	v_cndmask_b32_e64 v5, v22, v5, s11
	s_delay_alu instid0(VALU_DEP_3) | instskip(NEXT) | instid1(VALU_DEP_3)
	v_cmp_lt_u32_e64 s13, v15, v55
	v_lshl_add_u32 v0, v0, 3, v12
	s_delay_alu instid0(VALU_DEP_3)
	v_cmp_ge_u32_e64 s14, v5, v64
	ds_load_b64 v[0:1], v0
	s_wait_dscnt 0x0
	v_cndmask_b32_e64 v83, v1, v70, s11
	v_cndmask_b32_e64 v82, v0, v69, s11
	;; [unrolled: 1-line block ×4, first 2 shown]
	s_delay_alu instid0(VALU_DEP_1)
	v_cmp_le_i64_e64 s12, v[82:83], v[84:85]
	s_and_b32 s12, s13, s12
	s_wait_alu 0xfffe
	s_or_b32 s12, s14, s12
	s_wait_alu 0xfffe
	v_cndmask_b32_e64 v27, v5, v15, s12
	v_cndmask_b32_e64 v0, v64, v55, s12
	s_delay_alu instid0(VALU_DEP_2) | instskip(NEXT) | instid1(VALU_DEP_2)
	v_add_nc_u32_e32 v22, 1, v27
	v_add_nc_u32_e32 v0, -1, v0
	s_delay_alu instid0(VALU_DEP_2) | instskip(NEXT) | instid1(VALU_DEP_2)
	v_cndmask_b32_e64 v15, v15, v22, s12
	v_min_u32_e32 v0, v22, v0
	v_cndmask_b32_e64 v5, v22, v5, s12
	s_delay_alu instid0(VALU_DEP_3) | instskip(NEXT) | instid1(VALU_DEP_3)
	v_cmp_lt_u32_e64 s14, v15, v55
	v_lshl_add_u32 v0, v0, 3, v12
	s_delay_alu instid0(VALU_DEP_3)
	v_cmp_ge_u32_e64 s15, v5, v64
	ds_load_b64 v[0:1], v0
	s_wait_dscnt 0x0
	v_cndmask_b32_e64 v87, v1, v83, s12
	v_cndmask_b32_e64 v86, v0, v82, s12
	;; [unrolled: 1-line block ×4, first 2 shown]
	s_delay_alu instid0(VALU_DEP_1)
	v_cmp_le_i64_e64 s13, v[86:87], v[96:97]
	s_and_b32 s13, s14, s13
	s_wait_alu 0xfffe
	s_or_b32 s13, s15, s13
	s_wait_alu 0xfffe
	v_cndmask_b32_e64 v28, v5, v15, s13
	v_cndmask_b32_e64 v0, v64, v55, s13
	;; [unrolled: 1-line block ×4, first 2 shown]
	s_delay_alu instid0(VALU_DEP_4) | instskip(NEXT) | instid1(VALU_DEP_4)
	v_add_nc_u32_e32 v22, 1, v28
	v_add_nc_u32_e32 v0, -1, v0
	v_lshl_add_u32 v32, v28, 3, v12
	s_delay_alu instid0(VALU_DEP_3) | instskip(NEXT) | instid1(VALU_DEP_3)
	v_cndmask_b32_e64 v15, v15, v22, s13
	v_min_u32_e32 v0, v22, v0
	v_cndmask_b32_e64 v5, v22, v5, s13
	s_delay_alu instid0(VALU_DEP_3) | instskip(NEXT) | instid1(VALU_DEP_3)
	v_cmp_lt_u32_e64 s15, v15, v55
	v_lshl_add_u32 v0, v0, 3, v12
	s_delay_alu instid0(VALU_DEP_3)
	v_cmp_ge_u32_e64 s16, v5, v64
	ds_load_b64 v[0:1], v0
	s_wait_dscnt 0x0
	v_cndmask_b32_e64 v99, v1, v87, s13
	v_cndmask_b32_e64 v98, v0, v86, s13
	;; [unrolled: 1-line block ×4, first 2 shown]
	ds_load_b64 v[0:1], v4 offset:16384
	v_lshl_add_u32 v4, v25, 3, v12
	ds_load_b64 v[21:22], v16 offset:16384
	ds_load_b64 v[23:24], v23 offset:16384
	v_lshl_add_u32 v16, v27, 3, v12
	v_cmp_le_i64_e64 s14, v[98:99], v[100:101]
	s_and_b32 s14, s15, s14
	s_wait_alu 0xfffe
	s_or_b32 s14, s16, s14
	s_wait_alu 0xfffe
	v_cndmask_b32_e64 v5, v5, v15, s14
	v_lshl_add_u32 v15, v26, 3, v12
	ds_load_b64 v[25:26], v4 offset:16384
	v_lshl_add_u32 v33, v5, 3, v12
	ds_load_b64 v[27:28], v15 offset:16384
	ds_load_b64 v[38:39], v16 offset:16384
	;; [unrolled: 1-line block ×3, first 2 shown]
	v_cndmask_b32_e64 v16, v11, v9, s7
	v_cndmask_b32_e64 v15, v10, v8, s7
	;; [unrolled: 1-line block ×3, first 2 shown]
	ds_load_b64 v[32:33], v33 offset:16384
	v_cndmask_b32_e64 v9, v17, v19, s8
	v_cndmask_b32_e64 v20, v83, v85, s12
	;; [unrolled: 1-line block ×5, first 2 shown]
.LBB719_194:
	s_wait_alu 0xfffe
	s_or_b32 exec_lo, exec_lo, s18
	v_and_b32_e32 v8, 0xe0, v67
	v_and_b32_e32 v65, 24, v67
	s_mov_b32 s8, exec_lo
	; wave barrier
	s_delay_alu instid0(VALU_DEP_2) | instskip(NEXT) | instid1(VALU_DEP_2)
	v_or_b32_e32 v11, 16, v8
	v_min_u32_e32 v69, v50, v65
	ds_store_2addr_b64 v31, v[15:16], v[9:10] offset1:1
	ds_store_2addr_b64 v31, v[29:30], v[36:37] offset0:2 offset1:3
	s_wait_dscnt 0x8
	ds_store_2addr_b64 v51, v[0:1], v[21:22] offset1:1
	s_wait_dscnt 0x7
	ds_store_2addr_b64 v52, v[23:24], v[25:26] offset1:1
	ds_store_2addr_b64 v31, v[34:35], v[19:20] offset0:4 offset1:5
	ds_store_2addr_b64 v31, v[48:49], v[17:18] offset0:6 offset1:7
	s_wait_dscnt 0x8
	ds_store_2addr_b64 v53, v[27:28], v[38:39] offset1:1
	s_wait_dscnt 0x7
	ds_store_2addr_b64 v54, v[4:5], v[32:33] offset1:1
	v_min_u32_e32 v55, v50, v11
	; wave barrier
	s_delay_alu instid0(VALU_DEP_1) | instskip(NEXT) | instid1(VALU_DEP_1)
	v_add_nc_u32_e32 v11, 16, v55
	v_min_u32_e32 v64, v50, v11
	v_sub_nc_u32_e32 v11, v55, v8
	s_delay_alu instid0(VALU_DEP_2) | instskip(NEXT) | instid1(VALU_DEP_2)
	v_sub_nc_u32_e32 v65, v64, v55
	v_min_u32_e32 v70, v69, v11
	s_delay_alu instid0(VALU_DEP_2) | instskip(SKIP_1) | instid1(VALU_DEP_2)
	v_sub_nc_u32_e64 v11, v69, v65 clamp
	v_lshl_add_u32 v65, v8, 3, v12
	v_cmpx_lt_u32_e64 v11, v70
	s_cbranch_execz .LBB719_198
; %bb.195:
	v_lshlrev_b32_e32 v71, 3, v55
	v_lshlrev_b32_e32 v80, 3, v69
	s_mov_b32 s9, 0
	s_delay_alu instid0(VALU_DEP_1)
	v_add3_u32 v71, v12, v71, v80
.LBB719_196:                            ; =>This Inner Loop Header: Depth=1
	v_add_nc_u32_e32 v80, v70, v11
	s_delay_alu instid0(VALU_DEP_1) | instskip(NEXT) | instid1(VALU_DEP_1)
	v_lshrrev_b32_e32 v84, 1, v80
	v_not_b32_e32 v80, v84
	v_lshl_add_u32 v81, v84, 3, v65
	s_delay_alu instid0(VALU_DEP_2)
	v_lshl_add_u32 v82, v80, 3, v71
	ds_load_b64 v[80:81], v81
	ds_load_b64 v[82:83], v82
	s_wait_dscnt 0x0
	v_cmp_gt_i64_e64 s7, v[82:83], v[80:81]
	v_add_nc_u32_e32 v80, 1, v84
	s_wait_alu 0xf1ff
	s_delay_alu instid0(VALU_DEP_2) | instskip(NEXT) | instid1(VALU_DEP_2)
	v_cndmask_b32_e64 v70, v70, v84, s7
	v_cndmask_b32_e64 v11, v80, v11, s7
	s_delay_alu instid0(VALU_DEP_1)
	v_cmp_ge_u32_e64 s7, v11, v70
	s_wait_alu 0xfffe
	s_or_b32 s9, s7, s9
	s_wait_alu 0xfffe
	s_and_not1_b32 exec_lo, exec_lo, s9
	s_cbranch_execnz .LBB719_196
; %bb.197:
	s_or_b32 exec_lo, exec_lo, s9
.LBB719_198:
	s_wait_alu 0xfffe
	s_or_b32 exec_lo, exec_lo, s8
	v_add_nc_u32_e32 v70, v55, v69
	v_add_nc_u32_e32 v69, v11, v8
	s_delay_alu instid0(VALU_DEP_2) | instskip(NEXT) | instid1(VALU_DEP_2)
	v_sub_nc_u32_e32 v70, v70, v11
	v_cmp_le_u32_e64 s7, v69, v55
	s_delay_alu instid0(VALU_DEP_2)
	v_cmp_le_u32_e64 s8, v70, v64
	s_or_b32 s7, s7, s8
	s_wait_alu 0xfffe
	s_and_saveexec_b32 s18, s7
	s_cbranch_execz .LBB719_204
; %bb.199:
	v_cmp_lt_u32_e64 s7, v69, v55
                                        ; implicit-def: $vgpr8_vgpr9
	s_and_saveexec_b32 s8, s7
; %bb.200:
	v_lshl_add_u32 v0, v11, 3, v65
	ds_load_b64 v[8:9], v0
; %bb.201:
	s_wait_alu 0xfffe
	s_or_b32 exec_lo, exec_lo, s8
	v_cmp_ge_u32_e64 s8, v70, v64
	s_mov_b32 s10, exec_lo
                                        ; implicit-def: $vgpr10_vgpr11
	v_cmpx_lt_u32_e64 v70, v64
; %bb.202:
	v_lshl_add_u32 v0, v70, 3, v12
	ds_load_b64 v[10:11], v0
; %bb.203:
	s_wait_alu 0xfffe
	s_or_b32 exec_lo, exec_lo, s10
	s_wait_dscnt 0x0
	v_cmp_le_i64_e64 s9, v[10:11], v[8:9]
	s_and_b32 s7, s7, s9
	s_wait_alu 0xfffe
	s_or_b32 s7, s8, s7
	s_wait_alu 0xfffe
	v_cndmask_b32_e64 v4, v70, v69, s7
	v_cndmask_b32_e64 v0, v64, v55, s7
	s_delay_alu instid0(VALU_DEP_2) | instskip(NEXT) | instid1(VALU_DEP_2)
	v_add_nc_u32_e32 v5, 1, v4
	v_add_nc_u32_e32 v0, -1, v0
	v_lshl_add_u32 v4, v4, 3, v12
	s_delay_alu instid0(VALU_DEP_3) | instskip(NEXT) | instid1(VALU_DEP_3)
	v_cndmask_b32_e64 v15, v69, v5, s7
	v_min_u32_e32 v0, v5, v0
	v_cndmask_b32_e64 v5, v5, v70, s7
	s_delay_alu instid0(VALU_DEP_3) | instskip(NEXT) | instid1(VALU_DEP_3)
	v_cmp_lt_u32_e64 s9, v15, v55
	v_lshl_add_u32 v0, v0, 3, v12
	s_delay_alu instid0(VALU_DEP_3)
	v_cmp_ge_u32_e64 s10, v5, v64
	ds_load_b64 v[0:1], v0
	s_wait_dscnt 0x0
	v_cndmask_b32_e64 v18, v1, v11, s7
	v_cndmask_b32_e64 v17, v0, v10, s7
	;; [unrolled: 1-line block ×4, first 2 shown]
	s_delay_alu instid0(VALU_DEP_1)
	v_cmp_le_i64_e64 s8, v[17:18], v[19:20]
	s_and_b32 s8, s9, s8
	s_wait_alu 0xfffe
	s_or_b32 s8, s10, s8
	s_wait_alu 0xfffe
	v_cndmask_b32_e64 v16, v5, v15, s8
	v_cndmask_b32_e64 v0, v64, v55, s8
	s_delay_alu instid0(VALU_DEP_2) | instskip(NEXT) | instid1(VALU_DEP_2)
	v_add_nc_u32_e32 v21, 1, v16
	v_add_nc_u32_e32 v0, -1, v0
	v_lshl_add_u32 v16, v16, 3, v12
	s_delay_alu instid0(VALU_DEP_3) | instskip(NEXT) | instid1(VALU_DEP_3)
	v_cndmask_b32_e64 v15, v15, v21, s8
	v_min_u32_e32 v0, v21, v0
	v_cndmask_b32_e64 v5, v21, v5, s8
	s_delay_alu instid0(VALU_DEP_3) | instskip(NEXT) | instid1(VALU_DEP_3)
	v_cmp_lt_u32_e64 s10, v15, v55
	v_lshl_add_u32 v0, v0, 3, v12
	s_delay_alu instid0(VALU_DEP_3)
	v_cmp_ge_u32_e64 s11, v5, v64
	ds_load_b64 v[0:1], v0
	s_wait_dscnt 0x0
	v_cndmask_b32_e64 v30, v1, v18, s8
	v_cndmask_b32_e64 v29, v0, v17, s8
	;; [unrolled: 1-line block ×4, first 2 shown]
	s_delay_alu instid0(VALU_DEP_1)
	v_cmp_le_i64_e64 s9, v[29:30], v[34:35]
	s_and_b32 s9, s10, s9
	s_wait_alu 0xfffe
	s_or_b32 s9, s11, s9
	s_wait_alu 0xfffe
	v_cndmask_b32_e64 v21, v5, v15, s9
	v_cndmask_b32_e64 v0, v64, v55, s9
	s_delay_alu instid0(VALU_DEP_2) | instskip(NEXT) | instid1(VALU_DEP_2)
	v_add_nc_u32_e32 v22, 1, v21
	v_add_nc_u32_e32 v0, -1, v0
	v_lshl_add_u32 v23, v21, 3, v12
	s_delay_alu instid0(VALU_DEP_3) | instskip(NEXT) | instid1(VALU_DEP_3)
	v_cndmask_b32_e64 v15, v15, v22, s9
	v_min_u32_e32 v0, v22, v0
	v_cndmask_b32_e64 v5, v22, v5, s9
	s_delay_alu instid0(VALU_DEP_3) | instskip(NEXT) | instid1(VALU_DEP_3)
	v_cmp_lt_u32_e64 s11, v15, v55
	v_lshl_add_u32 v0, v0, 3, v12
	s_delay_alu instid0(VALU_DEP_3)
	v_cmp_ge_u32_e64 s12, v5, v64
	ds_load_b64 v[0:1], v0
	s_wait_dscnt 0x0
	v_cndmask_b32_e64 v37, v1, v30, s9
	v_cndmask_b32_e64 v36, v0, v29, s9
	;; [unrolled: 1-line block ×6, first 2 shown]
	s_delay_alu instid0(VALU_DEP_3)
	v_cmp_le_i64_e64 s10, v[36:37], v[48:49]
	s_and_b32 s10, s11, s10
	s_wait_alu 0xfffe
	s_or_b32 s10, s12, s10
	s_wait_alu 0xfffe
	v_cndmask_b32_e64 v25, v5, v15, s10
	v_cndmask_b32_e64 v0, v64, v55, s10
	s_delay_alu instid0(VALU_DEP_2) | instskip(NEXT) | instid1(VALU_DEP_2)
	v_add_nc_u32_e32 v22, 1, v25
	v_add_nc_u32_e32 v0, -1, v0
	s_delay_alu instid0(VALU_DEP_2) | instskip(NEXT) | instid1(VALU_DEP_2)
	v_cndmask_b32_e64 v15, v15, v22, s10
	v_min_u32_e32 v0, v22, v0
	v_cndmask_b32_e64 v5, v22, v5, s10
	s_delay_alu instid0(VALU_DEP_3) | instskip(NEXT) | instid1(VALU_DEP_3)
	v_cmp_lt_u32_e64 s12, v15, v55
	v_lshl_add_u32 v0, v0, 3, v12
	s_delay_alu instid0(VALU_DEP_3)
	v_cmp_ge_u32_e64 s13, v5, v64
	ds_load_b64 v[0:1], v0
	s_wait_dscnt 0x0
	v_cndmask_b32_e64 v70, v1, v37, s10
	v_cndmask_b32_e64 v69, v0, v36, s10
	;; [unrolled: 1-line block ×6, first 2 shown]
	s_delay_alu instid0(VALU_DEP_3)
	v_cmp_le_i64_e64 s11, v[69:70], v[80:81]
	s_and_b32 s11, s12, s11
	s_wait_alu 0xfffe
	s_or_b32 s11, s13, s11
	s_wait_alu 0xfffe
	v_cndmask_b32_e64 v26, v5, v15, s11
	v_cndmask_b32_e64 v0, v64, v55, s11
	;; [unrolled: 1-line block ×4, first 2 shown]
	s_delay_alu instid0(VALU_DEP_4) | instskip(NEXT) | instid1(VALU_DEP_4)
	v_add_nc_u32_e32 v22, 1, v26
	v_add_nc_u32_e32 v0, -1, v0
	s_delay_alu instid0(VALU_DEP_2) | instskip(NEXT) | instid1(VALU_DEP_2)
	v_cndmask_b32_e64 v15, v15, v22, s11
	v_min_u32_e32 v0, v22, v0
	v_cndmask_b32_e64 v5, v22, v5, s11
	s_delay_alu instid0(VALU_DEP_3) | instskip(NEXT) | instid1(VALU_DEP_3)
	v_cmp_lt_u32_e64 s13, v15, v55
	v_lshl_add_u32 v0, v0, 3, v12
	s_delay_alu instid0(VALU_DEP_3)
	v_cmp_ge_u32_e64 s14, v5, v64
	ds_load_b64 v[0:1], v0
	s_wait_dscnt 0x0
	v_cndmask_b32_e64 v83, v1, v70, s11
	v_cndmask_b32_e64 v82, v0, v69, s11
	;; [unrolled: 1-line block ×4, first 2 shown]
	s_delay_alu instid0(VALU_DEP_1)
	v_cmp_le_i64_e64 s12, v[82:83], v[84:85]
	s_and_b32 s12, s13, s12
	s_wait_alu 0xfffe
	s_or_b32 s12, s14, s12
	s_wait_alu 0xfffe
	v_cndmask_b32_e64 v27, v5, v15, s12
	v_cndmask_b32_e64 v0, v64, v55, s12
	s_delay_alu instid0(VALU_DEP_2) | instskip(NEXT) | instid1(VALU_DEP_2)
	v_add_nc_u32_e32 v22, 1, v27
	v_add_nc_u32_e32 v0, -1, v0
	s_delay_alu instid0(VALU_DEP_2) | instskip(NEXT) | instid1(VALU_DEP_2)
	v_cndmask_b32_e64 v15, v15, v22, s12
	v_min_u32_e32 v0, v22, v0
	v_cndmask_b32_e64 v5, v22, v5, s12
	s_delay_alu instid0(VALU_DEP_3) | instskip(NEXT) | instid1(VALU_DEP_3)
	v_cmp_lt_u32_e64 s14, v15, v55
	v_lshl_add_u32 v0, v0, 3, v12
	s_delay_alu instid0(VALU_DEP_3)
	v_cmp_ge_u32_e64 s15, v5, v64
	ds_load_b64 v[0:1], v0
	s_wait_dscnt 0x0
	v_cndmask_b32_e64 v87, v1, v83, s12
	v_cndmask_b32_e64 v86, v0, v82, s12
	;; [unrolled: 1-line block ×4, first 2 shown]
	s_delay_alu instid0(VALU_DEP_1)
	v_cmp_le_i64_e64 s13, v[86:87], v[96:97]
	s_and_b32 s13, s14, s13
	s_wait_alu 0xfffe
	s_or_b32 s13, s15, s13
	s_wait_alu 0xfffe
	v_cndmask_b32_e64 v28, v5, v15, s13
	v_cndmask_b32_e64 v0, v64, v55, s13
	;; [unrolled: 1-line block ×4, first 2 shown]
	s_delay_alu instid0(VALU_DEP_4) | instskip(NEXT) | instid1(VALU_DEP_4)
	v_add_nc_u32_e32 v22, 1, v28
	v_add_nc_u32_e32 v0, -1, v0
	v_lshl_add_u32 v32, v28, 3, v12
	s_delay_alu instid0(VALU_DEP_3) | instskip(NEXT) | instid1(VALU_DEP_3)
	v_cndmask_b32_e64 v15, v15, v22, s13
	v_min_u32_e32 v0, v22, v0
	v_cndmask_b32_e64 v5, v22, v5, s13
	s_delay_alu instid0(VALU_DEP_3) | instskip(NEXT) | instid1(VALU_DEP_3)
	v_cmp_lt_u32_e64 s15, v15, v55
	v_lshl_add_u32 v0, v0, 3, v12
	s_delay_alu instid0(VALU_DEP_3)
	v_cmp_ge_u32_e64 s16, v5, v64
	ds_load_b64 v[0:1], v0
	s_wait_dscnt 0x0
	v_cndmask_b32_e64 v99, v1, v87, s13
	v_cndmask_b32_e64 v98, v0, v86, s13
	;; [unrolled: 1-line block ×4, first 2 shown]
	ds_load_b64 v[0:1], v4 offset:16384
	v_lshl_add_u32 v4, v25, 3, v12
	ds_load_b64 v[21:22], v16 offset:16384
	ds_load_b64 v[23:24], v23 offset:16384
	v_lshl_add_u32 v16, v27, 3, v12
	v_cmp_le_i64_e64 s14, v[98:99], v[100:101]
	s_and_b32 s14, s15, s14
	s_wait_alu 0xfffe
	s_or_b32 s14, s16, s14
	s_wait_alu 0xfffe
	v_cndmask_b32_e64 v5, v5, v15, s14
	v_lshl_add_u32 v15, v26, 3, v12
	ds_load_b64 v[25:26], v4 offset:16384
	v_lshl_add_u32 v33, v5, 3, v12
	ds_load_b64 v[27:28], v15 offset:16384
	ds_load_b64 v[38:39], v16 offset:16384
	;; [unrolled: 1-line block ×3, first 2 shown]
	v_cndmask_b32_e64 v16, v11, v9, s7
	v_cndmask_b32_e64 v15, v10, v8, s7
	;; [unrolled: 1-line block ×3, first 2 shown]
	ds_load_b64 v[32:33], v33 offset:16384
	v_cndmask_b32_e64 v9, v17, v19, s8
	v_cndmask_b32_e64 v20, v83, v85, s12
	;; [unrolled: 1-line block ×5, first 2 shown]
.LBB719_204:
	s_wait_alu 0xfffe
	s_or_b32 exec_lo, exec_lo, s18
	v_and_b32_e32 v8, 0xc0, v67
	v_and_b32_e32 v65, 56, v67
	s_mov_b32 s8, exec_lo
	; wave barrier
	s_delay_alu instid0(VALU_DEP_2) | instskip(NEXT) | instid1(VALU_DEP_2)
	v_or_b32_e32 v11, 32, v8
	v_min_u32_e32 v69, v50, v65
	ds_store_2addr_b64 v31, v[15:16], v[9:10] offset1:1
	ds_store_2addr_b64 v31, v[29:30], v[36:37] offset0:2 offset1:3
	s_wait_dscnt 0x8
	ds_store_2addr_b64 v51, v[0:1], v[21:22] offset1:1
	s_wait_dscnt 0x7
	ds_store_2addr_b64 v52, v[23:24], v[25:26] offset1:1
	ds_store_2addr_b64 v31, v[34:35], v[19:20] offset0:4 offset1:5
	ds_store_2addr_b64 v31, v[48:49], v[17:18] offset0:6 offset1:7
	s_wait_dscnt 0x8
	ds_store_2addr_b64 v53, v[27:28], v[38:39] offset1:1
	s_wait_dscnt 0x7
	ds_store_2addr_b64 v54, v[4:5], v[32:33] offset1:1
	v_min_u32_e32 v55, v50, v11
	; wave barrier
	s_delay_alu instid0(VALU_DEP_1) | instskip(NEXT) | instid1(VALU_DEP_1)
	v_add_nc_u32_e32 v11, 32, v55
	v_min_u32_e32 v64, v50, v11
	v_sub_nc_u32_e32 v11, v55, v8
	s_delay_alu instid0(VALU_DEP_2) | instskip(NEXT) | instid1(VALU_DEP_2)
	v_sub_nc_u32_e32 v65, v64, v55
	v_min_u32_e32 v70, v69, v11
	s_delay_alu instid0(VALU_DEP_2) | instskip(SKIP_1) | instid1(VALU_DEP_2)
	v_sub_nc_u32_e64 v11, v69, v65 clamp
	v_lshl_add_u32 v65, v8, 3, v12
	v_cmpx_lt_u32_e64 v11, v70
	s_cbranch_execz .LBB719_208
; %bb.205:
	v_lshlrev_b32_e32 v71, 3, v55
	v_lshlrev_b32_e32 v80, 3, v69
	s_mov_b32 s9, 0
	s_delay_alu instid0(VALU_DEP_1)
	v_add3_u32 v71, v12, v71, v80
.LBB719_206:                            ; =>This Inner Loop Header: Depth=1
	v_add_nc_u32_e32 v80, v70, v11
	s_delay_alu instid0(VALU_DEP_1) | instskip(NEXT) | instid1(VALU_DEP_1)
	v_lshrrev_b32_e32 v84, 1, v80
	v_not_b32_e32 v80, v84
	v_lshl_add_u32 v81, v84, 3, v65
	s_delay_alu instid0(VALU_DEP_2)
	v_lshl_add_u32 v82, v80, 3, v71
	ds_load_b64 v[80:81], v81
	ds_load_b64 v[82:83], v82
	s_wait_dscnt 0x0
	v_cmp_gt_i64_e64 s7, v[82:83], v[80:81]
	v_add_nc_u32_e32 v80, 1, v84
	s_wait_alu 0xf1ff
	s_delay_alu instid0(VALU_DEP_2) | instskip(NEXT) | instid1(VALU_DEP_2)
	v_cndmask_b32_e64 v70, v70, v84, s7
	v_cndmask_b32_e64 v11, v80, v11, s7
	s_delay_alu instid0(VALU_DEP_1)
	v_cmp_ge_u32_e64 s7, v11, v70
	s_wait_alu 0xfffe
	s_or_b32 s9, s7, s9
	s_wait_alu 0xfffe
	s_and_not1_b32 exec_lo, exec_lo, s9
	s_cbranch_execnz .LBB719_206
; %bb.207:
	s_or_b32 exec_lo, exec_lo, s9
.LBB719_208:
	s_wait_alu 0xfffe
	s_or_b32 exec_lo, exec_lo, s8
	v_add_nc_u32_e32 v70, v55, v69
	v_add_nc_u32_e32 v69, v11, v8
	s_delay_alu instid0(VALU_DEP_2) | instskip(NEXT) | instid1(VALU_DEP_2)
	v_sub_nc_u32_e32 v70, v70, v11
	v_cmp_le_u32_e64 s7, v69, v55
	s_delay_alu instid0(VALU_DEP_2)
	v_cmp_le_u32_e64 s8, v70, v64
	s_or_b32 s7, s7, s8
	s_wait_alu 0xfffe
	s_and_saveexec_b32 s18, s7
	s_cbranch_execz .LBB719_214
; %bb.209:
	v_cmp_lt_u32_e64 s7, v69, v55
                                        ; implicit-def: $vgpr8_vgpr9
	s_and_saveexec_b32 s8, s7
; %bb.210:
	v_lshl_add_u32 v0, v11, 3, v65
	ds_load_b64 v[8:9], v0
; %bb.211:
	s_wait_alu 0xfffe
	s_or_b32 exec_lo, exec_lo, s8
	v_cmp_ge_u32_e64 s8, v70, v64
	s_mov_b32 s10, exec_lo
                                        ; implicit-def: $vgpr10_vgpr11
	v_cmpx_lt_u32_e64 v70, v64
; %bb.212:
	v_lshl_add_u32 v0, v70, 3, v12
	ds_load_b64 v[10:11], v0
; %bb.213:
	s_wait_alu 0xfffe
	s_or_b32 exec_lo, exec_lo, s10
	s_wait_dscnt 0x0
	v_cmp_le_i64_e64 s9, v[10:11], v[8:9]
	s_and_b32 s7, s7, s9
	s_wait_alu 0xfffe
	s_or_b32 s7, s8, s7
	s_wait_alu 0xfffe
	v_cndmask_b32_e64 v4, v70, v69, s7
	v_cndmask_b32_e64 v0, v64, v55, s7
	s_delay_alu instid0(VALU_DEP_2) | instskip(NEXT) | instid1(VALU_DEP_2)
	v_add_nc_u32_e32 v5, 1, v4
	v_add_nc_u32_e32 v0, -1, v0
	v_lshl_add_u32 v4, v4, 3, v12
	s_delay_alu instid0(VALU_DEP_3) | instskip(NEXT) | instid1(VALU_DEP_3)
	v_cndmask_b32_e64 v15, v69, v5, s7
	v_min_u32_e32 v0, v5, v0
	v_cndmask_b32_e64 v5, v5, v70, s7
	s_delay_alu instid0(VALU_DEP_3) | instskip(NEXT) | instid1(VALU_DEP_3)
	v_cmp_lt_u32_e64 s9, v15, v55
	v_lshl_add_u32 v0, v0, 3, v12
	s_delay_alu instid0(VALU_DEP_3)
	v_cmp_ge_u32_e64 s10, v5, v64
	ds_load_b64 v[0:1], v0
	s_wait_dscnt 0x0
	v_cndmask_b32_e64 v18, v1, v11, s7
	v_cndmask_b32_e64 v17, v0, v10, s7
	;; [unrolled: 1-line block ×4, first 2 shown]
	s_delay_alu instid0(VALU_DEP_1)
	v_cmp_le_i64_e64 s8, v[17:18], v[19:20]
	s_and_b32 s8, s9, s8
	s_wait_alu 0xfffe
	s_or_b32 s8, s10, s8
	s_wait_alu 0xfffe
	v_cndmask_b32_e64 v16, v5, v15, s8
	v_cndmask_b32_e64 v0, v64, v55, s8
	s_delay_alu instid0(VALU_DEP_2) | instskip(NEXT) | instid1(VALU_DEP_2)
	v_add_nc_u32_e32 v21, 1, v16
	v_add_nc_u32_e32 v0, -1, v0
	v_lshl_add_u32 v16, v16, 3, v12
	s_delay_alu instid0(VALU_DEP_3) | instskip(NEXT) | instid1(VALU_DEP_3)
	v_cndmask_b32_e64 v15, v15, v21, s8
	v_min_u32_e32 v0, v21, v0
	v_cndmask_b32_e64 v5, v21, v5, s8
	s_delay_alu instid0(VALU_DEP_3) | instskip(NEXT) | instid1(VALU_DEP_3)
	v_cmp_lt_u32_e64 s10, v15, v55
	v_lshl_add_u32 v0, v0, 3, v12
	s_delay_alu instid0(VALU_DEP_3)
	v_cmp_ge_u32_e64 s11, v5, v64
	ds_load_b64 v[0:1], v0
	s_wait_dscnt 0x0
	v_cndmask_b32_e64 v30, v1, v18, s8
	v_cndmask_b32_e64 v29, v0, v17, s8
	;; [unrolled: 1-line block ×4, first 2 shown]
	s_delay_alu instid0(VALU_DEP_1)
	v_cmp_le_i64_e64 s9, v[29:30], v[34:35]
	s_and_b32 s9, s10, s9
	s_wait_alu 0xfffe
	s_or_b32 s9, s11, s9
	s_wait_alu 0xfffe
	v_cndmask_b32_e64 v21, v5, v15, s9
	v_cndmask_b32_e64 v0, v64, v55, s9
	s_delay_alu instid0(VALU_DEP_2) | instskip(NEXT) | instid1(VALU_DEP_2)
	v_add_nc_u32_e32 v22, 1, v21
	v_add_nc_u32_e32 v0, -1, v0
	v_lshl_add_u32 v23, v21, 3, v12
	s_delay_alu instid0(VALU_DEP_3) | instskip(NEXT) | instid1(VALU_DEP_3)
	v_cndmask_b32_e64 v15, v15, v22, s9
	v_min_u32_e32 v0, v22, v0
	v_cndmask_b32_e64 v5, v22, v5, s9
	s_delay_alu instid0(VALU_DEP_3) | instskip(NEXT) | instid1(VALU_DEP_3)
	v_cmp_lt_u32_e64 s11, v15, v55
	v_lshl_add_u32 v0, v0, 3, v12
	s_delay_alu instid0(VALU_DEP_3)
	v_cmp_ge_u32_e64 s12, v5, v64
	ds_load_b64 v[0:1], v0
	s_wait_dscnt 0x0
	v_cndmask_b32_e64 v37, v1, v30, s9
	v_cndmask_b32_e64 v36, v0, v29, s9
	v_cndmask_b32_e64 v49, v35, v1, s9
	v_cndmask_b32_e64 v48, v34, v0, s9
	v_cndmask_b32_e64 v30, v30, v35, s9
	v_cndmask_b32_e64 v29, v29, v34, s9
	s_delay_alu instid0(VALU_DEP_3)
	v_cmp_le_i64_e64 s10, v[36:37], v[48:49]
	s_and_b32 s10, s11, s10
	s_wait_alu 0xfffe
	s_or_b32 s10, s12, s10
	s_wait_alu 0xfffe
	v_cndmask_b32_e64 v25, v5, v15, s10
	v_cndmask_b32_e64 v0, v64, v55, s10
	s_delay_alu instid0(VALU_DEP_2) | instskip(NEXT) | instid1(VALU_DEP_2)
	v_add_nc_u32_e32 v22, 1, v25
	v_add_nc_u32_e32 v0, -1, v0
	s_delay_alu instid0(VALU_DEP_2) | instskip(NEXT) | instid1(VALU_DEP_2)
	v_cndmask_b32_e64 v15, v15, v22, s10
	v_min_u32_e32 v0, v22, v0
	v_cndmask_b32_e64 v5, v22, v5, s10
	s_delay_alu instid0(VALU_DEP_3) | instskip(NEXT) | instid1(VALU_DEP_3)
	v_cmp_lt_u32_e64 s12, v15, v55
	v_lshl_add_u32 v0, v0, 3, v12
	s_delay_alu instid0(VALU_DEP_3)
	v_cmp_ge_u32_e64 s13, v5, v64
	ds_load_b64 v[0:1], v0
	s_wait_dscnt 0x0
	v_cndmask_b32_e64 v70, v1, v37, s10
	v_cndmask_b32_e64 v69, v0, v36, s10
	;; [unrolled: 1-line block ×6, first 2 shown]
	s_delay_alu instid0(VALU_DEP_3)
	v_cmp_le_i64_e64 s11, v[69:70], v[80:81]
	s_and_b32 s11, s12, s11
	s_wait_alu 0xfffe
	s_or_b32 s11, s13, s11
	s_wait_alu 0xfffe
	v_cndmask_b32_e64 v26, v5, v15, s11
	v_cndmask_b32_e64 v0, v64, v55, s11
	;; [unrolled: 1-line block ×4, first 2 shown]
	s_delay_alu instid0(VALU_DEP_4) | instskip(NEXT) | instid1(VALU_DEP_4)
	v_add_nc_u32_e32 v22, 1, v26
	v_add_nc_u32_e32 v0, -1, v0
	s_delay_alu instid0(VALU_DEP_2) | instskip(NEXT) | instid1(VALU_DEP_2)
	v_cndmask_b32_e64 v15, v15, v22, s11
	v_min_u32_e32 v0, v22, v0
	v_cndmask_b32_e64 v5, v22, v5, s11
	s_delay_alu instid0(VALU_DEP_3) | instskip(NEXT) | instid1(VALU_DEP_3)
	v_cmp_lt_u32_e64 s13, v15, v55
	v_lshl_add_u32 v0, v0, 3, v12
	s_delay_alu instid0(VALU_DEP_3)
	v_cmp_ge_u32_e64 s14, v5, v64
	ds_load_b64 v[0:1], v0
	s_wait_dscnt 0x0
	v_cndmask_b32_e64 v83, v1, v70, s11
	v_cndmask_b32_e64 v82, v0, v69, s11
	;; [unrolled: 1-line block ×4, first 2 shown]
	s_delay_alu instid0(VALU_DEP_1)
	v_cmp_le_i64_e64 s12, v[82:83], v[84:85]
	s_and_b32 s12, s13, s12
	s_wait_alu 0xfffe
	s_or_b32 s12, s14, s12
	s_wait_alu 0xfffe
	v_cndmask_b32_e64 v27, v5, v15, s12
	v_cndmask_b32_e64 v0, v64, v55, s12
	s_delay_alu instid0(VALU_DEP_2) | instskip(NEXT) | instid1(VALU_DEP_2)
	v_add_nc_u32_e32 v22, 1, v27
	v_add_nc_u32_e32 v0, -1, v0
	s_delay_alu instid0(VALU_DEP_2) | instskip(NEXT) | instid1(VALU_DEP_2)
	v_cndmask_b32_e64 v15, v15, v22, s12
	v_min_u32_e32 v0, v22, v0
	v_cndmask_b32_e64 v5, v22, v5, s12
	s_delay_alu instid0(VALU_DEP_3) | instskip(NEXT) | instid1(VALU_DEP_3)
	v_cmp_lt_u32_e64 s14, v15, v55
	v_lshl_add_u32 v0, v0, 3, v12
	s_delay_alu instid0(VALU_DEP_3)
	v_cmp_ge_u32_e64 s15, v5, v64
	ds_load_b64 v[0:1], v0
	s_wait_dscnt 0x0
	v_cndmask_b32_e64 v87, v1, v83, s12
	v_cndmask_b32_e64 v86, v0, v82, s12
	;; [unrolled: 1-line block ×4, first 2 shown]
	s_delay_alu instid0(VALU_DEP_1)
	v_cmp_le_i64_e64 s13, v[86:87], v[96:97]
	s_and_b32 s13, s14, s13
	s_wait_alu 0xfffe
	s_or_b32 s13, s15, s13
	s_wait_alu 0xfffe
	v_cndmask_b32_e64 v28, v5, v15, s13
	v_cndmask_b32_e64 v0, v64, v55, s13
	;; [unrolled: 1-line block ×4, first 2 shown]
	s_delay_alu instid0(VALU_DEP_4) | instskip(NEXT) | instid1(VALU_DEP_4)
	v_add_nc_u32_e32 v22, 1, v28
	v_add_nc_u32_e32 v0, -1, v0
	v_lshl_add_u32 v32, v28, 3, v12
	s_delay_alu instid0(VALU_DEP_3) | instskip(NEXT) | instid1(VALU_DEP_3)
	v_cndmask_b32_e64 v15, v15, v22, s13
	v_min_u32_e32 v0, v22, v0
	v_cndmask_b32_e64 v5, v22, v5, s13
	s_delay_alu instid0(VALU_DEP_3) | instskip(NEXT) | instid1(VALU_DEP_3)
	v_cmp_lt_u32_e64 s15, v15, v55
	v_lshl_add_u32 v0, v0, 3, v12
	s_delay_alu instid0(VALU_DEP_3)
	v_cmp_ge_u32_e64 s16, v5, v64
	ds_load_b64 v[0:1], v0
	s_wait_dscnt 0x0
	v_cndmask_b32_e64 v99, v1, v87, s13
	v_cndmask_b32_e64 v98, v0, v86, s13
	;; [unrolled: 1-line block ×4, first 2 shown]
	ds_load_b64 v[0:1], v4 offset:16384
	v_lshl_add_u32 v4, v25, 3, v12
	ds_load_b64 v[21:22], v16 offset:16384
	ds_load_b64 v[23:24], v23 offset:16384
	v_lshl_add_u32 v16, v27, 3, v12
	v_cmp_le_i64_e64 s14, v[98:99], v[100:101]
	s_and_b32 s14, s15, s14
	s_wait_alu 0xfffe
	s_or_b32 s14, s16, s14
	s_wait_alu 0xfffe
	v_cndmask_b32_e64 v5, v5, v15, s14
	v_lshl_add_u32 v15, v26, 3, v12
	ds_load_b64 v[25:26], v4 offset:16384
	v_lshl_add_u32 v33, v5, 3, v12
	ds_load_b64 v[27:28], v15 offset:16384
	ds_load_b64 v[38:39], v16 offset:16384
	;; [unrolled: 1-line block ×3, first 2 shown]
	v_cndmask_b32_e64 v16, v11, v9, s7
	v_cndmask_b32_e64 v15, v10, v8, s7
	;; [unrolled: 1-line block ×3, first 2 shown]
	ds_load_b64 v[32:33], v33 offset:16384
	v_cndmask_b32_e64 v9, v17, v19, s8
	v_cndmask_b32_e64 v20, v83, v85, s12
	;; [unrolled: 1-line block ×5, first 2 shown]
.LBB719_214:
	s_wait_alu 0xfffe
	s_or_b32 exec_lo, exec_lo, s18
	v_and_b32_e32 v8, 0x80, v67
	; wave barrier
	ds_store_2addr_b64 v31, v[15:16], v[9:10] offset1:1
	ds_store_2addr_b64 v31, v[29:30], v[36:37] offset0:2 offset1:3
	s_wait_dscnt 0x8
	ds_store_2addr_b64 v51, v[0:1], v[21:22] offset1:1
	s_wait_dscnt 0x7
	ds_store_2addr_b64 v52, v[23:24], v[25:26] offset1:1
	ds_store_2addr_b64 v31, v[34:35], v[19:20] offset0:4 offset1:5
	ds_store_2addr_b64 v31, v[48:49], v[17:18] offset0:6 offset1:7
	v_or_b32_e32 v11, 64, v8
	v_lshl_add_u32 v31, v8, 3, v12
	s_mov_b32 s8, exec_lo
	s_wait_dscnt 0x8
	ds_store_2addr_b64 v53, v[27:28], v[38:39] offset1:1
	s_wait_dscnt 0x7
	ds_store_2addr_b64 v54, v[4:5], v[32:33] offset1:1
	v_min_u32_e32 v55, v50, v11
	; wave barrier
	s_delay_alu instid0(VALU_DEP_1) | instskip(NEXT) | instid1(VALU_DEP_1)
	v_add_nc_u32_e32 v11, 64, v55
	v_min_u32_e32 v64, v50, v11
	v_min_u32_e32 v50, v50, v68
	v_sub_nc_u32_e32 v11, v55, v8
	s_delay_alu instid0(VALU_DEP_3) | instskip(NEXT) | instid1(VALU_DEP_2)
	v_sub_nc_u32_e32 v67, v64, v55
	v_min_u32_e32 v65, v50, v11
	s_delay_alu instid0(VALU_DEP_2) | instskip(NEXT) | instid1(VALU_DEP_1)
	v_sub_nc_u32_e64 v11, v50, v67 clamp
	v_cmpx_lt_u32_e64 v11, v65
	s_cbranch_execz .LBB719_218
; %bb.215:
	v_lshlrev_b32_e32 v51, 3, v55
	v_lshlrev_b32_e32 v52, 3, v50
	s_mov_b32 s9, 0
	s_delay_alu instid0(VALU_DEP_1)
	v_add3_u32 v51, v12, v51, v52
.LBB719_216:                            ; =>This Inner Loop Header: Depth=1
	v_add_nc_u32_e32 v52, v65, v11
	s_delay_alu instid0(VALU_DEP_1) | instskip(NEXT) | instid1(VALU_DEP_1)
	v_lshrrev_b32_e32 v54, 1, v52
	v_not_b32_e32 v52, v54
	v_lshl_add_u32 v53, v54, 3, v31
	s_delay_alu instid0(VALU_DEP_2)
	v_lshl_add_u32 v67, v52, 3, v51
	ds_load_b64 v[52:53], v53
	ds_load_b64 v[67:68], v67
	s_wait_dscnt 0x0
	v_cmp_gt_i64_e64 s7, v[67:68], v[52:53]
	v_add_nc_u32_e32 v52, 1, v54
	s_wait_alu 0xf1ff
	s_delay_alu instid0(VALU_DEP_2) | instskip(NEXT) | instid1(VALU_DEP_2)
	v_cndmask_b32_e64 v65, v65, v54, s7
	v_cndmask_b32_e64 v11, v52, v11, s7
	s_delay_alu instid0(VALU_DEP_1)
	v_cmp_ge_u32_e64 s7, v11, v65
	s_wait_alu 0xfffe
	s_or_b32 s9, s7, s9
	s_wait_alu 0xfffe
	s_and_not1_b32 exec_lo, exec_lo, s9
	s_cbranch_execnz .LBB719_216
; %bb.217:
	s_or_b32 exec_lo, exec_lo, s9
.LBB719_218:
	s_wait_alu 0xfffe
	s_or_b32 exec_lo, exec_lo, s8
	v_add_nc_u32_e32 v51, v55, v50
	v_add_nc_u32_e32 v50, v11, v8
	s_delay_alu instid0(VALU_DEP_2) | instskip(NEXT) | instid1(VALU_DEP_2)
	v_sub_nc_u32_e32 v51, v51, v11
	v_cmp_le_u32_e64 s7, v50, v55
	s_delay_alu instid0(VALU_DEP_2)
	v_cmp_le_u32_e64 s8, v51, v64
	s_or_b32 s7, s7, s8
	s_wait_alu 0xfffe
	s_and_saveexec_b32 s18, s7
	s_cbranch_execz .LBB719_224
; %bb.219:
	v_cmp_lt_u32_e64 s7, v50, v55
                                        ; implicit-def: $vgpr8_vgpr9
	s_and_saveexec_b32 s8, s7
; %bb.220:
	v_lshl_add_u32 v0, v11, 3, v31
	ds_load_b64 v[8:9], v0
; %bb.221:
	s_wait_alu 0xfffe
	s_or_b32 exec_lo, exec_lo, s8
	v_cmp_ge_u32_e64 s8, v51, v64
	s_mov_b32 s10, exec_lo
                                        ; implicit-def: $vgpr10_vgpr11
	v_cmpx_lt_u32_e64 v51, v64
; %bb.222:
	v_lshl_add_u32 v0, v51, 3, v12
	ds_load_b64 v[10:11], v0
; %bb.223:
	s_wait_alu 0xfffe
	s_or_b32 exec_lo, exec_lo, s10
	s_wait_dscnt 0x0
	v_cmp_le_i64_e64 s9, v[10:11], v[8:9]
	s_and_b32 s7, s7, s9
	s_wait_alu 0xfffe
	s_or_b32 s7, s8, s7
	s_wait_alu 0xfffe
	v_cndmask_b32_e64 v4, v51, v50, s7
	v_cndmask_b32_e64 v0, v64, v55, s7
	s_delay_alu instid0(VALU_DEP_2) | instskip(NEXT) | instid1(VALU_DEP_2)
	v_add_nc_u32_e32 v5, 1, v4
	v_add_nc_u32_e32 v0, -1, v0
	v_lshl_add_u32 v4, v4, 3, v12
	s_delay_alu instid0(VALU_DEP_3) | instskip(NEXT) | instid1(VALU_DEP_3)
	v_cndmask_b32_e64 v15, v50, v5, s7
	v_min_u32_e32 v0, v5, v0
	v_cndmask_b32_e64 v5, v5, v51, s7
	s_delay_alu instid0(VALU_DEP_3) | instskip(NEXT) | instid1(VALU_DEP_3)
	v_cmp_lt_u32_e64 s9, v15, v55
	v_lshl_add_u32 v0, v0, 3, v12
	s_delay_alu instid0(VALU_DEP_3)
	v_cmp_ge_u32_e64 s10, v5, v64
	ds_load_b64 v[0:1], v0
	s_wait_dscnt 0x0
	v_cndmask_b32_e64 v18, v1, v11, s7
	v_cndmask_b32_e64 v17, v0, v10, s7
	;; [unrolled: 1-line block ×4, first 2 shown]
	s_delay_alu instid0(VALU_DEP_1)
	v_cmp_le_i64_e64 s8, v[17:18], v[19:20]
	s_and_b32 s8, s9, s8
	s_wait_alu 0xfffe
	s_or_b32 s8, s10, s8
	s_wait_alu 0xfffe
	v_cndmask_b32_e64 v16, v5, v15, s8
	v_cndmask_b32_e64 v0, v64, v55, s8
	s_delay_alu instid0(VALU_DEP_2) | instskip(NEXT) | instid1(VALU_DEP_2)
	v_add_nc_u32_e32 v21, 1, v16
	v_add_nc_u32_e32 v0, -1, v0
	v_lshl_add_u32 v16, v16, 3, v12
	s_delay_alu instid0(VALU_DEP_3) | instskip(NEXT) | instid1(VALU_DEP_3)
	v_cndmask_b32_e64 v15, v15, v21, s8
	v_min_u32_e32 v0, v21, v0
	v_cndmask_b32_e64 v5, v21, v5, s8
	s_delay_alu instid0(VALU_DEP_3) | instskip(NEXT) | instid1(VALU_DEP_3)
	v_cmp_lt_u32_e64 s10, v15, v55
	v_lshl_add_u32 v0, v0, 3, v12
	s_delay_alu instid0(VALU_DEP_3)
	v_cmp_ge_u32_e64 s11, v5, v64
	ds_load_b64 v[0:1], v0
	s_wait_dscnt 0x0
	v_cndmask_b32_e64 v30, v1, v18, s8
	v_cndmask_b32_e64 v29, v0, v17, s8
	v_cndmask_b32_e64 v35, v20, v1, s8
	v_cndmask_b32_e64 v34, v19, v0, s8
	s_delay_alu instid0(VALU_DEP_1)
	v_cmp_le_i64_e64 s9, v[29:30], v[34:35]
	s_and_b32 s9, s10, s9
	s_wait_alu 0xfffe
	s_or_b32 s9, s11, s9
	s_wait_alu 0xfffe
	v_cndmask_b32_e64 v21, v5, v15, s9
	v_cndmask_b32_e64 v0, v64, v55, s9
	s_delay_alu instid0(VALU_DEP_2) | instskip(NEXT) | instid1(VALU_DEP_2)
	v_add_nc_u32_e32 v22, 1, v21
	v_add_nc_u32_e32 v0, -1, v0
	v_lshl_add_u32 v23, v21, 3, v12
	s_delay_alu instid0(VALU_DEP_3) | instskip(NEXT) | instid1(VALU_DEP_3)
	v_cndmask_b32_e64 v15, v15, v22, s9
	v_min_u32_e32 v0, v22, v0
	v_cndmask_b32_e64 v5, v22, v5, s9
	s_delay_alu instid0(VALU_DEP_3) | instskip(NEXT) | instid1(VALU_DEP_3)
	v_cmp_lt_u32_e64 s11, v15, v55
	v_lshl_add_u32 v0, v0, 3, v12
	s_delay_alu instid0(VALU_DEP_3)
	v_cmp_ge_u32_e64 s12, v5, v64
	ds_load_b64 v[0:1], v0
	s_wait_dscnt 0x0
	v_cndmask_b32_e64 v37, v1, v30, s9
	v_cndmask_b32_e64 v36, v0, v29, s9
	;; [unrolled: 1-line block ×6, first 2 shown]
	s_delay_alu instid0(VALU_DEP_3)
	v_cmp_le_i64_e64 s10, v[36:37], v[48:49]
	s_and_b32 s10, s11, s10
	s_wait_alu 0xfffe
	s_or_b32 s10, s12, s10
	s_wait_alu 0xfffe
	v_cndmask_b32_e64 v25, v5, v15, s10
	v_cndmask_b32_e64 v0, v64, v55, s10
	s_delay_alu instid0(VALU_DEP_2) | instskip(NEXT) | instid1(VALU_DEP_2)
	v_add_nc_u32_e32 v22, 1, v25
	v_add_nc_u32_e32 v0, -1, v0
	s_delay_alu instid0(VALU_DEP_2) | instskip(NEXT) | instid1(VALU_DEP_2)
	v_cndmask_b32_e64 v15, v15, v22, s10
	v_min_u32_e32 v0, v22, v0
	v_cndmask_b32_e64 v5, v22, v5, s10
	s_delay_alu instid0(VALU_DEP_3) | instskip(NEXT) | instid1(VALU_DEP_3)
	v_cmp_lt_u32_e64 s12, v15, v55
	v_lshl_add_u32 v0, v0, 3, v12
	s_delay_alu instid0(VALU_DEP_3)
	v_cmp_ge_u32_e64 s13, v5, v64
	ds_load_b64 v[0:1], v0
	s_wait_dscnt 0x0
	v_cndmask_b32_e64 v51, v1, v37, s10
	v_cndmask_b32_e64 v50, v0, v36, s10
	;; [unrolled: 1-line block ×6, first 2 shown]
	s_delay_alu instid0(VALU_DEP_3)
	v_cmp_le_i64_e64 s11, v[50:51], v[52:53]
	s_and_b32 s11, s12, s11
	s_wait_alu 0xfffe
	s_or_b32 s11, s13, s11
	s_wait_alu 0xfffe
	v_cndmask_b32_e64 v26, v5, v15, s11
	v_cndmask_b32_e64 v0, v64, v55, s11
	;; [unrolled: 1-line block ×4, first 2 shown]
	s_delay_alu instid0(VALU_DEP_4) | instskip(NEXT) | instid1(VALU_DEP_4)
	v_add_nc_u32_e32 v22, 1, v26
	v_add_nc_u32_e32 v0, -1, v0
	s_delay_alu instid0(VALU_DEP_2) | instskip(NEXT) | instid1(VALU_DEP_2)
	v_cndmask_b32_e64 v15, v15, v22, s11
	v_min_u32_e32 v0, v22, v0
	v_cndmask_b32_e64 v5, v22, v5, s11
	s_delay_alu instid0(VALU_DEP_3) | instskip(NEXT) | instid1(VALU_DEP_3)
	v_cmp_lt_u32_e64 s13, v15, v55
	v_lshl_add_u32 v0, v0, 3, v12
	s_delay_alu instid0(VALU_DEP_3)
	v_cmp_ge_u32_e64 s14, v5, v64
	ds_load_b64 v[0:1], v0
	s_wait_dscnt 0x0
	v_cndmask_b32_e64 v68, v1, v51, s11
	v_cndmask_b32_e64 v67, v0, v50, s11
	;; [unrolled: 1-line block ×4, first 2 shown]
	s_delay_alu instid0(VALU_DEP_1)
	v_cmp_le_i64_e64 s12, v[67:68], v[69:70]
	s_and_b32 s12, s13, s12
	s_wait_alu 0xfffe
	s_or_b32 s12, s14, s12
	s_wait_alu 0xfffe
	v_cndmask_b32_e64 v27, v5, v15, s12
	v_cndmask_b32_e64 v0, v64, v55, s12
	s_delay_alu instid0(VALU_DEP_2) | instskip(NEXT) | instid1(VALU_DEP_2)
	v_add_nc_u32_e32 v22, 1, v27
	v_add_nc_u32_e32 v0, -1, v0
	s_delay_alu instid0(VALU_DEP_2) | instskip(NEXT) | instid1(VALU_DEP_2)
	v_cndmask_b32_e64 v15, v15, v22, s12
	v_min_u32_e32 v0, v22, v0
	v_cndmask_b32_e64 v5, v22, v5, s12
	s_delay_alu instid0(VALU_DEP_3) | instskip(NEXT) | instid1(VALU_DEP_3)
	v_cmp_lt_u32_e64 s14, v15, v55
	v_lshl_add_u32 v0, v0, 3, v12
	s_delay_alu instid0(VALU_DEP_3)
	v_cmp_ge_u32_e64 s15, v5, v64
	ds_load_b64 v[0:1], v0
	s_wait_dscnt 0x0
	v_cndmask_b32_e64 v81, v1, v68, s12
	v_cndmask_b32_e64 v80, v0, v67, s12
	;; [unrolled: 1-line block ×4, first 2 shown]
	s_delay_alu instid0(VALU_DEP_1)
	v_cmp_le_i64_e64 s13, v[80:81], v[82:83]
	s_and_b32 s13, s14, s13
	s_wait_alu 0xfffe
	s_or_b32 s13, s15, s13
	s_wait_alu 0xfffe
	v_cndmask_b32_e64 v28, v5, v15, s13
	v_cndmask_b32_e64 v0, v64, v55, s13
	;; [unrolled: 1-line block ×4, first 2 shown]
	s_delay_alu instid0(VALU_DEP_4) | instskip(NEXT) | instid1(VALU_DEP_4)
	v_add_nc_u32_e32 v22, 1, v28
	v_add_nc_u32_e32 v0, -1, v0
	v_lshl_add_u32 v31, v28, 3, v12
	s_delay_alu instid0(VALU_DEP_3) | instskip(NEXT) | instid1(VALU_DEP_3)
	v_cndmask_b32_e64 v15, v15, v22, s13
	v_min_u32_e32 v0, v22, v0
	v_cndmask_b32_e64 v5, v22, v5, s13
	s_delay_alu instid0(VALU_DEP_3) | instskip(NEXT) | instid1(VALU_DEP_3)
	v_cmp_lt_u32_e64 s15, v15, v55
	v_lshl_add_u32 v0, v0, 3, v12
	s_delay_alu instid0(VALU_DEP_3)
	v_cmp_ge_u32_e64 s16, v5, v64
	ds_load_b64 v[0:1], v0
	s_wait_dscnt 0x0
	v_cndmask_b32_e64 v85, v1, v81, s13
	v_cndmask_b32_e64 v84, v0, v80, s13
	;; [unrolled: 1-line block ×4, first 2 shown]
	ds_load_b64 v[0:1], v4 offset:16384
	v_lshl_add_u32 v4, v25, 3, v12
	ds_load_b64 v[21:22], v16 offset:16384
	ds_load_b64 v[23:24], v23 offset:16384
	v_lshl_add_u32 v16, v27, 3, v12
	v_cmp_le_i64_e64 s14, v[84:85], v[86:87]
	s_and_b32 s14, s15, s14
	s_wait_alu 0xfffe
	s_or_b32 s14, s16, s14
	s_wait_alu 0xfffe
	v_cndmask_b32_e64 v5, v5, v15, s14
	v_lshl_add_u32 v15, v26, 3, v12
	ds_load_b64 v[25:26], v4 offset:16384
	v_lshl_add_u32 v12, v5, 3, v12
	ds_load_b64 v[27:28], v15 offset:16384
	ds_load_b64 v[38:39], v16 offset:16384
	;; [unrolled: 1-line block ×3, first 2 shown]
	v_cndmask_b32_e64 v16, v11, v9, s7
	v_cndmask_b32_e64 v15, v10, v8, s7
	;; [unrolled: 1-line block ×3, first 2 shown]
	ds_load_b64 v[32:33], v12 offset:16384
	v_cndmask_b32_e64 v9, v17, v19, s8
	v_cndmask_b32_e64 v20, v68, v70, s12
	;; [unrolled: 1-line block ×5, first 2 shown]
.LBB719_224:
	s_wait_alu 0xfffe
	s_or_b32 exec_lo, exec_lo, s18
	; wave barrier
	s_wait_storecnt_dscnt 0x0
	s_barrier_signal -1
	s_barrier_wait -1
.LBB719_225:
	s_wait_alu 0xfffe
	s_or_b32 exec_lo, exec_lo, s17
	v_add_co_u32 v2, s7, v2, v13
	s_wait_alu 0xf1ff
	v_add_co_ci_u32_e64 v3, null, v3, v14, s7
	s_wait_storecnt 0x0
	s_wait_loadcnt_dscnt 0x0
	global_inv scope:SCOPE_SE
	v_add_co_u32 v2, s7, v2, v66
	s_wait_alu 0xf1ff
	v_add_co_ci_u32_e64 v3, null, 0, v3, s7
	; wave barrier
	s_and_saveexec_b32 s7, vcc_lo
	s_cbranch_execnz .LBB719_250
; %bb.226:
	s_wait_alu 0xfffe
	s_or_b32 exec_lo, exec_lo, s7
	s_and_saveexec_b32 s7, s0
	s_cbranch_execnz .LBB719_251
.LBB719_227:
	s_wait_alu 0xfffe
	s_or_b32 exec_lo, exec_lo, s7
	s_and_saveexec_b32 s7, s1
	s_cbranch_execnz .LBB719_252
.LBB719_228:
	s_wait_alu 0xfffe
	s_or_b32 exec_lo, exec_lo, s7
	s_and_saveexec_b32 s7, s2
	s_cbranch_execnz .LBB719_253
.LBB719_229:
	s_wait_alu 0xfffe
	s_or_b32 exec_lo, exec_lo, s7
	s_and_saveexec_b32 s7, s3
	s_cbranch_execnz .LBB719_254
.LBB719_230:
	s_wait_alu 0xfffe
	s_or_b32 exec_lo, exec_lo, s7
	s_and_saveexec_b32 s7, s4
	s_cbranch_execnz .LBB719_255
.LBB719_231:
	s_wait_alu 0xfffe
	s_or_b32 exec_lo, exec_lo, s7
	s_and_saveexec_b32 s7, s5
	s_cbranch_execnz .LBB719_256
.LBB719_232:
	s_wait_alu 0xfffe
	s_or_b32 exec_lo, exec_lo, s7
	s_and_saveexec_b32 s7, s6
	s_cbranch_execz .LBB719_234
.LBB719_233:
	flat_store_b64 v[2:3], v[17:18] offset:56
.LBB719_234:
	s_wait_alu 0xfffe
	s_or_b32 exec_lo, exec_lo, s7
	v_add_co_u32 v2, s7, v6, v13
	s_wait_alu 0xf1ff
	v_add_co_ci_u32_e64 v3, null, v7, v14, s7
	s_delay_alu instid0(VALU_DEP_2) | instskip(SKIP_1) | instid1(VALU_DEP_2)
	v_add_co_u32 v2, s7, v2, v66
	s_wait_alu 0xf1ff
	v_add_co_ci_u32_e64 v3, null, 0, v3, s7
	; wave barrier
	s_and_saveexec_b32 s7, vcc_lo
	s_cbranch_execnz .LBB719_257
; %bb.235:
	s_wait_alu 0xfffe
	s_or_b32 exec_lo, exec_lo, s7
	s_and_saveexec_b32 s7, s0
	s_cbranch_execnz .LBB719_258
.LBB719_236:
	s_wait_alu 0xfffe
	s_or_b32 exec_lo, exec_lo, s7
	s_and_saveexec_b32 s0, s1
	s_cbranch_execnz .LBB719_259
.LBB719_237:
	s_wait_alu 0xfffe
	s_or_b32 exec_lo, exec_lo, s0
	s_and_saveexec_b32 s0, s2
	s_cbranch_execnz .LBB719_260
.LBB719_238:
	s_wait_alu 0xfffe
	s_or_b32 exec_lo, exec_lo, s0
	s_and_saveexec_b32 s0, s3
	s_cbranch_execnz .LBB719_261
.LBB719_239:
	s_wait_alu 0xfffe
	s_or_b32 exec_lo, exec_lo, s0
	s_and_saveexec_b32 s0, s4
	s_cbranch_execnz .LBB719_262
.LBB719_240:
	s_wait_alu 0xfffe
	s_or_b32 exec_lo, exec_lo, s0
	s_and_saveexec_b32 s0, s5
	s_cbranch_execnz .LBB719_263
.LBB719_241:
	s_wait_alu 0xfffe
	s_or_b32 exec_lo, exec_lo, s0
	s_and_saveexec_b32 s0, s6
	s_cbranch_execnz .LBB719_264
.LBB719_242:
	s_wait_alu 0xfffe
	s_or_b32 exec_lo, exec_lo, s0
	s_wait_loadcnt_dscnt 0x0
	s_setpc_b64 s[30:31]
.LBB719_243:
	flat_load_b64 v[0:1], v[50:51]
	s_wait_alu 0xfffe
	s_or_b32 exec_lo, exec_lo, s7
	s_and_saveexec_b32 s7, s0
                                        ; implicit-def: $vgpr21_vgpr22
	s_cbranch_execz .LBB719_18
.LBB719_244:
	flat_load_b64 v[21:22], v[50:51] offset:8
	s_wait_alu 0xfffe
	s_or_b32 exec_lo, exec_lo, s7
                                        ; implicit-def: $vgpr23_vgpr24
	s_and_saveexec_b32 s7, s1
	s_cbranch_execz .LBB719_19
.LBB719_245:
	flat_load_b64 v[23:24], v[50:51] offset:16
	s_wait_alu 0xfffe
	s_or_b32 exec_lo, exec_lo, s7
	s_and_saveexec_b32 s7, s2
                                        ; implicit-def: $vgpr25_vgpr26
	s_cbranch_execz .LBB719_20
.LBB719_246:
	flat_load_b64 v[25:26], v[50:51] offset:24
	s_wait_alu 0xfffe
	s_or_b32 exec_lo, exec_lo, s7
                                        ; implicit-def: $vgpr27_vgpr28
	s_and_saveexec_b32 s7, s3
	s_cbranch_execz .LBB719_21
.LBB719_247:
	flat_load_b64 v[27:28], v[50:51] offset:32
	s_wait_alu 0xfffe
	s_or_b32 exec_lo, exec_lo, s7
	s_and_saveexec_b32 s7, s4
                                        ; implicit-def: $vgpr38_vgpr39
	s_cbranch_execz .LBB719_22
.LBB719_248:
	flat_load_b64 v[38:39], v[50:51] offset:40
	s_wait_alu 0xfffe
	s_or_b32 exec_lo, exec_lo, s7
                                        ; implicit-def: $vgpr4_vgpr5
	s_and_saveexec_b32 s7, s5
	s_cbranch_execz .LBB719_23
.LBB719_249:
	flat_load_b64 v[4:5], v[50:51] offset:48
	s_wait_alu 0xfffe
	s_or_b32 exec_lo, exec_lo, s7
	s_and_saveexec_b32 s7, s6
                                        ; implicit-def: $vgpr32_vgpr33
	s_cbranch_execnz .LBB719_24
	s_branch .LBB719_25
.LBB719_250:
	flat_store_b64 v[2:3], v[15:16]
	s_wait_alu 0xfffe
	s_or_b32 exec_lo, exec_lo, s7
	s_and_saveexec_b32 s7, s0
	s_cbranch_execz .LBB719_227
.LBB719_251:
	flat_store_b64 v[2:3], v[9:10] offset:8
	s_wait_alu 0xfffe
	s_or_b32 exec_lo, exec_lo, s7
	s_and_saveexec_b32 s7, s1
	s_cbranch_execz .LBB719_228
.LBB719_252:
	flat_store_b64 v[2:3], v[29:30] offset:16
	s_wait_alu 0xfffe
	s_or_b32 exec_lo, exec_lo, s7
	s_and_saveexec_b32 s7, s2
	s_cbranch_execz .LBB719_229
.LBB719_253:
	flat_store_b64 v[2:3], v[36:37] offset:24
	s_wait_alu 0xfffe
	s_or_b32 exec_lo, exec_lo, s7
	s_and_saveexec_b32 s7, s3
	s_cbranch_execz .LBB719_230
.LBB719_254:
	flat_store_b64 v[2:3], v[34:35] offset:32
	s_wait_alu 0xfffe
	s_or_b32 exec_lo, exec_lo, s7
	s_and_saveexec_b32 s7, s4
	s_cbranch_execz .LBB719_231
.LBB719_255:
	flat_store_b64 v[2:3], v[19:20] offset:40
	s_wait_alu 0xfffe
	s_or_b32 exec_lo, exec_lo, s7
	s_and_saveexec_b32 s7, s5
	s_cbranch_execz .LBB719_232
.LBB719_256:
	flat_store_b64 v[2:3], v[48:49] offset:48
	s_wait_alu 0xfffe
	s_or_b32 exec_lo, exec_lo, s7
	s_and_saveexec_b32 s7, s6
	s_cbranch_execnz .LBB719_233
	s_branch .LBB719_234
.LBB719_257:
	flat_store_b64 v[2:3], v[0:1]
	s_wait_alu 0xfffe
	s_or_b32 exec_lo, exec_lo, s7
	s_and_saveexec_b32 s7, s0
	s_cbranch_execz .LBB719_236
.LBB719_258:
	flat_store_b64 v[2:3], v[21:22] offset:8
	s_wait_alu 0xfffe
	s_or_b32 exec_lo, exec_lo, s7
	s_and_saveexec_b32 s0, s1
	s_cbranch_execz .LBB719_237
.LBB719_259:
	flat_store_b64 v[2:3], v[23:24] offset:16
	s_wait_alu 0xfffe
	s_or_b32 exec_lo, exec_lo, s0
	s_and_saveexec_b32 s0, s2
	s_cbranch_execz .LBB719_238
.LBB719_260:
	flat_store_b64 v[2:3], v[25:26] offset:24
	s_wait_alu 0xfffe
	s_or_b32 exec_lo, exec_lo, s0
	s_and_saveexec_b32 s0, s3
	s_cbranch_execz .LBB719_239
.LBB719_261:
	flat_store_b64 v[2:3], v[27:28] offset:32
	s_wait_alu 0xfffe
	s_or_b32 exec_lo, exec_lo, s0
	s_and_saveexec_b32 s0, s4
	s_cbranch_execz .LBB719_240
.LBB719_262:
	flat_store_b64 v[2:3], v[38:39] offset:40
	s_wait_alu 0xfffe
	s_or_b32 exec_lo, exec_lo, s0
	s_and_saveexec_b32 s0, s5
	s_cbranch_execz .LBB719_241
.LBB719_263:
	flat_store_b64 v[2:3], v[4:5] offset:48
	s_wait_alu 0xfffe
	s_or_b32 exec_lo, exec_lo, s0
	s_and_saveexec_b32 s0, s6
	s_cbranch_execz .LBB719_242
.LBB719_264:
	flat_store_b64 v[2:3], v[32:33] offset:56
	s_wait_alu 0xfffe
	s_or_b32 exec_lo, exec_lo, s0
	s_wait_loadcnt_dscnt 0x0
	s_setpc_b64 s[30:31]
.Lfunc_end719:
	.size	_ZN7rocprim17ROCPRIM_400000_NS6detail26segmented_warp_sort_helperINS1_20WarpSortHelperConfigILj16ELj8ELj256EEEllLi256ELb1EvE4sortIPKlPlS8_S9_EEvT_T0_T1_T2_jjjjRNS5_12storage_typeE, .Lfunc_end719-_ZN7rocprim17ROCPRIM_400000_NS6detail26segmented_warp_sort_helperINS1_20WarpSortHelperConfigILj16ELj8ELj256EEEllLi256ELb1EvE4sortIPKlPlS8_S9_EEvT_T0_T1_T2_jjjjRNS5_12storage_typeE
                                        ; -- End function
	.set .L_ZN7rocprim17ROCPRIM_400000_NS6detail26segmented_warp_sort_helperINS1_20WarpSortHelperConfigILj16ELj8ELj256EEEllLi256ELb1EvE4sortIPKlPlS8_S9_EEvT_T0_T1_T2_jjjjRNS5_12storage_typeE.num_vgpr, 102
	.set .L_ZN7rocprim17ROCPRIM_400000_NS6detail26segmented_warp_sort_helperINS1_20WarpSortHelperConfigILj16ELj8ELj256EEEllLi256ELb1EvE4sortIPKlPlS8_S9_EEvT_T0_T1_T2_jjjjRNS5_12storage_typeE.num_agpr, 0
	.set .L_ZN7rocprim17ROCPRIM_400000_NS6detail26segmented_warp_sort_helperINS1_20WarpSortHelperConfigILj16ELj8ELj256EEEllLi256ELb1EvE4sortIPKlPlS8_S9_EEvT_T0_T1_T2_jjjjRNS5_12storage_typeE.numbered_sgpr, 32
	.set .L_ZN7rocprim17ROCPRIM_400000_NS6detail26segmented_warp_sort_helperINS1_20WarpSortHelperConfigILj16ELj8ELj256EEEllLi256ELb1EvE4sortIPKlPlS8_S9_EEvT_T0_T1_T2_jjjjRNS5_12storage_typeE.num_named_barrier, 0
	.set .L_ZN7rocprim17ROCPRIM_400000_NS6detail26segmented_warp_sort_helperINS1_20WarpSortHelperConfigILj16ELj8ELj256EEEllLi256ELb1EvE4sortIPKlPlS8_S9_EEvT_T0_T1_T2_jjjjRNS5_12storage_typeE.private_seg_size, 0
	.set .L_ZN7rocprim17ROCPRIM_400000_NS6detail26segmented_warp_sort_helperINS1_20WarpSortHelperConfigILj16ELj8ELj256EEEllLi256ELb1EvE4sortIPKlPlS8_S9_EEvT_T0_T1_T2_jjjjRNS5_12storage_typeE.uses_vcc, 1
	.set .L_ZN7rocprim17ROCPRIM_400000_NS6detail26segmented_warp_sort_helperINS1_20WarpSortHelperConfigILj16ELj8ELj256EEEllLi256ELb1EvE4sortIPKlPlS8_S9_EEvT_T0_T1_T2_jjjjRNS5_12storage_typeE.uses_flat_scratch, 0
	.set .L_ZN7rocprim17ROCPRIM_400000_NS6detail26segmented_warp_sort_helperINS1_20WarpSortHelperConfigILj16ELj8ELj256EEEllLi256ELb1EvE4sortIPKlPlS8_S9_EEvT_T0_T1_T2_jjjjRNS5_12storage_typeE.has_dyn_sized_stack, 0
	.set .L_ZN7rocprim17ROCPRIM_400000_NS6detail26segmented_warp_sort_helperINS1_20WarpSortHelperConfigILj16ELj8ELj256EEEllLi256ELb1EvE4sortIPKlPlS8_S9_EEvT_T0_T1_T2_jjjjRNS5_12storage_typeE.has_recursion, 0
	.set .L_ZN7rocprim17ROCPRIM_400000_NS6detail26segmented_warp_sort_helperINS1_20WarpSortHelperConfigILj16ELj8ELj256EEEllLi256ELb1EvE4sortIPKlPlS8_S9_EEvT_T0_T1_T2_jjjjRNS5_12storage_typeE.has_indirect_call, 0
	.section	.AMDGPU.csdata,"",@progbits
; Function info:
; codeLenInByte = 22196
; TotalNumSgprs: 34
; NumVgprs: 102
; ScratchSize: 0
; MemoryBound: 0
	.section	.text._ZN7rocprim17ROCPRIM_400000_NS6detail17trampoline_kernelINS0_14default_configENS1_36segmented_radix_sort_config_selectorIllEEZNS1_25segmented_radix_sort_implIS3_Lb1EPKlPlS8_S9_N2at6native12_GLOBAL__N_18offset_tEEE10hipError_tPvRmT1_PNSt15iterator_traitsISH_E10value_typeET2_T3_PNSI_ISN_E10value_typeET4_jRbjT5_ST_jjP12ihipStream_tbEUlT_E0_NS1_11comp_targetILNS1_3genE10ELNS1_11target_archE1201ELNS1_3gpuE5ELNS1_3repE0EEENS1_60segmented_radix_sort_warp_sort_medium_config_static_selectorELNS0_4arch9wavefront6targetE0EEEvSH_,"axG",@progbits,_ZN7rocprim17ROCPRIM_400000_NS6detail17trampoline_kernelINS0_14default_configENS1_36segmented_radix_sort_config_selectorIllEEZNS1_25segmented_radix_sort_implIS3_Lb1EPKlPlS8_S9_N2at6native12_GLOBAL__N_18offset_tEEE10hipError_tPvRmT1_PNSt15iterator_traitsISH_E10value_typeET2_T3_PNSI_ISN_E10value_typeET4_jRbjT5_ST_jjP12ihipStream_tbEUlT_E0_NS1_11comp_targetILNS1_3genE10ELNS1_11target_archE1201ELNS1_3gpuE5ELNS1_3repE0EEENS1_60segmented_radix_sort_warp_sort_medium_config_static_selectorELNS0_4arch9wavefront6targetE0EEEvSH_,comdat
	.globl	_ZN7rocprim17ROCPRIM_400000_NS6detail17trampoline_kernelINS0_14default_configENS1_36segmented_radix_sort_config_selectorIllEEZNS1_25segmented_radix_sort_implIS3_Lb1EPKlPlS8_S9_N2at6native12_GLOBAL__N_18offset_tEEE10hipError_tPvRmT1_PNSt15iterator_traitsISH_E10value_typeET2_T3_PNSI_ISN_E10value_typeET4_jRbjT5_ST_jjP12ihipStream_tbEUlT_E0_NS1_11comp_targetILNS1_3genE10ELNS1_11target_archE1201ELNS1_3gpuE5ELNS1_3repE0EEENS1_60segmented_radix_sort_warp_sort_medium_config_static_selectorELNS0_4arch9wavefront6targetE0EEEvSH_ ; -- Begin function _ZN7rocprim17ROCPRIM_400000_NS6detail17trampoline_kernelINS0_14default_configENS1_36segmented_radix_sort_config_selectorIllEEZNS1_25segmented_radix_sort_implIS3_Lb1EPKlPlS8_S9_N2at6native12_GLOBAL__N_18offset_tEEE10hipError_tPvRmT1_PNSt15iterator_traitsISH_E10value_typeET2_T3_PNSI_ISN_E10value_typeET4_jRbjT5_ST_jjP12ihipStream_tbEUlT_E0_NS1_11comp_targetILNS1_3genE10ELNS1_11target_archE1201ELNS1_3gpuE5ELNS1_3repE0EEENS1_60segmented_radix_sort_warp_sort_medium_config_static_selectorELNS0_4arch9wavefront6targetE0EEEvSH_
	.p2align	8
	.type	_ZN7rocprim17ROCPRIM_400000_NS6detail17trampoline_kernelINS0_14default_configENS1_36segmented_radix_sort_config_selectorIllEEZNS1_25segmented_radix_sort_implIS3_Lb1EPKlPlS8_S9_N2at6native12_GLOBAL__N_18offset_tEEE10hipError_tPvRmT1_PNSt15iterator_traitsISH_E10value_typeET2_T3_PNSI_ISN_E10value_typeET4_jRbjT5_ST_jjP12ihipStream_tbEUlT_E0_NS1_11comp_targetILNS1_3genE10ELNS1_11target_archE1201ELNS1_3gpuE5ELNS1_3repE0EEENS1_60segmented_radix_sort_warp_sort_medium_config_static_selectorELNS0_4arch9wavefront6targetE0EEEvSH_,@function
_ZN7rocprim17ROCPRIM_400000_NS6detail17trampoline_kernelINS0_14default_configENS1_36segmented_radix_sort_config_selectorIllEEZNS1_25segmented_radix_sort_implIS3_Lb1EPKlPlS8_S9_N2at6native12_GLOBAL__N_18offset_tEEE10hipError_tPvRmT1_PNSt15iterator_traitsISH_E10value_typeET2_T3_PNSI_ISN_E10value_typeET4_jRbjT5_ST_jjP12ihipStream_tbEUlT_E0_NS1_11comp_targetILNS1_3genE10ELNS1_11target_archE1201ELNS1_3gpuE5ELNS1_3repE0EEENS1_60segmented_radix_sort_warp_sort_medium_config_static_selectorELNS0_4arch9wavefront6targetE0EEEvSH_: ; @_ZN7rocprim17ROCPRIM_400000_NS6detail17trampoline_kernelINS0_14default_configENS1_36segmented_radix_sort_config_selectorIllEEZNS1_25segmented_radix_sort_implIS3_Lb1EPKlPlS8_S9_N2at6native12_GLOBAL__N_18offset_tEEE10hipError_tPvRmT1_PNSt15iterator_traitsISH_E10value_typeET2_T3_PNSI_ISN_E10value_typeET4_jRbjT5_ST_jjP12ihipStream_tbEUlT_E0_NS1_11comp_targetILNS1_3genE10ELNS1_11target_archE1201ELNS1_3gpuE5ELNS1_3repE0EEENS1_60segmented_radix_sort_warp_sort_medium_config_static_selectorELNS0_4arch9wavefront6targetE0EEEvSH_
; %bb.0:
	s_load_b32 s2, s[0:1], 0x64
	v_bfe_u32 v1, v0, 10, 10
	v_bfe_u32 v2, v0, 20, 10
	s_mov_b32 s32, 0
	s_wait_kmcnt 0x0
	s_lshr_b32 s3, s2, 16
	s_and_b32 s2, s2, 0xffff
	v_mad_u32_u24 v2, v2, s3, v1
	v_and_b32_e32 v1, 0x3ff, v0
	s_load_b32 s3, s[0:1], 0x34
	s_delay_alu instid0(VALU_DEP_1) | instskip(SKIP_2) | instid1(VALU_DEP_1)
	v_mad_co_u64_u32 v[1:2], null, v2, s2, v[1:2]
	s_mov_b32 s2, exec_lo
	v_lshrrev_b32_e32 v1, 4, v1
	v_lshl_add_u32 v1, ttmp9, 4, v1
	s_wait_kmcnt 0x0
	s_delay_alu instid0(VALU_DEP_1)
	v_cmpx_gt_u32_e64 s3, v1
	s_cbranch_execz .LBB720_6
; %bb.1:
	s_clause 0x1
	s_load_b64 s[2:3], s[0:1], 0x38
	s_load_b128 s[4:7], s[0:1], 0x40
	v_mov_b32_e32 v2, 0
	s_delay_alu instid0(VALU_DEP_1) | instskip(SKIP_1) | instid1(VALU_DEP_1)
	v_lshlrev_b64_e32 v[1:2], 2, v[1:2]
	s_wait_kmcnt 0x0
	v_add_co_u32 v1, vcc_lo, s2, v1
	s_delay_alu instid0(VALU_DEP_1) | instskip(SKIP_4) | instid1(VALU_DEP_2)
	v_add_co_ci_u32_e64 v2, null, s3, v2, vcc_lo
	global_load_b32 v1, v[1:2], off
	s_wait_loadcnt 0x0
	v_add_nc_u32_e32 v2, s5, v1
	v_add_nc_u32_e32 v1, s7, v1
	v_mul_lo_u32 v40, v2, s4
	s_delay_alu instid0(VALU_DEP_2) | instskip(NEXT) | instid1(VALU_DEP_1)
	v_mul_lo_u32 v41, v1, s6
	v_cmp_gt_u32_e32 vcc_lo, v41, v40
	s_and_b32 exec_lo, exec_lo, vcc_lo
	s_cbranch_execz .LBB720_6
; %bb.2:
	s_clause 0x3
	s_load_b32 s2, s[0:1], 0x30
	s_load_b128 s[24:27], s[0:1], 0x20
	s_load_b256 s[36:43], s[0:1], 0x0
	s_load_b64 s[28:29], s[0:1], 0x50
	s_add_nc_u64 s[22:23], s[0:1], 0x58
	s_wait_kmcnt 0x0
	s_bitcmp0_b32 s2, 0
	s_mov_b32 s2, -1
	s_cbranch_scc0 .LBB720_4
; %bb.3:
	v_dual_mov_b32 v31, v0 :: v_dual_mov_b32 v42, v0
	v_dual_mov_b32 v0, s36 :: v_dual_mov_b32 v1, s37
	;; [unrolled: 1-line block ×7, first 2 shown]
	s_getpc_b64 s[0:1]
	s_wait_alu 0xfffe
	s_sext_i32_i16 s1, s1
	s_add_co_u32 s0, s0, _ZN7rocprim17ROCPRIM_400000_NS6detail26segmented_warp_sort_helperINS1_20WarpSortHelperConfigILj16ELj8ELj256EEEllLi256ELb1EvE4sortIPKlPlS8_S9_EEvT_T0_T1_T2_jjjjRNS5_12storage_typeE@rel32@lo+12
	s_wait_alu 0xfffe
	s_add_co_ci_u32 s1, s1, _ZN7rocprim17ROCPRIM_400000_NS6detail26segmented_warp_sort_helperINS1_20WarpSortHelperConfigILj16ELj8ELj256EEEllLi256ELb1EvE4sortIPKlPlS8_S9_EEvT_T0_T1_T2_jjjjRNS5_12storage_typeE@rel32@hi+24
	s_mov_b64 s[8:9], s[22:23]
	s_wait_alu 0xfffe
	s_swappc_b64 s[30:31], s[0:1]
	v_mov_b32_e32 v0, v42
	s_mov_b32 s2, 0
.LBB720_4:
	s_wait_alu 0xfffe
	s_and_not1_b32 vcc_lo, exec_lo, s2
	s_wait_alu 0xfffe
	s_cbranch_vccnz .LBB720_6
; %bb.5:
	v_dual_mov_b32 v31, v0 :: v_dual_mov_b32 v0, s36
	v_dual_mov_b32 v1, s37 :: v_dual_mov_b32 v2, s40
	;; [unrolled: 1-line block ×6, first 2 shown]
	v_mov_b32_e32 v11, s29
	s_getpc_b64 s[0:1]
	s_wait_alu 0xfffe
	s_sext_i32_i16 s1, s1
	s_add_co_u32 s0, s0, _ZN7rocprim17ROCPRIM_400000_NS6detail26segmented_warp_sort_helperINS1_20WarpSortHelperConfigILj16ELj8ELj256EEEllLi256ELb1EvE4sortIPKlPlS8_S9_EEvT_T0_T1_T2_jjjjRNS5_12storage_typeE@rel32@lo+12
	s_wait_alu 0xfffe
	s_add_co_ci_u32 s1, s1, _ZN7rocprim17ROCPRIM_400000_NS6detail26segmented_warp_sort_helperINS1_20WarpSortHelperConfigILj16ELj8ELj256EEEllLi256ELb1EvE4sortIPKlPlS8_S9_EEvT_T0_T1_T2_jjjjRNS5_12storage_typeE@rel32@hi+24
	s_mov_b64 s[8:9], s[22:23]
	s_wait_alu 0xfffe
	s_swappc_b64 s[30:31], s[0:1]
.LBB720_6:
	s_endpgm
	.section	.rodata,"a",@progbits
	.p2align	6, 0x0
	.amdhsa_kernel _ZN7rocprim17ROCPRIM_400000_NS6detail17trampoline_kernelINS0_14default_configENS1_36segmented_radix_sort_config_selectorIllEEZNS1_25segmented_radix_sort_implIS3_Lb1EPKlPlS8_S9_N2at6native12_GLOBAL__N_18offset_tEEE10hipError_tPvRmT1_PNSt15iterator_traitsISH_E10value_typeET2_T3_PNSI_ISN_E10value_typeET4_jRbjT5_ST_jjP12ihipStream_tbEUlT_E0_NS1_11comp_targetILNS1_3genE10ELNS1_11target_archE1201ELNS1_3gpuE5ELNS1_3repE0EEENS1_60segmented_radix_sort_warp_sort_medium_config_static_selectorELNS0_4arch9wavefront6targetE0EEEvSH_
		.amdhsa_group_segment_fixed_size 32768
		.amdhsa_private_segment_fixed_size 0
		.amdhsa_kernarg_size 344
		.amdhsa_user_sgpr_count 2
		.amdhsa_user_sgpr_dispatch_ptr 0
		.amdhsa_user_sgpr_queue_ptr 0
		.amdhsa_user_sgpr_kernarg_segment_ptr 1
		.amdhsa_user_sgpr_dispatch_id 0
		.amdhsa_user_sgpr_private_segment_size 0
		.amdhsa_wavefront_size32 1
		.amdhsa_uses_dynamic_stack 0
		.amdhsa_enable_private_segment 0
		.amdhsa_system_sgpr_workgroup_id_x 1
		.amdhsa_system_sgpr_workgroup_id_y 1
		.amdhsa_system_sgpr_workgroup_id_z 0
		.amdhsa_system_sgpr_workgroup_info 0
		.amdhsa_system_vgpr_workitem_id 2
		.amdhsa_next_free_vgpr 169
		.amdhsa_next_free_sgpr 44
		.amdhsa_reserve_vcc 1
		.amdhsa_float_round_mode_32 0
		.amdhsa_float_round_mode_16_64 0
		.amdhsa_float_denorm_mode_32 3
		.amdhsa_float_denorm_mode_16_64 3
		.amdhsa_fp16_overflow 0
		.amdhsa_workgroup_processor_mode 1
		.amdhsa_memory_ordered 1
		.amdhsa_forward_progress 1
		.amdhsa_inst_pref_size 4
		.amdhsa_round_robin_scheduling 0
		.amdhsa_exception_fp_ieee_invalid_op 0
		.amdhsa_exception_fp_denorm_src 0
		.amdhsa_exception_fp_ieee_div_zero 0
		.amdhsa_exception_fp_ieee_overflow 0
		.amdhsa_exception_fp_ieee_underflow 0
		.amdhsa_exception_fp_ieee_inexact 0
		.amdhsa_exception_int_div_zero 0
	.end_amdhsa_kernel
	.section	.text._ZN7rocprim17ROCPRIM_400000_NS6detail17trampoline_kernelINS0_14default_configENS1_36segmented_radix_sort_config_selectorIllEEZNS1_25segmented_radix_sort_implIS3_Lb1EPKlPlS8_S9_N2at6native12_GLOBAL__N_18offset_tEEE10hipError_tPvRmT1_PNSt15iterator_traitsISH_E10value_typeET2_T3_PNSI_ISN_E10value_typeET4_jRbjT5_ST_jjP12ihipStream_tbEUlT_E0_NS1_11comp_targetILNS1_3genE10ELNS1_11target_archE1201ELNS1_3gpuE5ELNS1_3repE0EEENS1_60segmented_radix_sort_warp_sort_medium_config_static_selectorELNS0_4arch9wavefront6targetE0EEEvSH_,"axG",@progbits,_ZN7rocprim17ROCPRIM_400000_NS6detail17trampoline_kernelINS0_14default_configENS1_36segmented_radix_sort_config_selectorIllEEZNS1_25segmented_radix_sort_implIS3_Lb1EPKlPlS8_S9_N2at6native12_GLOBAL__N_18offset_tEEE10hipError_tPvRmT1_PNSt15iterator_traitsISH_E10value_typeET2_T3_PNSI_ISN_E10value_typeET4_jRbjT5_ST_jjP12ihipStream_tbEUlT_E0_NS1_11comp_targetILNS1_3genE10ELNS1_11target_archE1201ELNS1_3gpuE5ELNS1_3repE0EEENS1_60segmented_radix_sort_warp_sort_medium_config_static_selectorELNS0_4arch9wavefront6targetE0EEEvSH_,comdat
.Lfunc_end720:
	.size	_ZN7rocprim17ROCPRIM_400000_NS6detail17trampoline_kernelINS0_14default_configENS1_36segmented_radix_sort_config_selectorIllEEZNS1_25segmented_radix_sort_implIS3_Lb1EPKlPlS8_S9_N2at6native12_GLOBAL__N_18offset_tEEE10hipError_tPvRmT1_PNSt15iterator_traitsISH_E10value_typeET2_T3_PNSI_ISN_E10value_typeET4_jRbjT5_ST_jjP12ihipStream_tbEUlT_E0_NS1_11comp_targetILNS1_3genE10ELNS1_11target_archE1201ELNS1_3gpuE5ELNS1_3repE0EEENS1_60segmented_radix_sort_warp_sort_medium_config_static_selectorELNS0_4arch9wavefront6targetE0EEEvSH_, .Lfunc_end720-_ZN7rocprim17ROCPRIM_400000_NS6detail17trampoline_kernelINS0_14default_configENS1_36segmented_radix_sort_config_selectorIllEEZNS1_25segmented_radix_sort_implIS3_Lb1EPKlPlS8_S9_N2at6native12_GLOBAL__N_18offset_tEEE10hipError_tPvRmT1_PNSt15iterator_traitsISH_E10value_typeET2_T3_PNSI_ISN_E10value_typeET4_jRbjT5_ST_jjP12ihipStream_tbEUlT_E0_NS1_11comp_targetILNS1_3genE10ELNS1_11target_archE1201ELNS1_3gpuE5ELNS1_3repE0EEENS1_60segmented_radix_sort_warp_sort_medium_config_static_selectorELNS0_4arch9wavefront6targetE0EEEvSH_
                                        ; -- End function
	.set _ZN7rocprim17ROCPRIM_400000_NS6detail17trampoline_kernelINS0_14default_configENS1_36segmented_radix_sort_config_selectorIllEEZNS1_25segmented_radix_sort_implIS3_Lb1EPKlPlS8_S9_N2at6native12_GLOBAL__N_18offset_tEEE10hipError_tPvRmT1_PNSt15iterator_traitsISH_E10value_typeET2_T3_PNSI_ISN_E10value_typeET4_jRbjT5_ST_jjP12ihipStream_tbEUlT_E0_NS1_11comp_targetILNS1_3genE10ELNS1_11target_archE1201ELNS1_3gpuE5ELNS1_3repE0EEENS1_60segmented_radix_sort_warp_sort_medium_config_static_selectorELNS0_4arch9wavefront6targetE0EEEvSH_.num_vgpr, max(43, .L_ZN7rocprim17ROCPRIM_400000_NS6detail26segmented_warp_sort_helperINS1_20WarpSortHelperConfigILj16ELj8ELj256EEEllLi256ELb1EvE4sortIPKlPlS8_S9_EEvT_T0_T1_T2_jjjjRNS5_12storage_typeE.num_vgpr)
	.set _ZN7rocprim17ROCPRIM_400000_NS6detail17trampoline_kernelINS0_14default_configENS1_36segmented_radix_sort_config_selectorIllEEZNS1_25segmented_radix_sort_implIS3_Lb1EPKlPlS8_S9_N2at6native12_GLOBAL__N_18offset_tEEE10hipError_tPvRmT1_PNSt15iterator_traitsISH_E10value_typeET2_T3_PNSI_ISN_E10value_typeET4_jRbjT5_ST_jjP12ihipStream_tbEUlT_E0_NS1_11comp_targetILNS1_3genE10ELNS1_11target_archE1201ELNS1_3gpuE5ELNS1_3repE0EEENS1_60segmented_radix_sort_warp_sort_medium_config_static_selectorELNS0_4arch9wavefront6targetE0EEEvSH_.num_agpr, max(0, .L_ZN7rocprim17ROCPRIM_400000_NS6detail26segmented_warp_sort_helperINS1_20WarpSortHelperConfigILj16ELj8ELj256EEEllLi256ELb1EvE4sortIPKlPlS8_S9_EEvT_T0_T1_T2_jjjjRNS5_12storage_typeE.num_agpr)
	.set _ZN7rocprim17ROCPRIM_400000_NS6detail17trampoline_kernelINS0_14default_configENS1_36segmented_radix_sort_config_selectorIllEEZNS1_25segmented_radix_sort_implIS3_Lb1EPKlPlS8_S9_N2at6native12_GLOBAL__N_18offset_tEEE10hipError_tPvRmT1_PNSt15iterator_traitsISH_E10value_typeET2_T3_PNSI_ISN_E10value_typeET4_jRbjT5_ST_jjP12ihipStream_tbEUlT_E0_NS1_11comp_targetILNS1_3genE10ELNS1_11target_archE1201ELNS1_3gpuE5ELNS1_3repE0EEENS1_60segmented_radix_sort_warp_sort_medium_config_static_selectorELNS0_4arch9wavefront6targetE0EEEvSH_.numbered_sgpr, max(44, .L_ZN7rocprim17ROCPRIM_400000_NS6detail26segmented_warp_sort_helperINS1_20WarpSortHelperConfigILj16ELj8ELj256EEEllLi256ELb1EvE4sortIPKlPlS8_S9_EEvT_T0_T1_T2_jjjjRNS5_12storage_typeE.numbered_sgpr)
	.set _ZN7rocprim17ROCPRIM_400000_NS6detail17trampoline_kernelINS0_14default_configENS1_36segmented_radix_sort_config_selectorIllEEZNS1_25segmented_radix_sort_implIS3_Lb1EPKlPlS8_S9_N2at6native12_GLOBAL__N_18offset_tEEE10hipError_tPvRmT1_PNSt15iterator_traitsISH_E10value_typeET2_T3_PNSI_ISN_E10value_typeET4_jRbjT5_ST_jjP12ihipStream_tbEUlT_E0_NS1_11comp_targetILNS1_3genE10ELNS1_11target_archE1201ELNS1_3gpuE5ELNS1_3repE0EEENS1_60segmented_radix_sort_warp_sort_medium_config_static_selectorELNS0_4arch9wavefront6targetE0EEEvSH_.num_named_barrier, max(0, .L_ZN7rocprim17ROCPRIM_400000_NS6detail26segmented_warp_sort_helperINS1_20WarpSortHelperConfigILj16ELj8ELj256EEEllLi256ELb1EvE4sortIPKlPlS8_S9_EEvT_T0_T1_T2_jjjjRNS5_12storage_typeE.num_named_barrier)
	.set _ZN7rocprim17ROCPRIM_400000_NS6detail17trampoline_kernelINS0_14default_configENS1_36segmented_radix_sort_config_selectorIllEEZNS1_25segmented_radix_sort_implIS3_Lb1EPKlPlS8_S9_N2at6native12_GLOBAL__N_18offset_tEEE10hipError_tPvRmT1_PNSt15iterator_traitsISH_E10value_typeET2_T3_PNSI_ISN_E10value_typeET4_jRbjT5_ST_jjP12ihipStream_tbEUlT_E0_NS1_11comp_targetILNS1_3genE10ELNS1_11target_archE1201ELNS1_3gpuE5ELNS1_3repE0EEENS1_60segmented_radix_sort_warp_sort_medium_config_static_selectorELNS0_4arch9wavefront6targetE0EEEvSH_.private_seg_size, 0+max(.L_ZN7rocprim17ROCPRIM_400000_NS6detail26segmented_warp_sort_helperINS1_20WarpSortHelperConfigILj16ELj8ELj256EEEllLi256ELb1EvE4sortIPKlPlS8_S9_EEvT_T0_T1_T2_jjjjRNS5_12storage_typeE.private_seg_size)
	.set _ZN7rocprim17ROCPRIM_400000_NS6detail17trampoline_kernelINS0_14default_configENS1_36segmented_radix_sort_config_selectorIllEEZNS1_25segmented_radix_sort_implIS3_Lb1EPKlPlS8_S9_N2at6native12_GLOBAL__N_18offset_tEEE10hipError_tPvRmT1_PNSt15iterator_traitsISH_E10value_typeET2_T3_PNSI_ISN_E10value_typeET4_jRbjT5_ST_jjP12ihipStream_tbEUlT_E0_NS1_11comp_targetILNS1_3genE10ELNS1_11target_archE1201ELNS1_3gpuE5ELNS1_3repE0EEENS1_60segmented_radix_sort_warp_sort_medium_config_static_selectorELNS0_4arch9wavefront6targetE0EEEvSH_.uses_vcc, or(1, .L_ZN7rocprim17ROCPRIM_400000_NS6detail26segmented_warp_sort_helperINS1_20WarpSortHelperConfigILj16ELj8ELj256EEEllLi256ELb1EvE4sortIPKlPlS8_S9_EEvT_T0_T1_T2_jjjjRNS5_12storage_typeE.uses_vcc)
	.set _ZN7rocprim17ROCPRIM_400000_NS6detail17trampoline_kernelINS0_14default_configENS1_36segmented_radix_sort_config_selectorIllEEZNS1_25segmented_radix_sort_implIS3_Lb1EPKlPlS8_S9_N2at6native12_GLOBAL__N_18offset_tEEE10hipError_tPvRmT1_PNSt15iterator_traitsISH_E10value_typeET2_T3_PNSI_ISN_E10value_typeET4_jRbjT5_ST_jjP12ihipStream_tbEUlT_E0_NS1_11comp_targetILNS1_3genE10ELNS1_11target_archE1201ELNS1_3gpuE5ELNS1_3repE0EEENS1_60segmented_radix_sort_warp_sort_medium_config_static_selectorELNS0_4arch9wavefront6targetE0EEEvSH_.uses_flat_scratch, or(0, .L_ZN7rocprim17ROCPRIM_400000_NS6detail26segmented_warp_sort_helperINS1_20WarpSortHelperConfigILj16ELj8ELj256EEEllLi256ELb1EvE4sortIPKlPlS8_S9_EEvT_T0_T1_T2_jjjjRNS5_12storage_typeE.uses_flat_scratch)
	.set _ZN7rocprim17ROCPRIM_400000_NS6detail17trampoline_kernelINS0_14default_configENS1_36segmented_radix_sort_config_selectorIllEEZNS1_25segmented_radix_sort_implIS3_Lb1EPKlPlS8_S9_N2at6native12_GLOBAL__N_18offset_tEEE10hipError_tPvRmT1_PNSt15iterator_traitsISH_E10value_typeET2_T3_PNSI_ISN_E10value_typeET4_jRbjT5_ST_jjP12ihipStream_tbEUlT_E0_NS1_11comp_targetILNS1_3genE10ELNS1_11target_archE1201ELNS1_3gpuE5ELNS1_3repE0EEENS1_60segmented_radix_sort_warp_sort_medium_config_static_selectorELNS0_4arch9wavefront6targetE0EEEvSH_.has_dyn_sized_stack, or(0, .L_ZN7rocprim17ROCPRIM_400000_NS6detail26segmented_warp_sort_helperINS1_20WarpSortHelperConfigILj16ELj8ELj256EEEllLi256ELb1EvE4sortIPKlPlS8_S9_EEvT_T0_T1_T2_jjjjRNS5_12storage_typeE.has_dyn_sized_stack)
	.set _ZN7rocprim17ROCPRIM_400000_NS6detail17trampoline_kernelINS0_14default_configENS1_36segmented_radix_sort_config_selectorIllEEZNS1_25segmented_radix_sort_implIS3_Lb1EPKlPlS8_S9_N2at6native12_GLOBAL__N_18offset_tEEE10hipError_tPvRmT1_PNSt15iterator_traitsISH_E10value_typeET2_T3_PNSI_ISN_E10value_typeET4_jRbjT5_ST_jjP12ihipStream_tbEUlT_E0_NS1_11comp_targetILNS1_3genE10ELNS1_11target_archE1201ELNS1_3gpuE5ELNS1_3repE0EEENS1_60segmented_radix_sort_warp_sort_medium_config_static_selectorELNS0_4arch9wavefront6targetE0EEEvSH_.has_recursion, or(0, .L_ZN7rocprim17ROCPRIM_400000_NS6detail26segmented_warp_sort_helperINS1_20WarpSortHelperConfigILj16ELj8ELj256EEEllLi256ELb1EvE4sortIPKlPlS8_S9_EEvT_T0_T1_T2_jjjjRNS5_12storage_typeE.has_recursion)
	.set _ZN7rocprim17ROCPRIM_400000_NS6detail17trampoline_kernelINS0_14default_configENS1_36segmented_radix_sort_config_selectorIllEEZNS1_25segmented_radix_sort_implIS3_Lb1EPKlPlS8_S9_N2at6native12_GLOBAL__N_18offset_tEEE10hipError_tPvRmT1_PNSt15iterator_traitsISH_E10value_typeET2_T3_PNSI_ISN_E10value_typeET4_jRbjT5_ST_jjP12ihipStream_tbEUlT_E0_NS1_11comp_targetILNS1_3genE10ELNS1_11target_archE1201ELNS1_3gpuE5ELNS1_3repE0EEENS1_60segmented_radix_sort_warp_sort_medium_config_static_selectorELNS0_4arch9wavefront6targetE0EEEvSH_.has_indirect_call, or(0, .L_ZN7rocprim17ROCPRIM_400000_NS6detail26segmented_warp_sort_helperINS1_20WarpSortHelperConfigILj16ELj8ELj256EEEllLi256ELb1EvE4sortIPKlPlS8_S9_EEvT_T0_T1_T2_jjjjRNS5_12storage_typeE.has_indirect_call)
	.section	.AMDGPU.csdata,"",@progbits
; Kernel info:
; codeLenInByte = 512
; TotalNumSgprs: 46
; NumVgprs: 102
; ScratchSize: 0
; MemoryBound: 0
; FloatMode: 240
; IeeeMode: 1
; LDSByteSize: 32768 bytes/workgroup (compile time only)
; SGPRBlocks: 0
; VGPRBlocks: 21
; NumSGPRsForWavesPerEU: 46
; NumVGPRsForWavesPerEU: 169
; Occupancy: 8
; WaveLimiterHint : 0
; COMPUTE_PGM_RSRC2:SCRATCH_EN: 0
; COMPUTE_PGM_RSRC2:USER_SGPR: 2
; COMPUTE_PGM_RSRC2:TRAP_HANDLER: 0
; COMPUTE_PGM_RSRC2:TGID_X_EN: 1
; COMPUTE_PGM_RSRC2:TGID_Y_EN: 1
; COMPUTE_PGM_RSRC2:TGID_Z_EN: 0
; COMPUTE_PGM_RSRC2:TIDIG_COMP_CNT: 2
	.section	.text._ZN7rocprim17ROCPRIM_400000_NS6detail17trampoline_kernelINS0_14default_configENS1_36segmented_radix_sort_config_selectorIllEEZNS1_25segmented_radix_sort_implIS3_Lb1EPKlPlS8_S9_N2at6native12_GLOBAL__N_18offset_tEEE10hipError_tPvRmT1_PNSt15iterator_traitsISH_E10value_typeET2_T3_PNSI_ISN_E10value_typeET4_jRbjT5_ST_jjP12ihipStream_tbEUlT_E0_NS1_11comp_targetILNS1_3genE10ELNS1_11target_archE1200ELNS1_3gpuE4ELNS1_3repE0EEENS1_60segmented_radix_sort_warp_sort_medium_config_static_selectorELNS0_4arch9wavefront6targetE0EEEvSH_,"axG",@progbits,_ZN7rocprim17ROCPRIM_400000_NS6detail17trampoline_kernelINS0_14default_configENS1_36segmented_radix_sort_config_selectorIllEEZNS1_25segmented_radix_sort_implIS3_Lb1EPKlPlS8_S9_N2at6native12_GLOBAL__N_18offset_tEEE10hipError_tPvRmT1_PNSt15iterator_traitsISH_E10value_typeET2_T3_PNSI_ISN_E10value_typeET4_jRbjT5_ST_jjP12ihipStream_tbEUlT_E0_NS1_11comp_targetILNS1_3genE10ELNS1_11target_archE1200ELNS1_3gpuE4ELNS1_3repE0EEENS1_60segmented_radix_sort_warp_sort_medium_config_static_selectorELNS0_4arch9wavefront6targetE0EEEvSH_,comdat
	.globl	_ZN7rocprim17ROCPRIM_400000_NS6detail17trampoline_kernelINS0_14default_configENS1_36segmented_radix_sort_config_selectorIllEEZNS1_25segmented_radix_sort_implIS3_Lb1EPKlPlS8_S9_N2at6native12_GLOBAL__N_18offset_tEEE10hipError_tPvRmT1_PNSt15iterator_traitsISH_E10value_typeET2_T3_PNSI_ISN_E10value_typeET4_jRbjT5_ST_jjP12ihipStream_tbEUlT_E0_NS1_11comp_targetILNS1_3genE10ELNS1_11target_archE1200ELNS1_3gpuE4ELNS1_3repE0EEENS1_60segmented_radix_sort_warp_sort_medium_config_static_selectorELNS0_4arch9wavefront6targetE0EEEvSH_ ; -- Begin function _ZN7rocprim17ROCPRIM_400000_NS6detail17trampoline_kernelINS0_14default_configENS1_36segmented_radix_sort_config_selectorIllEEZNS1_25segmented_radix_sort_implIS3_Lb1EPKlPlS8_S9_N2at6native12_GLOBAL__N_18offset_tEEE10hipError_tPvRmT1_PNSt15iterator_traitsISH_E10value_typeET2_T3_PNSI_ISN_E10value_typeET4_jRbjT5_ST_jjP12ihipStream_tbEUlT_E0_NS1_11comp_targetILNS1_3genE10ELNS1_11target_archE1200ELNS1_3gpuE4ELNS1_3repE0EEENS1_60segmented_radix_sort_warp_sort_medium_config_static_selectorELNS0_4arch9wavefront6targetE0EEEvSH_
	.p2align	8
	.type	_ZN7rocprim17ROCPRIM_400000_NS6detail17trampoline_kernelINS0_14default_configENS1_36segmented_radix_sort_config_selectorIllEEZNS1_25segmented_radix_sort_implIS3_Lb1EPKlPlS8_S9_N2at6native12_GLOBAL__N_18offset_tEEE10hipError_tPvRmT1_PNSt15iterator_traitsISH_E10value_typeET2_T3_PNSI_ISN_E10value_typeET4_jRbjT5_ST_jjP12ihipStream_tbEUlT_E0_NS1_11comp_targetILNS1_3genE10ELNS1_11target_archE1200ELNS1_3gpuE4ELNS1_3repE0EEENS1_60segmented_radix_sort_warp_sort_medium_config_static_selectorELNS0_4arch9wavefront6targetE0EEEvSH_,@function
_ZN7rocprim17ROCPRIM_400000_NS6detail17trampoline_kernelINS0_14default_configENS1_36segmented_radix_sort_config_selectorIllEEZNS1_25segmented_radix_sort_implIS3_Lb1EPKlPlS8_S9_N2at6native12_GLOBAL__N_18offset_tEEE10hipError_tPvRmT1_PNSt15iterator_traitsISH_E10value_typeET2_T3_PNSI_ISN_E10value_typeET4_jRbjT5_ST_jjP12ihipStream_tbEUlT_E0_NS1_11comp_targetILNS1_3genE10ELNS1_11target_archE1200ELNS1_3gpuE4ELNS1_3repE0EEENS1_60segmented_radix_sort_warp_sort_medium_config_static_selectorELNS0_4arch9wavefront6targetE0EEEvSH_: ; @_ZN7rocprim17ROCPRIM_400000_NS6detail17trampoline_kernelINS0_14default_configENS1_36segmented_radix_sort_config_selectorIllEEZNS1_25segmented_radix_sort_implIS3_Lb1EPKlPlS8_S9_N2at6native12_GLOBAL__N_18offset_tEEE10hipError_tPvRmT1_PNSt15iterator_traitsISH_E10value_typeET2_T3_PNSI_ISN_E10value_typeET4_jRbjT5_ST_jjP12ihipStream_tbEUlT_E0_NS1_11comp_targetILNS1_3genE10ELNS1_11target_archE1200ELNS1_3gpuE4ELNS1_3repE0EEENS1_60segmented_radix_sort_warp_sort_medium_config_static_selectorELNS0_4arch9wavefront6targetE0EEEvSH_
; %bb.0:
	.section	.rodata,"a",@progbits
	.p2align	6, 0x0
	.amdhsa_kernel _ZN7rocprim17ROCPRIM_400000_NS6detail17trampoline_kernelINS0_14default_configENS1_36segmented_radix_sort_config_selectorIllEEZNS1_25segmented_radix_sort_implIS3_Lb1EPKlPlS8_S9_N2at6native12_GLOBAL__N_18offset_tEEE10hipError_tPvRmT1_PNSt15iterator_traitsISH_E10value_typeET2_T3_PNSI_ISN_E10value_typeET4_jRbjT5_ST_jjP12ihipStream_tbEUlT_E0_NS1_11comp_targetILNS1_3genE10ELNS1_11target_archE1200ELNS1_3gpuE4ELNS1_3repE0EEENS1_60segmented_radix_sort_warp_sort_medium_config_static_selectorELNS0_4arch9wavefront6targetE0EEEvSH_
		.amdhsa_group_segment_fixed_size 0
		.amdhsa_private_segment_fixed_size 0
		.amdhsa_kernarg_size 88
		.amdhsa_user_sgpr_count 2
		.amdhsa_user_sgpr_dispatch_ptr 0
		.amdhsa_user_sgpr_queue_ptr 0
		.amdhsa_user_sgpr_kernarg_segment_ptr 1
		.amdhsa_user_sgpr_dispatch_id 0
		.amdhsa_user_sgpr_private_segment_size 0
		.amdhsa_wavefront_size32 1
		.amdhsa_uses_dynamic_stack 0
		.amdhsa_enable_private_segment 0
		.amdhsa_system_sgpr_workgroup_id_x 1
		.amdhsa_system_sgpr_workgroup_id_y 0
		.amdhsa_system_sgpr_workgroup_id_z 0
		.amdhsa_system_sgpr_workgroup_info 0
		.amdhsa_system_vgpr_workitem_id 0
		.amdhsa_next_free_vgpr 1
		.amdhsa_next_free_sgpr 1
		.amdhsa_reserve_vcc 0
		.amdhsa_float_round_mode_32 0
		.amdhsa_float_round_mode_16_64 0
		.amdhsa_float_denorm_mode_32 3
		.amdhsa_float_denorm_mode_16_64 3
		.amdhsa_fp16_overflow 0
		.amdhsa_workgroup_processor_mode 1
		.amdhsa_memory_ordered 1
		.amdhsa_forward_progress 1
		.amdhsa_inst_pref_size 0
		.amdhsa_round_robin_scheduling 0
		.amdhsa_exception_fp_ieee_invalid_op 0
		.amdhsa_exception_fp_denorm_src 0
		.amdhsa_exception_fp_ieee_div_zero 0
		.amdhsa_exception_fp_ieee_overflow 0
		.amdhsa_exception_fp_ieee_underflow 0
		.amdhsa_exception_fp_ieee_inexact 0
		.amdhsa_exception_int_div_zero 0
	.end_amdhsa_kernel
	.section	.text._ZN7rocprim17ROCPRIM_400000_NS6detail17trampoline_kernelINS0_14default_configENS1_36segmented_radix_sort_config_selectorIllEEZNS1_25segmented_radix_sort_implIS3_Lb1EPKlPlS8_S9_N2at6native12_GLOBAL__N_18offset_tEEE10hipError_tPvRmT1_PNSt15iterator_traitsISH_E10value_typeET2_T3_PNSI_ISN_E10value_typeET4_jRbjT5_ST_jjP12ihipStream_tbEUlT_E0_NS1_11comp_targetILNS1_3genE10ELNS1_11target_archE1200ELNS1_3gpuE4ELNS1_3repE0EEENS1_60segmented_radix_sort_warp_sort_medium_config_static_selectorELNS0_4arch9wavefront6targetE0EEEvSH_,"axG",@progbits,_ZN7rocprim17ROCPRIM_400000_NS6detail17trampoline_kernelINS0_14default_configENS1_36segmented_radix_sort_config_selectorIllEEZNS1_25segmented_radix_sort_implIS3_Lb1EPKlPlS8_S9_N2at6native12_GLOBAL__N_18offset_tEEE10hipError_tPvRmT1_PNSt15iterator_traitsISH_E10value_typeET2_T3_PNSI_ISN_E10value_typeET4_jRbjT5_ST_jjP12ihipStream_tbEUlT_E0_NS1_11comp_targetILNS1_3genE10ELNS1_11target_archE1200ELNS1_3gpuE4ELNS1_3repE0EEENS1_60segmented_radix_sort_warp_sort_medium_config_static_selectorELNS0_4arch9wavefront6targetE0EEEvSH_,comdat
.Lfunc_end721:
	.size	_ZN7rocprim17ROCPRIM_400000_NS6detail17trampoline_kernelINS0_14default_configENS1_36segmented_radix_sort_config_selectorIllEEZNS1_25segmented_radix_sort_implIS3_Lb1EPKlPlS8_S9_N2at6native12_GLOBAL__N_18offset_tEEE10hipError_tPvRmT1_PNSt15iterator_traitsISH_E10value_typeET2_T3_PNSI_ISN_E10value_typeET4_jRbjT5_ST_jjP12ihipStream_tbEUlT_E0_NS1_11comp_targetILNS1_3genE10ELNS1_11target_archE1200ELNS1_3gpuE4ELNS1_3repE0EEENS1_60segmented_radix_sort_warp_sort_medium_config_static_selectorELNS0_4arch9wavefront6targetE0EEEvSH_, .Lfunc_end721-_ZN7rocprim17ROCPRIM_400000_NS6detail17trampoline_kernelINS0_14default_configENS1_36segmented_radix_sort_config_selectorIllEEZNS1_25segmented_radix_sort_implIS3_Lb1EPKlPlS8_S9_N2at6native12_GLOBAL__N_18offset_tEEE10hipError_tPvRmT1_PNSt15iterator_traitsISH_E10value_typeET2_T3_PNSI_ISN_E10value_typeET4_jRbjT5_ST_jjP12ihipStream_tbEUlT_E0_NS1_11comp_targetILNS1_3genE10ELNS1_11target_archE1200ELNS1_3gpuE4ELNS1_3repE0EEENS1_60segmented_radix_sort_warp_sort_medium_config_static_selectorELNS0_4arch9wavefront6targetE0EEEvSH_
                                        ; -- End function
	.set _ZN7rocprim17ROCPRIM_400000_NS6detail17trampoline_kernelINS0_14default_configENS1_36segmented_radix_sort_config_selectorIllEEZNS1_25segmented_radix_sort_implIS3_Lb1EPKlPlS8_S9_N2at6native12_GLOBAL__N_18offset_tEEE10hipError_tPvRmT1_PNSt15iterator_traitsISH_E10value_typeET2_T3_PNSI_ISN_E10value_typeET4_jRbjT5_ST_jjP12ihipStream_tbEUlT_E0_NS1_11comp_targetILNS1_3genE10ELNS1_11target_archE1200ELNS1_3gpuE4ELNS1_3repE0EEENS1_60segmented_radix_sort_warp_sort_medium_config_static_selectorELNS0_4arch9wavefront6targetE0EEEvSH_.num_vgpr, 0
	.set _ZN7rocprim17ROCPRIM_400000_NS6detail17trampoline_kernelINS0_14default_configENS1_36segmented_radix_sort_config_selectorIllEEZNS1_25segmented_radix_sort_implIS3_Lb1EPKlPlS8_S9_N2at6native12_GLOBAL__N_18offset_tEEE10hipError_tPvRmT1_PNSt15iterator_traitsISH_E10value_typeET2_T3_PNSI_ISN_E10value_typeET4_jRbjT5_ST_jjP12ihipStream_tbEUlT_E0_NS1_11comp_targetILNS1_3genE10ELNS1_11target_archE1200ELNS1_3gpuE4ELNS1_3repE0EEENS1_60segmented_radix_sort_warp_sort_medium_config_static_selectorELNS0_4arch9wavefront6targetE0EEEvSH_.num_agpr, 0
	.set _ZN7rocprim17ROCPRIM_400000_NS6detail17trampoline_kernelINS0_14default_configENS1_36segmented_radix_sort_config_selectorIllEEZNS1_25segmented_radix_sort_implIS3_Lb1EPKlPlS8_S9_N2at6native12_GLOBAL__N_18offset_tEEE10hipError_tPvRmT1_PNSt15iterator_traitsISH_E10value_typeET2_T3_PNSI_ISN_E10value_typeET4_jRbjT5_ST_jjP12ihipStream_tbEUlT_E0_NS1_11comp_targetILNS1_3genE10ELNS1_11target_archE1200ELNS1_3gpuE4ELNS1_3repE0EEENS1_60segmented_radix_sort_warp_sort_medium_config_static_selectorELNS0_4arch9wavefront6targetE0EEEvSH_.numbered_sgpr, 0
	.set _ZN7rocprim17ROCPRIM_400000_NS6detail17trampoline_kernelINS0_14default_configENS1_36segmented_radix_sort_config_selectorIllEEZNS1_25segmented_radix_sort_implIS3_Lb1EPKlPlS8_S9_N2at6native12_GLOBAL__N_18offset_tEEE10hipError_tPvRmT1_PNSt15iterator_traitsISH_E10value_typeET2_T3_PNSI_ISN_E10value_typeET4_jRbjT5_ST_jjP12ihipStream_tbEUlT_E0_NS1_11comp_targetILNS1_3genE10ELNS1_11target_archE1200ELNS1_3gpuE4ELNS1_3repE0EEENS1_60segmented_radix_sort_warp_sort_medium_config_static_selectorELNS0_4arch9wavefront6targetE0EEEvSH_.num_named_barrier, 0
	.set _ZN7rocprim17ROCPRIM_400000_NS6detail17trampoline_kernelINS0_14default_configENS1_36segmented_radix_sort_config_selectorIllEEZNS1_25segmented_radix_sort_implIS3_Lb1EPKlPlS8_S9_N2at6native12_GLOBAL__N_18offset_tEEE10hipError_tPvRmT1_PNSt15iterator_traitsISH_E10value_typeET2_T3_PNSI_ISN_E10value_typeET4_jRbjT5_ST_jjP12ihipStream_tbEUlT_E0_NS1_11comp_targetILNS1_3genE10ELNS1_11target_archE1200ELNS1_3gpuE4ELNS1_3repE0EEENS1_60segmented_radix_sort_warp_sort_medium_config_static_selectorELNS0_4arch9wavefront6targetE0EEEvSH_.private_seg_size, 0
	.set _ZN7rocprim17ROCPRIM_400000_NS6detail17trampoline_kernelINS0_14default_configENS1_36segmented_radix_sort_config_selectorIllEEZNS1_25segmented_radix_sort_implIS3_Lb1EPKlPlS8_S9_N2at6native12_GLOBAL__N_18offset_tEEE10hipError_tPvRmT1_PNSt15iterator_traitsISH_E10value_typeET2_T3_PNSI_ISN_E10value_typeET4_jRbjT5_ST_jjP12ihipStream_tbEUlT_E0_NS1_11comp_targetILNS1_3genE10ELNS1_11target_archE1200ELNS1_3gpuE4ELNS1_3repE0EEENS1_60segmented_radix_sort_warp_sort_medium_config_static_selectorELNS0_4arch9wavefront6targetE0EEEvSH_.uses_vcc, 0
	.set _ZN7rocprim17ROCPRIM_400000_NS6detail17trampoline_kernelINS0_14default_configENS1_36segmented_radix_sort_config_selectorIllEEZNS1_25segmented_radix_sort_implIS3_Lb1EPKlPlS8_S9_N2at6native12_GLOBAL__N_18offset_tEEE10hipError_tPvRmT1_PNSt15iterator_traitsISH_E10value_typeET2_T3_PNSI_ISN_E10value_typeET4_jRbjT5_ST_jjP12ihipStream_tbEUlT_E0_NS1_11comp_targetILNS1_3genE10ELNS1_11target_archE1200ELNS1_3gpuE4ELNS1_3repE0EEENS1_60segmented_radix_sort_warp_sort_medium_config_static_selectorELNS0_4arch9wavefront6targetE0EEEvSH_.uses_flat_scratch, 0
	.set _ZN7rocprim17ROCPRIM_400000_NS6detail17trampoline_kernelINS0_14default_configENS1_36segmented_radix_sort_config_selectorIllEEZNS1_25segmented_radix_sort_implIS3_Lb1EPKlPlS8_S9_N2at6native12_GLOBAL__N_18offset_tEEE10hipError_tPvRmT1_PNSt15iterator_traitsISH_E10value_typeET2_T3_PNSI_ISN_E10value_typeET4_jRbjT5_ST_jjP12ihipStream_tbEUlT_E0_NS1_11comp_targetILNS1_3genE10ELNS1_11target_archE1200ELNS1_3gpuE4ELNS1_3repE0EEENS1_60segmented_radix_sort_warp_sort_medium_config_static_selectorELNS0_4arch9wavefront6targetE0EEEvSH_.has_dyn_sized_stack, 0
	.set _ZN7rocprim17ROCPRIM_400000_NS6detail17trampoline_kernelINS0_14default_configENS1_36segmented_radix_sort_config_selectorIllEEZNS1_25segmented_radix_sort_implIS3_Lb1EPKlPlS8_S9_N2at6native12_GLOBAL__N_18offset_tEEE10hipError_tPvRmT1_PNSt15iterator_traitsISH_E10value_typeET2_T3_PNSI_ISN_E10value_typeET4_jRbjT5_ST_jjP12ihipStream_tbEUlT_E0_NS1_11comp_targetILNS1_3genE10ELNS1_11target_archE1200ELNS1_3gpuE4ELNS1_3repE0EEENS1_60segmented_radix_sort_warp_sort_medium_config_static_selectorELNS0_4arch9wavefront6targetE0EEEvSH_.has_recursion, 0
	.set _ZN7rocprim17ROCPRIM_400000_NS6detail17trampoline_kernelINS0_14default_configENS1_36segmented_radix_sort_config_selectorIllEEZNS1_25segmented_radix_sort_implIS3_Lb1EPKlPlS8_S9_N2at6native12_GLOBAL__N_18offset_tEEE10hipError_tPvRmT1_PNSt15iterator_traitsISH_E10value_typeET2_T3_PNSI_ISN_E10value_typeET4_jRbjT5_ST_jjP12ihipStream_tbEUlT_E0_NS1_11comp_targetILNS1_3genE10ELNS1_11target_archE1200ELNS1_3gpuE4ELNS1_3repE0EEENS1_60segmented_radix_sort_warp_sort_medium_config_static_selectorELNS0_4arch9wavefront6targetE0EEEvSH_.has_indirect_call, 0
	.section	.AMDGPU.csdata,"",@progbits
; Kernel info:
; codeLenInByte = 0
; TotalNumSgprs: 0
; NumVgprs: 0
; ScratchSize: 0
; MemoryBound: 0
; FloatMode: 240
; IeeeMode: 1
; LDSByteSize: 0 bytes/workgroup (compile time only)
; SGPRBlocks: 0
; VGPRBlocks: 0
; NumSGPRsForWavesPerEU: 1
; NumVGPRsForWavesPerEU: 1
; Occupancy: 16
; WaveLimiterHint : 0
; COMPUTE_PGM_RSRC2:SCRATCH_EN: 0
; COMPUTE_PGM_RSRC2:USER_SGPR: 2
; COMPUTE_PGM_RSRC2:TRAP_HANDLER: 0
; COMPUTE_PGM_RSRC2:TGID_X_EN: 1
; COMPUTE_PGM_RSRC2:TGID_Y_EN: 0
; COMPUTE_PGM_RSRC2:TGID_Z_EN: 0
; COMPUTE_PGM_RSRC2:TIDIG_COMP_CNT: 0
	.section	.text._ZN7rocprim17ROCPRIM_400000_NS6detail17trampoline_kernelINS0_14default_configENS1_36segmented_radix_sort_config_selectorIllEEZNS1_25segmented_radix_sort_implIS3_Lb1EPKlPlS8_S9_N2at6native12_GLOBAL__N_18offset_tEEE10hipError_tPvRmT1_PNSt15iterator_traitsISH_E10value_typeET2_T3_PNSI_ISN_E10value_typeET4_jRbjT5_ST_jjP12ihipStream_tbEUlT_E0_NS1_11comp_targetILNS1_3genE9ELNS1_11target_archE1100ELNS1_3gpuE3ELNS1_3repE0EEENS1_60segmented_radix_sort_warp_sort_medium_config_static_selectorELNS0_4arch9wavefront6targetE0EEEvSH_,"axG",@progbits,_ZN7rocprim17ROCPRIM_400000_NS6detail17trampoline_kernelINS0_14default_configENS1_36segmented_radix_sort_config_selectorIllEEZNS1_25segmented_radix_sort_implIS3_Lb1EPKlPlS8_S9_N2at6native12_GLOBAL__N_18offset_tEEE10hipError_tPvRmT1_PNSt15iterator_traitsISH_E10value_typeET2_T3_PNSI_ISN_E10value_typeET4_jRbjT5_ST_jjP12ihipStream_tbEUlT_E0_NS1_11comp_targetILNS1_3genE9ELNS1_11target_archE1100ELNS1_3gpuE3ELNS1_3repE0EEENS1_60segmented_radix_sort_warp_sort_medium_config_static_selectorELNS0_4arch9wavefront6targetE0EEEvSH_,comdat
	.globl	_ZN7rocprim17ROCPRIM_400000_NS6detail17trampoline_kernelINS0_14default_configENS1_36segmented_radix_sort_config_selectorIllEEZNS1_25segmented_radix_sort_implIS3_Lb1EPKlPlS8_S9_N2at6native12_GLOBAL__N_18offset_tEEE10hipError_tPvRmT1_PNSt15iterator_traitsISH_E10value_typeET2_T3_PNSI_ISN_E10value_typeET4_jRbjT5_ST_jjP12ihipStream_tbEUlT_E0_NS1_11comp_targetILNS1_3genE9ELNS1_11target_archE1100ELNS1_3gpuE3ELNS1_3repE0EEENS1_60segmented_radix_sort_warp_sort_medium_config_static_selectorELNS0_4arch9wavefront6targetE0EEEvSH_ ; -- Begin function _ZN7rocprim17ROCPRIM_400000_NS6detail17trampoline_kernelINS0_14default_configENS1_36segmented_radix_sort_config_selectorIllEEZNS1_25segmented_radix_sort_implIS3_Lb1EPKlPlS8_S9_N2at6native12_GLOBAL__N_18offset_tEEE10hipError_tPvRmT1_PNSt15iterator_traitsISH_E10value_typeET2_T3_PNSI_ISN_E10value_typeET4_jRbjT5_ST_jjP12ihipStream_tbEUlT_E0_NS1_11comp_targetILNS1_3genE9ELNS1_11target_archE1100ELNS1_3gpuE3ELNS1_3repE0EEENS1_60segmented_radix_sort_warp_sort_medium_config_static_selectorELNS0_4arch9wavefront6targetE0EEEvSH_
	.p2align	8
	.type	_ZN7rocprim17ROCPRIM_400000_NS6detail17trampoline_kernelINS0_14default_configENS1_36segmented_radix_sort_config_selectorIllEEZNS1_25segmented_radix_sort_implIS3_Lb1EPKlPlS8_S9_N2at6native12_GLOBAL__N_18offset_tEEE10hipError_tPvRmT1_PNSt15iterator_traitsISH_E10value_typeET2_T3_PNSI_ISN_E10value_typeET4_jRbjT5_ST_jjP12ihipStream_tbEUlT_E0_NS1_11comp_targetILNS1_3genE9ELNS1_11target_archE1100ELNS1_3gpuE3ELNS1_3repE0EEENS1_60segmented_radix_sort_warp_sort_medium_config_static_selectorELNS0_4arch9wavefront6targetE0EEEvSH_,@function
_ZN7rocprim17ROCPRIM_400000_NS6detail17trampoline_kernelINS0_14default_configENS1_36segmented_radix_sort_config_selectorIllEEZNS1_25segmented_radix_sort_implIS3_Lb1EPKlPlS8_S9_N2at6native12_GLOBAL__N_18offset_tEEE10hipError_tPvRmT1_PNSt15iterator_traitsISH_E10value_typeET2_T3_PNSI_ISN_E10value_typeET4_jRbjT5_ST_jjP12ihipStream_tbEUlT_E0_NS1_11comp_targetILNS1_3genE9ELNS1_11target_archE1100ELNS1_3gpuE3ELNS1_3repE0EEENS1_60segmented_radix_sort_warp_sort_medium_config_static_selectorELNS0_4arch9wavefront6targetE0EEEvSH_: ; @_ZN7rocprim17ROCPRIM_400000_NS6detail17trampoline_kernelINS0_14default_configENS1_36segmented_radix_sort_config_selectorIllEEZNS1_25segmented_radix_sort_implIS3_Lb1EPKlPlS8_S9_N2at6native12_GLOBAL__N_18offset_tEEE10hipError_tPvRmT1_PNSt15iterator_traitsISH_E10value_typeET2_T3_PNSI_ISN_E10value_typeET4_jRbjT5_ST_jjP12ihipStream_tbEUlT_E0_NS1_11comp_targetILNS1_3genE9ELNS1_11target_archE1100ELNS1_3gpuE3ELNS1_3repE0EEENS1_60segmented_radix_sort_warp_sort_medium_config_static_selectorELNS0_4arch9wavefront6targetE0EEEvSH_
; %bb.0:
	.section	.rodata,"a",@progbits
	.p2align	6, 0x0
	.amdhsa_kernel _ZN7rocprim17ROCPRIM_400000_NS6detail17trampoline_kernelINS0_14default_configENS1_36segmented_radix_sort_config_selectorIllEEZNS1_25segmented_radix_sort_implIS3_Lb1EPKlPlS8_S9_N2at6native12_GLOBAL__N_18offset_tEEE10hipError_tPvRmT1_PNSt15iterator_traitsISH_E10value_typeET2_T3_PNSI_ISN_E10value_typeET4_jRbjT5_ST_jjP12ihipStream_tbEUlT_E0_NS1_11comp_targetILNS1_3genE9ELNS1_11target_archE1100ELNS1_3gpuE3ELNS1_3repE0EEENS1_60segmented_radix_sort_warp_sort_medium_config_static_selectorELNS0_4arch9wavefront6targetE0EEEvSH_
		.amdhsa_group_segment_fixed_size 0
		.amdhsa_private_segment_fixed_size 0
		.amdhsa_kernarg_size 88
		.amdhsa_user_sgpr_count 2
		.amdhsa_user_sgpr_dispatch_ptr 0
		.amdhsa_user_sgpr_queue_ptr 0
		.amdhsa_user_sgpr_kernarg_segment_ptr 1
		.amdhsa_user_sgpr_dispatch_id 0
		.amdhsa_user_sgpr_private_segment_size 0
		.amdhsa_wavefront_size32 1
		.amdhsa_uses_dynamic_stack 0
		.amdhsa_enable_private_segment 0
		.amdhsa_system_sgpr_workgroup_id_x 1
		.amdhsa_system_sgpr_workgroup_id_y 0
		.amdhsa_system_sgpr_workgroup_id_z 0
		.amdhsa_system_sgpr_workgroup_info 0
		.amdhsa_system_vgpr_workitem_id 0
		.amdhsa_next_free_vgpr 1
		.amdhsa_next_free_sgpr 1
		.amdhsa_reserve_vcc 0
		.amdhsa_float_round_mode_32 0
		.amdhsa_float_round_mode_16_64 0
		.amdhsa_float_denorm_mode_32 3
		.amdhsa_float_denorm_mode_16_64 3
		.amdhsa_fp16_overflow 0
		.amdhsa_workgroup_processor_mode 1
		.amdhsa_memory_ordered 1
		.amdhsa_forward_progress 1
		.amdhsa_inst_pref_size 0
		.amdhsa_round_robin_scheduling 0
		.amdhsa_exception_fp_ieee_invalid_op 0
		.amdhsa_exception_fp_denorm_src 0
		.amdhsa_exception_fp_ieee_div_zero 0
		.amdhsa_exception_fp_ieee_overflow 0
		.amdhsa_exception_fp_ieee_underflow 0
		.amdhsa_exception_fp_ieee_inexact 0
		.amdhsa_exception_int_div_zero 0
	.end_amdhsa_kernel
	.section	.text._ZN7rocprim17ROCPRIM_400000_NS6detail17trampoline_kernelINS0_14default_configENS1_36segmented_radix_sort_config_selectorIllEEZNS1_25segmented_radix_sort_implIS3_Lb1EPKlPlS8_S9_N2at6native12_GLOBAL__N_18offset_tEEE10hipError_tPvRmT1_PNSt15iterator_traitsISH_E10value_typeET2_T3_PNSI_ISN_E10value_typeET4_jRbjT5_ST_jjP12ihipStream_tbEUlT_E0_NS1_11comp_targetILNS1_3genE9ELNS1_11target_archE1100ELNS1_3gpuE3ELNS1_3repE0EEENS1_60segmented_radix_sort_warp_sort_medium_config_static_selectorELNS0_4arch9wavefront6targetE0EEEvSH_,"axG",@progbits,_ZN7rocprim17ROCPRIM_400000_NS6detail17trampoline_kernelINS0_14default_configENS1_36segmented_radix_sort_config_selectorIllEEZNS1_25segmented_radix_sort_implIS3_Lb1EPKlPlS8_S9_N2at6native12_GLOBAL__N_18offset_tEEE10hipError_tPvRmT1_PNSt15iterator_traitsISH_E10value_typeET2_T3_PNSI_ISN_E10value_typeET4_jRbjT5_ST_jjP12ihipStream_tbEUlT_E0_NS1_11comp_targetILNS1_3genE9ELNS1_11target_archE1100ELNS1_3gpuE3ELNS1_3repE0EEENS1_60segmented_radix_sort_warp_sort_medium_config_static_selectorELNS0_4arch9wavefront6targetE0EEEvSH_,comdat
.Lfunc_end722:
	.size	_ZN7rocprim17ROCPRIM_400000_NS6detail17trampoline_kernelINS0_14default_configENS1_36segmented_radix_sort_config_selectorIllEEZNS1_25segmented_radix_sort_implIS3_Lb1EPKlPlS8_S9_N2at6native12_GLOBAL__N_18offset_tEEE10hipError_tPvRmT1_PNSt15iterator_traitsISH_E10value_typeET2_T3_PNSI_ISN_E10value_typeET4_jRbjT5_ST_jjP12ihipStream_tbEUlT_E0_NS1_11comp_targetILNS1_3genE9ELNS1_11target_archE1100ELNS1_3gpuE3ELNS1_3repE0EEENS1_60segmented_radix_sort_warp_sort_medium_config_static_selectorELNS0_4arch9wavefront6targetE0EEEvSH_, .Lfunc_end722-_ZN7rocprim17ROCPRIM_400000_NS6detail17trampoline_kernelINS0_14default_configENS1_36segmented_radix_sort_config_selectorIllEEZNS1_25segmented_radix_sort_implIS3_Lb1EPKlPlS8_S9_N2at6native12_GLOBAL__N_18offset_tEEE10hipError_tPvRmT1_PNSt15iterator_traitsISH_E10value_typeET2_T3_PNSI_ISN_E10value_typeET4_jRbjT5_ST_jjP12ihipStream_tbEUlT_E0_NS1_11comp_targetILNS1_3genE9ELNS1_11target_archE1100ELNS1_3gpuE3ELNS1_3repE0EEENS1_60segmented_radix_sort_warp_sort_medium_config_static_selectorELNS0_4arch9wavefront6targetE0EEEvSH_
                                        ; -- End function
	.set _ZN7rocprim17ROCPRIM_400000_NS6detail17trampoline_kernelINS0_14default_configENS1_36segmented_radix_sort_config_selectorIllEEZNS1_25segmented_radix_sort_implIS3_Lb1EPKlPlS8_S9_N2at6native12_GLOBAL__N_18offset_tEEE10hipError_tPvRmT1_PNSt15iterator_traitsISH_E10value_typeET2_T3_PNSI_ISN_E10value_typeET4_jRbjT5_ST_jjP12ihipStream_tbEUlT_E0_NS1_11comp_targetILNS1_3genE9ELNS1_11target_archE1100ELNS1_3gpuE3ELNS1_3repE0EEENS1_60segmented_radix_sort_warp_sort_medium_config_static_selectorELNS0_4arch9wavefront6targetE0EEEvSH_.num_vgpr, 0
	.set _ZN7rocprim17ROCPRIM_400000_NS6detail17trampoline_kernelINS0_14default_configENS1_36segmented_radix_sort_config_selectorIllEEZNS1_25segmented_radix_sort_implIS3_Lb1EPKlPlS8_S9_N2at6native12_GLOBAL__N_18offset_tEEE10hipError_tPvRmT1_PNSt15iterator_traitsISH_E10value_typeET2_T3_PNSI_ISN_E10value_typeET4_jRbjT5_ST_jjP12ihipStream_tbEUlT_E0_NS1_11comp_targetILNS1_3genE9ELNS1_11target_archE1100ELNS1_3gpuE3ELNS1_3repE0EEENS1_60segmented_radix_sort_warp_sort_medium_config_static_selectorELNS0_4arch9wavefront6targetE0EEEvSH_.num_agpr, 0
	.set _ZN7rocprim17ROCPRIM_400000_NS6detail17trampoline_kernelINS0_14default_configENS1_36segmented_radix_sort_config_selectorIllEEZNS1_25segmented_radix_sort_implIS3_Lb1EPKlPlS8_S9_N2at6native12_GLOBAL__N_18offset_tEEE10hipError_tPvRmT1_PNSt15iterator_traitsISH_E10value_typeET2_T3_PNSI_ISN_E10value_typeET4_jRbjT5_ST_jjP12ihipStream_tbEUlT_E0_NS1_11comp_targetILNS1_3genE9ELNS1_11target_archE1100ELNS1_3gpuE3ELNS1_3repE0EEENS1_60segmented_radix_sort_warp_sort_medium_config_static_selectorELNS0_4arch9wavefront6targetE0EEEvSH_.numbered_sgpr, 0
	.set _ZN7rocprim17ROCPRIM_400000_NS6detail17trampoline_kernelINS0_14default_configENS1_36segmented_radix_sort_config_selectorIllEEZNS1_25segmented_radix_sort_implIS3_Lb1EPKlPlS8_S9_N2at6native12_GLOBAL__N_18offset_tEEE10hipError_tPvRmT1_PNSt15iterator_traitsISH_E10value_typeET2_T3_PNSI_ISN_E10value_typeET4_jRbjT5_ST_jjP12ihipStream_tbEUlT_E0_NS1_11comp_targetILNS1_3genE9ELNS1_11target_archE1100ELNS1_3gpuE3ELNS1_3repE0EEENS1_60segmented_radix_sort_warp_sort_medium_config_static_selectorELNS0_4arch9wavefront6targetE0EEEvSH_.num_named_barrier, 0
	.set _ZN7rocprim17ROCPRIM_400000_NS6detail17trampoline_kernelINS0_14default_configENS1_36segmented_radix_sort_config_selectorIllEEZNS1_25segmented_radix_sort_implIS3_Lb1EPKlPlS8_S9_N2at6native12_GLOBAL__N_18offset_tEEE10hipError_tPvRmT1_PNSt15iterator_traitsISH_E10value_typeET2_T3_PNSI_ISN_E10value_typeET4_jRbjT5_ST_jjP12ihipStream_tbEUlT_E0_NS1_11comp_targetILNS1_3genE9ELNS1_11target_archE1100ELNS1_3gpuE3ELNS1_3repE0EEENS1_60segmented_radix_sort_warp_sort_medium_config_static_selectorELNS0_4arch9wavefront6targetE0EEEvSH_.private_seg_size, 0
	.set _ZN7rocprim17ROCPRIM_400000_NS6detail17trampoline_kernelINS0_14default_configENS1_36segmented_radix_sort_config_selectorIllEEZNS1_25segmented_radix_sort_implIS3_Lb1EPKlPlS8_S9_N2at6native12_GLOBAL__N_18offset_tEEE10hipError_tPvRmT1_PNSt15iterator_traitsISH_E10value_typeET2_T3_PNSI_ISN_E10value_typeET4_jRbjT5_ST_jjP12ihipStream_tbEUlT_E0_NS1_11comp_targetILNS1_3genE9ELNS1_11target_archE1100ELNS1_3gpuE3ELNS1_3repE0EEENS1_60segmented_radix_sort_warp_sort_medium_config_static_selectorELNS0_4arch9wavefront6targetE0EEEvSH_.uses_vcc, 0
	.set _ZN7rocprim17ROCPRIM_400000_NS6detail17trampoline_kernelINS0_14default_configENS1_36segmented_radix_sort_config_selectorIllEEZNS1_25segmented_radix_sort_implIS3_Lb1EPKlPlS8_S9_N2at6native12_GLOBAL__N_18offset_tEEE10hipError_tPvRmT1_PNSt15iterator_traitsISH_E10value_typeET2_T3_PNSI_ISN_E10value_typeET4_jRbjT5_ST_jjP12ihipStream_tbEUlT_E0_NS1_11comp_targetILNS1_3genE9ELNS1_11target_archE1100ELNS1_3gpuE3ELNS1_3repE0EEENS1_60segmented_radix_sort_warp_sort_medium_config_static_selectorELNS0_4arch9wavefront6targetE0EEEvSH_.uses_flat_scratch, 0
	.set _ZN7rocprim17ROCPRIM_400000_NS6detail17trampoline_kernelINS0_14default_configENS1_36segmented_radix_sort_config_selectorIllEEZNS1_25segmented_radix_sort_implIS3_Lb1EPKlPlS8_S9_N2at6native12_GLOBAL__N_18offset_tEEE10hipError_tPvRmT1_PNSt15iterator_traitsISH_E10value_typeET2_T3_PNSI_ISN_E10value_typeET4_jRbjT5_ST_jjP12ihipStream_tbEUlT_E0_NS1_11comp_targetILNS1_3genE9ELNS1_11target_archE1100ELNS1_3gpuE3ELNS1_3repE0EEENS1_60segmented_radix_sort_warp_sort_medium_config_static_selectorELNS0_4arch9wavefront6targetE0EEEvSH_.has_dyn_sized_stack, 0
	.set _ZN7rocprim17ROCPRIM_400000_NS6detail17trampoline_kernelINS0_14default_configENS1_36segmented_radix_sort_config_selectorIllEEZNS1_25segmented_radix_sort_implIS3_Lb1EPKlPlS8_S9_N2at6native12_GLOBAL__N_18offset_tEEE10hipError_tPvRmT1_PNSt15iterator_traitsISH_E10value_typeET2_T3_PNSI_ISN_E10value_typeET4_jRbjT5_ST_jjP12ihipStream_tbEUlT_E0_NS1_11comp_targetILNS1_3genE9ELNS1_11target_archE1100ELNS1_3gpuE3ELNS1_3repE0EEENS1_60segmented_radix_sort_warp_sort_medium_config_static_selectorELNS0_4arch9wavefront6targetE0EEEvSH_.has_recursion, 0
	.set _ZN7rocprim17ROCPRIM_400000_NS6detail17trampoline_kernelINS0_14default_configENS1_36segmented_radix_sort_config_selectorIllEEZNS1_25segmented_radix_sort_implIS3_Lb1EPKlPlS8_S9_N2at6native12_GLOBAL__N_18offset_tEEE10hipError_tPvRmT1_PNSt15iterator_traitsISH_E10value_typeET2_T3_PNSI_ISN_E10value_typeET4_jRbjT5_ST_jjP12ihipStream_tbEUlT_E0_NS1_11comp_targetILNS1_3genE9ELNS1_11target_archE1100ELNS1_3gpuE3ELNS1_3repE0EEENS1_60segmented_radix_sort_warp_sort_medium_config_static_selectorELNS0_4arch9wavefront6targetE0EEEvSH_.has_indirect_call, 0
	.section	.AMDGPU.csdata,"",@progbits
; Kernel info:
; codeLenInByte = 0
; TotalNumSgprs: 0
; NumVgprs: 0
; ScratchSize: 0
; MemoryBound: 0
; FloatMode: 240
; IeeeMode: 1
; LDSByteSize: 0 bytes/workgroup (compile time only)
; SGPRBlocks: 0
; VGPRBlocks: 0
; NumSGPRsForWavesPerEU: 1
; NumVGPRsForWavesPerEU: 1
; Occupancy: 16
; WaveLimiterHint : 0
; COMPUTE_PGM_RSRC2:SCRATCH_EN: 0
; COMPUTE_PGM_RSRC2:USER_SGPR: 2
; COMPUTE_PGM_RSRC2:TRAP_HANDLER: 0
; COMPUTE_PGM_RSRC2:TGID_X_EN: 1
; COMPUTE_PGM_RSRC2:TGID_Y_EN: 0
; COMPUTE_PGM_RSRC2:TGID_Z_EN: 0
; COMPUTE_PGM_RSRC2:TIDIG_COMP_CNT: 0
	.section	.text._ZN7rocprim17ROCPRIM_400000_NS6detail17trampoline_kernelINS0_14default_configENS1_36segmented_radix_sort_config_selectorIllEEZNS1_25segmented_radix_sort_implIS3_Lb1EPKlPlS8_S9_N2at6native12_GLOBAL__N_18offset_tEEE10hipError_tPvRmT1_PNSt15iterator_traitsISH_E10value_typeET2_T3_PNSI_ISN_E10value_typeET4_jRbjT5_ST_jjP12ihipStream_tbEUlT_E0_NS1_11comp_targetILNS1_3genE8ELNS1_11target_archE1030ELNS1_3gpuE2ELNS1_3repE0EEENS1_60segmented_radix_sort_warp_sort_medium_config_static_selectorELNS0_4arch9wavefront6targetE0EEEvSH_,"axG",@progbits,_ZN7rocprim17ROCPRIM_400000_NS6detail17trampoline_kernelINS0_14default_configENS1_36segmented_radix_sort_config_selectorIllEEZNS1_25segmented_radix_sort_implIS3_Lb1EPKlPlS8_S9_N2at6native12_GLOBAL__N_18offset_tEEE10hipError_tPvRmT1_PNSt15iterator_traitsISH_E10value_typeET2_T3_PNSI_ISN_E10value_typeET4_jRbjT5_ST_jjP12ihipStream_tbEUlT_E0_NS1_11comp_targetILNS1_3genE8ELNS1_11target_archE1030ELNS1_3gpuE2ELNS1_3repE0EEENS1_60segmented_radix_sort_warp_sort_medium_config_static_selectorELNS0_4arch9wavefront6targetE0EEEvSH_,comdat
	.globl	_ZN7rocprim17ROCPRIM_400000_NS6detail17trampoline_kernelINS0_14default_configENS1_36segmented_radix_sort_config_selectorIllEEZNS1_25segmented_radix_sort_implIS3_Lb1EPKlPlS8_S9_N2at6native12_GLOBAL__N_18offset_tEEE10hipError_tPvRmT1_PNSt15iterator_traitsISH_E10value_typeET2_T3_PNSI_ISN_E10value_typeET4_jRbjT5_ST_jjP12ihipStream_tbEUlT_E0_NS1_11comp_targetILNS1_3genE8ELNS1_11target_archE1030ELNS1_3gpuE2ELNS1_3repE0EEENS1_60segmented_radix_sort_warp_sort_medium_config_static_selectorELNS0_4arch9wavefront6targetE0EEEvSH_ ; -- Begin function _ZN7rocprim17ROCPRIM_400000_NS6detail17trampoline_kernelINS0_14default_configENS1_36segmented_radix_sort_config_selectorIllEEZNS1_25segmented_radix_sort_implIS3_Lb1EPKlPlS8_S9_N2at6native12_GLOBAL__N_18offset_tEEE10hipError_tPvRmT1_PNSt15iterator_traitsISH_E10value_typeET2_T3_PNSI_ISN_E10value_typeET4_jRbjT5_ST_jjP12ihipStream_tbEUlT_E0_NS1_11comp_targetILNS1_3genE8ELNS1_11target_archE1030ELNS1_3gpuE2ELNS1_3repE0EEENS1_60segmented_radix_sort_warp_sort_medium_config_static_selectorELNS0_4arch9wavefront6targetE0EEEvSH_
	.p2align	8
	.type	_ZN7rocprim17ROCPRIM_400000_NS6detail17trampoline_kernelINS0_14default_configENS1_36segmented_radix_sort_config_selectorIllEEZNS1_25segmented_radix_sort_implIS3_Lb1EPKlPlS8_S9_N2at6native12_GLOBAL__N_18offset_tEEE10hipError_tPvRmT1_PNSt15iterator_traitsISH_E10value_typeET2_T3_PNSI_ISN_E10value_typeET4_jRbjT5_ST_jjP12ihipStream_tbEUlT_E0_NS1_11comp_targetILNS1_3genE8ELNS1_11target_archE1030ELNS1_3gpuE2ELNS1_3repE0EEENS1_60segmented_radix_sort_warp_sort_medium_config_static_selectorELNS0_4arch9wavefront6targetE0EEEvSH_,@function
_ZN7rocprim17ROCPRIM_400000_NS6detail17trampoline_kernelINS0_14default_configENS1_36segmented_radix_sort_config_selectorIllEEZNS1_25segmented_radix_sort_implIS3_Lb1EPKlPlS8_S9_N2at6native12_GLOBAL__N_18offset_tEEE10hipError_tPvRmT1_PNSt15iterator_traitsISH_E10value_typeET2_T3_PNSI_ISN_E10value_typeET4_jRbjT5_ST_jjP12ihipStream_tbEUlT_E0_NS1_11comp_targetILNS1_3genE8ELNS1_11target_archE1030ELNS1_3gpuE2ELNS1_3repE0EEENS1_60segmented_radix_sort_warp_sort_medium_config_static_selectorELNS0_4arch9wavefront6targetE0EEEvSH_: ; @_ZN7rocprim17ROCPRIM_400000_NS6detail17trampoline_kernelINS0_14default_configENS1_36segmented_radix_sort_config_selectorIllEEZNS1_25segmented_radix_sort_implIS3_Lb1EPKlPlS8_S9_N2at6native12_GLOBAL__N_18offset_tEEE10hipError_tPvRmT1_PNSt15iterator_traitsISH_E10value_typeET2_T3_PNSI_ISN_E10value_typeET4_jRbjT5_ST_jjP12ihipStream_tbEUlT_E0_NS1_11comp_targetILNS1_3genE8ELNS1_11target_archE1030ELNS1_3gpuE2ELNS1_3repE0EEENS1_60segmented_radix_sort_warp_sort_medium_config_static_selectorELNS0_4arch9wavefront6targetE0EEEvSH_
; %bb.0:
	.section	.rodata,"a",@progbits
	.p2align	6, 0x0
	.amdhsa_kernel _ZN7rocprim17ROCPRIM_400000_NS6detail17trampoline_kernelINS0_14default_configENS1_36segmented_radix_sort_config_selectorIllEEZNS1_25segmented_radix_sort_implIS3_Lb1EPKlPlS8_S9_N2at6native12_GLOBAL__N_18offset_tEEE10hipError_tPvRmT1_PNSt15iterator_traitsISH_E10value_typeET2_T3_PNSI_ISN_E10value_typeET4_jRbjT5_ST_jjP12ihipStream_tbEUlT_E0_NS1_11comp_targetILNS1_3genE8ELNS1_11target_archE1030ELNS1_3gpuE2ELNS1_3repE0EEENS1_60segmented_radix_sort_warp_sort_medium_config_static_selectorELNS0_4arch9wavefront6targetE0EEEvSH_
		.amdhsa_group_segment_fixed_size 0
		.amdhsa_private_segment_fixed_size 0
		.amdhsa_kernarg_size 88
		.amdhsa_user_sgpr_count 2
		.amdhsa_user_sgpr_dispatch_ptr 0
		.amdhsa_user_sgpr_queue_ptr 0
		.amdhsa_user_sgpr_kernarg_segment_ptr 1
		.amdhsa_user_sgpr_dispatch_id 0
		.amdhsa_user_sgpr_private_segment_size 0
		.amdhsa_wavefront_size32 1
		.amdhsa_uses_dynamic_stack 0
		.amdhsa_enable_private_segment 0
		.amdhsa_system_sgpr_workgroup_id_x 1
		.amdhsa_system_sgpr_workgroup_id_y 0
		.amdhsa_system_sgpr_workgroup_id_z 0
		.amdhsa_system_sgpr_workgroup_info 0
		.amdhsa_system_vgpr_workitem_id 0
		.amdhsa_next_free_vgpr 1
		.amdhsa_next_free_sgpr 1
		.amdhsa_reserve_vcc 0
		.amdhsa_float_round_mode_32 0
		.amdhsa_float_round_mode_16_64 0
		.amdhsa_float_denorm_mode_32 3
		.amdhsa_float_denorm_mode_16_64 3
		.amdhsa_fp16_overflow 0
		.amdhsa_workgroup_processor_mode 1
		.amdhsa_memory_ordered 1
		.amdhsa_forward_progress 1
		.amdhsa_inst_pref_size 0
		.amdhsa_round_robin_scheduling 0
		.amdhsa_exception_fp_ieee_invalid_op 0
		.amdhsa_exception_fp_denorm_src 0
		.amdhsa_exception_fp_ieee_div_zero 0
		.amdhsa_exception_fp_ieee_overflow 0
		.amdhsa_exception_fp_ieee_underflow 0
		.amdhsa_exception_fp_ieee_inexact 0
		.amdhsa_exception_int_div_zero 0
	.end_amdhsa_kernel
	.section	.text._ZN7rocprim17ROCPRIM_400000_NS6detail17trampoline_kernelINS0_14default_configENS1_36segmented_radix_sort_config_selectorIllEEZNS1_25segmented_radix_sort_implIS3_Lb1EPKlPlS8_S9_N2at6native12_GLOBAL__N_18offset_tEEE10hipError_tPvRmT1_PNSt15iterator_traitsISH_E10value_typeET2_T3_PNSI_ISN_E10value_typeET4_jRbjT5_ST_jjP12ihipStream_tbEUlT_E0_NS1_11comp_targetILNS1_3genE8ELNS1_11target_archE1030ELNS1_3gpuE2ELNS1_3repE0EEENS1_60segmented_radix_sort_warp_sort_medium_config_static_selectorELNS0_4arch9wavefront6targetE0EEEvSH_,"axG",@progbits,_ZN7rocprim17ROCPRIM_400000_NS6detail17trampoline_kernelINS0_14default_configENS1_36segmented_radix_sort_config_selectorIllEEZNS1_25segmented_radix_sort_implIS3_Lb1EPKlPlS8_S9_N2at6native12_GLOBAL__N_18offset_tEEE10hipError_tPvRmT1_PNSt15iterator_traitsISH_E10value_typeET2_T3_PNSI_ISN_E10value_typeET4_jRbjT5_ST_jjP12ihipStream_tbEUlT_E0_NS1_11comp_targetILNS1_3genE8ELNS1_11target_archE1030ELNS1_3gpuE2ELNS1_3repE0EEENS1_60segmented_radix_sort_warp_sort_medium_config_static_selectorELNS0_4arch9wavefront6targetE0EEEvSH_,comdat
.Lfunc_end723:
	.size	_ZN7rocprim17ROCPRIM_400000_NS6detail17trampoline_kernelINS0_14default_configENS1_36segmented_radix_sort_config_selectorIllEEZNS1_25segmented_radix_sort_implIS3_Lb1EPKlPlS8_S9_N2at6native12_GLOBAL__N_18offset_tEEE10hipError_tPvRmT1_PNSt15iterator_traitsISH_E10value_typeET2_T3_PNSI_ISN_E10value_typeET4_jRbjT5_ST_jjP12ihipStream_tbEUlT_E0_NS1_11comp_targetILNS1_3genE8ELNS1_11target_archE1030ELNS1_3gpuE2ELNS1_3repE0EEENS1_60segmented_radix_sort_warp_sort_medium_config_static_selectorELNS0_4arch9wavefront6targetE0EEEvSH_, .Lfunc_end723-_ZN7rocprim17ROCPRIM_400000_NS6detail17trampoline_kernelINS0_14default_configENS1_36segmented_radix_sort_config_selectorIllEEZNS1_25segmented_radix_sort_implIS3_Lb1EPKlPlS8_S9_N2at6native12_GLOBAL__N_18offset_tEEE10hipError_tPvRmT1_PNSt15iterator_traitsISH_E10value_typeET2_T3_PNSI_ISN_E10value_typeET4_jRbjT5_ST_jjP12ihipStream_tbEUlT_E0_NS1_11comp_targetILNS1_3genE8ELNS1_11target_archE1030ELNS1_3gpuE2ELNS1_3repE0EEENS1_60segmented_radix_sort_warp_sort_medium_config_static_selectorELNS0_4arch9wavefront6targetE0EEEvSH_
                                        ; -- End function
	.set _ZN7rocprim17ROCPRIM_400000_NS6detail17trampoline_kernelINS0_14default_configENS1_36segmented_radix_sort_config_selectorIllEEZNS1_25segmented_radix_sort_implIS3_Lb1EPKlPlS8_S9_N2at6native12_GLOBAL__N_18offset_tEEE10hipError_tPvRmT1_PNSt15iterator_traitsISH_E10value_typeET2_T3_PNSI_ISN_E10value_typeET4_jRbjT5_ST_jjP12ihipStream_tbEUlT_E0_NS1_11comp_targetILNS1_3genE8ELNS1_11target_archE1030ELNS1_3gpuE2ELNS1_3repE0EEENS1_60segmented_radix_sort_warp_sort_medium_config_static_selectorELNS0_4arch9wavefront6targetE0EEEvSH_.num_vgpr, 0
	.set _ZN7rocprim17ROCPRIM_400000_NS6detail17trampoline_kernelINS0_14default_configENS1_36segmented_radix_sort_config_selectorIllEEZNS1_25segmented_radix_sort_implIS3_Lb1EPKlPlS8_S9_N2at6native12_GLOBAL__N_18offset_tEEE10hipError_tPvRmT1_PNSt15iterator_traitsISH_E10value_typeET2_T3_PNSI_ISN_E10value_typeET4_jRbjT5_ST_jjP12ihipStream_tbEUlT_E0_NS1_11comp_targetILNS1_3genE8ELNS1_11target_archE1030ELNS1_3gpuE2ELNS1_3repE0EEENS1_60segmented_radix_sort_warp_sort_medium_config_static_selectorELNS0_4arch9wavefront6targetE0EEEvSH_.num_agpr, 0
	.set _ZN7rocprim17ROCPRIM_400000_NS6detail17trampoline_kernelINS0_14default_configENS1_36segmented_radix_sort_config_selectorIllEEZNS1_25segmented_radix_sort_implIS3_Lb1EPKlPlS8_S9_N2at6native12_GLOBAL__N_18offset_tEEE10hipError_tPvRmT1_PNSt15iterator_traitsISH_E10value_typeET2_T3_PNSI_ISN_E10value_typeET4_jRbjT5_ST_jjP12ihipStream_tbEUlT_E0_NS1_11comp_targetILNS1_3genE8ELNS1_11target_archE1030ELNS1_3gpuE2ELNS1_3repE0EEENS1_60segmented_radix_sort_warp_sort_medium_config_static_selectorELNS0_4arch9wavefront6targetE0EEEvSH_.numbered_sgpr, 0
	.set _ZN7rocprim17ROCPRIM_400000_NS6detail17trampoline_kernelINS0_14default_configENS1_36segmented_radix_sort_config_selectorIllEEZNS1_25segmented_radix_sort_implIS3_Lb1EPKlPlS8_S9_N2at6native12_GLOBAL__N_18offset_tEEE10hipError_tPvRmT1_PNSt15iterator_traitsISH_E10value_typeET2_T3_PNSI_ISN_E10value_typeET4_jRbjT5_ST_jjP12ihipStream_tbEUlT_E0_NS1_11comp_targetILNS1_3genE8ELNS1_11target_archE1030ELNS1_3gpuE2ELNS1_3repE0EEENS1_60segmented_radix_sort_warp_sort_medium_config_static_selectorELNS0_4arch9wavefront6targetE0EEEvSH_.num_named_barrier, 0
	.set _ZN7rocprim17ROCPRIM_400000_NS6detail17trampoline_kernelINS0_14default_configENS1_36segmented_radix_sort_config_selectorIllEEZNS1_25segmented_radix_sort_implIS3_Lb1EPKlPlS8_S9_N2at6native12_GLOBAL__N_18offset_tEEE10hipError_tPvRmT1_PNSt15iterator_traitsISH_E10value_typeET2_T3_PNSI_ISN_E10value_typeET4_jRbjT5_ST_jjP12ihipStream_tbEUlT_E0_NS1_11comp_targetILNS1_3genE8ELNS1_11target_archE1030ELNS1_3gpuE2ELNS1_3repE0EEENS1_60segmented_radix_sort_warp_sort_medium_config_static_selectorELNS0_4arch9wavefront6targetE0EEEvSH_.private_seg_size, 0
	.set _ZN7rocprim17ROCPRIM_400000_NS6detail17trampoline_kernelINS0_14default_configENS1_36segmented_radix_sort_config_selectorIllEEZNS1_25segmented_radix_sort_implIS3_Lb1EPKlPlS8_S9_N2at6native12_GLOBAL__N_18offset_tEEE10hipError_tPvRmT1_PNSt15iterator_traitsISH_E10value_typeET2_T3_PNSI_ISN_E10value_typeET4_jRbjT5_ST_jjP12ihipStream_tbEUlT_E0_NS1_11comp_targetILNS1_3genE8ELNS1_11target_archE1030ELNS1_3gpuE2ELNS1_3repE0EEENS1_60segmented_radix_sort_warp_sort_medium_config_static_selectorELNS0_4arch9wavefront6targetE0EEEvSH_.uses_vcc, 0
	.set _ZN7rocprim17ROCPRIM_400000_NS6detail17trampoline_kernelINS0_14default_configENS1_36segmented_radix_sort_config_selectorIllEEZNS1_25segmented_radix_sort_implIS3_Lb1EPKlPlS8_S9_N2at6native12_GLOBAL__N_18offset_tEEE10hipError_tPvRmT1_PNSt15iterator_traitsISH_E10value_typeET2_T3_PNSI_ISN_E10value_typeET4_jRbjT5_ST_jjP12ihipStream_tbEUlT_E0_NS1_11comp_targetILNS1_3genE8ELNS1_11target_archE1030ELNS1_3gpuE2ELNS1_3repE0EEENS1_60segmented_radix_sort_warp_sort_medium_config_static_selectorELNS0_4arch9wavefront6targetE0EEEvSH_.uses_flat_scratch, 0
	.set _ZN7rocprim17ROCPRIM_400000_NS6detail17trampoline_kernelINS0_14default_configENS1_36segmented_radix_sort_config_selectorIllEEZNS1_25segmented_radix_sort_implIS3_Lb1EPKlPlS8_S9_N2at6native12_GLOBAL__N_18offset_tEEE10hipError_tPvRmT1_PNSt15iterator_traitsISH_E10value_typeET2_T3_PNSI_ISN_E10value_typeET4_jRbjT5_ST_jjP12ihipStream_tbEUlT_E0_NS1_11comp_targetILNS1_3genE8ELNS1_11target_archE1030ELNS1_3gpuE2ELNS1_3repE0EEENS1_60segmented_radix_sort_warp_sort_medium_config_static_selectorELNS0_4arch9wavefront6targetE0EEEvSH_.has_dyn_sized_stack, 0
	.set _ZN7rocprim17ROCPRIM_400000_NS6detail17trampoline_kernelINS0_14default_configENS1_36segmented_radix_sort_config_selectorIllEEZNS1_25segmented_radix_sort_implIS3_Lb1EPKlPlS8_S9_N2at6native12_GLOBAL__N_18offset_tEEE10hipError_tPvRmT1_PNSt15iterator_traitsISH_E10value_typeET2_T3_PNSI_ISN_E10value_typeET4_jRbjT5_ST_jjP12ihipStream_tbEUlT_E0_NS1_11comp_targetILNS1_3genE8ELNS1_11target_archE1030ELNS1_3gpuE2ELNS1_3repE0EEENS1_60segmented_radix_sort_warp_sort_medium_config_static_selectorELNS0_4arch9wavefront6targetE0EEEvSH_.has_recursion, 0
	.set _ZN7rocprim17ROCPRIM_400000_NS6detail17trampoline_kernelINS0_14default_configENS1_36segmented_radix_sort_config_selectorIllEEZNS1_25segmented_radix_sort_implIS3_Lb1EPKlPlS8_S9_N2at6native12_GLOBAL__N_18offset_tEEE10hipError_tPvRmT1_PNSt15iterator_traitsISH_E10value_typeET2_T3_PNSI_ISN_E10value_typeET4_jRbjT5_ST_jjP12ihipStream_tbEUlT_E0_NS1_11comp_targetILNS1_3genE8ELNS1_11target_archE1030ELNS1_3gpuE2ELNS1_3repE0EEENS1_60segmented_radix_sort_warp_sort_medium_config_static_selectorELNS0_4arch9wavefront6targetE0EEEvSH_.has_indirect_call, 0
	.section	.AMDGPU.csdata,"",@progbits
; Kernel info:
; codeLenInByte = 0
; TotalNumSgprs: 0
; NumVgprs: 0
; ScratchSize: 0
; MemoryBound: 0
; FloatMode: 240
; IeeeMode: 1
; LDSByteSize: 0 bytes/workgroup (compile time only)
; SGPRBlocks: 0
; VGPRBlocks: 0
; NumSGPRsForWavesPerEU: 1
; NumVGPRsForWavesPerEU: 1
; Occupancy: 16
; WaveLimiterHint : 0
; COMPUTE_PGM_RSRC2:SCRATCH_EN: 0
; COMPUTE_PGM_RSRC2:USER_SGPR: 2
; COMPUTE_PGM_RSRC2:TRAP_HANDLER: 0
; COMPUTE_PGM_RSRC2:TGID_X_EN: 1
; COMPUTE_PGM_RSRC2:TGID_Y_EN: 0
; COMPUTE_PGM_RSRC2:TGID_Z_EN: 0
; COMPUTE_PGM_RSRC2:TIDIG_COMP_CNT: 0
	.section	.text._ZN7rocprim17ROCPRIM_400000_NS6detail17trampoline_kernelINS0_14default_configENS1_36segmented_radix_sort_config_selectorIllEEZNS1_25segmented_radix_sort_implIS3_Lb1EPKlPlS8_S9_N2at6native12_GLOBAL__N_18offset_tEEE10hipError_tPvRmT1_PNSt15iterator_traitsISH_E10value_typeET2_T3_PNSI_ISN_E10value_typeET4_jRbjT5_ST_jjP12ihipStream_tbEUlT_E1_NS1_11comp_targetILNS1_3genE0ELNS1_11target_archE4294967295ELNS1_3gpuE0ELNS1_3repE0EEENS1_59segmented_radix_sort_warp_sort_small_config_static_selectorELNS0_4arch9wavefront6targetE0EEEvSH_,"axG",@progbits,_ZN7rocprim17ROCPRIM_400000_NS6detail17trampoline_kernelINS0_14default_configENS1_36segmented_radix_sort_config_selectorIllEEZNS1_25segmented_radix_sort_implIS3_Lb1EPKlPlS8_S9_N2at6native12_GLOBAL__N_18offset_tEEE10hipError_tPvRmT1_PNSt15iterator_traitsISH_E10value_typeET2_T3_PNSI_ISN_E10value_typeET4_jRbjT5_ST_jjP12ihipStream_tbEUlT_E1_NS1_11comp_targetILNS1_3genE0ELNS1_11target_archE4294967295ELNS1_3gpuE0ELNS1_3repE0EEENS1_59segmented_radix_sort_warp_sort_small_config_static_selectorELNS0_4arch9wavefront6targetE0EEEvSH_,comdat
	.globl	_ZN7rocprim17ROCPRIM_400000_NS6detail17trampoline_kernelINS0_14default_configENS1_36segmented_radix_sort_config_selectorIllEEZNS1_25segmented_radix_sort_implIS3_Lb1EPKlPlS8_S9_N2at6native12_GLOBAL__N_18offset_tEEE10hipError_tPvRmT1_PNSt15iterator_traitsISH_E10value_typeET2_T3_PNSI_ISN_E10value_typeET4_jRbjT5_ST_jjP12ihipStream_tbEUlT_E1_NS1_11comp_targetILNS1_3genE0ELNS1_11target_archE4294967295ELNS1_3gpuE0ELNS1_3repE0EEENS1_59segmented_radix_sort_warp_sort_small_config_static_selectorELNS0_4arch9wavefront6targetE0EEEvSH_ ; -- Begin function _ZN7rocprim17ROCPRIM_400000_NS6detail17trampoline_kernelINS0_14default_configENS1_36segmented_radix_sort_config_selectorIllEEZNS1_25segmented_radix_sort_implIS3_Lb1EPKlPlS8_S9_N2at6native12_GLOBAL__N_18offset_tEEE10hipError_tPvRmT1_PNSt15iterator_traitsISH_E10value_typeET2_T3_PNSI_ISN_E10value_typeET4_jRbjT5_ST_jjP12ihipStream_tbEUlT_E1_NS1_11comp_targetILNS1_3genE0ELNS1_11target_archE4294967295ELNS1_3gpuE0ELNS1_3repE0EEENS1_59segmented_radix_sort_warp_sort_small_config_static_selectorELNS0_4arch9wavefront6targetE0EEEvSH_
	.p2align	8
	.type	_ZN7rocprim17ROCPRIM_400000_NS6detail17trampoline_kernelINS0_14default_configENS1_36segmented_radix_sort_config_selectorIllEEZNS1_25segmented_radix_sort_implIS3_Lb1EPKlPlS8_S9_N2at6native12_GLOBAL__N_18offset_tEEE10hipError_tPvRmT1_PNSt15iterator_traitsISH_E10value_typeET2_T3_PNSI_ISN_E10value_typeET4_jRbjT5_ST_jjP12ihipStream_tbEUlT_E1_NS1_11comp_targetILNS1_3genE0ELNS1_11target_archE4294967295ELNS1_3gpuE0ELNS1_3repE0EEENS1_59segmented_radix_sort_warp_sort_small_config_static_selectorELNS0_4arch9wavefront6targetE0EEEvSH_,@function
_ZN7rocprim17ROCPRIM_400000_NS6detail17trampoline_kernelINS0_14default_configENS1_36segmented_radix_sort_config_selectorIllEEZNS1_25segmented_radix_sort_implIS3_Lb1EPKlPlS8_S9_N2at6native12_GLOBAL__N_18offset_tEEE10hipError_tPvRmT1_PNSt15iterator_traitsISH_E10value_typeET2_T3_PNSI_ISN_E10value_typeET4_jRbjT5_ST_jjP12ihipStream_tbEUlT_E1_NS1_11comp_targetILNS1_3genE0ELNS1_11target_archE4294967295ELNS1_3gpuE0ELNS1_3repE0EEENS1_59segmented_radix_sort_warp_sort_small_config_static_selectorELNS0_4arch9wavefront6targetE0EEEvSH_: ; @_ZN7rocprim17ROCPRIM_400000_NS6detail17trampoline_kernelINS0_14default_configENS1_36segmented_radix_sort_config_selectorIllEEZNS1_25segmented_radix_sort_implIS3_Lb1EPKlPlS8_S9_N2at6native12_GLOBAL__N_18offset_tEEE10hipError_tPvRmT1_PNSt15iterator_traitsISH_E10value_typeET2_T3_PNSI_ISN_E10value_typeET4_jRbjT5_ST_jjP12ihipStream_tbEUlT_E1_NS1_11comp_targetILNS1_3genE0ELNS1_11target_archE4294967295ELNS1_3gpuE0ELNS1_3repE0EEENS1_59segmented_radix_sort_warp_sort_small_config_static_selectorELNS0_4arch9wavefront6targetE0EEEvSH_
; %bb.0:
	.section	.rodata,"a",@progbits
	.p2align	6, 0x0
	.amdhsa_kernel _ZN7rocprim17ROCPRIM_400000_NS6detail17trampoline_kernelINS0_14default_configENS1_36segmented_radix_sort_config_selectorIllEEZNS1_25segmented_radix_sort_implIS3_Lb1EPKlPlS8_S9_N2at6native12_GLOBAL__N_18offset_tEEE10hipError_tPvRmT1_PNSt15iterator_traitsISH_E10value_typeET2_T3_PNSI_ISN_E10value_typeET4_jRbjT5_ST_jjP12ihipStream_tbEUlT_E1_NS1_11comp_targetILNS1_3genE0ELNS1_11target_archE4294967295ELNS1_3gpuE0ELNS1_3repE0EEENS1_59segmented_radix_sort_warp_sort_small_config_static_selectorELNS0_4arch9wavefront6targetE0EEEvSH_
		.amdhsa_group_segment_fixed_size 0
		.amdhsa_private_segment_fixed_size 0
		.amdhsa_kernarg_size 88
		.amdhsa_user_sgpr_count 2
		.amdhsa_user_sgpr_dispatch_ptr 0
		.amdhsa_user_sgpr_queue_ptr 0
		.amdhsa_user_sgpr_kernarg_segment_ptr 1
		.amdhsa_user_sgpr_dispatch_id 0
		.amdhsa_user_sgpr_private_segment_size 0
		.amdhsa_wavefront_size32 1
		.amdhsa_uses_dynamic_stack 0
		.amdhsa_enable_private_segment 0
		.amdhsa_system_sgpr_workgroup_id_x 1
		.amdhsa_system_sgpr_workgroup_id_y 0
		.amdhsa_system_sgpr_workgroup_id_z 0
		.amdhsa_system_sgpr_workgroup_info 0
		.amdhsa_system_vgpr_workitem_id 0
		.amdhsa_next_free_vgpr 1
		.amdhsa_next_free_sgpr 1
		.amdhsa_reserve_vcc 0
		.amdhsa_float_round_mode_32 0
		.amdhsa_float_round_mode_16_64 0
		.amdhsa_float_denorm_mode_32 3
		.amdhsa_float_denorm_mode_16_64 3
		.amdhsa_fp16_overflow 0
		.amdhsa_workgroup_processor_mode 1
		.amdhsa_memory_ordered 1
		.amdhsa_forward_progress 1
		.amdhsa_inst_pref_size 0
		.amdhsa_round_robin_scheduling 0
		.amdhsa_exception_fp_ieee_invalid_op 0
		.amdhsa_exception_fp_denorm_src 0
		.amdhsa_exception_fp_ieee_div_zero 0
		.amdhsa_exception_fp_ieee_overflow 0
		.amdhsa_exception_fp_ieee_underflow 0
		.amdhsa_exception_fp_ieee_inexact 0
		.amdhsa_exception_int_div_zero 0
	.end_amdhsa_kernel
	.section	.text._ZN7rocprim17ROCPRIM_400000_NS6detail17trampoline_kernelINS0_14default_configENS1_36segmented_radix_sort_config_selectorIllEEZNS1_25segmented_radix_sort_implIS3_Lb1EPKlPlS8_S9_N2at6native12_GLOBAL__N_18offset_tEEE10hipError_tPvRmT1_PNSt15iterator_traitsISH_E10value_typeET2_T3_PNSI_ISN_E10value_typeET4_jRbjT5_ST_jjP12ihipStream_tbEUlT_E1_NS1_11comp_targetILNS1_3genE0ELNS1_11target_archE4294967295ELNS1_3gpuE0ELNS1_3repE0EEENS1_59segmented_radix_sort_warp_sort_small_config_static_selectorELNS0_4arch9wavefront6targetE0EEEvSH_,"axG",@progbits,_ZN7rocprim17ROCPRIM_400000_NS6detail17trampoline_kernelINS0_14default_configENS1_36segmented_radix_sort_config_selectorIllEEZNS1_25segmented_radix_sort_implIS3_Lb1EPKlPlS8_S9_N2at6native12_GLOBAL__N_18offset_tEEE10hipError_tPvRmT1_PNSt15iterator_traitsISH_E10value_typeET2_T3_PNSI_ISN_E10value_typeET4_jRbjT5_ST_jjP12ihipStream_tbEUlT_E1_NS1_11comp_targetILNS1_3genE0ELNS1_11target_archE4294967295ELNS1_3gpuE0ELNS1_3repE0EEENS1_59segmented_radix_sort_warp_sort_small_config_static_selectorELNS0_4arch9wavefront6targetE0EEEvSH_,comdat
.Lfunc_end724:
	.size	_ZN7rocprim17ROCPRIM_400000_NS6detail17trampoline_kernelINS0_14default_configENS1_36segmented_radix_sort_config_selectorIllEEZNS1_25segmented_radix_sort_implIS3_Lb1EPKlPlS8_S9_N2at6native12_GLOBAL__N_18offset_tEEE10hipError_tPvRmT1_PNSt15iterator_traitsISH_E10value_typeET2_T3_PNSI_ISN_E10value_typeET4_jRbjT5_ST_jjP12ihipStream_tbEUlT_E1_NS1_11comp_targetILNS1_3genE0ELNS1_11target_archE4294967295ELNS1_3gpuE0ELNS1_3repE0EEENS1_59segmented_radix_sort_warp_sort_small_config_static_selectorELNS0_4arch9wavefront6targetE0EEEvSH_, .Lfunc_end724-_ZN7rocprim17ROCPRIM_400000_NS6detail17trampoline_kernelINS0_14default_configENS1_36segmented_radix_sort_config_selectorIllEEZNS1_25segmented_radix_sort_implIS3_Lb1EPKlPlS8_S9_N2at6native12_GLOBAL__N_18offset_tEEE10hipError_tPvRmT1_PNSt15iterator_traitsISH_E10value_typeET2_T3_PNSI_ISN_E10value_typeET4_jRbjT5_ST_jjP12ihipStream_tbEUlT_E1_NS1_11comp_targetILNS1_3genE0ELNS1_11target_archE4294967295ELNS1_3gpuE0ELNS1_3repE0EEENS1_59segmented_radix_sort_warp_sort_small_config_static_selectorELNS0_4arch9wavefront6targetE0EEEvSH_
                                        ; -- End function
	.set _ZN7rocprim17ROCPRIM_400000_NS6detail17trampoline_kernelINS0_14default_configENS1_36segmented_radix_sort_config_selectorIllEEZNS1_25segmented_radix_sort_implIS3_Lb1EPKlPlS8_S9_N2at6native12_GLOBAL__N_18offset_tEEE10hipError_tPvRmT1_PNSt15iterator_traitsISH_E10value_typeET2_T3_PNSI_ISN_E10value_typeET4_jRbjT5_ST_jjP12ihipStream_tbEUlT_E1_NS1_11comp_targetILNS1_3genE0ELNS1_11target_archE4294967295ELNS1_3gpuE0ELNS1_3repE0EEENS1_59segmented_radix_sort_warp_sort_small_config_static_selectorELNS0_4arch9wavefront6targetE0EEEvSH_.num_vgpr, 0
	.set _ZN7rocprim17ROCPRIM_400000_NS6detail17trampoline_kernelINS0_14default_configENS1_36segmented_radix_sort_config_selectorIllEEZNS1_25segmented_radix_sort_implIS3_Lb1EPKlPlS8_S9_N2at6native12_GLOBAL__N_18offset_tEEE10hipError_tPvRmT1_PNSt15iterator_traitsISH_E10value_typeET2_T3_PNSI_ISN_E10value_typeET4_jRbjT5_ST_jjP12ihipStream_tbEUlT_E1_NS1_11comp_targetILNS1_3genE0ELNS1_11target_archE4294967295ELNS1_3gpuE0ELNS1_3repE0EEENS1_59segmented_radix_sort_warp_sort_small_config_static_selectorELNS0_4arch9wavefront6targetE0EEEvSH_.num_agpr, 0
	.set _ZN7rocprim17ROCPRIM_400000_NS6detail17trampoline_kernelINS0_14default_configENS1_36segmented_radix_sort_config_selectorIllEEZNS1_25segmented_radix_sort_implIS3_Lb1EPKlPlS8_S9_N2at6native12_GLOBAL__N_18offset_tEEE10hipError_tPvRmT1_PNSt15iterator_traitsISH_E10value_typeET2_T3_PNSI_ISN_E10value_typeET4_jRbjT5_ST_jjP12ihipStream_tbEUlT_E1_NS1_11comp_targetILNS1_3genE0ELNS1_11target_archE4294967295ELNS1_3gpuE0ELNS1_3repE0EEENS1_59segmented_radix_sort_warp_sort_small_config_static_selectorELNS0_4arch9wavefront6targetE0EEEvSH_.numbered_sgpr, 0
	.set _ZN7rocprim17ROCPRIM_400000_NS6detail17trampoline_kernelINS0_14default_configENS1_36segmented_radix_sort_config_selectorIllEEZNS1_25segmented_radix_sort_implIS3_Lb1EPKlPlS8_S9_N2at6native12_GLOBAL__N_18offset_tEEE10hipError_tPvRmT1_PNSt15iterator_traitsISH_E10value_typeET2_T3_PNSI_ISN_E10value_typeET4_jRbjT5_ST_jjP12ihipStream_tbEUlT_E1_NS1_11comp_targetILNS1_3genE0ELNS1_11target_archE4294967295ELNS1_3gpuE0ELNS1_3repE0EEENS1_59segmented_radix_sort_warp_sort_small_config_static_selectorELNS0_4arch9wavefront6targetE0EEEvSH_.num_named_barrier, 0
	.set _ZN7rocprim17ROCPRIM_400000_NS6detail17trampoline_kernelINS0_14default_configENS1_36segmented_radix_sort_config_selectorIllEEZNS1_25segmented_radix_sort_implIS3_Lb1EPKlPlS8_S9_N2at6native12_GLOBAL__N_18offset_tEEE10hipError_tPvRmT1_PNSt15iterator_traitsISH_E10value_typeET2_T3_PNSI_ISN_E10value_typeET4_jRbjT5_ST_jjP12ihipStream_tbEUlT_E1_NS1_11comp_targetILNS1_3genE0ELNS1_11target_archE4294967295ELNS1_3gpuE0ELNS1_3repE0EEENS1_59segmented_radix_sort_warp_sort_small_config_static_selectorELNS0_4arch9wavefront6targetE0EEEvSH_.private_seg_size, 0
	.set _ZN7rocprim17ROCPRIM_400000_NS6detail17trampoline_kernelINS0_14default_configENS1_36segmented_radix_sort_config_selectorIllEEZNS1_25segmented_radix_sort_implIS3_Lb1EPKlPlS8_S9_N2at6native12_GLOBAL__N_18offset_tEEE10hipError_tPvRmT1_PNSt15iterator_traitsISH_E10value_typeET2_T3_PNSI_ISN_E10value_typeET4_jRbjT5_ST_jjP12ihipStream_tbEUlT_E1_NS1_11comp_targetILNS1_3genE0ELNS1_11target_archE4294967295ELNS1_3gpuE0ELNS1_3repE0EEENS1_59segmented_radix_sort_warp_sort_small_config_static_selectorELNS0_4arch9wavefront6targetE0EEEvSH_.uses_vcc, 0
	.set _ZN7rocprim17ROCPRIM_400000_NS6detail17trampoline_kernelINS0_14default_configENS1_36segmented_radix_sort_config_selectorIllEEZNS1_25segmented_radix_sort_implIS3_Lb1EPKlPlS8_S9_N2at6native12_GLOBAL__N_18offset_tEEE10hipError_tPvRmT1_PNSt15iterator_traitsISH_E10value_typeET2_T3_PNSI_ISN_E10value_typeET4_jRbjT5_ST_jjP12ihipStream_tbEUlT_E1_NS1_11comp_targetILNS1_3genE0ELNS1_11target_archE4294967295ELNS1_3gpuE0ELNS1_3repE0EEENS1_59segmented_radix_sort_warp_sort_small_config_static_selectorELNS0_4arch9wavefront6targetE0EEEvSH_.uses_flat_scratch, 0
	.set _ZN7rocprim17ROCPRIM_400000_NS6detail17trampoline_kernelINS0_14default_configENS1_36segmented_radix_sort_config_selectorIllEEZNS1_25segmented_radix_sort_implIS3_Lb1EPKlPlS8_S9_N2at6native12_GLOBAL__N_18offset_tEEE10hipError_tPvRmT1_PNSt15iterator_traitsISH_E10value_typeET2_T3_PNSI_ISN_E10value_typeET4_jRbjT5_ST_jjP12ihipStream_tbEUlT_E1_NS1_11comp_targetILNS1_3genE0ELNS1_11target_archE4294967295ELNS1_3gpuE0ELNS1_3repE0EEENS1_59segmented_radix_sort_warp_sort_small_config_static_selectorELNS0_4arch9wavefront6targetE0EEEvSH_.has_dyn_sized_stack, 0
	.set _ZN7rocprim17ROCPRIM_400000_NS6detail17trampoline_kernelINS0_14default_configENS1_36segmented_radix_sort_config_selectorIllEEZNS1_25segmented_radix_sort_implIS3_Lb1EPKlPlS8_S9_N2at6native12_GLOBAL__N_18offset_tEEE10hipError_tPvRmT1_PNSt15iterator_traitsISH_E10value_typeET2_T3_PNSI_ISN_E10value_typeET4_jRbjT5_ST_jjP12ihipStream_tbEUlT_E1_NS1_11comp_targetILNS1_3genE0ELNS1_11target_archE4294967295ELNS1_3gpuE0ELNS1_3repE0EEENS1_59segmented_radix_sort_warp_sort_small_config_static_selectorELNS0_4arch9wavefront6targetE0EEEvSH_.has_recursion, 0
	.set _ZN7rocprim17ROCPRIM_400000_NS6detail17trampoline_kernelINS0_14default_configENS1_36segmented_radix_sort_config_selectorIllEEZNS1_25segmented_radix_sort_implIS3_Lb1EPKlPlS8_S9_N2at6native12_GLOBAL__N_18offset_tEEE10hipError_tPvRmT1_PNSt15iterator_traitsISH_E10value_typeET2_T3_PNSI_ISN_E10value_typeET4_jRbjT5_ST_jjP12ihipStream_tbEUlT_E1_NS1_11comp_targetILNS1_3genE0ELNS1_11target_archE4294967295ELNS1_3gpuE0ELNS1_3repE0EEENS1_59segmented_radix_sort_warp_sort_small_config_static_selectorELNS0_4arch9wavefront6targetE0EEEvSH_.has_indirect_call, 0
	.section	.AMDGPU.csdata,"",@progbits
; Kernel info:
; codeLenInByte = 0
; TotalNumSgprs: 0
; NumVgprs: 0
; ScratchSize: 0
; MemoryBound: 0
; FloatMode: 240
; IeeeMode: 1
; LDSByteSize: 0 bytes/workgroup (compile time only)
; SGPRBlocks: 0
; VGPRBlocks: 0
; NumSGPRsForWavesPerEU: 1
; NumVGPRsForWavesPerEU: 1
; Occupancy: 16
; WaveLimiterHint : 0
; COMPUTE_PGM_RSRC2:SCRATCH_EN: 0
; COMPUTE_PGM_RSRC2:USER_SGPR: 2
; COMPUTE_PGM_RSRC2:TRAP_HANDLER: 0
; COMPUTE_PGM_RSRC2:TGID_X_EN: 1
; COMPUTE_PGM_RSRC2:TGID_Y_EN: 0
; COMPUTE_PGM_RSRC2:TGID_Z_EN: 0
; COMPUTE_PGM_RSRC2:TIDIG_COMP_CNT: 0
	.section	.text._ZN7rocprim17ROCPRIM_400000_NS6detail17trampoline_kernelINS0_14default_configENS1_36segmented_radix_sort_config_selectorIllEEZNS1_25segmented_radix_sort_implIS3_Lb1EPKlPlS8_S9_N2at6native12_GLOBAL__N_18offset_tEEE10hipError_tPvRmT1_PNSt15iterator_traitsISH_E10value_typeET2_T3_PNSI_ISN_E10value_typeET4_jRbjT5_ST_jjP12ihipStream_tbEUlT_E1_NS1_11comp_targetILNS1_3genE5ELNS1_11target_archE942ELNS1_3gpuE9ELNS1_3repE0EEENS1_59segmented_radix_sort_warp_sort_small_config_static_selectorELNS0_4arch9wavefront6targetE0EEEvSH_,"axG",@progbits,_ZN7rocprim17ROCPRIM_400000_NS6detail17trampoline_kernelINS0_14default_configENS1_36segmented_radix_sort_config_selectorIllEEZNS1_25segmented_radix_sort_implIS3_Lb1EPKlPlS8_S9_N2at6native12_GLOBAL__N_18offset_tEEE10hipError_tPvRmT1_PNSt15iterator_traitsISH_E10value_typeET2_T3_PNSI_ISN_E10value_typeET4_jRbjT5_ST_jjP12ihipStream_tbEUlT_E1_NS1_11comp_targetILNS1_3genE5ELNS1_11target_archE942ELNS1_3gpuE9ELNS1_3repE0EEENS1_59segmented_radix_sort_warp_sort_small_config_static_selectorELNS0_4arch9wavefront6targetE0EEEvSH_,comdat
	.globl	_ZN7rocprim17ROCPRIM_400000_NS6detail17trampoline_kernelINS0_14default_configENS1_36segmented_radix_sort_config_selectorIllEEZNS1_25segmented_radix_sort_implIS3_Lb1EPKlPlS8_S9_N2at6native12_GLOBAL__N_18offset_tEEE10hipError_tPvRmT1_PNSt15iterator_traitsISH_E10value_typeET2_T3_PNSI_ISN_E10value_typeET4_jRbjT5_ST_jjP12ihipStream_tbEUlT_E1_NS1_11comp_targetILNS1_3genE5ELNS1_11target_archE942ELNS1_3gpuE9ELNS1_3repE0EEENS1_59segmented_radix_sort_warp_sort_small_config_static_selectorELNS0_4arch9wavefront6targetE0EEEvSH_ ; -- Begin function _ZN7rocprim17ROCPRIM_400000_NS6detail17trampoline_kernelINS0_14default_configENS1_36segmented_radix_sort_config_selectorIllEEZNS1_25segmented_radix_sort_implIS3_Lb1EPKlPlS8_S9_N2at6native12_GLOBAL__N_18offset_tEEE10hipError_tPvRmT1_PNSt15iterator_traitsISH_E10value_typeET2_T3_PNSI_ISN_E10value_typeET4_jRbjT5_ST_jjP12ihipStream_tbEUlT_E1_NS1_11comp_targetILNS1_3genE5ELNS1_11target_archE942ELNS1_3gpuE9ELNS1_3repE0EEENS1_59segmented_radix_sort_warp_sort_small_config_static_selectorELNS0_4arch9wavefront6targetE0EEEvSH_
	.p2align	8
	.type	_ZN7rocprim17ROCPRIM_400000_NS6detail17trampoline_kernelINS0_14default_configENS1_36segmented_radix_sort_config_selectorIllEEZNS1_25segmented_radix_sort_implIS3_Lb1EPKlPlS8_S9_N2at6native12_GLOBAL__N_18offset_tEEE10hipError_tPvRmT1_PNSt15iterator_traitsISH_E10value_typeET2_T3_PNSI_ISN_E10value_typeET4_jRbjT5_ST_jjP12ihipStream_tbEUlT_E1_NS1_11comp_targetILNS1_3genE5ELNS1_11target_archE942ELNS1_3gpuE9ELNS1_3repE0EEENS1_59segmented_radix_sort_warp_sort_small_config_static_selectorELNS0_4arch9wavefront6targetE0EEEvSH_,@function
_ZN7rocprim17ROCPRIM_400000_NS6detail17trampoline_kernelINS0_14default_configENS1_36segmented_radix_sort_config_selectorIllEEZNS1_25segmented_radix_sort_implIS3_Lb1EPKlPlS8_S9_N2at6native12_GLOBAL__N_18offset_tEEE10hipError_tPvRmT1_PNSt15iterator_traitsISH_E10value_typeET2_T3_PNSI_ISN_E10value_typeET4_jRbjT5_ST_jjP12ihipStream_tbEUlT_E1_NS1_11comp_targetILNS1_3genE5ELNS1_11target_archE942ELNS1_3gpuE9ELNS1_3repE0EEENS1_59segmented_radix_sort_warp_sort_small_config_static_selectorELNS0_4arch9wavefront6targetE0EEEvSH_: ; @_ZN7rocprim17ROCPRIM_400000_NS6detail17trampoline_kernelINS0_14default_configENS1_36segmented_radix_sort_config_selectorIllEEZNS1_25segmented_radix_sort_implIS3_Lb1EPKlPlS8_S9_N2at6native12_GLOBAL__N_18offset_tEEE10hipError_tPvRmT1_PNSt15iterator_traitsISH_E10value_typeET2_T3_PNSI_ISN_E10value_typeET4_jRbjT5_ST_jjP12ihipStream_tbEUlT_E1_NS1_11comp_targetILNS1_3genE5ELNS1_11target_archE942ELNS1_3gpuE9ELNS1_3repE0EEENS1_59segmented_radix_sort_warp_sort_small_config_static_selectorELNS0_4arch9wavefront6targetE0EEEvSH_
; %bb.0:
	.section	.rodata,"a",@progbits
	.p2align	6, 0x0
	.amdhsa_kernel _ZN7rocprim17ROCPRIM_400000_NS6detail17trampoline_kernelINS0_14default_configENS1_36segmented_radix_sort_config_selectorIllEEZNS1_25segmented_radix_sort_implIS3_Lb1EPKlPlS8_S9_N2at6native12_GLOBAL__N_18offset_tEEE10hipError_tPvRmT1_PNSt15iterator_traitsISH_E10value_typeET2_T3_PNSI_ISN_E10value_typeET4_jRbjT5_ST_jjP12ihipStream_tbEUlT_E1_NS1_11comp_targetILNS1_3genE5ELNS1_11target_archE942ELNS1_3gpuE9ELNS1_3repE0EEENS1_59segmented_radix_sort_warp_sort_small_config_static_selectorELNS0_4arch9wavefront6targetE0EEEvSH_
		.amdhsa_group_segment_fixed_size 0
		.amdhsa_private_segment_fixed_size 0
		.amdhsa_kernarg_size 88
		.amdhsa_user_sgpr_count 2
		.amdhsa_user_sgpr_dispatch_ptr 0
		.amdhsa_user_sgpr_queue_ptr 0
		.amdhsa_user_sgpr_kernarg_segment_ptr 1
		.amdhsa_user_sgpr_dispatch_id 0
		.amdhsa_user_sgpr_private_segment_size 0
		.amdhsa_wavefront_size32 1
		.amdhsa_uses_dynamic_stack 0
		.amdhsa_enable_private_segment 0
		.amdhsa_system_sgpr_workgroup_id_x 1
		.amdhsa_system_sgpr_workgroup_id_y 0
		.amdhsa_system_sgpr_workgroup_id_z 0
		.amdhsa_system_sgpr_workgroup_info 0
		.amdhsa_system_vgpr_workitem_id 0
		.amdhsa_next_free_vgpr 1
		.amdhsa_next_free_sgpr 1
		.amdhsa_reserve_vcc 0
		.amdhsa_float_round_mode_32 0
		.amdhsa_float_round_mode_16_64 0
		.amdhsa_float_denorm_mode_32 3
		.amdhsa_float_denorm_mode_16_64 3
		.amdhsa_fp16_overflow 0
		.amdhsa_workgroup_processor_mode 1
		.amdhsa_memory_ordered 1
		.amdhsa_forward_progress 1
		.amdhsa_inst_pref_size 0
		.amdhsa_round_robin_scheduling 0
		.amdhsa_exception_fp_ieee_invalid_op 0
		.amdhsa_exception_fp_denorm_src 0
		.amdhsa_exception_fp_ieee_div_zero 0
		.amdhsa_exception_fp_ieee_overflow 0
		.amdhsa_exception_fp_ieee_underflow 0
		.amdhsa_exception_fp_ieee_inexact 0
		.amdhsa_exception_int_div_zero 0
	.end_amdhsa_kernel
	.section	.text._ZN7rocprim17ROCPRIM_400000_NS6detail17trampoline_kernelINS0_14default_configENS1_36segmented_radix_sort_config_selectorIllEEZNS1_25segmented_radix_sort_implIS3_Lb1EPKlPlS8_S9_N2at6native12_GLOBAL__N_18offset_tEEE10hipError_tPvRmT1_PNSt15iterator_traitsISH_E10value_typeET2_T3_PNSI_ISN_E10value_typeET4_jRbjT5_ST_jjP12ihipStream_tbEUlT_E1_NS1_11comp_targetILNS1_3genE5ELNS1_11target_archE942ELNS1_3gpuE9ELNS1_3repE0EEENS1_59segmented_radix_sort_warp_sort_small_config_static_selectorELNS0_4arch9wavefront6targetE0EEEvSH_,"axG",@progbits,_ZN7rocprim17ROCPRIM_400000_NS6detail17trampoline_kernelINS0_14default_configENS1_36segmented_radix_sort_config_selectorIllEEZNS1_25segmented_radix_sort_implIS3_Lb1EPKlPlS8_S9_N2at6native12_GLOBAL__N_18offset_tEEE10hipError_tPvRmT1_PNSt15iterator_traitsISH_E10value_typeET2_T3_PNSI_ISN_E10value_typeET4_jRbjT5_ST_jjP12ihipStream_tbEUlT_E1_NS1_11comp_targetILNS1_3genE5ELNS1_11target_archE942ELNS1_3gpuE9ELNS1_3repE0EEENS1_59segmented_radix_sort_warp_sort_small_config_static_selectorELNS0_4arch9wavefront6targetE0EEEvSH_,comdat
.Lfunc_end725:
	.size	_ZN7rocprim17ROCPRIM_400000_NS6detail17trampoline_kernelINS0_14default_configENS1_36segmented_radix_sort_config_selectorIllEEZNS1_25segmented_radix_sort_implIS3_Lb1EPKlPlS8_S9_N2at6native12_GLOBAL__N_18offset_tEEE10hipError_tPvRmT1_PNSt15iterator_traitsISH_E10value_typeET2_T3_PNSI_ISN_E10value_typeET4_jRbjT5_ST_jjP12ihipStream_tbEUlT_E1_NS1_11comp_targetILNS1_3genE5ELNS1_11target_archE942ELNS1_3gpuE9ELNS1_3repE0EEENS1_59segmented_radix_sort_warp_sort_small_config_static_selectorELNS0_4arch9wavefront6targetE0EEEvSH_, .Lfunc_end725-_ZN7rocprim17ROCPRIM_400000_NS6detail17trampoline_kernelINS0_14default_configENS1_36segmented_radix_sort_config_selectorIllEEZNS1_25segmented_radix_sort_implIS3_Lb1EPKlPlS8_S9_N2at6native12_GLOBAL__N_18offset_tEEE10hipError_tPvRmT1_PNSt15iterator_traitsISH_E10value_typeET2_T3_PNSI_ISN_E10value_typeET4_jRbjT5_ST_jjP12ihipStream_tbEUlT_E1_NS1_11comp_targetILNS1_3genE5ELNS1_11target_archE942ELNS1_3gpuE9ELNS1_3repE0EEENS1_59segmented_radix_sort_warp_sort_small_config_static_selectorELNS0_4arch9wavefront6targetE0EEEvSH_
                                        ; -- End function
	.set _ZN7rocprim17ROCPRIM_400000_NS6detail17trampoline_kernelINS0_14default_configENS1_36segmented_radix_sort_config_selectorIllEEZNS1_25segmented_radix_sort_implIS3_Lb1EPKlPlS8_S9_N2at6native12_GLOBAL__N_18offset_tEEE10hipError_tPvRmT1_PNSt15iterator_traitsISH_E10value_typeET2_T3_PNSI_ISN_E10value_typeET4_jRbjT5_ST_jjP12ihipStream_tbEUlT_E1_NS1_11comp_targetILNS1_3genE5ELNS1_11target_archE942ELNS1_3gpuE9ELNS1_3repE0EEENS1_59segmented_radix_sort_warp_sort_small_config_static_selectorELNS0_4arch9wavefront6targetE0EEEvSH_.num_vgpr, 0
	.set _ZN7rocprim17ROCPRIM_400000_NS6detail17trampoline_kernelINS0_14default_configENS1_36segmented_radix_sort_config_selectorIllEEZNS1_25segmented_radix_sort_implIS3_Lb1EPKlPlS8_S9_N2at6native12_GLOBAL__N_18offset_tEEE10hipError_tPvRmT1_PNSt15iterator_traitsISH_E10value_typeET2_T3_PNSI_ISN_E10value_typeET4_jRbjT5_ST_jjP12ihipStream_tbEUlT_E1_NS1_11comp_targetILNS1_3genE5ELNS1_11target_archE942ELNS1_3gpuE9ELNS1_3repE0EEENS1_59segmented_radix_sort_warp_sort_small_config_static_selectorELNS0_4arch9wavefront6targetE0EEEvSH_.num_agpr, 0
	.set _ZN7rocprim17ROCPRIM_400000_NS6detail17trampoline_kernelINS0_14default_configENS1_36segmented_radix_sort_config_selectorIllEEZNS1_25segmented_radix_sort_implIS3_Lb1EPKlPlS8_S9_N2at6native12_GLOBAL__N_18offset_tEEE10hipError_tPvRmT1_PNSt15iterator_traitsISH_E10value_typeET2_T3_PNSI_ISN_E10value_typeET4_jRbjT5_ST_jjP12ihipStream_tbEUlT_E1_NS1_11comp_targetILNS1_3genE5ELNS1_11target_archE942ELNS1_3gpuE9ELNS1_3repE0EEENS1_59segmented_radix_sort_warp_sort_small_config_static_selectorELNS0_4arch9wavefront6targetE0EEEvSH_.numbered_sgpr, 0
	.set _ZN7rocprim17ROCPRIM_400000_NS6detail17trampoline_kernelINS0_14default_configENS1_36segmented_radix_sort_config_selectorIllEEZNS1_25segmented_radix_sort_implIS3_Lb1EPKlPlS8_S9_N2at6native12_GLOBAL__N_18offset_tEEE10hipError_tPvRmT1_PNSt15iterator_traitsISH_E10value_typeET2_T3_PNSI_ISN_E10value_typeET4_jRbjT5_ST_jjP12ihipStream_tbEUlT_E1_NS1_11comp_targetILNS1_3genE5ELNS1_11target_archE942ELNS1_3gpuE9ELNS1_3repE0EEENS1_59segmented_radix_sort_warp_sort_small_config_static_selectorELNS0_4arch9wavefront6targetE0EEEvSH_.num_named_barrier, 0
	.set _ZN7rocprim17ROCPRIM_400000_NS6detail17trampoline_kernelINS0_14default_configENS1_36segmented_radix_sort_config_selectorIllEEZNS1_25segmented_radix_sort_implIS3_Lb1EPKlPlS8_S9_N2at6native12_GLOBAL__N_18offset_tEEE10hipError_tPvRmT1_PNSt15iterator_traitsISH_E10value_typeET2_T3_PNSI_ISN_E10value_typeET4_jRbjT5_ST_jjP12ihipStream_tbEUlT_E1_NS1_11comp_targetILNS1_3genE5ELNS1_11target_archE942ELNS1_3gpuE9ELNS1_3repE0EEENS1_59segmented_radix_sort_warp_sort_small_config_static_selectorELNS0_4arch9wavefront6targetE0EEEvSH_.private_seg_size, 0
	.set _ZN7rocprim17ROCPRIM_400000_NS6detail17trampoline_kernelINS0_14default_configENS1_36segmented_radix_sort_config_selectorIllEEZNS1_25segmented_radix_sort_implIS3_Lb1EPKlPlS8_S9_N2at6native12_GLOBAL__N_18offset_tEEE10hipError_tPvRmT1_PNSt15iterator_traitsISH_E10value_typeET2_T3_PNSI_ISN_E10value_typeET4_jRbjT5_ST_jjP12ihipStream_tbEUlT_E1_NS1_11comp_targetILNS1_3genE5ELNS1_11target_archE942ELNS1_3gpuE9ELNS1_3repE0EEENS1_59segmented_radix_sort_warp_sort_small_config_static_selectorELNS0_4arch9wavefront6targetE0EEEvSH_.uses_vcc, 0
	.set _ZN7rocprim17ROCPRIM_400000_NS6detail17trampoline_kernelINS0_14default_configENS1_36segmented_radix_sort_config_selectorIllEEZNS1_25segmented_radix_sort_implIS3_Lb1EPKlPlS8_S9_N2at6native12_GLOBAL__N_18offset_tEEE10hipError_tPvRmT1_PNSt15iterator_traitsISH_E10value_typeET2_T3_PNSI_ISN_E10value_typeET4_jRbjT5_ST_jjP12ihipStream_tbEUlT_E1_NS1_11comp_targetILNS1_3genE5ELNS1_11target_archE942ELNS1_3gpuE9ELNS1_3repE0EEENS1_59segmented_radix_sort_warp_sort_small_config_static_selectorELNS0_4arch9wavefront6targetE0EEEvSH_.uses_flat_scratch, 0
	.set _ZN7rocprim17ROCPRIM_400000_NS6detail17trampoline_kernelINS0_14default_configENS1_36segmented_radix_sort_config_selectorIllEEZNS1_25segmented_radix_sort_implIS3_Lb1EPKlPlS8_S9_N2at6native12_GLOBAL__N_18offset_tEEE10hipError_tPvRmT1_PNSt15iterator_traitsISH_E10value_typeET2_T3_PNSI_ISN_E10value_typeET4_jRbjT5_ST_jjP12ihipStream_tbEUlT_E1_NS1_11comp_targetILNS1_3genE5ELNS1_11target_archE942ELNS1_3gpuE9ELNS1_3repE0EEENS1_59segmented_radix_sort_warp_sort_small_config_static_selectorELNS0_4arch9wavefront6targetE0EEEvSH_.has_dyn_sized_stack, 0
	.set _ZN7rocprim17ROCPRIM_400000_NS6detail17trampoline_kernelINS0_14default_configENS1_36segmented_radix_sort_config_selectorIllEEZNS1_25segmented_radix_sort_implIS3_Lb1EPKlPlS8_S9_N2at6native12_GLOBAL__N_18offset_tEEE10hipError_tPvRmT1_PNSt15iterator_traitsISH_E10value_typeET2_T3_PNSI_ISN_E10value_typeET4_jRbjT5_ST_jjP12ihipStream_tbEUlT_E1_NS1_11comp_targetILNS1_3genE5ELNS1_11target_archE942ELNS1_3gpuE9ELNS1_3repE0EEENS1_59segmented_radix_sort_warp_sort_small_config_static_selectorELNS0_4arch9wavefront6targetE0EEEvSH_.has_recursion, 0
	.set _ZN7rocprim17ROCPRIM_400000_NS6detail17trampoline_kernelINS0_14default_configENS1_36segmented_radix_sort_config_selectorIllEEZNS1_25segmented_radix_sort_implIS3_Lb1EPKlPlS8_S9_N2at6native12_GLOBAL__N_18offset_tEEE10hipError_tPvRmT1_PNSt15iterator_traitsISH_E10value_typeET2_T3_PNSI_ISN_E10value_typeET4_jRbjT5_ST_jjP12ihipStream_tbEUlT_E1_NS1_11comp_targetILNS1_3genE5ELNS1_11target_archE942ELNS1_3gpuE9ELNS1_3repE0EEENS1_59segmented_radix_sort_warp_sort_small_config_static_selectorELNS0_4arch9wavefront6targetE0EEEvSH_.has_indirect_call, 0
	.section	.AMDGPU.csdata,"",@progbits
; Kernel info:
; codeLenInByte = 0
; TotalNumSgprs: 0
; NumVgprs: 0
; ScratchSize: 0
; MemoryBound: 0
; FloatMode: 240
; IeeeMode: 1
; LDSByteSize: 0 bytes/workgroup (compile time only)
; SGPRBlocks: 0
; VGPRBlocks: 0
; NumSGPRsForWavesPerEU: 1
; NumVGPRsForWavesPerEU: 1
; Occupancy: 16
; WaveLimiterHint : 0
; COMPUTE_PGM_RSRC2:SCRATCH_EN: 0
; COMPUTE_PGM_RSRC2:USER_SGPR: 2
; COMPUTE_PGM_RSRC2:TRAP_HANDLER: 0
; COMPUTE_PGM_RSRC2:TGID_X_EN: 1
; COMPUTE_PGM_RSRC2:TGID_Y_EN: 0
; COMPUTE_PGM_RSRC2:TGID_Z_EN: 0
; COMPUTE_PGM_RSRC2:TIDIG_COMP_CNT: 0
	.section	.text._ZN7rocprim17ROCPRIM_400000_NS6detail17trampoline_kernelINS0_14default_configENS1_36segmented_radix_sort_config_selectorIllEEZNS1_25segmented_radix_sort_implIS3_Lb1EPKlPlS8_S9_N2at6native12_GLOBAL__N_18offset_tEEE10hipError_tPvRmT1_PNSt15iterator_traitsISH_E10value_typeET2_T3_PNSI_ISN_E10value_typeET4_jRbjT5_ST_jjP12ihipStream_tbEUlT_E1_NS1_11comp_targetILNS1_3genE4ELNS1_11target_archE910ELNS1_3gpuE8ELNS1_3repE0EEENS1_59segmented_radix_sort_warp_sort_small_config_static_selectorELNS0_4arch9wavefront6targetE0EEEvSH_,"axG",@progbits,_ZN7rocprim17ROCPRIM_400000_NS6detail17trampoline_kernelINS0_14default_configENS1_36segmented_radix_sort_config_selectorIllEEZNS1_25segmented_radix_sort_implIS3_Lb1EPKlPlS8_S9_N2at6native12_GLOBAL__N_18offset_tEEE10hipError_tPvRmT1_PNSt15iterator_traitsISH_E10value_typeET2_T3_PNSI_ISN_E10value_typeET4_jRbjT5_ST_jjP12ihipStream_tbEUlT_E1_NS1_11comp_targetILNS1_3genE4ELNS1_11target_archE910ELNS1_3gpuE8ELNS1_3repE0EEENS1_59segmented_radix_sort_warp_sort_small_config_static_selectorELNS0_4arch9wavefront6targetE0EEEvSH_,comdat
	.globl	_ZN7rocprim17ROCPRIM_400000_NS6detail17trampoline_kernelINS0_14default_configENS1_36segmented_radix_sort_config_selectorIllEEZNS1_25segmented_radix_sort_implIS3_Lb1EPKlPlS8_S9_N2at6native12_GLOBAL__N_18offset_tEEE10hipError_tPvRmT1_PNSt15iterator_traitsISH_E10value_typeET2_T3_PNSI_ISN_E10value_typeET4_jRbjT5_ST_jjP12ihipStream_tbEUlT_E1_NS1_11comp_targetILNS1_3genE4ELNS1_11target_archE910ELNS1_3gpuE8ELNS1_3repE0EEENS1_59segmented_radix_sort_warp_sort_small_config_static_selectorELNS0_4arch9wavefront6targetE0EEEvSH_ ; -- Begin function _ZN7rocprim17ROCPRIM_400000_NS6detail17trampoline_kernelINS0_14default_configENS1_36segmented_radix_sort_config_selectorIllEEZNS1_25segmented_radix_sort_implIS3_Lb1EPKlPlS8_S9_N2at6native12_GLOBAL__N_18offset_tEEE10hipError_tPvRmT1_PNSt15iterator_traitsISH_E10value_typeET2_T3_PNSI_ISN_E10value_typeET4_jRbjT5_ST_jjP12ihipStream_tbEUlT_E1_NS1_11comp_targetILNS1_3genE4ELNS1_11target_archE910ELNS1_3gpuE8ELNS1_3repE0EEENS1_59segmented_radix_sort_warp_sort_small_config_static_selectorELNS0_4arch9wavefront6targetE0EEEvSH_
	.p2align	8
	.type	_ZN7rocprim17ROCPRIM_400000_NS6detail17trampoline_kernelINS0_14default_configENS1_36segmented_radix_sort_config_selectorIllEEZNS1_25segmented_radix_sort_implIS3_Lb1EPKlPlS8_S9_N2at6native12_GLOBAL__N_18offset_tEEE10hipError_tPvRmT1_PNSt15iterator_traitsISH_E10value_typeET2_T3_PNSI_ISN_E10value_typeET4_jRbjT5_ST_jjP12ihipStream_tbEUlT_E1_NS1_11comp_targetILNS1_3genE4ELNS1_11target_archE910ELNS1_3gpuE8ELNS1_3repE0EEENS1_59segmented_radix_sort_warp_sort_small_config_static_selectorELNS0_4arch9wavefront6targetE0EEEvSH_,@function
_ZN7rocprim17ROCPRIM_400000_NS6detail17trampoline_kernelINS0_14default_configENS1_36segmented_radix_sort_config_selectorIllEEZNS1_25segmented_radix_sort_implIS3_Lb1EPKlPlS8_S9_N2at6native12_GLOBAL__N_18offset_tEEE10hipError_tPvRmT1_PNSt15iterator_traitsISH_E10value_typeET2_T3_PNSI_ISN_E10value_typeET4_jRbjT5_ST_jjP12ihipStream_tbEUlT_E1_NS1_11comp_targetILNS1_3genE4ELNS1_11target_archE910ELNS1_3gpuE8ELNS1_3repE0EEENS1_59segmented_radix_sort_warp_sort_small_config_static_selectorELNS0_4arch9wavefront6targetE0EEEvSH_: ; @_ZN7rocprim17ROCPRIM_400000_NS6detail17trampoline_kernelINS0_14default_configENS1_36segmented_radix_sort_config_selectorIllEEZNS1_25segmented_radix_sort_implIS3_Lb1EPKlPlS8_S9_N2at6native12_GLOBAL__N_18offset_tEEE10hipError_tPvRmT1_PNSt15iterator_traitsISH_E10value_typeET2_T3_PNSI_ISN_E10value_typeET4_jRbjT5_ST_jjP12ihipStream_tbEUlT_E1_NS1_11comp_targetILNS1_3genE4ELNS1_11target_archE910ELNS1_3gpuE8ELNS1_3repE0EEENS1_59segmented_radix_sort_warp_sort_small_config_static_selectorELNS0_4arch9wavefront6targetE0EEEvSH_
; %bb.0:
	.section	.rodata,"a",@progbits
	.p2align	6, 0x0
	.amdhsa_kernel _ZN7rocprim17ROCPRIM_400000_NS6detail17trampoline_kernelINS0_14default_configENS1_36segmented_radix_sort_config_selectorIllEEZNS1_25segmented_radix_sort_implIS3_Lb1EPKlPlS8_S9_N2at6native12_GLOBAL__N_18offset_tEEE10hipError_tPvRmT1_PNSt15iterator_traitsISH_E10value_typeET2_T3_PNSI_ISN_E10value_typeET4_jRbjT5_ST_jjP12ihipStream_tbEUlT_E1_NS1_11comp_targetILNS1_3genE4ELNS1_11target_archE910ELNS1_3gpuE8ELNS1_3repE0EEENS1_59segmented_radix_sort_warp_sort_small_config_static_selectorELNS0_4arch9wavefront6targetE0EEEvSH_
		.amdhsa_group_segment_fixed_size 0
		.amdhsa_private_segment_fixed_size 0
		.amdhsa_kernarg_size 88
		.amdhsa_user_sgpr_count 2
		.amdhsa_user_sgpr_dispatch_ptr 0
		.amdhsa_user_sgpr_queue_ptr 0
		.amdhsa_user_sgpr_kernarg_segment_ptr 1
		.amdhsa_user_sgpr_dispatch_id 0
		.amdhsa_user_sgpr_private_segment_size 0
		.amdhsa_wavefront_size32 1
		.amdhsa_uses_dynamic_stack 0
		.amdhsa_enable_private_segment 0
		.amdhsa_system_sgpr_workgroup_id_x 1
		.amdhsa_system_sgpr_workgroup_id_y 0
		.amdhsa_system_sgpr_workgroup_id_z 0
		.amdhsa_system_sgpr_workgroup_info 0
		.amdhsa_system_vgpr_workitem_id 0
		.amdhsa_next_free_vgpr 1
		.amdhsa_next_free_sgpr 1
		.amdhsa_reserve_vcc 0
		.amdhsa_float_round_mode_32 0
		.amdhsa_float_round_mode_16_64 0
		.amdhsa_float_denorm_mode_32 3
		.amdhsa_float_denorm_mode_16_64 3
		.amdhsa_fp16_overflow 0
		.amdhsa_workgroup_processor_mode 1
		.amdhsa_memory_ordered 1
		.amdhsa_forward_progress 1
		.amdhsa_inst_pref_size 0
		.amdhsa_round_robin_scheduling 0
		.amdhsa_exception_fp_ieee_invalid_op 0
		.amdhsa_exception_fp_denorm_src 0
		.amdhsa_exception_fp_ieee_div_zero 0
		.amdhsa_exception_fp_ieee_overflow 0
		.amdhsa_exception_fp_ieee_underflow 0
		.amdhsa_exception_fp_ieee_inexact 0
		.amdhsa_exception_int_div_zero 0
	.end_amdhsa_kernel
	.section	.text._ZN7rocprim17ROCPRIM_400000_NS6detail17trampoline_kernelINS0_14default_configENS1_36segmented_radix_sort_config_selectorIllEEZNS1_25segmented_radix_sort_implIS3_Lb1EPKlPlS8_S9_N2at6native12_GLOBAL__N_18offset_tEEE10hipError_tPvRmT1_PNSt15iterator_traitsISH_E10value_typeET2_T3_PNSI_ISN_E10value_typeET4_jRbjT5_ST_jjP12ihipStream_tbEUlT_E1_NS1_11comp_targetILNS1_3genE4ELNS1_11target_archE910ELNS1_3gpuE8ELNS1_3repE0EEENS1_59segmented_radix_sort_warp_sort_small_config_static_selectorELNS0_4arch9wavefront6targetE0EEEvSH_,"axG",@progbits,_ZN7rocprim17ROCPRIM_400000_NS6detail17trampoline_kernelINS0_14default_configENS1_36segmented_radix_sort_config_selectorIllEEZNS1_25segmented_radix_sort_implIS3_Lb1EPKlPlS8_S9_N2at6native12_GLOBAL__N_18offset_tEEE10hipError_tPvRmT1_PNSt15iterator_traitsISH_E10value_typeET2_T3_PNSI_ISN_E10value_typeET4_jRbjT5_ST_jjP12ihipStream_tbEUlT_E1_NS1_11comp_targetILNS1_3genE4ELNS1_11target_archE910ELNS1_3gpuE8ELNS1_3repE0EEENS1_59segmented_radix_sort_warp_sort_small_config_static_selectorELNS0_4arch9wavefront6targetE0EEEvSH_,comdat
.Lfunc_end726:
	.size	_ZN7rocprim17ROCPRIM_400000_NS6detail17trampoline_kernelINS0_14default_configENS1_36segmented_radix_sort_config_selectorIllEEZNS1_25segmented_radix_sort_implIS3_Lb1EPKlPlS8_S9_N2at6native12_GLOBAL__N_18offset_tEEE10hipError_tPvRmT1_PNSt15iterator_traitsISH_E10value_typeET2_T3_PNSI_ISN_E10value_typeET4_jRbjT5_ST_jjP12ihipStream_tbEUlT_E1_NS1_11comp_targetILNS1_3genE4ELNS1_11target_archE910ELNS1_3gpuE8ELNS1_3repE0EEENS1_59segmented_radix_sort_warp_sort_small_config_static_selectorELNS0_4arch9wavefront6targetE0EEEvSH_, .Lfunc_end726-_ZN7rocprim17ROCPRIM_400000_NS6detail17trampoline_kernelINS0_14default_configENS1_36segmented_radix_sort_config_selectorIllEEZNS1_25segmented_radix_sort_implIS3_Lb1EPKlPlS8_S9_N2at6native12_GLOBAL__N_18offset_tEEE10hipError_tPvRmT1_PNSt15iterator_traitsISH_E10value_typeET2_T3_PNSI_ISN_E10value_typeET4_jRbjT5_ST_jjP12ihipStream_tbEUlT_E1_NS1_11comp_targetILNS1_3genE4ELNS1_11target_archE910ELNS1_3gpuE8ELNS1_3repE0EEENS1_59segmented_radix_sort_warp_sort_small_config_static_selectorELNS0_4arch9wavefront6targetE0EEEvSH_
                                        ; -- End function
	.set _ZN7rocprim17ROCPRIM_400000_NS6detail17trampoline_kernelINS0_14default_configENS1_36segmented_radix_sort_config_selectorIllEEZNS1_25segmented_radix_sort_implIS3_Lb1EPKlPlS8_S9_N2at6native12_GLOBAL__N_18offset_tEEE10hipError_tPvRmT1_PNSt15iterator_traitsISH_E10value_typeET2_T3_PNSI_ISN_E10value_typeET4_jRbjT5_ST_jjP12ihipStream_tbEUlT_E1_NS1_11comp_targetILNS1_3genE4ELNS1_11target_archE910ELNS1_3gpuE8ELNS1_3repE0EEENS1_59segmented_radix_sort_warp_sort_small_config_static_selectorELNS0_4arch9wavefront6targetE0EEEvSH_.num_vgpr, 0
	.set _ZN7rocprim17ROCPRIM_400000_NS6detail17trampoline_kernelINS0_14default_configENS1_36segmented_radix_sort_config_selectorIllEEZNS1_25segmented_radix_sort_implIS3_Lb1EPKlPlS8_S9_N2at6native12_GLOBAL__N_18offset_tEEE10hipError_tPvRmT1_PNSt15iterator_traitsISH_E10value_typeET2_T3_PNSI_ISN_E10value_typeET4_jRbjT5_ST_jjP12ihipStream_tbEUlT_E1_NS1_11comp_targetILNS1_3genE4ELNS1_11target_archE910ELNS1_3gpuE8ELNS1_3repE0EEENS1_59segmented_radix_sort_warp_sort_small_config_static_selectorELNS0_4arch9wavefront6targetE0EEEvSH_.num_agpr, 0
	.set _ZN7rocprim17ROCPRIM_400000_NS6detail17trampoline_kernelINS0_14default_configENS1_36segmented_radix_sort_config_selectorIllEEZNS1_25segmented_radix_sort_implIS3_Lb1EPKlPlS8_S9_N2at6native12_GLOBAL__N_18offset_tEEE10hipError_tPvRmT1_PNSt15iterator_traitsISH_E10value_typeET2_T3_PNSI_ISN_E10value_typeET4_jRbjT5_ST_jjP12ihipStream_tbEUlT_E1_NS1_11comp_targetILNS1_3genE4ELNS1_11target_archE910ELNS1_3gpuE8ELNS1_3repE0EEENS1_59segmented_radix_sort_warp_sort_small_config_static_selectorELNS0_4arch9wavefront6targetE0EEEvSH_.numbered_sgpr, 0
	.set _ZN7rocprim17ROCPRIM_400000_NS6detail17trampoline_kernelINS0_14default_configENS1_36segmented_radix_sort_config_selectorIllEEZNS1_25segmented_radix_sort_implIS3_Lb1EPKlPlS8_S9_N2at6native12_GLOBAL__N_18offset_tEEE10hipError_tPvRmT1_PNSt15iterator_traitsISH_E10value_typeET2_T3_PNSI_ISN_E10value_typeET4_jRbjT5_ST_jjP12ihipStream_tbEUlT_E1_NS1_11comp_targetILNS1_3genE4ELNS1_11target_archE910ELNS1_3gpuE8ELNS1_3repE0EEENS1_59segmented_radix_sort_warp_sort_small_config_static_selectorELNS0_4arch9wavefront6targetE0EEEvSH_.num_named_barrier, 0
	.set _ZN7rocprim17ROCPRIM_400000_NS6detail17trampoline_kernelINS0_14default_configENS1_36segmented_radix_sort_config_selectorIllEEZNS1_25segmented_radix_sort_implIS3_Lb1EPKlPlS8_S9_N2at6native12_GLOBAL__N_18offset_tEEE10hipError_tPvRmT1_PNSt15iterator_traitsISH_E10value_typeET2_T3_PNSI_ISN_E10value_typeET4_jRbjT5_ST_jjP12ihipStream_tbEUlT_E1_NS1_11comp_targetILNS1_3genE4ELNS1_11target_archE910ELNS1_3gpuE8ELNS1_3repE0EEENS1_59segmented_radix_sort_warp_sort_small_config_static_selectorELNS0_4arch9wavefront6targetE0EEEvSH_.private_seg_size, 0
	.set _ZN7rocprim17ROCPRIM_400000_NS6detail17trampoline_kernelINS0_14default_configENS1_36segmented_radix_sort_config_selectorIllEEZNS1_25segmented_radix_sort_implIS3_Lb1EPKlPlS8_S9_N2at6native12_GLOBAL__N_18offset_tEEE10hipError_tPvRmT1_PNSt15iterator_traitsISH_E10value_typeET2_T3_PNSI_ISN_E10value_typeET4_jRbjT5_ST_jjP12ihipStream_tbEUlT_E1_NS1_11comp_targetILNS1_3genE4ELNS1_11target_archE910ELNS1_3gpuE8ELNS1_3repE0EEENS1_59segmented_radix_sort_warp_sort_small_config_static_selectorELNS0_4arch9wavefront6targetE0EEEvSH_.uses_vcc, 0
	.set _ZN7rocprim17ROCPRIM_400000_NS6detail17trampoline_kernelINS0_14default_configENS1_36segmented_radix_sort_config_selectorIllEEZNS1_25segmented_radix_sort_implIS3_Lb1EPKlPlS8_S9_N2at6native12_GLOBAL__N_18offset_tEEE10hipError_tPvRmT1_PNSt15iterator_traitsISH_E10value_typeET2_T3_PNSI_ISN_E10value_typeET4_jRbjT5_ST_jjP12ihipStream_tbEUlT_E1_NS1_11comp_targetILNS1_3genE4ELNS1_11target_archE910ELNS1_3gpuE8ELNS1_3repE0EEENS1_59segmented_radix_sort_warp_sort_small_config_static_selectorELNS0_4arch9wavefront6targetE0EEEvSH_.uses_flat_scratch, 0
	.set _ZN7rocprim17ROCPRIM_400000_NS6detail17trampoline_kernelINS0_14default_configENS1_36segmented_radix_sort_config_selectorIllEEZNS1_25segmented_radix_sort_implIS3_Lb1EPKlPlS8_S9_N2at6native12_GLOBAL__N_18offset_tEEE10hipError_tPvRmT1_PNSt15iterator_traitsISH_E10value_typeET2_T3_PNSI_ISN_E10value_typeET4_jRbjT5_ST_jjP12ihipStream_tbEUlT_E1_NS1_11comp_targetILNS1_3genE4ELNS1_11target_archE910ELNS1_3gpuE8ELNS1_3repE0EEENS1_59segmented_radix_sort_warp_sort_small_config_static_selectorELNS0_4arch9wavefront6targetE0EEEvSH_.has_dyn_sized_stack, 0
	.set _ZN7rocprim17ROCPRIM_400000_NS6detail17trampoline_kernelINS0_14default_configENS1_36segmented_radix_sort_config_selectorIllEEZNS1_25segmented_radix_sort_implIS3_Lb1EPKlPlS8_S9_N2at6native12_GLOBAL__N_18offset_tEEE10hipError_tPvRmT1_PNSt15iterator_traitsISH_E10value_typeET2_T3_PNSI_ISN_E10value_typeET4_jRbjT5_ST_jjP12ihipStream_tbEUlT_E1_NS1_11comp_targetILNS1_3genE4ELNS1_11target_archE910ELNS1_3gpuE8ELNS1_3repE0EEENS1_59segmented_radix_sort_warp_sort_small_config_static_selectorELNS0_4arch9wavefront6targetE0EEEvSH_.has_recursion, 0
	.set _ZN7rocprim17ROCPRIM_400000_NS6detail17trampoline_kernelINS0_14default_configENS1_36segmented_radix_sort_config_selectorIllEEZNS1_25segmented_radix_sort_implIS3_Lb1EPKlPlS8_S9_N2at6native12_GLOBAL__N_18offset_tEEE10hipError_tPvRmT1_PNSt15iterator_traitsISH_E10value_typeET2_T3_PNSI_ISN_E10value_typeET4_jRbjT5_ST_jjP12ihipStream_tbEUlT_E1_NS1_11comp_targetILNS1_3genE4ELNS1_11target_archE910ELNS1_3gpuE8ELNS1_3repE0EEENS1_59segmented_radix_sort_warp_sort_small_config_static_selectorELNS0_4arch9wavefront6targetE0EEEvSH_.has_indirect_call, 0
	.section	.AMDGPU.csdata,"",@progbits
; Kernel info:
; codeLenInByte = 0
; TotalNumSgprs: 0
; NumVgprs: 0
; ScratchSize: 0
; MemoryBound: 0
; FloatMode: 240
; IeeeMode: 1
; LDSByteSize: 0 bytes/workgroup (compile time only)
; SGPRBlocks: 0
; VGPRBlocks: 0
; NumSGPRsForWavesPerEU: 1
; NumVGPRsForWavesPerEU: 1
; Occupancy: 16
; WaveLimiterHint : 0
; COMPUTE_PGM_RSRC2:SCRATCH_EN: 0
; COMPUTE_PGM_RSRC2:USER_SGPR: 2
; COMPUTE_PGM_RSRC2:TRAP_HANDLER: 0
; COMPUTE_PGM_RSRC2:TGID_X_EN: 1
; COMPUTE_PGM_RSRC2:TGID_Y_EN: 0
; COMPUTE_PGM_RSRC2:TGID_Z_EN: 0
; COMPUTE_PGM_RSRC2:TIDIG_COMP_CNT: 0
	.section	.text._ZN7rocprim17ROCPRIM_400000_NS6detail17trampoline_kernelINS0_14default_configENS1_36segmented_radix_sort_config_selectorIllEEZNS1_25segmented_radix_sort_implIS3_Lb1EPKlPlS8_S9_N2at6native12_GLOBAL__N_18offset_tEEE10hipError_tPvRmT1_PNSt15iterator_traitsISH_E10value_typeET2_T3_PNSI_ISN_E10value_typeET4_jRbjT5_ST_jjP12ihipStream_tbEUlT_E1_NS1_11comp_targetILNS1_3genE3ELNS1_11target_archE908ELNS1_3gpuE7ELNS1_3repE0EEENS1_59segmented_radix_sort_warp_sort_small_config_static_selectorELNS0_4arch9wavefront6targetE0EEEvSH_,"axG",@progbits,_ZN7rocprim17ROCPRIM_400000_NS6detail17trampoline_kernelINS0_14default_configENS1_36segmented_radix_sort_config_selectorIllEEZNS1_25segmented_radix_sort_implIS3_Lb1EPKlPlS8_S9_N2at6native12_GLOBAL__N_18offset_tEEE10hipError_tPvRmT1_PNSt15iterator_traitsISH_E10value_typeET2_T3_PNSI_ISN_E10value_typeET4_jRbjT5_ST_jjP12ihipStream_tbEUlT_E1_NS1_11comp_targetILNS1_3genE3ELNS1_11target_archE908ELNS1_3gpuE7ELNS1_3repE0EEENS1_59segmented_radix_sort_warp_sort_small_config_static_selectorELNS0_4arch9wavefront6targetE0EEEvSH_,comdat
	.globl	_ZN7rocprim17ROCPRIM_400000_NS6detail17trampoline_kernelINS0_14default_configENS1_36segmented_radix_sort_config_selectorIllEEZNS1_25segmented_radix_sort_implIS3_Lb1EPKlPlS8_S9_N2at6native12_GLOBAL__N_18offset_tEEE10hipError_tPvRmT1_PNSt15iterator_traitsISH_E10value_typeET2_T3_PNSI_ISN_E10value_typeET4_jRbjT5_ST_jjP12ihipStream_tbEUlT_E1_NS1_11comp_targetILNS1_3genE3ELNS1_11target_archE908ELNS1_3gpuE7ELNS1_3repE0EEENS1_59segmented_radix_sort_warp_sort_small_config_static_selectorELNS0_4arch9wavefront6targetE0EEEvSH_ ; -- Begin function _ZN7rocprim17ROCPRIM_400000_NS6detail17trampoline_kernelINS0_14default_configENS1_36segmented_radix_sort_config_selectorIllEEZNS1_25segmented_radix_sort_implIS3_Lb1EPKlPlS8_S9_N2at6native12_GLOBAL__N_18offset_tEEE10hipError_tPvRmT1_PNSt15iterator_traitsISH_E10value_typeET2_T3_PNSI_ISN_E10value_typeET4_jRbjT5_ST_jjP12ihipStream_tbEUlT_E1_NS1_11comp_targetILNS1_3genE3ELNS1_11target_archE908ELNS1_3gpuE7ELNS1_3repE0EEENS1_59segmented_radix_sort_warp_sort_small_config_static_selectorELNS0_4arch9wavefront6targetE0EEEvSH_
	.p2align	8
	.type	_ZN7rocprim17ROCPRIM_400000_NS6detail17trampoline_kernelINS0_14default_configENS1_36segmented_radix_sort_config_selectorIllEEZNS1_25segmented_radix_sort_implIS3_Lb1EPKlPlS8_S9_N2at6native12_GLOBAL__N_18offset_tEEE10hipError_tPvRmT1_PNSt15iterator_traitsISH_E10value_typeET2_T3_PNSI_ISN_E10value_typeET4_jRbjT5_ST_jjP12ihipStream_tbEUlT_E1_NS1_11comp_targetILNS1_3genE3ELNS1_11target_archE908ELNS1_3gpuE7ELNS1_3repE0EEENS1_59segmented_radix_sort_warp_sort_small_config_static_selectorELNS0_4arch9wavefront6targetE0EEEvSH_,@function
_ZN7rocprim17ROCPRIM_400000_NS6detail17trampoline_kernelINS0_14default_configENS1_36segmented_radix_sort_config_selectorIllEEZNS1_25segmented_radix_sort_implIS3_Lb1EPKlPlS8_S9_N2at6native12_GLOBAL__N_18offset_tEEE10hipError_tPvRmT1_PNSt15iterator_traitsISH_E10value_typeET2_T3_PNSI_ISN_E10value_typeET4_jRbjT5_ST_jjP12ihipStream_tbEUlT_E1_NS1_11comp_targetILNS1_3genE3ELNS1_11target_archE908ELNS1_3gpuE7ELNS1_3repE0EEENS1_59segmented_radix_sort_warp_sort_small_config_static_selectorELNS0_4arch9wavefront6targetE0EEEvSH_: ; @_ZN7rocprim17ROCPRIM_400000_NS6detail17trampoline_kernelINS0_14default_configENS1_36segmented_radix_sort_config_selectorIllEEZNS1_25segmented_radix_sort_implIS3_Lb1EPKlPlS8_S9_N2at6native12_GLOBAL__N_18offset_tEEE10hipError_tPvRmT1_PNSt15iterator_traitsISH_E10value_typeET2_T3_PNSI_ISN_E10value_typeET4_jRbjT5_ST_jjP12ihipStream_tbEUlT_E1_NS1_11comp_targetILNS1_3genE3ELNS1_11target_archE908ELNS1_3gpuE7ELNS1_3repE0EEENS1_59segmented_radix_sort_warp_sort_small_config_static_selectorELNS0_4arch9wavefront6targetE0EEEvSH_
; %bb.0:
	.section	.rodata,"a",@progbits
	.p2align	6, 0x0
	.amdhsa_kernel _ZN7rocprim17ROCPRIM_400000_NS6detail17trampoline_kernelINS0_14default_configENS1_36segmented_radix_sort_config_selectorIllEEZNS1_25segmented_radix_sort_implIS3_Lb1EPKlPlS8_S9_N2at6native12_GLOBAL__N_18offset_tEEE10hipError_tPvRmT1_PNSt15iterator_traitsISH_E10value_typeET2_T3_PNSI_ISN_E10value_typeET4_jRbjT5_ST_jjP12ihipStream_tbEUlT_E1_NS1_11comp_targetILNS1_3genE3ELNS1_11target_archE908ELNS1_3gpuE7ELNS1_3repE0EEENS1_59segmented_radix_sort_warp_sort_small_config_static_selectorELNS0_4arch9wavefront6targetE0EEEvSH_
		.amdhsa_group_segment_fixed_size 0
		.amdhsa_private_segment_fixed_size 0
		.amdhsa_kernarg_size 88
		.amdhsa_user_sgpr_count 2
		.amdhsa_user_sgpr_dispatch_ptr 0
		.amdhsa_user_sgpr_queue_ptr 0
		.amdhsa_user_sgpr_kernarg_segment_ptr 1
		.amdhsa_user_sgpr_dispatch_id 0
		.amdhsa_user_sgpr_private_segment_size 0
		.amdhsa_wavefront_size32 1
		.amdhsa_uses_dynamic_stack 0
		.amdhsa_enable_private_segment 0
		.amdhsa_system_sgpr_workgroup_id_x 1
		.amdhsa_system_sgpr_workgroup_id_y 0
		.amdhsa_system_sgpr_workgroup_id_z 0
		.amdhsa_system_sgpr_workgroup_info 0
		.amdhsa_system_vgpr_workitem_id 0
		.amdhsa_next_free_vgpr 1
		.amdhsa_next_free_sgpr 1
		.amdhsa_reserve_vcc 0
		.amdhsa_float_round_mode_32 0
		.amdhsa_float_round_mode_16_64 0
		.amdhsa_float_denorm_mode_32 3
		.amdhsa_float_denorm_mode_16_64 3
		.amdhsa_fp16_overflow 0
		.amdhsa_workgroup_processor_mode 1
		.amdhsa_memory_ordered 1
		.amdhsa_forward_progress 1
		.amdhsa_inst_pref_size 0
		.amdhsa_round_robin_scheduling 0
		.amdhsa_exception_fp_ieee_invalid_op 0
		.amdhsa_exception_fp_denorm_src 0
		.amdhsa_exception_fp_ieee_div_zero 0
		.amdhsa_exception_fp_ieee_overflow 0
		.amdhsa_exception_fp_ieee_underflow 0
		.amdhsa_exception_fp_ieee_inexact 0
		.amdhsa_exception_int_div_zero 0
	.end_amdhsa_kernel
	.section	.text._ZN7rocprim17ROCPRIM_400000_NS6detail17trampoline_kernelINS0_14default_configENS1_36segmented_radix_sort_config_selectorIllEEZNS1_25segmented_radix_sort_implIS3_Lb1EPKlPlS8_S9_N2at6native12_GLOBAL__N_18offset_tEEE10hipError_tPvRmT1_PNSt15iterator_traitsISH_E10value_typeET2_T3_PNSI_ISN_E10value_typeET4_jRbjT5_ST_jjP12ihipStream_tbEUlT_E1_NS1_11comp_targetILNS1_3genE3ELNS1_11target_archE908ELNS1_3gpuE7ELNS1_3repE0EEENS1_59segmented_radix_sort_warp_sort_small_config_static_selectorELNS0_4arch9wavefront6targetE0EEEvSH_,"axG",@progbits,_ZN7rocprim17ROCPRIM_400000_NS6detail17trampoline_kernelINS0_14default_configENS1_36segmented_radix_sort_config_selectorIllEEZNS1_25segmented_radix_sort_implIS3_Lb1EPKlPlS8_S9_N2at6native12_GLOBAL__N_18offset_tEEE10hipError_tPvRmT1_PNSt15iterator_traitsISH_E10value_typeET2_T3_PNSI_ISN_E10value_typeET4_jRbjT5_ST_jjP12ihipStream_tbEUlT_E1_NS1_11comp_targetILNS1_3genE3ELNS1_11target_archE908ELNS1_3gpuE7ELNS1_3repE0EEENS1_59segmented_radix_sort_warp_sort_small_config_static_selectorELNS0_4arch9wavefront6targetE0EEEvSH_,comdat
.Lfunc_end727:
	.size	_ZN7rocprim17ROCPRIM_400000_NS6detail17trampoline_kernelINS0_14default_configENS1_36segmented_radix_sort_config_selectorIllEEZNS1_25segmented_radix_sort_implIS3_Lb1EPKlPlS8_S9_N2at6native12_GLOBAL__N_18offset_tEEE10hipError_tPvRmT1_PNSt15iterator_traitsISH_E10value_typeET2_T3_PNSI_ISN_E10value_typeET4_jRbjT5_ST_jjP12ihipStream_tbEUlT_E1_NS1_11comp_targetILNS1_3genE3ELNS1_11target_archE908ELNS1_3gpuE7ELNS1_3repE0EEENS1_59segmented_radix_sort_warp_sort_small_config_static_selectorELNS0_4arch9wavefront6targetE0EEEvSH_, .Lfunc_end727-_ZN7rocprim17ROCPRIM_400000_NS6detail17trampoline_kernelINS0_14default_configENS1_36segmented_radix_sort_config_selectorIllEEZNS1_25segmented_radix_sort_implIS3_Lb1EPKlPlS8_S9_N2at6native12_GLOBAL__N_18offset_tEEE10hipError_tPvRmT1_PNSt15iterator_traitsISH_E10value_typeET2_T3_PNSI_ISN_E10value_typeET4_jRbjT5_ST_jjP12ihipStream_tbEUlT_E1_NS1_11comp_targetILNS1_3genE3ELNS1_11target_archE908ELNS1_3gpuE7ELNS1_3repE0EEENS1_59segmented_radix_sort_warp_sort_small_config_static_selectorELNS0_4arch9wavefront6targetE0EEEvSH_
                                        ; -- End function
	.set _ZN7rocprim17ROCPRIM_400000_NS6detail17trampoline_kernelINS0_14default_configENS1_36segmented_radix_sort_config_selectorIllEEZNS1_25segmented_radix_sort_implIS3_Lb1EPKlPlS8_S9_N2at6native12_GLOBAL__N_18offset_tEEE10hipError_tPvRmT1_PNSt15iterator_traitsISH_E10value_typeET2_T3_PNSI_ISN_E10value_typeET4_jRbjT5_ST_jjP12ihipStream_tbEUlT_E1_NS1_11comp_targetILNS1_3genE3ELNS1_11target_archE908ELNS1_3gpuE7ELNS1_3repE0EEENS1_59segmented_radix_sort_warp_sort_small_config_static_selectorELNS0_4arch9wavefront6targetE0EEEvSH_.num_vgpr, 0
	.set _ZN7rocprim17ROCPRIM_400000_NS6detail17trampoline_kernelINS0_14default_configENS1_36segmented_radix_sort_config_selectorIllEEZNS1_25segmented_radix_sort_implIS3_Lb1EPKlPlS8_S9_N2at6native12_GLOBAL__N_18offset_tEEE10hipError_tPvRmT1_PNSt15iterator_traitsISH_E10value_typeET2_T3_PNSI_ISN_E10value_typeET4_jRbjT5_ST_jjP12ihipStream_tbEUlT_E1_NS1_11comp_targetILNS1_3genE3ELNS1_11target_archE908ELNS1_3gpuE7ELNS1_3repE0EEENS1_59segmented_radix_sort_warp_sort_small_config_static_selectorELNS0_4arch9wavefront6targetE0EEEvSH_.num_agpr, 0
	.set _ZN7rocprim17ROCPRIM_400000_NS6detail17trampoline_kernelINS0_14default_configENS1_36segmented_radix_sort_config_selectorIllEEZNS1_25segmented_radix_sort_implIS3_Lb1EPKlPlS8_S9_N2at6native12_GLOBAL__N_18offset_tEEE10hipError_tPvRmT1_PNSt15iterator_traitsISH_E10value_typeET2_T3_PNSI_ISN_E10value_typeET4_jRbjT5_ST_jjP12ihipStream_tbEUlT_E1_NS1_11comp_targetILNS1_3genE3ELNS1_11target_archE908ELNS1_3gpuE7ELNS1_3repE0EEENS1_59segmented_radix_sort_warp_sort_small_config_static_selectorELNS0_4arch9wavefront6targetE0EEEvSH_.numbered_sgpr, 0
	.set _ZN7rocprim17ROCPRIM_400000_NS6detail17trampoline_kernelINS0_14default_configENS1_36segmented_radix_sort_config_selectorIllEEZNS1_25segmented_radix_sort_implIS3_Lb1EPKlPlS8_S9_N2at6native12_GLOBAL__N_18offset_tEEE10hipError_tPvRmT1_PNSt15iterator_traitsISH_E10value_typeET2_T3_PNSI_ISN_E10value_typeET4_jRbjT5_ST_jjP12ihipStream_tbEUlT_E1_NS1_11comp_targetILNS1_3genE3ELNS1_11target_archE908ELNS1_3gpuE7ELNS1_3repE0EEENS1_59segmented_radix_sort_warp_sort_small_config_static_selectorELNS0_4arch9wavefront6targetE0EEEvSH_.num_named_barrier, 0
	.set _ZN7rocprim17ROCPRIM_400000_NS6detail17trampoline_kernelINS0_14default_configENS1_36segmented_radix_sort_config_selectorIllEEZNS1_25segmented_radix_sort_implIS3_Lb1EPKlPlS8_S9_N2at6native12_GLOBAL__N_18offset_tEEE10hipError_tPvRmT1_PNSt15iterator_traitsISH_E10value_typeET2_T3_PNSI_ISN_E10value_typeET4_jRbjT5_ST_jjP12ihipStream_tbEUlT_E1_NS1_11comp_targetILNS1_3genE3ELNS1_11target_archE908ELNS1_3gpuE7ELNS1_3repE0EEENS1_59segmented_radix_sort_warp_sort_small_config_static_selectorELNS0_4arch9wavefront6targetE0EEEvSH_.private_seg_size, 0
	.set _ZN7rocprim17ROCPRIM_400000_NS6detail17trampoline_kernelINS0_14default_configENS1_36segmented_radix_sort_config_selectorIllEEZNS1_25segmented_radix_sort_implIS3_Lb1EPKlPlS8_S9_N2at6native12_GLOBAL__N_18offset_tEEE10hipError_tPvRmT1_PNSt15iterator_traitsISH_E10value_typeET2_T3_PNSI_ISN_E10value_typeET4_jRbjT5_ST_jjP12ihipStream_tbEUlT_E1_NS1_11comp_targetILNS1_3genE3ELNS1_11target_archE908ELNS1_3gpuE7ELNS1_3repE0EEENS1_59segmented_radix_sort_warp_sort_small_config_static_selectorELNS0_4arch9wavefront6targetE0EEEvSH_.uses_vcc, 0
	.set _ZN7rocprim17ROCPRIM_400000_NS6detail17trampoline_kernelINS0_14default_configENS1_36segmented_radix_sort_config_selectorIllEEZNS1_25segmented_radix_sort_implIS3_Lb1EPKlPlS8_S9_N2at6native12_GLOBAL__N_18offset_tEEE10hipError_tPvRmT1_PNSt15iterator_traitsISH_E10value_typeET2_T3_PNSI_ISN_E10value_typeET4_jRbjT5_ST_jjP12ihipStream_tbEUlT_E1_NS1_11comp_targetILNS1_3genE3ELNS1_11target_archE908ELNS1_3gpuE7ELNS1_3repE0EEENS1_59segmented_radix_sort_warp_sort_small_config_static_selectorELNS0_4arch9wavefront6targetE0EEEvSH_.uses_flat_scratch, 0
	.set _ZN7rocprim17ROCPRIM_400000_NS6detail17trampoline_kernelINS0_14default_configENS1_36segmented_radix_sort_config_selectorIllEEZNS1_25segmented_radix_sort_implIS3_Lb1EPKlPlS8_S9_N2at6native12_GLOBAL__N_18offset_tEEE10hipError_tPvRmT1_PNSt15iterator_traitsISH_E10value_typeET2_T3_PNSI_ISN_E10value_typeET4_jRbjT5_ST_jjP12ihipStream_tbEUlT_E1_NS1_11comp_targetILNS1_3genE3ELNS1_11target_archE908ELNS1_3gpuE7ELNS1_3repE0EEENS1_59segmented_radix_sort_warp_sort_small_config_static_selectorELNS0_4arch9wavefront6targetE0EEEvSH_.has_dyn_sized_stack, 0
	.set _ZN7rocprim17ROCPRIM_400000_NS6detail17trampoline_kernelINS0_14default_configENS1_36segmented_radix_sort_config_selectorIllEEZNS1_25segmented_radix_sort_implIS3_Lb1EPKlPlS8_S9_N2at6native12_GLOBAL__N_18offset_tEEE10hipError_tPvRmT1_PNSt15iterator_traitsISH_E10value_typeET2_T3_PNSI_ISN_E10value_typeET4_jRbjT5_ST_jjP12ihipStream_tbEUlT_E1_NS1_11comp_targetILNS1_3genE3ELNS1_11target_archE908ELNS1_3gpuE7ELNS1_3repE0EEENS1_59segmented_radix_sort_warp_sort_small_config_static_selectorELNS0_4arch9wavefront6targetE0EEEvSH_.has_recursion, 0
	.set _ZN7rocprim17ROCPRIM_400000_NS6detail17trampoline_kernelINS0_14default_configENS1_36segmented_radix_sort_config_selectorIllEEZNS1_25segmented_radix_sort_implIS3_Lb1EPKlPlS8_S9_N2at6native12_GLOBAL__N_18offset_tEEE10hipError_tPvRmT1_PNSt15iterator_traitsISH_E10value_typeET2_T3_PNSI_ISN_E10value_typeET4_jRbjT5_ST_jjP12ihipStream_tbEUlT_E1_NS1_11comp_targetILNS1_3genE3ELNS1_11target_archE908ELNS1_3gpuE7ELNS1_3repE0EEENS1_59segmented_radix_sort_warp_sort_small_config_static_selectorELNS0_4arch9wavefront6targetE0EEEvSH_.has_indirect_call, 0
	.section	.AMDGPU.csdata,"",@progbits
; Kernel info:
; codeLenInByte = 0
; TotalNumSgprs: 0
; NumVgprs: 0
; ScratchSize: 0
; MemoryBound: 0
; FloatMode: 240
; IeeeMode: 1
; LDSByteSize: 0 bytes/workgroup (compile time only)
; SGPRBlocks: 0
; VGPRBlocks: 0
; NumSGPRsForWavesPerEU: 1
; NumVGPRsForWavesPerEU: 1
; Occupancy: 16
; WaveLimiterHint : 0
; COMPUTE_PGM_RSRC2:SCRATCH_EN: 0
; COMPUTE_PGM_RSRC2:USER_SGPR: 2
; COMPUTE_PGM_RSRC2:TRAP_HANDLER: 0
; COMPUTE_PGM_RSRC2:TGID_X_EN: 1
; COMPUTE_PGM_RSRC2:TGID_Y_EN: 0
; COMPUTE_PGM_RSRC2:TGID_Z_EN: 0
; COMPUTE_PGM_RSRC2:TIDIG_COMP_CNT: 0
	.section	.text._ZN7rocprim17ROCPRIM_400000_NS6detail17trampoline_kernelINS0_14default_configENS1_36segmented_radix_sort_config_selectorIllEEZNS1_25segmented_radix_sort_implIS3_Lb1EPKlPlS8_S9_N2at6native12_GLOBAL__N_18offset_tEEE10hipError_tPvRmT1_PNSt15iterator_traitsISH_E10value_typeET2_T3_PNSI_ISN_E10value_typeET4_jRbjT5_ST_jjP12ihipStream_tbEUlT_E1_NS1_11comp_targetILNS1_3genE2ELNS1_11target_archE906ELNS1_3gpuE6ELNS1_3repE0EEENS1_59segmented_radix_sort_warp_sort_small_config_static_selectorELNS0_4arch9wavefront6targetE0EEEvSH_,"axG",@progbits,_ZN7rocprim17ROCPRIM_400000_NS6detail17trampoline_kernelINS0_14default_configENS1_36segmented_radix_sort_config_selectorIllEEZNS1_25segmented_radix_sort_implIS3_Lb1EPKlPlS8_S9_N2at6native12_GLOBAL__N_18offset_tEEE10hipError_tPvRmT1_PNSt15iterator_traitsISH_E10value_typeET2_T3_PNSI_ISN_E10value_typeET4_jRbjT5_ST_jjP12ihipStream_tbEUlT_E1_NS1_11comp_targetILNS1_3genE2ELNS1_11target_archE906ELNS1_3gpuE6ELNS1_3repE0EEENS1_59segmented_radix_sort_warp_sort_small_config_static_selectorELNS0_4arch9wavefront6targetE0EEEvSH_,comdat
	.globl	_ZN7rocprim17ROCPRIM_400000_NS6detail17trampoline_kernelINS0_14default_configENS1_36segmented_radix_sort_config_selectorIllEEZNS1_25segmented_radix_sort_implIS3_Lb1EPKlPlS8_S9_N2at6native12_GLOBAL__N_18offset_tEEE10hipError_tPvRmT1_PNSt15iterator_traitsISH_E10value_typeET2_T3_PNSI_ISN_E10value_typeET4_jRbjT5_ST_jjP12ihipStream_tbEUlT_E1_NS1_11comp_targetILNS1_3genE2ELNS1_11target_archE906ELNS1_3gpuE6ELNS1_3repE0EEENS1_59segmented_radix_sort_warp_sort_small_config_static_selectorELNS0_4arch9wavefront6targetE0EEEvSH_ ; -- Begin function _ZN7rocprim17ROCPRIM_400000_NS6detail17trampoline_kernelINS0_14default_configENS1_36segmented_radix_sort_config_selectorIllEEZNS1_25segmented_radix_sort_implIS3_Lb1EPKlPlS8_S9_N2at6native12_GLOBAL__N_18offset_tEEE10hipError_tPvRmT1_PNSt15iterator_traitsISH_E10value_typeET2_T3_PNSI_ISN_E10value_typeET4_jRbjT5_ST_jjP12ihipStream_tbEUlT_E1_NS1_11comp_targetILNS1_3genE2ELNS1_11target_archE906ELNS1_3gpuE6ELNS1_3repE0EEENS1_59segmented_radix_sort_warp_sort_small_config_static_selectorELNS0_4arch9wavefront6targetE0EEEvSH_
	.p2align	8
	.type	_ZN7rocprim17ROCPRIM_400000_NS6detail17trampoline_kernelINS0_14default_configENS1_36segmented_radix_sort_config_selectorIllEEZNS1_25segmented_radix_sort_implIS3_Lb1EPKlPlS8_S9_N2at6native12_GLOBAL__N_18offset_tEEE10hipError_tPvRmT1_PNSt15iterator_traitsISH_E10value_typeET2_T3_PNSI_ISN_E10value_typeET4_jRbjT5_ST_jjP12ihipStream_tbEUlT_E1_NS1_11comp_targetILNS1_3genE2ELNS1_11target_archE906ELNS1_3gpuE6ELNS1_3repE0EEENS1_59segmented_radix_sort_warp_sort_small_config_static_selectorELNS0_4arch9wavefront6targetE0EEEvSH_,@function
_ZN7rocprim17ROCPRIM_400000_NS6detail17trampoline_kernelINS0_14default_configENS1_36segmented_radix_sort_config_selectorIllEEZNS1_25segmented_radix_sort_implIS3_Lb1EPKlPlS8_S9_N2at6native12_GLOBAL__N_18offset_tEEE10hipError_tPvRmT1_PNSt15iterator_traitsISH_E10value_typeET2_T3_PNSI_ISN_E10value_typeET4_jRbjT5_ST_jjP12ihipStream_tbEUlT_E1_NS1_11comp_targetILNS1_3genE2ELNS1_11target_archE906ELNS1_3gpuE6ELNS1_3repE0EEENS1_59segmented_radix_sort_warp_sort_small_config_static_selectorELNS0_4arch9wavefront6targetE0EEEvSH_: ; @_ZN7rocprim17ROCPRIM_400000_NS6detail17trampoline_kernelINS0_14default_configENS1_36segmented_radix_sort_config_selectorIllEEZNS1_25segmented_radix_sort_implIS3_Lb1EPKlPlS8_S9_N2at6native12_GLOBAL__N_18offset_tEEE10hipError_tPvRmT1_PNSt15iterator_traitsISH_E10value_typeET2_T3_PNSI_ISN_E10value_typeET4_jRbjT5_ST_jjP12ihipStream_tbEUlT_E1_NS1_11comp_targetILNS1_3genE2ELNS1_11target_archE906ELNS1_3gpuE6ELNS1_3repE0EEENS1_59segmented_radix_sort_warp_sort_small_config_static_selectorELNS0_4arch9wavefront6targetE0EEEvSH_
; %bb.0:
	.section	.rodata,"a",@progbits
	.p2align	6, 0x0
	.amdhsa_kernel _ZN7rocprim17ROCPRIM_400000_NS6detail17trampoline_kernelINS0_14default_configENS1_36segmented_radix_sort_config_selectorIllEEZNS1_25segmented_radix_sort_implIS3_Lb1EPKlPlS8_S9_N2at6native12_GLOBAL__N_18offset_tEEE10hipError_tPvRmT1_PNSt15iterator_traitsISH_E10value_typeET2_T3_PNSI_ISN_E10value_typeET4_jRbjT5_ST_jjP12ihipStream_tbEUlT_E1_NS1_11comp_targetILNS1_3genE2ELNS1_11target_archE906ELNS1_3gpuE6ELNS1_3repE0EEENS1_59segmented_radix_sort_warp_sort_small_config_static_selectorELNS0_4arch9wavefront6targetE0EEEvSH_
		.amdhsa_group_segment_fixed_size 0
		.amdhsa_private_segment_fixed_size 0
		.amdhsa_kernarg_size 88
		.amdhsa_user_sgpr_count 2
		.amdhsa_user_sgpr_dispatch_ptr 0
		.amdhsa_user_sgpr_queue_ptr 0
		.amdhsa_user_sgpr_kernarg_segment_ptr 1
		.amdhsa_user_sgpr_dispatch_id 0
		.amdhsa_user_sgpr_private_segment_size 0
		.amdhsa_wavefront_size32 1
		.amdhsa_uses_dynamic_stack 0
		.amdhsa_enable_private_segment 0
		.amdhsa_system_sgpr_workgroup_id_x 1
		.amdhsa_system_sgpr_workgroup_id_y 0
		.amdhsa_system_sgpr_workgroup_id_z 0
		.amdhsa_system_sgpr_workgroup_info 0
		.amdhsa_system_vgpr_workitem_id 0
		.amdhsa_next_free_vgpr 1
		.amdhsa_next_free_sgpr 1
		.amdhsa_reserve_vcc 0
		.amdhsa_float_round_mode_32 0
		.amdhsa_float_round_mode_16_64 0
		.amdhsa_float_denorm_mode_32 3
		.amdhsa_float_denorm_mode_16_64 3
		.amdhsa_fp16_overflow 0
		.amdhsa_workgroup_processor_mode 1
		.amdhsa_memory_ordered 1
		.amdhsa_forward_progress 1
		.amdhsa_inst_pref_size 0
		.amdhsa_round_robin_scheduling 0
		.amdhsa_exception_fp_ieee_invalid_op 0
		.amdhsa_exception_fp_denorm_src 0
		.amdhsa_exception_fp_ieee_div_zero 0
		.amdhsa_exception_fp_ieee_overflow 0
		.amdhsa_exception_fp_ieee_underflow 0
		.amdhsa_exception_fp_ieee_inexact 0
		.amdhsa_exception_int_div_zero 0
	.end_amdhsa_kernel
	.section	.text._ZN7rocprim17ROCPRIM_400000_NS6detail17trampoline_kernelINS0_14default_configENS1_36segmented_radix_sort_config_selectorIllEEZNS1_25segmented_radix_sort_implIS3_Lb1EPKlPlS8_S9_N2at6native12_GLOBAL__N_18offset_tEEE10hipError_tPvRmT1_PNSt15iterator_traitsISH_E10value_typeET2_T3_PNSI_ISN_E10value_typeET4_jRbjT5_ST_jjP12ihipStream_tbEUlT_E1_NS1_11comp_targetILNS1_3genE2ELNS1_11target_archE906ELNS1_3gpuE6ELNS1_3repE0EEENS1_59segmented_radix_sort_warp_sort_small_config_static_selectorELNS0_4arch9wavefront6targetE0EEEvSH_,"axG",@progbits,_ZN7rocprim17ROCPRIM_400000_NS6detail17trampoline_kernelINS0_14default_configENS1_36segmented_radix_sort_config_selectorIllEEZNS1_25segmented_radix_sort_implIS3_Lb1EPKlPlS8_S9_N2at6native12_GLOBAL__N_18offset_tEEE10hipError_tPvRmT1_PNSt15iterator_traitsISH_E10value_typeET2_T3_PNSI_ISN_E10value_typeET4_jRbjT5_ST_jjP12ihipStream_tbEUlT_E1_NS1_11comp_targetILNS1_3genE2ELNS1_11target_archE906ELNS1_3gpuE6ELNS1_3repE0EEENS1_59segmented_radix_sort_warp_sort_small_config_static_selectorELNS0_4arch9wavefront6targetE0EEEvSH_,comdat
.Lfunc_end728:
	.size	_ZN7rocprim17ROCPRIM_400000_NS6detail17trampoline_kernelINS0_14default_configENS1_36segmented_radix_sort_config_selectorIllEEZNS1_25segmented_radix_sort_implIS3_Lb1EPKlPlS8_S9_N2at6native12_GLOBAL__N_18offset_tEEE10hipError_tPvRmT1_PNSt15iterator_traitsISH_E10value_typeET2_T3_PNSI_ISN_E10value_typeET4_jRbjT5_ST_jjP12ihipStream_tbEUlT_E1_NS1_11comp_targetILNS1_3genE2ELNS1_11target_archE906ELNS1_3gpuE6ELNS1_3repE0EEENS1_59segmented_radix_sort_warp_sort_small_config_static_selectorELNS0_4arch9wavefront6targetE0EEEvSH_, .Lfunc_end728-_ZN7rocprim17ROCPRIM_400000_NS6detail17trampoline_kernelINS0_14default_configENS1_36segmented_radix_sort_config_selectorIllEEZNS1_25segmented_radix_sort_implIS3_Lb1EPKlPlS8_S9_N2at6native12_GLOBAL__N_18offset_tEEE10hipError_tPvRmT1_PNSt15iterator_traitsISH_E10value_typeET2_T3_PNSI_ISN_E10value_typeET4_jRbjT5_ST_jjP12ihipStream_tbEUlT_E1_NS1_11comp_targetILNS1_3genE2ELNS1_11target_archE906ELNS1_3gpuE6ELNS1_3repE0EEENS1_59segmented_radix_sort_warp_sort_small_config_static_selectorELNS0_4arch9wavefront6targetE0EEEvSH_
                                        ; -- End function
	.set _ZN7rocprim17ROCPRIM_400000_NS6detail17trampoline_kernelINS0_14default_configENS1_36segmented_radix_sort_config_selectorIllEEZNS1_25segmented_radix_sort_implIS3_Lb1EPKlPlS8_S9_N2at6native12_GLOBAL__N_18offset_tEEE10hipError_tPvRmT1_PNSt15iterator_traitsISH_E10value_typeET2_T3_PNSI_ISN_E10value_typeET4_jRbjT5_ST_jjP12ihipStream_tbEUlT_E1_NS1_11comp_targetILNS1_3genE2ELNS1_11target_archE906ELNS1_3gpuE6ELNS1_3repE0EEENS1_59segmented_radix_sort_warp_sort_small_config_static_selectorELNS0_4arch9wavefront6targetE0EEEvSH_.num_vgpr, 0
	.set _ZN7rocprim17ROCPRIM_400000_NS6detail17trampoline_kernelINS0_14default_configENS1_36segmented_radix_sort_config_selectorIllEEZNS1_25segmented_radix_sort_implIS3_Lb1EPKlPlS8_S9_N2at6native12_GLOBAL__N_18offset_tEEE10hipError_tPvRmT1_PNSt15iterator_traitsISH_E10value_typeET2_T3_PNSI_ISN_E10value_typeET4_jRbjT5_ST_jjP12ihipStream_tbEUlT_E1_NS1_11comp_targetILNS1_3genE2ELNS1_11target_archE906ELNS1_3gpuE6ELNS1_3repE0EEENS1_59segmented_radix_sort_warp_sort_small_config_static_selectorELNS0_4arch9wavefront6targetE0EEEvSH_.num_agpr, 0
	.set _ZN7rocprim17ROCPRIM_400000_NS6detail17trampoline_kernelINS0_14default_configENS1_36segmented_radix_sort_config_selectorIllEEZNS1_25segmented_radix_sort_implIS3_Lb1EPKlPlS8_S9_N2at6native12_GLOBAL__N_18offset_tEEE10hipError_tPvRmT1_PNSt15iterator_traitsISH_E10value_typeET2_T3_PNSI_ISN_E10value_typeET4_jRbjT5_ST_jjP12ihipStream_tbEUlT_E1_NS1_11comp_targetILNS1_3genE2ELNS1_11target_archE906ELNS1_3gpuE6ELNS1_3repE0EEENS1_59segmented_radix_sort_warp_sort_small_config_static_selectorELNS0_4arch9wavefront6targetE0EEEvSH_.numbered_sgpr, 0
	.set _ZN7rocprim17ROCPRIM_400000_NS6detail17trampoline_kernelINS0_14default_configENS1_36segmented_radix_sort_config_selectorIllEEZNS1_25segmented_radix_sort_implIS3_Lb1EPKlPlS8_S9_N2at6native12_GLOBAL__N_18offset_tEEE10hipError_tPvRmT1_PNSt15iterator_traitsISH_E10value_typeET2_T3_PNSI_ISN_E10value_typeET4_jRbjT5_ST_jjP12ihipStream_tbEUlT_E1_NS1_11comp_targetILNS1_3genE2ELNS1_11target_archE906ELNS1_3gpuE6ELNS1_3repE0EEENS1_59segmented_radix_sort_warp_sort_small_config_static_selectorELNS0_4arch9wavefront6targetE0EEEvSH_.num_named_barrier, 0
	.set _ZN7rocprim17ROCPRIM_400000_NS6detail17trampoline_kernelINS0_14default_configENS1_36segmented_radix_sort_config_selectorIllEEZNS1_25segmented_radix_sort_implIS3_Lb1EPKlPlS8_S9_N2at6native12_GLOBAL__N_18offset_tEEE10hipError_tPvRmT1_PNSt15iterator_traitsISH_E10value_typeET2_T3_PNSI_ISN_E10value_typeET4_jRbjT5_ST_jjP12ihipStream_tbEUlT_E1_NS1_11comp_targetILNS1_3genE2ELNS1_11target_archE906ELNS1_3gpuE6ELNS1_3repE0EEENS1_59segmented_radix_sort_warp_sort_small_config_static_selectorELNS0_4arch9wavefront6targetE0EEEvSH_.private_seg_size, 0
	.set _ZN7rocprim17ROCPRIM_400000_NS6detail17trampoline_kernelINS0_14default_configENS1_36segmented_radix_sort_config_selectorIllEEZNS1_25segmented_radix_sort_implIS3_Lb1EPKlPlS8_S9_N2at6native12_GLOBAL__N_18offset_tEEE10hipError_tPvRmT1_PNSt15iterator_traitsISH_E10value_typeET2_T3_PNSI_ISN_E10value_typeET4_jRbjT5_ST_jjP12ihipStream_tbEUlT_E1_NS1_11comp_targetILNS1_3genE2ELNS1_11target_archE906ELNS1_3gpuE6ELNS1_3repE0EEENS1_59segmented_radix_sort_warp_sort_small_config_static_selectorELNS0_4arch9wavefront6targetE0EEEvSH_.uses_vcc, 0
	.set _ZN7rocprim17ROCPRIM_400000_NS6detail17trampoline_kernelINS0_14default_configENS1_36segmented_radix_sort_config_selectorIllEEZNS1_25segmented_radix_sort_implIS3_Lb1EPKlPlS8_S9_N2at6native12_GLOBAL__N_18offset_tEEE10hipError_tPvRmT1_PNSt15iterator_traitsISH_E10value_typeET2_T3_PNSI_ISN_E10value_typeET4_jRbjT5_ST_jjP12ihipStream_tbEUlT_E1_NS1_11comp_targetILNS1_3genE2ELNS1_11target_archE906ELNS1_3gpuE6ELNS1_3repE0EEENS1_59segmented_radix_sort_warp_sort_small_config_static_selectorELNS0_4arch9wavefront6targetE0EEEvSH_.uses_flat_scratch, 0
	.set _ZN7rocprim17ROCPRIM_400000_NS6detail17trampoline_kernelINS0_14default_configENS1_36segmented_radix_sort_config_selectorIllEEZNS1_25segmented_radix_sort_implIS3_Lb1EPKlPlS8_S9_N2at6native12_GLOBAL__N_18offset_tEEE10hipError_tPvRmT1_PNSt15iterator_traitsISH_E10value_typeET2_T3_PNSI_ISN_E10value_typeET4_jRbjT5_ST_jjP12ihipStream_tbEUlT_E1_NS1_11comp_targetILNS1_3genE2ELNS1_11target_archE906ELNS1_3gpuE6ELNS1_3repE0EEENS1_59segmented_radix_sort_warp_sort_small_config_static_selectorELNS0_4arch9wavefront6targetE0EEEvSH_.has_dyn_sized_stack, 0
	.set _ZN7rocprim17ROCPRIM_400000_NS6detail17trampoline_kernelINS0_14default_configENS1_36segmented_radix_sort_config_selectorIllEEZNS1_25segmented_radix_sort_implIS3_Lb1EPKlPlS8_S9_N2at6native12_GLOBAL__N_18offset_tEEE10hipError_tPvRmT1_PNSt15iterator_traitsISH_E10value_typeET2_T3_PNSI_ISN_E10value_typeET4_jRbjT5_ST_jjP12ihipStream_tbEUlT_E1_NS1_11comp_targetILNS1_3genE2ELNS1_11target_archE906ELNS1_3gpuE6ELNS1_3repE0EEENS1_59segmented_radix_sort_warp_sort_small_config_static_selectorELNS0_4arch9wavefront6targetE0EEEvSH_.has_recursion, 0
	.set _ZN7rocprim17ROCPRIM_400000_NS6detail17trampoline_kernelINS0_14default_configENS1_36segmented_radix_sort_config_selectorIllEEZNS1_25segmented_radix_sort_implIS3_Lb1EPKlPlS8_S9_N2at6native12_GLOBAL__N_18offset_tEEE10hipError_tPvRmT1_PNSt15iterator_traitsISH_E10value_typeET2_T3_PNSI_ISN_E10value_typeET4_jRbjT5_ST_jjP12ihipStream_tbEUlT_E1_NS1_11comp_targetILNS1_3genE2ELNS1_11target_archE906ELNS1_3gpuE6ELNS1_3repE0EEENS1_59segmented_radix_sort_warp_sort_small_config_static_selectorELNS0_4arch9wavefront6targetE0EEEvSH_.has_indirect_call, 0
	.section	.AMDGPU.csdata,"",@progbits
; Kernel info:
; codeLenInByte = 0
; TotalNumSgprs: 0
; NumVgprs: 0
; ScratchSize: 0
; MemoryBound: 0
; FloatMode: 240
; IeeeMode: 1
; LDSByteSize: 0 bytes/workgroup (compile time only)
; SGPRBlocks: 0
; VGPRBlocks: 0
; NumSGPRsForWavesPerEU: 1
; NumVGPRsForWavesPerEU: 1
; Occupancy: 16
; WaveLimiterHint : 0
; COMPUTE_PGM_RSRC2:SCRATCH_EN: 0
; COMPUTE_PGM_RSRC2:USER_SGPR: 2
; COMPUTE_PGM_RSRC2:TRAP_HANDLER: 0
; COMPUTE_PGM_RSRC2:TGID_X_EN: 1
; COMPUTE_PGM_RSRC2:TGID_Y_EN: 0
; COMPUTE_PGM_RSRC2:TGID_Z_EN: 0
; COMPUTE_PGM_RSRC2:TIDIG_COMP_CNT: 0
	.text
	.p2align	2                               ; -- Begin function _ZN7rocprim17ROCPRIM_400000_NS6detail26segmented_warp_sort_helperINS1_20WarpSortHelperConfigILj8ELj4ELj256EEEllLi256ELb1EvE4sortIPKlPlS8_S9_EEvT_T0_T1_T2_jjjjRNS5_12storage_typeE
	.type	_ZN7rocprim17ROCPRIM_400000_NS6detail26segmented_warp_sort_helperINS1_20WarpSortHelperConfigILj8ELj4ELj256EEEllLi256ELb1EvE4sortIPKlPlS8_S9_EEvT_T0_T1_T2_jjjjRNS5_12storage_typeE,@function
_ZN7rocprim17ROCPRIM_400000_NS6detail26segmented_warp_sort_helperINS1_20WarpSortHelperConfigILj8ELj4ELj256EEEllLi256ELb1EvE4sortIPKlPlS8_S9_EEvT_T0_T1_T2_jjjjRNS5_12storage_typeE: ; @_ZN7rocprim17ROCPRIM_400000_NS6detail26segmented_warp_sort_helperINS1_20WarpSortHelperConfigILj8ELj4ELj256EEEllLi256ELb1EvE4sortIPKlPlS8_S9_EEvT_T0_T1_T2_jjjjRNS5_12storage_typeE
; %bb.0:
	s_wait_loadcnt_dscnt 0x0
	s_wait_expcnt 0x0
	s_wait_samplecnt 0x0
	s_wait_bvhcnt 0x0
	s_wait_kmcnt 0x0
	v_mov_b32_e32 v13, v9
	v_mbcnt_lo_u32_b32 v9, -1, 0
	v_bfrev_b32_e32 v16, 1
	s_mov_b32 s0, 0
	s_brev_b32 s1, 1
	s_delay_alu instid0(VALU_DEP_2) | instskip(NEXT) | instid1(VALU_DEP_1)
	v_lshlrev_b32_e32 v50, 2, v9
	v_and_b32_e32 v49, 28, v50
	s_delay_alu instid0(VALU_DEP_1) | instskip(NEXT) | instid1(VALU_DEP_1)
	v_dual_mov_b32 v9, 0 :: v_dual_lshlrev_b32 v48, 3, v49
	v_lshlrev_b64_e32 v[29:30], 3, v[8:9]
	v_mov_b32_e32 v15, v9
	v_sub_nc_u32_e32 v8, v13, v8
	s_delay_alu instid0(VALU_DEP_2) | instskip(NEXT) | instid1(VALU_DEP_4)
	v_mov_b32_e32 v13, v15
	v_add_co_u32 v0, vcc_lo, v0, v29
	s_wait_alu 0xfffd
	v_add_co_ci_u32_e64 v1, null, v1, v30, vcc_lo
	v_mov_b32_e32 v14, v16
	s_delay_alu instid0(VALU_DEP_3) | instskip(SKIP_1) | instid1(VALU_DEP_3)
	v_add_co_u32 v0, vcc_lo, v0, v48
	s_wait_alu 0xfffd
	v_add_co_ci_u32_e64 v1, null, 0, v1, vcc_lo
	v_cmp_lt_u32_e32 vcc_lo, v49, v8
	s_and_saveexec_b32 s2, vcc_lo
	s_cbranch_execz .LBB729_2
; %bb.1:
	flat_load_b64 v[13:14], v[0:1]
.LBB729_2:
	s_wait_alu 0xfffe
	s_or_b32 exec_lo, exec_lo, s2
	v_or_b32_e32 v9, 1, v49
	v_dual_mov_b32 v17, s0 :: v_dual_mov_b32 v18, s1
	v_dual_mov_b32 v32, s0 :: v_dual_mov_b32 v33, s1
	;; [unrolled: 1-line block ×3, first 2 shown]
	s_delay_alu instid0(VALU_DEP_4)
	v_cmp_lt_u32_e64 s0, v9, v8
	s_and_saveexec_b32 s1, s0
	s_cbranch_execz .LBB729_4
; %bb.3:
	flat_load_b64 v[17:18], v[0:1] offset:8
	s_mov_b32 s2, 0
	s_brev_b32 s3, 1
	s_wait_alu 0xfffe
	v_dual_mov_b32 v32, s2 :: v_dual_mov_b32 v33, s3
	v_dual_mov_b32 v34, s2 :: v_dual_mov_b32 v35, s3
	s_wait_loadcnt_dscnt 0x0
	v_dual_mov_b32 v15, v17 :: v_dual_mov_b32 v16, v18
.LBB729_4:
	s_wait_alu 0xfffe
	s_or_b32 exec_lo, exec_lo, s1
	v_or_b32_e32 v9, 2, v49
	v_mov_b32_e32 v19, 0
	v_bfrev_b32_e32 v20, 1
	s_brev_b32 s3, 1
	s_mov_b32 s4, 0
	v_cmp_lt_u32_e64 s1, v9, v8
	s_delay_alu instid0(VALU_DEP_2)
	v_dual_mov_b32 v22, v20 :: v_dual_mov_b32 v21, v19
	s_and_saveexec_b32 s2, s1
	s_cbranch_execz .LBB729_6
; %bb.5:
	flat_load_b64 v[32:33], v[0:1] offset:16
	s_wait_alu 0xfffe
	v_dual_mov_b32 v34, s4 :: v_dual_mov_b32 v35, s3
	s_wait_loadcnt_dscnt 0x0
	v_dual_mov_b32 v21, v32 :: v_dual_mov_b32 v22, v33
.LBB729_6:
	s_wait_alu 0xfffe
	s_or_b32 exec_lo, exec_lo, s2
	v_or_b32_e32 v9, 3, v49
	s_delay_alu instid0(VALU_DEP_1)
	v_cmp_lt_u32_e64 s2, v9, v8
	s_and_saveexec_b32 s3, s2
	s_cbranch_execz .LBB729_8
; %bb.7:
	flat_load_b64 v[34:35], v[0:1] offset:24
	s_wait_loadcnt_dscnt 0x0
	v_dual_mov_b32 v19, v34 :: v_dual_mov_b32 v20, v35
.LBB729_8:
	s_wait_alu 0xfffe
	s_or_b32 exec_lo, exec_lo, s3
	v_add_co_u32 v0, s3, v4, v29
	s_wait_alu 0xf1ff
	v_add_co_ci_u32_e64 v1, null, v5, v30, s3
	s_delay_alu instid0(VALU_DEP_2) | instskip(SKIP_1) | instid1(VALU_DEP_2)
	v_add_co_u32 v23, s3, v0, v48
	s_wait_alu 0xf1ff
	v_add_co_ci_u32_e64 v24, null, 0, v1, s3
	; wave barrier
                                        ; implicit-def: $vgpr0_vgpr1
	s_and_saveexec_b32 s3, vcc_lo
	s_cbranch_execnz .LBB729_107
; %bb.9:
	s_wait_alu 0xfffe
	s_or_b32 exec_lo, exec_lo, s3
                                        ; implicit-def: $vgpr4_vgpr5
	s_and_saveexec_b32 s3, s0
	s_cbranch_execnz .LBB729_108
.LBB729_10:
	s_wait_alu 0xfffe
	s_or_b32 exec_lo, exec_lo, s3
                                        ; implicit-def: $vgpr27_vgpr28
	s_and_saveexec_b32 s3, s1
	s_cbranch_execnz .LBB729_109
.LBB729_11:
	s_wait_alu 0xfffe
	s_or_b32 exec_lo, exec_lo, s3
                                        ; implicit-def: $vgpr8_vgpr9
	s_and_saveexec_b32 s3, s2
	s_cbranch_execz .LBB729_13
.LBB729_12:
	flat_load_b64 v[8:9], v[23:24] offset:24
.LBB729_13:
	s_wait_alu 0xfffe
	s_or_b32 exec_lo, exec_lo, s3
	v_cmp_ne_u32_e64 s3, 0, v10
	v_cmp_ne_u32_e64 s4, 64, v11
	v_bfe_u32 v24, v31, 10, 10
	v_bfe_u32 v25, v31, 20, 10
	v_and_b32_e32 v23, 0x3ff, v31
	s_mov_b32 s5, 0
	s_or_b32 s3, s3, s4
	; wave barrier
	s_wait_alu 0xfffe
	s_and_saveexec_b32 s4, s3
	s_wait_alu 0xfffe
	s_xor_b32 s11, exec_lo, s4
	s_cbranch_execz .LBB729_55
; %bb.14:
	s_load_b64 s[6:7], s[8:9], 0x0
	s_and_b32 s3, ttmp7, 0xffff
	s_wait_kmcnt 0x0
	s_wait_alu 0xfffe
	s_cmp_lt_u32 s3, s7
	s_cselect_b32 s4, 14, 20
	s_cmp_lt_u32 ttmp9, s6
	s_wait_alu 0xfffe
	s_add_nc_u64 s[12:13], s[8:9], s[4:5]
	s_cselect_b32 s4, 12, 18
	s_load_u16 s3, s[12:13], 0x0
	s_add_nc_u64 s[4:5], s[8:9], s[4:5]
	s_mov_b32 s6, exec_lo
	s_load_u16 s4, s[4:5], 0x0
	s_wait_kmcnt 0x0
	v_mad_u32_u24 v24, v25, s3, v24
	s_delay_alu instid0(VALU_DEP_1) | instskip(SKIP_2) | instid1(VALU_DEP_1)
	v_mul_lo_u32 v26, v24, s4
	v_lshlrev_b64_e64 v[24:25], v11, -1
	v_lshlrev_b64_e64 v[10:11], v10, -1
	v_xor_b32_e32 v52, v25, v11
	s_delay_alu instid0(VALU_DEP_4) | instskip(NEXT) | instid1(VALU_DEP_3)
	v_add_lshl_u32 v53, v26, v23, 2
	v_xor_b32_e32 v51, v24, v10
	s_delay_alu instid0(VALU_DEP_2)
	v_cmpx_gt_u32_e32 0x400, v53
	s_cbranch_execz .LBB729_24
; %bb.15:
	v_and_b32_e32 v11, v16, v52
	s_delay_alu instid0(VALU_DEP_3)
	v_and_b32_e32 v10, v15, v51
	s_wait_loadcnt_dscnt 0x0
	v_dual_mov_b32 v25, v32 :: v_dual_and_b32 v16, v14, v52
	v_and_b32_e32 v15, v13, v51
	v_mov_b32_e32 v26, v33
	v_and_b32_e32 v20, v35, v52
	v_and_b32_e32 v19, v34, v51
	s_mov_b32 s5, exec_lo
	v_cmp_gt_u64_e64 s3, v[10:11], v[15:16]
	v_mov_b32_e32 v10, v27
	v_and_b32_e32 v16, v33, v52
	v_and_b32_e32 v15, v32, v51
	v_mov_b32_e32 v11, v28
	s_wait_alu 0xf1ff
	v_cndmask_b32_e64 v24, v18, v14, s3
	v_cndmask_b32_e64 v23, v17, v13, s3
	;; [unrolled: 1-line block ×4, first 2 shown]
	v_cmpx_gt_u64_e64 v[19:20], v[15:16]
	s_cbranch_execz .LBB729_17
; %bb.16:
	v_dual_mov_b32 v13, v32 :: v_dual_mov_b32 v14, v33
	v_dual_mov_b32 v11, v9 :: v_dual_mov_b32 v10, v8
	;; [unrolled: 1-line block ×7, first 2 shown]
.LBB729_17:
	s_wait_alu 0xfffe
	s_or_b32 exec_lo, exec_lo, s5
	s_delay_alu instid0(VALU_DEP_1) | instskip(NEXT) | instid1(VALU_DEP_2)
	v_dual_mov_b32 v27, v34 :: v_dual_and_b32 v36, v23, v51
	v_dual_mov_b32 v28, v35 :: v_dual_and_b32 v37, v24, v52
	v_cndmask_b32_e64 v39, v5, v1, s3
	v_cndmask_b32_e64 v38, v4, v0, s3
	s_delay_alu instid0(VALU_DEP_3)
	v_cmp_gt_u64_e64 s4, v[15:16], v[36:37]
	v_dual_mov_b32 v13, v21 :: v_dual_mov_b32 v14, v22
	v_dual_mov_b32 v15, v23 :: v_dual_mov_b32 v16, v24
	;; [unrolled: 1-line block ×5, first 2 shown]
	s_and_saveexec_b32 s5, s4
	s_wait_alu 0xfffe
	s_xor_b32 s4, exec_lo, s5
	s_cbranch_execz .LBB729_19
; %bb.18:
	v_dual_mov_b32 v13, v21 :: v_dual_and_b32 v36, v32, v51
	v_dual_mov_b32 v15, v23 :: v_dual_mov_b32 v16, v24
	v_dual_mov_b32 v17, v25 :: v_dual_mov_b32 v18, v26
	;; [unrolled: 1-line block ×3, first 2 shown]
	v_dual_mov_b32 v14, v22 :: v_dual_and_b32 v37, v33, v52
	v_dual_mov_b32 v15, v32 :: v_dual_mov_b32 v16, v33
	v_dual_mov_b32 v17, v23 :: v_dual_mov_b32 v18, v24
	v_dual_mov_b32 v19, v34 :: v_dual_mov_b32 v20, v35
	v_dual_mov_b32 v26, v11 :: v_dual_mov_b32 v25, v10
	v_dual_mov_b32 v10, v38 :: v_dual_mov_b32 v11, v39
	v_dual_mov_b32 v23, v32 :: v_dual_mov_b32 v24, v33
.LBB729_19:
	s_wait_alu 0xfffe
	s_or_b32 exec_lo, exec_lo, s4
	v_and_b32_e32 v22, v22, v52
	v_and_b32_e32 v21, v21, v51
	;; [unrolled: 1-line block ×6, first 2 shown]
	v_cmp_gt_u64_e64 s4, v[36:37], v[21:22]
	v_dual_mov_b32 v22, v18 :: v_dual_mov_b32 v21, v17
	s_mov_b32 s7, exec_lo
	s_wait_alu 0xf1ff
	v_cndmask_b32_e64 v16, v16, v14, s4
	v_cndmask_b32_e64 v15, v15, v13, s4
	v_cndmask_b32_e64 v14, v14, v24, s4
	v_cndmask_b32_e64 v13, v13, v23, s4
	v_dual_mov_b32 v24, v11 :: v_dual_mov_b32 v23, v10
	v_cmpx_gt_u64_e64 v[31:32], v[27:28]
	s_cbranch_execz .LBB729_21
; %bb.20:
	v_dual_mov_b32 v34, v18 :: v_dual_mov_b32 v33, v17
	v_dual_mov_b32 v24, v9 :: v_dual_mov_b32 v23, v8
	;; [unrolled: 1-line block ×7, first 2 shown]
.LBB729_21:
	s_wait_alu 0xfffe
	s_or_b32 exec_lo, exec_lo, s7
	v_and_b32_e32 v11, v16, v52
	v_and_b32_e32 v10, v15, v51
	v_cndmask_b32_e64 v5, v1, v5, s3
	v_cndmask_b32_e64 v4, v0, v4, s3
	s_delay_alu instid0(VALU_DEP_3) | instskip(NEXT) | instid1(VALU_DEP_3)
	v_cmp_gt_u64_e64 s3, v[27:28], v[10:11]
	v_cndmask_b32_e64 v1, v5, v26, s4
	s_delay_alu instid0(VALU_DEP_3)
	v_cndmask_b32_e64 v0, v4, v25, s4
	v_cndmask_b32_e64 v5, v26, v5, s4
	v_cndmask_b32_e64 v4, v25, v4, s4
	v_dual_mov_b32 v28, v24 :: v_dual_mov_b32 v27, v23
	s_and_saveexec_b32 s4, s3
; %bb.22:
	v_dual_mov_b32 v22, v16 :: v_dual_mov_b32 v21, v15
	v_dual_mov_b32 v15, v17 :: v_dual_mov_b32 v16, v18
	;; [unrolled: 1-line block ×4, first 2 shown]
; %bb.23:
	s_wait_alu 0xfffe
	s_or_b32 exec_lo, exec_lo, s4
.LBB729_24:
	s_delay_alu instid0(SALU_CYCLE_1) | instskip(SKIP_4) | instid1(VALU_DEP_3)
	s_or_b32 exec_lo, exec_lo, s6
	v_dual_mov_b32 v11, 0 :: v_dual_and_b32 v10, 0xffffff80, v53
	v_or_b32_e32 v17, 4, v50
	v_and_b32_e32 v23, 4, v50
	s_mov_b32 s4, exec_lo
	v_sub_nc_u32_e64 v18, 0x400, v10 clamp
	v_lshlrev_b64_e32 v[10:11], 3, v[10:11]
	s_delay_alu instid0(VALU_DEP_2) | instskip(NEXT) | instid1(VALU_DEP_2)
	v_min_u32_e32 v35, v18, v17
	v_add_co_u32 v17, null, v12, v10
	v_and_b32_e32 v10, 0x78, v50
	s_delay_alu instid0(VALU_DEP_3) | instskip(NEXT) | instid1(VALU_DEP_2)
	v_add_nc_u32_e32 v11, 4, v35
	v_sub_nc_u32_e32 v24, v35, v10
	s_delay_alu instid0(VALU_DEP_2) | instskip(SKIP_2) | instid1(VALU_DEP_3)
	v_min_u32_e32 v36, v18, v11
	v_min_u32_e32 v11, v18, v23
	v_lshl_add_u32 v23, v50, 3, v17
	v_sub_nc_u32_e32 v12, v36, v35
	s_delay_alu instid0(VALU_DEP_3) | instskip(NEXT) | instid1(VALU_DEP_3)
	v_min_u32_e32 v24, v11, v24
	v_add_nc_u32_e32 v25, 0x2000, v23
	s_wait_loadcnt_dscnt 0x0
	ds_store_b64 v23, v[0:1] offset:8192
	ds_store_2addr_b64 v23, v[13:14], v[15:16] offset1:1
	ds_store_2addr_b64 v25, v[4:5], v[27:28] offset0:1 offset1:2
	ds_store_2addr_b64 v23, v[21:22], v[19:20] offset0:2 offset1:3
	ds_store_b64 v23, v[8:9] offset:8216
	v_sub_nc_u32_e64 v12, v11, v12 clamp
	; wave barrier
	s_delay_alu instid0(VALU_DEP_1)
	v_cmpx_lt_u32_e64 v12, v24
	s_cbranch_execz .LBB729_28
; %bb.25:
	v_lshlrev_b32_e32 v25, 3, v10
	v_lshlrev_b32_e32 v26, 3, v35
	s_mov_b32 s5, 0
	s_delay_alu instid0(VALU_DEP_2) | instskip(NEXT) | instid1(VALU_DEP_2)
	v_add_co_u32 v25, null, v17, v25
	v_add_co_u32 v26, null, v17, v26
.LBB729_26:                             ; =>This Inner Loop Header: Depth=1
	v_add_nc_u32_e32 v31, v24, v12
	s_delay_alu instid0(VALU_DEP_1) | instskip(NEXT) | instid1(VALU_DEP_1)
	v_lshrrev_b32_e32 v37, 1, v31
	v_xad_u32 v31, v37, -1, v11
	v_lshl_add_u32 v32, v37, 3, v25
	s_delay_alu instid0(VALU_DEP_2)
	v_lshl_add_u32 v33, v31, 3, v26
	ds_load_b64 v[31:32], v32
	ds_load_b64 v[33:34], v33
	s_wait_dscnt 0x1
	v_and_b32_e32 v32, v32, v52
	v_and_b32_e32 v31, v31, v51
	s_wait_dscnt 0x0
	v_and_b32_e32 v34, v34, v52
	v_and_b32_e32 v33, v33, v51
	s_delay_alu instid0(VALU_DEP_1) | instskip(SKIP_2) | instid1(VALU_DEP_2)
	v_cmp_gt_u64_e64 s3, v[33:34], v[31:32]
	v_add_nc_u32_e32 v31, 1, v37
	s_wait_alu 0xf1ff
	v_cndmask_b32_e64 v24, v24, v37, s3
	s_delay_alu instid0(VALU_DEP_2) | instskip(NEXT) | instid1(VALU_DEP_1)
	v_cndmask_b32_e64 v12, v31, v12, s3
	v_cmp_ge_u32_e64 s3, v12, v24
	s_wait_alu 0xfffe
	s_or_b32 s5, s3, s5
	s_wait_alu 0xfffe
	s_and_not1_b32 exec_lo, exec_lo, s5
	s_cbranch_execnz .LBB729_26
; %bb.27:
	s_or_b32 exec_lo, exec_lo, s5
.LBB729_28:
	s_wait_alu 0xfffe
	s_or_b32 exec_lo, exec_lo, s4
	v_add_nc_u32_e32 v11, v35, v11
	v_add_nc_u32_e32 v37, v12, v10
	;; [unrolled: 1-line block ×5, first 2 shown]
	v_sub_nc_u32_e32 v38, v11, v12
	v_cmp_le_u32_e64 s3, v37, v35
	v_add_nc_u32_e32 v32, 16, v23
	v_add_nc_u32_e32 v33, 0x2010, v23
	;; [unrolled: 1-line block ×3, first 2 shown]
	v_cmp_le_u32_e64 s4, v38, v36
	v_add_nc_u32_e32 v25, 0x2018, v23
	s_or_b32 s3, s3, s4
	s_wait_alu 0xfffe
	s_and_saveexec_b32 s12, s3
	s_cbranch_execz .LBB729_34
; %bb.29:
	v_cmp_lt_u32_e64 s3, v37, v35
                                        ; implicit-def: $vgpr10_vgpr11
	s_and_saveexec_b32 s4, s3
; %bb.30:
	v_lshl_add_u32 v0, v37, 3, v17
	ds_load_b64 v[10:11], v0
; %bb.31:
	s_wait_alu 0xfffe
	s_or_b32 exec_lo, exec_lo, s4
	v_cmp_ge_u32_e64 s4, v38, v36
	s_mov_b32 s6, exec_lo
                                        ; implicit-def: $vgpr12_vgpr13
	v_cmpx_lt_u32_e64 v38, v36
; %bb.32:
	v_lshl_add_u32 v0, v38, 3, v17
	ds_load_b64 v[12:13], v0
; %bb.33:
	s_wait_alu 0xfffe
	s_or_b32 exec_lo, exec_lo, s6
	s_wait_dscnt 0x0
	v_and_b32_e32 v1, v13, v52
	v_and_b32_e32 v0, v12, v51
	;; [unrolled: 1-line block ×4, first 2 shown]
	s_delay_alu instid0(VALU_DEP_1)
	v_cmp_le_u64_e64 s5, v[0:1], v[4:5]
	s_and_b32 s3, s3, s5
	s_wait_alu 0xfffe
	s_or_b32 s3, s4, s3
	s_wait_alu 0xfffe
	v_cndmask_b32_e64 v8, v38, v37, s3
	v_cndmask_b32_e64 v0, v36, v35, s3
	s_delay_alu instid0(VALU_DEP_2) | instskip(NEXT) | instid1(VALU_DEP_2)
	v_add_nc_u32_e32 v9, 1, v8
	v_add_nc_u32_e32 v0, -1, v0
	s_delay_alu instid0(VALU_DEP_2) | instskip(NEXT) | instid1(VALU_DEP_2)
	v_cndmask_b32_e64 v14, v37, v9, s3
	v_min_u32_e32 v0, v9, v0
	v_cndmask_b32_e64 v9, v9, v38, s3
	s_delay_alu instid0(VALU_DEP_3) | instskip(NEXT) | instid1(VALU_DEP_3)
	v_cmp_lt_u32_e64 s5, v14, v35
	v_lshl_add_u32 v0, v0, 3, v17
	s_delay_alu instid0(VALU_DEP_3)
	v_cmp_ge_u32_e64 s6, v9, v36
	ds_load_b64 v[0:1], v0
	s_wait_dscnt 0x0
	v_cndmask_b32_e64 v15, v1, v13, s3
	v_cndmask_b32_e64 v19, v0, v12, s3
	;; [unrolled: 1-line block ×4, first 2 shown]
	s_delay_alu instid0(VALU_DEP_4) | instskip(NEXT) | instid1(VALU_DEP_4)
	v_and_b32_e32 v1, v15, v52
	v_and_b32_e32 v0, v19, v51
	s_delay_alu instid0(VALU_DEP_4) | instskip(NEXT) | instid1(VALU_DEP_4)
	v_and_b32_e32 v5, v16, v52
	v_and_b32_e32 v4, v20, v51
	s_delay_alu instid0(VALU_DEP_1)
	v_cmp_le_u64_e64 s4, v[0:1], v[4:5]
	s_and_b32 s4, s5, s4
	s_wait_alu 0xfffe
	s_or_b32 s4, s6, s4
	s_wait_alu 0xfffe
	v_cndmask_b32_e64 v21, v9, v14, s4
	v_cndmask_b32_e64 v0, v36, v35, s4
	s_delay_alu instid0(VALU_DEP_2) | instskip(NEXT) | instid1(VALU_DEP_2)
	v_add_nc_u32_e32 v22, 1, v21
	v_add_nc_u32_e32 v0, -1, v0
	s_delay_alu instid0(VALU_DEP_2) | instskip(NEXT) | instid1(VALU_DEP_2)
	v_cndmask_b32_e64 v14, v14, v22, s4
	v_min_u32_e32 v0, v22, v0
	v_cndmask_b32_e64 v9, v22, v9, s4
	s_delay_alu instid0(VALU_DEP_3) | instskip(NEXT) | instid1(VALU_DEP_3)
	v_cmp_lt_u32_e64 s6, v14, v35
	v_lshl_add_u32 v0, v0, 3, v17
	s_delay_alu instid0(VALU_DEP_3)
	v_cmp_ge_u32_e64 s7, v9, v36
	ds_load_b64 v[0:1], v0
	s_wait_dscnt 0x0
	v_cndmask_b32_e64 v37, v1, v15, s4
	v_cndmask_b32_e64 v38, v0, v19, s4
	;; [unrolled: 1-line block ×5, first 2 shown]
	v_and_b32_e32 v1, v37, v52
	v_and_b32_e32 v0, v38, v51
	;; [unrolled: 1-line block ×4, first 2 shown]
	v_cndmask_b32_e64 v15, v19, v20, s4
	s_delay_alu instid0(VALU_DEP_2)
	v_cmp_le_u64_e64 s5, v[0:1], v[4:5]
	s_and_b32 s5, s6, s5
	s_wait_alu 0xfffe
	s_or_b32 s5, s7, s5
	s_wait_alu 0xfffe
	v_cndmask_b32_e64 v22, v9, v14, s5
	v_cndmask_b32_e64 v0, v36, v35, s5
	s_delay_alu instid0(VALU_DEP_2) | instskip(NEXT) | instid1(VALU_DEP_2)
	v_add_nc_u32_e32 v27, 1, v22
	v_add_nc_u32_e32 v0, -1, v0
	s_delay_alu instid0(VALU_DEP_2) | instskip(NEXT) | instid1(VALU_DEP_2)
	v_cndmask_b32_e64 v14, v14, v27, s5
	v_min_u32_e32 v0, v27, v0
	v_cndmask_b32_e64 v9, v27, v9, s5
	s_delay_alu instid0(VALU_DEP_3) | instskip(NEXT) | instid1(VALU_DEP_3)
	v_cmp_lt_u32_e64 s7, v14, v35
	v_lshl_add_u32 v0, v0, 3, v17
	s_delay_alu instid0(VALU_DEP_3)
	v_cmp_ge_u32_e64 s10, v9, v36
	ds_load_b64 v[0:1], v0
	s_wait_dscnt 0x0
	v_cndmask_b32_e64 v54, v1, v37, s5
	v_cndmask_b32_e64 v55, v0, v38, s5
	v_cndmask_b32_e64 v64, v39, v1, s5
	v_cndmask_b32_e64 v65, v53, v0, s5
	s_delay_alu instid0(VALU_DEP_4) | instskip(NEXT) | instid1(VALU_DEP_4)
	v_and_b32_e32 v1, v54, v52
	v_and_b32_e32 v0, v55, v51
	s_delay_alu instid0(VALU_DEP_4) | instskip(NEXT) | instid1(VALU_DEP_4)
	v_and_b32_e32 v5, v64, v52
	v_and_b32_e32 v4, v65, v51
	s_delay_alu instid0(VALU_DEP_1)
	v_cmp_le_u64_e64 s6, v[0:1], v[4:5]
	v_lshl_add_u32 v1, v8, 3, v17
	v_lshl_add_u32 v4, v21, 3, v17
	;; [unrolled: 1-line block ×3, first 2 shown]
	v_cndmask_b32_e64 v22, v37, v39, s5
	v_cndmask_b32_e64 v21, v38, v53, s5
	s_and_b32 s6, s7, s6
	s_wait_alu 0xfffe
	s_or_b32 s6, s10, s6
	s_wait_alu 0xfffe
	v_cndmask_b32_e64 v0, v9, v14, s6
	v_cndmask_b32_e64 v14, v13, v11, s3
	;; [unrolled: 1-line block ×5, first 2 shown]
	v_lshl_add_u32 v9, v0, 3, v17
	ds_load_b64 v[0:1], v1 offset:8192
	ds_load_b64 v[4:5], v4 offset:8192
	;; [unrolled: 1-line block ×4, first 2 shown]
.LBB729_34:
	s_wait_alu 0xfffe
	s_or_b32 exec_lo, exec_lo, s12
	v_and_b32_e32 v10, 0x70, v50
	v_and_b32_e32 v12, 12, v50
	s_mov_b32 s4, exec_lo
	; wave barrier
	s_delay_alu instid0(VALU_DEP_2)
	v_or_b32_e32 v11, 8, v10
	ds_store_b64 v23, v[13:14]
	s_wait_dscnt 0x4
	ds_store_b64 v34, v[0:1]
	ds_store_b64 v26, v[15:16]
	s_wait_dscnt 0x5
	ds_store_b64 v31, v[4:5]
	;; [unrolled: 3-line block ×4, first 2 shown]
	; wave barrier
	v_min_u32_e32 v35, v18, v11
	s_delay_alu instid0(VALU_DEP_1) | instskip(SKIP_1) | instid1(VALU_DEP_2)
	v_add_nc_u32_e32 v11, 8, v35
	v_sub_nc_u32_e32 v37, v35, v10
	v_min_u32_e32 v36, v18, v11
	v_min_u32_e32 v11, v18, v12
	s_delay_alu instid0(VALU_DEP_2) | instskip(NEXT) | instid1(VALU_DEP_2)
	v_sub_nc_u32_e32 v12, v36, v35
	v_min_u32_e32 v37, v11, v37
	s_delay_alu instid0(VALU_DEP_2) | instskip(NEXT) | instid1(VALU_DEP_1)
	v_sub_nc_u32_e64 v12, v11, v12 clamp
	v_cmpx_lt_u32_e64 v12, v37
	s_cbranch_execz .LBB729_38
; %bb.35:
	v_lshlrev_b32_e32 v38, 3, v10
	v_lshlrev_b32_e32 v39, 3, v35
	s_mov_b32 s5, 0
	s_delay_alu instid0(VALU_DEP_2) | instskip(NEXT) | instid1(VALU_DEP_2)
	v_add_co_u32 v38, null, v17, v38
	v_add_co_u32 v39, null, v17, v39
.LBB729_36:                             ; =>This Inner Loop Header: Depth=1
	v_add_nc_u32_e32 v53, v37, v12
	s_delay_alu instid0(VALU_DEP_1) | instskip(NEXT) | instid1(VALU_DEP_1)
	v_lshrrev_b32_e32 v55, 1, v53
	v_xad_u32 v53, v55, -1, v11
	v_lshl_add_u32 v54, v55, 3, v38
	s_delay_alu instid0(VALU_DEP_2)
	v_lshl_add_u32 v64, v53, 3, v39
	ds_load_b64 v[53:54], v54
	ds_load_b64 v[64:65], v64
	s_wait_dscnt 0x1
	v_and_b32_e32 v54, v54, v52
	v_and_b32_e32 v53, v53, v51
	s_wait_dscnt 0x0
	v_and_b32_e32 v65, v65, v52
	v_and_b32_e32 v64, v64, v51
	s_delay_alu instid0(VALU_DEP_1) | instskip(SKIP_2) | instid1(VALU_DEP_2)
	v_cmp_gt_u64_e64 s3, v[64:65], v[53:54]
	v_add_nc_u32_e32 v53, 1, v55
	s_wait_alu 0xf1ff
	v_cndmask_b32_e64 v37, v37, v55, s3
	s_delay_alu instid0(VALU_DEP_2) | instskip(NEXT) | instid1(VALU_DEP_1)
	v_cndmask_b32_e64 v12, v53, v12, s3
	v_cmp_ge_u32_e64 s3, v12, v37
	s_wait_alu 0xfffe
	s_or_b32 s5, s3, s5
	s_wait_alu 0xfffe
	s_and_not1_b32 exec_lo, exec_lo, s5
	s_cbranch_execnz .LBB729_36
; %bb.37:
	s_or_b32 exec_lo, exec_lo, s5
.LBB729_38:
	s_wait_alu 0xfffe
	s_or_b32 exec_lo, exec_lo, s4
	v_add_nc_u32_e32 v11, v35, v11
	v_add_nc_u32_e32 v37, v12, v10
	s_delay_alu instid0(VALU_DEP_2) | instskip(NEXT) | instid1(VALU_DEP_2)
	v_sub_nc_u32_e32 v38, v11, v12
	v_cmp_le_u32_e64 s3, v37, v35
	s_delay_alu instid0(VALU_DEP_2)
	v_cmp_le_u32_e64 s4, v38, v36
	s_or_b32 s3, s3, s4
	s_wait_alu 0xfffe
	s_and_saveexec_b32 s12, s3
	s_cbranch_execz .LBB729_44
; %bb.39:
	v_cmp_lt_u32_e64 s3, v37, v35
                                        ; implicit-def: $vgpr10_vgpr11
	s_and_saveexec_b32 s4, s3
; %bb.40:
	v_lshl_add_u32 v0, v37, 3, v17
	ds_load_b64 v[10:11], v0
; %bb.41:
	s_wait_alu 0xfffe
	s_or_b32 exec_lo, exec_lo, s4
	v_cmp_ge_u32_e64 s4, v38, v36
	s_mov_b32 s6, exec_lo
                                        ; implicit-def: $vgpr12_vgpr13
	v_cmpx_lt_u32_e64 v38, v36
; %bb.42:
	v_lshl_add_u32 v0, v38, 3, v17
	ds_load_b64 v[12:13], v0
; %bb.43:
	s_wait_alu 0xfffe
	s_or_b32 exec_lo, exec_lo, s6
	s_wait_dscnt 0x0
	v_and_b32_e32 v1, v13, v52
	v_and_b32_e32 v0, v12, v51
	;; [unrolled: 1-line block ×4, first 2 shown]
	s_delay_alu instid0(VALU_DEP_1)
	v_cmp_le_u64_e64 s5, v[0:1], v[4:5]
	s_and_b32 s3, s3, s5
	s_wait_alu 0xfffe
	s_or_b32 s3, s4, s3
	s_wait_alu 0xfffe
	v_cndmask_b32_e64 v8, v38, v37, s3
	v_cndmask_b32_e64 v0, v36, v35, s3
	s_delay_alu instid0(VALU_DEP_2) | instskip(NEXT) | instid1(VALU_DEP_2)
	v_add_nc_u32_e32 v9, 1, v8
	v_add_nc_u32_e32 v0, -1, v0
	s_delay_alu instid0(VALU_DEP_2) | instskip(NEXT) | instid1(VALU_DEP_2)
	v_cndmask_b32_e64 v14, v37, v9, s3
	v_min_u32_e32 v0, v9, v0
	v_cndmask_b32_e64 v9, v9, v38, s3
	s_delay_alu instid0(VALU_DEP_3) | instskip(NEXT) | instid1(VALU_DEP_3)
	v_cmp_lt_u32_e64 s5, v14, v35
	v_lshl_add_u32 v0, v0, 3, v17
	s_delay_alu instid0(VALU_DEP_3)
	v_cmp_ge_u32_e64 s6, v9, v36
	ds_load_b64 v[0:1], v0
	s_wait_dscnt 0x0
	v_cndmask_b32_e64 v15, v1, v13, s3
	v_cndmask_b32_e64 v19, v0, v12, s3
	;; [unrolled: 1-line block ×4, first 2 shown]
	s_delay_alu instid0(VALU_DEP_4) | instskip(NEXT) | instid1(VALU_DEP_4)
	v_and_b32_e32 v1, v15, v52
	v_and_b32_e32 v0, v19, v51
	s_delay_alu instid0(VALU_DEP_4) | instskip(NEXT) | instid1(VALU_DEP_4)
	v_and_b32_e32 v5, v16, v52
	v_and_b32_e32 v4, v20, v51
	s_delay_alu instid0(VALU_DEP_1)
	v_cmp_le_u64_e64 s4, v[0:1], v[4:5]
	s_and_b32 s4, s5, s4
	s_wait_alu 0xfffe
	s_or_b32 s4, s6, s4
	s_wait_alu 0xfffe
	v_cndmask_b32_e64 v21, v9, v14, s4
	v_cndmask_b32_e64 v0, v36, v35, s4
	s_delay_alu instid0(VALU_DEP_2) | instskip(NEXT) | instid1(VALU_DEP_2)
	v_add_nc_u32_e32 v22, 1, v21
	v_add_nc_u32_e32 v0, -1, v0
	s_delay_alu instid0(VALU_DEP_2) | instskip(NEXT) | instid1(VALU_DEP_2)
	v_cndmask_b32_e64 v14, v14, v22, s4
	v_min_u32_e32 v0, v22, v0
	v_cndmask_b32_e64 v9, v22, v9, s4
	s_delay_alu instid0(VALU_DEP_3) | instskip(NEXT) | instid1(VALU_DEP_3)
	v_cmp_lt_u32_e64 s6, v14, v35
	v_lshl_add_u32 v0, v0, 3, v17
	s_delay_alu instid0(VALU_DEP_3)
	v_cmp_ge_u32_e64 s7, v9, v36
	ds_load_b64 v[0:1], v0
	s_wait_dscnt 0x0
	v_cndmask_b32_e64 v37, v1, v15, s4
	v_cndmask_b32_e64 v38, v0, v19, s4
	v_cndmask_b32_e64 v39, v16, v1, s4
	v_cndmask_b32_e64 v53, v20, v0, s4
	v_cndmask_b32_e64 v16, v15, v16, s4
	v_and_b32_e32 v1, v37, v52
	v_and_b32_e32 v0, v38, v51
	;; [unrolled: 1-line block ×4, first 2 shown]
	v_cndmask_b32_e64 v15, v19, v20, s4
	s_delay_alu instid0(VALU_DEP_2)
	v_cmp_le_u64_e64 s5, v[0:1], v[4:5]
	s_and_b32 s5, s6, s5
	s_wait_alu 0xfffe
	s_or_b32 s5, s7, s5
	s_wait_alu 0xfffe
	v_cndmask_b32_e64 v22, v9, v14, s5
	v_cndmask_b32_e64 v0, v36, v35, s5
	s_delay_alu instid0(VALU_DEP_2) | instskip(NEXT) | instid1(VALU_DEP_2)
	v_add_nc_u32_e32 v27, 1, v22
	v_add_nc_u32_e32 v0, -1, v0
	s_delay_alu instid0(VALU_DEP_2) | instskip(NEXT) | instid1(VALU_DEP_2)
	v_cndmask_b32_e64 v14, v14, v27, s5
	v_min_u32_e32 v0, v27, v0
	v_cndmask_b32_e64 v9, v27, v9, s5
	s_delay_alu instid0(VALU_DEP_3) | instskip(NEXT) | instid1(VALU_DEP_3)
	v_cmp_lt_u32_e64 s7, v14, v35
	v_lshl_add_u32 v0, v0, 3, v17
	s_delay_alu instid0(VALU_DEP_3)
	v_cmp_ge_u32_e64 s10, v9, v36
	ds_load_b64 v[0:1], v0
	s_wait_dscnt 0x0
	v_cndmask_b32_e64 v54, v1, v37, s5
	v_cndmask_b32_e64 v55, v0, v38, s5
	;; [unrolled: 1-line block ×4, first 2 shown]
	s_delay_alu instid0(VALU_DEP_4) | instskip(NEXT) | instid1(VALU_DEP_4)
	v_and_b32_e32 v1, v54, v52
	v_and_b32_e32 v0, v55, v51
	s_delay_alu instid0(VALU_DEP_4) | instskip(NEXT) | instid1(VALU_DEP_4)
	v_and_b32_e32 v5, v64, v52
	v_and_b32_e32 v4, v65, v51
	s_delay_alu instid0(VALU_DEP_1)
	v_cmp_le_u64_e64 s6, v[0:1], v[4:5]
	v_lshl_add_u32 v1, v8, 3, v17
	v_lshl_add_u32 v4, v21, 3, v17
	;; [unrolled: 1-line block ×3, first 2 shown]
	v_cndmask_b32_e64 v22, v37, v39, s5
	v_cndmask_b32_e64 v21, v38, v53, s5
	s_and_b32 s6, s7, s6
	s_wait_alu 0xfffe
	s_or_b32 s6, s10, s6
	s_wait_alu 0xfffe
	v_cndmask_b32_e64 v0, v9, v14, s6
	v_cndmask_b32_e64 v14, v13, v11, s3
	;; [unrolled: 1-line block ×5, first 2 shown]
	v_lshl_add_u32 v9, v0, 3, v17
	ds_load_b64 v[0:1], v1 offset:8192
	ds_load_b64 v[4:5], v4 offset:8192
	;; [unrolled: 1-line block ×4, first 2 shown]
.LBB729_44:
	s_wait_alu 0xfffe
	s_or_b32 exec_lo, exec_lo, s12
	v_and_b32_e32 v10, 0x60, v50
	s_mov_b32 s4, exec_lo
	; wave barrier
	ds_store_b64 v23, v[13:14]
	s_wait_dscnt 0x4
	ds_store_b64 v34, v[0:1]
	v_or_b32_e32 v11, 16, v10
	ds_store_b64 v26, v[15:16]
	s_wait_dscnt 0x5
	ds_store_b64 v31, v[4:5]
	ds_store_b64 v32, v[21:22]
	s_wait_dscnt 0x6
	ds_store_b64 v33, v[27:28]
	;; [unrolled: 3-line block ×3, first 2 shown]
	; wave barrier
	v_min_u32_e32 v35, v18, v11
	s_delay_alu instid0(VALU_DEP_1) | instskip(NEXT) | instid1(VALU_DEP_1)
	v_add_nc_u32_e32 v11, 16, v35
	v_min_u32_e32 v36, v18, v11
	v_min_u32_e32 v11, v18, v49
	v_sub_nc_u32_e32 v18, v35, v10
	s_delay_alu instid0(VALU_DEP_3) | instskip(NEXT) | instid1(VALU_DEP_2)
	v_sub_nc_u32_e32 v12, v36, v35
	v_min_u32_e32 v18, v11, v18
	s_delay_alu instid0(VALU_DEP_2) | instskip(NEXT) | instid1(VALU_DEP_1)
	v_sub_nc_u32_e64 v12, v11, v12 clamp
	v_cmpx_lt_u32_e64 v12, v18
	s_cbranch_execz .LBB729_48
; %bb.45:
	v_lshlrev_b32_e32 v23, 3, v10
	v_lshlrev_b32_e32 v24, 3, v35
	s_mov_b32 s5, 0
	s_delay_alu instid0(VALU_DEP_2) | instskip(NEXT) | instid1(VALU_DEP_2)
	v_add_co_u32 v23, null, v17, v23
	v_add_co_u32 v24, null, v17, v24
.LBB729_46:                             ; =>This Inner Loop Header: Depth=1
	v_add_nc_u32_e32 v25, v18, v12
	s_delay_alu instid0(VALU_DEP_1) | instskip(NEXT) | instid1(VALU_DEP_1)
	v_lshrrev_b32_e32 v33, 1, v25
	v_xad_u32 v25, v33, -1, v11
	v_lshl_add_u32 v26, v33, 3, v23
	s_delay_alu instid0(VALU_DEP_2)
	v_lshl_add_u32 v31, v25, 3, v24
	ds_load_b64 v[25:26], v26
	ds_load_b64 v[31:32], v31
	s_wait_dscnt 0x1
	v_and_b32_e32 v26, v26, v52
	v_and_b32_e32 v25, v25, v51
	s_wait_dscnt 0x0
	v_and_b32_e32 v32, v32, v52
	v_and_b32_e32 v31, v31, v51
	s_delay_alu instid0(VALU_DEP_1) | instskip(SKIP_2) | instid1(VALU_DEP_2)
	v_cmp_gt_u64_e64 s3, v[31:32], v[25:26]
	v_add_nc_u32_e32 v25, 1, v33
	s_wait_alu 0xf1ff
	v_cndmask_b32_e64 v18, v18, v33, s3
	s_delay_alu instid0(VALU_DEP_2) | instskip(NEXT) | instid1(VALU_DEP_1)
	v_cndmask_b32_e64 v12, v25, v12, s3
	v_cmp_ge_u32_e64 s3, v12, v18
	s_wait_alu 0xfffe
	s_or_b32 s5, s3, s5
	s_wait_alu 0xfffe
	s_and_not1_b32 exec_lo, exec_lo, s5
	s_cbranch_execnz .LBB729_46
; %bb.47:
	s_or_b32 exec_lo, exec_lo, s5
.LBB729_48:
	s_wait_alu 0xfffe
	s_or_b32 exec_lo, exec_lo, s4
	v_add_nc_u32_e32 v11, v35, v11
	v_add_nc_u32_e32 v18, v12, v10
	s_delay_alu instid0(VALU_DEP_2) | instskip(NEXT) | instid1(VALU_DEP_2)
	v_sub_nc_u32_e32 v23, v11, v12
	v_cmp_le_u32_e64 s3, v18, v35
	s_delay_alu instid0(VALU_DEP_2)
	v_cmp_le_u32_e64 s4, v23, v36
	s_or_b32 s3, s3, s4
	s_wait_alu 0xfffe
	s_and_saveexec_b32 s12, s3
	s_cbranch_execz .LBB729_54
; %bb.49:
	v_cmp_lt_u32_e64 s3, v18, v35
                                        ; implicit-def: $vgpr10_vgpr11
	s_and_saveexec_b32 s4, s3
; %bb.50:
	v_lshl_add_u32 v0, v18, 3, v17
	ds_load_b64 v[10:11], v0
; %bb.51:
	s_wait_alu 0xfffe
	s_or_b32 exec_lo, exec_lo, s4
	v_cmp_ge_u32_e64 s4, v23, v36
	s_mov_b32 s6, exec_lo
                                        ; implicit-def: $vgpr12_vgpr13
	v_cmpx_lt_u32_e64 v23, v36
; %bb.52:
	v_lshl_add_u32 v0, v23, 3, v17
	ds_load_b64 v[12:13], v0
; %bb.53:
	s_wait_alu 0xfffe
	s_or_b32 exec_lo, exec_lo, s6
	s_wait_dscnt 0x0
	v_and_b32_e32 v1, v13, v52
	v_and_b32_e32 v0, v12, v51
	;; [unrolled: 1-line block ×4, first 2 shown]
	s_delay_alu instid0(VALU_DEP_1)
	v_cmp_le_u64_e64 s5, v[0:1], v[4:5]
	s_and_b32 s3, s3, s5
	s_wait_alu 0xfffe
	s_or_b32 s3, s4, s3
	s_wait_alu 0xfffe
	v_cndmask_b32_e64 v8, v23, v18, s3
	v_cndmask_b32_e64 v0, v36, v35, s3
	s_delay_alu instid0(VALU_DEP_2) | instskip(NEXT) | instid1(VALU_DEP_2)
	v_add_nc_u32_e32 v9, 1, v8
	v_add_nc_u32_e32 v0, -1, v0
	s_delay_alu instid0(VALU_DEP_2) | instskip(NEXT) | instid1(VALU_DEP_2)
	v_cndmask_b32_e64 v14, v18, v9, s3
	v_min_u32_e32 v0, v9, v0
	v_cndmask_b32_e64 v9, v9, v23, s3
	s_delay_alu instid0(VALU_DEP_3) | instskip(NEXT) | instid1(VALU_DEP_3)
	v_cmp_lt_u32_e64 s5, v14, v35
	v_lshl_add_u32 v0, v0, 3, v17
	s_delay_alu instid0(VALU_DEP_3)
	v_cmp_ge_u32_e64 s6, v9, v36
	ds_load_b64 v[0:1], v0
	s_wait_dscnt 0x0
	v_cndmask_b32_e64 v15, v1, v13, s3
	v_cndmask_b32_e64 v19, v0, v12, s3
	;; [unrolled: 1-line block ×4, first 2 shown]
	s_delay_alu instid0(VALU_DEP_4) | instskip(NEXT) | instid1(VALU_DEP_4)
	v_and_b32_e32 v1, v15, v52
	v_and_b32_e32 v0, v19, v51
	s_delay_alu instid0(VALU_DEP_4) | instskip(NEXT) | instid1(VALU_DEP_4)
	v_and_b32_e32 v5, v16, v52
	v_and_b32_e32 v4, v20, v51
	s_delay_alu instid0(VALU_DEP_1)
	v_cmp_le_u64_e64 s4, v[0:1], v[4:5]
	s_and_b32 s4, s5, s4
	s_wait_alu 0xfffe
	s_or_b32 s4, s6, s4
	s_wait_alu 0xfffe
	v_cndmask_b32_e64 v18, v9, v14, s4
	v_cndmask_b32_e64 v0, v36, v35, s4
	s_delay_alu instid0(VALU_DEP_2) | instskip(NEXT) | instid1(VALU_DEP_2)
	v_add_nc_u32_e32 v21, 1, v18
	v_add_nc_u32_e32 v0, -1, v0
	s_delay_alu instid0(VALU_DEP_2) | instskip(NEXT) | instid1(VALU_DEP_2)
	v_cndmask_b32_e64 v14, v14, v21, s4
	v_min_u32_e32 v0, v21, v0
	v_cndmask_b32_e64 v9, v21, v9, s4
	s_delay_alu instid0(VALU_DEP_3) | instskip(NEXT) | instid1(VALU_DEP_3)
	v_cmp_lt_u32_e64 s6, v14, v35
	v_lshl_add_u32 v0, v0, 3, v17
	s_delay_alu instid0(VALU_DEP_3)
	v_cmp_ge_u32_e64 s7, v9, v36
	ds_load_b64 v[0:1], v0
	s_wait_dscnt 0x0
	v_cndmask_b32_e64 v22, v1, v15, s4
	v_cndmask_b32_e64 v23, v0, v19, s4
	;; [unrolled: 1-line block ×5, first 2 shown]
	v_and_b32_e32 v1, v22, v52
	v_and_b32_e32 v0, v23, v51
	;; [unrolled: 1-line block ×4, first 2 shown]
	v_cndmask_b32_e64 v15, v19, v20, s4
	s_delay_alu instid0(VALU_DEP_2)
	v_cmp_le_u64_e64 s5, v[0:1], v[4:5]
	s_and_b32 s5, s6, s5
	s_wait_alu 0xfffe
	s_or_b32 s5, s7, s5
	s_wait_alu 0xfffe
	v_cndmask_b32_e64 v21, v9, v14, s5
	v_cndmask_b32_e64 v0, v36, v35, s5
	s_delay_alu instid0(VALU_DEP_2) | instskip(NEXT) | instid1(VALU_DEP_2)
	v_add_nc_u32_e32 v26, 1, v21
	v_add_nc_u32_e32 v0, -1, v0
	s_delay_alu instid0(VALU_DEP_2) | instskip(NEXT) | instid1(VALU_DEP_2)
	v_cndmask_b32_e64 v14, v14, v26, s5
	v_min_u32_e32 v0, v26, v0
	v_cndmask_b32_e64 v9, v26, v9, s5
	s_delay_alu instid0(VALU_DEP_3) | instskip(NEXT) | instid1(VALU_DEP_3)
	v_cmp_lt_u32_e64 s7, v14, v35
	v_lshl_add_u32 v0, v0, 3, v17
	s_delay_alu instid0(VALU_DEP_3)
	v_cmp_ge_u32_e64 s10, v9, v36
	ds_load_b64 v[0:1], v0
	s_wait_dscnt 0x0
	v_cndmask_b32_e64 v31, v1, v22, s5
	v_cndmask_b32_e64 v32, v0, v23, s5
	;; [unrolled: 1-line block ×5, first 2 shown]
	v_and_b32_e32 v1, v31, v52
	v_and_b32_e32 v0, v32, v51
	;; [unrolled: 1-line block ×4, first 2 shown]
	s_delay_alu instid0(VALU_DEP_1)
	v_cmp_le_u64_e64 s6, v[0:1], v[4:5]
	v_lshl_add_u32 v1, v8, 3, v17
	v_lshl_add_u32 v4, v18, 3, v17
	;; [unrolled: 1-line block ×3, first 2 shown]
	v_cndmask_b32_e64 v21, v23, v25, s5
	s_and_b32 s6, s7, s6
	s_wait_alu 0xfffe
	s_or_b32 s6, s10, s6
	s_wait_alu 0xfffe
	v_cndmask_b32_e64 v0, v9, v14, s6
	v_cndmask_b32_e64 v14, v13, v11, s3
	;; [unrolled: 1-line block ×5, first 2 shown]
	v_lshl_add_u32 v9, v0, 3, v17
	ds_load_b64 v[0:1], v1 offset:8192
	ds_load_b64 v[4:5], v4 offset:8192
	;; [unrolled: 1-line block ×4, first 2 shown]
.LBB729_54:
	s_wait_alu 0xfffe
	s_or_b32 exec_lo, exec_lo, s12
	; wave barrier
	s_wait_storecnt_dscnt 0x0
	s_barrier_signal -1
	s_barrier_wait -1
                                        ; implicit-def: $vgpr50
                                        ; implicit-def: $vgpr12
                                        ; implicit-def: $vgpr49
                                        ; implicit-def: $vgpr24
                                        ; implicit-def: $vgpr25
                                        ; implicit-def: $vgpr23
                                        ; implicit-def: $vgpr34_vgpr35
                                        ; implicit-def: $vgpr32_vgpr33
                                        ; implicit-def: $vgpr17_vgpr18
.LBB729_55:
	s_wait_alu 0xfffe
	s_and_not1_saveexec_b32 s10, s11
	s_cbranch_execz .LBB729_97
; %bb.56:
	s_load_b64 s[4:5], s[8:9], 0x0
	s_and_b32 s3, ttmp7, 0xffff
	s_mov_b32 s7, 0
	s_wait_kmcnt 0x0
	s_wait_alu 0xfffe
	s_cmp_lt_u32 s3, s5
	s_cselect_b32 s6, 14, 20
	s_cmp_lt_u32 ttmp9, s4
	s_wait_alu 0xfffe
	s_add_nc_u64 s[12:13], s[8:9], s[6:7]
	s_cselect_b32 s6, 12, 18
	s_load_u16 s3, s[12:13], 0x0
	s_add_nc_u64 s[4:5], s[8:9], s[6:7]
	s_mov_b32 s6, exec_lo
	s_load_u16 s4, s[4:5], 0x0
	s_wait_kmcnt 0x0
	v_mad_u32_u24 v10, v25, s3, v24
	s_delay_alu instid0(VALU_DEP_1) | instskip(NEXT) | instid1(VALU_DEP_1)
	v_mul_lo_u32 v10, v10, s4
	v_add_lshl_u32 v38, v10, v23, 2
	s_delay_alu instid0(VALU_DEP_1)
	v_cmpx_gt_u32_e32 0x400, v38
	s_cbranch_execz .LBB729_66
; %bb.57:
	s_wait_loadcnt_dscnt 0x0
	v_cmp_gt_i64_e64 s3, v[15:16], v[13:14]
	v_dual_mov_b32 v10, v27 :: v_dual_mov_b32 v11, v28
	v_dual_mov_b32 v25, v32 :: v_dual_mov_b32 v26, v33
	s_mov_b32 s5, exec_lo
	s_wait_alu 0xf1ff
	v_cndmask_b32_e64 v24, v18, v14, s3
	v_cndmask_b32_e64 v23, v17, v13, s3
	;; [unrolled: 1-line block ×4, first 2 shown]
	v_cmpx_gt_i64_e64 v[34:35], v[32:33]
; %bb.58:
	v_dual_mov_b32 v13, v32 :: v_dual_mov_b32 v14, v33
	v_dual_mov_b32 v11, v9 :: v_dual_mov_b32 v10, v8
	v_dual_mov_b32 v8, v27 :: v_dual_mov_b32 v9, v28
	v_dual_mov_b32 v32, v34 :: v_dual_mov_b32 v33, v35
	v_dual_mov_b32 v25, v34 :: v_dual_mov_b32 v26, v35
	v_dual_mov_b32 v35, v14 :: v_dual_mov_b32 v34, v13
; %bb.59:
	s_wait_alu 0xfffe
	s_or_b32 exec_lo, exec_lo, s5
	v_cndmask_b32_e64 v37, v5, v1, s3
	s_delay_alu instid0(VALU_DEP_2)
	v_dual_mov_b32 v27, v34 :: v_dual_mov_b32 v28, v35
	v_cndmask_b32_e64 v36, v4, v0, s3
	v_cmp_gt_i64_e64 s4, v[32:33], v[23:24]
	v_dual_mov_b32 v13, v21 :: v_dual_mov_b32 v14, v22
	v_dual_mov_b32 v15, v23 :: v_dual_mov_b32 v16, v24
	;; [unrolled: 1-line block ×5, first 2 shown]
	s_and_saveexec_b32 s5, s4
	s_wait_alu 0xfffe
	s_xor_b32 s4, exec_lo, s5
	s_cbranch_execz .LBB729_61
; %bb.60:
	v_dual_mov_b32 v13, v21 :: v_dual_mov_b32 v14, v22
	v_dual_mov_b32 v15, v23 :: v_dual_mov_b32 v16, v24
	;; [unrolled: 1-line block ×10, first 2 shown]
.LBB729_61:
	s_wait_alu 0xfffe
	s_or_b32 exec_lo, exec_lo, s4
	s_delay_alu instid0(VALU_DEP_1)
	v_cmp_gt_i64_e64 s4, v[23:24], v[21:22]
	v_dual_mov_b32 v32, v11 :: v_dual_mov_b32 v31, v10
	v_dual_mov_b32 v22, v18 :: v_dual_mov_b32 v21, v17
	s_mov_b32 s7, exec_lo
	s_wait_alu 0xf1ff
	v_cndmask_b32_e64 v16, v16, v14, s4
	v_cndmask_b32_e64 v15, v15, v13, s4
	;; [unrolled: 1-line block ×4, first 2 shown]
	v_cmpx_gt_i64_e64 v[19:20], v[17:18]
; %bb.62:
	v_dual_mov_b32 v24, v18 :: v_dual_mov_b32 v23, v17
	v_dual_mov_b32 v32, v9 :: v_dual_mov_b32 v31, v8
	v_dual_mov_b32 v8, v10 :: v_dual_mov_b32 v9, v11
	v_dual_mov_b32 v17, v19 :: v_dual_mov_b32 v18, v20
	v_dual_mov_b32 v22, v20 :: v_dual_mov_b32 v21, v19
	v_dual_mov_b32 v19, v23 :: v_dual_mov_b32 v20, v24
; %bb.63:
	s_wait_alu 0xfffe
	s_or_b32 exec_lo, exec_lo, s7
	v_cndmask_b32_e64 v5, v1, v5, s3
	v_cndmask_b32_e64 v4, v0, v4, s3
	v_dual_mov_b32 v27, v31 :: v_dual_mov_b32 v28, v32
	s_delay_alu instid0(VALU_DEP_3) | instskip(NEXT) | instid1(VALU_DEP_3)
	v_cndmask_b32_e64 v1, v5, v26, s4
	v_cndmask_b32_e64 v0, v4, v25, s4
	;; [unrolled: 1-line block ×4, first 2 shown]
	s_mov_b32 s4, exec_lo
	v_cmpx_gt_i64_e64 v[17:18], v[15:16]
; %bb.64:
	v_dual_mov_b32 v22, v16 :: v_dual_mov_b32 v21, v15
	v_dual_mov_b32 v15, v17 :: v_dual_mov_b32 v16, v18
	;; [unrolled: 1-line block ×4, first 2 shown]
; %bb.65:
	s_wait_alu 0xfffe
	s_or_b32 exec_lo, exec_lo, s4
.LBB729_66:
	s_delay_alu instid0(SALU_CYCLE_1) | instskip(SKIP_4) | instid1(VALU_DEP_3)
	s_or_b32 exec_lo, exec_lo, s6
	v_dual_mov_b32 v11, 0 :: v_dual_and_b32 v10, 0xffffff80, v38
	v_or_b32_e32 v17, 4, v50
	v_and_b32_e32 v23, 4, v50
	s_mov_b32 s4, exec_lo
	v_sub_nc_u32_e64 v18, 0x400, v10 clamp
	v_lshlrev_b64_e32 v[10:11], 3, v[10:11]
	s_delay_alu instid0(VALU_DEP_2) | instskip(NEXT) | instid1(VALU_DEP_2)
	v_min_u32_e32 v35, v18, v17
	v_add_co_u32 v17, null, v12, v10
	v_and_b32_e32 v10, 0x78, v50
	s_delay_alu instid0(VALU_DEP_3) | instskip(NEXT) | instid1(VALU_DEP_2)
	v_add_nc_u32_e32 v11, 4, v35
	v_sub_nc_u32_e32 v24, v35, v10
	s_delay_alu instid0(VALU_DEP_2) | instskip(SKIP_2) | instid1(VALU_DEP_3)
	v_min_u32_e32 v36, v18, v11
	v_min_u32_e32 v11, v18, v23
	v_lshl_add_u32 v23, v50, 3, v17
	v_sub_nc_u32_e32 v12, v36, v35
	s_delay_alu instid0(VALU_DEP_3) | instskip(NEXT) | instid1(VALU_DEP_3)
	v_min_u32_e32 v24, v11, v24
	v_add_nc_u32_e32 v25, 0x2000, v23
	s_wait_loadcnt_dscnt 0x0
	ds_store_b64 v23, v[0:1] offset:8192
	ds_store_2addr_b64 v23, v[13:14], v[15:16] offset1:1
	ds_store_2addr_b64 v25, v[4:5], v[27:28] offset0:1 offset1:2
	ds_store_2addr_b64 v23, v[21:22], v[19:20] offset0:2 offset1:3
	ds_store_b64 v23, v[8:9] offset:8216
	v_sub_nc_u32_e64 v12, v11, v12 clamp
	; wave barrier
	s_delay_alu instid0(VALU_DEP_1)
	v_cmpx_lt_u32_e64 v12, v24
	s_cbranch_execz .LBB729_70
; %bb.67:
	v_lshlrev_b32_e32 v25, 3, v10
	v_lshlrev_b32_e32 v26, 3, v35
	s_mov_b32 s5, 0
	s_delay_alu instid0(VALU_DEP_2) | instskip(NEXT) | instid1(VALU_DEP_2)
	v_add_co_u32 v25, null, v17, v25
	v_add_co_u32 v26, null, v17, v26
.LBB729_68:                             ; =>This Inner Loop Header: Depth=1
	v_add_nc_u32_e32 v31, v24, v12
	s_delay_alu instid0(VALU_DEP_1) | instskip(NEXT) | instid1(VALU_DEP_1)
	v_lshrrev_b32_e32 v37, 1, v31
	v_xad_u32 v31, v37, -1, v11
	v_lshl_add_u32 v32, v37, 3, v25
	s_delay_alu instid0(VALU_DEP_2)
	v_lshl_add_u32 v33, v31, 3, v26
	ds_load_b64 v[31:32], v32
	ds_load_b64 v[33:34], v33
	s_wait_dscnt 0x0
	v_cmp_gt_i64_e64 s3, v[33:34], v[31:32]
	v_add_nc_u32_e32 v31, 1, v37
	s_wait_alu 0xf1ff
	s_delay_alu instid0(VALU_DEP_2) | instskip(NEXT) | instid1(VALU_DEP_2)
	v_cndmask_b32_e64 v24, v24, v37, s3
	v_cndmask_b32_e64 v12, v31, v12, s3
	s_delay_alu instid0(VALU_DEP_1)
	v_cmp_ge_u32_e64 s3, v12, v24
	s_wait_alu 0xfffe
	s_or_b32 s5, s3, s5
	s_wait_alu 0xfffe
	s_and_not1_b32 exec_lo, exec_lo, s5
	s_cbranch_execnz .LBB729_68
; %bb.69:
	s_or_b32 exec_lo, exec_lo, s5
.LBB729_70:
	s_wait_alu 0xfffe
	s_or_b32 exec_lo, exec_lo, s4
	v_add_nc_u32_e32 v11, v35, v11
	v_add_nc_u32_e32 v37, v12, v10
	v_add_nc_u32_e32 v34, 0x2000, v23
	v_add_nc_u32_e32 v26, 8, v23
	v_add_nc_u32_e32 v31, 0x2008, v23
	v_sub_nc_u32_e32 v38, v11, v12
	v_cmp_le_u32_e64 s3, v37, v35
	v_add_nc_u32_e32 v32, 16, v23
	v_add_nc_u32_e32 v33, 0x2010, v23
	v_add_nc_u32_e32 v24, 24, v23
	v_cmp_le_u32_e64 s4, v38, v36
	v_add_nc_u32_e32 v25, 0x2018, v23
	s_or_b32 s3, s3, s4
	s_wait_alu 0xfffe
	s_and_saveexec_b32 s9, s3
	s_cbranch_execz .LBB729_76
; %bb.71:
	v_cmp_lt_u32_e64 s3, v37, v35
                                        ; implicit-def: $vgpr10_vgpr11
	s_and_saveexec_b32 s4, s3
; %bb.72:
	v_lshl_add_u32 v0, v37, 3, v17
	ds_load_b64 v[10:11], v0
; %bb.73:
	s_wait_alu 0xfffe
	s_or_b32 exec_lo, exec_lo, s4
	v_cmp_ge_u32_e64 s4, v38, v36
	s_mov_b32 s6, exec_lo
                                        ; implicit-def: $vgpr12_vgpr13
	v_cmpx_lt_u32_e64 v38, v36
; %bb.74:
	v_lshl_add_u32 v0, v38, 3, v17
	ds_load_b64 v[12:13], v0
; %bb.75:
	s_wait_alu 0xfffe
	s_or_b32 exec_lo, exec_lo, s6
	s_wait_dscnt 0x0
	v_cmp_le_i64_e64 s5, v[12:13], v[10:11]
	s_and_b32 s3, s3, s5
	s_wait_alu 0xfffe
	s_or_b32 s3, s4, s3
	s_wait_alu 0xfffe
	v_cndmask_b32_e64 v4, v38, v37, s3
	v_cndmask_b32_e64 v0, v36, v35, s3
	s_delay_alu instid0(VALU_DEP_2) | instskip(NEXT) | instid1(VALU_DEP_2)
	v_add_nc_u32_e32 v5, 1, v4
	v_add_nc_u32_e32 v0, -1, v0
	s_delay_alu instid0(VALU_DEP_2) | instskip(NEXT) | instid1(VALU_DEP_2)
	v_cndmask_b32_e64 v8, v37, v5, s3
	v_min_u32_e32 v0, v5, v0
	v_cndmask_b32_e64 v5, v5, v38, s3
	s_delay_alu instid0(VALU_DEP_3) | instskip(NEXT) | instid1(VALU_DEP_3)
	v_cmp_lt_u32_e64 s5, v8, v35
	v_lshl_add_u32 v0, v0, 3, v17
	s_delay_alu instid0(VALU_DEP_3)
	v_cmp_ge_u32_e64 s6, v5, v36
	ds_load_b64 v[0:1], v0
	s_wait_dscnt 0x0
	v_cndmask_b32_e64 v16, v1, v13, s3
	v_cndmask_b32_e64 v15, v0, v12, s3
	;; [unrolled: 1-line block ×4, first 2 shown]
	s_delay_alu instid0(VALU_DEP_1)
	v_cmp_le_i64_e64 s4, v[15:16], v[19:20]
	s_and_b32 s4, s5, s4
	s_wait_alu 0xfffe
	s_or_b32 s4, s6, s4
	s_wait_alu 0xfffe
	v_cndmask_b32_e64 v9, v5, v8, s4
	v_cndmask_b32_e64 v0, v36, v35, s4
	s_delay_alu instid0(VALU_DEP_2) | instskip(NEXT) | instid1(VALU_DEP_2)
	v_add_nc_u32_e32 v14, 1, v9
	v_add_nc_u32_e32 v0, -1, v0
	s_delay_alu instid0(VALU_DEP_2) | instskip(NEXT) | instid1(VALU_DEP_2)
	v_cndmask_b32_e64 v8, v8, v14, s4
	v_min_u32_e32 v0, v14, v0
	v_cndmask_b32_e64 v5, v14, v5, s4
	s_delay_alu instid0(VALU_DEP_3) | instskip(NEXT) | instid1(VALU_DEP_3)
	v_cmp_lt_u32_e64 s6, v8, v35
	v_lshl_add_u32 v0, v0, 3, v17
	s_delay_alu instid0(VALU_DEP_3)
	v_cmp_ge_u32_e64 s7, v5, v36
	ds_load_b64 v[0:1], v0
	s_wait_dscnt 0x0
	v_cndmask_b32_e64 v22, v1, v16, s4
	v_cndmask_b32_e64 v21, v0, v15, s4
	;; [unrolled: 1-line block ×6, first 2 shown]
	s_delay_alu instid0(VALU_DEP_3)
	v_cmp_le_i64_e64 s5, v[21:22], v[37:38]
	s_and_b32 s5, s6, s5
	s_wait_alu 0xfffe
	s_or_b32 s5, s7, s5
	s_wait_alu 0xfffe
	v_cndmask_b32_e64 v14, v5, v8, s5
	v_cndmask_b32_e64 v0, v36, v35, s5
	s_delay_alu instid0(VALU_DEP_2) | instskip(NEXT) | instid1(VALU_DEP_2)
	v_add_nc_u32_e32 v27, 1, v14
	v_add_nc_u32_e32 v0, -1, v0
	s_delay_alu instid0(VALU_DEP_1) | instskip(NEXT) | instid1(VALU_DEP_1)
	v_min_u32_e32 v0, v27, v0
	v_lshl_add_u32 v0, v0, 3, v17
	ds_load_b64 v[0:1], v0
	s_wait_dscnt 0x0
	v_cndmask_b32_e64 v52, v1, v22, s5
	v_cndmask_b32_e64 v51, v0, v21, s5
	;; [unrolled: 1-line block ×6, first 2 shown]
	v_lshl_add_u32 v8, v14, 3, v17
	v_cndmask_b32_e64 v14, v13, v11, s3
	v_cmp_le_i64_e64 s6, v[51:52], v[53:54]
	v_cmp_lt_u32_e64 s7, v0, v35
	v_cmp_ge_u32_e64 s8, v1, v36
	v_cndmask_b32_e64 v13, v12, v10, s3
	v_cndmask_b32_e64 v22, v22, v38, s5
	;; [unrolled: 1-line block ×3, first 2 shown]
	s_and_b32 s6, s7, s6
	s_wait_alu 0xfffe
	s_or_b32 s6, s8, s6
	s_wait_alu 0xfffe
	v_cndmask_b32_e64 v0, v1, v0, s6
	v_lshl_add_u32 v1, v4, 3, v17
	v_lshl_add_u32 v4, v9, 3, v17
	v_cndmask_b32_e64 v20, v52, v54, s6
	v_cndmask_b32_e64 v19, v51, v53, s6
	v_lshl_add_u32 v9, v0, 3, v17
	ds_load_b64 v[0:1], v1 offset:8192
	ds_load_b64 v[4:5], v4 offset:8192
	;; [unrolled: 1-line block ×4, first 2 shown]
.LBB729_76:
	s_wait_alu 0xfffe
	s_or_b32 exec_lo, exec_lo, s9
	v_and_b32_e32 v10, 0x70, v50
	v_and_b32_e32 v12, 12, v50
	s_mov_b32 s4, exec_lo
	; wave barrier
	s_delay_alu instid0(VALU_DEP_2)
	v_or_b32_e32 v11, 8, v10
	ds_store_b64 v23, v[13:14]
	s_wait_dscnt 0x4
	ds_store_b64 v34, v[0:1]
	ds_store_b64 v26, v[15:16]
	s_wait_dscnt 0x5
	ds_store_b64 v31, v[4:5]
	;; [unrolled: 3-line block ×4, first 2 shown]
	; wave barrier
	v_min_u32_e32 v35, v18, v11
	s_delay_alu instid0(VALU_DEP_1) | instskip(SKIP_1) | instid1(VALU_DEP_2)
	v_add_nc_u32_e32 v11, 8, v35
	v_sub_nc_u32_e32 v37, v35, v10
	v_min_u32_e32 v36, v18, v11
	v_min_u32_e32 v11, v18, v12
	s_delay_alu instid0(VALU_DEP_2) | instskip(NEXT) | instid1(VALU_DEP_2)
	v_sub_nc_u32_e32 v12, v36, v35
	v_min_u32_e32 v37, v11, v37
	s_delay_alu instid0(VALU_DEP_2) | instskip(NEXT) | instid1(VALU_DEP_1)
	v_sub_nc_u32_e64 v12, v11, v12 clamp
	v_cmpx_lt_u32_e64 v12, v37
	s_cbranch_execz .LBB729_80
; %bb.77:
	v_lshlrev_b32_e32 v38, 3, v10
	v_lshlrev_b32_e32 v39, 3, v35
	s_mov_b32 s5, 0
	s_delay_alu instid0(VALU_DEP_2) | instskip(NEXT) | instid1(VALU_DEP_2)
	v_add_co_u32 v38, null, v17, v38
	v_add_co_u32 v39, null, v17, v39
.LBB729_78:                             ; =>This Inner Loop Header: Depth=1
	v_add_nc_u32_e32 v51, v37, v12
	s_delay_alu instid0(VALU_DEP_1) | instskip(NEXT) | instid1(VALU_DEP_1)
	v_lshrrev_b32_e32 v55, 1, v51
	v_xad_u32 v51, v55, -1, v11
	v_lshl_add_u32 v52, v55, 3, v38
	s_delay_alu instid0(VALU_DEP_2)
	v_lshl_add_u32 v53, v51, 3, v39
	ds_load_b64 v[51:52], v52
	ds_load_b64 v[53:54], v53
	s_wait_dscnt 0x0
	v_cmp_gt_i64_e64 s3, v[53:54], v[51:52]
	v_add_nc_u32_e32 v51, 1, v55
	s_wait_alu 0xf1ff
	s_delay_alu instid0(VALU_DEP_2) | instskip(NEXT) | instid1(VALU_DEP_2)
	v_cndmask_b32_e64 v37, v37, v55, s3
	v_cndmask_b32_e64 v12, v51, v12, s3
	s_delay_alu instid0(VALU_DEP_1)
	v_cmp_ge_u32_e64 s3, v12, v37
	s_wait_alu 0xfffe
	s_or_b32 s5, s3, s5
	s_wait_alu 0xfffe
	s_and_not1_b32 exec_lo, exec_lo, s5
	s_cbranch_execnz .LBB729_78
; %bb.79:
	s_or_b32 exec_lo, exec_lo, s5
.LBB729_80:
	s_wait_alu 0xfffe
	s_or_b32 exec_lo, exec_lo, s4
	v_add_nc_u32_e32 v11, v35, v11
	v_add_nc_u32_e32 v37, v12, v10
	s_delay_alu instid0(VALU_DEP_2) | instskip(NEXT) | instid1(VALU_DEP_2)
	v_sub_nc_u32_e32 v38, v11, v12
	v_cmp_le_u32_e64 s3, v37, v35
	s_delay_alu instid0(VALU_DEP_2)
	v_cmp_le_u32_e64 s4, v38, v36
	s_or_b32 s3, s3, s4
	s_wait_alu 0xfffe
	s_and_saveexec_b32 s9, s3
	s_cbranch_execz .LBB729_86
; %bb.81:
	v_cmp_lt_u32_e64 s3, v37, v35
                                        ; implicit-def: $vgpr10_vgpr11
	s_and_saveexec_b32 s4, s3
; %bb.82:
	v_lshl_add_u32 v0, v37, 3, v17
	ds_load_b64 v[10:11], v0
; %bb.83:
	s_wait_alu 0xfffe
	s_or_b32 exec_lo, exec_lo, s4
	v_cmp_ge_u32_e64 s4, v38, v36
	s_mov_b32 s6, exec_lo
                                        ; implicit-def: $vgpr12_vgpr13
	v_cmpx_lt_u32_e64 v38, v36
; %bb.84:
	v_lshl_add_u32 v0, v38, 3, v17
	ds_load_b64 v[12:13], v0
; %bb.85:
	s_wait_alu 0xfffe
	s_or_b32 exec_lo, exec_lo, s6
	s_wait_dscnt 0x0
	v_cmp_le_i64_e64 s5, v[12:13], v[10:11]
	s_and_b32 s3, s3, s5
	s_wait_alu 0xfffe
	s_or_b32 s3, s4, s3
	s_wait_alu 0xfffe
	v_cndmask_b32_e64 v4, v38, v37, s3
	v_cndmask_b32_e64 v0, v36, v35, s3
	s_delay_alu instid0(VALU_DEP_2) | instskip(NEXT) | instid1(VALU_DEP_2)
	v_add_nc_u32_e32 v5, 1, v4
	v_add_nc_u32_e32 v0, -1, v0
	s_delay_alu instid0(VALU_DEP_2) | instskip(NEXT) | instid1(VALU_DEP_2)
	v_cndmask_b32_e64 v8, v37, v5, s3
	v_min_u32_e32 v0, v5, v0
	v_cndmask_b32_e64 v5, v5, v38, s3
	s_delay_alu instid0(VALU_DEP_3) | instskip(NEXT) | instid1(VALU_DEP_3)
	v_cmp_lt_u32_e64 s5, v8, v35
	v_lshl_add_u32 v0, v0, 3, v17
	s_delay_alu instid0(VALU_DEP_3)
	v_cmp_ge_u32_e64 s6, v5, v36
	ds_load_b64 v[0:1], v0
	s_wait_dscnt 0x0
	v_cndmask_b32_e64 v16, v1, v13, s3
	v_cndmask_b32_e64 v15, v0, v12, s3
	;; [unrolled: 1-line block ×4, first 2 shown]
	s_delay_alu instid0(VALU_DEP_1)
	v_cmp_le_i64_e64 s4, v[15:16], v[19:20]
	s_and_b32 s4, s5, s4
	s_wait_alu 0xfffe
	s_or_b32 s4, s6, s4
	s_wait_alu 0xfffe
	v_cndmask_b32_e64 v9, v5, v8, s4
	v_cndmask_b32_e64 v0, v36, v35, s4
	s_delay_alu instid0(VALU_DEP_2) | instskip(NEXT) | instid1(VALU_DEP_2)
	v_add_nc_u32_e32 v14, 1, v9
	v_add_nc_u32_e32 v0, -1, v0
	s_delay_alu instid0(VALU_DEP_2) | instskip(NEXT) | instid1(VALU_DEP_2)
	v_cndmask_b32_e64 v8, v8, v14, s4
	v_min_u32_e32 v0, v14, v0
	v_cndmask_b32_e64 v5, v14, v5, s4
	s_delay_alu instid0(VALU_DEP_3) | instskip(NEXT) | instid1(VALU_DEP_3)
	v_cmp_lt_u32_e64 s6, v8, v35
	v_lshl_add_u32 v0, v0, 3, v17
	s_delay_alu instid0(VALU_DEP_3)
	v_cmp_ge_u32_e64 s7, v5, v36
	ds_load_b64 v[0:1], v0
	s_wait_dscnt 0x0
	v_cndmask_b32_e64 v22, v1, v16, s4
	v_cndmask_b32_e64 v21, v0, v15, s4
	;; [unrolled: 1-line block ×6, first 2 shown]
	s_delay_alu instid0(VALU_DEP_3)
	v_cmp_le_i64_e64 s5, v[21:22], v[37:38]
	s_and_b32 s5, s6, s5
	s_wait_alu 0xfffe
	s_or_b32 s5, s7, s5
	s_wait_alu 0xfffe
	v_cndmask_b32_e64 v14, v5, v8, s5
	v_cndmask_b32_e64 v0, v36, v35, s5
	s_delay_alu instid0(VALU_DEP_2) | instskip(NEXT) | instid1(VALU_DEP_2)
	v_add_nc_u32_e32 v27, 1, v14
	v_add_nc_u32_e32 v0, -1, v0
	s_delay_alu instid0(VALU_DEP_1) | instskip(NEXT) | instid1(VALU_DEP_1)
	v_min_u32_e32 v0, v27, v0
	v_lshl_add_u32 v0, v0, 3, v17
	ds_load_b64 v[0:1], v0
	s_wait_dscnt 0x0
	v_cndmask_b32_e64 v52, v1, v22, s5
	v_cndmask_b32_e64 v51, v0, v21, s5
	;; [unrolled: 1-line block ×6, first 2 shown]
	v_lshl_add_u32 v8, v14, 3, v17
	v_cndmask_b32_e64 v14, v13, v11, s3
	v_cmp_le_i64_e64 s6, v[51:52], v[53:54]
	v_cmp_lt_u32_e64 s7, v0, v35
	v_cmp_ge_u32_e64 s8, v1, v36
	v_cndmask_b32_e64 v13, v12, v10, s3
	v_cndmask_b32_e64 v22, v22, v38, s5
	;; [unrolled: 1-line block ×3, first 2 shown]
	s_and_b32 s6, s7, s6
	s_wait_alu 0xfffe
	s_or_b32 s6, s8, s6
	s_wait_alu 0xfffe
	v_cndmask_b32_e64 v0, v1, v0, s6
	v_lshl_add_u32 v1, v4, 3, v17
	v_lshl_add_u32 v4, v9, 3, v17
	v_cndmask_b32_e64 v20, v52, v54, s6
	v_cndmask_b32_e64 v19, v51, v53, s6
	v_lshl_add_u32 v9, v0, 3, v17
	ds_load_b64 v[0:1], v1 offset:8192
	ds_load_b64 v[4:5], v4 offset:8192
	;; [unrolled: 1-line block ×4, first 2 shown]
.LBB729_86:
	s_wait_alu 0xfffe
	s_or_b32 exec_lo, exec_lo, s9
	v_and_b32_e32 v10, 0x60, v50
	s_mov_b32 s4, exec_lo
	; wave barrier
	ds_store_b64 v23, v[13:14]
	s_wait_dscnt 0x4
	ds_store_b64 v34, v[0:1]
	v_or_b32_e32 v11, 16, v10
	ds_store_b64 v26, v[15:16]
	s_wait_dscnt 0x5
	ds_store_b64 v31, v[4:5]
	ds_store_b64 v32, v[21:22]
	s_wait_dscnt 0x6
	ds_store_b64 v33, v[27:28]
	;; [unrolled: 3-line block ×3, first 2 shown]
	; wave barrier
	v_min_u32_e32 v35, v18, v11
	s_delay_alu instid0(VALU_DEP_1) | instskip(NEXT) | instid1(VALU_DEP_1)
	v_add_nc_u32_e32 v11, 16, v35
	v_min_u32_e32 v36, v18, v11
	v_min_u32_e32 v11, v18, v49
	v_sub_nc_u32_e32 v18, v35, v10
	s_delay_alu instid0(VALU_DEP_3) | instskip(NEXT) | instid1(VALU_DEP_2)
	v_sub_nc_u32_e32 v12, v36, v35
	v_min_u32_e32 v18, v11, v18
	s_delay_alu instid0(VALU_DEP_2) | instskip(NEXT) | instid1(VALU_DEP_1)
	v_sub_nc_u32_e64 v12, v11, v12 clamp
	v_cmpx_lt_u32_e64 v12, v18
	s_cbranch_execz .LBB729_90
; %bb.87:
	v_lshlrev_b32_e32 v23, 3, v10
	v_lshlrev_b32_e32 v24, 3, v35
	s_mov_b32 s5, 0
	s_delay_alu instid0(VALU_DEP_2) | instskip(NEXT) | instid1(VALU_DEP_2)
	v_add_co_u32 v23, null, v17, v23
	v_add_co_u32 v24, null, v17, v24
.LBB729_88:                             ; =>This Inner Loop Header: Depth=1
	v_add_nc_u32_e32 v25, v18, v12
	s_delay_alu instid0(VALU_DEP_1) | instskip(NEXT) | instid1(VALU_DEP_1)
	v_lshrrev_b32_e32 v33, 1, v25
	v_xad_u32 v25, v33, -1, v11
	v_lshl_add_u32 v26, v33, 3, v23
	s_delay_alu instid0(VALU_DEP_2)
	v_lshl_add_u32 v31, v25, 3, v24
	ds_load_b64 v[25:26], v26
	ds_load_b64 v[31:32], v31
	s_wait_dscnt 0x0
	v_cmp_gt_i64_e64 s3, v[31:32], v[25:26]
	v_add_nc_u32_e32 v25, 1, v33
	s_wait_alu 0xf1ff
	s_delay_alu instid0(VALU_DEP_2) | instskip(NEXT) | instid1(VALU_DEP_2)
	v_cndmask_b32_e64 v18, v18, v33, s3
	v_cndmask_b32_e64 v12, v25, v12, s3
	s_delay_alu instid0(VALU_DEP_1)
	v_cmp_ge_u32_e64 s3, v12, v18
	s_wait_alu 0xfffe
	s_or_b32 s5, s3, s5
	s_wait_alu 0xfffe
	s_and_not1_b32 exec_lo, exec_lo, s5
	s_cbranch_execnz .LBB729_88
; %bb.89:
	s_or_b32 exec_lo, exec_lo, s5
.LBB729_90:
	s_wait_alu 0xfffe
	s_or_b32 exec_lo, exec_lo, s4
	v_add_nc_u32_e32 v11, v35, v11
	v_add_nc_u32_e32 v18, v12, v10
	s_delay_alu instid0(VALU_DEP_2) | instskip(NEXT) | instid1(VALU_DEP_2)
	v_sub_nc_u32_e32 v23, v11, v12
	v_cmp_le_u32_e64 s3, v18, v35
	s_delay_alu instid0(VALU_DEP_2)
	v_cmp_le_u32_e64 s4, v23, v36
	s_or_b32 s3, s3, s4
	s_wait_alu 0xfffe
	s_and_saveexec_b32 s9, s3
	s_cbranch_execz .LBB729_96
; %bb.91:
	v_cmp_lt_u32_e64 s3, v18, v35
                                        ; implicit-def: $vgpr10_vgpr11
	s_and_saveexec_b32 s4, s3
; %bb.92:
	v_lshl_add_u32 v0, v18, 3, v17
	ds_load_b64 v[10:11], v0
; %bb.93:
	s_wait_alu 0xfffe
	s_or_b32 exec_lo, exec_lo, s4
	v_cmp_ge_u32_e64 s4, v23, v36
	s_mov_b32 s6, exec_lo
                                        ; implicit-def: $vgpr12_vgpr13
	v_cmpx_lt_u32_e64 v23, v36
; %bb.94:
	v_lshl_add_u32 v0, v23, 3, v17
	ds_load_b64 v[12:13], v0
; %bb.95:
	s_wait_alu 0xfffe
	s_or_b32 exec_lo, exec_lo, s6
	s_wait_dscnt 0x0
	v_cmp_le_i64_e64 s5, v[12:13], v[10:11]
	s_and_b32 s3, s3, s5
	s_wait_alu 0xfffe
	s_or_b32 s3, s4, s3
	s_wait_alu 0xfffe
	v_cndmask_b32_e64 v4, v23, v18, s3
	v_cndmask_b32_e64 v0, v36, v35, s3
	s_delay_alu instid0(VALU_DEP_2) | instskip(NEXT) | instid1(VALU_DEP_2)
	v_add_nc_u32_e32 v5, 1, v4
	v_add_nc_u32_e32 v0, -1, v0
	s_delay_alu instid0(VALU_DEP_2) | instskip(NEXT) | instid1(VALU_DEP_2)
	v_cndmask_b32_e64 v8, v18, v5, s3
	v_min_u32_e32 v0, v5, v0
	v_cndmask_b32_e64 v5, v5, v23, s3
	s_delay_alu instid0(VALU_DEP_3) | instskip(NEXT) | instid1(VALU_DEP_3)
	v_cmp_lt_u32_e64 s5, v8, v35
	v_lshl_add_u32 v0, v0, 3, v17
	s_delay_alu instid0(VALU_DEP_3)
	v_cmp_ge_u32_e64 s6, v5, v36
	ds_load_b64 v[0:1], v0
	s_wait_dscnt 0x0
	v_cndmask_b32_e64 v16, v1, v13, s3
	v_cndmask_b32_e64 v15, v0, v12, s3
	;; [unrolled: 1-line block ×4, first 2 shown]
	s_delay_alu instid0(VALU_DEP_1)
	v_cmp_le_i64_e64 s4, v[15:16], v[19:20]
	s_and_b32 s4, s5, s4
	s_wait_alu 0xfffe
	s_or_b32 s4, s6, s4
	s_wait_alu 0xfffe
	v_cndmask_b32_e64 v9, v5, v8, s4
	v_cndmask_b32_e64 v0, v36, v35, s4
	s_delay_alu instid0(VALU_DEP_2) | instskip(NEXT) | instid1(VALU_DEP_2)
	v_add_nc_u32_e32 v14, 1, v9
	v_add_nc_u32_e32 v0, -1, v0
	s_delay_alu instid0(VALU_DEP_2) | instskip(NEXT) | instid1(VALU_DEP_2)
	v_cndmask_b32_e64 v8, v8, v14, s4
	v_min_u32_e32 v0, v14, v0
	v_cndmask_b32_e64 v5, v14, v5, s4
	s_delay_alu instid0(VALU_DEP_3) | instskip(NEXT) | instid1(VALU_DEP_3)
	v_cmp_lt_u32_e64 s6, v8, v35
	v_lshl_add_u32 v0, v0, 3, v17
	s_delay_alu instid0(VALU_DEP_3)
	v_cmp_ge_u32_e64 s7, v5, v36
	ds_load_b64 v[0:1], v0
	s_wait_dscnt 0x0
	v_cndmask_b32_e64 v22, v1, v16, s4
	v_cndmask_b32_e64 v21, v0, v15, s4
	;; [unrolled: 1-line block ×6, first 2 shown]
	s_delay_alu instid0(VALU_DEP_3)
	v_cmp_le_i64_e64 s5, v[21:22], v[23:24]
	s_and_b32 s5, s6, s5
	s_wait_alu 0xfffe
	s_or_b32 s5, s7, s5
	s_wait_alu 0xfffe
	v_cndmask_b32_e64 v14, v5, v8, s5
	v_cndmask_b32_e64 v0, v36, v35, s5
	s_delay_alu instid0(VALU_DEP_2) | instskip(NEXT) | instid1(VALU_DEP_2)
	v_add_nc_u32_e32 v18, 1, v14
	v_add_nc_u32_e32 v0, -1, v0
	s_delay_alu instid0(VALU_DEP_1) | instskip(NEXT) | instid1(VALU_DEP_1)
	v_min_u32_e32 v0, v18, v0
	v_lshl_add_u32 v0, v0, 3, v17
	ds_load_b64 v[0:1], v0
	s_wait_dscnt 0x0
	v_cndmask_b32_e64 v26, v1, v22, s5
	v_cndmask_b32_e64 v25, v0, v21, s5
	;; [unrolled: 1-line block ×6, first 2 shown]
	v_lshl_add_u32 v8, v14, 3, v17
	v_cndmask_b32_e64 v14, v13, v11, s3
	v_cmp_le_i64_e64 s6, v[25:26], v[31:32]
	v_cmp_lt_u32_e64 s7, v0, v35
	v_cmp_ge_u32_e64 s8, v1, v36
	v_cndmask_b32_e64 v13, v12, v10, s3
	v_cndmask_b32_e64 v22, v22, v24, s5
	;; [unrolled: 1-line block ×3, first 2 shown]
	s_and_b32 s6, s7, s6
	s_wait_alu 0xfffe
	s_or_b32 s6, s8, s6
	s_wait_alu 0xfffe
	v_cndmask_b32_e64 v0, v1, v0, s6
	v_lshl_add_u32 v1, v4, 3, v17
	v_lshl_add_u32 v4, v9, 3, v17
	v_cndmask_b32_e64 v20, v26, v32, s6
	v_cndmask_b32_e64 v19, v25, v31, s6
	v_lshl_add_u32 v9, v0, 3, v17
	ds_load_b64 v[0:1], v1 offset:8192
	ds_load_b64 v[4:5], v4 offset:8192
	;; [unrolled: 1-line block ×4, first 2 shown]
.LBB729_96:
	s_wait_alu 0xfffe
	s_or_b32 exec_lo, exec_lo, s9
	; wave barrier
	s_wait_storecnt_dscnt 0x0
	s_barrier_signal -1
	s_barrier_wait -1
.LBB729_97:
	s_wait_alu 0xfffe
	s_or_b32 exec_lo, exec_lo, s10
	v_add_co_u32 v2, s3, v2, v29
	s_wait_alu 0xf1ff
	v_add_co_ci_u32_e64 v3, null, v3, v30, s3
	s_wait_storecnt 0x0
	s_wait_loadcnt_dscnt 0x0
	global_inv scope:SCOPE_SE
	v_add_co_u32 v2, s3, v2, v48
	s_wait_alu 0xf1ff
	v_add_co_ci_u32_e64 v3, null, 0, v3, s3
	; wave barrier
	s_and_saveexec_b32 s3, vcc_lo
	s_cbranch_execnz .LBB729_110
; %bb.98:
	s_wait_alu 0xfffe
	s_or_b32 exec_lo, exec_lo, s3
	s_and_saveexec_b32 s3, s0
	s_cbranch_execnz .LBB729_111
.LBB729_99:
	s_wait_alu 0xfffe
	s_or_b32 exec_lo, exec_lo, s3
	s_and_saveexec_b32 s3, s1
	s_cbranch_execnz .LBB729_112
.LBB729_100:
	s_wait_alu 0xfffe
	s_or_b32 exec_lo, exec_lo, s3
	s_and_saveexec_b32 s3, s2
	s_cbranch_execz .LBB729_102
.LBB729_101:
	flat_store_b64 v[2:3], v[19:20] offset:24
.LBB729_102:
	s_wait_alu 0xfffe
	s_or_b32 exec_lo, exec_lo, s3
	v_add_co_u32 v2, s3, v6, v29
	s_wait_alu 0xf1ff
	v_add_co_ci_u32_e64 v3, null, v7, v30, s3
	s_delay_alu instid0(VALU_DEP_2) | instskip(SKIP_1) | instid1(VALU_DEP_2)
	v_add_co_u32 v2, s3, v2, v48
	s_wait_alu 0xf1ff
	v_add_co_ci_u32_e64 v3, null, 0, v3, s3
	; wave barrier
	s_and_saveexec_b32 s3, vcc_lo
	s_cbranch_execnz .LBB729_113
; %bb.103:
	s_wait_alu 0xfffe
	s_or_b32 exec_lo, exec_lo, s3
	s_and_saveexec_b32 s3, s0
	s_cbranch_execnz .LBB729_114
.LBB729_104:
	s_wait_alu 0xfffe
	s_or_b32 exec_lo, exec_lo, s3
	s_and_saveexec_b32 s0, s1
	s_cbranch_execnz .LBB729_115
.LBB729_105:
	s_wait_alu 0xfffe
	s_or_b32 exec_lo, exec_lo, s0
	s_and_saveexec_b32 s0, s2
	s_cbranch_execnz .LBB729_116
.LBB729_106:
	s_wait_alu 0xfffe
	s_or_b32 exec_lo, exec_lo, s0
	s_wait_loadcnt_dscnt 0x0
	s_setpc_b64 s[30:31]
.LBB729_107:
	flat_load_b64 v[0:1], v[23:24]
	s_wait_alu 0xfffe
	s_or_b32 exec_lo, exec_lo, s3
                                        ; implicit-def: $vgpr4_vgpr5
	s_and_saveexec_b32 s3, s0
	s_cbranch_execz .LBB729_10
.LBB729_108:
	flat_load_b64 v[4:5], v[23:24] offset:8
	s_wait_alu 0xfffe
	s_or_b32 exec_lo, exec_lo, s3
                                        ; implicit-def: $vgpr27_vgpr28
	s_and_saveexec_b32 s3, s1
	s_cbranch_execz .LBB729_11
.LBB729_109:
	flat_load_b64 v[27:28], v[23:24] offset:16
	s_wait_alu 0xfffe
	s_or_b32 exec_lo, exec_lo, s3
                                        ; implicit-def: $vgpr8_vgpr9
	s_and_saveexec_b32 s3, s2
	s_cbranch_execnz .LBB729_12
	s_branch .LBB729_13
.LBB729_110:
	flat_store_b64 v[2:3], v[13:14]
	s_wait_alu 0xfffe
	s_or_b32 exec_lo, exec_lo, s3
	s_and_saveexec_b32 s3, s0
	s_cbranch_execz .LBB729_99
.LBB729_111:
	flat_store_b64 v[2:3], v[15:16] offset:8
	s_wait_alu 0xfffe
	s_or_b32 exec_lo, exec_lo, s3
	s_and_saveexec_b32 s3, s1
	s_cbranch_execz .LBB729_100
.LBB729_112:
	flat_store_b64 v[2:3], v[21:22] offset:16
	s_wait_alu 0xfffe
	s_or_b32 exec_lo, exec_lo, s3
	s_and_saveexec_b32 s3, s2
	s_cbranch_execnz .LBB729_101
	s_branch .LBB729_102
.LBB729_113:
	flat_store_b64 v[2:3], v[0:1]
	s_wait_alu 0xfffe
	s_or_b32 exec_lo, exec_lo, s3
	s_and_saveexec_b32 s3, s0
	s_cbranch_execz .LBB729_104
.LBB729_114:
	flat_store_b64 v[2:3], v[4:5] offset:8
	s_wait_alu 0xfffe
	s_or_b32 exec_lo, exec_lo, s3
	s_and_saveexec_b32 s0, s1
	s_cbranch_execz .LBB729_105
.LBB729_115:
	flat_store_b64 v[2:3], v[27:28] offset:16
	s_wait_alu 0xfffe
	s_or_b32 exec_lo, exec_lo, s0
	s_and_saveexec_b32 s0, s2
	s_cbranch_execz .LBB729_106
.LBB729_116:
	flat_store_b64 v[2:3], v[8:9] offset:24
	s_wait_alu 0xfffe
	s_or_b32 exec_lo, exec_lo, s0
	s_wait_loadcnt_dscnt 0x0
	s_setpc_b64 s[30:31]
.Lfunc_end729:
	.size	_ZN7rocprim17ROCPRIM_400000_NS6detail26segmented_warp_sort_helperINS1_20WarpSortHelperConfigILj8ELj4ELj256EEEllLi256ELb1EvE4sortIPKlPlS8_S9_EEvT_T0_T1_T2_jjjjRNS5_12storage_typeE, .Lfunc_end729-_ZN7rocprim17ROCPRIM_400000_NS6detail26segmented_warp_sort_helperINS1_20WarpSortHelperConfigILj8ELj4ELj256EEEllLi256ELb1EvE4sortIPKlPlS8_S9_EEvT_T0_T1_T2_jjjjRNS5_12storage_typeE
                                        ; -- End function
	.set .L_ZN7rocprim17ROCPRIM_400000_NS6detail26segmented_warp_sort_helperINS1_20WarpSortHelperConfigILj8ELj4ELj256EEEllLi256ELb1EvE4sortIPKlPlS8_S9_EEvT_T0_T1_T2_jjjjRNS5_12storage_typeE.num_vgpr, 66
	.set .L_ZN7rocprim17ROCPRIM_400000_NS6detail26segmented_warp_sort_helperINS1_20WarpSortHelperConfigILj8ELj4ELj256EEEllLi256ELb1EvE4sortIPKlPlS8_S9_EEvT_T0_T1_T2_jjjjRNS5_12storage_typeE.num_agpr, 0
	.set .L_ZN7rocprim17ROCPRIM_400000_NS6detail26segmented_warp_sort_helperINS1_20WarpSortHelperConfigILj8ELj4ELj256EEEllLi256ELb1EvE4sortIPKlPlS8_S9_EEvT_T0_T1_T2_jjjjRNS5_12storage_typeE.numbered_sgpr, 32
	.set .L_ZN7rocprim17ROCPRIM_400000_NS6detail26segmented_warp_sort_helperINS1_20WarpSortHelperConfigILj8ELj4ELj256EEEllLi256ELb1EvE4sortIPKlPlS8_S9_EEvT_T0_T1_T2_jjjjRNS5_12storage_typeE.num_named_barrier, 0
	.set .L_ZN7rocprim17ROCPRIM_400000_NS6detail26segmented_warp_sort_helperINS1_20WarpSortHelperConfigILj8ELj4ELj256EEEllLi256ELb1EvE4sortIPKlPlS8_S9_EEvT_T0_T1_T2_jjjjRNS5_12storage_typeE.private_seg_size, 0
	.set .L_ZN7rocprim17ROCPRIM_400000_NS6detail26segmented_warp_sort_helperINS1_20WarpSortHelperConfigILj8ELj4ELj256EEEllLi256ELb1EvE4sortIPKlPlS8_S9_EEvT_T0_T1_T2_jjjjRNS5_12storage_typeE.uses_vcc, 1
	.set .L_ZN7rocprim17ROCPRIM_400000_NS6detail26segmented_warp_sort_helperINS1_20WarpSortHelperConfigILj8ELj4ELj256EEEllLi256ELb1EvE4sortIPKlPlS8_S9_EEvT_T0_T1_T2_jjjjRNS5_12storage_typeE.uses_flat_scratch, 0
	.set .L_ZN7rocprim17ROCPRIM_400000_NS6detail26segmented_warp_sort_helperINS1_20WarpSortHelperConfigILj8ELj4ELj256EEEllLi256ELb1EvE4sortIPKlPlS8_S9_EEvT_T0_T1_T2_jjjjRNS5_12storage_typeE.has_dyn_sized_stack, 0
	.set .L_ZN7rocprim17ROCPRIM_400000_NS6detail26segmented_warp_sort_helperINS1_20WarpSortHelperConfigILj8ELj4ELj256EEEllLi256ELb1EvE4sortIPKlPlS8_S9_EEvT_T0_T1_T2_jjjjRNS5_12storage_typeE.has_recursion, 0
	.set .L_ZN7rocprim17ROCPRIM_400000_NS6detail26segmented_warp_sort_helperINS1_20WarpSortHelperConfigILj8ELj4ELj256EEEllLi256ELb1EvE4sortIPKlPlS8_S9_EEvT_T0_T1_T2_jjjjRNS5_12storage_typeE.has_indirect_call, 0
	.section	.AMDGPU.csdata,"",@progbits
; Function info:
; codeLenInByte = 9720
; TotalNumSgprs: 34
; NumVgprs: 66
; ScratchSize: 0
; MemoryBound: 1
	.section	.text._ZN7rocprim17ROCPRIM_400000_NS6detail17trampoline_kernelINS0_14default_configENS1_36segmented_radix_sort_config_selectorIllEEZNS1_25segmented_radix_sort_implIS3_Lb1EPKlPlS8_S9_N2at6native12_GLOBAL__N_18offset_tEEE10hipError_tPvRmT1_PNSt15iterator_traitsISH_E10value_typeET2_T3_PNSI_ISN_E10value_typeET4_jRbjT5_ST_jjP12ihipStream_tbEUlT_E1_NS1_11comp_targetILNS1_3genE10ELNS1_11target_archE1201ELNS1_3gpuE5ELNS1_3repE0EEENS1_59segmented_radix_sort_warp_sort_small_config_static_selectorELNS0_4arch9wavefront6targetE0EEEvSH_,"axG",@progbits,_ZN7rocprim17ROCPRIM_400000_NS6detail17trampoline_kernelINS0_14default_configENS1_36segmented_radix_sort_config_selectorIllEEZNS1_25segmented_radix_sort_implIS3_Lb1EPKlPlS8_S9_N2at6native12_GLOBAL__N_18offset_tEEE10hipError_tPvRmT1_PNSt15iterator_traitsISH_E10value_typeET2_T3_PNSI_ISN_E10value_typeET4_jRbjT5_ST_jjP12ihipStream_tbEUlT_E1_NS1_11comp_targetILNS1_3genE10ELNS1_11target_archE1201ELNS1_3gpuE5ELNS1_3repE0EEENS1_59segmented_radix_sort_warp_sort_small_config_static_selectorELNS0_4arch9wavefront6targetE0EEEvSH_,comdat
	.globl	_ZN7rocprim17ROCPRIM_400000_NS6detail17trampoline_kernelINS0_14default_configENS1_36segmented_radix_sort_config_selectorIllEEZNS1_25segmented_radix_sort_implIS3_Lb1EPKlPlS8_S9_N2at6native12_GLOBAL__N_18offset_tEEE10hipError_tPvRmT1_PNSt15iterator_traitsISH_E10value_typeET2_T3_PNSI_ISN_E10value_typeET4_jRbjT5_ST_jjP12ihipStream_tbEUlT_E1_NS1_11comp_targetILNS1_3genE10ELNS1_11target_archE1201ELNS1_3gpuE5ELNS1_3repE0EEENS1_59segmented_radix_sort_warp_sort_small_config_static_selectorELNS0_4arch9wavefront6targetE0EEEvSH_ ; -- Begin function _ZN7rocprim17ROCPRIM_400000_NS6detail17trampoline_kernelINS0_14default_configENS1_36segmented_radix_sort_config_selectorIllEEZNS1_25segmented_radix_sort_implIS3_Lb1EPKlPlS8_S9_N2at6native12_GLOBAL__N_18offset_tEEE10hipError_tPvRmT1_PNSt15iterator_traitsISH_E10value_typeET2_T3_PNSI_ISN_E10value_typeET4_jRbjT5_ST_jjP12ihipStream_tbEUlT_E1_NS1_11comp_targetILNS1_3genE10ELNS1_11target_archE1201ELNS1_3gpuE5ELNS1_3repE0EEENS1_59segmented_radix_sort_warp_sort_small_config_static_selectorELNS0_4arch9wavefront6targetE0EEEvSH_
	.p2align	8
	.type	_ZN7rocprim17ROCPRIM_400000_NS6detail17trampoline_kernelINS0_14default_configENS1_36segmented_radix_sort_config_selectorIllEEZNS1_25segmented_radix_sort_implIS3_Lb1EPKlPlS8_S9_N2at6native12_GLOBAL__N_18offset_tEEE10hipError_tPvRmT1_PNSt15iterator_traitsISH_E10value_typeET2_T3_PNSI_ISN_E10value_typeET4_jRbjT5_ST_jjP12ihipStream_tbEUlT_E1_NS1_11comp_targetILNS1_3genE10ELNS1_11target_archE1201ELNS1_3gpuE5ELNS1_3repE0EEENS1_59segmented_radix_sort_warp_sort_small_config_static_selectorELNS0_4arch9wavefront6targetE0EEEvSH_,@function
_ZN7rocprim17ROCPRIM_400000_NS6detail17trampoline_kernelINS0_14default_configENS1_36segmented_radix_sort_config_selectorIllEEZNS1_25segmented_radix_sort_implIS3_Lb1EPKlPlS8_S9_N2at6native12_GLOBAL__N_18offset_tEEE10hipError_tPvRmT1_PNSt15iterator_traitsISH_E10value_typeET2_T3_PNSI_ISN_E10value_typeET4_jRbjT5_ST_jjP12ihipStream_tbEUlT_E1_NS1_11comp_targetILNS1_3genE10ELNS1_11target_archE1201ELNS1_3gpuE5ELNS1_3repE0EEENS1_59segmented_radix_sort_warp_sort_small_config_static_selectorELNS0_4arch9wavefront6targetE0EEEvSH_: ; @_ZN7rocprim17ROCPRIM_400000_NS6detail17trampoline_kernelINS0_14default_configENS1_36segmented_radix_sort_config_selectorIllEEZNS1_25segmented_radix_sort_implIS3_Lb1EPKlPlS8_S9_N2at6native12_GLOBAL__N_18offset_tEEE10hipError_tPvRmT1_PNSt15iterator_traitsISH_E10value_typeET2_T3_PNSI_ISN_E10value_typeET4_jRbjT5_ST_jjP12ihipStream_tbEUlT_E1_NS1_11comp_targetILNS1_3genE10ELNS1_11target_archE1201ELNS1_3gpuE5ELNS1_3repE0EEENS1_59segmented_radix_sort_warp_sort_small_config_static_selectorELNS0_4arch9wavefront6targetE0EEEvSH_
; %bb.0:
	s_load_b32 s2, s[0:1], 0x64
	v_bfe_u32 v1, v0, 10, 10
	v_bfe_u32 v2, v0, 20, 10
	s_mov_b32 s32, 0
	s_wait_kmcnt 0x0
	s_lshr_b32 s3, s2, 16
	s_and_b32 s2, s2, 0xffff
	v_mad_u32_u24 v2, v2, s3, v1
	v_and_b32_e32 v1, 0x3ff, v0
	s_load_b32 s3, s[0:1], 0x34
	s_delay_alu instid0(VALU_DEP_1) | instskip(SKIP_2) | instid1(VALU_DEP_1)
	v_mad_co_u64_u32 v[1:2], null, v2, s2, v[1:2]
	s_mov_b32 s2, exec_lo
	v_lshrrev_b32_e32 v1, 3, v1
	v_lshl_add_u32 v1, ttmp9, 5, v1
	s_wait_kmcnt 0x0
	s_delay_alu instid0(VALU_DEP_1)
	v_cmpx_gt_u32_e64 s3, v1
	s_cbranch_execz .LBB730_6
; %bb.1:
	s_clause 0x1
	s_load_b64 s[2:3], s[0:1], 0x38
	s_load_b128 s[4:7], s[0:1], 0x40
	v_mov_b32_e32 v2, 0
	s_delay_alu instid0(VALU_DEP_1) | instskip(SKIP_1) | instid1(VALU_DEP_1)
	v_lshlrev_b64_e32 v[1:2], 2, v[1:2]
	s_wait_kmcnt 0x0
	v_sub_co_u32 v1, vcc_lo, s2, v1
	s_delay_alu instid0(VALU_DEP_1) | instskip(SKIP_4) | instid1(VALU_DEP_2)
	v_sub_co_ci_u32_e64 v2, null, s3, v2, vcc_lo
	global_load_b32 v1, v[1:2], off offset:-4
	s_wait_loadcnt 0x0
	v_add_nc_u32_e32 v2, s5, v1
	v_add_nc_u32_e32 v1, s7, v1
	v_mul_lo_u32 v40, v2, s4
	s_delay_alu instid0(VALU_DEP_2) | instskip(NEXT) | instid1(VALU_DEP_1)
	v_mul_lo_u32 v41, v1, s6
	v_cmp_gt_u32_e32 vcc_lo, v41, v40
	s_and_b32 exec_lo, exec_lo, vcc_lo
	s_cbranch_execz .LBB730_6
; %bb.2:
	s_clause 0x3
	s_load_b32 s2, s[0:1], 0x30
	s_load_b128 s[24:27], s[0:1], 0x20
	s_load_b256 s[16:23], s[0:1], 0x0
	s_load_b64 s[28:29], s[0:1], 0x50
	s_add_nc_u64 s[14:15], s[0:1], 0x58
	s_wait_kmcnt 0x0
	s_bitcmp0_b32 s2, 0
	s_mov_b32 s2, -1
	s_cbranch_scc0 .LBB730_4
; %bb.3:
	s_mov_b64 s[0:1], src_shared_base
	v_dual_mov_b32 v31, v0 :: v_dual_mov_b32 v42, v0
	v_dual_mov_b32 v0, s16 :: v_dual_mov_b32 v1, s17
	;; [unrolled: 1-line block ×7, first 2 shown]
	s_wait_alu 0xfffe
	v_dual_mov_b32 v12, 0 :: v_dual_mov_b32 v13, s1
	s_getpc_b64 s[2:3]
	s_wait_alu 0xfffe
	s_sext_i32_i16 s3, s3
	s_add_co_u32 s2, s2, _ZN7rocprim17ROCPRIM_400000_NS6detail26segmented_warp_sort_helperINS1_20WarpSortHelperConfigILj8ELj4ELj256EEEllLi256ELb1EvE4sortIPKlPlS8_S9_EEvT_T0_T1_T2_jjjjRNS5_12storage_typeE@rel32@lo+12
	s_wait_alu 0xfffe
	s_add_co_ci_u32 s3, s3, _ZN7rocprim17ROCPRIM_400000_NS6detail26segmented_warp_sort_helperINS1_20WarpSortHelperConfigILj8ELj4ELj256EEEllLi256ELb1EvE4sortIPKlPlS8_S9_EEvT_T0_T1_T2_jjjjRNS5_12storage_typeE@rel32@hi+24
	s_mov_b64 s[8:9], s[14:15]
	s_wait_alu 0xfffe
	s_swappc_b64 s[30:31], s[2:3]
	v_mov_b32_e32 v0, v42
	s_mov_b32 s2, 0
.LBB730_4:
	s_wait_alu 0xfffe
	s_and_not1_b32 vcc_lo, exec_lo, s2
	s_wait_alu 0xfffe
	s_cbranch_vccnz .LBB730_6
; %bb.5:
	s_mov_b64 s[0:1], src_shared_base
	v_dual_mov_b32 v31, v0 :: v_dual_mov_b32 v0, s16
	v_dual_mov_b32 v1, s17 :: v_dual_mov_b32 v2, s20
	;; [unrolled: 1-line block ×7, first 2 shown]
	s_wait_alu 0xfffe
	v_mov_b32_e32 v13, s1
	s_getpc_b64 s[2:3]
	s_wait_alu 0xfffe
	s_sext_i32_i16 s3, s3
	s_add_co_u32 s2, s2, _ZN7rocprim17ROCPRIM_400000_NS6detail26segmented_warp_sort_helperINS1_20WarpSortHelperConfigILj8ELj4ELj256EEEllLi256ELb1EvE4sortIPKlPlS8_S9_EEvT_T0_T1_T2_jjjjRNS5_12storage_typeE@rel32@lo+12
	s_wait_alu 0xfffe
	s_add_co_ci_u32 s3, s3, _ZN7rocprim17ROCPRIM_400000_NS6detail26segmented_warp_sort_helperINS1_20WarpSortHelperConfigILj8ELj4ELj256EEEllLi256ELb1EvE4sortIPKlPlS8_S9_EEvT_T0_T1_T2_jjjjRNS5_12storage_typeE@rel32@hi+24
	s_mov_b64 s[8:9], s[14:15]
	s_wait_alu 0xfffe
	s_swappc_b64 s[30:31], s[2:3]
.LBB730_6:
	s_endpgm
	.section	.rodata,"a",@progbits
	.p2align	6, 0x0
	.amdhsa_kernel _ZN7rocprim17ROCPRIM_400000_NS6detail17trampoline_kernelINS0_14default_configENS1_36segmented_radix_sort_config_selectorIllEEZNS1_25segmented_radix_sort_implIS3_Lb1EPKlPlS8_S9_N2at6native12_GLOBAL__N_18offset_tEEE10hipError_tPvRmT1_PNSt15iterator_traitsISH_E10value_typeET2_T3_PNSI_ISN_E10value_typeET4_jRbjT5_ST_jjP12ihipStream_tbEUlT_E1_NS1_11comp_targetILNS1_3genE10ELNS1_11target_archE1201ELNS1_3gpuE5ELNS1_3repE0EEENS1_59segmented_radix_sort_warp_sort_small_config_static_selectorELNS0_4arch9wavefront6targetE0EEEvSH_
		.amdhsa_group_segment_fixed_size 16384
		.amdhsa_private_segment_fixed_size 0
		.amdhsa_kernarg_size 344
		.amdhsa_user_sgpr_count 2
		.amdhsa_user_sgpr_dispatch_ptr 0
		.amdhsa_user_sgpr_queue_ptr 0
		.amdhsa_user_sgpr_kernarg_segment_ptr 1
		.amdhsa_user_sgpr_dispatch_id 0
		.amdhsa_user_sgpr_private_segment_size 0
		.amdhsa_wavefront_size32 1
		.amdhsa_uses_dynamic_stack 0
		.amdhsa_enable_private_segment 0
		.amdhsa_system_sgpr_workgroup_id_x 1
		.amdhsa_system_sgpr_workgroup_id_y 1
		.amdhsa_system_sgpr_workgroup_id_z 0
		.amdhsa_system_sgpr_workgroup_info 0
		.amdhsa_system_vgpr_workitem_id 2
		.amdhsa_next_free_vgpr 66
		.amdhsa_next_free_sgpr 33
		.amdhsa_reserve_vcc 1
		.amdhsa_float_round_mode_32 0
		.amdhsa_float_round_mode_16_64 0
		.amdhsa_float_denorm_mode_32 3
		.amdhsa_float_denorm_mode_16_64 3
		.amdhsa_fp16_overflow 0
		.amdhsa_workgroup_processor_mode 1
		.amdhsa_memory_ordered 1
		.amdhsa_forward_progress 1
		.amdhsa_inst_pref_size 5
		.amdhsa_round_robin_scheduling 0
		.amdhsa_exception_fp_ieee_invalid_op 0
		.amdhsa_exception_fp_denorm_src 0
		.amdhsa_exception_fp_ieee_div_zero 0
		.amdhsa_exception_fp_ieee_overflow 0
		.amdhsa_exception_fp_ieee_underflow 0
		.amdhsa_exception_fp_ieee_inexact 0
		.amdhsa_exception_int_div_zero 0
	.end_amdhsa_kernel
	.section	.text._ZN7rocprim17ROCPRIM_400000_NS6detail17trampoline_kernelINS0_14default_configENS1_36segmented_radix_sort_config_selectorIllEEZNS1_25segmented_radix_sort_implIS3_Lb1EPKlPlS8_S9_N2at6native12_GLOBAL__N_18offset_tEEE10hipError_tPvRmT1_PNSt15iterator_traitsISH_E10value_typeET2_T3_PNSI_ISN_E10value_typeET4_jRbjT5_ST_jjP12ihipStream_tbEUlT_E1_NS1_11comp_targetILNS1_3genE10ELNS1_11target_archE1201ELNS1_3gpuE5ELNS1_3repE0EEENS1_59segmented_radix_sort_warp_sort_small_config_static_selectorELNS0_4arch9wavefront6targetE0EEEvSH_,"axG",@progbits,_ZN7rocprim17ROCPRIM_400000_NS6detail17trampoline_kernelINS0_14default_configENS1_36segmented_radix_sort_config_selectorIllEEZNS1_25segmented_radix_sort_implIS3_Lb1EPKlPlS8_S9_N2at6native12_GLOBAL__N_18offset_tEEE10hipError_tPvRmT1_PNSt15iterator_traitsISH_E10value_typeET2_T3_PNSI_ISN_E10value_typeET4_jRbjT5_ST_jjP12ihipStream_tbEUlT_E1_NS1_11comp_targetILNS1_3genE10ELNS1_11target_archE1201ELNS1_3gpuE5ELNS1_3repE0EEENS1_59segmented_radix_sort_warp_sort_small_config_static_selectorELNS0_4arch9wavefront6targetE0EEEvSH_,comdat
.Lfunc_end730:
	.size	_ZN7rocprim17ROCPRIM_400000_NS6detail17trampoline_kernelINS0_14default_configENS1_36segmented_radix_sort_config_selectorIllEEZNS1_25segmented_radix_sort_implIS3_Lb1EPKlPlS8_S9_N2at6native12_GLOBAL__N_18offset_tEEE10hipError_tPvRmT1_PNSt15iterator_traitsISH_E10value_typeET2_T3_PNSI_ISN_E10value_typeET4_jRbjT5_ST_jjP12ihipStream_tbEUlT_E1_NS1_11comp_targetILNS1_3genE10ELNS1_11target_archE1201ELNS1_3gpuE5ELNS1_3repE0EEENS1_59segmented_radix_sort_warp_sort_small_config_static_selectorELNS0_4arch9wavefront6targetE0EEEvSH_, .Lfunc_end730-_ZN7rocprim17ROCPRIM_400000_NS6detail17trampoline_kernelINS0_14default_configENS1_36segmented_radix_sort_config_selectorIllEEZNS1_25segmented_radix_sort_implIS3_Lb1EPKlPlS8_S9_N2at6native12_GLOBAL__N_18offset_tEEE10hipError_tPvRmT1_PNSt15iterator_traitsISH_E10value_typeET2_T3_PNSI_ISN_E10value_typeET4_jRbjT5_ST_jjP12ihipStream_tbEUlT_E1_NS1_11comp_targetILNS1_3genE10ELNS1_11target_archE1201ELNS1_3gpuE5ELNS1_3repE0EEENS1_59segmented_radix_sort_warp_sort_small_config_static_selectorELNS0_4arch9wavefront6targetE0EEEvSH_
                                        ; -- End function
	.set _ZN7rocprim17ROCPRIM_400000_NS6detail17trampoline_kernelINS0_14default_configENS1_36segmented_radix_sort_config_selectorIllEEZNS1_25segmented_radix_sort_implIS3_Lb1EPKlPlS8_S9_N2at6native12_GLOBAL__N_18offset_tEEE10hipError_tPvRmT1_PNSt15iterator_traitsISH_E10value_typeET2_T3_PNSI_ISN_E10value_typeET4_jRbjT5_ST_jjP12ihipStream_tbEUlT_E1_NS1_11comp_targetILNS1_3genE10ELNS1_11target_archE1201ELNS1_3gpuE5ELNS1_3repE0EEENS1_59segmented_radix_sort_warp_sort_small_config_static_selectorELNS0_4arch9wavefront6targetE0EEEvSH_.num_vgpr, max(43, .L_ZN7rocprim17ROCPRIM_400000_NS6detail26segmented_warp_sort_helperINS1_20WarpSortHelperConfigILj8ELj4ELj256EEEllLi256ELb1EvE4sortIPKlPlS8_S9_EEvT_T0_T1_T2_jjjjRNS5_12storage_typeE.num_vgpr)
	.set _ZN7rocprim17ROCPRIM_400000_NS6detail17trampoline_kernelINS0_14default_configENS1_36segmented_radix_sort_config_selectorIllEEZNS1_25segmented_radix_sort_implIS3_Lb1EPKlPlS8_S9_N2at6native12_GLOBAL__N_18offset_tEEE10hipError_tPvRmT1_PNSt15iterator_traitsISH_E10value_typeET2_T3_PNSI_ISN_E10value_typeET4_jRbjT5_ST_jjP12ihipStream_tbEUlT_E1_NS1_11comp_targetILNS1_3genE10ELNS1_11target_archE1201ELNS1_3gpuE5ELNS1_3repE0EEENS1_59segmented_radix_sort_warp_sort_small_config_static_selectorELNS0_4arch9wavefront6targetE0EEEvSH_.num_agpr, max(0, .L_ZN7rocprim17ROCPRIM_400000_NS6detail26segmented_warp_sort_helperINS1_20WarpSortHelperConfigILj8ELj4ELj256EEEllLi256ELb1EvE4sortIPKlPlS8_S9_EEvT_T0_T1_T2_jjjjRNS5_12storage_typeE.num_agpr)
	.set _ZN7rocprim17ROCPRIM_400000_NS6detail17trampoline_kernelINS0_14default_configENS1_36segmented_radix_sort_config_selectorIllEEZNS1_25segmented_radix_sort_implIS3_Lb1EPKlPlS8_S9_N2at6native12_GLOBAL__N_18offset_tEEE10hipError_tPvRmT1_PNSt15iterator_traitsISH_E10value_typeET2_T3_PNSI_ISN_E10value_typeET4_jRbjT5_ST_jjP12ihipStream_tbEUlT_E1_NS1_11comp_targetILNS1_3genE10ELNS1_11target_archE1201ELNS1_3gpuE5ELNS1_3repE0EEENS1_59segmented_radix_sort_warp_sort_small_config_static_selectorELNS0_4arch9wavefront6targetE0EEEvSH_.numbered_sgpr, max(33, .L_ZN7rocprim17ROCPRIM_400000_NS6detail26segmented_warp_sort_helperINS1_20WarpSortHelperConfigILj8ELj4ELj256EEEllLi256ELb1EvE4sortIPKlPlS8_S9_EEvT_T0_T1_T2_jjjjRNS5_12storage_typeE.numbered_sgpr)
	.set _ZN7rocprim17ROCPRIM_400000_NS6detail17trampoline_kernelINS0_14default_configENS1_36segmented_radix_sort_config_selectorIllEEZNS1_25segmented_radix_sort_implIS3_Lb1EPKlPlS8_S9_N2at6native12_GLOBAL__N_18offset_tEEE10hipError_tPvRmT1_PNSt15iterator_traitsISH_E10value_typeET2_T3_PNSI_ISN_E10value_typeET4_jRbjT5_ST_jjP12ihipStream_tbEUlT_E1_NS1_11comp_targetILNS1_3genE10ELNS1_11target_archE1201ELNS1_3gpuE5ELNS1_3repE0EEENS1_59segmented_radix_sort_warp_sort_small_config_static_selectorELNS0_4arch9wavefront6targetE0EEEvSH_.num_named_barrier, max(0, .L_ZN7rocprim17ROCPRIM_400000_NS6detail26segmented_warp_sort_helperINS1_20WarpSortHelperConfigILj8ELj4ELj256EEEllLi256ELb1EvE4sortIPKlPlS8_S9_EEvT_T0_T1_T2_jjjjRNS5_12storage_typeE.num_named_barrier)
	.set _ZN7rocprim17ROCPRIM_400000_NS6detail17trampoline_kernelINS0_14default_configENS1_36segmented_radix_sort_config_selectorIllEEZNS1_25segmented_radix_sort_implIS3_Lb1EPKlPlS8_S9_N2at6native12_GLOBAL__N_18offset_tEEE10hipError_tPvRmT1_PNSt15iterator_traitsISH_E10value_typeET2_T3_PNSI_ISN_E10value_typeET4_jRbjT5_ST_jjP12ihipStream_tbEUlT_E1_NS1_11comp_targetILNS1_3genE10ELNS1_11target_archE1201ELNS1_3gpuE5ELNS1_3repE0EEENS1_59segmented_radix_sort_warp_sort_small_config_static_selectorELNS0_4arch9wavefront6targetE0EEEvSH_.private_seg_size, 0+max(.L_ZN7rocprim17ROCPRIM_400000_NS6detail26segmented_warp_sort_helperINS1_20WarpSortHelperConfigILj8ELj4ELj256EEEllLi256ELb1EvE4sortIPKlPlS8_S9_EEvT_T0_T1_T2_jjjjRNS5_12storage_typeE.private_seg_size)
	.set _ZN7rocprim17ROCPRIM_400000_NS6detail17trampoline_kernelINS0_14default_configENS1_36segmented_radix_sort_config_selectorIllEEZNS1_25segmented_radix_sort_implIS3_Lb1EPKlPlS8_S9_N2at6native12_GLOBAL__N_18offset_tEEE10hipError_tPvRmT1_PNSt15iterator_traitsISH_E10value_typeET2_T3_PNSI_ISN_E10value_typeET4_jRbjT5_ST_jjP12ihipStream_tbEUlT_E1_NS1_11comp_targetILNS1_3genE10ELNS1_11target_archE1201ELNS1_3gpuE5ELNS1_3repE0EEENS1_59segmented_radix_sort_warp_sort_small_config_static_selectorELNS0_4arch9wavefront6targetE0EEEvSH_.uses_vcc, or(1, .L_ZN7rocprim17ROCPRIM_400000_NS6detail26segmented_warp_sort_helperINS1_20WarpSortHelperConfigILj8ELj4ELj256EEEllLi256ELb1EvE4sortIPKlPlS8_S9_EEvT_T0_T1_T2_jjjjRNS5_12storage_typeE.uses_vcc)
	.set _ZN7rocprim17ROCPRIM_400000_NS6detail17trampoline_kernelINS0_14default_configENS1_36segmented_radix_sort_config_selectorIllEEZNS1_25segmented_radix_sort_implIS3_Lb1EPKlPlS8_S9_N2at6native12_GLOBAL__N_18offset_tEEE10hipError_tPvRmT1_PNSt15iterator_traitsISH_E10value_typeET2_T3_PNSI_ISN_E10value_typeET4_jRbjT5_ST_jjP12ihipStream_tbEUlT_E1_NS1_11comp_targetILNS1_3genE10ELNS1_11target_archE1201ELNS1_3gpuE5ELNS1_3repE0EEENS1_59segmented_radix_sort_warp_sort_small_config_static_selectorELNS0_4arch9wavefront6targetE0EEEvSH_.uses_flat_scratch, or(0, .L_ZN7rocprim17ROCPRIM_400000_NS6detail26segmented_warp_sort_helperINS1_20WarpSortHelperConfigILj8ELj4ELj256EEEllLi256ELb1EvE4sortIPKlPlS8_S9_EEvT_T0_T1_T2_jjjjRNS5_12storage_typeE.uses_flat_scratch)
	.set _ZN7rocprim17ROCPRIM_400000_NS6detail17trampoline_kernelINS0_14default_configENS1_36segmented_radix_sort_config_selectorIllEEZNS1_25segmented_radix_sort_implIS3_Lb1EPKlPlS8_S9_N2at6native12_GLOBAL__N_18offset_tEEE10hipError_tPvRmT1_PNSt15iterator_traitsISH_E10value_typeET2_T3_PNSI_ISN_E10value_typeET4_jRbjT5_ST_jjP12ihipStream_tbEUlT_E1_NS1_11comp_targetILNS1_3genE10ELNS1_11target_archE1201ELNS1_3gpuE5ELNS1_3repE0EEENS1_59segmented_radix_sort_warp_sort_small_config_static_selectorELNS0_4arch9wavefront6targetE0EEEvSH_.has_dyn_sized_stack, or(0, .L_ZN7rocprim17ROCPRIM_400000_NS6detail26segmented_warp_sort_helperINS1_20WarpSortHelperConfigILj8ELj4ELj256EEEllLi256ELb1EvE4sortIPKlPlS8_S9_EEvT_T0_T1_T2_jjjjRNS5_12storage_typeE.has_dyn_sized_stack)
	.set _ZN7rocprim17ROCPRIM_400000_NS6detail17trampoline_kernelINS0_14default_configENS1_36segmented_radix_sort_config_selectorIllEEZNS1_25segmented_radix_sort_implIS3_Lb1EPKlPlS8_S9_N2at6native12_GLOBAL__N_18offset_tEEE10hipError_tPvRmT1_PNSt15iterator_traitsISH_E10value_typeET2_T3_PNSI_ISN_E10value_typeET4_jRbjT5_ST_jjP12ihipStream_tbEUlT_E1_NS1_11comp_targetILNS1_3genE10ELNS1_11target_archE1201ELNS1_3gpuE5ELNS1_3repE0EEENS1_59segmented_radix_sort_warp_sort_small_config_static_selectorELNS0_4arch9wavefront6targetE0EEEvSH_.has_recursion, or(0, .L_ZN7rocprim17ROCPRIM_400000_NS6detail26segmented_warp_sort_helperINS1_20WarpSortHelperConfigILj8ELj4ELj256EEEllLi256ELb1EvE4sortIPKlPlS8_S9_EEvT_T0_T1_T2_jjjjRNS5_12storage_typeE.has_recursion)
	.set _ZN7rocprim17ROCPRIM_400000_NS6detail17trampoline_kernelINS0_14default_configENS1_36segmented_radix_sort_config_selectorIllEEZNS1_25segmented_radix_sort_implIS3_Lb1EPKlPlS8_S9_N2at6native12_GLOBAL__N_18offset_tEEE10hipError_tPvRmT1_PNSt15iterator_traitsISH_E10value_typeET2_T3_PNSI_ISN_E10value_typeET4_jRbjT5_ST_jjP12ihipStream_tbEUlT_E1_NS1_11comp_targetILNS1_3genE10ELNS1_11target_archE1201ELNS1_3gpuE5ELNS1_3repE0EEENS1_59segmented_radix_sort_warp_sort_small_config_static_selectorELNS0_4arch9wavefront6targetE0EEEvSH_.has_indirect_call, or(0, .L_ZN7rocprim17ROCPRIM_400000_NS6detail26segmented_warp_sort_helperINS1_20WarpSortHelperConfigILj8ELj4ELj256EEEllLi256ELb1EvE4sortIPKlPlS8_S9_EEvT_T0_T1_T2_jjjjRNS5_12storage_typeE.has_indirect_call)
	.section	.AMDGPU.csdata,"",@progbits
; Kernel info:
; codeLenInByte = 544
; TotalNumSgprs: 35
; NumVgprs: 66
; ScratchSize: 0
; MemoryBound: 0
; FloatMode: 240
; IeeeMode: 1
; LDSByteSize: 16384 bytes/workgroup (compile time only)
; SGPRBlocks: 0
; VGPRBlocks: 8
; NumSGPRsForWavesPerEU: 35
; NumVGPRsForWavesPerEU: 66
; Occupancy: 16
; WaveLimiterHint : 0
; COMPUTE_PGM_RSRC2:SCRATCH_EN: 0
; COMPUTE_PGM_RSRC2:USER_SGPR: 2
; COMPUTE_PGM_RSRC2:TRAP_HANDLER: 0
; COMPUTE_PGM_RSRC2:TGID_X_EN: 1
; COMPUTE_PGM_RSRC2:TGID_Y_EN: 1
; COMPUTE_PGM_RSRC2:TGID_Z_EN: 0
; COMPUTE_PGM_RSRC2:TIDIG_COMP_CNT: 2
	.section	.text._ZN7rocprim17ROCPRIM_400000_NS6detail17trampoline_kernelINS0_14default_configENS1_36segmented_radix_sort_config_selectorIllEEZNS1_25segmented_radix_sort_implIS3_Lb1EPKlPlS8_S9_N2at6native12_GLOBAL__N_18offset_tEEE10hipError_tPvRmT1_PNSt15iterator_traitsISH_E10value_typeET2_T3_PNSI_ISN_E10value_typeET4_jRbjT5_ST_jjP12ihipStream_tbEUlT_E1_NS1_11comp_targetILNS1_3genE10ELNS1_11target_archE1200ELNS1_3gpuE4ELNS1_3repE0EEENS1_59segmented_radix_sort_warp_sort_small_config_static_selectorELNS0_4arch9wavefront6targetE0EEEvSH_,"axG",@progbits,_ZN7rocprim17ROCPRIM_400000_NS6detail17trampoline_kernelINS0_14default_configENS1_36segmented_radix_sort_config_selectorIllEEZNS1_25segmented_radix_sort_implIS3_Lb1EPKlPlS8_S9_N2at6native12_GLOBAL__N_18offset_tEEE10hipError_tPvRmT1_PNSt15iterator_traitsISH_E10value_typeET2_T3_PNSI_ISN_E10value_typeET4_jRbjT5_ST_jjP12ihipStream_tbEUlT_E1_NS1_11comp_targetILNS1_3genE10ELNS1_11target_archE1200ELNS1_3gpuE4ELNS1_3repE0EEENS1_59segmented_radix_sort_warp_sort_small_config_static_selectorELNS0_4arch9wavefront6targetE0EEEvSH_,comdat
	.globl	_ZN7rocprim17ROCPRIM_400000_NS6detail17trampoline_kernelINS0_14default_configENS1_36segmented_radix_sort_config_selectorIllEEZNS1_25segmented_radix_sort_implIS3_Lb1EPKlPlS8_S9_N2at6native12_GLOBAL__N_18offset_tEEE10hipError_tPvRmT1_PNSt15iterator_traitsISH_E10value_typeET2_T3_PNSI_ISN_E10value_typeET4_jRbjT5_ST_jjP12ihipStream_tbEUlT_E1_NS1_11comp_targetILNS1_3genE10ELNS1_11target_archE1200ELNS1_3gpuE4ELNS1_3repE0EEENS1_59segmented_radix_sort_warp_sort_small_config_static_selectorELNS0_4arch9wavefront6targetE0EEEvSH_ ; -- Begin function _ZN7rocprim17ROCPRIM_400000_NS6detail17trampoline_kernelINS0_14default_configENS1_36segmented_radix_sort_config_selectorIllEEZNS1_25segmented_radix_sort_implIS3_Lb1EPKlPlS8_S9_N2at6native12_GLOBAL__N_18offset_tEEE10hipError_tPvRmT1_PNSt15iterator_traitsISH_E10value_typeET2_T3_PNSI_ISN_E10value_typeET4_jRbjT5_ST_jjP12ihipStream_tbEUlT_E1_NS1_11comp_targetILNS1_3genE10ELNS1_11target_archE1200ELNS1_3gpuE4ELNS1_3repE0EEENS1_59segmented_radix_sort_warp_sort_small_config_static_selectorELNS0_4arch9wavefront6targetE0EEEvSH_
	.p2align	8
	.type	_ZN7rocprim17ROCPRIM_400000_NS6detail17trampoline_kernelINS0_14default_configENS1_36segmented_radix_sort_config_selectorIllEEZNS1_25segmented_radix_sort_implIS3_Lb1EPKlPlS8_S9_N2at6native12_GLOBAL__N_18offset_tEEE10hipError_tPvRmT1_PNSt15iterator_traitsISH_E10value_typeET2_T3_PNSI_ISN_E10value_typeET4_jRbjT5_ST_jjP12ihipStream_tbEUlT_E1_NS1_11comp_targetILNS1_3genE10ELNS1_11target_archE1200ELNS1_3gpuE4ELNS1_3repE0EEENS1_59segmented_radix_sort_warp_sort_small_config_static_selectorELNS0_4arch9wavefront6targetE0EEEvSH_,@function
_ZN7rocprim17ROCPRIM_400000_NS6detail17trampoline_kernelINS0_14default_configENS1_36segmented_radix_sort_config_selectorIllEEZNS1_25segmented_radix_sort_implIS3_Lb1EPKlPlS8_S9_N2at6native12_GLOBAL__N_18offset_tEEE10hipError_tPvRmT1_PNSt15iterator_traitsISH_E10value_typeET2_T3_PNSI_ISN_E10value_typeET4_jRbjT5_ST_jjP12ihipStream_tbEUlT_E1_NS1_11comp_targetILNS1_3genE10ELNS1_11target_archE1200ELNS1_3gpuE4ELNS1_3repE0EEENS1_59segmented_radix_sort_warp_sort_small_config_static_selectorELNS0_4arch9wavefront6targetE0EEEvSH_: ; @_ZN7rocprim17ROCPRIM_400000_NS6detail17trampoline_kernelINS0_14default_configENS1_36segmented_radix_sort_config_selectorIllEEZNS1_25segmented_radix_sort_implIS3_Lb1EPKlPlS8_S9_N2at6native12_GLOBAL__N_18offset_tEEE10hipError_tPvRmT1_PNSt15iterator_traitsISH_E10value_typeET2_T3_PNSI_ISN_E10value_typeET4_jRbjT5_ST_jjP12ihipStream_tbEUlT_E1_NS1_11comp_targetILNS1_3genE10ELNS1_11target_archE1200ELNS1_3gpuE4ELNS1_3repE0EEENS1_59segmented_radix_sort_warp_sort_small_config_static_selectorELNS0_4arch9wavefront6targetE0EEEvSH_
; %bb.0:
	.section	.rodata,"a",@progbits
	.p2align	6, 0x0
	.amdhsa_kernel _ZN7rocprim17ROCPRIM_400000_NS6detail17trampoline_kernelINS0_14default_configENS1_36segmented_radix_sort_config_selectorIllEEZNS1_25segmented_radix_sort_implIS3_Lb1EPKlPlS8_S9_N2at6native12_GLOBAL__N_18offset_tEEE10hipError_tPvRmT1_PNSt15iterator_traitsISH_E10value_typeET2_T3_PNSI_ISN_E10value_typeET4_jRbjT5_ST_jjP12ihipStream_tbEUlT_E1_NS1_11comp_targetILNS1_3genE10ELNS1_11target_archE1200ELNS1_3gpuE4ELNS1_3repE0EEENS1_59segmented_radix_sort_warp_sort_small_config_static_selectorELNS0_4arch9wavefront6targetE0EEEvSH_
		.amdhsa_group_segment_fixed_size 0
		.amdhsa_private_segment_fixed_size 0
		.amdhsa_kernarg_size 88
		.amdhsa_user_sgpr_count 2
		.amdhsa_user_sgpr_dispatch_ptr 0
		.amdhsa_user_sgpr_queue_ptr 0
		.amdhsa_user_sgpr_kernarg_segment_ptr 1
		.amdhsa_user_sgpr_dispatch_id 0
		.amdhsa_user_sgpr_private_segment_size 0
		.amdhsa_wavefront_size32 1
		.amdhsa_uses_dynamic_stack 0
		.amdhsa_enable_private_segment 0
		.amdhsa_system_sgpr_workgroup_id_x 1
		.amdhsa_system_sgpr_workgroup_id_y 0
		.amdhsa_system_sgpr_workgroup_id_z 0
		.amdhsa_system_sgpr_workgroup_info 0
		.amdhsa_system_vgpr_workitem_id 0
		.amdhsa_next_free_vgpr 1
		.amdhsa_next_free_sgpr 1
		.amdhsa_reserve_vcc 0
		.amdhsa_float_round_mode_32 0
		.amdhsa_float_round_mode_16_64 0
		.amdhsa_float_denorm_mode_32 3
		.amdhsa_float_denorm_mode_16_64 3
		.amdhsa_fp16_overflow 0
		.amdhsa_workgroup_processor_mode 1
		.amdhsa_memory_ordered 1
		.amdhsa_forward_progress 1
		.amdhsa_inst_pref_size 0
		.amdhsa_round_robin_scheduling 0
		.amdhsa_exception_fp_ieee_invalid_op 0
		.amdhsa_exception_fp_denorm_src 0
		.amdhsa_exception_fp_ieee_div_zero 0
		.amdhsa_exception_fp_ieee_overflow 0
		.amdhsa_exception_fp_ieee_underflow 0
		.amdhsa_exception_fp_ieee_inexact 0
		.amdhsa_exception_int_div_zero 0
	.end_amdhsa_kernel
	.section	.text._ZN7rocprim17ROCPRIM_400000_NS6detail17trampoline_kernelINS0_14default_configENS1_36segmented_radix_sort_config_selectorIllEEZNS1_25segmented_radix_sort_implIS3_Lb1EPKlPlS8_S9_N2at6native12_GLOBAL__N_18offset_tEEE10hipError_tPvRmT1_PNSt15iterator_traitsISH_E10value_typeET2_T3_PNSI_ISN_E10value_typeET4_jRbjT5_ST_jjP12ihipStream_tbEUlT_E1_NS1_11comp_targetILNS1_3genE10ELNS1_11target_archE1200ELNS1_3gpuE4ELNS1_3repE0EEENS1_59segmented_radix_sort_warp_sort_small_config_static_selectorELNS0_4arch9wavefront6targetE0EEEvSH_,"axG",@progbits,_ZN7rocprim17ROCPRIM_400000_NS6detail17trampoline_kernelINS0_14default_configENS1_36segmented_radix_sort_config_selectorIllEEZNS1_25segmented_radix_sort_implIS3_Lb1EPKlPlS8_S9_N2at6native12_GLOBAL__N_18offset_tEEE10hipError_tPvRmT1_PNSt15iterator_traitsISH_E10value_typeET2_T3_PNSI_ISN_E10value_typeET4_jRbjT5_ST_jjP12ihipStream_tbEUlT_E1_NS1_11comp_targetILNS1_3genE10ELNS1_11target_archE1200ELNS1_3gpuE4ELNS1_3repE0EEENS1_59segmented_radix_sort_warp_sort_small_config_static_selectorELNS0_4arch9wavefront6targetE0EEEvSH_,comdat
.Lfunc_end731:
	.size	_ZN7rocprim17ROCPRIM_400000_NS6detail17trampoline_kernelINS0_14default_configENS1_36segmented_radix_sort_config_selectorIllEEZNS1_25segmented_radix_sort_implIS3_Lb1EPKlPlS8_S9_N2at6native12_GLOBAL__N_18offset_tEEE10hipError_tPvRmT1_PNSt15iterator_traitsISH_E10value_typeET2_T3_PNSI_ISN_E10value_typeET4_jRbjT5_ST_jjP12ihipStream_tbEUlT_E1_NS1_11comp_targetILNS1_3genE10ELNS1_11target_archE1200ELNS1_3gpuE4ELNS1_3repE0EEENS1_59segmented_radix_sort_warp_sort_small_config_static_selectorELNS0_4arch9wavefront6targetE0EEEvSH_, .Lfunc_end731-_ZN7rocprim17ROCPRIM_400000_NS6detail17trampoline_kernelINS0_14default_configENS1_36segmented_radix_sort_config_selectorIllEEZNS1_25segmented_radix_sort_implIS3_Lb1EPKlPlS8_S9_N2at6native12_GLOBAL__N_18offset_tEEE10hipError_tPvRmT1_PNSt15iterator_traitsISH_E10value_typeET2_T3_PNSI_ISN_E10value_typeET4_jRbjT5_ST_jjP12ihipStream_tbEUlT_E1_NS1_11comp_targetILNS1_3genE10ELNS1_11target_archE1200ELNS1_3gpuE4ELNS1_3repE0EEENS1_59segmented_radix_sort_warp_sort_small_config_static_selectorELNS0_4arch9wavefront6targetE0EEEvSH_
                                        ; -- End function
	.set _ZN7rocprim17ROCPRIM_400000_NS6detail17trampoline_kernelINS0_14default_configENS1_36segmented_radix_sort_config_selectorIllEEZNS1_25segmented_radix_sort_implIS3_Lb1EPKlPlS8_S9_N2at6native12_GLOBAL__N_18offset_tEEE10hipError_tPvRmT1_PNSt15iterator_traitsISH_E10value_typeET2_T3_PNSI_ISN_E10value_typeET4_jRbjT5_ST_jjP12ihipStream_tbEUlT_E1_NS1_11comp_targetILNS1_3genE10ELNS1_11target_archE1200ELNS1_3gpuE4ELNS1_3repE0EEENS1_59segmented_radix_sort_warp_sort_small_config_static_selectorELNS0_4arch9wavefront6targetE0EEEvSH_.num_vgpr, 0
	.set _ZN7rocprim17ROCPRIM_400000_NS6detail17trampoline_kernelINS0_14default_configENS1_36segmented_radix_sort_config_selectorIllEEZNS1_25segmented_radix_sort_implIS3_Lb1EPKlPlS8_S9_N2at6native12_GLOBAL__N_18offset_tEEE10hipError_tPvRmT1_PNSt15iterator_traitsISH_E10value_typeET2_T3_PNSI_ISN_E10value_typeET4_jRbjT5_ST_jjP12ihipStream_tbEUlT_E1_NS1_11comp_targetILNS1_3genE10ELNS1_11target_archE1200ELNS1_3gpuE4ELNS1_3repE0EEENS1_59segmented_radix_sort_warp_sort_small_config_static_selectorELNS0_4arch9wavefront6targetE0EEEvSH_.num_agpr, 0
	.set _ZN7rocprim17ROCPRIM_400000_NS6detail17trampoline_kernelINS0_14default_configENS1_36segmented_radix_sort_config_selectorIllEEZNS1_25segmented_radix_sort_implIS3_Lb1EPKlPlS8_S9_N2at6native12_GLOBAL__N_18offset_tEEE10hipError_tPvRmT1_PNSt15iterator_traitsISH_E10value_typeET2_T3_PNSI_ISN_E10value_typeET4_jRbjT5_ST_jjP12ihipStream_tbEUlT_E1_NS1_11comp_targetILNS1_3genE10ELNS1_11target_archE1200ELNS1_3gpuE4ELNS1_3repE0EEENS1_59segmented_radix_sort_warp_sort_small_config_static_selectorELNS0_4arch9wavefront6targetE0EEEvSH_.numbered_sgpr, 0
	.set _ZN7rocprim17ROCPRIM_400000_NS6detail17trampoline_kernelINS0_14default_configENS1_36segmented_radix_sort_config_selectorIllEEZNS1_25segmented_radix_sort_implIS3_Lb1EPKlPlS8_S9_N2at6native12_GLOBAL__N_18offset_tEEE10hipError_tPvRmT1_PNSt15iterator_traitsISH_E10value_typeET2_T3_PNSI_ISN_E10value_typeET4_jRbjT5_ST_jjP12ihipStream_tbEUlT_E1_NS1_11comp_targetILNS1_3genE10ELNS1_11target_archE1200ELNS1_3gpuE4ELNS1_3repE0EEENS1_59segmented_radix_sort_warp_sort_small_config_static_selectorELNS0_4arch9wavefront6targetE0EEEvSH_.num_named_barrier, 0
	.set _ZN7rocprim17ROCPRIM_400000_NS6detail17trampoline_kernelINS0_14default_configENS1_36segmented_radix_sort_config_selectorIllEEZNS1_25segmented_radix_sort_implIS3_Lb1EPKlPlS8_S9_N2at6native12_GLOBAL__N_18offset_tEEE10hipError_tPvRmT1_PNSt15iterator_traitsISH_E10value_typeET2_T3_PNSI_ISN_E10value_typeET4_jRbjT5_ST_jjP12ihipStream_tbEUlT_E1_NS1_11comp_targetILNS1_3genE10ELNS1_11target_archE1200ELNS1_3gpuE4ELNS1_3repE0EEENS1_59segmented_radix_sort_warp_sort_small_config_static_selectorELNS0_4arch9wavefront6targetE0EEEvSH_.private_seg_size, 0
	.set _ZN7rocprim17ROCPRIM_400000_NS6detail17trampoline_kernelINS0_14default_configENS1_36segmented_radix_sort_config_selectorIllEEZNS1_25segmented_radix_sort_implIS3_Lb1EPKlPlS8_S9_N2at6native12_GLOBAL__N_18offset_tEEE10hipError_tPvRmT1_PNSt15iterator_traitsISH_E10value_typeET2_T3_PNSI_ISN_E10value_typeET4_jRbjT5_ST_jjP12ihipStream_tbEUlT_E1_NS1_11comp_targetILNS1_3genE10ELNS1_11target_archE1200ELNS1_3gpuE4ELNS1_3repE0EEENS1_59segmented_radix_sort_warp_sort_small_config_static_selectorELNS0_4arch9wavefront6targetE0EEEvSH_.uses_vcc, 0
	.set _ZN7rocprim17ROCPRIM_400000_NS6detail17trampoline_kernelINS0_14default_configENS1_36segmented_radix_sort_config_selectorIllEEZNS1_25segmented_radix_sort_implIS3_Lb1EPKlPlS8_S9_N2at6native12_GLOBAL__N_18offset_tEEE10hipError_tPvRmT1_PNSt15iterator_traitsISH_E10value_typeET2_T3_PNSI_ISN_E10value_typeET4_jRbjT5_ST_jjP12ihipStream_tbEUlT_E1_NS1_11comp_targetILNS1_3genE10ELNS1_11target_archE1200ELNS1_3gpuE4ELNS1_3repE0EEENS1_59segmented_radix_sort_warp_sort_small_config_static_selectorELNS0_4arch9wavefront6targetE0EEEvSH_.uses_flat_scratch, 0
	.set _ZN7rocprim17ROCPRIM_400000_NS6detail17trampoline_kernelINS0_14default_configENS1_36segmented_radix_sort_config_selectorIllEEZNS1_25segmented_radix_sort_implIS3_Lb1EPKlPlS8_S9_N2at6native12_GLOBAL__N_18offset_tEEE10hipError_tPvRmT1_PNSt15iterator_traitsISH_E10value_typeET2_T3_PNSI_ISN_E10value_typeET4_jRbjT5_ST_jjP12ihipStream_tbEUlT_E1_NS1_11comp_targetILNS1_3genE10ELNS1_11target_archE1200ELNS1_3gpuE4ELNS1_3repE0EEENS1_59segmented_radix_sort_warp_sort_small_config_static_selectorELNS0_4arch9wavefront6targetE0EEEvSH_.has_dyn_sized_stack, 0
	.set _ZN7rocprim17ROCPRIM_400000_NS6detail17trampoline_kernelINS0_14default_configENS1_36segmented_radix_sort_config_selectorIllEEZNS1_25segmented_radix_sort_implIS3_Lb1EPKlPlS8_S9_N2at6native12_GLOBAL__N_18offset_tEEE10hipError_tPvRmT1_PNSt15iterator_traitsISH_E10value_typeET2_T3_PNSI_ISN_E10value_typeET4_jRbjT5_ST_jjP12ihipStream_tbEUlT_E1_NS1_11comp_targetILNS1_3genE10ELNS1_11target_archE1200ELNS1_3gpuE4ELNS1_3repE0EEENS1_59segmented_radix_sort_warp_sort_small_config_static_selectorELNS0_4arch9wavefront6targetE0EEEvSH_.has_recursion, 0
	.set _ZN7rocprim17ROCPRIM_400000_NS6detail17trampoline_kernelINS0_14default_configENS1_36segmented_radix_sort_config_selectorIllEEZNS1_25segmented_radix_sort_implIS3_Lb1EPKlPlS8_S9_N2at6native12_GLOBAL__N_18offset_tEEE10hipError_tPvRmT1_PNSt15iterator_traitsISH_E10value_typeET2_T3_PNSI_ISN_E10value_typeET4_jRbjT5_ST_jjP12ihipStream_tbEUlT_E1_NS1_11comp_targetILNS1_3genE10ELNS1_11target_archE1200ELNS1_3gpuE4ELNS1_3repE0EEENS1_59segmented_radix_sort_warp_sort_small_config_static_selectorELNS0_4arch9wavefront6targetE0EEEvSH_.has_indirect_call, 0
	.section	.AMDGPU.csdata,"",@progbits
; Kernel info:
; codeLenInByte = 0
; TotalNumSgprs: 0
; NumVgprs: 0
; ScratchSize: 0
; MemoryBound: 0
; FloatMode: 240
; IeeeMode: 1
; LDSByteSize: 0 bytes/workgroup (compile time only)
; SGPRBlocks: 0
; VGPRBlocks: 0
; NumSGPRsForWavesPerEU: 1
; NumVGPRsForWavesPerEU: 1
; Occupancy: 16
; WaveLimiterHint : 0
; COMPUTE_PGM_RSRC2:SCRATCH_EN: 0
; COMPUTE_PGM_RSRC2:USER_SGPR: 2
; COMPUTE_PGM_RSRC2:TRAP_HANDLER: 0
; COMPUTE_PGM_RSRC2:TGID_X_EN: 1
; COMPUTE_PGM_RSRC2:TGID_Y_EN: 0
; COMPUTE_PGM_RSRC2:TGID_Z_EN: 0
; COMPUTE_PGM_RSRC2:TIDIG_COMP_CNT: 0
	.section	.text._ZN7rocprim17ROCPRIM_400000_NS6detail17trampoline_kernelINS0_14default_configENS1_36segmented_radix_sort_config_selectorIllEEZNS1_25segmented_radix_sort_implIS3_Lb1EPKlPlS8_S9_N2at6native12_GLOBAL__N_18offset_tEEE10hipError_tPvRmT1_PNSt15iterator_traitsISH_E10value_typeET2_T3_PNSI_ISN_E10value_typeET4_jRbjT5_ST_jjP12ihipStream_tbEUlT_E1_NS1_11comp_targetILNS1_3genE9ELNS1_11target_archE1100ELNS1_3gpuE3ELNS1_3repE0EEENS1_59segmented_radix_sort_warp_sort_small_config_static_selectorELNS0_4arch9wavefront6targetE0EEEvSH_,"axG",@progbits,_ZN7rocprim17ROCPRIM_400000_NS6detail17trampoline_kernelINS0_14default_configENS1_36segmented_radix_sort_config_selectorIllEEZNS1_25segmented_radix_sort_implIS3_Lb1EPKlPlS8_S9_N2at6native12_GLOBAL__N_18offset_tEEE10hipError_tPvRmT1_PNSt15iterator_traitsISH_E10value_typeET2_T3_PNSI_ISN_E10value_typeET4_jRbjT5_ST_jjP12ihipStream_tbEUlT_E1_NS1_11comp_targetILNS1_3genE9ELNS1_11target_archE1100ELNS1_3gpuE3ELNS1_3repE0EEENS1_59segmented_radix_sort_warp_sort_small_config_static_selectorELNS0_4arch9wavefront6targetE0EEEvSH_,comdat
	.globl	_ZN7rocprim17ROCPRIM_400000_NS6detail17trampoline_kernelINS0_14default_configENS1_36segmented_radix_sort_config_selectorIllEEZNS1_25segmented_radix_sort_implIS3_Lb1EPKlPlS8_S9_N2at6native12_GLOBAL__N_18offset_tEEE10hipError_tPvRmT1_PNSt15iterator_traitsISH_E10value_typeET2_T3_PNSI_ISN_E10value_typeET4_jRbjT5_ST_jjP12ihipStream_tbEUlT_E1_NS1_11comp_targetILNS1_3genE9ELNS1_11target_archE1100ELNS1_3gpuE3ELNS1_3repE0EEENS1_59segmented_radix_sort_warp_sort_small_config_static_selectorELNS0_4arch9wavefront6targetE0EEEvSH_ ; -- Begin function _ZN7rocprim17ROCPRIM_400000_NS6detail17trampoline_kernelINS0_14default_configENS1_36segmented_radix_sort_config_selectorIllEEZNS1_25segmented_radix_sort_implIS3_Lb1EPKlPlS8_S9_N2at6native12_GLOBAL__N_18offset_tEEE10hipError_tPvRmT1_PNSt15iterator_traitsISH_E10value_typeET2_T3_PNSI_ISN_E10value_typeET4_jRbjT5_ST_jjP12ihipStream_tbEUlT_E1_NS1_11comp_targetILNS1_3genE9ELNS1_11target_archE1100ELNS1_3gpuE3ELNS1_3repE0EEENS1_59segmented_radix_sort_warp_sort_small_config_static_selectorELNS0_4arch9wavefront6targetE0EEEvSH_
	.p2align	8
	.type	_ZN7rocprim17ROCPRIM_400000_NS6detail17trampoline_kernelINS0_14default_configENS1_36segmented_radix_sort_config_selectorIllEEZNS1_25segmented_radix_sort_implIS3_Lb1EPKlPlS8_S9_N2at6native12_GLOBAL__N_18offset_tEEE10hipError_tPvRmT1_PNSt15iterator_traitsISH_E10value_typeET2_T3_PNSI_ISN_E10value_typeET4_jRbjT5_ST_jjP12ihipStream_tbEUlT_E1_NS1_11comp_targetILNS1_3genE9ELNS1_11target_archE1100ELNS1_3gpuE3ELNS1_3repE0EEENS1_59segmented_radix_sort_warp_sort_small_config_static_selectorELNS0_4arch9wavefront6targetE0EEEvSH_,@function
_ZN7rocprim17ROCPRIM_400000_NS6detail17trampoline_kernelINS0_14default_configENS1_36segmented_radix_sort_config_selectorIllEEZNS1_25segmented_radix_sort_implIS3_Lb1EPKlPlS8_S9_N2at6native12_GLOBAL__N_18offset_tEEE10hipError_tPvRmT1_PNSt15iterator_traitsISH_E10value_typeET2_T3_PNSI_ISN_E10value_typeET4_jRbjT5_ST_jjP12ihipStream_tbEUlT_E1_NS1_11comp_targetILNS1_3genE9ELNS1_11target_archE1100ELNS1_3gpuE3ELNS1_3repE0EEENS1_59segmented_radix_sort_warp_sort_small_config_static_selectorELNS0_4arch9wavefront6targetE0EEEvSH_: ; @_ZN7rocprim17ROCPRIM_400000_NS6detail17trampoline_kernelINS0_14default_configENS1_36segmented_radix_sort_config_selectorIllEEZNS1_25segmented_radix_sort_implIS3_Lb1EPKlPlS8_S9_N2at6native12_GLOBAL__N_18offset_tEEE10hipError_tPvRmT1_PNSt15iterator_traitsISH_E10value_typeET2_T3_PNSI_ISN_E10value_typeET4_jRbjT5_ST_jjP12ihipStream_tbEUlT_E1_NS1_11comp_targetILNS1_3genE9ELNS1_11target_archE1100ELNS1_3gpuE3ELNS1_3repE0EEENS1_59segmented_radix_sort_warp_sort_small_config_static_selectorELNS0_4arch9wavefront6targetE0EEEvSH_
; %bb.0:
	.section	.rodata,"a",@progbits
	.p2align	6, 0x0
	.amdhsa_kernel _ZN7rocprim17ROCPRIM_400000_NS6detail17trampoline_kernelINS0_14default_configENS1_36segmented_radix_sort_config_selectorIllEEZNS1_25segmented_radix_sort_implIS3_Lb1EPKlPlS8_S9_N2at6native12_GLOBAL__N_18offset_tEEE10hipError_tPvRmT1_PNSt15iterator_traitsISH_E10value_typeET2_T3_PNSI_ISN_E10value_typeET4_jRbjT5_ST_jjP12ihipStream_tbEUlT_E1_NS1_11comp_targetILNS1_3genE9ELNS1_11target_archE1100ELNS1_3gpuE3ELNS1_3repE0EEENS1_59segmented_radix_sort_warp_sort_small_config_static_selectorELNS0_4arch9wavefront6targetE0EEEvSH_
		.amdhsa_group_segment_fixed_size 0
		.amdhsa_private_segment_fixed_size 0
		.amdhsa_kernarg_size 88
		.amdhsa_user_sgpr_count 2
		.amdhsa_user_sgpr_dispatch_ptr 0
		.amdhsa_user_sgpr_queue_ptr 0
		.amdhsa_user_sgpr_kernarg_segment_ptr 1
		.amdhsa_user_sgpr_dispatch_id 0
		.amdhsa_user_sgpr_private_segment_size 0
		.amdhsa_wavefront_size32 1
		.amdhsa_uses_dynamic_stack 0
		.amdhsa_enable_private_segment 0
		.amdhsa_system_sgpr_workgroup_id_x 1
		.amdhsa_system_sgpr_workgroup_id_y 0
		.amdhsa_system_sgpr_workgroup_id_z 0
		.amdhsa_system_sgpr_workgroup_info 0
		.amdhsa_system_vgpr_workitem_id 0
		.amdhsa_next_free_vgpr 1
		.amdhsa_next_free_sgpr 1
		.amdhsa_reserve_vcc 0
		.amdhsa_float_round_mode_32 0
		.amdhsa_float_round_mode_16_64 0
		.amdhsa_float_denorm_mode_32 3
		.amdhsa_float_denorm_mode_16_64 3
		.amdhsa_fp16_overflow 0
		.amdhsa_workgroup_processor_mode 1
		.amdhsa_memory_ordered 1
		.amdhsa_forward_progress 1
		.amdhsa_inst_pref_size 0
		.amdhsa_round_robin_scheduling 0
		.amdhsa_exception_fp_ieee_invalid_op 0
		.amdhsa_exception_fp_denorm_src 0
		.amdhsa_exception_fp_ieee_div_zero 0
		.amdhsa_exception_fp_ieee_overflow 0
		.amdhsa_exception_fp_ieee_underflow 0
		.amdhsa_exception_fp_ieee_inexact 0
		.amdhsa_exception_int_div_zero 0
	.end_amdhsa_kernel
	.section	.text._ZN7rocprim17ROCPRIM_400000_NS6detail17trampoline_kernelINS0_14default_configENS1_36segmented_radix_sort_config_selectorIllEEZNS1_25segmented_radix_sort_implIS3_Lb1EPKlPlS8_S9_N2at6native12_GLOBAL__N_18offset_tEEE10hipError_tPvRmT1_PNSt15iterator_traitsISH_E10value_typeET2_T3_PNSI_ISN_E10value_typeET4_jRbjT5_ST_jjP12ihipStream_tbEUlT_E1_NS1_11comp_targetILNS1_3genE9ELNS1_11target_archE1100ELNS1_3gpuE3ELNS1_3repE0EEENS1_59segmented_radix_sort_warp_sort_small_config_static_selectorELNS0_4arch9wavefront6targetE0EEEvSH_,"axG",@progbits,_ZN7rocprim17ROCPRIM_400000_NS6detail17trampoline_kernelINS0_14default_configENS1_36segmented_radix_sort_config_selectorIllEEZNS1_25segmented_radix_sort_implIS3_Lb1EPKlPlS8_S9_N2at6native12_GLOBAL__N_18offset_tEEE10hipError_tPvRmT1_PNSt15iterator_traitsISH_E10value_typeET2_T3_PNSI_ISN_E10value_typeET4_jRbjT5_ST_jjP12ihipStream_tbEUlT_E1_NS1_11comp_targetILNS1_3genE9ELNS1_11target_archE1100ELNS1_3gpuE3ELNS1_3repE0EEENS1_59segmented_radix_sort_warp_sort_small_config_static_selectorELNS0_4arch9wavefront6targetE0EEEvSH_,comdat
.Lfunc_end732:
	.size	_ZN7rocprim17ROCPRIM_400000_NS6detail17trampoline_kernelINS0_14default_configENS1_36segmented_radix_sort_config_selectorIllEEZNS1_25segmented_radix_sort_implIS3_Lb1EPKlPlS8_S9_N2at6native12_GLOBAL__N_18offset_tEEE10hipError_tPvRmT1_PNSt15iterator_traitsISH_E10value_typeET2_T3_PNSI_ISN_E10value_typeET4_jRbjT5_ST_jjP12ihipStream_tbEUlT_E1_NS1_11comp_targetILNS1_3genE9ELNS1_11target_archE1100ELNS1_3gpuE3ELNS1_3repE0EEENS1_59segmented_radix_sort_warp_sort_small_config_static_selectorELNS0_4arch9wavefront6targetE0EEEvSH_, .Lfunc_end732-_ZN7rocprim17ROCPRIM_400000_NS6detail17trampoline_kernelINS0_14default_configENS1_36segmented_radix_sort_config_selectorIllEEZNS1_25segmented_radix_sort_implIS3_Lb1EPKlPlS8_S9_N2at6native12_GLOBAL__N_18offset_tEEE10hipError_tPvRmT1_PNSt15iterator_traitsISH_E10value_typeET2_T3_PNSI_ISN_E10value_typeET4_jRbjT5_ST_jjP12ihipStream_tbEUlT_E1_NS1_11comp_targetILNS1_3genE9ELNS1_11target_archE1100ELNS1_3gpuE3ELNS1_3repE0EEENS1_59segmented_radix_sort_warp_sort_small_config_static_selectorELNS0_4arch9wavefront6targetE0EEEvSH_
                                        ; -- End function
	.set _ZN7rocprim17ROCPRIM_400000_NS6detail17trampoline_kernelINS0_14default_configENS1_36segmented_radix_sort_config_selectorIllEEZNS1_25segmented_radix_sort_implIS3_Lb1EPKlPlS8_S9_N2at6native12_GLOBAL__N_18offset_tEEE10hipError_tPvRmT1_PNSt15iterator_traitsISH_E10value_typeET2_T3_PNSI_ISN_E10value_typeET4_jRbjT5_ST_jjP12ihipStream_tbEUlT_E1_NS1_11comp_targetILNS1_3genE9ELNS1_11target_archE1100ELNS1_3gpuE3ELNS1_3repE0EEENS1_59segmented_radix_sort_warp_sort_small_config_static_selectorELNS0_4arch9wavefront6targetE0EEEvSH_.num_vgpr, 0
	.set _ZN7rocprim17ROCPRIM_400000_NS6detail17trampoline_kernelINS0_14default_configENS1_36segmented_radix_sort_config_selectorIllEEZNS1_25segmented_radix_sort_implIS3_Lb1EPKlPlS8_S9_N2at6native12_GLOBAL__N_18offset_tEEE10hipError_tPvRmT1_PNSt15iterator_traitsISH_E10value_typeET2_T3_PNSI_ISN_E10value_typeET4_jRbjT5_ST_jjP12ihipStream_tbEUlT_E1_NS1_11comp_targetILNS1_3genE9ELNS1_11target_archE1100ELNS1_3gpuE3ELNS1_3repE0EEENS1_59segmented_radix_sort_warp_sort_small_config_static_selectorELNS0_4arch9wavefront6targetE0EEEvSH_.num_agpr, 0
	.set _ZN7rocprim17ROCPRIM_400000_NS6detail17trampoline_kernelINS0_14default_configENS1_36segmented_radix_sort_config_selectorIllEEZNS1_25segmented_radix_sort_implIS3_Lb1EPKlPlS8_S9_N2at6native12_GLOBAL__N_18offset_tEEE10hipError_tPvRmT1_PNSt15iterator_traitsISH_E10value_typeET2_T3_PNSI_ISN_E10value_typeET4_jRbjT5_ST_jjP12ihipStream_tbEUlT_E1_NS1_11comp_targetILNS1_3genE9ELNS1_11target_archE1100ELNS1_3gpuE3ELNS1_3repE0EEENS1_59segmented_radix_sort_warp_sort_small_config_static_selectorELNS0_4arch9wavefront6targetE0EEEvSH_.numbered_sgpr, 0
	.set _ZN7rocprim17ROCPRIM_400000_NS6detail17trampoline_kernelINS0_14default_configENS1_36segmented_radix_sort_config_selectorIllEEZNS1_25segmented_radix_sort_implIS3_Lb1EPKlPlS8_S9_N2at6native12_GLOBAL__N_18offset_tEEE10hipError_tPvRmT1_PNSt15iterator_traitsISH_E10value_typeET2_T3_PNSI_ISN_E10value_typeET4_jRbjT5_ST_jjP12ihipStream_tbEUlT_E1_NS1_11comp_targetILNS1_3genE9ELNS1_11target_archE1100ELNS1_3gpuE3ELNS1_3repE0EEENS1_59segmented_radix_sort_warp_sort_small_config_static_selectorELNS0_4arch9wavefront6targetE0EEEvSH_.num_named_barrier, 0
	.set _ZN7rocprim17ROCPRIM_400000_NS6detail17trampoline_kernelINS0_14default_configENS1_36segmented_radix_sort_config_selectorIllEEZNS1_25segmented_radix_sort_implIS3_Lb1EPKlPlS8_S9_N2at6native12_GLOBAL__N_18offset_tEEE10hipError_tPvRmT1_PNSt15iterator_traitsISH_E10value_typeET2_T3_PNSI_ISN_E10value_typeET4_jRbjT5_ST_jjP12ihipStream_tbEUlT_E1_NS1_11comp_targetILNS1_3genE9ELNS1_11target_archE1100ELNS1_3gpuE3ELNS1_3repE0EEENS1_59segmented_radix_sort_warp_sort_small_config_static_selectorELNS0_4arch9wavefront6targetE0EEEvSH_.private_seg_size, 0
	.set _ZN7rocprim17ROCPRIM_400000_NS6detail17trampoline_kernelINS0_14default_configENS1_36segmented_radix_sort_config_selectorIllEEZNS1_25segmented_radix_sort_implIS3_Lb1EPKlPlS8_S9_N2at6native12_GLOBAL__N_18offset_tEEE10hipError_tPvRmT1_PNSt15iterator_traitsISH_E10value_typeET2_T3_PNSI_ISN_E10value_typeET4_jRbjT5_ST_jjP12ihipStream_tbEUlT_E1_NS1_11comp_targetILNS1_3genE9ELNS1_11target_archE1100ELNS1_3gpuE3ELNS1_3repE0EEENS1_59segmented_radix_sort_warp_sort_small_config_static_selectorELNS0_4arch9wavefront6targetE0EEEvSH_.uses_vcc, 0
	.set _ZN7rocprim17ROCPRIM_400000_NS6detail17trampoline_kernelINS0_14default_configENS1_36segmented_radix_sort_config_selectorIllEEZNS1_25segmented_radix_sort_implIS3_Lb1EPKlPlS8_S9_N2at6native12_GLOBAL__N_18offset_tEEE10hipError_tPvRmT1_PNSt15iterator_traitsISH_E10value_typeET2_T3_PNSI_ISN_E10value_typeET4_jRbjT5_ST_jjP12ihipStream_tbEUlT_E1_NS1_11comp_targetILNS1_3genE9ELNS1_11target_archE1100ELNS1_3gpuE3ELNS1_3repE0EEENS1_59segmented_radix_sort_warp_sort_small_config_static_selectorELNS0_4arch9wavefront6targetE0EEEvSH_.uses_flat_scratch, 0
	.set _ZN7rocprim17ROCPRIM_400000_NS6detail17trampoline_kernelINS0_14default_configENS1_36segmented_radix_sort_config_selectorIllEEZNS1_25segmented_radix_sort_implIS3_Lb1EPKlPlS8_S9_N2at6native12_GLOBAL__N_18offset_tEEE10hipError_tPvRmT1_PNSt15iterator_traitsISH_E10value_typeET2_T3_PNSI_ISN_E10value_typeET4_jRbjT5_ST_jjP12ihipStream_tbEUlT_E1_NS1_11comp_targetILNS1_3genE9ELNS1_11target_archE1100ELNS1_3gpuE3ELNS1_3repE0EEENS1_59segmented_radix_sort_warp_sort_small_config_static_selectorELNS0_4arch9wavefront6targetE0EEEvSH_.has_dyn_sized_stack, 0
	.set _ZN7rocprim17ROCPRIM_400000_NS6detail17trampoline_kernelINS0_14default_configENS1_36segmented_radix_sort_config_selectorIllEEZNS1_25segmented_radix_sort_implIS3_Lb1EPKlPlS8_S9_N2at6native12_GLOBAL__N_18offset_tEEE10hipError_tPvRmT1_PNSt15iterator_traitsISH_E10value_typeET2_T3_PNSI_ISN_E10value_typeET4_jRbjT5_ST_jjP12ihipStream_tbEUlT_E1_NS1_11comp_targetILNS1_3genE9ELNS1_11target_archE1100ELNS1_3gpuE3ELNS1_3repE0EEENS1_59segmented_radix_sort_warp_sort_small_config_static_selectorELNS0_4arch9wavefront6targetE0EEEvSH_.has_recursion, 0
	.set _ZN7rocprim17ROCPRIM_400000_NS6detail17trampoline_kernelINS0_14default_configENS1_36segmented_radix_sort_config_selectorIllEEZNS1_25segmented_radix_sort_implIS3_Lb1EPKlPlS8_S9_N2at6native12_GLOBAL__N_18offset_tEEE10hipError_tPvRmT1_PNSt15iterator_traitsISH_E10value_typeET2_T3_PNSI_ISN_E10value_typeET4_jRbjT5_ST_jjP12ihipStream_tbEUlT_E1_NS1_11comp_targetILNS1_3genE9ELNS1_11target_archE1100ELNS1_3gpuE3ELNS1_3repE0EEENS1_59segmented_radix_sort_warp_sort_small_config_static_selectorELNS0_4arch9wavefront6targetE0EEEvSH_.has_indirect_call, 0
	.section	.AMDGPU.csdata,"",@progbits
; Kernel info:
; codeLenInByte = 0
; TotalNumSgprs: 0
; NumVgprs: 0
; ScratchSize: 0
; MemoryBound: 0
; FloatMode: 240
; IeeeMode: 1
; LDSByteSize: 0 bytes/workgroup (compile time only)
; SGPRBlocks: 0
; VGPRBlocks: 0
; NumSGPRsForWavesPerEU: 1
; NumVGPRsForWavesPerEU: 1
; Occupancy: 16
; WaveLimiterHint : 0
; COMPUTE_PGM_RSRC2:SCRATCH_EN: 0
; COMPUTE_PGM_RSRC2:USER_SGPR: 2
; COMPUTE_PGM_RSRC2:TRAP_HANDLER: 0
; COMPUTE_PGM_RSRC2:TGID_X_EN: 1
; COMPUTE_PGM_RSRC2:TGID_Y_EN: 0
; COMPUTE_PGM_RSRC2:TGID_Z_EN: 0
; COMPUTE_PGM_RSRC2:TIDIG_COMP_CNT: 0
	.section	.text._ZN7rocprim17ROCPRIM_400000_NS6detail17trampoline_kernelINS0_14default_configENS1_36segmented_radix_sort_config_selectorIllEEZNS1_25segmented_radix_sort_implIS3_Lb1EPKlPlS8_S9_N2at6native12_GLOBAL__N_18offset_tEEE10hipError_tPvRmT1_PNSt15iterator_traitsISH_E10value_typeET2_T3_PNSI_ISN_E10value_typeET4_jRbjT5_ST_jjP12ihipStream_tbEUlT_E1_NS1_11comp_targetILNS1_3genE8ELNS1_11target_archE1030ELNS1_3gpuE2ELNS1_3repE0EEENS1_59segmented_radix_sort_warp_sort_small_config_static_selectorELNS0_4arch9wavefront6targetE0EEEvSH_,"axG",@progbits,_ZN7rocprim17ROCPRIM_400000_NS6detail17trampoline_kernelINS0_14default_configENS1_36segmented_radix_sort_config_selectorIllEEZNS1_25segmented_radix_sort_implIS3_Lb1EPKlPlS8_S9_N2at6native12_GLOBAL__N_18offset_tEEE10hipError_tPvRmT1_PNSt15iterator_traitsISH_E10value_typeET2_T3_PNSI_ISN_E10value_typeET4_jRbjT5_ST_jjP12ihipStream_tbEUlT_E1_NS1_11comp_targetILNS1_3genE8ELNS1_11target_archE1030ELNS1_3gpuE2ELNS1_3repE0EEENS1_59segmented_radix_sort_warp_sort_small_config_static_selectorELNS0_4arch9wavefront6targetE0EEEvSH_,comdat
	.globl	_ZN7rocprim17ROCPRIM_400000_NS6detail17trampoline_kernelINS0_14default_configENS1_36segmented_radix_sort_config_selectorIllEEZNS1_25segmented_radix_sort_implIS3_Lb1EPKlPlS8_S9_N2at6native12_GLOBAL__N_18offset_tEEE10hipError_tPvRmT1_PNSt15iterator_traitsISH_E10value_typeET2_T3_PNSI_ISN_E10value_typeET4_jRbjT5_ST_jjP12ihipStream_tbEUlT_E1_NS1_11comp_targetILNS1_3genE8ELNS1_11target_archE1030ELNS1_3gpuE2ELNS1_3repE0EEENS1_59segmented_radix_sort_warp_sort_small_config_static_selectorELNS0_4arch9wavefront6targetE0EEEvSH_ ; -- Begin function _ZN7rocprim17ROCPRIM_400000_NS6detail17trampoline_kernelINS0_14default_configENS1_36segmented_radix_sort_config_selectorIllEEZNS1_25segmented_radix_sort_implIS3_Lb1EPKlPlS8_S9_N2at6native12_GLOBAL__N_18offset_tEEE10hipError_tPvRmT1_PNSt15iterator_traitsISH_E10value_typeET2_T3_PNSI_ISN_E10value_typeET4_jRbjT5_ST_jjP12ihipStream_tbEUlT_E1_NS1_11comp_targetILNS1_3genE8ELNS1_11target_archE1030ELNS1_3gpuE2ELNS1_3repE0EEENS1_59segmented_radix_sort_warp_sort_small_config_static_selectorELNS0_4arch9wavefront6targetE0EEEvSH_
	.p2align	8
	.type	_ZN7rocprim17ROCPRIM_400000_NS6detail17trampoline_kernelINS0_14default_configENS1_36segmented_radix_sort_config_selectorIllEEZNS1_25segmented_radix_sort_implIS3_Lb1EPKlPlS8_S9_N2at6native12_GLOBAL__N_18offset_tEEE10hipError_tPvRmT1_PNSt15iterator_traitsISH_E10value_typeET2_T3_PNSI_ISN_E10value_typeET4_jRbjT5_ST_jjP12ihipStream_tbEUlT_E1_NS1_11comp_targetILNS1_3genE8ELNS1_11target_archE1030ELNS1_3gpuE2ELNS1_3repE0EEENS1_59segmented_radix_sort_warp_sort_small_config_static_selectorELNS0_4arch9wavefront6targetE0EEEvSH_,@function
_ZN7rocprim17ROCPRIM_400000_NS6detail17trampoline_kernelINS0_14default_configENS1_36segmented_radix_sort_config_selectorIllEEZNS1_25segmented_radix_sort_implIS3_Lb1EPKlPlS8_S9_N2at6native12_GLOBAL__N_18offset_tEEE10hipError_tPvRmT1_PNSt15iterator_traitsISH_E10value_typeET2_T3_PNSI_ISN_E10value_typeET4_jRbjT5_ST_jjP12ihipStream_tbEUlT_E1_NS1_11comp_targetILNS1_3genE8ELNS1_11target_archE1030ELNS1_3gpuE2ELNS1_3repE0EEENS1_59segmented_radix_sort_warp_sort_small_config_static_selectorELNS0_4arch9wavefront6targetE0EEEvSH_: ; @_ZN7rocprim17ROCPRIM_400000_NS6detail17trampoline_kernelINS0_14default_configENS1_36segmented_radix_sort_config_selectorIllEEZNS1_25segmented_radix_sort_implIS3_Lb1EPKlPlS8_S9_N2at6native12_GLOBAL__N_18offset_tEEE10hipError_tPvRmT1_PNSt15iterator_traitsISH_E10value_typeET2_T3_PNSI_ISN_E10value_typeET4_jRbjT5_ST_jjP12ihipStream_tbEUlT_E1_NS1_11comp_targetILNS1_3genE8ELNS1_11target_archE1030ELNS1_3gpuE2ELNS1_3repE0EEENS1_59segmented_radix_sort_warp_sort_small_config_static_selectorELNS0_4arch9wavefront6targetE0EEEvSH_
; %bb.0:
	.section	.rodata,"a",@progbits
	.p2align	6, 0x0
	.amdhsa_kernel _ZN7rocprim17ROCPRIM_400000_NS6detail17trampoline_kernelINS0_14default_configENS1_36segmented_radix_sort_config_selectorIllEEZNS1_25segmented_radix_sort_implIS3_Lb1EPKlPlS8_S9_N2at6native12_GLOBAL__N_18offset_tEEE10hipError_tPvRmT1_PNSt15iterator_traitsISH_E10value_typeET2_T3_PNSI_ISN_E10value_typeET4_jRbjT5_ST_jjP12ihipStream_tbEUlT_E1_NS1_11comp_targetILNS1_3genE8ELNS1_11target_archE1030ELNS1_3gpuE2ELNS1_3repE0EEENS1_59segmented_radix_sort_warp_sort_small_config_static_selectorELNS0_4arch9wavefront6targetE0EEEvSH_
		.amdhsa_group_segment_fixed_size 0
		.amdhsa_private_segment_fixed_size 0
		.amdhsa_kernarg_size 88
		.amdhsa_user_sgpr_count 2
		.amdhsa_user_sgpr_dispatch_ptr 0
		.amdhsa_user_sgpr_queue_ptr 0
		.amdhsa_user_sgpr_kernarg_segment_ptr 1
		.amdhsa_user_sgpr_dispatch_id 0
		.amdhsa_user_sgpr_private_segment_size 0
		.amdhsa_wavefront_size32 1
		.amdhsa_uses_dynamic_stack 0
		.amdhsa_enable_private_segment 0
		.amdhsa_system_sgpr_workgroup_id_x 1
		.amdhsa_system_sgpr_workgroup_id_y 0
		.amdhsa_system_sgpr_workgroup_id_z 0
		.amdhsa_system_sgpr_workgroup_info 0
		.amdhsa_system_vgpr_workitem_id 0
		.amdhsa_next_free_vgpr 1
		.amdhsa_next_free_sgpr 1
		.amdhsa_reserve_vcc 0
		.amdhsa_float_round_mode_32 0
		.amdhsa_float_round_mode_16_64 0
		.amdhsa_float_denorm_mode_32 3
		.amdhsa_float_denorm_mode_16_64 3
		.amdhsa_fp16_overflow 0
		.amdhsa_workgroup_processor_mode 1
		.amdhsa_memory_ordered 1
		.amdhsa_forward_progress 1
		.amdhsa_inst_pref_size 0
		.amdhsa_round_robin_scheduling 0
		.amdhsa_exception_fp_ieee_invalid_op 0
		.amdhsa_exception_fp_denorm_src 0
		.amdhsa_exception_fp_ieee_div_zero 0
		.amdhsa_exception_fp_ieee_overflow 0
		.amdhsa_exception_fp_ieee_underflow 0
		.amdhsa_exception_fp_ieee_inexact 0
		.amdhsa_exception_int_div_zero 0
	.end_amdhsa_kernel
	.section	.text._ZN7rocprim17ROCPRIM_400000_NS6detail17trampoline_kernelINS0_14default_configENS1_36segmented_radix_sort_config_selectorIllEEZNS1_25segmented_radix_sort_implIS3_Lb1EPKlPlS8_S9_N2at6native12_GLOBAL__N_18offset_tEEE10hipError_tPvRmT1_PNSt15iterator_traitsISH_E10value_typeET2_T3_PNSI_ISN_E10value_typeET4_jRbjT5_ST_jjP12ihipStream_tbEUlT_E1_NS1_11comp_targetILNS1_3genE8ELNS1_11target_archE1030ELNS1_3gpuE2ELNS1_3repE0EEENS1_59segmented_radix_sort_warp_sort_small_config_static_selectorELNS0_4arch9wavefront6targetE0EEEvSH_,"axG",@progbits,_ZN7rocprim17ROCPRIM_400000_NS6detail17trampoline_kernelINS0_14default_configENS1_36segmented_radix_sort_config_selectorIllEEZNS1_25segmented_radix_sort_implIS3_Lb1EPKlPlS8_S9_N2at6native12_GLOBAL__N_18offset_tEEE10hipError_tPvRmT1_PNSt15iterator_traitsISH_E10value_typeET2_T3_PNSI_ISN_E10value_typeET4_jRbjT5_ST_jjP12ihipStream_tbEUlT_E1_NS1_11comp_targetILNS1_3genE8ELNS1_11target_archE1030ELNS1_3gpuE2ELNS1_3repE0EEENS1_59segmented_radix_sort_warp_sort_small_config_static_selectorELNS0_4arch9wavefront6targetE0EEEvSH_,comdat
.Lfunc_end733:
	.size	_ZN7rocprim17ROCPRIM_400000_NS6detail17trampoline_kernelINS0_14default_configENS1_36segmented_radix_sort_config_selectorIllEEZNS1_25segmented_radix_sort_implIS3_Lb1EPKlPlS8_S9_N2at6native12_GLOBAL__N_18offset_tEEE10hipError_tPvRmT1_PNSt15iterator_traitsISH_E10value_typeET2_T3_PNSI_ISN_E10value_typeET4_jRbjT5_ST_jjP12ihipStream_tbEUlT_E1_NS1_11comp_targetILNS1_3genE8ELNS1_11target_archE1030ELNS1_3gpuE2ELNS1_3repE0EEENS1_59segmented_radix_sort_warp_sort_small_config_static_selectorELNS0_4arch9wavefront6targetE0EEEvSH_, .Lfunc_end733-_ZN7rocprim17ROCPRIM_400000_NS6detail17trampoline_kernelINS0_14default_configENS1_36segmented_radix_sort_config_selectorIllEEZNS1_25segmented_radix_sort_implIS3_Lb1EPKlPlS8_S9_N2at6native12_GLOBAL__N_18offset_tEEE10hipError_tPvRmT1_PNSt15iterator_traitsISH_E10value_typeET2_T3_PNSI_ISN_E10value_typeET4_jRbjT5_ST_jjP12ihipStream_tbEUlT_E1_NS1_11comp_targetILNS1_3genE8ELNS1_11target_archE1030ELNS1_3gpuE2ELNS1_3repE0EEENS1_59segmented_radix_sort_warp_sort_small_config_static_selectorELNS0_4arch9wavefront6targetE0EEEvSH_
                                        ; -- End function
	.set _ZN7rocprim17ROCPRIM_400000_NS6detail17trampoline_kernelINS0_14default_configENS1_36segmented_radix_sort_config_selectorIllEEZNS1_25segmented_radix_sort_implIS3_Lb1EPKlPlS8_S9_N2at6native12_GLOBAL__N_18offset_tEEE10hipError_tPvRmT1_PNSt15iterator_traitsISH_E10value_typeET2_T3_PNSI_ISN_E10value_typeET4_jRbjT5_ST_jjP12ihipStream_tbEUlT_E1_NS1_11comp_targetILNS1_3genE8ELNS1_11target_archE1030ELNS1_3gpuE2ELNS1_3repE0EEENS1_59segmented_radix_sort_warp_sort_small_config_static_selectorELNS0_4arch9wavefront6targetE0EEEvSH_.num_vgpr, 0
	.set _ZN7rocprim17ROCPRIM_400000_NS6detail17trampoline_kernelINS0_14default_configENS1_36segmented_radix_sort_config_selectorIllEEZNS1_25segmented_radix_sort_implIS3_Lb1EPKlPlS8_S9_N2at6native12_GLOBAL__N_18offset_tEEE10hipError_tPvRmT1_PNSt15iterator_traitsISH_E10value_typeET2_T3_PNSI_ISN_E10value_typeET4_jRbjT5_ST_jjP12ihipStream_tbEUlT_E1_NS1_11comp_targetILNS1_3genE8ELNS1_11target_archE1030ELNS1_3gpuE2ELNS1_3repE0EEENS1_59segmented_radix_sort_warp_sort_small_config_static_selectorELNS0_4arch9wavefront6targetE0EEEvSH_.num_agpr, 0
	.set _ZN7rocprim17ROCPRIM_400000_NS6detail17trampoline_kernelINS0_14default_configENS1_36segmented_radix_sort_config_selectorIllEEZNS1_25segmented_radix_sort_implIS3_Lb1EPKlPlS8_S9_N2at6native12_GLOBAL__N_18offset_tEEE10hipError_tPvRmT1_PNSt15iterator_traitsISH_E10value_typeET2_T3_PNSI_ISN_E10value_typeET4_jRbjT5_ST_jjP12ihipStream_tbEUlT_E1_NS1_11comp_targetILNS1_3genE8ELNS1_11target_archE1030ELNS1_3gpuE2ELNS1_3repE0EEENS1_59segmented_radix_sort_warp_sort_small_config_static_selectorELNS0_4arch9wavefront6targetE0EEEvSH_.numbered_sgpr, 0
	.set _ZN7rocprim17ROCPRIM_400000_NS6detail17trampoline_kernelINS0_14default_configENS1_36segmented_radix_sort_config_selectorIllEEZNS1_25segmented_radix_sort_implIS3_Lb1EPKlPlS8_S9_N2at6native12_GLOBAL__N_18offset_tEEE10hipError_tPvRmT1_PNSt15iterator_traitsISH_E10value_typeET2_T3_PNSI_ISN_E10value_typeET4_jRbjT5_ST_jjP12ihipStream_tbEUlT_E1_NS1_11comp_targetILNS1_3genE8ELNS1_11target_archE1030ELNS1_3gpuE2ELNS1_3repE0EEENS1_59segmented_radix_sort_warp_sort_small_config_static_selectorELNS0_4arch9wavefront6targetE0EEEvSH_.num_named_barrier, 0
	.set _ZN7rocprim17ROCPRIM_400000_NS6detail17trampoline_kernelINS0_14default_configENS1_36segmented_radix_sort_config_selectorIllEEZNS1_25segmented_radix_sort_implIS3_Lb1EPKlPlS8_S9_N2at6native12_GLOBAL__N_18offset_tEEE10hipError_tPvRmT1_PNSt15iterator_traitsISH_E10value_typeET2_T3_PNSI_ISN_E10value_typeET4_jRbjT5_ST_jjP12ihipStream_tbEUlT_E1_NS1_11comp_targetILNS1_3genE8ELNS1_11target_archE1030ELNS1_3gpuE2ELNS1_3repE0EEENS1_59segmented_radix_sort_warp_sort_small_config_static_selectorELNS0_4arch9wavefront6targetE0EEEvSH_.private_seg_size, 0
	.set _ZN7rocprim17ROCPRIM_400000_NS6detail17trampoline_kernelINS0_14default_configENS1_36segmented_radix_sort_config_selectorIllEEZNS1_25segmented_radix_sort_implIS3_Lb1EPKlPlS8_S9_N2at6native12_GLOBAL__N_18offset_tEEE10hipError_tPvRmT1_PNSt15iterator_traitsISH_E10value_typeET2_T3_PNSI_ISN_E10value_typeET4_jRbjT5_ST_jjP12ihipStream_tbEUlT_E1_NS1_11comp_targetILNS1_3genE8ELNS1_11target_archE1030ELNS1_3gpuE2ELNS1_3repE0EEENS1_59segmented_radix_sort_warp_sort_small_config_static_selectorELNS0_4arch9wavefront6targetE0EEEvSH_.uses_vcc, 0
	.set _ZN7rocprim17ROCPRIM_400000_NS6detail17trampoline_kernelINS0_14default_configENS1_36segmented_radix_sort_config_selectorIllEEZNS1_25segmented_radix_sort_implIS3_Lb1EPKlPlS8_S9_N2at6native12_GLOBAL__N_18offset_tEEE10hipError_tPvRmT1_PNSt15iterator_traitsISH_E10value_typeET2_T3_PNSI_ISN_E10value_typeET4_jRbjT5_ST_jjP12ihipStream_tbEUlT_E1_NS1_11comp_targetILNS1_3genE8ELNS1_11target_archE1030ELNS1_3gpuE2ELNS1_3repE0EEENS1_59segmented_radix_sort_warp_sort_small_config_static_selectorELNS0_4arch9wavefront6targetE0EEEvSH_.uses_flat_scratch, 0
	.set _ZN7rocprim17ROCPRIM_400000_NS6detail17trampoline_kernelINS0_14default_configENS1_36segmented_radix_sort_config_selectorIllEEZNS1_25segmented_radix_sort_implIS3_Lb1EPKlPlS8_S9_N2at6native12_GLOBAL__N_18offset_tEEE10hipError_tPvRmT1_PNSt15iterator_traitsISH_E10value_typeET2_T3_PNSI_ISN_E10value_typeET4_jRbjT5_ST_jjP12ihipStream_tbEUlT_E1_NS1_11comp_targetILNS1_3genE8ELNS1_11target_archE1030ELNS1_3gpuE2ELNS1_3repE0EEENS1_59segmented_radix_sort_warp_sort_small_config_static_selectorELNS0_4arch9wavefront6targetE0EEEvSH_.has_dyn_sized_stack, 0
	.set _ZN7rocprim17ROCPRIM_400000_NS6detail17trampoline_kernelINS0_14default_configENS1_36segmented_radix_sort_config_selectorIllEEZNS1_25segmented_radix_sort_implIS3_Lb1EPKlPlS8_S9_N2at6native12_GLOBAL__N_18offset_tEEE10hipError_tPvRmT1_PNSt15iterator_traitsISH_E10value_typeET2_T3_PNSI_ISN_E10value_typeET4_jRbjT5_ST_jjP12ihipStream_tbEUlT_E1_NS1_11comp_targetILNS1_3genE8ELNS1_11target_archE1030ELNS1_3gpuE2ELNS1_3repE0EEENS1_59segmented_radix_sort_warp_sort_small_config_static_selectorELNS0_4arch9wavefront6targetE0EEEvSH_.has_recursion, 0
	.set _ZN7rocprim17ROCPRIM_400000_NS6detail17trampoline_kernelINS0_14default_configENS1_36segmented_radix_sort_config_selectorIllEEZNS1_25segmented_radix_sort_implIS3_Lb1EPKlPlS8_S9_N2at6native12_GLOBAL__N_18offset_tEEE10hipError_tPvRmT1_PNSt15iterator_traitsISH_E10value_typeET2_T3_PNSI_ISN_E10value_typeET4_jRbjT5_ST_jjP12ihipStream_tbEUlT_E1_NS1_11comp_targetILNS1_3genE8ELNS1_11target_archE1030ELNS1_3gpuE2ELNS1_3repE0EEENS1_59segmented_radix_sort_warp_sort_small_config_static_selectorELNS0_4arch9wavefront6targetE0EEEvSH_.has_indirect_call, 0
	.section	.AMDGPU.csdata,"",@progbits
; Kernel info:
; codeLenInByte = 0
; TotalNumSgprs: 0
; NumVgprs: 0
; ScratchSize: 0
; MemoryBound: 0
; FloatMode: 240
; IeeeMode: 1
; LDSByteSize: 0 bytes/workgroup (compile time only)
; SGPRBlocks: 0
; VGPRBlocks: 0
; NumSGPRsForWavesPerEU: 1
; NumVGPRsForWavesPerEU: 1
; Occupancy: 16
; WaveLimiterHint : 0
; COMPUTE_PGM_RSRC2:SCRATCH_EN: 0
; COMPUTE_PGM_RSRC2:USER_SGPR: 2
; COMPUTE_PGM_RSRC2:TRAP_HANDLER: 0
; COMPUTE_PGM_RSRC2:TGID_X_EN: 1
; COMPUTE_PGM_RSRC2:TGID_Y_EN: 0
; COMPUTE_PGM_RSRC2:TGID_Z_EN: 0
; COMPUTE_PGM_RSRC2:TIDIG_COMP_CNT: 0
	.section	.text._ZN7rocprim17ROCPRIM_400000_NS6detail17trampoline_kernelINS0_14default_configENS1_36segmented_radix_sort_config_selectorIllEEZNS1_25segmented_radix_sort_implIS3_Lb1EPKlPlS8_S9_N2at6native12_GLOBAL__N_18offset_tEEE10hipError_tPvRmT1_PNSt15iterator_traitsISH_E10value_typeET2_T3_PNSI_ISN_E10value_typeET4_jRbjT5_ST_jjP12ihipStream_tbEUlT_E2_NS1_11comp_targetILNS1_3genE0ELNS1_11target_archE4294967295ELNS1_3gpuE0ELNS1_3repE0EEENS1_30default_config_static_selectorELNS0_4arch9wavefront6targetE0EEEvSH_,"axG",@progbits,_ZN7rocprim17ROCPRIM_400000_NS6detail17trampoline_kernelINS0_14default_configENS1_36segmented_radix_sort_config_selectorIllEEZNS1_25segmented_radix_sort_implIS3_Lb1EPKlPlS8_S9_N2at6native12_GLOBAL__N_18offset_tEEE10hipError_tPvRmT1_PNSt15iterator_traitsISH_E10value_typeET2_T3_PNSI_ISN_E10value_typeET4_jRbjT5_ST_jjP12ihipStream_tbEUlT_E2_NS1_11comp_targetILNS1_3genE0ELNS1_11target_archE4294967295ELNS1_3gpuE0ELNS1_3repE0EEENS1_30default_config_static_selectorELNS0_4arch9wavefront6targetE0EEEvSH_,comdat
	.globl	_ZN7rocprim17ROCPRIM_400000_NS6detail17trampoline_kernelINS0_14default_configENS1_36segmented_radix_sort_config_selectorIllEEZNS1_25segmented_radix_sort_implIS3_Lb1EPKlPlS8_S9_N2at6native12_GLOBAL__N_18offset_tEEE10hipError_tPvRmT1_PNSt15iterator_traitsISH_E10value_typeET2_T3_PNSI_ISN_E10value_typeET4_jRbjT5_ST_jjP12ihipStream_tbEUlT_E2_NS1_11comp_targetILNS1_3genE0ELNS1_11target_archE4294967295ELNS1_3gpuE0ELNS1_3repE0EEENS1_30default_config_static_selectorELNS0_4arch9wavefront6targetE0EEEvSH_ ; -- Begin function _ZN7rocprim17ROCPRIM_400000_NS6detail17trampoline_kernelINS0_14default_configENS1_36segmented_radix_sort_config_selectorIllEEZNS1_25segmented_radix_sort_implIS3_Lb1EPKlPlS8_S9_N2at6native12_GLOBAL__N_18offset_tEEE10hipError_tPvRmT1_PNSt15iterator_traitsISH_E10value_typeET2_T3_PNSI_ISN_E10value_typeET4_jRbjT5_ST_jjP12ihipStream_tbEUlT_E2_NS1_11comp_targetILNS1_3genE0ELNS1_11target_archE4294967295ELNS1_3gpuE0ELNS1_3repE0EEENS1_30default_config_static_selectorELNS0_4arch9wavefront6targetE0EEEvSH_
	.p2align	8
	.type	_ZN7rocprim17ROCPRIM_400000_NS6detail17trampoline_kernelINS0_14default_configENS1_36segmented_radix_sort_config_selectorIllEEZNS1_25segmented_radix_sort_implIS3_Lb1EPKlPlS8_S9_N2at6native12_GLOBAL__N_18offset_tEEE10hipError_tPvRmT1_PNSt15iterator_traitsISH_E10value_typeET2_T3_PNSI_ISN_E10value_typeET4_jRbjT5_ST_jjP12ihipStream_tbEUlT_E2_NS1_11comp_targetILNS1_3genE0ELNS1_11target_archE4294967295ELNS1_3gpuE0ELNS1_3repE0EEENS1_30default_config_static_selectorELNS0_4arch9wavefront6targetE0EEEvSH_,@function
_ZN7rocprim17ROCPRIM_400000_NS6detail17trampoline_kernelINS0_14default_configENS1_36segmented_radix_sort_config_selectorIllEEZNS1_25segmented_radix_sort_implIS3_Lb1EPKlPlS8_S9_N2at6native12_GLOBAL__N_18offset_tEEE10hipError_tPvRmT1_PNSt15iterator_traitsISH_E10value_typeET2_T3_PNSI_ISN_E10value_typeET4_jRbjT5_ST_jjP12ihipStream_tbEUlT_E2_NS1_11comp_targetILNS1_3genE0ELNS1_11target_archE4294967295ELNS1_3gpuE0ELNS1_3repE0EEENS1_30default_config_static_selectorELNS0_4arch9wavefront6targetE0EEEvSH_: ; @_ZN7rocprim17ROCPRIM_400000_NS6detail17trampoline_kernelINS0_14default_configENS1_36segmented_radix_sort_config_selectorIllEEZNS1_25segmented_radix_sort_implIS3_Lb1EPKlPlS8_S9_N2at6native12_GLOBAL__N_18offset_tEEE10hipError_tPvRmT1_PNSt15iterator_traitsISH_E10value_typeET2_T3_PNSI_ISN_E10value_typeET4_jRbjT5_ST_jjP12ihipStream_tbEUlT_E2_NS1_11comp_targetILNS1_3genE0ELNS1_11target_archE4294967295ELNS1_3gpuE0ELNS1_3repE0EEENS1_30default_config_static_selectorELNS0_4arch9wavefront6targetE0EEEvSH_
; %bb.0:
	.section	.rodata,"a",@progbits
	.p2align	6, 0x0
	.amdhsa_kernel _ZN7rocprim17ROCPRIM_400000_NS6detail17trampoline_kernelINS0_14default_configENS1_36segmented_radix_sort_config_selectorIllEEZNS1_25segmented_radix_sort_implIS3_Lb1EPKlPlS8_S9_N2at6native12_GLOBAL__N_18offset_tEEE10hipError_tPvRmT1_PNSt15iterator_traitsISH_E10value_typeET2_T3_PNSI_ISN_E10value_typeET4_jRbjT5_ST_jjP12ihipStream_tbEUlT_E2_NS1_11comp_targetILNS1_3genE0ELNS1_11target_archE4294967295ELNS1_3gpuE0ELNS1_3repE0EEENS1_30default_config_static_selectorELNS0_4arch9wavefront6targetE0EEEvSH_
		.amdhsa_group_segment_fixed_size 0
		.amdhsa_private_segment_fixed_size 0
		.amdhsa_kernarg_size 80
		.amdhsa_user_sgpr_count 2
		.amdhsa_user_sgpr_dispatch_ptr 0
		.amdhsa_user_sgpr_queue_ptr 0
		.amdhsa_user_sgpr_kernarg_segment_ptr 1
		.amdhsa_user_sgpr_dispatch_id 0
		.amdhsa_user_sgpr_private_segment_size 0
		.amdhsa_wavefront_size32 1
		.amdhsa_uses_dynamic_stack 0
		.amdhsa_enable_private_segment 0
		.amdhsa_system_sgpr_workgroup_id_x 1
		.amdhsa_system_sgpr_workgroup_id_y 0
		.amdhsa_system_sgpr_workgroup_id_z 0
		.amdhsa_system_sgpr_workgroup_info 0
		.amdhsa_system_vgpr_workitem_id 0
		.amdhsa_next_free_vgpr 1
		.amdhsa_next_free_sgpr 1
		.amdhsa_reserve_vcc 0
		.amdhsa_float_round_mode_32 0
		.amdhsa_float_round_mode_16_64 0
		.amdhsa_float_denorm_mode_32 3
		.amdhsa_float_denorm_mode_16_64 3
		.amdhsa_fp16_overflow 0
		.amdhsa_workgroup_processor_mode 1
		.amdhsa_memory_ordered 1
		.amdhsa_forward_progress 1
		.amdhsa_inst_pref_size 0
		.amdhsa_round_robin_scheduling 0
		.amdhsa_exception_fp_ieee_invalid_op 0
		.amdhsa_exception_fp_denorm_src 0
		.amdhsa_exception_fp_ieee_div_zero 0
		.amdhsa_exception_fp_ieee_overflow 0
		.amdhsa_exception_fp_ieee_underflow 0
		.amdhsa_exception_fp_ieee_inexact 0
		.amdhsa_exception_int_div_zero 0
	.end_amdhsa_kernel
	.section	.text._ZN7rocprim17ROCPRIM_400000_NS6detail17trampoline_kernelINS0_14default_configENS1_36segmented_radix_sort_config_selectorIllEEZNS1_25segmented_radix_sort_implIS3_Lb1EPKlPlS8_S9_N2at6native12_GLOBAL__N_18offset_tEEE10hipError_tPvRmT1_PNSt15iterator_traitsISH_E10value_typeET2_T3_PNSI_ISN_E10value_typeET4_jRbjT5_ST_jjP12ihipStream_tbEUlT_E2_NS1_11comp_targetILNS1_3genE0ELNS1_11target_archE4294967295ELNS1_3gpuE0ELNS1_3repE0EEENS1_30default_config_static_selectorELNS0_4arch9wavefront6targetE0EEEvSH_,"axG",@progbits,_ZN7rocprim17ROCPRIM_400000_NS6detail17trampoline_kernelINS0_14default_configENS1_36segmented_radix_sort_config_selectorIllEEZNS1_25segmented_radix_sort_implIS3_Lb1EPKlPlS8_S9_N2at6native12_GLOBAL__N_18offset_tEEE10hipError_tPvRmT1_PNSt15iterator_traitsISH_E10value_typeET2_T3_PNSI_ISN_E10value_typeET4_jRbjT5_ST_jjP12ihipStream_tbEUlT_E2_NS1_11comp_targetILNS1_3genE0ELNS1_11target_archE4294967295ELNS1_3gpuE0ELNS1_3repE0EEENS1_30default_config_static_selectorELNS0_4arch9wavefront6targetE0EEEvSH_,comdat
.Lfunc_end734:
	.size	_ZN7rocprim17ROCPRIM_400000_NS6detail17trampoline_kernelINS0_14default_configENS1_36segmented_radix_sort_config_selectorIllEEZNS1_25segmented_radix_sort_implIS3_Lb1EPKlPlS8_S9_N2at6native12_GLOBAL__N_18offset_tEEE10hipError_tPvRmT1_PNSt15iterator_traitsISH_E10value_typeET2_T3_PNSI_ISN_E10value_typeET4_jRbjT5_ST_jjP12ihipStream_tbEUlT_E2_NS1_11comp_targetILNS1_3genE0ELNS1_11target_archE4294967295ELNS1_3gpuE0ELNS1_3repE0EEENS1_30default_config_static_selectorELNS0_4arch9wavefront6targetE0EEEvSH_, .Lfunc_end734-_ZN7rocprim17ROCPRIM_400000_NS6detail17trampoline_kernelINS0_14default_configENS1_36segmented_radix_sort_config_selectorIllEEZNS1_25segmented_radix_sort_implIS3_Lb1EPKlPlS8_S9_N2at6native12_GLOBAL__N_18offset_tEEE10hipError_tPvRmT1_PNSt15iterator_traitsISH_E10value_typeET2_T3_PNSI_ISN_E10value_typeET4_jRbjT5_ST_jjP12ihipStream_tbEUlT_E2_NS1_11comp_targetILNS1_3genE0ELNS1_11target_archE4294967295ELNS1_3gpuE0ELNS1_3repE0EEENS1_30default_config_static_selectorELNS0_4arch9wavefront6targetE0EEEvSH_
                                        ; -- End function
	.set _ZN7rocprim17ROCPRIM_400000_NS6detail17trampoline_kernelINS0_14default_configENS1_36segmented_radix_sort_config_selectorIllEEZNS1_25segmented_radix_sort_implIS3_Lb1EPKlPlS8_S9_N2at6native12_GLOBAL__N_18offset_tEEE10hipError_tPvRmT1_PNSt15iterator_traitsISH_E10value_typeET2_T3_PNSI_ISN_E10value_typeET4_jRbjT5_ST_jjP12ihipStream_tbEUlT_E2_NS1_11comp_targetILNS1_3genE0ELNS1_11target_archE4294967295ELNS1_3gpuE0ELNS1_3repE0EEENS1_30default_config_static_selectorELNS0_4arch9wavefront6targetE0EEEvSH_.num_vgpr, 0
	.set _ZN7rocprim17ROCPRIM_400000_NS6detail17trampoline_kernelINS0_14default_configENS1_36segmented_radix_sort_config_selectorIllEEZNS1_25segmented_radix_sort_implIS3_Lb1EPKlPlS8_S9_N2at6native12_GLOBAL__N_18offset_tEEE10hipError_tPvRmT1_PNSt15iterator_traitsISH_E10value_typeET2_T3_PNSI_ISN_E10value_typeET4_jRbjT5_ST_jjP12ihipStream_tbEUlT_E2_NS1_11comp_targetILNS1_3genE0ELNS1_11target_archE4294967295ELNS1_3gpuE0ELNS1_3repE0EEENS1_30default_config_static_selectorELNS0_4arch9wavefront6targetE0EEEvSH_.num_agpr, 0
	.set _ZN7rocprim17ROCPRIM_400000_NS6detail17trampoline_kernelINS0_14default_configENS1_36segmented_radix_sort_config_selectorIllEEZNS1_25segmented_radix_sort_implIS3_Lb1EPKlPlS8_S9_N2at6native12_GLOBAL__N_18offset_tEEE10hipError_tPvRmT1_PNSt15iterator_traitsISH_E10value_typeET2_T3_PNSI_ISN_E10value_typeET4_jRbjT5_ST_jjP12ihipStream_tbEUlT_E2_NS1_11comp_targetILNS1_3genE0ELNS1_11target_archE4294967295ELNS1_3gpuE0ELNS1_3repE0EEENS1_30default_config_static_selectorELNS0_4arch9wavefront6targetE0EEEvSH_.numbered_sgpr, 0
	.set _ZN7rocprim17ROCPRIM_400000_NS6detail17trampoline_kernelINS0_14default_configENS1_36segmented_radix_sort_config_selectorIllEEZNS1_25segmented_radix_sort_implIS3_Lb1EPKlPlS8_S9_N2at6native12_GLOBAL__N_18offset_tEEE10hipError_tPvRmT1_PNSt15iterator_traitsISH_E10value_typeET2_T3_PNSI_ISN_E10value_typeET4_jRbjT5_ST_jjP12ihipStream_tbEUlT_E2_NS1_11comp_targetILNS1_3genE0ELNS1_11target_archE4294967295ELNS1_3gpuE0ELNS1_3repE0EEENS1_30default_config_static_selectorELNS0_4arch9wavefront6targetE0EEEvSH_.num_named_barrier, 0
	.set _ZN7rocprim17ROCPRIM_400000_NS6detail17trampoline_kernelINS0_14default_configENS1_36segmented_radix_sort_config_selectorIllEEZNS1_25segmented_radix_sort_implIS3_Lb1EPKlPlS8_S9_N2at6native12_GLOBAL__N_18offset_tEEE10hipError_tPvRmT1_PNSt15iterator_traitsISH_E10value_typeET2_T3_PNSI_ISN_E10value_typeET4_jRbjT5_ST_jjP12ihipStream_tbEUlT_E2_NS1_11comp_targetILNS1_3genE0ELNS1_11target_archE4294967295ELNS1_3gpuE0ELNS1_3repE0EEENS1_30default_config_static_selectorELNS0_4arch9wavefront6targetE0EEEvSH_.private_seg_size, 0
	.set _ZN7rocprim17ROCPRIM_400000_NS6detail17trampoline_kernelINS0_14default_configENS1_36segmented_radix_sort_config_selectorIllEEZNS1_25segmented_radix_sort_implIS3_Lb1EPKlPlS8_S9_N2at6native12_GLOBAL__N_18offset_tEEE10hipError_tPvRmT1_PNSt15iterator_traitsISH_E10value_typeET2_T3_PNSI_ISN_E10value_typeET4_jRbjT5_ST_jjP12ihipStream_tbEUlT_E2_NS1_11comp_targetILNS1_3genE0ELNS1_11target_archE4294967295ELNS1_3gpuE0ELNS1_3repE0EEENS1_30default_config_static_selectorELNS0_4arch9wavefront6targetE0EEEvSH_.uses_vcc, 0
	.set _ZN7rocprim17ROCPRIM_400000_NS6detail17trampoline_kernelINS0_14default_configENS1_36segmented_radix_sort_config_selectorIllEEZNS1_25segmented_radix_sort_implIS3_Lb1EPKlPlS8_S9_N2at6native12_GLOBAL__N_18offset_tEEE10hipError_tPvRmT1_PNSt15iterator_traitsISH_E10value_typeET2_T3_PNSI_ISN_E10value_typeET4_jRbjT5_ST_jjP12ihipStream_tbEUlT_E2_NS1_11comp_targetILNS1_3genE0ELNS1_11target_archE4294967295ELNS1_3gpuE0ELNS1_3repE0EEENS1_30default_config_static_selectorELNS0_4arch9wavefront6targetE0EEEvSH_.uses_flat_scratch, 0
	.set _ZN7rocprim17ROCPRIM_400000_NS6detail17trampoline_kernelINS0_14default_configENS1_36segmented_radix_sort_config_selectorIllEEZNS1_25segmented_radix_sort_implIS3_Lb1EPKlPlS8_S9_N2at6native12_GLOBAL__N_18offset_tEEE10hipError_tPvRmT1_PNSt15iterator_traitsISH_E10value_typeET2_T3_PNSI_ISN_E10value_typeET4_jRbjT5_ST_jjP12ihipStream_tbEUlT_E2_NS1_11comp_targetILNS1_3genE0ELNS1_11target_archE4294967295ELNS1_3gpuE0ELNS1_3repE0EEENS1_30default_config_static_selectorELNS0_4arch9wavefront6targetE0EEEvSH_.has_dyn_sized_stack, 0
	.set _ZN7rocprim17ROCPRIM_400000_NS6detail17trampoline_kernelINS0_14default_configENS1_36segmented_radix_sort_config_selectorIllEEZNS1_25segmented_radix_sort_implIS3_Lb1EPKlPlS8_S9_N2at6native12_GLOBAL__N_18offset_tEEE10hipError_tPvRmT1_PNSt15iterator_traitsISH_E10value_typeET2_T3_PNSI_ISN_E10value_typeET4_jRbjT5_ST_jjP12ihipStream_tbEUlT_E2_NS1_11comp_targetILNS1_3genE0ELNS1_11target_archE4294967295ELNS1_3gpuE0ELNS1_3repE0EEENS1_30default_config_static_selectorELNS0_4arch9wavefront6targetE0EEEvSH_.has_recursion, 0
	.set _ZN7rocprim17ROCPRIM_400000_NS6detail17trampoline_kernelINS0_14default_configENS1_36segmented_radix_sort_config_selectorIllEEZNS1_25segmented_radix_sort_implIS3_Lb1EPKlPlS8_S9_N2at6native12_GLOBAL__N_18offset_tEEE10hipError_tPvRmT1_PNSt15iterator_traitsISH_E10value_typeET2_T3_PNSI_ISN_E10value_typeET4_jRbjT5_ST_jjP12ihipStream_tbEUlT_E2_NS1_11comp_targetILNS1_3genE0ELNS1_11target_archE4294967295ELNS1_3gpuE0ELNS1_3repE0EEENS1_30default_config_static_selectorELNS0_4arch9wavefront6targetE0EEEvSH_.has_indirect_call, 0
	.section	.AMDGPU.csdata,"",@progbits
; Kernel info:
; codeLenInByte = 0
; TotalNumSgprs: 0
; NumVgprs: 0
; ScratchSize: 0
; MemoryBound: 0
; FloatMode: 240
; IeeeMode: 1
; LDSByteSize: 0 bytes/workgroup (compile time only)
; SGPRBlocks: 0
; VGPRBlocks: 0
; NumSGPRsForWavesPerEU: 1
; NumVGPRsForWavesPerEU: 1
; Occupancy: 16
; WaveLimiterHint : 0
; COMPUTE_PGM_RSRC2:SCRATCH_EN: 0
; COMPUTE_PGM_RSRC2:USER_SGPR: 2
; COMPUTE_PGM_RSRC2:TRAP_HANDLER: 0
; COMPUTE_PGM_RSRC2:TGID_X_EN: 1
; COMPUTE_PGM_RSRC2:TGID_Y_EN: 0
; COMPUTE_PGM_RSRC2:TGID_Z_EN: 0
; COMPUTE_PGM_RSRC2:TIDIG_COMP_CNT: 0
	.section	.text._ZN7rocprim17ROCPRIM_400000_NS6detail17trampoline_kernelINS0_14default_configENS1_36segmented_radix_sort_config_selectorIllEEZNS1_25segmented_radix_sort_implIS3_Lb1EPKlPlS8_S9_N2at6native12_GLOBAL__N_18offset_tEEE10hipError_tPvRmT1_PNSt15iterator_traitsISH_E10value_typeET2_T3_PNSI_ISN_E10value_typeET4_jRbjT5_ST_jjP12ihipStream_tbEUlT_E2_NS1_11comp_targetILNS1_3genE5ELNS1_11target_archE942ELNS1_3gpuE9ELNS1_3repE0EEENS1_30default_config_static_selectorELNS0_4arch9wavefront6targetE0EEEvSH_,"axG",@progbits,_ZN7rocprim17ROCPRIM_400000_NS6detail17trampoline_kernelINS0_14default_configENS1_36segmented_radix_sort_config_selectorIllEEZNS1_25segmented_radix_sort_implIS3_Lb1EPKlPlS8_S9_N2at6native12_GLOBAL__N_18offset_tEEE10hipError_tPvRmT1_PNSt15iterator_traitsISH_E10value_typeET2_T3_PNSI_ISN_E10value_typeET4_jRbjT5_ST_jjP12ihipStream_tbEUlT_E2_NS1_11comp_targetILNS1_3genE5ELNS1_11target_archE942ELNS1_3gpuE9ELNS1_3repE0EEENS1_30default_config_static_selectorELNS0_4arch9wavefront6targetE0EEEvSH_,comdat
	.globl	_ZN7rocprim17ROCPRIM_400000_NS6detail17trampoline_kernelINS0_14default_configENS1_36segmented_radix_sort_config_selectorIllEEZNS1_25segmented_radix_sort_implIS3_Lb1EPKlPlS8_S9_N2at6native12_GLOBAL__N_18offset_tEEE10hipError_tPvRmT1_PNSt15iterator_traitsISH_E10value_typeET2_T3_PNSI_ISN_E10value_typeET4_jRbjT5_ST_jjP12ihipStream_tbEUlT_E2_NS1_11comp_targetILNS1_3genE5ELNS1_11target_archE942ELNS1_3gpuE9ELNS1_3repE0EEENS1_30default_config_static_selectorELNS0_4arch9wavefront6targetE0EEEvSH_ ; -- Begin function _ZN7rocprim17ROCPRIM_400000_NS6detail17trampoline_kernelINS0_14default_configENS1_36segmented_radix_sort_config_selectorIllEEZNS1_25segmented_radix_sort_implIS3_Lb1EPKlPlS8_S9_N2at6native12_GLOBAL__N_18offset_tEEE10hipError_tPvRmT1_PNSt15iterator_traitsISH_E10value_typeET2_T3_PNSI_ISN_E10value_typeET4_jRbjT5_ST_jjP12ihipStream_tbEUlT_E2_NS1_11comp_targetILNS1_3genE5ELNS1_11target_archE942ELNS1_3gpuE9ELNS1_3repE0EEENS1_30default_config_static_selectorELNS0_4arch9wavefront6targetE0EEEvSH_
	.p2align	8
	.type	_ZN7rocprim17ROCPRIM_400000_NS6detail17trampoline_kernelINS0_14default_configENS1_36segmented_radix_sort_config_selectorIllEEZNS1_25segmented_radix_sort_implIS3_Lb1EPKlPlS8_S9_N2at6native12_GLOBAL__N_18offset_tEEE10hipError_tPvRmT1_PNSt15iterator_traitsISH_E10value_typeET2_T3_PNSI_ISN_E10value_typeET4_jRbjT5_ST_jjP12ihipStream_tbEUlT_E2_NS1_11comp_targetILNS1_3genE5ELNS1_11target_archE942ELNS1_3gpuE9ELNS1_3repE0EEENS1_30default_config_static_selectorELNS0_4arch9wavefront6targetE0EEEvSH_,@function
_ZN7rocprim17ROCPRIM_400000_NS6detail17trampoline_kernelINS0_14default_configENS1_36segmented_radix_sort_config_selectorIllEEZNS1_25segmented_radix_sort_implIS3_Lb1EPKlPlS8_S9_N2at6native12_GLOBAL__N_18offset_tEEE10hipError_tPvRmT1_PNSt15iterator_traitsISH_E10value_typeET2_T3_PNSI_ISN_E10value_typeET4_jRbjT5_ST_jjP12ihipStream_tbEUlT_E2_NS1_11comp_targetILNS1_3genE5ELNS1_11target_archE942ELNS1_3gpuE9ELNS1_3repE0EEENS1_30default_config_static_selectorELNS0_4arch9wavefront6targetE0EEEvSH_: ; @_ZN7rocprim17ROCPRIM_400000_NS6detail17trampoline_kernelINS0_14default_configENS1_36segmented_radix_sort_config_selectorIllEEZNS1_25segmented_radix_sort_implIS3_Lb1EPKlPlS8_S9_N2at6native12_GLOBAL__N_18offset_tEEE10hipError_tPvRmT1_PNSt15iterator_traitsISH_E10value_typeET2_T3_PNSI_ISN_E10value_typeET4_jRbjT5_ST_jjP12ihipStream_tbEUlT_E2_NS1_11comp_targetILNS1_3genE5ELNS1_11target_archE942ELNS1_3gpuE9ELNS1_3repE0EEENS1_30default_config_static_selectorELNS0_4arch9wavefront6targetE0EEEvSH_
; %bb.0:
	.section	.rodata,"a",@progbits
	.p2align	6, 0x0
	.amdhsa_kernel _ZN7rocprim17ROCPRIM_400000_NS6detail17trampoline_kernelINS0_14default_configENS1_36segmented_radix_sort_config_selectorIllEEZNS1_25segmented_radix_sort_implIS3_Lb1EPKlPlS8_S9_N2at6native12_GLOBAL__N_18offset_tEEE10hipError_tPvRmT1_PNSt15iterator_traitsISH_E10value_typeET2_T3_PNSI_ISN_E10value_typeET4_jRbjT5_ST_jjP12ihipStream_tbEUlT_E2_NS1_11comp_targetILNS1_3genE5ELNS1_11target_archE942ELNS1_3gpuE9ELNS1_3repE0EEENS1_30default_config_static_selectorELNS0_4arch9wavefront6targetE0EEEvSH_
		.amdhsa_group_segment_fixed_size 0
		.amdhsa_private_segment_fixed_size 0
		.amdhsa_kernarg_size 80
		.amdhsa_user_sgpr_count 2
		.amdhsa_user_sgpr_dispatch_ptr 0
		.amdhsa_user_sgpr_queue_ptr 0
		.amdhsa_user_sgpr_kernarg_segment_ptr 1
		.amdhsa_user_sgpr_dispatch_id 0
		.amdhsa_user_sgpr_private_segment_size 0
		.amdhsa_wavefront_size32 1
		.amdhsa_uses_dynamic_stack 0
		.amdhsa_enable_private_segment 0
		.amdhsa_system_sgpr_workgroup_id_x 1
		.amdhsa_system_sgpr_workgroup_id_y 0
		.amdhsa_system_sgpr_workgroup_id_z 0
		.amdhsa_system_sgpr_workgroup_info 0
		.amdhsa_system_vgpr_workitem_id 0
		.amdhsa_next_free_vgpr 1
		.amdhsa_next_free_sgpr 1
		.amdhsa_reserve_vcc 0
		.amdhsa_float_round_mode_32 0
		.amdhsa_float_round_mode_16_64 0
		.amdhsa_float_denorm_mode_32 3
		.amdhsa_float_denorm_mode_16_64 3
		.amdhsa_fp16_overflow 0
		.amdhsa_workgroup_processor_mode 1
		.amdhsa_memory_ordered 1
		.amdhsa_forward_progress 1
		.amdhsa_inst_pref_size 0
		.amdhsa_round_robin_scheduling 0
		.amdhsa_exception_fp_ieee_invalid_op 0
		.amdhsa_exception_fp_denorm_src 0
		.amdhsa_exception_fp_ieee_div_zero 0
		.amdhsa_exception_fp_ieee_overflow 0
		.amdhsa_exception_fp_ieee_underflow 0
		.amdhsa_exception_fp_ieee_inexact 0
		.amdhsa_exception_int_div_zero 0
	.end_amdhsa_kernel
	.section	.text._ZN7rocprim17ROCPRIM_400000_NS6detail17trampoline_kernelINS0_14default_configENS1_36segmented_radix_sort_config_selectorIllEEZNS1_25segmented_radix_sort_implIS3_Lb1EPKlPlS8_S9_N2at6native12_GLOBAL__N_18offset_tEEE10hipError_tPvRmT1_PNSt15iterator_traitsISH_E10value_typeET2_T3_PNSI_ISN_E10value_typeET4_jRbjT5_ST_jjP12ihipStream_tbEUlT_E2_NS1_11comp_targetILNS1_3genE5ELNS1_11target_archE942ELNS1_3gpuE9ELNS1_3repE0EEENS1_30default_config_static_selectorELNS0_4arch9wavefront6targetE0EEEvSH_,"axG",@progbits,_ZN7rocprim17ROCPRIM_400000_NS6detail17trampoline_kernelINS0_14default_configENS1_36segmented_radix_sort_config_selectorIllEEZNS1_25segmented_radix_sort_implIS3_Lb1EPKlPlS8_S9_N2at6native12_GLOBAL__N_18offset_tEEE10hipError_tPvRmT1_PNSt15iterator_traitsISH_E10value_typeET2_T3_PNSI_ISN_E10value_typeET4_jRbjT5_ST_jjP12ihipStream_tbEUlT_E2_NS1_11comp_targetILNS1_3genE5ELNS1_11target_archE942ELNS1_3gpuE9ELNS1_3repE0EEENS1_30default_config_static_selectorELNS0_4arch9wavefront6targetE0EEEvSH_,comdat
.Lfunc_end735:
	.size	_ZN7rocprim17ROCPRIM_400000_NS6detail17trampoline_kernelINS0_14default_configENS1_36segmented_radix_sort_config_selectorIllEEZNS1_25segmented_radix_sort_implIS3_Lb1EPKlPlS8_S9_N2at6native12_GLOBAL__N_18offset_tEEE10hipError_tPvRmT1_PNSt15iterator_traitsISH_E10value_typeET2_T3_PNSI_ISN_E10value_typeET4_jRbjT5_ST_jjP12ihipStream_tbEUlT_E2_NS1_11comp_targetILNS1_3genE5ELNS1_11target_archE942ELNS1_3gpuE9ELNS1_3repE0EEENS1_30default_config_static_selectorELNS0_4arch9wavefront6targetE0EEEvSH_, .Lfunc_end735-_ZN7rocprim17ROCPRIM_400000_NS6detail17trampoline_kernelINS0_14default_configENS1_36segmented_radix_sort_config_selectorIllEEZNS1_25segmented_radix_sort_implIS3_Lb1EPKlPlS8_S9_N2at6native12_GLOBAL__N_18offset_tEEE10hipError_tPvRmT1_PNSt15iterator_traitsISH_E10value_typeET2_T3_PNSI_ISN_E10value_typeET4_jRbjT5_ST_jjP12ihipStream_tbEUlT_E2_NS1_11comp_targetILNS1_3genE5ELNS1_11target_archE942ELNS1_3gpuE9ELNS1_3repE0EEENS1_30default_config_static_selectorELNS0_4arch9wavefront6targetE0EEEvSH_
                                        ; -- End function
	.set _ZN7rocprim17ROCPRIM_400000_NS6detail17trampoline_kernelINS0_14default_configENS1_36segmented_radix_sort_config_selectorIllEEZNS1_25segmented_radix_sort_implIS3_Lb1EPKlPlS8_S9_N2at6native12_GLOBAL__N_18offset_tEEE10hipError_tPvRmT1_PNSt15iterator_traitsISH_E10value_typeET2_T3_PNSI_ISN_E10value_typeET4_jRbjT5_ST_jjP12ihipStream_tbEUlT_E2_NS1_11comp_targetILNS1_3genE5ELNS1_11target_archE942ELNS1_3gpuE9ELNS1_3repE0EEENS1_30default_config_static_selectorELNS0_4arch9wavefront6targetE0EEEvSH_.num_vgpr, 0
	.set _ZN7rocprim17ROCPRIM_400000_NS6detail17trampoline_kernelINS0_14default_configENS1_36segmented_radix_sort_config_selectorIllEEZNS1_25segmented_radix_sort_implIS3_Lb1EPKlPlS8_S9_N2at6native12_GLOBAL__N_18offset_tEEE10hipError_tPvRmT1_PNSt15iterator_traitsISH_E10value_typeET2_T3_PNSI_ISN_E10value_typeET4_jRbjT5_ST_jjP12ihipStream_tbEUlT_E2_NS1_11comp_targetILNS1_3genE5ELNS1_11target_archE942ELNS1_3gpuE9ELNS1_3repE0EEENS1_30default_config_static_selectorELNS0_4arch9wavefront6targetE0EEEvSH_.num_agpr, 0
	.set _ZN7rocprim17ROCPRIM_400000_NS6detail17trampoline_kernelINS0_14default_configENS1_36segmented_radix_sort_config_selectorIllEEZNS1_25segmented_radix_sort_implIS3_Lb1EPKlPlS8_S9_N2at6native12_GLOBAL__N_18offset_tEEE10hipError_tPvRmT1_PNSt15iterator_traitsISH_E10value_typeET2_T3_PNSI_ISN_E10value_typeET4_jRbjT5_ST_jjP12ihipStream_tbEUlT_E2_NS1_11comp_targetILNS1_3genE5ELNS1_11target_archE942ELNS1_3gpuE9ELNS1_3repE0EEENS1_30default_config_static_selectorELNS0_4arch9wavefront6targetE0EEEvSH_.numbered_sgpr, 0
	.set _ZN7rocprim17ROCPRIM_400000_NS6detail17trampoline_kernelINS0_14default_configENS1_36segmented_radix_sort_config_selectorIllEEZNS1_25segmented_radix_sort_implIS3_Lb1EPKlPlS8_S9_N2at6native12_GLOBAL__N_18offset_tEEE10hipError_tPvRmT1_PNSt15iterator_traitsISH_E10value_typeET2_T3_PNSI_ISN_E10value_typeET4_jRbjT5_ST_jjP12ihipStream_tbEUlT_E2_NS1_11comp_targetILNS1_3genE5ELNS1_11target_archE942ELNS1_3gpuE9ELNS1_3repE0EEENS1_30default_config_static_selectorELNS0_4arch9wavefront6targetE0EEEvSH_.num_named_barrier, 0
	.set _ZN7rocprim17ROCPRIM_400000_NS6detail17trampoline_kernelINS0_14default_configENS1_36segmented_radix_sort_config_selectorIllEEZNS1_25segmented_radix_sort_implIS3_Lb1EPKlPlS8_S9_N2at6native12_GLOBAL__N_18offset_tEEE10hipError_tPvRmT1_PNSt15iterator_traitsISH_E10value_typeET2_T3_PNSI_ISN_E10value_typeET4_jRbjT5_ST_jjP12ihipStream_tbEUlT_E2_NS1_11comp_targetILNS1_3genE5ELNS1_11target_archE942ELNS1_3gpuE9ELNS1_3repE0EEENS1_30default_config_static_selectorELNS0_4arch9wavefront6targetE0EEEvSH_.private_seg_size, 0
	.set _ZN7rocprim17ROCPRIM_400000_NS6detail17trampoline_kernelINS0_14default_configENS1_36segmented_radix_sort_config_selectorIllEEZNS1_25segmented_radix_sort_implIS3_Lb1EPKlPlS8_S9_N2at6native12_GLOBAL__N_18offset_tEEE10hipError_tPvRmT1_PNSt15iterator_traitsISH_E10value_typeET2_T3_PNSI_ISN_E10value_typeET4_jRbjT5_ST_jjP12ihipStream_tbEUlT_E2_NS1_11comp_targetILNS1_3genE5ELNS1_11target_archE942ELNS1_3gpuE9ELNS1_3repE0EEENS1_30default_config_static_selectorELNS0_4arch9wavefront6targetE0EEEvSH_.uses_vcc, 0
	.set _ZN7rocprim17ROCPRIM_400000_NS6detail17trampoline_kernelINS0_14default_configENS1_36segmented_radix_sort_config_selectorIllEEZNS1_25segmented_radix_sort_implIS3_Lb1EPKlPlS8_S9_N2at6native12_GLOBAL__N_18offset_tEEE10hipError_tPvRmT1_PNSt15iterator_traitsISH_E10value_typeET2_T3_PNSI_ISN_E10value_typeET4_jRbjT5_ST_jjP12ihipStream_tbEUlT_E2_NS1_11comp_targetILNS1_3genE5ELNS1_11target_archE942ELNS1_3gpuE9ELNS1_3repE0EEENS1_30default_config_static_selectorELNS0_4arch9wavefront6targetE0EEEvSH_.uses_flat_scratch, 0
	.set _ZN7rocprim17ROCPRIM_400000_NS6detail17trampoline_kernelINS0_14default_configENS1_36segmented_radix_sort_config_selectorIllEEZNS1_25segmented_radix_sort_implIS3_Lb1EPKlPlS8_S9_N2at6native12_GLOBAL__N_18offset_tEEE10hipError_tPvRmT1_PNSt15iterator_traitsISH_E10value_typeET2_T3_PNSI_ISN_E10value_typeET4_jRbjT5_ST_jjP12ihipStream_tbEUlT_E2_NS1_11comp_targetILNS1_3genE5ELNS1_11target_archE942ELNS1_3gpuE9ELNS1_3repE0EEENS1_30default_config_static_selectorELNS0_4arch9wavefront6targetE0EEEvSH_.has_dyn_sized_stack, 0
	.set _ZN7rocprim17ROCPRIM_400000_NS6detail17trampoline_kernelINS0_14default_configENS1_36segmented_radix_sort_config_selectorIllEEZNS1_25segmented_radix_sort_implIS3_Lb1EPKlPlS8_S9_N2at6native12_GLOBAL__N_18offset_tEEE10hipError_tPvRmT1_PNSt15iterator_traitsISH_E10value_typeET2_T3_PNSI_ISN_E10value_typeET4_jRbjT5_ST_jjP12ihipStream_tbEUlT_E2_NS1_11comp_targetILNS1_3genE5ELNS1_11target_archE942ELNS1_3gpuE9ELNS1_3repE0EEENS1_30default_config_static_selectorELNS0_4arch9wavefront6targetE0EEEvSH_.has_recursion, 0
	.set _ZN7rocprim17ROCPRIM_400000_NS6detail17trampoline_kernelINS0_14default_configENS1_36segmented_radix_sort_config_selectorIllEEZNS1_25segmented_radix_sort_implIS3_Lb1EPKlPlS8_S9_N2at6native12_GLOBAL__N_18offset_tEEE10hipError_tPvRmT1_PNSt15iterator_traitsISH_E10value_typeET2_T3_PNSI_ISN_E10value_typeET4_jRbjT5_ST_jjP12ihipStream_tbEUlT_E2_NS1_11comp_targetILNS1_3genE5ELNS1_11target_archE942ELNS1_3gpuE9ELNS1_3repE0EEENS1_30default_config_static_selectorELNS0_4arch9wavefront6targetE0EEEvSH_.has_indirect_call, 0
	.section	.AMDGPU.csdata,"",@progbits
; Kernel info:
; codeLenInByte = 0
; TotalNumSgprs: 0
; NumVgprs: 0
; ScratchSize: 0
; MemoryBound: 0
; FloatMode: 240
; IeeeMode: 1
; LDSByteSize: 0 bytes/workgroup (compile time only)
; SGPRBlocks: 0
; VGPRBlocks: 0
; NumSGPRsForWavesPerEU: 1
; NumVGPRsForWavesPerEU: 1
; Occupancy: 16
; WaveLimiterHint : 0
; COMPUTE_PGM_RSRC2:SCRATCH_EN: 0
; COMPUTE_PGM_RSRC2:USER_SGPR: 2
; COMPUTE_PGM_RSRC2:TRAP_HANDLER: 0
; COMPUTE_PGM_RSRC2:TGID_X_EN: 1
; COMPUTE_PGM_RSRC2:TGID_Y_EN: 0
; COMPUTE_PGM_RSRC2:TGID_Z_EN: 0
; COMPUTE_PGM_RSRC2:TIDIG_COMP_CNT: 0
	.section	.text._ZN7rocprim17ROCPRIM_400000_NS6detail17trampoline_kernelINS0_14default_configENS1_36segmented_radix_sort_config_selectorIllEEZNS1_25segmented_radix_sort_implIS3_Lb1EPKlPlS8_S9_N2at6native12_GLOBAL__N_18offset_tEEE10hipError_tPvRmT1_PNSt15iterator_traitsISH_E10value_typeET2_T3_PNSI_ISN_E10value_typeET4_jRbjT5_ST_jjP12ihipStream_tbEUlT_E2_NS1_11comp_targetILNS1_3genE4ELNS1_11target_archE910ELNS1_3gpuE8ELNS1_3repE0EEENS1_30default_config_static_selectorELNS0_4arch9wavefront6targetE0EEEvSH_,"axG",@progbits,_ZN7rocprim17ROCPRIM_400000_NS6detail17trampoline_kernelINS0_14default_configENS1_36segmented_radix_sort_config_selectorIllEEZNS1_25segmented_radix_sort_implIS3_Lb1EPKlPlS8_S9_N2at6native12_GLOBAL__N_18offset_tEEE10hipError_tPvRmT1_PNSt15iterator_traitsISH_E10value_typeET2_T3_PNSI_ISN_E10value_typeET4_jRbjT5_ST_jjP12ihipStream_tbEUlT_E2_NS1_11comp_targetILNS1_3genE4ELNS1_11target_archE910ELNS1_3gpuE8ELNS1_3repE0EEENS1_30default_config_static_selectorELNS0_4arch9wavefront6targetE0EEEvSH_,comdat
	.globl	_ZN7rocprim17ROCPRIM_400000_NS6detail17trampoline_kernelINS0_14default_configENS1_36segmented_radix_sort_config_selectorIllEEZNS1_25segmented_radix_sort_implIS3_Lb1EPKlPlS8_S9_N2at6native12_GLOBAL__N_18offset_tEEE10hipError_tPvRmT1_PNSt15iterator_traitsISH_E10value_typeET2_T3_PNSI_ISN_E10value_typeET4_jRbjT5_ST_jjP12ihipStream_tbEUlT_E2_NS1_11comp_targetILNS1_3genE4ELNS1_11target_archE910ELNS1_3gpuE8ELNS1_3repE0EEENS1_30default_config_static_selectorELNS0_4arch9wavefront6targetE0EEEvSH_ ; -- Begin function _ZN7rocprim17ROCPRIM_400000_NS6detail17trampoline_kernelINS0_14default_configENS1_36segmented_radix_sort_config_selectorIllEEZNS1_25segmented_radix_sort_implIS3_Lb1EPKlPlS8_S9_N2at6native12_GLOBAL__N_18offset_tEEE10hipError_tPvRmT1_PNSt15iterator_traitsISH_E10value_typeET2_T3_PNSI_ISN_E10value_typeET4_jRbjT5_ST_jjP12ihipStream_tbEUlT_E2_NS1_11comp_targetILNS1_3genE4ELNS1_11target_archE910ELNS1_3gpuE8ELNS1_3repE0EEENS1_30default_config_static_selectorELNS0_4arch9wavefront6targetE0EEEvSH_
	.p2align	8
	.type	_ZN7rocprim17ROCPRIM_400000_NS6detail17trampoline_kernelINS0_14default_configENS1_36segmented_radix_sort_config_selectorIllEEZNS1_25segmented_radix_sort_implIS3_Lb1EPKlPlS8_S9_N2at6native12_GLOBAL__N_18offset_tEEE10hipError_tPvRmT1_PNSt15iterator_traitsISH_E10value_typeET2_T3_PNSI_ISN_E10value_typeET4_jRbjT5_ST_jjP12ihipStream_tbEUlT_E2_NS1_11comp_targetILNS1_3genE4ELNS1_11target_archE910ELNS1_3gpuE8ELNS1_3repE0EEENS1_30default_config_static_selectorELNS0_4arch9wavefront6targetE0EEEvSH_,@function
_ZN7rocprim17ROCPRIM_400000_NS6detail17trampoline_kernelINS0_14default_configENS1_36segmented_radix_sort_config_selectorIllEEZNS1_25segmented_radix_sort_implIS3_Lb1EPKlPlS8_S9_N2at6native12_GLOBAL__N_18offset_tEEE10hipError_tPvRmT1_PNSt15iterator_traitsISH_E10value_typeET2_T3_PNSI_ISN_E10value_typeET4_jRbjT5_ST_jjP12ihipStream_tbEUlT_E2_NS1_11comp_targetILNS1_3genE4ELNS1_11target_archE910ELNS1_3gpuE8ELNS1_3repE0EEENS1_30default_config_static_selectorELNS0_4arch9wavefront6targetE0EEEvSH_: ; @_ZN7rocprim17ROCPRIM_400000_NS6detail17trampoline_kernelINS0_14default_configENS1_36segmented_radix_sort_config_selectorIllEEZNS1_25segmented_radix_sort_implIS3_Lb1EPKlPlS8_S9_N2at6native12_GLOBAL__N_18offset_tEEE10hipError_tPvRmT1_PNSt15iterator_traitsISH_E10value_typeET2_T3_PNSI_ISN_E10value_typeET4_jRbjT5_ST_jjP12ihipStream_tbEUlT_E2_NS1_11comp_targetILNS1_3genE4ELNS1_11target_archE910ELNS1_3gpuE8ELNS1_3repE0EEENS1_30default_config_static_selectorELNS0_4arch9wavefront6targetE0EEEvSH_
; %bb.0:
	.section	.rodata,"a",@progbits
	.p2align	6, 0x0
	.amdhsa_kernel _ZN7rocprim17ROCPRIM_400000_NS6detail17trampoline_kernelINS0_14default_configENS1_36segmented_radix_sort_config_selectorIllEEZNS1_25segmented_radix_sort_implIS3_Lb1EPKlPlS8_S9_N2at6native12_GLOBAL__N_18offset_tEEE10hipError_tPvRmT1_PNSt15iterator_traitsISH_E10value_typeET2_T3_PNSI_ISN_E10value_typeET4_jRbjT5_ST_jjP12ihipStream_tbEUlT_E2_NS1_11comp_targetILNS1_3genE4ELNS1_11target_archE910ELNS1_3gpuE8ELNS1_3repE0EEENS1_30default_config_static_selectorELNS0_4arch9wavefront6targetE0EEEvSH_
		.amdhsa_group_segment_fixed_size 0
		.amdhsa_private_segment_fixed_size 0
		.amdhsa_kernarg_size 80
		.amdhsa_user_sgpr_count 2
		.amdhsa_user_sgpr_dispatch_ptr 0
		.amdhsa_user_sgpr_queue_ptr 0
		.amdhsa_user_sgpr_kernarg_segment_ptr 1
		.amdhsa_user_sgpr_dispatch_id 0
		.amdhsa_user_sgpr_private_segment_size 0
		.amdhsa_wavefront_size32 1
		.amdhsa_uses_dynamic_stack 0
		.amdhsa_enable_private_segment 0
		.amdhsa_system_sgpr_workgroup_id_x 1
		.amdhsa_system_sgpr_workgroup_id_y 0
		.amdhsa_system_sgpr_workgroup_id_z 0
		.amdhsa_system_sgpr_workgroup_info 0
		.amdhsa_system_vgpr_workitem_id 0
		.amdhsa_next_free_vgpr 1
		.amdhsa_next_free_sgpr 1
		.amdhsa_reserve_vcc 0
		.amdhsa_float_round_mode_32 0
		.amdhsa_float_round_mode_16_64 0
		.amdhsa_float_denorm_mode_32 3
		.amdhsa_float_denorm_mode_16_64 3
		.amdhsa_fp16_overflow 0
		.amdhsa_workgroup_processor_mode 1
		.amdhsa_memory_ordered 1
		.amdhsa_forward_progress 1
		.amdhsa_inst_pref_size 0
		.amdhsa_round_robin_scheduling 0
		.amdhsa_exception_fp_ieee_invalid_op 0
		.amdhsa_exception_fp_denorm_src 0
		.amdhsa_exception_fp_ieee_div_zero 0
		.amdhsa_exception_fp_ieee_overflow 0
		.amdhsa_exception_fp_ieee_underflow 0
		.amdhsa_exception_fp_ieee_inexact 0
		.amdhsa_exception_int_div_zero 0
	.end_amdhsa_kernel
	.section	.text._ZN7rocprim17ROCPRIM_400000_NS6detail17trampoline_kernelINS0_14default_configENS1_36segmented_radix_sort_config_selectorIllEEZNS1_25segmented_radix_sort_implIS3_Lb1EPKlPlS8_S9_N2at6native12_GLOBAL__N_18offset_tEEE10hipError_tPvRmT1_PNSt15iterator_traitsISH_E10value_typeET2_T3_PNSI_ISN_E10value_typeET4_jRbjT5_ST_jjP12ihipStream_tbEUlT_E2_NS1_11comp_targetILNS1_3genE4ELNS1_11target_archE910ELNS1_3gpuE8ELNS1_3repE0EEENS1_30default_config_static_selectorELNS0_4arch9wavefront6targetE0EEEvSH_,"axG",@progbits,_ZN7rocprim17ROCPRIM_400000_NS6detail17trampoline_kernelINS0_14default_configENS1_36segmented_radix_sort_config_selectorIllEEZNS1_25segmented_radix_sort_implIS3_Lb1EPKlPlS8_S9_N2at6native12_GLOBAL__N_18offset_tEEE10hipError_tPvRmT1_PNSt15iterator_traitsISH_E10value_typeET2_T3_PNSI_ISN_E10value_typeET4_jRbjT5_ST_jjP12ihipStream_tbEUlT_E2_NS1_11comp_targetILNS1_3genE4ELNS1_11target_archE910ELNS1_3gpuE8ELNS1_3repE0EEENS1_30default_config_static_selectorELNS0_4arch9wavefront6targetE0EEEvSH_,comdat
.Lfunc_end736:
	.size	_ZN7rocprim17ROCPRIM_400000_NS6detail17trampoline_kernelINS0_14default_configENS1_36segmented_radix_sort_config_selectorIllEEZNS1_25segmented_radix_sort_implIS3_Lb1EPKlPlS8_S9_N2at6native12_GLOBAL__N_18offset_tEEE10hipError_tPvRmT1_PNSt15iterator_traitsISH_E10value_typeET2_T3_PNSI_ISN_E10value_typeET4_jRbjT5_ST_jjP12ihipStream_tbEUlT_E2_NS1_11comp_targetILNS1_3genE4ELNS1_11target_archE910ELNS1_3gpuE8ELNS1_3repE0EEENS1_30default_config_static_selectorELNS0_4arch9wavefront6targetE0EEEvSH_, .Lfunc_end736-_ZN7rocprim17ROCPRIM_400000_NS6detail17trampoline_kernelINS0_14default_configENS1_36segmented_radix_sort_config_selectorIllEEZNS1_25segmented_radix_sort_implIS3_Lb1EPKlPlS8_S9_N2at6native12_GLOBAL__N_18offset_tEEE10hipError_tPvRmT1_PNSt15iterator_traitsISH_E10value_typeET2_T3_PNSI_ISN_E10value_typeET4_jRbjT5_ST_jjP12ihipStream_tbEUlT_E2_NS1_11comp_targetILNS1_3genE4ELNS1_11target_archE910ELNS1_3gpuE8ELNS1_3repE0EEENS1_30default_config_static_selectorELNS0_4arch9wavefront6targetE0EEEvSH_
                                        ; -- End function
	.set _ZN7rocprim17ROCPRIM_400000_NS6detail17trampoline_kernelINS0_14default_configENS1_36segmented_radix_sort_config_selectorIllEEZNS1_25segmented_radix_sort_implIS3_Lb1EPKlPlS8_S9_N2at6native12_GLOBAL__N_18offset_tEEE10hipError_tPvRmT1_PNSt15iterator_traitsISH_E10value_typeET2_T3_PNSI_ISN_E10value_typeET4_jRbjT5_ST_jjP12ihipStream_tbEUlT_E2_NS1_11comp_targetILNS1_3genE4ELNS1_11target_archE910ELNS1_3gpuE8ELNS1_3repE0EEENS1_30default_config_static_selectorELNS0_4arch9wavefront6targetE0EEEvSH_.num_vgpr, 0
	.set _ZN7rocprim17ROCPRIM_400000_NS6detail17trampoline_kernelINS0_14default_configENS1_36segmented_radix_sort_config_selectorIllEEZNS1_25segmented_radix_sort_implIS3_Lb1EPKlPlS8_S9_N2at6native12_GLOBAL__N_18offset_tEEE10hipError_tPvRmT1_PNSt15iterator_traitsISH_E10value_typeET2_T3_PNSI_ISN_E10value_typeET4_jRbjT5_ST_jjP12ihipStream_tbEUlT_E2_NS1_11comp_targetILNS1_3genE4ELNS1_11target_archE910ELNS1_3gpuE8ELNS1_3repE0EEENS1_30default_config_static_selectorELNS0_4arch9wavefront6targetE0EEEvSH_.num_agpr, 0
	.set _ZN7rocprim17ROCPRIM_400000_NS6detail17trampoline_kernelINS0_14default_configENS1_36segmented_radix_sort_config_selectorIllEEZNS1_25segmented_radix_sort_implIS3_Lb1EPKlPlS8_S9_N2at6native12_GLOBAL__N_18offset_tEEE10hipError_tPvRmT1_PNSt15iterator_traitsISH_E10value_typeET2_T3_PNSI_ISN_E10value_typeET4_jRbjT5_ST_jjP12ihipStream_tbEUlT_E2_NS1_11comp_targetILNS1_3genE4ELNS1_11target_archE910ELNS1_3gpuE8ELNS1_3repE0EEENS1_30default_config_static_selectorELNS0_4arch9wavefront6targetE0EEEvSH_.numbered_sgpr, 0
	.set _ZN7rocprim17ROCPRIM_400000_NS6detail17trampoline_kernelINS0_14default_configENS1_36segmented_radix_sort_config_selectorIllEEZNS1_25segmented_radix_sort_implIS3_Lb1EPKlPlS8_S9_N2at6native12_GLOBAL__N_18offset_tEEE10hipError_tPvRmT1_PNSt15iterator_traitsISH_E10value_typeET2_T3_PNSI_ISN_E10value_typeET4_jRbjT5_ST_jjP12ihipStream_tbEUlT_E2_NS1_11comp_targetILNS1_3genE4ELNS1_11target_archE910ELNS1_3gpuE8ELNS1_3repE0EEENS1_30default_config_static_selectorELNS0_4arch9wavefront6targetE0EEEvSH_.num_named_barrier, 0
	.set _ZN7rocprim17ROCPRIM_400000_NS6detail17trampoline_kernelINS0_14default_configENS1_36segmented_radix_sort_config_selectorIllEEZNS1_25segmented_radix_sort_implIS3_Lb1EPKlPlS8_S9_N2at6native12_GLOBAL__N_18offset_tEEE10hipError_tPvRmT1_PNSt15iterator_traitsISH_E10value_typeET2_T3_PNSI_ISN_E10value_typeET4_jRbjT5_ST_jjP12ihipStream_tbEUlT_E2_NS1_11comp_targetILNS1_3genE4ELNS1_11target_archE910ELNS1_3gpuE8ELNS1_3repE0EEENS1_30default_config_static_selectorELNS0_4arch9wavefront6targetE0EEEvSH_.private_seg_size, 0
	.set _ZN7rocprim17ROCPRIM_400000_NS6detail17trampoline_kernelINS0_14default_configENS1_36segmented_radix_sort_config_selectorIllEEZNS1_25segmented_radix_sort_implIS3_Lb1EPKlPlS8_S9_N2at6native12_GLOBAL__N_18offset_tEEE10hipError_tPvRmT1_PNSt15iterator_traitsISH_E10value_typeET2_T3_PNSI_ISN_E10value_typeET4_jRbjT5_ST_jjP12ihipStream_tbEUlT_E2_NS1_11comp_targetILNS1_3genE4ELNS1_11target_archE910ELNS1_3gpuE8ELNS1_3repE0EEENS1_30default_config_static_selectorELNS0_4arch9wavefront6targetE0EEEvSH_.uses_vcc, 0
	.set _ZN7rocprim17ROCPRIM_400000_NS6detail17trampoline_kernelINS0_14default_configENS1_36segmented_radix_sort_config_selectorIllEEZNS1_25segmented_radix_sort_implIS3_Lb1EPKlPlS8_S9_N2at6native12_GLOBAL__N_18offset_tEEE10hipError_tPvRmT1_PNSt15iterator_traitsISH_E10value_typeET2_T3_PNSI_ISN_E10value_typeET4_jRbjT5_ST_jjP12ihipStream_tbEUlT_E2_NS1_11comp_targetILNS1_3genE4ELNS1_11target_archE910ELNS1_3gpuE8ELNS1_3repE0EEENS1_30default_config_static_selectorELNS0_4arch9wavefront6targetE0EEEvSH_.uses_flat_scratch, 0
	.set _ZN7rocprim17ROCPRIM_400000_NS6detail17trampoline_kernelINS0_14default_configENS1_36segmented_radix_sort_config_selectorIllEEZNS1_25segmented_radix_sort_implIS3_Lb1EPKlPlS8_S9_N2at6native12_GLOBAL__N_18offset_tEEE10hipError_tPvRmT1_PNSt15iterator_traitsISH_E10value_typeET2_T3_PNSI_ISN_E10value_typeET4_jRbjT5_ST_jjP12ihipStream_tbEUlT_E2_NS1_11comp_targetILNS1_3genE4ELNS1_11target_archE910ELNS1_3gpuE8ELNS1_3repE0EEENS1_30default_config_static_selectorELNS0_4arch9wavefront6targetE0EEEvSH_.has_dyn_sized_stack, 0
	.set _ZN7rocprim17ROCPRIM_400000_NS6detail17trampoline_kernelINS0_14default_configENS1_36segmented_radix_sort_config_selectorIllEEZNS1_25segmented_radix_sort_implIS3_Lb1EPKlPlS8_S9_N2at6native12_GLOBAL__N_18offset_tEEE10hipError_tPvRmT1_PNSt15iterator_traitsISH_E10value_typeET2_T3_PNSI_ISN_E10value_typeET4_jRbjT5_ST_jjP12ihipStream_tbEUlT_E2_NS1_11comp_targetILNS1_3genE4ELNS1_11target_archE910ELNS1_3gpuE8ELNS1_3repE0EEENS1_30default_config_static_selectorELNS0_4arch9wavefront6targetE0EEEvSH_.has_recursion, 0
	.set _ZN7rocprim17ROCPRIM_400000_NS6detail17trampoline_kernelINS0_14default_configENS1_36segmented_radix_sort_config_selectorIllEEZNS1_25segmented_radix_sort_implIS3_Lb1EPKlPlS8_S9_N2at6native12_GLOBAL__N_18offset_tEEE10hipError_tPvRmT1_PNSt15iterator_traitsISH_E10value_typeET2_T3_PNSI_ISN_E10value_typeET4_jRbjT5_ST_jjP12ihipStream_tbEUlT_E2_NS1_11comp_targetILNS1_3genE4ELNS1_11target_archE910ELNS1_3gpuE8ELNS1_3repE0EEENS1_30default_config_static_selectorELNS0_4arch9wavefront6targetE0EEEvSH_.has_indirect_call, 0
	.section	.AMDGPU.csdata,"",@progbits
; Kernel info:
; codeLenInByte = 0
; TotalNumSgprs: 0
; NumVgprs: 0
; ScratchSize: 0
; MemoryBound: 0
; FloatMode: 240
; IeeeMode: 1
; LDSByteSize: 0 bytes/workgroup (compile time only)
; SGPRBlocks: 0
; VGPRBlocks: 0
; NumSGPRsForWavesPerEU: 1
; NumVGPRsForWavesPerEU: 1
; Occupancy: 16
; WaveLimiterHint : 0
; COMPUTE_PGM_RSRC2:SCRATCH_EN: 0
; COMPUTE_PGM_RSRC2:USER_SGPR: 2
; COMPUTE_PGM_RSRC2:TRAP_HANDLER: 0
; COMPUTE_PGM_RSRC2:TGID_X_EN: 1
; COMPUTE_PGM_RSRC2:TGID_Y_EN: 0
; COMPUTE_PGM_RSRC2:TGID_Z_EN: 0
; COMPUTE_PGM_RSRC2:TIDIG_COMP_CNT: 0
	.section	.text._ZN7rocprim17ROCPRIM_400000_NS6detail17trampoline_kernelINS0_14default_configENS1_36segmented_radix_sort_config_selectorIllEEZNS1_25segmented_radix_sort_implIS3_Lb1EPKlPlS8_S9_N2at6native12_GLOBAL__N_18offset_tEEE10hipError_tPvRmT1_PNSt15iterator_traitsISH_E10value_typeET2_T3_PNSI_ISN_E10value_typeET4_jRbjT5_ST_jjP12ihipStream_tbEUlT_E2_NS1_11comp_targetILNS1_3genE3ELNS1_11target_archE908ELNS1_3gpuE7ELNS1_3repE0EEENS1_30default_config_static_selectorELNS0_4arch9wavefront6targetE0EEEvSH_,"axG",@progbits,_ZN7rocprim17ROCPRIM_400000_NS6detail17trampoline_kernelINS0_14default_configENS1_36segmented_radix_sort_config_selectorIllEEZNS1_25segmented_radix_sort_implIS3_Lb1EPKlPlS8_S9_N2at6native12_GLOBAL__N_18offset_tEEE10hipError_tPvRmT1_PNSt15iterator_traitsISH_E10value_typeET2_T3_PNSI_ISN_E10value_typeET4_jRbjT5_ST_jjP12ihipStream_tbEUlT_E2_NS1_11comp_targetILNS1_3genE3ELNS1_11target_archE908ELNS1_3gpuE7ELNS1_3repE0EEENS1_30default_config_static_selectorELNS0_4arch9wavefront6targetE0EEEvSH_,comdat
	.globl	_ZN7rocprim17ROCPRIM_400000_NS6detail17trampoline_kernelINS0_14default_configENS1_36segmented_radix_sort_config_selectorIllEEZNS1_25segmented_radix_sort_implIS3_Lb1EPKlPlS8_S9_N2at6native12_GLOBAL__N_18offset_tEEE10hipError_tPvRmT1_PNSt15iterator_traitsISH_E10value_typeET2_T3_PNSI_ISN_E10value_typeET4_jRbjT5_ST_jjP12ihipStream_tbEUlT_E2_NS1_11comp_targetILNS1_3genE3ELNS1_11target_archE908ELNS1_3gpuE7ELNS1_3repE0EEENS1_30default_config_static_selectorELNS0_4arch9wavefront6targetE0EEEvSH_ ; -- Begin function _ZN7rocprim17ROCPRIM_400000_NS6detail17trampoline_kernelINS0_14default_configENS1_36segmented_radix_sort_config_selectorIllEEZNS1_25segmented_radix_sort_implIS3_Lb1EPKlPlS8_S9_N2at6native12_GLOBAL__N_18offset_tEEE10hipError_tPvRmT1_PNSt15iterator_traitsISH_E10value_typeET2_T3_PNSI_ISN_E10value_typeET4_jRbjT5_ST_jjP12ihipStream_tbEUlT_E2_NS1_11comp_targetILNS1_3genE3ELNS1_11target_archE908ELNS1_3gpuE7ELNS1_3repE0EEENS1_30default_config_static_selectorELNS0_4arch9wavefront6targetE0EEEvSH_
	.p2align	8
	.type	_ZN7rocprim17ROCPRIM_400000_NS6detail17trampoline_kernelINS0_14default_configENS1_36segmented_radix_sort_config_selectorIllEEZNS1_25segmented_radix_sort_implIS3_Lb1EPKlPlS8_S9_N2at6native12_GLOBAL__N_18offset_tEEE10hipError_tPvRmT1_PNSt15iterator_traitsISH_E10value_typeET2_T3_PNSI_ISN_E10value_typeET4_jRbjT5_ST_jjP12ihipStream_tbEUlT_E2_NS1_11comp_targetILNS1_3genE3ELNS1_11target_archE908ELNS1_3gpuE7ELNS1_3repE0EEENS1_30default_config_static_selectorELNS0_4arch9wavefront6targetE0EEEvSH_,@function
_ZN7rocprim17ROCPRIM_400000_NS6detail17trampoline_kernelINS0_14default_configENS1_36segmented_radix_sort_config_selectorIllEEZNS1_25segmented_radix_sort_implIS3_Lb1EPKlPlS8_S9_N2at6native12_GLOBAL__N_18offset_tEEE10hipError_tPvRmT1_PNSt15iterator_traitsISH_E10value_typeET2_T3_PNSI_ISN_E10value_typeET4_jRbjT5_ST_jjP12ihipStream_tbEUlT_E2_NS1_11comp_targetILNS1_3genE3ELNS1_11target_archE908ELNS1_3gpuE7ELNS1_3repE0EEENS1_30default_config_static_selectorELNS0_4arch9wavefront6targetE0EEEvSH_: ; @_ZN7rocprim17ROCPRIM_400000_NS6detail17trampoline_kernelINS0_14default_configENS1_36segmented_radix_sort_config_selectorIllEEZNS1_25segmented_radix_sort_implIS3_Lb1EPKlPlS8_S9_N2at6native12_GLOBAL__N_18offset_tEEE10hipError_tPvRmT1_PNSt15iterator_traitsISH_E10value_typeET2_T3_PNSI_ISN_E10value_typeET4_jRbjT5_ST_jjP12ihipStream_tbEUlT_E2_NS1_11comp_targetILNS1_3genE3ELNS1_11target_archE908ELNS1_3gpuE7ELNS1_3repE0EEENS1_30default_config_static_selectorELNS0_4arch9wavefront6targetE0EEEvSH_
; %bb.0:
	.section	.rodata,"a",@progbits
	.p2align	6, 0x0
	.amdhsa_kernel _ZN7rocprim17ROCPRIM_400000_NS6detail17trampoline_kernelINS0_14default_configENS1_36segmented_radix_sort_config_selectorIllEEZNS1_25segmented_radix_sort_implIS3_Lb1EPKlPlS8_S9_N2at6native12_GLOBAL__N_18offset_tEEE10hipError_tPvRmT1_PNSt15iterator_traitsISH_E10value_typeET2_T3_PNSI_ISN_E10value_typeET4_jRbjT5_ST_jjP12ihipStream_tbEUlT_E2_NS1_11comp_targetILNS1_3genE3ELNS1_11target_archE908ELNS1_3gpuE7ELNS1_3repE0EEENS1_30default_config_static_selectorELNS0_4arch9wavefront6targetE0EEEvSH_
		.amdhsa_group_segment_fixed_size 0
		.amdhsa_private_segment_fixed_size 0
		.amdhsa_kernarg_size 80
		.amdhsa_user_sgpr_count 2
		.amdhsa_user_sgpr_dispatch_ptr 0
		.amdhsa_user_sgpr_queue_ptr 0
		.amdhsa_user_sgpr_kernarg_segment_ptr 1
		.amdhsa_user_sgpr_dispatch_id 0
		.amdhsa_user_sgpr_private_segment_size 0
		.amdhsa_wavefront_size32 1
		.amdhsa_uses_dynamic_stack 0
		.amdhsa_enable_private_segment 0
		.amdhsa_system_sgpr_workgroup_id_x 1
		.amdhsa_system_sgpr_workgroup_id_y 0
		.amdhsa_system_sgpr_workgroup_id_z 0
		.amdhsa_system_sgpr_workgroup_info 0
		.amdhsa_system_vgpr_workitem_id 0
		.amdhsa_next_free_vgpr 1
		.amdhsa_next_free_sgpr 1
		.amdhsa_reserve_vcc 0
		.amdhsa_float_round_mode_32 0
		.amdhsa_float_round_mode_16_64 0
		.amdhsa_float_denorm_mode_32 3
		.amdhsa_float_denorm_mode_16_64 3
		.amdhsa_fp16_overflow 0
		.amdhsa_workgroup_processor_mode 1
		.amdhsa_memory_ordered 1
		.amdhsa_forward_progress 1
		.amdhsa_inst_pref_size 0
		.amdhsa_round_robin_scheduling 0
		.amdhsa_exception_fp_ieee_invalid_op 0
		.amdhsa_exception_fp_denorm_src 0
		.amdhsa_exception_fp_ieee_div_zero 0
		.amdhsa_exception_fp_ieee_overflow 0
		.amdhsa_exception_fp_ieee_underflow 0
		.amdhsa_exception_fp_ieee_inexact 0
		.amdhsa_exception_int_div_zero 0
	.end_amdhsa_kernel
	.section	.text._ZN7rocprim17ROCPRIM_400000_NS6detail17trampoline_kernelINS0_14default_configENS1_36segmented_radix_sort_config_selectorIllEEZNS1_25segmented_radix_sort_implIS3_Lb1EPKlPlS8_S9_N2at6native12_GLOBAL__N_18offset_tEEE10hipError_tPvRmT1_PNSt15iterator_traitsISH_E10value_typeET2_T3_PNSI_ISN_E10value_typeET4_jRbjT5_ST_jjP12ihipStream_tbEUlT_E2_NS1_11comp_targetILNS1_3genE3ELNS1_11target_archE908ELNS1_3gpuE7ELNS1_3repE0EEENS1_30default_config_static_selectorELNS0_4arch9wavefront6targetE0EEEvSH_,"axG",@progbits,_ZN7rocprim17ROCPRIM_400000_NS6detail17trampoline_kernelINS0_14default_configENS1_36segmented_radix_sort_config_selectorIllEEZNS1_25segmented_radix_sort_implIS3_Lb1EPKlPlS8_S9_N2at6native12_GLOBAL__N_18offset_tEEE10hipError_tPvRmT1_PNSt15iterator_traitsISH_E10value_typeET2_T3_PNSI_ISN_E10value_typeET4_jRbjT5_ST_jjP12ihipStream_tbEUlT_E2_NS1_11comp_targetILNS1_3genE3ELNS1_11target_archE908ELNS1_3gpuE7ELNS1_3repE0EEENS1_30default_config_static_selectorELNS0_4arch9wavefront6targetE0EEEvSH_,comdat
.Lfunc_end737:
	.size	_ZN7rocprim17ROCPRIM_400000_NS6detail17trampoline_kernelINS0_14default_configENS1_36segmented_radix_sort_config_selectorIllEEZNS1_25segmented_radix_sort_implIS3_Lb1EPKlPlS8_S9_N2at6native12_GLOBAL__N_18offset_tEEE10hipError_tPvRmT1_PNSt15iterator_traitsISH_E10value_typeET2_T3_PNSI_ISN_E10value_typeET4_jRbjT5_ST_jjP12ihipStream_tbEUlT_E2_NS1_11comp_targetILNS1_3genE3ELNS1_11target_archE908ELNS1_3gpuE7ELNS1_3repE0EEENS1_30default_config_static_selectorELNS0_4arch9wavefront6targetE0EEEvSH_, .Lfunc_end737-_ZN7rocprim17ROCPRIM_400000_NS6detail17trampoline_kernelINS0_14default_configENS1_36segmented_radix_sort_config_selectorIllEEZNS1_25segmented_radix_sort_implIS3_Lb1EPKlPlS8_S9_N2at6native12_GLOBAL__N_18offset_tEEE10hipError_tPvRmT1_PNSt15iterator_traitsISH_E10value_typeET2_T3_PNSI_ISN_E10value_typeET4_jRbjT5_ST_jjP12ihipStream_tbEUlT_E2_NS1_11comp_targetILNS1_3genE3ELNS1_11target_archE908ELNS1_3gpuE7ELNS1_3repE0EEENS1_30default_config_static_selectorELNS0_4arch9wavefront6targetE0EEEvSH_
                                        ; -- End function
	.set _ZN7rocprim17ROCPRIM_400000_NS6detail17trampoline_kernelINS0_14default_configENS1_36segmented_radix_sort_config_selectorIllEEZNS1_25segmented_radix_sort_implIS3_Lb1EPKlPlS8_S9_N2at6native12_GLOBAL__N_18offset_tEEE10hipError_tPvRmT1_PNSt15iterator_traitsISH_E10value_typeET2_T3_PNSI_ISN_E10value_typeET4_jRbjT5_ST_jjP12ihipStream_tbEUlT_E2_NS1_11comp_targetILNS1_3genE3ELNS1_11target_archE908ELNS1_3gpuE7ELNS1_3repE0EEENS1_30default_config_static_selectorELNS0_4arch9wavefront6targetE0EEEvSH_.num_vgpr, 0
	.set _ZN7rocprim17ROCPRIM_400000_NS6detail17trampoline_kernelINS0_14default_configENS1_36segmented_radix_sort_config_selectorIllEEZNS1_25segmented_radix_sort_implIS3_Lb1EPKlPlS8_S9_N2at6native12_GLOBAL__N_18offset_tEEE10hipError_tPvRmT1_PNSt15iterator_traitsISH_E10value_typeET2_T3_PNSI_ISN_E10value_typeET4_jRbjT5_ST_jjP12ihipStream_tbEUlT_E2_NS1_11comp_targetILNS1_3genE3ELNS1_11target_archE908ELNS1_3gpuE7ELNS1_3repE0EEENS1_30default_config_static_selectorELNS0_4arch9wavefront6targetE0EEEvSH_.num_agpr, 0
	.set _ZN7rocprim17ROCPRIM_400000_NS6detail17trampoline_kernelINS0_14default_configENS1_36segmented_radix_sort_config_selectorIllEEZNS1_25segmented_radix_sort_implIS3_Lb1EPKlPlS8_S9_N2at6native12_GLOBAL__N_18offset_tEEE10hipError_tPvRmT1_PNSt15iterator_traitsISH_E10value_typeET2_T3_PNSI_ISN_E10value_typeET4_jRbjT5_ST_jjP12ihipStream_tbEUlT_E2_NS1_11comp_targetILNS1_3genE3ELNS1_11target_archE908ELNS1_3gpuE7ELNS1_3repE0EEENS1_30default_config_static_selectorELNS0_4arch9wavefront6targetE0EEEvSH_.numbered_sgpr, 0
	.set _ZN7rocprim17ROCPRIM_400000_NS6detail17trampoline_kernelINS0_14default_configENS1_36segmented_radix_sort_config_selectorIllEEZNS1_25segmented_radix_sort_implIS3_Lb1EPKlPlS8_S9_N2at6native12_GLOBAL__N_18offset_tEEE10hipError_tPvRmT1_PNSt15iterator_traitsISH_E10value_typeET2_T3_PNSI_ISN_E10value_typeET4_jRbjT5_ST_jjP12ihipStream_tbEUlT_E2_NS1_11comp_targetILNS1_3genE3ELNS1_11target_archE908ELNS1_3gpuE7ELNS1_3repE0EEENS1_30default_config_static_selectorELNS0_4arch9wavefront6targetE0EEEvSH_.num_named_barrier, 0
	.set _ZN7rocprim17ROCPRIM_400000_NS6detail17trampoline_kernelINS0_14default_configENS1_36segmented_radix_sort_config_selectorIllEEZNS1_25segmented_radix_sort_implIS3_Lb1EPKlPlS8_S9_N2at6native12_GLOBAL__N_18offset_tEEE10hipError_tPvRmT1_PNSt15iterator_traitsISH_E10value_typeET2_T3_PNSI_ISN_E10value_typeET4_jRbjT5_ST_jjP12ihipStream_tbEUlT_E2_NS1_11comp_targetILNS1_3genE3ELNS1_11target_archE908ELNS1_3gpuE7ELNS1_3repE0EEENS1_30default_config_static_selectorELNS0_4arch9wavefront6targetE0EEEvSH_.private_seg_size, 0
	.set _ZN7rocprim17ROCPRIM_400000_NS6detail17trampoline_kernelINS0_14default_configENS1_36segmented_radix_sort_config_selectorIllEEZNS1_25segmented_radix_sort_implIS3_Lb1EPKlPlS8_S9_N2at6native12_GLOBAL__N_18offset_tEEE10hipError_tPvRmT1_PNSt15iterator_traitsISH_E10value_typeET2_T3_PNSI_ISN_E10value_typeET4_jRbjT5_ST_jjP12ihipStream_tbEUlT_E2_NS1_11comp_targetILNS1_3genE3ELNS1_11target_archE908ELNS1_3gpuE7ELNS1_3repE0EEENS1_30default_config_static_selectorELNS0_4arch9wavefront6targetE0EEEvSH_.uses_vcc, 0
	.set _ZN7rocprim17ROCPRIM_400000_NS6detail17trampoline_kernelINS0_14default_configENS1_36segmented_radix_sort_config_selectorIllEEZNS1_25segmented_radix_sort_implIS3_Lb1EPKlPlS8_S9_N2at6native12_GLOBAL__N_18offset_tEEE10hipError_tPvRmT1_PNSt15iterator_traitsISH_E10value_typeET2_T3_PNSI_ISN_E10value_typeET4_jRbjT5_ST_jjP12ihipStream_tbEUlT_E2_NS1_11comp_targetILNS1_3genE3ELNS1_11target_archE908ELNS1_3gpuE7ELNS1_3repE0EEENS1_30default_config_static_selectorELNS0_4arch9wavefront6targetE0EEEvSH_.uses_flat_scratch, 0
	.set _ZN7rocprim17ROCPRIM_400000_NS6detail17trampoline_kernelINS0_14default_configENS1_36segmented_radix_sort_config_selectorIllEEZNS1_25segmented_radix_sort_implIS3_Lb1EPKlPlS8_S9_N2at6native12_GLOBAL__N_18offset_tEEE10hipError_tPvRmT1_PNSt15iterator_traitsISH_E10value_typeET2_T3_PNSI_ISN_E10value_typeET4_jRbjT5_ST_jjP12ihipStream_tbEUlT_E2_NS1_11comp_targetILNS1_3genE3ELNS1_11target_archE908ELNS1_3gpuE7ELNS1_3repE0EEENS1_30default_config_static_selectorELNS0_4arch9wavefront6targetE0EEEvSH_.has_dyn_sized_stack, 0
	.set _ZN7rocprim17ROCPRIM_400000_NS6detail17trampoline_kernelINS0_14default_configENS1_36segmented_radix_sort_config_selectorIllEEZNS1_25segmented_radix_sort_implIS3_Lb1EPKlPlS8_S9_N2at6native12_GLOBAL__N_18offset_tEEE10hipError_tPvRmT1_PNSt15iterator_traitsISH_E10value_typeET2_T3_PNSI_ISN_E10value_typeET4_jRbjT5_ST_jjP12ihipStream_tbEUlT_E2_NS1_11comp_targetILNS1_3genE3ELNS1_11target_archE908ELNS1_3gpuE7ELNS1_3repE0EEENS1_30default_config_static_selectorELNS0_4arch9wavefront6targetE0EEEvSH_.has_recursion, 0
	.set _ZN7rocprim17ROCPRIM_400000_NS6detail17trampoline_kernelINS0_14default_configENS1_36segmented_radix_sort_config_selectorIllEEZNS1_25segmented_radix_sort_implIS3_Lb1EPKlPlS8_S9_N2at6native12_GLOBAL__N_18offset_tEEE10hipError_tPvRmT1_PNSt15iterator_traitsISH_E10value_typeET2_T3_PNSI_ISN_E10value_typeET4_jRbjT5_ST_jjP12ihipStream_tbEUlT_E2_NS1_11comp_targetILNS1_3genE3ELNS1_11target_archE908ELNS1_3gpuE7ELNS1_3repE0EEENS1_30default_config_static_selectorELNS0_4arch9wavefront6targetE0EEEvSH_.has_indirect_call, 0
	.section	.AMDGPU.csdata,"",@progbits
; Kernel info:
; codeLenInByte = 0
; TotalNumSgprs: 0
; NumVgprs: 0
; ScratchSize: 0
; MemoryBound: 0
; FloatMode: 240
; IeeeMode: 1
; LDSByteSize: 0 bytes/workgroup (compile time only)
; SGPRBlocks: 0
; VGPRBlocks: 0
; NumSGPRsForWavesPerEU: 1
; NumVGPRsForWavesPerEU: 1
; Occupancy: 16
; WaveLimiterHint : 0
; COMPUTE_PGM_RSRC2:SCRATCH_EN: 0
; COMPUTE_PGM_RSRC2:USER_SGPR: 2
; COMPUTE_PGM_RSRC2:TRAP_HANDLER: 0
; COMPUTE_PGM_RSRC2:TGID_X_EN: 1
; COMPUTE_PGM_RSRC2:TGID_Y_EN: 0
; COMPUTE_PGM_RSRC2:TGID_Z_EN: 0
; COMPUTE_PGM_RSRC2:TIDIG_COMP_CNT: 0
	.section	.text._ZN7rocprim17ROCPRIM_400000_NS6detail17trampoline_kernelINS0_14default_configENS1_36segmented_radix_sort_config_selectorIllEEZNS1_25segmented_radix_sort_implIS3_Lb1EPKlPlS8_S9_N2at6native12_GLOBAL__N_18offset_tEEE10hipError_tPvRmT1_PNSt15iterator_traitsISH_E10value_typeET2_T3_PNSI_ISN_E10value_typeET4_jRbjT5_ST_jjP12ihipStream_tbEUlT_E2_NS1_11comp_targetILNS1_3genE2ELNS1_11target_archE906ELNS1_3gpuE6ELNS1_3repE0EEENS1_30default_config_static_selectorELNS0_4arch9wavefront6targetE0EEEvSH_,"axG",@progbits,_ZN7rocprim17ROCPRIM_400000_NS6detail17trampoline_kernelINS0_14default_configENS1_36segmented_radix_sort_config_selectorIllEEZNS1_25segmented_radix_sort_implIS3_Lb1EPKlPlS8_S9_N2at6native12_GLOBAL__N_18offset_tEEE10hipError_tPvRmT1_PNSt15iterator_traitsISH_E10value_typeET2_T3_PNSI_ISN_E10value_typeET4_jRbjT5_ST_jjP12ihipStream_tbEUlT_E2_NS1_11comp_targetILNS1_3genE2ELNS1_11target_archE906ELNS1_3gpuE6ELNS1_3repE0EEENS1_30default_config_static_selectorELNS0_4arch9wavefront6targetE0EEEvSH_,comdat
	.globl	_ZN7rocprim17ROCPRIM_400000_NS6detail17trampoline_kernelINS0_14default_configENS1_36segmented_radix_sort_config_selectorIllEEZNS1_25segmented_radix_sort_implIS3_Lb1EPKlPlS8_S9_N2at6native12_GLOBAL__N_18offset_tEEE10hipError_tPvRmT1_PNSt15iterator_traitsISH_E10value_typeET2_T3_PNSI_ISN_E10value_typeET4_jRbjT5_ST_jjP12ihipStream_tbEUlT_E2_NS1_11comp_targetILNS1_3genE2ELNS1_11target_archE906ELNS1_3gpuE6ELNS1_3repE0EEENS1_30default_config_static_selectorELNS0_4arch9wavefront6targetE0EEEvSH_ ; -- Begin function _ZN7rocprim17ROCPRIM_400000_NS6detail17trampoline_kernelINS0_14default_configENS1_36segmented_radix_sort_config_selectorIllEEZNS1_25segmented_radix_sort_implIS3_Lb1EPKlPlS8_S9_N2at6native12_GLOBAL__N_18offset_tEEE10hipError_tPvRmT1_PNSt15iterator_traitsISH_E10value_typeET2_T3_PNSI_ISN_E10value_typeET4_jRbjT5_ST_jjP12ihipStream_tbEUlT_E2_NS1_11comp_targetILNS1_3genE2ELNS1_11target_archE906ELNS1_3gpuE6ELNS1_3repE0EEENS1_30default_config_static_selectorELNS0_4arch9wavefront6targetE0EEEvSH_
	.p2align	8
	.type	_ZN7rocprim17ROCPRIM_400000_NS6detail17trampoline_kernelINS0_14default_configENS1_36segmented_radix_sort_config_selectorIllEEZNS1_25segmented_radix_sort_implIS3_Lb1EPKlPlS8_S9_N2at6native12_GLOBAL__N_18offset_tEEE10hipError_tPvRmT1_PNSt15iterator_traitsISH_E10value_typeET2_T3_PNSI_ISN_E10value_typeET4_jRbjT5_ST_jjP12ihipStream_tbEUlT_E2_NS1_11comp_targetILNS1_3genE2ELNS1_11target_archE906ELNS1_3gpuE6ELNS1_3repE0EEENS1_30default_config_static_selectorELNS0_4arch9wavefront6targetE0EEEvSH_,@function
_ZN7rocprim17ROCPRIM_400000_NS6detail17trampoline_kernelINS0_14default_configENS1_36segmented_radix_sort_config_selectorIllEEZNS1_25segmented_radix_sort_implIS3_Lb1EPKlPlS8_S9_N2at6native12_GLOBAL__N_18offset_tEEE10hipError_tPvRmT1_PNSt15iterator_traitsISH_E10value_typeET2_T3_PNSI_ISN_E10value_typeET4_jRbjT5_ST_jjP12ihipStream_tbEUlT_E2_NS1_11comp_targetILNS1_3genE2ELNS1_11target_archE906ELNS1_3gpuE6ELNS1_3repE0EEENS1_30default_config_static_selectorELNS0_4arch9wavefront6targetE0EEEvSH_: ; @_ZN7rocprim17ROCPRIM_400000_NS6detail17trampoline_kernelINS0_14default_configENS1_36segmented_radix_sort_config_selectorIllEEZNS1_25segmented_radix_sort_implIS3_Lb1EPKlPlS8_S9_N2at6native12_GLOBAL__N_18offset_tEEE10hipError_tPvRmT1_PNSt15iterator_traitsISH_E10value_typeET2_T3_PNSI_ISN_E10value_typeET4_jRbjT5_ST_jjP12ihipStream_tbEUlT_E2_NS1_11comp_targetILNS1_3genE2ELNS1_11target_archE906ELNS1_3gpuE6ELNS1_3repE0EEENS1_30default_config_static_selectorELNS0_4arch9wavefront6targetE0EEEvSH_
; %bb.0:
	.section	.rodata,"a",@progbits
	.p2align	6, 0x0
	.amdhsa_kernel _ZN7rocprim17ROCPRIM_400000_NS6detail17trampoline_kernelINS0_14default_configENS1_36segmented_radix_sort_config_selectorIllEEZNS1_25segmented_radix_sort_implIS3_Lb1EPKlPlS8_S9_N2at6native12_GLOBAL__N_18offset_tEEE10hipError_tPvRmT1_PNSt15iterator_traitsISH_E10value_typeET2_T3_PNSI_ISN_E10value_typeET4_jRbjT5_ST_jjP12ihipStream_tbEUlT_E2_NS1_11comp_targetILNS1_3genE2ELNS1_11target_archE906ELNS1_3gpuE6ELNS1_3repE0EEENS1_30default_config_static_selectorELNS0_4arch9wavefront6targetE0EEEvSH_
		.amdhsa_group_segment_fixed_size 0
		.amdhsa_private_segment_fixed_size 0
		.amdhsa_kernarg_size 80
		.amdhsa_user_sgpr_count 2
		.amdhsa_user_sgpr_dispatch_ptr 0
		.amdhsa_user_sgpr_queue_ptr 0
		.amdhsa_user_sgpr_kernarg_segment_ptr 1
		.amdhsa_user_sgpr_dispatch_id 0
		.amdhsa_user_sgpr_private_segment_size 0
		.amdhsa_wavefront_size32 1
		.amdhsa_uses_dynamic_stack 0
		.amdhsa_enable_private_segment 0
		.amdhsa_system_sgpr_workgroup_id_x 1
		.amdhsa_system_sgpr_workgroup_id_y 0
		.amdhsa_system_sgpr_workgroup_id_z 0
		.amdhsa_system_sgpr_workgroup_info 0
		.amdhsa_system_vgpr_workitem_id 0
		.amdhsa_next_free_vgpr 1
		.amdhsa_next_free_sgpr 1
		.amdhsa_reserve_vcc 0
		.amdhsa_float_round_mode_32 0
		.amdhsa_float_round_mode_16_64 0
		.amdhsa_float_denorm_mode_32 3
		.amdhsa_float_denorm_mode_16_64 3
		.amdhsa_fp16_overflow 0
		.amdhsa_workgroup_processor_mode 1
		.amdhsa_memory_ordered 1
		.amdhsa_forward_progress 1
		.amdhsa_inst_pref_size 0
		.amdhsa_round_robin_scheduling 0
		.amdhsa_exception_fp_ieee_invalid_op 0
		.amdhsa_exception_fp_denorm_src 0
		.amdhsa_exception_fp_ieee_div_zero 0
		.amdhsa_exception_fp_ieee_overflow 0
		.amdhsa_exception_fp_ieee_underflow 0
		.amdhsa_exception_fp_ieee_inexact 0
		.amdhsa_exception_int_div_zero 0
	.end_amdhsa_kernel
	.section	.text._ZN7rocprim17ROCPRIM_400000_NS6detail17trampoline_kernelINS0_14default_configENS1_36segmented_radix_sort_config_selectorIllEEZNS1_25segmented_radix_sort_implIS3_Lb1EPKlPlS8_S9_N2at6native12_GLOBAL__N_18offset_tEEE10hipError_tPvRmT1_PNSt15iterator_traitsISH_E10value_typeET2_T3_PNSI_ISN_E10value_typeET4_jRbjT5_ST_jjP12ihipStream_tbEUlT_E2_NS1_11comp_targetILNS1_3genE2ELNS1_11target_archE906ELNS1_3gpuE6ELNS1_3repE0EEENS1_30default_config_static_selectorELNS0_4arch9wavefront6targetE0EEEvSH_,"axG",@progbits,_ZN7rocprim17ROCPRIM_400000_NS6detail17trampoline_kernelINS0_14default_configENS1_36segmented_radix_sort_config_selectorIllEEZNS1_25segmented_radix_sort_implIS3_Lb1EPKlPlS8_S9_N2at6native12_GLOBAL__N_18offset_tEEE10hipError_tPvRmT1_PNSt15iterator_traitsISH_E10value_typeET2_T3_PNSI_ISN_E10value_typeET4_jRbjT5_ST_jjP12ihipStream_tbEUlT_E2_NS1_11comp_targetILNS1_3genE2ELNS1_11target_archE906ELNS1_3gpuE6ELNS1_3repE0EEENS1_30default_config_static_selectorELNS0_4arch9wavefront6targetE0EEEvSH_,comdat
.Lfunc_end738:
	.size	_ZN7rocprim17ROCPRIM_400000_NS6detail17trampoline_kernelINS0_14default_configENS1_36segmented_radix_sort_config_selectorIllEEZNS1_25segmented_radix_sort_implIS3_Lb1EPKlPlS8_S9_N2at6native12_GLOBAL__N_18offset_tEEE10hipError_tPvRmT1_PNSt15iterator_traitsISH_E10value_typeET2_T3_PNSI_ISN_E10value_typeET4_jRbjT5_ST_jjP12ihipStream_tbEUlT_E2_NS1_11comp_targetILNS1_3genE2ELNS1_11target_archE906ELNS1_3gpuE6ELNS1_3repE0EEENS1_30default_config_static_selectorELNS0_4arch9wavefront6targetE0EEEvSH_, .Lfunc_end738-_ZN7rocprim17ROCPRIM_400000_NS6detail17trampoline_kernelINS0_14default_configENS1_36segmented_radix_sort_config_selectorIllEEZNS1_25segmented_radix_sort_implIS3_Lb1EPKlPlS8_S9_N2at6native12_GLOBAL__N_18offset_tEEE10hipError_tPvRmT1_PNSt15iterator_traitsISH_E10value_typeET2_T3_PNSI_ISN_E10value_typeET4_jRbjT5_ST_jjP12ihipStream_tbEUlT_E2_NS1_11comp_targetILNS1_3genE2ELNS1_11target_archE906ELNS1_3gpuE6ELNS1_3repE0EEENS1_30default_config_static_selectorELNS0_4arch9wavefront6targetE0EEEvSH_
                                        ; -- End function
	.set _ZN7rocprim17ROCPRIM_400000_NS6detail17trampoline_kernelINS0_14default_configENS1_36segmented_radix_sort_config_selectorIllEEZNS1_25segmented_radix_sort_implIS3_Lb1EPKlPlS8_S9_N2at6native12_GLOBAL__N_18offset_tEEE10hipError_tPvRmT1_PNSt15iterator_traitsISH_E10value_typeET2_T3_PNSI_ISN_E10value_typeET4_jRbjT5_ST_jjP12ihipStream_tbEUlT_E2_NS1_11comp_targetILNS1_3genE2ELNS1_11target_archE906ELNS1_3gpuE6ELNS1_3repE0EEENS1_30default_config_static_selectorELNS0_4arch9wavefront6targetE0EEEvSH_.num_vgpr, 0
	.set _ZN7rocprim17ROCPRIM_400000_NS6detail17trampoline_kernelINS0_14default_configENS1_36segmented_radix_sort_config_selectorIllEEZNS1_25segmented_radix_sort_implIS3_Lb1EPKlPlS8_S9_N2at6native12_GLOBAL__N_18offset_tEEE10hipError_tPvRmT1_PNSt15iterator_traitsISH_E10value_typeET2_T3_PNSI_ISN_E10value_typeET4_jRbjT5_ST_jjP12ihipStream_tbEUlT_E2_NS1_11comp_targetILNS1_3genE2ELNS1_11target_archE906ELNS1_3gpuE6ELNS1_3repE0EEENS1_30default_config_static_selectorELNS0_4arch9wavefront6targetE0EEEvSH_.num_agpr, 0
	.set _ZN7rocprim17ROCPRIM_400000_NS6detail17trampoline_kernelINS0_14default_configENS1_36segmented_radix_sort_config_selectorIllEEZNS1_25segmented_radix_sort_implIS3_Lb1EPKlPlS8_S9_N2at6native12_GLOBAL__N_18offset_tEEE10hipError_tPvRmT1_PNSt15iterator_traitsISH_E10value_typeET2_T3_PNSI_ISN_E10value_typeET4_jRbjT5_ST_jjP12ihipStream_tbEUlT_E2_NS1_11comp_targetILNS1_3genE2ELNS1_11target_archE906ELNS1_3gpuE6ELNS1_3repE0EEENS1_30default_config_static_selectorELNS0_4arch9wavefront6targetE0EEEvSH_.numbered_sgpr, 0
	.set _ZN7rocprim17ROCPRIM_400000_NS6detail17trampoline_kernelINS0_14default_configENS1_36segmented_radix_sort_config_selectorIllEEZNS1_25segmented_radix_sort_implIS3_Lb1EPKlPlS8_S9_N2at6native12_GLOBAL__N_18offset_tEEE10hipError_tPvRmT1_PNSt15iterator_traitsISH_E10value_typeET2_T3_PNSI_ISN_E10value_typeET4_jRbjT5_ST_jjP12ihipStream_tbEUlT_E2_NS1_11comp_targetILNS1_3genE2ELNS1_11target_archE906ELNS1_3gpuE6ELNS1_3repE0EEENS1_30default_config_static_selectorELNS0_4arch9wavefront6targetE0EEEvSH_.num_named_barrier, 0
	.set _ZN7rocprim17ROCPRIM_400000_NS6detail17trampoline_kernelINS0_14default_configENS1_36segmented_radix_sort_config_selectorIllEEZNS1_25segmented_radix_sort_implIS3_Lb1EPKlPlS8_S9_N2at6native12_GLOBAL__N_18offset_tEEE10hipError_tPvRmT1_PNSt15iterator_traitsISH_E10value_typeET2_T3_PNSI_ISN_E10value_typeET4_jRbjT5_ST_jjP12ihipStream_tbEUlT_E2_NS1_11comp_targetILNS1_3genE2ELNS1_11target_archE906ELNS1_3gpuE6ELNS1_3repE0EEENS1_30default_config_static_selectorELNS0_4arch9wavefront6targetE0EEEvSH_.private_seg_size, 0
	.set _ZN7rocprim17ROCPRIM_400000_NS6detail17trampoline_kernelINS0_14default_configENS1_36segmented_radix_sort_config_selectorIllEEZNS1_25segmented_radix_sort_implIS3_Lb1EPKlPlS8_S9_N2at6native12_GLOBAL__N_18offset_tEEE10hipError_tPvRmT1_PNSt15iterator_traitsISH_E10value_typeET2_T3_PNSI_ISN_E10value_typeET4_jRbjT5_ST_jjP12ihipStream_tbEUlT_E2_NS1_11comp_targetILNS1_3genE2ELNS1_11target_archE906ELNS1_3gpuE6ELNS1_3repE0EEENS1_30default_config_static_selectorELNS0_4arch9wavefront6targetE0EEEvSH_.uses_vcc, 0
	.set _ZN7rocprim17ROCPRIM_400000_NS6detail17trampoline_kernelINS0_14default_configENS1_36segmented_radix_sort_config_selectorIllEEZNS1_25segmented_radix_sort_implIS3_Lb1EPKlPlS8_S9_N2at6native12_GLOBAL__N_18offset_tEEE10hipError_tPvRmT1_PNSt15iterator_traitsISH_E10value_typeET2_T3_PNSI_ISN_E10value_typeET4_jRbjT5_ST_jjP12ihipStream_tbEUlT_E2_NS1_11comp_targetILNS1_3genE2ELNS1_11target_archE906ELNS1_3gpuE6ELNS1_3repE0EEENS1_30default_config_static_selectorELNS0_4arch9wavefront6targetE0EEEvSH_.uses_flat_scratch, 0
	.set _ZN7rocprim17ROCPRIM_400000_NS6detail17trampoline_kernelINS0_14default_configENS1_36segmented_radix_sort_config_selectorIllEEZNS1_25segmented_radix_sort_implIS3_Lb1EPKlPlS8_S9_N2at6native12_GLOBAL__N_18offset_tEEE10hipError_tPvRmT1_PNSt15iterator_traitsISH_E10value_typeET2_T3_PNSI_ISN_E10value_typeET4_jRbjT5_ST_jjP12ihipStream_tbEUlT_E2_NS1_11comp_targetILNS1_3genE2ELNS1_11target_archE906ELNS1_3gpuE6ELNS1_3repE0EEENS1_30default_config_static_selectorELNS0_4arch9wavefront6targetE0EEEvSH_.has_dyn_sized_stack, 0
	.set _ZN7rocprim17ROCPRIM_400000_NS6detail17trampoline_kernelINS0_14default_configENS1_36segmented_radix_sort_config_selectorIllEEZNS1_25segmented_radix_sort_implIS3_Lb1EPKlPlS8_S9_N2at6native12_GLOBAL__N_18offset_tEEE10hipError_tPvRmT1_PNSt15iterator_traitsISH_E10value_typeET2_T3_PNSI_ISN_E10value_typeET4_jRbjT5_ST_jjP12ihipStream_tbEUlT_E2_NS1_11comp_targetILNS1_3genE2ELNS1_11target_archE906ELNS1_3gpuE6ELNS1_3repE0EEENS1_30default_config_static_selectorELNS0_4arch9wavefront6targetE0EEEvSH_.has_recursion, 0
	.set _ZN7rocprim17ROCPRIM_400000_NS6detail17trampoline_kernelINS0_14default_configENS1_36segmented_radix_sort_config_selectorIllEEZNS1_25segmented_radix_sort_implIS3_Lb1EPKlPlS8_S9_N2at6native12_GLOBAL__N_18offset_tEEE10hipError_tPvRmT1_PNSt15iterator_traitsISH_E10value_typeET2_T3_PNSI_ISN_E10value_typeET4_jRbjT5_ST_jjP12ihipStream_tbEUlT_E2_NS1_11comp_targetILNS1_3genE2ELNS1_11target_archE906ELNS1_3gpuE6ELNS1_3repE0EEENS1_30default_config_static_selectorELNS0_4arch9wavefront6targetE0EEEvSH_.has_indirect_call, 0
	.section	.AMDGPU.csdata,"",@progbits
; Kernel info:
; codeLenInByte = 0
; TotalNumSgprs: 0
; NumVgprs: 0
; ScratchSize: 0
; MemoryBound: 0
; FloatMode: 240
; IeeeMode: 1
; LDSByteSize: 0 bytes/workgroup (compile time only)
; SGPRBlocks: 0
; VGPRBlocks: 0
; NumSGPRsForWavesPerEU: 1
; NumVGPRsForWavesPerEU: 1
; Occupancy: 16
; WaveLimiterHint : 0
; COMPUTE_PGM_RSRC2:SCRATCH_EN: 0
; COMPUTE_PGM_RSRC2:USER_SGPR: 2
; COMPUTE_PGM_RSRC2:TRAP_HANDLER: 0
; COMPUTE_PGM_RSRC2:TGID_X_EN: 1
; COMPUTE_PGM_RSRC2:TGID_Y_EN: 0
; COMPUTE_PGM_RSRC2:TGID_Z_EN: 0
; COMPUTE_PGM_RSRC2:TIDIG_COMP_CNT: 0
	.section	.text._ZN7rocprim17ROCPRIM_400000_NS6detail17trampoline_kernelINS0_14default_configENS1_36segmented_radix_sort_config_selectorIllEEZNS1_25segmented_radix_sort_implIS3_Lb1EPKlPlS8_S9_N2at6native12_GLOBAL__N_18offset_tEEE10hipError_tPvRmT1_PNSt15iterator_traitsISH_E10value_typeET2_T3_PNSI_ISN_E10value_typeET4_jRbjT5_ST_jjP12ihipStream_tbEUlT_E2_NS1_11comp_targetILNS1_3genE10ELNS1_11target_archE1201ELNS1_3gpuE5ELNS1_3repE0EEENS1_30default_config_static_selectorELNS0_4arch9wavefront6targetE0EEEvSH_,"axG",@progbits,_ZN7rocprim17ROCPRIM_400000_NS6detail17trampoline_kernelINS0_14default_configENS1_36segmented_radix_sort_config_selectorIllEEZNS1_25segmented_radix_sort_implIS3_Lb1EPKlPlS8_S9_N2at6native12_GLOBAL__N_18offset_tEEE10hipError_tPvRmT1_PNSt15iterator_traitsISH_E10value_typeET2_T3_PNSI_ISN_E10value_typeET4_jRbjT5_ST_jjP12ihipStream_tbEUlT_E2_NS1_11comp_targetILNS1_3genE10ELNS1_11target_archE1201ELNS1_3gpuE5ELNS1_3repE0EEENS1_30default_config_static_selectorELNS0_4arch9wavefront6targetE0EEEvSH_,comdat
	.globl	_ZN7rocprim17ROCPRIM_400000_NS6detail17trampoline_kernelINS0_14default_configENS1_36segmented_radix_sort_config_selectorIllEEZNS1_25segmented_radix_sort_implIS3_Lb1EPKlPlS8_S9_N2at6native12_GLOBAL__N_18offset_tEEE10hipError_tPvRmT1_PNSt15iterator_traitsISH_E10value_typeET2_T3_PNSI_ISN_E10value_typeET4_jRbjT5_ST_jjP12ihipStream_tbEUlT_E2_NS1_11comp_targetILNS1_3genE10ELNS1_11target_archE1201ELNS1_3gpuE5ELNS1_3repE0EEENS1_30default_config_static_selectorELNS0_4arch9wavefront6targetE0EEEvSH_ ; -- Begin function _ZN7rocprim17ROCPRIM_400000_NS6detail17trampoline_kernelINS0_14default_configENS1_36segmented_radix_sort_config_selectorIllEEZNS1_25segmented_radix_sort_implIS3_Lb1EPKlPlS8_S9_N2at6native12_GLOBAL__N_18offset_tEEE10hipError_tPvRmT1_PNSt15iterator_traitsISH_E10value_typeET2_T3_PNSI_ISN_E10value_typeET4_jRbjT5_ST_jjP12ihipStream_tbEUlT_E2_NS1_11comp_targetILNS1_3genE10ELNS1_11target_archE1201ELNS1_3gpuE5ELNS1_3repE0EEENS1_30default_config_static_selectorELNS0_4arch9wavefront6targetE0EEEvSH_
	.p2align	8
	.type	_ZN7rocprim17ROCPRIM_400000_NS6detail17trampoline_kernelINS0_14default_configENS1_36segmented_radix_sort_config_selectorIllEEZNS1_25segmented_radix_sort_implIS3_Lb1EPKlPlS8_S9_N2at6native12_GLOBAL__N_18offset_tEEE10hipError_tPvRmT1_PNSt15iterator_traitsISH_E10value_typeET2_T3_PNSI_ISN_E10value_typeET4_jRbjT5_ST_jjP12ihipStream_tbEUlT_E2_NS1_11comp_targetILNS1_3genE10ELNS1_11target_archE1201ELNS1_3gpuE5ELNS1_3repE0EEENS1_30default_config_static_selectorELNS0_4arch9wavefront6targetE0EEEvSH_,@function
_ZN7rocprim17ROCPRIM_400000_NS6detail17trampoline_kernelINS0_14default_configENS1_36segmented_radix_sort_config_selectorIllEEZNS1_25segmented_radix_sort_implIS3_Lb1EPKlPlS8_S9_N2at6native12_GLOBAL__N_18offset_tEEE10hipError_tPvRmT1_PNSt15iterator_traitsISH_E10value_typeET2_T3_PNSI_ISN_E10value_typeET4_jRbjT5_ST_jjP12ihipStream_tbEUlT_E2_NS1_11comp_targetILNS1_3genE10ELNS1_11target_archE1201ELNS1_3gpuE5ELNS1_3repE0EEENS1_30default_config_static_selectorELNS0_4arch9wavefront6targetE0EEEvSH_: ; @_ZN7rocprim17ROCPRIM_400000_NS6detail17trampoline_kernelINS0_14default_configENS1_36segmented_radix_sort_config_selectorIllEEZNS1_25segmented_radix_sort_implIS3_Lb1EPKlPlS8_S9_N2at6native12_GLOBAL__N_18offset_tEEE10hipError_tPvRmT1_PNSt15iterator_traitsISH_E10value_typeET2_T3_PNSI_ISN_E10value_typeET4_jRbjT5_ST_jjP12ihipStream_tbEUlT_E2_NS1_11comp_targetILNS1_3genE10ELNS1_11target_archE1201ELNS1_3gpuE5ELNS1_3repE0EEENS1_30default_config_static_selectorELNS0_4arch9wavefront6targetE0EEEvSH_
; %bb.0:
	s_load_b128 s[4:7], s[0:1], 0x34
	s_mov_b32 s32, 0
	s_wait_kmcnt 0x0
	s_add_co_i32 s33, s5, ttmp9
	s_add_co_i32 s51, s7, ttmp9
	s_mul_i32 s33, s33, s4
	s_mul_i32 s51, s51, s6
	s_delay_alu instid0(SALU_CYCLE_1)
	s_cmp_le_u32 s51, s33
	s_cbranch_scc1 .LBB739_1190
; %bb.1:
	s_clause 0x3
	s_load_b32 s2, s[0:1], 0x30
	s_load_b128 s[44:47], s[0:1], 0x20
	s_load_b96 s[48:50], s[0:1], 0x44
	s_load_b256 s[36:43], s[0:1], 0x0
	s_wait_kmcnt 0x0
	s_bitcmp1_b32 s2, 0
	s_mov_b32 s2, -1
	s_cselect_b32 s52, -1, 0
	s_sub_co_i32 s53, s51, s33
	s_delay_alu instid0(SALU_CYCLE_1)
	s_cmp_lt_u32 s53, 0x1001
	s_cbranch_scc0 .LBB739_15
; %bb.2:
	s_cmp_lt_u32 s53, 33
	s_cbranch_scc0 .LBB739_9
; %bb.3:
	s_load_b32 s2, s[0:1], 0x5c
	v_bfe_u32 v1, v0, 10, 10
	v_bfe_u32 v2, v0, 20, 10
	s_mov_b32 s16, exec_lo
	s_wait_kmcnt 0x0
	s_lshr_b32 s3, s2, 16
	s_and_b32 s2, s2, 0xffff
	v_mad_u32_u24 v2, v2, s3, v1
	v_and_b32_e32 v1, 0x3ff, v0
	s_delay_alu instid0(VALU_DEP_1) | instskip(NEXT) | instid1(VALU_DEP_1)
	v_mad_co_u64_u32 v[1:2], null, v2, s2, v[1:2]
	v_cmpx_gt_u32_e32 8, v1
	s_cbranch_execz .LBB739_8
; %bb.4:
	v_cndmask_b32_e64 v1, 0, 1, s52
	s_and_b32 s2, s48, 1
	s_wait_alu 0xfffe
	s_delay_alu instid0(VALU_DEP_1)
	v_cmp_ne_u32_e32 vcc_lo, s2, v1
	s_mov_b32 s2, -1
	s_cbranch_vccnz .LBB739_6
; %bb.5:
	s_mov_b64 s[2:3], src_shared_base
	v_dual_mov_b32 v31, v0 :: v_dual_mov_b32 v40, v0
	v_dual_mov_b32 v0, s36 :: v_dual_mov_b32 v1, s37
	;; [unrolled: 1-line block ×7, first 2 shown]
	s_wait_alu 0xfffe
	v_dual_mov_b32 v12, 0 :: v_dual_mov_b32 v13, s3
	s_add_nc_u64 s[8:9], s[0:1], 0x50
	s_getpc_b64 s[4:5]
	s_sext_i32_i16 s5, s5
	s_add_co_u32 s4, s4, _ZN7rocprim17ROCPRIM_400000_NS6detail26segmented_warp_sort_helperINS1_20WarpSortHelperConfigILj8ELj4ELj256EEEllLi256ELb1EvE4sortIPKlPlS8_S9_EEvT_T0_T1_T2_jjjjRNS5_12storage_typeE@rel32@lo+8
	s_add_co_ci_u32 s5, s5, _ZN7rocprim17ROCPRIM_400000_NS6detail26segmented_warp_sort_helperINS1_20WarpSortHelperConfigILj8ELj4ELj256EEEllLi256ELb1EvE4sortIPKlPlS8_S9_EEvT_T0_T1_T2_jjjjRNS5_12storage_typeE@rel32@hi+16
	s_mov_b64 s[14:15], s[0:1]
	s_swappc_b64 s[30:31], s[4:5]
	v_mov_b32_e32 v0, v40
	s_mov_b64 s[0:1], s[14:15]
	s_mov_b32 s2, 0
.LBB739_6:
	s_wait_alu 0xfffe
	s_and_not1_b32 vcc_lo, exec_lo, s2
	s_wait_alu 0xfffe
	s_cbranch_vccnz .LBB739_8
; %bb.7:
	s_mov_b64 s[2:3], src_shared_base
	v_dual_mov_b32 v31, v0 :: v_dual_mov_b32 v40, v0
	v_dual_mov_b32 v0, s36 :: v_dual_mov_b32 v1, s37
	v_dual_mov_b32 v2, s38 :: v_dual_mov_b32 v3, s39
	v_dual_mov_b32 v4, s42 :: v_dual_mov_b32 v5, s43
	v_dual_mov_b32 v6, s44 :: v_dual_mov_b32 v7, s45
	v_dual_mov_b32 v8, s33 :: v_dual_mov_b32 v9, s51
	v_dual_mov_b32 v10, s49 :: v_dual_mov_b32 v11, s50
	s_wait_alu 0xfffe
	v_dual_mov_b32 v12, 0 :: v_dual_mov_b32 v13, s3
	s_add_nc_u64 s[8:9], s[0:1], 0x50
	s_getpc_b64 s[4:5]
	s_wait_alu 0xfffe
	s_sext_i32_i16 s5, s5
	s_add_co_u32 s4, s4, _ZN7rocprim17ROCPRIM_400000_NS6detail26segmented_warp_sort_helperINS1_20WarpSortHelperConfigILj8ELj4ELj256EEEllLi256ELb1EvE4sortIPKlPlS8_S9_EEvT_T0_T1_T2_jjjjRNS5_12storage_typeE@rel32@lo+12
	s_wait_alu 0xfffe
	s_add_co_ci_u32 s5, s5, _ZN7rocprim17ROCPRIM_400000_NS6detail26segmented_warp_sort_helperINS1_20WarpSortHelperConfigILj8ELj4ELj256EEEllLi256ELb1EvE4sortIPKlPlS8_S9_EEvT_T0_T1_T2_jjjjRNS5_12storage_typeE@rel32@hi+24
	s_mov_b64 s[14:15], s[0:1]
	s_wait_alu 0xfffe
	s_swappc_b64 s[30:31], s[4:5]
	v_mov_b32_e32 v0, v40
	s_mov_b64 s[0:1], s[14:15]
.LBB739_8:
	s_or_b32 exec_lo, exec_lo, s16
	s_mov_b32 s2, 0
.LBB739_9:
	s_wait_alu 0xfffe
	s_and_not1_b32 vcc_lo, exec_lo, s2
	s_wait_alu 0xfffe
	s_cbranch_vccnz .LBB739_14
; %bb.10:
	v_cndmask_b32_e64 v1, 0, 1, s52
	s_and_b32 s2, s48, 1
	s_wait_alu 0xfffe
	s_delay_alu instid0(VALU_DEP_1)
	v_cmp_ne_u32_e32 vcc_lo, s2, v1
	s_mov_b32 s2, -1
	s_cbranch_vccnz .LBB739_12
; %bb.11:
	s_mov_b64 s[2:3], src_shared_base
	v_dual_mov_b32 v31, v0 :: v_dual_mov_b32 v40, v0
	v_dual_mov_b32 v0, s36 :: v_dual_mov_b32 v1, s37
	;; [unrolled: 1-line block ×7, first 2 shown]
	s_wait_alu 0xfffe
	v_dual_mov_b32 v12, 0 :: v_dual_mov_b32 v13, s3
	s_add_nc_u64 s[8:9], s[0:1], 0x50
	s_getpc_b64 s[4:5]
	s_wait_alu 0xfffe
	s_sext_i32_i16 s5, s5
	s_add_co_u32 s4, s4, _ZN7rocprim17ROCPRIM_400000_NS6detail40segmented_radix_sort_single_block_helperIllLj256ELj16ELb1EE4sortIPKlPlS6_S7_EEbT_T0_T1_T2_jjjjRNS3_12storage_typeE@rel32@lo+12
	s_wait_alu 0xfffe
	s_add_co_ci_u32 s5, s5, _ZN7rocprim17ROCPRIM_400000_NS6detail40segmented_radix_sort_single_block_helperIllLj256ELj16ELb1EE4sortIPKlPlS6_S7_EEbT_T0_T1_T2_jjjjRNS3_12storage_typeE@rel32@hi+24
	s_mov_b64 s[22:23], s[0:1]
	s_wait_alu 0xfffe
	s_swappc_b64 s[30:31], s[4:5]
	v_mov_b32_e32 v0, v40
	s_mov_b64 s[0:1], s[22:23]
	s_mov_b32 s2, 0
.LBB739_12:
	s_wait_alu 0xfffe
	s_and_not1_b32 vcc_lo, exec_lo, s2
	s_wait_alu 0xfffe
	s_cbranch_vccnz .LBB739_14
; %bb.13:
	s_mov_b64 s[2:3], src_shared_base
	v_dual_mov_b32 v31, v0 :: v_dual_mov_b32 v40, v0
	v_dual_mov_b32 v0, s36 :: v_dual_mov_b32 v1, s37
	;; [unrolled: 1-line block ×7, first 2 shown]
	s_wait_alu 0xfffe
	v_dual_mov_b32 v12, 0 :: v_dual_mov_b32 v13, s3
	s_add_nc_u64 s[8:9], s[0:1], 0x50
	s_getpc_b64 s[4:5]
	s_wait_alu 0xfffe
	s_sext_i32_i16 s5, s5
	s_add_co_u32 s4, s4, _ZN7rocprim17ROCPRIM_400000_NS6detail40segmented_radix_sort_single_block_helperIllLj256ELj16ELb1EE4sortIPKlPlS6_S7_EEbT_T0_T1_T2_jjjjRNS3_12storage_typeE@rel32@lo+12
	s_wait_alu 0xfffe
	s_add_co_ci_u32 s5, s5, _ZN7rocprim17ROCPRIM_400000_NS6detail40segmented_radix_sort_single_block_helperIllLj256ELj16ELb1EE4sortIPKlPlS6_S7_EEbT_T0_T1_T2_jjjjRNS3_12storage_typeE@rel32@hi+24
	s_mov_b64 s[22:23], s[0:1]
	s_wait_alu 0xfffe
	s_swappc_b64 s[30:31], s[4:5]
	v_mov_b32_e32 v0, v40
	s_mov_b64 s[0:1], s[22:23]
.LBB739_14:
	s_mov_b32 s2, 0
.LBB739_15:
	s_wait_alu 0xfffe
	s_and_not1_b32 vcc_lo, exec_lo, s2
	s_wait_alu 0xfffe
	s_cbranch_vccnz .LBB739_1190
; %bb.16:
	s_cmp_ge_u32 s49, s50
	s_cbranch_scc1 .LBB739_1190
; %bb.17:
	v_dual_mov_b32 v2, 0 :: v_dual_and_b32 v1, 0x3ff, v0
	v_lshrrev_b32_e32 v5, 3, v0
	v_and_b32_e32 v3, 3, v0
	v_bfe_u32 v102, v0, 20, 10
	s_delay_alu instid0(VALU_DEP_4) | instskip(NEXT) | instid1(VALU_DEP_4)
	v_dual_mov_b32 v121, 1 :: v_dual_lshlrev_b32 v76, 2, v1
	v_and_b32_e32 v95, 28, v5
	v_lshlrev_b32_e32 v5, 4, v1
	v_lshlrev_b32_e32 v4, 3, v1
	;; [unrolled: 1-line block ×3, first 2 shown]
	v_or_b32_e32 v3, 31, v1
	v_mad_u32_u24 v96, v1, 12, v76
	v_and_b32_e32 v99, 0xe00, v5
	v_add_co_u32 v80, s2, s40, v4
	s_delay_alu instid0(VALU_DEP_4) | instskip(NEXT) | instid1(VALU_DEP_4)
	v_cmp_eq_u32_e64 s3, v1, v3
	v_mad_u32_u24 v100, v1, 20, v96
	s_delay_alu instid0(VALU_DEP_4)
	v_lshlrev_b32_e32 v5, 3, v99
	v_lshlrev_b32_e32 v3, 5, v1
	v_or_b32_e32 v77, 0x100, v1
	v_or_b32_e32 v78, 0x200, v1
	;; [unrolled: 1-line block ×3, first 2 shown]
	v_add_co_u32 v104, s8, s46, v5
	s_wait_alu 0xf1ff
	v_add_co_ci_u32_e64 v105, null, s47, 0, s8
	v_add_co_u32 v106, s8, s40, v5
	s_wait_alu 0xf1ff
	v_add_co_ci_u32_e64 v107, null, s41, 0, s8
	;; [unrolled: 3-line block ×5, first 2 shown]
	v_add_co_u32 v115, s8, s36, v4
	v_sub_nc_u32_e32 v103, v100, v3
	s_wait_alu 0xf1ff
	v_add_co_ci_u32_e64 v116, null, s37, 0, s8
	v_add_co_u32 v117, s8, s42, v5
	s_wait_alu 0xf1ff
	v_add_co_ci_u32_e64 v118, null, s43, 0, s8
	v_add_co_u32 v119, s8, s36, v5
	v_add_co_ci_u32_e64 v81, null, s41, 0, s2
	v_or_b32_e32 v82, 0x400, v1
	v_or_b32_e32 v83, 0x500, v1
	v_or_b32_e32 v84, 0x600, v1
	v_or_b32_e32 v85, 0x700, v1
	v_or_b32_e32 v86, 0x800, v1
	v_or_b32_e32 v87, 0x900, v1
	v_or_b32_e32 v88, 0xa00, v1
	v_or_b32_e32 v89, 0xb00, v1
	v_or_b32_e32 v90, 0xc00, v1
	v_or_b32_e32 v91, 0xd00, v1
	v_or_b32_e32 v92, 0xe00, v1
	v_or_b32_e32 v93, 0xf00, v1
	v_cmp_gt_u32_e64 s2, 0x100, v1
	v_or_b32_e32 v97, 0x8400, v95
	v_cmp_gt_u32_e64 s4, 8, v1
	v_add_nc_u32_e32 v98, 0x8400, v76
	v_cmp_lt_u32_e64 s5, 31, v1
	v_add_nc_u32_e32 v101, 0x83fc, v95
	v_bfe_u32 v0, v0, 10, 10
	v_cmp_eq_u32_e64 s6, 0, v1
	v_cmp_ne_u32_e64 s7, 0xff, v1
	v_add_nc_u32_e32 v108, v103, v76
	s_wait_alu 0xf1ff
	v_add_co_ci_u32_e64 v120, null, s37, 0, s8
	v_lshlrev_b32_e32 v122, 3, v1
	v_mbcnt_lo_u32_b32 v123, -1, 0
	v_bfrev_b32_e32 v3, 1
	s_mov_b32 s35, 0
	s_add_nc_u64 s[42:43], s[0:1], 0x50
	s_mov_b32 s31, s49
	s_mov_b32 s48, s49
	s_branch .LBB739_20
.LBB739_18:                             ;   in Loop: Header=BB739_20 Depth=1
	s_wait_loadcnt_dscnt 0x0
	s_barrier_signal -1
	s_barrier_wait -1
.LBB739_19:                             ;   in Loop: Header=BB739_20 Depth=1
	s_add_co_i32 s48, s48, 8
	global_inv scope:SCOPE_SE
	s_wait_alu 0xfffe
	s_cmp_ge_u32 s48, s50
	s_cbranch_scc1 .LBB739_1190
.LBB739_20:                             ; =>This Loop Header: Depth=1
                                        ;     Child Loop BB739_24 Depth 2
                                        ;     Child Loop BB739_104 Depth 2
                                        ;     Child Loop BB739_316 Depth 2
                                        ;     Child Loop BB739_396 Depth 2
                                        ;     Child Loop BB739_610 Depth 2
                                        ;     Child Loop BB739_690 Depth 2
                                        ;     Child Loop BB739_902 Depth 2
                                        ;     Child Loop BB739_982 Depth 2
	s_wait_alu 0xfffe
	s_sub_co_i32 s0, s50, s48
	s_xor_b32 s52, s52, -1
	s_wait_alu 0xfffe
	s_min_u32 s54, s0, 8
	s_cmp_lg_u32 s48, s49
	s_mov_b32 s0, -1
	ds_store_2addr_stride64_b32 v76, v2, v2 offset1:4
	ds_store_2addr_stride64_b32 v76, v2, v2 offset0:8 offset1:12
	s_wait_storecnt_dscnt 0x0
	s_cbranch_scc0 .LBB739_606
; %bb.21:                               ;   in Loop: Header=BB739_20 Depth=1
	s_wait_alu 0xfffe
	s_lshl_b32 s0, -1, s54
	s_and_b32 vcc_lo, exec_lo, s52
	s_wait_alu 0xfffe
	s_not_b32 s55, s0
	s_mov_b32 s0, -1
	s_cbranch_vccz .LBB739_313
; %bb.22:                               ;   in Loop: Header=BB739_20 Depth=1
	s_mov_b32 s8, s53
	s_mov_b32 s34, s33
	s_barrier_signal -1
	s_barrier_wait -1
	global_inv scope:SCOPE_SE
                                        ; implicit-def: $vgpr4_vgpr5
                                        ; implicit-def: $vgpr6_vgpr7
                                        ; implicit-def: $vgpr8_vgpr9
                                        ; implicit-def: $vgpr10_vgpr11
                                        ; implicit-def: $vgpr12_vgpr13
                                        ; implicit-def: $vgpr14_vgpr15
                                        ; implicit-def: $vgpr16_vgpr17
                                        ; implicit-def: $vgpr18_vgpr19
                                        ; implicit-def: $vgpr20_vgpr21
                                        ; implicit-def: $vgpr22_vgpr23
                                        ; implicit-def: $vgpr24_vgpr25
                                        ; implicit-def: $vgpr26_vgpr27
                                        ; implicit-def: $vgpr28_vgpr29
                                        ; implicit-def: $vgpr30_vgpr31
                                        ; implicit-def: $vgpr32_vgpr33
                                        ; implicit-def: $vgpr34_vgpr35
	s_branch .LBB739_24
.LBB739_23:                             ;   in Loop: Header=BB739_24 Depth=2
	s_wait_alu 0xfffe
	s_or_b32 exec_lo, exec_lo, s0
	s_addk_co_i32 s8, 0xf000
	s_cmp_ge_u32 s9, s51
	s_mov_b32 s34, s9
	s_cbranch_scc1 .LBB739_92
.LBB739_24:                             ;   Parent Loop BB739_20 Depth=1
                                        ; =>  This Inner Loop Header: Depth=2
	s_wait_alu 0xfffe
	s_add_co_i32 s9, s34, 0x1000
	s_mov_b32 s0, -1
	s_wait_alu 0xfffe
	s_cmp_gt_u32 s9, s51
                                        ; implicit-def: $vgpr36_vgpr37
                                        ; implicit-def: $vgpr38_vgpr39
                                        ; implicit-def: $vgpr40_vgpr41
                                        ; implicit-def: $vgpr42_vgpr43
                                        ; implicit-def: $vgpr44_vgpr45
                                        ; implicit-def: $vgpr46_vgpr47
                                        ; implicit-def: $vgpr48_vgpr49
                                        ; implicit-def: $vgpr50_vgpr51
                                        ; implicit-def: $vgpr52_vgpr53
                                        ; implicit-def: $vgpr54_vgpr55
                                        ; implicit-def: $vgpr56_vgpr57
                                        ; implicit-def: $vgpr58_vgpr59
                                        ; implicit-def: $vgpr60_vgpr61
                                        ; implicit-def: $vgpr62_vgpr63
                                        ; implicit-def: $vgpr64_vgpr65
                                        ; implicit-def: $vgpr66_vgpr67
	s_cbranch_scc1 .LBB739_26
; %bb.25:                               ;   in Loop: Header=BB739_24 Depth=2
	s_lshl_b64 s[0:1], s[34:35], 3
	s_wait_alu 0xfffe
	v_add_co_u32 v66, vcc_lo, v80, s0
	s_wait_alu 0xfffd
	v_add_co_ci_u32_e64 v67, null, s1, v81, vcc_lo
	s_mov_b32 s0, 0
	s_clause 0xf
	global_load_b64 v[36:37], v[66:67], off
	global_load_b64 v[38:39], v[66:67], off offset:2048
	global_load_b64 v[40:41], v[66:67], off offset:4096
	;; [unrolled: 1-line block ×15, first 2 shown]
.LBB739_26:                             ;   in Loop: Header=BB739_24 Depth=2
	s_wait_alu 0xfffe
	s_and_not1_b32 vcc_lo, exec_lo, s0
	s_movk_i32 s0, 0x1000
	s_wait_alu 0xfffe
	s_cbranch_vccnz .LBB739_45
; %bb.27:                               ;   in Loop: Header=BB739_24 Depth=2
	s_lshl_b64 s[0:1], s[34:35], 3
	s_mov_b32 s10, exec_lo
	s_wait_alu 0xfffe
	s_add_nc_u64 s[0:1], s[40:41], s[0:1]
	v_cmpx_gt_u32_e64 s8, v1
	s_cbranch_execnz .LBB739_77
; %bb.28:                               ;   in Loop: Header=BB739_24 Depth=2
	s_or_b32 exec_lo, exec_lo, s10
	s_delay_alu instid0(SALU_CYCLE_1)
	s_mov_b32 s10, exec_lo
	v_cmpx_gt_u32_e64 s8, v77
	s_cbranch_execnz .LBB739_78
.LBB739_29:                             ;   in Loop: Header=BB739_24 Depth=2
	s_wait_alu 0xfffe
	s_or_b32 exec_lo, exec_lo, s10
	s_delay_alu instid0(SALU_CYCLE_1)
	s_mov_b32 s10, exec_lo
	v_cmpx_gt_u32_e64 s8, v78
	s_cbranch_execnz .LBB739_79
.LBB739_30:                             ;   in Loop: Header=BB739_24 Depth=2
	s_wait_alu 0xfffe
	s_or_b32 exec_lo, exec_lo, s10
	s_delay_alu instid0(SALU_CYCLE_1)
	s_mov_b32 s10, exec_lo
	v_cmpx_gt_u32_e64 s8, v79
	s_cbranch_execnz .LBB739_80
.LBB739_31:                             ;   in Loop: Header=BB739_24 Depth=2
	s_wait_alu 0xfffe
	s_or_b32 exec_lo, exec_lo, s10
	s_delay_alu instid0(SALU_CYCLE_1)
	s_mov_b32 s10, exec_lo
	v_cmpx_gt_u32_e64 s8, v82
	s_cbranch_execnz .LBB739_81
.LBB739_32:                             ;   in Loop: Header=BB739_24 Depth=2
	s_wait_alu 0xfffe
	s_or_b32 exec_lo, exec_lo, s10
	s_delay_alu instid0(SALU_CYCLE_1)
	s_mov_b32 s10, exec_lo
	v_cmpx_gt_u32_e64 s8, v83
	s_cbranch_execnz .LBB739_82
.LBB739_33:                             ;   in Loop: Header=BB739_24 Depth=2
	s_wait_alu 0xfffe
	s_or_b32 exec_lo, exec_lo, s10
	s_delay_alu instid0(SALU_CYCLE_1)
	s_mov_b32 s10, exec_lo
	v_cmpx_gt_u32_e64 s8, v84
	s_cbranch_execnz .LBB739_83
.LBB739_34:                             ;   in Loop: Header=BB739_24 Depth=2
	s_wait_alu 0xfffe
	s_or_b32 exec_lo, exec_lo, s10
	s_delay_alu instid0(SALU_CYCLE_1)
	s_mov_b32 s10, exec_lo
	v_cmpx_gt_u32_e64 s8, v85
	s_cbranch_execnz .LBB739_84
.LBB739_35:                             ;   in Loop: Header=BB739_24 Depth=2
	s_wait_alu 0xfffe
	s_or_b32 exec_lo, exec_lo, s10
	s_delay_alu instid0(SALU_CYCLE_1)
	s_mov_b32 s10, exec_lo
	v_cmpx_gt_u32_e64 s8, v86
	s_cbranch_execnz .LBB739_85
.LBB739_36:                             ;   in Loop: Header=BB739_24 Depth=2
	s_wait_alu 0xfffe
	s_or_b32 exec_lo, exec_lo, s10
	s_delay_alu instid0(SALU_CYCLE_1)
	s_mov_b32 s10, exec_lo
	v_cmpx_gt_u32_e64 s8, v87
	s_cbranch_execnz .LBB739_86
.LBB739_37:                             ;   in Loop: Header=BB739_24 Depth=2
	s_wait_alu 0xfffe
	s_or_b32 exec_lo, exec_lo, s10
	s_delay_alu instid0(SALU_CYCLE_1)
	s_mov_b32 s10, exec_lo
	v_cmpx_gt_u32_e64 s8, v88
	s_cbranch_execnz .LBB739_87
.LBB739_38:                             ;   in Loop: Header=BB739_24 Depth=2
	s_wait_alu 0xfffe
	s_or_b32 exec_lo, exec_lo, s10
	s_delay_alu instid0(SALU_CYCLE_1)
	s_mov_b32 s10, exec_lo
	v_cmpx_gt_u32_e64 s8, v89
	s_cbranch_execnz .LBB739_88
.LBB739_39:                             ;   in Loop: Header=BB739_24 Depth=2
	s_wait_alu 0xfffe
	s_or_b32 exec_lo, exec_lo, s10
	s_delay_alu instid0(SALU_CYCLE_1)
	s_mov_b32 s10, exec_lo
	v_cmpx_gt_u32_e64 s8, v90
	s_cbranch_execnz .LBB739_89
.LBB739_40:                             ;   in Loop: Header=BB739_24 Depth=2
	s_wait_alu 0xfffe
	s_or_b32 exec_lo, exec_lo, s10
	s_delay_alu instid0(SALU_CYCLE_1)
	s_mov_b32 s10, exec_lo
	v_cmpx_gt_u32_e64 s8, v91
	s_cbranch_execnz .LBB739_90
.LBB739_41:                             ;   in Loop: Header=BB739_24 Depth=2
	s_wait_alu 0xfffe
	s_or_b32 exec_lo, exec_lo, s10
	s_delay_alu instid0(SALU_CYCLE_1)
	s_mov_b32 s10, exec_lo
	v_cmpx_gt_u32_e64 s8, v92
	s_cbranch_execnz .LBB739_91
.LBB739_42:                             ;   in Loop: Header=BB739_24 Depth=2
	s_wait_alu 0xfffe
	s_or_b32 exec_lo, exec_lo, s10
	s_delay_alu instid0(SALU_CYCLE_1)
	s_mov_b32 s10, exec_lo
	v_cmpx_gt_u32_e64 s8, v93
	s_cbranch_execz .LBB739_44
.LBB739_43:                             ;   in Loop: Header=BB739_24 Depth=2
	global_load_b64 v[4:5], v122, s[0:1] offset:30720
.LBB739_44:                             ;   in Loop: Header=BB739_24 Depth=2
	s_wait_alu 0xfffe
	s_or_b32 exec_lo, exec_lo, s10
	s_wait_loadcnt 0x0
	v_dual_mov_b32 v37, v35 :: v_dual_mov_b32 v36, v34
	v_dual_mov_b32 v39, v33 :: v_dual_mov_b32 v38, v32
	;; [unrolled: 1-line block ×16, first 2 shown]
	s_mov_b32 s0, s8
.LBB739_45:                             ;   in Loop: Header=BB739_24 Depth=2
	s_wait_loadcnt 0x0
	s_delay_alu instid0(VALU_DEP_1)
	v_dual_mov_b32 v4, v66 :: v_dual_mov_b32 v5, v67
	v_dual_mov_b32 v6, v64 :: v_dual_mov_b32 v7, v65
	;; [unrolled: 1-line block ×16, first 2 shown]
	s_mov_b32 s1, exec_lo
	s_wait_alu 0xfffe
	v_cmpx_gt_u32_e64 s0, v1
	s_cbranch_execnz .LBB739_61
; %bb.46:                               ;   in Loop: Header=BB739_24 Depth=2
	s_or_b32 exec_lo, exec_lo, s1
	s_delay_alu instid0(SALU_CYCLE_1)
	s_mov_b32 s1, exec_lo
	v_cmpx_gt_u32_e64 s0, v77
	s_cbranch_execnz .LBB739_62
.LBB739_47:                             ;   in Loop: Header=BB739_24 Depth=2
	s_wait_alu 0xfffe
	s_or_b32 exec_lo, exec_lo, s1
	s_delay_alu instid0(SALU_CYCLE_1)
	s_mov_b32 s1, exec_lo
	v_cmpx_gt_u32_e64 s0, v78
	s_cbranch_execnz .LBB739_63
.LBB739_48:                             ;   in Loop: Header=BB739_24 Depth=2
	s_wait_alu 0xfffe
	s_or_b32 exec_lo, exec_lo, s1
	s_delay_alu instid0(SALU_CYCLE_1)
	s_mov_b32 s1, exec_lo
	v_cmpx_gt_u32_e64 s0, v79
	s_cbranch_execnz .LBB739_64
.LBB739_49:                             ;   in Loop: Header=BB739_24 Depth=2
	s_wait_alu 0xfffe
	s_or_b32 exec_lo, exec_lo, s1
	s_delay_alu instid0(SALU_CYCLE_1)
	s_mov_b32 s1, exec_lo
	v_cmpx_gt_u32_e64 s0, v82
	s_cbranch_execnz .LBB739_65
.LBB739_50:                             ;   in Loop: Header=BB739_24 Depth=2
	s_wait_alu 0xfffe
	s_or_b32 exec_lo, exec_lo, s1
	s_delay_alu instid0(SALU_CYCLE_1)
	s_mov_b32 s1, exec_lo
	v_cmpx_gt_u32_e64 s0, v83
	s_cbranch_execnz .LBB739_66
.LBB739_51:                             ;   in Loop: Header=BB739_24 Depth=2
	s_wait_alu 0xfffe
	s_or_b32 exec_lo, exec_lo, s1
	s_delay_alu instid0(SALU_CYCLE_1)
	s_mov_b32 s1, exec_lo
	v_cmpx_gt_u32_e64 s0, v84
	s_cbranch_execnz .LBB739_67
.LBB739_52:                             ;   in Loop: Header=BB739_24 Depth=2
	s_wait_alu 0xfffe
	s_or_b32 exec_lo, exec_lo, s1
	s_delay_alu instid0(SALU_CYCLE_1)
	s_mov_b32 s1, exec_lo
	v_cmpx_gt_u32_e64 s0, v85
	s_cbranch_execnz .LBB739_68
.LBB739_53:                             ;   in Loop: Header=BB739_24 Depth=2
	s_wait_alu 0xfffe
	s_or_b32 exec_lo, exec_lo, s1
	s_delay_alu instid0(SALU_CYCLE_1)
	s_mov_b32 s1, exec_lo
	v_cmpx_gt_u32_e64 s0, v86
	s_cbranch_execnz .LBB739_69
.LBB739_54:                             ;   in Loop: Header=BB739_24 Depth=2
	s_wait_alu 0xfffe
	s_or_b32 exec_lo, exec_lo, s1
	s_delay_alu instid0(SALU_CYCLE_1)
	s_mov_b32 s1, exec_lo
	v_cmpx_gt_u32_e64 s0, v87
	s_cbranch_execnz .LBB739_70
.LBB739_55:                             ;   in Loop: Header=BB739_24 Depth=2
	s_wait_alu 0xfffe
	s_or_b32 exec_lo, exec_lo, s1
	s_delay_alu instid0(SALU_CYCLE_1)
	s_mov_b32 s1, exec_lo
	v_cmpx_gt_u32_e64 s0, v88
	s_cbranch_execnz .LBB739_71
.LBB739_56:                             ;   in Loop: Header=BB739_24 Depth=2
	s_wait_alu 0xfffe
	s_or_b32 exec_lo, exec_lo, s1
	s_delay_alu instid0(SALU_CYCLE_1)
	s_mov_b32 s1, exec_lo
	v_cmpx_gt_u32_e64 s0, v89
	s_cbranch_execnz .LBB739_72
.LBB739_57:                             ;   in Loop: Header=BB739_24 Depth=2
	s_wait_alu 0xfffe
	s_or_b32 exec_lo, exec_lo, s1
	s_delay_alu instid0(SALU_CYCLE_1)
	s_mov_b32 s1, exec_lo
	v_cmpx_gt_u32_e64 s0, v90
	s_cbranch_execnz .LBB739_73
.LBB739_58:                             ;   in Loop: Header=BB739_24 Depth=2
	s_wait_alu 0xfffe
	s_or_b32 exec_lo, exec_lo, s1
	s_delay_alu instid0(SALU_CYCLE_1)
	s_mov_b32 s1, exec_lo
	v_cmpx_gt_u32_e64 s0, v91
	s_cbranch_execnz .LBB739_74
.LBB739_59:                             ;   in Loop: Header=BB739_24 Depth=2
	s_wait_alu 0xfffe
	s_or_b32 exec_lo, exec_lo, s1
	s_delay_alu instid0(SALU_CYCLE_1)
	s_mov_b32 s1, exec_lo
	v_cmpx_gt_u32_e64 s0, v92
	s_cbranch_execnz .LBB739_75
.LBB739_60:                             ;   in Loop: Header=BB739_24 Depth=2
	s_wait_alu 0xfffe
	s_or_b32 exec_lo, exec_lo, s1
	v_cmp_gt_u32_e32 vcc_lo, s0, v93
	s_and_saveexec_b32 s0, vcc_lo
	s_cbranch_execz .LBB739_23
	s_branch .LBB739_76
.LBB739_61:                             ;   in Loop: Header=BB739_24 Depth=2
	v_xor_b32_e32 v37, 0x7fffffff, v35
	v_not_b32_e32 v36, v34
	s_delay_alu instid0(VALU_DEP_1) | instskip(NEXT) | instid1(VALU_DEP_1)
	v_lshrrev_b64 v[36:37], s48, v[36:37]
	v_and_b32_e32 v36, s55, v36
	s_delay_alu instid0(VALU_DEP_1) | instskip(SKIP_2) | instid1(SALU_CYCLE_1)
	v_lshl_or_b32 v36, v36, 4, v94
	ds_add_u32 v36, v121
	s_or_b32 exec_lo, exec_lo, s1
	s_mov_b32 s1, exec_lo
	v_cmpx_gt_u32_e64 s0, v77
	s_cbranch_execz .LBB739_47
.LBB739_62:                             ;   in Loop: Header=BB739_24 Depth=2
	v_xor_b32_e32 v37, 0x7fffffff, v33
	v_not_b32_e32 v36, v32
	s_delay_alu instid0(VALU_DEP_1) | instskip(NEXT) | instid1(VALU_DEP_1)
	v_lshrrev_b64 v[36:37], s48, v[36:37]
	v_and_b32_e32 v36, s55, v36
	s_delay_alu instid0(VALU_DEP_1) | instskip(SKIP_3) | instid1(SALU_CYCLE_1)
	v_lshl_or_b32 v36, v36, 4, v94
	ds_add_u32 v36, v121
	s_wait_alu 0xfffe
	s_or_b32 exec_lo, exec_lo, s1
	s_mov_b32 s1, exec_lo
	v_cmpx_gt_u32_e64 s0, v78
	s_cbranch_execz .LBB739_48
.LBB739_63:                             ;   in Loop: Header=BB739_24 Depth=2
	v_xor_b32_e32 v37, 0x7fffffff, v31
	v_not_b32_e32 v36, v30
	s_delay_alu instid0(VALU_DEP_1) | instskip(NEXT) | instid1(VALU_DEP_1)
	v_lshrrev_b64 v[36:37], s48, v[36:37]
	v_and_b32_e32 v36, s55, v36
	s_delay_alu instid0(VALU_DEP_1) | instskip(SKIP_3) | instid1(SALU_CYCLE_1)
	v_lshl_or_b32 v36, v36, 4, v94
	ds_add_u32 v36, v121
	s_wait_alu 0xfffe
	s_or_b32 exec_lo, exec_lo, s1
	s_mov_b32 s1, exec_lo
	v_cmpx_gt_u32_e64 s0, v79
	s_cbranch_execz .LBB739_49
.LBB739_64:                             ;   in Loop: Header=BB739_24 Depth=2
	v_xor_b32_e32 v37, 0x7fffffff, v29
	v_not_b32_e32 v36, v28
	s_delay_alu instid0(VALU_DEP_1) | instskip(NEXT) | instid1(VALU_DEP_1)
	v_lshrrev_b64 v[36:37], s48, v[36:37]
	v_and_b32_e32 v36, s55, v36
	s_delay_alu instid0(VALU_DEP_1) | instskip(SKIP_3) | instid1(SALU_CYCLE_1)
	v_lshl_or_b32 v36, v36, 4, v94
	ds_add_u32 v36, v121
	s_wait_alu 0xfffe
	s_or_b32 exec_lo, exec_lo, s1
	s_mov_b32 s1, exec_lo
	v_cmpx_gt_u32_e64 s0, v82
	s_cbranch_execz .LBB739_50
.LBB739_65:                             ;   in Loop: Header=BB739_24 Depth=2
	v_xor_b32_e32 v37, 0x7fffffff, v27
	v_not_b32_e32 v36, v26
	s_delay_alu instid0(VALU_DEP_1) | instskip(NEXT) | instid1(VALU_DEP_1)
	v_lshrrev_b64 v[36:37], s48, v[36:37]
	v_and_b32_e32 v36, s55, v36
	s_delay_alu instid0(VALU_DEP_1) | instskip(SKIP_3) | instid1(SALU_CYCLE_1)
	v_lshl_or_b32 v36, v36, 4, v94
	ds_add_u32 v36, v121
	s_wait_alu 0xfffe
	s_or_b32 exec_lo, exec_lo, s1
	s_mov_b32 s1, exec_lo
	v_cmpx_gt_u32_e64 s0, v83
	s_cbranch_execz .LBB739_51
.LBB739_66:                             ;   in Loop: Header=BB739_24 Depth=2
	v_xor_b32_e32 v37, 0x7fffffff, v25
	v_not_b32_e32 v36, v24
	s_delay_alu instid0(VALU_DEP_1) | instskip(NEXT) | instid1(VALU_DEP_1)
	v_lshrrev_b64 v[36:37], s48, v[36:37]
	v_and_b32_e32 v36, s55, v36
	s_delay_alu instid0(VALU_DEP_1) | instskip(SKIP_3) | instid1(SALU_CYCLE_1)
	v_lshl_or_b32 v36, v36, 4, v94
	ds_add_u32 v36, v121
	s_wait_alu 0xfffe
	s_or_b32 exec_lo, exec_lo, s1
	s_mov_b32 s1, exec_lo
	v_cmpx_gt_u32_e64 s0, v84
	s_cbranch_execz .LBB739_52
.LBB739_67:                             ;   in Loop: Header=BB739_24 Depth=2
	v_xor_b32_e32 v37, 0x7fffffff, v23
	v_not_b32_e32 v36, v22
	s_delay_alu instid0(VALU_DEP_1) | instskip(NEXT) | instid1(VALU_DEP_1)
	v_lshrrev_b64 v[36:37], s48, v[36:37]
	v_and_b32_e32 v36, s55, v36
	s_delay_alu instid0(VALU_DEP_1) | instskip(SKIP_3) | instid1(SALU_CYCLE_1)
	v_lshl_or_b32 v36, v36, 4, v94
	ds_add_u32 v36, v121
	s_wait_alu 0xfffe
	s_or_b32 exec_lo, exec_lo, s1
	s_mov_b32 s1, exec_lo
	v_cmpx_gt_u32_e64 s0, v85
	s_cbranch_execz .LBB739_53
.LBB739_68:                             ;   in Loop: Header=BB739_24 Depth=2
	v_xor_b32_e32 v37, 0x7fffffff, v21
	v_not_b32_e32 v36, v20
	s_delay_alu instid0(VALU_DEP_1) | instskip(NEXT) | instid1(VALU_DEP_1)
	v_lshrrev_b64 v[36:37], s48, v[36:37]
	v_and_b32_e32 v36, s55, v36
	s_delay_alu instid0(VALU_DEP_1) | instskip(SKIP_3) | instid1(SALU_CYCLE_1)
	v_lshl_or_b32 v36, v36, 4, v94
	ds_add_u32 v36, v121
	s_wait_alu 0xfffe
	s_or_b32 exec_lo, exec_lo, s1
	s_mov_b32 s1, exec_lo
	v_cmpx_gt_u32_e64 s0, v86
	s_cbranch_execz .LBB739_54
.LBB739_69:                             ;   in Loop: Header=BB739_24 Depth=2
	v_xor_b32_e32 v37, 0x7fffffff, v19
	v_not_b32_e32 v36, v18
	s_delay_alu instid0(VALU_DEP_1) | instskip(NEXT) | instid1(VALU_DEP_1)
	v_lshrrev_b64 v[36:37], s48, v[36:37]
	v_and_b32_e32 v36, s55, v36
	s_delay_alu instid0(VALU_DEP_1) | instskip(SKIP_3) | instid1(SALU_CYCLE_1)
	v_lshl_or_b32 v36, v36, 4, v94
	ds_add_u32 v36, v121
	s_wait_alu 0xfffe
	s_or_b32 exec_lo, exec_lo, s1
	s_mov_b32 s1, exec_lo
	v_cmpx_gt_u32_e64 s0, v87
	s_cbranch_execz .LBB739_55
.LBB739_70:                             ;   in Loop: Header=BB739_24 Depth=2
	v_xor_b32_e32 v37, 0x7fffffff, v17
	v_not_b32_e32 v36, v16
	s_delay_alu instid0(VALU_DEP_1) | instskip(NEXT) | instid1(VALU_DEP_1)
	v_lshrrev_b64 v[36:37], s48, v[36:37]
	v_and_b32_e32 v36, s55, v36
	s_delay_alu instid0(VALU_DEP_1) | instskip(SKIP_3) | instid1(SALU_CYCLE_1)
	v_lshl_or_b32 v36, v36, 4, v94
	ds_add_u32 v36, v121
	s_wait_alu 0xfffe
	s_or_b32 exec_lo, exec_lo, s1
	s_mov_b32 s1, exec_lo
	v_cmpx_gt_u32_e64 s0, v88
	s_cbranch_execz .LBB739_56
.LBB739_71:                             ;   in Loop: Header=BB739_24 Depth=2
	v_xor_b32_e32 v37, 0x7fffffff, v15
	v_not_b32_e32 v36, v14
	s_delay_alu instid0(VALU_DEP_1) | instskip(NEXT) | instid1(VALU_DEP_1)
	v_lshrrev_b64 v[36:37], s48, v[36:37]
	v_and_b32_e32 v36, s55, v36
	s_delay_alu instid0(VALU_DEP_1) | instskip(SKIP_3) | instid1(SALU_CYCLE_1)
	v_lshl_or_b32 v36, v36, 4, v94
	ds_add_u32 v36, v121
	s_wait_alu 0xfffe
	s_or_b32 exec_lo, exec_lo, s1
	s_mov_b32 s1, exec_lo
	v_cmpx_gt_u32_e64 s0, v89
	s_cbranch_execz .LBB739_57
.LBB739_72:                             ;   in Loop: Header=BB739_24 Depth=2
	v_xor_b32_e32 v37, 0x7fffffff, v13
	v_not_b32_e32 v36, v12
	s_delay_alu instid0(VALU_DEP_1) | instskip(NEXT) | instid1(VALU_DEP_1)
	v_lshrrev_b64 v[36:37], s48, v[36:37]
	v_and_b32_e32 v36, s55, v36
	s_delay_alu instid0(VALU_DEP_1) | instskip(SKIP_3) | instid1(SALU_CYCLE_1)
	v_lshl_or_b32 v36, v36, 4, v94
	ds_add_u32 v36, v121
	s_wait_alu 0xfffe
	s_or_b32 exec_lo, exec_lo, s1
	s_mov_b32 s1, exec_lo
	v_cmpx_gt_u32_e64 s0, v90
	s_cbranch_execz .LBB739_58
.LBB739_73:                             ;   in Loop: Header=BB739_24 Depth=2
	v_xor_b32_e32 v37, 0x7fffffff, v11
	v_not_b32_e32 v36, v10
	s_delay_alu instid0(VALU_DEP_1) | instskip(NEXT) | instid1(VALU_DEP_1)
	v_lshrrev_b64 v[36:37], s48, v[36:37]
	v_and_b32_e32 v36, s55, v36
	s_delay_alu instid0(VALU_DEP_1) | instskip(SKIP_3) | instid1(SALU_CYCLE_1)
	v_lshl_or_b32 v36, v36, 4, v94
	ds_add_u32 v36, v121
	s_wait_alu 0xfffe
	s_or_b32 exec_lo, exec_lo, s1
	s_mov_b32 s1, exec_lo
	v_cmpx_gt_u32_e64 s0, v91
	s_cbranch_execz .LBB739_59
.LBB739_74:                             ;   in Loop: Header=BB739_24 Depth=2
	v_xor_b32_e32 v37, 0x7fffffff, v9
	v_not_b32_e32 v36, v8
	s_delay_alu instid0(VALU_DEP_1) | instskip(NEXT) | instid1(VALU_DEP_1)
	v_lshrrev_b64 v[36:37], s48, v[36:37]
	v_and_b32_e32 v36, s55, v36
	s_delay_alu instid0(VALU_DEP_1) | instskip(SKIP_3) | instid1(SALU_CYCLE_1)
	v_lshl_or_b32 v36, v36, 4, v94
	ds_add_u32 v36, v121
	s_wait_alu 0xfffe
	s_or_b32 exec_lo, exec_lo, s1
	s_mov_b32 s1, exec_lo
	v_cmpx_gt_u32_e64 s0, v92
	s_cbranch_execz .LBB739_60
.LBB739_75:                             ;   in Loop: Header=BB739_24 Depth=2
	v_xor_b32_e32 v37, 0x7fffffff, v7
	v_not_b32_e32 v36, v6
	s_delay_alu instid0(VALU_DEP_1) | instskip(NEXT) | instid1(VALU_DEP_1)
	v_lshrrev_b64 v[36:37], s48, v[36:37]
	v_and_b32_e32 v36, s55, v36
	s_delay_alu instid0(VALU_DEP_1)
	v_lshl_or_b32 v36, v36, 4, v94
	ds_add_u32 v36, v121
	s_wait_alu 0xfffe
	s_or_b32 exec_lo, exec_lo, s1
	v_cmp_gt_u32_e32 vcc_lo, s0, v93
	s_and_saveexec_b32 s0, vcc_lo
	s_cbranch_execz .LBB739_23
.LBB739_76:                             ;   in Loop: Header=BB739_24 Depth=2
	v_xor_b32_e32 v37, 0x7fffffff, v5
	v_not_b32_e32 v36, v4
	s_delay_alu instid0(VALU_DEP_1) | instskip(NEXT) | instid1(VALU_DEP_1)
	v_lshrrev_b64 v[36:37], s48, v[36:37]
	v_and_b32_e32 v36, s55, v36
	s_delay_alu instid0(VALU_DEP_1)
	v_lshl_or_b32 v36, v36, 4, v94
	ds_add_u32 v36, v121
	s_branch .LBB739_23
.LBB739_77:                             ;   in Loop: Header=BB739_24 Depth=2
	global_load_b64 v[34:35], v122, s[0:1]
	s_or_b32 exec_lo, exec_lo, s10
	s_delay_alu instid0(SALU_CYCLE_1)
	s_mov_b32 s10, exec_lo
	v_cmpx_gt_u32_e64 s8, v77
	s_cbranch_execz .LBB739_29
.LBB739_78:                             ;   in Loop: Header=BB739_24 Depth=2
	global_load_b64 v[32:33], v122, s[0:1] offset:2048
	s_wait_alu 0xfffe
	s_or_b32 exec_lo, exec_lo, s10
	s_delay_alu instid0(SALU_CYCLE_1)
	s_mov_b32 s10, exec_lo
	v_cmpx_gt_u32_e64 s8, v78
	s_cbranch_execz .LBB739_30
.LBB739_79:                             ;   in Loop: Header=BB739_24 Depth=2
	global_load_b64 v[30:31], v122, s[0:1] offset:4096
	s_wait_alu 0xfffe
	s_or_b32 exec_lo, exec_lo, s10
	s_delay_alu instid0(SALU_CYCLE_1)
	s_mov_b32 s10, exec_lo
	v_cmpx_gt_u32_e64 s8, v79
	s_cbranch_execz .LBB739_31
.LBB739_80:                             ;   in Loop: Header=BB739_24 Depth=2
	global_load_b64 v[28:29], v122, s[0:1] offset:6144
	s_wait_alu 0xfffe
	s_or_b32 exec_lo, exec_lo, s10
	s_delay_alu instid0(SALU_CYCLE_1)
	s_mov_b32 s10, exec_lo
	v_cmpx_gt_u32_e64 s8, v82
	s_cbranch_execz .LBB739_32
.LBB739_81:                             ;   in Loop: Header=BB739_24 Depth=2
	global_load_b64 v[26:27], v122, s[0:1] offset:8192
	s_wait_alu 0xfffe
	s_or_b32 exec_lo, exec_lo, s10
	s_delay_alu instid0(SALU_CYCLE_1)
	s_mov_b32 s10, exec_lo
	v_cmpx_gt_u32_e64 s8, v83
	s_cbranch_execz .LBB739_33
.LBB739_82:                             ;   in Loop: Header=BB739_24 Depth=2
	global_load_b64 v[24:25], v122, s[0:1] offset:10240
	s_wait_alu 0xfffe
	s_or_b32 exec_lo, exec_lo, s10
	s_delay_alu instid0(SALU_CYCLE_1)
	s_mov_b32 s10, exec_lo
	v_cmpx_gt_u32_e64 s8, v84
	s_cbranch_execz .LBB739_34
.LBB739_83:                             ;   in Loop: Header=BB739_24 Depth=2
	global_load_b64 v[22:23], v122, s[0:1] offset:12288
	s_wait_alu 0xfffe
	s_or_b32 exec_lo, exec_lo, s10
	s_delay_alu instid0(SALU_CYCLE_1)
	s_mov_b32 s10, exec_lo
	v_cmpx_gt_u32_e64 s8, v85
	s_cbranch_execz .LBB739_35
.LBB739_84:                             ;   in Loop: Header=BB739_24 Depth=2
	global_load_b64 v[20:21], v122, s[0:1] offset:14336
	s_wait_alu 0xfffe
	s_or_b32 exec_lo, exec_lo, s10
	s_delay_alu instid0(SALU_CYCLE_1)
	s_mov_b32 s10, exec_lo
	v_cmpx_gt_u32_e64 s8, v86
	s_cbranch_execz .LBB739_36
.LBB739_85:                             ;   in Loop: Header=BB739_24 Depth=2
	global_load_b64 v[18:19], v122, s[0:1] offset:16384
	s_wait_alu 0xfffe
	s_or_b32 exec_lo, exec_lo, s10
	s_delay_alu instid0(SALU_CYCLE_1)
	s_mov_b32 s10, exec_lo
	v_cmpx_gt_u32_e64 s8, v87
	s_cbranch_execz .LBB739_37
.LBB739_86:                             ;   in Loop: Header=BB739_24 Depth=2
	global_load_b64 v[16:17], v122, s[0:1] offset:18432
	s_wait_alu 0xfffe
	s_or_b32 exec_lo, exec_lo, s10
	s_delay_alu instid0(SALU_CYCLE_1)
	s_mov_b32 s10, exec_lo
	v_cmpx_gt_u32_e64 s8, v88
	s_cbranch_execz .LBB739_38
.LBB739_87:                             ;   in Loop: Header=BB739_24 Depth=2
	global_load_b64 v[14:15], v122, s[0:1] offset:20480
	s_wait_alu 0xfffe
	s_or_b32 exec_lo, exec_lo, s10
	s_delay_alu instid0(SALU_CYCLE_1)
	s_mov_b32 s10, exec_lo
	v_cmpx_gt_u32_e64 s8, v89
	s_cbranch_execz .LBB739_39
.LBB739_88:                             ;   in Loop: Header=BB739_24 Depth=2
	global_load_b64 v[12:13], v122, s[0:1] offset:22528
	s_wait_alu 0xfffe
	s_or_b32 exec_lo, exec_lo, s10
	s_delay_alu instid0(SALU_CYCLE_1)
	s_mov_b32 s10, exec_lo
	v_cmpx_gt_u32_e64 s8, v90
	s_cbranch_execz .LBB739_40
.LBB739_89:                             ;   in Loop: Header=BB739_24 Depth=2
	global_load_b64 v[10:11], v122, s[0:1] offset:24576
	s_wait_alu 0xfffe
	s_or_b32 exec_lo, exec_lo, s10
	s_delay_alu instid0(SALU_CYCLE_1)
	s_mov_b32 s10, exec_lo
	v_cmpx_gt_u32_e64 s8, v91
	s_cbranch_execz .LBB739_41
.LBB739_90:                             ;   in Loop: Header=BB739_24 Depth=2
	global_load_b64 v[8:9], v122, s[0:1] offset:26624
	s_wait_alu 0xfffe
	s_or_b32 exec_lo, exec_lo, s10
	s_delay_alu instid0(SALU_CYCLE_1)
	s_mov_b32 s10, exec_lo
	v_cmpx_gt_u32_e64 s8, v92
	s_cbranch_execz .LBB739_42
.LBB739_91:                             ;   in Loop: Header=BB739_24 Depth=2
	global_load_b64 v[6:7], v122, s[0:1] offset:28672
	s_wait_alu 0xfffe
	s_or_b32 exec_lo, exec_lo, s10
	s_delay_alu instid0(SALU_CYCLE_1)
	s_mov_b32 s10, exec_lo
	v_cmpx_gt_u32_e64 s8, v93
	s_cbranch_execnz .LBB739_43
	s_branch .LBB739_44
.LBB739_92:                             ;   in Loop: Header=BB739_20 Depth=1
	v_mov_b32_e32 v4, 0
	s_wait_dscnt 0x0
	s_barrier_signal -1
	s_barrier_wait -1
	global_inv scope:SCOPE_SE
	s_and_saveexec_b32 s0, s2
	s_cbranch_execz .LBB739_94
; %bb.93:                               ;   in Loop: Header=BB739_20 Depth=1
	ds_load_2addr_b64 v[4:7], v96 offset1:1
	s_wait_dscnt 0x0
	v_add_nc_u32_e32 v4, v5, v4
	s_delay_alu instid0(VALU_DEP_1)
	v_add3_u32 v4, v4, v6, v7
.LBB739_94:                             ;   in Loop: Header=BB739_20 Depth=1
	s_wait_alu 0xfffe
	s_or_b32 exec_lo, exec_lo, s0
	v_and_b32_e32 v5, 15, v123
	s_delay_alu instid0(VALU_DEP_2) | instskip(SKIP_1) | instid1(VALU_DEP_3)
	v_mov_b32_dpp v6, v4 row_shr:1 row_mask:0xf bank_mask:0xf
	v_and_b32_e32 v7, 16, v123
	v_cmp_eq_u32_e64 s0, 0, v5
	v_cmp_lt_u32_e64 s1, 1, v5
	v_cmp_lt_u32_e64 s8, 3, v5
	v_cmp_lt_u32_e64 s9, 7, v5
	v_cmp_eq_u32_e64 s10, 0, v7
	s_wait_alu 0xf1ff
	v_cndmask_b32_e64 v6, v6, 0, s0
	s_delay_alu instid0(VALU_DEP_1) | instskip(NEXT) | instid1(VALU_DEP_1)
	v_add_nc_u32_e32 v4, v6, v4
	v_mov_b32_dpp v6, v4 row_shr:2 row_mask:0xf bank_mask:0xf
	s_delay_alu instid0(VALU_DEP_1) | instskip(NEXT) | instid1(VALU_DEP_1)
	v_cndmask_b32_e64 v6, 0, v6, s1
	v_add_nc_u32_e32 v4, v4, v6
	s_delay_alu instid0(VALU_DEP_1) | instskip(NEXT) | instid1(VALU_DEP_1)
	v_mov_b32_dpp v6, v4 row_shr:4 row_mask:0xf bank_mask:0xf
	v_cndmask_b32_e64 v6, 0, v6, s8
	s_delay_alu instid0(VALU_DEP_1) | instskip(NEXT) | instid1(VALU_DEP_1)
	v_add_nc_u32_e32 v4, v4, v6
	v_mov_b32_dpp v6, v4 row_shr:8 row_mask:0xf bank_mask:0xf
	s_delay_alu instid0(VALU_DEP_1) | instskip(SKIP_1) | instid1(VALU_DEP_2)
	v_cndmask_b32_e64 v5, 0, v6, s9
	v_bfe_i32 v6, v123, 4, 1
	v_add_nc_u32_e32 v4, v4, v5
	ds_swizzle_b32 v5, v4 offset:swizzle(BROADCAST,32,15)
	s_wait_dscnt 0x0
	v_and_b32_e32 v5, v6, v5
	s_delay_alu instid0(VALU_DEP_1)
	v_add_nc_u32_e32 v5, v4, v5
	s_and_saveexec_b32 s11, s3
; %bb.95:                               ;   in Loop: Header=BB739_20 Depth=1
	ds_store_b32 v97, v5
; %bb.96:                               ;   in Loop: Header=BB739_20 Depth=1
	s_wait_alu 0xfffe
	s_or_b32 exec_lo, exec_lo, s11
	v_and_b32_e32 v4, 7, v123
	s_wait_loadcnt_dscnt 0x0
	s_barrier_signal -1
	s_barrier_wait -1
	global_inv scope:SCOPE_SE
	s_and_saveexec_b32 s11, s4
	s_cbranch_execz .LBB739_98
; %bb.97:                               ;   in Loop: Header=BB739_20 Depth=1
	ds_load_b32 v6, v98
	v_cmp_ne_u32_e32 vcc_lo, 0, v4
	s_wait_dscnt 0x0
	v_mov_b32_dpp v7, v6 row_shr:1 row_mask:0xf bank_mask:0xf
	s_wait_alu 0xfffd
	s_delay_alu instid0(VALU_DEP_1) | instskip(SKIP_1) | instid1(VALU_DEP_2)
	v_cndmask_b32_e32 v7, 0, v7, vcc_lo
	v_cmp_lt_u32_e32 vcc_lo, 1, v4
	v_add_nc_u32_e32 v6, v7, v6
	s_delay_alu instid0(VALU_DEP_1) | instskip(SKIP_1) | instid1(VALU_DEP_1)
	v_mov_b32_dpp v7, v6 row_shr:2 row_mask:0xf bank_mask:0xf
	s_wait_alu 0xfffd
	v_cndmask_b32_e32 v7, 0, v7, vcc_lo
	v_cmp_lt_u32_e32 vcc_lo, 3, v4
	s_delay_alu instid0(VALU_DEP_2) | instskip(NEXT) | instid1(VALU_DEP_1)
	v_add_nc_u32_e32 v6, v6, v7
	v_mov_b32_dpp v7, v6 row_shr:4 row_mask:0xf bank_mask:0xf
	s_wait_alu 0xfffd
	s_delay_alu instid0(VALU_DEP_1) | instskip(NEXT) | instid1(VALU_DEP_1)
	v_cndmask_b32_e32 v7, 0, v7, vcc_lo
	v_add_nc_u32_e32 v6, v6, v7
	ds_store_b32 v98, v6
.LBB739_98:                             ;   in Loop: Header=BB739_20 Depth=1
	s_wait_alu 0xfffe
	s_or_b32 exec_lo, exec_lo, s11
	v_mov_b32_e32 v6, 0
	s_wait_loadcnt_dscnt 0x0
	s_barrier_signal -1
	s_barrier_wait -1
	global_inv scope:SCOPE_SE
	s_and_saveexec_b32 s11, s5
; %bb.99:                               ;   in Loop: Header=BB739_20 Depth=1
	ds_load_b32 v6, v101
; %bb.100:                              ;   in Loop: Header=BB739_20 Depth=1
	s_wait_alu 0xfffe
	s_or_b32 exec_lo, exec_lo, s11
	v_sub_co_u32 v7, s11, v123, 1
	s_wait_dscnt 0x0
	v_add_nc_u32_e32 v5, v6, v5
	s_wait_loadcnt 0x0
	s_barrier_signal -1
	v_cmp_gt_i32_e32 vcc_lo, 0, v7
	s_barrier_wait -1
	global_inv scope:SCOPE_SE
	s_wait_alu 0xfffd
	v_cndmask_b32_e32 v7, v7, v123, vcc_lo
	s_delay_alu instid0(VALU_DEP_1)
	v_lshlrev_b32_e32 v124, 2, v7
	ds_bpermute_b32 v5, v124, v5
	s_and_saveexec_b32 s12, s2
	s_cbranch_execz .LBB739_102
; %bb.101:                              ;   in Loop: Header=BB739_20 Depth=1
	s_wait_dscnt 0x0
	v_cndmask_b32_e64 v5, v5, v6, s11
	s_delay_alu instid0(VALU_DEP_1)
	v_add_nc_u32_e32 v5, s33, v5
	ds_store_b32 v76, v5
.LBB739_102:                            ;   in Loop: Header=BB739_20 Depth=1
	s_wait_alu 0xfffe
	s_or_b32 exec_lo, exec_lo, s12
	s_clause 0x1
	s_load_b32 s12, s[42:43], 0x4
	s_load_b32 s15, s[42:43], 0xc
	v_cmp_lt_u32_e64 s14, 3, v4
	v_lshlrev_b32_e32 v6, 3, v123
	v_or_b32_e32 v125, v123, v99
	s_mov_b32 s56, s53
                                        ; implicit-def: $vgpr8_vgpr9
                                        ; implicit-def: $vgpr10_vgpr11
                                        ; implicit-def: $vgpr12_vgpr13
                                        ; implicit-def: $vgpr14_vgpr15
                                        ; implicit-def: $vgpr16_vgpr17
                                        ; implicit-def: $vgpr18_vgpr19
                                        ; implicit-def: $vgpr20_vgpr21
                                        ; implicit-def: $vgpr22_vgpr23
                                        ; implicit-def: $vgpr24_vgpr25
                                        ; implicit-def: $vgpr26_vgpr27
                                        ; implicit-def: $vgpr28_vgpr29
                                        ; implicit-def: $vgpr30_vgpr31
                                        ; implicit-def: $vgpr32_vgpr33
                                        ; implicit-def: $vgpr34_vgpr35
                                        ; implicit-def: $vgpr146
                                        ; implicit-def: $vgpr147
                                        ; implicit-def: $vgpr148
                                        ; implicit-def: $vgpr149
                                        ; implicit-def: $vgpr150
                                        ; implicit-def: $vgpr151
                                        ; implicit-def: $vgpr152
                                        ; implicit-def: $vgpr153
                                        ; implicit-def: $vgpr154
                                        ; implicit-def: $vgpr155
                                        ; implicit-def: $vgpr156
                                        ; implicit-def: $vgpr157
                                        ; implicit-def: $vgpr158
                                        ; implicit-def: $vgpr159
                                        ; implicit-def: $vgpr160
                                        ; implicit-def: $vgpr161
	s_delay_alu instid0(VALU_DEP_2)
	v_add_co_u32 v126, vcc_lo, v104, v6
	s_wait_alu 0xfffd
	v_add_co_ci_u32_e64 v127, null, 0, v105, vcc_lo
	v_add_co_u32 v143, vcc_lo, v106, v6
	v_or_b32_e32 v128, 32, v125
	v_or_b32_e32 v129, 64, v125
	;; [unrolled: 1-line block ×6, first 2 shown]
	s_wait_kmcnt 0x0
	s_cmp_lt_u32 ttmp7, s12
	v_or_b32_e32 v134, 0xe0, v125
	s_cselect_b32 s34, 14, 20
	s_and_b32 s15, s15, 0xffff
	s_wait_alu 0xfffe
	s_add_nc_u64 s[12:13], s[42:43], s[34:35]
	v_or_b32_e32 v135, 0x100, v125
	s_load_u16 s16, s[12:13], 0x0
	v_cmp_eq_u32_e64 s12, 0, v4
	v_cmp_lt_u32_e64 s13, 1, v4
	v_or_b32_e32 v136, 0x120, v125
	v_or_b32_e32 v137, 0x140, v125
	;; [unrolled: 1-line block ×7, first 2 shown]
	v_add_co_ci_u32_e64 v144, null, 0, v107, vcc_lo
	s_mov_b32 s34, s33
                                        ; implicit-def: $vgpr6_vgpr7
	s_wait_kmcnt 0x0
	v_mad_u32_u24 v4, v102, s16, v0
	s_wait_dscnt 0x0
	s_delay_alu instid0(VALU_DEP_1) | instskip(NEXT) | instid1(VALU_DEP_1)
	v_mad_co_u64_u32 v[4:5], null, v4, s15, v[1:2]
	v_lshrrev_b32_e32 v4, 3, v4
	s_delay_alu instid0(VALU_DEP_1)
	v_and_b32_e32 v145, 0x1ffffffc, v4
                                        ; implicit-def: $vgpr4_vgpr5
	s_branch .LBB739_104
.LBB739_103:                            ;   in Loop: Header=BB739_104 Depth=2
	s_wait_alu 0xfffe
	s_or_b32 exec_lo, exec_lo, s15
	s_addk_co_i32 s56, 0xf000
	s_cmp_lt_u32 s57, s51
	s_mov_b32 s34, s57
	s_cbranch_scc0 .LBB739_312
.LBB739_104:                            ;   Parent Loop BB739_20 Depth=1
                                        ; =>  This Inner Loop Header: Depth=2
	s_wait_alu 0xfffe
	s_add_co_i32 s57, s34, 0x1000
	s_wait_alu 0xfffe
	s_cmp_gt_u32 s57, s51
	s_cbranch_scc1 .LBB739_106
; %bb.105:                              ;   in Loop: Header=BB739_104 Depth=2
	s_lshl_b64 s[16:17], s[34:35], 3
	s_mov_b32 s15, -1
	s_wait_alu 0xfffe
	v_add_co_u32 v36, vcc_lo, v143, s16
	s_wait_alu 0xfffd
	v_add_co_ci_u32_e64 v37, null, s17, v144, vcc_lo
	s_clause 0xe
	global_load_b64 v[38:39], v[36:37], off
	global_load_b64 v[40:41], v[36:37], off offset:256
	global_load_b64 v[42:43], v[36:37], off offset:512
	;; [unrolled: 1-line block ×14, first 2 shown]
	s_movk_i32 s16, 0x1000
	s_cbranch_execz .LBB739_107
	s_branch .LBB739_138
.LBB739_106:                            ;   in Loop: Header=BB739_104 Depth=2
	s_mov_b32 s15, 0
                                        ; implicit-def: $vgpr38_vgpr39
                                        ; implicit-def: $vgpr40_vgpr41
                                        ; implicit-def: $vgpr42_vgpr43
                                        ; implicit-def: $vgpr46_vgpr47
                                        ; implicit-def: $vgpr52_vgpr53
                                        ; implicit-def: $vgpr56_vgpr57
                                        ; implicit-def: $vgpr60_vgpr61
                                        ; implicit-def: $vgpr64_vgpr65
                                        ; implicit-def: $vgpr66_vgpr67
                                        ; implicit-def: $vgpr62_vgpr63
                                        ; implicit-def: $vgpr58_vgpr59
                                        ; implicit-def: $vgpr54_vgpr55
                                        ; implicit-def: $vgpr50_vgpr51
                                        ; implicit-def: $vgpr48_vgpr49
                                        ; implicit-def: $vgpr44_vgpr45
	s_movk_i32 s16, 0x1000
.LBB739_107:                            ;   in Loop: Header=BB739_104 Depth=2
	s_wait_loadcnt 0xd
	v_dual_mov_b32 v40, v2 :: v_dual_mov_b32 v41, v3
	s_lshl_b64 s[16:17], s[34:35], 3
	s_mov_b32 s15, exec_lo
	s_wait_alu 0xfffe
	v_add_co_u32 v36, vcc_lo, v143, s16
	s_wait_alu 0xfffd
	v_add_co_ci_u32_e64 v37, null, s17, v144, vcc_lo
	v_dual_mov_b32 v38, v40 :: v_dual_mov_b32 v39, v41
	v_cmpx_gt_u32_e64 s56, v125
	s_cbranch_execz .LBB739_109
; %bb.108:                              ;   in Loop: Header=BB739_104 Depth=2
	global_load_b64 v[38:39], v[36:37], off
.LBB739_109:                            ;   in Loop: Header=BB739_104 Depth=2
	s_or_b32 exec_lo, exec_lo, s15
	s_delay_alu instid0(SALU_CYCLE_1)
	s_mov_b32 s15, exec_lo
	v_cmpx_gt_u32_e64 s56, v128
	s_cbranch_execz .LBB739_111
; %bb.110:                              ;   in Loop: Header=BB739_104 Depth=2
	global_load_b64 v[40:41], v[36:37], off offset:256
.LBB739_111:                            ;   in Loop: Header=BB739_104 Depth=2
	s_wait_alu 0xfffe
	s_or_b32 exec_lo, exec_lo, s15
	s_wait_loadcnt 0xc
	v_dual_mov_b32 v43, v3 :: v_dual_mov_b32 v42, v2
	s_mov_b32 s15, exec_lo
	v_cmpx_gt_u32_e64 s56, v129
	s_cbranch_execz .LBB739_113
; %bb.112:                              ;   in Loop: Header=BB739_104 Depth=2
	global_load_b64 v[42:43], v[36:37], off offset:512
.LBB739_113:                            ;   in Loop: Header=BB739_104 Depth=2
	s_wait_alu 0xfffe
	s_or_b32 exec_lo, exec_lo, s15
	s_wait_loadcnt 0xb
	v_dual_mov_b32 v47, v3 :: v_dual_mov_b32 v46, v2
	;; [unrolled: 10-line block ×13, first 2 shown]
	s_mov_b32 s15, exec_lo
	v_cmpx_gt_u32_e64 s56, v141
	s_cbranch_execz .LBB739_137
; %bb.136:                              ;   in Loop: Header=BB739_104 Depth=2
	global_load_b64 v[44:45], v[36:37], off offset:3584
.LBB739_137:                            ;   in Loop: Header=BB739_104 Depth=2
	s_wait_alu 0xfffe
	s_or_b32 exec_lo, exec_lo, s15
	v_cmp_gt_u32_e64 s15, s56, v142
	s_sub_co_i32 s16, s51, s34
.LBB739_138:                            ;   in Loop: Header=BB739_104 Depth=2
	v_mov_b32_e32 v36, -1
	v_dual_mov_b32 v37, -1 :: v_dual_mov_b32 v162, s56
	s_and_saveexec_b32 s17, s15
	s_cbranch_execz .LBB739_140
; %bb.139:                              ;   in Loop: Header=BB739_104 Depth=2
	s_lshl_b64 s[18:19], s[34:35], 3
	s_wait_alu 0xfffe
	v_mov_b32_e32 v162, s16
	v_add_co_u32 v36, vcc_lo, v143, s18
	s_wait_alu 0xfffd
	v_add_co_ci_u32_e64 v37, null, s19, v144, vcc_lo
	global_load_b64 v[36:37], v[36:37], off offset:3840
	s_wait_loadcnt 0x0
	v_xor_b32_e32 v37, 0x7fffffff, v37
	v_not_b32_e32 v36, v36
.LBB739_140:                            ;   in Loop: Header=BB739_104 Depth=2
	s_wait_alu 0xfffe
	s_or_b32 exec_lo, exec_lo, s17
	s_wait_loadcnt 0xe
	v_xor_b32_e32 v39, 0x7fffffff, v39
	v_not_b32_e32 v38, v38
	v_add_nc_u32_e32 v165, 0x420, v100
	v_add_nc_u32_e32 v166, 0x428, v100
	;; [unrolled: 1-line block ×3, first 2 shown]
	s_delay_alu instid0(VALU_DEP_4) | instskip(NEXT) | instid1(VALU_DEP_1)
	v_lshrrev_b64 v[68:69], s48, v[38:39]
	v_and_b32_e32 v69, s55, v68
	s_delay_alu instid0(VALU_DEP_1)
	v_and_b32_e32 v68, 1, v69
	v_lshlrev_b32_e32 v70, 30, v69
	v_lshlrev_b32_e32 v71, 29, v69
	;; [unrolled: 1-line block ×4, first 2 shown]
	v_add_co_u32 v68, s15, v68, -1
	s_wait_alu 0xf1ff
	v_cndmask_b32_e64 v73, 0, 1, s15
	v_not_b32_e32 v164, v70
	v_cmp_gt_i32_e64 s15, 0, v70
	v_not_b32_e32 v70, v71
	v_lshlrev_b32_e32 v75, 26, v69
	v_cmp_ne_u32_e32 vcc_lo, 0, v73
	v_ashrrev_i32_e32 v164, 31, v164
	v_lshlrev_b32_e32 v163, 25, v69
	v_ashrrev_i32_e32 v70, 31, v70
	v_lshlrev_b32_e32 v73, 24, v69
	s_wait_alu 0xfffd
	v_xor_b32_e32 v68, vcc_lo, v68
	v_cmp_gt_i32_e32 vcc_lo, 0, v71
	v_not_b32_e32 v71, v72
	s_wait_alu 0xf1ff
	v_xor_b32_e32 v164, s15, v164
	v_cmp_gt_i32_e64 s15, 0, v72
	v_and_b32_e32 v68, exec_lo, v68
	v_not_b32_e32 v72, v74
	v_ashrrev_i32_e32 v71, 31, v71
	s_wait_alu 0xfffd
	v_xor_b32_e32 v70, vcc_lo, v70
	v_cmp_gt_i32_e32 vcc_lo, 0, v74
	v_and_b32_e32 v68, v68, v164
	v_not_b32_e32 v74, v75
	v_ashrrev_i32_e32 v72, 31, v72
	s_wait_alu 0xf1ff
	v_xor_b32_e32 v71, s15, v71
	v_cmp_gt_i32_e64 s15, 0, v75
	v_and_b32_e32 v68, v68, v70
	v_not_b32_e32 v70, v163
	v_ashrrev_i32_e32 v74, 31, v74
	s_wait_alu 0xfffd
	v_xor_b32_e32 v72, vcc_lo, v72
	v_cmp_gt_i32_e32 vcc_lo, 0, v163
	v_and_b32_e32 v68, v68, v71
	v_not_b32_e32 v71, v73
	v_ashrrev_i32_e32 v70, 31, v70
	s_wait_alu 0xf1ff
	v_xor_b32_e32 v74, s15, v74
	v_cmp_gt_i32_e64 s15, 0, v73
	v_and_b32_e32 v68, v68, v72
	v_ashrrev_i32_e32 v71, 31, v71
	s_wait_alu 0xfffd
	v_xor_b32_e32 v70, vcc_lo, v70
	v_mul_u32_u24_e32 v69, 36, v69
	v_add_nc_u32_e32 v164, 0x438, v100
	v_and_b32_e32 v68, v68, v74
	s_wait_alu 0xf1ff
	v_xor_b32_e32 v71, s15, v71
	v_add_nc_u32_e32 v168, v145, v69
	ds_store_2addr_b32 v164, v2, v2 offset1:1
	v_and_b32_e32 v68, v68, v70
	ds_store_2addr_b32 v165, v2, v2 offset1:1
	ds_store_2addr_b32 v166, v2, v2 offset1:1
	ds_store_2addr_b32 v167, v2, v2 offset1:1
	ds_store_b32 v100, v2 offset:1088
	s_wait_loadcnt_dscnt 0x0
	s_barrier_signal -1
	s_barrier_wait -1
	v_and_b32_e32 v68, v68, v71
	global_inv scope:SCOPE_SE
	; wave barrier
	v_mbcnt_lo_u32_b32 v163, v68, 0
	v_cmp_ne_u32_e64 s15, 0, v68
	s_delay_alu instid0(VALU_DEP_2)
	v_cmp_eq_u32_e32 vcc_lo, 0, v163
	s_and_b32 s16, s15, vcc_lo
	s_wait_alu 0xfffe
	s_and_saveexec_b32 s15, s16
; %bb.141:                              ;   in Loop: Header=BB739_104 Depth=2
	v_bcnt_u32_b32 v68, v68, 0
	ds_store_b32 v168, v68 offset:1056
; %bb.142:                              ;   in Loop: Header=BB739_104 Depth=2
	s_wait_alu 0xfffe
	s_or_b32 exec_lo, exec_lo, s15
	v_xor_b32_e32 v41, 0x7fffffff, v41
	v_not_b32_e32 v40, v40
	; wave barrier
	s_delay_alu instid0(VALU_DEP_1) | instskip(NEXT) | instid1(VALU_DEP_1)
	v_lshrrev_b64 v[68:69], s48, v[40:41]
	v_and_b32_e32 v69, s55, v68
	s_delay_alu instid0(VALU_DEP_1)
	v_and_b32_e32 v68, 1, v69
	v_lshlrev_b32_e32 v70, 30, v69
	v_lshlrev_b32_e32 v71, 29, v69
	;; [unrolled: 1-line block ×4, first 2 shown]
	v_add_co_u32 v68, s15, v68, -1
	s_wait_alu 0xf1ff
	v_cndmask_b32_e64 v73, 0, 1, s15
	v_not_b32_e32 v170, v70
	v_cmp_gt_i32_e64 s15, 0, v70
	v_not_b32_e32 v70, v71
	v_lshlrev_b32_e32 v75, 26, v69
	v_cmp_ne_u32_e32 vcc_lo, 0, v73
	v_ashrrev_i32_e32 v170, 31, v170
	v_lshlrev_b32_e32 v169, 25, v69
	v_ashrrev_i32_e32 v70, 31, v70
	v_lshlrev_b32_e32 v73, 24, v69
	s_wait_alu 0xfffd
	v_xor_b32_e32 v68, vcc_lo, v68
	v_cmp_gt_i32_e32 vcc_lo, 0, v71
	v_not_b32_e32 v71, v72
	s_wait_alu 0xf1ff
	v_xor_b32_e32 v170, s15, v170
	v_cmp_gt_i32_e64 s15, 0, v72
	v_and_b32_e32 v68, exec_lo, v68
	v_not_b32_e32 v72, v74
	v_ashrrev_i32_e32 v71, 31, v71
	s_wait_alu 0xfffd
	v_xor_b32_e32 v70, vcc_lo, v70
	v_cmp_gt_i32_e32 vcc_lo, 0, v74
	v_and_b32_e32 v68, v68, v170
	v_not_b32_e32 v74, v75
	v_ashrrev_i32_e32 v72, 31, v72
	s_wait_alu 0xf1ff
	v_xor_b32_e32 v71, s15, v71
	v_cmp_gt_i32_e64 s15, 0, v75
	v_and_b32_e32 v68, v68, v70
	v_not_b32_e32 v70, v169
	v_ashrrev_i32_e32 v74, 31, v74
	s_wait_alu 0xfffd
	v_xor_b32_e32 v72, vcc_lo, v72
	v_cmp_gt_i32_e32 vcc_lo, 0, v169
	v_and_b32_e32 v68, v68, v71
	v_not_b32_e32 v71, v73
	v_ashrrev_i32_e32 v70, 31, v70
	s_wait_alu 0xf1ff
	v_xor_b32_e32 v74, s15, v74
	v_cmp_gt_i32_e64 s15, 0, v73
	v_and_b32_e32 v68, v68, v72
	v_ashrrev_i32_e32 v71, 31, v71
	s_wait_alu 0xfffd
	v_xor_b32_e32 v70, vcc_lo, v70
	v_mad_u32_u24 v72, v69, 36, v145
	v_mul_u32_u24_e32 v69, 36, v69
	v_and_b32_e32 v68, v68, v74
	s_wait_alu 0xf1ff
	v_xor_b32_e32 v71, s15, v71
	ds_load_b32 v169, v72 offset:1056
	v_add_nc_u32_e32 v171, v145, v69
	v_and_b32_e32 v68, v68, v70
	; wave barrier
	s_delay_alu instid0(VALU_DEP_1) | instskip(NEXT) | instid1(VALU_DEP_1)
	v_and_b32_e32 v68, v68, v71
	v_mbcnt_lo_u32_b32 v170, v68, 0
	v_cmp_ne_u32_e64 s15, 0, v68
	s_delay_alu instid0(VALU_DEP_2)
	v_cmp_eq_u32_e32 vcc_lo, 0, v170
	s_and_b32 s16, s15, vcc_lo
	s_wait_alu 0xfffe
	s_and_saveexec_b32 s15, s16
	s_cbranch_execz .LBB739_144
; %bb.143:                              ;   in Loop: Header=BB739_104 Depth=2
	s_wait_dscnt 0x0
	v_bcnt_u32_b32 v68, v68, v169
	ds_store_b32 v171, v68 offset:1056
.LBB739_144:                            ;   in Loop: Header=BB739_104 Depth=2
	s_wait_alu 0xfffe
	s_or_b32 exec_lo, exec_lo, s15
	v_xor_b32_e32 v43, 0x7fffffff, v43
	v_not_b32_e32 v42, v42
	; wave barrier
	s_delay_alu instid0(VALU_DEP_1) | instskip(NEXT) | instid1(VALU_DEP_1)
	v_lshrrev_b64 v[68:69], s48, v[42:43]
	v_and_b32_e32 v69, s55, v68
	s_delay_alu instid0(VALU_DEP_1)
	v_and_b32_e32 v68, 1, v69
	v_lshlrev_b32_e32 v70, 30, v69
	v_lshlrev_b32_e32 v71, 29, v69
	;; [unrolled: 1-line block ×4, first 2 shown]
	v_add_co_u32 v68, s15, v68, -1
	s_wait_alu 0xf1ff
	v_cndmask_b32_e64 v73, 0, 1, s15
	v_not_b32_e32 v173, v70
	v_cmp_gt_i32_e64 s15, 0, v70
	v_not_b32_e32 v70, v71
	v_lshlrev_b32_e32 v75, 26, v69
	v_cmp_ne_u32_e32 vcc_lo, 0, v73
	v_ashrrev_i32_e32 v173, 31, v173
	v_lshlrev_b32_e32 v172, 25, v69
	v_ashrrev_i32_e32 v70, 31, v70
	v_lshlrev_b32_e32 v73, 24, v69
	s_wait_alu 0xfffd
	v_xor_b32_e32 v68, vcc_lo, v68
	v_cmp_gt_i32_e32 vcc_lo, 0, v71
	v_not_b32_e32 v71, v72
	s_wait_alu 0xf1ff
	v_xor_b32_e32 v173, s15, v173
	v_cmp_gt_i32_e64 s15, 0, v72
	v_and_b32_e32 v68, exec_lo, v68
	v_not_b32_e32 v72, v74
	v_ashrrev_i32_e32 v71, 31, v71
	s_wait_alu 0xfffd
	v_xor_b32_e32 v70, vcc_lo, v70
	v_cmp_gt_i32_e32 vcc_lo, 0, v74
	v_and_b32_e32 v68, v68, v173
	v_not_b32_e32 v74, v75
	v_ashrrev_i32_e32 v72, 31, v72
	s_wait_alu 0xf1ff
	v_xor_b32_e32 v71, s15, v71
	v_cmp_gt_i32_e64 s15, 0, v75
	v_and_b32_e32 v68, v68, v70
	v_not_b32_e32 v70, v172
	v_ashrrev_i32_e32 v74, 31, v74
	s_wait_alu 0xfffd
	v_xor_b32_e32 v72, vcc_lo, v72
	v_cmp_gt_i32_e32 vcc_lo, 0, v172
	v_and_b32_e32 v68, v68, v71
	v_not_b32_e32 v71, v73
	v_ashrrev_i32_e32 v70, 31, v70
	s_wait_alu 0xf1ff
	v_xor_b32_e32 v74, s15, v74
	v_cmp_gt_i32_e64 s15, 0, v73
	v_and_b32_e32 v68, v68, v72
	v_ashrrev_i32_e32 v71, 31, v71
	s_wait_alu 0xfffd
	v_xor_b32_e32 v70, vcc_lo, v70
	v_mad_u32_u24 v72, v69, 36, v145
	v_mul_u32_u24_e32 v69, 36, v69
	v_and_b32_e32 v68, v68, v74
	s_wait_alu 0xf1ff
	v_xor_b32_e32 v71, s15, v71
	ds_load_b32 v172, v72 offset:1056
	v_add_nc_u32_e32 v174, v145, v69
	v_and_b32_e32 v68, v68, v70
	; wave barrier
	s_delay_alu instid0(VALU_DEP_1) | instskip(NEXT) | instid1(VALU_DEP_1)
	v_and_b32_e32 v68, v68, v71
	v_mbcnt_lo_u32_b32 v173, v68, 0
	v_cmp_ne_u32_e64 s15, 0, v68
	s_delay_alu instid0(VALU_DEP_2)
	v_cmp_eq_u32_e32 vcc_lo, 0, v173
	s_and_b32 s16, s15, vcc_lo
	s_wait_alu 0xfffe
	s_and_saveexec_b32 s15, s16
	s_cbranch_execz .LBB739_146
; %bb.145:                              ;   in Loop: Header=BB739_104 Depth=2
	s_wait_dscnt 0x0
	v_bcnt_u32_b32 v68, v68, v172
	ds_store_b32 v174, v68 offset:1056
.LBB739_146:                            ;   in Loop: Header=BB739_104 Depth=2
	s_wait_alu 0xfffe
	s_or_b32 exec_lo, exec_lo, s15
	v_xor_b32_e32 v47, 0x7fffffff, v47
	v_not_b32_e32 v46, v46
	; wave barrier
	s_delay_alu instid0(VALU_DEP_1) | instskip(NEXT) | instid1(VALU_DEP_1)
	v_lshrrev_b64 v[68:69], s48, v[46:47]
	v_and_b32_e32 v69, s55, v68
	s_delay_alu instid0(VALU_DEP_1)
	v_and_b32_e32 v68, 1, v69
	v_lshlrev_b32_e32 v70, 30, v69
	v_lshlrev_b32_e32 v71, 29, v69
	;; [unrolled: 1-line block ×4, first 2 shown]
	v_add_co_u32 v68, s15, v68, -1
	s_wait_alu 0xf1ff
	v_cndmask_b32_e64 v73, 0, 1, s15
	v_not_b32_e32 v176, v70
	v_cmp_gt_i32_e64 s15, 0, v70
	v_not_b32_e32 v70, v71
	v_lshlrev_b32_e32 v75, 26, v69
	v_cmp_ne_u32_e32 vcc_lo, 0, v73
	v_ashrrev_i32_e32 v176, 31, v176
	v_lshlrev_b32_e32 v175, 25, v69
	v_ashrrev_i32_e32 v70, 31, v70
	v_lshlrev_b32_e32 v73, 24, v69
	s_wait_alu 0xfffd
	v_xor_b32_e32 v68, vcc_lo, v68
	v_cmp_gt_i32_e32 vcc_lo, 0, v71
	v_not_b32_e32 v71, v72
	s_wait_alu 0xf1ff
	v_xor_b32_e32 v176, s15, v176
	v_cmp_gt_i32_e64 s15, 0, v72
	v_and_b32_e32 v68, exec_lo, v68
	v_not_b32_e32 v72, v74
	v_ashrrev_i32_e32 v71, 31, v71
	s_wait_alu 0xfffd
	v_xor_b32_e32 v70, vcc_lo, v70
	v_cmp_gt_i32_e32 vcc_lo, 0, v74
	v_and_b32_e32 v68, v68, v176
	v_not_b32_e32 v74, v75
	v_ashrrev_i32_e32 v72, 31, v72
	s_wait_alu 0xf1ff
	v_xor_b32_e32 v71, s15, v71
	v_cmp_gt_i32_e64 s15, 0, v75
	v_and_b32_e32 v68, v68, v70
	v_not_b32_e32 v70, v175
	v_ashrrev_i32_e32 v74, 31, v74
	s_wait_alu 0xfffd
	v_xor_b32_e32 v72, vcc_lo, v72
	v_cmp_gt_i32_e32 vcc_lo, 0, v175
	v_and_b32_e32 v68, v68, v71
	v_not_b32_e32 v71, v73
	v_ashrrev_i32_e32 v70, 31, v70
	s_wait_alu 0xf1ff
	v_xor_b32_e32 v74, s15, v74
	v_cmp_gt_i32_e64 s15, 0, v73
	v_and_b32_e32 v68, v68, v72
	v_ashrrev_i32_e32 v71, 31, v71
	s_wait_alu 0xfffd
	v_xor_b32_e32 v70, vcc_lo, v70
	v_mad_u32_u24 v72, v69, 36, v145
	v_mul_u32_u24_e32 v69, 36, v69
	v_and_b32_e32 v68, v68, v74
	s_wait_alu 0xf1ff
	v_xor_b32_e32 v71, s15, v71
	ds_load_b32 v175, v72 offset:1056
	v_add_nc_u32_e32 v177, v145, v69
	v_and_b32_e32 v68, v68, v70
	; wave barrier
	s_delay_alu instid0(VALU_DEP_1) | instskip(NEXT) | instid1(VALU_DEP_1)
	v_and_b32_e32 v68, v68, v71
	v_mbcnt_lo_u32_b32 v176, v68, 0
	v_cmp_ne_u32_e64 s15, 0, v68
	s_delay_alu instid0(VALU_DEP_2)
	v_cmp_eq_u32_e32 vcc_lo, 0, v176
	s_and_b32 s16, s15, vcc_lo
	s_wait_alu 0xfffe
	s_and_saveexec_b32 s15, s16
	s_cbranch_execz .LBB739_148
; %bb.147:                              ;   in Loop: Header=BB739_104 Depth=2
	s_wait_dscnt 0x0
	v_bcnt_u32_b32 v68, v68, v175
	ds_store_b32 v177, v68 offset:1056
.LBB739_148:                            ;   in Loop: Header=BB739_104 Depth=2
	s_wait_alu 0xfffe
	s_or_b32 exec_lo, exec_lo, s15
	v_xor_b32_e32 v53, 0x7fffffff, v53
	v_not_b32_e32 v52, v52
	; wave barrier
	s_delay_alu instid0(VALU_DEP_1) | instskip(NEXT) | instid1(VALU_DEP_1)
	v_lshrrev_b64 v[68:69], s48, v[52:53]
	v_and_b32_e32 v69, s55, v68
	s_delay_alu instid0(VALU_DEP_1)
	v_and_b32_e32 v68, 1, v69
	v_lshlrev_b32_e32 v70, 30, v69
	v_lshlrev_b32_e32 v71, 29, v69
	;; [unrolled: 1-line block ×4, first 2 shown]
	v_add_co_u32 v68, s15, v68, -1
	s_wait_alu 0xf1ff
	v_cndmask_b32_e64 v73, 0, 1, s15
	v_not_b32_e32 v179, v70
	v_cmp_gt_i32_e64 s15, 0, v70
	v_not_b32_e32 v70, v71
	v_lshlrev_b32_e32 v75, 26, v69
	v_cmp_ne_u32_e32 vcc_lo, 0, v73
	v_ashrrev_i32_e32 v179, 31, v179
	v_lshlrev_b32_e32 v178, 25, v69
	v_ashrrev_i32_e32 v70, 31, v70
	v_lshlrev_b32_e32 v73, 24, v69
	s_wait_alu 0xfffd
	v_xor_b32_e32 v68, vcc_lo, v68
	v_cmp_gt_i32_e32 vcc_lo, 0, v71
	v_not_b32_e32 v71, v72
	s_wait_alu 0xf1ff
	v_xor_b32_e32 v179, s15, v179
	v_cmp_gt_i32_e64 s15, 0, v72
	v_and_b32_e32 v68, exec_lo, v68
	v_not_b32_e32 v72, v74
	v_ashrrev_i32_e32 v71, 31, v71
	s_wait_alu 0xfffd
	v_xor_b32_e32 v70, vcc_lo, v70
	v_cmp_gt_i32_e32 vcc_lo, 0, v74
	v_and_b32_e32 v68, v68, v179
	v_not_b32_e32 v74, v75
	v_ashrrev_i32_e32 v72, 31, v72
	s_wait_alu 0xf1ff
	v_xor_b32_e32 v71, s15, v71
	v_cmp_gt_i32_e64 s15, 0, v75
	v_and_b32_e32 v68, v68, v70
	v_not_b32_e32 v70, v178
	v_ashrrev_i32_e32 v74, 31, v74
	s_wait_alu 0xfffd
	v_xor_b32_e32 v72, vcc_lo, v72
	v_cmp_gt_i32_e32 vcc_lo, 0, v178
	v_and_b32_e32 v68, v68, v71
	v_not_b32_e32 v71, v73
	v_ashrrev_i32_e32 v70, 31, v70
	s_wait_alu 0xf1ff
	v_xor_b32_e32 v74, s15, v74
	v_cmp_gt_i32_e64 s15, 0, v73
	v_and_b32_e32 v68, v68, v72
	v_ashrrev_i32_e32 v71, 31, v71
	s_wait_alu 0xfffd
	v_xor_b32_e32 v70, vcc_lo, v70
	v_mad_u32_u24 v72, v69, 36, v145
	v_mul_u32_u24_e32 v69, 36, v69
	v_and_b32_e32 v68, v68, v74
	s_wait_alu 0xf1ff
	v_xor_b32_e32 v71, s15, v71
	ds_load_b32 v178, v72 offset:1056
	v_add_nc_u32_e32 v180, v145, v69
	v_and_b32_e32 v68, v68, v70
	; wave barrier
	s_delay_alu instid0(VALU_DEP_1) | instskip(NEXT) | instid1(VALU_DEP_1)
	v_and_b32_e32 v68, v68, v71
	v_mbcnt_lo_u32_b32 v179, v68, 0
	v_cmp_ne_u32_e64 s15, 0, v68
	s_delay_alu instid0(VALU_DEP_2)
	v_cmp_eq_u32_e32 vcc_lo, 0, v179
	s_and_b32 s16, s15, vcc_lo
	s_wait_alu 0xfffe
	s_and_saveexec_b32 s15, s16
	s_cbranch_execz .LBB739_150
; %bb.149:                              ;   in Loop: Header=BB739_104 Depth=2
	s_wait_dscnt 0x0
	v_bcnt_u32_b32 v68, v68, v178
	ds_store_b32 v180, v68 offset:1056
.LBB739_150:                            ;   in Loop: Header=BB739_104 Depth=2
	s_wait_alu 0xfffe
	s_or_b32 exec_lo, exec_lo, s15
	v_xor_b32_e32 v57, 0x7fffffff, v57
	v_not_b32_e32 v56, v56
	; wave barrier
	s_delay_alu instid0(VALU_DEP_1) | instskip(NEXT) | instid1(VALU_DEP_1)
	v_lshrrev_b64 v[68:69], s48, v[56:57]
	v_and_b32_e32 v69, s55, v68
	s_delay_alu instid0(VALU_DEP_1)
	v_and_b32_e32 v68, 1, v69
	v_lshlrev_b32_e32 v70, 30, v69
	v_lshlrev_b32_e32 v71, 29, v69
	;; [unrolled: 1-line block ×4, first 2 shown]
	v_add_co_u32 v68, s15, v68, -1
	s_wait_alu 0xf1ff
	v_cndmask_b32_e64 v73, 0, 1, s15
	v_not_b32_e32 v182, v70
	v_cmp_gt_i32_e64 s15, 0, v70
	v_not_b32_e32 v70, v71
	v_lshlrev_b32_e32 v75, 26, v69
	v_cmp_ne_u32_e32 vcc_lo, 0, v73
	v_ashrrev_i32_e32 v182, 31, v182
	v_lshlrev_b32_e32 v181, 25, v69
	v_ashrrev_i32_e32 v70, 31, v70
	v_lshlrev_b32_e32 v73, 24, v69
	s_wait_alu 0xfffd
	v_xor_b32_e32 v68, vcc_lo, v68
	v_cmp_gt_i32_e32 vcc_lo, 0, v71
	v_not_b32_e32 v71, v72
	s_wait_alu 0xf1ff
	v_xor_b32_e32 v182, s15, v182
	v_cmp_gt_i32_e64 s15, 0, v72
	v_and_b32_e32 v68, exec_lo, v68
	v_not_b32_e32 v72, v74
	v_ashrrev_i32_e32 v71, 31, v71
	s_wait_alu 0xfffd
	v_xor_b32_e32 v70, vcc_lo, v70
	v_cmp_gt_i32_e32 vcc_lo, 0, v74
	v_and_b32_e32 v68, v68, v182
	v_not_b32_e32 v74, v75
	v_ashrrev_i32_e32 v72, 31, v72
	s_wait_alu 0xf1ff
	v_xor_b32_e32 v71, s15, v71
	v_cmp_gt_i32_e64 s15, 0, v75
	v_and_b32_e32 v68, v68, v70
	v_not_b32_e32 v70, v181
	v_ashrrev_i32_e32 v74, 31, v74
	s_wait_alu 0xfffd
	v_xor_b32_e32 v72, vcc_lo, v72
	v_cmp_gt_i32_e32 vcc_lo, 0, v181
	v_and_b32_e32 v68, v68, v71
	v_not_b32_e32 v71, v73
	v_ashrrev_i32_e32 v70, 31, v70
	s_wait_alu 0xf1ff
	v_xor_b32_e32 v74, s15, v74
	v_cmp_gt_i32_e64 s15, 0, v73
	v_and_b32_e32 v68, v68, v72
	v_ashrrev_i32_e32 v71, 31, v71
	s_wait_alu 0xfffd
	v_xor_b32_e32 v70, vcc_lo, v70
	v_mad_u32_u24 v72, v69, 36, v145
	v_mul_u32_u24_e32 v69, 36, v69
	v_and_b32_e32 v68, v68, v74
	s_wait_alu 0xf1ff
	v_xor_b32_e32 v71, s15, v71
	ds_load_b32 v181, v72 offset:1056
	v_add_nc_u32_e32 v183, v145, v69
	v_and_b32_e32 v68, v68, v70
	; wave barrier
	s_delay_alu instid0(VALU_DEP_1) | instskip(NEXT) | instid1(VALU_DEP_1)
	v_and_b32_e32 v68, v68, v71
	v_mbcnt_lo_u32_b32 v182, v68, 0
	v_cmp_ne_u32_e64 s15, 0, v68
	s_delay_alu instid0(VALU_DEP_2)
	v_cmp_eq_u32_e32 vcc_lo, 0, v182
	s_and_b32 s16, s15, vcc_lo
	s_wait_alu 0xfffe
	s_and_saveexec_b32 s15, s16
	s_cbranch_execz .LBB739_152
; %bb.151:                              ;   in Loop: Header=BB739_104 Depth=2
	s_wait_dscnt 0x0
	v_bcnt_u32_b32 v68, v68, v181
	ds_store_b32 v183, v68 offset:1056
.LBB739_152:                            ;   in Loop: Header=BB739_104 Depth=2
	s_wait_alu 0xfffe
	s_or_b32 exec_lo, exec_lo, s15
	v_xor_b32_e32 v61, 0x7fffffff, v61
	v_not_b32_e32 v60, v60
	; wave barrier
	s_delay_alu instid0(VALU_DEP_1) | instskip(NEXT) | instid1(VALU_DEP_1)
	v_lshrrev_b64 v[68:69], s48, v[60:61]
	v_and_b32_e32 v69, s55, v68
	s_delay_alu instid0(VALU_DEP_1)
	v_and_b32_e32 v68, 1, v69
	v_lshlrev_b32_e32 v70, 30, v69
	v_lshlrev_b32_e32 v71, 29, v69
	v_lshlrev_b32_e32 v72, 28, v69
	v_lshlrev_b32_e32 v74, 27, v69
	v_add_co_u32 v68, s15, v68, -1
	s_wait_alu 0xf1ff
	v_cndmask_b32_e64 v73, 0, 1, s15
	v_not_b32_e32 v185, v70
	v_cmp_gt_i32_e64 s15, 0, v70
	v_not_b32_e32 v70, v71
	v_lshlrev_b32_e32 v75, 26, v69
	v_cmp_ne_u32_e32 vcc_lo, 0, v73
	v_ashrrev_i32_e32 v185, 31, v185
	v_lshlrev_b32_e32 v184, 25, v69
	v_ashrrev_i32_e32 v70, 31, v70
	v_lshlrev_b32_e32 v73, 24, v69
	s_wait_alu 0xfffd
	v_xor_b32_e32 v68, vcc_lo, v68
	v_cmp_gt_i32_e32 vcc_lo, 0, v71
	v_not_b32_e32 v71, v72
	s_wait_alu 0xf1ff
	v_xor_b32_e32 v185, s15, v185
	v_cmp_gt_i32_e64 s15, 0, v72
	v_and_b32_e32 v68, exec_lo, v68
	v_not_b32_e32 v72, v74
	v_ashrrev_i32_e32 v71, 31, v71
	s_wait_alu 0xfffd
	v_xor_b32_e32 v70, vcc_lo, v70
	v_cmp_gt_i32_e32 vcc_lo, 0, v74
	v_and_b32_e32 v68, v68, v185
	v_not_b32_e32 v74, v75
	v_ashrrev_i32_e32 v72, 31, v72
	s_wait_alu 0xf1ff
	v_xor_b32_e32 v71, s15, v71
	v_cmp_gt_i32_e64 s15, 0, v75
	v_and_b32_e32 v68, v68, v70
	v_not_b32_e32 v70, v184
	v_ashrrev_i32_e32 v74, 31, v74
	s_wait_alu 0xfffd
	v_xor_b32_e32 v72, vcc_lo, v72
	v_cmp_gt_i32_e32 vcc_lo, 0, v184
	v_and_b32_e32 v68, v68, v71
	v_not_b32_e32 v71, v73
	v_ashrrev_i32_e32 v70, 31, v70
	s_wait_alu 0xf1ff
	v_xor_b32_e32 v74, s15, v74
	v_cmp_gt_i32_e64 s15, 0, v73
	v_and_b32_e32 v68, v68, v72
	v_ashrrev_i32_e32 v71, 31, v71
	s_wait_alu 0xfffd
	v_xor_b32_e32 v70, vcc_lo, v70
	v_mad_u32_u24 v72, v69, 36, v145
	v_mul_u32_u24_e32 v69, 36, v69
	v_and_b32_e32 v68, v68, v74
	s_wait_alu 0xf1ff
	v_xor_b32_e32 v71, s15, v71
	ds_load_b32 v184, v72 offset:1056
	v_add_nc_u32_e32 v186, v145, v69
	v_and_b32_e32 v68, v68, v70
	; wave barrier
	s_delay_alu instid0(VALU_DEP_1) | instskip(NEXT) | instid1(VALU_DEP_1)
	v_and_b32_e32 v68, v68, v71
	v_mbcnt_lo_u32_b32 v185, v68, 0
	v_cmp_ne_u32_e64 s15, 0, v68
	s_delay_alu instid0(VALU_DEP_2)
	v_cmp_eq_u32_e32 vcc_lo, 0, v185
	s_and_b32 s16, s15, vcc_lo
	s_wait_alu 0xfffe
	s_and_saveexec_b32 s15, s16
	s_cbranch_execz .LBB739_154
; %bb.153:                              ;   in Loop: Header=BB739_104 Depth=2
	s_wait_dscnt 0x0
	v_bcnt_u32_b32 v68, v68, v184
	ds_store_b32 v186, v68 offset:1056
.LBB739_154:                            ;   in Loop: Header=BB739_104 Depth=2
	s_wait_alu 0xfffe
	s_or_b32 exec_lo, exec_lo, s15
	v_xor_b32_e32 v65, 0x7fffffff, v65
	v_not_b32_e32 v64, v64
	; wave barrier
	s_delay_alu instid0(VALU_DEP_1) | instskip(NEXT) | instid1(VALU_DEP_1)
	v_lshrrev_b64 v[68:69], s48, v[64:65]
	v_and_b32_e32 v69, s55, v68
	s_delay_alu instid0(VALU_DEP_1)
	v_and_b32_e32 v68, 1, v69
	v_lshlrev_b32_e32 v70, 30, v69
	v_lshlrev_b32_e32 v71, 29, v69
	;; [unrolled: 1-line block ×4, first 2 shown]
	v_add_co_u32 v68, s15, v68, -1
	s_wait_alu 0xf1ff
	v_cndmask_b32_e64 v73, 0, 1, s15
	v_not_b32_e32 v188, v70
	v_cmp_gt_i32_e64 s15, 0, v70
	v_not_b32_e32 v70, v71
	v_lshlrev_b32_e32 v75, 26, v69
	v_cmp_ne_u32_e32 vcc_lo, 0, v73
	v_ashrrev_i32_e32 v188, 31, v188
	v_lshlrev_b32_e32 v187, 25, v69
	v_ashrrev_i32_e32 v70, 31, v70
	v_lshlrev_b32_e32 v73, 24, v69
	s_wait_alu 0xfffd
	v_xor_b32_e32 v68, vcc_lo, v68
	v_cmp_gt_i32_e32 vcc_lo, 0, v71
	v_not_b32_e32 v71, v72
	s_wait_alu 0xf1ff
	v_xor_b32_e32 v188, s15, v188
	v_cmp_gt_i32_e64 s15, 0, v72
	v_and_b32_e32 v68, exec_lo, v68
	v_not_b32_e32 v72, v74
	v_ashrrev_i32_e32 v71, 31, v71
	s_wait_alu 0xfffd
	v_xor_b32_e32 v70, vcc_lo, v70
	v_cmp_gt_i32_e32 vcc_lo, 0, v74
	v_and_b32_e32 v68, v68, v188
	v_not_b32_e32 v74, v75
	v_ashrrev_i32_e32 v72, 31, v72
	s_wait_alu 0xf1ff
	v_xor_b32_e32 v71, s15, v71
	v_cmp_gt_i32_e64 s15, 0, v75
	v_and_b32_e32 v68, v68, v70
	v_not_b32_e32 v70, v187
	v_ashrrev_i32_e32 v74, 31, v74
	s_wait_alu 0xfffd
	v_xor_b32_e32 v72, vcc_lo, v72
	v_cmp_gt_i32_e32 vcc_lo, 0, v187
	v_and_b32_e32 v68, v68, v71
	v_not_b32_e32 v71, v73
	v_ashrrev_i32_e32 v70, 31, v70
	s_wait_alu 0xf1ff
	v_xor_b32_e32 v74, s15, v74
	v_cmp_gt_i32_e64 s15, 0, v73
	v_and_b32_e32 v68, v68, v72
	v_ashrrev_i32_e32 v71, 31, v71
	s_wait_alu 0xfffd
	v_xor_b32_e32 v70, vcc_lo, v70
	v_mad_u32_u24 v72, v69, 36, v145
	v_mul_u32_u24_e32 v69, 36, v69
	v_and_b32_e32 v68, v68, v74
	s_wait_alu 0xf1ff
	v_xor_b32_e32 v71, s15, v71
	ds_load_b32 v187, v72 offset:1056
	v_add_nc_u32_e32 v189, v145, v69
	v_and_b32_e32 v68, v68, v70
	; wave barrier
	s_delay_alu instid0(VALU_DEP_1) | instskip(NEXT) | instid1(VALU_DEP_1)
	v_and_b32_e32 v68, v68, v71
	v_mbcnt_lo_u32_b32 v188, v68, 0
	v_cmp_ne_u32_e64 s15, 0, v68
	s_delay_alu instid0(VALU_DEP_2)
	v_cmp_eq_u32_e32 vcc_lo, 0, v188
	s_and_b32 s16, s15, vcc_lo
	s_wait_alu 0xfffe
	s_and_saveexec_b32 s15, s16
	s_cbranch_execz .LBB739_156
; %bb.155:                              ;   in Loop: Header=BB739_104 Depth=2
	s_wait_dscnt 0x0
	v_bcnt_u32_b32 v68, v68, v187
	ds_store_b32 v189, v68 offset:1056
.LBB739_156:                            ;   in Loop: Header=BB739_104 Depth=2
	s_wait_alu 0xfffe
	s_or_b32 exec_lo, exec_lo, s15
	v_xor_b32_e32 v67, 0x7fffffff, v67
	v_not_b32_e32 v66, v66
	; wave barrier
	s_delay_alu instid0(VALU_DEP_1) | instskip(NEXT) | instid1(VALU_DEP_1)
	v_lshrrev_b64 v[68:69], s48, v[66:67]
	v_and_b32_e32 v69, s55, v68
	s_delay_alu instid0(VALU_DEP_1)
	v_and_b32_e32 v68, 1, v69
	v_lshlrev_b32_e32 v70, 30, v69
	v_lshlrev_b32_e32 v71, 29, v69
	;; [unrolled: 1-line block ×4, first 2 shown]
	v_add_co_u32 v68, s15, v68, -1
	s_wait_alu 0xf1ff
	v_cndmask_b32_e64 v73, 0, 1, s15
	v_not_b32_e32 v191, v70
	v_cmp_gt_i32_e64 s15, 0, v70
	v_not_b32_e32 v70, v71
	v_lshlrev_b32_e32 v75, 26, v69
	v_cmp_ne_u32_e32 vcc_lo, 0, v73
	v_ashrrev_i32_e32 v191, 31, v191
	v_lshlrev_b32_e32 v190, 25, v69
	v_ashrrev_i32_e32 v70, 31, v70
	v_lshlrev_b32_e32 v73, 24, v69
	s_wait_alu 0xfffd
	v_xor_b32_e32 v68, vcc_lo, v68
	v_cmp_gt_i32_e32 vcc_lo, 0, v71
	v_not_b32_e32 v71, v72
	s_wait_alu 0xf1ff
	v_xor_b32_e32 v191, s15, v191
	v_cmp_gt_i32_e64 s15, 0, v72
	v_and_b32_e32 v68, exec_lo, v68
	v_not_b32_e32 v72, v74
	v_ashrrev_i32_e32 v71, 31, v71
	s_wait_alu 0xfffd
	v_xor_b32_e32 v70, vcc_lo, v70
	v_cmp_gt_i32_e32 vcc_lo, 0, v74
	v_and_b32_e32 v68, v68, v191
	v_not_b32_e32 v74, v75
	v_ashrrev_i32_e32 v72, 31, v72
	s_wait_alu 0xf1ff
	v_xor_b32_e32 v71, s15, v71
	v_cmp_gt_i32_e64 s15, 0, v75
	v_and_b32_e32 v68, v68, v70
	v_not_b32_e32 v70, v190
	v_ashrrev_i32_e32 v74, 31, v74
	s_wait_alu 0xfffd
	v_xor_b32_e32 v72, vcc_lo, v72
	v_cmp_gt_i32_e32 vcc_lo, 0, v190
	v_and_b32_e32 v68, v68, v71
	v_not_b32_e32 v71, v73
	v_ashrrev_i32_e32 v70, 31, v70
	s_wait_alu 0xf1ff
	v_xor_b32_e32 v74, s15, v74
	v_cmp_gt_i32_e64 s15, 0, v73
	v_and_b32_e32 v68, v68, v72
	v_ashrrev_i32_e32 v71, 31, v71
	s_wait_alu 0xfffd
	v_xor_b32_e32 v70, vcc_lo, v70
	v_mad_u32_u24 v72, v69, 36, v145
	v_mul_u32_u24_e32 v69, 36, v69
	v_and_b32_e32 v68, v68, v74
	s_wait_alu 0xf1ff
	v_xor_b32_e32 v71, s15, v71
	ds_load_b32 v190, v72 offset:1056
	v_add_nc_u32_e32 v192, v145, v69
	v_and_b32_e32 v68, v68, v70
	; wave barrier
	s_delay_alu instid0(VALU_DEP_1) | instskip(NEXT) | instid1(VALU_DEP_1)
	v_and_b32_e32 v68, v68, v71
	v_mbcnt_lo_u32_b32 v191, v68, 0
	v_cmp_ne_u32_e64 s15, 0, v68
	s_delay_alu instid0(VALU_DEP_2)
	v_cmp_eq_u32_e32 vcc_lo, 0, v191
	s_and_b32 s16, s15, vcc_lo
	s_wait_alu 0xfffe
	s_and_saveexec_b32 s15, s16
	s_cbranch_execz .LBB739_158
; %bb.157:                              ;   in Loop: Header=BB739_104 Depth=2
	s_wait_dscnt 0x0
	v_bcnt_u32_b32 v68, v68, v190
	ds_store_b32 v192, v68 offset:1056
.LBB739_158:                            ;   in Loop: Header=BB739_104 Depth=2
	s_wait_alu 0xfffe
	s_or_b32 exec_lo, exec_lo, s15
	v_xor_b32_e32 v63, 0x7fffffff, v63
	v_not_b32_e32 v62, v62
	; wave barrier
	s_delay_alu instid0(VALU_DEP_1) | instskip(NEXT) | instid1(VALU_DEP_1)
	v_lshrrev_b64 v[68:69], s48, v[62:63]
	v_and_b32_e32 v69, s55, v68
	s_delay_alu instid0(VALU_DEP_1)
	v_and_b32_e32 v68, 1, v69
	v_lshlrev_b32_e32 v70, 30, v69
	v_lshlrev_b32_e32 v71, 29, v69
	;; [unrolled: 1-line block ×4, first 2 shown]
	v_add_co_u32 v68, s15, v68, -1
	s_wait_alu 0xf1ff
	v_cndmask_b32_e64 v73, 0, 1, s15
	v_not_b32_e32 v194, v70
	v_cmp_gt_i32_e64 s15, 0, v70
	v_not_b32_e32 v70, v71
	v_lshlrev_b32_e32 v75, 26, v69
	v_cmp_ne_u32_e32 vcc_lo, 0, v73
	v_ashrrev_i32_e32 v194, 31, v194
	v_lshlrev_b32_e32 v193, 25, v69
	v_ashrrev_i32_e32 v70, 31, v70
	v_lshlrev_b32_e32 v73, 24, v69
	s_wait_alu 0xfffd
	v_xor_b32_e32 v68, vcc_lo, v68
	v_cmp_gt_i32_e32 vcc_lo, 0, v71
	v_not_b32_e32 v71, v72
	s_wait_alu 0xf1ff
	v_xor_b32_e32 v194, s15, v194
	v_cmp_gt_i32_e64 s15, 0, v72
	v_and_b32_e32 v68, exec_lo, v68
	v_not_b32_e32 v72, v74
	v_ashrrev_i32_e32 v71, 31, v71
	s_wait_alu 0xfffd
	v_xor_b32_e32 v70, vcc_lo, v70
	v_cmp_gt_i32_e32 vcc_lo, 0, v74
	v_and_b32_e32 v68, v68, v194
	v_not_b32_e32 v74, v75
	v_ashrrev_i32_e32 v72, 31, v72
	s_wait_alu 0xf1ff
	v_xor_b32_e32 v71, s15, v71
	v_cmp_gt_i32_e64 s15, 0, v75
	v_and_b32_e32 v68, v68, v70
	v_not_b32_e32 v70, v193
	v_ashrrev_i32_e32 v74, 31, v74
	s_wait_alu 0xfffd
	v_xor_b32_e32 v72, vcc_lo, v72
	v_cmp_gt_i32_e32 vcc_lo, 0, v193
	v_and_b32_e32 v68, v68, v71
	v_not_b32_e32 v71, v73
	v_ashrrev_i32_e32 v70, 31, v70
	s_wait_alu 0xf1ff
	v_xor_b32_e32 v74, s15, v74
	v_cmp_gt_i32_e64 s15, 0, v73
	v_and_b32_e32 v68, v68, v72
	v_ashrrev_i32_e32 v71, 31, v71
	s_wait_alu 0xfffd
	v_xor_b32_e32 v70, vcc_lo, v70
	v_mad_u32_u24 v72, v69, 36, v145
	v_mul_u32_u24_e32 v69, 36, v69
	v_and_b32_e32 v68, v68, v74
	s_wait_alu 0xf1ff
	v_xor_b32_e32 v71, s15, v71
	ds_load_b32 v193, v72 offset:1056
	v_add_nc_u32_e32 v195, v145, v69
	v_and_b32_e32 v68, v68, v70
	; wave barrier
	s_delay_alu instid0(VALU_DEP_1) | instskip(NEXT) | instid1(VALU_DEP_1)
	v_and_b32_e32 v68, v68, v71
	v_mbcnt_lo_u32_b32 v194, v68, 0
	v_cmp_ne_u32_e64 s15, 0, v68
	s_delay_alu instid0(VALU_DEP_2)
	v_cmp_eq_u32_e32 vcc_lo, 0, v194
	s_and_b32 s16, s15, vcc_lo
	s_wait_alu 0xfffe
	s_and_saveexec_b32 s15, s16
	s_cbranch_execz .LBB739_160
; %bb.159:                              ;   in Loop: Header=BB739_104 Depth=2
	s_wait_dscnt 0x0
	v_bcnt_u32_b32 v68, v68, v193
	ds_store_b32 v195, v68 offset:1056
.LBB739_160:                            ;   in Loop: Header=BB739_104 Depth=2
	s_wait_alu 0xfffe
	s_or_b32 exec_lo, exec_lo, s15
	v_xor_b32_e32 v59, 0x7fffffff, v59
	v_not_b32_e32 v58, v58
	; wave barrier
	s_delay_alu instid0(VALU_DEP_1) | instskip(NEXT) | instid1(VALU_DEP_1)
	v_lshrrev_b64 v[68:69], s48, v[58:59]
	v_and_b32_e32 v69, s55, v68
	s_delay_alu instid0(VALU_DEP_1)
	v_and_b32_e32 v68, 1, v69
	v_lshlrev_b32_e32 v70, 30, v69
	v_lshlrev_b32_e32 v71, 29, v69
	;; [unrolled: 1-line block ×4, first 2 shown]
	v_add_co_u32 v68, s15, v68, -1
	s_wait_alu 0xf1ff
	v_cndmask_b32_e64 v73, 0, 1, s15
	v_not_b32_e32 v197, v70
	v_cmp_gt_i32_e64 s15, 0, v70
	v_not_b32_e32 v70, v71
	v_lshlrev_b32_e32 v75, 26, v69
	v_cmp_ne_u32_e32 vcc_lo, 0, v73
	v_ashrrev_i32_e32 v197, 31, v197
	v_lshlrev_b32_e32 v196, 25, v69
	v_ashrrev_i32_e32 v70, 31, v70
	v_lshlrev_b32_e32 v73, 24, v69
	s_wait_alu 0xfffd
	v_xor_b32_e32 v68, vcc_lo, v68
	v_cmp_gt_i32_e32 vcc_lo, 0, v71
	v_not_b32_e32 v71, v72
	s_wait_alu 0xf1ff
	v_xor_b32_e32 v197, s15, v197
	v_cmp_gt_i32_e64 s15, 0, v72
	v_and_b32_e32 v68, exec_lo, v68
	v_not_b32_e32 v72, v74
	v_ashrrev_i32_e32 v71, 31, v71
	s_wait_alu 0xfffd
	v_xor_b32_e32 v70, vcc_lo, v70
	v_cmp_gt_i32_e32 vcc_lo, 0, v74
	v_and_b32_e32 v68, v68, v197
	v_not_b32_e32 v74, v75
	v_ashrrev_i32_e32 v72, 31, v72
	s_wait_alu 0xf1ff
	v_xor_b32_e32 v71, s15, v71
	v_cmp_gt_i32_e64 s15, 0, v75
	v_and_b32_e32 v68, v68, v70
	v_not_b32_e32 v70, v196
	v_ashrrev_i32_e32 v74, 31, v74
	s_wait_alu 0xfffd
	v_xor_b32_e32 v72, vcc_lo, v72
	v_cmp_gt_i32_e32 vcc_lo, 0, v196
	v_and_b32_e32 v68, v68, v71
	v_not_b32_e32 v71, v73
	v_ashrrev_i32_e32 v70, 31, v70
	s_wait_alu 0xf1ff
	v_xor_b32_e32 v74, s15, v74
	v_cmp_gt_i32_e64 s15, 0, v73
	v_and_b32_e32 v68, v68, v72
	v_ashrrev_i32_e32 v71, 31, v71
	s_wait_alu 0xfffd
	v_xor_b32_e32 v70, vcc_lo, v70
	v_mad_u32_u24 v72, v69, 36, v145
	v_mul_u32_u24_e32 v69, 36, v69
	v_and_b32_e32 v68, v68, v74
	s_wait_alu 0xf1ff
	v_xor_b32_e32 v71, s15, v71
	ds_load_b32 v196, v72 offset:1056
	v_add_nc_u32_e32 v198, v145, v69
	v_and_b32_e32 v68, v68, v70
	; wave barrier
	s_delay_alu instid0(VALU_DEP_1) | instskip(NEXT) | instid1(VALU_DEP_1)
	v_and_b32_e32 v68, v68, v71
	v_mbcnt_lo_u32_b32 v197, v68, 0
	v_cmp_ne_u32_e64 s15, 0, v68
	s_delay_alu instid0(VALU_DEP_2)
	v_cmp_eq_u32_e32 vcc_lo, 0, v197
	s_and_b32 s16, s15, vcc_lo
	s_wait_alu 0xfffe
	s_and_saveexec_b32 s15, s16
	s_cbranch_execz .LBB739_162
; %bb.161:                              ;   in Loop: Header=BB739_104 Depth=2
	s_wait_dscnt 0x0
	v_bcnt_u32_b32 v68, v68, v196
	ds_store_b32 v198, v68 offset:1056
.LBB739_162:                            ;   in Loop: Header=BB739_104 Depth=2
	s_wait_alu 0xfffe
	s_or_b32 exec_lo, exec_lo, s15
	v_xor_b32_e32 v55, 0x7fffffff, v55
	v_not_b32_e32 v54, v54
	; wave barrier
	s_delay_alu instid0(VALU_DEP_1) | instskip(NEXT) | instid1(VALU_DEP_1)
	v_lshrrev_b64 v[68:69], s48, v[54:55]
	v_and_b32_e32 v69, s55, v68
	s_delay_alu instid0(VALU_DEP_1)
	v_and_b32_e32 v68, 1, v69
	v_lshlrev_b32_e32 v70, 30, v69
	v_lshlrev_b32_e32 v71, 29, v69
	;; [unrolled: 1-line block ×4, first 2 shown]
	v_add_co_u32 v68, s15, v68, -1
	s_wait_alu 0xf1ff
	v_cndmask_b32_e64 v73, 0, 1, s15
	v_not_b32_e32 v200, v70
	v_cmp_gt_i32_e64 s15, 0, v70
	v_not_b32_e32 v70, v71
	v_lshlrev_b32_e32 v75, 26, v69
	v_cmp_ne_u32_e32 vcc_lo, 0, v73
	v_ashrrev_i32_e32 v200, 31, v200
	v_lshlrev_b32_e32 v199, 25, v69
	v_ashrrev_i32_e32 v70, 31, v70
	v_lshlrev_b32_e32 v73, 24, v69
	s_wait_alu 0xfffd
	v_xor_b32_e32 v68, vcc_lo, v68
	v_cmp_gt_i32_e32 vcc_lo, 0, v71
	v_not_b32_e32 v71, v72
	s_wait_alu 0xf1ff
	v_xor_b32_e32 v200, s15, v200
	v_cmp_gt_i32_e64 s15, 0, v72
	v_and_b32_e32 v68, exec_lo, v68
	v_not_b32_e32 v72, v74
	v_ashrrev_i32_e32 v71, 31, v71
	s_wait_alu 0xfffd
	v_xor_b32_e32 v70, vcc_lo, v70
	v_cmp_gt_i32_e32 vcc_lo, 0, v74
	v_and_b32_e32 v68, v68, v200
	v_not_b32_e32 v74, v75
	v_ashrrev_i32_e32 v72, 31, v72
	s_wait_alu 0xf1ff
	v_xor_b32_e32 v71, s15, v71
	v_cmp_gt_i32_e64 s15, 0, v75
	v_and_b32_e32 v68, v68, v70
	v_not_b32_e32 v70, v199
	v_ashrrev_i32_e32 v74, 31, v74
	s_wait_alu 0xfffd
	v_xor_b32_e32 v72, vcc_lo, v72
	v_cmp_gt_i32_e32 vcc_lo, 0, v199
	v_and_b32_e32 v68, v68, v71
	v_not_b32_e32 v71, v73
	v_ashrrev_i32_e32 v70, 31, v70
	s_wait_alu 0xf1ff
	v_xor_b32_e32 v74, s15, v74
	v_cmp_gt_i32_e64 s15, 0, v73
	v_and_b32_e32 v68, v68, v72
	v_ashrrev_i32_e32 v71, 31, v71
	s_wait_alu 0xfffd
	v_xor_b32_e32 v70, vcc_lo, v70
	v_mad_u32_u24 v72, v69, 36, v145
	v_mul_u32_u24_e32 v69, 36, v69
	v_and_b32_e32 v68, v68, v74
	s_wait_alu 0xf1ff
	v_xor_b32_e32 v71, s15, v71
	ds_load_b32 v199, v72 offset:1056
	v_add_nc_u32_e32 v201, v145, v69
	v_and_b32_e32 v68, v68, v70
	; wave barrier
	s_delay_alu instid0(VALU_DEP_1) | instskip(NEXT) | instid1(VALU_DEP_1)
	v_and_b32_e32 v68, v68, v71
	v_mbcnt_lo_u32_b32 v200, v68, 0
	v_cmp_ne_u32_e64 s15, 0, v68
	s_delay_alu instid0(VALU_DEP_2)
	v_cmp_eq_u32_e32 vcc_lo, 0, v200
	s_and_b32 s16, s15, vcc_lo
	s_wait_alu 0xfffe
	s_and_saveexec_b32 s15, s16
	s_cbranch_execz .LBB739_164
; %bb.163:                              ;   in Loop: Header=BB739_104 Depth=2
	s_wait_dscnt 0x0
	v_bcnt_u32_b32 v68, v68, v199
	ds_store_b32 v201, v68 offset:1056
.LBB739_164:                            ;   in Loop: Header=BB739_104 Depth=2
	s_wait_alu 0xfffe
	s_or_b32 exec_lo, exec_lo, s15
	v_xor_b32_e32 v51, 0x7fffffff, v51
	v_not_b32_e32 v50, v50
	; wave barrier
	s_delay_alu instid0(VALU_DEP_1) | instskip(NEXT) | instid1(VALU_DEP_1)
	v_lshrrev_b64 v[68:69], s48, v[50:51]
	v_and_b32_e32 v69, s55, v68
	s_delay_alu instid0(VALU_DEP_1)
	v_and_b32_e32 v68, 1, v69
	v_lshlrev_b32_e32 v70, 30, v69
	v_lshlrev_b32_e32 v71, 29, v69
	;; [unrolled: 1-line block ×4, first 2 shown]
	v_add_co_u32 v68, s15, v68, -1
	s_wait_alu 0xf1ff
	v_cndmask_b32_e64 v73, 0, 1, s15
	v_not_b32_e32 v203, v70
	v_cmp_gt_i32_e64 s15, 0, v70
	v_not_b32_e32 v70, v71
	v_lshlrev_b32_e32 v75, 26, v69
	v_cmp_ne_u32_e32 vcc_lo, 0, v73
	v_ashrrev_i32_e32 v203, 31, v203
	v_lshlrev_b32_e32 v202, 25, v69
	v_ashrrev_i32_e32 v70, 31, v70
	v_lshlrev_b32_e32 v73, 24, v69
	s_wait_alu 0xfffd
	v_xor_b32_e32 v68, vcc_lo, v68
	v_cmp_gt_i32_e32 vcc_lo, 0, v71
	v_not_b32_e32 v71, v72
	s_wait_alu 0xf1ff
	v_xor_b32_e32 v203, s15, v203
	v_cmp_gt_i32_e64 s15, 0, v72
	v_and_b32_e32 v68, exec_lo, v68
	v_not_b32_e32 v72, v74
	v_ashrrev_i32_e32 v71, 31, v71
	s_wait_alu 0xfffd
	v_xor_b32_e32 v70, vcc_lo, v70
	v_cmp_gt_i32_e32 vcc_lo, 0, v74
	v_and_b32_e32 v68, v68, v203
	v_not_b32_e32 v74, v75
	v_ashrrev_i32_e32 v72, 31, v72
	s_wait_alu 0xf1ff
	v_xor_b32_e32 v71, s15, v71
	v_cmp_gt_i32_e64 s15, 0, v75
	v_and_b32_e32 v68, v68, v70
	v_not_b32_e32 v70, v202
	v_ashrrev_i32_e32 v74, 31, v74
	s_wait_alu 0xfffd
	v_xor_b32_e32 v72, vcc_lo, v72
	v_cmp_gt_i32_e32 vcc_lo, 0, v202
	v_and_b32_e32 v68, v68, v71
	v_not_b32_e32 v71, v73
	v_ashrrev_i32_e32 v70, 31, v70
	s_wait_alu 0xf1ff
	v_xor_b32_e32 v74, s15, v74
	v_cmp_gt_i32_e64 s15, 0, v73
	v_and_b32_e32 v68, v68, v72
	v_ashrrev_i32_e32 v71, 31, v71
	s_wait_alu 0xfffd
	v_xor_b32_e32 v70, vcc_lo, v70
	v_mad_u32_u24 v72, v69, 36, v145
	v_mul_u32_u24_e32 v69, 36, v69
	v_and_b32_e32 v68, v68, v74
	s_wait_alu 0xf1ff
	v_xor_b32_e32 v71, s15, v71
	ds_load_b32 v202, v72 offset:1056
	v_add_nc_u32_e32 v205, v145, v69
	v_and_b32_e32 v68, v68, v70
	; wave barrier
	s_delay_alu instid0(VALU_DEP_1) | instskip(NEXT) | instid1(VALU_DEP_1)
	v_and_b32_e32 v68, v68, v71
	v_mbcnt_lo_u32_b32 v203, v68, 0
	v_cmp_ne_u32_e64 s15, 0, v68
	s_delay_alu instid0(VALU_DEP_2)
	v_cmp_eq_u32_e32 vcc_lo, 0, v203
	s_and_b32 s16, s15, vcc_lo
	s_wait_alu 0xfffe
	s_and_saveexec_b32 s15, s16
	s_cbranch_execz .LBB739_166
; %bb.165:                              ;   in Loop: Header=BB739_104 Depth=2
	s_wait_dscnt 0x0
	v_bcnt_u32_b32 v68, v68, v202
	ds_store_b32 v205, v68 offset:1056
.LBB739_166:                            ;   in Loop: Header=BB739_104 Depth=2
	s_wait_alu 0xfffe
	s_or_b32 exec_lo, exec_lo, s15
	v_xor_b32_e32 v49, 0x7fffffff, v49
	v_not_b32_e32 v48, v48
	; wave barrier
	s_delay_alu instid0(VALU_DEP_1) | instskip(NEXT) | instid1(VALU_DEP_1)
	v_lshrrev_b64 v[68:69], s48, v[48:49]
	v_and_b32_e32 v69, s55, v68
	s_delay_alu instid0(VALU_DEP_1)
	v_and_b32_e32 v68, 1, v69
	v_lshlrev_b32_e32 v70, 30, v69
	v_lshlrev_b32_e32 v71, 29, v69
	;; [unrolled: 1-line block ×4, first 2 shown]
	v_add_co_u32 v68, s15, v68, -1
	s_wait_alu 0xf1ff
	v_cndmask_b32_e64 v73, 0, 1, s15
	v_not_b32_e32 v206, v70
	v_cmp_gt_i32_e64 s15, 0, v70
	v_not_b32_e32 v70, v71
	v_lshlrev_b32_e32 v75, 26, v69
	v_cmp_ne_u32_e32 vcc_lo, 0, v73
	v_ashrrev_i32_e32 v206, 31, v206
	v_lshlrev_b32_e32 v204, 25, v69
	v_ashrrev_i32_e32 v70, 31, v70
	v_lshlrev_b32_e32 v73, 24, v69
	s_wait_alu 0xfffd
	v_xor_b32_e32 v68, vcc_lo, v68
	v_cmp_gt_i32_e32 vcc_lo, 0, v71
	v_not_b32_e32 v71, v72
	s_wait_alu 0xf1ff
	v_xor_b32_e32 v206, s15, v206
	v_cmp_gt_i32_e64 s15, 0, v72
	v_and_b32_e32 v68, exec_lo, v68
	v_not_b32_e32 v72, v74
	v_ashrrev_i32_e32 v71, 31, v71
	s_wait_alu 0xfffd
	v_xor_b32_e32 v70, vcc_lo, v70
	v_cmp_gt_i32_e32 vcc_lo, 0, v74
	v_and_b32_e32 v68, v68, v206
	v_not_b32_e32 v74, v75
	v_ashrrev_i32_e32 v72, 31, v72
	s_wait_alu 0xf1ff
	v_xor_b32_e32 v71, s15, v71
	v_cmp_gt_i32_e64 s15, 0, v75
	v_and_b32_e32 v68, v68, v70
	v_not_b32_e32 v70, v204
	v_ashrrev_i32_e32 v74, 31, v74
	s_wait_alu 0xfffd
	v_xor_b32_e32 v72, vcc_lo, v72
	v_cmp_gt_i32_e32 vcc_lo, 0, v204
	v_and_b32_e32 v68, v68, v71
	v_not_b32_e32 v71, v73
	v_ashrrev_i32_e32 v70, 31, v70
	s_wait_alu 0xf1ff
	v_xor_b32_e32 v74, s15, v74
	v_cmp_gt_i32_e64 s15, 0, v73
	v_and_b32_e32 v68, v68, v72
	v_ashrrev_i32_e32 v71, 31, v71
	s_wait_alu 0xfffd
	v_xor_b32_e32 v70, vcc_lo, v70
	v_mad_u32_u24 v72, v69, 36, v145
	v_mul_u32_u24_e32 v69, 36, v69
	v_and_b32_e32 v68, v68, v74
	s_wait_alu 0xf1ff
	v_xor_b32_e32 v71, s15, v71
	ds_load_b32 v204, v72 offset:1056
	v_add_nc_u32_e32 v208, v145, v69
	v_and_b32_e32 v68, v68, v70
	; wave barrier
	s_delay_alu instid0(VALU_DEP_1) | instskip(NEXT) | instid1(VALU_DEP_1)
	v_and_b32_e32 v68, v68, v71
	v_mbcnt_lo_u32_b32 v206, v68, 0
	v_cmp_ne_u32_e64 s15, 0, v68
	s_delay_alu instid0(VALU_DEP_2)
	v_cmp_eq_u32_e32 vcc_lo, 0, v206
	s_and_b32 s16, s15, vcc_lo
	s_wait_alu 0xfffe
	s_and_saveexec_b32 s15, s16
	s_cbranch_execz .LBB739_168
; %bb.167:                              ;   in Loop: Header=BB739_104 Depth=2
	s_wait_dscnt 0x0
	v_bcnt_u32_b32 v68, v68, v204
	ds_store_b32 v208, v68 offset:1056
.LBB739_168:                            ;   in Loop: Header=BB739_104 Depth=2
	s_wait_alu 0xfffe
	s_or_b32 exec_lo, exec_lo, s15
	v_xor_b32_e32 v45, 0x7fffffff, v45
	v_not_b32_e32 v44, v44
	; wave barrier
	s_delay_alu instid0(VALU_DEP_1) | instskip(NEXT) | instid1(VALU_DEP_1)
	v_lshrrev_b64 v[68:69], s48, v[44:45]
	v_and_b32_e32 v69, s55, v68
	s_delay_alu instid0(VALU_DEP_1)
	v_and_b32_e32 v68, 1, v69
	v_lshlrev_b32_e32 v70, 30, v69
	v_lshlrev_b32_e32 v71, 29, v69
	;; [unrolled: 1-line block ×4, first 2 shown]
	v_add_co_u32 v68, s15, v68, -1
	s_wait_alu 0xf1ff
	v_cndmask_b32_e64 v73, 0, 1, s15
	v_not_b32_e32 v209, v70
	v_cmp_gt_i32_e64 s15, 0, v70
	v_not_b32_e32 v70, v71
	v_lshlrev_b32_e32 v75, 26, v69
	v_cmp_ne_u32_e32 vcc_lo, 0, v73
	v_ashrrev_i32_e32 v209, 31, v209
	v_lshlrev_b32_e32 v207, 25, v69
	v_ashrrev_i32_e32 v70, 31, v70
	v_lshlrev_b32_e32 v73, 24, v69
	s_wait_alu 0xfffd
	v_xor_b32_e32 v68, vcc_lo, v68
	v_cmp_gt_i32_e32 vcc_lo, 0, v71
	v_not_b32_e32 v71, v72
	s_wait_alu 0xf1ff
	v_xor_b32_e32 v209, s15, v209
	v_cmp_gt_i32_e64 s15, 0, v72
	v_and_b32_e32 v68, exec_lo, v68
	v_not_b32_e32 v72, v74
	v_ashrrev_i32_e32 v71, 31, v71
	s_wait_alu 0xfffd
	v_xor_b32_e32 v70, vcc_lo, v70
	v_cmp_gt_i32_e32 vcc_lo, 0, v74
	v_and_b32_e32 v68, v68, v209
	v_not_b32_e32 v74, v75
	v_ashrrev_i32_e32 v72, 31, v72
	s_wait_alu 0xf1ff
	v_xor_b32_e32 v71, s15, v71
	v_cmp_gt_i32_e64 s15, 0, v75
	v_and_b32_e32 v68, v68, v70
	v_not_b32_e32 v70, v207
	v_ashrrev_i32_e32 v74, 31, v74
	s_wait_alu 0xfffd
	v_xor_b32_e32 v72, vcc_lo, v72
	v_cmp_gt_i32_e32 vcc_lo, 0, v207
	v_and_b32_e32 v68, v68, v71
	v_not_b32_e32 v71, v73
	v_ashrrev_i32_e32 v70, 31, v70
	s_wait_alu 0xf1ff
	v_xor_b32_e32 v74, s15, v74
	v_cmp_gt_i32_e64 s15, 0, v73
	v_and_b32_e32 v68, v68, v72
	v_ashrrev_i32_e32 v71, 31, v71
	s_wait_alu 0xfffd
	v_xor_b32_e32 v70, vcc_lo, v70
	v_mad_u32_u24 v72, v69, 36, v145
	v_mul_u32_u24_e32 v69, 36, v69
	v_and_b32_e32 v68, v68, v74
	s_wait_alu 0xf1ff
	v_xor_b32_e32 v71, s15, v71
	ds_load_b32 v207, v72 offset:1056
	v_add_nc_u32_e32 v212, v145, v69
	v_and_b32_e32 v68, v68, v70
	; wave barrier
	s_delay_alu instid0(VALU_DEP_1) | instskip(NEXT) | instid1(VALU_DEP_1)
	v_and_b32_e32 v68, v68, v71
	v_mbcnt_lo_u32_b32 v209, v68, 0
	v_cmp_ne_u32_e64 s15, 0, v68
	s_delay_alu instid0(VALU_DEP_2)
	v_cmp_eq_u32_e32 vcc_lo, 0, v209
	s_and_b32 s16, s15, vcc_lo
	s_wait_alu 0xfffe
	s_and_saveexec_b32 s15, s16
	s_cbranch_execz .LBB739_170
; %bb.169:                              ;   in Loop: Header=BB739_104 Depth=2
	s_wait_dscnt 0x0
	v_bcnt_u32_b32 v68, v68, v207
	ds_store_b32 v212, v68 offset:1056
.LBB739_170:                            ;   in Loop: Header=BB739_104 Depth=2
	s_wait_alu 0xfffe
	s_or_b32 exec_lo, exec_lo, s15
	v_lshrrev_b64 v[68:69], s48, v[36:37]
	; wave barrier
	s_delay_alu instid0(VALU_DEP_1) | instskip(NEXT) | instid1(VALU_DEP_1)
	v_and_b32_e32 v69, s55, v68
	v_and_b32_e32 v68, 1, v69
	v_lshlrev_b32_e32 v70, 30, v69
	v_lshlrev_b32_e32 v71, 29, v69
	;; [unrolled: 1-line block ×4, first 2 shown]
	v_add_co_u32 v68, s15, v68, -1
	s_wait_alu 0xf1ff
	v_cndmask_b32_e64 v73, 0, 1, s15
	v_not_b32_e32 v211, v70
	v_cmp_gt_i32_e64 s15, 0, v70
	v_not_b32_e32 v70, v71
	v_lshlrev_b32_e32 v75, 26, v69
	v_cmp_ne_u32_e32 vcc_lo, 0, v73
	v_ashrrev_i32_e32 v211, 31, v211
	v_lshlrev_b32_e32 v210, 25, v69
	v_ashrrev_i32_e32 v70, 31, v70
	v_lshlrev_b32_e32 v73, 24, v69
	s_wait_alu 0xfffd
	v_xor_b32_e32 v68, vcc_lo, v68
	v_cmp_gt_i32_e32 vcc_lo, 0, v71
	v_not_b32_e32 v71, v72
	s_wait_alu 0xf1ff
	v_xor_b32_e32 v211, s15, v211
	v_cmp_gt_i32_e64 s15, 0, v72
	v_and_b32_e32 v68, exec_lo, v68
	v_not_b32_e32 v72, v74
	v_ashrrev_i32_e32 v71, 31, v71
	s_wait_alu 0xfffd
	v_xor_b32_e32 v70, vcc_lo, v70
	v_cmp_gt_i32_e32 vcc_lo, 0, v74
	v_and_b32_e32 v68, v68, v211
	v_not_b32_e32 v74, v75
	v_ashrrev_i32_e32 v72, 31, v72
	s_wait_alu 0xf1ff
	v_xor_b32_e32 v71, s15, v71
	v_cmp_gt_i32_e64 s15, 0, v75
	v_and_b32_e32 v68, v68, v70
	v_not_b32_e32 v70, v210
	v_ashrrev_i32_e32 v74, 31, v74
	s_wait_alu 0xfffd
	v_xor_b32_e32 v72, vcc_lo, v72
	v_cmp_gt_i32_e32 vcc_lo, 0, v210
	v_and_b32_e32 v68, v68, v71
	v_not_b32_e32 v71, v73
	v_ashrrev_i32_e32 v70, 31, v70
	s_wait_alu 0xf1ff
	v_xor_b32_e32 v74, s15, v74
	v_cmp_gt_i32_e64 s15, 0, v73
	v_and_b32_e32 v68, v68, v72
	v_ashrrev_i32_e32 v71, 31, v71
	s_wait_alu 0xfffd
	v_xor_b32_e32 v70, vcc_lo, v70
	v_mad_u32_u24 v72, v69, 36, v145
	v_mul_u32_u24_e32 v69, 36, v69
	v_and_b32_e32 v68, v68, v74
	s_wait_alu 0xf1ff
	v_xor_b32_e32 v71, s15, v71
	ds_load_b32 v210, v72 offset:1056
	v_add_nc_u32_e32 v213, v145, v69
	v_and_b32_e32 v68, v68, v70
	; wave barrier
	s_delay_alu instid0(VALU_DEP_1) | instskip(NEXT) | instid1(VALU_DEP_1)
	v_and_b32_e32 v68, v68, v71
	v_mbcnt_lo_u32_b32 v211, v68, 0
	v_cmp_ne_u32_e64 s15, 0, v68
	s_delay_alu instid0(VALU_DEP_2)
	v_cmp_eq_u32_e32 vcc_lo, 0, v211
	s_and_b32 s16, s15, vcc_lo
	s_wait_alu 0xfffe
	s_and_saveexec_b32 s15, s16
	s_cbranch_execz .LBB739_172
; %bb.171:                              ;   in Loop: Header=BB739_104 Depth=2
	s_wait_dscnt 0x0
	v_bcnt_u32_b32 v68, v68, v210
	ds_store_b32 v213, v68 offset:1056
.LBB739_172:                            ;   in Loop: Header=BB739_104 Depth=2
	s_wait_alu 0xfffe
	s_or_b32 exec_lo, exec_lo, s15
	; wave barrier
	s_wait_loadcnt_dscnt 0x0
	s_barrier_signal -1
	s_barrier_wait -1
	global_inv scope:SCOPE_SE
	ds_load_2addr_b32 v[74:75], v165 offset1:1
	ds_load_2addr_b32 v[72:73], v166 offset1:1
	;; [unrolled: 1-line block ×4, first 2 shown]
	ds_load_b32 v214, v100 offset:1088
	s_wait_dscnt 0x3
	v_add3_u32 v215, v75, v74, v72
	s_wait_dscnt 0x2
	s_delay_alu instid0(VALU_DEP_1) | instskip(SKIP_1) | instid1(VALU_DEP_1)
	v_add3_u32 v215, v215, v73, v70
	s_wait_dscnt 0x1
	v_add3_u32 v215, v215, v71, v68
	s_wait_dscnt 0x0
	s_delay_alu instid0(VALU_DEP_1) | instskip(NEXT) | instid1(VALU_DEP_1)
	v_add3_u32 v214, v215, v69, v214
	v_mov_b32_dpp v215, v214 row_shr:1 row_mask:0xf bank_mask:0xf
	s_delay_alu instid0(VALU_DEP_1) | instskip(NEXT) | instid1(VALU_DEP_1)
	v_cndmask_b32_e64 v215, v215, 0, s0
	v_add_nc_u32_e32 v214, v215, v214
	s_delay_alu instid0(VALU_DEP_1) | instskip(NEXT) | instid1(VALU_DEP_1)
	v_mov_b32_dpp v215, v214 row_shr:2 row_mask:0xf bank_mask:0xf
	v_cndmask_b32_e64 v215, 0, v215, s1
	s_delay_alu instid0(VALU_DEP_1) | instskip(NEXT) | instid1(VALU_DEP_1)
	v_add_nc_u32_e32 v214, v214, v215
	v_mov_b32_dpp v215, v214 row_shr:4 row_mask:0xf bank_mask:0xf
	s_delay_alu instid0(VALU_DEP_1) | instskip(NEXT) | instid1(VALU_DEP_1)
	v_cndmask_b32_e64 v215, 0, v215, s8
	v_add_nc_u32_e32 v214, v214, v215
	s_delay_alu instid0(VALU_DEP_1) | instskip(NEXT) | instid1(VALU_DEP_1)
	v_mov_b32_dpp v215, v214 row_shr:8 row_mask:0xf bank_mask:0xf
	v_cndmask_b32_e64 v215, 0, v215, s9
	s_delay_alu instid0(VALU_DEP_1) | instskip(SKIP_3) | instid1(VALU_DEP_1)
	v_add_nc_u32_e32 v214, v214, v215
	ds_swizzle_b32 v215, v214 offset:swizzle(BROADCAST,32,15)
	s_wait_dscnt 0x0
	v_cndmask_b32_e64 v215, v215, 0, s10
	v_add_nc_u32_e32 v214, v214, v215
	s_and_saveexec_b32 s15, s3
; %bb.173:                              ;   in Loop: Header=BB739_104 Depth=2
	ds_store_b32 v95, v214 offset:1024
; %bb.174:                              ;   in Loop: Header=BB739_104 Depth=2
	s_wait_alu 0xfffe
	s_or_b32 exec_lo, exec_lo, s15
	s_wait_loadcnt_dscnt 0x0
	s_barrier_signal -1
	s_barrier_wait -1
	global_inv scope:SCOPE_SE
	s_and_saveexec_b32 s15, s4
	s_cbranch_execz .LBB739_176
; %bb.175:                              ;   in Loop: Header=BB739_104 Depth=2
	ds_load_b32 v215, v103 offset:1024
	s_wait_dscnt 0x0
	v_mov_b32_dpp v216, v215 row_shr:1 row_mask:0xf bank_mask:0xf
	s_delay_alu instid0(VALU_DEP_1) | instskip(NEXT) | instid1(VALU_DEP_1)
	v_cndmask_b32_e64 v216, v216, 0, s12
	v_add_nc_u32_e32 v215, v216, v215
	s_delay_alu instid0(VALU_DEP_1) | instskip(NEXT) | instid1(VALU_DEP_1)
	v_mov_b32_dpp v216, v215 row_shr:2 row_mask:0xf bank_mask:0xf
	v_cndmask_b32_e64 v216, 0, v216, s13
	s_delay_alu instid0(VALU_DEP_1) | instskip(NEXT) | instid1(VALU_DEP_1)
	v_add_nc_u32_e32 v215, v215, v216
	v_mov_b32_dpp v216, v215 row_shr:4 row_mask:0xf bank_mask:0xf
	s_delay_alu instid0(VALU_DEP_1) | instskip(NEXT) | instid1(VALU_DEP_1)
	v_cndmask_b32_e64 v216, 0, v216, s14
	v_add_nc_u32_e32 v215, v215, v216
	ds_store_b32 v103, v215 offset:1024
.LBB739_176:                            ;   in Loop: Header=BB739_104 Depth=2
	s_wait_alu 0xfffe
	s_or_b32 exec_lo, exec_lo, s15
	v_mov_b32_e32 v215, 0
	s_wait_loadcnt_dscnt 0x0
	s_barrier_signal -1
	s_barrier_wait -1
	global_inv scope:SCOPE_SE
	s_and_saveexec_b32 s15, s5
; %bb.177:                              ;   in Loop: Header=BB739_104 Depth=2
	ds_load_b32 v215, v95 offset:1020
; %bb.178:                              ;   in Loop: Header=BB739_104 Depth=2
	s_wait_alu 0xfffe
	s_or_b32 exec_lo, exec_lo, s15
	s_wait_dscnt 0x0
	v_add_nc_u32_e32 v214, v215, v214
	ds_bpermute_b32 v214, v124, v214
	s_wait_dscnt 0x0
	v_cndmask_b32_e64 v214, v214, v215, s11
	s_delay_alu instid0(VALU_DEP_1) | instskip(NEXT) | instid1(VALU_DEP_1)
	v_cndmask_b32_e64 v214, v214, 0, s6
	v_add_nc_u32_e32 v74, v214, v74
	s_delay_alu instid0(VALU_DEP_1) | instskip(NEXT) | instid1(VALU_DEP_1)
	v_add_nc_u32_e32 v75, v74, v75
	v_add_nc_u32_e32 v72, v75, v72
	s_delay_alu instid0(VALU_DEP_1) | instskip(NEXT) | instid1(VALU_DEP_1)
	v_add_nc_u32_e32 v73, v72, v73
	;; [unrolled: 3-line block ×3, first 2 shown]
	v_add_nc_u32_e32 v68, v71, v68
	s_delay_alu instid0(VALU_DEP_1)
	v_add_nc_u32_e32 v69, v68, v69
	ds_store_2addr_b32 v164, v71, v68 offset1:1
	ds_store_2addr_b32 v165, v214, v74 offset1:1
	;; [unrolled: 1-line block ×4, first 2 shown]
	ds_store_b32 v100, v69 offset:1088
	s_wait_loadcnt_dscnt 0x0
	s_barrier_signal -1
	s_barrier_wait -1
	global_inv scope:SCOPE_SE
	ds_load_b32 v69, v168 offset:1056
	ds_load_b32 v215, v171 offset:1056
	;; [unrolled: 1-line block ×17, first 2 shown]
	v_mov_b32_e32 v68, 0x1000
	s_and_saveexec_b32 s15, s7
; %bb.179:                              ;   in Loop: Header=BB739_104 Depth=2
	ds_load_b32 v68, v100 offset:1092
; %bb.180:                              ;   in Loop: Header=BB739_104 Depth=2
	s_wait_alu 0xfffe
	s_or_b32 exec_lo, exec_lo, s15
	s_wait_loadcnt_dscnt 0x0
	s_barrier_signal -1
	s_barrier_wait -1
	global_inv scope:SCOPE_SE
	s_and_saveexec_b32 s15, s2
	s_cbranch_execz .LBB739_182
; %bb.181:                              ;   in Loop: Header=BB739_104 Depth=2
	ds_load_b32 v180, v76
	s_wait_dscnt 0x0
	v_sub_nc_u32_e32 v177, v180, v177
	ds_store_b32 v76, v177
.LBB739_182:                            ;   in Loop: Header=BB739_104 Depth=2
	s_wait_alu 0xfffe
	s_or_b32 exec_lo, exec_lo, s15
	v_lshlrev_b32_e32 v163, 3, v163
	v_lshlrev_b32_e32 v170, 3, v170
	;; [unrolled: 1-line block ×5, first 2 shown]
	v_lshl_add_u32 v69, v69, 3, v163
	v_lshlrev_b32_e32 v163, 3, v172
	v_lshlrev_b32_e32 v172, 3, v214
	;; [unrolled: 1-line block ×11, first 2 shown]
	ds_store_b64 v69, v[38:39] offset:1024
	v_add3_u32 v38, v170, v169, v177
	v_add3_u32 v39, v173, v163, v172
	;; [unrolled: 1-line block ×5, first 2 shown]
	ds_store_b64 v38, v[40:41] offset:1024
	ds_store_b64 v39, v[42:43] offset:1024
	;; [unrolled: 1-line block ×5, first 2 shown]
	v_lshlrev_b32_e32 v40, 3, v185
	v_lshlrev_b32_e32 v41, 3, v184
	;; [unrolled: 1-line block ×15, first 2 shown]
	v_add3_u32 v40, v40, v41, v42
	v_add3_u32 v41, v43, v46, v47
	;; [unrolled: 1-line block ×5, first 2 shown]
	ds_store_b64 v40, v[60:61] offset:1024
	ds_store_b64 v41, v[64:65] offset:1024
	;; [unrolled: 1-line block ×5, first 2 shown]
	v_lshlrev_b32_e32 v47, 3, v200
	v_lshlrev_b32_e32 v52, 3, v199
	;; [unrolled: 1-line block ×15, first 2 shown]
	v_add3_u32 v47, v47, v52, v53
	v_add3_u32 v52, v56, v57, v58
	;; [unrolled: 1-line block ×5, first 2 shown]
	v_cmp_lt_u32_e32 vcc_lo, v1, v162
	ds_store_b64 v47, v[54:55] offset:1024
	ds_store_b64 v52, v[50:51] offset:1024
	;; [unrolled: 1-line block ×5, first 2 shown]
	s_wait_loadcnt_dscnt 0x0
	s_barrier_signal -1
	s_barrier_wait -1
	global_inv scope:SCOPE_SE
	s_and_saveexec_b32 s16, vcc_lo
	s_cbranch_execnz .LBB739_251
; %bb.183:                              ;   in Loop: Header=BB739_104 Depth=2
	s_wait_alu 0xfffe
	s_or_b32 exec_lo, exec_lo, s16
	v_cmp_lt_u32_e64 s15, v77, v162
	s_and_saveexec_b32 s17, s15
	s_cbranch_execnz .LBB739_252
.LBB739_184:                            ;   in Loop: Header=BB739_104 Depth=2
	s_wait_alu 0xfffe
	s_or_b32 exec_lo, exec_lo, s17
	v_cmp_lt_u32_e64 s16, v78, v162
	s_and_saveexec_b32 s18, s16
	s_cbranch_execnz .LBB739_253
.LBB739_185:                            ;   in Loop: Header=BB739_104 Depth=2
	s_wait_alu 0xfffe
	s_or_b32 exec_lo, exec_lo, s18
	v_cmp_lt_u32_e64 s17, v79, v162
	s_and_saveexec_b32 s19, s17
	s_cbranch_execnz .LBB739_254
.LBB739_186:                            ;   in Loop: Header=BB739_104 Depth=2
	s_wait_alu 0xfffe
	s_or_b32 exec_lo, exec_lo, s19
	v_cmp_lt_u32_e64 s18, v82, v162
	s_and_saveexec_b32 s20, s18
	s_cbranch_execnz .LBB739_255
.LBB739_187:                            ;   in Loop: Header=BB739_104 Depth=2
	s_wait_alu 0xfffe
	s_or_b32 exec_lo, exec_lo, s20
	v_cmp_lt_u32_e64 s19, v83, v162
	s_and_saveexec_b32 s21, s19
	s_cbranch_execnz .LBB739_256
.LBB739_188:                            ;   in Loop: Header=BB739_104 Depth=2
	s_wait_alu 0xfffe
	s_or_b32 exec_lo, exec_lo, s21
	v_cmp_lt_u32_e64 s20, v84, v162
	s_and_saveexec_b32 s22, s20
	s_cbranch_execnz .LBB739_257
.LBB739_189:                            ;   in Loop: Header=BB739_104 Depth=2
	s_wait_alu 0xfffe
	s_or_b32 exec_lo, exec_lo, s22
	v_cmp_lt_u32_e64 s21, v85, v162
	s_and_saveexec_b32 s23, s21
	s_cbranch_execnz .LBB739_258
.LBB739_190:                            ;   in Loop: Header=BB739_104 Depth=2
	s_wait_alu 0xfffe
	s_or_b32 exec_lo, exec_lo, s23
	v_cmp_lt_u32_e64 s22, v86, v162
	s_and_saveexec_b32 s24, s22
	s_cbranch_execnz .LBB739_259
.LBB739_191:                            ;   in Loop: Header=BB739_104 Depth=2
	s_wait_alu 0xfffe
	s_or_b32 exec_lo, exec_lo, s24
	v_cmp_lt_u32_e64 s23, v87, v162
	s_and_saveexec_b32 s25, s23
	s_cbranch_execnz .LBB739_260
.LBB739_192:                            ;   in Loop: Header=BB739_104 Depth=2
	s_wait_alu 0xfffe
	s_or_b32 exec_lo, exec_lo, s25
	v_cmp_lt_u32_e64 s24, v88, v162
	s_and_saveexec_b32 s26, s24
	s_cbranch_execnz .LBB739_261
.LBB739_193:                            ;   in Loop: Header=BB739_104 Depth=2
	s_wait_alu 0xfffe
	s_or_b32 exec_lo, exec_lo, s26
	v_cmp_lt_u32_e64 s25, v89, v162
	s_and_saveexec_b32 s27, s25
	s_cbranch_execnz .LBB739_262
.LBB739_194:                            ;   in Loop: Header=BB739_104 Depth=2
	s_wait_alu 0xfffe
	s_or_b32 exec_lo, exec_lo, s27
	v_cmp_lt_u32_e64 s26, v90, v162
	s_and_saveexec_b32 s28, s26
	s_cbranch_execnz .LBB739_263
.LBB739_195:                            ;   in Loop: Header=BB739_104 Depth=2
	s_wait_alu 0xfffe
	s_or_b32 exec_lo, exec_lo, s28
	v_cmp_lt_u32_e64 s27, v91, v162
	s_and_saveexec_b32 s29, s27
	s_cbranch_execnz .LBB739_264
.LBB739_196:                            ;   in Loop: Header=BB739_104 Depth=2
	s_wait_alu 0xfffe
	s_or_b32 exec_lo, exec_lo, s29
	v_cmp_lt_u32_e64 s28, v92, v162
	s_and_saveexec_b32 s30, s28
	s_cbranch_execnz .LBB739_265
.LBB739_197:                            ;   in Loop: Header=BB739_104 Depth=2
	s_wait_alu 0xfffe
	s_or_b32 exec_lo, exec_lo, s30
	v_cmp_lt_u32_e64 s29, v93, v162
	s_and_saveexec_b32 s58, s29
	s_cbranch_execz .LBB739_199
.LBB739_198:                            ;   in Loop: Header=BB739_104 Depth=2
	ds_load_b64 v[36:37], v108 offset:31744
	s_wait_dscnt 0x0
	v_lshrrev_b64 v[44:45], s48, v[36:37]
	v_xor_b32_e32 v37, 0x7fffffff, v37
	v_not_b32_e32 v36, v36
	s_delay_alu instid0(VALU_DEP_3) | instskip(NEXT) | instid1(VALU_DEP_1)
	v_dual_mov_b32 v45, v2 :: v_dual_and_b32 v44, s55, v44
	v_lshlrev_b32_e32 v44, 2, v44
	ds_load_b32 v44, v44
	s_wait_dscnt 0x0
	v_add_nc_u32_e32 v44, v44, v93
	s_delay_alu instid0(VALU_DEP_1) | instskip(NEXT) | instid1(VALU_DEP_1)
	v_lshlrev_b64_e32 v[44:45], 3, v[44:45]
	v_add_co_u32 v44, s30, s38, v44
	s_wait_alu 0xf1ff
	s_delay_alu instid0(VALU_DEP_2)
	v_add_co_ci_u32_e64 v45, null, s39, v45, s30
	global_store_b64 v[44:45], v[36:37], off
.LBB739_199:                            ;   in Loop: Header=BB739_104 Depth=2
	s_wait_alu 0xfffe
	s_or_b32 exec_lo, exec_lo, s58
	s_lshl_b64 s[58:59], s[34:35], 3
	s_wait_alu 0xfffe
	v_add_co_u32 v36, s30, v126, s58
	s_wait_alu 0xf1ff
	v_add_co_ci_u32_e64 v37, null, s59, v127, s30
	v_cmp_lt_u32_e64 s30, v125, v162
	s_and_saveexec_b32 s34, s30
	s_wait_alu 0xfffe
	s_xor_b32 s30, exec_lo, s34
	s_cbranch_execnz .LBB739_266
; %bb.200:                              ;   in Loop: Header=BB739_104 Depth=2
	s_wait_alu 0xfffe
	s_or_b32 exec_lo, exec_lo, s30
	s_delay_alu instid0(SALU_CYCLE_1)
	s_mov_b32 s34, exec_lo
	v_cmpx_lt_u32_e64 v128, v162
	s_cbranch_execnz .LBB739_267
.LBB739_201:                            ;   in Loop: Header=BB739_104 Depth=2
	s_wait_alu 0xfffe
	s_or_b32 exec_lo, exec_lo, s34
	s_delay_alu instid0(SALU_CYCLE_1)
	s_mov_b32 s34, exec_lo
	v_cmpx_lt_u32_e64 v129, v162
	s_cbranch_execnz .LBB739_268
.LBB739_202:                            ;   in Loop: Header=BB739_104 Depth=2
	s_wait_alu 0xfffe
	s_or_b32 exec_lo, exec_lo, s34
	s_delay_alu instid0(SALU_CYCLE_1)
	s_mov_b32 s34, exec_lo
	v_cmpx_lt_u32_e64 v130, v162
	s_cbranch_execnz .LBB739_269
.LBB739_203:                            ;   in Loop: Header=BB739_104 Depth=2
	s_wait_alu 0xfffe
	s_or_b32 exec_lo, exec_lo, s34
	s_delay_alu instid0(SALU_CYCLE_1)
	s_mov_b32 s34, exec_lo
	v_cmpx_lt_u32_e64 v131, v162
	s_cbranch_execnz .LBB739_270
.LBB739_204:                            ;   in Loop: Header=BB739_104 Depth=2
	s_wait_alu 0xfffe
	s_or_b32 exec_lo, exec_lo, s34
	s_delay_alu instid0(SALU_CYCLE_1)
	s_mov_b32 s34, exec_lo
	v_cmpx_lt_u32_e64 v132, v162
	s_cbranch_execnz .LBB739_271
.LBB739_205:                            ;   in Loop: Header=BB739_104 Depth=2
	s_wait_alu 0xfffe
	s_or_b32 exec_lo, exec_lo, s34
	s_delay_alu instid0(SALU_CYCLE_1)
	s_mov_b32 s34, exec_lo
	v_cmpx_lt_u32_e64 v133, v162
	s_cbranch_execnz .LBB739_272
.LBB739_206:                            ;   in Loop: Header=BB739_104 Depth=2
	s_wait_alu 0xfffe
	s_or_b32 exec_lo, exec_lo, s34
	s_delay_alu instid0(SALU_CYCLE_1)
	s_mov_b32 s34, exec_lo
	v_cmpx_lt_u32_e64 v134, v162
	s_cbranch_execnz .LBB739_273
.LBB739_207:                            ;   in Loop: Header=BB739_104 Depth=2
	s_wait_alu 0xfffe
	s_or_b32 exec_lo, exec_lo, s34
	s_delay_alu instid0(SALU_CYCLE_1)
	s_mov_b32 s34, exec_lo
	v_cmpx_lt_u32_e64 v135, v162
	s_cbranch_execnz .LBB739_274
.LBB739_208:                            ;   in Loop: Header=BB739_104 Depth=2
	s_wait_alu 0xfffe
	s_or_b32 exec_lo, exec_lo, s34
	s_delay_alu instid0(SALU_CYCLE_1)
	s_mov_b32 s34, exec_lo
	v_cmpx_lt_u32_e64 v136, v162
	s_cbranch_execnz .LBB739_275
.LBB739_209:                            ;   in Loop: Header=BB739_104 Depth=2
	s_wait_alu 0xfffe
	s_or_b32 exec_lo, exec_lo, s34
	s_delay_alu instid0(SALU_CYCLE_1)
	s_mov_b32 s34, exec_lo
	v_cmpx_lt_u32_e64 v137, v162
	s_cbranch_execnz .LBB739_276
.LBB739_210:                            ;   in Loop: Header=BB739_104 Depth=2
	s_wait_alu 0xfffe
	s_or_b32 exec_lo, exec_lo, s34
	s_delay_alu instid0(SALU_CYCLE_1)
	s_mov_b32 s34, exec_lo
	v_cmpx_lt_u32_e64 v138, v162
	s_cbranch_execnz .LBB739_277
.LBB739_211:                            ;   in Loop: Header=BB739_104 Depth=2
	s_wait_alu 0xfffe
	s_or_b32 exec_lo, exec_lo, s34
	s_delay_alu instid0(SALU_CYCLE_1)
	s_mov_b32 s34, exec_lo
	v_cmpx_lt_u32_e64 v139, v162
	s_cbranch_execnz .LBB739_278
.LBB739_212:                            ;   in Loop: Header=BB739_104 Depth=2
	s_wait_alu 0xfffe
	s_or_b32 exec_lo, exec_lo, s34
	s_delay_alu instid0(SALU_CYCLE_1)
	s_mov_b32 s34, exec_lo
	v_cmpx_lt_u32_e64 v140, v162
	s_cbranch_execnz .LBB739_279
.LBB739_213:                            ;   in Loop: Header=BB739_104 Depth=2
	s_wait_alu 0xfffe
	s_or_b32 exec_lo, exec_lo, s34
	s_delay_alu instid0(SALU_CYCLE_1)
	s_mov_b32 s34, exec_lo
	v_cmpx_lt_u32_e64 v141, v162
	s_cbranch_execnz .LBB739_280
.LBB739_214:                            ;   in Loop: Header=BB739_104 Depth=2
	s_wait_alu 0xfffe
	s_or_b32 exec_lo, exec_lo, s34
	s_delay_alu instid0(SALU_CYCLE_1)
	s_mov_b32 s34, exec_lo
	v_cmpx_lt_u32_e64 v142, v162
	s_cbranch_execnz .LBB739_281
.LBB739_215:                            ;   in Loop: Header=BB739_104 Depth=2
	s_wait_alu 0xfffe
	s_or_b32 exec_lo, exec_lo, s34
	s_and_saveexec_b32 s30, vcc_lo
	s_cbranch_execnz .LBB739_282
.LBB739_216:                            ;   in Loop: Header=BB739_104 Depth=2
	s_wait_alu 0xfffe
	s_or_b32 exec_lo, exec_lo, s30
	s_and_saveexec_b32 s30, s15
	s_cbranch_execnz .LBB739_283
.LBB739_217:                            ;   in Loop: Header=BB739_104 Depth=2
	s_wait_alu 0xfffe
	s_or_b32 exec_lo, exec_lo, s30
	s_and_saveexec_b32 s30, s16
	s_cbranch_execnz .LBB739_284
.LBB739_218:                            ;   in Loop: Header=BB739_104 Depth=2
	s_wait_alu 0xfffe
	s_or_b32 exec_lo, exec_lo, s30
	s_and_saveexec_b32 s30, s17
	s_cbranch_execnz .LBB739_285
.LBB739_219:                            ;   in Loop: Header=BB739_104 Depth=2
	s_wait_alu 0xfffe
	s_or_b32 exec_lo, exec_lo, s30
	s_and_saveexec_b32 s30, s18
	s_cbranch_execnz .LBB739_286
.LBB739_220:                            ;   in Loop: Header=BB739_104 Depth=2
	s_wait_alu 0xfffe
	s_or_b32 exec_lo, exec_lo, s30
	s_and_saveexec_b32 s30, s19
	s_cbranch_execnz .LBB739_287
.LBB739_221:                            ;   in Loop: Header=BB739_104 Depth=2
	s_wait_alu 0xfffe
	s_or_b32 exec_lo, exec_lo, s30
	s_and_saveexec_b32 s30, s20
	s_cbranch_execnz .LBB739_288
.LBB739_222:                            ;   in Loop: Header=BB739_104 Depth=2
	s_wait_alu 0xfffe
	s_or_b32 exec_lo, exec_lo, s30
	s_and_saveexec_b32 s30, s21
	s_cbranch_execnz .LBB739_289
.LBB739_223:                            ;   in Loop: Header=BB739_104 Depth=2
	s_wait_alu 0xfffe
	s_or_b32 exec_lo, exec_lo, s30
	s_and_saveexec_b32 s30, s22
	s_cbranch_execnz .LBB739_290
.LBB739_224:                            ;   in Loop: Header=BB739_104 Depth=2
	s_wait_alu 0xfffe
	s_or_b32 exec_lo, exec_lo, s30
	s_and_saveexec_b32 s30, s23
	s_cbranch_execnz .LBB739_291
.LBB739_225:                            ;   in Loop: Header=BB739_104 Depth=2
	s_wait_alu 0xfffe
	s_or_b32 exec_lo, exec_lo, s30
	s_and_saveexec_b32 s30, s24
	s_cbranch_execnz .LBB739_292
.LBB739_226:                            ;   in Loop: Header=BB739_104 Depth=2
	s_wait_alu 0xfffe
	s_or_b32 exec_lo, exec_lo, s30
	s_and_saveexec_b32 s30, s25
	s_cbranch_execnz .LBB739_293
.LBB739_227:                            ;   in Loop: Header=BB739_104 Depth=2
	s_wait_alu 0xfffe
	s_or_b32 exec_lo, exec_lo, s30
	s_and_saveexec_b32 s30, s26
	s_cbranch_execnz .LBB739_294
.LBB739_228:                            ;   in Loop: Header=BB739_104 Depth=2
	s_wait_alu 0xfffe
	s_or_b32 exec_lo, exec_lo, s30
	s_and_saveexec_b32 s30, s27
	s_cbranch_execnz .LBB739_295
.LBB739_229:                            ;   in Loop: Header=BB739_104 Depth=2
	s_wait_alu 0xfffe
	s_or_b32 exec_lo, exec_lo, s30
	s_and_saveexec_b32 s30, s28
	s_cbranch_execnz .LBB739_296
.LBB739_230:                            ;   in Loop: Header=BB739_104 Depth=2
	s_wait_alu 0xfffe
	s_or_b32 exec_lo, exec_lo, s30
	s_and_saveexec_b32 s30, s29
	s_cbranch_execz .LBB739_232
.LBB739_231:                            ;   in Loop: Header=BB739_104 Depth=2
	ds_load_b64 v[36:37], v108 offset:31744
	s_wait_dscnt 0x0
	v_lshrrev_b64 v[36:37], s48, v[36:37]
	s_delay_alu instid0(VALU_DEP_1)
	v_and_b32_e32 v146, s55, v36
.LBB739_232:                            ;   in Loop: Header=BB739_104 Depth=2
	s_wait_alu 0xfffe
	s_or_b32 exec_lo, exec_lo, s30
	s_wait_loadcnt 0x0
	s_wait_storecnt 0x0
	s_barrier_signal -1
	s_barrier_wait -1
	global_inv scope:SCOPE_SE
	ds_store_b64 v69, v[34:35] offset:1024
	ds_store_b64 v38, v[32:33] offset:1024
	;; [unrolled: 1-line block ×16, first 2 shown]
	s_wait_loadcnt_dscnt 0x0
	s_barrier_signal -1
	s_barrier_wait -1
	global_inv scope:SCOPE_SE
	s_and_saveexec_b32 s30, vcc_lo
	s_cbranch_execnz .LBB739_297
; %bb.233:                              ;   in Loop: Header=BB739_104 Depth=2
	s_wait_alu 0xfffe
	s_or_b32 exec_lo, exec_lo, s30
	s_and_saveexec_b32 s30, s15
	s_cbranch_execnz .LBB739_298
.LBB739_234:                            ;   in Loop: Header=BB739_104 Depth=2
	s_wait_alu 0xfffe
	s_or_b32 exec_lo, exec_lo, s30
	s_and_saveexec_b32 s15, s16
	s_cbranch_execnz .LBB739_299
.LBB739_235:                            ;   in Loop: Header=BB739_104 Depth=2
	s_wait_alu 0xfffe
	s_or_b32 exec_lo, exec_lo, s15
	s_and_saveexec_b32 s15, s17
	s_cbranch_execnz .LBB739_300
.LBB739_236:                            ;   in Loop: Header=BB739_104 Depth=2
	s_wait_alu 0xfffe
	s_or_b32 exec_lo, exec_lo, s15
	s_and_saveexec_b32 s15, s18
	s_cbranch_execnz .LBB739_301
.LBB739_237:                            ;   in Loop: Header=BB739_104 Depth=2
	s_wait_alu 0xfffe
	s_or_b32 exec_lo, exec_lo, s15
	s_and_saveexec_b32 s15, s19
	s_cbranch_execnz .LBB739_302
.LBB739_238:                            ;   in Loop: Header=BB739_104 Depth=2
	s_wait_alu 0xfffe
	s_or_b32 exec_lo, exec_lo, s15
	s_and_saveexec_b32 s15, s20
	s_cbranch_execnz .LBB739_303
.LBB739_239:                            ;   in Loop: Header=BB739_104 Depth=2
	s_wait_alu 0xfffe
	s_or_b32 exec_lo, exec_lo, s15
	s_and_saveexec_b32 s15, s21
	s_cbranch_execnz .LBB739_304
.LBB739_240:                            ;   in Loop: Header=BB739_104 Depth=2
	s_wait_alu 0xfffe
	s_or_b32 exec_lo, exec_lo, s15
	s_and_saveexec_b32 s15, s22
	s_cbranch_execnz .LBB739_305
.LBB739_241:                            ;   in Loop: Header=BB739_104 Depth=2
	s_wait_alu 0xfffe
	s_or_b32 exec_lo, exec_lo, s15
	s_and_saveexec_b32 s15, s23
	s_cbranch_execnz .LBB739_306
.LBB739_242:                            ;   in Loop: Header=BB739_104 Depth=2
	s_wait_alu 0xfffe
	s_or_b32 exec_lo, exec_lo, s15
	s_and_saveexec_b32 s15, s24
	s_cbranch_execnz .LBB739_307
.LBB739_243:                            ;   in Loop: Header=BB739_104 Depth=2
	s_wait_alu 0xfffe
	s_or_b32 exec_lo, exec_lo, s15
	s_and_saveexec_b32 s15, s25
	s_cbranch_execnz .LBB739_308
.LBB739_244:                            ;   in Loop: Header=BB739_104 Depth=2
	s_wait_alu 0xfffe
	s_or_b32 exec_lo, exec_lo, s15
	s_and_saveexec_b32 s15, s26
	s_cbranch_execnz .LBB739_309
.LBB739_245:                            ;   in Loop: Header=BB739_104 Depth=2
	s_wait_alu 0xfffe
	s_or_b32 exec_lo, exec_lo, s15
	s_and_saveexec_b32 s15, s27
	s_cbranch_execnz .LBB739_310
.LBB739_246:                            ;   in Loop: Header=BB739_104 Depth=2
	s_wait_alu 0xfffe
	s_or_b32 exec_lo, exec_lo, s15
	s_and_saveexec_b32 s15, s28
	s_cbranch_execnz .LBB739_311
.LBB739_247:                            ;   in Loop: Header=BB739_104 Depth=2
	s_wait_alu 0xfffe
	s_or_b32 exec_lo, exec_lo, s15
	s_and_saveexec_b32 s15, s29
	s_cbranch_execz .LBB739_249
.LBB739_248:                            ;   in Loop: Header=BB739_104 Depth=2
	v_dual_mov_b32 v39, v2 :: v_dual_lshlrev_b32 v36, 2, v146
	ds_load_b32 v38, v36
	ds_load_b64 v[36:37], v108 offset:31744
	s_wait_dscnt 0x1
	v_add_nc_u32_e32 v38, v38, v93
	s_delay_alu instid0(VALU_DEP_1) | instskip(NEXT) | instid1(VALU_DEP_1)
	v_lshlrev_b64_e32 v[38:39], 3, v[38:39]
	v_add_co_u32 v38, vcc_lo, s44, v38
	s_wait_alu 0xfffd
	s_delay_alu instid0(VALU_DEP_2)
	v_add_co_ci_u32_e64 v39, null, s45, v39, vcc_lo
	s_wait_dscnt 0x0
	global_store_b64 v[38:39], v[36:37], off
.LBB739_249:                            ;   in Loop: Header=BB739_104 Depth=2
	s_wait_alu 0xfffe
	s_or_b32 exec_lo, exec_lo, s15
	s_wait_loadcnt 0x0
	s_wait_storecnt 0x0
	s_barrier_signal -1
	s_barrier_wait -1
	global_inv scope:SCOPE_SE
	s_and_saveexec_b32 s15, s2
	s_cbranch_execz .LBB739_103
; %bb.250:                              ;   in Loop: Header=BB739_104 Depth=2
	ds_load_b32 v36, v76
	s_wait_dscnt 0x0
	v_add_nc_u32_e32 v36, v36, v68
	ds_store_b32 v76, v36
	s_branch .LBB739_103
.LBB739_251:                            ;   in Loop: Header=BB739_104 Depth=2
	ds_load_b64 v[36:37], v108 offset:1024
	s_wait_dscnt 0x0
	v_lshrrev_b64 v[44:45], s48, v[36:37]
	v_xor_b32_e32 v37, 0x7fffffff, v37
	v_not_b32_e32 v36, v36
	s_delay_alu instid0(VALU_DEP_3) | instskip(NEXT) | instid1(VALU_DEP_1)
	v_dual_mov_b32 v45, v2 :: v_dual_and_b32 v44, s55, v44
	v_lshlrev_b32_e32 v44, 2, v44
	ds_load_b32 v44, v44
	s_wait_dscnt 0x0
	v_add_nc_u32_e32 v44, v44, v1
	s_delay_alu instid0(VALU_DEP_1) | instskip(NEXT) | instid1(VALU_DEP_1)
	v_lshlrev_b64_e32 v[44:45], 3, v[44:45]
	v_add_co_u32 v44, s15, s38, v44
	s_wait_alu 0xf1ff
	s_delay_alu instid0(VALU_DEP_2)
	v_add_co_ci_u32_e64 v45, null, s39, v45, s15
	global_store_b64 v[44:45], v[36:37], off
	s_wait_alu 0xfffe
	s_or_b32 exec_lo, exec_lo, s16
	v_cmp_lt_u32_e64 s15, v77, v162
	s_and_saveexec_b32 s17, s15
	s_cbranch_execz .LBB739_184
.LBB739_252:                            ;   in Loop: Header=BB739_104 Depth=2
	ds_load_b64 v[36:37], v108 offset:3072
	s_wait_dscnt 0x0
	v_lshrrev_b64 v[44:45], s48, v[36:37]
	v_xor_b32_e32 v37, 0x7fffffff, v37
	v_not_b32_e32 v36, v36
	s_delay_alu instid0(VALU_DEP_3) | instskip(NEXT) | instid1(VALU_DEP_1)
	v_dual_mov_b32 v45, v2 :: v_dual_and_b32 v44, s55, v44
	v_lshlrev_b32_e32 v44, 2, v44
	ds_load_b32 v44, v44
	s_wait_dscnt 0x0
	v_add_nc_u32_e32 v44, v44, v77
	s_delay_alu instid0(VALU_DEP_1) | instskip(NEXT) | instid1(VALU_DEP_1)
	v_lshlrev_b64_e32 v[44:45], 3, v[44:45]
	v_add_co_u32 v44, s16, s38, v44
	s_wait_alu 0xf1ff
	s_delay_alu instid0(VALU_DEP_2)
	v_add_co_ci_u32_e64 v45, null, s39, v45, s16
	global_store_b64 v[44:45], v[36:37], off
	s_wait_alu 0xfffe
	s_or_b32 exec_lo, exec_lo, s17
	v_cmp_lt_u32_e64 s16, v78, v162
	s_and_saveexec_b32 s18, s16
	s_cbranch_execz .LBB739_185
.LBB739_253:                            ;   in Loop: Header=BB739_104 Depth=2
	ds_load_b64 v[36:37], v108 offset:5120
	s_wait_dscnt 0x0
	v_lshrrev_b64 v[44:45], s48, v[36:37]
	v_xor_b32_e32 v37, 0x7fffffff, v37
	v_not_b32_e32 v36, v36
	s_delay_alu instid0(VALU_DEP_3) | instskip(NEXT) | instid1(VALU_DEP_1)
	v_dual_mov_b32 v45, v2 :: v_dual_and_b32 v44, s55, v44
	v_lshlrev_b32_e32 v44, 2, v44
	ds_load_b32 v44, v44
	s_wait_dscnt 0x0
	v_add_nc_u32_e32 v44, v44, v78
	s_delay_alu instid0(VALU_DEP_1) | instskip(NEXT) | instid1(VALU_DEP_1)
	v_lshlrev_b64_e32 v[44:45], 3, v[44:45]
	v_add_co_u32 v44, s17, s38, v44
	s_wait_alu 0xf1ff
	s_delay_alu instid0(VALU_DEP_2)
	v_add_co_ci_u32_e64 v45, null, s39, v45, s17
	global_store_b64 v[44:45], v[36:37], off
	s_wait_alu 0xfffe
	s_or_b32 exec_lo, exec_lo, s18
	v_cmp_lt_u32_e64 s17, v79, v162
	s_and_saveexec_b32 s19, s17
	s_cbranch_execz .LBB739_186
.LBB739_254:                            ;   in Loop: Header=BB739_104 Depth=2
	ds_load_b64 v[36:37], v108 offset:7168
	s_wait_dscnt 0x0
	v_lshrrev_b64 v[44:45], s48, v[36:37]
	v_xor_b32_e32 v37, 0x7fffffff, v37
	v_not_b32_e32 v36, v36
	s_delay_alu instid0(VALU_DEP_3) | instskip(NEXT) | instid1(VALU_DEP_1)
	v_dual_mov_b32 v45, v2 :: v_dual_and_b32 v44, s55, v44
	v_lshlrev_b32_e32 v44, 2, v44
	ds_load_b32 v44, v44
	s_wait_dscnt 0x0
	v_add_nc_u32_e32 v44, v44, v79
	s_delay_alu instid0(VALU_DEP_1) | instskip(NEXT) | instid1(VALU_DEP_1)
	v_lshlrev_b64_e32 v[44:45], 3, v[44:45]
	v_add_co_u32 v44, s18, s38, v44
	s_wait_alu 0xf1ff
	s_delay_alu instid0(VALU_DEP_2)
	v_add_co_ci_u32_e64 v45, null, s39, v45, s18
	global_store_b64 v[44:45], v[36:37], off
	s_wait_alu 0xfffe
	s_or_b32 exec_lo, exec_lo, s19
	v_cmp_lt_u32_e64 s18, v82, v162
	s_and_saveexec_b32 s20, s18
	s_cbranch_execz .LBB739_187
.LBB739_255:                            ;   in Loop: Header=BB739_104 Depth=2
	ds_load_b64 v[36:37], v108 offset:9216
	s_wait_dscnt 0x0
	v_lshrrev_b64 v[44:45], s48, v[36:37]
	v_xor_b32_e32 v37, 0x7fffffff, v37
	v_not_b32_e32 v36, v36
	s_delay_alu instid0(VALU_DEP_3) | instskip(NEXT) | instid1(VALU_DEP_1)
	v_dual_mov_b32 v45, v2 :: v_dual_and_b32 v44, s55, v44
	v_lshlrev_b32_e32 v44, 2, v44
	ds_load_b32 v44, v44
	s_wait_dscnt 0x0
	v_add_nc_u32_e32 v44, v44, v82
	s_delay_alu instid0(VALU_DEP_1) | instskip(NEXT) | instid1(VALU_DEP_1)
	v_lshlrev_b64_e32 v[44:45], 3, v[44:45]
	v_add_co_u32 v44, s19, s38, v44
	s_wait_alu 0xf1ff
	s_delay_alu instid0(VALU_DEP_2)
	v_add_co_ci_u32_e64 v45, null, s39, v45, s19
	global_store_b64 v[44:45], v[36:37], off
	s_wait_alu 0xfffe
	s_or_b32 exec_lo, exec_lo, s20
	v_cmp_lt_u32_e64 s19, v83, v162
	s_and_saveexec_b32 s21, s19
	s_cbranch_execz .LBB739_188
.LBB739_256:                            ;   in Loop: Header=BB739_104 Depth=2
	ds_load_b64 v[36:37], v108 offset:11264
	s_wait_dscnt 0x0
	v_lshrrev_b64 v[44:45], s48, v[36:37]
	v_xor_b32_e32 v37, 0x7fffffff, v37
	v_not_b32_e32 v36, v36
	s_delay_alu instid0(VALU_DEP_3) | instskip(NEXT) | instid1(VALU_DEP_1)
	v_dual_mov_b32 v45, v2 :: v_dual_and_b32 v44, s55, v44
	v_lshlrev_b32_e32 v44, 2, v44
	ds_load_b32 v44, v44
	s_wait_dscnt 0x0
	v_add_nc_u32_e32 v44, v44, v83
	s_delay_alu instid0(VALU_DEP_1) | instskip(NEXT) | instid1(VALU_DEP_1)
	v_lshlrev_b64_e32 v[44:45], 3, v[44:45]
	v_add_co_u32 v44, s20, s38, v44
	s_wait_alu 0xf1ff
	s_delay_alu instid0(VALU_DEP_2)
	v_add_co_ci_u32_e64 v45, null, s39, v45, s20
	global_store_b64 v[44:45], v[36:37], off
	s_wait_alu 0xfffe
	s_or_b32 exec_lo, exec_lo, s21
	v_cmp_lt_u32_e64 s20, v84, v162
	s_and_saveexec_b32 s22, s20
	s_cbranch_execz .LBB739_189
.LBB739_257:                            ;   in Loop: Header=BB739_104 Depth=2
	ds_load_b64 v[36:37], v108 offset:13312
	s_wait_dscnt 0x0
	v_lshrrev_b64 v[44:45], s48, v[36:37]
	v_xor_b32_e32 v37, 0x7fffffff, v37
	v_not_b32_e32 v36, v36
	s_delay_alu instid0(VALU_DEP_3) | instskip(NEXT) | instid1(VALU_DEP_1)
	v_dual_mov_b32 v45, v2 :: v_dual_and_b32 v44, s55, v44
	v_lshlrev_b32_e32 v44, 2, v44
	ds_load_b32 v44, v44
	s_wait_dscnt 0x0
	v_add_nc_u32_e32 v44, v44, v84
	s_delay_alu instid0(VALU_DEP_1) | instskip(NEXT) | instid1(VALU_DEP_1)
	v_lshlrev_b64_e32 v[44:45], 3, v[44:45]
	v_add_co_u32 v44, s21, s38, v44
	s_wait_alu 0xf1ff
	s_delay_alu instid0(VALU_DEP_2)
	v_add_co_ci_u32_e64 v45, null, s39, v45, s21
	global_store_b64 v[44:45], v[36:37], off
	s_wait_alu 0xfffe
	s_or_b32 exec_lo, exec_lo, s22
	v_cmp_lt_u32_e64 s21, v85, v162
	s_and_saveexec_b32 s23, s21
	s_cbranch_execz .LBB739_190
.LBB739_258:                            ;   in Loop: Header=BB739_104 Depth=2
	ds_load_b64 v[36:37], v108 offset:15360
	s_wait_dscnt 0x0
	v_lshrrev_b64 v[44:45], s48, v[36:37]
	v_xor_b32_e32 v37, 0x7fffffff, v37
	v_not_b32_e32 v36, v36
	s_delay_alu instid0(VALU_DEP_3) | instskip(NEXT) | instid1(VALU_DEP_1)
	v_dual_mov_b32 v45, v2 :: v_dual_and_b32 v44, s55, v44
	v_lshlrev_b32_e32 v44, 2, v44
	ds_load_b32 v44, v44
	s_wait_dscnt 0x0
	v_add_nc_u32_e32 v44, v44, v85
	s_delay_alu instid0(VALU_DEP_1) | instskip(NEXT) | instid1(VALU_DEP_1)
	v_lshlrev_b64_e32 v[44:45], 3, v[44:45]
	v_add_co_u32 v44, s22, s38, v44
	s_wait_alu 0xf1ff
	s_delay_alu instid0(VALU_DEP_2)
	v_add_co_ci_u32_e64 v45, null, s39, v45, s22
	global_store_b64 v[44:45], v[36:37], off
	s_wait_alu 0xfffe
	s_or_b32 exec_lo, exec_lo, s23
	v_cmp_lt_u32_e64 s22, v86, v162
	s_and_saveexec_b32 s24, s22
	s_cbranch_execz .LBB739_191
.LBB739_259:                            ;   in Loop: Header=BB739_104 Depth=2
	ds_load_b64 v[36:37], v108 offset:17408
	s_wait_dscnt 0x0
	v_lshrrev_b64 v[44:45], s48, v[36:37]
	v_xor_b32_e32 v37, 0x7fffffff, v37
	v_not_b32_e32 v36, v36
	s_delay_alu instid0(VALU_DEP_3) | instskip(NEXT) | instid1(VALU_DEP_1)
	v_dual_mov_b32 v45, v2 :: v_dual_and_b32 v44, s55, v44
	v_lshlrev_b32_e32 v44, 2, v44
	ds_load_b32 v44, v44
	s_wait_dscnt 0x0
	v_add_nc_u32_e32 v44, v44, v86
	s_delay_alu instid0(VALU_DEP_1) | instskip(NEXT) | instid1(VALU_DEP_1)
	v_lshlrev_b64_e32 v[44:45], 3, v[44:45]
	v_add_co_u32 v44, s23, s38, v44
	s_wait_alu 0xf1ff
	s_delay_alu instid0(VALU_DEP_2)
	v_add_co_ci_u32_e64 v45, null, s39, v45, s23
	global_store_b64 v[44:45], v[36:37], off
	s_wait_alu 0xfffe
	s_or_b32 exec_lo, exec_lo, s24
	v_cmp_lt_u32_e64 s23, v87, v162
	s_and_saveexec_b32 s25, s23
	s_cbranch_execz .LBB739_192
.LBB739_260:                            ;   in Loop: Header=BB739_104 Depth=2
	ds_load_b64 v[36:37], v108 offset:19456
	s_wait_dscnt 0x0
	v_lshrrev_b64 v[44:45], s48, v[36:37]
	v_xor_b32_e32 v37, 0x7fffffff, v37
	v_not_b32_e32 v36, v36
	s_delay_alu instid0(VALU_DEP_3) | instskip(NEXT) | instid1(VALU_DEP_1)
	v_dual_mov_b32 v45, v2 :: v_dual_and_b32 v44, s55, v44
	v_lshlrev_b32_e32 v44, 2, v44
	ds_load_b32 v44, v44
	s_wait_dscnt 0x0
	v_add_nc_u32_e32 v44, v44, v87
	s_delay_alu instid0(VALU_DEP_1) | instskip(NEXT) | instid1(VALU_DEP_1)
	v_lshlrev_b64_e32 v[44:45], 3, v[44:45]
	v_add_co_u32 v44, s24, s38, v44
	s_wait_alu 0xf1ff
	s_delay_alu instid0(VALU_DEP_2)
	v_add_co_ci_u32_e64 v45, null, s39, v45, s24
	global_store_b64 v[44:45], v[36:37], off
	s_wait_alu 0xfffe
	s_or_b32 exec_lo, exec_lo, s25
	v_cmp_lt_u32_e64 s24, v88, v162
	s_and_saveexec_b32 s26, s24
	s_cbranch_execz .LBB739_193
.LBB739_261:                            ;   in Loop: Header=BB739_104 Depth=2
	ds_load_b64 v[36:37], v108 offset:21504
	s_wait_dscnt 0x0
	v_lshrrev_b64 v[44:45], s48, v[36:37]
	v_xor_b32_e32 v37, 0x7fffffff, v37
	v_not_b32_e32 v36, v36
	s_delay_alu instid0(VALU_DEP_3) | instskip(NEXT) | instid1(VALU_DEP_1)
	v_dual_mov_b32 v45, v2 :: v_dual_and_b32 v44, s55, v44
	v_lshlrev_b32_e32 v44, 2, v44
	ds_load_b32 v44, v44
	s_wait_dscnt 0x0
	v_add_nc_u32_e32 v44, v44, v88
	s_delay_alu instid0(VALU_DEP_1) | instskip(NEXT) | instid1(VALU_DEP_1)
	v_lshlrev_b64_e32 v[44:45], 3, v[44:45]
	v_add_co_u32 v44, s25, s38, v44
	s_wait_alu 0xf1ff
	s_delay_alu instid0(VALU_DEP_2)
	v_add_co_ci_u32_e64 v45, null, s39, v45, s25
	global_store_b64 v[44:45], v[36:37], off
	s_wait_alu 0xfffe
	s_or_b32 exec_lo, exec_lo, s26
	v_cmp_lt_u32_e64 s25, v89, v162
	s_and_saveexec_b32 s27, s25
	s_cbranch_execz .LBB739_194
.LBB739_262:                            ;   in Loop: Header=BB739_104 Depth=2
	ds_load_b64 v[36:37], v108 offset:23552
	s_wait_dscnt 0x0
	v_lshrrev_b64 v[44:45], s48, v[36:37]
	v_xor_b32_e32 v37, 0x7fffffff, v37
	v_not_b32_e32 v36, v36
	s_delay_alu instid0(VALU_DEP_3) | instskip(NEXT) | instid1(VALU_DEP_1)
	v_dual_mov_b32 v45, v2 :: v_dual_and_b32 v44, s55, v44
	v_lshlrev_b32_e32 v44, 2, v44
	ds_load_b32 v44, v44
	s_wait_dscnt 0x0
	v_add_nc_u32_e32 v44, v44, v89
	s_delay_alu instid0(VALU_DEP_1) | instskip(NEXT) | instid1(VALU_DEP_1)
	v_lshlrev_b64_e32 v[44:45], 3, v[44:45]
	v_add_co_u32 v44, s26, s38, v44
	s_wait_alu 0xf1ff
	s_delay_alu instid0(VALU_DEP_2)
	v_add_co_ci_u32_e64 v45, null, s39, v45, s26
	global_store_b64 v[44:45], v[36:37], off
	s_wait_alu 0xfffe
	s_or_b32 exec_lo, exec_lo, s27
	v_cmp_lt_u32_e64 s26, v90, v162
	s_and_saveexec_b32 s28, s26
	s_cbranch_execz .LBB739_195
.LBB739_263:                            ;   in Loop: Header=BB739_104 Depth=2
	ds_load_b64 v[36:37], v108 offset:25600
	s_wait_dscnt 0x0
	v_lshrrev_b64 v[44:45], s48, v[36:37]
	v_xor_b32_e32 v37, 0x7fffffff, v37
	v_not_b32_e32 v36, v36
	s_delay_alu instid0(VALU_DEP_3) | instskip(NEXT) | instid1(VALU_DEP_1)
	v_dual_mov_b32 v45, v2 :: v_dual_and_b32 v44, s55, v44
	v_lshlrev_b32_e32 v44, 2, v44
	ds_load_b32 v44, v44
	s_wait_dscnt 0x0
	v_add_nc_u32_e32 v44, v44, v90
	s_delay_alu instid0(VALU_DEP_1) | instskip(NEXT) | instid1(VALU_DEP_1)
	v_lshlrev_b64_e32 v[44:45], 3, v[44:45]
	v_add_co_u32 v44, s27, s38, v44
	s_wait_alu 0xf1ff
	s_delay_alu instid0(VALU_DEP_2)
	v_add_co_ci_u32_e64 v45, null, s39, v45, s27
	global_store_b64 v[44:45], v[36:37], off
	s_wait_alu 0xfffe
	s_or_b32 exec_lo, exec_lo, s28
	v_cmp_lt_u32_e64 s27, v91, v162
	s_and_saveexec_b32 s29, s27
	s_cbranch_execz .LBB739_196
.LBB739_264:                            ;   in Loop: Header=BB739_104 Depth=2
	ds_load_b64 v[36:37], v108 offset:27648
	s_wait_dscnt 0x0
	v_lshrrev_b64 v[44:45], s48, v[36:37]
	v_xor_b32_e32 v37, 0x7fffffff, v37
	v_not_b32_e32 v36, v36
	s_delay_alu instid0(VALU_DEP_3) | instskip(NEXT) | instid1(VALU_DEP_1)
	v_dual_mov_b32 v45, v2 :: v_dual_and_b32 v44, s55, v44
	v_lshlrev_b32_e32 v44, 2, v44
	ds_load_b32 v44, v44
	s_wait_dscnt 0x0
	v_add_nc_u32_e32 v44, v44, v91
	s_delay_alu instid0(VALU_DEP_1) | instskip(NEXT) | instid1(VALU_DEP_1)
	v_lshlrev_b64_e32 v[44:45], 3, v[44:45]
	v_add_co_u32 v44, s28, s38, v44
	s_wait_alu 0xf1ff
	s_delay_alu instid0(VALU_DEP_2)
	v_add_co_ci_u32_e64 v45, null, s39, v45, s28
	global_store_b64 v[44:45], v[36:37], off
	s_wait_alu 0xfffe
	s_or_b32 exec_lo, exec_lo, s29
	v_cmp_lt_u32_e64 s28, v92, v162
	s_and_saveexec_b32 s30, s28
	s_cbranch_execz .LBB739_197
.LBB739_265:                            ;   in Loop: Header=BB739_104 Depth=2
	ds_load_b64 v[36:37], v108 offset:29696
	s_wait_dscnt 0x0
	v_lshrrev_b64 v[44:45], s48, v[36:37]
	v_xor_b32_e32 v37, 0x7fffffff, v37
	v_not_b32_e32 v36, v36
	s_delay_alu instid0(VALU_DEP_3) | instskip(NEXT) | instid1(VALU_DEP_1)
	v_dual_mov_b32 v45, v2 :: v_dual_and_b32 v44, s55, v44
	v_lshlrev_b32_e32 v44, 2, v44
	ds_load_b32 v44, v44
	s_wait_dscnt 0x0
	v_add_nc_u32_e32 v44, v44, v92
	s_delay_alu instid0(VALU_DEP_1) | instskip(NEXT) | instid1(VALU_DEP_1)
	v_lshlrev_b64_e32 v[44:45], 3, v[44:45]
	v_add_co_u32 v44, s29, s38, v44
	s_wait_alu 0xf1ff
	s_delay_alu instid0(VALU_DEP_2)
	v_add_co_ci_u32_e64 v45, null, s39, v45, s29
	global_store_b64 v[44:45], v[36:37], off
	s_wait_alu 0xfffe
	s_or_b32 exec_lo, exec_lo, s30
	v_cmp_lt_u32_e64 s29, v93, v162
	s_and_saveexec_b32 s58, s29
	s_cbranch_execnz .LBB739_198
	s_branch .LBB739_199
.LBB739_266:                            ;   in Loop: Header=BB739_104 Depth=2
	global_load_b64 v[34:35], v[36:37], off
	s_wait_alu 0xfffe
	s_or_b32 exec_lo, exec_lo, s30
	s_delay_alu instid0(SALU_CYCLE_1)
	s_mov_b32 s34, exec_lo
	v_cmpx_lt_u32_e64 v128, v162
	s_cbranch_execz .LBB739_201
.LBB739_267:                            ;   in Loop: Header=BB739_104 Depth=2
	global_load_b64 v[32:33], v[36:37], off offset:256
	s_wait_alu 0xfffe
	s_or_b32 exec_lo, exec_lo, s34
	s_delay_alu instid0(SALU_CYCLE_1)
	s_mov_b32 s34, exec_lo
	v_cmpx_lt_u32_e64 v129, v162
	s_cbranch_execz .LBB739_202
.LBB739_268:                            ;   in Loop: Header=BB739_104 Depth=2
	global_load_b64 v[30:31], v[36:37], off offset:512
	s_wait_alu 0xfffe
	s_or_b32 exec_lo, exec_lo, s34
	s_delay_alu instid0(SALU_CYCLE_1)
	s_mov_b32 s34, exec_lo
	v_cmpx_lt_u32_e64 v130, v162
	s_cbranch_execz .LBB739_203
.LBB739_269:                            ;   in Loop: Header=BB739_104 Depth=2
	global_load_b64 v[28:29], v[36:37], off offset:768
	s_wait_alu 0xfffe
	s_or_b32 exec_lo, exec_lo, s34
	s_delay_alu instid0(SALU_CYCLE_1)
	s_mov_b32 s34, exec_lo
	v_cmpx_lt_u32_e64 v131, v162
	s_cbranch_execz .LBB739_204
.LBB739_270:                            ;   in Loop: Header=BB739_104 Depth=2
	global_load_b64 v[26:27], v[36:37], off offset:1024
	s_wait_alu 0xfffe
	s_or_b32 exec_lo, exec_lo, s34
	s_delay_alu instid0(SALU_CYCLE_1)
	s_mov_b32 s34, exec_lo
	v_cmpx_lt_u32_e64 v132, v162
	s_cbranch_execz .LBB739_205
.LBB739_271:                            ;   in Loop: Header=BB739_104 Depth=2
	global_load_b64 v[24:25], v[36:37], off offset:1280
	s_wait_alu 0xfffe
	s_or_b32 exec_lo, exec_lo, s34
	s_delay_alu instid0(SALU_CYCLE_1)
	s_mov_b32 s34, exec_lo
	v_cmpx_lt_u32_e64 v133, v162
	s_cbranch_execz .LBB739_206
.LBB739_272:                            ;   in Loop: Header=BB739_104 Depth=2
	global_load_b64 v[22:23], v[36:37], off offset:1536
	s_wait_alu 0xfffe
	s_or_b32 exec_lo, exec_lo, s34
	s_delay_alu instid0(SALU_CYCLE_1)
	s_mov_b32 s34, exec_lo
	v_cmpx_lt_u32_e64 v134, v162
	s_cbranch_execz .LBB739_207
.LBB739_273:                            ;   in Loop: Header=BB739_104 Depth=2
	global_load_b64 v[20:21], v[36:37], off offset:1792
	s_wait_alu 0xfffe
	s_or_b32 exec_lo, exec_lo, s34
	s_delay_alu instid0(SALU_CYCLE_1)
	s_mov_b32 s34, exec_lo
	v_cmpx_lt_u32_e64 v135, v162
	s_cbranch_execz .LBB739_208
.LBB739_274:                            ;   in Loop: Header=BB739_104 Depth=2
	global_load_b64 v[18:19], v[36:37], off offset:2048
	s_wait_alu 0xfffe
	s_or_b32 exec_lo, exec_lo, s34
	s_delay_alu instid0(SALU_CYCLE_1)
	s_mov_b32 s34, exec_lo
	v_cmpx_lt_u32_e64 v136, v162
	s_cbranch_execz .LBB739_209
.LBB739_275:                            ;   in Loop: Header=BB739_104 Depth=2
	global_load_b64 v[16:17], v[36:37], off offset:2304
	s_wait_alu 0xfffe
	s_or_b32 exec_lo, exec_lo, s34
	s_delay_alu instid0(SALU_CYCLE_1)
	s_mov_b32 s34, exec_lo
	v_cmpx_lt_u32_e64 v137, v162
	s_cbranch_execz .LBB739_210
.LBB739_276:                            ;   in Loop: Header=BB739_104 Depth=2
	global_load_b64 v[14:15], v[36:37], off offset:2560
	s_wait_alu 0xfffe
	s_or_b32 exec_lo, exec_lo, s34
	s_delay_alu instid0(SALU_CYCLE_1)
	s_mov_b32 s34, exec_lo
	v_cmpx_lt_u32_e64 v138, v162
	s_cbranch_execz .LBB739_211
.LBB739_277:                            ;   in Loop: Header=BB739_104 Depth=2
	global_load_b64 v[12:13], v[36:37], off offset:2816
	s_wait_alu 0xfffe
	s_or_b32 exec_lo, exec_lo, s34
	s_delay_alu instid0(SALU_CYCLE_1)
	s_mov_b32 s34, exec_lo
	v_cmpx_lt_u32_e64 v139, v162
	s_cbranch_execz .LBB739_212
.LBB739_278:                            ;   in Loop: Header=BB739_104 Depth=2
	global_load_b64 v[10:11], v[36:37], off offset:3072
	s_wait_alu 0xfffe
	s_or_b32 exec_lo, exec_lo, s34
	s_delay_alu instid0(SALU_CYCLE_1)
	s_mov_b32 s34, exec_lo
	v_cmpx_lt_u32_e64 v140, v162
	s_cbranch_execz .LBB739_213
.LBB739_279:                            ;   in Loop: Header=BB739_104 Depth=2
	global_load_b64 v[8:9], v[36:37], off offset:3328
	s_wait_alu 0xfffe
	s_or_b32 exec_lo, exec_lo, s34
	s_delay_alu instid0(SALU_CYCLE_1)
	s_mov_b32 s34, exec_lo
	v_cmpx_lt_u32_e64 v141, v162
	s_cbranch_execz .LBB739_214
.LBB739_280:                            ;   in Loop: Header=BB739_104 Depth=2
	global_load_b64 v[6:7], v[36:37], off offset:3584
	s_wait_alu 0xfffe
	s_or_b32 exec_lo, exec_lo, s34
	s_delay_alu instid0(SALU_CYCLE_1)
	s_mov_b32 s34, exec_lo
	v_cmpx_lt_u32_e64 v142, v162
	s_cbranch_execz .LBB739_215
.LBB739_281:                            ;   in Loop: Header=BB739_104 Depth=2
	global_load_b64 v[4:5], v[36:37], off offset:3840
	s_wait_alu 0xfffe
	s_or_b32 exec_lo, exec_lo, s34
	s_and_saveexec_b32 s30, vcc_lo
	s_cbranch_execz .LBB739_216
.LBB739_282:                            ;   in Loop: Header=BB739_104 Depth=2
	ds_load_b64 v[36:37], v108 offset:1024
	s_wait_dscnt 0x0
	v_lshrrev_b64 v[36:37], s48, v[36:37]
	s_delay_alu instid0(VALU_DEP_1)
	v_and_b32_e32 v161, s55, v36
	s_wait_alu 0xfffe
	s_or_b32 exec_lo, exec_lo, s30
	s_and_saveexec_b32 s30, s15
	s_cbranch_execz .LBB739_217
.LBB739_283:                            ;   in Loop: Header=BB739_104 Depth=2
	ds_load_b64 v[36:37], v108 offset:3072
	s_wait_dscnt 0x0
	v_lshrrev_b64 v[36:37], s48, v[36:37]
	s_delay_alu instid0(VALU_DEP_1)
	v_and_b32_e32 v160, s55, v36
	s_wait_alu 0xfffe
	s_or_b32 exec_lo, exec_lo, s30
	s_and_saveexec_b32 s30, s16
	s_cbranch_execz .LBB739_218
.LBB739_284:                            ;   in Loop: Header=BB739_104 Depth=2
	ds_load_b64 v[36:37], v108 offset:5120
	s_wait_dscnt 0x0
	v_lshrrev_b64 v[36:37], s48, v[36:37]
	s_delay_alu instid0(VALU_DEP_1)
	v_and_b32_e32 v159, s55, v36
	s_wait_alu 0xfffe
	s_or_b32 exec_lo, exec_lo, s30
	s_and_saveexec_b32 s30, s17
	s_cbranch_execz .LBB739_219
.LBB739_285:                            ;   in Loop: Header=BB739_104 Depth=2
	ds_load_b64 v[36:37], v108 offset:7168
	s_wait_dscnt 0x0
	v_lshrrev_b64 v[36:37], s48, v[36:37]
	s_delay_alu instid0(VALU_DEP_1)
	v_and_b32_e32 v158, s55, v36
	s_wait_alu 0xfffe
	s_or_b32 exec_lo, exec_lo, s30
	s_and_saveexec_b32 s30, s18
	s_cbranch_execz .LBB739_220
.LBB739_286:                            ;   in Loop: Header=BB739_104 Depth=2
	ds_load_b64 v[36:37], v108 offset:9216
	s_wait_dscnt 0x0
	v_lshrrev_b64 v[36:37], s48, v[36:37]
	s_delay_alu instid0(VALU_DEP_1)
	v_and_b32_e32 v157, s55, v36
	s_wait_alu 0xfffe
	s_or_b32 exec_lo, exec_lo, s30
	s_and_saveexec_b32 s30, s19
	s_cbranch_execz .LBB739_221
.LBB739_287:                            ;   in Loop: Header=BB739_104 Depth=2
	ds_load_b64 v[36:37], v108 offset:11264
	s_wait_dscnt 0x0
	v_lshrrev_b64 v[36:37], s48, v[36:37]
	s_delay_alu instid0(VALU_DEP_1)
	v_and_b32_e32 v156, s55, v36
	s_wait_alu 0xfffe
	s_or_b32 exec_lo, exec_lo, s30
	s_and_saveexec_b32 s30, s20
	s_cbranch_execz .LBB739_222
.LBB739_288:                            ;   in Loop: Header=BB739_104 Depth=2
	ds_load_b64 v[36:37], v108 offset:13312
	s_wait_dscnt 0x0
	v_lshrrev_b64 v[36:37], s48, v[36:37]
	s_delay_alu instid0(VALU_DEP_1)
	v_and_b32_e32 v155, s55, v36
	s_wait_alu 0xfffe
	s_or_b32 exec_lo, exec_lo, s30
	s_and_saveexec_b32 s30, s21
	s_cbranch_execz .LBB739_223
.LBB739_289:                            ;   in Loop: Header=BB739_104 Depth=2
	ds_load_b64 v[36:37], v108 offset:15360
	s_wait_dscnt 0x0
	v_lshrrev_b64 v[36:37], s48, v[36:37]
	s_delay_alu instid0(VALU_DEP_1)
	v_and_b32_e32 v154, s55, v36
	s_wait_alu 0xfffe
	s_or_b32 exec_lo, exec_lo, s30
	s_and_saveexec_b32 s30, s22
	s_cbranch_execz .LBB739_224
.LBB739_290:                            ;   in Loop: Header=BB739_104 Depth=2
	ds_load_b64 v[36:37], v108 offset:17408
	s_wait_dscnt 0x0
	v_lshrrev_b64 v[36:37], s48, v[36:37]
	s_delay_alu instid0(VALU_DEP_1)
	v_and_b32_e32 v153, s55, v36
	s_wait_alu 0xfffe
	s_or_b32 exec_lo, exec_lo, s30
	s_and_saveexec_b32 s30, s23
	s_cbranch_execz .LBB739_225
.LBB739_291:                            ;   in Loop: Header=BB739_104 Depth=2
	ds_load_b64 v[36:37], v108 offset:19456
	s_wait_dscnt 0x0
	v_lshrrev_b64 v[36:37], s48, v[36:37]
	s_delay_alu instid0(VALU_DEP_1)
	v_and_b32_e32 v152, s55, v36
	s_wait_alu 0xfffe
	s_or_b32 exec_lo, exec_lo, s30
	s_and_saveexec_b32 s30, s24
	s_cbranch_execz .LBB739_226
.LBB739_292:                            ;   in Loop: Header=BB739_104 Depth=2
	ds_load_b64 v[36:37], v108 offset:21504
	s_wait_dscnt 0x0
	v_lshrrev_b64 v[36:37], s48, v[36:37]
	s_delay_alu instid0(VALU_DEP_1)
	v_and_b32_e32 v151, s55, v36
	s_wait_alu 0xfffe
	s_or_b32 exec_lo, exec_lo, s30
	s_and_saveexec_b32 s30, s25
	s_cbranch_execz .LBB739_227
.LBB739_293:                            ;   in Loop: Header=BB739_104 Depth=2
	ds_load_b64 v[36:37], v108 offset:23552
	s_wait_dscnt 0x0
	v_lshrrev_b64 v[36:37], s48, v[36:37]
	s_delay_alu instid0(VALU_DEP_1)
	v_and_b32_e32 v150, s55, v36
	s_wait_alu 0xfffe
	s_or_b32 exec_lo, exec_lo, s30
	s_and_saveexec_b32 s30, s26
	s_cbranch_execz .LBB739_228
.LBB739_294:                            ;   in Loop: Header=BB739_104 Depth=2
	ds_load_b64 v[36:37], v108 offset:25600
	s_wait_dscnt 0x0
	v_lshrrev_b64 v[36:37], s48, v[36:37]
	s_delay_alu instid0(VALU_DEP_1)
	v_and_b32_e32 v149, s55, v36
	s_wait_alu 0xfffe
	s_or_b32 exec_lo, exec_lo, s30
	s_and_saveexec_b32 s30, s27
	s_cbranch_execz .LBB739_229
.LBB739_295:                            ;   in Loop: Header=BB739_104 Depth=2
	ds_load_b64 v[36:37], v108 offset:27648
	s_wait_dscnt 0x0
	v_lshrrev_b64 v[36:37], s48, v[36:37]
	s_delay_alu instid0(VALU_DEP_1)
	v_and_b32_e32 v148, s55, v36
	s_wait_alu 0xfffe
	s_or_b32 exec_lo, exec_lo, s30
	s_and_saveexec_b32 s30, s28
	s_cbranch_execz .LBB739_230
.LBB739_296:                            ;   in Loop: Header=BB739_104 Depth=2
	ds_load_b64 v[36:37], v108 offset:29696
	s_wait_dscnt 0x0
	v_lshrrev_b64 v[36:37], s48, v[36:37]
	s_delay_alu instid0(VALU_DEP_1)
	v_and_b32_e32 v147, s55, v36
	s_wait_alu 0xfffe
	s_or_b32 exec_lo, exec_lo, s30
	s_and_saveexec_b32 s30, s29
	s_cbranch_execnz .LBB739_231
	s_branch .LBB739_232
.LBB739_297:                            ;   in Loop: Header=BB739_104 Depth=2
	v_dual_mov_b32 v39, v2 :: v_dual_lshlrev_b32 v36, 2, v161
	ds_load_b32 v38, v36
	ds_load_b64 v[36:37], v108 offset:1024
	s_wait_dscnt 0x1
	v_add_nc_u32_e32 v38, v38, v1
	s_delay_alu instid0(VALU_DEP_1) | instskip(NEXT) | instid1(VALU_DEP_1)
	v_lshlrev_b64_e32 v[38:39], 3, v[38:39]
	v_add_co_u32 v38, vcc_lo, s44, v38
	s_wait_alu 0xfffd
	s_delay_alu instid0(VALU_DEP_2)
	v_add_co_ci_u32_e64 v39, null, s45, v39, vcc_lo
	s_wait_dscnt 0x0
	global_store_b64 v[38:39], v[36:37], off
	s_wait_alu 0xfffe
	s_or_b32 exec_lo, exec_lo, s30
	s_and_saveexec_b32 s30, s15
	s_cbranch_execz .LBB739_234
.LBB739_298:                            ;   in Loop: Header=BB739_104 Depth=2
	v_dual_mov_b32 v39, v2 :: v_dual_lshlrev_b32 v36, 2, v160
	ds_load_b32 v38, v36
	ds_load_b64 v[36:37], v108 offset:3072
	s_wait_dscnt 0x1
	v_add_nc_u32_e32 v38, v38, v77
	s_delay_alu instid0(VALU_DEP_1) | instskip(NEXT) | instid1(VALU_DEP_1)
	v_lshlrev_b64_e32 v[38:39], 3, v[38:39]
	v_add_co_u32 v38, vcc_lo, s44, v38
	s_wait_alu 0xfffd
	s_delay_alu instid0(VALU_DEP_2)
	v_add_co_ci_u32_e64 v39, null, s45, v39, vcc_lo
	s_wait_dscnt 0x0
	global_store_b64 v[38:39], v[36:37], off
	s_wait_alu 0xfffe
	s_or_b32 exec_lo, exec_lo, s30
	s_and_saveexec_b32 s15, s16
	s_cbranch_execz .LBB739_235
.LBB739_299:                            ;   in Loop: Header=BB739_104 Depth=2
	v_dual_mov_b32 v39, v2 :: v_dual_lshlrev_b32 v36, 2, v159
	ds_load_b32 v38, v36
	ds_load_b64 v[36:37], v108 offset:5120
	s_wait_dscnt 0x1
	v_add_nc_u32_e32 v38, v38, v78
	s_delay_alu instid0(VALU_DEP_1) | instskip(NEXT) | instid1(VALU_DEP_1)
	v_lshlrev_b64_e32 v[38:39], 3, v[38:39]
	v_add_co_u32 v38, vcc_lo, s44, v38
	s_wait_alu 0xfffd
	s_delay_alu instid0(VALU_DEP_2)
	v_add_co_ci_u32_e64 v39, null, s45, v39, vcc_lo
	s_wait_dscnt 0x0
	global_store_b64 v[38:39], v[36:37], off
	s_wait_alu 0xfffe
	s_or_b32 exec_lo, exec_lo, s15
	s_and_saveexec_b32 s15, s17
	s_cbranch_execz .LBB739_236
.LBB739_300:                            ;   in Loop: Header=BB739_104 Depth=2
	v_dual_mov_b32 v39, v2 :: v_dual_lshlrev_b32 v36, 2, v158
	ds_load_b32 v38, v36
	ds_load_b64 v[36:37], v108 offset:7168
	s_wait_dscnt 0x1
	v_add_nc_u32_e32 v38, v38, v79
	s_delay_alu instid0(VALU_DEP_1) | instskip(NEXT) | instid1(VALU_DEP_1)
	v_lshlrev_b64_e32 v[38:39], 3, v[38:39]
	v_add_co_u32 v38, vcc_lo, s44, v38
	s_wait_alu 0xfffd
	s_delay_alu instid0(VALU_DEP_2)
	v_add_co_ci_u32_e64 v39, null, s45, v39, vcc_lo
	s_wait_dscnt 0x0
	global_store_b64 v[38:39], v[36:37], off
	s_wait_alu 0xfffe
	s_or_b32 exec_lo, exec_lo, s15
	s_and_saveexec_b32 s15, s18
	s_cbranch_execz .LBB739_237
.LBB739_301:                            ;   in Loop: Header=BB739_104 Depth=2
	v_dual_mov_b32 v39, v2 :: v_dual_lshlrev_b32 v36, 2, v157
	ds_load_b32 v38, v36
	ds_load_b64 v[36:37], v108 offset:9216
	s_wait_dscnt 0x1
	v_add_nc_u32_e32 v38, v38, v82
	s_delay_alu instid0(VALU_DEP_1) | instskip(NEXT) | instid1(VALU_DEP_1)
	v_lshlrev_b64_e32 v[38:39], 3, v[38:39]
	v_add_co_u32 v38, vcc_lo, s44, v38
	s_wait_alu 0xfffd
	s_delay_alu instid0(VALU_DEP_2)
	v_add_co_ci_u32_e64 v39, null, s45, v39, vcc_lo
	s_wait_dscnt 0x0
	global_store_b64 v[38:39], v[36:37], off
	s_wait_alu 0xfffe
	s_or_b32 exec_lo, exec_lo, s15
	s_and_saveexec_b32 s15, s19
	s_cbranch_execz .LBB739_238
.LBB739_302:                            ;   in Loop: Header=BB739_104 Depth=2
	v_dual_mov_b32 v39, v2 :: v_dual_lshlrev_b32 v36, 2, v156
	ds_load_b32 v38, v36
	ds_load_b64 v[36:37], v108 offset:11264
	s_wait_dscnt 0x1
	v_add_nc_u32_e32 v38, v38, v83
	s_delay_alu instid0(VALU_DEP_1) | instskip(NEXT) | instid1(VALU_DEP_1)
	v_lshlrev_b64_e32 v[38:39], 3, v[38:39]
	v_add_co_u32 v38, vcc_lo, s44, v38
	s_wait_alu 0xfffd
	s_delay_alu instid0(VALU_DEP_2)
	v_add_co_ci_u32_e64 v39, null, s45, v39, vcc_lo
	s_wait_dscnt 0x0
	global_store_b64 v[38:39], v[36:37], off
	s_wait_alu 0xfffe
	s_or_b32 exec_lo, exec_lo, s15
	s_and_saveexec_b32 s15, s20
	s_cbranch_execz .LBB739_239
.LBB739_303:                            ;   in Loop: Header=BB739_104 Depth=2
	v_dual_mov_b32 v39, v2 :: v_dual_lshlrev_b32 v36, 2, v155
	ds_load_b32 v38, v36
	ds_load_b64 v[36:37], v108 offset:13312
	s_wait_dscnt 0x1
	v_add_nc_u32_e32 v38, v38, v84
	s_delay_alu instid0(VALU_DEP_1) | instskip(NEXT) | instid1(VALU_DEP_1)
	v_lshlrev_b64_e32 v[38:39], 3, v[38:39]
	v_add_co_u32 v38, vcc_lo, s44, v38
	s_wait_alu 0xfffd
	s_delay_alu instid0(VALU_DEP_2)
	v_add_co_ci_u32_e64 v39, null, s45, v39, vcc_lo
	s_wait_dscnt 0x0
	global_store_b64 v[38:39], v[36:37], off
	s_wait_alu 0xfffe
	s_or_b32 exec_lo, exec_lo, s15
	s_and_saveexec_b32 s15, s21
	s_cbranch_execz .LBB739_240
.LBB739_304:                            ;   in Loop: Header=BB739_104 Depth=2
	v_dual_mov_b32 v39, v2 :: v_dual_lshlrev_b32 v36, 2, v154
	ds_load_b32 v38, v36
	ds_load_b64 v[36:37], v108 offset:15360
	s_wait_dscnt 0x1
	v_add_nc_u32_e32 v38, v38, v85
	s_delay_alu instid0(VALU_DEP_1) | instskip(NEXT) | instid1(VALU_DEP_1)
	v_lshlrev_b64_e32 v[38:39], 3, v[38:39]
	v_add_co_u32 v38, vcc_lo, s44, v38
	s_wait_alu 0xfffd
	s_delay_alu instid0(VALU_DEP_2)
	v_add_co_ci_u32_e64 v39, null, s45, v39, vcc_lo
	s_wait_dscnt 0x0
	global_store_b64 v[38:39], v[36:37], off
	s_wait_alu 0xfffe
	s_or_b32 exec_lo, exec_lo, s15
	s_and_saveexec_b32 s15, s22
	s_cbranch_execz .LBB739_241
.LBB739_305:                            ;   in Loop: Header=BB739_104 Depth=2
	v_dual_mov_b32 v39, v2 :: v_dual_lshlrev_b32 v36, 2, v153
	ds_load_b32 v38, v36
	ds_load_b64 v[36:37], v108 offset:17408
	s_wait_dscnt 0x1
	v_add_nc_u32_e32 v38, v38, v86
	s_delay_alu instid0(VALU_DEP_1) | instskip(NEXT) | instid1(VALU_DEP_1)
	v_lshlrev_b64_e32 v[38:39], 3, v[38:39]
	v_add_co_u32 v38, vcc_lo, s44, v38
	s_wait_alu 0xfffd
	s_delay_alu instid0(VALU_DEP_2)
	v_add_co_ci_u32_e64 v39, null, s45, v39, vcc_lo
	s_wait_dscnt 0x0
	global_store_b64 v[38:39], v[36:37], off
	s_wait_alu 0xfffe
	s_or_b32 exec_lo, exec_lo, s15
	s_and_saveexec_b32 s15, s23
	s_cbranch_execz .LBB739_242
.LBB739_306:                            ;   in Loop: Header=BB739_104 Depth=2
	v_dual_mov_b32 v39, v2 :: v_dual_lshlrev_b32 v36, 2, v152
	ds_load_b32 v38, v36
	ds_load_b64 v[36:37], v108 offset:19456
	s_wait_dscnt 0x1
	v_add_nc_u32_e32 v38, v38, v87
	s_delay_alu instid0(VALU_DEP_1) | instskip(NEXT) | instid1(VALU_DEP_1)
	v_lshlrev_b64_e32 v[38:39], 3, v[38:39]
	v_add_co_u32 v38, vcc_lo, s44, v38
	s_wait_alu 0xfffd
	s_delay_alu instid0(VALU_DEP_2)
	v_add_co_ci_u32_e64 v39, null, s45, v39, vcc_lo
	s_wait_dscnt 0x0
	global_store_b64 v[38:39], v[36:37], off
	s_wait_alu 0xfffe
	s_or_b32 exec_lo, exec_lo, s15
	s_and_saveexec_b32 s15, s24
	s_cbranch_execz .LBB739_243
.LBB739_307:                            ;   in Loop: Header=BB739_104 Depth=2
	v_dual_mov_b32 v39, v2 :: v_dual_lshlrev_b32 v36, 2, v151
	ds_load_b32 v38, v36
	ds_load_b64 v[36:37], v108 offset:21504
	s_wait_dscnt 0x1
	v_add_nc_u32_e32 v38, v38, v88
	s_delay_alu instid0(VALU_DEP_1) | instskip(NEXT) | instid1(VALU_DEP_1)
	v_lshlrev_b64_e32 v[38:39], 3, v[38:39]
	v_add_co_u32 v38, vcc_lo, s44, v38
	s_wait_alu 0xfffd
	s_delay_alu instid0(VALU_DEP_2)
	v_add_co_ci_u32_e64 v39, null, s45, v39, vcc_lo
	s_wait_dscnt 0x0
	global_store_b64 v[38:39], v[36:37], off
	s_wait_alu 0xfffe
	s_or_b32 exec_lo, exec_lo, s15
	s_and_saveexec_b32 s15, s25
	s_cbranch_execz .LBB739_244
.LBB739_308:                            ;   in Loop: Header=BB739_104 Depth=2
	v_dual_mov_b32 v39, v2 :: v_dual_lshlrev_b32 v36, 2, v150
	ds_load_b32 v38, v36
	ds_load_b64 v[36:37], v108 offset:23552
	s_wait_dscnt 0x1
	v_add_nc_u32_e32 v38, v38, v89
	s_delay_alu instid0(VALU_DEP_1) | instskip(NEXT) | instid1(VALU_DEP_1)
	v_lshlrev_b64_e32 v[38:39], 3, v[38:39]
	v_add_co_u32 v38, vcc_lo, s44, v38
	s_wait_alu 0xfffd
	s_delay_alu instid0(VALU_DEP_2)
	v_add_co_ci_u32_e64 v39, null, s45, v39, vcc_lo
	s_wait_dscnt 0x0
	global_store_b64 v[38:39], v[36:37], off
	s_wait_alu 0xfffe
	s_or_b32 exec_lo, exec_lo, s15
	s_and_saveexec_b32 s15, s26
	s_cbranch_execz .LBB739_245
.LBB739_309:                            ;   in Loop: Header=BB739_104 Depth=2
	v_dual_mov_b32 v39, v2 :: v_dual_lshlrev_b32 v36, 2, v149
	ds_load_b32 v38, v36
	ds_load_b64 v[36:37], v108 offset:25600
	s_wait_dscnt 0x1
	v_add_nc_u32_e32 v38, v38, v90
	s_delay_alu instid0(VALU_DEP_1) | instskip(NEXT) | instid1(VALU_DEP_1)
	v_lshlrev_b64_e32 v[38:39], 3, v[38:39]
	v_add_co_u32 v38, vcc_lo, s44, v38
	s_wait_alu 0xfffd
	s_delay_alu instid0(VALU_DEP_2)
	v_add_co_ci_u32_e64 v39, null, s45, v39, vcc_lo
	s_wait_dscnt 0x0
	global_store_b64 v[38:39], v[36:37], off
	s_wait_alu 0xfffe
	s_or_b32 exec_lo, exec_lo, s15
	s_and_saveexec_b32 s15, s27
	s_cbranch_execz .LBB739_246
.LBB739_310:                            ;   in Loop: Header=BB739_104 Depth=2
	v_dual_mov_b32 v39, v2 :: v_dual_lshlrev_b32 v36, 2, v148
	ds_load_b32 v38, v36
	ds_load_b64 v[36:37], v108 offset:27648
	s_wait_dscnt 0x1
	v_add_nc_u32_e32 v38, v38, v91
	s_delay_alu instid0(VALU_DEP_1) | instskip(NEXT) | instid1(VALU_DEP_1)
	v_lshlrev_b64_e32 v[38:39], 3, v[38:39]
	v_add_co_u32 v38, vcc_lo, s44, v38
	s_wait_alu 0xfffd
	s_delay_alu instid0(VALU_DEP_2)
	v_add_co_ci_u32_e64 v39, null, s45, v39, vcc_lo
	s_wait_dscnt 0x0
	global_store_b64 v[38:39], v[36:37], off
	s_wait_alu 0xfffe
	s_or_b32 exec_lo, exec_lo, s15
	s_and_saveexec_b32 s15, s28
	s_cbranch_execz .LBB739_247
.LBB739_311:                            ;   in Loop: Header=BB739_104 Depth=2
	v_dual_mov_b32 v39, v2 :: v_dual_lshlrev_b32 v36, 2, v147
	ds_load_b32 v38, v36
	ds_load_b64 v[36:37], v108 offset:29696
	s_wait_dscnt 0x1
	v_add_nc_u32_e32 v38, v38, v92
	s_delay_alu instid0(VALU_DEP_1) | instskip(NEXT) | instid1(VALU_DEP_1)
	v_lshlrev_b64_e32 v[38:39], 3, v[38:39]
	v_add_co_u32 v38, vcc_lo, s44, v38
	s_wait_alu 0xfffd
	s_delay_alu instid0(VALU_DEP_2)
	v_add_co_ci_u32_e64 v39, null, s45, v39, vcc_lo
	s_wait_dscnt 0x0
	global_store_b64 v[38:39], v[36:37], off
	s_wait_alu 0xfffe
	s_or_b32 exec_lo, exec_lo, s15
	s_and_saveexec_b32 s15, s29
	s_cbranch_execnz .LBB739_248
	s_branch .LBB739_249
.LBB739_312:                            ;   in Loop: Header=BB739_20 Depth=1
	s_wait_loadcnt_dscnt 0x0
	s_barrier_signal -1
	s_mov_b32 s0, 0
	s_barrier_wait -1
.LBB739_313:                            ;   in Loop: Header=BB739_20 Depth=1
	s_wait_alu 0xfffe
	s_and_b32 vcc_lo, exec_lo, s0
	s_wait_alu 0xfffe
	s_cbranch_vccz .LBB739_605
; %bb.314:                              ;   in Loop: Header=BB739_20 Depth=1
	s_mov_b32 s8, s53
	s_mov_b32 s34, s33
	s_barrier_signal -1
	s_barrier_wait -1
	global_inv scope:SCOPE_SE
                                        ; implicit-def: $vgpr4_vgpr5
                                        ; implicit-def: $vgpr6_vgpr7
                                        ; implicit-def: $vgpr8_vgpr9
                                        ; implicit-def: $vgpr10_vgpr11
                                        ; implicit-def: $vgpr12_vgpr13
                                        ; implicit-def: $vgpr14_vgpr15
                                        ; implicit-def: $vgpr16_vgpr17
                                        ; implicit-def: $vgpr18_vgpr19
                                        ; implicit-def: $vgpr20_vgpr21
                                        ; implicit-def: $vgpr22_vgpr23
                                        ; implicit-def: $vgpr24_vgpr25
                                        ; implicit-def: $vgpr26_vgpr27
                                        ; implicit-def: $vgpr28_vgpr29
                                        ; implicit-def: $vgpr30_vgpr31
                                        ; implicit-def: $vgpr32_vgpr33
                                        ; implicit-def: $vgpr34_vgpr35
	s_branch .LBB739_316
.LBB739_315:                            ;   in Loop: Header=BB739_316 Depth=2
	s_wait_alu 0xfffe
	s_or_b32 exec_lo, exec_lo, s0
	s_addk_co_i32 s8, 0xf000
	s_cmp_ge_u32 s9, s51
	s_mov_b32 s34, s9
	s_cbranch_scc1 .LBB739_384
.LBB739_316:                            ;   Parent Loop BB739_20 Depth=1
                                        ; =>  This Inner Loop Header: Depth=2
	s_wait_alu 0xfffe
	s_add_co_i32 s9, s34, 0x1000
	s_mov_b32 s0, -1
	s_wait_alu 0xfffe
	s_cmp_gt_u32 s9, s51
                                        ; implicit-def: $vgpr36_vgpr37
                                        ; implicit-def: $vgpr38_vgpr39
                                        ; implicit-def: $vgpr40_vgpr41
                                        ; implicit-def: $vgpr42_vgpr43
                                        ; implicit-def: $vgpr44_vgpr45
                                        ; implicit-def: $vgpr46_vgpr47
                                        ; implicit-def: $vgpr48_vgpr49
                                        ; implicit-def: $vgpr50_vgpr51
                                        ; implicit-def: $vgpr52_vgpr53
                                        ; implicit-def: $vgpr54_vgpr55
                                        ; implicit-def: $vgpr56_vgpr57
                                        ; implicit-def: $vgpr58_vgpr59
                                        ; implicit-def: $vgpr60_vgpr61
                                        ; implicit-def: $vgpr62_vgpr63
                                        ; implicit-def: $vgpr64_vgpr65
                                        ; implicit-def: $vgpr66_vgpr67
	s_cbranch_scc1 .LBB739_318
; %bb.317:                              ;   in Loop: Header=BB739_316 Depth=2
	s_lshl_b64 s[0:1], s[34:35], 3
	s_wait_alu 0xfffe
	v_add_co_u32 v66, vcc_lo, v109, s0
	s_wait_alu 0xfffd
	v_add_co_ci_u32_e64 v67, null, s1, v110, vcc_lo
	s_mov_b32 s0, 0
	s_clause 0xf
	global_load_b64 v[36:37], v[66:67], off
	global_load_b64 v[38:39], v[66:67], off offset:2048
	global_load_b64 v[40:41], v[66:67], off offset:4096
	;; [unrolled: 1-line block ×15, first 2 shown]
.LBB739_318:                            ;   in Loop: Header=BB739_316 Depth=2
	s_wait_alu 0xfffe
	s_and_not1_b32 vcc_lo, exec_lo, s0
	s_movk_i32 s0, 0x1000
	s_wait_alu 0xfffe
	s_cbranch_vccnz .LBB739_337
; %bb.319:                              ;   in Loop: Header=BB739_316 Depth=2
	s_lshl_b64 s[0:1], s[34:35], 3
	s_mov_b32 s10, exec_lo
	s_wait_alu 0xfffe
	s_add_nc_u64 s[0:1], s[38:39], s[0:1]
	v_cmpx_gt_u32_e64 s8, v1
	s_cbranch_execnz .LBB739_369
; %bb.320:                              ;   in Loop: Header=BB739_316 Depth=2
	s_or_b32 exec_lo, exec_lo, s10
	s_delay_alu instid0(SALU_CYCLE_1)
	s_mov_b32 s10, exec_lo
	v_cmpx_gt_u32_e64 s8, v77
	s_cbranch_execnz .LBB739_370
.LBB739_321:                            ;   in Loop: Header=BB739_316 Depth=2
	s_wait_alu 0xfffe
	s_or_b32 exec_lo, exec_lo, s10
	s_delay_alu instid0(SALU_CYCLE_1)
	s_mov_b32 s10, exec_lo
	v_cmpx_gt_u32_e64 s8, v78
	s_cbranch_execnz .LBB739_371
.LBB739_322:                            ;   in Loop: Header=BB739_316 Depth=2
	s_wait_alu 0xfffe
	s_or_b32 exec_lo, exec_lo, s10
	s_delay_alu instid0(SALU_CYCLE_1)
	s_mov_b32 s10, exec_lo
	v_cmpx_gt_u32_e64 s8, v79
	s_cbranch_execnz .LBB739_372
.LBB739_323:                            ;   in Loop: Header=BB739_316 Depth=2
	s_wait_alu 0xfffe
	s_or_b32 exec_lo, exec_lo, s10
	s_delay_alu instid0(SALU_CYCLE_1)
	s_mov_b32 s10, exec_lo
	v_cmpx_gt_u32_e64 s8, v82
	s_cbranch_execnz .LBB739_373
.LBB739_324:                            ;   in Loop: Header=BB739_316 Depth=2
	s_wait_alu 0xfffe
	s_or_b32 exec_lo, exec_lo, s10
	s_delay_alu instid0(SALU_CYCLE_1)
	s_mov_b32 s10, exec_lo
	v_cmpx_gt_u32_e64 s8, v83
	s_cbranch_execnz .LBB739_374
.LBB739_325:                            ;   in Loop: Header=BB739_316 Depth=2
	s_wait_alu 0xfffe
	s_or_b32 exec_lo, exec_lo, s10
	s_delay_alu instid0(SALU_CYCLE_1)
	s_mov_b32 s10, exec_lo
	v_cmpx_gt_u32_e64 s8, v84
	s_cbranch_execnz .LBB739_375
.LBB739_326:                            ;   in Loop: Header=BB739_316 Depth=2
	s_wait_alu 0xfffe
	s_or_b32 exec_lo, exec_lo, s10
	s_delay_alu instid0(SALU_CYCLE_1)
	s_mov_b32 s10, exec_lo
	v_cmpx_gt_u32_e64 s8, v85
	s_cbranch_execnz .LBB739_376
.LBB739_327:                            ;   in Loop: Header=BB739_316 Depth=2
	s_wait_alu 0xfffe
	s_or_b32 exec_lo, exec_lo, s10
	s_delay_alu instid0(SALU_CYCLE_1)
	s_mov_b32 s10, exec_lo
	v_cmpx_gt_u32_e64 s8, v86
	s_cbranch_execnz .LBB739_377
.LBB739_328:                            ;   in Loop: Header=BB739_316 Depth=2
	s_wait_alu 0xfffe
	s_or_b32 exec_lo, exec_lo, s10
	s_delay_alu instid0(SALU_CYCLE_1)
	s_mov_b32 s10, exec_lo
	v_cmpx_gt_u32_e64 s8, v87
	s_cbranch_execnz .LBB739_378
.LBB739_329:                            ;   in Loop: Header=BB739_316 Depth=2
	s_wait_alu 0xfffe
	s_or_b32 exec_lo, exec_lo, s10
	s_delay_alu instid0(SALU_CYCLE_1)
	s_mov_b32 s10, exec_lo
	v_cmpx_gt_u32_e64 s8, v88
	s_cbranch_execnz .LBB739_379
.LBB739_330:                            ;   in Loop: Header=BB739_316 Depth=2
	s_wait_alu 0xfffe
	s_or_b32 exec_lo, exec_lo, s10
	s_delay_alu instid0(SALU_CYCLE_1)
	s_mov_b32 s10, exec_lo
	v_cmpx_gt_u32_e64 s8, v89
	s_cbranch_execnz .LBB739_380
.LBB739_331:                            ;   in Loop: Header=BB739_316 Depth=2
	s_wait_alu 0xfffe
	s_or_b32 exec_lo, exec_lo, s10
	s_delay_alu instid0(SALU_CYCLE_1)
	s_mov_b32 s10, exec_lo
	v_cmpx_gt_u32_e64 s8, v90
	s_cbranch_execnz .LBB739_381
.LBB739_332:                            ;   in Loop: Header=BB739_316 Depth=2
	s_wait_alu 0xfffe
	s_or_b32 exec_lo, exec_lo, s10
	s_delay_alu instid0(SALU_CYCLE_1)
	s_mov_b32 s10, exec_lo
	v_cmpx_gt_u32_e64 s8, v91
	s_cbranch_execnz .LBB739_382
.LBB739_333:                            ;   in Loop: Header=BB739_316 Depth=2
	s_wait_alu 0xfffe
	s_or_b32 exec_lo, exec_lo, s10
	s_delay_alu instid0(SALU_CYCLE_1)
	s_mov_b32 s10, exec_lo
	v_cmpx_gt_u32_e64 s8, v92
	s_cbranch_execnz .LBB739_383
.LBB739_334:                            ;   in Loop: Header=BB739_316 Depth=2
	s_wait_alu 0xfffe
	s_or_b32 exec_lo, exec_lo, s10
	s_delay_alu instid0(SALU_CYCLE_1)
	s_mov_b32 s10, exec_lo
	v_cmpx_gt_u32_e64 s8, v93
	s_cbranch_execz .LBB739_336
.LBB739_335:                            ;   in Loop: Header=BB739_316 Depth=2
	global_load_b64 v[4:5], v122, s[0:1] offset:30720
.LBB739_336:                            ;   in Loop: Header=BB739_316 Depth=2
	s_wait_alu 0xfffe
	s_or_b32 exec_lo, exec_lo, s10
	s_wait_loadcnt 0x0
	v_dual_mov_b32 v37, v35 :: v_dual_mov_b32 v36, v34
	v_dual_mov_b32 v39, v33 :: v_dual_mov_b32 v38, v32
	;; [unrolled: 1-line block ×16, first 2 shown]
	s_mov_b32 s0, s8
.LBB739_337:                            ;   in Loop: Header=BB739_316 Depth=2
	s_wait_loadcnt 0x0
	s_delay_alu instid0(VALU_DEP_1)
	v_dual_mov_b32 v4, v66 :: v_dual_mov_b32 v5, v67
	v_dual_mov_b32 v6, v64 :: v_dual_mov_b32 v7, v65
	;; [unrolled: 1-line block ×16, first 2 shown]
	s_mov_b32 s1, exec_lo
	s_wait_alu 0xfffe
	v_cmpx_gt_u32_e64 s0, v1
	s_cbranch_execnz .LBB739_353
; %bb.338:                              ;   in Loop: Header=BB739_316 Depth=2
	s_or_b32 exec_lo, exec_lo, s1
	s_delay_alu instid0(SALU_CYCLE_1)
	s_mov_b32 s1, exec_lo
	v_cmpx_gt_u32_e64 s0, v77
	s_cbranch_execnz .LBB739_354
.LBB739_339:                            ;   in Loop: Header=BB739_316 Depth=2
	s_wait_alu 0xfffe
	s_or_b32 exec_lo, exec_lo, s1
	s_delay_alu instid0(SALU_CYCLE_1)
	s_mov_b32 s1, exec_lo
	v_cmpx_gt_u32_e64 s0, v78
	s_cbranch_execnz .LBB739_355
.LBB739_340:                            ;   in Loop: Header=BB739_316 Depth=2
	s_wait_alu 0xfffe
	s_or_b32 exec_lo, exec_lo, s1
	s_delay_alu instid0(SALU_CYCLE_1)
	s_mov_b32 s1, exec_lo
	v_cmpx_gt_u32_e64 s0, v79
	s_cbranch_execnz .LBB739_356
.LBB739_341:                            ;   in Loop: Header=BB739_316 Depth=2
	s_wait_alu 0xfffe
	s_or_b32 exec_lo, exec_lo, s1
	s_delay_alu instid0(SALU_CYCLE_1)
	s_mov_b32 s1, exec_lo
	v_cmpx_gt_u32_e64 s0, v82
	s_cbranch_execnz .LBB739_357
.LBB739_342:                            ;   in Loop: Header=BB739_316 Depth=2
	s_wait_alu 0xfffe
	s_or_b32 exec_lo, exec_lo, s1
	s_delay_alu instid0(SALU_CYCLE_1)
	s_mov_b32 s1, exec_lo
	v_cmpx_gt_u32_e64 s0, v83
	s_cbranch_execnz .LBB739_358
.LBB739_343:                            ;   in Loop: Header=BB739_316 Depth=2
	s_wait_alu 0xfffe
	s_or_b32 exec_lo, exec_lo, s1
	s_delay_alu instid0(SALU_CYCLE_1)
	s_mov_b32 s1, exec_lo
	v_cmpx_gt_u32_e64 s0, v84
	s_cbranch_execnz .LBB739_359
.LBB739_344:                            ;   in Loop: Header=BB739_316 Depth=2
	s_wait_alu 0xfffe
	s_or_b32 exec_lo, exec_lo, s1
	s_delay_alu instid0(SALU_CYCLE_1)
	s_mov_b32 s1, exec_lo
	v_cmpx_gt_u32_e64 s0, v85
	s_cbranch_execnz .LBB739_360
.LBB739_345:                            ;   in Loop: Header=BB739_316 Depth=2
	s_wait_alu 0xfffe
	s_or_b32 exec_lo, exec_lo, s1
	s_delay_alu instid0(SALU_CYCLE_1)
	s_mov_b32 s1, exec_lo
	v_cmpx_gt_u32_e64 s0, v86
	s_cbranch_execnz .LBB739_361
.LBB739_346:                            ;   in Loop: Header=BB739_316 Depth=2
	s_wait_alu 0xfffe
	s_or_b32 exec_lo, exec_lo, s1
	s_delay_alu instid0(SALU_CYCLE_1)
	s_mov_b32 s1, exec_lo
	v_cmpx_gt_u32_e64 s0, v87
	s_cbranch_execnz .LBB739_362
.LBB739_347:                            ;   in Loop: Header=BB739_316 Depth=2
	s_wait_alu 0xfffe
	s_or_b32 exec_lo, exec_lo, s1
	s_delay_alu instid0(SALU_CYCLE_1)
	s_mov_b32 s1, exec_lo
	v_cmpx_gt_u32_e64 s0, v88
	s_cbranch_execnz .LBB739_363
.LBB739_348:                            ;   in Loop: Header=BB739_316 Depth=2
	s_wait_alu 0xfffe
	s_or_b32 exec_lo, exec_lo, s1
	s_delay_alu instid0(SALU_CYCLE_1)
	s_mov_b32 s1, exec_lo
	v_cmpx_gt_u32_e64 s0, v89
	s_cbranch_execnz .LBB739_364
.LBB739_349:                            ;   in Loop: Header=BB739_316 Depth=2
	s_wait_alu 0xfffe
	s_or_b32 exec_lo, exec_lo, s1
	s_delay_alu instid0(SALU_CYCLE_1)
	s_mov_b32 s1, exec_lo
	v_cmpx_gt_u32_e64 s0, v90
	s_cbranch_execnz .LBB739_365
.LBB739_350:                            ;   in Loop: Header=BB739_316 Depth=2
	s_wait_alu 0xfffe
	s_or_b32 exec_lo, exec_lo, s1
	s_delay_alu instid0(SALU_CYCLE_1)
	s_mov_b32 s1, exec_lo
	v_cmpx_gt_u32_e64 s0, v91
	s_cbranch_execnz .LBB739_366
.LBB739_351:                            ;   in Loop: Header=BB739_316 Depth=2
	s_wait_alu 0xfffe
	s_or_b32 exec_lo, exec_lo, s1
	s_delay_alu instid0(SALU_CYCLE_1)
	s_mov_b32 s1, exec_lo
	v_cmpx_gt_u32_e64 s0, v92
	s_cbranch_execnz .LBB739_367
.LBB739_352:                            ;   in Loop: Header=BB739_316 Depth=2
	s_wait_alu 0xfffe
	s_or_b32 exec_lo, exec_lo, s1
	v_cmp_gt_u32_e32 vcc_lo, s0, v93
	s_and_saveexec_b32 s0, vcc_lo
	s_cbranch_execz .LBB739_315
	s_branch .LBB739_368
.LBB739_353:                            ;   in Loop: Header=BB739_316 Depth=2
	v_xor_b32_e32 v37, 0x7fffffff, v35
	v_not_b32_e32 v36, v34
	s_delay_alu instid0(VALU_DEP_1) | instskip(NEXT) | instid1(VALU_DEP_1)
	v_lshrrev_b64 v[36:37], s48, v[36:37]
	v_and_b32_e32 v36, s55, v36
	s_delay_alu instid0(VALU_DEP_1) | instskip(SKIP_2) | instid1(SALU_CYCLE_1)
	v_lshl_or_b32 v36, v36, 4, v94
	ds_add_u32 v36, v121
	s_or_b32 exec_lo, exec_lo, s1
	s_mov_b32 s1, exec_lo
	v_cmpx_gt_u32_e64 s0, v77
	s_cbranch_execz .LBB739_339
.LBB739_354:                            ;   in Loop: Header=BB739_316 Depth=2
	v_xor_b32_e32 v37, 0x7fffffff, v33
	v_not_b32_e32 v36, v32
	s_delay_alu instid0(VALU_DEP_1) | instskip(NEXT) | instid1(VALU_DEP_1)
	v_lshrrev_b64 v[36:37], s48, v[36:37]
	v_and_b32_e32 v36, s55, v36
	s_delay_alu instid0(VALU_DEP_1) | instskip(SKIP_3) | instid1(SALU_CYCLE_1)
	v_lshl_or_b32 v36, v36, 4, v94
	ds_add_u32 v36, v121
	s_wait_alu 0xfffe
	s_or_b32 exec_lo, exec_lo, s1
	s_mov_b32 s1, exec_lo
	v_cmpx_gt_u32_e64 s0, v78
	s_cbranch_execz .LBB739_340
.LBB739_355:                            ;   in Loop: Header=BB739_316 Depth=2
	v_xor_b32_e32 v37, 0x7fffffff, v31
	v_not_b32_e32 v36, v30
	s_delay_alu instid0(VALU_DEP_1) | instskip(NEXT) | instid1(VALU_DEP_1)
	v_lshrrev_b64 v[36:37], s48, v[36:37]
	v_and_b32_e32 v36, s55, v36
	s_delay_alu instid0(VALU_DEP_1) | instskip(SKIP_3) | instid1(SALU_CYCLE_1)
	v_lshl_or_b32 v36, v36, 4, v94
	ds_add_u32 v36, v121
	s_wait_alu 0xfffe
	s_or_b32 exec_lo, exec_lo, s1
	s_mov_b32 s1, exec_lo
	v_cmpx_gt_u32_e64 s0, v79
	s_cbranch_execz .LBB739_341
.LBB739_356:                            ;   in Loop: Header=BB739_316 Depth=2
	v_xor_b32_e32 v37, 0x7fffffff, v29
	v_not_b32_e32 v36, v28
	s_delay_alu instid0(VALU_DEP_1) | instskip(NEXT) | instid1(VALU_DEP_1)
	v_lshrrev_b64 v[36:37], s48, v[36:37]
	v_and_b32_e32 v36, s55, v36
	s_delay_alu instid0(VALU_DEP_1) | instskip(SKIP_3) | instid1(SALU_CYCLE_1)
	v_lshl_or_b32 v36, v36, 4, v94
	ds_add_u32 v36, v121
	s_wait_alu 0xfffe
	s_or_b32 exec_lo, exec_lo, s1
	s_mov_b32 s1, exec_lo
	v_cmpx_gt_u32_e64 s0, v82
	s_cbranch_execz .LBB739_342
.LBB739_357:                            ;   in Loop: Header=BB739_316 Depth=2
	v_xor_b32_e32 v37, 0x7fffffff, v27
	v_not_b32_e32 v36, v26
	s_delay_alu instid0(VALU_DEP_1) | instskip(NEXT) | instid1(VALU_DEP_1)
	v_lshrrev_b64 v[36:37], s48, v[36:37]
	v_and_b32_e32 v36, s55, v36
	s_delay_alu instid0(VALU_DEP_1) | instskip(SKIP_3) | instid1(SALU_CYCLE_1)
	v_lshl_or_b32 v36, v36, 4, v94
	ds_add_u32 v36, v121
	s_wait_alu 0xfffe
	s_or_b32 exec_lo, exec_lo, s1
	s_mov_b32 s1, exec_lo
	v_cmpx_gt_u32_e64 s0, v83
	s_cbranch_execz .LBB739_343
.LBB739_358:                            ;   in Loop: Header=BB739_316 Depth=2
	v_xor_b32_e32 v37, 0x7fffffff, v25
	v_not_b32_e32 v36, v24
	s_delay_alu instid0(VALU_DEP_1) | instskip(NEXT) | instid1(VALU_DEP_1)
	v_lshrrev_b64 v[36:37], s48, v[36:37]
	v_and_b32_e32 v36, s55, v36
	s_delay_alu instid0(VALU_DEP_1) | instskip(SKIP_3) | instid1(SALU_CYCLE_1)
	v_lshl_or_b32 v36, v36, 4, v94
	ds_add_u32 v36, v121
	s_wait_alu 0xfffe
	s_or_b32 exec_lo, exec_lo, s1
	s_mov_b32 s1, exec_lo
	v_cmpx_gt_u32_e64 s0, v84
	s_cbranch_execz .LBB739_344
.LBB739_359:                            ;   in Loop: Header=BB739_316 Depth=2
	v_xor_b32_e32 v37, 0x7fffffff, v23
	v_not_b32_e32 v36, v22
	s_delay_alu instid0(VALU_DEP_1) | instskip(NEXT) | instid1(VALU_DEP_1)
	v_lshrrev_b64 v[36:37], s48, v[36:37]
	v_and_b32_e32 v36, s55, v36
	s_delay_alu instid0(VALU_DEP_1) | instskip(SKIP_3) | instid1(SALU_CYCLE_1)
	v_lshl_or_b32 v36, v36, 4, v94
	ds_add_u32 v36, v121
	s_wait_alu 0xfffe
	s_or_b32 exec_lo, exec_lo, s1
	s_mov_b32 s1, exec_lo
	v_cmpx_gt_u32_e64 s0, v85
	s_cbranch_execz .LBB739_345
.LBB739_360:                            ;   in Loop: Header=BB739_316 Depth=2
	v_xor_b32_e32 v37, 0x7fffffff, v21
	v_not_b32_e32 v36, v20
	s_delay_alu instid0(VALU_DEP_1) | instskip(NEXT) | instid1(VALU_DEP_1)
	v_lshrrev_b64 v[36:37], s48, v[36:37]
	v_and_b32_e32 v36, s55, v36
	s_delay_alu instid0(VALU_DEP_1) | instskip(SKIP_3) | instid1(SALU_CYCLE_1)
	v_lshl_or_b32 v36, v36, 4, v94
	ds_add_u32 v36, v121
	s_wait_alu 0xfffe
	s_or_b32 exec_lo, exec_lo, s1
	s_mov_b32 s1, exec_lo
	v_cmpx_gt_u32_e64 s0, v86
	s_cbranch_execz .LBB739_346
.LBB739_361:                            ;   in Loop: Header=BB739_316 Depth=2
	v_xor_b32_e32 v37, 0x7fffffff, v19
	v_not_b32_e32 v36, v18
	s_delay_alu instid0(VALU_DEP_1) | instskip(NEXT) | instid1(VALU_DEP_1)
	v_lshrrev_b64 v[36:37], s48, v[36:37]
	v_and_b32_e32 v36, s55, v36
	s_delay_alu instid0(VALU_DEP_1) | instskip(SKIP_3) | instid1(SALU_CYCLE_1)
	v_lshl_or_b32 v36, v36, 4, v94
	ds_add_u32 v36, v121
	s_wait_alu 0xfffe
	s_or_b32 exec_lo, exec_lo, s1
	s_mov_b32 s1, exec_lo
	v_cmpx_gt_u32_e64 s0, v87
	s_cbranch_execz .LBB739_347
.LBB739_362:                            ;   in Loop: Header=BB739_316 Depth=2
	v_xor_b32_e32 v37, 0x7fffffff, v17
	v_not_b32_e32 v36, v16
	s_delay_alu instid0(VALU_DEP_1) | instskip(NEXT) | instid1(VALU_DEP_1)
	v_lshrrev_b64 v[36:37], s48, v[36:37]
	v_and_b32_e32 v36, s55, v36
	s_delay_alu instid0(VALU_DEP_1) | instskip(SKIP_3) | instid1(SALU_CYCLE_1)
	v_lshl_or_b32 v36, v36, 4, v94
	ds_add_u32 v36, v121
	s_wait_alu 0xfffe
	s_or_b32 exec_lo, exec_lo, s1
	s_mov_b32 s1, exec_lo
	v_cmpx_gt_u32_e64 s0, v88
	s_cbranch_execz .LBB739_348
.LBB739_363:                            ;   in Loop: Header=BB739_316 Depth=2
	v_xor_b32_e32 v37, 0x7fffffff, v15
	v_not_b32_e32 v36, v14
	s_delay_alu instid0(VALU_DEP_1) | instskip(NEXT) | instid1(VALU_DEP_1)
	v_lshrrev_b64 v[36:37], s48, v[36:37]
	v_and_b32_e32 v36, s55, v36
	s_delay_alu instid0(VALU_DEP_1) | instskip(SKIP_3) | instid1(SALU_CYCLE_1)
	v_lshl_or_b32 v36, v36, 4, v94
	ds_add_u32 v36, v121
	s_wait_alu 0xfffe
	s_or_b32 exec_lo, exec_lo, s1
	s_mov_b32 s1, exec_lo
	v_cmpx_gt_u32_e64 s0, v89
	s_cbranch_execz .LBB739_349
.LBB739_364:                            ;   in Loop: Header=BB739_316 Depth=2
	v_xor_b32_e32 v37, 0x7fffffff, v13
	v_not_b32_e32 v36, v12
	s_delay_alu instid0(VALU_DEP_1) | instskip(NEXT) | instid1(VALU_DEP_1)
	v_lshrrev_b64 v[36:37], s48, v[36:37]
	v_and_b32_e32 v36, s55, v36
	s_delay_alu instid0(VALU_DEP_1) | instskip(SKIP_3) | instid1(SALU_CYCLE_1)
	v_lshl_or_b32 v36, v36, 4, v94
	ds_add_u32 v36, v121
	s_wait_alu 0xfffe
	s_or_b32 exec_lo, exec_lo, s1
	s_mov_b32 s1, exec_lo
	v_cmpx_gt_u32_e64 s0, v90
	s_cbranch_execz .LBB739_350
.LBB739_365:                            ;   in Loop: Header=BB739_316 Depth=2
	v_xor_b32_e32 v37, 0x7fffffff, v11
	v_not_b32_e32 v36, v10
	s_delay_alu instid0(VALU_DEP_1) | instskip(NEXT) | instid1(VALU_DEP_1)
	v_lshrrev_b64 v[36:37], s48, v[36:37]
	v_and_b32_e32 v36, s55, v36
	s_delay_alu instid0(VALU_DEP_1) | instskip(SKIP_3) | instid1(SALU_CYCLE_1)
	v_lshl_or_b32 v36, v36, 4, v94
	ds_add_u32 v36, v121
	s_wait_alu 0xfffe
	s_or_b32 exec_lo, exec_lo, s1
	s_mov_b32 s1, exec_lo
	v_cmpx_gt_u32_e64 s0, v91
	s_cbranch_execz .LBB739_351
.LBB739_366:                            ;   in Loop: Header=BB739_316 Depth=2
	v_xor_b32_e32 v37, 0x7fffffff, v9
	v_not_b32_e32 v36, v8
	s_delay_alu instid0(VALU_DEP_1) | instskip(NEXT) | instid1(VALU_DEP_1)
	v_lshrrev_b64 v[36:37], s48, v[36:37]
	v_and_b32_e32 v36, s55, v36
	s_delay_alu instid0(VALU_DEP_1) | instskip(SKIP_3) | instid1(SALU_CYCLE_1)
	v_lshl_or_b32 v36, v36, 4, v94
	ds_add_u32 v36, v121
	s_wait_alu 0xfffe
	s_or_b32 exec_lo, exec_lo, s1
	s_mov_b32 s1, exec_lo
	v_cmpx_gt_u32_e64 s0, v92
	s_cbranch_execz .LBB739_352
.LBB739_367:                            ;   in Loop: Header=BB739_316 Depth=2
	v_xor_b32_e32 v37, 0x7fffffff, v7
	v_not_b32_e32 v36, v6
	s_delay_alu instid0(VALU_DEP_1) | instskip(NEXT) | instid1(VALU_DEP_1)
	v_lshrrev_b64 v[36:37], s48, v[36:37]
	v_and_b32_e32 v36, s55, v36
	s_delay_alu instid0(VALU_DEP_1)
	v_lshl_or_b32 v36, v36, 4, v94
	ds_add_u32 v36, v121
	s_wait_alu 0xfffe
	s_or_b32 exec_lo, exec_lo, s1
	v_cmp_gt_u32_e32 vcc_lo, s0, v93
	s_and_saveexec_b32 s0, vcc_lo
	s_cbranch_execz .LBB739_315
.LBB739_368:                            ;   in Loop: Header=BB739_316 Depth=2
	v_xor_b32_e32 v37, 0x7fffffff, v5
	v_not_b32_e32 v36, v4
	s_delay_alu instid0(VALU_DEP_1) | instskip(NEXT) | instid1(VALU_DEP_1)
	v_lshrrev_b64 v[36:37], s48, v[36:37]
	v_and_b32_e32 v36, s55, v36
	s_delay_alu instid0(VALU_DEP_1)
	v_lshl_or_b32 v36, v36, 4, v94
	ds_add_u32 v36, v121
	s_branch .LBB739_315
.LBB739_369:                            ;   in Loop: Header=BB739_316 Depth=2
	global_load_b64 v[34:35], v122, s[0:1]
	s_or_b32 exec_lo, exec_lo, s10
	s_delay_alu instid0(SALU_CYCLE_1)
	s_mov_b32 s10, exec_lo
	v_cmpx_gt_u32_e64 s8, v77
	s_cbranch_execz .LBB739_321
.LBB739_370:                            ;   in Loop: Header=BB739_316 Depth=2
	global_load_b64 v[32:33], v122, s[0:1] offset:2048
	s_wait_alu 0xfffe
	s_or_b32 exec_lo, exec_lo, s10
	s_delay_alu instid0(SALU_CYCLE_1)
	s_mov_b32 s10, exec_lo
	v_cmpx_gt_u32_e64 s8, v78
	s_cbranch_execz .LBB739_322
.LBB739_371:                            ;   in Loop: Header=BB739_316 Depth=2
	global_load_b64 v[30:31], v122, s[0:1] offset:4096
	s_wait_alu 0xfffe
	s_or_b32 exec_lo, exec_lo, s10
	s_delay_alu instid0(SALU_CYCLE_1)
	s_mov_b32 s10, exec_lo
	v_cmpx_gt_u32_e64 s8, v79
	s_cbranch_execz .LBB739_323
.LBB739_372:                            ;   in Loop: Header=BB739_316 Depth=2
	global_load_b64 v[28:29], v122, s[0:1] offset:6144
	s_wait_alu 0xfffe
	s_or_b32 exec_lo, exec_lo, s10
	s_delay_alu instid0(SALU_CYCLE_1)
	s_mov_b32 s10, exec_lo
	v_cmpx_gt_u32_e64 s8, v82
	s_cbranch_execz .LBB739_324
.LBB739_373:                            ;   in Loop: Header=BB739_316 Depth=2
	global_load_b64 v[26:27], v122, s[0:1] offset:8192
	s_wait_alu 0xfffe
	s_or_b32 exec_lo, exec_lo, s10
	s_delay_alu instid0(SALU_CYCLE_1)
	s_mov_b32 s10, exec_lo
	v_cmpx_gt_u32_e64 s8, v83
	s_cbranch_execz .LBB739_325
.LBB739_374:                            ;   in Loop: Header=BB739_316 Depth=2
	global_load_b64 v[24:25], v122, s[0:1] offset:10240
	s_wait_alu 0xfffe
	s_or_b32 exec_lo, exec_lo, s10
	s_delay_alu instid0(SALU_CYCLE_1)
	s_mov_b32 s10, exec_lo
	v_cmpx_gt_u32_e64 s8, v84
	s_cbranch_execz .LBB739_326
.LBB739_375:                            ;   in Loop: Header=BB739_316 Depth=2
	global_load_b64 v[22:23], v122, s[0:1] offset:12288
	s_wait_alu 0xfffe
	s_or_b32 exec_lo, exec_lo, s10
	s_delay_alu instid0(SALU_CYCLE_1)
	s_mov_b32 s10, exec_lo
	v_cmpx_gt_u32_e64 s8, v85
	s_cbranch_execz .LBB739_327
.LBB739_376:                            ;   in Loop: Header=BB739_316 Depth=2
	global_load_b64 v[20:21], v122, s[0:1] offset:14336
	s_wait_alu 0xfffe
	s_or_b32 exec_lo, exec_lo, s10
	s_delay_alu instid0(SALU_CYCLE_1)
	s_mov_b32 s10, exec_lo
	v_cmpx_gt_u32_e64 s8, v86
	s_cbranch_execz .LBB739_328
.LBB739_377:                            ;   in Loop: Header=BB739_316 Depth=2
	global_load_b64 v[18:19], v122, s[0:1] offset:16384
	s_wait_alu 0xfffe
	s_or_b32 exec_lo, exec_lo, s10
	s_delay_alu instid0(SALU_CYCLE_1)
	s_mov_b32 s10, exec_lo
	v_cmpx_gt_u32_e64 s8, v87
	s_cbranch_execz .LBB739_329
.LBB739_378:                            ;   in Loop: Header=BB739_316 Depth=2
	global_load_b64 v[16:17], v122, s[0:1] offset:18432
	s_wait_alu 0xfffe
	s_or_b32 exec_lo, exec_lo, s10
	s_delay_alu instid0(SALU_CYCLE_1)
	s_mov_b32 s10, exec_lo
	v_cmpx_gt_u32_e64 s8, v88
	s_cbranch_execz .LBB739_330
.LBB739_379:                            ;   in Loop: Header=BB739_316 Depth=2
	global_load_b64 v[14:15], v122, s[0:1] offset:20480
	s_wait_alu 0xfffe
	s_or_b32 exec_lo, exec_lo, s10
	s_delay_alu instid0(SALU_CYCLE_1)
	s_mov_b32 s10, exec_lo
	v_cmpx_gt_u32_e64 s8, v89
	s_cbranch_execz .LBB739_331
.LBB739_380:                            ;   in Loop: Header=BB739_316 Depth=2
	global_load_b64 v[12:13], v122, s[0:1] offset:22528
	s_wait_alu 0xfffe
	s_or_b32 exec_lo, exec_lo, s10
	s_delay_alu instid0(SALU_CYCLE_1)
	s_mov_b32 s10, exec_lo
	v_cmpx_gt_u32_e64 s8, v90
	s_cbranch_execz .LBB739_332
.LBB739_381:                            ;   in Loop: Header=BB739_316 Depth=2
	global_load_b64 v[10:11], v122, s[0:1] offset:24576
	s_wait_alu 0xfffe
	s_or_b32 exec_lo, exec_lo, s10
	s_delay_alu instid0(SALU_CYCLE_1)
	s_mov_b32 s10, exec_lo
	v_cmpx_gt_u32_e64 s8, v91
	s_cbranch_execz .LBB739_333
.LBB739_382:                            ;   in Loop: Header=BB739_316 Depth=2
	global_load_b64 v[8:9], v122, s[0:1] offset:26624
	s_wait_alu 0xfffe
	s_or_b32 exec_lo, exec_lo, s10
	s_delay_alu instid0(SALU_CYCLE_1)
	s_mov_b32 s10, exec_lo
	v_cmpx_gt_u32_e64 s8, v92
	s_cbranch_execz .LBB739_334
.LBB739_383:                            ;   in Loop: Header=BB739_316 Depth=2
	global_load_b64 v[6:7], v122, s[0:1] offset:28672
	s_wait_alu 0xfffe
	s_or_b32 exec_lo, exec_lo, s10
	s_delay_alu instid0(SALU_CYCLE_1)
	s_mov_b32 s10, exec_lo
	v_cmpx_gt_u32_e64 s8, v93
	s_cbranch_execnz .LBB739_335
	s_branch .LBB739_336
.LBB739_384:                            ;   in Loop: Header=BB739_20 Depth=1
	v_mov_b32_e32 v4, 0
	s_wait_dscnt 0x0
	s_barrier_signal -1
	s_barrier_wait -1
	global_inv scope:SCOPE_SE
	s_and_saveexec_b32 s0, s2
	s_cbranch_execz .LBB739_386
; %bb.385:                              ;   in Loop: Header=BB739_20 Depth=1
	ds_load_2addr_b64 v[4:7], v96 offset1:1
	s_wait_dscnt 0x0
	v_add_nc_u32_e32 v4, v5, v4
	s_delay_alu instid0(VALU_DEP_1)
	v_add3_u32 v4, v4, v6, v7
.LBB739_386:                            ;   in Loop: Header=BB739_20 Depth=1
	s_wait_alu 0xfffe
	s_or_b32 exec_lo, exec_lo, s0
	v_and_b32_e32 v5, 15, v123
	s_delay_alu instid0(VALU_DEP_2) | instskip(SKIP_1) | instid1(VALU_DEP_3)
	v_mov_b32_dpp v6, v4 row_shr:1 row_mask:0xf bank_mask:0xf
	v_and_b32_e32 v7, 16, v123
	v_cmp_eq_u32_e64 s0, 0, v5
	v_cmp_lt_u32_e64 s1, 1, v5
	v_cmp_lt_u32_e64 s8, 3, v5
	;; [unrolled: 1-line block ×3, first 2 shown]
	v_cmp_eq_u32_e64 s10, 0, v7
	s_wait_alu 0xf1ff
	v_cndmask_b32_e64 v6, v6, 0, s0
	s_delay_alu instid0(VALU_DEP_1) | instskip(NEXT) | instid1(VALU_DEP_1)
	v_add_nc_u32_e32 v4, v6, v4
	v_mov_b32_dpp v6, v4 row_shr:2 row_mask:0xf bank_mask:0xf
	s_delay_alu instid0(VALU_DEP_1) | instskip(NEXT) | instid1(VALU_DEP_1)
	v_cndmask_b32_e64 v6, 0, v6, s1
	v_add_nc_u32_e32 v4, v4, v6
	s_delay_alu instid0(VALU_DEP_1) | instskip(NEXT) | instid1(VALU_DEP_1)
	v_mov_b32_dpp v6, v4 row_shr:4 row_mask:0xf bank_mask:0xf
	v_cndmask_b32_e64 v6, 0, v6, s8
	s_delay_alu instid0(VALU_DEP_1) | instskip(NEXT) | instid1(VALU_DEP_1)
	v_add_nc_u32_e32 v4, v4, v6
	v_mov_b32_dpp v6, v4 row_shr:8 row_mask:0xf bank_mask:0xf
	s_delay_alu instid0(VALU_DEP_1) | instskip(SKIP_1) | instid1(VALU_DEP_2)
	v_cndmask_b32_e64 v5, 0, v6, s9
	v_bfe_i32 v6, v123, 4, 1
	v_add_nc_u32_e32 v4, v4, v5
	ds_swizzle_b32 v5, v4 offset:swizzle(BROADCAST,32,15)
	s_wait_dscnt 0x0
	v_and_b32_e32 v5, v6, v5
	s_delay_alu instid0(VALU_DEP_1)
	v_add_nc_u32_e32 v5, v4, v5
	s_and_saveexec_b32 s11, s3
; %bb.387:                              ;   in Loop: Header=BB739_20 Depth=1
	ds_store_b32 v97, v5
; %bb.388:                              ;   in Loop: Header=BB739_20 Depth=1
	s_wait_alu 0xfffe
	s_or_b32 exec_lo, exec_lo, s11
	v_and_b32_e32 v4, 7, v123
	s_wait_loadcnt_dscnt 0x0
	s_barrier_signal -1
	s_barrier_wait -1
	global_inv scope:SCOPE_SE
	s_and_saveexec_b32 s11, s4
	s_cbranch_execz .LBB739_390
; %bb.389:                              ;   in Loop: Header=BB739_20 Depth=1
	ds_load_b32 v6, v98
	v_cmp_ne_u32_e32 vcc_lo, 0, v4
	s_wait_dscnt 0x0
	v_mov_b32_dpp v7, v6 row_shr:1 row_mask:0xf bank_mask:0xf
	s_wait_alu 0xfffd
	s_delay_alu instid0(VALU_DEP_1) | instskip(SKIP_1) | instid1(VALU_DEP_2)
	v_cndmask_b32_e32 v7, 0, v7, vcc_lo
	v_cmp_lt_u32_e32 vcc_lo, 1, v4
	v_add_nc_u32_e32 v6, v7, v6
	s_delay_alu instid0(VALU_DEP_1) | instskip(SKIP_1) | instid1(VALU_DEP_1)
	v_mov_b32_dpp v7, v6 row_shr:2 row_mask:0xf bank_mask:0xf
	s_wait_alu 0xfffd
	v_cndmask_b32_e32 v7, 0, v7, vcc_lo
	v_cmp_lt_u32_e32 vcc_lo, 3, v4
	s_delay_alu instid0(VALU_DEP_2) | instskip(NEXT) | instid1(VALU_DEP_1)
	v_add_nc_u32_e32 v6, v6, v7
	v_mov_b32_dpp v7, v6 row_shr:4 row_mask:0xf bank_mask:0xf
	s_wait_alu 0xfffd
	s_delay_alu instid0(VALU_DEP_1) | instskip(NEXT) | instid1(VALU_DEP_1)
	v_cndmask_b32_e32 v7, 0, v7, vcc_lo
	v_add_nc_u32_e32 v6, v6, v7
	ds_store_b32 v98, v6
.LBB739_390:                            ;   in Loop: Header=BB739_20 Depth=1
	s_wait_alu 0xfffe
	s_or_b32 exec_lo, exec_lo, s11
	v_mov_b32_e32 v6, 0
	s_wait_loadcnt_dscnt 0x0
	s_barrier_signal -1
	s_barrier_wait -1
	global_inv scope:SCOPE_SE
	s_and_saveexec_b32 s11, s5
; %bb.391:                              ;   in Loop: Header=BB739_20 Depth=1
	ds_load_b32 v6, v101
; %bb.392:                              ;   in Loop: Header=BB739_20 Depth=1
	s_wait_alu 0xfffe
	s_or_b32 exec_lo, exec_lo, s11
	v_sub_co_u32 v7, s11, v123, 1
	s_wait_dscnt 0x0
	v_add_nc_u32_e32 v5, v6, v5
	s_wait_loadcnt 0x0
	s_barrier_signal -1
	v_cmp_gt_i32_e32 vcc_lo, 0, v7
	s_barrier_wait -1
	global_inv scope:SCOPE_SE
	s_wait_alu 0xfffd
	v_cndmask_b32_e32 v7, v7, v123, vcc_lo
	s_delay_alu instid0(VALU_DEP_1)
	v_lshlrev_b32_e32 v124, 2, v7
	ds_bpermute_b32 v5, v124, v5
	s_and_saveexec_b32 s12, s2
	s_cbranch_execz .LBB739_394
; %bb.393:                              ;   in Loop: Header=BB739_20 Depth=1
	s_wait_dscnt 0x0
	v_cndmask_b32_e64 v5, v5, v6, s11
	s_delay_alu instid0(VALU_DEP_1)
	v_add_nc_u32_e32 v5, s33, v5
	ds_store_b32 v76, v5
.LBB739_394:                            ;   in Loop: Header=BB739_20 Depth=1
	s_wait_alu 0xfffe
	s_or_b32 exec_lo, exec_lo, s12
	s_load_b64 s[12:13], s[42:43], 0x0
	v_lshlrev_b32_e32 v6, 3, v123
	v_or_b32_e32 v125, v123, v99
	s_mov_b32 s56, s53
                                        ; implicit-def: $vgpr8_vgpr9
                                        ; implicit-def: $vgpr10_vgpr11
                                        ; implicit-def: $vgpr12_vgpr13
                                        ; implicit-def: $vgpr14_vgpr15
                                        ; implicit-def: $vgpr16_vgpr17
                                        ; implicit-def: $vgpr18_vgpr19
                                        ; implicit-def: $vgpr20_vgpr21
                                        ; implicit-def: $vgpr22_vgpr23
                                        ; implicit-def: $vgpr24_vgpr25
                                        ; implicit-def: $vgpr26_vgpr27
                                        ; implicit-def: $vgpr28_vgpr29
                                        ; implicit-def: $vgpr30_vgpr31
                                        ; implicit-def: $vgpr32_vgpr33
                                        ; implicit-def: $vgpr34_vgpr35
                                        ; implicit-def: $vgpr146
                                        ; implicit-def: $vgpr147
                                        ; implicit-def: $vgpr148
                                        ; implicit-def: $vgpr149
                                        ; implicit-def: $vgpr150
                                        ; implicit-def: $vgpr151
                                        ; implicit-def: $vgpr152
                                        ; implicit-def: $vgpr153
                                        ; implicit-def: $vgpr154
                                        ; implicit-def: $vgpr155
                                        ; implicit-def: $vgpr156
                                        ; implicit-def: $vgpr157
                                        ; implicit-def: $vgpr158
                                        ; implicit-def: $vgpr159
                                        ; implicit-def: $vgpr160
                                        ; implicit-def: $vgpr161
	s_delay_alu instid0(VALU_DEP_2)
	v_add_co_u32 v126, vcc_lo, v111, v6
	s_wait_alu 0xfffd
	v_add_co_ci_u32_e64 v127, null, 0, v112, vcc_lo
	v_add_co_u32 v143, vcc_lo, v113, v6
	v_or_b32_e32 v128, 32, v125
	v_or_b32_e32 v129, 64, v125
	;; [unrolled: 1-line block ×8, first 2 shown]
	s_wait_kmcnt 0x0
	s_cmp_lt_u32 ttmp7, s13
	v_or_b32_e32 v136, 0x120, v125
	s_cselect_b32 s34, 14, 20
	s_cmp_lt_u32 ttmp9, s12
	s_wait_alu 0xfffe
	s_add_nc_u64 s[14:15], s[42:43], s[34:35]
	s_cselect_b32 s34, 12, 18
	s_load_u16 s15, s[14:15], 0x0
	s_add_nc_u64 s[12:13], s[42:43], s[34:35]
	v_or_b32_e32 v137, 0x140, v125
	s_load_u16 s16, s[12:13], 0x0
	v_cmp_eq_u32_e64 s12, 0, v4
	v_cmp_lt_u32_e64 s13, 1, v4
	v_cmp_lt_u32_e64 s14, 3, v4
	v_or_b32_e32 v138, 0x160, v125
	v_or_b32_e32 v139, 0x180, v125
	;; [unrolled: 1-line block ×5, first 2 shown]
	v_add_co_ci_u32_e64 v144, null, 0, v114, vcc_lo
	s_mov_b32 s34, s33
                                        ; implicit-def: $vgpr6_vgpr7
	s_wait_kmcnt 0x0
	v_mad_u32_u24 v4, v102, s15, v0
	s_wait_dscnt 0x0
	s_delay_alu instid0(VALU_DEP_1) | instskip(NEXT) | instid1(VALU_DEP_1)
	v_mad_co_u64_u32 v[4:5], null, v4, s16, v[1:2]
	v_lshrrev_b32_e32 v4, 3, v4
	s_delay_alu instid0(VALU_DEP_1)
	v_and_b32_e32 v145, 0x1ffffffc, v4
                                        ; implicit-def: $vgpr4_vgpr5
	s_branch .LBB739_396
.LBB739_395:                            ;   in Loop: Header=BB739_396 Depth=2
	s_wait_alu 0xfffe
	s_or_b32 exec_lo, exec_lo, s15
	s_addk_co_i32 s56, 0xf000
	s_cmp_lt_u32 s57, s51
	s_mov_b32 s34, s57
	s_cbranch_scc0 .LBB739_604
.LBB739_396:                            ;   Parent Loop BB739_20 Depth=1
                                        ; =>  This Inner Loop Header: Depth=2
	s_wait_alu 0xfffe
	s_add_co_i32 s57, s34, 0x1000
	s_wait_alu 0xfffe
	s_cmp_gt_u32 s57, s51
	s_cbranch_scc1 .LBB739_398
; %bb.397:                              ;   in Loop: Header=BB739_396 Depth=2
	s_lshl_b64 s[16:17], s[34:35], 3
	s_mov_b32 s15, -1
	s_wait_alu 0xfffe
	v_add_co_u32 v36, vcc_lo, v143, s16
	s_wait_alu 0xfffd
	v_add_co_ci_u32_e64 v37, null, s17, v144, vcc_lo
	s_clause 0xe
	global_load_b64 v[38:39], v[36:37], off
	global_load_b64 v[40:41], v[36:37], off offset:256
	global_load_b64 v[42:43], v[36:37], off offset:512
	;; [unrolled: 1-line block ×14, first 2 shown]
	s_movk_i32 s16, 0x1000
	s_cbranch_execz .LBB739_399
	s_branch .LBB739_430
.LBB739_398:                            ;   in Loop: Header=BB739_396 Depth=2
	s_mov_b32 s15, 0
                                        ; implicit-def: $vgpr38_vgpr39
                                        ; implicit-def: $vgpr40_vgpr41
                                        ; implicit-def: $vgpr42_vgpr43
                                        ; implicit-def: $vgpr46_vgpr47
                                        ; implicit-def: $vgpr52_vgpr53
                                        ; implicit-def: $vgpr56_vgpr57
                                        ; implicit-def: $vgpr60_vgpr61
                                        ; implicit-def: $vgpr64_vgpr65
                                        ; implicit-def: $vgpr66_vgpr67
                                        ; implicit-def: $vgpr62_vgpr63
                                        ; implicit-def: $vgpr58_vgpr59
                                        ; implicit-def: $vgpr54_vgpr55
                                        ; implicit-def: $vgpr50_vgpr51
                                        ; implicit-def: $vgpr48_vgpr49
                                        ; implicit-def: $vgpr44_vgpr45
	s_movk_i32 s16, 0x1000
.LBB739_399:                            ;   in Loop: Header=BB739_396 Depth=2
	s_wait_loadcnt 0xd
	v_dual_mov_b32 v40, v2 :: v_dual_mov_b32 v41, v3
	s_lshl_b64 s[16:17], s[34:35], 3
	s_mov_b32 s15, exec_lo
	s_wait_alu 0xfffe
	v_add_co_u32 v36, vcc_lo, v143, s16
	s_wait_alu 0xfffd
	v_add_co_ci_u32_e64 v37, null, s17, v144, vcc_lo
	v_dual_mov_b32 v38, v40 :: v_dual_mov_b32 v39, v41
	v_cmpx_gt_u32_e64 s56, v125
	s_cbranch_execz .LBB739_401
; %bb.400:                              ;   in Loop: Header=BB739_396 Depth=2
	global_load_b64 v[38:39], v[36:37], off
.LBB739_401:                            ;   in Loop: Header=BB739_396 Depth=2
	s_or_b32 exec_lo, exec_lo, s15
	s_delay_alu instid0(SALU_CYCLE_1)
	s_mov_b32 s15, exec_lo
	v_cmpx_gt_u32_e64 s56, v128
	s_cbranch_execz .LBB739_403
; %bb.402:                              ;   in Loop: Header=BB739_396 Depth=2
	global_load_b64 v[40:41], v[36:37], off offset:256
.LBB739_403:                            ;   in Loop: Header=BB739_396 Depth=2
	s_wait_alu 0xfffe
	s_or_b32 exec_lo, exec_lo, s15
	s_wait_loadcnt 0xc
	v_dual_mov_b32 v43, v3 :: v_dual_mov_b32 v42, v2
	s_mov_b32 s15, exec_lo
	v_cmpx_gt_u32_e64 s56, v129
	s_cbranch_execz .LBB739_405
; %bb.404:                              ;   in Loop: Header=BB739_396 Depth=2
	global_load_b64 v[42:43], v[36:37], off offset:512
.LBB739_405:                            ;   in Loop: Header=BB739_396 Depth=2
	s_wait_alu 0xfffe
	s_or_b32 exec_lo, exec_lo, s15
	s_wait_loadcnt 0xb
	v_dual_mov_b32 v47, v3 :: v_dual_mov_b32 v46, v2
	;; [unrolled: 10-line block ×13, first 2 shown]
	s_mov_b32 s15, exec_lo
	v_cmpx_gt_u32_e64 s56, v141
	s_cbranch_execz .LBB739_429
; %bb.428:                              ;   in Loop: Header=BB739_396 Depth=2
	global_load_b64 v[44:45], v[36:37], off offset:3584
.LBB739_429:                            ;   in Loop: Header=BB739_396 Depth=2
	s_wait_alu 0xfffe
	s_or_b32 exec_lo, exec_lo, s15
	v_cmp_gt_u32_e64 s15, s56, v142
	s_sub_co_i32 s16, s51, s34
.LBB739_430:                            ;   in Loop: Header=BB739_396 Depth=2
	v_mov_b32_e32 v36, -1
	v_dual_mov_b32 v37, -1 :: v_dual_mov_b32 v162, s56
	s_and_saveexec_b32 s17, s15
	s_cbranch_execz .LBB739_432
; %bb.431:                              ;   in Loop: Header=BB739_396 Depth=2
	s_lshl_b64 s[18:19], s[34:35], 3
	s_wait_alu 0xfffe
	v_mov_b32_e32 v162, s16
	v_add_co_u32 v36, vcc_lo, v143, s18
	s_wait_alu 0xfffd
	v_add_co_ci_u32_e64 v37, null, s19, v144, vcc_lo
	global_load_b64 v[36:37], v[36:37], off offset:3840
	s_wait_loadcnt 0x0
	v_xor_b32_e32 v37, 0x7fffffff, v37
	v_not_b32_e32 v36, v36
.LBB739_432:                            ;   in Loop: Header=BB739_396 Depth=2
	s_wait_alu 0xfffe
	s_or_b32 exec_lo, exec_lo, s17
	s_wait_loadcnt 0xe
	v_xor_b32_e32 v39, 0x7fffffff, v39
	v_not_b32_e32 v38, v38
	v_add_nc_u32_e32 v165, 0x420, v100
	v_add_nc_u32_e32 v166, 0x428, v100
	;; [unrolled: 1-line block ×3, first 2 shown]
	s_delay_alu instid0(VALU_DEP_4) | instskip(NEXT) | instid1(VALU_DEP_1)
	v_lshrrev_b64 v[68:69], s48, v[38:39]
	v_and_b32_e32 v69, s55, v68
	s_delay_alu instid0(VALU_DEP_1)
	v_and_b32_e32 v68, 1, v69
	v_lshlrev_b32_e32 v70, 30, v69
	v_lshlrev_b32_e32 v71, 29, v69
	;; [unrolled: 1-line block ×4, first 2 shown]
	v_add_co_u32 v68, s15, v68, -1
	s_wait_alu 0xf1ff
	v_cndmask_b32_e64 v73, 0, 1, s15
	v_not_b32_e32 v164, v70
	v_cmp_gt_i32_e64 s15, 0, v70
	v_not_b32_e32 v70, v71
	v_lshlrev_b32_e32 v75, 26, v69
	v_cmp_ne_u32_e32 vcc_lo, 0, v73
	v_ashrrev_i32_e32 v164, 31, v164
	v_lshlrev_b32_e32 v163, 25, v69
	v_ashrrev_i32_e32 v70, 31, v70
	v_lshlrev_b32_e32 v73, 24, v69
	s_wait_alu 0xfffd
	v_xor_b32_e32 v68, vcc_lo, v68
	v_cmp_gt_i32_e32 vcc_lo, 0, v71
	v_not_b32_e32 v71, v72
	s_wait_alu 0xf1ff
	v_xor_b32_e32 v164, s15, v164
	v_cmp_gt_i32_e64 s15, 0, v72
	v_and_b32_e32 v68, exec_lo, v68
	v_not_b32_e32 v72, v74
	v_ashrrev_i32_e32 v71, 31, v71
	s_wait_alu 0xfffd
	v_xor_b32_e32 v70, vcc_lo, v70
	v_cmp_gt_i32_e32 vcc_lo, 0, v74
	v_and_b32_e32 v68, v68, v164
	v_not_b32_e32 v74, v75
	v_ashrrev_i32_e32 v72, 31, v72
	s_wait_alu 0xf1ff
	v_xor_b32_e32 v71, s15, v71
	v_cmp_gt_i32_e64 s15, 0, v75
	v_and_b32_e32 v68, v68, v70
	v_not_b32_e32 v70, v163
	v_ashrrev_i32_e32 v74, 31, v74
	s_wait_alu 0xfffd
	v_xor_b32_e32 v72, vcc_lo, v72
	v_cmp_gt_i32_e32 vcc_lo, 0, v163
	v_and_b32_e32 v68, v68, v71
	v_not_b32_e32 v71, v73
	v_ashrrev_i32_e32 v70, 31, v70
	s_wait_alu 0xf1ff
	v_xor_b32_e32 v74, s15, v74
	v_cmp_gt_i32_e64 s15, 0, v73
	v_and_b32_e32 v68, v68, v72
	v_ashrrev_i32_e32 v71, 31, v71
	s_wait_alu 0xfffd
	v_xor_b32_e32 v70, vcc_lo, v70
	v_mul_u32_u24_e32 v69, 36, v69
	v_add_nc_u32_e32 v164, 0x438, v100
	v_and_b32_e32 v68, v68, v74
	s_wait_alu 0xf1ff
	v_xor_b32_e32 v71, s15, v71
	v_add_nc_u32_e32 v168, v145, v69
	ds_store_2addr_b32 v164, v2, v2 offset1:1
	v_and_b32_e32 v68, v68, v70
	ds_store_2addr_b32 v165, v2, v2 offset1:1
	ds_store_2addr_b32 v166, v2, v2 offset1:1
	;; [unrolled: 1-line block ×3, first 2 shown]
	ds_store_b32 v100, v2 offset:1088
	s_wait_loadcnt_dscnt 0x0
	s_barrier_signal -1
	s_barrier_wait -1
	v_and_b32_e32 v68, v68, v71
	global_inv scope:SCOPE_SE
	; wave barrier
	v_mbcnt_lo_u32_b32 v163, v68, 0
	v_cmp_ne_u32_e64 s15, 0, v68
	s_delay_alu instid0(VALU_DEP_2)
	v_cmp_eq_u32_e32 vcc_lo, 0, v163
	s_and_b32 s16, s15, vcc_lo
	s_wait_alu 0xfffe
	s_and_saveexec_b32 s15, s16
; %bb.433:                              ;   in Loop: Header=BB739_396 Depth=2
	v_bcnt_u32_b32 v68, v68, 0
	ds_store_b32 v168, v68 offset:1056
; %bb.434:                              ;   in Loop: Header=BB739_396 Depth=2
	s_wait_alu 0xfffe
	s_or_b32 exec_lo, exec_lo, s15
	v_xor_b32_e32 v41, 0x7fffffff, v41
	v_not_b32_e32 v40, v40
	; wave barrier
	s_delay_alu instid0(VALU_DEP_1) | instskip(NEXT) | instid1(VALU_DEP_1)
	v_lshrrev_b64 v[68:69], s48, v[40:41]
	v_and_b32_e32 v69, s55, v68
	s_delay_alu instid0(VALU_DEP_1)
	v_and_b32_e32 v68, 1, v69
	v_lshlrev_b32_e32 v70, 30, v69
	v_lshlrev_b32_e32 v71, 29, v69
	;; [unrolled: 1-line block ×4, first 2 shown]
	v_add_co_u32 v68, s15, v68, -1
	s_wait_alu 0xf1ff
	v_cndmask_b32_e64 v73, 0, 1, s15
	v_not_b32_e32 v170, v70
	v_cmp_gt_i32_e64 s15, 0, v70
	v_not_b32_e32 v70, v71
	v_lshlrev_b32_e32 v75, 26, v69
	v_cmp_ne_u32_e32 vcc_lo, 0, v73
	v_ashrrev_i32_e32 v170, 31, v170
	v_lshlrev_b32_e32 v169, 25, v69
	v_ashrrev_i32_e32 v70, 31, v70
	v_lshlrev_b32_e32 v73, 24, v69
	s_wait_alu 0xfffd
	v_xor_b32_e32 v68, vcc_lo, v68
	v_cmp_gt_i32_e32 vcc_lo, 0, v71
	v_not_b32_e32 v71, v72
	s_wait_alu 0xf1ff
	v_xor_b32_e32 v170, s15, v170
	v_cmp_gt_i32_e64 s15, 0, v72
	v_and_b32_e32 v68, exec_lo, v68
	v_not_b32_e32 v72, v74
	v_ashrrev_i32_e32 v71, 31, v71
	s_wait_alu 0xfffd
	v_xor_b32_e32 v70, vcc_lo, v70
	v_cmp_gt_i32_e32 vcc_lo, 0, v74
	v_and_b32_e32 v68, v68, v170
	v_not_b32_e32 v74, v75
	v_ashrrev_i32_e32 v72, 31, v72
	s_wait_alu 0xf1ff
	v_xor_b32_e32 v71, s15, v71
	v_cmp_gt_i32_e64 s15, 0, v75
	v_and_b32_e32 v68, v68, v70
	v_not_b32_e32 v70, v169
	v_ashrrev_i32_e32 v74, 31, v74
	s_wait_alu 0xfffd
	v_xor_b32_e32 v72, vcc_lo, v72
	v_cmp_gt_i32_e32 vcc_lo, 0, v169
	v_and_b32_e32 v68, v68, v71
	v_not_b32_e32 v71, v73
	v_ashrrev_i32_e32 v70, 31, v70
	s_wait_alu 0xf1ff
	v_xor_b32_e32 v74, s15, v74
	v_cmp_gt_i32_e64 s15, 0, v73
	v_and_b32_e32 v68, v68, v72
	v_ashrrev_i32_e32 v71, 31, v71
	s_wait_alu 0xfffd
	v_xor_b32_e32 v70, vcc_lo, v70
	v_mad_u32_u24 v72, v69, 36, v145
	v_mul_u32_u24_e32 v69, 36, v69
	v_and_b32_e32 v68, v68, v74
	s_wait_alu 0xf1ff
	v_xor_b32_e32 v71, s15, v71
	ds_load_b32 v169, v72 offset:1056
	v_add_nc_u32_e32 v171, v145, v69
	v_and_b32_e32 v68, v68, v70
	; wave barrier
	s_delay_alu instid0(VALU_DEP_1) | instskip(NEXT) | instid1(VALU_DEP_1)
	v_and_b32_e32 v68, v68, v71
	v_mbcnt_lo_u32_b32 v170, v68, 0
	v_cmp_ne_u32_e64 s15, 0, v68
	s_delay_alu instid0(VALU_DEP_2)
	v_cmp_eq_u32_e32 vcc_lo, 0, v170
	s_and_b32 s16, s15, vcc_lo
	s_wait_alu 0xfffe
	s_and_saveexec_b32 s15, s16
	s_cbranch_execz .LBB739_436
; %bb.435:                              ;   in Loop: Header=BB739_396 Depth=2
	s_wait_dscnt 0x0
	v_bcnt_u32_b32 v68, v68, v169
	ds_store_b32 v171, v68 offset:1056
.LBB739_436:                            ;   in Loop: Header=BB739_396 Depth=2
	s_wait_alu 0xfffe
	s_or_b32 exec_lo, exec_lo, s15
	v_xor_b32_e32 v43, 0x7fffffff, v43
	v_not_b32_e32 v42, v42
	; wave barrier
	s_delay_alu instid0(VALU_DEP_1) | instskip(NEXT) | instid1(VALU_DEP_1)
	v_lshrrev_b64 v[68:69], s48, v[42:43]
	v_and_b32_e32 v69, s55, v68
	s_delay_alu instid0(VALU_DEP_1)
	v_and_b32_e32 v68, 1, v69
	v_lshlrev_b32_e32 v70, 30, v69
	v_lshlrev_b32_e32 v71, 29, v69
	;; [unrolled: 1-line block ×4, first 2 shown]
	v_add_co_u32 v68, s15, v68, -1
	s_wait_alu 0xf1ff
	v_cndmask_b32_e64 v73, 0, 1, s15
	v_not_b32_e32 v173, v70
	v_cmp_gt_i32_e64 s15, 0, v70
	v_not_b32_e32 v70, v71
	v_lshlrev_b32_e32 v75, 26, v69
	v_cmp_ne_u32_e32 vcc_lo, 0, v73
	v_ashrrev_i32_e32 v173, 31, v173
	v_lshlrev_b32_e32 v172, 25, v69
	v_ashrrev_i32_e32 v70, 31, v70
	v_lshlrev_b32_e32 v73, 24, v69
	s_wait_alu 0xfffd
	v_xor_b32_e32 v68, vcc_lo, v68
	v_cmp_gt_i32_e32 vcc_lo, 0, v71
	v_not_b32_e32 v71, v72
	s_wait_alu 0xf1ff
	v_xor_b32_e32 v173, s15, v173
	v_cmp_gt_i32_e64 s15, 0, v72
	v_and_b32_e32 v68, exec_lo, v68
	v_not_b32_e32 v72, v74
	v_ashrrev_i32_e32 v71, 31, v71
	s_wait_alu 0xfffd
	v_xor_b32_e32 v70, vcc_lo, v70
	v_cmp_gt_i32_e32 vcc_lo, 0, v74
	v_and_b32_e32 v68, v68, v173
	v_not_b32_e32 v74, v75
	v_ashrrev_i32_e32 v72, 31, v72
	s_wait_alu 0xf1ff
	v_xor_b32_e32 v71, s15, v71
	v_cmp_gt_i32_e64 s15, 0, v75
	v_and_b32_e32 v68, v68, v70
	v_not_b32_e32 v70, v172
	v_ashrrev_i32_e32 v74, 31, v74
	s_wait_alu 0xfffd
	v_xor_b32_e32 v72, vcc_lo, v72
	v_cmp_gt_i32_e32 vcc_lo, 0, v172
	v_and_b32_e32 v68, v68, v71
	v_not_b32_e32 v71, v73
	v_ashrrev_i32_e32 v70, 31, v70
	s_wait_alu 0xf1ff
	v_xor_b32_e32 v74, s15, v74
	v_cmp_gt_i32_e64 s15, 0, v73
	v_and_b32_e32 v68, v68, v72
	v_ashrrev_i32_e32 v71, 31, v71
	s_wait_alu 0xfffd
	v_xor_b32_e32 v70, vcc_lo, v70
	v_mad_u32_u24 v72, v69, 36, v145
	v_mul_u32_u24_e32 v69, 36, v69
	v_and_b32_e32 v68, v68, v74
	s_wait_alu 0xf1ff
	v_xor_b32_e32 v71, s15, v71
	ds_load_b32 v172, v72 offset:1056
	v_add_nc_u32_e32 v174, v145, v69
	v_and_b32_e32 v68, v68, v70
	; wave barrier
	s_delay_alu instid0(VALU_DEP_1) | instskip(NEXT) | instid1(VALU_DEP_1)
	v_and_b32_e32 v68, v68, v71
	v_mbcnt_lo_u32_b32 v173, v68, 0
	v_cmp_ne_u32_e64 s15, 0, v68
	s_delay_alu instid0(VALU_DEP_2)
	v_cmp_eq_u32_e32 vcc_lo, 0, v173
	s_and_b32 s16, s15, vcc_lo
	s_wait_alu 0xfffe
	s_and_saveexec_b32 s15, s16
	s_cbranch_execz .LBB739_438
; %bb.437:                              ;   in Loop: Header=BB739_396 Depth=2
	s_wait_dscnt 0x0
	v_bcnt_u32_b32 v68, v68, v172
	ds_store_b32 v174, v68 offset:1056
.LBB739_438:                            ;   in Loop: Header=BB739_396 Depth=2
	s_wait_alu 0xfffe
	s_or_b32 exec_lo, exec_lo, s15
	v_xor_b32_e32 v47, 0x7fffffff, v47
	v_not_b32_e32 v46, v46
	; wave barrier
	s_delay_alu instid0(VALU_DEP_1) | instskip(NEXT) | instid1(VALU_DEP_1)
	v_lshrrev_b64 v[68:69], s48, v[46:47]
	v_and_b32_e32 v69, s55, v68
	s_delay_alu instid0(VALU_DEP_1)
	v_and_b32_e32 v68, 1, v69
	v_lshlrev_b32_e32 v70, 30, v69
	v_lshlrev_b32_e32 v71, 29, v69
	;; [unrolled: 1-line block ×4, first 2 shown]
	v_add_co_u32 v68, s15, v68, -1
	s_wait_alu 0xf1ff
	v_cndmask_b32_e64 v73, 0, 1, s15
	v_not_b32_e32 v176, v70
	v_cmp_gt_i32_e64 s15, 0, v70
	v_not_b32_e32 v70, v71
	v_lshlrev_b32_e32 v75, 26, v69
	v_cmp_ne_u32_e32 vcc_lo, 0, v73
	v_ashrrev_i32_e32 v176, 31, v176
	v_lshlrev_b32_e32 v175, 25, v69
	v_ashrrev_i32_e32 v70, 31, v70
	v_lshlrev_b32_e32 v73, 24, v69
	s_wait_alu 0xfffd
	v_xor_b32_e32 v68, vcc_lo, v68
	v_cmp_gt_i32_e32 vcc_lo, 0, v71
	v_not_b32_e32 v71, v72
	s_wait_alu 0xf1ff
	v_xor_b32_e32 v176, s15, v176
	v_cmp_gt_i32_e64 s15, 0, v72
	v_and_b32_e32 v68, exec_lo, v68
	v_not_b32_e32 v72, v74
	v_ashrrev_i32_e32 v71, 31, v71
	s_wait_alu 0xfffd
	v_xor_b32_e32 v70, vcc_lo, v70
	v_cmp_gt_i32_e32 vcc_lo, 0, v74
	v_and_b32_e32 v68, v68, v176
	v_not_b32_e32 v74, v75
	v_ashrrev_i32_e32 v72, 31, v72
	s_wait_alu 0xf1ff
	v_xor_b32_e32 v71, s15, v71
	v_cmp_gt_i32_e64 s15, 0, v75
	v_and_b32_e32 v68, v68, v70
	v_not_b32_e32 v70, v175
	v_ashrrev_i32_e32 v74, 31, v74
	s_wait_alu 0xfffd
	v_xor_b32_e32 v72, vcc_lo, v72
	v_cmp_gt_i32_e32 vcc_lo, 0, v175
	v_and_b32_e32 v68, v68, v71
	v_not_b32_e32 v71, v73
	v_ashrrev_i32_e32 v70, 31, v70
	s_wait_alu 0xf1ff
	v_xor_b32_e32 v74, s15, v74
	v_cmp_gt_i32_e64 s15, 0, v73
	v_and_b32_e32 v68, v68, v72
	v_ashrrev_i32_e32 v71, 31, v71
	s_wait_alu 0xfffd
	v_xor_b32_e32 v70, vcc_lo, v70
	v_mad_u32_u24 v72, v69, 36, v145
	v_mul_u32_u24_e32 v69, 36, v69
	v_and_b32_e32 v68, v68, v74
	s_wait_alu 0xf1ff
	v_xor_b32_e32 v71, s15, v71
	ds_load_b32 v175, v72 offset:1056
	v_add_nc_u32_e32 v177, v145, v69
	v_and_b32_e32 v68, v68, v70
	; wave barrier
	s_delay_alu instid0(VALU_DEP_1) | instskip(NEXT) | instid1(VALU_DEP_1)
	v_and_b32_e32 v68, v68, v71
	v_mbcnt_lo_u32_b32 v176, v68, 0
	v_cmp_ne_u32_e64 s15, 0, v68
	s_delay_alu instid0(VALU_DEP_2)
	v_cmp_eq_u32_e32 vcc_lo, 0, v176
	s_and_b32 s16, s15, vcc_lo
	s_wait_alu 0xfffe
	s_and_saveexec_b32 s15, s16
	s_cbranch_execz .LBB739_440
; %bb.439:                              ;   in Loop: Header=BB739_396 Depth=2
	s_wait_dscnt 0x0
	v_bcnt_u32_b32 v68, v68, v175
	ds_store_b32 v177, v68 offset:1056
.LBB739_440:                            ;   in Loop: Header=BB739_396 Depth=2
	s_wait_alu 0xfffe
	s_or_b32 exec_lo, exec_lo, s15
	v_xor_b32_e32 v53, 0x7fffffff, v53
	v_not_b32_e32 v52, v52
	; wave barrier
	s_delay_alu instid0(VALU_DEP_1) | instskip(NEXT) | instid1(VALU_DEP_1)
	v_lshrrev_b64 v[68:69], s48, v[52:53]
	v_and_b32_e32 v69, s55, v68
	s_delay_alu instid0(VALU_DEP_1)
	v_and_b32_e32 v68, 1, v69
	v_lshlrev_b32_e32 v70, 30, v69
	v_lshlrev_b32_e32 v71, 29, v69
	;; [unrolled: 1-line block ×4, first 2 shown]
	v_add_co_u32 v68, s15, v68, -1
	s_wait_alu 0xf1ff
	v_cndmask_b32_e64 v73, 0, 1, s15
	v_not_b32_e32 v179, v70
	v_cmp_gt_i32_e64 s15, 0, v70
	v_not_b32_e32 v70, v71
	v_lshlrev_b32_e32 v75, 26, v69
	v_cmp_ne_u32_e32 vcc_lo, 0, v73
	v_ashrrev_i32_e32 v179, 31, v179
	v_lshlrev_b32_e32 v178, 25, v69
	v_ashrrev_i32_e32 v70, 31, v70
	v_lshlrev_b32_e32 v73, 24, v69
	s_wait_alu 0xfffd
	v_xor_b32_e32 v68, vcc_lo, v68
	v_cmp_gt_i32_e32 vcc_lo, 0, v71
	v_not_b32_e32 v71, v72
	s_wait_alu 0xf1ff
	v_xor_b32_e32 v179, s15, v179
	v_cmp_gt_i32_e64 s15, 0, v72
	v_and_b32_e32 v68, exec_lo, v68
	v_not_b32_e32 v72, v74
	v_ashrrev_i32_e32 v71, 31, v71
	s_wait_alu 0xfffd
	v_xor_b32_e32 v70, vcc_lo, v70
	v_cmp_gt_i32_e32 vcc_lo, 0, v74
	v_and_b32_e32 v68, v68, v179
	v_not_b32_e32 v74, v75
	v_ashrrev_i32_e32 v72, 31, v72
	s_wait_alu 0xf1ff
	v_xor_b32_e32 v71, s15, v71
	v_cmp_gt_i32_e64 s15, 0, v75
	v_and_b32_e32 v68, v68, v70
	v_not_b32_e32 v70, v178
	v_ashrrev_i32_e32 v74, 31, v74
	s_wait_alu 0xfffd
	v_xor_b32_e32 v72, vcc_lo, v72
	v_cmp_gt_i32_e32 vcc_lo, 0, v178
	v_and_b32_e32 v68, v68, v71
	v_not_b32_e32 v71, v73
	v_ashrrev_i32_e32 v70, 31, v70
	s_wait_alu 0xf1ff
	v_xor_b32_e32 v74, s15, v74
	v_cmp_gt_i32_e64 s15, 0, v73
	v_and_b32_e32 v68, v68, v72
	v_ashrrev_i32_e32 v71, 31, v71
	s_wait_alu 0xfffd
	v_xor_b32_e32 v70, vcc_lo, v70
	v_mad_u32_u24 v72, v69, 36, v145
	v_mul_u32_u24_e32 v69, 36, v69
	v_and_b32_e32 v68, v68, v74
	s_wait_alu 0xf1ff
	v_xor_b32_e32 v71, s15, v71
	ds_load_b32 v178, v72 offset:1056
	v_add_nc_u32_e32 v180, v145, v69
	v_and_b32_e32 v68, v68, v70
	; wave barrier
	s_delay_alu instid0(VALU_DEP_1) | instskip(NEXT) | instid1(VALU_DEP_1)
	v_and_b32_e32 v68, v68, v71
	v_mbcnt_lo_u32_b32 v179, v68, 0
	v_cmp_ne_u32_e64 s15, 0, v68
	s_delay_alu instid0(VALU_DEP_2)
	v_cmp_eq_u32_e32 vcc_lo, 0, v179
	s_and_b32 s16, s15, vcc_lo
	s_wait_alu 0xfffe
	s_and_saveexec_b32 s15, s16
	s_cbranch_execz .LBB739_442
; %bb.441:                              ;   in Loop: Header=BB739_396 Depth=2
	s_wait_dscnt 0x0
	v_bcnt_u32_b32 v68, v68, v178
	ds_store_b32 v180, v68 offset:1056
.LBB739_442:                            ;   in Loop: Header=BB739_396 Depth=2
	s_wait_alu 0xfffe
	s_or_b32 exec_lo, exec_lo, s15
	v_xor_b32_e32 v57, 0x7fffffff, v57
	v_not_b32_e32 v56, v56
	; wave barrier
	s_delay_alu instid0(VALU_DEP_1) | instskip(NEXT) | instid1(VALU_DEP_1)
	v_lshrrev_b64 v[68:69], s48, v[56:57]
	v_and_b32_e32 v69, s55, v68
	s_delay_alu instid0(VALU_DEP_1)
	v_and_b32_e32 v68, 1, v69
	v_lshlrev_b32_e32 v70, 30, v69
	v_lshlrev_b32_e32 v71, 29, v69
	;; [unrolled: 1-line block ×4, first 2 shown]
	v_add_co_u32 v68, s15, v68, -1
	s_wait_alu 0xf1ff
	v_cndmask_b32_e64 v73, 0, 1, s15
	v_not_b32_e32 v182, v70
	v_cmp_gt_i32_e64 s15, 0, v70
	v_not_b32_e32 v70, v71
	v_lshlrev_b32_e32 v75, 26, v69
	v_cmp_ne_u32_e32 vcc_lo, 0, v73
	v_ashrrev_i32_e32 v182, 31, v182
	v_lshlrev_b32_e32 v181, 25, v69
	v_ashrrev_i32_e32 v70, 31, v70
	v_lshlrev_b32_e32 v73, 24, v69
	s_wait_alu 0xfffd
	v_xor_b32_e32 v68, vcc_lo, v68
	v_cmp_gt_i32_e32 vcc_lo, 0, v71
	v_not_b32_e32 v71, v72
	s_wait_alu 0xf1ff
	v_xor_b32_e32 v182, s15, v182
	v_cmp_gt_i32_e64 s15, 0, v72
	v_and_b32_e32 v68, exec_lo, v68
	v_not_b32_e32 v72, v74
	v_ashrrev_i32_e32 v71, 31, v71
	s_wait_alu 0xfffd
	v_xor_b32_e32 v70, vcc_lo, v70
	v_cmp_gt_i32_e32 vcc_lo, 0, v74
	v_and_b32_e32 v68, v68, v182
	v_not_b32_e32 v74, v75
	v_ashrrev_i32_e32 v72, 31, v72
	s_wait_alu 0xf1ff
	v_xor_b32_e32 v71, s15, v71
	v_cmp_gt_i32_e64 s15, 0, v75
	v_and_b32_e32 v68, v68, v70
	v_not_b32_e32 v70, v181
	v_ashrrev_i32_e32 v74, 31, v74
	s_wait_alu 0xfffd
	v_xor_b32_e32 v72, vcc_lo, v72
	v_cmp_gt_i32_e32 vcc_lo, 0, v181
	v_and_b32_e32 v68, v68, v71
	v_not_b32_e32 v71, v73
	v_ashrrev_i32_e32 v70, 31, v70
	s_wait_alu 0xf1ff
	v_xor_b32_e32 v74, s15, v74
	v_cmp_gt_i32_e64 s15, 0, v73
	v_and_b32_e32 v68, v68, v72
	v_ashrrev_i32_e32 v71, 31, v71
	s_wait_alu 0xfffd
	v_xor_b32_e32 v70, vcc_lo, v70
	v_mad_u32_u24 v72, v69, 36, v145
	v_mul_u32_u24_e32 v69, 36, v69
	v_and_b32_e32 v68, v68, v74
	s_wait_alu 0xf1ff
	v_xor_b32_e32 v71, s15, v71
	ds_load_b32 v181, v72 offset:1056
	v_add_nc_u32_e32 v183, v145, v69
	v_and_b32_e32 v68, v68, v70
	; wave barrier
	s_delay_alu instid0(VALU_DEP_1) | instskip(NEXT) | instid1(VALU_DEP_1)
	v_and_b32_e32 v68, v68, v71
	v_mbcnt_lo_u32_b32 v182, v68, 0
	v_cmp_ne_u32_e64 s15, 0, v68
	s_delay_alu instid0(VALU_DEP_2)
	v_cmp_eq_u32_e32 vcc_lo, 0, v182
	s_and_b32 s16, s15, vcc_lo
	s_wait_alu 0xfffe
	s_and_saveexec_b32 s15, s16
	s_cbranch_execz .LBB739_444
; %bb.443:                              ;   in Loop: Header=BB739_396 Depth=2
	s_wait_dscnt 0x0
	v_bcnt_u32_b32 v68, v68, v181
	ds_store_b32 v183, v68 offset:1056
.LBB739_444:                            ;   in Loop: Header=BB739_396 Depth=2
	s_wait_alu 0xfffe
	s_or_b32 exec_lo, exec_lo, s15
	v_xor_b32_e32 v61, 0x7fffffff, v61
	v_not_b32_e32 v60, v60
	; wave barrier
	s_delay_alu instid0(VALU_DEP_1) | instskip(NEXT) | instid1(VALU_DEP_1)
	v_lshrrev_b64 v[68:69], s48, v[60:61]
	v_and_b32_e32 v69, s55, v68
	s_delay_alu instid0(VALU_DEP_1)
	v_and_b32_e32 v68, 1, v69
	v_lshlrev_b32_e32 v70, 30, v69
	v_lshlrev_b32_e32 v71, 29, v69
	v_lshlrev_b32_e32 v72, 28, v69
	v_lshlrev_b32_e32 v74, 27, v69
	v_add_co_u32 v68, s15, v68, -1
	s_wait_alu 0xf1ff
	v_cndmask_b32_e64 v73, 0, 1, s15
	v_not_b32_e32 v185, v70
	v_cmp_gt_i32_e64 s15, 0, v70
	v_not_b32_e32 v70, v71
	v_lshlrev_b32_e32 v75, 26, v69
	v_cmp_ne_u32_e32 vcc_lo, 0, v73
	v_ashrrev_i32_e32 v185, 31, v185
	v_lshlrev_b32_e32 v184, 25, v69
	v_ashrrev_i32_e32 v70, 31, v70
	v_lshlrev_b32_e32 v73, 24, v69
	s_wait_alu 0xfffd
	v_xor_b32_e32 v68, vcc_lo, v68
	v_cmp_gt_i32_e32 vcc_lo, 0, v71
	v_not_b32_e32 v71, v72
	s_wait_alu 0xf1ff
	v_xor_b32_e32 v185, s15, v185
	v_cmp_gt_i32_e64 s15, 0, v72
	v_and_b32_e32 v68, exec_lo, v68
	v_not_b32_e32 v72, v74
	v_ashrrev_i32_e32 v71, 31, v71
	s_wait_alu 0xfffd
	v_xor_b32_e32 v70, vcc_lo, v70
	v_cmp_gt_i32_e32 vcc_lo, 0, v74
	v_and_b32_e32 v68, v68, v185
	v_not_b32_e32 v74, v75
	v_ashrrev_i32_e32 v72, 31, v72
	s_wait_alu 0xf1ff
	v_xor_b32_e32 v71, s15, v71
	v_cmp_gt_i32_e64 s15, 0, v75
	v_and_b32_e32 v68, v68, v70
	v_not_b32_e32 v70, v184
	v_ashrrev_i32_e32 v74, 31, v74
	s_wait_alu 0xfffd
	v_xor_b32_e32 v72, vcc_lo, v72
	v_cmp_gt_i32_e32 vcc_lo, 0, v184
	v_and_b32_e32 v68, v68, v71
	v_not_b32_e32 v71, v73
	v_ashrrev_i32_e32 v70, 31, v70
	s_wait_alu 0xf1ff
	v_xor_b32_e32 v74, s15, v74
	v_cmp_gt_i32_e64 s15, 0, v73
	v_and_b32_e32 v68, v68, v72
	v_ashrrev_i32_e32 v71, 31, v71
	s_wait_alu 0xfffd
	v_xor_b32_e32 v70, vcc_lo, v70
	v_mad_u32_u24 v72, v69, 36, v145
	v_mul_u32_u24_e32 v69, 36, v69
	v_and_b32_e32 v68, v68, v74
	s_wait_alu 0xf1ff
	v_xor_b32_e32 v71, s15, v71
	ds_load_b32 v184, v72 offset:1056
	v_add_nc_u32_e32 v186, v145, v69
	v_and_b32_e32 v68, v68, v70
	; wave barrier
	s_delay_alu instid0(VALU_DEP_1) | instskip(NEXT) | instid1(VALU_DEP_1)
	v_and_b32_e32 v68, v68, v71
	v_mbcnt_lo_u32_b32 v185, v68, 0
	v_cmp_ne_u32_e64 s15, 0, v68
	s_delay_alu instid0(VALU_DEP_2)
	v_cmp_eq_u32_e32 vcc_lo, 0, v185
	s_and_b32 s16, s15, vcc_lo
	s_wait_alu 0xfffe
	s_and_saveexec_b32 s15, s16
	s_cbranch_execz .LBB739_446
; %bb.445:                              ;   in Loop: Header=BB739_396 Depth=2
	s_wait_dscnt 0x0
	v_bcnt_u32_b32 v68, v68, v184
	ds_store_b32 v186, v68 offset:1056
.LBB739_446:                            ;   in Loop: Header=BB739_396 Depth=2
	s_wait_alu 0xfffe
	s_or_b32 exec_lo, exec_lo, s15
	v_xor_b32_e32 v65, 0x7fffffff, v65
	v_not_b32_e32 v64, v64
	; wave barrier
	s_delay_alu instid0(VALU_DEP_1) | instskip(NEXT) | instid1(VALU_DEP_1)
	v_lshrrev_b64 v[68:69], s48, v[64:65]
	v_and_b32_e32 v69, s55, v68
	s_delay_alu instid0(VALU_DEP_1)
	v_and_b32_e32 v68, 1, v69
	v_lshlrev_b32_e32 v70, 30, v69
	v_lshlrev_b32_e32 v71, 29, v69
	;; [unrolled: 1-line block ×4, first 2 shown]
	v_add_co_u32 v68, s15, v68, -1
	s_wait_alu 0xf1ff
	v_cndmask_b32_e64 v73, 0, 1, s15
	v_not_b32_e32 v188, v70
	v_cmp_gt_i32_e64 s15, 0, v70
	v_not_b32_e32 v70, v71
	v_lshlrev_b32_e32 v75, 26, v69
	v_cmp_ne_u32_e32 vcc_lo, 0, v73
	v_ashrrev_i32_e32 v188, 31, v188
	v_lshlrev_b32_e32 v187, 25, v69
	v_ashrrev_i32_e32 v70, 31, v70
	v_lshlrev_b32_e32 v73, 24, v69
	s_wait_alu 0xfffd
	v_xor_b32_e32 v68, vcc_lo, v68
	v_cmp_gt_i32_e32 vcc_lo, 0, v71
	v_not_b32_e32 v71, v72
	s_wait_alu 0xf1ff
	v_xor_b32_e32 v188, s15, v188
	v_cmp_gt_i32_e64 s15, 0, v72
	v_and_b32_e32 v68, exec_lo, v68
	v_not_b32_e32 v72, v74
	v_ashrrev_i32_e32 v71, 31, v71
	s_wait_alu 0xfffd
	v_xor_b32_e32 v70, vcc_lo, v70
	v_cmp_gt_i32_e32 vcc_lo, 0, v74
	v_and_b32_e32 v68, v68, v188
	v_not_b32_e32 v74, v75
	v_ashrrev_i32_e32 v72, 31, v72
	s_wait_alu 0xf1ff
	v_xor_b32_e32 v71, s15, v71
	v_cmp_gt_i32_e64 s15, 0, v75
	v_and_b32_e32 v68, v68, v70
	v_not_b32_e32 v70, v187
	v_ashrrev_i32_e32 v74, 31, v74
	s_wait_alu 0xfffd
	v_xor_b32_e32 v72, vcc_lo, v72
	v_cmp_gt_i32_e32 vcc_lo, 0, v187
	v_and_b32_e32 v68, v68, v71
	v_not_b32_e32 v71, v73
	v_ashrrev_i32_e32 v70, 31, v70
	s_wait_alu 0xf1ff
	v_xor_b32_e32 v74, s15, v74
	v_cmp_gt_i32_e64 s15, 0, v73
	v_and_b32_e32 v68, v68, v72
	v_ashrrev_i32_e32 v71, 31, v71
	s_wait_alu 0xfffd
	v_xor_b32_e32 v70, vcc_lo, v70
	v_mad_u32_u24 v72, v69, 36, v145
	v_mul_u32_u24_e32 v69, 36, v69
	v_and_b32_e32 v68, v68, v74
	s_wait_alu 0xf1ff
	v_xor_b32_e32 v71, s15, v71
	ds_load_b32 v187, v72 offset:1056
	v_add_nc_u32_e32 v189, v145, v69
	v_and_b32_e32 v68, v68, v70
	; wave barrier
	s_delay_alu instid0(VALU_DEP_1) | instskip(NEXT) | instid1(VALU_DEP_1)
	v_and_b32_e32 v68, v68, v71
	v_mbcnt_lo_u32_b32 v188, v68, 0
	v_cmp_ne_u32_e64 s15, 0, v68
	s_delay_alu instid0(VALU_DEP_2)
	v_cmp_eq_u32_e32 vcc_lo, 0, v188
	s_and_b32 s16, s15, vcc_lo
	s_wait_alu 0xfffe
	s_and_saveexec_b32 s15, s16
	s_cbranch_execz .LBB739_448
; %bb.447:                              ;   in Loop: Header=BB739_396 Depth=2
	s_wait_dscnt 0x0
	v_bcnt_u32_b32 v68, v68, v187
	ds_store_b32 v189, v68 offset:1056
.LBB739_448:                            ;   in Loop: Header=BB739_396 Depth=2
	s_wait_alu 0xfffe
	s_or_b32 exec_lo, exec_lo, s15
	v_xor_b32_e32 v67, 0x7fffffff, v67
	v_not_b32_e32 v66, v66
	; wave barrier
	s_delay_alu instid0(VALU_DEP_1) | instskip(NEXT) | instid1(VALU_DEP_1)
	v_lshrrev_b64 v[68:69], s48, v[66:67]
	v_and_b32_e32 v69, s55, v68
	s_delay_alu instid0(VALU_DEP_1)
	v_and_b32_e32 v68, 1, v69
	v_lshlrev_b32_e32 v70, 30, v69
	v_lshlrev_b32_e32 v71, 29, v69
	;; [unrolled: 1-line block ×4, first 2 shown]
	v_add_co_u32 v68, s15, v68, -1
	s_wait_alu 0xf1ff
	v_cndmask_b32_e64 v73, 0, 1, s15
	v_not_b32_e32 v191, v70
	v_cmp_gt_i32_e64 s15, 0, v70
	v_not_b32_e32 v70, v71
	v_lshlrev_b32_e32 v75, 26, v69
	v_cmp_ne_u32_e32 vcc_lo, 0, v73
	v_ashrrev_i32_e32 v191, 31, v191
	v_lshlrev_b32_e32 v190, 25, v69
	v_ashrrev_i32_e32 v70, 31, v70
	v_lshlrev_b32_e32 v73, 24, v69
	s_wait_alu 0xfffd
	v_xor_b32_e32 v68, vcc_lo, v68
	v_cmp_gt_i32_e32 vcc_lo, 0, v71
	v_not_b32_e32 v71, v72
	s_wait_alu 0xf1ff
	v_xor_b32_e32 v191, s15, v191
	v_cmp_gt_i32_e64 s15, 0, v72
	v_and_b32_e32 v68, exec_lo, v68
	v_not_b32_e32 v72, v74
	v_ashrrev_i32_e32 v71, 31, v71
	s_wait_alu 0xfffd
	v_xor_b32_e32 v70, vcc_lo, v70
	v_cmp_gt_i32_e32 vcc_lo, 0, v74
	v_and_b32_e32 v68, v68, v191
	v_not_b32_e32 v74, v75
	v_ashrrev_i32_e32 v72, 31, v72
	s_wait_alu 0xf1ff
	v_xor_b32_e32 v71, s15, v71
	v_cmp_gt_i32_e64 s15, 0, v75
	v_and_b32_e32 v68, v68, v70
	v_not_b32_e32 v70, v190
	v_ashrrev_i32_e32 v74, 31, v74
	s_wait_alu 0xfffd
	v_xor_b32_e32 v72, vcc_lo, v72
	v_cmp_gt_i32_e32 vcc_lo, 0, v190
	v_and_b32_e32 v68, v68, v71
	v_not_b32_e32 v71, v73
	v_ashrrev_i32_e32 v70, 31, v70
	s_wait_alu 0xf1ff
	v_xor_b32_e32 v74, s15, v74
	v_cmp_gt_i32_e64 s15, 0, v73
	v_and_b32_e32 v68, v68, v72
	v_ashrrev_i32_e32 v71, 31, v71
	s_wait_alu 0xfffd
	v_xor_b32_e32 v70, vcc_lo, v70
	v_mad_u32_u24 v72, v69, 36, v145
	v_mul_u32_u24_e32 v69, 36, v69
	v_and_b32_e32 v68, v68, v74
	s_wait_alu 0xf1ff
	v_xor_b32_e32 v71, s15, v71
	ds_load_b32 v190, v72 offset:1056
	v_add_nc_u32_e32 v192, v145, v69
	v_and_b32_e32 v68, v68, v70
	; wave barrier
	s_delay_alu instid0(VALU_DEP_1) | instskip(NEXT) | instid1(VALU_DEP_1)
	v_and_b32_e32 v68, v68, v71
	v_mbcnt_lo_u32_b32 v191, v68, 0
	v_cmp_ne_u32_e64 s15, 0, v68
	s_delay_alu instid0(VALU_DEP_2)
	v_cmp_eq_u32_e32 vcc_lo, 0, v191
	s_and_b32 s16, s15, vcc_lo
	s_wait_alu 0xfffe
	s_and_saveexec_b32 s15, s16
	s_cbranch_execz .LBB739_450
; %bb.449:                              ;   in Loop: Header=BB739_396 Depth=2
	s_wait_dscnt 0x0
	v_bcnt_u32_b32 v68, v68, v190
	ds_store_b32 v192, v68 offset:1056
.LBB739_450:                            ;   in Loop: Header=BB739_396 Depth=2
	s_wait_alu 0xfffe
	s_or_b32 exec_lo, exec_lo, s15
	v_xor_b32_e32 v63, 0x7fffffff, v63
	v_not_b32_e32 v62, v62
	; wave barrier
	s_delay_alu instid0(VALU_DEP_1) | instskip(NEXT) | instid1(VALU_DEP_1)
	v_lshrrev_b64 v[68:69], s48, v[62:63]
	v_and_b32_e32 v69, s55, v68
	s_delay_alu instid0(VALU_DEP_1)
	v_and_b32_e32 v68, 1, v69
	v_lshlrev_b32_e32 v70, 30, v69
	v_lshlrev_b32_e32 v71, 29, v69
	;; [unrolled: 1-line block ×4, first 2 shown]
	v_add_co_u32 v68, s15, v68, -1
	s_wait_alu 0xf1ff
	v_cndmask_b32_e64 v73, 0, 1, s15
	v_not_b32_e32 v194, v70
	v_cmp_gt_i32_e64 s15, 0, v70
	v_not_b32_e32 v70, v71
	v_lshlrev_b32_e32 v75, 26, v69
	v_cmp_ne_u32_e32 vcc_lo, 0, v73
	v_ashrrev_i32_e32 v194, 31, v194
	v_lshlrev_b32_e32 v193, 25, v69
	v_ashrrev_i32_e32 v70, 31, v70
	v_lshlrev_b32_e32 v73, 24, v69
	s_wait_alu 0xfffd
	v_xor_b32_e32 v68, vcc_lo, v68
	v_cmp_gt_i32_e32 vcc_lo, 0, v71
	v_not_b32_e32 v71, v72
	s_wait_alu 0xf1ff
	v_xor_b32_e32 v194, s15, v194
	v_cmp_gt_i32_e64 s15, 0, v72
	v_and_b32_e32 v68, exec_lo, v68
	v_not_b32_e32 v72, v74
	v_ashrrev_i32_e32 v71, 31, v71
	s_wait_alu 0xfffd
	v_xor_b32_e32 v70, vcc_lo, v70
	v_cmp_gt_i32_e32 vcc_lo, 0, v74
	v_and_b32_e32 v68, v68, v194
	v_not_b32_e32 v74, v75
	v_ashrrev_i32_e32 v72, 31, v72
	s_wait_alu 0xf1ff
	v_xor_b32_e32 v71, s15, v71
	v_cmp_gt_i32_e64 s15, 0, v75
	v_and_b32_e32 v68, v68, v70
	v_not_b32_e32 v70, v193
	v_ashrrev_i32_e32 v74, 31, v74
	s_wait_alu 0xfffd
	v_xor_b32_e32 v72, vcc_lo, v72
	v_cmp_gt_i32_e32 vcc_lo, 0, v193
	v_and_b32_e32 v68, v68, v71
	v_not_b32_e32 v71, v73
	v_ashrrev_i32_e32 v70, 31, v70
	s_wait_alu 0xf1ff
	v_xor_b32_e32 v74, s15, v74
	v_cmp_gt_i32_e64 s15, 0, v73
	v_and_b32_e32 v68, v68, v72
	v_ashrrev_i32_e32 v71, 31, v71
	s_wait_alu 0xfffd
	v_xor_b32_e32 v70, vcc_lo, v70
	v_mad_u32_u24 v72, v69, 36, v145
	v_mul_u32_u24_e32 v69, 36, v69
	v_and_b32_e32 v68, v68, v74
	s_wait_alu 0xf1ff
	v_xor_b32_e32 v71, s15, v71
	ds_load_b32 v193, v72 offset:1056
	v_add_nc_u32_e32 v195, v145, v69
	v_and_b32_e32 v68, v68, v70
	; wave barrier
	s_delay_alu instid0(VALU_DEP_1) | instskip(NEXT) | instid1(VALU_DEP_1)
	v_and_b32_e32 v68, v68, v71
	v_mbcnt_lo_u32_b32 v194, v68, 0
	v_cmp_ne_u32_e64 s15, 0, v68
	s_delay_alu instid0(VALU_DEP_2)
	v_cmp_eq_u32_e32 vcc_lo, 0, v194
	s_and_b32 s16, s15, vcc_lo
	s_wait_alu 0xfffe
	s_and_saveexec_b32 s15, s16
	s_cbranch_execz .LBB739_452
; %bb.451:                              ;   in Loop: Header=BB739_396 Depth=2
	s_wait_dscnt 0x0
	v_bcnt_u32_b32 v68, v68, v193
	ds_store_b32 v195, v68 offset:1056
.LBB739_452:                            ;   in Loop: Header=BB739_396 Depth=2
	s_wait_alu 0xfffe
	s_or_b32 exec_lo, exec_lo, s15
	v_xor_b32_e32 v59, 0x7fffffff, v59
	v_not_b32_e32 v58, v58
	; wave barrier
	s_delay_alu instid0(VALU_DEP_1) | instskip(NEXT) | instid1(VALU_DEP_1)
	v_lshrrev_b64 v[68:69], s48, v[58:59]
	v_and_b32_e32 v69, s55, v68
	s_delay_alu instid0(VALU_DEP_1)
	v_and_b32_e32 v68, 1, v69
	v_lshlrev_b32_e32 v70, 30, v69
	v_lshlrev_b32_e32 v71, 29, v69
	;; [unrolled: 1-line block ×4, first 2 shown]
	v_add_co_u32 v68, s15, v68, -1
	s_wait_alu 0xf1ff
	v_cndmask_b32_e64 v73, 0, 1, s15
	v_not_b32_e32 v197, v70
	v_cmp_gt_i32_e64 s15, 0, v70
	v_not_b32_e32 v70, v71
	v_lshlrev_b32_e32 v75, 26, v69
	v_cmp_ne_u32_e32 vcc_lo, 0, v73
	v_ashrrev_i32_e32 v197, 31, v197
	v_lshlrev_b32_e32 v196, 25, v69
	v_ashrrev_i32_e32 v70, 31, v70
	v_lshlrev_b32_e32 v73, 24, v69
	s_wait_alu 0xfffd
	v_xor_b32_e32 v68, vcc_lo, v68
	v_cmp_gt_i32_e32 vcc_lo, 0, v71
	v_not_b32_e32 v71, v72
	s_wait_alu 0xf1ff
	v_xor_b32_e32 v197, s15, v197
	v_cmp_gt_i32_e64 s15, 0, v72
	v_and_b32_e32 v68, exec_lo, v68
	v_not_b32_e32 v72, v74
	v_ashrrev_i32_e32 v71, 31, v71
	s_wait_alu 0xfffd
	v_xor_b32_e32 v70, vcc_lo, v70
	v_cmp_gt_i32_e32 vcc_lo, 0, v74
	v_and_b32_e32 v68, v68, v197
	v_not_b32_e32 v74, v75
	v_ashrrev_i32_e32 v72, 31, v72
	s_wait_alu 0xf1ff
	v_xor_b32_e32 v71, s15, v71
	v_cmp_gt_i32_e64 s15, 0, v75
	v_and_b32_e32 v68, v68, v70
	v_not_b32_e32 v70, v196
	v_ashrrev_i32_e32 v74, 31, v74
	s_wait_alu 0xfffd
	v_xor_b32_e32 v72, vcc_lo, v72
	v_cmp_gt_i32_e32 vcc_lo, 0, v196
	v_and_b32_e32 v68, v68, v71
	v_not_b32_e32 v71, v73
	v_ashrrev_i32_e32 v70, 31, v70
	s_wait_alu 0xf1ff
	v_xor_b32_e32 v74, s15, v74
	v_cmp_gt_i32_e64 s15, 0, v73
	v_and_b32_e32 v68, v68, v72
	v_ashrrev_i32_e32 v71, 31, v71
	s_wait_alu 0xfffd
	v_xor_b32_e32 v70, vcc_lo, v70
	v_mad_u32_u24 v72, v69, 36, v145
	v_mul_u32_u24_e32 v69, 36, v69
	v_and_b32_e32 v68, v68, v74
	s_wait_alu 0xf1ff
	v_xor_b32_e32 v71, s15, v71
	ds_load_b32 v196, v72 offset:1056
	v_add_nc_u32_e32 v198, v145, v69
	v_and_b32_e32 v68, v68, v70
	; wave barrier
	s_delay_alu instid0(VALU_DEP_1) | instskip(NEXT) | instid1(VALU_DEP_1)
	v_and_b32_e32 v68, v68, v71
	v_mbcnt_lo_u32_b32 v197, v68, 0
	v_cmp_ne_u32_e64 s15, 0, v68
	s_delay_alu instid0(VALU_DEP_2)
	v_cmp_eq_u32_e32 vcc_lo, 0, v197
	s_and_b32 s16, s15, vcc_lo
	s_wait_alu 0xfffe
	s_and_saveexec_b32 s15, s16
	s_cbranch_execz .LBB739_454
; %bb.453:                              ;   in Loop: Header=BB739_396 Depth=2
	s_wait_dscnt 0x0
	v_bcnt_u32_b32 v68, v68, v196
	ds_store_b32 v198, v68 offset:1056
.LBB739_454:                            ;   in Loop: Header=BB739_396 Depth=2
	s_wait_alu 0xfffe
	s_or_b32 exec_lo, exec_lo, s15
	v_xor_b32_e32 v55, 0x7fffffff, v55
	v_not_b32_e32 v54, v54
	; wave barrier
	s_delay_alu instid0(VALU_DEP_1) | instskip(NEXT) | instid1(VALU_DEP_1)
	v_lshrrev_b64 v[68:69], s48, v[54:55]
	v_and_b32_e32 v69, s55, v68
	s_delay_alu instid0(VALU_DEP_1)
	v_and_b32_e32 v68, 1, v69
	v_lshlrev_b32_e32 v70, 30, v69
	v_lshlrev_b32_e32 v71, 29, v69
	;; [unrolled: 1-line block ×4, first 2 shown]
	v_add_co_u32 v68, s15, v68, -1
	s_wait_alu 0xf1ff
	v_cndmask_b32_e64 v73, 0, 1, s15
	v_not_b32_e32 v200, v70
	v_cmp_gt_i32_e64 s15, 0, v70
	v_not_b32_e32 v70, v71
	v_lshlrev_b32_e32 v75, 26, v69
	v_cmp_ne_u32_e32 vcc_lo, 0, v73
	v_ashrrev_i32_e32 v200, 31, v200
	v_lshlrev_b32_e32 v199, 25, v69
	v_ashrrev_i32_e32 v70, 31, v70
	v_lshlrev_b32_e32 v73, 24, v69
	s_wait_alu 0xfffd
	v_xor_b32_e32 v68, vcc_lo, v68
	v_cmp_gt_i32_e32 vcc_lo, 0, v71
	v_not_b32_e32 v71, v72
	s_wait_alu 0xf1ff
	v_xor_b32_e32 v200, s15, v200
	v_cmp_gt_i32_e64 s15, 0, v72
	v_and_b32_e32 v68, exec_lo, v68
	v_not_b32_e32 v72, v74
	v_ashrrev_i32_e32 v71, 31, v71
	s_wait_alu 0xfffd
	v_xor_b32_e32 v70, vcc_lo, v70
	v_cmp_gt_i32_e32 vcc_lo, 0, v74
	v_and_b32_e32 v68, v68, v200
	v_not_b32_e32 v74, v75
	v_ashrrev_i32_e32 v72, 31, v72
	s_wait_alu 0xf1ff
	v_xor_b32_e32 v71, s15, v71
	v_cmp_gt_i32_e64 s15, 0, v75
	v_and_b32_e32 v68, v68, v70
	v_not_b32_e32 v70, v199
	v_ashrrev_i32_e32 v74, 31, v74
	s_wait_alu 0xfffd
	v_xor_b32_e32 v72, vcc_lo, v72
	v_cmp_gt_i32_e32 vcc_lo, 0, v199
	v_and_b32_e32 v68, v68, v71
	v_not_b32_e32 v71, v73
	v_ashrrev_i32_e32 v70, 31, v70
	s_wait_alu 0xf1ff
	v_xor_b32_e32 v74, s15, v74
	v_cmp_gt_i32_e64 s15, 0, v73
	v_and_b32_e32 v68, v68, v72
	v_ashrrev_i32_e32 v71, 31, v71
	s_wait_alu 0xfffd
	v_xor_b32_e32 v70, vcc_lo, v70
	v_mad_u32_u24 v72, v69, 36, v145
	v_mul_u32_u24_e32 v69, 36, v69
	v_and_b32_e32 v68, v68, v74
	s_wait_alu 0xf1ff
	v_xor_b32_e32 v71, s15, v71
	ds_load_b32 v199, v72 offset:1056
	v_add_nc_u32_e32 v201, v145, v69
	v_and_b32_e32 v68, v68, v70
	; wave barrier
	s_delay_alu instid0(VALU_DEP_1) | instskip(NEXT) | instid1(VALU_DEP_1)
	v_and_b32_e32 v68, v68, v71
	v_mbcnt_lo_u32_b32 v200, v68, 0
	v_cmp_ne_u32_e64 s15, 0, v68
	s_delay_alu instid0(VALU_DEP_2)
	v_cmp_eq_u32_e32 vcc_lo, 0, v200
	s_and_b32 s16, s15, vcc_lo
	s_wait_alu 0xfffe
	s_and_saveexec_b32 s15, s16
	s_cbranch_execz .LBB739_456
; %bb.455:                              ;   in Loop: Header=BB739_396 Depth=2
	s_wait_dscnt 0x0
	v_bcnt_u32_b32 v68, v68, v199
	ds_store_b32 v201, v68 offset:1056
.LBB739_456:                            ;   in Loop: Header=BB739_396 Depth=2
	s_wait_alu 0xfffe
	s_or_b32 exec_lo, exec_lo, s15
	v_xor_b32_e32 v51, 0x7fffffff, v51
	v_not_b32_e32 v50, v50
	; wave barrier
	s_delay_alu instid0(VALU_DEP_1) | instskip(NEXT) | instid1(VALU_DEP_1)
	v_lshrrev_b64 v[68:69], s48, v[50:51]
	v_and_b32_e32 v69, s55, v68
	s_delay_alu instid0(VALU_DEP_1)
	v_and_b32_e32 v68, 1, v69
	v_lshlrev_b32_e32 v70, 30, v69
	v_lshlrev_b32_e32 v71, 29, v69
	;; [unrolled: 1-line block ×4, first 2 shown]
	v_add_co_u32 v68, s15, v68, -1
	s_wait_alu 0xf1ff
	v_cndmask_b32_e64 v73, 0, 1, s15
	v_not_b32_e32 v203, v70
	v_cmp_gt_i32_e64 s15, 0, v70
	v_not_b32_e32 v70, v71
	v_lshlrev_b32_e32 v75, 26, v69
	v_cmp_ne_u32_e32 vcc_lo, 0, v73
	v_ashrrev_i32_e32 v203, 31, v203
	v_lshlrev_b32_e32 v202, 25, v69
	v_ashrrev_i32_e32 v70, 31, v70
	v_lshlrev_b32_e32 v73, 24, v69
	s_wait_alu 0xfffd
	v_xor_b32_e32 v68, vcc_lo, v68
	v_cmp_gt_i32_e32 vcc_lo, 0, v71
	v_not_b32_e32 v71, v72
	s_wait_alu 0xf1ff
	v_xor_b32_e32 v203, s15, v203
	v_cmp_gt_i32_e64 s15, 0, v72
	v_and_b32_e32 v68, exec_lo, v68
	v_not_b32_e32 v72, v74
	v_ashrrev_i32_e32 v71, 31, v71
	s_wait_alu 0xfffd
	v_xor_b32_e32 v70, vcc_lo, v70
	v_cmp_gt_i32_e32 vcc_lo, 0, v74
	v_and_b32_e32 v68, v68, v203
	v_not_b32_e32 v74, v75
	v_ashrrev_i32_e32 v72, 31, v72
	s_wait_alu 0xf1ff
	v_xor_b32_e32 v71, s15, v71
	v_cmp_gt_i32_e64 s15, 0, v75
	v_and_b32_e32 v68, v68, v70
	v_not_b32_e32 v70, v202
	v_ashrrev_i32_e32 v74, 31, v74
	s_wait_alu 0xfffd
	v_xor_b32_e32 v72, vcc_lo, v72
	v_cmp_gt_i32_e32 vcc_lo, 0, v202
	v_and_b32_e32 v68, v68, v71
	v_not_b32_e32 v71, v73
	v_ashrrev_i32_e32 v70, 31, v70
	s_wait_alu 0xf1ff
	v_xor_b32_e32 v74, s15, v74
	v_cmp_gt_i32_e64 s15, 0, v73
	v_and_b32_e32 v68, v68, v72
	v_ashrrev_i32_e32 v71, 31, v71
	s_wait_alu 0xfffd
	v_xor_b32_e32 v70, vcc_lo, v70
	v_mad_u32_u24 v72, v69, 36, v145
	v_mul_u32_u24_e32 v69, 36, v69
	v_and_b32_e32 v68, v68, v74
	s_wait_alu 0xf1ff
	v_xor_b32_e32 v71, s15, v71
	ds_load_b32 v202, v72 offset:1056
	v_add_nc_u32_e32 v205, v145, v69
	v_and_b32_e32 v68, v68, v70
	; wave barrier
	s_delay_alu instid0(VALU_DEP_1) | instskip(NEXT) | instid1(VALU_DEP_1)
	v_and_b32_e32 v68, v68, v71
	v_mbcnt_lo_u32_b32 v203, v68, 0
	v_cmp_ne_u32_e64 s15, 0, v68
	s_delay_alu instid0(VALU_DEP_2)
	v_cmp_eq_u32_e32 vcc_lo, 0, v203
	s_and_b32 s16, s15, vcc_lo
	s_wait_alu 0xfffe
	s_and_saveexec_b32 s15, s16
	s_cbranch_execz .LBB739_458
; %bb.457:                              ;   in Loop: Header=BB739_396 Depth=2
	s_wait_dscnt 0x0
	v_bcnt_u32_b32 v68, v68, v202
	ds_store_b32 v205, v68 offset:1056
.LBB739_458:                            ;   in Loop: Header=BB739_396 Depth=2
	s_wait_alu 0xfffe
	s_or_b32 exec_lo, exec_lo, s15
	v_xor_b32_e32 v49, 0x7fffffff, v49
	v_not_b32_e32 v48, v48
	; wave barrier
	s_delay_alu instid0(VALU_DEP_1) | instskip(NEXT) | instid1(VALU_DEP_1)
	v_lshrrev_b64 v[68:69], s48, v[48:49]
	v_and_b32_e32 v69, s55, v68
	s_delay_alu instid0(VALU_DEP_1)
	v_and_b32_e32 v68, 1, v69
	v_lshlrev_b32_e32 v70, 30, v69
	v_lshlrev_b32_e32 v71, 29, v69
	;; [unrolled: 1-line block ×4, first 2 shown]
	v_add_co_u32 v68, s15, v68, -1
	s_wait_alu 0xf1ff
	v_cndmask_b32_e64 v73, 0, 1, s15
	v_not_b32_e32 v206, v70
	v_cmp_gt_i32_e64 s15, 0, v70
	v_not_b32_e32 v70, v71
	v_lshlrev_b32_e32 v75, 26, v69
	v_cmp_ne_u32_e32 vcc_lo, 0, v73
	v_ashrrev_i32_e32 v206, 31, v206
	v_lshlrev_b32_e32 v204, 25, v69
	v_ashrrev_i32_e32 v70, 31, v70
	v_lshlrev_b32_e32 v73, 24, v69
	s_wait_alu 0xfffd
	v_xor_b32_e32 v68, vcc_lo, v68
	v_cmp_gt_i32_e32 vcc_lo, 0, v71
	v_not_b32_e32 v71, v72
	s_wait_alu 0xf1ff
	v_xor_b32_e32 v206, s15, v206
	v_cmp_gt_i32_e64 s15, 0, v72
	v_and_b32_e32 v68, exec_lo, v68
	v_not_b32_e32 v72, v74
	v_ashrrev_i32_e32 v71, 31, v71
	s_wait_alu 0xfffd
	v_xor_b32_e32 v70, vcc_lo, v70
	v_cmp_gt_i32_e32 vcc_lo, 0, v74
	v_and_b32_e32 v68, v68, v206
	v_not_b32_e32 v74, v75
	v_ashrrev_i32_e32 v72, 31, v72
	s_wait_alu 0xf1ff
	v_xor_b32_e32 v71, s15, v71
	v_cmp_gt_i32_e64 s15, 0, v75
	v_and_b32_e32 v68, v68, v70
	v_not_b32_e32 v70, v204
	v_ashrrev_i32_e32 v74, 31, v74
	s_wait_alu 0xfffd
	v_xor_b32_e32 v72, vcc_lo, v72
	v_cmp_gt_i32_e32 vcc_lo, 0, v204
	v_and_b32_e32 v68, v68, v71
	v_not_b32_e32 v71, v73
	v_ashrrev_i32_e32 v70, 31, v70
	s_wait_alu 0xf1ff
	v_xor_b32_e32 v74, s15, v74
	v_cmp_gt_i32_e64 s15, 0, v73
	v_and_b32_e32 v68, v68, v72
	v_ashrrev_i32_e32 v71, 31, v71
	s_wait_alu 0xfffd
	v_xor_b32_e32 v70, vcc_lo, v70
	v_mad_u32_u24 v72, v69, 36, v145
	v_mul_u32_u24_e32 v69, 36, v69
	v_and_b32_e32 v68, v68, v74
	s_wait_alu 0xf1ff
	v_xor_b32_e32 v71, s15, v71
	ds_load_b32 v204, v72 offset:1056
	v_add_nc_u32_e32 v208, v145, v69
	v_and_b32_e32 v68, v68, v70
	; wave barrier
	s_delay_alu instid0(VALU_DEP_1) | instskip(NEXT) | instid1(VALU_DEP_1)
	v_and_b32_e32 v68, v68, v71
	v_mbcnt_lo_u32_b32 v206, v68, 0
	v_cmp_ne_u32_e64 s15, 0, v68
	s_delay_alu instid0(VALU_DEP_2)
	v_cmp_eq_u32_e32 vcc_lo, 0, v206
	s_and_b32 s16, s15, vcc_lo
	s_wait_alu 0xfffe
	s_and_saveexec_b32 s15, s16
	s_cbranch_execz .LBB739_460
; %bb.459:                              ;   in Loop: Header=BB739_396 Depth=2
	s_wait_dscnt 0x0
	v_bcnt_u32_b32 v68, v68, v204
	ds_store_b32 v208, v68 offset:1056
.LBB739_460:                            ;   in Loop: Header=BB739_396 Depth=2
	s_wait_alu 0xfffe
	s_or_b32 exec_lo, exec_lo, s15
	v_xor_b32_e32 v45, 0x7fffffff, v45
	v_not_b32_e32 v44, v44
	; wave barrier
	s_delay_alu instid0(VALU_DEP_1) | instskip(NEXT) | instid1(VALU_DEP_1)
	v_lshrrev_b64 v[68:69], s48, v[44:45]
	v_and_b32_e32 v69, s55, v68
	s_delay_alu instid0(VALU_DEP_1)
	v_and_b32_e32 v68, 1, v69
	v_lshlrev_b32_e32 v70, 30, v69
	v_lshlrev_b32_e32 v71, 29, v69
	;; [unrolled: 1-line block ×4, first 2 shown]
	v_add_co_u32 v68, s15, v68, -1
	s_wait_alu 0xf1ff
	v_cndmask_b32_e64 v73, 0, 1, s15
	v_not_b32_e32 v209, v70
	v_cmp_gt_i32_e64 s15, 0, v70
	v_not_b32_e32 v70, v71
	v_lshlrev_b32_e32 v75, 26, v69
	v_cmp_ne_u32_e32 vcc_lo, 0, v73
	v_ashrrev_i32_e32 v209, 31, v209
	v_lshlrev_b32_e32 v207, 25, v69
	v_ashrrev_i32_e32 v70, 31, v70
	v_lshlrev_b32_e32 v73, 24, v69
	s_wait_alu 0xfffd
	v_xor_b32_e32 v68, vcc_lo, v68
	v_cmp_gt_i32_e32 vcc_lo, 0, v71
	v_not_b32_e32 v71, v72
	s_wait_alu 0xf1ff
	v_xor_b32_e32 v209, s15, v209
	v_cmp_gt_i32_e64 s15, 0, v72
	v_and_b32_e32 v68, exec_lo, v68
	v_not_b32_e32 v72, v74
	v_ashrrev_i32_e32 v71, 31, v71
	s_wait_alu 0xfffd
	v_xor_b32_e32 v70, vcc_lo, v70
	v_cmp_gt_i32_e32 vcc_lo, 0, v74
	v_and_b32_e32 v68, v68, v209
	v_not_b32_e32 v74, v75
	v_ashrrev_i32_e32 v72, 31, v72
	s_wait_alu 0xf1ff
	v_xor_b32_e32 v71, s15, v71
	v_cmp_gt_i32_e64 s15, 0, v75
	v_and_b32_e32 v68, v68, v70
	v_not_b32_e32 v70, v207
	v_ashrrev_i32_e32 v74, 31, v74
	s_wait_alu 0xfffd
	v_xor_b32_e32 v72, vcc_lo, v72
	v_cmp_gt_i32_e32 vcc_lo, 0, v207
	v_and_b32_e32 v68, v68, v71
	v_not_b32_e32 v71, v73
	v_ashrrev_i32_e32 v70, 31, v70
	s_wait_alu 0xf1ff
	v_xor_b32_e32 v74, s15, v74
	v_cmp_gt_i32_e64 s15, 0, v73
	v_and_b32_e32 v68, v68, v72
	v_ashrrev_i32_e32 v71, 31, v71
	s_wait_alu 0xfffd
	v_xor_b32_e32 v70, vcc_lo, v70
	v_mad_u32_u24 v72, v69, 36, v145
	v_mul_u32_u24_e32 v69, 36, v69
	v_and_b32_e32 v68, v68, v74
	s_wait_alu 0xf1ff
	v_xor_b32_e32 v71, s15, v71
	ds_load_b32 v207, v72 offset:1056
	v_add_nc_u32_e32 v212, v145, v69
	v_and_b32_e32 v68, v68, v70
	; wave barrier
	s_delay_alu instid0(VALU_DEP_1) | instskip(NEXT) | instid1(VALU_DEP_1)
	v_and_b32_e32 v68, v68, v71
	v_mbcnt_lo_u32_b32 v209, v68, 0
	v_cmp_ne_u32_e64 s15, 0, v68
	s_delay_alu instid0(VALU_DEP_2)
	v_cmp_eq_u32_e32 vcc_lo, 0, v209
	s_and_b32 s16, s15, vcc_lo
	s_wait_alu 0xfffe
	s_and_saveexec_b32 s15, s16
	s_cbranch_execz .LBB739_462
; %bb.461:                              ;   in Loop: Header=BB739_396 Depth=2
	s_wait_dscnt 0x0
	v_bcnt_u32_b32 v68, v68, v207
	ds_store_b32 v212, v68 offset:1056
.LBB739_462:                            ;   in Loop: Header=BB739_396 Depth=2
	s_wait_alu 0xfffe
	s_or_b32 exec_lo, exec_lo, s15
	v_lshrrev_b64 v[68:69], s48, v[36:37]
	; wave barrier
	s_delay_alu instid0(VALU_DEP_1) | instskip(NEXT) | instid1(VALU_DEP_1)
	v_and_b32_e32 v69, s55, v68
	v_and_b32_e32 v68, 1, v69
	v_lshlrev_b32_e32 v70, 30, v69
	v_lshlrev_b32_e32 v71, 29, v69
	;; [unrolled: 1-line block ×4, first 2 shown]
	v_add_co_u32 v68, s15, v68, -1
	s_wait_alu 0xf1ff
	v_cndmask_b32_e64 v73, 0, 1, s15
	v_not_b32_e32 v211, v70
	v_cmp_gt_i32_e64 s15, 0, v70
	v_not_b32_e32 v70, v71
	v_lshlrev_b32_e32 v75, 26, v69
	v_cmp_ne_u32_e32 vcc_lo, 0, v73
	v_ashrrev_i32_e32 v211, 31, v211
	v_lshlrev_b32_e32 v210, 25, v69
	v_ashrrev_i32_e32 v70, 31, v70
	v_lshlrev_b32_e32 v73, 24, v69
	s_wait_alu 0xfffd
	v_xor_b32_e32 v68, vcc_lo, v68
	v_cmp_gt_i32_e32 vcc_lo, 0, v71
	v_not_b32_e32 v71, v72
	s_wait_alu 0xf1ff
	v_xor_b32_e32 v211, s15, v211
	v_cmp_gt_i32_e64 s15, 0, v72
	v_and_b32_e32 v68, exec_lo, v68
	v_not_b32_e32 v72, v74
	v_ashrrev_i32_e32 v71, 31, v71
	s_wait_alu 0xfffd
	v_xor_b32_e32 v70, vcc_lo, v70
	v_cmp_gt_i32_e32 vcc_lo, 0, v74
	v_and_b32_e32 v68, v68, v211
	v_not_b32_e32 v74, v75
	v_ashrrev_i32_e32 v72, 31, v72
	s_wait_alu 0xf1ff
	v_xor_b32_e32 v71, s15, v71
	v_cmp_gt_i32_e64 s15, 0, v75
	v_and_b32_e32 v68, v68, v70
	v_not_b32_e32 v70, v210
	v_ashrrev_i32_e32 v74, 31, v74
	s_wait_alu 0xfffd
	v_xor_b32_e32 v72, vcc_lo, v72
	v_cmp_gt_i32_e32 vcc_lo, 0, v210
	v_and_b32_e32 v68, v68, v71
	v_not_b32_e32 v71, v73
	v_ashrrev_i32_e32 v70, 31, v70
	s_wait_alu 0xf1ff
	v_xor_b32_e32 v74, s15, v74
	v_cmp_gt_i32_e64 s15, 0, v73
	v_and_b32_e32 v68, v68, v72
	v_ashrrev_i32_e32 v71, 31, v71
	s_wait_alu 0xfffd
	v_xor_b32_e32 v70, vcc_lo, v70
	v_mad_u32_u24 v72, v69, 36, v145
	v_mul_u32_u24_e32 v69, 36, v69
	v_and_b32_e32 v68, v68, v74
	s_wait_alu 0xf1ff
	v_xor_b32_e32 v71, s15, v71
	ds_load_b32 v210, v72 offset:1056
	v_add_nc_u32_e32 v213, v145, v69
	v_and_b32_e32 v68, v68, v70
	; wave barrier
	s_delay_alu instid0(VALU_DEP_1) | instskip(NEXT) | instid1(VALU_DEP_1)
	v_and_b32_e32 v68, v68, v71
	v_mbcnt_lo_u32_b32 v211, v68, 0
	v_cmp_ne_u32_e64 s15, 0, v68
	s_delay_alu instid0(VALU_DEP_2)
	v_cmp_eq_u32_e32 vcc_lo, 0, v211
	s_and_b32 s16, s15, vcc_lo
	s_wait_alu 0xfffe
	s_and_saveexec_b32 s15, s16
	s_cbranch_execz .LBB739_464
; %bb.463:                              ;   in Loop: Header=BB739_396 Depth=2
	s_wait_dscnt 0x0
	v_bcnt_u32_b32 v68, v68, v210
	ds_store_b32 v213, v68 offset:1056
.LBB739_464:                            ;   in Loop: Header=BB739_396 Depth=2
	s_wait_alu 0xfffe
	s_or_b32 exec_lo, exec_lo, s15
	; wave barrier
	s_wait_loadcnt_dscnt 0x0
	s_barrier_signal -1
	s_barrier_wait -1
	global_inv scope:SCOPE_SE
	ds_load_2addr_b32 v[74:75], v165 offset1:1
	ds_load_2addr_b32 v[72:73], v166 offset1:1
	;; [unrolled: 1-line block ×4, first 2 shown]
	ds_load_b32 v214, v100 offset:1088
	s_wait_dscnt 0x3
	v_add3_u32 v215, v75, v74, v72
	s_wait_dscnt 0x2
	s_delay_alu instid0(VALU_DEP_1) | instskip(SKIP_1) | instid1(VALU_DEP_1)
	v_add3_u32 v215, v215, v73, v70
	s_wait_dscnt 0x1
	v_add3_u32 v215, v215, v71, v68
	s_wait_dscnt 0x0
	s_delay_alu instid0(VALU_DEP_1) | instskip(NEXT) | instid1(VALU_DEP_1)
	v_add3_u32 v214, v215, v69, v214
	v_mov_b32_dpp v215, v214 row_shr:1 row_mask:0xf bank_mask:0xf
	s_delay_alu instid0(VALU_DEP_1) | instskip(NEXT) | instid1(VALU_DEP_1)
	v_cndmask_b32_e64 v215, v215, 0, s0
	v_add_nc_u32_e32 v214, v215, v214
	s_delay_alu instid0(VALU_DEP_1) | instskip(NEXT) | instid1(VALU_DEP_1)
	v_mov_b32_dpp v215, v214 row_shr:2 row_mask:0xf bank_mask:0xf
	v_cndmask_b32_e64 v215, 0, v215, s1
	s_delay_alu instid0(VALU_DEP_1) | instskip(NEXT) | instid1(VALU_DEP_1)
	v_add_nc_u32_e32 v214, v214, v215
	v_mov_b32_dpp v215, v214 row_shr:4 row_mask:0xf bank_mask:0xf
	s_delay_alu instid0(VALU_DEP_1) | instskip(NEXT) | instid1(VALU_DEP_1)
	v_cndmask_b32_e64 v215, 0, v215, s8
	v_add_nc_u32_e32 v214, v214, v215
	s_delay_alu instid0(VALU_DEP_1) | instskip(NEXT) | instid1(VALU_DEP_1)
	v_mov_b32_dpp v215, v214 row_shr:8 row_mask:0xf bank_mask:0xf
	v_cndmask_b32_e64 v215, 0, v215, s9
	s_delay_alu instid0(VALU_DEP_1) | instskip(SKIP_3) | instid1(VALU_DEP_1)
	v_add_nc_u32_e32 v214, v214, v215
	ds_swizzle_b32 v215, v214 offset:swizzle(BROADCAST,32,15)
	s_wait_dscnt 0x0
	v_cndmask_b32_e64 v215, v215, 0, s10
	v_add_nc_u32_e32 v214, v214, v215
	s_and_saveexec_b32 s15, s3
; %bb.465:                              ;   in Loop: Header=BB739_396 Depth=2
	ds_store_b32 v95, v214 offset:1024
; %bb.466:                              ;   in Loop: Header=BB739_396 Depth=2
	s_wait_alu 0xfffe
	s_or_b32 exec_lo, exec_lo, s15
	s_wait_loadcnt_dscnt 0x0
	s_barrier_signal -1
	s_barrier_wait -1
	global_inv scope:SCOPE_SE
	s_and_saveexec_b32 s15, s4
	s_cbranch_execz .LBB739_468
; %bb.467:                              ;   in Loop: Header=BB739_396 Depth=2
	ds_load_b32 v215, v103 offset:1024
	s_wait_dscnt 0x0
	v_mov_b32_dpp v216, v215 row_shr:1 row_mask:0xf bank_mask:0xf
	s_delay_alu instid0(VALU_DEP_1) | instskip(NEXT) | instid1(VALU_DEP_1)
	v_cndmask_b32_e64 v216, v216, 0, s12
	v_add_nc_u32_e32 v215, v216, v215
	s_delay_alu instid0(VALU_DEP_1) | instskip(NEXT) | instid1(VALU_DEP_1)
	v_mov_b32_dpp v216, v215 row_shr:2 row_mask:0xf bank_mask:0xf
	v_cndmask_b32_e64 v216, 0, v216, s13
	s_delay_alu instid0(VALU_DEP_1) | instskip(NEXT) | instid1(VALU_DEP_1)
	v_add_nc_u32_e32 v215, v215, v216
	v_mov_b32_dpp v216, v215 row_shr:4 row_mask:0xf bank_mask:0xf
	s_delay_alu instid0(VALU_DEP_1) | instskip(NEXT) | instid1(VALU_DEP_1)
	v_cndmask_b32_e64 v216, 0, v216, s14
	v_add_nc_u32_e32 v215, v215, v216
	ds_store_b32 v103, v215 offset:1024
.LBB739_468:                            ;   in Loop: Header=BB739_396 Depth=2
	s_wait_alu 0xfffe
	s_or_b32 exec_lo, exec_lo, s15
	v_mov_b32_e32 v215, 0
	s_wait_loadcnt_dscnt 0x0
	s_barrier_signal -1
	s_barrier_wait -1
	global_inv scope:SCOPE_SE
	s_and_saveexec_b32 s15, s5
; %bb.469:                              ;   in Loop: Header=BB739_396 Depth=2
	ds_load_b32 v215, v95 offset:1020
; %bb.470:                              ;   in Loop: Header=BB739_396 Depth=2
	s_wait_alu 0xfffe
	s_or_b32 exec_lo, exec_lo, s15
	s_wait_dscnt 0x0
	v_add_nc_u32_e32 v214, v215, v214
	ds_bpermute_b32 v214, v124, v214
	s_wait_dscnt 0x0
	v_cndmask_b32_e64 v214, v214, v215, s11
	s_delay_alu instid0(VALU_DEP_1) | instskip(NEXT) | instid1(VALU_DEP_1)
	v_cndmask_b32_e64 v214, v214, 0, s6
	v_add_nc_u32_e32 v74, v214, v74
	s_delay_alu instid0(VALU_DEP_1) | instskip(NEXT) | instid1(VALU_DEP_1)
	v_add_nc_u32_e32 v75, v74, v75
	v_add_nc_u32_e32 v72, v75, v72
	s_delay_alu instid0(VALU_DEP_1) | instskip(NEXT) | instid1(VALU_DEP_1)
	v_add_nc_u32_e32 v73, v72, v73
	;; [unrolled: 3-line block ×3, first 2 shown]
	v_add_nc_u32_e32 v68, v71, v68
	s_delay_alu instid0(VALU_DEP_1)
	v_add_nc_u32_e32 v69, v68, v69
	ds_store_2addr_b32 v164, v71, v68 offset1:1
	ds_store_2addr_b32 v165, v214, v74 offset1:1
	;; [unrolled: 1-line block ×4, first 2 shown]
	ds_store_b32 v100, v69 offset:1088
	s_wait_loadcnt_dscnt 0x0
	s_barrier_signal -1
	s_barrier_wait -1
	global_inv scope:SCOPE_SE
	ds_load_b32 v69, v168 offset:1056
	ds_load_b32 v215, v171 offset:1056
	;; [unrolled: 1-line block ×17, first 2 shown]
	v_mov_b32_e32 v68, 0x1000
	s_and_saveexec_b32 s15, s7
; %bb.471:                              ;   in Loop: Header=BB739_396 Depth=2
	ds_load_b32 v68, v100 offset:1092
; %bb.472:                              ;   in Loop: Header=BB739_396 Depth=2
	s_wait_alu 0xfffe
	s_or_b32 exec_lo, exec_lo, s15
	s_wait_loadcnt_dscnt 0x0
	s_barrier_signal -1
	s_barrier_wait -1
	global_inv scope:SCOPE_SE
	s_and_saveexec_b32 s15, s2
	s_cbranch_execz .LBB739_474
; %bb.473:                              ;   in Loop: Header=BB739_396 Depth=2
	ds_load_b32 v180, v76
	s_wait_dscnt 0x0
	v_sub_nc_u32_e32 v177, v180, v177
	ds_store_b32 v76, v177
.LBB739_474:                            ;   in Loop: Header=BB739_396 Depth=2
	s_wait_alu 0xfffe
	s_or_b32 exec_lo, exec_lo, s15
	v_lshlrev_b32_e32 v163, 3, v163
	v_lshlrev_b32_e32 v170, 3, v170
	;; [unrolled: 1-line block ×5, first 2 shown]
	v_lshl_add_u32 v69, v69, 3, v163
	v_lshlrev_b32_e32 v163, 3, v172
	v_lshlrev_b32_e32 v172, 3, v214
	;; [unrolled: 1-line block ×11, first 2 shown]
	ds_store_b64 v69, v[38:39] offset:1024
	v_add3_u32 v38, v170, v169, v177
	v_add3_u32 v39, v173, v163, v172
	;; [unrolled: 1-line block ×5, first 2 shown]
	ds_store_b64 v38, v[40:41] offset:1024
	ds_store_b64 v39, v[42:43] offset:1024
	ds_store_b64 v70, v[46:47] offset:1024
	ds_store_b64 v71, v[52:53] offset:1024
	ds_store_b64 v72, v[56:57] offset:1024
	v_lshlrev_b32_e32 v40, 3, v185
	v_lshlrev_b32_e32 v41, 3, v184
	;; [unrolled: 1-line block ×15, first 2 shown]
	v_add3_u32 v40, v40, v41, v42
	v_add3_u32 v41, v43, v46, v47
	;; [unrolled: 1-line block ×5, first 2 shown]
	ds_store_b64 v40, v[60:61] offset:1024
	ds_store_b64 v41, v[64:65] offset:1024
	;; [unrolled: 1-line block ×5, first 2 shown]
	v_lshlrev_b32_e32 v47, 3, v200
	v_lshlrev_b32_e32 v52, 3, v199
	;; [unrolled: 1-line block ×15, first 2 shown]
	v_add3_u32 v47, v47, v52, v53
	v_add3_u32 v52, v56, v57, v58
	;; [unrolled: 1-line block ×5, first 2 shown]
	v_cmp_lt_u32_e32 vcc_lo, v1, v162
	ds_store_b64 v47, v[54:55] offset:1024
	ds_store_b64 v52, v[50:51] offset:1024
	;; [unrolled: 1-line block ×5, first 2 shown]
	s_wait_loadcnt_dscnt 0x0
	s_barrier_signal -1
	s_barrier_wait -1
	global_inv scope:SCOPE_SE
	s_and_saveexec_b32 s16, vcc_lo
	s_cbranch_execnz .LBB739_543
; %bb.475:                              ;   in Loop: Header=BB739_396 Depth=2
	s_wait_alu 0xfffe
	s_or_b32 exec_lo, exec_lo, s16
	v_cmp_lt_u32_e64 s15, v77, v162
	s_and_saveexec_b32 s17, s15
	s_cbranch_execnz .LBB739_544
.LBB739_476:                            ;   in Loop: Header=BB739_396 Depth=2
	s_wait_alu 0xfffe
	s_or_b32 exec_lo, exec_lo, s17
	v_cmp_lt_u32_e64 s16, v78, v162
	s_and_saveexec_b32 s18, s16
	s_cbranch_execnz .LBB739_545
.LBB739_477:                            ;   in Loop: Header=BB739_396 Depth=2
	s_wait_alu 0xfffe
	s_or_b32 exec_lo, exec_lo, s18
	v_cmp_lt_u32_e64 s17, v79, v162
	s_and_saveexec_b32 s19, s17
	s_cbranch_execnz .LBB739_546
.LBB739_478:                            ;   in Loop: Header=BB739_396 Depth=2
	s_wait_alu 0xfffe
	s_or_b32 exec_lo, exec_lo, s19
	v_cmp_lt_u32_e64 s18, v82, v162
	s_and_saveexec_b32 s20, s18
	s_cbranch_execnz .LBB739_547
.LBB739_479:                            ;   in Loop: Header=BB739_396 Depth=2
	s_wait_alu 0xfffe
	s_or_b32 exec_lo, exec_lo, s20
	v_cmp_lt_u32_e64 s19, v83, v162
	s_and_saveexec_b32 s21, s19
	s_cbranch_execnz .LBB739_548
.LBB739_480:                            ;   in Loop: Header=BB739_396 Depth=2
	s_wait_alu 0xfffe
	s_or_b32 exec_lo, exec_lo, s21
	v_cmp_lt_u32_e64 s20, v84, v162
	s_and_saveexec_b32 s22, s20
	s_cbranch_execnz .LBB739_549
.LBB739_481:                            ;   in Loop: Header=BB739_396 Depth=2
	s_wait_alu 0xfffe
	s_or_b32 exec_lo, exec_lo, s22
	v_cmp_lt_u32_e64 s21, v85, v162
	s_and_saveexec_b32 s23, s21
	s_cbranch_execnz .LBB739_550
.LBB739_482:                            ;   in Loop: Header=BB739_396 Depth=2
	s_wait_alu 0xfffe
	s_or_b32 exec_lo, exec_lo, s23
	v_cmp_lt_u32_e64 s22, v86, v162
	s_and_saveexec_b32 s24, s22
	s_cbranch_execnz .LBB739_551
.LBB739_483:                            ;   in Loop: Header=BB739_396 Depth=2
	s_wait_alu 0xfffe
	s_or_b32 exec_lo, exec_lo, s24
	v_cmp_lt_u32_e64 s23, v87, v162
	s_and_saveexec_b32 s25, s23
	s_cbranch_execnz .LBB739_552
.LBB739_484:                            ;   in Loop: Header=BB739_396 Depth=2
	s_wait_alu 0xfffe
	s_or_b32 exec_lo, exec_lo, s25
	v_cmp_lt_u32_e64 s24, v88, v162
	s_and_saveexec_b32 s26, s24
	s_cbranch_execnz .LBB739_553
.LBB739_485:                            ;   in Loop: Header=BB739_396 Depth=2
	s_wait_alu 0xfffe
	s_or_b32 exec_lo, exec_lo, s26
	v_cmp_lt_u32_e64 s25, v89, v162
	s_and_saveexec_b32 s27, s25
	s_cbranch_execnz .LBB739_554
.LBB739_486:                            ;   in Loop: Header=BB739_396 Depth=2
	s_wait_alu 0xfffe
	s_or_b32 exec_lo, exec_lo, s27
	v_cmp_lt_u32_e64 s26, v90, v162
	s_and_saveexec_b32 s28, s26
	s_cbranch_execnz .LBB739_555
.LBB739_487:                            ;   in Loop: Header=BB739_396 Depth=2
	s_wait_alu 0xfffe
	s_or_b32 exec_lo, exec_lo, s28
	v_cmp_lt_u32_e64 s27, v91, v162
	s_and_saveexec_b32 s29, s27
	s_cbranch_execnz .LBB739_556
.LBB739_488:                            ;   in Loop: Header=BB739_396 Depth=2
	s_wait_alu 0xfffe
	s_or_b32 exec_lo, exec_lo, s29
	v_cmp_lt_u32_e64 s28, v92, v162
	s_and_saveexec_b32 s30, s28
	s_cbranch_execnz .LBB739_557
.LBB739_489:                            ;   in Loop: Header=BB739_396 Depth=2
	s_wait_alu 0xfffe
	s_or_b32 exec_lo, exec_lo, s30
	v_cmp_lt_u32_e64 s29, v93, v162
	s_and_saveexec_b32 s58, s29
	s_cbranch_execz .LBB739_491
.LBB739_490:                            ;   in Loop: Header=BB739_396 Depth=2
	ds_load_b64 v[36:37], v108 offset:31744
	s_wait_dscnt 0x0
	v_lshrrev_b64 v[44:45], s48, v[36:37]
	v_xor_b32_e32 v37, 0x7fffffff, v37
	v_not_b32_e32 v36, v36
	s_delay_alu instid0(VALU_DEP_3) | instskip(NEXT) | instid1(VALU_DEP_1)
	v_dual_mov_b32 v45, v2 :: v_dual_and_b32 v44, s55, v44
	v_lshlrev_b32_e32 v44, 2, v44
	ds_load_b32 v44, v44
	s_wait_dscnt 0x0
	v_add_nc_u32_e32 v44, v44, v93
	s_delay_alu instid0(VALU_DEP_1) | instskip(NEXT) | instid1(VALU_DEP_1)
	v_lshlrev_b64_e32 v[44:45], 3, v[44:45]
	v_add_co_u32 v44, s30, s40, v44
	s_wait_alu 0xf1ff
	s_delay_alu instid0(VALU_DEP_2)
	v_add_co_ci_u32_e64 v45, null, s41, v45, s30
	global_store_b64 v[44:45], v[36:37], off
.LBB739_491:                            ;   in Loop: Header=BB739_396 Depth=2
	s_wait_alu 0xfffe
	s_or_b32 exec_lo, exec_lo, s58
	s_lshl_b64 s[58:59], s[34:35], 3
	s_wait_alu 0xfffe
	v_add_co_u32 v36, s30, v126, s58
	s_wait_alu 0xf1ff
	v_add_co_ci_u32_e64 v37, null, s59, v127, s30
	v_cmp_lt_u32_e64 s30, v125, v162
	s_and_saveexec_b32 s34, s30
	s_wait_alu 0xfffe
	s_xor_b32 s30, exec_lo, s34
	s_cbranch_execnz .LBB739_558
; %bb.492:                              ;   in Loop: Header=BB739_396 Depth=2
	s_wait_alu 0xfffe
	s_or_b32 exec_lo, exec_lo, s30
	s_delay_alu instid0(SALU_CYCLE_1)
	s_mov_b32 s34, exec_lo
	v_cmpx_lt_u32_e64 v128, v162
	s_cbranch_execnz .LBB739_559
.LBB739_493:                            ;   in Loop: Header=BB739_396 Depth=2
	s_wait_alu 0xfffe
	s_or_b32 exec_lo, exec_lo, s34
	s_delay_alu instid0(SALU_CYCLE_1)
	s_mov_b32 s34, exec_lo
	v_cmpx_lt_u32_e64 v129, v162
	s_cbranch_execnz .LBB739_560
.LBB739_494:                            ;   in Loop: Header=BB739_396 Depth=2
	s_wait_alu 0xfffe
	s_or_b32 exec_lo, exec_lo, s34
	s_delay_alu instid0(SALU_CYCLE_1)
	s_mov_b32 s34, exec_lo
	v_cmpx_lt_u32_e64 v130, v162
	s_cbranch_execnz .LBB739_561
.LBB739_495:                            ;   in Loop: Header=BB739_396 Depth=2
	s_wait_alu 0xfffe
	s_or_b32 exec_lo, exec_lo, s34
	s_delay_alu instid0(SALU_CYCLE_1)
	s_mov_b32 s34, exec_lo
	v_cmpx_lt_u32_e64 v131, v162
	s_cbranch_execnz .LBB739_562
.LBB739_496:                            ;   in Loop: Header=BB739_396 Depth=2
	s_wait_alu 0xfffe
	s_or_b32 exec_lo, exec_lo, s34
	s_delay_alu instid0(SALU_CYCLE_1)
	s_mov_b32 s34, exec_lo
	v_cmpx_lt_u32_e64 v132, v162
	s_cbranch_execnz .LBB739_563
.LBB739_497:                            ;   in Loop: Header=BB739_396 Depth=2
	s_wait_alu 0xfffe
	s_or_b32 exec_lo, exec_lo, s34
	s_delay_alu instid0(SALU_CYCLE_1)
	s_mov_b32 s34, exec_lo
	v_cmpx_lt_u32_e64 v133, v162
	s_cbranch_execnz .LBB739_564
.LBB739_498:                            ;   in Loop: Header=BB739_396 Depth=2
	s_wait_alu 0xfffe
	s_or_b32 exec_lo, exec_lo, s34
	s_delay_alu instid0(SALU_CYCLE_1)
	s_mov_b32 s34, exec_lo
	v_cmpx_lt_u32_e64 v134, v162
	s_cbranch_execnz .LBB739_565
.LBB739_499:                            ;   in Loop: Header=BB739_396 Depth=2
	s_wait_alu 0xfffe
	s_or_b32 exec_lo, exec_lo, s34
	s_delay_alu instid0(SALU_CYCLE_1)
	s_mov_b32 s34, exec_lo
	v_cmpx_lt_u32_e64 v135, v162
	s_cbranch_execnz .LBB739_566
.LBB739_500:                            ;   in Loop: Header=BB739_396 Depth=2
	s_wait_alu 0xfffe
	s_or_b32 exec_lo, exec_lo, s34
	s_delay_alu instid0(SALU_CYCLE_1)
	s_mov_b32 s34, exec_lo
	v_cmpx_lt_u32_e64 v136, v162
	s_cbranch_execnz .LBB739_567
.LBB739_501:                            ;   in Loop: Header=BB739_396 Depth=2
	s_wait_alu 0xfffe
	s_or_b32 exec_lo, exec_lo, s34
	s_delay_alu instid0(SALU_CYCLE_1)
	s_mov_b32 s34, exec_lo
	v_cmpx_lt_u32_e64 v137, v162
	s_cbranch_execnz .LBB739_568
.LBB739_502:                            ;   in Loop: Header=BB739_396 Depth=2
	s_wait_alu 0xfffe
	s_or_b32 exec_lo, exec_lo, s34
	s_delay_alu instid0(SALU_CYCLE_1)
	s_mov_b32 s34, exec_lo
	v_cmpx_lt_u32_e64 v138, v162
	s_cbranch_execnz .LBB739_569
.LBB739_503:                            ;   in Loop: Header=BB739_396 Depth=2
	s_wait_alu 0xfffe
	s_or_b32 exec_lo, exec_lo, s34
	s_delay_alu instid0(SALU_CYCLE_1)
	s_mov_b32 s34, exec_lo
	v_cmpx_lt_u32_e64 v139, v162
	s_cbranch_execnz .LBB739_570
.LBB739_504:                            ;   in Loop: Header=BB739_396 Depth=2
	s_wait_alu 0xfffe
	s_or_b32 exec_lo, exec_lo, s34
	s_delay_alu instid0(SALU_CYCLE_1)
	s_mov_b32 s34, exec_lo
	v_cmpx_lt_u32_e64 v140, v162
	s_cbranch_execnz .LBB739_571
.LBB739_505:                            ;   in Loop: Header=BB739_396 Depth=2
	s_wait_alu 0xfffe
	s_or_b32 exec_lo, exec_lo, s34
	s_delay_alu instid0(SALU_CYCLE_1)
	s_mov_b32 s34, exec_lo
	v_cmpx_lt_u32_e64 v141, v162
	s_cbranch_execnz .LBB739_572
.LBB739_506:                            ;   in Loop: Header=BB739_396 Depth=2
	s_wait_alu 0xfffe
	s_or_b32 exec_lo, exec_lo, s34
	s_delay_alu instid0(SALU_CYCLE_1)
	s_mov_b32 s34, exec_lo
	v_cmpx_lt_u32_e64 v142, v162
	s_cbranch_execnz .LBB739_573
.LBB739_507:                            ;   in Loop: Header=BB739_396 Depth=2
	s_wait_alu 0xfffe
	s_or_b32 exec_lo, exec_lo, s34
	s_and_saveexec_b32 s30, vcc_lo
	s_cbranch_execnz .LBB739_574
.LBB739_508:                            ;   in Loop: Header=BB739_396 Depth=2
	s_wait_alu 0xfffe
	s_or_b32 exec_lo, exec_lo, s30
	s_and_saveexec_b32 s30, s15
	s_cbranch_execnz .LBB739_575
.LBB739_509:                            ;   in Loop: Header=BB739_396 Depth=2
	s_wait_alu 0xfffe
	s_or_b32 exec_lo, exec_lo, s30
	s_and_saveexec_b32 s30, s16
	s_cbranch_execnz .LBB739_576
.LBB739_510:                            ;   in Loop: Header=BB739_396 Depth=2
	s_wait_alu 0xfffe
	s_or_b32 exec_lo, exec_lo, s30
	s_and_saveexec_b32 s30, s17
	s_cbranch_execnz .LBB739_577
.LBB739_511:                            ;   in Loop: Header=BB739_396 Depth=2
	s_wait_alu 0xfffe
	s_or_b32 exec_lo, exec_lo, s30
	s_and_saveexec_b32 s30, s18
	s_cbranch_execnz .LBB739_578
.LBB739_512:                            ;   in Loop: Header=BB739_396 Depth=2
	s_wait_alu 0xfffe
	s_or_b32 exec_lo, exec_lo, s30
	s_and_saveexec_b32 s30, s19
	s_cbranch_execnz .LBB739_579
.LBB739_513:                            ;   in Loop: Header=BB739_396 Depth=2
	s_wait_alu 0xfffe
	s_or_b32 exec_lo, exec_lo, s30
	s_and_saveexec_b32 s30, s20
	s_cbranch_execnz .LBB739_580
.LBB739_514:                            ;   in Loop: Header=BB739_396 Depth=2
	s_wait_alu 0xfffe
	s_or_b32 exec_lo, exec_lo, s30
	s_and_saveexec_b32 s30, s21
	s_cbranch_execnz .LBB739_581
.LBB739_515:                            ;   in Loop: Header=BB739_396 Depth=2
	s_wait_alu 0xfffe
	s_or_b32 exec_lo, exec_lo, s30
	s_and_saveexec_b32 s30, s22
	s_cbranch_execnz .LBB739_582
.LBB739_516:                            ;   in Loop: Header=BB739_396 Depth=2
	s_wait_alu 0xfffe
	s_or_b32 exec_lo, exec_lo, s30
	s_and_saveexec_b32 s30, s23
	s_cbranch_execnz .LBB739_583
.LBB739_517:                            ;   in Loop: Header=BB739_396 Depth=2
	s_wait_alu 0xfffe
	s_or_b32 exec_lo, exec_lo, s30
	s_and_saveexec_b32 s30, s24
	s_cbranch_execnz .LBB739_584
.LBB739_518:                            ;   in Loop: Header=BB739_396 Depth=2
	s_wait_alu 0xfffe
	s_or_b32 exec_lo, exec_lo, s30
	s_and_saveexec_b32 s30, s25
	s_cbranch_execnz .LBB739_585
.LBB739_519:                            ;   in Loop: Header=BB739_396 Depth=2
	s_wait_alu 0xfffe
	s_or_b32 exec_lo, exec_lo, s30
	s_and_saveexec_b32 s30, s26
	s_cbranch_execnz .LBB739_586
.LBB739_520:                            ;   in Loop: Header=BB739_396 Depth=2
	s_wait_alu 0xfffe
	s_or_b32 exec_lo, exec_lo, s30
	s_and_saveexec_b32 s30, s27
	s_cbranch_execnz .LBB739_587
.LBB739_521:                            ;   in Loop: Header=BB739_396 Depth=2
	s_wait_alu 0xfffe
	s_or_b32 exec_lo, exec_lo, s30
	s_and_saveexec_b32 s30, s28
	s_cbranch_execnz .LBB739_588
.LBB739_522:                            ;   in Loop: Header=BB739_396 Depth=2
	s_wait_alu 0xfffe
	s_or_b32 exec_lo, exec_lo, s30
	s_and_saveexec_b32 s30, s29
	s_cbranch_execz .LBB739_524
.LBB739_523:                            ;   in Loop: Header=BB739_396 Depth=2
	ds_load_b64 v[36:37], v108 offset:31744
	s_wait_dscnt 0x0
	v_lshrrev_b64 v[36:37], s48, v[36:37]
	s_delay_alu instid0(VALU_DEP_1)
	v_and_b32_e32 v146, s55, v36
.LBB739_524:                            ;   in Loop: Header=BB739_396 Depth=2
	s_wait_alu 0xfffe
	s_or_b32 exec_lo, exec_lo, s30
	s_wait_loadcnt 0x0
	s_wait_storecnt 0x0
	s_barrier_signal -1
	s_barrier_wait -1
	global_inv scope:SCOPE_SE
	ds_store_b64 v69, v[34:35] offset:1024
	ds_store_b64 v38, v[32:33] offset:1024
	;; [unrolled: 1-line block ×16, first 2 shown]
	s_wait_loadcnt_dscnt 0x0
	s_barrier_signal -1
	s_barrier_wait -1
	global_inv scope:SCOPE_SE
	s_and_saveexec_b32 s30, vcc_lo
	s_cbranch_execnz .LBB739_589
; %bb.525:                              ;   in Loop: Header=BB739_396 Depth=2
	s_wait_alu 0xfffe
	s_or_b32 exec_lo, exec_lo, s30
	s_and_saveexec_b32 s30, s15
	s_cbranch_execnz .LBB739_590
.LBB739_526:                            ;   in Loop: Header=BB739_396 Depth=2
	s_wait_alu 0xfffe
	s_or_b32 exec_lo, exec_lo, s30
	s_and_saveexec_b32 s15, s16
	s_cbranch_execnz .LBB739_591
.LBB739_527:                            ;   in Loop: Header=BB739_396 Depth=2
	s_wait_alu 0xfffe
	s_or_b32 exec_lo, exec_lo, s15
	s_and_saveexec_b32 s15, s17
	s_cbranch_execnz .LBB739_592
.LBB739_528:                            ;   in Loop: Header=BB739_396 Depth=2
	s_wait_alu 0xfffe
	s_or_b32 exec_lo, exec_lo, s15
	s_and_saveexec_b32 s15, s18
	s_cbranch_execnz .LBB739_593
.LBB739_529:                            ;   in Loop: Header=BB739_396 Depth=2
	s_wait_alu 0xfffe
	s_or_b32 exec_lo, exec_lo, s15
	s_and_saveexec_b32 s15, s19
	s_cbranch_execnz .LBB739_594
.LBB739_530:                            ;   in Loop: Header=BB739_396 Depth=2
	s_wait_alu 0xfffe
	s_or_b32 exec_lo, exec_lo, s15
	s_and_saveexec_b32 s15, s20
	s_cbranch_execnz .LBB739_595
.LBB739_531:                            ;   in Loop: Header=BB739_396 Depth=2
	s_wait_alu 0xfffe
	s_or_b32 exec_lo, exec_lo, s15
	s_and_saveexec_b32 s15, s21
	s_cbranch_execnz .LBB739_596
.LBB739_532:                            ;   in Loop: Header=BB739_396 Depth=2
	s_wait_alu 0xfffe
	s_or_b32 exec_lo, exec_lo, s15
	s_and_saveexec_b32 s15, s22
	s_cbranch_execnz .LBB739_597
.LBB739_533:                            ;   in Loop: Header=BB739_396 Depth=2
	s_wait_alu 0xfffe
	s_or_b32 exec_lo, exec_lo, s15
	s_and_saveexec_b32 s15, s23
	s_cbranch_execnz .LBB739_598
.LBB739_534:                            ;   in Loop: Header=BB739_396 Depth=2
	s_wait_alu 0xfffe
	s_or_b32 exec_lo, exec_lo, s15
	s_and_saveexec_b32 s15, s24
	s_cbranch_execnz .LBB739_599
.LBB739_535:                            ;   in Loop: Header=BB739_396 Depth=2
	s_wait_alu 0xfffe
	s_or_b32 exec_lo, exec_lo, s15
	s_and_saveexec_b32 s15, s25
	s_cbranch_execnz .LBB739_600
.LBB739_536:                            ;   in Loop: Header=BB739_396 Depth=2
	s_wait_alu 0xfffe
	s_or_b32 exec_lo, exec_lo, s15
	s_and_saveexec_b32 s15, s26
	s_cbranch_execnz .LBB739_601
.LBB739_537:                            ;   in Loop: Header=BB739_396 Depth=2
	s_wait_alu 0xfffe
	s_or_b32 exec_lo, exec_lo, s15
	s_and_saveexec_b32 s15, s27
	s_cbranch_execnz .LBB739_602
.LBB739_538:                            ;   in Loop: Header=BB739_396 Depth=2
	s_wait_alu 0xfffe
	s_or_b32 exec_lo, exec_lo, s15
	s_and_saveexec_b32 s15, s28
	s_cbranch_execnz .LBB739_603
.LBB739_539:                            ;   in Loop: Header=BB739_396 Depth=2
	s_wait_alu 0xfffe
	s_or_b32 exec_lo, exec_lo, s15
	s_and_saveexec_b32 s15, s29
	s_cbranch_execz .LBB739_541
.LBB739_540:                            ;   in Loop: Header=BB739_396 Depth=2
	v_dual_mov_b32 v39, v2 :: v_dual_lshlrev_b32 v36, 2, v146
	ds_load_b32 v38, v36
	ds_load_b64 v[36:37], v108 offset:31744
	s_wait_dscnt 0x1
	v_add_nc_u32_e32 v38, v38, v93
	s_delay_alu instid0(VALU_DEP_1) | instskip(NEXT) | instid1(VALU_DEP_1)
	v_lshlrev_b64_e32 v[38:39], 3, v[38:39]
	v_add_co_u32 v38, vcc_lo, s46, v38
	s_wait_alu 0xfffd
	s_delay_alu instid0(VALU_DEP_2)
	v_add_co_ci_u32_e64 v39, null, s47, v39, vcc_lo
	s_wait_dscnt 0x0
	global_store_b64 v[38:39], v[36:37], off
.LBB739_541:                            ;   in Loop: Header=BB739_396 Depth=2
	s_wait_alu 0xfffe
	s_or_b32 exec_lo, exec_lo, s15
	s_wait_loadcnt 0x0
	s_wait_storecnt 0x0
	s_barrier_signal -1
	s_barrier_wait -1
	global_inv scope:SCOPE_SE
	s_and_saveexec_b32 s15, s2
	s_cbranch_execz .LBB739_395
; %bb.542:                              ;   in Loop: Header=BB739_396 Depth=2
	ds_load_b32 v36, v76
	s_wait_dscnt 0x0
	v_add_nc_u32_e32 v36, v36, v68
	ds_store_b32 v76, v36
	s_branch .LBB739_395
.LBB739_543:                            ;   in Loop: Header=BB739_396 Depth=2
	ds_load_b64 v[36:37], v108 offset:1024
	s_wait_dscnt 0x0
	v_lshrrev_b64 v[44:45], s48, v[36:37]
	v_xor_b32_e32 v37, 0x7fffffff, v37
	v_not_b32_e32 v36, v36
	s_delay_alu instid0(VALU_DEP_3) | instskip(NEXT) | instid1(VALU_DEP_1)
	v_dual_mov_b32 v45, v2 :: v_dual_and_b32 v44, s55, v44
	v_lshlrev_b32_e32 v44, 2, v44
	ds_load_b32 v44, v44
	s_wait_dscnt 0x0
	v_add_nc_u32_e32 v44, v44, v1
	s_delay_alu instid0(VALU_DEP_1) | instskip(NEXT) | instid1(VALU_DEP_1)
	v_lshlrev_b64_e32 v[44:45], 3, v[44:45]
	v_add_co_u32 v44, s15, s40, v44
	s_wait_alu 0xf1ff
	s_delay_alu instid0(VALU_DEP_2)
	v_add_co_ci_u32_e64 v45, null, s41, v45, s15
	global_store_b64 v[44:45], v[36:37], off
	s_wait_alu 0xfffe
	s_or_b32 exec_lo, exec_lo, s16
	v_cmp_lt_u32_e64 s15, v77, v162
	s_and_saveexec_b32 s17, s15
	s_cbranch_execz .LBB739_476
.LBB739_544:                            ;   in Loop: Header=BB739_396 Depth=2
	ds_load_b64 v[36:37], v108 offset:3072
	s_wait_dscnt 0x0
	v_lshrrev_b64 v[44:45], s48, v[36:37]
	v_xor_b32_e32 v37, 0x7fffffff, v37
	v_not_b32_e32 v36, v36
	s_delay_alu instid0(VALU_DEP_3) | instskip(NEXT) | instid1(VALU_DEP_1)
	v_dual_mov_b32 v45, v2 :: v_dual_and_b32 v44, s55, v44
	v_lshlrev_b32_e32 v44, 2, v44
	ds_load_b32 v44, v44
	s_wait_dscnt 0x0
	v_add_nc_u32_e32 v44, v44, v77
	s_delay_alu instid0(VALU_DEP_1) | instskip(NEXT) | instid1(VALU_DEP_1)
	v_lshlrev_b64_e32 v[44:45], 3, v[44:45]
	v_add_co_u32 v44, s16, s40, v44
	s_wait_alu 0xf1ff
	s_delay_alu instid0(VALU_DEP_2)
	v_add_co_ci_u32_e64 v45, null, s41, v45, s16
	global_store_b64 v[44:45], v[36:37], off
	s_wait_alu 0xfffe
	s_or_b32 exec_lo, exec_lo, s17
	v_cmp_lt_u32_e64 s16, v78, v162
	s_and_saveexec_b32 s18, s16
	s_cbranch_execz .LBB739_477
.LBB739_545:                            ;   in Loop: Header=BB739_396 Depth=2
	ds_load_b64 v[36:37], v108 offset:5120
	s_wait_dscnt 0x0
	v_lshrrev_b64 v[44:45], s48, v[36:37]
	v_xor_b32_e32 v37, 0x7fffffff, v37
	v_not_b32_e32 v36, v36
	s_delay_alu instid0(VALU_DEP_3) | instskip(NEXT) | instid1(VALU_DEP_1)
	v_dual_mov_b32 v45, v2 :: v_dual_and_b32 v44, s55, v44
	v_lshlrev_b32_e32 v44, 2, v44
	ds_load_b32 v44, v44
	s_wait_dscnt 0x0
	v_add_nc_u32_e32 v44, v44, v78
	s_delay_alu instid0(VALU_DEP_1) | instskip(NEXT) | instid1(VALU_DEP_1)
	v_lshlrev_b64_e32 v[44:45], 3, v[44:45]
	v_add_co_u32 v44, s17, s40, v44
	s_wait_alu 0xf1ff
	s_delay_alu instid0(VALU_DEP_2)
	v_add_co_ci_u32_e64 v45, null, s41, v45, s17
	global_store_b64 v[44:45], v[36:37], off
	s_wait_alu 0xfffe
	s_or_b32 exec_lo, exec_lo, s18
	v_cmp_lt_u32_e64 s17, v79, v162
	s_and_saveexec_b32 s19, s17
	s_cbranch_execz .LBB739_478
.LBB739_546:                            ;   in Loop: Header=BB739_396 Depth=2
	ds_load_b64 v[36:37], v108 offset:7168
	s_wait_dscnt 0x0
	v_lshrrev_b64 v[44:45], s48, v[36:37]
	v_xor_b32_e32 v37, 0x7fffffff, v37
	v_not_b32_e32 v36, v36
	s_delay_alu instid0(VALU_DEP_3) | instskip(NEXT) | instid1(VALU_DEP_1)
	v_dual_mov_b32 v45, v2 :: v_dual_and_b32 v44, s55, v44
	v_lshlrev_b32_e32 v44, 2, v44
	ds_load_b32 v44, v44
	s_wait_dscnt 0x0
	v_add_nc_u32_e32 v44, v44, v79
	s_delay_alu instid0(VALU_DEP_1) | instskip(NEXT) | instid1(VALU_DEP_1)
	v_lshlrev_b64_e32 v[44:45], 3, v[44:45]
	v_add_co_u32 v44, s18, s40, v44
	s_wait_alu 0xf1ff
	s_delay_alu instid0(VALU_DEP_2)
	v_add_co_ci_u32_e64 v45, null, s41, v45, s18
	global_store_b64 v[44:45], v[36:37], off
	s_wait_alu 0xfffe
	s_or_b32 exec_lo, exec_lo, s19
	v_cmp_lt_u32_e64 s18, v82, v162
	s_and_saveexec_b32 s20, s18
	s_cbranch_execz .LBB739_479
.LBB739_547:                            ;   in Loop: Header=BB739_396 Depth=2
	ds_load_b64 v[36:37], v108 offset:9216
	s_wait_dscnt 0x0
	v_lshrrev_b64 v[44:45], s48, v[36:37]
	v_xor_b32_e32 v37, 0x7fffffff, v37
	v_not_b32_e32 v36, v36
	s_delay_alu instid0(VALU_DEP_3) | instskip(NEXT) | instid1(VALU_DEP_1)
	v_dual_mov_b32 v45, v2 :: v_dual_and_b32 v44, s55, v44
	v_lshlrev_b32_e32 v44, 2, v44
	ds_load_b32 v44, v44
	s_wait_dscnt 0x0
	v_add_nc_u32_e32 v44, v44, v82
	s_delay_alu instid0(VALU_DEP_1) | instskip(NEXT) | instid1(VALU_DEP_1)
	v_lshlrev_b64_e32 v[44:45], 3, v[44:45]
	v_add_co_u32 v44, s19, s40, v44
	s_wait_alu 0xf1ff
	s_delay_alu instid0(VALU_DEP_2)
	v_add_co_ci_u32_e64 v45, null, s41, v45, s19
	global_store_b64 v[44:45], v[36:37], off
	s_wait_alu 0xfffe
	s_or_b32 exec_lo, exec_lo, s20
	v_cmp_lt_u32_e64 s19, v83, v162
	s_and_saveexec_b32 s21, s19
	s_cbranch_execz .LBB739_480
.LBB739_548:                            ;   in Loop: Header=BB739_396 Depth=2
	ds_load_b64 v[36:37], v108 offset:11264
	s_wait_dscnt 0x0
	v_lshrrev_b64 v[44:45], s48, v[36:37]
	v_xor_b32_e32 v37, 0x7fffffff, v37
	v_not_b32_e32 v36, v36
	s_delay_alu instid0(VALU_DEP_3) | instskip(NEXT) | instid1(VALU_DEP_1)
	v_dual_mov_b32 v45, v2 :: v_dual_and_b32 v44, s55, v44
	v_lshlrev_b32_e32 v44, 2, v44
	ds_load_b32 v44, v44
	s_wait_dscnt 0x0
	v_add_nc_u32_e32 v44, v44, v83
	s_delay_alu instid0(VALU_DEP_1) | instskip(NEXT) | instid1(VALU_DEP_1)
	v_lshlrev_b64_e32 v[44:45], 3, v[44:45]
	v_add_co_u32 v44, s20, s40, v44
	s_wait_alu 0xf1ff
	s_delay_alu instid0(VALU_DEP_2)
	v_add_co_ci_u32_e64 v45, null, s41, v45, s20
	global_store_b64 v[44:45], v[36:37], off
	s_wait_alu 0xfffe
	s_or_b32 exec_lo, exec_lo, s21
	v_cmp_lt_u32_e64 s20, v84, v162
	s_and_saveexec_b32 s22, s20
	s_cbranch_execz .LBB739_481
.LBB739_549:                            ;   in Loop: Header=BB739_396 Depth=2
	ds_load_b64 v[36:37], v108 offset:13312
	s_wait_dscnt 0x0
	v_lshrrev_b64 v[44:45], s48, v[36:37]
	v_xor_b32_e32 v37, 0x7fffffff, v37
	v_not_b32_e32 v36, v36
	s_delay_alu instid0(VALU_DEP_3) | instskip(NEXT) | instid1(VALU_DEP_1)
	v_dual_mov_b32 v45, v2 :: v_dual_and_b32 v44, s55, v44
	v_lshlrev_b32_e32 v44, 2, v44
	ds_load_b32 v44, v44
	s_wait_dscnt 0x0
	v_add_nc_u32_e32 v44, v44, v84
	s_delay_alu instid0(VALU_DEP_1) | instskip(NEXT) | instid1(VALU_DEP_1)
	v_lshlrev_b64_e32 v[44:45], 3, v[44:45]
	v_add_co_u32 v44, s21, s40, v44
	s_wait_alu 0xf1ff
	s_delay_alu instid0(VALU_DEP_2)
	v_add_co_ci_u32_e64 v45, null, s41, v45, s21
	global_store_b64 v[44:45], v[36:37], off
	s_wait_alu 0xfffe
	s_or_b32 exec_lo, exec_lo, s22
	v_cmp_lt_u32_e64 s21, v85, v162
	s_and_saveexec_b32 s23, s21
	s_cbranch_execz .LBB739_482
.LBB739_550:                            ;   in Loop: Header=BB739_396 Depth=2
	ds_load_b64 v[36:37], v108 offset:15360
	s_wait_dscnt 0x0
	v_lshrrev_b64 v[44:45], s48, v[36:37]
	v_xor_b32_e32 v37, 0x7fffffff, v37
	v_not_b32_e32 v36, v36
	s_delay_alu instid0(VALU_DEP_3) | instskip(NEXT) | instid1(VALU_DEP_1)
	v_dual_mov_b32 v45, v2 :: v_dual_and_b32 v44, s55, v44
	v_lshlrev_b32_e32 v44, 2, v44
	ds_load_b32 v44, v44
	s_wait_dscnt 0x0
	v_add_nc_u32_e32 v44, v44, v85
	s_delay_alu instid0(VALU_DEP_1) | instskip(NEXT) | instid1(VALU_DEP_1)
	v_lshlrev_b64_e32 v[44:45], 3, v[44:45]
	v_add_co_u32 v44, s22, s40, v44
	s_wait_alu 0xf1ff
	s_delay_alu instid0(VALU_DEP_2)
	v_add_co_ci_u32_e64 v45, null, s41, v45, s22
	global_store_b64 v[44:45], v[36:37], off
	s_wait_alu 0xfffe
	s_or_b32 exec_lo, exec_lo, s23
	v_cmp_lt_u32_e64 s22, v86, v162
	s_and_saveexec_b32 s24, s22
	s_cbranch_execz .LBB739_483
.LBB739_551:                            ;   in Loop: Header=BB739_396 Depth=2
	ds_load_b64 v[36:37], v108 offset:17408
	s_wait_dscnt 0x0
	v_lshrrev_b64 v[44:45], s48, v[36:37]
	v_xor_b32_e32 v37, 0x7fffffff, v37
	v_not_b32_e32 v36, v36
	s_delay_alu instid0(VALU_DEP_3) | instskip(NEXT) | instid1(VALU_DEP_1)
	v_dual_mov_b32 v45, v2 :: v_dual_and_b32 v44, s55, v44
	v_lshlrev_b32_e32 v44, 2, v44
	ds_load_b32 v44, v44
	s_wait_dscnt 0x0
	v_add_nc_u32_e32 v44, v44, v86
	s_delay_alu instid0(VALU_DEP_1) | instskip(NEXT) | instid1(VALU_DEP_1)
	v_lshlrev_b64_e32 v[44:45], 3, v[44:45]
	v_add_co_u32 v44, s23, s40, v44
	s_wait_alu 0xf1ff
	s_delay_alu instid0(VALU_DEP_2)
	v_add_co_ci_u32_e64 v45, null, s41, v45, s23
	global_store_b64 v[44:45], v[36:37], off
	s_wait_alu 0xfffe
	s_or_b32 exec_lo, exec_lo, s24
	v_cmp_lt_u32_e64 s23, v87, v162
	s_and_saveexec_b32 s25, s23
	s_cbranch_execz .LBB739_484
.LBB739_552:                            ;   in Loop: Header=BB739_396 Depth=2
	ds_load_b64 v[36:37], v108 offset:19456
	s_wait_dscnt 0x0
	v_lshrrev_b64 v[44:45], s48, v[36:37]
	v_xor_b32_e32 v37, 0x7fffffff, v37
	v_not_b32_e32 v36, v36
	s_delay_alu instid0(VALU_DEP_3) | instskip(NEXT) | instid1(VALU_DEP_1)
	v_dual_mov_b32 v45, v2 :: v_dual_and_b32 v44, s55, v44
	v_lshlrev_b32_e32 v44, 2, v44
	ds_load_b32 v44, v44
	s_wait_dscnt 0x0
	v_add_nc_u32_e32 v44, v44, v87
	s_delay_alu instid0(VALU_DEP_1) | instskip(NEXT) | instid1(VALU_DEP_1)
	v_lshlrev_b64_e32 v[44:45], 3, v[44:45]
	v_add_co_u32 v44, s24, s40, v44
	s_wait_alu 0xf1ff
	s_delay_alu instid0(VALU_DEP_2)
	v_add_co_ci_u32_e64 v45, null, s41, v45, s24
	global_store_b64 v[44:45], v[36:37], off
	s_wait_alu 0xfffe
	s_or_b32 exec_lo, exec_lo, s25
	v_cmp_lt_u32_e64 s24, v88, v162
	s_and_saveexec_b32 s26, s24
	s_cbranch_execz .LBB739_485
.LBB739_553:                            ;   in Loop: Header=BB739_396 Depth=2
	ds_load_b64 v[36:37], v108 offset:21504
	s_wait_dscnt 0x0
	v_lshrrev_b64 v[44:45], s48, v[36:37]
	v_xor_b32_e32 v37, 0x7fffffff, v37
	v_not_b32_e32 v36, v36
	s_delay_alu instid0(VALU_DEP_3) | instskip(NEXT) | instid1(VALU_DEP_1)
	v_dual_mov_b32 v45, v2 :: v_dual_and_b32 v44, s55, v44
	v_lshlrev_b32_e32 v44, 2, v44
	ds_load_b32 v44, v44
	s_wait_dscnt 0x0
	v_add_nc_u32_e32 v44, v44, v88
	s_delay_alu instid0(VALU_DEP_1) | instskip(NEXT) | instid1(VALU_DEP_1)
	v_lshlrev_b64_e32 v[44:45], 3, v[44:45]
	v_add_co_u32 v44, s25, s40, v44
	s_wait_alu 0xf1ff
	s_delay_alu instid0(VALU_DEP_2)
	v_add_co_ci_u32_e64 v45, null, s41, v45, s25
	global_store_b64 v[44:45], v[36:37], off
	s_wait_alu 0xfffe
	s_or_b32 exec_lo, exec_lo, s26
	v_cmp_lt_u32_e64 s25, v89, v162
	s_and_saveexec_b32 s27, s25
	s_cbranch_execz .LBB739_486
.LBB739_554:                            ;   in Loop: Header=BB739_396 Depth=2
	ds_load_b64 v[36:37], v108 offset:23552
	s_wait_dscnt 0x0
	v_lshrrev_b64 v[44:45], s48, v[36:37]
	v_xor_b32_e32 v37, 0x7fffffff, v37
	v_not_b32_e32 v36, v36
	s_delay_alu instid0(VALU_DEP_3) | instskip(NEXT) | instid1(VALU_DEP_1)
	v_dual_mov_b32 v45, v2 :: v_dual_and_b32 v44, s55, v44
	v_lshlrev_b32_e32 v44, 2, v44
	ds_load_b32 v44, v44
	s_wait_dscnt 0x0
	v_add_nc_u32_e32 v44, v44, v89
	s_delay_alu instid0(VALU_DEP_1) | instskip(NEXT) | instid1(VALU_DEP_1)
	v_lshlrev_b64_e32 v[44:45], 3, v[44:45]
	v_add_co_u32 v44, s26, s40, v44
	s_wait_alu 0xf1ff
	s_delay_alu instid0(VALU_DEP_2)
	v_add_co_ci_u32_e64 v45, null, s41, v45, s26
	global_store_b64 v[44:45], v[36:37], off
	s_wait_alu 0xfffe
	s_or_b32 exec_lo, exec_lo, s27
	v_cmp_lt_u32_e64 s26, v90, v162
	s_and_saveexec_b32 s28, s26
	s_cbranch_execz .LBB739_487
.LBB739_555:                            ;   in Loop: Header=BB739_396 Depth=2
	ds_load_b64 v[36:37], v108 offset:25600
	s_wait_dscnt 0x0
	v_lshrrev_b64 v[44:45], s48, v[36:37]
	v_xor_b32_e32 v37, 0x7fffffff, v37
	v_not_b32_e32 v36, v36
	s_delay_alu instid0(VALU_DEP_3) | instskip(NEXT) | instid1(VALU_DEP_1)
	v_dual_mov_b32 v45, v2 :: v_dual_and_b32 v44, s55, v44
	v_lshlrev_b32_e32 v44, 2, v44
	ds_load_b32 v44, v44
	s_wait_dscnt 0x0
	v_add_nc_u32_e32 v44, v44, v90
	s_delay_alu instid0(VALU_DEP_1) | instskip(NEXT) | instid1(VALU_DEP_1)
	v_lshlrev_b64_e32 v[44:45], 3, v[44:45]
	v_add_co_u32 v44, s27, s40, v44
	s_wait_alu 0xf1ff
	s_delay_alu instid0(VALU_DEP_2)
	v_add_co_ci_u32_e64 v45, null, s41, v45, s27
	global_store_b64 v[44:45], v[36:37], off
	s_wait_alu 0xfffe
	s_or_b32 exec_lo, exec_lo, s28
	v_cmp_lt_u32_e64 s27, v91, v162
	s_and_saveexec_b32 s29, s27
	s_cbranch_execz .LBB739_488
.LBB739_556:                            ;   in Loop: Header=BB739_396 Depth=2
	ds_load_b64 v[36:37], v108 offset:27648
	s_wait_dscnt 0x0
	v_lshrrev_b64 v[44:45], s48, v[36:37]
	v_xor_b32_e32 v37, 0x7fffffff, v37
	v_not_b32_e32 v36, v36
	s_delay_alu instid0(VALU_DEP_3) | instskip(NEXT) | instid1(VALU_DEP_1)
	v_dual_mov_b32 v45, v2 :: v_dual_and_b32 v44, s55, v44
	v_lshlrev_b32_e32 v44, 2, v44
	ds_load_b32 v44, v44
	s_wait_dscnt 0x0
	v_add_nc_u32_e32 v44, v44, v91
	s_delay_alu instid0(VALU_DEP_1) | instskip(NEXT) | instid1(VALU_DEP_1)
	v_lshlrev_b64_e32 v[44:45], 3, v[44:45]
	v_add_co_u32 v44, s28, s40, v44
	s_wait_alu 0xf1ff
	s_delay_alu instid0(VALU_DEP_2)
	v_add_co_ci_u32_e64 v45, null, s41, v45, s28
	global_store_b64 v[44:45], v[36:37], off
	s_wait_alu 0xfffe
	s_or_b32 exec_lo, exec_lo, s29
	v_cmp_lt_u32_e64 s28, v92, v162
	s_and_saveexec_b32 s30, s28
	s_cbranch_execz .LBB739_489
.LBB739_557:                            ;   in Loop: Header=BB739_396 Depth=2
	ds_load_b64 v[36:37], v108 offset:29696
	s_wait_dscnt 0x0
	v_lshrrev_b64 v[44:45], s48, v[36:37]
	v_xor_b32_e32 v37, 0x7fffffff, v37
	v_not_b32_e32 v36, v36
	s_delay_alu instid0(VALU_DEP_3) | instskip(NEXT) | instid1(VALU_DEP_1)
	v_dual_mov_b32 v45, v2 :: v_dual_and_b32 v44, s55, v44
	v_lshlrev_b32_e32 v44, 2, v44
	ds_load_b32 v44, v44
	s_wait_dscnt 0x0
	v_add_nc_u32_e32 v44, v44, v92
	s_delay_alu instid0(VALU_DEP_1) | instskip(NEXT) | instid1(VALU_DEP_1)
	v_lshlrev_b64_e32 v[44:45], 3, v[44:45]
	v_add_co_u32 v44, s29, s40, v44
	s_wait_alu 0xf1ff
	s_delay_alu instid0(VALU_DEP_2)
	v_add_co_ci_u32_e64 v45, null, s41, v45, s29
	global_store_b64 v[44:45], v[36:37], off
	s_wait_alu 0xfffe
	s_or_b32 exec_lo, exec_lo, s30
	v_cmp_lt_u32_e64 s29, v93, v162
	s_and_saveexec_b32 s58, s29
	s_cbranch_execnz .LBB739_490
	s_branch .LBB739_491
.LBB739_558:                            ;   in Loop: Header=BB739_396 Depth=2
	global_load_b64 v[34:35], v[36:37], off
	s_wait_alu 0xfffe
	s_or_b32 exec_lo, exec_lo, s30
	s_delay_alu instid0(SALU_CYCLE_1)
	s_mov_b32 s34, exec_lo
	v_cmpx_lt_u32_e64 v128, v162
	s_cbranch_execz .LBB739_493
.LBB739_559:                            ;   in Loop: Header=BB739_396 Depth=2
	global_load_b64 v[32:33], v[36:37], off offset:256
	s_wait_alu 0xfffe
	s_or_b32 exec_lo, exec_lo, s34
	s_delay_alu instid0(SALU_CYCLE_1)
	s_mov_b32 s34, exec_lo
	v_cmpx_lt_u32_e64 v129, v162
	s_cbranch_execz .LBB739_494
.LBB739_560:                            ;   in Loop: Header=BB739_396 Depth=2
	global_load_b64 v[30:31], v[36:37], off offset:512
	s_wait_alu 0xfffe
	s_or_b32 exec_lo, exec_lo, s34
	s_delay_alu instid0(SALU_CYCLE_1)
	s_mov_b32 s34, exec_lo
	v_cmpx_lt_u32_e64 v130, v162
	s_cbranch_execz .LBB739_495
.LBB739_561:                            ;   in Loop: Header=BB739_396 Depth=2
	global_load_b64 v[28:29], v[36:37], off offset:768
	s_wait_alu 0xfffe
	s_or_b32 exec_lo, exec_lo, s34
	s_delay_alu instid0(SALU_CYCLE_1)
	s_mov_b32 s34, exec_lo
	v_cmpx_lt_u32_e64 v131, v162
	s_cbranch_execz .LBB739_496
.LBB739_562:                            ;   in Loop: Header=BB739_396 Depth=2
	global_load_b64 v[26:27], v[36:37], off offset:1024
	s_wait_alu 0xfffe
	s_or_b32 exec_lo, exec_lo, s34
	s_delay_alu instid0(SALU_CYCLE_1)
	s_mov_b32 s34, exec_lo
	v_cmpx_lt_u32_e64 v132, v162
	s_cbranch_execz .LBB739_497
.LBB739_563:                            ;   in Loop: Header=BB739_396 Depth=2
	global_load_b64 v[24:25], v[36:37], off offset:1280
	s_wait_alu 0xfffe
	s_or_b32 exec_lo, exec_lo, s34
	s_delay_alu instid0(SALU_CYCLE_1)
	s_mov_b32 s34, exec_lo
	v_cmpx_lt_u32_e64 v133, v162
	s_cbranch_execz .LBB739_498
.LBB739_564:                            ;   in Loop: Header=BB739_396 Depth=2
	global_load_b64 v[22:23], v[36:37], off offset:1536
	s_wait_alu 0xfffe
	s_or_b32 exec_lo, exec_lo, s34
	s_delay_alu instid0(SALU_CYCLE_1)
	s_mov_b32 s34, exec_lo
	v_cmpx_lt_u32_e64 v134, v162
	s_cbranch_execz .LBB739_499
.LBB739_565:                            ;   in Loop: Header=BB739_396 Depth=2
	global_load_b64 v[20:21], v[36:37], off offset:1792
	s_wait_alu 0xfffe
	s_or_b32 exec_lo, exec_lo, s34
	s_delay_alu instid0(SALU_CYCLE_1)
	s_mov_b32 s34, exec_lo
	v_cmpx_lt_u32_e64 v135, v162
	s_cbranch_execz .LBB739_500
.LBB739_566:                            ;   in Loop: Header=BB739_396 Depth=2
	global_load_b64 v[18:19], v[36:37], off offset:2048
	s_wait_alu 0xfffe
	s_or_b32 exec_lo, exec_lo, s34
	s_delay_alu instid0(SALU_CYCLE_1)
	s_mov_b32 s34, exec_lo
	v_cmpx_lt_u32_e64 v136, v162
	s_cbranch_execz .LBB739_501
.LBB739_567:                            ;   in Loop: Header=BB739_396 Depth=2
	global_load_b64 v[16:17], v[36:37], off offset:2304
	s_wait_alu 0xfffe
	s_or_b32 exec_lo, exec_lo, s34
	s_delay_alu instid0(SALU_CYCLE_1)
	s_mov_b32 s34, exec_lo
	v_cmpx_lt_u32_e64 v137, v162
	s_cbranch_execz .LBB739_502
.LBB739_568:                            ;   in Loop: Header=BB739_396 Depth=2
	global_load_b64 v[14:15], v[36:37], off offset:2560
	s_wait_alu 0xfffe
	s_or_b32 exec_lo, exec_lo, s34
	s_delay_alu instid0(SALU_CYCLE_1)
	s_mov_b32 s34, exec_lo
	v_cmpx_lt_u32_e64 v138, v162
	s_cbranch_execz .LBB739_503
.LBB739_569:                            ;   in Loop: Header=BB739_396 Depth=2
	global_load_b64 v[12:13], v[36:37], off offset:2816
	s_wait_alu 0xfffe
	s_or_b32 exec_lo, exec_lo, s34
	s_delay_alu instid0(SALU_CYCLE_1)
	s_mov_b32 s34, exec_lo
	v_cmpx_lt_u32_e64 v139, v162
	s_cbranch_execz .LBB739_504
.LBB739_570:                            ;   in Loop: Header=BB739_396 Depth=2
	global_load_b64 v[10:11], v[36:37], off offset:3072
	s_wait_alu 0xfffe
	s_or_b32 exec_lo, exec_lo, s34
	s_delay_alu instid0(SALU_CYCLE_1)
	s_mov_b32 s34, exec_lo
	v_cmpx_lt_u32_e64 v140, v162
	s_cbranch_execz .LBB739_505
.LBB739_571:                            ;   in Loop: Header=BB739_396 Depth=2
	global_load_b64 v[8:9], v[36:37], off offset:3328
	s_wait_alu 0xfffe
	s_or_b32 exec_lo, exec_lo, s34
	s_delay_alu instid0(SALU_CYCLE_1)
	s_mov_b32 s34, exec_lo
	v_cmpx_lt_u32_e64 v141, v162
	s_cbranch_execz .LBB739_506
.LBB739_572:                            ;   in Loop: Header=BB739_396 Depth=2
	global_load_b64 v[6:7], v[36:37], off offset:3584
	s_wait_alu 0xfffe
	s_or_b32 exec_lo, exec_lo, s34
	s_delay_alu instid0(SALU_CYCLE_1)
	s_mov_b32 s34, exec_lo
	v_cmpx_lt_u32_e64 v142, v162
	s_cbranch_execz .LBB739_507
.LBB739_573:                            ;   in Loop: Header=BB739_396 Depth=2
	global_load_b64 v[4:5], v[36:37], off offset:3840
	s_wait_alu 0xfffe
	s_or_b32 exec_lo, exec_lo, s34
	s_and_saveexec_b32 s30, vcc_lo
	s_cbranch_execz .LBB739_508
.LBB739_574:                            ;   in Loop: Header=BB739_396 Depth=2
	ds_load_b64 v[36:37], v108 offset:1024
	s_wait_dscnt 0x0
	v_lshrrev_b64 v[36:37], s48, v[36:37]
	s_delay_alu instid0(VALU_DEP_1)
	v_and_b32_e32 v161, s55, v36
	s_wait_alu 0xfffe
	s_or_b32 exec_lo, exec_lo, s30
	s_and_saveexec_b32 s30, s15
	s_cbranch_execz .LBB739_509
.LBB739_575:                            ;   in Loop: Header=BB739_396 Depth=2
	ds_load_b64 v[36:37], v108 offset:3072
	s_wait_dscnt 0x0
	v_lshrrev_b64 v[36:37], s48, v[36:37]
	s_delay_alu instid0(VALU_DEP_1)
	v_and_b32_e32 v160, s55, v36
	s_wait_alu 0xfffe
	s_or_b32 exec_lo, exec_lo, s30
	s_and_saveexec_b32 s30, s16
	s_cbranch_execz .LBB739_510
.LBB739_576:                            ;   in Loop: Header=BB739_396 Depth=2
	ds_load_b64 v[36:37], v108 offset:5120
	s_wait_dscnt 0x0
	v_lshrrev_b64 v[36:37], s48, v[36:37]
	s_delay_alu instid0(VALU_DEP_1)
	v_and_b32_e32 v159, s55, v36
	s_wait_alu 0xfffe
	s_or_b32 exec_lo, exec_lo, s30
	s_and_saveexec_b32 s30, s17
	s_cbranch_execz .LBB739_511
.LBB739_577:                            ;   in Loop: Header=BB739_396 Depth=2
	ds_load_b64 v[36:37], v108 offset:7168
	s_wait_dscnt 0x0
	v_lshrrev_b64 v[36:37], s48, v[36:37]
	s_delay_alu instid0(VALU_DEP_1)
	v_and_b32_e32 v158, s55, v36
	s_wait_alu 0xfffe
	s_or_b32 exec_lo, exec_lo, s30
	s_and_saveexec_b32 s30, s18
	s_cbranch_execz .LBB739_512
.LBB739_578:                            ;   in Loop: Header=BB739_396 Depth=2
	ds_load_b64 v[36:37], v108 offset:9216
	s_wait_dscnt 0x0
	v_lshrrev_b64 v[36:37], s48, v[36:37]
	s_delay_alu instid0(VALU_DEP_1)
	v_and_b32_e32 v157, s55, v36
	s_wait_alu 0xfffe
	s_or_b32 exec_lo, exec_lo, s30
	s_and_saveexec_b32 s30, s19
	s_cbranch_execz .LBB739_513
.LBB739_579:                            ;   in Loop: Header=BB739_396 Depth=2
	ds_load_b64 v[36:37], v108 offset:11264
	s_wait_dscnt 0x0
	v_lshrrev_b64 v[36:37], s48, v[36:37]
	s_delay_alu instid0(VALU_DEP_1)
	v_and_b32_e32 v156, s55, v36
	s_wait_alu 0xfffe
	s_or_b32 exec_lo, exec_lo, s30
	s_and_saveexec_b32 s30, s20
	s_cbranch_execz .LBB739_514
.LBB739_580:                            ;   in Loop: Header=BB739_396 Depth=2
	ds_load_b64 v[36:37], v108 offset:13312
	s_wait_dscnt 0x0
	v_lshrrev_b64 v[36:37], s48, v[36:37]
	s_delay_alu instid0(VALU_DEP_1)
	v_and_b32_e32 v155, s55, v36
	s_wait_alu 0xfffe
	s_or_b32 exec_lo, exec_lo, s30
	s_and_saveexec_b32 s30, s21
	s_cbranch_execz .LBB739_515
.LBB739_581:                            ;   in Loop: Header=BB739_396 Depth=2
	ds_load_b64 v[36:37], v108 offset:15360
	s_wait_dscnt 0x0
	v_lshrrev_b64 v[36:37], s48, v[36:37]
	s_delay_alu instid0(VALU_DEP_1)
	v_and_b32_e32 v154, s55, v36
	s_wait_alu 0xfffe
	s_or_b32 exec_lo, exec_lo, s30
	s_and_saveexec_b32 s30, s22
	s_cbranch_execz .LBB739_516
.LBB739_582:                            ;   in Loop: Header=BB739_396 Depth=2
	ds_load_b64 v[36:37], v108 offset:17408
	s_wait_dscnt 0x0
	v_lshrrev_b64 v[36:37], s48, v[36:37]
	s_delay_alu instid0(VALU_DEP_1)
	v_and_b32_e32 v153, s55, v36
	s_wait_alu 0xfffe
	s_or_b32 exec_lo, exec_lo, s30
	s_and_saveexec_b32 s30, s23
	s_cbranch_execz .LBB739_517
.LBB739_583:                            ;   in Loop: Header=BB739_396 Depth=2
	ds_load_b64 v[36:37], v108 offset:19456
	s_wait_dscnt 0x0
	v_lshrrev_b64 v[36:37], s48, v[36:37]
	s_delay_alu instid0(VALU_DEP_1)
	v_and_b32_e32 v152, s55, v36
	s_wait_alu 0xfffe
	s_or_b32 exec_lo, exec_lo, s30
	s_and_saveexec_b32 s30, s24
	s_cbranch_execz .LBB739_518
.LBB739_584:                            ;   in Loop: Header=BB739_396 Depth=2
	ds_load_b64 v[36:37], v108 offset:21504
	s_wait_dscnt 0x0
	v_lshrrev_b64 v[36:37], s48, v[36:37]
	s_delay_alu instid0(VALU_DEP_1)
	v_and_b32_e32 v151, s55, v36
	s_wait_alu 0xfffe
	s_or_b32 exec_lo, exec_lo, s30
	s_and_saveexec_b32 s30, s25
	s_cbranch_execz .LBB739_519
.LBB739_585:                            ;   in Loop: Header=BB739_396 Depth=2
	ds_load_b64 v[36:37], v108 offset:23552
	s_wait_dscnt 0x0
	v_lshrrev_b64 v[36:37], s48, v[36:37]
	s_delay_alu instid0(VALU_DEP_1)
	v_and_b32_e32 v150, s55, v36
	s_wait_alu 0xfffe
	s_or_b32 exec_lo, exec_lo, s30
	s_and_saveexec_b32 s30, s26
	s_cbranch_execz .LBB739_520
.LBB739_586:                            ;   in Loop: Header=BB739_396 Depth=2
	ds_load_b64 v[36:37], v108 offset:25600
	s_wait_dscnt 0x0
	v_lshrrev_b64 v[36:37], s48, v[36:37]
	s_delay_alu instid0(VALU_DEP_1)
	v_and_b32_e32 v149, s55, v36
	s_wait_alu 0xfffe
	s_or_b32 exec_lo, exec_lo, s30
	s_and_saveexec_b32 s30, s27
	s_cbranch_execz .LBB739_521
.LBB739_587:                            ;   in Loop: Header=BB739_396 Depth=2
	ds_load_b64 v[36:37], v108 offset:27648
	s_wait_dscnt 0x0
	v_lshrrev_b64 v[36:37], s48, v[36:37]
	s_delay_alu instid0(VALU_DEP_1)
	v_and_b32_e32 v148, s55, v36
	s_wait_alu 0xfffe
	s_or_b32 exec_lo, exec_lo, s30
	s_and_saveexec_b32 s30, s28
	s_cbranch_execz .LBB739_522
.LBB739_588:                            ;   in Loop: Header=BB739_396 Depth=2
	ds_load_b64 v[36:37], v108 offset:29696
	s_wait_dscnt 0x0
	v_lshrrev_b64 v[36:37], s48, v[36:37]
	s_delay_alu instid0(VALU_DEP_1)
	v_and_b32_e32 v147, s55, v36
	s_wait_alu 0xfffe
	s_or_b32 exec_lo, exec_lo, s30
	s_and_saveexec_b32 s30, s29
	s_cbranch_execnz .LBB739_523
	s_branch .LBB739_524
.LBB739_589:                            ;   in Loop: Header=BB739_396 Depth=2
	v_dual_mov_b32 v39, v2 :: v_dual_lshlrev_b32 v36, 2, v161
	ds_load_b32 v38, v36
	ds_load_b64 v[36:37], v108 offset:1024
	s_wait_dscnt 0x1
	v_add_nc_u32_e32 v38, v38, v1
	s_delay_alu instid0(VALU_DEP_1) | instskip(NEXT) | instid1(VALU_DEP_1)
	v_lshlrev_b64_e32 v[38:39], 3, v[38:39]
	v_add_co_u32 v38, vcc_lo, s46, v38
	s_wait_alu 0xfffd
	s_delay_alu instid0(VALU_DEP_2)
	v_add_co_ci_u32_e64 v39, null, s47, v39, vcc_lo
	s_wait_dscnt 0x0
	global_store_b64 v[38:39], v[36:37], off
	s_wait_alu 0xfffe
	s_or_b32 exec_lo, exec_lo, s30
	s_and_saveexec_b32 s30, s15
	s_cbranch_execz .LBB739_526
.LBB739_590:                            ;   in Loop: Header=BB739_396 Depth=2
	v_dual_mov_b32 v39, v2 :: v_dual_lshlrev_b32 v36, 2, v160
	ds_load_b32 v38, v36
	ds_load_b64 v[36:37], v108 offset:3072
	s_wait_dscnt 0x1
	v_add_nc_u32_e32 v38, v38, v77
	s_delay_alu instid0(VALU_DEP_1) | instskip(NEXT) | instid1(VALU_DEP_1)
	v_lshlrev_b64_e32 v[38:39], 3, v[38:39]
	v_add_co_u32 v38, vcc_lo, s46, v38
	s_wait_alu 0xfffd
	s_delay_alu instid0(VALU_DEP_2)
	v_add_co_ci_u32_e64 v39, null, s47, v39, vcc_lo
	s_wait_dscnt 0x0
	global_store_b64 v[38:39], v[36:37], off
	s_wait_alu 0xfffe
	s_or_b32 exec_lo, exec_lo, s30
	s_and_saveexec_b32 s15, s16
	s_cbranch_execz .LBB739_527
.LBB739_591:                            ;   in Loop: Header=BB739_396 Depth=2
	v_dual_mov_b32 v39, v2 :: v_dual_lshlrev_b32 v36, 2, v159
	ds_load_b32 v38, v36
	ds_load_b64 v[36:37], v108 offset:5120
	s_wait_dscnt 0x1
	v_add_nc_u32_e32 v38, v38, v78
	s_delay_alu instid0(VALU_DEP_1) | instskip(NEXT) | instid1(VALU_DEP_1)
	v_lshlrev_b64_e32 v[38:39], 3, v[38:39]
	v_add_co_u32 v38, vcc_lo, s46, v38
	s_wait_alu 0xfffd
	s_delay_alu instid0(VALU_DEP_2)
	v_add_co_ci_u32_e64 v39, null, s47, v39, vcc_lo
	s_wait_dscnt 0x0
	global_store_b64 v[38:39], v[36:37], off
	s_wait_alu 0xfffe
	s_or_b32 exec_lo, exec_lo, s15
	s_and_saveexec_b32 s15, s17
	s_cbranch_execz .LBB739_528
.LBB739_592:                            ;   in Loop: Header=BB739_396 Depth=2
	v_dual_mov_b32 v39, v2 :: v_dual_lshlrev_b32 v36, 2, v158
	ds_load_b32 v38, v36
	ds_load_b64 v[36:37], v108 offset:7168
	s_wait_dscnt 0x1
	v_add_nc_u32_e32 v38, v38, v79
	s_delay_alu instid0(VALU_DEP_1) | instskip(NEXT) | instid1(VALU_DEP_1)
	v_lshlrev_b64_e32 v[38:39], 3, v[38:39]
	v_add_co_u32 v38, vcc_lo, s46, v38
	s_wait_alu 0xfffd
	s_delay_alu instid0(VALU_DEP_2)
	v_add_co_ci_u32_e64 v39, null, s47, v39, vcc_lo
	s_wait_dscnt 0x0
	global_store_b64 v[38:39], v[36:37], off
	s_wait_alu 0xfffe
	s_or_b32 exec_lo, exec_lo, s15
	s_and_saveexec_b32 s15, s18
	s_cbranch_execz .LBB739_529
.LBB739_593:                            ;   in Loop: Header=BB739_396 Depth=2
	v_dual_mov_b32 v39, v2 :: v_dual_lshlrev_b32 v36, 2, v157
	ds_load_b32 v38, v36
	ds_load_b64 v[36:37], v108 offset:9216
	s_wait_dscnt 0x1
	v_add_nc_u32_e32 v38, v38, v82
	s_delay_alu instid0(VALU_DEP_1) | instskip(NEXT) | instid1(VALU_DEP_1)
	v_lshlrev_b64_e32 v[38:39], 3, v[38:39]
	v_add_co_u32 v38, vcc_lo, s46, v38
	s_wait_alu 0xfffd
	s_delay_alu instid0(VALU_DEP_2)
	v_add_co_ci_u32_e64 v39, null, s47, v39, vcc_lo
	s_wait_dscnt 0x0
	global_store_b64 v[38:39], v[36:37], off
	s_wait_alu 0xfffe
	s_or_b32 exec_lo, exec_lo, s15
	s_and_saveexec_b32 s15, s19
	s_cbranch_execz .LBB739_530
.LBB739_594:                            ;   in Loop: Header=BB739_396 Depth=2
	v_dual_mov_b32 v39, v2 :: v_dual_lshlrev_b32 v36, 2, v156
	ds_load_b32 v38, v36
	ds_load_b64 v[36:37], v108 offset:11264
	s_wait_dscnt 0x1
	v_add_nc_u32_e32 v38, v38, v83
	s_delay_alu instid0(VALU_DEP_1) | instskip(NEXT) | instid1(VALU_DEP_1)
	v_lshlrev_b64_e32 v[38:39], 3, v[38:39]
	v_add_co_u32 v38, vcc_lo, s46, v38
	s_wait_alu 0xfffd
	s_delay_alu instid0(VALU_DEP_2)
	v_add_co_ci_u32_e64 v39, null, s47, v39, vcc_lo
	s_wait_dscnt 0x0
	global_store_b64 v[38:39], v[36:37], off
	s_wait_alu 0xfffe
	s_or_b32 exec_lo, exec_lo, s15
	s_and_saveexec_b32 s15, s20
	s_cbranch_execz .LBB739_531
.LBB739_595:                            ;   in Loop: Header=BB739_396 Depth=2
	v_dual_mov_b32 v39, v2 :: v_dual_lshlrev_b32 v36, 2, v155
	ds_load_b32 v38, v36
	ds_load_b64 v[36:37], v108 offset:13312
	s_wait_dscnt 0x1
	v_add_nc_u32_e32 v38, v38, v84
	s_delay_alu instid0(VALU_DEP_1) | instskip(NEXT) | instid1(VALU_DEP_1)
	v_lshlrev_b64_e32 v[38:39], 3, v[38:39]
	v_add_co_u32 v38, vcc_lo, s46, v38
	s_wait_alu 0xfffd
	s_delay_alu instid0(VALU_DEP_2)
	v_add_co_ci_u32_e64 v39, null, s47, v39, vcc_lo
	s_wait_dscnt 0x0
	global_store_b64 v[38:39], v[36:37], off
	s_wait_alu 0xfffe
	s_or_b32 exec_lo, exec_lo, s15
	s_and_saveexec_b32 s15, s21
	s_cbranch_execz .LBB739_532
.LBB739_596:                            ;   in Loop: Header=BB739_396 Depth=2
	v_dual_mov_b32 v39, v2 :: v_dual_lshlrev_b32 v36, 2, v154
	ds_load_b32 v38, v36
	ds_load_b64 v[36:37], v108 offset:15360
	s_wait_dscnt 0x1
	v_add_nc_u32_e32 v38, v38, v85
	s_delay_alu instid0(VALU_DEP_1) | instskip(NEXT) | instid1(VALU_DEP_1)
	v_lshlrev_b64_e32 v[38:39], 3, v[38:39]
	v_add_co_u32 v38, vcc_lo, s46, v38
	s_wait_alu 0xfffd
	s_delay_alu instid0(VALU_DEP_2)
	v_add_co_ci_u32_e64 v39, null, s47, v39, vcc_lo
	s_wait_dscnt 0x0
	global_store_b64 v[38:39], v[36:37], off
	s_wait_alu 0xfffe
	s_or_b32 exec_lo, exec_lo, s15
	s_and_saveexec_b32 s15, s22
	s_cbranch_execz .LBB739_533
.LBB739_597:                            ;   in Loop: Header=BB739_396 Depth=2
	v_dual_mov_b32 v39, v2 :: v_dual_lshlrev_b32 v36, 2, v153
	ds_load_b32 v38, v36
	ds_load_b64 v[36:37], v108 offset:17408
	s_wait_dscnt 0x1
	v_add_nc_u32_e32 v38, v38, v86
	s_delay_alu instid0(VALU_DEP_1) | instskip(NEXT) | instid1(VALU_DEP_1)
	v_lshlrev_b64_e32 v[38:39], 3, v[38:39]
	v_add_co_u32 v38, vcc_lo, s46, v38
	s_wait_alu 0xfffd
	s_delay_alu instid0(VALU_DEP_2)
	v_add_co_ci_u32_e64 v39, null, s47, v39, vcc_lo
	s_wait_dscnt 0x0
	global_store_b64 v[38:39], v[36:37], off
	s_wait_alu 0xfffe
	s_or_b32 exec_lo, exec_lo, s15
	s_and_saveexec_b32 s15, s23
	s_cbranch_execz .LBB739_534
.LBB739_598:                            ;   in Loop: Header=BB739_396 Depth=2
	v_dual_mov_b32 v39, v2 :: v_dual_lshlrev_b32 v36, 2, v152
	ds_load_b32 v38, v36
	ds_load_b64 v[36:37], v108 offset:19456
	s_wait_dscnt 0x1
	v_add_nc_u32_e32 v38, v38, v87
	s_delay_alu instid0(VALU_DEP_1) | instskip(NEXT) | instid1(VALU_DEP_1)
	v_lshlrev_b64_e32 v[38:39], 3, v[38:39]
	v_add_co_u32 v38, vcc_lo, s46, v38
	s_wait_alu 0xfffd
	s_delay_alu instid0(VALU_DEP_2)
	v_add_co_ci_u32_e64 v39, null, s47, v39, vcc_lo
	s_wait_dscnt 0x0
	global_store_b64 v[38:39], v[36:37], off
	s_wait_alu 0xfffe
	s_or_b32 exec_lo, exec_lo, s15
	s_and_saveexec_b32 s15, s24
	s_cbranch_execz .LBB739_535
.LBB739_599:                            ;   in Loop: Header=BB739_396 Depth=2
	v_dual_mov_b32 v39, v2 :: v_dual_lshlrev_b32 v36, 2, v151
	ds_load_b32 v38, v36
	ds_load_b64 v[36:37], v108 offset:21504
	s_wait_dscnt 0x1
	v_add_nc_u32_e32 v38, v38, v88
	s_delay_alu instid0(VALU_DEP_1) | instskip(NEXT) | instid1(VALU_DEP_1)
	v_lshlrev_b64_e32 v[38:39], 3, v[38:39]
	v_add_co_u32 v38, vcc_lo, s46, v38
	s_wait_alu 0xfffd
	s_delay_alu instid0(VALU_DEP_2)
	v_add_co_ci_u32_e64 v39, null, s47, v39, vcc_lo
	s_wait_dscnt 0x0
	global_store_b64 v[38:39], v[36:37], off
	s_wait_alu 0xfffe
	s_or_b32 exec_lo, exec_lo, s15
	s_and_saveexec_b32 s15, s25
	s_cbranch_execz .LBB739_536
.LBB739_600:                            ;   in Loop: Header=BB739_396 Depth=2
	v_dual_mov_b32 v39, v2 :: v_dual_lshlrev_b32 v36, 2, v150
	ds_load_b32 v38, v36
	ds_load_b64 v[36:37], v108 offset:23552
	s_wait_dscnt 0x1
	v_add_nc_u32_e32 v38, v38, v89
	s_delay_alu instid0(VALU_DEP_1) | instskip(NEXT) | instid1(VALU_DEP_1)
	v_lshlrev_b64_e32 v[38:39], 3, v[38:39]
	v_add_co_u32 v38, vcc_lo, s46, v38
	s_wait_alu 0xfffd
	s_delay_alu instid0(VALU_DEP_2)
	v_add_co_ci_u32_e64 v39, null, s47, v39, vcc_lo
	s_wait_dscnt 0x0
	global_store_b64 v[38:39], v[36:37], off
	s_wait_alu 0xfffe
	s_or_b32 exec_lo, exec_lo, s15
	s_and_saveexec_b32 s15, s26
	s_cbranch_execz .LBB739_537
.LBB739_601:                            ;   in Loop: Header=BB739_396 Depth=2
	v_dual_mov_b32 v39, v2 :: v_dual_lshlrev_b32 v36, 2, v149
	ds_load_b32 v38, v36
	ds_load_b64 v[36:37], v108 offset:25600
	s_wait_dscnt 0x1
	v_add_nc_u32_e32 v38, v38, v90
	s_delay_alu instid0(VALU_DEP_1) | instskip(NEXT) | instid1(VALU_DEP_1)
	v_lshlrev_b64_e32 v[38:39], 3, v[38:39]
	v_add_co_u32 v38, vcc_lo, s46, v38
	s_wait_alu 0xfffd
	s_delay_alu instid0(VALU_DEP_2)
	v_add_co_ci_u32_e64 v39, null, s47, v39, vcc_lo
	s_wait_dscnt 0x0
	global_store_b64 v[38:39], v[36:37], off
	s_wait_alu 0xfffe
	s_or_b32 exec_lo, exec_lo, s15
	s_and_saveexec_b32 s15, s27
	s_cbranch_execz .LBB739_538
.LBB739_602:                            ;   in Loop: Header=BB739_396 Depth=2
	v_dual_mov_b32 v39, v2 :: v_dual_lshlrev_b32 v36, 2, v148
	ds_load_b32 v38, v36
	ds_load_b64 v[36:37], v108 offset:27648
	s_wait_dscnt 0x1
	v_add_nc_u32_e32 v38, v38, v91
	s_delay_alu instid0(VALU_DEP_1) | instskip(NEXT) | instid1(VALU_DEP_1)
	v_lshlrev_b64_e32 v[38:39], 3, v[38:39]
	v_add_co_u32 v38, vcc_lo, s46, v38
	s_wait_alu 0xfffd
	s_delay_alu instid0(VALU_DEP_2)
	v_add_co_ci_u32_e64 v39, null, s47, v39, vcc_lo
	s_wait_dscnt 0x0
	global_store_b64 v[38:39], v[36:37], off
	s_wait_alu 0xfffe
	s_or_b32 exec_lo, exec_lo, s15
	s_and_saveexec_b32 s15, s28
	s_cbranch_execz .LBB739_539
.LBB739_603:                            ;   in Loop: Header=BB739_396 Depth=2
	v_dual_mov_b32 v39, v2 :: v_dual_lshlrev_b32 v36, 2, v147
	ds_load_b32 v38, v36
	ds_load_b64 v[36:37], v108 offset:29696
	s_wait_dscnt 0x1
	v_add_nc_u32_e32 v38, v38, v92
	s_delay_alu instid0(VALU_DEP_1) | instskip(NEXT) | instid1(VALU_DEP_1)
	v_lshlrev_b64_e32 v[38:39], 3, v[38:39]
	v_add_co_u32 v38, vcc_lo, s46, v38
	s_wait_alu 0xfffd
	s_delay_alu instid0(VALU_DEP_2)
	v_add_co_ci_u32_e64 v39, null, s47, v39, vcc_lo
	s_wait_dscnt 0x0
	global_store_b64 v[38:39], v[36:37], off
	s_wait_alu 0xfffe
	s_or_b32 exec_lo, exec_lo, s15
	s_and_saveexec_b32 s15, s29
	s_cbranch_execnz .LBB739_540
	s_branch .LBB739_541
.LBB739_604:                            ;   in Loop: Header=BB739_20 Depth=1
	s_wait_loadcnt_dscnt 0x0
	s_barrier_signal -1
	s_barrier_wait -1
.LBB739_605:                            ;   in Loop: Header=BB739_20 Depth=1
	s_mov_b32 s0, 0
.LBB739_606:                            ;   in Loop: Header=BB739_20 Depth=1
	s_wait_alu 0xfffe
	s_and_not1_b32 vcc_lo, exec_lo, s0
	s_wait_alu 0xfffe
	s_cbranch_vccnz .LBB739_19
; %bb.607:                              ;   in Loop: Header=BB739_20 Depth=1
	s_lshl_b32 s0, -1, s54
	s_and_b32 vcc_lo, exec_lo, s52
	s_wait_alu 0xfffe
	s_not_b32 s54, s0
	s_mov_b32 s0, -1
	s_cbranch_vccz .LBB739_899
; %bb.608:                              ;   in Loop: Header=BB739_20 Depth=1
	s_mov_b32 s8, s53
	s_mov_b32 s34, s33
	s_barrier_signal -1
	s_barrier_wait -1
	global_inv scope:SCOPE_SE
                                        ; implicit-def: $vgpr4_vgpr5
                                        ; implicit-def: $vgpr6_vgpr7
                                        ; implicit-def: $vgpr8_vgpr9
                                        ; implicit-def: $vgpr10_vgpr11
                                        ; implicit-def: $vgpr12_vgpr13
                                        ; implicit-def: $vgpr14_vgpr15
                                        ; implicit-def: $vgpr16_vgpr17
                                        ; implicit-def: $vgpr18_vgpr19
                                        ; implicit-def: $vgpr20_vgpr21
                                        ; implicit-def: $vgpr22_vgpr23
                                        ; implicit-def: $vgpr24_vgpr25
                                        ; implicit-def: $vgpr26_vgpr27
                                        ; implicit-def: $vgpr28_vgpr29
                                        ; implicit-def: $vgpr30_vgpr31
                                        ; implicit-def: $vgpr32_vgpr33
                                        ; implicit-def: $vgpr34_vgpr35
	s_branch .LBB739_610
.LBB739_609:                            ;   in Loop: Header=BB739_610 Depth=2
	s_wait_alu 0xfffe
	s_or_b32 exec_lo, exec_lo, s0
	s_addk_co_i32 s8, 0xf000
	s_cmp_ge_u32 s9, s51
	s_mov_b32 s34, s9
	s_cbranch_scc1 .LBB739_678
.LBB739_610:                            ;   Parent Loop BB739_20 Depth=1
                                        ; =>  This Inner Loop Header: Depth=2
	s_wait_alu 0xfffe
	s_add_co_i32 s9, s34, 0x1000
	s_mov_b32 s0, -1
	s_wait_alu 0xfffe
	s_cmp_gt_u32 s9, s51
                                        ; implicit-def: $vgpr36_vgpr37
                                        ; implicit-def: $vgpr38_vgpr39
                                        ; implicit-def: $vgpr40_vgpr41
                                        ; implicit-def: $vgpr42_vgpr43
                                        ; implicit-def: $vgpr44_vgpr45
                                        ; implicit-def: $vgpr46_vgpr47
                                        ; implicit-def: $vgpr48_vgpr49
                                        ; implicit-def: $vgpr50_vgpr51
                                        ; implicit-def: $vgpr52_vgpr53
                                        ; implicit-def: $vgpr54_vgpr55
                                        ; implicit-def: $vgpr56_vgpr57
                                        ; implicit-def: $vgpr58_vgpr59
                                        ; implicit-def: $vgpr60_vgpr61
                                        ; implicit-def: $vgpr62_vgpr63
                                        ; implicit-def: $vgpr64_vgpr65
                                        ; implicit-def: $vgpr66_vgpr67
	s_cbranch_scc1 .LBB739_612
; %bb.611:                              ;   in Loop: Header=BB739_610 Depth=2
	s_lshl_b64 s[0:1], s[34:35], 3
	s_wait_alu 0xfffe
	v_add_co_u32 v66, vcc_lo, v115, s0
	s_wait_alu 0xfffd
	v_add_co_ci_u32_e64 v67, null, s1, v116, vcc_lo
	s_mov_b32 s0, 0
	s_clause 0xf
	global_load_b64 v[36:37], v[66:67], off
	global_load_b64 v[38:39], v[66:67], off offset:2048
	global_load_b64 v[40:41], v[66:67], off offset:4096
	global_load_b64 v[42:43], v[66:67], off offset:6144
	global_load_b64 v[44:45], v[66:67], off offset:8192
	global_load_b64 v[46:47], v[66:67], off offset:10240
	global_load_b64 v[48:49], v[66:67], off offset:12288
	global_load_b64 v[50:51], v[66:67], off offset:14336
	global_load_b64 v[52:53], v[66:67], off offset:16384
	global_load_b64 v[54:55], v[66:67], off offset:18432
	global_load_b64 v[56:57], v[66:67], off offset:20480
	global_load_b64 v[58:59], v[66:67], off offset:22528
	global_load_b64 v[60:61], v[66:67], off offset:24576
	global_load_b64 v[62:63], v[66:67], off offset:26624
	global_load_b64 v[64:65], v[66:67], off offset:28672
	global_load_b64 v[66:67], v[66:67], off offset:30720
.LBB739_612:                            ;   in Loop: Header=BB739_610 Depth=2
	s_wait_alu 0xfffe
	s_and_not1_b32 vcc_lo, exec_lo, s0
	s_movk_i32 s0, 0x1000
	s_wait_alu 0xfffe
	s_cbranch_vccnz .LBB739_631
; %bb.613:                              ;   in Loop: Header=BB739_610 Depth=2
	s_lshl_b64 s[0:1], s[34:35], 3
	s_mov_b32 s10, exec_lo
	s_wait_alu 0xfffe
	s_add_nc_u64 s[0:1], s[36:37], s[0:1]
	v_cmpx_gt_u32_e64 s8, v1
	s_cbranch_execnz .LBB739_663
; %bb.614:                              ;   in Loop: Header=BB739_610 Depth=2
	s_or_b32 exec_lo, exec_lo, s10
	s_delay_alu instid0(SALU_CYCLE_1)
	s_mov_b32 s10, exec_lo
	v_cmpx_gt_u32_e64 s8, v77
	s_cbranch_execnz .LBB739_664
.LBB739_615:                            ;   in Loop: Header=BB739_610 Depth=2
	s_wait_alu 0xfffe
	s_or_b32 exec_lo, exec_lo, s10
	s_delay_alu instid0(SALU_CYCLE_1)
	s_mov_b32 s10, exec_lo
	v_cmpx_gt_u32_e64 s8, v78
	s_cbranch_execnz .LBB739_665
.LBB739_616:                            ;   in Loop: Header=BB739_610 Depth=2
	s_wait_alu 0xfffe
	s_or_b32 exec_lo, exec_lo, s10
	s_delay_alu instid0(SALU_CYCLE_1)
	s_mov_b32 s10, exec_lo
	v_cmpx_gt_u32_e64 s8, v79
	s_cbranch_execnz .LBB739_666
.LBB739_617:                            ;   in Loop: Header=BB739_610 Depth=2
	s_wait_alu 0xfffe
	s_or_b32 exec_lo, exec_lo, s10
	s_delay_alu instid0(SALU_CYCLE_1)
	s_mov_b32 s10, exec_lo
	v_cmpx_gt_u32_e64 s8, v82
	s_cbranch_execnz .LBB739_667
.LBB739_618:                            ;   in Loop: Header=BB739_610 Depth=2
	s_wait_alu 0xfffe
	s_or_b32 exec_lo, exec_lo, s10
	s_delay_alu instid0(SALU_CYCLE_1)
	s_mov_b32 s10, exec_lo
	v_cmpx_gt_u32_e64 s8, v83
	s_cbranch_execnz .LBB739_668
.LBB739_619:                            ;   in Loop: Header=BB739_610 Depth=2
	s_wait_alu 0xfffe
	s_or_b32 exec_lo, exec_lo, s10
	s_delay_alu instid0(SALU_CYCLE_1)
	s_mov_b32 s10, exec_lo
	v_cmpx_gt_u32_e64 s8, v84
	s_cbranch_execnz .LBB739_669
.LBB739_620:                            ;   in Loop: Header=BB739_610 Depth=2
	s_wait_alu 0xfffe
	s_or_b32 exec_lo, exec_lo, s10
	s_delay_alu instid0(SALU_CYCLE_1)
	s_mov_b32 s10, exec_lo
	v_cmpx_gt_u32_e64 s8, v85
	s_cbranch_execnz .LBB739_670
.LBB739_621:                            ;   in Loop: Header=BB739_610 Depth=2
	s_wait_alu 0xfffe
	s_or_b32 exec_lo, exec_lo, s10
	s_delay_alu instid0(SALU_CYCLE_1)
	s_mov_b32 s10, exec_lo
	v_cmpx_gt_u32_e64 s8, v86
	s_cbranch_execnz .LBB739_671
.LBB739_622:                            ;   in Loop: Header=BB739_610 Depth=2
	s_wait_alu 0xfffe
	s_or_b32 exec_lo, exec_lo, s10
	s_delay_alu instid0(SALU_CYCLE_1)
	s_mov_b32 s10, exec_lo
	v_cmpx_gt_u32_e64 s8, v87
	s_cbranch_execnz .LBB739_672
.LBB739_623:                            ;   in Loop: Header=BB739_610 Depth=2
	s_wait_alu 0xfffe
	s_or_b32 exec_lo, exec_lo, s10
	s_delay_alu instid0(SALU_CYCLE_1)
	s_mov_b32 s10, exec_lo
	v_cmpx_gt_u32_e64 s8, v88
	s_cbranch_execnz .LBB739_673
.LBB739_624:                            ;   in Loop: Header=BB739_610 Depth=2
	s_wait_alu 0xfffe
	s_or_b32 exec_lo, exec_lo, s10
	s_delay_alu instid0(SALU_CYCLE_1)
	s_mov_b32 s10, exec_lo
	v_cmpx_gt_u32_e64 s8, v89
	s_cbranch_execnz .LBB739_674
.LBB739_625:                            ;   in Loop: Header=BB739_610 Depth=2
	s_wait_alu 0xfffe
	s_or_b32 exec_lo, exec_lo, s10
	s_delay_alu instid0(SALU_CYCLE_1)
	s_mov_b32 s10, exec_lo
	v_cmpx_gt_u32_e64 s8, v90
	s_cbranch_execnz .LBB739_675
.LBB739_626:                            ;   in Loop: Header=BB739_610 Depth=2
	s_wait_alu 0xfffe
	s_or_b32 exec_lo, exec_lo, s10
	s_delay_alu instid0(SALU_CYCLE_1)
	s_mov_b32 s10, exec_lo
	v_cmpx_gt_u32_e64 s8, v91
	s_cbranch_execnz .LBB739_676
.LBB739_627:                            ;   in Loop: Header=BB739_610 Depth=2
	s_wait_alu 0xfffe
	s_or_b32 exec_lo, exec_lo, s10
	s_delay_alu instid0(SALU_CYCLE_1)
	s_mov_b32 s10, exec_lo
	v_cmpx_gt_u32_e64 s8, v92
	s_cbranch_execnz .LBB739_677
.LBB739_628:                            ;   in Loop: Header=BB739_610 Depth=2
	s_wait_alu 0xfffe
	s_or_b32 exec_lo, exec_lo, s10
	s_delay_alu instid0(SALU_CYCLE_1)
	s_mov_b32 s10, exec_lo
	v_cmpx_gt_u32_e64 s8, v93
	s_cbranch_execz .LBB739_630
.LBB739_629:                            ;   in Loop: Header=BB739_610 Depth=2
	global_load_b64 v[4:5], v122, s[0:1] offset:30720
.LBB739_630:                            ;   in Loop: Header=BB739_610 Depth=2
	s_wait_alu 0xfffe
	s_or_b32 exec_lo, exec_lo, s10
	s_wait_loadcnt 0x0
	v_dual_mov_b32 v37, v35 :: v_dual_mov_b32 v36, v34
	v_dual_mov_b32 v39, v33 :: v_dual_mov_b32 v38, v32
	;; [unrolled: 1-line block ×16, first 2 shown]
	s_mov_b32 s0, s8
.LBB739_631:                            ;   in Loop: Header=BB739_610 Depth=2
	s_wait_loadcnt 0x0
	s_delay_alu instid0(VALU_DEP_1)
	v_dual_mov_b32 v4, v66 :: v_dual_mov_b32 v5, v67
	v_dual_mov_b32 v6, v64 :: v_dual_mov_b32 v7, v65
	v_dual_mov_b32 v8, v62 :: v_dual_mov_b32 v9, v63
	v_dual_mov_b32 v10, v60 :: v_dual_mov_b32 v11, v61
	v_dual_mov_b32 v12, v58 :: v_dual_mov_b32 v13, v59
	v_dual_mov_b32 v14, v56 :: v_dual_mov_b32 v15, v57
	v_dual_mov_b32 v16, v54 :: v_dual_mov_b32 v17, v55
	v_dual_mov_b32 v18, v52 :: v_dual_mov_b32 v19, v53
	v_dual_mov_b32 v20, v50 :: v_dual_mov_b32 v21, v51
	v_dual_mov_b32 v22, v48 :: v_dual_mov_b32 v23, v49
	v_dual_mov_b32 v24, v46 :: v_dual_mov_b32 v25, v47
	v_dual_mov_b32 v26, v44 :: v_dual_mov_b32 v27, v45
	v_dual_mov_b32 v28, v42 :: v_dual_mov_b32 v29, v43
	v_dual_mov_b32 v30, v40 :: v_dual_mov_b32 v31, v41
	v_dual_mov_b32 v32, v38 :: v_dual_mov_b32 v33, v39
	v_dual_mov_b32 v34, v36 :: v_dual_mov_b32 v35, v37
	s_mov_b32 s1, exec_lo
	s_wait_alu 0xfffe
	v_cmpx_gt_u32_e64 s0, v1
	s_cbranch_execnz .LBB739_647
; %bb.632:                              ;   in Loop: Header=BB739_610 Depth=2
	s_or_b32 exec_lo, exec_lo, s1
	s_delay_alu instid0(SALU_CYCLE_1)
	s_mov_b32 s1, exec_lo
	v_cmpx_gt_u32_e64 s0, v77
	s_cbranch_execnz .LBB739_648
.LBB739_633:                            ;   in Loop: Header=BB739_610 Depth=2
	s_wait_alu 0xfffe
	s_or_b32 exec_lo, exec_lo, s1
	s_delay_alu instid0(SALU_CYCLE_1)
	s_mov_b32 s1, exec_lo
	v_cmpx_gt_u32_e64 s0, v78
	s_cbranch_execnz .LBB739_649
.LBB739_634:                            ;   in Loop: Header=BB739_610 Depth=2
	s_wait_alu 0xfffe
	s_or_b32 exec_lo, exec_lo, s1
	s_delay_alu instid0(SALU_CYCLE_1)
	s_mov_b32 s1, exec_lo
	v_cmpx_gt_u32_e64 s0, v79
	s_cbranch_execnz .LBB739_650
.LBB739_635:                            ;   in Loop: Header=BB739_610 Depth=2
	s_wait_alu 0xfffe
	s_or_b32 exec_lo, exec_lo, s1
	s_delay_alu instid0(SALU_CYCLE_1)
	s_mov_b32 s1, exec_lo
	v_cmpx_gt_u32_e64 s0, v82
	s_cbranch_execnz .LBB739_651
.LBB739_636:                            ;   in Loop: Header=BB739_610 Depth=2
	s_wait_alu 0xfffe
	s_or_b32 exec_lo, exec_lo, s1
	s_delay_alu instid0(SALU_CYCLE_1)
	s_mov_b32 s1, exec_lo
	v_cmpx_gt_u32_e64 s0, v83
	s_cbranch_execnz .LBB739_652
.LBB739_637:                            ;   in Loop: Header=BB739_610 Depth=2
	s_wait_alu 0xfffe
	s_or_b32 exec_lo, exec_lo, s1
	s_delay_alu instid0(SALU_CYCLE_1)
	s_mov_b32 s1, exec_lo
	v_cmpx_gt_u32_e64 s0, v84
	s_cbranch_execnz .LBB739_653
.LBB739_638:                            ;   in Loop: Header=BB739_610 Depth=2
	s_wait_alu 0xfffe
	s_or_b32 exec_lo, exec_lo, s1
	s_delay_alu instid0(SALU_CYCLE_1)
	s_mov_b32 s1, exec_lo
	v_cmpx_gt_u32_e64 s0, v85
	s_cbranch_execnz .LBB739_654
.LBB739_639:                            ;   in Loop: Header=BB739_610 Depth=2
	s_wait_alu 0xfffe
	s_or_b32 exec_lo, exec_lo, s1
	s_delay_alu instid0(SALU_CYCLE_1)
	s_mov_b32 s1, exec_lo
	v_cmpx_gt_u32_e64 s0, v86
	s_cbranch_execnz .LBB739_655
.LBB739_640:                            ;   in Loop: Header=BB739_610 Depth=2
	s_wait_alu 0xfffe
	s_or_b32 exec_lo, exec_lo, s1
	s_delay_alu instid0(SALU_CYCLE_1)
	s_mov_b32 s1, exec_lo
	v_cmpx_gt_u32_e64 s0, v87
	s_cbranch_execnz .LBB739_656
.LBB739_641:                            ;   in Loop: Header=BB739_610 Depth=2
	s_wait_alu 0xfffe
	s_or_b32 exec_lo, exec_lo, s1
	s_delay_alu instid0(SALU_CYCLE_1)
	s_mov_b32 s1, exec_lo
	v_cmpx_gt_u32_e64 s0, v88
	s_cbranch_execnz .LBB739_657
.LBB739_642:                            ;   in Loop: Header=BB739_610 Depth=2
	s_wait_alu 0xfffe
	s_or_b32 exec_lo, exec_lo, s1
	s_delay_alu instid0(SALU_CYCLE_1)
	s_mov_b32 s1, exec_lo
	v_cmpx_gt_u32_e64 s0, v89
	s_cbranch_execnz .LBB739_658
.LBB739_643:                            ;   in Loop: Header=BB739_610 Depth=2
	s_wait_alu 0xfffe
	s_or_b32 exec_lo, exec_lo, s1
	s_delay_alu instid0(SALU_CYCLE_1)
	s_mov_b32 s1, exec_lo
	v_cmpx_gt_u32_e64 s0, v90
	s_cbranch_execnz .LBB739_659
.LBB739_644:                            ;   in Loop: Header=BB739_610 Depth=2
	s_wait_alu 0xfffe
	s_or_b32 exec_lo, exec_lo, s1
	s_delay_alu instid0(SALU_CYCLE_1)
	s_mov_b32 s1, exec_lo
	v_cmpx_gt_u32_e64 s0, v91
	s_cbranch_execnz .LBB739_660
.LBB739_645:                            ;   in Loop: Header=BB739_610 Depth=2
	s_wait_alu 0xfffe
	s_or_b32 exec_lo, exec_lo, s1
	s_delay_alu instid0(SALU_CYCLE_1)
	s_mov_b32 s1, exec_lo
	v_cmpx_gt_u32_e64 s0, v92
	s_cbranch_execnz .LBB739_661
.LBB739_646:                            ;   in Loop: Header=BB739_610 Depth=2
	s_wait_alu 0xfffe
	s_or_b32 exec_lo, exec_lo, s1
	v_cmp_gt_u32_e32 vcc_lo, s0, v93
	s_and_saveexec_b32 s0, vcc_lo
	s_cbranch_execz .LBB739_609
	s_branch .LBB739_662
.LBB739_647:                            ;   in Loop: Header=BB739_610 Depth=2
	v_xor_b32_e32 v37, 0x7fffffff, v35
	v_not_b32_e32 v36, v34
	s_delay_alu instid0(VALU_DEP_1) | instskip(NEXT) | instid1(VALU_DEP_1)
	v_lshrrev_b64 v[36:37], s31, v[36:37]
	v_and_b32_e32 v36, s54, v36
	s_delay_alu instid0(VALU_DEP_1) | instskip(SKIP_2) | instid1(SALU_CYCLE_1)
	v_lshl_or_b32 v36, v36, 4, v94
	ds_add_u32 v36, v121
	s_or_b32 exec_lo, exec_lo, s1
	s_mov_b32 s1, exec_lo
	v_cmpx_gt_u32_e64 s0, v77
	s_cbranch_execz .LBB739_633
.LBB739_648:                            ;   in Loop: Header=BB739_610 Depth=2
	v_xor_b32_e32 v37, 0x7fffffff, v33
	v_not_b32_e32 v36, v32
	s_delay_alu instid0(VALU_DEP_1) | instskip(NEXT) | instid1(VALU_DEP_1)
	v_lshrrev_b64 v[36:37], s31, v[36:37]
	v_and_b32_e32 v36, s54, v36
	s_delay_alu instid0(VALU_DEP_1) | instskip(SKIP_3) | instid1(SALU_CYCLE_1)
	v_lshl_or_b32 v36, v36, 4, v94
	ds_add_u32 v36, v121
	s_wait_alu 0xfffe
	s_or_b32 exec_lo, exec_lo, s1
	s_mov_b32 s1, exec_lo
	v_cmpx_gt_u32_e64 s0, v78
	s_cbranch_execz .LBB739_634
.LBB739_649:                            ;   in Loop: Header=BB739_610 Depth=2
	v_xor_b32_e32 v37, 0x7fffffff, v31
	v_not_b32_e32 v36, v30
	s_delay_alu instid0(VALU_DEP_1) | instskip(NEXT) | instid1(VALU_DEP_1)
	v_lshrrev_b64 v[36:37], s31, v[36:37]
	v_and_b32_e32 v36, s54, v36
	s_delay_alu instid0(VALU_DEP_1) | instskip(SKIP_3) | instid1(SALU_CYCLE_1)
	v_lshl_or_b32 v36, v36, 4, v94
	ds_add_u32 v36, v121
	s_wait_alu 0xfffe
	s_or_b32 exec_lo, exec_lo, s1
	s_mov_b32 s1, exec_lo
	v_cmpx_gt_u32_e64 s0, v79
	s_cbranch_execz .LBB739_635
.LBB739_650:                            ;   in Loop: Header=BB739_610 Depth=2
	v_xor_b32_e32 v37, 0x7fffffff, v29
	v_not_b32_e32 v36, v28
	s_delay_alu instid0(VALU_DEP_1) | instskip(NEXT) | instid1(VALU_DEP_1)
	v_lshrrev_b64 v[36:37], s31, v[36:37]
	v_and_b32_e32 v36, s54, v36
	s_delay_alu instid0(VALU_DEP_1) | instskip(SKIP_3) | instid1(SALU_CYCLE_1)
	v_lshl_or_b32 v36, v36, 4, v94
	ds_add_u32 v36, v121
	s_wait_alu 0xfffe
	s_or_b32 exec_lo, exec_lo, s1
	s_mov_b32 s1, exec_lo
	v_cmpx_gt_u32_e64 s0, v82
	s_cbranch_execz .LBB739_636
.LBB739_651:                            ;   in Loop: Header=BB739_610 Depth=2
	v_xor_b32_e32 v37, 0x7fffffff, v27
	v_not_b32_e32 v36, v26
	s_delay_alu instid0(VALU_DEP_1) | instskip(NEXT) | instid1(VALU_DEP_1)
	v_lshrrev_b64 v[36:37], s31, v[36:37]
	v_and_b32_e32 v36, s54, v36
	s_delay_alu instid0(VALU_DEP_1) | instskip(SKIP_3) | instid1(SALU_CYCLE_1)
	v_lshl_or_b32 v36, v36, 4, v94
	ds_add_u32 v36, v121
	s_wait_alu 0xfffe
	s_or_b32 exec_lo, exec_lo, s1
	s_mov_b32 s1, exec_lo
	v_cmpx_gt_u32_e64 s0, v83
	s_cbranch_execz .LBB739_637
.LBB739_652:                            ;   in Loop: Header=BB739_610 Depth=2
	v_xor_b32_e32 v37, 0x7fffffff, v25
	v_not_b32_e32 v36, v24
	s_delay_alu instid0(VALU_DEP_1) | instskip(NEXT) | instid1(VALU_DEP_1)
	v_lshrrev_b64 v[36:37], s31, v[36:37]
	v_and_b32_e32 v36, s54, v36
	s_delay_alu instid0(VALU_DEP_1) | instskip(SKIP_3) | instid1(SALU_CYCLE_1)
	v_lshl_or_b32 v36, v36, 4, v94
	ds_add_u32 v36, v121
	s_wait_alu 0xfffe
	s_or_b32 exec_lo, exec_lo, s1
	s_mov_b32 s1, exec_lo
	v_cmpx_gt_u32_e64 s0, v84
	s_cbranch_execz .LBB739_638
.LBB739_653:                            ;   in Loop: Header=BB739_610 Depth=2
	v_xor_b32_e32 v37, 0x7fffffff, v23
	v_not_b32_e32 v36, v22
	s_delay_alu instid0(VALU_DEP_1) | instskip(NEXT) | instid1(VALU_DEP_1)
	v_lshrrev_b64 v[36:37], s31, v[36:37]
	v_and_b32_e32 v36, s54, v36
	s_delay_alu instid0(VALU_DEP_1) | instskip(SKIP_3) | instid1(SALU_CYCLE_1)
	v_lshl_or_b32 v36, v36, 4, v94
	ds_add_u32 v36, v121
	s_wait_alu 0xfffe
	s_or_b32 exec_lo, exec_lo, s1
	s_mov_b32 s1, exec_lo
	v_cmpx_gt_u32_e64 s0, v85
	s_cbranch_execz .LBB739_639
.LBB739_654:                            ;   in Loop: Header=BB739_610 Depth=2
	v_xor_b32_e32 v37, 0x7fffffff, v21
	v_not_b32_e32 v36, v20
	s_delay_alu instid0(VALU_DEP_1) | instskip(NEXT) | instid1(VALU_DEP_1)
	v_lshrrev_b64 v[36:37], s31, v[36:37]
	v_and_b32_e32 v36, s54, v36
	s_delay_alu instid0(VALU_DEP_1) | instskip(SKIP_3) | instid1(SALU_CYCLE_1)
	v_lshl_or_b32 v36, v36, 4, v94
	ds_add_u32 v36, v121
	s_wait_alu 0xfffe
	s_or_b32 exec_lo, exec_lo, s1
	s_mov_b32 s1, exec_lo
	v_cmpx_gt_u32_e64 s0, v86
	s_cbranch_execz .LBB739_640
.LBB739_655:                            ;   in Loop: Header=BB739_610 Depth=2
	v_xor_b32_e32 v37, 0x7fffffff, v19
	v_not_b32_e32 v36, v18
	s_delay_alu instid0(VALU_DEP_1) | instskip(NEXT) | instid1(VALU_DEP_1)
	v_lshrrev_b64 v[36:37], s31, v[36:37]
	v_and_b32_e32 v36, s54, v36
	s_delay_alu instid0(VALU_DEP_1) | instskip(SKIP_3) | instid1(SALU_CYCLE_1)
	v_lshl_or_b32 v36, v36, 4, v94
	ds_add_u32 v36, v121
	s_wait_alu 0xfffe
	s_or_b32 exec_lo, exec_lo, s1
	s_mov_b32 s1, exec_lo
	v_cmpx_gt_u32_e64 s0, v87
	s_cbranch_execz .LBB739_641
.LBB739_656:                            ;   in Loop: Header=BB739_610 Depth=2
	v_xor_b32_e32 v37, 0x7fffffff, v17
	v_not_b32_e32 v36, v16
	s_delay_alu instid0(VALU_DEP_1) | instskip(NEXT) | instid1(VALU_DEP_1)
	v_lshrrev_b64 v[36:37], s31, v[36:37]
	v_and_b32_e32 v36, s54, v36
	s_delay_alu instid0(VALU_DEP_1) | instskip(SKIP_3) | instid1(SALU_CYCLE_1)
	v_lshl_or_b32 v36, v36, 4, v94
	ds_add_u32 v36, v121
	s_wait_alu 0xfffe
	s_or_b32 exec_lo, exec_lo, s1
	s_mov_b32 s1, exec_lo
	v_cmpx_gt_u32_e64 s0, v88
	s_cbranch_execz .LBB739_642
.LBB739_657:                            ;   in Loop: Header=BB739_610 Depth=2
	v_xor_b32_e32 v37, 0x7fffffff, v15
	v_not_b32_e32 v36, v14
	s_delay_alu instid0(VALU_DEP_1) | instskip(NEXT) | instid1(VALU_DEP_1)
	v_lshrrev_b64 v[36:37], s31, v[36:37]
	v_and_b32_e32 v36, s54, v36
	s_delay_alu instid0(VALU_DEP_1) | instskip(SKIP_3) | instid1(SALU_CYCLE_1)
	v_lshl_or_b32 v36, v36, 4, v94
	ds_add_u32 v36, v121
	s_wait_alu 0xfffe
	s_or_b32 exec_lo, exec_lo, s1
	s_mov_b32 s1, exec_lo
	v_cmpx_gt_u32_e64 s0, v89
	s_cbranch_execz .LBB739_643
.LBB739_658:                            ;   in Loop: Header=BB739_610 Depth=2
	v_xor_b32_e32 v37, 0x7fffffff, v13
	v_not_b32_e32 v36, v12
	s_delay_alu instid0(VALU_DEP_1) | instskip(NEXT) | instid1(VALU_DEP_1)
	v_lshrrev_b64 v[36:37], s31, v[36:37]
	v_and_b32_e32 v36, s54, v36
	s_delay_alu instid0(VALU_DEP_1) | instskip(SKIP_3) | instid1(SALU_CYCLE_1)
	v_lshl_or_b32 v36, v36, 4, v94
	ds_add_u32 v36, v121
	s_wait_alu 0xfffe
	s_or_b32 exec_lo, exec_lo, s1
	s_mov_b32 s1, exec_lo
	v_cmpx_gt_u32_e64 s0, v90
	s_cbranch_execz .LBB739_644
.LBB739_659:                            ;   in Loop: Header=BB739_610 Depth=2
	v_xor_b32_e32 v37, 0x7fffffff, v11
	v_not_b32_e32 v36, v10
	s_delay_alu instid0(VALU_DEP_1) | instskip(NEXT) | instid1(VALU_DEP_1)
	v_lshrrev_b64 v[36:37], s31, v[36:37]
	v_and_b32_e32 v36, s54, v36
	s_delay_alu instid0(VALU_DEP_1) | instskip(SKIP_3) | instid1(SALU_CYCLE_1)
	v_lshl_or_b32 v36, v36, 4, v94
	ds_add_u32 v36, v121
	s_wait_alu 0xfffe
	s_or_b32 exec_lo, exec_lo, s1
	s_mov_b32 s1, exec_lo
	v_cmpx_gt_u32_e64 s0, v91
	s_cbranch_execz .LBB739_645
.LBB739_660:                            ;   in Loop: Header=BB739_610 Depth=2
	v_xor_b32_e32 v37, 0x7fffffff, v9
	v_not_b32_e32 v36, v8
	s_delay_alu instid0(VALU_DEP_1) | instskip(NEXT) | instid1(VALU_DEP_1)
	v_lshrrev_b64 v[36:37], s31, v[36:37]
	v_and_b32_e32 v36, s54, v36
	s_delay_alu instid0(VALU_DEP_1) | instskip(SKIP_3) | instid1(SALU_CYCLE_1)
	v_lshl_or_b32 v36, v36, 4, v94
	ds_add_u32 v36, v121
	s_wait_alu 0xfffe
	s_or_b32 exec_lo, exec_lo, s1
	s_mov_b32 s1, exec_lo
	v_cmpx_gt_u32_e64 s0, v92
	s_cbranch_execz .LBB739_646
.LBB739_661:                            ;   in Loop: Header=BB739_610 Depth=2
	v_xor_b32_e32 v37, 0x7fffffff, v7
	v_not_b32_e32 v36, v6
	s_delay_alu instid0(VALU_DEP_1) | instskip(NEXT) | instid1(VALU_DEP_1)
	v_lshrrev_b64 v[36:37], s31, v[36:37]
	v_and_b32_e32 v36, s54, v36
	s_delay_alu instid0(VALU_DEP_1)
	v_lshl_or_b32 v36, v36, 4, v94
	ds_add_u32 v36, v121
	s_wait_alu 0xfffe
	s_or_b32 exec_lo, exec_lo, s1
	v_cmp_gt_u32_e32 vcc_lo, s0, v93
	s_and_saveexec_b32 s0, vcc_lo
	s_cbranch_execz .LBB739_609
.LBB739_662:                            ;   in Loop: Header=BB739_610 Depth=2
	v_xor_b32_e32 v37, 0x7fffffff, v5
	v_not_b32_e32 v36, v4
	s_delay_alu instid0(VALU_DEP_1) | instskip(NEXT) | instid1(VALU_DEP_1)
	v_lshrrev_b64 v[36:37], s31, v[36:37]
	v_and_b32_e32 v36, s54, v36
	s_delay_alu instid0(VALU_DEP_1)
	v_lshl_or_b32 v36, v36, 4, v94
	ds_add_u32 v36, v121
	s_branch .LBB739_609
.LBB739_663:                            ;   in Loop: Header=BB739_610 Depth=2
	global_load_b64 v[34:35], v122, s[0:1]
	s_or_b32 exec_lo, exec_lo, s10
	s_delay_alu instid0(SALU_CYCLE_1)
	s_mov_b32 s10, exec_lo
	v_cmpx_gt_u32_e64 s8, v77
	s_cbranch_execz .LBB739_615
.LBB739_664:                            ;   in Loop: Header=BB739_610 Depth=2
	global_load_b64 v[32:33], v122, s[0:1] offset:2048
	s_wait_alu 0xfffe
	s_or_b32 exec_lo, exec_lo, s10
	s_delay_alu instid0(SALU_CYCLE_1)
	s_mov_b32 s10, exec_lo
	v_cmpx_gt_u32_e64 s8, v78
	s_cbranch_execz .LBB739_616
.LBB739_665:                            ;   in Loop: Header=BB739_610 Depth=2
	global_load_b64 v[30:31], v122, s[0:1] offset:4096
	s_wait_alu 0xfffe
	s_or_b32 exec_lo, exec_lo, s10
	s_delay_alu instid0(SALU_CYCLE_1)
	s_mov_b32 s10, exec_lo
	v_cmpx_gt_u32_e64 s8, v79
	s_cbranch_execz .LBB739_617
.LBB739_666:                            ;   in Loop: Header=BB739_610 Depth=2
	global_load_b64 v[28:29], v122, s[0:1] offset:6144
	s_wait_alu 0xfffe
	s_or_b32 exec_lo, exec_lo, s10
	s_delay_alu instid0(SALU_CYCLE_1)
	s_mov_b32 s10, exec_lo
	v_cmpx_gt_u32_e64 s8, v82
	s_cbranch_execz .LBB739_618
.LBB739_667:                            ;   in Loop: Header=BB739_610 Depth=2
	global_load_b64 v[26:27], v122, s[0:1] offset:8192
	s_wait_alu 0xfffe
	s_or_b32 exec_lo, exec_lo, s10
	s_delay_alu instid0(SALU_CYCLE_1)
	s_mov_b32 s10, exec_lo
	v_cmpx_gt_u32_e64 s8, v83
	s_cbranch_execz .LBB739_619
.LBB739_668:                            ;   in Loop: Header=BB739_610 Depth=2
	global_load_b64 v[24:25], v122, s[0:1] offset:10240
	s_wait_alu 0xfffe
	s_or_b32 exec_lo, exec_lo, s10
	s_delay_alu instid0(SALU_CYCLE_1)
	s_mov_b32 s10, exec_lo
	v_cmpx_gt_u32_e64 s8, v84
	s_cbranch_execz .LBB739_620
.LBB739_669:                            ;   in Loop: Header=BB739_610 Depth=2
	global_load_b64 v[22:23], v122, s[0:1] offset:12288
	s_wait_alu 0xfffe
	s_or_b32 exec_lo, exec_lo, s10
	s_delay_alu instid0(SALU_CYCLE_1)
	s_mov_b32 s10, exec_lo
	v_cmpx_gt_u32_e64 s8, v85
	s_cbranch_execz .LBB739_621
.LBB739_670:                            ;   in Loop: Header=BB739_610 Depth=2
	global_load_b64 v[20:21], v122, s[0:1] offset:14336
	s_wait_alu 0xfffe
	s_or_b32 exec_lo, exec_lo, s10
	s_delay_alu instid0(SALU_CYCLE_1)
	s_mov_b32 s10, exec_lo
	v_cmpx_gt_u32_e64 s8, v86
	s_cbranch_execz .LBB739_622
.LBB739_671:                            ;   in Loop: Header=BB739_610 Depth=2
	global_load_b64 v[18:19], v122, s[0:1] offset:16384
	s_wait_alu 0xfffe
	s_or_b32 exec_lo, exec_lo, s10
	s_delay_alu instid0(SALU_CYCLE_1)
	s_mov_b32 s10, exec_lo
	v_cmpx_gt_u32_e64 s8, v87
	s_cbranch_execz .LBB739_623
.LBB739_672:                            ;   in Loop: Header=BB739_610 Depth=2
	global_load_b64 v[16:17], v122, s[0:1] offset:18432
	s_wait_alu 0xfffe
	s_or_b32 exec_lo, exec_lo, s10
	s_delay_alu instid0(SALU_CYCLE_1)
	s_mov_b32 s10, exec_lo
	v_cmpx_gt_u32_e64 s8, v88
	s_cbranch_execz .LBB739_624
.LBB739_673:                            ;   in Loop: Header=BB739_610 Depth=2
	global_load_b64 v[14:15], v122, s[0:1] offset:20480
	s_wait_alu 0xfffe
	s_or_b32 exec_lo, exec_lo, s10
	s_delay_alu instid0(SALU_CYCLE_1)
	s_mov_b32 s10, exec_lo
	v_cmpx_gt_u32_e64 s8, v89
	s_cbranch_execz .LBB739_625
.LBB739_674:                            ;   in Loop: Header=BB739_610 Depth=2
	global_load_b64 v[12:13], v122, s[0:1] offset:22528
	s_wait_alu 0xfffe
	s_or_b32 exec_lo, exec_lo, s10
	s_delay_alu instid0(SALU_CYCLE_1)
	s_mov_b32 s10, exec_lo
	v_cmpx_gt_u32_e64 s8, v90
	s_cbranch_execz .LBB739_626
.LBB739_675:                            ;   in Loop: Header=BB739_610 Depth=2
	global_load_b64 v[10:11], v122, s[0:1] offset:24576
	s_wait_alu 0xfffe
	s_or_b32 exec_lo, exec_lo, s10
	s_delay_alu instid0(SALU_CYCLE_1)
	s_mov_b32 s10, exec_lo
	v_cmpx_gt_u32_e64 s8, v91
	s_cbranch_execz .LBB739_627
.LBB739_676:                            ;   in Loop: Header=BB739_610 Depth=2
	global_load_b64 v[8:9], v122, s[0:1] offset:26624
	s_wait_alu 0xfffe
	s_or_b32 exec_lo, exec_lo, s10
	s_delay_alu instid0(SALU_CYCLE_1)
	s_mov_b32 s10, exec_lo
	v_cmpx_gt_u32_e64 s8, v92
	s_cbranch_execz .LBB739_628
.LBB739_677:                            ;   in Loop: Header=BB739_610 Depth=2
	global_load_b64 v[6:7], v122, s[0:1] offset:28672
	s_wait_alu 0xfffe
	s_or_b32 exec_lo, exec_lo, s10
	s_delay_alu instid0(SALU_CYCLE_1)
	s_mov_b32 s10, exec_lo
	v_cmpx_gt_u32_e64 s8, v93
	s_cbranch_execnz .LBB739_629
	s_branch .LBB739_630
.LBB739_678:                            ;   in Loop: Header=BB739_20 Depth=1
	v_mov_b32_e32 v4, 0
	s_wait_dscnt 0x0
	s_barrier_signal -1
	s_barrier_wait -1
	global_inv scope:SCOPE_SE
	s_and_saveexec_b32 s0, s2
	s_cbranch_execz .LBB739_680
; %bb.679:                              ;   in Loop: Header=BB739_20 Depth=1
	ds_load_2addr_b64 v[4:7], v96 offset1:1
	s_wait_dscnt 0x0
	v_add_nc_u32_e32 v4, v5, v4
	s_delay_alu instid0(VALU_DEP_1)
	v_add3_u32 v4, v4, v6, v7
.LBB739_680:                            ;   in Loop: Header=BB739_20 Depth=1
	s_wait_alu 0xfffe
	s_or_b32 exec_lo, exec_lo, s0
	v_and_b32_e32 v5, 15, v123
	s_delay_alu instid0(VALU_DEP_2) | instskip(SKIP_1) | instid1(VALU_DEP_3)
	v_mov_b32_dpp v6, v4 row_shr:1 row_mask:0xf bank_mask:0xf
	v_and_b32_e32 v7, 16, v123
	v_cmp_eq_u32_e64 s0, 0, v5
	v_cmp_lt_u32_e64 s1, 1, v5
	v_cmp_lt_u32_e64 s8, 3, v5
	;; [unrolled: 1-line block ×3, first 2 shown]
	v_cmp_eq_u32_e64 s10, 0, v7
	s_wait_alu 0xf1ff
	v_cndmask_b32_e64 v6, v6, 0, s0
	s_delay_alu instid0(VALU_DEP_1) | instskip(NEXT) | instid1(VALU_DEP_1)
	v_add_nc_u32_e32 v4, v6, v4
	v_mov_b32_dpp v6, v4 row_shr:2 row_mask:0xf bank_mask:0xf
	s_delay_alu instid0(VALU_DEP_1) | instskip(NEXT) | instid1(VALU_DEP_1)
	v_cndmask_b32_e64 v6, 0, v6, s1
	v_add_nc_u32_e32 v4, v4, v6
	s_delay_alu instid0(VALU_DEP_1) | instskip(NEXT) | instid1(VALU_DEP_1)
	v_mov_b32_dpp v6, v4 row_shr:4 row_mask:0xf bank_mask:0xf
	v_cndmask_b32_e64 v6, 0, v6, s8
	s_delay_alu instid0(VALU_DEP_1) | instskip(NEXT) | instid1(VALU_DEP_1)
	v_add_nc_u32_e32 v4, v4, v6
	v_mov_b32_dpp v6, v4 row_shr:8 row_mask:0xf bank_mask:0xf
	s_delay_alu instid0(VALU_DEP_1) | instskip(SKIP_1) | instid1(VALU_DEP_2)
	v_cndmask_b32_e64 v5, 0, v6, s9
	v_bfe_i32 v6, v123, 4, 1
	v_add_nc_u32_e32 v4, v4, v5
	ds_swizzle_b32 v5, v4 offset:swizzle(BROADCAST,32,15)
	s_wait_dscnt 0x0
	v_and_b32_e32 v5, v6, v5
	s_delay_alu instid0(VALU_DEP_1)
	v_add_nc_u32_e32 v5, v4, v5
	s_and_saveexec_b32 s11, s3
; %bb.681:                              ;   in Loop: Header=BB739_20 Depth=1
	ds_store_b32 v97, v5
; %bb.682:                              ;   in Loop: Header=BB739_20 Depth=1
	s_wait_alu 0xfffe
	s_or_b32 exec_lo, exec_lo, s11
	v_and_b32_e32 v4, 7, v123
	s_wait_loadcnt_dscnt 0x0
	s_barrier_signal -1
	s_barrier_wait -1
	global_inv scope:SCOPE_SE
	s_and_saveexec_b32 s11, s4
	s_cbranch_execz .LBB739_684
; %bb.683:                              ;   in Loop: Header=BB739_20 Depth=1
	ds_load_b32 v6, v98
	v_cmp_ne_u32_e32 vcc_lo, 0, v4
	s_wait_dscnt 0x0
	v_mov_b32_dpp v7, v6 row_shr:1 row_mask:0xf bank_mask:0xf
	s_wait_alu 0xfffd
	s_delay_alu instid0(VALU_DEP_1) | instskip(SKIP_1) | instid1(VALU_DEP_2)
	v_cndmask_b32_e32 v7, 0, v7, vcc_lo
	v_cmp_lt_u32_e32 vcc_lo, 1, v4
	v_add_nc_u32_e32 v6, v7, v6
	s_delay_alu instid0(VALU_DEP_1) | instskip(SKIP_1) | instid1(VALU_DEP_1)
	v_mov_b32_dpp v7, v6 row_shr:2 row_mask:0xf bank_mask:0xf
	s_wait_alu 0xfffd
	v_cndmask_b32_e32 v7, 0, v7, vcc_lo
	v_cmp_lt_u32_e32 vcc_lo, 3, v4
	s_delay_alu instid0(VALU_DEP_2) | instskip(NEXT) | instid1(VALU_DEP_1)
	v_add_nc_u32_e32 v6, v6, v7
	v_mov_b32_dpp v7, v6 row_shr:4 row_mask:0xf bank_mask:0xf
	s_wait_alu 0xfffd
	s_delay_alu instid0(VALU_DEP_1) | instskip(NEXT) | instid1(VALU_DEP_1)
	v_cndmask_b32_e32 v7, 0, v7, vcc_lo
	v_add_nc_u32_e32 v6, v6, v7
	ds_store_b32 v98, v6
.LBB739_684:                            ;   in Loop: Header=BB739_20 Depth=1
	s_wait_alu 0xfffe
	s_or_b32 exec_lo, exec_lo, s11
	v_mov_b32_e32 v6, 0
	s_wait_loadcnt_dscnt 0x0
	s_barrier_signal -1
	s_barrier_wait -1
	global_inv scope:SCOPE_SE
	s_and_saveexec_b32 s11, s5
; %bb.685:                              ;   in Loop: Header=BB739_20 Depth=1
	ds_load_b32 v6, v101
; %bb.686:                              ;   in Loop: Header=BB739_20 Depth=1
	s_wait_alu 0xfffe
	s_or_b32 exec_lo, exec_lo, s11
	v_sub_co_u32 v7, s11, v123, 1
	s_wait_dscnt 0x0
	v_add_nc_u32_e32 v5, v6, v5
	s_wait_loadcnt 0x0
	s_barrier_signal -1
	v_cmp_gt_i32_e32 vcc_lo, 0, v7
	s_barrier_wait -1
	global_inv scope:SCOPE_SE
	s_wait_alu 0xfffd
	v_cndmask_b32_e32 v7, v7, v123, vcc_lo
	s_delay_alu instid0(VALU_DEP_1)
	v_lshlrev_b32_e32 v124, 2, v7
	ds_bpermute_b32 v5, v124, v5
	s_and_saveexec_b32 s12, s2
	s_cbranch_execz .LBB739_688
; %bb.687:                              ;   in Loop: Header=BB739_20 Depth=1
	s_wait_dscnt 0x0
	v_cndmask_b32_e64 v5, v5, v6, s11
	s_delay_alu instid0(VALU_DEP_1)
	v_add_nc_u32_e32 v5, s33, v5
	ds_store_b32 v76, v5
.LBB739_688:                            ;   in Loop: Header=BB739_20 Depth=1
	s_wait_alu 0xfffe
	s_or_b32 exec_lo, exec_lo, s12
	s_load_b64 s[12:13], s[42:43], 0x0
	v_lshlrev_b32_e32 v6, 3, v123
	v_or_b32_e32 v125, v123, v99
	s_mov_b32 s55, s53
                                        ; implicit-def: $vgpr8_vgpr9
                                        ; implicit-def: $vgpr10_vgpr11
                                        ; implicit-def: $vgpr12_vgpr13
                                        ; implicit-def: $vgpr14_vgpr15
                                        ; implicit-def: $vgpr16_vgpr17
                                        ; implicit-def: $vgpr18_vgpr19
                                        ; implicit-def: $vgpr20_vgpr21
                                        ; implicit-def: $vgpr22_vgpr23
                                        ; implicit-def: $vgpr24_vgpr25
                                        ; implicit-def: $vgpr26_vgpr27
                                        ; implicit-def: $vgpr28_vgpr29
                                        ; implicit-def: $vgpr30_vgpr31
                                        ; implicit-def: $vgpr32_vgpr33
                                        ; implicit-def: $vgpr34_vgpr35
                                        ; implicit-def: $vgpr146
                                        ; implicit-def: $vgpr147
                                        ; implicit-def: $vgpr148
                                        ; implicit-def: $vgpr149
                                        ; implicit-def: $vgpr150
                                        ; implicit-def: $vgpr151
                                        ; implicit-def: $vgpr152
                                        ; implicit-def: $vgpr153
                                        ; implicit-def: $vgpr154
                                        ; implicit-def: $vgpr155
                                        ; implicit-def: $vgpr156
                                        ; implicit-def: $vgpr157
                                        ; implicit-def: $vgpr158
                                        ; implicit-def: $vgpr159
                                        ; implicit-def: $vgpr160
                                        ; implicit-def: $vgpr161
	s_delay_alu instid0(VALU_DEP_2)
	v_add_co_u32 v126, vcc_lo, v117, v6
	s_wait_alu 0xfffd
	v_add_co_ci_u32_e64 v127, null, 0, v118, vcc_lo
	v_add_co_u32 v143, vcc_lo, v119, v6
	v_or_b32_e32 v128, 32, v125
	v_or_b32_e32 v129, 64, v125
	;; [unrolled: 1-line block ×8, first 2 shown]
	s_wait_kmcnt 0x0
	s_cmp_lt_u32 ttmp7, s13
	v_or_b32_e32 v136, 0x120, v125
	s_cselect_b32 s34, 14, 20
	s_cmp_lt_u32 ttmp9, s12
	s_wait_alu 0xfffe
	s_add_nc_u64 s[14:15], s[42:43], s[34:35]
	s_cselect_b32 s34, 12, 18
	s_load_u16 s15, s[14:15], 0x0
	s_add_nc_u64 s[12:13], s[42:43], s[34:35]
	v_or_b32_e32 v137, 0x140, v125
	s_load_u16 s16, s[12:13], 0x0
	v_cmp_eq_u32_e64 s12, 0, v4
	v_cmp_lt_u32_e64 s13, 1, v4
	v_cmp_lt_u32_e64 s14, 3, v4
	v_or_b32_e32 v138, 0x160, v125
	v_or_b32_e32 v139, 0x180, v125
	;; [unrolled: 1-line block ×5, first 2 shown]
	v_add_co_ci_u32_e64 v144, null, 0, v120, vcc_lo
	s_mov_b32 s34, s33
                                        ; implicit-def: $vgpr6_vgpr7
	s_wait_kmcnt 0x0
	v_mad_u32_u24 v4, v102, s15, v0
	s_wait_dscnt 0x0
	s_delay_alu instid0(VALU_DEP_1) | instskip(NEXT) | instid1(VALU_DEP_1)
	v_mad_co_u64_u32 v[4:5], null, v4, s16, v[1:2]
	v_lshrrev_b32_e32 v4, 3, v4
	s_delay_alu instid0(VALU_DEP_1)
	v_and_b32_e32 v145, 0x1ffffffc, v4
                                        ; implicit-def: $vgpr4_vgpr5
	s_branch .LBB739_690
.LBB739_689:                            ;   in Loop: Header=BB739_690 Depth=2
	s_wait_alu 0xfffe
	s_or_b32 exec_lo, exec_lo, s15
	s_addk_co_i32 s55, 0xf000
	s_cmp_lt_u32 s56, s51
	s_mov_b32 s34, s56
	s_cbranch_scc0 .LBB739_898
.LBB739_690:                            ;   Parent Loop BB739_20 Depth=1
                                        ; =>  This Inner Loop Header: Depth=2
	s_wait_alu 0xfffe
	s_add_co_i32 s56, s34, 0x1000
	s_wait_alu 0xfffe
	s_cmp_gt_u32 s56, s51
	s_cbranch_scc1 .LBB739_692
; %bb.691:                              ;   in Loop: Header=BB739_690 Depth=2
	s_lshl_b64 s[16:17], s[34:35], 3
	s_mov_b32 s15, -1
	s_wait_alu 0xfffe
	v_add_co_u32 v36, vcc_lo, v143, s16
	s_wait_alu 0xfffd
	v_add_co_ci_u32_e64 v37, null, s17, v144, vcc_lo
	s_clause 0xe
	global_load_b64 v[38:39], v[36:37], off
	global_load_b64 v[40:41], v[36:37], off offset:256
	global_load_b64 v[42:43], v[36:37], off offset:512
	;; [unrolled: 1-line block ×14, first 2 shown]
	s_movk_i32 s16, 0x1000
	s_cbranch_execz .LBB739_693
	s_branch .LBB739_724
.LBB739_692:                            ;   in Loop: Header=BB739_690 Depth=2
	s_mov_b32 s15, 0
                                        ; implicit-def: $vgpr38_vgpr39
                                        ; implicit-def: $vgpr40_vgpr41
                                        ; implicit-def: $vgpr42_vgpr43
                                        ; implicit-def: $vgpr46_vgpr47
                                        ; implicit-def: $vgpr52_vgpr53
                                        ; implicit-def: $vgpr56_vgpr57
                                        ; implicit-def: $vgpr60_vgpr61
                                        ; implicit-def: $vgpr64_vgpr65
                                        ; implicit-def: $vgpr66_vgpr67
                                        ; implicit-def: $vgpr62_vgpr63
                                        ; implicit-def: $vgpr58_vgpr59
                                        ; implicit-def: $vgpr54_vgpr55
                                        ; implicit-def: $vgpr50_vgpr51
                                        ; implicit-def: $vgpr48_vgpr49
                                        ; implicit-def: $vgpr44_vgpr45
	s_movk_i32 s16, 0x1000
.LBB739_693:                            ;   in Loop: Header=BB739_690 Depth=2
	s_wait_loadcnt 0xd
	v_dual_mov_b32 v40, v2 :: v_dual_mov_b32 v41, v3
	s_lshl_b64 s[16:17], s[34:35], 3
	s_mov_b32 s15, exec_lo
	s_wait_alu 0xfffe
	v_add_co_u32 v36, vcc_lo, v143, s16
	s_wait_alu 0xfffd
	v_add_co_ci_u32_e64 v37, null, s17, v144, vcc_lo
	v_dual_mov_b32 v38, v40 :: v_dual_mov_b32 v39, v41
	v_cmpx_gt_u32_e64 s55, v125
	s_cbranch_execz .LBB739_695
; %bb.694:                              ;   in Loop: Header=BB739_690 Depth=2
	global_load_b64 v[38:39], v[36:37], off
.LBB739_695:                            ;   in Loop: Header=BB739_690 Depth=2
	s_or_b32 exec_lo, exec_lo, s15
	s_delay_alu instid0(SALU_CYCLE_1)
	s_mov_b32 s15, exec_lo
	v_cmpx_gt_u32_e64 s55, v128
	s_cbranch_execz .LBB739_697
; %bb.696:                              ;   in Loop: Header=BB739_690 Depth=2
	global_load_b64 v[40:41], v[36:37], off offset:256
.LBB739_697:                            ;   in Loop: Header=BB739_690 Depth=2
	s_wait_alu 0xfffe
	s_or_b32 exec_lo, exec_lo, s15
	s_wait_loadcnt 0xc
	v_dual_mov_b32 v43, v3 :: v_dual_mov_b32 v42, v2
	s_mov_b32 s15, exec_lo
	v_cmpx_gt_u32_e64 s55, v129
	s_cbranch_execz .LBB739_699
; %bb.698:                              ;   in Loop: Header=BB739_690 Depth=2
	global_load_b64 v[42:43], v[36:37], off offset:512
.LBB739_699:                            ;   in Loop: Header=BB739_690 Depth=2
	s_wait_alu 0xfffe
	s_or_b32 exec_lo, exec_lo, s15
	s_wait_loadcnt 0xb
	v_dual_mov_b32 v47, v3 :: v_dual_mov_b32 v46, v2
	;; [unrolled: 10-line block ×13, first 2 shown]
	s_mov_b32 s15, exec_lo
	v_cmpx_gt_u32_e64 s55, v141
	s_cbranch_execz .LBB739_723
; %bb.722:                              ;   in Loop: Header=BB739_690 Depth=2
	global_load_b64 v[44:45], v[36:37], off offset:3584
.LBB739_723:                            ;   in Loop: Header=BB739_690 Depth=2
	s_wait_alu 0xfffe
	s_or_b32 exec_lo, exec_lo, s15
	v_cmp_gt_u32_e64 s15, s55, v142
	s_sub_co_i32 s16, s51, s34
.LBB739_724:                            ;   in Loop: Header=BB739_690 Depth=2
	v_mov_b32_e32 v36, -1
	v_dual_mov_b32 v37, -1 :: v_dual_mov_b32 v162, s55
	s_and_saveexec_b32 s17, s15
	s_cbranch_execz .LBB739_726
; %bb.725:                              ;   in Loop: Header=BB739_690 Depth=2
	s_lshl_b64 s[18:19], s[34:35], 3
	s_wait_alu 0xfffe
	v_mov_b32_e32 v162, s16
	v_add_co_u32 v36, vcc_lo, v143, s18
	s_wait_alu 0xfffd
	v_add_co_ci_u32_e64 v37, null, s19, v144, vcc_lo
	global_load_b64 v[36:37], v[36:37], off offset:3840
	s_wait_loadcnt 0x0
	v_xor_b32_e32 v37, 0x7fffffff, v37
	v_not_b32_e32 v36, v36
.LBB739_726:                            ;   in Loop: Header=BB739_690 Depth=2
	s_wait_alu 0xfffe
	s_or_b32 exec_lo, exec_lo, s17
	s_wait_loadcnt 0xe
	v_xor_b32_e32 v39, 0x7fffffff, v39
	v_not_b32_e32 v38, v38
	v_add_nc_u32_e32 v165, 0x420, v100
	v_add_nc_u32_e32 v166, 0x428, v100
	;; [unrolled: 1-line block ×3, first 2 shown]
	s_delay_alu instid0(VALU_DEP_4) | instskip(NEXT) | instid1(VALU_DEP_1)
	v_lshrrev_b64 v[68:69], s31, v[38:39]
	v_and_b32_e32 v69, s54, v68
	s_delay_alu instid0(VALU_DEP_1)
	v_and_b32_e32 v68, 1, v69
	v_lshlrev_b32_e32 v70, 30, v69
	v_lshlrev_b32_e32 v71, 29, v69
	;; [unrolled: 1-line block ×4, first 2 shown]
	v_add_co_u32 v68, s15, v68, -1
	s_wait_alu 0xf1ff
	v_cndmask_b32_e64 v73, 0, 1, s15
	v_not_b32_e32 v164, v70
	v_cmp_gt_i32_e64 s15, 0, v70
	v_not_b32_e32 v70, v71
	v_lshlrev_b32_e32 v75, 26, v69
	v_cmp_ne_u32_e32 vcc_lo, 0, v73
	v_ashrrev_i32_e32 v164, 31, v164
	v_lshlrev_b32_e32 v163, 25, v69
	v_ashrrev_i32_e32 v70, 31, v70
	v_lshlrev_b32_e32 v73, 24, v69
	s_wait_alu 0xfffd
	v_xor_b32_e32 v68, vcc_lo, v68
	v_cmp_gt_i32_e32 vcc_lo, 0, v71
	v_not_b32_e32 v71, v72
	s_wait_alu 0xf1ff
	v_xor_b32_e32 v164, s15, v164
	v_cmp_gt_i32_e64 s15, 0, v72
	v_and_b32_e32 v68, exec_lo, v68
	v_not_b32_e32 v72, v74
	v_ashrrev_i32_e32 v71, 31, v71
	s_wait_alu 0xfffd
	v_xor_b32_e32 v70, vcc_lo, v70
	v_cmp_gt_i32_e32 vcc_lo, 0, v74
	v_and_b32_e32 v68, v68, v164
	v_not_b32_e32 v74, v75
	v_ashrrev_i32_e32 v72, 31, v72
	s_wait_alu 0xf1ff
	v_xor_b32_e32 v71, s15, v71
	v_cmp_gt_i32_e64 s15, 0, v75
	v_and_b32_e32 v68, v68, v70
	v_not_b32_e32 v70, v163
	v_ashrrev_i32_e32 v74, 31, v74
	s_wait_alu 0xfffd
	v_xor_b32_e32 v72, vcc_lo, v72
	v_cmp_gt_i32_e32 vcc_lo, 0, v163
	v_and_b32_e32 v68, v68, v71
	v_not_b32_e32 v71, v73
	v_ashrrev_i32_e32 v70, 31, v70
	s_wait_alu 0xf1ff
	v_xor_b32_e32 v74, s15, v74
	v_cmp_gt_i32_e64 s15, 0, v73
	v_and_b32_e32 v68, v68, v72
	v_ashrrev_i32_e32 v71, 31, v71
	s_wait_alu 0xfffd
	v_xor_b32_e32 v70, vcc_lo, v70
	v_mul_u32_u24_e32 v69, 36, v69
	v_add_nc_u32_e32 v164, 0x438, v100
	v_and_b32_e32 v68, v68, v74
	s_wait_alu 0xf1ff
	v_xor_b32_e32 v71, s15, v71
	v_add_nc_u32_e32 v168, v145, v69
	ds_store_2addr_b32 v164, v2, v2 offset1:1
	v_and_b32_e32 v68, v68, v70
	ds_store_2addr_b32 v165, v2, v2 offset1:1
	ds_store_2addr_b32 v166, v2, v2 offset1:1
	;; [unrolled: 1-line block ×3, first 2 shown]
	ds_store_b32 v100, v2 offset:1088
	s_wait_loadcnt_dscnt 0x0
	s_barrier_signal -1
	s_barrier_wait -1
	v_and_b32_e32 v68, v68, v71
	global_inv scope:SCOPE_SE
	; wave barrier
	v_mbcnt_lo_u32_b32 v163, v68, 0
	v_cmp_ne_u32_e64 s15, 0, v68
	s_delay_alu instid0(VALU_DEP_2)
	v_cmp_eq_u32_e32 vcc_lo, 0, v163
	s_and_b32 s16, s15, vcc_lo
	s_wait_alu 0xfffe
	s_and_saveexec_b32 s15, s16
; %bb.727:                              ;   in Loop: Header=BB739_690 Depth=2
	v_bcnt_u32_b32 v68, v68, 0
	ds_store_b32 v168, v68 offset:1056
; %bb.728:                              ;   in Loop: Header=BB739_690 Depth=2
	s_wait_alu 0xfffe
	s_or_b32 exec_lo, exec_lo, s15
	v_xor_b32_e32 v41, 0x7fffffff, v41
	v_not_b32_e32 v40, v40
	; wave barrier
	s_delay_alu instid0(VALU_DEP_1) | instskip(NEXT) | instid1(VALU_DEP_1)
	v_lshrrev_b64 v[68:69], s31, v[40:41]
	v_and_b32_e32 v69, s54, v68
	s_delay_alu instid0(VALU_DEP_1)
	v_and_b32_e32 v68, 1, v69
	v_lshlrev_b32_e32 v70, 30, v69
	v_lshlrev_b32_e32 v71, 29, v69
	;; [unrolled: 1-line block ×4, first 2 shown]
	v_add_co_u32 v68, s15, v68, -1
	s_wait_alu 0xf1ff
	v_cndmask_b32_e64 v73, 0, 1, s15
	v_not_b32_e32 v170, v70
	v_cmp_gt_i32_e64 s15, 0, v70
	v_not_b32_e32 v70, v71
	v_lshlrev_b32_e32 v75, 26, v69
	v_cmp_ne_u32_e32 vcc_lo, 0, v73
	v_ashrrev_i32_e32 v170, 31, v170
	v_lshlrev_b32_e32 v169, 25, v69
	v_ashrrev_i32_e32 v70, 31, v70
	v_lshlrev_b32_e32 v73, 24, v69
	s_wait_alu 0xfffd
	v_xor_b32_e32 v68, vcc_lo, v68
	v_cmp_gt_i32_e32 vcc_lo, 0, v71
	v_not_b32_e32 v71, v72
	s_wait_alu 0xf1ff
	v_xor_b32_e32 v170, s15, v170
	v_cmp_gt_i32_e64 s15, 0, v72
	v_and_b32_e32 v68, exec_lo, v68
	v_not_b32_e32 v72, v74
	v_ashrrev_i32_e32 v71, 31, v71
	s_wait_alu 0xfffd
	v_xor_b32_e32 v70, vcc_lo, v70
	v_cmp_gt_i32_e32 vcc_lo, 0, v74
	v_and_b32_e32 v68, v68, v170
	v_not_b32_e32 v74, v75
	v_ashrrev_i32_e32 v72, 31, v72
	s_wait_alu 0xf1ff
	v_xor_b32_e32 v71, s15, v71
	v_cmp_gt_i32_e64 s15, 0, v75
	v_and_b32_e32 v68, v68, v70
	v_not_b32_e32 v70, v169
	v_ashrrev_i32_e32 v74, 31, v74
	s_wait_alu 0xfffd
	v_xor_b32_e32 v72, vcc_lo, v72
	v_cmp_gt_i32_e32 vcc_lo, 0, v169
	v_and_b32_e32 v68, v68, v71
	v_not_b32_e32 v71, v73
	v_ashrrev_i32_e32 v70, 31, v70
	s_wait_alu 0xf1ff
	v_xor_b32_e32 v74, s15, v74
	v_cmp_gt_i32_e64 s15, 0, v73
	v_and_b32_e32 v68, v68, v72
	v_ashrrev_i32_e32 v71, 31, v71
	s_wait_alu 0xfffd
	v_xor_b32_e32 v70, vcc_lo, v70
	v_mad_u32_u24 v72, v69, 36, v145
	v_mul_u32_u24_e32 v69, 36, v69
	v_and_b32_e32 v68, v68, v74
	s_wait_alu 0xf1ff
	v_xor_b32_e32 v71, s15, v71
	ds_load_b32 v169, v72 offset:1056
	v_add_nc_u32_e32 v171, v145, v69
	v_and_b32_e32 v68, v68, v70
	; wave barrier
	s_delay_alu instid0(VALU_DEP_1) | instskip(NEXT) | instid1(VALU_DEP_1)
	v_and_b32_e32 v68, v68, v71
	v_mbcnt_lo_u32_b32 v170, v68, 0
	v_cmp_ne_u32_e64 s15, 0, v68
	s_delay_alu instid0(VALU_DEP_2)
	v_cmp_eq_u32_e32 vcc_lo, 0, v170
	s_and_b32 s16, s15, vcc_lo
	s_wait_alu 0xfffe
	s_and_saveexec_b32 s15, s16
	s_cbranch_execz .LBB739_730
; %bb.729:                              ;   in Loop: Header=BB739_690 Depth=2
	s_wait_dscnt 0x0
	v_bcnt_u32_b32 v68, v68, v169
	ds_store_b32 v171, v68 offset:1056
.LBB739_730:                            ;   in Loop: Header=BB739_690 Depth=2
	s_wait_alu 0xfffe
	s_or_b32 exec_lo, exec_lo, s15
	v_xor_b32_e32 v43, 0x7fffffff, v43
	v_not_b32_e32 v42, v42
	; wave barrier
	s_delay_alu instid0(VALU_DEP_1) | instskip(NEXT) | instid1(VALU_DEP_1)
	v_lshrrev_b64 v[68:69], s31, v[42:43]
	v_and_b32_e32 v69, s54, v68
	s_delay_alu instid0(VALU_DEP_1)
	v_and_b32_e32 v68, 1, v69
	v_lshlrev_b32_e32 v70, 30, v69
	v_lshlrev_b32_e32 v71, 29, v69
	;; [unrolled: 1-line block ×4, first 2 shown]
	v_add_co_u32 v68, s15, v68, -1
	s_wait_alu 0xf1ff
	v_cndmask_b32_e64 v73, 0, 1, s15
	v_not_b32_e32 v173, v70
	v_cmp_gt_i32_e64 s15, 0, v70
	v_not_b32_e32 v70, v71
	v_lshlrev_b32_e32 v75, 26, v69
	v_cmp_ne_u32_e32 vcc_lo, 0, v73
	v_ashrrev_i32_e32 v173, 31, v173
	v_lshlrev_b32_e32 v172, 25, v69
	v_ashrrev_i32_e32 v70, 31, v70
	v_lshlrev_b32_e32 v73, 24, v69
	s_wait_alu 0xfffd
	v_xor_b32_e32 v68, vcc_lo, v68
	v_cmp_gt_i32_e32 vcc_lo, 0, v71
	v_not_b32_e32 v71, v72
	s_wait_alu 0xf1ff
	v_xor_b32_e32 v173, s15, v173
	v_cmp_gt_i32_e64 s15, 0, v72
	v_and_b32_e32 v68, exec_lo, v68
	v_not_b32_e32 v72, v74
	v_ashrrev_i32_e32 v71, 31, v71
	s_wait_alu 0xfffd
	v_xor_b32_e32 v70, vcc_lo, v70
	v_cmp_gt_i32_e32 vcc_lo, 0, v74
	v_and_b32_e32 v68, v68, v173
	v_not_b32_e32 v74, v75
	v_ashrrev_i32_e32 v72, 31, v72
	s_wait_alu 0xf1ff
	v_xor_b32_e32 v71, s15, v71
	v_cmp_gt_i32_e64 s15, 0, v75
	v_and_b32_e32 v68, v68, v70
	v_not_b32_e32 v70, v172
	v_ashrrev_i32_e32 v74, 31, v74
	s_wait_alu 0xfffd
	v_xor_b32_e32 v72, vcc_lo, v72
	v_cmp_gt_i32_e32 vcc_lo, 0, v172
	v_and_b32_e32 v68, v68, v71
	v_not_b32_e32 v71, v73
	v_ashrrev_i32_e32 v70, 31, v70
	s_wait_alu 0xf1ff
	v_xor_b32_e32 v74, s15, v74
	v_cmp_gt_i32_e64 s15, 0, v73
	v_and_b32_e32 v68, v68, v72
	v_ashrrev_i32_e32 v71, 31, v71
	s_wait_alu 0xfffd
	v_xor_b32_e32 v70, vcc_lo, v70
	v_mad_u32_u24 v72, v69, 36, v145
	v_mul_u32_u24_e32 v69, 36, v69
	v_and_b32_e32 v68, v68, v74
	s_wait_alu 0xf1ff
	v_xor_b32_e32 v71, s15, v71
	ds_load_b32 v172, v72 offset:1056
	v_add_nc_u32_e32 v174, v145, v69
	v_and_b32_e32 v68, v68, v70
	; wave barrier
	s_delay_alu instid0(VALU_DEP_1) | instskip(NEXT) | instid1(VALU_DEP_1)
	v_and_b32_e32 v68, v68, v71
	v_mbcnt_lo_u32_b32 v173, v68, 0
	v_cmp_ne_u32_e64 s15, 0, v68
	s_delay_alu instid0(VALU_DEP_2)
	v_cmp_eq_u32_e32 vcc_lo, 0, v173
	s_and_b32 s16, s15, vcc_lo
	s_wait_alu 0xfffe
	s_and_saveexec_b32 s15, s16
	s_cbranch_execz .LBB739_732
; %bb.731:                              ;   in Loop: Header=BB739_690 Depth=2
	s_wait_dscnt 0x0
	v_bcnt_u32_b32 v68, v68, v172
	ds_store_b32 v174, v68 offset:1056
.LBB739_732:                            ;   in Loop: Header=BB739_690 Depth=2
	s_wait_alu 0xfffe
	s_or_b32 exec_lo, exec_lo, s15
	v_xor_b32_e32 v47, 0x7fffffff, v47
	v_not_b32_e32 v46, v46
	; wave barrier
	s_delay_alu instid0(VALU_DEP_1) | instskip(NEXT) | instid1(VALU_DEP_1)
	v_lshrrev_b64 v[68:69], s31, v[46:47]
	v_and_b32_e32 v69, s54, v68
	s_delay_alu instid0(VALU_DEP_1)
	v_and_b32_e32 v68, 1, v69
	v_lshlrev_b32_e32 v70, 30, v69
	v_lshlrev_b32_e32 v71, 29, v69
	;; [unrolled: 1-line block ×4, first 2 shown]
	v_add_co_u32 v68, s15, v68, -1
	s_wait_alu 0xf1ff
	v_cndmask_b32_e64 v73, 0, 1, s15
	v_not_b32_e32 v176, v70
	v_cmp_gt_i32_e64 s15, 0, v70
	v_not_b32_e32 v70, v71
	v_lshlrev_b32_e32 v75, 26, v69
	v_cmp_ne_u32_e32 vcc_lo, 0, v73
	v_ashrrev_i32_e32 v176, 31, v176
	v_lshlrev_b32_e32 v175, 25, v69
	v_ashrrev_i32_e32 v70, 31, v70
	v_lshlrev_b32_e32 v73, 24, v69
	s_wait_alu 0xfffd
	v_xor_b32_e32 v68, vcc_lo, v68
	v_cmp_gt_i32_e32 vcc_lo, 0, v71
	v_not_b32_e32 v71, v72
	s_wait_alu 0xf1ff
	v_xor_b32_e32 v176, s15, v176
	v_cmp_gt_i32_e64 s15, 0, v72
	v_and_b32_e32 v68, exec_lo, v68
	v_not_b32_e32 v72, v74
	v_ashrrev_i32_e32 v71, 31, v71
	s_wait_alu 0xfffd
	v_xor_b32_e32 v70, vcc_lo, v70
	v_cmp_gt_i32_e32 vcc_lo, 0, v74
	v_and_b32_e32 v68, v68, v176
	v_not_b32_e32 v74, v75
	v_ashrrev_i32_e32 v72, 31, v72
	s_wait_alu 0xf1ff
	v_xor_b32_e32 v71, s15, v71
	v_cmp_gt_i32_e64 s15, 0, v75
	v_and_b32_e32 v68, v68, v70
	v_not_b32_e32 v70, v175
	v_ashrrev_i32_e32 v74, 31, v74
	s_wait_alu 0xfffd
	v_xor_b32_e32 v72, vcc_lo, v72
	v_cmp_gt_i32_e32 vcc_lo, 0, v175
	v_and_b32_e32 v68, v68, v71
	v_not_b32_e32 v71, v73
	v_ashrrev_i32_e32 v70, 31, v70
	s_wait_alu 0xf1ff
	v_xor_b32_e32 v74, s15, v74
	v_cmp_gt_i32_e64 s15, 0, v73
	v_and_b32_e32 v68, v68, v72
	v_ashrrev_i32_e32 v71, 31, v71
	s_wait_alu 0xfffd
	v_xor_b32_e32 v70, vcc_lo, v70
	v_mad_u32_u24 v72, v69, 36, v145
	v_mul_u32_u24_e32 v69, 36, v69
	v_and_b32_e32 v68, v68, v74
	s_wait_alu 0xf1ff
	v_xor_b32_e32 v71, s15, v71
	ds_load_b32 v175, v72 offset:1056
	v_add_nc_u32_e32 v177, v145, v69
	v_and_b32_e32 v68, v68, v70
	; wave barrier
	s_delay_alu instid0(VALU_DEP_1) | instskip(NEXT) | instid1(VALU_DEP_1)
	v_and_b32_e32 v68, v68, v71
	v_mbcnt_lo_u32_b32 v176, v68, 0
	v_cmp_ne_u32_e64 s15, 0, v68
	s_delay_alu instid0(VALU_DEP_2)
	v_cmp_eq_u32_e32 vcc_lo, 0, v176
	s_and_b32 s16, s15, vcc_lo
	s_wait_alu 0xfffe
	s_and_saveexec_b32 s15, s16
	s_cbranch_execz .LBB739_734
; %bb.733:                              ;   in Loop: Header=BB739_690 Depth=2
	s_wait_dscnt 0x0
	v_bcnt_u32_b32 v68, v68, v175
	ds_store_b32 v177, v68 offset:1056
.LBB739_734:                            ;   in Loop: Header=BB739_690 Depth=2
	s_wait_alu 0xfffe
	s_or_b32 exec_lo, exec_lo, s15
	v_xor_b32_e32 v53, 0x7fffffff, v53
	v_not_b32_e32 v52, v52
	; wave barrier
	s_delay_alu instid0(VALU_DEP_1) | instskip(NEXT) | instid1(VALU_DEP_1)
	v_lshrrev_b64 v[68:69], s31, v[52:53]
	v_and_b32_e32 v69, s54, v68
	s_delay_alu instid0(VALU_DEP_1)
	v_and_b32_e32 v68, 1, v69
	v_lshlrev_b32_e32 v70, 30, v69
	v_lshlrev_b32_e32 v71, 29, v69
	;; [unrolled: 1-line block ×4, first 2 shown]
	v_add_co_u32 v68, s15, v68, -1
	s_wait_alu 0xf1ff
	v_cndmask_b32_e64 v73, 0, 1, s15
	v_not_b32_e32 v179, v70
	v_cmp_gt_i32_e64 s15, 0, v70
	v_not_b32_e32 v70, v71
	v_lshlrev_b32_e32 v75, 26, v69
	v_cmp_ne_u32_e32 vcc_lo, 0, v73
	v_ashrrev_i32_e32 v179, 31, v179
	v_lshlrev_b32_e32 v178, 25, v69
	v_ashrrev_i32_e32 v70, 31, v70
	v_lshlrev_b32_e32 v73, 24, v69
	s_wait_alu 0xfffd
	v_xor_b32_e32 v68, vcc_lo, v68
	v_cmp_gt_i32_e32 vcc_lo, 0, v71
	v_not_b32_e32 v71, v72
	s_wait_alu 0xf1ff
	v_xor_b32_e32 v179, s15, v179
	v_cmp_gt_i32_e64 s15, 0, v72
	v_and_b32_e32 v68, exec_lo, v68
	v_not_b32_e32 v72, v74
	v_ashrrev_i32_e32 v71, 31, v71
	s_wait_alu 0xfffd
	v_xor_b32_e32 v70, vcc_lo, v70
	v_cmp_gt_i32_e32 vcc_lo, 0, v74
	v_and_b32_e32 v68, v68, v179
	v_not_b32_e32 v74, v75
	v_ashrrev_i32_e32 v72, 31, v72
	s_wait_alu 0xf1ff
	v_xor_b32_e32 v71, s15, v71
	v_cmp_gt_i32_e64 s15, 0, v75
	v_and_b32_e32 v68, v68, v70
	v_not_b32_e32 v70, v178
	v_ashrrev_i32_e32 v74, 31, v74
	s_wait_alu 0xfffd
	v_xor_b32_e32 v72, vcc_lo, v72
	v_cmp_gt_i32_e32 vcc_lo, 0, v178
	v_and_b32_e32 v68, v68, v71
	v_not_b32_e32 v71, v73
	v_ashrrev_i32_e32 v70, 31, v70
	s_wait_alu 0xf1ff
	v_xor_b32_e32 v74, s15, v74
	v_cmp_gt_i32_e64 s15, 0, v73
	v_and_b32_e32 v68, v68, v72
	v_ashrrev_i32_e32 v71, 31, v71
	s_wait_alu 0xfffd
	v_xor_b32_e32 v70, vcc_lo, v70
	v_mad_u32_u24 v72, v69, 36, v145
	v_mul_u32_u24_e32 v69, 36, v69
	v_and_b32_e32 v68, v68, v74
	s_wait_alu 0xf1ff
	v_xor_b32_e32 v71, s15, v71
	ds_load_b32 v178, v72 offset:1056
	v_add_nc_u32_e32 v180, v145, v69
	v_and_b32_e32 v68, v68, v70
	; wave barrier
	s_delay_alu instid0(VALU_DEP_1) | instskip(NEXT) | instid1(VALU_DEP_1)
	v_and_b32_e32 v68, v68, v71
	v_mbcnt_lo_u32_b32 v179, v68, 0
	v_cmp_ne_u32_e64 s15, 0, v68
	s_delay_alu instid0(VALU_DEP_2)
	v_cmp_eq_u32_e32 vcc_lo, 0, v179
	s_and_b32 s16, s15, vcc_lo
	s_wait_alu 0xfffe
	s_and_saveexec_b32 s15, s16
	s_cbranch_execz .LBB739_736
; %bb.735:                              ;   in Loop: Header=BB739_690 Depth=2
	s_wait_dscnt 0x0
	v_bcnt_u32_b32 v68, v68, v178
	ds_store_b32 v180, v68 offset:1056
.LBB739_736:                            ;   in Loop: Header=BB739_690 Depth=2
	s_wait_alu 0xfffe
	s_or_b32 exec_lo, exec_lo, s15
	v_xor_b32_e32 v57, 0x7fffffff, v57
	v_not_b32_e32 v56, v56
	; wave barrier
	s_delay_alu instid0(VALU_DEP_1) | instskip(NEXT) | instid1(VALU_DEP_1)
	v_lshrrev_b64 v[68:69], s31, v[56:57]
	v_and_b32_e32 v69, s54, v68
	s_delay_alu instid0(VALU_DEP_1)
	v_and_b32_e32 v68, 1, v69
	v_lshlrev_b32_e32 v70, 30, v69
	v_lshlrev_b32_e32 v71, 29, v69
	;; [unrolled: 1-line block ×4, first 2 shown]
	v_add_co_u32 v68, s15, v68, -1
	s_wait_alu 0xf1ff
	v_cndmask_b32_e64 v73, 0, 1, s15
	v_not_b32_e32 v182, v70
	v_cmp_gt_i32_e64 s15, 0, v70
	v_not_b32_e32 v70, v71
	v_lshlrev_b32_e32 v75, 26, v69
	v_cmp_ne_u32_e32 vcc_lo, 0, v73
	v_ashrrev_i32_e32 v182, 31, v182
	v_lshlrev_b32_e32 v181, 25, v69
	v_ashrrev_i32_e32 v70, 31, v70
	v_lshlrev_b32_e32 v73, 24, v69
	s_wait_alu 0xfffd
	v_xor_b32_e32 v68, vcc_lo, v68
	v_cmp_gt_i32_e32 vcc_lo, 0, v71
	v_not_b32_e32 v71, v72
	s_wait_alu 0xf1ff
	v_xor_b32_e32 v182, s15, v182
	v_cmp_gt_i32_e64 s15, 0, v72
	v_and_b32_e32 v68, exec_lo, v68
	v_not_b32_e32 v72, v74
	v_ashrrev_i32_e32 v71, 31, v71
	s_wait_alu 0xfffd
	v_xor_b32_e32 v70, vcc_lo, v70
	v_cmp_gt_i32_e32 vcc_lo, 0, v74
	v_and_b32_e32 v68, v68, v182
	v_not_b32_e32 v74, v75
	v_ashrrev_i32_e32 v72, 31, v72
	s_wait_alu 0xf1ff
	v_xor_b32_e32 v71, s15, v71
	v_cmp_gt_i32_e64 s15, 0, v75
	v_and_b32_e32 v68, v68, v70
	v_not_b32_e32 v70, v181
	v_ashrrev_i32_e32 v74, 31, v74
	s_wait_alu 0xfffd
	v_xor_b32_e32 v72, vcc_lo, v72
	v_cmp_gt_i32_e32 vcc_lo, 0, v181
	v_and_b32_e32 v68, v68, v71
	v_not_b32_e32 v71, v73
	v_ashrrev_i32_e32 v70, 31, v70
	s_wait_alu 0xf1ff
	v_xor_b32_e32 v74, s15, v74
	v_cmp_gt_i32_e64 s15, 0, v73
	v_and_b32_e32 v68, v68, v72
	v_ashrrev_i32_e32 v71, 31, v71
	s_wait_alu 0xfffd
	v_xor_b32_e32 v70, vcc_lo, v70
	v_mad_u32_u24 v72, v69, 36, v145
	v_mul_u32_u24_e32 v69, 36, v69
	v_and_b32_e32 v68, v68, v74
	s_wait_alu 0xf1ff
	v_xor_b32_e32 v71, s15, v71
	ds_load_b32 v181, v72 offset:1056
	v_add_nc_u32_e32 v183, v145, v69
	v_and_b32_e32 v68, v68, v70
	; wave barrier
	s_delay_alu instid0(VALU_DEP_1) | instskip(NEXT) | instid1(VALU_DEP_1)
	v_and_b32_e32 v68, v68, v71
	v_mbcnt_lo_u32_b32 v182, v68, 0
	v_cmp_ne_u32_e64 s15, 0, v68
	s_delay_alu instid0(VALU_DEP_2)
	v_cmp_eq_u32_e32 vcc_lo, 0, v182
	s_and_b32 s16, s15, vcc_lo
	s_wait_alu 0xfffe
	s_and_saveexec_b32 s15, s16
	s_cbranch_execz .LBB739_738
; %bb.737:                              ;   in Loop: Header=BB739_690 Depth=2
	s_wait_dscnt 0x0
	v_bcnt_u32_b32 v68, v68, v181
	ds_store_b32 v183, v68 offset:1056
.LBB739_738:                            ;   in Loop: Header=BB739_690 Depth=2
	s_wait_alu 0xfffe
	s_or_b32 exec_lo, exec_lo, s15
	v_xor_b32_e32 v61, 0x7fffffff, v61
	v_not_b32_e32 v60, v60
	; wave barrier
	s_delay_alu instid0(VALU_DEP_1) | instskip(NEXT) | instid1(VALU_DEP_1)
	v_lshrrev_b64 v[68:69], s31, v[60:61]
	v_and_b32_e32 v69, s54, v68
	s_delay_alu instid0(VALU_DEP_1)
	v_and_b32_e32 v68, 1, v69
	v_lshlrev_b32_e32 v70, 30, v69
	v_lshlrev_b32_e32 v71, 29, v69
	;; [unrolled: 1-line block ×4, first 2 shown]
	v_add_co_u32 v68, s15, v68, -1
	s_wait_alu 0xf1ff
	v_cndmask_b32_e64 v73, 0, 1, s15
	v_not_b32_e32 v185, v70
	v_cmp_gt_i32_e64 s15, 0, v70
	v_not_b32_e32 v70, v71
	v_lshlrev_b32_e32 v75, 26, v69
	v_cmp_ne_u32_e32 vcc_lo, 0, v73
	v_ashrrev_i32_e32 v185, 31, v185
	v_lshlrev_b32_e32 v184, 25, v69
	v_ashrrev_i32_e32 v70, 31, v70
	v_lshlrev_b32_e32 v73, 24, v69
	s_wait_alu 0xfffd
	v_xor_b32_e32 v68, vcc_lo, v68
	v_cmp_gt_i32_e32 vcc_lo, 0, v71
	v_not_b32_e32 v71, v72
	s_wait_alu 0xf1ff
	v_xor_b32_e32 v185, s15, v185
	v_cmp_gt_i32_e64 s15, 0, v72
	v_and_b32_e32 v68, exec_lo, v68
	v_not_b32_e32 v72, v74
	v_ashrrev_i32_e32 v71, 31, v71
	s_wait_alu 0xfffd
	v_xor_b32_e32 v70, vcc_lo, v70
	v_cmp_gt_i32_e32 vcc_lo, 0, v74
	v_and_b32_e32 v68, v68, v185
	v_not_b32_e32 v74, v75
	v_ashrrev_i32_e32 v72, 31, v72
	s_wait_alu 0xf1ff
	v_xor_b32_e32 v71, s15, v71
	v_cmp_gt_i32_e64 s15, 0, v75
	v_and_b32_e32 v68, v68, v70
	v_not_b32_e32 v70, v184
	v_ashrrev_i32_e32 v74, 31, v74
	s_wait_alu 0xfffd
	v_xor_b32_e32 v72, vcc_lo, v72
	v_cmp_gt_i32_e32 vcc_lo, 0, v184
	v_and_b32_e32 v68, v68, v71
	v_not_b32_e32 v71, v73
	v_ashrrev_i32_e32 v70, 31, v70
	s_wait_alu 0xf1ff
	v_xor_b32_e32 v74, s15, v74
	v_cmp_gt_i32_e64 s15, 0, v73
	v_and_b32_e32 v68, v68, v72
	v_ashrrev_i32_e32 v71, 31, v71
	s_wait_alu 0xfffd
	v_xor_b32_e32 v70, vcc_lo, v70
	v_mad_u32_u24 v72, v69, 36, v145
	v_mul_u32_u24_e32 v69, 36, v69
	v_and_b32_e32 v68, v68, v74
	s_wait_alu 0xf1ff
	v_xor_b32_e32 v71, s15, v71
	ds_load_b32 v184, v72 offset:1056
	v_add_nc_u32_e32 v186, v145, v69
	v_and_b32_e32 v68, v68, v70
	; wave barrier
	s_delay_alu instid0(VALU_DEP_1) | instskip(NEXT) | instid1(VALU_DEP_1)
	v_and_b32_e32 v68, v68, v71
	v_mbcnt_lo_u32_b32 v185, v68, 0
	v_cmp_ne_u32_e64 s15, 0, v68
	s_delay_alu instid0(VALU_DEP_2)
	v_cmp_eq_u32_e32 vcc_lo, 0, v185
	s_and_b32 s16, s15, vcc_lo
	s_wait_alu 0xfffe
	s_and_saveexec_b32 s15, s16
	s_cbranch_execz .LBB739_740
; %bb.739:                              ;   in Loop: Header=BB739_690 Depth=2
	s_wait_dscnt 0x0
	v_bcnt_u32_b32 v68, v68, v184
	ds_store_b32 v186, v68 offset:1056
.LBB739_740:                            ;   in Loop: Header=BB739_690 Depth=2
	s_wait_alu 0xfffe
	s_or_b32 exec_lo, exec_lo, s15
	v_xor_b32_e32 v65, 0x7fffffff, v65
	v_not_b32_e32 v64, v64
	; wave barrier
	s_delay_alu instid0(VALU_DEP_1) | instskip(NEXT) | instid1(VALU_DEP_1)
	v_lshrrev_b64 v[68:69], s31, v[64:65]
	v_and_b32_e32 v69, s54, v68
	s_delay_alu instid0(VALU_DEP_1)
	v_and_b32_e32 v68, 1, v69
	v_lshlrev_b32_e32 v70, 30, v69
	v_lshlrev_b32_e32 v71, 29, v69
	;; [unrolled: 1-line block ×4, first 2 shown]
	v_add_co_u32 v68, s15, v68, -1
	s_wait_alu 0xf1ff
	v_cndmask_b32_e64 v73, 0, 1, s15
	v_not_b32_e32 v188, v70
	v_cmp_gt_i32_e64 s15, 0, v70
	v_not_b32_e32 v70, v71
	v_lshlrev_b32_e32 v75, 26, v69
	v_cmp_ne_u32_e32 vcc_lo, 0, v73
	v_ashrrev_i32_e32 v188, 31, v188
	v_lshlrev_b32_e32 v187, 25, v69
	v_ashrrev_i32_e32 v70, 31, v70
	v_lshlrev_b32_e32 v73, 24, v69
	s_wait_alu 0xfffd
	v_xor_b32_e32 v68, vcc_lo, v68
	v_cmp_gt_i32_e32 vcc_lo, 0, v71
	v_not_b32_e32 v71, v72
	s_wait_alu 0xf1ff
	v_xor_b32_e32 v188, s15, v188
	v_cmp_gt_i32_e64 s15, 0, v72
	v_and_b32_e32 v68, exec_lo, v68
	v_not_b32_e32 v72, v74
	v_ashrrev_i32_e32 v71, 31, v71
	s_wait_alu 0xfffd
	v_xor_b32_e32 v70, vcc_lo, v70
	v_cmp_gt_i32_e32 vcc_lo, 0, v74
	v_and_b32_e32 v68, v68, v188
	v_not_b32_e32 v74, v75
	v_ashrrev_i32_e32 v72, 31, v72
	s_wait_alu 0xf1ff
	v_xor_b32_e32 v71, s15, v71
	v_cmp_gt_i32_e64 s15, 0, v75
	v_and_b32_e32 v68, v68, v70
	v_not_b32_e32 v70, v187
	v_ashrrev_i32_e32 v74, 31, v74
	s_wait_alu 0xfffd
	v_xor_b32_e32 v72, vcc_lo, v72
	v_cmp_gt_i32_e32 vcc_lo, 0, v187
	v_and_b32_e32 v68, v68, v71
	v_not_b32_e32 v71, v73
	v_ashrrev_i32_e32 v70, 31, v70
	s_wait_alu 0xf1ff
	v_xor_b32_e32 v74, s15, v74
	v_cmp_gt_i32_e64 s15, 0, v73
	v_and_b32_e32 v68, v68, v72
	v_ashrrev_i32_e32 v71, 31, v71
	s_wait_alu 0xfffd
	v_xor_b32_e32 v70, vcc_lo, v70
	v_mad_u32_u24 v72, v69, 36, v145
	v_mul_u32_u24_e32 v69, 36, v69
	v_and_b32_e32 v68, v68, v74
	s_wait_alu 0xf1ff
	v_xor_b32_e32 v71, s15, v71
	ds_load_b32 v187, v72 offset:1056
	v_add_nc_u32_e32 v189, v145, v69
	v_and_b32_e32 v68, v68, v70
	; wave barrier
	s_delay_alu instid0(VALU_DEP_1) | instskip(NEXT) | instid1(VALU_DEP_1)
	v_and_b32_e32 v68, v68, v71
	v_mbcnt_lo_u32_b32 v188, v68, 0
	v_cmp_ne_u32_e64 s15, 0, v68
	s_delay_alu instid0(VALU_DEP_2)
	v_cmp_eq_u32_e32 vcc_lo, 0, v188
	s_and_b32 s16, s15, vcc_lo
	s_wait_alu 0xfffe
	s_and_saveexec_b32 s15, s16
	s_cbranch_execz .LBB739_742
; %bb.741:                              ;   in Loop: Header=BB739_690 Depth=2
	s_wait_dscnt 0x0
	v_bcnt_u32_b32 v68, v68, v187
	ds_store_b32 v189, v68 offset:1056
.LBB739_742:                            ;   in Loop: Header=BB739_690 Depth=2
	s_wait_alu 0xfffe
	s_or_b32 exec_lo, exec_lo, s15
	v_xor_b32_e32 v67, 0x7fffffff, v67
	v_not_b32_e32 v66, v66
	; wave barrier
	s_delay_alu instid0(VALU_DEP_1) | instskip(NEXT) | instid1(VALU_DEP_1)
	v_lshrrev_b64 v[68:69], s31, v[66:67]
	v_and_b32_e32 v69, s54, v68
	s_delay_alu instid0(VALU_DEP_1)
	v_and_b32_e32 v68, 1, v69
	v_lshlrev_b32_e32 v70, 30, v69
	v_lshlrev_b32_e32 v71, 29, v69
	;; [unrolled: 1-line block ×4, first 2 shown]
	v_add_co_u32 v68, s15, v68, -1
	s_wait_alu 0xf1ff
	v_cndmask_b32_e64 v73, 0, 1, s15
	v_not_b32_e32 v191, v70
	v_cmp_gt_i32_e64 s15, 0, v70
	v_not_b32_e32 v70, v71
	v_lshlrev_b32_e32 v75, 26, v69
	v_cmp_ne_u32_e32 vcc_lo, 0, v73
	v_ashrrev_i32_e32 v191, 31, v191
	v_lshlrev_b32_e32 v190, 25, v69
	v_ashrrev_i32_e32 v70, 31, v70
	v_lshlrev_b32_e32 v73, 24, v69
	s_wait_alu 0xfffd
	v_xor_b32_e32 v68, vcc_lo, v68
	v_cmp_gt_i32_e32 vcc_lo, 0, v71
	v_not_b32_e32 v71, v72
	s_wait_alu 0xf1ff
	v_xor_b32_e32 v191, s15, v191
	v_cmp_gt_i32_e64 s15, 0, v72
	v_and_b32_e32 v68, exec_lo, v68
	v_not_b32_e32 v72, v74
	v_ashrrev_i32_e32 v71, 31, v71
	s_wait_alu 0xfffd
	v_xor_b32_e32 v70, vcc_lo, v70
	v_cmp_gt_i32_e32 vcc_lo, 0, v74
	v_and_b32_e32 v68, v68, v191
	v_not_b32_e32 v74, v75
	v_ashrrev_i32_e32 v72, 31, v72
	s_wait_alu 0xf1ff
	v_xor_b32_e32 v71, s15, v71
	v_cmp_gt_i32_e64 s15, 0, v75
	v_and_b32_e32 v68, v68, v70
	v_not_b32_e32 v70, v190
	v_ashrrev_i32_e32 v74, 31, v74
	s_wait_alu 0xfffd
	v_xor_b32_e32 v72, vcc_lo, v72
	v_cmp_gt_i32_e32 vcc_lo, 0, v190
	v_and_b32_e32 v68, v68, v71
	v_not_b32_e32 v71, v73
	v_ashrrev_i32_e32 v70, 31, v70
	s_wait_alu 0xf1ff
	v_xor_b32_e32 v74, s15, v74
	v_cmp_gt_i32_e64 s15, 0, v73
	v_and_b32_e32 v68, v68, v72
	v_ashrrev_i32_e32 v71, 31, v71
	s_wait_alu 0xfffd
	v_xor_b32_e32 v70, vcc_lo, v70
	v_mad_u32_u24 v72, v69, 36, v145
	v_mul_u32_u24_e32 v69, 36, v69
	v_and_b32_e32 v68, v68, v74
	s_wait_alu 0xf1ff
	v_xor_b32_e32 v71, s15, v71
	ds_load_b32 v190, v72 offset:1056
	v_add_nc_u32_e32 v192, v145, v69
	v_and_b32_e32 v68, v68, v70
	; wave barrier
	s_delay_alu instid0(VALU_DEP_1) | instskip(NEXT) | instid1(VALU_DEP_1)
	v_and_b32_e32 v68, v68, v71
	v_mbcnt_lo_u32_b32 v191, v68, 0
	v_cmp_ne_u32_e64 s15, 0, v68
	s_delay_alu instid0(VALU_DEP_2)
	v_cmp_eq_u32_e32 vcc_lo, 0, v191
	s_and_b32 s16, s15, vcc_lo
	s_wait_alu 0xfffe
	s_and_saveexec_b32 s15, s16
	s_cbranch_execz .LBB739_744
; %bb.743:                              ;   in Loop: Header=BB739_690 Depth=2
	s_wait_dscnt 0x0
	v_bcnt_u32_b32 v68, v68, v190
	ds_store_b32 v192, v68 offset:1056
.LBB739_744:                            ;   in Loop: Header=BB739_690 Depth=2
	s_wait_alu 0xfffe
	s_or_b32 exec_lo, exec_lo, s15
	v_xor_b32_e32 v63, 0x7fffffff, v63
	v_not_b32_e32 v62, v62
	; wave barrier
	s_delay_alu instid0(VALU_DEP_1) | instskip(NEXT) | instid1(VALU_DEP_1)
	v_lshrrev_b64 v[68:69], s31, v[62:63]
	v_and_b32_e32 v69, s54, v68
	s_delay_alu instid0(VALU_DEP_1)
	v_and_b32_e32 v68, 1, v69
	v_lshlrev_b32_e32 v70, 30, v69
	v_lshlrev_b32_e32 v71, 29, v69
	;; [unrolled: 1-line block ×4, first 2 shown]
	v_add_co_u32 v68, s15, v68, -1
	s_wait_alu 0xf1ff
	v_cndmask_b32_e64 v73, 0, 1, s15
	v_not_b32_e32 v194, v70
	v_cmp_gt_i32_e64 s15, 0, v70
	v_not_b32_e32 v70, v71
	v_lshlrev_b32_e32 v75, 26, v69
	v_cmp_ne_u32_e32 vcc_lo, 0, v73
	v_ashrrev_i32_e32 v194, 31, v194
	v_lshlrev_b32_e32 v193, 25, v69
	v_ashrrev_i32_e32 v70, 31, v70
	v_lshlrev_b32_e32 v73, 24, v69
	s_wait_alu 0xfffd
	v_xor_b32_e32 v68, vcc_lo, v68
	v_cmp_gt_i32_e32 vcc_lo, 0, v71
	v_not_b32_e32 v71, v72
	s_wait_alu 0xf1ff
	v_xor_b32_e32 v194, s15, v194
	v_cmp_gt_i32_e64 s15, 0, v72
	v_and_b32_e32 v68, exec_lo, v68
	v_not_b32_e32 v72, v74
	v_ashrrev_i32_e32 v71, 31, v71
	s_wait_alu 0xfffd
	v_xor_b32_e32 v70, vcc_lo, v70
	v_cmp_gt_i32_e32 vcc_lo, 0, v74
	v_and_b32_e32 v68, v68, v194
	v_not_b32_e32 v74, v75
	v_ashrrev_i32_e32 v72, 31, v72
	s_wait_alu 0xf1ff
	v_xor_b32_e32 v71, s15, v71
	v_cmp_gt_i32_e64 s15, 0, v75
	v_and_b32_e32 v68, v68, v70
	v_not_b32_e32 v70, v193
	v_ashrrev_i32_e32 v74, 31, v74
	s_wait_alu 0xfffd
	v_xor_b32_e32 v72, vcc_lo, v72
	v_cmp_gt_i32_e32 vcc_lo, 0, v193
	v_and_b32_e32 v68, v68, v71
	v_not_b32_e32 v71, v73
	v_ashrrev_i32_e32 v70, 31, v70
	s_wait_alu 0xf1ff
	v_xor_b32_e32 v74, s15, v74
	v_cmp_gt_i32_e64 s15, 0, v73
	v_and_b32_e32 v68, v68, v72
	v_ashrrev_i32_e32 v71, 31, v71
	s_wait_alu 0xfffd
	v_xor_b32_e32 v70, vcc_lo, v70
	v_mad_u32_u24 v72, v69, 36, v145
	v_mul_u32_u24_e32 v69, 36, v69
	v_and_b32_e32 v68, v68, v74
	s_wait_alu 0xf1ff
	v_xor_b32_e32 v71, s15, v71
	ds_load_b32 v193, v72 offset:1056
	v_add_nc_u32_e32 v195, v145, v69
	v_and_b32_e32 v68, v68, v70
	; wave barrier
	s_delay_alu instid0(VALU_DEP_1) | instskip(NEXT) | instid1(VALU_DEP_1)
	v_and_b32_e32 v68, v68, v71
	v_mbcnt_lo_u32_b32 v194, v68, 0
	v_cmp_ne_u32_e64 s15, 0, v68
	s_delay_alu instid0(VALU_DEP_2)
	v_cmp_eq_u32_e32 vcc_lo, 0, v194
	s_and_b32 s16, s15, vcc_lo
	s_wait_alu 0xfffe
	s_and_saveexec_b32 s15, s16
	s_cbranch_execz .LBB739_746
; %bb.745:                              ;   in Loop: Header=BB739_690 Depth=2
	s_wait_dscnt 0x0
	v_bcnt_u32_b32 v68, v68, v193
	ds_store_b32 v195, v68 offset:1056
.LBB739_746:                            ;   in Loop: Header=BB739_690 Depth=2
	s_wait_alu 0xfffe
	s_or_b32 exec_lo, exec_lo, s15
	v_xor_b32_e32 v59, 0x7fffffff, v59
	v_not_b32_e32 v58, v58
	; wave barrier
	s_delay_alu instid0(VALU_DEP_1) | instskip(NEXT) | instid1(VALU_DEP_1)
	v_lshrrev_b64 v[68:69], s31, v[58:59]
	v_and_b32_e32 v69, s54, v68
	s_delay_alu instid0(VALU_DEP_1)
	v_and_b32_e32 v68, 1, v69
	v_lshlrev_b32_e32 v70, 30, v69
	v_lshlrev_b32_e32 v71, 29, v69
	;; [unrolled: 1-line block ×4, first 2 shown]
	v_add_co_u32 v68, s15, v68, -1
	s_wait_alu 0xf1ff
	v_cndmask_b32_e64 v73, 0, 1, s15
	v_not_b32_e32 v197, v70
	v_cmp_gt_i32_e64 s15, 0, v70
	v_not_b32_e32 v70, v71
	v_lshlrev_b32_e32 v75, 26, v69
	v_cmp_ne_u32_e32 vcc_lo, 0, v73
	v_ashrrev_i32_e32 v197, 31, v197
	v_lshlrev_b32_e32 v196, 25, v69
	v_ashrrev_i32_e32 v70, 31, v70
	v_lshlrev_b32_e32 v73, 24, v69
	s_wait_alu 0xfffd
	v_xor_b32_e32 v68, vcc_lo, v68
	v_cmp_gt_i32_e32 vcc_lo, 0, v71
	v_not_b32_e32 v71, v72
	s_wait_alu 0xf1ff
	v_xor_b32_e32 v197, s15, v197
	v_cmp_gt_i32_e64 s15, 0, v72
	v_and_b32_e32 v68, exec_lo, v68
	v_not_b32_e32 v72, v74
	v_ashrrev_i32_e32 v71, 31, v71
	s_wait_alu 0xfffd
	v_xor_b32_e32 v70, vcc_lo, v70
	v_cmp_gt_i32_e32 vcc_lo, 0, v74
	v_and_b32_e32 v68, v68, v197
	v_not_b32_e32 v74, v75
	v_ashrrev_i32_e32 v72, 31, v72
	s_wait_alu 0xf1ff
	v_xor_b32_e32 v71, s15, v71
	v_cmp_gt_i32_e64 s15, 0, v75
	v_and_b32_e32 v68, v68, v70
	v_not_b32_e32 v70, v196
	v_ashrrev_i32_e32 v74, 31, v74
	s_wait_alu 0xfffd
	v_xor_b32_e32 v72, vcc_lo, v72
	v_cmp_gt_i32_e32 vcc_lo, 0, v196
	v_and_b32_e32 v68, v68, v71
	v_not_b32_e32 v71, v73
	v_ashrrev_i32_e32 v70, 31, v70
	s_wait_alu 0xf1ff
	v_xor_b32_e32 v74, s15, v74
	v_cmp_gt_i32_e64 s15, 0, v73
	v_and_b32_e32 v68, v68, v72
	v_ashrrev_i32_e32 v71, 31, v71
	s_wait_alu 0xfffd
	v_xor_b32_e32 v70, vcc_lo, v70
	v_mad_u32_u24 v72, v69, 36, v145
	v_mul_u32_u24_e32 v69, 36, v69
	v_and_b32_e32 v68, v68, v74
	s_wait_alu 0xf1ff
	v_xor_b32_e32 v71, s15, v71
	ds_load_b32 v196, v72 offset:1056
	v_add_nc_u32_e32 v198, v145, v69
	v_and_b32_e32 v68, v68, v70
	; wave barrier
	s_delay_alu instid0(VALU_DEP_1) | instskip(NEXT) | instid1(VALU_DEP_1)
	v_and_b32_e32 v68, v68, v71
	v_mbcnt_lo_u32_b32 v197, v68, 0
	v_cmp_ne_u32_e64 s15, 0, v68
	s_delay_alu instid0(VALU_DEP_2)
	v_cmp_eq_u32_e32 vcc_lo, 0, v197
	s_and_b32 s16, s15, vcc_lo
	s_wait_alu 0xfffe
	s_and_saveexec_b32 s15, s16
	s_cbranch_execz .LBB739_748
; %bb.747:                              ;   in Loop: Header=BB739_690 Depth=2
	s_wait_dscnt 0x0
	v_bcnt_u32_b32 v68, v68, v196
	ds_store_b32 v198, v68 offset:1056
.LBB739_748:                            ;   in Loop: Header=BB739_690 Depth=2
	s_wait_alu 0xfffe
	s_or_b32 exec_lo, exec_lo, s15
	v_xor_b32_e32 v55, 0x7fffffff, v55
	v_not_b32_e32 v54, v54
	; wave barrier
	s_delay_alu instid0(VALU_DEP_1) | instskip(NEXT) | instid1(VALU_DEP_1)
	v_lshrrev_b64 v[68:69], s31, v[54:55]
	v_and_b32_e32 v69, s54, v68
	s_delay_alu instid0(VALU_DEP_1)
	v_and_b32_e32 v68, 1, v69
	v_lshlrev_b32_e32 v70, 30, v69
	v_lshlrev_b32_e32 v71, 29, v69
	;; [unrolled: 1-line block ×4, first 2 shown]
	v_add_co_u32 v68, s15, v68, -1
	s_wait_alu 0xf1ff
	v_cndmask_b32_e64 v73, 0, 1, s15
	v_not_b32_e32 v200, v70
	v_cmp_gt_i32_e64 s15, 0, v70
	v_not_b32_e32 v70, v71
	v_lshlrev_b32_e32 v75, 26, v69
	v_cmp_ne_u32_e32 vcc_lo, 0, v73
	v_ashrrev_i32_e32 v200, 31, v200
	v_lshlrev_b32_e32 v199, 25, v69
	v_ashrrev_i32_e32 v70, 31, v70
	v_lshlrev_b32_e32 v73, 24, v69
	s_wait_alu 0xfffd
	v_xor_b32_e32 v68, vcc_lo, v68
	v_cmp_gt_i32_e32 vcc_lo, 0, v71
	v_not_b32_e32 v71, v72
	s_wait_alu 0xf1ff
	v_xor_b32_e32 v200, s15, v200
	v_cmp_gt_i32_e64 s15, 0, v72
	v_and_b32_e32 v68, exec_lo, v68
	v_not_b32_e32 v72, v74
	v_ashrrev_i32_e32 v71, 31, v71
	s_wait_alu 0xfffd
	v_xor_b32_e32 v70, vcc_lo, v70
	v_cmp_gt_i32_e32 vcc_lo, 0, v74
	v_and_b32_e32 v68, v68, v200
	v_not_b32_e32 v74, v75
	v_ashrrev_i32_e32 v72, 31, v72
	s_wait_alu 0xf1ff
	v_xor_b32_e32 v71, s15, v71
	v_cmp_gt_i32_e64 s15, 0, v75
	v_and_b32_e32 v68, v68, v70
	v_not_b32_e32 v70, v199
	v_ashrrev_i32_e32 v74, 31, v74
	s_wait_alu 0xfffd
	v_xor_b32_e32 v72, vcc_lo, v72
	v_cmp_gt_i32_e32 vcc_lo, 0, v199
	v_and_b32_e32 v68, v68, v71
	v_not_b32_e32 v71, v73
	v_ashrrev_i32_e32 v70, 31, v70
	s_wait_alu 0xf1ff
	v_xor_b32_e32 v74, s15, v74
	v_cmp_gt_i32_e64 s15, 0, v73
	v_and_b32_e32 v68, v68, v72
	v_ashrrev_i32_e32 v71, 31, v71
	s_wait_alu 0xfffd
	v_xor_b32_e32 v70, vcc_lo, v70
	v_mad_u32_u24 v72, v69, 36, v145
	v_mul_u32_u24_e32 v69, 36, v69
	v_and_b32_e32 v68, v68, v74
	s_wait_alu 0xf1ff
	v_xor_b32_e32 v71, s15, v71
	ds_load_b32 v199, v72 offset:1056
	v_add_nc_u32_e32 v201, v145, v69
	v_and_b32_e32 v68, v68, v70
	; wave barrier
	s_delay_alu instid0(VALU_DEP_1) | instskip(NEXT) | instid1(VALU_DEP_1)
	v_and_b32_e32 v68, v68, v71
	v_mbcnt_lo_u32_b32 v200, v68, 0
	v_cmp_ne_u32_e64 s15, 0, v68
	s_delay_alu instid0(VALU_DEP_2)
	v_cmp_eq_u32_e32 vcc_lo, 0, v200
	s_and_b32 s16, s15, vcc_lo
	s_wait_alu 0xfffe
	s_and_saveexec_b32 s15, s16
	s_cbranch_execz .LBB739_750
; %bb.749:                              ;   in Loop: Header=BB739_690 Depth=2
	s_wait_dscnt 0x0
	v_bcnt_u32_b32 v68, v68, v199
	ds_store_b32 v201, v68 offset:1056
.LBB739_750:                            ;   in Loop: Header=BB739_690 Depth=2
	s_wait_alu 0xfffe
	s_or_b32 exec_lo, exec_lo, s15
	v_xor_b32_e32 v51, 0x7fffffff, v51
	v_not_b32_e32 v50, v50
	; wave barrier
	s_delay_alu instid0(VALU_DEP_1) | instskip(NEXT) | instid1(VALU_DEP_1)
	v_lshrrev_b64 v[68:69], s31, v[50:51]
	v_and_b32_e32 v69, s54, v68
	s_delay_alu instid0(VALU_DEP_1)
	v_and_b32_e32 v68, 1, v69
	v_lshlrev_b32_e32 v70, 30, v69
	v_lshlrev_b32_e32 v71, 29, v69
	;; [unrolled: 1-line block ×4, first 2 shown]
	v_add_co_u32 v68, s15, v68, -1
	s_wait_alu 0xf1ff
	v_cndmask_b32_e64 v73, 0, 1, s15
	v_not_b32_e32 v203, v70
	v_cmp_gt_i32_e64 s15, 0, v70
	v_not_b32_e32 v70, v71
	v_lshlrev_b32_e32 v75, 26, v69
	v_cmp_ne_u32_e32 vcc_lo, 0, v73
	v_ashrrev_i32_e32 v203, 31, v203
	v_lshlrev_b32_e32 v202, 25, v69
	v_ashrrev_i32_e32 v70, 31, v70
	v_lshlrev_b32_e32 v73, 24, v69
	s_wait_alu 0xfffd
	v_xor_b32_e32 v68, vcc_lo, v68
	v_cmp_gt_i32_e32 vcc_lo, 0, v71
	v_not_b32_e32 v71, v72
	s_wait_alu 0xf1ff
	v_xor_b32_e32 v203, s15, v203
	v_cmp_gt_i32_e64 s15, 0, v72
	v_and_b32_e32 v68, exec_lo, v68
	v_not_b32_e32 v72, v74
	v_ashrrev_i32_e32 v71, 31, v71
	s_wait_alu 0xfffd
	v_xor_b32_e32 v70, vcc_lo, v70
	v_cmp_gt_i32_e32 vcc_lo, 0, v74
	v_and_b32_e32 v68, v68, v203
	v_not_b32_e32 v74, v75
	v_ashrrev_i32_e32 v72, 31, v72
	s_wait_alu 0xf1ff
	v_xor_b32_e32 v71, s15, v71
	v_cmp_gt_i32_e64 s15, 0, v75
	v_and_b32_e32 v68, v68, v70
	v_not_b32_e32 v70, v202
	v_ashrrev_i32_e32 v74, 31, v74
	s_wait_alu 0xfffd
	v_xor_b32_e32 v72, vcc_lo, v72
	v_cmp_gt_i32_e32 vcc_lo, 0, v202
	v_and_b32_e32 v68, v68, v71
	v_not_b32_e32 v71, v73
	v_ashrrev_i32_e32 v70, 31, v70
	s_wait_alu 0xf1ff
	v_xor_b32_e32 v74, s15, v74
	v_cmp_gt_i32_e64 s15, 0, v73
	v_and_b32_e32 v68, v68, v72
	v_ashrrev_i32_e32 v71, 31, v71
	s_wait_alu 0xfffd
	v_xor_b32_e32 v70, vcc_lo, v70
	v_mad_u32_u24 v72, v69, 36, v145
	v_mul_u32_u24_e32 v69, 36, v69
	v_and_b32_e32 v68, v68, v74
	s_wait_alu 0xf1ff
	v_xor_b32_e32 v71, s15, v71
	ds_load_b32 v202, v72 offset:1056
	v_add_nc_u32_e32 v205, v145, v69
	v_and_b32_e32 v68, v68, v70
	; wave barrier
	s_delay_alu instid0(VALU_DEP_1) | instskip(NEXT) | instid1(VALU_DEP_1)
	v_and_b32_e32 v68, v68, v71
	v_mbcnt_lo_u32_b32 v203, v68, 0
	v_cmp_ne_u32_e64 s15, 0, v68
	s_delay_alu instid0(VALU_DEP_2)
	v_cmp_eq_u32_e32 vcc_lo, 0, v203
	s_and_b32 s16, s15, vcc_lo
	s_wait_alu 0xfffe
	s_and_saveexec_b32 s15, s16
	s_cbranch_execz .LBB739_752
; %bb.751:                              ;   in Loop: Header=BB739_690 Depth=2
	s_wait_dscnt 0x0
	v_bcnt_u32_b32 v68, v68, v202
	ds_store_b32 v205, v68 offset:1056
.LBB739_752:                            ;   in Loop: Header=BB739_690 Depth=2
	s_wait_alu 0xfffe
	s_or_b32 exec_lo, exec_lo, s15
	v_xor_b32_e32 v49, 0x7fffffff, v49
	v_not_b32_e32 v48, v48
	; wave barrier
	s_delay_alu instid0(VALU_DEP_1) | instskip(NEXT) | instid1(VALU_DEP_1)
	v_lshrrev_b64 v[68:69], s31, v[48:49]
	v_and_b32_e32 v69, s54, v68
	s_delay_alu instid0(VALU_DEP_1)
	v_and_b32_e32 v68, 1, v69
	v_lshlrev_b32_e32 v70, 30, v69
	v_lshlrev_b32_e32 v71, 29, v69
	;; [unrolled: 1-line block ×4, first 2 shown]
	v_add_co_u32 v68, s15, v68, -1
	s_wait_alu 0xf1ff
	v_cndmask_b32_e64 v73, 0, 1, s15
	v_not_b32_e32 v206, v70
	v_cmp_gt_i32_e64 s15, 0, v70
	v_not_b32_e32 v70, v71
	v_lshlrev_b32_e32 v75, 26, v69
	v_cmp_ne_u32_e32 vcc_lo, 0, v73
	v_ashrrev_i32_e32 v206, 31, v206
	v_lshlrev_b32_e32 v204, 25, v69
	v_ashrrev_i32_e32 v70, 31, v70
	v_lshlrev_b32_e32 v73, 24, v69
	s_wait_alu 0xfffd
	v_xor_b32_e32 v68, vcc_lo, v68
	v_cmp_gt_i32_e32 vcc_lo, 0, v71
	v_not_b32_e32 v71, v72
	s_wait_alu 0xf1ff
	v_xor_b32_e32 v206, s15, v206
	v_cmp_gt_i32_e64 s15, 0, v72
	v_and_b32_e32 v68, exec_lo, v68
	v_not_b32_e32 v72, v74
	v_ashrrev_i32_e32 v71, 31, v71
	s_wait_alu 0xfffd
	v_xor_b32_e32 v70, vcc_lo, v70
	v_cmp_gt_i32_e32 vcc_lo, 0, v74
	v_and_b32_e32 v68, v68, v206
	v_not_b32_e32 v74, v75
	v_ashrrev_i32_e32 v72, 31, v72
	s_wait_alu 0xf1ff
	v_xor_b32_e32 v71, s15, v71
	v_cmp_gt_i32_e64 s15, 0, v75
	v_and_b32_e32 v68, v68, v70
	v_not_b32_e32 v70, v204
	v_ashrrev_i32_e32 v74, 31, v74
	s_wait_alu 0xfffd
	v_xor_b32_e32 v72, vcc_lo, v72
	v_cmp_gt_i32_e32 vcc_lo, 0, v204
	v_and_b32_e32 v68, v68, v71
	v_not_b32_e32 v71, v73
	v_ashrrev_i32_e32 v70, 31, v70
	s_wait_alu 0xf1ff
	v_xor_b32_e32 v74, s15, v74
	v_cmp_gt_i32_e64 s15, 0, v73
	v_and_b32_e32 v68, v68, v72
	v_ashrrev_i32_e32 v71, 31, v71
	s_wait_alu 0xfffd
	v_xor_b32_e32 v70, vcc_lo, v70
	v_mad_u32_u24 v72, v69, 36, v145
	v_mul_u32_u24_e32 v69, 36, v69
	v_and_b32_e32 v68, v68, v74
	s_wait_alu 0xf1ff
	v_xor_b32_e32 v71, s15, v71
	ds_load_b32 v204, v72 offset:1056
	v_add_nc_u32_e32 v208, v145, v69
	v_and_b32_e32 v68, v68, v70
	; wave barrier
	s_delay_alu instid0(VALU_DEP_1) | instskip(NEXT) | instid1(VALU_DEP_1)
	v_and_b32_e32 v68, v68, v71
	v_mbcnt_lo_u32_b32 v206, v68, 0
	v_cmp_ne_u32_e64 s15, 0, v68
	s_delay_alu instid0(VALU_DEP_2)
	v_cmp_eq_u32_e32 vcc_lo, 0, v206
	s_and_b32 s16, s15, vcc_lo
	s_wait_alu 0xfffe
	s_and_saveexec_b32 s15, s16
	s_cbranch_execz .LBB739_754
; %bb.753:                              ;   in Loop: Header=BB739_690 Depth=2
	s_wait_dscnt 0x0
	v_bcnt_u32_b32 v68, v68, v204
	ds_store_b32 v208, v68 offset:1056
.LBB739_754:                            ;   in Loop: Header=BB739_690 Depth=2
	s_wait_alu 0xfffe
	s_or_b32 exec_lo, exec_lo, s15
	v_xor_b32_e32 v45, 0x7fffffff, v45
	v_not_b32_e32 v44, v44
	; wave barrier
	s_delay_alu instid0(VALU_DEP_1) | instskip(NEXT) | instid1(VALU_DEP_1)
	v_lshrrev_b64 v[68:69], s31, v[44:45]
	v_and_b32_e32 v69, s54, v68
	s_delay_alu instid0(VALU_DEP_1)
	v_and_b32_e32 v68, 1, v69
	v_lshlrev_b32_e32 v70, 30, v69
	v_lshlrev_b32_e32 v71, 29, v69
	;; [unrolled: 1-line block ×4, first 2 shown]
	v_add_co_u32 v68, s15, v68, -1
	s_wait_alu 0xf1ff
	v_cndmask_b32_e64 v73, 0, 1, s15
	v_not_b32_e32 v209, v70
	v_cmp_gt_i32_e64 s15, 0, v70
	v_not_b32_e32 v70, v71
	v_lshlrev_b32_e32 v75, 26, v69
	v_cmp_ne_u32_e32 vcc_lo, 0, v73
	v_ashrrev_i32_e32 v209, 31, v209
	v_lshlrev_b32_e32 v207, 25, v69
	v_ashrrev_i32_e32 v70, 31, v70
	v_lshlrev_b32_e32 v73, 24, v69
	s_wait_alu 0xfffd
	v_xor_b32_e32 v68, vcc_lo, v68
	v_cmp_gt_i32_e32 vcc_lo, 0, v71
	v_not_b32_e32 v71, v72
	s_wait_alu 0xf1ff
	v_xor_b32_e32 v209, s15, v209
	v_cmp_gt_i32_e64 s15, 0, v72
	v_and_b32_e32 v68, exec_lo, v68
	v_not_b32_e32 v72, v74
	v_ashrrev_i32_e32 v71, 31, v71
	s_wait_alu 0xfffd
	v_xor_b32_e32 v70, vcc_lo, v70
	v_cmp_gt_i32_e32 vcc_lo, 0, v74
	v_and_b32_e32 v68, v68, v209
	v_not_b32_e32 v74, v75
	v_ashrrev_i32_e32 v72, 31, v72
	s_wait_alu 0xf1ff
	v_xor_b32_e32 v71, s15, v71
	v_cmp_gt_i32_e64 s15, 0, v75
	v_and_b32_e32 v68, v68, v70
	v_not_b32_e32 v70, v207
	v_ashrrev_i32_e32 v74, 31, v74
	s_wait_alu 0xfffd
	v_xor_b32_e32 v72, vcc_lo, v72
	v_cmp_gt_i32_e32 vcc_lo, 0, v207
	v_and_b32_e32 v68, v68, v71
	v_not_b32_e32 v71, v73
	v_ashrrev_i32_e32 v70, 31, v70
	s_wait_alu 0xf1ff
	v_xor_b32_e32 v74, s15, v74
	v_cmp_gt_i32_e64 s15, 0, v73
	v_and_b32_e32 v68, v68, v72
	v_ashrrev_i32_e32 v71, 31, v71
	s_wait_alu 0xfffd
	v_xor_b32_e32 v70, vcc_lo, v70
	v_mad_u32_u24 v72, v69, 36, v145
	v_mul_u32_u24_e32 v69, 36, v69
	v_and_b32_e32 v68, v68, v74
	s_wait_alu 0xf1ff
	v_xor_b32_e32 v71, s15, v71
	ds_load_b32 v207, v72 offset:1056
	v_add_nc_u32_e32 v212, v145, v69
	v_and_b32_e32 v68, v68, v70
	; wave barrier
	s_delay_alu instid0(VALU_DEP_1) | instskip(NEXT) | instid1(VALU_DEP_1)
	v_and_b32_e32 v68, v68, v71
	v_mbcnt_lo_u32_b32 v209, v68, 0
	v_cmp_ne_u32_e64 s15, 0, v68
	s_delay_alu instid0(VALU_DEP_2)
	v_cmp_eq_u32_e32 vcc_lo, 0, v209
	s_and_b32 s16, s15, vcc_lo
	s_wait_alu 0xfffe
	s_and_saveexec_b32 s15, s16
	s_cbranch_execz .LBB739_756
; %bb.755:                              ;   in Loop: Header=BB739_690 Depth=2
	s_wait_dscnt 0x0
	v_bcnt_u32_b32 v68, v68, v207
	ds_store_b32 v212, v68 offset:1056
.LBB739_756:                            ;   in Loop: Header=BB739_690 Depth=2
	s_wait_alu 0xfffe
	s_or_b32 exec_lo, exec_lo, s15
	v_lshrrev_b64 v[68:69], s31, v[36:37]
	; wave barrier
	s_delay_alu instid0(VALU_DEP_1) | instskip(NEXT) | instid1(VALU_DEP_1)
	v_and_b32_e32 v69, s54, v68
	v_and_b32_e32 v68, 1, v69
	v_lshlrev_b32_e32 v70, 30, v69
	v_lshlrev_b32_e32 v71, 29, v69
	;; [unrolled: 1-line block ×4, first 2 shown]
	v_add_co_u32 v68, s15, v68, -1
	s_wait_alu 0xf1ff
	v_cndmask_b32_e64 v73, 0, 1, s15
	v_not_b32_e32 v211, v70
	v_cmp_gt_i32_e64 s15, 0, v70
	v_not_b32_e32 v70, v71
	v_lshlrev_b32_e32 v75, 26, v69
	v_cmp_ne_u32_e32 vcc_lo, 0, v73
	v_ashrrev_i32_e32 v211, 31, v211
	v_lshlrev_b32_e32 v210, 25, v69
	v_ashrrev_i32_e32 v70, 31, v70
	v_lshlrev_b32_e32 v73, 24, v69
	s_wait_alu 0xfffd
	v_xor_b32_e32 v68, vcc_lo, v68
	v_cmp_gt_i32_e32 vcc_lo, 0, v71
	v_not_b32_e32 v71, v72
	s_wait_alu 0xf1ff
	v_xor_b32_e32 v211, s15, v211
	v_cmp_gt_i32_e64 s15, 0, v72
	v_and_b32_e32 v68, exec_lo, v68
	v_not_b32_e32 v72, v74
	v_ashrrev_i32_e32 v71, 31, v71
	s_wait_alu 0xfffd
	v_xor_b32_e32 v70, vcc_lo, v70
	v_cmp_gt_i32_e32 vcc_lo, 0, v74
	v_and_b32_e32 v68, v68, v211
	v_not_b32_e32 v74, v75
	v_ashrrev_i32_e32 v72, 31, v72
	s_wait_alu 0xf1ff
	v_xor_b32_e32 v71, s15, v71
	v_cmp_gt_i32_e64 s15, 0, v75
	v_and_b32_e32 v68, v68, v70
	v_not_b32_e32 v70, v210
	v_ashrrev_i32_e32 v74, 31, v74
	s_wait_alu 0xfffd
	v_xor_b32_e32 v72, vcc_lo, v72
	v_cmp_gt_i32_e32 vcc_lo, 0, v210
	v_and_b32_e32 v68, v68, v71
	v_not_b32_e32 v71, v73
	v_ashrrev_i32_e32 v70, 31, v70
	s_wait_alu 0xf1ff
	v_xor_b32_e32 v74, s15, v74
	v_cmp_gt_i32_e64 s15, 0, v73
	v_and_b32_e32 v68, v68, v72
	v_ashrrev_i32_e32 v71, 31, v71
	s_wait_alu 0xfffd
	v_xor_b32_e32 v70, vcc_lo, v70
	v_mad_u32_u24 v72, v69, 36, v145
	v_mul_u32_u24_e32 v69, 36, v69
	v_and_b32_e32 v68, v68, v74
	s_wait_alu 0xf1ff
	v_xor_b32_e32 v71, s15, v71
	ds_load_b32 v210, v72 offset:1056
	v_add_nc_u32_e32 v213, v145, v69
	v_and_b32_e32 v68, v68, v70
	; wave barrier
	s_delay_alu instid0(VALU_DEP_1) | instskip(NEXT) | instid1(VALU_DEP_1)
	v_and_b32_e32 v68, v68, v71
	v_mbcnt_lo_u32_b32 v211, v68, 0
	v_cmp_ne_u32_e64 s15, 0, v68
	s_delay_alu instid0(VALU_DEP_2)
	v_cmp_eq_u32_e32 vcc_lo, 0, v211
	s_and_b32 s16, s15, vcc_lo
	s_wait_alu 0xfffe
	s_and_saveexec_b32 s15, s16
	s_cbranch_execz .LBB739_758
; %bb.757:                              ;   in Loop: Header=BB739_690 Depth=2
	s_wait_dscnt 0x0
	v_bcnt_u32_b32 v68, v68, v210
	ds_store_b32 v213, v68 offset:1056
.LBB739_758:                            ;   in Loop: Header=BB739_690 Depth=2
	s_wait_alu 0xfffe
	s_or_b32 exec_lo, exec_lo, s15
	; wave barrier
	s_wait_loadcnt_dscnt 0x0
	s_barrier_signal -1
	s_barrier_wait -1
	global_inv scope:SCOPE_SE
	ds_load_2addr_b32 v[74:75], v165 offset1:1
	ds_load_2addr_b32 v[72:73], v166 offset1:1
	;; [unrolled: 1-line block ×4, first 2 shown]
	ds_load_b32 v214, v100 offset:1088
	s_wait_dscnt 0x3
	v_add3_u32 v215, v75, v74, v72
	s_wait_dscnt 0x2
	s_delay_alu instid0(VALU_DEP_1) | instskip(SKIP_1) | instid1(VALU_DEP_1)
	v_add3_u32 v215, v215, v73, v70
	s_wait_dscnt 0x1
	v_add3_u32 v215, v215, v71, v68
	s_wait_dscnt 0x0
	s_delay_alu instid0(VALU_DEP_1) | instskip(NEXT) | instid1(VALU_DEP_1)
	v_add3_u32 v214, v215, v69, v214
	v_mov_b32_dpp v215, v214 row_shr:1 row_mask:0xf bank_mask:0xf
	s_delay_alu instid0(VALU_DEP_1) | instskip(NEXT) | instid1(VALU_DEP_1)
	v_cndmask_b32_e64 v215, v215, 0, s0
	v_add_nc_u32_e32 v214, v215, v214
	s_delay_alu instid0(VALU_DEP_1) | instskip(NEXT) | instid1(VALU_DEP_1)
	v_mov_b32_dpp v215, v214 row_shr:2 row_mask:0xf bank_mask:0xf
	v_cndmask_b32_e64 v215, 0, v215, s1
	s_delay_alu instid0(VALU_DEP_1) | instskip(NEXT) | instid1(VALU_DEP_1)
	v_add_nc_u32_e32 v214, v214, v215
	v_mov_b32_dpp v215, v214 row_shr:4 row_mask:0xf bank_mask:0xf
	s_delay_alu instid0(VALU_DEP_1) | instskip(NEXT) | instid1(VALU_DEP_1)
	v_cndmask_b32_e64 v215, 0, v215, s8
	v_add_nc_u32_e32 v214, v214, v215
	s_delay_alu instid0(VALU_DEP_1) | instskip(NEXT) | instid1(VALU_DEP_1)
	v_mov_b32_dpp v215, v214 row_shr:8 row_mask:0xf bank_mask:0xf
	v_cndmask_b32_e64 v215, 0, v215, s9
	s_delay_alu instid0(VALU_DEP_1) | instskip(SKIP_3) | instid1(VALU_DEP_1)
	v_add_nc_u32_e32 v214, v214, v215
	ds_swizzle_b32 v215, v214 offset:swizzle(BROADCAST,32,15)
	s_wait_dscnt 0x0
	v_cndmask_b32_e64 v215, v215, 0, s10
	v_add_nc_u32_e32 v214, v214, v215
	s_and_saveexec_b32 s15, s3
; %bb.759:                              ;   in Loop: Header=BB739_690 Depth=2
	ds_store_b32 v95, v214 offset:1024
; %bb.760:                              ;   in Loop: Header=BB739_690 Depth=2
	s_wait_alu 0xfffe
	s_or_b32 exec_lo, exec_lo, s15
	s_wait_loadcnt_dscnt 0x0
	s_barrier_signal -1
	s_barrier_wait -1
	global_inv scope:SCOPE_SE
	s_and_saveexec_b32 s15, s4
	s_cbranch_execz .LBB739_762
; %bb.761:                              ;   in Loop: Header=BB739_690 Depth=2
	ds_load_b32 v215, v103 offset:1024
	s_wait_dscnt 0x0
	v_mov_b32_dpp v216, v215 row_shr:1 row_mask:0xf bank_mask:0xf
	s_delay_alu instid0(VALU_DEP_1) | instskip(NEXT) | instid1(VALU_DEP_1)
	v_cndmask_b32_e64 v216, v216, 0, s12
	v_add_nc_u32_e32 v215, v216, v215
	s_delay_alu instid0(VALU_DEP_1) | instskip(NEXT) | instid1(VALU_DEP_1)
	v_mov_b32_dpp v216, v215 row_shr:2 row_mask:0xf bank_mask:0xf
	v_cndmask_b32_e64 v216, 0, v216, s13
	s_delay_alu instid0(VALU_DEP_1) | instskip(NEXT) | instid1(VALU_DEP_1)
	v_add_nc_u32_e32 v215, v215, v216
	v_mov_b32_dpp v216, v215 row_shr:4 row_mask:0xf bank_mask:0xf
	s_delay_alu instid0(VALU_DEP_1) | instskip(NEXT) | instid1(VALU_DEP_1)
	v_cndmask_b32_e64 v216, 0, v216, s14
	v_add_nc_u32_e32 v215, v215, v216
	ds_store_b32 v103, v215 offset:1024
.LBB739_762:                            ;   in Loop: Header=BB739_690 Depth=2
	s_wait_alu 0xfffe
	s_or_b32 exec_lo, exec_lo, s15
	v_mov_b32_e32 v215, 0
	s_wait_loadcnt_dscnt 0x0
	s_barrier_signal -1
	s_barrier_wait -1
	global_inv scope:SCOPE_SE
	s_and_saveexec_b32 s15, s5
; %bb.763:                              ;   in Loop: Header=BB739_690 Depth=2
	ds_load_b32 v215, v95 offset:1020
; %bb.764:                              ;   in Loop: Header=BB739_690 Depth=2
	s_wait_alu 0xfffe
	s_or_b32 exec_lo, exec_lo, s15
	s_wait_dscnt 0x0
	v_add_nc_u32_e32 v214, v215, v214
	ds_bpermute_b32 v214, v124, v214
	s_wait_dscnt 0x0
	v_cndmask_b32_e64 v214, v214, v215, s11
	s_delay_alu instid0(VALU_DEP_1) | instskip(NEXT) | instid1(VALU_DEP_1)
	v_cndmask_b32_e64 v214, v214, 0, s6
	v_add_nc_u32_e32 v74, v214, v74
	s_delay_alu instid0(VALU_DEP_1) | instskip(NEXT) | instid1(VALU_DEP_1)
	v_add_nc_u32_e32 v75, v74, v75
	v_add_nc_u32_e32 v72, v75, v72
	s_delay_alu instid0(VALU_DEP_1) | instskip(NEXT) | instid1(VALU_DEP_1)
	v_add_nc_u32_e32 v73, v72, v73
	;; [unrolled: 3-line block ×3, first 2 shown]
	v_add_nc_u32_e32 v68, v71, v68
	s_delay_alu instid0(VALU_DEP_1)
	v_add_nc_u32_e32 v69, v68, v69
	ds_store_2addr_b32 v164, v71, v68 offset1:1
	ds_store_2addr_b32 v165, v214, v74 offset1:1
	;; [unrolled: 1-line block ×4, first 2 shown]
	ds_store_b32 v100, v69 offset:1088
	s_wait_loadcnt_dscnt 0x0
	s_barrier_signal -1
	s_barrier_wait -1
	global_inv scope:SCOPE_SE
	ds_load_b32 v69, v168 offset:1056
	ds_load_b32 v215, v171 offset:1056
	;; [unrolled: 1-line block ×17, first 2 shown]
	v_mov_b32_e32 v68, 0x1000
	s_and_saveexec_b32 s15, s7
; %bb.765:                              ;   in Loop: Header=BB739_690 Depth=2
	ds_load_b32 v68, v100 offset:1092
; %bb.766:                              ;   in Loop: Header=BB739_690 Depth=2
	s_wait_alu 0xfffe
	s_or_b32 exec_lo, exec_lo, s15
	s_wait_loadcnt_dscnt 0x0
	s_barrier_signal -1
	s_barrier_wait -1
	global_inv scope:SCOPE_SE
	s_and_saveexec_b32 s15, s2
	s_cbranch_execz .LBB739_768
; %bb.767:                              ;   in Loop: Header=BB739_690 Depth=2
	ds_load_b32 v180, v76
	s_wait_dscnt 0x0
	v_sub_nc_u32_e32 v177, v180, v177
	ds_store_b32 v76, v177
.LBB739_768:                            ;   in Loop: Header=BB739_690 Depth=2
	s_wait_alu 0xfffe
	s_or_b32 exec_lo, exec_lo, s15
	v_lshlrev_b32_e32 v163, 3, v163
	v_lshlrev_b32_e32 v170, 3, v170
	;; [unrolled: 1-line block ×5, first 2 shown]
	v_lshl_add_u32 v69, v69, 3, v163
	v_lshlrev_b32_e32 v163, 3, v172
	v_lshlrev_b32_e32 v172, 3, v214
	;; [unrolled: 1-line block ×11, first 2 shown]
	ds_store_b64 v69, v[38:39] offset:1024
	v_add3_u32 v38, v170, v169, v177
	v_add3_u32 v39, v173, v163, v172
	;; [unrolled: 1-line block ×5, first 2 shown]
	ds_store_b64 v38, v[40:41] offset:1024
	ds_store_b64 v39, v[42:43] offset:1024
	;; [unrolled: 1-line block ×5, first 2 shown]
	v_lshlrev_b32_e32 v40, 3, v185
	v_lshlrev_b32_e32 v41, 3, v184
	;; [unrolled: 1-line block ×15, first 2 shown]
	v_add3_u32 v40, v40, v41, v42
	v_add3_u32 v41, v43, v46, v47
	;; [unrolled: 1-line block ×5, first 2 shown]
	ds_store_b64 v40, v[60:61] offset:1024
	ds_store_b64 v41, v[64:65] offset:1024
	;; [unrolled: 1-line block ×5, first 2 shown]
	v_lshlrev_b32_e32 v47, 3, v200
	v_lshlrev_b32_e32 v52, 3, v199
	;; [unrolled: 1-line block ×15, first 2 shown]
	v_add3_u32 v47, v47, v52, v53
	v_add3_u32 v52, v56, v57, v58
	;; [unrolled: 1-line block ×5, first 2 shown]
	v_cmp_lt_u32_e32 vcc_lo, v1, v162
	ds_store_b64 v47, v[54:55] offset:1024
	ds_store_b64 v52, v[50:51] offset:1024
	;; [unrolled: 1-line block ×5, first 2 shown]
	s_wait_loadcnt_dscnt 0x0
	s_barrier_signal -1
	s_barrier_wait -1
	global_inv scope:SCOPE_SE
	s_and_saveexec_b32 s16, vcc_lo
	s_cbranch_execnz .LBB739_837
; %bb.769:                              ;   in Loop: Header=BB739_690 Depth=2
	s_wait_alu 0xfffe
	s_or_b32 exec_lo, exec_lo, s16
	v_cmp_lt_u32_e64 s15, v77, v162
	s_and_saveexec_b32 s17, s15
	s_cbranch_execnz .LBB739_838
.LBB739_770:                            ;   in Loop: Header=BB739_690 Depth=2
	s_wait_alu 0xfffe
	s_or_b32 exec_lo, exec_lo, s17
	v_cmp_lt_u32_e64 s16, v78, v162
	s_and_saveexec_b32 s18, s16
	s_cbranch_execnz .LBB739_839
.LBB739_771:                            ;   in Loop: Header=BB739_690 Depth=2
	s_wait_alu 0xfffe
	s_or_b32 exec_lo, exec_lo, s18
	v_cmp_lt_u32_e64 s17, v79, v162
	s_and_saveexec_b32 s19, s17
	s_cbranch_execnz .LBB739_840
.LBB739_772:                            ;   in Loop: Header=BB739_690 Depth=2
	s_wait_alu 0xfffe
	s_or_b32 exec_lo, exec_lo, s19
	v_cmp_lt_u32_e64 s18, v82, v162
	s_and_saveexec_b32 s20, s18
	s_cbranch_execnz .LBB739_841
.LBB739_773:                            ;   in Loop: Header=BB739_690 Depth=2
	s_wait_alu 0xfffe
	s_or_b32 exec_lo, exec_lo, s20
	v_cmp_lt_u32_e64 s19, v83, v162
	s_and_saveexec_b32 s21, s19
	s_cbranch_execnz .LBB739_842
.LBB739_774:                            ;   in Loop: Header=BB739_690 Depth=2
	s_wait_alu 0xfffe
	s_or_b32 exec_lo, exec_lo, s21
	v_cmp_lt_u32_e64 s20, v84, v162
	s_and_saveexec_b32 s22, s20
	s_cbranch_execnz .LBB739_843
.LBB739_775:                            ;   in Loop: Header=BB739_690 Depth=2
	s_wait_alu 0xfffe
	s_or_b32 exec_lo, exec_lo, s22
	v_cmp_lt_u32_e64 s21, v85, v162
	s_and_saveexec_b32 s23, s21
	s_cbranch_execnz .LBB739_844
.LBB739_776:                            ;   in Loop: Header=BB739_690 Depth=2
	s_wait_alu 0xfffe
	s_or_b32 exec_lo, exec_lo, s23
	v_cmp_lt_u32_e64 s22, v86, v162
	s_and_saveexec_b32 s24, s22
	s_cbranch_execnz .LBB739_845
.LBB739_777:                            ;   in Loop: Header=BB739_690 Depth=2
	s_wait_alu 0xfffe
	s_or_b32 exec_lo, exec_lo, s24
	v_cmp_lt_u32_e64 s23, v87, v162
	s_and_saveexec_b32 s25, s23
	s_cbranch_execnz .LBB739_846
.LBB739_778:                            ;   in Loop: Header=BB739_690 Depth=2
	s_wait_alu 0xfffe
	s_or_b32 exec_lo, exec_lo, s25
	v_cmp_lt_u32_e64 s24, v88, v162
	s_and_saveexec_b32 s26, s24
	s_cbranch_execnz .LBB739_847
.LBB739_779:                            ;   in Loop: Header=BB739_690 Depth=2
	s_wait_alu 0xfffe
	s_or_b32 exec_lo, exec_lo, s26
	v_cmp_lt_u32_e64 s25, v89, v162
	s_and_saveexec_b32 s27, s25
	s_cbranch_execnz .LBB739_848
.LBB739_780:                            ;   in Loop: Header=BB739_690 Depth=2
	s_wait_alu 0xfffe
	s_or_b32 exec_lo, exec_lo, s27
	v_cmp_lt_u32_e64 s26, v90, v162
	s_and_saveexec_b32 s28, s26
	s_cbranch_execnz .LBB739_849
.LBB739_781:                            ;   in Loop: Header=BB739_690 Depth=2
	s_wait_alu 0xfffe
	s_or_b32 exec_lo, exec_lo, s28
	v_cmp_lt_u32_e64 s27, v91, v162
	s_and_saveexec_b32 s29, s27
	s_cbranch_execnz .LBB739_850
.LBB739_782:                            ;   in Loop: Header=BB739_690 Depth=2
	s_wait_alu 0xfffe
	s_or_b32 exec_lo, exec_lo, s29
	v_cmp_lt_u32_e64 s28, v92, v162
	s_and_saveexec_b32 s30, s28
	s_cbranch_execnz .LBB739_851
.LBB739_783:                            ;   in Loop: Header=BB739_690 Depth=2
	s_wait_alu 0xfffe
	s_or_b32 exec_lo, exec_lo, s30
	v_cmp_lt_u32_e64 s29, v93, v162
	s_and_saveexec_b32 s57, s29
	s_cbranch_execz .LBB739_785
.LBB739_784:                            ;   in Loop: Header=BB739_690 Depth=2
	ds_load_b64 v[36:37], v108 offset:31744
	s_wait_dscnt 0x0
	v_lshrrev_b64 v[44:45], s31, v[36:37]
	v_xor_b32_e32 v37, 0x7fffffff, v37
	v_not_b32_e32 v36, v36
	s_delay_alu instid0(VALU_DEP_3) | instskip(NEXT) | instid1(VALU_DEP_1)
	v_dual_mov_b32 v45, v2 :: v_dual_and_b32 v44, s54, v44
	v_lshlrev_b32_e32 v44, 2, v44
	ds_load_b32 v44, v44
	s_wait_dscnt 0x0
	v_add_nc_u32_e32 v44, v44, v93
	s_delay_alu instid0(VALU_DEP_1) | instskip(NEXT) | instid1(VALU_DEP_1)
	v_lshlrev_b64_e32 v[44:45], 3, v[44:45]
	v_add_co_u32 v44, s30, s38, v44
	s_wait_alu 0xf1ff
	s_delay_alu instid0(VALU_DEP_2)
	v_add_co_ci_u32_e64 v45, null, s39, v45, s30
	global_store_b64 v[44:45], v[36:37], off
.LBB739_785:                            ;   in Loop: Header=BB739_690 Depth=2
	s_wait_alu 0xfffe
	s_or_b32 exec_lo, exec_lo, s57
	s_lshl_b64 s[58:59], s[34:35], 3
	s_wait_alu 0xfffe
	v_add_co_u32 v36, s30, v126, s58
	s_wait_alu 0xf1ff
	v_add_co_ci_u32_e64 v37, null, s59, v127, s30
	v_cmp_lt_u32_e64 s30, v125, v162
	s_and_saveexec_b32 s34, s30
	s_wait_alu 0xfffe
	s_xor_b32 s30, exec_lo, s34
	s_cbranch_execnz .LBB739_852
; %bb.786:                              ;   in Loop: Header=BB739_690 Depth=2
	s_wait_alu 0xfffe
	s_or_b32 exec_lo, exec_lo, s30
	s_delay_alu instid0(SALU_CYCLE_1)
	s_mov_b32 s34, exec_lo
	v_cmpx_lt_u32_e64 v128, v162
	s_cbranch_execnz .LBB739_853
.LBB739_787:                            ;   in Loop: Header=BB739_690 Depth=2
	s_wait_alu 0xfffe
	s_or_b32 exec_lo, exec_lo, s34
	s_delay_alu instid0(SALU_CYCLE_1)
	s_mov_b32 s34, exec_lo
	v_cmpx_lt_u32_e64 v129, v162
	s_cbranch_execnz .LBB739_854
.LBB739_788:                            ;   in Loop: Header=BB739_690 Depth=2
	s_wait_alu 0xfffe
	s_or_b32 exec_lo, exec_lo, s34
	s_delay_alu instid0(SALU_CYCLE_1)
	s_mov_b32 s34, exec_lo
	v_cmpx_lt_u32_e64 v130, v162
	s_cbranch_execnz .LBB739_855
.LBB739_789:                            ;   in Loop: Header=BB739_690 Depth=2
	s_wait_alu 0xfffe
	s_or_b32 exec_lo, exec_lo, s34
	s_delay_alu instid0(SALU_CYCLE_1)
	s_mov_b32 s34, exec_lo
	v_cmpx_lt_u32_e64 v131, v162
	s_cbranch_execnz .LBB739_856
.LBB739_790:                            ;   in Loop: Header=BB739_690 Depth=2
	s_wait_alu 0xfffe
	s_or_b32 exec_lo, exec_lo, s34
	s_delay_alu instid0(SALU_CYCLE_1)
	s_mov_b32 s34, exec_lo
	v_cmpx_lt_u32_e64 v132, v162
	s_cbranch_execnz .LBB739_857
.LBB739_791:                            ;   in Loop: Header=BB739_690 Depth=2
	s_wait_alu 0xfffe
	s_or_b32 exec_lo, exec_lo, s34
	s_delay_alu instid0(SALU_CYCLE_1)
	s_mov_b32 s34, exec_lo
	v_cmpx_lt_u32_e64 v133, v162
	s_cbranch_execnz .LBB739_858
.LBB739_792:                            ;   in Loop: Header=BB739_690 Depth=2
	s_wait_alu 0xfffe
	s_or_b32 exec_lo, exec_lo, s34
	s_delay_alu instid0(SALU_CYCLE_1)
	s_mov_b32 s34, exec_lo
	v_cmpx_lt_u32_e64 v134, v162
	s_cbranch_execnz .LBB739_859
.LBB739_793:                            ;   in Loop: Header=BB739_690 Depth=2
	s_wait_alu 0xfffe
	s_or_b32 exec_lo, exec_lo, s34
	s_delay_alu instid0(SALU_CYCLE_1)
	s_mov_b32 s34, exec_lo
	v_cmpx_lt_u32_e64 v135, v162
	s_cbranch_execnz .LBB739_860
.LBB739_794:                            ;   in Loop: Header=BB739_690 Depth=2
	s_wait_alu 0xfffe
	s_or_b32 exec_lo, exec_lo, s34
	s_delay_alu instid0(SALU_CYCLE_1)
	s_mov_b32 s34, exec_lo
	v_cmpx_lt_u32_e64 v136, v162
	s_cbranch_execnz .LBB739_861
.LBB739_795:                            ;   in Loop: Header=BB739_690 Depth=2
	s_wait_alu 0xfffe
	s_or_b32 exec_lo, exec_lo, s34
	s_delay_alu instid0(SALU_CYCLE_1)
	s_mov_b32 s34, exec_lo
	v_cmpx_lt_u32_e64 v137, v162
	s_cbranch_execnz .LBB739_862
.LBB739_796:                            ;   in Loop: Header=BB739_690 Depth=2
	s_wait_alu 0xfffe
	s_or_b32 exec_lo, exec_lo, s34
	s_delay_alu instid0(SALU_CYCLE_1)
	s_mov_b32 s34, exec_lo
	v_cmpx_lt_u32_e64 v138, v162
	s_cbranch_execnz .LBB739_863
.LBB739_797:                            ;   in Loop: Header=BB739_690 Depth=2
	s_wait_alu 0xfffe
	s_or_b32 exec_lo, exec_lo, s34
	s_delay_alu instid0(SALU_CYCLE_1)
	s_mov_b32 s34, exec_lo
	v_cmpx_lt_u32_e64 v139, v162
	s_cbranch_execnz .LBB739_864
.LBB739_798:                            ;   in Loop: Header=BB739_690 Depth=2
	s_wait_alu 0xfffe
	s_or_b32 exec_lo, exec_lo, s34
	s_delay_alu instid0(SALU_CYCLE_1)
	s_mov_b32 s34, exec_lo
	v_cmpx_lt_u32_e64 v140, v162
	s_cbranch_execnz .LBB739_865
.LBB739_799:                            ;   in Loop: Header=BB739_690 Depth=2
	s_wait_alu 0xfffe
	s_or_b32 exec_lo, exec_lo, s34
	s_delay_alu instid0(SALU_CYCLE_1)
	s_mov_b32 s34, exec_lo
	v_cmpx_lt_u32_e64 v141, v162
	s_cbranch_execnz .LBB739_866
.LBB739_800:                            ;   in Loop: Header=BB739_690 Depth=2
	s_wait_alu 0xfffe
	s_or_b32 exec_lo, exec_lo, s34
	s_delay_alu instid0(SALU_CYCLE_1)
	s_mov_b32 s34, exec_lo
	v_cmpx_lt_u32_e64 v142, v162
	s_cbranch_execnz .LBB739_867
.LBB739_801:                            ;   in Loop: Header=BB739_690 Depth=2
	s_wait_alu 0xfffe
	s_or_b32 exec_lo, exec_lo, s34
	s_and_saveexec_b32 s30, vcc_lo
	s_cbranch_execnz .LBB739_868
.LBB739_802:                            ;   in Loop: Header=BB739_690 Depth=2
	s_wait_alu 0xfffe
	s_or_b32 exec_lo, exec_lo, s30
	s_and_saveexec_b32 s30, s15
	s_cbranch_execnz .LBB739_869
.LBB739_803:                            ;   in Loop: Header=BB739_690 Depth=2
	s_wait_alu 0xfffe
	s_or_b32 exec_lo, exec_lo, s30
	s_and_saveexec_b32 s30, s16
	s_cbranch_execnz .LBB739_870
.LBB739_804:                            ;   in Loop: Header=BB739_690 Depth=2
	s_wait_alu 0xfffe
	s_or_b32 exec_lo, exec_lo, s30
	s_and_saveexec_b32 s30, s17
	s_cbranch_execnz .LBB739_871
.LBB739_805:                            ;   in Loop: Header=BB739_690 Depth=2
	s_wait_alu 0xfffe
	s_or_b32 exec_lo, exec_lo, s30
	s_and_saveexec_b32 s30, s18
	s_cbranch_execnz .LBB739_872
.LBB739_806:                            ;   in Loop: Header=BB739_690 Depth=2
	s_wait_alu 0xfffe
	s_or_b32 exec_lo, exec_lo, s30
	s_and_saveexec_b32 s30, s19
	s_cbranch_execnz .LBB739_873
.LBB739_807:                            ;   in Loop: Header=BB739_690 Depth=2
	s_wait_alu 0xfffe
	s_or_b32 exec_lo, exec_lo, s30
	s_and_saveexec_b32 s30, s20
	s_cbranch_execnz .LBB739_874
.LBB739_808:                            ;   in Loop: Header=BB739_690 Depth=2
	s_wait_alu 0xfffe
	s_or_b32 exec_lo, exec_lo, s30
	s_and_saveexec_b32 s30, s21
	s_cbranch_execnz .LBB739_875
.LBB739_809:                            ;   in Loop: Header=BB739_690 Depth=2
	s_wait_alu 0xfffe
	s_or_b32 exec_lo, exec_lo, s30
	s_and_saveexec_b32 s30, s22
	s_cbranch_execnz .LBB739_876
.LBB739_810:                            ;   in Loop: Header=BB739_690 Depth=2
	s_wait_alu 0xfffe
	s_or_b32 exec_lo, exec_lo, s30
	s_and_saveexec_b32 s30, s23
	s_cbranch_execnz .LBB739_877
.LBB739_811:                            ;   in Loop: Header=BB739_690 Depth=2
	s_wait_alu 0xfffe
	s_or_b32 exec_lo, exec_lo, s30
	s_and_saveexec_b32 s30, s24
	s_cbranch_execnz .LBB739_878
.LBB739_812:                            ;   in Loop: Header=BB739_690 Depth=2
	s_wait_alu 0xfffe
	s_or_b32 exec_lo, exec_lo, s30
	s_and_saveexec_b32 s30, s25
	s_cbranch_execnz .LBB739_879
.LBB739_813:                            ;   in Loop: Header=BB739_690 Depth=2
	s_wait_alu 0xfffe
	s_or_b32 exec_lo, exec_lo, s30
	s_and_saveexec_b32 s30, s26
	s_cbranch_execnz .LBB739_880
.LBB739_814:                            ;   in Loop: Header=BB739_690 Depth=2
	s_wait_alu 0xfffe
	s_or_b32 exec_lo, exec_lo, s30
	s_and_saveexec_b32 s30, s27
	s_cbranch_execnz .LBB739_881
.LBB739_815:                            ;   in Loop: Header=BB739_690 Depth=2
	s_wait_alu 0xfffe
	s_or_b32 exec_lo, exec_lo, s30
	s_and_saveexec_b32 s30, s28
	s_cbranch_execnz .LBB739_882
.LBB739_816:                            ;   in Loop: Header=BB739_690 Depth=2
	s_wait_alu 0xfffe
	s_or_b32 exec_lo, exec_lo, s30
	s_and_saveexec_b32 s30, s29
	s_cbranch_execz .LBB739_818
.LBB739_817:                            ;   in Loop: Header=BB739_690 Depth=2
	ds_load_b64 v[36:37], v108 offset:31744
	s_wait_dscnt 0x0
	v_lshrrev_b64 v[36:37], s31, v[36:37]
	s_delay_alu instid0(VALU_DEP_1)
	v_and_b32_e32 v146, s54, v36
.LBB739_818:                            ;   in Loop: Header=BB739_690 Depth=2
	s_wait_alu 0xfffe
	s_or_b32 exec_lo, exec_lo, s30
	s_wait_loadcnt 0x0
	s_wait_storecnt 0x0
	s_barrier_signal -1
	s_barrier_wait -1
	global_inv scope:SCOPE_SE
	ds_store_b64 v69, v[34:35] offset:1024
	ds_store_b64 v38, v[32:33] offset:1024
	;; [unrolled: 1-line block ×16, first 2 shown]
	s_wait_loadcnt_dscnt 0x0
	s_barrier_signal -1
	s_barrier_wait -1
	global_inv scope:SCOPE_SE
	s_and_saveexec_b32 s30, vcc_lo
	s_cbranch_execnz .LBB739_883
; %bb.819:                              ;   in Loop: Header=BB739_690 Depth=2
	s_wait_alu 0xfffe
	s_or_b32 exec_lo, exec_lo, s30
	s_and_saveexec_b32 s30, s15
	s_cbranch_execnz .LBB739_884
.LBB739_820:                            ;   in Loop: Header=BB739_690 Depth=2
	s_wait_alu 0xfffe
	s_or_b32 exec_lo, exec_lo, s30
	s_and_saveexec_b32 s15, s16
	s_cbranch_execnz .LBB739_885
.LBB739_821:                            ;   in Loop: Header=BB739_690 Depth=2
	s_wait_alu 0xfffe
	s_or_b32 exec_lo, exec_lo, s15
	s_and_saveexec_b32 s15, s17
	s_cbranch_execnz .LBB739_886
.LBB739_822:                            ;   in Loop: Header=BB739_690 Depth=2
	s_wait_alu 0xfffe
	s_or_b32 exec_lo, exec_lo, s15
	s_and_saveexec_b32 s15, s18
	s_cbranch_execnz .LBB739_887
.LBB739_823:                            ;   in Loop: Header=BB739_690 Depth=2
	s_wait_alu 0xfffe
	s_or_b32 exec_lo, exec_lo, s15
	s_and_saveexec_b32 s15, s19
	s_cbranch_execnz .LBB739_888
.LBB739_824:                            ;   in Loop: Header=BB739_690 Depth=2
	s_wait_alu 0xfffe
	s_or_b32 exec_lo, exec_lo, s15
	s_and_saveexec_b32 s15, s20
	s_cbranch_execnz .LBB739_889
.LBB739_825:                            ;   in Loop: Header=BB739_690 Depth=2
	s_wait_alu 0xfffe
	s_or_b32 exec_lo, exec_lo, s15
	s_and_saveexec_b32 s15, s21
	s_cbranch_execnz .LBB739_890
.LBB739_826:                            ;   in Loop: Header=BB739_690 Depth=2
	s_wait_alu 0xfffe
	s_or_b32 exec_lo, exec_lo, s15
	s_and_saveexec_b32 s15, s22
	s_cbranch_execnz .LBB739_891
.LBB739_827:                            ;   in Loop: Header=BB739_690 Depth=2
	s_wait_alu 0xfffe
	s_or_b32 exec_lo, exec_lo, s15
	s_and_saveexec_b32 s15, s23
	s_cbranch_execnz .LBB739_892
.LBB739_828:                            ;   in Loop: Header=BB739_690 Depth=2
	s_wait_alu 0xfffe
	s_or_b32 exec_lo, exec_lo, s15
	s_and_saveexec_b32 s15, s24
	s_cbranch_execnz .LBB739_893
.LBB739_829:                            ;   in Loop: Header=BB739_690 Depth=2
	s_wait_alu 0xfffe
	s_or_b32 exec_lo, exec_lo, s15
	s_and_saveexec_b32 s15, s25
	s_cbranch_execnz .LBB739_894
.LBB739_830:                            ;   in Loop: Header=BB739_690 Depth=2
	s_wait_alu 0xfffe
	s_or_b32 exec_lo, exec_lo, s15
	s_and_saveexec_b32 s15, s26
	s_cbranch_execnz .LBB739_895
.LBB739_831:                            ;   in Loop: Header=BB739_690 Depth=2
	s_wait_alu 0xfffe
	s_or_b32 exec_lo, exec_lo, s15
	s_and_saveexec_b32 s15, s27
	s_cbranch_execnz .LBB739_896
.LBB739_832:                            ;   in Loop: Header=BB739_690 Depth=2
	s_wait_alu 0xfffe
	s_or_b32 exec_lo, exec_lo, s15
	s_and_saveexec_b32 s15, s28
	s_cbranch_execnz .LBB739_897
.LBB739_833:                            ;   in Loop: Header=BB739_690 Depth=2
	s_wait_alu 0xfffe
	s_or_b32 exec_lo, exec_lo, s15
	s_and_saveexec_b32 s15, s29
	s_cbranch_execz .LBB739_835
.LBB739_834:                            ;   in Loop: Header=BB739_690 Depth=2
	v_dual_mov_b32 v39, v2 :: v_dual_lshlrev_b32 v36, 2, v146
	ds_load_b32 v38, v36
	ds_load_b64 v[36:37], v108 offset:31744
	s_wait_dscnt 0x1
	v_add_nc_u32_e32 v38, v38, v93
	s_delay_alu instid0(VALU_DEP_1) | instskip(NEXT) | instid1(VALU_DEP_1)
	v_lshlrev_b64_e32 v[38:39], 3, v[38:39]
	v_add_co_u32 v38, vcc_lo, s44, v38
	s_wait_alu 0xfffd
	s_delay_alu instid0(VALU_DEP_2)
	v_add_co_ci_u32_e64 v39, null, s45, v39, vcc_lo
	s_wait_dscnt 0x0
	global_store_b64 v[38:39], v[36:37], off
.LBB739_835:                            ;   in Loop: Header=BB739_690 Depth=2
	s_wait_alu 0xfffe
	s_or_b32 exec_lo, exec_lo, s15
	s_wait_loadcnt 0x0
	s_wait_storecnt 0x0
	s_barrier_signal -1
	s_barrier_wait -1
	global_inv scope:SCOPE_SE
	s_and_saveexec_b32 s15, s2
	s_cbranch_execz .LBB739_689
; %bb.836:                              ;   in Loop: Header=BB739_690 Depth=2
	ds_load_b32 v36, v76
	s_wait_dscnt 0x0
	v_add_nc_u32_e32 v36, v36, v68
	ds_store_b32 v76, v36
	s_branch .LBB739_689
.LBB739_837:                            ;   in Loop: Header=BB739_690 Depth=2
	ds_load_b64 v[36:37], v108 offset:1024
	s_wait_dscnt 0x0
	v_lshrrev_b64 v[44:45], s31, v[36:37]
	v_xor_b32_e32 v37, 0x7fffffff, v37
	v_not_b32_e32 v36, v36
	s_delay_alu instid0(VALU_DEP_3) | instskip(NEXT) | instid1(VALU_DEP_1)
	v_dual_mov_b32 v45, v2 :: v_dual_and_b32 v44, s54, v44
	v_lshlrev_b32_e32 v44, 2, v44
	ds_load_b32 v44, v44
	s_wait_dscnt 0x0
	v_add_nc_u32_e32 v44, v44, v1
	s_delay_alu instid0(VALU_DEP_1) | instskip(NEXT) | instid1(VALU_DEP_1)
	v_lshlrev_b64_e32 v[44:45], 3, v[44:45]
	v_add_co_u32 v44, s15, s38, v44
	s_wait_alu 0xf1ff
	s_delay_alu instid0(VALU_DEP_2)
	v_add_co_ci_u32_e64 v45, null, s39, v45, s15
	global_store_b64 v[44:45], v[36:37], off
	s_wait_alu 0xfffe
	s_or_b32 exec_lo, exec_lo, s16
	v_cmp_lt_u32_e64 s15, v77, v162
	s_and_saveexec_b32 s17, s15
	s_cbranch_execz .LBB739_770
.LBB739_838:                            ;   in Loop: Header=BB739_690 Depth=2
	ds_load_b64 v[36:37], v108 offset:3072
	s_wait_dscnt 0x0
	v_lshrrev_b64 v[44:45], s31, v[36:37]
	v_xor_b32_e32 v37, 0x7fffffff, v37
	v_not_b32_e32 v36, v36
	s_delay_alu instid0(VALU_DEP_3) | instskip(NEXT) | instid1(VALU_DEP_1)
	v_dual_mov_b32 v45, v2 :: v_dual_and_b32 v44, s54, v44
	v_lshlrev_b32_e32 v44, 2, v44
	ds_load_b32 v44, v44
	s_wait_dscnt 0x0
	v_add_nc_u32_e32 v44, v44, v77
	s_delay_alu instid0(VALU_DEP_1) | instskip(NEXT) | instid1(VALU_DEP_1)
	v_lshlrev_b64_e32 v[44:45], 3, v[44:45]
	v_add_co_u32 v44, s16, s38, v44
	s_wait_alu 0xf1ff
	s_delay_alu instid0(VALU_DEP_2)
	v_add_co_ci_u32_e64 v45, null, s39, v45, s16
	global_store_b64 v[44:45], v[36:37], off
	s_wait_alu 0xfffe
	s_or_b32 exec_lo, exec_lo, s17
	v_cmp_lt_u32_e64 s16, v78, v162
	s_and_saveexec_b32 s18, s16
	s_cbranch_execz .LBB739_771
.LBB739_839:                            ;   in Loop: Header=BB739_690 Depth=2
	ds_load_b64 v[36:37], v108 offset:5120
	s_wait_dscnt 0x0
	v_lshrrev_b64 v[44:45], s31, v[36:37]
	v_xor_b32_e32 v37, 0x7fffffff, v37
	v_not_b32_e32 v36, v36
	s_delay_alu instid0(VALU_DEP_3) | instskip(NEXT) | instid1(VALU_DEP_1)
	v_dual_mov_b32 v45, v2 :: v_dual_and_b32 v44, s54, v44
	v_lshlrev_b32_e32 v44, 2, v44
	ds_load_b32 v44, v44
	s_wait_dscnt 0x0
	v_add_nc_u32_e32 v44, v44, v78
	s_delay_alu instid0(VALU_DEP_1) | instskip(NEXT) | instid1(VALU_DEP_1)
	v_lshlrev_b64_e32 v[44:45], 3, v[44:45]
	v_add_co_u32 v44, s17, s38, v44
	s_wait_alu 0xf1ff
	s_delay_alu instid0(VALU_DEP_2)
	v_add_co_ci_u32_e64 v45, null, s39, v45, s17
	global_store_b64 v[44:45], v[36:37], off
	s_wait_alu 0xfffe
	s_or_b32 exec_lo, exec_lo, s18
	v_cmp_lt_u32_e64 s17, v79, v162
	s_and_saveexec_b32 s19, s17
	s_cbranch_execz .LBB739_772
.LBB739_840:                            ;   in Loop: Header=BB739_690 Depth=2
	ds_load_b64 v[36:37], v108 offset:7168
	s_wait_dscnt 0x0
	v_lshrrev_b64 v[44:45], s31, v[36:37]
	v_xor_b32_e32 v37, 0x7fffffff, v37
	v_not_b32_e32 v36, v36
	s_delay_alu instid0(VALU_DEP_3) | instskip(NEXT) | instid1(VALU_DEP_1)
	v_dual_mov_b32 v45, v2 :: v_dual_and_b32 v44, s54, v44
	v_lshlrev_b32_e32 v44, 2, v44
	ds_load_b32 v44, v44
	s_wait_dscnt 0x0
	v_add_nc_u32_e32 v44, v44, v79
	s_delay_alu instid0(VALU_DEP_1) | instskip(NEXT) | instid1(VALU_DEP_1)
	v_lshlrev_b64_e32 v[44:45], 3, v[44:45]
	v_add_co_u32 v44, s18, s38, v44
	s_wait_alu 0xf1ff
	s_delay_alu instid0(VALU_DEP_2)
	v_add_co_ci_u32_e64 v45, null, s39, v45, s18
	global_store_b64 v[44:45], v[36:37], off
	s_wait_alu 0xfffe
	s_or_b32 exec_lo, exec_lo, s19
	v_cmp_lt_u32_e64 s18, v82, v162
	s_and_saveexec_b32 s20, s18
	s_cbranch_execz .LBB739_773
.LBB739_841:                            ;   in Loop: Header=BB739_690 Depth=2
	ds_load_b64 v[36:37], v108 offset:9216
	s_wait_dscnt 0x0
	v_lshrrev_b64 v[44:45], s31, v[36:37]
	v_xor_b32_e32 v37, 0x7fffffff, v37
	v_not_b32_e32 v36, v36
	s_delay_alu instid0(VALU_DEP_3) | instskip(NEXT) | instid1(VALU_DEP_1)
	v_dual_mov_b32 v45, v2 :: v_dual_and_b32 v44, s54, v44
	v_lshlrev_b32_e32 v44, 2, v44
	ds_load_b32 v44, v44
	s_wait_dscnt 0x0
	v_add_nc_u32_e32 v44, v44, v82
	s_delay_alu instid0(VALU_DEP_1) | instskip(NEXT) | instid1(VALU_DEP_1)
	v_lshlrev_b64_e32 v[44:45], 3, v[44:45]
	v_add_co_u32 v44, s19, s38, v44
	s_wait_alu 0xf1ff
	s_delay_alu instid0(VALU_DEP_2)
	v_add_co_ci_u32_e64 v45, null, s39, v45, s19
	global_store_b64 v[44:45], v[36:37], off
	s_wait_alu 0xfffe
	s_or_b32 exec_lo, exec_lo, s20
	v_cmp_lt_u32_e64 s19, v83, v162
	s_and_saveexec_b32 s21, s19
	s_cbranch_execz .LBB739_774
.LBB739_842:                            ;   in Loop: Header=BB739_690 Depth=2
	ds_load_b64 v[36:37], v108 offset:11264
	s_wait_dscnt 0x0
	v_lshrrev_b64 v[44:45], s31, v[36:37]
	v_xor_b32_e32 v37, 0x7fffffff, v37
	v_not_b32_e32 v36, v36
	s_delay_alu instid0(VALU_DEP_3) | instskip(NEXT) | instid1(VALU_DEP_1)
	v_dual_mov_b32 v45, v2 :: v_dual_and_b32 v44, s54, v44
	v_lshlrev_b32_e32 v44, 2, v44
	ds_load_b32 v44, v44
	s_wait_dscnt 0x0
	v_add_nc_u32_e32 v44, v44, v83
	s_delay_alu instid0(VALU_DEP_1) | instskip(NEXT) | instid1(VALU_DEP_1)
	v_lshlrev_b64_e32 v[44:45], 3, v[44:45]
	v_add_co_u32 v44, s20, s38, v44
	s_wait_alu 0xf1ff
	s_delay_alu instid0(VALU_DEP_2)
	v_add_co_ci_u32_e64 v45, null, s39, v45, s20
	global_store_b64 v[44:45], v[36:37], off
	s_wait_alu 0xfffe
	s_or_b32 exec_lo, exec_lo, s21
	v_cmp_lt_u32_e64 s20, v84, v162
	s_and_saveexec_b32 s22, s20
	s_cbranch_execz .LBB739_775
.LBB739_843:                            ;   in Loop: Header=BB739_690 Depth=2
	ds_load_b64 v[36:37], v108 offset:13312
	s_wait_dscnt 0x0
	v_lshrrev_b64 v[44:45], s31, v[36:37]
	v_xor_b32_e32 v37, 0x7fffffff, v37
	v_not_b32_e32 v36, v36
	s_delay_alu instid0(VALU_DEP_3) | instskip(NEXT) | instid1(VALU_DEP_1)
	v_dual_mov_b32 v45, v2 :: v_dual_and_b32 v44, s54, v44
	v_lshlrev_b32_e32 v44, 2, v44
	ds_load_b32 v44, v44
	s_wait_dscnt 0x0
	v_add_nc_u32_e32 v44, v44, v84
	s_delay_alu instid0(VALU_DEP_1) | instskip(NEXT) | instid1(VALU_DEP_1)
	v_lshlrev_b64_e32 v[44:45], 3, v[44:45]
	v_add_co_u32 v44, s21, s38, v44
	s_wait_alu 0xf1ff
	s_delay_alu instid0(VALU_DEP_2)
	v_add_co_ci_u32_e64 v45, null, s39, v45, s21
	global_store_b64 v[44:45], v[36:37], off
	s_wait_alu 0xfffe
	s_or_b32 exec_lo, exec_lo, s22
	v_cmp_lt_u32_e64 s21, v85, v162
	s_and_saveexec_b32 s23, s21
	s_cbranch_execz .LBB739_776
.LBB739_844:                            ;   in Loop: Header=BB739_690 Depth=2
	ds_load_b64 v[36:37], v108 offset:15360
	s_wait_dscnt 0x0
	v_lshrrev_b64 v[44:45], s31, v[36:37]
	v_xor_b32_e32 v37, 0x7fffffff, v37
	v_not_b32_e32 v36, v36
	s_delay_alu instid0(VALU_DEP_3) | instskip(NEXT) | instid1(VALU_DEP_1)
	v_dual_mov_b32 v45, v2 :: v_dual_and_b32 v44, s54, v44
	v_lshlrev_b32_e32 v44, 2, v44
	ds_load_b32 v44, v44
	s_wait_dscnt 0x0
	v_add_nc_u32_e32 v44, v44, v85
	s_delay_alu instid0(VALU_DEP_1) | instskip(NEXT) | instid1(VALU_DEP_1)
	v_lshlrev_b64_e32 v[44:45], 3, v[44:45]
	v_add_co_u32 v44, s22, s38, v44
	s_wait_alu 0xf1ff
	s_delay_alu instid0(VALU_DEP_2)
	v_add_co_ci_u32_e64 v45, null, s39, v45, s22
	global_store_b64 v[44:45], v[36:37], off
	s_wait_alu 0xfffe
	s_or_b32 exec_lo, exec_lo, s23
	v_cmp_lt_u32_e64 s22, v86, v162
	s_and_saveexec_b32 s24, s22
	s_cbranch_execz .LBB739_777
.LBB739_845:                            ;   in Loop: Header=BB739_690 Depth=2
	ds_load_b64 v[36:37], v108 offset:17408
	s_wait_dscnt 0x0
	v_lshrrev_b64 v[44:45], s31, v[36:37]
	v_xor_b32_e32 v37, 0x7fffffff, v37
	v_not_b32_e32 v36, v36
	s_delay_alu instid0(VALU_DEP_3) | instskip(NEXT) | instid1(VALU_DEP_1)
	v_dual_mov_b32 v45, v2 :: v_dual_and_b32 v44, s54, v44
	v_lshlrev_b32_e32 v44, 2, v44
	ds_load_b32 v44, v44
	s_wait_dscnt 0x0
	v_add_nc_u32_e32 v44, v44, v86
	s_delay_alu instid0(VALU_DEP_1) | instskip(NEXT) | instid1(VALU_DEP_1)
	v_lshlrev_b64_e32 v[44:45], 3, v[44:45]
	v_add_co_u32 v44, s23, s38, v44
	s_wait_alu 0xf1ff
	s_delay_alu instid0(VALU_DEP_2)
	v_add_co_ci_u32_e64 v45, null, s39, v45, s23
	global_store_b64 v[44:45], v[36:37], off
	s_wait_alu 0xfffe
	s_or_b32 exec_lo, exec_lo, s24
	v_cmp_lt_u32_e64 s23, v87, v162
	s_and_saveexec_b32 s25, s23
	s_cbranch_execz .LBB739_778
.LBB739_846:                            ;   in Loop: Header=BB739_690 Depth=2
	ds_load_b64 v[36:37], v108 offset:19456
	s_wait_dscnt 0x0
	v_lshrrev_b64 v[44:45], s31, v[36:37]
	v_xor_b32_e32 v37, 0x7fffffff, v37
	v_not_b32_e32 v36, v36
	s_delay_alu instid0(VALU_DEP_3) | instskip(NEXT) | instid1(VALU_DEP_1)
	v_dual_mov_b32 v45, v2 :: v_dual_and_b32 v44, s54, v44
	v_lshlrev_b32_e32 v44, 2, v44
	ds_load_b32 v44, v44
	s_wait_dscnt 0x0
	v_add_nc_u32_e32 v44, v44, v87
	s_delay_alu instid0(VALU_DEP_1) | instskip(NEXT) | instid1(VALU_DEP_1)
	v_lshlrev_b64_e32 v[44:45], 3, v[44:45]
	v_add_co_u32 v44, s24, s38, v44
	s_wait_alu 0xf1ff
	s_delay_alu instid0(VALU_DEP_2)
	v_add_co_ci_u32_e64 v45, null, s39, v45, s24
	global_store_b64 v[44:45], v[36:37], off
	s_wait_alu 0xfffe
	s_or_b32 exec_lo, exec_lo, s25
	v_cmp_lt_u32_e64 s24, v88, v162
	s_and_saveexec_b32 s26, s24
	s_cbranch_execz .LBB739_779
.LBB739_847:                            ;   in Loop: Header=BB739_690 Depth=2
	ds_load_b64 v[36:37], v108 offset:21504
	s_wait_dscnt 0x0
	v_lshrrev_b64 v[44:45], s31, v[36:37]
	v_xor_b32_e32 v37, 0x7fffffff, v37
	v_not_b32_e32 v36, v36
	s_delay_alu instid0(VALU_DEP_3) | instskip(NEXT) | instid1(VALU_DEP_1)
	v_dual_mov_b32 v45, v2 :: v_dual_and_b32 v44, s54, v44
	v_lshlrev_b32_e32 v44, 2, v44
	ds_load_b32 v44, v44
	s_wait_dscnt 0x0
	v_add_nc_u32_e32 v44, v44, v88
	s_delay_alu instid0(VALU_DEP_1) | instskip(NEXT) | instid1(VALU_DEP_1)
	v_lshlrev_b64_e32 v[44:45], 3, v[44:45]
	v_add_co_u32 v44, s25, s38, v44
	s_wait_alu 0xf1ff
	s_delay_alu instid0(VALU_DEP_2)
	v_add_co_ci_u32_e64 v45, null, s39, v45, s25
	global_store_b64 v[44:45], v[36:37], off
	s_wait_alu 0xfffe
	s_or_b32 exec_lo, exec_lo, s26
	v_cmp_lt_u32_e64 s25, v89, v162
	s_and_saveexec_b32 s27, s25
	s_cbranch_execz .LBB739_780
.LBB739_848:                            ;   in Loop: Header=BB739_690 Depth=2
	ds_load_b64 v[36:37], v108 offset:23552
	s_wait_dscnt 0x0
	v_lshrrev_b64 v[44:45], s31, v[36:37]
	v_xor_b32_e32 v37, 0x7fffffff, v37
	v_not_b32_e32 v36, v36
	s_delay_alu instid0(VALU_DEP_3) | instskip(NEXT) | instid1(VALU_DEP_1)
	v_dual_mov_b32 v45, v2 :: v_dual_and_b32 v44, s54, v44
	v_lshlrev_b32_e32 v44, 2, v44
	ds_load_b32 v44, v44
	s_wait_dscnt 0x0
	v_add_nc_u32_e32 v44, v44, v89
	s_delay_alu instid0(VALU_DEP_1) | instskip(NEXT) | instid1(VALU_DEP_1)
	v_lshlrev_b64_e32 v[44:45], 3, v[44:45]
	v_add_co_u32 v44, s26, s38, v44
	s_wait_alu 0xf1ff
	s_delay_alu instid0(VALU_DEP_2)
	v_add_co_ci_u32_e64 v45, null, s39, v45, s26
	global_store_b64 v[44:45], v[36:37], off
	s_wait_alu 0xfffe
	s_or_b32 exec_lo, exec_lo, s27
	v_cmp_lt_u32_e64 s26, v90, v162
	s_and_saveexec_b32 s28, s26
	s_cbranch_execz .LBB739_781
.LBB739_849:                            ;   in Loop: Header=BB739_690 Depth=2
	ds_load_b64 v[36:37], v108 offset:25600
	s_wait_dscnt 0x0
	v_lshrrev_b64 v[44:45], s31, v[36:37]
	v_xor_b32_e32 v37, 0x7fffffff, v37
	v_not_b32_e32 v36, v36
	s_delay_alu instid0(VALU_DEP_3) | instskip(NEXT) | instid1(VALU_DEP_1)
	v_dual_mov_b32 v45, v2 :: v_dual_and_b32 v44, s54, v44
	v_lshlrev_b32_e32 v44, 2, v44
	ds_load_b32 v44, v44
	s_wait_dscnt 0x0
	v_add_nc_u32_e32 v44, v44, v90
	s_delay_alu instid0(VALU_DEP_1) | instskip(NEXT) | instid1(VALU_DEP_1)
	v_lshlrev_b64_e32 v[44:45], 3, v[44:45]
	v_add_co_u32 v44, s27, s38, v44
	s_wait_alu 0xf1ff
	s_delay_alu instid0(VALU_DEP_2)
	v_add_co_ci_u32_e64 v45, null, s39, v45, s27
	global_store_b64 v[44:45], v[36:37], off
	s_wait_alu 0xfffe
	s_or_b32 exec_lo, exec_lo, s28
	v_cmp_lt_u32_e64 s27, v91, v162
	s_and_saveexec_b32 s29, s27
	s_cbranch_execz .LBB739_782
.LBB739_850:                            ;   in Loop: Header=BB739_690 Depth=2
	ds_load_b64 v[36:37], v108 offset:27648
	s_wait_dscnt 0x0
	v_lshrrev_b64 v[44:45], s31, v[36:37]
	v_xor_b32_e32 v37, 0x7fffffff, v37
	v_not_b32_e32 v36, v36
	s_delay_alu instid0(VALU_DEP_3) | instskip(NEXT) | instid1(VALU_DEP_1)
	v_dual_mov_b32 v45, v2 :: v_dual_and_b32 v44, s54, v44
	v_lshlrev_b32_e32 v44, 2, v44
	ds_load_b32 v44, v44
	s_wait_dscnt 0x0
	v_add_nc_u32_e32 v44, v44, v91
	s_delay_alu instid0(VALU_DEP_1) | instskip(NEXT) | instid1(VALU_DEP_1)
	v_lshlrev_b64_e32 v[44:45], 3, v[44:45]
	v_add_co_u32 v44, s28, s38, v44
	s_wait_alu 0xf1ff
	s_delay_alu instid0(VALU_DEP_2)
	v_add_co_ci_u32_e64 v45, null, s39, v45, s28
	global_store_b64 v[44:45], v[36:37], off
	s_wait_alu 0xfffe
	s_or_b32 exec_lo, exec_lo, s29
	v_cmp_lt_u32_e64 s28, v92, v162
	s_and_saveexec_b32 s30, s28
	s_cbranch_execz .LBB739_783
.LBB739_851:                            ;   in Loop: Header=BB739_690 Depth=2
	ds_load_b64 v[36:37], v108 offset:29696
	s_wait_dscnt 0x0
	v_lshrrev_b64 v[44:45], s31, v[36:37]
	v_xor_b32_e32 v37, 0x7fffffff, v37
	v_not_b32_e32 v36, v36
	s_delay_alu instid0(VALU_DEP_3) | instskip(NEXT) | instid1(VALU_DEP_1)
	v_dual_mov_b32 v45, v2 :: v_dual_and_b32 v44, s54, v44
	v_lshlrev_b32_e32 v44, 2, v44
	ds_load_b32 v44, v44
	s_wait_dscnt 0x0
	v_add_nc_u32_e32 v44, v44, v92
	s_delay_alu instid0(VALU_DEP_1) | instskip(NEXT) | instid1(VALU_DEP_1)
	v_lshlrev_b64_e32 v[44:45], 3, v[44:45]
	v_add_co_u32 v44, s29, s38, v44
	s_wait_alu 0xf1ff
	s_delay_alu instid0(VALU_DEP_2)
	v_add_co_ci_u32_e64 v45, null, s39, v45, s29
	global_store_b64 v[44:45], v[36:37], off
	s_wait_alu 0xfffe
	s_or_b32 exec_lo, exec_lo, s30
	v_cmp_lt_u32_e64 s29, v93, v162
	s_and_saveexec_b32 s57, s29
	s_cbranch_execnz .LBB739_784
	s_branch .LBB739_785
.LBB739_852:                            ;   in Loop: Header=BB739_690 Depth=2
	global_load_b64 v[34:35], v[36:37], off
	s_wait_alu 0xfffe
	s_or_b32 exec_lo, exec_lo, s30
	s_delay_alu instid0(SALU_CYCLE_1)
	s_mov_b32 s34, exec_lo
	v_cmpx_lt_u32_e64 v128, v162
	s_cbranch_execz .LBB739_787
.LBB739_853:                            ;   in Loop: Header=BB739_690 Depth=2
	global_load_b64 v[32:33], v[36:37], off offset:256
	s_wait_alu 0xfffe
	s_or_b32 exec_lo, exec_lo, s34
	s_delay_alu instid0(SALU_CYCLE_1)
	s_mov_b32 s34, exec_lo
	v_cmpx_lt_u32_e64 v129, v162
	s_cbranch_execz .LBB739_788
.LBB739_854:                            ;   in Loop: Header=BB739_690 Depth=2
	global_load_b64 v[30:31], v[36:37], off offset:512
	s_wait_alu 0xfffe
	s_or_b32 exec_lo, exec_lo, s34
	s_delay_alu instid0(SALU_CYCLE_1)
	s_mov_b32 s34, exec_lo
	v_cmpx_lt_u32_e64 v130, v162
	s_cbranch_execz .LBB739_789
.LBB739_855:                            ;   in Loop: Header=BB739_690 Depth=2
	global_load_b64 v[28:29], v[36:37], off offset:768
	s_wait_alu 0xfffe
	s_or_b32 exec_lo, exec_lo, s34
	s_delay_alu instid0(SALU_CYCLE_1)
	s_mov_b32 s34, exec_lo
	v_cmpx_lt_u32_e64 v131, v162
	s_cbranch_execz .LBB739_790
.LBB739_856:                            ;   in Loop: Header=BB739_690 Depth=2
	global_load_b64 v[26:27], v[36:37], off offset:1024
	s_wait_alu 0xfffe
	s_or_b32 exec_lo, exec_lo, s34
	s_delay_alu instid0(SALU_CYCLE_1)
	s_mov_b32 s34, exec_lo
	v_cmpx_lt_u32_e64 v132, v162
	s_cbranch_execz .LBB739_791
.LBB739_857:                            ;   in Loop: Header=BB739_690 Depth=2
	global_load_b64 v[24:25], v[36:37], off offset:1280
	s_wait_alu 0xfffe
	s_or_b32 exec_lo, exec_lo, s34
	s_delay_alu instid0(SALU_CYCLE_1)
	s_mov_b32 s34, exec_lo
	v_cmpx_lt_u32_e64 v133, v162
	s_cbranch_execz .LBB739_792
.LBB739_858:                            ;   in Loop: Header=BB739_690 Depth=2
	global_load_b64 v[22:23], v[36:37], off offset:1536
	s_wait_alu 0xfffe
	s_or_b32 exec_lo, exec_lo, s34
	s_delay_alu instid0(SALU_CYCLE_1)
	s_mov_b32 s34, exec_lo
	v_cmpx_lt_u32_e64 v134, v162
	s_cbranch_execz .LBB739_793
.LBB739_859:                            ;   in Loop: Header=BB739_690 Depth=2
	global_load_b64 v[20:21], v[36:37], off offset:1792
	s_wait_alu 0xfffe
	s_or_b32 exec_lo, exec_lo, s34
	s_delay_alu instid0(SALU_CYCLE_1)
	s_mov_b32 s34, exec_lo
	v_cmpx_lt_u32_e64 v135, v162
	s_cbranch_execz .LBB739_794
.LBB739_860:                            ;   in Loop: Header=BB739_690 Depth=2
	global_load_b64 v[18:19], v[36:37], off offset:2048
	s_wait_alu 0xfffe
	s_or_b32 exec_lo, exec_lo, s34
	s_delay_alu instid0(SALU_CYCLE_1)
	s_mov_b32 s34, exec_lo
	v_cmpx_lt_u32_e64 v136, v162
	s_cbranch_execz .LBB739_795
.LBB739_861:                            ;   in Loop: Header=BB739_690 Depth=2
	global_load_b64 v[16:17], v[36:37], off offset:2304
	s_wait_alu 0xfffe
	s_or_b32 exec_lo, exec_lo, s34
	s_delay_alu instid0(SALU_CYCLE_1)
	s_mov_b32 s34, exec_lo
	v_cmpx_lt_u32_e64 v137, v162
	s_cbranch_execz .LBB739_796
.LBB739_862:                            ;   in Loop: Header=BB739_690 Depth=2
	global_load_b64 v[14:15], v[36:37], off offset:2560
	s_wait_alu 0xfffe
	s_or_b32 exec_lo, exec_lo, s34
	s_delay_alu instid0(SALU_CYCLE_1)
	s_mov_b32 s34, exec_lo
	v_cmpx_lt_u32_e64 v138, v162
	s_cbranch_execz .LBB739_797
.LBB739_863:                            ;   in Loop: Header=BB739_690 Depth=2
	global_load_b64 v[12:13], v[36:37], off offset:2816
	s_wait_alu 0xfffe
	s_or_b32 exec_lo, exec_lo, s34
	s_delay_alu instid0(SALU_CYCLE_1)
	s_mov_b32 s34, exec_lo
	v_cmpx_lt_u32_e64 v139, v162
	s_cbranch_execz .LBB739_798
.LBB739_864:                            ;   in Loop: Header=BB739_690 Depth=2
	global_load_b64 v[10:11], v[36:37], off offset:3072
	s_wait_alu 0xfffe
	s_or_b32 exec_lo, exec_lo, s34
	s_delay_alu instid0(SALU_CYCLE_1)
	s_mov_b32 s34, exec_lo
	v_cmpx_lt_u32_e64 v140, v162
	s_cbranch_execz .LBB739_799
.LBB739_865:                            ;   in Loop: Header=BB739_690 Depth=2
	global_load_b64 v[8:9], v[36:37], off offset:3328
	s_wait_alu 0xfffe
	s_or_b32 exec_lo, exec_lo, s34
	s_delay_alu instid0(SALU_CYCLE_1)
	s_mov_b32 s34, exec_lo
	v_cmpx_lt_u32_e64 v141, v162
	s_cbranch_execz .LBB739_800
.LBB739_866:                            ;   in Loop: Header=BB739_690 Depth=2
	global_load_b64 v[6:7], v[36:37], off offset:3584
	s_wait_alu 0xfffe
	s_or_b32 exec_lo, exec_lo, s34
	s_delay_alu instid0(SALU_CYCLE_1)
	s_mov_b32 s34, exec_lo
	v_cmpx_lt_u32_e64 v142, v162
	s_cbranch_execz .LBB739_801
.LBB739_867:                            ;   in Loop: Header=BB739_690 Depth=2
	global_load_b64 v[4:5], v[36:37], off offset:3840
	s_wait_alu 0xfffe
	s_or_b32 exec_lo, exec_lo, s34
	s_and_saveexec_b32 s30, vcc_lo
	s_cbranch_execz .LBB739_802
.LBB739_868:                            ;   in Loop: Header=BB739_690 Depth=2
	ds_load_b64 v[36:37], v108 offset:1024
	s_wait_dscnt 0x0
	v_lshrrev_b64 v[36:37], s31, v[36:37]
	s_delay_alu instid0(VALU_DEP_1)
	v_and_b32_e32 v161, s54, v36
	s_wait_alu 0xfffe
	s_or_b32 exec_lo, exec_lo, s30
	s_and_saveexec_b32 s30, s15
	s_cbranch_execz .LBB739_803
.LBB739_869:                            ;   in Loop: Header=BB739_690 Depth=2
	ds_load_b64 v[36:37], v108 offset:3072
	s_wait_dscnt 0x0
	v_lshrrev_b64 v[36:37], s31, v[36:37]
	s_delay_alu instid0(VALU_DEP_1)
	v_and_b32_e32 v160, s54, v36
	s_wait_alu 0xfffe
	s_or_b32 exec_lo, exec_lo, s30
	s_and_saveexec_b32 s30, s16
	s_cbranch_execz .LBB739_804
.LBB739_870:                            ;   in Loop: Header=BB739_690 Depth=2
	ds_load_b64 v[36:37], v108 offset:5120
	s_wait_dscnt 0x0
	v_lshrrev_b64 v[36:37], s31, v[36:37]
	s_delay_alu instid0(VALU_DEP_1)
	v_and_b32_e32 v159, s54, v36
	s_wait_alu 0xfffe
	s_or_b32 exec_lo, exec_lo, s30
	s_and_saveexec_b32 s30, s17
	s_cbranch_execz .LBB739_805
.LBB739_871:                            ;   in Loop: Header=BB739_690 Depth=2
	ds_load_b64 v[36:37], v108 offset:7168
	s_wait_dscnt 0x0
	v_lshrrev_b64 v[36:37], s31, v[36:37]
	s_delay_alu instid0(VALU_DEP_1)
	v_and_b32_e32 v158, s54, v36
	s_wait_alu 0xfffe
	s_or_b32 exec_lo, exec_lo, s30
	s_and_saveexec_b32 s30, s18
	s_cbranch_execz .LBB739_806
.LBB739_872:                            ;   in Loop: Header=BB739_690 Depth=2
	ds_load_b64 v[36:37], v108 offset:9216
	s_wait_dscnt 0x0
	v_lshrrev_b64 v[36:37], s31, v[36:37]
	s_delay_alu instid0(VALU_DEP_1)
	v_and_b32_e32 v157, s54, v36
	s_wait_alu 0xfffe
	s_or_b32 exec_lo, exec_lo, s30
	s_and_saveexec_b32 s30, s19
	s_cbranch_execz .LBB739_807
.LBB739_873:                            ;   in Loop: Header=BB739_690 Depth=2
	ds_load_b64 v[36:37], v108 offset:11264
	s_wait_dscnt 0x0
	v_lshrrev_b64 v[36:37], s31, v[36:37]
	s_delay_alu instid0(VALU_DEP_1)
	v_and_b32_e32 v156, s54, v36
	s_wait_alu 0xfffe
	s_or_b32 exec_lo, exec_lo, s30
	s_and_saveexec_b32 s30, s20
	s_cbranch_execz .LBB739_808
.LBB739_874:                            ;   in Loop: Header=BB739_690 Depth=2
	ds_load_b64 v[36:37], v108 offset:13312
	s_wait_dscnt 0x0
	v_lshrrev_b64 v[36:37], s31, v[36:37]
	s_delay_alu instid0(VALU_DEP_1)
	v_and_b32_e32 v155, s54, v36
	s_wait_alu 0xfffe
	s_or_b32 exec_lo, exec_lo, s30
	s_and_saveexec_b32 s30, s21
	s_cbranch_execz .LBB739_809
.LBB739_875:                            ;   in Loop: Header=BB739_690 Depth=2
	ds_load_b64 v[36:37], v108 offset:15360
	s_wait_dscnt 0x0
	v_lshrrev_b64 v[36:37], s31, v[36:37]
	s_delay_alu instid0(VALU_DEP_1)
	v_and_b32_e32 v154, s54, v36
	s_wait_alu 0xfffe
	s_or_b32 exec_lo, exec_lo, s30
	s_and_saveexec_b32 s30, s22
	s_cbranch_execz .LBB739_810
.LBB739_876:                            ;   in Loop: Header=BB739_690 Depth=2
	ds_load_b64 v[36:37], v108 offset:17408
	s_wait_dscnt 0x0
	v_lshrrev_b64 v[36:37], s31, v[36:37]
	s_delay_alu instid0(VALU_DEP_1)
	v_and_b32_e32 v153, s54, v36
	s_wait_alu 0xfffe
	s_or_b32 exec_lo, exec_lo, s30
	s_and_saveexec_b32 s30, s23
	s_cbranch_execz .LBB739_811
.LBB739_877:                            ;   in Loop: Header=BB739_690 Depth=2
	ds_load_b64 v[36:37], v108 offset:19456
	s_wait_dscnt 0x0
	v_lshrrev_b64 v[36:37], s31, v[36:37]
	s_delay_alu instid0(VALU_DEP_1)
	v_and_b32_e32 v152, s54, v36
	s_wait_alu 0xfffe
	s_or_b32 exec_lo, exec_lo, s30
	s_and_saveexec_b32 s30, s24
	s_cbranch_execz .LBB739_812
.LBB739_878:                            ;   in Loop: Header=BB739_690 Depth=2
	ds_load_b64 v[36:37], v108 offset:21504
	s_wait_dscnt 0x0
	v_lshrrev_b64 v[36:37], s31, v[36:37]
	s_delay_alu instid0(VALU_DEP_1)
	v_and_b32_e32 v151, s54, v36
	s_wait_alu 0xfffe
	s_or_b32 exec_lo, exec_lo, s30
	s_and_saveexec_b32 s30, s25
	s_cbranch_execz .LBB739_813
.LBB739_879:                            ;   in Loop: Header=BB739_690 Depth=2
	ds_load_b64 v[36:37], v108 offset:23552
	s_wait_dscnt 0x0
	v_lshrrev_b64 v[36:37], s31, v[36:37]
	s_delay_alu instid0(VALU_DEP_1)
	v_and_b32_e32 v150, s54, v36
	s_wait_alu 0xfffe
	s_or_b32 exec_lo, exec_lo, s30
	s_and_saveexec_b32 s30, s26
	s_cbranch_execz .LBB739_814
.LBB739_880:                            ;   in Loop: Header=BB739_690 Depth=2
	ds_load_b64 v[36:37], v108 offset:25600
	s_wait_dscnt 0x0
	v_lshrrev_b64 v[36:37], s31, v[36:37]
	s_delay_alu instid0(VALU_DEP_1)
	v_and_b32_e32 v149, s54, v36
	s_wait_alu 0xfffe
	s_or_b32 exec_lo, exec_lo, s30
	s_and_saveexec_b32 s30, s27
	s_cbranch_execz .LBB739_815
.LBB739_881:                            ;   in Loop: Header=BB739_690 Depth=2
	ds_load_b64 v[36:37], v108 offset:27648
	s_wait_dscnt 0x0
	v_lshrrev_b64 v[36:37], s31, v[36:37]
	s_delay_alu instid0(VALU_DEP_1)
	v_and_b32_e32 v148, s54, v36
	s_wait_alu 0xfffe
	s_or_b32 exec_lo, exec_lo, s30
	s_and_saveexec_b32 s30, s28
	s_cbranch_execz .LBB739_816
.LBB739_882:                            ;   in Loop: Header=BB739_690 Depth=2
	ds_load_b64 v[36:37], v108 offset:29696
	s_wait_dscnt 0x0
	v_lshrrev_b64 v[36:37], s31, v[36:37]
	s_delay_alu instid0(VALU_DEP_1)
	v_and_b32_e32 v147, s54, v36
	s_wait_alu 0xfffe
	s_or_b32 exec_lo, exec_lo, s30
	s_and_saveexec_b32 s30, s29
	s_cbranch_execnz .LBB739_817
	s_branch .LBB739_818
.LBB739_883:                            ;   in Loop: Header=BB739_690 Depth=2
	v_dual_mov_b32 v39, v2 :: v_dual_lshlrev_b32 v36, 2, v161
	ds_load_b32 v38, v36
	ds_load_b64 v[36:37], v108 offset:1024
	s_wait_dscnt 0x1
	v_add_nc_u32_e32 v38, v38, v1
	s_delay_alu instid0(VALU_DEP_1) | instskip(NEXT) | instid1(VALU_DEP_1)
	v_lshlrev_b64_e32 v[38:39], 3, v[38:39]
	v_add_co_u32 v38, vcc_lo, s44, v38
	s_wait_alu 0xfffd
	s_delay_alu instid0(VALU_DEP_2)
	v_add_co_ci_u32_e64 v39, null, s45, v39, vcc_lo
	s_wait_dscnt 0x0
	global_store_b64 v[38:39], v[36:37], off
	s_wait_alu 0xfffe
	s_or_b32 exec_lo, exec_lo, s30
	s_and_saveexec_b32 s30, s15
	s_cbranch_execz .LBB739_820
.LBB739_884:                            ;   in Loop: Header=BB739_690 Depth=2
	v_dual_mov_b32 v39, v2 :: v_dual_lshlrev_b32 v36, 2, v160
	ds_load_b32 v38, v36
	ds_load_b64 v[36:37], v108 offset:3072
	s_wait_dscnt 0x1
	v_add_nc_u32_e32 v38, v38, v77
	s_delay_alu instid0(VALU_DEP_1) | instskip(NEXT) | instid1(VALU_DEP_1)
	v_lshlrev_b64_e32 v[38:39], 3, v[38:39]
	v_add_co_u32 v38, vcc_lo, s44, v38
	s_wait_alu 0xfffd
	s_delay_alu instid0(VALU_DEP_2)
	v_add_co_ci_u32_e64 v39, null, s45, v39, vcc_lo
	s_wait_dscnt 0x0
	global_store_b64 v[38:39], v[36:37], off
	s_wait_alu 0xfffe
	s_or_b32 exec_lo, exec_lo, s30
	s_and_saveexec_b32 s15, s16
	s_cbranch_execz .LBB739_821
.LBB739_885:                            ;   in Loop: Header=BB739_690 Depth=2
	v_dual_mov_b32 v39, v2 :: v_dual_lshlrev_b32 v36, 2, v159
	ds_load_b32 v38, v36
	ds_load_b64 v[36:37], v108 offset:5120
	s_wait_dscnt 0x1
	v_add_nc_u32_e32 v38, v38, v78
	s_delay_alu instid0(VALU_DEP_1) | instskip(NEXT) | instid1(VALU_DEP_1)
	v_lshlrev_b64_e32 v[38:39], 3, v[38:39]
	v_add_co_u32 v38, vcc_lo, s44, v38
	s_wait_alu 0xfffd
	s_delay_alu instid0(VALU_DEP_2)
	v_add_co_ci_u32_e64 v39, null, s45, v39, vcc_lo
	s_wait_dscnt 0x0
	global_store_b64 v[38:39], v[36:37], off
	s_wait_alu 0xfffe
	s_or_b32 exec_lo, exec_lo, s15
	s_and_saveexec_b32 s15, s17
	s_cbranch_execz .LBB739_822
.LBB739_886:                            ;   in Loop: Header=BB739_690 Depth=2
	v_dual_mov_b32 v39, v2 :: v_dual_lshlrev_b32 v36, 2, v158
	ds_load_b32 v38, v36
	ds_load_b64 v[36:37], v108 offset:7168
	s_wait_dscnt 0x1
	v_add_nc_u32_e32 v38, v38, v79
	s_delay_alu instid0(VALU_DEP_1) | instskip(NEXT) | instid1(VALU_DEP_1)
	v_lshlrev_b64_e32 v[38:39], 3, v[38:39]
	v_add_co_u32 v38, vcc_lo, s44, v38
	s_wait_alu 0xfffd
	s_delay_alu instid0(VALU_DEP_2)
	v_add_co_ci_u32_e64 v39, null, s45, v39, vcc_lo
	s_wait_dscnt 0x0
	global_store_b64 v[38:39], v[36:37], off
	s_wait_alu 0xfffe
	s_or_b32 exec_lo, exec_lo, s15
	s_and_saveexec_b32 s15, s18
	s_cbranch_execz .LBB739_823
.LBB739_887:                            ;   in Loop: Header=BB739_690 Depth=2
	v_dual_mov_b32 v39, v2 :: v_dual_lshlrev_b32 v36, 2, v157
	ds_load_b32 v38, v36
	ds_load_b64 v[36:37], v108 offset:9216
	s_wait_dscnt 0x1
	v_add_nc_u32_e32 v38, v38, v82
	s_delay_alu instid0(VALU_DEP_1) | instskip(NEXT) | instid1(VALU_DEP_1)
	v_lshlrev_b64_e32 v[38:39], 3, v[38:39]
	v_add_co_u32 v38, vcc_lo, s44, v38
	s_wait_alu 0xfffd
	s_delay_alu instid0(VALU_DEP_2)
	v_add_co_ci_u32_e64 v39, null, s45, v39, vcc_lo
	s_wait_dscnt 0x0
	global_store_b64 v[38:39], v[36:37], off
	s_wait_alu 0xfffe
	s_or_b32 exec_lo, exec_lo, s15
	s_and_saveexec_b32 s15, s19
	s_cbranch_execz .LBB739_824
.LBB739_888:                            ;   in Loop: Header=BB739_690 Depth=2
	v_dual_mov_b32 v39, v2 :: v_dual_lshlrev_b32 v36, 2, v156
	ds_load_b32 v38, v36
	ds_load_b64 v[36:37], v108 offset:11264
	s_wait_dscnt 0x1
	v_add_nc_u32_e32 v38, v38, v83
	s_delay_alu instid0(VALU_DEP_1) | instskip(NEXT) | instid1(VALU_DEP_1)
	v_lshlrev_b64_e32 v[38:39], 3, v[38:39]
	v_add_co_u32 v38, vcc_lo, s44, v38
	s_wait_alu 0xfffd
	s_delay_alu instid0(VALU_DEP_2)
	v_add_co_ci_u32_e64 v39, null, s45, v39, vcc_lo
	s_wait_dscnt 0x0
	global_store_b64 v[38:39], v[36:37], off
	s_wait_alu 0xfffe
	s_or_b32 exec_lo, exec_lo, s15
	s_and_saveexec_b32 s15, s20
	s_cbranch_execz .LBB739_825
.LBB739_889:                            ;   in Loop: Header=BB739_690 Depth=2
	v_dual_mov_b32 v39, v2 :: v_dual_lshlrev_b32 v36, 2, v155
	ds_load_b32 v38, v36
	ds_load_b64 v[36:37], v108 offset:13312
	s_wait_dscnt 0x1
	v_add_nc_u32_e32 v38, v38, v84
	s_delay_alu instid0(VALU_DEP_1) | instskip(NEXT) | instid1(VALU_DEP_1)
	v_lshlrev_b64_e32 v[38:39], 3, v[38:39]
	v_add_co_u32 v38, vcc_lo, s44, v38
	s_wait_alu 0xfffd
	s_delay_alu instid0(VALU_DEP_2)
	v_add_co_ci_u32_e64 v39, null, s45, v39, vcc_lo
	s_wait_dscnt 0x0
	global_store_b64 v[38:39], v[36:37], off
	s_wait_alu 0xfffe
	s_or_b32 exec_lo, exec_lo, s15
	s_and_saveexec_b32 s15, s21
	s_cbranch_execz .LBB739_826
.LBB739_890:                            ;   in Loop: Header=BB739_690 Depth=2
	v_dual_mov_b32 v39, v2 :: v_dual_lshlrev_b32 v36, 2, v154
	ds_load_b32 v38, v36
	ds_load_b64 v[36:37], v108 offset:15360
	s_wait_dscnt 0x1
	v_add_nc_u32_e32 v38, v38, v85
	s_delay_alu instid0(VALU_DEP_1) | instskip(NEXT) | instid1(VALU_DEP_1)
	v_lshlrev_b64_e32 v[38:39], 3, v[38:39]
	v_add_co_u32 v38, vcc_lo, s44, v38
	s_wait_alu 0xfffd
	s_delay_alu instid0(VALU_DEP_2)
	v_add_co_ci_u32_e64 v39, null, s45, v39, vcc_lo
	s_wait_dscnt 0x0
	global_store_b64 v[38:39], v[36:37], off
	s_wait_alu 0xfffe
	s_or_b32 exec_lo, exec_lo, s15
	s_and_saveexec_b32 s15, s22
	s_cbranch_execz .LBB739_827
.LBB739_891:                            ;   in Loop: Header=BB739_690 Depth=2
	v_dual_mov_b32 v39, v2 :: v_dual_lshlrev_b32 v36, 2, v153
	ds_load_b32 v38, v36
	ds_load_b64 v[36:37], v108 offset:17408
	s_wait_dscnt 0x1
	v_add_nc_u32_e32 v38, v38, v86
	s_delay_alu instid0(VALU_DEP_1) | instskip(NEXT) | instid1(VALU_DEP_1)
	v_lshlrev_b64_e32 v[38:39], 3, v[38:39]
	v_add_co_u32 v38, vcc_lo, s44, v38
	s_wait_alu 0xfffd
	s_delay_alu instid0(VALU_DEP_2)
	v_add_co_ci_u32_e64 v39, null, s45, v39, vcc_lo
	s_wait_dscnt 0x0
	global_store_b64 v[38:39], v[36:37], off
	s_wait_alu 0xfffe
	s_or_b32 exec_lo, exec_lo, s15
	s_and_saveexec_b32 s15, s23
	s_cbranch_execz .LBB739_828
.LBB739_892:                            ;   in Loop: Header=BB739_690 Depth=2
	v_dual_mov_b32 v39, v2 :: v_dual_lshlrev_b32 v36, 2, v152
	ds_load_b32 v38, v36
	ds_load_b64 v[36:37], v108 offset:19456
	s_wait_dscnt 0x1
	v_add_nc_u32_e32 v38, v38, v87
	s_delay_alu instid0(VALU_DEP_1) | instskip(NEXT) | instid1(VALU_DEP_1)
	v_lshlrev_b64_e32 v[38:39], 3, v[38:39]
	v_add_co_u32 v38, vcc_lo, s44, v38
	s_wait_alu 0xfffd
	s_delay_alu instid0(VALU_DEP_2)
	v_add_co_ci_u32_e64 v39, null, s45, v39, vcc_lo
	s_wait_dscnt 0x0
	global_store_b64 v[38:39], v[36:37], off
	s_wait_alu 0xfffe
	s_or_b32 exec_lo, exec_lo, s15
	s_and_saveexec_b32 s15, s24
	s_cbranch_execz .LBB739_829
.LBB739_893:                            ;   in Loop: Header=BB739_690 Depth=2
	v_dual_mov_b32 v39, v2 :: v_dual_lshlrev_b32 v36, 2, v151
	ds_load_b32 v38, v36
	ds_load_b64 v[36:37], v108 offset:21504
	s_wait_dscnt 0x1
	v_add_nc_u32_e32 v38, v38, v88
	s_delay_alu instid0(VALU_DEP_1) | instskip(NEXT) | instid1(VALU_DEP_1)
	v_lshlrev_b64_e32 v[38:39], 3, v[38:39]
	v_add_co_u32 v38, vcc_lo, s44, v38
	s_wait_alu 0xfffd
	s_delay_alu instid0(VALU_DEP_2)
	v_add_co_ci_u32_e64 v39, null, s45, v39, vcc_lo
	s_wait_dscnt 0x0
	global_store_b64 v[38:39], v[36:37], off
	s_wait_alu 0xfffe
	s_or_b32 exec_lo, exec_lo, s15
	s_and_saveexec_b32 s15, s25
	s_cbranch_execz .LBB739_830
.LBB739_894:                            ;   in Loop: Header=BB739_690 Depth=2
	v_dual_mov_b32 v39, v2 :: v_dual_lshlrev_b32 v36, 2, v150
	ds_load_b32 v38, v36
	ds_load_b64 v[36:37], v108 offset:23552
	s_wait_dscnt 0x1
	v_add_nc_u32_e32 v38, v38, v89
	s_delay_alu instid0(VALU_DEP_1) | instskip(NEXT) | instid1(VALU_DEP_1)
	v_lshlrev_b64_e32 v[38:39], 3, v[38:39]
	v_add_co_u32 v38, vcc_lo, s44, v38
	s_wait_alu 0xfffd
	s_delay_alu instid0(VALU_DEP_2)
	v_add_co_ci_u32_e64 v39, null, s45, v39, vcc_lo
	s_wait_dscnt 0x0
	global_store_b64 v[38:39], v[36:37], off
	s_wait_alu 0xfffe
	s_or_b32 exec_lo, exec_lo, s15
	s_and_saveexec_b32 s15, s26
	s_cbranch_execz .LBB739_831
.LBB739_895:                            ;   in Loop: Header=BB739_690 Depth=2
	v_dual_mov_b32 v39, v2 :: v_dual_lshlrev_b32 v36, 2, v149
	ds_load_b32 v38, v36
	ds_load_b64 v[36:37], v108 offset:25600
	s_wait_dscnt 0x1
	v_add_nc_u32_e32 v38, v38, v90
	s_delay_alu instid0(VALU_DEP_1) | instskip(NEXT) | instid1(VALU_DEP_1)
	v_lshlrev_b64_e32 v[38:39], 3, v[38:39]
	v_add_co_u32 v38, vcc_lo, s44, v38
	s_wait_alu 0xfffd
	s_delay_alu instid0(VALU_DEP_2)
	v_add_co_ci_u32_e64 v39, null, s45, v39, vcc_lo
	s_wait_dscnt 0x0
	global_store_b64 v[38:39], v[36:37], off
	s_wait_alu 0xfffe
	s_or_b32 exec_lo, exec_lo, s15
	s_and_saveexec_b32 s15, s27
	s_cbranch_execz .LBB739_832
.LBB739_896:                            ;   in Loop: Header=BB739_690 Depth=2
	v_dual_mov_b32 v39, v2 :: v_dual_lshlrev_b32 v36, 2, v148
	ds_load_b32 v38, v36
	ds_load_b64 v[36:37], v108 offset:27648
	s_wait_dscnt 0x1
	v_add_nc_u32_e32 v38, v38, v91
	s_delay_alu instid0(VALU_DEP_1) | instskip(NEXT) | instid1(VALU_DEP_1)
	v_lshlrev_b64_e32 v[38:39], 3, v[38:39]
	v_add_co_u32 v38, vcc_lo, s44, v38
	s_wait_alu 0xfffd
	s_delay_alu instid0(VALU_DEP_2)
	v_add_co_ci_u32_e64 v39, null, s45, v39, vcc_lo
	s_wait_dscnt 0x0
	global_store_b64 v[38:39], v[36:37], off
	s_wait_alu 0xfffe
	s_or_b32 exec_lo, exec_lo, s15
	s_and_saveexec_b32 s15, s28
	s_cbranch_execz .LBB739_833
.LBB739_897:                            ;   in Loop: Header=BB739_690 Depth=2
	v_dual_mov_b32 v39, v2 :: v_dual_lshlrev_b32 v36, 2, v147
	ds_load_b32 v38, v36
	ds_load_b64 v[36:37], v108 offset:29696
	s_wait_dscnt 0x1
	v_add_nc_u32_e32 v38, v38, v92
	s_delay_alu instid0(VALU_DEP_1) | instskip(NEXT) | instid1(VALU_DEP_1)
	v_lshlrev_b64_e32 v[38:39], 3, v[38:39]
	v_add_co_u32 v38, vcc_lo, s44, v38
	s_wait_alu 0xfffd
	s_delay_alu instid0(VALU_DEP_2)
	v_add_co_ci_u32_e64 v39, null, s45, v39, vcc_lo
	s_wait_dscnt 0x0
	global_store_b64 v[38:39], v[36:37], off
	s_wait_alu 0xfffe
	s_or_b32 exec_lo, exec_lo, s15
	s_and_saveexec_b32 s15, s29
	s_cbranch_execnz .LBB739_834
	s_branch .LBB739_835
.LBB739_898:                            ;   in Loop: Header=BB739_20 Depth=1
	s_wait_loadcnt_dscnt 0x0
	s_barrier_signal -1
	s_mov_b32 s0, 0
	s_barrier_wait -1
.LBB739_899:                            ;   in Loop: Header=BB739_20 Depth=1
	s_wait_alu 0xfffe
	s_and_b32 vcc_lo, exec_lo, s0
	s_wait_alu 0xfffe
	s_cbranch_vccz .LBB739_19
; %bb.900:                              ;   in Loop: Header=BB739_20 Depth=1
	s_mov_b32 s8, s53
	s_mov_b32 s34, s33
	s_barrier_signal -1
	s_barrier_wait -1
	global_inv scope:SCOPE_SE
                                        ; implicit-def: $vgpr4_vgpr5
                                        ; implicit-def: $vgpr6_vgpr7
                                        ; implicit-def: $vgpr8_vgpr9
                                        ; implicit-def: $vgpr10_vgpr11
                                        ; implicit-def: $vgpr12_vgpr13
                                        ; implicit-def: $vgpr14_vgpr15
                                        ; implicit-def: $vgpr16_vgpr17
                                        ; implicit-def: $vgpr18_vgpr19
                                        ; implicit-def: $vgpr20_vgpr21
                                        ; implicit-def: $vgpr22_vgpr23
                                        ; implicit-def: $vgpr24_vgpr25
                                        ; implicit-def: $vgpr26_vgpr27
                                        ; implicit-def: $vgpr28_vgpr29
                                        ; implicit-def: $vgpr30_vgpr31
                                        ; implicit-def: $vgpr32_vgpr33
                                        ; implicit-def: $vgpr34_vgpr35
	s_branch .LBB739_902
.LBB739_901:                            ;   in Loop: Header=BB739_902 Depth=2
	s_wait_alu 0xfffe
	s_or_b32 exec_lo, exec_lo, s0
	s_addk_co_i32 s8, 0xf000
	s_cmp_ge_u32 s9, s51
	s_mov_b32 s34, s9
	s_cbranch_scc1 .LBB739_970
.LBB739_902:                            ;   Parent Loop BB739_20 Depth=1
                                        ; =>  This Inner Loop Header: Depth=2
	s_wait_alu 0xfffe
	s_add_co_i32 s9, s34, 0x1000
	s_mov_b32 s0, -1
	s_wait_alu 0xfffe
	s_cmp_gt_u32 s9, s51
                                        ; implicit-def: $vgpr36_vgpr37
                                        ; implicit-def: $vgpr38_vgpr39
                                        ; implicit-def: $vgpr40_vgpr41
                                        ; implicit-def: $vgpr42_vgpr43
                                        ; implicit-def: $vgpr44_vgpr45
                                        ; implicit-def: $vgpr46_vgpr47
                                        ; implicit-def: $vgpr48_vgpr49
                                        ; implicit-def: $vgpr50_vgpr51
                                        ; implicit-def: $vgpr52_vgpr53
                                        ; implicit-def: $vgpr54_vgpr55
                                        ; implicit-def: $vgpr56_vgpr57
                                        ; implicit-def: $vgpr58_vgpr59
                                        ; implicit-def: $vgpr60_vgpr61
                                        ; implicit-def: $vgpr62_vgpr63
                                        ; implicit-def: $vgpr64_vgpr65
                                        ; implicit-def: $vgpr66_vgpr67
	s_cbranch_scc1 .LBB739_904
; %bb.903:                              ;   in Loop: Header=BB739_902 Depth=2
	s_lshl_b64 s[0:1], s[34:35], 3
	s_wait_alu 0xfffe
	v_add_co_u32 v66, vcc_lo, v115, s0
	s_wait_alu 0xfffd
	v_add_co_ci_u32_e64 v67, null, s1, v116, vcc_lo
	s_mov_b32 s0, 0
	s_clause 0xf
	global_load_b64 v[36:37], v[66:67], off
	global_load_b64 v[38:39], v[66:67], off offset:2048
	global_load_b64 v[40:41], v[66:67], off offset:4096
	global_load_b64 v[42:43], v[66:67], off offset:6144
	global_load_b64 v[44:45], v[66:67], off offset:8192
	global_load_b64 v[46:47], v[66:67], off offset:10240
	global_load_b64 v[48:49], v[66:67], off offset:12288
	global_load_b64 v[50:51], v[66:67], off offset:14336
	global_load_b64 v[52:53], v[66:67], off offset:16384
	global_load_b64 v[54:55], v[66:67], off offset:18432
	global_load_b64 v[56:57], v[66:67], off offset:20480
	global_load_b64 v[58:59], v[66:67], off offset:22528
	global_load_b64 v[60:61], v[66:67], off offset:24576
	global_load_b64 v[62:63], v[66:67], off offset:26624
	global_load_b64 v[64:65], v[66:67], off offset:28672
	global_load_b64 v[66:67], v[66:67], off offset:30720
.LBB739_904:                            ;   in Loop: Header=BB739_902 Depth=2
	s_wait_alu 0xfffe
	s_and_not1_b32 vcc_lo, exec_lo, s0
	s_movk_i32 s0, 0x1000
	s_wait_alu 0xfffe
	s_cbranch_vccnz .LBB739_923
; %bb.905:                              ;   in Loop: Header=BB739_902 Depth=2
	s_lshl_b64 s[0:1], s[34:35], 3
	s_mov_b32 s10, exec_lo
	s_wait_alu 0xfffe
	s_add_nc_u64 s[0:1], s[36:37], s[0:1]
	v_cmpx_gt_u32_e64 s8, v1
	s_cbranch_execnz .LBB739_955
; %bb.906:                              ;   in Loop: Header=BB739_902 Depth=2
	s_or_b32 exec_lo, exec_lo, s10
	s_delay_alu instid0(SALU_CYCLE_1)
	s_mov_b32 s10, exec_lo
	v_cmpx_gt_u32_e64 s8, v77
	s_cbranch_execnz .LBB739_956
.LBB739_907:                            ;   in Loop: Header=BB739_902 Depth=2
	s_wait_alu 0xfffe
	s_or_b32 exec_lo, exec_lo, s10
	s_delay_alu instid0(SALU_CYCLE_1)
	s_mov_b32 s10, exec_lo
	v_cmpx_gt_u32_e64 s8, v78
	s_cbranch_execnz .LBB739_957
.LBB739_908:                            ;   in Loop: Header=BB739_902 Depth=2
	s_wait_alu 0xfffe
	s_or_b32 exec_lo, exec_lo, s10
	s_delay_alu instid0(SALU_CYCLE_1)
	s_mov_b32 s10, exec_lo
	v_cmpx_gt_u32_e64 s8, v79
	s_cbranch_execnz .LBB739_958
.LBB739_909:                            ;   in Loop: Header=BB739_902 Depth=2
	s_wait_alu 0xfffe
	s_or_b32 exec_lo, exec_lo, s10
	s_delay_alu instid0(SALU_CYCLE_1)
	s_mov_b32 s10, exec_lo
	v_cmpx_gt_u32_e64 s8, v82
	s_cbranch_execnz .LBB739_959
.LBB739_910:                            ;   in Loop: Header=BB739_902 Depth=2
	s_wait_alu 0xfffe
	s_or_b32 exec_lo, exec_lo, s10
	s_delay_alu instid0(SALU_CYCLE_1)
	s_mov_b32 s10, exec_lo
	v_cmpx_gt_u32_e64 s8, v83
	s_cbranch_execnz .LBB739_960
.LBB739_911:                            ;   in Loop: Header=BB739_902 Depth=2
	s_wait_alu 0xfffe
	s_or_b32 exec_lo, exec_lo, s10
	s_delay_alu instid0(SALU_CYCLE_1)
	s_mov_b32 s10, exec_lo
	v_cmpx_gt_u32_e64 s8, v84
	s_cbranch_execnz .LBB739_961
.LBB739_912:                            ;   in Loop: Header=BB739_902 Depth=2
	s_wait_alu 0xfffe
	s_or_b32 exec_lo, exec_lo, s10
	s_delay_alu instid0(SALU_CYCLE_1)
	s_mov_b32 s10, exec_lo
	v_cmpx_gt_u32_e64 s8, v85
	s_cbranch_execnz .LBB739_962
.LBB739_913:                            ;   in Loop: Header=BB739_902 Depth=2
	s_wait_alu 0xfffe
	s_or_b32 exec_lo, exec_lo, s10
	s_delay_alu instid0(SALU_CYCLE_1)
	s_mov_b32 s10, exec_lo
	v_cmpx_gt_u32_e64 s8, v86
	s_cbranch_execnz .LBB739_963
.LBB739_914:                            ;   in Loop: Header=BB739_902 Depth=2
	s_wait_alu 0xfffe
	s_or_b32 exec_lo, exec_lo, s10
	s_delay_alu instid0(SALU_CYCLE_1)
	s_mov_b32 s10, exec_lo
	v_cmpx_gt_u32_e64 s8, v87
	s_cbranch_execnz .LBB739_964
.LBB739_915:                            ;   in Loop: Header=BB739_902 Depth=2
	s_wait_alu 0xfffe
	s_or_b32 exec_lo, exec_lo, s10
	s_delay_alu instid0(SALU_CYCLE_1)
	s_mov_b32 s10, exec_lo
	v_cmpx_gt_u32_e64 s8, v88
	s_cbranch_execnz .LBB739_965
.LBB739_916:                            ;   in Loop: Header=BB739_902 Depth=2
	s_wait_alu 0xfffe
	s_or_b32 exec_lo, exec_lo, s10
	s_delay_alu instid0(SALU_CYCLE_1)
	s_mov_b32 s10, exec_lo
	v_cmpx_gt_u32_e64 s8, v89
	s_cbranch_execnz .LBB739_966
.LBB739_917:                            ;   in Loop: Header=BB739_902 Depth=2
	s_wait_alu 0xfffe
	s_or_b32 exec_lo, exec_lo, s10
	s_delay_alu instid0(SALU_CYCLE_1)
	s_mov_b32 s10, exec_lo
	v_cmpx_gt_u32_e64 s8, v90
	s_cbranch_execnz .LBB739_967
.LBB739_918:                            ;   in Loop: Header=BB739_902 Depth=2
	s_wait_alu 0xfffe
	s_or_b32 exec_lo, exec_lo, s10
	s_delay_alu instid0(SALU_CYCLE_1)
	s_mov_b32 s10, exec_lo
	v_cmpx_gt_u32_e64 s8, v91
	s_cbranch_execnz .LBB739_968
.LBB739_919:                            ;   in Loop: Header=BB739_902 Depth=2
	s_wait_alu 0xfffe
	s_or_b32 exec_lo, exec_lo, s10
	s_delay_alu instid0(SALU_CYCLE_1)
	s_mov_b32 s10, exec_lo
	v_cmpx_gt_u32_e64 s8, v92
	s_cbranch_execnz .LBB739_969
.LBB739_920:                            ;   in Loop: Header=BB739_902 Depth=2
	s_wait_alu 0xfffe
	s_or_b32 exec_lo, exec_lo, s10
	s_delay_alu instid0(SALU_CYCLE_1)
	s_mov_b32 s10, exec_lo
	v_cmpx_gt_u32_e64 s8, v93
	s_cbranch_execz .LBB739_922
.LBB739_921:                            ;   in Loop: Header=BB739_902 Depth=2
	global_load_b64 v[4:5], v122, s[0:1] offset:30720
.LBB739_922:                            ;   in Loop: Header=BB739_902 Depth=2
	s_wait_alu 0xfffe
	s_or_b32 exec_lo, exec_lo, s10
	s_wait_loadcnt 0x0
	v_dual_mov_b32 v37, v35 :: v_dual_mov_b32 v36, v34
	v_dual_mov_b32 v39, v33 :: v_dual_mov_b32 v38, v32
	;; [unrolled: 1-line block ×16, first 2 shown]
	s_mov_b32 s0, s8
.LBB739_923:                            ;   in Loop: Header=BB739_902 Depth=2
	s_wait_loadcnt 0x0
	s_delay_alu instid0(VALU_DEP_1)
	v_dual_mov_b32 v4, v66 :: v_dual_mov_b32 v5, v67
	v_dual_mov_b32 v6, v64 :: v_dual_mov_b32 v7, v65
	;; [unrolled: 1-line block ×16, first 2 shown]
	s_mov_b32 s1, exec_lo
	s_wait_alu 0xfffe
	v_cmpx_gt_u32_e64 s0, v1
	s_cbranch_execnz .LBB739_939
; %bb.924:                              ;   in Loop: Header=BB739_902 Depth=2
	s_or_b32 exec_lo, exec_lo, s1
	s_delay_alu instid0(SALU_CYCLE_1)
	s_mov_b32 s1, exec_lo
	v_cmpx_gt_u32_e64 s0, v77
	s_cbranch_execnz .LBB739_940
.LBB739_925:                            ;   in Loop: Header=BB739_902 Depth=2
	s_wait_alu 0xfffe
	s_or_b32 exec_lo, exec_lo, s1
	s_delay_alu instid0(SALU_CYCLE_1)
	s_mov_b32 s1, exec_lo
	v_cmpx_gt_u32_e64 s0, v78
	s_cbranch_execnz .LBB739_941
.LBB739_926:                            ;   in Loop: Header=BB739_902 Depth=2
	s_wait_alu 0xfffe
	s_or_b32 exec_lo, exec_lo, s1
	s_delay_alu instid0(SALU_CYCLE_1)
	s_mov_b32 s1, exec_lo
	v_cmpx_gt_u32_e64 s0, v79
	s_cbranch_execnz .LBB739_942
.LBB739_927:                            ;   in Loop: Header=BB739_902 Depth=2
	s_wait_alu 0xfffe
	s_or_b32 exec_lo, exec_lo, s1
	s_delay_alu instid0(SALU_CYCLE_1)
	s_mov_b32 s1, exec_lo
	v_cmpx_gt_u32_e64 s0, v82
	s_cbranch_execnz .LBB739_943
.LBB739_928:                            ;   in Loop: Header=BB739_902 Depth=2
	s_wait_alu 0xfffe
	s_or_b32 exec_lo, exec_lo, s1
	s_delay_alu instid0(SALU_CYCLE_1)
	s_mov_b32 s1, exec_lo
	v_cmpx_gt_u32_e64 s0, v83
	s_cbranch_execnz .LBB739_944
.LBB739_929:                            ;   in Loop: Header=BB739_902 Depth=2
	s_wait_alu 0xfffe
	s_or_b32 exec_lo, exec_lo, s1
	s_delay_alu instid0(SALU_CYCLE_1)
	s_mov_b32 s1, exec_lo
	v_cmpx_gt_u32_e64 s0, v84
	s_cbranch_execnz .LBB739_945
.LBB739_930:                            ;   in Loop: Header=BB739_902 Depth=2
	s_wait_alu 0xfffe
	s_or_b32 exec_lo, exec_lo, s1
	s_delay_alu instid0(SALU_CYCLE_1)
	s_mov_b32 s1, exec_lo
	v_cmpx_gt_u32_e64 s0, v85
	s_cbranch_execnz .LBB739_946
.LBB739_931:                            ;   in Loop: Header=BB739_902 Depth=2
	s_wait_alu 0xfffe
	s_or_b32 exec_lo, exec_lo, s1
	s_delay_alu instid0(SALU_CYCLE_1)
	s_mov_b32 s1, exec_lo
	v_cmpx_gt_u32_e64 s0, v86
	s_cbranch_execnz .LBB739_947
.LBB739_932:                            ;   in Loop: Header=BB739_902 Depth=2
	s_wait_alu 0xfffe
	s_or_b32 exec_lo, exec_lo, s1
	s_delay_alu instid0(SALU_CYCLE_1)
	s_mov_b32 s1, exec_lo
	v_cmpx_gt_u32_e64 s0, v87
	s_cbranch_execnz .LBB739_948
.LBB739_933:                            ;   in Loop: Header=BB739_902 Depth=2
	s_wait_alu 0xfffe
	s_or_b32 exec_lo, exec_lo, s1
	s_delay_alu instid0(SALU_CYCLE_1)
	s_mov_b32 s1, exec_lo
	v_cmpx_gt_u32_e64 s0, v88
	s_cbranch_execnz .LBB739_949
.LBB739_934:                            ;   in Loop: Header=BB739_902 Depth=2
	s_wait_alu 0xfffe
	s_or_b32 exec_lo, exec_lo, s1
	s_delay_alu instid0(SALU_CYCLE_1)
	s_mov_b32 s1, exec_lo
	v_cmpx_gt_u32_e64 s0, v89
	s_cbranch_execnz .LBB739_950
.LBB739_935:                            ;   in Loop: Header=BB739_902 Depth=2
	s_wait_alu 0xfffe
	s_or_b32 exec_lo, exec_lo, s1
	s_delay_alu instid0(SALU_CYCLE_1)
	s_mov_b32 s1, exec_lo
	v_cmpx_gt_u32_e64 s0, v90
	s_cbranch_execnz .LBB739_951
.LBB739_936:                            ;   in Loop: Header=BB739_902 Depth=2
	s_wait_alu 0xfffe
	s_or_b32 exec_lo, exec_lo, s1
	s_delay_alu instid0(SALU_CYCLE_1)
	s_mov_b32 s1, exec_lo
	v_cmpx_gt_u32_e64 s0, v91
	s_cbranch_execnz .LBB739_952
.LBB739_937:                            ;   in Loop: Header=BB739_902 Depth=2
	s_wait_alu 0xfffe
	s_or_b32 exec_lo, exec_lo, s1
	s_delay_alu instid0(SALU_CYCLE_1)
	s_mov_b32 s1, exec_lo
	v_cmpx_gt_u32_e64 s0, v92
	s_cbranch_execnz .LBB739_953
.LBB739_938:                            ;   in Loop: Header=BB739_902 Depth=2
	s_wait_alu 0xfffe
	s_or_b32 exec_lo, exec_lo, s1
	v_cmp_gt_u32_e32 vcc_lo, s0, v93
	s_and_saveexec_b32 s0, vcc_lo
	s_cbranch_execz .LBB739_901
	s_branch .LBB739_954
.LBB739_939:                            ;   in Loop: Header=BB739_902 Depth=2
	v_xor_b32_e32 v37, 0x7fffffff, v35
	v_not_b32_e32 v36, v34
	s_delay_alu instid0(VALU_DEP_1) | instskip(NEXT) | instid1(VALU_DEP_1)
	v_lshrrev_b64 v[36:37], s31, v[36:37]
	v_and_b32_e32 v36, s54, v36
	s_delay_alu instid0(VALU_DEP_1) | instskip(SKIP_2) | instid1(SALU_CYCLE_1)
	v_lshl_or_b32 v36, v36, 4, v94
	ds_add_u32 v36, v121
	s_or_b32 exec_lo, exec_lo, s1
	s_mov_b32 s1, exec_lo
	v_cmpx_gt_u32_e64 s0, v77
	s_cbranch_execz .LBB739_925
.LBB739_940:                            ;   in Loop: Header=BB739_902 Depth=2
	v_xor_b32_e32 v37, 0x7fffffff, v33
	v_not_b32_e32 v36, v32
	s_delay_alu instid0(VALU_DEP_1) | instskip(NEXT) | instid1(VALU_DEP_1)
	v_lshrrev_b64 v[36:37], s31, v[36:37]
	v_and_b32_e32 v36, s54, v36
	s_delay_alu instid0(VALU_DEP_1) | instskip(SKIP_3) | instid1(SALU_CYCLE_1)
	v_lshl_or_b32 v36, v36, 4, v94
	ds_add_u32 v36, v121
	s_wait_alu 0xfffe
	s_or_b32 exec_lo, exec_lo, s1
	s_mov_b32 s1, exec_lo
	v_cmpx_gt_u32_e64 s0, v78
	s_cbranch_execz .LBB739_926
.LBB739_941:                            ;   in Loop: Header=BB739_902 Depth=2
	v_xor_b32_e32 v37, 0x7fffffff, v31
	v_not_b32_e32 v36, v30
	s_delay_alu instid0(VALU_DEP_1) | instskip(NEXT) | instid1(VALU_DEP_1)
	v_lshrrev_b64 v[36:37], s31, v[36:37]
	v_and_b32_e32 v36, s54, v36
	s_delay_alu instid0(VALU_DEP_1) | instskip(SKIP_3) | instid1(SALU_CYCLE_1)
	v_lshl_or_b32 v36, v36, 4, v94
	ds_add_u32 v36, v121
	s_wait_alu 0xfffe
	s_or_b32 exec_lo, exec_lo, s1
	s_mov_b32 s1, exec_lo
	v_cmpx_gt_u32_e64 s0, v79
	s_cbranch_execz .LBB739_927
.LBB739_942:                            ;   in Loop: Header=BB739_902 Depth=2
	v_xor_b32_e32 v37, 0x7fffffff, v29
	v_not_b32_e32 v36, v28
	s_delay_alu instid0(VALU_DEP_1) | instskip(NEXT) | instid1(VALU_DEP_1)
	v_lshrrev_b64 v[36:37], s31, v[36:37]
	v_and_b32_e32 v36, s54, v36
	s_delay_alu instid0(VALU_DEP_1) | instskip(SKIP_3) | instid1(SALU_CYCLE_1)
	v_lshl_or_b32 v36, v36, 4, v94
	ds_add_u32 v36, v121
	s_wait_alu 0xfffe
	s_or_b32 exec_lo, exec_lo, s1
	s_mov_b32 s1, exec_lo
	v_cmpx_gt_u32_e64 s0, v82
	s_cbranch_execz .LBB739_928
.LBB739_943:                            ;   in Loop: Header=BB739_902 Depth=2
	v_xor_b32_e32 v37, 0x7fffffff, v27
	v_not_b32_e32 v36, v26
	s_delay_alu instid0(VALU_DEP_1) | instskip(NEXT) | instid1(VALU_DEP_1)
	v_lshrrev_b64 v[36:37], s31, v[36:37]
	v_and_b32_e32 v36, s54, v36
	s_delay_alu instid0(VALU_DEP_1) | instskip(SKIP_3) | instid1(SALU_CYCLE_1)
	v_lshl_or_b32 v36, v36, 4, v94
	ds_add_u32 v36, v121
	s_wait_alu 0xfffe
	s_or_b32 exec_lo, exec_lo, s1
	s_mov_b32 s1, exec_lo
	v_cmpx_gt_u32_e64 s0, v83
	s_cbranch_execz .LBB739_929
.LBB739_944:                            ;   in Loop: Header=BB739_902 Depth=2
	v_xor_b32_e32 v37, 0x7fffffff, v25
	v_not_b32_e32 v36, v24
	s_delay_alu instid0(VALU_DEP_1) | instskip(NEXT) | instid1(VALU_DEP_1)
	v_lshrrev_b64 v[36:37], s31, v[36:37]
	v_and_b32_e32 v36, s54, v36
	s_delay_alu instid0(VALU_DEP_1) | instskip(SKIP_3) | instid1(SALU_CYCLE_1)
	v_lshl_or_b32 v36, v36, 4, v94
	ds_add_u32 v36, v121
	s_wait_alu 0xfffe
	s_or_b32 exec_lo, exec_lo, s1
	s_mov_b32 s1, exec_lo
	v_cmpx_gt_u32_e64 s0, v84
	s_cbranch_execz .LBB739_930
.LBB739_945:                            ;   in Loop: Header=BB739_902 Depth=2
	v_xor_b32_e32 v37, 0x7fffffff, v23
	v_not_b32_e32 v36, v22
	s_delay_alu instid0(VALU_DEP_1) | instskip(NEXT) | instid1(VALU_DEP_1)
	v_lshrrev_b64 v[36:37], s31, v[36:37]
	v_and_b32_e32 v36, s54, v36
	s_delay_alu instid0(VALU_DEP_1) | instskip(SKIP_3) | instid1(SALU_CYCLE_1)
	v_lshl_or_b32 v36, v36, 4, v94
	ds_add_u32 v36, v121
	s_wait_alu 0xfffe
	s_or_b32 exec_lo, exec_lo, s1
	s_mov_b32 s1, exec_lo
	v_cmpx_gt_u32_e64 s0, v85
	s_cbranch_execz .LBB739_931
.LBB739_946:                            ;   in Loop: Header=BB739_902 Depth=2
	v_xor_b32_e32 v37, 0x7fffffff, v21
	v_not_b32_e32 v36, v20
	s_delay_alu instid0(VALU_DEP_1) | instskip(NEXT) | instid1(VALU_DEP_1)
	v_lshrrev_b64 v[36:37], s31, v[36:37]
	v_and_b32_e32 v36, s54, v36
	s_delay_alu instid0(VALU_DEP_1) | instskip(SKIP_3) | instid1(SALU_CYCLE_1)
	v_lshl_or_b32 v36, v36, 4, v94
	ds_add_u32 v36, v121
	s_wait_alu 0xfffe
	s_or_b32 exec_lo, exec_lo, s1
	s_mov_b32 s1, exec_lo
	v_cmpx_gt_u32_e64 s0, v86
	s_cbranch_execz .LBB739_932
.LBB739_947:                            ;   in Loop: Header=BB739_902 Depth=2
	v_xor_b32_e32 v37, 0x7fffffff, v19
	v_not_b32_e32 v36, v18
	s_delay_alu instid0(VALU_DEP_1) | instskip(NEXT) | instid1(VALU_DEP_1)
	v_lshrrev_b64 v[36:37], s31, v[36:37]
	v_and_b32_e32 v36, s54, v36
	s_delay_alu instid0(VALU_DEP_1) | instskip(SKIP_3) | instid1(SALU_CYCLE_1)
	v_lshl_or_b32 v36, v36, 4, v94
	ds_add_u32 v36, v121
	s_wait_alu 0xfffe
	s_or_b32 exec_lo, exec_lo, s1
	s_mov_b32 s1, exec_lo
	v_cmpx_gt_u32_e64 s0, v87
	s_cbranch_execz .LBB739_933
.LBB739_948:                            ;   in Loop: Header=BB739_902 Depth=2
	v_xor_b32_e32 v37, 0x7fffffff, v17
	v_not_b32_e32 v36, v16
	s_delay_alu instid0(VALU_DEP_1) | instskip(NEXT) | instid1(VALU_DEP_1)
	v_lshrrev_b64 v[36:37], s31, v[36:37]
	v_and_b32_e32 v36, s54, v36
	s_delay_alu instid0(VALU_DEP_1) | instskip(SKIP_3) | instid1(SALU_CYCLE_1)
	v_lshl_or_b32 v36, v36, 4, v94
	ds_add_u32 v36, v121
	s_wait_alu 0xfffe
	s_or_b32 exec_lo, exec_lo, s1
	s_mov_b32 s1, exec_lo
	v_cmpx_gt_u32_e64 s0, v88
	s_cbranch_execz .LBB739_934
.LBB739_949:                            ;   in Loop: Header=BB739_902 Depth=2
	v_xor_b32_e32 v37, 0x7fffffff, v15
	v_not_b32_e32 v36, v14
	s_delay_alu instid0(VALU_DEP_1) | instskip(NEXT) | instid1(VALU_DEP_1)
	v_lshrrev_b64 v[36:37], s31, v[36:37]
	v_and_b32_e32 v36, s54, v36
	s_delay_alu instid0(VALU_DEP_1) | instskip(SKIP_3) | instid1(SALU_CYCLE_1)
	v_lshl_or_b32 v36, v36, 4, v94
	ds_add_u32 v36, v121
	s_wait_alu 0xfffe
	s_or_b32 exec_lo, exec_lo, s1
	s_mov_b32 s1, exec_lo
	v_cmpx_gt_u32_e64 s0, v89
	s_cbranch_execz .LBB739_935
.LBB739_950:                            ;   in Loop: Header=BB739_902 Depth=2
	v_xor_b32_e32 v37, 0x7fffffff, v13
	v_not_b32_e32 v36, v12
	s_delay_alu instid0(VALU_DEP_1) | instskip(NEXT) | instid1(VALU_DEP_1)
	v_lshrrev_b64 v[36:37], s31, v[36:37]
	v_and_b32_e32 v36, s54, v36
	s_delay_alu instid0(VALU_DEP_1) | instskip(SKIP_3) | instid1(SALU_CYCLE_1)
	v_lshl_or_b32 v36, v36, 4, v94
	ds_add_u32 v36, v121
	s_wait_alu 0xfffe
	s_or_b32 exec_lo, exec_lo, s1
	s_mov_b32 s1, exec_lo
	v_cmpx_gt_u32_e64 s0, v90
	s_cbranch_execz .LBB739_936
.LBB739_951:                            ;   in Loop: Header=BB739_902 Depth=2
	v_xor_b32_e32 v37, 0x7fffffff, v11
	v_not_b32_e32 v36, v10
	s_delay_alu instid0(VALU_DEP_1) | instskip(NEXT) | instid1(VALU_DEP_1)
	v_lshrrev_b64 v[36:37], s31, v[36:37]
	v_and_b32_e32 v36, s54, v36
	s_delay_alu instid0(VALU_DEP_1) | instskip(SKIP_3) | instid1(SALU_CYCLE_1)
	v_lshl_or_b32 v36, v36, 4, v94
	ds_add_u32 v36, v121
	s_wait_alu 0xfffe
	s_or_b32 exec_lo, exec_lo, s1
	s_mov_b32 s1, exec_lo
	v_cmpx_gt_u32_e64 s0, v91
	s_cbranch_execz .LBB739_937
.LBB739_952:                            ;   in Loop: Header=BB739_902 Depth=2
	v_xor_b32_e32 v37, 0x7fffffff, v9
	v_not_b32_e32 v36, v8
	s_delay_alu instid0(VALU_DEP_1) | instskip(NEXT) | instid1(VALU_DEP_1)
	v_lshrrev_b64 v[36:37], s31, v[36:37]
	v_and_b32_e32 v36, s54, v36
	s_delay_alu instid0(VALU_DEP_1) | instskip(SKIP_3) | instid1(SALU_CYCLE_1)
	v_lshl_or_b32 v36, v36, 4, v94
	ds_add_u32 v36, v121
	s_wait_alu 0xfffe
	s_or_b32 exec_lo, exec_lo, s1
	s_mov_b32 s1, exec_lo
	v_cmpx_gt_u32_e64 s0, v92
	s_cbranch_execz .LBB739_938
.LBB739_953:                            ;   in Loop: Header=BB739_902 Depth=2
	v_xor_b32_e32 v37, 0x7fffffff, v7
	v_not_b32_e32 v36, v6
	s_delay_alu instid0(VALU_DEP_1) | instskip(NEXT) | instid1(VALU_DEP_1)
	v_lshrrev_b64 v[36:37], s31, v[36:37]
	v_and_b32_e32 v36, s54, v36
	s_delay_alu instid0(VALU_DEP_1)
	v_lshl_or_b32 v36, v36, 4, v94
	ds_add_u32 v36, v121
	s_wait_alu 0xfffe
	s_or_b32 exec_lo, exec_lo, s1
	v_cmp_gt_u32_e32 vcc_lo, s0, v93
	s_and_saveexec_b32 s0, vcc_lo
	s_cbranch_execz .LBB739_901
.LBB739_954:                            ;   in Loop: Header=BB739_902 Depth=2
	v_xor_b32_e32 v37, 0x7fffffff, v5
	v_not_b32_e32 v36, v4
	s_delay_alu instid0(VALU_DEP_1) | instskip(NEXT) | instid1(VALU_DEP_1)
	v_lshrrev_b64 v[36:37], s31, v[36:37]
	v_and_b32_e32 v36, s54, v36
	s_delay_alu instid0(VALU_DEP_1)
	v_lshl_or_b32 v36, v36, 4, v94
	ds_add_u32 v36, v121
	s_branch .LBB739_901
.LBB739_955:                            ;   in Loop: Header=BB739_902 Depth=2
	global_load_b64 v[34:35], v122, s[0:1]
	s_or_b32 exec_lo, exec_lo, s10
	s_delay_alu instid0(SALU_CYCLE_1)
	s_mov_b32 s10, exec_lo
	v_cmpx_gt_u32_e64 s8, v77
	s_cbranch_execz .LBB739_907
.LBB739_956:                            ;   in Loop: Header=BB739_902 Depth=2
	global_load_b64 v[32:33], v122, s[0:1] offset:2048
	s_wait_alu 0xfffe
	s_or_b32 exec_lo, exec_lo, s10
	s_delay_alu instid0(SALU_CYCLE_1)
	s_mov_b32 s10, exec_lo
	v_cmpx_gt_u32_e64 s8, v78
	s_cbranch_execz .LBB739_908
.LBB739_957:                            ;   in Loop: Header=BB739_902 Depth=2
	global_load_b64 v[30:31], v122, s[0:1] offset:4096
	s_wait_alu 0xfffe
	s_or_b32 exec_lo, exec_lo, s10
	s_delay_alu instid0(SALU_CYCLE_1)
	s_mov_b32 s10, exec_lo
	v_cmpx_gt_u32_e64 s8, v79
	s_cbranch_execz .LBB739_909
.LBB739_958:                            ;   in Loop: Header=BB739_902 Depth=2
	global_load_b64 v[28:29], v122, s[0:1] offset:6144
	s_wait_alu 0xfffe
	s_or_b32 exec_lo, exec_lo, s10
	s_delay_alu instid0(SALU_CYCLE_1)
	s_mov_b32 s10, exec_lo
	v_cmpx_gt_u32_e64 s8, v82
	s_cbranch_execz .LBB739_910
.LBB739_959:                            ;   in Loop: Header=BB739_902 Depth=2
	global_load_b64 v[26:27], v122, s[0:1] offset:8192
	s_wait_alu 0xfffe
	s_or_b32 exec_lo, exec_lo, s10
	s_delay_alu instid0(SALU_CYCLE_1)
	s_mov_b32 s10, exec_lo
	v_cmpx_gt_u32_e64 s8, v83
	s_cbranch_execz .LBB739_911
.LBB739_960:                            ;   in Loop: Header=BB739_902 Depth=2
	global_load_b64 v[24:25], v122, s[0:1] offset:10240
	s_wait_alu 0xfffe
	s_or_b32 exec_lo, exec_lo, s10
	s_delay_alu instid0(SALU_CYCLE_1)
	s_mov_b32 s10, exec_lo
	v_cmpx_gt_u32_e64 s8, v84
	s_cbranch_execz .LBB739_912
.LBB739_961:                            ;   in Loop: Header=BB739_902 Depth=2
	global_load_b64 v[22:23], v122, s[0:1] offset:12288
	s_wait_alu 0xfffe
	s_or_b32 exec_lo, exec_lo, s10
	s_delay_alu instid0(SALU_CYCLE_1)
	s_mov_b32 s10, exec_lo
	v_cmpx_gt_u32_e64 s8, v85
	s_cbranch_execz .LBB739_913
.LBB739_962:                            ;   in Loop: Header=BB739_902 Depth=2
	global_load_b64 v[20:21], v122, s[0:1] offset:14336
	s_wait_alu 0xfffe
	s_or_b32 exec_lo, exec_lo, s10
	s_delay_alu instid0(SALU_CYCLE_1)
	s_mov_b32 s10, exec_lo
	v_cmpx_gt_u32_e64 s8, v86
	s_cbranch_execz .LBB739_914
.LBB739_963:                            ;   in Loop: Header=BB739_902 Depth=2
	global_load_b64 v[18:19], v122, s[0:1] offset:16384
	s_wait_alu 0xfffe
	s_or_b32 exec_lo, exec_lo, s10
	s_delay_alu instid0(SALU_CYCLE_1)
	s_mov_b32 s10, exec_lo
	v_cmpx_gt_u32_e64 s8, v87
	s_cbranch_execz .LBB739_915
.LBB739_964:                            ;   in Loop: Header=BB739_902 Depth=2
	global_load_b64 v[16:17], v122, s[0:1] offset:18432
	s_wait_alu 0xfffe
	s_or_b32 exec_lo, exec_lo, s10
	s_delay_alu instid0(SALU_CYCLE_1)
	s_mov_b32 s10, exec_lo
	v_cmpx_gt_u32_e64 s8, v88
	s_cbranch_execz .LBB739_916
.LBB739_965:                            ;   in Loop: Header=BB739_902 Depth=2
	global_load_b64 v[14:15], v122, s[0:1] offset:20480
	s_wait_alu 0xfffe
	s_or_b32 exec_lo, exec_lo, s10
	s_delay_alu instid0(SALU_CYCLE_1)
	s_mov_b32 s10, exec_lo
	v_cmpx_gt_u32_e64 s8, v89
	s_cbranch_execz .LBB739_917
.LBB739_966:                            ;   in Loop: Header=BB739_902 Depth=2
	global_load_b64 v[12:13], v122, s[0:1] offset:22528
	s_wait_alu 0xfffe
	s_or_b32 exec_lo, exec_lo, s10
	s_delay_alu instid0(SALU_CYCLE_1)
	s_mov_b32 s10, exec_lo
	v_cmpx_gt_u32_e64 s8, v90
	s_cbranch_execz .LBB739_918
.LBB739_967:                            ;   in Loop: Header=BB739_902 Depth=2
	global_load_b64 v[10:11], v122, s[0:1] offset:24576
	s_wait_alu 0xfffe
	s_or_b32 exec_lo, exec_lo, s10
	s_delay_alu instid0(SALU_CYCLE_1)
	s_mov_b32 s10, exec_lo
	v_cmpx_gt_u32_e64 s8, v91
	s_cbranch_execz .LBB739_919
.LBB739_968:                            ;   in Loop: Header=BB739_902 Depth=2
	global_load_b64 v[8:9], v122, s[0:1] offset:26624
	s_wait_alu 0xfffe
	s_or_b32 exec_lo, exec_lo, s10
	s_delay_alu instid0(SALU_CYCLE_1)
	s_mov_b32 s10, exec_lo
	v_cmpx_gt_u32_e64 s8, v92
	s_cbranch_execz .LBB739_920
.LBB739_969:                            ;   in Loop: Header=BB739_902 Depth=2
	global_load_b64 v[6:7], v122, s[0:1] offset:28672
	s_wait_alu 0xfffe
	s_or_b32 exec_lo, exec_lo, s10
	s_delay_alu instid0(SALU_CYCLE_1)
	s_mov_b32 s10, exec_lo
	v_cmpx_gt_u32_e64 s8, v93
	s_cbranch_execnz .LBB739_921
	s_branch .LBB739_922
.LBB739_970:                            ;   in Loop: Header=BB739_20 Depth=1
	v_mov_b32_e32 v4, 0
	s_wait_dscnt 0x0
	s_barrier_signal -1
	s_barrier_wait -1
	global_inv scope:SCOPE_SE
	s_and_saveexec_b32 s0, s2
	s_cbranch_execz .LBB739_972
; %bb.971:                              ;   in Loop: Header=BB739_20 Depth=1
	ds_load_2addr_b64 v[4:7], v96 offset1:1
	s_wait_dscnt 0x0
	v_add_nc_u32_e32 v4, v5, v4
	s_delay_alu instid0(VALU_DEP_1)
	v_add3_u32 v4, v4, v6, v7
.LBB739_972:                            ;   in Loop: Header=BB739_20 Depth=1
	s_wait_alu 0xfffe
	s_or_b32 exec_lo, exec_lo, s0
	v_and_b32_e32 v5, 15, v123
	s_delay_alu instid0(VALU_DEP_2) | instskip(SKIP_1) | instid1(VALU_DEP_3)
	v_mov_b32_dpp v6, v4 row_shr:1 row_mask:0xf bank_mask:0xf
	v_and_b32_e32 v7, 16, v123
	v_cmp_eq_u32_e64 s0, 0, v5
	v_cmp_lt_u32_e64 s1, 1, v5
	v_cmp_lt_u32_e64 s8, 3, v5
	;; [unrolled: 1-line block ×3, first 2 shown]
	v_cmp_eq_u32_e64 s10, 0, v7
	s_wait_alu 0xf1ff
	v_cndmask_b32_e64 v6, v6, 0, s0
	s_delay_alu instid0(VALU_DEP_1) | instskip(NEXT) | instid1(VALU_DEP_1)
	v_add_nc_u32_e32 v4, v6, v4
	v_mov_b32_dpp v6, v4 row_shr:2 row_mask:0xf bank_mask:0xf
	s_delay_alu instid0(VALU_DEP_1) | instskip(NEXT) | instid1(VALU_DEP_1)
	v_cndmask_b32_e64 v6, 0, v6, s1
	v_add_nc_u32_e32 v4, v4, v6
	s_delay_alu instid0(VALU_DEP_1) | instskip(NEXT) | instid1(VALU_DEP_1)
	v_mov_b32_dpp v6, v4 row_shr:4 row_mask:0xf bank_mask:0xf
	v_cndmask_b32_e64 v6, 0, v6, s8
	s_delay_alu instid0(VALU_DEP_1) | instskip(NEXT) | instid1(VALU_DEP_1)
	v_add_nc_u32_e32 v4, v4, v6
	v_mov_b32_dpp v6, v4 row_shr:8 row_mask:0xf bank_mask:0xf
	s_delay_alu instid0(VALU_DEP_1) | instskip(SKIP_1) | instid1(VALU_DEP_2)
	v_cndmask_b32_e64 v5, 0, v6, s9
	v_bfe_i32 v6, v123, 4, 1
	v_add_nc_u32_e32 v4, v4, v5
	ds_swizzle_b32 v5, v4 offset:swizzle(BROADCAST,32,15)
	s_wait_dscnt 0x0
	v_and_b32_e32 v5, v6, v5
	s_delay_alu instid0(VALU_DEP_1)
	v_add_nc_u32_e32 v5, v4, v5
	s_and_saveexec_b32 s11, s3
; %bb.973:                              ;   in Loop: Header=BB739_20 Depth=1
	ds_store_b32 v97, v5
; %bb.974:                              ;   in Loop: Header=BB739_20 Depth=1
	s_wait_alu 0xfffe
	s_or_b32 exec_lo, exec_lo, s11
	v_and_b32_e32 v4, 7, v123
	s_wait_loadcnt_dscnt 0x0
	s_barrier_signal -1
	s_barrier_wait -1
	global_inv scope:SCOPE_SE
	s_and_saveexec_b32 s11, s4
	s_cbranch_execz .LBB739_976
; %bb.975:                              ;   in Loop: Header=BB739_20 Depth=1
	ds_load_b32 v6, v98
	v_cmp_ne_u32_e32 vcc_lo, 0, v4
	s_wait_dscnt 0x0
	v_mov_b32_dpp v7, v6 row_shr:1 row_mask:0xf bank_mask:0xf
	s_wait_alu 0xfffd
	s_delay_alu instid0(VALU_DEP_1) | instskip(SKIP_1) | instid1(VALU_DEP_2)
	v_cndmask_b32_e32 v7, 0, v7, vcc_lo
	v_cmp_lt_u32_e32 vcc_lo, 1, v4
	v_add_nc_u32_e32 v6, v7, v6
	s_delay_alu instid0(VALU_DEP_1) | instskip(SKIP_1) | instid1(VALU_DEP_1)
	v_mov_b32_dpp v7, v6 row_shr:2 row_mask:0xf bank_mask:0xf
	s_wait_alu 0xfffd
	v_cndmask_b32_e32 v7, 0, v7, vcc_lo
	v_cmp_lt_u32_e32 vcc_lo, 3, v4
	s_delay_alu instid0(VALU_DEP_2) | instskip(NEXT) | instid1(VALU_DEP_1)
	v_add_nc_u32_e32 v6, v6, v7
	v_mov_b32_dpp v7, v6 row_shr:4 row_mask:0xf bank_mask:0xf
	s_wait_alu 0xfffd
	s_delay_alu instid0(VALU_DEP_1) | instskip(NEXT) | instid1(VALU_DEP_1)
	v_cndmask_b32_e32 v7, 0, v7, vcc_lo
	v_add_nc_u32_e32 v6, v6, v7
	ds_store_b32 v98, v6
.LBB739_976:                            ;   in Loop: Header=BB739_20 Depth=1
	s_wait_alu 0xfffe
	s_or_b32 exec_lo, exec_lo, s11
	v_mov_b32_e32 v6, 0
	s_wait_loadcnt_dscnt 0x0
	s_barrier_signal -1
	s_barrier_wait -1
	global_inv scope:SCOPE_SE
	s_and_saveexec_b32 s11, s5
; %bb.977:                              ;   in Loop: Header=BB739_20 Depth=1
	ds_load_b32 v6, v101
; %bb.978:                              ;   in Loop: Header=BB739_20 Depth=1
	s_wait_alu 0xfffe
	s_or_b32 exec_lo, exec_lo, s11
	v_sub_co_u32 v7, s11, v123, 1
	s_wait_dscnt 0x0
	v_add_nc_u32_e32 v5, v6, v5
	s_wait_loadcnt 0x0
	s_barrier_signal -1
	v_cmp_gt_i32_e32 vcc_lo, 0, v7
	s_barrier_wait -1
	global_inv scope:SCOPE_SE
	s_wait_alu 0xfffd
	v_cndmask_b32_e32 v7, v7, v123, vcc_lo
	s_delay_alu instid0(VALU_DEP_1)
	v_lshlrev_b32_e32 v124, 2, v7
	ds_bpermute_b32 v5, v124, v5
	s_and_saveexec_b32 s12, s2
	s_cbranch_execz .LBB739_980
; %bb.979:                              ;   in Loop: Header=BB739_20 Depth=1
	s_wait_dscnt 0x0
	v_cndmask_b32_e64 v5, v5, v6, s11
	s_delay_alu instid0(VALU_DEP_1)
	v_add_nc_u32_e32 v5, s33, v5
	ds_store_b32 v76, v5
.LBB739_980:                            ;   in Loop: Header=BB739_20 Depth=1
	s_wait_alu 0xfffe
	s_or_b32 exec_lo, exec_lo, s12
	s_load_b64 s[12:13], s[42:43], 0x0
	v_lshlrev_b32_e32 v6, 3, v123
	v_or_b32_e32 v125, v123, v99
	s_mov_b32 s55, s53
                                        ; implicit-def: $vgpr8_vgpr9
                                        ; implicit-def: $vgpr10_vgpr11
                                        ; implicit-def: $vgpr12_vgpr13
                                        ; implicit-def: $vgpr14_vgpr15
                                        ; implicit-def: $vgpr16_vgpr17
                                        ; implicit-def: $vgpr18_vgpr19
                                        ; implicit-def: $vgpr20_vgpr21
                                        ; implicit-def: $vgpr22_vgpr23
                                        ; implicit-def: $vgpr24_vgpr25
                                        ; implicit-def: $vgpr26_vgpr27
                                        ; implicit-def: $vgpr28_vgpr29
                                        ; implicit-def: $vgpr30_vgpr31
                                        ; implicit-def: $vgpr32_vgpr33
                                        ; implicit-def: $vgpr34_vgpr35
                                        ; implicit-def: $vgpr146
                                        ; implicit-def: $vgpr147
                                        ; implicit-def: $vgpr148
                                        ; implicit-def: $vgpr149
                                        ; implicit-def: $vgpr150
                                        ; implicit-def: $vgpr151
                                        ; implicit-def: $vgpr152
                                        ; implicit-def: $vgpr153
                                        ; implicit-def: $vgpr154
                                        ; implicit-def: $vgpr155
                                        ; implicit-def: $vgpr156
                                        ; implicit-def: $vgpr157
                                        ; implicit-def: $vgpr158
                                        ; implicit-def: $vgpr159
                                        ; implicit-def: $vgpr160
                                        ; implicit-def: $vgpr161
	s_delay_alu instid0(VALU_DEP_2)
	v_add_co_u32 v126, vcc_lo, v117, v6
	s_wait_alu 0xfffd
	v_add_co_ci_u32_e64 v127, null, 0, v118, vcc_lo
	v_add_co_u32 v143, vcc_lo, v119, v6
	v_or_b32_e32 v128, 32, v125
	v_or_b32_e32 v129, 64, v125
	;; [unrolled: 1-line block ×8, first 2 shown]
	s_wait_kmcnt 0x0
	s_cmp_lt_u32 ttmp7, s13
	v_or_b32_e32 v136, 0x120, v125
	s_cselect_b32 s34, 14, 20
	s_cmp_lt_u32 ttmp9, s12
	s_wait_alu 0xfffe
	s_add_nc_u64 s[14:15], s[42:43], s[34:35]
	s_cselect_b32 s34, 12, 18
	s_load_u16 s15, s[14:15], 0x0
	s_add_nc_u64 s[12:13], s[42:43], s[34:35]
	v_or_b32_e32 v137, 0x140, v125
	s_load_u16 s16, s[12:13], 0x0
	v_cmp_eq_u32_e64 s12, 0, v4
	v_cmp_lt_u32_e64 s13, 1, v4
	v_cmp_lt_u32_e64 s14, 3, v4
	v_or_b32_e32 v138, 0x160, v125
	v_or_b32_e32 v139, 0x180, v125
	;; [unrolled: 1-line block ×5, first 2 shown]
	v_add_co_ci_u32_e64 v144, null, 0, v120, vcc_lo
	s_mov_b32 s34, s33
                                        ; implicit-def: $vgpr6_vgpr7
	s_wait_kmcnt 0x0
	v_mad_u32_u24 v4, v102, s15, v0
	s_wait_dscnt 0x0
	s_delay_alu instid0(VALU_DEP_1) | instskip(NEXT) | instid1(VALU_DEP_1)
	v_mad_co_u64_u32 v[4:5], null, v4, s16, v[1:2]
	v_lshrrev_b32_e32 v4, 3, v4
	s_delay_alu instid0(VALU_DEP_1)
	v_and_b32_e32 v145, 0x1ffffffc, v4
                                        ; implicit-def: $vgpr4_vgpr5
	s_branch .LBB739_982
.LBB739_981:                            ;   in Loop: Header=BB739_982 Depth=2
	s_wait_alu 0xfffe
	s_or_b32 exec_lo, exec_lo, s15
	s_addk_co_i32 s55, 0xf000
	s_cmp_lt_u32 s56, s51
	s_mov_b32 s34, s56
	s_cbranch_scc0 .LBB739_18
.LBB739_982:                            ;   Parent Loop BB739_20 Depth=1
                                        ; =>  This Inner Loop Header: Depth=2
	s_wait_alu 0xfffe
	s_add_co_i32 s56, s34, 0x1000
	s_wait_alu 0xfffe
	s_cmp_gt_u32 s56, s51
	s_cbranch_scc1 .LBB739_984
; %bb.983:                              ;   in Loop: Header=BB739_982 Depth=2
	s_lshl_b64 s[16:17], s[34:35], 3
	s_mov_b32 s15, -1
	s_wait_alu 0xfffe
	v_add_co_u32 v36, vcc_lo, v143, s16
	s_wait_alu 0xfffd
	v_add_co_ci_u32_e64 v37, null, s17, v144, vcc_lo
	s_clause 0xe
	global_load_b64 v[38:39], v[36:37], off
	global_load_b64 v[40:41], v[36:37], off offset:256
	global_load_b64 v[42:43], v[36:37], off offset:512
	;; [unrolled: 1-line block ×14, first 2 shown]
	s_movk_i32 s16, 0x1000
	s_cbranch_execz .LBB739_985
	s_branch .LBB739_1016
.LBB739_984:                            ;   in Loop: Header=BB739_982 Depth=2
	s_mov_b32 s15, 0
                                        ; implicit-def: $vgpr38_vgpr39
                                        ; implicit-def: $vgpr40_vgpr41
                                        ; implicit-def: $vgpr42_vgpr43
                                        ; implicit-def: $vgpr46_vgpr47
                                        ; implicit-def: $vgpr52_vgpr53
                                        ; implicit-def: $vgpr56_vgpr57
                                        ; implicit-def: $vgpr60_vgpr61
                                        ; implicit-def: $vgpr64_vgpr65
                                        ; implicit-def: $vgpr66_vgpr67
                                        ; implicit-def: $vgpr62_vgpr63
                                        ; implicit-def: $vgpr58_vgpr59
                                        ; implicit-def: $vgpr54_vgpr55
                                        ; implicit-def: $vgpr50_vgpr51
                                        ; implicit-def: $vgpr48_vgpr49
                                        ; implicit-def: $vgpr44_vgpr45
	s_movk_i32 s16, 0x1000
.LBB739_985:                            ;   in Loop: Header=BB739_982 Depth=2
	s_wait_loadcnt 0xd
	v_dual_mov_b32 v40, v2 :: v_dual_mov_b32 v41, v3
	s_lshl_b64 s[16:17], s[34:35], 3
	s_mov_b32 s15, exec_lo
	s_wait_alu 0xfffe
	v_add_co_u32 v36, vcc_lo, v143, s16
	s_wait_alu 0xfffd
	v_add_co_ci_u32_e64 v37, null, s17, v144, vcc_lo
	v_dual_mov_b32 v38, v40 :: v_dual_mov_b32 v39, v41
	v_cmpx_gt_u32_e64 s55, v125
	s_cbranch_execz .LBB739_987
; %bb.986:                              ;   in Loop: Header=BB739_982 Depth=2
	global_load_b64 v[38:39], v[36:37], off
.LBB739_987:                            ;   in Loop: Header=BB739_982 Depth=2
	s_or_b32 exec_lo, exec_lo, s15
	s_delay_alu instid0(SALU_CYCLE_1)
	s_mov_b32 s15, exec_lo
	v_cmpx_gt_u32_e64 s55, v128
	s_cbranch_execz .LBB739_989
; %bb.988:                              ;   in Loop: Header=BB739_982 Depth=2
	global_load_b64 v[40:41], v[36:37], off offset:256
.LBB739_989:                            ;   in Loop: Header=BB739_982 Depth=2
	s_wait_alu 0xfffe
	s_or_b32 exec_lo, exec_lo, s15
	s_wait_loadcnt 0xc
	v_dual_mov_b32 v43, v3 :: v_dual_mov_b32 v42, v2
	s_mov_b32 s15, exec_lo
	v_cmpx_gt_u32_e64 s55, v129
	s_cbranch_execz .LBB739_991
; %bb.990:                              ;   in Loop: Header=BB739_982 Depth=2
	global_load_b64 v[42:43], v[36:37], off offset:512
.LBB739_991:                            ;   in Loop: Header=BB739_982 Depth=2
	s_wait_alu 0xfffe
	s_or_b32 exec_lo, exec_lo, s15
	s_wait_loadcnt 0xb
	v_dual_mov_b32 v47, v3 :: v_dual_mov_b32 v46, v2
	;; [unrolled: 10-line block ×6, first 2 shown]
	s_mov_b32 s15, exec_lo
	v_cmpx_gt_u32_e64 s55, v134
	s_cbranch_execz .LBB739_1001
; %bb.1000:                             ;   in Loop: Header=BB739_982 Depth=2
	global_load_b64 v[64:65], v[36:37], off offset:1792
.LBB739_1001:                           ;   in Loop: Header=BB739_982 Depth=2
	s_wait_alu 0xfffe
	s_or_b32 exec_lo, exec_lo, s15
	s_wait_loadcnt 0x6
	v_dual_mov_b32 v67, v3 :: v_dual_mov_b32 v66, v2
	s_mov_b32 s15, exec_lo
	v_cmpx_gt_u32_e64 s55, v135
	s_cbranch_execz .LBB739_1003
; %bb.1002:                             ;   in Loop: Header=BB739_982 Depth=2
	global_load_b64 v[66:67], v[36:37], off offset:2048
.LBB739_1003:                           ;   in Loop: Header=BB739_982 Depth=2
	s_wait_alu 0xfffe
	s_or_b32 exec_lo, exec_lo, s15
	s_wait_loadcnt 0x5
	v_dual_mov_b32 v63, v3 :: v_dual_mov_b32 v62, v2
	;; [unrolled: 10-line block ×7, first 2 shown]
	s_mov_b32 s15, exec_lo
	v_cmpx_gt_u32_e64 s55, v141
	s_cbranch_execz .LBB739_1015
; %bb.1014:                             ;   in Loop: Header=BB739_982 Depth=2
	global_load_b64 v[44:45], v[36:37], off offset:3584
.LBB739_1015:                           ;   in Loop: Header=BB739_982 Depth=2
	s_wait_alu 0xfffe
	s_or_b32 exec_lo, exec_lo, s15
	v_cmp_gt_u32_e64 s15, s55, v142
	s_sub_co_i32 s16, s51, s34
.LBB739_1016:                           ;   in Loop: Header=BB739_982 Depth=2
	v_mov_b32_e32 v36, -1
	v_dual_mov_b32 v37, -1 :: v_dual_mov_b32 v162, s55
	s_and_saveexec_b32 s17, s15
	s_cbranch_execz .LBB739_1018
; %bb.1017:                             ;   in Loop: Header=BB739_982 Depth=2
	s_lshl_b64 s[18:19], s[34:35], 3
	s_wait_alu 0xfffe
	v_mov_b32_e32 v162, s16
	v_add_co_u32 v36, vcc_lo, v143, s18
	s_wait_alu 0xfffd
	v_add_co_ci_u32_e64 v37, null, s19, v144, vcc_lo
	global_load_b64 v[36:37], v[36:37], off offset:3840
	s_wait_loadcnt 0x0
	v_xor_b32_e32 v37, 0x7fffffff, v37
	v_not_b32_e32 v36, v36
.LBB739_1018:                           ;   in Loop: Header=BB739_982 Depth=2
	s_wait_alu 0xfffe
	s_or_b32 exec_lo, exec_lo, s17
	s_wait_loadcnt 0xe
	v_xor_b32_e32 v39, 0x7fffffff, v39
	v_not_b32_e32 v38, v38
	v_add_nc_u32_e32 v165, 0x420, v100
	v_add_nc_u32_e32 v166, 0x428, v100
	;; [unrolled: 1-line block ×3, first 2 shown]
	s_delay_alu instid0(VALU_DEP_4) | instskip(NEXT) | instid1(VALU_DEP_1)
	v_lshrrev_b64 v[68:69], s31, v[38:39]
	v_and_b32_e32 v69, s54, v68
	s_delay_alu instid0(VALU_DEP_1)
	v_and_b32_e32 v68, 1, v69
	v_lshlrev_b32_e32 v70, 30, v69
	v_lshlrev_b32_e32 v71, 29, v69
	;; [unrolled: 1-line block ×4, first 2 shown]
	v_add_co_u32 v68, s15, v68, -1
	s_wait_alu 0xf1ff
	v_cndmask_b32_e64 v73, 0, 1, s15
	v_not_b32_e32 v164, v70
	v_cmp_gt_i32_e64 s15, 0, v70
	v_not_b32_e32 v70, v71
	v_lshlrev_b32_e32 v75, 26, v69
	v_cmp_ne_u32_e32 vcc_lo, 0, v73
	v_ashrrev_i32_e32 v164, 31, v164
	v_lshlrev_b32_e32 v163, 25, v69
	v_ashrrev_i32_e32 v70, 31, v70
	v_lshlrev_b32_e32 v73, 24, v69
	s_wait_alu 0xfffd
	v_xor_b32_e32 v68, vcc_lo, v68
	v_cmp_gt_i32_e32 vcc_lo, 0, v71
	v_not_b32_e32 v71, v72
	s_wait_alu 0xf1ff
	v_xor_b32_e32 v164, s15, v164
	v_cmp_gt_i32_e64 s15, 0, v72
	v_and_b32_e32 v68, exec_lo, v68
	v_not_b32_e32 v72, v74
	v_ashrrev_i32_e32 v71, 31, v71
	s_wait_alu 0xfffd
	v_xor_b32_e32 v70, vcc_lo, v70
	v_cmp_gt_i32_e32 vcc_lo, 0, v74
	v_and_b32_e32 v68, v68, v164
	v_not_b32_e32 v74, v75
	v_ashrrev_i32_e32 v72, 31, v72
	s_wait_alu 0xf1ff
	v_xor_b32_e32 v71, s15, v71
	v_cmp_gt_i32_e64 s15, 0, v75
	v_and_b32_e32 v68, v68, v70
	v_not_b32_e32 v70, v163
	v_ashrrev_i32_e32 v74, 31, v74
	s_wait_alu 0xfffd
	v_xor_b32_e32 v72, vcc_lo, v72
	v_cmp_gt_i32_e32 vcc_lo, 0, v163
	v_and_b32_e32 v68, v68, v71
	v_not_b32_e32 v71, v73
	v_ashrrev_i32_e32 v70, 31, v70
	s_wait_alu 0xf1ff
	v_xor_b32_e32 v74, s15, v74
	v_cmp_gt_i32_e64 s15, 0, v73
	v_and_b32_e32 v68, v68, v72
	v_ashrrev_i32_e32 v71, 31, v71
	s_wait_alu 0xfffd
	v_xor_b32_e32 v70, vcc_lo, v70
	v_mul_u32_u24_e32 v69, 36, v69
	v_add_nc_u32_e32 v164, 0x438, v100
	v_and_b32_e32 v68, v68, v74
	s_wait_alu 0xf1ff
	v_xor_b32_e32 v71, s15, v71
	v_add_nc_u32_e32 v168, v145, v69
	ds_store_2addr_b32 v164, v2, v2 offset1:1
	v_and_b32_e32 v68, v68, v70
	ds_store_2addr_b32 v165, v2, v2 offset1:1
	ds_store_2addr_b32 v166, v2, v2 offset1:1
	;; [unrolled: 1-line block ×3, first 2 shown]
	ds_store_b32 v100, v2 offset:1088
	s_wait_loadcnt_dscnt 0x0
	s_barrier_signal -1
	s_barrier_wait -1
	v_and_b32_e32 v68, v68, v71
	global_inv scope:SCOPE_SE
	; wave barrier
	v_mbcnt_lo_u32_b32 v163, v68, 0
	v_cmp_ne_u32_e64 s15, 0, v68
	s_delay_alu instid0(VALU_DEP_2)
	v_cmp_eq_u32_e32 vcc_lo, 0, v163
	s_and_b32 s16, s15, vcc_lo
	s_wait_alu 0xfffe
	s_and_saveexec_b32 s15, s16
; %bb.1019:                             ;   in Loop: Header=BB739_982 Depth=2
	v_bcnt_u32_b32 v68, v68, 0
	ds_store_b32 v168, v68 offset:1056
; %bb.1020:                             ;   in Loop: Header=BB739_982 Depth=2
	s_wait_alu 0xfffe
	s_or_b32 exec_lo, exec_lo, s15
	v_xor_b32_e32 v41, 0x7fffffff, v41
	v_not_b32_e32 v40, v40
	; wave barrier
	s_delay_alu instid0(VALU_DEP_1) | instskip(NEXT) | instid1(VALU_DEP_1)
	v_lshrrev_b64 v[68:69], s31, v[40:41]
	v_and_b32_e32 v69, s54, v68
	s_delay_alu instid0(VALU_DEP_1)
	v_and_b32_e32 v68, 1, v69
	v_lshlrev_b32_e32 v70, 30, v69
	v_lshlrev_b32_e32 v71, 29, v69
	;; [unrolled: 1-line block ×4, first 2 shown]
	v_add_co_u32 v68, s15, v68, -1
	s_wait_alu 0xf1ff
	v_cndmask_b32_e64 v73, 0, 1, s15
	v_not_b32_e32 v170, v70
	v_cmp_gt_i32_e64 s15, 0, v70
	v_not_b32_e32 v70, v71
	v_lshlrev_b32_e32 v75, 26, v69
	v_cmp_ne_u32_e32 vcc_lo, 0, v73
	v_ashrrev_i32_e32 v170, 31, v170
	v_lshlrev_b32_e32 v169, 25, v69
	v_ashrrev_i32_e32 v70, 31, v70
	v_lshlrev_b32_e32 v73, 24, v69
	s_wait_alu 0xfffd
	v_xor_b32_e32 v68, vcc_lo, v68
	v_cmp_gt_i32_e32 vcc_lo, 0, v71
	v_not_b32_e32 v71, v72
	s_wait_alu 0xf1ff
	v_xor_b32_e32 v170, s15, v170
	v_cmp_gt_i32_e64 s15, 0, v72
	v_and_b32_e32 v68, exec_lo, v68
	v_not_b32_e32 v72, v74
	v_ashrrev_i32_e32 v71, 31, v71
	s_wait_alu 0xfffd
	v_xor_b32_e32 v70, vcc_lo, v70
	v_cmp_gt_i32_e32 vcc_lo, 0, v74
	v_and_b32_e32 v68, v68, v170
	v_not_b32_e32 v74, v75
	v_ashrrev_i32_e32 v72, 31, v72
	s_wait_alu 0xf1ff
	v_xor_b32_e32 v71, s15, v71
	v_cmp_gt_i32_e64 s15, 0, v75
	v_and_b32_e32 v68, v68, v70
	v_not_b32_e32 v70, v169
	v_ashrrev_i32_e32 v74, 31, v74
	s_wait_alu 0xfffd
	v_xor_b32_e32 v72, vcc_lo, v72
	v_cmp_gt_i32_e32 vcc_lo, 0, v169
	v_and_b32_e32 v68, v68, v71
	v_not_b32_e32 v71, v73
	v_ashrrev_i32_e32 v70, 31, v70
	s_wait_alu 0xf1ff
	v_xor_b32_e32 v74, s15, v74
	v_cmp_gt_i32_e64 s15, 0, v73
	v_and_b32_e32 v68, v68, v72
	v_ashrrev_i32_e32 v71, 31, v71
	s_wait_alu 0xfffd
	v_xor_b32_e32 v70, vcc_lo, v70
	v_mad_u32_u24 v72, v69, 36, v145
	v_mul_u32_u24_e32 v69, 36, v69
	v_and_b32_e32 v68, v68, v74
	s_wait_alu 0xf1ff
	v_xor_b32_e32 v71, s15, v71
	ds_load_b32 v169, v72 offset:1056
	v_add_nc_u32_e32 v171, v145, v69
	v_and_b32_e32 v68, v68, v70
	; wave barrier
	s_delay_alu instid0(VALU_DEP_1) | instskip(NEXT) | instid1(VALU_DEP_1)
	v_and_b32_e32 v68, v68, v71
	v_mbcnt_lo_u32_b32 v170, v68, 0
	v_cmp_ne_u32_e64 s15, 0, v68
	s_delay_alu instid0(VALU_DEP_2)
	v_cmp_eq_u32_e32 vcc_lo, 0, v170
	s_and_b32 s16, s15, vcc_lo
	s_wait_alu 0xfffe
	s_and_saveexec_b32 s15, s16
	s_cbranch_execz .LBB739_1022
; %bb.1021:                             ;   in Loop: Header=BB739_982 Depth=2
	s_wait_dscnt 0x0
	v_bcnt_u32_b32 v68, v68, v169
	ds_store_b32 v171, v68 offset:1056
.LBB739_1022:                           ;   in Loop: Header=BB739_982 Depth=2
	s_wait_alu 0xfffe
	s_or_b32 exec_lo, exec_lo, s15
	v_xor_b32_e32 v43, 0x7fffffff, v43
	v_not_b32_e32 v42, v42
	; wave barrier
	s_delay_alu instid0(VALU_DEP_1) | instskip(NEXT) | instid1(VALU_DEP_1)
	v_lshrrev_b64 v[68:69], s31, v[42:43]
	v_and_b32_e32 v69, s54, v68
	s_delay_alu instid0(VALU_DEP_1)
	v_and_b32_e32 v68, 1, v69
	v_lshlrev_b32_e32 v70, 30, v69
	v_lshlrev_b32_e32 v71, 29, v69
	;; [unrolled: 1-line block ×4, first 2 shown]
	v_add_co_u32 v68, s15, v68, -1
	s_wait_alu 0xf1ff
	v_cndmask_b32_e64 v73, 0, 1, s15
	v_not_b32_e32 v173, v70
	v_cmp_gt_i32_e64 s15, 0, v70
	v_not_b32_e32 v70, v71
	v_lshlrev_b32_e32 v75, 26, v69
	v_cmp_ne_u32_e32 vcc_lo, 0, v73
	v_ashrrev_i32_e32 v173, 31, v173
	v_lshlrev_b32_e32 v172, 25, v69
	v_ashrrev_i32_e32 v70, 31, v70
	v_lshlrev_b32_e32 v73, 24, v69
	s_wait_alu 0xfffd
	v_xor_b32_e32 v68, vcc_lo, v68
	v_cmp_gt_i32_e32 vcc_lo, 0, v71
	v_not_b32_e32 v71, v72
	s_wait_alu 0xf1ff
	v_xor_b32_e32 v173, s15, v173
	v_cmp_gt_i32_e64 s15, 0, v72
	v_and_b32_e32 v68, exec_lo, v68
	v_not_b32_e32 v72, v74
	v_ashrrev_i32_e32 v71, 31, v71
	s_wait_alu 0xfffd
	v_xor_b32_e32 v70, vcc_lo, v70
	v_cmp_gt_i32_e32 vcc_lo, 0, v74
	v_and_b32_e32 v68, v68, v173
	v_not_b32_e32 v74, v75
	v_ashrrev_i32_e32 v72, 31, v72
	s_wait_alu 0xf1ff
	v_xor_b32_e32 v71, s15, v71
	v_cmp_gt_i32_e64 s15, 0, v75
	v_and_b32_e32 v68, v68, v70
	v_not_b32_e32 v70, v172
	v_ashrrev_i32_e32 v74, 31, v74
	s_wait_alu 0xfffd
	v_xor_b32_e32 v72, vcc_lo, v72
	v_cmp_gt_i32_e32 vcc_lo, 0, v172
	v_and_b32_e32 v68, v68, v71
	v_not_b32_e32 v71, v73
	v_ashrrev_i32_e32 v70, 31, v70
	s_wait_alu 0xf1ff
	v_xor_b32_e32 v74, s15, v74
	v_cmp_gt_i32_e64 s15, 0, v73
	v_and_b32_e32 v68, v68, v72
	v_ashrrev_i32_e32 v71, 31, v71
	s_wait_alu 0xfffd
	v_xor_b32_e32 v70, vcc_lo, v70
	v_mad_u32_u24 v72, v69, 36, v145
	v_mul_u32_u24_e32 v69, 36, v69
	v_and_b32_e32 v68, v68, v74
	s_wait_alu 0xf1ff
	v_xor_b32_e32 v71, s15, v71
	ds_load_b32 v172, v72 offset:1056
	v_add_nc_u32_e32 v174, v145, v69
	v_and_b32_e32 v68, v68, v70
	; wave barrier
	s_delay_alu instid0(VALU_DEP_1) | instskip(NEXT) | instid1(VALU_DEP_1)
	v_and_b32_e32 v68, v68, v71
	v_mbcnt_lo_u32_b32 v173, v68, 0
	v_cmp_ne_u32_e64 s15, 0, v68
	s_delay_alu instid0(VALU_DEP_2)
	v_cmp_eq_u32_e32 vcc_lo, 0, v173
	s_and_b32 s16, s15, vcc_lo
	s_wait_alu 0xfffe
	s_and_saveexec_b32 s15, s16
	s_cbranch_execz .LBB739_1024
; %bb.1023:                             ;   in Loop: Header=BB739_982 Depth=2
	s_wait_dscnt 0x0
	v_bcnt_u32_b32 v68, v68, v172
	ds_store_b32 v174, v68 offset:1056
.LBB739_1024:                           ;   in Loop: Header=BB739_982 Depth=2
	s_wait_alu 0xfffe
	s_or_b32 exec_lo, exec_lo, s15
	v_xor_b32_e32 v47, 0x7fffffff, v47
	v_not_b32_e32 v46, v46
	; wave barrier
	s_delay_alu instid0(VALU_DEP_1) | instskip(NEXT) | instid1(VALU_DEP_1)
	v_lshrrev_b64 v[68:69], s31, v[46:47]
	v_and_b32_e32 v69, s54, v68
	s_delay_alu instid0(VALU_DEP_1)
	v_and_b32_e32 v68, 1, v69
	v_lshlrev_b32_e32 v70, 30, v69
	v_lshlrev_b32_e32 v71, 29, v69
	;; [unrolled: 1-line block ×4, first 2 shown]
	v_add_co_u32 v68, s15, v68, -1
	s_wait_alu 0xf1ff
	v_cndmask_b32_e64 v73, 0, 1, s15
	v_not_b32_e32 v176, v70
	v_cmp_gt_i32_e64 s15, 0, v70
	v_not_b32_e32 v70, v71
	v_lshlrev_b32_e32 v75, 26, v69
	v_cmp_ne_u32_e32 vcc_lo, 0, v73
	v_ashrrev_i32_e32 v176, 31, v176
	v_lshlrev_b32_e32 v175, 25, v69
	v_ashrrev_i32_e32 v70, 31, v70
	v_lshlrev_b32_e32 v73, 24, v69
	s_wait_alu 0xfffd
	v_xor_b32_e32 v68, vcc_lo, v68
	v_cmp_gt_i32_e32 vcc_lo, 0, v71
	v_not_b32_e32 v71, v72
	s_wait_alu 0xf1ff
	v_xor_b32_e32 v176, s15, v176
	v_cmp_gt_i32_e64 s15, 0, v72
	v_and_b32_e32 v68, exec_lo, v68
	v_not_b32_e32 v72, v74
	v_ashrrev_i32_e32 v71, 31, v71
	s_wait_alu 0xfffd
	v_xor_b32_e32 v70, vcc_lo, v70
	v_cmp_gt_i32_e32 vcc_lo, 0, v74
	v_and_b32_e32 v68, v68, v176
	v_not_b32_e32 v74, v75
	v_ashrrev_i32_e32 v72, 31, v72
	s_wait_alu 0xf1ff
	v_xor_b32_e32 v71, s15, v71
	v_cmp_gt_i32_e64 s15, 0, v75
	v_and_b32_e32 v68, v68, v70
	v_not_b32_e32 v70, v175
	v_ashrrev_i32_e32 v74, 31, v74
	s_wait_alu 0xfffd
	v_xor_b32_e32 v72, vcc_lo, v72
	v_cmp_gt_i32_e32 vcc_lo, 0, v175
	v_and_b32_e32 v68, v68, v71
	v_not_b32_e32 v71, v73
	v_ashrrev_i32_e32 v70, 31, v70
	s_wait_alu 0xf1ff
	v_xor_b32_e32 v74, s15, v74
	v_cmp_gt_i32_e64 s15, 0, v73
	v_and_b32_e32 v68, v68, v72
	v_ashrrev_i32_e32 v71, 31, v71
	s_wait_alu 0xfffd
	v_xor_b32_e32 v70, vcc_lo, v70
	v_mad_u32_u24 v72, v69, 36, v145
	v_mul_u32_u24_e32 v69, 36, v69
	v_and_b32_e32 v68, v68, v74
	s_wait_alu 0xf1ff
	v_xor_b32_e32 v71, s15, v71
	ds_load_b32 v175, v72 offset:1056
	v_add_nc_u32_e32 v177, v145, v69
	v_and_b32_e32 v68, v68, v70
	; wave barrier
	s_delay_alu instid0(VALU_DEP_1) | instskip(NEXT) | instid1(VALU_DEP_1)
	v_and_b32_e32 v68, v68, v71
	v_mbcnt_lo_u32_b32 v176, v68, 0
	v_cmp_ne_u32_e64 s15, 0, v68
	s_delay_alu instid0(VALU_DEP_2)
	v_cmp_eq_u32_e32 vcc_lo, 0, v176
	s_and_b32 s16, s15, vcc_lo
	s_wait_alu 0xfffe
	s_and_saveexec_b32 s15, s16
	s_cbranch_execz .LBB739_1026
; %bb.1025:                             ;   in Loop: Header=BB739_982 Depth=2
	s_wait_dscnt 0x0
	v_bcnt_u32_b32 v68, v68, v175
	ds_store_b32 v177, v68 offset:1056
.LBB739_1026:                           ;   in Loop: Header=BB739_982 Depth=2
	s_wait_alu 0xfffe
	s_or_b32 exec_lo, exec_lo, s15
	v_xor_b32_e32 v53, 0x7fffffff, v53
	v_not_b32_e32 v52, v52
	; wave barrier
	s_delay_alu instid0(VALU_DEP_1) | instskip(NEXT) | instid1(VALU_DEP_1)
	v_lshrrev_b64 v[68:69], s31, v[52:53]
	v_and_b32_e32 v69, s54, v68
	s_delay_alu instid0(VALU_DEP_1)
	v_and_b32_e32 v68, 1, v69
	v_lshlrev_b32_e32 v70, 30, v69
	v_lshlrev_b32_e32 v71, 29, v69
	;; [unrolled: 1-line block ×4, first 2 shown]
	v_add_co_u32 v68, s15, v68, -1
	s_wait_alu 0xf1ff
	v_cndmask_b32_e64 v73, 0, 1, s15
	v_not_b32_e32 v179, v70
	v_cmp_gt_i32_e64 s15, 0, v70
	v_not_b32_e32 v70, v71
	v_lshlrev_b32_e32 v75, 26, v69
	v_cmp_ne_u32_e32 vcc_lo, 0, v73
	v_ashrrev_i32_e32 v179, 31, v179
	v_lshlrev_b32_e32 v178, 25, v69
	v_ashrrev_i32_e32 v70, 31, v70
	v_lshlrev_b32_e32 v73, 24, v69
	s_wait_alu 0xfffd
	v_xor_b32_e32 v68, vcc_lo, v68
	v_cmp_gt_i32_e32 vcc_lo, 0, v71
	v_not_b32_e32 v71, v72
	s_wait_alu 0xf1ff
	v_xor_b32_e32 v179, s15, v179
	v_cmp_gt_i32_e64 s15, 0, v72
	v_and_b32_e32 v68, exec_lo, v68
	v_not_b32_e32 v72, v74
	v_ashrrev_i32_e32 v71, 31, v71
	s_wait_alu 0xfffd
	v_xor_b32_e32 v70, vcc_lo, v70
	v_cmp_gt_i32_e32 vcc_lo, 0, v74
	v_and_b32_e32 v68, v68, v179
	v_not_b32_e32 v74, v75
	v_ashrrev_i32_e32 v72, 31, v72
	s_wait_alu 0xf1ff
	v_xor_b32_e32 v71, s15, v71
	v_cmp_gt_i32_e64 s15, 0, v75
	v_and_b32_e32 v68, v68, v70
	v_not_b32_e32 v70, v178
	v_ashrrev_i32_e32 v74, 31, v74
	s_wait_alu 0xfffd
	v_xor_b32_e32 v72, vcc_lo, v72
	v_cmp_gt_i32_e32 vcc_lo, 0, v178
	v_and_b32_e32 v68, v68, v71
	v_not_b32_e32 v71, v73
	v_ashrrev_i32_e32 v70, 31, v70
	s_wait_alu 0xf1ff
	v_xor_b32_e32 v74, s15, v74
	v_cmp_gt_i32_e64 s15, 0, v73
	v_and_b32_e32 v68, v68, v72
	v_ashrrev_i32_e32 v71, 31, v71
	s_wait_alu 0xfffd
	v_xor_b32_e32 v70, vcc_lo, v70
	v_mad_u32_u24 v72, v69, 36, v145
	v_mul_u32_u24_e32 v69, 36, v69
	v_and_b32_e32 v68, v68, v74
	s_wait_alu 0xf1ff
	v_xor_b32_e32 v71, s15, v71
	ds_load_b32 v178, v72 offset:1056
	v_add_nc_u32_e32 v180, v145, v69
	v_and_b32_e32 v68, v68, v70
	; wave barrier
	s_delay_alu instid0(VALU_DEP_1) | instskip(NEXT) | instid1(VALU_DEP_1)
	v_and_b32_e32 v68, v68, v71
	v_mbcnt_lo_u32_b32 v179, v68, 0
	v_cmp_ne_u32_e64 s15, 0, v68
	s_delay_alu instid0(VALU_DEP_2)
	v_cmp_eq_u32_e32 vcc_lo, 0, v179
	s_and_b32 s16, s15, vcc_lo
	s_wait_alu 0xfffe
	s_and_saveexec_b32 s15, s16
	s_cbranch_execz .LBB739_1028
; %bb.1027:                             ;   in Loop: Header=BB739_982 Depth=2
	s_wait_dscnt 0x0
	v_bcnt_u32_b32 v68, v68, v178
	ds_store_b32 v180, v68 offset:1056
.LBB739_1028:                           ;   in Loop: Header=BB739_982 Depth=2
	s_wait_alu 0xfffe
	s_or_b32 exec_lo, exec_lo, s15
	v_xor_b32_e32 v57, 0x7fffffff, v57
	v_not_b32_e32 v56, v56
	; wave barrier
	s_delay_alu instid0(VALU_DEP_1) | instskip(NEXT) | instid1(VALU_DEP_1)
	v_lshrrev_b64 v[68:69], s31, v[56:57]
	v_and_b32_e32 v69, s54, v68
	s_delay_alu instid0(VALU_DEP_1)
	v_and_b32_e32 v68, 1, v69
	v_lshlrev_b32_e32 v70, 30, v69
	v_lshlrev_b32_e32 v71, 29, v69
	;; [unrolled: 1-line block ×4, first 2 shown]
	v_add_co_u32 v68, s15, v68, -1
	s_wait_alu 0xf1ff
	v_cndmask_b32_e64 v73, 0, 1, s15
	v_not_b32_e32 v182, v70
	v_cmp_gt_i32_e64 s15, 0, v70
	v_not_b32_e32 v70, v71
	v_lshlrev_b32_e32 v75, 26, v69
	v_cmp_ne_u32_e32 vcc_lo, 0, v73
	v_ashrrev_i32_e32 v182, 31, v182
	v_lshlrev_b32_e32 v181, 25, v69
	v_ashrrev_i32_e32 v70, 31, v70
	v_lshlrev_b32_e32 v73, 24, v69
	s_wait_alu 0xfffd
	v_xor_b32_e32 v68, vcc_lo, v68
	v_cmp_gt_i32_e32 vcc_lo, 0, v71
	v_not_b32_e32 v71, v72
	s_wait_alu 0xf1ff
	v_xor_b32_e32 v182, s15, v182
	v_cmp_gt_i32_e64 s15, 0, v72
	v_and_b32_e32 v68, exec_lo, v68
	v_not_b32_e32 v72, v74
	v_ashrrev_i32_e32 v71, 31, v71
	s_wait_alu 0xfffd
	v_xor_b32_e32 v70, vcc_lo, v70
	v_cmp_gt_i32_e32 vcc_lo, 0, v74
	v_and_b32_e32 v68, v68, v182
	v_not_b32_e32 v74, v75
	v_ashrrev_i32_e32 v72, 31, v72
	s_wait_alu 0xf1ff
	v_xor_b32_e32 v71, s15, v71
	v_cmp_gt_i32_e64 s15, 0, v75
	v_and_b32_e32 v68, v68, v70
	v_not_b32_e32 v70, v181
	v_ashrrev_i32_e32 v74, 31, v74
	s_wait_alu 0xfffd
	v_xor_b32_e32 v72, vcc_lo, v72
	v_cmp_gt_i32_e32 vcc_lo, 0, v181
	v_and_b32_e32 v68, v68, v71
	v_not_b32_e32 v71, v73
	v_ashrrev_i32_e32 v70, 31, v70
	s_wait_alu 0xf1ff
	v_xor_b32_e32 v74, s15, v74
	v_cmp_gt_i32_e64 s15, 0, v73
	v_and_b32_e32 v68, v68, v72
	v_ashrrev_i32_e32 v71, 31, v71
	s_wait_alu 0xfffd
	v_xor_b32_e32 v70, vcc_lo, v70
	v_mad_u32_u24 v72, v69, 36, v145
	v_mul_u32_u24_e32 v69, 36, v69
	v_and_b32_e32 v68, v68, v74
	s_wait_alu 0xf1ff
	v_xor_b32_e32 v71, s15, v71
	ds_load_b32 v181, v72 offset:1056
	v_add_nc_u32_e32 v183, v145, v69
	v_and_b32_e32 v68, v68, v70
	; wave barrier
	s_delay_alu instid0(VALU_DEP_1) | instskip(NEXT) | instid1(VALU_DEP_1)
	v_and_b32_e32 v68, v68, v71
	v_mbcnt_lo_u32_b32 v182, v68, 0
	v_cmp_ne_u32_e64 s15, 0, v68
	s_delay_alu instid0(VALU_DEP_2)
	v_cmp_eq_u32_e32 vcc_lo, 0, v182
	s_and_b32 s16, s15, vcc_lo
	s_wait_alu 0xfffe
	s_and_saveexec_b32 s15, s16
	s_cbranch_execz .LBB739_1030
; %bb.1029:                             ;   in Loop: Header=BB739_982 Depth=2
	s_wait_dscnt 0x0
	v_bcnt_u32_b32 v68, v68, v181
	ds_store_b32 v183, v68 offset:1056
.LBB739_1030:                           ;   in Loop: Header=BB739_982 Depth=2
	s_wait_alu 0xfffe
	s_or_b32 exec_lo, exec_lo, s15
	v_xor_b32_e32 v61, 0x7fffffff, v61
	v_not_b32_e32 v60, v60
	; wave barrier
	s_delay_alu instid0(VALU_DEP_1) | instskip(NEXT) | instid1(VALU_DEP_1)
	v_lshrrev_b64 v[68:69], s31, v[60:61]
	v_and_b32_e32 v69, s54, v68
	s_delay_alu instid0(VALU_DEP_1)
	v_and_b32_e32 v68, 1, v69
	v_lshlrev_b32_e32 v70, 30, v69
	v_lshlrev_b32_e32 v71, 29, v69
	;; [unrolled: 1-line block ×4, first 2 shown]
	v_add_co_u32 v68, s15, v68, -1
	s_wait_alu 0xf1ff
	v_cndmask_b32_e64 v73, 0, 1, s15
	v_not_b32_e32 v185, v70
	v_cmp_gt_i32_e64 s15, 0, v70
	v_not_b32_e32 v70, v71
	v_lshlrev_b32_e32 v75, 26, v69
	v_cmp_ne_u32_e32 vcc_lo, 0, v73
	v_ashrrev_i32_e32 v185, 31, v185
	v_lshlrev_b32_e32 v184, 25, v69
	v_ashrrev_i32_e32 v70, 31, v70
	v_lshlrev_b32_e32 v73, 24, v69
	s_wait_alu 0xfffd
	v_xor_b32_e32 v68, vcc_lo, v68
	v_cmp_gt_i32_e32 vcc_lo, 0, v71
	v_not_b32_e32 v71, v72
	s_wait_alu 0xf1ff
	v_xor_b32_e32 v185, s15, v185
	v_cmp_gt_i32_e64 s15, 0, v72
	v_and_b32_e32 v68, exec_lo, v68
	v_not_b32_e32 v72, v74
	v_ashrrev_i32_e32 v71, 31, v71
	s_wait_alu 0xfffd
	v_xor_b32_e32 v70, vcc_lo, v70
	v_cmp_gt_i32_e32 vcc_lo, 0, v74
	v_and_b32_e32 v68, v68, v185
	v_not_b32_e32 v74, v75
	v_ashrrev_i32_e32 v72, 31, v72
	s_wait_alu 0xf1ff
	v_xor_b32_e32 v71, s15, v71
	v_cmp_gt_i32_e64 s15, 0, v75
	v_and_b32_e32 v68, v68, v70
	v_not_b32_e32 v70, v184
	v_ashrrev_i32_e32 v74, 31, v74
	s_wait_alu 0xfffd
	v_xor_b32_e32 v72, vcc_lo, v72
	v_cmp_gt_i32_e32 vcc_lo, 0, v184
	v_and_b32_e32 v68, v68, v71
	v_not_b32_e32 v71, v73
	v_ashrrev_i32_e32 v70, 31, v70
	s_wait_alu 0xf1ff
	v_xor_b32_e32 v74, s15, v74
	v_cmp_gt_i32_e64 s15, 0, v73
	v_and_b32_e32 v68, v68, v72
	v_ashrrev_i32_e32 v71, 31, v71
	s_wait_alu 0xfffd
	v_xor_b32_e32 v70, vcc_lo, v70
	v_mad_u32_u24 v72, v69, 36, v145
	v_mul_u32_u24_e32 v69, 36, v69
	v_and_b32_e32 v68, v68, v74
	s_wait_alu 0xf1ff
	v_xor_b32_e32 v71, s15, v71
	ds_load_b32 v184, v72 offset:1056
	v_add_nc_u32_e32 v186, v145, v69
	v_and_b32_e32 v68, v68, v70
	; wave barrier
	s_delay_alu instid0(VALU_DEP_1) | instskip(NEXT) | instid1(VALU_DEP_1)
	v_and_b32_e32 v68, v68, v71
	v_mbcnt_lo_u32_b32 v185, v68, 0
	v_cmp_ne_u32_e64 s15, 0, v68
	s_delay_alu instid0(VALU_DEP_2)
	v_cmp_eq_u32_e32 vcc_lo, 0, v185
	s_and_b32 s16, s15, vcc_lo
	s_wait_alu 0xfffe
	s_and_saveexec_b32 s15, s16
	s_cbranch_execz .LBB739_1032
; %bb.1031:                             ;   in Loop: Header=BB739_982 Depth=2
	s_wait_dscnt 0x0
	v_bcnt_u32_b32 v68, v68, v184
	ds_store_b32 v186, v68 offset:1056
.LBB739_1032:                           ;   in Loop: Header=BB739_982 Depth=2
	s_wait_alu 0xfffe
	s_or_b32 exec_lo, exec_lo, s15
	v_xor_b32_e32 v65, 0x7fffffff, v65
	v_not_b32_e32 v64, v64
	; wave barrier
	s_delay_alu instid0(VALU_DEP_1) | instskip(NEXT) | instid1(VALU_DEP_1)
	v_lshrrev_b64 v[68:69], s31, v[64:65]
	v_and_b32_e32 v69, s54, v68
	s_delay_alu instid0(VALU_DEP_1)
	v_and_b32_e32 v68, 1, v69
	v_lshlrev_b32_e32 v70, 30, v69
	v_lshlrev_b32_e32 v71, 29, v69
	v_lshlrev_b32_e32 v72, 28, v69
	v_lshlrev_b32_e32 v74, 27, v69
	v_add_co_u32 v68, s15, v68, -1
	s_wait_alu 0xf1ff
	v_cndmask_b32_e64 v73, 0, 1, s15
	v_not_b32_e32 v188, v70
	v_cmp_gt_i32_e64 s15, 0, v70
	v_not_b32_e32 v70, v71
	v_lshlrev_b32_e32 v75, 26, v69
	v_cmp_ne_u32_e32 vcc_lo, 0, v73
	v_ashrrev_i32_e32 v188, 31, v188
	v_lshlrev_b32_e32 v187, 25, v69
	v_ashrrev_i32_e32 v70, 31, v70
	v_lshlrev_b32_e32 v73, 24, v69
	s_wait_alu 0xfffd
	v_xor_b32_e32 v68, vcc_lo, v68
	v_cmp_gt_i32_e32 vcc_lo, 0, v71
	v_not_b32_e32 v71, v72
	s_wait_alu 0xf1ff
	v_xor_b32_e32 v188, s15, v188
	v_cmp_gt_i32_e64 s15, 0, v72
	v_and_b32_e32 v68, exec_lo, v68
	v_not_b32_e32 v72, v74
	v_ashrrev_i32_e32 v71, 31, v71
	s_wait_alu 0xfffd
	v_xor_b32_e32 v70, vcc_lo, v70
	v_cmp_gt_i32_e32 vcc_lo, 0, v74
	v_and_b32_e32 v68, v68, v188
	v_not_b32_e32 v74, v75
	v_ashrrev_i32_e32 v72, 31, v72
	s_wait_alu 0xf1ff
	v_xor_b32_e32 v71, s15, v71
	v_cmp_gt_i32_e64 s15, 0, v75
	v_and_b32_e32 v68, v68, v70
	v_not_b32_e32 v70, v187
	v_ashrrev_i32_e32 v74, 31, v74
	s_wait_alu 0xfffd
	v_xor_b32_e32 v72, vcc_lo, v72
	v_cmp_gt_i32_e32 vcc_lo, 0, v187
	v_and_b32_e32 v68, v68, v71
	v_not_b32_e32 v71, v73
	v_ashrrev_i32_e32 v70, 31, v70
	s_wait_alu 0xf1ff
	v_xor_b32_e32 v74, s15, v74
	v_cmp_gt_i32_e64 s15, 0, v73
	v_and_b32_e32 v68, v68, v72
	v_ashrrev_i32_e32 v71, 31, v71
	s_wait_alu 0xfffd
	v_xor_b32_e32 v70, vcc_lo, v70
	v_mad_u32_u24 v72, v69, 36, v145
	v_mul_u32_u24_e32 v69, 36, v69
	v_and_b32_e32 v68, v68, v74
	s_wait_alu 0xf1ff
	v_xor_b32_e32 v71, s15, v71
	ds_load_b32 v187, v72 offset:1056
	v_add_nc_u32_e32 v189, v145, v69
	v_and_b32_e32 v68, v68, v70
	; wave barrier
	s_delay_alu instid0(VALU_DEP_1) | instskip(NEXT) | instid1(VALU_DEP_1)
	v_and_b32_e32 v68, v68, v71
	v_mbcnt_lo_u32_b32 v188, v68, 0
	v_cmp_ne_u32_e64 s15, 0, v68
	s_delay_alu instid0(VALU_DEP_2)
	v_cmp_eq_u32_e32 vcc_lo, 0, v188
	s_and_b32 s16, s15, vcc_lo
	s_wait_alu 0xfffe
	s_and_saveexec_b32 s15, s16
	s_cbranch_execz .LBB739_1034
; %bb.1033:                             ;   in Loop: Header=BB739_982 Depth=2
	s_wait_dscnt 0x0
	v_bcnt_u32_b32 v68, v68, v187
	ds_store_b32 v189, v68 offset:1056
.LBB739_1034:                           ;   in Loop: Header=BB739_982 Depth=2
	s_wait_alu 0xfffe
	s_or_b32 exec_lo, exec_lo, s15
	v_xor_b32_e32 v67, 0x7fffffff, v67
	v_not_b32_e32 v66, v66
	; wave barrier
	s_delay_alu instid0(VALU_DEP_1) | instskip(NEXT) | instid1(VALU_DEP_1)
	v_lshrrev_b64 v[68:69], s31, v[66:67]
	v_and_b32_e32 v69, s54, v68
	s_delay_alu instid0(VALU_DEP_1)
	v_and_b32_e32 v68, 1, v69
	v_lshlrev_b32_e32 v70, 30, v69
	v_lshlrev_b32_e32 v71, 29, v69
	;; [unrolled: 1-line block ×4, first 2 shown]
	v_add_co_u32 v68, s15, v68, -1
	s_wait_alu 0xf1ff
	v_cndmask_b32_e64 v73, 0, 1, s15
	v_not_b32_e32 v191, v70
	v_cmp_gt_i32_e64 s15, 0, v70
	v_not_b32_e32 v70, v71
	v_lshlrev_b32_e32 v75, 26, v69
	v_cmp_ne_u32_e32 vcc_lo, 0, v73
	v_ashrrev_i32_e32 v191, 31, v191
	v_lshlrev_b32_e32 v190, 25, v69
	v_ashrrev_i32_e32 v70, 31, v70
	v_lshlrev_b32_e32 v73, 24, v69
	s_wait_alu 0xfffd
	v_xor_b32_e32 v68, vcc_lo, v68
	v_cmp_gt_i32_e32 vcc_lo, 0, v71
	v_not_b32_e32 v71, v72
	s_wait_alu 0xf1ff
	v_xor_b32_e32 v191, s15, v191
	v_cmp_gt_i32_e64 s15, 0, v72
	v_and_b32_e32 v68, exec_lo, v68
	v_not_b32_e32 v72, v74
	v_ashrrev_i32_e32 v71, 31, v71
	s_wait_alu 0xfffd
	v_xor_b32_e32 v70, vcc_lo, v70
	v_cmp_gt_i32_e32 vcc_lo, 0, v74
	v_and_b32_e32 v68, v68, v191
	v_not_b32_e32 v74, v75
	v_ashrrev_i32_e32 v72, 31, v72
	s_wait_alu 0xf1ff
	v_xor_b32_e32 v71, s15, v71
	v_cmp_gt_i32_e64 s15, 0, v75
	v_and_b32_e32 v68, v68, v70
	v_not_b32_e32 v70, v190
	v_ashrrev_i32_e32 v74, 31, v74
	s_wait_alu 0xfffd
	v_xor_b32_e32 v72, vcc_lo, v72
	v_cmp_gt_i32_e32 vcc_lo, 0, v190
	v_and_b32_e32 v68, v68, v71
	v_not_b32_e32 v71, v73
	v_ashrrev_i32_e32 v70, 31, v70
	s_wait_alu 0xf1ff
	v_xor_b32_e32 v74, s15, v74
	v_cmp_gt_i32_e64 s15, 0, v73
	v_and_b32_e32 v68, v68, v72
	v_ashrrev_i32_e32 v71, 31, v71
	s_wait_alu 0xfffd
	v_xor_b32_e32 v70, vcc_lo, v70
	v_mad_u32_u24 v72, v69, 36, v145
	v_mul_u32_u24_e32 v69, 36, v69
	v_and_b32_e32 v68, v68, v74
	s_wait_alu 0xf1ff
	v_xor_b32_e32 v71, s15, v71
	ds_load_b32 v190, v72 offset:1056
	v_add_nc_u32_e32 v192, v145, v69
	v_and_b32_e32 v68, v68, v70
	; wave barrier
	s_delay_alu instid0(VALU_DEP_1) | instskip(NEXT) | instid1(VALU_DEP_1)
	v_and_b32_e32 v68, v68, v71
	v_mbcnt_lo_u32_b32 v191, v68, 0
	v_cmp_ne_u32_e64 s15, 0, v68
	s_delay_alu instid0(VALU_DEP_2)
	v_cmp_eq_u32_e32 vcc_lo, 0, v191
	s_and_b32 s16, s15, vcc_lo
	s_wait_alu 0xfffe
	s_and_saveexec_b32 s15, s16
	s_cbranch_execz .LBB739_1036
; %bb.1035:                             ;   in Loop: Header=BB739_982 Depth=2
	s_wait_dscnt 0x0
	v_bcnt_u32_b32 v68, v68, v190
	ds_store_b32 v192, v68 offset:1056
.LBB739_1036:                           ;   in Loop: Header=BB739_982 Depth=2
	s_wait_alu 0xfffe
	s_or_b32 exec_lo, exec_lo, s15
	v_xor_b32_e32 v63, 0x7fffffff, v63
	v_not_b32_e32 v62, v62
	; wave barrier
	s_delay_alu instid0(VALU_DEP_1) | instskip(NEXT) | instid1(VALU_DEP_1)
	v_lshrrev_b64 v[68:69], s31, v[62:63]
	v_and_b32_e32 v69, s54, v68
	s_delay_alu instid0(VALU_DEP_1)
	v_and_b32_e32 v68, 1, v69
	v_lshlrev_b32_e32 v70, 30, v69
	v_lshlrev_b32_e32 v71, 29, v69
	;; [unrolled: 1-line block ×4, first 2 shown]
	v_add_co_u32 v68, s15, v68, -1
	s_wait_alu 0xf1ff
	v_cndmask_b32_e64 v73, 0, 1, s15
	v_not_b32_e32 v194, v70
	v_cmp_gt_i32_e64 s15, 0, v70
	v_not_b32_e32 v70, v71
	v_lshlrev_b32_e32 v75, 26, v69
	v_cmp_ne_u32_e32 vcc_lo, 0, v73
	v_ashrrev_i32_e32 v194, 31, v194
	v_lshlrev_b32_e32 v193, 25, v69
	v_ashrrev_i32_e32 v70, 31, v70
	v_lshlrev_b32_e32 v73, 24, v69
	s_wait_alu 0xfffd
	v_xor_b32_e32 v68, vcc_lo, v68
	v_cmp_gt_i32_e32 vcc_lo, 0, v71
	v_not_b32_e32 v71, v72
	s_wait_alu 0xf1ff
	v_xor_b32_e32 v194, s15, v194
	v_cmp_gt_i32_e64 s15, 0, v72
	v_and_b32_e32 v68, exec_lo, v68
	v_not_b32_e32 v72, v74
	v_ashrrev_i32_e32 v71, 31, v71
	s_wait_alu 0xfffd
	v_xor_b32_e32 v70, vcc_lo, v70
	v_cmp_gt_i32_e32 vcc_lo, 0, v74
	v_and_b32_e32 v68, v68, v194
	v_not_b32_e32 v74, v75
	v_ashrrev_i32_e32 v72, 31, v72
	s_wait_alu 0xf1ff
	v_xor_b32_e32 v71, s15, v71
	v_cmp_gt_i32_e64 s15, 0, v75
	v_and_b32_e32 v68, v68, v70
	v_not_b32_e32 v70, v193
	v_ashrrev_i32_e32 v74, 31, v74
	s_wait_alu 0xfffd
	v_xor_b32_e32 v72, vcc_lo, v72
	v_cmp_gt_i32_e32 vcc_lo, 0, v193
	v_and_b32_e32 v68, v68, v71
	v_not_b32_e32 v71, v73
	v_ashrrev_i32_e32 v70, 31, v70
	s_wait_alu 0xf1ff
	v_xor_b32_e32 v74, s15, v74
	v_cmp_gt_i32_e64 s15, 0, v73
	v_and_b32_e32 v68, v68, v72
	v_ashrrev_i32_e32 v71, 31, v71
	s_wait_alu 0xfffd
	v_xor_b32_e32 v70, vcc_lo, v70
	v_mad_u32_u24 v72, v69, 36, v145
	v_mul_u32_u24_e32 v69, 36, v69
	v_and_b32_e32 v68, v68, v74
	s_wait_alu 0xf1ff
	v_xor_b32_e32 v71, s15, v71
	ds_load_b32 v193, v72 offset:1056
	v_add_nc_u32_e32 v195, v145, v69
	v_and_b32_e32 v68, v68, v70
	; wave barrier
	s_delay_alu instid0(VALU_DEP_1) | instskip(NEXT) | instid1(VALU_DEP_1)
	v_and_b32_e32 v68, v68, v71
	v_mbcnt_lo_u32_b32 v194, v68, 0
	v_cmp_ne_u32_e64 s15, 0, v68
	s_delay_alu instid0(VALU_DEP_2)
	v_cmp_eq_u32_e32 vcc_lo, 0, v194
	s_and_b32 s16, s15, vcc_lo
	s_wait_alu 0xfffe
	s_and_saveexec_b32 s15, s16
	s_cbranch_execz .LBB739_1038
; %bb.1037:                             ;   in Loop: Header=BB739_982 Depth=2
	s_wait_dscnt 0x0
	v_bcnt_u32_b32 v68, v68, v193
	ds_store_b32 v195, v68 offset:1056
.LBB739_1038:                           ;   in Loop: Header=BB739_982 Depth=2
	s_wait_alu 0xfffe
	s_or_b32 exec_lo, exec_lo, s15
	v_xor_b32_e32 v59, 0x7fffffff, v59
	v_not_b32_e32 v58, v58
	; wave barrier
	s_delay_alu instid0(VALU_DEP_1) | instskip(NEXT) | instid1(VALU_DEP_1)
	v_lshrrev_b64 v[68:69], s31, v[58:59]
	v_and_b32_e32 v69, s54, v68
	s_delay_alu instid0(VALU_DEP_1)
	v_and_b32_e32 v68, 1, v69
	v_lshlrev_b32_e32 v70, 30, v69
	v_lshlrev_b32_e32 v71, 29, v69
	;; [unrolled: 1-line block ×4, first 2 shown]
	v_add_co_u32 v68, s15, v68, -1
	s_wait_alu 0xf1ff
	v_cndmask_b32_e64 v73, 0, 1, s15
	v_not_b32_e32 v197, v70
	v_cmp_gt_i32_e64 s15, 0, v70
	v_not_b32_e32 v70, v71
	v_lshlrev_b32_e32 v75, 26, v69
	v_cmp_ne_u32_e32 vcc_lo, 0, v73
	v_ashrrev_i32_e32 v197, 31, v197
	v_lshlrev_b32_e32 v196, 25, v69
	v_ashrrev_i32_e32 v70, 31, v70
	v_lshlrev_b32_e32 v73, 24, v69
	s_wait_alu 0xfffd
	v_xor_b32_e32 v68, vcc_lo, v68
	v_cmp_gt_i32_e32 vcc_lo, 0, v71
	v_not_b32_e32 v71, v72
	s_wait_alu 0xf1ff
	v_xor_b32_e32 v197, s15, v197
	v_cmp_gt_i32_e64 s15, 0, v72
	v_and_b32_e32 v68, exec_lo, v68
	v_not_b32_e32 v72, v74
	v_ashrrev_i32_e32 v71, 31, v71
	s_wait_alu 0xfffd
	v_xor_b32_e32 v70, vcc_lo, v70
	v_cmp_gt_i32_e32 vcc_lo, 0, v74
	v_and_b32_e32 v68, v68, v197
	v_not_b32_e32 v74, v75
	v_ashrrev_i32_e32 v72, 31, v72
	s_wait_alu 0xf1ff
	v_xor_b32_e32 v71, s15, v71
	v_cmp_gt_i32_e64 s15, 0, v75
	v_and_b32_e32 v68, v68, v70
	v_not_b32_e32 v70, v196
	v_ashrrev_i32_e32 v74, 31, v74
	s_wait_alu 0xfffd
	v_xor_b32_e32 v72, vcc_lo, v72
	v_cmp_gt_i32_e32 vcc_lo, 0, v196
	v_and_b32_e32 v68, v68, v71
	v_not_b32_e32 v71, v73
	v_ashrrev_i32_e32 v70, 31, v70
	s_wait_alu 0xf1ff
	v_xor_b32_e32 v74, s15, v74
	v_cmp_gt_i32_e64 s15, 0, v73
	v_and_b32_e32 v68, v68, v72
	v_ashrrev_i32_e32 v71, 31, v71
	s_wait_alu 0xfffd
	v_xor_b32_e32 v70, vcc_lo, v70
	v_mad_u32_u24 v72, v69, 36, v145
	v_mul_u32_u24_e32 v69, 36, v69
	v_and_b32_e32 v68, v68, v74
	s_wait_alu 0xf1ff
	v_xor_b32_e32 v71, s15, v71
	ds_load_b32 v196, v72 offset:1056
	v_add_nc_u32_e32 v198, v145, v69
	v_and_b32_e32 v68, v68, v70
	; wave barrier
	s_delay_alu instid0(VALU_DEP_1) | instskip(NEXT) | instid1(VALU_DEP_1)
	v_and_b32_e32 v68, v68, v71
	v_mbcnt_lo_u32_b32 v197, v68, 0
	v_cmp_ne_u32_e64 s15, 0, v68
	s_delay_alu instid0(VALU_DEP_2)
	v_cmp_eq_u32_e32 vcc_lo, 0, v197
	s_and_b32 s16, s15, vcc_lo
	s_wait_alu 0xfffe
	s_and_saveexec_b32 s15, s16
	s_cbranch_execz .LBB739_1040
; %bb.1039:                             ;   in Loop: Header=BB739_982 Depth=2
	s_wait_dscnt 0x0
	v_bcnt_u32_b32 v68, v68, v196
	ds_store_b32 v198, v68 offset:1056
.LBB739_1040:                           ;   in Loop: Header=BB739_982 Depth=2
	s_wait_alu 0xfffe
	s_or_b32 exec_lo, exec_lo, s15
	v_xor_b32_e32 v55, 0x7fffffff, v55
	v_not_b32_e32 v54, v54
	; wave barrier
	s_delay_alu instid0(VALU_DEP_1) | instskip(NEXT) | instid1(VALU_DEP_1)
	v_lshrrev_b64 v[68:69], s31, v[54:55]
	v_and_b32_e32 v69, s54, v68
	s_delay_alu instid0(VALU_DEP_1)
	v_and_b32_e32 v68, 1, v69
	v_lshlrev_b32_e32 v70, 30, v69
	v_lshlrev_b32_e32 v71, 29, v69
	;; [unrolled: 1-line block ×4, first 2 shown]
	v_add_co_u32 v68, s15, v68, -1
	s_wait_alu 0xf1ff
	v_cndmask_b32_e64 v73, 0, 1, s15
	v_not_b32_e32 v200, v70
	v_cmp_gt_i32_e64 s15, 0, v70
	v_not_b32_e32 v70, v71
	v_lshlrev_b32_e32 v75, 26, v69
	v_cmp_ne_u32_e32 vcc_lo, 0, v73
	v_ashrrev_i32_e32 v200, 31, v200
	v_lshlrev_b32_e32 v199, 25, v69
	v_ashrrev_i32_e32 v70, 31, v70
	v_lshlrev_b32_e32 v73, 24, v69
	s_wait_alu 0xfffd
	v_xor_b32_e32 v68, vcc_lo, v68
	v_cmp_gt_i32_e32 vcc_lo, 0, v71
	v_not_b32_e32 v71, v72
	s_wait_alu 0xf1ff
	v_xor_b32_e32 v200, s15, v200
	v_cmp_gt_i32_e64 s15, 0, v72
	v_and_b32_e32 v68, exec_lo, v68
	v_not_b32_e32 v72, v74
	v_ashrrev_i32_e32 v71, 31, v71
	s_wait_alu 0xfffd
	v_xor_b32_e32 v70, vcc_lo, v70
	v_cmp_gt_i32_e32 vcc_lo, 0, v74
	v_and_b32_e32 v68, v68, v200
	v_not_b32_e32 v74, v75
	v_ashrrev_i32_e32 v72, 31, v72
	s_wait_alu 0xf1ff
	v_xor_b32_e32 v71, s15, v71
	v_cmp_gt_i32_e64 s15, 0, v75
	v_and_b32_e32 v68, v68, v70
	v_not_b32_e32 v70, v199
	v_ashrrev_i32_e32 v74, 31, v74
	s_wait_alu 0xfffd
	v_xor_b32_e32 v72, vcc_lo, v72
	v_cmp_gt_i32_e32 vcc_lo, 0, v199
	v_and_b32_e32 v68, v68, v71
	v_not_b32_e32 v71, v73
	v_ashrrev_i32_e32 v70, 31, v70
	s_wait_alu 0xf1ff
	v_xor_b32_e32 v74, s15, v74
	v_cmp_gt_i32_e64 s15, 0, v73
	v_and_b32_e32 v68, v68, v72
	v_ashrrev_i32_e32 v71, 31, v71
	s_wait_alu 0xfffd
	v_xor_b32_e32 v70, vcc_lo, v70
	v_mad_u32_u24 v72, v69, 36, v145
	v_mul_u32_u24_e32 v69, 36, v69
	v_and_b32_e32 v68, v68, v74
	s_wait_alu 0xf1ff
	v_xor_b32_e32 v71, s15, v71
	ds_load_b32 v199, v72 offset:1056
	v_add_nc_u32_e32 v201, v145, v69
	v_and_b32_e32 v68, v68, v70
	; wave barrier
	s_delay_alu instid0(VALU_DEP_1) | instskip(NEXT) | instid1(VALU_DEP_1)
	v_and_b32_e32 v68, v68, v71
	v_mbcnt_lo_u32_b32 v200, v68, 0
	v_cmp_ne_u32_e64 s15, 0, v68
	s_delay_alu instid0(VALU_DEP_2)
	v_cmp_eq_u32_e32 vcc_lo, 0, v200
	s_and_b32 s16, s15, vcc_lo
	s_wait_alu 0xfffe
	s_and_saveexec_b32 s15, s16
	s_cbranch_execz .LBB739_1042
; %bb.1041:                             ;   in Loop: Header=BB739_982 Depth=2
	s_wait_dscnt 0x0
	v_bcnt_u32_b32 v68, v68, v199
	ds_store_b32 v201, v68 offset:1056
.LBB739_1042:                           ;   in Loop: Header=BB739_982 Depth=2
	s_wait_alu 0xfffe
	s_or_b32 exec_lo, exec_lo, s15
	v_xor_b32_e32 v51, 0x7fffffff, v51
	v_not_b32_e32 v50, v50
	; wave barrier
	s_delay_alu instid0(VALU_DEP_1) | instskip(NEXT) | instid1(VALU_DEP_1)
	v_lshrrev_b64 v[68:69], s31, v[50:51]
	v_and_b32_e32 v69, s54, v68
	s_delay_alu instid0(VALU_DEP_1)
	v_and_b32_e32 v68, 1, v69
	v_lshlrev_b32_e32 v70, 30, v69
	v_lshlrev_b32_e32 v71, 29, v69
	;; [unrolled: 1-line block ×4, first 2 shown]
	v_add_co_u32 v68, s15, v68, -1
	s_wait_alu 0xf1ff
	v_cndmask_b32_e64 v73, 0, 1, s15
	v_not_b32_e32 v203, v70
	v_cmp_gt_i32_e64 s15, 0, v70
	v_not_b32_e32 v70, v71
	v_lshlrev_b32_e32 v75, 26, v69
	v_cmp_ne_u32_e32 vcc_lo, 0, v73
	v_ashrrev_i32_e32 v203, 31, v203
	v_lshlrev_b32_e32 v202, 25, v69
	v_ashrrev_i32_e32 v70, 31, v70
	v_lshlrev_b32_e32 v73, 24, v69
	s_wait_alu 0xfffd
	v_xor_b32_e32 v68, vcc_lo, v68
	v_cmp_gt_i32_e32 vcc_lo, 0, v71
	v_not_b32_e32 v71, v72
	s_wait_alu 0xf1ff
	v_xor_b32_e32 v203, s15, v203
	v_cmp_gt_i32_e64 s15, 0, v72
	v_and_b32_e32 v68, exec_lo, v68
	v_not_b32_e32 v72, v74
	v_ashrrev_i32_e32 v71, 31, v71
	s_wait_alu 0xfffd
	v_xor_b32_e32 v70, vcc_lo, v70
	v_cmp_gt_i32_e32 vcc_lo, 0, v74
	v_and_b32_e32 v68, v68, v203
	v_not_b32_e32 v74, v75
	v_ashrrev_i32_e32 v72, 31, v72
	s_wait_alu 0xf1ff
	v_xor_b32_e32 v71, s15, v71
	v_cmp_gt_i32_e64 s15, 0, v75
	v_and_b32_e32 v68, v68, v70
	v_not_b32_e32 v70, v202
	v_ashrrev_i32_e32 v74, 31, v74
	s_wait_alu 0xfffd
	v_xor_b32_e32 v72, vcc_lo, v72
	v_cmp_gt_i32_e32 vcc_lo, 0, v202
	v_and_b32_e32 v68, v68, v71
	v_not_b32_e32 v71, v73
	v_ashrrev_i32_e32 v70, 31, v70
	s_wait_alu 0xf1ff
	v_xor_b32_e32 v74, s15, v74
	v_cmp_gt_i32_e64 s15, 0, v73
	v_and_b32_e32 v68, v68, v72
	v_ashrrev_i32_e32 v71, 31, v71
	s_wait_alu 0xfffd
	v_xor_b32_e32 v70, vcc_lo, v70
	v_mad_u32_u24 v72, v69, 36, v145
	v_mul_u32_u24_e32 v69, 36, v69
	v_and_b32_e32 v68, v68, v74
	s_wait_alu 0xf1ff
	v_xor_b32_e32 v71, s15, v71
	ds_load_b32 v202, v72 offset:1056
	v_add_nc_u32_e32 v205, v145, v69
	v_and_b32_e32 v68, v68, v70
	; wave barrier
	s_delay_alu instid0(VALU_DEP_1) | instskip(NEXT) | instid1(VALU_DEP_1)
	v_and_b32_e32 v68, v68, v71
	v_mbcnt_lo_u32_b32 v203, v68, 0
	v_cmp_ne_u32_e64 s15, 0, v68
	s_delay_alu instid0(VALU_DEP_2)
	v_cmp_eq_u32_e32 vcc_lo, 0, v203
	s_and_b32 s16, s15, vcc_lo
	s_wait_alu 0xfffe
	s_and_saveexec_b32 s15, s16
	s_cbranch_execz .LBB739_1044
; %bb.1043:                             ;   in Loop: Header=BB739_982 Depth=2
	s_wait_dscnt 0x0
	v_bcnt_u32_b32 v68, v68, v202
	ds_store_b32 v205, v68 offset:1056
.LBB739_1044:                           ;   in Loop: Header=BB739_982 Depth=2
	s_wait_alu 0xfffe
	s_or_b32 exec_lo, exec_lo, s15
	v_xor_b32_e32 v49, 0x7fffffff, v49
	v_not_b32_e32 v48, v48
	; wave barrier
	s_delay_alu instid0(VALU_DEP_1) | instskip(NEXT) | instid1(VALU_DEP_1)
	v_lshrrev_b64 v[68:69], s31, v[48:49]
	v_and_b32_e32 v69, s54, v68
	s_delay_alu instid0(VALU_DEP_1)
	v_and_b32_e32 v68, 1, v69
	v_lshlrev_b32_e32 v70, 30, v69
	v_lshlrev_b32_e32 v71, 29, v69
	;; [unrolled: 1-line block ×4, first 2 shown]
	v_add_co_u32 v68, s15, v68, -1
	s_wait_alu 0xf1ff
	v_cndmask_b32_e64 v73, 0, 1, s15
	v_not_b32_e32 v206, v70
	v_cmp_gt_i32_e64 s15, 0, v70
	v_not_b32_e32 v70, v71
	v_lshlrev_b32_e32 v75, 26, v69
	v_cmp_ne_u32_e32 vcc_lo, 0, v73
	v_ashrrev_i32_e32 v206, 31, v206
	v_lshlrev_b32_e32 v204, 25, v69
	v_ashrrev_i32_e32 v70, 31, v70
	v_lshlrev_b32_e32 v73, 24, v69
	s_wait_alu 0xfffd
	v_xor_b32_e32 v68, vcc_lo, v68
	v_cmp_gt_i32_e32 vcc_lo, 0, v71
	v_not_b32_e32 v71, v72
	s_wait_alu 0xf1ff
	v_xor_b32_e32 v206, s15, v206
	v_cmp_gt_i32_e64 s15, 0, v72
	v_and_b32_e32 v68, exec_lo, v68
	v_not_b32_e32 v72, v74
	v_ashrrev_i32_e32 v71, 31, v71
	s_wait_alu 0xfffd
	v_xor_b32_e32 v70, vcc_lo, v70
	v_cmp_gt_i32_e32 vcc_lo, 0, v74
	v_and_b32_e32 v68, v68, v206
	v_not_b32_e32 v74, v75
	v_ashrrev_i32_e32 v72, 31, v72
	s_wait_alu 0xf1ff
	v_xor_b32_e32 v71, s15, v71
	v_cmp_gt_i32_e64 s15, 0, v75
	v_and_b32_e32 v68, v68, v70
	v_not_b32_e32 v70, v204
	v_ashrrev_i32_e32 v74, 31, v74
	s_wait_alu 0xfffd
	v_xor_b32_e32 v72, vcc_lo, v72
	v_cmp_gt_i32_e32 vcc_lo, 0, v204
	v_and_b32_e32 v68, v68, v71
	v_not_b32_e32 v71, v73
	v_ashrrev_i32_e32 v70, 31, v70
	s_wait_alu 0xf1ff
	v_xor_b32_e32 v74, s15, v74
	v_cmp_gt_i32_e64 s15, 0, v73
	v_and_b32_e32 v68, v68, v72
	v_ashrrev_i32_e32 v71, 31, v71
	s_wait_alu 0xfffd
	v_xor_b32_e32 v70, vcc_lo, v70
	v_mad_u32_u24 v72, v69, 36, v145
	v_mul_u32_u24_e32 v69, 36, v69
	v_and_b32_e32 v68, v68, v74
	s_wait_alu 0xf1ff
	v_xor_b32_e32 v71, s15, v71
	ds_load_b32 v204, v72 offset:1056
	v_add_nc_u32_e32 v208, v145, v69
	v_and_b32_e32 v68, v68, v70
	; wave barrier
	s_delay_alu instid0(VALU_DEP_1) | instskip(NEXT) | instid1(VALU_DEP_1)
	v_and_b32_e32 v68, v68, v71
	v_mbcnt_lo_u32_b32 v206, v68, 0
	v_cmp_ne_u32_e64 s15, 0, v68
	s_delay_alu instid0(VALU_DEP_2)
	v_cmp_eq_u32_e32 vcc_lo, 0, v206
	s_and_b32 s16, s15, vcc_lo
	s_wait_alu 0xfffe
	s_and_saveexec_b32 s15, s16
	s_cbranch_execz .LBB739_1046
; %bb.1045:                             ;   in Loop: Header=BB739_982 Depth=2
	s_wait_dscnt 0x0
	v_bcnt_u32_b32 v68, v68, v204
	ds_store_b32 v208, v68 offset:1056
.LBB739_1046:                           ;   in Loop: Header=BB739_982 Depth=2
	s_wait_alu 0xfffe
	s_or_b32 exec_lo, exec_lo, s15
	v_xor_b32_e32 v45, 0x7fffffff, v45
	v_not_b32_e32 v44, v44
	; wave barrier
	s_delay_alu instid0(VALU_DEP_1) | instskip(NEXT) | instid1(VALU_DEP_1)
	v_lshrrev_b64 v[68:69], s31, v[44:45]
	v_and_b32_e32 v69, s54, v68
	s_delay_alu instid0(VALU_DEP_1)
	v_and_b32_e32 v68, 1, v69
	v_lshlrev_b32_e32 v70, 30, v69
	v_lshlrev_b32_e32 v71, 29, v69
	;; [unrolled: 1-line block ×4, first 2 shown]
	v_add_co_u32 v68, s15, v68, -1
	s_wait_alu 0xf1ff
	v_cndmask_b32_e64 v73, 0, 1, s15
	v_not_b32_e32 v209, v70
	v_cmp_gt_i32_e64 s15, 0, v70
	v_not_b32_e32 v70, v71
	v_lshlrev_b32_e32 v75, 26, v69
	v_cmp_ne_u32_e32 vcc_lo, 0, v73
	v_ashrrev_i32_e32 v209, 31, v209
	v_lshlrev_b32_e32 v207, 25, v69
	v_ashrrev_i32_e32 v70, 31, v70
	v_lshlrev_b32_e32 v73, 24, v69
	s_wait_alu 0xfffd
	v_xor_b32_e32 v68, vcc_lo, v68
	v_cmp_gt_i32_e32 vcc_lo, 0, v71
	v_not_b32_e32 v71, v72
	s_wait_alu 0xf1ff
	v_xor_b32_e32 v209, s15, v209
	v_cmp_gt_i32_e64 s15, 0, v72
	v_and_b32_e32 v68, exec_lo, v68
	v_not_b32_e32 v72, v74
	v_ashrrev_i32_e32 v71, 31, v71
	s_wait_alu 0xfffd
	v_xor_b32_e32 v70, vcc_lo, v70
	v_cmp_gt_i32_e32 vcc_lo, 0, v74
	v_and_b32_e32 v68, v68, v209
	v_not_b32_e32 v74, v75
	v_ashrrev_i32_e32 v72, 31, v72
	s_wait_alu 0xf1ff
	v_xor_b32_e32 v71, s15, v71
	v_cmp_gt_i32_e64 s15, 0, v75
	v_and_b32_e32 v68, v68, v70
	v_not_b32_e32 v70, v207
	v_ashrrev_i32_e32 v74, 31, v74
	s_wait_alu 0xfffd
	v_xor_b32_e32 v72, vcc_lo, v72
	v_cmp_gt_i32_e32 vcc_lo, 0, v207
	v_and_b32_e32 v68, v68, v71
	v_not_b32_e32 v71, v73
	v_ashrrev_i32_e32 v70, 31, v70
	s_wait_alu 0xf1ff
	v_xor_b32_e32 v74, s15, v74
	v_cmp_gt_i32_e64 s15, 0, v73
	v_and_b32_e32 v68, v68, v72
	v_ashrrev_i32_e32 v71, 31, v71
	s_wait_alu 0xfffd
	v_xor_b32_e32 v70, vcc_lo, v70
	v_mad_u32_u24 v72, v69, 36, v145
	v_mul_u32_u24_e32 v69, 36, v69
	v_and_b32_e32 v68, v68, v74
	s_wait_alu 0xf1ff
	v_xor_b32_e32 v71, s15, v71
	ds_load_b32 v207, v72 offset:1056
	v_add_nc_u32_e32 v212, v145, v69
	v_and_b32_e32 v68, v68, v70
	; wave barrier
	s_delay_alu instid0(VALU_DEP_1) | instskip(NEXT) | instid1(VALU_DEP_1)
	v_and_b32_e32 v68, v68, v71
	v_mbcnt_lo_u32_b32 v209, v68, 0
	v_cmp_ne_u32_e64 s15, 0, v68
	s_delay_alu instid0(VALU_DEP_2)
	v_cmp_eq_u32_e32 vcc_lo, 0, v209
	s_and_b32 s16, s15, vcc_lo
	s_wait_alu 0xfffe
	s_and_saveexec_b32 s15, s16
	s_cbranch_execz .LBB739_1048
; %bb.1047:                             ;   in Loop: Header=BB739_982 Depth=2
	s_wait_dscnt 0x0
	v_bcnt_u32_b32 v68, v68, v207
	ds_store_b32 v212, v68 offset:1056
.LBB739_1048:                           ;   in Loop: Header=BB739_982 Depth=2
	s_wait_alu 0xfffe
	s_or_b32 exec_lo, exec_lo, s15
	v_lshrrev_b64 v[68:69], s31, v[36:37]
	; wave barrier
	s_delay_alu instid0(VALU_DEP_1) | instskip(NEXT) | instid1(VALU_DEP_1)
	v_and_b32_e32 v69, s54, v68
	v_and_b32_e32 v68, 1, v69
	v_lshlrev_b32_e32 v70, 30, v69
	v_lshlrev_b32_e32 v71, 29, v69
	;; [unrolled: 1-line block ×4, first 2 shown]
	v_add_co_u32 v68, s15, v68, -1
	s_wait_alu 0xf1ff
	v_cndmask_b32_e64 v73, 0, 1, s15
	v_not_b32_e32 v211, v70
	v_cmp_gt_i32_e64 s15, 0, v70
	v_not_b32_e32 v70, v71
	v_lshlrev_b32_e32 v75, 26, v69
	v_cmp_ne_u32_e32 vcc_lo, 0, v73
	v_ashrrev_i32_e32 v211, 31, v211
	v_lshlrev_b32_e32 v210, 25, v69
	v_ashrrev_i32_e32 v70, 31, v70
	v_lshlrev_b32_e32 v73, 24, v69
	s_wait_alu 0xfffd
	v_xor_b32_e32 v68, vcc_lo, v68
	v_cmp_gt_i32_e32 vcc_lo, 0, v71
	v_not_b32_e32 v71, v72
	s_wait_alu 0xf1ff
	v_xor_b32_e32 v211, s15, v211
	v_cmp_gt_i32_e64 s15, 0, v72
	v_and_b32_e32 v68, exec_lo, v68
	v_not_b32_e32 v72, v74
	v_ashrrev_i32_e32 v71, 31, v71
	s_wait_alu 0xfffd
	v_xor_b32_e32 v70, vcc_lo, v70
	v_cmp_gt_i32_e32 vcc_lo, 0, v74
	v_and_b32_e32 v68, v68, v211
	v_not_b32_e32 v74, v75
	v_ashrrev_i32_e32 v72, 31, v72
	s_wait_alu 0xf1ff
	v_xor_b32_e32 v71, s15, v71
	v_cmp_gt_i32_e64 s15, 0, v75
	v_and_b32_e32 v68, v68, v70
	v_not_b32_e32 v70, v210
	v_ashrrev_i32_e32 v74, 31, v74
	s_wait_alu 0xfffd
	v_xor_b32_e32 v72, vcc_lo, v72
	v_cmp_gt_i32_e32 vcc_lo, 0, v210
	v_and_b32_e32 v68, v68, v71
	v_not_b32_e32 v71, v73
	v_ashrrev_i32_e32 v70, 31, v70
	s_wait_alu 0xf1ff
	v_xor_b32_e32 v74, s15, v74
	v_cmp_gt_i32_e64 s15, 0, v73
	v_and_b32_e32 v68, v68, v72
	v_ashrrev_i32_e32 v71, 31, v71
	s_wait_alu 0xfffd
	v_xor_b32_e32 v70, vcc_lo, v70
	v_mad_u32_u24 v72, v69, 36, v145
	v_mul_u32_u24_e32 v69, 36, v69
	v_and_b32_e32 v68, v68, v74
	s_wait_alu 0xf1ff
	v_xor_b32_e32 v71, s15, v71
	ds_load_b32 v210, v72 offset:1056
	v_add_nc_u32_e32 v213, v145, v69
	v_and_b32_e32 v68, v68, v70
	; wave barrier
	s_delay_alu instid0(VALU_DEP_1) | instskip(NEXT) | instid1(VALU_DEP_1)
	v_and_b32_e32 v68, v68, v71
	v_mbcnt_lo_u32_b32 v211, v68, 0
	v_cmp_ne_u32_e64 s15, 0, v68
	s_delay_alu instid0(VALU_DEP_2)
	v_cmp_eq_u32_e32 vcc_lo, 0, v211
	s_and_b32 s16, s15, vcc_lo
	s_wait_alu 0xfffe
	s_and_saveexec_b32 s15, s16
	s_cbranch_execz .LBB739_1050
; %bb.1049:                             ;   in Loop: Header=BB739_982 Depth=2
	s_wait_dscnt 0x0
	v_bcnt_u32_b32 v68, v68, v210
	ds_store_b32 v213, v68 offset:1056
.LBB739_1050:                           ;   in Loop: Header=BB739_982 Depth=2
	s_wait_alu 0xfffe
	s_or_b32 exec_lo, exec_lo, s15
	; wave barrier
	s_wait_loadcnt_dscnt 0x0
	s_barrier_signal -1
	s_barrier_wait -1
	global_inv scope:SCOPE_SE
	ds_load_2addr_b32 v[74:75], v165 offset1:1
	ds_load_2addr_b32 v[72:73], v166 offset1:1
	;; [unrolled: 1-line block ×4, first 2 shown]
	ds_load_b32 v214, v100 offset:1088
	s_wait_dscnt 0x3
	v_add3_u32 v215, v75, v74, v72
	s_wait_dscnt 0x2
	s_delay_alu instid0(VALU_DEP_1) | instskip(SKIP_1) | instid1(VALU_DEP_1)
	v_add3_u32 v215, v215, v73, v70
	s_wait_dscnt 0x1
	v_add3_u32 v215, v215, v71, v68
	s_wait_dscnt 0x0
	s_delay_alu instid0(VALU_DEP_1) | instskip(NEXT) | instid1(VALU_DEP_1)
	v_add3_u32 v214, v215, v69, v214
	v_mov_b32_dpp v215, v214 row_shr:1 row_mask:0xf bank_mask:0xf
	s_delay_alu instid0(VALU_DEP_1) | instskip(NEXT) | instid1(VALU_DEP_1)
	v_cndmask_b32_e64 v215, v215, 0, s0
	v_add_nc_u32_e32 v214, v215, v214
	s_delay_alu instid0(VALU_DEP_1) | instskip(NEXT) | instid1(VALU_DEP_1)
	v_mov_b32_dpp v215, v214 row_shr:2 row_mask:0xf bank_mask:0xf
	v_cndmask_b32_e64 v215, 0, v215, s1
	s_delay_alu instid0(VALU_DEP_1) | instskip(NEXT) | instid1(VALU_DEP_1)
	v_add_nc_u32_e32 v214, v214, v215
	v_mov_b32_dpp v215, v214 row_shr:4 row_mask:0xf bank_mask:0xf
	s_delay_alu instid0(VALU_DEP_1) | instskip(NEXT) | instid1(VALU_DEP_1)
	v_cndmask_b32_e64 v215, 0, v215, s8
	v_add_nc_u32_e32 v214, v214, v215
	s_delay_alu instid0(VALU_DEP_1) | instskip(NEXT) | instid1(VALU_DEP_1)
	v_mov_b32_dpp v215, v214 row_shr:8 row_mask:0xf bank_mask:0xf
	v_cndmask_b32_e64 v215, 0, v215, s9
	s_delay_alu instid0(VALU_DEP_1) | instskip(SKIP_3) | instid1(VALU_DEP_1)
	v_add_nc_u32_e32 v214, v214, v215
	ds_swizzle_b32 v215, v214 offset:swizzle(BROADCAST,32,15)
	s_wait_dscnt 0x0
	v_cndmask_b32_e64 v215, v215, 0, s10
	v_add_nc_u32_e32 v214, v214, v215
	s_and_saveexec_b32 s15, s3
; %bb.1051:                             ;   in Loop: Header=BB739_982 Depth=2
	ds_store_b32 v95, v214 offset:1024
; %bb.1052:                             ;   in Loop: Header=BB739_982 Depth=2
	s_wait_alu 0xfffe
	s_or_b32 exec_lo, exec_lo, s15
	s_wait_loadcnt_dscnt 0x0
	s_barrier_signal -1
	s_barrier_wait -1
	global_inv scope:SCOPE_SE
	s_and_saveexec_b32 s15, s4
	s_cbranch_execz .LBB739_1054
; %bb.1053:                             ;   in Loop: Header=BB739_982 Depth=2
	ds_load_b32 v215, v103 offset:1024
	s_wait_dscnt 0x0
	v_mov_b32_dpp v216, v215 row_shr:1 row_mask:0xf bank_mask:0xf
	s_delay_alu instid0(VALU_DEP_1) | instskip(NEXT) | instid1(VALU_DEP_1)
	v_cndmask_b32_e64 v216, v216, 0, s12
	v_add_nc_u32_e32 v215, v216, v215
	s_delay_alu instid0(VALU_DEP_1) | instskip(NEXT) | instid1(VALU_DEP_1)
	v_mov_b32_dpp v216, v215 row_shr:2 row_mask:0xf bank_mask:0xf
	v_cndmask_b32_e64 v216, 0, v216, s13
	s_delay_alu instid0(VALU_DEP_1) | instskip(NEXT) | instid1(VALU_DEP_1)
	v_add_nc_u32_e32 v215, v215, v216
	v_mov_b32_dpp v216, v215 row_shr:4 row_mask:0xf bank_mask:0xf
	s_delay_alu instid0(VALU_DEP_1) | instskip(NEXT) | instid1(VALU_DEP_1)
	v_cndmask_b32_e64 v216, 0, v216, s14
	v_add_nc_u32_e32 v215, v215, v216
	ds_store_b32 v103, v215 offset:1024
.LBB739_1054:                           ;   in Loop: Header=BB739_982 Depth=2
	s_wait_alu 0xfffe
	s_or_b32 exec_lo, exec_lo, s15
	v_mov_b32_e32 v215, 0
	s_wait_loadcnt_dscnt 0x0
	s_barrier_signal -1
	s_barrier_wait -1
	global_inv scope:SCOPE_SE
	s_and_saveexec_b32 s15, s5
; %bb.1055:                             ;   in Loop: Header=BB739_982 Depth=2
	ds_load_b32 v215, v95 offset:1020
; %bb.1056:                             ;   in Loop: Header=BB739_982 Depth=2
	s_wait_alu 0xfffe
	s_or_b32 exec_lo, exec_lo, s15
	s_wait_dscnt 0x0
	v_add_nc_u32_e32 v214, v215, v214
	ds_bpermute_b32 v214, v124, v214
	s_wait_dscnt 0x0
	v_cndmask_b32_e64 v214, v214, v215, s11
	s_delay_alu instid0(VALU_DEP_1) | instskip(NEXT) | instid1(VALU_DEP_1)
	v_cndmask_b32_e64 v214, v214, 0, s6
	v_add_nc_u32_e32 v74, v214, v74
	s_delay_alu instid0(VALU_DEP_1) | instskip(NEXT) | instid1(VALU_DEP_1)
	v_add_nc_u32_e32 v75, v74, v75
	v_add_nc_u32_e32 v72, v75, v72
	s_delay_alu instid0(VALU_DEP_1) | instskip(NEXT) | instid1(VALU_DEP_1)
	v_add_nc_u32_e32 v73, v72, v73
	;; [unrolled: 3-line block ×3, first 2 shown]
	v_add_nc_u32_e32 v68, v71, v68
	s_delay_alu instid0(VALU_DEP_1)
	v_add_nc_u32_e32 v69, v68, v69
	ds_store_2addr_b32 v164, v71, v68 offset1:1
	ds_store_2addr_b32 v165, v214, v74 offset1:1
	;; [unrolled: 1-line block ×4, first 2 shown]
	ds_store_b32 v100, v69 offset:1088
	s_wait_loadcnt_dscnt 0x0
	s_barrier_signal -1
	s_barrier_wait -1
	global_inv scope:SCOPE_SE
	ds_load_b32 v69, v168 offset:1056
	ds_load_b32 v215, v171 offset:1056
	;; [unrolled: 1-line block ×17, first 2 shown]
	v_mov_b32_e32 v68, 0x1000
	s_and_saveexec_b32 s15, s7
; %bb.1057:                             ;   in Loop: Header=BB739_982 Depth=2
	ds_load_b32 v68, v100 offset:1092
; %bb.1058:                             ;   in Loop: Header=BB739_982 Depth=2
	s_wait_alu 0xfffe
	s_or_b32 exec_lo, exec_lo, s15
	s_wait_loadcnt_dscnt 0x0
	s_barrier_signal -1
	s_barrier_wait -1
	global_inv scope:SCOPE_SE
	s_and_saveexec_b32 s15, s2
	s_cbranch_execz .LBB739_1060
; %bb.1059:                             ;   in Loop: Header=BB739_982 Depth=2
	ds_load_b32 v180, v76
	s_wait_dscnt 0x0
	v_sub_nc_u32_e32 v177, v180, v177
	ds_store_b32 v76, v177
.LBB739_1060:                           ;   in Loop: Header=BB739_982 Depth=2
	s_wait_alu 0xfffe
	s_or_b32 exec_lo, exec_lo, s15
	v_lshlrev_b32_e32 v163, 3, v163
	v_lshlrev_b32_e32 v170, 3, v170
	;; [unrolled: 1-line block ×5, first 2 shown]
	v_lshl_add_u32 v69, v69, 3, v163
	v_lshlrev_b32_e32 v163, 3, v172
	v_lshlrev_b32_e32 v172, 3, v214
	;; [unrolled: 1-line block ×11, first 2 shown]
	ds_store_b64 v69, v[38:39] offset:1024
	v_add3_u32 v38, v170, v169, v177
	v_add3_u32 v39, v173, v163, v172
	;; [unrolled: 1-line block ×5, first 2 shown]
	ds_store_b64 v38, v[40:41] offset:1024
	ds_store_b64 v39, v[42:43] offset:1024
	;; [unrolled: 1-line block ×5, first 2 shown]
	v_lshlrev_b32_e32 v40, 3, v185
	v_lshlrev_b32_e32 v41, 3, v184
	;; [unrolled: 1-line block ×15, first 2 shown]
	v_add3_u32 v40, v40, v41, v42
	v_add3_u32 v41, v43, v46, v47
	;; [unrolled: 1-line block ×5, first 2 shown]
	ds_store_b64 v40, v[60:61] offset:1024
	ds_store_b64 v41, v[64:65] offset:1024
	;; [unrolled: 1-line block ×5, first 2 shown]
	v_lshlrev_b32_e32 v47, 3, v200
	v_lshlrev_b32_e32 v52, 3, v199
	;; [unrolled: 1-line block ×15, first 2 shown]
	v_add3_u32 v47, v47, v52, v53
	v_add3_u32 v52, v56, v57, v58
	;; [unrolled: 1-line block ×5, first 2 shown]
	v_cmp_lt_u32_e32 vcc_lo, v1, v162
	ds_store_b64 v47, v[54:55] offset:1024
	ds_store_b64 v52, v[50:51] offset:1024
	;; [unrolled: 1-line block ×5, first 2 shown]
	s_wait_loadcnt_dscnt 0x0
	s_barrier_signal -1
	s_barrier_wait -1
	global_inv scope:SCOPE_SE
	s_and_saveexec_b32 s16, vcc_lo
	s_cbranch_execnz .LBB739_1129
; %bb.1061:                             ;   in Loop: Header=BB739_982 Depth=2
	s_wait_alu 0xfffe
	s_or_b32 exec_lo, exec_lo, s16
	v_cmp_lt_u32_e64 s15, v77, v162
	s_and_saveexec_b32 s17, s15
	s_cbranch_execnz .LBB739_1130
.LBB739_1062:                           ;   in Loop: Header=BB739_982 Depth=2
	s_wait_alu 0xfffe
	s_or_b32 exec_lo, exec_lo, s17
	v_cmp_lt_u32_e64 s16, v78, v162
	s_and_saveexec_b32 s18, s16
	s_cbranch_execnz .LBB739_1131
.LBB739_1063:                           ;   in Loop: Header=BB739_982 Depth=2
	s_wait_alu 0xfffe
	s_or_b32 exec_lo, exec_lo, s18
	v_cmp_lt_u32_e64 s17, v79, v162
	s_and_saveexec_b32 s19, s17
	s_cbranch_execnz .LBB739_1132
.LBB739_1064:                           ;   in Loop: Header=BB739_982 Depth=2
	s_wait_alu 0xfffe
	s_or_b32 exec_lo, exec_lo, s19
	v_cmp_lt_u32_e64 s18, v82, v162
	s_and_saveexec_b32 s20, s18
	s_cbranch_execnz .LBB739_1133
.LBB739_1065:                           ;   in Loop: Header=BB739_982 Depth=2
	s_wait_alu 0xfffe
	s_or_b32 exec_lo, exec_lo, s20
	v_cmp_lt_u32_e64 s19, v83, v162
	s_and_saveexec_b32 s21, s19
	s_cbranch_execnz .LBB739_1134
.LBB739_1066:                           ;   in Loop: Header=BB739_982 Depth=2
	s_wait_alu 0xfffe
	s_or_b32 exec_lo, exec_lo, s21
	v_cmp_lt_u32_e64 s20, v84, v162
	s_and_saveexec_b32 s22, s20
	s_cbranch_execnz .LBB739_1135
.LBB739_1067:                           ;   in Loop: Header=BB739_982 Depth=2
	s_wait_alu 0xfffe
	s_or_b32 exec_lo, exec_lo, s22
	v_cmp_lt_u32_e64 s21, v85, v162
	s_and_saveexec_b32 s23, s21
	s_cbranch_execnz .LBB739_1136
.LBB739_1068:                           ;   in Loop: Header=BB739_982 Depth=2
	s_wait_alu 0xfffe
	s_or_b32 exec_lo, exec_lo, s23
	v_cmp_lt_u32_e64 s22, v86, v162
	s_and_saveexec_b32 s24, s22
	s_cbranch_execnz .LBB739_1137
.LBB739_1069:                           ;   in Loop: Header=BB739_982 Depth=2
	s_wait_alu 0xfffe
	s_or_b32 exec_lo, exec_lo, s24
	v_cmp_lt_u32_e64 s23, v87, v162
	s_and_saveexec_b32 s25, s23
	s_cbranch_execnz .LBB739_1138
.LBB739_1070:                           ;   in Loop: Header=BB739_982 Depth=2
	s_wait_alu 0xfffe
	s_or_b32 exec_lo, exec_lo, s25
	v_cmp_lt_u32_e64 s24, v88, v162
	s_and_saveexec_b32 s26, s24
	s_cbranch_execnz .LBB739_1139
.LBB739_1071:                           ;   in Loop: Header=BB739_982 Depth=2
	s_wait_alu 0xfffe
	s_or_b32 exec_lo, exec_lo, s26
	v_cmp_lt_u32_e64 s25, v89, v162
	s_and_saveexec_b32 s27, s25
	s_cbranch_execnz .LBB739_1140
.LBB739_1072:                           ;   in Loop: Header=BB739_982 Depth=2
	s_wait_alu 0xfffe
	s_or_b32 exec_lo, exec_lo, s27
	v_cmp_lt_u32_e64 s26, v90, v162
	s_and_saveexec_b32 s28, s26
	s_cbranch_execnz .LBB739_1141
.LBB739_1073:                           ;   in Loop: Header=BB739_982 Depth=2
	s_wait_alu 0xfffe
	s_or_b32 exec_lo, exec_lo, s28
	v_cmp_lt_u32_e64 s27, v91, v162
	s_and_saveexec_b32 s29, s27
	s_cbranch_execnz .LBB739_1142
.LBB739_1074:                           ;   in Loop: Header=BB739_982 Depth=2
	s_wait_alu 0xfffe
	s_or_b32 exec_lo, exec_lo, s29
	v_cmp_lt_u32_e64 s28, v92, v162
	s_and_saveexec_b32 s30, s28
	s_cbranch_execnz .LBB739_1143
.LBB739_1075:                           ;   in Loop: Header=BB739_982 Depth=2
	s_wait_alu 0xfffe
	s_or_b32 exec_lo, exec_lo, s30
	v_cmp_lt_u32_e64 s29, v93, v162
	s_and_saveexec_b32 s57, s29
	s_cbranch_execz .LBB739_1077
.LBB739_1076:                           ;   in Loop: Header=BB739_982 Depth=2
	ds_load_b64 v[36:37], v108 offset:31744
	s_wait_dscnt 0x0
	v_lshrrev_b64 v[44:45], s31, v[36:37]
	v_xor_b32_e32 v37, 0x7fffffff, v37
	v_not_b32_e32 v36, v36
	s_delay_alu instid0(VALU_DEP_3) | instskip(NEXT) | instid1(VALU_DEP_1)
	v_dual_mov_b32 v45, v2 :: v_dual_and_b32 v44, s54, v44
	v_lshlrev_b32_e32 v44, 2, v44
	ds_load_b32 v44, v44
	s_wait_dscnt 0x0
	v_add_nc_u32_e32 v44, v44, v93
	s_delay_alu instid0(VALU_DEP_1) | instskip(NEXT) | instid1(VALU_DEP_1)
	v_lshlrev_b64_e32 v[44:45], 3, v[44:45]
	v_add_co_u32 v44, s30, s40, v44
	s_wait_alu 0xf1ff
	s_delay_alu instid0(VALU_DEP_2)
	v_add_co_ci_u32_e64 v45, null, s41, v45, s30
	global_store_b64 v[44:45], v[36:37], off
.LBB739_1077:                           ;   in Loop: Header=BB739_982 Depth=2
	s_wait_alu 0xfffe
	s_or_b32 exec_lo, exec_lo, s57
	s_lshl_b64 s[58:59], s[34:35], 3
	s_wait_alu 0xfffe
	v_add_co_u32 v36, s30, v126, s58
	s_wait_alu 0xf1ff
	v_add_co_ci_u32_e64 v37, null, s59, v127, s30
	v_cmp_lt_u32_e64 s30, v125, v162
	s_and_saveexec_b32 s34, s30
	s_wait_alu 0xfffe
	s_xor_b32 s30, exec_lo, s34
	s_cbranch_execnz .LBB739_1144
; %bb.1078:                             ;   in Loop: Header=BB739_982 Depth=2
	s_wait_alu 0xfffe
	s_or_b32 exec_lo, exec_lo, s30
	s_delay_alu instid0(SALU_CYCLE_1)
	s_mov_b32 s34, exec_lo
	v_cmpx_lt_u32_e64 v128, v162
	s_cbranch_execnz .LBB739_1145
.LBB739_1079:                           ;   in Loop: Header=BB739_982 Depth=2
	s_wait_alu 0xfffe
	s_or_b32 exec_lo, exec_lo, s34
	s_delay_alu instid0(SALU_CYCLE_1)
	s_mov_b32 s34, exec_lo
	v_cmpx_lt_u32_e64 v129, v162
	s_cbranch_execnz .LBB739_1146
.LBB739_1080:                           ;   in Loop: Header=BB739_982 Depth=2
	s_wait_alu 0xfffe
	s_or_b32 exec_lo, exec_lo, s34
	s_delay_alu instid0(SALU_CYCLE_1)
	s_mov_b32 s34, exec_lo
	v_cmpx_lt_u32_e64 v130, v162
	s_cbranch_execnz .LBB739_1147
.LBB739_1081:                           ;   in Loop: Header=BB739_982 Depth=2
	s_wait_alu 0xfffe
	s_or_b32 exec_lo, exec_lo, s34
	s_delay_alu instid0(SALU_CYCLE_1)
	s_mov_b32 s34, exec_lo
	v_cmpx_lt_u32_e64 v131, v162
	s_cbranch_execnz .LBB739_1148
.LBB739_1082:                           ;   in Loop: Header=BB739_982 Depth=2
	s_wait_alu 0xfffe
	s_or_b32 exec_lo, exec_lo, s34
	s_delay_alu instid0(SALU_CYCLE_1)
	s_mov_b32 s34, exec_lo
	v_cmpx_lt_u32_e64 v132, v162
	s_cbranch_execnz .LBB739_1149
.LBB739_1083:                           ;   in Loop: Header=BB739_982 Depth=2
	s_wait_alu 0xfffe
	s_or_b32 exec_lo, exec_lo, s34
	s_delay_alu instid0(SALU_CYCLE_1)
	s_mov_b32 s34, exec_lo
	v_cmpx_lt_u32_e64 v133, v162
	s_cbranch_execnz .LBB739_1150
.LBB739_1084:                           ;   in Loop: Header=BB739_982 Depth=2
	s_wait_alu 0xfffe
	s_or_b32 exec_lo, exec_lo, s34
	s_delay_alu instid0(SALU_CYCLE_1)
	s_mov_b32 s34, exec_lo
	v_cmpx_lt_u32_e64 v134, v162
	s_cbranch_execnz .LBB739_1151
.LBB739_1085:                           ;   in Loop: Header=BB739_982 Depth=2
	s_wait_alu 0xfffe
	s_or_b32 exec_lo, exec_lo, s34
	s_delay_alu instid0(SALU_CYCLE_1)
	s_mov_b32 s34, exec_lo
	v_cmpx_lt_u32_e64 v135, v162
	s_cbranch_execnz .LBB739_1152
.LBB739_1086:                           ;   in Loop: Header=BB739_982 Depth=2
	s_wait_alu 0xfffe
	s_or_b32 exec_lo, exec_lo, s34
	s_delay_alu instid0(SALU_CYCLE_1)
	s_mov_b32 s34, exec_lo
	v_cmpx_lt_u32_e64 v136, v162
	s_cbranch_execnz .LBB739_1153
.LBB739_1087:                           ;   in Loop: Header=BB739_982 Depth=2
	s_wait_alu 0xfffe
	s_or_b32 exec_lo, exec_lo, s34
	s_delay_alu instid0(SALU_CYCLE_1)
	s_mov_b32 s34, exec_lo
	v_cmpx_lt_u32_e64 v137, v162
	s_cbranch_execnz .LBB739_1154
.LBB739_1088:                           ;   in Loop: Header=BB739_982 Depth=2
	s_wait_alu 0xfffe
	s_or_b32 exec_lo, exec_lo, s34
	s_delay_alu instid0(SALU_CYCLE_1)
	s_mov_b32 s34, exec_lo
	v_cmpx_lt_u32_e64 v138, v162
	s_cbranch_execnz .LBB739_1155
.LBB739_1089:                           ;   in Loop: Header=BB739_982 Depth=2
	s_wait_alu 0xfffe
	s_or_b32 exec_lo, exec_lo, s34
	s_delay_alu instid0(SALU_CYCLE_1)
	s_mov_b32 s34, exec_lo
	v_cmpx_lt_u32_e64 v139, v162
	s_cbranch_execnz .LBB739_1156
.LBB739_1090:                           ;   in Loop: Header=BB739_982 Depth=2
	s_wait_alu 0xfffe
	s_or_b32 exec_lo, exec_lo, s34
	s_delay_alu instid0(SALU_CYCLE_1)
	s_mov_b32 s34, exec_lo
	v_cmpx_lt_u32_e64 v140, v162
	s_cbranch_execnz .LBB739_1157
.LBB739_1091:                           ;   in Loop: Header=BB739_982 Depth=2
	s_wait_alu 0xfffe
	s_or_b32 exec_lo, exec_lo, s34
	s_delay_alu instid0(SALU_CYCLE_1)
	s_mov_b32 s34, exec_lo
	v_cmpx_lt_u32_e64 v141, v162
	s_cbranch_execnz .LBB739_1158
.LBB739_1092:                           ;   in Loop: Header=BB739_982 Depth=2
	s_wait_alu 0xfffe
	s_or_b32 exec_lo, exec_lo, s34
	s_delay_alu instid0(SALU_CYCLE_1)
	s_mov_b32 s34, exec_lo
	v_cmpx_lt_u32_e64 v142, v162
	s_cbranch_execnz .LBB739_1159
.LBB739_1093:                           ;   in Loop: Header=BB739_982 Depth=2
	s_wait_alu 0xfffe
	s_or_b32 exec_lo, exec_lo, s34
	s_and_saveexec_b32 s30, vcc_lo
	s_cbranch_execnz .LBB739_1160
.LBB739_1094:                           ;   in Loop: Header=BB739_982 Depth=2
	s_wait_alu 0xfffe
	s_or_b32 exec_lo, exec_lo, s30
	s_and_saveexec_b32 s30, s15
	s_cbranch_execnz .LBB739_1161
.LBB739_1095:                           ;   in Loop: Header=BB739_982 Depth=2
	s_wait_alu 0xfffe
	s_or_b32 exec_lo, exec_lo, s30
	s_and_saveexec_b32 s30, s16
	s_cbranch_execnz .LBB739_1162
.LBB739_1096:                           ;   in Loop: Header=BB739_982 Depth=2
	s_wait_alu 0xfffe
	s_or_b32 exec_lo, exec_lo, s30
	s_and_saveexec_b32 s30, s17
	s_cbranch_execnz .LBB739_1163
.LBB739_1097:                           ;   in Loop: Header=BB739_982 Depth=2
	s_wait_alu 0xfffe
	s_or_b32 exec_lo, exec_lo, s30
	s_and_saveexec_b32 s30, s18
	s_cbranch_execnz .LBB739_1164
.LBB739_1098:                           ;   in Loop: Header=BB739_982 Depth=2
	s_wait_alu 0xfffe
	s_or_b32 exec_lo, exec_lo, s30
	s_and_saveexec_b32 s30, s19
	s_cbranch_execnz .LBB739_1165
.LBB739_1099:                           ;   in Loop: Header=BB739_982 Depth=2
	s_wait_alu 0xfffe
	s_or_b32 exec_lo, exec_lo, s30
	s_and_saveexec_b32 s30, s20
	s_cbranch_execnz .LBB739_1166
.LBB739_1100:                           ;   in Loop: Header=BB739_982 Depth=2
	s_wait_alu 0xfffe
	s_or_b32 exec_lo, exec_lo, s30
	s_and_saveexec_b32 s30, s21
	s_cbranch_execnz .LBB739_1167
.LBB739_1101:                           ;   in Loop: Header=BB739_982 Depth=2
	s_wait_alu 0xfffe
	s_or_b32 exec_lo, exec_lo, s30
	s_and_saveexec_b32 s30, s22
	s_cbranch_execnz .LBB739_1168
.LBB739_1102:                           ;   in Loop: Header=BB739_982 Depth=2
	s_wait_alu 0xfffe
	s_or_b32 exec_lo, exec_lo, s30
	s_and_saveexec_b32 s30, s23
	s_cbranch_execnz .LBB739_1169
.LBB739_1103:                           ;   in Loop: Header=BB739_982 Depth=2
	s_wait_alu 0xfffe
	s_or_b32 exec_lo, exec_lo, s30
	s_and_saveexec_b32 s30, s24
	s_cbranch_execnz .LBB739_1170
.LBB739_1104:                           ;   in Loop: Header=BB739_982 Depth=2
	s_wait_alu 0xfffe
	s_or_b32 exec_lo, exec_lo, s30
	s_and_saveexec_b32 s30, s25
	s_cbranch_execnz .LBB739_1171
.LBB739_1105:                           ;   in Loop: Header=BB739_982 Depth=2
	s_wait_alu 0xfffe
	s_or_b32 exec_lo, exec_lo, s30
	s_and_saveexec_b32 s30, s26
	s_cbranch_execnz .LBB739_1172
.LBB739_1106:                           ;   in Loop: Header=BB739_982 Depth=2
	s_wait_alu 0xfffe
	s_or_b32 exec_lo, exec_lo, s30
	s_and_saveexec_b32 s30, s27
	s_cbranch_execnz .LBB739_1173
.LBB739_1107:                           ;   in Loop: Header=BB739_982 Depth=2
	s_wait_alu 0xfffe
	s_or_b32 exec_lo, exec_lo, s30
	s_and_saveexec_b32 s30, s28
	s_cbranch_execnz .LBB739_1174
.LBB739_1108:                           ;   in Loop: Header=BB739_982 Depth=2
	s_wait_alu 0xfffe
	s_or_b32 exec_lo, exec_lo, s30
	s_and_saveexec_b32 s30, s29
	s_cbranch_execz .LBB739_1110
.LBB739_1109:                           ;   in Loop: Header=BB739_982 Depth=2
	ds_load_b64 v[36:37], v108 offset:31744
	s_wait_dscnt 0x0
	v_lshrrev_b64 v[36:37], s31, v[36:37]
	s_delay_alu instid0(VALU_DEP_1)
	v_and_b32_e32 v146, s54, v36
.LBB739_1110:                           ;   in Loop: Header=BB739_982 Depth=2
	s_wait_alu 0xfffe
	s_or_b32 exec_lo, exec_lo, s30
	s_wait_loadcnt 0x0
	s_wait_storecnt 0x0
	s_barrier_signal -1
	s_barrier_wait -1
	global_inv scope:SCOPE_SE
	ds_store_b64 v69, v[34:35] offset:1024
	ds_store_b64 v38, v[32:33] offset:1024
	;; [unrolled: 1-line block ×16, first 2 shown]
	s_wait_loadcnt_dscnt 0x0
	s_barrier_signal -1
	s_barrier_wait -1
	global_inv scope:SCOPE_SE
	s_and_saveexec_b32 s30, vcc_lo
	s_cbranch_execnz .LBB739_1175
; %bb.1111:                             ;   in Loop: Header=BB739_982 Depth=2
	s_wait_alu 0xfffe
	s_or_b32 exec_lo, exec_lo, s30
	s_and_saveexec_b32 s30, s15
	s_cbranch_execnz .LBB739_1176
.LBB739_1112:                           ;   in Loop: Header=BB739_982 Depth=2
	s_wait_alu 0xfffe
	s_or_b32 exec_lo, exec_lo, s30
	s_and_saveexec_b32 s15, s16
	s_cbranch_execnz .LBB739_1177
.LBB739_1113:                           ;   in Loop: Header=BB739_982 Depth=2
	s_wait_alu 0xfffe
	s_or_b32 exec_lo, exec_lo, s15
	s_and_saveexec_b32 s15, s17
	s_cbranch_execnz .LBB739_1178
.LBB739_1114:                           ;   in Loop: Header=BB739_982 Depth=2
	s_wait_alu 0xfffe
	s_or_b32 exec_lo, exec_lo, s15
	s_and_saveexec_b32 s15, s18
	s_cbranch_execnz .LBB739_1179
.LBB739_1115:                           ;   in Loop: Header=BB739_982 Depth=2
	s_wait_alu 0xfffe
	s_or_b32 exec_lo, exec_lo, s15
	s_and_saveexec_b32 s15, s19
	s_cbranch_execnz .LBB739_1180
.LBB739_1116:                           ;   in Loop: Header=BB739_982 Depth=2
	s_wait_alu 0xfffe
	s_or_b32 exec_lo, exec_lo, s15
	s_and_saveexec_b32 s15, s20
	s_cbranch_execnz .LBB739_1181
.LBB739_1117:                           ;   in Loop: Header=BB739_982 Depth=2
	s_wait_alu 0xfffe
	s_or_b32 exec_lo, exec_lo, s15
	s_and_saveexec_b32 s15, s21
	s_cbranch_execnz .LBB739_1182
.LBB739_1118:                           ;   in Loop: Header=BB739_982 Depth=2
	s_wait_alu 0xfffe
	s_or_b32 exec_lo, exec_lo, s15
	s_and_saveexec_b32 s15, s22
	s_cbranch_execnz .LBB739_1183
.LBB739_1119:                           ;   in Loop: Header=BB739_982 Depth=2
	s_wait_alu 0xfffe
	s_or_b32 exec_lo, exec_lo, s15
	s_and_saveexec_b32 s15, s23
	s_cbranch_execnz .LBB739_1184
.LBB739_1120:                           ;   in Loop: Header=BB739_982 Depth=2
	s_wait_alu 0xfffe
	s_or_b32 exec_lo, exec_lo, s15
	s_and_saveexec_b32 s15, s24
	s_cbranch_execnz .LBB739_1185
.LBB739_1121:                           ;   in Loop: Header=BB739_982 Depth=2
	s_wait_alu 0xfffe
	s_or_b32 exec_lo, exec_lo, s15
	s_and_saveexec_b32 s15, s25
	s_cbranch_execnz .LBB739_1186
.LBB739_1122:                           ;   in Loop: Header=BB739_982 Depth=2
	s_wait_alu 0xfffe
	s_or_b32 exec_lo, exec_lo, s15
	s_and_saveexec_b32 s15, s26
	s_cbranch_execnz .LBB739_1187
.LBB739_1123:                           ;   in Loop: Header=BB739_982 Depth=2
	s_wait_alu 0xfffe
	s_or_b32 exec_lo, exec_lo, s15
	s_and_saveexec_b32 s15, s27
	s_cbranch_execnz .LBB739_1188
.LBB739_1124:                           ;   in Loop: Header=BB739_982 Depth=2
	s_wait_alu 0xfffe
	s_or_b32 exec_lo, exec_lo, s15
	s_and_saveexec_b32 s15, s28
	s_cbranch_execnz .LBB739_1189
.LBB739_1125:                           ;   in Loop: Header=BB739_982 Depth=2
	s_wait_alu 0xfffe
	s_or_b32 exec_lo, exec_lo, s15
	s_and_saveexec_b32 s15, s29
	s_cbranch_execz .LBB739_1127
.LBB739_1126:                           ;   in Loop: Header=BB739_982 Depth=2
	v_dual_mov_b32 v39, v2 :: v_dual_lshlrev_b32 v36, 2, v146
	ds_load_b32 v38, v36
	ds_load_b64 v[36:37], v108 offset:31744
	s_wait_dscnt 0x1
	v_add_nc_u32_e32 v38, v38, v93
	s_delay_alu instid0(VALU_DEP_1) | instskip(NEXT) | instid1(VALU_DEP_1)
	v_lshlrev_b64_e32 v[38:39], 3, v[38:39]
	v_add_co_u32 v38, vcc_lo, s46, v38
	s_wait_alu 0xfffd
	s_delay_alu instid0(VALU_DEP_2)
	v_add_co_ci_u32_e64 v39, null, s47, v39, vcc_lo
	s_wait_dscnt 0x0
	global_store_b64 v[38:39], v[36:37], off
.LBB739_1127:                           ;   in Loop: Header=BB739_982 Depth=2
	s_wait_alu 0xfffe
	s_or_b32 exec_lo, exec_lo, s15
	s_wait_loadcnt 0x0
	s_wait_storecnt 0x0
	s_barrier_signal -1
	s_barrier_wait -1
	global_inv scope:SCOPE_SE
	s_and_saveexec_b32 s15, s2
	s_cbranch_execz .LBB739_981
; %bb.1128:                             ;   in Loop: Header=BB739_982 Depth=2
	ds_load_b32 v36, v76
	s_wait_dscnt 0x0
	v_add_nc_u32_e32 v36, v36, v68
	ds_store_b32 v76, v36
	s_branch .LBB739_981
.LBB739_1129:                           ;   in Loop: Header=BB739_982 Depth=2
	ds_load_b64 v[36:37], v108 offset:1024
	s_wait_dscnt 0x0
	v_lshrrev_b64 v[44:45], s31, v[36:37]
	v_xor_b32_e32 v37, 0x7fffffff, v37
	v_not_b32_e32 v36, v36
	s_delay_alu instid0(VALU_DEP_3) | instskip(NEXT) | instid1(VALU_DEP_1)
	v_dual_mov_b32 v45, v2 :: v_dual_and_b32 v44, s54, v44
	v_lshlrev_b32_e32 v44, 2, v44
	ds_load_b32 v44, v44
	s_wait_dscnt 0x0
	v_add_nc_u32_e32 v44, v44, v1
	s_delay_alu instid0(VALU_DEP_1) | instskip(NEXT) | instid1(VALU_DEP_1)
	v_lshlrev_b64_e32 v[44:45], 3, v[44:45]
	v_add_co_u32 v44, s15, s40, v44
	s_wait_alu 0xf1ff
	s_delay_alu instid0(VALU_DEP_2)
	v_add_co_ci_u32_e64 v45, null, s41, v45, s15
	global_store_b64 v[44:45], v[36:37], off
	s_wait_alu 0xfffe
	s_or_b32 exec_lo, exec_lo, s16
	v_cmp_lt_u32_e64 s15, v77, v162
	s_and_saveexec_b32 s17, s15
	s_cbranch_execz .LBB739_1062
.LBB739_1130:                           ;   in Loop: Header=BB739_982 Depth=2
	ds_load_b64 v[36:37], v108 offset:3072
	s_wait_dscnt 0x0
	v_lshrrev_b64 v[44:45], s31, v[36:37]
	v_xor_b32_e32 v37, 0x7fffffff, v37
	v_not_b32_e32 v36, v36
	s_delay_alu instid0(VALU_DEP_3) | instskip(NEXT) | instid1(VALU_DEP_1)
	v_dual_mov_b32 v45, v2 :: v_dual_and_b32 v44, s54, v44
	v_lshlrev_b32_e32 v44, 2, v44
	ds_load_b32 v44, v44
	s_wait_dscnt 0x0
	v_add_nc_u32_e32 v44, v44, v77
	s_delay_alu instid0(VALU_DEP_1) | instskip(NEXT) | instid1(VALU_DEP_1)
	v_lshlrev_b64_e32 v[44:45], 3, v[44:45]
	v_add_co_u32 v44, s16, s40, v44
	s_wait_alu 0xf1ff
	s_delay_alu instid0(VALU_DEP_2)
	v_add_co_ci_u32_e64 v45, null, s41, v45, s16
	global_store_b64 v[44:45], v[36:37], off
	s_wait_alu 0xfffe
	s_or_b32 exec_lo, exec_lo, s17
	v_cmp_lt_u32_e64 s16, v78, v162
	s_and_saveexec_b32 s18, s16
	s_cbranch_execz .LBB739_1063
.LBB739_1131:                           ;   in Loop: Header=BB739_982 Depth=2
	ds_load_b64 v[36:37], v108 offset:5120
	s_wait_dscnt 0x0
	v_lshrrev_b64 v[44:45], s31, v[36:37]
	v_xor_b32_e32 v37, 0x7fffffff, v37
	v_not_b32_e32 v36, v36
	s_delay_alu instid0(VALU_DEP_3) | instskip(NEXT) | instid1(VALU_DEP_1)
	v_dual_mov_b32 v45, v2 :: v_dual_and_b32 v44, s54, v44
	v_lshlrev_b32_e32 v44, 2, v44
	ds_load_b32 v44, v44
	s_wait_dscnt 0x0
	v_add_nc_u32_e32 v44, v44, v78
	s_delay_alu instid0(VALU_DEP_1) | instskip(NEXT) | instid1(VALU_DEP_1)
	v_lshlrev_b64_e32 v[44:45], 3, v[44:45]
	v_add_co_u32 v44, s17, s40, v44
	s_wait_alu 0xf1ff
	s_delay_alu instid0(VALU_DEP_2)
	v_add_co_ci_u32_e64 v45, null, s41, v45, s17
	global_store_b64 v[44:45], v[36:37], off
	s_wait_alu 0xfffe
	s_or_b32 exec_lo, exec_lo, s18
	v_cmp_lt_u32_e64 s17, v79, v162
	s_and_saveexec_b32 s19, s17
	s_cbranch_execz .LBB739_1064
.LBB739_1132:                           ;   in Loop: Header=BB739_982 Depth=2
	ds_load_b64 v[36:37], v108 offset:7168
	s_wait_dscnt 0x0
	v_lshrrev_b64 v[44:45], s31, v[36:37]
	v_xor_b32_e32 v37, 0x7fffffff, v37
	v_not_b32_e32 v36, v36
	s_delay_alu instid0(VALU_DEP_3) | instskip(NEXT) | instid1(VALU_DEP_1)
	v_dual_mov_b32 v45, v2 :: v_dual_and_b32 v44, s54, v44
	v_lshlrev_b32_e32 v44, 2, v44
	ds_load_b32 v44, v44
	s_wait_dscnt 0x0
	v_add_nc_u32_e32 v44, v44, v79
	s_delay_alu instid0(VALU_DEP_1) | instskip(NEXT) | instid1(VALU_DEP_1)
	v_lshlrev_b64_e32 v[44:45], 3, v[44:45]
	v_add_co_u32 v44, s18, s40, v44
	s_wait_alu 0xf1ff
	s_delay_alu instid0(VALU_DEP_2)
	v_add_co_ci_u32_e64 v45, null, s41, v45, s18
	global_store_b64 v[44:45], v[36:37], off
	s_wait_alu 0xfffe
	s_or_b32 exec_lo, exec_lo, s19
	v_cmp_lt_u32_e64 s18, v82, v162
	s_and_saveexec_b32 s20, s18
	s_cbranch_execz .LBB739_1065
.LBB739_1133:                           ;   in Loop: Header=BB739_982 Depth=2
	ds_load_b64 v[36:37], v108 offset:9216
	s_wait_dscnt 0x0
	v_lshrrev_b64 v[44:45], s31, v[36:37]
	v_xor_b32_e32 v37, 0x7fffffff, v37
	v_not_b32_e32 v36, v36
	s_delay_alu instid0(VALU_DEP_3) | instskip(NEXT) | instid1(VALU_DEP_1)
	v_dual_mov_b32 v45, v2 :: v_dual_and_b32 v44, s54, v44
	v_lshlrev_b32_e32 v44, 2, v44
	ds_load_b32 v44, v44
	s_wait_dscnt 0x0
	v_add_nc_u32_e32 v44, v44, v82
	s_delay_alu instid0(VALU_DEP_1) | instskip(NEXT) | instid1(VALU_DEP_1)
	v_lshlrev_b64_e32 v[44:45], 3, v[44:45]
	v_add_co_u32 v44, s19, s40, v44
	s_wait_alu 0xf1ff
	s_delay_alu instid0(VALU_DEP_2)
	v_add_co_ci_u32_e64 v45, null, s41, v45, s19
	global_store_b64 v[44:45], v[36:37], off
	s_wait_alu 0xfffe
	s_or_b32 exec_lo, exec_lo, s20
	v_cmp_lt_u32_e64 s19, v83, v162
	s_and_saveexec_b32 s21, s19
	s_cbranch_execz .LBB739_1066
.LBB739_1134:                           ;   in Loop: Header=BB739_982 Depth=2
	ds_load_b64 v[36:37], v108 offset:11264
	s_wait_dscnt 0x0
	v_lshrrev_b64 v[44:45], s31, v[36:37]
	v_xor_b32_e32 v37, 0x7fffffff, v37
	v_not_b32_e32 v36, v36
	s_delay_alu instid0(VALU_DEP_3) | instskip(NEXT) | instid1(VALU_DEP_1)
	v_dual_mov_b32 v45, v2 :: v_dual_and_b32 v44, s54, v44
	v_lshlrev_b32_e32 v44, 2, v44
	ds_load_b32 v44, v44
	s_wait_dscnt 0x0
	v_add_nc_u32_e32 v44, v44, v83
	s_delay_alu instid0(VALU_DEP_1) | instskip(NEXT) | instid1(VALU_DEP_1)
	v_lshlrev_b64_e32 v[44:45], 3, v[44:45]
	v_add_co_u32 v44, s20, s40, v44
	s_wait_alu 0xf1ff
	s_delay_alu instid0(VALU_DEP_2)
	v_add_co_ci_u32_e64 v45, null, s41, v45, s20
	global_store_b64 v[44:45], v[36:37], off
	s_wait_alu 0xfffe
	s_or_b32 exec_lo, exec_lo, s21
	v_cmp_lt_u32_e64 s20, v84, v162
	s_and_saveexec_b32 s22, s20
	s_cbranch_execz .LBB739_1067
.LBB739_1135:                           ;   in Loop: Header=BB739_982 Depth=2
	ds_load_b64 v[36:37], v108 offset:13312
	s_wait_dscnt 0x0
	v_lshrrev_b64 v[44:45], s31, v[36:37]
	v_xor_b32_e32 v37, 0x7fffffff, v37
	v_not_b32_e32 v36, v36
	s_delay_alu instid0(VALU_DEP_3) | instskip(NEXT) | instid1(VALU_DEP_1)
	v_dual_mov_b32 v45, v2 :: v_dual_and_b32 v44, s54, v44
	v_lshlrev_b32_e32 v44, 2, v44
	ds_load_b32 v44, v44
	s_wait_dscnt 0x0
	v_add_nc_u32_e32 v44, v44, v84
	s_delay_alu instid0(VALU_DEP_1) | instskip(NEXT) | instid1(VALU_DEP_1)
	v_lshlrev_b64_e32 v[44:45], 3, v[44:45]
	v_add_co_u32 v44, s21, s40, v44
	s_wait_alu 0xf1ff
	s_delay_alu instid0(VALU_DEP_2)
	v_add_co_ci_u32_e64 v45, null, s41, v45, s21
	global_store_b64 v[44:45], v[36:37], off
	s_wait_alu 0xfffe
	s_or_b32 exec_lo, exec_lo, s22
	v_cmp_lt_u32_e64 s21, v85, v162
	s_and_saveexec_b32 s23, s21
	s_cbranch_execz .LBB739_1068
.LBB739_1136:                           ;   in Loop: Header=BB739_982 Depth=2
	ds_load_b64 v[36:37], v108 offset:15360
	s_wait_dscnt 0x0
	v_lshrrev_b64 v[44:45], s31, v[36:37]
	v_xor_b32_e32 v37, 0x7fffffff, v37
	v_not_b32_e32 v36, v36
	s_delay_alu instid0(VALU_DEP_3) | instskip(NEXT) | instid1(VALU_DEP_1)
	v_dual_mov_b32 v45, v2 :: v_dual_and_b32 v44, s54, v44
	v_lshlrev_b32_e32 v44, 2, v44
	ds_load_b32 v44, v44
	s_wait_dscnt 0x0
	v_add_nc_u32_e32 v44, v44, v85
	s_delay_alu instid0(VALU_DEP_1) | instskip(NEXT) | instid1(VALU_DEP_1)
	v_lshlrev_b64_e32 v[44:45], 3, v[44:45]
	v_add_co_u32 v44, s22, s40, v44
	s_wait_alu 0xf1ff
	s_delay_alu instid0(VALU_DEP_2)
	v_add_co_ci_u32_e64 v45, null, s41, v45, s22
	global_store_b64 v[44:45], v[36:37], off
	s_wait_alu 0xfffe
	s_or_b32 exec_lo, exec_lo, s23
	v_cmp_lt_u32_e64 s22, v86, v162
	s_and_saveexec_b32 s24, s22
	s_cbranch_execz .LBB739_1069
.LBB739_1137:                           ;   in Loop: Header=BB739_982 Depth=2
	ds_load_b64 v[36:37], v108 offset:17408
	s_wait_dscnt 0x0
	v_lshrrev_b64 v[44:45], s31, v[36:37]
	v_xor_b32_e32 v37, 0x7fffffff, v37
	v_not_b32_e32 v36, v36
	s_delay_alu instid0(VALU_DEP_3) | instskip(NEXT) | instid1(VALU_DEP_1)
	v_dual_mov_b32 v45, v2 :: v_dual_and_b32 v44, s54, v44
	v_lshlrev_b32_e32 v44, 2, v44
	ds_load_b32 v44, v44
	s_wait_dscnt 0x0
	v_add_nc_u32_e32 v44, v44, v86
	s_delay_alu instid0(VALU_DEP_1) | instskip(NEXT) | instid1(VALU_DEP_1)
	v_lshlrev_b64_e32 v[44:45], 3, v[44:45]
	v_add_co_u32 v44, s23, s40, v44
	s_wait_alu 0xf1ff
	s_delay_alu instid0(VALU_DEP_2)
	v_add_co_ci_u32_e64 v45, null, s41, v45, s23
	global_store_b64 v[44:45], v[36:37], off
	s_wait_alu 0xfffe
	s_or_b32 exec_lo, exec_lo, s24
	v_cmp_lt_u32_e64 s23, v87, v162
	s_and_saveexec_b32 s25, s23
	s_cbranch_execz .LBB739_1070
.LBB739_1138:                           ;   in Loop: Header=BB739_982 Depth=2
	ds_load_b64 v[36:37], v108 offset:19456
	s_wait_dscnt 0x0
	v_lshrrev_b64 v[44:45], s31, v[36:37]
	v_xor_b32_e32 v37, 0x7fffffff, v37
	v_not_b32_e32 v36, v36
	s_delay_alu instid0(VALU_DEP_3) | instskip(NEXT) | instid1(VALU_DEP_1)
	v_dual_mov_b32 v45, v2 :: v_dual_and_b32 v44, s54, v44
	v_lshlrev_b32_e32 v44, 2, v44
	ds_load_b32 v44, v44
	s_wait_dscnt 0x0
	v_add_nc_u32_e32 v44, v44, v87
	s_delay_alu instid0(VALU_DEP_1) | instskip(NEXT) | instid1(VALU_DEP_1)
	v_lshlrev_b64_e32 v[44:45], 3, v[44:45]
	v_add_co_u32 v44, s24, s40, v44
	s_wait_alu 0xf1ff
	s_delay_alu instid0(VALU_DEP_2)
	v_add_co_ci_u32_e64 v45, null, s41, v45, s24
	global_store_b64 v[44:45], v[36:37], off
	s_wait_alu 0xfffe
	s_or_b32 exec_lo, exec_lo, s25
	v_cmp_lt_u32_e64 s24, v88, v162
	s_and_saveexec_b32 s26, s24
	s_cbranch_execz .LBB739_1071
.LBB739_1139:                           ;   in Loop: Header=BB739_982 Depth=2
	ds_load_b64 v[36:37], v108 offset:21504
	s_wait_dscnt 0x0
	v_lshrrev_b64 v[44:45], s31, v[36:37]
	v_xor_b32_e32 v37, 0x7fffffff, v37
	v_not_b32_e32 v36, v36
	s_delay_alu instid0(VALU_DEP_3) | instskip(NEXT) | instid1(VALU_DEP_1)
	v_dual_mov_b32 v45, v2 :: v_dual_and_b32 v44, s54, v44
	v_lshlrev_b32_e32 v44, 2, v44
	ds_load_b32 v44, v44
	s_wait_dscnt 0x0
	v_add_nc_u32_e32 v44, v44, v88
	s_delay_alu instid0(VALU_DEP_1) | instskip(NEXT) | instid1(VALU_DEP_1)
	v_lshlrev_b64_e32 v[44:45], 3, v[44:45]
	v_add_co_u32 v44, s25, s40, v44
	s_wait_alu 0xf1ff
	s_delay_alu instid0(VALU_DEP_2)
	v_add_co_ci_u32_e64 v45, null, s41, v45, s25
	global_store_b64 v[44:45], v[36:37], off
	s_wait_alu 0xfffe
	s_or_b32 exec_lo, exec_lo, s26
	v_cmp_lt_u32_e64 s25, v89, v162
	s_and_saveexec_b32 s27, s25
	s_cbranch_execz .LBB739_1072
.LBB739_1140:                           ;   in Loop: Header=BB739_982 Depth=2
	ds_load_b64 v[36:37], v108 offset:23552
	s_wait_dscnt 0x0
	v_lshrrev_b64 v[44:45], s31, v[36:37]
	v_xor_b32_e32 v37, 0x7fffffff, v37
	v_not_b32_e32 v36, v36
	s_delay_alu instid0(VALU_DEP_3) | instskip(NEXT) | instid1(VALU_DEP_1)
	v_dual_mov_b32 v45, v2 :: v_dual_and_b32 v44, s54, v44
	v_lshlrev_b32_e32 v44, 2, v44
	ds_load_b32 v44, v44
	s_wait_dscnt 0x0
	v_add_nc_u32_e32 v44, v44, v89
	s_delay_alu instid0(VALU_DEP_1) | instskip(NEXT) | instid1(VALU_DEP_1)
	v_lshlrev_b64_e32 v[44:45], 3, v[44:45]
	v_add_co_u32 v44, s26, s40, v44
	s_wait_alu 0xf1ff
	s_delay_alu instid0(VALU_DEP_2)
	v_add_co_ci_u32_e64 v45, null, s41, v45, s26
	global_store_b64 v[44:45], v[36:37], off
	s_wait_alu 0xfffe
	s_or_b32 exec_lo, exec_lo, s27
	v_cmp_lt_u32_e64 s26, v90, v162
	s_and_saveexec_b32 s28, s26
	s_cbranch_execz .LBB739_1073
.LBB739_1141:                           ;   in Loop: Header=BB739_982 Depth=2
	ds_load_b64 v[36:37], v108 offset:25600
	s_wait_dscnt 0x0
	v_lshrrev_b64 v[44:45], s31, v[36:37]
	v_xor_b32_e32 v37, 0x7fffffff, v37
	v_not_b32_e32 v36, v36
	s_delay_alu instid0(VALU_DEP_3) | instskip(NEXT) | instid1(VALU_DEP_1)
	v_dual_mov_b32 v45, v2 :: v_dual_and_b32 v44, s54, v44
	v_lshlrev_b32_e32 v44, 2, v44
	ds_load_b32 v44, v44
	s_wait_dscnt 0x0
	v_add_nc_u32_e32 v44, v44, v90
	s_delay_alu instid0(VALU_DEP_1) | instskip(NEXT) | instid1(VALU_DEP_1)
	v_lshlrev_b64_e32 v[44:45], 3, v[44:45]
	v_add_co_u32 v44, s27, s40, v44
	s_wait_alu 0xf1ff
	s_delay_alu instid0(VALU_DEP_2)
	v_add_co_ci_u32_e64 v45, null, s41, v45, s27
	global_store_b64 v[44:45], v[36:37], off
	s_wait_alu 0xfffe
	s_or_b32 exec_lo, exec_lo, s28
	v_cmp_lt_u32_e64 s27, v91, v162
	s_and_saveexec_b32 s29, s27
	s_cbranch_execz .LBB739_1074
.LBB739_1142:                           ;   in Loop: Header=BB739_982 Depth=2
	ds_load_b64 v[36:37], v108 offset:27648
	s_wait_dscnt 0x0
	v_lshrrev_b64 v[44:45], s31, v[36:37]
	v_xor_b32_e32 v37, 0x7fffffff, v37
	v_not_b32_e32 v36, v36
	s_delay_alu instid0(VALU_DEP_3) | instskip(NEXT) | instid1(VALU_DEP_1)
	v_dual_mov_b32 v45, v2 :: v_dual_and_b32 v44, s54, v44
	v_lshlrev_b32_e32 v44, 2, v44
	ds_load_b32 v44, v44
	s_wait_dscnt 0x0
	v_add_nc_u32_e32 v44, v44, v91
	s_delay_alu instid0(VALU_DEP_1) | instskip(NEXT) | instid1(VALU_DEP_1)
	v_lshlrev_b64_e32 v[44:45], 3, v[44:45]
	v_add_co_u32 v44, s28, s40, v44
	s_wait_alu 0xf1ff
	s_delay_alu instid0(VALU_DEP_2)
	v_add_co_ci_u32_e64 v45, null, s41, v45, s28
	global_store_b64 v[44:45], v[36:37], off
	s_wait_alu 0xfffe
	s_or_b32 exec_lo, exec_lo, s29
	v_cmp_lt_u32_e64 s28, v92, v162
	s_and_saveexec_b32 s30, s28
	s_cbranch_execz .LBB739_1075
.LBB739_1143:                           ;   in Loop: Header=BB739_982 Depth=2
	ds_load_b64 v[36:37], v108 offset:29696
	s_wait_dscnt 0x0
	v_lshrrev_b64 v[44:45], s31, v[36:37]
	v_xor_b32_e32 v37, 0x7fffffff, v37
	v_not_b32_e32 v36, v36
	s_delay_alu instid0(VALU_DEP_3) | instskip(NEXT) | instid1(VALU_DEP_1)
	v_dual_mov_b32 v45, v2 :: v_dual_and_b32 v44, s54, v44
	v_lshlrev_b32_e32 v44, 2, v44
	ds_load_b32 v44, v44
	s_wait_dscnt 0x0
	v_add_nc_u32_e32 v44, v44, v92
	s_delay_alu instid0(VALU_DEP_1) | instskip(NEXT) | instid1(VALU_DEP_1)
	v_lshlrev_b64_e32 v[44:45], 3, v[44:45]
	v_add_co_u32 v44, s29, s40, v44
	s_wait_alu 0xf1ff
	s_delay_alu instid0(VALU_DEP_2)
	v_add_co_ci_u32_e64 v45, null, s41, v45, s29
	global_store_b64 v[44:45], v[36:37], off
	s_wait_alu 0xfffe
	s_or_b32 exec_lo, exec_lo, s30
	v_cmp_lt_u32_e64 s29, v93, v162
	s_and_saveexec_b32 s57, s29
	s_cbranch_execnz .LBB739_1076
	s_branch .LBB739_1077
.LBB739_1144:                           ;   in Loop: Header=BB739_982 Depth=2
	global_load_b64 v[34:35], v[36:37], off
	s_wait_alu 0xfffe
	s_or_b32 exec_lo, exec_lo, s30
	s_delay_alu instid0(SALU_CYCLE_1)
	s_mov_b32 s34, exec_lo
	v_cmpx_lt_u32_e64 v128, v162
	s_cbranch_execz .LBB739_1079
.LBB739_1145:                           ;   in Loop: Header=BB739_982 Depth=2
	global_load_b64 v[32:33], v[36:37], off offset:256
	s_wait_alu 0xfffe
	s_or_b32 exec_lo, exec_lo, s34
	s_delay_alu instid0(SALU_CYCLE_1)
	s_mov_b32 s34, exec_lo
	v_cmpx_lt_u32_e64 v129, v162
	s_cbranch_execz .LBB739_1080
.LBB739_1146:                           ;   in Loop: Header=BB739_982 Depth=2
	global_load_b64 v[30:31], v[36:37], off offset:512
	s_wait_alu 0xfffe
	s_or_b32 exec_lo, exec_lo, s34
	s_delay_alu instid0(SALU_CYCLE_1)
	s_mov_b32 s34, exec_lo
	v_cmpx_lt_u32_e64 v130, v162
	s_cbranch_execz .LBB739_1081
.LBB739_1147:                           ;   in Loop: Header=BB739_982 Depth=2
	global_load_b64 v[28:29], v[36:37], off offset:768
	s_wait_alu 0xfffe
	s_or_b32 exec_lo, exec_lo, s34
	s_delay_alu instid0(SALU_CYCLE_1)
	s_mov_b32 s34, exec_lo
	v_cmpx_lt_u32_e64 v131, v162
	s_cbranch_execz .LBB739_1082
.LBB739_1148:                           ;   in Loop: Header=BB739_982 Depth=2
	global_load_b64 v[26:27], v[36:37], off offset:1024
	s_wait_alu 0xfffe
	s_or_b32 exec_lo, exec_lo, s34
	s_delay_alu instid0(SALU_CYCLE_1)
	s_mov_b32 s34, exec_lo
	v_cmpx_lt_u32_e64 v132, v162
	s_cbranch_execz .LBB739_1083
.LBB739_1149:                           ;   in Loop: Header=BB739_982 Depth=2
	global_load_b64 v[24:25], v[36:37], off offset:1280
	s_wait_alu 0xfffe
	s_or_b32 exec_lo, exec_lo, s34
	s_delay_alu instid0(SALU_CYCLE_1)
	s_mov_b32 s34, exec_lo
	v_cmpx_lt_u32_e64 v133, v162
	s_cbranch_execz .LBB739_1084
.LBB739_1150:                           ;   in Loop: Header=BB739_982 Depth=2
	global_load_b64 v[22:23], v[36:37], off offset:1536
	s_wait_alu 0xfffe
	s_or_b32 exec_lo, exec_lo, s34
	s_delay_alu instid0(SALU_CYCLE_1)
	s_mov_b32 s34, exec_lo
	v_cmpx_lt_u32_e64 v134, v162
	s_cbranch_execz .LBB739_1085
.LBB739_1151:                           ;   in Loop: Header=BB739_982 Depth=2
	global_load_b64 v[20:21], v[36:37], off offset:1792
	s_wait_alu 0xfffe
	s_or_b32 exec_lo, exec_lo, s34
	s_delay_alu instid0(SALU_CYCLE_1)
	s_mov_b32 s34, exec_lo
	v_cmpx_lt_u32_e64 v135, v162
	s_cbranch_execz .LBB739_1086
.LBB739_1152:                           ;   in Loop: Header=BB739_982 Depth=2
	global_load_b64 v[18:19], v[36:37], off offset:2048
	s_wait_alu 0xfffe
	s_or_b32 exec_lo, exec_lo, s34
	s_delay_alu instid0(SALU_CYCLE_1)
	s_mov_b32 s34, exec_lo
	v_cmpx_lt_u32_e64 v136, v162
	s_cbranch_execz .LBB739_1087
.LBB739_1153:                           ;   in Loop: Header=BB739_982 Depth=2
	global_load_b64 v[16:17], v[36:37], off offset:2304
	s_wait_alu 0xfffe
	s_or_b32 exec_lo, exec_lo, s34
	s_delay_alu instid0(SALU_CYCLE_1)
	s_mov_b32 s34, exec_lo
	v_cmpx_lt_u32_e64 v137, v162
	s_cbranch_execz .LBB739_1088
.LBB739_1154:                           ;   in Loop: Header=BB739_982 Depth=2
	global_load_b64 v[14:15], v[36:37], off offset:2560
	s_wait_alu 0xfffe
	s_or_b32 exec_lo, exec_lo, s34
	s_delay_alu instid0(SALU_CYCLE_1)
	s_mov_b32 s34, exec_lo
	v_cmpx_lt_u32_e64 v138, v162
	s_cbranch_execz .LBB739_1089
.LBB739_1155:                           ;   in Loop: Header=BB739_982 Depth=2
	global_load_b64 v[12:13], v[36:37], off offset:2816
	s_wait_alu 0xfffe
	s_or_b32 exec_lo, exec_lo, s34
	s_delay_alu instid0(SALU_CYCLE_1)
	s_mov_b32 s34, exec_lo
	v_cmpx_lt_u32_e64 v139, v162
	s_cbranch_execz .LBB739_1090
.LBB739_1156:                           ;   in Loop: Header=BB739_982 Depth=2
	global_load_b64 v[10:11], v[36:37], off offset:3072
	s_wait_alu 0xfffe
	s_or_b32 exec_lo, exec_lo, s34
	s_delay_alu instid0(SALU_CYCLE_1)
	s_mov_b32 s34, exec_lo
	v_cmpx_lt_u32_e64 v140, v162
	s_cbranch_execz .LBB739_1091
.LBB739_1157:                           ;   in Loop: Header=BB739_982 Depth=2
	global_load_b64 v[8:9], v[36:37], off offset:3328
	s_wait_alu 0xfffe
	s_or_b32 exec_lo, exec_lo, s34
	s_delay_alu instid0(SALU_CYCLE_1)
	s_mov_b32 s34, exec_lo
	v_cmpx_lt_u32_e64 v141, v162
	s_cbranch_execz .LBB739_1092
.LBB739_1158:                           ;   in Loop: Header=BB739_982 Depth=2
	global_load_b64 v[6:7], v[36:37], off offset:3584
	s_wait_alu 0xfffe
	s_or_b32 exec_lo, exec_lo, s34
	s_delay_alu instid0(SALU_CYCLE_1)
	s_mov_b32 s34, exec_lo
	v_cmpx_lt_u32_e64 v142, v162
	s_cbranch_execz .LBB739_1093
.LBB739_1159:                           ;   in Loop: Header=BB739_982 Depth=2
	global_load_b64 v[4:5], v[36:37], off offset:3840
	s_wait_alu 0xfffe
	s_or_b32 exec_lo, exec_lo, s34
	s_and_saveexec_b32 s30, vcc_lo
	s_cbranch_execz .LBB739_1094
.LBB739_1160:                           ;   in Loop: Header=BB739_982 Depth=2
	ds_load_b64 v[36:37], v108 offset:1024
	s_wait_dscnt 0x0
	v_lshrrev_b64 v[36:37], s31, v[36:37]
	s_delay_alu instid0(VALU_DEP_1)
	v_and_b32_e32 v161, s54, v36
	s_wait_alu 0xfffe
	s_or_b32 exec_lo, exec_lo, s30
	s_and_saveexec_b32 s30, s15
	s_cbranch_execz .LBB739_1095
.LBB739_1161:                           ;   in Loop: Header=BB739_982 Depth=2
	ds_load_b64 v[36:37], v108 offset:3072
	s_wait_dscnt 0x0
	v_lshrrev_b64 v[36:37], s31, v[36:37]
	s_delay_alu instid0(VALU_DEP_1)
	v_and_b32_e32 v160, s54, v36
	s_wait_alu 0xfffe
	s_or_b32 exec_lo, exec_lo, s30
	s_and_saveexec_b32 s30, s16
	s_cbranch_execz .LBB739_1096
.LBB739_1162:                           ;   in Loop: Header=BB739_982 Depth=2
	ds_load_b64 v[36:37], v108 offset:5120
	s_wait_dscnt 0x0
	v_lshrrev_b64 v[36:37], s31, v[36:37]
	s_delay_alu instid0(VALU_DEP_1)
	v_and_b32_e32 v159, s54, v36
	s_wait_alu 0xfffe
	s_or_b32 exec_lo, exec_lo, s30
	s_and_saveexec_b32 s30, s17
	s_cbranch_execz .LBB739_1097
.LBB739_1163:                           ;   in Loop: Header=BB739_982 Depth=2
	ds_load_b64 v[36:37], v108 offset:7168
	s_wait_dscnt 0x0
	v_lshrrev_b64 v[36:37], s31, v[36:37]
	s_delay_alu instid0(VALU_DEP_1)
	v_and_b32_e32 v158, s54, v36
	s_wait_alu 0xfffe
	s_or_b32 exec_lo, exec_lo, s30
	s_and_saveexec_b32 s30, s18
	s_cbranch_execz .LBB739_1098
.LBB739_1164:                           ;   in Loop: Header=BB739_982 Depth=2
	ds_load_b64 v[36:37], v108 offset:9216
	s_wait_dscnt 0x0
	v_lshrrev_b64 v[36:37], s31, v[36:37]
	s_delay_alu instid0(VALU_DEP_1)
	v_and_b32_e32 v157, s54, v36
	s_wait_alu 0xfffe
	s_or_b32 exec_lo, exec_lo, s30
	s_and_saveexec_b32 s30, s19
	s_cbranch_execz .LBB739_1099
.LBB739_1165:                           ;   in Loop: Header=BB739_982 Depth=2
	ds_load_b64 v[36:37], v108 offset:11264
	s_wait_dscnt 0x0
	v_lshrrev_b64 v[36:37], s31, v[36:37]
	s_delay_alu instid0(VALU_DEP_1)
	v_and_b32_e32 v156, s54, v36
	s_wait_alu 0xfffe
	s_or_b32 exec_lo, exec_lo, s30
	s_and_saveexec_b32 s30, s20
	s_cbranch_execz .LBB739_1100
.LBB739_1166:                           ;   in Loop: Header=BB739_982 Depth=2
	ds_load_b64 v[36:37], v108 offset:13312
	s_wait_dscnt 0x0
	v_lshrrev_b64 v[36:37], s31, v[36:37]
	s_delay_alu instid0(VALU_DEP_1)
	v_and_b32_e32 v155, s54, v36
	s_wait_alu 0xfffe
	s_or_b32 exec_lo, exec_lo, s30
	s_and_saveexec_b32 s30, s21
	s_cbranch_execz .LBB739_1101
.LBB739_1167:                           ;   in Loop: Header=BB739_982 Depth=2
	ds_load_b64 v[36:37], v108 offset:15360
	s_wait_dscnt 0x0
	v_lshrrev_b64 v[36:37], s31, v[36:37]
	s_delay_alu instid0(VALU_DEP_1)
	v_and_b32_e32 v154, s54, v36
	s_wait_alu 0xfffe
	s_or_b32 exec_lo, exec_lo, s30
	s_and_saveexec_b32 s30, s22
	s_cbranch_execz .LBB739_1102
.LBB739_1168:                           ;   in Loop: Header=BB739_982 Depth=2
	ds_load_b64 v[36:37], v108 offset:17408
	s_wait_dscnt 0x0
	v_lshrrev_b64 v[36:37], s31, v[36:37]
	s_delay_alu instid0(VALU_DEP_1)
	v_and_b32_e32 v153, s54, v36
	s_wait_alu 0xfffe
	s_or_b32 exec_lo, exec_lo, s30
	s_and_saveexec_b32 s30, s23
	s_cbranch_execz .LBB739_1103
.LBB739_1169:                           ;   in Loop: Header=BB739_982 Depth=2
	ds_load_b64 v[36:37], v108 offset:19456
	s_wait_dscnt 0x0
	v_lshrrev_b64 v[36:37], s31, v[36:37]
	s_delay_alu instid0(VALU_DEP_1)
	v_and_b32_e32 v152, s54, v36
	s_wait_alu 0xfffe
	s_or_b32 exec_lo, exec_lo, s30
	s_and_saveexec_b32 s30, s24
	s_cbranch_execz .LBB739_1104
.LBB739_1170:                           ;   in Loop: Header=BB739_982 Depth=2
	ds_load_b64 v[36:37], v108 offset:21504
	s_wait_dscnt 0x0
	v_lshrrev_b64 v[36:37], s31, v[36:37]
	s_delay_alu instid0(VALU_DEP_1)
	v_and_b32_e32 v151, s54, v36
	s_wait_alu 0xfffe
	s_or_b32 exec_lo, exec_lo, s30
	s_and_saveexec_b32 s30, s25
	s_cbranch_execz .LBB739_1105
.LBB739_1171:                           ;   in Loop: Header=BB739_982 Depth=2
	ds_load_b64 v[36:37], v108 offset:23552
	s_wait_dscnt 0x0
	v_lshrrev_b64 v[36:37], s31, v[36:37]
	s_delay_alu instid0(VALU_DEP_1)
	v_and_b32_e32 v150, s54, v36
	s_wait_alu 0xfffe
	s_or_b32 exec_lo, exec_lo, s30
	s_and_saveexec_b32 s30, s26
	s_cbranch_execz .LBB739_1106
.LBB739_1172:                           ;   in Loop: Header=BB739_982 Depth=2
	ds_load_b64 v[36:37], v108 offset:25600
	s_wait_dscnt 0x0
	v_lshrrev_b64 v[36:37], s31, v[36:37]
	s_delay_alu instid0(VALU_DEP_1)
	v_and_b32_e32 v149, s54, v36
	s_wait_alu 0xfffe
	s_or_b32 exec_lo, exec_lo, s30
	s_and_saveexec_b32 s30, s27
	s_cbranch_execz .LBB739_1107
.LBB739_1173:                           ;   in Loop: Header=BB739_982 Depth=2
	ds_load_b64 v[36:37], v108 offset:27648
	s_wait_dscnt 0x0
	v_lshrrev_b64 v[36:37], s31, v[36:37]
	s_delay_alu instid0(VALU_DEP_1)
	v_and_b32_e32 v148, s54, v36
	s_wait_alu 0xfffe
	s_or_b32 exec_lo, exec_lo, s30
	s_and_saveexec_b32 s30, s28
	s_cbranch_execz .LBB739_1108
.LBB739_1174:                           ;   in Loop: Header=BB739_982 Depth=2
	ds_load_b64 v[36:37], v108 offset:29696
	s_wait_dscnt 0x0
	v_lshrrev_b64 v[36:37], s31, v[36:37]
	s_delay_alu instid0(VALU_DEP_1)
	v_and_b32_e32 v147, s54, v36
	s_wait_alu 0xfffe
	s_or_b32 exec_lo, exec_lo, s30
	s_and_saveexec_b32 s30, s29
	s_cbranch_execnz .LBB739_1109
	s_branch .LBB739_1110
.LBB739_1175:                           ;   in Loop: Header=BB739_982 Depth=2
	v_dual_mov_b32 v39, v2 :: v_dual_lshlrev_b32 v36, 2, v161
	ds_load_b32 v38, v36
	ds_load_b64 v[36:37], v108 offset:1024
	s_wait_dscnt 0x1
	v_add_nc_u32_e32 v38, v38, v1
	s_delay_alu instid0(VALU_DEP_1) | instskip(NEXT) | instid1(VALU_DEP_1)
	v_lshlrev_b64_e32 v[38:39], 3, v[38:39]
	v_add_co_u32 v38, vcc_lo, s46, v38
	s_wait_alu 0xfffd
	s_delay_alu instid0(VALU_DEP_2)
	v_add_co_ci_u32_e64 v39, null, s47, v39, vcc_lo
	s_wait_dscnt 0x0
	global_store_b64 v[38:39], v[36:37], off
	s_wait_alu 0xfffe
	s_or_b32 exec_lo, exec_lo, s30
	s_and_saveexec_b32 s30, s15
	s_cbranch_execz .LBB739_1112
.LBB739_1176:                           ;   in Loop: Header=BB739_982 Depth=2
	v_dual_mov_b32 v39, v2 :: v_dual_lshlrev_b32 v36, 2, v160
	ds_load_b32 v38, v36
	ds_load_b64 v[36:37], v108 offset:3072
	s_wait_dscnt 0x1
	v_add_nc_u32_e32 v38, v38, v77
	s_delay_alu instid0(VALU_DEP_1) | instskip(NEXT) | instid1(VALU_DEP_1)
	v_lshlrev_b64_e32 v[38:39], 3, v[38:39]
	v_add_co_u32 v38, vcc_lo, s46, v38
	s_wait_alu 0xfffd
	s_delay_alu instid0(VALU_DEP_2)
	v_add_co_ci_u32_e64 v39, null, s47, v39, vcc_lo
	s_wait_dscnt 0x0
	global_store_b64 v[38:39], v[36:37], off
	s_wait_alu 0xfffe
	s_or_b32 exec_lo, exec_lo, s30
	s_and_saveexec_b32 s15, s16
	s_cbranch_execz .LBB739_1113
.LBB739_1177:                           ;   in Loop: Header=BB739_982 Depth=2
	v_dual_mov_b32 v39, v2 :: v_dual_lshlrev_b32 v36, 2, v159
	ds_load_b32 v38, v36
	ds_load_b64 v[36:37], v108 offset:5120
	s_wait_dscnt 0x1
	v_add_nc_u32_e32 v38, v38, v78
	s_delay_alu instid0(VALU_DEP_1) | instskip(NEXT) | instid1(VALU_DEP_1)
	v_lshlrev_b64_e32 v[38:39], 3, v[38:39]
	v_add_co_u32 v38, vcc_lo, s46, v38
	s_wait_alu 0xfffd
	s_delay_alu instid0(VALU_DEP_2)
	v_add_co_ci_u32_e64 v39, null, s47, v39, vcc_lo
	s_wait_dscnt 0x0
	global_store_b64 v[38:39], v[36:37], off
	s_wait_alu 0xfffe
	s_or_b32 exec_lo, exec_lo, s15
	s_and_saveexec_b32 s15, s17
	s_cbranch_execz .LBB739_1114
.LBB739_1178:                           ;   in Loop: Header=BB739_982 Depth=2
	v_dual_mov_b32 v39, v2 :: v_dual_lshlrev_b32 v36, 2, v158
	ds_load_b32 v38, v36
	ds_load_b64 v[36:37], v108 offset:7168
	s_wait_dscnt 0x1
	v_add_nc_u32_e32 v38, v38, v79
	s_delay_alu instid0(VALU_DEP_1) | instskip(NEXT) | instid1(VALU_DEP_1)
	v_lshlrev_b64_e32 v[38:39], 3, v[38:39]
	v_add_co_u32 v38, vcc_lo, s46, v38
	s_wait_alu 0xfffd
	s_delay_alu instid0(VALU_DEP_2)
	v_add_co_ci_u32_e64 v39, null, s47, v39, vcc_lo
	s_wait_dscnt 0x0
	global_store_b64 v[38:39], v[36:37], off
	s_wait_alu 0xfffe
	s_or_b32 exec_lo, exec_lo, s15
	s_and_saveexec_b32 s15, s18
	s_cbranch_execz .LBB739_1115
.LBB739_1179:                           ;   in Loop: Header=BB739_982 Depth=2
	v_dual_mov_b32 v39, v2 :: v_dual_lshlrev_b32 v36, 2, v157
	ds_load_b32 v38, v36
	ds_load_b64 v[36:37], v108 offset:9216
	s_wait_dscnt 0x1
	v_add_nc_u32_e32 v38, v38, v82
	s_delay_alu instid0(VALU_DEP_1) | instskip(NEXT) | instid1(VALU_DEP_1)
	v_lshlrev_b64_e32 v[38:39], 3, v[38:39]
	v_add_co_u32 v38, vcc_lo, s46, v38
	s_wait_alu 0xfffd
	s_delay_alu instid0(VALU_DEP_2)
	v_add_co_ci_u32_e64 v39, null, s47, v39, vcc_lo
	s_wait_dscnt 0x0
	global_store_b64 v[38:39], v[36:37], off
	s_wait_alu 0xfffe
	s_or_b32 exec_lo, exec_lo, s15
	s_and_saveexec_b32 s15, s19
	s_cbranch_execz .LBB739_1116
.LBB739_1180:                           ;   in Loop: Header=BB739_982 Depth=2
	v_dual_mov_b32 v39, v2 :: v_dual_lshlrev_b32 v36, 2, v156
	ds_load_b32 v38, v36
	ds_load_b64 v[36:37], v108 offset:11264
	s_wait_dscnt 0x1
	v_add_nc_u32_e32 v38, v38, v83
	s_delay_alu instid0(VALU_DEP_1) | instskip(NEXT) | instid1(VALU_DEP_1)
	v_lshlrev_b64_e32 v[38:39], 3, v[38:39]
	v_add_co_u32 v38, vcc_lo, s46, v38
	s_wait_alu 0xfffd
	s_delay_alu instid0(VALU_DEP_2)
	v_add_co_ci_u32_e64 v39, null, s47, v39, vcc_lo
	s_wait_dscnt 0x0
	global_store_b64 v[38:39], v[36:37], off
	s_wait_alu 0xfffe
	s_or_b32 exec_lo, exec_lo, s15
	s_and_saveexec_b32 s15, s20
	s_cbranch_execz .LBB739_1117
.LBB739_1181:                           ;   in Loop: Header=BB739_982 Depth=2
	v_dual_mov_b32 v39, v2 :: v_dual_lshlrev_b32 v36, 2, v155
	ds_load_b32 v38, v36
	ds_load_b64 v[36:37], v108 offset:13312
	s_wait_dscnt 0x1
	v_add_nc_u32_e32 v38, v38, v84
	s_delay_alu instid0(VALU_DEP_1) | instskip(NEXT) | instid1(VALU_DEP_1)
	v_lshlrev_b64_e32 v[38:39], 3, v[38:39]
	v_add_co_u32 v38, vcc_lo, s46, v38
	s_wait_alu 0xfffd
	s_delay_alu instid0(VALU_DEP_2)
	v_add_co_ci_u32_e64 v39, null, s47, v39, vcc_lo
	s_wait_dscnt 0x0
	global_store_b64 v[38:39], v[36:37], off
	s_wait_alu 0xfffe
	s_or_b32 exec_lo, exec_lo, s15
	s_and_saveexec_b32 s15, s21
	s_cbranch_execz .LBB739_1118
.LBB739_1182:                           ;   in Loop: Header=BB739_982 Depth=2
	v_dual_mov_b32 v39, v2 :: v_dual_lshlrev_b32 v36, 2, v154
	ds_load_b32 v38, v36
	ds_load_b64 v[36:37], v108 offset:15360
	s_wait_dscnt 0x1
	v_add_nc_u32_e32 v38, v38, v85
	s_delay_alu instid0(VALU_DEP_1) | instskip(NEXT) | instid1(VALU_DEP_1)
	v_lshlrev_b64_e32 v[38:39], 3, v[38:39]
	v_add_co_u32 v38, vcc_lo, s46, v38
	s_wait_alu 0xfffd
	s_delay_alu instid0(VALU_DEP_2)
	v_add_co_ci_u32_e64 v39, null, s47, v39, vcc_lo
	s_wait_dscnt 0x0
	global_store_b64 v[38:39], v[36:37], off
	s_wait_alu 0xfffe
	s_or_b32 exec_lo, exec_lo, s15
	s_and_saveexec_b32 s15, s22
	s_cbranch_execz .LBB739_1119
.LBB739_1183:                           ;   in Loop: Header=BB739_982 Depth=2
	v_dual_mov_b32 v39, v2 :: v_dual_lshlrev_b32 v36, 2, v153
	ds_load_b32 v38, v36
	ds_load_b64 v[36:37], v108 offset:17408
	s_wait_dscnt 0x1
	v_add_nc_u32_e32 v38, v38, v86
	s_delay_alu instid0(VALU_DEP_1) | instskip(NEXT) | instid1(VALU_DEP_1)
	v_lshlrev_b64_e32 v[38:39], 3, v[38:39]
	v_add_co_u32 v38, vcc_lo, s46, v38
	s_wait_alu 0xfffd
	s_delay_alu instid0(VALU_DEP_2)
	v_add_co_ci_u32_e64 v39, null, s47, v39, vcc_lo
	s_wait_dscnt 0x0
	global_store_b64 v[38:39], v[36:37], off
	s_wait_alu 0xfffe
	s_or_b32 exec_lo, exec_lo, s15
	s_and_saveexec_b32 s15, s23
	s_cbranch_execz .LBB739_1120
.LBB739_1184:                           ;   in Loop: Header=BB739_982 Depth=2
	v_dual_mov_b32 v39, v2 :: v_dual_lshlrev_b32 v36, 2, v152
	ds_load_b32 v38, v36
	ds_load_b64 v[36:37], v108 offset:19456
	s_wait_dscnt 0x1
	v_add_nc_u32_e32 v38, v38, v87
	s_delay_alu instid0(VALU_DEP_1) | instskip(NEXT) | instid1(VALU_DEP_1)
	v_lshlrev_b64_e32 v[38:39], 3, v[38:39]
	v_add_co_u32 v38, vcc_lo, s46, v38
	s_wait_alu 0xfffd
	s_delay_alu instid0(VALU_DEP_2)
	v_add_co_ci_u32_e64 v39, null, s47, v39, vcc_lo
	s_wait_dscnt 0x0
	global_store_b64 v[38:39], v[36:37], off
	s_wait_alu 0xfffe
	s_or_b32 exec_lo, exec_lo, s15
	s_and_saveexec_b32 s15, s24
	s_cbranch_execz .LBB739_1121
.LBB739_1185:                           ;   in Loop: Header=BB739_982 Depth=2
	v_dual_mov_b32 v39, v2 :: v_dual_lshlrev_b32 v36, 2, v151
	ds_load_b32 v38, v36
	ds_load_b64 v[36:37], v108 offset:21504
	s_wait_dscnt 0x1
	v_add_nc_u32_e32 v38, v38, v88
	s_delay_alu instid0(VALU_DEP_1) | instskip(NEXT) | instid1(VALU_DEP_1)
	v_lshlrev_b64_e32 v[38:39], 3, v[38:39]
	v_add_co_u32 v38, vcc_lo, s46, v38
	s_wait_alu 0xfffd
	s_delay_alu instid0(VALU_DEP_2)
	v_add_co_ci_u32_e64 v39, null, s47, v39, vcc_lo
	s_wait_dscnt 0x0
	global_store_b64 v[38:39], v[36:37], off
	s_wait_alu 0xfffe
	s_or_b32 exec_lo, exec_lo, s15
	s_and_saveexec_b32 s15, s25
	s_cbranch_execz .LBB739_1122
.LBB739_1186:                           ;   in Loop: Header=BB739_982 Depth=2
	v_dual_mov_b32 v39, v2 :: v_dual_lshlrev_b32 v36, 2, v150
	ds_load_b32 v38, v36
	ds_load_b64 v[36:37], v108 offset:23552
	s_wait_dscnt 0x1
	v_add_nc_u32_e32 v38, v38, v89
	s_delay_alu instid0(VALU_DEP_1) | instskip(NEXT) | instid1(VALU_DEP_1)
	v_lshlrev_b64_e32 v[38:39], 3, v[38:39]
	v_add_co_u32 v38, vcc_lo, s46, v38
	s_wait_alu 0xfffd
	s_delay_alu instid0(VALU_DEP_2)
	v_add_co_ci_u32_e64 v39, null, s47, v39, vcc_lo
	s_wait_dscnt 0x0
	global_store_b64 v[38:39], v[36:37], off
	s_wait_alu 0xfffe
	s_or_b32 exec_lo, exec_lo, s15
	s_and_saveexec_b32 s15, s26
	s_cbranch_execz .LBB739_1123
.LBB739_1187:                           ;   in Loop: Header=BB739_982 Depth=2
	v_dual_mov_b32 v39, v2 :: v_dual_lshlrev_b32 v36, 2, v149
	ds_load_b32 v38, v36
	ds_load_b64 v[36:37], v108 offset:25600
	s_wait_dscnt 0x1
	v_add_nc_u32_e32 v38, v38, v90
	s_delay_alu instid0(VALU_DEP_1) | instskip(NEXT) | instid1(VALU_DEP_1)
	v_lshlrev_b64_e32 v[38:39], 3, v[38:39]
	v_add_co_u32 v38, vcc_lo, s46, v38
	s_wait_alu 0xfffd
	s_delay_alu instid0(VALU_DEP_2)
	v_add_co_ci_u32_e64 v39, null, s47, v39, vcc_lo
	s_wait_dscnt 0x0
	global_store_b64 v[38:39], v[36:37], off
	s_wait_alu 0xfffe
	s_or_b32 exec_lo, exec_lo, s15
	s_and_saveexec_b32 s15, s27
	s_cbranch_execz .LBB739_1124
.LBB739_1188:                           ;   in Loop: Header=BB739_982 Depth=2
	v_dual_mov_b32 v39, v2 :: v_dual_lshlrev_b32 v36, 2, v148
	ds_load_b32 v38, v36
	ds_load_b64 v[36:37], v108 offset:27648
	s_wait_dscnt 0x1
	v_add_nc_u32_e32 v38, v38, v91
	s_delay_alu instid0(VALU_DEP_1) | instskip(NEXT) | instid1(VALU_DEP_1)
	v_lshlrev_b64_e32 v[38:39], 3, v[38:39]
	v_add_co_u32 v38, vcc_lo, s46, v38
	s_wait_alu 0xfffd
	s_delay_alu instid0(VALU_DEP_2)
	v_add_co_ci_u32_e64 v39, null, s47, v39, vcc_lo
	s_wait_dscnt 0x0
	global_store_b64 v[38:39], v[36:37], off
	s_wait_alu 0xfffe
	s_or_b32 exec_lo, exec_lo, s15
	s_and_saveexec_b32 s15, s28
	s_cbranch_execz .LBB739_1125
.LBB739_1189:                           ;   in Loop: Header=BB739_982 Depth=2
	v_dual_mov_b32 v39, v2 :: v_dual_lshlrev_b32 v36, 2, v147
	ds_load_b32 v38, v36
	ds_load_b64 v[36:37], v108 offset:29696
	s_wait_dscnt 0x1
	v_add_nc_u32_e32 v38, v38, v92
	s_delay_alu instid0(VALU_DEP_1) | instskip(NEXT) | instid1(VALU_DEP_1)
	v_lshlrev_b64_e32 v[38:39], 3, v[38:39]
	v_add_co_u32 v38, vcc_lo, s46, v38
	s_wait_alu 0xfffd
	s_delay_alu instid0(VALU_DEP_2)
	v_add_co_ci_u32_e64 v39, null, s47, v39, vcc_lo
	s_wait_dscnt 0x0
	global_store_b64 v[38:39], v[36:37], off
	s_wait_alu 0xfffe
	s_or_b32 exec_lo, exec_lo, s15
	s_and_saveexec_b32 s15, s29
	s_cbranch_execnz .LBB739_1126
	s_branch .LBB739_1127
.LBB739_1190:
	s_endpgm
	.section	.rodata,"a",@progbits
	.p2align	6, 0x0
	.amdhsa_kernel _ZN7rocprim17ROCPRIM_400000_NS6detail17trampoline_kernelINS0_14default_configENS1_36segmented_radix_sort_config_selectorIllEEZNS1_25segmented_radix_sort_implIS3_Lb1EPKlPlS8_S9_N2at6native12_GLOBAL__N_18offset_tEEE10hipError_tPvRmT1_PNSt15iterator_traitsISH_E10value_typeET2_T3_PNSI_ISN_E10value_typeET4_jRbjT5_ST_jjP12ihipStream_tbEUlT_E2_NS1_11comp_targetILNS1_3genE10ELNS1_11target_archE1201ELNS1_3gpuE5ELNS1_3repE0EEENS1_30default_config_static_selectorELNS0_4arch9wavefront6targetE0EEEvSH_
		.amdhsa_group_segment_fixed_size 33824
		.amdhsa_private_segment_fixed_size 176
		.amdhsa_kernarg_size 336
		.amdhsa_user_sgpr_count 2
		.amdhsa_user_sgpr_dispatch_ptr 0
		.amdhsa_user_sgpr_queue_ptr 0
		.amdhsa_user_sgpr_kernarg_segment_ptr 1
		.amdhsa_user_sgpr_dispatch_id 0
		.amdhsa_user_sgpr_private_segment_size 0
		.amdhsa_wavefront_size32 1
		.amdhsa_uses_dynamic_stack 0
		.amdhsa_enable_private_segment 1
		.amdhsa_system_sgpr_workgroup_id_x 1
		.amdhsa_system_sgpr_workgroup_id_y 1
		.amdhsa_system_sgpr_workgroup_id_z 0
		.amdhsa_system_sgpr_workgroup_info 0
		.amdhsa_system_vgpr_workitem_id 2
		.amdhsa_next_free_vgpr 248
		.amdhsa_next_free_sgpr 60
		.amdhsa_reserve_vcc 1
		.amdhsa_float_round_mode_32 0
		.amdhsa_float_round_mode_16_64 0
		.amdhsa_float_denorm_mode_32 3
		.amdhsa_float_denorm_mode_16_64 3
		.amdhsa_fp16_overflow 0
		.amdhsa_workgroup_processor_mode 1
		.amdhsa_memory_ordered 1
		.amdhsa_forward_progress 1
		.amdhsa_inst_pref_size 255
		.amdhsa_round_robin_scheduling 0
		.amdhsa_exception_fp_ieee_invalid_op 0
		.amdhsa_exception_fp_denorm_src 0
		.amdhsa_exception_fp_ieee_div_zero 0
		.amdhsa_exception_fp_ieee_overflow 0
		.amdhsa_exception_fp_ieee_underflow 0
		.amdhsa_exception_fp_ieee_inexact 0
		.amdhsa_exception_int_div_zero 0
	.end_amdhsa_kernel
	.section	.text._ZN7rocprim17ROCPRIM_400000_NS6detail17trampoline_kernelINS0_14default_configENS1_36segmented_radix_sort_config_selectorIllEEZNS1_25segmented_radix_sort_implIS3_Lb1EPKlPlS8_S9_N2at6native12_GLOBAL__N_18offset_tEEE10hipError_tPvRmT1_PNSt15iterator_traitsISH_E10value_typeET2_T3_PNSI_ISN_E10value_typeET4_jRbjT5_ST_jjP12ihipStream_tbEUlT_E2_NS1_11comp_targetILNS1_3genE10ELNS1_11target_archE1201ELNS1_3gpuE5ELNS1_3repE0EEENS1_30default_config_static_selectorELNS0_4arch9wavefront6targetE0EEEvSH_,"axG",@progbits,_ZN7rocprim17ROCPRIM_400000_NS6detail17trampoline_kernelINS0_14default_configENS1_36segmented_radix_sort_config_selectorIllEEZNS1_25segmented_radix_sort_implIS3_Lb1EPKlPlS8_S9_N2at6native12_GLOBAL__N_18offset_tEEE10hipError_tPvRmT1_PNSt15iterator_traitsISH_E10value_typeET2_T3_PNSI_ISN_E10value_typeET4_jRbjT5_ST_jjP12ihipStream_tbEUlT_E2_NS1_11comp_targetILNS1_3genE10ELNS1_11target_archE1201ELNS1_3gpuE5ELNS1_3repE0EEENS1_30default_config_static_selectorELNS0_4arch9wavefront6targetE0EEEvSH_,comdat
.Lfunc_end739:
	.size	_ZN7rocprim17ROCPRIM_400000_NS6detail17trampoline_kernelINS0_14default_configENS1_36segmented_radix_sort_config_selectorIllEEZNS1_25segmented_radix_sort_implIS3_Lb1EPKlPlS8_S9_N2at6native12_GLOBAL__N_18offset_tEEE10hipError_tPvRmT1_PNSt15iterator_traitsISH_E10value_typeET2_T3_PNSI_ISN_E10value_typeET4_jRbjT5_ST_jjP12ihipStream_tbEUlT_E2_NS1_11comp_targetILNS1_3genE10ELNS1_11target_archE1201ELNS1_3gpuE5ELNS1_3repE0EEENS1_30default_config_static_selectorELNS0_4arch9wavefront6targetE0EEEvSH_, .Lfunc_end739-_ZN7rocprim17ROCPRIM_400000_NS6detail17trampoline_kernelINS0_14default_configENS1_36segmented_radix_sort_config_selectorIllEEZNS1_25segmented_radix_sort_implIS3_Lb1EPKlPlS8_S9_N2at6native12_GLOBAL__N_18offset_tEEE10hipError_tPvRmT1_PNSt15iterator_traitsISH_E10value_typeET2_T3_PNSI_ISN_E10value_typeET4_jRbjT5_ST_jjP12ihipStream_tbEUlT_E2_NS1_11comp_targetILNS1_3genE10ELNS1_11target_archE1201ELNS1_3gpuE5ELNS1_3repE0EEENS1_30default_config_static_selectorELNS0_4arch9wavefront6targetE0EEEvSH_
                                        ; -- End function
	.set _ZN7rocprim17ROCPRIM_400000_NS6detail17trampoline_kernelINS0_14default_configENS1_36segmented_radix_sort_config_selectorIllEEZNS1_25segmented_radix_sort_implIS3_Lb1EPKlPlS8_S9_N2at6native12_GLOBAL__N_18offset_tEEE10hipError_tPvRmT1_PNSt15iterator_traitsISH_E10value_typeET2_T3_PNSI_ISN_E10value_typeET4_jRbjT5_ST_jjP12ihipStream_tbEUlT_E2_NS1_11comp_targetILNS1_3genE10ELNS1_11target_archE1201ELNS1_3gpuE5ELNS1_3repE0EEENS1_30default_config_static_selectorELNS0_4arch9wavefront6targetE0EEEvSH_.num_vgpr, max(217, .L_ZN7rocprim17ROCPRIM_400000_NS6detail26segmented_warp_sort_helperINS1_20WarpSortHelperConfigILj8ELj4ELj256EEEllLi256ELb1EvE4sortIPKlPlS8_S9_EEvT_T0_T1_T2_jjjjRNS5_12storage_typeE.num_vgpr, .L_ZN7rocprim17ROCPRIM_400000_NS6detail40segmented_radix_sort_single_block_helperIllLj256ELj16ELb1EE4sortIPKlPlS6_S7_EEbT_T0_T1_T2_jjjjRNS3_12storage_typeE.num_vgpr)
	.set _ZN7rocprim17ROCPRIM_400000_NS6detail17trampoline_kernelINS0_14default_configENS1_36segmented_radix_sort_config_selectorIllEEZNS1_25segmented_radix_sort_implIS3_Lb1EPKlPlS8_S9_N2at6native12_GLOBAL__N_18offset_tEEE10hipError_tPvRmT1_PNSt15iterator_traitsISH_E10value_typeET2_T3_PNSI_ISN_E10value_typeET4_jRbjT5_ST_jjP12ihipStream_tbEUlT_E2_NS1_11comp_targetILNS1_3genE10ELNS1_11target_archE1201ELNS1_3gpuE5ELNS1_3repE0EEENS1_30default_config_static_selectorELNS0_4arch9wavefront6targetE0EEEvSH_.num_agpr, max(0, .L_ZN7rocprim17ROCPRIM_400000_NS6detail26segmented_warp_sort_helperINS1_20WarpSortHelperConfigILj8ELj4ELj256EEEllLi256ELb1EvE4sortIPKlPlS8_S9_EEvT_T0_T1_T2_jjjjRNS5_12storage_typeE.num_agpr, .L_ZN7rocprim17ROCPRIM_400000_NS6detail40segmented_radix_sort_single_block_helperIllLj256ELj16ELb1EE4sortIPKlPlS6_S7_EEbT_T0_T1_T2_jjjjRNS3_12storage_typeE.num_agpr)
	.set _ZN7rocprim17ROCPRIM_400000_NS6detail17trampoline_kernelINS0_14default_configENS1_36segmented_radix_sort_config_selectorIllEEZNS1_25segmented_radix_sort_implIS3_Lb1EPKlPlS8_S9_N2at6native12_GLOBAL__N_18offset_tEEE10hipError_tPvRmT1_PNSt15iterator_traitsISH_E10value_typeET2_T3_PNSI_ISN_E10value_typeET4_jRbjT5_ST_jjP12ihipStream_tbEUlT_E2_NS1_11comp_targetILNS1_3genE10ELNS1_11target_archE1201ELNS1_3gpuE5ELNS1_3repE0EEENS1_30default_config_static_selectorELNS0_4arch9wavefront6targetE0EEEvSH_.numbered_sgpr, max(60, .L_ZN7rocprim17ROCPRIM_400000_NS6detail26segmented_warp_sort_helperINS1_20WarpSortHelperConfigILj8ELj4ELj256EEEllLi256ELb1EvE4sortIPKlPlS8_S9_EEvT_T0_T1_T2_jjjjRNS5_12storage_typeE.numbered_sgpr, .L_ZN7rocprim17ROCPRIM_400000_NS6detail40segmented_radix_sort_single_block_helperIllLj256ELj16ELb1EE4sortIPKlPlS6_S7_EEbT_T0_T1_T2_jjjjRNS3_12storage_typeE.numbered_sgpr)
	.set _ZN7rocprim17ROCPRIM_400000_NS6detail17trampoline_kernelINS0_14default_configENS1_36segmented_radix_sort_config_selectorIllEEZNS1_25segmented_radix_sort_implIS3_Lb1EPKlPlS8_S9_N2at6native12_GLOBAL__N_18offset_tEEE10hipError_tPvRmT1_PNSt15iterator_traitsISH_E10value_typeET2_T3_PNSI_ISN_E10value_typeET4_jRbjT5_ST_jjP12ihipStream_tbEUlT_E2_NS1_11comp_targetILNS1_3genE10ELNS1_11target_archE1201ELNS1_3gpuE5ELNS1_3repE0EEENS1_30default_config_static_selectorELNS0_4arch9wavefront6targetE0EEEvSH_.num_named_barrier, max(0, .L_ZN7rocprim17ROCPRIM_400000_NS6detail26segmented_warp_sort_helperINS1_20WarpSortHelperConfigILj8ELj4ELj256EEEllLi256ELb1EvE4sortIPKlPlS8_S9_EEvT_T0_T1_T2_jjjjRNS5_12storage_typeE.num_named_barrier, .L_ZN7rocprim17ROCPRIM_400000_NS6detail40segmented_radix_sort_single_block_helperIllLj256ELj16ELb1EE4sortIPKlPlS6_S7_EEbT_T0_T1_T2_jjjjRNS3_12storage_typeE.num_named_barrier)
	.set _ZN7rocprim17ROCPRIM_400000_NS6detail17trampoline_kernelINS0_14default_configENS1_36segmented_radix_sort_config_selectorIllEEZNS1_25segmented_radix_sort_implIS3_Lb1EPKlPlS8_S9_N2at6native12_GLOBAL__N_18offset_tEEE10hipError_tPvRmT1_PNSt15iterator_traitsISH_E10value_typeET2_T3_PNSI_ISN_E10value_typeET4_jRbjT5_ST_jjP12ihipStream_tbEUlT_E2_NS1_11comp_targetILNS1_3genE10ELNS1_11target_archE1201ELNS1_3gpuE5ELNS1_3repE0EEENS1_30default_config_static_selectorELNS0_4arch9wavefront6targetE0EEEvSH_.private_seg_size, 0+max(.L_ZN7rocprim17ROCPRIM_400000_NS6detail26segmented_warp_sort_helperINS1_20WarpSortHelperConfigILj8ELj4ELj256EEEllLi256ELb1EvE4sortIPKlPlS8_S9_EEvT_T0_T1_T2_jjjjRNS5_12storage_typeE.private_seg_size, .L_ZN7rocprim17ROCPRIM_400000_NS6detail40segmented_radix_sort_single_block_helperIllLj256ELj16ELb1EE4sortIPKlPlS6_S7_EEbT_T0_T1_T2_jjjjRNS3_12storage_typeE.private_seg_size)
	.set _ZN7rocprim17ROCPRIM_400000_NS6detail17trampoline_kernelINS0_14default_configENS1_36segmented_radix_sort_config_selectorIllEEZNS1_25segmented_radix_sort_implIS3_Lb1EPKlPlS8_S9_N2at6native12_GLOBAL__N_18offset_tEEE10hipError_tPvRmT1_PNSt15iterator_traitsISH_E10value_typeET2_T3_PNSI_ISN_E10value_typeET4_jRbjT5_ST_jjP12ihipStream_tbEUlT_E2_NS1_11comp_targetILNS1_3genE10ELNS1_11target_archE1201ELNS1_3gpuE5ELNS1_3repE0EEENS1_30default_config_static_selectorELNS0_4arch9wavefront6targetE0EEEvSH_.uses_vcc, or(1, .L_ZN7rocprim17ROCPRIM_400000_NS6detail26segmented_warp_sort_helperINS1_20WarpSortHelperConfigILj8ELj4ELj256EEEllLi256ELb1EvE4sortIPKlPlS8_S9_EEvT_T0_T1_T2_jjjjRNS5_12storage_typeE.uses_vcc, .L_ZN7rocprim17ROCPRIM_400000_NS6detail40segmented_radix_sort_single_block_helperIllLj256ELj16ELb1EE4sortIPKlPlS6_S7_EEbT_T0_T1_T2_jjjjRNS3_12storage_typeE.uses_vcc)
	.set _ZN7rocprim17ROCPRIM_400000_NS6detail17trampoline_kernelINS0_14default_configENS1_36segmented_radix_sort_config_selectorIllEEZNS1_25segmented_radix_sort_implIS3_Lb1EPKlPlS8_S9_N2at6native12_GLOBAL__N_18offset_tEEE10hipError_tPvRmT1_PNSt15iterator_traitsISH_E10value_typeET2_T3_PNSI_ISN_E10value_typeET4_jRbjT5_ST_jjP12ihipStream_tbEUlT_E2_NS1_11comp_targetILNS1_3genE10ELNS1_11target_archE1201ELNS1_3gpuE5ELNS1_3repE0EEENS1_30default_config_static_selectorELNS0_4arch9wavefront6targetE0EEEvSH_.uses_flat_scratch, or(0, .L_ZN7rocprim17ROCPRIM_400000_NS6detail26segmented_warp_sort_helperINS1_20WarpSortHelperConfigILj8ELj4ELj256EEEllLi256ELb1EvE4sortIPKlPlS8_S9_EEvT_T0_T1_T2_jjjjRNS5_12storage_typeE.uses_flat_scratch, .L_ZN7rocprim17ROCPRIM_400000_NS6detail40segmented_radix_sort_single_block_helperIllLj256ELj16ELb1EE4sortIPKlPlS6_S7_EEbT_T0_T1_T2_jjjjRNS3_12storage_typeE.uses_flat_scratch)
	.set _ZN7rocprim17ROCPRIM_400000_NS6detail17trampoline_kernelINS0_14default_configENS1_36segmented_radix_sort_config_selectorIllEEZNS1_25segmented_radix_sort_implIS3_Lb1EPKlPlS8_S9_N2at6native12_GLOBAL__N_18offset_tEEE10hipError_tPvRmT1_PNSt15iterator_traitsISH_E10value_typeET2_T3_PNSI_ISN_E10value_typeET4_jRbjT5_ST_jjP12ihipStream_tbEUlT_E2_NS1_11comp_targetILNS1_3genE10ELNS1_11target_archE1201ELNS1_3gpuE5ELNS1_3repE0EEENS1_30default_config_static_selectorELNS0_4arch9wavefront6targetE0EEEvSH_.has_dyn_sized_stack, or(0, .L_ZN7rocprim17ROCPRIM_400000_NS6detail26segmented_warp_sort_helperINS1_20WarpSortHelperConfigILj8ELj4ELj256EEEllLi256ELb1EvE4sortIPKlPlS8_S9_EEvT_T0_T1_T2_jjjjRNS5_12storage_typeE.has_dyn_sized_stack, .L_ZN7rocprim17ROCPRIM_400000_NS6detail40segmented_radix_sort_single_block_helperIllLj256ELj16ELb1EE4sortIPKlPlS6_S7_EEbT_T0_T1_T2_jjjjRNS3_12storage_typeE.has_dyn_sized_stack)
	.set _ZN7rocprim17ROCPRIM_400000_NS6detail17trampoline_kernelINS0_14default_configENS1_36segmented_radix_sort_config_selectorIllEEZNS1_25segmented_radix_sort_implIS3_Lb1EPKlPlS8_S9_N2at6native12_GLOBAL__N_18offset_tEEE10hipError_tPvRmT1_PNSt15iterator_traitsISH_E10value_typeET2_T3_PNSI_ISN_E10value_typeET4_jRbjT5_ST_jjP12ihipStream_tbEUlT_E2_NS1_11comp_targetILNS1_3genE10ELNS1_11target_archE1201ELNS1_3gpuE5ELNS1_3repE0EEENS1_30default_config_static_selectorELNS0_4arch9wavefront6targetE0EEEvSH_.has_recursion, or(0, .L_ZN7rocprim17ROCPRIM_400000_NS6detail26segmented_warp_sort_helperINS1_20WarpSortHelperConfigILj8ELj4ELj256EEEllLi256ELb1EvE4sortIPKlPlS8_S9_EEvT_T0_T1_T2_jjjjRNS5_12storage_typeE.has_recursion, .L_ZN7rocprim17ROCPRIM_400000_NS6detail40segmented_radix_sort_single_block_helperIllLj256ELj16ELb1EE4sortIPKlPlS6_S7_EEbT_T0_T1_T2_jjjjRNS3_12storage_typeE.has_recursion)
	.set _ZN7rocprim17ROCPRIM_400000_NS6detail17trampoline_kernelINS0_14default_configENS1_36segmented_radix_sort_config_selectorIllEEZNS1_25segmented_radix_sort_implIS3_Lb1EPKlPlS8_S9_N2at6native12_GLOBAL__N_18offset_tEEE10hipError_tPvRmT1_PNSt15iterator_traitsISH_E10value_typeET2_T3_PNSI_ISN_E10value_typeET4_jRbjT5_ST_jjP12ihipStream_tbEUlT_E2_NS1_11comp_targetILNS1_3genE10ELNS1_11target_archE1201ELNS1_3gpuE5ELNS1_3repE0EEENS1_30default_config_static_selectorELNS0_4arch9wavefront6targetE0EEEvSH_.has_indirect_call, or(0, .L_ZN7rocprim17ROCPRIM_400000_NS6detail26segmented_warp_sort_helperINS1_20WarpSortHelperConfigILj8ELj4ELj256EEEllLi256ELb1EvE4sortIPKlPlS8_S9_EEvT_T0_T1_T2_jjjjRNS5_12storage_typeE.has_indirect_call, .L_ZN7rocprim17ROCPRIM_400000_NS6detail40segmented_radix_sort_single_block_helperIllLj256ELj16ELb1EE4sortIPKlPlS6_S7_EEbT_T0_T1_T2_jjjjRNS3_12storage_typeE.has_indirect_call)
	.section	.AMDGPU.csdata,"",@progbits
; Kernel info:
; codeLenInByte = 78548
; TotalNumSgprs: 62
; NumVgprs: 248
; ScratchSize: 176
; MemoryBound: 0
; FloatMode: 240
; IeeeMode: 1
; LDSByteSize: 33824 bytes/workgroup (compile time only)
; SGPRBlocks: 0
; VGPRBlocks: 30
; NumSGPRsForWavesPerEU: 62
; NumVGPRsForWavesPerEU: 248
; Occupancy: 5
; WaveLimiterHint : 1
; COMPUTE_PGM_RSRC2:SCRATCH_EN: 1
; COMPUTE_PGM_RSRC2:USER_SGPR: 2
; COMPUTE_PGM_RSRC2:TRAP_HANDLER: 0
; COMPUTE_PGM_RSRC2:TGID_X_EN: 1
; COMPUTE_PGM_RSRC2:TGID_Y_EN: 1
; COMPUTE_PGM_RSRC2:TGID_Z_EN: 0
; COMPUTE_PGM_RSRC2:TIDIG_COMP_CNT: 2
	.section	.text._ZN7rocprim17ROCPRIM_400000_NS6detail17trampoline_kernelINS0_14default_configENS1_36segmented_radix_sort_config_selectorIllEEZNS1_25segmented_radix_sort_implIS3_Lb1EPKlPlS8_S9_N2at6native12_GLOBAL__N_18offset_tEEE10hipError_tPvRmT1_PNSt15iterator_traitsISH_E10value_typeET2_T3_PNSI_ISN_E10value_typeET4_jRbjT5_ST_jjP12ihipStream_tbEUlT_E2_NS1_11comp_targetILNS1_3genE10ELNS1_11target_archE1200ELNS1_3gpuE4ELNS1_3repE0EEENS1_30default_config_static_selectorELNS0_4arch9wavefront6targetE0EEEvSH_,"axG",@progbits,_ZN7rocprim17ROCPRIM_400000_NS6detail17trampoline_kernelINS0_14default_configENS1_36segmented_radix_sort_config_selectorIllEEZNS1_25segmented_radix_sort_implIS3_Lb1EPKlPlS8_S9_N2at6native12_GLOBAL__N_18offset_tEEE10hipError_tPvRmT1_PNSt15iterator_traitsISH_E10value_typeET2_T3_PNSI_ISN_E10value_typeET4_jRbjT5_ST_jjP12ihipStream_tbEUlT_E2_NS1_11comp_targetILNS1_3genE10ELNS1_11target_archE1200ELNS1_3gpuE4ELNS1_3repE0EEENS1_30default_config_static_selectorELNS0_4arch9wavefront6targetE0EEEvSH_,comdat
	.globl	_ZN7rocprim17ROCPRIM_400000_NS6detail17trampoline_kernelINS0_14default_configENS1_36segmented_radix_sort_config_selectorIllEEZNS1_25segmented_radix_sort_implIS3_Lb1EPKlPlS8_S9_N2at6native12_GLOBAL__N_18offset_tEEE10hipError_tPvRmT1_PNSt15iterator_traitsISH_E10value_typeET2_T3_PNSI_ISN_E10value_typeET4_jRbjT5_ST_jjP12ihipStream_tbEUlT_E2_NS1_11comp_targetILNS1_3genE10ELNS1_11target_archE1200ELNS1_3gpuE4ELNS1_3repE0EEENS1_30default_config_static_selectorELNS0_4arch9wavefront6targetE0EEEvSH_ ; -- Begin function _ZN7rocprim17ROCPRIM_400000_NS6detail17trampoline_kernelINS0_14default_configENS1_36segmented_radix_sort_config_selectorIllEEZNS1_25segmented_radix_sort_implIS3_Lb1EPKlPlS8_S9_N2at6native12_GLOBAL__N_18offset_tEEE10hipError_tPvRmT1_PNSt15iterator_traitsISH_E10value_typeET2_T3_PNSI_ISN_E10value_typeET4_jRbjT5_ST_jjP12ihipStream_tbEUlT_E2_NS1_11comp_targetILNS1_3genE10ELNS1_11target_archE1200ELNS1_3gpuE4ELNS1_3repE0EEENS1_30default_config_static_selectorELNS0_4arch9wavefront6targetE0EEEvSH_
	.p2align	8
	.type	_ZN7rocprim17ROCPRIM_400000_NS6detail17trampoline_kernelINS0_14default_configENS1_36segmented_radix_sort_config_selectorIllEEZNS1_25segmented_radix_sort_implIS3_Lb1EPKlPlS8_S9_N2at6native12_GLOBAL__N_18offset_tEEE10hipError_tPvRmT1_PNSt15iterator_traitsISH_E10value_typeET2_T3_PNSI_ISN_E10value_typeET4_jRbjT5_ST_jjP12ihipStream_tbEUlT_E2_NS1_11comp_targetILNS1_3genE10ELNS1_11target_archE1200ELNS1_3gpuE4ELNS1_3repE0EEENS1_30default_config_static_selectorELNS0_4arch9wavefront6targetE0EEEvSH_,@function
_ZN7rocprim17ROCPRIM_400000_NS6detail17trampoline_kernelINS0_14default_configENS1_36segmented_radix_sort_config_selectorIllEEZNS1_25segmented_radix_sort_implIS3_Lb1EPKlPlS8_S9_N2at6native12_GLOBAL__N_18offset_tEEE10hipError_tPvRmT1_PNSt15iterator_traitsISH_E10value_typeET2_T3_PNSI_ISN_E10value_typeET4_jRbjT5_ST_jjP12ihipStream_tbEUlT_E2_NS1_11comp_targetILNS1_3genE10ELNS1_11target_archE1200ELNS1_3gpuE4ELNS1_3repE0EEENS1_30default_config_static_selectorELNS0_4arch9wavefront6targetE0EEEvSH_: ; @_ZN7rocprim17ROCPRIM_400000_NS6detail17trampoline_kernelINS0_14default_configENS1_36segmented_radix_sort_config_selectorIllEEZNS1_25segmented_radix_sort_implIS3_Lb1EPKlPlS8_S9_N2at6native12_GLOBAL__N_18offset_tEEE10hipError_tPvRmT1_PNSt15iterator_traitsISH_E10value_typeET2_T3_PNSI_ISN_E10value_typeET4_jRbjT5_ST_jjP12ihipStream_tbEUlT_E2_NS1_11comp_targetILNS1_3genE10ELNS1_11target_archE1200ELNS1_3gpuE4ELNS1_3repE0EEENS1_30default_config_static_selectorELNS0_4arch9wavefront6targetE0EEEvSH_
; %bb.0:
	.section	.rodata,"a",@progbits
	.p2align	6, 0x0
	.amdhsa_kernel _ZN7rocprim17ROCPRIM_400000_NS6detail17trampoline_kernelINS0_14default_configENS1_36segmented_radix_sort_config_selectorIllEEZNS1_25segmented_radix_sort_implIS3_Lb1EPKlPlS8_S9_N2at6native12_GLOBAL__N_18offset_tEEE10hipError_tPvRmT1_PNSt15iterator_traitsISH_E10value_typeET2_T3_PNSI_ISN_E10value_typeET4_jRbjT5_ST_jjP12ihipStream_tbEUlT_E2_NS1_11comp_targetILNS1_3genE10ELNS1_11target_archE1200ELNS1_3gpuE4ELNS1_3repE0EEENS1_30default_config_static_selectorELNS0_4arch9wavefront6targetE0EEEvSH_
		.amdhsa_group_segment_fixed_size 0
		.amdhsa_private_segment_fixed_size 0
		.amdhsa_kernarg_size 80
		.amdhsa_user_sgpr_count 2
		.amdhsa_user_sgpr_dispatch_ptr 0
		.amdhsa_user_sgpr_queue_ptr 0
		.amdhsa_user_sgpr_kernarg_segment_ptr 1
		.amdhsa_user_sgpr_dispatch_id 0
		.amdhsa_user_sgpr_private_segment_size 0
		.amdhsa_wavefront_size32 1
		.amdhsa_uses_dynamic_stack 0
		.amdhsa_enable_private_segment 0
		.amdhsa_system_sgpr_workgroup_id_x 1
		.amdhsa_system_sgpr_workgroup_id_y 0
		.amdhsa_system_sgpr_workgroup_id_z 0
		.amdhsa_system_sgpr_workgroup_info 0
		.amdhsa_system_vgpr_workitem_id 0
		.amdhsa_next_free_vgpr 1
		.amdhsa_next_free_sgpr 1
		.amdhsa_reserve_vcc 0
		.amdhsa_float_round_mode_32 0
		.amdhsa_float_round_mode_16_64 0
		.amdhsa_float_denorm_mode_32 3
		.amdhsa_float_denorm_mode_16_64 3
		.amdhsa_fp16_overflow 0
		.amdhsa_workgroup_processor_mode 1
		.amdhsa_memory_ordered 1
		.amdhsa_forward_progress 1
		.amdhsa_inst_pref_size 0
		.amdhsa_round_robin_scheduling 0
		.amdhsa_exception_fp_ieee_invalid_op 0
		.amdhsa_exception_fp_denorm_src 0
		.amdhsa_exception_fp_ieee_div_zero 0
		.amdhsa_exception_fp_ieee_overflow 0
		.amdhsa_exception_fp_ieee_underflow 0
		.amdhsa_exception_fp_ieee_inexact 0
		.amdhsa_exception_int_div_zero 0
	.end_amdhsa_kernel
	.section	.text._ZN7rocprim17ROCPRIM_400000_NS6detail17trampoline_kernelINS0_14default_configENS1_36segmented_radix_sort_config_selectorIllEEZNS1_25segmented_radix_sort_implIS3_Lb1EPKlPlS8_S9_N2at6native12_GLOBAL__N_18offset_tEEE10hipError_tPvRmT1_PNSt15iterator_traitsISH_E10value_typeET2_T3_PNSI_ISN_E10value_typeET4_jRbjT5_ST_jjP12ihipStream_tbEUlT_E2_NS1_11comp_targetILNS1_3genE10ELNS1_11target_archE1200ELNS1_3gpuE4ELNS1_3repE0EEENS1_30default_config_static_selectorELNS0_4arch9wavefront6targetE0EEEvSH_,"axG",@progbits,_ZN7rocprim17ROCPRIM_400000_NS6detail17trampoline_kernelINS0_14default_configENS1_36segmented_radix_sort_config_selectorIllEEZNS1_25segmented_radix_sort_implIS3_Lb1EPKlPlS8_S9_N2at6native12_GLOBAL__N_18offset_tEEE10hipError_tPvRmT1_PNSt15iterator_traitsISH_E10value_typeET2_T3_PNSI_ISN_E10value_typeET4_jRbjT5_ST_jjP12ihipStream_tbEUlT_E2_NS1_11comp_targetILNS1_3genE10ELNS1_11target_archE1200ELNS1_3gpuE4ELNS1_3repE0EEENS1_30default_config_static_selectorELNS0_4arch9wavefront6targetE0EEEvSH_,comdat
.Lfunc_end740:
	.size	_ZN7rocprim17ROCPRIM_400000_NS6detail17trampoline_kernelINS0_14default_configENS1_36segmented_radix_sort_config_selectorIllEEZNS1_25segmented_radix_sort_implIS3_Lb1EPKlPlS8_S9_N2at6native12_GLOBAL__N_18offset_tEEE10hipError_tPvRmT1_PNSt15iterator_traitsISH_E10value_typeET2_T3_PNSI_ISN_E10value_typeET4_jRbjT5_ST_jjP12ihipStream_tbEUlT_E2_NS1_11comp_targetILNS1_3genE10ELNS1_11target_archE1200ELNS1_3gpuE4ELNS1_3repE0EEENS1_30default_config_static_selectorELNS0_4arch9wavefront6targetE0EEEvSH_, .Lfunc_end740-_ZN7rocprim17ROCPRIM_400000_NS6detail17trampoline_kernelINS0_14default_configENS1_36segmented_radix_sort_config_selectorIllEEZNS1_25segmented_radix_sort_implIS3_Lb1EPKlPlS8_S9_N2at6native12_GLOBAL__N_18offset_tEEE10hipError_tPvRmT1_PNSt15iterator_traitsISH_E10value_typeET2_T3_PNSI_ISN_E10value_typeET4_jRbjT5_ST_jjP12ihipStream_tbEUlT_E2_NS1_11comp_targetILNS1_3genE10ELNS1_11target_archE1200ELNS1_3gpuE4ELNS1_3repE0EEENS1_30default_config_static_selectorELNS0_4arch9wavefront6targetE0EEEvSH_
                                        ; -- End function
	.set _ZN7rocprim17ROCPRIM_400000_NS6detail17trampoline_kernelINS0_14default_configENS1_36segmented_radix_sort_config_selectorIllEEZNS1_25segmented_radix_sort_implIS3_Lb1EPKlPlS8_S9_N2at6native12_GLOBAL__N_18offset_tEEE10hipError_tPvRmT1_PNSt15iterator_traitsISH_E10value_typeET2_T3_PNSI_ISN_E10value_typeET4_jRbjT5_ST_jjP12ihipStream_tbEUlT_E2_NS1_11comp_targetILNS1_3genE10ELNS1_11target_archE1200ELNS1_3gpuE4ELNS1_3repE0EEENS1_30default_config_static_selectorELNS0_4arch9wavefront6targetE0EEEvSH_.num_vgpr, 0
	.set _ZN7rocprim17ROCPRIM_400000_NS6detail17trampoline_kernelINS0_14default_configENS1_36segmented_radix_sort_config_selectorIllEEZNS1_25segmented_radix_sort_implIS3_Lb1EPKlPlS8_S9_N2at6native12_GLOBAL__N_18offset_tEEE10hipError_tPvRmT1_PNSt15iterator_traitsISH_E10value_typeET2_T3_PNSI_ISN_E10value_typeET4_jRbjT5_ST_jjP12ihipStream_tbEUlT_E2_NS1_11comp_targetILNS1_3genE10ELNS1_11target_archE1200ELNS1_3gpuE4ELNS1_3repE0EEENS1_30default_config_static_selectorELNS0_4arch9wavefront6targetE0EEEvSH_.num_agpr, 0
	.set _ZN7rocprim17ROCPRIM_400000_NS6detail17trampoline_kernelINS0_14default_configENS1_36segmented_radix_sort_config_selectorIllEEZNS1_25segmented_radix_sort_implIS3_Lb1EPKlPlS8_S9_N2at6native12_GLOBAL__N_18offset_tEEE10hipError_tPvRmT1_PNSt15iterator_traitsISH_E10value_typeET2_T3_PNSI_ISN_E10value_typeET4_jRbjT5_ST_jjP12ihipStream_tbEUlT_E2_NS1_11comp_targetILNS1_3genE10ELNS1_11target_archE1200ELNS1_3gpuE4ELNS1_3repE0EEENS1_30default_config_static_selectorELNS0_4arch9wavefront6targetE0EEEvSH_.numbered_sgpr, 0
	.set _ZN7rocprim17ROCPRIM_400000_NS6detail17trampoline_kernelINS0_14default_configENS1_36segmented_radix_sort_config_selectorIllEEZNS1_25segmented_radix_sort_implIS3_Lb1EPKlPlS8_S9_N2at6native12_GLOBAL__N_18offset_tEEE10hipError_tPvRmT1_PNSt15iterator_traitsISH_E10value_typeET2_T3_PNSI_ISN_E10value_typeET4_jRbjT5_ST_jjP12ihipStream_tbEUlT_E2_NS1_11comp_targetILNS1_3genE10ELNS1_11target_archE1200ELNS1_3gpuE4ELNS1_3repE0EEENS1_30default_config_static_selectorELNS0_4arch9wavefront6targetE0EEEvSH_.num_named_barrier, 0
	.set _ZN7rocprim17ROCPRIM_400000_NS6detail17trampoline_kernelINS0_14default_configENS1_36segmented_radix_sort_config_selectorIllEEZNS1_25segmented_radix_sort_implIS3_Lb1EPKlPlS8_S9_N2at6native12_GLOBAL__N_18offset_tEEE10hipError_tPvRmT1_PNSt15iterator_traitsISH_E10value_typeET2_T3_PNSI_ISN_E10value_typeET4_jRbjT5_ST_jjP12ihipStream_tbEUlT_E2_NS1_11comp_targetILNS1_3genE10ELNS1_11target_archE1200ELNS1_3gpuE4ELNS1_3repE0EEENS1_30default_config_static_selectorELNS0_4arch9wavefront6targetE0EEEvSH_.private_seg_size, 0
	.set _ZN7rocprim17ROCPRIM_400000_NS6detail17trampoline_kernelINS0_14default_configENS1_36segmented_radix_sort_config_selectorIllEEZNS1_25segmented_radix_sort_implIS3_Lb1EPKlPlS8_S9_N2at6native12_GLOBAL__N_18offset_tEEE10hipError_tPvRmT1_PNSt15iterator_traitsISH_E10value_typeET2_T3_PNSI_ISN_E10value_typeET4_jRbjT5_ST_jjP12ihipStream_tbEUlT_E2_NS1_11comp_targetILNS1_3genE10ELNS1_11target_archE1200ELNS1_3gpuE4ELNS1_3repE0EEENS1_30default_config_static_selectorELNS0_4arch9wavefront6targetE0EEEvSH_.uses_vcc, 0
	.set _ZN7rocprim17ROCPRIM_400000_NS6detail17trampoline_kernelINS0_14default_configENS1_36segmented_radix_sort_config_selectorIllEEZNS1_25segmented_radix_sort_implIS3_Lb1EPKlPlS8_S9_N2at6native12_GLOBAL__N_18offset_tEEE10hipError_tPvRmT1_PNSt15iterator_traitsISH_E10value_typeET2_T3_PNSI_ISN_E10value_typeET4_jRbjT5_ST_jjP12ihipStream_tbEUlT_E2_NS1_11comp_targetILNS1_3genE10ELNS1_11target_archE1200ELNS1_3gpuE4ELNS1_3repE0EEENS1_30default_config_static_selectorELNS0_4arch9wavefront6targetE0EEEvSH_.uses_flat_scratch, 0
	.set _ZN7rocprim17ROCPRIM_400000_NS6detail17trampoline_kernelINS0_14default_configENS1_36segmented_radix_sort_config_selectorIllEEZNS1_25segmented_radix_sort_implIS3_Lb1EPKlPlS8_S9_N2at6native12_GLOBAL__N_18offset_tEEE10hipError_tPvRmT1_PNSt15iterator_traitsISH_E10value_typeET2_T3_PNSI_ISN_E10value_typeET4_jRbjT5_ST_jjP12ihipStream_tbEUlT_E2_NS1_11comp_targetILNS1_3genE10ELNS1_11target_archE1200ELNS1_3gpuE4ELNS1_3repE0EEENS1_30default_config_static_selectorELNS0_4arch9wavefront6targetE0EEEvSH_.has_dyn_sized_stack, 0
	.set _ZN7rocprim17ROCPRIM_400000_NS6detail17trampoline_kernelINS0_14default_configENS1_36segmented_radix_sort_config_selectorIllEEZNS1_25segmented_radix_sort_implIS3_Lb1EPKlPlS8_S9_N2at6native12_GLOBAL__N_18offset_tEEE10hipError_tPvRmT1_PNSt15iterator_traitsISH_E10value_typeET2_T3_PNSI_ISN_E10value_typeET4_jRbjT5_ST_jjP12ihipStream_tbEUlT_E2_NS1_11comp_targetILNS1_3genE10ELNS1_11target_archE1200ELNS1_3gpuE4ELNS1_3repE0EEENS1_30default_config_static_selectorELNS0_4arch9wavefront6targetE0EEEvSH_.has_recursion, 0
	.set _ZN7rocprim17ROCPRIM_400000_NS6detail17trampoline_kernelINS0_14default_configENS1_36segmented_radix_sort_config_selectorIllEEZNS1_25segmented_radix_sort_implIS3_Lb1EPKlPlS8_S9_N2at6native12_GLOBAL__N_18offset_tEEE10hipError_tPvRmT1_PNSt15iterator_traitsISH_E10value_typeET2_T3_PNSI_ISN_E10value_typeET4_jRbjT5_ST_jjP12ihipStream_tbEUlT_E2_NS1_11comp_targetILNS1_3genE10ELNS1_11target_archE1200ELNS1_3gpuE4ELNS1_3repE0EEENS1_30default_config_static_selectorELNS0_4arch9wavefront6targetE0EEEvSH_.has_indirect_call, 0
	.section	.AMDGPU.csdata,"",@progbits
; Kernel info:
; codeLenInByte = 0
; TotalNumSgprs: 0
; NumVgprs: 0
; ScratchSize: 0
; MemoryBound: 0
; FloatMode: 240
; IeeeMode: 1
; LDSByteSize: 0 bytes/workgroup (compile time only)
; SGPRBlocks: 0
; VGPRBlocks: 0
; NumSGPRsForWavesPerEU: 1
; NumVGPRsForWavesPerEU: 1
; Occupancy: 16
; WaveLimiterHint : 0
; COMPUTE_PGM_RSRC2:SCRATCH_EN: 0
; COMPUTE_PGM_RSRC2:USER_SGPR: 2
; COMPUTE_PGM_RSRC2:TRAP_HANDLER: 0
; COMPUTE_PGM_RSRC2:TGID_X_EN: 1
; COMPUTE_PGM_RSRC2:TGID_Y_EN: 0
; COMPUTE_PGM_RSRC2:TGID_Z_EN: 0
; COMPUTE_PGM_RSRC2:TIDIG_COMP_CNT: 0
	.section	.text._ZN7rocprim17ROCPRIM_400000_NS6detail17trampoline_kernelINS0_14default_configENS1_36segmented_radix_sort_config_selectorIllEEZNS1_25segmented_radix_sort_implIS3_Lb1EPKlPlS8_S9_N2at6native12_GLOBAL__N_18offset_tEEE10hipError_tPvRmT1_PNSt15iterator_traitsISH_E10value_typeET2_T3_PNSI_ISN_E10value_typeET4_jRbjT5_ST_jjP12ihipStream_tbEUlT_E2_NS1_11comp_targetILNS1_3genE9ELNS1_11target_archE1100ELNS1_3gpuE3ELNS1_3repE0EEENS1_30default_config_static_selectorELNS0_4arch9wavefront6targetE0EEEvSH_,"axG",@progbits,_ZN7rocprim17ROCPRIM_400000_NS6detail17trampoline_kernelINS0_14default_configENS1_36segmented_radix_sort_config_selectorIllEEZNS1_25segmented_radix_sort_implIS3_Lb1EPKlPlS8_S9_N2at6native12_GLOBAL__N_18offset_tEEE10hipError_tPvRmT1_PNSt15iterator_traitsISH_E10value_typeET2_T3_PNSI_ISN_E10value_typeET4_jRbjT5_ST_jjP12ihipStream_tbEUlT_E2_NS1_11comp_targetILNS1_3genE9ELNS1_11target_archE1100ELNS1_3gpuE3ELNS1_3repE0EEENS1_30default_config_static_selectorELNS0_4arch9wavefront6targetE0EEEvSH_,comdat
	.globl	_ZN7rocprim17ROCPRIM_400000_NS6detail17trampoline_kernelINS0_14default_configENS1_36segmented_radix_sort_config_selectorIllEEZNS1_25segmented_radix_sort_implIS3_Lb1EPKlPlS8_S9_N2at6native12_GLOBAL__N_18offset_tEEE10hipError_tPvRmT1_PNSt15iterator_traitsISH_E10value_typeET2_T3_PNSI_ISN_E10value_typeET4_jRbjT5_ST_jjP12ihipStream_tbEUlT_E2_NS1_11comp_targetILNS1_3genE9ELNS1_11target_archE1100ELNS1_3gpuE3ELNS1_3repE0EEENS1_30default_config_static_selectorELNS0_4arch9wavefront6targetE0EEEvSH_ ; -- Begin function _ZN7rocprim17ROCPRIM_400000_NS6detail17trampoline_kernelINS0_14default_configENS1_36segmented_radix_sort_config_selectorIllEEZNS1_25segmented_radix_sort_implIS3_Lb1EPKlPlS8_S9_N2at6native12_GLOBAL__N_18offset_tEEE10hipError_tPvRmT1_PNSt15iterator_traitsISH_E10value_typeET2_T3_PNSI_ISN_E10value_typeET4_jRbjT5_ST_jjP12ihipStream_tbEUlT_E2_NS1_11comp_targetILNS1_3genE9ELNS1_11target_archE1100ELNS1_3gpuE3ELNS1_3repE0EEENS1_30default_config_static_selectorELNS0_4arch9wavefront6targetE0EEEvSH_
	.p2align	8
	.type	_ZN7rocprim17ROCPRIM_400000_NS6detail17trampoline_kernelINS0_14default_configENS1_36segmented_radix_sort_config_selectorIllEEZNS1_25segmented_radix_sort_implIS3_Lb1EPKlPlS8_S9_N2at6native12_GLOBAL__N_18offset_tEEE10hipError_tPvRmT1_PNSt15iterator_traitsISH_E10value_typeET2_T3_PNSI_ISN_E10value_typeET4_jRbjT5_ST_jjP12ihipStream_tbEUlT_E2_NS1_11comp_targetILNS1_3genE9ELNS1_11target_archE1100ELNS1_3gpuE3ELNS1_3repE0EEENS1_30default_config_static_selectorELNS0_4arch9wavefront6targetE0EEEvSH_,@function
_ZN7rocprim17ROCPRIM_400000_NS6detail17trampoline_kernelINS0_14default_configENS1_36segmented_radix_sort_config_selectorIllEEZNS1_25segmented_radix_sort_implIS3_Lb1EPKlPlS8_S9_N2at6native12_GLOBAL__N_18offset_tEEE10hipError_tPvRmT1_PNSt15iterator_traitsISH_E10value_typeET2_T3_PNSI_ISN_E10value_typeET4_jRbjT5_ST_jjP12ihipStream_tbEUlT_E2_NS1_11comp_targetILNS1_3genE9ELNS1_11target_archE1100ELNS1_3gpuE3ELNS1_3repE0EEENS1_30default_config_static_selectorELNS0_4arch9wavefront6targetE0EEEvSH_: ; @_ZN7rocprim17ROCPRIM_400000_NS6detail17trampoline_kernelINS0_14default_configENS1_36segmented_radix_sort_config_selectorIllEEZNS1_25segmented_radix_sort_implIS3_Lb1EPKlPlS8_S9_N2at6native12_GLOBAL__N_18offset_tEEE10hipError_tPvRmT1_PNSt15iterator_traitsISH_E10value_typeET2_T3_PNSI_ISN_E10value_typeET4_jRbjT5_ST_jjP12ihipStream_tbEUlT_E2_NS1_11comp_targetILNS1_3genE9ELNS1_11target_archE1100ELNS1_3gpuE3ELNS1_3repE0EEENS1_30default_config_static_selectorELNS0_4arch9wavefront6targetE0EEEvSH_
; %bb.0:
	.section	.rodata,"a",@progbits
	.p2align	6, 0x0
	.amdhsa_kernel _ZN7rocprim17ROCPRIM_400000_NS6detail17trampoline_kernelINS0_14default_configENS1_36segmented_radix_sort_config_selectorIllEEZNS1_25segmented_radix_sort_implIS3_Lb1EPKlPlS8_S9_N2at6native12_GLOBAL__N_18offset_tEEE10hipError_tPvRmT1_PNSt15iterator_traitsISH_E10value_typeET2_T3_PNSI_ISN_E10value_typeET4_jRbjT5_ST_jjP12ihipStream_tbEUlT_E2_NS1_11comp_targetILNS1_3genE9ELNS1_11target_archE1100ELNS1_3gpuE3ELNS1_3repE0EEENS1_30default_config_static_selectorELNS0_4arch9wavefront6targetE0EEEvSH_
		.amdhsa_group_segment_fixed_size 0
		.amdhsa_private_segment_fixed_size 0
		.amdhsa_kernarg_size 80
		.amdhsa_user_sgpr_count 2
		.amdhsa_user_sgpr_dispatch_ptr 0
		.amdhsa_user_sgpr_queue_ptr 0
		.amdhsa_user_sgpr_kernarg_segment_ptr 1
		.amdhsa_user_sgpr_dispatch_id 0
		.amdhsa_user_sgpr_private_segment_size 0
		.amdhsa_wavefront_size32 1
		.amdhsa_uses_dynamic_stack 0
		.amdhsa_enable_private_segment 0
		.amdhsa_system_sgpr_workgroup_id_x 1
		.amdhsa_system_sgpr_workgroup_id_y 0
		.amdhsa_system_sgpr_workgroup_id_z 0
		.amdhsa_system_sgpr_workgroup_info 0
		.amdhsa_system_vgpr_workitem_id 0
		.amdhsa_next_free_vgpr 1
		.amdhsa_next_free_sgpr 1
		.amdhsa_reserve_vcc 0
		.amdhsa_float_round_mode_32 0
		.amdhsa_float_round_mode_16_64 0
		.amdhsa_float_denorm_mode_32 3
		.amdhsa_float_denorm_mode_16_64 3
		.amdhsa_fp16_overflow 0
		.amdhsa_workgroup_processor_mode 1
		.amdhsa_memory_ordered 1
		.amdhsa_forward_progress 1
		.amdhsa_inst_pref_size 0
		.amdhsa_round_robin_scheduling 0
		.amdhsa_exception_fp_ieee_invalid_op 0
		.amdhsa_exception_fp_denorm_src 0
		.amdhsa_exception_fp_ieee_div_zero 0
		.amdhsa_exception_fp_ieee_overflow 0
		.amdhsa_exception_fp_ieee_underflow 0
		.amdhsa_exception_fp_ieee_inexact 0
		.amdhsa_exception_int_div_zero 0
	.end_amdhsa_kernel
	.section	.text._ZN7rocprim17ROCPRIM_400000_NS6detail17trampoline_kernelINS0_14default_configENS1_36segmented_radix_sort_config_selectorIllEEZNS1_25segmented_radix_sort_implIS3_Lb1EPKlPlS8_S9_N2at6native12_GLOBAL__N_18offset_tEEE10hipError_tPvRmT1_PNSt15iterator_traitsISH_E10value_typeET2_T3_PNSI_ISN_E10value_typeET4_jRbjT5_ST_jjP12ihipStream_tbEUlT_E2_NS1_11comp_targetILNS1_3genE9ELNS1_11target_archE1100ELNS1_3gpuE3ELNS1_3repE0EEENS1_30default_config_static_selectorELNS0_4arch9wavefront6targetE0EEEvSH_,"axG",@progbits,_ZN7rocprim17ROCPRIM_400000_NS6detail17trampoline_kernelINS0_14default_configENS1_36segmented_radix_sort_config_selectorIllEEZNS1_25segmented_radix_sort_implIS3_Lb1EPKlPlS8_S9_N2at6native12_GLOBAL__N_18offset_tEEE10hipError_tPvRmT1_PNSt15iterator_traitsISH_E10value_typeET2_T3_PNSI_ISN_E10value_typeET4_jRbjT5_ST_jjP12ihipStream_tbEUlT_E2_NS1_11comp_targetILNS1_3genE9ELNS1_11target_archE1100ELNS1_3gpuE3ELNS1_3repE0EEENS1_30default_config_static_selectorELNS0_4arch9wavefront6targetE0EEEvSH_,comdat
.Lfunc_end741:
	.size	_ZN7rocprim17ROCPRIM_400000_NS6detail17trampoline_kernelINS0_14default_configENS1_36segmented_radix_sort_config_selectorIllEEZNS1_25segmented_radix_sort_implIS3_Lb1EPKlPlS8_S9_N2at6native12_GLOBAL__N_18offset_tEEE10hipError_tPvRmT1_PNSt15iterator_traitsISH_E10value_typeET2_T3_PNSI_ISN_E10value_typeET4_jRbjT5_ST_jjP12ihipStream_tbEUlT_E2_NS1_11comp_targetILNS1_3genE9ELNS1_11target_archE1100ELNS1_3gpuE3ELNS1_3repE0EEENS1_30default_config_static_selectorELNS0_4arch9wavefront6targetE0EEEvSH_, .Lfunc_end741-_ZN7rocprim17ROCPRIM_400000_NS6detail17trampoline_kernelINS0_14default_configENS1_36segmented_radix_sort_config_selectorIllEEZNS1_25segmented_radix_sort_implIS3_Lb1EPKlPlS8_S9_N2at6native12_GLOBAL__N_18offset_tEEE10hipError_tPvRmT1_PNSt15iterator_traitsISH_E10value_typeET2_T3_PNSI_ISN_E10value_typeET4_jRbjT5_ST_jjP12ihipStream_tbEUlT_E2_NS1_11comp_targetILNS1_3genE9ELNS1_11target_archE1100ELNS1_3gpuE3ELNS1_3repE0EEENS1_30default_config_static_selectorELNS0_4arch9wavefront6targetE0EEEvSH_
                                        ; -- End function
	.set _ZN7rocprim17ROCPRIM_400000_NS6detail17trampoline_kernelINS0_14default_configENS1_36segmented_radix_sort_config_selectorIllEEZNS1_25segmented_radix_sort_implIS3_Lb1EPKlPlS8_S9_N2at6native12_GLOBAL__N_18offset_tEEE10hipError_tPvRmT1_PNSt15iterator_traitsISH_E10value_typeET2_T3_PNSI_ISN_E10value_typeET4_jRbjT5_ST_jjP12ihipStream_tbEUlT_E2_NS1_11comp_targetILNS1_3genE9ELNS1_11target_archE1100ELNS1_3gpuE3ELNS1_3repE0EEENS1_30default_config_static_selectorELNS0_4arch9wavefront6targetE0EEEvSH_.num_vgpr, 0
	.set _ZN7rocprim17ROCPRIM_400000_NS6detail17trampoline_kernelINS0_14default_configENS1_36segmented_radix_sort_config_selectorIllEEZNS1_25segmented_radix_sort_implIS3_Lb1EPKlPlS8_S9_N2at6native12_GLOBAL__N_18offset_tEEE10hipError_tPvRmT1_PNSt15iterator_traitsISH_E10value_typeET2_T3_PNSI_ISN_E10value_typeET4_jRbjT5_ST_jjP12ihipStream_tbEUlT_E2_NS1_11comp_targetILNS1_3genE9ELNS1_11target_archE1100ELNS1_3gpuE3ELNS1_3repE0EEENS1_30default_config_static_selectorELNS0_4arch9wavefront6targetE0EEEvSH_.num_agpr, 0
	.set _ZN7rocprim17ROCPRIM_400000_NS6detail17trampoline_kernelINS0_14default_configENS1_36segmented_radix_sort_config_selectorIllEEZNS1_25segmented_radix_sort_implIS3_Lb1EPKlPlS8_S9_N2at6native12_GLOBAL__N_18offset_tEEE10hipError_tPvRmT1_PNSt15iterator_traitsISH_E10value_typeET2_T3_PNSI_ISN_E10value_typeET4_jRbjT5_ST_jjP12ihipStream_tbEUlT_E2_NS1_11comp_targetILNS1_3genE9ELNS1_11target_archE1100ELNS1_3gpuE3ELNS1_3repE0EEENS1_30default_config_static_selectorELNS0_4arch9wavefront6targetE0EEEvSH_.numbered_sgpr, 0
	.set _ZN7rocprim17ROCPRIM_400000_NS6detail17trampoline_kernelINS0_14default_configENS1_36segmented_radix_sort_config_selectorIllEEZNS1_25segmented_radix_sort_implIS3_Lb1EPKlPlS8_S9_N2at6native12_GLOBAL__N_18offset_tEEE10hipError_tPvRmT1_PNSt15iterator_traitsISH_E10value_typeET2_T3_PNSI_ISN_E10value_typeET4_jRbjT5_ST_jjP12ihipStream_tbEUlT_E2_NS1_11comp_targetILNS1_3genE9ELNS1_11target_archE1100ELNS1_3gpuE3ELNS1_3repE0EEENS1_30default_config_static_selectorELNS0_4arch9wavefront6targetE0EEEvSH_.num_named_barrier, 0
	.set _ZN7rocprim17ROCPRIM_400000_NS6detail17trampoline_kernelINS0_14default_configENS1_36segmented_radix_sort_config_selectorIllEEZNS1_25segmented_radix_sort_implIS3_Lb1EPKlPlS8_S9_N2at6native12_GLOBAL__N_18offset_tEEE10hipError_tPvRmT1_PNSt15iterator_traitsISH_E10value_typeET2_T3_PNSI_ISN_E10value_typeET4_jRbjT5_ST_jjP12ihipStream_tbEUlT_E2_NS1_11comp_targetILNS1_3genE9ELNS1_11target_archE1100ELNS1_3gpuE3ELNS1_3repE0EEENS1_30default_config_static_selectorELNS0_4arch9wavefront6targetE0EEEvSH_.private_seg_size, 0
	.set _ZN7rocprim17ROCPRIM_400000_NS6detail17trampoline_kernelINS0_14default_configENS1_36segmented_radix_sort_config_selectorIllEEZNS1_25segmented_radix_sort_implIS3_Lb1EPKlPlS8_S9_N2at6native12_GLOBAL__N_18offset_tEEE10hipError_tPvRmT1_PNSt15iterator_traitsISH_E10value_typeET2_T3_PNSI_ISN_E10value_typeET4_jRbjT5_ST_jjP12ihipStream_tbEUlT_E2_NS1_11comp_targetILNS1_3genE9ELNS1_11target_archE1100ELNS1_3gpuE3ELNS1_3repE0EEENS1_30default_config_static_selectorELNS0_4arch9wavefront6targetE0EEEvSH_.uses_vcc, 0
	.set _ZN7rocprim17ROCPRIM_400000_NS6detail17trampoline_kernelINS0_14default_configENS1_36segmented_radix_sort_config_selectorIllEEZNS1_25segmented_radix_sort_implIS3_Lb1EPKlPlS8_S9_N2at6native12_GLOBAL__N_18offset_tEEE10hipError_tPvRmT1_PNSt15iterator_traitsISH_E10value_typeET2_T3_PNSI_ISN_E10value_typeET4_jRbjT5_ST_jjP12ihipStream_tbEUlT_E2_NS1_11comp_targetILNS1_3genE9ELNS1_11target_archE1100ELNS1_3gpuE3ELNS1_3repE0EEENS1_30default_config_static_selectorELNS0_4arch9wavefront6targetE0EEEvSH_.uses_flat_scratch, 0
	.set _ZN7rocprim17ROCPRIM_400000_NS6detail17trampoline_kernelINS0_14default_configENS1_36segmented_radix_sort_config_selectorIllEEZNS1_25segmented_radix_sort_implIS3_Lb1EPKlPlS8_S9_N2at6native12_GLOBAL__N_18offset_tEEE10hipError_tPvRmT1_PNSt15iterator_traitsISH_E10value_typeET2_T3_PNSI_ISN_E10value_typeET4_jRbjT5_ST_jjP12ihipStream_tbEUlT_E2_NS1_11comp_targetILNS1_3genE9ELNS1_11target_archE1100ELNS1_3gpuE3ELNS1_3repE0EEENS1_30default_config_static_selectorELNS0_4arch9wavefront6targetE0EEEvSH_.has_dyn_sized_stack, 0
	.set _ZN7rocprim17ROCPRIM_400000_NS6detail17trampoline_kernelINS0_14default_configENS1_36segmented_radix_sort_config_selectorIllEEZNS1_25segmented_radix_sort_implIS3_Lb1EPKlPlS8_S9_N2at6native12_GLOBAL__N_18offset_tEEE10hipError_tPvRmT1_PNSt15iterator_traitsISH_E10value_typeET2_T3_PNSI_ISN_E10value_typeET4_jRbjT5_ST_jjP12ihipStream_tbEUlT_E2_NS1_11comp_targetILNS1_3genE9ELNS1_11target_archE1100ELNS1_3gpuE3ELNS1_3repE0EEENS1_30default_config_static_selectorELNS0_4arch9wavefront6targetE0EEEvSH_.has_recursion, 0
	.set _ZN7rocprim17ROCPRIM_400000_NS6detail17trampoline_kernelINS0_14default_configENS1_36segmented_radix_sort_config_selectorIllEEZNS1_25segmented_radix_sort_implIS3_Lb1EPKlPlS8_S9_N2at6native12_GLOBAL__N_18offset_tEEE10hipError_tPvRmT1_PNSt15iterator_traitsISH_E10value_typeET2_T3_PNSI_ISN_E10value_typeET4_jRbjT5_ST_jjP12ihipStream_tbEUlT_E2_NS1_11comp_targetILNS1_3genE9ELNS1_11target_archE1100ELNS1_3gpuE3ELNS1_3repE0EEENS1_30default_config_static_selectorELNS0_4arch9wavefront6targetE0EEEvSH_.has_indirect_call, 0
	.section	.AMDGPU.csdata,"",@progbits
; Kernel info:
; codeLenInByte = 0
; TotalNumSgprs: 0
; NumVgprs: 0
; ScratchSize: 0
; MemoryBound: 0
; FloatMode: 240
; IeeeMode: 1
; LDSByteSize: 0 bytes/workgroup (compile time only)
; SGPRBlocks: 0
; VGPRBlocks: 0
; NumSGPRsForWavesPerEU: 1
; NumVGPRsForWavesPerEU: 1
; Occupancy: 16
; WaveLimiterHint : 0
; COMPUTE_PGM_RSRC2:SCRATCH_EN: 0
; COMPUTE_PGM_RSRC2:USER_SGPR: 2
; COMPUTE_PGM_RSRC2:TRAP_HANDLER: 0
; COMPUTE_PGM_RSRC2:TGID_X_EN: 1
; COMPUTE_PGM_RSRC2:TGID_Y_EN: 0
; COMPUTE_PGM_RSRC2:TGID_Z_EN: 0
; COMPUTE_PGM_RSRC2:TIDIG_COMP_CNT: 0
	.section	.text._ZN7rocprim17ROCPRIM_400000_NS6detail17trampoline_kernelINS0_14default_configENS1_36segmented_radix_sort_config_selectorIllEEZNS1_25segmented_radix_sort_implIS3_Lb1EPKlPlS8_S9_N2at6native12_GLOBAL__N_18offset_tEEE10hipError_tPvRmT1_PNSt15iterator_traitsISH_E10value_typeET2_T3_PNSI_ISN_E10value_typeET4_jRbjT5_ST_jjP12ihipStream_tbEUlT_E2_NS1_11comp_targetILNS1_3genE8ELNS1_11target_archE1030ELNS1_3gpuE2ELNS1_3repE0EEENS1_30default_config_static_selectorELNS0_4arch9wavefront6targetE0EEEvSH_,"axG",@progbits,_ZN7rocprim17ROCPRIM_400000_NS6detail17trampoline_kernelINS0_14default_configENS1_36segmented_radix_sort_config_selectorIllEEZNS1_25segmented_radix_sort_implIS3_Lb1EPKlPlS8_S9_N2at6native12_GLOBAL__N_18offset_tEEE10hipError_tPvRmT1_PNSt15iterator_traitsISH_E10value_typeET2_T3_PNSI_ISN_E10value_typeET4_jRbjT5_ST_jjP12ihipStream_tbEUlT_E2_NS1_11comp_targetILNS1_3genE8ELNS1_11target_archE1030ELNS1_3gpuE2ELNS1_3repE0EEENS1_30default_config_static_selectorELNS0_4arch9wavefront6targetE0EEEvSH_,comdat
	.globl	_ZN7rocprim17ROCPRIM_400000_NS6detail17trampoline_kernelINS0_14default_configENS1_36segmented_radix_sort_config_selectorIllEEZNS1_25segmented_radix_sort_implIS3_Lb1EPKlPlS8_S9_N2at6native12_GLOBAL__N_18offset_tEEE10hipError_tPvRmT1_PNSt15iterator_traitsISH_E10value_typeET2_T3_PNSI_ISN_E10value_typeET4_jRbjT5_ST_jjP12ihipStream_tbEUlT_E2_NS1_11comp_targetILNS1_3genE8ELNS1_11target_archE1030ELNS1_3gpuE2ELNS1_3repE0EEENS1_30default_config_static_selectorELNS0_4arch9wavefront6targetE0EEEvSH_ ; -- Begin function _ZN7rocprim17ROCPRIM_400000_NS6detail17trampoline_kernelINS0_14default_configENS1_36segmented_radix_sort_config_selectorIllEEZNS1_25segmented_radix_sort_implIS3_Lb1EPKlPlS8_S9_N2at6native12_GLOBAL__N_18offset_tEEE10hipError_tPvRmT1_PNSt15iterator_traitsISH_E10value_typeET2_T3_PNSI_ISN_E10value_typeET4_jRbjT5_ST_jjP12ihipStream_tbEUlT_E2_NS1_11comp_targetILNS1_3genE8ELNS1_11target_archE1030ELNS1_3gpuE2ELNS1_3repE0EEENS1_30default_config_static_selectorELNS0_4arch9wavefront6targetE0EEEvSH_
	.p2align	8
	.type	_ZN7rocprim17ROCPRIM_400000_NS6detail17trampoline_kernelINS0_14default_configENS1_36segmented_radix_sort_config_selectorIllEEZNS1_25segmented_radix_sort_implIS3_Lb1EPKlPlS8_S9_N2at6native12_GLOBAL__N_18offset_tEEE10hipError_tPvRmT1_PNSt15iterator_traitsISH_E10value_typeET2_T3_PNSI_ISN_E10value_typeET4_jRbjT5_ST_jjP12ihipStream_tbEUlT_E2_NS1_11comp_targetILNS1_3genE8ELNS1_11target_archE1030ELNS1_3gpuE2ELNS1_3repE0EEENS1_30default_config_static_selectorELNS0_4arch9wavefront6targetE0EEEvSH_,@function
_ZN7rocprim17ROCPRIM_400000_NS6detail17trampoline_kernelINS0_14default_configENS1_36segmented_radix_sort_config_selectorIllEEZNS1_25segmented_radix_sort_implIS3_Lb1EPKlPlS8_S9_N2at6native12_GLOBAL__N_18offset_tEEE10hipError_tPvRmT1_PNSt15iterator_traitsISH_E10value_typeET2_T3_PNSI_ISN_E10value_typeET4_jRbjT5_ST_jjP12ihipStream_tbEUlT_E2_NS1_11comp_targetILNS1_3genE8ELNS1_11target_archE1030ELNS1_3gpuE2ELNS1_3repE0EEENS1_30default_config_static_selectorELNS0_4arch9wavefront6targetE0EEEvSH_: ; @_ZN7rocprim17ROCPRIM_400000_NS6detail17trampoline_kernelINS0_14default_configENS1_36segmented_radix_sort_config_selectorIllEEZNS1_25segmented_radix_sort_implIS3_Lb1EPKlPlS8_S9_N2at6native12_GLOBAL__N_18offset_tEEE10hipError_tPvRmT1_PNSt15iterator_traitsISH_E10value_typeET2_T3_PNSI_ISN_E10value_typeET4_jRbjT5_ST_jjP12ihipStream_tbEUlT_E2_NS1_11comp_targetILNS1_3genE8ELNS1_11target_archE1030ELNS1_3gpuE2ELNS1_3repE0EEENS1_30default_config_static_selectorELNS0_4arch9wavefront6targetE0EEEvSH_
; %bb.0:
	.section	.rodata,"a",@progbits
	.p2align	6, 0x0
	.amdhsa_kernel _ZN7rocprim17ROCPRIM_400000_NS6detail17trampoline_kernelINS0_14default_configENS1_36segmented_radix_sort_config_selectorIllEEZNS1_25segmented_radix_sort_implIS3_Lb1EPKlPlS8_S9_N2at6native12_GLOBAL__N_18offset_tEEE10hipError_tPvRmT1_PNSt15iterator_traitsISH_E10value_typeET2_T3_PNSI_ISN_E10value_typeET4_jRbjT5_ST_jjP12ihipStream_tbEUlT_E2_NS1_11comp_targetILNS1_3genE8ELNS1_11target_archE1030ELNS1_3gpuE2ELNS1_3repE0EEENS1_30default_config_static_selectorELNS0_4arch9wavefront6targetE0EEEvSH_
		.amdhsa_group_segment_fixed_size 0
		.amdhsa_private_segment_fixed_size 0
		.amdhsa_kernarg_size 80
		.amdhsa_user_sgpr_count 2
		.amdhsa_user_sgpr_dispatch_ptr 0
		.amdhsa_user_sgpr_queue_ptr 0
		.amdhsa_user_sgpr_kernarg_segment_ptr 1
		.amdhsa_user_sgpr_dispatch_id 0
		.amdhsa_user_sgpr_private_segment_size 0
		.amdhsa_wavefront_size32 1
		.amdhsa_uses_dynamic_stack 0
		.amdhsa_enable_private_segment 0
		.amdhsa_system_sgpr_workgroup_id_x 1
		.amdhsa_system_sgpr_workgroup_id_y 0
		.amdhsa_system_sgpr_workgroup_id_z 0
		.amdhsa_system_sgpr_workgroup_info 0
		.amdhsa_system_vgpr_workitem_id 0
		.amdhsa_next_free_vgpr 1
		.amdhsa_next_free_sgpr 1
		.amdhsa_reserve_vcc 0
		.amdhsa_float_round_mode_32 0
		.amdhsa_float_round_mode_16_64 0
		.amdhsa_float_denorm_mode_32 3
		.amdhsa_float_denorm_mode_16_64 3
		.amdhsa_fp16_overflow 0
		.amdhsa_workgroup_processor_mode 1
		.amdhsa_memory_ordered 1
		.amdhsa_forward_progress 1
		.amdhsa_inst_pref_size 0
		.amdhsa_round_robin_scheduling 0
		.amdhsa_exception_fp_ieee_invalid_op 0
		.amdhsa_exception_fp_denorm_src 0
		.amdhsa_exception_fp_ieee_div_zero 0
		.amdhsa_exception_fp_ieee_overflow 0
		.amdhsa_exception_fp_ieee_underflow 0
		.amdhsa_exception_fp_ieee_inexact 0
		.amdhsa_exception_int_div_zero 0
	.end_amdhsa_kernel
	.section	.text._ZN7rocprim17ROCPRIM_400000_NS6detail17trampoline_kernelINS0_14default_configENS1_36segmented_radix_sort_config_selectorIllEEZNS1_25segmented_radix_sort_implIS3_Lb1EPKlPlS8_S9_N2at6native12_GLOBAL__N_18offset_tEEE10hipError_tPvRmT1_PNSt15iterator_traitsISH_E10value_typeET2_T3_PNSI_ISN_E10value_typeET4_jRbjT5_ST_jjP12ihipStream_tbEUlT_E2_NS1_11comp_targetILNS1_3genE8ELNS1_11target_archE1030ELNS1_3gpuE2ELNS1_3repE0EEENS1_30default_config_static_selectorELNS0_4arch9wavefront6targetE0EEEvSH_,"axG",@progbits,_ZN7rocprim17ROCPRIM_400000_NS6detail17trampoline_kernelINS0_14default_configENS1_36segmented_radix_sort_config_selectorIllEEZNS1_25segmented_radix_sort_implIS3_Lb1EPKlPlS8_S9_N2at6native12_GLOBAL__N_18offset_tEEE10hipError_tPvRmT1_PNSt15iterator_traitsISH_E10value_typeET2_T3_PNSI_ISN_E10value_typeET4_jRbjT5_ST_jjP12ihipStream_tbEUlT_E2_NS1_11comp_targetILNS1_3genE8ELNS1_11target_archE1030ELNS1_3gpuE2ELNS1_3repE0EEENS1_30default_config_static_selectorELNS0_4arch9wavefront6targetE0EEEvSH_,comdat
.Lfunc_end742:
	.size	_ZN7rocprim17ROCPRIM_400000_NS6detail17trampoline_kernelINS0_14default_configENS1_36segmented_radix_sort_config_selectorIllEEZNS1_25segmented_radix_sort_implIS3_Lb1EPKlPlS8_S9_N2at6native12_GLOBAL__N_18offset_tEEE10hipError_tPvRmT1_PNSt15iterator_traitsISH_E10value_typeET2_T3_PNSI_ISN_E10value_typeET4_jRbjT5_ST_jjP12ihipStream_tbEUlT_E2_NS1_11comp_targetILNS1_3genE8ELNS1_11target_archE1030ELNS1_3gpuE2ELNS1_3repE0EEENS1_30default_config_static_selectorELNS0_4arch9wavefront6targetE0EEEvSH_, .Lfunc_end742-_ZN7rocprim17ROCPRIM_400000_NS6detail17trampoline_kernelINS0_14default_configENS1_36segmented_radix_sort_config_selectorIllEEZNS1_25segmented_radix_sort_implIS3_Lb1EPKlPlS8_S9_N2at6native12_GLOBAL__N_18offset_tEEE10hipError_tPvRmT1_PNSt15iterator_traitsISH_E10value_typeET2_T3_PNSI_ISN_E10value_typeET4_jRbjT5_ST_jjP12ihipStream_tbEUlT_E2_NS1_11comp_targetILNS1_3genE8ELNS1_11target_archE1030ELNS1_3gpuE2ELNS1_3repE0EEENS1_30default_config_static_selectorELNS0_4arch9wavefront6targetE0EEEvSH_
                                        ; -- End function
	.set _ZN7rocprim17ROCPRIM_400000_NS6detail17trampoline_kernelINS0_14default_configENS1_36segmented_radix_sort_config_selectorIllEEZNS1_25segmented_radix_sort_implIS3_Lb1EPKlPlS8_S9_N2at6native12_GLOBAL__N_18offset_tEEE10hipError_tPvRmT1_PNSt15iterator_traitsISH_E10value_typeET2_T3_PNSI_ISN_E10value_typeET4_jRbjT5_ST_jjP12ihipStream_tbEUlT_E2_NS1_11comp_targetILNS1_3genE8ELNS1_11target_archE1030ELNS1_3gpuE2ELNS1_3repE0EEENS1_30default_config_static_selectorELNS0_4arch9wavefront6targetE0EEEvSH_.num_vgpr, 0
	.set _ZN7rocprim17ROCPRIM_400000_NS6detail17trampoline_kernelINS0_14default_configENS1_36segmented_radix_sort_config_selectorIllEEZNS1_25segmented_radix_sort_implIS3_Lb1EPKlPlS8_S9_N2at6native12_GLOBAL__N_18offset_tEEE10hipError_tPvRmT1_PNSt15iterator_traitsISH_E10value_typeET2_T3_PNSI_ISN_E10value_typeET4_jRbjT5_ST_jjP12ihipStream_tbEUlT_E2_NS1_11comp_targetILNS1_3genE8ELNS1_11target_archE1030ELNS1_3gpuE2ELNS1_3repE0EEENS1_30default_config_static_selectorELNS0_4arch9wavefront6targetE0EEEvSH_.num_agpr, 0
	.set _ZN7rocprim17ROCPRIM_400000_NS6detail17trampoline_kernelINS0_14default_configENS1_36segmented_radix_sort_config_selectorIllEEZNS1_25segmented_radix_sort_implIS3_Lb1EPKlPlS8_S9_N2at6native12_GLOBAL__N_18offset_tEEE10hipError_tPvRmT1_PNSt15iterator_traitsISH_E10value_typeET2_T3_PNSI_ISN_E10value_typeET4_jRbjT5_ST_jjP12ihipStream_tbEUlT_E2_NS1_11comp_targetILNS1_3genE8ELNS1_11target_archE1030ELNS1_3gpuE2ELNS1_3repE0EEENS1_30default_config_static_selectorELNS0_4arch9wavefront6targetE0EEEvSH_.numbered_sgpr, 0
	.set _ZN7rocprim17ROCPRIM_400000_NS6detail17trampoline_kernelINS0_14default_configENS1_36segmented_radix_sort_config_selectorIllEEZNS1_25segmented_radix_sort_implIS3_Lb1EPKlPlS8_S9_N2at6native12_GLOBAL__N_18offset_tEEE10hipError_tPvRmT1_PNSt15iterator_traitsISH_E10value_typeET2_T3_PNSI_ISN_E10value_typeET4_jRbjT5_ST_jjP12ihipStream_tbEUlT_E2_NS1_11comp_targetILNS1_3genE8ELNS1_11target_archE1030ELNS1_3gpuE2ELNS1_3repE0EEENS1_30default_config_static_selectorELNS0_4arch9wavefront6targetE0EEEvSH_.num_named_barrier, 0
	.set _ZN7rocprim17ROCPRIM_400000_NS6detail17trampoline_kernelINS0_14default_configENS1_36segmented_radix_sort_config_selectorIllEEZNS1_25segmented_radix_sort_implIS3_Lb1EPKlPlS8_S9_N2at6native12_GLOBAL__N_18offset_tEEE10hipError_tPvRmT1_PNSt15iterator_traitsISH_E10value_typeET2_T3_PNSI_ISN_E10value_typeET4_jRbjT5_ST_jjP12ihipStream_tbEUlT_E2_NS1_11comp_targetILNS1_3genE8ELNS1_11target_archE1030ELNS1_3gpuE2ELNS1_3repE0EEENS1_30default_config_static_selectorELNS0_4arch9wavefront6targetE0EEEvSH_.private_seg_size, 0
	.set _ZN7rocprim17ROCPRIM_400000_NS6detail17trampoline_kernelINS0_14default_configENS1_36segmented_radix_sort_config_selectorIllEEZNS1_25segmented_radix_sort_implIS3_Lb1EPKlPlS8_S9_N2at6native12_GLOBAL__N_18offset_tEEE10hipError_tPvRmT1_PNSt15iterator_traitsISH_E10value_typeET2_T3_PNSI_ISN_E10value_typeET4_jRbjT5_ST_jjP12ihipStream_tbEUlT_E2_NS1_11comp_targetILNS1_3genE8ELNS1_11target_archE1030ELNS1_3gpuE2ELNS1_3repE0EEENS1_30default_config_static_selectorELNS0_4arch9wavefront6targetE0EEEvSH_.uses_vcc, 0
	.set _ZN7rocprim17ROCPRIM_400000_NS6detail17trampoline_kernelINS0_14default_configENS1_36segmented_radix_sort_config_selectorIllEEZNS1_25segmented_radix_sort_implIS3_Lb1EPKlPlS8_S9_N2at6native12_GLOBAL__N_18offset_tEEE10hipError_tPvRmT1_PNSt15iterator_traitsISH_E10value_typeET2_T3_PNSI_ISN_E10value_typeET4_jRbjT5_ST_jjP12ihipStream_tbEUlT_E2_NS1_11comp_targetILNS1_3genE8ELNS1_11target_archE1030ELNS1_3gpuE2ELNS1_3repE0EEENS1_30default_config_static_selectorELNS0_4arch9wavefront6targetE0EEEvSH_.uses_flat_scratch, 0
	.set _ZN7rocprim17ROCPRIM_400000_NS6detail17trampoline_kernelINS0_14default_configENS1_36segmented_radix_sort_config_selectorIllEEZNS1_25segmented_radix_sort_implIS3_Lb1EPKlPlS8_S9_N2at6native12_GLOBAL__N_18offset_tEEE10hipError_tPvRmT1_PNSt15iterator_traitsISH_E10value_typeET2_T3_PNSI_ISN_E10value_typeET4_jRbjT5_ST_jjP12ihipStream_tbEUlT_E2_NS1_11comp_targetILNS1_3genE8ELNS1_11target_archE1030ELNS1_3gpuE2ELNS1_3repE0EEENS1_30default_config_static_selectorELNS0_4arch9wavefront6targetE0EEEvSH_.has_dyn_sized_stack, 0
	.set _ZN7rocprim17ROCPRIM_400000_NS6detail17trampoline_kernelINS0_14default_configENS1_36segmented_radix_sort_config_selectorIllEEZNS1_25segmented_radix_sort_implIS3_Lb1EPKlPlS8_S9_N2at6native12_GLOBAL__N_18offset_tEEE10hipError_tPvRmT1_PNSt15iterator_traitsISH_E10value_typeET2_T3_PNSI_ISN_E10value_typeET4_jRbjT5_ST_jjP12ihipStream_tbEUlT_E2_NS1_11comp_targetILNS1_3genE8ELNS1_11target_archE1030ELNS1_3gpuE2ELNS1_3repE0EEENS1_30default_config_static_selectorELNS0_4arch9wavefront6targetE0EEEvSH_.has_recursion, 0
	.set _ZN7rocprim17ROCPRIM_400000_NS6detail17trampoline_kernelINS0_14default_configENS1_36segmented_radix_sort_config_selectorIllEEZNS1_25segmented_radix_sort_implIS3_Lb1EPKlPlS8_S9_N2at6native12_GLOBAL__N_18offset_tEEE10hipError_tPvRmT1_PNSt15iterator_traitsISH_E10value_typeET2_T3_PNSI_ISN_E10value_typeET4_jRbjT5_ST_jjP12ihipStream_tbEUlT_E2_NS1_11comp_targetILNS1_3genE8ELNS1_11target_archE1030ELNS1_3gpuE2ELNS1_3repE0EEENS1_30default_config_static_selectorELNS0_4arch9wavefront6targetE0EEEvSH_.has_indirect_call, 0
	.section	.AMDGPU.csdata,"",@progbits
; Kernel info:
; codeLenInByte = 0
; TotalNumSgprs: 0
; NumVgprs: 0
; ScratchSize: 0
; MemoryBound: 0
; FloatMode: 240
; IeeeMode: 1
; LDSByteSize: 0 bytes/workgroup (compile time only)
; SGPRBlocks: 0
; VGPRBlocks: 0
; NumSGPRsForWavesPerEU: 1
; NumVGPRsForWavesPerEU: 1
; Occupancy: 16
; WaveLimiterHint : 0
; COMPUTE_PGM_RSRC2:SCRATCH_EN: 0
; COMPUTE_PGM_RSRC2:USER_SGPR: 2
; COMPUTE_PGM_RSRC2:TRAP_HANDLER: 0
; COMPUTE_PGM_RSRC2:TGID_X_EN: 1
; COMPUTE_PGM_RSRC2:TGID_Y_EN: 0
; COMPUTE_PGM_RSRC2:TGID_Z_EN: 0
; COMPUTE_PGM_RSRC2:TIDIG_COMP_CNT: 0
	.section	.text._ZN7rocprim17ROCPRIM_400000_NS6detail17trampoline_kernelINS0_13select_configILj256ELj13ELNS0_17block_load_methodE3ELS4_3ELS4_3ELNS0_20block_scan_algorithmE0ELj4294967295EEENS1_25partition_config_selectorILNS1_17partition_subalgoE4EjNS0_10empty_typeEbEEZZNS1_14partition_implILS8_4ELb0ES6_15HIP_vector_typeIjLj2EENS0_17counting_iteratorIjlEEPS9_SG_NS0_5tupleIJPjSI_NS0_16reverse_iteratorISI_EEEEENSH_IJSG_SG_SG_EEES9_SI_JZNS1_25segmented_radix_sort_implINS0_14default_configELb0EPKlPlSQ_SR_N2at6native12_GLOBAL__N_18offset_tEEE10hipError_tPvRmT1_PNSt15iterator_traitsISZ_E10value_typeET2_T3_PNS10_IS15_E10value_typeET4_jRbjT5_S1B_jjP12ihipStream_tbEUljE_ZNSN_ISO_Lb0ESQ_SR_SQ_SR_SV_EESW_SX_SY_SZ_S13_S14_S15_S18_S19_jS1A_jS1B_S1B_jjS1D_bEUljE0_EEESW_SX_SY_S15_S19_S1B_T6_T7_T9_mT8_S1D_bDpT10_ENKUlT_T0_E_clISt17integral_constantIbLb0EES1R_EEDaS1M_S1N_EUlS1M_E_NS1_11comp_targetILNS1_3genE0ELNS1_11target_archE4294967295ELNS1_3gpuE0ELNS1_3repE0EEENS1_30default_config_static_selectorELNS0_4arch9wavefront6targetE0EEEvSZ_,"axG",@progbits,_ZN7rocprim17ROCPRIM_400000_NS6detail17trampoline_kernelINS0_13select_configILj256ELj13ELNS0_17block_load_methodE3ELS4_3ELS4_3ELNS0_20block_scan_algorithmE0ELj4294967295EEENS1_25partition_config_selectorILNS1_17partition_subalgoE4EjNS0_10empty_typeEbEEZZNS1_14partition_implILS8_4ELb0ES6_15HIP_vector_typeIjLj2EENS0_17counting_iteratorIjlEEPS9_SG_NS0_5tupleIJPjSI_NS0_16reverse_iteratorISI_EEEEENSH_IJSG_SG_SG_EEES9_SI_JZNS1_25segmented_radix_sort_implINS0_14default_configELb0EPKlPlSQ_SR_N2at6native12_GLOBAL__N_18offset_tEEE10hipError_tPvRmT1_PNSt15iterator_traitsISZ_E10value_typeET2_T3_PNS10_IS15_E10value_typeET4_jRbjT5_S1B_jjP12ihipStream_tbEUljE_ZNSN_ISO_Lb0ESQ_SR_SQ_SR_SV_EESW_SX_SY_SZ_S13_S14_S15_S18_S19_jS1A_jS1B_S1B_jjS1D_bEUljE0_EEESW_SX_SY_S15_S19_S1B_T6_T7_T9_mT8_S1D_bDpT10_ENKUlT_T0_E_clISt17integral_constantIbLb0EES1R_EEDaS1M_S1N_EUlS1M_E_NS1_11comp_targetILNS1_3genE0ELNS1_11target_archE4294967295ELNS1_3gpuE0ELNS1_3repE0EEENS1_30default_config_static_selectorELNS0_4arch9wavefront6targetE0EEEvSZ_,comdat
	.globl	_ZN7rocprim17ROCPRIM_400000_NS6detail17trampoline_kernelINS0_13select_configILj256ELj13ELNS0_17block_load_methodE3ELS4_3ELS4_3ELNS0_20block_scan_algorithmE0ELj4294967295EEENS1_25partition_config_selectorILNS1_17partition_subalgoE4EjNS0_10empty_typeEbEEZZNS1_14partition_implILS8_4ELb0ES6_15HIP_vector_typeIjLj2EENS0_17counting_iteratorIjlEEPS9_SG_NS0_5tupleIJPjSI_NS0_16reverse_iteratorISI_EEEEENSH_IJSG_SG_SG_EEES9_SI_JZNS1_25segmented_radix_sort_implINS0_14default_configELb0EPKlPlSQ_SR_N2at6native12_GLOBAL__N_18offset_tEEE10hipError_tPvRmT1_PNSt15iterator_traitsISZ_E10value_typeET2_T3_PNS10_IS15_E10value_typeET4_jRbjT5_S1B_jjP12ihipStream_tbEUljE_ZNSN_ISO_Lb0ESQ_SR_SQ_SR_SV_EESW_SX_SY_SZ_S13_S14_S15_S18_S19_jS1A_jS1B_S1B_jjS1D_bEUljE0_EEESW_SX_SY_S15_S19_S1B_T6_T7_T9_mT8_S1D_bDpT10_ENKUlT_T0_E_clISt17integral_constantIbLb0EES1R_EEDaS1M_S1N_EUlS1M_E_NS1_11comp_targetILNS1_3genE0ELNS1_11target_archE4294967295ELNS1_3gpuE0ELNS1_3repE0EEENS1_30default_config_static_selectorELNS0_4arch9wavefront6targetE0EEEvSZ_ ; -- Begin function _ZN7rocprim17ROCPRIM_400000_NS6detail17trampoline_kernelINS0_13select_configILj256ELj13ELNS0_17block_load_methodE3ELS4_3ELS4_3ELNS0_20block_scan_algorithmE0ELj4294967295EEENS1_25partition_config_selectorILNS1_17partition_subalgoE4EjNS0_10empty_typeEbEEZZNS1_14partition_implILS8_4ELb0ES6_15HIP_vector_typeIjLj2EENS0_17counting_iteratorIjlEEPS9_SG_NS0_5tupleIJPjSI_NS0_16reverse_iteratorISI_EEEEENSH_IJSG_SG_SG_EEES9_SI_JZNS1_25segmented_radix_sort_implINS0_14default_configELb0EPKlPlSQ_SR_N2at6native12_GLOBAL__N_18offset_tEEE10hipError_tPvRmT1_PNSt15iterator_traitsISZ_E10value_typeET2_T3_PNS10_IS15_E10value_typeET4_jRbjT5_S1B_jjP12ihipStream_tbEUljE_ZNSN_ISO_Lb0ESQ_SR_SQ_SR_SV_EESW_SX_SY_SZ_S13_S14_S15_S18_S19_jS1A_jS1B_S1B_jjS1D_bEUljE0_EEESW_SX_SY_S15_S19_S1B_T6_T7_T9_mT8_S1D_bDpT10_ENKUlT_T0_E_clISt17integral_constantIbLb0EES1R_EEDaS1M_S1N_EUlS1M_E_NS1_11comp_targetILNS1_3genE0ELNS1_11target_archE4294967295ELNS1_3gpuE0ELNS1_3repE0EEENS1_30default_config_static_selectorELNS0_4arch9wavefront6targetE0EEEvSZ_
	.p2align	8
	.type	_ZN7rocprim17ROCPRIM_400000_NS6detail17trampoline_kernelINS0_13select_configILj256ELj13ELNS0_17block_load_methodE3ELS4_3ELS4_3ELNS0_20block_scan_algorithmE0ELj4294967295EEENS1_25partition_config_selectorILNS1_17partition_subalgoE4EjNS0_10empty_typeEbEEZZNS1_14partition_implILS8_4ELb0ES6_15HIP_vector_typeIjLj2EENS0_17counting_iteratorIjlEEPS9_SG_NS0_5tupleIJPjSI_NS0_16reverse_iteratorISI_EEEEENSH_IJSG_SG_SG_EEES9_SI_JZNS1_25segmented_radix_sort_implINS0_14default_configELb0EPKlPlSQ_SR_N2at6native12_GLOBAL__N_18offset_tEEE10hipError_tPvRmT1_PNSt15iterator_traitsISZ_E10value_typeET2_T3_PNS10_IS15_E10value_typeET4_jRbjT5_S1B_jjP12ihipStream_tbEUljE_ZNSN_ISO_Lb0ESQ_SR_SQ_SR_SV_EESW_SX_SY_SZ_S13_S14_S15_S18_S19_jS1A_jS1B_S1B_jjS1D_bEUljE0_EEESW_SX_SY_S15_S19_S1B_T6_T7_T9_mT8_S1D_bDpT10_ENKUlT_T0_E_clISt17integral_constantIbLb0EES1R_EEDaS1M_S1N_EUlS1M_E_NS1_11comp_targetILNS1_3genE0ELNS1_11target_archE4294967295ELNS1_3gpuE0ELNS1_3repE0EEENS1_30default_config_static_selectorELNS0_4arch9wavefront6targetE0EEEvSZ_,@function
_ZN7rocprim17ROCPRIM_400000_NS6detail17trampoline_kernelINS0_13select_configILj256ELj13ELNS0_17block_load_methodE3ELS4_3ELS4_3ELNS0_20block_scan_algorithmE0ELj4294967295EEENS1_25partition_config_selectorILNS1_17partition_subalgoE4EjNS0_10empty_typeEbEEZZNS1_14partition_implILS8_4ELb0ES6_15HIP_vector_typeIjLj2EENS0_17counting_iteratorIjlEEPS9_SG_NS0_5tupleIJPjSI_NS0_16reverse_iteratorISI_EEEEENSH_IJSG_SG_SG_EEES9_SI_JZNS1_25segmented_radix_sort_implINS0_14default_configELb0EPKlPlSQ_SR_N2at6native12_GLOBAL__N_18offset_tEEE10hipError_tPvRmT1_PNSt15iterator_traitsISZ_E10value_typeET2_T3_PNS10_IS15_E10value_typeET4_jRbjT5_S1B_jjP12ihipStream_tbEUljE_ZNSN_ISO_Lb0ESQ_SR_SQ_SR_SV_EESW_SX_SY_SZ_S13_S14_S15_S18_S19_jS1A_jS1B_S1B_jjS1D_bEUljE0_EEESW_SX_SY_S15_S19_S1B_T6_T7_T9_mT8_S1D_bDpT10_ENKUlT_T0_E_clISt17integral_constantIbLb0EES1R_EEDaS1M_S1N_EUlS1M_E_NS1_11comp_targetILNS1_3genE0ELNS1_11target_archE4294967295ELNS1_3gpuE0ELNS1_3repE0EEENS1_30default_config_static_selectorELNS0_4arch9wavefront6targetE0EEEvSZ_: ; @_ZN7rocprim17ROCPRIM_400000_NS6detail17trampoline_kernelINS0_13select_configILj256ELj13ELNS0_17block_load_methodE3ELS4_3ELS4_3ELNS0_20block_scan_algorithmE0ELj4294967295EEENS1_25partition_config_selectorILNS1_17partition_subalgoE4EjNS0_10empty_typeEbEEZZNS1_14partition_implILS8_4ELb0ES6_15HIP_vector_typeIjLj2EENS0_17counting_iteratorIjlEEPS9_SG_NS0_5tupleIJPjSI_NS0_16reverse_iteratorISI_EEEEENSH_IJSG_SG_SG_EEES9_SI_JZNS1_25segmented_radix_sort_implINS0_14default_configELb0EPKlPlSQ_SR_N2at6native12_GLOBAL__N_18offset_tEEE10hipError_tPvRmT1_PNSt15iterator_traitsISZ_E10value_typeET2_T3_PNS10_IS15_E10value_typeET4_jRbjT5_S1B_jjP12ihipStream_tbEUljE_ZNSN_ISO_Lb0ESQ_SR_SQ_SR_SV_EESW_SX_SY_SZ_S13_S14_S15_S18_S19_jS1A_jS1B_S1B_jjS1D_bEUljE0_EEESW_SX_SY_S15_S19_S1B_T6_T7_T9_mT8_S1D_bDpT10_ENKUlT_T0_E_clISt17integral_constantIbLb0EES1R_EEDaS1M_S1N_EUlS1M_E_NS1_11comp_targetILNS1_3genE0ELNS1_11target_archE4294967295ELNS1_3gpuE0ELNS1_3repE0EEENS1_30default_config_static_selectorELNS0_4arch9wavefront6targetE0EEEvSZ_
; %bb.0:
	.section	.rodata,"a",@progbits
	.p2align	6, 0x0
	.amdhsa_kernel _ZN7rocprim17ROCPRIM_400000_NS6detail17trampoline_kernelINS0_13select_configILj256ELj13ELNS0_17block_load_methodE3ELS4_3ELS4_3ELNS0_20block_scan_algorithmE0ELj4294967295EEENS1_25partition_config_selectorILNS1_17partition_subalgoE4EjNS0_10empty_typeEbEEZZNS1_14partition_implILS8_4ELb0ES6_15HIP_vector_typeIjLj2EENS0_17counting_iteratorIjlEEPS9_SG_NS0_5tupleIJPjSI_NS0_16reverse_iteratorISI_EEEEENSH_IJSG_SG_SG_EEES9_SI_JZNS1_25segmented_radix_sort_implINS0_14default_configELb0EPKlPlSQ_SR_N2at6native12_GLOBAL__N_18offset_tEEE10hipError_tPvRmT1_PNSt15iterator_traitsISZ_E10value_typeET2_T3_PNS10_IS15_E10value_typeET4_jRbjT5_S1B_jjP12ihipStream_tbEUljE_ZNSN_ISO_Lb0ESQ_SR_SQ_SR_SV_EESW_SX_SY_SZ_S13_S14_S15_S18_S19_jS1A_jS1B_S1B_jjS1D_bEUljE0_EEESW_SX_SY_S15_S19_S1B_T6_T7_T9_mT8_S1D_bDpT10_ENKUlT_T0_E_clISt17integral_constantIbLb0EES1R_EEDaS1M_S1N_EUlS1M_E_NS1_11comp_targetILNS1_3genE0ELNS1_11target_archE4294967295ELNS1_3gpuE0ELNS1_3repE0EEENS1_30default_config_static_selectorELNS0_4arch9wavefront6targetE0EEEvSZ_
		.amdhsa_group_segment_fixed_size 0
		.amdhsa_private_segment_fixed_size 0
		.amdhsa_kernarg_size 176
		.amdhsa_user_sgpr_count 2
		.amdhsa_user_sgpr_dispatch_ptr 0
		.amdhsa_user_sgpr_queue_ptr 0
		.amdhsa_user_sgpr_kernarg_segment_ptr 1
		.amdhsa_user_sgpr_dispatch_id 0
		.amdhsa_user_sgpr_private_segment_size 0
		.amdhsa_wavefront_size32 1
		.amdhsa_uses_dynamic_stack 0
		.amdhsa_enable_private_segment 0
		.amdhsa_system_sgpr_workgroup_id_x 1
		.amdhsa_system_sgpr_workgroup_id_y 0
		.amdhsa_system_sgpr_workgroup_id_z 0
		.amdhsa_system_sgpr_workgroup_info 0
		.amdhsa_system_vgpr_workitem_id 0
		.amdhsa_next_free_vgpr 1
		.amdhsa_next_free_sgpr 1
		.amdhsa_reserve_vcc 0
		.amdhsa_float_round_mode_32 0
		.amdhsa_float_round_mode_16_64 0
		.amdhsa_float_denorm_mode_32 3
		.amdhsa_float_denorm_mode_16_64 3
		.amdhsa_fp16_overflow 0
		.amdhsa_workgroup_processor_mode 1
		.amdhsa_memory_ordered 1
		.amdhsa_forward_progress 1
		.amdhsa_inst_pref_size 0
		.amdhsa_round_robin_scheduling 0
		.amdhsa_exception_fp_ieee_invalid_op 0
		.amdhsa_exception_fp_denorm_src 0
		.amdhsa_exception_fp_ieee_div_zero 0
		.amdhsa_exception_fp_ieee_overflow 0
		.amdhsa_exception_fp_ieee_underflow 0
		.amdhsa_exception_fp_ieee_inexact 0
		.amdhsa_exception_int_div_zero 0
	.end_amdhsa_kernel
	.section	.text._ZN7rocprim17ROCPRIM_400000_NS6detail17trampoline_kernelINS0_13select_configILj256ELj13ELNS0_17block_load_methodE3ELS4_3ELS4_3ELNS0_20block_scan_algorithmE0ELj4294967295EEENS1_25partition_config_selectorILNS1_17partition_subalgoE4EjNS0_10empty_typeEbEEZZNS1_14partition_implILS8_4ELb0ES6_15HIP_vector_typeIjLj2EENS0_17counting_iteratorIjlEEPS9_SG_NS0_5tupleIJPjSI_NS0_16reverse_iteratorISI_EEEEENSH_IJSG_SG_SG_EEES9_SI_JZNS1_25segmented_radix_sort_implINS0_14default_configELb0EPKlPlSQ_SR_N2at6native12_GLOBAL__N_18offset_tEEE10hipError_tPvRmT1_PNSt15iterator_traitsISZ_E10value_typeET2_T3_PNS10_IS15_E10value_typeET4_jRbjT5_S1B_jjP12ihipStream_tbEUljE_ZNSN_ISO_Lb0ESQ_SR_SQ_SR_SV_EESW_SX_SY_SZ_S13_S14_S15_S18_S19_jS1A_jS1B_S1B_jjS1D_bEUljE0_EEESW_SX_SY_S15_S19_S1B_T6_T7_T9_mT8_S1D_bDpT10_ENKUlT_T0_E_clISt17integral_constantIbLb0EES1R_EEDaS1M_S1N_EUlS1M_E_NS1_11comp_targetILNS1_3genE0ELNS1_11target_archE4294967295ELNS1_3gpuE0ELNS1_3repE0EEENS1_30default_config_static_selectorELNS0_4arch9wavefront6targetE0EEEvSZ_,"axG",@progbits,_ZN7rocprim17ROCPRIM_400000_NS6detail17trampoline_kernelINS0_13select_configILj256ELj13ELNS0_17block_load_methodE3ELS4_3ELS4_3ELNS0_20block_scan_algorithmE0ELj4294967295EEENS1_25partition_config_selectorILNS1_17partition_subalgoE4EjNS0_10empty_typeEbEEZZNS1_14partition_implILS8_4ELb0ES6_15HIP_vector_typeIjLj2EENS0_17counting_iteratorIjlEEPS9_SG_NS0_5tupleIJPjSI_NS0_16reverse_iteratorISI_EEEEENSH_IJSG_SG_SG_EEES9_SI_JZNS1_25segmented_radix_sort_implINS0_14default_configELb0EPKlPlSQ_SR_N2at6native12_GLOBAL__N_18offset_tEEE10hipError_tPvRmT1_PNSt15iterator_traitsISZ_E10value_typeET2_T3_PNS10_IS15_E10value_typeET4_jRbjT5_S1B_jjP12ihipStream_tbEUljE_ZNSN_ISO_Lb0ESQ_SR_SQ_SR_SV_EESW_SX_SY_SZ_S13_S14_S15_S18_S19_jS1A_jS1B_S1B_jjS1D_bEUljE0_EEESW_SX_SY_S15_S19_S1B_T6_T7_T9_mT8_S1D_bDpT10_ENKUlT_T0_E_clISt17integral_constantIbLb0EES1R_EEDaS1M_S1N_EUlS1M_E_NS1_11comp_targetILNS1_3genE0ELNS1_11target_archE4294967295ELNS1_3gpuE0ELNS1_3repE0EEENS1_30default_config_static_selectorELNS0_4arch9wavefront6targetE0EEEvSZ_,comdat
.Lfunc_end743:
	.size	_ZN7rocprim17ROCPRIM_400000_NS6detail17trampoline_kernelINS0_13select_configILj256ELj13ELNS0_17block_load_methodE3ELS4_3ELS4_3ELNS0_20block_scan_algorithmE0ELj4294967295EEENS1_25partition_config_selectorILNS1_17partition_subalgoE4EjNS0_10empty_typeEbEEZZNS1_14partition_implILS8_4ELb0ES6_15HIP_vector_typeIjLj2EENS0_17counting_iteratorIjlEEPS9_SG_NS0_5tupleIJPjSI_NS0_16reverse_iteratorISI_EEEEENSH_IJSG_SG_SG_EEES9_SI_JZNS1_25segmented_radix_sort_implINS0_14default_configELb0EPKlPlSQ_SR_N2at6native12_GLOBAL__N_18offset_tEEE10hipError_tPvRmT1_PNSt15iterator_traitsISZ_E10value_typeET2_T3_PNS10_IS15_E10value_typeET4_jRbjT5_S1B_jjP12ihipStream_tbEUljE_ZNSN_ISO_Lb0ESQ_SR_SQ_SR_SV_EESW_SX_SY_SZ_S13_S14_S15_S18_S19_jS1A_jS1B_S1B_jjS1D_bEUljE0_EEESW_SX_SY_S15_S19_S1B_T6_T7_T9_mT8_S1D_bDpT10_ENKUlT_T0_E_clISt17integral_constantIbLb0EES1R_EEDaS1M_S1N_EUlS1M_E_NS1_11comp_targetILNS1_3genE0ELNS1_11target_archE4294967295ELNS1_3gpuE0ELNS1_3repE0EEENS1_30default_config_static_selectorELNS0_4arch9wavefront6targetE0EEEvSZ_, .Lfunc_end743-_ZN7rocprim17ROCPRIM_400000_NS6detail17trampoline_kernelINS0_13select_configILj256ELj13ELNS0_17block_load_methodE3ELS4_3ELS4_3ELNS0_20block_scan_algorithmE0ELj4294967295EEENS1_25partition_config_selectorILNS1_17partition_subalgoE4EjNS0_10empty_typeEbEEZZNS1_14partition_implILS8_4ELb0ES6_15HIP_vector_typeIjLj2EENS0_17counting_iteratorIjlEEPS9_SG_NS0_5tupleIJPjSI_NS0_16reverse_iteratorISI_EEEEENSH_IJSG_SG_SG_EEES9_SI_JZNS1_25segmented_radix_sort_implINS0_14default_configELb0EPKlPlSQ_SR_N2at6native12_GLOBAL__N_18offset_tEEE10hipError_tPvRmT1_PNSt15iterator_traitsISZ_E10value_typeET2_T3_PNS10_IS15_E10value_typeET4_jRbjT5_S1B_jjP12ihipStream_tbEUljE_ZNSN_ISO_Lb0ESQ_SR_SQ_SR_SV_EESW_SX_SY_SZ_S13_S14_S15_S18_S19_jS1A_jS1B_S1B_jjS1D_bEUljE0_EEESW_SX_SY_S15_S19_S1B_T6_T7_T9_mT8_S1D_bDpT10_ENKUlT_T0_E_clISt17integral_constantIbLb0EES1R_EEDaS1M_S1N_EUlS1M_E_NS1_11comp_targetILNS1_3genE0ELNS1_11target_archE4294967295ELNS1_3gpuE0ELNS1_3repE0EEENS1_30default_config_static_selectorELNS0_4arch9wavefront6targetE0EEEvSZ_
                                        ; -- End function
	.set _ZN7rocprim17ROCPRIM_400000_NS6detail17trampoline_kernelINS0_13select_configILj256ELj13ELNS0_17block_load_methodE3ELS4_3ELS4_3ELNS0_20block_scan_algorithmE0ELj4294967295EEENS1_25partition_config_selectorILNS1_17partition_subalgoE4EjNS0_10empty_typeEbEEZZNS1_14partition_implILS8_4ELb0ES6_15HIP_vector_typeIjLj2EENS0_17counting_iteratorIjlEEPS9_SG_NS0_5tupleIJPjSI_NS0_16reverse_iteratorISI_EEEEENSH_IJSG_SG_SG_EEES9_SI_JZNS1_25segmented_radix_sort_implINS0_14default_configELb0EPKlPlSQ_SR_N2at6native12_GLOBAL__N_18offset_tEEE10hipError_tPvRmT1_PNSt15iterator_traitsISZ_E10value_typeET2_T3_PNS10_IS15_E10value_typeET4_jRbjT5_S1B_jjP12ihipStream_tbEUljE_ZNSN_ISO_Lb0ESQ_SR_SQ_SR_SV_EESW_SX_SY_SZ_S13_S14_S15_S18_S19_jS1A_jS1B_S1B_jjS1D_bEUljE0_EEESW_SX_SY_S15_S19_S1B_T6_T7_T9_mT8_S1D_bDpT10_ENKUlT_T0_E_clISt17integral_constantIbLb0EES1R_EEDaS1M_S1N_EUlS1M_E_NS1_11comp_targetILNS1_3genE0ELNS1_11target_archE4294967295ELNS1_3gpuE0ELNS1_3repE0EEENS1_30default_config_static_selectorELNS0_4arch9wavefront6targetE0EEEvSZ_.num_vgpr, 0
	.set _ZN7rocprim17ROCPRIM_400000_NS6detail17trampoline_kernelINS0_13select_configILj256ELj13ELNS0_17block_load_methodE3ELS4_3ELS4_3ELNS0_20block_scan_algorithmE0ELj4294967295EEENS1_25partition_config_selectorILNS1_17partition_subalgoE4EjNS0_10empty_typeEbEEZZNS1_14partition_implILS8_4ELb0ES6_15HIP_vector_typeIjLj2EENS0_17counting_iteratorIjlEEPS9_SG_NS0_5tupleIJPjSI_NS0_16reverse_iteratorISI_EEEEENSH_IJSG_SG_SG_EEES9_SI_JZNS1_25segmented_radix_sort_implINS0_14default_configELb0EPKlPlSQ_SR_N2at6native12_GLOBAL__N_18offset_tEEE10hipError_tPvRmT1_PNSt15iterator_traitsISZ_E10value_typeET2_T3_PNS10_IS15_E10value_typeET4_jRbjT5_S1B_jjP12ihipStream_tbEUljE_ZNSN_ISO_Lb0ESQ_SR_SQ_SR_SV_EESW_SX_SY_SZ_S13_S14_S15_S18_S19_jS1A_jS1B_S1B_jjS1D_bEUljE0_EEESW_SX_SY_S15_S19_S1B_T6_T7_T9_mT8_S1D_bDpT10_ENKUlT_T0_E_clISt17integral_constantIbLb0EES1R_EEDaS1M_S1N_EUlS1M_E_NS1_11comp_targetILNS1_3genE0ELNS1_11target_archE4294967295ELNS1_3gpuE0ELNS1_3repE0EEENS1_30default_config_static_selectorELNS0_4arch9wavefront6targetE0EEEvSZ_.num_agpr, 0
	.set _ZN7rocprim17ROCPRIM_400000_NS6detail17trampoline_kernelINS0_13select_configILj256ELj13ELNS0_17block_load_methodE3ELS4_3ELS4_3ELNS0_20block_scan_algorithmE0ELj4294967295EEENS1_25partition_config_selectorILNS1_17partition_subalgoE4EjNS0_10empty_typeEbEEZZNS1_14partition_implILS8_4ELb0ES6_15HIP_vector_typeIjLj2EENS0_17counting_iteratorIjlEEPS9_SG_NS0_5tupleIJPjSI_NS0_16reverse_iteratorISI_EEEEENSH_IJSG_SG_SG_EEES9_SI_JZNS1_25segmented_radix_sort_implINS0_14default_configELb0EPKlPlSQ_SR_N2at6native12_GLOBAL__N_18offset_tEEE10hipError_tPvRmT1_PNSt15iterator_traitsISZ_E10value_typeET2_T3_PNS10_IS15_E10value_typeET4_jRbjT5_S1B_jjP12ihipStream_tbEUljE_ZNSN_ISO_Lb0ESQ_SR_SQ_SR_SV_EESW_SX_SY_SZ_S13_S14_S15_S18_S19_jS1A_jS1B_S1B_jjS1D_bEUljE0_EEESW_SX_SY_S15_S19_S1B_T6_T7_T9_mT8_S1D_bDpT10_ENKUlT_T0_E_clISt17integral_constantIbLb0EES1R_EEDaS1M_S1N_EUlS1M_E_NS1_11comp_targetILNS1_3genE0ELNS1_11target_archE4294967295ELNS1_3gpuE0ELNS1_3repE0EEENS1_30default_config_static_selectorELNS0_4arch9wavefront6targetE0EEEvSZ_.numbered_sgpr, 0
	.set _ZN7rocprim17ROCPRIM_400000_NS6detail17trampoline_kernelINS0_13select_configILj256ELj13ELNS0_17block_load_methodE3ELS4_3ELS4_3ELNS0_20block_scan_algorithmE0ELj4294967295EEENS1_25partition_config_selectorILNS1_17partition_subalgoE4EjNS0_10empty_typeEbEEZZNS1_14partition_implILS8_4ELb0ES6_15HIP_vector_typeIjLj2EENS0_17counting_iteratorIjlEEPS9_SG_NS0_5tupleIJPjSI_NS0_16reverse_iteratorISI_EEEEENSH_IJSG_SG_SG_EEES9_SI_JZNS1_25segmented_radix_sort_implINS0_14default_configELb0EPKlPlSQ_SR_N2at6native12_GLOBAL__N_18offset_tEEE10hipError_tPvRmT1_PNSt15iterator_traitsISZ_E10value_typeET2_T3_PNS10_IS15_E10value_typeET4_jRbjT5_S1B_jjP12ihipStream_tbEUljE_ZNSN_ISO_Lb0ESQ_SR_SQ_SR_SV_EESW_SX_SY_SZ_S13_S14_S15_S18_S19_jS1A_jS1B_S1B_jjS1D_bEUljE0_EEESW_SX_SY_S15_S19_S1B_T6_T7_T9_mT8_S1D_bDpT10_ENKUlT_T0_E_clISt17integral_constantIbLb0EES1R_EEDaS1M_S1N_EUlS1M_E_NS1_11comp_targetILNS1_3genE0ELNS1_11target_archE4294967295ELNS1_3gpuE0ELNS1_3repE0EEENS1_30default_config_static_selectorELNS0_4arch9wavefront6targetE0EEEvSZ_.num_named_barrier, 0
	.set _ZN7rocprim17ROCPRIM_400000_NS6detail17trampoline_kernelINS0_13select_configILj256ELj13ELNS0_17block_load_methodE3ELS4_3ELS4_3ELNS0_20block_scan_algorithmE0ELj4294967295EEENS1_25partition_config_selectorILNS1_17partition_subalgoE4EjNS0_10empty_typeEbEEZZNS1_14partition_implILS8_4ELb0ES6_15HIP_vector_typeIjLj2EENS0_17counting_iteratorIjlEEPS9_SG_NS0_5tupleIJPjSI_NS0_16reverse_iteratorISI_EEEEENSH_IJSG_SG_SG_EEES9_SI_JZNS1_25segmented_radix_sort_implINS0_14default_configELb0EPKlPlSQ_SR_N2at6native12_GLOBAL__N_18offset_tEEE10hipError_tPvRmT1_PNSt15iterator_traitsISZ_E10value_typeET2_T3_PNS10_IS15_E10value_typeET4_jRbjT5_S1B_jjP12ihipStream_tbEUljE_ZNSN_ISO_Lb0ESQ_SR_SQ_SR_SV_EESW_SX_SY_SZ_S13_S14_S15_S18_S19_jS1A_jS1B_S1B_jjS1D_bEUljE0_EEESW_SX_SY_S15_S19_S1B_T6_T7_T9_mT8_S1D_bDpT10_ENKUlT_T0_E_clISt17integral_constantIbLb0EES1R_EEDaS1M_S1N_EUlS1M_E_NS1_11comp_targetILNS1_3genE0ELNS1_11target_archE4294967295ELNS1_3gpuE0ELNS1_3repE0EEENS1_30default_config_static_selectorELNS0_4arch9wavefront6targetE0EEEvSZ_.private_seg_size, 0
	.set _ZN7rocprim17ROCPRIM_400000_NS6detail17trampoline_kernelINS0_13select_configILj256ELj13ELNS0_17block_load_methodE3ELS4_3ELS4_3ELNS0_20block_scan_algorithmE0ELj4294967295EEENS1_25partition_config_selectorILNS1_17partition_subalgoE4EjNS0_10empty_typeEbEEZZNS1_14partition_implILS8_4ELb0ES6_15HIP_vector_typeIjLj2EENS0_17counting_iteratorIjlEEPS9_SG_NS0_5tupleIJPjSI_NS0_16reverse_iteratorISI_EEEEENSH_IJSG_SG_SG_EEES9_SI_JZNS1_25segmented_radix_sort_implINS0_14default_configELb0EPKlPlSQ_SR_N2at6native12_GLOBAL__N_18offset_tEEE10hipError_tPvRmT1_PNSt15iterator_traitsISZ_E10value_typeET2_T3_PNS10_IS15_E10value_typeET4_jRbjT5_S1B_jjP12ihipStream_tbEUljE_ZNSN_ISO_Lb0ESQ_SR_SQ_SR_SV_EESW_SX_SY_SZ_S13_S14_S15_S18_S19_jS1A_jS1B_S1B_jjS1D_bEUljE0_EEESW_SX_SY_S15_S19_S1B_T6_T7_T9_mT8_S1D_bDpT10_ENKUlT_T0_E_clISt17integral_constantIbLb0EES1R_EEDaS1M_S1N_EUlS1M_E_NS1_11comp_targetILNS1_3genE0ELNS1_11target_archE4294967295ELNS1_3gpuE0ELNS1_3repE0EEENS1_30default_config_static_selectorELNS0_4arch9wavefront6targetE0EEEvSZ_.uses_vcc, 0
	.set _ZN7rocprim17ROCPRIM_400000_NS6detail17trampoline_kernelINS0_13select_configILj256ELj13ELNS0_17block_load_methodE3ELS4_3ELS4_3ELNS0_20block_scan_algorithmE0ELj4294967295EEENS1_25partition_config_selectorILNS1_17partition_subalgoE4EjNS0_10empty_typeEbEEZZNS1_14partition_implILS8_4ELb0ES6_15HIP_vector_typeIjLj2EENS0_17counting_iteratorIjlEEPS9_SG_NS0_5tupleIJPjSI_NS0_16reverse_iteratorISI_EEEEENSH_IJSG_SG_SG_EEES9_SI_JZNS1_25segmented_radix_sort_implINS0_14default_configELb0EPKlPlSQ_SR_N2at6native12_GLOBAL__N_18offset_tEEE10hipError_tPvRmT1_PNSt15iterator_traitsISZ_E10value_typeET2_T3_PNS10_IS15_E10value_typeET4_jRbjT5_S1B_jjP12ihipStream_tbEUljE_ZNSN_ISO_Lb0ESQ_SR_SQ_SR_SV_EESW_SX_SY_SZ_S13_S14_S15_S18_S19_jS1A_jS1B_S1B_jjS1D_bEUljE0_EEESW_SX_SY_S15_S19_S1B_T6_T7_T9_mT8_S1D_bDpT10_ENKUlT_T0_E_clISt17integral_constantIbLb0EES1R_EEDaS1M_S1N_EUlS1M_E_NS1_11comp_targetILNS1_3genE0ELNS1_11target_archE4294967295ELNS1_3gpuE0ELNS1_3repE0EEENS1_30default_config_static_selectorELNS0_4arch9wavefront6targetE0EEEvSZ_.uses_flat_scratch, 0
	.set _ZN7rocprim17ROCPRIM_400000_NS6detail17trampoline_kernelINS0_13select_configILj256ELj13ELNS0_17block_load_methodE3ELS4_3ELS4_3ELNS0_20block_scan_algorithmE0ELj4294967295EEENS1_25partition_config_selectorILNS1_17partition_subalgoE4EjNS0_10empty_typeEbEEZZNS1_14partition_implILS8_4ELb0ES6_15HIP_vector_typeIjLj2EENS0_17counting_iteratorIjlEEPS9_SG_NS0_5tupleIJPjSI_NS0_16reverse_iteratorISI_EEEEENSH_IJSG_SG_SG_EEES9_SI_JZNS1_25segmented_radix_sort_implINS0_14default_configELb0EPKlPlSQ_SR_N2at6native12_GLOBAL__N_18offset_tEEE10hipError_tPvRmT1_PNSt15iterator_traitsISZ_E10value_typeET2_T3_PNS10_IS15_E10value_typeET4_jRbjT5_S1B_jjP12ihipStream_tbEUljE_ZNSN_ISO_Lb0ESQ_SR_SQ_SR_SV_EESW_SX_SY_SZ_S13_S14_S15_S18_S19_jS1A_jS1B_S1B_jjS1D_bEUljE0_EEESW_SX_SY_S15_S19_S1B_T6_T7_T9_mT8_S1D_bDpT10_ENKUlT_T0_E_clISt17integral_constantIbLb0EES1R_EEDaS1M_S1N_EUlS1M_E_NS1_11comp_targetILNS1_3genE0ELNS1_11target_archE4294967295ELNS1_3gpuE0ELNS1_3repE0EEENS1_30default_config_static_selectorELNS0_4arch9wavefront6targetE0EEEvSZ_.has_dyn_sized_stack, 0
	.set _ZN7rocprim17ROCPRIM_400000_NS6detail17trampoline_kernelINS0_13select_configILj256ELj13ELNS0_17block_load_methodE3ELS4_3ELS4_3ELNS0_20block_scan_algorithmE0ELj4294967295EEENS1_25partition_config_selectorILNS1_17partition_subalgoE4EjNS0_10empty_typeEbEEZZNS1_14partition_implILS8_4ELb0ES6_15HIP_vector_typeIjLj2EENS0_17counting_iteratorIjlEEPS9_SG_NS0_5tupleIJPjSI_NS0_16reverse_iteratorISI_EEEEENSH_IJSG_SG_SG_EEES9_SI_JZNS1_25segmented_radix_sort_implINS0_14default_configELb0EPKlPlSQ_SR_N2at6native12_GLOBAL__N_18offset_tEEE10hipError_tPvRmT1_PNSt15iterator_traitsISZ_E10value_typeET2_T3_PNS10_IS15_E10value_typeET4_jRbjT5_S1B_jjP12ihipStream_tbEUljE_ZNSN_ISO_Lb0ESQ_SR_SQ_SR_SV_EESW_SX_SY_SZ_S13_S14_S15_S18_S19_jS1A_jS1B_S1B_jjS1D_bEUljE0_EEESW_SX_SY_S15_S19_S1B_T6_T7_T9_mT8_S1D_bDpT10_ENKUlT_T0_E_clISt17integral_constantIbLb0EES1R_EEDaS1M_S1N_EUlS1M_E_NS1_11comp_targetILNS1_3genE0ELNS1_11target_archE4294967295ELNS1_3gpuE0ELNS1_3repE0EEENS1_30default_config_static_selectorELNS0_4arch9wavefront6targetE0EEEvSZ_.has_recursion, 0
	.set _ZN7rocprim17ROCPRIM_400000_NS6detail17trampoline_kernelINS0_13select_configILj256ELj13ELNS0_17block_load_methodE3ELS4_3ELS4_3ELNS0_20block_scan_algorithmE0ELj4294967295EEENS1_25partition_config_selectorILNS1_17partition_subalgoE4EjNS0_10empty_typeEbEEZZNS1_14partition_implILS8_4ELb0ES6_15HIP_vector_typeIjLj2EENS0_17counting_iteratorIjlEEPS9_SG_NS0_5tupleIJPjSI_NS0_16reverse_iteratorISI_EEEEENSH_IJSG_SG_SG_EEES9_SI_JZNS1_25segmented_radix_sort_implINS0_14default_configELb0EPKlPlSQ_SR_N2at6native12_GLOBAL__N_18offset_tEEE10hipError_tPvRmT1_PNSt15iterator_traitsISZ_E10value_typeET2_T3_PNS10_IS15_E10value_typeET4_jRbjT5_S1B_jjP12ihipStream_tbEUljE_ZNSN_ISO_Lb0ESQ_SR_SQ_SR_SV_EESW_SX_SY_SZ_S13_S14_S15_S18_S19_jS1A_jS1B_S1B_jjS1D_bEUljE0_EEESW_SX_SY_S15_S19_S1B_T6_T7_T9_mT8_S1D_bDpT10_ENKUlT_T0_E_clISt17integral_constantIbLb0EES1R_EEDaS1M_S1N_EUlS1M_E_NS1_11comp_targetILNS1_3genE0ELNS1_11target_archE4294967295ELNS1_3gpuE0ELNS1_3repE0EEENS1_30default_config_static_selectorELNS0_4arch9wavefront6targetE0EEEvSZ_.has_indirect_call, 0
	.section	.AMDGPU.csdata,"",@progbits
; Kernel info:
; codeLenInByte = 0
; TotalNumSgprs: 0
; NumVgprs: 0
; ScratchSize: 0
; MemoryBound: 0
; FloatMode: 240
; IeeeMode: 1
; LDSByteSize: 0 bytes/workgroup (compile time only)
; SGPRBlocks: 0
; VGPRBlocks: 0
; NumSGPRsForWavesPerEU: 1
; NumVGPRsForWavesPerEU: 1
; Occupancy: 16
; WaveLimiterHint : 0
; COMPUTE_PGM_RSRC2:SCRATCH_EN: 0
; COMPUTE_PGM_RSRC2:USER_SGPR: 2
; COMPUTE_PGM_RSRC2:TRAP_HANDLER: 0
; COMPUTE_PGM_RSRC2:TGID_X_EN: 1
; COMPUTE_PGM_RSRC2:TGID_Y_EN: 0
; COMPUTE_PGM_RSRC2:TGID_Z_EN: 0
; COMPUTE_PGM_RSRC2:TIDIG_COMP_CNT: 0
	.section	.text._ZN7rocprim17ROCPRIM_400000_NS6detail17trampoline_kernelINS0_13select_configILj256ELj13ELNS0_17block_load_methodE3ELS4_3ELS4_3ELNS0_20block_scan_algorithmE0ELj4294967295EEENS1_25partition_config_selectorILNS1_17partition_subalgoE4EjNS0_10empty_typeEbEEZZNS1_14partition_implILS8_4ELb0ES6_15HIP_vector_typeIjLj2EENS0_17counting_iteratorIjlEEPS9_SG_NS0_5tupleIJPjSI_NS0_16reverse_iteratorISI_EEEEENSH_IJSG_SG_SG_EEES9_SI_JZNS1_25segmented_radix_sort_implINS0_14default_configELb0EPKlPlSQ_SR_N2at6native12_GLOBAL__N_18offset_tEEE10hipError_tPvRmT1_PNSt15iterator_traitsISZ_E10value_typeET2_T3_PNS10_IS15_E10value_typeET4_jRbjT5_S1B_jjP12ihipStream_tbEUljE_ZNSN_ISO_Lb0ESQ_SR_SQ_SR_SV_EESW_SX_SY_SZ_S13_S14_S15_S18_S19_jS1A_jS1B_S1B_jjS1D_bEUljE0_EEESW_SX_SY_S15_S19_S1B_T6_T7_T9_mT8_S1D_bDpT10_ENKUlT_T0_E_clISt17integral_constantIbLb0EES1R_EEDaS1M_S1N_EUlS1M_E_NS1_11comp_targetILNS1_3genE5ELNS1_11target_archE942ELNS1_3gpuE9ELNS1_3repE0EEENS1_30default_config_static_selectorELNS0_4arch9wavefront6targetE0EEEvSZ_,"axG",@progbits,_ZN7rocprim17ROCPRIM_400000_NS6detail17trampoline_kernelINS0_13select_configILj256ELj13ELNS0_17block_load_methodE3ELS4_3ELS4_3ELNS0_20block_scan_algorithmE0ELj4294967295EEENS1_25partition_config_selectorILNS1_17partition_subalgoE4EjNS0_10empty_typeEbEEZZNS1_14partition_implILS8_4ELb0ES6_15HIP_vector_typeIjLj2EENS0_17counting_iteratorIjlEEPS9_SG_NS0_5tupleIJPjSI_NS0_16reverse_iteratorISI_EEEEENSH_IJSG_SG_SG_EEES9_SI_JZNS1_25segmented_radix_sort_implINS0_14default_configELb0EPKlPlSQ_SR_N2at6native12_GLOBAL__N_18offset_tEEE10hipError_tPvRmT1_PNSt15iterator_traitsISZ_E10value_typeET2_T3_PNS10_IS15_E10value_typeET4_jRbjT5_S1B_jjP12ihipStream_tbEUljE_ZNSN_ISO_Lb0ESQ_SR_SQ_SR_SV_EESW_SX_SY_SZ_S13_S14_S15_S18_S19_jS1A_jS1B_S1B_jjS1D_bEUljE0_EEESW_SX_SY_S15_S19_S1B_T6_T7_T9_mT8_S1D_bDpT10_ENKUlT_T0_E_clISt17integral_constantIbLb0EES1R_EEDaS1M_S1N_EUlS1M_E_NS1_11comp_targetILNS1_3genE5ELNS1_11target_archE942ELNS1_3gpuE9ELNS1_3repE0EEENS1_30default_config_static_selectorELNS0_4arch9wavefront6targetE0EEEvSZ_,comdat
	.globl	_ZN7rocprim17ROCPRIM_400000_NS6detail17trampoline_kernelINS0_13select_configILj256ELj13ELNS0_17block_load_methodE3ELS4_3ELS4_3ELNS0_20block_scan_algorithmE0ELj4294967295EEENS1_25partition_config_selectorILNS1_17partition_subalgoE4EjNS0_10empty_typeEbEEZZNS1_14partition_implILS8_4ELb0ES6_15HIP_vector_typeIjLj2EENS0_17counting_iteratorIjlEEPS9_SG_NS0_5tupleIJPjSI_NS0_16reverse_iteratorISI_EEEEENSH_IJSG_SG_SG_EEES9_SI_JZNS1_25segmented_radix_sort_implINS0_14default_configELb0EPKlPlSQ_SR_N2at6native12_GLOBAL__N_18offset_tEEE10hipError_tPvRmT1_PNSt15iterator_traitsISZ_E10value_typeET2_T3_PNS10_IS15_E10value_typeET4_jRbjT5_S1B_jjP12ihipStream_tbEUljE_ZNSN_ISO_Lb0ESQ_SR_SQ_SR_SV_EESW_SX_SY_SZ_S13_S14_S15_S18_S19_jS1A_jS1B_S1B_jjS1D_bEUljE0_EEESW_SX_SY_S15_S19_S1B_T6_T7_T9_mT8_S1D_bDpT10_ENKUlT_T0_E_clISt17integral_constantIbLb0EES1R_EEDaS1M_S1N_EUlS1M_E_NS1_11comp_targetILNS1_3genE5ELNS1_11target_archE942ELNS1_3gpuE9ELNS1_3repE0EEENS1_30default_config_static_selectorELNS0_4arch9wavefront6targetE0EEEvSZ_ ; -- Begin function _ZN7rocprim17ROCPRIM_400000_NS6detail17trampoline_kernelINS0_13select_configILj256ELj13ELNS0_17block_load_methodE3ELS4_3ELS4_3ELNS0_20block_scan_algorithmE0ELj4294967295EEENS1_25partition_config_selectorILNS1_17partition_subalgoE4EjNS0_10empty_typeEbEEZZNS1_14partition_implILS8_4ELb0ES6_15HIP_vector_typeIjLj2EENS0_17counting_iteratorIjlEEPS9_SG_NS0_5tupleIJPjSI_NS0_16reverse_iteratorISI_EEEEENSH_IJSG_SG_SG_EEES9_SI_JZNS1_25segmented_radix_sort_implINS0_14default_configELb0EPKlPlSQ_SR_N2at6native12_GLOBAL__N_18offset_tEEE10hipError_tPvRmT1_PNSt15iterator_traitsISZ_E10value_typeET2_T3_PNS10_IS15_E10value_typeET4_jRbjT5_S1B_jjP12ihipStream_tbEUljE_ZNSN_ISO_Lb0ESQ_SR_SQ_SR_SV_EESW_SX_SY_SZ_S13_S14_S15_S18_S19_jS1A_jS1B_S1B_jjS1D_bEUljE0_EEESW_SX_SY_S15_S19_S1B_T6_T7_T9_mT8_S1D_bDpT10_ENKUlT_T0_E_clISt17integral_constantIbLb0EES1R_EEDaS1M_S1N_EUlS1M_E_NS1_11comp_targetILNS1_3genE5ELNS1_11target_archE942ELNS1_3gpuE9ELNS1_3repE0EEENS1_30default_config_static_selectorELNS0_4arch9wavefront6targetE0EEEvSZ_
	.p2align	8
	.type	_ZN7rocprim17ROCPRIM_400000_NS6detail17trampoline_kernelINS0_13select_configILj256ELj13ELNS0_17block_load_methodE3ELS4_3ELS4_3ELNS0_20block_scan_algorithmE0ELj4294967295EEENS1_25partition_config_selectorILNS1_17partition_subalgoE4EjNS0_10empty_typeEbEEZZNS1_14partition_implILS8_4ELb0ES6_15HIP_vector_typeIjLj2EENS0_17counting_iteratorIjlEEPS9_SG_NS0_5tupleIJPjSI_NS0_16reverse_iteratorISI_EEEEENSH_IJSG_SG_SG_EEES9_SI_JZNS1_25segmented_radix_sort_implINS0_14default_configELb0EPKlPlSQ_SR_N2at6native12_GLOBAL__N_18offset_tEEE10hipError_tPvRmT1_PNSt15iterator_traitsISZ_E10value_typeET2_T3_PNS10_IS15_E10value_typeET4_jRbjT5_S1B_jjP12ihipStream_tbEUljE_ZNSN_ISO_Lb0ESQ_SR_SQ_SR_SV_EESW_SX_SY_SZ_S13_S14_S15_S18_S19_jS1A_jS1B_S1B_jjS1D_bEUljE0_EEESW_SX_SY_S15_S19_S1B_T6_T7_T9_mT8_S1D_bDpT10_ENKUlT_T0_E_clISt17integral_constantIbLb0EES1R_EEDaS1M_S1N_EUlS1M_E_NS1_11comp_targetILNS1_3genE5ELNS1_11target_archE942ELNS1_3gpuE9ELNS1_3repE0EEENS1_30default_config_static_selectorELNS0_4arch9wavefront6targetE0EEEvSZ_,@function
_ZN7rocprim17ROCPRIM_400000_NS6detail17trampoline_kernelINS0_13select_configILj256ELj13ELNS0_17block_load_methodE3ELS4_3ELS4_3ELNS0_20block_scan_algorithmE0ELj4294967295EEENS1_25partition_config_selectorILNS1_17partition_subalgoE4EjNS0_10empty_typeEbEEZZNS1_14partition_implILS8_4ELb0ES6_15HIP_vector_typeIjLj2EENS0_17counting_iteratorIjlEEPS9_SG_NS0_5tupleIJPjSI_NS0_16reverse_iteratorISI_EEEEENSH_IJSG_SG_SG_EEES9_SI_JZNS1_25segmented_radix_sort_implINS0_14default_configELb0EPKlPlSQ_SR_N2at6native12_GLOBAL__N_18offset_tEEE10hipError_tPvRmT1_PNSt15iterator_traitsISZ_E10value_typeET2_T3_PNS10_IS15_E10value_typeET4_jRbjT5_S1B_jjP12ihipStream_tbEUljE_ZNSN_ISO_Lb0ESQ_SR_SQ_SR_SV_EESW_SX_SY_SZ_S13_S14_S15_S18_S19_jS1A_jS1B_S1B_jjS1D_bEUljE0_EEESW_SX_SY_S15_S19_S1B_T6_T7_T9_mT8_S1D_bDpT10_ENKUlT_T0_E_clISt17integral_constantIbLb0EES1R_EEDaS1M_S1N_EUlS1M_E_NS1_11comp_targetILNS1_3genE5ELNS1_11target_archE942ELNS1_3gpuE9ELNS1_3repE0EEENS1_30default_config_static_selectorELNS0_4arch9wavefront6targetE0EEEvSZ_: ; @_ZN7rocprim17ROCPRIM_400000_NS6detail17trampoline_kernelINS0_13select_configILj256ELj13ELNS0_17block_load_methodE3ELS4_3ELS4_3ELNS0_20block_scan_algorithmE0ELj4294967295EEENS1_25partition_config_selectorILNS1_17partition_subalgoE4EjNS0_10empty_typeEbEEZZNS1_14partition_implILS8_4ELb0ES6_15HIP_vector_typeIjLj2EENS0_17counting_iteratorIjlEEPS9_SG_NS0_5tupleIJPjSI_NS0_16reverse_iteratorISI_EEEEENSH_IJSG_SG_SG_EEES9_SI_JZNS1_25segmented_radix_sort_implINS0_14default_configELb0EPKlPlSQ_SR_N2at6native12_GLOBAL__N_18offset_tEEE10hipError_tPvRmT1_PNSt15iterator_traitsISZ_E10value_typeET2_T3_PNS10_IS15_E10value_typeET4_jRbjT5_S1B_jjP12ihipStream_tbEUljE_ZNSN_ISO_Lb0ESQ_SR_SQ_SR_SV_EESW_SX_SY_SZ_S13_S14_S15_S18_S19_jS1A_jS1B_S1B_jjS1D_bEUljE0_EEESW_SX_SY_S15_S19_S1B_T6_T7_T9_mT8_S1D_bDpT10_ENKUlT_T0_E_clISt17integral_constantIbLb0EES1R_EEDaS1M_S1N_EUlS1M_E_NS1_11comp_targetILNS1_3genE5ELNS1_11target_archE942ELNS1_3gpuE9ELNS1_3repE0EEENS1_30default_config_static_selectorELNS0_4arch9wavefront6targetE0EEEvSZ_
; %bb.0:
	.section	.rodata,"a",@progbits
	.p2align	6, 0x0
	.amdhsa_kernel _ZN7rocprim17ROCPRIM_400000_NS6detail17trampoline_kernelINS0_13select_configILj256ELj13ELNS0_17block_load_methodE3ELS4_3ELS4_3ELNS0_20block_scan_algorithmE0ELj4294967295EEENS1_25partition_config_selectorILNS1_17partition_subalgoE4EjNS0_10empty_typeEbEEZZNS1_14partition_implILS8_4ELb0ES6_15HIP_vector_typeIjLj2EENS0_17counting_iteratorIjlEEPS9_SG_NS0_5tupleIJPjSI_NS0_16reverse_iteratorISI_EEEEENSH_IJSG_SG_SG_EEES9_SI_JZNS1_25segmented_radix_sort_implINS0_14default_configELb0EPKlPlSQ_SR_N2at6native12_GLOBAL__N_18offset_tEEE10hipError_tPvRmT1_PNSt15iterator_traitsISZ_E10value_typeET2_T3_PNS10_IS15_E10value_typeET4_jRbjT5_S1B_jjP12ihipStream_tbEUljE_ZNSN_ISO_Lb0ESQ_SR_SQ_SR_SV_EESW_SX_SY_SZ_S13_S14_S15_S18_S19_jS1A_jS1B_S1B_jjS1D_bEUljE0_EEESW_SX_SY_S15_S19_S1B_T6_T7_T9_mT8_S1D_bDpT10_ENKUlT_T0_E_clISt17integral_constantIbLb0EES1R_EEDaS1M_S1N_EUlS1M_E_NS1_11comp_targetILNS1_3genE5ELNS1_11target_archE942ELNS1_3gpuE9ELNS1_3repE0EEENS1_30default_config_static_selectorELNS0_4arch9wavefront6targetE0EEEvSZ_
		.amdhsa_group_segment_fixed_size 0
		.amdhsa_private_segment_fixed_size 0
		.amdhsa_kernarg_size 176
		.amdhsa_user_sgpr_count 2
		.amdhsa_user_sgpr_dispatch_ptr 0
		.amdhsa_user_sgpr_queue_ptr 0
		.amdhsa_user_sgpr_kernarg_segment_ptr 1
		.amdhsa_user_sgpr_dispatch_id 0
		.amdhsa_user_sgpr_private_segment_size 0
		.amdhsa_wavefront_size32 1
		.amdhsa_uses_dynamic_stack 0
		.amdhsa_enable_private_segment 0
		.amdhsa_system_sgpr_workgroup_id_x 1
		.amdhsa_system_sgpr_workgroup_id_y 0
		.amdhsa_system_sgpr_workgroup_id_z 0
		.amdhsa_system_sgpr_workgroup_info 0
		.amdhsa_system_vgpr_workitem_id 0
		.amdhsa_next_free_vgpr 1
		.amdhsa_next_free_sgpr 1
		.amdhsa_reserve_vcc 0
		.amdhsa_float_round_mode_32 0
		.amdhsa_float_round_mode_16_64 0
		.amdhsa_float_denorm_mode_32 3
		.amdhsa_float_denorm_mode_16_64 3
		.amdhsa_fp16_overflow 0
		.amdhsa_workgroup_processor_mode 1
		.amdhsa_memory_ordered 1
		.amdhsa_forward_progress 1
		.amdhsa_inst_pref_size 0
		.amdhsa_round_robin_scheduling 0
		.amdhsa_exception_fp_ieee_invalid_op 0
		.amdhsa_exception_fp_denorm_src 0
		.amdhsa_exception_fp_ieee_div_zero 0
		.amdhsa_exception_fp_ieee_overflow 0
		.amdhsa_exception_fp_ieee_underflow 0
		.amdhsa_exception_fp_ieee_inexact 0
		.amdhsa_exception_int_div_zero 0
	.end_amdhsa_kernel
	.section	.text._ZN7rocprim17ROCPRIM_400000_NS6detail17trampoline_kernelINS0_13select_configILj256ELj13ELNS0_17block_load_methodE3ELS4_3ELS4_3ELNS0_20block_scan_algorithmE0ELj4294967295EEENS1_25partition_config_selectorILNS1_17partition_subalgoE4EjNS0_10empty_typeEbEEZZNS1_14partition_implILS8_4ELb0ES6_15HIP_vector_typeIjLj2EENS0_17counting_iteratorIjlEEPS9_SG_NS0_5tupleIJPjSI_NS0_16reverse_iteratorISI_EEEEENSH_IJSG_SG_SG_EEES9_SI_JZNS1_25segmented_radix_sort_implINS0_14default_configELb0EPKlPlSQ_SR_N2at6native12_GLOBAL__N_18offset_tEEE10hipError_tPvRmT1_PNSt15iterator_traitsISZ_E10value_typeET2_T3_PNS10_IS15_E10value_typeET4_jRbjT5_S1B_jjP12ihipStream_tbEUljE_ZNSN_ISO_Lb0ESQ_SR_SQ_SR_SV_EESW_SX_SY_SZ_S13_S14_S15_S18_S19_jS1A_jS1B_S1B_jjS1D_bEUljE0_EEESW_SX_SY_S15_S19_S1B_T6_T7_T9_mT8_S1D_bDpT10_ENKUlT_T0_E_clISt17integral_constantIbLb0EES1R_EEDaS1M_S1N_EUlS1M_E_NS1_11comp_targetILNS1_3genE5ELNS1_11target_archE942ELNS1_3gpuE9ELNS1_3repE0EEENS1_30default_config_static_selectorELNS0_4arch9wavefront6targetE0EEEvSZ_,"axG",@progbits,_ZN7rocprim17ROCPRIM_400000_NS6detail17trampoline_kernelINS0_13select_configILj256ELj13ELNS0_17block_load_methodE3ELS4_3ELS4_3ELNS0_20block_scan_algorithmE0ELj4294967295EEENS1_25partition_config_selectorILNS1_17partition_subalgoE4EjNS0_10empty_typeEbEEZZNS1_14partition_implILS8_4ELb0ES6_15HIP_vector_typeIjLj2EENS0_17counting_iteratorIjlEEPS9_SG_NS0_5tupleIJPjSI_NS0_16reverse_iteratorISI_EEEEENSH_IJSG_SG_SG_EEES9_SI_JZNS1_25segmented_radix_sort_implINS0_14default_configELb0EPKlPlSQ_SR_N2at6native12_GLOBAL__N_18offset_tEEE10hipError_tPvRmT1_PNSt15iterator_traitsISZ_E10value_typeET2_T3_PNS10_IS15_E10value_typeET4_jRbjT5_S1B_jjP12ihipStream_tbEUljE_ZNSN_ISO_Lb0ESQ_SR_SQ_SR_SV_EESW_SX_SY_SZ_S13_S14_S15_S18_S19_jS1A_jS1B_S1B_jjS1D_bEUljE0_EEESW_SX_SY_S15_S19_S1B_T6_T7_T9_mT8_S1D_bDpT10_ENKUlT_T0_E_clISt17integral_constantIbLb0EES1R_EEDaS1M_S1N_EUlS1M_E_NS1_11comp_targetILNS1_3genE5ELNS1_11target_archE942ELNS1_3gpuE9ELNS1_3repE0EEENS1_30default_config_static_selectorELNS0_4arch9wavefront6targetE0EEEvSZ_,comdat
.Lfunc_end744:
	.size	_ZN7rocprim17ROCPRIM_400000_NS6detail17trampoline_kernelINS0_13select_configILj256ELj13ELNS0_17block_load_methodE3ELS4_3ELS4_3ELNS0_20block_scan_algorithmE0ELj4294967295EEENS1_25partition_config_selectorILNS1_17partition_subalgoE4EjNS0_10empty_typeEbEEZZNS1_14partition_implILS8_4ELb0ES6_15HIP_vector_typeIjLj2EENS0_17counting_iteratorIjlEEPS9_SG_NS0_5tupleIJPjSI_NS0_16reverse_iteratorISI_EEEEENSH_IJSG_SG_SG_EEES9_SI_JZNS1_25segmented_radix_sort_implINS0_14default_configELb0EPKlPlSQ_SR_N2at6native12_GLOBAL__N_18offset_tEEE10hipError_tPvRmT1_PNSt15iterator_traitsISZ_E10value_typeET2_T3_PNS10_IS15_E10value_typeET4_jRbjT5_S1B_jjP12ihipStream_tbEUljE_ZNSN_ISO_Lb0ESQ_SR_SQ_SR_SV_EESW_SX_SY_SZ_S13_S14_S15_S18_S19_jS1A_jS1B_S1B_jjS1D_bEUljE0_EEESW_SX_SY_S15_S19_S1B_T6_T7_T9_mT8_S1D_bDpT10_ENKUlT_T0_E_clISt17integral_constantIbLb0EES1R_EEDaS1M_S1N_EUlS1M_E_NS1_11comp_targetILNS1_3genE5ELNS1_11target_archE942ELNS1_3gpuE9ELNS1_3repE0EEENS1_30default_config_static_selectorELNS0_4arch9wavefront6targetE0EEEvSZ_, .Lfunc_end744-_ZN7rocprim17ROCPRIM_400000_NS6detail17trampoline_kernelINS0_13select_configILj256ELj13ELNS0_17block_load_methodE3ELS4_3ELS4_3ELNS0_20block_scan_algorithmE0ELj4294967295EEENS1_25partition_config_selectorILNS1_17partition_subalgoE4EjNS0_10empty_typeEbEEZZNS1_14partition_implILS8_4ELb0ES6_15HIP_vector_typeIjLj2EENS0_17counting_iteratorIjlEEPS9_SG_NS0_5tupleIJPjSI_NS0_16reverse_iteratorISI_EEEEENSH_IJSG_SG_SG_EEES9_SI_JZNS1_25segmented_radix_sort_implINS0_14default_configELb0EPKlPlSQ_SR_N2at6native12_GLOBAL__N_18offset_tEEE10hipError_tPvRmT1_PNSt15iterator_traitsISZ_E10value_typeET2_T3_PNS10_IS15_E10value_typeET4_jRbjT5_S1B_jjP12ihipStream_tbEUljE_ZNSN_ISO_Lb0ESQ_SR_SQ_SR_SV_EESW_SX_SY_SZ_S13_S14_S15_S18_S19_jS1A_jS1B_S1B_jjS1D_bEUljE0_EEESW_SX_SY_S15_S19_S1B_T6_T7_T9_mT8_S1D_bDpT10_ENKUlT_T0_E_clISt17integral_constantIbLb0EES1R_EEDaS1M_S1N_EUlS1M_E_NS1_11comp_targetILNS1_3genE5ELNS1_11target_archE942ELNS1_3gpuE9ELNS1_3repE0EEENS1_30default_config_static_selectorELNS0_4arch9wavefront6targetE0EEEvSZ_
                                        ; -- End function
	.set _ZN7rocprim17ROCPRIM_400000_NS6detail17trampoline_kernelINS0_13select_configILj256ELj13ELNS0_17block_load_methodE3ELS4_3ELS4_3ELNS0_20block_scan_algorithmE0ELj4294967295EEENS1_25partition_config_selectorILNS1_17partition_subalgoE4EjNS0_10empty_typeEbEEZZNS1_14partition_implILS8_4ELb0ES6_15HIP_vector_typeIjLj2EENS0_17counting_iteratorIjlEEPS9_SG_NS0_5tupleIJPjSI_NS0_16reverse_iteratorISI_EEEEENSH_IJSG_SG_SG_EEES9_SI_JZNS1_25segmented_radix_sort_implINS0_14default_configELb0EPKlPlSQ_SR_N2at6native12_GLOBAL__N_18offset_tEEE10hipError_tPvRmT1_PNSt15iterator_traitsISZ_E10value_typeET2_T3_PNS10_IS15_E10value_typeET4_jRbjT5_S1B_jjP12ihipStream_tbEUljE_ZNSN_ISO_Lb0ESQ_SR_SQ_SR_SV_EESW_SX_SY_SZ_S13_S14_S15_S18_S19_jS1A_jS1B_S1B_jjS1D_bEUljE0_EEESW_SX_SY_S15_S19_S1B_T6_T7_T9_mT8_S1D_bDpT10_ENKUlT_T0_E_clISt17integral_constantIbLb0EES1R_EEDaS1M_S1N_EUlS1M_E_NS1_11comp_targetILNS1_3genE5ELNS1_11target_archE942ELNS1_3gpuE9ELNS1_3repE0EEENS1_30default_config_static_selectorELNS0_4arch9wavefront6targetE0EEEvSZ_.num_vgpr, 0
	.set _ZN7rocprim17ROCPRIM_400000_NS6detail17trampoline_kernelINS0_13select_configILj256ELj13ELNS0_17block_load_methodE3ELS4_3ELS4_3ELNS0_20block_scan_algorithmE0ELj4294967295EEENS1_25partition_config_selectorILNS1_17partition_subalgoE4EjNS0_10empty_typeEbEEZZNS1_14partition_implILS8_4ELb0ES6_15HIP_vector_typeIjLj2EENS0_17counting_iteratorIjlEEPS9_SG_NS0_5tupleIJPjSI_NS0_16reverse_iteratorISI_EEEEENSH_IJSG_SG_SG_EEES9_SI_JZNS1_25segmented_radix_sort_implINS0_14default_configELb0EPKlPlSQ_SR_N2at6native12_GLOBAL__N_18offset_tEEE10hipError_tPvRmT1_PNSt15iterator_traitsISZ_E10value_typeET2_T3_PNS10_IS15_E10value_typeET4_jRbjT5_S1B_jjP12ihipStream_tbEUljE_ZNSN_ISO_Lb0ESQ_SR_SQ_SR_SV_EESW_SX_SY_SZ_S13_S14_S15_S18_S19_jS1A_jS1B_S1B_jjS1D_bEUljE0_EEESW_SX_SY_S15_S19_S1B_T6_T7_T9_mT8_S1D_bDpT10_ENKUlT_T0_E_clISt17integral_constantIbLb0EES1R_EEDaS1M_S1N_EUlS1M_E_NS1_11comp_targetILNS1_3genE5ELNS1_11target_archE942ELNS1_3gpuE9ELNS1_3repE0EEENS1_30default_config_static_selectorELNS0_4arch9wavefront6targetE0EEEvSZ_.num_agpr, 0
	.set _ZN7rocprim17ROCPRIM_400000_NS6detail17trampoline_kernelINS0_13select_configILj256ELj13ELNS0_17block_load_methodE3ELS4_3ELS4_3ELNS0_20block_scan_algorithmE0ELj4294967295EEENS1_25partition_config_selectorILNS1_17partition_subalgoE4EjNS0_10empty_typeEbEEZZNS1_14partition_implILS8_4ELb0ES6_15HIP_vector_typeIjLj2EENS0_17counting_iteratorIjlEEPS9_SG_NS0_5tupleIJPjSI_NS0_16reverse_iteratorISI_EEEEENSH_IJSG_SG_SG_EEES9_SI_JZNS1_25segmented_radix_sort_implINS0_14default_configELb0EPKlPlSQ_SR_N2at6native12_GLOBAL__N_18offset_tEEE10hipError_tPvRmT1_PNSt15iterator_traitsISZ_E10value_typeET2_T3_PNS10_IS15_E10value_typeET4_jRbjT5_S1B_jjP12ihipStream_tbEUljE_ZNSN_ISO_Lb0ESQ_SR_SQ_SR_SV_EESW_SX_SY_SZ_S13_S14_S15_S18_S19_jS1A_jS1B_S1B_jjS1D_bEUljE0_EEESW_SX_SY_S15_S19_S1B_T6_T7_T9_mT8_S1D_bDpT10_ENKUlT_T0_E_clISt17integral_constantIbLb0EES1R_EEDaS1M_S1N_EUlS1M_E_NS1_11comp_targetILNS1_3genE5ELNS1_11target_archE942ELNS1_3gpuE9ELNS1_3repE0EEENS1_30default_config_static_selectorELNS0_4arch9wavefront6targetE0EEEvSZ_.numbered_sgpr, 0
	.set _ZN7rocprim17ROCPRIM_400000_NS6detail17trampoline_kernelINS0_13select_configILj256ELj13ELNS0_17block_load_methodE3ELS4_3ELS4_3ELNS0_20block_scan_algorithmE0ELj4294967295EEENS1_25partition_config_selectorILNS1_17partition_subalgoE4EjNS0_10empty_typeEbEEZZNS1_14partition_implILS8_4ELb0ES6_15HIP_vector_typeIjLj2EENS0_17counting_iteratorIjlEEPS9_SG_NS0_5tupleIJPjSI_NS0_16reverse_iteratorISI_EEEEENSH_IJSG_SG_SG_EEES9_SI_JZNS1_25segmented_radix_sort_implINS0_14default_configELb0EPKlPlSQ_SR_N2at6native12_GLOBAL__N_18offset_tEEE10hipError_tPvRmT1_PNSt15iterator_traitsISZ_E10value_typeET2_T3_PNS10_IS15_E10value_typeET4_jRbjT5_S1B_jjP12ihipStream_tbEUljE_ZNSN_ISO_Lb0ESQ_SR_SQ_SR_SV_EESW_SX_SY_SZ_S13_S14_S15_S18_S19_jS1A_jS1B_S1B_jjS1D_bEUljE0_EEESW_SX_SY_S15_S19_S1B_T6_T7_T9_mT8_S1D_bDpT10_ENKUlT_T0_E_clISt17integral_constantIbLb0EES1R_EEDaS1M_S1N_EUlS1M_E_NS1_11comp_targetILNS1_3genE5ELNS1_11target_archE942ELNS1_3gpuE9ELNS1_3repE0EEENS1_30default_config_static_selectorELNS0_4arch9wavefront6targetE0EEEvSZ_.num_named_barrier, 0
	.set _ZN7rocprim17ROCPRIM_400000_NS6detail17trampoline_kernelINS0_13select_configILj256ELj13ELNS0_17block_load_methodE3ELS4_3ELS4_3ELNS0_20block_scan_algorithmE0ELj4294967295EEENS1_25partition_config_selectorILNS1_17partition_subalgoE4EjNS0_10empty_typeEbEEZZNS1_14partition_implILS8_4ELb0ES6_15HIP_vector_typeIjLj2EENS0_17counting_iteratorIjlEEPS9_SG_NS0_5tupleIJPjSI_NS0_16reverse_iteratorISI_EEEEENSH_IJSG_SG_SG_EEES9_SI_JZNS1_25segmented_radix_sort_implINS0_14default_configELb0EPKlPlSQ_SR_N2at6native12_GLOBAL__N_18offset_tEEE10hipError_tPvRmT1_PNSt15iterator_traitsISZ_E10value_typeET2_T3_PNS10_IS15_E10value_typeET4_jRbjT5_S1B_jjP12ihipStream_tbEUljE_ZNSN_ISO_Lb0ESQ_SR_SQ_SR_SV_EESW_SX_SY_SZ_S13_S14_S15_S18_S19_jS1A_jS1B_S1B_jjS1D_bEUljE0_EEESW_SX_SY_S15_S19_S1B_T6_T7_T9_mT8_S1D_bDpT10_ENKUlT_T0_E_clISt17integral_constantIbLb0EES1R_EEDaS1M_S1N_EUlS1M_E_NS1_11comp_targetILNS1_3genE5ELNS1_11target_archE942ELNS1_3gpuE9ELNS1_3repE0EEENS1_30default_config_static_selectorELNS0_4arch9wavefront6targetE0EEEvSZ_.private_seg_size, 0
	.set _ZN7rocprim17ROCPRIM_400000_NS6detail17trampoline_kernelINS0_13select_configILj256ELj13ELNS0_17block_load_methodE3ELS4_3ELS4_3ELNS0_20block_scan_algorithmE0ELj4294967295EEENS1_25partition_config_selectorILNS1_17partition_subalgoE4EjNS0_10empty_typeEbEEZZNS1_14partition_implILS8_4ELb0ES6_15HIP_vector_typeIjLj2EENS0_17counting_iteratorIjlEEPS9_SG_NS0_5tupleIJPjSI_NS0_16reverse_iteratorISI_EEEEENSH_IJSG_SG_SG_EEES9_SI_JZNS1_25segmented_radix_sort_implINS0_14default_configELb0EPKlPlSQ_SR_N2at6native12_GLOBAL__N_18offset_tEEE10hipError_tPvRmT1_PNSt15iterator_traitsISZ_E10value_typeET2_T3_PNS10_IS15_E10value_typeET4_jRbjT5_S1B_jjP12ihipStream_tbEUljE_ZNSN_ISO_Lb0ESQ_SR_SQ_SR_SV_EESW_SX_SY_SZ_S13_S14_S15_S18_S19_jS1A_jS1B_S1B_jjS1D_bEUljE0_EEESW_SX_SY_S15_S19_S1B_T6_T7_T9_mT8_S1D_bDpT10_ENKUlT_T0_E_clISt17integral_constantIbLb0EES1R_EEDaS1M_S1N_EUlS1M_E_NS1_11comp_targetILNS1_3genE5ELNS1_11target_archE942ELNS1_3gpuE9ELNS1_3repE0EEENS1_30default_config_static_selectorELNS0_4arch9wavefront6targetE0EEEvSZ_.uses_vcc, 0
	.set _ZN7rocprim17ROCPRIM_400000_NS6detail17trampoline_kernelINS0_13select_configILj256ELj13ELNS0_17block_load_methodE3ELS4_3ELS4_3ELNS0_20block_scan_algorithmE0ELj4294967295EEENS1_25partition_config_selectorILNS1_17partition_subalgoE4EjNS0_10empty_typeEbEEZZNS1_14partition_implILS8_4ELb0ES6_15HIP_vector_typeIjLj2EENS0_17counting_iteratorIjlEEPS9_SG_NS0_5tupleIJPjSI_NS0_16reverse_iteratorISI_EEEEENSH_IJSG_SG_SG_EEES9_SI_JZNS1_25segmented_radix_sort_implINS0_14default_configELb0EPKlPlSQ_SR_N2at6native12_GLOBAL__N_18offset_tEEE10hipError_tPvRmT1_PNSt15iterator_traitsISZ_E10value_typeET2_T3_PNS10_IS15_E10value_typeET4_jRbjT5_S1B_jjP12ihipStream_tbEUljE_ZNSN_ISO_Lb0ESQ_SR_SQ_SR_SV_EESW_SX_SY_SZ_S13_S14_S15_S18_S19_jS1A_jS1B_S1B_jjS1D_bEUljE0_EEESW_SX_SY_S15_S19_S1B_T6_T7_T9_mT8_S1D_bDpT10_ENKUlT_T0_E_clISt17integral_constantIbLb0EES1R_EEDaS1M_S1N_EUlS1M_E_NS1_11comp_targetILNS1_3genE5ELNS1_11target_archE942ELNS1_3gpuE9ELNS1_3repE0EEENS1_30default_config_static_selectorELNS0_4arch9wavefront6targetE0EEEvSZ_.uses_flat_scratch, 0
	.set _ZN7rocprim17ROCPRIM_400000_NS6detail17trampoline_kernelINS0_13select_configILj256ELj13ELNS0_17block_load_methodE3ELS4_3ELS4_3ELNS0_20block_scan_algorithmE0ELj4294967295EEENS1_25partition_config_selectorILNS1_17partition_subalgoE4EjNS0_10empty_typeEbEEZZNS1_14partition_implILS8_4ELb0ES6_15HIP_vector_typeIjLj2EENS0_17counting_iteratorIjlEEPS9_SG_NS0_5tupleIJPjSI_NS0_16reverse_iteratorISI_EEEEENSH_IJSG_SG_SG_EEES9_SI_JZNS1_25segmented_radix_sort_implINS0_14default_configELb0EPKlPlSQ_SR_N2at6native12_GLOBAL__N_18offset_tEEE10hipError_tPvRmT1_PNSt15iterator_traitsISZ_E10value_typeET2_T3_PNS10_IS15_E10value_typeET4_jRbjT5_S1B_jjP12ihipStream_tbEUljE_ZNSN_ISO_Lb0ESQ_SR_SQ_SR_SV_EESW_SX_SY_SZ_S13_S14_S15_S18_S19_jS1A_jS1B_S1B_jjS1D_bEUljE0_EEESW_SX_SY_S15_S19_S1B_T6_T7_T9_mT8_S1D_bDpT10_ENKUlT_T0_E_clISt17integral_constantIbLb0EES1R_EEDaS1M_S1N_EUlS1M_E_NS1_11comp_targetILNS1_3genE5ELNS1_11target_archE942ELNS1_3gpuE9ELNS1_3repE0EEENS1_30default_config_static_selectorELNS0_4arch9wavefront6targetE0EEEvSZ_.has_dyn_sized_stack, 0
	.set _ZN7rocprim17ROCPRIM_400000_NS6detail17trampoline_kernelINS0_13select_configILj256ELj13ELNS0_17block_load_methodE3ELS4_3ELS4_3ELNS0_20block_scan_algorithmE0ELj4294967295EEENS1_25partition_config_selectorILNS1_17partition_subalgoE4EjNS0_10empty_typeEbEEZZNS1_14partition_implILS8_4ELb0ES6_15HIP_vector_typeIjLj2EENS0_17counting_iteratorIjlEEPS9_SG_NS0_5tupleIJPjSI_NS0_16reverse_iteratorISI_EEEEENSH_IJSG_SG_SG_EEES9_SI_JZNS1_25segmented_radix_sort_implINS0_14default_configELb0EPKlPlSQ_SR_N2at6native12_GLOBAL__N_18offset_tEEE10hipError_tPvRmT1_PNSt15iterator_traitsISZ_E10value_typeET2_T3_PNS10_IS15_E10value_typeET4_jRbjT5_S1B_jjP12ihipStream_tbEUljE_ZNSN_ISO_Lb0ESQ_SR_SQ_SR_SV_EESW_SX_SY_SZ_S13_S14_S15_S18_S19_jS1A_jS1B_S1B_jjS1D_bEUljE0_EEESW_SX_SY_S15_S19_S1B_T6_T7_T9_mT8_S1D_bDpT10_ENKUlT_T0_E_clISt17integral_constantIbLb0EES1R_EEDaS1M_S1N_EUlS1M_E_NS1_11comp_targetILNS1_3genE5ELNS1_11target_archE942ELNS1_3gpuE9ELNS1_3repE0EEENS1_30default_config_static_selectorELNS0_4arch9wavefront6targetE0EEEvSZ_.has_recursion, 0
	.set _ZN7rocprim17ROCPRIM_400000_NS6detail17trampoline_kernelINS0_13select_configILj256ELj13ELNS0_17block_load_methodE3ELS4_3ELS4_3ELNS0_20block_scan_algorithmE0ELj4294967295EEENS1_25partition_config_selectorILNS1_17partition_subalgoE4EjNS0_10empty_typeEbEEZZNS1_14partition_implILS8_4ELb0ES6_15HIP_vector_typeIjLj2EENS0_17counting_iteratorIjlEEPS9_SG_NS0_5tupleIJPjSI_NS0_16reverse_iteratorISI_EEEEENSH_IJSG_SG_SG_EEES9_SI_JZNS1_25segmented_radix_sort_implINS0_14default_configELb0EPKlPlSQ_SR_N2at6native12_GLOBAL__N_18offset_tEEE10hipError_tPvRmT1_PNSt15iterator_traitsISZ_E10value_typeET2_T3_PNS10_IS15_E10value_typeET4_jRbjT5_S1B_jjP12ihipStream_tbEUljE_ZNSN_ISO_Lb0ESQ_SR_SQ_SR_SV_EESW_SX_SY_SZ_S13_S14_S15_S18_S19_jS1A_jS1B_S1B_jjS1D_bEUljE0_EEESW_SX_SY_S15_S19_S1B_T6_T7_T9_mT8_S1D_bDpT10_ENKUlT_T0_E_clISt17integral_constantIbLb0EES1R_EEDaS1M_S1N_EUlS1M_E_NS1_11comp_targetILNS1_3genE5ELNS1_11target_archE942ELNS1_3gpuE9ELNS1_3repE0EEENS1_30default_config_static_selectorELNS0_4arch9wavefront6targetE0EEEvSZ_.has_indirect_call, 0
	.section	.AMDGPU.csdata,"",@progbits
; Kernel info:
; codeLenInByte = 0
; TotalNumSgprs: 0
; NumVgprs: 0
; ScratchSize: 0
; MemoryBound: 0
; FloatMode: 240
; IeeeMode: 1
; LDSByteSize: 0 bytes/workgroup (compile time only)
; SGPRBlocks: 0
; VGPRBlocks: 0
; NumSGPRsForWavesPerEU: 1
; NumVGPRsForWavesPerEU: 1
; Occupancy: 16
; WaveLimiterHint : 0
; COMPUTE_PGM_RSRC2:SCRATCH_EN: 0
; COMPUTE_PGM_RSRC2:USER_SGPR: 2
; COMPUTE_PGM_RSRC2:TRAP_HANDLER: 0
; COMPUTE_PGM_RSRC2:TGID_X_EN: 1
; COMPUTE_PGM_RSRC2:TGID_Y_EN: 0
; COMPUTE_PGM_RSRC2:TGID_Z_EN: 0
; COMPUTE_PGM_RSRC2:TIDIG_COMP_CNT: 0
	.section	.text._ZN7rocprim17ROCPRIM_400000_NS6detail17trampoline_kernelINS0_13select_configILj256ELj13ELNS0_17block_load_methodE3ELS4_3ELS4_3ELNS0_20block_scan_algorithmE0ELj4294967295EEENS1_25partition_config_selectorILNS1_17partition_subalgoE4EjNS0_10empty_typeEbEEZZNS1_14partition_implILS8_4ELb0ES6_15HIP_vector_typeIjLj2EENS0_17counting_iteratorIjlEEPS9_SG_NS0_5tupleIJPjSI_NS0_16reverse_iteratorISI_EEEEENSH_IJSG_SG_SG_EEES9_SI_JZNS1_25segmented_radix_sort_implINS0_14default_configELb0EPKlPlSQ_SR_N2at6native12_GLOBAL__N_18offset_tEEE10hipError_tPvRmT1_PNSt15iterator_traitsISZ_E10value_typeET2_T3_PNS10_IS15_E10value_typeET4_jRbjT5_S1B_jjP12ihipStream_tbEUljE_ZNSN_ISO_Lb0ESQ_SR_SQ_SR_SV_EESW_SX_SY_SZ_S13_S14_S15_S18_S19_jS1A_jS1B_S1B_jjS1D_bEUljE0_EEESW_SX_SY_S15_S19_S1B_T6_T7_T9_mT8_S1D_bDpT10_ENKUlT_T0_E_clISt17integral_constantIbLb0EES1R_EEDaS1M_S1N_EUlS1M_E_NS1_11comp_targetILNS1_3genE4ELNS1_11target_archE910ELNS1_3gpuE8ELNS1_3repE0EEENS1_30default_config_static_selectorELNS0_4arch9wavefront6targetE0EEEvSZ_,"axG",@progbits,_ZN7rocprim17ROCPRIM_400000_NS6detail17trampoline_kernelINS0_13select_configILj256ELj13ELNS0_17block_load_methodE3ELS4_3ELS4_3ELNS0_20block_scan_algorithmE0ELj4294967295EEENS1_25partition_config_selectorILNS1_17partition_subalgoE4EjNS0_10empty_typeEbEEZZNS1_14partition_implILS8_4ELb0ES6_15HIP_vector_typeIjLj2EENS0_17counting_iteratorIjlEEPS9_SG_NS0_5tupleIJPjSI_NS0_16reverse_iteratorISI_EEEEENSH_IJSG_SG_SG_EEES9_SI_JZNS1_25segmented_radix_sort_implINS0_14default_configELb0EPKlPlSQ_SR_N2at6native12_GLOBAL__N_18offset_tEEE10hipError_tPvRmT1_PNSt15iterator_traitsISZ_E10value_typeET2_T3_PNS10_IS15_E10value_typeET4_jRbjT5_S1B_jjP12ihipStream_tbEUljE_ZNSN_ISO_Lb0ESQ_SR_SQ_SR_SV_EESW_SX_SY_SZ_S13_S14_S15_S18_S19_jS1A_jS1B_S1B_jjS1D_bEUljE0_EEESW_SX_SY_S15_S19_S1B_T6_T7_T9_mT8_S1D_bDpT10_ENKUlT_T0_E_clISt17integral_constantIbLb0EES1R_EEDaS1M_S1N_EUlS1M_E_NS1_11comp_targetILNS1_3genE4ELNS1_11target_archE910ELNS1_3gpuE8ELNS1_3repE0EEENS1_30default_config_static_selectorELNS0_4arch9wavefront6targetE0EEEvSZ_,comdat
	.globl	_ZN7rocprim17ROCPRIM_400000_NS6detail17trampoline_kernelINS0_13select_configILj256ELj13ELNS0_17block_load_methodE3ELS4_3ELS4_3ELNS0_20block_scan_algorithmE0ELj4294967295EEENS1_25partition_config_selectorILNS1_17partition_subalgoE4EjNS0_10empty_typeEbEEZZNS1_14partition_implILS8_4ELb0ES6_15HIP_vector_typeIjLj2EENS0_17counting_iteratorIjlEEPS9_SG_NS0_5tupleIJPjSI_NS0_16reverse_iteratorISI_EEEEENSH_IJSG_SG_SG_EEES9_SI_JZNS1_25segmented_radix_sort_implINS0_14default_configELb0EPKlPlSQ_SR_N2at6native12_GLOBAL__N_18offset_tEEE10hipError_tPvRmT1_PNSt15iterator_traitsISZ_E10value_typeET2_T3_PNS10_IS15_E10value_typeET4_jRbjT5_S1B_jjP12ihipStream_tbEUljE_ZNSN_ISO_Lb0ESQ_SR_SQ_SR_SV_EESW_SX_SY_SZ_S13_S14_S15_S18_S19_jS1A_jS1B_S1B_jjS1D_bEUljE0_EEESW_SX_SY_S15_S19_S1B_T6_T7_T9_mT8_S1D_bDpT10_ENKUlT_T0_E_clISt17integral_constantIbLb0EES1R_EEDaS1M_S1N_EUlS1M_E_NS1_11comp_targetILNS1_3genE4ELNS1_11target_archE910ELNS1_3gpuE8ELNS1_3repE0EEENS1_30default_config_static_selectorELNS0_4arch9wavefront6targetE0EEEvSZ_ ; -- Begin function _ZN7rocprim17ROCPRIM_400000_NS6detail17trampoline_kernelINS0_13select_configILj256ELj13ELNS0_17block_load_methodE3ELS4_3ELS4_3ELNS0_20block_scan_algorithmE0ELj4294967295EEENS1_25partition_config_selectorILNS1_17partition_subalgoE4EjNS0_10empty_typeEbEEZZNS1_14partition_implILS8_4ELb0ES6_15HIP_vector_typeIjLj2EENS0_17counting_iteratorIjlEEPS9_SG_NS0_5tupleIJPjSI_NS0_16reverse_iteratorISI_EEEEENSH_IJSG_SG_SG_EEES9_SI_JZNS1_25segmented_radix_sort_implINS0_14default_configELb0EPKlPlSQ_SR_N2at6native12_GLOBAL__N_18offset_tEEE10hipError_tPvRmT1_PNSt15iterator_traitsISZ_E10value_typeET2_T3_PNS10_IS15_E10value_typeET4_jRbjT5_S1B_jjP12ihipStream_tbEUljE_ZNSN_ISO_Lb0ESQ_SR_SQ_SR_SV_EESW_SX_SY_SZ_S13_S14_S15_S18_S19_jS1A_jS1B_S1B_jjS1D_bEUljE0_EEESW_SX_SY_S15_S19_S1B_T6_T7_T9_mT8_S1D_bDpT10_ENKUlT_T0_E_clISt17integral_constantIbLb0EES1R_EEDaS1M_S1N_EUlS1M_E_NS1_11comp_targetILNS1_3genE4ELNS1_11target_archE910ELNS1_3gpuE8ELNS1_3repE0EEENS1_30default_config_static_selectorELNS0_4arch9wavefront6targetE0EEEvSZ_
	.p2align	8
	.type	_ZN7rocprim17ROCPRIM_400000_NS6detail17trampoline_kernelINS0_13select_configILj256ELj13ELNS0_17block_load_methodE3ELS4_3ELS4_3ELNS0_20block_scan_algorithmE0ELj4294967295EEENS1_25partition_config_selectorILNS1_17partition_subalgoE4EjNS0_10empty_typeEbEEZZNS1_14partition_implILS8_4ELb0ES6_15HIP_vector_typeIjLj2EENS0_17counting_iteratorIjlEEPS9_SG_NS0_5tupleIJPjSI_NS0_16reverse_iteratorISI_EEEEENSH_IJSG_SG_SG_EEES9_SI_JZNS1_25segmented_radix_sort_implINS0_14default_configELb0EPKlPlSQ_SR_N2at6native12_GLOBAL__N_18offset_tEEE10hipError_tPvRmT1_PNSt15iterator_traitsISZ_E10value_typeET2_T3_PNS10_IS15_E10value_typeET4_jRbjT5_S1B_jjP12ihipStream_tbEUljE_ZNSN_ISO_Lb0ESQ_SR_SQ_SR_SV_EESW_SX_SY_SZ_S13_S14_S15_S18_S19_jS1A_jS1B_S1B_jjS1D_bEUljE0_EEESW_SX_SY_S15_S19_S1B_T6_T7_T9_mT8_S1D_bDpT10_ENKUlT_T0_E_clISt17integral_constantIbLb0EES1R_EEDaS1M_S1N_EUlS1M_E_NS1_11comp_targetILNS1_3genE4ELNS1_11target_archE910ELNS1_3gpuE8ELNS1_3repE0EEENS1_30default_config_static_selectorELNS0_4arch9wavefront6targetE0EEEvSZ_,@function
_ZN7rocprim17ROCPRIM_400000_NS6detail17trampoline_kernelINS0_13select_configILj256ELj13ELNS0_17block_load_methodE3ELS4_3ELS4_3ELNS0_20block_scan_algorithmE0ELj4294967295EEENS1_25partition_config_selectorILNS1_17partition_subalgoE4EjNS0_10empty_typeEbEEZZNS1_14partition_implILS8_4ELb0ES6_15HIP_vector_typeIjLj2EENS0_17counting_iteratorIjlEEPS9_SG_NS0_5tupleIJPjSI_NS0_16reverse_iteratorISI_EEEEENSH_IJSG_SG_SG_EEES9_SI_JZNS1_25segmented_radix_sort_implINS0_14default_configELb0EPKlPlSQ_SR_N2at6native12_GLOBAL__N_18offset_tEEE10hipError_tPvRmT1_PNSt15iterator_traitsISZ_E10value_typeET2_T3_PNS10_IS15_E10value_typeET4_jRbjT5_S1B_jjP12ihipStream_tbEUljE_ZNSN_ISO_Lb0ESQ_SR_SQ_SR_SV_EESW_SX_SY_SZ_S13_S14_S15_S18_S19_jS1A_jS1B_S1B_jjS1D_bEUljE0_EEESW_SX_SY_S15_S19_S1B_T6_T7_T9_mT8_S1D_bDpT10_ENKUlT_T0_E_clISt17integral_constantIbLb0EES1R_EEDaS1M_S1N_EUlS1M_E_NS1_11comp_targetILNS1_3genE4ELNS1_11target_archE910ELNS1_3gpuE8ELNS1_3repE0EEENS1_30default_config_static_selectorELNS0_4arch9wavefront6targetE0EEEvSZ_: ; @_ZN7rocprim17ROCPRIM_400000_NS6detail17trampoline_kernelINS0_13select_configILj256ELj13ELNS0_17block_load_methodE3ELS4_3ELS4_3ELNS0_20block_scan_algorithmE0ELj4294967295EEENS1_25partition_config_selectorILNS1_17partition_subalgoE4EjNS0_10empty_typeEbEEZZNS1_14partition_implILS8_4ELb0ES6_15HIP_vector_typeIjLj2EENS0_17counting_iteratorIjlEEPS9_SG_NS0_5tupleIJPjSI_NS0_16reverse_iteratorISI_EEEEENSH_IJSG_SG_SG_EEES9_SI_JZNS1_25segmented_radix_sort_implINS0_14default_configELb0EPKlPlSQ_SR_N2at6native12_GLOBAL__N_18offset_tEEE10hipError_tPvRmT1_PNSt15iterator_traitsISZ_E10value_typeET2_T3_PNS10_IS15_E10value_typeET4_jRbjT5_S1B_jjP12ihipStream_tbEUljE_ZNSN_ISO_Lb0ESQ_SR_SQ_SR_SV_EESW_SX_SY_SZ_S13_S14_S15_S18_S19_jS1A_jS1B_S1B_jjS1D_bEUljE0_EEESW_SX_SY_S15_S19_S1B_T6_T7_T9_mT8_S1D_bDpT10_ENKUlT_T0_E_clISt17integral_constantIbLb0EES1R_EEDaS1M_S1N_EUlS1M_E_NS1_11comp_targetILNS1_3genE4ELNS1_11target_archE910ELNS1_3gpuE8ELNS1_3repE0EEENS1_30default_config_static_selectorELNS0_4arch9wavefront6targetE0EEEvSZ_
; %bb.0:
	.section	.rodata,"a",@progbits
	.p2align	6, 0x0
	.amdhsa_kernel _ZN7rocprim17ROCPRIM_400000_NS6detail17trampoline_kernelINS0_13select_configILj256ELj13ELNS0_17block_load_methodE3ELS4_3ELS4_3ELNS0_20block_scan_algorithmE0ELj4294967295EEENS1_25partition_config_selectorILNS1_17partition_subalgoE4EjNS0_10empty_typeEbEEZZNS1_14partition_implILS8_4ELb0ES6_15HIP_vector_typeIjLj2EENS0_17counting_iteratorIjlEEPS9_SG_NS0_5tupleIJPjSI_NS0_16reverse_iteratorISI_EEEEENSH_IJSG_SG_SG_EEES9_SI_JZNS1_25segmented_radix_sort_implINS0_14default_configELb0EPKlPlSQ_SR_N2at6native12_GLOBAL__N_18offset_tEEE10hipError_tPvRmT1_PNSt15iterator_traitsISZ_E10value_typeET2_T3_PNS10_IS15_E10value_typeET4_jRbjT5_S1B_jjP12ihipStream_tbEUljE_ZNSN_ISO_Lb0ESQ_SR_SQ_SR_SV_EESW_SX_SY_SZ_S13_S14_S15_S18_S19_jS1A_jS1B_S1B_jjS1D_bEUljE0_EEESW_SX_SY_S15_S19_S1B_T6_T7_T9_mT8_S1D_bDpT10_ENKUlT_T0_E_clISt17integral_constantIbLb0EES1R_EEDaS1M_S1N_EUlS1M_E_NS1_11comp_targetILNS1_3genE4ELNS1_11target_archE910ELNS1_3gpuE8ELNS1_3repE0EEENS1_30default_config_static_selectorELNS0_4arch9wavefront6targetE0EEEvSZ_
		.amdhsa_group_segment_fixed_size 0
		.amdhsa_private_segment_fixed_size 0
		.amdhsa_kernarg_size 176
		.amdhsa_user_sgpr_count 2
		.amdhsa_user_sgpr_dispatch_ptr 0
		.amdhsa_user_sgpr_queue_ptr 0
		.amdhsa_user_sgpr_kernarg_segment_ptr 1
		.amdhsa_user_sgpr_dispatch_id 0
		.amdhsa_user_sgpr_private_segment_size 0
		.amdhsa_wavefront_size32 1
		.amdhsa_uses_dynamic_stack 0
		.amdhsa_enable_private_segment 0
		.amdhsa_system_sgpr_workgroup_id_x 1
		.amdhsa_system_sgpr_workgroup_id_y 0
		.amdhsa_system_sgpr_workgroup_id_z 0
		.amdhsa_system_sgpr_workgroup_info 0
		.amdhsa_system_vgpr_workitem_id 0
		.amdhsa_next_free_vgpr 1
		.amdhsa_next_free_sgpr 1
		.amdhsa_reserve_vcc 0
		.amdhsa_float_round_mode_32 0
		.amdhsa_float_round_mode_16_64 0
		.amdhsa_float_denorm_mode_32 3
		.amdhsa_float_denorm_mode_16_64 3
		.amdhsa_fp16_overflow 0
		.amdhsa_workgroup_processor_mode 1
		.amdhsa_memory_ordered 1
		.amdhsa_forward_progress 1
		.amdhsa_inst_pref_size 0
		.amdhsa_round_robin_scheduling 0
		.amdhsa_exception_fp_ieee_invalid_op 0
		.amdhsa_exception_fp_denorm_src 0
		.amdhsa_exception_fp_ieee_div_zero 0
		.amdhsa_exception_fp_ieee_overflow 0
		.amdhsa_exception_fp_ieee_underflow 0
		.amdhsa_exception_fp_ieee_inexact 0
		.amdhsa_exception_int_div_zero 0
	.end_amdhsa_kernel
	.section	.text._ZN7rocprim17ROCPRIM_400000_NS6detail17trampoline_kernelINS0_13select_configILj256ELj13ELNS0_17block_load_methodE3ELS4_3ELS4_3ELNS0_20block_scan_algorithmE0ELj4294967295EEENS1_25partition_config_selectorILNS1_17partition_subalgoE4EjNS0_10empty_typeEbEEZZNS1_14partition_implILS8_4ELb0ES6_15HIP_vector_typeIjLj2EENS0_17counting_iteratorIjlEEPS9_SG_NS0_5tupleIJPjSI_NS0_16reverse_iteratorISI_EEEEENSH_IJSG_SG_SG_EEES9_SI_JZNS1_25segmented_radix_sort_implINS0_14default_configELb0EPKlPlSQ_SR_N2at6native12_GLOBAL__N_18offset_tEEE10hipError_tPvRmT1_PNSt15iterator_traitsISZ_E10value_typeET2_T3_PNS10_IS15_E10value_typeET4_jRbjT5_S1B_jjP12ihipStream_tbEUljE_ZNSN_ISO_Lb0ESQ_SR_SQ_SR_SV_EESW_SX_SY_SZ_S13_S14_S15_S18_S19_jS1A_jS1B_S1B_jjS1D_bEUljE0_EEESW_SX_SY_S15_S19_S1B_T6_T7_T9_mT8_S1D_bDpT10_ENKUlT_T0_E_clISt17integral_constantIbLb0EES1R_EEDaS1M_S1N_EUlS1M_E_NS1_11comp_targetILNS1_3genE4ELNS1_11target_archE910ELNS1_3gpuE8ELNS1_3repE0EEENS1_30default_config_static_selectorELNS0_4arch9wavefront6targetE0EEEvSZ_,"axG",@progbits,_ZN7rocprim17ROCPRIM_400000_NS6detail17trampoline_kernelINS0_13select_configILj256ELj13ELNS0_17block_load_methodE3ELS4_3ELS4_3ELNS0_20block_scan_algorithmE0ELj4294967295EEENS1_25partition_config_selectorILNS1_17partition_subalgoE4EjNS0_10empty_typeEbEEZZNS1_14partition_implILS8_4ELb0ES6_15HIP_vector_typeIjLj2EENS0_17counting_iteratorIjlEEPS9_SG_NS0_5tupleIJPjSI_NS0_16reverse_iteratorISI_EEEEENSH_IJSG_SG_SG_EEES9_SI_JZNS1_25segmented_radix_sort_implINS0_14default_configELb0EPKlPlSQ_SR_N2at6native12_GLOBAL__N_18offset_tEEE10hipError_tPvRmT1_PNSt15iterator_traitsISZ_E10value_typeET2_T3_PNS10_IS15_E10value_typeET4_jRbjT5_S1B_jjP12ihipStream_tbEUljE_ZNSN_ISO_Lb0ESQ_SR_SQ_SR_SV_EESW_SX_SY_SZ_S13_S14_S15_S18_S19_jS1A_jS1B_S1B_jjS1D_bEUljE0_EEESW_SX_SY_S15_S19_S1B_T6_T7_T9_mT8_S1D_bDpT10_ENKUlT_T0_E_clISt17integral_constantIbLb0EES1R_EEDaS1M_S1N_EUlS1M_E_NS1_11comp_targetILNS1_3genE4ELNS1_11target_archE910ELNS1_3gpuE8ELNS1_3repE0EEENS1_30default_config_static_selectorELNS0_4arch9wavefront6targetE0EEEvSZ_,comdat
.Lfunc_end745:
	.size	_ZN7rocprim17ROCPRIM_400000_NS6detail17trampoline_kernelINS0_13select_configILj256ELj13ELNS0_17block_load_methodE3ELS4_3ELS4_3ELNS0_20block_scan_algorithmE0ELj4294967295EEENS1_25partition_config_selectorILNS1_17partition_subalgoE4EjNS0_10empty_typeEbEEZZNS1_14partition_implILS8_4ELb0ES6_15HIP_vector_typeIjLj2EENS0_17counting_iteratorIjlEEPS9_SG_NS0_5tupleIJPjSI_NS0_16reverse_iteratorISI_EEEEENSH_IJSG_SG_SG_EEES9_SI_JZNS1_25segmented_radix_sort_implINS0_14default_configELb0EPKlPlSQ_SR_N2at6native12_GLOBAL__N_18offset_tEEE10hipError_tPvRmT1_PNSt15iterator_traitsISZ_E10value_typeET2_T3_PNS10_IS15_E10value_typeET4_jRbjT5_S1B_jjP12ihipStream_tbEUljE_ZNSN_ISO_Lb0ESQ_SR_SQ_SR_SV_EESW_SX_SY_SZ_S13_S14_S15_S18_S19_jS1A_jS1B_S1B_jjS1D_bEUljE0_EEESW_SX_SY_S15_S19_S1B_T6_T7_T9_mT8_S1D_bDpT10_ENKUlT_T0_E_clISt17integral_constantIbLb0EES1R_EEDaS1M_S1N_EUlS1M_E_NS1_11comp_targetILNS1_3genE4ELNS1_11target_archE910ELNS1_3gpuE8ELNS1_3repE0EEENS1_30default_config_static_selectorELNS0_4arch9wavefront6targetE0EEEvSZ_, .Lfunc_end745-_ZN7rocprim17ROCPRIM_400000_NS6detail17trampoline_kernelINS0_13select_configILj256ELj13ELNS0_17block_load_methodE3ELS4_3ELS4_3ELNS0_20block_scan_algorithmE0ELj4294967295EEENS1_25partition_config_selectorILNS1_17partition_subalgoE4EjNS0_10empty_typeEbEEZZNS1_14partition_implILS8_4ELb0ES6_15HIP_vector_typeIjLj2EENS0_17counting_iteratorIjlEEPS9_SG_NS0_5tupleIJPjSI_NS0_16reverse_iteratorISI_EEEEENSH_IJSG_SG_SG_EEES9_SI_JZNS1_25segmented_radix_sort_implINS0_14default_configELb0EPKlPlSQ_SR_N2at6native12_GLOBAL__N_18offset_tEEE10hipError_tPvRmT1_PNSt15iterator_traitsISZ_E10value_typeET2_T3_PNS10_IS15_E10value_typeET4_jRbjT5_S1B_jjP12ihipStream_tbEUljE_ZNSN_ISO_Lb0ESQ_SR_SQ_SR_SV_EESW_SX_SY_SZ_S13_S14_S15_S18_S19_jS1A_jS1B_S1B_jjS1D_bEUljE0_EEESW_SX_SY_S15_S19_S1B_T6_T7_T9_mT8_S1D_bDpT10_ENKUlT_T0_E_clISt17integral_constantIbLb0EES1R_EEDaS1M_S1N_EUlS1M_E_NS1_11comp_targetILNS1_3genE4ELNS1_11target_archE910ELNS1_3gpuE8ELNS1_3repE0EEENS1_30default_config_static_selectorELNS0_4arch9wavefront6targetE0EEEvSZ_
                                        ; -- End function
	.set _ZN7rocprim17ROCPRIM_400000_NS6detail17trampoline_kernelINS0_13select_configILj256ELj13ELNS0_17block_load_methodE3ELS4_3ELS4_3ELNS0_20block_scan_algorithmE0ELj4294967295EEENS1_25partition_config_selectorILNS1_17partition_subalgoE4EjNS0_10empty_typeEbEEZZNS1_14partition_implILS8_4ELb0ES6_15HIP_vector_typeIjLj2EENS0_17counting_iteratorIjlEEPS9_SG_NS0_5tupleIJPjSI_NS0_16reverse_iteratorISI_EEEEENSH_IJSG_SG_SG_EEES9_SI_JZNS1_25segmented_radix_sort_implINS0_14default_configELb0EPKlPlSQ_SR_N2at6native12_GLOBAL__N_18offset_tEEE10hipError_tPvRmT1_PNSt15iterator_traitsISZ_E10value_typeET2_T3_PNS10_IS15_E10value_typeET4_jRbjT5_S1B_jjP12ihipStream_tbEUljE_ZNSN_ISO_Lb0ESQ_SR_SQ_SR_SV_EESW_SX_SY_SZ_S13_S14_S15_S18_S19_jS1A_jS1B_S1B_jjS1D_bEUljE0_EEESW_SX_SY_S15_S19_S1B_T6_T7_T9_mT8_S1D_bDpT10_ENKUlT_T0_E_clISt17integral_constantIbLb0EES1R_EEDaS1M_S1N_EUlS1M_E_NS1_11comp_targetILNS1_3genE4ELNS1_11target_archE910ELNS1_3gpuE8ELNS1_3repE0EEENS1_30default_config_static_selectorELNS0_4arch9wavefront6targetE0EEEvSZ_.num_vgpr, 0
	.set _ZN7rocprim17ROCPRIM_400000_NS6detail17trampoline_kernelINS0_13select_configILj256ELj13ELNS0_17block_load_methodE3ELS4_3ELS4_3ELNS0_20block_scan_algorithmE0ELj4294967295EEENS1_25partition_config_selectorILNS1_17partition_subalgoE4EjNS0_10empty_typeEbEEZZNS1_14partition_implILS8_4ELb0ES6_15HIP_vector_typeIjLj2EENS0_17counting_iteratorIjlEEPS9_SG_NS0_5tupleIJPjSI_NS0_16reverse_iteratorISI_EEEEENSH_IJSG_SG_SG_EEES9_SI_JZNS1_25segmented_radix_sort_implINS0_14default_configELb0EPKlPlSQ_SR_N2at6native12_GLOBAL__N_18offset_tEEE10hipError_tPvRmT1_PNSt15iterator_traitsISZ_E10value_typeET2_T3_PNS10_IS15_E10value_typeET4_jRbjT5_S1B_jjP12ihipStream_tbEUljE_ZNSN_ISO_Lb0ESQ_SR_SQ_SR_SV_EESW_SX_SY_SZ_S13_S14_S15_S18_S19_jS1A_jS1B_S1B_jjS1D_bEUljE0_EEESW_SX_SY_S15_S19_S1B_T6_T7_T9_mT8_S1D_bDpT10_ENKUlT_T0_E_clISt17integral_constantIbLb0EES1R_EEDaS1M_S1N_EUlS1M_E_NS1_11comp_targetILNS1_3genE4ELNS1_11target_archE910ELNS1_3gpuE8ELNS1_3repE0EEENS1_30default_config_static_selectorELNS0_4arch9wavefront6targetE0EEEvSZ_.num_agpr, 0
	.set _ZN7rocprim17ROCPRIM_400000_NS6detail17trampoline_kernelINS0_13select_configILj256ELj13ELNS0_17block_load_methodE3ELS4_3ELS4_3ELNS0_20block_scan_algorithmE0ELj4294967295EEENS1_25partition_config_selectorILNS1_17partition_subalgoE4EjNS0_10empty_typeEbEEZZNS1_14partition_implILS8_4ELb0ES6_15HIP_vector_typeIjLj2EENS0_17counting_iteratorIjlEEPS9_SG_NS0_5tupleIJPjSI_NS0_16reverse_iteratorISI_EEEEENSH_IJSG_SG_SG_EEES9_SI_JZNS1_25segmented_radix_sort_implINS0_14default_configELb0EPKlPlSQ_SR_N2at6native12_GLOBAL__N_18offset_tEEE10hipError_tPvRmT1_PNSt15iterator_traitsISZ_E10value_typeET2_T3_PNS10_IS15_E10value_typeET4_jRbjT5_S1B_jjP12ihipStream_tbEUljE_ZNSN_ISO_Lb0ESQ_SR_SQ_SR_SV_EESW_SX_SY_SZ_S13_S14_S15_S18_S19_jS1A_jS1B_S1B_jjS1D_bEUljE0_EEESW_SX_SY_S15_S19_S1B_T6_T7_T9_mT8_S1D_bDpT10_ENKUlT_T0_E_clISt17integral_constantIbLb0EES1R_EEDaS1M_S1N_EUlS1M_E_NS1_11comp_targetILNS1_3genE4ELNS1_11target_archE910ELNS1_3gpuE8ELNS1_3repE0EEENS1_30default_config_static_selectorELNS0_4arch9wavefront6targetE0EEEvSZ_.numbered_sgpr, 0
	.set _ZN7rocprim17ROCPRIM_400000_NS6detail17trampoline_kernelINS0_13select_configILj256ELj13ELNS0_17block_load_methodE3ELS4_3ELS4_3ELNS0_20block_scan_algorithmE0ELj4294967295EEENS1_25partition_config_selectorILNS1_17partition_subalgoE4EjNS0_10empty_typeEbEEZZNS1_14partition_implILS8_4ELb0ES6_15HIP_vector_typeIjLj2EENS0_17counting_iteratorIjlEEPS9_SG_NS0_5tupleIJPjSI_NS0_16reverse_iteratorISI_EEEEENSH_IJSG_SG_SG_EEES9_SI_JZNS1_25segmented_radix_sort_implINS0_14default_configELb0EPKlPlSQ_SR_N2at6native12_GLOBAL__N_18offset_tEEE10hipError_tPvRmT1_PNSt15iterator_traitsISZ_E10value_typeET2_T3_PNS10_IS15_E10value_typeET4_jRbjT5_S1B_jjP12ihipStream_tbEUljE_ZNSN_ISO_Lb0ESQ_SR_SQ_SR_SV_EESW_SX_SY_SZ_S13_S14_S15_S18_S19_jS1A_jS1B_S1B_jjS1D_bEUljE0_EEESW_SX_SY_S15_S19_S1B_T6_T7_T9_mT8_S1D_bDpT10_ENKUlT_T0_E_clISt17integral_constantIbLb0EES1R_EEDaS1M_S1N_EUlS1M_E_NS1_11comp_targetILNS1_3genE4ELNS1_11target_archE910ELNS1_3gpuE8ELNS1_3repE0EEENS1_30default_config_static_selectorELNS0_4arch9wavefront6targetE0EEEvSZ_.num_named_barrier, 0
	.set _ZN7rocprim17ROCPRIM_400000_NS6detail17trampoline_kernelINS0_13select_configILj256ELj13ELNS0_17block_load_methodE3ELS4_3ELS4_3ELNS0_20block_scan_algorithmE0ELj4294967295EEENS1_25partition_config_selectorILNS1_17partition_subalgoE4EjNS0_10empty_typeEbEEZZNS1_14partition_implILS8_4ELb0ES6_15HIP_vector_typeIjLj2EENS0_17counting_iteratorIjlEEPS9_SG_NS0_5tupleIJPjSI_NS0_16reverse_iteratorISI_EEEEENSH_IJSG_SG_SG_EEES9_SI_JZNS1_25segmented_radix_sort_implINS0_14default_configELb0EPKlPlSQ_SR_N2at6native12_GLOBAL__N_18offset_tEEE10hipError_tPvRmT1_PNSt15iterator_traitsISZ_E10value_typeET2_T3_PNS10_IS15_E10value_typeET4_jRbjT5_S1B_jjP12ihipStream_tbEUljE_ZNSN_ISO_Lb0ESQ_SR_SQ_SR_SV_EESW_SX_SY_SZ_S13_S14_S15_S18_S19_jS1A_jS1B_S1B_jjS1D_bEUljE0_EEESW_SX_SY_S15_S19_S1B_T6_T7_T9_mT8_S1D_bDpT10_ENKUlT_T0_E_clISt17integral_constantIbLb0EES1R_EEDaS1M_S1N_EUlS1M_E_NS1_11comp_targetILNS1_3genE4ELNS1_11target_archE910ELNS1_3gpuE8ELNS1_3repE0EEENS1_30default_config_static_selectorELNS0_4arch9wavefront6targetE0EEEvSZ_.private_seg_size, 0
	.set _ZN7rocprim17ROCPRIM_400000_NS6detail17trampoline_kernelINS0_13select_configILj256ELj13ELNS0_17block_load_methodE3ELS4_3ELS4_3ELNS0_20block_scan_algorithmE0ELj4294967295EEENS1_25partition_config_selectorILNS1_17partition_subalgoE4EjNS0_10empty_typeEbEEZZNS1_14partition_implILS8_4ELb0ES6_15HIP_vector_typeIjLj2EENS0_17counting_iteratorIjlEEPS9_SG_NS0_5tupleIJPjSI_NS0_16reverse_iteratorISI_EEEEENSH_IJSG_SG_SG_EEES9_SI_JZNS1_25segmented_radix_sort_implINS0_14default_configELb0EPKlPlSQ_SR_N2at6native12_GLOBAL__N_18offset_tEEE10hipError_tPvRmT1_PNSt15iterator_traitsISZ_E10value_typeET2_T3_PNS10_IS15_E10value_typeET4_jRbjT5_S1B_jjP12ihipStream_tbEUljE_ZNSN_ISO_Lb0ESQ_SR_SQ_SR_SV_EESW_SX_SY_SZ_S13_S14_S15_S18_S19_jS1A_jS1B_S1B_jjS1D_bEUljE0_EEESW_SX_SY_S15_S19_S1B_T6_T7_T9_mT8_S1D_bDpT10_ENKUlT_T0_E_clISt17integral_constantIbLb0EES1R_EEDaS1M_S1N_EUlS1M_E_NS1_11comp_targetILNS1_3genE4ELNS1_11target_archE910ELNS1_3gpuE8ELNS1_3repE0EEENS1_30default_config_static_selectorELNS0_4arch9wavefront6targetE0EEEvSZ_.uses_vcc, 0
	.set _ZN7rocprim17ROCPRIM_400000_NS6detail17trampoline_kernelINS0_13select_configILj256ELj13ELNS0_17block_load_methodE3ELS4_3ELS4_3ELNS0_20block_scan_algorithmE0ELj4294967295EEENS1_25partition_config_selectorILNS1_17partition_subalgoE4EjNS0_10empty_typeEbEEZZNS1_14partition_implILS8_4ELb0ES6_15HIP_vector_typeIjLj2EENS0_17counting_iteratorIjlEEPS9_SG_NS0_5tupleIJPjSI_NS0_16reverse_iteratorISI_EEEEENSH_IJSG_SG_SG_EEES9_SI_JZNS1_25segmented_radix_sort_implINS0_14default_configELb0EPKlPlSQ_SR_N2at6native12_GLOBAL__N_18offset_tEEE10hipError_tPvRmT1_PNSt15iterator_traitsISZ_E10value_typeET2_T3_PNS10_IS15_E10value_typeET4_jRbjT5_S1B_jjP12ihipStream_tbEUljE_ZNSN_ISO_Lb0ESQ_SR_SQ_SR_SV_EESW_SX_SY_SZ_S13_S14_S15_S18_S19_jS1A_jS1B_S1B_jjS1D_bEUljE0_EEESW_SX_SY_S15_S19_S1B_T6_T7_T9_mT8_S1D_bDpT10_ENKUlT_T0_E_clISt17integral_constantIbLb0EES1R_EEDaS1M_S1N_EUlS1M_E_NS1_11comp_targetILNS1_3genE4ELNS1_11target_archE910ELNS1_3gpuE8ELNS1_3repE0EEENS1_30default_config_static_selectorELNS0_4arch9wavefront6targetE0EEEvSZ_.uses_flat_scratch, 0
	.set _ZN7rocprim17ROCPRIM_400000_NS6detail17trampoline_kernelINS0_13select_configILj256ELj13ELNS0_17block_load_methodE3ELS4_3ELS4_3ELNS0_20block_scan_algorithmE0ELj4294967295EEENS1_25partition_config_selectorILNS1_17partition_subalgoE4EjNS0_10empty_typeEbEEZZNS1_14partition_implILS8_4ELb0ES6_15HIP_vector_typeIjLj2EENS0_17counting_iteratorIjlEEPS9_SG_NS0_5tupleIJPjSI_NS0_16reverse_iteratorISI_EEEEENSH_IJSG_SG_SG_EEES9_SI_JZNS1_25segmented_radix_sort_implINS0_14default_configELb0EPKlPlSQ_SR_N2at6native12_GLOBAL__N_18offset_tEEE10hipError_tPvRmT1_PNSt15iterator_traitsISZ_E10value_typeET2_T3_PNS10_IS15_E10value_typeET4_jRbjT5_S1B_jjP12ihipStream_tbEUljE_ZNSN_ISO_Lb0ESQ_SR_SQ_SR_SV_EESW_SX_SY_SZ_S13_S14_S15_S18_S19_jS1A_jS1B_S1B_jjS1D_bEUljE0_EEESW_SX_SY_S15_S19_S1B_T6_T7_T9_mT8_S1D_bDpT10_ENKUlT_T0_E_clISt17integral_constantIbLb0EES1R_EEDaS1M_S1N_EUlS1M_E_NS1_11comp_targetILNS1_3genE4ELNS1_11target_archE910ELNS1_3gpuE8ELNS1_3repE0EEENS1_30default_config_static_selectorELNS0_4arch9wavefront6targetE0EEEvSZ_.has_dyn_sized_stack, 0
	.set _ZN7rocprim17ROCPRIM_400000_NS6detail17trampoline_kernelINS0_13select_configILj256ELj13ELNS0_17block_load_methodE3ELS4_3ELS4_3ELNS0_20block_scan_algorithmE0ELj4294967295EEENS1_25partition_config_selectorILNS1_17partition_subalgoE4EjNS0_10empty_typeEbEEZZNS1_14partition_implILS8_4ELb0ES6_15HIP_vector_typeIjLj2EENS0_17counting_iteratorIjlEEPS9_SG_NS0_5tupleIJPjSI_NS0_16reverse_iteratorISI_EEEEENSH_IJSG_SG_SG_EEES9_SI_JZNS1_25segmented_radix_sort_implINS0_14default_configELb0EPKlPlSQ_SR_N2at6native12_GLOBAL__N_18offset_tEEE10hipError_tPvRmT1_PNSt15iterator_traitsISZ_E10value_typeET2_T3_PNS10_IS15_E10value_typeET4_jRbjT5_S1B_jjP12ihipStream_tbEUljE_ZNSN_ISO_Lb0ESQ_SR_SQ_SR_SV_EESW_SX_SY_SZ_S13_S14_S15_S18_S19_jS1A_jS1B_S1B_jjS1D_bEUljE0_EEESW_SX_SY_S15_S19_S1B_T6_T7_T9_mT8_S1D_bDpT10_ENKUlT_T0_E_clISt17integral_constantIbLb0EES1R_EEDaS1M_S1N_EUlS1M_E_NS1_11comp_targetILNS1_3genE4ELNS1_11target_archE910ELNS1_3gpuE8ELNS1_3repE0EEENS1_30default_config_static_selectorELNS0_4arch9wavefront6targetE0EEEvSZ_.has_recursion, 0
	.set _ZN7rocprim17ROCPRIM_400000_NS6detail17trampoline_kernelINS0_13select_configILj256ELj13ELNS0_17block_load_methodE3ELS4_3ELS4_3ELNS0_20block_scan_algorithmE0ELj4294967295EEENS1_25partition_config_selectorILNS1_17partition_subalgoE4EjNS0_10empty_typeEbEEZZNS1_14partition_implILS8_4ELb0ES6_15HIP_vector_typeIjLj2EENS0_17counting_iteratorIjlEEPS9_SG_NS0_5tupleIJPjSI_NS0_16reverse_iteratorISI_EEEEENSH_IJSG_SG_SG_EEES9_SI_JZNS1_25segmented_radix_sort_implINS0_14default_configELb0EPKlPlSQ_SR_N2at6native12_GLOBAL__N_18offset_tEEE10hipError_tPvRmT1_PNSt15iterator_traitsISZ_E10value_typeET2_T3_PNS10_IS15_E10value_typeET4_jRbjT5_S1B_jjP12ihipStream_tbEUljE_ZNSN_ISO_Lb0ESQ_SR_SQ_SR_SV_EESW_SX_SY_SZ_S13_S14_S15_S18_S19_jS1A_jS1B_S1B_jjS1D_bEUljE0_EEESW_SX_SY_S15_S19_S1B_T6_T7_T9_mT8_S1D_bDpT10_ENKUlT_T0_E_clISt17integral_constantIbLb0EES1R_EEDaS1M_S1N_EUlS1M_E_NS1_11comp_targetILNS1_3genE4ELNS1_11target_archE910ELNS1_3gpuE8ELNS1_3repE0EEENS1_30default_config_static_selectorELNS0_4arch9wavefront6targetE0EEEvSZ_.has_indirect_call, 0
	.section	.AMDGPU.csdata,"",@progbits
; Kernel info:
; codeLenInByte = 0
; TotalNumSgprs: 0
; NumVgprs: 0
; ScratchSize: 0
; MemoryBound: 0
; FloatMode: 240
; IeeeMode: 1
; LDSByteSize: 0 bytes/workgroup (compile time only)
; SGPRBlocks: 0
; VGPRBlocks: 0
; NumSGPRsForWavesPerEU: 1
; NumVGPRsForWavesPerEU: 1
; Occupancy: 16
; WaveLimiterHint : 0
; COMPUTE_PGM_RSRC2:SCRATCH_EN: 0
; COMPUTE_PGM_RSRC2:USER_SGPR: 2
; COMPUTE_PGM_RSRC2:TRAP_HANDLER: 0
; COMPUTE_PGM_RSRC2:TGID_X_EN: 1
; COMPUTE_PGM_RSRC2:TGID_Y_EN: 0
; COMPUTE_PGM_RSRC2:TGID_Z_EN: 0
; COMPUTE_PGM_RSRC2:TIDIG_COMP_CNT: 0
	.section	.text._ZN7rocprim17ROCPRIM_400000_NS6detail17trampoline_kernelINS0_13select_configILj256ELj13ELNS0_17block_load_methodE3ELS4_3ELS4_3ELNS0_20block_scan_algorithmE0ELj4294967295EEENS1_25partition_config_selectorILNS1_17partition_subalgoE4EjNS0_10empty_typeEbEEZZNS1_14partition_implILS8_4ELb0ES6_15HIP_vector_typeIjLj2EENS0_17counting_iteratorIjlEEPS9_SG_NS0_5tupleIJPjSI_NS0_16reverse_iteratorISI_EEEEENSH_IJSG_SG_SG_EEES9_SI_JZNS1_25segmented_radix_sort_implINS0_14default_configELb0EPKlPlSQ_SR_N2at6native12_GLOBAL__N_18offset_tEEE10hipError_tPvRmT1_PNSt15iterator_traitsISZ_E10value_typeET2_T3_PNS10_IS15_E10value_typeET4_jRbjT5_S1B_jjP12ihipStream_tbEUljE_ZNSN_ISO_Lb0ESQ_SR_SQ_SR_SV_EESW_SX_SY_SZ_S13_S14_S15_S18_S19_jS1A_jS1B_S1B_jjS1D_bEUljE0_EEESW_SX_SY_S15_S19_S1B_T6_T7_T9_mT8_S1D_bDpT10_ENKUlT_T0_E_clISt17integral_constantIbLb0EES1R_EEDaS1M_S1N_EUlS1M_E_NS1_11comp_targetILNS1_3genE3ELNS1_11target_archE908ELNS1_3gpuE7ELNS1_3repE0EEENS1_30default_config_static_selectorELNS0_4arch9wavefront6targetE0EEEvSZ_,"axG",@progbits,_ZN7rocprim17ROCPRIM_400000_NS6detail17trampoline_kernelINS0_13select_configILj256ELj13ELNS0_17block_load_methodE3ELS4_3ELS4_3ELNS0_20block_scan_algorithmE0ELj4294967295EEENS1_25partition_config_selectorILNS1_17partition_subalgoE4EjNS0_10empty_typeEbEEZZNS1_14partition_implILS8_4ELb0ES6_15HIP_vector_typeIjLj2EENS0_17counting_iteratorIjlEEPS9_SG_NS0_5tupleIJPjSI_NS0_16reverse_iteratorISI_EEEEENSH_IJSG_SG_SG_EEES9_SI_JZNS1_25segmented_radix_sort_implINS0_14default_configELb0EPKlPlSQ_SR_N2at6native12_GLOBAL__N_18offset_tEEE10hipError_tPvRmT1_PNSt15iterator_traitsISZ_E10value_typeET2_T3_PNS10_IS15_E10value_typeET4_jRbjT5_S1B_jjP12ihipStream_tbEUljE_ZNSN_ISO_Lb0ESQ_SR_SQ_SR_SV_EESW_SX_SY_SZ_S13_S14_S15_S18_S19_jS1A_jS1B_S1B_jjS1D_bEUljE0_EEESW_SX_SY_S15_S19_S1B_T6_T7_T9_mT8_S1D_bDpT10_ENKUlT_T0_E_clISt17integral_constantIbLb0EES1R_EEDaS1M_S1N_EUlS1M_E_NS1_11comp_targetILNS1_3genE3ELNS1_11target_archE908ELNS1_3gpuE7ELNS1_3repE0EEENS1_30default_config_static_selectorELNS0_4arch9wavefront6targetE0EEEvSZ_,comdat
	.globl	_ZN7rocprim17ROCPRIM_400000_NS6detail17trampoline_kernelINS0_13select_configILj256ELj13ELNS0_17block_load_methodE3ELS4_3ELS4_3ELNS0_20block_scan_algorithmE0ELj4294967295EEENS1_25partition_config_selectorILNS1_17partition_subalgoE4EjNS0_10empty_typeEbEEZZNS1_14partition_implILS8_4ELb0ES6_15HIP_vector_typeIjLj2EENS0_17counting_iteratorIjlEEPS9_SG_NS0_5tupleIJPjSI_NS0_16reverse_iteratorISI_EEEEENSH_IJSG_SG_SG_EEES9_SI_JZNS1_25segmented_radix_sort_implINS0_14default_configELb0EPKlPlSQ_SR_N2at6native12_GLOBAL__N_18offset_tEEE10hipError_tPvRmT1_PNSt15iterator_traitsISZ_E10value_typeET2_T3_PNS10_IS15_E10value_typeET4_jRbjT5_S1B_jjP12ihipStream_tbEUljE_ZNSN_ISO_Lb0ESQ_SR_SQ_SR_SV_EESW_SX_SY_SZ_S13_S14_S15_S18_S19_jS1A_jS1B_S1B_jjS1D_bEUljE0_EEESW_SX_SY_S15_S19_S1B_T6_T7_T9_mT8_S1D_bDpT10_ENKUlT_T0_E_clISt17integral_constantIbLb0EES1R_EEDaS1M_S1N_EUlS1M_E_NS1_11comp_targetILNS1_3genE3ELNS1_11target_archE908ELNS1_3gpuE7ELNS1_3repE0EEENS1_30default_config_static_selectorELNS0_4arch9wavefront6targetE0EEEvSZ_ ; -- Begin function _ZN7rocprim17ROCPRIM_400000_NS6detail17trampoline_kernelINS0_13select_configILj256ELj13ELNS0_17block_load_methodE3ELS4_3ELS4_3ELNS0_20block_scan_algorithmE0ELj4294967295EEENS1_25partition_config_selectorILNS1_17partition_subalgoE4EjNS0_10empty_typeEbEEZZNS1_14partition_implILS8_4ELb0ES6_15HIP_vector_typeIjLj2EENS0_17counting_iteratorIjlEEPS9_SG_NS0_5tupleIJPjSI_NS0_16reverse_iteratorISI_EEEEENSH_IJSG_SG_SG_EEES9_SI_JZNS1_25segmented_radix_sort_implINS0_14default_configELb0EPKlPlSQ_SR_N2at6native12_GLOBAL__N_18offset_tEEE10hipError_tPvRmT1_PNSt15iterator_traitsISZ_E10value_typeET2_T3_PNS10_IS15_E10value_typeET4_jRbjT5_S1B_jjP12ihipStream_tbEUljE_ZNSN_ISO_Lb0ESQ_SR_SQ_SR_SV_EESW_SX_SY_SZ_S13_S14_S15_S18_S19_jS1A_jS1B_S1B_jjS1D_bEUljE0_EEESW_SX_SY_S15_S19_S1B_T6_T7_T9_mT8_S1D_bDpT10_ENKUlT_T0_E_clISt17integral_constantIbLb0EES1R_EEDaS1M_S1N_EUlS1M_E_NS1_11comp_targetILNS1_3genE3ELNS1_11target_archE908ELNS1_3gpuE7ELNS1_3repE0EEENS1_30default_config_static_selectorELNS0_4arch9wavefront6targetE0EEEvSZ_
	.p2align	8
	.type	_ZN7rocprim17ROCPRIM_400000_NS6detail17trampoline_kernelINS0_13select_configILj256ELj13ELNS0_17block_load_methodE3ELS4_3ELS4_3ELNS0_20block_scan_algorithmE0ELj4294967295EEENS1_25partition_config_selectorILNS1_17partition_subalgoE4EjNS0_10empty_typeEbEEZZNS1_14partition_implILS8_4ELb0ES6_15HIP_vector_typeIjLj2EENS0_17counting_iteratorIjlEEPS9_SG_NS0_5tupleIJPjSI_NS0_16reverse_iteratorISI_EEEEENSH_IJSG_SG_SG_EEES9_SI_JZNS1_25segmented_radix_sort_implINS0_14default_configELb0EPKlPlSQ_SR_N2at6native12_GLOBAL__N_18offset_tEEE10hipError_tPvRmT1_PNSt15iterator_traitsISZ_E10value_typeET2_T3_PNS10_IS15_E10value_typeET4_jRbjT5_S1B_jjP12ihipStream_tbEUljE_ZNSN_ISO_Lb0ESQ_SR_SQ_SR_SV_EESW_SX_SY_SZ_S13_S14_S15_S18_S19_jS1A_jS1B_S1B_jjS1D_bEUljE0_EEESW_SX_SY_S15_S19_S1B_T6_T7_T9_mT8_S1D_bDpT10_ENKUlT_T0_E_clISt17integral_constantIbLb0EES1R_EEDaS1M_S1N_EUlS1M_E_NS1_11comp_targetILNS1_3genE3ELNS1_11target_archE908ELNS1_3gpuE7ELNS1_3repE0EEENS1_30default_config_static_selectorELNS0_4arch9wavefront6targetE0EEEvSZ_,@function
_ZN7rocprim17ROCPRIM_400000_NS6detail17trampoline_kernelINS0_13select_configILj256ELj13ELNS0_17block_load_methodE3ELS4_3ELS4_3ELNS0_20block_scan_algorithmE0ELj4294967295EEENS1_25partition_config_selectorILNS1_17partition_subalgoE4EjNS0_10empty_typeEbEEZZNS1_14partition_implILS8_4ELb0ES6_15HIP_vector_typeIjLj2EENS0_17counting_iteratorIjlEEPS9_SG_NS0_5tupleIJPjSI_NS0_16reverse_iteratorISI_EEEEENSH_IJSG_SG_SG_EEES9_SI_JZNS1_25segmented_radix_sort_implINS0_14default_configELb0EPKlPlSQ_SR_N2at6native12_GLOBAL__N_18offset_tEEE10hipError_tPvRmT1_PNSt15iterator_traitsISZ_E10value_typeET2_T3_PNS10_IS15_E10value_typeET4_jRbjT5_S1B_jjP12ihipStream_tbEUljE_ZNSN_ISO_Lb0ESQ_SR_SQ_SR_SV_EESW_SX_SY_SZ_S13_S14_S15_S18_S19_jS1A_jS1B_S1B_jjS1D_bEUljE0_EEESW_SX_SY_S15_S19_S1B_T6_T7_T9_mT8_S1D_bDpT10_ENKUlT_T0_E_clISt17integral_constantIbLb0EES1R_EEDaS1M_S1N_EUlS1M_E_NS1_11comp_targetILNS1_3genE3ELNS1_11target_archE908ELNS1_3gpuE7ELNS1_3repE0EEENS1_30default_config_static_selectorELNS0_4arch9wavefront6targetE0EEEvSZ_: ; @_ZN7rocprim17ROCPRIM_400000_NS6detail17trampoline_kernelINS0_13select_configILj256ELj13ELNS0_17block_load_methodE3ELS4_3ELS4_3ELNS0_20block_scan_algorithmE0ELj4294967295EEENS1_25partition_config_selectorILNS1_17partition_subalgoE4EjNS0_10empty_typeEbEEZZNS1_14partition_implILS8_4ELb0ES6_15HIP_vector_typeIjLj2EENS0_17counting_iteratorIjlEEPS9_SG_NS0_5tupleIJPjSI_NS0_16reverse_iteratorISI_EEEEENSH_IJSG_SG_SG_EEES9_SI_JZNS1_25segmented_radix_sort_implINS0_14default_configELb0EPKlPlSQ_SR_N2at6native12_GLOBAL__N_18offset_tEEE10hipError_tPvRmT1_PNSt15iterator_traitsISZ_E10value_typeET2_T3_PNS10_IS15_E10value_typeET4_jRbjT5_S1B_jjP12ihipStream_tbEUljE_ZNSN_ISO_Lb0ESQ_SR_SQ_SR_SV_EESW_SX_SY_SZ_S13_S14_S15_S18_S19_jS1A_jS1B_S1B_jjS1D_bEUljE0_EEESW_SX_SY_S15_S19_S1B_T6_T7_T9_mT8_S1D_bDpT10_ENKUlT_T0_E_clISt17integral_constantIbLb0EES1R_EEDaS1M_S1N_EUlS1M_E_NS1_11comp_targetILNS1_3genE3ELNS1_11target_archE908ELNS1_3gpuE7ELNS1_3repE0EEENS1_30default_config_static_selectorELNS0_4arch9wavefront6targetE0EEEvSZ_
; %bb.0:
	.section	.rodata,"a",@progbits
	.p2align	6, 0x0
	.amdhsa_kernel _ZN7rocprim17ROCPRIM_400000_NS6detail17trampoline_kernelINS0_13select_configILj256ELj13ELNS0_17block_load_methodE3ELS4_3ELS4_3ELNS0_20block_scan_algorithmE0ELj4294967295EEENS1_25partition_config_selectorILNS1_17partition_subalgoE4EjNS0_10empty_typeEbEEZZNS1_14partition_implILS8_4ELb0ES6_15HIP_vector_typeIjLj2EENS0_17counting_iteratorIjlEEPS9_SG_NS0_5tupleIJPjSI_NS0_16reverse_iteratorISI_EEEEENSH_IJSG_SG_SG_EEES9_SI_JZNS1_25segmented_radix_sort_implINS0_14default_configELb0EPKlPlSQ_SR_N2at6native12_GLOBAL__N_18offset_tEEE10hipError_tPvRmT1_PNSt15iterator_traitsISZ_E10value_typeET2_T3_PNS10_IS15_E10value_typeET4_jRbjT5_S1B_jjP12ihipStream_tbEUljE_ZNSN_ISO_Lb0ESQ_SR_SQ_SR_SV_EESW_SX_SY_SZ_S13_S14_S15_S18_S19_jS1A_jS1B_S1B_jjS1D_bEUljE0_EEESW_SX_SY_S15_S19_S1B_T6_T7_T9_mT8_S1D_bDpT10_ENKUlT_T0_E_clISt17integral_constantIbLb0EES1R_EEDaS1M_S1N_EUlS1M_E_NS1_11comp_targetILNS1_3genE3ELNS1_11target_archE908ELNS1_3gpuE7ELNS1_3repE0EEENS1_30default_config_static_selectorELNS0_4arch9wavefront6targetE0EEEvSZ_
		.amdhsa_group_segment_fixed_size 0
		.amdhsa_private_segment_fixed_size 0
		.amdhsa_kernarg_size 176
		.amdhsa_user_sgpr_count 2
		.amdhsa_user_sgpr_dispatch_ptr 0
		.amdhsa_user_sgpr_queue_ptr 0
		.amdhsa_user_sgpr_kernarg_segment_ptr 1
		.amdhsa_user_sgpr_dispatch_id 0
		.amdhsa_user_sgpr_private_segment_size 0
		.amdhsa_wavefront_size32 1
		.amdhsa_uses_dynamic_stack 0
		.amdhsa_enable_private_segment 0
		.amdhsa_system_sgpr_workgroup_id_x 1
		.amdhsa_system_sgpr_workgroup_id_y 0
		.amdhsa_system_sgpr_workgroup_id_z 0
		.amdhsa_system_sgpr_workgroup_info 0
		.amdhsa_system_vgpr_workitem_id 0
		.amdhsa_next_free_vgpr 1
		.amdhsa_next_free_sgpr 1
		.amdhsa_reserve_vcc 0
		.amdhsa_float_round_mode_32 0
		.amdhsa_float_round_mode_16_64 0
		.amdhsa_float_denorm_mode_32 3
		.amdhsa_float_denorm_mode_16_64 3
		.amdhsa_fp16_overflow 0
		.amdhsa_workgroup_processor_mode 1
		.amdhsa_memory_ordered 1
		.amdhsa_forward_progress 1
		.amdhsa_inst_pref_size 0
		.amdhsa_round_robin_scheduling 0
		.amdhsa_exception_fp_ieee_invalid_op 0
		.amdhsa_exception_fp_denorm_src 0
		.amdhsa_exception_fp_ieee_div_zero 0
		.amdhsa_exception_fp_ieee_overflow 0
		.amdhsa_exception_fp_ieee_underflow 0
		.amdhsa_exception_fp_ieee_inexact 0
		.amdhsa_exception_int_div_zero 0
	.end_amdhsa_kernel
	.section	.text._ZN7rocprim17ROCPRIM_400000_NS6detail17trampoline_kernelINS0_13select_configILj256ELj13ELNS0_17block_load_methodE3ELS4_3ELS4_3ELNS0_20block_scan_algorithmE0ELj4294967295EEENS1_25partition_config_selectorILNS1_17partition_subalgoE4EjNS0_10empty_typeEbEEZZNS1_14partition_implILS8_4ELb0ES6_15HIP_vector_typeIjLj2EENS0_17counting_iteratorIjlEEPS9_SG_NS0_5tupleIJPjSI_NS0_16reverse_iteratorISI_EEEEENSH_IJSG_SG_SG_EEES9_SI_JZNS1_25segmented_radix_sort_implINS0_14default_configELb0EPKlPlSQ_SR_N2at6native12_GLOBAL__N_18offset_tEEE10hipError_tPvRmT1_PNSt15iterator_traitsISZ_E10value_typeET2_T3_PNS10_IS15_E10value_typeET4_jRbjT5_S1B_jjP12ihipStream_tbEUljE_ZNSN_ISO_Lb0ESQ_SR_SQ_SR_SV_EESW_SX_SY_SZ_S13_S14_S15_S18_S19_jS1A_jS1B_S1B_jjS1D_bEUljE0_EEESW_SX_SY_S15_S19_S1B_T6_T7_T9_mT8_S1D_bDpT10_ENKUlT_T0_E_clISt17integral_constantIbLb0EES1R_EEDaS1M_S1N_EUlS1M_E_NS1_11comp_targetILNS1_3genE3ELNS1_11target_archE908ELNS1_3gpuE7ELNS1_3repE0EEENS1_30default_config_static_selectorELNS0_4arch9wavefront6targetE0EEEvSZ_,"axG",@progbits,_ZN7rocprim17ROCPRIM_400000_NS6detail17trampoline_kernelINS0_13select_configILj256ELj13ELNS0_17block_load_methodE3ELS4_3ELS4_3ELNS0_20block_scan_algorithmE0ELj4294967295EEENS1_25partition_config_selectorILNS1_17partition_subalgoE4EjNS0_10empty_typeEbEEZZNS1_14partition_implILS8_4ELb0ES6_15HIP_vector_typeIjLj2EENS0_17counting_iteratorIjlEEPS9_SG_NS0_5tupleIJPjSI_NS0_16reverse_iteratorISI_EEEEENSH_IJSG_SG_SG_EEES9_SI_JZNS1_25segmented_radix_sort_implINS0_14default_configELb0EPKlPlSQ_SR_N2at6native12_GLOBAL__N_18offset_tEEE10hipError_tPvRmT1_PNSt15iterator_traitsISZ_E10value_typeET2_T3_PNS10_IS15_E10value_typeET4_jRbjT5_S1B_jjP12ihipStream_tbEUljE_ZNSN_ISO_Lb0ESQ_SR_SQ_SR_SV_EESW_SX_SY_SZ_S13_S14_S15_S18_S19_jS1A_jS1B_S1B_jjS1D_bEUljE0_EEESW_SX_SY_S15_S19_S1B_T6_T7_T9_mT8_S1D_bDpT10_ENKUlT_T0_E_clISt17integral_constantIbLb0EES1R_EEDaS1M_S1N_EUlS1M_E_NS1_11comp_targetILNS1_3genE3ELNS1_11target_archE908ELNS1_3gpuE7ELNS1_3repE0EEENS1_30default_config_static_selectorELNS0_4arch9wavefront6targetE0EEEvSZ_,comdat
.Lfunc_end746:
	.size	_ZN7rocprim17ROCPRIM_400000_NS6detail17trampoline_kernelINS0_13select_configILj256ELj13ELNS0_17block_load_methodE3ELS4_3ELS4_3ELNS0_20block_scan_algorithmE0ELj4294967295EEENS1_25partition_config_selectorILNS1_17partition_subalgoE4EjNS0_10empty_typeEbEEZZNS1_14partition_implILS8_4ELb0ES6_15HIP_vector_typeIjLj2EENS0_17counting_iteratorIjlEEPS9_SG_NS0_5tupleIJPjSI_NS0_16reverse_iteratorISI_EEEEENSH_IJSG_SG_SG_EEES9_SI_JZNS1_25segmented_radix_sort_implINS0_14default_configELb0EPKlPlSQ_SR_N2at6native12_GLOBAL__N_18offset_tEEE10hipError_tPvRmT1_PNSt15iterator_traitsISZ_E10value_typeET2_T3_PNS10_IS15_E10value_typeET4_jRbjT5_S1B_jjP12ihipStream_tbEUljE_ZNSN_ISO_Lb0ESQ_SR_SQ_SR_SV_EESW_SX_SY_SZ_S13_S14_S15_S18_S19_jS1A_jS1B_S1B_jjS1D_bEUljE0_EEESW_SX_SY_S15_S19_S1B_T6_T7_T9_mT8_S1D_bDpT10_ENKUlT_T0_E_clISt17integral_constantIbLb0EES1R_EEDaS1M_S1N_EUlS1M_E_NS1_11comp_targetILNS1_3genE3ELNS1_11target_archE908ELNS1_3gpuE7ELNS1_3repE0EEENS1_30default_config_static_selectorELNS0_4arch9wavefront6targetE0EEEvSZ_, .Lfunc_end746-_ZN7rocprim17ROCPRIM_400000_NS6detail17trampoline_kernelINS0_13select_configILj256ELj13ELNS0_17block_load_methodE3ELS4_3ELS4_3ELNS0_20block_scan_algorithmE0ELj4294967295EEENS1_25partition_config_selectorILNS1_17partition_subalgoE4EjNS0_10empty_typeEbEEZZNS1_14partition_implILS8_4ELb0ES6_15HIP_vector_typeIjLj2EENS0_17counting_iteratorIjlEEPS9_SG_NS0_5tupleIJPjSI_NS0_16reverse_iteratorISI_EEEEENSH_IJSG_SG_SG_EEES9_SI_JZNS1_25segmented_radix_sort_implINS0_14default_configELb0EPKlPlSQ_SR_N2at6native12_GLOBAL__N_18offset_tEEE10hipError_tPvRmT1_PNSt15iterator_traitsISZ_E10value_typeET2_T3_PNS10_IS15_E10value_typeET4_jRbjT5_S1B_jjP12ihipStream_tbEUljE_ZNSN_ISO_Lb0ESQ_SR_SQ_SR_SV_EESW_SX_SY_SZ_S13_S14_S15_S18_S19_jS1A_jS1B_S1B_jjS1D_bEUljE0_EEESW_SX_SY_S15_S19_S1B_T6_T7_T9_mT8_S1D_bDpT10_ENKUlT_T0_E_clISt17integral_constantIbLb0EES1R_EEDaS1M_S1N_EUlS1M_E_NS1_11comp_targetILNS1_3genE3ELNS1_11target_archE908ELNS1_3gpuE7ELNS1_3repE0EEENS1_30default_config_static_selectorELNS0_4arch9wavefront6targetE0EEEvSZ_
                                        ; -- End function
	.set _ZN7rocprim17ROCPRIM_400000_NS6detail17trampoline_kernelINS0_13select_configILj256ELj13ELNS0_17block_load_methodE3ELS4_3ELS4_3ELNS0_20block_scan_algorithmE0ELj4294967295EEENS1_25partition_config_selectorILNS1_17partition_subalgoE4EjNS0_10empty_typeEbEEZZNS1_14partition_implILS8_4ELb0ES6_15HIP_vector_typeIjLj2EENS0_17counting_iteratorIjlEEPS9_SG_NS0_5tupleIJPjSI_NS0_16reverse_iteratorISI_EEEEENSH_IJSG_SG_SG_EEES9_SI_JZNS1_25segmented_radix_sort_implINS0_14default_configELb0EPKlPlSQ_SR_N2at6native12_GLOBAL__N_18offset_tEEE10hipError_tPvRmT1_PNSt15iterator_traitsISZ_E10value_typeET2_T3_PNS10_IS15_E10value_typeET4_jRbjT5_S1B_jjP12ihipStream_tbEUljE_ZNSN_ISO_Lb0ESQ_SR_SQ_SR_SV_EESW_SX_SY_SZ_S13_S14_S15_S18_S19_jS1A_jS1B_S1B_jjS1D_bEUljE0_EEESW_SX_SY_S15_S19_S1B_T6_T7_T9_mT8_S1D_bDpT10_ENKUlT_T0_E_clISt17integral_constantIbLb0EES1R_EEDaS1M_S1N_EUlS1M_E_NS1_11comp_targetILNS1_3genE3ELNS1_11target_archE908ELNS1_3gpuE7ELNS1_3repE0EEENS1_30default_config_static_selectorELNS0_4arch9wavefront6targetE0EEEvSZ_.num_vgpr, 0
	.set _ZN7rocprim17ROCPRIM_400000_NS6detail17trampoline_kernelINS0_13select_configILj256ELj13ELNS0_17block_load_methodE3ELS4_3ELS4_3ELNS0_20block_scan_algorithmE0ELj4294967295EEENS1_25partition_config_selectorILNS1_17partition_subalgoE4EjNS0_10empty_typeEbEEZZNS1_14partition_implILS8_4ELb0ES6_15HIP_vector_typeIjLj2EENS0_17counting_iteratorIjlEEPS9_SG_NS0_5tupleIJPjSI_NS0_16reverse_iteratorISI_EEEEENSH_IJSG_SG_SG_EEES9_SI_JZNS1_25segmented_radix_sort_implINS0_14default_configELb0EPKlPlSQ_SR_N2at6native12_GLOBAL__N_18offset_tEEE10hipError_tPvRmT1_PNSt15iterator_traitsISZ_E10value_typeET2_T3_PNS10_IS15_E10value_typeET4_jRbjT5_S1B_jjP12ihipStream_tbEUljE_ZNSN_ISO_Lb0ESQ_SR_SQ_SR_SV_EESW_SX_SY_SZ_S13_S14_S15_S18_S19_jS1A_jS1B_S1B_jjS1D_bEUljE0_EEESW_SX_SY_S15_S19_S1B_T6_T7_T9_mT8_S1D_bDpT10_ENKUlT_T0_E_clISt17integral_constantIbLb0EES1R_EEDaS1M_S1N_EUlS1M_E_NS1_11comp_targetILNS1_3genE3ELNS1_11target_archE908ELNS1_3gpuE7ELNS1_3repE0EEENS1_30default_config_static_selectorELNS0_4arch9wavefront6targetE0EEEvSZ_.num_agpr, 0
	.set _ZN7rocprim17ROCPRIM_400000_NS6detail17trampoline_kernelINS0_13select_configILj256ELj13ELNS0_17block_load_methodE3ELS4_3ELS4_3ELNS0_20block_scan_algorithmE0ELj4294967295EEENS1_25partition_config_selectorILNS1_17partition_subalgoE4EjNS0_10empty_typeEbEEZZNS1_14partition_implILS8_4ELb0ES6_15HIP_vector_typeIjLj2EENS0_17counting_iteratorIjlEEPS9_SG_NS0_5tupleIJPjSI_NS0_16reverse_iteratorISI_EEEEENSH_IJSG_SG_SG_EEES9_SI_JZNS1_25segmented_radix_sort_implINS0_14default_configELb0EPKlPlSQ_SR_N2at6native12_GLOBAL__N_18offset_tEEE10hipError_tPvRmT1_PNSt15iterator_traitsISZ_E10value_typeET2_T3_PNS10_IS15_E10value_typeET4_jRbjT5_S1B_jjP12ihipStream_tbEUljE_ZNSN_ISO_Lb0ESQ_SR_SQ_SR_SV_EESW_SX_SY_SZ_S13_S14_S15_S18_S19_jS1A_jS1B_S1B_jjS1D_bEUljE0_EEESW_SX_SY_S15_S19_S1B_T6_T7_T9_mT8_S1D_bDpT10_ENKUlT_T0_E_clISt17integral_constantIbLb0EES1R_EEDaS1M_S1N_EUlS1M_E_NS1_11comp_targetILNS1_3genE3ELNS1_11target_archE908ELNS1_3gpuE7ELNS1_3repE0EEENS1_30default_config_static_selectorELNS0_4arch9wavefront6targetE0EEEvSZ_.numbered_sgpr, 0
	.set _ZN7rocprim17ROCPRIM_400000_NS6detail17trampoline_kernelINS0_13select_configILj256ELj13ELNS0_17block_load_methodE3ELS4_3ELS4_3ELNS0_20block_scan_algorithmE0ELj4294967295EEENS1_25partition_config_selectorILNS1_17partition_subalgoE4EjNS0_10empty_typeEbEEZZNS1_14partition_implILS8_4ELb0ES6_15HIP_vector_typeIjLj2EENS0_17counting_iteratorIjlEEPS9_SG_NS0_5tupleIJPjSI_NS0_16reverse_iteratorISI_EEEEENSH_IJSG_SG_SG_EEES9_SI_JZNS1_25segmented_radix_sort_implINS0_14default_configELb0EPKlPlSQ_SR_N2at6native12_GLOBAL__N_18offset_tEEE10hipError_tPvRmT1_PNSt15iterator_traitsISZ_E10value_typeET2_T3_PNS10_IS15_E10value_typeET4_jRbjT5_S1B_jjP12ihipStream_tbEUljE_ZNSN_ISO_Lb0ESQ_SR_SQ_SR_SV_EESW_SX_SY_SZ_S13_S14_S15_S18_S19_jS1A_jS1B_S1B_jjS1D_bEUljE0_EEESW_SX_SY_S15_S19_S1B_T6_T7_T9_mT8_S1D_bDpT10_ENKUlT_T0_E_clISt17integral_constantIbLb0EES1R_EEDaS1M_S1N_EUlS1M_E_NS1_11comp_targetILNS1_3genE3ELNS1_11target_archE908ELNS1_3gpuE7ELNS1_3repE0EEENS1_30default_config_static_selectorELNS0_4arch9wavefront6targetE0EEEvSZ_.num_named_barrier, 0
	.set _ZN7rocprim17ROCPRIM_400000_NS6detail17trampoline_kernelINS0_13select_configILj256ELj13ELNS0_17block_load_methodE3ELS4_3ELS4_3ELNS0_20block_scan_algorithmE0ELj4294967295EEENS1_25partition_config_selectorILNS1_17partition_subalgoE4EjNS0_10empty_typeEbEEZZNS1_14partition_implILS8_4ELb0ES6_15HIP_vector_typeIjLj2EENS0_17counting_iteratorIjlEEPS9_SG_NS0_5tupleIJPjSI_NS0_16reverse_iteratorISI_EEEEENSH_IJSG_SG_SG_EEES9_SI_JZNS1_25segmented_radix_sort_implINS0_14default_configELb0EPKlPlSQ_SR_N2at6native12_GLOBAL__N_18offset_tEEE10hipError_tPvRmT1_PNSt15iterator_traitsISZ_E10value_typeET2_T3_PNS10_IS15_E10value_typeET4_jRbjT5_S1B_jjP12ihipStream_tbEUljE_ZNSN_ISO_Lb0ESQ_SR_SQ_SR_SV_EESW_SX_SY_SZ_S13_S14_S15_S18_S19_jS1A_jS1B_S1B_jjS1D_bEUljE0_EEESW_SX_SY_S15_S19_S1B_T6_T7_T9_mT8_S1D_bDpT10_ENKUlT_T0_E_clISt17integral_constantIbLb0EES1R_EEDaS1M_S1N_EUlS1M_E_NS1_11comp_targetILNS1_3genE3ELNS1_11target_archE908ELNS1_3gpuE7ELNS1_3repE0EEENS1_30default_config_static_selectorELNS0_4arch9wavefront6targetE0EEEvSZ_.private_seg_size, 0
	.set _ZN7rocprim17ROCPRIM_400000_NS6detail17trampoline_kernelINS0_13select_configILj256ELj13ELNS0_17block_load_methodE3ELS4_3ELS4_3ELNS0_20block_scan_algorithmE0ELj4294967295EEENS1_25partition_config_selectorILNS1_17partition_subalgoE4EjNS0_10empty_typeEbEEZZNS1_14partition_implILS8_4ELb0ES6_15HIP_vector_typeIjLj2EENS0_17counting_iteratorIjlEEPS9_SG_NS0_5tupleIJPjSI_NS0_16reverse_iteratorISI_EEEEENSH_IJSG_SG_SG_EEES9_SI_JZNS1_25segmented_radix_sort_implINS0_14default_configELb0EPKlPlSQ_SR_N2at6native12_GLOBAL__N_18offset_tEEE10hipError_tPvRmT1_PNSt15iterator_traitsISZ_E10value_typeET2_T3_PNS10_IS15_E10value_typeET4_jRbjT5_S1B_jjP12ihipStream_tbEUljE_ZNSN_ISO_Lb0ESQ_SR_SQ_SR_SV_EESW_SX_SY_SZ_S13_S14_S15_S18_S19_jS1A_jS1B_S1B_jjS1D_bEUljE0_EEESW_SX_SY_S15_S19_S1B_T6_T7_T9_mT8_S1D_bDpT10_ENKUlT_T0_E_clISt17integral_constantIbLb0EES1R_EEDaS1M_S1N_EUlS1M_E_NS1_11comp_targetILNS1_3genE3ELNS1_11target_archE908ELNS1_3gpuE7ELNS1_3repE0EEENS1_30default_config_static_selectorELNS0_4arch9wavefront6targetE0EEEvSZ_.uses_vcc, 0
	.set _ZN7rocprim17ROCPRIM_400000_NS6detail17trampoline_kernelINS0_13select_configILj256ELj13ELNS0_17block_load_methodE3ELS4_3ELS4_3ELNS0_20block_scan_algorithmE0ELj4294967295EEENS1_25partition_config_selectorILNS1_17partition_subalgoE4EjNS0_10empty_typeEbEEZZNS1_14partition_implILS8_4ELb0ES6_15HIP_vector_typeIjLj2EENS0_17counting_iteratorIjlEEPS9_SG_NS0_5tupleIJPjSI_NS0_16reverse_iteratorISI_EEEEENSH_IJSG_SG_SG_EEES9_SI_JZNS1_25segmented_radix_sort_implINS0_14default_configELb0EPKlPlSQ_SR_N2at6native12_GLOBAL__N_18offset_tEEE10hipError_tPvRmT1_PNSt15iterator_traitsISZ_E10value_typeET2_T3_PNS10_IS15_E10value_typeET4_jRbjT5_S1B_jjP12ihipStream_tbEUljE_ZNSN_ISO_Lb0ESQ_SR_SQ_SR_SV_EESW_SX_SY_SZ_S13_S14_S15_S18_S19_jS1A_jS1B_S1B_jjS1D_bEUljE0_EEESW_SX_SY_S15_S19_S1B_T6_T7_T9_mT8_S1D_bDpT10_ENKUlT_T0_E_clISt17integral_constantIbLb0EES1R_EEDaS1M_S1N_EUlS1M_E_NS1_11comp_targetILNS1_3genE3ELNS1_11target_archE908ELNS1_3gpuE7ELNS1_3repE0EEENS1_30default_config_static_selectorELNS0_4arch9wavefront6targetE0EEEvSZ_.uses_flat_scratch, 0
	.set _ZN7rocprim17ROCPRIM_400000_NS6detail17trampoline_kernelINS0_13select_configILj256ELj13ELNS0_17block_load_methodE3ELS4_3ELS4_3ELNS0_20block_scan_algorithmE0ELj4294967295EEENS1_25partition_config_selectorILNS1_17partition_subalgoE4EjNS0_10empty_typeEbEEZZNS1_14partition_implILS8_4ELb0ES6_15HIP_vector_typeIjLj2EENS0_17counting_iteratorIjlEEPS9_SG_NS0_5tupleIJPjSI_NS0_16reverse_iteratorISI_EEEEENSH_IJSG_SG_SG_EEES9_SI_JZNS1_25segmented_radix_sort_implINS0_14default_configELb0EPKlPlSQ_SR_N2at6native12_GLOBAL__N_18offset_tEEE10hipError_tPvRmT1_PNSt15iterator_traitsISZ_E10value_typeET2_T3_PNS10_IS15_E10value_typeET4_jRbjT5_S1B_jjP12ihipStream_tbEUljE_ZNSN_ISO_Lb0ESQ_SR_SQ_SR_SV_EESW_SX_SY_SZ_S13_S14_S15_S18_S19_jS1A_jS1B_S1B_jjS1D_bEUljE0_EEESW_SX_SY_S15_S19_S1B_T6_T7_T9_mT8_S1D_bDpT10_ENKUlT_T0_E_clISt17integral_constantIbLb0EES1R_EEDaS1M_S1N_EUlS1M_E_NS1_11comp_targetILNS1_3genE3ELNS1_11target_archE908ELNS1_3gpuE7ELNS1_3repE0EEENS1_30default_config_static_selectorELNS0_4arch9wavefront6targetE0EEEvSZ_.has_dyn_sized_stack, 0
	.set _ZN7rocprim17ROCPRIM_400000_NS6detail17trampoline_kernelINS0_13select_configILj256ELj13ELNS0_17block_load_methodE3ELS4_3ELS4_3ELNS0_20block_scan_algorithmE0ELj4294967295EEENS1_25partition_config_selectorILNS1_17partition_subalgoE4EjNS0_10empty_typeEbEEZZNS1_14partition_implILS8_4ELb0ES6_15HIP_vector_typeIjLj2EENS0_17counting_iteratorIjlEEPS9_SG_NS0_5tupleIJPjSI_NS0_16reverse_iteratorISI_EEEEENSH_IJSG_SG_SG_EEES9_SI_JZNS1_25segmented_radix_sort_implINS0_14default_configELb0EPKlPlSQ_SR_N2at6native12_GLOBAL__N_18offset_tEEE10hipError_tPvRmT1_PNSt15iterator_traitsISZ_E10value_typeET2_T3_PNS10_IS15_E10value_typeET4_jRbjT5_S1B_jjP12ihipStream_tbEUljE_ZNSN_ISO_Lb0ESQ_SR_SQ_SR_SV_EESW_SX_SY_SZ_S13_S14_S15_S18_S19_jS1A_jS1B_S1B_jjS1D_bEUljE0_EEESW_SX_SY_S15_S19_S1B_T6_T7_T9_mT8_S1D_bDpT10_ENKUlT_T0_E_clISt17integral_constantIbLb0EES1R_EEDaS1M_S1N_EUlS1M_E_NS1_11comp_targetILNS1_3genE3ELNS1_11target_archE908ELNS1_3gpuE7ELNS1_3repE0EEENS1_30default_config_static_selectorELNS0_4arch9wavefront6targetE0EEEvSZ_.has_recursion, 0
	.set _ZN7rocprim17ROCPRIM_400000_NS6detail17trampoline_kernelINS0_13select_configILj256ELj13ELNS0_17block_load_methodE3ELS4_3ELS4_3ELNS0_20block_scan_algorithmE0ELj4294967295EEENS1_25partition_config_selectorILNS1_17partition_subalgoE4EjNS0_10empty_typeEbEEZZNS1_14partition_implILS8_4ELb0ES6_15HIP_vector_typeIjLj2EENS0_17counting_iteratorIjlEEPS9_SG_NS0_5tupleIJPjSI_NS0_16reverse_iteratorISI_EEEEENSH_IJSG_SG_SG_EEES9_SI_JZNS1_25segmented_radix_sort_implINS0_14default_configELb0EPKlPlSQ_SR_N2at6native12_GLOBAL__N_18offset_tEEE10hipError_tPvRmT1_PNSt15iterator_traitsISZ_E10value_typeET2_T3_PNS10_IS15_E10value_typeET4_jRbjT5_S1B_jjP12ihipStream_tbEUljE_ZNSN_ISO_Lb0ESQ_SR_SQ_SR_SV_EESW_SX_SY_SZ_S13_S14_S15_S18_S19_jS1A_jS1B_S1B_jjS1D_bEUljE0_EEESW_SX_SY_S15_S19_S1B_T6_T7_T9_mT8_S1D_bDpT10_ENKUlT_T0_E_clISt17integral_constantIbLb0EES1R_EEDaS1M_S1N_EUlS1M_E_NS1_11comp_targetILNS1_3genE3ELNS1_11target_archE908ELNS1_3gpuE7ELNS1_3repE0EEENS1_30default_config_static_selectorELNS0_4arch9wavefront6targetE0EEEvSZ_.has_indirect_call, 0
	.section	.AMDGPU.csdata,"",@progbits
; Kernel info:
; codeLenInByte = 0
; TotalNumSgprs: 0
; NumVgprs: 0
; ScratchSize: 0
; MemoryBound: 0
; FloatMode: 240
; IeeeMode: 1
; LDSByteSize: 0 bytes/workgroup (compile time only)
; SGPRBlocks: 0
; VGPRBlocks: 0
; NumSGPRsForWavesPerEU: 1
; NumVGPRsForWavesPerEU: 1
; Occupancy: 16
; WaveLimiterHint : 0
; COMPUTE_PGM_RSRC2:SCRATCH_EN: 0
; COMPUTE_PGM_RSRC2:USER_SGPR: 2
; COMPUTE_PGM_RSRC2:TRAP_HANDLER: 0
; COMPUTE_PGM_RSRC2:TGID_X_EN: 1
; COMPUTE_PGM_RSRC2:TGID_Y_EN: 0
; COMPUTE_PGM_RSRC2:TGID_Z_EN: 0
; COMPUTE_PGM_RSRC2:TIDIG_COMP_CNT: 0
	.section	.text._ZN7rocprim17ROCPRIM_400000_NS6detail17trampoline_kernelINS0_13select_configILj256ELj13ELNS0_17block_load_methodE3ELS4_3ELS4_3ELNS0_20block_scan_algorithmE0ELj4294967295EEENS1_25partition_config_selectorILNS1_17partition_subalgoE4EjNS0_10empty_typeEbEEZZNS1_14partition_implILS8_4ELb0ES6_15HIP_vector_typeIjLj2EENS0_17counting_iteratorIjlEEPS9_SG_NS0_5tupleIJPjSI_NS0_16reverse_iteratorISI_EEEEENSH_IJSG_SG_SG_EEES9_SI_JZNS1_25segmented_radix_sort_implINS0_14default_configELb0EPKlPlSQ_SR_N2at6native12_GLOBAL__N_18offset_tEEE10hipError_tPvRmT1_PNSt15iterator_traitsISZ_E10value_typeET2_T3_PNS10_IS15_E10value_typeET4_jRbjT5_S1B_jjP12ihipStream_tbEUljE_ZNSN_ISO_Lb0ESQ_SR_SQ_SR_SV_EESW_SX_SY_SZ_S13_S14_S15_S18_S19_jS1A_jS1B_S1B_jjS1D_bEUljE0_EEESW_SX_SY_S15_S19_S1B_T6_T7_T9_mT8_S1D_bDpT10_ENKUlT_T0_E_clISt17integral_constantIbLb0EES1R_EEDaS1M_S1N_EUlS1M_E_NS1_11comp_targetILNS1_3genE2ELNS1_11target_archE906ELNS1_3gpuE6ELNS1_3repE0EEENS1_30default_config_static_selectorELNS0_4arch9wavefront6targetE0EEEvSZ_,"axG",@progbits,_ZN7rocprim17ROCPRIM_400000_NS6detail17trampoline_kernelINS0_13select_configILj256ELj13ELNS0_17block_load_methodE3ELS4_3ELS4_3ELNS0_20block_scan_algorithmE0ELj4294967295EEENS1_25partition_config_selectorILNS1_17partition_subalgoE4EjNS0_10empty_typeEbEEZZNS1_14partition_implILS8_4ELb0ES6_15HIP_vector_typeIjLj2EENS0_17counting_iteratorIjlEEPS9_SG_NS0_5tupleIJPjSI_NS0_16reverse_iteratorISI_EEEEENSH_IJSG_SG_SG_EEES9_SI_JZNS1_25segmented_radix_sort_implINS0_14default_configELb0EPKlPlSQ_SR_N2at6native12_GLOBAL__N_18offset_tEEE10hipError_tPvRmT1_PNSt15iterator_traitsISZ_E10value_typeET2_T3_PNS10_IS15_E10value_typeET4_jRbjT5_S1B_jjP12ihipStream_tbEUljE_ZNSN_ISO_Lb0ESQ_SR_SQ_SR_SV_EESW_SX_SY_SZ_S13_S14_S15_S18_S19_jS1A_jS1B_S1B_jjS1D_bEUljE0_EEESW_SX_SY_S15_S19_S1B_T6_T7_T9_mT8_S1D_bDpT10_ENKUlT_T0_E_clISt17integral_constantIbLb0EES1R_EEDaS1M_S1N_EUlS1M_E_NS1_11comp_targetILNS1_3genE2ELNS1_11target_archE906ELNS1_3gpuE6ELNS1_3repE0EEENS1_30default_config_static_selectorELNS0_4arch9wavefront6targetE0EEEvSZ_,comdat
	.globl	_ZN7rocprim17ROCPRIM_400000_NS6detail17trampoline_kernelINS0_13select_configILj256ELj13ELNS0_17block_load_methodE3ELS4_3ELS4_3ELNS0_20block_scan_algorithmE0ELj4294967295EEENS1_25partition_config_selectorILNS1_17partition_subalgoE4EjNS0_10empty_typeEbEEZZNS1_14partition_implILS8_4ELb0ES6_15HIP_vector_typeIjLj2EENS0_17counting_iteratorIjlEEPS9_SG_NS0_5tupleIJPjSI_NS0_16reverse_iteratorISI_EEEEENSH_IJSG_SG_SG_EEES9_SI_JZNS1_25segmented_radix_sort_implINS0_14default_configELb0EPKlPlSQ_SR_N2at6native12_GLOBAL__N_18offset_tEEE10hipError_tPvRmT1_PNSt15iterator_traitsISZ_E10value_typeET2_T3_PNS10_IS15_E10value_typeET4_jRbjT5_S1B_jjP12ihipStream_tbEUljE_ZNSN_ISO_Lb0ESQ_SR_SQ_SR_SV_EESW_SX_SY_SZ_S13_S14_S15_S18_S19_jS1A_jS1B_S1B_jjS1D_bEUljE0_EEESW_SX_SY_S15_S19_S1B_T6_T7_T9_mT8_S1D_bDpT10_ENKUlT_T0_E_clISt17integral_constantIbLb0EES1R_EEDaS1M_S1N_EUlS1M_E_NS1_11comp_targetILNS1_3genE2ELNS1_11target_archE906ELNS1_3gpuE6ELNS1_3repE0EEENS1_30default_config_static_selectorELNS0_4arch9wavefront6targetE0EEEvSZ_ ; -- Begin function _ZN7rocprim17ROCPRIM_400000_NS6detail17trampoline_kernelINS0_13select_configILj256ELj13ELNS0_17block_load_methodE3ELS4_3ELS4_3ELNS0_20block_scan_algorithmE0ELj4294967295EEENS1_25partition_config_selectorILNS1_17partition_subalgoE4EjNS0_10empty_typeEbEEZZNS1_14partition_implILS8_4ELb0ES6_15HIP_vector_typeIjLj2EENS0_17counting_iteratorIjlEEPS9_SG_NS0_5tupleIJPjSI_NS0_16reverse_iteratorISI_EEEEENSH_IJSG_SG_SG_EEES9_SI_JZNS1_25segmented_radix_sort_implINS0_14default_configELb0EPKlPlSQ_SR_N2at6native12_GLOBAL__N_18offset_tEEE10hipError_tPvRmT1_PNSt15iterator_traitsISZ_E10value_typeET2_T3_PNS10_IS15_E10value_typeET4_jRbjT5_S1B_jjP12ihipStream_tbEUljE_ZNSN_ISO_Lb0ESQ_SR_SQ_SR_SV_EESW_SX_SY_SZ_S13_S14_S15_S18_S19_jS1A_jS1B_S1B_jjS1D_bEUljE0_EEESW_SX_SY_S15_S19_S1B_T6_T7_T9_mT8_S1D_bDpT10_ENKUlT_T0_E_clISt17integral_constantIbLb0EES1R_EEDaS1M_S1N_EUlS1M_E_NS1_11comp_targetILNS1_3genE2ELNS1_11target_archE906ELNS1_3gpuE6ELNS1_3repE0EEENS1_30default_config_static_selectorELNS0_4arch9wavefront6targetE0EEEvSZ_
	.p2align	8
	.type	_ZN7rocprim17ROCPRIM_400000_NS6detail17trampoline_kernelINS0_13select_configILj256ELj13ELNS0_17block_load_methodE3ELS4_3ELS4_3ELNS0_20block_scan_algorithmE0ELj4294967295EEENS1_25partition_config_selectorILNS1_17partition_subalgoE4EjNS0_10empty_typeEbEEZZNS1_14partition_implILS8_4ELb0ES6_15HIP_vector_typeIjLj2EENS0_17counting_iteratorIjlEEPS9_SG_NS0_5tupleIJPjSI_NS0_16reverse_iteratorISI_EEEEENSH_IJSG_SG_SG_EEES9_SI_JZNS1_25segmented_radix_sort_implINS0_14default_configELb0EPKlPlSQ_SR_N2at6native12_GLOBAL__N_18offset_tEEE10hipError_tPvRmT1_PNSt15iterator_traitsISZ_E10value_typeET2_T3_PNS10_IS15_E10value_typeET4_jRbjT5_S1B_jjP12ihipStream_tbEUljE_ZNSN_ISO_Lb0ESQ_SR_SQ_SR_SV_EESW_SX_SY_SZ_S13_S14_S15_S18_S19_jS1A_jS1B_S1B_jjS1D_bEUljE0_EEESW_SX_SY_S15_S19_S1B_T6_T7_T9_mT8_S1D_bDpT10_ENKUlT_T0_E_clISt17integral_constantIbLb0EES1R_EEDaS1M_S1N_EUlS1M_E_NS1_11comp_targetILNS1_3genE2ELNS1_11target_archE906ELNS1_3gpuE6ELNS1_3repE0EEENS1_30default_config_static_selectorELNS0_4arch9wavefront6targetE0EEEvSZ_,@function
_ZN7rocprim17ROCPRIM_400000_NS6detail17trampoline_kernelINS0_13select_configILj256ELj13ELNS0_17block_load_methodE3ELS4_3ELS4_3ELNS0_20block_scan_algorithmE0ELj4294967295EEENS1_25partition_config_selectorILNS1_17partition_subalgoE4EjNS0_10empty_typeEbEEZZNS1_14partition_implILS8_4ELb0ES6_15HIP_vector_typeIjLj2EENS0_17counting_iteratorIjlEEPS9_SG_NS0_5tupleIJPjSI_NS0_16reverse_iteratorISI_EEEEENSH_IJSG_SG_SG_EEES9_SI_JZNS1_25segmented_radix_sort_implINS0_14default_configELb0EPKlPlSQ_SR_N2at6native12_GLOBAL__N_18offset_tEEE10hipError_tPvRmT1_PNSt15iterator_traitsISZ_E10value_typeET2_T3_PNS10_IS15_E10value_typeET4_jRbjT5_S1B_jjP12ihipStream_tbEUljE_ZNSN_ISO_Lb0ESQ_SR_SQ_SR_SV_EESW_SX_SY_SZ_S13_S14_S15_S18_S19_jS1A_jS1B_S1B_jjS1D_bEUljE0_EEESW_SX_SY_S15_S19_S1B_T6_T7_T9_mT8_S1D_bDpT10_ENKUlT_T0_E_clISt17integral_constantIbLb0EES1R_EEDaS1M_S1N_EUlS1M_E_NS1_11comp_targetILNS1_3genE2ELNS1_11target_archE906ELNS1_3gpuE6ELNS1_3repE0EEENS1_30default_config_static_selectorELNS0_4arch9wavefront6targetE0EEEvSZ_: ; @_ZN7rocprim17ROCPRIM_400000_NS6detail17trampoline_kernelINS0_13select_configILj256ELj13ELNS0_17block_load_methodE3ELS4_3ELS4_3ELNS0_20block_scan_algorithmE0ELj4294967295EEENS1_25partition_config_selectorILNS1_17partition_subalgoE4EjNS0_10empty_typeEbEEZZNS1_14partition_implILS8_4ELb0ES6_15HIP_vector_typeIjLj2EENS0_17counting_iteratorIjlEEPS9_SG_NS0_5tupleIJPjSI_NS0_16reverse_iteratorISI_EEEEENSH_IJSG_SG_SG_EEES9_SI_JZNS1_25segmented_radix_sort_implINS0_14default_configELb0EPKlPlSQ_SR_N2at6native12_GLOBAL__N_18offset_tEEE10hipError_tPvRmT1_PNSt15iterator_traitsISZ_E10value_typeET2_T3_PNS10_IS15_E10value_typeET4_jRbjT5_S1B_jjP12ihipStream_tbEUljE_ZNSN_ISO_Lb0ESQ_SR_SQ_SR_SV_EESW_SX_SY_SZ_S13_S14_S15_S18_S19_jS1A_jS1B_S1B_jjS1D_bEUljE0_EEESW_SX_SY_S15_S19_S1B_T6_T7_T9_mT8_S1D_bDpT10_ENKUlT_T0_E_clISt17integral_constantIbLb0EES1R_EEDaS1M_S1N_EUlS1M_E_NS1_11comp_targetILNS1_3genE2ELNS1_11target_archE906ELNS1_3gpuE6ELNS1_3repE0EEENS1_30default_config_static_selectorELNS0_4arch9wavefront6targetE0EEEvSZ_
; %bb.0:
	.section	.rodata,"a",@progbits
	.p2align	6, 0x0
	.amdhsa_kernel _ZN7rocprim17ROCPRIM_400000_NS6detail17trampoline_kernelINS0_13select_configILj256ELj13ELNS0_17block_load_methodE3ELS4_3ELS4_3ELNS0_20block_scan_algorithmE0ELj4294967295EEENS1_25partition_config_selectorILNS1_17partition_subalgoE4EjNS0_10empty_typeEbEEZZNS1_14partition_implILS8_4ELb0ES6_15HIP_vector_typeIjLj2EENS0_17counting_iteratorIjlEEPS9_SG_NS0_5tupleIJPjSI_NS0_16reverse_iteratorISI_EEEEENSH_IJSG_SG_SG_EEES9_SI_JZNS1_25segmented_radix_sort_implINS0_14default_configELb0EPKlPlSQ_SR_N2at6native12_GLOBAL__N_18offset_tEEE10hipError_tPvRmT1_PNSt15iterator_traitsISZ_E10value_typeET2_T3_PNS10_IS15_E10value_typeET4_jRbjT5_S1B_jjP12ihipStream_tbEUljE_ZNSN_ISO_Lb0ESQ_SR_SQ_SR_SV_EESW_SX_SY_SZ_S13_S14_S15_S18_S19_jS1A_jS1B_S1B_jjS1D_bEUljE0_EEESW_SX_SY_S15_S19_S1B_T6_T7_T9_mT8_S1D_bDpT10_ENKUlT_T0_E_clISt17integral_constantIbLb0EES1R_EEDaS1M_S1N_EUlS1M_E_NS1_11comp_targetILNS1_3genE2ELNS1_11target_archE906ELNS1_3gpuE6ELNS1_3repE0EEENS1_30default_config_static_selectorELNS0_4arch9wavefront6targetE0EEEvSZ_
		.amdhsa_group_segment_fixed_size 0
		.amdhsa_private_segment_fixed_size 0
		.amdhsa_kernarg_size 176
		.amdhsa_user_sgpr_count 2
		.amdhsa_user_sgpr_dispatch_ptr 0
		.amdhsa_user_sgpr_queue_ptr 0
		.amdhsa_user_sgpr_kernarg_segment_ptr 1
		.amdhsa_user_sgpr_dispatch_id 0
		.amdhsa_user_sgpr_private_segment_size 0
		.amdhsa_wavefront_size32 1
		.amdhsa_uses_dynamic_stack 0
		.amdhsa_enable_private_segment 0
		.amdhsa_system_sgpr_workgroup_id_x 1
		.amdhsa_system_sgpr_workgroup_id_y 0
		.amdhsa_system_sgpr_workgroup_id_z 0
		.amdhsa_system_sgpr_workgroup_info 0
		.amdhsa_system_vgpr_workitem_id 0
		.amdhsa_next_free_vgpr 1
		.amdhsa_next_free_sgpr 1
		.amdhsa_reserve_vcc 0
		.amdhsa_float_round_mode_32 0
		.amdhsa_float_round_mode_16_64 0
		.amdhsa_float_denorm_mode_32 3
		.amdhsa_float_denorm_mode_16_64 3
		.amdhsa_fp16_overflow 0
		.amdhsa_workgroup_processor_mode 1
		.amdhsa_memory_ordered 1
		.amdhsa_forward_progress 1
		.amdhsa_inst_pref_size 0
		.amdhsa_round_robin_scheduling 0
		.amdhsa_exception_fp_ieee_invalid_op 0
		.amdhsa_exception_fp_denorm_src 0
		.amdhsa_exception_fp_ieee_div_zero 0
		.amdhsa_exception_fp_ieee_overflow 0
		.amdhsa_exception_fp_ieee_underflow 0
		.amdhsa_exception_fp_ieee_inexact 0
		.amdhsa_exception_int_div_zero 0
	.end_amdhsa_kernel
	.section	.text._ZN7rocprim17ROCPRIM_400000_NS6detail17trampoline_kernelINS0_13select_configILj256ELj13ELNS0_17block_load_methodE3ELS4_3ELS4_3ELNS0_20block_scan_algorithmE0ELj4294967295EEENS1_25partition_config_selectorILNS1_17partition_subalgoE4EjNS0_10empty_typeEbEEZZNS1_14partition_implILS8_4ELb0ES6_15HIP_vector_typeIjLj2EENS0_17counting_iteratorIjlEEPS9_SG_NS0_5tupleIJPjSI_NS0_16reverse_iteratorISI_EEEEENSH_IJSG_SG_SG_EEES9_SI_JZNS1_25segmented_radix_sort_implINS0_14default_configELb0EPKlPlSQ_SR_N2at6native12_GLOBAL__N_18offset_tEEE10hipError_tPvRmT1_PNSt15iterator_traitsISZ_E10value_typeET2_T3_PNS10_IS15_E10value_typeET4_jRbjT5_S1B_jjP12ihipStream_tbEUljE_ZNSN_ISO_Lb0ESQ_SR_SQ_SR_SV_EESW_SX_SY_SZ_S13_S14_S15_S18_S19_jS1A_jS1B_S1B_jjS1D_bEUljE0_EEESW_SX_SY_S15_S19_S1B_T6_T7_T9_mT8_S1D_bDpT10_ENKUlT_T0_E_clISt17integral_constantIbLb0EES1R_EEDaS1M_S1N_EUlS1M_E_NS1_11comp_targetILNS1_3genE2ELNS1_11target_archE906ELNS1_3gpuE6ELNS1_3repE0EEENS1_30default_config_static_selectorELNS0_4arch9wavefront6targetE0EEEvSZ_,"axG",@progbits,_ZN7rocprim17ROCPRIM_400000_NS6detail17trampoline_kernelINS0_13select_configILj256ELj13ELNS0_17block_load_methodE3ELS4_3ELS4_3ELNS0_20block_scan_algorithmE0ELj4294967295EEENS1_25partition_config_selectorILNS1_17partition_subalgoE4EjNS0_10empty_typeEbEEZZNS1_14partition_implILS8_4ELb0ES6_15HIP_vector_typeIjLj2EENS0_17counting_iteratorIjlEEPS9_SG_NS0_5tupleIJPjSI_NS0_16reverse_iteratorISI_EEEEENSH_IJSG_SG_SG_EEES9_SI_JZNS1_25segmented_radix_sort_implINS0_14default_configELb0EPKlPlSQ_SR_N2at6native12_GLOBAL__N_18offset_tEEE10hipError_tPvRmT1_PNSt15iterator_traitsISZ_E10value_typeET2_T3_PNS10_IS15_E10value_typeET4_jRbjT5_S1B_jjP12ihipStream_tbEUljE_ZNSN_ISO_Lb0ESQ_SR_SQ_SR_SV_EESW_SX_SY_SZ_S13_S14_S15_S18_S19_jS1A_jS1B_S1B_jjS1D_bEUljE0_EEESW_SX_SY_S15_S19_S1B_T6_T7_T9_mT8_S1D_bDpT10_ENKUlT_T0_E_clISt17integral_constantIbLb0EES1R_EEDaS1M_S1N_EUlS1M_E_NS1_11comp_targetILNS1_3genE2ELNS1_11target_archE906ELNS1_3gpuE6ELNS1_3repE0EEENS1_30default_config_static_selectorELNS0_4arch9wavefront6targetE0EEEvSZ_,comdat
.Lfunc_end747:
	.size	_ZN7rocprim17ROCPRIM_400000_NS6detail17trampoline_kernelINS0_13select_configILj256ELj13ELNS0_17block_load_methodE3ELS4_3ELS4_3ELNS0_20block_scan_algorithmE0ELj4294967295EEENS1_25partition_config_selectorILNS1_17partition_subalgoE4EjNS0_10empty_typeEbEEZZNS1_14partition_implILS8_4ELb0ES6_15HIP_vector_typeIjLj2EENS0_17counting_iteratorIjlEEPS9_SG_NS0_5tupleIJPjSI_NS0_16reverse_iteratorISI_EEEEENSH_IJSG_SG_SG_EEES9_SI_JZNS1_25segmented_radix_sort_implINS0_14default_configELb0EPKlPlSQ_SR_N2at6native12_GLOBAL__N_18offset_tEEE10hipError_tPvRmT1_PNSt15iterator_traitsISZ_E10value_typeET2_T3_PNS10_IS15_E10value_typeET4_jRbjT5_S1B_jjP12ihipStream_tbEUljE_ZNSN_ISO_Lb0ESQ_SR_SQ_SR_SV_EESW_SX_SY_SZ_S13_S14_S15_S18_S19_jS1A_jS1B_S1B_jjS1D_bEUljE0_EEESW_SX_SY_S15_S19_S1B_T6_T7_T9_mT8_S1D_bDpT10_ENKUlT_T0_E_clISt17integral_constantIbLb0EES1R_EEDaS1M_S1N_EUlS1M_E_NS1_11comp_targetILNS1_3genE2ELNS1_11target_archE906ELNS1_3gpuE6ELNS1_3repE0EEENS1_30default_config_static_selectorELNS0_4arch9wavefront6targetE0EEEvSZ_, .Lfunc_end747-_ZN7rocprim17ROCPRIM_400000_NS6detail17trampoline_kernelINS0_13select_configILj256ELj13ELNS0_17block_load_methodE3ELS4_3ELS4_3ELNS0_20block_scan_algorithmE0ELj4294967295EEENS1_25partition_config_selectorILNS1_17partition_subalgoE4EjNS0_10empty_typeEbEEZZNS1_14partition_implILS8_4ELb0ES6_15HIP_vector_typeIjLj2EENS0_17counting_iteratorIjlEEPS9_SG_NS0_5tupleIJPjSI_NS0_16reverse_iteratorISI_EEEEENSH_IJSG_SG_SG_EEES9_SI_JZNS1_25segmented_radix_sort_implINS0_14default_configELb0EPKlPlSQ_SR_N2at6native12_GLOBAL__N_18offset_tEEE10hipError_tPvRmT1_PNSt15iterator_traitsISZ_E10value_typeET2_T3_PNS10_IS15_E10value_typeET4_jRbjT5_S1B_jjP12ihipStream_tbEUljE_ZNSN_ISO_Lb0ESQ_SR_SQ_SR_SV_EESW_SX_SY_SZ_S13_S14_S15_S18_S19_jS1A_jS1B_S1B_jjS1D_bEUljE0_EEESW_SX_SY_S15_S19_S1B_T6_T7_T9_mT8_S1D_bDpT10_ENKUlT_T0_E_clISt17integral_constantIbLb0EES1R_EEDaS1M_S1N_EUlS1M_E_NS1_11comp_targetILNS1_3genE2ELNS1_11target_archE906ELNS1_3gpuE6ELNS1_3repE0EEENS1_30default_config_static_selectorELNS0_4arch9wavefront6targetE0EEEvSZ_
                                        ; -- End function
	.set _ZN7rocprim17ROCPRIM_400000_NS6detail17trampoline_kernelINS0_13select_configILj256ELj13ELNS0_17block_load_methodE3ELS4_3ELS4_3ELNS0_20block_scan_algorithmE0ELj4294967295EEENS1_25partition_config_selectorILNS1_17partition_subalgoE4EjNS0_10empty_typeEbEEZZNS1_14partition_implILS8_4ELb0ES6_15HIP_vector_typeIjLj2EENS0_17counting_iteratorIjlEEPS9_SG_NS0_5tupleIJPjSI_NS0_16reverse_iteratorISI_EEEEENSH_IJSG_SG_SG_EEES9_SI_JZNS1_25segmented_radix_sort_implINS0_14default_configELb0EPKlPlSQ_SR_N2at6native12_GLOBAL__N_18offset_tEEE10hipError_tPvRmT1_PNSt15iterator_traitsISZ_E10value_typeET2_T3_PNS10_IS15_E10value_typeET4_jRbjT5_S1B_jjP12ihipStream_tbEUljE_ZNSN_ISO_Lb0ESQ_SR_SQ_SR_SV_EESW_SX_SY_SZ_S13_S14_S15_S18_S19_jS1A_jS1B_S1B_jjS1D_bEUljE0_EEESW_SX_SY_S15_S19_S1B_T6_T7_T9_mT8_S1D_bDpT10_ENKUlT_T0_E_clISt17integral_constantIbLb0EES1R_EEDaS1M_S1N_EUlS1M_E_NS1_11comp_targetILNS1_3genE2ELNS1_11target_archE906ELNS1_3gpuE6ELNS1_3repE0EEENS1_30default_config_static_selectorELNS0_4arch9wavefront6targetE0EEEvSZ_.num_vgpr, 0
	.set _ZN7rocprim17ROCPRIM_400000_NS6detail17trampoline_kernelINS0_13select_configILj256ELj13ELNS0_17block_load_methodE3ELS4_3ELS4_3ELNS0_20block_scan_algorithmE0ELj4294967295EEENS1_25partition_config_selectorILNS1_17partition_subalgoE4EjNS0_10empty_typeEbEEZZNS1_14partition_implILS8_4ELb0ES6_15HIP_vector_typeIjLj2EENS0_17counting_iteratorIjlEEPS9_SG_NS0_5tupleIJPjSI_NS0_16reverse_iteratorISI_EEEEENSH_IJSG_SG_SG_EEES9_SI_JZNS1_25segmented_radix_sort_implINS0_14default_configELb0EPKlPlSQ_SR_N2at6native12_GLOBAL__N_18offset_tEEE10hipError_tPvRmT1_PNSt15iterator_traitsISZ_E10value_typeET2_T3_PNS10_IS15_E10value_typeET4_jRbjT5_S1B_jjP12ihipStream_tbEUljE_ZNSN_ISO_Lb0ESQ_SR_SQ_SR_SV_EESW_SX_SY_SZ_S13_S14_S15_S18_S19_jS1A_jS1B_S1B_jjS1D_bEUljE0_EEESW_SX_SY_S15_S19_S1B_T6_T7_T9_mT8_S1D_bDpT10_ENKUlT_T0_E_clISt17integral_constantIbLb0EES1R_EEDaS1M_S1N_EUlS1M_E_NS1_11comp_targetILNS1_3genE2ELNS1_11target_archE906ELNS1_3gpuE6ELNS1_3repE0EEENS1_30default_config_static_selectorELNS0_4arch9wavefront6targetE0EEEvSZ_.num_agpr, 0
	.set _ZN7rocprim17ROCPRIM_400000_NS6detail17trampoline_kernelINS0_13select_configILj256ELj13ELNS0_17block_load_methodE3ELS4_3ELS4_3ELNS0_20block_scan_algorithmE0ELj4294967295EEENS1_25partition_config_selectorILNS1_17partition_subalgoE4EjNS0_10empty_typeEbEEZZNS1_14partition_implILS8_4ELb0ES6_15HIP_vector_typeIjLj2EENS0_17counting_iteratorIjlEEPS9_SG_NS0_5tupleIJPjSI_NS0_16reverse_iteratorISI_EEEEENSH_IJSG_SG_SG_EEES9_SI_JZNS1_25segmented_radix_sort_implINS0_14default_configELb0EPKlPlSQ_SR_N2at6native12_GLOBAL__N_18offset_tEEE10hipError_tPvRmT1_PNSt15iterator_traitsISZ_E10value_typeET2_T3_PNS10_IS15_E10value_typeET4_jRbjT5_S1B_jjP12ihipStream_tbEUljE_ZNSN_ISO_Lb0ESQ_SR_SQ_SR_SV_EESW_SX_SY_SZ_S13_S14_S15_S18_S19_jS1A_jS1B_S1B_jjS1D_bEUljE0_EEESW_SX_SY_S15_S19_S1B_T6_T7_T9_mT8_S1D_bDpT10_ENKUlT_T0_E_clISt17integral_constantIbLb0EES1R_EEDaS1M_S1N_EUlS1M_E_NS1_11comp_targetILNS1_3genE2ELNS1_11target_archE906ELNS1_3gpuE6ELNS1_3repE0EEENS1_30default_config_static_selectorELNS0_4arch9wavefront6targetE0EEEvSZ_.numbered_sgpr, 0
	.set _ZN7rocprim17ROCPRIM_400000_NS6detail17trampoline_kernelINS0_13select_configILj256ELj13ELNS0_17block_load_methodE3ELS4_3ELS4_3ELNS0_20block_scan_algorithmE0ELj4294967295EEENS1_25partition_config_selectorILNS1_17partition_subalgoE4EjNS0_10empty_typeEbEEZZNS1_14partition_implILS8_4ELb0ES6_15HIP_vector_typeIjLj2EENS0_17counting_iteratorIjlEEPS9_SG_NS0_5tupleIJPjSI_NS0_16reverse_iteratorISI_EEEEENSH_IJSG_SG_SG_EEES9_SI_JZNS1_25segmented_radix_sort_implINS0_14default_configELb0EPKlPlSQ_SR_N2at6native12_GLOBAL__N_18offset_tEEE10hipError_tPvRmT1_PNSt15iterator_traitsISZ_E10value_typeET2_T3_PNS10_IS15_E10value_typeET4_jRbjT5_S1B_jjP12ihipStream_tbEUljE_ZNSN_ISO_Lb0ESQ_SR_SQ_SR_SV_EESW_SX_SY_SZ_S13_S14_S15_S18_S19_jS1A_jS1B_S1B_jjS1D_bEUljE0_EEESW_SX_SY_S15_S19_S1B_T6_T7_T9_mT8_S1D_bDpT10_ENKUlT_T0_E_clISt17integral_constantIbLb0EES1R_EEDaS1M_S1N_EUlS1M_E_NS1_11comp_targetILNS1_3genE2ELNS1_11target_archE906ELNS1_3gpuE6ELNS1_3repE0EEENS1_30default_config_static_selectorELNS0_4arch9wavefront6targetE0EEEvSZ_.num_named_barrier, 0
	.set _ZN7rocprim17ROCPRIM_400000_NS6detail17trampoline_kernelINS0_13select_configILj256ELj13ELNS0_17block_load_methodE3ELS4_3ELS4_3ELNS0_20block_scan_algorithmE0ELj4294967295EEENS1_25partition_config_selectorILNS1_17partition_subalgoE4EjNS0_10empty_typeEbEEZZNS1_14partition_implILS8_4ELb0ES6_15HIP_vector_typeIjLj2EENS0_17counting_iteratorIjlEEPS9_SG_NS0_5tupleIJPjSI_NS0_16reverse_iteratorISI_EEEEENSH_IJSG_SG_SG_EEES9_SI_JZNS1_25segmented_radix_sort_implINS0_14default_configELb0EPKlPlSQ_SR_N2at6native12_GLOBAL__N_18offset_tEEE10hipError_tPvRmT1_PNSt15iterator_traitsISZ_E10value_typeET2_T3_PNS10_IS15_E10value_typeET4_jRbjT5_S1B_jjP12ihipStream_tbEUljE_ZNSN_ISO_Lb0ESQ_SR_SQ_SR_SV_EESW_SX_SY_SZ_S13_S14_S15_S18_S19_jS1A_jS1B_S1B_jjS1D_bEUljE0_EEESW_SX_SY_S15_S19_S1B_T6_T7_T9_mT8_S1D_bDpT10_ENKUlT_T0_E_clISt17integral_constantIbLb0EES1R_EEDaS1M_S1N_EUlS1M_E_NS1_11comp_targetILNS1_3genE2ELNS1_11target_archE906ELNS1_3gpuE6ELNS1_3repE0EEENS1_30default_config_static_selectorELNS0_4arch9wavefront6targetE0EEEvSZ_.private_seg_size, 0
	.set _ZN7rocprim17ROCPRIM_400000_NS6detail17trampoline_kernelINS0_13select_configILj256ELj13ELNS0_17block_load_methodE3ELS4_3ELS4_3ELNS0_20block_scan_algorithmE0ELj4294967295EEENS1_25partition_config_selectorILNS1_17partition_subalgoE4EjNS0_10empty_typeEbEEZZNS1_14partition_implILS8_4ELb0ES6_15HIP_vector_typeIjLj2EENS0_17counting_iteratorIjlEEPS9_SG_NS0_5tupleIJPjSI_NS0_16reverse_iteratorISI_EEEEENSH_IJSG_SG_SG_EEES9_SI_JZNS1_25segmented_radix_sort_implINS0_14default_configELb0EPKlPlSQ_SR_N2at6native12_GLOBAL__N_18offset_tEEE10hipError_tPvRmT1_PNSt15iterator_traitsISZ_E10value_typeET2_T3_PNS10_IS15_E10value_typeET4_jRbjT5_S1B_jjP12ihipStream_tbEUljE_ZNSN_ISO_Lb0ESQ_SR_SQ_SR_SV_EESW_SX_SY_SZ_S13_S14_S15_S18_S19_jS1A_jS1B_S1B_jjS1D_bEUljE0_EEESW_SX_SY_S15_S19_S1B_T6_T7_T9_mT8_S1D_bDpT10_ENKUlT_T0_E_clISt17integral_constantIbLb0EES1R_EEDaS1M_S1N_EUlS1M_E_NS1_11comp_targetILNS1_3genE2ELNS1_11target_archE906ELNS1_3gpuE6ELNS1_3repE0EEENS1_30default_config_static_selectorELNS0_4arch9wavefront6targetE0EEEvSZ_.uses_vcc, 0
	.set _ZN7rocprim17ROCPRIM_400000_NS6detail17trampoline_kernelINS0_13select_configILj256ELj13ELNS0_17block_load_methodE3ELS4_3ELS4_3ELNS0_20block_scan_algorithmE0ELj4294967295EEENS1_25partition_config_selectorILNS1_17partition_subalgoE4EjNS0_10empty_typeEbEEZZNS1_14partition_implILS8_4ELb0ES6_15HIP_vector_typeIjLj2EENS0_17counting_iteratorIjlEEPS9_SG_NS0_5tupleIJPjSI_NS0_16reverse_iteratorISI_EEEEENSH_IJSG_SG_SG_EEES9_SI_JZNS1_25segmented_radix_sort_implINS0_14default_configELb0EPKlPlSQ_SR_N2at6native12_GLOBAL__N_18offset_tEEE10hipError_tPvRmT1_PNSt15iterator_traitsISZ_E10value_typeET2_T3_PNS10_IS15_E10value_typeET4_jRbjT5_S1B_jjP12ihipStream_tbEUljE_ZNSN_ISO_Lb0ESQ_SR_SQ_SR_SV_EESW_SX_SY_SZ_S13_S14_S15_S18_S19_jS1A_jS1B_S1B_jjS1D_bEUljE0_EEESW_SX_SY_S15_S19_S1B_T6_T7_T9_mT8_S1D_bDpT10_ENKUlT_T0_E_clISt17integral_constantIbLb0EES1R_EEDaS1M_S1N_EUlS1M_E_NS1_11comp_targetILNS1_3genE2ELNS1_11target_archE906ELNS1_3gpuE6ELNS1_3repE0EEENS1_30default_config_static_selectorELNS0_4arch9wavefront6targetE0EEEvSZ_.uses_flat_scratch, 0
	.set _ZN7rocprim17ROCPRIM_400000_NS6detail17trampoline_kernelINS0_13select_configILj256ELj13ELNS0_17block_load_methodE3ELS4_3ELS4_3ELNS0_20block_scan_algorithmE0ELj4294967295EEENS1_25partition_config_selectorILNS1_17partition_subalgoE4EjNS0_10empty_typeEbEEZZNS1_14partition_implILS8_4ELb0ES6_15HIP_vector_typeIjLj2EENS0_17counting_iteratorIjlEEPS9_SG_NS0_5tupleIJPjSI_NS0_16reverse_iteratorISI_EEEEENSH_IJSG_SG_SG_EEES9_SI_JZNS1_25segmented_radix_sort_implINS0_14default_configELb0EPKlPlSQ_SR_N2at6native12_GLOBAL__N_18offset_tEEE10hipError_tPvRmT1_PNSt15iterator_traitsISZ_E10value_typeET2_T3_PNS10_IS15_E10value_typeET4_jRbjT5_S1B_jjP12ihipStream_tbEUljE_ZNSN_ISO_Lb0ESQ_SR_SQ_SR_SV_EESW_SX_SY_SZ_S13_S14_S15_S18_S19_jS1A_jS1B_S1B_jjS1D_bEUljE0_EEESW_SX_SY_S15_S19_S1B_T6_T7_T9_mT8_S1D_bDpT10_ENKUlT_T0_E_clISt17integral_constantIbLb0EES1R_EEDaS1M_S1N_EUlS1M_E_NS1_11comp_targetILNS1_3genE2ELNS1_11target_archE906ELNS1_3gpuE6ELNS1_3repE0EEENS1_30default_config_static_selectorELNS0_4arch9wavefront6targetE0EEEvSZ_.has_dyn_sized_stack, 0
	.set _ZN7rocprim17ROCPRIM_400000_NS6detail17trampoline_kernelINS0_13select_configILj256ELj13ELNS0_17block_load_methodE3ELS4_3ELS4_3ELNS0_20block_scan_algorithmE0ELj4294967295EEENS1_25partition_config_selectorILNS1_17partition_subalgoE4EjNS0_10empty_typeEbEEZZNS1_14partition_implILS8_4ELb0ES6_15HIP_vector_typeIjLj2EENS0_17counting_iteratorIjlEEPS9_SG_NS0_5tupleIJPjSI_NS0_16reverse_iteratorISI_EEEEENSH_IJSG_SG_SG_EEES9_SI_JZNS1_25segmented_radix_sort_implINS0_14default_configELb0EPKlPlSQ_SR_N2at6native12_GLOBAL__N_18offset_tEEE10hipError_tPvRmT1_PNSt15iterator_traitsISZ_E10value_typeET2_T3_PNS10_IS15_E10value_typeET4_jRbjT5_S1B_jjP12ihipStream_tbEUljE_ZNSN_ISO_Lb0ESQ_SR_SQ_SR_SV_EESW_SX_SY_SZ_S13_S14_S15_S18_S19_jS1A_jS1B_S1B_jjS1D_bEUljE0_EEESW_SX_SY_S15_S19_S1B_T6_T7_T9_mT8_S1D_bDpT10_ENKUlT_T0_E_clISt17integral_constantIbLb0EES1R_EEDaS1M_S1N_EUlS1M_E_NS1_11comp_targetILNS1_3genE2ELNS1_11target_archE906ELNS1_3gpuE6ELNS1_3repE0EEENS1_30default_config_static_selectorELNS0_4arch9wavefront6targetE0EEEvSZ_.has_recursion, 0
	.set _ZN7rocprim17ROCPRIM_400000_NS6detail17trampoline_kernelINS0_13select_configILj256ELj13ELNS0_17block_load_methodE3ELS4_3ELS4_3ELNS0_20block_scan_algorithmE0ELj4294967295EEENS1_25partition_config_selectorILNS1_17partition_subalgoE4EjNS0_10empty_typeEbEEZZNS1_14partition_implILS8_4ELb0ES6_15HIP_vector_typeIjLj2EENS0_17counting_iteratorIjlEEPS9_SG_NS0_5tupleIJPjSI_NS0_16reverse_iteratorISI_EEEEENSH_IJSG_SG_SG_EEES9_SI_JZNS1_25segmented_radix_sort_implINS0_14default_configELb0EPKlPlSQ_SR_N2at6native12_GLOBAL__N_18offset_tEEE10hipError_tPvRmT1_PNSt15iterator_traitsISZ_E10value_typeET2_T3_PNS10_IS15_E10value_typeET4_jRbjT5_S1B_jjP12ihipStream_tbEUljE_ZNSN_ISO_Lb0ESQ_SR_SQ_SR_SV_EESW_SX_SY_SZ_S13_S14_S15_S18_S19_jS1A_jS1B_S1B_jjS1D_bEUljE0_EEESW_SX_SY_S15_S19_S1B_T6_T7_T9_mT8_S1D_bDpT10_ENKUlT_T0_E_clISt17integral_constantIbLb0EES1R_EEDaS1M_S1N_EUlS1M_E_NS1_11comp_targetILNS1_3genE2ELNS1_11target_archE906ELNS1_3gpuE6ELNS1_3repE0EEENS1_30default_config_static_selectorELNS0_4arch9wavefront6targetE0EEEvSZ_.has_indirect_call, 0
	.section	.AMDGPU.csdata,"",@progbits
; Kernel info:
; codeLenInByte = 0
; TotalNumSgprs: 0
; NumVgprs: 0
; ScratchSize: 0
; MemoryBound: 0
; FloatMode: 240
; IeeeMode: 1
; LDSByteSize: 0 bytes/workgroup (compile time only)
; SGPRBlocks: 0
; VGPRBlocks: 0
; NumSGPRsForWavesPerEU: 1
; NumVGPRsForWavesPerEU: 1
; Occupancy: 16
; WaveLimiterHint : 0
; COMPUTE_PGM_RSRC2:SCRATCH_EN: 0
; COMPUTE_PGM_RSRC2:USER_SGPR: 2
; COMPUTE_PGM_RSRC2:TRAP_HANDLER: 0
; COMPUTE_PGM_RSRC2:TGID_X_EN: 1
; COMPUTE_PGM_RSRC2:TGID_Y_EN: 0
; COMPUTE_PGM_RSRC2:TGID_Z_EN: 0
; COMPUTE_PGM_RSRC2:TIDIG_COMP_CNT: 0
	.section	.text._ZN7rocprim17ROCPRIM_400000_NS6detail17trampoline_kernelINS0_13select_configILj256ELj13ELNS0_17block_load_methodE3ELS4_3ELS4_3ELNS0_20block_scan_algorithmE0ELj4294967295EEENS1_25partition_config_selectorILNS1_17partition_subalgoE4EjNS0_10empty_typeEbEEZZNS1_14partition_implILS8_4ELb0ES6_15HIP_vector_typeIjLj2EENS0_17counting_iteratorIjlEEPS9_SG_NS0_5tupleIJPjSI_NS0_16reverse_iteratorISI_EEEEENSH_IJSG_SG_SG_EEES9_SI_JZNS1_25segmented_radix_sort_implINS0_14default_configELb0EPKlPlSQ_SR_N2at6native12_GLOBAL__N_18offset_tEEE10hipError_tPvRmT1_PNSt15iterator_traitsISZ_E10value_typeET2_T3_PNS10_IS15_E10value_typeET4_jRbjT5_S1B_jjP12ihipStream_tbEUljE_ZNSN_ISO_Lb0ESQ_SR_SQ_SR_SV_EESW_SX_SY_SZ_S13_S14_S15_S18_S19_jS1A_jS1B_S1B_jjS1D_bEUljE0_EEESW_SX_SY_S15_S19_S1B_T6_T7_T9_mT8_S1D_bDpT10_ENKUlT_T0_E_clISt17integral_constantIbLb0EES1R_EEDaS1M_S1N_EUlS1M_E_NS1_11comp_targetILNS1_3genE10ELNS1_11target_archE1200ELNS1_3gpuE4ELNS1_3repE0EEENS1_30default_config_static_selectorELNS0_4arch9wavefront6targetE0EEEvSZ_,"axG",@progbits,_ZN7rocprim17ROCPRIM_400000_NS6detail17trampoline_kernelINS0_13select_configILj256ELj13ELNS0_17block_load_methodE3ELS4_3ELS4_3ELNS0_20block_scan_algorithmE0ELj4294967295EEENS1_25partition_config_selectorILNS1_17partition_subalgoE4EjNS0_10empty_typeEbEEZZNS1_14partition_implILS8_4ELb0ES6_15HIP_vector_typeIjLj2EENS0_17counting_iteratorIjlEEPS9_SG_NS0_5tupleIJPjSI_NS0_16reverse_iteratorISI_EEEEENSH_IJSG_SG_SG_EEES9_SI_JZNS1_25segmented_radix_sort_implINS0_14default_configELb0EPKlPlSQ_SR_N2at6native12_GLOBAL__N_18offset_tEEE10hipError_tPvRmT1_PNSt15iterator_traitsISZ_E10value_typeET2_T3_PNS10_IS15_E10value_typeET4_jRbjT5_S1B_jjP12ihipStream_tbEUljE_ZNSN_ISO_Lb0ESQ_SR_SQ_SR_SV_EESW_SX_SY_SZ_S13_S14_S15_S18_S19_jS1A_jS1B_S1B_jjS1D_bEUljE0_EEESW_SX_SY_S15_S19_S1B_T6_T7_T9_mT8_S1D_bDpT10_ENKUlT_T0_E_clISt17integral_constantIbLb0EES1R_EEDaS1M_S1N_EUlS1M_E_NS1_11comp_targetILNS1_3genE10ELNS1_11target_archE1200ELNS1_3gpuE4ELNS1_3repE0EEENS1_30default_config_static_selectorELNS0_4arch9wavefront6targetE0EEEvSZ_,comdat
	.globl	_ZN7rocprim17ROCPRIM_400000_NS6detail17trampoline_kernelINS0_13select_configILj256ELj13ELNS0_17block_load_methodE3ELS4_3ELS4_3ELNS0_20block_scan_algorithmE0ELj4294967295EEENS1_25partition_config_selectorILNS1_17partition_subalgoE4EjNS0_10empty_typeEbEEZZNS1_14partition_implILS8_4ELb0ES6_15HIP_vector_typeIjLj2EENS0_17counting_iteratorIjlEEPS9_SG_NS0_5tupleIJPjSI_NS0_16reverse_iteratorISI_EEEEENSH_IJSG_SG_SG_EEES9_SI_JZNS1_25segmented_radix_sort_implINS0_14default_configELb0EPKlPlSQ_SR_N2at6native12_GLOBAL__N_18offset_tEEE10hipError_tPvRmT1_PNSt15iterator_traitsISZ_E10value_typeET2_T3_PNS10_IS15_E10value_typeET4_jRbjT5_S1B_jjP12ihipStream_tbEUljE_ZNSN_ISO_Lb0ESQ_SR_SQ_SR_SV_EESW_SX_SY_SZ_S13_S14_S15_S18_S19_jS1A_jS1B_S1B_jjS1D_bEUljE0_EEESW_SX_SY_S15_S19_S1B_T6_T7_T9_mT8_S1D_bDpT10_ENKUlT_T0_E_clISt17integral_constantIbLb0EES1R_EEDaS1M_S1N_EUlS1M_E_NS1_11comp_targetILNS1_3genE10ELNS1_11target_archE1200ELNS1_3gpuE4ELNS1_3repE0EEENS1_30default_config_static_selectorELNS0_4arch9wavefront6targetE0EEEvSZ_ ; -- Begin function _ZN7rocprim17ROCPRIM_400000_NS6detail17trampoline_kernelINS0_13select_configILj256ELj13ELNS0_17block_load_methodE3ELS4_3ELS4_3ELNS0_20block_scan_algorithmE0ELj4294967295EEENS1_25partition_config_selectorILNS1_17partition_subalgoE4EjNS0_10empty_typeEbEEZZNS1_14partition_implILS8_4ELb0ES6_15HIP_vector_typeIjLj2EENS0_17counting_iteratorIjlEEPS9_SG_NS0_5tupleIJPjSI_NS0_16reverse_iteratorISI_EEEEENSH_IJSG_SG_SG_EEES9_SI_JZNS1_25segmented_radix_sort_implINS0_14default_configELb0EPKlPlSQ_SR_N2at6native12_GLOBAL__N_18offset_tEEE10hipError_tPvRmT1_PNSt15iterator_traitsISZ_E10value_typeET2_T3_PNS10_IS15_E10value_typeET4_jRbjT5_S1B_jjP12ihipStream_tbEUljE_ZNSN_ISO_Lb0ESQ_SR_SQ_SR_SV_EESW_SX_SY_SZ_S13_S14_S15_S18_S19_jS1A_jS1B_S1B_jjS1D_bEUljE0_EEESW_SX_SY_S15_S19_S1B_T6_T7_T9_mT8_S1D_bDpT10_ENKUlT_T0_E_clISt17integral_constantIbLb0EES1R_EEDaS1M_S1N_EUlS1M_E_NS1_11comp_targetILNS1_3genE10ELNS1_11target_archE1200ELNS1_3gpuE4ELNS1_3repE0EEENS1_30default_config_static_selectorELNS0_4arch9wavefront6targetE0EEEvSZ_
	.p2align	8
	.type	_ZN7rocprim17ROCPRIM_400000_NS6detail17trampoline_kernelINS0_13select_configILj256ELj13ELNS0_17block_load_methodE3ELS4_3ELS4_3ELNS0_20block_scan_algorithmE0ELj4294967295EEENS1_25partition_config_selectorILNS1_17partition_subalgoE4EjNS0_10empty_typeEbEEZZNS1_14partition_implILS8_4ELb0ES6_15HIP_vector_typeIjLj2EENS0_17counting_iteratorIjlEEPS9_SG_NS0_5tupleIJPjSI_NS0_16reverse_iteratorISI_EEEEENSH_IJSG_SG_SG_EEES9_SI_JZNS1_25segmented_radix_sort_implINS0_14default_configELb0EPKlPlSQ_SR_N2at6native12_GLOBAL__N_18offset_tEEE10hipError_tPvRmT1_PNSt15iterator_traitsISZ_E10value_typeET2_T3_PNS10_IS15_E10value_typeET4_jRbjT5_S1B_jjP12ihipStream_tbEUljE_ZNSN_ISO_Lb0ESQ_SR_SQ_SR_SV_EESW_SX_SY_SZ_S13_S14_S15_S18_S19_jS1A_jS1B_S1B_jjS1D_bEUljE0_EEESW_SX_SY_S15_S19_S1B_T6_T7_T9_mT8_S1D_bDpT10_ENKUlT_T0_E_clISt17integral_constantIbLb0EES1R_EEDaS1M_S1N_EUlS1M_E_NS1_11comp_targetILNS1_3genE10ELNS1_11target_archE1200ELNS1_3gpuE4ELNS1_3repE0EEENS1_30default_config_static_selectorELNS0_4arch9wavefront6targetE0EEEvSZ_,@function
_ZN7rocprim17ROCPRIM_400000_NS6detail17trampoline_kernelINS0_13select_configILj256ELj13ELNS0_17block_load_methodE3ELS4_3ELS4_3ELNS0_20block_scan_algorithmE0ELj4294967295EEENS1_25partition_config_selectorILNS1_17partition_subalgoE4EjNS0_10empty_typeEbEEZZNS1_14partition_implILS8_4ELb0ES6_15HIP_vector_typeIjLj2EENS0_17counting_iteratorIjlEEPS9_SG_NS0_5tupleIJPjSI_NS0_16reverse_iteratorISI_EEEEENSH_IJSG_SG_SG_EEES9_SI_JZNS1_25segmented_radix_sort_implINS0_14default_configELb0EPKlPlSQ_SR_N2at6native12_GLOBAL__N_18offset_tEEE10hipError_tPvRmT1_PNSt15iterator_traitsISZ_E10value_typeET2_T3_PNS10_IS15_E10value_typeET4_jRbjT5_S1B_jjP12ihipStream_tbEUljE_ZNSN_ISO_Lb0ESQ_SR_SQ_SR_SV_EESW_SX_SY_SZ_S13_S14_S15_S18_S19_jS1A_jS1B_S1B_jjS1D_bEUljE0_EEESW_SX_SY_S15_S19_S1B_T6_T7_T9_mT8_S1D_bDpT10_ENKUlT_T0_E_clISt17integral_constantIbLb0EES1R_EEDaS1M_S1N_EUlS1M_E_NS1_11comp_targetILNS1_3genE10ELNS1_11target_archE1200ELNS1_3gpuE4ELNS1_3repE0EEENS1_30default_config_static_selectorELNS0_4arch9wavefront6targetE0EEEvSZ_: ; @_ZN7rocprim17ROCPRIM_400000_NS6detail17trampoline_kernelINS0_13select_configILj256ELj13ELNS0_17block_load_methodE3ELS4_3ELS4_3ELNS0_20block_scan_algorithmE0ELj4294967295EEENS1_25partition_config_selectorILNS1_17partition_subalgoE4EjNS0_10empty_typeEbEEZZNS1_14partition_implILS8_4ELb0ES6_15HIP_vector_typeIjLj2EENS0_17counting_iteratorIjlEEPS9_SG_NS0_5tupleIJPjSI_NS0_16reverse_iteratorISI_EEEEENSH_IJSG_SG_SG_EEES9_SI_JZNS1_25segmented_radix_sort_implINS0_14default_configELb0EPKlPlSQ_SR_N2at6native12_GLOBAL__N_18offset_tEEE10hipError_tPvRmT1_PNSt15iterator_traitsISZ_E10value_typeET2_T3_PNS10_IS15_E10value_typeET4_jRbjT5_S1B_jjP12ihipStream_tbEUljE_ZNSN_ISO_Lb0ESQ_SR_SQ_SR_SV_EESW_SX_SY_SZ_S13_S14_S15_S18_S19_jS1A_jS1B_S1B_jjS1D_bEUljE0_EEESW_SX_SY_S15_S19_S1B_T6_T7_T9_mT8_S1D_bDpT10_ENKUlT_T0_E_clISt17integral_constantIbLb0EES1R_EEDaS1M_S1N_EUlS1M_E_NS1_11comp_targetILNS1_3genE10ELNS1_11target_archE1200ELNS1_3gpuE4ELNS1_3repE0EEENS1_30default_config_static_selectorELNS0_4arch9wavefront6targetE0EEEvSZ_
; %bb.0:
	s_clause 0x6
	s_load_b32 s6, s[0:1], 0x80
	s_load_b128 s[24:27], s[0:1], 0x58
	s_load_b64 s[34:35], s[0:1], 0x10
	s_load_b64 s[2:3], s[0:1], 0x68
	s_load_b32 s7, s[0:1], 0x8
	s_load_b64 s[42:43], s[0:1], 0xa8
	s_load_b256 s[16:23], s[0:1], 0x88
	s_mov_b32 s5, 0
	s_mul_i32 s40, ttmp9, 0xd00
	s_wait_kmcnt 0x0
	s_mul_i32 s4, s6, 0xd00
	s_load_b128 s[28:31], s[26:27], 0x0
	s_add_co_i32 s8, s4, s34
	s_add_co_i32 s6, s6, -1
	s_sub_co_i32 s33, s2, s8
	s_add_nc_u64 s[4:5], s[34:35], s[4:5]
	s_addk_co_i32 s33, 0xd00
	s_cmp_eq_u32 ttmp9, s6
	v_cmp_gt_u64_e64 s2, s[2:3], s[4:5]
	s_cselect_b32 s15, -1, 0
	s_cmp_lg_u32 ttmp9, s6
	s_mov_b32 s5, -1
	s_cselect_b32 s3, -1, 0
	s_add_co_i32 s4, s7, s40
	s_wait_alu 0xfffe
	s_or_b32 s3, s3, s2
	s_add_co_i32 s4, s4, s34
	s_wait_alu 0xfffe
	s_and_b32 vcc_lo, exec_lo, s3
	v_add_nc_u32_e32 v1, s4, v0
	s_cbranch_vccz .LBB748_2
; %bb.1:
	s_delay_alu instid0(VALU_DEP_1)
	v_add_nc_u32_e32 v2, 0x100, v1
	v_lshlrev_b32_e32 v10, 2, v0
	v_add_nc_u32_e32 v3, 0x200, v1
	v_add_nc_u32_e32 v4, 0x300, v1
	v_add_nc_u32_e32 v5, 0x400, v1
	v_add_nc_u32_e32 v6, 0x500, v1
	v_add_nc_u32_e32 v7, 0x600, v1
	v_add_nc_u32_e32 v8, 0x700, v1
	v_add_nc_u32_e32 v9, 0x800, v1
	v_add_nc_u32_e32 v11, 0x900, v1
	v_add_nc_u32_e32 v12, 0xa00, v1
	v_add_nc_u32_e32 v13, 0xb00, v1
	v_add_nc_u32_e32 v14, 0xc00, v1
	ds_store_2addr_stride64_b32 v10, v1, v2 offset1:4
	ds_store_2addr_stride64_b32 v10, v3, v4 offset0:8 offset1:12
	ds_store_2addr_stride64_b32 v10, v5, v6 offset0:16 offset1:20
	;; [unrolled: 1-line block ×5, first 2 shown]
	ds_store_b32 v10, v14 offset:12288
	s_wait_dscnt 0x0
	s_barrier_signal -1
	s_mov_b32 s5, 0
	s_barrier_wait -1
.LBB748_2:
	v_cmp_gt_u32_e64 s2, s33, v0
	v_or_b32_e32 v38, 0x100, v0
	v_or_b32_e32 v37, 0x200, v0
	;; [unrolled: 1-line block ×12, first 2 shown]
	s_wait_alu 0xfffe
	s_and_not1_b32 vcc_lo, exec_lo, s5
	s_cbranch_vccnz .LBB748_4
; %bb.3:
	v_cmp_gt_u32_e32 vcc_lo, s33, v38
	v_add_nc_u32_e32 v3, s4, v37
	v_add_nc_u32_e32 v2, s4, v38
	v_cndmask_b32_e64 v1, 0, v1, s2
	v_lshlrev_b32_e32 v14, 2, v0
	s_delay_alu instid0(VALU_DEP_3)
	v_cndmask_b32_e32 v2, 0, v2, vcc_lo
	v_cmp_gt_u32_e32 vcc_lo, s33, v37
	s_wait_alu 0xfffd
	v_cndmask_b32_e32 v3, 0, v3, vcc_lo
	v_cmp_gt_u32_e32 vcc_lo, s33, v36
	v_add_nc_u32_e32 v5, s4, v35
	v_add_nc_u32_e32 v4, s4, v36
	s_wait_alu 0xfffd
	s_delay_alu instid0(VALU_DEP_1)
	v_cndmask_b32_e32 v4, 0, v4, vcc_lo
	v_cmp_gt_u32_e32 vcc_lo, s33, v35
	s_wait_alu 0xfffd
	v_cndmask_b32_e32 v5, 0, v5, vcc_lo
	v_cmp_gt_u32_e32 vcc_lo, s33, v34
	v_add_nc_u32_e32 v7, s4, v33
	v_add_nc_u32_e32 v6, s4, v34
	s_wait_alu 0xfffd
	s_delay_alu instid0(VALU_DEP_1)
	;; [unrolled: 9-line block ×5, first 2 shown]
	v_cndmask_b32_e32 v12, 0, v12, vcc_lo
	v_cmp_gt_u32_e32 vcc_lo, s33, v27
	s_wait_alu 0xfffd
	v_cndmask_b32_e32 v13, 0, v13, vcc_lo
	ds_store_2addr_stride64_b32 v14, v1, v2 offset1:4
	ds_store_2addr_stride64_b32 v14, v3, v4 offset0:8 offset1:12
	ds_store_2addr_stride64_b32 v14, v5, v6 offset0:16 offset1:20
	ds_store_2addr_stride64_b32 v14, v7, v8 offset0:24 offset1:28
	ds_store_2addr_stride64_b32 v14, v9, v10 offset0:32 offset1:36
	ds_store_2addr_stride64_b32 v14, v11, v12 offset0:40 offset1:44
	ds_store_b32 v14, v13 offset:12288
	s_wait_dscnt 0x0
	s_barrier_signal -1
	s_barrier_wait -1
.LBB748_4:
	v_mul_u32_u24_e32 v41, 13, v0
	s_clause 0x1
	s_load_b128 s[36:39], s[0:1], 0x28
	s_load_b64 s[26:27], s[0:1], 0x38
	global_inv scope:SCOPE_SE
	v_cndmask_b32_e64 v39, 0, 1, s3
	s_and_not1_b32 vcc_lo, exec_lo, s3
	v_lshlrev_b32_e32 v1, 2, v41
	ds_load_2addr_b32 v[19:20], v1 offset1:1
	ds_load_2addr_b32 v[17:18], v1 offset0:2 offset1:3
	ds_load_2addr_b32 v[15:16], v1 offset0:4 offset1:5
	;; [unrolled: 1-line block ×5, first 2 shown]
	ds_load_b32 v40, v1 offset:48
	s_wait_loadcnt_dscnt 0x0
	s_barrier_signal -1
	s_barrier_wait -1
	global_inv scope:SCOPE_SE
	s_wait_alu 0xfffe
	s_cbranch_vccnz .LBB748_32
; %bb.5:
	v_add_nc_u32_e32 v1, s17, v19
	v_add_nc_u32_e32 v2, s19, v19
	s_mov_b32 s44, 0
	s_mov_b32 s41, 0
	s_mov_b32 s3, exec_lo
	v_mul_lo_u32 v1, v1, s16
	v_mul_lo_u32 v2, v2, s18
	s_delay_alu instid0(VALU_DEP_1) | instskip(NEXT) | instid1(VALU_DEP_1)
	v_sub_nc_u32_e32 v1, v1, v2
	v_cmp_lt_u32_e32 vcc_lo, s20, v1
	v_cmpx_ge_u32_e64 s20, v1
	s_cbranch_execz .LBB748_7
; %bb.6:
	v_add_nc_u32_e32 v1, s22, v19
	v_add_nc_u32_e32 v2, s42, v19
	s_delay_alu instid0(VALU_DEP_2) | instskip(NEXT) | instid1(VALU_DEP_2)
	v_mul_lo_u32 v1, v1, s21
	v_mul_lo_u32 v2, v2, s23
	s_delay_alu instid0(VALU_DEP_1) | instskip(NEXT) | instid1(VALU_DEP_1)
	v_sub_nc_u32_e32 v1, v1, v2
	v_cmp_lt_u32_e64 s2, s43, v1
	s_and_b32 s41, s2, exec_lo
.LBB748_7:
	s_wait_alu 0xfffe
	s_or_b32 exec_lo, exec_lo, s3
	v_add_nc_u32_e32 v1, s17, v20
	v_add_nc_u32_e32 v2, s19, v20
	s_mov_b32 s4, exec_lo
	s_delay_alu instid0(VALU_DEP_2) | instskip(NEXT) | instid1(VALU_DEP_2)
	v_mul_lo_u32 v1, v1, s16
	v_mul_lo_u32 v2, v2, s18
	s_delay_alu instid0(VALU_DEP_1) | instskip(NEXT) | instid1(VALU_DEP_1)
	v_sub_nc_u32_e32 v1, v1, v2
	v_cmp_lt_u32_e64 s2, s20, v1
	v_cmpx_ge_u32_e64 s20, v1
	s_cbranch_execz .LBB748_9
; %bb.8:
	v_add_nc_u32_e32 v1, s22, v20
	v_add_nc_u32_e32 v2, s42, v20
	s_delay_alu instid0(VALU_DEP_2) | instskip(NEXT) | instid1(VALU_DEP_2)
	v_mul_lo_u32 v1, v1, s21
	v_mul_lo_u32 v2, v2, s23
	s_delay_alu instid0(VALU_DEP_1) | instskip(NEXT) | instid1(VALU_DEP_1)
	v_sub_nc_u32_e32 v1, v1, v2
	v_cmp_lt_u32_e64 s3, s43, v1
	s_and_b32 s44, s3, exec_lo
.LBB748_9:
	s_wait_alu 0xfffe
	s_or_b32 exec_lo, exec_lo, s4
	v_add_nc_u32_e32 v1, s17, v17
	v_add_nc_u32_e32 v2, s19, v17
	s_mov_b32 s46, 0
	s_mov_b32 s45, 0
	s_mov_b32 s5, exec_lo
	v_mul_lo_u32 v1, v1, s16
	v_mul_lo_u32 v2, v2, s18
	s_delay_alu instid0(VALU_DEP_1) | instskip(NEXT) | instid1(VALU_DEP_1)
	v_sub_nc_u32_e32 v1, v1, v2
	v_cmp_lt_u32_e64 s3, s20, v1
	v_cmpx_ge_u32_e64 s20, v1
	s_cbranch_execz .LBB748_11
; %bb.10:
	v_add_nc_u32_e32 v1, s22, v17
	v_add_nc_u32_e32 v2, s42, v17
	s_delay_alu instid0(VALU_DEP_2) | instskip(NEXT) | instid1(VALU_DEP_2)
	v_mul_lo_u32 v1, v1, s21
	v_mul_lo_u32 v2, v2, s23
	s_delay_alu instid0(VALU_DEP_1) | instskip(NEXT) | instid1(VALU_DEP_1)
	v_sub_nc_u32_e32 v1, v1, v2
	v_cmp_lt_u32_e64 s4, s43, v1
	s_and_b32 s45, s4, exec_lo
.LBB748_11:
	s_wait_alu 0xfffe
	s_or_b32 exec_lo, exec_lo, s5
	v_add_nc_u32_e32 v1, s17, v18
	v_add_nc_u32_e32 v2, s19, v18
	s_mov_b32 s6, exec_lo
	s_delay_alu instid0(VALU_DEP_2) | instskip(NEXT) | instid1(VALU_DEP_2)
	v_mul_lo_u32 v1, v1, s16
	v_mul_lo_u32 v2, v2, s18
	s_delay_alu instid0(VALU_DEP_1) | instskip(NEXT) | instid1(VALU_DEP_1)
	v_sub_nc_u32_e32 v1, v1, v2
	v_cmp_lt_u32_e64 s4, s20, v1
	v_cmpx_ge_u32_e64 s20, v1
	s_cbranch_execz .LBB748_13
; %bb.12:
	v_add_nc_u32_e32 v1, s22, v18
	v_add_nc_u32_e32 v2, s42, v18
	s_delay_alu instid0(VALU_DEP_2) | instskip(NEXT) | instid1(VALU_DEP_2)
	v_mul_lo_u32 v1, v1, s21
	v_mul_lo_u32 v2, v2, s23
	s_delay_alu instid0(VALU_DEP_1) | instskip(NEXT) | instid1(VALU_DEP_1)
	v_sub_nc_u32_e32 v1, v1, v2
	v_cmp_lt_u32_e64 s5, s43, v1
	s_and_b32 s46, s5, exec_lo
.LBB748_13:
	s_or_b32 exec_lo, exec_lo, s6
	v_add_nc_u32_e32 v1, s17, v15
	v_add_nc_u32_e32 v2, s19, v15
	s_mov_b32 s48, 0
	s_mov_b32 s47, 0
	s_mov_b32 s7, exec_lo
	v_mul_lo_u32 v1, v1, s16
	v_mul_lo_u32 v2, v2, s18
	s_delay_alu instid0(VALU_DEP_1) | instskip(NEXT) | instid1(VALU_DEP_1)
	v_sub_nc_u32_e32 v1, v1, v2
	v_cmp_lt_u32_e64 s5, s20, v1
	v_cmpx_ge_u32_e64 s20, v1
	s_cbranch_execz .LBB748_15
; %bb.14:
	v_add_nc_u32_e32 v1, s22, v15
	v_add_nc_u32_e32 v2, s42, v15
	s_delay_alu instid0(VALU_DEP_2) | instskip(NEXT) | instid1(VALU_DEP_2)
	v_mul_lo_u32 v1, v1, s21
	v_mul_lo_u32 v2, v2, s23
	s_delay_alu instid0(VALU_DEP_1) | instskip(NEXT) | instid1(VALU_DEP_1)
	v_sub_nc_u32_e32 v1, v1, v2
	v_cmp_lt_u32_e64 s6, s43, v1
	s_and_b32 s47, s6, exec_lo
.LBB748_15:
	s_or_b32 exec_lo, exec_lo, s7
	v_add_nc_u32_e32 v1, s17, v16
	v_add_nc_u32_e32 v2, s19, v16
	s_mov_b32 s8, exec_lo
	s_delay_alu instid0(VALU_DEP_2) | instskip(NEXT) | instid1(VALU_DEP_2)
	v_mul_lo_u32 v1, v1, s16
	v_mul_lo_u32 v2, v2, s18
	s_delay_alu instid0(VALU_DEP_1) | instskip(NEXT) | instid1(VALU_DEP_1)
	v_sub_nc_u32_e32 v1, v1, v2
	v_cmp_lt_u32_e64 s6, s20, v1
	v_cmpx_ge_u32_e64 s20, v1
	s_cbranch_execz .LBB748_17
; %bb.16:
	v_add_nc_u32_e32 v1, s22, v16
	v_add_nc_u32_e32 v2, s42, v16
	s_delay_alu instid0(VALU_DEP_2) | instskip(NEXT) | instid1(VALU_DEP_2)
	v_mul_lo_u32 v1, v1, s21
	v_mul_lo_u32 v2, v2, s23
	s_delay_alu instid0(VALU_DEP_1) | instskip(NEXT) | instid1(VALU_DEP_1)
	v_sub_nc_u32_e32 v1, v1, v2
	v_cmp_lt_u32_e64 s7, s43, v1
	s_and_b32 s48, s7, exec_lo
.LBB748_17:
	s_or_b32 exec_lo, exec_lo, s8
	v_add_nc_u32_e32 v1, s17, v13
	v_add_nc_u32_e32 v2, s19, v13
	s_mov_b32 s50, 0
	s_mov_b32 s49, 0
	s_mov_b32 s9, exec_lo
	v_mul_lo_u32 v1, v1, s16
	v_mul_lo_u32 v2, v2, s18
	s_delay_alu instid0(VALU_DEP_1) | instskip(NEXT) | instid1(VALU_DEP_1)
	v_sub_nc_u32_e32 v1, v1, v2
	v_cmp_lt_u32_e64 s7, s20, v1
	v_cmpx_ge_u32_e64 s20, v1
	s_cbranch_execz .LBB748_19
; %bb.18:
	v_add_nc_u32_e32 v1, s22, v13
	v_add_nc_u32_e32 v2, s42, v13
	s_delay_alu instid0(VALU_DEP_2) | instskip(NEXT) | instid1(VALU_DEP_2)
	v_mul_lo_u32 v1, v1, s21
	v_mul_lo_u32 v2, v2, s23
	s_delay_alu instid0(VALU_DEP_1) | instskip(NEXT) | instid1(VALU_DEP_1)
	v_sub_nc_u32_e32 v1, v1, v2
	v_cmp_lt_u32_e64 s8, s43, v1
	s_and_b32 s49, s8, exec_lo
.LBB748_19:
	;; [unrolled: 47-line block ×5, first 2 shown]
	s_or_b32 exec_lo, exec_lo, s57
	v_cndmask_b32_e64 v2, 0, 1, s2
	s_wait_alu 0xf1ff
	v_cndmask_b32_e64 v4, 0, 1, s4
	s_wait_alu 0xfffd
	v_cndmask_b32_e64 v1, 0, 1, vcc_lo
	v_cndmask_b32_e64 v3, 0, 1, s3
	v_cndmask_b32_e64 v6, 0, 1, s6
	v_lshlrev_b16 v2, 8, v2
	v_lshlrev_b16 v4, 8, v4
	v_cndmask_b32_e64 v8, 0, 1, s8
	v_cndmask_b32_e64 v22, 0, 1, s10
	;; [unrolled: 1-line block ×3, first 2 shown]
	v_or_b32_e32 v1, v1, v2
	v_or_b32_e32 v2, v3, v4
	v_cndmask_b32_e64 v51, 0, 1, s41
	v_cndmask_b32_e64 v5, 0, 1, s5
	;; [unrolled: 1-line block ×3, first 2 shown]
	v_and_b32_e32 v1, 0xffff, v1
	v_lshlrev_b32_e32 v2, 16, v2
	v_cndmask_b32_e64 v21, 0, 1, s9
	v_cndmask_b32_e64 v23, 0, 1, s11
	;; [unrolled: 1-line block ×8, first 2 shown]
	v_or_b32_e32 v42, v1, v2
	v_lshlrev_b16 v1, 8, v6
	v_lshlrev_b16 v2, 8, v8
	;; [unrolled: 1-line block ×5, first 2 shown]
	v_cndmask_b32_e64 v26, 0, 1, s53
	v_cndmask_b32_e64 v44, 0, 1, s50
	;; [unrolled: 1-line block ×5, first 2 shown]
	v_or_b32_e32 v1, v5, v1
	v_or_b32_e32 v2, v7, v2
	;; [unrolled: 1-line block ×5, first 2 shown]
	v_lshlrev_b16 v4, 8, v4
	v_lshlrev_b16 v8, 8, v49
	;; [unrolled: 1-line block ×5, first 2 shown]
	v_or_b32_e32 v4, v50, v4
	v_or_b32_e32 v3, v3, v8
	;; [unrolled: 1-line block ×5, first 2 shown]
	v_and_b32_e32 v1, 0xffff, v1
	v_lshlrev_b32_e32 v2, 16, v2
	v_and_b32_e32 v5, 0xffff, v5
	v_lshlrev_b32_e32 v6, 16, v6
	;; [unrolled: 2-line block ×5, first 2 shown]
	v_cndmask_b32_e64 v45, 0, 1, s54
	v_cndmask_b32_e64 v48, 0, 1, s56
	v_or_b32_e32 v44, v1, v2
	v_or_b32_e32 v47, v5, v6
	;; [unrolled: 1-line block ×5, first 2 shown]
	s_load_b64 s[4:5], s[0:1], 0x78
	s_and_b32 vcc_lo, exec_lo, s51
	s_wait_alu 0xfffe
	s_cbranch_vccnz .LBB748_33
	s_branch .LBB748_110
.LBB748_32:
                                        ; implicit-def: $vgpr48
                                        ; implicit-def: $vgpr45
                                        ; implicit-def: $vgpr46
                                        ; implicit-def: $vgpr43
                                        ; implicit-def: $vgpr49
                                        ; implicit-def: $vgpr47
                                        ; implicit-def: $vgpr44
                                        ; implicit-def: $vgpr42
	s_load_b64 s[4:5], s[0:1], 0x78
	s_cbranch_execz .LBB748_110
.LBB748_33:
	v_dual_mov_b32 v2, 0 :: v_dual_mov_b32 v1, 0
	s_mov_b32 s1, exec_lo
	v_cmpx_gt_u32_e64 s33, v41
	s_cbranch_execz .LBB748_37
; %bb.34:
	v_add_nc_u32_e32 v1, s17, v19
	v_add_nc_u32_e32 v2, s19, v19
	s_mov_b32 s3, 0
	s_mov_b32 s2, exec_lo
	s_delay_alu instid0(VALU_DEP_2) | instskip(NEXT) | instid1(VALU_DEP_2)
	v_mul_lo_u32 v1, v1, s16
	v_mul_lo_u32 v2, v2, s18
	s_delay_alu instid0(VALU_DEP_1) | instskip(NEXT) | instid1(VALU_DEP_1)
	v_sub_nc_u32_e32 v1, v1, v2
	v_cmp_lt_u32_e32 vcc_lo, s20, v1
	v_cmpx_ge_u32_e64 s20, v1
	s_cbranch_execz .LBB748_36
; %bb.35:
	v_add_nc_u32_e32 v1, s22, v19
	v_add_nc_u32_e32 v2, s42, v19
	s_delay_alu instid0(VALU_DEP_2) | instskip(NEXT) | instid1(VALU_DEP_2)
	v_mul_lo_u32 v1, v1, s21
	v_mul_lo_u32 v2, v2, s23
	s_delay_alu instid0(VALU_DEP_1) | instskip(NEXT) | instid1(VALU_DEP_1)
	v_sub_nc_u32_e32 v1, v1, v2
	v_cmp_lt_u32_e64 s0, s43, v1
	s_and_b32 s3, s0, exec_lo
.LBB748_36:
	s_wait_alu 0xfffe
	s_or_b32 exec_lo, exec_lo, s2
	v_cndmask_b32_e64 v2, 0, 1, s3
	s_wait_alu 0xfffd
	v_cndmask_b32_e64 v1, 0, 1, vcc_lo
.LBB748_37:
	s_or_b32 exec_lo, exec_lo, s1
	s_delay_alu instid0(VALU_DEP_2) | instskip(SKIP_1) | instid1(VALU_DEP_3)
	v_lshlrev_b16 v2, 8, v2
	v_add_nc_u32_e32 v3, 1, v41
	v_and_b32_e32 v6, 0xff, v1
	v_lshlrev_b16 v1, 8, 0
                                        ; implicit-def: $vgpr5
                                        ; implicit-def: $vgpr8
                                        ; implicit-def: $vgpr4
	s_delay_alu instid0(VALU_DEP_4) | instskip(NEXT) | instid1(VALU_DEP_4)
	v_and_b32_e32 v2, 0xffff, v2
	v_cmp_le_u32_e32 vcc_lo, s33, v3
                                        ; implicit-def: $vgpr3
	s_delay_alu instid0(VALU_DEP_2) | instskip(SKIP_2) | instid1(SALU_CYCLE_1)
	v_lshrrev_b32_e32 v21, 8, v2
	v_and_b32_e32 v7, 0xff, v2
                                        ; implicit-def: $vgpr2
	s_and_saveexec_b32 s0, vcc_lo
	s_xor_b32 s0, exec_lo, s0
	s_cbranch_execz .LBB748_39
; %bb.38:
	v_lshlrev_b16 v2, 8, v21
	v_and_b32_e32 v4, 0xffff, v1
                                        ; implicit-def: $vgpr21
	v_mov_b32_e32 v5, 0
	s_delay_alu instid0(VALU_DEP_3) | instskip(SKIP_1) | instid1(VALU_DEP_2)
	v_or_b32_e32 v3, v7, v2
	v_mov_b32_e32 v2, 0
                                        ; implicit-def: $vgpr7
	v_and_b32_e32 v8, 0xffff, v3
	v_and_b32_e32 v3, 0xffff, v1
                                        ; implicit-def: $vgpr1
.LBB748_39:
	s_and_not1_saveexec_b32 s1, s0
	s_cbranch_execz .LBB748_43
; %bb.40:
	v_add_nc_u32_e32 v2, s17, v20
	v_add_nc_u32_e32 v3, s19, v20
	s_mov_b32 s2, 0
	s_mov_b32 s3, exec_lo
	s_delay_alu instid0(VALU_DEP_2) | instskip(NEXT) | instid1(VALU_DEP_2)
	v_mul_lo_u32 v2, v2, s16
	v_mul_lo_u32 v3, v3, s18
	s_delay_alu instid0(VALU_DEP_1) | instskip(NEXT) | instid1(VALU_DEP_1)
	v_sub_nc_u32_e32 v2, v2, v3
	v_cmp_lt_u32_e32 vcc_lo, s20, v2
	v_cmpx_ge_u32_e64 s20, v2
	s_cbranch_execz .LBB748_42
; %bb.41:
	v_add_nc_u32_e32 v2, s22, v20
	v_add_nc_u32_e32 v3, s42, v20
	s_delay_alu instid0(VALU_DEP_2) | instskip(NEXT) | instid1(VALU_DEP_2)
	v_mul_lo_u32 v2, v2, s21
	v_mul_lo_u32 v3, v3, s23
	s_delay_alu instid0(VALU_DEP_1) | instskip(NEXT) | instid1(VALU_DEP_1)
	v_sub_nc_u32_e32 v2, v2, v3
	v_cmp_lt_u32_e64 s0, s43, v2
	s_and_b32 s2, s0, exec_lo
.LBB748_42:
	s_wait_alu 0xfffe
	s_or_b32 exec_lo, exec_lo, s3
	s_wait_alu 0xfffd
	v_cndmask_b32_e64 v2, 0, 1, vcc_lo
	v_lshlrev_b16 v3, 8, v21
	v_dual_mov_b32 v5, 0 :: v_dual_and_b32 v4, 0xffff, v1
	s_delay_alu instid0(VALU_DEP_3) | instskip(NEXT) | instid1(VALU_DEP_3)
	v_lshlrev_b16 v2, 8, v2
	v_or_b32_e32 v3, v7, v3
	v_cndmask_b32_e64 v7, 0, 1, s2
	s_delay_alu instid0(VALU_DEP_3) | instskip(NEXT) | instid1(VALU_DEP_3)
	v_or_b32_e32 v6, v6, v2
	v_dual_mov_b32 v2, 0 :: v_dual_and_b32 v3, 0xffff, v3
	s_delay_alu instid0(VALU_DEP_2) | instskip(NEXT) | instid1(VALU_DEP_2)
	v_and_b32_e32 v6, 0xffff, v6
	v_lshl_or_b32 v8, v7, 16, v3
	v_and_b32_e32 v3, 0xffff, v1
.LBB748_43:
	s_or_b32 exec_lo, exec_lo, s1
	v_add_nc_u32_e32 v1, 2, v41
	v_and_b32_e32 v21, 0xff, v6
	v_lshrrev_b32_e32 v22, 8, v6
                                        ; implicit-def: $vgpr7
	s_delay_alu instid0(VALU_DEP_3) | instskip(SKIP_1) | instid1(SALU_CYCLE_1)
	v_cmp_le_u32_e32 vcc_lo, s33, v1
                                        ; implicit-def: $vgpr1
	s_and_saveexec_b32 s0, vcc_lo
	s_xor_b32 s0, exec_lo, s0
	s_cbranch_execz .LBB748_45
; %bb.44:
	v_lshlrev_b16 v1, 8, v22
	v_perm_b32 v4, v4, v4, 0x3060504
                                        ; implicit-def: $vgpr22
	s_delay_alu instid0(VALU_DEP_2) | instskip(SKIP_1) | instid1(VALU_DEP_2)
	v_or_b32_e32 v1, v21, v1
	v_and_b32_e32 v21, 0xff0000, v8
	v_and_b32_e32 v1, 0xffff, v1
	s_delay_alu instid0(VALU_DEP_1) | instskip(NEXT) | instid1(VALU_DEP_3)
	v_and_or_b32 v7, 0xff000000, v6, v1
	v_perm_b32 v1, v8, v21, 0x3020504
                                        ; implicit-def: $vgpr21
                                        ; implicit-def: $vgpr6
                                        ; implicit-def: $vgpr8
.LBB748_45:
	s_and_not1_saveexec_b32 s1, s0
	s_cbranch_execz .LBB748_49
; %bb.46:
	v_add_nc_u32_e32 v1, s17, v17
	v_add_nc_u32_e32 v7, s19, v17
	s_mov_b32 s2, 0
	s_mov_b32 s3, exec_lo
	s_delay_alu instid0(VALU_DEP_2) | instskip(NEXT) | instid1(VALU_DEP_2)
	v_mul_lo_u32 v1, v1, s16
	v_mul_lo_u32 v7, v7, s18
	s_delay_alu instid0(VALU_DEP_1) | instskip(NEXT) | instid1(VALU_DEP_1)
	v_sub_nc_u32_e32 v1, v1, v7
	v_cmp_lt_u32_e32 vcc_lo, s20, v1
	v_cmpx_ge_u32_e64 s20, v1
	s_cbranch_execz .LBB748_48
; %bb.47:
	v_add_nc_u32_e32 v1, s22, v17
	v_add_nc_u32_e32 v7, s42, v17
	s_delay_alu instid0(VALU_DEP_2) | instskip(NEXT) | instid1(VALU_DEP_2)
	v_mul_lo_u32 v1, v1, s21
	v_mul_lo_u32 v7, v7, s23
	s_delay_alu instid0(VALU_DEP_1) | instskip(NEXT) | instid1(VALU_DEP_1)
	v_sub_nc_u32_e32 v1, v1, v7
	v_cmp_lt_u32_e64 s0, s43, v1
	s_and_b32 s2, s0, exec_lo
.LBB748_48:
	s_wait_alu 0xfffe
	s_or_b32 exec_lo, exec_lo, s3
	v_lshrrev_b32_e32 v6, 24, v6
	v_cndmask_b32_e64 v7, 0, 1, s2
	v_lshrrev_b32_e32 v23, 8, v8
	v_lshrrev_b32_e32 v24, 16, v8
	s_wait_alu 0xfffd
	v_cndmask_b32_e64 v1, 0, 1, vcc_lo
	v_lshlrev_b16 v22, 8, v22
	v_lshlrev_b16 v6, 8, v6
	v_and_b32_e32 v8, 0xff, v8
	v_lshlrev_b16 v23, 8, v23
	v_lshlrev_b16 v7, 8, v7
	v_and_b32_e32 v24, 0xff, v24
	v_or_b32_e32 v21, v21, v22
	v_or_b32_e32 v1, v1, v6
	;; [unrolled: 1-line block ×3, first 2 shown]
	s_delay_alu instid0(VALU_DEP_4) | instskip(NEXT) | instid1(VALU_DEP_4)
	v_or_b32_e32 v7, v24, v7
	v_and_b32_e32 v8, 0xffff, v21
	s_delay_alu instid0(VALU_DEP_4) | instskip(NEXT) | instid1(VALU_DEP_4)
	v_lshlrev_b32_e32 v1, 16, v1
	v_and_b32_e32 v6, 0xffff, v6
	s_delay_alu instid0(VALU_DEP_4) | instskip(NEXT) | instid1(VALU_DEP_3)
	v_lshlrev_b32_e32 v21, 16, v7
	v_or_b32_e32 v7, v8, v1
	s_delay_alu instid0(VALU_DEP_2)
	v_or_b32_e32 v1, v6, v21
.LBB748_49:
	s_or_b32 exec_lo, exec_lo, s1
	v_add_nc_u32_e32 v6, 3, v41
	v_lshrrev_b32_e32 v8, 24, v5
	v_lshrrev_b32_e32 v21, 16, v5
	;; [unrolled: 1-line block ×3, first 2 shown]
                                        ; implicit-def: $vgpr42
	s_delay_alu instid0(VALU_DEP_4) | instskip(SKIP_1) | instid1(SALU_CYCLE_1)
	v_cmp_le_u32_e32 vcc_lo, s33, v6
                                        ; implicit-def: $vgpr6
	s_and_saveexec_b32 s0, vcc_lo
	s_xor_b32 s0, exec_lo, s0
	s_cbranch_execz .LBB748_51
; %bb.50:
	v_lshlrev_b16 v6, 8, v8
	v_and_b32_e32 v8, 0xff, v21
	v_lshlrev_b16 v5, 8, v5
	v_perm_b32 v4, v4, v4, 0x3060504
	v_perm_b32 v3, v3, v3, 0x3060504
                                        ; implicit-def: $vgpr21
	s_delay_alu instid0(VALU_DEP_4) | instskip(SKIP_2) | instid1(VALU_DEP_3)
	v_or_b32_e32 v6, v8, v6
	v_and_b32_e32 v8, 0xff0000, v7
	v_and_b32_e32 v5, 0xffff, v5
	v_lshlrev_b32_e32 v6, 16, v6
	s_delay_alu instid0(VALU_DEP_3) | instskip(NEXT) | instid1(VALU_DEP_2)
	v_perm_b32 v42, v7, v8, 0x3020504
                                        ; implicit-def: $vgpr7
                                        ; implicit-def: $vgpr8
	v_or_b32_e32 v6, v5, v6
                                        ; implicit-def: $vgpr5
.LBB748_51:
	s_and_not1_saveexec_b32 s1, s0
	s_cbranch_execz .LBB748_55
; %bb.52:
	v_add_nc_u32_e32 v6, s17, v18
	v_add_nc_u32_e32 v22, s19, v18
	s_mov_b32 s2, 0
	s_mov_b32 s3, exec_lo
	s_delay_alu instid0(VALU_DEP_2) | instskip(NEXT) | instid1(VALU_DEP_2)
	v_mul_lo_u32 v6, v6, s16
	v_mul_lo_u32 v22, v22, s18
	s_delay_alu instid0(VALU_DEP_1) | instskip(NEXT) | instid1(VALU_DEP_1)
	v_sub_nc_u32_e32 v6, v6, v22
	v_cmp_lt_u32_e32 vcc_lo, s20, v6
	v_cmpx_ge_u32_e64 s20, v6
	s_cbranch_execz .LBB748_54
; %bb.53:
	v_add_nc_u32_e32 v6, s22, v18
	v_add_nc_u32_e32 v22, s42, v18
	s_delay_alu instid0(VALU_DEP_2) | instskip(NEXT) | instid1(VALU_DEP_2)
	v_mul_lo_u32 v6, v6, s21
	v_mul_lo_u32 v22, v22, s23
	s_delay_alu instid0(VALU_DEP_1) | instskip(NEXT) | instid1(VALU_DEP_1)
	v_sub_nc_u32_e32 v6, v6, v22
	v_cmp_lt_u32_e64 s0, s43, v6
	s_and_b32 s2, s0, exec_lo
.LBB748_54:
	s_wait_alu 0xfffe
	s_or_b32 exec_lo, exec_lo, s3
	v_lshrrev_b32_e32 v6, 8, v7
	s_wait_alu 0xfffd
	v_cndmask_b32_e64 v22, 0, 1, vcc_lo
	v_lshrrev_b32_e32 v23, 16, v7
	v_cndmask_b32_e64 v24, 0, 1, s2
	v_and_b32_e32 v7, 0xff, v7
	v_lshlrev_b16 v6, 8, v6
	v_lshlrev_b16 v22, 8, v22
	v_and_b32_e32 v23, 0xff, v23
	v_lshlrev_b16 v8, 8, v8
	v_and_b32_e32 v21, 0xff, v21
	v_lshlrev_b16 v5, 8, v5
	v_or_b32_e32 v6, v7, v6
	v_or_b32_e32 v7, v23, v22
	s_delay_alu instid0(VALU_DEP_4) | instskip(NEXT) | instid1(VALU_DEP_4)
	v_or_b32_e32 v8, v21, v8
	v_or_b32_e32 v5, v24, v5
	s_delay_alu instid0(VALU_DEP_4) | instskip(NEXT) | instid1(VALU_DEP_4)
	v_and_b32_e32 v6, 0xffff, v6
	v_lshlrev_b32_e32 v7, 16, v7
	s_delay_alu instid0(VALU_DEP_4) | instskip(NEXT) | instid1(VALU_DEP_4)
	v_lshlrev_b32_e32 v8, 16, v8
	v_and_b32_e32 v5, 0xffff, v5
	s_delay_alu instid0(VALU_DEP_3) | instskip(NEXT) | instid1(VALU_DEP_2)
	v_or_b32_e32 v42, v6, v7
	v_or_b32_e32 v6, v5, v8
.LBB748_55:
	s_or_b32 exec_lo, exec_lo, s1
	v_add_nc_u32_e32 v5, 4, v41
	v_lshrrev_b32_e32 v21, 8, v4
	v_lshrrev_b32_e32 v22, 16, v4
	;; [unrolled: 1-line block ×4, first 2 shown]
	v_cmp_le_u32_e32 vcc_lo, s33, v5
	v_lshrrev_b32_e32 v8, 16, v6
                                        ; implicit-def: $vgpr4
                                        ; implicit-def: $vgpr5
	s_and_saveexec_b32 s0, vcc_lo
	s_delay_alu instid0(SALU_CYCLE_1)
	s_xor_b32 s0, exec_lo, s0
	s_cbranch_execz .LBB748_57
; %bb.56:
	v_lshlrev_b16 v4, 8, v23
	v_and_b32_e32 v5, 0xff, v22
	v_lshlrev_b16 v21, 8, v21
	v_lshlrev_b16 v7, 8, v7
	v_and_b32_e32 v8, 0xff, v8
	v_perm_b32 v3, v3, v3, 0x3060504
	v_or_b32_e32 v4, v5, v4
	v_and_b32_e32 v5, 0xffff, v21
                                        ; implicit-def: $vgpr21
                                        ; implicit-def: $vgpr22
                                        ; implicit-def: $vgpr23
	s_delay_alu instid0(VALU_DEP_4) | instskip(NEXT) | instid1(VALU_DEP_3)
	v_or_b32_e32 v7, v8, v7
	v_lshlrev_b32_e32 v8, 16, v4
	s_delay_alu instid0(VALU_DEP_2) | instskip(NEXT) | instid1(VALU_DEP_2)
	v_perm_b32 v4, v7, v6, 0x5040c00
                                        ; implicit-def: $vgpr6
                                        ; implicit-def: $vgpr7
	v_or_b32_e32 v5, v5, v8
                                        ; implicit-def: $vgpr8
.LBB748_57:
	s_and_not1_saveexec_b32 s1, s0
	s_cbranch_execz .LBB748_61
; %bb.58:
	v_add_nc_u32_e32 v4, s17, v15
	v_add_nc_u32_e32 v5, s19, v15
	s_mov_b32 s2, 0
	s_mov_b32 s3, exec_lo
	s_delay_alu instid0(VALU_DEP_2) | instskip(NEXT) | instid1(VALU_DEP_2)
	v_mul_lo_u32 v4, v4, s16
	v_mul_lo_u32 v5, v5, s18
	s_delay_alu instid0(VALU_DEP_1) | instskip(NEXT) | instid1(VALU_DEP_1)
	v_sub_nc_u32_e32 v4, v4, v5
	v_cmp_lt_u32_e32 vcc_lo, s20, v4
	v_cmpx_ge_u32_e64 s20, v4
	s_cbranch_execz .LBB748_60
; %bb.59:
	v_add_nc_u32_e32 v4, s22, v15
	v_add_nc_u32_e32 v5, s42, v15
	s_delay_alu instid0(VALU_DEP_2) | instskip(NEXT) | instid1(VALU_DEP_2)
	v_mul_lo_u32 v4, v4, s21
	v_mul_lo_u32 v5, v5, s23
	s_delay_alu instid0(VALU_DEP_1) | instskip(NEXT) | instid1(VALU_DEP_1)
	v_sub_nc_u32_e32 v4, v4, v5
	v_cmp_lt_u32_e64 s0, s43, v4
	s_and_b32 s2, s0, exec_lo
.LBB748_60:
	s_wait_alu 0xfffe
	s_or_b32 exec_lo, exec_lo, s3
	v_cndmask_b32_e64 v4, 0, 1, s2
	s_wait_alu 0xfffd
	v_cndmask_b32_e64 v5, 0, 1, vcc_lo
	v_lshlrev_b16 v23, 8, v23
	v_and_b32_e32 v22, 0xff, v22
	v_lshlrev_b16 v21, 8, v21
	v_lshlrev_b16 v4, 8, v4
	v_and_b32_e32 v6, 0xff, v6
	v_lshlrev_b16 v7, 8, v7
	v_and_b32_e32 v8, 0xff, v8
	v_or_b32_e32 v22, v22, v23
	v_or_b32_e32 v5, v5, v21
	;; [unrolled: 1-line block ×3, first 2 shown]
	s_delay_alu instid0(VALU_DEP_4) | instskip(NEXT) | instid1(VALU_DEP_4)
	v_or_b32_e32 v6, v8, v7
	v_lshlrev_b32_e32 v7, 16, v22
	s_delay_alu instid0(VALU_DEP_4) | instskip(NEXT) | instid1(VALU_DEP_4)
	v_and_b32_e32 v5, 0xffff, v5
	v_and_b32_e32 v4, 0xffff, v4
	s_delay_alu instid0(VALU_DEP_4) | instskip(NEXT) | instid1(VALU_DEP_3)
	v_lshlrev_b32_e32 v6, 16, v6
	v_or_b32_e32 v5, v5, v7
	s_delay_alu instid0(VALU_DEP_2)
	v_or_b32_e32 v4, v4, v6
.LBB748_61:
	s_or_b32 exec_lo, exec_lo, s1
	v_add_nc_u32_e32 v6, 5, v41
	s_delay_alu instid0(VALU_DEP_2)
	v_lshrrev_b32_e32 v21, 16, v5
	v_lshrrev_b32_e32 v23, 24, v5
	v_and_b32_e32 v8, 0xff, v4
	v_lshrrev_b32_e32 v22, 8, v4
	v_cmp_le_u32_e32 vcc_lo, s33, v6
                                        ; implicit-def: $vgpr6
                                        ; implicit-def: $vgpr7
	s_and_saveexec_b32 s0, vcc_lo
	s_delay_alu instid0(SALU_CYCLE_1)
	s_xor_b32 s0, exec_lo, s0
	s_cbranch_execz .LBB748_63
; %bb.62:
	v_lshlrev_b16 v6, 8, v22
	v_lshlrev_b16 v7, 8, v23
	v_and_b32_e32 v21, 0xff, v21
	v_perm_b32 v3, v3, v3, 0x3060504
                                        ; implicit-def: $vgpr23
                                        ; implicit-def: $vgpr22
	s_delay_alu instid0(VALU_DEP_4) | instskip(NEXT) | instid1(VALU_DEP_3)
	v_or_b32_e32 v6, v8, v6
                                        ; implicit-def: $vgpr8
	v_or_b32_e32 v7, v21, v7
                                        ; implicit-def: $vgpr21
	s_delay_alu instid0(VALU_DEP_2) | instskip(NEXT) | instid1(VALU_DEP_2)
	v_and_b32_e32 v6, 0xffff, v6
	v_perm_b32 v7, v7, v5, 0x5040c00
                                        ; implicit-def: $vgpr5
	s_delay_alu instid0(VALU_DEP_2)
	v_and_or_b32 v6, 0xff000000, v4, v6
                                        ; implicit-def: $vgpr4
.LBB748_63:
	s_and_not1_saveexec_b32 s1, s0
	s_cbranch_execz .LBB748_67
; %bb.64:
	v_add_nc_u32_e32 v6, s17, v16
	v_add_nc_u32_e32 v7, s19, v16
	s_mov_b32 s2, 0
	s_mov_b32 s3, exec_lo
	s_delay_alu instid0(VALU_DEP_2) | instskip(NEXT) | instid1(VALU_DEP_2)
	v_mul_lo_u32 v6, v6, s16
	v_mul_lo_u32 v7, v7, s18
	s_delay_alu instid0(VALU_DEP_1) | instskip(NEXT) | instid1(VALU_DEP_1)
	v_sub_nc_u32_e32 v6, v6, v7
	v_cmp_lt_u32_e32 vcc_lo, s20, v6
	v_cmpx_ge_u32_e64 s20, v6
	s_cbranch_execz .LBB748_66
; %bb.65:
	v_add_nc_u32_e32 v6, s22, v16
	v_add_nc_u32_e32 v7, s42, v16
	s_delay_alu instid0(VALU_DEP_2) | instskip(NEXT) | instid1(VALU_DEP_2)
	v_mul_lo_u32 v6, v6, s21
	v_mul_lo_u32 v7, v7, s23
	s_delay_alu instid0(VALU_DEP_1) | instskip(NEXT) | instid1(VALU_DEP_1)
	v_sub_nc_u32_e32 v6, v6, v7
	v_cmp_lt_u32_e64 s0, s43, v6
	s_and_b32 s2, s0, exec_lo
.LBB748_66:
	s_wait_alu 0xfffe
	s_or_b32 exec_lo, exec_lo, s3
	s_wait_alu 0xfffd
	v_cndmask_b32_e64 v6, 0, 1, vcc_lo
	v_lshrrev_b32_e32 v4, 24, v4
	v_cndmask_b32_e64 v7, 0, 1, s2
	v_lshlrev_b16 v23, 8, v23
	v_and_b32_e32 v21, 0xff, v21
	v_lshlrev_b16 v6, 8, v6
	v_lshlrev_b16 v22, 8, v22
	v_and_b32_e32 v5, 0xff, v5
	v_lshlrev_b16 v4, 8, v4
	v_or_b32_e32 v21, v21, v23
	s_delay_alu instid0(VALU_DEP_4) | instskip(NEXT) | instid1(VALU_DEP_4)
	v_or_b32_e32 v8, v8, v22
	v_or_b32_e32 v5, v5, v6
	s_delay_alu instid0(VALU_DEP_4) | instskip(NEXT) | instid1(VALU_DEP_4)
	v_or_b32_e32 v4, v7, v4
	v_lshlrev_b32_e32 v6, 16, v21
	s_delay_alu instid0(VALU_DEP_4) | instskip(NEXT) | instid1(VALU_DEP_4)
	v_and_b32_e32 v8, 0xffff, v8
	v_and_b32_e32 v5, 0xffff, v5
	s_delay_alu instid0(VALU_DEP_4) | instskip(NEXT) | instid1(VALU_DEP_2)
	v_lshlrev_b32_e32 v4, 16, v4
	v_or_b32_e32 v7, v5, v6
	s_delay_alu instid0(VALU_DEP_2)
	v_or_b32_e32 v6, v8, v4
.LBB748_67:
	s_or_b32 exec_lo, exec_lo, s1
	v_add_nc_u32_e32 v4, 6, v41
	s_delay_alu instid0(VALU_DEP_3) | instskip(NEXT) | instid1(VALU_DEP_2)
	v_lshrrev_b32_e32 v8, 8, v7
                                        ; implicit-def: $vgpr43
                                        ; implicit-def: $vgpr5
	v_cmp_le_u32_e32 vcc_lo, s33, v4
	v_and_b32_e32 v4, 0xff, v7
	s_and_saveexec_b32 s0, vcc_lo
	s_delay_alu instid0(SALU_CYCLE_1)
	s_xor_b32 s0, exec_lo, s0
	s_cbranch_execz .LBB748_69
; %bb.68:
	v_lshlrev_b16 v5, 8, v8
	v_perm_b32 v3, v3, v3, 0x3060504
                                        ; implicit-def: $vgpr8
	s_delay_alu instid0(VALU_DEP_2) | instskip(SKIP_1) | instid1(VALU_DEP_2)
	v_or_b32_e32 v4, v4, v5
	v_and_b32_e32 v5, 0xff0000, v6
	v_and_b32_e32 v4, 0xffff, v4
	s_delay_alu instid0(VALU_DEP_2) | instskip(NEXT) | instid1(VALU_DEP_2)
	v_perm_b32 v43, v6, v5, 0x3020504
                                        ; implicit-def: $vgpr6
	v_and_or_b32 v5, 0xff000000, v7, v4
                                        ; implicit-def: $vgpr4
                                        ; implicit-def: $vgpr7
.LBB748_69:
	s_and_not1_saveexec_b32 s1, s0
	s_cbranch_execz .LBB748_73
; %bb.70:
	v_add_nc_u32_e32 v5, s17, v13
	v_add_nc_u32_e32 v21, s19, v13
	s_mov_b32 s2, 0
	s_mov_b32 s3, exec_lo
	s_delay_alu instid0(VALU_DEP_2) | instskip(NEXT) | instid1(VALU_DEP_2)
	v_mul_lo_u32 v5, v5, s16
	v_mul_lo_u32 v21, v21, s18
	s_delay_alu instid0(VALU_DEP_1) | instskip(NEXT) | instid1(VALU_DEP_1)
	v_sub_nc_u32_e32 v5, v5, v21
	v_cmp_lt_u32_e32 vcc_lo, s20, v5
	v_cmpx_ge_u32_e64 s20, v5
	s_cbranch_execz .LBB748_72
; %bb.71:
	v_add_nc_u32_e32 v5, s22, v13
	v_add_nc_u32_e32 v21, s42, v13
	s_delay_alu instid0(VALU_DEP_2) | instskip(NEXT) | instid1(VALU_DEP_2)
	v_mul_lo_u32 v5, v5, s21
	v_mul_lo_u32 v21, v21, s23
	s_delay_alu instid0(VALU_DEP_1) | instskip(NEXT) | instid1(VALU_DEP_1)
	v_sub_nc_u32_e32 v5, v5, v21
	v_cmp_lt_u32_e64 s0, s43, v5
	s_and_b32 s2, s0, exec_lo
.LBB748_72:
	s_wait_alu 0xfffe
	s_or_b32 exec_lo, exec_lo, s3
	v_lshrrev_b32_e32 v7, 24, v7
	v_cndmask_b32_e64 v21, 0, 1, s2
	v_lshrrev_b32_e32 v22, 8, v6
	v_lshrrev_b32_e32 v23, 16, v6
	s_wait_alu 0xfffd
	v_cndmask_b32_e64 v5, 0, 1, vcc_lo
	v_lshlrev_b16 v8, 8, v8
	v_lshlrev_b16 v7, 8, v7
	v_and_b32_e32 v6, 0xff, v6
	v_lshlrev_b16 v22, 8, v22
	v_lshlrev_b16 v21, 8, v21
	v_and_b32_e32 v23, 0xff, v23
	v_or_b32_e32 v4, v4, v8
	v_or_b32_e32 v5, v5, v7
	;; [unrolled: 1-line block ×3, first 2 shown]
	s_delay_alu instid0(VALU_DEP_4) | instskip(NEXT) | instid1(VALU_DEP_4)
	v_or_b32_e32 v7, v23, v21
	v_and_b32_e32 v4, 0xffff, v4
	s_delay_alu instid0(VALU_DEP_4) | instskip(NEXT) | instid1(VALU_DEP_4)
	v_lshlrev_b32_e32 v5, 16, v5
	v_and_b32_e32 v6, 0xffff, v6
	s_delay_alu instid0(VALU_DEP_4) | instskip(NEXT) | instid1(VALU_DEP_3)
	v_lshlrev_b32_e32 v7, 16, v7
	v_or_b32_e32 v5, v4, v5
	s_delay_alu instid0(VALU_DEP_2)
	v_or_b32_e32 v43, v6, v7
.LBB748_73:
	s_or_b32 exec_lo, exec_lo, s1
	v_add_nc_u32_e32 v4, 7, v41
	v_lshrrev_b32_e32 v6, 8, v3
	v_lshrrev_b32_e32 v7, 16, v3
	;; [unrolled: 1-line block ×3, first 2 shown]
                                        ; implicit-def: $vgpr44
	s_delay_alu instid0(VALU_DEP_4) | instskip(SKIP_1) | instid1(SALU_CYCLE_1)
	v_cmp_le_u32_e32 vcc_lo, s33, v4
                                        ; implicit-def: $vgpr4
	s_and_saveexec_b32 s0, vcc_lo
	s_xor_b32 s0, exec_lo, s0
	s_cbranch_execz .LBB748_75
; %bb.74:
	v_lshlrev_b16 v3, 8, v3
	v_and_b32_e32 v4, 0xff, v7
                                        ; implicit-def: $vgpr7
	s_delay_alu instid0(VALU_DEP_1) | instskip(SKIP_2) | instid1(VALU_DEP_3)
	v_or_b32_e32 v3, v4, v3
	v_lshlrev_b16 v4, 8, v6
	v_and_b32_e32 v6, 0xff0000, v5
	v_lshlrev_b32_e32 v3, 16, v3
	s_delay_alu instid0(VALU_DEP_3) | instskip(NEXT) | instid1(VALU_DEP_3)
	v_and_b32_e32 v4, 0xffff, v4
	v_perm_b32 v44, v5, v6, 0x3020504
                                        ; implicit-def: $vgpr5
                                        ; implicit-def: $vgpr6
	s_delay_alu instid0(VALU_DEP_2)
	v_or_b32_e32 v4, v4, v3
                                        ; implicit-def: $vgpr3
.LBB748_75:
	s_and_not1_saveexec_b32 s1, s0
	s_cbranch_execz .LBB748_79
; %bb.76:
	v_add_nc_u32_e32 v4, s17, v14
	v_add_nc_u32_e32 v8, s19, v14
	s_mov_b32 s2, 0
	s_mov_b32 s3, exec_lo
	s_delay_alu instid0(VALU_DEP_2) | instskip(NEXT) | instid1(VALU_DEP_2)
	v_mul_lo_u32 v4, v4, s16
	v_mul_lo_u32 v8, v8, s18
	s_delay_alu instid0(VALU_DEP_1) | instskip(NEXT) | instid1(VALU_DEP_1)
	v_sub_nc_u32_e32 v4, v4, v8
	v_cmp_lt_u32_e32 vcc_lo, s20, v4
	v_cmpx_ge_u32_e64 s20, v4
	s_cbranch_execz .LBB748_78
; %bb.77:
	v_add_nc_u32_e32 v4, s22, v14
	v_add_nc_u32_e32 v8, s42, v14
	s_delay_alu instid0(VALU_DEP_2) | instskip(NEXT) | instid1(VALU_DEP_2)
	v_mul_lo_u32 v4, v4, s21
	v_mul_lo_u32 v8, v8, s23
	s_delay_alu instid0(VALU_DEP_1) | instskip(NEXT) | instid1(VALU_DEP_1)
	v_sub_nc_u32_e32 v4, v4, v8
	v_cmp_lt_u32_e64 s0, s43, v4
	s_and_b32 s2, s0, exec_lo
.LBB748_78:
	s_wait_alu 0xfffe
	s_or_b32 exec_lo, exec_lo, s3
	v_lshrrev_b32_e32 v4, 8, v5
	s_wait_alu 0xfffd
	v_cndmask_b32_e64 v8, 0, 1, vcc_lo
	v_lshrrev_b32_e32 v21, 16, v5
	v_cndmask_b32_e64 v22, 0, 1, s2
	v_and_b32_e32 v5, 0xff, v5
	v_lshlrev_b16 v4, 8, v4
	v_lshlrev_b16 v8, 8, v8
	v_and_b32_e32 v21, 0xff, v21
	v_lshlrev_b16 v3, 8, v3
	v_and_b32_e32 v7, 0xff, v7
	v_lshlrev_b16 v6, 8, v6
	v_or_b32_e32 v4, v5, v4
	v_or_b32_e32 v5, v21, v8
	s_delay_alu instid0(VALU_DEP_4) | instskip(NEXT) | instid1(VALU_DEP_4)
	v_or_b32_e32 v3, v7, v3
	v_or_b32_e32 v6, v22, v6
	s_delay_alu instid0(VALU_DEP_4) | instskip(NEXT) | instid1(VALU_DEP_4)
	v_and_b32_e32 v4, 0xffff, v4
	v_lshlrev_b32_e32 v5, 16, v5
	s_delay_alu instid0(VALU_DEP_4) | instskip(NEXT) | instid1(VALU_DEP_4)
	v_lshlrev_b32_e32 v3, 16, v3
	v_and_b32_e32 v6, 0xffff, v6
	s_delay_alu instid0(VALU_DEP_3) | instskip(NEXT) | instid1(VALU_DEP_2)
	v_or_b32_e32 v44, v4, v5
	v_or_b32_e32 v4, v6, v3
.LBB748_79:
	s_or_b32 exec_lo, exec_lo, s1
	v_add_nc_u32_e32 v3, 8, v41
	s_delay_alu instid0(VALU_DEP_2)
	v_lshrrev_b32_e32 v5, 16, v4
	v_lshrrev_b32_e32 v6, 24, v4
	;; [unrolled: 1-line block ×4, first 2 shown]
	v_cmp_le_u32_e32 vcc_lo, s33, v3
	v_lshrrev_b32_e32 v7, 8, v2
                                        ; implicit-def: $vgpr2
                                        ; implicit-def: $vgpr3
	s_and_saveexec_b32 s0, vcc_lo
	s_delay_alu instid0(SALU_CYCLE_1)
	s_xor_b32 s0, exec_lo, s0
	s_cbranch_execz .LBB748_81
; %bb.80:
	v_lshlrev_b16 v2, 8, v8
	v_and_b32_e32 v3, 0xff, v21
	v_lshlrev_b16 v7, 8, v7
	v_lshlrev_b16 v6, 8, v6
	v_perm_b32 v1, v1, v1, 0x3060504
                                        ; implicit-def: $vgpr8
                                        ; implicit-def: $vgpr21
	s_delay_alu instid0(VALU_DEP_4) | instskip(SKIP_2) | instid1(VALU_DEP_3)
	v_or_b32_e32 v2, v3, v2
	v_and_b32_e32 v3, 0xff, v5
	v_and_b32_e32 v5, 0xffff, v7
                                        ; implicit-def: $vgpr7
	v_lshlrev_b32_e32 v2, 16, v2
	s_delay_alu instid0(VALU_DEP_3) | instskip(NEXT) | instid1(VALU_DEP_2)
	v_or_b32_e32 v6, v3, v6
	v_or_b32_e32 v3, v5, v2
	s_delay_alu instid0(VALU_DEP_2)
	v_perm_b32 v2, v6, v4, 0x5040c00
                                        ; implicit-def: $vgpr4
                                        ; implicit-def: $vgpr5
                                        ; implicit-def: $vgpr6
.LBB748_81:
	s_and_not1_saveexec_b32 s1, s0
	s_cbranch_execz .LBB748_85
; %bb.82:
	v_add_nc_u32_e32 v2, s17, v11
	v_add_nc_u32_e32 v3, s19, v11
	s_mov_b32 s2, 0
	s_mov_b32 s3, exec_lo
	s_delay_alu instid0(VALU_DEP_2) | instskip(NEXT) | instid1(VALU_DEP_2)
	v_mul_lo_u32 v2, v2, s16
	v_mul_lo_u32 v3, v3, s18
	s_delay_alu instid0(VALU_DEP_1) | instskip(NEXT) | instid1(VALU_DEP_1)
	v_sub_nc_u32_e32 v2, v2, v3
	v_cmp_lt_u32_e32 vcc_lo, s20, v2
	v_cmpx_ge_u32_e64 s20, v2
	s_cbranch_execz .LBB748_84
; %bb.83:
	v_add_nc_u32_e32 v2, s22, v11
	v_add_nc_u32_e32 v3, s42, v11
	s_delay_alu instid0(VALU_DEP_2) | instskip(NEXT) | instid1(VALU_DEP_2)
	v_mul_lo_u32 v2, v2, s21
	v_mul_lo_u32 v3, v3, s23
	s_delay_alu instid0(VALU_DEP_1) | instskip(NEXT) | instid1(VALU_DEP_1)
	v_sub_nc_u32_e32 v2, v2, v3
	v_cmp_lt_u32_e64 s0, s43, v2
	s_and_b32 s2, s0, exec_lo
.LBB748_84:
	s_wait_alu 0xfffe
	s_or_b32 exec_lo, exec_lo, s3
	v_cndmask_b32_e64 v2, 0, 1, s2
	s_wait_alu 0xfffd
	v_cndmask_b32_e64 v3, 0, 1, vcc_lo
	v_lshlrev_b16 v8, 8, v8
	v_and_b32_e32 v21, 0xff, v21
	v_lshlrev_b16 v7, 8, v7
	v_lshlrev_b16 v2, 8, v2
	v_and_b32_e32 v4, 0xff, v4
	v_lshlrev_b16 v6, 8, v6
	v_and_b32_e32 v5, 0xff, v5
	v_or_b32_e32 v8, v21, v8
	v_or_b32_e32 v3, v3, v7
	v_or_b32_e32 v2, v4, v2
	s_delay_alu instid0(VALU_DEP_4) | instskip(NEXT) | instid1(VALU_DEP_4)
	v_or_b32_e32 v4, v5, v6
	v_lshlrev_b32_e32 v5, 16, v8
	s_delay_alu instid0(VALU_DEP_4) | instskip(NEXT) | instid1(VALU_DEP_4)
	v_and_b32_e32 v3, 0xffff, v3
	v_and_b32_e32 v2, 0xffff, v2
	s_delay_alu instid0(VALU_DEP_4) | instskip(NEXT) | instid1(VALU_DEP_3)
	v_lshlrev_b32_e32 v4, 16, v4
	v_or_b32_e32 v3, v3, v5
	s_delay_alu instid0(VALU_DEP_2)
	v_or_b32_e32 v2, v2, v4
.LBB748_85:
	s_or_b32 exec_lo, exec_lo, s1
	v_add_nc_u32_e32 v4, 9, v41
	s_delay_alu instid0(VALU_DEP_2)
	v_lshrrev_b32_e32 v6, 8, v2
	v_lshrrev_b32_e32 v21, 24, v3
	;; [unrolled: 1-line block ×3, first 2 shown]
	v_and_b32_e32 v7, 0xff, v2
	v_cmp_le_u32_e32 vcc_lo, s33, v4
                                        ; implicit-def: $vgpr4
                                        ; implicit-def: $vgpr5
	s_and_saveexec_b32 s0, vcc_lo
	s_delay_alu instid0(SALU_CYCLE_1)
	s_xor_b32 s0, exec_lo, s0
	s_cbranch_execz .LBB748_87
; %bb.86:
	v_lshlrev_b16 v4, 8, v6
	v_lshlrev_b16 v5, 8, v21
	v_and_b32_e32 v6, 0xff, v8
	v_perm_b32 v1, v1, v1, 0x3060504
                                        ; implicit-def: $vgpr21
                                        ; implicit-def: $vgpr8
	s_delay_alu instid0(VALU_DEP_4) | instskip(NEXT) | instid1(VALU_DEP_3)
	v_or_b32_e32 v4, v7, v4
                                        ; implicit-def: $vgpr7
	v_or_b32_e32 v5, v6, v5
                                        ; implicit-def: $vgpr6
	s_delay_alu instid0(VALU_DEP_2) | instskip(NEXT) | instid1(VALU_DEP_2)
	v_and_b32_e32 v4, 0xffff, v4
	v_perm_b32 v5, v5, v3, 0x5040c00
                                        ; implicit-def: $vgpr3
	s_delay_alu instid0(VALU_DEP_2)
	v_and_or_b32 v4, 0xff000000, v2, v4
                                        ; implicit-def: $vgpr2
.LBB748_87:
	s_and_not1_saveexec_b32 s1, s0
	s_cbranch_execz .LBB748_91
; %bb.88:
	v_add_nc_u32_e32 v4, s17, v12
	v_add_nc_u32_e32 v5, s19, v12
	s_mov_b32 s2, 0
	s_mov_b32 s3, exec_lo
	s_delay_alu instid0(VALU_DEP_2) | instskip(NEXT) | instid1(VALU_DEP_2)
	v_mul_lo_u32 v4, v4, s16
	v_mul_lo_u32 v5, v5, s18
	s_delay_alu instid0(VALU_DEP_1) | instskip(NEXT) | instid1(VALU_DEP_1)
	v_sub_nc_u32_e32 v4, v4, v5
	v_cmp_lt_u32_e32 vcc_lo, s20, v4
	v_cmpx_ge_u32_e64 s20, v4
	s_cbranch_execz .LBB748_90
; %bb.89:
	v_add_nc_u32_e32 v4, s22, v12
	v_add_nc_u32_e32 v5, s42, v12
	s_delay_alu instid0(VALU_DEP_2) | instskip(NEXT) | instid1(VALU_DEP_2)
	v_mul_lo_u32 v4, v4, s21
	v_mul_lo_u32 v5, v5, s23
	s_delay_alu instid0(VALU_DEP_1) | instskip(NEXT) | instid1(VALU_DEP_1)
	v_sub_nc_u32_e32 v4, v4, v5
	v_cmp_lt_u32_e64 s0, s43, v4
	s_and_b32 s2, s0, exec_lo
.LBB748_90:
	s_wait_alu 0xfffe
	s_or_b32 exec_lo, exec_lo, s3
	s_wait_alu 0xfffd
	v_cndmask_b32_e64 v4, 0, 1, vcc_lo
	v_lshrrev_b32_e32 v2, 24, v2
	v_cndmask_b32_e64 v5, 0, 1, s2
	v_lshlrev_b16 v21, 8, v21
	v_and_b32_e32 v8, 0xff, v8
	v_lshlrev_b16 v4, 8, v4
	v_lshlrev_b16 v6, 8, v6
	v_and_b32_e32 v3, 0xff, v3
	v_lshlrev_b16 v2, 8, v2
	v_or_b32_e32 v8, v8, v21
	s_delay_alu instid0(VALU_DEP_4) | instskip(NEXT) | instid1(VALU_DEP_4)
	v_or_b32_e32 v6, v7, v6
	v_or_b32_e32 v3, v3, v4
	s_delay_alu instid0(VALU_DEP_4) | instskip(NEXT) | instid1(VALU_DEP_4)
	v_or_b32_e32 v2, v5, v2
	v_lshlrev_b32_e32 v4, 16, v8
	s_delay_alu instid0(VALU_DEP_4) | instskip(NEXT) | instid1(VALU_DEP_4)
	v_and_b32_e32 v6, 0xffff, v6
	v_and_b32_e32 v3, 0xffff, v3
	s_delay_alu instid0(VALU_DEP_4) | instskip(NEXT) | instid1(VALU_DEP_2)
	v_lshlrev_b32_e32 v2, 16, v2
	v_or_b32_e32 v5, v3, v4
	s_delay_alu instid0(VALU_DEP_2)
	v_or_b32_e32 v4, v6, v2
.LBB748_91:
	s_or_b32 exec_lo, exec_lo, s1
	v_add_nc_u32_e32 v2, 10, v41
	s_delay_alu instid0(VALU_DEP_3) | instskip(SKIP_1) | instid1(VALU_DEP_3)
	v_and_b32_e32 v3, 0xff, v5
	v_lshrrev_b32_e32 v6, 8, v5
                                        ; implicit-def: $vgpr46
	v_cmp_le_u32_e32 vcc_lo, s33, v2
                                        ; implicit-def: $vgpr2
	s_and_saveexec_b32 s0, vcc_lo
	s_delay_alu instid0(SALU_CYCLE_1)
	s_xor_b32 s0, exec_lo, s0
	s_cbranch_execz .LBB748_93
; %bb.92:
	v_lshlrev_b16 v2, 8, v6
	v_perm_b32 v1, v1, v1, 0x3060504
                                        ; implicit-def: $vgpr6
	s_delay_alu instid0(VALU_DEP_2) | instskip(SKIP_1) | instid1(VALU_DEP_2)
	v_or_b32_e32 v2, v3, v2
	v_and_b32_e32 v3, 0xff0000, v4
	v_and_b32_e32 v2, 0xffff, v2
	s_delay_alu instid0(VALU_DEP_2) | instskip(NEXT) | instid1(VALU_DEP_2)
	v_perm_b32 v46, v4, v3, 0x3020504
                                        ; implicit-def: $vgpr3
                                        ; implicit-def: $vgpr4
	v_and_or_b32 v2, 0xff000000, v5, v2
                                        ; implicit-def: $vgpr5
.LBB748_93:
	s_and_not1_saveexec_b32 s1, s0
	s_cbranch_execz .LBB748_97
; %bb.94:
	v_add_nc_u32_e32 v2, s17, v9
	v_add_nc_u32_e32 v7, s19, v9
	s_mov_b32 s2, 0
	s_mov_b32 s3, exec_lo
	s_delay_alu instid0(VALU_DEP_2) | instskip(NEXT) | instid1(VALU_DEP_2)
	v_mul_lo_u32 v2, v2, s16
	v_mul_lo_u32 v7, v7, s18
	s_delay_alu instid0(VALU_DEP_1) | instskip(NEXT) | instid1(VALU_DEP_1)
	v_sub_nc_u32_e32 v2, v2, v7
	v_cmp_lt_u32_e32 vcc_lo, s20, v2
	v_cmpx_ge_u32_e64 s20, v2
	s_cbranch_execz .LBB748_96
; %bb.95:
	v_add_nc_u32_e32 v2, s22, v9
	v_add_nc_u32_e32 v7, s42, v9
	s_delay_alu instid0(VALU_DEP_2) | instskip(NEXT) | instid1(VALU_DEP_2)
	v_mul_lo_u32 v2, v2, s21
	v_mul_lo_u32 v7, v7, s23
	s_delay_alu instid0(VALU_DEP_1) | instskip(NEXT) | instid1(VALU_DEP_1)
	v_sub_nc_u32_e32 v2, v2, v7
	v_cmp_lt_u32_e64 s0, s43, v2
	s_and_b32 s2, s0, exec_lo
.LBB748_96:
	s_wait_alu 0xfffe
	s_or_b32 exec_lo, exec_lo, s3
	v_lshrrev_b32_e32 v5, 24, v5
	v_cndmask_b32_e64 v7, 0, 1, s2
	v_lshrrev_b32_e32 v8, 8, v4
	v_lshrrev_b32_e32 v21, 16, v4
	s_wait_alu 0xfffd
	v_cndmask_b32_e64 v2, 0, 1, vcc_lo
	v_lshlrev_b16 v6, 8, v6
	v_lshlrev_b16 v5, 8, v5
	v_and_b32_e32 v4, 0xff, v4
	v_lshlrev_b16 v8, 8, v8
	v_lshlrev_b16 v7, 8, v7
	v_and_b32_e32 v21, 0xff, v21
	v_or_b32_e32 v3, v3, v6
	v_or_b32_e32 v2, v2, v5
	;; [unrolled: 1-line block ×3, first 2 shown]
	s_delay_alu instid0(VALU_DEP_4) | instskip(NEXT) | instid1(VALU_DEP_4)
	v_or_b32_e32 v5, v21, v7
	v_and_b32_e32 v3, 0xffff, v3
	s_delay_alu instid0(VALU_DEP_4) | instskip(NEXT) | instid1(VALU_DEP_4)
	v_lshlrev_b32_e32 v2, 16, v2
	v_and_b32_e32 v4, 0xffff, v4
	s_delay_alu instid0(VALU_DEP_4) | instskip(NEXT) | instid1(VALU_DEP_3)
	v_lshlrev_b32_e32 v5, 16, v5
	v_or_b32_e32 v2, v3, v2
	s_delay_alu instid0(VALU_DEP_2)
	v_or_b32_e32 v46, v4, v5
.LBB748_97:
	s_or_b32 exec_lo, exec_lo, s1
	v_add_nc_u32_e32 v3, 11, v41
	v_mov_b32_e32 v45, 0
	s_mov_b32 s0, exec_lo
                                        ; implicit-def: $vgpr47
	s_delay_alu instid0(VALU_DEP_2)
	v_cmpx_le_u32_e64 s33, v3
	s_xor_b32 s0, exec_lo, s0
; %bb.98:
	v_and_b32_e32 v3, 0xff0000, v2
	v_perm_b32 v1, v1, v1, 0x3060504
	s_delay_alu instid0(VALU_DEP_2)
	v_perm_b32 v47, v2, v3, 0x3020504
                                        ; implicit-def: $vgpr2
; %bb.99:
	s_and_not1_saveexec_b32 s1, s0
	s_cbranch_execz .LBB748_103
; %bb.100:
	v_add_nc_u32_e32 v3, s17, v10
	v_add_nc_u32_e32 v4, s19, v10
	s_mov_b32 s2, 0
	s_mov_b32 s3, exec_lo
	s_delay_alu instid0(VALU_DEP_2) | instskip(NEXT) | instid1(VALU_DEP_2)
	v_mul_lo_u32 v3, v3, s16
	v_mul_lo_u32 v4, v4, s18
	s_delay_alu instid0(VALU_DEP_1) | instskip(NEXT) | instid1(VALU_DEP_1)
	v_sub_nc_u32_e32 v3, v3, v4
	v_cmp_lt_u32_e32 vcc_lo, s20, v3
	v_cmpx_ge_u32_e64 s20, v3
	s_cbranch_execz .LBB748_102
; %bb.101:
	v_add_nc_u32_e32 v3, s22, v10
	v_add_nc_u32_e32 v4, s42, v10
	s_delay_alu instid0(VALU_DEP_2) | instskip(NEXT) | instid1(VALU_DEP_2)
	v_mul_lo_u32 v3, v3, s21
	v_mul_lo_u32 v4, v4, s23
	s_delay_alu instid0(VALU_DEP_1) | instskip(NEXT) | instid1(VALU_DEP_1)
	v_sub_nc_u32_e32 v3, v3, v4
	v_cmp_lt_u32_e64 s0, s43, v3
	s_and_b32 s2, s0, exec_lo
.LBB748_102:
	s_wait_alu 0xfffe
	s_or_b32 exec_lo, exec_lo, s3
	v_lshrrev_b32_e32 v3, 8, v2
	s_wait_alu 0xfffd
	v_cndmask_b32_e64 v4, 0, 1, vcc_lo
	v_lshrrev_b32_e32 v5, 16, v2
	v_and_b32_e32 v2, 0xff, v2
	v_cndmask_b32_e64 v45, 0, 1, s2
	v_lshlrev_b16 v3, 8, v3
	v_lshlrev_b16 v4, 8, v4
	v_and_b32_e32 v5, 0xff, v5
	s_delay_alu instid0(VALU_DEP_3) | instskip(NEXT) | instid1(VALU_DEP_2)
	v_or_b32_e32 v2, v2, v3
	v_or_b32_e32 v3, v5, v4
	s_delay_alu instid0(VALU_DEP_2) | instskip(NEXT) | instid1(VALU_DEP_2)
	v_and_b32_e32 v2, 0xffff, v2
	v_lshlrev_b32_e32 v3, 16, v3
	s_delay_alu instid0(VALU_DEP_1)
	v_or_b32_e32 v47, v2, v3
.LBB748_103:
	s_or_b32 exec_lo, exec_lo, s1
	v_add_nc_u32_e32 v4, 12, v41
	v_lshrrev_b32_e32 v2, 8, v1
	v_lshrrev_b32_e32 v3, 16, v1
	;; [unrolled: 1-line block ×3, first 2 shown]
	s_mov_b32 s0, exec_lo
                                        ; implicit-def: $vgpr49
	v_cmpx_le_u32_e64 s33, v4
	s_xor_b32 s0, exec_lo, s0
	s_cbranch_execz .LBB748_105
; %bb.104:
	v_lshlrev_b16 v1, 8, v1
	v_and_b32_e32 v3, 0xff, v3
	v_lshlrev_b16 v2, 8, v2
	s_delay_alu instid0(VALU_DEP_2) | instskip(NEXT) | instid1(VALU_DEP_2)
	v_or_b32_e32 v1, v3, v1
	v_and_b32_e32 v2, 0xffff, v2
                                        ; implicit-def: $vgpr3
	s_delay_alu instid0(VALU_DEP_2) | instskip(NEXT) | instid1(VALU_DEP_1)
	v_lshlrev_b32_e32 v1, 16, v1
	v_or_b32_e32 v49, v2, v1
                                        ; implicit-def: $vgpr1
                                        ; implicit-def: $vgpr2
.LBB748_105:
	s_or_saveexec_b32 s1, s0
	v_mov_b32_e32 v48, 0
	s_xor_b32 exec_lo, exec_lo, s1
	s_cbranch_execz .LBB748_109
; %bb.106:
	v_add_nc_u32_e32 v4, s17, v40
	v_add_nc_u32_e32 v5, s19, v40
	s_mov_b32 s2, 0
	s_mov_b32 s3, exec_lo
	s_delay_alu instid0(VALU_DEP_2) | instskip(NEXT) | instid1(VALU_DEP_2)
	v_mul_lo_u32 v4, v4, s16
	v_mul_lo_u32 v5, v5, s18
	s_delay_alu instid0(VALU_DEP_1) | instskip(NEXT) | instid1(VALU_DEP_1)
	v_sub_nc_u32_e32 v4, v4, v5
	v_cmp_lt_u32_e32 vcc_lo, s20, v4
	v_cmpx_ge_u32_e64 s20, v4
	s_cbranch_execz .LBB748_108
; %bb.107:
	v_add_nc_u32_e32 v4, s22, v40
	v_add_nc_u32_e32 v5, s42, v40
	s_delay_alu instid0(VALU_DEP_2) | instskip(NEXT) | instid1(VALU_DEP_2)
	v_mul_lo_u32 v4, v4, s21
	v_mul_lo_u32 v5, v5, s23
	s_delay_alu instid0(VALU_DEP_1) | instskip(NEXT) | instid1(VALU_DEP_1)
	v_sub_nc_u32_e32 v4, v4, v5
	v_cmp_lt_u32_e64 s0, s43, v4
	s_and_b32 s2, s0, exec_lo
.LBB748_108:
	s_wait_alu 0xfffe
	s_or_b32 exec_lo, exec_lo, s3
	s_wait_alu 0xfffd
	v_cndmask_b32_e64 v4, 0, 1, vcc_lo
	v_lshlrev_b16 v1, 8, v1
	v_and_b32_e32 v3, 0xff, v3
	v_lshlrev_b16 v2, 8, v2
	v_cndmask_b32_e64 v48, 0, 1, s2
	s_delay_alu instid0(VALU_DEP_3) | instskip(NEXT) | instid1(VALU_DEP_3)
	v_or_b32_e32 v1, v3, v1
	v_or_b32_e32 v2, v4, v2
	s_delay_alu instid0(VALU_DEP_2) | instskip(NEXT) | instid1(VALU_DEP_2)
	v_lshlrev_b32_e32 v1, 16, v1
	v_and_b32_e32 v2, 0xffff, v2
	s_delay_alu instid0(VALU_DEP_1)
	v_or_b32_e32 v49, v2, v1
.LBB748_109:
	s_or_b32 exec_lo, exec_lo, s1
.LBB748_110:
	v_and_b32_e32 v72, 0xff, v42
	s_delay_alu instid0(VALU_DEP_2)
	v_bfe_u32 v73, v49, 8, 8
	v_bfe_u32 v70, v42, 8, 8
	;; [unrolled: 1-line block ×4, first 2 shown]
	v_lshrrev_b32_e32 v55, 24, v49
	v_lshrrev_b32_e32 v54, 24, v42
	v_and_b32_e32 v68, 0xff, v43
	v_and_b32_e32 v66, 0xff, v44
	v_bfe_u32 v67, v43, 8, 8
	v_add3_u32 v1, v70, v72, v69
	v_add3_u32 v2, v71, v73, v55
	v_bfe_u32 v64, v44, 8, 8
	v_bfe_u32 v65, v43, 16, 8
	;; [unrolled: 1-line block ×3, first 2 shown]
	v_lshrrev_b32_e32 v53, 24, v43
	v_add3_u32 v1, v1, v54, v66
	v_add3_u32 v2, v2, v68, v67
	v_lshrrev_b32_e32 v52, 24, v44
	v_and_b32_e32 v63, 0xff, v46
	v_and_b32_e32 v61, 0xff, v47
	v_bfe_u32 v62, v46, 8, 8
	v_add3_u32 v1, v1, v64, v59
	v_add3_u32 v2, v2, v65, v53
	v_bfe_u32 v58, v47, 8, 8
	v_bfe_u32 v60, v46, 16, 8
	;; [unrolled: 1-line block ×3, first 2 shown]
	v_lshrrev_b32_e32 v51, 24, v46
	v_add3_u32 v1, v1, v52, v61
	v_add3_u32 v2, v2, v63, v62
	v_mbcnt_lo_u32_b32 v74, -1, 0
	v_lshrrev_b32_e32 v50, 24, v47
	v_and_b32_e32 v57, 0xff, v45
	v_and_b32_e32 v3, 0xff, v49
	;; [unrolled: 1-line block ×3, first 2 shown]
	v_add3_u32 v1, v1, v58, v56
	v_add3_u32 v2, v2, v60, v51
	v_and_b32_e32 v76, 15, v74
	v_and_b32_e32 v78, 16, v74
	v_lshrrev_b32_e32 v75, 5, v0
	v_add3_u32 v79, v1, v50, v3
	v_add3_u32 v80, v2, v57, v4
	v_cmp_eq_u32_e64 s1, 0, v76
	v_cmp_lt_u32_e64 s0, 1, v76
	v_cmp_lt_u32_e64 s2, 3, v76
	v_or_b32_e32 v77, 31, v0
	s_cmp_lg_u32 ttmp9, 0
	s_mov_b32 s3, -1
	v_cmp_lt_u32_e32 vcc_lo, 7, v76
	s_cbranch_scc0 .LBB748_131
; %bb.111:
	v_mov_b32_dpp v2, v79 row_shr:1 row_mask:0xf bank_mask:0xf
	v_mov_b32_dpp v1, v80 row_shr:1 row_mask:0xf bank_mask:0xf
	s_mov_b32 s3, exec_lo
	s_delay_alu instid0(VALU_DEP_2) | instskip(NEXT) | instid1(VALU_DEP_2)
	v_add_nc_u32_e32 v2, v2, v79
	v_add_nc_u32_e32 v1, v1, v80
	s_delay_alu instid0(VALU_DEP_2) | instskip(NEXT) | instid1(VALU_DEP_2)
	v_cndmask_b32_e64 v2, v2, v79, s1
	v_cndmask_b32_e64 v1, v1, v80, s1
	s_delay_alu instid0(VALU_DEP_2) | instskip(NEXT) | instid1(VALU_DEP_2)
	v_mov_b32_dpp v4, v2 row_shr:2 row_mask:0xf bank_mask:0xf
	v_mov_b32_dpp v3, v1 row_shr:2 row_mask:0xf bank_mask:0xf
	s_delay_alu instid0(VALU_DEP_2) | instskip(NEXT) | instid1(VALU_DEP_1)
	v_add_nc_u32_e32 v4, v2, v4
	v_cndmask_b32_e64 v2, v2, v4, s0
	s_delay_alu instid0(VALU_DEP_1) | instskip(NEXT) | instid1(VALU_DEP_1)
	v_mov_b32_dpp v4, v2 row_shr:4 row_mask:0xf bank_mask:0xf
	v_add_nc_u32_e32 v4, v2, v4
	s_wait_alu 0xf1ff
	s_delay_alu instid0(VALU_DEP_1) | instskip(NEXT) | instid1(VALU_DEP_1)
	v_cndmask_b32_e64 v2, v2, v4, s2
	v_mov_b32_dpp v4, v2 row_shr:8 row_mask:0xf bank_mask:0xf
	s_delay_alu instid0(VALU_DEP_1) | instskip(SKIP_1) | instid1(VALU_DEP_1)
	v_add_nc_u32_e32 v4, v2, v4
	s_wait_alu 0xfffd
	v_dual_cndmask_b32 v2, v2, v4 :: v_dual_add_nc_u32 v3, v1, v3
	s_delay_alu instid0(VALU_DEP_1) | instskip(SKIP_2) | instid1(VALU_DEP_1)
	v_cndmask_b32_e64 v1, v1, v3, s0
	ds_swizzle_b32 v4, v2 offset:swizzle(BROADCAST,32,15)
	v_mov_b32_dpp v3, v1 row_shr:4 row_mask:0xf bank_mask:0xf
	v_add_nc_u32_e32 v3, v1, v3
	s_delay_alu instid0(VALU_DEP_1) | instskip(NEXT) | instid1(VALU_DEP_1)
	v_cndmask_b32_e64 v1, v1, v3, s2
	v_mov_b32_dpp v3, v1 row_shr:8 row_mask:0xf bank_mask:0xf
	s_wait_dscnt 0x0
	v_add_nc_u32_e32 v4, v2, v4
	s_delay_alu instid0(VALU_DEP_2) | instskip(NEXT) | instid1(VALU_DEP_1)
	v_add_nc_u32_e32 v3, v1, v3
	v_cndmask_b32_e32 v1, v1, v3, vcc_lo
	v_cmp_eq_u32_e32 vcc_lo, 0, v78
	ds_swizzle_b32 v3, v1 offset:swizzle(BROADCAST,32,15)
	s_wait_dscnt 0x0
	v_add_nc_u32_e32 v3, v1, v3
	v_cmpx_eq_u32_e64 v0, v77
; %bb.112:
	s_wait_alu 0xfffd
	s_delay_alu instid0(VALU_DEP_2)
	v_dual_cndmask_b32 v6, v3, v1 :: v_dual_lshlrev_b32 v7, 3, v75
	v_cndmask_b32_e32 v5, v4, v2, vcc_lo
	ds_store_b64 v7, v[5:6]
; %bb.113:
	s_wait_alu 0xfffe
	s_or_b32 exec_lo, exec_lo, s3
	s_delay_alu instid0(SALU_CYCLE_1)
	s_mov_b32 s3, exec_lo
	s_wait_loadcnt_dscnt 0x0
	s_barrier_signal -1
	s_barrier_wait -1
	global_inv scope:SCOPE_SE
	v_cmpx_gt_u32_e32 8, v0
	s_cbranch_execz .LBB748_115
; %bb.114:
	v_lshlrev_b32_e32 v7, 3, v0
	v_and_b32_e32 v22, 7, v74
	ds_load_b64 v[5:6], v7
	v_cmp_eq_u32_e64 s2, 0, v22
	s_wait_dscnt 0x0
	v_mov_b32_dpp v8, v5 row_shr:1 row_mask:0xf bank_mask:0xf
	v_mov_b32_dpp v21, v6 row_shr:1 row_mask:0xf bank_mask:0xf
	s_delay_alu instid0(VALU_DEP_2) | instskip(NEXT) | instid1(VALU_DEP_2)
	v_add_nc_u32_e32 v8, v8, v5
	v_add_nc_u32_e32 v21, v21, v6
	s_wait_alu 0xf1ff
	s_delay_alu instid0(VALU_DEP_2) | instskip(NEXT) | instid1(VALU_DEP_2)
	v_cndmask_b32_e64 v5, v8, v5, s2
	v_cndmask_b32_e64 v6, v21, v6, s2
	v_cmp_lt_u32_e64 s2, 1, v22
	s_delay_alu instid0(VALU_DEP_3) | instskip(NEXT) | instid1(VALU_DEP_3)
	v_mov_b32_dpp v8, v5 row_shr:2 row_mask:0xf bank_mask:0xf
	v_mov_b32_dpp v21, v6 row_shr:2 row_mask:0xf bank_mask:0xf
	s_delay_alu instid0(VALU_DEP_2) | instskip(NEXT) | instid1(VALU_DEP_2)
	v_add_nc_u32_e32 v8, v5, v8
	v_add_nc_u32_e32 v21, v6, v21
	s_wait_alu 0xf1ff
	s_delay_alu instid0(VALU_DEP_2) | instskip(NEXT) | instid1(VALU_DEP_2)
	v_cndmask_b32_e64 v5, v5, v8, s2
	v_cndmask_b32_e64 v6, v6, v21, s2
	v_cmp_lt_u32_e64 s2, 3, v22
	s_delay_alu instid0(VALU_DEP_3) | instskip(NEXT) | instid1(VALU_DEP_3)
	v_mov_b32_dpp v8, v5 row_shr:4 row_mask:0xf bank_mask:0xf
	v_mov_b32_dpp v21, v6 row_shr:4 row_mask:0xf bank_mask:0xf
	s_wait_alu 0xf1ff
	s_delay_alu instid0(VALU_DEP_2) | instskip(NEXT) | instid1(VALU_DEP_2)
	v_cndmask_b32_e64 v8, 0, v8, s2
	v_cndmask_b32_e64 v21, 0, v21, s2
	s_delay_alu instid0(VALU_DEP_2) | instskip(NEXT) | instid1(VALU_DEP_2)
	v_add_nc_u32_e32 v5, v8, v5
	v_add_nc_u32_e32 v6, v21, v6
	ds_store_b64 v7, v[5:6]
.LBB748_115:
	s_wait_alu 0xfffe
	s_or_b32 exec_lo, exec_lo, s3
	v_dual_cndmask_b32 v1, v3, v1 :: v_dual_cndmask_b32 v2, v4, v2
	s_mov_b32 s3, exec_lo
	v_cmp_gt_u32_e32 vcc_lo, 32, v0
	s_wait_loadcnt_dscnt 0x0
	s_barrier_signal -1
	s_barrier_wait -1
	global_inv scope:SCOPE_SE
                                        ; implicit-def: $vgpr21
	v_cmpx_lt_u32_e32 31, v0
	s_cbranch_execz .LBB748_117
; %bb.116:
	v_lshl_add_u32 v3, v75, 3, -8
	ds_load_b64 v[21:22], v3
	s_wait_dscnt 0x0
	v_add_nc_u32_e32 v1, v22, v1
	v_add_nc_u32_e32 v2, v21, v2
.LBB748_117:
	s_wait_alu 0xfffe
	s_or_b32 exec_lo, exec_lo, s3
	v_sub_co_u32 v3, s2, v74, 1
	s_delay_alu instid0(VALU_DEP_1) | instskip(SKIP_1) | instid1(VALU_DEP_1)
	v_cmp_gt_i32_e64 s3, 0, v3
	s_wait_alu 0xf1ff
	v_cndmask_b32_e64 v3, v3, v74, s3
	s_delay_alu instid0(VALU_DEP_1)
	v_lshlrev_b32_e32 v3, 2, v3
	ds_bpermute_b32 v81, v3, v2
	ds_bpermute_b32 v82, v3, v1
	s_and_saveexec_b32 s3, vcc_lo
	s_cbranch_execz .LBB748_136
; %bb.118:
	v_mov_b32_e32 v4, 0
	ds_load_b64 v[1:2], v4 offset:56
	s_and_saveexec_b32 s6, s2
	s_cbranch_execz .LBB748_120
; %bb.119:
	s_add_co_i32 s8, ttmp9, 32
	s_mov_b32 s9, 0
	s_wait_alu 0xfffe
	s_lshl_b64 s[8:9], s[8:9], 4
	s_wait_kmcnt 0x0
	s_wait_alu 0xfffe
	s_add_nc_u64 s[8:9], s[4:5], s[8:9]
	v_mov_b32_e32 v3, 1
	s_wait_alu 0xfffe
	v_dual_mov_b32 v5, s8 :: v_dual_mov_b32 v6, s9
	s_wait_dscnt 0x0
	;;#ASMSTART
	global_store_b128 v[5:6], v[1:4] off scope:SCOPE_DEV	
s_wait_storecnt 0x0
	;;#ASMEND
.LBB748_120:
	s_wait_alu 0xfffe
	s_or_b32 exec_lo, exec_lo, s6
	v_xad_u32 v23, v74, -1, ttmp9
	s_mov_b32 s7, 0
	s_mov_b32 s6, exec_lo
	s_delay_alu instid0(VALU_DEP_1) | instskip(NEXT) | instid1(VALU_DEP_1)
	v_add_nc_u32_e32 v3, 32, v23
	v_lshlrev_b64_e32 v[3:4], 4, v[3:4]
	s_wait_kmcnt 0x0
	s_delay_alu instid0(VALU_DEP_1) | instskip(SKIP_1) | instid1(VALU_DEP_2)
	v_add_co_u32 v3, vcc_lo, s4, v3
	s_wait_alu 0xfffd
	v_add_co_ci_u32_e64 v4, null, s5, v4, vcc_lo
	;;#ASMSTART
	global_load_b128 v[5:8], v[3:4] off scope:SCOPE_DEV	
s_wait_loadcnt 0x0
	;;#ASMEND
	v_and_b32_e32 v8, 0xff, v7
	s_delay_alu instid0(VALU_DEP_1)
	v_cmpx_eq_u16_e32 0, v8
	s_cbranch_execz .LBB748_123
.LBB748_121:                            ; =>This Inner Loop Header: Depth=1
	;;#ASMSTART
	global_load_b128 v[5:8], v[3:4] off scope:SCOPE_DEV	
s_wait_loadcnt 0x0
	;;#ASMEND
	v_and_b32_e32 v8, 0xff, v7
	s_delay_alu instid0(VALU_DEP_1)
	v_cmp_ne_u16_e32 vcc_lo, 0, v8
	s_wait_alu 0xfffe
	s_or_b32 s7, vcc_lo, s7
	s_wait_alu 0xfffe
	s_and_not1_b32 exec_lo, exec_lo, s7
	s_cbranch_execnz .LBB748_121
; %bb.122:
	s_or_b32 exec_lo, exec_lo, s7
.LBB748_123:
	s_wait_alu 0xfffe
	s_or_b32 exec_lo, exec_lo, s6
	v_cmp_ne_u32_e32 vcc_lo, 31, v74
	v_lshlrev_b32_e64 v84, v74, -1
	v_add_nc_u32_e32 v86, 2, v74
	v_add_nc_u32_e32 v88, 4, v74
	;; [unrolled: 1-line block ×3, first 2 shown]
	s_wait_alu 0xfffd
	v_add_co_ci_u32_e64 v3, null, 0, v74, vcc_lo
	v_lshl_or_b32 v91, v74, 2, 64
	v_add_nc_u32_e32 v92, 16, v74
	s_delay_alu instid0(VALU_DEP_3)
	v_lshlrev_b32_e32 v83, 2, v3
	v_and_b32_e32 v3, 0xff, v7
	ds_bpermute_b32 v4, v83, v6
	v_cmp_eq_u16_e32 vcc_lo, 2, v3
	s_wait_alu 0xfffd
	v_and_b32_e32 v8, vcc_lo, v84
	v_cmp_gt_u32_e32 vcc_lo, 30, v74
	s_delay_alu instid0(VALU_DEP_2) | instskip(SKIP_2) | instid1(VALU_DEP_2)
	v_or_b32_e32 v8, 0x80000000, v8
	s_wait_alu 0xfffd
	v_cndmask_b32_e64 v24, 0, 2, vcc_lo
	v_ctz_i32_b32_e32 v8, v8
	s_delay_alu instid0(VALU_DEP_2) | instskip(SKIP_2) | instid1(VALU_DEP_3)
	v_add_lshl_u32 v85, v24, v74, 2
	s_wait_dscnt 0x0
	v_add_nc_u32_e32 v4, v4, v6
	v_cmp_lt_u32_e32 vcc_lo, v74, v8
	s_wait_alu 0xfffd
	s_delay_alu instid0(VALU_DEP_2) | instskip(SKIP_3) | instid1(VALU_DEP_1)
	v_cndmask_b32_e32 v4, v6, v4, vcc_lo
	ds_bpermute_b32 v3, v83, v5
	s_wait_dscnt 0x0
	v_add_nc_u32_e32 v3, v3, v5
	v_cndmask_b32_e32 v3, v5, v3, vcc_lo
	ds_bpermute_b32 v5, v85, v4
	v_cmp_gt_u32_e32 vcc_lo, 28, v74
	ds_bpermute_b32 v6, v85, v3
	s_wait_alu 0xfffd
	v_cndmask_b32_e64 v24, 0, 4, vcc_lo
	v_cmp_gt_u32_e32 vcc_lo, v86, v8
	s_delay_alu instid0(VALU_DEP_2)
	v_add_lshl_u32 v87, v24, v74, 2
	s_wait_dscnt 0x1
	v_add_nc_u32_e32 v5, v4, v5
	s_wait_dscnt 0x0
	v_add_nc_u32_e32 v6, v3, v6
	s_wait_alu 0xfffd
	s_delay_alu instid0(VALU_DEP_1)
	v_dual_cndmask_b32 v4, v5, v4 :: v_dual_cndmask_b32 v3, v6, v3
	ds_bpermute_b32 v5, v87, v4
	v_cmp_gt_u32_e32 vcc_lo, 24, v74
	ds_bpermute_b32 v6, v87, v3
	s_wait_alu 0xfffd
	v_cndmask_b32_e64 v24, 0, 8, vcc_lo
	v_cmp_gt_u32_e32 vcc_lo, v88, v8
	s_delay_alu instid0(VALU_DEP_2)
	v_add_lshl_u32 v89, v24, v74, 2
	s_wait_dscnt 0x1
	v_dual_mov_b32 v24, 0 :: v_dual_add_nc_u32 v5, v4, v5
	s_wait_dscnt 0x0
	v_add_nc_u32_e32 v6, v3, v6
	s_wait_alu 0xfffd
	s_delay_alu instid0(VALU_DEP_1)
	v_dual_cndmask_b32 v4, v5, v4 :: v_dual_cndmask_b32 v3, v6, v3
	ds_bpermute_b32 v5, v89, v4
	v_cmp_gt_u32_e32 vcc_lo, v90, v8
	ds_bpermute_b32 v6, v89, v3
	s_wait_dscnt 0x1
	v_add_nc_u32_e32 v5, v4, v5
	s_wait_dscnt 0x0
	v_add_nc_u32_e32 v6, v3, v6
	s_wait_alu 0xfffd
	s_delay_alu instid0(VALU_DEP_1)
	v_dual_cndmask_b32 v4, v5, v4 :: v_dual_cndmask_b32 v3, v6, v3
	ds_bpermute_b32 v6, v91, v4
	v_cmp_le_u32_e32 vcc_lo, v92, v8
	ds_bpermute_b32 v5, v91, v3
	s_wait_dscnt 0x0
	s_wait_alu 0xfffd
	v_dual_cndmask_b32 v6, 0, v6 :: v_dual_cndmask_b32 v5, 0, v5
	s_delay_alu instid0(VALU_DEP_1) | instskip(NEXT) | instid1(VALU_DEP_2)
	v_add_nc_u32_e32 v6, v6, v4
	v_add_nc_u32_e32 v5, v5, v3
	s_branch .LBB748_127
.LBB748_124:                            ;   in Loop: Header=BB748_127 Depth=1
	s_or_b32 exec_lo, exec_lo, s7
.LBB748_125:                            ;   in Loop: Header=BB748_127 Depth=1
	s_wait_alu 0xfffe
	s_or_b32 exec_lo, exec_lo, s6
	ds_bpermute_b32 v8, v83, v5
	ds_bpermute_b32 v25, v83, v6
	v_subrev_nc_u32_e32 v23, 32, v23
	s_mov_b32 s6, 0
	s_wait_dscnt 0x1
	v_add_nc_u32_e32 v8, v8, v5
	v_and_b32_e32 v26, 0xff, v7
	s_wait_dscnt 0x0
	v_add_nc_u32_e32 v25, v25, v6
	s_delay_alu instid0(VALU_DEP_2) | instskip(SKIP_2) | instid1(VALU_DEP_1)
	v_cmp_eq_u16_e32 vcc_lo, 2, v26
	s_wait_alu 0xfffd
	v_and_or_b32 v26, vcc_lo, v84, 0x80000000
	v_ctz_i32_b32_e32 v26, v26
	s_delay_alu instid0(VALU_DEP_1)
	v_cmp_lt_u32_e32 vcc_lo, v74, v26
	s_wait_alu 0xfffd
	v_dual_cndmask_b32 v6, v6, v25 :: v_dual_cndmask_b32 v5, v5, v8
	v_cmp_gt_u32_e32 vcc_lo, v86, v26
	ds_bpermute_b32 v25, v85, v6
	ds_bpermute_b32 v8, v85, v5
	s_wait_dscnt 0x1
	v_add_nc_u32_e32 v25, v6, v25
	s_wait_dscnt 0x0
	v_add_nc_u32_e32 v8, v5, v8
	s_wait_alu 0xfffd
	s_delay_alu instid0(VALU_DEP_1)
	v_dual_cndmask_b32 v6, v25, v6 :: v_dual_cndmask_b32 v5, v8, v5
	v_cmp_gt_u32_e32 vcc_lo, v88, v26
	ds_bpermute_b32 v25, v87, v6
	ds_bpermute_b32 v8, v87, v5
	s_wait_dscnt 0x1
	v_add_nc_u32_e32 v25, v6, v25
	s_wait_dscnt 0x0
	v_add_nc_u32_e32 v8, v5, v8
	s_wait_alu 0xfffd
	s_delay_alu instid0(VALU_DEP_1)
	;; [unrolled: 10-line block ×3, first 2 shown]
	v_dual_cndmask_b32 v6, v25, v6 :: v_dual_cndmask_b32 v5, v8, v5
	v_cmp_le_u32_e32 vcc_lo, v92, v26
	ds_bpermute_b32 v25, v91, v6
	ds_bpermute_b32 v8, v91, v5
	s_wait_dscnt 0x0
	s_wait_alu 0xfffd
	v_dual_cndmask_b32 v25, 0, v25 :: v_dual_cndmask_b32 v8, 0, v8
	s_delay_alu instid0(VALU_DEP_1) | instskip(NEXT) | instid1(VALU_DEP_2)
	v_add3_u32 v6, v6, v4, v25
	v_add3_u32 v5, v5, v3, v8
.LBB748_126:                            ;   in Loop: Header=BB748_127 Depth=1
	s_wait_alu 0xfffe
	s_and_b32 vcc_lo, exec_lo, s6
	s_wait_alu 0xfffe
	s_cbranch_vccnz .LBB748_132
.LBB748_127:                            ; =>This Loop Header: Depth=1
                                        ;     Child Loop BB748_130 Depth 2
	v_and_b32_e32 v3, 0xff, v7
	s_mov_b32 s6, -1
                                        ; implicit-def: $vgpr7
	s_delay_alu instid0(VALU_DEP_1)
	v_cmp_ne_u16_e32 vcc_lo, 2, v3
	v_dual_mov_b32 v3, v5 :: v_dual_mov_b32 v4, v6
                                        ; implicit-def: $vgpr5_vgpr6
	s_cmp_lg_u32 vcc_lo, exec_lo
	s_cbranch_scc1 .LBB748_126
; %bb.128:                              ;   in Loop: Header=BB748_127 Depth=1
	v_lshlrev_b64_e32 v[5:6], 4, v[23:24]
	s_mov_b32 s6, exec_lo
	s_delay_alu instid0(VALU_DEP_1) | instskip(SKIP_1) | instid1(VALU_DEP_2)
	v_add_co_u32 v25, vcc_lo, s4, v5
	s_wait_alu 0xfffd
	v_add_co_ci_u32_e64 v26, null, s5, v6, vcc_lo
	;;#ASMSTART
	global_load_b128 v[5:8], v[25:26] off scope:SCOPE_DEV	
s_wait_loadcnt 0x0
	;;#ASMEND
	v_and_b32_e32 v8, 0xff, v7
	s_delay_alu instid0(VALU_DEP_1)
	v_cmpx_eq_u16_e32 0, v8
	s_cbranch_execz .LBB748_125
; %bb.129:                              ;   in Loop: Header=BB748_127 Depth=1
	s_mov_b32 s7, 0
.LBB748_130:                            ;   Parent Loop BB748_127 Depth=1
                                        ; =>  This Inner Loop Header: Depth=2
	;;#ASMSTART
	global_load_b128 v[5:8], v[25:26] off scope:SCOPE_DEV	
s_wait_loadcnt 0x0
	;;#ASMEND
	v_and_b32_e32 v8, 0xff, v7
	s_delay_alu instid0(VALU_DEP_1)
	v_cmp_ne_u16_e32 vcc_lo, 0, v8
	s_wait_alu 0xfffe
	s_or_b32 s7, vcc_lo, s7
	s_wait_alu 0xfffe
	s_and_not1_b32 exec_lo, exec_lo, s7
	s_cbranch_execnz .LBB748_130
	s_branch .LBB748_124
.LBB748_131:
                                        ; implicit-def: $vgpr81
                                        ; implicit-def: $vgpr3
                                        ; implicit-def: $vgpr82
	s_wait_alu 0xfffe
	s_and_b32 vcc_lo, exec_lo, s3
	s_wait_alu 0xfffe
	s_cbranch_vccnz .LBB748_137
	s_branch .LBB748_146
.LBB748_132:
	s_and_saveexec_b32 s6, s2
	s_cbranch_execnz .LBB748_374
; %bb.133:
	s_wait_alu 0xfffe
	s_or_b32 exec_lo, exec_lo, s6
	s_and_saveexec_b32 s6, s2
	s_cbranch_execnz .LBB748_375
.LBB748_134:
	s_wait_alu 0xfffe
	s_or_b32 exec_lo, exec_lo, s6
	v_cmp_eq_u32_e32 vcc_lo, 0, v0
	s_and_b32 exec_lo, exec_lo, vcc_lo
.LBB748_135:
	v_mov_b32_e32 v1, 0
	ds_store_b64 v1, v[3:4] offset:56
.LBB748_136:
	s_wait_alu 0xfffe
	s_or_b32 exec_lo, exec_lo, s3
	s_wait_dscnt 0x0
	v_cndmask_b32_e64 v8, v82, v22, s2
	v_mov_b32_e32 v1, 0
	s_wait_loadcnt 0x0
	s_barrier_signal -1
	s_barrier_wait -1
	global_inv scope:SCOPE_SE
	ds_load_b64 v[5:6], v1 offset:56
	s_wait_loadcnt_dscnt 0x0
	s_barrier_signal -1
	s_barrier_wait -1
	global_inv scope:SCOPE_SE
	v_cndmask_b32_e64 v7, v81, v21, s2
	v_cmp_eq_u32_e32 vcc_lo, 0, v0
	v_add_nc_u32_e32 v8, v6, v8
	ds_load_b128 v[1:4], v1 offset:13312
	v_add_nc_u32_e32 v7, v5, v7
	s_wait_alu 0xfffd
	s_delay_alu instid0(VALU_DEP_1)
	v_dual_cndmask_b32 v81, v8, v6 :: v_dual_cndmask_b32 v82, v7, v5
	s_branch .LBB748_146
.LBB748_137:
	s_wait_dscnt 0x0
	v_mov_b32_dpp v2, v80 row_shr:1 row_mask:0xf bank_mask:0xf
	v_cmp_lt_u32_e32 vcc_lo, 3, v76
	v_mov_b32_dpp v1, v79 row_shr:1 row_mask:0xf bank_mask:0xf
	s_delay_alu instid0(VALU_DEP_3) | instskip(NEXT) | instid1(VALU_DEP_1)
	v_add_nc_u32_e32 v2, v2, v80
	v_cndmask_b32_e64 v2, v2, v80, s1
	s_delay_alu instid0(VALU_DEP_1) | instskip(NEXT) | instid1(VALU_DEP_1)
	v_mov_b32_dpp v4, v2 row_shr:2 row_mask:0xf bank_mask:0xf
	v_add_nc_u32_e32 v4, v2, v4
	s_delay_alu instid0(VALU_DEP_1) | instskip(NEXT) | instid1(VALU_DEP_1)
	v_cndmask_b32_e64 v2, v2, v4, s0
	v_mov_b32_dpp v4, v2 row_shr:4 row_mask:0xf bank_mask:0xf
	s_delay_alu instid0(VALU_DEP_1) | instskip(SKIP_1) | instid1(VALU_DEP_1)
	v_add_nc_u32_e32 v4, v2, v4
	s_wait_alu 0xfffd
	v_dual_cndmask_b32 v2, v2, v4 :: v_dual_add_nc_u32 v1, v1, v79
	s_delay_alu instid0(VALU_DEP_1) | instskip(SKIP_1) | instid1(VALU_DEP_2)
	v_cndmask_b32_e64 v1, v1, v79, s1
	s_mov_b32 s1, exec_lo
	v_mov_b32_dpp v4, v2 row_shr:8 row_mask:0xf bank_mask:0xf
	s_delay_alu instid0(VALU_DEP_2) | instskip(NEXT) | instid1(VALU_DEP_1)
	v_mov_b32_dpp v3, v1 row_shr:2 row_mask:0xf bank_mask:0xf
	v_add_nc_u32_e32 v3, v1, v3
	s_delay_alu instid0(VALU_DEP_1) | instskip(NEXT) | instid1(VALU_DEP_1)
	v_cndmask_b32_e64 v1, v1, v3, s0
	v_mov_b32_dpp v3, v1 row_shr:4 row_mask:0xf bank_mask:0xf
	s_delay_alu instid0(VALU_DEP_1) | instskip(NEXT) | instid1(VALU_DEP_1)
	v_add_nc_u32_e32 v3, v1, v3
	v_cndmask_b32_e32 v3, v1, v3, vcc_lo
	v_cmp_lt_u32_e32 vcc_lo, 7, v76
	s_delay_alu instid0(VALU_DEP_2) | instskip(NEXT) | instid1(VALU_DEP_1)
	v_mov_b32_dpp v1, v3 row_shr:8 row_mask:0xf bank_mask:0xf
	v_add_nc_u32_e32 v5, v3, v1
	v_add_nc_u32_e32 v1, v2, v4
	s_wait_alu 0xfffd
	s_delay_alu instid0(VALU_DEP_1) | instskip(NEXT) | instid1(VALU_DEP_3)
	v_cndmask_b32_e32 v1, v2, v1, vcc_lo
	v_cndmask_b32_e32 v2, v3, v5, vcc_lo
	v_cmp_eq_u32_e32 vcc_lo, 0, v78
	ds_swizzle_b32 v3, v1 offset:swizzle(BROADCAST,32,15)
	ds_swizzle_b32 v4, v2 offset:swizzle(BROADCAST,32,15)
	s_wait_dscnt 0x1
	v_add_nc_u32_e32 v3, v1, v3
	s_wait_dscnt 0x0
	v_add_nc_u32_e32 v4, v2, v4
	v_cmpx_eq_u32_e64 v0, v77
; %bb.138:
	s_wait_alu 0xfffd
	s_delay_alu instid0(VALU_DEP_2)
	v_dual_cndmask_b32 v5, v4, v2 :: v_dual_cndmask_b32 v6, v3, v1
	v_lshlrev_b32_e32 v7, 3, v75
	ds_store_b64 v7, v[5:6]
; %bb.139:
	s_wait_alu 0xfffe
	s_or_b32 exec_lo, exec_lo, s1
	s_delay_alu instid0(SALU_CYCLE_1)
	s_mov_b32 s1, exec_lo
	s_wait_loadcnt_dscnt 0x0
	s_barrier_signal -1
	s_barrier_wait -1
	global_inv scope:SCOPE_SE
	v_cmpx_gt_u32_e32 8, v0
	s_cbranch_execz .LBB748_141
; %bb.140:
	v_lshlrev_b32_e32 v7, 3, v0
	v_and_b32_e32 v22, 7, v74
	ds_load_b64 v[5:6], v7
	v_cmp_eq_u32_e64 s0, 0, v22
	s_wait_dscnt 0x0
	v_mov_b32_dpp v8, v5 row_shr:1 row_mask:0xf bank_mask:0xf
	v_mov_b32_dpp v21, v6 row_shr:1 row_mask:0xf bank_mask:0xf
	s_delay_alu instid0(VALU_DEP_2) | instskip(NEXT) | instid1(VALU_DEP_2)
	v_add_nc_u32_e32 v8, v8, v5
	v_add_nc_u32_e32 v21, v21, v6
	s_wait_alu 0xf1ff
	s_delay_alu instid0(VALU_DEP_2) | instskip(NEXT) | instid1(VALU_DEP_2)
	v_cndmask_b32_e64 v5, v8, v5, s0
	v_cndmask_b32_e64 v6, v21, v6, s0
	v_cmp_lt_u32_e64 s0, 1, v22
	s_delay_alu instid0(VALU_DEP_3) | instskip(NEXT) | instid1(VALU_DEP_3)
	v_mov_b32_dpp v8, v5 row_shr:2 row_mask:0xf bank_mask:0xf
	v_mov_b32_dpp v21, v6 row_shr:2 row_mask:0xf bank_mask:0xf
	s_delay_alu instid0(VALU_DEP_2) | instskip(NEXT) | instid1(VALU_DEP_2)
	v_add_nc_u32_e32 v8, v5, v8
	v_add_nc_u32_e32 v21, v6, v21
	s_wait_alu 0xf1ff
	s_delay_alu instid0(VALU_DEP_2) | instskip(NEXT) | instid1(VALU_DEP_2)
	v_cndmask_b32_e64 v5, v5, v8, s0
	v_cndmask_b32_e64 v6, v6, v21, s0
	v_cmp_lt_u32_e64 s0, 3, v22
	s_delay_alu instid0(VALU_DEP_3) | instskip(NEXT) | instid1(VALU_DEP_3)
	v_mov_b32_dpp v8, v5 row_shr:4 row_mask:0xf bank_mask:0xf
	v_mov_b32_dpp v21, v6 row_shr:4 row_mask:0xf bank_mask:0xf
	s_wait_alu 0xf1ff
	s_delay_alu instid0(VALU_DEP_2) | instskip(NEXT) | instid1(VALU_DEP_2)
	v_cndmask_b32_e64 v8, 0, v8, s0
	v_cndmask_b32_e64 v21, 0, v21, s0
	s_delay_alu instid0(VALU_DEP_2) | instskip(NEXT) | instid1(VALU_DEP_2)
	v_add_nc_u32_e32 v5, v8, v5
	v_add_nc_u32_e32 v6, v21, v6
	ds_store_b64 v7, v[5:6]
.LBB748_141:
	s_wait_alu 0xfffe
	s_or_b32 exec_lo, exec_lo, s1
	v_dual_mov_b32 v7, 0 :: v_dual_mov_b32 v6, 0
	v_mov_b32_e32 v5, 0
	s_mov_b32 s1, exec_lo
	s_wait_loadcnt_dscnt 0x0
	s_barrier_signal -1
	s_barrier_wait -1
	global_inv scope:SCOPE_SE
	v_cmpx_lt_u32_e32 31, v0
; %bb.142:
	v_lshl_add_u32 v5, v75, 3, -8
	ds_load_b64 v[5:6], v5
; %bb.143:
	s_wait_alu 0xfffe
	s_or_b32 exec_lo, exec_lo, s1
	v_sub_co_u32 v8, s0, v74, 1
	v_dual_cndmask_b32 v2, v4, v2 :: v_dual_cndmask_b32 v1, v3, v1
	v_cmp_eq_u32_e32 vcc_lo, 0, v0
	s_delay_alu instid0(VALU_DEP_3) | instskip(SKIP_1) | instid1(VALU_DEP_3)
	v_cmp_gt_i32_e64 s1, 0, v8
	s_wait_dscnt 0x0
	v_add_nc_u32_e32 v2, v5, v2
	v_add_nc_u32_e32 v1, v6, v1
	s_wait_alu 0xf1ff
	v_cndmask_b32_e64 v4, v8, v74, s1
	s_delay_alu instid0(VALU_DEP_1)
	v_lshlrev_b32_e32 v3, 2, v4
	ds_bpermute_b32 v8, v3, v2
	ds_bpermute_b32 v21, v3, v1
	ds_load_b64 v[1:2], v7 offset:56
	s_and_saveexec_b32 s1, vcc_lo
	s_cbranch_execz .LBB748_145
; %bb.144:
	s_wait_kmcnt 0x0
	s_add_nc_u64 s[2:3], s[4:5], 0x200
	v_dual_mov_b32 v3, 2 :: v_dual_mov_b32 v4, 0
	s_wait_alu 0xfffe
	v_dual_mov_b32 v23, s3 :: v_dual_mov_b32 v22, s2
	s_wait_dscnt 0x0
	;;#ASMSTART
	global_store_b128 v[22:23], v[1:4] off scope:SCOPE_DEV	
s_wait_storecnt 0x0
	;;#ASMEND
.LBB748_145:
	s_wait_alu 0xfffe
	s_or_b32 exec_lo, exec_lo, s1
	s_wait_dscnt 0x1
	v_cndmask_b32_e64 v3, v21, v6, s0
	v_cndmask_b32_e64 v5, v8, v5, s0
	v_mov_b32_e32 v4, 0
	s_wait_loadcnt_dscnt 0x0
	s_barrier_signal -1
	v_cndmask_b32_e64 v81, v3, 0, vcc_lo
	v_cndmask_b32_e64 v82, v5, 0, vcc_lo
	v_mov_b32_e32 v3, 0
	s_barrier_wait -1
	global_inv scope:SCOPE_SE
.LBB748_146:
	v_lshrrev_b32_e32 v77, 8, v49
	s_delay_alu instid0(VALU_DEP_2)
	v_add_nc_u32_e32 v73, v81, v73
	s_wait_dscnt 0x0
	v_sub_nc_u32_e32 v81, v81, v4
	v_lshlrev_b32_e32 v84, 1, v1
	v_lshrrev_b32_e32 v75, 16, v49
	v_and_b32_e32 v77, 1, v77
	v_add_nc_u32_e32 v71, v73, v71
	v_add_nc_u32_e32 v81, v81, v1
	v_add3_u32 v87, v84, v2, v41
	v_and_b32_e32 v75, 1, v75
	v_cmp_eq_u32_e32 vcc_lo, 1, v77
	v_add_nc_u32_e32 v72, v82, v72
	v_sub_nc_u32_e32 v82, v82, v3
	v_sub_nc_u32_e32 v73, v73, v4
	v_lshrrev_b32_e32 v76, 8, v42
	v_lshrrev_b32_e32 v74, 16, v42
	v_and_b32_e32 v42, 1, v42
	v_add_nc_u32_e32 v41, v82, v81
	v_add_nc_u32_e32 v73, v73, v1
	v_and_b32_e32 v76, 1, v76
	s_wait_kmcnt 0x0
	v_add_co_u32 v5, s0, s28, v3
	v_sub_nc_u32_e32 v41, v87, v41
	s_wait_alu 0xf1ff
	v_add_co_ci_u32_e64 v6, null, s29, 0, s0
	v_sub_co_u32 v80, s0, s30, v1
	s_wait_alu 0xfffd
	v_cndmask_b32_e32 v41, v41, v81, vcc_lo
	v_cmp_eq_u32_e32 vcc_lo, 1, v75
	v_add_nc_u32_e32 v78, v71, v55
	v_sub_nc_u32_e32 v71, v71, v4
	s_wait_alu 0xf1ff
	v_sub_co_ci_u32_e64 v83, null, s31, 0, s0
	v_and_b32_e32 v55, 1, v55
	v_and_b32_e32 v74, 1, v74
	v_add_nc_u32_e32 v71, v71, v1
	v_add_nc_u32_e32 v70, v72, v70
	v_sub_nc_u32_e32 v72, v72, v3
	v_lshrrev_b32_e32 v26, 8, v43
	v_lshrrev_b32_e32 v25, 16, v43
	v_and_b32_e32 v43, 1, v43
	v_lshrrev_b32_e32 v23, 16, v44
	v_add_nc_u32_e32 v88, v73, v72
	v_and_b32_e32 v26, 1, v26
	v_lshrrev_b32_e32 v24, 8, v44
	v_and_b32_e32 v44, 1, v44
	v_lshrrev_b32_e32 v8, 16, v46
	v_sub_nc_u32_e32 v88, v87, v88
	v_lshrrev_b32_e32 v22, 8, v46
	v_and_b32_e32 v24, 1, v24
	v_lshrrev_b32_e32 v21, 8, v47
	v_and_b32_e32 v8, 1, v8
	v_add_nc_u32_e32 v88, 1, v88
	v_and_b32_e32 v22, 1, v22
	v_lshrrev_b32_e32 v7, 16, v47
	s_mov_b32 s41, 0
	s_wait_alu 0xfffd
	v_cndmask_b32_e32 v73, v88, v73, vcc_lo
	v_cmp_eq_u32_e32 vcc_lo, 1, v42
	v_add_nc_u32_e32 v68, v78, v68
	v_and_b32_e32 v7, 1, v7
	s_wait_alu 0xfffd
	v_cndmask_b32_e32 v81, v41, v82, vcc_lo
	v_cmp_eq_u32_e32 vcc_lo, 1, v76
	v_add_nc_u32_e32 v69, v70, v69
	v_sub_nc_u32_e32 v70, v70, v3
	v_sub_nc_u32_e32 v76, v78, v4
	s_wait_alu 0xfffd
	v_dual_cndmask_b32 v72, v73, v72 :: v_dual_add_nc_u32 v67, v68, v67
	v_add_co_u32 v41, vcc_lo, v80, v4
	v_add_nc_u32_e32 v75, v71, v70
	s_wait_alu 0xfffd
	v_add_co_ci_u32_e64 v42, null, 0, v83, vcc_lo
	v_cmp_eq_u32_e32 vcc_lo, 1, v55
	v_add_nc_u32_e32 v79, v69, v54
	v_sub_nc_u32_e32 v73, v87, v75
	v_sub_nc_u32_e32 v69, v69, v3
	;; [unrolled: 1-line block ×3, first 2 shown]
	v_lshlrev_b32_e32 v75, 2, v81
	v_lshlrev_b32_e32 v72, 2, v72
	v_add_nc_u32_e32 v73, 2, v73
	ds_store_b32 v75, v19
	ds_store_b32 v72, v20
	s_wait_alu 0xfffd
	v_dual_cndmask_b32 v55, v73, v71 :: v_dual_add_nc_u32 v68, v68, v1
	v_add_nc_u32_e32 v71, v76, v1
	v_cmp_eq_u32_e32 vcc_lo, 1, v74
	v_and_b32_e32 v54, 1, v54
	s_delay_alu instid0(VALU_DEP_3) | instskip(SKIP_4) | instid1(VALU_DEP_3)
	v_add_nc_u32_e32 v73, v69, v71
	s_wait_alu 0xfffd
	v_cndmask_b32_e32 v55, v55, v70, vcc_lo
	v_sub_nc_u32_e32 v70, v79, v3
	v_cmp_eq_u32_e32 vcc_lo, 1, v43
	v_lshlrev_b32_e32 v19, 2, v55
	s_delay_alu instid0(VALU_DEP_3)
	v_add_nc_u32_e32 v20, v70, v68
	v_sub_nc_u32_e32 v55, v87, v73
	ds_store_b32 v19, v17
	v_sub_nc_u32_e32 v20, v87, v20
	v_add_nc_u32_e32 v55, 3, v55
	v_and_b32_e32 v19, 1, v25
	s_wait_alu 0xfffd
	s_delay_alu instid0(VALU_DEP_2) | instskip(SKIP_2) | instid1(VALU_DEP_2)
	v_dual_cndmask_b32 v43, v55, v71 :: v_dual_add_nc_u32 v20, 4, v20
	v_cmp_eq_u32_e32 vcc_lo, 1, v26
	s_wait_alu 0xfffd
	v_cndmask_b32_e32 v20, v20, v68, vcc_lo
	v_cmp_eq_u32_e32 vcc_lo, 1, v54
	s_wait_alu 0xfffd
	v_cndmask_b32_e32 v26, v43, v69, vcc_lo
	v_cmp_eq_u32_e32 vcc_lo, 1, v44
	v_add_nc_u32_e32 v65, v67, v65
	v_sub_nc_u32_e32 v67, v67, v4
	s_delay_alu instid0(VALU_DEP_4)
	v_lshlrev_b32_e32 v17, 2, v26
	s_wait_alu 0xfffd
	v_cndmask_b32_e32 v20, v20, v70, vcc_lo
	v_cmp_eq_u32_e32 vcc_lo, 1, v19
	v_add_nc_u32_e32 v67, v67, v1
	v_add_nc_u32_e32 v66, v79, v66
	;; [unrolled: 1-line block ×3, first 2 shown]
	v_sub_nc_u32_e32 v26, v65, v4
	v_lshlrev_b32_e32 v20, 2, v20
	ds_store_b32 v17, v18
	ds_store_b32 v20, v15
	v_add_nc_u32_e32 v64, v66, v64
	v_sub_nc_u32_e32 v66, v66, v3
	v_add_nc_u32_e32 v26, v26, v1
	v_add_nc_u32_e32 v63, v85, v63
	v_and_b32_e32 v20, 1, v53
	s_delay_alu instid0(VALU_DEP_4) | instskip(NEXT) | instid1(VALU_DEP_1)
	v_add_nc_u32_e32 v55, v66, v67
	v_sub_nc_u32_e32 v43, v87, v55
	s_delay_alu instid0(VALU_DEP_1) | instskip(SKIP_2) | instid1(VALU_DEP_2)
	v_add_nc_u32_e32 v25, 5, v43
	v_sub_nc_u32_e32 v43, v85, v4
	s_wait_alu 0xfffd
	v_cndmask_b32_e32 v19, v25, v67, vcc_lo
	v_cmp_eq_u32_e32 vcc_lo, 1, v24
	s_delay_alu instid0(VALU_DEP_3) | instskip(SKIP_1) | instid1(VALU_DEP_3)
	v_add_nc_u32_e32 v43, v43, v1
	s_wait_alu 0xfffd
	v_cndmask_b32_e32 v19, v19, v66, vcc_lo
	v_add_nc_u32_e32 v59, v64, v59
	v_sub_nc_u32_e32 v25, v64, v3
	v_cmp_eq_u32_e32 vcc_lo, 1, v20
	v_and_b32_e32 v20, 1, v52
	v_lshlrev_b32_e32 v15, 2, v19
	v_sub_nc_u32_e32 v24, v59, v3
	v_add_nc_u32_e32 v44, v25, v26
	v_add_nc_u32_e32 v86, v59, v52
	v_and_b32_e32 v19, 1, v23
	v_sub_nc_u32_e32 v23, v63, v4
	v_add_nc_u32_e32 v17, v24, v43
	v_sub_nc_u32_e32 v18, v87, v44
	v_and_b32_e32 v44, 1, v46
	v_sub_nc_u32_e32 v46, v86, v3
	v_add_nc_u32_e32 v23, v23, v1
	v_sub_nc_u32_e32 v17, v87, v17
	v_add_nc_u32_e32 v18, 6, v18
	v_add_nc_u32_e32 v61, v86, v61
	s_wait_alu 0xfffd
	s_delay_alu instid0(VALU_DEP_2)
	v_dual_cndmask_b32 v18, v18, v26 :: v_dual_add_nc_u32 v17, 7, v17
	v_cmp_eq_u32_e32 vcc_lo, 1, v44
	v_add_nc_u32_e32 v26, v46, v23
	v_add_nc_u32_e32 v58, v61, v58
	s_wait_alu 0xfffd
	v_cndmask_b32_e32 v17, v17, v43, vcc_lo
	v_cmp_eq_u32_e32 vcc_lo, 1, v19
	v_sub_nc_u32_e32 v19, v87, v26
	s_wait_alu 0xfffd
	v_cndmask_b32_e32 v18, v18, v25, vcc_lo
	v_cmp_eq_u32_e32 vcc_lo, 1, v20
	v_add_nc_u32_e32 v62, v63, v62
	v_add_nc_u32_e32 v19, 8, v19
	v_sub_nc_u32_e32 v25, v61, v3
	s_wait_alu 0xfffd
	v_dual_cndmask_b32 v17, v17, v24 :: v_dual_lshlrev_b32 v18, 2, v18
	v_sub_nc_u32_e32 v20, v62, v4
	v_and_b32_e32 v24, 1, v47
	v_cmp_eq_u32_e32 vcc_lo, 1, v22
	s_delay_alu instid0(VALU_DEP_4) | instskip(NEXT) | instid1(VALU_DEP_4)
	v_lshlrev_b32_e32 v17, 2, v17
	v_add_nc_u32_e32 v20, v20, v1
	ds_store_b32 v15, v16
	ds_store_b32 v18, v13
	;; [unrolled: 1-line block ×3, first 2 shown]
	s_wait_alu 0xfffd
	v_cndmask_b32_e32 v19, v19, v23, vcc_lo
	v_cmp_eq_u32_e32 vcc_lo, 1, v24
	v_add_nc_u32_e32 v60, v62, v60
	v_add_nc_u32_e32 v22, v25, v20
	v_sub_nc_u32_e32 v17, v58, v3
	v_and_b32_e32 v15, 1, v21
	s_wait_alu 0xfffd
	v_cndmask_b32_e32 v19, v19, v46, vcc_lo
	v_sub_nc_u32_e32 v16, v60, v4
	v_sub_nc_u32_e32 v13, v87, v22
	v_cmp_eq_u32_e32 vcc_lo, 1, v8
	v_add_nc_u32_e32 v89, v60, v51
	v_lshlrev_b32_e32 v14, 2, v19
	v_add_nc_u32_e32 v16, v16, v1
	v_add_nc_u32_e32 v13, 9, v13
	s_delay_alu instid0(VALU_DEP_4)
	v_sub_nc_u32_e32 v18, v89, v4
	ds_store_b32 v14, v11
	v_add_nc_u32_e32 v19, v17, v16
	s_wait_alu 0xfffd
	v_cndmask_b32_e32 v8, v13, v20, vcc_lo
	v_cmp_eq_u32_e32 vcc_lo, 1, v15
	v_and_b32_e32 v15, 1, v51
	v_and_b32_e32 v20, 1, v45
	v_sub_nc_u32_e32 v14, v87, v19
	v_add_nc_u32_e32 v18, v18, v1
	s_wait_alu 0xfffd
	v_cndmask_b32_e32 v8, v8, v25, vcc_lo
	v_cmp_eq_u32_e32 vcc_lo, 1, v15
	v_add_nc_u32_e32 v57, v89, v57
	v_add_nc_u32_e32 v14, 10, v14
	v_and_b32_e32 v15, 1, v50
	v_lshlrev_b32_e32 v8, 2, v8
	s_delay_alu instid0(VALU_DEP_4)
	v_sub_nc_u32_e32 v19, v57, v4
	s_wait_alu 0xfffd
	v_cndmask_b32_e32 v14, v14, v16, vcc_lo
	v_cmp_eq_u32_e32 vcc_lo, 1, v20
	v_add_nc_u32_e32 v56, v58, v56
	v_add_nc_u32_e32 v19, v19, v1
	s_delay_alu instid0(VALU_DEP_2) | instskip(NEXT) | instid1(VALU_DEP_1)
	v_sub_nc_u32_e32 v13, v56, v3
	v_add_nc_u32_e32 v11, v13, v18
	s_delay_alu instid0(VALU_DEP_1) | instskip(NEXT) | instid1(VALU_DEP_1)
	v_sub_nc_u32_e32 v11, v87, v11
	v_add_nc_u32_e32 v11, 11, v11
	s_wait_alu 0xfffd
	s_delay_alu instid0(VALU_DEP_1) | instskip(SKIP_2) | instid1(VALU_DEP_2)
	v_cndmask_b32_e32 v11, v11, v18, vcc_lo
	v_add_nc_u32_e32 v77, v56, v50
	v_cmp_eq_u32_e32 vcc_lo, 1, v7
	v_sub_nc_u32_e32 v3, v77, v3
	s_wait_alu 0xfffd
	v_cndmask_b32_e32 v7, v14, v17, vcc_lo
	v_cmp_eq_u32_e32 vcc_lo, 1, v15
	v_and_b32_e32 v15, 1, v49
	v_add_nc_u32_e32 v16, v3, v19
	s_delay_alu instid0(VALU_DEP_4) | instskip(SKIP_4) | instid1(VALU_DEP_3)
	v_lshlrev_b32_e32 v7, 2, v7
	s_wait_alu 0xfffd
	v_cndmask_b32_e32 v11, v11, v13, vcc_lo
	v_and_b32_e32 v13, 1, v48
	v_sub_nc_u32_e32 v14, v87, v16
	v_lshlrev_b32_e32 v11, 2, v11
	s_delay_alu instid0(VALU_DEP_3)
	v_cmp_eq_u32_e32 vcc_lo, 1, v13
	ds_store_b32 v8, v12
	ds_store_b32 v7, v9
	;; [unrolled: 1-line block ×3, first 2 shown]
	v_add_nc_u32_e32 v14, 12, v14
	v_add_co_u32 v7, s0, v2, v84
	s_wait_alu 0xf1ff
	v_add_co_ci_u32_e64 v8, null, 0, 0, s0
	s_wait_alu 0xfffd
	v_cndmask_b32_e32 v13, v14, v19, vcc_lo
	v_cmp_eq_u32_e32 vcc_lo, 1, v15
	s_wait_alu 0xfffe
	s_add_nc_u64 s[0:1], s[34:35], s[40:41]
	v_lshlrev_b64_e32 v[9:10], 2, v[5:6]
	v_add_nc_u32_e32 v12, v1, v2
	s_wait_alu 0xfffd
	v_cndmask_b32_e32 v3, v13, v3, vcc_lo
	v_add_co_u32 v7, vcc_lo, v7, v41
	s_wait_alu 0xfffd
	v_add_co_ci_u32_e64 v8, null, v8, v42, vcc_lo
	s_delay_alu instid0(VALU_DEP_3)
	v_lshlrev_b32_e32 v3, 2, v3
	ds_store_b32 v3, v40
	v_add_co_u32 v3, vcc_lo, v7, v5
	s_wait_alu 0xfffd
	v_add_co_ci_u32_e64 v7, null, v8, v6, vcc_lo
	s_wait_loadcnt_dscnt 0x0
	s_wait_alu 0xfffe
	v_sub_co_u32 v3, vcc_lo, s0, v3
	s_wait_alu 0xfffd
	v_sub_co_ci_u32_e64 v11, null, s1, v7, vcc_lo
	v_lshlrev_b64_e32 v[7:8], 2, v[41:42]
	v_add_co_u32 v9, s0, s36, v9
	s_wait_alu 0xf1ff
	v_add_co_ci_u32_e64 v10, null, s37, v10, s0
	s_mov_b32 s0, -1
	v_add_co_u32 v7, vcc_lo, s38, v7
	s_wait_alu 0xfffd
	v_add_co_ci_u32_e64 v8, null, s39, v8, vcc_lo
	v_cmp_ne_u32_e32 vcc_lo, 1, v39
	s_barrier_signal -1
	s_barrier_wait -1
	global_inv scope:SCOPE_SE
	s_cbranch_vccz .LBB748_150
; %bb.147:
	s_wait_alu 0xfffe
	s_and_b32 vcc_lo, exec_lo, s0
	s_wait_alu 0xfffe
	s_cbranch_vccnz .LBB748_255
.LBB748_148:
	v_cmp_eq_u32_e32 vcc_lo, 0, v0
	s_and_b32 s0, vcc_lo, s15
	s_wait_alu 0xfffe
	s_and_saveexec_b32 s1, s0
	s_cbranch_execnz .LBB748_373
.LBB748_149:
	s_endpgm
.LBB748_150:
	s_mov_b32 s0, exec_lo
	v_cmpx_ge_u32_e64 v0, v1
	s_wait_alu 0xfffe
	s_xor_b32 s0, exec_lo, s0
	s_cbranch_execz .LBB748_156
; %bb.151:
	s_mov_b32 s1, exec_lo
	v_cmpx_ge_u32_e64 v0, v12
	s_wait_alu 0xfffe
	s_xor_b32 s1, exec_lo, s1
	s_cbranch_execz .LBB748_153
; %bb.152:
	v_lshlrev_b32_e32 v13, 2, v0
	ds_load_b32 v15, v13
	v_add_co_u32 v13, vcc_lo, v3, v0
	s_wait_alu 0xfffd
	v_add_co_ci_u32_e64 v14, null, 0, v11, vcc_lo
	s_delay_alu instid0(VALU_DEP_1) | instskip(NEXT) | instid1(VALU_DEP_1)
	v_lshlrev_b64_e32 v[13:14], 2, v[13:14]
	v_sub_co_u32 v13, vcc_lo, s26, v13
	s_wait_alu 0xfffd
	s_delay_alu instid0(VALU_DEP_2)
	v_sub_co_ci_u32_e64 v14, null, s27, v14, vcc_lo
	s_wait_dscnt 0x0
	global_store_b32 v[13:14], v15, off offset:-4
.LBB748_153:
	s_wait_alu 0xfffe
	s_and_not1_saveexec_b32 s1, s1
	s_cbranch_execz .LBB748_155
; %bb.154:
	v_lshlrev_b32_e32 v13, 2, v0
	v_readfirstlane_b32 s2, v7
	v_readfirstlane_b32 s3, v8
	ds_load_b32 v14, v13
	s_wait_dscnt 0x0
	global_store_b32 v13, v14, s[2:3]
.LBB748_155:
	s_wait_alu 0xfffe
	s_or_b32 exec_lo, exec_lo, s1
.LBB748_156:
	s_wait_alu 0xfffe
	s_and_not1_saveexec_b32 s0, s0
	s_cbranch_execz .LBB748_158
; %bb.157:
	v_lshlrev_b32_e32 v13, 2, v0
	v_readfirstlane_b32 s2, v9
	v_readfirstlane_b32 s3, v10
	ds_load_b32 v14, v13
	s_wait_dscnt 0x0
	global_store_b32 v13, v14, s[2:3]
.LBB748_158:
	s_wait_alu 0xfffe
	s_or_b32 exec_lo, exec_lo, s0
	s_delay_alu instid0(SALU_CYCLE_1)
	s_mov_b32 s0, exec_lo
	v_cmpx_ge_u32_e64 v38, v1
	s_wait_alu 0xfffe
	s_xor_b32 s0, exec_lo, s0
	s_cbranch_execz .LBB748_164
; %bb.159:
	s_mov_b32 s1, exec_lo
	v_cmpx_ge_u32_e64 v38, v12
	s_wait_alu 0xfffe
	s_xor_b32 s1, exec_lo, s1
	s_cbranch_execz .LBB748_161
; %bb.160:
	v_lshlrev_b32_e32 v13, 2, v0
	ds_load_b32 v15, v13 offset:1024
	v_add_co_u32 v13, vcc_lo, v3, v0
	s_wait_alu 0xfffd
	v_add_co_ci_u32_e64 v14, null, 0, v11, vcc_lo
	s_delay_alu instid0(VALU_DEP_1) | instskip(NEXT) | instid1(VALU_DEP_1)
	v_lshlrev_b64_e32 v[13:14], 2, v[13:14]
	v_sub_co_u32 v13, vcc_lo, s26, v13
	s_wait_alu 0xfffd
	s_delay_alu instid0(VALU_DEP_2)
	v_sub_co_ci_u32_e64 v14, null, s27, v14, vcc_lo
	s_wait_dscnt 0x0
	global_store_b32 v[13:14], v15, off offset:-1028
.LBB748_161:
	s_wait_alu 0xfffe
	s_and_not1_saveexec_b32 s1, s1
	s_cbranch_execz .LBB748_163
; %bb.162:
	v_lshlrev_b32_e32 v13, 2, v0
	v_readfirstlane_b32 s2, v7
	v_readfirstlane_b32 s3, v8
	ds_load_b32 v14, v13 offset:1024
	s_wait_dscnt 0x0
	global_store_b32 v13, v14, s[2:3] offset:1024
.LBB748_163:
	s_wait_alu 0xfffe
	s_or_b32 exec_lo, exec_lo, s1
.LBB748_164:
	s_wait_alu 0xfffe
	s_and_not1_saveexec_b32 s0, s0
	s_cbranch_execz .LBB748_166
; %bb.165:
	v_lshlrev_b32_e32 v13, 2, v0
	v_readfirstlane_b32 s2, v9
	v_readfirstlane_b32 s3, v10
	ds_load_b32 v14, v13 offset:1024
	s_wait_dscnt 0x0
	global_store_b32 v13, v14, s[2:3] offset:1024
.LBB748_166:
	s_wait_alu 0xfffe
	s_or_b32 exec_lo, exec_lo, s0
	s_delay_alu instid0(SALU_CYCLE_1)
	s_mov_b32 s0, exec_lo
	v_cmpx_ge_u32_e64 v37, v1
	s_wait_alu 0xfffe
	s_xor_b32 s0, exec_lo, s0
	s_cbranch_execz .LBB748_172
; %bb.167:
	s_mov_b32 s1, exec_lo
	v_cmpx_ge_u32_e64 v37, v12
	s_wait_alu 0xfffe
	s_xor_b32 s1, exec_lo, s1
	s_cbranch_execz .LBB748_169
; %bb.168:
	v_lshlrev_b32_e32 v13, 2, v0
	ds_load_b32 v15, v13 offset:2048
	v_add_co_u32 v13, vcc_lo, v3, v0
	s_wait_alu 0xfffd
	v_add_co_ci_u32_e64 v14, null, 0, v11, vcc_lo
	s_delay_alu instid0(VALU_DEP_1) | instskip(NEXT) | instid1(VALU_DEP_1)
	v_lshlrev_b64_e32 v[13:14], 2, v[13:14]
	v_sub_co_u32 v13, vcc_lo, s26, v13
	s_wait_alu 0xfffd
	s_delay_alu instid0(VALU_DEP_2)
	v_sub_co_ci_u32_e64 v14, null, s27, v14, vcc_lo
	s_wait_dscnt 0x0
	global_store_b32 v[13:14], v15, off offset:-2052
.LBB748_169:
	s_wait_alu 0xfffe
	s_and_not1_saveexec_b32 s1, s1
	s_cbranch_execz .LBB748_171
; %bb.170:
	v_lshlrev_b32_e32 v13, 2, v0
	v_readfirstlane_b32 s2, v7
	v_readfirstlane_b32 s3, v8
	ds_load_b32 v14, v13 offset:2048
	s_wait_dscnt 0x0
	global_store_b32 v13, v14, s[2:3] offset:2048
.LBB748_171:
	s_wait_alu 0xfffe
	s_or_b32 exec_lo, exec_lo, s1
.LBB748_172:
	s_wait_alu 0xfffe
	s_and_not1_saveexec_b32 s0, s0
	s_cbranch_execz .LBB748_174
; %bb.173:
	v_lshlrev_b32_e32 v13, 2, v0
	v_readfirstlane_b32 s2, v9
	v_readfirstlane_b32 s3, v10
	ds_load_b32 v14, v13 offset:2048
	s_wait_dscnt 0x0
	global_store_b32 v13, v14, s[2:3] offset:2048
.LBB748_174:
	;; [unrolled: 54-line block ×12, first 2 shown]
	s_wait_alu 0xfffe
	s_or_b32 exec_lo, exec_lo, s0
	s_branch .LBB748_148
.LBB748_255:
	s_mov_b32 s0, exec_lo
	v_cmpx_gt_u32_e64 s33, v0
	s_cbranch_execz .LBB748_264
; %bb.256:
	s_mov_b32 s1, exec_lo
	v_cmpx_ge_u32_e64 v0, v1
	s_wait_alu 0xfffe
	s_xor_b32 s1, exec_lo, s1
	s_cbranch_execz .LBB748_262
; %bb.257:
	s_mov_b32 s2, exec_lo
	v_cmpx_ge_u32_e64 v0, v12
	s_wait_alu 0xfffe
	s_xor_b32 s2, exec_lo, s2
	s_cbranch_execz .LBB748_259
; %bb.258:
	v_lshlrev_b32_e32 v13, 2, v0
	ds_load_b32 v15, v13
	v_add_co_u32 v13, vcc_lo, v3, v0
	s_wait_alu 0xfffd
	v_add_co_ci_u32_e64 v14, null, 0, v11, vcc_lo
	s_delay_alu instid0(VALU_DEP_1) | instskip(NEXT) | instid1(VALU_DEP_1)
	v_lshlrev_b64_e32 v[13:14], 2, v[13:14]
	v_sub_co_u32 v13, vcc_lo, s26, v13
	s_wait_alu 0xfffd
	s_delay_alu instid0(VALU_DEP_2)
	v_sub_co_ci_u32_e64 v14, null, s27, v14, vcc_lo
	s_wait_dscnt 0x0
	global_store_b32 v[13:14], v15, off offset:-4
.LBB748_259:
	s_wait_alu 0xfffe
	s_and_not1_saveexec_b32 s2, s2
	s_cbranch_execz .LBB748_261
; %bb.260:
	v_lshlrev_b32_e32 v13, 2, v0
	v_readfirstlane_b32 s4, v7
	v_readfirstlane_b32 s5, v8
	ds_load_b32 v14, v13
	s_wait_dscnt 0x0
	global_store_b32 v13, v14, s[4:5]
.LBB748_261:
	s_wait_alu 0xfffe
	s_or_b32 exec_lo, exec_lo, s2
.LBB748_262:
	s_wait_alu 0xfffe
	s_and_not1_saveexec_b32 s1, s1
	s_cbranch_execz .LBB748_264
; %bb.263:
	v_lshlrev_b32_e32 v13, 2, v0
	v_readfirstlane_b32 s2, v9
	v_readfirstlane_b32 s3, v10
	ds_load_b32 v14, v13
	s_wait_dscnt 0x0
	global_store_b32 v13, v14, s[2:3]
.LBB748_264:
	s_wait_alu 0xfffe
	s_or_b32 exec_lo, exec_lo, s0
	s_delay_alu instid0(SALU_CYCLE_1)
	s_mov_b32 s0, exec_lo
	v_cmpx_gt_u32_e64 s33, v38
	s_cbranch_execz .LBB748_273
; %bb.265:
	s_mov_b32 s1, exec_lo
	v_cmpx_ge_u32_e64 v38, v1
	s_wait_alu 0xfffe
	s_xor_b32 s1, exec_lo, s1
	s_cbranch_execz .LBB748_271
; %bb.266:
	s_mov_b32 s2, exec_lo
	v_cmpx_ge_u32_e64 v38, v12
	s_wait_alu 0xfffe
	s_xor_b32 s2, exec_lo, s2
	s_cbranch_execz .LBB748_268
; %bb.267:
	v_lshlrev_b32_e32 v13, 2, v0
	ds_load_b32 v15, v13 offset:1024
	v_add_co_u32 v13, vcc_lo, v3, v0
	s_wait_alu 0xfffd
	v_add_co_ci_u32_e64 v14, null, 0, v11, vcc_lo
	s_delay_alu instid0(VALU_DEP_1) | instskip(NEXT) | instid1(VALU_DEP_1)
	v_lshlrev_b64_e32 v[13:14], 2, v[13:14]
	v_sub_co_u32 v13, vcc_lo, s26, v13
	s_wait_alu 0xfffd
	s_delay_alu instid0(VALU_DEP_2)
	v_sub_co_ci_u32_e64 v14, null, s27, v14, vcc_lo
	s_wait_dscnt 0x0
	global_store_b32 v[13:14], v15, off offset:-1028
.LBB748_268:
	s_wait_alu 0xfffe
	s_and_not1_saveexec_b32 s2, s2
	s_cbranch_execz .LBB748_270
; %bb.269:
	v_lshlrev_b32_e32 v13, 2, v0
	v_readfirstlane_b32 s4, v7
	v_readfirstlane_b32 s5, v8
	ds_load_b32 v14, v13 offset:1024
	s_wait_dscnt 0x0
	global_store_b32 v13, v14, s[4:5] offset:1024
.LBB748_270:
	s_wait_alu 0xfffe
	s_or_b32 exec_lo, exec_lo, s2
.LBB748_271:
	s_wait_alu 0xfffe
	s_and_not1_saveexec_b32 s1, s1
	s_cbranch_execz .LBB748_273
; %bb.272:
	v_lshlrev_b32_e32 v13, 2, v0
	v_readfirstlane_b32 s2, v9
	v_readfirstlane_b32 s3, v10
	ds_load_b32 v14, v13 offset:1024
	s_wait_dscnt 0x0
	global_store_b32 v13, v14, s[2:3] offset:1024
.LBB748_273:
	s_wait_alu 0xfffe
	s_or_b32 exec_lo, exec_lo, s0
	s_delay_alu instid0(SALU_CYCLE_1)
	s_mov_b32 s0, exec_lo
	v_cmpx_gt_u32_e64 s33, v37
	s_cbranch_execz .LBB748_282
; %bb.274:
	s_mov_b32 s1, exec_lo
	v_cmpx_ge_u32_e64 v37, v1
	s_wait_alu 0xfffe
	s_xor_b32 s1, exec_lo, s1
	s_cbranch_execz .LBB748_280
; %bb.275:
	s_mov_b32 s2, exec_lo
	v_cmpx_ge_u32_e64 v37, v12
	s_wait_alu 0xfffe
	s_xor_b32 s2, exec_lo, s2
	s_cbranch_execz .LBB748_277
; %bb.276:
	v_lshlrev_b32_e32 v13, 2, v0
	ds_load_b32 v15, v13 offset:2048
	v_add_co_u32 v13, vcc_lo, v3, v0
	s_wait_alu 0xfffd
	v_add_co_ci_u32_e64 v14, null, 0, v11, vcc_lo
	s_delay_alu instid0(VALU_DEP_1) | instskip(NEXT) | instid1(VALU_DEP_1)
	v_lshlrev_b64_e32 v[13:14], 2, v[13:14]
	v_sub_co_u32 v13, vcc_lo, s26, v13
	s_wait_alu 0xfffd
	s_delay_alu instid0(VALU_DEP_2)
	v_sub_co_ci_u32_e64 v14, null, s27, v14, vcc_lo
	s_wait_dscnt 0x0
	global_store_b32 v[13:14], v15, off offset:-2052
.LBB748_277:
	s_wait_alu 0xfffe
	s_and_not1_saveexec_b32 s2, s2
	s_cbranch_execz .LBB748_279
; %bb.278:
	v_lshlrev_b32_e32 v13, 2, v0
	v_readfirstlane_b32 s4, v7
	v_readfirstlane_b32 s5, v8
	ds_load_b32 v14, v13 offset:2048
	s_wait_dscnt 0x0
	global_store_b32 v13, v14, s[4:5] offset:2048
.LBB748_279:
	s_wait_alu 0xfffe
	s_or_b32 exec_lo, exec_lo, s2
.LBB748_280:
	s_wait_alu 0xfffe
	s_and_not1_saveexec_b32 s1, s1
	s_cbranch_execz .LBB748_282
; %bb.281:
	v_lshlrev_b32_e32 v13, 2, v0
	v_readfirstlane_b32 s2, v9
	v_readfirstlane_b32 s3, v10
	ds_load_b32 v14, v13 offset:2048
	s_wait_dscnt 0x0
	global_store_b32 v13, v14, s[2:3] offset:2048
.LBB748_282:
	;; [unrolled: 58-line block ×11, first 2 shown]
	s_wait_alu 0xfffe
	s_or_b32 exec_lo, exec_lo, s0
	s_delay_alu instid0(SALU_CYCLE_1)
	s_mov_b32 s0, exec_lo
	v_cmpx_gt_u32_e64 s33, v27
	s_cbranch_execz .LBB748_372
; %bb.364:
	s_mov_b32 s1, exec_lo
	v_cmpx_ge_u32_e64 v27, v1
	s_wait_alu 0xfffe
	s_xor_b32 s1, exec_lo, s1
	s_cbranch_execz .LBB748_370
; %bb.365:
	s_mov_b32 s2, exec_lo
	v_cmpx_ge_u32_e64 v27, v12
	s_wait_alu 0xfffe
	s_xor_b32 s2, exec_lo, s2
	s_cbranch_execz .LBB748_367
; %bb.366:
	v_lshlrev_b32_e32 v7, 2, v0
	ds_load_b32 v9, v7 offset:12288
	v_add_co_u32 v7, vcc_lo, v3, v0
	s_wait_alu 0xfffd
	v_add_co_ci_u32_e64 v8, null, 0, v11, vcc_lo
	s_delay_alu instid0(VALU_DEP_1) | instskip(NEXT) | instid1(VALU_DEP_1)
	v_lshlrev_b64_e32 v[7:8], 2, v[7:8]
	v_sub_co_u32 v7, vcc_lo, s26, v7
	s_wait_alu 0xfffd
	s_delay_alu instid0(VALU_DEP_2)
	v_sub_co_ci_u32_e64 v8, null, s27, v8, vcc_lo
	s_wait_dscnt 0x0
	global_store_b32 v[7:8], v9, off offset:-12292
                                        ; implicit-def: $vgpr7_vgpr8
.LBB748_367:
	s_wait_alu 0xfffe
	s_and_not1_saveexec_b32 s2, s2
	s_cbranch_execz .LBB748_369
; %bb.368:
	v_lshlrev_b32_e32 v3, 2, v0
	v_readfirstlane_b32 s4, v7
	v_readfirstlane_b32 s5, v8
	ds_load_b32 v9, v3 offset:12288
	s_wait_dscnt 0x0
	global_store_b32 v3, v9, s[4:5] offset:12288
.LBB748_369:
	s_wait_alu 0xfffe
	s_or_b32 exec_lo, exec_lo, s2
                                        ; implicit-def: $vgpr9_vgpr10
.LBB748_370:
	s_wait_alu 0xfffe
	s_and_not1_saveexec_b32 s1, s1
	s_cbranch_execz .LBB748_372
; %bb.371:
	v_lshlrev_b32_e32 v3, 2, v0
	v_readfirstlane_b32 s2, v9
	v_readfirstlane_b32 s3, v10
	ds_load_b32 v7, v3 offset:12288
	s_wait_dscnt 0x0
	global_store_b32 v3, v7, s[2:3] offset:12288
.LBB748_372:
	s_wait_alu 0xfffe
	s_or_b32 exec_lo, exec_lo, s0
	v_cmp_eq_u32_e32 vcc_lo, 0, v0
	s_and_b32 s0, vcc_lo, s15
	s_wait_alu 0xfffe
	s_and_saveexec_b32 s1, s0
	s_cbranch_execz .LBB748_149
.LBB748_373:
	v_add_co_u32 v0, s0, s30, v2
	s_wait_alu 0xf1ff
	v_add_co_ci_u32_e64 v3, null, s31, 0, s0
	v_mov_b32_e32 v7, 0
	s_delay_alu instid0(VALU_DEP_3) | instskip(SKIP_1) | instid1(VALU_DEP_3)
	v_add_co_u32 v2, vcc_lo, v0, v4
	s_wait_alu 0xfffd
	v_add_co_ci_u32_e64 v3, null, 0, v3, vcc_lo
	v_add_co_u32 v0, vcc_lo, v5, v1
	s_wait_alu 0xfffd
	v_add_co_ci_u32_e64 v1, null, 0, v6, vcc_lo
	global_store_b128 v7, v[0:3], s[24:25]
	s_endpgm
.LBB748_374:
	s_add_co_i32 s8, ttmp9, 32
	s_mov_b32 s9, 0
	v_dual_mov_b32 v7, 2 :: v_dual_add_nc_u32 v6, v4, v2
	s_wait_alu 0xfffe
	s_lshl_b64 s[8:9], s[8:9], 4
	v_dual_mov_b32 v8, 0 :: v_dual_add_nc_u32 v5, v3, v1
	s_wait_alu 0xfffe
	s_add_nc_u64 s[8:9], s[4:5], s[8:9]
	s_wait_alu 0xfffe
	v_dual_mov_b32 v24, s9 :: v_dual_mov_b32 v23, s8
	;;#ASMSTART
	global_store_b128 v[23:24], v[5:8] off scope:SCOPE_DEV	
s_wait_storecnt 0x0
	;;#ASMEND
	s_or_b32 exec_lo, exec_lo, s6
	s_and_saveexec_b32 s6, s2
	s_cbranch_execz .LBB748_134
.LBB748_375:
	v_mov_b32_e32 v5, 0
	ds_store_b128 v5, v[1:4] offset:13312
	s_wait_alu 0xfffe
	s_or_b32 exec_lo, exec_lo, s6
	v_cmp_eq_u32_e32 vcc_lo, 0, v0
	s_and_b32 exec_lo, exec_lo, vcc_lo
	s_cbranch_execnz .LBB748_135
	s_branch .LBB748_136
	.section	.rodata,"a",@progbits
	.p2align	6, 0x0
	.amdhsa_kernel _ZN7rocprim17ROCPRIM_400000_NS6detail17trampoline_kernelINS0_13select_configILj256ELj13ELNS0_17block_load_methodE3ELS4_3ELS4_3ELNS0_20block_scan_algorithmE0ELj4294967295EEENS1_25partition_config_selectorILNS1_17partition_subalgoE4EjNS0_10empty_typeEbEEZZNS1_14partition_implILS8_4ELb0ES6_15HIP_vector_typeIjLj2EENS0_17counting_iteratorIjlEEPS9_SG_NS0_5tupleIJPjSI_NS0_16reverse_iteratorISI_EEEEENSH_IJSG_SG_SG_EEES9_SI_JZNS1_25segmented_radix_sort_implINS0_14default_configELb0EPKlPlSQ_SR_N2at6native12_GLOBAL__N_18offset_tEEE10hipError_tPvRmT1_PNSt15iterator_traitsISZ_E10value_typeET2_T3_PNS10_IS15_E10value_typeET4_jRbjT5_S1B_jjP12ihipStream_tbEUljE_ZNSN_ISO_Lb0ESQ_SR_SQ_SR_SV_EESW_SX_SY_SZ_S13_S14_S15_S18_S19_jS1A_jS1B_S1B_jjS1D_bEUljE0_EEESW_SX_SY_S15_S19_S1B_T6_T7_T9_mT8_S1D_bDpT10_ENKUlT_T0_E_clISt17integral_constantIbLb0EES1R_EEDaS1M_S1N_EUlS1M_E_NS1_11comp_targetILNS1_3genE10ELNS1_11target_archE1200ELNS1_3gpuE4ELNS1_3repE0EEENS1_30default_config_static_selectorELNS0_4arch9wavefront6targetE0EEEvSZ_
		.amdhsa_group_segment_fixed_size 13328
		.amdhsa_private_segment_fixed_size 0
		.amdhsa_kernarg_size 176
		.amdhsa_user_sgpr_count 2
		.amdhsa_user_sgpr_dispatch_ptr 0
		.amdhsa_user_sgpr_queue_ptr 0
		.amdhsa_user_sgpr_kernarg_segment_ptr 1
		.amdhsa_user_sgpr_dispatch_id 0
		.amdhsa_user_sgpr_private_segment_size 0
		.amdhsa_wavefront_size32 1
		.amdhsa_uses_dynamic_stack 0
		.amdhsa_enable_private_segment 0
		.amdhsa_system_sgpr_workgroup_id_x 1
		.amdhsa_system_sgpr_workgroup_id_y 0
		.amdhsa_system_sgpr_workgroup_id_z 0
		.amdhsa_system_sgpr_workgroup_info 0
		.amdhsa_system_vgpr_workitem_id 0
		.amdhsa_next_free_vgpr 93
		.amdhsa_next_free_sgpr 58
		.amdhsa_reserve_vcc 1
		.amdhsa_float_round_mode_32 0
		.amdhsa_float_round_mode_16_64 0
		.amdhsa_float_denorm_mode_32 3
		.amdhsa_float_denorm_mode_16_64 3
		.amdhsa_fp16_overflow 0
		.amdhsa_workgroup_processor_mode 1
		.amdhsa_memory_ordered 1
		.amdhsa_forward_progress 1
		.amdhsa_inst_pref_size 148
		.amdhsa_round_robin_scheduling 0
		.amdhsa_exception_fp_ieee_invalid_op 0
		.amdhsa_exception_fp_denorm_src 0
		.amdhsa_exception_fp_ieee_div_zero 0
		.amdhsa_exception_fp_ieee_overflow 0
		.amdhsa_exception_fp_ieee_underflow 0
		.amdhsa_exception_fp_ieee_inexact 0
		.amdhsa_exception_int_div_zero 0
	.end_amdhsa_kernel
	.section	.text._ZN7rocprim17ROCPRIM_400000_NS6detail17trampoline_kernelINS0_13select_configILj256ELj13ELNS0_17block_load_methodE3ELS4_3ELS4_3ELNS0_20block_scan_algorithmE0ELj4294967295EEENS1_25partition_config_selectorILNS1_17partition_subalgoE4EjNS0_10empty_typeEbEEZZNS1_14partition_implILS8_4ELb0ES6_15HIP_vector_typeIjLj2EENS0_17counting_iteratorIjlEEPS9_SG_NS0_5tupleIJPjSI_NS0_16reverse_iteratorISI_EEEEENSH_IJSG_SG_SG_EEES9_SI_JZNS1_25segmented_radix_sort_implINS0_14default_configELb0EPKlPlSQ_SR_N2at6native12_GLOBAL__N_18offset_tEEE10hipError_tPvRmT1_PNSt15iterator_traitsISZ_E10value_typeET2_T3_PNS10_IS15_E10value_typeET4_jRbjT5_S1B_jjP12ihipStream_tbEUljE_ZNSN_ISO_Lb0ESQ_SR_SQ_SR_SV_EESW_SX_SY_SZ_S13_S14_S15_S18_S19_jS1A_jS1B_S1B_jjS1D_bEUljE0_EEESW_SX_SY_S15_S19_S1B_T6_T7_T9_mT8_S1D_bDpT10_ENKUlT_T0_E_clISt17integral_constantIbLb0EES1R_EEDaS1M_S1N_EUlS1M_E_NS1_11comp_targetILNS1_3genE10ELNS1_11target_archE1200ELNS1_3gpuE4ELNS1_3repE0EEENS1_30default_config_static_selectorELNS0_4arch9wavefront6targetE0EEEvSZ_,"axG",@progbits,_ZN7rocprim17ROCPRIM_400000_NS6detail17trampoline_kernelINS0_13select_configILj256ELj13ELNS0_17block_load_methodE3ELS4_3ELS4_3ELNS0_20block_scan_algorithmE0ELj4294967295EEENS1_25partition_config_selectorILNS1_17partition_subalgoE4EjNS0_10empty_typeEbEEZZNS1_14partition_implILS8_4ELb0ES6_15HIP_vector_typeIjLj2EENS0_17counting_iteratorIjlEEPS9_SG_NS0_5tupleIJPjSI_NS0_16reverse_iteratorISI_EEEEENSH_IJSG_SG_SG_EEES9_SI_JZNS1_25segmented_radix_sort_implINS0_14default_configELb0EPKlPlSQ_SR_N2at6native12_GLOBAL__N_18offset_tEEE10hipError_tPvRmT1_PNSt15iterator_traitsISZ_E10value_typeET2_T3_PNS10_IS15_E10value_typeET4_jRbjT5_S1B_jjP12ihipStream_tbEUljE_ZNSN_ISO_Lb0ESQ_SR_SQ_SR_SV_EESW_SX_SY_SZ_S13_S14_S15_S18_S19_jS1A_jS1B_S1B_jjS1D_bEUljE0_EEESW_SX_SY_S15_S19_S1B_T6_T7_T9_mT8_S1D_bDpT10_ENKUlT_T0_E_clISt17integral_constantIbLb0EES1R_EEDaS1M_S1N_EUlS1M_E_NS1_11comp_targetILNS1_3genE10ELNS1_11target_archE1200ELNS1_3gpuE4ELNS1_3repE0EEENS1_30default_config_static_selectorELNS0_4arch9wavefront6targetE0EEEvSZ_,comdat
.Lfunc_end748:
	.size	_ZN7rocprim17ROCPRIM_400000_NS6detail17trampoline_kernelINS0_13select_configILj256ELj13ELNS0_17block_load_methodE3ELS4_3ELS4_3ELNS0_20block_scan_algorithmE0ELj4294967295EEENS1_25partition_config_selectorILNS1_17partition_subalgoE4EjNS0_10empty_typeEbEEZZNS1_14partition_implILS8_4ELb0ES6_15HIP_vector_typeIjLj2EENS0_17counting_iteratorIjlEEPS9_SG_NS0_5tupleIJPjSI_NS0_16reverse_iteratorISI_EEEEENSH_IJSG_SG_SG_EEES9_SI_JZNS1_25segmented_radix_sort_implINS0_14default_configELb0EPKlPlSQ_SR_N2at6native12_GLOBAL__N_18offset_tEEE10hipError_tPvRmT1_PNSt15iterator_traitsISZ_E10value_typeET2_T3_PNS10_IS15_E10value_typeET4_jRbjT5_S1B_jjP12ihipStream_tbEUljE_ZNSN_ISO_Lb0ESQ_SR_SQ_SR_SV_EESW_SX_SY_SZ_S13_S14_S15_S18_S19_jS1A_jS1B_S1B_jjS1D_bEUljE0_EEESW_SX_SY_S15_S19_S1B_T6_T7_T9_mT8_S1D_bDpT10_ENKUlT_T0_E_clISt17integral_constantIbLb0EES1R_EEDaS1M_S1N_EUlS1M_E_NS1_11comp_targetILNS1_3genE10ELNS1_11target_archE1200ELNS1_3gpuE4ELNS1_3repE0EEENS1_30default_config_static_selectorELNS0_4arch9wavefront6targetE0EEEvSZ_, .Lfunc_end748-_ZN7rocprim17ROCPRIM_400000_NS6detail17trampoline_kernelINS0_13select_configILj256ELj13ELNS0_17block_load_methodE3ELS4_3ELS4_3ELNS0_20block_scan_algorithmE0ELj4294967295EEENS1_25partition_config_selectorILNS1_17partition_subalgoE4EjNS0_10empty_typeEbEEZZNS1_14partition_implILS8_4ELb0ES6_15HIP_vector_typeIjLj2EENS0_17counting_iteratorIjlEEPS9_SG_NS0_5tupleIJPjSI_NS0_16reverse_iteratorISI_EEEEENSH_IJSG_SG_SG_EEES9_SI_JZNS1_25segmented_radix_sort_implINS0_14default_configELb0EPKlPlSQ_SR_N2at6native12_GLOBAL__N_18offset_tEEE10hipError_tPvRmT1_PNSt15iterator_traitsISZ_E10value_typeET2_T3_PNS10_IS15_E10value_typeET4_jRbjT5_S1B_jjP12ihipStream_tbEUljE_ZNSN_ISO_Lb0ESQ_SR_SQ_SR_SV_EESW_SX_SY_SZ_S13_S14_S15_S18_S19_jS1A_jS1B_S1B_jjS1D_bEUljE0_EEESW_SX_SY_S15_S19_S1B_T6_T7_T9_mT8_S1D_bDpT10_ENKUlT_T0_E_clISt17integral_constantIbLb0EES1R_EEDaS1M_S1N_EUlS1M_E_NS1_11comp_targetILNS1_3genE10ELNS1_11target_archE1200ELNS1_3gpuE4ELNS1_3repE0EEENS1_30default_config_static_selectorELNS0_4arch9wavefront6targetE0EEEvSZ_
                                        ; -- End function
	.set _ZN7rocprim17ROCPRIM_400000_NS6detail17trampoline_kernelINS0_13select_configILj256ELj13ELNS0_17block_load_methodE3ELS4_3ELS4_3ELNS0_20block_scan_algorithmE0ELj4294967295EEENS1_25partition_config_selectorILNS1_17partition_subalgoE4EjNS0_10empty_typeEbEEZZNS1_14partition_implILS8_4ELb0ES6_15HIP_vector_typeIjLj2EENS0_17counting_iteratorIjlEEPS9_SG_NS0_5tupleIJPjSI_NS0_16reverse_iteratorISI_EEEEENSH_IJSG_SG_SG_EEES9_SI_JZNS1_25segmented_radix_sort_implINS0_14default_configELb0EPKlPlSQ_SR_N2at6native12_GLOBAL__N_18offset_tEEE10hipError_tPvRmT1_PNSt15iterator_traitsISZ_E10value_typeET2_T3_PNS10_IS15_E10value_typeET4_jRbjT5_S1B_jjP12ihipStream_tbEUljE_ZNSN_ISO_Lb0ESQ_SR_SQ_SR_SV_EESW_SX_SY_SZ_S13_S14_S15_S18_S19_jS1A_jS1B_S1B_jjS1D_bEUljE0_EEESW_SX_SY_S15_S19_S1B_T6_T7_T9_mT8_S1D_bDpT10_ENKUlT_T0_E_clISt17integral_constantIbLb0EES1R_EEDaS1M_S1N_EUlS1M_E_NS1_11comp_targetILNS1_3genE10ELNS1_11target_archE1200ELNS1_3gpuE4ELNS1_3repE0EEENS1_30default_config_static_selectorELNS0_4arch9wavefront6targetE0EEEvSZ_.num_vgpr, 93
	.set _ZN7rocprim17ROCPRIM_400000_NS6detail17trampoline_kernelINS0_13select_configILj256ELj13ELNS0_17block_load_methodE3ELS4_3ELS4_3ELNS0_20block_scan_algorithmE0ELj4294967295EEENS1_25partition_config_selectorILNS1_17partition_subalgoE4EjNS0_10empty_typeEbEEZZNS1_14partition_implILS8_4ELb0ES6_15HIP_vector_typeIjLj2EENS0_17counting_iteratorIjlEEPS9_SG_NS0_5tupleIJPjSI_NS0_16reverse_iteratorISI_EEEEENSH_IJSG_SG_SG_EEES9_SI_JZNS1_25segmented_radix_sort_implINS0_14default_configELb0EPKlPlSQ_SR_N2at6native12_GLOBAL__N_18offset_tEEE10hipError_tPvRmT1_PNSt15iterator_traitsISZ_E10value_typeET2_T3_PNS10_IS15_E10value_typeET4_jRbjT5_S1B_jjP12ihipStream_tbEUljE_ZNSN_ISO_Lb0ESQ_SR_SQ_SR_SV_EESW_SX_SY_SZ_S13_S14_S15_S18_S19_jS1A_jS1B_S1B_jjS1D_bEUljE0_EEESW_SX_SY_S15_S19_S1B_T6_T7_T9_mT8_S1D_bDpT10_ENKUlT_T0_E_clISt17integral_constantIbLb0EES1R_EEDaS1M_S1N_EUlS1M_E_NS1_11comp_targetILNS1_3genE10ELNS1_11target_archE1200ELNS1_3gpuE4ELNS1_3repE0EEENS1_30default_config_static_selectorELNS0_4arch9wavefront6targetE0EEEvSZ_.num_agpr, 0
	.set _ZN7rocprim17ROCPRIM_400000_NS6detail17trampoline_kernelINS0_13select_configILj256ELj13ELNS0_17block_load_methodE3ELS4_3ELS4_3ELNS0_20block_scan_algorithmE0ELj4294967295EEENS1_25partition_config_selectorILNS1_17partition_subalgoE4EjNS0_10empty_typeEbEEZZNS1_14partition_implILS8_4ELb0ES6_15HIP_vector_typeIjLj2EENS0_17counting_iteratorIjlEEPS9_SG_NS0_5tupleIJPjSI_NS0_16reverse_iteratorISI_EEEEENSH_IJSG_SG_SG_EEES9_SI_JZNS1_25segmented_radix_sort_implINS0_14default_configELb0EPKlPlSQ_SR_N2at6native12_GLOBAL__N_18offset_tEEE10hipError_tPvRmT1_PNSt15iterator_traitsISZ_E10value_typeET2_T3_PNS10_IS15_E10value_typeET4_jRbjT5_S1B_jjP12ihipStream_tbEUljE_ZNSN_ISO_Lb0ESQ_SR_SQ_SR_SV_EESW_SX_SY_SZ_S13_S14_S15_S18_S19_jS1A_jS1B_S1B_jjS1D_bEUljE0_EEESW_SX_SY_S15_S19_S1B_T6_T7_T9_mT8_S1D_bDpT10_ENKUlT_T0_E_clISt17integral_constantIbLb0EES1R_EEDaS1M_S1N_EUlS1M_E_NS1_11comp_targetILNS1_3genE10ELNS1_11target_archE1200ELNS1_3gpuE4ELNS1_3repE0EEENS1_30default_config_static_selectorELNS0_4arch9wavefront6targetE0EEEvSZ_.numbered_sgpr, 58
	.set _ZN7rocprim17ROCPRIM_400000_NS6detail17trampoline_kernelINS0_13select_configILj256ELj13ELNS0_17block_load_methodE3ELS4_3ELS4_3ELNS0_20block_scan_algorithmE0ELj4294967295EEENS1_25partition_config_selectorILNS1_17partition_subalgoE4EjNS0_10empty_typeEbEEZZNS1_14partition_implILS8_4ELb0ES6_15HIP_vector_typeIjLj2EENS0_17counting_iteratorIjlEEPS9_SG_NS0_5tupleIJPjSI_NS0_16reverse_iteratorISI_EEEEENSH_IJSG_SG_SG_EEES9_SI_JZNS1_25segmented_radix_sort_implINS0_14default_configELb0EPKlPlSQ_SR_N2at6native12_GLOBAL__N_18offset_tEEE10hipError_tPvRmT1_PNSt15iterator_traitsISZ_E10value_typeET2_T3_PNS10_IS15_E10value_typeET4_jRbjT5_S1B_jjP12ihipStream_tbEUljE_ZNSN_ISO_Lb0ESQ_SR_SQ_SR_SV_EESW_SX_SY_SZ_S13_S14_S15_S18_S19_jS1A_jS1B_S1B_jjS1D_bEUljE0_EEESW_SX_SY_S15_S19_S1B_T6_T7_T9_mT8_S1D_bDpT10_ENKUlT_T0_E_clISt17integral_constantIbLb0EES1R_EEDaS1M_S1N_EUlS1M_E_NS1_11comp_targetILNS1_3genE10ELNS1_11target_archE1200ELNS1_3gpuE4ELNS1_3repE0EEENS1_30default_config_static_selectorELNS0_4arch9wavefront6targetE0EEEvSZ_.num_named_barrier, 0
	.set _ZN7rocprim17ROCPRIM_400000_NS6detail17trampoline_kernelINS0_13select_configILj256ELj13ELNS0_17block_load_methodE3ELS4_3ELS4_3ELNS0_20block_scan_algorithmE0ELj4294967295EEENS1_25partition_config_selectorILNS1_17partition_subalgoE4EjNS0_10empty_typeEbEEZZNS1_14partition_implILS8_4ELb0ES6_15HIP_vector_typeIjLj2EENS0_17counting_iteratorIjlEEPS9_SG_NS0_5tupleIJPjSI_NS0_16reverse_iteratorISI_EEEEENSH_IJSG_SG_SG_EEES9_SI_JZNS1_25segmented_radix_sort_implINS0_14default_configELb0EPKlPlSQ_SR_N2at6native12_GLOBAL__N_18offset_tEEE10hipError_tPvRmT1_PNSt15iterator_traitsISZ_E10value_typeET2_T3_PNS10_IS15_E10value_typeET4_jRbjT5_S1B_jjP12ihipStream_tbEUljE_ZNSN_ISO_Lb0ESQ_SR_SQ_SR_SV_EESW_SX_SY_SZ_S13_S14_S15_S18_S19_jS1A_jS1B_S1B_jjS1D_bEUljE0_EEESW_SX_SY_S15_S19_S1B_T6_T7_T9_mT8_S1D_bDpT10_ENKUlT_T0_E_clISt17integral_constantIbLb0EES1R_EEDaS1M_S1N_EUlS1M_E_NS1_11comp_targetILNS1_3genE10ELNS1_11target_archE1200ELNS1_3gpuE4ELNS1_3repE0EEENS1_30default_config_static_selectorELNS0_4arch9wavefront6targetE0EEEvSZ_.private_seg_size, 0
	.set _ZN7rocprim17ROCPRIM_400000_NS6detail17trampoline_kernelINS0_13select_configILj256ELj13ELNS0_17block_load_methodE3ELS4_3ELS4_3ELNS0_20block_scan_algorithmE0ELj4294967295EEENS1_25partition_config_selectorILNS1_17partition_subalgoE4EjNS0_10empty_typeEbEEZZNS1_14partition_implILS8_4ELb0ES6_15HIP_vector_typeIjLj2EENS0_17counting_iteratorIjlEEPS9_SG_NS0_5tupleIJPjSI_NS0_16reverse_iteratorISI_EEEEENSH_IJSG_SG_SG_EEES9_SI_JZNS1_25segmented_radix_sort_implINS0_14default_configELb0EPKlPlSQ_SR_N2at6native12_GLOBAL__N_18offset_tEEE10hipError_tPvRmT1_PNSt15iterator_traitsISZ_E10value_typeET2_T3_PNS10_IS15_E10value_typeET4_jRbjT5_S1B_jjP12ihipStream_tbEUljE_ZNSN_ISO_Lb0ESQ_SR_SQ_SR_SV_EESW_SX_SY_SZ_S13_S14_S15_S18_S19_jS1A_jS1B_S1B_jjS1D_bEUljE0_EEESW_SX_SY_S15_S19_S1B_T6_T7_T9_mT8_S1D_bDpT10_ENKUlT_T0_E_clISt17integral_constantIbLb0EES1R_EEDaS1M_S1N_EUlS1M_E_NS1_11comp_targetILNS1_3genE10ELNS1_11target_archE1200ELNS1_3gpuE4ELNS1_3repE0EEENS1_30default_config_static_selectorELNS0_4arch9wavefront6targetE0EEEvSZ_.uses_vcc, 1
	.set _ZN7rocprim17ROCPRIM_400000_NS6detail17trampoline_kernelINS0_13select_configILj256ELj13ELNS0_17block_load_methodE3ELS4_3ELS4_3ELNS0_20block_scan_algorithmE0ELj4294967295EEENS1_25partition_config_selectorILNS1_17partition_subalgoE4EjNS0_10empty_typeEbEEZZNS1_14partition_implILS8_4ELb0ES6_15HIP_vector_typeIjLj2EENS0_17counting_iteratorIjlEEPS9_SG_NS0_5tupleIJPjSI_NS0_16reverse_iteratorISI_EEEEENSH_IJSG_SG_SG_EEES9_SI_JZNS1_25segmented_radix_sort_implINS0_14default_configELb0EPKlPlSQ_SR_N2at6native12_GLOBAL__N_18offset_tEEE10hipError_tPvRmT1_PNSt15iterator_traitsISZ_E10value_typeET2_T3_PNS10_IS15_E10value_typeET4_jRbjT5_S1B_jjP12ihipStream_tbEUljE_ZNSN_ISO_Lb0ESQ_SR_SQ_SR_SV_EESW_SX_SY_SZ_S13_S14_S15_S18_S19_jS1A_jS1B_S1B_jjS1D_bEUljE0_EEESW_SX_SY_S15_S19_S1B_T6_T7_T9_mT8_S1D_bDpT10_ENKUlT_T0_E_clISt17integral_constantIbLb0EES1R_EEDaS1M_S1N_EUlS1M_E_NS1_11comp_targetILNS1_3genE10ELNS1_11target_archE1200ELNS1_3gpuE4ELNS1_3repE0EEENS1_30default_config_static_selectorELNS0_4arch9wavefront6targetE0EEEvSZ_.uses_flat_scratch, 0
	.set _ZN7rocprim17ROCPRIM_400000_NS6detail17trampoline_kernelINS0_13select_configILj256ELj13ELNS0_17block_load_methodE3ELS4_3ELS4_3ELNS0_20block_scan_algorithmE0ELj4294967295EEENS1_25partition_config_selectorILNS1_17partition_subalgoE4EjNS0_10empty_typeEbEEZZNS1_14partition_implILS8_4ELb0ES6_15HIP_vector_typeIjLj2EENS0_17counting_iteratorIjlEEPS9_SG_NS0_5tupleIJPjSI_NS0_16reverse_iteratorISI_EEEEENSH_IJSG_SG_SG_EEES9_SI_JZNS1_25segmented_radix_sort_implINS0_14default_configELb0EPKlPlSQ_SR_N2at6native12_GLOBAL__N_18offset_tEEE10hipError_tPvRmT1_PNSt15iterator_traitsISZ_E10value_typeET2_T3_PNS10_IS15_E10value_typeET4_jRbjT5_S1B_jjP12ihipStream_tbEUljE_ZNSN_ISO_Lb0ESQ_SR_SQ_SR_SV_EESW_SX_SY_SZ_S13_S14_S15_S18_S19_jS1A_jS1B_S1B_jjS1D_bEUljE0_EEESW_SX_SY_S15_S19_S1B_T6_T7_T9_mT8_S1D_bDpT10_ENKUlT_T0_E_clISt17integral_constantIbLb0EES1R_EEDaS1M_S1N_EUlS1M_E_NS1_11comp_targetILNS1_3genE10ELNS1_11target_archE1200ELNS1_3gpuE4ELNS1_3repE0EEENS1_30default_config_static_selectorELNS0_4arch9wavefront6targetE0EEEvSZ_.has_dyn_sized_stack, 0
	.set _ZN7rocprim17ROCPRIM_400000_NS6detail17trampoline_kernelINS0_13select_configILj256ELj13ELNS0_17block_load_methodE3ELS4_3ELS4_3ELNS0_20block_scan_algorithmE0ELj4294967295EEENS1_25partition_config_selectorILNS1_17partition_subalgoE4EjNS0_10empty_typeEbEEZZNS1_14partition_implILS8_4ELb0ES6_15HIP_vector_typeIjLj2EENS0_17counting_iteratorIjlEEPS9_SG_NS0_5tupleIJPjSI_NS0_16reverse_iteratorISI_EEEEENSH_IJSG_SG_SG_EEES9_SI_JZNS1_25segmented_radix_sort_implINS0_14default_configELb0EPKlPlSQ_SR_N2at6native12_GLOBAL__N_18offset_tEEE10hipError_tPvRmT1_PNSt15iterator_traitsISZ_E10value_typeET2_T3_PNS10_IS15_E10value_typeET4_jRbjT5_S1B_jjP12ihipStream_tbEUljE_ZNSN_ISO_Lb0ESQ_SR_SQ_SR_SV_EESW_SX_SY_SZ_S13_S14_S15_S18_S19_jS1A_jS1B_S1B_jjS1D_bEUljE0_EEESW_SX_SY_S15_S19_S1B_T6_T7_T9_mT8_S1D_bDpT10_ENKUlT_T0_E_clISt17integral_constantIbLb0EES1R_EEDaS1M_S1N_EUlS1M_E_NS1_11comp_targetILNS1_3genE10ELNS1_11target_archE1200ELNS1_3gpuE4ELNS1_3repE0EEENS1_30default_config_static_selectorELNS0_4arch9wavefront6targetE0EEEvSZ_.has_recursion, 0
	.set _ZN7rocprim17ROCPRIM_400000_NS6detail17trampoline_kernelINS0_13select_configILj256ELj13ELNS0_17block_load_methodE3ELS4_3ELS4_3ELNS0_20block_scan_algorithmE0ELj4294967295EEENS1_25partition_config_selectorILNS1_17partition_subalgoE4EjNS0_10empty_typeEbEEZZNS1_14partition_implILS8_4ELb0ES6_15HIP_vector_typeIjLj2EENS0_17counting_iteratorIjlEEPS9_SG_NS0_5tupleIJPjSI_NS0_16reverse_iteratorISI_EEEEENSH_IJSG_SG_SG_EEES9_SI_JZNS1_25segmented_radix_sort_implINS0_14default_configELb0EPKlPlSQ_SR_N2at6native12_GLOBAL__N_18offset_tEEE10hipError_tPvRmT1_PNSt15iterator_traitsISZ_E10value_typeET2_T3_PNS10_IS15_E10value_typeET4_jRbjT5_S1B_jjP12ihipStream_tbEUljE_ZNSN_ISO_Lb0ESQ_SR_SQ_SR_SV_EESW_SX_SY_SZ_S13_S14_S15_S18_S19_jS1A_jS1B_S1B_jjS1D_bEUljE0_EEESW_SX_SY_S15_S19_S1B_T6_T7_T9_mT8_S1D_bDpT10_ENKUlT_T0_E_clISt17integral_constantIbLb0EES1R_EEDaS1M_S1N_EUlS1M_E_NS1_11comp_targetILNS1_3genE10ELNS1_11target_archE1200ELNS1_3gpuE4ELNS1_3repE0EEENS1_30default_config_static_selectorELNS0_4arch9wavefront6targetE0EEEvSZ_.has_indirect_call, 0
	.section	.AMDGPU.csdata,"",@progbits
; Kernel info:
; codeLenInByte = 18900
; TotalNumSgprs: 60
; NumVgprs: 93
; ScratchSize: 0
; MemoryBound: 0
; FloatMode: 240
; IeeeMode: 1
; LDSByteSize: 13328 bytes/workgroup (compile time only)
; SGPRBlocks: 0
; VGPRBlocks: 11
; NumSGPRsForWavesPerEU: 60
; NumVGPRsForWavesPerEU: 93
; Occupancy: 16
; WaveLimiterHint : 1
; COMPUTE_PGM_RSRC2:SCRATCH_EN: 0
; COMPUTE_PGM_RSRC2:USER_SGPR: 2
; COMPUTE_PGM_RSRC2:TRAP_HANDLER: 0
; COMPUTE_PGM_RSRC2:TGID_X_EN: 1
; COMPUTE_PGM_RSRC2:TGID_Y_EN: 0
; COMPUTE_PGM_RSRC2:TGID_Z_EN: 0
; COMPUTE_PGM_RSRC2:TIDIG_COMP_CNT: 0
	.section	.text._ZN7rocprim17ROCPRIM_400000_NS6detail17trampoline_kernelINS0_13select_configILj256ELj13ELNS0_17block_load_methodE3ELS4_3ELS4_3ELNS0_20block_scan_algorithmE0ELj4294967295EEENS1_25partition_config_selectorILNS1_17partition_subalgoE4EjNS0_10empty_typeEbEEZZNS1_14partition_implILS8_4ELb0ES6_15HIP_vector_typeIjLj2EENS0_17counting_iteratorIjlEEPS9_SG_NS0_5tupleIJPjSI_NS0_16reverse_iteratorISI_EEEEENSH_IJSG_SG_SG_EEES9_SI_JZNS1_25segmented_radix_sort_implINS0_14default_configELb0EPKlPlSQ_SR_N2at6native12_GLOBAL__N_18offset_tEEE10hipError_tPvRmT1_PNSt15iterator_traitsISZ_E10value_typeET2_T3_PNS10_IS15_E10value_typeET4_jRbjT5_S1B_jjP12ihipStream_tbEUljE_ZNSN_ISO_Lb0ESQ_SR_SQ_SR_SV_EESW_SX_SY_SZ_S13_S14_S15_S18_S19_jS1A_jS1B_S1B_jjS1D_bEUljE0_EEESW_SX_SY_S15_S19_S1B_T6_T7_T9_mT8_S1D_bDpT10_ENKUlT_T0_E_clISt17integral_constantIbLb0EES1R_EEDaS1M_S1N_EUlS1M_E_NS1_11comp_targetILNS1_3genE9ELNS1_11target_archE1100ELNS1_3gpuE3ELNS1_3repE0EEENS1_30default_config_static_selectorELNS0_4arch9wavefront6targetE0EEEvSZ_,"axG",@progbits,_ZN7rocprim17ROCPRIM_400000_NS6detail17trampoline_kernelINS0_13select_configILj256ELj13ELNS0_17block_load_methodE3ELS4_3ELS4_3ELNS0_20block_scan_algorithmE0ELj4294967295EEENS1_25partition_config_selectorILNS1_17partition_subalgoE4EjNS0_10empty_typeEbEEZZNS1_14partition_implILS8_4ELb0ES6_15HIP_vector_typeIjLj2EENS0_17counting_iteratorIjlEEPS9_SG_NS0_5tupleIJPjSI_NS0_16reverse_iteratorISI_EEEEENSH_IJSG_SG_SG_EEES9_SI_JZNS1_25segmented_radix_sort_implINS0_14default_configELb0EPKlPlSQ_SR_N2at6native12_GLOBAL__N_18offset_tEEE10hipError_tPvRmT1_PNSt15iterator_traitsISZ_E10value_typeET2_T3_PNS10_IS15_E10value_typeET4_jRbjT5_S1B_jjP12ihipStream_tbEUljE_ZNSN_ISO_Lb0ESQ_SR_SQ_SR_SV_EESW_SX_SY_SZ_S13_S14_S15_S18_S19_jS1A_jS1B_S1B_jjS1D_bEUljE0_EEESW_SX_SY_S15_S19_S1B_T6_T7_T9_mT8_S1D_bDpT10_ENKUlT_T0_E_clISt17integral_constantIbLb0EES1R_EEDaS1M_S1N_EUlS1M_E_NS1_11comp_targetILNS1_3genE9ELNS1_11target_archE1100ELNS1_3gpuE3ELNS1_3repE0EEENS1_30default_config_static_selectorELNS0_4arch9wavefront6targetE0EEEvSZ_,comdat
	.globl	_ZN7rocprim17ROCPRIM_400000_NS6detail17trampoline_kernelINS0_13select_configILj256ELj13ELNS0_17block_load_methodE3ELS4_3ELS4_3ELNS0_20block_scan_algorithmE0ELj4294967295EEENS1_25partition_config_selectorILNS1_17partition_subalgoE4EjNS0_10empty_typeEbEEZZNS1_14partition_implILS8_4ELb0ES6_15HIP_vector_typeIjLj2EENS0_17counting_iteratorIjlEEPS9_SG_NS0_5tupleIJPjSI_NS0_16reverse_iteratorISI_EEEEENSH_IJSG_SG_SG_EEES9_SI_JZNS1_25segmented_radix_sort_implINS0_14default_configELb0EPKlPlSQ_SR_N2at6native12_GLOBAL__N_18offset_tEEE10hipError_tPvRmT1_PNSt15iterator_traitsISZ_E10value_typeET2_T3_PNS10_IS15_E10value_typeET4_jRbjT5_S1B_jjP12ihipStream_tbEUljE_ZNSN_ISO_Lb0ESQ_SR_SQ_SR_SV_EESW_SX_SY_SZ_S13_S14_S15_S18_S19_jS1A_jS1B_S1B_jjS1D_bEUljE0_EEESW_SX_SY_S15_S19_S1B_T6_T7_T9_mT8_S1D_bDpT10_ENKUlT_T0_E_clISt17integral_constantIbLb0EES1R_EEDaS1M_S1N_EUlS1M_E_NS1_11comp_targetILNS1_3genE9ELNS1_11target_archE1100ELNS1_3gpuE3ELNS1_3repE0EEENS1_30default_config_static_selectorELNS0_4arch9wavefront6targetE0EEEvSZ_ ; -- Begin function _ZN7rocprim17ROCPRIM_400000_NS6detail17trampoline_kernelINS0_13select_configILj256ELj13ELNS0_17block_load_methodE3ELS4_3ELS4_3ELNS0_20block_scan_algorithmE0ELj4294967295EEENS1_25partition_config_selectorILNS1_17partition_subalgoE4EjNS0_10empty_typeEbEEZZNS1_14partition_implILS8_4ELb0ES6_15HIP_vector_typeIjLj2EENS0_17counting_iteratorIjlEEPS9_SG_NS0_5tupleIJPjSI_NS0_16reverse_iteratorISI_EEEEENSH_IJSG_SG_SG_EEES9_SI_JZNS1_25segmented_radix_sort_implINS0_14default_configELb0EPKlPlSQ_SR_N2at6native12_GLOBAL__N_18offset_tEEE10hipError_tPvRmT1_PNSt15iterator_traitsISZ_E10value_typeET2_T3_PNS10_IS15_E10value_typeET4_jRbjT5_S1B_jjP12ihipStream_tbEUljE_ZNSN_ISO_Lb0ESQ_SR_SQ_SR_SV_EESW_SX_SY_SZ_S13_S14_S15_S18_S19_jS1A_jS1B_S1B_jjS1D_bEUljE0_EEESW_SX_SY_S15_S19_S1B_T6_T7_T9_mT8_S1D_bDpT10_ENKUlT_T0_E_clISt17integral_constantIbLb0EES1R_EEDaS1M_S1N_EUlS1M_E_NS1_11comp_targetILNS1_3genE9ELNS1_11target_archE1100ELNS1_3gpuE3ELNS1_3repE0EEENS1_30default_config_static_selectorELNS0_4arch9wavefront6targetE0EEEvSZ_
	.p2align	8
	.type	_ZN7rocprim17ROCPRIM_400000_NS6detail17trampoline_kernelINS0_13select_configILj256ELj13ELNS0_17block_load_methodE3ELS4_3ELS4_3ELNS0_20block_scan_algorithmE0ELj4294967295EEENS1_25partition_config_selectorILNS1_17partition_subalgoE4EjNS0_10empty_typeEbEEZZNS1_14partition_implILS8_4ELb0ES6_15HIP_vector_typeIjLj2EENS0_17counting_iteratorIjlEEPS9_SG_NS0_5tupleIJPjSI_NS0_16reverse_iteratorISI_EEEEENSH_IJSG_SG_SG_EEES9_SI_JZNS1_25segmented_radix_sort_implINS0_14default_configELb0EPKlPlSQ_SR_N2at6native12_GLOBAL__N_18offset_tEEE10hipError_tPvRmT1_PNSt15iterator_traitsISZ_E10value_typeET2_T3_PNS10_IS15_E10value_typeET4_jRbjT5_S1B_jjP12ihipStream_tbEUljE_ZNSN_ISO_Lb0ESQ_SR_SQ_SR_SV_EESW_SX_SY_SZ_S13_S14_S15_S18_S19_jS1A_jS1B_S1B_jjS1D_bEUljE0_EEESW_SX_SY_S15_S19_S1B_T6_T7_T9_mT8_S1D_bDpT10_ENKUlT_T0_E_clISt17integral_constantIbLb0EES1R_EEDaS1M_S1N_EUlS1M_E_NS1_11comp_targetILNS1_3genE9ELNS1_11target_archE1100ELNS1_3gpuE3ELNS1_3repE0EEENS1_30default_config_static_selectorELNS0_4arch9wavefront6targetE0EEEvSZ_,@function
_ZN7rocprim17ROCPRIM_400000_NS6detail17trampoline_kernelINS0_13select_configILj256ELj13ELNS0_17block_load_methodE3ELS4_3ELS4_3ELNS0_20block_scan_algorithmE0ELj4294967295EEENS1_25partition_config_selectorILNS1_17partition_subalgoE4EjNS0_10empty_typeEbEEZZNS1_14partition_implILS8_4ELb0ES6_15HIP_vector_typeIjLj2EENS0_17counting_iteratorIjlEEPS9_SG_NS0_5tupleIJPjSI_NS0_16reverse_iteratorISI_EEEEENSH_IJSG_SG_SG_EEES9_SI_JZNS1_25segmented_radix_sort_implINS0_14default_configELb0EPKlPlSQ_SR_N2at6native12_GLOBAL__N_18offset_tEEE10hipError_tPvRmT1_PNSt15iterator_traitsISZ_E10value_typeET2_T3_PNS10_IS15_E10value_typeET4_jRbjT5_S1B_jjP12ihipStream_tbEUljE_ZNSN_ISO_Lb0ESQ_SR_SQ_SR_SV_EESW_SX_SY_SZ_S13_S14_S15_S18_S19_jS1A_jS1B_S1B_jjS1D_bEUljE0_EEESW_SX_SY_S15_S19_S1B_T6_T7_T9_mT8_S1D_bDpT10_ENKUlT_T0_E_clISt17integral_constantIbLb0EES1R_EEDaS1M_S1N_EUlS1M_E_NS1_11comp_targetILNS1_3genE9ELNS1_11target_archE1100ELNS1_3gpuE3ELNS1_3repE0EEENS1_30default_config_static_selectorELNS0_4arch9wavefront6targetE0EEEvSZ_: ; @_ZN7rocprim17ROCPRIM_400000_NS6detail17trampoline_kernelINS0_13select_configILj256ELj13ELNS0_17block_load_methodE3ELS4_3ELS4_3ELNS0_20block_scan_algorithmE0ELj4294967295EEENS1_25partition_config_selectorILNS1_17partition_subalgoE4EjNS0_10empty_typeEbEEZZNS1_14partition_implILS8_4ELb0ES6_15HIP_vector_typeIjLj2EENS0_17counting_iteratorIjlEEPS9_SG_NS0_5tupleIJPjSI_NS0_16reverse_iteratorISI_EEEEENSH_IJSG_SG_SG_EEES9_SI_JZNS1_25segmented_radix_sort_implINS0_14default_configELb0EPKlPlSQ_SR_N2at6native12_GLOBAL__N_18offset_tEEE10hipError_tPvRmT1_PNSt15iterator_traitsISZ_E10value_typeET2_T3_PNS10_IS15_E10value_typeET4_jRbjT5_S1B_jjP12ihipStream_tbEUljE_ZNSN_ISO_Lb0ESQ_SR_SQ_SR_SV_EESW_SX_SY_SZ_S13_S14_S15_S18_S19_jS1A_jS1B_S1B_jjS1D_bEUljE0_EEESW_SX_SY_S15_S19_S1B_T6_T7_T9_mT8_S1D_bDpT10_ENKUlT_T0_E_clISt17integral_constantIbLb0EES1R_EEDaS1M_S1N_EUlS1M_E_NS1_11comp_targetILNS1_3genE9ELNS1_11target_archE1100ELNS1_3gpuE3ELNS1_3repE0EEENS1_30default_config_static_selectorELNS0_4arch9wavefront6targetE0EEEvSZ_
; %bb.0:
	.section	.rodata,"a",@progbits
	.p2align	6, 0x0
	.amdhsa_kernel _ZN7rocprim17ROCPRIM_400000_NS6detail17trampoline_kernelINS0_13select_configILj256ELj13ELNS0_17block_load_methodE3ELS4_3ELS4_3ELNS0_20block_scan_algorithmE0ELj4294967295EEENS1_25partition_config_selectorILNS1_17partition_subalgoE4EjNS0_10empty_typeEbEEZZNS1_14partition_implILS8_4ELb0ES6_15HIP_vector_typeIjLj2EENS0_17counting_iteratorIjlEEPS9_SG_NS0_5tupleIJPjSI_NS0_16reverse_iteratorISI_EEEEENSH_IJSG_SG_SG_EEES9_SI_JZNS1_25segmented_radix_sort_implINS0_14default_configELb0EPKlPlSQ_SR_N2at6native12_GLOBAL__N_18offset_tEEE10hipError_tPvRmT1_PNSt15iterator_traitsISZ_E10value_typeET2_T3_PNS10_IS15_E10value_typeET4_jRbjT5_S1B_jjP12ihipStream_tbEUljE_ZNSN_ISO_Lb0ESQ_SR_SQ_SR_SV_EESW_SX_SY_SZ_S13_S14_S15_S18_S19_jS1A_jS1B_S1B_jjS1D_bEUljE0_EEESW_SX_SY_S15_S19_S1B_T6_T7_T9_mT8_S1D_bDpT10_ENKUlT_T0_E_clISt17integral_constantIbLb0EES1R_EEDaS1M_S1N_EUlS1M_E_NS1_11comp_targetILNS1_3genE9ELNS1_11target_archE1100ELNS1_3gpuE3ELNS1_3repE0EEENS1_30default_config_static_selectorELNS0_4arch9wavefront6targetE0EEEvSZ_
		.amdhsa_group_segment_fixed_size 0
		.amdhsa_private_segment_fixed_size 0
		.amdhsa_kernarg_size 176
		.amdhsa_user_sgpr_count 2
		.amdhsa_user_sgpr_dispatch_ptr 0
		.amdhsa_user_sgpr_queue_ptr 0
		.amdhsa_user_sgpr_kernarg_segment_ptr 1
		.amdhsa_user_sgpr_dispatch_id 0
		.amdhsa_user_sgpr_private_segment_size 0
		.amdhsa_wavefront_size32 1
		.amdhsa_uses_dynamic_stack 0
		.amdhsa_enable_private_segment 0
		.amdhsa_system_sgpr_workgroup_id_x 1
		.amdhsa_system_sgpr_workgroup_id_y 0
		.amdhsa_system_sgpr_workgroup_id_z 0
		.amdhsa_system_sgpr_workgroup_info 0
		.amdhsa_system_vgpr_workitem_id 0
		.amdhsa_next_free_vgpr 1
		.amdhsa_next_free_sgpr 1
		.amdhsa_reserve_vcc 0
		.amdhsa_float_round_mode_32 0
		.amdhsa_float_round_mode_16_64 0
		.amdhsa_float_denorm_mode_32 3
		.amdhsa_float_denorm_mode_16_64 3
		.amdhsa_fp16_overflow 0
		.amdhsa_workgroup_processor_mode 1
		.amdhsa_memory_ordered 1
		.amdhsa_forward_progress 1
		.amdhsa_inst_pref_size 0
		.amdhsa_round_robin_scheduling 0
		.amdhsa_exception_fp_ieee_invalid_op 0
		.amdhsa_exception_fp_denorm_src 0
		.amdhsa_exception_fp_ieee_div_zero 0
		.amdhsa_exception_fp_ieee_overflow 0
		.amdhsa_exception_fp_ieee_underflow 0
		.amdhsa_exception_fp_ieee_inexact 0
		.amdhsa_exception_int_div_zero 0
	.end_amdhsa_kernel
	.section	.text._ZN7rocprim17ROCPRIM_400000_NS6detail17trampoline_kernelINS0_13select_configILj256ELj13ELNS0_17block_load_methodE3ELS4_3ELS4_3ELNS0_20block_scan_algorithmE0ELj4294967295EEENS1_25partition_config_selectorILNS1_17partition_subalgoE4EjNS0_10empty_typeEbEEZZNS1_14partition_implILS8_4ELb0ES6_15HIP_vector_typeIjLj2EENS0_17counting_iteratorIjlEEPS9_SG_NS0_5tupleIJPjSI_NS0_16reverse_iteratorISI_EEEEENSH_IJSG_SG_SG_EEES9_SI_JZNS1_25segmented_radix_sort_implINS0_14default_configELb0EPKlPlSQ_SR_N2at6native12_GLOBAL__N_18offset_tEEE10hipError_tPvRmT1_PNSt15iterator_traitsISZ_E10value_typeET2_T3_PNS10_IS15_E10value_typeET4_jRbjT5_S1B_jjP12ihipStream_tbEUljE_ZNSN_ISO_Lb0ESQ_SR_SQ_SR_SV_EESW_SX_SY_SZ_S13_S14_S15_S18_S19_jS1A_jS1B_S1B_jjS1D_bEUljE0_EEESW_SX_SY_S15_S19_S1B_T6_T7_T9_mT8_S1D_bDpT10_ENKUlT_T0_E_clISt17integral_constantIbLb0EES1R_EEDaS1M_S1N_EUlS1M_E_NS1_11comp_targetILNS1_3genE9ELNS1_11target_archE1100ELNS1_3gpuE3ELNS1_3repE0EEENS1_30default_config_static_selectorELNS0_4arch9wavefront6targetE0EEEvSZ_,"axG",@progbits,_ZN7rocprim17ROCPRIM_400000_NS6detail17trampoline_kernelINS0_13select_configILj256ELj13ELNS0_17block_load_methodE3ELS4_3ELS4_3ELNS0_20block_scan_algorithmE0ELj4294967295EEENS1_25partition_config_selectorILNS1_17partition_subalgoE4EjNS0_10empty_typeEbEEZZNS1_14partition_implILS8_4ELb0ES6_15HIP_vector_typeIjLj2EENS0_17counting_iteratorIjlEEPS9_SG_NS0_5tupleIJPjSI_NS0_16reverse_iteratorISI_EEEEENSH_IJSG_SG_SG_EEES9_SI_JZNS1_25segmented_radix_sort_implINS0_14default_configELb0EPKlPlSQ_SR_N2at6native12_GLOBAL__N_18offset_tEEE10hipError_tPvRmT1_PNSt15iterator_traitsISZ_E10value_typeET2_T3_PNS10_IS15_E10value_typeET4_jRbjT5_S1B_jjP12ihipStream_tbEUljE_ZNSN_ISO_Lb0ESQ_SR_SQ_SR_SV_EESW_SX_SY_SZ_S13_S14_S15_S18_S19_jS1A_jS1B_S1B_jjS1D_bEUljE0_EEESW_SX_SY_S15_S19_S1B_T6_T7_T9_mT8_S1D_bDpT10_ENKUlT_T0_E_clISt17integral_constantIbLb0EES1R_EEDaS1M_S1N_EUlS1M_E_NS1_11comp_targetILNS1_3genE9ELNS1_11target_archE1100ELNS1_3gpuE3ELNS1_3repE0EEENS1_30default_config_static_selectorELNS0_4arch9wavefront6targetE0EEEvSZ_,comdat
.Lfunc_end749:
	.size	_ZN7rocprim17ROCPRIM_400000_NS6detail17trampoline_kernelINS0_13select_configILj256ELj13ELNS0_17block_load_methodE3ELS4_3ELS4_3ELNS0_20block_scan_algorithmE0ELj4294967295EEENS1_25partition_config_selectorILNS1_17partition_subalgoE4EjNS0_10empty_typeEbEEZZNS1_14partition_implILS8_4ELb0ES6_15HIP_vector_typeIjLj2EENS0_17counting_iteratorIjlEEPS9_SG_NS0_5tupleIJPjSI_NS0_16reverse_iteratorISI_EEEEENSH_IJSG_SG_SG_EEES9_SI_JZNS1_25segmented_radix_sort_implINS0_14default_configELb0EPKlPlSQ_SR_N2at6native12_GLOBAL__N_18offset_tEEE10hipError_tPvRmT1_PNSt15iterator_traitsISZ_E10value_typeET2_T3_PNS10_IS15_E10value_typeET4_jRbjT5_S1B_jjP12ihipStream_tbEUljE_ZNSN_ISO_Lb0ESQ_SR_SQ_SR_SV_EESW_SX_SY_SZ_S13_S14_S15_S18_S19_jS1A_jS1B_S1B_jjS1D_bEUljE0_EEESW_SX_SY_S15_S19_S1B_T6_T7_T9_mT8_S1D_bDpT10_ENKUlT_T0_E_clISt17integral_constantIbLb0EES1R_EEDaS1M_S1N_EUlS1M_E_NS1_11comp_targetILNS1_3genE9ELNS1_11target_archE1100ELNS1_3gpuE3ELNS1_3repE0EEENS1_30default_config_static_selectorELNS0_4arch9wavefront6targetE0EEEvSZ_, .Lfunc_end749-_ZN7rocprim17ROCPRIM_400000_NS6detail17trampoline_kernelINS0_13select_configILj256ELj13ELNS0_17block_load_methodE3ELS4_3ELS4_3ELNS0_20block_scan_algorithmE0ELj4294967295EEENS1_25partition_config_selectorILNS1_17partition_subalgoE4EjNS0_10empty_typeEbEEZZNS1_14partition_implILS8_4ELb0ES6_15HIP_vector_typeIjLj2EENS0_17counting_iteratorIjlEEPS9_SG_NS0_5tupleIJPjSI_NS0_16reverse_iteratorISI_EEEEENSH_IJSG_SG_SG_EEES9_SI_JZNS1_25segmented_radix_sort_implINS0_14default_configELb0EPKlPlSQ_SR_N2at6native12_GLOBAL__N_18offset_tEEE10hipError_tPvRmT1_PNSt15iterator_traitsISZ_E10value_typeET2_T3_PNS10_IS15_E10value_typeET4_jRbjT5_S1B_jjP12ihipStream_tbEUljE_ZNSN_ISO_Lb0ESQ_SR_SQ_SR_SV_EESW_SX_SY_SZ_S13_S14_S15_S18_S19_jS1A_jS1B_S1B_jjS1D_bEUljE0_EEESW_SX_SY_S15_S19_S1B_T6_T7_T9_mT8_S1D_bDpT10_ENKUlT_T0_E_clISt17integral_constantIbLb0EES1R_EEDaS1M_S1N_EUlS1M_E_NS1_11comp_targetILNS1_3genE9ELNS1_11target_archE1100ELNS1_3gpuE3ELNS1_3repE0EEENS1_30default_config_static_selectorELNS0_4arch9wavefront6targetE0EEEvSZ_
                                        ; -- End function
	.set _ZN7rocprim17ROCPRIM_400000_NS6detail17trampoline_kernelINS0_13select_configILj256ELj13ELNS0_17block_load_methodE3ELS4_3ELS4_3ELNS0_20block_scan_algorithmE0ELj4294967295EEENS1_25partition_config_selectorILNS1_17partition_subalgoE4EjNS0_10empty_typeEbEEZZNS1_14partition_implILS8_4ELb0ES6_15HIP_vector_typeIjLj2EENS0_17counting_iteratorIjlEEPS9_SG_NS0_5tupleIJPjSI_NS0_16reverse_iteratorISI_EEEEENSH_IJSG_SG_SG_EEES9_SI_JZNS1_25segmented_radix_sort_implINS0_14default_configELb0EPKlPlSQ_SR_N2at6native12_GLOBAL__N_18offset_tEEE10hipError_tPvRmT1_PNSt15iterator_traitsISZ_E10value_typeET2_T3_PNS10_IS15_E10value_typeET4_jRbjT5_S1B_jjP12ihipStream_tbEUljE_ZNSN_ISO_Lb0ESQ_SR_SQ_SR_SV_EESW_SX_SY_SZ_S13_S14_S15_S18_S19_jS1A_jS1B_S1B_jjS1D_bEUljE0_EEESW_SX_SY_S15_S19_S1B_T6_T7_T9_mT8_S1D_bDpT10_ENKUlT_T0_E_clISt17integral_constantIbLb0EES1R_EEDaS1M_S1N_EUlS1M_E_NS1_11comp_targetILNS1_3genE9ELNS1_11target_archE1100ELNS1_3gpuE3ELNS1_3repE0EEENS1_30default_config_static_selectorELNS0_4arch9wavefront6targetE0EEEvSZ_.num_vgpr, 0
	.set _ZN7rocprim17ROCPRIM_400000_NS6detail17trampoline_kernelINS0_13select_configILj256ELj13ELNS0_17block_load_methodE3ELS4_3ELS4_3ELNS0_20block_scan_algorithmE0ELj4294967295EEENS1_25partition_config_selectorILNS1_17partition_subalgoE4EjNS0_10empty_typeEbEEZZNS1_14partition_implILS8_4ELb0ES6_15HIP_vector_typeIjLj2EENS0_17counting_iteratorIjlEEPS9_SG_NS0_5tupleIJPjSI_NS0_16reverse_iteratorISI_EEEEENSH_IJSG_SG_SG_EEES9_SI_JZNS1_25segmented_radix_sort_implINS0_14default_configELb0EPKlPlSQ_SR_N2at6native12_GLOBAL__N_18offset_tEEE10hipError_tPvRmT1_PNSt15iterator_traitsISZ_E10value_typeET2_T3_PNS10_IS15_E10value_typeET4_jRbjT5_S1B_jjP12ihipStream_tbEUljE_ZNSN_ISO_Lb0ESQ_SR_SQ_SR_SV_EESW_SX_SY_SZ_S13_S14_S15_S18_S19_jS1A_jS1B_S1B_jjS1D_bEUljE0_EEESW_SX_SY_S15_S19_S1B_T6_T7_T9_mT8_S1D_bDpT10_ENKUlT_T0_E_clISt17integral_constantIbLb0EES1R_EEDaS1M_S1N_EUlS1M_E_NS1_11comp_targetILNS1_3genE9ELNS1_11target_archE1100ELNS1_3gpuE3ELNS1_3repE0EEENS1_30default_config_static_selectorELNS0_4arch9wavefront6targetE0EEEvSZ_.num_agpr, 0
	.set _ZN7rocprim17ROCPRIM_400000_NS6detail17trampoline_kernelINS0_13select_configILj256ELj13ELNS0_17block_load_methodE3ELS4_3ELS4_3ELNS0_20block_scan_algorithmE0ELj4294967295EEENS1_25partition_config_selectorILNS1_17partition_subalgoE4EjNS0_10empty_typeEbEEZZNS1_14partition_implILS8_4ELb0ES6_15HIP_vector_typeIjLj2EENS0_17counting_iteratorIjlEEPS9_SG_NS0_5tupleIJPjSI_NS0_16reverse_iteratorISI_EEEEENSH_IJSG_SG_SG_EEES9_SI_JZNS1_25segmented_radix_sort_implINS0_14default_configELb0EPKlPlSQ_SR_N2at6native12_GLOBAL__N_18offset_tEEE10hipError_tPvRmT1_PNSt15iterator_traitsISZ_E10value_typeET2_T3_PNS10_IS15_E10value_typeET4_jRbjT5_S1B_jjP12ihipStream_tbEUljE_ZNSN_ISO_Lb0ESQ_SR_SQ_SR_SV_EESW_SX_SY_SZ_S13_S14_S15_S18_S19_jS1A_jS1B_S1B_jjS1D_bEUljE0_EEESW_SX_SY_S15_S19_S1B_T6_T7_T9_mT8_S1D_bDpT10_ENKUlT_T0_E_clISt17integral_constantIbLb0EES1R_EEDaS1M_S1N_EUlS1M_E_NS1_11comp_targetILNS1_3genE9ELNS1_11target_archE1100ELNS1_3gpuE3ELNS1_3repE0EEENS1_30default_config_static_selectorELNS0_4arch9wavefront6targetE0EEEvSZ_.numbered_sgpr, 0
	.set _ZN7rocprim17ROCPRIM_400000_NS6detail17trampoline_kernelINS0_13select_configILj256ELj13ELNS0_17block_load_methodE3ELS4_3ELS4_3ELNS0_20block_scan_algorithmE0ELj4294967295EEENS1_25partition_config_selectorILNS1_17partition_subalgoE4EjNS0_10empty_typeEbEEZZNS1_14partition_implILS8_4ELb0ES6_15HIP_vector_typeIjLj2EENS0_17counting_iteratorIjlEEPS9_SG_NS0_5tupleIJPjSI_NS0_16reverse_iteratorISI_EEEEENSH_IJSG_SG_SG_EEES9_SI_JZNS1_25segmented_radix_sort_implINS0_14default_configELb0EPKlPlSQ_SR_N2at6native12_GLOBAL__N_18offset_tEEE10hipError_tPvRmT1_PNSt15iterator_traitsISZ_E10value_typeET2_T3_PNS10_IS15_E10value_typeET4_jRbjT5_S1B_jjP12ihipStream_tbEUljE_ZNSN_ISO_Lb0ESQ_SR_SQ_SR_SV_EESW_SX_SY_SZ_S13_S14_S15_S18_S19_jS1A_jS1B_S1B_jjS1D_bEUljE0_EEESW_SX_SY_S15_S19_S1B_T6_T7_T9_mT8_S1D_bDpT10_ENKUlT_T0_E_clISt17integral_constantIbLb0EES1R_EEDaS1M_S1N_EUlS1M_E_NS1_11comp_targetILNS1_3genE9ELNS1_11target_archE1100ELNS1_3gpuE3ELNS1_3repE0EEENS1_30default_config_static_selectorELNS0_4arch9wavefront6targetE0EEEvSZ_.num_named_barrier, 0
	.set _ZN7rocprim17ROCPRIM_400000_NS6detail17trampoline_kernelINS0_13select_configILj256ELj13ELNS0_17block_load_methodE3ELS4_3ELS4_3ELNS0_20block_scan_algorithmE0ELj4294967295EEENS1_25partition_config_selectorILNS1_17partition_subalgoE4EjNS0_10empty_typeEbEEZZNS1_14partition_implILS8_4ELb0ES6_15HIP_vector_typeIjLj2EENS0_17counting_iteratorIjlEEPS9_SG_NS0_5tupleIJPjSI_NS0_16reverse_iteratorISI_EEEEENSH_IJSG_SG_SG_EEES9_SI_JZNS1_25segmented_radix_sort_implINS0_14default_configELb0EPKlPlSQ_SR_N2at6native12_GLOBAL__N_18offset_tEEE10hipError_tPvRmT1_PNSt15iterator_traitsISZ_E10value_typeET2_T3_PNS10_IS15_E10value_typeET4_jRbjT5_S1B_jjP12ihipStream_tbEUljE_ZNSN_ISO_Lb0ESQ_SR_SQ_SR_SV_EESW_SX_SY_SZ_S13_S14_S15_S18_S19_jS1A_jS1B_S1B_jjS1D_bEUljE0_EEESW_SX_SY_S15_S19_S1B_T6_T7_T9_mT8_S1D_bDpT10_ENKUlT_T0_E_clISt17integral_constantIbLb0EES1R_EEDaS1M_S1N_EUlS1M_E_NS1_11comp_targetILNS1_3genE9ELNS1_11target_archE1100ELNS1_3gpuE3ELNS1_3repE0EEENS1_30default_config_static_selectorELNS0_4arch9wavefront6targetE0EEEvSZ_.private_seg_size, 0
	.set _ZN7rocprim17ROCPRIM_400000_NS6detail17trampoline_kernelINS0_13select_configILj256ELj13ELNS0_17block_load_methodE3ELS4_3ELS4_3ELNS0_20block_scan_algorithmE0ELj4294967295EEENS1_25partition_config_selectorILNS1_17partition_subalgoE4EjNS0_10empty_typeEbEEZZNS1_14partition_implILS8_4ELb0ES6_15HIP_vector_typeIjLj2EENS0_17counting_iteratorIjlEEPS9_SG_NS0_5tupleIJPjSI_NS0_16reverse_iteratorISI_EEEEENSH_IJSG_SG_SG_EEES9_SI_JZNS1_25segmented_radix_sort_implINS0_14default_configELb0EPKlPlSQ_SR_N2at6native12_GLOBAL__N_18offset_tEEE10hipError_tPvRmT1_PNSt15iterator_traitsISZ_E10value_typeET2_T3_PNS10_IS15_E10value_typeET4_jRbjT5_S1B_jjP12ihipStream_tbEUljE_ZNSN_ISO_Lb0ESQ_SR_SQ_SR_SV_EESW_SX_SY_SZ_S13_S14_S15_S18_S19_jS1A_jS1B_S1B_jjS1D_bEUljE0_EEESW_SX_SY_S15_S19_S1B_T6_T7_T9_mT8_S1D_bDpT10_ENKUlT_T0_E_clISt17integral_constantIbLb0EES1R_EEDaS1M_S1N_EUlS1M_E_NS1_11comp_targetILNS1_3genE9ELNS1_11target_archE1100ELNS1_3gpuE3ELNS1_3repE0EEENS1_30default_config_static_selectorELNS0_4arch9wavefront6targetE0EEEvSZ_.uses_vcc, 0
	.set _ZN7rocprim17ROCPRIM_400000_NS6detail17trampoline_kernelINS0_13select_configILj256ELj13ELNS0_17block_load_methodE3ELS4_3ELS4_3ELNS0_20block_scan_algorithmE0ELj4294967295EEENS1_25partition_config_selectorILNS1_17partition_subalgoE4EjNS0_10empty_typeEbEEZZNS1_14partition_implILS8_4ELb0ES6_15HIP_vector_typeIjLj2EENS0_17counting_iteratorIjlEEPS9_SG_NS0_5tupleIJPjSI_NS0_16reverse_iteratorISI_EEEEENSH_IJSG_SG_SG_EEES9_SI_JZNS1_25segmented_radix_sort_implINS0_14default_configELb0EPKlPlSQ_SR_N2at6native12_GLOBAL__N_18offset_tEEE10hipError_tPvRmT1_PNSt15iterator_traitsISZ_E10value_typeET2_T3_PNS10_IS15_E10value_typeET4_jRbjT5_S1B_jjP12ihipStream_tbEUljE_ZNSN_ISO_Lb0ESQ_SR_SQ_SR_SV_EESW_SX_SY_SZ_S13_S14_S15_S18_S19_jS1A_jS1B_S1B_jjS1D_bEUljE0_EEESW_SX_SY_S15_S19_S1B_T6_T7_T9_mT8_S1D_bDpT10_ENKUlT_T0_E_clISt17integral_constantIbLb0EES1R_EEDaS1M_S1N_EUlS1M_E_NS1_11comp_targetILNS1_3genE9ELNS1_11target_archE1100ELNS1_3gpuE3ELNS1_3repE0EEENS1_30default_config_static_selectorELNS0_4arch9wavefront6targetE0EEEvSZ_.uses_flat_scratch, 0
	.set _ZN7rocprim17ROCPRIM_400000_NS6detail17trampoline_kernelINS0_13select_configILj256ELj13ELNS0_17block_load_methodE3ELS4_3ELS4_3ELNS0_20block_scan_algorithmE0ELj4294967295EEENS1_25partition_config_selectorILNS1_17partition_subalgoE4EjNS0_10empty_typeEbEEZZNS1_14partition_implILS8_4ELb0ES6_15HIP_vector_typeIjLj2EENS0_17counting_iteratorIjlEEPS9_SG_NS0_5tupleIJPjSI_NS0_16reverse_iteratorISI_EEEEENSH_IJSG_SG_SG_EEES9_SI_JZNS1_25segmented_radix_sort_implINS0_14default_configELb0EPKlPlSQ_SR_N2at6native12_GLOBAL__N_18offset_tEEE10hipError_tPvRmT1_PNSt15iterator_traitsISZ_E10value_typeET2_T3_PNS10_IS15_E10value_typeET4_jRbjT5_S1B_jjP12ihipStream_tbEUljE_ZNSN_ISO_Lb0ESQ_SR_SQ_SR_SV_EESW_SX_SY_SZ_S13_S14_S15_S18_S19_jS1A_jS1B_S1B_jjS1D_bEUljE0_EEESW_SX_SY_S15_S19_S1B_T6_T7_T9_mT8_S1D_bDpT10_ENKUlT_T0_E_clISt17integral_constantIbLb0EES1R_EEDaS1M_S1N_EUlS1M_E_NS1_11comp_targetILNS1_3genE9ELNS1_11target_archE1100ELNS1_3gpuE3ELNS1_3repE0EEENS1_30default_config_static_selectorELNS0_4arch9wavefront6targetE0EEEvSZ_.has_dyn_sized_stack, 0
	.set _ZN7rocprim17ROCPRIM_400000_NS6detail17trampoline_kernelINS0_13select_configILj256ELj13ELNS0_17block_load_methodE3ELS4_3ELS4_3ELNS0_20block_scan_algorithmE0ELj4294967295EEENS1_25partition_config_selectorILNS1_17partition_subalgoE4EjNS0_10empty_typeEbEEZZNS1_14partition_implILS8_4ELb0ES6_15HIP_vector_typeIjLj2EENS0_17counting_iteratorIjlEEPS9_SG_NS0_5tupleIJPjSI_NS0_16reverse_iteratorISI_EEEEENSH_IJSG_SG_SG_EEES9_SI_JZNS1_25segmented_radix_sort_implINS0_14default_configELb0EPKlPlSQ_SR_N2at6native12_GLOBAL__N_18offset_tEEE10hipError_tPvRmT1_PNSt15iterator_traitsISZ_E10value_typeET2_T3_PNS10_IS15_E10value_typeET4_jRbjT5_S1B_jjP12ihipStream_tbEUljE_ZNSN_ISO_Lb0ESQ_SR_SQ_SR_SV_EESW_SX_SY_SZ_S13_S14_S15_S18_S19_jS1A_jS1B_S1B_jjS1D_bEUljE0_EEESW_SX_SY_S15_S19_S1B_T6_T7_T9_mT8_S1D_bDpT10_ENKUlT_T0_E_clISt17integral_constantIbLb0EES1R_EEDaS1M_S1N_EUlS1M_E_NS1_11comp_targetILNS1_3genE9ELNS1_11target_archE1100ELNS1_3gpuE3ELNS1_3repE0EEENS1_30default_config_static_selectorELNS0_4arch9wavefront6targetE0EEEvSZ_.has_recursion, 0
	.set _ZN7rocprim17ROCPRIM_400000_NS6detail17trampoline_kernelINS0_13select_configILj256ELj13ELNS0_17block_load_methodE3ELS4_3ELS4_3ELNS0_20block_scan_algorithmE0ELj4294967295EEENS1_25partition_config_selectorILNS1_17partition_subalgoE4EjNS0_10empty_typeEbEEZZNS1_14partition_implILS8_4ELb0ES6_15HIP_vector_typeIjLj2EENS0_17counting_iteratorIjlEEPS9_SG_NS0_5tupleIJPjSI_NS0_16reverse_iteratorISI_EEEEENSH_IJSG_SG_SG_EEES9_SI_JZNS1_25segmented_radix_sort_implINS0_14default_configELb0EPKlPlSQ_SR_N2at6native12_GLOBAL__N_18offset_tEEE10hipError_tPvRmT1_PNSt15iterator_traitsISZ_E10value_typeET2_T3_PNS10_IS15_E10value_typeET4_jRbjT5_S1B_jjP12ihipStream_tbEUljE_ZNSN_ISO_Lb0ESQ_SR_SQ_SR_SV_EESW_SX_SY_SZ_S13_S14_S15_S18_S19_jS1A_jS1B_S1B_jjS1D_bEUljE0_EEESW_SX_SY_S15_S19_S1B_T6_T7_T9_mT8_S1D_bDpT10_ENKUlT_T0_E_clISt17integral_constantIbLb0EES1R_EEDaS1M_S1N_EUlS1M_E_NS1_11comp_targetILNS1_3genE9ELNS1_11target_archE1100ELNS1_3gpuE3ELNS1_3repE0EEENS1_30default_config_static_selectorELNS0_4arch9wavefront6targetE0EEEvSZ_.has_indirect_call, 0
	.section	.AMDGPU.csdata,"",@progbits
; Kernel info:
; codeLenInByte = 0
; TotalNumSgprs: 0
; NumVgprs: 0
; ScratchSize: 0
; MemoryBound: 0
; FloatMode: 240
; IeeeMode: 1
; LDSByteSize: 0 bytes/workgroup (compile time only)
; SGPRBlocks: 0
; VGPRBlocks: 0
; NumSGPRsForWavesPerEU: 1
; NumVGPRsForWavesPerEU: 1
; Occupancy: 16
; WaveLimiterHint : 0
; COMPUTE_PGM_RSRC2:SCRATCH_EN: 0
; COMPUTE_PGM_RSRC2:USER_SGPR: 2
; COMPUTE_PGM_RSRC2:TRAP_HANDLER: 0
; COMPUTE_PGM_RSRC2:TGID_X_EN: 1
; COMPUTE_PGM_RSRC2:TGID_Y_EN: 0
; COMPUTE_PGM_RSRC2:TGID_Z_EN: 0
; COMPUTE_PGM_RSRC2:TIDIG_COMP_CNT: 0
	.section	.text._ZN7rocprim17ROCPRIM_400000_NS6detail17trampoline_kernelINS0_13select_configILj256ELj13ELNS0_17block_load_methodE3ELS4_3ELS4_3ELNS0_20block_scan_algorithmE0ELj4294967295EEENS1_25partition_config_selectorILNS1_17partition_subalgoE4EjNS0_10empty_typeEbEEZZNS1_14partition_implILS8_4ELb0ES6_15HIP_vector_typeIjLj2EENS0_17counting_iteratorIjlEEPS9_SG_NS0_5tupleIJPjSI_NS0_16reverse_iteratorISI_EEEEENSH_IJSG_SG_SG_EEES9_SI_JZNS1_25segmented_radix_sort_implINS0_14default_configELb0EPKlPlSQ_SR_N2at6native12_GLOBAL__N_18offset_tEEE10hipError_tPvRmT1_PNSt15iterator_traitsISZ_E10value_typeET2_T3_PNS10_IS15_E10value_typeET4_jRbjT5_S1B_jjP12ihipStream_tbEUljE_ZNSN_ISO_Lb0ESQ_SR_SQ_SR_SV_EESW_SX_SY_SZ_S13_S14_S15_S18_S19_jS1A_jS1B_S1B_jjS1D_bEUljE0_EEESW_SX_SY_S15_S19_S1B_T6_T7_T9_mT8_S1D_bDpT10_ENKUlT_T0_E_clISt17integral_constantIbLb0EES1R_EEDaS1M_S1N_EUlS1M_E_NS1_11comp_targetILNS1_3genE8ELNS1_11target_archE1030ELNS1_3gpuE2ELNS1_3repE0EEENS1_30default_config_static_selectorELNS0_4arch9wavefront6targetE0EEEvSZ_,"axG",@progbits,_ZN7rocprim17ROCPRIM_400000_NS6detail17trampoline_kernelINS0_13select_configILj256ELj13ELNS0_17block_load_methodE3ELS4_3ELS4_3ELNS0_20block_scan_algorithmE0ELj4294967295EEENS1_25partition_config_selectorILNS1_17partition_subalgoE4EjNS0_10empty_typeEbEEZZNS1_14partition_implILS8_4ELb0ES6_15HIP_vector_typeIjLj2EENS0_17counting_iteratorIjlEEPS9_SG_NS0_5tupleIJPjSI_NS0_16reverse_iteratorISI_EEEEENSH_IJSG_SG_SG_EEES9_SI_JZNS1_25segmented_radix_sort_implINS0_14default_configELb0EPKlPlSQ_SR_N2at6native12_GLOBAL__N_18offset_tEEE10hipError_tPvRmT1_PNSt15iterator_traitsISZ_E10value_typeET2_T3_PNS10_IS15_E10value_typeET4_jRbjT5_S1B_jjP12ihipStream_tbEUljE_ZNSN_ISO_Lb0ESQ_SR_SQ_SR_SV_EESW_SX_SY_SZ_S13_S14_S15_S18_S19_jS1A_jS1B_S1B_jjS1D_bEUljE0_EEESW_SX_SY_S15_S19_S1B_T6_T7_T9_mT8_S1D_bDpT10_ENKUlT_T0_E_clISt17integral_constantIbLb0EES1R_EEDaS1M_S1N_EUlS1M_E_NS1_11comp_targetILNS1_3genE8ELNS1_11target_archE1030ELNS1_3gpuE2ELNS1_3repE0EEENS1_30default_config_static_selectorELNS0_4arch9wavefront6targetE0EEEvSZ_,comdat
	.globl	_ZN7rocprim17ROCPRIM_400000_NS6detail17trampoline_kernelINS0_13select_configILj256ELj13ELNS0_17block_load_methodE3ELS4_3ELS4_3ELNS0_20block_scan_algorithmE0ELj4294967295EEENS1_25partition_config_selectorILNS1_17partition_subalgoE4EjNS0_10empty_typeEbEEZZNS1_14partition_implILS8_4ELb0ES6_15HIP_vector_typeIjLj2EENS0_17counting_iteratorIjlEEPS9_SG_NS0_5tupleIJPjSI_NS0_16reverse_iteratorISI_EEEEENSH_IJSG_SG_SG_EEES9_SI_JZNS1_25segmented_radix_sort_implINS0_14default_configELb0EPKlPlSQ_SR_N2at6native12_GLOBAL__N_18offset_tEEE10hipError_tPvRmT1_PNSt15iterator_traitsISZ_E10value_typeET2_T3_PNS10_IS15_E10value_typeET4_jRbjT5_S1B_jjP12ihipStream_tbEUljE_ZNSN_ISO_Lb0ESQ_SR_SQ_SR_SV_EESW_SX_SY_SZ_S13_S14_S15_S18_S19_jS1A_jS1B_S1B_jjS1D_bEUljE0_EEESW_SX_SY_S15_S19_S1B_T6_T7_T9_mT8_S1D_bDpT10_ENKUlT_T0_E_clISt17integral_constantIbLb0EES1R_EEDaS1M_S1N_EUlS1M_E_NS1_11comp_targetILNS1_3genE8ELNS1_11target_archE1030ELNS1_3gpuE2ELNS1_3repE0EEENS1_30default_config_static_selectorELNS0_4arch9wavefront6targetE0EEEvSZ_ ; -- Begin function _ZN7rocprim17ROCPRIM_400000_NS6detail17trampoline_kernelINS0_13select_configILj256ELj13ELNS0_17block_load_methodE3ELS4_3ELS4_3ELNS0_20block_scan_algorithmE0ELj4294967295EEENS1_25partition_config_selectorILNS1_17partition_subalgoE4EjNS0_10empty_typeEbEEZZNS1_14partition_implILS8_4ELb0ES6_15HIP_vector_typeIjLj2EENS0_17counting_iteratorIjlEEPS9_SG_NS0_5tupleIJPjSI_NS0_16reverse_iteratorISI_EEEEENSH_IJSG_SG_SG_EEES9_SI_JZNS1_25segmented_radix_sort_implINS0_14default_configELb0EPKlPlSQ_SR_N2at6native12_GLOBAL__N_18offset_tEEE10hipError_tPvRmT1_PNSt15iterator_traitsISZ_E10value_typeET2_T3_PNS10_IS15_E10value_typeET4_jRbjT5_S1B_jjP12ihipStream_tbEUljE_ZNSN_ISO_Lb0ESQ_SR_SQ_SR_SV_EESW_SX_SY_SZ_S13_S14_S15_S18_S19_jS1A_jS1B_S1B_jjS1D_bEUljE0_EEESW_SX_SY_S15_S19_S1B_T6_T7_T9_mT8_S1D_bDpT10_ENKUlT_T0_E_clISt17integral_constantIbLb0EES1R_EEDaS1M_S1N_EUlS1M_E_NS1_11comp_targetILNS1_3genE8ELNS1_11target_archE1030ELNS1_3gpuE2ELNS1_3repE0EEENS1_30default_config_static_selectorELNS0_4arch9wavefront6targetE0EEEvSZ_
	.p2align	8
	.type	_ZN7rocprim17ROCPRIM_400000_NS6detail17trampoline_kernelINS0_13select_configILj256ELj13ELNS0_17block_load_methodE3ELS4_3ELS4_3ELNS0_20block_scan_algorithmE0ELj4294967295EEENS1_25partition_config_selectorILNS1_17partition_subalgoE4EjNS0_10empty_typeEbEEZZNS1_14partition_implILS8_4ELb0ES6_15HIP_vector_typeIjLj2EENS0_17counting_iteratorIjlEEPS9_SG_NS0_5tupleIJPjSI_NS0_16reverse_iteratorISI_EEEEENSH_IJSG_SG_SG_EEES9_SI_JZNS1_25segmented_radix_sort_implINS0_14default_configELb0EPKlPlSQ_SR_N2at6native12_GLOBAL__N_18offset_tEEE10hipError_tPvRmT1_PNSt15iterator_traitsISZ_E10value_typeET2_T3_PNS10_IS15_E10value_typeET4_jRbjT5_S1B_jjP12ihipStream_tbEUljE_ZNSN_ISO_Lb0ESQ_SR_SQ_SR_SV_EESW_SX_SY_SZ_S13_S14_S15_S18_S19_jS1A_jS1B_S1B_jjS1D_bEUljE0_EEESW_SX_SY_S15_S19_S1B_T6_T7_T9_mT8_S1D_bDpT10_ENKUlT_T0_E_clISt17integral_constantIbLb0EES1R_EEDaS1M_S1N_EUlS1M_E_NS1_11comp_targetILNS1_3genE8ELNS1_11target_archE1030ELNS1_3gpuE2ELNS1_3repE0EEENS1_30default_config_static_selectorELNS0_4arch9wavefront6targetE0EEEvSZ_,@function
_ZN7rocprim17ROCPRIM_400000_NS6detail17trampoline_kernelINS0_13select_configILj256ELj13ELNS0_17block_load_methodE3ELS4_3ELS4_3ELNS0_20block_scan_algorithmE0ELj4294967295EEENS1_25partition_config_selectorILNS1_17partition_subalgoE4EjNS0_10empty_typeEbEEZZNS1_14partition_implILS8_4ELb0ES6_15HIP_vector_typeIjLj2EENS0_17counting_iteratorIjlEEPS9_SG_NS0_5tupleIJPjSI_NS0_16reverse_iteratorISI_EEEEENSH_IJSG_SG_SG_EEES9_SI_JZNS1_25segmented_radix_sort_implINS0_14default_configELb0EPKlPlSQ_SR_N2at6native12_GLOBAL__N_18offset_tEEE10hipError_tPvRmT1_PNSt15iterator_traitsISZ_E10value_typeET2_T3_PNS10_IS15_E10value_typeET4_jRbjT5_S1B_jjP12ihipStream_tbEUljE_ZNSN_ISO_Lb0ESQ_SR_SQ_SR_SV_EESW_SX_SY_SZ_S13_S14_S15_S18_S19_jS1A_jS1B_S1B_jjS1D_bEUljE0_EEESW_SX_SY_S15_S19_S1B_T6_T7_T9_mT8_S1D_bDpT10_ENKUlT_T0_E_clISt17integral_constantIbLb0EES1R_EEDaS1M_S1N_EUlS1M_E_NS1_11comp_targetILNS1_3genE8ELNS1_11target_archE1030ELNS1_3gpuE2ELNS1_3repE0EEENS1_30default_config_static_selectorELNS0_4arch9wavefront6targetE0EEEvSZ_: ; @_ZN7rocprim17ROCPRIM_400000_NS6detail17trampoline_kernelINS0_13select_configILj256ELj13ELNS0_17block_load_methodE3ELS4_3ELS4_3ELNS0_20block_scan_algorithmE0ELj4294967295EEENS1_25partition_config_selectorILNS1_17partition_subalgoE4EjNS0_10empty_typeEbEEZZNS1_14partition_implILS8_4ELb0ES6_15HIP_vector_typeIjLj2EENS0_17counting_iteratorIjlEEPS9_SG_NS0_5tupleIJPjSI_NS0_16reverse_iteratorISI_EEEEENSH_IJSG_SG_SG_EEES9_SI_JZNS1_25segmented_radix_sort_implINS0_14default_configELb0EPKlPlSQ_SR_N2at6native12_GLOBAL__N_18offset_tEEE10hipError_tPvRmT1_PNSt15iterator_traitsISZ_E10value_typeET2_T3_PNS10_IS15_E10value_typeET4_jRbjT5_S1B_jjP12ihipStream_tbEUljE_ZNSN_ISO_Lb0ESQ_SR_SQ_SR_SV_EESW_SX_SY_SZ_S13_S14_S15_S18_S19_jS1A_jS1B_S1B_jjS1D_bEUljE0_EEESW_SX_SY_S15_S19_S1B_T6_T7_T9_mT8_S1D_bDpT10_ENKUlT_T0_E_clISt17integral_constantIbLb0EES1R_EEDaS1M_S1N_EUlS1M_E_NS1_11comp_targetILNS1_3genE8ELNS1_11target_archE1030ELNS1_3gpuE2ELNS1_3repE0EEENS1_30default_config_static_selectorELNS0_4arch9wavefront6targetE0EEEvSZ_
; %bb.0:
	.section	.rodata,"a",@progbits
	.p2align	6, 0x0
	.amdhsa_kernel _ZN7rocprim17ROCPRIM_400000_NS6detail17trampoline_kernelINS0_13select_configILj256ELj13ELNS0_17block_load_methodE3ELS4_3ELS4_3ELNS0_20block_scan_algorithmE0ELj4294967295EEENS1_25partition_config_selectorILNS1_17partition_subalgoE4EjNS0_10empty_typeEbEEZZNS1_14partition_implILS8_4ELb0ES6_15HIP_vector_typeIjLj2EENS0_17counting_iteratorIjlEEPS9_SG_NS0_5tupleIJPjSI_NS0_16reverse_iteratorISI_EEEEENSH_IJSG_SG_SG_EEES9_SI_JZNS1_25segmented_radix_sort_implINS0_14default_configELb0EPKlPlSQ_SR_N2at6native12_GLOBAL__N_18offset_tEEE10hipError_tPvRmT1_PNSt15iterator_traitsISZ_E10value_typeET2_T3_PNS10_IS15_E10value_typeET4_jRbjT5_S1B_jjP12ihipStream_tbEUljE_ZNSN_ISO_Lb0ESQ_SR_SQ_SR_SV_EESW_SX_SY_SZ_S13_S14_S15_S18_S19_jS1A_jS1B_S1B_jjS1D_bEUljE0_EEESW_SX_SY_S15_S19_S1B_T6_T7_T9_mT8_S1D_bDpT10_ENKUlT_T0_E_clISt17integral_constantIbLb0EES1R_EEDaS1M_S1N_EUlS1M_E_NS1_11comp_targetILNS1_3genE8ELNS1_11target_archE1030ELNS1_3gpuE2ELNS1_3repE0EEENS1_30default_config_static_selectorELNS0_4arch9wavefront6targetE0EEEvSZ_
		.amdhsa_group_segment_fixed_size 0
		.amdhsa_private_segment_fixed_size 0
		.amdhsa_kernarg_size 176
		.amdhsa_user_sgpr_count 2
		.amdhsa_user_sgpr_dispatch_ptr 0
		.amdhsa_user_sgpr_queue_ptr 0
		.amdhsa_user_sgpr_kernarg_segment_ptr 1
		.amdhsa_user_sgpr_dispatch_id 0
		.amdhsa_user_sgpr_private_segment_size 0
		.amdhsa_wavefront_size32 1
		.amdhsa_uses_dynamic_stack 0
		.amdhsa_enable_private_segment 0
		.amdhsa_system_sgpr_workgroup_id_x 1
		.amdhsa_system_sgpr_workgroup_id_y 0
		.amdhsa_system_sgpr_workgroup_id_z 0
		.amdhsa_system_sgpr_workgroup_info 0
		.amdhsa_system_vgpr_workitem_id 0
		.amdhsa_next_free_vgpr 1
		.amdhsa_next_free_sgpr 1
		.amdhsa_reserve_vcc 0
		.amdhsa_float_round_mode_32 0
		.amdhsa_float_round_mode_16_64 0
		.amdhsa_float_denorm_mode_32 3
		.amdhsa_float_denorm_mode_16_64 3
		.amdhsa_fp16_overflow 0
		.amdhsa_workgroup_processor_mode 1
		.amdhsa_memory_ordered 1
		.amdhsa_forward_progress 1
		.amdhsa_inst_pref_size 0
		.amdhsa_round_robin_scheduling 0
		.amdhsa_exception_fp_ieee_invalid_op 0
		.amdhsa_exception_fp_denorm_src 0
		.amdhsa_exception_fp_ieee_div_zero 0
		.amdhsa_exception_fp_ieee_overflow 0
		.amdhsa_exception_fp_ieee_underflow 0
		.amdhsa_exception_fp_ieee_inexact 0
		.amdhsa_exception_int_div_zero 0
	.end_amdhsa_kernel
	.section	.text._ZN7rocprim17ROCPRIM_400000_NS6detail17trampoline_kernelINS0_13select_configILj256ELj13ELNS0_17block_load_methodE3ELS4_3ELS4_3ELNS0_20block_scan_algorithmE0ELj4294967295EEENS1_25partition_config_selectorILNS1_17partition_subalgoE4EjNS0_10empty_typeEbEEZZNS1_14partition_implILS8_4ELb0ES6_15HIP_vector_typeIjLj2EENS0_17counting_iteratorIjlEEPS9_SG_NS0_5tupleIJPjSI_NS0_16reverse_iteratorISI_EEEEENSH_IJSG_SG_SG_EEES9_SI_JZNS1_25segmented_radix_sort_implINS0_14default_configELb0EPKlPlSQ_SR_N2at6native12_GLOBAL__N_18offset_tEEE10hipError_tPvRmT1_PNSt15iterator_traitsISZ_E10value_typeET2_T3_PNS10_IS15_E10value_typeET4_jRbjT5_S1B_jjP12ihipStream_tbEUljE_ZNSN_ISO_Lb0ESQ_SR_SQ_SR_SV_EESW_SX_SY_SZ_S13_S14_S15_S18_S19_jS1A_jS1B_S1B_jjS1D_bEUljE0_EEESW_SX_SY_S15_S19_S1B_T6_T7_T9_mT8_S1D_bDpT10_ENKUlT_T0_E_clISt17integral_constantIbLb0EES1R_EEDaS1M_S1N_EUlS1M_E_NS1_11comp_targetILNS1_3genE8ELNS1_11target_archE1030ELNS1_3gpuE2ELNS1_3repE0EEENS1_30default_config_static_selectorELNS0_4arch9wavefront6targetE0EEEvSZ_,"axG",@progbits,_ZN7rocprim17ROCPRIM_400000_NS6detail17trampoline_kernelINS0_13select_configILj256ELj13ELNS0_17block_load_methodE3ELS4_3ELS4_3ELNS0_20block_scan_algorithmE0ELj4294967295EEENS1_25partition_config_selectorILNS1_17partition_subalgoE4EjNS0_10empty_typeEbEEZZNS1_14partition_implILS8_4ELb0ES6_15HIP_vector_typeIjLj2EENS0_17counting_iteratorIjlEEPS9_SG_NS0_5tupleIJPjSI_NS0_16reverse_iteratorISI_EEEEENSH_IJSG_SG_SG_EEES9_SI_JZNS1_25segmented_radix_sort_implINS0_14default_configELb0EPKlPlSQ_SR_N2at6native12_GLOBAL__N_18offset_tEEE10hipError_tPvRmT1_PNSt15iterator_traitsISZ_E10value_typeET2_T3_PNS10_IS15_E10value_typeET4_jRbjT5_S1B_jjP12ihipStream_tbEUljE_ZNSN_ISO_Lb0ESQ_SR_SQ_SR_SV_EESW_SX_SY_SZ_S13_S14_S15_S18_S19_jS1A_jS1B_S1B_jjS1D_bEUljE0_EEESW_SX_SY_S15_S19_S1B_T6_T7_T9_mT8_S1D_bDpT10_ENKUlT_T0_E_clISt17integral_constantIbLb0EES1R_EEDaS1M_S1N_EUlS1M_E_NS1_11comp_targetILNS1_3genE8ELNS1_11target_archE1030ELNS1_3gpuE2ELNS1_3repE0EEENS1_30default_config_static_selectorELNS0_4arch9wavefront6targetE0EEEvSZ_,comdat
.Lfunc_end750:
	.size	_ZN7rocprim17ROCPRIM_400000_NS6detail17trampoline_kernelINS0_13select_configILj256ELj13ELNS0_17block_load_methodE3ELS4_3ELS4_3ELNS0_20block_scan_algorithmE0ELj4294967295EEENS1_25partition_config_selectorILNS1_17partition_subalgoE4EjNS0_10empty_typeEbEEZZNS1_14partition_implILS8_4ELb0ES6_15HIP_vector_typeIjLj2EENS0_17counting_iteratorIjlEEPS9_SG_NS0_5tupleIJPjSI_NS0_16reverse_iteratorISI_EEEEENSH_IJSG_SG_SG_EEES9_SI_JZNS1_25segmented_radix_sort_implINS0_14default_configELb0EPKlPlSQ_SR_N2at6native12_GLOBAL__N_18offset_tEEE10hipError_tPvRmT1_PNSt15iterator_traitsISZ_E10value_typeET2_T3_PNS10_IS15_E10value_typeET4_jRbjT5_S1B_jjP12ihipStream_tbEUljE_ZNSN_ISO_Lb0ESQ_SR_SQ_SR_SV_EESW_SX_SY_SZ_S13_S14_S15_S18_S19_jS1A_jS1B_S1B_jjS1D_bEUljE0_EEESW_SX_SY_S15_S19_S1B_T6_T7_T9_mT8_S1D_bDpT10_ENKUlT_T0_E_clISt17integral_constantIbLb0EES1R_EEDaS1M_S1N_EUlS1M_E_NS1_11comp_targetILNS1_3genE8ELNS1_11target_archE1030ELNS1_3gpuE2ELNS1_3repE0EEENS1_30default_config_static_selectorELNS0_4arch9wavefront6targetE0EEEvSZ_, .Lfunc_end750-_ZN7rocprim17ROCPRIM_400000_NS6detail17trampoline_kernelINS0_13select_configILj256ELj13ELNS0_17block_load_methodE3ELS4_3ELS4_3ELNS0_20block_scan_algorithmE0ELj4294967295EEENS1_25partition_config_selectorILNS1_17partition_subalgoE4EjNS0_10empty_typeEbEEZZNS1_14partition_implILS8_4ELb0ES6_15HIP_vector_typeIjLj2EENS0_17counting_iteratorIjlEEPS9_SG_NS0_5tupleIJPjSI_NS0_16reverse_iteratorISI_EEEEENSH_IJSG_SG_SG_EEES9_SI_JZNS1_25segmented_radix_sort_implINS0_14default_configELb0EPKlPlSQ_SR_N2at6native12_GLOBAL__N_18offset_tEEE10hipError_tPvRmT1_PNSt15iterator_traitsISZ_E10value_typeET2_T3_PNS10_IS15_E10value_typeET4_jRbjT5_S1B_jjP12ihipStream_tbEUljE_ZNSN_ISO_Lb0ESQ_SR_SQ_SR_SV_EESW_SX_SY_SZ_S13_S14_S15_S18_S19_jS1A_jS1B_S1B_jjS1D_bEUljE0_EEESW_SX_SY_S15_S19_S1B_T6_T7_T9_mT8_S1D_bDpT10_ENKUlT_T0_E_clISt17integral_constantIbLb0EES1R_EEDaS1M_S1N_EUlS1M_E_NS1_11comp_targetILNS1_3genE8ELNS1_11target_archE1030ELNS1_3gpuE2ELNS1_3repE0EEENS1_30default_config_static_selectorELNS0_4arch9wavefront6targetE0EEEvSZ_
                                        ; -- End function
	.set _ZN7rocprim17ROCPRIM_400000_NS6detail17trampoline_kernelINS0_13select_configILj256ELj13ELNS0_17block_load_methodE3ELS4_3ELS4_3ELNS0_20block_scan_algorithmE0ELj4294967295EEENS1_25partition_config_selectorILNS1_17partition_subalgoE4EjNS0_10empty_typeEbEEZZNS1_14partition_implILS8_4ELb0ES6_15HIP_vector_typeIjLj2EENS0_17counting_iteratorIjlEEPS9_SG_NS0_5tupleIJPjSI_NS0_16reverse_iteratorISI_EEEEENSH_IJSG_SG_SG_EEES9_SI_JZNS1_25segmented_radix_sort_implINS0_14default_configELb0EPKlPlSQ_SR_N2at6native12_GLOBAL__N_18offset_tEEE10hipError_tPvRmT1_PNSt15iterator_traitsISZ_E10value_typeET2_T3_PNS10_IS15_E10value_typeET4_jRbjT5_S1B_jjP12ihipStream_tbEUljE_ZNSN_ISO_Lb0ESQ_SR_SQ_SR_SV_EESW_SX_SY_SZ_S13_S14_S15_S18_S19_jS1A_jS1B_S1B_jjS1D_bEUljE0_EEESW_SX_SY_S15_S19_S1B_T6_T7_T9_mT8_S1D_bDpT10_ENKUlT_T0_E_clISt17integral_constantIbLb0EES1R_EEDaS1M_S1N_EUlS1M_E_NS1_11comp_targetILNS1_3genE8ELNS1_11target_archE1030ELNS1_3gpuE2ELNS1_3repE0EEENS1_30default_config_static_selectorELNS0_4arch9wavefront6targetE0EEEvSZ_.num_vgpr, 0
	.set _ZN7rocprim17ROCPRIM_400000_NS6detail17trampoline_kernelINS0_13select_configILj256ELj13ELNS0_17block_load_methodE3ELS4_3ELS4_3ELNS0_20block_scan_algorithmE0ELj4294967295EEENS1_25partition_config_selectorILNS1_17partition_subalgoE4EjNS0_10empty_typeEbEEZZNS1_14partition_implILS8_4ELb0ES6_15HIP_vector_typeIjLj2EENS0_17counting_iteratorIjlEEPS9_SG_NS0_5tupleIJPjSI_NS0_16reverse_iteratorISI_EEEEENSH_IJSG_SG_SG_EEES9_SI_JZNS1_25segmented_radix_sort_implINS0_14default_configELb0EPKlPlSQ_SR_N2at6native12_GLOBAL__N_18offset_tEEE10hipError_tPvRmT1_PNSt15iterator_traitsISZ_E10value_typeET2_T3_PNS10_IS15_E10value_typeET4_jRbjT5_S1B_jjP12ihipStream_tbEUljE_ZNSN_ISO_Lb0ESQ_SR_SQ_SR_SV_EESW_SX_SY_SZ_S13_S14_S15_S18_S19_jS1A_jS1B_S1B_jjS1D_bEUljE0_EEESW_SX_SY_S15_S19_S1B_T6_T7_T9_mT8_S1D_bDpT10_ENKUlT_T0_E_clISt17integral_constantIbLb0EES1R_EEDaS1M_S1N_EUlS1M_E_NS1_11comp_targetILNS1_3genE8ELNS1_11target_archE1030ELNS1_3gpuE2ELNS1_3repE0EEENS1_30default_config_static_selectorELNS0_4arch9wavefront6targetE0EEEvSZ_.num_agpr, 0
	.set _ZN7rocprim17ROCPRIM_400000_NS6detail17trampoline_kernelINS0_13select_configILj256ELj13ELNS0_17block_load_methodE3ELS4_3ELS4_3ELNS0_20block_scan_algorithmE0ELj4294967295EEENS1_25partition_config_selectorILNS1_17partition_subalgoE4EjNS0_10empty_typeEbEEZZNS1_14partition_implILS8_4ELb0ES6_15HIP_vector_typeIjLj2EENS0_17counting_iteratorIjlEEPS9_SG_NS0_5tupleIJPjSI_NS0_16reverse_iteratorISI_EEEEENSH_IJSG_SG_SG_EEES9_SI_JZNS1_25segmented_radix_sort_implINS0_14default_configELb0EPKlPlSQ_SR_N2at6native12_GLOBAL__N_18offset_tEEE10hipError_tPvRmT1_PNSt15iterator_traitsISZ_E10value_typeET2_T3_PNS10_IS15_E10value_typeET4_jRbjT5_S1B_jjP12ihipStream_tbEUljE_ZNSN_ISO_Lb0ESQ_SR_SQ_SR_SV_EESW_SX_SY_SZ_S13_S14_S15_S18_S19_jS1A_jS1B_S1B_jjS1D_bEUljE0_EEESW_SX_SY_S15_S19_S1B_T6_T7_T9_mT8_S1D_bDpT10_ENKUlT_T0_E_clISt17integral_constantIbLb0EES1R_EEDaS1M_S1N_EUlS1M_E_NS1_11comp_targetILNS1_3genE8ELNS1_11target_archE1030ELNS1_3gpuE2ELNS1_3repE0EEENS1_30default_config_static_selectorELNS0_4arch9wavefront6targetE0EEEvSZ_.numbered_sgpr, 0
	.set _ZN7rocprim17ROCPRIM_400000_NS6detail17trampoline_kernelINS0_13select_configILj256ELj13ELNS0_17block_load_methodE3ELS4_3ELS4_3ELNS0_20block_scan_algorithmE0ELj4294967295EEENS1_25partition_config_selectorILNS1_17partition_subalgoE4EjNS0_10empty_typeEbEEZZNS1_14partition_implILS8_4ELb0ES6_15HIP_vector_typeIjLj2EENS0_17counting_iteratorIjlEEPS9_SG_NS0_5tupleIJPjSI_NS0_16reverse_iteratorISI_EEEEENSH_IJSG_SG_SG_EEES9_SI_JZNS1_25segmented_radix_sort_implINS0_14default_configELb0EPKlPlSQ_SR_N2at6native12_GLOBAL__N_18offset_tEEE10hipError_tPvRmT1_PNSt15iterator_traitsISZ_E10value_typeET2_T3_PNS10_IS15_E10value_typeET4_jRbjT5_S1B_jjP12ihipStream_tbEUljE_ZNSN_ISO_Lb0ESQ_SR_SQ_SR_SV_EESW_SX_SY_SZ_S13_S14_S15_S18_S19_jS1A_jS1B_S1B_jjS1D_bEUljE0_EEESW_SX_SY_S15_S19_S1B_T6_T7_T9_mT8_S1D_bDpT10_ENKUlT_T0_E_clISt17integral_constantIbLb0EES1R_EEDaS1M_S1N_EUlS1M_E_NS1_11comp_targetILNS1_3genE8ELNS1_11target_archE1030ELNS1_3gpuE2ELNS1_3repE0EEENS1_30default_config_static_selectorELNS0_4arch9wavefront6targetE0EEEvSZ_.num_named_barrier, 0
	.set _ZN7rocprim17ROCPRIM_400000_NS6detail17trampoline_kernelINS0_13select_configILj256ELj13ELNS0_17block_load_methodE3ELS4_3ELS4_3ELNS0_20block_scan_algorithmE0ELj4294967295EEENS1_25partition_config_selectorILNS1_17partition_subalgoE4EjNS0_10empty_typeEbEEZZNS1_14partition_implILS8_4ELb0ES6_15HIP_vector_typeIjLj2EENS0_17counting_iteratorIjlEEPS9_SG_NS0_5tupleIJPjSI_NS0_16reverse_iteratorISI_EEEEENSH_IJSG_SG_SG_EEES9_SI_JZNS1_25segmented_radix_sort_implINS0_14default_configELb0EPKlPlSQ_SR_N2at6native12_GLOBAL__N_18offset_tEEE10hipError_tPvRmT1_PNSt15iterator_traitsISZ_E10value_typeET2_T3_PNS10_IS15_E10value_typeET4_jRbjT5_S1B_jjP12ihipStream_tbEUljE_ZNSN_ISO_Lb0ESQ_SR_SQ_SR_SV_EESW_SX_SY_SZ_S13_S14_S15_S18_S19_jS1A_jS1B_S1B_jjS1D_bEUljE0_EEESW_SX_SY_S15_S19_S1B_T6_T7_T9_mT8_S1D_bDpT10_ENKUlT_T0_E_clISt17integral_constantIbLb0EES1R_EEDaS1M_S1N_EUlS1M_E_NS1_11comp_targetILNS1_3genE8ELNS1_11target_archE1030ELNS1_3gpuE2ELNS1_3repE0EEENS1_30default_config_static_selectorELNS0_4arch9wavefront6targetE0EEEvSZ_.private_seg_size, 0
	.set _ZN7rocprim17ROCPRIM_400000_NS6detail17trampoline_kernelINS0_13select_configILj256ELj13ELNS0_17block_load_methodE3ELS4_3ELS4_3ELNS0_20block_scan_algorithmE0ELj4294967295EEENS1_25partition_config_selectorILNS1_17partition_subalgoE4EjNS0_10empty_typeEbEEZZNS1_14partition_implILS8_4ELb0ES6_15HIP_vector_typeIjLj2EENS0_17counting_iteratorIjlEEPS9_SG_NS0_5tupleIJPjSI_NS0_16reverse_iteratorISI_EEEEENSH_IJSG_SG_SG_EEES9_SI_JZNS1_25segmented_radix_sort_implINS0_14default_configELb0EPKlPlSQ_SR_N2at6native12_GLOBAL__N_18offset_tEEE10hipError_tPvRmT1_PNSt15iterator_traitsISZ_E10value_typeET2_T3_PNS10_IS15_E10value_typeET4_jRbjT5_S1B_jjP12ihipStream_tbEUljE_ZNSN_ISO_Lb0ESQ_SR_SQ_SR_SV_EESW_SX_SY_SZ_S13_S14_S15_S18_S19_jS1A_jS1B_S1B_jjS1D_bEUljE0_EEESW_SX_SY_S15_S19_S1B_T6_T7_T9_mT8_S1D_bDpT10_ENKUlT_T0_E_clISt17integral_constantIbLb0EES1R_EEDaS1M_S1N_EUlS1M_E_NS1_11comp_targetILNS1_3genE8ELNS1_11target_archE1030ELNS1_3gpuE2ELNS1_3repE0EEENS1_30default_config_static_selectorELNS0_4arch9wavefront6targetE0EEEvSZ_.uses_vcc, 0
	.set _ZN7rocprim17ROCPRIM_400000_NS6detail17trampoline_kernelINS0_13select_configILj256ELj13ELNS0_17block_load_methodE3ELS4_3ELS4_3ELNS0_20block_scan_algorithmE0ELj4294967295EEENS1_25partition_config_selectorILNS1_17partition_subalgoE4EjNS0_10empty_typeEbEEZZNS1_14partition_implILS8_4ELb0ES6_15HIP_vector_typeIjLj2EENS0_17counting_iteratorIjlEEPS9_SG_NS0_5tupleIJPjSI_NS0_16reverse_iteratorISI_EEEEENSH_IJSG_SG_SG_EEES9_SI_JZNS1_25segmented_radix_sort_implINS0_14default_configELb0EPKlPlSQ_SR_N2at6native12_GLOBAL__N_18offset_tEEE10hipError_tPvRmT1_PNSt15iterator_traitsISZ_E10value_typeET2_T3_PNS10_IS15_E10value_typeET4_jRbjT5_S1B_jjP12ihipStream_tbEUljE_ZNSN_ISO_Lb0ESQ_SR_SQ_SR_SV_EESW_SX_SY_SZ_S13_S14_S15_S18_S19_jS1A_jS1B_S1B_jjS1D_bEUljE0_EEESW_SX_SY_S15_S19_S1B_T6_T7_T9_mT8_S1D_bDpT10_ENKUlT_T0_E_clISt17integral_constantIbLb0EES1R_EEDaS1M_S1N_EUlS1M_E_NS1_11comp_targetILNS1_3genE8ELNS1_11target_archE1030ELNS1_3gpuE2ELNS1_3repE0EEENS1_30default_config_static_selectorELNS0_4arch9wavefront6targetE0EEEvSZ_.uses_flat_scratch, 0
	.set _ZN7rocprim17ROCPRIM_400000_NS6detail17trampoline_kernelINS0_13select_configILj256ELj13ELNS0_17block_load_methodE3ELS4_3ELS4_3ELNS0_20block_scan_algorithmE0ELj4294967295EEENS1_25partition_config_selectorILNS1_17partition_subalgoE4EjNS0_10empty_typeEbEEZZNS1_14partition_implILS8_4ELb0ES6_15HIP_vector_typeIjLj2EENS0_17counting_iteratorIjlEEPS9_SG_NS0_5tupleIJPjSI_NS0_16reverse_iteratorISI_EEEEENSH_IJSG_SG_SG_EEES9_SI_JZNS1_25segmented_radix_sort_implINS0_14default_configELb0EPKlPlSQ_SR_N2at6native12_GLOBAL__N_18offset_tEEE10hipError_tPvRmT1_PNSt15iterator_traitsISZ_E10value_typeET2_T3_PNS10_IS15_E10value_typeET4_jRbjT5_S1B_jjP12ihipStream_tbEUljE_ZNSN_ISO_Lb0ESQ_SR_SQ_SR_SV_EESW_SX_SY_SZ_S13_S14_S15_S18_S19_jS1A_jS1B_S1B_jjS1D_bEUljE0_EEESW_SX_SY_S15_S19_S1B_T6_T7_T9_mT8_S1D_bDpT10_ENKUlT_T0_E_clISt17integral_constantIbLb0EES1R_EEDaS1M_S1N_EUlS1M_E_NS1_11comp_targetILNS1_3genE8ELNS1_11target_archE1030ELNS1_3gpuE2ELNS1_3repE0EEENS1_30default_config_static_selectorELNS0_4arch9wavefront6targetE0EEEvSZ_.has_dyn_sized_stack, 0
	.set _ZN7rocprim17ROCPRIM_400000_NS6detail17trampoline_kernelINS0_13select_configILj256ELj13ELNS0_17block_load_methodE3ELS4_3ELS4_3ELNS0_20block_scan_algorithmE0ELj4294967295EEENS1_25partition_config_selectorILNS1_17partition_subalgoE4EjNS0_10empty_typeEbEEZZNS1_14partition_implILS8_4ELb0ES6_15HIP_vector_typeIjLj2EENS0_17counting_iteratorIjlEEPS9_SG_NS0_5tupleIJPjSI_NS0_16reverse_iteratorISI_EEEEENSH_IJSG_SG_SG_EEES9_SI_JZNS1_25segmented_radix_sort_implINS0_14default_configELb0EPKlPlSQ_SR_N2at6native12_GLOBAL__N_18offset_tEEE10hipError_tPvRmT1_PNSt15iterator_traitsISZ_E10value_typeET2_T3_PNS10_IS15_E10value_typeET4_jRbjT5_S1B_jjP12ihipStream_tbEUljE_ZNSN_ISO_Lb0ESQ_SR_SQ_SR_SV_EESW_SX_SY_SZ_S13_S14_S15_S18_S19_jS1A_jS1B_S1B_jjS1D_bEUljE0_EEESW_SX_SY_S15_S19_S1B_T6_T7_T9_mT8_S1D_bDpT10_ENKUlT_T0_E_clISt17integral_constantIbLb0EES1R_EEDaS1M_S1N_EUlS1M_E_NS1_11comp_targetILNS1_3genE8ELNS1_11target_archE1030ELNS1_3gpuE2ELNS1_3repE0EEENS1_30default_config_static_selectorELNS0_4arch9wavefront6targetE0EEEvSZ_.has_recursion, 0
	.set _ZN7rocprim17ROCPRIM_400000_NS6detail17trampoline_kernelINS0_13select_configILj256ELj13ELNS0_17block_load_methodE3ELS4_3ELS4_3ELNS0_20block_scan_algorithmE0ELj4294967295EEENS1_25partition_config_selectorILNS1_17partition_subalgoE4EjNS0_10empty_typeEbEEZZNS1_14partition_implILS8_4ELb0ES6_15HIP_vector_typeIjLj2EENS0_17counting_iteratorIjlEEPS9_SG_NS0_5tupleIJPjSI_NS0_16reverse_iteratorISI_EEEEENSH_IJSG_SG_SG_EEES9_SI_JZNS1_25segmented_radix_sort_implINS0_14default_configELb0EPKlPlSQ_SR_N2at6native12_GLOBAL__N_18offset_tEEE10hipError_tPvRmT1_PNSt15iterator_traitsISZ_E10value_typeET2_T3_PNS10_IS15_E10value_typeET4_jRbjT5_S1B_jjP12ihipStream_tbEUljE_ZNSN_ISO_Lb0ESQ_SR_SQ_SR_SV_EESW_SX_SY_SZ_S13_S14_S15_S18_S19_jS1A_jS1B_S1B_jjS1D_bEUljE0_EEESW_SX_SY_S15_S19_S1B_T6_T7_T9_mT8_S1D_bDpT10_ENKUlT_T0_E_clISt17integral_constantIbLb0EES1R_EEDaS1M_S1N_EUlS1M_E_NS1_11comp_targetILNS1_3genE8ELNS1_11target_archE1030ELNS1_3gpuE2ELNS1_3repE0EEENS1_30default_config_static_selectorELNS0_4arch9wavefront6targetE0EEEvSZ_.has_indirect_call, 0
	.section	.AMDGPU.csdata,"",@progbits
; Kernel info:
; codeLenInByte = 0
; TotalNumSgprs: 0
; NumVgprs: 0
; ScratchSize: 0
; MemoryBound: 0
; FloatMode: 240
; IeeeMode: 1
; LDSByteSize: 0 bytes/workgroup (compile time only)
; SGPRBlocks: 0
; VGPRBlocks: 0
; NumSGPRsForWavesPerEU: 1
; NumVGPRsForWavesPerEU: 1
; Occupancy: 16
; WaveLimiterHint : 0
; COMPUTE_PGM_RSRC2:SCRATCH_EN: 0
; COMPUTE_PGM_RSRC2:USER_SGPR: 2
; COMPUTE_PGM_RSRC2:TRAP_HANDLER: 0
; COMPUTE_PGM_RSRC2:TGID_X_EN: 1
; COMPUTE_PGM_RSRC2:TGID_Y_EN: 0
; COMPUTE_PGM_RSRC2:TGID_Z_EN: 0
; COMPUTE_PGM_RSRC2:TIDIG_COMP_CNT: 0
	.section	.text._ZN7rocprim17ROCPRIM_400000_NS6detail17trampoline_kernelINS0_13select_configILj256ELj13ELNS0_17block_load_methodE3ELS4_3ELS4_3ELNS0_20block_scan_algorithmE0ELj4294967295EEENS1_25partition_config_selectorILNS1_17partition_subalgoE4EjNS0_10empty_typeEbEEZZNS1_14partition_implILS8_4ELb0ES6_15HIP_vector_typeIjLj2EENS0_17counting_iteratorIjlEEPS9_SG_NS0_5tupleIJPjSI_NS0_16reverse_iteratorISI_EEEEENSH_IJSG_SG_SG_EEES9_SI_JZNS1_25segmented_radix_sort_implINS0_14default_configELb0EPKlPlSQ_SR_N2at6native12_GLOBAL__N_18offset_tEEE10hipError_tPvRmT1_PNSt15iterator_traitsISZ_E10value_typeET2_T3_PNS10_IS15_E10value_typeET4_jRbjT5_S1B_jjP12ihipStream_tbEUljE_ZNSN_ISO_Lb0ESQ_SR_SQ_SR_SV_EESW_SX_SY_SZ_S13_S14_S15_S18_S19_jS1A_jS1B_S1B_jjS1D_bEUljE0_EEESW_SX_SY_S15_S19_S1B_T6_T7_T9_mT8_S1D_bDpT10_ENKUlT_T0_E_clISt17integral_constantIbLb1EES1R_EEDaS1M_S1N_EUlS1M_E_NS1_11comp_targetILNS1_3genE0ELNS1_11target_archE4294967295ELNS1_3gpuE0ELNS1_3repE0EEENS1_30default_config_static_selectorELNS0_4arch9wavefront6targetE0EEEvSZ_,"axG",@progbits,_ZN7rocprim17ROCPRIM_400000_NS6detail17trampoline_kernelINS0_13select_configILj256ELj13ELNS0_17block_load_methodE3ELS4_3ELS4_3ELNS0_20block_scan_algorithmE0ELj4294967295EEENS1_25partition_config_selectorILNS1_17partition_subalgoE4EjNS0_10empty_typeEbEEZZNS1_14partition_implILS8_4ELb0ES6_15HIP_vector_typeIjLj2EENS0_17counting_iteratorIjlEEPS9_SG_NS0_5tupleIJPjSI_NS0_16reverse_iteratorISI_EEEEENSH_IJSG_SG_SG_EEES9_SI_JZNS1_25segmented_radix_sort_implINS0_14default_configELb0EPKlPlSQ_SR_N2at6native12_GLOBAL__N_18offset_tEEE10hipError_tPvRmT1_PNSt15iterator_traitsISZ_E10value_typeET2_T3_PNS10_IS15_E10value_typeET4_jRbjT5_S1B_jjP12ihipStream_tbEUljE_ZNSN_ISO_Lb0ESQ_SR_SQ_SR_SV_EESW_SX_SY_SZ_S13_S14_S15_S18_S19_jS1A_jS1B_S1B_jjS1D_bEUljE0_EEESW_SX_SY_S15_S19_S1B_T6_T7_T9_mT8_S1D_bDpT10_ENKUlT_T0_E_clISt17integral_constantIbLb1EES1R_EEDaS1M_S1N_EUlS1M_E_NS1_11comp_targetILNS1_3genE0ELNS1_11target_archE4294967295ELNS1_3gpuE0ELNS1_3repE0EEENS1_30default_config_static_selectorELNS0_4arch9wavefront6targetE0EEEvSZ_,comdat
	.globl	_ZN7rocprim17ROCPRIM_400000_NS6detail17trampoline_kernelINS0_13select_configILj256ELj13ELNS0_17block_load_methodE3ELS4_3ELS4_3ELNS0_20block_scan_algorithmE0ELj4294967295EEENS1_25partition_config_selectorILNS1_17partition_subalgoE4EjNS0_10empty_typeEbEEZZNS1_14partition_implILS8_4ELb0ES6_15HIP_vector_typeIjLj2EENS0_17counting_iteratorIjlEEPS9_SG_NS0_5tupleIJPjSI_NS0_16reverse_iteratorISI_EEEEENSH_IJSG_SG_SG_EEES9_SI_JZNS1_25segmented_radix_sort_implINS0_14default_configELb0EPKlPlSQ_SR_N2at6native12_GLOBAL__N_18offset_tEEE10hipError_tPvRmT1_PNSt15iterator_traitsISZ_E10value_typeET2_T3_PNS10_IS15_E10value_typeET4_jRbjT5_S1B_jjP12ihipStream_tbEUljE_ZNSN_ISO_Lb0ESQ_SR_SQ_SR_SV_EESW_SX_SY_SZ_S13_S14_S15_S18_S19_jS1A_jS1B_S1B_jjS1D_bEUljE0_EEESW_SX_SY_S15_S19_S1B_T6_T7_T9_mT8_S1D_bDpT10_ENKUlT_T0_E_clISt17integral_constantIbLb1EES1R_EEDaS1M_S1N_EUlS1M_E_NS1_11comp_targetILNS1_3genE0ELNS1_11target_archE4294967295ELNS1_3gpuE0ELNS1_3repE0EEENS1_30default_config_static_selectorELNS0_4arch9wavefront6targetE0EEEvSZ_ ; -- Begin function _ZN7rocprim17ROCPRIM_400000_NS6detail17trampoline_kernelINS0_13select_configILj256ELj13ELNS0_17block_load_methodE3ELS4_3ELS4_3ELNS0_20block_scan_algorithmE0ELj4294967295EEENS1_25partition_config_selectorILNS1_17partition_subalgoE4EjNS0_10empty_typeEbEEZZNS1_14partition_implILS8_4ELb0ES6_15HIP_vector_typeIjLj2EENS0_17counting_iteratorIjlEEPS9_SG_NS0_5tupleIJPjSI_NS0_16reverse_iteratorISI_EEEEENSH_IJSG_SG_SG_EEES9_SI_JZNS1_25segmented_radix_sort_implINS0_14default_configELb0EPKlPlSQ_SR_N2at6native12_GLOBAL__N_18offset_tEEE10hipError_tPvRmT1_PNSt15iterator_traitsISZ_E10value_typeET2_T3_PNS10_IS15_E10value_typeET4_jRbjT5_S1B_jjP12ihipStream_tbEUljE_ZNSN_ISO_Lb0ESQ_SR_SQ_SR_SV_EESW_SX_SY_SZ_S13_S14_S15_S18_S19_jS1A_jS1B_S1B_jjS1D_bEUljE0_EEESW_SX_SY_S15_S19_S1B_T6_T7_T9_mT8_S1D_bDpT10_ENKUlT_T0_E_clISt17integral_constantIbLb1EES1R_EEDaS1M_S1N_EUlS1M_E_NS1_11comp_targetILNS1_3genE0ELNS1_11target_archE4294967295ELNS1_3gpuE0ELNS1_3repE0EEENS1_30default_config_static_selectorELNS0_4arch9wavefront6targetE0EEEvSZ_
	.p2align	8
	.type	_ZN7rocprim17ROCPRIM_400000_NS6detail17trampoline_kernelINS0_13select_configILj256ELj13ELNS0_17block_load_methodE3ELS4_3ELS4_3ELNS0_20block_scan_algorithmE0ELj4294967295EEENS1_25partition_config_selectorILNS1_17partition_subalgoE4EjNS0_10empty_typeEbEEZZNS1_14partition_implILS8_4ELb0ES6_15HIP_vector_typeIjLj2EENS0_17counting_iteratorIjlEEPS9_SG_NS0_5tupleIJPjSI_NS0_16reverse_iteratorISI_EEEEENSH_IJSG_SG_SG_EEES9_SI_JZNS1_25segmented_radix_sort_implINS0_14default_configELb0EPKlPlSQ_SR_N2at6native12_GLOBAL__N_18offset_tEEE10hipError_tPvRmT1_PNSt15iterator_traitsISZ_E10value_typeET2_T3_PNS10_IS15_E10value_typeET4_jRbjT5_S1B_jjP12ihipStream_tbEUljE_ZNSN_ISO_Lb0ESQ_SR_SQ_SR_SV_EESW_SX_SY_SZ_S13_S14_S15_S18_S19_jS1A_jS1B_S1B_jjS1D_bEUljE0_EEESW_SX_SY_S15_S19_S1B_T6_T7_T9_mT8_S1D_bDpT10_ENKUlT_T0_E_clISt17integral_constantIbLb1EES1R_EEDaS1M_S1N_EUlS1M_E_NS1_11comp_targetILNS1_3genE0ELNS1_11target_archE4294967295ELNS1_3gpuE0ELNS1_3repE0EEENS1_30default_config_static_selectorELNS0_4arch9wavefront6targetE0EEEvSZ_,@function
_ZN7rocprim17ROCPRIM_400000_NS6detail17trampoline_kernelINS0_13select_configILj256ELj13ELNS0_17block_load_methodE3ELS4_3ELS4_3ELNS0_20block_scan_algorithmE0ELj4294967295EEENS1_25partition_config_selectorILNS1_17partition_subalgoE4EjNS0_10empty_typeEbEEZZNS1_14partition_implILS8_4ELb0ES6_15HIP_vector_typeIjLj2EENS0_17counting_iteratorIjlEEPS9_SG_NS0_5tupleIJPjSI_NS0_16reverse_iteratorISI_EEEEENSH_IJSG_SG_SG_EEES9_SI_JZNS1_25segmented_radix_sort_implINS0_14default_configELb0EPKlPlSQ_SR_N2at6native12_GLOBAL__N_18offset_tEEE10hipError_tPvRmT1_PNSt15iterator_traitsISZ_E10value_typeET2_T3_PNS10_IS15_E10value_typeET4_jRbjT5_S1B_jjP12ihipStream_tbEUljE_ZNSN_ISO_Lb0ESQ_SR_SQ_SR_SV_EESW_SX_SY_SZ_S13_S14_S15_S18_S19_jS1A_jS1B_S1B_jjS1D_bEUljE0_EEESW_SX_SY_S15_S19_S1B_T6_T7_T9_mT8_S1D_bDpT10_ENKUlT_T0_E_clISt17integral_constantIbLb1EES1R_EEDaS1M_S1N_EUlS1M_E_NS1_11comp_targetILNS1_3genE0ELNS1_11target_archE4294967295ELNS1_3gpuE0ELNS1_3repE0EEENS1_30default_config_static_selectorELNS0_4arch9wavefront6targetE0EEEvSZ_: ; @_ZN7rocprim17ROCPRIM_400000_NS6detail17trampoline_kernelINS0_13select_configILj256ELj13ELNS0_17block_load_methodE3ELS4_3ELS4_3ELNS0_20block_scan_algorithmE0ELj4294967295EEENS1_25partition_config_selectorILNS1_17partition_subalgoE4EjNS0_10empty_typeEbEEZZNS1_14partition_implILS8_4ELb0ES6_15HIP_vector_typeIjLj2EENS0_17counting_iteratorIjlEEPS9_SG_NS0_5tupleIJPjSI_NS0_16reverse_iteratorISI_EEEEENSH_IJSG_SG_SG_EEES9_SI_JZNS1_25segmented_radix_sort_implINS0_14default_configELb0EPKlPlSQ_SR_N2at6native12_GLOBAL__N_18offset_tEEE10hipError_tPvRmT1_PNSt15iterator_traitsISZ_E10value_typeET2_T3_PNS10_IS15_E10value_typeET4_jRbjT5_S1B_jjP12ihipStream_tbEUljE_ZNSN_ISO_Lb0ESQ_SR_SQ_SR_SV_EESW_SX_SY_SZ_S13_S14_S15_S18_S19_jS1A_jS1B_S1B_jjS1D_bEUljE0_EEESW_SX_SY_S15_S19_S1B_T6_T7_T9_mT8_S1D_bDpT10_ENKUlT_T0_E_clISt17integral_constantIbLb1EES1R_EEDaS1M_S1N_EUlS1M_E_NS1_11comp_targetILNS1_3genE0ELNS1_11target_archE4294967295ELNS1_3gpuE0ELNS1_3repE0EEENS1_30default_config_static_selectorELNS0_4arch9wavefront6targetE0EEEvSZ_
; %bb.0:
	.section	.rodata,"a",@progbits
	.p2align	6, 0x0
	.amdhsa_kernel _ZN7rocprim17ROCPRIM_400000_NS6detail17trampoline_kernelINS0_13select_configILj256ELj13ELNS0_17block_load_methodE3ELS4_3ELS4_3ELNS0_20block_scan_algorithmE0ELj4294967295EEENS1_25partition_config_selectorILNS1_17partition_subalgoE4EjNS0_10empty_typeEbEEZZNS1_14partition_implILS8_4ELb0ES6_15HIP_vector_typeIjLj2EENS0_17counting_iteratorIjlEEPS9_SG_NS0_5tupleIJPjSI_NS0_16reverse_iteratorISI_EEEEENSH_IJSG_SG_SG_EEES9_SI_JZNS1_25segmented_radix_sort_implINS0_14default_configELb0EPKlPlSQ_SR_N2at6native12_GLOBAL__N_18offset_tEEE10hipError_tPvRmT1_PNSt15iterator_traitsISZ_E10value_typeET2_T3_PNS10_IS15_E10value_typeET4_jRbjT5_S1B_jjP12ihipStream_tbEUljE_ZNSN_ISO_Lb0ESQ_SR_SQ_SR_SV_EESW_SX_SY_SZ_S13_S14_S15_S18_S19_jS1A_jS1B_S1B_jjS1D_bEUljE0_EEESW_SX_SY_S15_S19_S1B_T6_T7_T9_mT8_S1D_bDpT10_ENKUlT_T0_E_clISt17integral_constantIbLb1EES1R_EEDaS1M_S1N_EUlS1M_E_NS1_11comp_targetILNS1_3genE0ELNS1_11target_archE4294967295ELNS1_3gpuE0ELNS1_3repE0EEENS1_30default_config_static_selectorELNS0_4arch9wavefront6targetE0EEEvSZ_
		.amdhsa_group_segment_fixed_size 0
		.amdhsa_private_segment_fixed_size 0
		.amdhsa_kernarg_size 184
		.amdhsa_user_sgpr_count 2
		.amdhsa_user_sgpr_dispatch_ptr 0
		.amdhsa_user_sgpr_queue_ptr 0
		.amdhsa_user_sgpr_kernarg_segment_ptr 1
		.amdhsa_user_sgpr_dispatch_id 0
		.amdhsa_user_sgpr_private_segment_size 0
		.amdhsa_wavefront_size32 1
		.amdhsa_uses_dynamic_stack 0
		.amdhsa_enable_private_segment 0
		.amdhsa_system_sgpr_workgroup_id_x 1
		.amdhsa_system_sgpr_workgroup_id_y 0
		.amdhsa_system_sgpr_workgroup_id_z 0
		.amdhsa_system_sgpr_workgroup_info 0
		.amdhsa_system_vgpr_workitem_id 0
		.amdhsa_next_free_vgpr 1
		.amdhsa_next_free_sgpr 1
		.amdhsa_reserve_vcc 0
		.amdhsa_float_round_mode_32 0
		.amdhsa_float_round_mode_16_64 0
		.amdhsa_float_denorm_mode_32 3
		.amdhsa_float_denorm_mode_16_64 3
		.amdhsa_fp16_overflow 0
		.amdhsa_workgroup_processor_mode 1
		.amdhsa_memory_ordered 1
		.amdhsa_forward_progress 1
		.amdhsa_inst_pref_size 0
		.amdhsa_round_robin_scheduling 0
		.amdhsa_exception_fp_ieee_invalid_op 0
		.amdhsa_exception_fp_denorm_src 0
		.amdhsa_exception_fp_ieee_div_zero 0
		.amdhsa_exception_fp_ieee_overflow 0
		.amdhsa_exception_fp_ieee_underflow 0
		.amdhsa_exception_fp_ieee_inexact 0
		.amdhsa_exception_int_div_zero 0
	.end_amdhsa_kernel
	.section	.text._ZN7rocprim17ROCPRIM_400000_NS6detail17trampoline_kernelINS0_13select_configILj256ELj13ELNS0_17block_load_methodE3ELS4_3ELS4_3ELNS0_20block_scan_algorithmE0ELj4294967295EEENS1_25partition_config_selectorILNS1_17partition_subalgoE4EjNS0_10empty_typeEbEEZZNS1_14partition_implILS8_4ELb0ES6_15HIP_vector_typeIjLj2EENS0_17counting_iteratorIjlEEPS9_SG_NS0_5tupleIJPjSI_NS0_16reverse_iteratorISI_EEEEENSH_IJSG_SG_SG_EEES9_SI_JZNS1_25segmented_radix_sort_implINS0_14default_configELb0EPKlPlSQ_SR_N2at6native12_GLOBAL__N_18offset_tEEE10hipError_tPvRmT1_PNSt15iterator_traitsISZ_E10value_typeET2_T3_PNS10_IS15_E10value_typeET4_jRbjT5_S1B_jjP12ihipStream_tbEUljE_ZNSN_ISO_Lb0ESQ_SR_SQ_SR_SV_EESW_SX_SY_SZ_S13_S14_S15_S18_S19_jS1A_jS1B_S1B_jjS1D_bEUljE0_EEESW_SX_SY_S15_S19_S1B_T6_T7_T9_mT8_S1D_bDpT10_ENKUlT_T0_E_clISt17integral_constantIbLb1EES1R_EEDaS1M_S1N_EUlS1M_E_NS1_11comp_targetILNS1_3genE0ELNS1_11target_archE4294967295ELNS1_3gpuE0ELNS1_3repE0EEENS1_30default_config_static_selectorELNS0_4arch9wavefront6targetE0EEEvSZ_,"axG",@progbits,_ZN7rocprim17ROCPRIM_400000_NS6detail17trampoline_kernelINS0_13select_configILj256ELj13ELNS0_17block_load_methodE3ELS4_3ELS4_3ELNS0_20block_scan_algorithmE0ELj4294967295EEENS1_25partition_config_selectorILNS1_17partition_subalgoE4EjNS0_10empty_typeEbEEZZNS1_14partition_implILS8_4ELb0ES6_15HIP_vector_typeIjLj2EENS0_17counting_iteratorIjlEEPS9_SG_NS0_5tupleIJPjSI_NS0_16reverse_iteratorISI_EEEEENSH_IJSG_SG_SG_EEES9_SI_JZNS1_25segmented_radix_sort_implINS0_14default_configELb0EPKlPlSQ_SR_N2at6native12_GLOBAL__N_18offset_tEEE10hipError_tPvRmT1_PNSt15iterator_traitsISZ_E10value_typeET2_T3_PNS10_IS15_E10value_typeET4_jRbjT5_S1B_jjP12ihipStream_tbEUljE_ZNSN_ISO_Lb0ESQ_SR_SQ_SR_SV_EESW_SX_SY_SZ_S13_S14_S15_S18_S19_jS1A_jS1B_S1B_jjS1D_bEUljE0_EEESW_SX_SY_S15_S19_S1B_T6_T7_T9_mT8_S1D_bDpT10_ENKUlT_T0_E_clISt17integral_constantIbLb1EES1R_EEDaS1M_S1N_EUlS1M_E_NS1_11comp_targetILNS1_3genE0ELNS1_11target_archE4294967295ELNS1_3gpuE0ELNS1_3repE0EEENS1_30default_config_static_selectorELNS0_4arch9wavefront6targetE0EEEvSZ_,comdat
.Lfunc_end751:
	.size	_ZN7rocprim17ROCPRIM_400000_NS6detail17trampoline_kernelINS0_13select_configILj256ELj13ELNS0_17block_load_methodE3ELS4_3ELS4_3ELNS0_20block_scan_algorithmE0ELj4294967295EEENS1_25partition_config_selectorILNS1_17partition_subalgoE4EjNS0_10empty_typeEbEEZZNS1_14partition_implILS8_4ELb0ES6_15HIP_vector_typeIjLj2EENS0_17counting_iteratorIjlEEPS9_SG_NS0_5tupleIJPjSI_NS0_16reverse_iteratorISI_EEEEENSH_IJSG_SG_SG_EEES9_SI_JZNS1_25segmented_radix_sort_implINS0_14default_configELb0EPKlPlSQ_SR_N2at6native12_GLOBAL__N_18offset_tEEE10hipError_tPvRmT1_PNSt15iterator_traitsISZ_E10value_typeET2_T3_PNS10_IS15_E10value_typeET4_jRbjT5_S1B_jjP12ihipStream_tbEUljE_ZNSN_ISO_Lb0ESQ_SR_SQ_SR_SV_EESW_SX_SY_SZ_S13_S14_S15_S18_S19_jS1A_jS1B_S1B_jjS1D_bEUljE0_EEESW_SX_SY_S15_S19_S1B_T6_T7_T9_mT8_S1D_bDpT10_ENKUlT_T0_E_clISt17integral_constantIbLb1EES1R_EEDaS1M_S1N_EUlS1M_E_NS1_11comp_targetILNS1_3genE0ELNS1_11target_archE4294967295ELNS1_3gpuE0ELNS1_3repE0EEENS1_30default_config_static_selectorELNS0_4arch9wavefront6targetE0EEEvSZ_, .Lfunc_end751-_ZN7rocprim17ROCPRIM_400000_NS6detail17trampoline_kernelINS0_13select_configILj256ELj13ELNS0_17block_load_methodE3ELS4_3ELS4_3ELNS0_20block_scan_algorithmE0ELj4294967295EEENS1_25partition_config_selectorILNS1_17partition_subalgoE4EjNS0_10empty_typeEbEEZZNS1_14partition_implILS8_4ELb0ES6_15HIP_vector_typeIjLj2EENS0_17counting_iteratorIjlEEPS9_SG_NS0_5tupleIJPjSI_NS0_16reverse_iteratorISI_EEEEENSH_IJSG_SG_SG_EEES9_SI_JZNS1_25segmented_radix_sort_implINS0_14default_configELb0EPKlPlSQ_SR_N2at6native12_GLOBAL__N_18offset_tEEE10hipError_tPvRmT1_PNSt15iterator_traitsISZ_E10value_typeET2_T3_PNS10_IS15_E10value_typeET4_jRbjT5_S1B_jjP12ihipStream_tbEUljE_ZNSN_ISO_Lb0ESQ_SR_SQ_SR_SV_EESW_SX_SY_SZ_S13_S14_S15_S18_S19_jS1A_jS1B_S1B_jjS1D_bEUljE0_EEESW_SX_SY_S15_S19_S1B_T6_T7_T9_mT8_S1D_bDpT10_ENKUlT_T0_E_clISt17integral_constantIbLb1EES1R_EEDaS1M_S1N_EUlS1M_E_NS1_11comp_targetILNS1_3genE0ELNS1_11target_archE4294967295ELNS1_3gpuE0ELNS1_3repE0EEENS1_30default_config_static_selectorELNS0_4arch9wavefront6targetE0EEEvSZ_
                                        ; -- End function
	.set _ZN7rocprim17ROCPRIM_400000_NS6detail17trampoline_kernelINS0_13select_configILj256ELj13ELNS0_17block_load_methodE3ELS4_3ELS4_3ELNS0_20block_scan_algorithmE0ELj4294967295EEENS1_25partition_config_selectorILNS1_17partition_subalgoE4EjNS0_10empty_typeEbEEZZNS1_14partition_implILS8_4ELb0ES6_15HIP_vector_typeIjLj2EENS0_17counting_iteratorIjlEEPS9_SG_NS0_5tupleIJPjSI_NS0_16reverse_iteratorISI_EEEEENSH_IJSG_SG_SG_EEES9_SI_JZNS1_25segmented_radix_sort_implINS0_14default_configELb0EPKlPlSQ_SR_N2at6native12_GLOBAL__N_18offset_tEEE10hipError_tPvRmT1_PNSt15iterator_traitsISZ_E10value_typeET2_T3_PNS10_IS15_E10value_typeET4_jRbjT5_S1B_jjP12ihipStream_tbEUljE_ZNSN_ISO_Lb0ESQ_SR_SQ_SR_SV_EESW_SX_SY_SZ_S13_S14_S15_S18_S19_jS1A_jS1B_S1B_jjS1D_bEUljE0_EEESW_SX_SY_S15_S19_S1B_T6_T7_T9_mT8_S1D_bDpT10_ENKUlT_T0_E_clISt17integral_constantIbLb1EES1R_EEDaS1M_S1N_EUlS1M_E_NS1_11comp_targetILNS1_3genE0ELNS1_11target_archE4294967295ELNS1_3gpuE0ELNS1_3repE0EEENS1_30default_config_static_selectorELNS0_4arch9wavefront6targetE0EEEvSZ_.num_vgpr, 0
	.set _ZN7rocprim17ROCPRIM_400000_NS6detail17trampoline_kernelINS0_13select_configILj256ELj13ELNS0_17block_load_methodE3ELS4_3ELS4_3ELNS0_20block_scan_algorithmE0ELj4294967295EEENS1_25partition_config_selectorILNS1_17partition_subalgoE4EjNS0_10empty_typeEbEEZZNS1_14partition_implILS8_4ELb0ES6_15HIP_vector_typeIjLj2EENS0_17counting_iteratorIjlEEPS9_SG_NS0_5tupleIJPjSI_NS0_16reverse_iteratorISI_EEEEENSH_IJSG_SG_SG_EEES9_SI_JZNS1_25segmented_radix_sort_implINS0_14default_configELb0EPKlPlSQ_SR_N2at6native12_GLOBAL__N_18offset_tEEE10hipError_tPvRmT1_PNSt15iterator_traitsISZ_E10value_typeET2_T3_PNS10_IS15_E10value_typeET4_jRbjT5_S1B_jjP12ihipStream_tbEUljE_ZNSN_ISO_Lb0ESQ_SR_SQ_SR_SV_EESW_SX_SY_SZ_S13_S14_S15_S18_S19_jS1A_jS1B_S1B_jjS1D_bEUljE0_EEESW_SX_SY_S15_S19_S1B_T6_T7_T9_mT8_S1D_bDpT10_ENKUlT_T0_E_clISt17integral_constantIbLb1EES1R_EEDaS1M_S1N_EUlS1M_E_NS1_11comp_targetILNS1_3genE0ELNS1_11target_archE4294967295ELNS1_3gpuE0ELNS1_3repE0EEENS1_30default_config_static_selectorELNS0_4arch9wavefront6targetE0EEEvSZ_.num_agpr, 0
	.set _ZN7rocprim17ROCPRIM_400000_NS6detail17trampoline_kernelINS0_13select_configILj256ELj13ELNS0_17block_load_methodE3ELS4_3ELS4_3ELNS0_20block_scan_algorithmE0ELj4294967295EEENS1_25partition_config_selectorILNS1_17partition_subalgoE4EjNS0_10empty_typeEbEEZZNS1_14partition_implILS8_4ELb0ES6_15HIP_vector_typeIjLj2EENS0_17counting_iteratorIjlEEPS9_SG_NS0_5tupleIJPjSI_NS0_16reverse_iteratorISI_EEEEENSH_IJSG_SG_SG_EEES9_SI_JZNS1_25segmented_radix_sort_implINS0_14default_configELb0EPKlPlSQ_SR_N2at6native12_GLOBAL__N_18offset_tEEE10hipError_tPvRmT1_PNSt15iterator_traitsISZ_E10value_typeET2_T3_PNS10_IS15_E10value_typeET4_jRbjT5_S1B_jjP12ihipStream_tbEUljE_ZNSN_ISO_Lb0ESQ_SR_SQ_SR_SV_EESW_SX_SY_SZ_S13_S14_S15_S18_S19_jS1A_jS1B_S1B_jjS1D_bEUljE0_EEESW_SX_SY_S15_S19_S1B_T6_T7_T9_mT8_S1D_bDpT10_ENKUlT_T0_E_clISt17integral_constantIbLb1EES1R_EEDaS1M_S1N_EUlS1M_E_NS1_11comp_targetILNS1_3genE0ELNS1_11target_archE4294967295ELNS1_3gpuE0ELNS1_3repE0EEENS1_30default_config_static_selectorELNS0_4arch9wavefront6targetE0EEEvSZ_.numbered_sgpr, 0
	.set _ZN7rocprim17ROCPRIM_400000_NS6detail17trampoline_kernelINS0_13select_configILj256ELj13ELNS0_17block_load_methodE3ELS4_3ELS4_3ELNS0_20block_scan_algorithmE0ELj4294967295EEENS1_25partition_config_selectorILNS1_17partition_subalgoE4EjNS0_10empty_typeEbEEZZNS1_14partition_implILS8_4ELb0ES6_15HIP_vector_typeIjLj2EENS0_17counting_iteratorIjlEEPS9_SG_NS0_5tupleIJPjSI_NS0_16reverse_iteratorISI_EEEEENSH_IJSG_SG_SG_EEES9_SI_JZNS1_25segmented_radix_sort_implINS0_14default_configELb0EPKlPlSQ_SR_N2at6native12_GLOBAL__N_18offset_tEEE10hipError_tPvRmT1_PNSt15iterator_traitsISZ_E10value_typeET2_T3_PNS10_IS15_E10value_typeET4_jRbjT5_S1B_jjP12ihipStream_tbEUljE_ZNSN_ISO_Lb0ESQ_SR_SQ_SR_SV_EESW_SX_SY_SZ_S13_S14_S15_S18_S19_jS1A_jS1B_S1B_jjS1D_bEUljE0_EEESW_SX_SY_S15_S19_S1B_T6_T7_T9_mT8_S1D_bDpT10_ENKUlT_T0_E_clISt17integral_constantIbLb1EES1R_EEDaS1M_S1N_EUlS1M_E_NS1_11comp_targetILNS1_3genE0ELNS1_11target_archE4294967295ELNS1_3gpuE0ELNS1_3repE0EEENS1_30default_config_static_selectorELNS0_4arch9wavefront6targetE0EEEvSZ_.num_named_barrier, 0
	.set _ZN7rocprim17ROCPRIM_400000_NS6detail17trampoline_kernelINS0_13select_configILj256ELj13ELNS0_17block_load_methodE3ELS4_3ELS4_3ELNS0_20block_scan_algorithmE0ELj4294967295EEENS1_25partition_config_selectorILNS1_17partition_subalgoE4EjNS0_10empty_typeEbEEZZNS1_14partition_implILS8_4ELb0ES6_15HIP_vector_typeIjLj2EENS0_17counting_iteratorIjlEEPS9_SG_NS0_5tupleIJPjSI_NS0_16reverse_iteratorISI_EEEEENSH_IJSG_SG_SG_EEES9_SI_JZNS1_25segmented_radix_sort_implINS0_14default_configELb0EPKlPlSQ_SR_N2at6native12_GLOBAL__N_18offset_tEEE10hipError_tPvRmT1_PNSt15iterator_traitsISZ_E10value_typeET2_T3_PNS10_IS15_E10value_typeET4_jRbjT5_S1B_jjP12ihipStream_tbEUljE_ZNSN_ISO_Lb0ESQ_SR_SQ_SR_SV_EESW_SX_SY_SZ_S13_S14_S15_S18_S19_jS1A_jS1B_S1B_jjS1D_bEUljE0_EEESW_SX_SY_S15_S19_S1B_T6_T7_T9_mT8_S1D_bDpT10_ENKUlT_T0_E_clISt17integral_constantIbLb1EES1R_EEDaS1M_S1N_EUlS1M_E_NS1_11comp_targetILNS1_3genE0ELNS1_11target_archE4294967295ELNS1_3gpuE0ELNS1_3repE0EEENS1_30default_config_static_selectorELNS0_4arch9wavefront6targetE0EEEvSZ_.private_seg_size, 0
	.set _ZN7rocprim17ROCPRIM_400000_NS6detail17trampoline_kernelINS0_13select_configILj256ELj13ELNS0_17block_load_methodE3ELS4_3ELS4_3ELNS0_20block_scan_algorithmE0ELj4294967295EEENS1_25partition_config_selectorILNS1_17partition_subalgoE4EjNS0_10empty_typeEbEEZZNS1_14partition_implILS8_4ELb0ES6_15HIP_vector_typeIjLj2EENS0_17counting_iteratorIjlEEPS9_SG_NS0_5tupleIJPjSI_NS0_16reverse_iteratorISI_EEEEENSH_IJSG_SG_SG_EEES9_SI_JZNS1_25segmented_radix_sort_implINS0_14default_configELb0EPKlPlSQ_SR_N2at6native12_GLOBAL__N_18offset_tEEE10hipError_tPvRmT1_PNSt15iterator_traitsISZ_E10value_typeET2_T3_PNS10_IS15_E10value_typeET4_jRbjT5_S1B_jjP12ihipStream_tbEUljE_ZNSN_ISO_Lb0ESQ_SR_SQ_SR_SV_EESW_SX_SY_SZ_S13_S14_S15_S18_S19_jS1A_jS1B_S1B_jjS1D_bEUljE0_EEESW_SX_SY_S15_S19_S1B_T6_T7_T9_mT8_S1D_bDpT10_ENKUlT_T0_E_clISt17integral_constantIbLb1EES1R_EEDaS1M_S1N_EUlS1M_E_NS1_11comp_targetILNS1_3genE0ELNS1_11target_archE4294967295ELNS1_3gpuE0ELNS1_3repE0EEENS1_30default_config_static_selectorELNS0_4arch9wavefront6targetE0EEEvSZ_.uses_vcc, 0
	.set _ZN7rocprim17ROCPRIM_400000_NS6detail17trampoline_kernelINS0_13select_configILj256ELj13ELNS0_17block_load_methodE3ELS4_3ELS4_3ELNS0_20block_scan_algorithmE0ELj4294967295EEENS1_25partition_config_selectorILNS1_17partition_subalgoE4EjNS0_10empty_typeEbEEZZNS1_14partition_implILS8_4ELb0ES6_15HIP_vector_typeIjLj2EENS0_17counting_iteratorIjlEEPS9_SG_NS0_5tupleIJPjSI_NS0_16reverse_iteratorISI_EEEEENSH_IJSG_SG_SG_EEES9_SI_JZNS1_25segmented_radix_sort_implINS0_14default_configELb0EPKlPlSQ_SR_N2at6native12_GLOBAL__N_18offset_tEEE10hipError_tPvRmT1_PNSt15iterator_traitsISZ_E10value_typeET2_T3_PNS10_IS15_E10value_typeET4_jRbjT5_S1B_jjP12ihipStream_tbEUljE_ZNSN_ISO_Lb0ESQ_SR_SQ_SR_SV_EESW_SX_SY_SZ_S13_S14_S15_S18_S19_jS1A_jS1B_S1B_jjS1D_bEUljE0_EEESW_SX_SY_S15_S19_S1B_T6_T7_T9_mT8_S1D_bDpT10_ENKUlT_T0_E_clISt17integral_constantIbLb1EES1R_EEDaS1M_S1N_EUlS1M_E_NS1_11comp_targetILNS1_3genE0ELNS1_11target_archE4294967295ELNS1_3gpuE0ELNS1_3repE0EEENS1_30default_config_static_selectorELNS0_4arch9wavefront6targetE0EEEvSZ_.uses_flat_scratch, 0
	.set _ZN7rocprim17ROCPRIM_400000_NS6detail17trampoline_kernelINS0_13select_configILj256ELj13ELNS0_17block_load_methodE3ELS4_3ELS4_3ELNS0_20block_scan_algorithmE0ELj4294967295EEENS1_25partition_config_selectorILNS1_17partition_subalgoE4EjNS0_10empty_typeEbEEZZNS1_14partition_implILS8_4ELb0ES6_15HIP_vector_typeIjLj2EENS0_17counting_iteratorIjlEEPS9_SG_NS0_5tupleIJPjSI_NS0_16reverse_iteratorISI_EEEEENSH_IJSG_SG_SG_EEES9_SI_JZNS1_25segmented_radix_sort_implINS0_14default_configELb0EPKlPlSQ_SR_N2at6native12_GLOBAL__N_18offset_tEEE10hipError_tPvRmT1_PNSt15iterator_traitsISZ_E10value_typeET2_T3_PNS10_IS15_E10value_typeET4_jRbjT5_S1B_jjP12ihipStream_tbEUljE_ZNSN_ISO_Lb0ESQ_SR_SQ_SR_SV_EESW_SX_SY_SZ_S13_S14_S15_S18_S19_jS1A_jS1B_S1B_jjS1D_bEUljE0_EEESW_SX_SY_S15_S19_S1B_T6_T7_T9_mT8_S1D_bDpT10_ENKUlT_T0_E_clISt17integral_constantIbLb1EES1R_EEDaS1M_S1N_EUlS1M_E_NS1_11comp_targetILNS1_3genE0ELNS1_11target_archE4294967295ELNS1_3gpuE0ELNS1_3repE0EEENS1_30default_config_static_selectorELNS0_4arch9wavefront6targetE0EEEvSZ_.has_dyn_sized_stack, 0
	.set _ZN7rocprim17ROCPRIM_400000_NS6detail17trampoline_kernelINS0_13select_configILj256ELj13ELNS0_17block_load_methodE3ELS4_3ELS4_3ELNS0_20block_scan_algorithmE0ELj4294967295EEENS1_25partition_config_selectorILNS1_17partition_subalgoE4EjNS0_10empty_typeEbEEZZNS1_14partition_implILS8_4ELb0ES6_15HIP_vector_typeIjLj2EENS0_17counting_iteratorIjlEEPS9_SG_NS0_5tupleIJPjSI_NS0_16reverse_iteratorISI_EEEEENSH_IJSG_SG_SG_EEES9_SI_JZNS1_25segmented_radix_sort_implINS0_14default_configELb0EPKlPlSQ_SR_N2at6native12_GLOBAL__N_18offset_tEEE10hipError_tPvRmT1_PNSt15iterator_traitsISZ_E10value_typeET2_T3_PNS10_IS15_E10value_typeET4_jRbjT5_S1B_jjP12ihipStream_tbEUljE_ZNSN_ISO_Lb0ESQ_SR_SQ_SR_SV_EESW_SX_SY_SZ_S13_S14_S15_S18_S19_jS1A_jS1B_S1B_jjS1D_bEUljE0_EEESW_SX_SY_S15_S19_S1B_T6_T7_T9_mT8_S1D_bDpT10_ENKUlT_T0_E_clISt17integral_constantIbLb1EES1R_EEDaS1M_S1N_EUlS1M_E_NS1_11comp_targetILNS1_3genE0ELNS1_11target_archE4294967295ELNS1_3gpuE0ELNS1_3repE0EEENS1_30default_config_static_selectorELNS0_4arch9wavefront6targetE0EEEvSZ_.has_recursion, 0
	.set _ZN7rocprim17ROCPRIM_400000_NS6detail17trampoline_kernelINS0_13select_configILj256ELj13ELNS0_17block_load_methodE3ELS4_3ELS4_3ELNS0_20block_scan_algorithmE0ELj4294967295EEENS1_25partition_config_selectorILNS1_17partition_subalgoE4EjNS0_10empty_typeEbEEZZNS1_14partition_implILS8_4ELb0ES6_15HIP_vector_typeIjLj2EENS0_17counting_iteratorIjlEEPS9_SG_NS0_5tupleIJPjSI_NS0_16reverse_iteratorISI_EEEEENSH_IJSG_SG_SG_EEES9_SI_JZNS1_25segmented_radix_sort_implINS0_14default_configELb0EPKlPlSQ_SR_N2at6native12_GLOBAL__N_18offset_tEEE10hipError_tPvRmT1_PNSt15iterator_traitsISZ_E10value_typeET2_T3_PNS10_IS15_E10value_typeET4_jRbjT5_S1B_jjP12ihipStream_tbEUljE_ZNSN_ISO_Lb0ESQ_SR_SQ_SR_SV_EESW_SX_SY_SZ_S13_S14_S15_S18_S19_jS1A_jS1B_S1B_jjS1D_bEUljE0_EEESW_SX_SY_S15_S19_S1B_T6_T7_T9_mT8_S1D_bDpT10_ENKUlT_T0_E_clISt17integral_constantIbLb1EES1R_EEDaS1M_S1N_EUlS1M_E_NS1_11comp_targetILNS1_3genE0ELNS1_11target_archE4294967295ELNS1_3gpuE0ELNS1_3repE0EEENS1_30default_config_static_selectorELNS0_4arch9wavefront6targetE0EEEvSZ_.has_indirect_call, 0
	.section	.AMDGPU.csdata,"",@progbits
; Kernel info:
; codeLenInByte = 0
; TotalNumSgprs: 0
; NumVgprs: 0
; ScratchSize: 0
; MemoryBound: 0
; FloatMode: 240
; IeeeMode: 1
; LDSByteSize: 0 bytes/workgroup (compile time only)
; SGPRBlocks: 0
; VGPRBlocks: 0
; NumSGPRsForWavesPerEU: 1
; NumVGPRsForWavesPerEU: 1
; Occupancy: 16
; WaveLimiterHint : 0
; COMPUTE_PGM_RSRC2:SCRATCH_EN: 0
; COMPUTE_PGM_RSRC2:USER_SGPR: 2
; COMPUTE_PGM_RSRC2:TRAP_HANDLER: 0
; COMPUTE_PGM_RSRC2:TGID_X_EN: 1
; COMPUTE_PGM_RSRC2:TGID_Y_EN: 0
; COMPUTE_PGM_RSRC2:TGID_Z_EN: 0
; COMPUTE_PGM_RSRC2:TIDIG_COMP_CNT: 0
	.section	.text._ZN7rocprim17ROCPRIM_400000_NS6detail17trampoline_kernelINS0_13select_configILj256ELj13ELNS0_17block_load_methodE3ELS4_3ELS4_3ELNS0_20block_scan_algorithmE0ELj4294967295EEENS1_25partition_config_selectorILNS1_17partition_subalgoE4EjNS0_10empty_typeEbEEZZNS1_14partition_implILS8_4ELb0ES6_15HIP_vector_typeIjLj2EENS0_17counting_iteratorIjlEEPS9_SG_NS0_5tupleIJPjSI_NS0_16reverse_iteratorISI_EEEEENSH_IJSG_SG_SG_EEES9_SI_JZNS1_25segmented_radix_sort_implINS0_14default_configELb0EPKlPlSQ_SR_N2at6native12_GLOBAL__N_18offset_tEEE10hipError_tPvRmT1_PNSt15iterator_traitsISZ_E10value_typeET2_T3_PNS10_IS15_E10value_typeET4_jRbjT5_S1B_jjP12ihipStream_tbEUljE_ZNSN_ISO_Lb0ESQ_SR_SQ_SR_SV_EESW_SX_SY_SZ_S13_S14_S15_S18_S19_jS1A_jS1B_S1B_jjS1D_bEUljE0_EEESW_SX_SY_S15_S19_S1B_T6_T7_T9_mT8_S1D_bDpT10_ENKUlT_T0_E_clISt17integral_constantIbLb1EES1R_EEDaS1M_S1N_EUlS1M_E_NS1_11comp_targetILNS1_3genE5ELNS1_11target_archE942ELNS1_3gpuE9ELNS1_3repE0EEENS1_30default_config_static_selectorELNS0_4arch9wavefront6targetE0EEEvSZ_,"axG",@progbits,_ZN7rocprim17ROCPRIM_400000_NS6detail17trampoline_kernelINS0_13select_configILj256ELj13ELNS0_17block_load_methodE3ELS4_3ELS4_3ELNS0_20block_scan_algorithmE0ELj4294967295EEENS1_25partition_config_selectorILNS1_17partition_subalgoE4EjNS0_10empty_typeEbEEZZNS1_14partition_implILS8_4ELb0ES6_15HIP_vector_typeIjLj2EENS0_17counting_iteratorIjlEEPS9_SG_NS0_5tupleIJPjSI_NS0_16reverse_iteratorISI_EEEEENSH_IJSG_SG_SG_EEES9_SI_JZNS1_25segmented_radix_sort_implINS0_14default_configELb0EPKlPlSQ_SR_N2at6native12_GLOBAL__N_18offset_tEEE10hipError_tPvRmT1_PNSt15iterator_traitsISZ_E10value_typeET2_T3_PNS10_IS15_E10value_typeET4_jRbjT5_S1B_jjP12ihipStream_tbEUljE_ZNSN_ISO_Lb0ESQ_SR_SQ_SR_SV_EESW_SX_SY_SZ_S13_S14_S15_S18_S19_jS1A_jS1B_S1B_jjS1D_bEUljE0_EEESW_SX_SY_S15_S19_S1B_T6_T7_T9_mT8_S1D_bDpT10_ENKUlT_T0_E_clISt17integral_constantIbLb1EES1R_EEDaS1M_S1N_EUlS1M_E_NS1_11comp_targetILNS1_3genE5ELNS1_11target_archE942ELNS1_3gpuE9ELNS1_3repE0EEENS1_30default_config_static_selectorELNS0_4arch9wavefront6targetE0EEEvSZ_,comdat
	.globl	_ZN7rocprim17ROCPRIM_400000_NS6detail17trampoline_kernelINS0_13select_configILj256ELj13ELNS0_17block_load_methodE3ELS4_3ELS4_3ELNS0_20block_scan_algorithmE0ELj4294967295EEENS1_25partition_config_selectorILNS1_17partition_subalgoE4EjNS0_10empty_typeEbEEZZNS1_14partition_implILS8_4ELb0ES6_15HIP_vector_typeIjLj2EENS0_17counting_iteratorIjlEEPS9_SG_NS0_5tupleIJPjSI_NS0_16reverse_iteratorISI_EEEEENSH_IJSG_SG_SG_EEES9_SI_JZNS1_25segmented_radix_sort_implINS0_14default_configELb0EPKlPlSQ_SR_N2at6native12_GLOBAL__N_18offset_tEEE10hipError_tPvRmT1_PNSt15iterator_traitsISZ_E10value_typeET2_T3_PNS10_IS15_E10value_typeET4_jRbjT5_S1B_jjP12ihipStream_tbEUljE_ZNSN_ISO_Lb0ESQ_SR_SQ_SR_SV_EESW_SX_SY_SZ_S13_S14_S15_S18_S19_jS1A_jS1B_S1B_jjS1D_bEUljE0_EEESW_SX_SY_S15_S19_S1B_T6_T7_T9_mT8_S1D_bDpT10_ENKUlT_T0_E_clISt17integral_constantIbLb1EES1R_EEDaS1M_S1N_EUlS1M_E_NS1_11comp_targetILNS1_3genE5ELNS1_11target_archE942ELNS1_3gpuE9ELNS1_3repE0EEENS1_30default_config_static_selectorELNS0_4arch9wavefront6targetE0EEEvSZ_ ; -- Begin function _ZN7rocprim17ROCPRIM_400000_NS6detail17trampoline_kernelINS0_13select_configILj256ELj13ELNS0_17block_load_methodE3ELS4_3ELS4_3ELNS0_20block_scan_algorithmE0ELj4294967295EEENS1_25partition_config_selectorILNS1_17partition_subalgoE4EjNS0_10empty_typeEbEEZZNS1_14partition_implILS8_4ELb0ES6_15HIP_vector_typeIjLj2EENS0_17counting_iteratorIjlEEPS9_SG_NS0_5tupleIJPjSI_NS0_16reverse_iteratorISI_EEEEENSH_IJSG_SG_SG_EEES9_SI_JZNS1_25segmented_radix_sort_implINS0_14default_configELb0EPKlPlSQ_SR_N2at6native12_GLOBAL__N_18offset_tEEE10hipError_tPvRmT1_PNSt15iterator_traitsISZ_E10value_typeET2_T3_PNS10_IS15_E10value_typeET4_jRbjT5_S1B_jjP12ihipStream_tbEUljE_ZNSN_ISO_Lb0ESQ_SR_SQ_SR_SV_EESW_SX_SY_SZ_S13_S14_S15_S18_S19_jS1A_jS1B_S1B_jjS1D_bEUljE0_EEESW_SX_SY_S15_S19_S1B_T6_T7_T9_mT8_S1D_bDpT10_ENKUlT_T0_E_clISt17integral_constantIbLb1EES1R_EEDaS1M_S1N_EUlS1M_E_NS1_11comp_targetILNS1_3genE5ELNS1_11target_archE942ELNS1_3gpuE9ELNS1_3repE0EEENS1_30default_config_static_selectorELNS0_4arch9wavefront6targetE0EEEvSZ_
	.p2align	8
	.type	_ZN7rocprim17ROCPRIM_400000_NS6detail17trampoline_kernelINS0_13select_configILj256ELj13ELNS0_17block_load_methodE3ELS4_3ELS4_3ELNS0_20block_scan_algorithmE0ELj4294967295EEENS1_25partition_config_selectorILNS1_17partition_subalgoE4EjNS0_10empty_typeEbEEZZNS1_14partition_implILS8_4ELb0ES6_15HIP_vector_typeIjLj2EENS0_17counting_iteratorIjlEEPS9_SG_NS0_5tupleIJPjSI_NS0_16reverse_iteratorISI_EEEEENSH_IJSG_SG_SG_EEES9_SI_JZNS1_25segmented_radix_sort_implINS0_14default_configELb0EPKlPlSQ_SR_N2at6native12_GLOBAL__N_18offset_tEEE10hipError_tPvRmT1_PNSt15iterator_traitsISZ_E10value_typeET2_T3_PNS10_IS15_E10value_typeET4_jRbjT5_S1B_jjP12ihipStream_tbEUljE_ZNSN_ISO_Lb0ESQ_SR_SQ_SR_SV_EESW_SX_SY_SZ_S13_S14_S15_S18_S19_jS1A_jS1B_S1B_jjS1D_bEUljE0_EEESW_SX_SY_S15_S19_S1B_T6_T7_T9_mT8_S1D_bDpT10_ENKUlT_T0_E_clISt17integral_constantIbLb1EES1R_EEDaS1M_S1N_EUlS1M_E_NS1_11comp_targetILNS1_3genE5ELNS1_11target_archE942ELNS1_3gpuE9ELNS1_3repE0EEENS1_30default_config_static_selectorELNS0_4arch9wavefront6targetE0EEEvSZ_,@function
_ZN7rocprim17ROCPRIM_400000_NS6detail17trampoline_kernelINS0_13select_configILj256ELj13ELNS0_17block_load_methodE3ELS4_3ELS4_3ELNS0_20block_scan_algorithmE0ELj4294967295EEENS1_25partition_config_selectorILNS1_17partition_subalgoE4EjNS0_10empty_typeEbEEZZNS1_14partition_implILS8_4ELb0ES6_15HIP_vector_typeIjLj2EENS0_17counting_iteratorIjlEEPS9_SG_NS0_5tupleIJPjSI_NS0_16reverse_iteratorISI_EEEEENSH_IJSG_SG_SG_EEES9_SI_JZNS1_25segmented_radix_sort_implINS0_14default_configELb0EPKlPlSQ_SR_N2at6native12_GLOBAL__N_18offset_tEEE10hipError_tPvRmT1_PNSt15iterator_traitsISZ_E10value_typeET2_T3_PNS10_IS15_E10value_typeET4_jRbjT5_S1B_jjP12ihipStream_tbEUljE_ZNSN_ISO_Lb0ESQ_SR_SQ_SR_SV_EESW_SX_SY_SZ_S13_S14_S15_S18_S19_jS1A_jS1B_S1B_jjS1D_bEUljE0_EEESW_SX_SY_S15_S19_S1B_T6_T7_T9_mT8_S1D_bDpT10_ENKUlT_T0_E_clISt17integral_constantIbLb1EES1R_EEDaS1M_S1N_EUlS1M_E_NS1_11comp_targetILNS1_3genE5ELNS1_11target_archE942ELNS1_3gpuE9ELNS1_3repE0EEENS1_30default_config_static_selectorELNS0_4arch9wavefront6targetE0EEEvSZ_: ; @_ZN7rocprim17ROCPRIM_400000_NS6detail17trampoline_kernelINS0_13select_configILj256ELj13ELNS0_17block_load_methodE3ELS4_3ELS4_3ELNS0_20block_scan_algorithmE0ELj4294967295EEENS1_25partition_config_selectorILNS1_17partition_subalgoE4EjNS0_10empty_typeEbEEZZNS1_14partition_implILS8_4ELb0ES6_15HIP_vector_typeIjLj2EENS0_17counting_iteratorIjlEEPS9_SG_NS0_5tupleIJPjSI_NS0_16reverse_iteratorISI_EEEEENSH_IJSG_SG_SG_EEES9_SI_JZNS1_25segmented_radix_sort_implINS0_14default_configELb0EPKlPlSQ_SR_N2at6native12_GLOBAL__N_18offset_tEEE10hipError_tPvRmT1_PNSt15iterator_traitsISZ_E10value_typeET2_T3_PNS10_IS15_E10value_typeET4_jRbjT5_S1B_jjP12ihipStream_tbEUljE_ZNSN_ISO_Lb0ESQ_SR_SQ_SR_SV_EESW_SX_SY_SZ_S13_S14_S15_S18_S19_jS1A_jS1B_S1B_jjS1D_bEUljE0_EEESW_SX_SY_S15_S19_S1B_T6_T7_T9_mT8_S1D_bDpT10_ENKUlT_T0_E_clISt17integral_constantIbLb1EES1R_EEDaS1M_S1N_EUlS1M_E_NS1_11comp_targetILNS1_3genE5ELNS1_11target_archE942ELNS1_3gpuE9ELNS1_3repE0EEENS1_30default_config_static_selectorELNS0_4arch9wavefront6targetE0EEEvSZ_
; %bb.0:
	.section	.rodata,"a",@progbits
	.p2align	6, 0x0
	.amdhsa_kernel _ZN7rocprim17ROCPRIM_400000_NS6detail17trampoline_kernelINS0_13select_configILj256ELj13ELNS0_17block_load_methodE3ELS4_3ELS4_3ELNS0_20block_scan_algorithmE0ELj4294967295EEENS1_25partition_config_selectorILNS1_17partition_subalgoE4EjNS0_10empty_typeEbEEZZNS1_14partition_implILS8_4ELb0ES6_15HIP_vector_typeIjLj2EENS0_17counting_iteratorIjlEEPS9_SG_NS0_5tupleIJPjSI_NS0_16reverse_iteratorISI_EEEEENSH_IJSG_SG_SG_EEES9_SI_JZNS1_25segmented_radix_sort_implINS0_14default_configELb0EPKlPlSQ_SR_N2at6native12_GLOBAL__N_18offset_tEEE10hipError_tPvRmT1_PNSt15iterator_traitsISZ_E10value_typeET2_T3_PNS10_IS15_E10value_typeET4_jRbjT5_S1B_jjP12ihipStream_tbEUljE_ZNSN_ISO_Lb0ESQ_SR_SQ_SR_SV_EESW_SX_SY_SZ_S13_S14_S15_S18_S19_jS1A_jS1B_S1B_jjS1D_bEUljE0_EEESW_SX_SY_S15_S19_S1B_T6_T7_T9_mT8_S1D_bDpT10_ENKUlT_T0_E_clISt17integral_constantIbLb1EES1R_EEDaS1M_S1N_EUlS1M_E_NS1_11comp_targetILNS1_3genE5ELNS1_11target_archE942ELNS1_3gpuE9ELNS1_3repE0EEENS1_30default_config_static_selectorELNS0_4arch9wavefront6targetE0EEEvSZ_
		.amdhsa_group_segment_fixed_size 0
		.amdhsa_private_segment_fixed_size 0
		.amdhsa_kernarg_size 184
		.amdhsa_user_sgpr_count 2
		.amdhsa_user_sgpr_dispatch_ptr 0
		.amdhsa_user_sgpr_queue_ptr 0
		.amdhsa_user_sgpr_kernarg_segment_ptr 1
		.amdhsa_user_sgpr_dispatch_id 0
		.amdhsa_user_sgpr_private_segment_size 0
		.amdhsa_wavefront_size32 1
		.amdhsa_uses_dynamic_stack 0
		.amdhsa_enable_private_segment 0
		.amdhsa_system_sgpr_workgroup_id_x 1
		.amdhsa_system_sgpr_workgroup_id_y 0
		.amdhsa_system_sgpr_workgroup_id_z 0
		.amdhsa_system_sgpr_workgroup_info 0
		.amdhsa_system_vgpr_workitem_id 0
		.amdhsa_next_free_vgpr 1
		.amdhsa_next_free_sgpr 1
		.amdhsa_reserve_vcc 0
		.amdhsa_float_round_mode_32 0
		.amdhsa_float_round_mode_16_64 0
		.amdhsa_float_denorm_mode_32 3
		.amdhsa_float_denorm_mode_16_64 3
		.amdhsa_fp16_overflow 0
		.amdhsa_workgroup_processor_mode 1
		.amdhsa_memory_ordered 1
		.amdhsa_forward_progress 1
		.amdhsa_inst_pref_size 0
		.amdhsa_round_robin_scheduling 0
		.amdhsa_exception_fp_ieee_invalid_op 0
		.amdhsa_exception_fp_denorm_src 0
		.amdhsa_exception_fp_ieee_div_zero 0
		.amdhsa_exception_fp_ieee_overflow 0
		.amdhsa_exception_fp_ieee_underflow 0
		.amdhsa_exception_fp_ieee_inexact 0
		.amdhsa_exception_int_div_zero 0
	.end_amdhsa_kernel
	.section	.text._ZN7rocprim17ROCPRIM_400000_NS6detail17trampoline_kernelINS0_13select_configILj256ELj13ELNS0_17block_load_methodE3ELS4_3ELS4_3ELNS0_20block_scan_algorithmE0ELj4294967295EEENS1_25partition_config_selectorILNS1_17partition_subalgoE4EjNS0_10empty_typeEbEEZZNS1_14partition_implILS8_4ELb0ES6_15HIP_vector_typeIjLj2EENS0_17counting_iteratorIjlEEPS9_SG_NS0_5tupleIJPjSI_NS0_16reverse_iteratorISI_EEEEENSH_IJSG_SG_SG_EEES9_SI_JZNS1_25segmented_radix_sort_implINS0_14default_configELb0EPKlPlSQ_SR_N2at6native12_GLOBAL__N_18offset_tEEE10hipError_tPvRmT1_PNSt15iterator_traitsISZ_E10value_typeET2_T3_PNS10_IS15_E10value_typeET4_jRbjT5_S1B_jjP12ihipStream_tbEUljE_ZNSN_ISO_Lb0ESQ_SR_SQ_SR_SV_EESW_SX_SY_SZ_S13_S14_S15_S18_S19_jS1A_jS1B_S1B_jjS1D_bEUljE0_EEESW_SX_SY_S15_S19_S1B_T6_T7_T9_mT8_S1D_bDpT10_ENKUlT_T0_E_clISt17integral_constantIbLb1EES1R_EEDaS1M_S1N_EUlS1M_E_NS1_11comp_targetILNS1_3genE5ELNS1_11target_archE942ELNS1_3gpuE9ELNS1_3repE0EEENS1_30default_config_static_selectorELNS0_4arch9wavefront6targetE0EEEvSZ_,"axG",@progbits,_ZN7rocprim17ROCPRIM_400000_NS6detail17trampoline_kernelINS0_13select_configILj256ELj13ELNS0_17block_load_methodE3ELS4_3ELS4_3ELNS0_20block_scan_algorithmE0ELj4294967295EEENS1_25partition_config_selectorILNS1_17partition_subalgoE4EjNS0_10empty_typeEbEEZZNS1_14partition_implILS8_4ELb0ES6_15HIP_vector_typeIjLj2EENS0_17counting_iteratorIjlEEPS9_SG_NS0_5tupleIJPjSI_NS0_16reverse_iteratorISI_EEEEENSH_IJSG_SG_SG_EEES9_SI_JZNS1_25segmented_radix_sort_implINS0_14default_configELb0EPKlPlSQ_SR_N2at6native12_GLOBAL__N_18offset_tEEE10hipError_tPvRmT1_PNSt15iterator_traitsISZ_E10value_typeET2_T3_PNS10_IS15_E10value_typeET4_jRbjT5_S1B_jjP12ihipStream_tbEUljE_ZNSN_ISO_Lb0ESQ_SR_SQ_SR_SV_EESW_SX_SY_SZ_S13_S14_S15_S18_S19_jS1A_jS1B_S1B_jjS1D_bEUljE0_EEESW_SX_SY_S15_S19_S1B_T6_T7_T9_mT8_S1D_bDpT10_ENKUlT_T0_E_clISt17integral_constantIbLb1EES1R_EEDaS1M_S1N_EUlS1M_E_NS1_11comp_targetILNS1_3genE5ELNS1_11target_archE942ELNS1_3gpuE9ELNS1_3repE0EEENS1_30default_config_static_selectorELNS0_4arch9wavefront6targetE0EEEvSZ_,comdat
.Lfunc_end752:
	.size	_ZN7rocprim17ROCPRIM_400000_NS6detail17trampoline_kernelINS0_13select_configILj256ELj13ELNS0_17block_load_methodE3ELS4_3ELS4_3ELNS0_20block_scan_algorithmE0ELj4294967295EEENS1_25partition_config_selectorILNS1_17partition_subalgoE4EjNS0_10empty_typeEbEEZZNS1_14partition_implILS8_4ELb0ES6_15HIP_vector_typeIjLj2EENS0_17counting_iteratorIjlEEPS9_SG_NS0_5tupleIJPjSI_NS0_16reverse_iteratorISI_EEEEENSH_IJSG_SG_SG_EEES9_SI_JZNS1_25segmented_radix_sort_implINS0_14default_configELb0EPKlPlSQ_SR_N2at6native12_GLOBAL__N_18offset_tEEE10hipError_tPvRmT1_PNSt15iterator_traitsISZ_E10value_typeET2_T3_PNS10_IS15_E10value_typeET4_jRbjT5_S1B_jjP12ihipStream_tbEUljE_ZNSN_ISO_Lb0ESQ_SR_SQ_SR_SV_EESW_SX_SY_SZ_S13_S14_S15_S18_S19_jS1A_jS1B_S1B_jjS1D_bEUljE0_EEESW_SX_SY_S15_S19_S1B_T6_T7_T9_mT8_S1D_bDpT10_ENKUlT_T0_E_clISt17integral_constantIbLb1EES1R_EEDaS1M_S1N_EUlS1M_E_NS1_11comp_targetILNS1_3genE5ELNS1_11target_archE942ELNS1_3gpuE9ELNS1_3repE0EEENS1_30default_config_static_selectorELNS0_4arch9wavefront6targetE0EEEvSZ_, .Lfunc_end752-_ZN7rocprim17ROCPRIM_400000_NS6detail17trampoline_kernelINS0_13select_configILj256ELj13ELNS0_17block_load_methodE3ELS4_3ELS4_3ELNS0_20block_scan_algorithmE0ELj4294967295EEENS1_25partition_config_selectorILNS1_17partition_subalgoE4EjNS0_10empty_typeEbEEZZNS1_14partition_implILS8_4ELb0ES6_15HIP_vector_typeIjLj2EENS0_17counting_iteratorIjlEEPS9_SG_NS0_5tupleIJPjSI_NS0_16reverse_iteratorISI_EEEEENSH_IJSG_SG_SG_EEES9_SI_JZNS1_25segmented_radix_sort_implINS0_14default_configELb0EPKlPlSQ_SR_N2at6native12_GLOBAL__N_18offset_tEEE10hipError_tPvRmT1_PNSt15iterator_traitsISZ_E10value_typeET2_T3_PNS10_IS15_E10value_typeET4_jRbjT5_S1B_jjP12ihipStream_tbEUljE_ZNSN_ISO_Lb0ESQ_SR_SQ_SR_SV_EESW_SX_SY_SZ_S13_S14_S15_S18_S19_jS1A_jS1B_S1B_jjS1D_bEUljE0_EEESW_SX_SY_S15_S19_S1B_T6_T7_T9_mT8_S1D_bDpT10_ENKUlT_T0_E_clISt17integral_constantIbLb1EES1R_EEDaS1M_S1N_EUlS1M_E_NS1_11comp_targetILNS1_3genE5ELNS1_11target_archE942ELNS1_3gpuE9ELNS1_3repE0EEENS1_30default_config_static_selectorELNS0_4arch9wavefront6targetE0EEEvSZ_
                                        ; -- End function
	.set _ZN7rocprim17ROCPRIM_400000_NS6detail17trampoline_kernelINS0_13select_configILj256ELj13ELNS0_17block_load_methodE3ELS4_3ELS4_3ELNS0_20block_scan_algorithmE0ELj4294967295EEENS1_25partition_config_selectorILNS1_17partition_subalgoE4EjNS0_10empty_typeEbEEZZNS1_14partition_implILS8_4ELb0ES6_15HIP_vector_typeIjLj2EENS0_17counting_iteratorIjlEEPS9_SG_NS0_5tupleIJPjSI_NS0_16reverse_iteratorISI_EEEEENSH_IJSG_SG_SG_EEES9_SI_JZNS1_25segmented_radix_sort_implINS0_14default_configELb0EPKlPlSQ_SR_N2at6native12_GLOBAL__N_18offset_tEEE10hipError_tPvRmT1_PNSt15iterator_traitsISZ_E10value_typeET2_T3_PNS10_IS15_E10value_typeET4_jRbjT5_S1B_jjP12ihipStream_tbEUljE_ZNSN_ISO_Lb0ESQ_SR_SQ_SR_SV_EESW_SX_SY_SZ_S13_S14_S15_S18_S19_jS1A_jS1B_S1B_jjS1D_bEUljE0_EEESW_SX_SY_S15_S19_S1B_T6_T7_T9_mT8_S1D_bDpT10_ENKUlT_T0_E_clISt17integral_constantIbLb1EES1R_EEDaS1M_S1N_EUlS1M_E_NS1_11comp_targetILNS1_3genE5ELNS1_11target_archE942ELNS1_3gpuE9ELNS1_3repE0EEENS1_30default_config_static_selectorELNS0_4arch9wavefront6targetE0EEEvSZ_.num_vgpr, 0
	.set _ZN7rocprim17ROCPRIM_400000_NS6detail17trampoline_kernelINS0_13select_configILj256ELj13ELNS0_17block_load_methodE3ELS4_3ELS4_3ELNS0_20block_scan_algorithmE0ELj4294967295EEENS1_25partition_config_selectorILNS1_17partition_subalgoE4EjNS0_10empty_typeEbEEZZNS1_14partition_implILS8_4ELb0ES6_15HIP_vector_typeIjLj2EENS0_17counting_iteratorIjlEEPS9_SG_NS0_5tupleIJPjSI_NS0_16reverse_iteratorISI_EEEEENSH_IJSG_SG_SG_EEES9_SI_JZNS1_25segmented_radix_sort_implINS0_14default_configELb0EPKlPlSQ_SR_N2at6native12_GLOBAL__N_18offset_tEEE10hipError_tPvRmT1_PNSt15iterator_traitsISZ_E10value_typeET2_T3_PNS10_IS15_E10value_typeET4_jRbjT5_S1B_jjP12ihipStream_tbEUljE_ZNSN_ISO_Lb0ESQ_SR_SQ_SR_SV_EESW_SX_SY_SZ_S13_S14_S15_S18_S19_jS1A_jS1B_S1B_jjS1D_bEUljE0_EEESW_SX_SY_S15_S19_S1B_T6_T7_T9_mT8_S1D_bDpT10_ENKUlT_T0_E_clISt17integral_constantIbLb1EES1R_EEDaS1M_S1N_EUlS1M_E_NS1_11comp_targetILNS1_3genE5ELNS1_11target_archE942ELNS1_3gpuE9ELNS1_3repE0EEENS1_30default_config_static_selectorELNS0_4arch9wavefront6targetE0EEEvSZ_.num_agpr, 0
	.set _ZN7rocprim17ROCPRIM_400000_NS6detail17trampoline_kernelINS0_13select_configILj256ELj13ELNS0_17block_load_methodE3ELS4_3ELS4_3ELNS0_20block_scan_algorithmE0ELj4294967295EEENS1_25partition_config_selectorILNS1_17partition_subalgoE4EjNS0_10empty_typeEbEEZZNS1_14partition_implILS8_4ELb0ES6_15HIP_vector_typeIjLj2EENS0_17counting_iteratorIjlEEPS9_SG_NS0_5tupleIJPjSI_NS0_16reverse_iteratorISI_EEEEENSH_IJSG_SG_SG_EEES9_SI_JZNS1_25segmented_radix_sort_implINS0_14default_configELb0EPKlPlSQ_SR_N2at6native12_GLOBAL__N_18offset_tEEE10hipError_tPvRmT1_PNSt15iterator_traitsISZ_E10value_typeET2_T3_PNS10_IS15_E10value_typeET4_jRbjT5_S1B_jjP12ihipStream_tbEUljE_ZNSN_ISO_Lb0ESQ_SR_SQ_SR_SV_EESW_SX_SY_SZ_S13_S14_S15_S18_S19_jS1A_jS1B_S1B_jjS1D_bEUljE0_EEESW_SX_SY_S15_S19_S1B_T6_T7_T9_mT8_S1D_bDpT10_ENKUlT_T0_E_clISt17integral_constantIbLb1EES1R_EEDaS1M_S1N_EUlS1M_E_NS1_11comp_targetILNS1_3genE5ELNS1_11target_archE942ELNS1_3gpuE9ELNS1_3repE0EEENS1_30default_config_static_selectorELNS0_4arch9wavefront6targetE0EEEvSZ_.numbered_sgpr, 0
	.set _ZN7rocprim17ROCPRIM_400000_NS6detail17trampoline_kernelINS0_13select_configILj256ELj13ELNS0_17block_load_methodE3ELS4_3ELS4_3ELNS0_20block_scan_algorithmE0ELj4294967295EEENS1_25partition_config_selectorILNS1_17partition_subalgoE4EjNS0_10empty_typeEbEEZZNS1_14partition_implILS8_4ELb0ES6_15HIP_vector_typeIjLj2EENS0_17counting_iteratorIjlEEPS9_SG_NS0_5tupleIJPjSI_NS0_16reverse_iteratorISI_EEEEENSH_IJSG_SG_SG_EEES9_SI_JZNS1_25segmented_radix_sort_implINS0_14default_configELb0EPKlPlSQ_SR_N2at6native12_GLOBAL__N_18offset_tEEE10hipError_tPvRmT1_PNSt15iterator_traitsISZ_E10value_typeET2_T3_PNS10_IS15_E10value_typeET4_jRbjT5_S1B_jjP12ihipStream_tbEUljE_ZNSN_ISO_Lb0ESQ_SR_SQ_SR_SV_EESW_SX_SY_SZ_S13_S14_S15_S18_S19_jS1A_jS1B_S1B_jjS1D_bEUljE0_EEESW_SX_SY_S15_S19_S1B_T6_T7_T9_mT8_S1D_bDpT10_ENKUlT_T0_E_clISt17integral_constantIbLb1EES1R_EEDaS1M_S1N_EUlS1M_E_NS1_11comp_targetILNS1_3genE5ELNS1_11target_archE942ELNS1_3gpuE9ELNS1_3repE0EEENS1_30default_config_static_selectorELNS0_4arch9wavefront6targetE0EEEvSZ_.num_named_barrier, 0
	.set _ZN7rocprim17ROCPRIM_400000_NS6detail17trampoline_kernelINS0_13select_configILj256ELj13ELNS0_17block_load_methodE3ELS4_3ELS4_3ELNS0_20block_scan_algorithmE0ELj4294967295EEENS1_25partition_config_selectorILNS1_17partition_subalgoE4EjNS0_10empty_typeEbEEZZNS1_14partition_implILS8_4ELb0ES6_15HIP_vector_typeIjLj2EENS0_17counting_iteratorIjlEEPS9_SG_NS0_5tupleIJPjSI_NS0_16reverse_iteratorISI_EEEEENSH_IJSG_SG_SG_EEES9_SI_JZNS1_25segmented_radix_sort_implINS0_14default_configELb0EPKlPlSQ_SR_N2at6native12_GLOBAL__N_18offset_tEEE10hipError_tPvRmT1_PNSt15iterator_traitsISZ_E10value_typeET2_T3_PNS10_IS15_E10value_typeET4_jRbjT5_S1B_jjP12ihipStream_tbEUljE_ZNSN_ISO_Lb0ESQ_SR_SQ_SR_SV_EESW_SX_SY_SZ_S13_S14_S15_S18_S19_jS1A_jS1B_S1B_jjS1D_bEUljE0_EEESW_SX_SY_S15_S19_S1B_T6_T7_T9_mT8_S1D_bDpT10_ENKUlT_T0_E_clISt17integral_constantIbLb1EES1R_EEDaS1M_S1N_EUlS1M_E_NS1_11comp_targetILNS1_3genE5ELNS1_11target_archE942ELNS1_3gpuE9ELNS1_3repE0EEENS1_30default_config_static_selectorELNS0_4arch9wavefront6targetE0EEEvSZ_.private_seg_size, 0
	.set _ZN7rocprim17ROCPRIM_400000_NS6detail17trampoline_kernelINS0_13select_configILj256ELj13ELNS0_17block_load_methodE3ELS4_3ELS4_3ELNS0_20block_scan_algorithmE0ELj4294967295EEENS1_25partition_config_selectorILNS1_17partition_subalgoE4EjNS0_10empty_typeEbEEZZNS1_14partition_implILS8_4ELb0ES6_15HIP_vector_typeIjLj2EENS0_17counting_iteratorIjlEEPS9_SG_NS0_5tupleIJPjSI_NS0_16reverse_iteratorISI_EEEEENSH_IJSG_SG_SG_EEES9_SI_JZNS1_25segmented_radix_sort_implINS0_14default_configELb0EPKlPlSQ_SR_N2at6native12_GLOBAL__N_18offset_tEEE10hipError_tPvRmT1_PNSt15iterator_traitsISZ_E10value_typeET2_T3_PNS10_IS15_E10value_typeET4_jRbjT5_S1B_jjP12ihipStream_tbEUljE_ZNSN_ISO_Lb0ESQ_SR_SQ_SR_SV_EESW_SX_SY_SZ_S13_S14_S15_S18_S19_jS1A_jS1B_S1B_jjS1D_bEUljE0_EEESW_SX_SY_S15_S19_S1B_T6_T7_T9_mT8_S1D_bDpT10_ENKUlT_T0_E_clISt17integral_constantIbLb1EES1R_EEDaS1M_S1N_EUlS1M_E_NS1_11comp_targetILNS1_3genE5ELNS1_11target_archE942ELNS1_3gpuE9ELNS1_3repE0EEENS1_30default_config_static_selectorELNS0_4arch9wavefront6targetE0EEEvSZ_.uses_vcc, 0
	.set _ZN7rocprim17ROCPRIM_400000_NS6detail17trampoline_kernelINS0_13select_configILj256ELj13ELNS0_17block_load_methodE3ELS4_3ELS4_3ELNS0_20block_scan_algorithmE0ELj4294967295EEENS1_25partition_config_selectorILNS1_17partition_subalgoE4EjNS0_10empty_typeEbEEZZNS1_14partition_implILS8_4ELb0ES6_15HIP_vector_typeIjLj2EENS0_17counting_iteratorIjlEEPS9_SG_NS0_5tupleIJPjSI_NS0_16reverse_iteratorISI_EEEEENSH_IJSG_SG_SG_EEES9_SI_JZNS1_25segmented_radix_sort_implINS0_14default_configELb0EPKlPlSQ_SR_N2at6native12_GLOBAL__N_18offset_tEEE10hipError_tPvRmT1_PNSt15iterator_traitsISZ_E10value_typeET2_T3_PNS10_IS15_E10value_typeET4_jRbjT5_S1B_jjP12ihipStream_tbEUljE_ZNSN_ISO_Lb0ESQ_SR_SQ_SR_SV_EESW_SX_SY_SZ_S13_S14_S15_S18_S19_jS1A_jS1B_S1B_jjS1D_bEUljE0_EEESW_SX_SY_S15_S19_S1B_T6_T7_T9_mT8_S1D_bDpT10_ENKUlT_T0_E_clISt17integral_constantIbLb1EES1R_EEDaS1M_S1N_EUlS1M_E_NS1_11comp_targetILNS1_3genE5ELNS1_11target_archE942ELNS1_3gpuE9ELNS1_3repE0EEENS1_30default_config_static_selectorELNS0_4arch9wavefront6targetE0EEEvSZ_.uses_flat_scratch, 0
	.set _ZN7rocprim17ROCPRIM_400000_NS6detail17trampoline_kernelINS0_13select_configILj256ELj13ELNS0_17block_load_methodE3ELS4_3ELS4_3ELNS0_20block_scan_algorithmE0ELj4294967295EEENS1_25partition_config_selectorILNS1_17partition_subalgoE4EjNS0_10empty_typeEbEEZZNS1_14partition_implILS8_4ELb0ES6_15HIP_vector_typeIjLj2EENS0_17counting_iteratorIjlEEPS9_SG_NS0_5tupleIJPjSI_NS0_16reverse_iteratorISI_EEEEENSH_IJSG_SG_SG_EEES9_SI_JZNS1_25segmented_radix_sort_implINS0_14default_configELb0EPKlPlSQ_SR_N2at6native12_GLOBAL__N_18offset_tEEE10hipError_tPvRmT1_PNSt15iterator_traitsISZ_E10value_typeET2_T3_PNS10_IS15_E10value_typeET4_jRbjT5_S1B_jjP12ihipStream_tbEUljE_ZNSN_ISO_Lb0ESQ_SR_SQ_SR_SV_EESW_SX_SY_SZ_S13_S14_S15_S18_S19_jS1A_jS1B_S1B_jjS1D_bEUljE0_EEESW_SX_SY_S15_S19_S1B_T6_T7_T9_mT8_S1D_bDpT10_ENKUlT_T0_E_clISt17integral_constantIbLb1EES1R_EEDaS1M_S1N_EUlS1M_E_NS1_11comp_targetILNS1_3genE5ELNS1_11target_archE942ELNS1_3gpuE9ELNS1_3repE0EEENS1_30default_config_static_selectorELNS0_4arch9wavefront6targetE0EEEvSZ_.has_dyn_sized_stack, 0
	.set _ZN7rocprim17ROCPRIM_400000_NS6detail17trampoline_kernelINS0_13select_configILj256ELj13ELNS0_17block_load_methodE3ELS4_3ELS4_3ELNS0_20block_scan_algorithmE0ELj4294967295EEENS1_25partition_config_selectorILNS1_17partition_subalgoE4EjNS0_10empty_typeEbEEZZNS1_14partition_implILS8_4ELb0ES6_15HIP_vector_typeIjLj2EENS0_17counting_iteratorIjlEEPS9_SG_NS0_5tupleIJPjSI_NS0_16reverse_iteratorISI_EEEEENSH_IJSG_SG_SG_EEES9_SI_JZNS1_25segmented_radix_sort_implINS0_14default_configELb0EPKlPlSQ_SR_N2at6native12_GLOBAL__N_18offset_tEEE10hipError_tPvRmT1_PNSt15iterator_traitsISZ_E10value_typeET2_T3_PNS10_IS15_E10value_typeET4_jRbjT5_S1B_jjP12ihipStream_tbEUljE_ZNSN_ISO_Lb0ESQ_SR_SQ_SR_SV_EESW_SX_SY_SZ_S13_S14_S15_S18_S19_jS1A_jS1B_S1B_jjS1D_bEUljE0_EEESW_SX_SY_S15_S19_S1B_T6_T7_T9_mT8_S1D_bDpT10_ENKUlT_T0_E_clISt17integral_constantIbLb1EES1R_EEDaS1M_S1N_EUlS1M_E_NS1_11comp_targetILNS1_3genE5ELNS1_11target_archE942ELNS1_3gpuE9ELNS1_3repE0EEENS1_30default_config_static_selectorELNS0_4arch9wavefront6targetE0EEEvSZ_.has_recursion, 0
	.set _ZN7rocprim17ROCPRIM_400000_NS6detail17trampoline_kernelINS0_13select_configILj256ELj13ELNS0_17block_load_methodE3ELS4_3ELS4_3ELNS0_20block_scan_algorithmE0ELj4294967295EEENS1_25partition_config_selectorILNS1_17partition_subalgoE4EjNS0_10empty_typeEbEEZZNS1_14partition_implILS8_4ELb0ES6_15HIP_vector_typeIjLj2EENS0_17counting_iteratorIjlEEPS9_SG_NS0_5tupleIJPjSI_NS0_16reverse_iteratorISI_EEEEENSH_IJSG_SG_SG_EEES9_SI_JZNS1_25segmented_radix_sort_implINS0_14default_configELb0EPKlPlSQ_SR_N2at6native12_GLOBAL__N_18offset_tEEE10hipError_tPvRmT1_PNSt15iterator_traitsISZ_E10value_typeET2_T3_PNS10_IS15_E10value_typeET4_jRbjT5_S1B_jjP12ihipStream_tbEUljE_ZNSN_ISO_Lb0ESQ_SR_SQ_SR_SV_EESW_SX_SY_SZ_S13_S14_S15_S18_S19_jS1A_jS1B_S1B_jjS1D_bEUljE0_EEESW_SX_SY_S15_S19_S1B_T6_T7_T9_mT8_S1D_bDpT10_ENKUlT_T0_E_clISt17integral_constantIbLb1EES1R_EEDaS1M_S1N_EUlS1M_E_NS1_11comp_targetILNS1_3genE5ELNS1_11target_archE942ELNS1_3gpuE9ELNS1_3repE0EEENS1_30default_config_static_selectorELNS0_4arch9wavefront6targetE0EEEvSZ_.has_indirect_call, 0
	.section	.AMDGPU.csdata,"",@progbits
; Kernel info:
; codeLenInByte = 0
; TotalNumSgprs: 0
; NumVgprs: 0
; ScratchSize: 0
; MemoryBound: 0
; FloatMode: 240
; IeeeMode: 1
; LDSByteSize: 0 bytes/workgroup (compile time only)
; SGPRBlocks: 0
; VGPRBlocks: 0
; NumSGPRsForWavesPerEU: 1
; NumVGPRsForWavesPerEU: 1
; Occupancy: 16
; WaveLimiterHint : 0
; COMPUTE_PGM_RSRC2:SCRATCH_EN: 0
; COMPUTE_PGM_RSRC2:USER_SGPR: 2
; COMPUTE_PGM_RSRC2:TRAP_HANDLER: 0
; COMPUTE_PGM_RSRC2:TGID_X_EN: 1
; COMPUTE_PGM_RSRC2:TGID_Y_EN: 0
; COMPUTE_PGM_RSRC2:TGID_Z_EN: 0
; COMPUTE_PGM_RSRC2:TIDIG_COMP_CNT: 0
	.section	.text._ZN7rocprim17ROCPRIM_400000_NS6detail17trampoline_kernelINS0_13select_configILj256ELj13ELNS0_17block_load_methodE3ELS4_3ELS4_3ELNS0_20block_scan_algorithmE0ELj4294967295EEENS1_25partition_config_selectorILNS1_17partition_subalgoE4EjNS0_10empty_typeEbEEZZNS1_14partition_implILS8_4ELb0ES6_15HIP_vector_typeIjLj2EENS0_17counting_iteratorIjlEEPS9_SG_NS0_5tupleIJPjSI_NS0_16reverse_iteratorISI_EEEEENSH_IJSG_SG_SG_EEES9_SI_JZNS1_25segmented_radix_sort_implINS0_14default_configELb0EPKlPlSQ_SR_N2at6native12_GLOBAL__N_18offset_tEEE10hipError_tPvRmT1_PNSt15iterator_traitsISZ_E10value_typeET2_T3_PNS10_IS15_E10value_typeET4_jRbjT5_S1B_jjP12ihipStream_tbEUljE_ZNSN_ISO_Lb0ESQ_SR_SQ_SR_SV_EESW_SX_SY_SZ_S13_S14_S15_S18_S19_jS1A_jS1B_S1B_jjS1D_bEUljE0_EEESW_SX_SY_S15_S19_S1B_T6_T7_T9_mT8_S1D_bDpT10_ENKUlT_T0_E_clISt17integral_constantIbLb1EES1R_EEDaS1M_S1N_EUlS1M_E_NS1_11comp_targetILNS1_3genE4ELNS1_11target_archE910ELNS1_3gpuE8ELNS1_3repE0EEENS1_30default_config_static_selectorELNS0_4arch9wavefront6targetE0EEEvSZ_,"axG",@progbits,_ZN7rocprim17ROCPRIM_400000_NS6detail17trampoline_kernelINS0_13select_configILj256ELj13ELNS0_17block_load_methodE3ELS4_3ELS4_3ELNS0_20block_scan_algorithmE0ELj4294967295EEENS1_25partition_config_selectorILNS1_17partition_subalgoE4EjNS0_10empty_typeEbEEZZNS1_14partition_implILS8_4ELb0ES6_15HIP_vector_typeIjLj2EENS0_17counting_iteratorIjlEEPS9_SG_NS0_5tupleIJPjSI_NS0_16reverse_iteratorISI_EEEEENSH_IJSG_SG_SG_EEES9_SI_JZNS1_25segmented_radix_sort_implINS0_14default_configELb0EPKlPlSQ_SR_N2at6native12_GLOBAL__N_18offset_tEEE10hipError_tPvRmT1_PNSt15iterator_traitsISZ_E10value_typeET2_T3_PNS10_IS15_E10value_typeET4_jRbjT5_S1B_jjP12ihipStream_tbEUljE_ZNSN_ISO_Lb0ESQ_SR_SQ_SR_SV_EESW_SX_SY_SZ_S13_S14_S15_S18_S19_jS1A_jS1B_S1B_jjS1D_bEUljE0_EEESW_SX_SY_S15_S19_S1B_T6_T7_T9_mT8_S1D_bDpT10_ENKUlT_T0_E_clISt17integral_constantIbLb1EES1R_EEDaS1M_S1N_EUlS1M_E_NS1_11comp_targetILNS1_3genE4ELNS1_11target_archE910ELNS1_3gpuE8ELNS1_3repE0EEENS1_30default_config_static_selectorELNS0_4arch9wavefront6targetE0EEEvSZ_,comdat
	.globl	_ZN7rocprim17ROCPRIM_400000_NS6detail17trampoline_kernelINS0_13select_configILj256ELj13ELNS0_17block_load_methodE3ELS4_3ELS4_3ELNS0_20block_scan_algorithmE0ELj4294967295EEENS1_25partition_config_selectorILNS1_17partition_subalgoE4EjNS0_10empty_typeEbEEZZNS1_14partition_implILS8_4ELb0ES6_15HIP_vector_typeIjLj2EENS0_17counting_iteratorIjlEEPS9_SG_NS0_5tupleIJPjSI_NS0_16reverse_iteratorISI_EEEEENSH_IJSG_SG_SG_EEES9_SI_JZNS1_25segmented_radix_sort_implINS0_14default_configELb0EPKlPlSQ_SR_N2at6native12_GLOBAL__N_18offset_tEEE10hipError_tPvRmT1_PNSt15iterator_traitsISZ_E10value_typeET2_T3_PNS10_IS15_E10value_typeET4_jRbjT5_S1B_jjP12ihipStream_tbEUljE_ZNSN_ISO_Lb0ESQ_SR_SQ_SR_SV_EESW_SX_SY_SZ_S13_S14_S15_S18_S19_jS1A_jS1B_S1B_jjS1D_bEUljE0_EEESW_SX_SY_S15_S19_S1B_T6_T7_T9_mT8_S1D_bDpT10_ENKUlT_T0_E_clISt17integral_constantIbLb1EES1R_EEDaS1M_S1N_EUlS1M_E_NS1_11comp_targetILNS1_3genE4ELNS1_11target_archE910ELNS1_3gpuE8ELNS1_3repE0EEENS1_30default_config_static_selectorELNS0_4arch9wavefront6targetE0EEEvSZ_ ; -- Begin function _ZN7rocprim17ROCPRIM_400000_NS6detail17trampoline_kernelINS0_13select_configILj256ELj13ELNS0_17block_load_methodE3ELS4_3ELS4_3ELNS0_20block_scan_algorithmE0ELj4294967295EEENS1_25partition_config_selectorILNS1_17partition_subalgoE4EjNS0_10empty_typeEbEEZZNS1_14partition_implILS8_4ELb0ES6_15HIP_vector_typeIjLj2EENS0_17counting_iteratorIjlEEPS9_SG_NS0_5tupleIJPjSI_NS0_16reverse_iteratorISI_EEEEENSH_IJSG_SG_SG_EEES9_SI_JZNS1_25segmented_radix_sort_implINS0_14default_configELb0EPKlPlSQ_SR_N2at6native12_GLOBAL__N_18offset_tEEE10hipError_tPvRmT1_PNSt15iterator_traitsISZ_E10value_typeET2_T3_PNS10_IS15_E10value_typeET4_jRbjT5_S1B_jjP12ihipStream_tbEUljE_ZNSN_ISO_Lb0ESQ_SR_SQ_SR_SV_EESW_SX_SY_SZ_S13_S14_S15_S18_S19_jS1A_jS1B_S1B_jjS1D_bEUljE0_EEESW_SX_SY_S15_S19_S1B_T6_T7_T9_mT8_S1D_bDpT10_ENKUlT_T0_E_clISt17integral_constantIbLb1EES1R_EEDaS1M_S1N_EUlS1M_E_NS1_11comp_targetILNS1_3genE4ELNS1_11target_archE910ELNS1_3gpuE8ELNS1_3repE0EEENS1_30default_config_static_selectorELNS0_4arch9wavefront6targetE0EEEvSZ_
	.p2align	8
	.type	_ZN7rocprim17ROCPRIM_400000_NS6detail17trampoline_kernelINS0_13select_configILj256ELj13ELNS0_17block_load_methodE3ELS4_3ELS4_3ELNS0_20block_scan_algorithmE0ELj4294967295EEENS1_25partition_config_selectorILNS1_17partition_subalgoE4EjNS0_10empty_typeEbEEZZNS1_14partition_implILS8_4ELb0ES6_15HIP_vector_typeIjLj2EENS0_17counting_iteratorIjlEEPS9_SG_NS0_5tupleIJPjSI_NS0_16reverse_iteratorISI_EEEEENSH_IJSG_SG_SG_EEES9_SI_JZNS1_25segmented_radix_sort_implINS0_14default_configELb0EPKlPlSQ_SR_N2at6native12_GLOBAL__N_18offset_tEEE10hipError_tPvRmT1_PNSt15iterator_traitsISZ_E10value_typeET2_T3_PNS10_IS15_E10value_typeET4_jRbjT5_S1B_jjP12ihipStream_tbEUljE_ZNSN_ISO_Lb0ESQ_SR_SQ_SR_SV_EESW_SX_SY_SZ_S13_S14_S15_S18_S19_jS1A_jS1B_S1B_jjS1D_bEUljE0_EEESW_SX_SY_S15_S19_S1B_T6_T7_T9_mT8_S1D_bDpT10_ENKUlT_T0_E_clISt17integral_constantIbLb1EES1R_EEDaS1M_S1N_EUlS1M_E_NS1_11comp_targetILNS1_3genE4ELNS1_11target_archE910ELNS1_3gpuE8ELNS1_3repE0EEENS1_30default_config_static_selectorELNS0_4arch9wavefront6targetE0EEEvSZ_,@function
_ZN7rocprim17ROCPRIM_400000_NS6detail17trampoline_kernelINS0_13select_configILj256ELj13ELNS0_17block_load_methodE3ELS4_3ELS4_3ELNS0_20block_scan_algorithmE0ELj4294967295EEENS1_25partition_config_selectorILNS1_17partition_subalgoE4EjNS0_10empty_typeEbEEZZNS1_14partition_implILS8_4ELb0ES6_15HIP_vector_typeIjLj2EENS0_17counting_iteratorIjlEEPS9_SG_NS0_5tupleIJPjSI_NS0_16reverse_iteratorISI_EEEEENSH_IJSG_SG_SG_EEES9_SI_JZNS1_25segmented_radix_sort_implINS0_14default_configELb0EPKlPlSQ_SR_N2at6native12_GLOBAL__N_18offset_tEEE10hipError_tPvRmT1_PNSt15iterator_traitsISZ_E10value_typeET2_T3_PNS10_IS15_E10value_typeET4_jRbjT5_S1B_jjP12ihipStream_tbEUljE_ZNSN_ISO_Lb0ESQ_SR_SQ_SR_SV_EESW_SX_SY_SZ_S13_S14_S15_S18_S19_jS1A_jS1B_S1B_jjS1D_bEUljE0_EEESW_SX_SY_S15_S19_S1B_T6_T7_T9_mT8_S1D_bDpT10_ENKUlT_T0_E_clISt17integral_constantIbLb1EES1R_EEDaS1M_S1N_EUlS1M_E_NS1_11comp_targetILNS1_3genE4ELNS1_11target_archE910ELNS1_3gpuE8ELNS1_3repE0EEENS1_30default_config_static_selectorELNS0_4arch9wavefront6targetE0EEEvSZ_: ; @_ZN7rocprim17ROCPRIM_400000_NS6detail17trampoline_kernelINS0_13select_configILj256ELj13ELNS0_17block_load_methodE3ELS4_3ELS4_3ELNS0_20block_scan_algorithmE0ELj4294967295EEENS1_25partition_config_selectorILNS1_17partition_subalgoE4EjNS0_10empty_typeEbEEZZNS1_14partition_implILS8_4ELb0ES6_15HIP_vector_typeIjLj2EENS0_17counting_iteratorIjlEEPS9_SG_NS0_5tupleIJPjSI_NS0_16reverse_iteratorISI_EEEEENSH_IJSG_SG_SG_EEES9_SI_JZNS1_25segmented_radix_sort_implINS0_14default_configELb0EPKlPlSQ_SR_N2at6native12_GLOBAL__N_18offset_tEEE10hipError_tPvRmT1_PNSt15iterator_traitsISZ_E10value_typeET2_T3_PNS10_IS15_E10value_typeET4_jRbjT5_S1B_jjP12ihipStream_tbEUljE_ZNSN_ISO_Lb0ESQ_SR_SQ_SR_SV_EESW_SX_SY_SZ_S13_S14_S15_S18_S19_jS1A_jS1B_S1B_jjS1D_bEUljE0_EEESW_SX_SY_S15_S19_S1B_T6_T7_T9_mT8_S1D_bDpT10_ENKUlT_T0_E_clISt17integral_constantIbLb1EES1R_EEDaS1M_S1N_EUlS1M_E_NS1_11comp_targetILNS1_3genE4ELNS1_11target_archE910ELNS1_3gpuE8ELNS1_3repE0EEENS1_30default_config_static_selectorELNS0_4arch9wavefront6targetE0EEEvSZ_
; %bb.0:
	.section	.rodata,"a",@progbits
	.p2align	6, 0x0
	.amdhsa_kernel _ZN7rocprim17ROCPRIM_400000_NS6detail17trampoline_kernelINS0_13select_configILj256ELj13ELNS0_17block_load_methodE3ELS4_3ELS4_3ELNS0_20block_scan_algorithmE0ELj4294967295EEENS1_25partition_config_selectorILNS1_17partition_subalgoE4EjNS0_10empty_typeEbEEZZNS1_14partition_implILS8_4ELb0ES6_15HIP_vector_typeIjLj2EENS0_17counting_iteratorIjlEEPS9_SG_NS0_5tupleIJPjSI_NS0_16reverse_iteratorISI_EEEEENSH_IJSG_SG_SG_EEES9_SI_JZNS1_25segmented_radix_sort_implINS0_14default_configELb0EPKlPlSQ_SR_N2at6native12_GLOBAL__N_18offset_tEEE10hipError_tPvRmT1_PNSt15iterator_traitsISZ_E10value_typeET2_T3_PNS10_IS15_E10value_typeET4_jRbjT5_S1B_jjP12ihipStream_tbEUljE_ZNSN_ISO_Lb0ESQ_SR_SQ_SR_SV_EESW_SX_SY_SZ_S13_S14_S15_S18_S19_jS1A_jS1B_S1B_jjS1D_bEUljE0_EEESW_SX_SY_S15_S19_S1B_T6_T7_T9_mT8_S1D_bDpT10_ENKUlT_T0_E_clISt17integral_constantIbLb1EES1R_EEDaS1M_S1N_EUlS1M_E_NS1_11comp_targetILNS1_3genE4ELNS1_11target_archE910ELNS1_3gpuE8ELNS1_3repE0EEENS1_30default_config_static_selectorELNS0_4arch9wavefront6targetE0EEEvSZ_
		.amdhsa_group_segment_fixed_size 0
		.amdhsa_private_segment_fixed_size 0
		.amdhsa_kernarg_size 184
		.amdhsa_user_sgpr_count 2
		.amdhsa_user_sgpr_dispatch_ptr 0
		.amdhsa_user_sgpr_queue_ptr 0
		.amdhsa_user_sgpr_kernarg_segment_ptr 1
		.amdhsa_user_sgpr_dispatch_id 0
		.amdhsa_user_sgpr_private_segment_size 0
		.amdhsa_wavefront_size32 1
		.amdhsa_uses_dynamic_stack 0
		.amdhsa_enable_private_segment 0
		.amdhsa_system_sgpr_workgroup_id_x 1
		.amdhsa_system_sgpr_workgroup_id_y 0
		.amdhsa_system_sgpr_workgroup_id_z 0
		.amdhsa_system_sgpr_workgroup_info 0
		.amdhsa_system_vgpr_workitem_id 0
		.amdhsa_next_free_vgpr 1
		.amdhsa_next_free_sgpr 1
		.amdhsa_reserve_vcc 0
		.amdhsa_float_round_mode_32 0
		.amdhsa_float_round_mode_16_64 0
		.amdhsa_float_denorm_mode_32 3
		.amdhsa_float_denorm_mode_16_64 3
		.amdhsa_fp16_overflow 0
		.amdhsa_workgroup_processor_mode 1
		.amdhsa_memory_ordered 1
		.amdhsa_forward_progress 1
		.amdhsa_inst_pref_size 0
		.amdhsa_round_robin_scheduling 0
		.amdhsa_exception_fp_ieee_invalid_op 0
		.amdhsa_exception_fp_denorm_src 0
		.amdhsa_exception_fp_ieee_div_zero 0
		.amdhsa_exception_fp_ieee_overflow 0
		.amdhsa_exception_fp_ieee_underflow 0
		.amdhsa_exception_fp_ieee_inexact 0
		.amdhsa_exception_int_div_zero 0
	.end_amdhsa_kernel
	.section	.text._ZN7rocprim17ROCPRIM_400000_NS6detail17trampoline_kernelINS0_13select_configILj256ELj13ELNS0_17block_load_methodE3ELS4_3ELS4_3ELNS0_20block_scan_algorithmE0ELj4294967295EEENS1_25partition_config_selectorILNS1_17partition_subalgoE4EjNS0_10empty_typeEbEEZZNS1_14partition_implILS8_4ELb0ES6_15HIP_vector_typeIjLj2EENS0_17counting_iteratorIjlEEPS9_SG_NS0_5tupleIJPjSI_NS0_16reverse_iteratorISI_EEEEENSH_IJSG_SG_SG_EEES9_SI_JZNS1_25segmented_radix_sort_implINS0_14default_configELb0EPKlPlSQ_SR_N2at6native12_GLOBAL__N_18offset_tEEE10hipError_tPvRmT1_PNSt15iterator_traitsISZ_E10value_typeET2_T3_PNS10_IS15_E10value_typeET4_jRbjT5_S1B_jjP12ihipStream_tbEUljE_ZNSN_ISO_Lb0ESQ_SR_SQ_SR_SV_EESW_SX_SY_SZ_S13_S14_S15_S18_S19_jS1A_jS1B_S1B_jjS1D_bEUljE0_EEESW_SX_SY_S15_S19_S1B_T6_T7_T9_mT8_S1D_bDpT10_ENKUlT_T0_E_clISt17integral_constantIbLb1EES1R_EEDaS1M_S1N_EUlS1M_E_NS1_11comp_targetILNS1_3genE4ELNS1_11target_archE910ELNS1_3gpuE8ELNS1_3repE0EEENS1_30default_config_static_selectorELNS0_4arch9wavefront6targetE0EEEvSZ_,"axG",@progbits,_ZN7rocprim17ROCPRIM_400000_NS6detail17trampoline_kernelINS0_13select_configILj256ELj13ELNS0_17block_load_methodE3ELS4_3ELS4_3ELNS0_20block_scan_algorithmE0ELj4294967295EEENS1_25partition_config_selectorILNS1_17partition_subalgoE4EjNS0_10empty_typeEbEEZZNS1_14partition_implILS8_4ELb0ES6_15HIP_vector_typeIjLj2EENS0_17counting_iteratorIjlEEPS9_SG_NS0_5tupleIJPjSI_NS0_16reverse_iteratorISI_EEEEENSH_IJSG_SG_SG_EEES9_SI_JZNS1_25segmented_radix_sort_implINS0_14default_configELb0EPKlPlSQ_SR_N2at6native12_GLOBAL__N_18offset_tEEE10hipError_tPvRmT1_PNSt15iterator_traitsISZ_E10value_typeET2_T3_PNS10_IS15_E10value_typeET4_jRbjT5_S1B_jjP12ihipStream_tbEUljE_ZNSN_ISO_Lb0ESQ_SR_SQ_SR_SV_EESW_SX_SY_SZ_S13_S14_S15_S18_S19_jS1A_jS1B_S1B_jjS1D_bEUljE0_EEESW_SX_SY_S15_S19_S1B_T6_T7_T9_mT8_S1D_bDpT10_ENKUlT_T0_E_clISt17integral_constantIbLb1EES1R_EEDaS1M_S1N_EUlS1M_E_NS1_11comp_targetILNS1_3genE4ELNS1_11target_archE910ELNS1_3gpuE8ELNS1_3repE0EEENS1_30default_config_static_selectorELNS0_4arch9wavefront6targetE0EEEvSZ_,comdat
.Lfunc_end753:
	.size	_ZN7rocprim17ROCPRIM_400000_NS6detail17trampoline_kernelINS0_13select_configILj256ELj13ELNS0_17block_load_methodE3ELS4_3ELS4_3ELNS0_20block_scan_algorithmE0ELj4294967295EEENS1_25partition_config_selectorILNS1_17partition_subalgoE4EjNS0_10empty_typeEbEEZZNS1_14partition_implILS8_4ELb0ES6_15HIP_vector_typeIjLj2EENS0_17counting_iteratorIjlEEPS9_SG_NS0_5tupleIJPjSI_NS0_16reverse_iteratorISI_EEEEENSH_IJSG_SG_SG_EEES9_SI_JZNS1_25segmented_radix_sort_implINS0_14default_configELb0EPKlPlSQ_SR_N2at6native12_GLOBAL__N_18offset_tEEE10hipError_tPvRmT1_PNSt15iterator_traitsISZ_E10value_typeET2_T3_PNS10_IS15_E10value_typeET4_jRbjT5_S1B_jjP12ihipStream_tbEUljE_ZNSN_ISO_Lb0ESQ_SR_SQ_SR_SV_EESW_SX_SY_SZ_S13_S14_S15_S18_S19_jS1A_jS1B_S1B_jjS1D_bEUljE0_EEESW_SX_SY_S15_S19_S1B_T6_T7_T9_mT8_S1D_bDpT10_ENKUlT_T0_E_clISt17integral_constantIbLb1EES1R_EEDaS1M_S1N_EUlS1M_E_NS1_11comp_targetILNS1_3genE4ELNS1_11target_archE910ELNS1_3gpuE8ELNS1_3repE0EEENS1_30default_config_static_selectorELNS0_4arch9wavefront6targetE0EEEvSZ_, .Lfunc_end753-_ZN7rocprim17ROCPRIM_400000_NS6detail17trampoline_kernelINS0_13select_configILj256ELj13ELNS0_17block_load_methodE3ELS4_3ELS4_3ELNS0_20block_scan_algorithmE0ELj4294967295EEENS1_25partition_config_selectorILNS1_17partition_subalgoE4EjNS0_10empty_typeEbEEZZNS1_14partition_implILS8_4ELb0ES6_15HIP_vector_typeIjLj2EENS0_17counting_iteratorIjlEEPS9_SG_NS0_5tupleIJPjSI_NS0_16reverse_iteratorISI_EEEEENSH_IJSG_SG_SG_EEES9_SI_JZNS1_25segmented_radix_sort_implINS0_14default_configELb0EPKlPlSQ_SR_N2at6native12_GLOBAL__N_18offset_tEEE10hipError_tPvRmT1_PNSt15iterator_traitsISZ_E10value_typeET2_T3_PNS10_IS15_E10value_typeET4_jRbjT5_S1B_jjP12ihipStream_tbEUljE_ZNSN_ISO_Lb0ESQ_SR_SQ_SR_SV_EESW_SX_SY_SZ_S13_S14_S15_S18_S19_jS1A_jS1B_S1B_jjS1D_bEUljE0_EEESW_SX_SY_S15_S19_S1B_T6_T7_T9_mT8_S1D_bDpT10_ENKUlT_T0_E_clISt17integral_constantIbLb1EES1R_EEDaS1M_S1N_EUlS1M_E_NS1_11comp_targetILNS1_3genE4ELNS1_11target_archE910ELNS1_3gpuE8ELNS1_3repE0EEENS1_30default_config_static_selectorELNS0_4arch9wavefront6targetE0EEEvSZ_
                                        ; -- End function
	.set _ZN7rocprim17ROCPRIM_400000_NS6detail17trampoline_kernelINS0_13select_configILj256ELj13ELNS0_17block_load_methodE3ELS4_3ELS4_3ELNS0_20block_scan_algorithmE0ELj4294967295EEENS1_25partition_config_selectorILNS1_17partition_subalgoE4EjNS0_10empty_typeEbEEZZNS1_14partition_implILS8_4ELb0ES6_15HIP_vector_typeIjLj2EENS0_17counting_iteratorIjlEEPS9_SG_NS0_5tupleIJPjSI_NS0_16reverse_iteratorISI_EEEEENSH_IJSG_SG_SG_EEES9_SI_JZNS1_25segmented_radix_sort_implINS0_14default_configELb0EPKlPlSQ_SR_N2at6native12_GLOBAL__N_18offset_tEEE10hipError_tPvRmT1_PNSt15iterator_traitsISZ_E10value_typeET2_T3_PNS10_IS15_E10value_typeET4_jRbjT5_S1B_jjP12ihipStream_tbEUljE_ZNSN_ISO_Lb0ESQ_SR_SQ_SR_SV_EESW_SX_SY_SZ_S13_S14_S15_S18_S19_jS1A_jS1B_S1B_jjS1D_bEUljE0_EEESW_SX_SY_S15_S19_S1B_T6_T7_T9_mT8_S1D_bDpT10_ENKUlT_T0_E_clISt17integral_constantIbLb1EES1R_EEDaS1M_S1N_EUlS1M_E_NS1_11comp_targetILNS1_3genE4ELNS1_11target_archE910ELNS1_3gpuE8ELNS1_3repE0EEENS1_30default_config_static_selectorELNS0_4arch9wavefront6targetE0EEEvSZ_.num_vgpr, 0
	.set _ZN7rocprim17ROCPRIM_400000_NS6detail17trampoline_kernelINS0_13select_configILj256ELj13ELNS0_17block_load_methodE3ELS4_3ELS4_3ELNS0_20block_scan_algorithmE0ELj4294967295EEENS1_25partition_config_selectorILNS1_17partition_subalgoE4EjNS0_10empty_typeEbEEZZNS1_14partition_implILS8_4ELb0ES6_15HIP_vector_typeIjLj2EENS0_17counting_iteratorIjlEEPS9_SG_NS0_5tupleIJPjSI_NS0_16reverse_iteratorISI_EEEEENSH_IJSG_SG_SG_EEES9_SI_JZNS1_25segmented_radix_sort_implINS0_14default_configELb0EPKlPlSQ_SR_N2at6native12_GLOBAL__N_18offset_tEEE10hipError_tPvRmT1_PNSt15iterator_traitsISZ_E10value_typeET2_T3_PNS10_IS15_E10value_typeET4_jRbjT5_S1B_jjP12ihipStream_tbEUljE_ZNSN_ISO_Lb0ESQ_SR_SQ_SR_SV_EESW_SX_SY_SZ_S13_S14_S15_S18_S19_jS1A_jS1B_S1B_jjS1D_bEUljE0_EEESW_SX_SY_S15_S19_S1B_T6_T7_T9_mT8_S1D_bDpT10_ENKUlT_T0_E_clISt17integral_constantIbLb1EES1R_EEDaS1M_S1N_EUlS1M_E_NS1_11comp_targetILNS1_3genE4ELNS1_11target_archE910ELNS1_3gpuE8ELNS1_3repE0EEENS1_30default_config_static_selectorELNS0_4arch9wavefront6targetE0EEEvSZ_.num_agpr, 0
	.set _ZN7rocprim17ROCPRIM_400000_NS6detail17trampoline_kernelINS0_13select_configILj256ELj13ELNS0_17block_load_methodE3ELS4_3ELS4_3ELNS0_20block_scan_algorithmE0ELj4294967295EEENS1_25partition_config_selectorILNS1_17partition_subalgoE4EjNS0_10empty_typeEbEEZZNS1_14partition_implILS8_4ELb0ES6_15HIP_vector_typeIjLj2EENS0_17counting_iteratorIjlEEPS9_SG_NS0_5tupleIJPjSI_NS0_16reverse_iteratorISI_EEEEENSH_IJSG_SG_SG_EEES9_SI_JZNS1_25segmented_radix_sort_implINS0_14default_configELb0EPKlPlSQ_SR_N2at6native12_GLOBAL__N_18offset_tEEE10hipError_tPvRmT1_PNSt15iterator_traitsISZ_E10value_typeET2_T3_PNS10_IS15_E10value_typeET4_jRbjT5_S1B_jjP12ihipStream_tbEUljE_ZNSN_ISO_Lb0ESQ_SR_SQ_SR_SV_EESW_SX_SY_SZ_S13_S14_S15_S18_S19_jS1A_jS1B_S1B_jjS1D_bEUljE0_EEESW_SX_SY_S15_S19_S1B_T6_T7_T9_mT8_S1D_bDpT10_ENKUlT_T0_E_clISt17integral_constantIbLb1EES1R_EEDaS1M_S1N_EUlS1M_E_NS1_11comp_targetILNS1_3genE4ELNS1_11target_archE910ELNS1_3gpuE8ELNS1_3repE0EEENS1_30default_config_static_selectorELNS0_4arch9wavefront6targetE0EEEvSZ_.numbered_sgpr, 0
	.set _ZN7rocprim17ROCPRIM_400000_NS6detail17trampoline_kernelINS0_13select_configILj256ELj13ELNS0_17block_load_methodE3ELS4_3ELS4_3ELNS0_20block_scan_algorithmE0ELj4294967295EEENS1_25partition_config_selectorILNS1_17partition_subalgoE4EjNS0_10empty_typeEbEEZZNS1_14partition_implILS8_4ELb0ES6_15HIP_vector_typeIjLj2EENS0_17counting_iteratorIjlEEPS9_SG_NS0_5tupleIJPjSI_NS0_16reverse_iteratorISI_EEEEENSH_IJSG_SG_SG_EEES9_SI_JZNS1_25segmented_radix_sort_implINS0_14default_configELb0EPKlPlSQ_SR_N2at6native12_GLOBAL__N_18offset_tEEE10hipError_tPvRmT1_PNSt15iterator_traitsISZ_E10value_typeET2_T3_PNS10_IS15_E10value_typeET4_jRbjT5_S1B_jjP12ihipStream_tbEUljE_ZNSN_ISO_Lb0ESQ_SR_SQ_SR_SV_EESW_SX_SY_SZ_S13_S14_S15_S18_S19_jS1A_jS1B_S1B_jjS1D_bEUljE0_EEESW_SX_SY_S15_S19_S1B_T6_T7_T9_mT8_S1D_bDpT10_ENKUlT_T0_E_clISt17integral_constantIbLb1EES1R_EEDaS1M_S1N_EUlS1M_E_NS1_11comp_targetILNS1_3genE4ELNS1_11target_archE910ELNS1_3gpuE8ELNS1_3repE0EEENS1_30default_config_static_selectorELNS0_4arch9wavefront6targetE0EEEvSZ_.num_named_barrier, 0
	.set _ZN7rocprim17ROCPRIM_400000_NS6detail17trampoline_kernelINS0_13select_configILj256ELj13ELNS0_17block_load_methodE3ELS4_3ELS4_3ELNS0_20block_scan_algorithmE0ELj4294967295EEENS1_25partition_config_selectorILNS1_17partition_subalgoE4EjNS0_10empty_typeEbEEZZNS1_14partition_implILS8_4ELb0ES6_15HIP_vector_typeIjLj2EENS0_17counting_iteratorIjlEEPS9_SG_NS0_5tupleIJPjSI_NS0_16reverse_iteratorISI_EEEEENSH_IJSG_SG_SG_EEES9_SI_JZNS1_25segmented_radix_sort_implINS0_14default_configELb0EPKlPlSQ_SR_N2at6native12_GLOBAL__N_18offset_tEEE10hipError_tPvRmT1_PNSt15iterator_traitsISZ_E10value_typeET2_T3_PNS10_IS15_E10value_typeET4_jRbjT5_S1B_jjP12ihipStream_tbEUljE_ZNSN_ISO_Lb0ESQ_SR_SQ_SR_SV_EESW_SX_SY_SZ_S13_S14_S15_S18_S19_jS1A_jS1B_S1B_jjS1D_bEUljE0_EEESW_SX_SY_S15_S19_S1B_T6_T7_T9_mT8_S1D_bDpT10_ENKUlT_T0_E_clISt17integral_constantIbLb1EES1R_EEDaS1M_S1N_EUlS1M_E_NS1_11comp_targetILNS1_3genE4ELNS1_11target_archE910ELNS1_3gpuE8ELNS1_3repE0EEENS1_30default_config_static_selectorELNS0_4arch9wavefront6targetE0EEEvSZ_.private_seg_size, 0
	.set _ZN7rocprim17ROCPRIM_400000_NS6detail17trampoline_kernelINS0_13select_configILj256ELj13ELNS0_17block_load_methodE3ELS4_3ELS4_3ELNS0_20block_scan_algorithmE0ELj4294967295EEENS1_25partition_config_selectorILNS1_17partition_subalgoE4EjNS0_10empty_typeEbEEZZNS1_14partition_implILS8_4ELb0ES6_15HIP_vector_typeIjLj2EENS0_17counting_iteratorIjlEEPS9_SG_NS0_5tupleIJPjSI_NS0_16reverse_iteratorISI_EEEEENSH_IJSG_SG_SG_EEES9_SI_JZNS1_25segmented_radix_sort_implINS0_14default_configELb0EPKlPlSQ_SR_N2at6native12_GLOBAL__N_18offset_tEEE10hipError_tPvRmT1_PNSt15iterator_traitsISZ_E10value_typeET2_T3_PNS10_IS15_E10value_typeET4_jRbjT5_S1B_jjP12ihipStream_tbEUljE_ZNSN_ISO_Lb0ESQ_SR_SQ_SR_SV_EESW_SX_SY_SZ_S13_S14_S15_S18_S19_jS1A_jS1B_S1B_jjS1D_bEUljE0_EEESW_SX_SY_S15_S19_S1B_T6_T7_T9_mT8_S1D_bDpT10_ENKUlT_T0_E_clISt17integral_constantIbLb1EES1R_EEDaS1M_S1N_EUlS1M_E_NS1_11comp_targetILNS1_3genE4ELNS1_11target_archE910ELNS1_3gpuE8ELNS1_3repE0EEENS1_30default_config_static_selectorELNS0_4arch9wavefront6targetE0EEEvSZ_.uses_vcc, 0
	.set _ZN7rocprim17ROCPRIM_400000_NS6detail17trampoline_kernelINS0_13select_configILj256ELj13ELNS0_17block_load_methodE3ELS4_3ELS4_3ELNS0_20block_scan_algorithmE0ELj4294967295EEENS1_25partition_config_selectorILNS1_17partition_subalgoE4EjNS0_10empty_typeEbEEZZNS1_14partition_implILS8_4ELb0ES6_15HIP_vector_typeIjLj2EENS0_17counting_iteratorIjlEEPS9_SG_NS0_5tupleIJPjSI_NS0_16reverse_iteratorISI_EEEEENSH_IJSG_SG_SG_EEES9_SI_JZNS1_25segmented_radix_sort_implINS0_14default_configELb0EPKlPlSQ_SR_N2at6native12_GLOBAL__N_18offset_tEEE10hipError_tPvRmT1_PNSt15iterator_traitsISZ_E10value_typeET2_T3_PNS10_IS15_E10value_typeET4_jRbjT5_S1B_jjP12ihipStream_tbEUljE_ZNSN_ISO_Lb0ESQ_SR_SQ_SR_SV_EESW_SX_SY_SZ_S13_S14_S15_S18_S19_jS1A_jS1B_S1B_jjS1D_bEUljE0_EEESW_SX_SY_S15_S19_S1B_T6_T7_T9_mT8_S1D_bDpT10_ENKUlT_T0_E_clISt17integral_constantIbLb1EES1R_EEDaS1M_S1N_EUlS1M_E_NS1_11comp_targetILNS1_3genE4ELNS1_11target_archE910ELNS1_3gpuE8ELNS1_3repE0EEENS1_30default_config_static_selectorELNS0_4arch9wavefront6targetE0EEEvSZ_.uses_flat_scratch, 0
	.set _ZN7rocprim17ROCPRIM_400000_NS6detail17trampoline_kernelINS0_13select_configILj256ELj13ELNS0_17block_load_methodE3ELS4_3ELS4_3ELNS0_20block_scan_algorithmE0ELj4294967295EEENS1_25partition_config_selectorILNS1_17partition_subalgoE4EjNS0_10empty_typeEbEEZZNS1_14partition_implILS8_4ELb0ES6_15HIP_vector_typeIjLj2EENS0_17counting_iteratorIjlEEPS9_SG_NS0_5tupleIJPjSI_NS0_16reverse_iteratorISI_EEEEENSH_IJSG_SG_SG_EEES9_SI_JZNS1_25segmented_radix_sort_implINS0_14default_configELb0EPKlPlSQ_SR_N2at6native12_GLOBAL__N_18offset_tEEE10hipError_tPvRmT1_PNSt15iterator_traitsISZ_E10value_typeET2_T3_PNS10_IS15_E10value_typeET4_jRbjT5_S1B_jjP12ihipStream_tbEUljE_ZNSN_ISO_Lb0ESQ_SR_SQ_SR_SV_EESW_SX_SY_SZ_S13_S14_S15_S18_S19_jS1A_jS1B_S1B_jjS1D_bEUljE0_EEESW_SX_SY_S15_S19_S1B_T6_T7_T9_mT8_S1D_bDpT10_ENKUlT_T0_E_clISt17integral_constantIbLb1EES1R_EEDaS1M_S1N_EUlS1M_E_NS1_11comp_targetILNS1_3genE4ELNS1_11target_archE910ELNS1_3gpuE8ELNS1_3repE0EEENS1_30default_config_static_selectorELNS0_4arch9wavefront6targetE0EEEvSZ_.has_dyn_sized_stack, 0
	.set _ZN7rocprim17ROCPRIM_400000_NS6detail17trampoline_kernelINS0_13select_configILj256ELj13ELNS0_17block_load_methodE3ELS4_3ELS4_3ELNS0_20block_scan_algorithmE0ELj4294967295EEENS1_25partition_config_selectorILNS1_17partition_subalgoE4EjNS0_10empty_typeEbEEZZNS1_14partition_implILS8_4ELb0ES6_15HIP_vector_typeIjLj2EENS0_17counting_iteratorIjlEEPS9_SG_NS0_5tupleIJPjSI_NS0_16reverse_iteratorISI_EEEEENSH_IJSG_SG_SG_EEES9_SI_JZNS1_25segmented_radix_sort_implINS0_14default_configELb0EPKlPlSQ_SR_N2at6native12_GLOBAL__N_18offset_tEEE10hipError_tPvRmT1_PNSt15iterator_traitsISZ_E10value_typeET2_T3_PNS10_IS15_E10value_typeET4_jRbjT5_S1B_jjP12ihipStream_tbEUljE_ZNSN_ISO_Lb0ESQ_SR_SQ_SR_SV_EESW_SX_SY_SZ_S13_S14_S15_S18_S19_jS1A_jS1B_S1B_jjS1D_bEUljE0_EEESW_SX_SY_S15_S19_S1B_T6_T7_T9_mT8_S1D_bDpT10_ENKUlT_T0_E_clISt17integral_constantIbLb1EES1R_EEDaS1M_S1N_EUlS1M_E_NS1_11comp_targetILNS1_3genE4ELNS1_11target_archE910ELNS1_3gpuE8ELNS1_3repE0EEENS1_30default_config_static_selectorELNS0_4arch9wavefront6targetE0EEEvSZ_.has_recursion, 0
	.set _ZN7rocprim17ROCPRIM_400000_NS6detail17trampoline_kernelINS0_13select_configILj256ELj13ELNS0_17block_load_methodE3ELS4_3ELS4_3ELNS0_20block_scan_algorithmE0ELj4294967295EEENS1_25partition_config_selectorILNS1_17partition_subalgoE4EjNS0_10empty_typeEbEEZZNS1_14partition_implILS8_4ELb0ES6_15HIP_vector_typeIjLj2EENS0_17counting_iteratorIjlEEPS9_SG_NS0_5tupleIJPjSI_NS0_16reverse_iteratorISI_EEEEENSH_IJSG_SG_SG_EEES9_SI_JZNS1_25segmented_radix_sort_implINS0_14default_configELb0EPKlPlSQ_SR_N2at6native12_GLOBAL__N_18offset_tEEE10hipError_tPvRmT1_PNSt15iterator_traitsISZ_E10value_typeET2_T3_PNS10_IS15_E10value_typeET4_jRbjT5_S1B_jjP12ihipStream_tbEUljE_ZNSN_ISO_Lb0ESQ_SR_SQ_SR_SV_EESW_SX_SY_SZ_S13_S14_S15_S18_S19_jS1A_jS1B_S1B_jjS1D_bEUljE0_EEESW_SX_SY_S15_S19_S1B_T6_T7_T9_mT8_S1D_bDpT10_ENKUlT_T0_E_clISt17integral_constantIbLb1EES1R_EEDaS1M_S1N_EUlS1M_E_NS1_11comp_targetILNS1_3genE4ELNS1_11target_archE910ELNS1_3gpuE8ELNS1_3repE0EEENS1_30default_config_static_selectorELNS0_4arch9wavefront6targetE0EEEvSZ_.has_indirect_call, 0
	.section	.AMDGPU.csdata,"",@progbits
; Kernel info:
; codeLenInByte = 0
; TotalNumSgprs: 0
; NumVgprs: 0
; ScratchSize: 0
; MemoryBound: 0
; FloatMode: 240
; IeeeMode: 1
; LDSByteSize: 0 bytes/workgroup (compile time only)
; SGPRBlocks: 0
; VGPRBlocks: 0
; NumSGPRsForWavesPerEU: 1
; NumVGPRsForWavesPerEU: 1
; Occupancy: 16
; WaveLimiterHint : 0
; COMPUTE_PGM_RSRC2:SCRATCH_EN: 0
; COMPUTE_PGM_RSRC2:USER_SGPR: 2
; COMPUTE_PGM_RSRC2:TRAP_HANDLER: 0
; COMPUTE_PGM_RSRC2:TGID_X_EN: 1
; COMPUTE_PGM_RSRC2:TGID_Y_EN: 0
; COMPUTE_PGM_RSRC2:TGID_Z_EN: 0
; COMPUTE_PGM_RSRC2:TIDIG_COMP_CNT: 0
	.section	.text._ZN7rocprim17ROCPRIM_400000_NS6detail17trampoline_kernelINS0_13select_configILj256ELj13ELNS0_17block_load_methodE3ELS4_3ELS4_3ELNS0_20block_scan_algorithmE0ELj4294967295EEENS1_25partition_config_selectorILNS1_17partition_subalgoE4EjNS0_10empty_typeEbEEZZNS1_14partition_implILS8_4ELb0ES6_15HIP_vector_typeIjLj2EENS0_17counting_iteratorIjlEEPS9_SG_NS0_5tupleIJPjSI_NS0_16reverse_iteratorISI_EEEEENSH_IJSG_SG_SG_EEES9_SI_JZNS1_25segmented_radix_sort_implINS0_14default_configELb0EPKlPlSQ_SR_N2at6native12_GLOBAL__N_18offset_tEEE10hipError_tPvRmT1_PNSt15iterator_traitsISZ_E10value_typeET2_T3_PNS10_IS15_E10value_typeET4_jRbjT5_S1B_jjP12ihipStream_tbEUljE_ZNSN_ISO_Lb0ESQ_SR_SQ_SR_SV_EESW_SX_SY_SZ_S13_S14_S15_S18_S19_jS1A_jS1B_S1B_jjS1D_bEUljE0_EEESW_SX_SY_S15_S19_S1B_T6_T7_T9_mT8_S1D_bDpT10_ENKUlT_T0_E_clISt17integral_constantIbLb1EES1R_EEDaS1M_S1N_EUlS1M_E_NS1_11comp_targetILNS1_3genE3ELNS1_11target_archE908ELNS1_3gpuE7ELNS1_3repE0EEENS1_30default_config_static_selectorELNS0_4arch9wavefront6targetE0EEEvSZ_,"axG",@progbits,_ZN7rocprim17ROCPRIM_400000_NS6detail17trampoline_kernelINS0_13select_configILj256ELj13ELNS0_17block_load_methodE3ELS4_3ELS4_3ELNS0_20block_scan_algorithmE0ELj4294967295EEENS1_25partition_config_selectorILNS1_17partition_subalgoE4EjNS0_10empty_typeEbEEZZNS1_14partition_implILS8_4ELb0ES6_15HIP_vector_typeIjLj2EENS0_17counting_iteratorIjlEEPS9_SG_NS0_5tupleIJPjSI_NS0_16reverse_iteratorISI_EEEEENSH_IJSG_SG_SG_EEES9_SI_JZNS1_25segmented_radix_sort_implINS0_14default_configELb0EPKlPlSQ_SR_N2at6native12_GLOBAL__N_18offset_tEEE10hipError_tPvRmT1_PNSt15iterator_traitsISZ_E10value_typeET2_T3_PNS10_IS15_E10value_typeET4_jRbjT5_S1B_jjP12ihipStream_tbEUljE_ZNSN_ISO_Lb0ESQ_SR_SQ_SR_SV_EESW_SX_SY_SZ_S13_S14_S15_S18_S19_jS1A_jS1B_S1B_jjS1D_bEUljE0_EEESW_SX_SY_S15_S19_S1B_T6_T7_T9_mT8_S1D_bDpT10_ENKUlT_T0_E_clISt17integral_constantIbLb1EES1R_EEDaS1M_S1N_EUlS1M_E_NS1_11comp_targetILNS1_3genE3ELNS1_11target_archE908ELNS1_3gpuE7ELNS1_3repE0EEENS1_30default_config_static_selectorELNS0_4arch9wavefront6targetE0EEEvSZ_,comdat
	.globl	_ZN7rocprim17ROCPRIM_400000_NS6detail17trampoline_kernelINS0_13select_configILj256ELj13ELNS0_17block_load_methodE3ELS4_3ELS4_3ELNS0_20block_scan_algorithmE0ELj4294967295EEENS1_25partition_config_selectorILNS1_17partition_subalgoE4EjNS0_10empty_typeEbEEZZNS1_14partition_implILS8_4ELb0ES6_15HIP_vector_typeIjLj2EENS0_17counting_iteratorIjlEEPS9_SG_NS0_5tupleIJPjSI_NS0_16reverse_iteratorISI_EEEEENSH_IJSG_SG_SG_EEES9_SI_JZNS1_25segmented_radix_sort_implINS0_14default_configELb0EPKlPlSQ_SR_N2at6native12_GLOBAL__N_18offset_tEEE10hipError_tPvRmT1_PNSt15iterator_traitsISZ_E10value_typeET2_T3_PNS10_IS15_E10value_typeET4_jRbjT5_S1B_jjP12ihipStream_tbEUljE_ZNSN_ISO_Lb0ESQ_SR_SQ_SR_SV_EESW_SX_SY_SZ_S13_S14_S15_S18_S19_jS1A_jS1B_S1B_jjS1D_bEUljE0_EEESW_SX_SY_S15_S19_S1B_T6_T7_T9_mT8_S1D_bDpT10_ENKUlT_T0_E_clISt17integral_constantIbLb1EES1R_EEDaS1M_S1N_EUlS1M_E_NS1_11comp_targetILNS1_3genE3ELNS1_11target_archE908ELNS1_3gpuE7ELNS1_3repE0EEENS1_30default_config_static_selectorELNS0_4arch9wavefront6targetE0EEEvSZ_ ; -- Begin function _ZN7rocprim17ROCPRIM_400000_NS6detail17trampoline_kernelINS0_13select_configILj256ELj13ELNS0_17block_load_methodE3ELS4_3ELS4_3ELNS0_20block_scan_algorithmE0ELj4294967295EEENS1_25partition_config_selectorILNS1_17partition_subalgoE4EjNS0_10empty_typeEbEEZZNS1_14partition_implILS8_4ELb0ES6_15HIP_vector_typeIjLj2EENS0_17counting_iteratorIjlEEPS9_SG_NS0_5tupleIJPjSI_NS0_16reverse_iteratorISI_EEEEENSH_IJSG_SG_SG_EEES9_SI_JZNS1_25segmented_radix_sort_implINS0_14default_configELb0EPKlPlSQ_SR_N2at6native12_GLOBAL__N_18offset_tEEE10hipError_tPvRmT1_PNSt15iterator_traitsISZ_E10value_typeET2_T3_PNS10_IS15_E10value_typeET4_jRbjT5_S1B_jjP12ihipStream_tbEUljE_ZNSN_ISO_Lb0ESQ_SR_SQ_SR_SV_EESW_SX_SY_SZ_S13_S14_S15_S18_S19_jS1A_jS1B_S1B_jjS1D_bEUljE0_EEESW_SX_SY_S15_S19_S1B_T6_T7_T9_mT8_S1D_bDpT10_ENKUlT_T0_E_clISt17integral_constantIbLb1EES1R_EEDaS1M_S1N_EUlS1M_E_NS1_11comp_targetILNS1_3genE3ELNS1_11target_archE908ELNS1_3gpuE7ELNS1_3repE0EEENS1_30default_config_static_selectorELNS0_4arch9wavefront6targetE0EEEvSZ_
	.p2align	8
	.type	_ZN7rocprim17ROCPRIM_400000_NS6detail17trampoline_kernelINS0_13select_configILj256ELj13ELNS0_17block_load_methodE3ELS4_3ELS4_3ELNS0_20block_scan_algorithmE0ELj4294967295EEENS1_25partition_config_selectorILNS1_17partition_subalgoE4EjNS0_10empty_typeEbEEZZNS1_14partition_implILS8_4ELb0ES6_15HIP_vector_typeIjLj2EENS0_17counting_iteratorIjlEEPS9_SG_NS0_5tupleIJPjSI_NS0_16reverse_iteratorISI_EEEEENSH_IJSG_SG_SG_EEES9_SI_JZNS1_25segmented_radix_sort_implINS0_14default_configELb0EPKlPlSQ_SR_N2at6native12_GLOBAL__N_18offset_tEEE10hipError_tPvRmT1_PNSt15iterator_traitsISZ_E10value_typeET2_T3_PNS10_IS15_E10value_typeET4_jRbjT5_S1B_jjP12ihipStream_tbEUljE_ZNSN_ISO_Lb0ESQ_SR_SQ_SR_SV_EESW_SX_SY_SZ_S13_S14_S15_S18_S19_jS1A_jS1B_S1B_jjS1D_bEUljE0_EEESW_SX_SY_S15_S19_S1B_T6_T7_T9_mT8_S1D_bDpT10_ENKUlT_T0_E_clISt17integral_constantIbLb1EES1R_EEDaS1M_S1N_EUlS1M_E_NS1_11comp_targetILNS1_3genE3ELNS1_11target_archE908ELNS1_3gpuE7ELNS1_3repE0EEENS1_30default_config_static_selectorELNS0_4arch9wavefront6targetE0EEEvSZ_,@function
_ZN7rocprim17ROCPRIM_400000_NS6detail17trampoline_kernelINS0_13select_configILj256ELj13ELNS0_17block_load_methodE3ELS4_3ELS4_3ELNS0_20block_scan_algorithmE0ELj4294967295EEENS1_25partition_config_selectorILNS1_17partition_subalgoE4EjNS0_10empty_typeEbEEZZNS1_14partition_implILS8_4ELb0ES6_15HIP_vector_typeIjLj2EENS0_17counting_iteratorIjlEEPS9_SG_NS0_5tupleIJPjSI_NS0_16reverse_iteratorISI_EEEEENSH_IJSG_SG_SG_EEES9_SI_JZNS1_25segmented_radix_sort_implINS0_14default_configELb0EPKlPlSQ_SR_N2at6native12_GLOBAL__N_18offset_tEEE10hipError_tPvRmT1_PNSt15iterator_traitsISZ_E10value_typeET2_T3_PNS10_IS15_E10value_typeET4_jRbjT5_S1B_jjP12ihipStream_tbEUljE_ZNSN_ISO_Lb0ESQ_SR_SQ_SR_SV_EESW_SX_SY_SZ_S13_S14_S15_S18_S19_jS1A_jS1B_S1B_jjS1D_bEUljE0_EEESW_SX_SY_S15_S19_S1B_T6_T7_T9_mT8_S1D_bDpT10_ENKUlT_T0_E_clISt17integral_constantIbLb1EES1R_EEDaS1M_S1N_EUlS1M_E_NS1_11comp_targetILNS1_3genE3ELNS1_11target_archE908ELNS1_3gpuE7ELNS1_3repE0EEENS1_30default_config_static_selectorELNS0_4arch9wavefront6targetE0EEEvSZ_: ; @_ZN7rocprim17ROCPRIM_400000_NS6detail17trampoline_kernelINS0_13select_configILj256ELj13ELNS0_17block_load_methodE3ELS4_3ELS4_3ELNS0_20block_scan_algorithmE0ELj4294967295EEENS1_25partition_config_selectorILNS1_17partition_subalgoE4EjNS0_10empty_typeEbEEZZNS1_14partition_implILS8_4ELb0ES6_15HIP_vector_typeIjLj2EENS0_17counting_iteratorIjlEEPS9_SG_NS0_5tupleIJPjSI_NS0_16reverse_iteratorISI_EEEEENSH_IJSG_SG_SG_EEES9_SI_JZNS1_25segmented_radix_sort_implINS0_14default_configELb0EPKlPlSQ_SR_N2at6native12_GLOBAL__N_18offset_tEEE10hipError_tPvRmT1_PNSt15iterator_traitsISZ_E10value_typeET2_T3_PNS10_IS15_E10value_typeET4_jRbjT5_S1B_jjP12ihipStream_tbEUljE_ZNSN_ISO_Lb0ESQ_SR_SQ_SR_SV_EESW_SX_SY_SZ_S13_S14_S15_S18_S19_jS1A_jS1B_S1B_jjS1D_bEUljE0_EEESW_SX_SY_S15_S19_S1B_T6_T7_T9_mT8_S1D_bDpT10_ENKUlT_T0_E_clISt17integral_constantIbLb1EES1R_EEDaS1M_S1N_EUlS1M_E_NS1_11comp_targetILNS1_3genE3ELNS1_11target_archE908ELNS1_3gpuE7ELNS1_3repE0EEENS1_30default_config_static_selectorELNS0_4arch9wavefront6targetE0EEEvSZ_
; %bb.0:
	.section	.rodata,"a",@progbits
	.p2align	6, 0x0
	.amdhsa_kernel _ZN7rocprim17ROCPRIM_400000_NS6detail17trampoline_kernelINS0_13select_configILj256ELj13ELNS0_17block_load_methodE3ELS4_3ELS4_3ELNS0_20block_scan_algorithmE0ELj4294967295EEENS1_25partition_config_selectorILNS1_17partition_subalgoE4EjNS0_10empty_typeEbEEZZNS1_14partition_implILS8_4ELb0ES6_15HIP_vector_typeIjLj2EENS0_17counting_iteratorIjlEEPS9_SG_NS0_5tupleIJPjSI_NS0_16reverse_iteratorISI_EEEEENSH_IJSG_SG_SG_EEES9_SI_JZNS1_25segmented_radix_sort_implINS0_14default_configELb0EPKlPlSQ_SR_N2at6native12_GLOBAL__N_18offset_tEEE10hipError_tPvRmT1_PNSt15iterator_traitsISZ_E10value_typeET2_T3_PNS10_IS15_E10value_typeET4_jRbjT5_S1B_jjP12ihipStream_tbEUljE_ZNSN_ISO_Lb0ESQ_SR_SQ_SR_SV_EESW_SX_SY_SZ_S13_S14_S15_S18_S19_jS1A_jS1B_S1B_jjS1D_bEUljE0_EEESW_SX_SY_S15_S19_S1B_T6_T7_T9_mT8_S1D_bDpT10_ENKUlT_T0_E_clISt17integral_constantIbLb1EES1R_EEDaS1M_S1N_EUlS1M_E_NS1_11comp_targetILNS1_3genE3ELNS1_11target_archE908ELNS1_3gpuE7ELNS1_3repE0EEENS1_30default_config_static_selectorELNS0_4arch9wavefront6targetE0EEEvSZ_
		.amdhsa_group_segment_fixed_size 0
		.amdhsa_private_segment_fixed_size 0
		.amdhsa_kernarg_size 184
		.amdhsa_user_sgpr_count 2
		.amdhsa_user_sgpr_dispatch_ptr 0
		.amdhsa_user_sgpr_queue_ptr 0
		.amdhsa_user_sgpr_kernarg_segment_ptr 1
		.amdhsa_user_sgpr_dispatch_id 0
		.amdhsa_user_sgpr_private_segment_size 0
		.amdhsa_wavefront_size32 1
		.amdhsa_uses_dynamic_stack 0
		.amdhsa_enable_private_segment 0
		.amdhsa_system_sgpr_workgroup_id_x 1
		.amdhsa_system_sgpr_workgroup_id_y 0
		.amdhsa_system_sgpr_workgroup_id_z 0
		.amdhsa_system_sgpr_workgroup_info 0
		.amdhsa_system_vgpr_workitem_id 0
		.amdhsa_next_free_vgpr 1
		.amdhsa_next_free_sgpr 1
		.amdhsa_reserve_vcc 0
		.amdhsa_float_round_mode_32 0
		.amdhsa_float_round_mode_16_64 0
		.amdhsa_float_denorm_mode_32 3
		.amdhsa_float_denorm_mode_16_64 3
		.amdhsa_fp16_overflow 0
		.amdhsa_workgroup_processor_mode 1
		.amdhsa_memory_ordered 1
		.amdhsa_forward_progress 1
		.amdhsa_inst_pref_size 0
		.amdhsa_round_robin_scheduling 0
		.amdhsa_exception_fp_ieee_invalid_op 0
		.amdhsa_exception_fp_denorm_src 0
		.amdhsa_exception_fp_ieee_div_zero 0
		.amdhsa_exception_fp_ieee_overflow 0
		.amdhsa_exception_fp_ieee_underflow 0
		.amdhsa_exception_fp_ieee_inexact 0
		.amdhsa_exception_int_div_zero 0
	.end_amdhsa_kernel
	.section	.text._ZN7rocprim17ROCPRIM_400000_NS6detail17trampoline_kernelINS0_13select_configILj256ELj13ELNS0_17block_load_methodE3ELS4_3ELS4_3ELNS0_20block_scan_algorithmE0ELj4294967295EEENS1_25partition_config_selectorILNS1_17partition_subalgoE4EjNS0_10empty_typeEbEEZZNS1_14partition_implILS8_4ELb0ES6_15HIP_vector_typeIjLj2EENS0_17counting_iteratorIjlEEPS9_SG_NS0_5tupleIJPjSI_NS0_16reverse_iteratorISI_EEEEENSH_IJSG_SG_SG_EEES9_SI_JZNS1_25segmented_radix_sort_implINS0_14default_configELb0EPKlPlSQ_SR_N2at6native12_GLOBAL__N_18offset_tEEE10hipError_tPvRmT1_PNSt15iterator_traitsISZ_E10value_typeET2_T3_PNS10_IS15_E10value_typeET4_jRbjT5_S1B_jjP12ihipStream_tbEUljE_ZNSN_ISO_Lb0ESQ_SR_SQ_SR_SV_EESW_SX_SY_SZ_S13_S14_S15_S18_S19_jS1A_jS1B_S1B_jjS1D_bEUljE0_EEESW_SX_SY_S15_S19_S1B_T6_T7_T9_mT8_S1D_bDpT10_ENKUlT_T0_E_clISt17integral_constantIbLb1EES1R_EEDaS1M_S1N_EUlS1M_E_NS1_11comp_targetILNS1_3genE3ELNS1_11target_archE908ELNS1_3gpuE7ELNS1_3repE0EEENS1_30default_config_static_selectorELNS0_4arch9wavefront6targetE0EEEvSZ_,"axG",@progbits,_ZN7rocprim17ROCPRIM_400000_NS6detail17trampoline_kernelINS0_13select_configILj256ELj13ELNS0_17block_load_methodE3ELS4_3ELS4_3ELNS0_20block_scan_algorithmE0ELj4294967295EEENS1_25partition_config_selectorILNS1_17partition_subalgoE4EjNS0_10empty_typeEbEEZZNS1_14partition_implILS8_4ELb0ES6_15HIP_vector_typeIjLj2EENS0_17counting_iteratorIjlEEPS9_SG_NS0_5tupleIJPjSI_NS0_16reverse_iteratorISI_EEEEENSH_IJSG_SG_SG_EEES9_SI_JZNS1_25segmented_radix_sort_implINS0_14default_configELb0EPKlPlSQ_SR_N2at6native12_GLOBAL__N_18offset_tEEE10hipError_tPvRmT1_PNSt15iterator_traitsISZ_E10value_typeET2_T3_PNS10_IS15_E10value_typeET4_jRbjT5_S1B_jjP12ihipStream_tbEUljE_ZNSN_ISO_Lb0ESQ_SR_SQ_SR_SV_EESW_SX_SY_SZ_S13_S14_S15_S18_S19_jS1A_jS1B_S1B_jjS1D_bEUljE0_EEESW_SX_SY_S15_S19_S1B_T6_T7_T9_mT8_S1D_bDpT10_ENKUlT_T0_E_clISt17integral_constantIbLb1EES1R_EEDaS1M_S1N_EUlS1M_E_NS1_11comp_targetILNS1_3genE3ELNS1_11target_archE908ELNS1_3gpuE7ELNS1_3repE0EEENS1_30default_config_static_selectorELNS0_4arch9wavefront6targetE0EEEvSZ_,comdat
.Lfunc_end754:
	.size	_ZN7rocprim17ROCPRIM_400000_NS6detail17trampoline_kernelINS0_13select_configILj256ELj13ELNS0_17block_load_methodE3ELS4_3ELS4_3ELNS0_20block_scan_algorithmE0ELj4294967295EEENS1_25partition_config_selectorILNS1_17partition_subalgoE4EjNS0_10empty_typeEbEEZZNS1_14partition_implILS8_4ELb0ES6_15HIP_vector_typeIjLj2EENS0_17counting_iteratorIjlEEPS9_SG_NS0_5tupleIJPjSI_NS0_16reverse_iteratorISI_EEEEENSH_IJSG_SG_SG_EEES9_SI_JZNS1_25segmented_radix_sort_implINS0_14default_configELb0EPKlPlSQ_SR_N2at6native12_GLOBAL__N_18offset_tEEE10hipError_tPvRmT1_PNSt15iterator_traitsISZ_E10value_typeET2_T3_PNS10_IS15_E10value_typeET4_jRbjT5_S1B_jjP12ihipStream_tbEUljE_ZNSN_ISO_Lb0ESQ_SR_SQ_SR_SV_EESW_SX_SY_SZ_S13_S14_S15_S18_S19_jS1A_jS1B_S1B_jjS1D_bEUljE0_EEESW_SX_SY_S15_S19_S1B_T6_T7_T9_mT8_S1D_bDpT10_ENKUlT_T0_E_clISt17integral_constantIbLb1EES1R_EEDaS1M_S1N_EUlS1M_E_NS1_11comp_targetILNS1_3genE3ELNS1_11target_archE908ELNS1_3gpuE7ELNS1_3repE0EEENS1_30default_config_static_selectorELNS0_4arch9wavefront6targetE0EEEvSZ_, .Lfunc_end754-_ZN7rocprim17ROCPRIM_400000_NS6detail17trampoline_kernelINS0_13select_configILj256ELj13ELNS0_17block_load_methodE3ELS4_3ELS4_3ELNS0_20block_scan_algorithmE0ELj4294967295EEENS1_25partition_config_selectorILNS1_17partition_subalgoE4EjNS0_10empty_typeEbEEZZNS1_14partition_implILS8_4ELb0ES6_15HIP_vector_typeIjLj2EENS0_17counting_iteratorIjlEEPS9_SG_NS0_5tupleIJPjSI_NS0_16reverse_iteratorISI_EEEEENSH_IJSG_SG_SG_EEES9_SI_JZNS1_25segmented_radix_sort_implINS0_14default_configELb0EPKlPlSQ_SR_N2at6native12_GLOBAL__N_18offset_tEEE10hipError_tPvRmT1_PNSt15iterator_traitsISZ_E10value_typeET2_T3_PNS10_IS15_E10value_typeET4_jRbjT5_S1B_jjP12ihipStream_tbEUljE_ZNSN_ISO_Lb0ESQ_SR_SQ_SR_SV_EESW_SX_SY_SZ_S13_S14_S15_S18_S19_jS1A_jS1B_S1B_jjS1D_bEUljE0_EEESW_SX_SY_S15_S19_S1B_T6_T7_T9_mT8_S1D_bDpT10_ENKUlT_T0_E_clISt17integral_constantIbLb1EES1R_EEDaS1M_S1N_EUlS1M_E_NS1_11comp_targetILNS1_3genE3ELNS1_11target_archE908ELNS1_3gpuE7ELNS1_3repE0EEENS1_30default_config_static_selectorELNS0_4arch9wavefront6targetE0EEEvSZ_
                                        ; -- End function
	.set _ZN7rocprim17ROCPRIM_400000_NS6detail17trampoline_kernelINS0_13select_configILj256ELj13ELNS0_17block_load_methodE3ELS4_3ELS4_3ELNS0_20block_scan_algorithmE0ELj4294967295EEENS1_25partition_config_selectorILNS1_17partition_subalgoE4EjNS0_10empty_typeEbEEZZNS1_14partition_implILS8_4ELb0ES6_15HIP_vector_typeIjLj2EENS0_17counting_iteratorIjlEEPS9_SG_NS0_5tupleIJPjSI_NS0_16reverse_iteratorISI_EEEEENSH_IJSG_SG_SG_EEES9_SI_JZNS1_25segmented_radix_sort_implINS0_14default_configELb0EPKlPlSQ_SR_N2at6native12_GLOBAL__N_18offset_tEEE10hipError_tPvRmT1_PNSt15iterator_traitsISZ_E10value_typeET2_T3_PNS10_IS15_E10value_typeET4_jRbjT5_S1B_jjP12ihipStream_tbEUljE_ZNSN_ISO_Lb0ESQ_SR_SQ_SR_SV_EESW_SX_SY_SZ_S13_S14_S15_S18_S19_jS1A_jS1B_S1B_jjS1D_bEUljE0_EEESW_SX_SY_S15_S19_S1B_T6_T7_T9_mT8_S1D_bDpT10_ENKUlT_T0_E_clISt17integral_constantIbLb1EES1R_EEDaS1M_S1N_EUlS1M_E_NS1_11comp_targetILNS1_3genE3ELNS1_11target_archE908ELNS1_3gpuE7ELNS1_3repE0EEENS1_30default_config_static_selectorELNS0_4arch9wavefront6targetE0EEEvSZ_.num_vgpr, 0
	.set _ZN7rocprim17ROCPRIM_400000_NS6detail17trampoline_kernelINS0_13select_configILj256ELj13ELNS0_17block_load_methodE3ELS4_3ELS4_3ELNS0_20block_scan_algorithmE0ELj4294967295EEENS1_25partition_config_selectorILNS1_17partition_subalgoE4EjNS0_10empty_typeEbEEZZNS1_14partition_implILS8_4ELb0ES6_15HIP_vector_typeIjLj2EENS0_17counting_iteratorIjlEEPS9_SG_NS0_5tupleIJPjSI_NS0_16reverse_iteratorISI_EEEEENSH_IJSG_SG_SG_EEES9_SI_JZNS1_25segmented_radix_sort_implINS0_14default_configELb0EPKlPlSQ_SR_N2at6native12_GLOBAL__N_18offset_tEEE10hipError_tPvRmT1_PNSt15iterator_traitsISZ_E10value_typeET2_T3_PNS10_IS15_E10value_typeET4_jRbjT5_S1B_jjP12ihipStream_tbEUljE_ZNSN_ISO_Lb0ESQ_SR_SQ_SR_SV_EESW_SX_SY_SZ_S13_S14_S15_S18_S19_jS1A_jS1B_S1B_jjS1D_bEUljE0_EEESW_SX_SY_S15_S19_S1B_T6_T7_T9_mT8_S1D_bDpT10_ENKUlT_T0_E_clISt17integral_constantIbLb1EES1R_EEDaS1M_S1N_EUlS1M_E_NS1_11comp_targetILNS1_3genE3ELNS1_11target_archE908ELNS1_3gpuE7ELNS1_3repE0EEENS1_30default_config_static_selectorELNS0_4arch9wavefront6targetE0EEEvSZ_.num_agpr, 0
	.set _ZN7rocprim17ROCPRIM_400000_NS6detail17trampoline_kernelINS0_13select_configILj256ELj13ELNS0_17block_load_methodE3ELS4_3ELS4_3ELNS0_20block_scan_algorithmE0ELj4294967295EEENS1_25partition_config_selectorILNS1_17partition_subalgoE4EjNS0_10empty_typeEbEEZZNS1_14partition_implILS8_4ELb0ES6_15HIP_vector_typeIjLj2EENS0_17counting_iteratorIjlEEPS9_SG_NS0_5tupleIJPjSI_NS0_16reverse_iteratorISI_EEEEENSH_IJSG_SG_SG_EEES9_SI_JZNS1_25segmented_radix_sort_implINS0_14default_configELb0EPKlPlSQ_SR_N2at6native12_GLOBAL__N_18offset_tEEE10hipError_tPvRmT1_PNSt15iterator_traitsISZ_E10value_typeET2_T3_PNS10_IS15_E10value_typeET4_jRbjT5_S1B_jjP12ihipStream_tbEUljE_ZNSN_ISO_Lb0ESQ_SR_SQ_SR_SV_EESW_SX_SY_SZ_S13_S14_S15_S18_S19_jS1A_jS1B_S1B_jjS1D_bEUljE0_EEESW_SX_SY_S15_S19_S1B_T6_T7_T9_mT8_S1D_bDpT10_ENKUlT_T0_E_clISt17integral_constantIbLb1EES1R_EEDaS1M_S1N_EUlS1M_E_NS1_11comp_targetILNS1_3genE3ELNS1_11target_archE908ELNS1_3gpuE7ELNS1_3repE0EEENS1_30default_config_static_selectorELNS0_4arch9wavefront6targetE0EEEvSZ_.numbered_sgpr, 0
	.set _ZN7rocprim17ROCPRIM_400000_NS6detail17trampoline_kernelINS0_13select_configILj256ELj13ELNS0_17block_load_methodE3ELS4_3ELS4_3ELNS0_20block_scan_algorithmE0ELj4294967295EEENS1_25partition_config_selectorILNS1_17partition_subalgoE4EjNS0_10empty_typeEbEEZZNS1_14partition_implILS8_4ELb0ES6_15HIP_vector_typeIjLj2EENS0_17counting_iteratorIjlEEPS9_SG_NS0_5tupleIJPjSI_NS0_16reverse_iteratorISI_EEEEENSH_IJSG_SG_SG_EEES9_SI_JZNS1_25segmented_radix_sort_implINS0_14default_configELb0EPKlPlSQ_SR_N2at6native12_GLOBAL__N_18offset_tEEE10hipError_tPvRmT1_PNSt15iterator_traitsISZ_E10value_typeET2_T3_PNS10_IS15_E10value_typeET4_jRbjT5_S1B_jjP12ihipStream_tbEUljE_ZNSN_ISO_Lb0ESQ_SR_SQ_SR_SV_EESW_SX_SY_SZ_S13_S14_S15_S18_S19_jS1A_jS1B_S1B_jjS1D_bEUljE0_EEESW_SX_SY_S15_S19_S1B_T6_T7_T9_mT8_S1D_bDpT10_ENKUlT_T0_E_clISt17integral_constantIbLb1EES1R_EEDaS1M_S1N_EUlS1M_E_NS1_11comp_targetILNS1_3genE3ELNS1_11target_archE908ELNS1_3gpuE7ELNS1_3repE0EEENS1_30default_config_static_selectorELNS0_4arch9wavefront6targetE0EEEvSZ_.num_named_barrier, 0
	.set _ZN7rocprim17ROCPRIM_400000_NS6detail17trampoline_kernelINS0_13select_configILj256ELj13ELNS0_17block_load_methodE3ELS4_3ELS4_3ELNS0_20block_scan_algorithmE0ELj4294967295EEENS1_25partition_config_selectorILNS1_17partition_subalgoE4EjNS0_10empty_typeEbEEZZNS1_14partition_implILS8_4ELb0ES6_15HIP_vector_typeIjLj2EENS0_17counting_iteratorIjlEEPS9_SG_NS0_5tupleIJPjSI_NS0_16reverse_iteratorISI_EEEEENSH_IJSG_SG_SG_EEES9_SI_JZNS1_25segmented_radix_sort_implINS0_14default_configELb0EPKlPlSQ_SR_N2at6native12_GLOBAL__N_18offset_tEEE10hipError_tPvRmT1_PNSt15iterator_traitsISZ_E10value_typeET2_T3_PNS10_IS15_E10value_typeET4_jRbjT5_S1B_jjP12ihipStream_tbEUljE_ZNSN_ISO_Lb0ESQ_SR_SQ_SR_SV_EESW_SX_SY_SZ_S13_S14_S15_S18_S19_jS1A_jS1B_S1B_jjS1D_bEUljE0_EEESW_SX_SY_S15_S19_S1B_T6_T7_T9_mT8_S1D_bDpT10_ENKUlT_T0_E_clISt17integral_constantIbLb1EES1R_EEDaS1M_S1N_EUlS1M_E_NS1_11comp_targetILNS1_3genE3ELNS1_11target_archE908ELNS1_3gpuE7ELNS1_3repE0EEENS1_30default_config_static_selectorELNS0_4arch9wavefront6targetE0EEEvSZ_.private_seg_size, 0
	.set _ZN7rocprim17ROCPRIM_400000_NS6detail17trampoline_kernelINS0_13select_configILj256ELj13ELNS0_17block_load_methodE3ELS4_3ELS4_3ELNS0_20block_scan_algorithmE0ELj4294967295EEENS1_25partition_config_selectorILNS1_17partition_subalgoE4EjNS0_10empty_typeEbEEZZNS1_14partition_implILS8_4ELb0ES6_15HIP_vector_typeIjLj2EENS0_17counting_iteratorIjlEEPS9_SG_NS0_5tupleIJPjSI_NS0_16reverse_iteratorISI_EEEEENSH_IJSG_SG_SG_EEES9_SI_JZNS1_25segmented_radix_sort_implINS0_14default_configELb0EPKlPlSQ_SR_N2at6native12_GLOBAL__N_18offset_tEEE10hipError_tPvRmT1_PNSt15iterator_traitsISZ_E10value_typeET2_T3_PNS10_IS15_E10value_typeET4_jRbjT5_S1B_jjP12ihipStream_tbEUljE_ZNSN_ISO_Lb0ESQ_SR_SQ_SR_SV_EESW_SX_SY_SZ_S13_S14_S15_S18_S19_jS1A_jS1B_S1B_jjS1D_bEUljE0_EEESW_SX_SY_S15_S19_S1B_T6_T7_T9_mT8_S1D_bDpT10_ENKUlT_T0_E_clISt17integral_constantIbLb1EES1R_EEDaS1M_S1N_EUlS1M_E_NS1_11comp_targetILNS1_3genE3ELNS1_11target_archE908ELNS1_3gpuE7ELNS1_3repE0EEENS1_30default_config_static_selectorELNS0_4arch9wavefront6targetE0EEEvSZ_.uses_vcc, 0
	.set _ZN7rocprim17ROCPRIM_400000_NS6detail17trampoline_kernelINS0_13select_configILj256ELj13ELNS0_17block_load_methodE3ELS4_3ELS4_3ELNS0_20block_scan_algorithmE0ELj4294967295EEENS1_25partition_config_selectorILNS1_17partition_subalgoE4EjNS0_10empty_typeEbEEZZNS1_14partition_implILS8_4ELb0ES6_15HIP_vector_typeIjLj2EENS0_17counting_iteratorIjlEEPS9_SG_NS0_5tupleIJPjSI_NS0_16reverse_iteratorISI_EEEEENSH_IJSG_SG_SG_EEES9_SI_JZNS1_25segmented_radix_sort_implINS0_14default_configELb0EPKlPlSQ_SR_N2at6native12_GLOBAL__N_18offset_tEEE10hipError_tPvRmT1_PNSt15iterator_traitsISZ_E10value_typeET2_T3_PNS10_IS15_E10value_typeET4_jRbjT5_S1B_jjP12ihipStream_tbEUljE_ZNSN_ISO_Lb0ESQ_SR_SQ_SR_SV_EESW_SX_SY_SZ_S13_S14_S15_S18_S19_jS1A_jS1B_S1B_jjS1D_bEUljE0_EEESW_SX_SY_S15_S19_S1B_T6_T7_T9_mT8_S1D_bDpT10_ENKUlT_T0_E_clISt17integral_constantIbLb1EES1R_EEDaS1M_S1N_EUlS1M_E_NS1_11comp_targetILNS1_3genE3ELNS1_11target_archE908ELNS1_3gpuE7ELNS1_3repE0EEENS1_30default_config_static_selectorELNS0_4arch9wavefront6targetE0EEEvSZ_.uses_flat_scratch, 0
	.set _ZN7rocprim17ROCPRIM_400000_NS6detail17trampoline_kernelINS0_13select_configILj256ELj13ELNS0_17block_load_methodE3ELS4_3ELS4_3ELNS0_20block_scan_algorithmE0ELj4294967295EEENS1_25partition_config_selectorILNS1_17partition_subalgoE4EjNS0_10empty_typeEbEEZZNS1_14partition_implILS8_4ELb0ES6_15HIP_vector_typeIjLj2EENS0_17counting_iteratorIjlEEPS9_SG_NS0_5tupleIJPjSI_NS0_16reverse_iteratorISI_EEEEENSH_IJSG_SG_SG_EEES9_SI_JZNS1_25segmented_radix_sort_implINS0_14default_configELb0EPKlPlSQ_SR_N2at6native12_GLOBAL__N_18offset_tEEE10hipError_tPvRmT1_PNSt15iterator_traitsISZ_E10value_typeET2_T3_PNS10_IS15_E10value_typeET4_jRbjT5_S1B_jjP12ihipStream_tbEUljE_ZNSN_ISO_Lb0ESQ_SR_SQ_SR_SV_EESW_SX_SY_SZ_S13_S14_S15_S18_S19_jS1A_jS1B_S1B_jjS1D_bEUljE0_EEESW_SX_SY_S15_S19_S1B_T6_T7_T9_mT8_S1D_bDpT10_ENKUlT_T0_E_clISt17integral_constantIbLb1EES1R_EEDaS1M_S1N_EUlS1M_E_NS1_11comp_targetILNS1_3genE3ELNS1_11target_archE908ELNS1_3gpuE7ELNS1_3repE0EEENS1_30default_config_static_selectorELNS0_4arch9wavefront6targetE0EEEvSZ_.has_dyn_sized_stack, 0
	.set _ZN7rocprim17ROCPRIM_400000_NS6detail17trampoline_kernelINS0_13select_configILj256ELj13ELNS0_17block_load_methodE3ELS4_3ELS4_3ELNS0_20block_scan_algorithmE0ELj4294967295EEENS1_25partition_config_selectorILNS1_17partition_subalgoE4EjNS0_10empty_typeEbEEZZNS1_14partition_implILS8_4ELb0ES6_15HIP_vector_typeIjLj2EENS0_17counting_iteratorIjlEEPS9_SG_NS0_5tupleIJPjSI_NS0_16reverse_iteratorISI_EEEEENSH_IJSG_SG_SG_EEES9_SI_JZNS1_25segmented_radix_sort_implINS0_14default_configELb0EPKlPlSQ_SR_N2at6native12_GLOBAL__N_18offset_tEEE10hipError_tPvRmT1_PNSt15iterator_traitsISZ_E10value_typeET2_T3_PNS10_IS15_E10value_typeET4_jRbjT5_S1B_jjP12ihipStream_tbEUljE_ZNSN_ISO_Lb0ESQ_SR_SQ_SR_SV_EESW_SX_SY_SZ_S13_S14_S15_S18_S19_jS1A_jS1B_S1B_jjS1D_bEUljE0_EEESW_SX_SY_S15_S19_S1B_T6_T7_T9_mT8_S1D_bDpT10_ENKUlT_T0_E_clISt17integral_constantIbLb1EES1R_EEDaS1M_S1N_EUlS1M_E_NS1_11comp_targetILNS1_3genE3ELNS1_11target_archE908ELNS1_3gpuE7ELNS1_3repE0EEENS1_30default_config_static_selectorELNS0_4arch9wavefront6targetE0EEEvSZ_.has_recursion, 0
	.set _ZN7rocprim17ROCPRIM_400000_NS6detail17trampoline_kernelINS0_13select_configILj256ELj13ELNS0_17block_load_methodE3ELS4_3ELS4_3ELNS0_20block_scan_algorithmE0ELj4294967295EEENS1_25partition_config_selectorILNS1_17partition_subalgoE4EjNS0_10empty_typeEbEEZZNS1_14partition_implILS8_4ELb0ES6_15HIP_vector_typeIjLj2EENS0_17counting_iteratorIjlEEPS9_SG_NS0_5tupleIJPjSI_NS0_16reverse_iteratorISI_EEEEENSH_IJSG_SG_SG_EEES9_SI_JZNS1_25segmented_radix_sort_implINS0_14default_configELb0EPKlPlSQ_SR_N2at6native12_GLOBAL__N_18offset_tEEE10hipError_tPvRmT1_PNSt15iterator_traitsISZ_E10value_typeET2_T3_PNS10_IS15_E10value_typeET4_jRbjT5_S1B_jjP12ihipStream_tbEUljE_ZNSN_ISO_Lb0ESQ_SR_SQ_SR_SV_EESW_SX_SY_SZ_S13_S14_S15_S18_S19_jS1A_jS1B_S1B_jjS1D_bEUljE0_EEESW_SX_SY_S15_S19_S1B_T6_T7_T9_mT8_S1D_bDpT10_ENKUlT_T0_E_clISt17integral_constantIbLb1EES1R_EEDaS1M_S1N_EUlS1M_E_NS1_11comp_targetILNS1_3genE3ELNS1_11target_archE908ELNS1_3gpuE7ELNS1_3repE0EEENS1_30default_config_static_selectorELNS0_4arch9wavefront6targetE0EEEvSZ_.has_indirect_call, 0
	.section	.AMDGPU.csdata,"",@progbits
; Kernel info:
; codeLenInByte = 0
; TotalNumSgprs: 0
; NumVgprs: 0
; ScratchSize: 0
; MemoryBound: 0
; FloatMode: 240
; IeeeMode: 1
; LDSByteSize: 0 bytes/workgroup (compile time only)
; SGPRBlocks: 0
; VGPRBlocks: 0
; NumSGPRsForWavesPerEU: 1
; NumVGPRsForWavesPerEU: 1
; Occupancy: 16
; WaveLimiterHint : 0
; COMPUTE_PGM_RSRC2:SCRATCH_EN: 0
; COMPUTE_PGM_RSRC2:USER_SGPR: 2
; COMPUTE_PGM_RSRC2:TRAP_HANDLER: 0
; COMPUTE_PGM_RSRC2:TGID_X_EN: 1
; COMPUTE_PGM_RSRC2:TGID_Y_EN: 0
; COMPUTE_PGM_RSRC2:TGID_Z_EN: 0
; COMPUTE_PGM_RSRC2:TIDIG_COMP_CNT: 0
	.section	.text._ZN7rocprim17ROCPRIM_400000_NS6detail17trampoline_kernelINS0_13select_configILj256ELj13ELNS0_17block_load_methodE3ELS4_3ELS4_3ELNS0_20block_scan_algorithmE0ELj4294967295EEENS1_25partition_config_selectorILNS1_17partition_subalgoE4EjNS0_10empty_typeEbEEZZNS1_14partition_implILS8_4ELb0ES6_15HIP_vector_typeIjLj2EENS0_17counting_iteratorIjlEEPS9_SG_NS0_5tupleIJPjSI_NS0_16reverse_iteratorISI_EEEEENSH_IJSG_SG_SG_EEES9_SI_JZNS1_25segmented_radix_sort_implINS0_14default_configELb0EPKlPlSQ_SR_N2at6native12_GLOBAL__N_18offset_tEEE10hipError_tPvRmT1_PNSt15iterator_traitsISZ_E10value_typeET2_T3_PNS10_IS15_E10value_typeET4_jRbjT5_S1B_jjP12ihipStream_tbEUljE_ZNSN_ISO_Lb0ESQ_SR_SQ_SR_SV_EESW_SX_SY_SZ_S13_S14_S15_S18_S19_jS1A_jS1B_S1B_jjS1D_bEUljE0_EEESW_SX_SY_S15_S19_S1B_T6_T7_T9_mT8_S1D_bDpT10_ENKUlT_T0_E_clISt17integral_constantIbLb1EES1R_EEDaS1M_S1N_EUlS1M_E_NS1_11comp_targetILNS1_3genE2ELNS1_11target_archE906ELNS1_3gpuE6ELNS1_3repE0EEENS1_30default_config_static_selectorELNS0_4arch9wavefront6targetE0EEEvSZ_,"axG",@progbits,_ZN7rocprim17ROCPRIM_400000_NS6detail17trampoline_kernelINS0_13select_configILj256ELj13ELNS0_17block_load_methodE3ELS4_3ELS4_3ELNS0_20block_scan_algorithmE0ELj4294967295EEENS1_25partition_config_selectorILNS1_17partition_subalgoE4EjNS0_10empty_typeEbEEZZNS1_14partition_implILS8_4ELb0ES6_15HIP_vector_typeIjLj2EENS0_17counting_iteratorIjlEEPS9_SG_NS0_5tupleIJPjSI_NS0_16reverse_iteratorISI_EEEEENSH_IJSG_SG_SG_EEES9_SI_JZNS1_25segmented_radix_sort_implINS0_14default_configELb0EPKlPlSQ_SR_N2at6native12_GLOBAL__N_18offset_tEEE10hipError_tPvRmT1_PNSt15iterator_traitsISZ_E10value_typeET2_T3_PNS10_IS15_E10value_typeET4_jRbjT5_S1B_jjP12ihipStream_tbEUljE_ZNSN_ISO_Lb0ESQ_SR_SQ_SR_SV_EESW_SX_SY_SZ_S13_S14_S15_S18_S19_jS1A_jS1B_S1B_jjS1D_bEUljE0_EEESW_SX_SY_S15_S19_S1B_T6_T7_T9_mT8_S1D_bDpT10_ENKUlT_T0_E_clISt17integral_constantIbLb1EES1R_EEDaS1M_S1N_EUlS1M_E_NS1_11comp_targetILNS1_3genE2ELNS1_11target_archE906ELNS1_3gpuE6ELNS1_3repE0EEENS1_30default_config_static_selectorELNS0_4arch9wavefront6targetE0EEEvSZ_,comdat
	.globl	_ZN7rocprim17ROCPRIM_400000_NS6detail17trampoline_kernelINS0_13select_configILj256ELj13ELNS0_17block_load_methodE3ELS4_3ELS4_3ELNS0_20block_scan_algorithmE0ELj4294967295EEENS1_25partition_config_selectorILNS1_17partition_subalgoE4EjNS0_10empty_typeEbEEZZNS1_14partition_implILS8_4ELb0ES6_15HIP_vector_typeIjLj2EENS0_17counting_iteratorIjlEEPS9_SG_NS0_5tupleIJPjSI_NS0_16reverse_iteratorISI_EEEEENSH_IJSG_SG_SG_EEES9_SI_JZNS1_25segmented_radix_sort_implINS0_14default_configELb0EPKlPlSQ_SR_N2at6native12_GLOBAL__N_18offset_tEEE10hipError_tPvRmT1_PNSt15iterator_traitsISZ_E10value_typeET2_T3_PNS10_IS15_E10value_typeET4_jRbjT5_S1B_jjP12ihipStream_tbEUljE_ZNSN_ISO_Lb0ESQ_SR_SQ_SR_SV_EESW_SX_SY_SZ_S13_S14_S15_S18_S19_jS1A_jS1B_S1B_jjS1D_bEUljE0_EEESW_SX_SY_S15_S19_S1B_T6_T7_T9_mT8_S1D_bDpT10_ENKUlT_T0_E_clISt17integral_constantIbLb1EES1R_EEDaS1M_S1N_EUlS1M_E_NS1_11comp_targetILNS1_3genE2ELNS1_11target_archE906ELNS1_3gpuE6ELNS1_3repE0EEENS1_30default_config_static_selectorELNS0_4arch9wavefront6targetE0EEEvSZ_ ; -- Begin function _ZN7rocprim17ROCPRIM_400000_NS6detail17trampoline_kernelINS0_13select_configILj256ELj13ELNS0_17block_load_methodE3ELS4_3ELS4_3ELNS0_20block_scan_algorithmE0ELj4294967295EEENS1_25partition_config_selectorILNS1_17partition_subalgoE4EjNS0_10empty_typeEbEEZZNS1_14partition_implILS8_4ELb0ES6_15HIP_vector_typeIjLj2EENS0_17counting_iteratorIjlEEPS9_SG_NS0_5tupleIJPjSI_NS0_16reverse_iteratorISI_EEEEENSH_IJSG_SG_SG_EEES9_SI_JZNS1_25segmented_radix_sort_implINS0_14default_configELb0EPKlPlSQ_SR_N2at6native12_GLOBAL__N_18offset_tEEE10hipError_tPvRmT1_PNSt15iterator_traitsISZ_E10value_typeET2_T3_PNS10_IS15_E10value_typeET4_jRbjT5_S1B_jjP12ihipStream_tbEUljE_ZNSN_ISO_Lb0ESQ_SR_SQ_SR_SV_EESW_SX_SY_SZ_S13_S14_S15_S18_S19_jS1A_jS1B_S1B_jjS1D_bEUljE0_EEESW_SX_SY_S15_S19_S1B_T6_T7_T9_mT8_S1D_bDpT10_ENKUlT_T0_E_clISt17integral_constantIbLb1EES1R_EEDaS1M_S1N_EUlS1M_E_NS1_11comp_targetILNS1_3genE2ELNS1_11target_archE906ELNS1_3gpuE6ELNS1_3repE0EEENS1_30default_config_static_selectorELNS0_4arch9wavefront6targetE0EEEvSZ_
	.p2align	8
	.type	_ZN7rocprim17ROCPRIM_400000_NS6detail17trampoline_kernelINS0_13select_configILj256ELj13ELNS0_17block_load_methodE3ELS4_3ELS4_3ELNS0_20block_scan_algorithmE0ELj4294967295EEENS1_25partition_config_selectorILNS1_17partition_subalgoE4EjNS0_10empty_typeEbEEZZNS1_14partition_implILS8_4ELb0ES6_15HIP_vector_typeIjLj2EENS0_17counting_iteratorIjlEEPS9_SG_NS0_5tupleIJPjSI_NS0_16reverse_iteratorISI_EEEEENSH_IJSG_SG_SG_EEES9_SI_JZNS1_25segmented_radix_sort_implINS0_14default_configELb0EPKlPlSQ_SR_N2at6native12_GLOBAL__N_18offset_tEEE10hipError_tPvRmT1_PNSt15iterator_traitsISZ_E10value_typeET2_T3_PNS10_IS15_E10value_typeET4_jRbjT5_S1B_jjP12ihipStream_tbEUljE_ZNSN_ISO_Lb0ESQ_SR_SQ_SR_SV_EESW_SX_SY_SZ_S13_S14_S15_S18_S19_jS1A_jS1B_S1B_jjS1D_bEUljE0_EEESW_SX_SY_S15_S19_S1B_T6_T7_T9_mT8_S1D_bDpT10_ENKUlT_T0_E_clISt17integral_constantIbLb1EES1R_EEDaS1M_S1N_EUlS1M_E_NS1_11comp_targetILNS1_3genE2ELNS1_11target_archE906ELNS1_3gpuE6ELNS1_3repE0EEENS1_30default_config_static_selectorELNS0_4arch9wavefront6targetE0EEEvSZ_,@function
_ZN7rocprim17ROCPRIM_400000_NS6detail17trampoline_kernelINS0_13select_configILj256ELj13ELNS0_17block_load_methodE3ELS4_3ELS4_3ELNS0_20block_scan_algorithmE0ELj4294967295EEENS1_25partition_config_selectorILNS1_17partition_subalgoE4EjNS0_10empty_typeEbEEZZNS1_14partition_implILS8_4ELb0ES6_15HIP_vector_typeIjLj2EENS0_17counting_iteratorIjlEEPS9_SG_NS0_5tupleIJPjSI_NS0_16reverse_iteratorISI_EEEEENSH_IJSG_SG_SG_EEES9_SI_JZNS1_25segmented_radix_sort_implINS0_14default_configELb0EPKlPlSQ_SR_N2at6native12_GLOBAL__N_18offset_tEEE10hipError_tPvRmT1_PNSt15iterator_traitsISZ_E10value_typeET2_T3_PNS10_IS15_E10value_typeET4_jRbjT5_S1B_jjP12ihipStream_tbEUljE_ZNSN_ISO_Lb0ESQ_SR_SQ_SR_SV_EESW_SX_SY_SZ_S13_S14_S15_S18_S19_jS1A_jS1B_S1B_jjS1D_bEUljE0_EEESW_SX_SY_S15_S19_S1B_T6_T7_T9_mT8_S1D_bDpT10_ENKUlT_T0_E_clISt17integral_constantIbLb1EES1R_EEDaS1M_S1N_EUlS1M_E_NS1_11comp_targetILNS1_3genE2ELNS1_11target_archE906ELNS1_3gpuE6ELNS1_3repE0EEENS1_30default_config_static_selectorELNS0_4arch9wavefront6targetE0EEEvSZ_: ; @_ZN7rocprim17ROCPRIM_400000_NS6detail17trampoline_kernelINS0_13select_configILj256ELj13ELNS0_17block_load_methodE3ELS4_3ELS4_3ELNS0_20block_scan_algorithmE0ELj4294967295EEENS1_25partition_config_selectorILNS1_17partition_subalgoE4EjNS0_10empty_typeEbEEZZNS1_14partition_implILS8_4ELb0ES6_15HIP_vector_typeIjLj2EENS0_17counting_iteratorIjlEEPS9_SG_NS0_5tupleIJPjSI_NS0_16reverse_iteratorISI_EEEEENSH_IJSG_SG_SG_EEES9_SI_JZNS1_25segmented_radix_sort_implINS0_14default_configELb0EPKlPlSQ_SR_N2at6native12_GLOBAL__N_18offset_tEEE10hipError_tPvRmT1_PNSt15iterator_traitsISZ_E10value_typeET2_T3_PNS10_IS15_E10value_typeET4_jRbjT5_S1B_jjP12ihipStream_tbEUljE_ZNSN_ISO_Lb0ESQ_SR_SQ_SR_SV_EESW_SX_SY_SZ_S13_S14_S15_S18_S19_jS1A_jS1B_S1B_jjS1D_bEUljE0_EEESW_SX_SY_S15_S19_S1B_T6_T7_T9_mT8_S1D_bDpT10_ENKUlT_T0_E_clISt17integral_constantIbLb1EES1R_EEDaS1M_S1N_EUlS1M_E_NS1_11comp_targetILNS1_3genE2ELNS1_11target_archE906ELNS1_3gpuE6ELNS1_3repE0EEENS1_30default_config_static_selectorELNS0_4arch9wavefront6targetE0EEEvSZ_
; %bb.0:
	.section	.rodata,"a",@progbits
	.p2align	6, 0x0
	.amdhsa_kernel _ZN7rocprim17ROCPRIM_400000_NS6detail17trampoline_kernelINS0_13select_configILj256ELj13ELNS0_17block_load_methodE3ELS4_3ELS4_3ELNS0_20block_scan_algorithmE0ELj4294967295EEENS1_25partition_config_selectorILNS1_17partition_subalgoE4EjNS0_10empty_typeEbEEZZNS1_14partition_implILS8_4ELb0ES6_15HIP_vector_typeIjLj2EENS0_17counting_iteratorIjlEEPS9_SG_NS0_5tupleIJPjSI_NS0_16reverse_iteratorISI_EEEEENSH_IJSG_SG_SG_EEES9_SI_JZNS1_25segmented_radix_sort_implINS0_14default_configELb0EPKlPlSQ_SR_N2at6native12_GLOBAL__N_18offset_tEEE10hipError_tPvRmT1_PNSt15iterator_traitsISZ_E10value_typeET2_T3_PNS10_IS15_E10value_typeET4_jRbjT5_S1B_jjP12ihipStream_tbEUljE_ZNSN_ISO_Lb0ESQ_SR_SQ_SR_SV_EESW_SX_SY_SZ_S13_S14_S15_S18_S19_jS1A_jS1B_S1B_jjS1D_bEUljE0_EEESW_SX_SY_S15_S19_S1B_T6_T7_T9_mT8_S1D_bDpT10_ENKUlT_T0_E_clISt17integral_constantIbLb1EES1R_EEDaS1M_S1N_EUlS1M_E_NS1_11comp_targetILNS1_3genE2ELNS1_11target_archE906ELNS1_3gpuE6ELNS1_3repE0EEENS1_30default_config_static_selectorELNS0_4arch9wavefront6targetE0EEEvSZ_
		.amdhsa_group_segment_fixed_size 0
		.amdhsa_private_segment_fixed_size 0
		.amdhsa_kernarg_size 184
		.amdhsa_user_sgpr_count 2
		.amdhsa_user_sgpr_dispatch_ptr 0
		.amdhsa_user_sgpr_queue_ptr 0
		.amdhsa_user_sgpr_kernarg_segment_ptr 1
		.amdhsa_user_sgpr_dispatch_id 0
		.amdhsa_user_sgpr_private_segment_size 0
		.amdhsa_wavefront_size32 1
		.amdhsa_uses_dynamic_stack 0
		.amdhsa_enable_private_segment 0
		.amdhsa_system_sgpr_workgroup_id_x 1
		.amdhsa_system_sgpr_workgroup_id_y 0
		.amdhsa_system_sgpr_workgroup_id_z 0
		.amdhsa_system_sgpr_workgroup_info 0
		.amdhsa_system_vgpr_workitem_id 0
		.amdhsa_next_free_vgpr 1
		.amdhsa_next_free_sgpr 1
		.amdhsa_reserve_vcc 0
		.amdhsa_float_round_mode_32 0
		.amdhsa_float_round_mode_16_64 0
		.amdhsa_float_denorm_mode_32 3
		.amdhsa_float_denorm_mode_16_64 3
		.amdhsa_fp16_overflow 0
		.amdhsa_workgroup_processor_mode 1
		.amdhsa_memory_ordered 1
		.amdhsa_forward_progress 1
		.amdhsa_inst_pref_size 0
		.amdhsa_round_robin_scheduling 0
		.amdhsa_exception_fp_ieee_invalid_op 0
		.amdhsa_exception_fp_denorm_src 0
		.amdhsa_exception_fp_ieee_div_zero 0
		.amdhsa_exception_fp_ieee_overflow 0
		.amdhsa_exception_fp_ieee_underflow 0
		.amdhsa_exception_fp_ieee_inexact 0
		.amdhsa_exception_int_div_zero 0
	.end_amdhsa_kernel
	.section	.text._ZN7rocprim17ROCPRIM_400000_NS6detail17trampoline_kernelINS0_13select_configILj256ELj13ELNS0_17block_load_methodE3ELS4_3ELS4_3ELNS0_20block_scan_algorithmE0ELj4294967295EEENS1_25partition_config_selectorILNS1_17partition_subalgoE4EjNS0_10empty_typeEbEEZZNS1_14partition_implILS8_4ELb0ES6_15HIP_vector_typeIjLj2EENS0_17counting_iteratorIjlEEPS9_SG_NS0_5tupleIJPjSI_NS0_16reverse_iteratorISI_EEEEENSH_IJSG_SG_SG_EEES9_SI_JZNS1_25segmented_radix_sort_implINS0_14default_configELb0EPKlPlSQ_SR_N2at6native12_GLOBAL__N_18offset_tEEE10hipError_tPvRmT1_PNSt15iterator_traitsISZ_E10value_typeET2_T3_PNS10_IS15_E10value_typeET4_jRbjT5_S1B_jjP12ihipStream_tbEUljE_ZNSN_ISO_Lb0ESQ_SR_SQ_SR_SV_EESW_SX_SY_SZ_S13_S14_S15_S18_S19_jS1A_jS1B_S1B_jjS1D_bEUljE0_EEESW_SX_SY_S15_S19_S1B_T6_T7_T9_mT8_S1D_bDpT10_ENKUlT_T0_E_clISt17integral_constantIbLb1EES1R_EEDaS1M_S1N_EUlS1M_E_NS1_11comp_targetILNS1_3genE2ELNS1_11target_archE906ELNS1_3gpuE6ELNS1_3repE0EEENS1_30default_config_static_selectorELNS0_4arch9wavefront6targetE0EEEvSZ_,"axG",@progbits,_ZN7rocprim17ROCPRIM_400000_NS6detail17trampoline_kernelINS0_13select_configILj256ELj13ELNS0_17block_load_methodE3ELS4_3ELS4_3ELNS0_20block_scan_algorithmE0ELj4294967295EEENS1_25partition_config_selectorILNS1_17partition_subalgoE4EjNS0_10empty_typeEbEEZZNS1_14partition_implILS8_4ELb0ES6_15HIP_vector_typeIjLj2EENS0_17counting_iteratorIjlEEPS9_SG_NS0_5tupleIJPjSI_NS0_16reverse_iteratorISI_EEEEENSH_IJSG_SG_SG_EEES9_SI_JZNS1_25segmented_radix_sort_implINS0_14default_configELb0EPKlPlSQ_SR_N2at6native12_GLOBAL__N_18offset_tEEE10hipError_tPvRmT1_PNSt15iterator_traitsISZ_E10value_typeET2_T3_PNS10_IS15_E10value_typeET4_jRbjT5_S1B_jjP12ihipStream_tbEUljE_ZNSN_ISO_Lb0ESQ_SR_SQ_SR_SV_EESW_SX_SY_SZ_S13_S14_S15_S18_S19_jS1A_jS1B_S1B_jjS1D_bEUljE0_EEESW_SX_SY_S15_S19_S1B_T6_T7_T9_mT8_S1D_bDpT10_ENKUlT_T0_E_clISt17integral_constantIbLb1EES1R_EEDaS1M_S1N_EUlS1M_E_NS1_11comp_targetILNS1_3genE2ELNS1_11target_archE906ELNS1_3gpuE6ELNS1_3repE0EEENS1_30default_config_static_selectorELNS0_4arch9wavefront6targetE0EEEvSZ_,comdat
.Lfunc_end755:
	.size	_ZN7rocprim17ROCPRIM_400000_NS6detail17trampoline_kernelINS0_13select_configILj256ELj13ELNS0_17block_load_methodE3ELS4_3ELS4_3ELNS0_20block_scan_algorithmE0ELj4294967295EEENS1_25partition_config_selectorILNS1_17partition_subalgoE4EjNS0_10empty_typeEbEEZZNS1_14partition_implILS8_4ELb0ES6_15HIP_vector_typeIjLj2EENS0_17counting_iteratorIjlEEPS9_SG_NS0_5tupleIJPjSI_NS0_16reverse_iteratorISI_EEEEENSH_IJSG_SG_SG_EEES9_SI_JZNS1_25segmented_radix_sort_implINS0_14default_configELb0EPKlPlSQ_SR_N2at6native12_GLOBAL__N_18offset_tEEE10hipError_tPvRmT1_PNSt15iterator_traitsISZ_E10value_typeET2_T3_PNS10_IS15_E10value_typeET4_jRbjT5_S1B_jjP12ihipStream_tbEUljE_ZNSN_ISO_Lb0ESQ_SR_SQ_SR_SV_EESW_SX_SY_SZ_S13_S14_S15_S18_S19_jS1A_jS1B_S1B_jjS1D_bEUljE0_EEESW_SX_SY_S15_S19_S1B_T6_T7_T9_mT8_S1D_bDpT10_ENKUlT_T0_E_clISt17integral_constantIbLb1EES1R_EEDaS1M_S1N_EUlS1M_E_NS1_11comp_targetILNS1_3genE2ELNS1_11target_archE906ELNS1_3gpuE6ELNS1_3repE0EEENS1_30default_config_static_selectorELNS0_4arch9wavefront6targetE0EEEvSZ_, .Lfunc_end755-_ZN7rocprim17ROCPRIM_400000_NS6detail17trampoline_kernelINS0_13select_configILj256ELj13ELNS0_17block_load_methodE3ELS4_3ELS4_3ELNS0_20block_scan_algorithmE0ELj4294967295EEENS1_25partition_config_selectorILNS1_17partition_subalgoE4EjNS0_10empty_typeEbEEZZNS1_14partition_implILS8_4ELb0ES6_15HIP_vector_typeIjLj2EENS0_17counting_iteratorIjlEEPS9_SG_NS0_5tupleIJPjSI_NS0_16reverse_iteratorISI_EEEEENSH_IJSG_SG_SG_EEES9_SI_JZNS1_25segmented_radix_sort_implINS0_14default_configELb0EPKlPlSQ_SR_N2at6native12_GLOBAL__N_18offset_tEEE10hipError_tPvRmT1_PNSt15iterator_traitsISZ_E10value_typeET2_T3_PNS10_IS15_E10value_typeET4_jRbjT5_S1B_jjP12ihipStream_tbEUljE_ZNSN_ISO_Lb0ESQ_SR_SQ_SR_SV_EESW_SX_SY_SZ_S13_S14_S15_S18_S19_jS1A_jS1B_S1B_jjS1D_bEUljE0_EEESW_SX_SY_S15_S19_S1B_T6_T7_T9_mT8_S1D_bDpT10_ENKUlT_T0_E_clISt17integral_constantIbLb1EES1R_EEDaS1M_S1N_EUlS1M_E_NS1_11comp_targetILNS1_3genE2ELNS1_11target_archE906ELNS1_3gpuE6ELNS1_3repE0EEENS1_30default_config_static_selectorELNS0_4arch9wavefront6targetE0EEEvSZ_
                                        ; -- End function
	.set _ZN7rocprim17ROCPRIM_400000_NS6detail17trampoline_kernelINS0_13select_configILj256ELj13ELNS0_17block_load_methodE3ELS4_3ELS4_3ELNS0_20block_scan_algorithmE0ELj4294967295EEENS1_25partition_config_selectorILNS1_17partition_subalgoE4EjNS0_10empty_typeEbEEZZNS1_14partition_implILS8_4ELb0ES6_15HIP_vector_typeIjLj2EENS0_17counting_iteratorIjlEEPS9_SG_NS0_5tupleIJPjSI_NS0_16reverse_iteratorISI_EEEEENSH_IJSG_SG_SG_EEES9_SI_JZNS1_25segmented_radix_sort_implINS0_14default_configELb0EPKlPlSQ_SR_N2at6native12_GLOBAL__N_18offset_tEEE10hipError_tPvRmT1_PNSt15iterator_traitsISZ_E10value_typeET2_T3_PNS10_IS15_E10value_typeET4_jRbjT5_S1B_jjP12ihipStream_tbEUljE_ZNSN_ISO_Lb0ESQ_SR_SQ_SR_SV_EESW_SX_SY_SZ_S13_S14_S15_S18_S19_jS1A_jS1B_S1B_jjS1D_bEUljE0_EEESW_SX_SY_S15_S19_S1B_T6_T7_T9_mT8_S1D_bDpT10_ENKUlT_T0_E_clISt17integral_constantIbLb1EES1R_EEDaS1M_S1N_EUlS1M_E_NS1_11comp_targetILNS1_3genE2ELNS1_11target_archE906ELNS1_3gpuE6ELNS1_3repE0EEENS1_30default_config_static_selectorELNS0_4arch9wavefront6targetE0EEEvSZ_.num_vgpr, 0
	.set _ZN7rocprim17ROCPRIM_400000_NS6detail17trampoline_kernelINS0_13select_configILj256ELj13ELNS0_17block_load_methodE3ELS4_3ELS4_3ELNS0_20block_scan_algorithmE0ELj4294967295EEENS1_25partition_config_selectorILNS1_17partition_subalgoE4EjNS0_10empty_typeEbEEZZNS1_14partition_implILS8_4ELb0ES6_15HIP_vector_typeIjLj2EENS0_17counting_iteratorIjlEEPS9_SG_NS0_5tupleIJPjSI_NS0_16reverse_iteratorISI_EEEEENSH_IJSG_SG_SG_EEES9_SI_JZNS1_25segmented_radix_sort_implINS0_14default_configELb0EPKlPlSQ_SR_N2at6native12_GLOBAL__N_18offset_tEEE10hipError_tPvRmT1_PNSt15iterator_traitsISZ_E10value_typeET2_T3_PNS10_IS15_E10value_typeET4_jRbjT5_S1B_jjP12ihipStream_tbEUljE_ZNSN_ISO_Lb0ESQ_SR_SQ_SR_SV_EESW_SX_SY_SZ_S13_S14_S15_S18_S19_jS1A_jS1B_S1B_jjS1D_bEUljE0_EEESW_SX_SY_S15_S19_S1B_T6_T7_T9_mT8_S1D_bDpT10_ENKUlT_T0_E_clISt17integral_constantIbLb1EES1R_EEDaS1M_S1N_EUlS1M_E_NS1_11comp_targetILNS1_3genE2ELNS1_11target_archE906ELNS1_3gpuE6ELNS1_3repE0EEENS1_30default_config_static_selectorELNS0_4arch9wavefront6targetE0EEEvSZ_.num_agpr, 0
	.set _ZN7rocprim17ROCPRIM_400000_NS6detail17trampoline_kernelINS0_13select_configILj256ELj13ELNS0_17block_load_methodE3ELS4_3ELS4_3ELNS0_20block_scan_algorithmE0ELj4294967295EEENS1_25partition_config_selectorILNS1_17partition_subalgoE4EjNS0_10empty_typeEbEEZZNS1_14partition_implILS8_4ELb0ES6_15HIP_vector_typeIjLj2EENS0_17counting_iteratorIjlEEPS9_SG_NS0_5tupleIJPjSI_NS0_16reverse_iteratorISI_EEEEENSH_IJSG_SG_SG_EEES9_SI_JZNS1_25segmented_radix_sort_implINS0_14default_configELb0EPKlPlSQ_SR_N2at6native12_GLOBAL__N_18offset_tEEE10hipError_tPvRmT1_PNSt15iterator_traitsISZ_E10value_typeET2_T3_PNS10_IS15_E10value_typeET4_jRbjT5_S1B_jjP12ihipStream_tbEUljE_ZNSN_ISO_Lb0ESQ_SR_SQ_SR_SV_EESW_SX_SY_SZ_S13_S14_S15_S18_S19_jS1A_jS1B_S1B_jjS1D_bEUljE0_EEESW_SX_SY_S15_S19_S1B_T6_T7_T9_mT8_S1D_bDpT10_ENKUlT_T0_E_clISt17integral_constantIbLb1EES1R_EEDaS1M_S1N_EUlS1M_E_NS1_11comp_targetILNS1_3genE2ELNS1_11target_archE906ELNS1_3gpuE6ELNS1_3repE0EEENS1_30default_config_static_selectorELNS0_4arch9wavefront6targetE0EEEvSZ_.numbered_sgpr, 0
	.set _ZN7rocprim17ROCPRIM_400000_NS6detail17trampoline_kernelINS0_13select_configILj256ELj13ELNS0_17block_load_methodE3ELS4_3ELS4_3ELNS0_20block_scan_algorithmE0ELj4294967295EEENS1_25partition_config_selectorILNS1_17partition_subalgoE4EjNS0_10empty_typeEbEEZZNS1_14partition_implILS8_4ELb0ES6_15HIP_vector_typeIjLj2EENS0_17counting_iteratorIjlEEPS9_SG_NS0_5tupleIJPjSI_NS0_16reverse_iteratorISI_EEEEENSH_IJSG_SG_SG_EEES9_SI_JZNS1_25segmented_radix_sort_implINS0_14default_configELb0EPKlPlSQ_SR_N2at6native12_GLOBAL__N_18offset_tEEE10hipError_tPvRmT1_PNSt15iterator_traitsISZ_E10value_typeET2_T3_PNS10_IS15_E10value_typeET4_jRbjT5_S1B_jjP12ihipStream_tbEUljE_ZNSN_ISO_Lb0ESQ_SR_SQ_SR_SV_EESW_SX_SY_SZ_S13_S14_S15_S18_S19_jS1A_jS1B_S1B_jjS1D_bEUljE0_EEESW_SX_SY_S15_S19_S1B_T6_T7_T9_mT8_S1D_bDpT10_ENKUlT_T0_E_clISt17integral_constantIbLb1EES1R_EEDaS1M_S1N_EUlS1M_E_NS1_11comp_targetILNS1_3genE2ELNS1_11target_archE906ELNS1_3gpuE6ELNS1_3repE0EEENS1_30default_config_static_selectorELNS0_4arch9wavefront6targetE0EEEvSZ_.num_named_barrier, 0
	.set _ZN7rocprim17ROCPRIM_400000_NS6detail17trampoline_kernelINS0_13select_configILj256ELj13ELNS0_17block_load_methodE3ELS4_3ELS4_3ELNS0_20block_scan_algorithmE0ELj4294967295EEENS1_25partition_config_selectorILNS1_17partition_subalgoE4EjNS0_10empty_typeEbEEZZNS1_14partition_implILS8_4ELb0ES6_15HIP_vector_typeIjLj2EENS0_17counting_iteratorIjlEEPS9_SG_NS0_5tupleIJPjSI_NS0_16reverse_iteratorISI_EEEEENSH_IJSG_SG_SG_EEES9_SI_JZNS1_25segmented_radix_sort_implINS0_14default_configELb0EPKlPlSQ_SR_N2at6native12_GLOBAL__N_18offset_tEEE10hipError_tPvRmT1_PNSt15iterator_traitsISZ_E10value_typeET2_T3_PNS10_IS15_E10value_typeET4_jRbjT5_S1B_jjP12ihipStream_tbEUljE_ZNSN_ISO_Lb0ESQ_SR_SQ_SR_SV_EESW_SX_SY_SZ_S13_S14_S15_S18_S19_jS1A_jS1B_S1B_jjS1D_bEUljE0_EEESW_SX_SY_S15_S19_S1B_T6_T7_T9_mT8_S1D_bDpT10_ENKUlT_T0_E_clISt17integral_constantIbLb1EES1R_EEDaS1M_S1N_EUlS1M_E_NS1_11comp_targetILNS1_3genE2ELNS1_11target_archE906ELNS1_3gpuE6ELNS1_3repE0EEENS1_30default_config_static_selectorELNS0_4arch9wavefront6targetE0EEEvSZ_.private_seg_size, 0
	.set _ZN7rocprim17ROCPRIM_400000_NS6detail17trampoline_kernelINS0_13select_configILj256ELj13ELNS0_17block_load_methodE3ELS4_3ELS4_3ELNS0_20block_scan_algorithmE0ELj4294967295EEENS1_25partition_config_selectorILNS1_17partition_subalgoE4EjNS0_10empty_typeEbEEZZNS1_14partition_implILS8_4ELb0ES6_15HIP_vector_typeIjLj2EENS0_17counting_iteratorIjlEEPS9_SG_NS0_5tupleIJPjSI_NS0_16reverse_iteratorISI_EEEEENSH_IJSG_SG_SG_EEES9_SI_JZNS1_25segmented_radix_sort_implINS0_14default_configELb0EPKlPlSQ_SR_N2at6native12_GLOBAL__N_18offset_tEEE10hipError_tPvRmT1_PNSt15iterator_traitsISZ_E10value_typeET2_T3_PNS10_IS15_E10value_typeET4_jRbjT5_S1B_jjP12ihipStream_tbEUljE_ZNSN_ISO_Lb0ESQ_SR_SQ_SR_SV_EESW_SX_SY_SZ_S13_S14_S15_S18_S19_jS1A_jS1B_S1B_jjS1D_bEUljE0_EEESW_SX_SY_S15_S19_S1B_T6_T7_T9_mT8_S1D_bDpT10_ENKUlT_T0_E_clISt17integral_constantIbLb1EES1R_EEDaS1M_S1N_EUlS1M_E_NS1_11comp_targetILNS1_3genE2ELNS1_11target_archE906ELNS1_3gpuE6ELNS1_3repE0EEENS1_30default_config_static_selectorELNS0_4arch9wavefront6targetE0EEEvSZ_.uses_vcc, 0
	.set _ZN7rocprim17ROCPRIM_400000_NS6detail17trampoline_kernelINS0_13select_configILj256ELj13ELNS0_17block_load_methodE3ELS4_3ELS4_3ELNS0_20block_scan_algorithmE0ELj4294967295EEENS1_25partition_config_selectorILNS1_17partition_subalgoE4EjNS0_10empty_typeEbEEZZNS1_14partition_implILS8_4ELb0ES6_15HIP_vector_typeIjLj2EENS0_17counting_iteratorIjlEEPS9_SG_NS0_5tupleIJPjSI_NS0_16reverse_iteratorISI_EEEEENSH_IJSG_SG_SG_EEES9_SI_JZNS1_25segmented_radix_sort_implINS0_14default_configELb0EPKlPlSQ_SR_N2at6native12_GLOBAL__N_18offset_tEEE10hipError_tPvRmT1_PNSt15iterator_traitsISZ_E10value_typeET2_T3_PNS10_IS15_E10value_typeET4_jRbjT5_S1B_jjP12ihipStream_tbEUljE_ZNSN_ISO_Lb0ESQ_SR_SQ_SR_SV_EESW_SX_SY_SZ_S13_S14_S15_S18_S19_jS1A_jS1B_S1B_jjS1D_bEUljE0_EEESW_SX_SY_S15_S19_S1B_T6_T7_T9_mT8_S1D_bDpT10_ENKUlT_T0_E_clISt17integral_constantIbLb1EES1R_EEDaS1M_S1N_EUlS1M_E_NS1_11comp_targetILNS1_3genE2ELNS1_11target_archE906ELNS1_3gpuE6ELNS1_3repE0EEENS1_30default_config_static_selectorELNS0_4arch9wavefront6targetE0EEEvSZ_.uses_flat_scratch, 0
	.set _ZN7rocprim17ROCPRIM_400000_NS6detail17trampoline_kernelINS0_13select_configILj256ELj13ELNS0_17block_load_methodE3ELS4_3ELS4_3ELNS0_20block_scan_algorithmE0ELj4294967295EEENS1_25partition_config_selectorILNS1_17partition_subalgoE4EjNS0_10empty_typeEbEEZZNS1_14partition_implILS8_4ELb0ES6_15HIP_vector_typeIjLj2EENS0_17counting_iteratorIjlEEPS9_SG_NS0_5tupleIJPjSI_NS0_16reverse_iteratorISI_EEEEENSH_IJSG_SG_SG_EEES9_SI_JZNS1_25segmented_radix_sort_implINS0_14default_configELb0EPKlPlSQ_SR_N2at6native12_GLOBAL__N_18offset_tEEE10hipError_tPvRmT1_PNSt15iterator_traitsISZ_E10value_typeET2_T3_PNS10_IS15_E10value_typeET4_jRbjT5_S1B_jjP12ihipStream_tbEUljE_ZNSN_ISO_Lb0ESQ_SR_SQ_SR_SV_EESW_SX_SY_SZ_S13_S14_S15_S18_S19_jS1A_jS1B_S1B_jjS1D_bEUljE0_EEESW_SX_SY_S15_S19_S1B_T6_T7_T9_mT8_S1D_bDpT10_ENKUlT_T0_E_clISt17integral_constantIbLb1EES1R_EEDaS1M_S1N_EUlS1M_E_NS1_11comp_targetILNS1_3genE2ELNS1_11target_archE906ELNS1_3gpuE6ELNS1_3repE0EEENS1_30default_config_static_selectorELNS0_4arch9wavefront6targetE0EEEvSZ_.has_dyn_sized_stack, 0
	.set _ZN7rocprim17ROCPRIM_400000_NS6detail17trampoline_kernelINS0_13select_configILj256ELj13ELNS0_17block_load_methodE3ELS4_3ELS4_3ELNS0_20block_scan_algorithmE0ELj4294967295EEENS1_25partition_config_selectorILNS1_17partition_subalgoE4EjNS0_10empty_typeEbEEZZNS1_14partition_implILS8_4ELb0ES6_15HIP_vector_typeIjLj2EENS0_17counting_iteratorIjlEEPS9_SG_NS0_5tupleIJPjSI_NS0_16reverse_iteratorISI_EEEEENSH_IJSG_SG_SG_EEES9_SI_JZNS1_25segmented_radix_sort_implINS0_14default_configELb0EPKlPlSQ_SR_N2at6native12_GLOBAL__N_18offset_tEEE10hipError_tPvRmT1_PNSt15iterator_traitsISZ_E10value_typeET2_T3_PNS10_IS15_E10value_typeET4_jRbjT5_S1B_jjP12ihipStream_tbEUljE_ZNSN_ISO_Lb0ESQ_SR_SQ_SR_SV_EESW_SX_SY_SZ_S13_S14_S15_S18_S19_jS1A_jS1B_S1B_jjS1D_bEUljE0_EEESW_SX_SY_S15_S19_S1B_T6_T7_T9_mT8_S1D_bDpT10_ENKUlT_T0_E_clISt17integral_constantIbLb1EES1R_EEDaS1M_S1N_EUlS1M_E_NS1_11comp_targetILNS1_3genE2ELNS1_11target_archE906ELNS1_3gpuE6ELNS1_3repE0EEENS1_30default_config_static_selectorELNS0_4arch9wavefront6targetE0EEEvSZ_.has_recursion, 0
	.set _ZN7rocprim17ROCPRIM_400000_NS6detail17trampoline_kernelINS0_13select_configILj256ELj13ELNS0_17block_load_methodE3ELS4_3ELS4_3ELNS0_20block_scan_algorithmE0ELj4294967295EEENS1_25partition_config_selectorILNS1_17partition_subalgoE4EjNS0_10empty_typeEbEEZZNS1_14partition_implILS8_4ELb0ES6_15HIP_vector_typeIjLj2EENS0_17counting_iteratorIjlEEPS9_SG_NS0_5tupleIJPjSI_NS0_16reverse_iteratorISI_EEEEENSH_IJSG_SG_SG_EEES9_SI_JZNS1_25segmented_radix_sort_implINS0_14default_configELb0EPKlPlSQ_SR_N2at6native12_GLOBAL__N_18offset_tEEE10hipError_tPvRmT1_PNSt15iterator_traitsISZ_E10value_typeET2_T3_PNS10_IS15_E10value_typeET4_jRbjT5_S1B_jjP12ihipStream_tbEUljE_ZNSN_ISO_Lb0ESQ_SR_SQ_SR_SV_EESW_SX_SY_SZ_S13_S14_S15_S18_S19_jS1A_jS1B_S1B_jjS1D_bEUljE0_EEESW_SX_SY_S15_S19_S1B_T6_T7_T9_mT8_S1D_bDpT10_ENKUlT_T0_E_clISt17integral_constantIbLb1EES1R_EEDaS1M_S1N_EUlS1M_E_NS1_11comp_targetILNS1_3genE2ELNS1_11target_archE906ELNS1_3gpuE6ELNS1_3repE0EEENS1_30default_config_static_selectorELNS0_4arch9wavefront6targetE0EEEvSZ_.has_indirect_call, 0
	.section	.AMDGPU.csdata,"",@progbits
; Kernel info:
; codeLenInByte = 0
; TotalNumSgprs: 0
; NumVgprs: 0
; ScratchSize: 0
; MemoryBound: 0
; FloatMode: 240
; IeeeMode: 1
; LDSByteSize: 0 bytes/workgroup (compile time only)
; SGPRBlocks: 0
; VGPRBlocks: 0
; NumSGPRsForWavesPerEU: 1
; NumVGPRsForWavesPerEU: 1
; Occupancy: 16
; WaveLimiterHint : 0
; COMPUTE_PGM_RSRC2:SCRATCH_EN: 0
; COMPUTE_PGM_RSRC2:USER_SGPR: 2
; COMPUTE_PGM_RSRC2:TRAP_HANDLER: 0
; COMPUTE_PGM_RSRC2:TGID_X_EN: 1
; COMPUTE_PGM_RSRC2:TGID_Y_EN: 0
; COMPUTE_PGM_RSRC2:TGID_Z_EN: 0
; COMPUTE_PGM_RSRC2:TIDIG_COMP_CNT: 0
	.section	.text._ZN7rocprim17ROCPRIM_400000_NS6detail17trampoline_kernelINS0_13select_configILj256ELj13ELNS0_17block_load_methodE3ELS4_3ELS4_3ELNS0_20block_scan_algorithmE0ELj4294967295EEENS1_25partition_config_selectorILNS1_17partition_subalgoE4EjNS0_10empty_typeEbEEZZNS1_14partition_implILS8_4ELb0ES6_15HIP_vector_typeIjLj2EENS0_17counting_iteratorIjlEEPS9_SG_NS0_5tupleIJPjSI_NS0_16reverse_iteratorISI_EEEEENSH_IJSG_SG_SG_EEES9_SI_JZNS1_25segmented_radix_sort_implINS0_14default_configELb0EPKlPlSQ_SR_N2at6native12_GLOBAL__N_18offset_tEEE10hipError_tPvRmT1_PNSt15iterator_traitsISZ_E10value_typeET2_T3_PNS10_IS15_E10value_typeET4_jRbjT5_S1B_jjP12ihipStream_tbEUljE_ZNSN_ISO_Lb0ESQ_SR_SQ_SR_SV_EESW_SX_SY_SZ_S13_S14_S15_S18_S19_jS1A_jS1B_S1B_jjS1D_bEUljE0_EEESW_SX_SY_S15_S19_S1B_T6_T7_T9_mT8_S1D_bDpT10_ENKUlT_T0_E_clISt17integral_constantIbLb1EES1R_EEDaS1M_S1N_EUlS1M_E_NS1_11comp_targetILNS1_3genE10ELNS1_11target_archE1200ELNS1_3gpuE4ELNS1_3repE0EEENS1_30default_config_static_selectorELNS0_4arch9wavefront6targetE0EEEvSZ_,"axG",@progbits,_ZN7rocprim17ROCPRIM_400000_NS6detail17trampoline_kernelINS0_13select_configILj256ELj13ELNS0_17block_load_methodE3ELS4_3ELS4_3ELNS0_20block_scan_algorithmE0ELj4294967295EEENS1_25partition_config_selectorILNS1_17partition_subalgoE4EjNS0_10empty_typeEbEEZZNS1_14partition_implILS8_4ELb0ES6_15HIP_vector_typeIjLj2EENS0_17counting_iteratorIjlEEPS9_SG_NS0_5tupleIJPjSI_NS0_16reverse_iteratorISI_EEEEENSH_IJSG_SG_SG_EEES9_SI_JZNS1_25segmented_radix_sort_implINS0_14default_configELb0EPKlPlSQ_SR_N2at6native12_GLOBAL__N_18offset_tEEE10hipError_tPvRmT1_PNSt15iterator_traitsISZ_E10value_typeET2_T3_PNS10_IS15_E10value_typeET4_jRbjT5_S1B_jjP12ihipStream_tbEUljE_ZNSN_ISO_Lb0ESQ_SR_SQ_SR_SV_EESW_SX_SY_SZ_S13_S14_S15_S18_S19_jS1A_jS1B_S1B_jjS1D_bEUljE0_EEESW_SX_SY_S15_S19_S1B_T6_T7_T9_mT8_S1D_bDpT10_ENKUlT_T0_E_clISt17integral_constantIbLb1EES1R_EEDaS1M_S1N_EUlS1M_E_NS1_11comp_targetILNS1_3genE10ELNS1_11target_archE1200ELNS1_3gpuE4ELNS1_3repE0EEENS1_30default_config_static_selectorELNS0_4arch9wavefront6targetE0EEEvSZ_,comdat
	.globl	_ZN7rocprim17ROCPRIM_400000_NS6detail17trampoline_kernelINS0_13select_configILj256ELj13ELNS0_17block_load_methodE3ELS4_3ELS4_3ELNS0_20block_scan_algorithmE0ELj4294967295EEENS1_25partition_config_selectorILNS1_17partition_subalgoE4EjNS0_10empty_typeEbEEZZNS1_14partition_implILS8_4ELb0ES6_15HIP_vector_typeIjLj2EENS0_17counting_iteratorIjlEEPS9_SG_NS0_5tupleIJPjSI_NS0_16reverse_iteratorISI_EEEEENSH_IJSG_SG_SG_EEES9_SI_JZNS1_25segmented_radix_sort_implINS0_14default_configELb0EPKlPlSQ_SR_N2at6native12_GLOBAL__N_18offset_tEEE10hipError_tPvRmT1_PNSt15iterator_traitsISZ_E10value_typeET2_T3_PNS10_IS15_E10value_typeET4_jRbjT5_S1B_jjP12ihipStream_tbEUljE_ZNSN_ISO_Lb0ESQ_SR_SQ_SR_SV_EESW_SX_SY_SZ_S13_S14_S15_S18_S19_jS1A_jS1B_S1B_jjS1D_bEUljE0_EEESW_SX_SY_S15_S19_S1B_T6_T7_T9_mT8_S1D_bDpT10_ENKUlT_T0_E_clISt17integral_constantIbLb1EES1R_EEDaS1M_S1N_EUlS1M_E_NS1_11comp_targetILNS1_3genE10ELNS1_11target_archE1200ELNS1_3gpuE4ELNS1_3repE0EEENS1_30default_config_static_selectorELNS0_4arch9wavefront6targetE0EEEvSZ_ ; -- Begin function _ZN7rocprim17ROCPRIM_400000_NS6detail17trampoline_kernelINS0_13select_configILj256ELj13ELNS0_17block_load_methodE3ELS4_3ELS4_3ELNS0_20block_scan_algorithmE0ELj4294967295EEENS1_25partition_config_selectorILNS1_17partition_subalgoE4EjNS0_10empty_typeEbEEZZNS1_14partition_implILS8_4ELb0ES6_15HIP_vector_typeIjLj2EENS0_17counting_iteratorIjlEEPS9_SG_NS0_5tupleIJPjSI_NS0_16reverse_iteratorISI_EEEEENSH_IJSG_SG_SG_EEES9_SI_JZNS1_25segmented_radix_sort_implINS0_14default_configELb0EPKlPlSQ_SR_N2at6native12_GLOBAL__N_18offset_tEEE10hipError_tPvRmT1_PNSt15iterator_traitsISZ_E10value_typeET2_T3_PNS10_IS15_E10value_typeET4_jRbjT5_S1B_jjP12ihipStream_tbEUljE_ZNSN_ISO_Lb0ESQ_SR_SQ_SR_SV_EESW_SX_SY_SZ_S13_S14_S15_S18_S19_jS1A_jS1B_S1B_jjS1D_bEUljE0_EEESW_SX_SY_S15_S19_S1B_T6_T7_T9_mT8_S1D_bDpT10_ENKUlT_T0_E_clISt17integral_constantIbLb1EES1R_EEDaS1M_S1N_EUlS1M_E_NS1_11comp_targetILNS1_3genE10ELNS1_11target_archE1200ELNS1_3gpuE4ELNS1_3repE0EEENS1_30default_config_static_selectorELNS0_4arch9wavefront6targetE0EEEvSZ_
	.p2align	8
	.type	_ZN7rocprim17ROCPRIM_400000_NS6detail17trampoline_kernelINS0_13select_configILj256ELj13ELNS0_17block_load_methodE3ELS4_3ELS4_3ELNS0_20block_scan_algorithmE0ELj4294967295EEENS1_25partition_config_selectorILNS1_17partition_subalgoE4EjNS0_10empty_typeEbEEZZNS1_14partition_implILS8_4ELb0ES6_15HIP_vector_typeIjLj2EENS0_17counting_iteratorIjlEEPS9_SG_NS0_5tupleIJPjSI_NS0_16reverse_iteratorISI_EEEEENSH_IJSG_SG_SG_EEES9_SI_JZNS1_25segmented_radix_sort_implINS0_14default_configELb0EPKlPlSQ_SR_N2at6native12_GLOBAL__N_18offset_tEEE10hipError_tPvRmT1_PNSt15iterator_traitsISZ_E10value_typeET2_T3_PNS10_IS15_E10value_typeET4_jRbjT5_S1B_jjP12ihipStream_tbEUljE_ZNSN_ISO_Lb0ESQ_SR_SQ_SR_SV_EESW_SX_SY_SZ_S13_S14_S15_S18_S19_jS1A_jS1B_S1B_jjS1D_bEUljE0_EEESW_SX_SY_S15_S19_S1B_T6_T7_T9_mT8_S1D_bDpT10_ENKUlT_T0_E_clISt17integral_constantIbLb1EES1R_EEDaS1M_S1N_EUlS1M_E_NS1_11comp_targetILNS1_3genE10ELNS1_11target_archE1200ELNS1_3gpuE4ELNS1_3repE0EEENS1_30default_config_static_selectorELNS0_4arch9wavefront6targetE0EEEvSZ_,@function
_ZN7rocprim17ROCPRIM_400000_NS6detail17trampoline_kernelINS0_13select_configILj256ELj13ELNS0_17block_load_methodE3ELS4_3ELS4_3ELNS0_20block_scan_algorithmE0ELj4294967295EEENS1_25partition_config_selectorILNS1_17partition_subalgoE4EjNS0_10empty_typeEbEEZZNS1_14partition_implILS8_4ELb0ES6_15HIP_vector_typeIjLj2EENS0_17counting_iteratorIjlEEPS9_SG_NS0_5tupleIJPjSI_NS0_16reverse_iteratorISI_EEEEENSH_IJSG_SG_SG_EEES9_SI_JZNS1_25segmented_radix_sort_implINS0_14default_configELb0EPKlPlSQ_SR_N2at6native12_GLOBAL__N_18offset_tEEE10hipError_tPvRmT1_PNSt15iterator_traitsISZ_E10value_typeET2_T3_PNS10_IS15_E10value_typeET4_jRbjT5_S1B_jjP12ihipStream_tbEUljE_ZNSN_ISO_Lb0ESQ_SR_SQ_SR_SV_EESW_SX_SY_SZ_S13_S14_S15_S18_S19_jS1A_jS1B_S1B_jjS1D_bEUljE0_EEESW_SX_SY_S15_S19_S1B_T6_T7_T9_mT8_S1D_bDpT10_ENKUlT_T0_E_clISt17integral_constantIbLb1EES1R_EEDaS1M_S1N_EUlS1M_E_NS1_11comp_targetILNS1_3genE10ELNS1_11target_archE1200ELNS1_3gpuE4ELNS1_3repE0EEENS1_30default_config_static_selectorELNS0_4arch9wavefront6targetE0EEEvSZ_: ; @_ZN7rocprim17ROCPRIM_400000_NS6detail17trampoline_kernelINS0_13select_configILj256ELj13ELNS0_17block_load_methodE3ELS4_3ELS4_3ELNS0_20block_scan_algorithmE0ELj4294967295EEENS1_25partition_config_selectorILNS1_17partition_subalgoE4EjNS0_10empty_typeEbEEZZNS1_14partition_implILS8_4ELb0ES6_15HIP_vector_typeIjLj2EENS0_17counting_iteratorIjlEEPS9_SG_NS0_5tupleIJPjSI_NS0_16reverse_iteratorISI_EEEEENSH_IJSG_SG_SG_EEES9_SI_JZNS1_25segmented_radix_sort_implINS0_14default_configELb0EPKlPlSQ_SR_N2at6native12_GLOBAL__N_18offset_tEEE10hipError_tPvRmT1_PNSt15iterator_traitsISZ_E10value_typeET2_T3_PNS10_IS15_E10value_typeET4_jRbjT5_S1B_jjP12ihipStream_tbEUljE_ZNSN_ISO_Lb0ESQ_SR_SQ_SR_SV_EESW_SX_SY_SZ_S13_S14_S15_S18_S19_jS1A_jS1B_S1B_jjS1D_bEUljE0_EEESW_SX_SY_S15_S19_S1B_T6_T7_T9_mT8_S1D_bDpT10_ENKUlT_T0_E_clISt17integral_constantIbLb1EES1R_EEDaS1M_S1N_EUlS1M_E_NS1_11comp_targetILNS1_3genE10ELNS1_11target_archE1200ELNS1_3gpuE4ELNS1_3repE0EEENS1_30default_config_static_selectorELNS0_4arch9wavefront6targetE0EEEvSZ_
; %bb.0:
	s_endpgm
	.section	.rodata,"a",@progbits
	.p2align	6, 0x0
	.amdhsa_kernel _ZN7rocprim17ROCPRIM_400000_NS6detail17trampoline_kernelINS0_13select_configILj256ELj13ELNS0_17block_load_methodE3ELS4_3ELS4_3ELNS0_20block_scan_algorithmE0ELj4294967295EEENS1_25partition_config_selectorILNS1_17partition_subalgoE4EjNS0_10empty_typeEbEEZZNS1_14partition_implILS8_4ELb0ES6_15HIP_vector_typeIjLj2EENS0_17counting_iteratorIjlEEPS9_SG_NS0_5tupleIJPjSI_NS0_16reverse_iteratorISI_EEEEENSH_IJSG_SG_SG_EEES9_SI_JZNS1_25segmented_radix_sort_implINS0_14default_configELb0EPKlPlSQ_SR_N2at6native12_GLOBAL__N_18offset_tEEE10hipError_tPvRmT1_PNSt15iterator_traitsISZ_E10value_typeET2_T3_PNS10_IS15_E10value_typeET4_jRbjT5_S1B_jjP12ihipStream_tbEUljE_ZNSN_ISO_Lb0ESQ_SR_SQ_SR_SV_EESW_SX_SY_SZ_S13_S14_S15_S18_S19_jS1A_jS1B_S1B_jjS1D_bEUljE0_EEESW_SX_SY_S15_S19_S1B_T6_T7_T9_mT8_S1D_bDpT10_ENKUlT_T0_E_clISt17integral_constantIbLb1EES1R_EEDaS1M_S1N_EUlS1M_E_NS1_11comp_targetILNS1_3genE10ELNS1_11target_archE1200ELNS1_3gpuE4ELNS1_3repE0EEENS1_30default_config_static_selectorELNS0_4arch9wavefront6targetE0EEEvSZ_
		.amdhsa_group_segment_fixed_size 0
		.amdhsa_private_segment_fixed_size 0
		.amdhsa_kernarg_size 184
		.amdhsa_user_sgpr_count 2
		.amdhsa_user_sgpr_dispatch_ptr 0
		.amdhsa_user_sgpr_queue_ptr 0
		.amdhsa_user_sgpr_kernarg_segment_ptr 1
		.amdhsa_user_sgpr_dispatch_id 0
		.amdhsa_user_sgpr_private_segment_size 0
		.amdhsa_wavefront_size32 1
		.amdhsa_uses_dynamic_stack 0
		.amdhsa_enable_private_segment 0
		.amdhsa_system_sgpr_workgroup_id_x 1
		.amdhsa_system_sgpr_workgroup_id_y 0
		.amdhsa_system_sgpr_workgroup_id_z 0
		.amdhsa_system_sgpr_workgroup_info 0
		.amdhsa_system_vgpr_workitem_id 0
		.amdhsa_next_free_vgpr 1
		.amdhsa_next_free_sgpr 1
		.amdhsa_reserve_vcc 0
		.amdhsa_float_round_mode_32 0
		.amdhsa_float_round_mode_16_64 0
		.amdhsa_float_denorm_mode_32 3
		.amdhsa_float_denorm_mode_16_64 3
		.amdhsa_fp16_overflow 0
		.amdhsa_workgroup_processor_mode 1
		.amdhsa_memory_ordered 1
		.amdhsa_forward_progress 1
		.amdhsa_inst_pref_size 1
		.amdhsa_round_robin_scheduling 0
		.amdhsa_exception_fp_ieee_invalid_op 0
		.amdhsa_exception_fp_denorm_src 0
		.amdhsa_exception_fp_ieee_div_zero 0
		.amdhsa_exception_fp_ieee_overflow 0
		.amdhsa_exception_fp_ieee_underflow 0
		.amdhsa_exception_fp_ieee_inexact 0
		.amdhsa_exception_int_div_zero 0
	.end_amdhsa_kernel
	.section	.text._ZN7rocprim17ROCPRIM_400000_NS6detail17trampoline_kernelINS0_13select_configILj256ELj13ELNS0_17block_load_methodE3ELS4_3ELS4_3ELNS0_20block_scan_algorithmE0ELj4294967295EEENS1_25partition_config_selectorILNS1_17partition_subalgoE4EjNS0_10empty_typeEbEEZZNS1_14partition_implILS8_4ELb0ES6_15HIP_vector_typeIjLj2EENS0_17counting_iteratorIjlEEPS9_SG_NS0_5tupleIJPjSI_NS0_16reverse_iteratorISI_EEEEENSH_IJSG_SG_SG_EEES9_SI_JZNS1_25segmented_radix_sort_implINS0_14default_configELb0EPKlPlSQ_SR_N2at6native12_GLOBAL__N_18offset_tEEE10hipError_tPvRmT1_PNSt15iterator_traitsISZ_E10value_typeET2_T3_PNS10_IS15_E10value_typeET4_jRbjT5_S1B_jjP12ihipStream_tbEUljE_ZNSN_ISO_Lb0ESQ_SR_SQ_SR_SV_EESW_SX_SY_SZ_S13_S14_S15_S18_S19_jS1A_jS1B_S1B_jjS1D_bEUljE0_EEESW_SX_SY_S15_S19_S1B_T6_T7_T9_mT8_S1D_bDpT10_ENKUlT_T0_E_clISt17integral_constantIbLb1EES1R_EEDaS1M_S1N_EUlS1M_E_NS1_11comp_targetILNS1_3genE10ELNS1_11target_archE1200ELNS1_3gpuE4ELNS1_3repE0EEENS1_30default_config_static_selectorELNS0_4arch9wavefront6targetE0EEEvSZ_,"axG",@progbits,_ZN7rocprim17ROCPRIM_400000_NS6detail17trampoline_kernelINS0_13select_configILj256ELj13ELNS0_17block_load_methodE3ELS4_3ELS4_3ELNS0_20block_scan_algorithmE0ELj4294967295EEENS1_25partition_config_selectorILNS1_17partition_subalgoE4EjNS0_10empty_typeEbEEZZNS1_14partition_implILS8_4ELb0ES6_15HIP_vector_typeIjLj2EENS0_17counting_iteratorIjlEEPS9_SG_NS0_5tupleIJPjSI_NS0_16reverse_iteratorISI_EEEEENSH_IJSG_SG_SG_EEES9_SI_JZNS1_25segmented_radix_sort_implINS0_14default_configELb0EPKlPlSQ_SR_N2at6native12_GLOBAL__N_18offset_tEEE10hipError_tPvRmT1_PNSt15iterator_traitsISZ_E10value_typeET2_T3_PNS10_IS15_E10value_typeET4_jRbjT5_S1B_jjP12ihipStream_tbEUljE_ZNSN_ISO_Lb0ESQ_SR_SQ_SR_SV_EESW_SX_SY_SZ_S13_S14_S15_S18_S19_jS1A_jS1B_S1B_jjS1D_bEUljE0_EEESW_SX_SY_S15_S19_S1B_T6_T7_T9_mT8_S1D_bDpT10_ENKUlT_T0_E_clISt17integral_constantIbLb1EES1R_EEDaS1M_S1N_EUlS1M_E_NS1_11comp_targetILNS1_3genE10ELNS1_11target_archE1200ELNS1_3gpuE4ELNS1_3repE0EEENS1_30default_config_static_selectorELNS0_4arch9wavefront6targetE0EEEvSZ_,comdat
.Lfunc_end756:
	.size	_ZN7rocprim17ROCPRIM_400000_NS6detail17trampoline_kernelINS0_13select_configILj256ELj13ELNS0_17block_load_methodE3ELS4_3ELS4_3ELNS0_20block_scan_algorithmE0ELj4294967295EEENS1_25partition_config_selectorILNS1_17partition_subalgoE4EjNS0_10empty_typeEbEEZZNS1_14partition_implILS8_4ELb0ES6_15HIP_vector_typeIjLj2EENS0_17counting_iteratorIjlEEPS9_SG_NS0_5tupleIJPjSI_NS0_16reverse_iteratorISI_EEEEENSH_IJSG_SG_SG_EEES9_SI_JZNS1_25segmented_radix_sort_implINS0_14default_configELb0EPKlPlSQ_SR_N2at6native12_GLOBAL__N_18offset_tEEE10hipError_tPvRmT1_PNSt15iterator_traitsISZ_E10value_typeET2_T3_PNS10_IS15_E10value_typeET4_jRbjT5_S1B_jjP12ihipStream_tbEUljE_ZNSN_ISO_Lb0ESQ_SR_SQ_SR_SV_EESW_SX_SY_SZ_S13_S14_S15_S18_S19_jS1A_jS1B_S1B_jjS1D_bEUljE0_EEESW_SX_SY_S15_S19_S1B_T6_T7_T9_mT8_S1D_bDpT10_ENKUlT_T0_E_clISt17integral_constantIbLb1EES1R_EEDaS1M_S1N_EUlS1M_E_NS1_11comp_targetILNS1_3genE10ELNS1_11target_archE1200ELNS1_3gpuE4ELNS1_3repE0EEENS1_30default_config_static_selectorELNS0_4arch9wavefront6targetE0EEEvSZ_, .Lfunc_end756-_ZN7rocprim17ROCPRIM_400000_NS6detail17trampoline_kernelINS0_13select_configILj256ELj13ELNS0_17block_load_methodE3ELS4_3ELS4_3ELNS0_20block_scan_algorithmE0ELj4294967295EEENS1_25partition_config_selectorILNS1_17partition_subalgoE4EjNS0_10empty_typeEbEEZZNS1_14partition_implILS8_4ELb0ES6_15HIP_vector_typeIjLj2EENS0_17counting_iteratorIjlEEPS9_SG_NS0_5tupleIJPjSI_NS0_16reverse_iteratorISI_EEEEENSH_IJSG_SG_SG_EEES9_SI_JZNS1_25segmented_radix_sort_implINS0_14default_configELb0EPKlPlSQ_SR_N2at6native12_GLOBAL__N_18offset_tEEE10hipError_tPvRmT1_PNSt15iterator_traitsISZ_E10value_typeET2_T3_PNS10_IS15_E10value_typeET4_jRbjT5_S1B_jjP12ihipStream_tbEUljE_ZNSN_ISO_Lb0ESQ_SR_SQ_SR_SV_EESW_SX_SY_SZ_S13_S14_S15_S18_S19_jS1A_jS1B_S1B_jjS1D_bEUljE0_EEESW_SX_SY_S15_S19_S1B_T6_T7_T9_mT8_S1D_bDpT10_ENKUlT_T0_E_clISt17integral_constantIbLb1EES1R_EEDaS1M_S1N_EUlS1M_E_NS1_11comp_targetILNS1_3genE10ELNS1_11target_archE1200ELNS1_3gpuE4ELNS1_3repE0EEENS1_30default_config_static_selectorELNS0_4arch9wavefront6targetE0EEEvSZ_
                                        ; -- End function
	.set _ZN7rocprim17ROCPRIM_400000_NS6detail17trampoline_kernelINS0_13select_configILj256ELj13ELNS0_17block_load_methodE3ELS4_3ELS4_3ELNS0_20block_scan_algorithmE0ELj4294967295EEENS1_25partition_config_selectorILNS1_17partition_subalgoE4EjNS0_10empty_typeEbEEZZNS1_14partition_implILS8_4ELb0ES6_15HIP_vector_typeIjLj2EENS0_17counting_iteratorIjlEEPS9_SG_NS0_5tupleIJPjSI_NS0_16reverse_iteratorISI_EEEEENSH_IJSG_SG_SG_EEES9_SI_JZNS1_25segmented_radix_sort_implINS0_14default_configELb0EPKlPlSQ_SR_N2at6native12_GLOBAL__N_18offset_tEEE10hipError_tPvRmT1_PNSt15iterator_traitsISZ_E10value_typeET2_T3_PNS10_IS15_E10value_typeET4_jRbjT5_S1B_jjP12ihipStream_tbEUljE_ZNSN_ISO_Lb0ESQ_SR_SQ_SR_SV_EESW_SX_SY_SZ_S13_S14_S15_S18_S19_jS1A_jS1B_S1B_jjS1D_bEUljE0_EEESW_SX_SY_S15_S19_S1B_T6_T7_T9_mT8_S1D_bDpT10_ENKUlT_T0_E_clISt17integral_constantIbLb1EES1R_EEDaS1M_S1N_EUlS1M_E_NS1_11comp_targetILNS1_3genE10ELNS1_11target_archE1200ELNS1_3gpuE4ELNS1_3repE0EEENS1_30default_config_static_selectorELNS0_4arch9wavefront6targetE0EEEvSZ_.num_vgpr, 0
	.set _ZN7rocprim17ROCPRIM_400000_NS6detail17trampoline_kernelINS0_13select_configILj256ELj13ELNS0_17block_load_methodE3ELS4_3ELS4_3ELNS0_20block_scan_algorithmE0ELj4294967295EEENS1_25partition_config_selectorILNS1_17partition_subalgoE4EjNS0_10empty_typeEbEEZZNS1_14partition_implILS8_4ELb0ES6_15HIP_vector_typeIjLj2EENS0_17counting_iteratorIjlEEPS9_SG_NS0_5tupleIJPjSI_NS0_16reverse_iteratorISI_EEEEENSH_IJSG_SG_SG_EEES9_SI_JZNS1_25segmented_radix_sort_implINS0_14default_configELb0EPKlPlSQ_SR_N2at6native12_GLOBAL__N_18offset_tEEE10hipError_tPvRmT1_PNSt15iterator_traitsISZ_E10value_typeET2_T3_PNS10_IS15_E10value_typeET4_jRbjT5_S1B_jjP12ihipStream_tbEUljE_ZNSN_ISO_Lb0ESQ_SR_SQ_SR_SV_EESW_SX_SY_SZ_S13_S14_S15_S18_S19_jS1A_jS1B_S1B_jjS1D_bEUljE0_EEESW_SX_SY_S15_S19_S1B_T6_T7_T9_mT8_S1D_bDpT10_ENKUlT_T0_E_clISt17integral_constantIbLb1EES1R_EEDaS1M_S1N_EUlS1M_E_NS1_11comp_targetILNS1_3genE10ELNS1_11target_archE1200ELNS1_3gpuE4ELNS1_3repE0EEENS1_30default_config_static_selectorELNS0_4arch9wavefront6targetE0EEEvSZ_.num_agpr, 0
	.set _ZN7rocprim17ROCPRIM_400000_NS6detail17trampoline_kernelINS0_13select_configILj256ELj13ELNS0_17block_load_methodE3ELS4_3ELS4_3ELNS0_20block_scan_algorithmE0ELj4294967295EEENS1_25partition_config_selectorILNS1_17partition_subalgoE4EjNS0_10empty_typeEbEEZZNS1_14partition_implILS8_4ELb0ES6_15HIP_vector_typeIjLj2EENS0_17counting_iteratorIjlEEPS9_SG_NS0_5tupleIJPjSI_NS0_16reverse_iteratorISI_EEEEENSH_IJSG_SG_SG_EEES9_SI_JZNS1_25segmented_radix_sort_implINS0_14default_configELb0EPKlPlSQ_SR_N2at6native12_GLOBAL__N_18offset_tEEE10hipError_tPvRmT1_PNSt15iterator_traitsISZ_E10value_typeET2_T3_PNS10_IS15_E10value_typeET4_jRbjT5_S1B_jjP12ihipStream_tbEUljE_ZNSN_ISO_Lb0ESQ_SR_SQ_SR_SV_EESW_SX_SY_SZ_S13_S14_S15_S18_S19_jS1A_jS1B_S1B_jjS1D_bEUljE0_EEESW_SX_SY_S15_S19_S1B_T6_T7_T9_mT8_S1D_bDpT10_ENKUlT_T0_E_clISt17integral_constantIbLb1EES1R_EEDaS1M_S1N_EUlS1M_E_NS1_11comp_targetILNS1_3genE10ELNS1_11target_archE1200ELNS1_3gpuE4ELNS1_3repE0EEENS1_30default_config_static_selectorELNS0_4arch9wavefront6targetE0EEEvSZ_.numbered_sgpr, 0
	.set _ZN7rocprim17ROCPRIM_400000_NS6detail17trampoline_kernelINS0_13select_configILj256ELj13ELNS0_17block_load_methodE3ELS4_3ELS4_3ELNS0_20block_scan_algorithmE0ELj4294967295EEENS1_25partition_config_selectorILNS1_17partition_subalgoE4EjNS0_10empty_typeEbEEZZNS1_14partition_implILS8_4ELb0ES6_15HIP_vector_typeIjLj2EENS0_17counting_iteratorIjlEEPS9_SG_NS0_5tupleIJPjSI_NS0_16reverse_iteratorISI_EEEEENSH_IJSG_SG_SG_EEES9_SI_JZNS1_25segmented_radix_sort_implINS0_14default_configELb0EPKlPlSQ_SR_N2at6native12_GLOBAL__N_18offset_tEEE10hipError_tPvRmT1_PNSt15iterator_traitsISZ_E10value_typeET2_T3_PNS10_IS15_E10value_typeET4_jRbjT5_S1B_jjP12ihipStream_tbEUljE_ZNSN_ISO_Lb0ESQ_SR_SQ_SR_SV_EESW_SX_SY_SZ_S13_S14_S15_S18_S19_jS1A_jS1B_S1B_jjS1D_bEUljE0_EEESW_SX_SY_S15_S19_S1B_T6_T7_T9_mT8_S1D_bDpT10_ENKUlT_T0_E_clISt17integral_constantIbLb1EES1R_EEDaS1M_S1N_EUlS1M_E_NS1_11comp_targetILNS1_3genE10ELNS1_11target_archE1200ELNS1_3gpuE4ELNS1_3repE0EEENS1_30default_config_static_selectorELNS0_4arch9wavefront6targetE0EEEvSZ_.num_named_barrier, 0
	.set _ZN7rocprim17ROCPRIM_400000_NS6detail17trampoline_kernelINS0_13select_configILj256ELj13ELNS0_17block_load_methodE3ELS4_3ELS4_3ELNS0_20block_scan_algorithmE0ELj4294967295EEENS1_25partition_config_selectorILNS1_17partition_subalgoE4EjNS0_10empty_typeEbEEZZNS1_14partition_implILS8_4ELb0ES6_15HIP_vector_typeIjLj2EENS0_17counting_iteratorIjlEEPS9_SG_NS0_5tupleIJPjSI_NS0_16reverse_iteratorISI_EEEEENSH_IJSG_SG_SG_EEES9_SI_JZNS1_25segmented_radix_sort_implINS0_14default_configELb0EPKlPlSQ_SR_N2at6native12_GLOBAL__N_18offset_tEEE10hipError_tPvRmT1_PNSt15iterator_traitsISZ_E10value_typeET2_T3_PNS10_IS15_E10value_typeET4_jRbjT5_S1B_jjP12ihipStream_tbEUljE_ZNSN_ISO_Lb0ESQ_SR_SQ_SR_SV_EESW_SX_SY_SZ_S13_S14_S15_S18_S19_jS1A_jS1B_S1B_jjS1D_bEUljE0_EEESW_SX_SY_S15_S19_S1B_T6_T7_T9_mT8_S1D_bDpT10_ENKUlT_T0_E_clISt17integral_constantIbLb1EES1R_EEDaS1M_S1N_EUlS1M_E_NS1_11comp_targetILNS1_3genE10ELNS1_11target_archE1200ELNS1_3gpuE4ELNS1_3repE0EEENS1_30default_config_static_selectorELNS0_4arch9wavefront6targetE0EEEvSZ_.private_seg_size, 0
	.set _ZN7rocprim17ROCPRIM_400000_NS6detail17trampoline_kernelINS0_13select_configILj256ELj13ELNS0_17block_load_methodE3ELS4_3ELS4_3ELNS0_20block_scan_algorithmE0ELj4294967295EEENS1_25partition_config_selectorILNS1_17partition_subalgoE4EjNS0_10empty_typeEbEEZZNS1_14partition_implILS8_4ELb0ES6_15HIP_vector_typeIjLj2EENS0_17counting_iteratorIjlEEPS9_SG_NS0_5tupleIJPjSI_NS0_16reverse_iteratorISI_EEEEENSH_IJSG_SG_SG_EEES9_SI_JZNS1_25segmented_radix_sort_implINS0_14default_configELb0EPKlPlSQ_SR_N2at6native12_GLOBAL__N_18offset_tEEE10hipError_tPvRmT1_PNSt15iterator_traitsISZ_E10value_typeET2_T3_PNS10_IS15_E10value_typeET4_jRbjT5_S1B_jjP12ihipStream_tbEUljE_ZNSN_ISO_Lb0ESQ_SR_SQ_SR_SV_EESW_SX_SY_SZ_S13_S14_S15_S18_S19_jS1A_jS1B_S1B_jjS1D_bEUljE0_EEESW_SX_SY_S15_S19_S1B_T6_T7_T9_mT8_S1D_bDpT10_ENKUlT_T0_E_clISt17integral_constantIbLb1EES1R_EEDaS1M_S1N_EUlS1M_E_NS1_11comp_targetILNS1_3genE10ELNS1_11target_archE1200ELNS1_3gpuE4ELNS1_3repE0EEENS1_30default_config_static_selectorELNS0_4arch9wavefront6targetE0EEEvSZ_.uses_vcc, 0
	.set _ZN7rocprim17ROCPRIM_400000_NS6detail17trampoline_kernelINS0_13select_configILj256ELj13ELNS0_17block_load_methodE3ELS4_3ELS4_3ELNS0_20block_scan_algorithmE0ELj4294967295EEENS1_25partition_config_selectorILNS1_17partition_subalgoE4EjNS0_10empty_typeEbEEZZNS1_14partition_implILS8_4ELb0ES6_15HIP_vector_typeIjLj2EENS0_17counting_iteratorIjlEEPS9_SG_NS0_5tupleIJPjSI_NS0_16reverse_iteratorISI_EEEEENSH_IJSG_SG_SG_EEES9_SI_JZNS1_25segmented_radix_sort_implINS0_14default_configELb0EPKlPlSQ_SR_N2at6native12_GLOBAL__N_18offset_tEEE10hipError_tPvRmT1_PNSt15iterator_traitsISZ_E10value_typeET2_T3_PNS10_IS15_E10value_typeET4_jRbjT5_S1B_jjP12ihipStream_tbEUljE_ZNSN_ISO_Lb0ESQ_SR_SQ_SR_SV_EESW_SX_SY_SZ_S13_S14_S15_S18_S19_jS1A_jS1B_S1B_jjS1D_bEUljE0_EEESW_SX_SY_S15_S19_S1B_T6_T7_T9_mT8_S1D_bDpT10_ENKUlT_T0_E_clISt17integral_constantIbLb1EES1R_EEDaS1M_S1N_EUlS1M_E_NS1_11comp_targetILNS1_3genE10ELNS1_11target_archE1200ELNS1_3gpuE4ELNS1_3repE0EEENS1_30default_config_static_selectorELNS0_4arch9wavefront6targetE0EEEvSZ_.uses_flat_scratch, 0
	.set _ZN7rocprim17ROCPRIM_400000_NS6detail17trampoline_kernelINS0_13select_configILj256ELj13ELNS0_17block_load_methodE3ELS4_3ELS4_3ELNS0_20block_scan_algorithmE0ELj4294967295EEENS1_25partition_config_selectorILNS1_17partition_subalgoE4EjNS0_10empty_typeEbEEZZNS1_14partition_implILS8_4ELb0ES6_15HIP_vector_typeIjLj2EENS0_17counting_iteratorIjlEEPS9_SG_NS0_5tupleIJPjSI_NS0_16reverse_iteratorISI_EEEEENSH_IJSG_SG_SG_EEES9_SI_JZNS1_25segmented_radix_sort_implINS0_14default_configELb0EPKlPlSQ_SR_N2at6native12_GLOBAL__N_18offset_tEEE10hipError_tPvRmT1_PNSt15iterator_traitsISZ_E10value_typeET2_T3_PNS10_IS15_E10value_typeET4_jRbjT5_S1B_jjP12ihipStream_tbEUljE_ZNSN_ISO_Lb0ESQ_SR_SQ_SR_SV_EESW_SX_SY_SZ_S13_S14_S15_S18_S19_jS1A_jS1B_S1B_jjS1D_bEUljE0_EEESW_SX_SY_S15_S19_S1B_T6_T7_T9_mT8_S1D_bDpT10_ENKUlT_T0_E_clISt17integral_constantIbLb1EES1R_EEDaS1M_S1N_EUlS1M_E_NS1_11comp_targetILNS1_3genE10ELNS1_11target_archE1200ELNS1_3gpuE4ELNS1_3repE0EEENS1_30default_config_static_selectorELNS0_4arch9wavefront6targetE0EEEvSZ_.has_dyn_sized_stack, 0
	.set _ZN7rocprim17ROCPRIM_400000_NS6detail17trampoline_kernelINS0_13select_configILj256ELj13ELNS0_17block_load_methodE3ELS4_3ELS4_3ELNS0_20block_scan_algorithmE0ELj4294967295EEENS1_25partition_config_selectorILNS1_17partition_subalgoE4EjNS0_10empty_typeEbEEZZNS1_14partition_implILS8_4ELb0ES6_15HIP_vector_typeIjLj2EENS0_17counting_iteratorIjlEEPS9_SG_NS0_5tupleIJPjSI_NS0_16reverse_iteratorISI_EEEEENSH_IJSG_SG_SG_EEES9_SI_JZNS1_25segmented_radix_sort_implINS0_14default_configELb0EPKlPlSQ_SR_N2at6native12_GLOBAL__N_18offset_tEEE10hipError_tPvRmT1_PNSt15iterator_traitsISZ_E10value_typeET2_T3_PNS10_IS15_E10value_typeET4_jRbjT5_S1B_jjP12ihipStream_tbEUljE_ZNSN_ISO_Lb0ESQ_SR_SQ_SR_SV_EESW_SX_SY_SZ_S13_S14_S15_S18_S19_jS1A_jS1B_S1B_jjS1D_bEUljE0_EEESW_SX_SY_S15_S19_S1B_T6_T7_T9_mT8_S1D_bDpT10_ENKUlT_T0_E_clISt17integral_constantIbLb1EES1R_EEDaS1M_S1N_EUlS1M_E_NS1_11comp_targetILNS1_3genE10ELNS1_11target_archE1200ELNS1_3gpuE4ELNS1_3repE0EEENS1_30default_config_static_selectorELNS0_4arch9wavefront6targetE0EEEvSZ_.has_recursion, 0
	.set _ZN7rocprim17ROCPRIM_400000_NS6detail17trampoline_kernelINS0_13select_configILj256ELj13ELNS0_17block_load_methodE3ELS4_3ELS4_3ELNS0_20block_scan_algorithmE0ELj4294967295EEENS1_25partition_config_selectorILNS1_17partition_subalgoE4EjNS0_10empty_typeEbEEZZNS1_14partition_implILS8_4ELb0ES6_15HIP_vector_typeIjLj2EENS0_17counting_iteratorIjlEEPS9_SG_NS0_5tupleIJPjSI_NS0_16reverse_iteratorISI_EEEEENSH_IJSG_SG_SG_EEES9_SI_JZNS1_25segmented_radix_sort_implINS0_14default_configELb0EPKlPlSQ_SR_N2at6native12_GLOBAL__N_18offset_tEEE10hipError_tPvRmT1_PNSt15iterator_traitsISZ_E10value_typeET2_T3_PNS10_IS15_E10value_typeET4_jRbjT5_S1B_jjP12ihipStream_tbEUljE_ZNSN_ISO_Lb0ESQ_SR_SQ_SR_SV_EESW_SX_SY_SZ_S13_S14_S15_S18_S19_jS1A_jS1B_S1B_jjS1D_bEUljE0_EEESW_SX_SY_S15_S19_S1B_T6_T7_T9_mT8_S1D_bDpT10_ENKUlT_T0_E_clISt17integral_constantIbLb1EES1R_EEDaS1M_S1N_EUlS1M_E_NS1_11comp_targetILNS1_3genE10ELNS1_11target_archE1200ELNS1_3gpuE4ELNS1_3repE0EEENS1_30default_config_static_selectorELNS0_4arch9wavefront6targetE0EEEvSZ_.has_indirect_call, 0
	.section	.AMDGPU.csdata,"",@progbits
; Kernel info:
; codeLenInByte = 4
; TotalNumSgprs: 0
; NumVgprs: 0
; ScratchSize: 0
; MemoryBound: 0
; FloatMode: 240
; IeeeMode: 1
; LDSByteSize: 0 bytes/workgroup (compile time only)
; SGPRBlocks: 0
; VGPRBlocks: 0
; NumSGPRsForWavesPerEU: 1
; NumVGPRsForWavesPerEU: 1
; Occupancy: 16
; WaveLimiterHint : 0
; COMPUTE_PGM_RSRC2:SCRATCH_EN: 0
; COMPUTE_PGM_RSRC2:USER_SGPR: 2
; COMPUTE_PGM_RSRC2:TRAP_HANDLER: 0
; COMPUTE_PGM_RSRC2:TGID_X_EN: 1
; COMPUTE_PGM_RSRC2:TGID_Y_EN: 0
; COMPUTE_PGM_RSRC2:TGID_Z_EN: 0
; COMPUTE_PGM_RSRC2:TIDIG_COMP_CNT: 0
	.section	.text._ZN7rocprim17ROCPRIM_400000_NS6detail17trampoline_kernelINS0_13select_configILj256ELj13ELNS0_17block_load_methodE3ELS4_3ELS4_3ELNS0_20block_scan_algorithmE0ELj4294967295EEENS1_25partition_config_selectorILNS1_17partition_subalgoE4EjNS0_10empty_typeEbEEZZNS1_14partition_implILS8_4ELb0ES6_15HIP_vector_typeIjLj2EENS0_17counting_iteratorIjlEEPS9_SG_NS0_5tupleIJPjSI_NS0_16reverse_iteratorISI_EEEEENSH_IJSG_SG_SG_EEES9_SI_JZNS1_25segmented_radix_sort_implINS0_14default_configELb0EPKlPlSQ_SR_N2at6native12_GLOBAL__N_18offset_tEEE10hipError_tPvRmT1_PNSt15iterator_traitsISZ_E10value_typeET2_T3_PNS10_IS15_E10value_typeET4_jRbjT5_S1B_jjP12ihipStream_tbEUljE_ZNSN_ISO_Lb0ESQ_SR_SQ_SR_SV_EESW_SX_SY_SZ_S13_S14_S15_S18_S19_jS1A_jS1B_S1B_jjS1D_bEUljE0_EEESW_SX_SY_S15_S19_S1B_T6_T7_T9_mT8_S1D_bDpT10_ENKUlT_T0_E_clISt17integral_constantIbLb1EES1R_EEDaS1M_S1N_EUlS1M_E_NS1_11comp_targetILNS1_3genE9ELNS1_11target_archE1100ELNS1_3gpuE3ELNS1_3repE0EEENS1_30default_config_static_selectorELNS0_4arch9wavefront6targetE0EEEvSZ_,"axG",@progbits,_ZN7rocprim17ROCPRIM_400000_NS6detail17trampoline_kernelINS0_13select_configILj256ELj13ELNS0_17block_load_methodE3ELS4_3ELS4_3ELNS0_20block_scan_algorithmE0ELj4294967295EEENS1_25partition_config_selectorILNS1_17partition_subalgoE4EjNS0_10empty_typeEbEEZZNS1_14partition_implILS8_4ELb0ES6_15HIP_vector_typeIjLj2EENS0_17counting_iteratorIjlEEPS9_SG_NS0_5tupleIJPjSI_NS0_16reverse_iteratorISI_EEEEENSH_IJSG_SG_SG_EEES9_SI_JZNS1_25segmented_radix_sort_implINS0_14default_configELb0EPKlPlSQ_SR_N2at6native12_GLOBAL__N_18offset_tEEE10hipError_tPvRmT1_PNSt15iterator_traitsISZ_E10value_typeET2_T3_PNS10_IS15_E10value_typeET4_jRbjT5_S1B_jjP12ihipStream_tbEUljE_ZNSN_ISO_Lb0ESQ_SR_SQ_SR_SV_EESW_SX_SY_SZ_S13_S14_S15_S18_S19_jS1A_jS1B_S1B_jjS1D_bEUljE0_EEESW_SX_SY_S15_S19_S1B_T6_T7_T9_mT8_S1D_bDpT10_ENKUlT_T0_E_clISt17integral_constantIbLb1EES1R_EEDaS1M_S1N_EUlS1M_E_NS1_11comp_targetILNS1_3genE9ELNS1_11target_archE1100ELNS1_3gpuE3ELNS1_3repE0EEENS1_30default_config_static_selectorELNS0_4arch9wavefront6targetE0EEEvSZ_,comdat
	.globl	_ZN7rocprim17ROCPRIM_400000_NS6detail17trampoline_kernelINS0_13select_configILj256ELj13ELNS0_17block_load_methodE3ELS4_3ELS4_3ELNS0_20block_scan_algorithmE0ELj4294967295EEENS1_25partition_config_selectorILNS1_17partition_subalgoE4EjNS0_10empty_typeEbEEZZNS1_14partition_implILS8_4ELb0ES6_15HIP_vector_typeIjLj2EENS0_17counting_iteratorIjlEEPS9_SG_NS0_5tupleIJPjSI_NS0_16reverse_iteratorISI_EEEEENSH_IJSG_SG_SG_EEES9_SI_JZNS1_25segmented_radix_sort_implINS0_14default_configELb0EPKlPlSQ_SR_N2at6native12_GLOBAL__N_18offset_tEEE10hipError_tPvRmT1_PNSt15iterator_traitsISZ_E10value_typeET2_T3_PNS10_IS15_E10value_typeET4_jRbjT5_S1B_jjP12ihipStream_tbEUljE_ZNSN_ISO_Lb0ESQ_SR_SQ_SR_SV_EESW_SX_SY_SZ_S13_S14_S15_S18_S19_jS1A_jS1B_S1B_jjS1D_bEUljE0_EEESW_SX_SY_S15_S19_S1B_T6_T7_T9_mT8_S1D_bDpT10_ENKUlT_T0_E_clISt17integral_constantIbLb1EES1R_EEDaS1M_S1N_EUlS1M_E_NS1_11comp_targetILNS1_3genE9ELNS1_11target_archE1100ELNS1_3gpuE3ELNS1_3repE0EEENS1_30default_config_static_selectorELNS0_4arch9wavefront6targetE0EEEvSZ_ ; -- Begin function _ZN7rocprim17ROCPRIM_400000_NS6detail17trampoline_kernelINS0_13select_configILj256ELj13ELNS0_17block_load_methodE3ELS4_3ELS4_3ELNS0_20block_scan_algorithmE0ELj4294967295EEENS1_25partition_config_selectorILNS1_17partition_subalgoE4EjNS0_10empty_typeEbEEZZNS1_14partition_implILS8_4ELb0ES6_15HIP_vector_typeIjLj2EENS0_17counting_iteratorIjlEEPS9_SG_NS0_5tupleIJPjSI_NS0_16reverse_iteratorISI_EEEEENSH_IJSG_SG_SG_EEES9_SI_JZNS1_25segmented_radix_sort_implINS0_14default_configELb0EPKlPlSQ_SR_N2at6native12_GLOBAL__N_18offset_tEEE10hipError_tPvRmT1_PNSt15iterator_traitsISZ_E10value_typeET2_T3_PNS10_IS15_E10value_typeET4_jRbjT5_S1B_jjP12ihipStream_tbEUljE_ZNSN_ISO_Lb0ESQ_SR_SQ_SR_SV_EESW_SX_SY_SZ_S13_S14_S15_S18_S19_jS1A_jS1B_S1B_jjS1D_bEUljE0_EEESW_SX_SY_S15_S19_S1B_T6_T7_T9_mT8_S1D_bDpT10_ENKUlT_T0_E_clISt17integral_constantIbLb1EES1R_EEDaS1M_S1N_EUlS1M_E_NS1_11comp_targetILNS1_3genE9ELNS1_11target_archE1100ELNS1_3gpuE3ELNS1_3repE0EEENS1_30default_config_static_selectorELNS0_4arch9wavefront6targetE0EEEvSZ_
	.p2align	8
	.type	_ZN7rocprim17ROCPRIM_400000_NS6detail17trampoline_kernelINS0_13select_configILj256ELj13ELNS0_17block_load_methodE3ELS4_3ELS4_3ELNS0_20block_scan_algorithmE0ELj4294967295EEENS1_25partition_config_selectorILNS1_17partition_subalgoE4EjNS0_10empty_typeEbEEZZNS1_14partition_implILS8_4ELb0ES6_15HIP_vector_typeIjLj2EENS0_17counting_iteratorIjlEEPS9_SG_NS0_5tupleIJPjSI_NS0_16reverse_iteratorISI_EEEEENSH_IJSG_SG_SG_EEES9_SI_JZNS1_25segmented_radix_sort_implINS0_14default_configELb0EPKlPlSQ_SR_N2at6native12_GLOBAL__N_18offset_tEEE10hipError_tPvRmT1_PNSt15iterator_traitsISZ_E10value_typeET2_T3_PNS10_IS15_E10value_typeET4_jRbjT5_S1B_jjP12ihipStream_tbEUljE_ZNSN_ISO_Lb0ESQ_SR_SQ_SR_SV_EESW_SX_SY_SZ_S13_S14_S15_S18_S19_jS1A_jS1B_S1B_jjS1D_bEUljE0_EEESW_SX_SY_S15_S19_S1B_T6_T7_T9_mT8_S1D_bDpT10_ENKUlT_T0_E_clISt17integral_constantIbLb1EES1R_EEDaS1M_S1N_EUlS1M_E_NS1_11comp_targetILNS1_3genE9ELNS1_11target_archE1100ELNS1_3gpuE3ELNS1_3repE0EEENS1_30default_config_static_selectorELNS0_4arch9wavefront6targetE0EEEvSZ_,@function
_ZN7rocprim17ROCPRIM_400000_NS6detail17trampoline_kernelINS0_13select_configILj256ELj13ELNS0_17block_load_methodE3ELS4_3ELS4_3ELNS0_20block_scan_algorithmE0ELj4294967295EEENS1_25partition_config_selectorILNS1_17partition_subalgoE4EjNS0_10empty_typeEbEEZZNS1_14partition_implILS8_4ELb0ES6_15HIP_vector_typeIjLj2EENS0_17counting_iteratorIjlEEPS9_SG_NS0_5tupleIJPjSI_NS0_16reverse_iteratorISI_EEEEENSH_IJSG_SG_SG_EEES9_SI_JZNS1_25segmented_radix_sort_implINS0_14default_configELb0EPKlPlSQ_SR_N2at6native12_GLOBAL__N_18offset_tEEE10hipError_tPvRmT1_PNSt15iterator_traitsISZ_E10value_typeET2_T3_PNS10_IS15_E10value_typeET4_jRbjT5_S1B_jjP12ihipStream_tbEUljE_ZNSN_ISO_Lb0ESQ_SR_SQ_SR_SV_EESW_SX_SY_SZ_S13_S14_S15_S18_S19_jS1A_jS1B_S1B_jjS1D_bEUljE0_EEESW_SX_SY_S15_S19_S1B_T6_T7_T9_mT8_S1D_bDpT10_ENKUlT_T0_E_clISt17integral_constantIbLb1EES1R_EEDaS1M_S1N_EUlS1M_E_NS1_11comp_targetILNS1_3genE9ELNS1_11target_archE1100ELNS1_3gpuE3ELNS1_3repE0EEENS1_30default_config_static_selectorELNS0_4arch9wavefront6targetE0EEEvSZ_: ; @_ZN7rocprim17ROCPRIM_400000_NS6detail17trampoline_kernelINS0_13select_configILj256ELj13ELNS0_17block_load_methodE3ELS4_3ELS4_3ELNS0_20block_scan_algorithmE0ELj4294967295EEENS1_25partition_config_selectorILNS1_17partition_subalgoE4EjNS0_10empty_typeEbEEZZNS1_14partition_implILS8_4ELb0ES6_15HIP_vector_typeIjLj2EENS0_17counting_iteratorIjlEEPS9_SG_NS0_5tupleIJPjSI_NS0_16reverse_iteratorISI_EEEEENSH_IJSG_SG_SG_EEES9_SI_JZNS1_25segmented_radix_sort_implINS0_14default_configELb0EPKlPlSQ_SR_N2at6native12_GLOBAL__N_18offset_tEEE10hipError_tPvRmT1_PNSt15iterator_traitsISZ_E10value_typeET2_T3_PNS10_IS15_E10value_typeET4_jRbjT5_S1B_jjP12ihipStream_tbEUljE_ZNSN_ISO_Lb0ESQ_SR_SQ_SR_SV_EESW_SX_SY_SZ_S13_S14_S15_S18_S19_jS1A_jS1B_S1B_jjS1D_bEUljE0_EEESW_SX_SY_S15_S19_S1B_T6_T7_T9_mT8_S1D_bDpT10_ENKUlT_T0_E_clISt17integral_constantIbLb1EES1R_EEDaS1M_S1N_EUlS1M_E_NS1_11comp_targetILNS1_3genE9ELNS1_11target_archE1100ELNS1_3gpuE3ELNS1_3repE0EEENS1_30default_config_static_selectorELNS0_4arch9wavefront6targetE0EEEvSZ_
; %bb.0:
	.section	.rodata,"a",@progbits
	.p2align	6, 0x0
	.amdhsa_kernel _ZN7rocprim17ROCPRIM_400000_NS6detail17trampoline_kernelINS0_13select_configILj256ELj13ELNS0_17block_load_methodE3ELS4_3ELS4_3ELNS0_20block_scan_algorithmE0ELj4294967295EEENS1_25partition_config_selectorILNS1_17partition_subalgoE4EjNS0_10empty_typeEbEEZZNS1_14partition_implILS8_4ELb0ES6_15HIP_vector_typeIjLj2EENS0_17counting_iteratorIjlEEPS9_SG_NS0_5tupleIJPjSI_NS0_16reverse_iteratorISI_EEEEENSH_IJSG_SG_SG_EEES9_SI_JZNS1_25segmented_radix_sort_implINS0_14default_configELb0EPKlPlSQ_SR_N2at6native12_GLOBAL__N_18offset_tEEE10hipError_tPvRmT1_PNSt15iterator_traitsISZ_E10value_typeET2_T3_PNS10_IS15_E10value_typeET4_jRbjT5_S1B_jjP12ihipStream_tbEUljE_ZNSN_ISO_Lb0ESQ_SR_SQ_SR_SV_EESW_SX_SY_SZ_S13_S14_S15_S18_S19_jS1A_jS1B_S1B_jjS1D_bEUljE0_EEESW_SX_SY_S15_S19_S1B_T6_T7_T9_mT8_S1D_bDpT10_ENKUlT_T0_E_clISt17integral_constantIbLb1EES1R_EEDaS1M_S1N_EUlS1M_E_NS1_11comp_targetILNS1_3genE9ELNS1_11target_archE1100ELNS1_3gpuE3ELNS1_3repE0EEENS1_30default_config_static_selectorELNS0_4arch9wavefront6targetE0EEEvSZ_
		.amdhsa_group_segment_fixed_size 0
		.amdhsa_private_segment_fixed_size 0
		.amdhsa_kernarg_size 184
		.amdhsa_user_sgpr_count 2
		.amdhsa_user_sgpr_dispatch_ptr 0
		.amdhsa_user_sgpr_queue_ptr 0
		.amdhsa_user_sgpr_kernarg_segment_ptr 1
		.amdhsa_user_sgpr_dispatch_id 0
		.amdhsa_user_sgpr_private_segment_size 0
		.amdhsa_wavefront_size32 1
		.amdhsa_uses_dynamic_stack 0
		.amdhsa_enable_private_segment 0
		.amdhsa_system_sgpr_workgroup_id_x 1
		.amdhsa_system_sgpr_workgroup_id_y 0
		.amdhsa_system_sgpr_workgroup_id_z 0
		.amdhsa_system_sgpr_workgroup_info 0
		.amdhsa_system_vgpr_workitem_id 0
		.amdhsa_next_free_vgpr 1
		.amdhsa_next_free_sgpr 1
		.amdhsa_reserve_vcc 0
		.amdhsa_float_round_mode_32 0
		.amdhsa_float_round_mode_16_64 0
		.amdhsa_float_denorm_mode_32 3
		.amdhsa_float_denorm_mode_16_64 3
		.amdhsa_fp16_overflow 0
		.amdhsa_workgroup_processor_mode 1
		.amdhsa_memory_ordered 1
		.amdhsa_forward_progress 1
		.amdhsa_inst_pref_size 0
		.amdhsa_round_robin_scheduling 0
		.amdhsa_exception_fp_ieee_invalid_op 0
		.amdhsa_exception_fp_denorm_src 0
		.amdhsa_exception_fp_ieee_div_zero 0
		.amdhsa_exception_fp_ieee_overflow 0
		.amdhsa_exception_fp_ieee_underflow 0
		.amdhsa_exception_fp_ieee_inexact 0
		.amdhsa_exception_int_div_zero 0
	.end_amdhsa_kernel
	.section	.text._ZN7rocprim17ROCPRIM_400000_NS6detail17trampoline_kernelINS0_13select_configILj256ELj13ELNS0_17block_load_methodE3ELS4_3ELS4_3ELNS0_20block_scan_algorithmE0ELj4294967295EEENS1_25partition_config_selectorILNS1_17partition_subalgoE4EjNS0_10empty_typeEbEEZZNS1_14partition_implILS8_4ELb0ES6_15HIP_vector_typeIjLj2EENS0_17counting_iteratorIjlEEPS9_SG_NS0_5tupleIJPjSI_NS0_16reverse_iteratorISI_EEEEENSH_IJSG_SG_SG_EEES9_SI_JZNS1_25segmented_radix_sort_implINS0_14default_configELb0EPKlPlSQ_SR_N2at6native12_GLOBAL__N_18offset_tEEE10hipError_tPvRmT1_PNSt15iterator_traitsISZ_E10value_typeET2_T3_PNS10_IS15_E10value_typeET4_jRbjT5_S1B_jjP12ihipStream_tbEUljE_ZNSN_ISO_Lb0ESQ_SR_SQ_SR_SV_EESW_SX_SY_SZ_S13_S14_S15_S18_S19_jS1A_jS1B_S1B_jjS1D_bEUljE0_EEESW_SX_SY_S15_S19_S1B_T6_T7_T9_mT8_S1D_bDpT10_ENKUlT_T0_E_clISt17integral_constantIbLb1EES1R_EEDaS1M_S1N_EUlS1M_E_NS1_11comp_targetILNS1_3genE9ELNS1_11target_archE1100ELNS1_3gpuE3ELNS1_3repE0EEENS1_30default_config_static_selectorELNS0_4arch9wavefront6targetE0EEEvSZ_,"axG",@progbits,_ZN7rocprim17ROCPRIM_400000_NS6detail17trampoline_kernelINS0_13select_configILj256ELj13ELNS0_17block_load_methodE3ELS4_3ELS4_3ELNS0_20block_scan_algorithmE0ELj4294967295EEENS1_25partition_config_selectorILNS1_17partition_subalgoE4EjNS0_10empty_typeEbEEZZNS1_14partition_implILS8_4ELb0ES6_15HIP_vector_typeIjLj2EENS0_17counting_iteratorIjlEEPS9_SG_NS0_5tupleIJPjSI_NS0_16reverse_iteratorISI_EEEEENSH_IJSG_SG_SG_EEES9_SI_JZNS1_25segmented_radix_sort_implINS0_14default_configELb0EPKlPlSQ_SR_N2at6native12_GLOBAL__N_18offset_tEEE10hipError_tPvRmT1_PNSt15iterator_traitsISZ_E10value_typeET2_T3_PNS10_IS15_E10value_typeET4_jRbjT5_S1B_jjP12ihipStream_tbEUljE_ZNSN_ISO_Lb0ESQ_SR_SQ_SR_SV_EESW_SX_SY_SZ_S13_S14_S15_S18_S19_jS1A_jS1B_S1B_jjS1D_bEUljE0_EEESW_SX_SY_S15_S19_S1B_T6_T7_T9_mT8_S1D_bDpT10_ENKUlT_T0_E_clISt17integral_constantIbLb1EES1R_EEDaS1M_S1N_EUlS1M_E_NS1_11comp_targetILNS1_3genE9ELNS1_11target_archE1100ELNS1_3gpuE3ELNS1_3repE0EEENS1_30default_config_static_selectorELNS0_4arch9wavefront6targetE0EEEvSZ_,comdat
.Lfunc_end757:
	.size	_ZN7rocprim17ROCPRIM_400000_NS6detail17trampoline_kernelINS0_13select_configILj256ELj13ELNS0_17block_load_methodE3ELS4_3ELS4_3ELNS0_20block_scan_algorithmE0ELj4294967295EEENS1_25partition_config_selectorILNS1_17partition_subalgoE4EjNS0_10empty_typeEbEEZZNS1_14partition_implILS8_4ELb0ES6_15HIP_vector_typeIjLj2EENS0_17counting_iteratorIjlEEPS9_SG_NS0_5tupleIJPjSI_NS0_16reverse_iteratorISI_EEEEENSH_IJSG_SG_SG_EEES9_SI_JZNS1_25segmented_radix_sort_implINS0_14default_configELb0EPKlPlSQ_SR_N2at6native12_GLOBAL__N_18offset_tEEE10hipError_tPvRmT1_PNSt15iterator_traitsISZ_E10value_typeET2_T3_PNS10_IS15_E10value_typeET4_jRbjT5_S1B_jjP12ihipStream_tbEUljE_ZNSN_ISO_Lb0ESQ_SR_SQ_SR_SV_EESW_SX_SY_SZ_S13_S14_S15_S18_S19_jS1A_jS1B_S1B_jjS1D_bEUljE0_EEESW_SX_SY_S15_S19_S1B_T6_T7_T9_mT8_S1D_bDpT10_ENKUlT_T0_E_clISt17integral_constantIbLb1EES1R_EEDaS1M_S1N_EUlS1M_E_NS1_11comp_targetILNS1_3genE9ELNS1_11target_archE1100ELNS1_3gpuE3ELNS1_3repE0EEENS1_30default_config_static_selectorELNS0_4arch9wavefront6targetE0EEEvSZ_, .Lfunc_end757-_ZN7rocprim17ROCPRIM_400000_NS6detail17trampoline_kernelINS0_13select_configILj256ELj13ELNS0_17block_load_methodE3ELS4_3ELS4_3ELNS0_20block_scan_algorithmE0ELj4294967295EEENS1_25partition_config_selectorILNS1_17partition_subalgoE4EjNS0_10empty_typeEbEEZZNS1_14partition_implILS8_4ELb0ES6_15HIP_vector_typeIjLj2EENS0_17counting_iteratorIjlEEPS9_SG_NS0_5tupleIJPjSI_NS0_16reverse_iteratorISI_EEEEENSH_IJSG_SG_SG_EEES9_SI_JZNS1_25segmented_radix_sort_implINS0_14default_configELb0EPKlPlSQ_SR_N2at6native12_GLOBAL__N_18offset_tEEE10hipError_tPvRmT1_PNSt15iterator_traitsISZ_E10value_typeET2_T3_PNS10_IS15_E10value_typeET4_jRbjT5_S1B_jjP12ihipStream_tbEUljE_ZNSN_ISO_Lb0ESQ_SR_SQ_SR_SV_EESW_SX_SY_SZ_S13_S14_S15_S18_S19_jS1A_jS1B_S1B_jjS1D_bEUljE0_EEESW_SX_SY_S15_S19_S1B_T6_T7_T9_mT8_S1D_bDpT10_ENKUlT_T0_E_clISt17integral_constantIbLb1EES1R_EEDaS1M_S1N_EUlS1M_E_NS1_11comp_targetILNS1_3genE9ELNS1_11target_archE1100ELNS1_3gpuE3ELNS1_3repE0EEENS1_30default_config_static_selectorELNS0_4arch9wavefront6targetE0EEEvSZ_
                                        ; -- End function
	.set _ZN7rocprim17ROCPRIM_400000_NS6detail17trampoline_kernelINS0_13select_configILj256ELj13ELNS0_17block_load_methodE3ELS4_3ELS4_3ELNS0_20block_scan_algorithmE0ELj4294967295EEENS1_25partition_config_selectorILNS1_17partition_subalgoE4EjNS0_10empty_typeEbEEZZNS1_14partition_implILS8_4ELb0ES6_15HIP_vector_typeIjLj2EENS0_17counting_iteratorIjlEEPS9_SG_NS0_5tupleIJPjSI_NS0_16reverse_iteratorISI_EEEEENSH_IJSG_SG_SG_EEES9_SI_JZNS1_25segmented_radix_sort_implINS0_14default_configELb0EPKlPlSQ_SR_N2at6native12_GLOBAL__N_18offset_tEEE10hipError_tPvRmT1_PNSt15iterator_traitsISZ_E10value_typeET2_T3_PNS10_IS15_E10value_typeET4_jRbjT5_S1B_jjP12ihipStream_tbEUljE_ZNSN_ISO_Lb0ESQ_SR_SQ_SR_SV_EESW_SX_SY_SZ_S13_S14_S15_S18_S19_jS1A_jS1B_S1B_jjS1D_bEUljE0_EEESW_SX_SY_S15_S19_S1B_T6_T7_T9_mT8_S1D_bDpT10_ENKUlT_T0_E_clISt17integral_constantIbLb1EES1R_EEDaS1M_S1N_EUlS1M_E_NS1_11comp_targetILNS1_3genE9ELNS1_11target_archE1100ELNS1_3gpuE3ELNS1_3repE0EEENS1_30default_config_static_selectorELNS0_4arch9wavefront6targetE0EEEvSZ_.num_vgpr, 0
	.set _ZN7rocprim17ROCPRIM_400000_NS6detail17trampoline_kernelINS0_13select_configILj256ELj13ELNS0_17block_load_methodE3ELS4_3ELS4_3ELNS0_20block_scan_algorithmE0ELj4294967295EEENS1_25partition_config_selectorILNS1_17partition_subalgoE4EjNS0_10empty_typeEbEEZZNS1_14partition_implILS8_4ELb0ES6_15HIP_vector_typeIjLj2EENS0_17counting_iteratorIjlEEPS9_SG_NS0_5tupleIJPjSI_NS0_16reverse_iteratorISI_EEEEENSH_IJSG_SG_SG_EEES9_SI_JZNS1_25segmented_radix_sort_implINS0_14default_configELb0EPKlPlSQ_SR_N2at6native12_GLOBAL__N_18offset_tEEE10hipError_tPvRmT1_PNSt15iterator_traitsISZ_E10value_typeET2_T3_PNS10_IS15_E10value_typeET4_jRbjT5_S1B_jjP12ihipStream_tbEUljE_ZNSN_ISO_Lb0ESQ_SR_SQ_SR_SV_EESW_SX_SY_SZ_S13_S14_S15_S18_S19_jS1A_jS1B_S1B_jjS1D_bEUljE0_EEESW_SX_SY_S15_S19_S1B_T6_T7_T9_mT8_S1D_bDpT10_ENKUlT_T0_E_clISt17integral_constantIbLb1EES1R_EEDaS1M_S1N_EUlS1M_E_NS1_11comp_targetILNS1_3genE9ELNS1_11target_archE1100ELNS1_3gpuE3ELNS1_3repE0EEENS1_30default_config_static_selectorELNS0_4arch9wavefront6targetE0EEEvSZ_.num_agpr, 0
	.set _ZN7rocprim17ROCPRIM_400000_NS6detail17trampoline_kernelINS0_13select_configILj256ELj13ELNS0_17block_load_methodE3ELS4_3ELS4_3ELNS0_20block_scan_algorithmE0ELj4294967295EEENS1_25partition_config_selectorILNS1_17partition_subalgoE4EjNS0_10empty_typeEbEEZZNS1_14partition_implILS8_4ELb0ES6_15HIP_vector_typeIjLj2EENS0_17counting_iteratorIjlEEPS9_SG_NS0_5tupleIJPjSI_NS0_16reverse_iteratorISI_EEEEENSH_IJSG_SG_SG_EEES9_SI_JZNS1_25segmented_radix_sort_implINS0_14default_configELb0EPKlPlSQ_SR_N2at6native12_GLOBAL__N_18offset_tEEE10hipError_tPvRmT1_PNSt15iterator_traitsISZ_E10value_typeET2_T3_PNS10_IS15_E10value_typeET4_jRbjT5_S1B_jjP12ihipStream_tbEUljE_ZNSN_ISO_Lb0ESQ_SR_SQ_SR_SV_EESW_SX_SY_SZ_S13_S14_S15_S18_S19_jS1A_jS1B_S1B_jjS1D_bEUljE0_EEESW_SX_SY_S15_S19_S1B_T6_T7_T9_mT8_S1D_bDpT10_ENKUlT_T0_E_clISt17integral_constantIbLb1EES1R_EEDaS1M_S1N_EUlS1M_E_NS1_11comp_targetILNS1_3genE9ELNS1_11target_archE1100ELNS1_3gpuE3ELNS1_3repE0EEENS1_30default_config_static_selectorELNS0_4arch9wavefront6targetE0EEEvSZ_.numbered_sgpr, 0
	.set _ZN7rocprim17ROCPRIM_400000_NS6detail17trampoline_kernelINS0_13select_configILj256ELj13ELNS0_17block_load_methodE3ELS4_3ELS4_3ELNS0_20block_scan_algorithmE0ELj4294967295EEENS1_25partition_config_selectorILNS1_17partition_subalgoE4EjNS0_10empty_typeEbEEZZNS1_14partition_implILS8_4ELb0ES6_15HIP_vector_typeIjLj2EENS0_17counting_iteratorIjlEEPS9_SG_NS0_5tupleIJPjSI_NS0_16reverse_iteratorISI_EEEEENSH_IJSG_SG_SG_EEES9_SI_JZNS1_25segmented_radix_sort_implINS0_14default_configELb0EPKlPlSQ_SR_N2at6native12_GLOBAL__N_18offset_tEEE10hipError_tPvRmT1_PNSt15iterator_traitsISZ_E10value_typeET2_T3_PNS10_IS15_E10value_typeET4_jRbjT5_S1B_jjP12ihipStream_tbEUljE_ZNSN_ISO_Lb0ESQ_SR_SQ_SR_SV_EESW_SX_SY_SZ_S13_S14_S15_S18_S19_jS1A_jS1B_S1B_jjS1D_bEUljE0_EEESW_SX_SY_S15_S19_S1B_T6_T7_T9_mT8_S1D_bDpT10_ENKUlT_T0_E_clISt17integral_constantIbLb1EES1R_EEDaS1M_S1N_EUlS1M_E_NS1_11comp_targetILNS1_3genE9ELNS1_11target_archE1100ELNS1_3gpuE3ELNS1_3repE0EEENS1_30default_config_static_selectorELNS0_4arch9wavefront6targetE0EEEvSZ_.num_named_barrier, 0
	.set _ZN7rocprim17ROCPRIM_400000_NS6detail17trampoline_kernelINS0_13select_configILj256ELj13ELNS0_17block_load_methodE3ELS4_3ELS4_3ELNS0_20block_scan_algorithmE0ELj4294967295EEENS1_25partition_config_selectorILNS1_17partition_subalgoE4EjNS0_10empty_typeEbEEZZNS1_14partition_implILS8_4ELb0ES6_15HIP_vector_typeIjLj2EENS0_17counting_iteratorIjlEEPS9_SG_NS0_5tupleIJPjSI_NS0_16reverse_iteratorISI_EEEEENSH_IJSG_SG_SG_EEES9_SI_JZNS1_25segmented_radix_sort_implINS0_14default_configELb0EPKlPlSQ_SR_N2at6native12_GLOBAL__N_18offset_tEEE10hipError_tPvRmT1_PNSt15iterator_traitsISZ_E10value_typeET2_T3_PNS10_IS15_E10value_typeET4_jRbjT5_S1B_jjP12ihipStream_tbEUljE_ZNSN_ISO_Lb0ESQ_SR_SQ_SR_SV_EESW_SX_SY_SZ_S13_S14_S15_S18_S19_jS1A_jS1B_S1B_jjS1D_bEUljE0_EEESW_SX_SY_S15_S19_S1B_T6_T7_T9_mT8_S1D_bDpT10_ENKUlT_T0_E_clISt17integral_constantIbLb1EES1R_EEDaS1M_S1N_EUlS1M_E_NS1_11comp_targetILNS1_3genE9ELNS1_11target_archE1100ELNS1_3gpuE3ELNS1_3repE0EEENS1_30default_config_static_selectorELNS0_4arch9wavefront6targetE0EEEvSZ_.private_seg_size, 0
	.set _ZN7rocprim17ROCPRIM_400000_NS6detail17trampoline_kernelINS0_13select_configILj256ELj13ELNS0_17block_load_methodE3ELS4_3ELS4_3ELNS0_20block_scan_algorithmE0ELj4294967295EEENS1_25partition_config_selectorILNS1_17partition_subalgoE4EjNS0_10empty_typeEbEEZZNS1_14partition_implILS8_4ELb0ES6_15HIP_vector_typeIjLj2EENS0_17counting_iteratorIjlEEPS9_SG_NS0_5tupleIJPjSI_NS0_16reverse_iteratorISI_EEEEENSH_IJSG_SG_SG_EEES9_SI_JZNS1_25segmented_radix_sort_implINS0_14default_configELb0EPKlPlSQ_SR_N2at6native12_GLOBAL__N_18offset_tEEE10hipError_tPvRmT1_PNSt15iterator_traitsISZ_E10value_typeET2_T3_PNS10_IS15_E10value_typeET4_jRbjT5_S1B_jjP12ihipStream_tbEUljE_ZNSN_ISO_Lb0ESQ_SR_SQ_SR_SV_EESW_SX_SY_SZ_S13_S14_S15_S18_S19_jS1A_jS1B_S1B_jjS1D_bEUljE0_EEESW_SX_SY_S15_S19_S1B_T6_T7_T9_mT8_S1D_bDpT10_ENKUlT_T0_E_clISt17integral_constantIbLb1EES1R_EEDaS1M_S1N_EUlS1M_E_NS1_11comp_targetILNS1_3genE9ELNS1_11target_archE1100ELNS1_3gpuE3ELNS1_3repE0EEENS1_30default_config_static_selectorELNS0_4arch9wavefront6targetE0EEEvSZ_.uses_vcc, 0
	.set _ZN7rocprim17ROCPRIM_400000_NS6detail17trampoline_kernelINS0_13select_configILj256ELj13ELNS0_17block_load_methodE3ELS4_3ELS4_3ELNS0_20block_scan_algorithmE0ELj4294967295EEENS1_25partition_config_selectorILNS1_17partition_subalgoE4EjNS0_10empty_typeEbEEZZNS1_14partition_implILS8_4ELb0ES6_15HIP_vector_typeIjLj2EENS0_17counting_iteratorIjlEEPS9_SG_NS0_5tupleIJPjSI_NS0_16reverse_iteratorISI_EEEEENSH_IJSG_SG_SG_EEES9_SI_JZNS1_25segmented_radix_sort_implINS0_14default_configELb0EPKlPlSQ_SR_N2at6native12_GLOBAL__N_18offset_tEEE10hipError_tPvRmT1_PNSt15iterator_traitsISZ_E10value_typeET2_T3_PNS10_IS15_E10value_typeET4_jRbjT5_S1B_jjP12ihipStream_tbEUljE_ZNSN_ISO_Lb0ESQ_SR_SQ_SR_SV_EESW_SX_SY_SZ_S13_S14_S15_S18_S19_jS1A_jS1B_S1B_jjS1D_bEUljE0_EEESW_SX_SY_S15_S19_S1B_T6_T7_T9_mT8_S1D_bDpT10_ENKUlT_T0_E_clISt17integral_constantIbLb1EES1R_EEDaS1M_S1N_EUlS1M_E_NS1_11comp_targetILNS1_3genE9ELNS1_11target_archE1100ELNS1_3gpuE3ELNS1_3repE0EEENS1_30default_config_static_selectorELNS0_4arch9wavefront6targetE0EEEvSZ_.uses_flat_scratch, 0
	.set _ZN7rocprim17ROCPRIM_400000_NS6detail17trampoline_kernelINS0_13select_configILj256ELj13ELNS0_17block_load_methodE3ELS4_3ELS4_3ELNS0_20block_scan_algorithmE0ELj4294967295EEENS1_25partition_config_selectorILNS1_17partition_subalgoE4EjNS0_10empty_typeEbEEZZNS1_14partition_implILS8_4ELb0ES6_15HIP_vector_typeIjLj2EENS0_17counting_iteratorIjlEEPS9_SG_NS0_5tupleIJPjSI_NS0_16reverse_iteratorISI_EEEEENSH_IJSG_SG_SG_EEES9_SI_JZNS1_25segmented_radix_sort_implINS0_14default_configELb0EPKlPlSQ_SR_N2at6native12_GLOBAL__N_18offset_tEEE10hipError_tPvRmT1_PNSt15iterator_traitsISZ_E10value_typeET2_T3_PNS10_IS15_E10value_typeET4_jRbjT5_S1B_jjP12ihipStream_tbEUljE_ZNSN_ISO_Lb0ESQ_SR_SQ_SR_SV_EESW_SX_SY_SZ_S13_S14_S15_S18_S19_jS1A_jS1B_S1B_jjS1D_bEUljE0_EEESW_SX_SY_S15_S19_S1B_T6_T7_T9_mT8_S1D_bDpT10_ENKUlT_T0_E_clISt17integral_constantIbLb1EES1R_EEDaS1M_S1N_EUlS1M_E_NS1_11comp_targetILNS1_3genE9ELNS1_11target_archE1100ELNS1_3gpuE3ELNS1_3repE0EEENS1_30default_config_static_selectorELNS0_4arch9wavefront6targetE0EEEvSZ_.has_dyn_sized_stack, 0
	.set _ZN7rocprim17ROCPRIM_400000_NS6detail17trampoline_kernelINS0_13select_configILj256ELj13ELNS0_17block_load_methodE3ELS4_3ELS4_3ELNS0_20block_scan_algorithmE0ELj4294967295EEENS1_25partition_config_selectorILNS1_17partition_subalgoE4EjNS0_10empty_typeEbEEZZNS1_14partition_implILS8_4ELb0ES6_15HIP_vector_typeIjLj2EENS0_17counting_iteratorIjlEEPS9_SG_NS0_5tupleIJPjSI_NS0_16reverse_iteratorISI_EEEEENSH_IJSG_SG_SG_EEES9_SI_JZNS1_25segmented_radix_sort_implINS0_14default_configELb0EPKlPlSQ_SR_N2at6native12_GLOBAL__N_18offset_tEEE10hipError_tPvRmT1_PNSt15iterator_traitsISZ_E10value_typeET2_T3_PNS10_IS15_E10value_typeET4_jRbjT5_S1B_jjP12ihipStream_tbEUljE_ZNSN_ISO_Lb0ESQ_SR_SQ_SR_SV_EESW_SX_SY_SZ_S13_S14_S15_S18_S19_jS1A_jS1B_S1B_jjS1D_bEUljE0_EEESW_SX_SY_S15_S19_S1B_T6_T7_T9_mT8_S1D_bDpT10_ENKUlT_T0_E_clISt17integral_constantIbLb1EES1R_EEDaS1M_S1N_EUlS1M_E_NS1_11comp_targetILNS1_3genE9ELNS1_11target_archE1100ELNS1_3gpuE3ELNS1_3repE0EEENS1_30default_config_static_selectorELNS0_4arch9wavefront6targetE0EEEvSZ_.has_recursion, 0
	.set _ZN7rocprim17ROCPRIM_400000_NS6detail17trampoline_kernelINS0_13select_configILj256ELj13ELNS0_17block_load_methodE3ELS4_3ELS4_3ELNS0_20block_scan_algorithmE0ELj4294967295EEENS1_25partition_config_selectorILNS1_17partition_subalgoE4EjNS0_10empty_typeEbEEZZNS1_14partition_implILS8_4ELb0ES6_15HIP_vector_typeIjLj2EENS0_17counting_iteratorIjlEEPS9_SG_NS0_5tupleIJPjSI_NS0_16reverse_iteratorISI_EEEEENSH_IJSG_SG_SG_EEES9_SI_JZNS1_25segmented_radix_sort_implINS0_14default_configELb0EPKlPlSQ_SR_N2at6native12_GLOBAL__N_18offset_tEEE10hipError_tPvRmT1_PNSt15iterator_traitsISZ_E10value_typeET2_T3_PNS10_IS15_E10value_typeET4_jRbjT5_S1B_jjP12ihipStream_tbEUljE_ZNSN_ISO_Lb0ESQ_SR_SQ_SR_SV_EESW_SX_SY_SZ_S13_S14_S15_S18_S19_jS1A_jS1B_S1B_jjS1D_bEUljE0_EEESW_SX_SY_S15_S19_S1B_T6_T7_T9_mT8_S1D_bDpT10_ENKUlT_T0_E_clISt17integral_constantIbLb1EES1R_EEDaS1M_S1N_EUlS1M_E_NS1_11comp_targetILNS1_3genE9ELNS1_11target_archE1100ELNS1_3gpuE3ELNS1_3repE0EEENS1_30default_config_static_selectorELNS0_4arch9wavefront6targetE0EEEvSZ_.has_indirect_call, 0
	.section	.AMDGPU.csdata,"",@progbits
; Kernel info:
; codeLenInByte = 0
; TotalNumSgprs: 0
; NumVgprs: 0
; ScratchSize: 0
; MemoryBound: 0
; FloatMode: 240
; IeeeMode: 1
; LDSByteSize: 0 bytes/workgroup (compile time only)
; SGPRBlocks: 0
; VGPRBlocks: 0
; NumSGPRsForWavesPerEU: 1
; NumVGPRsForWavesPerEU: 1
; Occupancy: 16
; WaveLimiterHint : 0
; COMPUTE_PGM_RSRC2:SCRATCH_EN: 0
; COMPUTE_PGM_RSRC2:USER_SGPR: 2
; COMPUTE_PGM_RSRC2:TRAP_HANDLER: 0
; COMPUTE_PGM_RSRC2:TGID_X_EN: 1
; COMPUTE_PGM_RSRC2:TGID_Y_EN: 0
; COMPUTE_PGM_RSRC2:TGID_Z_EN: 0
; COMPUTE_PGM_RSRC2:TIDIG_COMP_CNT: 0
	.section	.text._ZN7rocprim17ROCPRIM_400000_NS6detail17trampoline_kernelINS0_13select_configILj256ELj13ELNS0_17block_load_methodE3ELS4_3ELS4_3ELNS0_20block_scan_algorithmE0ELj4294967295EEENS1_25partition_config_selectorILNS1_17partition_subalgoE4EjNS0_10empty_typeEbEEZZNS1_14partition_implILS8_4ELb0ES6_15HIP_vector_typeIjLj2EENS0_17counting_iteratorIjlEEPS9_SG_NS0_5tupleIJPjSI_NS0_16reverse_iteratorISI_EEEEENSH_IJSG_SG_SG_EEES9_SI_JZNS1_25segmented_radix_sort_implINS0_14default_configELb0EPKlPlSQ_SR_N2at6native12_GLOBAL__N_18offset_tEEE10hipError_tPvRmT1_PNSt15iterator_traitsISZ_E10value_typeET2_T3_PNS10_IS15_E10value_typeET4_jRbjT5_S1B_jjP12ihipStream_tbEUljE_ZNSN_ISO_Lb0ESQ_SR_SQ_SR_SV_EESW_SX_SY_SZ_S13_S14_S15_S18_S19_jS1A_jS1B_S1B_jjS1D_bEUljE0_EEESW_SX_SY_S15_S19_S1B_T6_T7_T9_mT8_S1D_bDpT10_ENKUlT_T0_E_clISt17integral_constantIbLb1EES1R_EEDaS1M_S1N_EUlS1M_E_NS1_11comp_targetILNS1_3genE8ELNS1_11target_archE1030ELNS1_3gpuE2ELNS1_3repE0EEENS1_30default_config_static_selectorELNS0_4arch9wavefront6targetE0EEEvSZ_,"axG",@progbits,_ZN7rocprim17ROCPRIM_400000_NS6detail17trampoline_kernelINS0_13select_configILj256ELj13ELNS0_17block_load_methodE3ELS4_3ELS4_3ELNS0_20block_scan_algorithmE0ELj4294967295EEENS1_25partition_config_selectorILNS1_17partition_subalgoE4EjNS0_10empty_typeEbEEZZNS1_14partition_implILS8_4ELb0ES6_15HIP_vector_typeIjLj2EENS0_17counting_iteratorIjlEEPS9_SG_NS0_5tupleIJPjSI_NS0_16reverse_iteratorISI_EEEEENSH_IJSG_SG_SG_EEES9_SI_JZNS1_25segmented_radix_sort_implINS0_14default_configELb0EPKlPlSQ_SR_N2at6native12_GLOBAL__N_18offset_tEEE10hipError_tPvRmT1_PNSt15iterator_traitsISZ_E10value_typeET2_T3_PNS10_IS15_E10value_typeET4_jRbjT5_S1B_jjP12ihipStream_tbEUljE_ZNSN_ISO_Lb0ESQ_SR_SQ_SR_SV_EESW_SX_SY_SZ_S13_S14_S15_S18_S19_jS1A_jS1B_S1B_jjS1D_bEUljE0_EEESW_SX_SY_S15_S19_S1B_T6_T7_T9_mT8_S1D_bDpT10_ENKUlT_T0_E_clISt17integral_constantIbLb1EES1R_EEDaS1M_S1N_EUlS1M_E_NS1_11comp_targetILNS1_3genE8ELNS1_11target_archE1030ELNS1_3gpuE2ELNS1_3repE0EEENS1_30default_config_static_selectorELNS0_4arch9wavefront6targetE0EEEvSZ_,comdat
	.globl	_ZN7rocprim17ROCPRIM_400000_NS6detail17trampoline_kernelINS0_13select_configILj256ELj13ELNS0_17block_load_methodE3ELS4_3ELS4_3ELNS0_20block_scan_algorithmE0ELj4294967295EEENS1_25partition_config_selectorILNS1_17partition_subalgoE4EjNS0_10empty_typeEbEEZZNS1_14partition_implILS8_4ELb0ES6_15HIP_vector_typeIjLj2EENS0_17counting_iteratorIjlEEPS9_SG_NS0_5tupleIJPjSI_NS0_16reverse_iteratorISI_EEEEENSH_IJSG_SG_SG_EEES9_SI_JZNS1_25segmented_radix_sort_implINS0_14default_configELb0EPKlPlSQ_SR_N2at6native12_GLOBAL__N_18offset_tEEE10hipError_tPvRmT1_PNSt15iterator_traitsISZ_E10value_typeET2_T3_PNS10_IS15_E10value_typeET4_jRbjT5_S1B_jjP12ihipStream_tbEUljE_ZNSN_ISO_Lb0ESQ_SR_SQ_SR_SV_EESW_SX_SY_SZ_S13_S14_S15_S18_S19_jS1A_jS1B_S1B_jjS1D_bEUljE0_EEESW_SX_SY_S15_S19_S1B_T6_T7_T9_mT8_S1D_bDpT10_ENKUlT_T0_E_clISt17integral_constantIbLb1EES1R_EEDaS1M_S1N_EUlS1M_E_NS1_11comp_targetILNS1_3genE8ELNS1_11target_archE1030ELNS1_3gpuE2ELNS1_3repE0EEENS1_30default_config_static_selectorELNS0_4arch9wavefront6targetE0EEEvSZ_ ; -- Begin function _ZN7rocprim17ROCPRIM_400000_NS6detail17trampoline_kernelINS0_13select_configILj256ELj13ELNS0_17block_load_methodE3ELS4_3ELS4_3ELNS0_20block_scan_algorithmE0ELj4294967295EEENS1_25partition_config_selectorILNS1_17partition_subalgoE4EjNS0_10empty_typeEbEEZZNS1_14partition_implILS8_4ELb0ES6_15HIP_vector_typeIjLj2EENS0_17counting_iteratorIjlEEPS9_SG_NS0_5tupleIJPjSI_NS0_16reverse_iteratorISI_EEEEENSH_IJSG_SG_SG_EEES9_SI_JZNS1_25segmented_radix_sort_implINS0_14default_configELb0EPKlPlSQ_SR_N2at6native12_GLOBAL__N_18offset_tEEE10hipError_tPvRmT1_PNSt15iterator_traitsISZ_E10value_typeET2_T3_PNS10_IS15_E10value_typeET4_jRbjT5_S1B_jjP12ihipStream_tbEUljE_ZNSN_ISO_Lb0ESQ_SR_SQ_SR_SV_EESW_SX_SY_SZ_S13_S14_S15_S18_S19_jS1A_jS1B_S1B_jjS1D_bEUljE0_EEESW_SX_SY_S15_S19_S1B_T6_T7_T9_mT8_S1D_bDpT10_ENKUlT_T0_E_clISt17integral_constantIbLb1EES1R_EEDaS1M_S1N_EUlS1M_E_NS1_11comp_targetILNS1_3genE8ELNS1_11target_archE1030ELNS1_3gpuE2ELNS1_3repE0EEENS1_30default_config_static_selectorELNS0_4arch9wavefront6targetE0EEEvSZ_
	.p2align	8
	.type	_ZN7rocprim17ROCPRIM_400000_NS6detail17trampoline_kernelINS0_13select_configILj256ELj13ELNS0_17block_load_methodE3ELS4_3ELS4_3ELNS0_20block_scan_algorithmE0ELj4294967295EEENS1_25partition_config_selectorILNS1_17partition_subalgoE4EjNS0_10empty_typeEbEEZZNS1_14partition_implILS8_4ELb0ES6_15HIP_vector_typeIjLj2EENS0_17counting_iteratorIjlEEPS9_SG_NS0_5tupleIJPjSI_NS0_16reverse_iteratorISI_EEEEENSH_IJSG_SG_SG_EEES9_SI_JZNS1_25segmented_radix_sort_implINS0_14default_configELb0EPKlPlSQ_SR_N2at6native12_GLOBAL__N_18offset_tEEE10hipError_tPvRmT1_PNSt15iterator_traitsISZ_E10value_typeET2_T3_PNS10_IS15_E10value_typeET4_jRbjT5_S1B_jjP12ihipStream_tbEUljE_ZNSN_ISO_Lb0ESQ_SR_SQ_SR_SV_EESW_SX_SY_SZ_S13_S14_S15_S18_S19_jS1A_jS1B_S1B_jjS1D_bEUljE0_EEESW_SX_SY_S15_S19_S1B_T6_T7_T9_mT8_S1D_bDpT10_ENKUlT_T0_E_clISt17integral_constantIbLb1EES1R_EEDaS1M_S1N_EUlS1M_E_NS1_11comp_targetILNS1_3genE8ELNS1_11target_archE1030ELNS1_3gpuE2ELNS1_3repE0EEENS1_30default_config_static_selectorELNS0_4arch9wavefront6targetE0EEEvSZ_,@function
_ZN7rocprim17ROCPRIM_400000_NS6detail17trampoline_kernelINS0_13select_configILj256ELj13ELNS0_17block_load_methodE3ELS4_3ELS4_3ELNS0_20block_scan_algorithmE0ELj4294967295EEENS1_25partition_config_selectorILNS1_17partition_subalgoE4EjNS0_10empty_typeEbEEZZNS1_14partition_implILS8_4ELb0ES6_15HIP_vector_typeIjLj2EENS0_17counting_iteratorIjlEEPS9_SG_NS0_5tupleIJPjSI_NS0_16reverse_iteratorISI_EEEEENSH_IJSG_SG_SG_EEES9_SI_JZNS1_25segmented_radix_sort_implINS0_14default_configELb0EPKlPlSQ_SR_N2at6native12_GLOBAL__N_18offset_tEEE10hipError_tPvRmT1_PNSt15iterator_traitsISZ_E10value_typeET2_T3_PNS10_IS15_E10value_typeET4_jRbjT5_S1B_jjP12ihipStream_tbEUljE_ZNSN_ISO_Lb0ESQ_SR_SQ_SR_SV_EESW_SX_SY_SZ_S13_S14_S15_S18_S19_jS1A_jS1B_S1B_jjS1D_bEUljE0_EEESW_SX_SY_S15_S19_S1B_T6_T7_T9_mT8_S1D_bDpT10_ENKUlT_T0_E_clISt17integral_constantIbLb1EES1R_EEDaS1M_S1N_EUlS1M_E_NS1_11comp_targetILNS1_3genE8ELNS1_11target_archE1030ELNS1_3gpuE2ELNS1_3repE0EEENS1_30default_config_static_selectorELNS0_4arch9wavefront6targetE0EEEvSZ_: ; @_ZN7rocprim17ROCPRIM_400000_NS6detail17trampoline_kernelINS0_13select_configILj256ELj13ELNS0_17block_load_methodE3ELS4_3ELS4_3ELNS0_20block_scan_algorithmE0ELj4294967295EEENS1_25partition_config_selectorILNS1_17partition_subalgoE4EjNS0_10empty_typeEbEEZZNS1_14partition_implILS8_4ELb0ES6_15HIP_vector_typeIjLj2EENS0_17counting_iteratorIjlEEPS9_SG_NS0_5tupleIJPjSI_NS0_16reverse_iteratorISI_EEEEENSH_IJSG_SG_SG_EEES9_SI_JZNS1_25segmented_radix_sort_implINS0_14default_configELb0EPKlPlSQ_SR_N2at6native12_GLOBAL__N_18offset_tEEE10hipError_tPvRmT1_PNSt15iterator_traitsISZ_E10value_typeET2_T3_PNS10_IS15_E10value_typeET4_jRbjT5_S1B_jjP12ihipStream_tbEUljE_ZNSN_ISO_Lb0ESQ_SR_SQ_SR_SV_EESW_SX_SY_SZ_S13_S14_S15_S18_S19_jS1A_jS1B_S1B_jjS1D_bEUljE0_EEESW_SX_SY_S15_S19_S1B_T6_T7_T9_mT8_S1D_bDpT10_ENKUlT_T0_E_clISt17integral_constantIbLb1EES1R_EEDaS1M_S1N_EUlS1M_E_NS1_11comp_targetILNS1_3genE8ELNS1_11target_archE1030ELNS1_3gpuE2ELNS1_3repE0EEENS1_30default_config_static_selectorELNS0_4arch9wavefront6targetE0EEEvSZ_
; %bb.0:
	.section	.rodata,"a",@progbits
	.p2align	6, 0x0
	.amdhsa_kernel _ZN7rocprim17ROCPRIM_400000_NS6detail17trampoline_kernelINS0_13select_configILj256ELj13ELNS0_17block_load_methodE3ELS4_3ELS4_3ELNS0_20block_scan_algorithmE0ELj4294967295EEENS1_25partition_config_selectorILNS1_17partition_subalgoE4EjNS0_10empty_typeEbEEZZNS1_14partition_implILS8_4ELb0ES6_15HIP_vector_typeIjLj2EENS0_17counting_iteratorIjlEEPS9_SG_NS0_5tupleIJPjSI_NS0_16reverse_iteratorISI_EEEEENSH_IJSG_SG_SG_EEES9_SI_JZNS1_25segmented_radix_sort_implINS0_14default_configELb0EPKlPlSQ_SR_N2at6native12_GLOBAL__N_18offset_tEEE10hipError_tPvRmT1_PNSt15iterator_traitsISZ_E10value_typeET2_T3_PNS10_IS15_E10value_typeET4_jRbjT5_S1B_jjP12ihipStream_tbEUljE_ZNSN_ISO_Lb0ESQ_SR_SQ_SR_SV_EESW_SX_SY_SZ_S13_S14_S15_S18_S19_jS1A_jS1B_S1B_jjS1D_bEUljE0_EEESW_SX_SY_S15_S19_S1B_T6_T7_T9_mT8_S1D_bDpT10_ENKUlT_T0_E_clISt17integral_constantIbLb1EES1R_EEDaS1M_S1N_EUlS1M_E_NS1_11comp_targetILNS1_3genE8ELNS1_11target_archE1030ELNS1_3gpuE2ELNS1_3repE0EEENS1_30default_config_static_selectorELNS0_4arch9wavefront6targetE0EEEvSZ_
		.amdhsa_group_segment_fixed_size 0
		.amdhsa_private_segment_fixed_size 0
		.amdhsa_kernarg_size 184
		.amdhsa_user_sgpr_count 2
		.amdhsa_user_sgpr_dispatch_ptr 0
		.amdhsa_user_sgpr_queue_ptr 0
		.amdhsa_user_sgpr_kernarg_segment_ptr 1
		.amdhsa_user_sgpr_dispatch_id 0
		.amdhsa_user_sgpr_private_segment_size 0
		.amdhsa_wavefront_size32 1
		.amdhsa_uses_dynamic_stack 0
		.amdhsa_enable_private_segment 0
		.amdhsa_system_sgpr_workgroup_id_x 1
		.amdhsa_system_sgpr_workgroup_id_y 0
		.amdhsa_system_sgpr_workgroup_id_z 0
		.amdhsa_system_sgpr_workgroup_info 0
		.amdhsa_system_vgpr_workitem_id 0
		.amdhsa_next_free_vgpr 1
		.amdhsa_next_free_sgpr 1
		.amdhsa_reserve_vcc 0
		.amdhsa_float_round_mode_32 0
		.amdhsa_float_round_mode_16_64 0
		.amdhsa_float_denorm_mode_32 3
		.amdhsa_float_denorm_mode_16_64 3
		.amdhsa_fp16_overflow 0
		.amdhsa_workgroup_processor_mode 1
		.amdhsa_memory_ordered 1
		.amdhsa_forward_progress 1
		.amdhsa_inst_pref_size 0
		.amdhsa_round_robin_scheduling 0
		.amdhsa_exception_fp_ieee_invalid_op 0
		.amdhsa_exception_fp_denorm_src 0
		.amdhsa_exception_fp_ieee_div_zero 0
		.amdhsa_exception_fp_ieee_overflow 0
		.amdhsa_exception_fp_ieee_underflow 0
		.amdhsa_exception_fp_ieee_inexact 0
		.amdhsa_exception_int_div_zero 0
	.end_amdhsa_kernel
	.section	.text._ZN7rocprim17ROCPRIM_400000_NS6detail17trampoline_kernelINS0_13select_configILj256ELj13ELNS0_17block_load_methodE3ELS4_3ELS4_3ELNS0_20block_scan_algorithmE0ELj4294967295EEENS1_25partition_config_selectorILNS1_17partition_subalgoE4EjNS0_10empty_typeEbEEZZNS1_14partition_implILS8_4ELb0ES6_15HIP_vector_typeIjLj2EENS0_17counting_iteratorIjlEEPS9_SG_NS0_5tupleIJPjSI_NS0_16reverse_iteratorISI_EEEEENSH_IJSG_SG_SG_EEES9_SI_JZNS1_25segmented_radix_sort_implINS0_14default_configELb0EPKlPlSQ_SR_N2at6native12_GLOBAL__N_18offset_tEEE10hipError_tPvRmT1_PNSt15iterator_traitsISZ_E10value_typeET2_T3_PNS10_IS15_E10value_typeET4_jRbjT5_S1B_jjP12ihipStream_tbEUljE_ZNSN_ISO_Lb0ESQ_SR_SQ_SR_SV_EESW_SX_SY_SZ_S13_S14_S15_S18_S19_jS1A_jS1B_S1B_jjS1D_bEUljE0_EEESW_SX_SY_S15_S19_S1B_T6_T7_T9_mT8_S1D_bDpT10_ENKUlT_T0_E_clISt17integral_constantIbLb1EES1R_EEDaS1M_S1N_EUlS1M_E_NS1_11comp_targetILNS1_3genE8ELNS1_11target_archE1030ELNS1_3gpuE2ELNS1_3repE0EEENS1_30default_config_static_selectorELNS0_4arch9wavefront6targetE0EEEvSZ_,"axG",@progbits,_ZN7rocprim17ROCPRIM_400000_NS6detail17trampoline_kernelINS0_13select_configILj256ELj13ELNS0_17block_load_methodE3ELS4_3ELS4_3ELNS0_20block_scan_algorithmE0ELj4294967295EEENS1_25partition_config_selectorILNS1_17partition_subalgoE4EjNS0_10empty_typeEbEEZZNS1_14partition_implILS8_4ELb0ES6_15HIP_vector_typeIjLj2EENS0_17counting_iteratorIjlEEPS9_SG_NS0_5tupleIJPjSI_NS0_16reverse_iteratorISI_EEEEENSH_IJSG_SG_SG_EEES9_SI_JZNS1_25segmented_radix_sort_implINS0_14default_configELb0EPKlPlSQ_SR_N2at6native12_GLOBAL__N_18offset_tEEE10hipError_tPvRmT1_PNSt15iterator_traitsISZ_E10value_typeET2_T3_PNS10_IS15_E10value_typeET4_jRbjT5_S1B_jjP12ihipStream_tbEUljE_ZNSN_ISO_Lb0ESQ_SR_SQ_SR_SV_EESW_SX_SY_SZ_S13_S14_S15_S18_S19_jS1A_jS1B_S1B_jjS1D_bEUljE0_EEESW_SX_SY_S15_S19_S1B_T6_T7_T9_mT8_S1D_bDpT10_ENKUlT_T0_E_clISt17integral_constantIbLb1EES1R_EEDaS1M_S1N_EUlS1M_E_NS1_11comp_targetILNS1_3genE8ELNS1_11target_archE1030ELNS1_3gpuE2ELNS1_3repE0EEENS1_30default_config_static_selectorELNS0_4arch9wavefront6targetE0EEEvSZ_,comdat
.Lfunc_end758:
	.size	_ZN7rocprim17ROCPRIM_400000_NS6detail17trampoline_kernelINS0_13select_configILj256ELj13ELNS0_17block_load_methodE3ELS4_3ELS4_3ELNS0_20block_scan_algorithmE0ELj4294967295EEENS1_25partition_config_selectorILNS1_17partition_subalgoE4EjNS0_10empty_typeEbEEZZNS1_14partition_implILS8_4ELb0ES6_15HIP_vector_typeIjLj2EENS0_17counting_iteratorIjlEEPS9_SG_NS0_5tupleIJPjSI_NS0_16reverse_iteratorISI_EEEEENSH_IJSG_SG_SG_EEES9_SI_JZNS1_25segmented_radix_sort_implINS0_14default_configELb0EPKlPlSQ_SR_N2at6native12_GLOBAL__N_18offset_tEEE10hipError_tPvRmT1_PNSt15iterator_traitsISZ_E10value_typeET2_T3_PNS10_IS15_E10value_typeET4_jRbjT5_S1B_jjP12ihipStream_tbEUljE_ZNSN_ISO_Lb0ESQ_SR_SQ_SR_SV_EESW_SX_SY_SZ_S13_S14_S15_S18_S19_jS1A_jS1B_S1B_jjS1D_bEUljE0_EEESW_SX_SY_S15_S19_S1B_T6_T7_T9_mT8_S1D_bDpT10_ENKUlT_T0_E_clISt17integral_constantIbLb1EES1R_EEDaS1M_S1N_EUlS1M_E_NS1_11comp_targetILNS1_3genE8ELNS1_11target_archE1030ELNS1_3gpuE2ELNS1_3repE0EEENS1_30default_config_static_selectorELNS0_4arch9wavefront6targetE0EEEvSZ_, .Lfunc_end758-_ZN7rocprim17ROCPRIM_400000_NS6detail17trampoline_kernelINS0_13select_configILj256ELj13ELNS0_17block_load_methodE3ELS4_3ELS4_3ELNS0_20block_scan_algorithmE0ELj4294967295EEENS1_25partition_config_selectorILNS1_17partition_subalgoE4EjNS0_10empty_typeEbEEZZNS1_14partition_implILS8_4ELb0ES6_15HIP_vector_typeIjLj2EENS0_17counting_iteratorIjlEEPS9_SG_NS0_5tupleIJPjSI_NS0_16reverse_iteratorISI_EEEEENSH_IJSG_SG_SG_EEES9_SI_JZNS1_25segmented_radix_sort_implINS0_14default_configELb0EPKlPlSQ_SR_N2at6native12_GLOBAL__N_18offset_tEEE10hipError_tPvRmT1_PNSt15iterator_traitsISZ_E10value_typeET2_T3_PNS10_IS15_E10value_typeET4_jRbjT5_S1B_jjP12ihipStream_tbEUljE_ZNSN_ISO_Lb0ESQ_SR_SQ_SR_SV_EESW_SX_SY_SZ_S13_S14_S15_S18_S19_jS1A_jS1B_S1B_jjS1D_bEUljE0_EEESW_SX_SY_S15_S19_S1B_T6_T7_T9_mT8_S1D_bDpT10_ENKUlT_T0_E_clISt17integral_constantIbLb1EES1R_EEDaS1M_S1N_EUlS1M_E_NS1_11comp_targetILNS1_3genE8ELNS1_11target_archE1030ELNS1_3gpuE2ELNS1_3repE0EEENS1_30default_config_static_selectorELNS0_4arch9wavefront6targetE0EEEvSZ_
                                        ; -- End function
	.set _ZN7rocprim17ROCPRIM_400000_NS6detail17trampoline_kernelINS0_13select_configILj256ELj13ELNS0_17block_load_methodE3ELS4_3ELS4_3ELNS0_20block_scan_algorithmE0ELj4294967295EEENS1_25partition_config_selectorILNS1_17partition_subalgoE4EjNS0_10empty_typeEbEEZZNS1_14partition_implILS8_4ELb0ES6_15HIP_vector_typeIjLj2EENS0_17counting_iteratorIjlEEPS9_SG_NS0_5tupleIJPjSI_NS0_16reverse_iteratorISI_EEEEENSH_IJSG_SG_SG_EEES9_SI_JZNS1_25segmented_radix_sort_implINS0_14default_configELb0EPKlPlSQ_SR_N2at6native12_GLOBAL__N_18offset_tEEE10hipError_tPvRmT1_PNSt15iterator_traitsISZ_E10value_typeET2_T3_PNS10_IS15_E10value_typeET4_jRbjT5_S1B_jjP12ihipStream_tbEUljE_ZNSN_ISO_Lb0ESQ_SR_SQ_SR_SV_EESW_SX_SY_SZ_S13_S14_S15_S18_S19_jS1A_jS1B_S1B_jjS1D_bEUljE0_EEESW_SX_SY_S15_S19_S1B_T6_T7_T9_mT8_S1D_bDpT10_ENKUlT_T0_E_clISt17integral_constantIbLb1EES1R_EEDaS1M_S1N_EUlS1M_E_NS1_11comp_targetILNS1_3genE8ELNS1_11target_archE1030ELNS1_3gpuE2ELNS1_3repE0EEENS1_30default_config_static_selectorELNS0_4arch9wavefront6targetE0EEEvSZ_.num_vgpr, 0
	.set _ZN7rocprim17ROCPRIM_400000_NS6detail17trampoline_kernelINS0_13select_configILj256ELj13ELNS0_17block_load_methodE3ELS4_3ELS4_3ELNS0_20block_scan_algorithmE0ELj4294967295EEENS1_25partition_config_selectorILNS1_17partition_subalgoE4EjNS0_10empty_typeEbEEZZNS1_14partition_implILS8_4ELb0ES6_15HIP_vector_typeIjLj2EENS0_17counting_iteratorIjlEEPS9_SG_NS0_5tupleIJPjSI_NS0_16reverse_iteratorISI_EEEEENSH_IJSG_SG_SG_EEES9_SI_JZNS1_25segmented_radix_sort_implINS0_14default_configELb0EPKlPlSQ_SR_N2at6native12_GLOBAL__N_18offset_tEEE10hipError_tPvRmT1_PNSt15iterator_traitsISZ_E10value_typeET2_T3_PNS10_IS15_E10value_typeET4_jRbjT5_S1B_jjP12ihipStream_tbEUljE_ZNSN_ISO_Lb0ESQ_SR_SQ_SR_SV_EESW_SX_SY_SZ_S13_S14_S15_S18_S19_jS1A_jS1B_S1B_jjS1D_bEUljE0_EEESW_SX_SY_S15_S19_S1B_T6_T7_T9_mT8_S1D_bDpT10_ENKUlT_T0_E_clISt17integral_constantIbLb1EES1R_EEDaS1M_S1N_EUlS1M_E_NS1_11comp_targetILNS1_3genE8ELNS1_11target_archE1030ELNS1_3gpuE2ELNS1_3repE0EEENS1_30default_config_static_selectorELNS0_4arch9wavefront6targetE0EEEvSZ_.num_agpr, 0
	.set _ZN7rocprim17ROCPRIM_400000_NS6detail17trampoline_kernelINS0_13select_configILj256ELj13ELNS0_17block_load_methodE3ELS4_3ELS4_3ELNS0_20block_scan_algorithmE0ELj4294967295EEENS1_25partition_config_selectorILNS1_17partition_subalgoE4EjNS0_10empty_typeEbEEZZNS1_14partition_implILS8_4ELb0ES6_15HIP_vector_typeIjLj2EENS0_17counting_iteratorIjlEEPS9_SG_NS0_5tupleIJPjSI_NS0_16reverse_iteratorISI_EEEEENSH_IJSG_SG_SG_EEES9_SI_JZNS1_25segmented_radix_sort_implINS0_14default_configELb0EPKlPlSQ_SR_N2at6native12_GLOBAL__N_18offset_tEEE10hipError_tPvRmT1_PNSt15iterator_traitsISZ_E10value_typeET2_T3_PNS10_IS15_E10value_typeET4_jRbjT5_S1B_jjP12ihipStream_tbEUljE_ZNSN_ISO_Lb0ESQ_SR_SQ_SR_SV_EESW_SX_SY_SZ_S13_S14_S15_S18_S19_jS1A_jS1B_S1B_jjS1D_bEUljE0_EEESW_SX_SY_S15_S19_S1B_T6_T7_T9_mT8_S1D_bDpT10_ENKUlT_T0_E_clISt17integral_constantIbLb1EES1R_EEDaS1M_S1N_EUlS1M_E_NS1_11comp_targetILNS1_3genE8ELNS1_11target_archE1030ELNS1_3gpuE2ELNS1_3repE0EEENS1_30default_config_static_selectorELNS0_4arch9wavefront6targetE0EEEvSZ_.numbered_sgpr, 0
	.set _ZN7rocprim17ROCPRIM_400000_NS6detail17trampoline_kernelINS0_13select_configILj256ELj13ELNS0_17block_load_methodE3ELS4_3ELS4_3ELNS0_20block_scan_algorithmE0ELj4294967295EEENS1_25partition_config_selectorILNS1_17partition_subalgoE4EjNS0_10empty_typeEbEEZZNS1_14partition_implILS8_4ELb0ES6_15HIP_vector_typeIjLj2EENS0_17counting_iteratorIjlEEPS9_SG_NS0_5tupleIJPjSI_NS0_16reverse_iteratorISI_EEEEENSH_IJSG_SG_SG_EEES9_SI_JZNS1_25segmented_radix_sort_implINS0_14default_configELb0EPKlPlSQ_SR_N2at6native12_GLOBAL__N_18offset_tEEE10hipError_tPvRmT1_PNSt15iterator_traitsISZ_E10value_typeET2_T3_PNS10_IS15_E10value_typeET4_jRbjT5_S1B_jjP12ihipStream_tbEUljE_ZNSN_ISO_Lb0ESQ_SR_SQ_SR_SV_EESW_SX_SY_SZ_S13_S14_S15_S18_S19_jS1A_jS1B_S1B_jjS1D_bEUljE0_EEESW_SX_SY_S15_S19_S1B_T6_T7_T9_mT8_S1D_bDpT10_ENKUlT_T0_E_clISt17integral_constantIbLb1EES1R_EEDaS1M_S1N_EUlS1M_E_NS1_11comp_targetILNS1_3genE8ELNS1_11target_archE1030ELNS1_3gpuE2ELNS1_3repE0EEENS1_30default_config_static_selectorELNS0_4arch9wavefront6targetE0EEEvSZ_.num_named_barrier, 0
	.set _ZN7rocprim17ROCPRIM_400000_NS6detail17trampoline_kernelINS0_13select_configILj256ELj13ELNS0_17block_load_methodE3ELS4_3ELS4_3ELNS0_20block_scan_algorithmE0ELj4294967295EEENS1_25partition_config_selectorILNS1_17partition_subalgoE4EjNS0_10empty_typeEbEEZZNS1_14partition_implILS8_4ELb0ES6_15HIP_vector_typeIjLj2EENS0_17counting_iteratorIjlEEPS9_SG_NS0_5tupleIJPjSI_NS0_16reverse_iteratorISI_EEEEENSH_IJSG_SG_SG_EEES9_SI_JZNS1_25segmented_radix_sort_implINS0_14default_configELb0EPKlPlSQ_SR_N2at6native12_GLOBAL__N_18offset_tEEE10hipError_tPvRmT1_PNSt15iterator_traitsISZ_E10value_typeET2_T3_PNS10_IS15_E10value_typeET4_jRbjT5_S1B_jjP12ihipStream_tbEUljE_ZNSN_ISO_Lb0ESQ_SR_SQ_SR_SV_EESW_SX_SY_SZ_S13_S14_S15_S18_S19_jS1A_jS1B_S1B_jjS1D_bEUljE0_EEESW_SX_SY_S15_S19_S1B_T6_T7_T9_mT8_S1D_bDpT10_ENKUlT_T0_E_clISt17integral_constantIbLb1EES1R_EEDaS1M_S1N_EUlS1M_E_NS1_11comp_targetILNS1_3genE8ELNS1_11target_archE1030ELNS1_3gpuE2ELNS1_3repE0EEENS1_30default_config_static_selectorELNS0_4arch9wavefront6targetE0EEEvSZ_.private_seg_size, 0
	.set _ZN7rocprim17ROCPRIM_400000_NS6detail17trampoline_kernelINS0_13select_configILj256ELj13ELNS0_17block_load_methodE3ELS4_3ELS4_3ELNS0_20block_scan_algorithmE0ELj4294967295EEENS1_25partition_config_selectorILNS1_17partition_subalgoE4EjNS0_10empty_typeEbEEZZNS1_14partition_implILS8_4ELb0ES6_15HIP_vector_typeIjLj2EENS0_17counting_iteratorIjlEEPS9_SG_NS0_5tupleIJPjSI_NS0_16reverse_iteratorISI_EEEEENSH_IJSG_SG_SG_EEES9_SI_JZNS1_25segmented_radix_sort_implINS0_14default_configELb0EPKlPlSQ_SR_N2at6native12_GLOBAL__N_18offset_tEEE10hipError_tPvRmT1_PNSt15iterator_traitsISZ_E10value_typeET2_T3_PNS10_IS15_E10value_typeET4_jRbjT5_S1B_jjP12ihipStream_tbEUljE_ZNSN_ISO_Lb0ESQ_SR_SQ_SR_SV_EESW_SX_SY_SZ_S13_S14_S15_S18_S19_jS1A_jS1B_S1B_jjS1D_bEUljE0_EEESW_SX_SY_S15_S19_S1B_T6_T7_T9_mT8_S1D_bDpT10_ENKUlT_T0_E_clISt17integral_constantIbLb1EES1R_EEDaS1M_S1N_EUlS1M_E_NS1_11comp_targetILNS1_3genE8ELNS1_11target_archE1030ELNS1_3gpuE2ELNS1_3repE0EEENS1_30default_config_static_selectorELNS0_4arch9wavefront6targetE0EEEvSZ_.uses_vcc, 0
	.set _ZN7rocprim17ROCPRIM_400000_NS6detail17trampoline_kernelINS0_13select_configILj256ELj13ELNS0_17block_load_methodE3ELS4_3ELS4_3ELNS0_20block_scan_algorithmE0ELj4294967295EEENS1_25partition_config_selectorILNS1_17partition_subalgoE4EjNS0_10empty_typeEbEEZZNS1_14partition_implILS8_4ELb0ES6_15HIP_vector_typeIjLj2EENS0_17counting_iteratorIjlEEPS9_SG_NS0_5tupleIJPjSI_NS0_16reverse_iteratorISI_EEEEENSH_IJSG_SG_SG_EEES9_SI_JZNS1_25segmented_radix_sort_implINS0_14default_configELb0EPKlPlSQ_SR_N2at6native12_GLOBAL__N_18offset_tEEE10hipError_tPvRmT1_PNSt15iterator_traitsISZ_E10value_typeET2_T3_PNS10_IS15_E10value_typeET4_jRbjT5_S1B_jjP12ihipStream_tbEUljE_ZNSN_ISO_Lb0ESQ_SR_SQ_SR_SV_EESW_SX_SY_SZ_S13_S14_S15_S18_S19_jS1A_jS1B_S1B_jjS1D_bEUljE0_EEESW_SX_SY_S15_S19_S1B_T6_T7_T9_mT8_S1D_bDpT10_ENKUlT_T0_E_clISt17integral_constantIbLb1EES1R_EEDaS1M_S1N_EUlS1M_E_NS1_11comp_targetILNS1_3genE8ELNS1_11target_archE1030ELNS1_3gpuE2ELNS1_3repE0EEENS1_30default_config_static_selectorELNS0_4arch9wavefront6targetE0EEEvSZ_.uses_flat_scratch, 0
	.set _ZN7rocprim17ROCPRIM_400000_NS6detail17trampoline_kernelINS0_13select_configILj256ELj13ELNS0_17block_load_methodE3ELS4_3ELS4_3ELNS0_20block_scan_algorithmE0ELj4294967295EEENS1_25partition_config_selectorILNS1_17partition_subalgoE4EjNS0_10empty_typeEbEEZZNS1_14partition_implILS8_4ELb0ES6_15HIP_vector_typeIjLj2EENS0_17counting_iteratorIjlEEPS9_SG_NS0_5tupleIJPjSI_NS0_16reverse_iteratorISI_EEEEENSH_IJSG_SG_SG_EEES9_SI_JZNS1_25segmented_radix_sort_implINS0_14default_configELb0EPKlPlSQ_SR_N2at6native12_GLOBAL__N_18offset_tEEE10hipError_tPvRmT1_PNSt15iterator_traitsISZ_E10value_typeET2_T3_PNS10_IS15_E10value_typeET4_jRbjT5_S1B_jjP12ihipStream_tbEUljE_ZNSN_ISO_Lb0ESQ_SR_SQ_SR_SV_EESW_SX_SY_SZ_S13_S14_S15_S18_S19_jS1A_jS1B_S1B_jjS1D_bEUljE0_EEESW_SX_SY_S15_S19_S1B_T6_T7_T9_mT8_S1D_bDpT10_ENKUlT_T0_E_clISt17integral_constantIbLb1EES1R_EEDaS1M_S1N_EUlS1M_E_NS1_11comp_targetILNS1_3genE8ELNS1_11target_archE1030ELNS1_3gpuE2ELNS1_3repE0EEENS1_30default_config_static_selectorELNS0_4arch9wavefront6targetE0EEEvSZ_.has_dyn_sized_stack, 0
	.set _ZN7rocprim17ROCPRIM_400000_NS6detail17trampoline_kernelINS0_13select_configILj256ELj13ELNS0_17block_load_methodE3ELS4_3ELS4_3ELNS0_20block_scan_algorithmE0ELj4294967295EEENS1_25partition_config_selectorILNS1_17partition_subalgoE4EjNS0_10empty_typeEbEEZZNS1_14partition_implILS8_4ELb0ES6_15HIP_vector_typeIjLj2EENS0_17counting_iteratorIjlEEPS9_SG_NS0_5tupleIJPjSI_NS0_16reverse_iteratorISI_EEEEENSH_IJSG_SG_SG_EEES9_SI_JZNS1_25segmented_radix_sort_implINS0_14default_configELb0EPKlPlSQ_SR_N2at6native12_GLOBAL__N_18offset_tEEE10hipError_tPvRmT1_PNSt15iterator_traitsISZ_E10value_typeET2_T3_PNS10_IS15_E10value_typeET4_jRbjT5_S1B_jjP12ihipStream_tbEUljE_ZNSN_ISO_Lb0ESQ_SR_SQ_SR_SV_EESW_SX_SY_SZ_S13_S14_S15_S18_S19_jS1A_jS1B_S1B_jjS1D_bEUljE0_EEESW_SX_SY_S15_S19_S1B_T6_T7_T9_mT8_S1D_bDpT10_ENKUlT_T0_E_clISt17integral_constantIbLb1EES1R_EEDaS1M_S1N_EUlS1M_E_NS1_11comp_targetILNS1_3genE8ELNS1_11target_archE1030ELNS1_3gpuE2ELNS1_3repE0EEENS1_30default_config_static_selectorELNS0_4arch9wavefront6targetE0EEEvSZ_.has_recursion, 0
	.set _ZN7rocprim17ROCPRIM_400000_NS6detail17trampoline_kernelINS0_13select_configILj256ELj13ELNS0_17block_load_methodE3ELS4_3ELS4_3ELNS0_20block_scan_algorithmE0ELj4294967295EEENS1_25partition_config_selectorILNS1_17partition_subalgoE4EjNS0_10empty_typeEbEEZZNS1_14partition_implILS8_4ELb0ES6_15HIP_vector_typeIjLj2EENS0_17counting_iteratorIjlEEPS9_SG_NS0_5tupleIJPjSI_NS0_16reverse_iteratorISI_EEEEENSH_IJSG_SG_SG_EEES9_SI_JZNS1_25segmented_radix_sort_implINS0_14default_configELb0EPKlPlSQ_SR_N2at6native12_GLOBAL__N_18offset_tEEE10hipError_tPvRmT1_PNSt15iterator_traitsISZ_E10value_typeET2_T3_PNS10_IS15_E10value_typeET4_jRbjT5_S1B_jjP12ihipStream_tbEUljE_ZNSN_ISO_Lb0ESQ_SR_SQ_SR_SV_EESW_SX_SY_SZ_S13_S14_S15_S18_S19_jS1A_jS1B_S1B_jjS1D_bEUljE0_EEESW_SX_SY_S15_S19_S1B_T6_T7_T9_mT8_S1D_bDpT10_ENKUlT_T0_E_clISt17integral_constantIbLb1EES1R_EEDaS1M_S1N_EUlS1M_E_NS1_11comp_targetILNS1_3genE8ELNS1_11target_archE1030ELNS1_3gpuE2ELNS1_3repE0EEENS1_30default_config_static_selectorELNS0_4arch9wavefront6targetE0EEEvSZ_.has_indirect_call, 0
	.section	.AMDGPU.csdata,"",@progbits
; Kernel info:
; codeLenInByte = 0
; TotalNumSgprs: 0
; NumVgprs: 0
; ScratchSize: 0
; MemoryBound: 0
; FloatMode: 240
; IeeeMode: 1
; LDSByteSize: 0 bytes/workgroup (compile time only)
; SGPRBlocks: 0
; VGPRBlocks: 0
; NumSGPRsForWavesPerEU: 1
; NumVGPRsForWavesPerEU: 1
; Occupancy: 16
; WaveLimiterHint : 0
; COMPUTE_PGM_RSRC2:SCRATCH_EN: 0
; COMPUTE_PGM_RSRC2:USER_SGPR: 2
; COMPUTE_PGM_RSRC2:TRAP_HANDLER: 0
; COMPUTE_PGM_RSRC2:TGID_X_EN: 1
; COMPUTE_PGM_RSRC2:TGID_Y_EN: 0
; COMPUTE_PGM_RSRC2:TGID_Z_EN: 0
; COMPUTE_PGM_RSRC2:TIDIG_COMP_CNT: 0
	.section	.text._ZN7rocprim17ROCPRIM_400000_NS6detail17trampoline_kernelINS0_13select_configILj256ELj13ELNS0_17block_load_methodE3ELS4_3ELS4_3ELNS0_20block_scan_algorithmE0ELj4294967295EEENS1_25partition_config_selectorILNS1_17partition_subalgoE4EjNS0_10empty_typeEbEEZZNS1_14partition_implILS8_4ELb0ES6_15HIP_vector_typeIjLj2EENS0_17counting_iteratorIjlEEPS9_SG_NS0_5tupleIJPjSI_NS0_16reverse_iteratorISI_EEEEENSH_IJSG_SG_SG_EEES9_SI_JZNS1_25segmented_radix_sort_implINS0_14default_configELb0EPKlPlSQ_SR_N2at6native12_GLOBAL__N_18offset_tEEE10hipError_tPvRmT1_PNSt15iterator_traitsISZ_E10value_typeET2_T3_PNS10_IS15_E10value_typeET4_jRbjT5_S1B_jjP12ihipStream_tbEUljE_ZNSN_ISO_Lb0ESQ_SR_SQ_SR_SV_EESW_SX_SY_SZ_S13_S14_S15_S18_S19_jS1A_jS1B_S1B_jjS1D_bEUljE0_EEESW_SX_SY_S15_S19_S1B_T6_T7_T9_mT8_S1D_bDpT10_ENKUlT_T0_E_clISt17integral_constantIbLb1EES1Q_IbLb0EEEEDaS1M_S1N_EUlS1M_E_NS1_11comp_targetILNS1_3genE0ELNS1_11target_archE4294967295ELNS1_3gpuE0ELNS1_3repE0EEENS1_30default_config_static_selectorELNS0_4arch9wavefront6targetE0EEEvSZ_,"axG",@progbits,_ZN7rocprim17ROCPRIM_400000_NS6detail17trampoline_kernelINS0_13select_configILj256ELj13ELNS0_17block_load_methodE3ELS4_3ELS4_3ELNS0_20block_scan_algorithmE0ELj4294967295EEENS1_25partition_config_selectorILNS1_17partition_subalgoE4EjNS0_10empty_typeEbEEZZNS1_14partition_implILS8_4ELb0ES6_15HIP_vector_typeIjLj2EENS0_17counting_iteratorIjlEEPS9_SG_NS0_5tupleIJPjSI_NS0_16reverse_iteratorISI_EEEEENSH_IJSG_SG_SG_EEES9_SI_JZNS1_25segmented_radix_sort_implINS0_14default_configELb0EPKlPlSQ_SR_N2at6native12_GLOBAL__N_18offset_tEEE10hipError_tPvRmT1_PNSt15iterator_traitsISZ_E10value_typeET2_T3_PNS10_IS15_E10value_typeET4_jRbjT5_S1B_jjP12ihipStream_tbEUljE_ZNSN_ISO_Lb0ESQ_SR_SQ_SR_SV_EESW_SX_SY_SZ_S13_S14_S15_S18_S19_jS1A_jS1B_S1B_jjS1D_bEUljE0_EEESW_SX_SY_S15_S19_S1B_T6_T7_T9_mT8_S1D_bDpT10_ENKUlT_T0_E_clISt17integral_constantIbLb1EES1Q_IbLb0EEEEDaS1M_S1N_EUlS1M_E_NS1_11comp_targetILNS1_3genE0ELNS1_11target_archE4294967295ELNS1_3gpuE0ELNS1_3repE0EEENS1_30default_config_static_selectorELNS0_4arch9wavefront6targetE0EEEvSZ_,comdat
	.globl	_ZN7rocprim17ROCPRIM_400000_NS6detail17trampoline_kernelINS0_13select_configILj256ELj13ELNS0_17block_load_methodE3ELS4_3ELS4_3ELNS0_20block_scan_algorithmE0ELj4294967295EEENS1_25partition_config_selectorILNS1_17partition_subalgoE4EjNS0_10empty_typeEbEEZZNS1_14partition_implILS8_4ELb0ES6_15HIP_vector_typeIjLj2EENS0_17counting_iteratorIjlEEPS9_SG_NS0_5tupleIJPjSI_NS0_16reverse_iteratorISI_EEEEENSH_IJSG_SG_SG_EEES9_SI_JZNS1_25segmented_radix_sort_implINS0_14default_configELb0EPKlPlSQ_SR_N2at6native12_GLOBAL__N_18offset_tEEE10hipError_tPvRmT1_PNSt15iterator_traitsISZ_E10value_typeET2_T3_PNS10_IS15_E10value_typeET4_jRbjT5_S1B_jjP12ihipStream_tbEUljE_ZNSN_ISO_Lb0ESQ_SR_SQ_SR_SV_EESW_SX_SY_SZ_S13_S14_S15_S18_S19_jS1A_jS1B_S1B_jjS1D_bEUljE0_EEESW_SX_SY_S15_S19_S1B_T6_T7_T9_mT8_S1D_bDpT10_ENKUlT_T0_E_clISt17integral_constantIbLb1EES1Q_IbLb0EEEEDaS1M_S1N_EUlS1M_E_NS1_11comp_targetILNS1_3genE0ELNS1_11target_archE4294967295ELNS1_3gpuE0ELNS1_3repE0EEENS1_30default_config_static_selectorELNS0_4arch9wavefront6targetE0EEEvSZ_ ; -- Begin function _ZN7rocprim17ROCPRIM_400000_NS6detail17trampoline_kernelINS0_13select_configILj256ELj13ELNS0_17block_load_methodE3ELS4_3ELS4_3ELNS0_20block_scan_algorithmE0ELj4294967295EEENS1_25partition_config_selectorILNS1_17partition_subalgoE4EjNS0_10empty_typeEbEEZZNS1_14partition_implILS8_4ELb0ES6_15HIP_vector_typeIjLj2EENS0_17counting_iteratorIjlEEPS9_SG_NS0_5tupleIJPjSI_NS0_16reverse_iteratorISI_EEEEENSH_IJSG_SG_SG_EEES9_SI_JZNS1_25segmented_radix_sort_implINS0_14default_configELb0EPKlPlSQ_SR_N2at6native12_GLOBAL__N_18offset_tEEE10hipError_tPvRmT1_PNSt15iterator_traitsISZ_E10value_typeET2_T3_PNS10_IS15_E10value_typeET4_jRbjT5_S1B_jjP12ihipStream_tbEUljE_ZNSN_ISO_Lb0ESQ_SR_SQ_SR_SV_EESW_SX_SY_SZ_S13_S14_S15_S18_S19_jS1A_jS1B_S1B_jjS1D_bEUljE0_EEESW_SX_SY_S15_S19_S1B_T6_T7_T9_mT8_S1D_bDpT10_ENKUlT_T0_E_clISt17integral_constantIbLb1EES1Q_IbLb0EEEEDaS1M_S1N_EUlS1M_E_NS1_11comp_targetILNS1_3genE0ELNS1_11target_archE4294967295ELNS1_3gpuE0ELNS1_3repE0EEENS1_30default_config_static_selectorELNS0_4arch9wavefront6targetE0EEEvSZ_
	.p2align	8
	.type	_ZN7rocprim17ROCPRIM_400000_NS6detail17trampoline_kernelINS0_13select_configILj256ELj13ELNS0_17block_load_methodE3ELS4_3ELS4_3ELNS0_20block_scan_algorithmE0ELj4294967295EEENS1_25partition_config_selectorILNS1_17partition_subalgoE4EjNS0_10empty_typeEbEEZZNS1_14partition_implILS8_4ELb0ES6_15HIP_vector_typeIjLj2EENS0_17counting_iteratorIjlEEPS9_SG_NS0_5tupleIJPjSI_NS0_16reverse_iteratorISI_EEEEENSH_IJSG_SG_SG_EEES9_SI_JZNS1_25segmented_radix_sort_implINS0_14default_configELb0EPKlPlSQ_SR_N2at6native12_GLOBAL__N_18offset_tEEE10hipError_tPvRmT1_PNSt15iterator_traitsISZ_E10value_typeET2_T3_PNS10_IS15_E10value_typeET4_jRbjT5_S1B_jjP12ihipStream_tbEUljE_ZNSN_ISO_Lb0ESQ_SR_SQ_SR_SV_EESW_SX_SY_SZ_S13_S14_S15_S18_S19_jS1A_jS1B_S1B_jjS1D_bEUljE0_EEESW_SX_SY_S15_S19_S1B_T6_T7_T9_mT8_S1D_bDpT10_ENKUlT_T0_E_clISt17integral_constantIbLb1EES1Q_IbLb0EEEEDaS1M_S1N_EUlS1M_E_NS1_11comp_targetILNS1_3genE0ELNS1_11target_archE4294967295ELNS1_3gpuE0ELNS1_3repE0EEENS1_30default_config_static_selectorELNS0_4arch9wavefront6targetE0EEEvSZ_,@function
_ZN7rocprim17ROCPRIM_400000_NS6detail17trampoline_kernelINS0_13select_configILj256ELj13ELNS0_17block_load_methodE3ELS4_3ELS4_3ELNS0_20block_scan_algorithmE0ELj4294967295EEENS1_25partition_config_selectorILNS1_17partition_subalgoE4EjNS0_10empty_typeEbEEZZNS1_14partition_implILS8_4ELb0ES6_15HIP_vector_typeIjLj2EENS0_17counting_iteratorIjlEEPS9_SG_NS0_5tupleIJPjSI_NS0_16reverse_iteratorISI_EEEEENSH_IJSG_SG_SG_EEES9_SI_JZNS1_25segmented_radix_sort_implINS0_14default_configELb0EPKlPlSQ_SR_N2at6native12_GLOBAL__N_18offset_tEEE10hipError_tPvRmT1_PNSt15iterator_traitsISZ_E10value_typeET2_T3_PNS10_IS15_E10value_typeET4_jRbjT5_S1B_jjP12ihipStream_tbEUljE_ZNSN_ISO_Lb0ESQ_SR_SQ_SR_SV_EESW_SX_SY_SZ_S13_S14_S15_S18_S19_jS1A_jS1B_S1B_jjS1D_bEUljE0_EEESW_SX_SY_S15_S19_S1B_T6_T7_T9_mT8_S1D_bDpT10_ENKUlT_T0_E_clISt17integral_constantIbLb1EES1Q_IbLb0EEEEDaS1M_S1N_EUlS1M_E_NS1_11comp_targetILNS1_3genE0ELNS1_11target_archE4294967295ELNS1_3gpuE0ELNS1_3repE0EEENS1_30default_config_static_selectorELNS0_4arch9wavefront6targetE0EEEvSZ_: ; @_ZN7rocprim17ROCPRIM_400000_NS6detail17trampoline_kernelINS0_13select_configILj256ELj13ELNS0_17block_load_methodE3ELS4_3ELS4_3ELNS0_20block_scan_algorithmE0ELj4294967295EEENS1_25partition_config_selectorILNS1_17partition_subalgoE4EjNS0_10empty_typeEbEEZZNS1_14partition_implILS8_4ELb0ES6_15HIP_vector_typeIjLj2EENS0_17counting_iteratorIjlEEPS9_SG_NS0_5tupleIJPjSI_NS0_16reverse_iteratorISI_EEEEENSH_IJSG_SG_SG_EEES9_SI_JZNS1_25segmented_radix_sort_implINS0_14default_configELb0EPKlPlSQ_SR_N2at6native12_GLOBAL__N_18offset_tEEE10hipError_tPvRmT1_PNSt15iterator_traitsISZ_E10value_typeET2_T3_PNS10_IS15_E10value_typeET4_jRbjT5_S1B_jjP12ihipStream_tbEUljE_ZNSN_ISO_Lb0ESQ_SR_SQ_SR_SV_EESW_SX_SY_SZ_S13_S14_S15_S18_S19_jS1A_jS1B_S1B_jjS1D_bEUljE0_EEESW_SX_SY_S15_S19_S1B_T6_T7_T9_mT8_S1D_bDpT10_ENKUlT_T0_E_clISt17integral_constantIbLb1EES1Q_IbLb0EEEEDaS1M_S1N_EUlS1M_E_NS1_11comp_targetILNS1_3genE0ELNS1_11target_archE4294967295ELNS1_3gpuE0ELNS1_3repE0EEENS1_30default_config_static_selectorELNS0_4arch9wavefront6targetE0EEEvSZ_
; %bb.0:
	.section	.rodata,"a",@progbits
	.p2align	6, 0x0
	.amdhsa_kernel _ZN7rocprim17ROCPRIM_400000_NS6detail17trampoline_kernelINS0_13select_configILj256ELj13ELNS0_17block_load_methodE3ELS4_3ELS4_3ELNS0_20block_scan_algorithmE0ELj4294967295EEENS1_25partition_config_selectorILNS1_17partition_subalgoE4EjNS0_10empty_typeEbEEZZNS1_14partition_implILS8_4ELb0ES6_15HIP_vector_typeIjLj2EENS0_17counting_iteratorIjlEEPS9_SG_NS0_5tupleIJPjSI_NS0_16reverse_iteratorISI_EEEEENSH_IJSG_SG_SG_EEES9_SI_JZNS1_25segmented_radix_sort_implINS0_14default_configELb0EPKlPlSQ_SR_N2at6native12_GLOBAL__N_18offset_tEEE10hipError_tPvRmT1_PNSt15iterator_traitsISZ_E10value_typeET2_T3_PNS10_IS15_E10value_typeET4_jRbjT5_S1B_jjP12ihipStream_tbEUljE_ZNSN_ISO_Lb0ESQ_SR_SQ_SR_SV_EESW_SX_SY_SZ_S13_S14_S15_S18_S19_jS1A_jS1B_S1B_jjS1D_bEUljE0_EEESW_SX_SY_S15_S19_S1B_T6_T7_T9_mT8_S1D_bDpT10_ENKUlT_T0_E_clISt17integral_constantIbLb1EES1Q_IbLb0EEEEDaS1M_S1N_EUlS1M_E_NS1_11comp_targetILNS1_3genE0ELNS1_11target_archE4294967295ELNS1_3gpuE0ELNS1_3repE0EEENS1_30default_config_static_selectorELNS0_4arch9wavefront6targetE0EEEvSZ_
		.amdhsa_group_segment_fixed_size 0
		.amdhsa_private_segment_fixed_size 0
		.amdhsa_kernarg_size 176
		.amdhsa_user_sgpr_count 2
		.amdhsa_user_sgpr_dispatch_ptr 0
		.amdhsa_user_sgpr_queue_ptr 0
		.amdhsa_user_sgpr_kernarg_segment_ptr 1
		.amdhsa_user_sgpr_dispatch_id 0
		.amdhsa_user_sgpr_private_segment_size 0
		.amdhsa_wavefront_size32 1
		.amdhsa_uses_dynamic_stack 0
		.amdhsa_enable_private_segment 0
		.amdhsa_system_sgpr_workgroup_id_x 1
		.amdhsa_system_sgpr_workgroup_id_y 0
		.amdhsa_system_sgpr_workgroup_id_z 0
		.amdhsa_system_sgpr_workgroup_info 0
		.amdhsa_system_vgpr_workitem_id 0
		.amdhsa_next_free_vgpr 1
		.amdhsa_next_free_sgpr 1
		.amdhsa_reserve_vcc 0
		.amdhsa_float_round_mode_32 0
		.amdhsa_float_round_mode_16_64 0
		.amdhsa_float_denorm_mode_32 3
		.amdhsa_float_denorm_mode_16_64 3
		.amdhsa_fp16_overflow 0
		.amdhsa_workgroup_processor_mode 1
		.amdhsa_memory_ordered 1
		.amdhsa_forward_progress 1
		.amdhsa_inst_pref_size 0
		.amdhsa_round_robin_scheduling 0
		.amdhsa_exception_fp_ieee_invalid_op 0
		.amdhsa_exception_fp_denorm_src 0
		.amdhsa_exception_fp_ieee_div_zero 0
		.amdhsa_exception_fp_ieee_overflow 0
		.amdhsa_exception_fp_ieee_underflow 0
		.amdhsa_exception_fp_ieee_inexact 0
		.amdhsa_exception_int_div_zero 0
	.end_amdhsa_kernel
	.section	.text._ZN7rocprim17ROCPRIM_400000_NS6detail17trampoline_kernelINS0_13select_configILj256ELj13ELNS0_17block_load_methodE3ELS4_3ELS4_3ELNS0_20block_scan_algorithmE0ELj4294967295EEENS1_25partition_config_selectorILNS1_17partition_subalgoE4EjNS0_10empty_typeEbEEZZNS1_14partition_implILS8_4ELb0ES6_15HIP_vector_typeIjLj2EENS0_17counting_iteratorIjlEEPS9_SG_NS0_5tupleIJPjSI_NS0_16reverse_iteratorISI_EEEEENSH_IJSG_SG_SG_EEES9_SI_JZNS1_25segmented_radix_sort_implINS0_14default_configELb0EPKlPlSQ_SR_N2at6native12_GLOBAL__N_18offset_tEEE10hipError_tPvRmT1_PNSt15iterator_traitsISZ_E10value_typeET2_T3_PNS10_IS15_E10value_typeET4_jRbjT5_S1B_jjP12ihipStream_tbEUljE_ZNSN_ISO_Lb0ESQ_SR_SQ_SR_SV_EESW_SX_SY_SZ_S13_S14_S15_S18_S19_jS1A_jS1B_S1B_jjS1D_bEUljE0_EEESW_SX_SY_S15_S19_S1B_T6_T7_T9_mT8_S1D_bDpT10_ENKUlT_T0_E_clISt17integral_constantIbLb1EES1Q_IbLb0EEEEDaS1M_S1N_EUlS1M_E_NS1_11comp_targetILNS1_3genE0ELNS1_11target_archE4294967295ELNS1_3gpuE0ELNS1_3repE0EEENS1_30default_config_static_selectorELNS0_4arch9wavefront6targetE0EEEvSZ_,"axG",@progbits,_ZN7rocprim17ROCPRIM_400000_NS6detail17trampoline_kernelINS0_13select_configILj256ELj13ELNS0_17block_load_methodE3ELS4_3ELS4_3ELNS0_20block_scan_algorithmE0ELj4294967295EEENS1_25partition_config_selectorILNS1_17partition_subalgoE4EjNS0_10empty_typeEbEEZZNS1_14partition_implILS8_4ELb0ES6_15HIP_vector_typeIjLj2EENS0_17counting_iteratorIjlEEPS9_SG_NS0_5tupleIJPjSI_NS0_16reverse_iteratorISI_EEEEENSH_IJSG_SG_SG_EEES9_SI_JZNS1_25segmented_radix_sort_implINS0_14default_configELb0EPKlPlSQ_SR_N2at6native12_GLOBAL__N_18offset_tEEE10hipError_tPvRmT1_PNSt15iterator_traitsISZ_E10value_typeET2_T3_PNS10_IS15_E10value_typeET4_jRbjT5_S1B_jjP12ihipStream_tbEUljE_ZNSN_ISO_Lb0ESQ_SR_SQ_SR_SV_EESW_SX_SY_SZ_S13_S14_S15_S18_S19_jS1A_jS1B_S1B_jjS1D_bEUljE0_EEESW_SX_SY_S15_S19_S1B_T6_T7_T9_mT8_S1D_bDpT10_ENKUlT_T0_E_clISt17integral_constantIbLb1EES1Q_IbLb0EEEEDaS1M_S1N_EUlS1M_E_NS1_11comp_targetILNS1_3genE0ELNS1_11target_archE4294967295ELNS1_3gpuE0ELNS1_3repE0EEENS1_30default_config_static_selectorELNS0_4arch9wavefront6targetE0EEEvSZ_,comdat
.Lfunc_end759:
	.size	_ZN7rocprim17ROCPRIM_400000_NS6detail17trampoline_kernelINS0_13select_configILj256ELj13ELNS0_17block_load_methodE3ELS4_3ELS4_3ELNS0_20block_scan_algorithmE0ELj4294967295EEENS1_25partition_config_selectorILNS1_17partition_subalgoE4EjNS0_10empty_typeEbEEZZNS1_14partition_implILS8_4ELb0ES6_15HIP_vector_typeIjLj2EENS0_17counting_iteratorIjlEEPS9_SG_NS0_5tupleIJPjSI_NS0_16reverse_iteratorISI_EEEEENSH_IJSG_SG_SG_EEES9_SI_JZNS1_25segmented_radix_sort_implINS0_14default_configELb0EPKlPlSQ_SR_N2at6native12_GLOBAL__N_18offset_tEEE10hipError_tPvRmT1_PNSt15iterator_traitsISZ_E10value_typeET2_T3_PNS10_IS15_E10value_typeET4_jRbjT5_S1B_jjP12ihipStream_tbEUljE_ZNSN_ISO_Lb0ESQ_SR_SQ_SR_SV_EESW_SX_SY_SZ_S13_S14_S15_S18_S19_jS1A_jS1B_S1B_jjS1D_bEUljE0_EEESW_SX_SY_S15_S19_S1B_T6_T7_T9_mT8_S1D_bDpT10_ENKUlT_T0_E_clISt17integral_constantIbLb1EES1Q_IbLb0EEEEDaS1M_S1N_EUlS1M_E_NS1_11comp_targetILNS1_3genE0ELNS1_11target_archE4294967295ELNS1_3gpuE0ELNS1_3repE0EEENS1_30default_config_static_selectorELNS0_4arch9wavefront6targetE0EEEvSZ_, .Lfunc_end759-_ZN7rocprim17ROCPRIM_400000_NS6detail17trampoline_kernelINS0_13select_configILj256ELj13ELNS0_17block_load_methodE3ELS4_3ELS4_3ELNS0_20block_scan_algorithmE0ELj4294967295EEENS1_25partition_config_selectorILNS1_17partition_subalgoE4EjNS0_10empty_typeEbEEZZNS1_14partition_implILS8_4ELb0ES6_15HIP_vector_typeIjLj2EENS0_17counting_iteratorIjlEEPS9_SG_NS0_5tupleIJPjSI_NS0_16reverse_iteratorISI_EEEEENSH_IJSG_SG_SG_EEES9_SI_JZNS1_25segmented_radix_sort_implINS0_14default_configELb0EPKlPlSQ_SR_N2at6native12_GLOBAL__N_18offset_tEEE10hipError_tPvRmT1_PNSt15iterator_traitsISZ_E10value_typeET2_T3_PNS10_IS15_E10value_typeET4_jRbjT5_S1B_jjP12ihipStream_tbEUljE_ZNSN_ISO_Lb0ESQ_SR_SQ_SR_SV_EESW_SX_SY_SZ_S13_S14_S15_S18_S19_jS1A_jS1B_S1B_jjS1D_bEUljE0_EEESW_SX_SY_S15_S19_S1B_T6_T7_T9_mT8_S1D_bDpT10_ENKUlT_T0_E_clISt17integral_constantIbLb1EES1Q_IbLb0EEEEDaS1M_S1N_EUlS1M_E_NS1_11comp_targetILNS1_3genE0ELNS1_11target_archE4294967295ELNS1_3gpuE0ELNS1_3repE0EEENS1_30default_config_static_selectorELNS0_4arch9wavefront6targetE0EEEvSZ_
                                        ; -- End function
	.set _ZN7rocprim17ROCPRIM_400000_NS6detail17trampoline_kernelINS0_13select_configILj256ELj13ELNS0_17block_load_methodE3ELS4_3ELS4_3ELNS0_20block_scan_algorithmE0ELj4294967295EEENS1_25partition_config_selectorILNS1_17partition_subalgoE4EjNS0_10empty_typeEbEEZZNS1_14partition_implILS8_4ELb0ES6_15HIP_vector_typeIjLj2EENS0_17counting_iteratorIjlEEPS9_SG_NS0_5tupleIJPjSI_NS0_16reverse_iteratorISI_EEEEENSH_IJSG_SG_SG_EEES9_SI_JZNS1_25segmented_radix_sort_implINS0_14default_configELb0EPKlPlSQ_SR_N2at6native12_GLOBAL__N_18offset_tEEE10hipError_tPvRmT1_PNSt15iterator_traitsISZ_E10value_typeET2_T3_PNS10_IS15_E10value_typeET4_jRbjT5_S1B_jjP12ihipStream_tbEUljE_ZNSN_ISO_Lb0ESQ_SR_SQ_SR_SV_EESW_SX_SY_SZ_S13_S14_S15_S18_S19_jS1A_jS1B_S1B_jjS1D_bEUljE0_EEESW_SX_SY_S15_S19_S1B_T6_T7_T9_mT8_S1D_bDpT10_ENKUlT_T0_E_clISt17integral_constantIbLb1EES1Q_IbLb0EEEEDaS1M_S1N_EUlS1M_E_NS1_11comp_targetILNS1_3genE0ELNS1_11target_archE4294967295ELNS1_3gpuE0ELNS1_3repE0EEENS1_30default_config_static_selectorELNS0_4arch9wavefront6targetE0EEEvSZ_.num_vgpr, 0
	.set _ZN7rocprim17ROCPRIM_400000_NS6detail17trampoline_kernelINS0_13select_configILj256ELj13ELNS0_17block_load_methodE3ELS4_3ELS4_3ELNS0_20block_scan_algorithmE0ELj4294967295EEENS1_25partition_config_selectorILNS1_17partition_subalgoE4EjNS0_10empty_typeEbEEZZNS1_14partition_implILS8_4ELb0ES6_15HIP_vector_typeIjLj2EENS0_17counting_iteratorIjlEEPS9_SG_NS0_5tupleIJPjSI_NS0_16reverse_iteratorISI_EEEEENSH_IJSG_SG_SG_EEES9_SI_JZNS1_25segmented_radix_sort_implINS0_14default_configELb0EPKlPlSQ_SR_N2at6native12_GLOBAL__N_18offset_tEEE10hipError_tPvRmT1_PNSt15iterator_traitsISZ_E10value_typeET2_T3_PNS10_IS15_E10value_typeET4_jRbjT5_S1B_jjP12ihipStream_tbEUljE_ZNSN_ISO_Lb0ESQ_SR_SQ_SR_SV_EESW_SX_SY_SZ_S13_S14_S15_S18_S19_jS1A_jS1B_S1B_jjS1D_bEUljE0_EEESW_SX_SY_S15_S19_S1B_T6_T7_T9_mT8_S1D_bDpT10_ENKUlT_T0_E_clISt17integral_constantIbLb1EES1Q_IbLb0EEEEDaS1M_S1N_EUlS1M_E_NS1_11comp_targetILNS1_3genE0ELNS1_11target_archE4294967295ELNS1_3gpuE0ELNS1_3repE0EEENS1_30default_config_static_selectorELNS0_4arch9wavefront6targetE0EEEvSZ_.num_agpr, 0
	.set _ZN7rocprim17ROCPRIM_400000_NS6detail17trampoline_kernelINS0_13select_configILj256ELj13ELNS0_17block_load_methodE3ELS4_3ELS4_3ELNS0_20block_scan_algorithmE0ELj4294967295EEENS1_25partition_config_selectorILNS1_17partition_subalgoE4EjNS0_10empty_typeEbEEZZNS1_14partition_implILS8_4ELb0ES6_15HIP_vector_typeIjLj2EENS0_17counting_iteratorIjlEEPS9_SG_NS0_5tupleIJPjSI_NS0_16reverse_iteratorISI_EEEEENSH_IJSG_SG_SG_EEES9_SI_JZNS1_25segmented_radix_sort_implINS0_14default_configELb0EPKlPlSQ_SR_N2at6native12_GLOBAL__N_18offset_tEEE10hipError_tPvRmT1_PNSt15iterator_traitsISZ_E10value_typeET2_T3_PNS10_IS15_E10value_typeET4_jRbjT5_S1B_jjP12ihipStream_tbEUljE_ZNSN_ISO_Lb0ESQ_SR_SQ_SR_SV_EESW_SX_SY_SZ_S13_S14_S15_S18_S19_jS1A_jS1B_S1B_jjS1D_bEUljE0_EEESW_SX_SY_S15_S19_S1B_T6_T7_T9_mT8_S1D_bDpT10_ENKUlT_T0_E_clISt17integral_constantIbLb1EES1Q_IbLb0EEEEDaS1M_S1N_EUlS1M_E_NS1_11comp_targetILNS1_3genE0ELNS1_11target_archE4294967295ELNS1_3gpuE0ELNS1_3repE0EEENS1_30default_config_static_selectorELNS0_4arch9wavefront6targetE0EEEvSZ_.numbered_sgpr, 0
	.set _ZN7rocprim17ROCPRIM_400000_NS6detail17trampoline_kernelINS0_13select_configILj256ELj13ELNS0_17block_load_methodE3ELS4_3ELS4_3ELNS0_20block_scan_algorithmE0ELj4294967295EEENS1_25partition_config_selectorILNS1_17partition_subalgoE4EjNS0_10empty_typeEbEEZZNS1_14partition_implILS8_4ELb0ES6_15HIP_vector_typeIjLj2EENS0_17counting_iteratorIjlEEPS9_SG_NS0_5tupleIJPjSI_NS0_16reverse_iteratorISI_EEEEENSH_IJSG_SG_SG_EEES9_SI_JZNS1_25segmented_radix_sort_implINS0_14default_configELb0EPKlPlSQ_SR_N2at6native12_GLOBAL__N_18offset_tEEE10hipError_tPvRmT1_PNSt15iterator_traitsISZ_E10value_typeET2_T3_PNS10_IS15_E10value_typeET4_jRbjT5_S1B_jjP12ihipStream_tbEUljE_ZNSN_ISO_Lb0ESQ_SR_SQ_SR_SV_EESW_SX_SY_SZ_S13_S14_S15_S18_S19_jS1A_jS1B_S1B_jjS1D_bEUljE0_EEESW_SX_SY_S15_S19_S1B_T6_T7_T9_mT8_S1D_bDpT10_ENKUlT_T0_E_clISt17integral_constantIbLb1EES1Q_IbLb0EEEEDaS1M_S1N_EUlS1M_E_NS1_11comp_targetILNS1_3genE0ELNS1_11target_archE4294967295ELNS1_3gpuE0ELNS1_3repE0EEENS1_30default_config_static_selectorELNS0_4arch9wavefront6targetE0EEEvSZ_.num_named_barrier, 0
	.set _ZN7rocprim17ROCPRIM_400000_NS6detail17trampoline_kernelINS0_13select_configILj256ELj13ELNS0_17block_load_methodE3ELS4_3ELS4_3ELNS0_20block_scan_algorithmE0ELj4294967295EEENS1_25partition_config_selectorILNS1_17partition_subalgoE4EjNS0_10empty_typeEbEEZZNS1_14partition_implILS8_4ELb0ES6_15HIP_vector_typeIjLj2EENS0_17counting_iteratorIjlEEPS9_SG_NS0_5tupleIJPjSI_NS0_16reverse_iteratorISI_EEEEENSH_IJSG_SG_SG_EEES9_SI_JZNS1_25segmented_radix_sort_implINS0_14default_configELb0EPKlPlSQ_SR_N2at6native12_GLOBAL__N_18offset_tEEE10hipError_tPvRmT1_PNSt15iterator_traitsISZ_E10value_typeET2_T3_PNS10_IS15_E10value_typeET4_jRbjT5_S1B_jjP12ihipStream_tbEUljE_ZNSN_ISO_Lb0ESQ_SR_SQ_SR_SV_EESW_SX_SY_SZ_S13_S14_S15_S18_S19_jS1A_jS1B_S1B_jjS1D_bEUljE0_EEESW_SX_SY_S15_S19_S1B_T6_T7_T9_mT8_S1D_bDpT10_ENKUlT_T0_E_clISt17integral_constantIbLb1EES1Q_IbLb0EEEEDaS1M_S1N_EUlS1M_E_NS1_11comp_targetILNS1_3genE0ELNS1_11target_archE4294967295ELNS1_3gpuE0ELNS1_3repE0EEENS1_30default_config_static_selectorELNS0_4arch9wavefront6targetE0EEEvSZ_.private_seg_size, 0
	.set _ZN7rocprim17ROCPRIM_400000_NS6detail17trampoline_kernelINS0_13select_configILj256ELj13ELNS0_17block_load_methodE3ELS4_3ELS4_3ELNS0_20block_scan_algorithmE0ELj4294967295EEENS1_25partition_config_selectorILNS1_17partition_subalgoE4EjNS0_10empty_typeEbEEZZNS1_14partition_implILS8_4ELb0ES6_15HIP_vector_typeIjLj2EENS0_17counting_iteratorIjlEEPS9_SG_NS0_5tupleIJPjSI_NS0_16reverse_iteratorISI_EEEEENSH_IJSG_SG_SG_EEES9_SI_JZNS1_25segmented_radix_sort_implINS0_14default_configELb0EPKlPlSQ_SR_N2at6native12_GLOBAL__N_18offset_tEEE10hipError_tPvRmT1_PNSt15iterator_traitsISZ_E10value_typeET2_T3_PNS10_IS15_E10value_typeET4_jRbjT5_S1B_jjP12ihipStream_tbEUljE_ZNSN_ISO_Lb0ESQ_SR_SQ_SR_SV_EESW_SX_SY_SZ_S13_S14_S15_S18_S19_jS1A_jS1B_S1B_jjS1D_bEUljE0_EEESW_SX_SY_S15_S19_S1B_T6_T7_T9_mT8_S1D_bDpT10_ENKUlT_T0_E_clISt17integral_constantIbLb1EES1Q_IbLb0EEEEDaS1M_S1N_EUlS1M_E_NS1_11comp_targetILNS1_3genE0ELNS1_11target_archE4294967295ELNS1_3gpuE0ELNS1_3repE0EEENS1_30default_config_static_selectorELNS0_4arch9wavefront6targetE0EEEvSZ_.uses_vcc, 0
	.set _ZN7rocprim17ROCPRIM_400000_NS6detail17trampoline_kernelINS0_13select_configILj256ELj13ELNS0_17block_load_methodE3ELS4_3ELS4_3ELNS0_20block_scan_algorithmE0ELj4294967295EEENS1_25partition_config_selectorILNS1_17partition_subalgoE4EjNS0_10empty_typeEbEEZZNS1_14partition_implILS8_4ELb0ES6_15HIP_vector_typeIjLj2EENS0_17counting_iteratorIjlEEPS9_SG_NS0_5tupleIJPjSI_NS0_16reverse_iteratorISI_EEEEENSH_IJSG_SG_SG_EEES9_SI_JZNS1_25segmented_radix_sort_implINS0_14default_configELb0EPKlPlSQ_SR_N2at6native12_GLOBAL__N_18offset_tEEE10hipError_tPvRmT1_PNSt15iterator_traitsISZ_E10value_typeET2_T3_PNS10_IS15_E10value_typeET4_jRbjT5_S1B_jjP12ihipStream_tbEUljE_ZNSN_ISO_Lb0ESQ_SR_SQ_SR_SV_EESW_SX_SY_SZ_S13_S14_S15_S18_S19_jS1A_jS1B_S1B_jjS1D_bEUljE0_EEESW_SX_SY_S15_S19_S1B_T6_T7_T9_mT8_S1D_bDpT10_ENKUlT_T0_E_clISt17integral_constantIbLb1EES1Q_IbLb0EEEEDaS1M_S1N_EUlS1M_E_NS1_11comp_targetILNS1_3genE0ELNS1_11target_archE4294967295ELNS1_3gpuE0ELNS1_3repE0EEENS1_30default_config_static_selectorELNS0_4arch9wavefront6targetE0EEEvSZ_.uses_flat_scratch, 0
	.set _ZN7rocprim17ROCPRIM_400000_NS6detail17trampoline_kernelINS0_13select_configILj256ELj13ELNS0_17block_load_methodE3ELS4_3ELS4_3ELNS0_20block_scan_algorithmE0ELj4294967295EEENS1_25partition_config_selectorILNS1_17partition_subalgoE4EjNS0_10empty_typeEbEEZZNS1_14partition_implILS8_4ELb0ES6_15HIP_vector_typeIjLj2EENS0_17counting_iteratorIjlEEPS9_SG_NS0_5tupleIJPjSI_NS0_16reverse_iteratorISI_EEEEENSH_IJSG_SG_SG_EEES9_SI_JZNS1_25segmented_radix_sort_implINS0_14default_configELb0EPKlPlSQ_SR_N2at6native12_GLOBAL__N_18offset_tEEE10hipError_tPvRmT1_PNSt15iterator_traitsISZ_E10value_typeET2_T3_PNS10_IS15_E10value_typeET4_jRbjT5_S1B_jjP12ihipStream_tbEUljE_ZNSN_ISO_Lb0ESQ_SR_SQ_SR_SV_EESW_SX_SY_SZ_S13_S14_S15_S18_S19_jS1A_jS1B_S1B_jjS1D_bEUljE0_EEESW_SX_SY_S15_S19_S1B_T6_T7_T9_mT8_S1D_bDpT10_ENKUlT_T0_E_clISt17integral_constantIbLb1EES1Q_IbLb0EEEEDaS1M_S1N_EUlS1M_E_NS1_11comp_targetILNS1_3genE0ELNS1_11target_archE4294967295ELNS1_3gpuE0ELNS1_3repE0EEENS1_30default_config_static_selectorELNS0_4arch9wavefront6targetE0EEEvSZ_.has_dyn_sized_stack, 0
	.set _ZN7rocprim17ROCPRIM_400000_NS6detail17trampoline_kernelINS0_13select_configILj256ELj13ELNS0_17block_load_methodE3ELS4_3ELS4_3ELNS0_20block_scan_algorithmE0ELj4294967295EEENS1_25partition_config_selectorILNS1_17partition_subalgoE4EjNS0_10empty_typeEbEEZZNS1_14partition_implILS8_4ELb0ES6_15HIP_vector_typeIjLj2EENS0_17counting_iteratorIjlEEPS9_SG_NS0_5tupleIJPjSI_NS0_16reverse_iteratorISI_EEEEENSH_IJSG_SG_SG_EEES9_SI_JZNS1_25segmented_radix_sort_implINS0_14default_configELb0EPKlPlSQ_SR_N2at6native12_GLOBAL__N_18offset_tEEE10hipError_tPvRmT1_PNSt15iterator_traitsISZ_E10value_typeET2_T3_PNS10_IS15_E10value_typeET4_jRbjT5_S1B_jjP12ihipStream_tbEUljE_ZNSN_ISO_Lb0ESQ_SR_SQ_SR_SV_EESW_SX_SY_SZ_S13_S14_S15_S18_S19_jS1A_jS1B_S1B_jjS1D_bEUljE0_EEESW_SX_SY_S15_S19_S1B_T6_T7_T9_mT8_S1D_bDpT10_ENKUlT_T0_E_clISt17integral_constantIbLb1EES1Q_IbLb0EEEEDaS1M_S1N_EUlS1M_E_NS1_11comp_targetILNS1_3genE0ELNS1_11target_archE4294967295ELNS1_3gpuE0ELNS1_3repE0EEENS1_30default_config_static_selectorELNS0_4arch9wavefront6targetE0EEEvSZ_.has_recursion, 0
	.set _ZN7rocprim17ROCPRIM_400000_NS6detail17trampoline_kernelINS0_13select_configILj256ELj13ELNS0_17block_load_methodE3ELS4_3ELS4_3ELNS0_20block_scan_algorithmE0ELj4294967295EEENS1_25partition_config_selectorILNS1_17partition_subalgoE4EjNS0_10empty_typeEbEEZZNS1_14partition_implILS8_4ELb0ES6_15HIP_vector_typeIjLj2EENS0_17counting_iteratorIjlEEPS9_SG_NS0_5tupleIJPjSI_NS0_16reverse_iteratorISI_EEEEENSH_IJSG_SG_SG_EEES9_SI_JZNS1_25segmented_radix_sort_implINS0_14default_configELb0EPKlPlSQ_SR_N2at6native12_GLOBAL__N_18offset_tEEE10hipError_tPvRmT1_PNSt15iterator_traitsISZ_E10value_typeET2_T3_PNS10_IS15_E10value_typeET4_jRbjT5_S1B_jjP12ihipStream_tbEUljE_ZNSN_ISO_Lb0ESQ_SR_SQ_SR_SV_EESW_SX_SY_SZ_S13_S14_S15_S18_S19_jS1A_jS1B_S1B_jjS1D_bEUljE0_EEESW_SX_SY_S15_S19_S1B_T6_T7_T9_mT8_S1D_bDpT10_ENKUlT_T0_E_clISt17integral_constantIbLb1EES1Q_IbLb0EEEEDaS1M_S1N_EUlS1M_E_NS1_11comp_targetILNS1_3genE0ELNS1_11target_archE4294967295ELNS1_3gpuE0ELNS1_3repE0EEENS1_30default_config_static_selectorELNS0_4arch9wavefront6targetE0EEEvSZ_.has_indirect_call, 0
	.section	.AMDGPU.csdata,"",@progbits
; Kernel info:
; codeLenInByte = 0
; TotalNumSgprs: 0
; NumVgprs: 0
; ScratchSize: 0
; MemoryBound: 0
; FloatMode: 240
; IeeeMode: 1
; LDSByteSize: 0 bytes/workgroup (compile time only)
; SGPRBlocks: 0
; VGPRBlocks: 0
; NumSGPRsForWavesPerEU: 1
; NumVGPRsForWavesPerEU: 1
; Occupancy: 16
; WaveLimiterHint : 0
; COMPUTE_PGM_RSRC2:SCRATCH_EN: 0
; COMPUTE_PGM_RSRC2:USER_SGPR: 2
; COMPUTE_PGM_RSRC2:TRAP_HANDLER: 0
; COMPUTE_PGM_RSRC2:TGID_X_EN: 1
; COMPUTE_PGM_RSRC2:TGID_Y_EN: 0
; COMPUTE_PGM_RSRC2:TGID_Z_EN: 0
; COMPUTE_PGM_RSRC2:TIDIG_COMP_CNT: 0
	.section	.text._ZN7rocprim17ROCPRIM_400000_NS6detail17trampoline_kernelINS0_13select_configILj256ELj13ELNS0_17block_load_methodE3ELS4_3ELS4_3ELNS0_20block_scan_algorithmE0ELj4294967295EEENS1_25partition_config_selectorILNS1_17partition_subalgoE4EjNS0_10empty_typeEbEEZZNS1_14partition_implILS8_4ELb0ES6_15HIP_vector_typeIjLj2EENS0_17counting_iteratorIjlEEPS9_SG_NS0_5tupleIJPjSI_NS0_16reverse_iteratorISI_EEEEENSH_IJSG_SG_SG_EEES9_SI_JZNS1_25segmented_radix_sort_implINS0_14default_configELb0EPKlPlSQ_SR_N2at6native12_GLOBAL__N_18offset_tEEE10hipError_tPvRmT1_PNSt15iterator_traitsISZ_E10value_typeET2_T3_PNS10_IS15_E10value_typeET4_jRbjT5_S1B_jjP12ihipStream_tbEUljE_ZNSN_ISO_Lb0ESQ_SR_SQ_SR_SV_EESW_SX_SY_SZ_S13_S14_S15_S18_S19_jS1A_jS1B_S1B_jjS1D_bEUljE0_EEESW_SX_SY_S15_S19_S1B_T6_T7_T9_mT8_S1D_bDpT10_ENKUlT_T0_E_clISt17integral_constantIbLb1EES1Q_IbLb0EEEEDaS1M_S1N_EUlS1M_E_NS1_11comp_targetILNS1_3genE5ELNS1_11target_archE942ELNS1_3gpuE9ELNS1_3repE0EEENS1_30default_config_static_selectorELNS0_4arch9wavefront6targetE0EEEvSZ_,"axG",@progbits,_ZN7rocprim17ROCPRIM_400000_NS6detail17trampoline_kernelINS0_13select_configILj256ELj13ELNS0_17block_load_methodE3ELS4_3ELS4_3ELNS0_20block_scan_algorithmE0ELj4294967295EEENS1_25partition_config_selectorILNS1_17partition_subalgoE4EjNS0_10empty_typeEbEEZZNS1_14partition_implILS8_4ELb0ES6_15HIP_vector_typeIjLj2EENS0_17counting_iteratorIjlEEPS9_SG_NS0_5tupleIJPjSI_NS0_16reverse_iteratorISI_EEEEENSH_IJSG_SG_SG_EEES9_SI_JZNS1_25segmented_radix_sort_implINS0_14default_configELb0EPKlPlSQ_SR_N2at6native12_GLOBAL__N_18offset_tEEE10hipError_tPvRmT1_PNSt15iterator_traitsISZ_E10value_typeET2_T3_PNS10_IS15_E10value_typeET4_jRbjT5_S1B_jjP12ihipStream_tbEUljE_ZNSN_ISO_Lb0ESQ_SR_SQ_SR_SV_EESW_SX_SY_SZ_S13_S14_S15_S18_S19_jS1A_jS1B_S1B_jjS1D_bEUljE0_EEESW_SX_SY_S15_S19_S1B_T6_T7_T9_mT8_S1D_bDpT10_ENKUlT_T0_E_clISt17integral_constantIbLb1EES1Q_IbLb0EEEEDaS1M_S1N_EUlS1M_E_NS1_11comp_targetILNS1_3genE5ELNS1_11target_archE942ELNS1_3gpuE9ELNS1_3repE0EEENS1_30default_config_static_selectorELNS0_4arch9wavefront6targetE0EEEvSZ_,comdat
	.globl	_ZN7rocprim17ROCPRIM_400000_NS6detail17trampoline_kernelINS0_13select_configILj256ELj13ELNS0_17block_load_methodE3ELS4_3ELS4_3ELNS0_20block_scan_algorithmE0ELj4294967295EEENS1_25partition_config_selectorILNS1_17partition_subalgoE4EjNS0_10empty_typeEbEEZZNS1_14partition_implILS8_4ELb0ES6_15HIP_vector_typeIjLj2EENS0_17counting_iteratorIjlEEPS9_SG_NS0_5tupleIJPjSI_NS0_16reverse_iteratorISI_EEEEENSH_IJSG_SG_SG_EEES9_SI_JZNS1_25segmented_radix_sort_implINS0_14default_configELb0EPKlPlSQ_SR_N2at6native12_GLOBAL__N_18offset_tEEE10hipError_tPvRmT1_PNSt15iterator_traitsISZ_E10value_typeET2_T3_PNS10_IS15_E10value_typeET4_jRbjT5_S1B_jjP12ihipStream_tbEUljE_ZNSN_ISO_Lb0ESQ_SR_SQ_SR_SV_EESW_SX_SY_SZ_S13_S14_S15_S18_S19_jS1A_jS1B_S1B_jjS1D_bEUljE0_EEESW_SX_SY_S15_S19_S1B_T6_T7_T9_mT8_S1D_bDpT10_ENKUlT_T0_E_clISt17integral_constantIbLb1EES1Q_IbLb0EEEEDaS1M_S1N_EUlS1M_E_NS1_11comp_targetILNS1_3genE5ELNS1_11target_archE942ELNS1_3gpuE9ELNS1_3repE0EEENS1_30default_config_static_selectorELNS0_4arch9wavefront6targetE0EEEvSZ_ ; -- Begin function _ZN7rocprim17ROCPRIM_400000_NS6detail17trampoline_kernelINS0_13select_configILj256ELj13ELNS0_17block_load_methodE3ELS4_3ELS4_3ELNS0_20block_scan_algorithmE0ELj4294967295EEENS1_25partition_config_selectorILNS1_17partition_subalgoE4EjNS0_10empty_typeEbEEZZNS1_14partition_implILS8_4ELb0ES6_15HIP_vector_typeIjLj2EENS0_17counting_iteratorIjlEEPS9_SG_NS0_5tupleIJPjSI_NS0_16reverse_iteratorISI_EEEEENSH_IJSG_SG_SG_EEES9_SI_JZNS1_25segmented_radix_sort_implINS0_14default_configELb0EPKlPlSQ_SR_N2at6native12_GLOBAL__N_18offset_tEEE10hipError_tPvRmT1_PNSt15iterator_traitsISZ_E10value_typeET2_T3_PNS10_IS15_E10value_typeET4_jRbjT5_S1B_jjP12ihipStream_tbEUljE_ZNSN_ISO_Lb0ESQ_SR_SQ_SR_SV_EESW_SX_SY_SZ_S13_S14_S15_S18_S19_jS1A_jS1B_S1B_jjS1D_bEUljE0_EEESW_SX_SY_S15_S19_S1B_T6_T7_T9_mT8_S1D_bDpT10_ENKUlT_T0_E_clISt17integral_constantIbLb1EES1Q_IbLb0EEEEDaS1M_S1N_EUlS1M_E_NS1_11comp_targetILNS1_3genE5ELNS1_11target_archE942ELNS1_3gpuE9ELNS1_3repE0EEENS1_30default_config_static_selectorELNS0_4arch9wavefront6targetE0EEEvSZ_
	.p2align	8
	.type	_ZN7rocprim17ROCPRIM_400000_NS6detail17trampoline_kernelINS0_13select_configILj256ELj13ELNS0_17block_load_methodE3ELS4_3ELS4_3ELNS0_20block_scan_algorithmE0ELj4294967295EEENS1_25partition_config_selectorILNS1_17partition_subalgoE4EjNS0_10empty_typeEbEEZZNS1_14partition_implILS8_4ELb0ES6_15HIP_vector_typeIjLj2EENS0_17counting_iteratorIjlEEPS9_SG_NS0_5tupleIJPjSI_NS0_16reverse_iteratorISI_EEEEENSH_IJSG_SG_SG_EEES9_SI_JZNS1_25segmented_radix_sort_implINS0_14default_configELb0EPKlPlSQ_SR_N2at6native12_GLOBAL__N_18offset_tEEE10hipError_tPvRmT1_PNSt15iterator_traitsISZ_E10value_typeET2_T3_PNS10_IS15_E10value_typeET4_jRbjT5_S1B_jjP12ihipStream_tbEUljE_ZNSN_ISO_Lb0ESQ_SR_SQ_SR_SV_EESW_SX_SY_SZ_S13_S14_S15_S18_S19_jS1A_jS1B_S1B_jjS1D_bEUljE0_EEESW_SX_SY_S15_S19_S1B_T6_T7_T9_mT8_S1D_bDpT10_ENKUlT_T0_E_clISt17integral_constantIbLb1EES1Q_IbLb0EEEEDaS1M_S1N_EUlS1M_E_NS1_11comp_targetILNS1_3genE5ELNS1_11target_archE942ELNS1_3gpuE9ELNS1_3repE0EEENS1_30default_config_static_selectorELNS0_4arch9wavefront6targetE0EEEvSZ_,@function
_ZN7rocprim17ROCPRIM_400000_NS6detail17trampoline_kernelINS0_13select_configILj256ELj13ELNS0_17block_load_methodE3ELS4_3ELS4_3ELNS0_20block_scan_algorithmE0ELj4294967295EEENS1_25partition_config_selectorILNS1_17partition_subalgoE4EjNS0_10empty_typeEbEEZZNS1_14partition_implILS8_4ELb0ES6_15HIP_vector_typeIjLj2EENS0_17counting_iteratorIjlEEPS9_SG_NS0_5tupleIJPjSI_NS0_16reverse_iteratorISI_EEEEENSH_IJSG_SG_SG_EEES9_SI_JZNS1_25segmented_radix_sort_implINS0_14default_configELb0EPKlPlSQ_SR_N2at6native12_GLOBAL__N_18offset_tEEE10hipError_tPvRmT1_PNSt15iterator_traitsISZ_E10value_typeET2_T3_PNS10_IS15_E10value_typeET4_jRbjT5_S1B_jjP12ihipStream_tbEUljE_ZNSN_ISO_Lb0ESQ_SR_SQ_SR_SV_EESW_SX_SY_SZ_S13_S14_S15_S18_S19_jS1A_jS1B_S1B_jjS1D_bEUljE0_EEESW_SX_SY_S15_S19_S1B_T6_T7_T9_mT8_S1D_bDpT10_ENKUlT_T0_E_clISt17integral_constantIbLb1EES1Q_IbLb0EEEEDaS1M_S1N_EUlS1M_E_NS1_11comp_targetILNS1_3genE5ELNS1_11target_archE942ELNS1_3gpuE9ELNS1_3repE0EEENS1_30default_config_static_selectorELNS0_4arch9wavefront6targetE0EEEvSZ_: ; @_ZN7rocprim17ROCPRIM_400000_NS6detail17trampoline_kernelINS0_13select_configILj256ELj13ELNS0_17block_load_methodE3ELS4_3ELS4_3ELNS0_20block_scan_algorithmE0ELj4294967295EEENS1_25partition_config_selectorILNS1_17partition_subalgoE4EjNS0_10empty_typeEbEEZZNS1_14partition_implILS8_4ELb0ES6_15HIP_vector_typeIjLj2EENS0_17counting_iteratorIjlEEPS9_SG_NS0_5tupleIJPjSI_NS0_16reverse_iteratorISI_EEEEENSH_IJSG_SG_SG_EEES9_SI_JZNS1_25segmented_radix_sort_implINS0_14default_configELb0EPKlPlSQ_SR_N2at6native12_GLOBAL__N_18offset_tEEE10hipError_tPvRmT1_PNSt15iterator_traitsISZ_E10value_typeET2_T3_PNS10_IS15_E10value_typeET4_jRbjT5_S1B_jjP12ihipStream_tbEUljE_ZNSN_ISO_Lb0ESQ_SR_SQ_SR_SV_EESW_SX_SY_SZ_S13_S14_S15_S18_S19_jS1A_jS1B_S1B_jjS1D_bEUljE0_EEESW_SX_SY_S15_S19_S1B_T6_T7_T9_mT8_S1D_bDpT10_ENKUlT_T0_E_clISt17integral_constantIbLb1EES1Q_IbLb0EEEEDaS1M_S1N_EUlS1M_E_NS1_11comp_targetILNS1_3genE5ELNS1_11target_archE942ELNS1_3gpuE9ELNS1_3repE0EEENS1_30default_config_static_selectorELNS0_4arch9wavefront6targetE0EEEvSZ_
; %bb.0:
	.section	.rodata,"a",@progbits
	.p2align	6, 0x0
	.amdhsa_kernel _ZN7rocprim17ROCPRIM_400000_NS6detail17trampoline_kernelINS0_13select_configILj256ELj13ELNS0_17block_load_methodE3ELS4_3ELS4_3ELNS0_20block_scan_algorithmE0ELj4294967295EEENS1_25partition_config_selectorILNS1_17partition_subalgoE4EjNS0_10empty_typeEbEEZZNS1_14partition_implILS8_4ELb0ES6_15HIP_vector_typeIjLj2EENS0_17counting_iteratorIjlEEPS9_SG_NS0_5tupleIJPjSI_NS0_16reverse_iteratorISI_EEEEENSH_IJSG_SG_SG_EEES9_SI_JZNS1_25segmented_radix_sort_implINS0_14default_configELb0EPKlPlSQ_SR_N2at6native12_GLOBAL__N_18offset_tEEE10hipError_tPvRmT1_PNSt15iterator_traitsISZ_E10value_typeET2_T3_PNS10_IS15_E10value_typeET4_jRbjT5_S1B_jjP12ihipStream_tbEUljE_ZNSN_ISO_Lb0ESQ_SR_SQ_SR_SV_EESW_SX_SY_SZ_S13_S14_S15_S18_S19_jS1A_jS1B_S1B_jjS1D_bEUljE0_EEESW_SX_SY_S15_S19_S1B_T6_T7_T9_mT8_S1D_bDpT10_ENKUlT_T0_E_clISt17integral_constantIbLb1EES1Q_IbLb0EEEEDaS1M_S1N_EUlS1M_E_NS1_11comp_targetILNS1_3genE5ELNS1_11target_archE942ELNS1_3gpuE9ELNS1_3repE0EEENS1_30default_config_static_selectorELNS0_4arch9wavefront6targetE0EEEvSZ_
		.amdhsa_group_segment_fixed_size 0
		.amdhsa_private_segment_fixed_size 0
		.amdhsa_kernarg_size 176
		.amdhsa_user_sgpr_count 2
		.amdhsa_user_sgpr_dispatch_ptr 0
		.amdhsa_user_sgpr_queue_ptr 0
		.amdhsa_user_sgpr_kernarg_segment_ptr 1
		.amdhsa_user_sgpr_dispatch_id 0
		.amdhsa_user_sgpr_private_segment_size 0
		.amdhsa_wavefront_size32 1
		.amdhsa_uses_dynamic_stack 0
		.amdhsa_enable_private_segment 0
		.amdhsa_system_sgpr_workgroup_id_x 1
		.amdhsa_system_sgpr_workgroup_id_y 0
		.amdhsa_system_sgpr_workgroup_id_z 0
		.amdhsa_system_sgpr_workgroup_info 0
		.amdhsa_system_vgpr_workitem_id 0
		.amdhsa_next_free_vgpr 1
		.amdhsa_next_free_sgpr 1
		.amdhsa_reserve_vcc 0
		.amdhsa_float_round_mode_32 0
		.amdhsa_float_round_mode_16_64 0
		.amdhsa_float_denorm_mode_32 3
		.amdhsa_float_denorm_mode_16_64 3
		.amdhsa_fp16_overflow 0
		.amdhsa_workgroup_processor_mode 1
		.amdhsa_memory_ordered 1
		.amdhsa_forward_progress 1
		.amdhsa_inst_pref_size 0
		.amdhsa_round_robin_scheduling 0
		.amdhsa_exception_fp_ieee_invalid_op 0
		.amdhsa_exception_fp_denorm_src 0
		.amdhsa_exception_fp_ieee_div_zero 0
		.amdhsa_exception_fp_ieee_overflow 0
		.amdhsa_exception_fp_ieee_underflow 0
		.amdhsa_exception_fp_ieee_inexact 0
		.amdhsa_exception_int_div_zero 0
	.end_amdhsa_kernel
	.section	.text._ZN7rocprim17ROCPRIM_400000_NS6detail17trampoline_kernelINS0_13select_configILj256ELj13ELNS0_17block_load_methodE3ELS4_3ELS4_3ELNS0_20block_scan_algorithmE0ELj4294967295EEENS1_25partition_config_selectorILNS1_17partition_subalgoE4EjNS0_10empty_typeEbEEZZNS1_14partition_implILS8_4ELb0ES6_15HIP_vector_typeIjLj2EENS0_17counting_iteratorIjlEEPS9_SG_NS0_5tupleIJPjSI_NS0_16reverse_iteratorISI_EEEEENSH_IJSG_SG_SG_EEES9_SI_JZNS1_25segmented_radix_sort_implINS0_14default_configELb0EPKlPlSQ_SR_N2at6native12_GLOBAL__N_18offset_tEEE10hipError_tPvRmT1_PNSt15iterator_traitsISZ_E10value_typeET2_T3_PNS10_IS15_E10value_typeET4_jRbjT5_S1B_jjP12ihipStream_tbEUljE_ZNSN_ISO_Lb0ESQ_SR_SQ_SR_SV_EESW_SX_SY_SZ_S13_S14_S15_S18_S19_jS1A_jS1B_S1B_jjS1D_bEUljE0_EEESW_SX_SY_S15_S19_S1B_T6_T7_T9_mT8_S1D_bDpT10_ENKUlT_T0_E_clISt17integral_constantIbLb1EES1Q_IbLb0EEEEDaS1M_S1N_EUlS1M_E_NS1_11comp_targetILNS1_3genE5ELNS1_11target_archE942ELNS1_3gpuE9ELNS1_3repE0EEENS1_30default_config_static_selectorELNS0_4arch9wavefront6targetE0EEEvSZ_,"axG",@progbits,_ZN7rocprim17ROCPRIM_400000_NS6detail17trampoline_kernelINS0_13select_configILj256ELj13ELNS0_17block_load_methodE3ELS4_3ELS4_3ELNS0_20block_scan_algorithmE0ELj4294967295EEENS1_25partition_config_selectorILNS1_17partition_subalgoE4EjNS0_10empty_typeEbEEZZNS1_14partition_implILS8_4ELb0ES6_15HIP_vector_typeIjLj2EENS0_17counting_iteratorIjlEEPS9_SG_NS0_5tupleIJPjSI_NS0_16reverse_iteratorISI_EEEEENSH_IJSG_SG_SG_EEES9_SI_JZNS1_25segmented_radix_sort_implINS0_14default_configELb0EPKlPlSQ_SR_N2at6native12_GLOBAL__N_18offset_tEEE10hipError_tPvRmT1_PNSt15iterator_traitsISZ_E10value_typeET2_T3_PNS10_IS15_E10value_typeET4_jRbjT5_S1B_jjP12ihipStream_tbEUljE_ZNSN_ISO_Lb0ESQ_SR_SQ_SR_SV_EESW_SX_SY_SZ_S13_S14_S15_S18_S19_jS1A_jS1B_S1B_jjS1D_bEUljE0_EEESW_SX_SY_S15_S19_S1B_T6_T7_T9_mT8_S1D_bDpT10_ENKUlT_T0_E_clISt17integral_constantIbLb1EES1Q_IbLb0EEEEDaS1M_S1N_EUlS1M_E_NS1_11comp_targetILNS1_3genE5ELNS1_11target_archE942ELNS1_3gpuE9ELNS1_3repE0EEENS1_30default_config_static_selectorELNS0_4arch9wavefront6targetE0EEEvSZ_,comdat
.Lfunc_end760:
	.size	_ZN7rocprim17ROCPRIM_400000_NS6detail17trampoline_kernelINS0_13select_configILj256ELj13ELNS0_17block_load_methodE3ELS4_3ELS4_3ELNS0_20block_scan_algorithmE0ELj4294967295EEENS1_25partition_config_selectorILNS1_17partition_subalgoE4EjNS0_10empty_typeEbEEZZNS1_14partition_implILS8_4ELb0ES6_15HIP_vector_typeIjLj2EENS0_17counting_iteratorIjlEEPS9_SG_NS0_5tupleIJPjSI_NS0_16reverse_iteratorISI_EEEEENSH_IJSG_SG_SG_EEES9_SI_JZNS1_25segmented_radix_sort_implINS0_14default_configELb0EPKlPlSQ_SR_N2at6native12_GLOBAL__N_18offset_tEEE10hipError_tPvRmT1_PNSt15iterator_traitsISZ_E10value_typeET2_T3_PNS10_IS15_E10value_typeET4_jRbjT5_S1B_jjP12ihipStream_tbEUljE_ZNSN_ISO_Lb0ESQ_SR_SQ_SR_SV_EESW_SX_SY_SZ_S13_S14_S15_S18_S19_jS1A_jS1B_S1B_jjS1D_bEUljE0_EEESW_SX_SY_S15_S19_S1B_T6_T7_T9_mT8_S1D_bDpT10_ENKUlT_T0_E_clISt17integral_constantIbLb1EES1Q_IbLb0EEEEDaS1M_S1N_EUlS1M_E_NS1_11comp_targetILNS1_3genE5ELNS1_11target_archE942ELNS1_3gpuE9ELNS1_3repE0EEENS1_30default_config_static_selectorELNS0_4arch9wavefront6targetE0EEEvSZ_, .Lfunc_end760-_ZN7rocprim17ROCPRIM_400000_NS6detail17trampoline_kernelINS0_13select_configILj256ELj13ELNS0_17block_load_methodE3ELS4_3ELS4_3ELNS0_20block_scan_algorithmE0ELj4294967295EEENS1_25partition_config_selectorILNS1_17partition_subalgoE4EjNS0_10empty_typeEbEEZZNS1_14partition_implILS8_4ELb0ES6_15HIP_vector_typeIjLj2EENS0_17counting_iteratorIjlEEPS9_SG_NS0_5tupleIJPjSI_NS0_16reverse_iteratorISI_EEEEENSH_IJSG_SG_SG_EEES9_SI_JZNS1_25segmented_radix_sort_implINS0_14default_configELb0EPKlPlSQ_SR_N2at6native12_GLOBAL__N_18offset_tEEE10hipError_tPvRmT1_PNSt15iterator_traitsISZ_E10value_typeET2_T3_PNS10_IS15_E10value_typeET4_jRbjT5_S1B_jjP12ihipStream_tbEUljE_ZNSN_ISO_Lb0ESQ_SR_SQ_SR_SV_EESW_SX_SY_SZ_S13_S14_S15_S18_S19_jS1A_jS1B_S1B_jjS1D_bEUljE0_EEESW_SX_SY_S15_S19_S1B_T6_T7_T9_mT8_S1D_bDpT10_ENKUlT_T0_E_clISt17integral_constantIbLb1EES1Q_IbLb0EEEEDaS1M_S1N_EUlS1M_E_NS1_11comp_targetILNS1_3genE5ELNS1_11target_archE942ELNS1_3gpuE9ELNS1_3repE0EEENS1_30default_config_static_selectorELNS0_4arch9wavefront6targetE0EEEvSZ_
                                        ; -- End function
	.set _ZN7rocprim17ROCPRIM_400000_NS6detail17trampoline_kernelINS0_13select_configILj256ELj13ELNS0_17block_load_methodE3ELS4_3ELS4_3ELNS0_20block_scan_algorithmE0ELj4294967295EEENS1_25partition_config_selectorILNS1_17partition_subalgoE4EjNS0_10empty_typeEbEEZZNS1_14partition_implILS8_4ELb0ES6_15HIP_vector_typeIjLj2EENS0_17counting_iteratorIjlEEPS9_SG_NS0_5tupleIJPjSI_NS0_16reverse_iteratorISI_EEEEENSH_IJSG_SG_SG_EEES9_SI_JZNS1_25segmented_radix_sort_implINS0_14default_configELb0EPKlPlSQ_SR_N2at6native12_GLOBAL__N_18offset_tEEE10hipError_tPvRmT1_PNSt15iterator_traitsISZ_E10value_typeET2_T3_PNS10_IS15_E10value_typeET4_jRbjT5_S1B_jjP12ihipStream_tbEUljE_ZNSN_ISO_Lb0ESQ_SR_SQ_SR_SV_EESW_SX_SY_SZ_S13_S14_S15_S18_S19_jS1A_jS1B_S1B_jjS1D_bEUljE0_EEESW_SX_SY_S15_S19_S1B_T6_T7_T9_mT8_S1D_bDpT10_ENKUlT_T0_E_clISt17integral_constantIbLb1EES1Q_IbLb0EEEEDaS1M_S1N_EUlS1M_E_NS1_11comp_targetILNS1_3genE5ELNS1_11target_archE942ELNS1_3gpuE9ELNS1_3repE0EEENS1_30default_config_static_selectorELNS0_4arch9wavefront6targetE0EEEvSZ_.num_vgpr, 0
	.set _ZN7rocprim17ROCPRIM_400000_NS6detail17trampoline_kernelINS0_13select_configILj256ELj13ELNS0_17block_load_methodE3ELS4_3ELS4_3ELNS0_20block_scan_algorithmE0ELj4294967295EEENS1_25partition_config_selectorILNS1_17partition_subalgoE4EjNS0_10empty_typeEbEEZZNS1_14partition_implILS8_4ELb0ES6_15HIP_vector_typeIjLj2EENS0_17counting_iteratorIjlEEPS9_SG_NS0_5tupleIJPjSI_NS0_16reverse_iteratorISI_EEEEENSH_IJSG_SG_SG_EEES9_SI_JZNS1_25segmented_radix_sort_implINS0_14default_configELb0EPKlPlSQ_SR_N2at6native12_GLOBAL__N_18offset_tEEE10hipError_tPvRmT1_PNSt15iterator_traitsISZ_E10value_typeET2_T3_PNS10_IS15_E10value_typeET4_jRbjT5_S1B_jjP12ihipStream_tbEUljE_ZNSN_ISO_Lb0ESQ_SR_SQ_SR_SV_EESW_SX_SY_SZ_S13_S14_S15_S18_S19_jS1A_jS1B_S1B_jjS1D_bEUljE0_EEESW_SX_SY_S15_S19_S1B_T6_T7_T9_mT8_S1D_bDpT10_ENKUlT_T0_E_clISt17integral_constantIbLb1EES1Q_IbLb0EEEEDaS1M_S1N_EUlS1M_E_NS1_11comp_targetILNS1_3genE5ELNS1_11target_archE942ELNS1_3gpuE9ELNS1_3repE0EEENS1_30default_config_static_selectorELNS0_4arch9wavefront6targetE0EEEvSZ_.num_agpr, 0
	.set _ZN7rocprim17ROCPRIM_400000_NS6detail17trampoline_kernelINS0_13select_configILj256ELj13ELNS0_17block_load_methodE3ELS4_3ELS4_3ELNS0_20block_scan_algorithmE0ELj4294967295EEENS1_25partition_config_selectorILNS1_17partition_subalgoE4EjNS0_10empty_typeEbEEZZNS1_14partition_implILS8_4ELb0ES6_15HIP_vector_typeIjLj2EENS0_17counting_iteratorIjlEEPS9_SG_NS0_5tupleIJPjSI_NS0_16reverse_iteratorISI_EEEEENSH_IJSG_SG_SG_EEES9_SI_JZNS1_25segmented_radix_sort_implINS0_14default_configELb0EPKlPlSQ_SR_N2at6native12_GLOBAL__N_18offset_tEEE10hipError_tPvRmT1_PNSt15iterator_traitsISZ_E10value_typeET2_T3_PNS10_IS15_E10value_typeET4_jRbjT5_S1B_jjP12ihipStream_tbEUljE_ZNSN_ISO_Lb0ESQ_SR_SQ_SR_SV_EESW_SX_SY_SZ_S13_S14_S15_S18_S19_jS1A_jS1B_S1B_jjS1D_bEUljE0_EEESW_SX_SY_S15_S19_S1B_T6_T7_T9_mT8_S1D_bDpT10_ENKUlT_T0_E_clISt17integral_constantIbLb1EES1Q_IbLb0EEEEDaS1M_S1N_EUlS1M_E_NS1_11comp_targetILNS1_3genE5ELNS1_11target_archE942ELNS1_3gpuE9ELNS1_3repE0EEENS1_30default_config_static_selectorELNS0_4arch9wavefront6targetE0EEEvSZ_.numbered_sgpr, 0
	.set _ZN7rocprim17ROCPRIM_400000_NS6detail17trampoline_kernelINS0_13select_configILj256ELj13ELNS0_17block_load_methodE3ELS4_3ELS4_3ELNS0_20block_scan_algorithmE0ELj4294967295EEENS1_25partition_config_selectorILNS1_17partition_subalgoE4EjNS0_10empty_typeEbEEZZNS1_14partition_implILS8_4ELb0ES6_15HIP_vector_typeIjLj2EENS0_17counting_iteratorIjlEEPS9_SG_NS0_5tupleIJPjSI_NS0_16reverse_iteratorISI_EEEEENSH_IJSG_SG_SG_EEES9_SI_JZNS1_25segmented_radix_sort_implINS0_14default_configELb0EPKlPlSQ_SR_N2at6native12_GLOBAL__N_18offset_tEEE10hipError_tPvRmT1_PNSt15iterator_traitsISZ_E10value_typeET2_T3_PNS10_IS15_E10value_typeET4_jRbjT5_S1B_jjP12ihipStream_tbEUljE_ZNSN_ISO_Lb0ESQ_SR_SQ_SR_SV_EESW_SX_SY_SZ_S13_S14_S15_S18_S19_jS1A_jS1B_S1B_jjS1D_bEUljE0_EEESW_SX_SY_S15_S19_S1B_T6_T7_T9_mT8_S1D_bDpT10_ENKUlT_T0_E_clISt17integral_constantIbLb1EES1Q_IbLb0EEEEDaS1M_S1N_EUlS1M_E_NS1_11comp_targetILNS1_3genE5ELNS1_11target_archE942ELNS1_3gpuE9ELNS1_3repE0EEENS1_30default_config_static_selectorELNS0_4arch9wavefront6targetE0EEEvSZ_.num_named_barrier, 0
	.set _ZN7rocprim17ROCPRIM_400000_NS6detail17trampoline_kernelINS0_13select_configILj256ELj13ELNS0_17block_load_methodE3ELS4_3ELS4_3ELNS0_20block_scan_algorithmE0ELj4294967295EEENS1_25partition_config_selectorILNS1_17partition_subalgoE4EjNS0_10empty_typeEbEEZZNS1_14partition_implILS8_4ELb0ES6_15HIP_vector_typeIjLj2EENS0_17counting_iteratorIjlEEPS9_SG_NS0_5tupleIJPjSI_NS0_16reverse_iteratorISI_EEEEENSH_IJSG_SG_SG_EEES9_SI_JZNS1_25segmented_radix_sort_implINS0_14default_configELb0EPKlPlSQ_SR_N2at6native12_GLOBAL__N_18offset_tEEE10hipError_tPvRmT1_PNSt15iterator_traitsISZ_E10value_typeET2_T3_PNS10_IS15_E10value_typeET4_jRbjT5_S1B_jjP12ihipStream_tbEUljE_ZNSN_ISO_Lb0ESQ_SR_SQ_SR_SV_EESW_SX_SY_SZ_S13_S14_S15_S18_S19_jS1A_jS1B_S1B_jjS1D_bEUljE0_EEESW_SX_SY_S15_S19_S1B_T6_T7_T9_mT8_S1D_bDpT10_ENKUlT_T0_E_clISt17integral_constantIbLb1EES1Q_IbLb0EEEEDaS1M_S1N_EUlS1M_E_NS1_11comp_targetILNS1_3genE5ELNS1_11target_archE942ELNS1_3gpuE9ELNS1_3repE0EEENS1_30default_config_static_selectorELNS0_4arch9wavefront6targetE0EEEvSZ_.private_seg_size, 0
	.set _ZN7rocprim17ROCPRIM_400000_NS6detail17trampoline_kernelINS0_13select_configILj256ELj13ELNS0_17block_load_methodE3ELS4_3ELS4_3ELNS0_20block_scan_algorithmE0ELj4294967295EEENS1_25partition_config_selectorILNS1_17partition_subalgoE4EjNS0_10empty_typeEbEEZZNS1_14partition_implILS8_4ELb0ES6_15HIP_vector_typeIjLj2EENS0_17counting_iteratorIjlEEPS9_SG_NS0_5tupleIJPjSI_NS0_16reverse_iteratorISI_EEEEENSH_IJSG_SG_SG_EEES9_SI_JZNS1_25segmented_radix_sort_implINS0_14default_configELb0EPKlPlSQ_SR_N2at6native12_GLOBAL__N_18offset_tEEE10hipError_tPvRmT1_PNSt15iterator_traitsISZ_E10value_typeET2_T3_PNS10_IS15_E10value_typeET4_jRbjT5_S1B_jjP12ihipStream_tbEUljE_ZNSN_ISO_Lb0ESQ_SR_SQ_SR_SV_EESW_SX_SY_SZ_S13_S14_S15_S18_S19_jS1A_jS1B_S1B_jjS1D_bEUljE0_EEESW_SX_SY_S15_S19_S1B_T6_T7_T9_mT8_S1D_bDpT10_ENKUlT_T0_E_clISt17integral_constantIbLb1EES1Q_IbLb0EEEEDaS1M_S1N_EUlS1M_E_NS1_11comp_targetILNS1_3genE5ELNS1_11target_archE942ELNS1_3gpuE9ELNS1_3repE0EEENS1_30default_config_static_selectorELNS0_4arch9wavefront6targetE0EEEvSZ_.uses_vcc, 0
	.set _ZN7rocprim17ROCPRIM_400000_NS6detail17trampoline_kernelINS0_13select_configILj256ELj13ELNS0_17block_load_methodE3ELS4_3ELS4_3ELNS0_20block_scan_algorithmE0ELj4294967295EEENS1_25partition_config_selectorILNS1_17partition_subalgoE4EjNS0_10empty_typeEbEEZZNS1_14partition_implILS8_4ELb0ES6_15HIP_vector_typeIjLj2EENS0_17counting_iteratorIjlEEPS9_SG_NS0_5tupleIJPjSI_NS0_16reverse_iteratorISI_EEEEENSH_IJSG_SG_SG_EEES9_SI_JZNS1_25segmented_radix_sort_implINS0_14default_configELb0EPKlPlSQ_SR_N2at6native12_GLOBAL__N_18offset_tEEE10hipError_tPvRmT1_PNSt15iterator_traitsISZ_E10value_typeET2_T3_PNS10_IS15_E10value_typeET4_jRbjT5_S1B_jjP12ihipStream_tbEUljE_ZNSN_ISO_Lb0ESQ_SR_SQ_SR_SV_EESW_SX_SY_SZ_S13_S14_S15_S18_S19_jS1A_jS1B_S1B_jjS1D_bEUljE0_EEESW_SX_SY_S15_S19_S1B_T6_T7_T9_mT8_S1D_bDpT10_ENKUlT_T0_E_clISt17integral_constantIbLb1EES1Q_IbLb0EEEEDaS1M_S1N_EUlS1M_E_NS1_11comp_targetILNS1_3genE5ELNS1_11target_archE942ELNS1_3gpuE9ELNS1_3repE0EEENS1_30default_config_static_selectorELNS0_4arch9wavefront6targetE0EEEvSZ_.uses_flat_scratch, 0
	.set _ZN7rocprim17ROCPRIM_400000_NS6detail17trampoline_kernelINS0_13select_configILj256ELj13ELNS0_17block_load_methodE3ELS4_3ELS4_3ELNS0_20block_scan_algorithmE0ELj4294967295EEENS1_25partition_config_selectorILNS1_17partition_subalgoE4EjNS0_10empty_typeEbEEZZNS1_14partition_implILS8_4ELb0ES6_15HIP_vector_typeIjLj2EENS0_17counting_iteratorIjlEEPS9_SG_NS0_5tupleIJPjSI_NS0_16reverse_iteratorISI_EEEEENSH_IJSG_SG_SG_EEES9_SI_JZNS1_25segmented_radix_sort_implINS0_14default_configELb0EPKlPlSQ_SR_N2at6native12_GLOBAL__N_18offset_tEEE10hipError_tPvRmT1_PNSt15iterator_traitsISZ_E10value_typeET2_T3_PNS10_IS15_E10value_typeET4_jRbjT5_S1B_jjP12ihipStream_tbEUljE_ZNSN_ISO_Lb0ESQ_SR_SQ_SR_SV_EESW_SX_SY_SZ_S13_S14_S15_S18_S19_jS1A_jS1B_S1B_jjS1D_bEUljE0_EEESW_SX_SY_S15_S19_S1B_T6_T7_T9_mT8_S1D_bDpT10_ENKUlT_T0_E_clISt17integral_constantIbLb1EES1Q_IbLb0EEEEDaS1M_S1N_EUlS1M_E_NS1_11comp_targetILNS1_3genE5ELNS1_11target_archE942ELNS1_3gpuE9ELNS1_3repE0EEENS1_30default_config_static_selectorELNS0_4arch9wavefront6targetE0EEEvSZ_.has_dyn_sized_stack, 0
	.set _ZN7rocprim17ROCPRIM_400000_NS6detail17trampoline_kernelINS0_13select_configILj256ELj13ELNS0_17block_load_methodE3ELS4_3ELS4_3ELNS0_20block_scan_algorithmE0ELj4294967295EEENS1_25partition_config_selectorILNS1_17partition_subalgoE4EjNS0_10empty_typeEbEEZZNS1_14partition_implILS8_4ELb0ES6_15HIP_vector_typeIjLj2EENS0_17counting_iteratorIjlEEPS9_SG_NS0_5tupleIJPjSI_NS0_16reverse_iteratorISI_EEEEENSH_IJSG_SG_SG_EEES9_SI_JZNS1_25segmented_radix_sort_implINS0_14default_configELb0EPKlPlSQ_SR_N2at6native12_GLOBAL__N_18offset_tEEE10hipError_tPvRmT1_PNSt15iterator_traitsISZ_E10value_typeET2_T3_PNS10_IS15_E10value_typeET4_jRbjT5_S1B_jjP12ihipStream_tbEUljE_ZNSN_ISO_Lb0ESQ_SR_SQ_SR_SV_EESW_SX_SY_SZ_S13_S14_S15_S18_S19_jS1A_jS1B_S1B_jjS1D_bEUljE0_EEESW_SX_SY_S15_S19_S1B_T6_T7_T9_mT8_S1D_bDpT10_ENKUlT_T0_E_clISt17integral_constantIbLb1EES1Q_IbLb0EEEEDaS1M_S1N_EUlS1M_E_NS1_11comp_targetILNS1_3genE5ELNS1_11target_archE942ELNS1_3gpuE9ELNS1_3repE0EEENS1_30default_config_static_selectorELNS0_4arch9wavefront6targetE0EEEvSZ_.has_recursion, 0
	.set _ZN7rocprim17ROCPRIM_400000_NS6detail17trampoline_kernelINS0_13select_configILj256ELj13ELNS0_17block_load_methodE3ELS4_3ELS4_3ELNS0_20block_scan_algorithmE0ELj4294967295EEENS1_25partition_config_selectorILNS1_17partition_subalgoE4EjNS0_10empty_typeEbEEZZNS1_14partition_implILS8_4ELb0ES6_15HIP_vector_typeIjLj2EENS0_17counting_iteratorIjlEEPS9_SG_NS0_5tupleIJPjSI_NS0_16reverse_iteratorISI_EEEEENSH_IJSG_SG_SG_EEES9_SI_JZNS1_25segmented_radix_sort_implINS0_14default_configELb0EPKlPlSQ_SR_N2at6native12_GLOBAL__N_18offset_tEEE10hipError_tPvRmT1_PNSt15iterator_traitsISZ_E10value_typeET2_T3_PNS10_IS15_E10value_typeET4_jRbjT5_S1B_jjP12ihipStream_tbEUljE_ZNSN_ISO_Lb0ESQ_SR_SQ_SR_SV_EESW_SX_SY_SZ_S13_S14_S15_S18_S19_jS1A_jS1B_S1B_jjS1D_bEUljE0_EEESW_SX_SY_S15_S19_S1B_T6_T7_T9_mT8_S1D_bDpT10_ENKUlT_T0_E_clISt17integral_constantIbLb1EES1Q_IbLb0EEEEDaS1M_S1N_EUlS1M_E_NS1_11comp_targetILNS1_3genE5ELNS1_11target_archE942ELNS1_3gpuE9ELNS1_3repE0EEENS1_30default_config_static_selectorELNS0_4arch9wavefront6targetE0EEEvSZ_.has_indirect_call, 0
	.section	.AMDGPU.csdata,"",@progbits
; Kernel info:
; codeLenInByte = 0
; TotalNumSgprs: 0
; NumVgprs: 0
; ScratchSize: 0
; MemoryBound: 0
; FloatMode: 240
; IeeeMode: 1
; LDSByteSize: 0 bytes/workgroup (compile time only)
; SGPRBlocks: 0
; VGPRBlocks: 0
; NumSGPRsForWavesPerEU: 1
; NumVGPRsForWavesPerEU: 1
; Occupancy: 16
; WaveLimiterHint : 0
; COMPUTE_PGM_RSRC2:SCRATCH_EN: 0
; COMPUTE_PGM_RSRC2:USER_SGPR: 2
; COMPUTE_PGM_RSRC2:TRAP_HANDLER: 0
; COMPUTE_PGM_RSRC2:TGID_X_EN: 1
; COMPUTE_PGM_RSRC2:TGID_Y_EN: 0
; COMPUTE_PGM_RSRC2:TGID_Z_EN: 0
; COMPUTE_PGM_RSRC2:TIDIG_COMP_CNT: 0
	.section	.text._ZN7rocprim17ROCPRIM_400000_NS6detail17trampoline_kernelINS0_13select_configILj256ELj13ELNS0_17block_load_methodE3ELS4_3ELS4_3ELNS0_20block_scan_algorithmE0ELj4294967295EEENS1_25partition_config_selectorILNS1_17partition_subalgoE4EjNS0_10empty_typeEbEEZZNS1_14partition_implILS8_4ELb0ES6_15HIP_vector_typeIjLj2EENS0_17counting_iteratorIjlEEPS9_SG_NS0_5tupleIJPjSI_NS0_16reverse_iteratorISI_EEEEENSH_IJSG_SG_SG_EEES9_SI_JZNS1_25segmented_radix_sort_implINS0_14default_configELb0EPKlPlSQ_SR_N2at6native12_GLOBAL__N_18offset_tEEE10hipError_tPvRmT1_PNSt15iterator_traitsISZ_E10value_typeET2_T3_PNS10_IS15_E10value_typeET4_jRbjT5_S1B_jjP12ihipStream_tbEUljE_ZNSN_ISO_Lb0ESQ_SR_SQ_SR_SV_EESW_SX_SY_SZ_S13_S14_S15_S18_S19_jS1A_jS1B_S1B_jjS1D_bEUljE0_EEESW_SX_SY_S15_S19_S1B_T6_T7_T9_mT8_S1D_bDpT10_ENKUlT_T0_E_clISt17integral_constantIbLb1EES1Q_IbLb0EEEEDaS1M_S1N_EUlS1M_E_NS1_11comp_targetILNS1_3genE4ELNS1_11target_archE910ELNS1_3gpuE8ELNS1_3repE0EEENS1_30default_config_static_selectorELNS0_4arch9wavefront6targetE0EEEvSZ_,"axG",@progbits,_ZN7rocprim17ROCPRIM_400000_NS6detail17trampoline_kernelINS0_13select_configILj256ELj13ELNS0_17block_load_methodE3ELS4_3ELS4_3ELNS0_20block_scan_algorithmE0ELj4294967295EEENS1_25partition_config_selectorILNS1_17partition_subalgoE4EjNS0_10empty_typeEbEEZZNS1_14partition_implILS8_4ELb0ES6_15HIP_vector_typeIjLj2EENS0_17counting_iteratorIjlEEPS9_SG_NS0_5tupleIJPjSI_NS0_16reverse_iteratorISI_EEEEENSH_IJSG_SG_SG_EEES9_SI_JZNS1_25segmented_radix_sort_implINS0_14default_configELb0EPKlPlSQ_SR_N2at6native12_GLOBAL__N_18offset_tEEE10hipError_tPvRmT1_PNSt15iterator_traitsISZ_E10value_typeET2_T3_PNS10_IS15_E10value_typeET4_jRbjT5_S1B_jjP12ihipStream_tbEUljE_ZNSN_ISO_Lb0ESQ_SR_SQ_SR_SV_EESW_SX_SY_SZ_S13_S14_S15_S18_S19_jS1A_jS1B_S1B_jjS1D_bEUljE0_EEESW_SX_SY_S15_S19_S1B_T6_T7_T9_mT8_S1D_bDpT10_ENKUlT_T0_E_clISt17integral_constantIbLb1EES1Q_IbLb0EEEEDaS1M_S1N_EUlS1M_E_NS1_11comp_targetILNS1_3genE4ELNS1_11target_archE910ELNS1_3gpuE8ELNS1_3repE0EEENS1_30default_config_static_selectorELNS0_4arch9wavefront6targetE0EEEvSZ_,comdat
	.globl	_ZN7rocprim17ROCPRIM_400000_NS6detail17trampoline_kernelINS0_13select_configILj256ELj13ELNS0_17block_load_methodE3ELS4_3ELS4_3ELNS0_20block_scan_algorithmE0ELj4294967295EEENS1_25partition_config_selectorILNS1_17partition_subalgoE4EjNS0_10empty_typeEbEEZZNS1_14partition_implILS8_4ELb0ES6_15HIP_vector_typeIjLj2EENS0_17counting_iteratorIjlEEPS9_SG_NS0_5tupleIJPjSI_NS0_16reverse_iteratorISI_EEEEENSH_IJSG_SG_SG_EEES9_SI_JZNS1_25segmented_radix_sort_implINS0_14default_configELb0EPKlPlSQ_SR_N2at6native12_GLOBAL__N_18offset_tEEE10hipError_tPvRmT1_PNSt15iterator_traitsISZ_E10value_typeET2_T3_PNS10_IS15_E10value_typeET4_jRbjT5_S1B_jjP12ihipStream_tbEUljE_ZNSN_ISO_Lb0ESQ_SR_SQ_SR_SV_EESW_SX_SY_SZ_S13_S14_S15_S18_S19_jS1A_jS1B_S1B_jjS1D_bEUljE0_EEESW_SX_SY_S15_S19_S1B_T6_T7_T9_mT8_S1D_bDpT10_ENKUlT_T0_E_clISt17integral_constantIbLb1EES1Q_IbLb0EEEEDaS1M_S1N_EUlS1M_E_NS1_11comp_targetILNS1_3genE4ELNS1_11target_archE910ELNS1_3gpuE8ELNS1_3repE0EEENS1_30default_config_static_selectorELNS0_4arch9wavefront6targetE0EEEvSZ_ ; -- Begin function _ZN7rocprim17ROCPRIM_400000_NS6detail17trampoline_kernelINS0_13select_configILj256ELj13ELNS0_17block_load_methodE3ELS4_3ELS4_3ELNS0_20block_scan_algorithmE0ELj4294967295EEENS1_25partition_config_selectorILNS1_17partition_subalgoE4EjNS0_10empty_typeEbEEZZNS1_14partition_implILS8_4ELb0ES6_15HIP_vector_typeIjLj2EENS0_17counting_iteratorIjlEEPS9_SG_NS0_5tupleIJPjSI_NS0_16reverse_iteratorISI_EEEEENSH_IJSG_SG_SG_EEES9_SI_JZNS1_25segmented_radix_sort_implINS0_14default_configELb0EPKlPlSQ_SR_N2at6native12_GLOBAL__N_18offset_tEEE10hipError_tPvRmT1_PNSt15iterator_traitsISZ_E10value_typeET2_T3_PNS10_IS15_E10value_typeET4_jRbjT5_S1B_jjP12ihipStream_tbEUljE_ZNSN_ISO_Lb0ESQ_SR_SQ_SR_SV_EESW_SX_SY_SZ_S13_S14_S15_S18_S19_jS1A_jS1B_S1B_jjS1D_bEUljE0_EEESW_SX_SY_S15_S19_S1B_T6_T7_T9_mT8_S1D_bDpT10_ENKUlT_T0_E_clISt17integral_constantIbLb1EES1Q_IbLb0EEEEDaS1M_S1N_EUlS1M_E_NS1_11comp_targetILNS1_3genE4ELNS1_11target_archE910ELNS1_3gpuE8ELNS1_3repE0EEENS1_30default_config_static_selectorELNS0_4arch9wavefront6targetE0EEEvSZ_
	.p2align	8
	.type	_ZN7rocprim17ROCPRIM_400000_NS6detail17trampoline_kernelINS0_13select_configILj256ELj13ELNS0_17block_load_methodE3ELS4_3ELS4_3ELNS0_20block_scan_algorithmE0ELj4294967295EEENS1_25partition_config_selectorILNS1_17partition_subalgoE4EjNS0_10empty_typeEbEEZZNS1_14partition_implILS8_4ELb0ES6_15HIP_vector_typeIjLj2EENS0_17counting_iteratorIjlEEPS9_SG_NS0_5tupleIJPjSI_NS0_16reverse_iteratorISI_EEEEENSH_IJSG_SG_SG_EEES9_SI_JZNS1_25segmented_radix_sort_implINS0_14default_configELb0EPKlPlSQ_SR_N2at6native12_GLOBAL__N_18offset_tEEE10hipError_tPvRmT1_PNSt15iterator_traitsISZ_E10value_typeET2_T3_PNS10_IS15_E10value_typeET4_jRbjT5_S1B_jjP12ihipStream_tbEUljE_ZNSN_ISO_Lb0ESQ_SR_SQ_SR_SV_EESW_SX_SY_SZ_S13_S14_S15_S18_S19_jS1A_jS1B_S1B_jjS1D_bEUljE0_EEESW_SX_SY_S15_S19_S1B_T6_T7_T9_mT8_S1D_bDpT10_ENKUlT_T0_E_clISt17integral_constantIbLb1EES1Q_IbLb0EEEEDaS1M_S1N_EUlS1M_E_NS1_11comp_targetILNS1_3genE4ELNS1_11target_archE910ELNS1_3gpuE8ELNS1_3repE0EEENS1_30default_config_static_selectorELNS0_4arch9wavefront6targetE0EEEvSZ_,@function
_ZN7rocprim17ROCPRIM_400000_NS6detail17trampoline_kernelINS0_13select_configILj256ELj13ELNS0_17block_load_methodE3ELS4_3ELS4_3ELNS0_20block_scan_algorithmE0ELj4294967295EEENS1_25partition_config_selectorILNS1_17partition_subalgoE4EjNS0_10empty_typeEbEEZZNS1_14partition_implILS8_4ELb0ES6_15HIP_vector_typeIjLj2EENS0_17counting_iteratorIjlEEPS9_SG_NS0_5tupleIJPjSI_NS0_16reverse_iteratorISI_EEEEENSH_IJSG_SG_SG_EEES9_SI_JZNS1_25segmented_radix_sort_implINS0_14default_configELb0EPKlPlSQ_SR_N2at6native12_GLOBAL__N_18offset_tEEE10hipError_tPvRmT1_PNSt15iterator_traitsISZ_E10value_typeET2_T3_PNS10_IS15_E10value_typeET4_jRbjT5_S1B_jjP12ihipStream_tbEUljE_ZNSN_ISO_Lb0ESQ_SR_SQ_SR_SV_EESW_SX_SY_SZ_S13_S14_S15_S18_S19_jS1A_jS1B_S1B_jjS1D_bEUljE0_EEESW_SX_SY_S15_S19_S1B_T6_T7_T9_mT8_S1D_bDpT10_ENKUlT_T0_E_clISt17integral_constantIbLb1EES1Q_IbLb0EEEEDaS1M_S1N_EUlS1M_E_NS1_11comp_targetILNS1_3genE4ELNS1_11target_archE910ELNS1_3gpuE8ELNS1_3repE0EEENS1_30default_config_static_selectorELNS0_4arch9wavefront6targetE0EEEvSZ_: ; @_ZN7rocprim17ROCPRIM_400000_NS6detail17trampoline_kernelINS0_13select_configILj256ELj13ELNS0_17block_load_methodE3ELS4_3ELS4_3ELNS0_20block_scan_algorithmE0ELj4294967295EEENS1_25partition_config_selectorILNS1_17partition_subalgoE4EjNS0_10empty_typeEbEEZZNS1_14partition_implILS8_4ELb0ES6_15HIP_vector_typeIjLj2EENS0_17counting_iteratorIjlEEPS9_SG_NS0_5tupleIJPjSI_NS0_16reverse_iteratorISI_EEEEENSH_IJSG_SG_SG_EEES9_SI_JZNS1_25segmented_radix_sort_implINS0_14default_configELb0EPKlPlSQ_SR_N2at6native12_GLOBAL__N_18offset_tEEE10hipError_tPvRmT1_PNSt15iterator_traitsISZ_E10value_typeET2_T3_PNS10_IS15_E10value_typeET4_jRbjT5_S1B_jjP12ihipStream_tbEUljE_ZNSN_ISO_Lb0ESQ_SR_SQ_SR_SV_EESW_SX_SY_SZ_S13_S14_S15_S18_S19_jS1A_jS1B_S1B_jjS1D_bEUljE0_EEESW_SX_SY_S15_S19_S1B_T6_T7_T9_mT8_S1D_bDpT10_ENKUlT_T0_E_clISt17integral_constantIbLb1EES1Q_IbLb0EEEEDaS1M_S1N_EUlS1M_E_NS1_11comp_targetILNS1_3genE4ELNS1_11target_archE910ELNS1_3gpuE8ELNS1_3repE0EEENS1_30default_config_static_selectorELNS0_4arch9wavefront6targetE0EEEvSZ_
; %bb.0:
	.section	.rodata,"a",@progbits
	.p2align	6, 0x0
	.amdhsa_kernel _ZN7rocprim17ROCPRIM_400000_NS6detail17trampoline_kernelINS0_13select_configILj256ELj13ELNS0_17block_load_methodE3ELS4_3ELS4_3ELNS0_20block_scan_algorithmE0ELj4294967295EEENS1_25partition_config_selectorILNS1_17partition_subalgoE4EjNS0_10empty_typeEbEEZZNS1_14partition_implILS8_4ELb0ES6_15HIP_vector_typeIjLj2EENS0_17counting_iteratorIjlEEPS9_SG_NS0_5tupleIJPjSI_NS0_16reverse_iteratorISI_EEEEENSH_IJSG_SG_SG_EEES9_SI_JZNS1_25segmented_radix_sort_implINS0_14default_configELb0EPKlPlSQ_SR_N2at6native12_GLOBAL__N_18offset_tEEE10hipError_tPvRmT1_PNSt15iterator_traitsISZ_E10value_typeET2_T3_PNS10_IS15_E10value_typeET4_jRbjT5_S1B_jjP12ihipStream_tbEUljE_ZNSN_ISO_Lb0ESQ_SR_SQ_SR_SV_EESW_SX_SY_SZ_S13_S14_S15_S18_S19_jS1A_jS1B_S1B_jjS1D_bEUljE0_EEESW_SX_SY_S15_S19_S1B_T6_T7_T9_mT8_S1D_bDpT10_ENKUlT_T0_E_clISt17integral_constantIbLb1EES1Q_IbLb0EEEEDaS1M_S1N_EUlS1M_E_NS1_11comp_targetILNS1_3genE4ELNS1_11target_archE910ELNS1_3gpuE8ELNS1_3repE0EEENS1_30default_config_static_selectorELNS0_4arch9wavefront6targetE0EEEvSZ_
		.amdhsa_group_segment_fixed_size 0
		.amdhsa_private_segment_fixed_size 0
		.amdhsa_kernarg_size 176
		.amdhsa_user_sgpr_count 2
		.amdhsa_user_sgpr_dispatch_ptr 0
		.amdhsa_user_sgpr_queue_ptr 0
		.amdhsa_user_sgpr_kernarg_segment_ptr 1
		.amdhsa_user_sgpr_dispatch_id 0
		.amdhsa_user_sgpr_private_segment_size 0
		.amdhsa_wavefront_size32 1
		.amdhsa_uses_dynamic_stack 0
		.amdhsa_enable_private_segment 0
		.amdhsa_system_sgpr_workgroup_id_x 1
		.amdhsa_system_sgpr_workgroup_id_y 0
		.amdhsa_system_sgpr_workgroup_id_z 0
		.amdhsa_system_sgpr_workgroup_info 0
		.amdhsa_system_vgpr_workitem_id 0
		.amdhsa_next_free_vgpr 1
		.amdhsa_next_free_sgpr 1
		.amdhsa_reserve_vcc 0
		.amdhsa_float_round_mode_32 0
		.amdhsa_float_round_mode_16_64 0
		.amdhsa_float_denorm_mode_32 3
		.amdhsa_float_denorm_mode_16_64 3
		.amdhsa_fp16_overflow 0
		.amdhsa_workgroup_processor_mode 1
		.amdhsa_memory_ordered 1
		.amdhsa_forward_progress 1
		.amdhsa_inst_pref_size 0
		.amdhsa_round_robin_scheduling 0
		.amdhsa_exception_fp_ieee_invalid_op 0
		.amdhsa_exception_fp_denorm_src 0
		.amdhsa_exception_fp_ieee_div_zero 0
		.amdhsa_exception_fp_ieee_overflow 0
		.amdhsa_exception_fp_ieee_underflow 0
		.amdhsa_exception_fp_ieee_inexact 0
		.amdhsa_exception_int_div_zero 0
	.end_amdhsa_kernel
	.section	.text._ZN7rocprim17ROCPRIM_400000_NS6detail17trampoline_kernelINS0_13select_configILj256ELj13ELNS0_17block_load_methodE3ELS4_3ELS4_3ELNS0_20block_scan_algorithmE0ELj4294967295EEENS1_25partition_config_selectorILNS1_17partition_subalgoE4EjNS0_10empty_typeEbEEZZNS1_14partition_implILS8_4ELb0ES6_15HIP_vector_typeIjLj2EENS0_17counting_iteratorIjlEEPS9_SG_NS0_5tupleIJPjSI_NS0_16reverse_iteratorISI_EEEEENSH_IJSG_SG_SG_EEES9_SI_JZNS1_25segmented_radix_sort_implINS0_14default_configELb0EPKlPlSQ_SR_N2at6native12_GLOBAL__N_18offset_tEEE10hipError_tPvRmT1_PNSt15iterator_traitsISZ_E10value_typeET2_T3_PNS10_IS15_E10value_typeET4_jRbjT5_S1B_jjP12ihipStream_tbEUljE_ZNSN_ISO_Lb0ESQ_SR_SQ_SR_SV_EESW_SX_SY_SZ_S13_S14_S15_S18_S19_jS1A_jS1B_S1B_jjS1D_bEUljE0_EEESW_SX_SY_S15_S19_S1B_T6_T7_T9_mT8_S1D_bDpT10_ENKUlT_T0_E_clISt17integral_constantIbLb1EES1Q_IbLb0EEEEDaS1M_S1N_EUlS1M_E_NS1_11comp_targetILNS1_3genE4ELNS1_11target_archE910ELNS1_3gpuE8ELNS1_3repE0EEENS1_30default_config_static_selectorELNS0_4arch9wavefront6targetE0EEEvSZ_,"axG",@progbits,_ZN7rocprim17ROCPRIM_400000_NS6detail17trampoline_kernelINS0_13select_configILj256ELj13ELNS0_17block_load_methodE3ELS4_3ELS4_3ELNS0_20block_scan_algorithmE0ELj4294967295EEENS1_25partition_config_selectorILNS1_17partition_subalgoE4EjNS0_10empty_typeEbEEZZNS1_14partition_implILS8_4ELb0ES6_15HIP_vector_typeIjLj2EENS0_17counting_iteratorIjlEEPS9_SG_NS0_5tupleIJPjSI_NS0_16reverse_iteratorISI_EEEEENSH_IJSG_SG_SG_EEES9_SI_JZNS1_25segmented_radix_sort_implINS0_14default_configELb0EPKlPlSQ_SR_N2at6native12_GLOBAL__N_18offset_tEEE10hipError_tPvRmT1_PNSt15iterator_traitsISZ_E10value_typeET2_T3_PNS10_IS15_E10value_typeET4_jRbjT5_S1B_jjP12ihipStream_tbEUljE_ZNSN_ISO_Lb0ESQ_SR_SQ_SR_SV_EESW_SX_SY_SZ_S13_S14_S15_S18_S19_jS1A_jS1B_S1B_jjS1D_bEUljE0_EEESW_SX_SY_S15_S19_S1B_T6_T7_T9_mT8_S1D_bDpT10_ENKUlT_T0_E_clISt17integral_constantIbLb1EES1Q_IbLb0EEEEDaS1M_S1N_EUlS1M_E_NS1_11comp_targetILNS1_3genE4ELNS1_11target_archE910ELNS1_3gpuE8ELNS1_3repE0EEENS1_30default_config_static_selectorELNS0_4arch9wavefront6targetE0EEEvSZ_,comdat
.Lfunc_end761:
	.size	_ZN7rocprim17ROCPRIM_400000_NS6detail17trampoline_kernelINS0_13select_configILj256ELj13ELNS0_17block_load_methodE3ELS4_3ELS4_3ELNS0_20block_scan_algorithmE0ELj4294967295EEENS1_25partition_config_selectorILNS1_17partition_subalgoE4EjNS0_10empty_typeEbEEZZNS1_14partition_implILS8_4ELb0ES6_15HIP_vector_typeIjLj2EENS0_17counting_iteratorIjlEEPS9_SG_NS0_5tupleIJPjSI_NS0_16reverse_iteratorISI_EEEEENSH_IJSG_SG_SG_EEES9_SI_JZNS1_25segmented_radix_sort_implINS0_14default_configELb0EPKlPlSQ_SR_N2at6native12_GLOBAL__N_18offset_tEEE10hipError_tPvRmT1_PNSt15iterator_traitsISZ_E10value_typeET2_T3_PNS10_IS15_E10value_typeET4_jRbjT5_S1B_jjP12ihipStream_tbEUljE_ZNSN_ISO_Lb0ESQ_SR_SQ_SR_SV_EESW_SX_SY_SZ_S13_S14_S15_S18_S19_jS1A_jS1B_S1B_jjS1D_bEUljE0_EEESW_SX_SY_S15_S19_S1B_T6_T7_T9_mT8_S1D_bDpT10_ENKUlT_T0_E_clISt17integral_constantIbLb1EES1Q_IbLb0EEEEDaS1M_S1N_EUlS1M_E_NS1_11comp_targetILNS1_3genE4ELNS1_11target_archE910ELNS1_3gpuE8ELNS1_3repE0EEENS1_30default_config_static_selectorELNS0_4arch9wavefront6targetE0EEEvSZ_, .Lfunc_end761-_ZN7rocprim17ROCPRIM_400000_NS6detail17trampoline_kernelINS0_13select_configILj256ELj13ELNS0_17block_load_methodE3ELS4_3ELS4_3ELNS0_20block_scan_algorithmE0ELj4294967295EEENS1_25partition_config_selectorILNS1_17partition_subalgoE4EjNS0_10empty_typeEbEEZZNS1_14partition_implILS8_4ELb0ES6_15HIP_vector_typeIjLj2EENS0_17counting_iteratorIjlEEPS9_SG_NS0_5tupleIJPjSI_NS0_16reverse_iteratorISI_EEEEENSH_IJSG_SG_SG_EEES9_SI_JZNS1_25segmented_radix_sort_implINS0_14default_configELb0EPKlPlSQ_SR_N2at6native12_GLOBAL__N_18offset_tEEE10hipError_tPvRmT1_PNSt15iterator_traitsISZ_E10value_typeET2_T3_PNS10_IS15_E10value_typeET4_jRbjT5_S1B_jjP12ihipStream_tbEUljE_ZNSN_ISO_Lb0ESQ_SR_SQ_SR_SV_EESW_SX_SY_SZ_S13_S14_S15_S18_S19_jS1A_jS1B_S1B_jjS1D_bEUljE0_EEESW_SX_SY_S15_S19_S1B_T6_T7_T9_mT8_S1D_bDpT10_ENKUlT_T0_E_clISt17integral_constantIbLb1EES1Q_IbLb0EEEEDaS1M_S1N_EUlS1M_E_NS1_11comp_targetILNS1_3genE4ELNS1_11target_archE910ELNS1_3gpuE8ELNS1_3repE0EEENS1_30default_config_static_selectorELNS0_4arch9wavefront6targetE0EEEvSZ_
                                        ; -- End function
	.set _ZN7rocprim17ROCPRIM_400000_NS6detail17trampoline_kernelINS0_13select_configILj256ELj13ELNS0_17block_load_methodE3ELS4_3ELS4_3ELNS0_20block_scan_algorithmE0ELj4294967295EEENS1_25partition_config_selectorILNS1_17partition_subalgoE4EjNS0_10empty_typeEbEEZZNS1_14partition_implILS8_4ELb0ES6_15HIP_vector_typeIjLj2EENS0_17counting_iteratorIjlEEPS9_SG_NS0_5tupleIJPjSI_NS0_16reverse_iteratorISI_EEEEENSH_IJSG_SG_SG_EEES9_SI_JZNS1_25segmented_radix_sort_implINS0_14default_configELb0EPKlPlSQ_SR_N2at6native12_GLOBAL__N_18offset_tEEE10hipError_tPvRmT1_PNSt15iterator_traitsISZ_E10value_typeET2_T3_PNS10_IS15_E10value_typeET4_jRbjT5_S1B_jjP12ihipStream_tbEUljE_ZNSN_ISO_Lb0ESQ_SR_SQ_SR_SV_EESW_SX_SY_SZ_S13_S14_S15_S18_S19_jS1A_jS1B_S1B_jjS1D_bEUljE0_EEESW_SX_SY_S15_S19_S1B_T6_T7_T9_mT8_S1D_bDpT10_ENKUlT_T0_E_clISt17integral_constantIbLb1EES1Q_IbLb0EEEEDaS1M_S1N_EUlS1M_E_NS1_11comp_targetILNS1_3genE4ELNS1_11target_archE910ELNS1_3gpuE8ELNS1_3repE0EEENS1_30default_config_static_selectorELNS0_4arch9wavefront6targetE0EEEvSZ_.num_vgpr, 0
	.set _ZN7rocprim17ROCPRIM_400000_NS6detail17trampoline_kernelINS0_13select_configILj256ELj13ELNS0_17block_load_methodE3ELS4_3ELS4_3ELNS0_20block_scan_algorithmE0ELj4294967295EEENS1_25partition_config_selectorILNS1_17partition_subalgoE4EjNS0_10empty_typeEbEEZZNS1_14partition_implILS8_4ELb0ES6_15HIP_vector_typeIjLj2EENS0_17counting_iteratorIjlEEPS9_SG_NS0_5tupleIJPjSI_NS0_16reverse_iteratorISI_EEEEENSH_IJSG_SG_SG_EEES9_SI_JZNS1_25segmented_radix_sort_implINS0_14default_configELb0EPKlPlSQ_SR_N2at6native12_GLOBAL__N_18offset_tEEE10hipError_tPvRmT1_PNSt15iterator_traitsISZ_E10value_typeET2_T3_PNS10_IS15_E10value_typeET4_jRbjT5_S1B_jjP12ihipStream_tbEUljE_ZNSN_ISO_Lb0ESQ_SR_SQ_SR_SV_EESW_SX_SY_SZ_S13_S14_S15_S18_S19_jS1A_jS1B_S1B_jjS1D_bEUljE0_EEESW_SX_SY_S15_S19_S1B_T6_T7_T9_mT8_S1D_bDpT10_ENKUlT_T0_E_clISt17integral_constantIbLb1EES1Q_IbLb0EEEEDaS1M_S1N_EUlS1M_E_NS1_11comp_targetILNS1_3genE4ELNS1_11target_archE910ELNS1_3gpuE8ELNS1_3repE0EEENS1_30default_config_static_selectorELNS0_4arch9wavefront6targetE0EEEvSZ_.num_agpr, 0
	.set _ZN7rocprim17ROCPRIM_400000_NS6detail17trampoline_kernelINS0_13select_configILj256ELj13ELNS0_17block_load_methodE3ELS4_3ELS4_3ELNS0_20block_scan_algorithmE0ELj4294967295EEENS1_25partition_config_selectorILNS1_17partition_subalgoE4EjNS0_10empty_typeEbEEZZNS1_14partition_implILS8_4ELb0ES6_15HIP_vector_typeIjLj2EENS0_17counting_iteratorIjlEEPS9_SG_NS0_5tupleIJPjSI_NS0_16reverse_iteratorISI_EEEEENSH_IJSG_SG_SG_EEES9_SI_JZNS1_25segmented_radix_sort_implINS0_14default_configELb0EPKlPlSQ_SR_N2at6native12_GLOBAL__N_18offset_tEEE10hipError_tPvRmT1_PNSt15iterator_traitsISZ_E10value_typeET2_T3_PNS10_IS15_E10value_typeET4_jRbjT5_S1B_jjP12ihipStream_tbEUljE_ZNSN_ISO_Lb0ESQ_SR_SQ_SR_SV_EESW_SX_SY_SZ_S13_S14_S15_S18_S19_jS1A_jS1B_S1B_jjS1D_bEUljE0_EEESW_SX_SY_S15_S19_S1B_T6_T7_T9_mT8_S1D_bDpT10_ENKUlT_T0_E_clISt17integral_constantIbLb1EES1Q_IbLb0EEEEDaS1M_S1N_EUlS1M_E_NS1_11comp_targetILNS1_3genE4ELNS1_11target_archE910ELNS1_3gpuE8ELNS1_3repE0EEENS1_30default_config_static_selectorELNS0_4arch9wavefront6targetE0EEEvSZ_.numbered_sgpr, 0
	.set _ZN7rocprim17ROCPRIM_400000_NS6detail17trampoline_kernelINS0_13select_configILj256ELj13ELNS0_17block_load_methodE3ELS4_3ELS4_3ELNS0_20block_scan_algorithmE0ELj4294967295EEENS1_25partition_config_selectorILNS1_17partition_subalgoE4EjNS0_10empty_typeEbEEZZNS1_14partition_implILS8_4ELb0ES6_15HIP_vector_typeIjLj2EENS0_17counting_iteratorIjlEEPS9_SG_NS0_5tupleIJPjSI_NS0_16reverse_iteratorISI_EEEEENSH_IJSG_SG_SG_EEES9_SI_JZNS1_25segmented_radix_sort_implINS0_14default_configELb0EPKlPlSQ_SR_N2at6native12_GLOBAL__N_18offset_tEEE10hipError_tPvRmT1_PNSt15iterator_traitsISZ_E10value_typeET2_T3_PNS10_IS15_E10value_typeET4_jRbjT5_S1B_jjP12ihipStream_tbEUljE_ZNSN_ISO_Lb0ESQ_SR_SQ_SR_SV_EESW_SX_SY_SZ_S13_S14_S15_S18_S19_jS1A_jS1B_S1B_jjS1D_bEUljE0_EEESW_SX_SY_S15_S19_S1B_T6_T7_T9_mT8_S1D_bDpT10_ENKUlT_T0_E_clISt17integral_constantIbLb1EES1Q_IbLb0EEEEDaS1M_S1N_EUlS1M_E_NS1_11comp_targetILNS1_3genE4ELNS1_11target_archE910ELNS1_3gpuE8ELNS1_3repE0EEENS1_30default_config_static_selectorELNS0_4arch9wavefront6targetE0EEEvSZ_.num_named_barrier, 0
	.set _ZN7rocprim17ROCPRIM_400000_NS6detail17trampoline_kernelINS0_13select_configILj256ELj13ELNS0_17block_load_methodE3ELS4_3ELS4_3ELNS0_20block_scan_algorithmE0ELj4294967295EEENS1_25partition_config_selectorILNS1_17partition_subalgoE4EjNS0_10empty_typeEbEEZZNS1_14partition_implILS8_4ELb0ES6_15HIP_vector_typeIjLj2EENS0_17counting_iteratorIjlEEPS9_SG_NS0_5tupleIJPjSI_NS0_16reverse_iteratorISI_EEEEENSH_IJSG_SG_SG_EEES9_SI_JZNS1_25segmented_radix_sort_implINS0_14default_configELb0EPKlPlSQ_SR_N2at6native12_GLOBAL__N_18offset_tEEE10hipError_tPvRmT1_PNSt15iterator_traitsISZ_E10value_typeET2_T3_PNS10_IS15_E10value_typeET4_jRbjT5_S1B_jjP12ihipStream_tbEUljE_ZNSN_ISO_Lb0ESQ_SR_SQ_SR_SV_EESW_SX_SY_SZ_S13_S14_S15_S18_S19_jS1A_jS1B_S1B_jjS1D_bEUljE0_EEESW_SX_SY_S15_S19_S1B_T6_T7_T9_mT8_S1D_bDpT10_ENKUlT_T0_E_clISt17integral_constantIbLb1EES1Q_IbLb0EEEEDaS1M_S1N_EUlS1M_E_NS1_11comp_targetILNS1_3genE4ELNS1_11target_archE910ELNS1_3gpuE8ELNS1_3repE0EEENS1_30default_config_static_selectorELNS0_4arch9wavefront6targetE0EEEvSZ_.private_seg_size, 0
	.set _ZN7rocprim17ROCPRIM_400000_NS6detail17trampoline_kernelINS0_13select_configILj256ELj13ELNS0_17block_load_methodE3ELS4_3ELS4_3ELNS0_20block_scan_algorithmE0ELj4294967295EEENS1_25partition_config_selectorILNS1_17partition_subalgoE4EjNS0_10empty_typeEbEEZZNS1_14partition_implILS8_4ELb0ES6_15HIP_vector_typeIjLj2EENS0_17counting_iteratorIjlEEPS9_SG_NS0_5tupleIJPjSI_NS0_16reverse_iteratorISI_EEEEENSH_IJSG_SG_SG_EEES9_SI_JZNS1_25segmented_radix_sort_implINS0_14default_configELb0EPKlPlSQ_SR_N2at6native12_GLOBAL__N_18offset_tEEE10hipError_tPvRmT1_PNSt15iterator_traitsISZ_E10value_typeET2_T3_PNS10_IS15_E10value_typeET4_jRbjT5_S1B_jjP12ihipStream_tbEUljE_ZNSN_ISO_Lb0ESQ_SR_SQ_SR_SV_EESW_SX_SY_SZ_S13_S14_S15_S18_S19_jS1A_jS1B_S1B_jjS1D_bEUljE0_EEESW_SX_SY_S15_S19_S1B_T6_T7_T9_mT8_S1D_bDpT10_ENKUlT_T0_E_clISt17integral_constantIbLb1EES1Q_IbLb0EEEEDaS1M_S1N_EUlS1M_E_NS1_11comp_targetILNS1_3genE4ELNS1_11target_archE910ELNS1_3gpuE8ELNS1_3repE0EEENS1_30default_config_static_selectorELNS0_4arch9wavefront6targetE0EEEvSZ_.uses_vcc, 0
	.set _ZN7rocprim17ROCPRIM_400000_NS6detail17trampoline_kernelINS0_13select_configILj256ELj13ELNS0_17block_load_methodE3ELS4_3ELS4_3ELNS0_20block_scan_algorithmE0ELj4294967295EEENS1_25partition_config_selectorILNS1_17partition_subalgoE4EjNS0_10empty_typeEbEEZZNS1_14partition_implILS8_4ELb0ES6_15HIP_vector_typeIjLj2EENS0_17counting_iteratorIjlEEPS9_SG_NS0_5tupleIJPjSI_NS0_16reverse_iteratorISI_EEEEENSH_IJSG_SG_SG_EEES9_SI_JZNS1_25segmented_radix_sort_implINS0_14default_configELb0EPKlPlSQ_SR_N2at6native12_GLOBAL__N_18offset_tEEE10hipError_tPvRmT1_PNSt15iterator_traitsISZ_E10value_typeET2_T3_PNS10_IS15_E10value_typeET4_jRbjT5_S1B_jjP12ihipStream_tbEUljE_ZNSN_ISO_Lb0ESQ_SR_SQ_SR_SV_EESW_SX_SY_SZ_S13_S14_S15_S18_S19_jS1A_jS1B_S1B_jjS1D_bEUljE0_EEESW_SX_SY_S15_S19_S1B_T6_T7_T9_mT8_S1D_bDpT10_ENKUlT_T0_E_clISt17integral_constantIbLb1EES1Q_IbLb0EEEEDaS1M_S1N_EUlS1M_E_NS1_11comp_targetILNS1_3genE4ELNS1_11target_archE910ELNS1_3gpuE8ELNS1_3repE0EEENS1_30default_config_static_selectorELNS0_4arch9wavefront6targetE0EEEvSZ_.uses_flat_scratch, 0
	.set _ZN7rocprim17ROCPRIM_400000_NS6detail17trampoline_kernelINS0_13select_configILj256ELj13ELNS0_17block_load_methodE3ELS4_3ELS4_3ELNS0_20block_scan_algorithmE0ELj4294967295EEENS1_25partition_config_selectorILNS1_17partition_subalgoE4EjNS0_10empty_typeEbEEZZNS1_14partition_implILS8_4ELb0ES6_15HIP_vector_typeIjLj2EENS0_17counting_iteratorIjlEEPS9_SG_NS0_5tupleIJPjSI_NS0_16reverse_iteratorISI_EEEEENSH_IJSG_SG_SG_EEES9_SI_JZNS1_25segmented_radix_sort_implINS0_14default_configELb0EPKlPlSQ_SR_N2at6native12_GLOBAL__N_18offset_tEEE10hipError_tPvRmT1_PNSt15iterator_traitsISZ_E10value_typeET2_T3_PNS10_IS15_E10value_typeET4_jRbjT5_S1B_jjP12ihipStream_tbEUljE_ZNSN_ISO_Lb0ESQ_SR_SQ_SR_SV_EESW_SX_SY_SZ_S13_S14_S15_S18_S19_jS1A_jS1B_S1B_jjS1D_bEUljE0_EEESW_SX_SY_S15_S19_S1B_T6_T7_T9_mT8_S1D_bDpT10_ENKUlT_T0_E_clISt17integral_constantIbLb1EES1Q_IbLb0EEEEDaS1M_S1N_EUlS1M_E_NS1_11comp_targetILNS1_3genE4ELNS1_11target_archE910ELNS1_3gpuE8ELNS1_3repE0EEENS1_30default_config_static_selectorELNS0_4arch9wavefront6targetE0EEEvSZ_.has_dyn_sized_stack, 0
	.set _ZN7rocprim17ROCPRIM_400000_NS6detail17trampoline_kernelINS0_13select_configILj256ELj13ELNS0_17block_load_methodE3ELS4_3ELS4_3ELNS0_20block_scan_algorithmE0ELj4294967295EEENS1_25partition_config_selectorILNS1_17partition_subalgoE4EjNS0_10empty_typeEbEEZZNS1_14partition_implILS8_4ELb0ES6_15HIP_vector_typeIjLj2EENS0_17counting_iteratorIjlEEPS9_SG_NS0_5tupleIJPjSI_NS0_16reverse_iteratorISI_EEEEENSH_IJSG_SG_SG_EEES9_SI_JZNS1_25segmented_radix_sort_implINS0_14default_configELb0EPKlPlSQ_SR_N2at6native12_GLOBAL__N_18offset_tEEE10hipError_tPvRmT1_PNSt15iterator_traitsISZ_E10value_typeET2_T3_PNS10_IS15_E10value_typeET4_jRbjT5_S1B_jjP12ihipStream_tbEUljE_ZNSN_ISO_Lb0ESQ_SR_SQ_SR_SV_EESW_SX_SY_SZ_S13_S14_S15_S18_S19_jS1A_jS1B_S1B_jjS1D_bEUljE0_EEESW_SX_SY_S15_S19_S1B_T6_T7_T9_mT8_S1D_bDpT10_ENKUlT_T0_E_clISt17integral_constantIbLb1EES1Q_IbLb0EEEEDaS1M_S1N_EUlS1M_E_NS1_11comp_targetILNS1_3genE4ELNS1_11target_archE910ELNS1_3gpuE8ELNS1_3repE0EEENS1_30default_config_static_selectorELNS0_4arch9wavefront6targetE0EEEvSZ_.has_recursion, 0
	.set _ZN7rocprim17ROCPRIM_400000_NS6detail17trampoline_kernelINS0_13select_configILj256ELj13ELNS0_17block_load_methodE3ELS4_3ELS4_3ELNS0_20block_scan_algorithmE0ELj4294967295EEENS1_25partition_config_selectorILNS1_17partition_subalgoE4EjNS0_10empty_typeEbEEZZNS1_14partition_implILS8_4ELb0ES6_15HIP_vector_typeIjLj2EENS0_17counting_iteratorIjlEEPS9_SG_NS0_5tupleIJPjSI_NS0_16reverse_iteratorISI_EEEEENSH_IJSG_SG_SG_EEES9_SI_JZNS1_25segmented_radix_sort_implINS0_14default_configELb0EPKlPlSQ_SR_N2at6native12_GLOBAL__N_18offset_tEEE10hipError_tPvRmT1_PNSt15iterator_traitsISZ_E10value_typeET2_T3_PNS10_IS15_E10value_typeET4_jRbjT5_S1B_jjP12ihipStream_tbEUljE_ZNSN_ISO_Lb0ESQ_SR_SQ_SR_SV_EESW_SX_SY_SZ_S13_S14_S15_S18_S19_jS1A_jS1B_S1B_jjS1D_bEUljE0_EEESW_SX_SY_S15_S19_S1B_T6_T7_T9_mT8_S1D_bDpT10_ENKUlT_T0_E_clISt17integral_constantIbLb1EES1Q_IbLb0EEEEDaS1M_S1N_EUlS1M_E_NS1_11comp_targetILNS1_3genE4ELNS1_11target_archE910ELNS1_3gpuE8ELNS1_3repE0EEENS1_30default_config_static_selectorELNS0_4arch9wavefront6targetE0EEEvSZ_.has_indirect_call, 0
	.section	.AMDGPU.csdata,"",@progbits
; Kernel info:
; codeLenInByte = 0
; TotalNumSgprs: 0
; NumVgprs: 0
; ScratchSize: 0
; MemoryBound: 0
; FloatMode: 240
; IeeeMode: 1
; LDSByteSize: 0 bytes/workgroup (compile time only)
; SGPRBlocks: 0
; VGPRBlocks: 0
; NumSGPRsForWavesPerEU: 1
; NumVGPRsForWavesPerEU: 1
; Occupancy: 16
; WaveLimiterHint : 0
; COMPUTE_PGM_RSRC2:SCRATCH_EN: 0
; COMPUTE_PGM_RSRC2:USER_SGPR: 2
; COMPUTE_PGM_RSRC2:TRAP_HANDLER: 0
; COMPUTE_PGM_RSRC2:TGID_X_EN: 1
; COMPUTE_PGM_RSRC2:TGID_Y_EN: 0
; COMPUTE_PGM_RSRC2:TGID_Z_EN: 0
; COMPUTE_PGM_RSRC2:TIDIG_COMP_CNT: 0
	.section	.text._ZN7rocprim17ROCPRIM_400000_NS6detail17trampoline_kernelINS0_13select_configILj256ELj13ELNS0_17block_load_methodE3ELS4_3ELS4_3ELNS0_20block_scan_algorithmE0ELj4294967295EEENS1_25partition_config_selectorILNS1_17partition_subalgoE4EjNS0_10empty_typeEbEEZZNS1_14partition_implILS8_4ELb0ES6_15HIP_vector_typeIjLj2EENS0_17counting_iteratorIjlEEPS9_SG_NS0_5tupleIJPjSI_NS0_16reverse_iteratorISI_EEEEENSH_IJSG_SG_SG_EEES9_SI_JZNS1_25segmented_radix_sort_implINS0_14default_configELb0EPKlPlSQ_SR_N2at6native12_GLOBAL__N_18offset_tEEE10hipError_tPvRmT1_PNSt15iterator_traitsISZ_E10value_typeET2_T3_PNS10_IS15_E10value_typeET4_jRbjT5_S1B_jjP12ihipStream_tbEUljE_ZNSN_ISO_Lb0ESQ_SR_SQ_SR_SV_EESW_SX_SY_SZ_S13_S14_S15_S18_S19_jS1A_jS1B_S1B_jjS1D_bEUljE0_EEESW_SX_SY_S15_S19_S1B_T6_T7_T9_mT8_S1D_bDpT10_ENKUlT_T0_E_clISt17integral_constantIbLb1EES1Q_IbLb0EEEEDaS1M_S1N_EUlS1M_E_NS1_11comp_targetILNS1_3genE3ELNS1_11target_archE908ELNS1_3gpuE7ELNS1_3repE0EEENS1_30default_config_static_selectorELNS0_4arch9wavefront6targetE0EEEvSZ_,"axG",@progbits,_ZN7rocprim17ROCPRIM_400000_NS6detail17trampoline_kernelINS0_13select_configILj256ELj13ELNS0_17block_load_methodE3ELS4_3ELS4_3ELNS0_20block_scan_algorithmE0ELj4294967295EEENS1_25partition_config_selectorILNS1_17partition_subalgoE4EjNS0_10empty_typeEbEEZZNS1_14partition_implILS8_4ELb0ES6_15HIP_vector_typeIjLj2EENS0_17counting_iteratorIjlEEPS9_SG_NS0_5tupleIJPjSI_NS0_16reverse_iteratorISI_EEEEENSH_IJSG_SG_SG_EEES9_SI_JZNS1_25segmented_radix_sort_implINS0_14default_configELb0EPKlPlSQ_SR_N2at6native12_GLOBAL__N_18offset_tEEE10hipError_tPvRmT1_PNSt15iterator_traitsISZ_E10value_typeET2_T3_PNS10_IS15_E10value_typeET4_jRbjT5_S1B_jjP12ihipStream_tbEUljE_ZNSN_ISO_Lb0ESQ_SR_SQ_SR_SV_EESW_SX_SY_SZ_S13_S14_S15_S18_S19_jS1A_jS1B_S1B_jjS1D_bEUljE0_EEESW_SX_SY_S15_S19_S1B_T6_T7_T9_mT8_S1D_bDpT10_ENKUlT_T0_E_clISt17integral_constantIbLb1EES1Q_IbLb0EEEEDaS1M_S1N_EUlS1M_E_NS1_11comp_targetILNS1_3genE3ELNS1_11target_archE908ELNS1_3gpuE7ELNS1_3repE0EEENS1_30default_config_static_selectorELNS0_4arch9wavefront6targetE0EEEvSZ_,comdat
	.globl	_ZN7rocprim17ROCPRIM_400000_NS6detail17trampoline_kernelINS0_13select_configILj256ELj13ELNS0_17block_load_methodE3ELS4_3ELS4_3ELNS0_20block_scan_algorithmE0ELj4294967295EEENS1_25partition_config_selectorILNS1_17partition_subalgoE4EjNS0_10empty_typeEbEEZZNS1_14partition_implILS8_4ELb0ES6_15HIP_vector_typeIjLj2EENS0_17counting_iteratorIjlEEPS9_SG_NS0_5tupleIJPjSI_NS0_16reverse_iteratorISI_EEEEENSH_IJSG_SG_SG_EEES9_SI_JZNS1_25segmented_radix_sort_implINS0_14default_configELb0EPKlPlSQ_SR_N2at6native12_GLOBAL__N_18offset_tEEE10hipError_tPvRmT1_PNSt15iterator_traitsISZ_E10value_typeET2_T3_PNS10_IS15_E10value_typeET4_jRbjT5_S1B_jjP12ihipStream_tbEUljE_ZNSN_ISO_Lb0ESQ_SR_SQ_SR_SV_EESW_SX_SY_SZ_S13_S14_S15_S18_S19_jS1A_jS1B_S1B_jjS1D_bEUljE0_EEESW_SX_SY_S15_S19_S1B_T6_T7_T9_mT8_S1D_bDpT10_ENKUlT_T0_E_clISt17integral_constantIbLb1EES1Q_IbLb0EEEEDaS1M_S1N_EUlS1M_E_NS1_11comp_targetILNS1_3genE3ELNS1_11target_archE908ELNS1_3gpuE7ELNS1_3repE0EEENS1_30default_config_static_selectorELNS0_4arch9wavefront6targetE0EEEvSZ_ ; -- Begin function _ZN7rocprim17ROCPRIM_400000_NS6detail17trampoline_kernelINS0_13select_configILj256ELj13ELNS0_17block_load_methodE3ELS4_3ELS4_3ELNS0_20block_scan_algorithmE0ELj4294967295EEENS1_25partition_config_selectorILNS1_17partition_subalgoE4EjNS0_10empty_typeEbEEZZNS1_14partition_implILS8_4ELb0ES6_15HIP_vector_typeIjLj2EENS0_17counting_iteratorIjlEEPS9_SG_NS0_5tupleIJPjSI_NS0_16reverse_iteratorISI_EEEEENSH_IJSG_SG_SG_EEES9_SI_JZNS1_25segmented_radix_sort_implINS0_14default_configELb0EPKlPlSQ_SR_N2at6native12_GLOBAL__N_18offset_tEEE10hipError_tPvRmT1_PNSt15iterator_traitsISZ_E10value_typeET2_T3_PNS10_IS15_E10value_typeET4_jRbjT5_S1B_jjP12ihipStream_tbEUljE_ZNSN_ISO_Lb0ESQ_SR_SQ_SR_SV_EESW_SX_SY_SZ_S13_S14_S15_S18_S19_jS1A_jS1B_S1B_jjS1D_bEUljE0_EEESW_SX_SY_S15_S19_S1B_T6_T7_T9_mT8_S1D_bDpT10_ENKUlT_T0_E_clISt17integral_constantIbLb1EES1Q_IbLb0EEEEDaS1M_S1N_EUlS1M_E_NS1_11comp_targetILNS1_3genE3ELNS1_11target_archE908ELNS1_3gpuE7ELNS1_3repE0EEENS1_30default_config_static_selectorELNS0_4arch9wavefront6targetE0EEEvSZ_
	.p2align	8
	.type	_ZN7rocprim17ROCPRIM_400000_NS6detail17trampoline_kernelINS0_13select_configILj256ELj13ELNS0_17block_load_methodE3ELS4_3ELS4_3ELNS0_20block_scan_algorithmE0ELj4294967295EEENS1_25partition_config_selectorILNS1_17partition_subalgoE4EjNS0_10empty_typeEbEEZZNS1_14partition_implILS8_4ELb0ES6_15HIP_vector_typeIjLj2EENS0_17counting_iteratorIjlEEPS9_SG_NS0_5tupleIJPjSI_NS0_16reverse_iteratorISI_EEEEENSH_IJSG_SG_SG_EEES9_SI_JZNS1_25segmented_radix_sort_implINS0_14default_configELb0EPKlPlSQ_SR_N2at6native12_GLOBAL__N_18offset_tEEE10hipError_tPvRmT1_PNSt15iterator_traitsISZ_E10value_typeET2_T3_PNS10_IS15_E10value_typeET4_jRbjT5_S1B_jjP12ihipStream_tbEUljE_ZNSN_ISO_Lb0ESQ_SR_SQ_SR_SV_EESW_SX_SY_SZ_S13_S14_S15_S18_S19_jS1A_jS1B_S1B_jjS1D_bEUljE0_EEESW_SX_SY_S15_S19_S1B_T6_T7_T9_mT8_S1D_bDpT10_ENKUlT_T0_E_clISt17integral_constantIbLb1EES1Q_IbLb0EEEEDaS1M_S1N_EUlS1M_E_NS1_11comp_targetILNS1_3genE3ELNS1_11target_archE908ELNS1_3gpuE7ELNS1_3repE0EEENS1_30default_config_static_selectorELNS0_4arch9wavefront6targetE0EEEvSZ_,@function
_ZN7rocprim17ROCPRIM_400000_NS6detail17trampoline_kernelINS0_13select_configILj256ELj13ELNS0_17block_load_methodE3ELS4_3ELS4_3ELNS0_20block_scan_algorithmE0ELj4294967295EEENS1_25partition_config_selectorILNS1_17partition_subalgoE4EjNS0_10empty_typeEbEEZZNS1_14partition_implILS8_4ELb0ES6_15HIP_vector_typeIjLj2EENS0_17counting_iteratorIjlEEPS9_SG_NS0_5tupleIJPjSI_NS0_16reverse_iteratorISI_EEEEENSH_IJSG_SG_SG_EEES9_SI_JZNS1_25segmented_radix_sort_implINS0_14default_configELb0EPKlPlSQ_SR_N2at6native12_GLOBAL__N_18offset_tEEE10hipError_tPvRmT1_PNSt15iterator_traitsISZ_E10value_typeET2_T3_PNS10_IS15_E10value_typeET4_jRbjT5_S1B_jjP12ihipStream_tbEUljE_ZNSN_ISO_Lb0ESQ_SR_SQ_SR_SV_EESW_SX_SY_SZ_S13_S14_S15_S18_S19_jS1A_jS1B_S1B_jjS1D_bEUljE0_EEESW_SX_SY_S15_S19_S1B_T6_T7_T9_mT8_S1D_bDpT10_ENKUlT_T0_E_clISt17integral_constantIbLb1EES1Q_IbLb0EEEEDaS1M_S1N_EUlS1M_E_NS1_11comp_targetILNS1_3genE3ELNS1_11target_archE908ELNS1_3gpuE7ELNS1_3repE0EEENS1_30default_config_static_selectorELNS0_4arch9wavefront6targetE0EEEvSZ_: ; @_ZN7rocprim17ROCPRIM_400000_NS6detail17trampoline_kernelINS0_13select_configILj256ELj13ELNS0_17block_load_methodE3ELS4_3ELS4_3ELNS0_20block_scan_algorithmE0ELj4294967295EEENS1_25partition_config_selectorILNS1_17partition_subalgoE4EjNS0_10empty_typeEbEEZZNS1_14partition_implILS8_4ELb0ES6_15HIP_vector_typeIjLj2EENS0_17counting_iteratorIjlEEPS9_SG_NS0_5tupleIJPjSI_NS0_16reverse_iteratorISI_EEEEENSH_IJSG_SG_SG_EEES9_SI_JZNS1_25segmented_radix_sort_implINS0_14default_configELb0EPKlPlSQ_SR_N2at6native12_GLOBAL__N_18offset_tEEE10hipError_tPvRmT1_PNSt15iterator_traitsISZ_E10value_typeET2_T3_PNS10_IS15_E10value_typeET4_jRbjT5_S1B_jjP12ihipStream_tbEUljE_ZNSN_ISO_Lb0ESQ_SR_SQ_SR_SV_EESW_SX_SY_SZ_S13_S14_S15_S18_S19_jS1A_jS1B_S1B_jjS1D_bEUljE0_EEESW_SX_SY_S15_S19_S1B_T6_T7_T9_mT8_S1D_bDpT10_ENKUlT_T0_E_clISt17integral_constantIbLb1EES1Q_IbLb0EEEEDaS1M_S1N_EUlS1M_E_NS1_11comp_targetILNS1_3genE3ELNS1_11target_archE908ELNS1_3gpuE7ELNS1_3repE0EEENS1_30default_config_static_selectorELNS0_4arch9wavefront6targetE0EEEvSZ_
; %bb.0:
	.section	.rodata,"a",@progbits
	.p2align	6, 0x0
	.amdhsa_kernel _ZN7rocprim17ROCPRIM_400000_NS6detail17trampoline_kernelINS0_13select_configILj256ELj13ELNS0_17block_load_methodE3ELS4_3ELS4_3ELNS0_20block_scan_algorithmE0ELj4294967295EEENS1_25partition_config_selectorILNS1_17partition_subalgoE4EjNS0_10empty_typeEbEEZZNS1_14partition_implILS8_4ELb0ES6_15HIP_vector_typeIjLj2EENS0_17counting_iteratorIjlEEPS9_SG_NS0_5tupleIJPjSI_NS0_16reverse_iteratorISI_EEEEENSH_IJSG_SG_SG_EEES9_SI_JZNS1_25segmented_radix_sort_implINS0_14default_configELb0EPKlPlSQ_SR_N2at6native12_GLOBAL__N_18offset_tEEE10hipError_tPvRmT1_PNSt15iterator_traitsISZ_E10value_typeET2_T3_PNS10_IS15_E10value_typeET4_jRbjT5_S1B_jjP12ihipStream_tbEUljE_ZNSN_ISO_Lb0ESQ_SR_SQ_SR_SV_EESW_SX_SY_SZ_S13_S14_S15_S18_S19_jS1A_jS1B_S1B_jjS1D_bEUljE0_EEESW_SX_SY_S15_S19_S1B_T6_T7_T9_mT8_S1D_bDpT10_ENKUlT_T0_E_clISt17integral_constantIbLb1EES1Q_IbLb0EEEEDaS1M_S1N_EUlS1M_E_NS1_11comp_targetILNS1_3genE3ELNS1_11target_archE908ELNS1_3gpuE7ELNS1_3repE0EEENS1_30default_config_static_selectorELNS0_4arch9wavefront6targetE0EEEvSZ_
		.amdhsa_group_segment_fixed_size 0
		.amdhsa_private_segment_fixed_size 0
		.amdhsa_kernarg_size 176
		.amdhsa_user_sgpr_count 2
		.amdhsa_user_sgpr_dispatch_ptr 0
		.amdhsa_user_sgpr_queue_ptr 0
		.amdhsa_user_sgpr_kernarg_segment_ptr 1
		.amdhsa_user_sgpr_dispatch_id 0
		.amdhsa_user_sgpr_private_segment_size 0
		.amdhsa_wavefront_size32 1
		.amdhsa_uses_dynamic_stack 0
		.amdhsa_enable_private_segment 0
		.amdhsa_system_sgpr_workgroup_id_x 1
		.amdhsa_system_sgpr_workgroup_id_y 0
		.amdhsa_system_sgpr_workgroup_id_z 0
		.amdhsa_system_sgpr_workgroup_info 0
		.amdhsa_system_vgpr_workitem_id 0
		.amdhsa_next_free_vgpr 1
		.amdhsa_next_free_sgpr 1
		.amdhsa_reserve_vcc 0
		.amdhsa_float_round_mode_32 0
		.amdhsa_float_round_mode_16_64 0
		.amdhsa_float_denorm_mode_32 3
		.amdhsa_float_denorm_mode_16_64 3
		.amdhsa_fp16_overflow 0
		.amdhsa_workgroup_processor_mode 1
		.amdhsa_memory_ordered 1
		.amdhsa_forward_progress 1
		.amdhsa_inst_pref_size 0
		.amdhsa_round_robin_scheduling 0
		.amdhsa_exception_fp_ieee_invalid_op 0
		.amdhsa_exception_fp_denorm_src 0
		.amdhsa_exception_fp_ieee_div_zero 0
		.amdhsa_exception_fp_ieee_overflow 0
		.amdhsa_exception_fp_ieee_underflow 0
		.amdhsa_exception_fp_ieee_inexact 0
		.amdhsa_exception_int_div_zero 0
	.end_amdhsa_kernel
	.section	.text._ZN7rocprim17ROCPRIM_400000_NS6detail17trampoline_kernelINS0_13select_configILj256ELj13ELNS0_17block_load_methodE3ELS4_3ELS4_3ELNS0_20block_scan_algorithmE0ELj4294967295EEENS1_25partition_config_selectorILNS1_17partition_subalgoE4EjNS0_10empty_typeEbEEZZNS1_14partition_implILS8_4ELb0ES6_15HIP_vector_typeIjLj2EENS0_17counting_iteratorIjlEEPS9_SG_NS0_5tupleIJPjSI_NS0_16reverse_iteratorISI_EEEEENSH_IJSG_SG_SG_EEES9_SI_JZNS1_25segmented_radix_sort_implINS0_14default_configELb0EPKlPlSQ_SR_N2at6native12_GLOBAL__N_18offset_tEEE10hipError_tPvRmT1_PNSt15iterator_traitsISZ_E10value_typeET2_T3_PNS10_IS15_E10value_typeET4_jRbjT5_S1B_jjP12ihipStream_tbEUljE_ZNSN_ISO_Lb0ESQ_SR_SQ_SR_SV_EESW_SX_SY_SZ_S13_S14_S15_S18_S19_jS1A_jS1B_S1B_jjS1D_bEUljE0_EEESW_SX_SY_S15_S19_S1B_T6_T7_T9_mT8_S1D_bDpT10_ENKUlT_T0_E_clISt17integral_constantIbLb1EES1Q_IbLb0EEEEDaS1M_S1N_EUlS1M_E_NS1_11comp_targetILNS1_3genE3ELNS1_11target_archE908ELNS1_3gpuE7ELNS1_3repE0EEENS1_30default_config_static_selectorELNS0_4arch9wavefront6targetE0EEEvSZ_,"axG",@progbits,_ZN7rocprim17ROCPRIM_400000_NS6detail17trampoline_kernelINS0_13select_configILj256ELj13ELNS0_17block_load_methodE3ELS4_3ELS4_3ELNS0_20block_scan_algorithmE0ELj4294967295EEENS1_25partition_config_selectorILNS1_17partition_subalgoE4EjNS0_10empty_typeEbEEZZNS1_14partition_implILS8_4ELb0ES6_15HIP_vector_typeIjLj2EENS0_17counting_iteratorIjlEEPS9_SG_NS0_5tupleIJPjSI_NS0_16reverse_iteratorISI_EEEEENSH_IJSG_SG_SG_EEES9_SI_JZNS1_25segmented_radix_sort_implINS0_14default_configELb0EPKlPlSQ_SR_N2at6native12_GLOBAL__N_18offset_tEEE10hipError_tPvRmT1_PNSt15iterator_traitsISZ_E10value_typeET2_T3_PNS10_IS15_E10value_typeET4_jRbjT5_S1B_jjP12ihipStream_tbEUljE_ZNSN_ISO_Lb0ESQ_SR_SQ_SR_SV_EESW_SX_SY_SZ_S13_S14_S15_S18_S19_jS1A_jS1B_S1B_jjS1D_bEUljE0_EEESW_SX_SY_S15_S19_S1B_T6_T7_T9_mT8_S1D_bDpT10_ENKUlT_T0_E_clISt17integral_constantIbLb1EES1Q_IbLb0EEEEDaS1M_S1N_EUlS1M_E_NS1_11comp_targetILNS1_3genE3ELNS1_11target_archE908ELNS1_3gpuE7ELNS1_3repE0EEENS1_30default_config_static_selectorELNS0_4arch9wavefront6targetE0EEEvSZ_,comdat
.Lfunc_end762:
	.size	_ZN7rocprim17ROCPRIM_400000_NS6detail17trampoline_kernelINS0_13select_configILj256ELj13ELNS0_17block_load_methodE3ELS4_3ELS4_3ELNS0_20block_scan_algorithmE0ELj4294967295EEENS1_25partition_config_selectorILNS1_17partition_subalgoE4EjNS0_10empty_typeEbEEZZNS1_14partition_implILS8_4ELb0ES6_15HIP_vector_typeIjLj2EENS0_17counting_iteratorIjlEEPS9_SG_NS0_5tupleIJPjSI_NS0_16reverse_iteratorISI_EEEEENSH_IJSG_SG_SG_EEES9_SI_JZNS1_25segmented_radix_sort_implINS0_14default_configELb0EPKlPlSQ_SR_N2at6native12_GLOBAL__N_18offset_tEEE10hipError_tPvRmT1_PNSt15iterator_traitsISZ_E10value_typeET2_T3_PNS10_IS15_E10value_typeET4_jRbjT5_S1B_jjP12ihipStream_tbEUljE_ZNSN_ISO_Lb0ESQ_SR_SQ_SR_SV_EESW_SX_SY_SZ_S13_S14_S15_S18_S19_jS1A_jS1B_S1B_jjS1D_bEUljE0_EEESW_SX_SY_S15_S19_S1B_T6_T7_T9_mT8_S1D_bDpT10_ENKUlT_T0_E_clISt17integral_constantIbLb1EES1Q_IbLb0EEEEDaS1M_S1N_EUlS1M_E_NS1_11comp_targetILNS1_3genE3ELNS1_11target_archE908ELNS1_3gpuE7ELNS1_3repE0EEENS1_30default_config_static_selectorELNS0_4arch9wavefront6targetE0EEEvSZ_, .Lfunc_end762-_ZN7rocprim17ROCPRIM_400000_NS6detail17trampoline_kernelINS0_13select_configILj256ELj13ELNS0_17block_load_methodE3ELS4_3ELS4_3ELNS0_20block_scan_algorithmE0ELj4294967295EEENS1_25partition_config_selectorILNS1_17partition_subalgoE4EjNS0_10empty_typeEbEEZZNS1_14partition_implILS8_4ELb0ES6_15HIP_vector_typeIjLj2EENS0_17counting_iteratorIjlEEPS9_SG_NS0_5tupleIJPjSI_NS0_16reverse_iteratorISI_EEEEENSH_IJSG_SG_SG_EEES9_SI_JZNS1_25segmented_radix_sort_implINS0_14default_configELb0EPKlPlSQ_SR_N2at6native12_GLOBAL__N_18offset_tEEE10hipError_tPvRmT1_PNSt15iterator_traitsISZ_E10value_typeET2_T3_PNS10_IS15_E10value_typeET4_jRbjT5_S1B_jjP12ihipStream_tbEUljE_ZNSN_ISO_Lb0ESQ_SR_SQ_SR_SV_EESW_SX_SY_SZ_S13_S14_S15_S18_S19_jS1A_jS1B_S1B_jjS1D_bEUljE0_EEESW_SX_SY_S15_S19_S1B_T6_T7_T9_mT8_S1D_bDpT10_ENKUlT_T0_E_clISt17integral_constantIbLb1EES1Q_IbLb0EEEEDaS1M_S1N_EUlS1M_E_NS1_11comp_targetILNS1_3genE3ELNS1_11target_archE908ELNS1_3gpuE7ELNS1_3repE0EEENS1_30default_config_static_selectorELNS0_4arch9wavefront6targetE0EEEvSZ_
                                        ; -- End function
	.set _ZN7rocprim17ROCPRIM_400000_NS6detail17trampoline_kernelINS0_13select_configILj256ELj13ELNS0_17block_load_methodE3ELS4_3ELS4_3ELNS0_20block_scan_algorithmE0ELj4294967295EEENS1_25partition_config_selectorILNS1_17partition_subalgoE4EjNS0_10empty_typeEbEEZZNS1_14partition_implILS8_4ELb0ES6_15HIP_vector_typeIjLj2EENS0_17counting_iteratorIjlEEPS9_SG_NS0_5tupleIJPjSI_NS0_16reverse_iteratorISI_EEEEENSH_IJSG_SG_SG_EEES9_SI_JZNS1_25segmented_radix_sort_implINS0_14default_configELb0EPKlPlSQ_SR_N2at6native12_GLOBAL__N_18offset_tEEE10hipError_tPvRmT1_PNSt15iterator_traitsISZ_E10value_typeET2_T3_PNS10_IS15_E10value_typeET4_jRbjT5_S1B_jjP12ihipStream_tbEUljE_ZNSN_ISO_Lb0ESQ_SR_SQ_SR_SV_EESW_SX_SY_SZ_S13_S14_S15_S18_S19_jS1A_jS1B_S1B_jjS1D_bEUljE0_EEESW_SX_SY_S15_S19_S1B_T6_T7_T9_mT8_S1D_bDpT10_ENKUlT_T0_E_clISt17integral_constantIbLb1EES1Q_IbLb0EEEEDaS1M_S1N_EUlS1M_E_NS1_11comp_targetILNS1_3genE3ELNS1_11target_archE908ELNS1_3gpuE7ELNS1_3repE0EEENS1_30default_config_static_selectorELNS0_4arch9wavefront6targetE0EEEvSZ_.num_vgpr, 0
	.set _ZN7rocprim17ROCPRIM_400000_NS6detail17trampoline_kernelINS0_13select_configILj256ELj13ELNS0_17block_load_methodE3ELS4_3ELS4_3ELNS0_20block_scan_algorithmE0ELj4294967295EEENS1_25partition_config_selectorILNS1_17partition_subalgoE4EjNS0_10empty_typeEbEEZZNS1_14partition_implILS8_4ELb0ES6_15HIP_vector_typeIjLj2EENS0_17counting_iteratorIjlEEPS9_SG_NS0_5tupleIJPjSI_NS0_16reverse_iteratorISI_EEEEENSH_IJSG_SG_SG_EEES9_SI_JZNS1_25segmented_radix_sort_implINS0_14default_configELb0EPKlPlSQ_SR_N2at6native12_GLOBAL__N_18offset_tEEE10hipError_tPvRmT1_PNSt15iterator_traitsISZ_E10value_typeET2_T3_PNS10_IS15_E10value_typeET4_jRbjT5_S1B_jjP12ihipStream_tbEUljE_ZNSN_ISO_Lb0ESQ_SR_SQ_SR_SV_EESW_SX_SY_SZ_S13_S14_S15_S18_S19_jS1A_jS1B_S1B_jjS1D_bEUljE0_EEESW_SX_SY_S15_S19_S1B_T6_T7_T9_mT8_S1D_bDpT10_ENKUlT_T0_E_clISt17integral_constantIbLb1EES1Q_IbLb0EEEEDaS1M_S1N_EUlS1M_E_NS1_11comp_targetILNS1_3genE3ELNS1_11target_archE908ELNS1_3gpuE7ELNS1_3repE0EEENS1_30default_config_static_selectorELNS0_4arch9wavefront6targetE0EEEvSZ_.num_agpr, 0
	.set _ZN7rocprim17ROCPRIM_400000_NS6detail17trampoline_kernelINS0_13select_configILj256ELj13ELNS0_17block_load_methodE3ELS4_3ELS4_3ELNS0_20block_scan_algorithmE0ELj4294967295EEENS1_25partition_config_selectorILNS1_17partition_subalgoE4EjNS0_10empty_typeEbEEZZNS1_14partition_implILS8_4ELb0ES6_15HIP_vector_typeIjLj2EENS0_17counting_iteratorIjlEEPS9_SG_NS0_5tupleIJPjSI_NS0_16reverse_iteratorISI_EEEEENSH_IJSG_SG_SG_EEES9_SI_JZNS1_25segmented_radix_sort_implINS0_14default_configELb0EPKlPlSQ_SR_N2at6native12_GLOBAL__N_18offset_tEEE10hipError_tPvRmT1_PNSt15iterator_traitsISZ_E10value_typeET2_T3_PNS10_IS15_E10value_typeET4_jRbjT5_S1B_jjP12ihipStream_tbEUljE_ZNSN_ISO_Lb0ESQ_SR_SQ_SR_SV_EESW_SX_SY_SZ_S13_S14_S15_S18_S19_jS1A_jS1B_S1B_jjS1D_bEUljE0_EEESW_SX_SY_S15_S19_S1B_T6_T7_T9_mT8_S1D_bDpT10_ENKUlT_T0_E_clISt17integral_constantIbLb1EES1Q_IbLb0EEEEDaS1M_S1N_EUlS1M_E_NS1_11comp_targetILNS1_3genE3ELNS1_11target_archE908ELNS1_3gpuE7ELNS1_3repE0EEENS1_30default_config_static_selectorELNS0_4arch9wavefront6targetE0EEEvSZ_.numbered_sgpr, 0
	.set _ZN7rocprim17ROCPRIM_400000_NS6detail17trampoline_kernelINS0_13select_configILj256ELj13ELNS0_17block_load_methodE3ELS4_3ELS4_3ELNS0_20block_scan_algorithmE0ELj4294967295EEENS1_25partition_config_selectorILNS1_17partition_subalgoE4EjNS0_10empty_typeEbEEZZNS1_14partition_implILS8_4ELb0ES6_15HIP_vector_typeIjLj2EENS0_17counting_iteratorIjlEEPS9_SG_NS0_5tupleIJPjSI_NS0_16reverse_iteratorISI_EEEEENSH_IJSG_SG_SG_EEES9_SI_JZNS1_25segmented_radix_sort_implINS0_14default_configELb0EPKlPlSQ_SR_N2at6native12_GLOBAL__N_18offset_tEEE10hipError_tPvRmT1_PNSt15iterator_traitsISZ_E10value_typeET2_T3_PNS10_IS15_E10value_typeET4_jRbjT5_S1B_jjP12ihipStream_tbEUljE_ZNSN_ISO_Lb0ESQ_SR_SQ_SR_SV_EESW_SX_SY_SZ_S13_S14_S15_S18_S19_jS1A_jS1B_S1B_jjS1D_bEUljE0_EEESW_SX_SY_S15_S19_S1B_T6_T7_T9_mT8_S1D_bDpT10_ENKUlT_T0_E_clISt17integral_constantIbLb1EES1Q_IbLb0EEEEDaS1M_S1N_EUlS1M_E_NS1_11comp_targetILNS1_3genE3ELNS1_11target_archE908ELNS1_3gpuE7ELNS1_3repE0EEENS1_30default_config_static_selectorELNS0_4arch9wavefront6targetE0EEEvSZ_.num_named_barrier, 0
	.set _ZN7rocprim17ROCPRIM_400000_NS6detail17trampoline_kernelINS0_13select_configILj256ELj13ELNS0_17block_load_methodE3ELS4_3ELS4_3ELNS0_20block_scan_algorithmE0ELj4294967295EEENS1_25partition_config_selectorILNS1_17partition_subalgoE4EjNS0_10empty_typeEbEEZZNS1_14partition_implILS8_4ELb0ES6_15HIP_vector_typeIjLj2EENS0_17counting_iteratorIjlEEPS9_SG_NS0_5tupleIJPjSI_NS0_16reverse_iteratorISI_EEEEENSH_IJSG_SG_SG_EEES9_SI_JZNS1_25segmented_radix_sort_implINS0_14default_configELb0EPKlPlSQ_SR_N2at6native12_GLOBAL__N_18offset_tEEE10hipError_tPvRmT1_PNSt15iterator_traitsISZ_E10value_typeET2_T3_PNS10_IS15_E10value_typeET4_jRbjT5_S1B_jjP12ihipStream_tbEUljE_ZNSN_ISO_Lb0ESQ_SR_SQ_SR_SV_EESW_SX_SY_SZ_S13_S14_S15_S18_S19_jS1A_jS1B_S1B_jjS1D_bEUljE0_EEESW_SX_SY_S15_S19_S1B_T6_T7_T9_mT8_S1D_bDpT10_ENKUlT_T0_E_clISt17integral_constantIbLb1EES1Q_IbLb0EEEEDaS1M_S1N_EUlS1M_E_NS1_11comp_targetILNS1_3genE3ELNS1_11target_archE908ELNS1_3gpuE7ELNS1_3repE0EEENS1_30default_config_static_selectorELNS0_4arch9wavefront6targetE0EEEvSZ_.private_seg_size, 0
	.set _ZN7rocprim17ROCPRIM_400000_NS6detail17trampoline_kernelINS0_13select_configILj256ELj13ELNS0_17block_load_methodE3ELS4_3ELS4_3ELNS0_20block_scan_algorithmE0ELj4294967295EEENS1_25partition_config_selectorILNS1_17partition_subalgoE4EjNS0_10empty_typeEbEEZZNS1_14partition_implILS8_4ELb0ES6_15HIP_vector_typeIjLj2EENS0_17counting_iteratorIjlEEPS9_SG_NS0_5tupleIJPjSI_NS0_16reverse_iteratorISI_EEEEENSH_IJSG_SG_SG_EEES9_SI_JZNS1_25segmented_radix_sort_implINS0_14default_configELb0EPKlPlSQ_SR_N2at6native12_GLOBAL__N_18offset_tEEE10hipError_tPvRmT1_PNSt15iterator_traitsISZ_E10value_typeET2_T3_PNS10_IS15_E10value_typeET4_jRbjT5_S1B_jjP12ihipStream_tbEUljE_ZNSN_ISO_Lb0ESQ_SR_SQ_SR_SV_EESW_SX_SY_SZ_S13_S14_S15_S18_S19_jS1A_jS1B_S1B_jjS1D_bEUljE0_EEESW_SX_SY_S15_S19_S1B_T6_T7_T9_mT8_S1D_bDpT10_ENKUlT_T0_E_clISt17integral_constantIbLb1EES1Q_IbLb0EEEEDaS1M_S1N_EUlS1M_E_NS1_11comp_targetILNS1_3genE3ELNS1_11target_archE908ELNS1_3gpuE7ELNS1_3repE0EEENS1_30default_config_static_selectorELNS0_4arch9wavefront6targetE0EEEvSZ_.uses_vcc, 0
	.set _ZN7rocprim17ROCPRIM_400000_NS6detail17trampoline_kernelINS0_13select_configILj256ELj13ELNS0_17block_load_methodE3ELS4_3ELS4_3ELNS0_20block_scan_algorithmE0ELj4294967295EEENS1_25partition_config_selectorILNS1_17partition_subalgoE4EjNS0_10empty_typeEbEEZZNS1_14partition_implILS8_4ELb0ES6_15HIP_vector_typeIjLj2EENS0_17counting_iteratorIjlEEPS9_SG_NS0_5tupleIJPjSI_NS0_16reverse_iteratorISI_EEEEENSH_IJSG_SG_SG_EEES9_SI_JZNS1_25segmented_radix_sort_implINS0_14default_configELb0EPKlPlSQ_SR_N2at6native12_GLOBAL__N_18offset_tEEE10hipError_tPvRmT1_PNSt15iterator_traitsISZ_E10value_typeET2_T3_PNS10_IS15_E10value_typeET4_jRbjT5_S1B_jjP12ihipStream_tbEUljE_ZNSN_ISO_Lb0ESQ_SR_SQ_SR_SV_EESW_SX_SY_SZ_S13_S14_S15_S18_S19_jS1A_jS1B_S1B_jjS1D_bEUljE0_EEESW_SX_SY_S15_S19_S1B_T6_T7_T9_mT8_S1D_bDpT10_ENKUlT_T0_E_clISt17integral_constantIbLb1EES1Q_IbLb0EEEEDaS1M_S1N_EUlS1M_E_NS1_11comp_targetILNS1_3genE3ELNS1_11target_archE908ELNS1_3gpuE7ELNS1_3repE0EEENS1_30default_config_static_selectorELNS0_4arch9wavefront6targetE0EEEvSZ_.uses_flat_scratch, 0
	.set _ZN7rocprim17ROCPRIM_400000_NS6detail17trampoline_kernelINS0_13select_configILj256ELj13ELNS0_17block_load_methodE3ELS4_3ELS4_3ELNS0_20block_scan_algorithmE0ELj4294967295EEENS1_25partition_config_selectorILNS1_17partition_subalgoE4EjNS0_10empty_typeEbEEZZNS1_14partition_implILS8_4ELb0ES6_15HIP_vector_typeIjLj2EENS0_17counting_iteratorIjlEEPS9_SG_NS0_5tupleIJPjSI_NS0_16reverse_iteratorISI_EEEEENSH_IJSG_SG_SG_EEES9_SI_JZNS1_25segmented_radix_sort_implINS0_14default_configELb0EPKlPlSQ_SR_N2at6native12_GLOBAL__N_18offset_tEEE10hipError_tPvRmT1_PNSt15iterator_traitsISZ_E10value_typeET2_T3_PNS10_IS15_E10value_typeET4_jRbjT5_S1B_jjP12ihipStream_tbEUljE_ZNSN_ISO_Lb0ESQ_SR_SQ_SR_SV_EESW_SX_SY_SZ_S13_S14_S15_S18_S19_jS1A_jS1B_S1B_jjS1D_bEUljE0_EEESW_SX_SY_S15_S19_S1B_T6_T7_T9_mT8_S1D_bDpT10_ENKUlT_T0_E_clISt17integral_constantIbLb1EES1Q_IbLb0EEEEDaS1M_S1N_EUlS1M_E_NS1_11comp_targetILNS1_3genE3ELNS1_11target_archE908ELNS1_3gpuE7ELNS1_3repE0EEENS1_30default_config_static_selectorELNS0_4arch9wavefront6targetE0EEEvSZ_.has_dyn_sized_stack, 0
	.set _ZN7rocprim17ROCPRIM_400000_NS6detail17trampoline_kernelINS0_13select_configILj256ELj13ELNS0_17block_load_methodE3ELS4_3ELS4_3ELNS0_20block_scan_algorithmE0ELj4294967295EEENS1_25partition_config_selectorILNS1_17partition_subalgoE4EjNS0_10empty_typeEbEEZZNS1_14partition_implILS8_4ELb0ES6_15HIP_vector_typeIjLj2EENS0_17counting_iteratorIjlEEPS9_SG_NS0_5tupleIJPjSI_NS0_16reverse_iteratorISI_EEEEENSH_IJSG_SG_SG_EEES9_SI_JZNS1_25segmented_radix_sort_implINS0_14default_configELb0EPKlPlSQ_SR_N2at6native12_GLOBAL__N_18offset_tEEE10hipError_tPvRmT1_PNSt15iterator_traitsISZ_E10value_typeET2_T3_PNS10_IS15_E10value_typeET4_jRbjT5_S1B_jjP12ihipStream_tbEUljE_ZNSN_ISO_Lb0ESQ_SR_SQ_SR_SV_EESW_SX_SY_SZ_S13_S14_S15_S18_S19_jS1A_jS1B_S1B_jjS1D_bEUljE0_EEESW_SX_SY_S15_S19_S1B_T6_T7_T9_mT8_S1D_bDpT10_ENKUlT_T0_E_clISt17integral_constantIbLb1EES1Q_IbLb0EEEEDaS1M_S1N_EUlS1M_E_NS1_11comp_targetILNS1_3genE3ELNS1_11target_archE908ELNS1_3gpuE7ELNS1_3repE0EEENS1_30default_config_static_selectorELNS0_4arch9wavefront6targetE0EEEvSZ_.has_recursion, 0
	.set _ZN7rocprim17ROCPRIM_400000_NS6detail17trampoline_kernelINS0_13select_configILj256ELj13ELNS0_17block_load_methodE3ELS4_3ELS4_3ELNS0_20block_scan_algorithmE0ELj4294967295EEENS1_25partition_config_selectorILNS1_17partition_subalgoE4EjNS0_10empty_typeEbEEZZNS1_14partition_implILS8_4ELb0ES6_15HIP_vector_typeIjLj2EENS0_17counting_iteratorIjlEEPS9_SG_NS0_5tupleIJPjSI_NS0_16reverse_iteratorISI_EEEEENSH_IJSG_SG_SG_EEES9_SI_JZNS1_25segmented_radix_sort_implINS0_14default_configELb0EPKlPlSQ_SR_N2at6native12_GLOBAL__N_18offset_tEEE10hipError_tPvRmT1_PNSt15iterator_traitsISZ_E10value_typeET2_T3_PNS10_IS15_E10value_typeET4_jRbjT5_S1B_jjP12ihipStream_tbEUljE_ZNSN_ISO_Lb0ESQ_SR_SQ_SR_SV_EESW_SX_SY_SZ_S13_S14_S15_S18_S19_jS1A_jS1B_S1B_jjS1D_bEUljE0_EEESW_SX_SY_S15_S19_S1B_T6_T7_T9_mT8_S1D_bDpT10_ENKUlT_T0_E_clISt17integral_constantIbLb1EES1Q_IbLb0EEEEDaS1M_S1N_EUlS1M_E_NS1_11comp_targetILNS1_3genE3ELNS1_11target_archE908ELNS1_3gpuE7ELNS1_3repE0EEENS1_30default_config_static_selectorELNS0_4arch9wavefront6targetE0EEEvSZ_.has_indirect_call, 0
	.section	.AMDGPU.csdata,"",@progbits
; Kernel info:
; codeLenInByte = 0
; TotalNumSgprs: 0
; NumVgprs: 0
; ScratchSize: 0
; MemoryBound: 0
; FloatMode: 240
; IeeeMode: 1
; LDSByteSize: 0 bytes/workgroup (compile time only)
; SGPRBlocks: 0
; VGPRBlocks: 0
; NumSGPRsForWavesPerEU: 1
; NumVGPRsForWavesPerEU: 1
; Occupancy: 16
; WaveLimiterHint : 0
; COMPUTE_PGM_RSRC2:SCRATCH_EN: 0
; COMPUTE_PGM_RSRC2:USER_SGPR: 2
; COMPUTE_PGM_RSRC2:TRAP_HANDLER: 0
; COMPUTE_PGM_RSRC2:TGID_X_EN: 1
; COMPUTE_PGM_RSRC2:TGID_Y_EN: 0
; COMPUTE_PGM_RSRC2:TGID_Z_EN: 0
; COMPUTE_PGM_RSRC2:TIDIG_COMP_CNT: 0
	.section	.text._ZN7rocprim17ROCPRIM_400000_NS6detail17trampoline_kernelINS0_13select_configILj256ELj13ELNS0_17block_load_methodE3ELS4_3ELS4_3ELNS0_20block_scan_algorithmE0ELj4294967295EEENS1_25partition_config_selectorILNS1_17partition_subalgoE4EjNS0_10empty_typeEbEEZZNS1_14partition_implILS8_4ELb0ES6_15HIP_vector_typeIjLj2EENS0_17counting_iteratorIjlEEPS9_SG_NS0_5tupleIJPjSI_NS0_16reverse_iteratorISI_EEEEENSH_IJSG_SG_SG_EEES9_SI_JZNS1_25segmented_radix_sort_implINS0_14default_configELb0EPKlPlSQ_SR_N2at6native12_GLOBAL__N_18offset_tEEE10hipError_tPvRmT1_PNSt15iterator_traitsISZ_E10value_typeET2_T3_PNS10_IS15_E10value_typeET4_jRbjT5_S1B_jjP12ihipStream_tbEUljE_ZNSN_ISO_Lb0ESQ_SR_SQ_SR_SV_EESW_SX_SY_SZ_S13_S14_S15_S18_S19_jS1A_jS1B_S1B_jjS1D_bEUljE0_EEESW_SX_SY_S15_S19_S1B_T6_T7_T9_mT8_S1D_bDpT10_ENKUlT_T0_E_clISt17integral_constantIbLb1EES1Q_IbLb0EEEEDaS1M_S1N_EUlS1M_E_NS1_11comp_targetILNS1_3genE2ELNS1_11target_archE906ELNS1_3gpuE6ELNS1_3repE0EEENS1_30default_config_static_selectorELNS0_4arch9wavefront6targetE0EEEvSZ_,"axG",@progbits,_ZN7rocprim17ROCPRIM_400000_NS6detail17trampoline_kernelINS0_13select_configILj256ELj13ELNS0_17block_load_methodE3ELS4_3ELS4_3ELNS0_20block_scan_algorithmE0ELj4294967295EEENS1_25partition_config_selectorILNS1_17partition_subalgoE4EjNS0_10empty_typeEbEEZZNS1_14partition_implILS8_4ELb0ES6_15HIP_vector_typeIjLj2EENS0_17counting_iteratorIjlEEPS9_SG_NS0_5tupleIJPjSI_NS0_16reverse_iteratorISI_EEEEENSH_IJSG_SG_SG_EEES9_SI_JZNS1_25segmented_radix_sort_implINS0_14default_configELb0EPKlPlSQ_SR_N2at6native12_GLOBAL__N_18offset_tEEE10hipError_tPvRmT1_PNSt15iterator_traitsISZ_E10value_typeET2_T3_PNS10_IS15_E10value_typeET4_jRbjT5_S1B_jjP12ihipStream_tbEUljE_ZNSN_ISO_Lb0ESQ_SR_SQ_SR_SV_EESW_SX_SY_SZ_S13_S14_S15_S18_S19_jS1A_jS1B_S1B_jjS1D_bEUljE0_EEESW_SX_SY_S15_S19_S1B_T6_T7_T9_mT8_S1D_bDpT10_ENKUlT_T0_E_clISt17integral_constantIbLb1EES1Q_IbLb0EEEEDaS1M_S1N_EUlS1M_E_NS1_11comp_targetILNS1_3genE2ELNS1_11target_archE906ELNS1_3gpuE6ELNS1_3repE0EEENS1_30default_config_static_selectorELNS0_4arch9wavefront6targetE0EEEvSZ_,comdat
	.globl	_ZN7rocprim17ROCPRIM_400000_NS6detail17trampoline_kernelINS0_13select_configILj256ELj13ELNS0_17block_load_methodE3ELS4_3ELS4_3ELNS0_20block_scan_algorithmE0ELj4294967295EEENS1_25partition_config_selectorILNS1_17partition_subalgoE4EjNS0_10empty_typeEbEEZZNS1_14partition_implILS8_4ELb0ES6_15HIP_vector_typeIjLj2EENS0_17counting_iteratorIjlEEPS9_SG_NS0_5tupleIJPjSI_NS0_16reverse_iteratorISI_EEEEENSH_IJSG_SG_SG_EEES9_SI_JZNS1_25segmented_radix_sort_implINS0_14default_configELb0EPKlPlSQ_SR_N2at6native12_GLOBAL__N_18offset_tEEE10hipError_tPvRmT1_PNSt15iterator_traitsISZ_E10value_typeET2_T3_PNS10_IS15_E10value_typeET4_jRbjT5_S1B_jjP12ihipStream_tbEUljE_ZNSN_ISO_Lb0ESQ_SR_SQ_SR_SV_EESW_SX_SY_SZ_S13_S14_S15_S18_S19_jS1A_jS1B_S1B_jjS1D_bEUljE0_EEESW_SX_SY_S15_S19_S1B_T6_T7_T9_mT8_S1D_bDpT10_ENKUlT_T0_E_clISt17integral_constantIbLb1EES1Q_IbLb0EEEEDaS1M_S1N_EUlS1M_E_NS1_11comp_targetILNS1_3genE2ELNS1_11target_archE906ELNS1_3gpuE6ELNS1_3repE0EEENS1_30default_config_static_selectorELNS0_4arch9wavefront6targetE0EEEvSZ_ ; -- Begin function _ZN7rocprim17ROCPRIM_400000_NS6detail17trampoline_kernelINS0_13select_configILj256ELj13ELNS0_17block_load_methodE3ELS4_3ELS4_3ELNS0_20block_scan_algorithmE0ELj4294967295EEENS1_25partition_config_selectorILNS1_17partition_subalgoE4EjNS0_10empty_typeEbEEZZNS1_14partition_implILS8_4ELb0ES6_15HIP_vector_typeIjLj2EENS0_17counting_iteratorIjlEEPS9_SG_NS0_5tupleIJPjSI_NS0_16reverse_iteratorISI_EEEEENSH_IJSG_SG_SG_EEES9_SI_JZNS1_25segmented_radix_sort_implINS0_14default_configELb0EPKlPlSQ_SR_N2at6native12_GLOBAL__N_18offset_tEEE10hipError_tPvRmT1_PNSt15iterator_traitsISZ_E10value_typeET2_T3_PNS10_IS15_E10value_typeET4_jRbjT5_S1B_jjP12ihipStream_tbEUljE_ZNSN_ISO_Lb0ESQ_SR_SQ_SR_SV_EESW_SX_SY_SZ_S13_S14_S15_S18_S19_jS1A_jS1B_S1B_jjS1D_bEUljE0_EEESW_SX_SY_S15_S19_S1B_T6_T7_T9_mT8_S1D_bDpT10_ENKUlT_T0_E_clISt17integral_constantIbLb1EES1Q_IbLb0EEEEDaS1M_S1N_EUlS1M_E_NS1_11comp_targetILNS1_3genE2ELNS1_11target_archE906ELNS1_3gpuE6ELNS1_3repE0EEENS1_30default_config_static_selectorELNS0_4arch9wavefront6targetE0EEEvSZ_
	.p2align	8
	.type	_ZN7rocprim17ROCPRIM_400000_NS6detail17trampoline_kernelINS0_13select_configILj256ELj13ELNS0_17block_load_methodE3ELS4_3ELS4_3ELNS0_20block_scan_algorithmE0ELj4294967295EEENS1_25partition_config_selectorILNS1_17partition_subalgoE4EjNS0_10empty_typeEbEEZZNS1_14partition_implILS8_4ELb0ES6_15HIP_vector_typeIjLj2EENS0_17counting_iteratorIjlEEPS9_SG_NS0_5tupleIJPjSI_NS0_16reverse_iteratorISI_EEEEENSH_IJSG_SG_SG_EEES9_SI_JZNS1_25segmented_radix_sort_implINS0_14default_configELb0EPKlPlSQ_SR_N2at6native12_GLOBAL__N_18offset_tEEE10hipError_tPvRmT1_PNSt15iterator_traitsISZ_E10value_typeET2_T3_PNS10_IS15_E10value_typeET4_jRbjT5_S1B_jjP12ihipStream_tbEUljE_ZNSN_ISO_Lb0ESQ_SR_SQ_SR_SV_EESW_SX_SY_SZ_S13_S14_S15_S18_S19_jS1A_jS1B_S1B_jjS1D_bEUljE0_EEESW_SX_SY_S15_S19_S1B_T6_T7_T9_mT8_S1D_bDpT10_ENKUlT_T0_E_clISt17integral_constantIbLb1EES1Q_IbLb0EEEEDaS1M_S1N_EUlS1M_E_NS1_11comp_targetILNS1_3genE2ELNS1_11target_archE906ELNS1_3gpuE6ELNS1_3repE0EEENS1_30default_config_static_selectorELNS0_4arch9wavefront6targetE0EEEvSZ_,@function
_ZN7rocprim17ROCPRIM_400000_NS6detail17trampoline_kernelINS0_13select_configILj256ELj13ELNS0_17block_load_methodE3ELS4_3ELS4_3ELNS0_20block_scan_algorithmE0ELj4294967295EEENS1_25partition_config_selectorILNS1_17partition_subalgoE4EjNS0_10empty_typeEbEEZZNS1_14partition_implILS8_4ELb0ES6_15HIP_vector_typeIjLj2EENS0_17counting_iteratorIjlEEPS9_SG_NS0_5tupleIJPjSI_NS0_16reverse_iteratorISI_EEEEENSH_IJSG_SG_SG_EEES9_SI_JZNS1_25segmented_radix_sort_implINS0_14default_configELb0EPKlPlSQ_SR_N2at6native12_GLOBAL__N_18offset_tEEE10hipError_tPvRmT1_PNSt15iterator_traitsISZ_E10value_typeET2_T3_PNS10_IS15_E10value_typeET4_jRbjT5_S1B_jjP12ihipStream_tbEUljE_ZNSN_ISO_Lb0ESQ_SR_SQ_SR_SV_EESW_SX_SY_SZ_S13_S14_S15_S18_S19_jS1A_jS1B_S1B_jjS1D_bEUljE0_EEESW_SX_SY_S15_S19_S1B_T6_T7_T9_mT8_S1D_bDpT10_ENKUlT_T0_E_clISt17integral_constantIbLb1EES1Q_IbLb0EEEEDaS1M_S1N_EUlS1M_E_NS1_11comp_targetILNS1_3genE2ELNS1_11target_archE906ELNS1_3gpuE6ELNS1_3repE0EEENS1_30default_config_static_selectorELNS0_4arch9wavefront6targetE0EEEvSZ_: ; @_ZN7rocprim17ROCPRIM_400000_NS6detail17trampoline_kernelINS0_13select_configILj256ELj13ELNS0_17block_load_methodE3ELS4_3ELS4_3ELNS0_20block_scan_algorithmE0ELj4294967295EEENS1_25partition_config_selectorILNS1_17partition_subalgoE4EjNS0_10empty_typeEbEEZZNS1_14partition_implILS8_4ELb0ES6_15HIP_vector_typeIjLj2EENS0_17counting_iteratorIjlEEPS9_SG_NS0_5tupleIJPjSI_NS0_16reverse_iteratorISI_EEEEENSH_IJSG_SG_SG_EEES9_SI_JZNS1_25segmented_radix_sort_implINS0_14default_configELb0EPKlPlSQ_SR_N2at6native12_GLOBAL__N_18offset_tEEE10hipError_tPvRmT1_PNSt15iterator_traitsISZ_E10value_typeET2_T3_PNS10_IS15_E10value_typeET4_jRbjT5_S1B_jjP12ihipStream_tbEUljE_ZNSN_ISO_Lb0ESQ_SR_SQ_SR_SV_EESW_SX_SY_SZ_S13_S14_S15_S18_S19_jS1A_jS1B_S1B_jjS1D_bEUljE0_EEESW_SX_SY_S15_S19_S1B_T6_T7_T9_mT8_S1D_bDpT10_ENKUlT_T0_E_clISt17integral_constantIbLb1EES1Q_IbLb0EEEEDaS1M_S1N_EUlS1M_E_NS1_11comp_targetILNS1_3genE2ELNS1_11target_archE906ELNS1_3gpuE6ELNS1_3repE0EEENS1_30default_config_static_selectorELNS0_4arch9wavefront6targetE0EEEvSZ_
; %bb.0:
	.section	.rodata,"a",@progbits
	.p2align	6, 0x0
	.amdhsa_kernel _ZN7rocprim17ROCPRIM_400000_NS6detail17trampoline_kernelINS0_13select_configILj256ELj13ELNS0_17block_load_methodE3ELS4_3ELS4_3ELNS0_20block_scan_algorithmE0ELj4294967295EEENS1_25partition_config_selectorILNS1_17partition_subalgoE4EjNS0_10empty_typeEbEEZZNS1_14partition_implILS8_4ELb0ES6_15HIP_vector_typeIjLj2EENS0_17counting_iteratorIjlEEPS9_SG_NS0_5tupleIJPjSI_NS0_16reverse_iteratorISI_EEEEENSH_IJSG_SG_SG_EEES9_SI_JZNS1_25segmented_radix_sort_implINS0_14default_configELb0EPKlPlSQ_SR_N2at6native12_GLOBAL__N_18offset_tEEE10hipError_tPvRmT1_PNSt15iterator_traitsISZ_E10value_typeET2_T3_PNS10_IS15_E10value_typeET4_jRbjT5_S1B_jjP12ihipStream_tbEUljE_ZNSN_ISO_Lb0ESQ_SR_SQ_SR_SV_EESW_SX_SY_SZ_S13_S14_S15_S18_S19_jS1A_jS1B_S1B_jjS1D_bEUljE0_EEESW_SX_SY_S15_S19_S1B_T6_T7_T9_mT8_S1D_bDpT10_ENKUlT_T0_E_clISt17integral_constantIbLb1EES1Q_IbLb0EEEEDaS1M_S1N_EUlS1M_E_NS1_11comp_targetILNS1_3genE2ELNS1_11target_archE906ELNS1_3gpuE6ELNS1_3repE0EEENS1_30default_config_static_selectorELNS0_4arch9wavefront6targetE0EEEvSZ_
		.amdhsa_group_segment_fixed_size 0
		.amdhsa_private_segment_fixed_size 0
		.amdhsa_kernarg_size 176
		.amdhsa_user_sgpr_count 2
		.amdhsa_user_sgpr_dispatch_ptr 0
		.amdhsa_user_sgpr_queue_ptr 0
		.amdhsa_user_sgpr_kernarg_segment_ptr 1
		.amdhsa_user_sgpr_dispatch_id 0
		.amdhsa_user_sgpr_private_segment_size 0
		.amdhsa_wavefront_size32 1
		.amdhsa_uses_dynamic_stack 0
		.amdhsa_enable_private_segment 0
		.amdhsa_system_sgpr_workgroup_id_x 1
		.amdhsa_system_sgpr_workgroup_id_y 0
		.amdhsa_system_sgpr_workgroup_id_z 0
		.amdhsa_system_sgpr_workgroup_info 0
		.amdhsa_system_vgpr_workitem_id 0
		.amdhsa_next_free_vgpr 1
		.amdhsa_next_free_sgpr 1
		.amdhsa_reserve_vcc 0
		.amdhsa_float_round_mode_32 0
		.amdhsa_float_round_mode_16_64 0
		.amdhsa_float_denorm_mode_32 3
		.amdhsa_float_denorm_mode_16_64 3
		.amdhsa_fp16_overflow 0
		.amdhsa_workgroup_processor_mode 1
		.amdhsa_memory_ordered 1
		.amdhsa_forward_progress 1
		.amdhsa_inst_pref_size 0
		.amdhsa_round_robin_scheduling 0
		.amdhsa_exception_fp_ieee_invalid_op 0
		.amdhsa_exception_fp_denorm_src 0
		.amdhsa_exception_fp_ieee_div_zero 0
		.amdhsa_exception_fp_ieee_overflow 0
		.amdhsa_exception_fp_ieee_underflow 0
		.amdhsa_exception_fp_ieee_inexact 0
		.amdhsa_exception_int_div_zero 0
	.end_amdhsa_kernel
	.section	.text._ZN7rocprim17ROCPRIM_400000_NS6detail17trampoline_kernelINS0_13select_configILj256ELj13ELNS0_17block_load_methodE3ELS4_3ELS4_3ELNS0_20block_scan_algorithmE0ELj4294967295EEENS1_25partition_config_selectorILNS1_17partition_subalgoE4EjNS0_10empty_typeEbEEZZNS1_14partition_implILS8_4ELb0ES6_15HIP_vector_typeIjLj2EENS0_17counting_iteratorIjlEEPS9_SG_NS0_5tupleIJPjSI_NS0_16reverse_iteratorISI_EEEEENSH_IJSG_SG_SG_EEES9_SI_JZNS1_25segmented_radix_sort_implINS0_14default_configELb0EPKlPlSQ_SR_N2at6native12_GLOBAL__N_18offset_tEEE10hipError_tPvRmT1_PNSt15iterator_traitsISZ_E10value_typeET2_T3_PNS10_IS15_E10value_typeET4_jRbjT5_S1B_jjP12ihipStream_tbEUljE_ZNSN_ISO_Lb0ESQ_SR_SQ_SR_SV_EESW_SX_SY_SZ_S13_S14_S15_S18_S19_jS1A_jS1B_S1B_jjS1D_bEUljE0_EEESW_SX_SY_S15_S19_S1B_T6_T7_T9_mT8_S1D_bDpT10_ENKUlT_T0_E_clISt17integral_constantIbLb1EES1Q_IbLb0EEEEDaS1M_S1N_EUlS1M_E_NS1_11comp_targetILNS1_3genE2ELNS1_11target_archE906ELNS1_3gpuE6ELNS1_3repE0EEENS1_30default_config_static_selectorELNS0_4arch9wavefront6targetE0EEEvSZ_,"axG",@progbits,_ZN7rocprim17ROCPRIM_400000_NS6detail17trampoline_kernelINS0_13select_configILj256ELj13ELNS0_17block_load_methodE3ELS4_3ELS4_3ELNS0_20block_scan_algorithmE0ELj4294967295EEENS1_25partition_config_selectorILNS1_17partition_subalgoE4EjNS0_10empty_typeEbEEZZNS1_14partition_implILS8_4ELb0ES6_15HIP_vector_typeIjLj2EENS0_17counting_iteratorIjlEEPS9_SG_NS0_5tupleIJPjSI_NS0_16reverse_iteratorISI_EEEEENSH_IJSG_SG_SG_EEES9_SI_JZNS1_25segmented_radix_sort_implINS0_14default_configELb0EPKlPlSQ_SR_N2at6native12_GLOBAL__N_18offset_tEEE10hipError_tPvRmT1_PNSt15iterator_traitsISZ_E10value_typeET2_T3_PNS10_IS15_E10value_typeET4_jRbjT5_S1B_jjP12ihipStream_tbEUljE_ZNSN_ISO_Lb0ESQ_SR_SQ_SR_SV_EESW_SX_SY_SZ_S13_S14_S15_S18_S19_jS1A_jS1B_S1B_jjS1D_bEUljE0_EEESW_SX_SY_S15_S19_S1B_T6_T7_T9_mT8_S1D_bDpT10_ENKUlT_T0_E_clISt17integral_constantIbLb1EES1Q_IbLb0EEEEDaS1M_S1N_EUlS1M_E_NS1_11comp_targetILNS1_3genE2ELNS1_11target_archE906ELNS1_3gpuE6ELNS1_3repE0EEENS1_30default_config_static_selectorELNS0_4arch9wavefront6targetE0EEEvSZ_,comdat
.Lfunc_end763:
	.size	_ZN7rocprim17ROCPRIM_400000_NS6detail17trampoline_kernelINS0_13select_configILj256ELj13ELNS0_17block_load_methodE3ELS4_3ELS4_3ELNS0_20block_scan_algorithmE0ELj4294967295EEENS1_25partition_config_selectorILNS1_17partition_subalgoE4EjNS0_10empty_typeEbEEZZNS1_14partition_implILS8_4ELb0ES6_15HIP_vector_typeIjLj2EENS0_17counting_iteratorIjlEEPS9_SG_NS0_5tupleIJPjSI_NS0_16reverse_iteratorISI_EEEEENSH_IJSG_SG_SG_EEES9_SI_JZNS1_25segmented_radix_sort_implINS0_14default_configELb0EPKlPlSQ_SR_N2at6native12_GLOBAL__N_18offset_tEEE10hipError_tPvRmT1_PNSt15iterator_traitsISZ_E10value_typeET2_T3_PNS10_IS15_E10value_typeET4_jRbjT5_S1B_jjP12ihipStream_tbEUljE_ZNSN_ISO_Lb0ESQ_SR_SQ_SR_SV_EESW_SX_SY_SZ_S13_S14_S15_S18_S19_jS1A_jS1B_S1B_jjS1D_bEUljE0_EEESW_SX_SY_S15_S19_S1B_T6_T7_T9_mT8_S1D_bDpT10_ENKUlT_T0_E_clISt17integral_constantIbLb1EES1Q_IbLb0EEEEDaS1M_S1N_EUlS1M_E_NS1_11comp_targetILNS1_3genE2ELNS1_11target_archE906ELNS1_3gpuE6ELNS1_3repE0EEENS1_30default_config_static_selectorELNS0_4arch9wavefront6targetE0EEEvSZ_, .Lfunc_end763-_ZN7rocprim17ROCPRIM_400000_NS6detail17trampoline_kernelINS0_13select_configILj256ELj13ELNS0_17block_load_methodE3ELS4_3ELS4_3ELNS0_20block_scan_algorithmE0ELj4294967295EEENS1_25partition_config_selectorILNS1_17partition_subalgoE4EjNS0_10empty_typeEbEEZZNS1_14partition_implILS8_4ELb0ES6_15HIP_vector_typeIjLj2EENS0_17counting_iteratorIjlEEPS9_SG_NS0_5tupleIJPjSI_NS0_16reverse_iteratorISI_EEEEENSH_IJSG_SG_SG_EEES9_SI_JZNS1_25segmented_radix_sort_implINS0_14default_configELb0EPKlPlSQ_SR_N2at6native12_GLOBAL__N_18offset_tEEE10hipError_tPvRmT1_PNSt15iterator_traitsISZ_E10value_typeET2_T3_PNS10_IS15_E10value_typeET4_jRbjT5_S1B_jjP12ihipStream_tbEUljE_ZNSN_ISO_Lb0ESQ_SR_SQ_SR_SV_EESW_SX_SY_SZ_S13_S14_S15_S18_S19_jS1A_jS1B_S1B_jjS1D_bEUljE0_EEESW_SX_SY_S15_S19_S1B_T6_T7_T9_mT8_S1D_bDpT10_ENKUlT_T0_E_clISt17integral_constantIbLb1EES1Q_IbLb0EEEEDaS1M_S1N_EUlS1M_E_NS1_11comp_targetILNS1_3genE2ELNS1_11target_archE906ELNS1_3gpuE6ELNS1_3repE0EEENS1_30default_config_static_selectorELNS0_4arch9wavefront6targetE0EEEvSZ_
                                        ; -- End function
	.set _ZN7rocprim17ROCPRIM_400000_NS6detail17trampoline_kernelINS0_13select_configILj256ELj13ELNS0_17block_load_methodE3ELS4_3ELS4_3ELNS0_20block_scan_algorithmE0ELj4294967295EEENS1_25partition_config_selectorILNS1_17partition_subalgoE4EjNS0_10empty_typeEbEEZZNS1_14partition_implILS8_4ELb0ES6_15HIP_vector_typeIjLj2EENS0_17counting_iteratorIjlEEPS9_SG_NS0_5tupleIJPjSI_NS0_16reverse_iteratorISI_EEEEENSH_IJSG_SG_SG_EEES9_SI_JZNS1_25segmented_radix_sort_implINS0_14default_configELb0EPKlPlSQ_SR_N2at6native12_GLOBAL__N_18offset_tEEE10hipError_tPvRmT1_PNSt15iterator_traitsISZ_E10value_typeET2_T3_PNS10_IS15_E10value_typeET4_jRbjT5_S1B_jjP12ihipStream_tbEUljE_ZNSN_ISO_Lb0ESQ_SR_SQ_SR_SV_EESW_SX_SY_SZ_S13_S14_S15_S18_S19_jS1A_jS1B_S1B_jjS1D_bEUljE0_EEESW_SX_SY_S15_S19_S1B_T6_T7_T9_mT8_S1D_bDpT10_ENKUlT_T0_E_clISt17integral_constantIbLb1EES1Q_IbLb0EEEEDaS1M_S1N_EUlS1M_E_NS1_11comp_targetILNS1_3genE2ELNS1_11target_archE906ELNS1_3gpuE6ELNS1_3repE0EEENS1_30default_config_static_selectorELNS0_4arch9wavefront6targetE0EEEvSZ_.num_vgpr, 0
	.set _ZN7rocprim17ROCPRIM_400000_NS6detail17trampoline_kernelINS0_13select_configILj256ELj13ELNS0_17block_load_methodE3ELS4_3ELS4_3ELNS0_20block_scan_algorithmE0ELj4294967295EEENS1_25partition_config_selectorILNS1_17partition_subalgoE4EjNS0_10empty_typeEbEEZZNS1_14partition_implILS8_4ELb0ES6_15HIP_vector_typeIjLj2EENS0_17counting_iteratorIjlEEPS9_SG_NS0_5tupleIJPjSI_NS0_16reverse_iteratorISI_EEEEENSH_IJSG_SG_SG_EEES9_SI_JZNS1_25segmented_radix_sort_implINS0_14default_configELb0EPKlPlSQ_SR_N2at6native12_GLOBAL__N_18offset_tEEE10hipError_tPvRmT1_PNSt15iterator_traitsISZ_E10value_typeET2_T3_PNS10_IS15_E10value_typeET4_jRbjT5_S1B_jjP12ihipStream_tbEUljE_ZNSN_ISO_Lb0ESQ_SR_SQ_SR_SV_EESW_SX_SY_SZ_S13_S14_S15_S18_S19_jS1A_jS1B_S1B_jjS1D_bEUljE0_EEESW_SX_SY_S15_S19_S1B_T6_T7_T9_mT8_S1D_bDpT10_ENKUlT_T0_E_clISt17integral_constantIbLb1EES1Q_IbLb0EEEEDaS1M_S1N_EUlS1M_E_NS1_11comp_targetILNS1_3genE2ELNS1_11target_archE906ELNS1_3gpuE6ELNS1_3repE0EEENS1_30default_config_static_selectorELNS0_4arch9wavefront6targetE0EEEvSZ_.num_agpr, 0
	.set _ZN7rocprim17ROCPRIM_400000_NS6detail17trampoline_kernelINS0_13select_configILj256ELj13ELNS0_17block_load_methodE3ELS4_3ELS4_3ELNS0_20block_scan_algorithmE0ELj4294967295EEENS1_25partition_config_selectorILNS1_17partition_subalgoE4EjNS0_10empty_typeEbEEZZNS1_14partition_implILS8_4ELb0ES6_15HIP_vector_typeIjLj2EENS0_17counting_iteratorIjlEEPS9_SG_NS0_5tupleIJPjSI_NS0_16reverse_iteratorISI_EEEEENSH_IJSG_SG_SG_EEES9_SI_JZNS1_25segmented_radix_sort_implINS0_14default_configELb0EPKlPlSQ_SR_N2at6native12_GLOBAL__N_18offset_tEEE10hipError_tPvRmT1_PNSt15iterator_traitsISZ_E10value_typeET2_T3_PNS10_IS15_E10value_typeET4_jRbjT5_S1B_jjP12ihipStream_tbEUljE_ZNSN_ISO_Lb0ESQ_SR_SQ_SR_SV_EESW_SX_SY_SZ_S13_S14_S15_S18_S19_jS1A_jS1B_S1B_jjS1D_bEUljE0_EEESW_SX_SY_S15_S19_S1B_T6_T7_T9_mT8_S1D_bDpT10_ENKUlT_T0_E_clISt17integral_constantIbLb1EES1Q_IbLb0EEEEDaS1M_S1N_EUlS1M_E_NS1_11comp_targetILNS1_3genE2ELNS1_11target_archE906ELNS1_3gpuE6ELNS1_3repE0EEENS1_30default_config_static_selectorELNS0_4arch9wavefront6targetE0EEEvSZ_.numbered_sgpr, 0
	.set _ZN7rocprim17ROCPRIM_400000_NS6detail17trampoline_kernelINS0_13select_configILj256ELj13ELNS0_17block_load_methodE3ELS4_3ELS4_3ELNS0_20block_scan_algorithmE0ELj4294967295EEENS1_25partition_config_selectorILNS1_17partition_subalgoE4EjNS0_10empty_typeEbEEZZNS1_14partition_implILS8_4ELb0ES6_15HIP_vector_typeIjLj2EENS0_17counting_iteratorIjlEEPS9_SG_NS0_5tupleIJPjSI_NS0_16reverse_iteratorISI_EEEEENSH_IJSG_SG_SG_EEES9_SI_JZNS1_25segmented_radix_sort_implINS0_14default_configELb0EPKlPlSQ_SR_N2at6native12_GLOBAL__N_18offset_tEEE10hipError_tPvRmT1_PNSt15iterator_traitsISZ_E10value_typeET2_T3_PNS10_IS15_E10value_typeET4_jRbjT5_S1B_jjP12ihipStream_tbEUljE_ZNSN_ISO_Lb0ESQ_SR_SQ_SR_SV_EESW_SX_SY_SZ_S13_S14_S15_S18_S19_jS1A_jS1B_S1B_jjS1D_bEUljE0_EEESW_SX_SY_S15_S19_S1B_T6_T7_T9_mT8_S1D_bDpT10_ENKUlT_T0_E_clISt17integral_constantIbLb1EES1Q_IbLb0EEEEDaS1M_S1N_EUlS1M_E_NS1_11comp_targetILNS1_3genE2ELNS1_11target_archE906ELNS1_3gpuE6ELNS1_3repE0EEENS1_30default_config_static_selectorELNS0_4arch9wavefront6targetE0EEEvSZ_.num_named_barrier, 0
	.set _ZN7rocprim17ROCPRIM_400000_NS6detail17trampoline_kernelINS0_13select_configILj256ELj13ELNS0_17block_load_methodE3ELS4_3ELS4_3ELNS0_20block_scan_algorithmE0ELj4294967295EEENS1_25partition_config_selectorILNS1_17partition_subalgoE4EjNS0_10empty_typeEbEEZZNS1_14partition_implILS8_4ELb0ES6_15HIP_vector_typeIjLj2EENS0_17counting_iteratorIjlEEPS9_SG_NS0_5tupleIJPjSI_NS0_16reverse_iteratorISI_EEEEENSH_IJSG_SG_SG_EEES9_SI_JZNS1_25segmented_radix_sort_implINS0_14default_configELb0EPKlPlSQ_SR_N2at6native12_GLOBAL__N_18offset_tEEE10hipError_tPvRmT1_PNSt15iterator_traitsISZ_E10value_typeET2_T3_PNS10_IS15_E10value_typeET4_jRbjT5_S1B_jjP12ihipStream_tbEUljE_ZNSN_ISO_Lb0ESQ_SR_SQ_SR_SV_EESW_SX_SY_SZ_S13_S14_S15_S18_S19_jS1A_jS1B_S1B_jjS1D_bEUljE0_EEESW_SX_SY_S15_S19_S1B_T6_T7_T9_mT8_S1D_bDpT10_ENKUlT_T0_E_clISt17integral_constantIbLb1EES1Q_IbLb0EEEEDaS1M_S1N_EUlS1M_E_NS1_11comp_targetILNS1_3genE2ELNS1_11target_archE906ELNS1_3gpuE6ELNS1_3repE0EEENS1_30default_config_static_selectorELNS0_4arch9wavefront6targetE0EEEvSZ_.private_seg_size, 0
	.set _ZN7rocprim17ROCPRIM_400000_NS6detail17trampoline_kernelINS0_13select_configILj256ELj13ELNS0_17block_load_methodE3ELS4_3ELS4_3ELNS0_20block_scan_algorithmE0ELj4294967295EEENS1_25partition_config_selectorILNS1_17partition_subalgoE4EjNS0_10empty_typeEbEEZZNS1_14partition_implILS8_4ELb0ES6_15HIP_vector_typeIjLj2EENS0_17counting_iteratorIjlEEPS9_SG_NS0_5tupleIJPjSI_NS0_16reverse_iteratorISI_EEEEENSH_IJSG_SG_SG_EEES9_SI_JZNS1_25segmented_radix_sort_implINS0_14default_configELb0EPKlPlSQ_SR_N2at6native12_GLOBAL__N_18offset_tEEE10hipError_tPvRmT1_PNSt15iterator_traitsISZ_E10value_typeET2_T3_PNS10_IS15_E10value_typeET4_jRbjT5_S1B_jjP12ihipStream_tbEUljE_ZNSN_ISO_Lb0ESQ_SR_SQ_SR_SV_EESW_SX_SY_SZ_S13_S14_S15_S18_S19_jS1A_jS1B_S1B_jjS1D_bEUljE0_EEESW_SX_SY_S15_S19_S1B_T6_T7_T9_mT8_S1D_bDpT10_ENKUlT_T0_E_clISt17integral_constantIbLb1EES1Q_IbLb0EEEEDaS1M_S1N_EUlS1M_E_NS1_11comp_targetILNS1_3genE2ELNS1_11target_archE906ELNS1_3gpuE6ELNS1_3repE0EEENS1_30default_config_static_selectorELNS0_4arch9wavefront6targetE0EEEvSZ_.uses_vcc, 0
	.set _ZN7rocprim17ROCPRIM_400000_NS6detail17trampoline_kernelINS0_13select_configILj256ELj13ELNS0_17block_load_methodE3ELS4_3ELS4_3ELNS0_20block_scan_algorithmE0ELj4294967295EEENS1_25partition_config_selectorILNS1_17partition_subalgoE4EjNS0_10empty_typeEbEEZZNS1_14partition_implILS8_4ELb0ES6_15HIP_vector_typeIjLj2EENS0_17counting_iteratorIjlEEPS9_SG_NS0_5tupleIJPjSI_NS0_16reverse_iteratorISI_EEEEENSH_IJSG_SG_SG_EEES9_SI_JZNS1_25segmented_radix_sort_implINS0_14default_configELb0EPKlPlSQ_SR_N2at6native12_GLOBAL__N_18offset_tEEE10hipError_tPvRmT1_PNSt15iterator_traitsISZ_E10value_typeET2_T3_PNS10_IS15_E10value_typeET4_jRbjT5_S1B_jjP12ihipStream_tbEUljE_ZNSN_ISO_Lb0ESQ_SR_SQ_SR_SV_EESW_SX_SY_SZ_S13_S14_S15_S18_S19_jS1A_jS1B_S1B_jjS1D_bEUljE0_EEESW_SX_SY_S15_S19_S1B_T6_T7_T9_mT8_S1D_bDpT10_ENKUlT_T0_E_clISt17integral_constantIbLb1EES1Q_IbLb0EEEEDaS1M_S1N_EUlS1M_E_NS1_11comp_targetILNS1_3genE2ELNS1_11target_archE906ELNS1_3gpuE6ELNS1_3repE0EEENS1_30default_config_static_selectorELNS0_4arch9wavefront6targetE0EEEvSZ_.uses_flat_scratch, 0
	.set _ZN7rocprim17ROCPRIM_400000_NS6detail17trampoline_kernelINS0_13select_configILj256ELj13ELNS0_17block_load_methodE3ELS4_3ELS4_3ELNS0_20block_scan_algorithmE0ELj4294967295EEENS1_25partition_config_selectorILNS1_17partition_subalgoE4EjNS0_10empty_typeEbEEZZNS1_14partition_implILS8_4ELb0ES6_15HIP_vector_typeIjLj2EENS0_17counting_iteratorIjlEEPS9_SG_NS0_5tupleIJPjSI_NS0_16reverse_iteratorISI_EEEEENSH_IJSG_SG_SG_EEES9_SI_JZNS1_25segmented_radix_sort_implINS0_14default_configELb0EPKlPlSQ_SR_N2at6native12_GLOBAL__N_18offset_tEEE10hipError_tPvRmT1_PNSt15iterator_traitsISZ_E10value_typeET2_T3_PNS10_IS15_E10value_typeET4_jRbjT5_S1B_jjP12ihipStream_tbEUljE_ZNSN_ISO_Lb0ESQ_SR_SQ_SR_SV_EESW_SX_SY_SZ_S13_S14_S15_S18_S19_jS1A_jS1B_S1B_jjS1D_bEUljE0_EEESW_SX_SY_S15_S19_S1B_T6_T7_T9_mT8_S1D_bDpT10_ENKUlT_T0_E_clISt17integral_constantIbLb1EES1Q_IbLb0EEEEDaS1M_S1N_EUlS1M_E_NS1_11comp_targetILNS1_3genE2ELNS1_11target_archE906ELNS1_3gpuE6ELNS1_3repE0EEENS1_30default_config_static_selectorELNS0_4arch9wavefront6targetE0EEEvSZ_.has_dyn_sized_stack, 0
	.set _ZN7rocprim17ROCPRIM_400000_NS6detail17trampoline_kernelINS0_13select_configILj256ELj13ELNS0_17block_load_methodE3ELS4_3ELS4_3ELNS0_20block_scan_algorithmE0ELj4294967295EEENS1_25partition_config_selectorILNS1_17partition_subalgoE4EjNS0_10empty_typeEbEEZZNS1_14partition_implILS8_4ELb0ES6_15HIP_vector_typeIjLj2EENS0_17counting_iteratorIjlEEPS9_SG_NS0_5tupleIJPjSI_NS0_16reverse_iteratorISI_EEEEENSH_IJSG_SG_SG_EEES9_SI_JZNS1_25segmented_radix_sort_implINS0_14default_configELb0EPKlPlSQ_SR_N2at6native12_GLOBAL__N_18offset_tEEE10hipError_tPvRmT1_PNSt15iterator_traitsISZ_E10value_typeET2_T3_PNS10_IS15_E10value_typeET4_jRbjT5_S1B_jjP12ihipStream_tbEUljE_ZNSN_ISO_Lb0ESQ_SR_SQ_SR_SV_EESW_SX_SY_SZ_S13_S14_S15_S18_S19_jS1A_jS1B_S1B_jjS1D_bEUljE0_EEESW_SX_SY_S15_S19_S1B_T6_T7_T9_mT8_S1D_bDpT10_ENKUlT_T0_E_clISt17integral_constantIbLb1EES1Q_IbLb0EEEEDaS1M_S1N_EUlS1M_E_NS1_11comp_targetILNS1_3genE2ELNS1_11target_archE906ELNS1_3gpuE6ELNS1_3repE0EEENS1_30default_config_static_selectorELNS0_4arch9wavefront6targetE0EEEvSZ_.has_recursion, 0
	.set _ZN7rocprim17ROCPRIM_400000_NS6detail17trampoline_kernelINS0_13select_configILj256ELj13ELNS0_17block_load_methodE3ELS4_3ELS4_3ELNS0_20block_scan_algorithmE0ELj4294967295EEENS1_25partition_config_selectorILNS1_17partition_subalgoE4EjNS0_10empty_typeEbEEZZNS1_14partition_implILS8_4ELb0ES6_15HIP_vector_typeIjLj2EENS0_17counting_iteratorIjlEEPS9_SG_NS0_5tupleIJPjSI_NS0_16reverse_iteratorISI_EEEEENSH_IJSG_SG_SG_EEES9_SI_JZNS1_25segmented_radix_sort_implINS0_14default_configELb0EPKlPlSQ_SR_N2at6native12_GLOBAL__N_18offset_tEEE10hipError_tPvRmT1_PNSt15iterator_traitsISZ_E10value_typeET2_T3_PNS10_IS15_E10value_typeET4_jRbjT5_S1B_jjP12ihipStream_tbEUljE_ZNSN_ISO_Lb0ESQ_SR_SQ_SR_SV_EESW_SX_SY_SZ_S13_S14_S15_S18_S19_jS1A_jS1B_S1B_jjS1D_bEUljE0_EEESW_SX_SY_S15_S19_S1B_T6_T7_T9_mT8_S1D_bDpT10_ENKUlT_T0_E_clISt17integral_constantIbLb1EES1Q_IbLb0EEEEDaS1M_S1N_EUlS1M_E_NS1_11comp_targetILNS1_3genE2ELNS1_11target_archE906ELNS1_3gpuE6ELNS1_3repE0EEENS1_30default_config_static_selectorELNS0_4arch9wavefront6targetE0EEEvSZ_.has_indirect_call, 0
	.section	.AMDGPU.csdata,"",@progbits
; Kernel info:
; codeLenInByte = 0
; TotalNumSgprs: 0
; NumVgprs: 0
; ScratchSize: 0
; MemoryBound: 0
; FloatMode: 240
; IeeeMode: 1
; LDSByteSize: 0 bytes/workgroup (compile time only)
; SGPRBlocks: 0
; VGPRBlocks: 0
; NumSGPRsForWavesPerEU: 1
; NumVGPRsForWavesPerEU: 1
; Occupancy: 16
; WaveLimiterHint : 0
; COMPUTE_PGM_RSRC2:SCRATCH_EN: 0
; COMPUTE_PGM_RSRC2:USER_SGPR: 2
; COMPUTE_PGM_RSRC2:TRAP_HANDLER: 0
; COMPUTE_PGM_RSRC2:TGID_X_EN: 1
; COMPUTE_PGM_RSRC2:TGID_Y_EN: 0
; COMPUTE_PGM_RSRC2:TGID_Z_EN: 0
; COMPUTE_PGM_RSRC2:TIDIG_COMP_CNT: 0
	.section	.text._ZN7rocprim17ROCPRIM_400000_NS6detail17trampoline_kernelINS0_13select_configILj256ELj13ELNS0_17block_load_methodE3ELS4_3ELS4_3ELNS0_20block_scan_algorithmE0ELj4294967295EEENS1_25partition_config_selectorILNS1_17partition_subalgoE4EjNS0_10empty_typeEbEEZZNS1_14partition_implILS8_4ELb0ES6_15HIP_vector_typeIjLj2EENS0_17counting_iteratorIjlEEPS9_SG_NS0_5tupleIJPjSI_NS0_16reverse_iteratorISI_EEEEENSH_IJSG_SG_SG_EEES9_SI_JZNS1_25segmented_radix_sort_implINS0_14default_configELb0EPKlPlSQ_SR_N2at6native12_GLOBAL__N_18offset_tEEE10hipError_tPvRmT1_PNSt15iterator_traitsISZ_E10value_typeET2_T3_PNS10_IS15_E10value_typeET4_jRbjT5_S1B_jjP12ihipStream_tbEUljE_ZNSN_ISO_Lb0ESQ_SR_SQ_SR_SV_EESW_SX_SY_SZ_S13_S14_S15_S18_S19_jS1A_jS1B_S1B_jjS1D_bEUljE0_EEESW_SX_SY_S15_S19_S1B_T6_T7_T9_mT8_S1D_bDpT10_ENKUlT_T0_E_clISt17integral_constantIbLb1EES1Q_IbLb0EEEEDaS1M_S1N_EUlS1M_E_NS1_11comp_targetILNS1_3genE10ELNS1_11target_archE1200ELNS1_3gpuE4ELNS1_3repE0EEENS1_30default_config_static_selectorELNS0_4arch9wavefront6targetE0EEEvSZ_,"axG",@progbits,_ZN7rocprim17ROCPRIM_400000_NS6detail17trampoline_kernelINS0_13select_configILj256ELj13ELNS0_17block_load_methodE3ELS4_3ELS4_3ELNS0_20block_scan_algorithmE0ELj4294967295EEENS1_25partition_config_selectorILNS1_17partition_subalgoE4EjNS0_10empty_typeEbEEZZNS1_14partition_implILS8_4ELb0ES6_15HIP_vector_typeIjLj2EENS0_17counting_iteratorIjlEEPS9_SG_NS0_5tupleIJPjSI_NS0_16reverse_iteratorISI_EEEEENSH_IJSG_SG_SG_EEES9_SI_JZNS1_25segmented_radix_sort_implINS0_14default_configELb0EPKlPlSQ_SR_N2at6native12_GLOBAL__N_18offset_tEEE10hipError_tPvRmT1_PNSt15iterator_traitsISZ_E10value_typeET2_T3_PNS10_IS15_E10value_typeET4_jRbjT5_S1B_jjP12ihipStream_tbEUljE_ZNSN_ISO_Lb0ESQ_SR_SQ_SR_SV_EESW_SX_SY_SZ_S13_S14_S15_S18_S19_jS1A_jS1B_S1B_jjS1D_bEUljE0_EEESW_SX_SY_S15_S19_S1B_T6_T7_T9_mT8_S1D_bDpT10_ENKUlT_T0_E_clISt17integral_constantIbLb1EES1Q_IbLb0EEEEDaS1M_S1N_EUlS1M_E_NS1_11comp_targetILNS1_3genE10ELNS1_11target_archE1200ELNS1_3gpuE4ELNS1_3repE0EEENS1_30default_config_static_selectorELNS0_4arch9wavefront6targetE0EEEvSZ_,comdat
	.globl	_ZN7rocprim17ROCPRIM_400000_NS6detail17trampoline_kernelINS0_13select_configILj256ELj13ELNS0_17block_load_methodE3ELS4_3ELS4_3ELNS0_20block_scan_algorithmE0ELj4294967295EEENS1_25partition_config_selectorILNS1_17partition_subalgoE4EjNS0_10empty_typeEbEEZZNS1_14partition_implILS8_4ELb0ES6_15HIP_vector_typeIjLj2EENS0_17counting_iteratorIjlEEPS9_SG_NS0_5tupleIJPjSI_NS0_16reverse_iteratorISI_EEEEENSH_IJSG_SG_SG_EEES9_SI_JZNS1_25segmented_radix_sort_implINS0_14default_configELb0EPKlPlSQ_SR_N2at6native12_GLOBAL__N_18offset_tEEE10hipError_tPvRmT1_PNSt15iterator_traitsISZ_E10value_typeET2_T3_PNS10_IS15_E10value_typeET4_jRbjT5_S1B_jjP12ihipStream_tbEUljE_ZNSN_ISO_Lb0ESQ_SR_SQ_SR_SV_EESW_SX_SY_SZ_S13_S14_S15_S18_S19_jS1A_jS1B_S1B_jjS1D_bEUljE0_EEESW_SX_SY_S15_S19_S1B_T6_T7_T9_mT8_S1D_bDpT10_ENKUlT_T0_E_clISt17integral_constantIbLb1EES1Q_IbLb0EEEEDaS1M_S1N_EUlS1M_E_NS1_11comp_targetILNS1_3genE10ELNS1_11target_archE1200ELNS1_3gpuE4ELNS1_3repE0EEENS1_30default_config_static_selectorELNS0_4arch9wavefront6targetE0EEEvSZ_ ; -- Begin function _ZN7rocprim17ROCPRIM_400000_NS6detail17trampoline_kernelINS0_13select_configILj256ELj13ELNS0_17block_load_methodE3ELS4_3ELS4_3ELNS0_20block_scan_algorithmE0ELj4294967295EEENS1_25partition_config_selectorILNS1_17partition_subalgoE4EjNS0_10empty_typeEbEEZZNS1_14partition_implILS8_4ELb0ES6_15HIP_vector_typeIjLj2EENS0_17counting_iteratorIjlEEPS9_SG_NS0_5tupleIJPjSI_NS0_16reverse_iteratorISI_EEEEENSH_IJSG_SG_SG_EEES9_SI_JZNS1_25segmented_radix_sort_implINS0_14default_configELb0EPKlPlSQ_SR_N2at6native12_GLOBAL__N_18offset_tEEE10hipError_tPvRmT1_PNSt15iterator_traitsISZ_E10value_typeET2_T3_PNS10_IS15_E10value_typeET4_jRbjT5_S1B_jjP12ihipStream_tbEUljE_ZNSN_ISO_Lb0ESQ_SR_SQ_SR_SV_EESW_SX_SY_SZ_S13_S14_S15_S18_S19_jS1A_jS1B_S1B_jjS1D_bEUljE0_EEESW_SX_SY_S15_S19_S1B_T6_T7_T9_mT8_S1D_bDpT10_ENKUlT_T0_E_clISt17integral_constantIbLb1EES1Q_IbLb0EEEEDaS1M_S1N_EUlS1M_E_NS1_11comp_targetILNS1_3genE10ELNS1_11target_archE1200ELNS1_3gpuE4ELNS1_3repE0EEENS1_30default_config_static_selectorELNS0_4arch9wavefront6targetE0EEEvSZ_
	.p2align	8
	.type	_ZN7rocprim17ROCPRIM_400000_NS6detail17trampoline_kernelINS0_13select_configILj256ELj13ELNS0_17block_load_methodE3ELS4_3ELS4_3ELNS0_20block_scan_algorithmE0ELj4294967295EEENS1_25partition_config_selectorILNS1_17partition_subalgoE4EjNS0_10empty_typeEbEEZZNS1_14partition_implILS8_4ELb0ES6_15HIP_vector_typeIjLj2EENS0_17counting_iteratorIjlEEPS9_SG_NS0_5tupleIJPjSI_NS0_16reverse_iteratorISI_EEEEENSH_IJSG_SG_SG_EEES9_SI_JZNS1_25segmented_radix_sort_implINS0_14default_configELb0EPKlPlSQ_SR_N2at6native12_GLOBAL__N_18offset_tEEE10hipError_tPvRmT1_PNSt15iterator_traitsISZ_E10value_typeET2_T3_PNS10_IS15_E10value_typeET4_jRbjT5_S1B_jjP12ihipStream_tbEUljE_ZNSN_ISO_Lb0ESQ_SR_SQ_SR_SV_EESW_SX_SY_SZ_S13_S14_S15_S18_S19_jS1A_jS1B_S1B_jjS1D_bEUljE0_EEESW_SX_SY_S15_S19_S1B_T6_T7_T9_mT8_S1D_bDpT10_ENKUlT_T0_E_clISt17integral_constantIbLb1EES1Q_IbLb0EEEEDaS1M_S1N_EUlS1M_E_NS1_11comp_targetILNS1_3genE10ELNS1_11target_archE1200ELNS1_3gpuE4ELNS1_3repE0EEENS1_30default_config_static_selectorELNS0_4arch9wavefront6targetE0EEEvSZ_,@function
_ZN7rocprim17ROCPRIM_400000_NS6detail17trampoline_kernelINS0_13select_configILj256ELj13ELNS0_17block_load_methodE3ELS4_3ELS4_3ELNS0_20block_scan_algorithmE0ELj4294967295EEENS1_25partition_config_selectorILNS1_17partition_subalgoE4EjNS0_10empty_typeEbEEZZNS1_14partition_implILS8_4ELb0ES6_15HIP_vector_typeIjLj2EENS0_17counting_iteratorIjlEEPS9_SG_NS0_5tupleIJPjSI_NS0_16reverse_iteratorISI_EEEEENSH_IJSG_SG_SG_EEES9_SI_JZNS1_25segmented_radix_sort_implINS0_14default_configELb0EPKlPlSQ_SR_N2at6native12_GLOBAL__N_18offset_tEEE10hipError_tPvRmT1_PNSt15iterator_traitsISZ_E10value_typeET2_T3_PNS10_IS15_E10value_typeET4_jRbjT5_S1B_jjP12ihipStream_tbEUljE_ZNSN_ISO_Lb0ESQ_SR_SQ_SR_SV_EESW_SX_SY_SZ_S13_S14_S15_S18_S19_jS1A_jS1B_S1B_jjS1D_bEUljE0_EEESW_SX_SY_S15_S19_S1B_T6_T7_T9_mT8_S1D_bDpT10_ENKUlT_T0_E_clISt17integral_constantIbLb1EES1Q_IbLb0EEEEDaS1M_S1N_EUlS1M_E_NS1_11comp_targetILNS1_3genE10ELNS1_11target_archE1200ELNS1_3gpuE4ELNS1_3repE0EEENS1_30default_config_static_selectorELNS0_4arch9wavefront6targetE0EEEvSZ_: ; @_ZN7rocprim17ROCPRIM_400000_NS6detail17trampoline_kernelINS0_13select_configILj256ELj13ELNS0_17block_load_methodE3ELS4_3ELS4_3ELNS0_20block_scan_algorithmE0ELj4294967295EEENS1_25partition_config_selectorILNS1_17partition_subalgoE4EjNS0_10empty_typeEbEEZZNS1_14partition_implILS8_4ELb0ES6_15HIP_vector_typeIjLj2EENS0_17counting_iteratorIjlEEPS9_SG_NS0_5tupleIJPjSI_NS0_16reverse_iteratorISI_EEEEENSH_IJSG_SG_SG_EEES9_SI_JZNS1_25segmented_radix_sort_implINS0_14default_configELb0EPKlPlSQ_SR_N2at6native12_GLOBAL__N_18offset_tEEE10hipError_tPvRmT1_PNSt15iterator_traitsISZ_E10value_typeET2_T3_PNS10_IS15_E10value_typeET4_jRbjT5_S1B_jjP12ihipStream_tbEUljE_ZNSN_ISO_Lb0ESQ_SR_SQ_SR_SV_EESW_SX_SY_SZ_S13_S14_S15_S18_S19_jS1A_jS1B_S1B_jjS1D_bEUljE0_EEESW_SX_SY_S15_S19_S1B_T6_T7_T9_mT8_S1D_bDpT10_ENKUlT_T0_E_clISt17integral_constantIbLb1EES1Q_IbLb0EEEEDaS1M_S1N_EUlS1M_E_NS1_11comp_targetILNS1_3genE10ELNS1_11target_archE1200ELNS1_3gpuE4ELNS1_3repE0EEENS1_30default_config_static_selectorELNS0_4arch9wavefront6targetE0EEEvSZ_
; %bb.0:
	s_endpgm
	.section	.rodata,"a",@progbits
	.p2align	6, 0x0
	.amdhsa_kernel _ZN7rocprim17ROCPRIM_400000_NS6detail17trampoline_kernelINS0_13select_configILj256ELj13ELNS0_17block_load_methodE3ELS4_3ELS4_3ELNS0_20block_scan_algorithmE0ELj4294967295EEENS1_25partition_config_selectorILNS1_17partition_subalgoE4EjNS0_10empty_typeEbEEZZNS1_14partition_implILS8_4ELb0ES6_15HIP_vector_typeIjLj2EENS0_17counting_iteratorIjlEEPS9_SG_NS0_5tupleIJPjSI_NS0_16reverse_iteratorISI_EEEEENSH_IJSG_SG_SG_EEES9_SI_JZNS1_25segmented_radix_sort_implINS0_14default_configELb0EPKlPlSQ_SR_N2at6native12_GLOBAL__N_18offset_tEEE10hipError_tPvRmT1_PNSt15iterator_traitsISZ_E10value_typeET2_T3_PNS10_IS15_E10value_typeET4_jRbjT5_S1B_jjP12ihipStream_tbEUljE_ZNSN_ISO_Lb0ESQ_SR_SQ_SR_SV_EESW_SX_SY_SZ_S13_S14_S15_S18_S19_jS1A_jS1B_S1B_jjS1D_bEUljE0_EEESW_SX_SY_S15_S19_S1B_T6_T7_T9_mT8_S1D_bDpT10_ENKUlT_T0_E_clISt17integral_constantIbLb1EES1Q_IbLb0EEEEDaS1M_S1N_EUlS1M_E_NS1_11comp_targetILNS1_3genE10ELNS1_11target_archE1200ELNS1_3gpuE4ELNS1_3repE0EEENS1_30default_config_static_selectorELNS0_4arch9wavefront6targetE0EEEvSZ_
		.amdhsa_group_segment_fixed_size 0
		.amdhsa_private_segment_fixed_size 0
		.amdhsa_kernarg_size 176
		.amdhsa_user_sgpr_count 2
		.amdhsa_user_sgpr_dispatch_ptr 0
		.amdhsa_user_sgpr_queue_ptr 0
		.amdhsa_user_sgpr_kernarg_segment_ptr 1
		.amdhsa_user_sgpr_dispatch_id 0
		.amdhsa_user_sgpr_private_segment_size 0
		.amdhsa_wavefront_size32 1
		.amdhsa_uses_dynamic_stack 0
		.amdhsa_enable_private_segment 0
		.amdhsa_system_sgpr_workgroup_id_x 1
		.amdhsa_system_sgpr_workgroup_id_y 0
		.amdhsa_system_sgpr_workgroup_id_z 0
		.amdhsa_system_sgpr_workgroup_info 0
		.amdhsa_system_vgpr_workitem_id 0
		.amdhsa_next_free_vgpr 1
		.amdhsa_next_free_sgpr 1
		.amdhsa_reserve_vcc 0
		.amdhsa_float_round_mode_32 0
		.amdhsa_float_round_mode_16_64 0
		.amdhsa_float_denorm_mode_32 3
		.amdhsa_float_denorm_mode_16_64 3
		.amdhsa_fp16_overflow 0
		.amdhsa_workgroup_processor_mode 1
		.amdhsa_memory_ordered 1
		.amdhsa_forward_progress 1
		.amdhsa_inst_pref_size 1
		.amdhsa_round_robin_scheduling 0
		.amdhsa_exception_fp_ieee_invalid_op 0
		.amdhsa_exception_fp_denorm_src 0
		.amdhsa_exception_fp_ieee_div_zero 0
		.amdhsa_exception_fp_ieee_overflow 0
		.amdhsa_exception_fp_ieee_underflow 0
		.amdhsa_exception_fp_ieee_inexact 0
		.amdhsa_exception_int_div_zero 0
	.end_amdhsa_kernel
	.section	.text._ZN7rocprim17ROCPRIM_400000_NS6detail17trampoline_kernelINS0_13select_configILj256ELj13ELNS0_17block_load_methodE3ELS4_3ELS4_3ELNS0_20block_scan_algorithmE0ELj4294967295EEENS1_25partition_config_selectorILNS1_17partition_subalgoE4EjNS0_10empty_typeEbEEZZNS1_14partition_implILS8_4ELb0ES6_15HIP_vector_typeIjLj2EENS0_17counting_iteratorIjlEEPS9_SG_NS0_5tupleIJPjSI_NS0_16reverse_iteratorISI_EEEEENSH_IJSG_SG_SG_EEES9_SI_JZNS1_25segmented_radix_sort_implINS0_14default_configELb0EPKlPlSQ_SR_N2at6native12_GLOBAL__N_18offset_tEEE10hipError_tPvRmT1_PNSt15iterator_traitsISZ_E10value_typeET2_T3_PNS10_IS15_E10value_typeET4_jRbjT5_S1B_jjP12ihipStream_tbEUljE_ZNSN_ISO_Lb0ESQ_SR_SQ_SR_SV_EESW_SX_SY_SZ_S13_S14_S15_S18_S19_jS1A_jS1B_S1B_jjS1D_bEUljE0_EEESW_SX_SY_S15_S19_S1B_T6_T7_T9_mT8_S1D_bDpT10_ENKUlT_T0_E_clISt17integral_constantIbLb1EES1Q_IbLb0EEEEDaS1M_S1N_EUlS1M_E_NS1_11comp_targetILNS1_3genE10ELNS1_11target_archE1200ELNS1_3gpuE4ELNS1_3repE0EEENS1_30default_config_static_selectorELNS0_4arch9wavefront6targetE0EEEvSZ_,"axG",@progbits,_ZN7rocprim17ROCPRIM_400000_NS6detail17trampoline_kernelINS0_13select_configILj256ELj13ELNS0_17block_load_methodE3ELS4_3ELS4_3ELNS0_20block_scan_algorithmE0ELj4294967295EEENS1_25partition_config_selectorILNS1_17partition_subalgoE4EjNS0_10empty_typeEbEEZZNS1_14partition_implILS8_4ELb0ES6_15HIP_vector_typeIjLj2EENS0_17counting_iteratorIjlEEPS9_SG_NS0_5tupleIJPjSI_NS0_16reverse_iteratorISI_EEEEENSH_IJSG_SG_SG_EEES9_SI_JZNS1_25segmented_radix_sort_implINS0_14default_configELb0EPKlPlSQ_SR_N2at6native12_GLOBAL__N_18offset_tEEE10hipError_tPvRmT1_PNSt15iterator_traitsISZ_E10value_typeET2_T3_PNS10_IS15_E10value_typeET4_jRbjT5_S1B_jjP12ihipStream_tbEUljE_ZNSN_ISO_Lb0ESQ_SR_SQ_SR_SV_EESW_SX_SY_SZ_S13_S14_S15_S18_S19_jS1A_jS1B_S1B_jjS1D_bEUljE0_EEESW_SX_SY_S15_S19_S1B_T6_T7_T9_mT8_S1D_bDpT10_ENKUlT_T0_E_clISt17integral_constantIbLb1EES1Q_IbLb0EEEEDaS1M_S1N_EUlS1M_E_NS1_11comp_targetILNS1_3genE10ELNS1_11target_archE1200ELNS1_3gpuE4ELNS1_3repE0EEENS1_30default_config_static_selectorELNS0_4arch9wavefront6targetE0EEEvSZ_,comdat
.Lfunc_end764:
	.size	_ZN7rocprim17ROCPRIM_400000_NS6detail17trampoline_kernelINS0_13select_configILj256ELj13ELNS0_17block_load_methodE3ELS4_3ELS4_3ELNS0_20block_scan_algorithmE0ELj4294967295EEENS1_25partition_config_selectorILNS1_17partition_subalgoE4EjNS0_10empty_typeEbEEZZNS1_14partition_implILS8_4ELb0ES6_15HIP_vector_typeIjLj2EENS0_17counting_iteratorIjlEEPS9_SG_NS0_5tupleIJPjSI_NS0_16reverse_iteratorISI_EEEEENSH_IJSG_SG_SG_EEES9_SI_JZNS1_25segmented_radix_sort_implINS0_14default_configELb0EPKlPlSQ_SR_N2at6native12_GLOBAL__N_18offset_tEEE10hipError_tPvRmT1_PNSt15iterator_traitsISZ_E10value_typeET2_T3_PNS10_IS15_E10value_typeET4_jRbjT5_S1B_jjP12ihipStream_tbEUljE_ZNSN_ISO_Lb0ESQ_SR_SQ_SR_SV_EESW_SX_SY_SZ_S13_S14_S15_S18_S19_jS1A_jS1B_S1B_jjS1D_bEUljE0_EEESW_SX_SY_S15_S19_S1B_T6_T7_T9_mT8_S1D_bDpT10_ENKUlT_T0_E_clISt17integral_constantIbLb1EES1Q_IbLb0EEEEDaS1M_S1N_EUlS1M_E_NS1_11comp_targetILNS1_3genE10ELNS1_11target_archE1200ELNS1_3gpuE4ELNS1_3repE0EEENS1_30default_config_static_selectorELNS0_4arch9wavefront6targetE0EEEvSZ_, .Lfunc_end764-_ZN7rocprim17ROCPRIM_400000_NS6detail17trampoline_kernelINS0_13select_configILj256ELj13ELNS0_17block_load_methodE3ELS4_3ELS4_3ELNS0_20block_scan_algorithmE0ELj4294967295EEENS1_25partition_config_selectorILNS1_17partition_subalgoE4EjNS0_10empty_typeEbEEZZNS1_14partition_implILS8_4ELb0ES6_15HIP_vector_typeIjLj2EENS0_17counting_iteratorIjlEEPS9_SG_NS0_5tupleIJPjSI_NS0_16reverse_iteratorISI_EEEEENSH_IJSG_SG_SG_EEES9_SI_JZNS1_25segmented_radix_sort_implINS0_14default_configELb0EPKlPlSQ_SR_N2at6native12_GLOBAL__N_18offset_tEEE10hipError_tPvRmT1_PNSt15iterator_traitsISZ_E10value_typeET2_T3_PNS10_IS15_E10value_typeET4_jRbjT5_S1B_jjP12ihipStream_tbEUljE_ZNSN_ISO_Lb0ESQ_SR_SQ_SR_SV_EESW_SX_SY_SZ_S13_S14_S15_S18_S19_jS1A_jS1B_S1B_jjS1D_bEUljE0_EEESW_SX_SY_S15_S19_S1B_T6_T7_T9_mT8_S1D_bDpT10_ENKUlT_T0_E_clISt17integral_constantIbLb1EES1Q_IbLb0EEEEDaS1M_S1N_EUlS1M_E_NS1_11comp_targetILNS1_3genE10ELNS1_11target_archE1200ELNS1_3gpuE4ELNS1_3repE0EEENS1_30default_config_static_selectorELNS0_4arch9wavefront6targetE0EEEvSZ_
                                        ; -- End function
	.set _ZN7rocprim17ROCPRIM_400000_NS6detail17trampoline_kernelINS0_13select_configILj256ELj13ELNS0_17block_load_methodE3ELS4_3ELS4_3ELNS0_20block_scan_algorithmE0ELj4294967295EEENS1_25partition_config_selectorILNS1_17partition_subalgoE4EjNS0_10empty_typeEbEEZZNS1_14partition_implILS8_4ELb0ES6_15HIP_vector_typeIjLj2EENS0_17counting_iteratorIjlEEPS9_SG_NS0_5tupleIJPjSI_NS0_16reverse_iteratorISI_EEEEENSH_IJSG_SG_SG_EEES9_SI_JZNS1_25segmented_radix_sort_implINS0_14default_configELb0EPKlPlSQ_SR_N2at6native12_GLOBAL__N_18offset_tEEE10hipError_tPvRmT1_PNSt15iterator_traitsISZ_E10value_typeET2_T3_PNS10_IS15_E10value_typeET4_jRbjT5_S1B_jjP12ihipStream_tbEUljE_ZNSN_ISO_Lb0ESQ_SR_SQ_SR_SV_EESW_SX_SY_SZ_S13_S14_S15_S18_S19_jS1A_jS1B_S1B_jjS1D_bEUljE0_EEESW_SX_SY_S15_S19_S1B_T6_T7_T9_mT8_S1D_bDpT10_ENKUlT_T0_E_clISt17integral_constantIbLb1EES1Q_IbLb0EEEEDaS1M_S1N_EUlS1M_E_NS1_11comp_targetILNS1_3genE10ELNS1_11target_archE1200ELNS1_3gpuE4ELNS1_3repE0EEENS1_30default_config_static_selectorELNS0_4arch9wavefront6targetE0EEEvSZ_.num_vgpr, 0
	.set _ZN7rocprim17ROCPRIM_400000_NS6detail17trampoline_kernelINS0_13select_configILj256ELj13ELNS0_17block_load_methodE3ELS4_3ELS4_3ELNS0_20block_scan_algorithmE0ELj4294967295EEENS1_25partition_config_selectorILNS1_17partition_subalgoE4EjNS0_10empty_typeEbEEZZNS1_14partition_implILS8_4ELb0ES6_15HIP_vector_typeIjLj2EENS0_17counting_iteratorIjlEEPS9_SG_NS0_5tupleIJPjSI_NS0_16reverse_iteratorISI_EEEEENSH_IJSG_SG_SG_EEES9_SI_JZNS1_25segmented_radix_sort_implINS0_14default_configELb0EPKlPlSQ_SR_N2at6native12_GLOBAL__N_18offset_tEEE10hipError_tPvRmT1_PNSt15iterator_traitsISZ_E10value_typeET2_T3_PNS10_IS15_E10value_typeET4_jRbjT5_S1B_jjP12ihipStream_tbEUljE_ZNSN_ISO_Lb0ESQ_SR_SQ_SR_SV_EESW_SX_SY_SZ_S13_S14_S15_S18_S19_jS1A_jS1B_S1B_jjS1D_bEUljE0_EEESW_SX_SY_S15_S19_S1B_T6_T7_T9_mT8_S1D_bDpT10_ENKUlT_T0_E_clISt17integral_constantIbLb1EES1Q_IbLb0EEEEDaS1M_S1N_EUlS1M_E_NS1_11comp_targetILNS1_3genE10ELNS1_11target_archE1200ELNS1_3gpuE4ELNS1_3repE0EEENS1_30default_config_static_selectorELNS0_4arch9wavefront6targetE0EEEvSZ_.num_agpr, 0
	.set _ZN7rocprim17ROCPRIM_400000_NS6detail17trampoline_kernelINS0_13select_configILj256ELj13ELNS0_17block_load_methodE3ELS4_3ELS4_3ELNS0_20block_scan_algorithmE0ELj4294967295EEENS1_25partition_config_selectorILNS1_17partition_subalgoE4EjNS0_10empty_typeEbEEZZNS1_14partition_implILS8_4ELb0ES6_15HIP_vector_typeIjLj2EENS0_17counting_iteratorIjlEEPS9_SG_NS0_5tupleIJPjSI_NS0_16reverse_iteratorISI_EEEEENSH_IJSG_SG_SG_EEES9_SI_JZNS1_25segmented_radix_sort_implINS0_14default_configELb0EPKlPlSQ_SR_N2at6native12_GLOBAL__N_18offset_tEEE10hipError_tPvRmT1_PNSt15iterator_traitsISZ_E10value_typeET2_T3_PNS10_IS15_E10value_typeET4_jRbjT5_S1B_jjP12ihipStream_tbEUljE_ZNSN_ISO_Lb0ESQ_SR_SQ_SR_SV_EESW_SX_SY_SZ_S13_S14_S15_S18_S19_jS1A_jS1B_S1B_jjS1D_bEUljE0_EEESW_SX_SY_S15_S19_S1B_T6_T7_T9_mT8_S1D_bDpT10_ENKUlT_T0_E_clISt17integral_constantIbLb1EES1Q_IbLb0EEEEDaS1M_S1N_EUlS1M_E_NS1_11comp_targetILNS1_3genE10ELNS1_11target_archE1200ELNS1_3gpuE4ELNS1_3repE0EEENS1_30default_config_static_selectorELNS0_4arch9wavefront6targetE0EEEvSZ_.numbered_sgpr, 0
	.set _ZN7rocprim17ROCPRIM_400000_NS6detail17trampoline_kernelINS0_13select_configILj256ELj13ELNS0_17block_load_methodE3ELS4_3ELS4_3ELNS0_20block_scan_algorithmE0ELj4294967295EEENS1_25partition_config_selectorILNS1_17partition_subalgoE4EjNS0_10empty_typeEbEEZZNS1_14partition_implILS8_4ELb0ES6_15HIP_vector_typeIjLj2EENS0_17counting_iteratorIjlEEPS9_SG_NS0_5tupleIJPjSI_NS0_16reverse_iteratorISI_EEEEENSH_IJSG_SG_SG_EEES9_SI_JZNS1_25segmented_radix_sort_implINS0_14default_configELb0EPKlPlSQ_SR_N2at6native12_GLOBAL__N_18offset_tEEE10hipError_tPvRmT1_PNSt15iterator_traitsISZ_E10value_typeET2_T3_PNS10_IS15_E10value_typeET4_jRbjT5_S1B_jjP12ihipStream_tbEUljE_ZNSN_ISO_Lb0ESQ_SR_SQ_SR_SV_EESW_SX_SY_SZ_S13_S14_S15_S18_S19_jS1A_jS1B_S1B_jjS1D_bEUljE0_EEESW_SX_SY_S15_S19_S1B_T6_T7_T9_mT8_S1D_bDpT10_ENKUlT_T0_E_clISt17integral_constantIbLb1EES1Q_IbLb0EEEEDaS1M_S1N_EUlS1M_E_NS1_11comp_targetILNS1_3genE10ELNS1_11target_archE1200ELNS1_3gpuE4ELNS1_3repE0EEENS1_30default_config_static_selectorELNS0_4arch9wavefront6targetE0EEEvSZ_.num_named_barrier, 0
	.set _ZN7rocprim17ROCPRIM_400000_NS6detail17trampoline_kernelINS0_13select_configILj256ELj13ELNS0_17block_load_methodE3ELS4_3ELS4_3ELNS0_20block_scan_algorithmE0ELj4294967295EEENS1_25partition_config_selectorILNS1_17partition_subalgoE4EjNS0_10empty_typeEbEEZZNS1_14partition_implILS8_4ELb0ES6_15HIP_vector_typeIjLj2EENS0_17counting_iteratorIjlEEPS9_SG_NS0_5tupleIJPjSI_NS0_16reverse_iteratorISI_EEEEENSH_IJSG_SG_SG_EEES9_SI_JZNS1_25segmented_radix_sort_implINS0_14default_configELb0EPKlPlSQ_SR_N2at6native12_GLOBAL__N_18offset_tEEE10hipError_tPvRmT1_PNSt15iterator_traitsISZ_E10value_typeET2_T3_PNS10_IS15_E10value_typeET4_jRbjT5_S1B_jjP12ihipStream_tbEUljE_ZNSN_ISO_Lb0ESQ_SR_SQ_SR_SV_EESW_SX_SY_SZ_S13_S14_S15_S18_S19_jS1A_jS1B_S1B_jjS1D_bEUljE0_EEESW_SX_SY_S15_S19_S1B_T6_T7_T9_mT8_S1D_bDpT10_ENKUlT_T0_E_clISt17integral_constantIbLb1EES1Q_IbLb0EEEEDaS1M_S1N_EUlS1M_E_NS1_11comp_targetILNS1_3genE10ELNS1_11target_archE1200ELNS1_3gpuE4ELNS1_3repE0EEENS1_30default_config_static_selectorELNS0_4arch9wavefront6targetE0EEEvSZ_.private_seg_size, 0
	.set _ZN7rocprim17ROCPRIM_400000_NS6detail17trampoline_kernelINS0_13select_configILj256ELj13ELNS0_17block_load_methodE3ELS4_3ELS4_3ELNS0_20block_scan_algorithmE0ELj4294967295EEENS1_25partition_config_selectorILNS1_17partition_subalgoE4EjNS0_10empty_typeEbEEZZNS1_14partition_implILS8_4ELb0ES6_15HIP_vector_typeIjLj2EENS0_17counting_iteratorIjlEEPS9_SG_NS0_5tupleIJPjSI_NS0_16reverse_iteratorISI_EEEEENSH_IJSG_SG_SG_EEES9_SI_JZNS1_25segmented_radix_sort_implINS0_14default_configELb0EPKlPlSQ_SR_N2at6native12_GLOBAL__N_18offset_tEEE10hipError_tPvRmT1_PNSt15iterator_traitsISZ_E10value_typeET2_T3_PNS10_IS15_E10value_typeET4_jRbjT5_S1B_jjP12ihipStream_tbEUljE_ZNSN_ISO_Lb0ESQ_SR_SQ_SR_SV_EESW_SX_SY_SZ_S13_S14_S15_S18_S19_jS1A_jS1B_S1B_jjS1D_bEUljE0_EEESW_SX_SY_S15_S19_S1B_T6_T7_T9_mT8_S1D_bDpT10_ENKUlT_T0_E_clISt17integral_constantIbLb1EES1Q_IbLb0EEEEDaS1M_S1N_EUlS1M_E_NS1_11comp_targetILNS1_3genE10ELNS1_11target_archE1200ELNS1_3gpuE4ELNS1_3repE0EEENS1_30default_config_static_selectorELNS0_4arch9wavefront6targetE0EEEvSZ_.uses_vcc, 0
	.set _ZN7rocprim17ROCPRIM_400000_NS6detail17trampoline_kernelINS0_13select_configILj256ELj13ELNS0_17block_load_methodE3ELS4_3ELS4_3ELNS0_20block_scan_algorithmE0ELj4294967295EEENS1_25partition_config_selectorILNS1_17partition_subalgoE4EjNS0_10empty_typeEbEEZZNS1_14partition_implILS8_4ELb0ES6_15HIP_vector_typeIjLj2EENS0_17counting_iteratorIjlEEPS9_SG_NS0_5tupleIJPjSI_NS0_16reverse_iteratorISI_EEEEENSH_IJSG_SG_SG_EEES9_SI_JZNS1_25segmented_radix_sort_implINS0_14default_configELb0EPKlPlSQ_SR_N2at6native12_GLOBAL__N_18offset_tEEE10hipError_tPvRmT1_PNSt15iterator_traitsISZ_E10value_typeET2_T3_PNS10_IS15_E10value_typeET4_jRbjT5_S1B_jjP12ihipStream_tbEUljE_ZNSN_ISO_Lb0ESQ_SR_SQ_SR_SV_EESW_SX_SY_SZ_S13_S14_S15_S18_S19_jS1A_jS1B_S1B_jjS1D_bEUljE0_EEESW_SX_SY_S15_S19_S1B_T6_T7_T9_mT8_S1D_bDpT10_ENKUlT_T0_E_clISt17integral_constantIbLb1EES1Q_IbLb0EEEEDaS1M_S1N_EUlS1M_E_NS1_11comp_targetILNS1_3genE10ELNS1_11target_archE1200ELNS1_3gpuE4ELNS1_3repE0EEENS1_30default_config_static_selectorELNS0_4arch9wavefront6targetE0EEEvSZ_.uses_flat_scratch, 0
	.set _ZN7rocprim17ROCPRIM_400000_NS6detail17trampoline_kernelINS0_13select_configILj256ELj13ELNS0_17block_load_methodE3ELS4_3ELS4_3ELNS0_20block_scan_algorithmE0ELj4294967295EEENS1_25partition_config_selectorILNS1_17partition_subalgoE4EjNS0_10empty_typeEbEEZZNS1_14partition_implILS8_4ELb0ES6_15HIP_vector_typeIjLj2EENS0_17counting_iteratorIjlEEPS9_SG_NS0_5tupleIJPjSI_NS0_16reverse_iteratorISI_EEEEENSH_IJSG_SG_SG_EEES9_SI_JZNS1_25segmented_radix_sort_implINS0_14default_configELb0EPKlPlSQ_SR_N2at6native12_GLOBAL__N_18offset_tEEE10hipError_tPvRmT1_PNSt15iterator_traitsISZ_E10value_typeET2_T3_PNS10_IS15_E10value_typeET4_jRbjT5_S1B_jjP12ihipStream_tbEUljE_ZNSN_ISO_Lb0ESQ_SR_SQ_SR_SV_EESW_SX_SY_SZ_S13_S14_S15_S18_S19_jS1A_jS1B_S1B_jjS1D_bEUljE0_EEESW_SX_SY_S15_S19_S1B_T6_T7_T9_mT8_S1D_bDpT10_ENKUlT_T0_E_clISt17integral_constantIbLb1EES1Q_IbLb0EEEEDaS1M_S1N_EUlS1M_E_NS1_11comp_targetILNS1_3genE10ELNS1_11target_archE1200ELNS1_3gpuE4ELNS1_3repE0EEENS1_30default_config_static_selectorELNS0_4arch9wavefront6targetE0EEEvSZ_.has_dyn_sized_stack, 0
	.set _ZN7rocprim17ROCPRIM_400000_NS6detail17trampoline_kernelINS0_13select_configILj256ELj13ELNS0_17block_load_methodE3ELS4_3ELS4_3ELNS0_20block_scan_algorithmE0ELj4294967295EEENS1_25partition_config_selectorILNS1_17partition_subalgoE4EjNS0_10empty_typeEbEEZZNS1_14partition_implILS8_4ELb0ES6_15HIP_vector_typeIjLj2EENS0_17counting_iteratorIjlEEPS9_SG_NS0_5tupleIJPjSI_NS0_16reverse_iteratorISI_EEEEENSH_IJSG_SG_SG_EEES9_SI_JZNS1_25segmented_radix_sort_implINS0_14default_configELb0EPKlPlSQ_SR_N2at6native12_GLOBAL__N_18offset_tEEE10hipError_tPvRmT1_PNSt15iterator_traitsISZ_E10value_typeET2_T3_PNS10_IS15_E10value_typeET4_jRbjT5_S1B_jjP12ihipStream_tbEUljE_ZNSN_ISO_Lb0ESQ_SR_SQ_SR_SV_EESW_SX_SY_SZ_S13_S14_S15_S18_S19_jS1A_jS1B_S1B_jjS1D_bEUljE0_EEESW_SX_SY_S15_S19_S1B_T6_T7_T9_mT8_S1D_bDpT10_ENKUlT_T0_E_clISt17integral_constantIbLb1EES1Q_IbLb0EEEEDaS1M_S1N_EUlS1M_E_NS1_11comp_targetILNS1_3genE10ELNS1_11target_archE1200ELNS1_3gpuE4ELNS1_3repE0EEENS1_30default_config_static_selectorELNS0_4arch9wavefront6targetE0EEEvSZ_.has_recursion, 0
	.set _ZN7rocprim17ROCPRIM_400000_NS6detail17trampoline_kernelINS0_13select_configILj256ELj13ELNS0_17block_load_methodE3ELS4_3ELS4_3ELNS0_20block_scan_algorithmE0ELj4294967295EEENS1_25partition_config_selectorILNS1_17partition_subalgoE4EjNS0_10empty_typeEbEEZZNS1_14partition_implILS8_4ELb0ES6_15HIP_vector_typeIjLj2EENS0_17counting_iteratorIjlEEPS9_SG_NS0_5tupleIJPjSI_NS0_16reverse_iteratorISI_EEEEENSH_IJSG_SG_SG_EEES9_SI_JZNS1_25segmented_radix_sort_implINS0_14default_configELb0EPKlPlSQ_SR_N2at6native12_GLOBAL__N_18offset_tEEE10hipError_tPvRmT1_PNSt15iterator_traitsISZ_E10value_typeET2_T3_PNS10_IS15_E10value_typeET4_jRbjT5_S1B_jjP12ihipStream_tbEUljE_ZNSN_ISO_Lb0ESQ_SR_SQ_SR_SV_EESW_SX_SY_SZ_S13_S14_S15_S18_S19_jS1A_jS1B_S1B_jjS1D_bEUljE0_EEESW_SX_SY_S15_S19_S1B_T6_T7_T9_mT8_S1D_bDpT10_ENKUlT_T0_E_clISt17integral_constantIbLb1EES1Q_IbLb0EEEEDaS1M_S1N_EUlS1M_E_NS1_11comp_targetILNS1_3genE10ELNS1_11target_archE1200ELNS1_3gpuE4ELNS1_3repE0EEENS1_30default_config_static_selectorELNS0_4arch9wavefront6targetE0EEEvSZ_.has_indirect_call, 0
	.section	.AMDGPU.csdata,"",@progbits
; Kernel info:
; codeLenInByte = 4
; TotalNumSgprs: 0
; NumVgprs: 0
; ScratchSize: 0
; MemoryBound: 0
; FloatMode: 240
; IeeeMode: 1
; LDSByteSize: 0 bytes/workgroup (compile time only)
; SGPRBlocks: 0
; VGPRBlocks: 0
; NumSGPRsForWavesPerEU: 1
; NumVGPRsForWavesPerEU: 1
; Occupancy: 16
; WaveLimiterHint : 0
; COMPUTE_PGM_RSRC2:SCRATCH_EN: 0
; COMPUTE_PGM_RSRC2:USER_SGPR: 2
; COMPUTE_PGM_RSRC2:TRAP_HANDLER: 0
; COMPUTE_PGM_RSRC2:TGID_X_EN: 1
; COMPUTE_PGM_RSRC2:TGID_Y_EN: 0
; COMPUTE_PGM_RSRC2:TGID_Z_EN: 0
; COMPUTE_PGM_RSRC2:TIDIG_COMP_CNT: 0
	.section	.text._ZN7rocprim17ROCPRIM_400000_NS6detail17trampoline_kernelINS0_13select_configILj256ELj13ELNS0_17block_load_methodE3ELS4_3ELS4_3ELNS0_20block_scan_algorithmE0ELj4294967295EEENS1_25partition_config_selectorILNS1_17partition_subalgoE4EjNS0_10empty_typeEbEEZZNS1_14partition_implILS8_4ELb0ES6_15HIP_vector_typeIjLj2EENS0_17counting_iteratorIjlEEPS9_SG_NS0_5tupleIJPjSI_NS0_16reverse_iteratorISI_EEEEENSH_IJSG_SG_SG_EEES9_SI_JZNS1_25segmented_radix_sort_implINS0_14default_configELb0EPKlPlSQ_SR_N2at6native12_GLOBAL__N_18offset_tEEE10hipError_tPvRmT1_PNSt15iterator_traitsISZ_E10value_typeET2_T3_PNS10_IS15_E10value_typeET4_jRbjT5_S1B_jjP12ihipStream_tbEUljE_ZNSN_ISO_Lb0ESQ_SR_SQ_SR_SV_EESW_SX_SY_SZ_S13_S14_S15_S18_S19_jS1A_jS1B_S1B_jjS1D_bEUljE0_EEESW_SX_SY_S15_S19_S1B_T6_T7_T9_mT8_S1D_bDpT10_ENKUlT_T0_E_clISt17integral_constantIbLb1EES1Q_IbLb0EEEEDaS1M_S1N_EUlS1M_E_NS1_11comp_targetILNS1_3genE9ELNS1_11target_archE1100ELNS1_3gpuE3ELNS1_3repE0EEENS1_30default_config_static_selectorELNS0_4arch9wavefront6targetE0EEEvSZ_,"axG",@progbits,_ZN7rocprim17ROCPRIM_400000_NS6detail17trampoline_kernelINS0_13select_configILj256ELj13ELNS0_17block_load_methodE3ELS4_3ELS4_3ELNS0_20block_scan_algorithmE0ELj4294967295EEENS1_25partition_config_selectorILNS1_17partition_subalgoE4EjNS0_10empty_typeEbEEZZNS1_14partition_implILS8_4ELb0ES6_15HIP_vector_typeIjLj2EENS0_17counting_iteratorIjlEEPS9_SG_NS0_5tupleIJPjSI_NS0_16reverse_iteratorISI_EEEEENSH_IJSG_SG_SG_EEES9_SI_JZNS1_25segmented_radix_sort_implINS0_14default_configELb0EPKlPlSQ_SR_N2at6native12_GLOBAL__N_18offset_tEEE10hipError_tPvRmT1_PNSt15iterator_traitsISZ_E10value_typeET2_T3_PNS10_IS15_E10value_typeET4_jRbjT5_S1B_jjP12ihipStream_tbEUljE_ZNSN_ISO_Lb0ESQ_SR_SQ_SR_SV_EESW_SX_SY_SZ_S13_S14_S15_S18_S19_jS1A_jS1B_S1B_jjS1D_bEUljE0_EEESW_SX_SY_S15_S19_S1B_T6_T7_T9_mT8_S1D_bDpT10_ENKUlT_T0_E_clISt17integral_constantIbLb1EES1Q_IbLb0EEEEDaS1M_S1N_EUlS1M_E_NS1_11comp_targetILNS1_3genE9ELNS1_11target_archE1100ELNS1_3gpuE3ELNS1_3repE0EEENS1_30default_config_static_selectorELNS0_4arch9wavefront6targetE0EEEvSZ_,comdat
	.globl	_ZN7rocprim17ROCPRIM_400000_NS6detail17trampoline_kernelINS0_13select_configILj256ELj13ELNS0_17block_load_methodE3ELS4_3ELS4_3ELNS0_20block_scan_algorithmE0ELj4294967295EEENS1_25partition_config_selectorILNS1_17partition_subalgoE4EjNS0_10empty_typeEbEEZZNS1_14partition_implILS8_4ELb0ES6_15HIP_vector_typeIjLj2EENS0_17counting_iteratorIjlEEPS9_SG_NS0_5tupleIJPjSI_NS0_16reverse_iteratorISI_EEEEENSH_IJSG_SG_SG_EEES9_SI_JZNS1_25segmented_radix_sort_implINS0_14default_configELb0EPKlPlSQ_SR_N2at6native12_GLOBAL__N_18offset_tEEE10hipError_tPvRmT1_PNSt15iterator_traitsISZ_E10value_typeET2_T3_PNS10_IS15_E10value_typeET4_jRbjT5_S1B_jjP12ihipStream_tbEUljE_ZNSN_ISO_Lb0ESQ_SR_SQ_SR_SV_EESW_SX_SY_SZ_S13_S14_S15_S18_S19_jS1A_jS1B_S1B_jjS1D_bEUljE0_EEESW_SX_SY_S15_S19_S1B_T6_T7_T9_mT8_S1D_bDpT10_ENKUlT_T0_E_clISt17integral_constantIbLb1EES1Q_IbLb0EEEEDaS1M_S1N_EUlS1M_E_NS1_11comp_targetILNS1_3genE9ELNS1_11target_archE1100ELNS1_3gpuE3ELNS1_3repE0EEENS1_30default_config_static_selectorELNS0_4arch9wavefront6targetE0EEEvSZ_ ; -- Begin function _ZN7rocprim17ROCPRIM_400000_NS6detail17trampoline_kernelINS0_13select_configILj256ELj13ELNS0_17block_load_methodE3ELS4_3ELS4_3ELNS0_20block_scan_algorithmE0ELj4294967295EEENS1_25partition_config_selectorILNS1_17partition_subalgoE4EjNS0_10empty_typeEbEEZZNS1_14partition_implILS8_4ELb0ES6_15HIP_vector_typeIjLj2EENS0_17counting_iteratorIjlEEPS9_SG_NS0_5tupleIJPjSI_NS0_16reverse_iteratorISI_EEEEENSH_IJSG_SG_SG_EEES9_SI_JZNS1_25segmented_radix_sort_implINS0_14default_configELb0EPKlPlSQ_SR_N2at6native12_GLOBAL__N_18offset_tEEE10hipError_tPvRmT1_PNSt15iterator_traitsISZ_E10value_typeET2_T3_PNS10_IS15_E10value_typeET4_jRbjT5_S1B_jjP12ihipStream_tbEUljE_ZNSN_ISO_Lb0ESQ_SR_SQ_SR_SV_EESW_SX_SY_SZ_S13_S14_S15_S18_S19_jS1A_jS1B_S1B_jjS1D_bEUljE0_EEESW_SX_SY_S15_S19_S1B_T6_T7_T9_mT8_S1D_bDpT10_ENKUlT_T0_E_clISt17integral_constantIbLb1EES1Q_IbLb0EEEEDaS1M_S1N_EUlS1M_E_NS1_11comp_targetILNS1_3genE9ELNS1_11target_archE1100ELNS1_3gpuE3ELNS1_3repE0EEENS1_30default_config_static_selectorELNS0_4arch9wavefront6targetE0EEEvSZ_
	.p2align	8
	.type	_ZN7rocprim17ROCPRIM_400000_NS6detail17trampoline_kernelINS0_13select_configILj256ELj13ELNS0_17block_load_methodE3ELS4_3ELS4_3ELNS0_20block_scan_algorithmE0ELj4294967295EEENS1_25partition_config_selectorILNS1_17partition_subalgoE4EjNS0_10empty_typeEbEEZZNS1_14partition_implILS8_4ELb0ES6_15HIP_vector_typeIjLj2EENS0_17counting_iteratorIjlEEPS9_SG_NS0_5tupleIJPjSI_NS0_16reverse_iteratorISI_EEEEENSH_IJSG_SG_SG_EEES9_SI_JZNS1_25segmented_radix_sort_implINS0_14default_configELb0EPKlPlSQ_SR_N2at6native12_GLOBAL__N_18offset_tEEE10hipError_tPvRmT1_PNSt15iterator_traitsISZ_E10value_typeET2_T3_PNS10_IS15_E10value_typeET4_jRbjT5_S1B_jjP12ihipStream_tbEUljE_ZNSN_ISO_Lb0ESQ_SR_SQ_SR_SV_EESW_SX_SY_SZ_S13_S14_S15_S18_S19_jS1A_jS1B_S1B_jjS1D_bEUljE0_EEESW_SX_SY_S15_S19_S1B_T6_T7_T9_mT8_S1D_bDpT10_ENKUlT_T0_E_clISt17integral_constantIbLb1EES1Q_IbLb0EEEEDaS1M_S1N_EUlS1M_E_NS1_11comp_targetILNS1_3genE9ELNS1_11target_archE1100ELNS1_3gpuE3ELNS1_3repE0EEENS1_30default_config_static_selectorELNS0_4arch9wavefront6targetE0EEEvSZ_,@function
_ZN7rocprim17ROCPRIM_400000_NS6detail17trampoline_kernelINS0_13select_configILj256ELj13ELNS0_17block_load_methodE3ELS4_3ELS4_3ELNS0_20block_scan_algorithmE0ELj4294967295EEENS1_25partition_config_selectorILNS1_17partition_subalgoE4EjNS0_10empty_typeEbEEZZNS1_14partition_implILS8_4ELb0ES6_15HIP_vector_typeIjLj2EENS0_17counting_iteratorIjlEEPS9_SG_NS0_5tupleIJPjSI_NS0_16reverse_iteratorISI_EEEEENSH_IJSG_SG_SG_EEES9_SI_JZNS1_25segmented_radix_sort_implINS0_14default_configELb0EPKlPlSQ_SR_N2at6native12_GLOBAL__N_18offset_tEEE10hipError_tPvRmT1_PNSt15iterator_traitsISZ_E10value_typeET2_T3_PNS10_IS15_E10value_typeET4_jRbjT5_S1B_jjP12ihipStream_tbEUljE_ZNSN_ISO_Lb0ESQ_SR_SQ_SR_SV_EESW_SX_SY_SZ_S13_S14_S15_S18_S19_jS1A_jS1B_S1B_jjS1D_bEUljE0_EEESW_SX_SY_S15_S19_S1B_T6_T7_T9_mT8_S1D_bDpT10_ENKUlT_T0_E_clISt17integral_constantIbLb1EES1Q_IbLb0EEEEDaS1M_S1N_EUlS1M_E_NS1_11comp_targetILNS1_3genE9ELNS1_11target_archE1100ELNS1_3gpuE3ELNS1_3repE0EEENS1_30default_config_static_selectorELNS0_4arch9wavefront6targetE0EEEvSZ_: ; @_ZN7rocprim17ROCPRIM_400000_NS6detail17trampoline_kernelINS0_13select_configILj256ELj13ELNS0_17block_load_methodE3ELS4_3ELS4_3ELNS0_20block_scan_algorithmE0ELj4294967295EEENS1_25partition_config_selectorILNS1_17partition_subalgoE4EjNS0_10empty_typeEbEEZZNS1_14partition_implILS8_4ELb0ES6_15HIP_vector_typeIjLj2EENS0_17counting_iteratorIjlEEPS9_SG_NS0_5tupleIJPjSI_NS0_16reverse_iteratorISI_EEEEENSH_IJSG_SG_SG_EEES9_SI_JZNS1_25segmented_radix_sort_implINS0_14default_configELb0EPKlPlSQ_SR_N2at6native12_GLOBAL__N_18offset_tEEE10hipError_tPvRmT1_PNSt15iterator_traitsISZ_E10value_typeET2_T3_PNS10_IS15_E10value_typeET4_jRbjT5_S1B_jjP12ihipStream_tbEUljE_ZNSN_ISO_Lb0ESQ_SR_SQ_SR_SV_EESW_SX_SY_SZ_S13_S14_S15_S18_S19_jS1A_jS1B_S1B_jjS1D_bEUljE0_EEESW_SX_SY_S15_S19_S1B_T6_T7_T9_mT8_S1D_bDpT10_ENKUlT_T0_E_clISt17integral_constantIbLb1EES1Q_IbLb0EEEEDaS1M_S1N_EUlS1M_E_NS1_11comp_targetILNS1_3genE9ELNS1_11target_archE1100ELNS1_3gpuE3ELNS1_3repE0EEENS1_30default_config_static_selectorELNS0_4arch9wavefront6targetE0EEEvSZ_
; %bb.0:
	.section	.rodata,"a",@progbits
	.p2align	6, 0x0
	.amdhsa_kernel _ZN7rocprim17ROCPRIM_400000_NS6detail17trampoline_kernelINS0_13select_configILj256ELj13ELNS0_17block_load_methodE3ELS4_3ELS4_3ELNS0_20block_scan_algorithmE0ELj4294967295EEENS1_25partition_config_selectorILNS1_17partition_subalgoE4EjNS0_10empty_typeEbEEZZNS1_14partition_implILS8_4ELb0ES6_15HIP_vector_typeIjLj2EENS0_17counting_iteratorIjlEEPS9_SG_NS0_5tupleIJPjSI_NS0_16reverse_iteratorISI_EEEEENSH_IJSG_SG_SG_EEES9_SI_JZNS1_25segmented_radix_sort_implINS0_14default_configELb0EPKlPlSQ_SR_N2at6native12_GLOBAL__N_18offset_tEEE10hipError_tPvRmT1_PNSt15iterator_traitsISZ_E10value_typeET2_T3_PNS10_IS15_E10value_typeET4_jRbjT5_S1B_jjP12ihipStream_tbEUljE_ZNSN_ISO_Lb0ESQ_SR_SQ_SR_SV_EESW_SX_SY_SZ_S13_S14_S15_S18_S19_jS1A_jS1B_S1B_jjS1D_bEUljE0_EEESW_SX_SY_S15_S19_S1B_T6_T7_T9_mT8_S1D_bDpT10_ENKUlT_T0_E_clISt17integral_constantIbLb1EES1Q_IbLb0EEEEDaS1M_S1N_EUlS1M_E_NS1_11comp_targetILNS1_3genE9ELNS1_11target_archE1100ELNS1_3gpuE3ELNS1_3repE0EEENS1_30default_config_static_selectorELNS0_4arch9wavefront6targetE0EEEvSZ_
		.amdhsa_group_segment_fixed_size 0
		.amdhsa_private_segment_fixed_size 0
		.amdhsa_kernarg_size 176
		.amdhsa_user_sgpr_count 2
		.amdhsa_user_sgpr_dispatch_ptr 0
		.amdhsa_user_sgpr_queue_ptr 0
		.amdhsa_user_sgpr_kernarg_segment_ptr 1
		.amdhsa_user_sgpr_dispatch_id 0
		.amdhsa_user_sgpr_private_segment_size 0
		.amdhsa_wavefront_size32 1
		.amdhsa_uses_dynamic_stack 0
		.amdhsa_enable_private_segment 0
		.amdhsa_system_sgpr_workgroup_id_x 1
		.amdhsa_system_sgpr_workgroup_id_y 0
		.amdhsa_system_sgpr_workgroup_id_z 0
		.amdhsa_system_sgpr_workgroup_info 0
		.amdhsa_system_vgpr_workitem_id 0
		.amdhsa_next_free_vgpr 1
		.amdhsa_next_free_sgpr 1
		.amdhsa_reserve_vcc 0
		.amdhsa_float_round_mode_32 0
		.amdhsa_float_round_mode_16_64 0
		.amdhsa_float_denorm_mode_32 3
		.amdhsa_float_denorm_mode_16_64 3
		.amdhsa_fp16_overflow 0
		.amdhsa_workgroup_processor_mode 1
		.amdhsa_memory_ordered 1
		.amdhsa_forward_progress 1
		.amdhsa_inst_pref_size 0
		.amdhsa_round_robin_scheduling 0
		.amdhsa_exception_fp_ieee_invalid_op 0
		.amdhsa_exception_fp_denorm_src 0
		.amdhsa_exception_fp_ieee_div_zero 0
		.amdhsa_exception_fp_ieee_overflow 0
		.amdhsa_exception_fp_ieee_underflow 0
		.amdhsa_exception_fp_ieee_inexact 0
		.amdhsa_exception_int_div_zero 0
	.end_amdhsa_kernel
	.section	.text._ZN7rocprim17ROCPRIM_400000_NS6detail17trampoline_kernelINS0_13select_configILj256ELj13ELNS0_17block_load_methodE3ELS4_3ELS4_3ELNS0_20block_scan_algorithmE0ELj4294967295EEENS1_25partition_config_selectorILNS1_17partition_subalgoE4EjNS0_10empty_typeEbEEZZNS1_14partition_implILS8_4ELb0ES6_15HIP_vector_typeIjLj2EENS0_17counting_iteratorIjlEEPS9_SG_NS0_5tupleIJPjSI_NS0_16reverse_iteratorISI_EEEEENSH_IJSG_SG_SG_EEES9_SI_JZNS1_25segmented_radix_sort_implINS0_14default_configELb0EPKlPlSQ_SR_N2at6native12_GLOBAL__N_18offset_tEEE10hipError_tPvRmT1_PNSt15iterator_traitsISZ_E10value_typeET2_T3_PNS10_IS15_E10value_typeET4_jRbjT5_S1B_jjP12ihipStream_tbEUljE_ZNSN_ISO_Lb0ESQ_SR_SQ_SR_SV_EESW_SX_SY_SZ_S13_S14_S15_S18_S19_jS1A_jS1B_S1B_jjS1D_bEUljE0_EEESW_SX_SY_S15_S19_S1B_T6_T7_T9_mT8_S1D_bDpT10_ENKUlT_T0_E_clISt17integral_constantIbLb1EES1Q_IbLb0EEEEDaS1M_S1N_EUlS1M_E_NS1_11comp_targetILNS1_3genE9ELNS1_11target_archE1100ELNS1_3gpuE3ELNS1_3repE0EEENS1_30default_config_static_selectorELNS0_4arch9wavefront6targetE0EEEvSZ_,"axG",@progbits,_ZN7rocprim17ROCPRIM_400000_NS6detail17trampoline_kernelINS0_13select_configILj256ELj13ELNS0_17block_load_methodE3ELS4_3ELS4_3ELNS0_20block_scan_algorithmE0ELj4294967295EEENS1_25partition_config_selectorILNS1_17partition_subalgoE4EjNS0_10empty_typeEbEEZZNS1_14partition_implILS8_4ELb0ES6_15HIP_vector_typeIjLj2EENS0_17counting_iteratorIjlEEPS9_SG_NS0_5tupleIJPjSI_NS0_16reverse_iteratorISI_EEEEENSH_IJSG_SG_SG_EEES9_SI_JZNS1_25segmented_radix_sort_implINS0_14default_configELb0EPKlPlSQ_SR_N2at6native12_GLOBAL__N_18offset_tEEE10hipError_tPvRmT1_PNSt15iterator_traitsISZ_E10value_typeET2_T3_PNS10_IS15_E10value_typeET4_jRbjT5_S1B_jjP12ihipStream_tbEUljE_ZNSN_ISO_Lb0ESQ_SR_SQ_SR_SV_EESW_SX_SY_SZ_S13_S14_S15_S18_S19_jS1A_jS1B_S1B_jjS1D_bEUljE0_EEESW_SX_SY_S15_S19_S1B_T6_T7_T9_mT8_S1D_bDpT10_ENKUlT_T0_E_clISt17integral_constantIbLb1EES1Q_IbLb0EEEEDaS1M_S1N_EUlS1M_E_NS1_11comp_targetILNS1_3genE9ELNS1_11target_archE1100ELNS1_3gpuE3ELNS1_3repE0EEENS1_30default_config_static_selectorELNS0_4arch9wavefront6targetE0EEEvSZ_,comdat
.Lfunc_end765:
	.size	_ZN7rocprim17ROCPRIM_400000_NS6detail17trampoline_kernelINS0_13select_configILj256ELj13ELNS0_17block_load_methodE3ELS4_3ELS4_3ELNS0_20block_scan_algorithmE0ELj4294967295EEENS1_25partition_config_selectorILNS1_17partition_subalgoE4EjNS0_10empty_typeEbEEZZNS1_14partition_implILS8_4ELb0ES6_15HIP_vector_typeIjLj2EENS0_17counting_iteratorIjlEEPS9_SG_NS0_5tupleIJPjSI_NS0_16reverse_iteratorISI_EEEEENSH_IJSG_SG_SG_EEES9_SI_JZNS1_25segmented_radix_sort_implINS0_14default_configELb0EPKlPlSQ_SR_N2at6native12_GLOBAL__N_18offset_tEEE10hipError_tPvRmT1_PNSt15iterator_traitsISZ_E10value_typeET2_T3_PNS10_IS15_E10value_typeET4_jRbjT5_S1B_jjP12ihipStream_tbEUljE_ZNSN_ISO_Lb0ESQ_SR_SQ_SR_SV_EESW_SX_SY_SZ_S13_S14_S15_S18_S19_jS1A_jS1B_S1B_jjS1D_bEUljE0_EEESW_SX_SY_S15_S19_S1B_T6_T7_T9_mT8_S1D_bDpT10_ENKUlT_T0_E_clISt17integral_constantIbLb1EES1Q_IbLb0EEEEDaS1M_S1N_EUlS1M_E_NS1_11comp_targetILNS1_3genE9ELNS1_11target_archE1100ELNS1_3gpuE3ELNS1_3repE0EEENS1_30default_config_static_selectorELNS0_4arch9wavefront6targetE0EEEvSZ_, .Lfunc_end765-_ZN7rocprim17ROCPRIM_400000_NS6detail17trampoline_kernelINS0_13select_configILj256ELj13ELNS0_17block_load_methodE3ELS4_3ELS4_3ELNS0_20block_scan_algorithmE0ELj4294967295EEENS1_25partition_config_selectorILNS1_17partition_subalgoE4EjNS0_10empty_typeEbEEZZNS1_14partition_implILS8_4ELb0ES6_15HIP_vector_typeIjLj2EENS0_17counting_iteratorIjlEEPS9_SG_NS0_5tupleIJPjSI_NS0_16reverse_iteratorISI_EEEEENSH_IJSG_SG_SG_EEES9_SI_JZNS1_25segmented_radix_sort_implINS0_14default_configELb0EPKlPlSQ_SR_N2at6native12_GLOBAL__N_18offset_tEEE10hipError_tPvRmT1_PNSt15iterator_traitsISZ_E10value_typeET2_T3_PNS10_IS15_E10value_typeET4_jRbjT5_S1B_jjP12ihipStream_tbEUljE_ZNSN_ISO_Lb0ESQ_SR_SQ_SR_SV_EESW_SX_SY_SZ_S13_S14_S15_S18_S19_jS1A_jS1B_S1B_jjS1D_bEUljE0_EEESW_SX_SY_S15_S19_S1B_T6_T7_T9_mT8_S1D_bDpT10_ENKUlT_T0_E_clISt17integral_constantIbLb1EES1Q_IbLb0EEEEDaS1M_S1N_EUlS1M_E_NS1_11comp_targetILNS1_3genE9ELNS1_11target_archE1100ELNS1_3gpuE3ELNS1_3repE0EEENS1_30default_config_static_selectorELNS0_4arch9wavefront6targetE0EEEvSZ_
                                        ; -- End function
	.set _ZN7rocprim17ROCPRIM_400000_NS6detail17trampoline_kernelINS0_13select_configILj256ELj13ELNS0_17block_load_methodE3ELS4_3ELS4_3ELNS0_20block_scan_algorithmE0ELj4294967295EEENS1_25partition_config_selectorILNS1_17partition_subalgoE4EjNS0_10empty_typeEbEEZZNS1_14partition_implILS8_4ELb0ES6_15HIP_vector_typeIjLj2EENS0_17counting_iteratorIjlEEPS9_SG_NS0_5tupleIJPjSI_NS0_16reverse_iteratorISI_EEEEENSH_IJSG_SG_SG_EEES9_SI_JZNS1_25segmented_radix_sort_implINS0_14default_configELb0EPKlPlSQ_SR_N2at6native12_GLOBAL__N_18offset_tEEE10hipError_tPvRmT1_PNSt15iterator_traitsISZ_E10value_typeET2_T3_PNS10_IS15_E10value_typeET4_jRbjT5_S1B_jjP12ihipStream_tbEUljE_ZNSN_ISO_Lb0ESQ_SR_SQ_SR_SV_EESW_SX_SY_SZ_S13_S14_S15_S18_S19_jS1A_jS1B_S1B_jjS1D_bEUljE0_EEESW_SX_SY_S15_S19_S1B_T6_T7_T9_mT8_S1D_bDpT10_ENKUlT_T0_E_clISt17integral_constantIbLb1EES1Q_IbLb0EEEEDaS1M_S1N_EUlS1M_E_NS1_11comp_targetILNS1_3genE9ELNS1_11target_archE1100ELNS1_3gpuE3ELNS1_3repE0EEENS1_30default_config_static_selectorELNS0_4arch9wavefront6targetE0EEEvSZ_.num_vgpr, 0
	.set _ZN7rocprim17ROCPRIM_400000_NS6detail17trampoline_kernelINS0_13select_configILj256ELj13ELNS0_17block_load_methodE3ELS4_3ELS4_3ELNS0_20block_scan_algorithmE0ELj4294967295EEENS1_25partition_config_selectorILNS1_17partition_subalgoE4EjNS0_10empty_typeEbEEZZNS1_14partition_implILS8_4ELb0ES6_15HIP_vector_typeIjLj2EENS0_17counting_iteratorIjlEEPS9_SG_NS0_5tupleIJPjSI_NS0_16reverse_iteratorISI_EEEEENSH_IJSG_SG_SG_EEES9_SI_JZNS1_25segmented_radix_sort_implINS0_14default_configELb0EPKlPlSQ_SR_N2at6native12_GLOBAL__N_18offset_tEEE10hipError_tPvRmT1_PNSt15iterator_traitsISZ_E10value_typeET2_T3_PNS10_IS15_E10value_typeET4_jRbjT5_S1B_jjP12ihipStream_tbEUljE_ZNSN_ISO_Lb0ESQ_SR_SQ_SR_SV_EESW_SX_SY_SZ_S13_S14_S15_S18_S19_jS1A_jS1B_S1B_jjS1D_bEUljE0_EEESW_SX_SY_S15_S19_S1B_T6_T7_T9_mT8_S1D_bDpT10_ENKUlT_T0_E_clISt17integral_constantIbLb1EES1Q_IbLb0EEEEDaS1M_S1N_EUlS1M_E_NS1_11comp_targetILNS1_3genE9ELNS1_11target_archE1100ELNS1_3gpuE3ELNS1_3repE0EEENS1_30default_config_static_selectorELNS0_4arch9wavefront6targetE0EEEvSZ_.num_agpr, 0
	.set _ZN7rocprim17ROCPRIM_400000_NS6detail17trampoline_kernelINS0_13select_configILj256ELj13ELNS0_17block_load_methodE3ELS4_3ELS4_3ELNS0_20block_scan_algorithmE0ELj4294967295EEENS1_25partition_config_selectorILNS1_17partition_subalgoE4EjNS0_10empty_typeEbEEZZNS1_14partition_implILS8_4ELb0ES6_15HIP_vector_typeIjLj2EENS0_17counting_iteratorIjlEEPS9_SG_NS0_5tupleIJPjSI_NS0_16reverse_iteratorISI_EEEEENSH_IJSG_SG_SG_EEES9_SI_JZNS1_25segmented_radix_sort_implINS0_14default_configELb0EPKlPlSQ_SR_N2at6native12_GLOBAL__N_18offset_tEEE10hipError_tPvRmT1_PNSt15iterator_traitsISZ_E10value_typeET2_T3_PNS10_IS15_E10value_typeET4_jRbjT5_S1B_jjP12ihipStream_tbEUljE_ZNSN_ISO_Lb0ESQ_SR_SQ_SR_SV_EESW_SX_SY_SZ_S13_S14_S15_S18_S19_jS1A_jS1B_S1B_jjS1D_bEUljE0_EEESW_SX_SY_S15_S19_S1B_T6_T7_T9_mT8_S1D_bDpT10_ENKUlT_T0_E_clISt17integral_constantIbLb1EES1Q_IbLb0EEEEDaS1M_S1N_EUlS1M_E_NS1_11comp_targetILNS1_3genE9ELNS1_11target_archE1100ELNS1_3gpuE3ELNS1_3repE0EEENS1_30default_config_static_selectorELNS0_4arch9wavefront6targetE0EEEvSZ_.numbered_sgpr, 0
	.set _ZN7rocprim17ROCPRIM_400000_NS6detail17trampoline_kernelINS0_13select_configILj256ELj13ELNS0_17block_load_methodE3ELS4_3ELS4_3ELNS0_20block_scan_algorithmE0ELj4294967295EEENS1_25partition_config_selectorILNS1_17partition_subalgoE4EjNS0_10empty_typeEbEEZZNS1_14partition_implILS8_4ELb0ES6_15HIP_vector_typeIjLj2EENS0_17counting_iteratorIjlEEPS9_SG_NS0_5tupleIJPjSI_NS0_16reverse_iteratorISI_EEEEENSH_IJSG_SG_SG_EEES9_SI_JZNS1_25segmented_radix_sort_implINS0_14default_configELb0EPKlPlSQ_SR_N2at6native12_GLOBAL__N_18offset_tEEE10hipError_tPvRmT1_PNSt15iterator_traitsISZ_E10value_typeET2_T3_PNS10_IS15_E10value_typeET4_jRbjT5_S1B_jjP12ihipStream_tbEUljE_ZNSN_ISO_Lb0ESQ_SR_SQ_SR_SV_EESW_SX_SY_SZ_S13_S14_S15_S18_S19_jS1A_jS1B_S1B_jjS1D_bEUljE0_EEESW_SX_SY_S15_S19_S1B_T6_T7_T9_mT8_S1D_bDpT10_ENKUlT_T0_E_clISt17integral_constantIbLb1EES1Q_IbLb0EEEEDaS1M_S1N_EUlS1M_E_NS1_11comp_targetILNS1_3genE9ELNS1_11target_archE1100ELNS1_3gpuE3ELNS1_3repE0EEENS1_30default_config_static_selectorELNS0_4arch9wavefront6targetE0EEEvSZ_.num_named_barrier, 0
	.set _ZN7rocprim17ROCPRIM_400000_NS6detail17trampoline_kernelINS0_13select_configILj256ELj13ELNS0_17block_load_methodE3ELS4_3ELS4_3ELNS0_20block_scan_algorithmE0ELj4294967295EEENS1_25partition_config_selectorILNS1_17partition_subalgoE4EjNS0_10empty_typeEbEEZZNS1_14partition_implILS8_4ELb0ES6_15HIP_vector_typeIjLj2EENS0_17counting_iteratorIjlEEPS9_SG_NS0_5tupleIJPjSI_NS0_16reverse_iteratorISI_EEEEENSH_IJSG_SG_SG_EEES9_SI_JZNS1_25segmented_radix_sort_implINS0_14default_configELb0EPKlPlSQ_SR_N2at6native12_GLOBAL__N_18offset_tEEE10hipError_tPvRmT1_PNSt15iterator_traitsISZ_E10value_typeET2_T3_PNS10_IS15_E10value_typeET4_jRbjT5_S1B_jjP12ihipStream_tbEUljE_ZNSN_ISO_Lb0ESQ_SR_SQ_SR_SV_EESW_SX_SY_SZ_S13_S14_S15_S18_S19_jS1A_jS1B_S1B_jjS1D_bEUljE0_EEESW_SX_SY_S15_S19_S1B_T6_T7_T9_mT8_S1D_bDpT10_ENKUlT_T0_E_clISt17integral_constantIbLb1EES1Q_IbLb0EEEEDaS1M_S1N_EUlS1M_E_NS1_11comp_targetILNS1_3genE9ELNS1_11target_archE1100ELNS1_3gpuE3ELNS1_3repE0EEENS1_30default_config_static_selectorELNS0_4arch9wavefront6targetE0EEEvSZ_.private_seg_size, 0
	.set _ZN7rocprim17ROCPRIM_400000_NS6detail17trampoline_kernelINS0_13select_configILj256ELj13ELNS0_17block_load_methodE3ELS4_3ELS4_3ELNS0_20block_scan_algorithmE0ELj4294967295EEENS1_25partition_config_selectorILNS1_17partition_subalgoE4EjNS0_10empty_typeEbEEZZNS1_14partition_implILS8_4ELb0ES6_15HIP_vector_typeIjLj2EENS0_17counting_iteratorIjlEEPS9_SG_NS0_5tupleIJPjSI_NS0_16reverse_iteratorISI_EEEEENSH_IJSG_SG_SG_EEES9_SI_JZNS1_25segmented_radix_sort_implINS0_14default_configELb0EPKlPlSQ_SR_N2at6native12_GLOBAL__N_18offset_tEEE10hipError_tPvRmT1_PNSt15iterator_traitsISZ_E10value_typeET2_T3_PNS10_IS15_E10value_typeET4_jRbjT5_S1B_jjP12ihipStream_tbEUljE_ZNSN_ISO_Lb0ESQ_SR_SQ_SR_SV_EESW_SX_SY_SZ_S13_S14_S15_S18_S19_jS1A_jS1B_S1B_jjS1D_bEUljE0_EEESW_SX_SY_S15_S19_S1B_T6_T7_T9_mT8_S1D_bDpT10_ENKUlT_T0_E_clISt17integral_constantIbLb1EES1Q_IbLb0EEEEDaS1M_S1N_EUlS1M_E_NS1_11comp_targetILNS1_3genE9ELNS1_11target_archE1100ELNS1_3gpuE3ELNS1_3repE0EEENS1_30default_config_static_selectorELNS0_4arch9wavefront6targetE0EEEvSZ_.uses_vcc, 0
	.set _ZN7rocprim17ROCPRIM_400000_NS6detail17trampoline_kernelINS0_13select_configILj256ELj13ELNS0_17block_load_methodE3ELS4_3ELS4_3ELNS0_20block_scan_algorithmE0ELj4294967295EEENS1_25partition_config_selectorILNS1_17partition_subalgoE4EjNS0_10empty_typeEbEEZZNS1_14partition_implILS8_4ELb0ES6_15HIP_vector_typeIjLj2EENS0_17counting_iteratorIjlEEPS9_SG_NS0_5tupleIJPjSI_NS0_16reverse_iteratorISI_EEEEENSH_IJSG_SG_SG_EEES9_SI_JZNS1_25segmented_radix_sort_implINS0_14default_configELb0EPKlPlSQ_SR_N2at6native12_GLOBAL__N_18offset_tEEE10hipError_tPvRmT1_PNSt15iterator_traitsISZ_E10value_typeET2_T3_PNS10_IS15_E10value_typeET4_jRbjT5_S1B_jjP12ihipStream_tbEUljE_ZNSN_ISO_Lb0ESQ_SR_SQ_SR_SV_EESW_SX_SY_SZ_S13_S14_S15_S18_S19_jS1A_jS1B_S1B_jjS1D_bEUljE0_EEESW_SX_SY_S15_S19_S1B_T6_T7_T9_mT8_S1D_bDpT10_ENKUlT_T0_E_clISt17integral_constantIbLb1EES1Q_IbLb0EEEEDaS1M_S1N_EUlS1M_E_NS1_11comp_targetILNS1_3genE9ELNS1_11target_archE1100ELNS1_3gpuE3ELNS1_3repE0EEENS1_30default_config_static_selectorELNS0_4arch9wavefront6targetE0EEEvSZ_.uses_flat_scratch, 0
	.set _ZN7rocprim17ROCPRIM_400000_NS6detail17trampoline_kernelINS0_13select_configILj256ELj13ELNS0_17block_load_methodE3ELS4_3ELS4_3ELNS0_20block_scan_algorithmE0ELj4294967295EEENS1_25partition_config_selectorILNS1_17partition_subalgoE4EjNS0_10empty_typeEbEEZZNS1_14partition_implILS8_4ELb0ES6_15HIP_vector_typeIjLj2EENS0_17counting_iteratorIjlEEPS9_SG_NS0_5tupleIJPjSI_NS0_16reverse_iteratorISI_EEEEENSH_IJSG_SG_SG_EEES9_SI_JZNS1_25segmented_radix_sort_implINS0_14default_configELb0EPKlPlSQ_SR_N2at6native12_GLOBAL__N_18offset_tEEE10hipError_tPvRmT1_PNSt15iterator_traitsISZ_E10value_typeET2_T3_PNS10_IS15_E10value_typeET4_jRbjT5_S1B_jjP12ihipStream_tbEUljE_ZNSN_ISO_Lb0ESQ_SR_SQ_SR_SV_EESW_SX_SY_SZ_S13_S14_S15_S18_S19_jS1A_jS1B_S1B_jjS1D_bEUljE0_EEESW_SX_SY_S15_S19_S1B_T6_T7_T9_mT8_S1D_bDpT10_ENKUlT_T0_E_clISt17integral_constantIbLb1EES1Q_IbLb0EEEEDaS1M_S1N_EUlS1M_E_NS1_11comp_targetILNS1_3genE9ELNS1_11target_archE1100ELNS1_3gpuE3ELNS1_3repE0EEENS1_30default_config_static_selectorELNS0_4arch9wavefront6targetE0EEEvSZ_.has_dyn_sized_stack, 0
	.set _ZN7rocprim17ROCPRIM_400000_NS6detail17trampoline_kernelINS0_13select_configILj256ELj13ELNS0_17block_load_methodE3ELS4_3ELS4_3ELNS0_20block_scan_algorithmE0ELj4294967295EEENS1_25partition_config_selectorILNS1_17partition_subalgoE4EjNS0_10empty_typeEbEEZZNS1_14partition_implILS8_4ELb0ES6_15HIP_vector_typeIjLj2EENS0_17counting_iteratorIjlEEPS9_SG_NS0_5tupleIJPjSI_NS0_16reverse_iteratorISI_EEEEENSH_IJSG_SG_SG_EEES9_SI_JZNS1_25segmented_radix_sort_implINS0_14default_configELb0EPKlPlSQ_SR_N2at6native12_GLOBAL__N_18offset_tEEE10hipError_tPvRmT1_PNSt15iterator_traitsISZ_E10value_typeET2_T3_PNS10_IS15_E10value_typeET4_jRbjT5_S1B_jjP12ihipStream_tbEUljE_ZNSN_ISO_Lb0ESQ_SR_SQ_SR_SV_EESW_SX_SY_SZ_S13_S14_S15_S18_S19_jS1A_jS1B_S1B_jjS1D_bEUljE0_EEESW_SX_SY_S15_S19_S1B_T6_T7_T9_mT8_S1D_bDpT10_ENKUlT_T0_E_clISt17integral_constantIbLb1EES1Q_IbLb0EEEEDaS1M_S1N_EUlS1M_E_NS1_11comp_targetILNS1_3genE9ELNS1_11target_archE1100ELNS1_3gpuE3ELNS1_3repE0EEENS1_30default_config_static_selectorELNS0_4arch9wavefront6targetE0EEEvSZ_.has_recursion, 0
	.set _ZN7rocprim17ROCPRIM_400000_NS6detail17trampoline_kernelINS0_13select_configILj256ELj13ELNS0_17block_load_methodE3ELS4_3ELS4_3ELNS0_20block_scan_algorithmE0ELj4294967295EEENS1_25partition_config_selectorILNS1_17partition_subalgoE4EjNS0_10empty_typeEbEEZZNS1_14partition_implILS8_4ELb0ES6_15HIP_vector_typeIjLj2EENS0_17counting_iteratorIjlEEPS9_SG_NS0_5tupleIJPjSI_NS0_16reverse_iteratorISI_EEEEENSH_IJSG_SG_SG_EEES9_SI_JZNS1_25segmented_radix_sort_implINS0_14default_configELb0EPKlPlSQ_SR_N2at6native12_GLOBAL__N_18offset_tEEE10hipError_tPvRmT1_PNSt15iterator_traitsISZ_E10value_typeET2_T3_PNS10_IS15_E10value_typeET4_jRbjT5_S1B_jjP12ihipStream_tbEUljE_ZNSN_ISO_Lb0ESQ_SR_SQ_SR_SV_EESW_SX_SY_SZ_S13_S14_S15_S18_S19_jS1A_jS1B_S1B_jjS1D_bEUljE0_EEESW_SX_SY_S15_S19_S1B_T6_T7_T9_mT8_S1D_bDpT10_ENKUlT_T0_E_clISt17integral_constantIbLb1EES1Q_IbLb0EEEEDaS1M_S1N_EUlS1M_E_NS1_11comp_targetILNS1_3genE9ELNS1_11target_archE1100ELNS1_3gpuE3ELNS1_3repE0EEENS1_30default_config_static_selectorELNS0_4arch9wavefront6targetE0EEEvSZ_.has_indirect_call, 0
	.section	.AMDGPU.csdata,"",@progbits
; Kernel info:
; codeLenInByte = 0
; TotalNumSgprs: 0
; NumVgprs: 0
; ScratchSize: 0
; MemoryBound: 0
; FloatMode: 240
; IeeeMode: 1
; LDSByteSize: 0 bytes/workgroup (compile time only)
; SGPRBlocks: 0
; VGPRBlocks: 0
; NumSGPRsForWavesPerEU: 1
; NumVGPRsForWavesPerEU: 1
; Occupancy: 16
; WaveLimiterHint : 0
; COMPUTE_PGM_RSRC2:SCRATCH_EN: 0
; COMPUTE_PGM_RSRC2:USER_SGPR: 2
; COMPUTE_PGM_RSRC2:TRAP_HANDLER: 0
; COMPUTE_PGM_RSRC2:TGID_X_EN: 1
; COMPUTE_PGM_RSRC2:TGID_Y_EN: 0
; COMPUTE_PGM_RSRC2:TGID_Z_EN: 0
; COMPUTE_PGM_RSRC2:TIDIG_COMP_CNT: 0
	.section	.text._ZN7rocprim17ROCPRIM_400000_NS6detail17trampoline_kernelINS0_13select_configILj256ELj13ELNS0_17block_load_methodE3ELS4_3ELS4_3ELNS0_20block_scan_algorithmE0ELj4294967295EEENS1_25partition_config_selectorILNS1_17partition_subalgoE4EjNS0_10empty_typeEbEEZZNS1_14partition_implILS8_4ELb0ES6_15HIP_vector_typeIjLj2EENS0_17counting_iteratorIjlEEPS9_SG_NS0_5tupleIJPjSI_NS0_16reverse_iteratorISI_EEEEENSH_IJSG_SG_SG_EEES9_SI_JZNS1_25segmented_radix_sort_implINS0_14default_configELb0EPKlPlSQ_SR_N2at6native12_GLOBAL__N_18offset_tEEE10hipError_tPvRmT1_PNSt15iterator_traitsISZ_E10value_typeET2_T3_PNS10_IS15_E10value_typeET4_jRbjT5_S1B_jjP12ihipStream_tbEUljE_ZNSN_ISO_Lb0ESQ_SR_SQ_SR_SV_EESW_SX_SY_SZ_S13_S14_S15_S18_S19_jS1A_jS1B_S1B_jjS1D_bEUljE0_EEESW_SX_SY_S15_S19_S1B_T6_T7_T9_mT8_S1D_bDpT10_ENKUlT_T0_E_clISt17integral_constantIbLb1EES1Q_IbLb0EEEEDaS1M_S1N_EUlS1M_E_NS1_11comp_targetILNS1_3genE8ELNS1_11target_archE1030ELNS1_3gpuE2ELNS1_3repE0EEENS1_30default_config_static_selectorELNS0_4arch9wavefront6targetE0EEEvSZ_,"axG",@progbits,_ZN7rocprim17ROCPRIM_400000_NS6detail17trampoline_kernelINS0_13select_configILj256ELj13ELNS0_17block_load_methodE3ELS4_3ELS4_3ELNS0_20block_scan_algorithmE0ELj4294967295EEENS1_25partition_config_selectorILNS1_17partition_subalgoE4EjNS0_10empty_typeEbEEZZNS1_14partition_implILS8_4ELb0ES6_15HIP_vector_typeIjLj2EENS0_17counting_iteratorIjlEEPS9_SG_NS0_5tupleIJPjSI_NS0_16reverse_iteratorISI_EEEEENSH_IJSG_SG_SG_EEES9_SI_JZNS1_25segmented_radix_sort_implINS0_14default_configELb0EPKlPlSQ_SR_N2at6native12_GLOBAL__N_18offset_tEEE10hipError_tPvRmT1_PNSt15iterator_traitsISZ_E10value_typeET2_T3_PNS10_IS15_E10value_typeET4_jRbjT5_S1B_jjP12ihipStream_tbEUljE_ZNSN_ISO_Lb0ESQ_SR_SQ_SR_SV_EESW_SX_SY_SZ_S13_S14_S15_S18_S19_jS1A_jS1B_S1B_jjS1D_bEUljE0_EEESW_SX_SY_S15_S19_S1B_T6_T7_T9_mT8_S1D_bDpT10_ENKUlT_T0_E_clISt17integral_constantIbLb1EES1Q_IbLb0EEEEDaS1M_S1N_EUlS1M_E_NS1_11comp_targetILNS1_3genE8ELNS1_11target_archE1030ELNS1_3gpuE2ELNS1_3repE0EEENS1_30default_config_static_selectorELNS0_4arch9wavefront6targetE0EEEvSZ_,comdat
	.globl	_ZN7rocprim17ROCPRIM_400000_NS6detail17trampoline_kernelINS0_13select_configILj256ELj13ELNS0_17block_load_methodE3ELS4_3ELS4_3ELNS0_20block_scan_algorithmE0ELj4294967295EEENS1_25partition_config_selectorILNS1_17partition_subalgoE4EjNS0_10empty_typeEbEEZZNS1_14partition_implILS8_4ELb0ES6_15HIP_vector_typeIjLj2EENS0_17counting_iteratorIjlEEPS9_SG_NS0_5tupleIJPjSI_NS0_16reverse_iteratorISI_EEEEENSH_IJSG_SG_SG_EEES9_SI_JZNS1_25segmented_radix_sort_implINS0_14default_configELb0EPKlPlSQ_SR_N2at6native12_GLOBAL__N_18offset_tEEE10hipError_tPvRmT1_PNSt15iterator_traitsISZ_E10value_typeET2_T3_PNS10_IS15_E10value_typeET4_jRbjT5_S1B_jjP12ihipStream_tbEUljE_ZNSN_ISO_Lb0ESQ_SR_SQ_SR_SV_EESW_SX_SY_SZ_S13_S14_S15_S18_S19_jS1A_jS1B_S1B_jjS1D_bEUljE0_EEESW_SX_SY_S15_S19_S1B_T6_T7_T9_mT8_S1D_bDpT10_ENKUlT_T0_E_clISt17integral_constantIbLb1EES1Q_IbLb0EEEEDaS1M_S1N_EUlS1M_E_NS1_11comp_targetILNS1_3genE8ELNS1_11target_archE1030ELNS1_3gpuE2ELNS1_3repE0EEENS1_30default_config_static_selectorELNS0_4arch9wavefront6targetE0EEEvSZ_ ; -- Begin function _ZN7rocprim17ROCPRIM_400000_NS6detail17trampoline_kernelINS0_13select_configILj256ELj13ELNS0_17block_load_methodE3ELS4_3ELS4_3ELNS0_20block_scan_algorithmE0ELj4294967295EEENS1_25partition_config_selectorILNS1_17partition_subalgoE4EjNS0_10empty_typeEbEEZZNS1_14partition_implILS8_4ELb0ES6_15HIP_vector_typeIjLj2EENS0_17counting_iteratorIjlEEPS9_SG_NS0_5tupleIJPjSI_NS0_16reverse_iteratorISI_EEEEENSH_IJSG_SG_SG_EEES9_SI_JZNS1_25segmented_radix_sort_implINS0_14default_configELb0EPKlPlSQ_SR_N2at6native12_GLOBAL__N_18offset_tEEE10hipError_tPvRmT1_PNSt15iterator_traitsISZ_E10value_typeET2_T3_PNS10_IS15_E10value_typeET4_jRbjT5_S1B_jjP12ihipStream_tbEUljE_ZNSN_ISO_Lb0ESQ_SR_SQ_SR_SV_EESW_SX_SY_SZ_S13_S14_S15_S18_S19_jS1A_jS1B_S1B_jjS1D_bEUljE0_EEESW_SX_SY_S15_S19_S1B_T6_T7_T9_mT8_S1D_bDpT10_ENKUlT_T0_E_clISt17integral_constantIbLb1EES1Q_IbLb0EEEEDaS1M_S1N_EUlS1M_E_NS1_11comp_targetILNS1_3genE8ELNS1_11target_archE1030ELNS1_3gpuE2ELNS1_3repE0EEENS1_30default_config_static_selectorELNS0_4arch9wavefront6targetE0EEEvSZ_
	.p2align	8
	.type	_ZN7rocprim17ROCPRIM_400000_NS6detail17trampoline_kernelINS0_13select_configILj256ELj13ELNS0_17block_load_methodE3ELS4_3ELS4_3ELNS0_20block_scan_algorithmE0ELj4294967295EEENS1_25partition_config_selectorILNS1_17partition_subalgoE4EjNS0_10empty_typeEbEEZZNS1_14partition_implILS8_4ELb0ES6_15HIP_vector_typeIjLj2EENS0_17counting_iteratorIjlEEPS9_SG_NS0_5tupleIJPjSI_NS0_16reverse_iteratorISI_EEEEENSH_IJSG_SG_SG_EEES9_SI_JZNS1_25segmented_radix_sort_implINS0_14default_configELb0EPKlPlSQ_SR_N2at6native12_GLOBAL__N_18offset_tEEE10hipError_tPvRmT1_PNSt15iterator_traitsISZ_E10value_typeET2_T3_PNS10_IS15_E10value_typeET4_jRbjT5_S1B_jjP12ihipStream_tbEUljE_ZNSN_ISO_Lb0ESQ_SR_SQ_SR_SV_EESW_SX_SY_SZ_S13_S14_S15_S18_S19_jS1A_jS1B_S1B_jjS1D_bEUljE0_EEESW_SX_SY_S15_S19_S1B_T6_T7_T9_mT8_S1D_bDpT10_ENKUlT_T0_E_clISt17integral_constantIbLb1EES1Q_IbLb0EEEEDaS1M_S1N_EUlS1M_E_NS1_11comp_targetILNS1_3genE8ELNS1_11target_archE1030ELNS1_3gpuE2ELNS1_3repE0EEENS1_30default_config_static_selectorELNS0_4arch9wavefront6targetE0EEEvSZ_,@function
_ZN7rocprim17ROCPRIM_400000_NS6detail17trampoline_kernelINS0_13select_configILj256ELj13ELNS0_17block_load_methodE3ELS4_3ELS4_3ELNS0_20block_scan_algorithmE0ELj4294967295EEENS1_25partition_config_selectorILNS1_17partition_subalgoE4EjNS0_10empty_typeEbEEZZNS1_14partition_implILS8_4ELb0ES6_15HIP_vector_typeIjLj2EENS0_17counting_iteratorIjlEEPS9_SG_NS0_5tupleIJPjSI_NS0_16reverse_iteratorISI_EEEEENSH_IJSG_SG_SG_EEES9_SI_JZNS1_25segmented_radix_sort_implINS0_14default_configELb0EPKlPlSQ_SR_N2at6native12_GLOBAL__N_18offset_tEEE10hipError_tPvRmT1_PNSt15iterator_traitsISZ_E10value_typeET2_T3_PNS10_IS15_E10value_typeET4_jRbjT5_S1B_jjP12ihipStream_tbEUljE_ZNSN_ISO_Lb0ESQ_SR_SQ_SR_SV_EESW_SX_SY_SZ_S13_S14_S15_S18_S19_jS1A_jS1B_S1B_jjS1D_bEUljE0_EEESW_SX_SY_S15_S19_S1B_T6_T7_T9_mT8_S1D_bDpT10_ENKUlT_T0_E_clISt17integral_constantIbLb1EES1Q_IbLb0EEEEDaS1M_S1N_EUlS1M_E_NS1_11comp_targetILNS1_3genE8ELNS1_11target_archE1030ELNS1_3gpuE2ELNS1_3repE0EEENS1_30default_config_static_selectorELNS0_4arch9wavefront6targetE0EEEvSZ_: ; @_ZN7rocprim17ROCPRIM_400000_NS6detail17trampoline_kernelINS0_13select_configILj256ELj13ELNS0_17block_load_methodE3ELS4_3ELS4_3ELNS0_20block_scan_algorithmE0ELj4294967295EEENS1_25partition_config_selectorILNS1_17partition_subalgoE4EjNS0_10empty_typeEbEEZZNS1_14partition_implILS8_4ELb0ES6_15HIP_vector_typeIjLj2EENS0_17counting_iteratorIjlEEPS9_SG_NS0_5tupleIJPjSI_NS0_16reverse_iteratorISI_EEEEENSH_IJSG_SG_SG_EEES9_SI_JZNS1_25segmented_radix_sort_implINS0_14default_configELb0EPKlPlSQ_SR_N2at6native12_GLOBAL__N_18offset_tEEE10hipError_tPvRmT1_PNSt15iterator_traitsISZ_E10value_typeET2_T3_PNS10_IS15_E10value_typeET4_jRbjT5_S1B_jjP12ihipStream_tbEUljE_ZNSN_ISO_Lb0ESQ_SR_SQ_SR_SV_EESW_SX_SY_SZ_S13_S14_S15_S18_S19_jS1A_jS1B_S1B_jjS1D_bEUljE0_EEESW_SX_SY_S15_S19_S1B_T6_T7_T9_mT8_S1D_bDpT10_ENKUlT_T0_E_clISt17integral_constantIbLb1EES1Q_IbLb0EEEEDaS1M_S1N_EUlS1M_E_NS1_11comp_targetILNS1_3genE8ELNS1_11target_archE1030ELNS1_3gpuE2ELNS1_3repE0EEENS1_30default_config_static_selectorELNS0_4arch9wavefront6targetE0EEEvSZ_
; %bb.0:
	.section	.rodata,"a",@progbits
	.p2align	6, 0x0
	.amdhsa_kernel _ZN7rocprim17ROCPRIM_400000_NS6detail17trampoline_kernelINS0_13select_configILj256ELj13ELNS0_17block_load_methodE3ELS4_3ELS4_3ELNS0_20block_scan_algorithmE0ELj4294967295EEENS1_25partition_config_selectorILNS1_17partition_subalgoE4EjNS0_10empty_typeEbEEZZNS1_14partition_implILS8_4ELb0ES6_15HIP_vector_typeIjLj2EENS0_17counting_iteratorIjlEEPS9_SG_NS0_5tupleIJPjSI_NS0_16reverse_iteratorISI_EEEEENSH_IJSG_SG_SG_EEES9_SI_JZNS1_25segmented_radix_sort_implINS0_14default_configELb0EPKlPlSQ_SR_N2at6native12_GLOBAL__N_18offset_tEEE10hipError_tPvRmT1_PNSt15iterator_traitsISZ_E10value_typeET2_T3_PNS10_IS15_E10value_typeET4_jRbjT5_S1B_jjP12ihipStream_tbEUljE_ZNSN_ISO_Lb0ESQ_SR_SQ_SR_SV_EESW_SX_SY_SZ_S13_S14_S15_S18_S19_jS1A_jS1B_S1B_jjS1D_bEUljE0_EEESW_SX_SY_S15_S19_S1B_T6_T7_T9_mT8_S1D_bDpT10_ENKUlT_T0_E_clISt17integral_constantIbLb1EES1Q_IbLb0EEEEDaS1M_S1N_EUlS1M_E_NS1_11comp_targetILNS1_3genE8ELNS1_11target_archE1030ELNS1_3gpuE2ELNS1_3repE0EEENS1_30default_config_static_selectorELNS0_4arch9wavefront6targetE0EEEvSZ_
		.amdhsa_group_segment_fixed_size 0
		.amdhsa_private_segment_fixed_size 0
		.amdhsa_kernarg_size 176
		.amdhsa_user_sgpr_count 2
		.amdhsa_user_sgpr_dispatch_ptr 0
		.amdhsa_user_sgpr_queue_ptr 0
		.amdhsa_user_sgpr_kernarg_segment_ptr 1
		.amdhsa_user_sgpr_dispatch_id 0
		.amdhsa_user_sgpr_private_segment_size 0
		.amdhsa_wavefront_size32 1
		.amdhsa_uses_dynamic_stack 0
		.amdhsa_enable_private_segment 0
		.amdhsa_system_sgpr_workgroup_id_x 1
		.amdhsa_system_sgpr_workgroup_id_y 0
		.amdhsa_system_sgpr_workgroup_id_z 0
		.amdhsa_system_sgpr_workgroup_info 0
		.amdhsa_system_vgpr_workitem_id 0
		.amdhsa_next_free_vgpr 1
		.amdhsa_next_free_sgpr 1
		.amdhsa_reserve_vcc 0
		.amdhsa_float_round_mode_32 0
		.amdhsa_float_round_mode_16_64 0
		.amdhsa_float_denorm_mode_32 3
		.amdhsa_float_denorm_mode_16_64 3
		.amdhsa_fp16_overflow 0
		.amdhsa_workgroup_processor_mode 1
		.amdhsa_memory_ordered 1
		.amdhsa_forward_progress 1
		.amdhsa_inst_pref_size 0
		.amdhsa_round_robin_scheduling 0
		.amdhsa_exception_fp_ieee_invalid_op 0
		.amdhsa_exception_fp_denorm_src 0
		.amdhsa_exception_fp_ieee_div_zero 0
		.amdhsa_exception_fp_ieee_overflow 0
		.amdhsa_exception_fp_ieee_underflow 0
		.amdhsa_exception_fp_ieee_inexact 0
		.amdhsa_exception_int_div_zero 0
	.end_amdhsa_kernel
	.section	.text._ZN7rocprim17ROCPRIM_400000_NS6detail17trampoline_kernelINS0_13select_configILj256ELj13ELNS0_17block_load_methodE3ELS4_3ELS4_3ELNS0_20block_scan_algorithmE0ELj4294967295EEENS1_25partition_config_selectorILNS1_17partition_subalgoE4EjNS0_10empty_typeEbEEZZNS1_14partition_implILS8_4ELb0ES6_15HIP_vector_typeIjLj2EENS0_17counting_iteratorIjlEEPS9_SG_NS0_5tupleIJPjSI_NS0_16reverse_iteratorISI_EEEEENSH_IJSG_SG_SG_EEES9_SI_JZNS1_25segmented_radix_sort_implINS0_14default_configELb0EPKlPlSQ_SR_N2at6native12_GLOBAL__N_18offset_tEEE10hipError_tPvRmT1_PNSt15iterator_traitsISZ_E10value_typeET2_T3_PNS10_IS15_E10value_typeET4_jRbjT5_S1B_jjP12ihipStream_tbEUljE_ZNSN_ISO_Lb0ESQ_SR_SQ_SR_SV_EESW_SX_SY_SZ_S13_S14_S15_S18_S19_jS1A_jS1B_S1B_jjS1D_bEUljE0_EEESW_SX_SY_S15_S19_S1B_T6_T7_T9_mT8_S1D_bDpT10_ENKUlT_T0_E_clISt17integral_constantIbLb1EES1Q_IbLb0EEEEDaS1M_S1N_EUlS1M_E_NS1_11comp_targetILNS1_3genE8ELNS1_11target_archE1030ELNS1_3gpuE2ELNS1_3repE0EEENS1_30default_config_static_selectorELNS0_4arch9wavefront6targetE0EEEvSZ_,"axG",@progbits,_ZN7rocprim17ROCPRIM_400000_NS6detail17trampoline_kernelINS0_13select_configILj256ELj13ELNS0_17block_load_methodE3ELS4_3ELS4_3ELNS0_20block_scan_algorithmE0ELj4294967295EEENS1_25partition_config_selectorILNS1_17partition_subalgoE4EjNS0_10empty_typeEbEEZZNS1_14partition_implILS8_4ELb0ES6_15HIP_vector_typeIjLj2EENS0_17counting_iteratorIjlEEPS9_SG_NS0_5tupleIJPjSI_NS0_16reverse_iteratorISI_EEEEENSH_IJSG_SG_SG_EEES9_SI_JZNS1_25segmented_radix_sort_implINS0_14default_configELb0EPKlPlSQ_SR_N2at6native12_GLOBAL__N_18offset_tEEE10hipError_tPvRmT1_PNSt15iterator_traitsISZ_E10value_typeET2_T3_PNS10_IS15_E10value_typeET4_jRbjT5_S1B_jjP12ihipStream_tbEUljE_ZNSN_ISO_Lb0ESQ_SR_SQ_SR_SV_EESW_SX_SY_SZ_S13_S14_S15_S18_S19_jS1A_jS1B_S1B_jjS1D_bEUljE0_EEESW_SX_SY_S15_S19_S1B_T6_T7_T9_mT8_S1D_bDpT10_ENKUlT_T0_E_clISt17integral_constantIbLb1EES1Q_IbLb0EEEEDaS1M_S1N_EUlS1M_E_NS1_11comp_targetILNS1_3genE8ELNS1_11target_archE1030ELNS1_3gpuE2ELNS1_3repE0EEENS1_30default_config_static_selectorELNS0_4arch9wavefront6targetE0EEEvSZ_,comdat
.Lfunc_end766:
	.size	_ZN7rocprim17ROCPRIM_400000_NS6detail17trampoline_kernelINS0_13select_configILj256ELj13ELNS0_17block_load_methodE3ELS4_3ELS4_3ELNS0_20block_scan_algorithmE0ELj4294967295EEENS1_25partition_config_selectorILNS1_17partition_subalgoE4EjNS0_10empty_typeEbEEZZNS1_14partition_implILS8_4ELb0ES6_15HIP_vector_typeIjLj2EENS0_17counting_iteratorIjlEEPS9_SG_NS0_5tupleIJPjSI_NS0_16reverse_iteratorISI_EEEEENSH_IJSG_SG_SG_EEES9_SI_JZNS1_25segmented_radix_sort_implINS0_14default_configELb0EPKlPlSQ_SR_N2at6native12_GLOBAL__N_18offset_tEEE10hipError_tPvRmT1_PNSt15iterator_traitsISZ_E10value_typeET2_T3_PNS10_IS15_E10value_typeET4_jRbjT5_S1B_jjP12ihipStream_tbEUljE_ZNSN_ISO_Lb0ESQ_SR_SQ_SR_SV_EESW_SX_SY_SZ_S13_S14_S15_S18_S19_jS1A_jS1B_S1B_jjS1D_bEUljE0_EEESW_SX_SY_S15_S19_S1B_T6_T7_T9_mT8_S1D_bDpT10_ENKUlT_T0_E_clISt17integral_constantIbLb1EES1Q_IbLb0EEEEDaS1M_S1N_EUlS1M_E_NS1_11comp_targetILNS1_3genE8ELNS1_11target_archE1030ELNS1_3gpuE2ELNS1_3repE0EEENS1_30default_config_static_selectorELNS0_4arch9wavefront6targetE0EEEvSZ_, .Lfunc_end766-_ZN7rocprim17ROCPRIM_400000_NS6detail17trampoline_kernelINS0_13select_configILj256ELj13ELNS0_17block_load_methodE3ELS4_3ELS4_3ELNS0_20block_scan_algorithmE0ELj4294967295EEENS1_25partition_config_selectorILNS1_17partition_subalgoE4EjNS0_10empty_typeEbEEZZNS1_14partition_implILS8_4ELb0ES6_15HIP_vector_typeIjLj2EENS0_17counting_iteratorIjlEEPS9_SG_NS0_5tupleIJPjSI_NS0_16reverse_iteratorISI_EEEEENSH_IJSG_SG_SG_EEES9_SI_JZNS1_25segmented_radix_sort_implINS0_14default_configELb0EPKlPlSQ_SR_N2at6native12_GLOBAL__N_18offset_tEEE10hipError_tPvRmT1_PNSt15iterator_traitsISZ_E10value_typeET2_T3_PNS10_IS15_E10value_typeET4_jRbjT5_S1B_jjP12ihipStream_tbEUljE_ZNSN_ISO_Lb0ESQ_SR_SQ_SR_SV_EESW_SX_SY_SZ_S13_S14_S15_S18_S19_jS1A_jS1B_S1B_jjS1D_bEUljE0_EEESW_SX_SY_S15_S19_S1B_T6_T7_T9_mT8_S1D_bDpT10_ENKUlT_T0_E_clISt17integral_constantIbLb1EES1Q_IbLb0EEEEDaS1M_S1N_EUlS1M_E_NS1_11comp_targetILNS1_3genE8ELNS1_11target_archE1030ELNS1_3gpuE2ELNS1_3repE0EEENS1_30default_config_static_selectorELNS0_4arch9wavefront6targetE0EEEvSZ_
                                        ; -- End function
	.set _ZN7rocprim17ROCPRIM_400000_NS6detail17trampoline_kernelINS0_13select_configILj256ELj13ELNS0_17block_load_methodE3ELS4_3ELS4_3ELNS0_20block_scan_algorithmE0ELj4294967295EEENS1_25partition_config_selectorILNS1_17partition_subalgoE4EjNS0_10empty_typeEbEEZZNS1_14partition_implILS8_4ELb0ES6_15HIP_vector_typeIjLj2EENS0_17counting_iteratorIjlEEPS9_SG_NS0_5tupleIJPjSI_NS0_16reverse_iteratorISI_EEEEENSH_IJSG_SG_SG_EEES9_SI_JZNS1_25segmented_radix_sort_implINS0_14default_configELb0EPKlPlSQ_SR_N2at6native12_GLOBAL__N_18offset_tEEE10hipError_tPvRmT1_PNSt15iterator_traitsISZ_E10value_typeET2_T3_PNS10_IS15_E10value_typeET4_jRbjT5_S1B_jjP12ihipStream_tbEUljE_ZNSN_ISO_Lb0ESQ_SR_SQ_SR_SV_EESW_SX_SY_SZ_S13_S14_S15_S18_S19_jS1A_jS1B_S1B_jjS1D_bEUljE0_EEESW_SX_SY_S15_S19_S1B_T6_T7_T9_mT8_S1D_bDpT10_ENKUlT_T0_E_clISt17integral_constantIbLb1EES1Q_IbLb0EEEEDaS1M_S1N_EUlS1M_E_NS1_11comp_targetILNS1_3genE8ELNS1_11target_archE1030ELNS1_3gpuE2ELNS1_3repE0EEENS1_30default_config_static_selectorELNS0_4arch9wavefront6targetE0EEEvSZ_.num_vgpr, 0
	.set _ZN7rocprim17ROCPRIM_400000_NS6detail17trampoline_kernelINS0_13select_configILj256ELj13ELNS0_17block_load_methodE3ELS4_3ELS4_3ELNS0_20block_scan_algorithmE0ELj4294967295EEENS1_25partition_config_selectorILNS1_17partition_subalgoE4EjNS0_10empty_typeEbEEZZNS1_14partition_implILS8_4ELb0ES6_15HIP_vector_typeIjLj2EENS0_17counting_iteratorIjlEEPS9_SG_NS0_5tupleIJPjSI_NS0_16reverse_iteratorISI_EEEEENSH_IJSG_SG_SG_EEES9_SI_JZNS1_25segmented_radix_sort_implINS0_14default_configELb0EPKlPlSQ_SR_N2at6native12_GLOBAL__N_18offset_tEEE10hipError_tPvRmT1_PNSt15iterator_traitsISZ_E10value_typeET2_T3_PNS10_IS15_E10value_typeET4_jRbjT5_S1B_jjP12ihipStream_tbEUljE_ZNSN_ISO_Lb0ESQ_SR_SQ_SR_SV_EESW_SX_SY_SZ_S13_S14_S15_S18_S19_jS1A_jS1B_S1B_jjS1D_bEUljE0_EEESW_SX_SY_S15_S19_S1B_T6_T7_T9_mT8_S1D_bDpT10_ENKUlT_T0_E_clISt17integral_constantIbLb1EES1Q_IbLb0EEEEDaS1M_S1N_EUlS1M_E_NS1_11comp_targetILNS1_3genE8ELNS1_11target_archE1030ELNS1_3gpuE2ELNS1_3repE0EEENS1_30default_config_static_selectorELNS0_4arch9wavefront6targetE0EEEvSZ_.num_agpr, 0
	.set _ZN7rocprim17ROCPRIM_400000_NS6detail17trampoline_kernelINS0_13select_configILj256ELj13ELNS0_17block_load_methodE3ELS4_3ELS4_3ELNS0_20block_scan_algorithmE0ELj4294967295EEENS1_25partition_config_selectorILNS1_17partition_subalgoE4EjNS0_10empty_typeEbEEZZNS1_14partition_implILS8_4ELb0ES6_15HIP_vector_typeIjLj2EENS0_17counting_iteratorIjlEEPS9_SG_NS0_5tupleIJPjSI_NS0_16reverse_iteratorISI_EEEEENSH_IJSG_SG_SG_EEES9_SI_JZNS1_25segmented_radix_sort_implINS0_14default_configELb0EPKlPlSQ_SR_N2at6native12_GLOBAL__N_18offset_tEEE10hipError_tPvRmT1_PNSt15iterator_traitsISZ_E10value_typeET2_T3_PNS10_IS15_E10value_typeET4_jRbjT5_S1B_jjP12ihipStream_tbEUljE_ZNSN_ISO_Lb0ESQ_SR_SQ_SR_SV_EESW_SX_SY_SZ_S13_S14_S15_S18_S19_jS1A_jS1B_S1B_jjS1D_bEUljE0_EEESW_SX_SY_S15_S19_S1B_T6_T7_T9_mT8_S1D_bDpT10_ENKUlT_T0_E_clISt17integral_constantIbLb1EES1Q_IbLb0EEEEDaS1M_S1N_EUlS1M_E_NS1_11comp_targetILNS1_3genE8ELNS1_11target_archE1030ELNS1_3gpuE2ELNS1_3repE0EEENS1_30default_config_static_selectorELNS0_4arch9wavefront6targetE0EEEvSZ_.numbered_sgpr, 0
	.set _ZN7rocprim17ROCPRIM_400000_NS6detail17trampoline_kernelINS0_13select_configILj256ELj13ELNS0_17block_load_methodE3ELS4_3ELS4_3ELNS0_20block_scan_algorithmE0ELj4294967295EEENS1_25partition_config_selectorILNS1_17partition_subalgoE4EjNS0_10empty_typeEbEEZZNS1_14partition_implILS8_4ELb0ES6_15HIP_vector_typeIjLj2EENS0_17counting_iteratorIjlEEPS9_SG_NS0_5tupleIJPjSI_NS0_16reverse_iteratorISI_EEEEENSH_IJSG_SG_SG_EEES9_SI_JZNS1_25segmented_radix_sort_implINS0_14default_configELb0EPKlPlSQ_SR_N2at6native12_GLOBAL__N_18offset_tEEE10hipError_tPvRmT1_PNSt15iterator_traitsISZ_E10value_typeET2_T3_PNS10_IS15_E10value_typeET4_jRbjT5_S1B_jjP12ihipStream_tbEUljE_ZNSN_ISO_Lb0ESQ_SR_SQ_SR_SV_EESW_SX_SY_SZ_S13_S14_S15_S18_S19_jS1A_jS1B_S1B_jjS1D_bEUljE0_EEESW_SX_SY_S15_S19_S1B_T6_T7_T9_mT8_S1D_bDpT10_ENKUlT_T0_E_clISt17integral_constantIbLb1EES1Q_IbLb0EEEEDaS1M_S1N_EUlS1M_E_NS1_11comp_targetILNS1_3genE8ELNS1_11target_archE1030ELNS1_3gpuE2ELNS1_3repE0EEENS1_30default_config_static_selectorELNS0_4arch9wavefront6targetE0EEEvSZ_.num_named_barrier, 0
	.set _ZN7rocprim17ROCPRIM_400000_NS6detail17trampoline_kernelINS0_13select_configILj256ELj13ELNS0_17block_load_methodE3ELS4_3ELS4_3ELNS0_20block_scan_algorithmE0ELj4294967295EEENS1_25partition_config_selectorILNS1_17partition_subalgoE4EjNS0_10empty_typeEbEEZZNS1_14partition_implILS8_4ELb0ES6_15HIP_vector_typeIjLj2EENS0_17counting_iteratorIjlEEPS9_SG_NS0_5tupleIJPjSI_NS0_16reverse_iteratorISI_EEEEENSH_IJSG_SG_SG_EEES9_SI_JZNS1_25segmented_radix_sort_implINS0_14default_configELb0EPKlPlSQ_SR_N2at6native12_GLOBAL__N_18offset_tEEE10hipError_tPvRmT1_PNSt15iterator_traitsISZ_E10value_typeET2_T3_PNS10_IS15_E10value_typeET4_jRbjT5_S1B_jjP12ihipStream_tbEUljE_ZNSN_ISO_Lb0ESQ_SR_SQ_SR_SV_EESW_SX_SY_SZ_S13_S14_S15_S18_S19_jS1A_jS1B_S1B_jjS1D_bEUljE0_EEESW_SX_SY_S15_S19_S1B_T6_T7_T9_mT8_S1D_bDpT10_ENKUlT_T0_E_clISt17integral_constantIbLb1EES1Q_IbLb0EEEEDaS1M_S1N_EUlS1M_E_NS1_11comp_targetILNS1_3genE8ELNS1_11target_archE1030ELNS1_3gpuE2ELNS1_3repE0EEENS1_30default_config_static_selectorELNS0_4arch9wavefront6targetE0EEEvSZ_.private_seg_size, 0
	.set _ZN7rocprim17ROCPRIM_400000_NS6detail17trampoline_kernelINS0_13select_configILj256ELj13ELNS0_17block_load_methodE3ELS4_3ELS4_3ELNS0_20block_scan_algorithmE0ELj4294967295EEENS1_25partition_config_selectorILNS1_17partition_subalgoE4EjNS0_10empty_typeEbEEZZNS1_14partition_implILS8_4ELb0ES6_15HIP_vector_typeIjLj2EENS0_17counting_iteratorIjlEEPS9_SG_NS0_5tupleIJPjSI_NS0_16reverse_iteratorISI_EEEEENSH_IJSG_SG_SG_EEES9_SI_JZNS1_25segmented_radix_sort_implINS0_14default_configELb0EPKlPlSQ_SR_N2at6native12_GLOBAL__N_18offset_tEEE10hipError_tPvRmT1_PNSt15iterator_traitsISZ_E10value_typeET2_T3_PNS10_IS15_E10value_typeET4_jRbjT5_S1B_jjP12ihipStream_tbEUljE_ZNSN_ISO_Lb0ESQ_SR_SQ_SR_SV_EESW_SX_SY_SZ_S13_S14_S15_S18_S19_jS1A_jS1B_S1B_jjS1D_bEUljE0_EEESW_SX_SY_S15_S19_S1B_T6_T7_T9_mT8_S1D_bDpT10_ENKUlT_T0_E_clISt17integral_constantIbLb1EES1Q_IbLb0EEEEDaS1M_S1N_EUlS1M_E_NS1_11comp_targetILNS1_3genE8ELNS1_11target_archE1030ELNS1_3gpuE2ELNS1_3repE0EEENS1_30default_config_static_selectorELNS0_4arch9wavefront6targetE0EEEvSZ_.uses_vcc, 0
	.set _ZN7rocprim17ROCPRIM_400000_NS6detail17trampoline_kernelINS0_13select_configILj256ELj13ELNS0_17block_load_methodE3ELS4_3ELS4_3ELNS0_20block_scan_algorithmE0ELj4294967295EEENS1_25partition_config_selectorILNS1_17partition_subalgoE4EjNS0_10empty_typeEbEEZZNS1_14partition_implILS8_4ELb0ES6_15HIP_vector_typeIjLj2EENS0_17counting_iteratorIjlEEPS9_SG_NS0_5tupleIJPjSI_NS0_16reverse_iteratorISI_EEEEENSH_IJSG_SG_SG_EEES9_SI_JZNS1_25segmented_radix_sort_implINS0_14default_configELb0EPKlPlSQ_SR_N2at6native12_GLOBAL__N_18offset_tEEE10hipError_tPvRmT1_PNSt15iterator_traitsISZ_E10value_typeET2_T3_PNS10_IS15_E10value_typeET4_jRbjT5_S1B_jjP12ihipStream_tbEUljE_ZNSN_ISO_Lb0ESQ_SR_SQ_SR_SV_EESW_SX_SY_SZ_S13_S14_S15_S18_S19_jS1A_jS1B_S1B_jjS1D_bEUljE0_EEESW_SX_SY_S15_S19_S1B_T6_T7_T9_mT8_S1D_bDpT10_ENKUlT_T0_E_clISt17integral_constantIbLb1EES1Q_IbLb0EEEEDaS1M_S1N_EUlS1M_E_NS1_11comp_targetILNS1_3genE8ELNS1_11target_archE1030ELNS1_3gpuE2ELNS1_3repE0EEENS1_30default_config_static_selectorELNS0_4arch9wavefront6targetE0EEEvSZ_.uses_flat_scratch, 0
	.set _ZN7rocprim17ROCPRIM_400000_NS6detail17trampoline_kernelINS0_13select_configILj256ELj13ELNS0_17block_load_methodE3ELS4_3ELS4_3ELNS0_20block_scan_algorithmE0ELj4294967295EEENS1_25partition_config_selectorILNS1_17partition_subalgoE4EjNS0_10empty_typeEbEEZZNS1_14partition_implILS8_4ELb0ES6_15HIP_vector_typeIjLj2EENS0_17counting_iteratorIjlEEPS9_SG_NS0_5tupleIJPjSI_NS0_16reverse_iteratorISI_EEEEENSH_IJSG_SG_SG_EEES9_SI_JZNS1_25segmented_radix_sort_implINS0_14default_configELb0EPKlPlSQ_SR_N2at6native12_GLOBAL__N_18offset_tEEE10hipError_tPvRmT1_PNSt15iterator_traitsISZ_E10value_typeET2_T3_PNS10_IS15_E10value_typeET4_jRbjT5_S1B_jjP12ihipStream_tbEUljE_ZNSN_ISO_Lb0ESQ_SR_SQ_SR_SV_EESW_SX_SY_SZ_S13_S14_S15_S18_S19_jS1A_jS1B_S1B_jjS1D_bEUljE0_EEESW_SX_SY_S15_S19_S1B_T6_T7_T9_mT8_S1D_bDpT10_ENKUlT_T0_E_clISt17integral_constantIbLb1EES1Q_IbLb0EEEEDaS1M_S1N_EUlS1M_E_NS1_11comp_targetILNS1_3genE8ELNS1_11target_archE1030ELNS1_3gpuE2ELNS1_3repE0EEENS1_30default_config_static_selectorELNS0_4arch9wavefront6targetE0EEEvSZ_.has_dyn_sized_stack, 0
	.set _ZN7rocprim17ROCPRIM_400000_NS6detail17trampoline_kernelINS0_13select_configILj256ELj13ELNS0_17block_load_methodE3ELS4_3ELS4_3ELNS0_20block_scan_algorithmE0ELj4294967295EEENS1_25partition_config_selectorILNS1_17partition_subalgoE4EjNS0_10empty_typeEbEEZZNS1_14partition_implILS8_4ELb0ES6_15HIP_vector_typeIjLj2EENS0_17counting_iteratorIjlEEPS9_SG_NS0_5tupleIJPjSI_NS0_16reverse_iteratorISI_EEEEENSH_IJSG_SG_SG_EEES9_SI_JZNS1_25segmented_radix_sort_implINS0_14default_configELb0EPKlPlSQ_SR_N2at6native12_GLOBAL__N_18offset_tEEE10hipError_tPvRmT1_PNSt15iterator_traitsISZ_E10value_typeET2_T3_PNS10_IS15_E10value_typeET4_jRbjT5_S1B_jjP12ihipStream_tbEUljE_ZNSN_ISO_Lb0ESQ_SR_SQ_SR_SV_EESW_SX_SY_SZ_S13_S14_S15_S18_S19_jS1A_jS1B_S1B_jjS1D_bEUljE0_EEESW_SX_SY_S15_S19_S1B_T6_T7_T9_mT8_S1D_bDpT10_ENKUlT_T0_E_clISt17integral_constantIbLb1EES1Q_IbLb0EEEEDaS1M_S1N_EUlS1M_E_NS1_11comp_targetILNS1_3genE8ELNS1_11target_archE1030ELNS1_3gpuE2ELNS1_3repE0EEENS1_30default_config_static_selectorELNS0_4arch9wavefront6targetE0EEEvSZ_.has_recursion, 0
	.set _ZN7rocprim17ROCPRIM_400000_NS6detail17trampoline_kernelINS0_13select_configILj256ELj13ELNS0_17block_load_methodE3ELS4_3ELS4_3ELNS0_20block_scan_algorithmE0ELj4294967295EEENS1_25partition_config_selectorILNS1_17partition_subalgoE4EjNS0_10empty_typeEbEEZZNS1_14partition_implILS8_4ELb0ES6_15HIP_vector_typeIjLj2EENS0_17counting_iteratorIjlEEPS9_SG_NS0_5tupleIJPjSI_NS0_16reverse_iteratorISI_EEEEENSH_IJSG_SG_SG_EEES9_SI_JZNS1_25segmented_radix_sort_implINS0_14default_configELb0EPKlPlSQ_SR_N2at6native12_GLOBAL__N_18offset_tEEE10hipError_tPvRmT1_PNSt15iterator_traitsISZ_E10value_typeET2_T3_PNS10_IS15_E10value_typeET4_jRbjT5_S1B_jjP12ihipStream_tbEUljE_ZNSN_ISO_Lb0ESQ_SR_SQ_SR_SV_EESW_SX_SY_SZ_S13_S14_S15_S18_S19_jS1A_jS1B_S1B_jjS1D_bEUljE0_EEESW_SX_SY_S15_S19_S1B_T6_T7_T9_mT8_S1D_bDpT10_ENKUlT_T0_E_clISt17integral_constantIbLb1EES1Q_IbLb0EEEEDaS1M_S1N_EUlS1M_E_NS1_11comp_targetILNS1_3genE8ELNS1_11target_archE1030ELNS1_3gpuE2ELNS1_3repE0EEENS1_30default_config_static_selectorELNS0_4arch9wavefront6targetE0EEEvSZ_.has_indirect_call, 0
	.section	.AMDGPU.csdata,"",@progbits
; Kernel info:
; codeLenInByte = 0
; TotalNumSgprs: 0
; NumVgprs: 0
; ScratchSize: 0
; MemoryBound: 0
; FloatMode: 240
; IeeeMode: 1
; LDSByteSize: 0 bytes/workgroup (compile time only)
; SGPRBlocks: 0
; VGPRBlocks: 0
; NumSGPRsForWavesPerEU: 1
; NumVGPRsForWavesPerEU: 1
; Occupancy: 16
; WaveLimiterHint : 0
; COMPUTE_PGM_RSRC2:SCRATCH_EN: 0
; COMPUTE_PGM_RSRC2:USER_SGPR: 2
; COMPUTE_PGM_RSRC2:TRAP_HANDLER: 0
; COMPUTE_PGM_RSRC2:TGID_X_EN: 1
; COMPUTE_PGM_RSRC2:TGID_Y_EN: 0
; COMPUTE_PGM_RSRC2:TGID_Z_EN: 0
; COMPUTE_PGM_RSRC2:TIDIG_COMP_CNT: 0
	.section	.text._ZN7rocprim17ROCPRIM_400000_NS6detail17trampoline_kernelINS0_13select_configILj256ELj13ELNS0_17block_load_methodE3ELS4_3ELS4_3ELNS0_20block_scan_algorithmE0ELj4294967295EEENS1_25partition_config_selectorILNS1_17partition_subalgoE4EjNS0_10empty_typeEbEEZZNS1_14partition_implILS8_4ELb0ES6_15HIP_vector_typeIjLj2EENS0_17counting_iteratorIjlEEPS9_SG_NS0_5tupleIJPjSI_NS0_16reverse_iteratorISI_EEEEENSH_IJSG_SG_SG_EEES9_SI_JZNS1_25segmented_radix_sort_implINS0_14default_configELb0EPKlPlSQ_SR_N2at6native12_GLOBAL__N_18offset_tEEE10hipError_tPvRmT1_PNSt15iterator_traitsISZ_E10value_typeET2_T3_PNS10_IS15_E10value_typeET4_jRbjT5_S1B_jjP12ihipStream_tbEUljE_ZNSN_ISO_Lb0ESQ_SR_SQ_SR_SV_EESW_SX_SY_SZ_S13_S14_S15_S18_S19_jS1A_jS1B_S1B_jjS1D_bEUljE0_EEESW_SX_SY_S15_S19_S1B_T6_T7_T9_mT8_S1D_bDpT10_ENKUlT_T0_E_clISt17integral_constantIbLb0EES1Q_IbLb1EEEEDaS1M_S1N_EUlS1M_E_NS1_11comp_targetILNS1_3genE0ELNS1_11target_archE4294967295ELNS1_3gpuE0ELNS1_3repE0EEENS1_30default_config_static_selectorELNS0_4arch9wavefront6targetE0EEEvSZ_,"axG",@progbits,_ZN7rocprim17ROCPRIM_400000_NS6detail17trampoline_kernelINS0_13select_configILj256ELj13ELNS0_17block_load_methodE3ELS4_3ELS4_3ELNS0_20block_scan_algorithmE0ELj4294967295EEENS1_25partition_config_selectorILNS1_17partition_subalgoE4EjNS0_10empty_typeEbEEZZNS1_14partition_implILS8_4ELb0ES6_15HIP_vector_typeIjLj2EENS0_17counting_iteratorIjlEEPS9_SG_NS0_5tupleIJPjSI_NS0_16reverse_iteratorISI_EEEEENSH_IJSG_SG_SG_EEES9_SI_JZNS1_25segmented_radix_sort_implINS0_14default_configELb0EPKlPlSQ_SR_N2at6native12_GLOBAL__N_18offset_tEEE10hipError_tPvRmT1_PNSt15iterator_traitsISZ_E10value_typeET2_T3_PNS10_IS15_E10value_typeET4_jRbjT5_S1B_jjP12ihipStream_tbEUljE_ZNSN_ISO_Lb0ESQ_SR_SQ_SR_SV_EESW_SX_SY_SZ_S13_S14_S15_S18_S19_jS1A_jS1B_S1B_jjS1D_bEUljE0_EEESW_SX_SY_S15_S19_S1B_T6_T7_T9_mT8_S1D_bDpT10_ENKUlT_T0_E_clISt17integral_constantIbLb0EES1Q_IbLb1EEEEDaS1M_S1N_EUlS1M_E_NS1_11comp_targetILNS1_3genE0ELNS1_11target_archE4294967295ELNS1_3gpuE0ELNS1_3repE0EEENS1_30default_config_static_selectorELNS0_4arch9wavefront6targetE0EEEvSZ_,comdat
	.globl	_ZN7rocprim17ROCPRIM_400000_NS6detail17trampoline_kernelINS0_13select_configILj256ELj13ELNS0_17block_load_methodE3ELS4_3ELS4_3ELNS0_20block_scan_algorithmE0ELj4294967295EEENS1_25partition_config_selectorILNS1_17partition_subalgoE4EjNS0_10empty_typeEbEEZZNS1_14partition_implILS8_4ELb0ES6_15HIP_vector_typeIjLj2EENS0_17counting_iteratorIjlEEPS9_SG_NS0_5tupleIJPjSI_NS0_16reverse_iteratorISI_EEEEENSH_IJSG_SG_SG_EEES9_SI_JZNS1_25segmented_radix_sort_implINS0_14default_configELb0EPKlPlSQ_SR_N2at6native12_GLOBAL__N_18offset_tEEE10hipError_tPvRmT1_PNSt15iterator_traitsISZ_E10value_typeET2_T3_PNS10_IS15_E10value_typeET4_jRbjT5_S1B_jjP12ihipStream_tbEUljE_ZNSN_ISO_Lb0ESQ_SR_SQ_SR_SV_EESW_SX_SY_SZ_S13_S14_S15_S18_S19_jS1A_jS1B_S1B_jjS1D_bEUljE0_EEESW_SX_SY_S15_S19_S1B_T6_T7_T9_mT8_S1D_bDpT10_ENKUlT_T0_E_clISt17integral_constantIbLb0EES1Q_IbLb1EEEEDaS1M_S1N_EUlS1M_E_NS1_11comp_targetILNS1_3genE0ELNS1_11target_archE4294967295ELNS1_3gpuE0ELNS1_3repE0EEENS1_30default_config_static_selectorELNS0_4arch9wavefront6targetE0EEEvSZ_ ; -- Begin function _ZN7rocprim17ROCPRIM_400000_NS6detail17trampoline_kernelINS0_13select_configILj256ELj13ELNS0_17block_load_methodE3ELS4_3ELS4_3ELNS0_20block_scan_algorithmE0ELj4294967295EEENS1_25partition_config_selectorILNS1_17partition_subalgoE4EjNS0_10empty_typeEbEEZZNS1_14partition_implILS8_4ELb0ES6_15HIP_vector_typeIjLj2EENS0_17counting_iteratorIjlEEPS9_SG_NS0_5tupleIJPjSI_NS0_16reverse_iteratorISI_EEEEENSH_IJSG_SG_SG_EEES9_SI_JZNS1_25segmented_radix_sort_implINS0_14default_configELb0EPKlPlSQ_SR_N2at6native12_GLOBAL__N_18offset_tEEE10hipError_tPvRmT1_PNSt15iterator_traitsISZ_E10value_typeET2_T3_PNS10_IS15_E10value_typeET4_jRbjT5_S1B_jjP12ihipStream_tbEUljE_ZNSN_ISO_Lb0ESQ_SR_SQ_SR_SV_EESW_SX_SY_SZ_S13_S14_S15_S18_S19_jS1A_jS1B_S1B_jjS1D_bEUljE0_EEESW_SX_SY_S15_S19_S1B_T6_T7_T9_mT8_S1D_bDpT10_ENKUlT_T0_E_clISt17integral_constantIbLb0EES1Q_IbLb1EEEEDaS1M_S1N_EUlS1M_E_NS1_11comp_targetILNS1_3genE0ELNS1_11target_archE4294967295ELNS1_3gpuE0ELNS1_3repE0EEENS1_30default_config_static_selectorELNS0_4arch9wavefront6targetE0EEEvSZ_
	.p2align	8
	.type	_ZN7rocprim17ROCPRIM_400000_NS6detail17trampoline_kernelINS0_13select_configILj256ELj13ELNS0_17block_load_methodE3ELS4_3ELS4_3ELNS0_20block_scan_algorithmE0ELj4294967295EEENS1_25partition_config_selectorILNS1_17partition_subalgoE4EjNS0_10empty_typeEbEEZZNS1_14partition_implILS8_4ELb0ES6_15HIP_vector_typeIjLj2EENS0_17counting_iteratorIjlEEPS9_SG_NS0_5tupleIJPjSI_NS0_16reverse_iteratorISI_EEEEENSH_IJSG_SG_SG_EEES9_SI_JZNS1_25segmented_radix_sort_implINS0_14default_configELb0EPKlPlSQ_SR_N2at6native12_GLOBAL__N_18offset_tEEE10hipError_tPvRmT1_PNSt15iterator_traitsISZ_E10value_typeET2_T3_PNS10_IS15_E10value_typeET4_jRbjT5_S1B_jjP12ihipStream_tbEUljE_ZNSN_ISO_Lb0ESQ_SR_SQ_SR_SV_EESW_SX_SY_SZ_S13_S14_S15_S18_S19_jS1A_jS1B_S1B_jjS1D_bEUljE0_EEESW_SX_SY_S15_S19_S1B_T6_T7_T9_mT8_S1D_bDpT10_ENKUlT_T0_E_clISt17integral_constantIbLb0EES1Q_IbLb1EEEEDaS1M_S1N_EUlS1M_E_NS1_11comp_targetILNS1_3genE0ELNS1_11target_archE4294967295ELNS1_3gpuE0ELNS1_3repE0EEENS1_30default_config_static_selectorELNS0_4arch9wavefront6targetE0EEEvSZ_,@function
_ZN7rocprim17ROCPRIM_400000_NS6detail17trampoline_kernelINS0_13select_configILj256ELj13ELNS0_17block_load_methodE3ELS4_3ELS4_3ELNS0_20block_scan_algorithmE0ELj4294967295EEENS1_25partition_config_selectorILNS1_17partition_subalgoE4EjNS0_10empty_typeEbEEZZNS1_14partition_implILS8_4ELb0ES6_15HIP_vector_typeIjLj2EENS0_17counting_iteratorIjlEEPS9_SG_NS0_5tupleIJPjSI_NS0_16reverse_iteratorISI_EEEEENSH_IJSG_SG_SG_EEES9_SI_JZNS1_25segmented_radix_sort_implINS0_14default_configELb0EPKlPlSQ_SR_N2at6native12_GLOBAL__N_18offset_tEEE10hipError_tPvRmT1_PNSt15iterator_traitsISZ_E10value_typeET2_T3_PNS10_IS15_E10value_typeET4_jRbjT5_S1B_jjP12ihipStream_tbEUljE_ZNSN_ISO_Lb0ESQ_SR_SQ_SR_SV_EESW_SX_SY_SZ_S13_S14_S15_S18_S19_jS1A_jS1B_S1B_jjS1D_bEUljE0_EEESW_SX_SY_S15_S19_S1B_T6_T7_T9_mT8_S1D_bDpT10_ENKUlT_T0_E_clISt17integral_constantIbLb0EES1Q_IbLb1EEEEDaS1M_S1N_EUlS1M_E_NS1_11comp_targetILNS1_3genE0ELNS1_11target_archE4294967295ELNS1_3gpuE0ELNS1_3repE0EEENS1_30default_config_static_selectorELNS0_4arch9wavefront6targetE0EEEvSZ_: ; @_ZN7rocprim17ROCPRIM_400000_NS6detail17trampoline_kernelINS0_13select_configILj256ELj13ELNS0_17block_load_methodE3ELS4_3ELS4_3ELNS0_20block_scan_algorithmE0ELj4294967295EEENS1_25partition_config_selectorILNS1_17partition_subalgoE4EjNS0_10empty_typeEbEEZZNS1_14partition_implILS8_4ELb0ES6_15HIP_vector_typeIjLj2EENS0_17counting_iteratorIjlEEPS9_SG_NS0_5tupleIJPjSI_NS0_16reverse_iteratorISI_EEEEENSH_IJSG_SG_SG_EEES9_SI_JZNS1_25segmented_radix_sort_implINS0_14default_configELb0EPKlPlSQ_SR_N2at6native12_GLOBAL__N_18offset_tEEE10hipError_tPvRmT1_PNSt15iterator_traitsISZ_E10value_typeET2_T3_PNS10_IS15_E10value_typeET4_jRbjT5_S1B_jjP12ihipStream_tbEUljE_ZNSN_ISO_Lb0ESQ_SR_SQ_SR_SV_EESW_SX_SY_SZ_S13_S14_S15_S18_S19_jS1A_jS1B_S1B_jjS1D_bEUljE0_EEESW_SX_SY_S15_S19_S1B_T6_T7_T9_mT8_S1D_bDpT10_ENKUlT_T0_E_clISt17integral_constantIbLb0EES1Q_IbLb1EEEEDaS1M_S1N_EUlS1M_E_NS1_11comp_targetILNS1_3genE0ELNS1_11target_archE4294967295ELNS1_3gpuE0ELNS1_3repE0EEENS1_30default_config_static_selectorELNS0_4arch9wavefront6targetE0EEEvSZ_
; %bb.0:
	.section	.rodata,"a",@progbits
	.p2align	6, 0x0
	.amdhsa_kernel _ZN7rocprim17ROCPRIM_400000_NS6detail17trampoline_kernelINS0_13select_configILj256ELj13ELNS0_17block_load_methodE3ELS4_3ELS4_3ELNS0_20block_scan_algorithmE0ELj4294967295EEENS1_25partition_config_selectorILNS1_17partition_subalgoE4EjNS0_10empty_typeEbEEZZNS1_14partition_implILS8_4ELb0ES6_15HIP_vector_typeIjLj2EENS0_17counting_iteratorIjlEEPS9_SG_NS0_5tupleIJPjSI_NS0_16reverse_iteratorISI_EEEEENSH_IJSG_SG_SG_EEES9_SI_JZNS1_25segmented_radix_sort_implINS0_14default_configELb0EPKlPlSQ_SR_N2at6native12_GLOBAL__N_18offset_tEEE10hipError_tPvRmT1_PNSt15iterator_traitsISZ_E10value_typeET2_T3_PNS10_IS15_E10value_typeET4_jRbjT5_S1B_jjP12ihipStream_tbEUljE_ZNSN_ISO_Lb0ESQ_SR_SQ_SR_SV_EESW_SX_SY_SZ_S13_S14_S15_S18_S19_jS1A_jS1B_S1B_jjS1D_bEUljE0_EEESW_SX_SY_S15_S19_S1B_T6_T7_T9_mT8_S1D_bDpT10_ENKUlT_T0_E_clISt17integral_constantIbLb0EES1Q_IbLb1EEEEDaS1M_S1N_EUlS1M_E_NS1_11comp_targetILNS1_3genE0ELNS1_11target_archE4294967295ELNS1_3gpuE0ELNS1_3repE0EEENS1_30default_config_static_selectorELNS0_4arch9wavefront6targetE0EEEvSZ_
		.amdhsa_group_segment_fixed_size 0
		.amdhsa_private_segment_fixed_size 0
		.amdhsa_kernarg_size 184
		.amdhsa_user_sgpr_count 2
		.amdhsa_user_sgpr_dispatch_ptr 0
		.amdhsa_user_sgpr_queue_ptr 0
		.amdhsa_user_sgpr_kernarg_segment_ptr 1
		.amdhsa_user_sgpr_dispatch_id 0
		.amdhsa_user_sgpr_private_segment_size 0
		.amdhsa_wavefront_size32 1
		.amdhsa_uses_dynamic_stack 0
		.amdhsa_enable_private_segment 0
		.amdhsa_system_sgpr_workgroup_id_x 1
		.amdhsa_system_sgpr_workgroup_id_y 0
		.amdhsa_system_sgpr_workgroup_id_z 0
		.amdhsa_system_sgpr_workgroup_info 0
		.amdhsa_system_vgpr_workitem_id 0
		.amdhsa_next_free_vgpr 1
		.amdhsa_next_free_sgpr 1
		.amdhsa_reserve_vcc 0
		.amdhsa_float_round_mode_32 0
		.amdhsa_float_round_mode_16_64 0
		.amdhsa_float_denorm_mode_32 3
		.amdhsa_float_denorm_mode_16_64 3
		.amdhsa_fp16_overflow 0
		.amdhsa_workgroup_processor_mode 1
		.amdhsa_memory_ordered 1
		.amdhsa_forward_progress 1
		.amdhsa_inst_pref_size 0
		.amdhsa_round_robin_scheduling 0
		.amdhsa_exception_fp_ieee_invalid_op 0
		.amdhsa_exception_fp_denorm_src 0
		.amdhsa_exception_fp_ieee_div_zero 0
		.amdhsa_exception_fp_ieee_overflow 0
		.amdhsa_exception_fp_ieee_underflow 0
		.amdhsa_exception_fp_ieee_inexact 0
		.amdhsa_exception_int_div_zero 0
	.end_amdhsa_kernel
	.section	.text._ZN7rocprim17ROCPRIM_400000_NS6detail17trampoline_kernelINS0_13select_configILj256ELj13ELNS0_17block_load_methodE3ELS4_3ELS4_3ELNS0_20block_scan_algorithmE0ELj4294967295EEENS1_25partition_config_selectorILNS1_17partition_subalgoE4EjNS0_10empty_typeEbEEZZNS1_14partition_implILS8_4ELb0ES6_15HIP_vector_typeIjLj2EENS0_17counting_iteratorIjlEEPS9_SG_NS0_5tupleIJPjSI_NS0_16reverse_iteratorISI_EEEEENSH_IJSG_SG_SG_EEES9_SI_JZNS1_25segmented_radix_sort_implINS0_14default_configELb0EPKlPlSQ_SR_N2at6native12_GLOBAL__N_18offset_tEEE10hipError_tPvRmT1_PNSt15iterator_traitsISZ_E10value_typeET2_T3_PNS10_IS15_E10value_typeET4_jRbjT5_S1B_jjP12ihipStream_tbEUljE_ZNSN_ISO_Lb0ESQ_SR_SQ_SR_SV_EESW_SX_SY_SZ_S13_S14_S15_S18_S19_jS1A_jS1B_S1B_jjS1D_bEUljE0_EEESW_SX_SY_S15_S19_S1B_T6_T7_T9_mT8_S1D_bDpT10_ENKUlT_T0_E_clISt17integral_constantIbLb0EES1Q_IbLb1EEEEDaS1M_S1N_EUlS1M_E_NS1_11comp_targetILNS1_3genE0ELNS1_11target_archE4294967295ELNS1_3gpuE0ELNS1_3repE0EEENS1_30default_config_static_selectorELNS0_4arch9wavefront6targetE0EEEvSZ_,"axG",@progbits,_ZN7rocprim17ROCPRIM_400000_NS6detail17trampoline_kernelINS0_13select_configILj256ELj13ELNS0_17block_load_methodE3ELS4_3ELS4_3ELNS0_20block_scan_algorithmE0ELj4294967295EEENS1_25partition_config_selectorILNS1_17partition_subalgoE4EjNS0_10empty_typeEbEEZZNS1_14partition_implILS8_4ELb0ES6_15HIP_vector_typeIjLj2EENS0_17counting_iteratorIjlEEPS9_SG_NS0_5tupleIJPjSI_NS0_16reverse_iteratorISI_EEEEENSH_IJSG_SG_SG_EEES9_SI_JZNS1_25segmented_radix_sort_implINS0_14default_configELb0EPKlPlSQ_SR_N2at6native12_GLOBAL__N_18offset_tEEE10hipError_tPvRmT1_PNSt15iterator_traitsISZ_E10value_typeET2_T3_PNS10_IS15_E10value_typeET4_jRbjT5_S1B_jjP12ihipStream_tbEUljE_ZNSN_ISO_Lb0ESQ_SR_SQ_SR_SV_EESW_SX_SY_SZ_S13_S14_S15_S18_S19_jS1A_jS1B_S1B_jjS1D_bEUljE0_EEESW_SX_SY_S15_S19_S1B_T6_T7_T9_mT8_S1D_bDpT10_ENKUlT_T0_E_clISt17integral_constantIbLb0EES1Q_IbLb1EEEEDaS1M_S1N_EUlS1M_E_NS1_11comp_targetILNS1_3genE0ELNS1_11target_archE4294967295ELNS1_3gpuE0ELNS1_3repE0EEENS1_30default_config_static_selectorELNS0_4arch9wavefront6targetE0EEEvSZ_,comdat
.Lfunc_end767:
	.size	_ZN7rocprim17ROCPRIM_400000_NS6detail17trampoline_kernelINS0_13select_configILj256ELj13ELNS0_17block_load_methodE3ELS4_3ELS4_3ELNS0_20block_scan_algorithmE0ELj4294967295EEENS1_25partition_config_selectorILNS1_17partition_subalgoE4EjNS0_10empty_typeEbEEZZNS1_14partition_implILS8_4ELb0ES6_15HIP_vector_typeIjLj2EENS0_17counting_iteratorIjlEEPS9_SG_NS0_5tupleIJPjSI_NS0_16reverse_iteratorISI_EEEEENSH_IJSG_SG_SG_EEES9_SI_JZNS1_25segmented_radix_sort_implINS0_14default_configELb0EPKlPlSQ_SR_N2at6native12_GLOBAL__N_18offset_tEEE10hipError_tPvRmT1_PNSt15iterator_traitsISZ_E10value_typeET2_T3_PNS10_IS15_E10value_typeET4_jRbjT5_S1B_jjP12ihipStream_tbEUljE_ZNSN_ISO_Lb0ESQ_SR_SQ_SR_SV_EESW_SX_SY_SZ_S13_S14_S15_S18_S19_jS1A_jS1B_S1B_jjS1D_bEUljE0_EEESW_SX_SY_S15_S19_S1B_T6_T7_T9_mT8_S1D_bDpT10_ENKUlT_T0_E_clISt17integral_constantIbLb0EES1Q_IbLb1EEEEDaS1M_S1N_EUlS1M_E_NS1_11comp_targetILNS1_3genE0ELNS1_11target_archE4294967295ELNS1_3gpuE0ELNS1_3repE0EEENS1_30default_config_static_selectorELNS0_4arch9wavefront6targetE0EEEvSZ_, .Lfunc_end767-_ZN7rocprim17ROCPRIM_400000_NS6detail17trampoline_kernelINS0_13select_configILj256ELj13ELNS0_17block_load_methodE3ELS4_3ELS4_3ELNS0_20block_scan_algorithmE0ELj4294967295EEENS1_25partition_config_selectorILNS1_17partition_subalgoE4EjNS0_10empty_typeEbEEZZNS1_14partition_implILS8_4ELb0ES6_15HIP_vector_typeIjLj2EENS0_17counting_iteratorIjlEEPS9_SG_NS0_5tupleIJPjSI_NS0_16reverse_iteratorISI_EEEEENSH_IJSG_SG_SG_EEES9_SI_JZNS1_25segmented_radix_sort_implINS0_14default_configELb0EPKlPlSQ_SR_N2at6native12_GLOBAL__N_18offset_tEEE10hipError_tPvRmT1_PNSt15iterator_traitsISZ_E10value_typeET2_T3_PNS10_IS15_E10value_typeET4_jRbjT5_S1B_jjP12ihipStream_tbEUljE_ZNSN_ISO_Lb0ESQ_SR_SQ_SR_SV_EESW_SX_SY_SZ_S13_S14_S15_S18_S19_jS1A_jS1B_S1B_jjS1D_bEUljE0_EEESW_SX_SY_S15_S19_S1B_T6_T7_T9_mT8_S1D_bDpT10_ENKUlT_T0_E_clISt17integral_constantIbLb0EES1Q_IbLb1EEEEDaS1M_S1N_EUlS1M_E_NS1_11comp_targetILNS1_3genE0ELNS1_11target_archE4294967295ELNS1_3gpuE0ELNS1_3repE0EEENS1_30default_config_static_selectorELNS0_4arch9wavefront6targetE0EEEvSZ_
                                        ; -- End function
	.set _ZN7rocprim17ROCPRIM_400000_NS6detail17trampoline_kernelINS0_13select_configILj256ELj13ELNS0_17block_load_methodE3ELS4_3ELS4_3ELNS0_20block_scan_algorithmE0ELj4294967295EEENS1_25partition_config_selectorILNS1_17partition_subalgoE4EjNS0_10empty_typeEbEEZZNS1_14partition_implILS8_4ELb0ES6_15HIP_vector_typeIjLj2EENS0_17counting_iteratorIjlEEPS9_SG_NS0_5tupleIJPjSI_NS0_16reverse_iteratorISI_EEEEENSH_IJSG_SG_SG_EEES9_SI_JZNS1_25segmented_radix_sort_implINS0_14default_configELb0EPKlPlSQ_SR_N2at6native12_GLOBAL__N_18offset_tEEE10hipError_tPvRmT1_PNSt15iterator_traitsISZ_E10value_typeET2_T3_PNS10_IS15_E10value_typeET4_jRbjT5_S1B_jjP12ihipStream_tbEUljE_ZNSN_ISO_Lb0ESQ_SR_SQ_SR_SV_EESW_SX_SY_SZ_S13_S14_S15_S18_S19_jS1A_jS1B_S1B_jjS1D_bEUljE0_EEESW_SX_SY_S15_S19_S1B_T6_T7_T9_mT8_S1D_bDpT10_ENKUlT_T0_E_clISt17integral_constantIbLb0EES1Q_IbLb1EEEEDaS1M_S1N_EUlS1M_E_NS1_11comp_targetILNS1_3genE0ELNS1_11target_archE4294967295ELNS1_3gpuE0ELNS1_3repE0EEENS1_30default_config_static_selectorELNS0_4arch9wavefront6targetE0EEEvSZ_.num_vgpr, 0
	.set _ZN7rocprim17ROCPRIM_400000_NS6detail17trampoline_kernelINS0_13select_configILj256ELj13ELNS0_17block_load_methodE3ELS4_3ELS4_3ELNS0_20block_scan_algorithmE0ELj4294967295EEENS1_25partition_config_selectorILNS1_17partition_subalgoE4EjNS0_10empty_typeEbEEZZNS1_14partition_implILS8_4ELb0ES6_15HIP_vector_typeIjLj2EENS0_17counting_iteratorIjlEEPS9_SG_NS0_5tupleIJPjSI_NS0_16reverse_iteratorISI_EEEEENSH_IJSG_SG_SG_EEES9_SI_JZNS1_25segmented_radix_sort_implINS0_14default_configELb0EPKlPlSQ_SR_N2at6native12_GLOBAL__N_18offset_tEEE10hipError_tPvRmT1_PNSt15iterator_traitsISZ_E10value_typeET2_T3_PNS10_IS15_E10value_typeET4_jRbjT5_S1B_jjP12ihipStream_tbEUljE_ZNSN_ISO_Lb0ESQ_SR_SQ_SR_SV_EESW_SX_SY_SZ_S13_S14_S15_S18_S19_jS1A_jS1B_S1B_jjS1D_bEUljE0_EEESW_SX_SY_S15_S19_S1B_T6_T7_T9_mT8_S1D_bDpT10_ENKUlT_T0_E_clISt17integral_constantIbLb0EES1Q_IbLb1EEEEDaS1M_S1N_EUlS1M_E_NS1_11comp_targetILNS1_3genE0ELNS1_11target_archE4294967295ELNS1_3gpuE0ELNS1_3repE0EEENS1_30default_config_static_selectorELNS0_4arch9wavefront6targetE0EEEvSZ_.num_agpr, 0
	.set _ZN7rocprim17ROCPRIM_400000_NS6detail17trampoline_kernelINS0_13select_configILj256ELj13ELNS0_17block_load_methodE3ELS4_3ELS4_3ELNS0_20block_scan_algorithmE0ELj4294967295EEENS1_25partition_config_selectorILNS1_17partition_subalgoE4EjNS0_10empty_typeEbEEZZNS1_14partition_implILS8_4ELb0ES6_15HIP_vector_typeIjLj2EENS0_17counting_iteratorIjlEEPS9_SG_NS0_5tupleIJPjSI_NS0_16reverse_iteratorISI_EEEEENSH_IJSG_SG_SG_EEES9_SI_JZNS1_25segmented_radix_sort_implINS0_14default_configELb0EPKlPlSQ_SR_N2at6native12_GLOBAL__N_18offset_tEEE10hipError_tPvRmT1_PNSt15iterator_traitsISZ_E10value_typeET2_T3_PNS10_IS15_E10value_typeET4_jRbjT5_S1B_jjP12ihipStream_tbEUljE_ZNSN_ISO_Lb0ESQ_SR_SQ_SR_SV_EESW_SX_SY_SZ_S13_S14_S15_S18_S19_jS1A_jS1B_S1B_jjS1D_bEUljE0_EEESW_SX_SY_S15_S19_S1B_T6_T7_T9_mT8_S1D_bDpT10_ENKUlT_T0_E_clISt17integral_constantIbLb0EES1Q_IbLb1EEEEDaS1M_S1N_EUlS1M_E_NS1_11comp_targetILNS1_3genE0ELNS1_11target_archE4294967295ELNS1_3gpuE0ELNS1_3repE0EEENS1_30default_config_static_selectorELNS0_4arch9wavefront6targetE0EEEvSZ_.numbered_sgpr, 0
	.set _ZN7rocprim17ROCPRIM_400000_NS6detail17trampoline_kernelINS0_13select_configILj256ELj13ELNS0_17block_load_methodE3ELS4_3ELS4_3ELNS0_20block_scan_algorithmE0ELj4294967295EEENS1_25partition_config_selectorILNS1_17partition_subalgoE4EjNS0_10empty_typeEbEEZZNS1_14partition_implILS8_4ELb0ES6_15HIP_vector_typeIjLj2EENS0_17counting_iteratorIjlEEPS9_SG_NS0_5tupleIJPjSI_NS0_16reverse_iteratorISI_EEEEENSH_IJSG_SG_SG_EEES9_SI_JZNS1_25segmented_radix_sort_implINS0_14default_configELb0EPKlPlSQ_SR_N2at6native12_GLOBAL__N_18offset_tEEE10hipError_tPvRmT1_PNSt15iterator_traitsISZ_E10value_typeET2_T3_PNS10_IS15_E10value_typeET4_jRbjT5_S1B_jjP12ihipStream_tbEUljE_ZNSN_ISO_Lb0ESQ_SR_SQ_SR_SV_EESW_SX_SY_SZ_S13_S14_S15_S18_S19_jS1A_jS1B_S1B_jjS1D_bEUljE0_EEESW_SX_SY_S15_S19_S1B_T6_T7_T9_mT8_S1D_bDpT10_ENKUlT_T0_E_clISt17integral_constantIbLb0EES1Q_IbLb1EEEEDaS1M_S1N_EUlS1M_E_NS1_11comp_targetILNS1_3genE0ELNS1_11target_archE4294967295ELNS1_3gpuE0ELNS1_3repE0EEENS1_30default_config_static_selectorELNS0_4arch9wavefront6targetE0EEEvSZ_.num_named_barrier, 0
	.set _ZN7rocprim17ROCPRIM_400000_NS6detail17trampoline_kernelINS0_13select_configILj256ELj13ELNS0_17block_load_methodE3ELS4_3ELS4_3ELNS0_20block_scan_algorithmE0ELj4294967295EEENS1_25partition_config_selectorILNS1_17partition_subalgoE4EjNS0_10empty_typeEbEEZZNS1_14partition_implILS8_4ELb0ES6_15HIP_vector_typeIjLj2EENS0_17counting_iteratorIjlEEPS9_SG_NS0_5tupleIJPjSI_NS0_16reverse_iteratorISI_EEEEENSH_IJSG_SG_SG_EEES9_SI_JZNS1_25segmented_radix_sort_implINS0_14default_configELb0EPKlPlSQ_SR_N2at6native12_GLOBAL__N_18offset_tEEE10hipError_tPvRmT1_PNSt15iterator_traitsISZ_E10value_typeET2_T3_PNS10_IS15_E10value_typeET4_jRbjT5_S1B_jjP12ihipStream_tbEUljE_ZNSN_ISO_Lb0ESQ_SR_SQ_SR_SV_EESW_SX_SY_SZ_S13_S14_S15_S18_S19_jS1A_jS1B_S1B_jjS1D_bEUljE0_EEESW_SX_SY_S15_S19_S1B_T6_T7_T9_mT8_S1D_bDpT10_ENKUlT_T0_E_clISt17integral_constantIbLb0EES1Q_IbLb1EEEEDaS1M_S1N_EUlS1M_E_NS1_11comp_targetILNS1_3genE0ELNS1_11target_archE4294967295ELNS1_3gpuE0ELNS1_3repE0EEENS1_30default_config_static_selectorELNS0_4arch9wavefront6targetE0EEEvSZ_.private_seg_size, 0
	.set _ZN7rocprim17ROCPRIM_400000_NS6detail17trampoline_kernelINS0_13select_configILj256ELj13ELNS0_17block_load_methodE3ELS4_3ELS4_3ELNS0_20block_scan_algorithmE0ELj4294967295EEENS1_25partition_config_selectorILNS1_17partition_subalgoE4EjNS0_10empty_typeEbEEZZNS1_14partition_implILS8_4ELb0ES6_15HIP_vector_typeIjLj2EENS0_17counting_iteratorIjlEEPS9_SG_NS0_5tupleIJPjSI_NS0_16reverse_iteratorISI_EEEEENSH_IJSG_SG_SG_EEES9_SI_JZNS1_25segmented_radix_sort_implINS0_14default_configELb0EPKlPlSQ_SR_N2at6native12_GLOBAL__N_18offset_tEEE10hipError_tPvRmT1_PNSt15iterator_traitsISZ_E10value_typeET2_T3_PNS10_IS15_E10value_typeET4_jRbjT5_S1B_jjP12ihipStream_tbEUljE_ZNSN_ISO_Lb0ESQ_SR_SQ_SR_SV_EESW_SX_SY_SZ_S13_S14_S15_S18_S19_jS1A_jS1B_S1B_jjS1D_bEUljE0_EEESW_SX_SY_S15_S19_S1B_T6_T7_T9_mT8_S1D_bDpT10_ENKUlT_T0_E_clISt17integral_constantIbLb0EES1Q_IbLb1EEEEDaS1M_S1N_EUlS1M_E_NS1_11comp_targetILNS1_3genE0ELNS1_11target_archE4294967295ELNS1_3gpuE0ELNS1_3repE0EEENS1_30default_config_static_selectorELNS0_4arch9wavefront6targetE0EEEvSZ_.uses_vcc, 0
	.set _ZN7rocprim17ROCPRIM_400000_NS6detail17trampoline_kernelINS0_13select_configILj256ELj13ELNS0_17block_load_methodE3ELS4_3ELS4_3ELNS0_20block_scan_algorithmE0ELj4294967295EEENS1_25partition_config_selectorILNS1_17partition_subalgoE4EjNS0_10empty_typeEbEEZZNS1_14partition_implILS8_4ELb0ES6_15HIP_vector_typeIjLj2EENS0_17counting_iteratorIjlEEPS9_SG_NS0_5tupleIJPjSI_NS0_16reverse_iteratorISI_EEEEENSH_IJSG_SG_SG_EEES9_SI_JZNS1_25segmented_radix_sort_implINS0_14default_configELb0EPKlPlSQ_SR_N2at6native12_GLOBAL__N_18offset_tEEE10hipError_tPvRmT1_PNSt15iterator_traitsISZ_E10value_typeET2_T3_PNS10_IS15_E10value_typeET4_jRbjT5_S1B_jjP12ihipStream_tbEUljE_ZNSN_ISO_Lb0ESQ_SR_SQ_SR_SV_EESW_SX_SY_SZ_S13_S14_S15_S18_S19_jS1A_jS1B_S1B_jjS1D_bEUljE0_EEESW_SX_SY_S15_S19_S1B_T6_T7_T9_mT8_S1D_bDpT10_ENKUlT_T0_E_clISt17integral_constantIbLb0EES1Q_IbLb1EEEEDaS1M_S1N_EUlS1M_E_NS1_11comp_targetILNS1_3genE0ELNS1_11target_archE4294967295ELNS1_3gpuE0ELNS1_3repE0EEENS1_30default_config_static_selectorELNS0_4arch9wavefront6targetE0EEEvSZ_.uses_flat_scratch, 0
	.set _ZN7rocprim17ROCPRIM_400000_NS6detail17trampoline_kernelINS0_13select_configILj256ELj13ELNS0_17block_load_methodE3ELS4_3ELS4_3ELNS0_20block_scan_algorithmE0ELj4294967295EEENS1_25partition_config_selectorILNS1_17partition_subalgoE4EjNS0_10empty_typeEbEEZZNS1_14partition_implILS8_4ELb0ES6_15HIP_vector_typeIjLj2EENS0_17counting_iteratorIjlEEPS9_SG_NS0_5tupleIJPjSI_NS0_16reverse_iteratorISI_EEEEENSH_IJSG_SG_SG_EEES9_SI_JZNS1_25segmented_radix_sort_implINS0_14default_configELb0EPKlPlSQ_SR_N2at6native12_GLOBAL__N_18offset_tEEE10hipError_tPvRmT1_PNSt15iterator_traitsISZ_E10value_typeET2_T3_PNS10_IS15_E10value_typeET4_jRbjT5_S1B_jjP12ihipStream_tbEUljE_ZNSN_ISO_Lb0ESQ_SR_SQ_SR_SV_EESW_SX_SY_SZ_S13_S14_S15_S18_S19_jS1A_jS1B_S1B_jjS1D_bEUljE0_EEESW_SX_SY_S15_S19_S1B_T6_T7_T9_mT8_S1D_bDpT10_ENKUlT_T0_E_clISt17integral_constantIbLb0EES1Q_IbLb1EEEEDaS1M_S1N_EUlS1M_E_NS1_11comp_targetILNS1_3genE0ELNS1_11target_archE4294967295ELNS1_3gpuE0ELNS1_3repE0EEENS1_30default_config_static_selectorELNS0_4arch9wavefront6targetE0EEEvSZ_.has_dyn_sized_stack, 0
	.set _ZN7rocprim17ROCPRIM_400000_NS6detail17trampoline_kernelINS0_13select_configILj256ELj13ELNS0_17block_load_methodE3ELS4_3ELS4_3ELNS0_20block_scan_algorithmE0ELj4294967295EEENS1_25partition_config_selectorILNS1_17partition_subalgoE4EjNS0_10empty_typeEbEEZZNS1_14partition_implILS8_4ELb0ES6_15HIP_vector_typeIjLj2EENS0_17counting_iteratorIjlEEPS9_SG_NS0_5tupleIJPjSI_NS0_16reverse_iteratorISI_EEEEENSH_IJSG_SG_SG_EEES9_SI_JZNS1_25segmented_radix_sort_implINS0_14default_configELb0EPKlPlSQ_SR_N2at6native12_GLOBAL__N_18offset_tEEE10hipError_tPvRmT1_PNSt15iterator_traitsISZ_E10value_typeET2_T3_PNS10_IS15_E10value_typeET4_jRbjT5_S1B_jjP12ihipStream_tbEUljE_ZNSN_ISO_Lb0ESQ_SR_SQ_SR_SV_EESW_SX_SY_SZ_S13_S14_S15_S18_S19_jS1A_jS1B_S1B_jjS1D_bEUljE0_EEESW_SX_SY_S15_S19_S1B_T6_T7_T9_mT8_S1D_bDpT10_ENKUlT_T0_E_clISt17integral_constantIbLb0EES1Q_IbLb1EEEEDaS1M_S1N_EUlS1M_E_NS1_11comp_targetILNS1_3genE0ELNS1_11target_archE4294967295ELNS1_3gpuE0ELNS1_3repE0EEENS1_30default_config_static_selectorELNS0_4arch9wavefront6targetE0EEEvSZ_.has_recursion, 0
	.set _ZN7rocprim17ROCPRIM_400000_NS6detail17trampoline_kernelINS0_13select_configILj256ELj13ELNS0_17block_load_methodE3ELS4_3ELS4_3ELNS0_20block_scan_algorithmE0ELj4294967295EEENS1_25partition_config_selectorILNS1_17partition_subalgoE4EjNS0_10empty_typeEbEEZZNS1_14partition_implILS8_4ELb0ES6_15HIP_vector_typeIjLj2EENS0_17counting_iteratorIjlEEPS9_SG_NS0_5tupleIJPjSI_NS0_16reverse_iteratorISI_EEEEENSH_IJSG_SG_SG_EEES9_SI_JZNS1_25segmented_radix_sort_implINS0_14default_configELb0EPKlPlSQ_SR_N2at6native12_GLOBAL__N_18offset_tEEE10hipError_tPvRmT1_PNSt15iterator_traitsISZ_E10value_typeET2_T3_PNS10_IS15_E10value_typeET4_jRbjT5_S1B_jjP12ihipStream_tbEUljE_ZNSN_ISO_Lb0ESQ_SR_SQ_SR_SV_EESW_SX_SY_SZ_S13_S14_S15_S18_S19_jS1A_jS1B_S1B_jjS1D_bEUljE0_EEESW_SX_SY_S15_S19_S1B_T6_T7_T9_mT8_S1D_bDpT10_ENKUlT_T0_E_clISt17integral_constantIbLb0EES1Q_IbLb1EEEEDaS1M_S1N_EUlS1M_E_NS1_11comp_targetILNS1_3genE0ELNS1_11target_archE4294967295ELNS1_3gpuE0ELNS1_3repE0EEENS1_30default_config_static_selectorELNS0_4arch9wavefront6targetE0EEEvSZ_.has_indirect_call, 0
	.section	.AMDGPU.csdata,"",@progbits
; Kernel info:
; codeLenInByte = 0
; TotalNumSgprs: 0
; NumVgprs: 0
; ScratchSize: 0
; MemoryBound: 0
; FloatMode: 240
; IeeeMode: 1
; LDSByteSize: 0 bytes/workgroup (compile time only)
; SGPRBlocks: 0
; VGPRBlocks: 0
; NumSGPRsForWavesPerEU: 1
; NumVGPRsForWavesPerEU: 1
; Occupancy: 16
; WaveLimiterHint : 0
; COMPUTE_PGM_RSRC2:SCRATCH_EN: 0
; COMPUTE_PGM_RSRC2:USER_SGPR: 2
; COMPUTE_PGM_RSRC2:TRAP_HANDLER: 0
; COMPUTE_PGM_RSRC2:TGID_X_EN: 1
; COMPUTE_PGM_RSRC2:TGID_Y_EN: 0
; COMPUTE_PGM_RSRC2:TGID_Z_EN: 0
; COMPUTE_PGM_RSRC2:TIDIG_COMP_CNT: 0
	.section	.text._ZN7rocprim17ROCPRIM_400000_NS6detail17trampoline_kernelINS0_13select_configILj256ELj13ELNS0_17block_load_methodE3ELS4_3ELS4_3ELNS0_20block_scan_algorithmE0ELj4294967295EEENS1_25partition_config_selectorILNS1_17partition_subalgoE4EjNS0_10empty_typeEbEEZZNS1_14partition_implILS8_4ELb0ES6_15HIP_vector_typeIjLj2EENS0_17counting_iteratorIjlEEPS9_SG_NS0_5tupleIJPjSI_NS0_16reverse_iteratorISI_EEEEENSH_IJSG_SG_SG_EEES9_SI_JZNS1_25segmented_radix_sort_implINS0_14default_configELb0EPKlPlSQ_SR_N2at6native12_GLOBAL__N_18offset_tEEE10hipError_tPvRmT1_PNSt15iterator_traitsISZ_E10value_typeET2_T3_PNS10_IS15_E10value_typeET4_jRbjT5_S1B_jjP12ihipStream_tbEUljE_ZNSN_ISO_Lb0ESQ_SR_SQ_SR_SV_EESW_SX_SY_SZ_S13_S14_S15_S18_S19_jS1A_jS1B_S1B_jjS1D_bEUljE0_EEESW_SX_SY_S15_S19_S1B_T6_T7_T9_mT8_S1D_bDpT10_ENKUlT_T0_E_clISt17integral_constantIbLb0EES1Q_IbLb1EEEEDaS1M_S1N_EUlS1M_E_NS1_11comp_targetILNS1_3genE5ELNS1_11target_archE942ELNS1_3gpuE9ELNS1_3repE0EEENS1_30default_config_static_selectorELNS0_4arch9wavefront6targetE0EEEvSZ_,"axG",@progbits,_ZN7rocprim17ROCPRIM_400000_NS6detail17trampoline_kernelINS0_13select_configILj256ELj13ELNS0_17block_load_methodE3ELS4_3ELS4_3ELNS0_20block_scan_algorithmE0ELj4294967295EEENS1_25partition_config_selectorILNS1_17partition_subalgoE4EjNS0_10empty_typeEbEEZZNS1_14partition_implILS8_4ELb0ES6_15HIP_vector_typeIjLj2EENS0_17counting_iteratorIjlEEPS9_SG_NS0_5tupleIJPjSI_NS0_16reverse_iteratorISI_EEEEENSH_IJSG_SG_SG_EEES9_SI_JZNS1_25segmented_radix_sort_implINS0_14default_configELb0EPKlPlSQ_SR_N2at6native12_GLOBAL__N_18offset_tEEE10hipError_tPvRmT1_PNSt15iterator_traitsISZ_E10value_typeET2_T3_PNS10_IS15_E10value_typeET4_jRbjT5_S1B_jjP12ihipStream_tbEUljE_ZNSN_ISO_Lb0ESQ_SR_SQ_SR_SV_EESW_SX_SY_SZ_S13_S14_S15_S18_S19_jS1A_jS1B_S1B_jjS1D_bEUljE0_EEESW_SX_SY_S15_S19_S1B_T6_T7_T9_mT8_S1D_bDpT10_ENKUlT_T0_E_clISt17integral_constantIbLb0EES1Q_IbLb1EEEEDaS1M_S1N_EUlS1M_E_NS1_11comp_targetILNS1_3genE5ELNS1_11target_archE942ELNS1_3gpuE9ELNS1_3repE0EEENS1_30default_config_static_selectorELNS0_4arch9wavefront6targetE0EEEvSZ_,comdat
	.globl	_ZN7rocprim17ROCPRIM_400000_NS6detail17trampoline_kernelINS0_13select_configILj256ELj13ELNS0_17block_load_methodE3ELS4_3ELS4_3ELNS0_20block_scan_algorithmE0ELj4294967295EEENS1_25partition_config_selectorILNS1_17partition_subalgoE4EjNS0_10empty_typeEbEEZZNS1_14partition_implILS8_4ELb0ES6_15HIP_vector_typeIjLj2EENS0_17counting_iteratorIjlEEPS9_SG_NS0_5tupleIJPjSI_NS0_16reverse_iteratorISI_EEEEENSH_IJSG_SG_SG_EEES9_SI_JZNS1_25segmented_radix_sort_implINS0_14default_configELb0EPKlPlSQ_SR_N2at6native12_GLOBAL__N_18offset_tEEE10hipError_tPvRmT1_PNSt15iterator_traitsISZ_E10value_typeET2_T3_PNS10_IS15_E10value_typeET4_jRbjT5_S1B_jjP12ihipStream_tbEUljE_ZNSN_ISO_Lb0ESQ_SR_SQ_SR_SV_EESW_SX_SY_SZ_S13_S14_S15_S18_S19_jS1A_jS1B_S1B_jjS1D_bEUljE0_EEESW_SX_SY_S15_S19_S1B_T6_T7_T9_mT8_S1D_bDpT10_ENKUlT_T0_E_clISt17integral_constantIbLb0EES1Q_IbLb1EEEEDaS1M_S1N_EUlS1M_E_NS1_11comp_targetILNS1_3genE5ELNS1_11target_archE942ELNS1_3gpuE9ELNS1_3repE0EEENS1_30default_config_static_selectorELNS0_4arch9wavefront6targetE0EEEvSZ_ ; -- Begin function _ZN7rocprim17ROCPRIM_400000_NS6detail17trampoline_kernelINS0_13select_configILj256ELj13ELNS0_17block_load_methodE3ELS4_3ELS4_3ELNS0_20block_scan_algorithmE0ELj4294967295EEENS1_25partition_config_selectorILNS1_17partition_subalgoE4EjNS0_10empty_typeEbEEZZNS1_14partition_implILS8_4ELb0ES6_15HIP_vector_typeIjLj2EENS0_17counting_iteratorIjlEEPS9_SG_NS0_5tupleIJPjSI_NS0_16reverse_iteratorISI_EEEEENSH_IJSG_SG_SG_EEES9_SI_JZNS1_25segmented_radix_sort_implINS0_14default_configELb0EPKlPlSQ_SR_N2at6native12_GLOBAL__N_18offset_tEEE10hipError_tPvRmT1_PNSt15iterator_traitsISZ_E10value_typeET2_T3_PNS10_IS15_E10value_typeET4_jRbjT5_S1B_jjP12ihipStream_tbEUljE_ZNSN_ISO_Lb0ESQ_SR_SQ_SR_SV_EESW_SX_SY_SZ_S13_S14_S15_S18_S19_jS1A_jS1B_S1B_jjS1D_bEUljE0_EEESW_SX_SY_S15_S19_S1B_T6_T7_T9_mT8_S1D_bDpT10_ENKUlT_T0_E_clISt17integral_constantIbLb0EES1Q_IbLb1EEEEDaS1M_S1N_EUlS1M_E_NS1_11comp_targetILNS1_3genE5ELNS1_11target_archE942ELNS1_3gpuE9ELNS1_3repE0EEENS1_30default_config_static_selectorELNS0_4arch9wavefront6targetE0EEEvSZ_
	.p2align	8
	.type	_ZN7rocprim17ROCPRIM_400000_NS6detail17trampoline_kernelINS0_13select_configILj256ELj13ELNS0_17block_load_methodE3ELS4_3ELS4_3ELNS0_20block_scan_algorithmE0ELj4294967295EEENS1_25partition_config_selectorILNS1_17partition_subalgoE4EjNS0_10empty_typeEbEEZZNS1_14partition_implILS8_4ELb0ES6_15HIP_vector_typeIjLj2EENS0_17counting_iteratorIjlEEPS9_SG_NS0_5tupleIJPjSI_NS0_16reverse_iteratorISI_EEEEENSH_IJSG_SG_SG_EEES9_SI_JZNS1_25segmented_radix_sort_implINS0_14default_configELb0EPKlPlSQ_SR_N2at6native12_GLOBAL__N_18offset_tEEE10hipError_tPvRmT1_PNSt15iterator_traitsISZ_E10value_typeET2_T3_PNS10_IS15_E10value_typeET4_jRbjT5_S1B_jjP12ihipStream_tbEUljE_ZNSN_ISO_Lb0ESQ_SR_SQ_SR_SV_EESW_SX_SY_SZ_S13_S14_S15_S18_S19_jS1A_jS1B_S1B_jjS1D_bEUljE0_EEESW_SX_SY_S15_S19_S1B_T6_T7_T9_mT8_S1D_bDpT10_ENKUlT_T0_E_clISt17integral_constantIbLb0EES1Q_IbLb1EEEEDaS1M_S1N_EUlS1M_E_NS1_11comp_targetILNS1_3genE5ELNS1_11target_archE942ELNS1_3gpuE9ELNS1_3repE0EEENS1_30default_config_static_selectorELNS0_4arch9wavefront6targetE0EEEvSZ_,@function
_ZN7rocprim17ROCPRIM_400000_NS6detail17trampoline_kernelINS0_13select_configILj256ELj13ELNS0_17block_load_methodE3ELS4_3ELS4_3ELNS0_20block_scan_algorithmE0ELj4294967295EEENS1_25partition_config_selectorILNS1_17partition_subalgoE4EjNS0_10empty_typeEbEEZZNS1_14partition_implILS8_4ELb0ES6_15HIP_vector_typeIjLj2EENS0_17counting_iteratorIjlEEPS9_SG_NS0_5tupleIJPjSI_NS0_16reverse_iteratorISI_EEEEENSH_IJSG_SG_SG_EEES9_SI_JZNS1_25segmented_radix_sort_implINS0_14default_configELb0EPKlPlSQ_SR_N2at6native12_GLOBAL__N_18offset_tEEE10hipError_tPvRmT1_PNSt15iterator_traitsISZ_E10value_typeET2_T3_PNS10_IS15_E10value_typeET4_jRbjT5_S1B_jjP12ihipStream_tbEUljE_ZNSN_ISO_Lb0ESQ_SR_SQ_SR_SV_EESW_SX_SY_SZ_S13_S14_S15_S18_S19_jS1A_jS1B_S1B_jjS1D_bEUljE0_EEESW_SX_SY_S15_S19_S1B_T6_T7_T9_mT8_S1D_bDpT10_ENKUlT_T0_E_clISt17integral_constantIbLb0EES1Q_IbLb1EEEEDaS1M_S1N_EUlS1M_E_NS1_11comp_targetILNS1_3genE5ELNS1_11target_archE942ELNS1_3gpuE9ELNS1_3repE0EEENS1_30default_config_static_selectorELNS0_4arch9wavefront6targetE0EEEvSZ_: ; @_ZN7rocprim17ROCPRIM_400000_NS6detail17trampoline_kernelINS0_13select_configILj256ELj13ELNS0_17block_load_methodE3ELS4_3ELS4_3ELNS0_20block_scan_algorithmE0ELj4294967295EEENS1_25partition_config_selectorILNS1_17partition_subalgoE4EjNS0_10empty_typeEbEEZZNS1_14partition_implILS8_4ELb0ES6_15HIP_vector_typeIjLj2EENS0_17counting_iteratorIjlEEPS9_SG_NS0_5tupleIJPjSI_NS0_16reverse_iteratorISI_EEEEENSH_IJSG_SG_SG_EEES9_SI_JZNS1_25segmented_radix_sort_implINS0_14default_configELb0EPKlPlSQ_SR_N2at6native12_GLOBAL__N_18offset_tEEE10hipError_tPvRmT1_PNSt15iterator_traitsISZ_E10value_typeET2_T3_PNS10_IS15_E10value_typeET4_jRbjT5_S1B_jjP12ihipStream_tbEUljE_ZNSN_ISO_Lb0ESQ_SR_SQ_SR_SV_EESW_SX_SY_SZ_S13_S14_S15_S18_S19_jS1A_jS1B_S1B_jjS1D_bEUljE0_EEESW_SX_SY_S15_S19_S1B_T6_T7_T9_mT8_S1D_bDpT10_ENKUlT_T0_E_clISt17integral_constantIbLb0EES1Q_IbLb1EEEEDaS1M_S1N_EUlS1M_E_NS1_11comp_targetILNS1_3genE5ELNS1_11target_archE942ELNS1_3gpuE9ELNS1_3repE0EEENS1_30default_config_static_selectorELNS0_4arch9wavefront6targetE0EEEvSZ_
; %bb.0:
	.section	.rodata,"a",@progbits
	.p2align	6, 0x0
	.amdhsa_kernel _ZN7rocprim17ROCPRIM_400000_NS6detail17trampoline_kernelINS0_13select_configILj256ELj13ELNS0_17block_load_methodE3ELS4_3ELS4_3ELNS0_20block_scan_algorithmE0ELj4294967295EEENS1_25partition_config_selectorILNS1_17partition_subalgoE4EjNS0_10empty_typeEbEEZZNS1_14partition_implILS8_4ELb0ES6_15HIP_vector_typeIjLj2EENS0_17counting_iteratorIjlEEPS9_SG_NS0_5tupleIJPjSI_NS0_16reverse_iteratorISI_EEEEENSH_IJSG_SG_SG_EEES9_SI_JZNS1_25segmented_radix_sort_implINS0_14default_configELb0EPKlPlSQ_SR_N2at6native12_GLOBAL__N_18offset_tEEE10hipError_tPvRmT1_PNSt15iterator_traitsISZ_E10value_typeET2_T3_PNS10_IS15_E10value_typeET4_jRbjT5_S1B_jjP12ihipStream_tbEUljE_ZNSN_ISO_Lb0ESQ_SR_SQ_SR_SV_EESW_SX_SY_SZ_S13_S14_S15_S18_S19_jS1A_jS1B_S1B_jjS1D_bEUljE0_EEESW_SX_SY_S15_S19_S1B_T6_T7_T9_mT8_S1D_bDpT10_ENKUlT_T0_E_clISt17integral_constantIbLb0EES1Q_IbLb1EEEEDaS1M_S1N_EUlS1M_E_NS1_11comp_targetILNS1_3genE5ELNS1_11target_archE942ELNS1_3gpuE9ELNS1_3repE0EEENS1_30default_config_static_selectorELNS0_4arch9wavefront6targetE0EEEvSZ_
		.amdhsa_group_segment_fixed_size 0
		.amdhsa_private_segment_fixed_size 0
		.amdhsa_kernarg_size 184
		.amdhsa_user_sgpr_count 2
		.amdhsa_user_sgpr_dispatch_ptr 0
		.amdhsa_user_sgpr_queue_ptr 0
		.amdhsa_user_sgpr_kernarg_segment_ptr 1
		.amdhsa_user_sgpr_dispatch_id 0
		.amdhsa_user_sgpr_private_segment_size 0
		.amdhsa_wavefront_size32 1
		.amdhsa_uses_dynamic_stack 0
		.amdhsa_enable_private_segment 0
		.amdhsa_system_sgpr_workgroup_id_x 1
		.amdhsa_system_sgpr_workgroup_id_y 0
		.amdhsa_system_sgpr_workgroup_id_z 0
		.amdhsa_system_sgpr_workgroup_info 0
		.amdhsa_system_vgpr_workitem_id 0
		.amdhsa_next_free_vgpr 1
		.amdhsa_next_free_sgpr 1
		.amdhsa_reserve_vcc 0
		.amdhsa_float_round_mode_32 0
		.amdhsa_float_round_mode_16_64 0
		.amdhsa_float_denorm_mode_32 3
		.amdhsa_float_denorm_mode_16_64 3
		.amdhsa_fp16_overflow 0
		.amdhsa_workgroup_processor_mode 1
		.amdhsa_memory_ordered 1
		.amdhsa_forward_progress 1
		.amdhsa_inst_pref_size 0
		.amdhsa_round_robin_scheduling 0
		.amdhsa_exception_fp_ieee_invalid_op 0
		.amdhsa_exception_fp_denorm_src 0
		.amdhsa_exception_fp_ieee_div_zero 0
		.amdhsa_exception_fp_ieee_overflow 0
		.amdhsa_exception_fp_ieee_underflow 0
		.amdhsa_exception_fp_ieee_inexact 0
		.amdhsa_exception_int_div_zero 0
	.end_amdhsa_kernel
	.section	.text._ZN7rocprim17ROCPRIM_400000_NS6detail17trampoline_kernelINS0_13select_configILj256ELj13ELNS0_17block_load_methodE3ELS4_3ELS4_3ELNS0_20block_scan_algorithmE0ELj4294967295EEENS1_25partition_config_selectorILNS1_17partition_subalgoE4EjNS0_10empty_typeEbEEZZNS1_14partition_implILS8_4ELb0ES6_15HIP_vector_typeIjLj2EENS0_17counting_iteratorIjlEEPS9_SG_NS0_5tupleIJPjSI_NS0_16reverse_iteratorISI_EEEEENSH_IJSG_SG_SG_EEES9_SI_JZNS1_25segmented_radix_sort_implINS0_14default_configELb0EPKlPlSQ_SR_N2at6native12_GLOBAL__N_18offset_tEEE10hipError_tPvRmT1_PNSt15iterator_traitsISZ_E10value_typeET2_T3_PNS10_IS15_E10value_typeET4_jRbjT5_S1B_jjP12ihipStream_tbEUljE_ZNSN_ISO_Lb0ESQ_SR_SQ_SR_SV_EESW_SX_SY_SZ_S13_S14_S15_S18_S19_jS1A_jS1B_S1B_jjS1D_bEUljE0_EEESW_SX_SY_S15_S19_S1B_T6_T7_T9_mT8_S1D_bDpT10_ENKUlT_T0_E_clISt17integral_constantIbLb0EES1Q_IbLb1EEEEDaS1M_S1N_EUlS1M_E_NS1_11comp_targetILNS1_3genE5ELNS1_11target_archE942ELNS1_3gpuE9ELNS1_3repE0EEENS1_30default_config_static_selectorELNS0_4arch9wavefront6targetE0EEEvSZ_,"axG",@progbits,_ZN7rocprim17ROCPRIM_400000_NS6detail17trampoline_kernelINS0_13select_configILj256ELj13ELNS0_17block_load_methodE3ELS4_3ELS4_3ELNS0_20block_scan_algorithmE0ELj4294967295EEENS1_25partition_config_selectorILNS1_17partition_subalgoE4EjNS0_10empty_typeEbEEZZNS1_14partition_implILS8_4ELb0ES6_15HIP_vector_typeIjLj2EENS0_17counting_iteratorIjlEEPS9_SG_NS0_5tupleIJPjSI_NS0_16reverse_iteratorISI_EEEEENSH_IJSG_SG_SG_EEES9_SI_JZNS1_25segmented_radix_sort_implINS0_14default_configELb0EPKlPlSQ_SR_N2at6native12_GLOBAL__N_18offset_tEEE10hipError_tPvRmT1_PNSt15iterator_traitsISZ_E10value_typeET2_T3_PNS10_IS15_E10value_typeET4_jRbjT5_S1B_jjP12ihipStream_tbEUljE_ZNSN_ISO_Lb0ESQ_SR_SQ_SR_SV_EESW_SX_SY_SZ_S13_S14_S15_S18_S19_jS1A_jS1B_S1B_jjS1D_bEUljE0_EEESW_SX_SY_S15_S19_S1B_T6_T7_T9_mT8_S1D_bDpT10_ENKUlT_T0_E_clISt17integral_constantIbLb0EES1Q_IbLb1EEEEDaS1M_S1N_EUlS1M_E_NS1_11comp_targetILNS1_3genE5ELNS1_11target_archE942ELNS1_3gpuE9ELNS1_3repE0EEENS1_30default_config_static_selectorELNS0_4arch9wavefront6targetE0EEEvSZ_,comdat
.Lfunc_end768:
	.size	_ZN7rocprim17ROCPRIM_400000_NS6detail17trampoline_kernelINS0_13select_configILj256ELj13ELNS0_17block_load_methodE3ELS4_3ELS4_3ELNS0_20block_scan_algorithmE0ELj4294967295EEENS1_25partition_config_selectorILNS1_17partition_subalgoE4EjNS0_10empty_typeEbEEZZNS1_14partition_implILS8_4ELb0ES6_15HIP_vector_typeIjLj2EENS0_17counting_iteratorIjlEEPS9_SG_NS0_5tupleIJPjSI_NS0_16reverse_iteratorISI_EEEEENSH_IJSG_SG_SG_EEES9_SI_JZNS1_25segmented_radix_sort_implINS0_14default_configELb0EPKlPlSQ_SR_N2at6native12_GLOBAL__N_18offset_tEEE10hipError_tPvRmT1_PNSt15iterator_traitsISZ_E10value_typeET2_T3_PNS10_IS15_E10value_typeET4_jRbjT5_S1B_jjP12ihipStream_tbEUljE_ZNSN_ISO_Lb0ESQ_SR_SQ_SR_SV_EESW_SX_SY_SZ_S13_S14_S15_S18_S19_jS1A_jS1B_S1B_jjS1D_bEUljE0_EEESW_SX_SY_S15_S19_S1B_T6_T7_T9_mT8_S1D_bDpT10_ENKUlT_T0_E_clISt17integral_constantIbLb0EES1Q_IbLb1EEEEDaS1M_S1N_EUlS1M_E_NS1_11comp_targetILNS1_3genE5ELNS1_11target_archE942ELNS1_3gpuE9ELNS1_3repE0EEENS1_30default_config_static_selectorELNS0_4arch9wavefront6targetE0EEEvSZ_, .Lfunc_end768-_ZN7rocprim17ROCPRIM_400000_NS6detail17trampoline_kernelINS0_13select_configILj256ELj13ELNS0_17block_load_methodE3ELS4_3ELS4_3ELNS0_20block_scan_algorithmE0ELj4294967295EEENS1_25partition_config_selectorILNS1_17partition_subalgoE4EjNS0_10empty_typeEbEEZZNS1_14partition_implILS8_4ELb0ES6_15HIP_vector_typeIjLj2EENS0_17counting_iteratorIjlEEPS9_SG_NS0_5tupleIJPjSI_NS0_16reverse_iteratorISI_EEEEENSH_IJSG_SG_SG_EEES9_SI_JZNS1_25segmented_radix_sort_implINS0_14default_configELb0EPKlPlSQ_SR_N2at6native12_GLOBAL__N_18offset_tEEE10hipError_tPvRmT1_PNSt15iterator_traitsISZ_E10value_typeET2_T3_PNS10_IS15_E10value_typeET4_jRbjT5_S1B_jjP12ihipStream_tbEUljE_ZNSN_ISO_Lb0ESQ_SR_SQ_SR_SV_EESW_SX_SY_SZ_S13_S14_S15_S18_S19_jS1A_jS1B_S1B_jjS1D_bEUljE0_EEESW_SX_SY_S15_S19_S1B_T6_T7_T9_mT8_S1D_bDpT10_ENKUlT_T0_E_clISt17integral_constantIbLb0EES1Q_IbLb1EEEEDaS1M_S1N_EUlS1M_E_NS1_11comp_targetILNS1_3genE5ELNS1_11target_archE942ELNS1_3gpuE9ELNS1_3repE0EEENS1_30default_config_static_selectorELNS0_4arch9wavefront6targetE0EEEvSZ_
                                        ; -- End function
	.set _ZN7rocprim17ROCPRIM_400000_NS6detail17trampoline_kernelINS0_13select_configILj256ELj13ELNS0_17block_load_methodE3ELS4_3ELS4_3ELNS0_20block_scan_algorithmE0ELj4294967295EEENS1_25partition_config_selectorILNS1_17partition_subalgoE4EjNS0_10empty_typeEbEEZZNS1_14partition_implILS8_4ELb0ES6_15HIP_vector_typeIjLj2EENS0_17counting_iteratorIjlEEPS9_SG_NS0_5tupleIJPjSI_NS0_16reverse_iteratorISI_EEEEENSH_IJSG_SG_SG_EEES9_SI_JZNS1_25segmented_radix_sort_implINS0_14default_configELb0EPKlPlSQ_SR_N2at6native12_GLOBAL__N_18offset_tEEE10hipError_tPvRmT1_PNSt15iterator_traitsISZ_E10value_typeET2_T3_PNS10_IS15_E10value_typeET4_jRbjT5_S1B_jjP12ihipStream_tbEUljE_ZNSN_ISO_Lb0ESQ_SR_SQ_SR_SV_EESW_SX_SY_SZ_S13_S14_S15_S18_S19_jS1A_jS1B_S1B_jjS1D_bEUljE0_EEESW_SX_SY_S15_S19_S1B_T6_T7_T9_mT8_S1D_bDpT10_ENKUlT_T0_E_clISt17integral_constantIbLb0EES1Q_IbLb1EEEEDaS1M_S1N_EUlS1M_E_NS1_11comp_targetILNS1_3genE5ELNS1_11target_archE942ELNS1_3gpuE9ELNS1_3repE0EEENS1_30default_config_static_selectorELNS0_4arch9wavefront6targetE0EEEvSZ_.num_vgpr, 0
	.set _ZN7rocprim17ROCPRIM_400000_NS6detail17trampoline_kernelINS0_13select_configILj256ELj13ELNS0_17block_load_methodE3ELS4_3ELS4_3ELNS0_20block_scan_algorithmE0ELj4294967295EEENS1_25partition_config_selectorILNS1_17partition_subalgoE4EjNS0_10empty_typeEbEEZZNS1_14partition_implILS8_4ELb0ES6_15HIP_vector_typeIjLj2EENS0_17counting_iteratorIjlEEPS9_SG_NS0_5tupleIJPjSI_NS0_16reverse_iteratorISI_EEEEENSH_IJSG_SG_SG_EEES9_SI_JZNS1_25segmented_radix_sort_implINS0_14default_configELb0EPKlPlSQ_SR_N2at6native12_GLOBAL__N_18offset_tEEE10hipError_tPvRmT1_PNSt15iterator_traitsISZ_E10value_typeET2_T3_PNS10_IS15_E10value_typeET4_jRbjT5_S1B_jjP12ihipStream_tbEUljE_ZNSN_ISO_Lb0ESQ_SR_SQ_SR_SV_EESW_SX_SY_SZ_S13_S14_S15_S18_S19_jS1A_jS1B_S1B_jjS1D_bEUljE0_EEESW_SX_SY_S15_S19_S1B_T6_T7_T9_mT8_S1D_bDpT10_ENKUlT_T0_E_clISt17integral_constantIbLb0EES1Q_IbLb1EEEEDaS1M_S1N_EUlS1M_E_NS1_11comp_targetILNS1_3genE5ELNS1_11target_archE942ELNS1_3gpuE9ELNS1_3repE0EEENS1_30default_config_static_selectorELNS0_4arch9wavefront6targetE0EEEvSZ_.num_agpr, 0
	.set _ZN7rocprim17ROCPRIM_400000_NS6detail17trampoline_kernelINS0_13select_configILj256ELj13ELNS0_17block_load_methodE3ELS4_3ELS4_3ELNS0_20block_scan_algorithmE0ELj4294967295EEENS1_25partition_config_selectorILNS1_17partition_subalgoE4EjNS0_10empty_typeEbEEZZNS1_14partition_implILS8_4ELb0ES6_15HIP_vector_typeIjLj2EENS0_17counting_iteratorIjlEEPS9_SG_NS0_5tupleIJPjSI_NS0_16reverse_iteratorISI_EEEEENSH_IJSG_SG_SG_EEES9_SI_JZNS1_25segmented_radix_sort_implINS0_14default_configELb0EPKlPlSQ_SR_N2at6native12_GLOBAL__N_18offset_tEEE10hipError_tPvRmT1_PNSt15iterator_traitsISZ_E10value_typeET2_T3_PNS10_IS15_E10value_typeET4_jRbjT5_S1B_jjP12ihipStream_tbEUljE_ZNSN_ISO_Lb0ESQ_SR_SQ_SR_SV_EESW_SX_SY_SZ_S13_S14_S15_S18_S19_jS1A_jS1B_S1B_jjS1D_bEUljE0_EEESW_SX_SY_S15_S19_S1B_T6_T7_T9_mT8_S1D_bDpT10_ENKUlT_T0_E_clISt17integral_constantIbLb0EES1Q_IbLb1EEEEDaS1M_S1N_EUlS1M_E_NS1_11comp_targetILNS1_3genE5ELNS1_11target_archE942ELNS1_3gpuE9ELNS1_3repE0EEENS1_30default_config_static_selectorELNS0_4arch9wavefront6targetE0EEEvSZ_.numbered_sgpr, 0
	.set _ZN7rocprim17ROCPRIM_400000_NS6detail17trampoline_kernelINS0_13select_configILj256ELj13ELNS0_17block_load_methodE3ELS4_3ELS4_3ELNS0_20block_scan_algorithmE0ELj4294967295EEENS1_25partition_config_selectorILNS1_17partition_subalgoE4EjNS0_10empty_typeEbEEZZNS1_14partition_implILS8_4ELb0ES6_15HIP_vector_typeIjLj2EENS0_17counting_iteratorIjlEEPS9_SG_NS0_5tupleIJPjSI_NS0_16reverse_iteratorISI_EEEEENSH_IJSG_SG_SG_EEES9_SI_JZNS1_25segmented_radix_sort_implINS0_14default_configELb0EPKlPlSQ_SR_N2at6native12_GLOBAL__N_18offset_tEEE10hipError_tPvRmT1_PNSt15iterator_traitsISZ_E10value_typeET2_T3_PNS10_IS15_E10value_typeET4_jRbjT5_S1B_jjP12ihipStream_tbEUljE_ZNSN_ISO_Lb0ESQ_SR_SQ_SR_SV_EESW_SX_SY_SZ_S13_S14_S15_S18_S19_jS1A_jS1B_S1B_jjS1D_bEUljE0_EEESW_SX_SY_S15_S19_S1B_T6_T7_T9_mT8_S1D_bDpT10_ENKUlT_T0_E_clISt17integral_constantIbLb0EES1Q_IbLb1EEEEDaS1M_S1N_EUlS1M_E_NS1_11comp_targetILNS1_3genE5ELNS1_11target_archE942ELNS1_3gpuE9ELNS1_3repE0EEENS1_30default_config_static_selectorELNS0_4arch9wavefront6targetE0EEEvSZ_.num_named_barrier, 0
	.set _ZN7rocprim17ROCPRIM_400000_NS6detail17trampoline_kernelINS0_13select_configILj256ELj13ELNS0_17block_load_methodE3ELS4_3ELS4_3ELNS0_20block_scan_algorithmE0ELj4294967295EEENS1_25partition_config_selectorILNS1_17partition_subalgoE4EjNS0_10empty_typeEbEEZZNS1_14partition_implILS8_4ELb0ES6_15HIP_vector_typeIjLj2EENS0_17counting_iteratorIjlEEPS9_SG_NS0_5tupleIJPjSI_NS0_16reverse_iteratorISI_EEEEENSH_IJSG_SG_SG_EEES9_SI_JZNS1_25segmented_radix_sort_implINS0_14default_configELb0EPKlPlSQ_SR_N2at6native12_GLOBAL__N_18offset_tEEE10hipError_tPvRmT1_PNSt15iterator_traitsISZ_E10value_typeET2_T3_PNS10_IS15_E10value_typeET4_jRbjT5_S1B_jjP12ihipStream_tbEUljE_ZNSN_ISO_Lb0ESQ_SR_SQ_SR_SV_EESW_SX_SY_SZ_S13_S14_S15_S18_S19_jS1A_jS1B_S1B_jjS1D_bEUljE0_EEESW_SX_SY_S15_S19_S1B_T6_T7_T9_mT8_S1D_bDpT10_ENKUlT_T0_E_clISt17integral_constantIbLb0EES1Q_IbLb1EEEEDaS1M_S1N_EUlS1M_E_NS1_11comp_targetILNS1_3genE5ELNS1_11target_archE942ELNS1_3gpuE9ELNS1_3repE0EEENS1_30default_config_static_selectorELNS0_4arch9wavefront6targetE0EEEvSZ_.private_seg_size, 0
	.set _ZN7rocprim17ROCPRIM_400000_NS6detail17trampoline_kernelINS0_13select_configILj256ELj13ELNS0_17block_load_methodE3ELS4_3ELS4_3ELNS0_20block_scan_algorithmE0ELj4294967295EEENS1_25partition_config_selectorILNS1_17partition_subalgoE4EjNS0_10empty_typeEbEEZZNS1_14partition_implILS8_4ELb0ES6_15HIP_vector_typeIjLj2EENS0_17counting_iteratorIjlEEPS9_SG_NS0_5tupleIJPjSI_NS0_16reverse_iteratorISI_EEEEENSH_IJSG_SG_SG_EEES9_SI_JZNS1_25segmented_radix_sort_implINS0_14default_configELb0EPKlPlSQ_SR_N2at6native12_GLOBAL__N_18offset_tEEE10hipError_tPvRmT1_PNSt15iterator_traitsISZ_E10value_typeET2_T3_PNS10_IS15_E10value_typeET4_jRbjT5_S1B_jjP12ihipStream_tbEUljE_ZNSN_ISO_Lb0ESQ_SR_SQ_SR_SV_EESW_SX_SY_SZ_S13_S14_S15_S18_S19_jS1A_jS1B_S1B_jjS1D_bEUljE0_EEESW_SX_SY_S15_S19_S1B_T6_T7_T9_mT8_S1D_bDpT10_ENKUlT_T0_E_clISt17integral_constantIbLb0EES1Q_IbLb1EEEEDaS1M_S1N_EUlS1M_E_NS1_11comp_targetILNS1_3genE5ELNS1_11target_archE942ELNS1_3gpuE9ELNS1_3repE0EEENS1_30default_config_static_selectorELNS0_4arch9wavefront6targetE0EEEvSZ_.uses_vcc, 0
	.set _ZN7rocprim17ROCPRIM_400000_NS6detail17trampoline_kernelINS0_13select_configILj256ELj13ELNS0_17block_load_methodE3ELS4_3ELS4_3ELNS0_20block_scan_algorithmE0ELj4294967295EEENS1_25partition_config_selectorILNS1_17partition_subalgoE4EjNS0_10empty_typeEbEEZZNS1_14partition_implILS8_4ELb0ES6_15HIP_vector_typeIjLj2EENS0_17counting_iteratorIjlEEPS9_SG_NS0_5tupleIJPjSI_NS0_16reverse_iteratorISI_EEEEENSH_IJSG_SG_SG_EEES9_SI_JZNS1_25segmented_radix_sort_implINS0_14default_configELb0EPKlPlSQ_SR_N2at6native12_GLOBAL__N_18offset_tEEE10hipError_tPvRmT1_PNSt15iterator_traitsISZ_E10value_typeET2_T3_PNS10_IS15_E10value_typeET4_jRbjT5_S1B_jjP12ihipStream_tbEUljE_ZNSN_ISO_Lb0ESQ_SR_SQ_SR_SV_EESW_SX_SY_SZ_S13_S14_S15_S18_S19_jS1A_jS1B_S1B_jjS1D_bEUljE0_EEESW_SX_SY_S15_S19_S1B_T6_T7_T9_mT8_S1D_bDpT10_ENKUlT_T0_E_clISt17integral_constantIbLb0EES1Q_IbLb1EEEEDaS1M_S1N_EUlS1M_E_NS1_11comp_targetILNS1_3genE5ELNS1_11target_archE942ELNS1_3gpuE9ELNS1_3repE0EEENS1_30default_config_static_selectorELNS0_4arch9wavefront6targetE0EEEvSZ_.uses_flat_scratch, 0
	.set _ZN7rocprim17ROCPRIM_400000_NS6detail17trampoline_kernelINS0_13select_configILj256ELj13ELNS0_17block_load_methodE3ELS4_3ELS4_3ELNS0_20block_scan_algorithmE0ELj4294967295EEENS1_25partition_config_selectorILNS1_17partition_subalgoE4EjNS0_10empty_typeEbEEZZNS1_14partition_implILS8_4ELb0ES6_15HIP_vector_typeIjLj2EENS0_17counting_iteratorIjlEEPS9_SG_NS0_5tupleIJPjSI_NS0_16reverse_iteratorISI_EEEEENSH_IJSG_SG_SG_EEES9_SI_JZNS1_25segmented_radix_sort_implINS0_14default_configELb0EPKlPlSQ_SR_N2at6native12_GLOBAL__N_18offset_tEEE10hipError_tPvRmT1_PNSt15iterator_traitsISZ_E10value_typeET2_T3_PNS10_IS15_E10value_typeET4_jRbjT5_S1B_jjP12ihipStream_tbEUljE_ZNSN_ISO_Lb0ESQ_SR_SQ_SR_SV_EESW_SX_SY_SZ_S13_S14_S15_S18_S19_jS1A_jS1B_S1B_jjS1D_bEUljE0_EEESW_SX_SY_S15_S19_S1B_T6_T7_T9_mT8_S1D_bDpT10_ENKUlT_T0_E_clISt17integral_constantIbLb0EES1Q_IbLb1EEEEDaS1M_S1N_EUlS1M_E_NS1_11comp_targetILNS1_3genE5ELNS1_11target_archE942ELNS1_3gpuE9ELNS1_3repE0EEENS1_30default_config_static_selectorELNS0_4arch9wavefront6targetE0EEEvSZ_.has_dyn_sized_stack, 0
	.set _ZN7rocprim17ROCPRIM_400000_NS6detail17trampoline_kernelINS0_13select_configILj256ELj13ELNS0_17block_load_methodE3ELS4_3ELS4_3ELNS0_20block_scan_algorithmE0ELj4294967295EEENS1_25partition_config_selectorILNS1_17partition_subalgoE4EjNS0_10empty_typeEbEEZZNS1_14partition_implILS8_4ELb0ES6_15HIP_vector_typeIjLj2EENS0_17counting_iteratorIjlEEPS9_SG_NS0_5tupleIJPjSI_NS0_16reverse_iteratorISI_EEEEENSH_IJSG_SG_SG_EEES9_SI_JZNS1_25segmented_radix_sort_implINS0_14default_configELb0EPKlPlSQ_SR_N2at6native12_GLOBAL__N_18offset_tEEE10hipError_tPvRmT1_PNSt15iterator_traitsISZ_E10value_typeET2_T3_PNS10_IS15_E10value_typeET4_jRbjT5_S1B_jjP12ihipStream_tbEUljE_ZNSN_ISO_Lb0ESQ_SR_SQ_SR_SV_EESW_SX_SY_SZ_S13_S14_S15_S18_S19_jS1A_jS1B_S1B_jjS1D_bEUljE0_EEESW_SX_SY_S15_S19_S1B_T6_T7_T9_mT8_S1D_bDpT10_ENKUlT_T0_E_clISt17integral_constantIbLb0EES1Q_IbLb1EEEEDaS1M_S1N_EUlS1M_E_NS1_11comp_targetILNS1_3genE5ELNS1_11target_archE942ELNS1_3gpuE9ELNS1_3repE0EEENS1_30default_config_static_selectorELNS0_4arch9wavefront6targetE0EEEvSZ_.has_recursion, 0
	.set _ZN7rocprim17ROCPRIM_400000_NS6detail17trampoline_kernelINS0_13select_configILj256ELj13ELNS0_17block_load_methodE3ELS4_3ELS4_3ELNS0_20block_scan_algorithmE0ELj4294967295EEENS1_25partition_config_selectorILNS1_17partition_subalgoE4EjNS0_10empty_typeEbEEZZNS1_14partition_implILS8_4ELb0ES6_15HIP_vector_typeIjLj2EENS0_17counting_iteratorIjlEEPS9_SG_NS0_5tupleIJPjSI_NS0_16reverse_iteratorISI_EEEEENSH_IJSG_SG_SG_EEES9_SI_JZNS1_25segmented_radix_sort_implINS0_14default_configELb0EPKlPlSQ_SR_N2at6native12_GLOBAL__N_18offset_tEEE10hipError_tPvRmT1_PNSt15iterator_traitsISZ_E10value_typeET2_T3_PNS10_IS15_E10value_typeET4_jRbjT5_S1B_jjP12ihipStream_tbEUljE_ZNSN_ISO_Lb0ESQ_SR_SQ_SR_SV_EESW_SX_SY_SZ_S13_S14_S15_S18_S19_jS1A_jS1B_S1B_jjS1D_bEUljE0_EEESW_SX_SY_S15_S19_S1B_T6_T7_T9_mT8_S1D_bDpT10_ENKUlT_T0_E_clISt17integral_constantIbLb0EES1Q_IbLb1EEEEDaS1M_S1N_EUlS1M_E_NS1_11comp_targetILNS1_3genE5ELNS1_11target_archE942ELNS1_3gpuE9ELNS1_3repE0EEENS1_30default_config_static_selectorELNS0_4arch9wavefront6targetE0EEEvSZ_.has_indirect_call, 0
	.section	.AMDGPU.csdata,"",@progbits
; Kernel info:
; codeLenInByte = 0
; TotalNumSgprs: 0
; NumVgprs: 0
; ScratchSize: 0
; MemoryBound: 0
; FloatMode: 240
; IeeeMode: 1
; LDSByteSize: 0 bytes/workgroup (compile time only)
; SGPRBlocks: 0
; VGPRBlocks: 0
; NumSGPRsForWavesPerEU: 1
; NumVGPRsForWavesPerEU: 1
; Occupancy: 16
; WaveLimiterHint : 0
; COMPUTE_PGM_RSRC2:SCRATCH_EN: 0
; COMPUTE_PGM_RSRC2:USER_SGPR: 2
; COMPUTE_PGM_RSRC2:TRAP_HANDLER: 0
; COMPUTE_PGM_RSRC2:TGID_X_EN: 1
; COMPUTE_PGM_RSRC2:TGID_Y_EN: 0
; COMPUTE_PGM_RSRC2:TGID_Z_EN: 0
; COMPUTE_PGM_RSRC2:TIDIG_COMP_CNT: 0
	.section	.text._ZN7rocprim17ROCPRIM_400000_NS6detail17trampoline_kernelINS0_13select_configILj256ELj13ELNS0_17block_load_methodE3ELS4_3ELS4_3ELNS0_20block_scan_algorithmE0ELj4294967295EEENS1_25partition_config_selectorILNS1_17partition_subalgoE4EjNS0_10empty_typeEbEEZZNS1_14partition_implILS8_4ELb0ES6_15HIP_vector_typeIjLj2EENS0_17counting_iteratorIjlEEPS9_SG_NS0_5tupleIJPjSI_NS0_16reverse_iteratorISI_EEEEENSH_IJSG_SG_SG_EEES9_SI_JZNS1_25segmented_radix_sort_implINS0_14default_configELb0EPKlPlSQ_SR_N2at6native12_GLOBAL__N_18offset_tEEE10hipError_tPvRmT1_PNSt15iterator_traitsISZ_E10value_typeET2_T3_PNS10_IS15_E10value_typeET4_jRbjT5_S1B_jjP12ihipStream_tbEUljE_ZNSN_ISO_Lb0ESQ_SR_SQ_SR_SV_EESW_SX_SY_SZ_S13_S14_S15_S18_S19_jS1A_jS1B_S1B_jjS1D_bEUljE0_EEESW_SX_SY_S15_S19_S1B_T6_T7_T9_mT8_S1D_bDpT10_ENKUlT_T0_E_clISt17integral_constantIbLb0EES1Q_IbLb1EEEEDaS1M_S1N_EUlS1M_E_NS1_11comp_targetILNS1_3genE4ELNS1_11target_archE910ELNS1_3gpuE8ELNS1_3repE0EEENS1_30default_config_static_selectorELNS0_4arch9wavefront6targetE0EEEvSZ_,"axG",@progbits,_ZN7rocprim17ROCPRIM_400000_NS6detail17trampoline_kernelINS0_13select_configILj256ELj13ELNS0_17block_load_methodE3ELS4_3ELS4_3ELNS0_20block_scan_algorithmE0ELj4294967295EEENS1_25partition_config_selectorILNS1_17partition_subalgoE4EjNS0_10empty_typeEbEEZZNS1_14partition_implILS8_4ELb0ES6_15HIP_vector_typeIjLj2EENS0_17counting_iteratorIjlEEPS9_SG_NS0_5tupleIJPjSI_NS0_16reverse_iteratorISI_EEEEENSH_IJSG_SG_SG_EEES9_SI_JZNS1_25segmented_radix_sort_implINS0_14default_configELb0EPKlPlSQ_SR_N2at6native12_GLOBAL__N_18offset_tEEE10hipError_tPvRmT1_PNSt15iterator_traitsISZ_E10value_typeET2_T3_PNS10_IS15_E10value_typeET4_jRbjT5_S1B_jjP12ihipStream_tbEUljE_ZNSN_ISO_Lb0ESQ_SR_SQ_SR_SV_EESW_SX_SY_SZ_S13_S14_S15_S18_S19_jS1A_jS1B_S1B_jjS1D_bEUljE0_EEESW_SX_SY_S15_S19_S1B_T6_T7_T9_mT8_S1D_bDpT10_ENKUlT_T0_E_clISt17integral_constantIbLb0EES1Q_IbLb1EEEEDaS1M_S1N_EUlS1M_E_NS1_11comp_targetILNS1_3genE4ELNS1_11target_archE910ELNS1_3gpuE8ELNS1_3repE0EEENS1_30default_config_static_selectorELNS0_4arch9wavefront6targetE0EEEvSZ_,comdat
	.globl	_ZN7rocprim17ROCPRIM_400000_NS6detail17trampoline_kernelINS0_13select_configILj256ELj13ELNS0_17block_load_methodE3ELS4_3ELS4_3ELNS0_20block_scan_algorithmE0ELj4294967295EEENS1_25partition_config_selectorILNS1_17partition_subalgoE4EjNS0_10empty_typeEbEEZZNS1_14partition_implILS8_4ELb0ES6_15HIP_vector_typeIjLj2EENS0_17counting_iteratorIjlEEPS9_SG_NS0_5tupleIJPjSI_NS0_16reverse_iteratorISI_EEEEENSH_IJSG_SG_SG_EEES9_SI_JZNS1_25segmented_radix_sort_implINS0_14default_configELb0EPKlPlSQ_SR_N2at6native12_GLOBAL__N_18offset_tEEE10hipError_tPvRmT1_PNSt15iterator_traitsISZ_E10value_typeET2_T3_PNS10_IS15_E10value_typeET4_jRbjT5_S1B_jjP12ihipStream_tbEUljE_ZNSN_ISO_Lb0ESQ_SR_SQ_SR_SV_EESW_SX_SY_SZ_S13_S14_S15_S18_S19_jS1A_jS1B_S1B_jjS1D_bEUljE0_EEESW_SX_SY_S15_S19_S1B_T6_T7_T9_mT8_S1D_bDpT10_ENKUlT_T0_E_clISt17integral_constantIbLb0EES1Q_IbLb1EEEEDaS1M_S1N_EUlS1M_E_NS1_11comp_targetILNS1_3genE4ELNS1_11target_archE910ELNS1_3gpuE8ELNS1_3repE0EEENS1_30default_config_static_selectorELNS0_4arch9wavefront6targetE0EEEvSZ_ ; -- Begin function _ZN7rocprim17ROCPRIM_400000_NS6detail17trampoline_kernelINS0_13select_configILj256ELj13ELNS0_17block_load_methodE3ELS4_3ELS4_3ELNS0_20block_scan_algorithmE0ELj4294967295EEENS1_25partition_config_selectorILNS1_17partition_subalgoE4EjNS0_10empty_typeEbEEZZNS1_14partition_implILS8_4ELb0ES6_15HIP_vector_typeIjLj2EENS0_17counting_iteratorIjlEEPS9_SG_NS0_5tupleIJPjSI_NS0_16reverse_iteratorISI_EEEEENSH_IJSG_SG_SG_EEES9_SI_JZNS1_25segmented_radix_sort_implINS0_14default_configELb0EPKlPlSQ_SR_N2at6native12_GLOBAL__N_18offset_tEEE10hipError_tPvRmT1_PNSt15iterator_traitsISZ_E10value_typeET2_T3_PNS10_IS15_E10value_typeET4_jRbjT5_S1B_jjP12ihipStream_tbEUljE_ZNSN_ISO_Lb0ESQ_SR_SQ_SR_SV_EESW_SX_SY_SZ_S13_S14_S15_S18_S19_jS1A_jS1B_S1B_jjS1D_bEUljE0_EEESW_SX_SY_S15_S19_S1B_T6_T7_T9_mT8_S1D_bDpT10_ENKUlT_T0_E_clISt17integral_constantIbLb0EES1Q_IbLb1EEEEDaS1M_S1N_EUlS1M_E_NS1_11comp_targetILNS1_3genE4ELNS1_11target_archE910ELNS1_3gpuE8ELNS1_3repE0EEENS1_30default_config_static_selectorELNS0_4arch9wavefront6targetE0EEEvSZ_
	.p2align	8
	.type	_ZN7rocprim17ROCPRIM_400000_NS6detail17trampoline_kernelINS0_13select_configILj256ELj13ELNS0_17block_load_methodE3ELS4_3ELS4_3ELNS0_20block_scan_algorithmE0ELj4294967295EEENS1_25partition_config_selectorILNS1_17partition_subalgoE4EjNS0_10empty_typeEbEEZZNS1_14partition_implILS8_4ELb0ES6_15HIP_vector_typeIjLj2EENS0_17counting_iteratorIjlEEPS9_SG_NS0_5tupleIJPjSI_NS0_16reverse_iteratorISI_EEEEENSH_IJSG_SG_SG_EEES9_SI_JZNS1_25segmented_radix_sort_implINS0_14default_configELb0EPKlPlSQ_SR_N2at6native12_GLOBAL__N_18offset_tEEE10hipError_tPvRmT1_PNSt15iterator_traitsISZ_E10value_typeET2_T3_PNS10_IS15_E10value_typeET4_jRbjT5_S1B_jjP12ihipStream_tbEUljE_ZNSN_ISO_Lb0ESQ_SR_SQ_SR_SV_EESW_SX_SY_SZ_S13_S14_S15_S18_S19_jS1A_jS1B_S1B_jjS1D_bEUljE0_EEESW_SX_SY_S15_S19_S1B_T6_T7_T9_mT8_S1D_bDpT10_ENKUlT_T0_E_clISt17integral_constantIbLb0EES1Q_IbLb1EEEEDaS1M_S1N_EUlS1M_E_NS1_11comp_targetILNS1_3genE4ELNS1_11target_archE910ELNS1_3gpuE8ELNS1_3repE0EEENS1_30default_config_static_selectorELNS0_4arch9wavefront6targetE0EEEvSZ_,@function
_ZN7rocprim17ROCPRIM_400000_NS6detail17trampoline_kernelINS0_13select_configILj256ELj13ELNS0_17block_load_methodE3ELS4_3ELS4_3ELNS0_20block_scan_algorithmE0ELj4294967295EEENS1_25partition_config_selectorILNS1_17partition_subalgoE4EjNS0_10empty_typeEbEEZZNS1_14partition_implILS8_4ELb0ES6_15HIP_vector_typeIjLj2EENS0_17counting_iteratorIjlEEPS9_SG_NS0_5tupleIJPjSI_NS0_16reverse_iteratorISI_EEEEENSH_IJSG_SG_SG_EEES9_SI_JZNS1_25segmented_radix_sort_implINS0_14default_configELb0EPKlPlSQ_SR_N2at6native12_GLOBAL__N_18offset_tEEE10hipError_tPvRmT1_PNSt15iterator_traitsISZ_E10value_typeET2_T3_PNS10_IS15_E10value_typeET4_jRbjT5_S1B_jjP12ihipStream_tbEUljE_ZNSN_ISO_Lb0ESQ_SR_SQ_SR_SV_EESW_SX_SY_SZ_S13_S14_S15_S18_S19_jS1A_jS1B_S1B_jjS1D_bEUljE0_EEESW_SX_SY_S15_S19_S1B_T6_T7_T9_mT8_S1D_bDpT10_ENKUlT_T0_E_clISt17integral_constantIbLb0EES1Q_IbLb1EEEEDaS1M_S1N_EUlS1M_E_NS1_11comp_targetILNS1_3genE4ELNS1_11target_archE910ELNS1_3gpuE8ELNS1_3repE0EEENS1_30default_config_static_selectorELNS0_4arch9wavefront6targetE0EEEvSZ_: ; @_ZN7rocprim17ROCPRIM_400000_NS6detail17trampoline_kernelINS0_13select_configILj256ELj13ELNS0_17block_load_methodE3ELS4_3ELS4_3ELNS0_20block_scan_algorithmE0ELj4294967295EEENS1_25partition_config_selectorILNS1_17partition_subalgoE4EjNS0_10empty_typeEbEEZZNS1_14partition_implILS8_4ELb0ES6_15HIP_vector_typeIjLj2EENS0_17counting_iteratorIjlEEPS9_SG_NS0_5tupleIJPjSI_NS0_16reverse_iteratorISI_EEEEENSH_IJSG_SG_SG_EEES9_SI_JZNS1_25segmented_radix_sort_implINS0_14default_configELb0EPKlPlSQ_SR_N2at6native12_GLOBAL__N_18offset_tEEE10hipError_tPvRmT1_PNSt15iterator_traitsISZ_E10value_typeET2_T3_PNS10_IS15_E10value_typeET4_jRbjT5_S1B_jjP12ihipStream_tbEUljE_ZNSN_ISO_Lb0ESQ_SR_SQ_SR_SV_EESW_SX_SY_SZ_S13_S14_S15_S18_S19_jS1A_jS1B_S1B_jjS1D_bEUljE0_EEESW_SX_SY_S15_S19_S1B_T6_T7_T9_mT8_S1D_bDpT10_ENKUlT_T0_E_clISt17integral_constantIbLb0EES1Q_IbLb1EEEEDaS1M_S1N_EUlS1M_E_NS1_11comp_targetILNS1_3genE4ELNS1_11target_archE910ELNS1_3gpuE8ELNS1_3repE0EEENS1_30default_config_static_selectorELNS0_4arch9wavefront6targetE0EEEvSZ_
; %bb.0:
	.section	.rodata,"a",@progbits
	.p2align	6, 0x0
	.amdhsa_kernel _ZN7rocprim17ROCPRIM_400000_NS6detail17trampoline_kernelINS0_13select_configILj256ELj13ELNS0_17block_load_methodE3ELS4_3ELS4_3ELNS0_20block_scan_algorithmE0ELj4294967295EEENS1_25partition_config_selectorILNS1_17partition_subalgoE4EjNS0_10empty_typeEbEEZZNS1_14partition_implILS8_4ELb0ES6_15HIP_vector_typeIjLj2EENS0_17counting_iteratorIjlEEPS9_SG_NS0_5tupleIJPjSI_NS0_16reverse_iteratorISI_EEEEENSH_IJSG_SG_SG_EEES9_SI_JZNS1_25segmented_radix_sort_implINS0_14default_configELb0EPKlPlSQ_SR_N2at6native12_GLOBAL__N_18offset_tEEE10hipError_tPvRmT1_PNSt15iterator_traitsISZ_E10value_typeET2_T3_PNS10_IS15_E10value_typeET4_jRbjT5_S1B_jjP12ihipStream_tbEUljE_ZNSN_ISO_Lb0ESQ_SR_SQ_SR_SV_EESW_SX_SY_SZ_S13_S14_S15_S18_S19_jS1A_jS1B_S1B_jjS1D_bEUljE0_EEESW_SX_SY_S15_S19_S1B_T6_T7_T9_mT8_S1D_bDpT10_ENKUlT_T0_E_clISt17integral_constantIbLb0EES1Q_IbLb1EEEEDaS1M_S1N_EUlS1M_E_NS1_11comp_targetILNS1_3genE4ELNS1_11target_archE910ELNS1_3gpuE8ELNS1_3repE0EEENS1_30default_config_static_selectorELNS0_4arch9wavefront6targetE0EEEvSZ_
		.amdhsa_group_segment_fixed_size 0
		.amdhsa_private_segment_fixed_size 0
		.amdhsa_kernarg_size 184
		.amdhsa_user_sgpr_count 2
		.amdhsa_user_sgpr_dispatch_ptr 0
		.amdhsa_user_sgpr_queue_ptr 0
		.amdhsa_user_sgpr_kernarg_segment_ptr 1
		.amdhsa_user_sgpr_dispatch_id 0
		.amdhsa_user_sgpr_private_segment_size 0
		.amdhsa_wavefront_size32 1
		.amdhsa_uses_dynamic_stack 0
		.amdhsa_enable_private_segment 0
		.amdhsa_system_sgpr_workgroup_id_x 1
		.amdhsa_system_sgpr_workgroup_id_y 0
		.amdhsa_system_sgpr_workgroup_id_z 0
		.amdhsa_system_sgpr_workgroup_info 0
		.amdhsa_system_vgpr_workitem_id 0
		.amdhsa_next_free_vgpr 1
		.amdhsa_next_free_sgpr 1
		.amdhsa_reserve_vcc 0
		.amdhsa_float_round_mode_32 0
		.amdhsa_float_round_mode_16_64 0
		.amdhsa_float_denorm_mode_32 3
		.amdhsa_float_denorm_mode_16_64 3
		.amdhsa_fp16_overflow 0
		.amdhsa_workgroup_processor_mode 1
		.amdhsa_memory_ordered 1
		.amdhsa_forward_progress 1
		.amdhsa_inst_pref_size 0
		.amdhsa_round_robin_scheduling 0
		.amdhsa_exception_fp_ieee_invalid_op 0
		.amdhsa_exception_fp_denorm_src 0
		.amdhsa_exception_fp_ieee_div_zero 0
		.amdhsa_exception_fp_ieee_overflow 0
		.amdhsa_exception_fp_ieee_underflow 0
		.amdhsa_exception_fp_ieee_inexact 0
		.amdhsa_exception_int_div_zero 0
	.end_amdhsa_kernel
	.section	.text._ZN7rocprim17ROCPRIM_400000_NS6detail17trampoline_kernelINS0_13select_configILj256ELj13ELNS0_17block_load_methodE3ELS4_3ELS4_3ELNS0_20block_scan_algorithmE0ELj4294967295EEENS1_25partition_config_selectorILNS1_17partition_subalgoE4EjNS0_10empty_typeEbEEZZNS1_14partition_implILS8_4ELb0ES6_15HIP_vector_typeIjLj2EENS0_17counting_iteratorIjlEEPS9_SG_NS0_5tupleIJPjSI_NS0_16reverse_iteratorISI_EEEEENSH_IJSG_SG_SG_EEES9_SI_JZNS1_25segmented_radix_sort_implINS0_14default_configELb0EPKlPlSQ_SR_N2at6native12_GLOBAL__N_18offset_tEEE10hipError_tPvRmT1_PNSt15iterator_traitsISZ_E10value_typeET2_T3_PNS10_IS15_E10value_typeET4_jRbjT5_S1B_jjP12ihipStream_tbEUljE_ZNSN_ISO_Lb0ESQ_SR_SQ_SR_SV_EESW_SX_SY_SZ_S13_S14_S15_S18_S19_jS1A_jS1B_S1B_jjS1D_bEUljE0_EEESW_SX_SY_S15_S19_S1B_T6_T7_T9_mT8_S1D_bDpT10_ENKUlT_T0_E_clISt17integral_constantIbLb0EES1Q_IbLb1EEEEDaS1M_S1N_EUlS1M_E_NS1_11comp_targetILNS1_3genE4ELNS1_11target_archE910ELNS1_3gpuE8ELNS1_3repE0EEENS1_30default_config_static_selectorELNS0_4arch9wavefront6targetE0EEEvSZ_,"axG",@progbits,_ZN7rocprim17ROCPRIM_400000_NS6detail17trampoline_kernelINS0_13select_configILj256ELj13ELNS0_17block_load_methodE3ELS4_3ELS4_3ELNS0_20block_scan_algorithmE0ELj4294967295EEENS1_25partition_config_selectorILNS1_17partition_subalgoE4EjNS0_10empty_typeEbEEZZNS1_14partition_implILS8_4ELb0ES6_15HIP_vector_typeIjLj2EENS0_17counting_iteratorIjlEEPS9_SG_NS0_5tupleIJPjSI_NS0_16reverse_iteratorISI_EEEEENSH_IJSG_SG_SG_EEES9_SI_JZNS1_25segmented_radix_sort_implINS0_14default_configELb0EPKlPlSQ_SR_N2at6native12_GLOBAL__N_18offset_tEEE10hipError_tPvRmT1_PNSt15iterator_traitsISZ_E10value_typeET2_T3_PNS10_IS15_E10value_typeET4_jRbjT5_S1B_jjP12ihipStream_tbEUljE_ZNSN_ISO_Lb0ESQ_SR_SQ_SR_SV_EESW_SX_SY_SZ_S13_S14_S15_S18_S19_jS1A_jS1B_S1B_jjS1D_bEUljE0_EEESW_SX_SY_S15_S19_S1B_T6_T7_T9_mT8_S1D_bDpT10_ENKUlT_T0_E_clISt17integral_constantIbLb0EES1Q_IbLb1EEEEDaS1M_S1N_EUlS1M_E_NS1_11comp_targetILNS1_3genE4ELNS1_11target_archE910ELNS1_3gpuE8ELNS1_3repE0EEENS1_30default_config_static_selectorELNS0_4arch9wavefront6targetE0EEEvSZ_,comdat
.Lfunc_end769:
	.size	_ZN7rocprim17ROCPRIM_400000_NS6detail17trampoline_kernelINS0_13select_configILj256ELj13ELNS0_17block_load_methodE3ELS4_3ELS4_3ELNS0_20block_scan_algorithmE0ELj4294967295EEENS1_25partition_config_selectorILNS1_17partition_subalgoE4EjNS0_10empty_typeEbEEZZNS1_14partition_implILS8_4ELb0ES6_15HIP_vector_typeIjLj2EENS0_17counting_iteratorIjlEEPS9_SG_NS0_5tupleIJPjSI_NS0_16reverse_iteratorISI_EEEEENSH_IJSG_SG_SG_EEES9_SI_JZNS1_25segmented_radix_sort_implINS0_14default_configELb0EPKlPlSQ_SR_N2at6native12_GLOBAL__N_18offset_tEEE10hipError_tPvRmT1_PNSt15iterator_traitsISZ_E10value_typeET2_T3_PNS10_IS15_E10value_typeET4_jRbjT5_S1B_jjP12ihipStream_tbEUljE_ZNSN_ISO_Lb0ESQ_SR_SQ_SR_SV_EESW_SX_SY_SZ_S13_S14_S15_S18_S19_jS1A_jS1B_S1B_jjS1D_bEUljE0_EEESW_SX_SY_S15_S19_S1B_T6_T7_T9_mT8_S1D_bDpT10_ENKUlT_T0_E_clISt17integral_constantIbLb0EES1Q_IbLb1EEEEDaS1M_S1N_EUlS1M_E_NS1_11comp_targetILNS1_3genE4ELNS1_11target_archE910ELNS1_3gpuE8ELNS1_3repE0EEENS1_30default_config_static_selectorELNS0_4arch9wavefront6targetE0EEEvSZ_, .Lfunc_end769-_ZN7rocprim17ROCPRIM_400000_NS6detail17trampoline_kernelINS0_13select_configILj256ELj13ELNS0_17block_load_methodE3ELS4_3ELS4_3ELNS0_20block_scan_algorithmE0ELj4294967295EEENS1_25partition_config_selectorILNS1_17partition_subalgoE4EjNS0_10empty_typeEbEEZZNS1_14partition_implILS8_4ELb0ES6_15HIP_vector_typeIjLj2EENS0_17counting_iteratorIjlEEPS9_SG_NS0_5tupleIJPjSI_NS0_16reverse_iteratorISI_EEEEENSH_IJSG_SG_SG_EEES9_SI_JZNS1_25segmented_radix_sort_implINS0_14default_configELb0EPKlPlSQ_SR_N2at6native12_GLOBAL__N_18offset_tEEE10hipError_tPvRmT1_PNSt15iterator_traitsISZ_E10value_typeET2_T3_PNS10_IS15_E10value_typeET4_jRbjT5_S1B_jjP12ihipStream_tbEUljE_ZNSN_ISO_Lb0ESQ_SR_SQ_SR_SV_EESW_SX_SY_SZ_S13_S14_S15_S18_S19_jS1A_jS1B_S1B_jjS1D_bEUljE0_EEESW_SX_SY_S15_S19_S1B_T6_T7_T9_mT8_S1D_bDpT10_ENKUlT_T0_E_clISt17integral_constantIbLb0EES1Q_IbLb1EEEEDaS1M_S1N_EUlS1M_E_NS1_11comp_targetILNS1_3genE4ELNS1_11target_archE910ELNS1_3gpuE8ELNS1_3repE0EEENS1_30default_config_static_selectorELNS0_4arch9wavefront6targetE0EEEvSZ_
                                        ; -- End function
	.set _ZN7rocprim17ROCPRIM_400000_NS6detail17trampoline_kernelINS0_13select_configILj256ELj13ELNS0_17block_load_methodE3ELS4_3ELS4_3ELNS0_20block_scan_algorithmE0ELj4294967295EEENS1_25partition_config_selectorILNS1_17partition_subalgoE4EjNS0_10empty_typeEbEEZZNS1_14partition_implILS8_4ELb0ES6_15HIP_vector_typeIjLj2EENS0_17counting_iteratorIjlEEPS9_SG_NS0_5tupleIJPjSI_NS0_16reverse_iteratorISI_EEEEENSH_IJSG_SG_SG_EEES9_SI_JZNS1_25segmented_radix_sort_implINS0_14default_configELb0EPKlPlSQ_SR_N2at6native12_GLOBAL__N_18offset_tEEE10hipError_tPvRmT1_PNSt15iterator_traitsISZ_E10value_typeET2_T3_PNS10_IS15_E10value_typeET4_jRbjT5_S1B_jjP12ihipStream_tbEUljE_ZNSN_ISO_Lb0ESQ_SR_SQ_SR_SV_EESW_SX_SY_SZ_S13_S14_S15_S18_S19_jS1A_jS1B_S1B_jjS1D_bEUljE0_EEESW_SX_SY_S15_S19_S1B_T6_T7_T9_mT8_S1D_bDpT10_ENKUlT_T0_E_clISt17integral_constantIbLb0EES1Q_IbLb1EEEEDaS1M_S1N_EUlS1M_E_NS1_11comp_targetILNS1_3genE4ELNS1_11target_archE910ELNS1_3gpuE8ELNS1_3repE0EEENS1_30default_config_static_selectorELNS0_4arch9wavefront6targetE0EEEvSZ_.num_vgpr, 0
	.set _ZN7rocprim17ROCPRIM_400000_NS6detail17trampoline_kernelINS0_13select_configILj256ELj13ELNS0_17block_load_methodE3ELS4_3ELS4_3ELNS0_20block_scan_algorithmE0ELj4294967295EEENS1_25partition_config_selectorILNS1_17partition_subalgoE4EjNS0_10empty_typeEbEEZZNS1_14partition_implILS8_4ELb0ES6_15HIP_vector_typeIjLj2EENS0_17counting_iteratorIjlEEPS9_SG_NS0_5tupleIJPjSI_NS0_16reverse_iteratorISI_EEEEENSH_IJSG_SG_SG_EEES9_SI_JZNS1_25segmented_radix_sort_implINS0_14default_configELb0EPKlPlSQ_SR_N2at6native12_GLOBAL__N_18offset_tEEE10hipError_tPvRmT1_PNSt15iterator_traitsISZ_E10value_typeET2_T3_PNS10_IS15_E10value_typeET4_jRbjT5_S1B_jjP12ihipStream_tbEUljE_ZNSN_ISO_Lb0ESQ_SR_SQ_SR_SV_EESW_SX_SY_SZ_S13_S14_S15_S18_S19_jS1A_jS1B_S1B_jjS1D_bEUljE0_EEESW_SX_SY_S15_S19_S1B_T6_T7_T9_mT8_S1D_bDpT10_ENKUlT_T0_E_clISt17integral_constantIbLb0EES1Q_IbLb1EEEEDaS1M_S1N_EUlS1M_E_NS1_11comp_targetILNS1_3genE4ELNS1_11target_archE910ELNS1_3gpuE8ELNS1_3repE0EEENS1_30default_config_static_selectorELNS0_4arch9wavefront6targetE0EEEvSZ_.num_agpr, 0
	.set _ZN7rocprim17ROCPRIM_400000_NS6detail17trampoline_kernelINS0_13select_configILj256ELj13ELNS0_17block_load_methodE3ELS4_3ELS4_3ELNS0_20block_scan_algorithmE0ELj4294967295EEENS1_25partition_config_selectorILNS1_17partition_subalgoE4EjNS0_10empty_typeEbEEZZNS1_14partition_implILS8_4ELb0ES6_15HIP_vector_typeIjLj2EENS0_17counting_iteratorIjlEEPS9_SG_NS0_5tupleIJPjSI_NS0_16reverse_iteratorISI_EEEEENSH_IJSG_SG_SG_EEES9_SI_JZNS1_25segmented_radix_sort_implINS0_14default_configELb0EPKlPlSQ_SR_N2at6native12_GLOBAL__N_18offset_tEEE10hipError_tPvRmT1_PNSt15iterator_traitsISZ_E10value_typeET2_T3_PNS10_IS15_E10value_typeET4_jRbjT5_S1B_jjP12ihipStream_tbEUljE_ZNSN_ISO_Lb0ESQ_SR_SQ_SR_SV_EESW_SX_SY_SZ_S13_S14_S15_S18_S19_jS1A_jS1B_S1B_jjS1D_bEUljE0_EEESW_SX_SY_S15_S19_S1B_T6_T7_T9_mT8_S1D_bDpT10_ENKUlT_T0_E_clISt17integral_constantIbLb0EES1Q_IbLb1EEEEDaS1M_S1N_EUlS1M_E_NS1_11comp_targetILNS1_3genE4ELNS1_11target_archE910ELNS1_3gpuE8ELNS1_3repE0EEENS1_30default_config_static_selectorELNS0_4arch9wavefront6targetE0EEEvSZ_.numbered_sgpr, 0
	.set _ZN7rocprim17ROCPRIM_400000_NS6detail17trampoline_kernelINS0_13select_configILj256ELj13ELNS0_17block_load_methodE3ELS4_3ELS4_3ELNS0_20block_scan_algorithmE0ELj4294967295EEENS1_25partition_config_selectorILNS1_17partition_subalgoE4EjNS0_10empty_typeEbEEZZNS1_14partition_implILS8_4ELb0ES6_15HIP_vector_typeIjLj2EENS0_17counting_iteratorIjlEEPS9_SG_NS0_5tupleIJPjSI_NS0_16reverse_iteratorISI_EEEEENSH_IJSG_SG_SG_EEES9_SI_JZNS1_25segmented_radix_sort_implINS0_14default_configELb0EPKlPlSQ_SR_N2at6native12_GLOBAL__N_18offset_tEEE10hipError_tPvRmT1_PNSt15iterator_traitsISZ_E10value_typeET2_T3_PNS10_IS15_E10value_typeET4_jRbjT5_S1B_jjP12ihipStream_tbEUljE_ZNSN_ISO_Lb0ESQ_SR_SQ_SR_SV_EESW_SX_SY_SZ_S13_S14_S15_S18_S19_jS1A_jS1B_S1B_jjS1D_bEUljE0_EEESW_SX_SY_S15_S19_S1B_T6_T7_T9_mT8_S1D_bDpT10_ENKUlT_T0_E_clISt17integral_constantIbLb0EES1Q_IbLb1EEEEDaS1M_S1N_EUlS1M_E_NS1_11comp_targetILNS1_3genE4ELNS1_11target_archE910ELNS1_3gpuE8ELNS1_3repE0EEENS1_30default_config_static_selectorELNS0_4arch9wavefront6targetE0EEEvSZ_.num_named_barrier, 0
	.set _ZN7rocprim17ROCPRIM_400000_NS6detail17trampoline_kernelINS0_13select_configILj256ELj13ELNS0_17block_load_methodE3ELS4_3ELS4_3ELNS0_20block_scan_algorithmE0ELj4294967295EEENS1_25partition_config_selectorILNS1_17partition_subalgoE4EjNS0_10empty_typeEbEEZZNS1_14partition_implILS8_4ELb0ES6_15HIP_vector_typeIjLj2EENS0_17counting_iteratorIjlEEPS9_SG_NS0_5tupleIJPjSI_NS0_16reverse_iteratorISI_EEEEENSH_IJSG_SG_SG_EEES9_SI_JZNS1_25segmented_radix_sort_implINS0_14default_configELb0EPKlPlSQ_SR_N2at6native12_GLOBAL__N_18offset_tEEE10hipError_tPvRmT1_PNSt15iterator_traitsISZ_E10value_typeET2_T3_PNS10_IS15_E10value_typeET4_jRbjT5_S1B_jjP12ihipStream_tbEUljE_ZNSN_ISO_Lb0ESQ_SR_SQ_SR_SV_EESW_SX_SY_SZ_S13_S14_S15_S18_S19_jS1A_jS1B_S1B_jjS1D_bEUljE0_EEESW_SX_SY_S15_S19_S1B_T6_T7_T9_mT8_S1D_bDpT10_ENKUlT_T0_E_clISt17integral_constantIbLb0EES1Q_IbLb1EEEEDaS1M_S1N_EUlS1M_E_NS1_11comp_targetILNS1_3genE4ELNS1_11target_archE910ELNS1_3gpuE8ELNS1_3repE0EEENS1_30default_config_static_selectorELNS0_4arch9wavefront6targetE0EEEvSZ_.private_seg_size, 0
	.set _ZN7rocprim17ROCPRIM_400000_NS6detail17trampoline_kernelINS0_13select_configILj256ELj13ELNS0_17block_load_methodE3ELS4_3ELS4_3ELNS0_20block_scan_algorithmE0ELj4294967295EEENS1_25partition_config_selectorILNS1_17partition_subalgoE4EjNS0_10empty_typeEbEEZZNS1_14partition_implILS8_4ELb0ES6_15HIP_vector_typeIjLj2EENS0_17counting_iteratorIjlEEPS9_SG_NS0_5tupleIJPjSI_NS0_16reverse_iteratorISI_EEEEENSH_IJSG_SG_SG_EEES9_SI_JZNS1_25segmented_radix_sort_implINS0_14default_configELb0EPKlPlSQ_SR_N2at6native12_GLOBAL__N_18offset_tEEE10hipError_tPvRmT1_PNSt15iterator_traitsISZ_E10value_typeET2_T3_PNS10_IS15_E10value_typeET4_jRbjT5_S1B_jjP12ihipStream_tbEUljE_ZNSN_ISO_Lb0ESQ_SR_SQ_SR_SV_EESW_SX_SY_SZ_S13_S14_S15_S18_S19_jS1A_jS1B_S1B_jjS1D_bEUljE0_EEESW_SX_SY_S15_S19_S1B_T6_T7_T9_mT8_S1D_bDpT10_ENKUlT_T0_E_clISt17integral_constantIbLb0EES1Q_IbLb1EEEEDaS1M_S1N_EUlS1M_E_NS1_11comp_targetILNS1_3genE4ELNS1_11target_archE910ELNS1_3gpuE8ELNS1_3repE0EEENS1_30default_config_static_selectorELNS0_4arch9wavefront6targetE0EEEvSZ_.uses_vcc, 0
	.set _ZN7rocprim17ROCPRIM_400000_NS6detail17trampoline_kernelINS0_13select_configILj256ELj13ELNS0_17block_load_methodE3ELS4_3ELS4_3ELNS0_20block_scan_algorithmE0ELj4294967295EEENS1_25partition_config_selectorILNS1_17partition_subalgoE4EjNS0_10empty_typeEbEEZZNS1_14partition_implILS8_4ELb0ES6_15HIP_vector_typeIjLj2EENS0_17counting_iteratorIjlEEPS9_SG_NS0_5tupleIJPjSI_NS0_16reverse_iteratorISI_EEEEENSH_IJSG_SG_SG_EEES9_SI_JZNS1_25segmented_radix_sort_implINS0_14default_configELb0EPKlPlSQ_SR_N2at6native12_GLOBAL__N_18offset_tEEE10hipError_tPvRmT1_PNSt15iterator_traitsISZ_E10value_typeET2_T3_PNS10_IS15_E10value_typeET4_jRbjT5_S1B_jjP12ihipStream_tbEUljE_ZNSN_ISO_Lb0ESQ_SR_SQ_SR_SV_EESW_SX_SY_SZ_S13_S14_S15_S18_S19_jS1A_jS1B_S1B_jjS1D_bEUljE0_EEESW_SX_SY_S15_S19_S1B_T6_T7_T9_mT8_S1D_bDpT10_ENKUlT_T0_E_clISt17integral_constantIbLb0EES1Q_IbLb1EEEEDaS1M_S1N_EUlS1M_E_NS1_11comp_targetILNS1_3genE4ELNS1_11target_archE910ELNS1_3gpuE8ELNS1_3repE0EEENS1_30default_config_static_selectorELNS0_4arch9wavefront6targetE0EEEvSZ_.uses_flat_scratch, 0
	.set _ZN7rocprim17ROCPRIM_400000_NS6detail17trampoline_kernelINS0_13select_configILj256ELj13ELNS0_17block_load_methodE3ELS4_3ELS4_3ELNS0_20block_scan_algorithmE0ELj4294967295EEENS1_25partition_config_selectorILNS1_17partition_subalgoE4EjNS0_10empty_typeEbEEZZNS1_14partition_implILS8_4ELb0ES6_15HIP_vector_typeIjLj2EENS0_17counting_iteratorIjlEEPS9_SG_NS0_5tupleIJPjSI_NS0_16reverse_iteratorISI_EEEEENSH_IJSG_SG_SG_EEES9_SI_JZNS1_25segmented_radix_sort_implINS0_14default_configELb0EPKlPlSQ_SR_N2at6native12_GLOBAL__N_18offset_tEEE10hipError_tPvRmT1_PNSt15iterator_traitsISZ_E10value_typeET2_T3_PNS10_IS15_E10value_typeET4_jRbjT5_S1B_jjP12ihipStream_tbEUljE_ZNSN_ISO_Lb0ESQ_SR_SQ_SR_SV_EESW_SX_SY_SZ_S13_S14_S15_S18_S19_jS1A_jS1B_S1B_jjS1D_bEUljE0_EEESW_SX_SY_S15_S19_S1B_T6_T7_T9_mT8_S1D_bDpT10_ENKUlT_T0_E_clISt17integral_constantIbLb0EES1Q_IbLb1EEEEDaS1M_S1N_EUlS1M_E_NS1_11comp_targetILNS1_3genE4ELNS1_11target_archE910ELNS1_3gpuE8ELNS1_3repE0EEENS1_30default_config_static_selectorELNS0_4arch9wavefront6targetE0EEEvSZ_.has_dyn_sized_stack, 0
	.set _ZN7rocprim17ROCPRIM_400000_NS6detail17trampoline_kernelINS0_13select_configILj256ELj13ELNS0_17block_load_methodE3ELS4_3ELS4_3ELNS0_20block_scan_algorithmE0ELj4294967295EEENS1_25partition_config_selectorILNS1_17partition_subalgoE4EjNS0_10empty_typeEbEEZZNS1_14partition_implILS8_4ELb0ES6_15HIP_vector_typeIjLj2EENS0_17counting_iteratorIjlEEPS9_SG_NS0_5tupleIJPjSI_NS0_16reverse_iteratorISI_EEEEENSH_IJSG_SG_SG_EEES9_SI_JZNS1_25segmented_radix_sort_implINS0_14default_configELb0EPKlPlSQ_SR_N2at6native12_GLOBAL__N_18offset_tEEE10hipError_tPvRmT1_PNSt15iterator_traitsISZ_E10value_typeET2_T3_PNS10_IS15_E10value_typeET4_jRbjT5_S1B_jjP12ihipStream_tbEUljE_ZNSN_ISO_Lb0ESQ_SR_SQ_SR_SV_EESW_SX_SY_SZ_S13_S14_S15_S18_S19_jS1A_jS1B_S1B_jjS1D_bEUljE0_EEESW_SX_SY_S15_S19_S1B_T6_T7_T9_mT8_S1D_bDpT10_ENKUlT_T0_E_clISt17integral_constantIbLb0EES1Q_IbLb1EEEEDaS1M_S1N_EUlS1M_E_NS1_11comp_targetILNS1_3genE4ELNS1_11target_archE910ELNS1_3gpuE8ELNS1_3repE0EEENS1_30default_config_static_selectorELNS0_4arch9wavefront6targetE0EEEvSZ_.has_recursion, 0
	.set _ZN7rocprim17ROCPRIM_400000_NS6detail17trampoline_kernelINS0_13select_configILj256ELj13ELNS0_17block_load_methodE3ELS4_3ELS4_3ELNS0_20block_scan_algorithmE0ELj4294967295EEENS1_25partition_config_selectorILNS1_17partition_subalgoE4EjNS0_10empty_typeEbEEZZNS1_14partition_implILS8_4ELb0ES6_15HIP_vector_typeIjLj2EENS0_17counting_iteratorIjlEEPS9_SG_NS0_5tupleIJPjSI_NS0_16reverse_iteratorISI_EEEEENSH_IJSG_SG_SG_EEES9_SI_JZNS1_25segmented_radix_sort_implINS0_14default_configELb0EPKlPlSQ_SR_N2at6native12_GLOBAL__N_18offset_tEEE10hipError_tPvRmT1_PNSt15iterator_traitsISZ_E10value_typeET2_T3_PNS10_IS15_E10value_typeET4_jRbjT5_S1B_jjP12ihipStream_tbEUljE_ZNSN_ISO_Lb0ESQ_SR_SQ_SR_SV_EESW_SX_SY_SZ_S13_S14_S15_S18_S19_jS1A_jS1B_S1B_jjS1D_bEUljE0_EEESW_SX_SY_S15_S19_S1B_T6_T7_T9_mT8_S1D_bDpT10_ENKUlT_T0_E_clISt17integral_constantIbLb0EES1Q_IbLb1EEEEDaS1M_S1N_EUlS1M_E_NS1_11comp_targetILNS1_3genE4ELNS1_11target_archE910ELNS1_3gpuE8ELNS1_3repE0EEENS1_30default_config_static_selectorELNS0_4arch9wavefront6targetE0EEEvSZ_.has_indirect_call, 0
	.section	.AMDGPU.csdata,"",@progbits
; Kernel info:
; codeLenInByte = 0
; TotalNumSgprs: 0
; NumVgprs: 0
; ScratchSize: 0
; MemoryBound: 0
; FloatMode: 240
; IeeeMode: 1
; LDSByteSize: 0 bytes/workgroup (compile time only)
; SGPRBlocks: 0
; VGPRBlocks: 0
; NumSGPRsForWavesPerEU: 1
; NumVGPRsForWavesPerEU: 1
; Occupancy: 16
; WaveLimiterHint : 0
; COMPUTE_PGM_RSRC2:SCRATCH_EN: 0
; COMPUTE_PGM_RSRC2:USER_SGPR: 2
; COMPUTE_PGM_RSRC2:TRAP_HANDLER: 0
; COMPUTE_PGM_RSRC2:TGID_X_EN: 1
; COMPUTE_PGM_RSRC2:TGID_Y_EN: 0
; COMPUTE_PGM_RSRC2:TGID_Z_EN: 0
; COMPUTE_PGM_RSRC2:TIDIG_COMP_CNT: 0
	.section	.text._ZN7rocprim17ROCPRIM_400000_NS6detail17trampoline_kernelINS0_13select_configILj256ELj13ELNS0_17block_load_methodE3ELS4_3ELS4_3ELNS0_20block_scan_algorithmE0ELj4294967295EEENS1_25partition_config_selectorILNS1_17partition_subalgoE4EjNS0_10empty_typeEbEEZZNS1_14partition_implILS8_4ELb0ES6_15HIP_vector_typeIjLj2EENS0_17counting_iteratorIjlEEPS9_SG_NS0_5tupleIJPjSI_NS0_16reverse_iteratorISI_EEEEENSH_IJSG_SG_SG_EEES9_SI_JZNS1_25segmented_radix_sort_implINS0_14default_configELb0EPKlPlSQ_SR_N2at6native12_GLOBAL__N_18offset_tEEE10hipError_tPvRmT1_PNSt15iterator_traitsISZ_E10value_typeET2_T3_PNS10_IS15_E10value_typeET4_jRbjT5_S1B_jjP12ihipStream_tbEUljE_ZNSN_ISO_Lb0ESQ_SR_SQ_SR_SV_EESW_SX_SY_SZ_S13_S14_S15_S18_S19_jS1A_jS1B_S1B_jjS1D_bEUljE0_EEESW_SX_SY_S15_S19_S1B_T6_T7_T9_mT8_S1D_bDpT10_ENKUlT_T0_E_clISt17integral_constantIbLb0EES1Q_IbLb1EEEEDaS1M_S1N_EUlS1M_E_NS1_11comp_targetILNS1_3genE3ELNS1_11target_archE908ELNS1_3gpuE7ELNS1_3repE0EEENS1_30default_config_static_selectorELNS0_4arch9wavefront6targetE0EEEvSZ_,"axG",@progbits,_ZN7rocprim17ROCPRIM_400000_NS6detail17trampoline_kernelINS0_13select_configILj256ELj13ELNS0_17block_load_methodE3ELS4_3ELS4_3ELNS0_20block_scan_algorithmE0ELj4294967295EEENS1_25partition_config_selectorILNS1_17partition_subalgoE4EjNS0_10empty_typeEbEEZZNS1_14partition_implILS8_4ELb0ES6_15HIP_vector_typeIjLj2EENS0_17counting_iteratorIjlEEPS9_SG_NS0_5tupleIJPjSI_NS0_16reverse_iteratorISI_EEEEENSH_IJSG_SG_SG_EEES9_SI_JZNS1_25segmented_radix_sort_implINS0_14default_configELb0EPKlPlSQ_SR_N2at6native12_GLOBAL__N_18offset_tEEE10hipError_tPvRmT1_PNSt15iterator_traitsISZ_E10value_typeET2_T3_PNS10_IS15_E10value_typeET4_jRbjT5_S1B_jjP12ihipStream_tbEUljE_ZNSN_ISO_Lb0ESQ_SR_SQ_SR_SV_EESW_SX_SY_SZ_S13_S14_S15_S18_S19_jS1A_jS1B_S1B_jjS1D_bEUljE0_EEESW_SX_SY_S15_S19_S1B_T6_T7_T9_mT8_S1D_bDpT10_ENKUlT_T0_E_clISt17integral_constantIbLb0EES1Q_IbLb1EEEEDaS1M_S1N_EUlS1M_E_NS1_11comp_targetILNS1_3genE3ELNS1_11target_archE908ELNS1_3gpuE7ELNS1_3repE0EEENS1_30default_config_static_selectorELNS0_4arch9wavefront6targetE0EEEvSZ_,comdat
	.globl	_ZN7rocprim17ROCPRIM_400000_NS6detail17trampoline_kernelINS0_13select_configILj256ELj13ELNS0_17block_load_methodE3ELS4_3ELS4_3ELNS0_20block_scan_algorithmE0ELj4294967295EEENS1_25partition_config_selectorILNS1_17partition_subalgoE4EjNS0_10empty_typeEbEEZZNS1_14partition_implILS8_4ELb0ES6_15HIP_vector_typeIjLj2EENS0_17counting_iteratorIjlEEPS9_SG_NS0_5tupleIJPjSI_NS0_16reverse_iteratorISI_EEEEENSH_IJSG_SG_SG_EEES9_SI_JZNS1_25segmented_radix_sort_implINS0_14default_configELb0EPKlPlSQ_SR_N2at6native12_GLOBAL__N_18offset_tEEE10hipError_tPvRmT1_PNSt15iterator_traitsISZ_E10value_typeET2_T3_PNS10_IS15_E10value_typeET4_jRbjT5_S1B_jjP12ihipStream_tbEUljE_ZNSN_ISO_Lb0ESQ_SR_SQ_SR_SV_EESW_SX_SY_SZ_S13_S14_S15_S18_S19_jS1A_jS1B_S1B_jjS1D_bEUljE0_EEESW_SX_SY_S15_S19_S1B_T6_T7_T9_mT8_S1D_bDpT10_ENKUlT_T0_E_clISt17integral_constantIbLb0EES1Q_IbLb1EEEEDaS1M_S1N_EUlS1M_E_NS1_11comp_targetILNS1_3genE3ELNS1_11target_archE908ELNS1_3gpuE7ELNS1_3repE0EEENS1_30default_config_static_selectorELNS0_4arch9wavefront6targetE0EEEvSZ_ ; -- Begin function _ZN7rocprim17ROCPRIM_400000_NS6detail17trampoline_kernelINS0_13select_configILj256ELj13ELNS0_17block_load_methodE3ELS4_3ELS4_3ELNS0_20block_scan_algorithmE0ELj4294967295EEENS1_25partition_config_selectorILNS1_17partition_subalgoE4EjNS0_10empty_typeEbEEZZNS1_14partition_implILS8_4ELb0ES6_15HIP_vector_typeIjLj2EENS0_17counting_iteratorIjlEEPS9_SG_NS0_5tupleIJPjSI_NS0_16reverse_iteratorISI_EEEEENSH_IJSG_SG_SG_EEES9_SI_JZNS1_25segmented_radix_sort_implINS0_14default_configELb0EPKlPlSQ_SR_N2at6native12_GLOBAL__N_18offset_tEEE10hipError_tPvRmT1_PNSt15iterator_traitsISZ_E10value_typeET2_T3_PNS10_IS15_E10value_typeET4_jRbjT5_S1B_jjP12ihipStream_tbEUljE_ZNSN_ISO_Lb0ESQ_SR_SQ_SR_SV_EESW_SX_SY_SZ_S13_S14_S15_S18_S19_jS1A_jS1B_S1B_jjS1D_bEUljE0_EEESW_SX_SY_S15_S19_S1B_T6_T7_T9_mT8_S1D_bDpT10_ENKUlT_T0_E_clISt17integral_constantIbLb0EES1Q_IbLb1EEEEDaS1M_S1N_EUlS1M_E_NS1_11comp_targetILNS1_3genE3ELNS1_11target_archE908ELNS1_3gpuE7ELNS1_3repE0EEENS1_30default_config_static_selectorELNS0_4arch9wavefront6targetE0EEEvSZ_
	.p2align	8
	.type	_ZN7rocprim17ROCPRIM_400000_NS6detail17trampoline_kernelINS0_13select_configILj256ELj13ELNS0_17block_load_methodE3ELS4_3ELS4_3ELNS0_20block_scan_algorithmE0ELj4294967295EEENS1_25partition_config_selectorILNS1_17partition_subalgoE4EjNS0_10empty_typeEbEEZZNS1_14partition_implILS8_4ELb0ES6_15HIP_vector_typeIjLj2EENS0_17counting_iteratorIjlEEPS9_SG_NS0_5tupleIJPjSI_NS0_16reverse_iteratorISI_EEEEENSH_IJSG_SG_SG_EEES9_SI_JZNS1_25segmented_radix_sort_implINS0_14default_configELb0EPKlPlSQ_SR_N2at6native12_GLOBAL__N_18offset_tEEE10hipError_tPvRmT1_PNSt15iterator_traitsISZ_E10value_typeET2_T3_PNS10_IS15_E10value_typeET4_jRbjT5_S1B_jjP12ihipStream_tbEUljE_ZNSN_ISO_Lb0ESQ_SR_SQ_SR_SV_EESW_SX_SY_SZ_S13_S14_S15_S18_S19_jS1A_jS1B_S1B_jjS1D_bEUljE0_EEESW_SX_SY_S15_S19_S1B_T6_T7_T9_mT8_S1D_bDpT10_ENKUlT_T0_E_clISt17integral_constantIbLb0EES1Q_IbLb1EEEEDaS1M_S1N_EUlS1M_E_NS1_11comp_targetILNS1_3genE3ELNS1_11target_archE908ELNS1_3gpuE7ELNS1_3repE0EEENS1_30default_config_static_selectorELNS0_4arch9wavefront6targetE0EEEvSZ_,@function
_ZN7rocprim17ROCPRIM_400000_NS6detail17trampoline_kernelINS0_13select_configILj256ELj13ELNS0_17block_load_methodE3ELS4_3ELS4_3ELNS0_20block_scan_algorithmE0ELj4294967295EEENS1_25partition_config_selectorILNS1_17partition_subalgoE4EjNS0_10empty_typeEbEEZZNS1_14partition_implILS8_4ELb0ES6_15HIP_vector_typeIjLj2EENS0_17counting_iteratorIjlEEPS9_SG_NS0_5tupleIJPjSI_NS0_16reverse_iteratorISI_EEEEENSH_IJSG_SG_SG_EEES9_SI_JZNS1_25segmented_radix_sort_implINS0_14default_configELb0EPKlPlSQ_SR_N2at6native12_GLOBAL__N_18offset_tEEE10hipError_tPvRmT1_PNSt15iterator_traitsISZ_E10value_typeET2_T3_PNS10_IS15_E10value_typeET4_jRbjT5_S1B_jjP12ihipStream_tbEUljE_ZNSN_ISO_Lb0ESQ_SR_SQ_SR_SV_EESW_SX_SY_SZ_S13_S14_S15_S18_S19_jS1A_jS1B_S1B_jjS1D_bEUljE0_EEESW_SX_SY_S15_S19_S1B_T6_T7_T9_mT8_S1D_bDpT10_ENKUlT_T0_E_clISt17integral_constantIbLb0EES1Q_IbLb1EEEEDaS1M_S1N_EUlS1M_E_NS1_11comp_targetILNS1_3genE3ELNS1_11target_archE908ELNS1_3gpuE7ELNS1_3repE0EEENS1_30default_config_static_selectorELNS0_4arch9wavefront6targetE0EEEvSZ_: ; @_ZN7rocprim17ROCPRIM_400000_NS6detail17trampoline_kernelINS0_13select_configILj256ELj13ELNS0_17block_load_methodE3ELS4_3ELS4_3ELNS0_20block_scan_algorithmE0ELj4294967295EEENS1_25partition_config_selectorILNS1_17partition_subalgoE4EjNS0_10empty_typeEbEEZZNS1_14partition_implILS8_4ELb0ES6_15HIP_vector_typeIjLj2EENS0_17counting_iteratorIjlEEPS9_SG_NS0_5tupleIJPjSI_NS0_16reverse_iteratorISI_EEEEENSH_IJSG_SG_SG_EEES9_SI_JZNS1_25segmented_radix_sort_implINS0_14default_configELb0EPKlPlSQ_SR_N2at6native12_GLOBAL__N_18offset_tEEE10hipError_tPvRmT1_PNSt15iterator_traitsISZ_E10value_typeET2_T3_PNS10_IS15_E10value_typeET4_jRbjT5_S1B_jjP12ihipStream_tbEUljE_ZNSN_ISO_Lb0ESQ_SR_SQ_SR_SV_EESW_SX_SY_SZ_S13_S14_S15_S18_S19_jS1A_jS1B_S1B_jjS1D_bEUljE0_EEESW_SX_SY_S15_S19_S1B_T6_T7_T9_mT8_S1D_bDpT10_ENKUlT_T0_E_clISt17integral_constantIbLb0EES1Q_IbLb1EEEEDaS1M_S1N_EUlS1M_E_NS1_11comp_targetILNS1_3genE3ELNS1_11target_archE908ELNS1_3gpuE7ELNS1_3repE0EEENS1_30default_config_static_selectorELNS0_4arch9wavefront6targetE0EEEvSZ_
; %bb.0:
	.section	.rodata,"a",@progbits
	.p2align	6, 0x0
	.amdhsa_kernel _ZN7rocprim17ROCPRIM_400000_NS6detail17trampoline_kernelINS0_13select_configILj256ELj13ELNS0_17block_load_methodE3ELS4_3ELS4_3ELNS0_20block_scan_algorithmE0ELj4294967295EEENS1_25partition_config_selectorILNS1_17partition_subalgoE4EjNS0_10empty_typeEbEEZZNS1_14partition_implILS8_4ELb0ES6_15HIP_vector_typeIjLj2EENS0_17counting_iteratorIjlEEPS9_SG_NS0_5tupleIJPjSI_NS0_16reverse_iteratorISI_EEEEENSH_IJSG_SG_SG_EEES9_SI_JZNS1_25segmented_radix_sort_implINS0_14default_configELb0EPKlPlSQ_SR_N2at6native12_GLOBAL__N_18offset_tEEE10hipError_tPvRmT1_PNSt15iterator_traitsISZ_E10value_typeET2_T3_PNS10_IS15_E10value_typeET4_jRbjT5_S1B_jjP12ihipStream_tbEUljE_ZNSN_ISO_Lb0ESQ_SR_SQ_SR_SV_EESW_SX_SY_SZ_S13_S14_S15_S18_S19_jS1A_jS1B_S1B_jjS1D_bEUljE0_EEESW_SX_SY_S15_S19_S1B_T6_T7_T9_mT8_S1D_bDpT10_ENKUlT_T0_E_clISt17integral_constantIbLb0EES1Q_IbLb1EEEEDaS1M_S1N_EUlS1M_E_NS1_11comp_targetILNS1_3genE3ELNS1_11target_archE908ELNS1_3gpuE7ELNS1_3repE0EEENS1_30default_config_static_selectorELNS0_4arch9wavefront6targetE0EEEvSZ_
		.amdhsa_group_segment_fixed_size 0
		.amdhsa_private_segment_fixed_size 0
		.amdhsa_kernarg_size 184
		.amdhsa_user_sgpr_count 2
		.amdhsa_user_sgpr_dispatch_ptr 0
		.amdhsa_user_sgpr_queue_ptr 0
		.amdhsa_user_sgpr_kernarg_segment_ptr 1
		.amdhsa_user_sgpr_dispatch_id 0
		.amdhsa_user_sgpr_private_segment_size 0
		.amdhsa_wavefront_size32 1
		.amdhsa_uses_dynamic_stack 0
		.amdhsa_enable_private_segment 0
		.amdhsa_system_sgpr_workgroup_id_x 1
		.amdhsa_system_sgpr_workgroup_id_y 0
		.amdhsa_system_sgpr_workgroup_id_z 0
		.amdhsa_system_sgpr_workgroup_info 0
		.amdhsa_system_vgpr_workitem_id 0
		.amdhsa_next_free_vgpr 1
		.amdhsa_next_free_sgpr 1
		.amdhsa_reserve_vcc 0
		.amdhsa_float_round_mode_32 0
		.amdhsa_float_round_mode_16_64 0
		.amdhsa_float_denorm_mode_32 3
		.amdhsa_float_denorm_mode_16_64 3
		.amdhsa_fp16_overflow 0
		.amdhsa_workgroup_processor_mode 1
		.amdhsa_memory_ordered 1
		.amdhsa_forward_progress 1
		.amdhsa_inst_pref_size 0
		.amdhsa_round_robin_scheduling 0
		.amdhsa_exception_fp_ieee_invalid_op 0
		.amdhsa_exception_fp_denorm_src 0
		.amdhsa_exception_fp_ieee_div_zero 0
		.amdhsa_exception_fp_ieee_overflow 0
		.amdhsa_exception_fp_ieee_underflow 0
		.amdhsa_exception_fp_ieee_inexact 0
		.amdhsa_exception_int_div_zero 0
	.end_amdhsa_kernel
	.section	.text._ZN7rocprim17ROCPRIM_400000_NS6detail17trampoline_kernelINS0_13select_configILj256ELj13ELNS0_17block_load_methodE3ELS4_3ELS4_3ELNS0_20block_scan_algorithmE0ELj4294967295EEENS1_25partition_config_selectorILNS1_17partition_subalgoE4EjNS0_10empty_typeEbEEZZNS1_14partition_implILS8_4ELb0ES6_15HIP_vector_typeIjLj2EENS0_17counting_iteratorIjlEEPS9_SG_NS0_5tupleIJPjSI_NS0_16reverse_iteratorISI_EEEEENSH_IJSG_SG_SG_EEES9_SI_JZNS1_25segmented_radix_sort_implINS0_14default_configELb0EPKlPlSQ_SR_N2at6native12_GLOBAL__N_18offset_tEEE10hipError_tPvRmT1_PNSt15iterator_traitsISZ_E10value_typeET2_T3_PNS10_IS15_E10value_typeET4_jRbjT5_S1B_jjP12ihipStream_tbEUljE_ZNSN_ISO_Lb0ESQ_SR_SQ_SR_SV_EESW_SX_SY_SZ_S13_S14_S15_S18_S19_jS1A_jS1B_S1B_jjS1D_bEUljE0_EEESW_SX_SY_S15_S19_S1B_T6_T7_T9_mT8_S1D_bDpT10_ENKUlT_T0_E_clISt17integral_constantIbLb0EES1Q_IbLb1EEEEDaS1M_S1N_EUlS1M_E_NS1_11comp_targetILNS1_3genE3ELNS1_11target_archE908ELNS1_3gpuE7ELNS1_3repE0EEENS1_30default_config_static_selectorELNS0_4arch9wavefront6targetE0EEEvSZ_,"axG",@progbits,_ZN7rocprim17ROCPRIM_400000_NS6detail17trampoline_kernelINS0_13select_configILj256ELj13ELNS0_17block_load_methodE3ELS4_3ELS4_3ELNS0_20block_scan_algorithmE0ELj4294967295EEENS1_25partition_config_selectorILNS1_17partition_subalgoE4EjNS0_10empty_typeEbEEZZNS1_14partition_implILS8_4ELb0ES6_15HIP_vector_typeIjLj2EENS0_17counting_iteratorIjlEEPS9_SG_NS0_5tupleIJPjSI_NS0_16reverse_iteratorISI_EEEEENSH_IJSG_SG_SG_EEES9_SI_JZNS1_25segmented_radix_sort_implINS0_14default_configELb0EPKlPlSQ_SR_N2at6native12_GLOBAL__N_18offset_tEEE10hipError_tPvRmT1_PNSt15iterator_traitsISZ_E10value_typeET2_T3_PNS10_IS15_E10value_typeET4_jRbjT5_S1B_jjP12ihipStream_tbEUljE_ZNSN_ISO_Lb0ESQ_SR_SQ_SR_SV_EESW_SX_SY_SZ_S13_S14_S15_S18_S19_jS1A_jS1B_S1B_jjS1D_bEUljE0_EEESW_SX_SY_S15_S19_S1B_T6_T7_T9_mT8_S1D_bDpT10_ENKUlT_T0_E_clISt17integral_constantIbLb0EES1Q_IbLb1EEEEDaS1M_S1N_EUlS1M_E_NS1_11comp_targetILNS1_3genE3ELNS1_11target_archE908ELNS1_3gpuE7ELNS1_3repE0EEENS1_30default_config_static_selectorELNS0_4arch9wavefront6targetE0EEEvSZ_,comdat
.Lfunc_end770:
	.size	_ZN7rocprim17ROCPRIM_400000_NS6detail17trampoline_kernelINS0_13select_configILj256ELj13ELNS0_17block_load_methodE3ELS4_3ELS4_3ELNS0_20block_scan_algorithmE0ELj4294967295EEENS1_25partition_config_selectorILNS1_17partition_subalgoE4EjNS0_10empty_typeEbEEZZNS1_14partition_implILS8_4ELb0ES6_15HIP_vector_typeIjLj2EENS0_17counting_iteratorIjlEEPS9_SG_NS0_5tupleIJPjSI_NS0_16reverse_iteratorISI_EEEEENSH_IJSG_SG_SG_EEES9_SI_JZNS1_25segmented_radix_sort_implINS0_14default_configELb0EPKlPlSQ_SR_N2at6native12_GLOBAL__N_18offset_tEEE10hipError_tPvRmT1_PNSt15iterator_traitsISZ_E10value_typeET2_T3_PNS10_IS15_E10value_typeET4_jRbjT5_S1B_jjP12ihipStream_tbEUljE_ZNSN_ISO_Lb0ESQ_SR_SQ_SR_SV_EESW_SX_SY_SZ_S13_S14_S15_S18_S19_jS1A_jS1B_S1B_jjS1D_bEUljE0_EEESW_SX_SY_S15_S19_S1B_T6_T7_T9_mT8_S1D_bDpT10_ENKUlT_T0_E_clISt17integral_constantIbLb0EES1Q_IbLb1EEEEDaS1M_S1N_EUlS1M_E_NS1_11comp_targetILNS1_3genE3ELNS1_11target_archE908ELNS1_3gpuE7ELNS1_3repE0EEENS1_30default_config_static_selectorELNS0_4arch9wavefront6targetE0EEEvSZ_, .Lfunc_end770-_ZN7rocprim17ROCPRIM_400000_NS6detail17trampoline_kernelINS0_13select_configILj256ELj13ELNS0_17block_load_methodE3ELS4_3ELS4_3ELNS0_20block_scan_algorithmE0ELj4294967295EEENS1_25partition_config_selectorILNS1_17partition_subalgoE4EjNS0_10empty_typeEbEEZZNS1_14partition_implILS8_4ELb0ES6_15HIP_vector_typeIjLj2EENS0_17counting_iteratorIjlEEPS9_SG_NS0_5tupleIJPjSI_NS0_16reverse_iteratorISI_EEEEENSH_IJSG_SG_SG_EEES9_SI_JZNS1_25segmented_radix_sort_implINS0_14default_configELb0EPKlPlSQ_SR_N2at6native12_GLOBAL__N_18offset_tEEE10hipError_tPvRmT1_PNSt15iterator_traitsISZ_E10value_typeET2_T3_PNS10_IS15_E10value_typeET4_jRbjT5_S1B_jjP12ihipStream_tbEUljE_ZNSN_ISO_Lb0ESQ_SR_SQ_SR_SV_EESW_SX_SY_SZ_S13_S14_S15_S18_S19_jS1A_jS1B_S1B_jjS1D_bEUljE0_EEESW_SX_SY_S15_S19_S1B_T6_T7_T9_mT8_S1D_bDpT10_ENKUlT_T0_E_clISt17integral_constantIbLb0EES1Q_IbLb1EEEEDaS1M_S1N_EUlS1M_E_NS1_11comp_targetILNS1_3genE3ELNS1_11target_archE908ELNS1_3gpuE7ELNS1_3repE0EEENS1_30default_config_static_selectorELNS0_4arch9wavefront6targetE0EEEvSZ_
                                        ; -- End function
	.set _ZN7rocprim17ROCPRIM_400000_NS6detail17trampoline_kernelINS0_13select_configILj256ELj13ELNS0_17block_load_methodE3ELS4_3ELS4_3ELNS0_20block_scan_algorithmE0ELj4294967295EEENS1_25partition_config_selectorILNS1_17partition_subalgoE4EjNS0_10empty_typeEbEEZZNS1_14partition_implILS8_4ELb0ES6_15HIP_vector_typeIjLj2EENS0_17counting_iteratorIjlEEPS9_SG_NS0_5tupleIJPjSI_NS0_16reverse_iteratorISI_EEEEENSH_IJSG_SG_SG_EEES9_SI_JZNS1_25segmented_radix_sort_implINS0_14default_configELb0EPKlPlSQ_SR_N2at6native12_GLOBAL__N_18offset_tEEE10hipError_tPvRmT1_PNSt15iterator_traitsISZ_E10value_typeET2_T3_PNS10_IS15_E10value_typeET4_jRbjT5_S1B_jjP12ihipStream_tbEUljE_ZNSN_ISO_Lb0ESQ_SR_SQ_SR_SV_EESW_SX_SY_SZ_S13_S14_S15_S18_S19_jS1A_jS1B_S1B_jjS1D_bEUljE0_EEESW_SX_SY_S15_S19_S1B_T6_T7_T9_mT8_S1D_bDpT10_ENKUlT_T0_E_clISt17integral_constantIbLb0EES1Q_IbLb1EEEEDaS1M_S1N_EUlS1M_E_NS1_11comp_targetILNS1_3genE3ELNS1_11target_archE908ELNS1_3gpuE7ELNS1_3repE0EEENS1_30default_config_static_selectorELNS0_4arch9wavefront6targetE0EEEvSZ_.num_vgpr, 0
	.set _ZN7rocprim17ROCPRIM_400000_NS6detail17trampoline_kernelINS0_13select_configILj256ELj13ELNS0_17block_load_methodE3ELS4_3ELS4_3ELNS0_20block_scan_algorithmE0ELj4294967295EEENS1_25partition_config_selectorILNS1_17partition_subalgoE4EjNS0_10empty_typeEbEEZZNS1_14partition_implILS8_4ELb0ES6_15HIP_vector_typeIjLj2EENS0_17counting_iteratorIjlEEPS9_SG_NS0_5tupleIJPjSI_NS0_16reverse_iteratorISI_EEEEENSH_IJSG_SG_SG_EEES9_SI_JZNS1_25segmented_radix_sort_implINS0_14default_configELb0EPKlPlSQ_SR_N2at6native12_GLOBAL__N_18offset_tEEE10hipError_tPvRmT1_PNSt15iterator_traitsISZ_E10value_typeET2_T3_PNS10_IS15_E10value_typeET4_jRbjT5_S1B_jjP12ihipStream_tbEUljE_ZNSN_ISO_Lb0ESQ_SR_SQ_SR_SV_EESW_SX_SY_SZ_S13_S14_S15_S18_S19_jS1A_jS1B_S1B_jjS1D_bEUljE0_EEESW_SX_SY_S15_S19_S1B_T6_T7_T9_mT8_S1D_bDpT10_ENKUlT_T0_E_clISt17integral_constantIbLb0EES1Q_IbLb1EEEEDaS1M_S1N_EUlS1M_E_NS1_11comp_targetILNS1_3genE3ELNS1_11target_archE908ELNS1_3gpuE7ELNS1_3repE0EEENS1_30default_config_static_selectorELNS0_4arch9wavefront6targetE0EEEvSZ_.num_agpr, 0
	.set _ZN7rocprim17ROCPRIM_400000_NS6detail17trampoline_kernelINS0_13select_configILj256ELj13ELNS0_17block_load_methodE3ELS4_3ELS4_3ELNS0_20block_scan_algorithmE0ELj4294967295EEENS1_25partition_config_selectorILNS1_17partition_subalgoE4EjNS0_10empty_typeEbEEZZNS1_14partition_implILS8_4ELb0ES6_15HIP_vector_typeIjLj2EENS0_17counting_iteratorIjlEEPS9_SG_NS0_5tupleIJPjSI_NS0_16reverse_iteratorISI_EEEEENSH_IJSG_SG_SG_EEES9_SI_JZNS1_25segmented_radix_sort_implINS0_14default_configELb0EPKlPlSQ_SR_N2at6native12_GLOBAL__N_18offset_tEEE10hipError_tPvRmT1_PNSt15iterator_traitsISZ_E10value_typeET2_T3_PNS10_IS15_E10value_typeET4_jRbjT5_S1B_jjP12ihipStream_tbEUljE_ZNSN_ISO_Lb0ESQ_SR_SQ_SR_SV_EESW_SX_SY_SZ_S13_S14_S15_S18_S19_jS1A_jS1B_S1B_jjS1D_bEUljE0_EEESW_SX_SY_S15_S19_S1B_T6_T7_T9_mT8_S1D_bDpT10_ENKUlT_T0_E_clISt17integral_constantIbLb0EES1Q_IbLb1EEEEDaS1M_S1N_EUlS1M_E_NS1_11comp_targetILNS1_3genE3ELNS1_11target_archE908ELNS1_3gpuE7ELNS1_3repE0EEENS1_30default_config_static_selectorELNS0_4arch9wavefront6targetE0EEEvSZ_.numbered_sgpr, 0
	.set _ZN7rocprim17ROCPRIM_400000_NS6detail17trampoline_kernelINS0_13select_configILj256ELj13ELNS0_17block_load_methodE3ELS4_3ELS4_3ELNS0_20block_scan_algorithmE0ELj4294967295EEENS1_25partition_config_selectorILNS1_17partition_subalgoE4EjNS0_10empty_typeEbEEZZNS1_14partition_implILS8_4ELb0ES6_15HIP_vector_typeIjLj2EENS0_17counting_iteratorIjlEEPS9_SG_NS0_5tupleIJPjSI_NS0_16reverse_iteratorISI_EEEEENSH_IJSG_SG_SG_EEES9_SI_JZNS1_25segmented_radix_sort_implINS0_14default_configELb0EPKlPlSQ_SR_N2at6native12_GLOBAL__N_18offset_tEEE10hipError_tPvRmT1_PNSt15iterator_traitsISZ_E10value_typeET2_T3_PNS10_IS15_E10value_typeET4_jRbjT5_S1B_jjP12ihipStream_tbEUljE_ZNSN_ISO_Lb0ESQ_SR_SQ_SR_SV_EESW_SX_SY_SZ_S13_S14_S15_S18_S19_jS1A_jS1B_S1B_jjS1D_bEUljE0_EEESW_SX_SY_S15_S19_S1B_T6_T7_T9_mT8_S1D_bDpT10_ENKUlT_T0_E_clISt17integral_constantIbLb0EES1Q_IbLb1EEEEDaS1M_S1N_EUlS1M_E_NS1_11comp_targetILNS1_3genE3ELNS1_11target_archE908ELNS1_3gpuE7ELNS1_3repE0EEENS1_30default_config_static_selectorELNS0_4arch9wavefront6targetE0EEEvSZ_.num_named_barrier, 0
	.set _ZN7rocprim17ROCPRIM_400000_NS6detail17trampoline_kernelINS0_13select_configILj256ELj13ELNS0_17block_load_methodE3ELS4_3ELS4_3ELNS0_20block_scan_algorithmE0ELj4294967295EEENS1_25partition_config_selectorILNS1_17partition_subalgoE4EjNS0_10empty_typeEbEEZZNS1_14partition_implILS8_4ELb0ES6_15HIP_vector_typeIjLj2EENS0_17counting_iteratorIjlEEPS9_SG_NS0_5tupleIJPjSI_NS0_16reverse_iteratorISI_EEEEENSH_IJSG_SG_SG_EEES9_SI_JZNS1_25segmented_radix_sort_implINS0_14default_configELb0EPKlPlSQ_SR_N2at6native12_GLOBAL__N_18offset_tEEE10hipError_tPvRmT1_PNSt15iterator_traitsISZ_E10value_typeET2_T3_PNS10_IS15_E10value_typeET4_jRbjT5_S1B_jjP12ihipStream_tbEUljE_ZNSN_ISO_Lb0ESQ_SR_SQ_SR_SV_EESW_SX_SY_SZ_S13_S14_S15_S18_S19_jS1A_jS1B_S1B_jjS1D_bEUljE0_EEESW_SX_SY_S15_S19_S1B_T6_T7_T9_mT8_S1D_bDpT10_ENKUlT_T0_E_clISt17integral_constantIbLb0EES1Q_IbLb1EEEEDaS1M_S1N_EUlS1M_E_NS1_11comp_targetILNS1_3genE3ELNS1_11target_archE908ELNS1_3gpuE7ELNS1_3repE0EEENS1_30default_config_static_selectorELNS0_4arch9wavefront6targetE0EEEvSZ_.private_seg_size, 0
	.set _ZN7rocprim17ROCPRIM_400000_NS6detail17trampoline_kernelINS0_13select_configILj256ELj13ELNS0_17block_load_methodE3ELS4_3ELS4_3ELNS0_20block_scan_algorithmE0ELj4294967295EEENS1_25partition_config_selectorILNS1_17partition_subalgoE4EjNS0_10empty_typeEbEEZZNS1_14partition_implILS8_4ELb0ES6_15HIP_vector_typeIjLj2EENS0_17counting_iteratorIjlEEPS9_SG_NS0_5tupleIJPjSI_NS0_16reverse_iteratorISI_EEEEENSH_IJSG_SG_SG_EEES9_SI_JZNS1_25segmented_radix_sort_implINS0_14default_configELb0EPKlPlSQ_SR_N2at6native12_GLOBAL__N_18offset_tEEE10hipError_tPvRmT1_PNSt15iterator_traitsISZ_E10value_typeET2_T3_PNS10_IS15_E10value_typeET4_jRbjT5_S1B_jjP12ihipStream_tbEUljE_ZNSN_ISO_Lb0ESQ_SR_SQ_SR_SV_EESW_SX_SY_SZ_S13_S14_S15_S18_S19_jS1A_jS1B_S1B_jjS1D_bEUljE0_EEESW_SX_SY_S15_S19_S1B_T6_T7_T9_mT8_S1D_bDpT10_ENKUlT_T0_E_clISt17integral_constantIbLb0EES1Q_IbLb1EEEEDaS1M_S1N_EUlS1M_E_NS1_11comp_targetILNS1_3genE3ELNS1_11target_archE908ELNS1_3gpuE7ELNS1_3repE0EEENS1_30default_config_static_selectorELNS0_4arch9wavefront6targetE0EEEvSZ_.uses_vcc, 0
	.set _ZN7rocprim17ROCPRIM_400000_NS6detail17trampoline_kernelINS0_13select_configILj256ELj13ELNS0_17block_load_methodE3ELS4_3ELS4_3ELNS0_20block_scan_algorithmE0ELj4294967295EEENS1_25partition_config_selectorILNS1_17partition_subalgoE4EjNS0_10empty_typeEbEEZZNS1_14partition_implILS8_4ELb0ES6_15HIP_vector_typeIjLj2EENS0_17counting_iteratorIjlEEPS9_SG_NS0_5tupleIJPjSI_NS0_16reverse_iteratorISI_EEEEENSH_IJSG_SG_SG_EEES9_SI_JZNS1_25segmented_radix_sort_implINS0_14default_configELb0EPKlPlSQ_SR_N2at6native12_GLOBAL__N_18offset_tEEE10hipError_tPvRmT1_PNSt15iterator_traitsISZ_E10value_typeET2_T3_PNS10_IS15_E10value_typeET4_jRbjT5_S1B_jjP12ihipStream_tbEUljE_ZNSN_ISO_Lb0ESQ_SR_SQ_SR_SV_EESW_SX_SY_SZ_S13_S14_S15_S18_S19_jS1A_jS1B_S1B_jjS1D_bEUljE0_EEESW_SX_SY_S15_S19_S1B_T6_T7_T9_mT8_S1D_bDpT10_ENKUlT_T0_E_clISt17integral_constantIbLb0EES1Q_IbLb1EEEEDaS1M_S1N_EUlS1M_E_NS1_11comp_targetILNS1_3genE3ELNS1_11target_archE908ELNS1_3gpuE7ELNS1_3repE0EEENS1_30default_config_static_selectorELNS0_4arch9wavefront6targetE0EEEvSZ_.uses_flat_scratch, 0
	.set _ZN7rocprim17ROCPRIM_400000_NS6detail17trampoline_kernelINS0_13select_configILj256ELj13ELNS0_17block_load_methodE3ELS4_3ELS4_3ELNS0_20block_scan_algorithmE0ELj4294967295EEENS1_25partition_config_selectorILNS1_17partition_subalgoE4EjNS0_10empty_typeEbEEZZNS1_14partition_implILS8_4ELb0ES6_15HIP_vector_typeIjLj2EENS0_17counting_iteratorIjlEEPS9_SG_NS0_5tupleIJPjSI_NS0_16reverse_iteratorISI_EEEEENSH_IJSG_SG_SG_EEES9_SI_JZNS1_25segmented_radix_sort_implINS0_14default_configELb0EPKlPlSQ_SR_N2at6native12_GLOBAL__N_18offset_tEEE10hipError_tPvRmT1_PNSt15iterator_traitsISZ_E10value_typeET2_T3_PNS10_IS15_E10value_typeET4_jRbjT5_S1B_jjP12ihipStream_tbEUljE_ZNSN_ISO_Lb0ESQ_SR_SQ_SR_SV_EESW_SX_SY_SZ_S13_S14_S15_S18_S19_jS1A_jS1B_S1B_jjS1D_bEUljE0_EEESW_SX_SY_S15_S19_S1B_T6_T7_T9_mT8_S1D_bDpT10_ENKUlT_T0_E_clISt17integral_constantIbLb0EES1Q_IbLb1EEEEDaS1M_S1N_EUlS1M_E_NS1_11comp_targetILNS1_3genE3ELNS1_11target_archE908ELNS1_3gpuE7ELNS1_3repE0EEENS1_30default_config_static_selectorELNS0_4arch9wavefront6targetE0EEEvSZ_.has_dyn_sized_stack, 0
	.set _ZN7rocprim17ROCPRIM_400000_NS6detail17trampoline_kernelINS0_13select_configILj256ELj13ELNS0_17block_load_methodE3ELS4_3ELS4_3ELNS0_20block_scan_algorithmE0ELj4294967295EEENS1_25partition_config_selectorILNS1_17partition_subalgoE4EjNS0_10empty_typeEbEEZZNS1_14partition_implILS8_4ELb0ES6_15HIP_vector_typeIjLj2EENS0_17counting_iteratorIjlEEPS9_SG_NS0_5tupleIJPjSI_NS0_16reverse_iteratorISI_EEEEENSH_IJSG_SG_SG_EEES9_SI_JZNS1_25segmented_radix_sort_implINS0_14default_configELb0EPKlPlSQ_SR_N2at6native12_GLOBAL__N_18offset_tEEE10hipError_tPvRmT1_PNSt15iterator_traitsISZ_E10value_typeET2_T3_PNS10_IS15_E10value_typeET4_jRbjT5_S1B_jjP12ihipStream_tbEUljE_ZNSN_ISO_Lb0ESQ_SR_SQ_SR_SV_EESW_SX_SY_SZ_S13_S14_S15_S18_S19_jS1A_jS1B_S1B_jjS1D_bEUljE0_EEESW_SX_SY_S15_S19_S1B_T6_T7_T9_mT8_S1D_bDpT10_ENKUlT_T0_E_clISt17integral_constantIbLb0EES1Q_IbLb1EEEEDaS1M_S1N_EUlS1M_E_NS1_11comp_targetILNS1_3genE3ELNS1_11target_archE908ELNS1_3gpuE7ELNS1_3repE0EEENS1_30default_config_static_selectorELNS0_4arch9wavefront6targetE0EEEvSZ_.has_recursion, 0
	.set _ZN7rocprim17ROCPRIM_400000_NS6detail17trampoline_kernelINS0_13select_configILj256ELj13ELNS0_17block_load_methodE3ELS4_3ELS4_3ELNS0_20block_scan_algorithmE0ELj4294967295EEENS1_25partition_config_selectorILNS1_17partition_subalgoE4EjNS0_10empty_typeEbEEZZNS1_14partition_implILS8_4ELb0ES6_15HIP_vector_typeIjLj2EENS0_17counting_iteratorIjlEEPS9_SG_NS0_5tupleIJPjSI_NS0_16reverse_iteratorISI_EEEEENSH_IJSG_SG_SG_EEES9_SI_JZNS1_25segmented_radix_sort_implINS0_14default_configELb0EPKlPlSQ_SR_N2at6native12_GLOBAL__N_18offset_tEEE10hipError_tPvRmT1_PNSt15iterator_traitsISZ_E10value_typeET2_T3_PNS10_IS15_E10value_typeET4_jRbjT5_S1B_jjP12ihipStream_tbEUljE_ZNSN_ISO_Lb0ESQ_SR_SQ_SR_SV_EESW_SX_SY_SZ_S13_S14_S15_S18_S19_jS1A_jS1B_S1B_jjS1D_bEUljE0_EEESW_SX_SY_S15_S19_S1B_T6_T7_T9_mT8_S1D_bDpT10_ENKUlT_T0_E_clISt17integral_constantIbLb0EES1Q_IbLb1EEEEDaS1M_S1N_EUlS1M_E_NS1_11comp_targetILNS1_3genE3ELNS1_11target_archE908ELNS1_3gpuE7ELNS1_3repE0EEENS1_30default_config_static_selectorELNS0_4arch9wavefront6targetE0EEEvSZ_.has_indirect_call, 0
	.section	.AMDGPU.csdata,"",@progbits
; Kernel info:
; codeLenInByte = 0
; TotalNumSgprs: 0
; NumVgprs: 0
; ScratchSize: 0
; MemoryBound: 0
; FloatMode: 240
; IeeeMode: 1
; LDSByteSize: 0 bytes/workgroup (compile time only)
; SGPRBlocks: 0
; VGPRBlocks: 0
; NumSGPRsForWavesPerEU: 1
; NumVGPRsForWavesPerEU: 1
; Occupancy: 16
; WaveLimiterHint : 0
; COMPUTE_PGM_RSRC2:SCRATCH_EN: 0
; COMPUTE_PGM_RSRC2:USER_SGPR: 2
; COMPUTE_PGM_RSRC2:TRAP_HANDLER: 0
; COMPUTE_PGM_RSRC2:TGID_X_EN: 1
; COMPUTE_PGM_RSRC2:TGID_Y_EN: 0
; COMPUTE_PGM_RSRC2:TGID_Z_EN: 0
; COMPUTE_PGM_RSRC2:TIDIG_COMP_CNT: 0
	.section	.text._ZN7rocprim17ROCPRIM_400000_NS6detail17trampoline_kernelINS0_13select_configILj256ELj13ELNS0_17block_load_methodE3ELS4_3ELS4_3ELNS0_20block_scan_algorithmE0ELj4294967295EEENS1_25partition_config_selectorILNS1_17partition_subalgoE4EjNS0_10empty_typeEbEEZZNS1_14partition_implILS8_4ELb0ES6_15HIP_vector_typeIjLj2EENS0_17counting_iteratorIjlEEPS9_SG_NS0_5tupleIJPjSI_NS0_16reverse_iteratorISI_EEEEENSH_IJSG_SG_SG_EEES9_SI_JZNS1_25segmented_radix_sort_implINS0_14default_configELb0EPKlPlSQ_SR_N2at6native12_GLOBAL__N_18offset_tEEE10hipError_tPvRmT1_PNSt15iterator_traitsISZ_E10value_typeET2_T3_PNS10_IS15_E10value_typeET4_jRbjT5_S1B_jjP12ihipStream_tbEUljE_ZNSN_ISO_Lb0ESQ_SR_SQ_SR_SV_EESW_SX_SY_SZ_S13_S14_S15_S18_S19_jS1A_jS1B_S1B_jjS1D_bEUljE0_EEESW_SX_SY_S15_S19_S1B_T6_T7_T9_mT8_S1D_bDpT10_ENKUlT_T0_E_clISt17integral_constantIbLb0EES1Q_IbLb1EEEEDaS1M_S1N_EUlS1M_E_NS1_11comp_targetILNS1_3genE2ELNS1_11target_archE906ELNS1_3gpuE6ELNS1_3repE0EEENS1_30default_config_static_selectorELNS0_4arch9wavefront6targetE0EEEvSZ_,"axG",@progbits,_ZN7rocprim17ROCPRIM_400000_NS6detail17trampoline_kernelINS0_13select_configILj256ELj13ELNS0_17block_load_methodE3ELS4_3ELS4_3ELNS0_20block_scan_algorithmE0ELj4294967295EEENS1_25partition_config_selectorILNS1_17partition_subalgoE4EjNS0_10empty_typeEbEEZZNS1_14partition_implILS8_4ELb0ES6_15HIP_vector_typeIjLj2EENS0_17counting_iteratorIjlEEPS9_SG_NS0_5tupleIJPjSI_NS0_16reverse_iteratorISI_EEEEENSH_IJSG_SG_SG_EEES9_SI_JZNS1_25segmented_radix_sort_implINS0_14default_configELb0EPKlPlSQ_SR_N2at6native12_GLOBAL__N_18offset_tEEE10hipError_tPvRmT1_PNSt15iterator_traitsISZ_E10value_typeET2_T3_PNS10_IS15_E10value_typeET4_jRbjT5_S1B_jjP12ihipStream_tbEUljE_ZNSN_ISO_Lb0ESQ_SR_SQ_SR_SV_EESW_SX_SY_SZ_S13_S14_S15_S18_S19_jS1A_jS1B_S1B_jjS1D_bEUljE0_EEESW_SX_SY_S15_S19_S1B_T6_T7_T9_mT8_S1D_bDpT10_ENKUlT_T0_E_clISt17integral_constantIbLb0EES1Q_IbLb1EEEEDaS1M_S1N_EUlS1M_E_NS1_11comp_targetILNS1_3genE2ELNS1_11target_archE906ELNS1_3gpuE6ELNS1_3repE0EEENS1_30default_config_static_selectorELNS0_4arch9wavefront6targetE0EEEvSZ_,comdat
	.globl	_ZN7rocprim17ROCPRIM_400000_NS6detail17trampoline_kernelINS0_13select_configILj256ELj13ELNS0_17block_load_methodE3ELS4_3ELS4_3ELNS0_20block_scan_algorithmE0ELj4294967295EEENS1_25partition_config_selectorILNS1_17partition_subalgoE4EjNS0_10empty_typeEbEEZZNS1_14partition_implILS8_4ELb0ES6_15HIP_vector_typeIjLj2EENS0_17counting_iteratorIjlEEPS9_SG_NS0_5tupleIJPjSI_NS0_16reverse_iteratorISI_EEEEENSH_IJSG_SG_SG_EEES9_SI_JZNS1_25segmented_radix_sort_implINS0_14default_configELb0EPKlPlSQ_SR_N2at6native12_GLOBAL__N_18offset_tEEE10hipError_tPvRmT1_PNSt15iterator_traitsISZ_E10value_typeET2_T3_PNS10_IS15_E10value_typeET4_jRbjT5_S1B_jjP12ihipStream_tbEUljE_ZNSN_ISO_Lb0ESQ_SR_SQ_SR_SV_EESW_SX_SY_SZ_S13_S14_S15_S18_S19_jS1A_jS1B_S1B_jjS1D_bEUljE0_EEESW_SX_SY_S15_S19_S1B_T6_T7_T9_mT8_S1D_bDpT10_ENKUlT_T0_E_clISt17integral_constantIbLb0EES1Q_IbLb1EEEEDaS1M_S1N_EUlS1M_E_NS1_11comp_targetILNS1_3genE2ELNS1_11target_archE906ELNS1_3gpuE6ELNS1_3repE0EEENS1_30default_config_static_selectorELNS0_4arch9wavefront6targetE0EEEvSZ_ ; -- Begin function _ZN7rocprim17ROCPRIM_400000_NS6detail17trampoline_kernelINS0_13select_configILj256ELj13ELNS0_17block_load_methodE3ELS4_3ELS4_3ELNS0_20block_scan_algorithmE0ELj4294967295EEENS1_25partition_config_selectorILNS1_17partition_subalgoE4EjNS0_10empty_typeEbEEZZNS1_14partition_implILS8_4ELb0ES6_15HIP_vector_typeIjLj2EENS0_17counting_iteratorIjlEEPS9_SG_NS0_5tupleIJPjSI_NS0_16reverse_iteratorISI_EEEEENSH_IJSG_SG_SG_EEES9_SI_JZNS1_25segmented_radix_sort_implINS0_14default_configELb0EPKlPlSQ_SR_N2at6native12_GLOBAL__N_18offset_tEEE10hipError_tPvRmT1_PNSt15iterator_traitsISZ_E10value_typeET2_T3_PNS10_IS15_E10value_typeET4_jRbjT5_S1B_jjP12ihipStream_tbEUljE_ZNSN_ISO_Lb0ESQ_SR_SQ_SR_SV_EESW_SX_SY_SZ_S13_S14_S15_S18_S19_jS1A_jS1B_S1B_jjS1D_bEUljE0_EEESW_SX_SY_S15_S19_S1B_T6_T7_T9_mT8_S1D_bDpT10_ENKUlT_T0_E_clISt17integral_constantIbLb0EES1Q_IbLb1EEEEDaS1M_S1N_EUlS1M_E_NS1_11comp_targetILNS1_3genE2ELNS1_11target_archE906ELNS1_3gpuE6ELNS1_3repE0EEENS1_30default_config_static_selectorELNS0_4arch9wavefront6targetE0EEEvSZ_
	.p2align	8
	.type	_ZN7rocprim17ROCPRIM_400000_NS6detail17trampoline_kernelINS0_13select_configILj256ELj13ELNS0_17block_load_methodE3ELS4_3ELS4_3ELNS0_20block_scan_algorithmE0ELj4294967295EEENS1_25partition_config_selectorILNS1_17partition_subalgoE4EjNS0_10empty_typeEbEEZZNS1_14partition_implILS8_4ELb0ES6_15HIP_vector_typeIjLj2EENS0_17counting_iteratorIjlEEPS9_SG_NS0_5tupleIJPjSI_NS0_16reverse_iteratorISI_EEEEENSH_IJSG_SG_SG_EEES9_SI_JZNS1_25segmented_radix_sort_implINS0_14default_configELb0EPKlPlSQ_SR_N2at6native12_GLOBAL__N_18offset_tEEE10hipError_tPvRmT1_PNSt15iterator_traitsISZ_E10value_typeET2_T3_PNS10_IS15_E10value_typeET4_jRbjT5_S1B_jjP12ihipStream_tbEUljE_ZNSN_ISO_Lb0ESQ_SR_SQ_SR_SV_EESW_SX_SY_SZ_S13_S14_S15_S18_S19_jS1A_jS1B_S1B_jjS1D_bEUljE0_EEESW_SX_SY_S15_S19_S1B_T6_T7_T9_mT8_S1D_bDpT10_ENKUlT_T0_E_clISt17integral_constantIbLb0EES1Q_IbLb1EEEEDaS1M_S1N_EUlS1M_E_NS1_11comp_targetILNS1_3genE2ELNS1_11target_archE906ELNS1_3gpuE6ELNS1_3repE0EEENS1_30default_config_static_selectorELNS0_4arch9wavefront6targetE0EEEvSZ_,@function
_ZN7rocprim17ROCPRIM_400000_NS6detail17trampoline_kernelINS0_13select_configILj256ELj13ELNS0_17block_load_methodE3ELS4_3ELS4_3ELNS0_20block_scan_algorithmE0ELj4294967295EEENS1_25partition_config_selectorILNS1_17partition_subalgoE4EjNS0_10empty_typeEbEEZZNS1_14partition_implILS8_4ELb0ES6_15HIP_vector_typeIjLj2EENS0_17counting_iteratorIjlEEPS9_SG_NS0_5tupleIJPjSI_NS0_16reverse_iteratorISI_EEEEENSH_IJSG_SG_SG_EEES9_SI_JZNS1_25segmented_radix_sort_implINS0_14default_configELb0EPKlPlSQ_SR_N2at6native12_GLOBAL__N_18offset_tEEE10hipError_tPvRmT1_PNSt15iterator_traitsISZ_E10value_typeET2_T3_PNS10_IS15_E10value_typeET4_jRbjT5_S1B_jjP12ihipStream_tbEUljE_ZNSN_ISO_Lb0ESQ_SR_SQ_SR_SV_EESW_SX_SY_SZ_S13_S14_S15_S18_S19_jS1A_jS1B_S1B_jjS1D_bEUljE0_EEESW_SX_SY_S15_S19_S1B_T6_T7_T9_mT8_S1D_bDpT10_ENKUlT_T0_E_clISt17integral_constantIbLb0EES1Q_IbLb1EEEEDaS1M_S1N_EUlS1M_E_NS1_11comp_targetILNS1_3genE2ELNS1_11target_archE906ELNS1_3gpuE6ELNS1_3repE0EEENS1_30default_config_static_selectorELNS0_4arch9wavefront6targetE0EEEvSZ_: ; @_ZN7rocprim17ROCPRIM_400000_NS6detail17trampoline_kernelINS0_13select_configILj256ELj13ELNS0_17block_load_methodE3ELS4_3ELS4_3ELNS0_20block_scan_algorithmE0ELj4294967295EEENS1_25partition_config_selectorILNS1_17partition_subalgoE4EjNS0_10empty_typeEbEEZZNS1_14partition_implILS8_4ELb0ES6_15HIP_vector_typeIjLj2EENS0_17counting_iteratorIjlEEPS9_SG_NS0_5tupleIJPjSI_NS0_16reverse_iteratorISI_EEEEENSH_IJSG_SG_SG_EEES9_SI_JZNS1_25segmented_radix_sort_implINS0_14default_configELb0EPKlPlSQ_SR_N2at6native12_GLOBAL__N_18offset_tEEE10hipError_tPvRmT1_PNSt15iterator_traitsISZ_E10value_typeET2_T3_PNS10_IS15_E10value_typeET4_jRbjT5_S1B_jjP12ihipStream_tbEUljE_ZNSN_ISO_Lb0ESQ_SR_SQ_SR_SV_EESW_SX_SY_SZ_S13_S14_S15_S18_S19_jS1A_jS1B_S1B_jjS1D_bEUljE0_EEESW_SX_SY_S15_S19_S1B_T6_T7_T9_mT8_S1D_bDpT10_ENKUlT_T0_E_clISt17integral_constantIbLb0EES1Q_IbLb1EEEEDaS1M_S1N_EUlS1M_E_NS1_11comp_targetILNS1_3genE2ELNS1_11target_archE906ELNS1_3gpuE6ELNS1_3repE0EEENS1_30default_config_static_selectorELNS0_4arch9wavefront6targetE0EEEvSZ_
; %bb.0:
	.section	.rodata,"a",@progbits
	.p2align	6, 0x0
	.amdhsa_kernel _ZN7rocprim17ROCPRIM_400000_NS6detail17trampoline_kernelINS0_13select_configILj256ELj13ELNS0_17block_load_methodE3ELS4_3ELS4_3ELNS0_20block_scan_algorithmE0ELj4294967295EEENS1_25partition_config_selectorILNS1_17partition_subalgoE4EjNS0_10empty_typeEbEEZZNS1_14partition_implILS8_4ELb0ES6_15HIP_vector_typeIjLj2EENS0_17counting_iteratorIjlEEPS9_SG_NS0_5tupleIJPjSI_NS0_16reverse_iteratorISI_EEEEENSH_IJSG_SG_SG_EEES9_SI_JZNS1_25segmented_radix_sort_implINS0_14default_configELb0EPKlPlSQ_SR_N2at6native12_GLOBAL__N_18offset_tEEE10hipError_tPvRmT1_PNSt15iterator_traitsISZ_E10value_typeET2_T3_PNS10_IS15_E10value_typeET4_jRbjT5_S1B_jjP12ihipStream_tbEUljE_ZNSN_ISO_Lb0ESQ_SR_SQ_SR_SV_EESW_SX_SY_SZ_S13_S14_S15_S18_S19_jS1A_jS1B_S1B_jjS1D_bEUljE0_EEESW_SX_SY_S15_S19_S1B_T6_T7_T9_mT8_S1D_bDpT10_ENKUlT_T0_E_clISt17integral_constantIbLb0EES1Q_IbLb1EEEEDaS1M_S1N_EUlS1M_E_NS1_11comp_targetILNS1_3genE2ELNS1_11target_archE906ELNS1_3gpuE6ELNS1_3repE0EEENS1_30default_config_static_selectorELNS0_4arch9wavefront6targetE0EEEvSZ_
		.amdhsa_group_segment_fixed_size 0
		.amdhsa_private_segment_fixed_size 0
		.amdhsa_kernarg_size 184
		.amdhsa_user_sgpr_count 2
		.amdhsa_user_sgpr_dispatch_ptr 0
		.amdhsa_user_sgpr_queue_ptr 0
		.amdhsa_user_sgpr_kernarg_segment_ptr 1
		.amdhsa_user_sgpr_dispatch_id 0
		.amdhsa_user_sgpr_private_segment_size 0
		.amdhsa_wavefront_size32 1
		.amdhsa_uses_dynamic_stack 0
		.amdhsa_enable_private_segment 0
		.amdhsa_system_sgpr_workgroup_id_x 1
		.amdhsa_system_sgpr_workgroup_id_y 0
		.amdhsa_system_sgpr_workgroup_id_z 0
		.amdhsa_system_sgpr_workgroup_info 0
		.amdhsa_system_vgpr_workitem_id 0
		.amdhsa_next_free_vgpr 1
		.amdhsa_next_free_sgpr 1
		.amdhsa_reserve_vcc 0
		.amdhsa_float_round_mode_32 0
		.amdhsa_float_round_mode_16_64 0
		.amdhsa_float_denorm_mode_32 3
		.amdhsa_float_denorm_mode_16_64 3
		.amdhsa_fp16_overflow 0
		.amdhsa_workgroup_processor_mode 1
		.amdhsa_memory_ordered 1
		.amdhsa_forward_progress 1
		.amdhsa_inst_pref_size 0
		.amdhsa_round_robin_scheduling 0
		.amdhsa_exception_fp_ieee_invalid_op 0
		.amdhsa_exception_fp_denorm_src 0
		.amdhsa_exception_fp_ieee_div_zero 0
		.amdhsa_exception_fp_ieee_overflow 0
		.amdhsa_exception_fp_ieee_underflow 0
		.amdhsa_exception_fp_ieee_inexact 0
		.amdhsa_exception_int_div_zero 0
	.end_amdhsa_kernel
	.section	.text._ZN7rocprim17ROCPRIM_400000_NS6detail17trampoline_kernelINS0_13select_configILj256ELj13ELNS0_17block_load_methodE3ELS4_3ELS4_3ELNS0_20block_scan_algorithmE0ELj4294967295EEENS1_25partition_config_selectorILNS1_17partition_subalgoE4EjNS0_10empty_typeEbEEZZNS1_14partition_implILS8_4ELb0ES6_15HIP_vector_typeIjLj2EENS0_17counting_iteratorIjlEEPS9_SG_NS0_5tupleIJPjSI_NS0_16reverse_iteratorISI_EEEEENSH_IJSG_SG_SG_EEES9_SI_JZNS1_25segmented_radix_sort_implINS0_14default_configELb0EPKlPlSQ_SR_N2at6native12_GLOBAL__N_18offset_tEEE10hipError_tPvRmT1_PNSt15iterator_traitsISZ_E10value_typeET2_T3_PNS10_IS15_E10value_typeET4_jRbjT5_S1B_jjP12ihipStream_tbEUljE_ZNSN_ISO_Lb0ESQ_SR_SQ_SR_SV_EESW_SX_SY_SZ_S13_S14_S15_S18_S19_jS1A_jS1B_S1B_jjS1D_bEUljE0_EEESW_SX_SY_S15_S19_S1B_T6_T7_T9_mT8_S1D_bDpT10_ENKUlT_T0_E_clISt17integral_constantIbLb0EES1Q_IbLb1EEEEDaS1M_S1N_EUlS1M_E_NS1_11comp_targetILNS1_3genE2ELNS1_11target_archE906ELNS1_3gpuE6ELNS1_3repE0EEENS1_30default_config_static_selectorELNS0_4arch9wavefront6targetE0EEEvSZ_,"axG",@progbits,_ZN7rocprim17ROCPRIM_400000_NS6detail17trampoline_kernelINS0_13select_configILj256ELj13ELNS0_17block_load_methodE3ELS4_3ELS4_3ELNS0_20block_scan_algorithmE0ELj4294967295EEENS1_25partition_config_selectorILNS1_17partition_subalgoE4EjNS0_10empty_typeEbEEZZNS1_14partition_implILS8_4ELb0ES6_15HIP_vector_typeIjLj2EENS0_17counting_iteratorIjlEEPS9_SG_NS0_5tupleIJPjSI_NS0_16reverse_iteratorISI_EEEEENSH_IJSG_SG_SG_EEES9_SI_JZNS1_25segmented_radix_sort_implINS0_14default_configELb0EPKlPlSQ_SR_N2at6native12_GLOBAL__N_18offset_tEEE10hipError_tPvRmT1_PNSt15iterator_traitsISZ_E10value_typeET2_T3_PNS10_IS15_E10value_typeET4_jRbjT5_S1B_jjP12ihipStream_tbEUljE_ZNSN_ISO_Lb0ESQ_SR_SQ_SR_SV_EESW_SX_SY_SZ_S13_S14_S15_S18_S19_jS1A_jS1B_S1B_jjS1D_bEUljE0_EEESW_SX_SY_S15_S19_S1B_T6_T7_T9_mT8_S1D_bDpT10_ENKUlT_T0_E_clISt17integral_constantIbLb0EES1Q_IbLb1EEEEDaS1M_S1N_EUlS1M_E_NS1_11comp_targetILNS1_3genE2ELNS1_11target_archE906ELNS1_3gpuE6ELNS1_3repE0EEENS1_30default_config_static_selectorELNS0_4arch9wavefront6targetE0EEEvSZ_,comdat
.Lfunc_end771:
	.size	_ZN7rocprim17ROCPRIM_400000_NS6detail17trampoline_kernelINS0_13select_configILj256ELj13ELNS0_17block_load_methodE3ELS4_3ELS4_3ELNS0_20block_scan_algorithmE0ELj4294967295EEENS1_25partition_config_selectorILNS1_17partition_subalgoE4EjNS0_10empty_typeEbEEZZNS1_14partition_implILS8_4ELb0ES6_15HIP_vector_typeIjLj2EENS0_17counting_iteratorIjlEEPS9_SG_NS0_5tupleIJPjSI_NS0_16reverse_iteratorISI_EEEEENSH_IJSG_SG_SG_EEES9_SI_JZNS1_25segmented_radix_sort_implINS0_14default_configELb0EPKlPlSQ_SR_N2at6native12_GLOBAL__N_18offset_tEEE10hipError_tPvRmT1_PNSt15iterator_traitsISZ_E10value_typeET2_T3_PNS10_IS15_E10value_typeET4_jRbjT5_S1B_jjP12ihipStream_tbEUljE_ZNSN_ISO_Lb0ESQ_SR_SQ_SR_SV_EESW_SX_SY_SZ_S13_S14_S15_S18_S19_jS1A_jS1B_S1B_jjS1D_bEUljE0_EEESW_SX_SY_S15_S19_S1B_T6_T7_T9_mT8_S1D_bDpT10_ENKUlT_T0_E_clISt17integral_constantIbLb0EES1Q_IbLb1EEEEDaS1M_S1N_EUlS1M_E_NS1_11comp_targetILNS1_3genE2ELNS1_11target_archE906ELNS1_3gpuE6ELNS1_3repE0EEENS1_30default_config_static_selectorELNS0_4arch9wavefront6targetE0EEEvSZ_, .Lfunc_end771-_ZN7rocprim17ROCPRIM_400000_NS6detail17trampoline_kernelINS0_13select_configILj256ELj13ELNS0_17block_load_methodE3ELS4_3ELS4_3ELNS0_20block_scan_algorithmE0ELj4294967295EEENS1_25partition_config_selectorILNS1_17partition_subalgoE4EjNS0_10empty_typeEbEEZZNS1_14partition_implILS8_4ELb0ES6_15HIP_vector_typeIjLj2EENS0_17counting_iteratorIjlEEPS9_SG_NS0_5tupleIJPjSI_NS0_16reverse_iteratorISI_EEEEENSH_IJSG_SG_SG_EEES9_SI_JZNS1_25segmented_radix_sort_implINS0_14default_configELb0EPKlPlSQ_SR_N2at6native12_GLOBAL__N_18offset_tEEE10hipError_tPvRmT1_PNSt15iterator_traitsISZ_E10value_typeET2_T3_PNS10_IS15_E10value_typeET4_jRbjT5_S1B_jjP12ihipStream_tbEUljE_ZNSN_ISO_Lb0ESQ_SR_SQ_SR_SV_EESW_SX_SY_SZ_S13_S14_S15_S18_S19_jS1A_jS1B_S1B_jjS1D_bEUljE0_EEESW_SX_SY_S15_S19_S1B_T6_T7_T9_mT8_S1D_bDpT10_ENKUlT_T0_E_clISt17integral_constantIbLb0EES1Q_IbLb1EEEEDaS1M_S1N_EUlS1M_E_NS1_11comp_targetILNS1_3genE2ELNS1_11target_archE906ELNS1_3gpuE6ELNS1_3repE0EEENS1_30default_config_static_selectorELNS0_4arch9wavefront6targetE0EEEvSZ_
                                        ; -- End function
	.set _ZN7rocprim17ROCPRIM_400000_NS6detail17trampoline_kernelINS0_13select_configILj256ELj13ELNS0_17block_load_methodE3ELS4_3ELS4_3ELNS0_20block_scan_algorithmE0ELj4294967295EEENS1_25partition_config_selectorILNS1_17partition_subalgoE4EjNS0_10empty_typeEbEEZZNS1_14partition_implILS8_4ELb0ES6_15HIP_vector_typeIjLj2EENS0_17counting_iteratorIjlEEPS9_SG_NS0_5tupleIJPjSI_NS0_16reverse_iteratorISI_EEEEENSH_IJSG_SG_SG_EEES9_SI_JZNS1_25segmented_radix_sort_implINS0_14default_configELb0EPKlPlSQ_SR_N2at6native12_GLOBAL__N_18offset_tEEE10hipError_tPvRmT1_PNSt15iterator_traitsISZ_E10value_typeET2_T3_PNS10_IS15_E10value_typeET4_jRbjT5_S1B_jjP12ihipStream_tbEUljE_ZNSN_ISO_Lb0ESQ_SR_SQ_SR_SV_EESW_SX_SY_SZ_S13_S14_S15_S18_S19_jS1A_jS1B_S1B_jjS1D_bEUljE0_EEESW_SX_SY_S15_S19_S1B_T6_T7_T9_mT8_S1D_bDpT10_ENKUlT_T0_E_clISt17integral_constantIbLb0EES1Q_IbLb1EEEEDaS1M_S1N_EUlS1M_E_NS1_11comp_targetILNS1_3genE2ELNS1_11target_archE906ELNS1_3gpuE6ELNS1_3repE0EEENS1_30default_config_static_selectorELNS0_4arch9wavefront6targetE0EEEvSZ_.num_vgpr, 0
	.set _ZN7rocprim17ROCPRIM_400000_NS6detail17trampoline_kernelINS0_13select_configILj256ELj13ELNS0_17block_load_methodE3ELS4_3ELS4_3ELNS0_20block_scan_algorithmE0ELj4294967295EEENS1_25partition_config_selectorILNS1_17partition_subalgoE4EjNS0_10empty_typeEbEEZZNS1_14partition_implILS8_4ELb0ES6_15HIP_vector_typeIjLj2EENS0_17counting_iteratorIjlEEPS9_SG_NS0_5tupleIJPjSI_NS0_16reverse_iteratorISI_EEEEENSH_IJSG_SG_SG_EEES9_SI_JZNS1_25segmented_radix_sort_implINS0_14default_configELb0EPKlPlSQ_SR_N2at6native12_GLOBAL__N_18offset_tEEE10hipError_tPvRmT1_PNSt15iterator_traitsISZ_E10value_typeET2_T3_PNS10_IS15_E10value_typeET4_jRbjT5_S1B_jjP12ihipStream_tbEUljE_ZNSN_ISO_Lb0ESQ_SR_SQ_SR_SV_EESW_SX_SY_SZ_S13_S14_S15_S18_S19_jS1A_jS1B_S1B_jjS1D_bEUljE0_EEESW_SX_SY_S15_S19_S1B_T6_T7_T9_mT8_S1D_bDpT10_ENKUlT_T0_E_clISt17integral_constantIbLb0EES1Q_IbLb1EEEEDaS1M_S1N_EUlS1M_E_NS1_11comp_targetILNS1_3genE2ELNS1_11target_archE906ELNS1_3gpuE6ELNS1_3repE0EEENS1_30default_config_static_selectorELNS0_4arch9wavefront6targetE0EEEvSZ_.num_agpr, 0
	.set _ZN7rocprim17ROCPRIM_400000_NS6detail17trampoline_kernelINS0_13select_configILj256ELj13ELNS0_17block_load_methodE3ELS4_3ELS4_3ELNS0_20block_scan_algorithmE0ELj4294967295EEENS1_25partition_config_selectorILNS1_17partition_subalgoE4EjNS0_10empty_typeEbEEZZNS1_14partition_implILS8_4ELb0ES6_15HIP_vector_typeIjLj2EENS0_17counting_iteratorIjlEEPS9_SG_NS0_5tupleIJPjSI_NS0_16reverse_iteratorISI_EEEEENSH_IJSG_SG_SG_EEES9_SI_JZNS1_25segmented_radix_sort_implINS0_14default_configELb0EPKlPlSQ_SR_N2at6native12_GLOBAL__N_18offset_tEEE10hipError_tPvRmT1_PNSt15iterator_traitsISZ_E10value_typeET2_T3_PNS10_IS15_E10value_typeET4_jRbjT5_S1B_jjP12ihipStream_tbEUljE_ZNSN_ISO_Lb0ESQ_SR_SQ_SR_SV_EESW_SX_SY_SZ_S13_S14_S15_S18_S19_jS1A_jS1B_S1B_jjS1D_bEUljE0_EEESW_SX_SY_S15_S19_S1B_T6_T7_T9_mT8_S1D_bDpT10_ENKUlT_T0_E_clISt17integral_constantIbLb0EES1Q_IbLb1EEEEDaS1M_S1N_EUlS1M_E_NS1_11comp_targetILNS1_3genE2ELNS1_11target_archE906ELNS1_3gpuE6ELNS1_3repE0EEENS1_30default_config_static_selectorELNS0_4arch9wavefront6targetE0EEEvSZ_.numbered_sgpr, 0
	.set _ZN7rocprim17ROCPRIM_400000_NS6detail17trampoline_kernelINS0_13select_configILj256ELj13ELNS0_17block_load_methodE3ELS4_3ELS4_3ELNS0_20block_scan_algorithmE0ELj4294967295EEENS1_25partition_config_selectorILNS1_17partition_subalgoE4EjNS0_10empty_typeEbEEZZNS1_14partition_implILS8_4ELb0ES6_15HIP_vector_typeIjLj2EENS0_17counting_iteratorIjlEEPS9_SG_NS0_5tupleIJPjSI_NS0_16reverse_iteratorISI_EEEEENSH_IJSG_SG_SG_EEES9_SI_JZNS1_25segmented_radix_sort_implINS0_14default_configELb0EPKlPlSQ_SR_N2at6native12_GLOBAL__N_18offset_tEEE10hipError_tPvRmT1_PNSt15iterator_traitsISZ_E10value_typeET2_T3_PNS10_IS15_E10value_typeET4_jRbjT5_S1B_jjP12ihipStream_tbEUljE_ZNSN_ISO_Lb0ESQ_SR_SQ_SR_SV_EESW_SX_SY_SZ_S13_S14_S15_S18_S19_jS1A_jS1B_S1B_jjS1D_bEUljE0_EEESW_SX_SY_S15_S19_S1B_T6_T7_T9_mT8_S1D_bDpT10_ENKUlT_T0_E_clISt17integral_constantIbLb0EES1Q_IbLb1EEEEDaS1M_S1N_EUlS1M_E_NS1_11comp_targetILNS1_3genE2ELNS1_11target_archE906ELNS1_3gpuE6ELNS1_3repE0EEENS1_30default_config_static_selectorELNS0_4arch9wavefront6targetE0EEEvSZ_.num_named_barrier, 0
	.set _ZN7rocprim17ROCPRIM_400000_NS6detail17trampoline_kernelINS0_13select_configILj256ELj13ELNS0_17block_load_methodE3ELS4_3ELS4_3ELNS0_20block_scan_algorithmE0ELj4294967295EEENS1_25partition_config_selectorILNS1_17partition_subalgoE4EjNS0_10empty_typeEbEEZZNS1_14partition_implILS8_4ELb0ES6_15HIP_vector_typeIjLj2EENS0_17counting_iteratorIjlEEPS9_SG_NS0_5tupleIJPjSI_NS0_16reverse_iteratorISI_EEEEENSH_IJSG_SG_SG_EEES9_SI_JZNS1_25segmented_radix_sort_implINS0_14default_configELb0EPKlPlSQ_SR_N2at6native12_GLOBAL__N_18offset_tEEE10hipError_tPvRmT1_PNSt15iterator_traitsISZ_E10value_typeET2_T3_PNS10_IS15_E10value_typeET4_jRbjT5_S1B_jjP12ihipStream_tbEUljE_ZNSN_ISO_Lb0ESQ_SR_SQ_SR_SV_EESW_SX_SY_SZ_S13_S14_S15_S18_S19_jS1A_jS1B_S1B_jjS1D_bEUljE0_EEESW_SX_SY_S15_S19_S1B_T6_T7_T9_mT8_S1D_bDpT10_ENKUlT_T0_E_clISt17integral_constantIbLb0EES1Q_IbLb1EEEEDaS1M_S1N_EUlS1M_E_NS1_11comp_targetILNS1_3genE2ELNS1_11target_archE906ELNS1_3gpuE6ELNS1_3repE0EEENS1_30default_config_static_selectorELNS0_4arch9wavefront6targetE0EEEvSZ_.private_seg_size, 0
	.set _ZN7rocprim17ROCPRIM_400000_NS6detail17trampoline_kernelINS0_13select_configILj256ELj13ELNS0_17block_load_methodE3ELS4_3ELS4_3ELNS0_20block_scan_algorithmE0ELj4294967295EEENS1_25partition_config_selectorILNS1_17partition_subalgoE4EjNS0_10empty_typeEbEEZZNS1_14partition_implILS8_4ELb0ES6_15HIP_vector_typeIjLj2EENS0_17counting_iteratorIjlEEPS9_SG_NS0_5tupleIJPjSI_NS0_16reverse_iteratorISI_EEEEENSH_IJSG_SG_SG_EEES9_SI_JZNS1_25segmented_radix_sort_implINS0_14default_configELb0EPKlPlSQ_SR_N2at6native12_GLOBAL__N_18offset_tEEE10hipError_tPvRmT1_PNSt15iterator_traitsISZ_E10value_typeET2_T3_PNS10_IS15_E10value_typeET4_jRbjT5_S1B_jjP12ihipStream_tbEUljE_ZNSN_ISO_Lb0ESQ_SR_SQ_SR_SV_EESW_SX_SY_SZ_S13_S14_S15_S18_S19_jS1A_jS1B_S1B_jjS1D_bEUljE0_EEESW_SX_SY_S15_S19_S1B_T6_T7_T9_mT8_S1D_bDpT10_ENKUlT_T0_E_clISt17integral_constantIbLb0EES1Q_IbLb1EEEEDaS1M_S1N_EUlS1M_E_NS1_11comp_targetILNS1_3genE2ELNS1_11target_archE906ELNS1_3gpuE6ELNS1_3repE0EEENS1_30default_config_static_selectorELNS0_4arch9wavefront6targetE0EEEvSZ_.uses_vcc, 0
	.set _ZN7rocprim17ROCPRIM_400000_NS6detail17trampoline_kernelINS0_13select_configILj256ELj13ELNS0_17block_load_methodE3ELS4_3ELS4_3ELNS0_20block_scan_algorithmE0ELj4294967295EEENS1_25partition_config_selectorILNS1_17partition_subalgoE4EjNS0_10empty_typeEbEEZZNS1_14partition_implILS8_4ELb0ES6_15HIP_vector_typeIjLj2EENS0_17counting_iteratorIjlEEPS9_SG_NS0_5tupleIJPjSI_NS0_16reverse_iteratorISI_EEEEENSH_IJSG_SG_SG_EEES9_SI_JZNS1_25segmented_radix_sort_implINS0_14default_configELb0EPKlPlSQ_SR_N2at6native12_GLOBAL__N_18offset_tEEE10hipError_tPvRmT1_PNSt15iterator_traitsISZ_E10value_typeET2_T3_PNS10_IS15_E10value_typeET4_jRbjT5_S1B_jjP12ihipStream_tbEUljE_ZNSN_ISO_Lb0ESQ_SR_SQ_SR_SV_EESW_SX_SY_SZ_S13_S14_S15_S18_S19_jS1A_jS1B_S1B_jjS1D_bEUljE0_EEESW_SX_SY_S15_S19_S1B_T6_T7_T9_mT8_S1D_bDpT10_ENKUlT_T0_E_clISt17integral_constantIbLb0EES1Q_IbLb1EEEEDaS1M_S1N_EUlS1M_E_NS1_11comp_targetILNS1_3genE2ELNS1_11target_archE906ELNS1_3gpuE6ELNS1_3repE0EEENS1_30default_config_static_selectorELNS0_4arch9wavefront6targetE0EEEvSZ_.uses_flat_scratch, 0
	.set _ZN7rocprim17ROCPRIM_400000_NS6detail17trampoline_kernelINS0_13select_configILj256ELj13ELNS0_17block_load_methodE3ELS4_3ELS4_3ELNS0_20block_scan_algorithmE0ELj4294967295EEENS1_25partition_config_selectorILNS1_17partition_subalgoE4EjNS0_10empty_typeEbEEZZNS1_14partition_implILS8_4ELb0ES6_15HIP_vector_typeIjLj2EENS0_17counting_iteratorIjlEEPS9_SG_NS0_5tupleIJPjSI_NS0_16reverse_iteratorISI_EEEEENSH_IJSG_SG_SG_EEES9_SI_JZNS1_25segmented_radix_sort_implINS0_14default_configELb0EPKlPlSQ_SR_N2at6native12_GLOBAL__N_18offset_tEEE10hipError_tPvRmT1_PNSt15iterator_traitsISZ_E10value_typeET2_T3_PNS10_IS15_E10value_typeET4_jRbjT5_S1B_jjP12ihipStream_tbEUljE_ZNSN_ISO_Lb0ESQ_SR_SQ_SR_SV_EESW_SX_SY_SZ_S13_S14_S15_S18_S19_jS1A_jS1B_S1B_jjS1D_bEUljE0_EEESW_SX_SY_S15_S19_S1B_T6_T7_T9_mT8_S1D_bDpT10_ENKUlT_T0_E_clISt17integral_constantIbLb0EES1Q_IbLb1EEEEDaS1M_S1N_EUlS1M_E_NS1_11comp_targetILNS1_3genE2ELNS1_11target_archE906ELNS1_3gpuE6ELNS1_3repE0EEENS1_30default_config_static_selectorELNS0_4arch9wavefront6targetE0EEEvSZ_.has_dyn_sized_stack, 0
	.set _ZN7rocprim17ROCPRIM_400000_NS6detail17trampoline_kernelINS0_13select_configILj256ELj13ELNS0_17block_load_methodE3ELS4_3ELS4_3ELNS0_20block_scan_algorithmE0ELj4294967295EEENS1_25partition_config_selectorILNS1_17partition_subalgoE4EjNS0_10empty_typeEbEEZZNS1_14partition_implILS8_4ELb0ES6_15HIP_vector_typeIjLj2EENS0_17counting_iteratorIjlEEPS9_SG_NS0_5tupleIJPjSI_NS0_16reverse_iteratorISI_EEEEENSH_IJSG_SG_SG_EEES9_SI_JZNS1_25segmented_radix_sort_implINS0_14default_configELb0EPKlPlSQ_SR_N2at6native12_GLOBAL__N_18offset_tEEE10hipError_tPvRmT1_PNSt15iterator_traitsISZ_E10value_typeET2_T3_PNS10_IS15_E10value_typeET4_jRbjT5_S1B_jjP12ihipStream_tbEUljE_ZNSN_ISO_Lb0ESQ_SR_SQ_SR_SV_EESW_SX_SY_SZ_S13_S14_S15_S18_S19_jS1A_jS1B_S1B_jjS1D_bEUljE0_EEESW_SX_SY_S15_S19_S1B_T6_T7_T9_mT8_S1D_bDpT10_ENKUlT_T0_E_clISt17integral_constantIbLb0EES1Q_IbLb1EEEEDaS1M_S1N_EUlS1M_E_NS1_11comp_targetILNS1_3genE2ELNS1_11target_archE906ELNS1_3gpuE6ELNS1_3repE0EEENS1_30default_config_static_selectorELNS0_4arch9wavefront6targetE0EEEvSZ_.has_recursion, 0
	.set _ZN7rocprim17ROCPRIM_400000_NS6detail17trampoline_kernelINS0_13select_configILj256ELj13ELNS0_17block_load_methodE3ELS4_3ELS4_3ELNS0_20block_scan_algorithmE0ELj4294967295EEENS1_25partition_config_selectorILNS1_17partition_subalgoE4EjNS0_10empty_typeEbEEZZNS1_14partition_implILS8_4ELb0ES6_15HIP_vector_typeIjLj2EENS0_17counting_iteratorIjlEEPS9_SG_NS0_5tupleIJPjSI_NS0_16reverse_iteratorISI_EEEEENSH_IJSG_SG_SG_EEES9_SI_JZNS1_25segmented_radix_sort_implINS0_14default_configELb0EPKlPlSQ_SR_N2at6native12_GLOBAL__N_18offset_tEEE10hipError_tPvRmT1_PNSt15iterator_traitsISZ_E10value_typeET2_T3_PNS10_IS15_E10value_typeET4_jRbjT5_S1B_jjP12ihipStream_tbEUljE_ZNSN_ISO_Lb0ESQ_SR_SQ_SR_SV_EESW_SX_SY_SZ_S13_S14_S15_S18_S19_jS1A_jS1B_S1B_jjS1D_bEUljE0_EEESW_SX_SY_S15_S19_S1B_T6_T7_T9_mT8_S1D_bDpT10_ENKUlT_T0_E_clISt17integral_constantIbLb0EES1Q_IbLb1EEEEDaS1M_S1N_EUlS1M_E_NS1_11comp_targetILNS1_3genE2ELNS1_11target_archE906ELNS1_3gpuE6ELNS1_3repE0EEENS1_30default_config_static_selectorELNS0_4arch9wavefront6targetE0EEEvSZ_.has_indirect_call, 0
	.section	.AMDGPU.csdata,"",@progbits
; Kernel info:
; codeLenInByte = 0
; TotalNumSgprs: 0
; NumVgprs: 0
; ScratchSize: 0
; MemoryBound: 0
; FloatMode: 240
; IeeeMode: 1
; LDSByteSize: 0 bytes/workgroup (compile time only)
; SGPRBlocks: 0
; VGPRBlocks: 0
; NumSGPRsForWavesPerEU: 1
; NumVGPRsForWavesPerEU: 1
; Occupancy: 16
; WaveLimiterHint : 0
; COMPUTE_PGM_RSRC2:SCRATCH_EN: 0
; COMPUTE_PGM_RSRC2:USER_SGPR: 2
; COMPUTE_PGM_RSRC2:TRAP_HANDLER: 0
; COMPUTE_PGM_RSRC2:TGID_X_EN: 1
; COMPUTE_PGM_RSRC2:TGID_Y_EN: 0
; COMPUTE_PGM_RSRC2:TGID_Z_EN: 0
; COMPUTE_PGM_RSRC2:TIDIG_COMP_CNT: 0
	.section	.text._ZN7rocprim17ROCPRIM_400000_NS6detail17trampoline_kernelINS0_13select_configILj256ELj13ELNS0_17block_load_methodE3ELS4_3ELS4_3ELNS0_20block_scan_algorithmE0ELj4294967295EEENS1_25partition_config_selectorILNS1_17partition_subalgoE4EjNS0_10empty_typeEbEEZZNS1_14partition_implILS8_4ELb0ES6_15HIP_vector_typeIjLj2EENS0_17counting_iteratorIjlEEPS9_SG_NS0_5tupleIJPjSI_NS0_16reverse_iteratorISI_EEEEENSH_IJSG_SG_SG_EEES9_SI_JZNS1_25segmented_radix_sort_implINS0_14default_configELb0EPKlPlSQ_SR_N2at6native12_GLOBAL__N_18offset_tEEE10hipError_tPvRmT1_PNSt15iterator_traitsISZ_E10value_typeET2_T3_PNS10_IS15_E10value_typeET4_jRbjT5_S1B_jjP12ihipStream_tbEUljE_ZNSN_ISO_Lb0ESQ_SR_SQ_SR_SV_EESW_SX_SY_SZ_S13_S14_S15_S18_S19_jS1A_jS1B_S1B_jjS1D_bEUljE0_EEESW_SX_SY_S15_S19_S1B_T6_T7_T9_mT8_S1D_bDpT10_ENKUlT_T0_E_clISt17integral_constantIbLb0EES1Q_IbLb1EEEEDaS1M_S1N_EUlS1M_E_NS1_11comp_targetILNS1_3genE10ELNS1_11target_archE1200ELNS1_3gpuE4ELNS1_3repE0EEENS1_30default_config_static_selectorELNS0_4arch9wavefront6targetE0EEEvSZ_,"axG",@progbits,_ZN7rocprim17ROCPRIM_400000_NS6detail17trampoline_kernelINS0_13select_configILj256ELj13ELNS0_17block_load_methodE3ELS4_3ELS4_3ELNS0_20block_scan_algorithmE0ELj4294967295EEENS1_25partition_config_selectorILNS1_17partition_subalgoE4EjNS0_10empty_typeEbEEZZNS1_14partition_implILS8_4ELb0ES6_15HIP_vector_typeIjLj2EENS0_17counting_iteratorIjlEEPS9_SG_NS0_5tupleIJPjSI_NS0_16reverse_iteratorISI_EEEEENSH_IJSG_SG_SG_EEES9_SI_JZNS1_25segmented_radix_sort_implINS0_14default_configELb0EPKlPlSQ_SR_N2at6native12_GLOBAL__N_18offset_tEEE10hipError_tPvRmT1_PNSt15iterator_traitsISZ_E10value_typeET2_T3_PNS10_IS15_E10value_typeET4_jRbjT5_S1B_jjP12ihipStream_tbEUljE_ZNSN_ISO_Lb0ESQ_SR_SQ_SR_SV_EESW_SX_SY_SZ_S13_S14_S15_S18_S19_jS1A_jS1B_S1B_jjS1D_bEUljE0_EEESW_SX_SY_S15_S19_S1B_T6_T7_T9_mT8_S1D_bDpT10_ENKUlT_T0_E_clISt17integral_constantIbLb0EES1Q_IbLb1EEEEDaS1M_S1N_EUlS1M_E_NS1_11comp_targetILNS1_3genE10ELNS1_11target_archE1200ELNS1_3gpuE4ELNS1_3repE0EEENS1_30default_config_static_selectorELNS0_4arch9wavefront6targetE0EEEvSZ_,comdat
	.globl	_ZN7rocprim17ROCPRIM_400000_NS6detail17trampoline_kernelINS0_13select_configILj256ELj13ELNS0_17block_load_methodE3ELS4_3ELS4_3ELNS0_20block_scan_algorithmE0ELj4294967295EEENS1_25partition_config_selectorILNS1_17partition_subalgoE4EjNS0_10empty_typeEbEEZZNS1_14partition_implILS8_4ELb0ES6_15HIP_vector_typeIjLj2EENS0_17counting_iteratorIjlEEPS9_SG_NS0_5tupleIJPjSI_NS0_16reverse_iteratorISI_EEEEENSH_IJSG_SG_SG_EEES9_SI_JZNS1_25segmented_radix_sort_implINS0_14default_configELb0EPKlPlSQ_SR_N2at6native12_GLOBAL__N_18offset_tEEE10hipError_tPvRmT1_PNSt15iterator_traitsISZ_E10value_typeET2_T3_PNS10_IS15_E10value_typeET4_jRbjT5_S1B_jjP12ihipStream_tbEUljE_ZNSN_ISO_Lb0ESQ_SR_SQ_SR_SV_EESW_SX_SY_SZ_S13_S14_S15_S18_S19_jS1A_jS1B_S1B_jjS1D_bEUljE0_EEESW_SX_SY_S15_S19_S1B_T6_T7_T9_mT8_S1D_bDpT10_ENKUlT_T0_E_clISt17integral_constantIbLb0EES1Q_IbLb1EEEEDaS1M_S1N_EUlS1M_E_NS1_11comp_targetILNS1_3genE10ELNS1_11target_archE1200ELNS1_3gpuE4ELNS1_3repE0EEENS1_30default_config_static_selectorELNS0_4arch9wavefront6targetE0EEEvSZ_ ; -- Begin function _ZN7rocprim17ROCPRIM_400000_NS6detail17trampoline_kernelINS0_13select_configILj256ELj13ELNS0_17block_load_methodE3ELS4_3ELS4_3ELNS0_20block_scan_algorithmE0ELj4294967295EEENS1_25partition_config_selectorILNS1_17partition_subalgoE4EjNS0_10empty_typeEbEEZZNS1_14partition_implILS8_4ELb0ES6_15HIP_vector_typeIjLj2EENS0_17counting_iteratorIjlEEPS9_SG_NS0_5tupleIJPjSI_NS0_16reverse_iteratorISI_EEEEENSH_IJSG_SG_SG_EEES9_SI_JZNS1_25segmented_radix_sort_implINS0_14default_configELb0EPKlPlSQ_SR_N2at6native12_GLOBAL__N_18offset_tEEE10hipError_tPvRmT1_PNSt15iterator_traitsISZ_E10value_typeET2_T3_PNS10_IS15_E10value_typeET4_jRbjT5_S1B_jjP12ihipStream_tbEUljE_ZNSN_ISO_Lb0ESQ_SR_SQ_SR_SV_EESW_SX_SY_SZ_S13_S14_S15_S18_S19_jS1A_jS1B_S1B_jjS1D_bEUljE0_EEESW_SX_SY_S15_S19_S1B_T6_T7_T9_mT8_S1D_bDpT10_ENKUlT_T0_E_clISt17integral_constantIbLb0EES1Q_IbLb1EEEEDaS1M_S1N_EUlS1M_E_NS1_11comp_targetILNS1_3genE10ELNS1_11target_archE1200ELNS1_3gpuE4ELNS1_3repE0EEENS1_30default_config_static_selectorELNS0_4arch9wavefront6targetE0EEEvSZ_
	.p2align	8
	.type	_ZN7rocprim17ROCPRIM_400000_NS6detail17trampoline_kernelINS0_13select_configILj256ELj13ELNS0_17block_load_methodE3ELS4_3ELS4_3ELNS0_20block_scan_algorithmE0ELj4294967295EEENS1_25partition_config_selectorILNS1_17partition_subalgoE4EjNS0_10empty_typeEbEEZZNS1_14partition_implILS8_4ELb0ES6_15HIP_vector_typeIjLj2EENS0_17counting_iteratorIjlEEPS9_SG_NS0_5tupleIJPjSI_NS0_16reverse_iteratorISI_EEEEENSH_IJSG_SG_SG_EEES9_SI_JZNS1_25segmented_radix_sort_implINS0_14default_configELb0EPKlPlSQ_SR_N2at6native12_GLOBAL__N_18offset_tEEE10hipError_tPvRmT1_PNSt15iterator_traitsISZ_E10value_typeET2_T3_PNS10_IS15_E10value_typeET4_jRbjT5_S1B_jjP12ihipStream_tbEUljE_ZNSN_ISO_Lb0ESQ_SR_SQ_SR_SV_EESW_SX_SY_SZ_S13_S14_S15_S18_S19_jS1A_jS1B_S1B_jjS1D_bEUljE0_EEESW_SX_SY_S15_S19_S1B_T6_T7_T9_mT8_S1D_bDpT10_ENKUlT_T0_E_clISt17integral_constantIbLb0EES1Q_IbLb1EEEEDaS1M_S1N_EUlS1M_E_NS1_11comp_targetILNS1_3genE10ELNS1_11target_archE1200ELNS1_3gpuE4ELNS1_3repE0EEENS1_30default_config_static_selectorELNS0_4arch9wavefront6targetE0EEEvSZ_,@function
_ZN7rocprim17ROCPRIM_400000_NS6detail17trampoline_kernelINS0_13select_configILj256ELj13ELNS0_17block_load_methodE3ELS4_3ELS4_3ELNS0_20block_scan_algorithmE0ELj4294967295EEENS1_25partition_config_selectorILNS1_17partition_subalgoE4EjNS0_10empty_typeEbEEZZNS1_14partition_implILS8_4ELb0ES6_15HIP_vector_typeIjLj2EENS0_17counting_iteratorIjlEEPS9_SG_NS0_5tupleIJPjSI_NS0_16reverse_iteratorISI_EEEEENSH_IJSG_SG_SG_EEES9_SI_JZNS1_25segmented_radix_sort_implINS0_14default_configELb0EPKlPlSQ_SR_N2at6native12_GLOBAL__N_18offset_tEEE10hipError_tPvRmT1_PNSt15iterator_traitsISZ_E10value_typeET2_T3_PNS10_IS15_E10value_typeET4_jRbjT5_S1B_jjP12ihipStream_tbEUljE_ZNSN_ISO_Lb0ESQ_SR_SQ_SR_SV_EESW_SX_SY_SZ_S13_S14_S15_S18_S19_jS1A_jS1B_S1B_jjS1D_bEUljE0_EEESW_SX_SY_S15_S19_S1B_T6_T7_T9_mT8_S1D_bDpT10_ENKUlT_T0_E_clISt17integral_constantIbLb0EES1Q_IbLb1EEEEDaS1M_S1N_EUlS1M_E_NS1_11comp_targetILNS1_3genE10ELNS1_11target_archE1200ELNS1_3gpuE4ELNS1_3repE0EEENS1_30default_config_static_selectorELNS0_4arch9wavefront6targetE0EEEvSZ_: ; @_ZN7rocprim17ROCPRIM_400000_NS6detail17trampoline_kernelINS0_13select_configILj256ELj13ELNS0_17block_load_methodE3ELS4_3ELS4_3ELNS0_20block_scan_algorithmE0ELj4294967295EEENS1_25partition_config_selectorILNS1_17partition_subalgoE4EjNS0_10empty_typeEbEEZZNS1_14partition_implILS8_4ELb0ES6_15HIP_vector_typeIjLj2EENS0_17counting_iteratorIjlEEPS9_SG_NS0_5tupleIJPjSI_NS0_16reverse_iteratorISI_EEEEENSH_IJSG_SG_SG_EEES9_SI_JZNS1_25segmented_radix_sort_implINS0_14default_configELb0EPKlPlSQ_SR_N2at6native12_GLOBAL__N_18offset_tEEE10hipError_tPvRmT1_PNSt15iterator_traitsISZ_E10value_typeET2_T3_PNS10_IS15_E10value_typeET4_jRbjT5_S1B_jjP12ihipStream_tbEUljE_ZNSN_ISO_Lb0ESQ_SR_SQ_SR_SV_EESW_SX_SY_SZ_S13_S14_S15_S18_S19_jS1A_jS1B_S1B_jjS1D_bEUljE0_EEESW_SX_SY_S15_S19_S1B_T6_T7_T9_mT8_S1D_bDpT10_ENKUlT_T0_E_clISt17integral_constantIbLb0EES1Q_IbLb1EEEEDaS1M_S1N_EUlS1M_E_NS1_11comp_targetILNS1_3genE10ELNS1_11target_archE1200ELNS1_3gpuE4ELNS1_3repE0EEENS1_30default_config_static_selectorELNS0_4arch9wavefront6targetE0EEEvSZ_
; %bb.0:
	s_clause 0x7
	s_load_b64 s[34:35], s[0:1], 0x10
	s_load_b128 s[28:31], s[0:1], 0x28
	s_load_b64 s[14:15], s[0:1], 0x38
	s_load_b128 s[24:27], s[0:1], 0x58
	s_load_b64 s[4:5], s[0:1], 0x68
	s_load_b64 s[36:37], s[0:1], 0x78
	;; [unrolled: 1-line block ×3, first 2 shown]
	s_load_b256 s[16:23], s[0:1], 0x90
	v_cmp_eq_u32_e64 s2, 0, v0
	s_and_saveexec_b32 s3, s2
	s_cbranch_execz .LBB772_4
; %bb.1:
	s_mov_b32 s7, exec_lo
	s_mov_b32 s6, exec_lo
	v_mbcnt_lo_u32_b32 v1, s7, 0
                                        ; implicit-def: $vgpr2
	s_delay_alu instid0(VALU_DEP_1)
	v_cmpx_eq_u32_e32 0, v1
	s_cbranch_execz .LBB772_3
; %bb.2:
	s_load_b64 s[8:9], s[0:1], 0x88
	s_bcnt1_i32_b32 s7, s7
	s_wait_alu 0xfffe
	v_dual_mov_b32 v2, 0 :: v_dual_mov_b32 v3, s7
	s_wait_kmcnt 0x0
	global_atomic_add_u32 v2, v2, v3, s[8:9] th:TH_ATOMIC_RETURN scope:SCOPE_DEV
.LBB772_3:
	s_or_b32 exec_lo, exec_lo, s6
	s_wait_loadcnt 0x0
	v_readfirstlane_b32 s6, v2
	s_wait_alu 0xf1ff
	s_delay_alu instid0(VALU_DEP_1)
	v_dual_mov_b32 v2, 0 :: v_dual_add_nc_u32 v1, s6, v1
	ds_store_b32 v2, v1
.LBB772_4:
	s_or_b32 exec_lo, exec_lo, s3
	v_mov_b32_e32 v1, 0
	s_clause 0x1
	s_load_b32 s3, s[0:1], 0x8
	s_load_b32 s0, s[0:1], 0x80
	s_wait_dscnt 0x0
	s_barrier_signal -1
	s_barrier_wait -1
	global_inv scope:SCOPE_SE
	ds_load_b32 v5, v1
	s_wait_loadcnt_dscnt 0x0
	s_barrier_signal -1
	s_barrier_wait -1
	global_inv scope:SCOPE_SE
	s_wait_kmcnt 0x0
	global_load_b128 v[1:4], v1, s[26:27]
	s_mov_b32 s1, 0
	s_add_co_i32 s3, s3, s34
	s_add_co_i32 s6, s0, -1
	s_mulk_i32 s0, 0xd00
	s_delay_alu instid0(SALU_CYCLE_1)
	s_add_co_i32 s7, s0, s34
	s_add_nc_u64 s[0:1], s[34:35], s[0:1]
	v_readfirstlane_b32 s33, v5
	v_cmp_gt_u64_e64 s0, s[4:5], s[0:1]
	s_wait_alu 0xfffe
	s_sub_co_i32 s27, s4, s7
	v_cmp_ne_u32_e32 vcc_lo, s6, v5
	v_mul_lo_u32 v43, 0xd00, v5
	s_addk_co_i32 s27, 0xd00
	s_cmp_eq_u32 s33, s6
	s_mov_b32 s4, -1
	s_cselect_b32 s26, -1, 0
	s_or_b32 s1, s0, vcc_lo
	s_wait_alu 0xfffe
	s_and_b32 vcc_lo, exec_lo, s1
	s_cbranch_vccz .LBB772_6
; %bb.5:
	v_add3_u32 v5, v43, s3, v0
	v_lshlrev_b32_e32 v14, 2, v0
	s_mov_b32 s4, 0
	s_delay_alu instid0(VALU_DEP_2)
	v_add_nc_u32_e32 v6, 0x100, v5
	v_add_nc_u32_e32 v7, 0x200, v5
	;; [unrolled: 1-line block ×12, first 2 shown]
	ds_store_2addr_stride64_b32 v14, v5, v6 offset1:4
	ds_store_2addr_stride64_b32 v14, v7, v8 offset0:8 offset1:12
	ds_store_2addr_stride64_b32 v14, v9, v10 offset0:16 offset1:20
	;; [unrolled: 1-line block ×5, first 2 shown]
	ds_store_b32 v14, v18 offset:12288
	s_wait_loadcnt_dscnt 0x0
	s_barrier_signal -1
	s_barrier_wait -1
.LBB772_6:
	v_cmp_gt_u32_e64 s0, s27, v0
	v_or_b32_e32 v42, 0x100, v0
	v_or_b32_e32 v41, 0x200, v0
	;; [unrolled: 1-line block ×12, first 2 shown]
	s_wait_alu 0xfffe
	s_and_not1_b32 vcc_lo, exec_lo, s4
	s_cbranch_vccnz .LBB772_8
; %bb.7:
	v_add_nc_u32_e32 v5, s3, v43
	v_cmp_gt_u32_e32 vcc_lo, s27, v42
	s_delay_alu instid0(VALU_DEP_2) | instskip(NEXT) | instid1(VALU_DEP_1)
	v_add_nc_u32_e32 v7, v5, v42
	v_dual_cndmask_b32 v7, 0, v7 :: v_dual_add_nc_u32 v8, v5, v41
	v_cmp_gt_u32_e32 vcc_lo, s27, v41
	s_wait_alu 0xfffd
	s_delay_alu instid0(VALU_DEP_2)
	v_cndmask_b32_e32 v8, 0, v8, vcc_lo
	v_cmp_gt_u32_e32 vcc_lo, s27, v40
	v_add_nc_u32_e32 v17, v5, v32
	v_add_nc_u32_e32 v14, v5, v35
	;; [unrolled: 1-line block ×9, first 2 shown]
	s_wait_alu 0xfffd
	v_cndmask_b32_e32 v9, 0, v9, vcc_lo
	v_cmp_gt_u32_e32 vcc_lo, s27, v39
	v_cndmask_b32_e64 v6, 0, v6, s0
	s_wait_alu 0xfffd
	v_cndmask_b32_e32 v10, 0, v10, vcc_lo
	v_cmp_gt_u32_e32 vcc_lo, s27, v38
	v_add_nc_u32_e32 v12, v5, v37
	v_add_nc_u32_e32 v5, v5, v31
	s_wait_alu 0xfffd
	v_cndmask_b32_e32 v11, 0, v11, vcc_lo
	v_cmp_gt_u32_e32 vcc_lo, s27, v37
	s_wait_alu 0xfffd
	v_cndmask_b32_e32 v12, 0, v12, vcc_lo
	v_cmp_gt_u32_e32 vcc_lo, s27, v36
	;; [unrolled: 3-line block ×7, first 2 shown]
	s_wait_alu 0xfffd
	v_dual_cndmask_b32 v5, 0, v5 :: v_dual_lshlrev_b32 v18, 2, v0
	ds_store_2addr_stride64_b32 v18, v6, v7 offset1:4
	ds_store_2addr_stride64_b32 v18, v8, v9 offset0:8 offset1:12
	ds_store_2addr_stride64_b32 v18, v10, v11 offset0:16 offset1:20
	;; [unrolled: 1-line block ×5, first 2 shown]
	ds_store_b32 v18, v5 offset:12288
	s_wait_loadcnt_dscnt 0x0
	s_barrier_signal -1
	s_barrier_wait -1
.LBB772_8:
	v_mul_u32_u24_e32 v46, 13, v0
	s_wait_loadcnt 0x0
	global_inv scope:SCOPE_SE
	v_cndmask_b32_e64 v44, 0, 1, s1
	s_and_not1_b32 vcc_lo, exec_lo, s1
	v_lshlrev_b32_e32 v5, 2, v46
	ds_load_2addr_b32 v[23:24], v5 offset1:1
	ds_load_2addr_b32 v[21:22], v5 offset0:2 offset1:3
	ds_load_2addr_b32 v[19:20], v5 offset0:4 offset1:5
	;; [unrolled: 1-line block ×5, first 2 shown]
	ds_load_b32 v45, v5 offset:48
	s_wait_loadcnt_dscnt 0x0
	s_barrier_signal -1
	s_barrier_wait -1
	global_inv scope:SCOPE_SE
	s_wait_alu 0xfffe
	s_cbranch_vccnz .LBB772_36
; %bb.9:
	v_add_nc_u32_e32 v5, s17, v23
	v_add_nc_u32_e32 v6, s19, v23
	s_mov_b32 s41, 0
	s_mov_b32 s40, 0
	s_mov_b32 s1, exec_lo
	v_mul_lo_u32 v5, v5, s16
	v_mul_lo_u32 v6, v6, s18
	s_delay_alu instid0(VALU_DEP_1) | instskip(NEXT) | instid1(VALU_DEP_1)
	v_sub_nc_u32_e32 v5, v5, v6
	v_cmp_lt_u32_e32 vcc_lo, s20, v5
	v_cmpx_ge_u32_e64 s20, v5
	s_cbranch_execz .LBB772_11
; %bb.10:
	v_add_nc_u32_e32 v5, s22, v23
	v_add_nc_u32_e32 v6, s38, v23
	s_delay_alu instid0(VALU_DEP_2) | instskip(NEXT) | instid1(VALU_DEP_2)
	v_mul_lo_u32 v5, v5, s21
	v_mul_lo_u32 v6, v6, s23
	s_delay_alu instid0(VALU_DEP_1) | instskip(NEXT) | instid1(VALU_DEP_1)
	v_sub_nc_u32_e32 v5, v5, v6
	v_cmp_lt_u32_e64 s0, s39, v5
	s_and_b32 s40, s0, exec_lo
.LBB772_11:
	s_wait_alu 0xfffe
	s_or_b32 exec_lo, exec_lo, s1
	v_add_nc_u32_e32 v5, s17, v24
	v_add_nc_u32_e32 v6, s19, v24
	s_mov_b32 s3, exec_lo
	s_delay_alu instid0(VALU_DEP_2) | instskip(NEXT) | instid1(VALU_DEP_2)
	v_mul_lo_u32 v5, v5, s16
	v_mul_lo_u32 v6, v6, s18
	s_delay_alu instid0(VALU_DEP_1) | instskip(NEXT) | instid1(VALU_DEP_1)
	v_sub_nc_u32_e32 v5, v5, v6
	v_cmp_lt_u32_e64 s0, s20, v5
	v_cmpx_ge_u32_e64 s20, v5
	s_cbranch_execz .LBB772_13
; %bb.12:
	v_add_nc_u32_e32 v5, s22, v24
	v_add_nc_u32_e32 v6, s38, v24
	s_delay_alu instid0(VALU_DEP_2) | instskip(NEXT) | instid1(VALU_DEP_2)
	v_mul_lo_u32 v5, v5, s21
	v_mul_lo_u32 v6, v6, s23
	s_delay_alu instid0(VALU_DEP_1) | instskip(NEXT) | instid1(VALU_DEP_1)
	v_sub_nc_u32_e32 v5, v5, v6
	v_cmp_lt_u32_e64 s1, s39, v5
	s_and_b32 s41, s1, exec_lo
.LBB772_13:
	s_wait_alu 0xfffe
	s_or_b32 exec_lo, exec_lo, s3
	v_add_nc_u32_e32 v5, s17, v21
	v_add_nc_u32_e32 v6, s19, v21
	s_mov_b32 s43, 0
	s_mov_b32 s42, 0
	s_mov_b32 s4, exec_lo
	v_mul_lo_u32 v5, v5, s16
	v_mul_lo_u32 v6, v6, s18
	s_delay_alu instid0(VALU_DEP_1) | instskip(NEXT) | instid1(VALU_DEP_1)
	v_sub_nc_u32_e32 v5, v5, v6
	v_cmp_lt_u32_e64 s1, s20, v5
	v_cmpx_ge_u32_e64 s20, v5
	s_cbranch_execz .LBB772_15
; %bb.14:
	v_add_nc_u32_e32 v5, s22, v21
	v_add_nc_u32_e32 v6, s38, v21
	s_delay_alu instid0(VALU_DEP_2) | instskip(NEXT) | instid1(VALU_DEP_2)
	v_mul_lo_u32 v5, v5, s21
	v_mul_lo_u32 v6, v6, s23
	s_delay_alu instid0(VALU_DEP_1) | instskip(NEXT) | instid1(VALU_DEP_1)
	v_sub_nc_u32_e32 v5, v5, v6
	v_cmp_lt_u32_e64 s3, s39, v5
	s_and_b32 s42, s3, exec_lo
.LBB772_15:
	s_wait_alu 0xfffe
	s_or_b32 exec_lo, exec_lo, s4
	v_add_nc_u32_e32 v5, s17, v22
	v_add_nc_u32_e32 v6, s19, v22
	s_mov_b32 s5, exec_lo
	s_delay_alu instid0(VALU_DEP_2) | instskip(NEXT) | instid1(VALU_DEP_2)
	v_mul_lo_u32 v5, v5, s16
	v_mul_lo_u32 v6, v6, s18
	s_delay_alu instid0(VALU_DEP_1) | instskip(NEXT) | instid1(VALU_DEP_1)
	v_sub_nc_u32_e32 v5, v5, v6
	v_cmp_lt_u32_e64 s3, s20, v5
	v_cmpx_ge_u32_e64 s20, v5
	s_cbranch_execz .LBB772_17
; %bb.16:
	v_add_nc_u32_e32 v5, s22, v22
	v_add_nc_u32_e32 v6, s38, v22
	s_delay_alu instid0(VALU_DEP_2) | instskip(NEXT) | instid1(VALU_DEP_2)
	v_mul_lo_u32 v5, v5, s21
	v_mul_lo_u32 v6, v6, s23
	s_delay_alu instid0(VALU_DEP_1) | instskip(NEXT) | instid1(VALU_DEP_1)
	v_sub_nc_u32_e32 v5, v5, v6
	v_cmp_lt_u32_e64 s4, s39, v5
	s_and_b32 s43, s4, exec_lo
.LBB772_17:
	s_wait_alu 0xfffe
	s_or_b32 exec_lo, exec_lo, s5
	v_add_nc_u32_e32 v5, s17, v19
	v_add_nc_u32_e32 v6, s19, v19
	s_mov_b32 s45, 0
	s_mov_b32 s44, 0
	s_mov_b32 s6, exec_lo
	v_mul_lo_u32 v5, v5, s16
	v_mul_lo_u32 v6, v6, s18
	s_delay_alu instid0(VALU_DEP_1) | instskip(NEXT) | instid1(VALU_DEP_1)
	v_sub_nc_u32_e32 v5, v5, v6
	v_cmp_lt_u32_e64 s4, s20, v5
	;; [unrolled: 49-line block ×3, first 2 shown]
	v_cmpx_ge_u32_e64 s20, v5
	s_cbranch_execz .LBB772_23
; %bb.22:
	v_add_nc_u32_e32 v5, s22, v17
	v_add_nc_u32_e32 v6, s38, v17
	s_delay_alu instid0(VALU_DEP_2) | instskip(NEXT) | instid1(VALU_DEP_2)
	v_mul_lo_u32 v5, v5, s21
	v_mul_lo_u32 v6, v6, s23
	s_delay_alu instid0(VALU_DEP_1) | instskip(NEXT) | instid1(VALU_DEP_1)
	v_sub_nc_u32_e32 v5, v5, v6
	v_cmp_lt_u32_e64 s7, s39, v5
	s_and_b32 s46, s7, exec_lo
.LBB772_23:
	s_or_b32 exec_lo, exec_lo, s8
	v_add_nc_u32_e32 v5, s17, v18
	v_add_nc_u32_e32 v6, s19, v18
	s_mov_b32 s9, exec_lo
	s_delay_alu instid0(VALU_DEP_2) | instskip(NEXT) | instid1(VALU_DEP_2)
	v_mul_lo_u32 v5, v5, s16
	v_mul_lo_u32 v6, v6, s18
	s_delay_alu instid0(VALU_DEP_1) | instskip(NEXT) | instid1(VALU_DEP_1)
	v_sub_nc_u32_e32 v5, v5, v6
	v_cmp_lt_u32_e64 s7, s20, v5
	v_cmpx_ge_u32_e64 s20, v5
	s_cbranch_execz .LBB772_25
; %bb.24:
	v_add_nc_u32_e32 v5, s22, v18
	v_add_nc_u32_e32 v6, s38, v18
	s_delay_alu instid0(VALU_DEP_2) | instskip(NEXT) | instid1(VALU_DEP_2)
	v_mul_lo_u32 v5, v5, s21
	v_mul_lo_u32 v6, v6, s23
	s_delay_alu instid0(VALU_DEP_1) | instskip(NEXT) | instid1(VALU_DEP_1)
	v_sub_nc_u32_e32 v5, v5, v6
	v_cmp_lt_u32_e64 s8, s39, v5
	s_and_b32 s47, s8, exec_lo
.LBB772_25:
	s_or_b32 exec_lo, exec_lo, s9
	v_add_nc_u32_e32 v5, s17, v15
	v_add_nc_u32_e32 v6, s19, v15
	s_mov_b32 s50, 0
	s_mov_b32 s49, 0
	s_mov_b32 s10, exec_lo
	v_mul_lo_u32 v5, v5, s16
	v_mul_lo_u32 v6, v6, s18
	s_delay_alu instid0(VALU_DEP_1) | instskip(NEXT) | instid1(VALU_DEP_1)
	v_sub_nc_u32_e32 v5, v5, v6
	v_cmp_lt_u32_e64 s8, s20, v5
	v_cmpx_ge_u32_e64 s20, v5
	s_cbranch_execz .LBB772_27
; %bb.26:
	v_add_nc_u32_e32 v5, s22, v15
	v_add_nc_u32_e32 v6, s38, v15
	s_delay_alu instid0(VALU_DEP_2) | instskip(NEXT) | instid1(VALU_DEP_2)
	v_mul_lo_u32 v5, v5, s21
	v_mul_lo_u32 v6, v6, s23
	s_delay_alu instid0(VALU_DEP_1) | instskip(NEXT) | instid1(VALU_DEP_1)
	v_sub_nc_u32_e32 v5, v5, v6
	v_cmp_lt_u32_e64 s9, s39, v5
	s_and_b32 s49, s9, exec_lo
.LBB772_27:
	s_or_b32 exec_lo, exec_lo, s10
	v_add_nc_u32_e32 v5, s17, v16
	v_add_nc_u32_e32 v6, s19, v16
	s_mov_b32 s11, exec_lo
	s_delay_alu instid0(VALU_DEP_2) | instskip(NEXT) | instid1(VALU_DEP_2)
	v_mul_lo_u32 v5, v5, s16
	v_mul_lo_u32 v6, v6, s18
	s_delay_alu instid0(VALU_DEP_1) | instskip(NEXT) | instid1(VALU_DEP_1)
	v_sub_nc_u32_e32 v5, v5, v6
	v_cmp_lt_u32_e64 s9, s20, v5
	v_cmpx_ge_u32_e64 s20, v5
	s_cbranch_execz .LBB772_29
; %bb.28:
	v_add_nc_u32_e32 v5, s22, v16
	v_add_nc_u32_e32 v6, s38, v16
	s_delay_alu instid0(VALU_DEP_2) | instskip(NEXT) | instid1(VALU_DEP_2)
	v_mul_lo_u32 v5, v5, s21
	v_mul_lo_u32 v6, v6, s23
	s_delay_alu instid0(VALU_DEP_1) | instskip(NEXT) | instid1(VALU_DEP_1)
	v_sub_nc_u32_e32 v5, v5, v6
	v_cmp_lt_u32_e64 s10, s39, v5
	s_and_b32 s50, s10, exec_lo
.LBB772_29:
	s_or_b32 exec_lo, exec_lo, s11
	v_add_nc_u32_e32 v5, s17, v13
	v_add_nc_u32_e32 v6, s19, v13
	s_mov_b32 s51, 0
	s_mov_b32 s52, 0
	s_mov_b32 s12, exec_lo
	v_mul_lo_u32 v5, v5, s16
	v_mul_lo_u32 v6, v6, s18
	s_delay_alu instid0(VALU_DEP_1) | instskip(NEXT) | instid1(VALU_DEP_1)
	v_sub_nc_u32_e32 v5, v5, v6
	v_cmp_lt_u32_e64 s10, s20, v5
	;; [unrolled: 47-line block ×3, first 2 shown]
	v_cmpx_ge_u32_e64 s20, v5
	s_cbranch_execz .LBB772_35
; %bb.34:
	v_add_nc_u32_e32 v5, s22, v45
	v_add_nc_u32_e32 v6, s38, v45
	s_delay_alu instid0(VALU_DEP_2) | instskip(NEXT) | instid1(VALU_DEP_2)
	v_mul_lo_u32 v5, v5, s21
	v_mul_lo_u32 v6, v6, s23
	s_delay_alu instid0(VALU_DEP_1) | instskip(NEXT) | instid1(VALU_DEP_1)
	v_sub_nc_u32_e32 v5, v5, v6
	v_cmp_lt_u32_e64 s13, s39, v5
	s_and_b32 s53, s13, exec_lo
.LBB772_35:
	s_or_b32 exec_lo, exec_lo, s54
	v_cndmask_b32_e64 v6, 0, 1, s0
	v_cndmask_b32_e64 v8, 0, 1, s3
	s_wait_alu 0xfffd
	v_cndmask_b32_e64 v5, 0, 1, vcc_lo
	v_cndmask_b32_e64 v7, 0, 1, s1
	v_cndmask_b32_e64 v10, 0, 1, s5
	v_lshlrev_b16 v6, 8, v6
	v_lshlrev_b16 v8, 8, v8
	s_wait_alu 0xf1ff
	v_cndmask_b32_e64 v12, 0, 1, s7
	v_cndmask_b32_e64 v26, 0, 1, s9
	;; [unrolled: 1-line block ×3, first 2 shown]
	v_or_b32_e32 v5, v5, v6
	v_or_b32_e32 v6, v7, v8
	v_cndmask_b32_e64 v56, 0, 1, s40
	v_cndmask_b32_e64 v9, 0, 1, s4
	;; [unrolled: 1-line block ×3, first 2 shown]
	v_and_b32_e32 v5, 0xffff, v5
	v_lshlrev_b32_e32 v6, 16, v6
	v_cndmask_b32_e64 v25, 0, 1, s8
	v_cndmask_b32_e64 v27, 0, 1, s10
	;; [unrolled: 1-line block ×8, first 2 shown]
	v_or_b32_e32 v47, v5, v6
	v_lshlrev_b16 v5, 8, v10
	v_lshlrev_b16 v6, 8, v12
	;; [unrolled: 1-line block ×5, first 2 shown]
	v_cndmask_b32_e64 v30, 0, 1, s50
	v_cndmask_b32_e64 v49, 0, 1, s47
	;; [unrolled: 1-line block ×5, first 2 shown]
	v_or_b32_e32 v5, v9, v5
	v_or_b32_e32 v6, v11, v6
	;; [unrolled: 1-line block ×5, first 2 shown]
	v_lshlrev_b16 v8, 8, v8
	v_lshlrev_b16 v12, 8, v54
	;; [unrolled: 1-line block ×5, first 2 shown]
	v_or_b32_e32 v8, v55, v8
	v_or_b32_e32 v7, v7, v12
	;; [unrolled: 1-line block ×5, first 2 shown]
	v_and_b32_e32 v5, 0xffff, v5
	v_lshlrev_b32_e32 v6, 16, v6
	v_and_b32_e32 v9, 0xffff, v9
	v_lshlrev_b32_e32 v10, 16, v10
	;; [unrolled: 2-line block ×5, first 2 shown]
	v_cndmask_b32_e64 v50, 0, 1, s51
	v_cndmask_b32_e64 v53, 0, 1, s53
	v_or_b32_e32 v49, v5, v6
	v_or_b32_e32 v52, v9, v10
	;; [unrolled: 1-line block ×5, first 2 shown]
	s_and_b32 vcc_lo, exec_lo, s48
	s_wait_alu 0xfffe
	s_cbranch_vccnz .LBB772_37
	s_branch .LBB772_114
.LBB772_36:
                                        ; implicit-def: $vgpr53
                                        ; implicit-def: $vgpr50
                                        ; implicit-def: $vgpr51
                                        ; implicit-def: $vgpr48
                                        ; implicit-def: $vgpr54
                                        ; implicit-def: $vgpr52
                                        ; implicit-def: $vgpr49
                                        ; implicit-def: $vgpr47
	s_cbranch_execz .LBB772_114
.LBB772_37:
	v_dual_mov_b32 v6, 0 :: v_dual_mov_b32 v5, 0
	s_mov_b32 s1, exec_lo
	v_cmpx_gt_u32_e64 s27, v46
	s_cbranch_execz .LBB772_41
; %bb.38:
	v_add_nc_u32_e32 v5, s17, v23
	v_add_nc_u32_e32 v6, s19, v23
	s_mov_b32 s4, 0
	s_mov_b32 s3, exec_lo
	s_delay_alu instid0(VALU_DEP_2) | instskip(NEXT) | instid1(VALU_DEP_2)
	v_mul_lo_u32 v5, v5, s16
	v_mul_lo_u32 v6, v6, s18
	s_delay_alu instid0(VALU_DEP_1) | instskip(NEXT) | instid1(VALU_DEP_1)
	v_sub_nc_u32_e32 v5, v5, v6
	v_cmp_lt_u32_e32 vcc_lo, s20, v5
	v_cmpx_ge_u32_e64 s20, v5
	s_cbranch_execz .LBB772_40
; %bb.39:
	v_add_nc_u32_e32 v5, s22, v23
	v_add_nc_u32_e32 v6, s38, v23
	s_delay_alu instid0(VALU_DEP_2) | instskip(NEXT) | instid1(VALU_DEP_2)
	v_mul_lo_u32 v5, v5, s21
	v_mul_lo_u32 v6, v6, s23
	s_delay_alu instid0(VALU_DEP_1) | instskip(NEXT) | instid1(VALU_DEP_1)
	v_sub_nc_u32_e32 v5, v5, v6
	v_cmp_lt_u32_e64 s0, s39, v5
	s_and_b32 s4, s0, exec_lo
.LBB772_40:
	s_wait_alu 0xfffe
	s_or_b32 exec_lo, exec_lo, s3
	v_cndmask_b32_e64 v6, 0, 1, s4
	s_wait_alu 0xfffd
	v_cndmask_b32_e64 v5, 0, 1, vcc_lo
.LBB772_41:
	s_wait_alu 0xfffe
	s_or_b32 exec_lo, exec_lo, s1
	v_lshlrev_b16 v6, 8, v6
	v_add_nc_u32_e32 v7, 1, v46
	v_and_b32_e32 v10, 0xff, v5
	v_lshlrev_b16 v5, 8, 0
                                        ; implicit-def: $vgpr9
                                        ; implicit-def: $vgpr12
                                        ; implicit-def: $vgpr8
	s_delay_alu instid0(VALU_DEP_4) | instskip(NEXT) | instid1(VALU_DEP_4)
	v_and_b32_e32 v6, 0xffff, v6
	v_cmp_le_u32_e32 vcc_lo, s27, v7
                                        ; implicit-def: $vgpr7
	s_delay_alu instid0(VALU_DEP_2)
	v_lshrrev_b32_e32 v25, 8, v6
	v_and_b32_e32 v11, 0xff, v6
                                        ; implicit-def: $vgpr6
	s_and_saveexec_b32 s0, vcc_lo
	s_wait_alu 0xfffe
	s_xor_b32 s0, exec_lo, s0
	s_cbranch_execz .LBB772_43
; %bb.42:
	v_lshlrev_b16 v6, 8, v25
	v_and_b32_e32 v8, 0xffff, v5
                                        ; implicit-def: $vgpr25
	v_mov_b32_e32 v9, 0
	s_delay_alu instid0(VALU_DEP_3) | instskip(SKIP_1) | instid1(VALU_DEP_2)
	v_or_b32_e32 v7, v11, v6
	v_mov_b32_e32 v6, 0
                                        ; implicit-def: $vgpr11
	v_and_b32_e32 v12, 0xffff, v7
	v_and_b32_e32 v7, 0xffff, v5
                                        ; implicit-def: $vgpr5
.LBB772_43:
	s_wait_alu 0xfffe
	s_and_not1_saveexec_b32 s1, s0
	s_cbranch_execz .LBB772_47
; %bb.44:
	v_add_nc_u32_e32 v6, s17, v24
	v_add_nc_u32_e32 v7, s19, v24
	s_mov_b32 s3, 0
	s_mov_b32 s4, exec_lo
	s_delay_alu instid0(VALU_DEP_2) | instskip(NEXT) | instid1(VALU_DEP_2)
	v_mul_lo_u32 v6, v6, s16
	v_mul_lo_u32 v7, v7, s18
	s_delay_alu instid0(VALU_DEP_1) | instskip(NEXT) | instid1(VALU_DEP_1)
	v_sub_nc_u32_e32 v6, v6, v7
	v_cmp_lt_u32_e32 vcc_lo, s20, v6
	v_cmpx_ge_u32_e64 s20, v6
	s_cbranch_execz .LBB772_46
; %bb.45:
	v_add_nc_u32_e32 v6, s22, v24
	v_add_nc_u32_e32 v7, s38, v24
	s_delay_alu instid0(VALU_DEP_2) | instskip(NEXT) | instid1(VALU_DEP_2)
	v_mul_lo_u32 v6, v6, s21
	v_mul_lo_u32 v7, v7, s23
	s_delay_alu instid0(VALU_DEP_1) | instskip(NEXT) | instid1(VALU_DEP_1)
	v_sub_nc_u32_e32 v6, v6, v7
	v_cmp_lt_u32_e64 s0, s39, v6
	s_and_b32 s3, s0, exec_lo
.LBB772_46:
	s_wait_alu 0xfffe
	s_or_b32 exec_lo, exec_lo, s4
	s_wait_alu 0xfffd
	v_cndmask_b32_e64 v6, 0, 1, vcc_lo
	v_lshlrev_b16 v7, 8, v25
	v_dual_mov_b32 v9, 0 :: v_dual_and_b32 v8, 0xffff, v5
	s_delay_alu instid0(VALU_DEP_3) | instskip(NEXT) | instid1(VALU_DEP_3)
	v_lshlrev_b16 v6, 8, v6
	v_or_b32_e32 v7, v11, v7
	v_cndmask_b32_e64 v11, 0, 1, s3
	s_delay_alu instid0(VALU_DEP_3) | instskip(NEXT) | instid1(VALU_DEP_3)
	v_or_b32_e32 v10, v10, v6
	v_dual_mov_b32 v6, 0 :: v_dual_and_b32 v7, 0xffff, v7
	s_delay_alu instid0(VALU_DEP_2) | instskip(NEXT) | instid1(VALU_DEP_2)
	v_and_b32_e32 v10, 0xffff, v10
	v_lshl_or_b32 v12, v11, 16, v7
	v_and_b32_e32 v7, 0xffff, v5
.LBB772_47:
	s_wait_alu 0xfffe
	s_or_b32 exec_lo, exec_lo, s1
	v_add_nc_u32_e32 v5, 2, v46
	v_and_b32_e32 v25, 0xff, v10
	v_lshrrev_b32_e32 v26, 8, v10
                                        ; implicit-def: $vgpr11
	s_delay_alu instid0(VALU_DEP_3)
	v_cmp_le_u32_e32 vcc_lo, s27, v5
                                        ; implicit-def: $vgpr5
	s_and_saveexec_b32 s0, vcc_lo
	s_wait_alu 0xfffe
	s_xor_b32 s0, exec_lo, s0
	s_cbranch_execz .LBB772_49
; %bb.48:
	v_lshlrev_b16 v5, 8, v26
	v_perm_b32 v8, v8, v8, 0x3060504
                                        ; implicit-def: $vgpr26
	s_delay_alu instid0(VALU_DEP_2) | instskip(SKIP_1) | instid1(VALU_DEP_2)
	v_or_b32_e32 v5, v25, v5
	v_and_b32_e32 v25, 0xff0000, v12
	v_and_b32_e32 v5, 0xffff, v5
	s_delay_alu instid0(VALU_DEP_1) | instskip(NEXT) | instid1(VALU_DEP_3)
	v_and_or_b32 v11, 0xff000000, v10, v5
	v_perm_b32 v5, v12, v25, 0x3020504
                                        ; implicit-def: $vgpr25
                                        ; implicit-def: $vgpr10
                                        ; implicit-def: $vgpr12
.LBB772_49:
	s_wait_alu 0xfffe
	s_and_not1_saveexec_b32 s1, s0
	s_cbranch_execz .LBB772_53
; %bb.50:
	v_add_nc_u32_e32 v5, s17, v21
	v_add_nc_u32_e32 v11, s19, v21
	s_mov_b32 s3, 0
	s_mov_b32 s4, exec_lo
	s_delay_alu instid0(VALU_DEP_2) | instskip(NEXT) | instid1(VALU_DEP_2)
	v_mul_lo_u32 v5, v5, s16
	v_mul_lo_u32 v11, v11, s18
	s_delay_alu instid0(VALU_DEP_1) | instskip(NEXT) | instid1(VALU_DEP_1)
	v_sub_nc_u32_e32 v5, v5, v11
	v_cmp_lt_u32_e32 vcc_lo, s20, v5
	v_cmpx_ge_u32_e64 s20, v5
	s_cbranch_execz .LBB772_52
; %bb.51:
	v_add_nc_u32_e32 v5, s22, v21
	v_add_nc_u32_e32 v11, s38, v21
	s_delay_alu instid0(VALU_DEP_2) | instskip(NEXT) | instid1(VALU_DEP_2)
	v_mul_lo_u32 v5, v5, s21
	v_mul_lo_u32 v11, v11, s23
	s_delay_alu instid0(VALU_DEP_1) | instskip(NEXT) | instid1(VALU_DEP_1)
	v_sub_nc_u32_e32 v5, v5, v11
	v_cmp_lt_u32_e64 s0, s39, v5
	s_and_b32 s3, s0, exec_lo
.LBB772_52:
	s_wait_alu 0xfffe
	s_or_b32 exec_lo, exec_lo, s4
	v_lshrrev_b32_e32 v10, 24, v10
	v_cndmask_b32_e64 v11, 0, 1, s3
	v_lshrrev_b32_e32 v27, 8, v12
	v_lshrrev_b32_e32 v28, 16, v12
	s_wait_alu 0xfffd
	v_cndmask_b32_e64 v5, 0, 1, vcc_lo
	v_lshlrev_b16 v26, 8, v26
	v_lshlrev_b16 v10, 8, v10
	v_and_b32_e32 v12, 0xff, v12
	v_lshlrev_b16 v27, 8, v27
	v_lshlrev_b16 v11, 8, v11
	v_and_b32_e32 v28, 0xff, v28
	v_or_b32_e32 v25, v25, v26
	v_or_b32_e32 v5, v5, v10
	;; [unrolled: 1-line block ×3, first 2 shown]
	s_delay_alu instid0(VALU_DEP_4) | instskip(NEXT) | instid1(VALU_DEP_4)
	v_or_b32_e32 v11, v28, v11
	v_and_b32_e32 v12, 0xffff, v25
	s_delay_alu instid0(VALU_DEP_4) | instskip(NEXT) | instid1(VALU_DEP_4)
	v_lshlrev_b32_e32 v5, 16, v5
	v_and_b32_e32 v10, 0xffff, v10
	s_delay_alu instid0(VALU_DEP_4) | instskip(NEXT) | instid1(VALU_DEP_3)
	v_lshlrev_b32_e32 v25, 16, v11
	v_or_b32_e32 v11, v12, v5
	s_delay_alu instid0(VALU_DEP_2)
	v_or_b32_e32 v5, v10, v25
.LBB772_53:
	s_wait_alu 0xfffe
	s_or_b32 exec_lo, exec_lo, s1
	v_add_nc_u32_e32 v10, 3, v46
	v_lshrrev_b32_e32 v12, 24, v9
	v_lshrrev_b32_e32 v25, 16, v9
	;; [unrolled: 1-line block ×3, first 2 shown]
                                        ; implicit-def: $vgpr47
	s_delay_alu instid0(VALU_DEP_4)
	v_cmp_le_u32_e32 vcc_lo, s27, v10
                                        ; implicit-def: $vgpr10
	s_and_saveexec_b32 s0, vcc_lo
	s_wait_alu 0xfffe
	s_xor_b32 s0, exec_lo, s0
	s_cbranch_execz .LBB772_55
; %bb.54:
	v_lshlrev_b16 v10, 8, v12
	v_and_b32_e32 v12, 0xff, v25
	v_lshlrev_b16 v9, 8, v9
	v_perm_b32 v8, v8, v8, 0x3060504
	v_perm_b32 v7, v7, v7, 0x3060504
                                        ; implicit-def: $vgpr25
	s_delay_alu instid0(VALU_DEP_4) | instskip(SKIP_2) | instid1(VALU_DEP_3)
	v_or_b32_e32 v10, v12, v10
	v_and_b32_e32 v12, 0xff0000, v11
	v_and_b32_e32 v9, 0xffff, v9
	v_lshlrev_b32_e32 v10, 16, v10
	s_delay_alu instid0(VALU_DEP_3) | instskip(NEXT) | instid1(VALU_DEP_2)
	v_perm_b32 v47, v11, v12, 0x3020504
                                        ; implicit-def: $vgpr11
                                        ; implicit-def: $vgpr12
	v_or_b32_e32 v10, v9, v10
                                        ; implicit-def: $vgpr9
.LBB772_55:
	s_wait_alu 0xfffe
	s_and_not1_saveexec_b32 s1, s0
	s_cbranch_execz .LBB772_59
; %bb.56:
	v_add_nc_u32_e32 v10, s17, v22
	v_add_nc_u32_e32 v26, s19, v22
	s_mov_b32 s3, 0
	s_mov_b32 s4, exec_lo
	s_delay_alu instid0(VALU_DEP_2) | instskip(NEXT) | instid1(VALU_DEP_2)
	v_mul_lo_u32 v10, v10, s16
	v_mul_lo_u32 v26, v26, s18
	s_delay_alu instid0(VALU_DEP_1) | instskip(NEXT) | instid1(VALU_DEP_1)
	v_sub_nc_u32_e32 v10, v10, v26
	v_cmp_lt_u32_e32 vcc_lo, s20, v10
	v_cmpx_ge_u32_e64 s20, v10
	s_cbranch_execz .LBB772_58
; %bb.57:
	v_add_nc_u32_e32 v10, s22, v22
	v_add_nc_u32_e32 v26, s38, v22
	s_delay_alu instid0(VALU_DEP_2) | instskip(NEXT) | instid1(VALU_DEP_2)
	v_mul_lo_u32 v10, v10, s21
	v_mul_lo_u32 v26, v26, s23
	s_delay_alu instid0(VALU_DEP_1) | instskip(NEXT) | instid1(VALU_DEP_1)
	v_sub_nc_u32_e32 v10, v10, v26
	v_cmp_lt_u32_e64 s0, s39, v10
	s_and_b32 s3, s0, exec_lo
.LBB772_58:
	s_wait_alu 0xfffe
	s_or_b32 exec_lo, exec_lo, s4
	v_lshrrev_b32_e32 v10, 8, v11
	s_wait_alu 0xfffd
	v_cndmask_b32_e64 v26, 0, 1, vcc_lo
	v_lshrrev_b32_e32 v27, 16, v11
	v_cndmask_b32_e64 v28, 0, 1, s3
	v_and_b32_e32 v11, 0xff, v11
	v_lshlrev_b16 v10, 8, v10
	v_lshlrev_b16 v26, 8, v26
	v_and_b32_e32 v27, 0xff, v27
	v_lshlrev_b16 v12, 8, v12
	v_and_b32_e32 v25, 0xff, v25
	v_lshlrev_b16 v9, 8, v9
	v_or_b32_e32 v10, v11, v10
	v_or_b32_e32 v11, v27, v26
	s_delay_alu instid0(VALU_DEP_4) | instskip(NEXT) | instid1(VALU_DEP_4)
	v_or_b32_e32 v12, v25, v12
	v_or_b32_e32 v9, v28, v9
	s_delay_alu instid0(VALU_DEP_4) | instskip(NEXT) | instid1(VALU_DEP_4)
	v_and_b32_e32 v10, 0xffff, v10
	v_lshlrev_b32_e32 v11, 16, v11
	s_delay_alu instid0(VALU_DEP_4) | instskip(NEXT) | instid1(VALU_DEP_4)
	v_lshlrev_b32_e32 v12, 16, v12
	v_and_b32_e32 v9, 0xffff, v9
	s_delay_alu instid0(VALU_DEP_3) | instskip(NEXT) | instid1(VALU_DEP_2)
	v_or_b32_e32 v47, v10, v11
	v_or_b32_e32 v10, v9, v12
.LBB772_59:
	s_wait_alu 0xfffe
	s_or_b32 exec_lo, exec_lo, s1
	v_add_nc_u32_e32 v9, 4, v46
	v_lshrrev_b32_e32 v25, 8, v8
	v_lshrrev_b32_e32 v26, 16, v8
	;; [unrolled: 1-line block ×4, first 2 shown]
	v_cmp_le_u32_e32 vcc_lo, s27, v9
	v_lshrrev_b32_e32 v12, 16, v10
                                        ; implicit-def: $vgpr8
                                        ; implicit-def: $vgpr9
	s_and_saveexec_b32 s0, vcc_lo
	s_wait_alu 0xfffe
	s_xor_b32 s0, exec_lo, s0
	s_cbranch_execz .LBB772_61
; %bb.60:
	v_lshlrev_b16 v8, 8, v27
	v_and_b32_e32 v9, 0xff, v26
	v_lshlrev_b16 v25, 8, v25
	v_lshlrev_b16 v11, 8, v11
	v_and_b32_e32 v12, 0xff, v12
	v_perm_b32 v7, v7, v7, 0x3060504
	v_or_b32_e32 v8, v9, v8
	v_and_b32_e32 v9, 0xffff, v25
                                        ; implicit-def: $vgpr25
                                        ; implicit-def: $vgpr26
                                        ; implicit-def: $vgpr27
	s_delay_alu instid0(VALU_DEP_4) | instskip(NEXT) | instid1(VALU_DEP_3)
	v_or_b32_e32 v11, v12, v11
	v_lshlrev_b32_e32 v12, 16, v8
	s_delay_alu instid0(VALU_DEP_2) | instskip(NEXT) | instid1(VALU_DEP_2)
	v_perm_b32 v8, v11, v10, 0x5040c00
                                        ; implicit-def: $vgpr10
                                        ; implicit-def: $vgpr11
	v_or_b32_e32 v9, v9, v12
                                        ; implicit-def: $vgpr12
.LBB772_61:
	s_wait_alu 0xfffe
	s_and_not1_saveexec_b32 s1, s0
	s_cbranch_execz .LBB772_65
; %bb.62:
	v_add_nc_u32_e32 v8, s17, v19
	v_add_nc_u32_e32 v9, s19, v19
	s_mov_b32 s3, 0
	s_mov_b32 s4, exec_lo
	s_delay_alu instid0(VALU_DEP_2) | instskip(NEXT) | instid1(VALU_DEP_2)
	v_mul_lo_u32 v8, v8, s16
	v_mul_lo_u32 v9, v9, s18
	s_delay_alu instid0(VALU_DEP_1) | instskip(NEXT) | instid1(VALU_DEP_1)
	v_sub_nc_u32_e32 v8, v8, v9
	v_cmp_lt_u32_e32 vcc_lo, s20, v8
	v_cmpx_ge_u32_e64 s20, v8
	s_cbranch_execz .LBB772_64
; %bb.63:
	v_add_nc_u32_e32 v8, s22, v19
	v_add_nc_u32_e32 v9, s38, v19
	s_delay_alu instid0(VALU_DEP_2) | instskip(NEXT) | instid1(VALU_DEP_2)
	v_mul_lo_u32 v8, v8, s21
	v_mul_lo_u32 v9, v9, s23
	s_delay_alu instid0(VALU_DEP_1) | instskip(NEXT) | instid1(VALU_DEP_1)
	v_sub_nc_u32_e32 v8, v8, v9
	v_cmp_lt_u32_e64 s0, s39, v8
	s_and_b32 s3, s0, exec_lo
.LBB772_64:
	s_wait_alu 0xfffe
	s_or_b32 exec_lo, exec_lo, s4
	v_cndmask_b32_e64 v8, 0, 1, s3
	s_wait_alu 0xfffd
	v_cndmask_b32_e64 v9, 0, 1, vcc_lo
	v_lshlrev_b16 v27, 8, v27
	v_and_b32_e32 v26, 0xff, v26
	v_lshlrev_b16 v25, 8, v25
	v_lshlrev_b16 v8, 8, v8
	v_and_b32_e32 v10, 0xff, v10
	v_lshlrev_b16 v11, 8, v11
	v_and_b32_e32 v12, 0xff, v12
	v_or_b32_e32 v26, v26, v27
	v_or_b32_e32 v9, v9, v25
	;; [unrolled: 1-line block ×3, first 2 shown]
	s_delay_alu instid0(VALU_DEP_4) | instskip(NEXT) | instid1(VALU_DEP_4)
	v_or_b32_e32 v10, v12, v11
	v_lshlrev_b32_e32 v11, 16, v26
	s_delay_alu instid0(VALU_DEP_4) | instskip(NEXT) | instid1(VALU_DEP_4)
	v_and_b32_e32 v9, 0xffff, v9
	v_and_b32_e32 v8, 0xffff, v8
	s_delay_alu instid0(VALU_DEP_4) | instskip(NEXT) | instid1(VALU_DEP_3)
	v_lshlrev_b32_e32 v10, 16, v10
	v_or_b32_e32 v9, v9, v11
	s_delay_alu instid0(VALU_DEP_2)
	v_or_b32_e32 v8, v8, v10
.LBB772_65:
	s_wait_alu 0xfffe
	s_or_b32 exec_lo, exec_lo, s1
	v_add_nc_u32_e32 v10, 5, v46
	v_lshrrev_b32_e32 v25, 16, v9
	v_lshrrev_b32_e32 v27, 24, v9
	v_and_b32_e32 v12, 0xff, v8
	v_lshrrev_b32_e32 v26, 8, v8
	v_cmp_le_u32_e32 vcc_lo, s27, v10
                                        ; implicit-def: $vgpr10
                                        ; implicit-def: $vgpr11
	s_and_saveexec_b32 s0, vcc_lo
	s_wait_alu 0xfffe
	s_xor_b32 s0, exec_lo, s0
	s_cbranch_execz .LBB772_67
; %bb.66:
	v_lshlrev_b16 v10, 8, v26
	v_lshlrev_b16 v11, 8, v27
	v_and_b32_e32 v25, 0xff, v25
	v_perm_b32 v7, v7, v7, 0x3060504
                                        ; implicit-def: $vgpr27
                                        ; implicit-def: $vgpr26
	s_delay_alu instid0(VALU_DEP_4) | instskip(NEXT) | instid1(VALU_DEP_3)
	v_or_b32_e32 v10, v12, v10
                                        ; implicit-def: $vgpr12
	v_or_b32_e32 v11, v25, v11
                                        ; implicit-def: $vgpr25
	s_delay_alu instid0(VALU_DEP_2) | instskip(NEXT) | instid1(VALU_DEP_2)
	v_and_b32_e32 v10, 0xffff, v10
	v_perm_b32 v11, v11, v9, 0x5040c00
                                        ; implicit-def: $vgpr9
	s_delay_alu instid0(VALU_DEP_2)
	v_and_or_b32 v10, 0xff000000, v8, v10
                                        ; implicit-def: $vgpr8
.LBB772_67:
	s_wait_alu 0xfffe
	s_and_not1_saveexec_b32 s1, s0
	s_cbranch_execz .LBB772_71
; %bb.68:
	v_add_nc_u32_e32 v10, s17, v20
	v_add_nc_u32_e32 v11, s19, v20
	s_mov_b32 s3, 0
	s_mov_b32 s4, exec_lo
	s_delay_alu instid0(VALU_DEP_2) | instskip(NEXT) | instid1(VALU_DEP_2)
	v_mul_lo_u32 v10, v10, s16
	v_mul_lo_u32 v11, v11, s18
	s_delay_alu instid0(VALU_DEP_1) | instskip(NEXT) | instid1(VALU_DEP_1)
	v_sub_nc_u32_e32 v10, v10, v11
	v_cmp_lt_u32_e32 vcc_lo, s20, v10
	v_cmpx_ge_u32_e64 s20, v10
	s_cbranch_execz .LBB772_70
; %bb.69:
	v_add_nc_u32_e32 v10, s22, v20
	v_add_nc_u32_e32 v11, s38, v20
	s_delay_alu instid0(VALU_DEP_2) | instskip(NEXT) | instid1(VALU_DEP_2)
	v_mul_lo_u32 v10, v10, s21
	v_mul_lo_u32 v11, v11, s23
	s_delay_alu instid0(VALU_DEP_1) | instskip(NEXT) | instid1(VALU_DEP_1)
	v_sub_nc_u32_e32 v10, v10, v11
	v_cmp_lt_u32_e64 s0, s39, v10
	s_and_b32 s3, s0, exec_lo
.LBB772_70:
	s_wait_alu 0xfffe
	s_or_b32 exec_lo, exec_lo, s4
	s_wait_alu 0xfffd
	v_cndmask_b32_e64 v10, 0, 1, vcc_lo
	v_lshrrev_b32_e32 v8, 24, v8
	v_cndmask_b32_e64 v11, 0, 1, s3
	v_lshlrev_b16 v27, 8, v27
	v_and_b32_e32 v25, 0xff, v25
	v_lshlrev_b16 v10, 8, v10
	v_lshlrev_b16 v26, 8, v26
	v_and_b32_e32 v9, 0xff, v9
	v_lshlrev_b16 v8, 8, v8
	v_or_b32_e32 v25, v25, v27
	s_delay_alu instid0(VALU_DEP_4) | instskip(NEXT) | instid1(VALU_DEP_4)
	v_or_b32_e32 v12, v12, v26
	v_or_b32_e32 v9, v9, v10
	s_delay_alu instid0(VALU_DEP_4) | instskip(NEXT) | instid1(VALU_DEP_4)
	v_or_b32_e32 v8, v11, v8
	v_lshlrev_b32_e32 v10, 16, v25
	s_delay_alu instid0(VALU_DEP_4) | instskip(NEXT) | instid1(VALU_DEP_4)
	v_and_b32_e32 v12, 0xffff, v12
	v_and_b32_e32 v9, 0xffff, v9
	s_delay_alu instid0(VALU_DEP_4) | instskip(NEXT) | instid1(VALU_DEP_2)
	v_lshlrev_b32_e32 v8, 16, v8
	v_or_b32_e32 v11, v9, v10
	s_delay_alu instid0(VALU_DEP_2)
	v_or_b32_e32 v10, v12, v8
.LBB772_71:
	s_wait_alu 0xfffe
	s_or_b32 exec_lo, exec_lo, s1
	v_add_nc_u32_e32 v8, 6, v46
	v_lshrrev_b32_e32 v12, 8, v11
                                        ; implicit-def: $vgpr48
                                        ; implicit-def: $vgpr9
	s_delay_alu instid0(VALU_DEP_2)
	v_cmp_le_u32_e32 vcc_lo, s27, v8
	v_and_b32_e32 v8, 0xff, v11
	s_and_saveexec_b32 s0, vcc_lo
	s_wait_alu 0xfffe
	s_xor_b32 s0, exec_lo, s0
	s_cbranch_execz .LBB772_73
; %bb.72:
	v_lshlrev_b16 v9, 8, v12
	v_perm_b32 v7, v7, v7, 0x3060504
                                        ; implicit-def: $vgpr12
	s_delay_alu instid0(VALU_DEP_2) | instskip(SKIP_1) | instid1(VALU_DEP_2)
	v_or_b32_e32 v8, v8, v9
	v_and_b32_e32 v9, 0xff0000, v10
	v_and_b32_e32 v8, 0xffff, v8
	s_delay_alu instid0(VALU_DEP_2) | instskip(NEXT) | instid1(VALU_DEP_2)
	v_perm_b32 v48, v10, v9, 0x3020504
                                        ; implicit-def: $vgpr10
	v_and_or_b32 v9, 0xff000000, v11, v8
                                        ; implicit-def: $vgpr8
                                        ; implicit-def: $vgpr11
.LBB772_73:
	s_wait_alu 0xfffe
	s_and_not1_saveexec_b32 s1, s0
	s_cbranch_execz .LBB772_77
; %bb.74:
	v_add_nc_u32_e32 v9, s17, v17
	v_add_nc_u32_e32 v25, s19, v17
	s_mov_b32 s3, 0
	s_mov_b32 s4, exec_lo
	s_delay_alu instid0(VALU_DEP_2) | instskip(NEXT) | instid1(VALU_DEP_2)
	v_mul_lo_u32 v9, v9, s16
	v_mul_lo_u32 v25, v25, s18
	s_delay_alu instid0(VALU_DEP_1) | instskip(NEXT) | instid1(VALU_DEP_1)
	v_sub_nc_u32_e32 v9, v9, v25
	v_cmp_lt_u32_e32 vcc_lo, s20, v9
	v_cmpx_ge_u32_e64 s20, v9
	s_cbranch_execz .LBB772_76
; %bb.75:
	v_add_nc_u32_e32 v9, s22, v17
	v_add_nc_u32_e32 v25, s38, v17
	s_delay_alu instid0(VALU_DEP_2) | instskip(NEXT) | instid1(VALU_DEP_2)
	v_mul_lo_u32 v9, v9, s21
	v_mul_lo_u32 v25, v25, s23
	s_delay_alu instid0(VALU_DEP_1) | instskip(NEXT) | instid1(VALU_DEP_1)
	v_sub_nc_u32_e32 v9, v9, v25
	v_cmp_lt_u32_e64 s0, s39, v9
	s_and_b32 s3, s0, exec_lo
.LBB772_76:
	s_wait_alu 0xfffe
	s_or_b32 exec_lo, exec_lo, s4
	v_lshrrev_b32_e32 v11, 24, v11
	v_cndmask_b32_e64 v25, 0, 1, s3
	v_lshrrev_b32_e32 v26, 8, v10
	v_lshrrev_b32_e32 v27, 16, v10
	s_wait_alu 0xfffd
	v_cndmask_b32_e64 v9, 0, 1, vcc_lo
	v_lshlrev_b16 v12, 8, v12
	v_lshlrev_b16 v11, 8, v11
	v_and_b32_e32 v10, 0xff, v10
	v_lshlrev_b16 v26, 8, v26
	v_lshlrev_b16 v25, 8, v25
	v_and_b32_e32 v27, 0xff, v27
	v_or_b32_e32 v8, v8, v12
	v_or_b32_e32 v9, v9, v11
	;; [unrolled: 1-line block ×3, first 2 shown]
	s_delay_alu instid0(VALU_DEP_4) | instskip(NEXT) | instid1(VALU_DEP_4)
	v_or_b32_e32 v11, v27, v25
	v_and_b32_e32 v8, 0xffff, v8
	s_delay_alu instid0(VALU_DEP_4) | instskip(NEXT) | instid1(VALU_DEP_4)
	v_lshlrev_b32_e32 v9, 16, v9
	v_and_b32_e32 v10, 0xffff, v10
	s_delay_alu instid0(VALU_DEP_4) | instskip(NEXT) | instid1(VALU_DEP_3)
	v_lshlrev_b32_e32 v11, 16, v11
	v_or_b32_e32 v9, v8, v9
	s_delay_alu instid0(VALU_DEP_2)
	v_or_b32_e32 v48, v10, v11
.LBB772_77:
	s_wait_alu 0xfffe
	s_or_b32 exec_lo, exec_lo, s1
	v_add_nc_u32_e32 v8, 7, v46
	v_lshrrev_b32_e32 v10, 8, v7
	v_lshrrev_b32_e32 v11, 16, v7
	v_lshrrev_b32_e32 v7, 24, v7
                                        ; implicit-def: $vgpr49
	s_delay_alu instid0(VALU_DEP_4)
	v_cmp_le_u32_e32 vcc_lo, s27, v8
                                        ; implicit-def: $vgpr8
	s_and_saveexec_b32 s0, vcc_lo
	s_wait_alu 0xfffe
	s_xor_b32 s0, exec_lo, s0
	s_cbranch_execz .LBB772_79
; %bb.78:
	v_lshlrev_b16 v7, 8, v7
	v_and_b32_e32 v8, 0xff, v11
                                        ; implicit-def: $vgpr11
	s_delay_alu instid0(VALU_DEP_1) | instskip(SKIP_2) | instid1(VALU_DEP_3)
	v_or_b32_e32 v7, v8, v7
	v_lshlrev_b16 v8, 8, v10
	v_and_b32_e32 v10, 0xff0000, v9
	v_lshlrev_b32_e32 v7, 16, v7
	s_delay_alu instid0(VALU_DEP_3) | instskip(NEXT) | instid1(VALU_DEP_3)
	v_and_b32_e32 v8, 0xffff, v8
	v_perm_b32 v49, v9, v10, 0x3020504
                                        ; implicit-def: $vgpr9
                                        ; implicit-def: $vgpr10
	s_delay_alu instid0(VALU_DEP_2)
	v_or_b32_e32 v8, v8, v7
                                        ; implicit-def: $vgpr7
.LBB772_79:
	s_wait_alu 0xfffe
	s_and_not1_saveexec_b32 s1, s0
	s_cbranch_execz .LBB772_83
; %bb.80:
	v_add_nc_u32_e32 v8, s17, v18
	v_add_nc_u32_e32 v12, s19, v18
	s_mov_b32 s3, 0
	s_mov_b32 s4, exec_lo
	s_delay_alu instid0(VALU_DEP_2) | instskip(NEXT) | instid1(VALU_DEP_2)
	v_mul_lo_u32 v8, v8, s16
	v_mul_lo_u32 v12, v12, s18
	s_delay_alu instid0(VALU_DEP_1) | instskip(NEXT) | instid1(VALU_DEP_1)
	v_sub_nc_u32_e32 v8, v8, v12
	v_cmp_lt_u32_e32 vcc_lo, s20, v8
	v_cmpx_ge_u32_e64 s20, v8
	s_cbranch_execz .LBB772_82
; %bb.81:
	v_add_nc_u32_e32 v8, s22, v18
	v_add_nc_u32_e32 v12, s38, v18
	s_delay_alu instid0(VALU_DEP_2) | instskip(NEXT) | instid1(VALU_DEP_2)
	v_mul_lo_u32 v8, v8, s21
	v_mul_lo_u32 v12, v12, s23
	s_delay_alu instid0(VALU_DEP_1) | instskip(NEXT) | instid1(VALU_DEP_1)
	v_sub_nc_u32_e32 v8, v8, v12
	v_cmp_lt_u32_e64 s0, s39, v8
	s_and_b32 s3, s0, exec_lo
.LBB772_82:
	s_wait_alu 0xfffe
	s_or_b32 exec_lo, exec_lo, s4
	v_lshrrev_b32_e32 v8, 8, v9
	s_wait_alu 0xfffd
	v_cndmask_b32_e64 v12, 0, 1, vcc_lo
	v_lshrrev_b32_e32 v25, 16, v9
	v_cndmask_b32_e64 v26, 0, 1, s3
	v_and_b32_e32 v9, 0xff, v9
	v_lshlrev_b16 v8, 8, v8
	v_lshlrev_b16 v12, 8, v12
	v_and_b32_e32 v25, 0xff, v25
	v_lshlrev_b16 v7, 8, v7
	v_and_b32_e32 v11, 0xff, v11
	v_lshlrev_b16 v10, 8, v10
	v_or_b32_e32 v8, v9, v8
	v_or_b32_e32 v9, v25, v12
	s_delay_alu instid0(VALU_DEP_4) | instskip(NEXT) | instid1(VALU_DEP_4)
	v_or_b32_e32 v7, v11, v7
	v_or_b32_e32 v10, v26, v10
	s_delay_alu instid0(VALU_DEP_4) | instskip(NEXT) | instid1(VALU_DEP_4)
	v_and_b32_e32 v8, 0xffff, v8
	v_lshlrev_b32_e32 v9, 16, v9
	s_delay_alu instid0(VALU_DEP_4) | instskip(NEXT) | instid1(VALU_DEP_4)
	v_lshlrev_b32_e32 v7, 16, v7
	v_and_b32_e32 v10, 0xffff, v10
	s_delay_alu instid0(VALU_DEP_3) | instskip(NEXT) | instid1(VALU_DEP_2)
	v_or_b32_e32 v49, v8, v9
	v_or_b32_e32 v8, v10, v7
.LBB772_83:
	s_wait_alu 0xfffe
	s_or_b32 exec_lo, exec_lo, s1
	v_add_nc_u32_e32 v7, 8, v46
	s_delay_alu instid0(VALU_DEP_2)
	v_lshrrev_b32_e32 v9, 16, v8
	v_lshrrev_b32_e32 v10, 24, v8
	;; [unrolled: 1-line block ×4, first 2 shown]
	v_cmp_le_u32_e32 vcc_lo, s27, v7
	v_lshrrev_b32_e32 v11, 8, v6
                                        ; implicit-def: $vgpr6
                                        ; implicit-def: $vgpr7
	s_and_saveexec_b32 s0, vcc_lo
	s_wait_alu 0xfffe
	s_xor_b32 s0, exec_lo, s0
	s_cbranch_execz .LBB772_85
; %bb.84:
	v_lshlrev_b16 v6, 8, v12
	v_and_b32_e32 v7, 0xff, v25
	v_lshlrev_b16 v11, 8, v11
	v_lshlrev_b16 v10, 8, v10
	v_perm_b32 v5, v5, v5, 0x3060504
                                        ; implicit-def: $vgpr12
                                        ; implicit-def: $vgpr25
	s_delay_alu instid0(VALU_DEP_4) | instskip(SKIP_2) | instid1(VALU_DEP_3)
	v_or_b32_e32 v6, v7, v6
	v_and_b32_e32 v7, 0xff, v9
	v_and_b32_e32 v9, 0xffff, v11
                                        ; implicit-def: $vgpr11
	v_lshlrev_b32_e32 v6, 16, v6
	s_delay_alu instid0(VALU_DEP_3) | instskip(NEXT) | instid1(VALU_DEP_2)
	v_or_b32_e32 v10, v7, v10
	v_or_b32_e32 v7, v9, v6
	s_delay_alu instid0(VALU_DEP_2)
	v_perm_b32 v6, v10, v8, 0x5040c00
                                        ; implicit-def: $vgpr8
                                        ; implicit-def: $vgpr9
                                        ; implicit-def: $vgpr10
.LBB772_85:
	s_wait_alu 0xfffe
	s_and_not1_saveexec_b32 s1, s0
	s_cbranch_execz .LBB772_89
; %bb.86:
	v_add_nc_u32_e32 v6, s17, v15
	v_add_nc_u32_e32 v7, s19, v15
	s_mov_b32 s3, 0
	s_mov_b32 s4, exec_lo
	s_delay_alu instid0(VALU_DEP_2) | instskip(NEXT) | instid1(VALU_DEP_2)
	v_mul_lo_u32 v6, v6, s16
	v_mul_lo_u32 v7, v7, s18
	s_delay_alu instid0(VALU_DEP_1) | instskip(NEXT) | instid1(VALU_DEP_1)
	v_sub_nc_u32_e32 v6, v6, v7
	v_cmp_lt_u32_e32 vcc_lo, s20, v6
	v_cmpx_ge_u32_e64 s20, v6
	s_cbranch_execz .LBB772_88
; %bb.87:
	v_add_nc_u32_e32 v6, s22, v15
	v_add_nc_u32_e32 v7, s38, v15
	s_delay_alu instid0(VALU_DEP_2) | instskip(NEXT) | instid1(VALU_DEP_2)
	v_mul_lo_u32 v6, v6, s21
	v_mul_lo_u32 v7, v7, s23
	s_delay_alu instid0(VALU_DEP_1) | instskip(NEXT) | instid1(VALU_DEP_1)
	v_sub_nc_u32_e32 v6, v6, v7
	v_cmp_lt_u32_e64 s0, s39, v6
	s_and_b32 s3, s0, exec_lo
.LBB772_88:
	s_wait_alu 0xfffe
	s_or_b32 exec_lo, exec_lo, s4
	v_cndmask_b32_e64 v6, 0, 1, s3
	s_wait_alu 0xfffd
	v_cndmask_b32_e64 v7, 0, 1, vcc_lo
	v_lshlrev_b16 v12, 8, v12
	v_and_b32_e32 v25, 0xff, v25
	v_lshlrev_b16 v11, 8, v11
	v_lshlrev_b16 v6, 8, v6
	v_and_b32_e32 v8, 0xff, v8
	v_lshlrev_b16 v10, 8, v10
	v_and_b32_e32 v9, 0xff, v9
	v_or_b32_e32 v12, v25, v12
	v_or_b32_e32 v7, v7, v11
	;; [unrolled: 1-line block ×3, first 2 shown]
	s_delay_alu instid0(VALU_DEP_4) | instskip(NEXT) | instid1(VALU_DEP_4)
	v_or_b32_e32 v8, v9, v10
	v_lshlrev_b32_e32 v9, 16, v12
	s_delay_alu instid0(VALU_DEP_4) | instskip(NEXT) | instid1(VALU_DEP_4)
	v_and_b32_e32 v7, 0xffff, v7
	v_and_b32_e32 v6, 0xffff, v6
	s_delay_alu instid0(VALU_DEP_4) | instskip(NEXT) | instid1(VALU_DEP_3)
	v_lshlrev_b32_e32 v8, 16, v8
	v_or_b32_e32 v7, v7, v9
	s_delay_alu instid0(VALU_DEP_2)
	v_or_b32_e32 v6, v6, v8
.LBB772_89:
	s_wait_alu 0xfffe
	s_or_b32 exec_lo, exec_lo, s1
	v_add_nc_u32_e32 v8, 9, v46
	s_delay_alu instid0(VALU_DEP_2)
	v_lshrrev_b32_e32 v10, 8, v6
	v_lshrrev_b32_e32 v25, 24, v7
	;; [unrolled: 1-line block ×3, first 2 shown]
	v_and_b32_e32 v11, 0xff, v6
	v_cmp_le_u32_e32 vcc_lo, s27, v8
                                        ; implicit-def: $vgpr8
                                        ; implicit-def: $vgpr9
	s_and_saveexec_b32 s0, vcc_lo
	s_wait_alu 0xfffe
	s_xor_b32 s0, exec_lo, s0
	s_cbranch_execz .LBB772_91
; %bb.90:
	v_lshlrev_b16 v8, 8, v10
	v_lshlrev_b16 v9, 8, v25
	v_and_b32_e32 v10, 0xff, v12
	v_perm_b32 v5, v5, v5, 0x3060504
                                        ; implicit-def: $vgpr25
                                        ; implicit-def: $vgpr12
	s_delay_alu instid0(VALU_DEP_4) | instskip(NEXT) | instid1(VALU_DEP_3)
	v_or_b32_e32 v8, v11, v8
                                        ; implicit-def: $vgpr11
	v_or_b32_e32 v9, v10, v9
                                        ; implicit-def: $vgpr10
	s_delay_alu instid0(VALU_DEP_2) | instskip(NEXT) | instid1(VALU_DEP_2)
	v_and_b32_e32 v8, 0xffff, v8
	v_perm_b32 v9, v9, v7, 0x5040c00
                                        ; implicit-def: $vgpr7
	s_delay_alu instid0(VALU_DEP_2)
	v_and_or_b32 v8, 0xff000000, v6, v8
                                        ; implicit-def: $vgpr6
.LBB772_91:
	s_wait_alu 0xfffe
	s_and_not1_saveexec_b32 s1, s0
	s_cbranch_execz .LBB772_95
; %bb.92:
	v_add_nc_u32_e32 v8, s17, v16
	v_add_nc_u32_e32 v9, s19, v16
	s_mov_b32 s3, 0
	s_mov_b32 s4, exec_lo
	s_delay_alu instid0(VALU_DEP_2) | instskip(NEXT) | instid1(VALU_DEP_2)
	v_mul_lo_u32 v8, v8, s16
	v_mul_lo_u32 v9, v9, s18
	s_delay_alu instid0(VALU_DEP_1) | instskip(NEXT) | instid1(VALU_DEP_1)
	v_sub_nc_u32_e32 v8, v8, v9
	v_cmp_lt_u32_e32 vcc_lo, s20, v8
	v_cmpx_ge_u32_e64 s20, v8
	s_cbranch_execz .LBB772_94
; %bb.93:
	v_add_nc_u32_e32 v8, s22, v16
	v_add_nc_u32_e32 v9, s38, v16
	s_delay_alu instid0(VALU_DEP_2) | instskip(NEXT) | instid1(VALU_DEP_2)
	v_mul_lo_u32 v8, v8, s21
	v_mul_lo_u32 v9, v9, s23
	s_delay_alu instid0(VALU_DEP_1) | instskip(NEXT) | instid1(VALU_DEP_1)
	v_sub_nc_u32_e32 v8, v8, v9
	v_cmp_lt_u32_e64 s0, s39, v8
	s_and_b32 s3, s0, exec_lo
.LBB772_94:
	s_wait_alu 0xfffe
	s_or_b32 exec_lo, exec_lo, s4
	s_wait_alu 0xfffd
	v_cndmask_b32_e64 v8, 0, 1, vcc_lo
	v_lshrrev_b32_e32 v6, 24, v6
	v_cndmask_b32_e64 v9, 0, 1, s3
	v_lshlrev_b16 v25, 8, v25
	v_and_b32_e32 v12, 0xff, v12
	v_lshlrev_b16 v8, 8, v8
	v_lshlrev_b16 v10, 8, v10
	v_and_b32_e32 v7, 0xff, v7
	v_lshlrev_b16 v6, 8, v6
	v_or_b32_e32 v12, v12, v25
	s_delay_alu instid0(VALU_DEP_4) | instskip(NEXT) | instid1(VALU_DEP_4)
	v_or_b32_e32 v10, v11, v10
	v_or_b32_e32 v7, v7, v8
	s_delay_alu instid0(VALU_DEP_4) | instskip(NEXT) | instid1(VALU_DEP_4)
	v_or_b32_e32 v6, v9, v6
	v_lshlrev_b32_e32 v8, 16, v12
	s_delay_alu instid0(VALU_DEP_4) | instskip(NEXT) | instid1(VALU_DEP_4)
	v_and_b32_e32 v10, 0xffff, v10
	v_and_b32_e32 v7, 0xffff, v7
	s_delay_alu instid0(VALU_DEP_4) | instskip(NEXT) | instid1(VALU_DEP_2)
	v_lshlrev_b32_e32 v6, 16, v6
	v_or_b32_e32 v9, v7, v8
	s_delay_alu instid0(VALU_DEP_2)
	v_or_b32_e32 v8, v10, v6
.LBB772_95:
	s_wait_alu 0xfffe
	s_or_b32 exec_lo, exec_lo, s1
	v_add_nc_u32_e32 v6, 10, v46
	v_and_b32_e32 v7, 0xff, v9
	v_lshrrev_b32_e32 v10, 8, v9
                                        ; implicit-def: $vgpr51
	s_delay_alu instid0(VALU_DEP_3)
	v_cmp_le_u32_e32 vcc_lo, s27, v6
                                        ; implicit-def: $vgpr6
	s_and_saveexec_b32 s0, vcc_lo
	s_wait_alu 0xfffe
	s_xor_b32 s0, exec_lo, s0
	s_cbranch_execz .LBB772_97
; %bb.96:
	v_lshlrev_b16 v6, 8, v10
	v_perm_b32 v5, v5, v5, 0x3060504
                                        ; implicit-def: $vgpr10
	s_delay_alu instid0(VALU_DEP_2) | instskip(SKIP_1) | instid1(VALU_DEP_2)
	v_or_b32_e32 v6, v7, v6
	v_and_b32_e32 v7, 0xff0000, v8
	v_and_b32_e32 v6, 0xffff, v6
	s_delay_alu instid0(VALU_DEP_2) | instskip(NEXT) | instid1(VALU_DEP_2)
	v_perm_b32 v51, v8, v7, 0x3020504
                                        ; implicit-def: $vgpr7
                                        ; implicit-def: $vgpr8
	v_and_or_b32 v6, 0xff000000, v9, v6
                                        ; implicit-def: $vgpr9
.LBB772_97:
	s_wait_alu 0xfffe
	s_and_not1_saveexec_b32 s1, s0
	s_cbranch_execz .LBB772_101
; %bb.98:
	v_add_nc_u32_e32 v6, s17, v13
	v_add_nc_u32_e32 v11, s19, v13
	s_mov_b32 s3, 0
	s_mov_b32 s4, exec_lo
	s_delay_alu instid0(VALU_DEP_2) | instskip(NEXT) | instid1(VALU_DEP_2)
	v_mul_lo_u32 v6, v6, s16
	v_mul_lo_u32 v11, v11, s18
	s_delay_alu instid0(VALU_DEP_1) | instskip(NEXT) | instid1(VALU_DEP_1)
	v_sub_nc_u32_e32 v6, v6, v11
	v_cmp_lt_u32_e32 vcc_lo, s20, v6
	v_cmpx_ge_u32_e64 s20, v6
	s_cbranch_execz .LBB772_100
; %bb.99:
	v_add_nc_u32_e32 v6, s22, v13
	v_add_nc_u32_e32 v11, s38, v13
	s_delay_alu instid0(VALU_DEP_2) | instskip(NEXT) | instid1(VALU_DEP_2)
	v_mul_lo_u32 v6, v6, s21
	v_mul_lo_u32 v11, v11, s23
	s_delay_alu instid0(VALU_DEP_1) | instskip(NEXT) | instid1(VALU_DEP_1)
	v_sub_nc_u32_e32 v6, v6, v11
	v_cmp_lt_u32_e64 s0, s39, v6
	s_and_b32 s3, s0, exec_lo
.LBB772_100:
	s_wait_alu 0xfffe
	s_or_b32 exec_lo, exec_lo, s4
	v_lshrrev_b32_e32 v9, 24, v9
	v_cndmask_b32_e64 v11, 0, 1, s3
	v_lshrrev_b32_e32 v12, 8, v8
	v_lshrrev_b32_e32 v25, 16, v8
	s_wait_alu 0xfffd
	v_cndmask_b32_e64 v6, 0, 1, vcc_lo
	v_lshlrev_b16 v10, 8, v10
	v_lshlrev_b16 v9, 8, v9
	v_and_b32_e32 v8, 0xff, v8
	v_lshlrev_b16 v12, 8, v12
	v_lshlrev_b16 v11, 8, v11
	v_and_b32_e32 v25, 0xff, v25
	v_or_b32_e32 v7, v7, v10
	v_or_b32_e32 v6, v6, v9
	;; [unrolled: 1-line block ×3, first 2 shown]
	s_delay_alu instid0(VALU_DEP_4) | instskip(NEXT) | instid1(VALU_DEP_4)
	v_or_b32_e32 v9, v25, v11
	v_and_b32_e32 v7, 0xffff, v7
	s_delay_alu instid0(VALU_DEP_4) | instskip(NEXT) | instid1(VALU_DEP_4)
	v_lshlrev_b32_e32 v6, 16, v6
	v_and_b32_e32 v8, 0xffff, v8
	s_delay_alu instid0(VALU_DEP_4) | instskip(NEXT) | instid1(VALU_DEP_3)
	v_lshlrev_b32_e32 v9, 16, v9
	v_or_b32_e32 v6, v7, v6
	s_delay_alu instid0(VALU_DEP_2)
	v_or_b32_e32 v51, v8, v9
.LBB772_101:
	s_wait_alu 0xfffe
	s_or_b32 exec_lo, exec_lo, s1
	v_dual_mov_b32 v50, 0 :: v_dual_add_nc_u32 v7, 11, v46
	s_mov_b32 s0, exec_lo
                                        ; implicit-def: $vgpr52
	s_delay_alu instid0(VALU_DEP_1)
	v_cmpx_le_u32_e64 s27, v7
	s_wait_alu 0xfffe
	s_xor_b32 s0, exec_lo, s0
; %bb.102:
	v_and_b32_e32 v7, 0xff0000, v6
	v_perm_b32 v5, v5, v5, 0x3060504
	s_delay_alu instid0(VALU_DEP_2)
	v_perm_b32 v52, v6, v7, 0x3020504
                                        ; implicit-def: $vgpr6
; %bb.103:
	s_wait_alu 0xfffe
	s_and_not1_saveexec_b32 s1, s0
	s_cbranch_execz .LBB772_107
; %bb.104:
	v_add_nc_u32_e32 v7, s17, v14
	v_add_nc_u32_e32 v8, s19, v14
	s_mov_b32 s3, 0
	s_mov_b32 s4, exec_lo
	s_delay_alu instid0(VALU_DEP_2) | instskip(NEXT) | instid1(VALU_DEP_2)
	v_mul_lo_u32 v7, v7, s16
	v_mul_lo_u32 v8, v8, s18
	s_delay_alu instid0(VALU_DEP_1) | instskip(NEXT) | instid1(VALU_DEP_1)
	v_sub_nc_u32_e32 v7, v7, v8
	v_cmp_lt_u32_e32 vcc_lo, s20, v7
	v_cmpx_ge_u32_e64 s20, v7
	s_cbranch_execz .LBB772_106
; %bb.105:
	v_add_nc_u32_e32 v7, s22, v14
	v_add_nc_u32_e32 v8, s38, v14
	s_delay_alu instid0(VALU_DEP_2) | instskip(NEXT) | instid1(VALU_DEP_2)
	v_mul_lo_u32 v7, v7, s21
	v_mul_lo_u32 v8, v8, s23
	s_delay_alu instid0(VALU_DEP_1) | instskip(NEXT) | instid1(VALU_DEP_1)
	v_sub_nc_u32_e32 v7, v7, v8
	v_cmp_lt_u32_e64 s0, s39, v7
	s_and_b32 s3, s0, exec_lo
.LBB772_106:
	s_wait_alu 0xfffe
	s_or_b32 exec_lo, exec_lo, s4
	v_lshrrev_b32_e32 v7, 8, v6
	s_wait_alu 0xfffd
	v_cndmask_b32_e64 v8, 0, 1, vcc_lo
	v_lshrrev_b32_e32 v9, 16, v6
	v_and_b32_e32 v6, 0xff, v6
	v_cndmask_b32_e64 v50, 0, 1, s3
	v_lshlrev_b16 v7, 8, v7
	v_lshlrev_b16 v8, 8, v8
	v_and_b32_e32 v9, 0xff, v9
	s_delay_alu instid0(VALU_DEP_3) | instskip(NEXT) | instid1(VALU_DEP_2)
	v_or_b32_e32 v6, v6, v7
	v_or_b32_e32 v7, v9, v8
	s_delay_alu instid0(VALU_DEP_2) | instskip(NEXT) | instid1(VALU_DEP_2)
	v_and_b32_e32 v6, 0xffff, v6
	v_lshlrev_b32_e32 v7, 16, v7
	s_delay_alu instid0(VALU_DEP_1)
	v_or_b32_e32 v52, v6, v7
.LBB772_107:
	s_wait_alu 0xfffe
	s_or_b32 exec_lo, exec_lo, s1
	v_add_nc_u32_e32 v8, 12, v46
	v_lshrrev_b32_e32 v6, 8, v5
	v_lshrrev_b32_e32 v7, 16, v5
	;; [unrolled: 1-line block ×3, first 2 shown]
	s_mov_b32 s0, exec_lo
                                        ; implicit-def: $vgpr54
	v_cmpx_le_u32_e64 s27, v8
	s_wait_alu 0xfffe
	s_xor_b32 s0, exec_lo, s0
	s_cbranch_execz .LBB772_109
; %bb.108:
	v_lshlrev_b16 v5, 8, v5
	v_and_b32_e32 v7, 0xff, v7
	v_lshlrev_b16 v6, 8, v6
	s_delay_alu instid0(VALU_DEP_2) | instskip(NEXT) | instid1(VALU_DEP_2)
	v_or_b32_e32 v5, v7, v5
	v_and_b32_e32 v6, 0xffff, v6
                                        ; implicit-def: $vgpr7
	s_delay_alu instid0(VALU_DEP_2) | instskip(NEXT) | instid1(VALU_DEP_1)
	v_lshlrev_b32_e32 v5, 16, v5
	v_or_b32_e32 v54, v6, v5
                                        ; implicit-def: $vgpr5
                                        ; implicit-def: $vgpr6
.LBB772_109:
	s_wait_alu 0xfffe
	s_or_saveexec_b32 s1, s0
	v_mov_b32_e32 v53, 0
	s_wait_alu 0xfffe
	s_xor_b32 exec_lo, exec_lo, s1
	s_cbranch_execz .LBB772_113
; %bb.110:
	v_add_nc_u32_e32 v8, s17, v45
	v_add_nc_u32_e32 v9, s19, v45
	s_mov_b32 s3, 0
	s_mov_b32 s4, exec_lo
	s_delay_alu instid0(VALU_DEP_2) | instskip(NEXT) | instid1(VALU_DEP_2)
	v_mul_lo_u32 v8, v8, s16
	v_mul_lo_u32 v9, v9, s18
	s_delay_alu instid0(VALU_DEP_1) | instskip(NEXT) | instid1(VALU_DEP_1)
	v_sub_nc_u32_e32 v8, v8, v9
	v_cmp_lt_u32_e32 vcc_lo, s20, v8
	v_cmpx_ge_u32_e64 s20, v8
	s_cbranch_execz .LBB772_112
; %bb.111:
	v_add_nc_u32_e32 v8, s22, v45
	v_add_nc_u32_e32 v9, s38, v45
	s_delay_alu instid0(VALU_DEP_2) | instskip(NEXT) | instid1(VALU_DEP_2)
	v_mul_lo_u32 v8, v8, s21
	v_mul_lo_u32 v9, v9, s23
	s_delay_alu instid0(VALU_DEP_1) | instskip(NEXT) | instid1(VALU_DEP_1)
	v_sub_nc_u32_e32 v8, v8, v9
	v_cmp_lt_u32_e64 s0, s39, v8
	s_and_b32 s3, s0, exec_lo
.LBB772_112:
	s_wait_alu 0xfffe
	s_or_b32 exec_lo, exec_lo, s4
	s_wait_alu 0xfffd
	v_cndmask_b32_e64 v8, 0, 1, vcc_lo
	v_lshlrev_b16 v5, 8, v5
	v_and_b32_e32 v7, 0xff, v7
	v_lshlrev_b16 v6, 8, v6
	v_cndmask_b32_e64 v53, 0, 1, s3
	s_delay_alu instid0(VALU_DEP_3) | instskip(NEXT) | instid1(VALU_DEP_3)
	v_or_b32_e32 v5, v7, v5
	v_or_b32_e32 v6, v8, v6
	s_delay_alu instid0(VALU_DEP_2) | instskip(NEXT) | instid1(VALU_DEP_2)
	v_lshlrev_b32_e32 v5, 16, v5
	v_and_b32_e32 v6, 0xffff, v6
	s_delay_alu instid0(VALU_DEP_1)
	v_or_b32_e32 v54, v6, v5
.LBB772_113:
	s_or_b32 exec_lo, exec_lo, s1
.LBB772_114:
	v_and_b32_e32 v77, 0xff, v47
	s_delay_alu instid0(VALU_DEP_2)
	v_bfe_u32 v78, v54, 8, 8
	v_bfe_u32 v74, v47, 8, 8
	;; [unrolled: 1-line block ×4, first 2 shown]
	v_lshrrev_b32_e32 v60, 24, v54
	v_lshrrev_b32_e32 v59, 24, v47
	v_and_b32_e32 v73, 0xff, v48
	v_and_b32_e32 v71, 0xff, v49
	v_bfe_u32 v72, v48, 8, 8
	v_add3_u32 v5, v74, v77, v76
	v_add3_u32 v6, v75, v78, v60
	v_bfe_u32 v69, v49, 8, 8
	v_bfe_u32 v70, v48, 16, 8
	;; [unrolled: 1-line block ×3, first 2 shown]
	v_lshrrev_b32_e32 v58, 24, v48
	v_add3_u32 v5, v5, v59, v71
	v_add3_u32 v6, v6, v73, v72
	v_lshrrev_b32_e32 v57, 24, v49
	v_and_b32_e32 v68, 0xff, v51
	v_and_b32_e32 v66, 0xff, v52
	v_bfe_u32 v67, v51, 8, 8
	v_add3_u32 v5, v5, v69, v65
	v_add3_u32 v6, v6, v70, v58
	v_bfe_u32 v63, v52, 8, 8
	v_bfe_u32 v64, v51, 16, 8
	;; [unrolled: 1-line block ×3, first 2 shown]
	v_lshrrev_b32_e32 v56, 24, v51
	v_add3_u32 v5, v5, v57, v66
	v_add3_u32 v6, v6, v68, v67
	v_mbcnt_lo_u32_b32 v79, -1, 0
	v_lshrrev_b32_e32 v55, 24, v52
	v_and_b32_e32 v61, 0xff, v50
	v_and_b32_e32 v7, 0xff, v54
	;; [unrolled: 1-line block ×3, first 2 shown]
	v_add3_u32 v5, v5, v63, v62
	v_add3_u32 v6, v6, v64, v56
	v_and_b32_e32 v81, 15, v79
	v_and_b32_e32 v83, 16, v79
	v_lshrrev_b32_e32 v80, 5, v0
	v_add3_u32 v84, v5, v55, v7
	v_add3_u32 v85, v6, v61, v8
	v_cmp_eq_u32_e64 s1, 0, v81
	v_cmp_lt_u32_e64 s0, 1, v81
	v_cmp_lt_u32_e64 s3, 3, v81
	v_or_b32_e32 v82, 31, v0
	s_cmp_lg_u32 s33, 0
	s_mov_b32 s4, -1
	v_cmp_lt_u32_e32 vcc_lo, 7, v81
	s_cbranch_scc0 .LBB772_135
; %bb.115:
	v_mov_b32_dpp v6, v84 row_shr:1 row_mask:0xf bank_mask:0xf
	v_mov_b32_dpp v5, v85 row_shr:1 row_mask:0xf bank_mask:0xf
	s_mov_b32 s4, exec_lo
	s_delay_alu instid0(VALU_DEP_2) | instskip(SKIP_1) | instid1(VALU_DEP_1)
	v_add_nc_u32_e32 v6, v6, v84
	s_wait_alu 0xf1ff
	v_cndmask_b32_e64 v6, v6, v84, s1
	s_delay_alu instid0(VALU_DEP_1) | instskip(NEXT) | instid1(VALU_DEP_1)
	v_mov_b32_dpp v8, v6 row_shr:2 row_mask:0xf bank_mask:0xf
	v_add_nc_u32_e32 v8, v6, v8
	s_delay_alu instid0(VALU_DEP_1) | instskip(NEXT) | instid1(VALU_DEP_1)
	v_cndmask_b32_e64 v6, v6, v8, s0
	v_mov_b32_dpp v8, v6 row_shr:4 row_mask:0xf bank_mask:0xf
	s_delay_alu instid0(VALU_DEP_1) | instskip(NEXT) | instid1(VALU_DEP_1)
	v_add_nc_u32_e32 v8, v6, v8
	v_cndmask_b32_e64 v6, v6, v8, s3
	s_delay_alu instid0(VALU_DEP_1) | instskip(NEXT) | instid1(VALU_DEP_1)
	v_mov_b32_dpp v8, v6 row_shr:8 row_mask:0xf bank_mask:0xf
	v_add_nc_u32_e32 v8, v6, v8
	s_wait_alu 0xfffd
	s_delay_alu instid0(VALU_DEP_1) | instskip(NEXT) | instid1(VALU_DEP_1)
	v_dual_cndmask_b32 v6, v6, v8 :: v_dual_add_nc_u32 v5, v5, v85
	v_cndmask_b32_e64 v5, v5, v85, s1
	ds_swizzle_b32 v8, v6 offset:swizzle(BROADCAST,32,15)
	v_mov_b32_dpp v7, v5 row_shr:2 row_mask:0xf bank_mask:0xf
	s_delay_alu instid0(VALU_DEP_1) | instskip(NEXT) | instid1(VALU_DEP_1)
	v_add_nc_u32_e32 v7, v5, v7
	v_cndmask_b32_e64 v5, v5, v7, s0
	s_delay_alu instid0(VALU_DEP_1) | instskip(SKIP_2) | instid1(VALU_DEP_2)
	v_mov_b32_dpp v7, v5 row_shr:4 row_mask:0xf bank_mask:0xf
	s_wait_dscnt 0x0
	v_add_nc_u32_e32 v8, v6, v8
	v_add_nc_u32_e32 v7, v5, v7
	s_delay_alu instid0(VALU_DEP_1) | instskip(NEXT) | instid1(VALU_DEP_1)
	v_cndmask_b32_e64 v5, v5, v7, s3
	v_mov_b32_dpp v7, v5 row_shr:8 row_mask:0xf bank_mask:0xf
	s_delay_alu instid0(VALU_DEP_1) | instskip(NEXT) | instid1(VALU_DEP_1)
	v_add_nc_u32_e32 v7, v5, v7
	v_cndmask_b32_e32 v5, v5, v7, vcc_lo
	v_cmp_eq_u32_e32 vcc_lo, 0, v83
	ds_swizzle_b32 v7, v5 offset:swizzle(BROADCAST,32,15)
	s_wait_dscnt 0x0
	v_add_nc_u32_e32 v7, v5, v7
	v_cmpx_eq_u32_e64 v0, v82
; %bb.116:
	s_wait_alu 0xfffd
	s_delay_alu instid0(VALU_DEP_2)
	v_dual_cndmask_b32 v10, v7, v5 :: v_dual_lshlrev_b32 v11, 3, v80
	v_cndmask_b32_e32 v9, v8, v6, vcc_lo
	ds_store_b64 v11, v[9:10]
; %bb.117:
	s_wait_alu 0xfffe
	s_or_b32 exec_lo, exec_lo, s4
	s_delay_alu instid0(SALU_CYCLE_1)
	s_mov_b32 s4, exec_lo
	s_wait_loadcnt_dscnt 0x0
	s_barrier_signal -1
	s_barrier_wait -1
	global_inv scope:SCOPE_SE
	v_cmpx_gt_u32_e32 8, v0
	s_cbranch_execz .LBB772_119
; %bb.118:
	v_lshlrev_b32_e32 v11, 3, v0
	v_and_b32_e32 v26, 7, v79
	ds_load_b64 v[9:10], v11
	v_cmp_eq_u32_e64 s3, 0, v26
	s_wait_dscnt 0x0
	v_mov_b32_dpp v12, v9 row_shr:1 row_mask:0xf bank_mask:0xf
	v_mov_b32_dpp v25, v10 row_shr:1 row_mask:0xf bank_mask:0xf
	s_delay_alu instid0(VALU_DEP_2) | instskip(NEXT) | instid1(VALU_DEP_2)
	v_add_nc_u32_e32 v12, v12, v9
	v_add_nc_u32_e32 v25, v25, v10
	s_wait_alu 0xf1ff
	s_delay_alu instid0(VALU_DEP_2) | instskip(NEXT) | instid1(VALU_DEP_2)
	v_cndmask_b32_e64 v9, v12, v9, s3
	v_cndmask_b32_e64 v10, v25, v10, s3
	v_cmp_lt_u32_e64 s3, 1, v26
	s_delay_alu instid0(VALU_DEP_3) | instskip(NEXT) | instid1(VALU_DEP_3)
	v_mov_b32_dpp v12, v9 row_shr:2 row_mask:0xf bank_mask:0xf
	v_mov_b32_dpp v25, v10 row_shr:2 row_mask:0xf bank_mask:0xf
	s_delay_alu instid0(VALU_DEP_2) | instskip(NEXT) | instid1(VALU_DEP_2)
	v_add_nc_u32_e32 v12, v9, v12
	v_add_nc_u32_e32 v25, v10, v25
	s_wait_alu 0xf1ff
	s_delay_alu instid0(VALU_DEP_2) | instskip(NEXT) | instid1(VALU_DEP_2)
	v_cndmask_b32_e64 v9, v9, v12, s3
	v_cndmask_b32_e64 v10, v10, v25, s3
	v_cmp_lt_u32_e64 s3, 3, v26
	s_delay_alu instid0(VALU_DEP_3) | instskip(NEXT) | instid1(VALU_DEP_3)
	v_mov_b32_dpp v12, v9 row_shr:4 row_mask:0xf bank_mask:0xf
	v_mov_b32_dpp v25, v10 row_shr:4 row_mask:0xf bank_mask:0xf
	s_wait_alu 0xf1ff
	s_delay_alu instid0(VALU_DEP_2) | instskip(NEXT) | instid1(VALU_DEP_2)
	v_cndmask_b32_e64 v12, 0, v12, s3
	v_cndmask_b32_e64 v25, 0, v25, s3
	s_delay_alu instid0(VALU_DEP_2) | instskip(NEXT) | instid1(VALU_DEP_2)
	v_add_nc_u32_e32 v9, v12, v9
	v_add_nc_u32_e32 v10, v25, v10
	ds_store_b64 v11, v[9:10]
.LBB772_119:
	s_wait_alu 0xfffe
	s_or_b32 exec_lo, exec_lo, s4
	v_dual_cndmask_b32 v5, v7, v5 :: v_dual_cndmask_b32 v6, v8, v6
	s_mov_b32 s4, exec_lo
	v_cmp_gt_u32_e32 vcc_lo, 32, v0
	s_wait_loadcnt_dscnt 0x0
	s_barrier_signal -1
	s_barrier_wait -1
	global_inv scope:SCOPE_SE
                                        ; implicit-def: $vgpr25
	v_cmpx_lt_u32_e32 31, v0
	s_cbranch_execz .LBB772_121
; %bb.120:
	v_lshl_add_u32 v7, v80, 3, -8
	ds_load_b64 v[25:26], v7
	s_wait_dscnt 0x0
	v_add_nc_u32_e32 v5, v26, v5
	v_add_nc_u32_e32 v6, v25, v6
.LBB772_121:
	s_wait_alu 0xfffe
	s_or_b32 exec_lo, exec_lo, s4
	v_sub_co_u32 v7, s3, v79, 1
	s_delay_alu instid0(VALU_DEP_1) | instskip(SKIP_1) | instid1(VALU_DEP_1)
	v_cmp_gt_i32_e64 s4, 0, v7
	s_wait_alu 0xf1ff
	v_cndmask_b32_e64 v7, v7, v79, s4
	s_delay_alu instid0(VALU_DEP_1)
	v_lshlrev_b32_e32 v7, 2, v7
	ds_bpermute_b32 v86, v7, v6
	ds_bpermute_b32 v87, v7, v5
	s_and_saveexec_b32 s4, vcc_lo
	s_cbranch_execz .LBB772_140
; %bb.122:
	v_mov_b32_e32 v8, 0
	ds_load_b64 v[5:6], v8 offset:56
	s_and_saveexec_b32 s5, s3
	s_cbranch_execz .LBB772_124
; %bb.123:
	s_add_co_i32 s6, s33, 32
	s_mov_b32 s7, 0
	s_wait_alu 0xfffe
	s_lshl_b64 s[6:7], s[6:7], 4
	s_wait_alu 0xfffe
	s_add_nc_u64 s[6:7], s[36:37], s[6:7]
	s_wait_alu 0xfffe
	v_dual_mov_b32 v7, 1 :: v_dual_mov_b32 v10, s7
	v_mov_b32_e32 v9, s6
	s_wait_dscnt 0x0
	;;#ASMSTART
	global_store_b128 v[9:10], v[5:8] off scope:SCOPE_DEV	
s_wait_storecnt 0x0
	;;#ASMEND
.LBB772_124:
	s_wait_alu 0xfffe
	s_or_b32 exec_lo, exec_lo, s5
	v_xad_u32 v27, v79, -1, s33
	s_mov_b32 s6, 0
	s_mov_b32 s5, exec_lo
	s_delay_alu instid0(VALU_DEP_1) | instskip(NEXT) | instid1(VALU_DEP_1)
	v_add_nc_u32_e32 v7, 32, v27
	v_lshlrev_b64_e32 v[7:8], 4, v[7:8]
	s_delay_alu instid0(VALU_DEP_1) | instskip(SKIP_1) | instid1(VALU_DEP_2)
	v_add_co_u32 v7, vcc_lo, s36, v7
	s_wait_alu 0xfffd
	v_add_co_ci_u32_e64 v8, null, s37, v8, vcc_lo
	;;#ASMSTART
	global_load_b128 v[9:12], v[7:8] off scope:SCOPE_DEV	
s_wait_loadcnt 0x0
	;;#ASMEND
	v_and_b32_e32 v12, 0xff, v11
	s_delay_alu instid0(VALU_DEP_1)
	v_cmpx_eq_u16_e32 0, v12
	s_cbranch_execz .LBB772_127
.LBB772_125:                            ; =>This Inner Loop Header: Depth=1
	;;#ASMSTART
	global_load_b128 v[9:12], v[7:8] off scope:SCOPE_DEV	
s_wait_loadcnt 0x0
	;;#ASMEND
	v_and_b32_e32 v12, 0xff, v11
	s_delay_alu instid0(VALU_DEP_1)
	v_cmp_ne_u16_e32 vcc_lo, 0, v12
	s_wait_alu 0xfffe
	s_or_b32 s6, vcc_lo, s6
	s_wait_alu 0xfffe
	s_and_not1_b32 exec_lo, exec_lo, s6
	s_cbranch_execnz .LBB772_125
; %bb.126:
	s_or_b32 exec_lo, exec_lo, s6
.LBB772_127:
	s_wait_alu 0xfffe
	s_or_b32 exec_lo, exec_lo, s5
	v_cmp_ne_u32_e32 vcc_lo, 31, v79
	v_lshlrev_b32_e64 v89, v79, -1
	v_add_nc_u32_e32 v91, 2, v79
	v_add_nc_u32_e32 v93, 4, v79
	;; [unrolled: 1-line block ×3, first 2 shown]
	s_wait_alu 0xfffd
	v_add_co_ci_u32_e64 v7, null, 0, v79, vcc_lo
	v_lshl_or_b32 v96, v79, 2, 64
	v_add_nc_u32_e32 v97, 16, v79
	s_delay_alu instid0(VALU_DEP_3) | instskip(SKIP_4) | instid1(VALU_DEP_1)
	v_lshlrev_b32_e32 v88, 2, v7
	ds_bpermute_b32 v8, v88, v10
	s_wait_dscnt 0x0
	v_add_nc_u32_e32 v8, v8, v10
	v_and_b32_e32 v7, 0xff, v11
	v_cmp_eq_u16_e32 vcc_lo, 2, v7
	ds_bpermute_b32 v7, v88, v9
	s_wait_dscnt 0x0
	v_add_nc_u32_e32 v7, v7, v9
	s_wait_alu 0xfffd
	v_and_b32_e32 v12, vcc_lo, v89
	v_cmp_gt_u32_e32 vcc_lo, 30, v79
	s_delay_alu instid0(VALU_DEP_2) | instskip(SKIP_2) | instid1(VALU_DEP_2)
	v_or_b32_e32 v12, 0x80000000, v12
	s_wait_alu 0xfffd
	v_cndmask_b32_e64 v28, 0, 2, vcc_lo
	v_ctz_i32_b32_e32 v12, v12
	s_delay_alu instid0(VALU_DEP_2) | instskip(NEXT) | instid1(VALU_DEP_2)
	v_add_lshl_u32 v90, v28, v79, 2
	v_cmp_lt_u32_e32 vcc_lo, v79, v12
	s_wait_alu 0xfffd
	v_dual_cndmask_b32 v8, v10, v8 :: v_dual_cndmask_b32 v7, v9, v7
	v_cmp_gt_u32_e32 vcc_lo, 28, v79
	ds_bpermute_b32 v9, v90, v8
	ds_bpermute_b32 v10, v90, v7
	s_wait_alu 0xfffd
	v_cndmask_b32_e64 v28, 0, 4, vcc_lo
	v_cmp_gt_u32_e32 vcc_lo, v91, v12
	s_delay_alu instid0(VALU_DEP_2)
	v_add_lshl_u32 v92, v28, v79, 2
	s_wait_dscnt 0x1
	v_add_nc_u32_e32 v9, v8, v9
	s_wait_dscnt 0x0
	v_add_nc_u32_e32 v10, v7, v10
	s_wait_alu 0xfffd
	s_delay_alu instid0(VALU_DEP_1)
	v_dual_cndmask_b32 v8, v9, v8 :: v_dual_cndmask_b32 v7, v10, v7
	v_cmp_gt_u32_e32 vcc_lo, 24, v79
	ds_bpermute_b32 v9, v92, v8
	ds_bpermute_b32 v10, v92, v7
	s_wait_alu 0xfffd
	v_cndmask_b32_e64 v28, 0, 8, vcc_lo
	v_cmp_gt_u32_e32 vcc_lo, v93, v12
	s_delay_alu instid0(VALU_DEP_2)
	v_add_lshl_u32 v94, v28, v79, 2
	s_wait_dscnt 0x1
	v_dual_mov_b32 v28, 0 :: v_dual_add_nc_u32 v9, v8, v9
	s_wait_dscnt 0x0
	v_add_nc_u32_e32 v10, v7, v10
	s_wait_alu 0xfffd
	s_delay_alu instid0(VALU_DEP_1)
	v_dual_cndmask_b32 v8, v9, v8 :: v_dual_cndmask_b32 v7, v10, v7
	v_cmp_gt_u32_e32 vcc_lo, v95, v12
	ds_bpermute_b32 v9, v94, v8
	ds_bpermute_b32 v10, v94, v7
	s_wait_dscnt 0x1
	v_add_nc_u32_e32 v9, v8, v9
	s_wait_dscnt 0x0
	v_add_nc_u32_e32 v10, v7, v10
	s_wait_alu 0xfffd
	s_delay_alu instid0(VALU_DEP_1)
	v_dual_cndmask_b32 v8, v9, v8 :: v_dual_cndmask_b32 v7, v10, v7
	v_cmp_le_u32_e32 vcc_lo, v97, v12
	ds_bpermute_b32 v10, v96, v8
	ds_bpermute_b32 v9, v96, v7
	s_wait_dscnt 0x0
	s_wait_alu 0xfffd
	v_dual_cndmask_b32 v10, 0, v10 :: v_dual_cndmask_b32 v9, 0, v9
	s_delay_alu instid0(VALU_DEP_1) | instskip(NEXT) | instid1(VALU_DEP_2)
	v_add_nc_u32_e32 v10, v10, v8
	v_add_nc_u32_e32 v9, v9, v7
	s_branch .LBB772_131
.LBB772_128:                            ;   in Loop: Header=BB772_131 Depth=1
	s_or_b32 exec_lo, exec_lo, s6
.LBB772_129:                            ;   in Loop: Header=BB772_131 Depth=1
	s_wait_alu 0xfffe
	s_or_b32 exec_lo, exec_lo, s5
	ds_bpermute_b32 v12, v88, v9
	ds_bpermute_b32 v29, v88, v10
	v_subrev_nc_u32_e32 v27, 32, v27
	s_mov_b32 s5, 0
	s_wait_dscnt 0x1
	v_add_nc_u32_e32 v12, v12, v9
	v_and_b32_e32 v30, 0xff, v11
	s_wait_dscnt 0x0
	v_add_nc_u32_e32 v29, v29, v10
	s_delay_alu instid0(VALU_DEP_2) | instskip(SKIP_2) | instid1(VALU_DEP_1)
	v_cmp_eq_u16_e32 vcc_lo, 2, v30
	s_wait_alu 0xfffd
	v_and_or_b32 v30, vcc_lo, v89, 0x80000000
	v_ctz_i32_b32_e32 v30, v30
	s_delay_alu instid0(VALU_DEP_1)
	v_cmp_lt_u32_e32 vcc_lo, v79, v30
	s_wait_alu 0xfffd
	v_dual_cndmask_b32 v10, v10, v29 :: v_dual_cndmask_b32 v9, v9, v12
	v_cmp_gt_u32_e32 vcc_lo, v91, v30
	ds_bpermute_b32 v29, v90, v10
	ds_bpermute_b32 v12, v90, v9
	s_wait_dscnt 0x1
	v_add_nc_u32_e32 v29, v10, v29
	s_wait_dscnt 0x0
	v_add_nc_u32_e32 v12, v9, v12
	s_wait_alu 0xfffd
	s_delay_alu instid0(VALU_DEP_1)
	v_dual_cndmask_b32 v10, v29, v10 :: v_dual_cndmask_b32 v9, v12, v9
	v_cmp_gt_u32_e32 vcc_lo, v93, v30
	ds_bpermute_b32 v29, v92, v10
	ds_bpermute_b32 v12, v92, v9
	s_wait_dscnt 0x1
	v_add_nc_u32_e32 v29, v10, v29
	s_wait_dscnt 0x0
	v_add_nc_u32_e32 v12, v9, v12
	s_wait_alu 0xfffd
	s_delay_alu instid0(VALU_DEP_1)
	;; [unrolled: 10-line block ×3, first 2 shown]
	v_dual_cndmask_b32 v10, v29, v10 :: v_dual_cndmask_b32 v9, v12, v9
	v_cmp_le_u32_e32 vcc_lo, v97, v30
	ds_bpermute_b32 v29, v96, v10
	ds_bpermute_b32 v12, v96, v9
	s_wait_dscnt 0x0
	s_wait_alu 0xfffd
	v_dual_cndmask_b32 v29, 0, v29 :: v_dual_cndmask_b32 v12, 0, v12
	s_delay_alu instid0(VALU_DEP_1) | instskip(NEXT) | instid1(VALU_DEP_2)
	v_add3_u32 v10, v10, v8, v29
	v_add3_u32 v9, v9, v7, v12
.LBB772_130:                            ;   in Loop: Header=BB772_131 Depth=1
	s_wait_alu 0xfffe
	s_and_b32 vcc_lo, exec_lo, s5
	s_wait_alu 0xfffe
	s_cbranch_vccnz .LBB772_136
.LBB772_131:                            ; =>This Loop Header: Depth=1
                                        ;     Child Loop BB772_134 Depth 2
	v_and_b32_e32 v7, 0xff, v11
	s_mov_b32 s5, -1
                                        ; implicit-def: $vgpr11
	s_delay_alu instid0(VALU_DEP_1)
	v_cmp_ne_u16_e32 vcc_lo, 2, v7
	v_dual_mov_b32 v7, v9 :: v_dual_mov_b32 v8, v10
                                        ; implicit-def: $vgpr9_vgpr10
	s_cmp_lg_u32 vcc_lo, exec_lo
	s_cbranch_scc1 .LBB772_130
; %bb.132:                              ;   in Loop: Header=BB772_131 Depth=1
	v_lshlrev_b64_e32 v[9:10], 4, v[27:28]
	s_mov_b32 s5, exec_lo
	s_delay_alu instid0(VALU_DEP_1) | instskip(SKIP_1) | instid1(VALU_DEP_2)
	v_add_co_u32 v29, vcc_lo, s36, v9
	s_wait_alu 0xfffd
	v_add_co_ci_u32_e64 v30, null, s37, v10, vcc_lo
	;;#ASMSTART
	global_load_b128 v[9:12], v[29:30] off scope:SCOPE_DEV	
s_wait_loadcnt 0x0
	;;#ASMEND
	v_and_b32_e32 v12, 0xff, v11
	s_delay_alu instid0(VALU_DEP_1)
	v_cmpx_eq_u16_e32 0, v12
	s_cbranch_execz .LBB772_129
; %bb.133:                              ;   in Loop: Header=BB772_131 Depth=1
	s_mov_b32 s6, 0
.LBB772_134:                            ;   Parent Loop BB772_131 Depth=1
                                        ; =>  This Inner Loop Header: Depth=2
	;;#ASMSTART
	global_load_b128 v[9:12], v[29:30] off scope:SCOPE_DEV	
s_wait_loadcnt 0x0
	;;#ASMEND
	v_and_b32_e32 v12, 0xff, v11
	s_delay_alu instid0(VALU_DEP_1)
	v_cmp_ne_u16_e32 vcc_lo, 0, v12
	s_wait_alu 0xfffe
	s_or_b32 s6, vcc_lo, s6
	s_wait_alu 0xfffe
	s_and_not1_b32 exec_lo, exec_lo, s6
	s_cbranch_execnz .LBB772_134
	s_branch .LBB772_128
.LBB772_135:
                                        ; implicit-def: $vgpr29
                                        ; implicit-def: $vgpr7
                                        ; implicit-def: $vgpr86
	s_wait_alu 0xfffe
	s_and_b32 vcc_lo, exec_lo, s4
	s_wait_alu 0xfffe
	s_cbranch_vccnz .LBB772_141
	s_branch .LBB772_150
.LBB772_136:
	s_and_saveexec_b32 s5, s3
	s_cbranch_execnz .LBB772_378
; %bb.137:
	s_wait_alu 0xfffe
	s_or_b32 exec_lo, exec_lo, s5
	s_and_saveexec_b32 s5, s3
	s_cbranch_execnz .LBB772_379
.LBB772_138:
	s_wait_alu 0xfffe
	s_or_b32 exec_lo, exec_lo, s5
	s_delay_alu instid0(SALU_CYCLE_1)
	s_and_b32 exec_lo, exec_lo, s2
.LBB772_139:
	v_mov_b32_e32 v5, 0
	ds_store_b64 v5, v[7:8] offset:56
.LBB772_140:
	s_wait_alu 0xfffe
	s_or_b32 exec_lo, exec_lo, s4
	s_wait_dscnt 0x1
	v_cndmask_b32_e64 v12, v86, v25, s3
	v_mov_b32_e32 v5, 0
	s_wait_loadcnt_dscnt 0x0
	s_barrier_signal -1
	s_barrier_wait -1
	global_inv scope:SCOPE_SE
	ds_load_b64 v[9:10], v5 offset:56
	s_wait_loadcnt_dscnt 0x0
	s_barrier_signal -1
	s_barrier_wait -1
	global_inv scope:SCOPE_SE
	v_cndmask_b32_e64 v11, v87, v26, s3
	v_add_nc_u32_e32 v12, v9, v12
	ds_load_b128 v[5:8], v5 offset:13312
	v_add_nc_u32_e32 v11, v10, v11
	v_cndmask_b32_e64 v86, v12, v9, s2
	s_delay_alu instid0(VALU_DEP_2)
	v_cndmask_b32_e64 v29, v11, v10, s2
	s_branch .LBB772_150
.LBB772_141:
	s_wait_dscnt 0x0
	v_mov_b32_dpp v5, v84 row_shr:1 row_mask:0xf bank_mask:0xf
	v_cmp_lt_u32_e32 vcc_lo, 3, v81
	v_mov_b32_dpp v6, v85 row_shr:1 row_mask:0xf bank_mask:0xf
	s_delay_alu instid0(VALU_DEP_3) | instskip(NEXT) | instid1(VALU_DEP_1)
	v_add_nc_u32_e32 v5, v5, v84
	v_cndmask_b32_e64 v5, v5, v84, s1
	s_delay_alu instid0(VALU_DEP_1) | instskip(NEXT) | instid1(VALU_DEP_1)
	v_mov_b32_dpp v7, v5 row_shr:2 row_mask:0xf bank_mask:0xf
	v_add_nc_u32_e32 v7, v5, v7
	s_delay_alu instid0(VALU_DEP_1) | instskip(NEXT) | instid1(VALU_DEP_1)
	v_cndmask_b32_e64 v5, v5, v7, s0
	v_mov_b32_dpp v7, v5 row_shr:4 row_mask:0xf bank_mask:0xf
	s_delay_alu instid0(VALU_DEP_1) | instskip(SKIP_1) | instid1(VALU_DEP_1)
	v_add_nc_u32_e32 v7, v5, v7
	s_wait_alu 0xfffd
	v_dual_cndmask_b32 v7, v5, v7 :: v_dual_add_nc_u32 v6, v6, v85
	s_delay_alu instid0(VALU_DEP_1) | instskip(SKIP_1) | instid1(VALU_DEP_2)
	v_cndmask_b32_e64 v6, v6, v85, s1
	s_mov_b32 s1, exec_lo
	v_mov_b32_dpp v5, v7 row_shr:8 row_mask:0xf bank_mask:0xf
	s_delay_alu instid0(VALU_DEP_2) | instskip(NEXT) | instid1(VALU_DEP_2)
	v_mov_b32_dpp v8, v6 row_shr:2 row_mask:0xf bank_mask:0xf
	v_add_nc_u32_e32 v9, v7, v5
	s_delay_alu instid0(VALU_DEP_2) | instskip(NEXT) | instid1(VALU_DEP_1)
	v_add_nc_u32_e32 v8, v6, v8
	v_cndmask_b32_e64 v6, v6, v8, s0
	s_delay_alu instid0(VALU_DEP_1) | instskip(NEXT) | instid1(VALU_DEP_1)
	v_mov_b32_dpp v8, v6 row_shr:4 row_mask:0xf bank_mask:0xf
	v_add_nc_u32_e32 v8, v6, v8
	s_delay_alu instid0(VALU_DEP_1) | instskip(SKIP_1) | instid1(VALU_DEP_2)
	v_cndmask_b32_e32 v6, v6, v8, vcc_lo
	v_cmp_lt_u32_e32 vcc_lo, 7, v81
	v_mov_b32_dpp v8, v6 row_shr:8 row_mask:0xf bank_mask:0xf
	s_delay_alu instid0(VALU_DEP_1) | instskip(SKIP_1) | instid1(VALU_DEP_1)
	v_add_nc_u32_e32 v5, v6, v8
	s_wait_alu 0xfffd
	v_cndmask_b32_e32 v5, v6, v5, vcc_lo
	v_cndmask_b32_e32 v6, v7, v9, vcc_lo
	v_cmp_eq_u32_e32 vcc_lo, 0, v83
	ds_swizzle_b32 v7, v5 offset:swizzle(BROADCAST,32,15)
	ds_swizzle_b32 v8, v6 offset:swizzle(BROADCAST,32,15)
	s_wait_dscnt 0x1
	v_add_nc_u32_e32 v7, v5, v7
	s_wait_dscnt 0x0
	v_add_nc_u32_e32 v8, v6, v8
	v_cmpx_eq_u32_e64 v0, v82
; %bb.142:
	s_wait_alu 0xfffd
	s_delay_alu instid0(VALU_DEP_2)
	v_dual_cndmask_b32 v9, v8, v6 :: v_dual_cndmask_b32 v10, v7, v5
	v_lshlrev_b32_e32 v11, 3, v80
	ds_store_b64 v11, v[9:10]
; %bb.143:
	s_wait_alu 0xfffe
	s_or_b32 exec_lo, exec_lo, s1
	s_delay_alu instid0(SALU_CYCLE_1)
	s_mov_b32 s1, exec_lo
	s_wait_loadcnt_dscnt 0x0
	s_barrier_signal -1
	s_barrier_wait -1
	global_inv scope:SCOPE_SE
	v_cmpx_gt_u32_e32 8, v0
	s_cbranch_execz .LBB772_145
; %bb.144:
	v_lshlrev_b32_e32 v11, 3, v0
	v_and_b32_e32 v26, 7, v79
	ds_load_b64 v[9:10], v11
	v_cmp_eq_u32_e64 s0, 0, v26
	s_wait_dscnt 0x0
	v_mov_b32_dpp v12, v9 row_shr:1 row_mask:0xf bank_mask:0xf
	v_mov_b32_dpp v25, v10 row_shr:1 row_mask:0xf bank_mask:0xf
	s_delay_alu instid0(VALU_DEP_2) | instskip(NEXT) | instid1(VALU_DEP_2)
	v_add_nc_u32_e32 v12, v12, v9
	v_add_nc_u32_e32 v25, v25, v10
	s_wait_alu 0xf1ff
	s_delay_alu instid0(VALU_DEP_2) | instskip(NEXT) | instid1(VALU_DEP_2)
	v_cndmask_b32_e64 v9, v12, v9, s0
	v_cndmask_b32_e64 v10, v25, v10, s0
	v_cmp_lt_u32_e64 s0, 1, v26
	s_delay_alu instid0(VALU_DEP_3) | instskip(NEXT) | instid1(VALU_DEP_3)
	v_mov_b32_dpp v12, v9 row_shr:2 row_mask:0xf bank_mask:0xf
	v_mov_b32_dpp v25, v10 row_shr:2 row_mask:0xf bank_mask:0xf
	s_delay_alu instid0(VALU_DEP_2) | instskip(NEXT) | instid1(VALU_DEP_2)
	v_add_nc_u32_e32 v12, v9, v12
	v_add_nc_u32_e32 v25, v10, v25
	s_wait_alu 0xf1ff
	s_delay_alu instid0(VALU_DEP_2) | instskip(NEXT) | instid1(VALU_DEP_2)
	v_cndmask_b32_e64 v9, v9, v12, s0
	v_cndmask_b32_e64 v10, v10, v25, s0
	v_cmp_lt_u32_e64 s0, 3, v26
	s_delay_alu instid0(VALU_DEP_3) | instskip(NEXT) | instid1(VALU_DEP_3)
	v_mov_b32_dpp v12, v9 row_shr:4 row_mask:0xf bank_mask:0xf
	v_mov_b32_dpp v25, v10 row_shr:4 row_mask:0xf bank_mask:0xf
	s_wait_alu 0xf1ff
	s_delay_alu instid0(VALU_DEP_2) | instskip(NEXT) | instid1(VALU_DEP_2)
	v_cndmask_b32_e64 v12, 0, v12, s0
	v_cndmask_b32_e64 v25, 0, v25, s0
	s_delay_alu instid0(VALU_DEP_2) | instskip(NEXT) | instid1(VALU_DEP_2)
	v_add_nc_u32_e32 v9, v12, v9
	v_add_nc_u32_e32 v10, v25, v10
	ds_store_b64 v11, v[9:10]
.LBB772_145:
	s_wait_alu 0xfffe
	s_or_b32 exec_lo, exec_lo, s1
	v_dual_mov_b32 v11, 0 :: v_dual_mov_b32 v10, 0
	v_mov_b32_e32 v9, 0
	s_mov_b32 s1, exec_lo
	s_wait_loadcnt_dscnt 0x0
	s_barrier_signal -1
	s_barrier_wait -1
	global_inv scope:SCOPE_SE
	v_cmpx_lt_u32_e32 31, v0
; %bb.146:
	v_lshl_add_u32 v9, v80, 3, -8
	ds_load_b64 v[9:10], v9
; %bb.147:
	s_wait_alu 0xfffe
	s_or_b32 exec_lo, exec_lo, s1
	v_sub_co_u32 v12, s0, v79, 1
	v_dual_cndmask_b32 v6, v8, v6 :: v_dual_cndmask_b32 v5, v7, v5
	s_delay_alu instid0(VALU_DEP_2) | instskip(SKIP_1) | instid1(VALU_DEP_2)
	v_cmp_gt_i32_e64 s1, 0, v12
	s_wait_dscnt 0x0
	v_add_nc_u32_e32 v6, v9, v6
	s_delay_alu instid0(VALU_DEP_3) | instskip(SKIP_2) | instid1(VALU_DEP_1)
	v_add_nc_u32_e32 v5, v10, v5
	s_wait_alu 0xf1ff
	v_cndmask_b32_e64 v8, v12, v79, s1
	v_lshlrev_b32_e32 v7, 2, v8
	ds_bpermute_b32 v12, v7, v6
	ds_bpermute_b32 v25, v7, v5
	ds_load_b64 v[5:6], v11 offset:56
	s_and_saveexec_b32 s1, s2
	s_cbranch_execz .LBB772_149
; %bb.148:
	s_add_nc_u64 s[4:5], s[36:37], 0x200
	v_dual_mov_b32 v7, 2 :: v_dual_mov_b32 v8, 0
	s_wait_alu 0xfffe
	v_dual_mov_b32 v27, s5 :: v_dual_mov_b32 v26, s4
	s_wait_dscnt 0x0
	;;#ASMSTART
	global_store_b128 v[26:27], v[5:8] off scope:SCOPE_DEV	
s_wait_storecnt 0x0
	;;#ASMEND
.LBB772_149:
	s_wait_alu 0xfffe
	s_or_b32 exec_lo, exec_lo, s1
	s_wait_dscnt 0x1
	v_cndmask_b32_e64 v7, v25, v10, s0
	v_cndmask_b32_e64 v9, v12, v9, s0
	v_mov_b32_e32 v8, 0
	s_wait_loadcnt_dscnt 0x0
	s_barrier_signal -1
	v_cndmask_b32_e64 v29, v7, 0, s2
	v_cndmask_b32_e64 v86, v9, 0, s2
	v_mov_b32_e32 v7, 0
	s_barrier_wait -1
	global_inv scope:SCOPE_SE
.LBB772_150:
	v_lshrrev_b32_e32 v81, 8, v54
	s_wait_dscnt 0x0
	v_add_co_u32 v1, vcc_lo, v1, v7
	s_wait_alu 0xfffd
	v_add_co_ci_u32_e64 v2, null, 0, v2, vcc_lo
	v_and_b32_e32 v81, 1, v81
	v_sub_co_u32 v84, vcc_lo, v3, v5
	s_wait_alu 0xfffd
	v_subrev_co_ci_u32_e64 v85, null, 0, v4, vcc_lo
	s_delay_alu instid0(VALU_DEP_3)
	v_cmp_eq_u32_e32 vcc_lo, 1, v81
	v_add_nc_u32_e32 v78, v29, v78
	v_sub_nc_u32_e32 v29, v29, v8
	v_lshlrev_b32_e32 v87, 1, v5
	v_lshrrev_b32_e32 v79, 16, v54
	v_lshrrev_b32_e32 v80, 8, v47
	v_add_nc_u32_e32 v75, v78, v75
	v_sub_nc_u32_e32 v78, v78, v8
	v_add_nc_u32_e32 v29, v29, v5
	v_add3_u32 v90, v87, v6, v46
	v_and_b32_e32 v79, 1, v79
	v_lshrrev_b32_e32 v30, 16, v47
	v_add_nc_u32_e32 v78, v78, v5
	v_add_nc_u32_e32 v77, v86, v77
	v_sub_nc_u32_e32 v86, v86, v7
	v_and_b32_e32 v47, 1, v47
	v_and_b32_e32 v80, 1, v80
	v_and_b32_e32 v30, 1, v30
	v_add_nc_u32_e32 v74, v77, v74
	v_sub_nc_u32_e32 v77, v77, v7
	v_add_nc_u32_e32 v46, v86, v29
	v_lshrrev_b32_e32 v28, 8, v48
	v_lshrrev_b32_e32 v27, 16, v48
	v_and_b32_e32 v48, 1, v48
	v_add_nc_u32_e32 v91, v78, v77
	v_sub_nc_u32_e32 v46, v90, v46
	v_and_b32_e32 v28, 1, v28
	v_lshrrev_b32_e32 v25, 16, v49
	v_lshrrev_b32_e32 v26, 8, v49
	v_sub_nc_u32_e32 v91, v90, v91
	s_wait_alu 0xfffd
	v_cndmask_b32_e32 v29, v46, v29, vcc_lo
	v_cmp_eq_u32_e32 vcc_lo, 1, v79
	v_lshrrev_b32_e32 v12, 8, v51
	v_and_b32_e32 v26, 1, v26
	v_add_nc_u32_e32 v91, 1, v91
	v_lshrrev_b32_e32 v10, 16, v51
	v_lshrrev_b32_e32 v11, 8, v52
	v_and_b32_e32 v12, 1, v12
	v_lshrrev_b32_e32 v9, 16, v52
	s_wait_alu 0xfffd
	v_cndmask_b32_e32 v46, v91, v78, vcc_lo
	v_cmp_eq_u32_e32 vcc_lo, 1, v47
	v_add_nc_u32_e32 v82, v75, v60
	v_sub_nc_u32_e32 v75, v75, v8
	v_and_b32_e32 v60, 1, v60
	v_and_b32_e32 v10, 1, v10
	s_wait_alu 0xfffd
	v_cndmask_b32_e32 v29, v29, v86, vcc_lo
	v_cmp_eq_u32_e32 vcc_lo, 1, v80
	v_add_nc_u32_e32 v75, v75, v5
	v_sub_nc_u32_e32 v80, v82, v8
	v_and_b32_e32 v11, 1, v11
	v_lshlrev_b32_e32 v29, 2, v29
	s_wait_alu 0xfffd
	v_cndmask_b32_e32 v77, v46, v77, vcc_lo
	v_add_nc_u32_e32 v76, v74, v76
	v_sub_nc_u32_e32 v74, v74, v7
	v_add_co_u32 v46, vcc_lo, v84, v8
	s_wait_alu 0xfffd
	v_add_co_ci_u32_e64 v47, null, 0, v85, vcc_lo
	s_delay_alu instid0(VALU_DEP_3)
	v_add_nc_u32_e32 v79, v75, v74
	v_cmp_eq_u32_e32 vcc_lo, 1, v60
	v_add_nc_u32_e32 v83, v76, v59
	v_lshlrev_b32_e32 v77, 2, v77
	ds_store_b32 v29, v23
	ds_store_b32 v77, v24
	v_sub_nc_u32_e32 v79, v90, v79
	v_and_b32_e32 v9, 1, v9
	s_delay_alu instid0(VALU_DEP_2) | instskip(SKIP_1) | instid1(VALU_DEP_1)
	v_add_nc_u32_e32 v79, 2, v79
	s_wait_alu 0xfffd
	v_dual_cndmask_b32 v60, v79, v75 :: v_dual_add_nc_u32 v73, v82, v73
	s_delay_alu instid0(VALU_DEP_1)
	v_add_nc_u32_e32 v72, v73, v72
	v_sub_nc_u32_e32 v75, v76, v7
	v_sub_nc_u32_e32 v73, v73, v8
	v_add_nc_u32_e32 v76, v80, v5
	v_cmp_eq_u32_e32 vcc_lo, 1, v30
	s_wait_alu 0xfffd
	s_delay_alu instid0(VALU_DEP_3)
	v_dual_cndmask_b32 v30, v60, v74 :: v_dual_add_nc_u32 v73, v73, v5
	v_sub_nc_u32_e32 v60, v83, v7
	v_add_nc_u32_e32 v74, v75, v76
	v_cmp_eq_u32_e32 vcc_lo, 1, v48
	v_and_b32_e32 v48, 1, v49
	v_lshlrev_b32_e32 v23, 2, v30
	v_add_nc_u32_e32 v24, v60, v73
	v_sub_nc_u32_e32 v29, v90, v74
	v_and_b32_e32 v30, 1, v59
	v_sub_nc_u32_e32 v59, v72, v8
	ds_store_b32 v23, v21
	v_sub_nc_u32_e32 v24, v90, v24
	v_add_nc_u32_e32 v29, 3, v29
	v_and_b32_e32 v23, 1, v27
	v_add_nc_u32_e32 v59, v59, v5
	s_delay_alu instid0(VALU_DEP_4)
	v_add_nc_u32_e32 v24, 4, v24
	s_wait_alu 0xfffd
	v_cndmask_b32_e32 v29, v29, v76, vcc_lo
	v_cmp_eq_u32_e32 vcc_lo, 1, v28
	s_wait_alu 0xfffd
	v_dual_cndmask_b32 v24, v24, v73 :: v_dual_add_nc_u32 v71, v83, v71
	s_delay_alu instid0(VALU_DEP_1) | instskip(SKIP_2) | instid1(VALU_DEP_3)
	v_add_nc_u32_e32 v69, v71, v69
	v_sub_nc_u32_e32 v71, v71, v7
	v_cmp_eq_u32_e32 vcc_lo, 1, v30
	v_add_nc_u32_e32 v65, v69, v65
	s_delay_alu instid0(VALU_DEP_3)
	v_add_nc_u32_e32 v49, v71, v59
	s_wait_alu 0xfffd
	v_cndmask_b32_e32 v28, v29, v75, vcc_lo
	v_cmp_eq_u32_e32 vcc_lo, 1, v48
	v_add_nc_u32_e32 v89, v65, v57
	v_sub_nc_u32_e32 v29, v90, v49
	s_delay_alu instid0(VALU_DEP_4)
	v_lshlrev_b32_e32 v21, 2, v28
	s_wait_alu 0xfffd
	v_cndmask_b32_e32 v24, v24, v60, vcc_lo
	v_cmp_eq_u32_e32 vcc_lo, 1, v23
	v_sub_nc_u32_e32 v48, v89, v7
	v_add_nc_u32_e32 v27, 5, v29
	v_add_nc_u32_e32 v66, v89, v66
	v_lshlrev_b32_e32 v24, 2, v24
	ds_store_b32 v21, v22
	ds_store_b32 v24, v19
	s_wait_alu 0xfffd
	v_cndmask_b32_e32 v23, v27, v59, vcc_lo
	v_cmp_eq_u32_e32 vcc_lo, 1, v26
	v_sub_nc_u32_e32 v27, v69, v7
	v_sub_nc_u32_e32 v26, v65, v7
	v_and_b32_e32 v24, 1, v58
	v_add_nc_u32_e32 v63, v66, v63
	s_wait_alu 0xfffd
	v_dual_cndmask_b32 v23, v23, v71 :: v_dual_add_nc_u32 v70, v72, v70
	s_delay_alu instid0(VALU_DEP_3) | instskip(SKIP_1) | instid1(VALU_DEP_3)
	v_cmp_eq_u32_e32 vcc_lo, 1, v24
	v_and_b32_e32 v24, 1, v57
	v_lshlrev_b32_e32 v19, 2, v23
	s_delay_alu instid0(VALU_DEP_4) | instskip(SKIP_3) | instid1(VALU_DEP_4)
	v_add_nc_u32_e32 v88, v70, v58
	v_sub_nc_u32_e32 v28, v70, v8
	v_and_b32_e32 v23, 1, v25
	v_add_nc_u32_e32 v62, v63, v62
	v_sub_nc_u32_e32 v29, v88, v8
	s_delay_alu instid0(VALU_DEP_4) | instskip(SKIP_1) | instid1(VALU_DEP_4)
	v_add_nc_u32_e32 v28, v28, v5
	v_add_nc_u32_e32 v68, v88, v68
	v_add_nc_u32_e32 v78, v62, v55
	s_delay_alu instid0(VALU_DEP_4) | instskip(NEXT) | instid1(VALU_DEP_4)
	v_add_nc_u32_e32 v29, v29, v5
	v_add_nc_u32_e32 v30, v27, v28
	s_delay_alu instid0(VALU_DEP_4) | instskip(SKIP_1) | instid1(VALU_DEP_4)
	v_sub_nc_u32_e32 v25, v68, v8
	v_add_nc_u32_e32 v67, v68, v67
	v_add_nc_u32_e32 v21, v26, v29
	s_delay_alu instid0(VALU_DEP_4)
	v_sub_nc_u32_e32 v22, v90, v30
	v_and_b32_e32 v30, 1, v51
	v_add_nc_u32_e32 v25, v25, v5
	v_add_nc_u32_e32 v64, v67, v64
	v_sub_nc_u32_e32 v21, v90, v21
	v_add_nc_u32_e32 v22, 6, v22
	s_delay_alu instid0(VALU_DEP_3) | instskip(SKIP_1) | instid1(VALU_DEP_2)
	v_add_nc_u32_e32 v92, v64, v56
	s_wait_alu 0xfffd
	v_dual_cndmask_b32 v22, v22, v28 :: v_dual_add_nc_u32 v21, 7, v21
	v_cmp_eq_u32_e32 vcc_lo, 1, v30
	v_add_nc_u32_e32 v28, v48, v25
	v_add_nc_u32_e32 v61, v92, v61
	s_wait_alu 0xfffd
	v_cndmask_b32_e32 v21, v21, v29, vcc_lo
	v_cmp_eq_u32_e32 vcc_lo, 1, v23
	v_sub_nc_u32_e32 v23, v90, v28
	s_wait_alu 0xfffd
	v_cndmask_b32_e32 v22, v22, v27, vcc_lo
	v_cmp_eq_u32_e32 vcc_lo, 1, v24
	v_sub_nc_u32_e32 v24, v67, v8
	v_add_nc_u32_e32 v23, 8, v23
	v_sub_nc_u32_e32 v27, v66, v7
	v_lshlrev_b32_e32 v22, 2, v22
	s_wait_alu 0xfffd
	v_dual_cndmask_b32 v21, v21, v26 :: v_dual_add_nc_u32 v24, v24, v5
	v_cmp_eq_u32_e32 vcc_lo, 1, v12
	v_and_b32_e32 v26, 1, v52
	s_delay_alu instid0(VALU_DEP_3)
	v_lshlrev_b32_e32 v21, 2, v21
	ds_store_b32 v19, v20
	ds_store_b32 v22, v17
	;; [unrolled: 1-line block ×3, first 2 shown]
	s_wait_alu 0xfffd
	v_cndmask_b32_e32 v12, v23, v25, vcc_lo
	v_add_nc_u32_e32 v23, v27, v24
	v_cmp_eq_u32_e32 vcc_lo, 1, v26
	v_sub_nc_u32_e32 v18, v64, v8
	v_sub_nc_u32_e32 v19, v63, v7
	;; [unrolled: 1-line block ×4, first 2 shown]
	s_wait_alu 0xfffd
	v_cndmask_b32_e32 v12, v12, v48, vcc_lo
	v_add_nc_u32_e32 v18, v18, v5
	v_cmp_eq_u32_e32 vcc_lo, 1, v10
	v_add_nc_u32_e32 v20, v20, v5
	v_add_nc_u32_e32 v17, 9, v17
	v_lshlrev_b32_e32 v12, 2, v12
	v_add_nc_u32_e32 v21, v19, v18
	v_and_b32_e32 v22, 1, v50
	s_wait_alu 0xfffd
	v_cndmask_b32_e32 v10, v17, v24, vcc_lo
	v_sub_nc_u32_e32 v17, v62, v7
	ds_store_b32 v12, v15
	v_cmp_eq_u32_e32 vcc_lo, 1, v11
	v_sub_nc_u32_e32 v12, v90, v21
	v_and_b32_e32 v15, 1, v56
	v_add_nc_u32_e32 v11, v17, v20
	v_sub_nc_u32_e32 v21, v61, v8
	s_wait_alu 0xfffd
	v_cndmask_b32_e32 v10, v10, v27, vcc_lo
	v_add_nc_u32_e32 v12, 10, v12
	v_cmp_eq_u32_e32 vcc_lo, 1, v15
	v_sub_nc_u32_e32 v11, v90, v11
	v_sub_nc_u32_e32 v7, v78, v7
	v_add_nc_u32_e32 v21, v21, v5
	s_wait_alu 0xfffd
	v_dual_cndmask_b32 v12, v12, v18 :: v_dual_and_b32 v15, 1, v55
	v_add_nc_u32_e32 v11, 11, v11
	v_cmp_eq_u32_e32 vcc_lo, 1, v22
	v_add_nc_u32_e32 v18, v7, v21
	s_wait_alu 0xfffd
	s_delay_alu instid0(VALU_DEP_3)
	v_dual_cndmask_b32 v11, v11, v20 :: v_dual_lshlrev_b32 v10, 2, v10
	v_cmp_eq_u32_e32 vcc_lo, 1, v9
	s_wait_alu 0xfffd
	v_cndmask_b32_e32 v9, v12, v19, vcc_lo
	v_cmp_eq_u32_e32 vcc_lo, 1, v15
	v_sub_nc_u32_e32 v12, v90, v18
	v_and_b32_e32 v15, 1, v53
	s_delay_alu instid0(VALU_DEP_4) | instskip(SKIP_1) | instid1(VALU_DEP_3)
	v_lshlrev_b32_e32 v9, 2, v9
	s_wait_alu 0xfffd
	v_dual_cndmask_b32 v11, v11, v17 :: v_dual_add_nc_u32 v12, 12, v12
	v_and_b32_e32 v17, 1, v54
	v_cmp_eq_u32_e32 vcc_lo, 1, v15
	s_delay_alu instid0(VALU_DEP_3)
	v_lshlrev_b32_e32 v11, 2, v11
	ds_store_b32 v10, v16
	ds_store_b32 v9, v13
	;; [unrolled: 1-line block ×3, first 2 shown]
	s_wait_alu 0xfffd
	v_cndmask_b32_e32 v12, v12, v21, vcc_lo
	v_cmp_eq_u32_e32 vcc_lo, 1, v17
	v_add_co_u32 v9, s0, v6, v87
	s_wait_alu 0xf1ff
	v_add_co_ci_u32_e64 v10, null, 0, 0, s0
	s_wait_alu 0xfffd
	v_cndmask_b32_e32 v7, v12, v7, vcc_lo
	v_add_co_u32 v9, vcc_lo, v9, v46
	s_wait_alu 0xfffd
	v_add_co_ci_u32_e64 v10, null, v10, v47, vcc_lo
	s_delay_alu instid0(VALU_DEP_3)
	v_lshlrev_b32_e32 v7, 2, v7
	v_add_co_u32 v11, s0, s34, v43
	v_add_co_u32 v9, vcc_lo, v9, v1
	s_wait_alu 0xf1ff
	v_add_co_ci_u32_e64 v12, null, s35, 0, s0
	s_wait_alu 0xfffd
	v_add_co_ci_u32_e64 v10, null, v10, v2, vcc_lo
	ds_store_b32 v7, v45
	v_sub_co_u32 v7, vcc_lo, v11, v9
	s_wait_alu 0xfffd
	v_sub_co_ci_u32_e64 v13, null, v12, v10, vcc_lo
	v_lshlrev_b64_e32 v[9:10], 2, v[46:47]
	v_lshlrev_b64_e32 v[11:12], 2, v[1:2]
	v_add_nc_u32_e32 v14, v5, v6
	s_wait_loadcnt_dscnt 0x0
	s_barrier_signal -1
	s_barrier_wait -1
	v_add_co_u32 v9, vcc_lo, s30, v9
	s_wait_alu 0xfffd
	v_add_co_ci_u32_e64 v10, null, s31, v10, vcc_lo
	v_cmp_ne_u32_e32 vcc_lo, 1, v44
	v_add_co_u32 v11, s0, s28, v11
	s_wait_alu 0xf1ff
	v_add_co_ci_u32_e64 v12, null, s29, v12, s0
	s_mov_b32 s0, -1
	global_inv scope:SCOPE_SE
	s_cbranch_vccz .LBB772_154
; %bb.151:
	s_wait_alu 0xfffe
	s_and_b32 vcc_lo, exec_lo, s0
	s_wait_alu 0xfffe
	s_cbranch_vccnz .LBB772_259
.LBB772_152:
	s_and_b32 s0, s2, s26
	s_wait_alu 0xfffe
	s_and_saveexec_b32 s1, s0
	s_cbranch_execnz .LBB772_377
.LBB772_153:
	s_nop 0
	s_sendmsg sendmsg(MSG_DEALLOC_VGPRS)
	s_endpgm
.LBB772_154:
	s_mov_b32 s0, exec_lo
	v_cmpx_ge_u32_e64 v0, v5
	s_wait_alu 0xfffe
	s_xor_b32 s0, exec_lo, s0
	s_cbranch_execz .LBB772_160
; %bb.155:
	s_mov_b32 s1, exec_lo
	v_cmpx_ge_u32_e64 v0, v14
	s_wait_alu 0xfffe
	s_xor_b32 s1, exec_lo, s1
	s_cbranch_execz .LBB772_157
; %bb.156:
	v_lshlrev_b32_e32 v15, 2, v0
	ds_load_b32 v17, v15
	v_add_co_u32 v15, vcc_lo, v7, v0
	s_wait_alu 0xfffd
	v_add_co_ci_u32_e64 v16, null, 0, v13, vcc_lo
	s_delay_alu instid0(VALU_DEP_1) | instskip(NEXT) | instid1(VALU_DEP_1)
	v_lshlrev_b64_e32 v[15:16], 2, v[15:16]
	v_sub_co_u32 v15, vcc_lo, s14, v15
	s_wait_alu 0xfffd
	s_delay_alu instid0(VALU_DEP_2)
	v_sub_co_ci_u32_e64 v16, null, s15, v16, vcc_lo
	s_wait_dscnt 0x0
	global_store_b32 v[15:16], v17, off offset:-4
.LBB772_157:
	s_wait_alu 0xfffe
	s_and_not1_saveexec_b32 s1, s1
	s_cbranch_execz .LBB772_159
; %bb.158:
	v_lshlrev_b32_e32 v15, 2, v0
	v_readfirstlane_b32 s4, v9
	v_readfirstlane_b32 s5, v10
	ds_load_b32 v16, v15
	s_wait_dscnt 0x0
	global_store_b32 v15, v16, s[4:5]
.LBB772_159:
	s_wait_alu 0xfffe
	s_or_b32 exec_lo, exec_lo, s1
.LBB772_160:
	s_wait_alu 0xfffe
	s_and_not1_saveexec_b32 s0, s0
	s_cbranch_execz .LBB772_162
; %bb.161:
	v_lshlrev_b32_e32 v15, 2, v0
	v_readfirstlane_b32 s4, v11
	v_readfirstlane_b32 s5, v12
	ds_load_b32 v16, v15
	s_wait_dscnt 0x0
	global_store_b32 v15, v16, s[4:5]
.LBB772_162:
	s_wait_alu 0xfffe
	s_or_b32 exec_lo, exec_lo, s0
	s_delay_alu instid0(SALU_CYCLE_1)
	s_mov_b32 s0, exec_lo
	v_cmpx_ge_u32_e64 v42, v5
	s_wait_alu 0xfffe
	s_xor_b32 s0, exec_lo, s0
	s_cbranch_execz .LBB772_168
; %bb.163:
	s_mov_b32 s1, exec_lo
	v_cmpx_ge_u32_e64 v42, v14
	s_wait_alu 0xfffe
	s_xor_b32 s1, exec_lo, s1
	s_cbranch_execz .LBB772_165
; %bb.164:
	v_lshlrev_b32_e32 v15, 2, v0
	ds_load_b32 v17, v15 offset:1024
	v_add_co_u32 v15, vcc_lo, v7, v0
	s_wait_alu 0xfffd
	v_add_co_ci_u32_e64 v16, null, 0, v13, vcc_lo
	s_delay_alu instid0(VALU_DEP_1) | instskip(NEXT) | instid1(VALU_DEP_1)
	v_lshlrev_b64_e32 v[15:16], 2, v[15:16]
	v_sub_co_u32 v15, vcc_lo, s14, v15
	s_wait_alu 0xfffd
	s_delay_alu instid0(VALU_DEP_2)
	v_sub_co_ci_u32_e64 v16, null, s15, v16, vcc_lo
	s_wait_dscnt 0x0
	global_store_b32 v[15:16], v17, off offset:-1028
.LBB772_165:
	s_wait_alu 0xfffe
	s_and_not1_saveexec_b32 s1, s1
	s_cbranch_execz .LBB772_167
; %bb.166:
	v_lshlrev_b32_e32 v15, 2, v0
	v_readfirstlane_b32 s4, v9
	v_readfirstlane_b32 s5, v10
	ds_load_b32 v16, v15 offset:1024
	s_wait_dscnt 0x0
	global_store_b32 v15, v16, s[4:5] offset:1024
.LBB772_167:
	s_wait_alu 0xfffe
	s_or_b32 exec_lo, exec_lo, s1
.LBB772_168:
	s_wait_alu 0xfffe
	s_and_not1_saveexec_b32 s0, s0
	s_cbranch_execz .LBB772_170
; %bb.169:
	v_lshlrev_b32_e32 v15, 2, v0
	v_readfirstlane_b32 s4, v11
	v_readfirstlane_b32 s5, v12
	ds_load_b32 v16, v15 offset:1024
	s_wait_dscnt 0x0
	global_store_b32 v15, v16, s[4:5] offset:1024
.LBB772_170:
	s_wait_alu 0xfffe
	s_or_b32 exec_lo, exec_lo, s0
	s_delay_alu instid0(SALU_CYCLE_1)
	s_mov_b32 s0, exec_lo
	v_cmpx_ge_u32_e64 v41, v5
	s_wait_alu 0xfffe
	s_xor_b32 s0, exec_lo, s0
	s_cbranch_execz .LBB772_176
; %bb.171:
	s_mov_b32 s1, exec_lo
	v_cmpx_ge_u32_e64 v41, v14
	s_wait_alu 0xfffe
	s_xor_b32 s1, exec_lo, s1
	s_cbranch_execz .LBB772_173
; %bb.172:
	v_lshlrev_b32_e32 v15, 2, v0
	ds_load_b32 v17, v15 offset:2048
	v_add_co_u32 v15, vcc_lo, v7, v0
	s_wait_alu 0xfffd
	v_add_co_ci_u32_e64 v16, null, 0, v13, vcc_lo
	s_delay_alu instid0(VALU_DEP_1) | instskip(NEXT) | instid1(VALU_DEP_1)
	v_lshlrev_b64_e32 v[15:16], 2, v[15:16]
	v_sub_co_u32 v15, vcc_lo, s14, v15
	s_wait_alu 0xfffd
	s_delay_alu instid0(VALU_DEP_2)
	v_sub_co_ci_u32_e64 v16, null, s15, v16, vcc_lo
	s_wait_dscnt 0x0
	global_store_b32 v[15:16], v17, off offset:-2052
.LBB772_173:
	s_wait_alu 0xfffe
	s_and_not1_saveexec_b32 s1, s1
	s_cbranch_execz .LBB772_175
; %bb.174:
	v_lshlrev_b32_e32 v15, 2, v0
	v_readfirstlane_b32 s4, v9
	v_readfirstlane_b32 s5, v10
	ds_load_b32 v16, v15 offset:2048
	s_wait_dscnt 0x0
	global_store_b32 v15, v16, s[4:5] offset:2048
.LBB772_175:
	s_wait_alu 0xfffe
	s_or_b32 exec_lo, exec_lo, s1
.LBB772_176:
	s_wait_alu 0xfffe
	s_and_not1_saveexec_b32 s0, s0
	s_cbranch_execz .LBB772_178
; %bb.177:
	v_lshlrev_b32_e32 v15, 2, v0
	v_readfirstlane_b32 s4, v11
	v_readfirstlane_b32 s5, v12
	ds_load_b32 v16, v15 offset:2048
	s_wait_dscnt 0x0
	global_store_b32 v15, v16, s[4:5] offset:2048
.LBB772_178:
	;; [unrolled: 54-line block ×12, first 2 shown]
	s_wait_alu 0xfffe
	s_or_b32 exec_lo, exec_lo, s0
	s_branch .LBB772_152
.LBB772_259:
	s_mov_b32 s0, exec_lo
	v_cmpx_gt_u32_e64 s27, v0
	s_cbranch_execz .LBB772_268
; %bb.260:
	s_mov_b32 s1, exec_lo
	v_cmpx_ge_u32_e64 v0, v5
	s_wait_alu 0xfffe
	s_xor_b32 s1, exec_lo, s1
	s_cbranch_execz .LBB772_266
; %bb.261:
	s_mov_b32 s3, exec_lo
	v_cmpx_ge_u32_e64 v0, v14
	s_wait_alu 0xfffe
	s_xor_b32 s3, exec_lo, s3
	s_cbranch_execz .LBB772_263
; %bb.262:
	v_lshlrev_b32_e32 v15, 2, v0
	ds_load_b32 v17, v15
	v_add_co_u32 v15, vcc_lo, v7, v0
	s_wait_alu 0xfffd
	v_add_co_ci_u32_e64 v16, null, 0, v13, vcc_lo
	s_delay_alu instid0(VALU_DEP_1) | instskip(NEXT) | instid1(VALU_DEP_1)
	v_lshlrev_b64_e32 v[15:16], 2, v[15:16]
	v_sub_co_u32 v15, vcc_lo, s14, v15
	s_wait_alu 0xfffd
	s_delay_alu instid0(VALU_DEP_2)
	v_sub_co_ci_u32_e64 v16, null, s15, v16, vcc_lo
	s_wait_dscnt 0x0
	global_store_b32 v[15:16], v17, off offset:-4
.LBB772_263:
	s_wait_alu 0xfffe
	s_and_not1_saveexec_b32 s3, s3
	s_cbranch_execz .LBB772_265
; %bb.264:
	v_lshlrev_b32_e32 v15, 2, v0
	v_readfirstlane_b32 s4, v9
	v_readfirstlane_b32 s5, v10
	ds_load_b32 v16, v15
	s_wait_dscnt 0x0
	global_store_b32 v15, v16, s[4:5]
.LBB772_265:
	s_wait_alu 0xfffe
	s_or_b32 exec_lo, exec_lo, s3
.LBB772_266:
	s_wait_alu 0xfffe
	s_and_not1_saveexec_b32 s1, s1
	s_cbranch_execz .LBB772_268
; %bb.267:
	v_lshlrev_b32_e32 v15, 2, v0
	v_readfirstlane_b32 s4, v11
	v_readfirstlane_b32 s5, v12
	ds_load_b32 v16, v15
	s_wait_dscnt 0x0
	global_store_b32 v15, v16, s[4:5]
.LBB772_268:
	s_wait_alu 0xfffe
	s_or_b32 exec_lo, exec_lo, s0
	s_delay_alu instid0(SALU_CYCLE_1)
	s_mov_b32 s0, exec_lo
	v_cmpx_gt_u32_e64 s27, v42
	s_cbranch_execz .LBB772_277
; %bb.269:
	s_mov_b32 s1, exec_lo
	v_cmpx_ge_u32_e64 v42, v5
	s_wait_alu 0xfffe
	s_xor_b32 s1, exec_lo, s1
	s_cbranch_execz .LBB772_275
; %bb.270:
	s_mov_b32 s3, exec_lo
	v_cmpx_ge_u32_e64 v42, v14
	s_wait_alu 0xfffe
	s_xor_b32 s3, exec_lo, s3
	s_cbranch_execz .LBB772_272
; %bb.271:
	v_lshlrev_b32_e32 v15, 2, v0
	ds_load_b32 v17, v15 offset:1024
	v_add_co_u32 v15, vcc_lo, v7, v0
	s_wait_alu 0xfffd
	v_add_co_ci_u32_e64 v16, null, 0, v13, vcc_lo
	s_delay_alu instid0(VALU_DEP_1) | instskip(NEXT) | instid1(VALU_DEP_1)
	v_lshlrev_b64_e32 v[15:16], 2, v[15:16]
	v_sub_co_u32 v15, vcc_lo, s14, v15
	s_wait_alu 0xfffd
	s_delay_alu instid0(VALU_DEP_2)
	v_sub_co_ci_u32_e64 v16, null, s15, v16, vcc_lo
	s_wait_dscnt 0x0
	global_store_b32 v[15:16], v17, off offset:-1028
.LBB772_272:
	s_wait_alu 0xfffe
	s_and_not1_saveexec_b32 s3, s3
	s_cbranch_execz .LBB772_274
; %bb.273:
	v_lshlrev_b32_e32 v15, 2, v0
	v_readfirstlane_b32 s4, v9
	v_readfirstlane_b32 s5, v10
	ds_load_b32 v16, v15 offset:1024
	s_wait_dscnt 0x0
	global_store_b32 v15, v16, s[4:5] offset:1024
.LBB772_274:
	s_wait_alu 0xfffe
	s_or_b32 exec_lo, exec_lo, s3
.LBB772_275:
	s_wait_alu 0xfffe
	s_and_not1_saveexec_b32 s1, s1
	s_cbranch_execz .LBB772_277
; %bb.276:
	v_lshlrev_b32_e32 v15, 2, v0
	v_readfirstlane_b32 s4, v11
	v_readfirstlane_b32 s5, v12
	ds_load_b32 v16, v15 offset:1024
	s_wait_dscnt 0x0
	global_store_b32 v15, v16, s[4:5] offset:1024
.LBB772_277:
	s_wait_alu 0xfffe
	s_or_b32 exec_lo, exec_lo, s0
	s_delay_alu instid0(SALU_CYCLE_1)
	s_mov_b32 s0, exec_lo
	v_cmpx_gt_u32_e64 s27, v41
	s_cbranch_execz .LBB772_286
; %bb.278:
	s_mov_b32 s1, exec_lo
	v_cmpx_ge_u32_e64 v41, v5
	s_wait_alu 0xfffe
	s_xor_b32 s1, exec_lo, s1
	s_cbranch_execz .LBB772_284
; %bb.279:
	s_mov_b32 s3, exec_lo
	v_cmpx_ge_u32_e64 v41, v14
	s_wait_alu 0xfffe
	s_xor_b32 s3, exec_lo, s3
	s_cbranch_execz .LBB772_281
; %bb.280:
	v_lshlrev_b32_e32 v15, 2, v0
	ds_load_b32 v17, v15 offset:2048
	v_add_co_u32 v15, vcc_lo, v7, v0
	s_wait_alu 0xfffd
	v_add_co_ci_u32_e64 v16, null, 0, v13, vcc_lo
	s_delay_alu instid0(VALU_DEP_1) | instskip(NEXT) | instid1(VALU_DEP_1)
	v_lshlrev_b64_e32 v[15:16], 2, v[15:16]
	v_sub_co_u32 v15, vcc_lo, s14, v15
	s_wait_alu 0xfffd
	s_delay_alu instid0(VALU_DEP_2)
	v_sub_co_ci_u32_e64 v16, null, s15, v16, vcc_lo
	s_wait_dscnt 0x0
	global_store_b32 v[15:16], v17, off offset:-2052
.LBB772_281:
	s_wait_alu 0xfffe
	s_and_not1_saveexec_b32 s3, s3
	s_cbranch_execz .LBB772_283
; %bb.282:
	v_lshlrev_b32_e32 v15, 2, v0
	v_readfirstlane_b32 s4, v9
	v_readfirstlane_b32 s5, v10
	ds_load_b32 v16, v15 offset:2048
	s_wait_dscnt 0x0
	global_store_b32 v15, v16, s[4:5] offset:2048
.LBB772_283:
	s_wait_alu 0xfffe
	s_or_b32 exec_lo, exec_lo, s3
.LBB772_284:
	s_wait_alu 0xfffe
	s_and_not1_saveexec_b32 s1, s1
	s_cbranch_execz .LBB772_286
; %bb.285:
	v_lshlrev_b32_e32 v15, 2, v0
	v_readfirstlane_b32 s4, v11
	v_readfirstlane_b32 s5, v12
	ds_load_b32 v16, v15 offset:2048
	s_wait_dscnt 0x0
	global_store_b32 v15, v16, s[4:5] offset:2048
.LBB772_286:
	;; [unrolled: 58-line block ×11, first 2 shown]
	s_wait_alu 0xfffe
	s_or_b32 exec_lo, exec_lo, s0
	s_delay_alu instid0(SALU_CYCLE_1)
	s_mov_b32 s0, exec_lo
	v_cmpx_gt_u32_e64 s27, v31
	s_cbranch_execz .LBB772_376
; %bb.368:
	s_mov_b32 s1, exec_lo
	v_cmpx_ge_u32_e64 v31, v5
	s_wait_alu 0xfffe
	s_xor_b32 s1, exec_lo, s1
	s_cbranch_execz .LBB772_374
; %bb.369:
	s_mov_b32 s3, exec_lo
	v_cmpx_ge_u32_e64 v31, v14
	s_wait_alu 0xfffe
	s_xor_b32 s3, exec_lo, s3
	s_cbranch_execz .LBB772_371
; %bb.370:
	v_lshlrev_b32_e32 v9, 2, v0
	ds_load_b32 v11, v9 offset:12288
	v_add_co_u32 v9, vcc_lo, v7, v0
	s_wait_alu 0xfffd
	v_add_co_ci_u32_e64 v10, null, 0, v13, vcc_lo
                                        ; implicit-def: $vgpr0
	s_delay_alu instid0(VALU_DEP_1) | instskip(NEXT) | instid1(VALU_DEP_1)
	v_lshlrev_b64_e32 v[9:10], 2, v[9:10]
	v_sub_co_u32 v9, vcc_lo, s14, v9
	s_wait_alu 0xfffd
	s_delay_alu instid0(VALU_DEP_2)
	v_sub_co_ci_u32_e64 v10, null, s15, v10, vcc_lo
	s_wait_dscnt 0x0
	global_store_b32 v[9:10], v11, off offset:-12292
                                        ; implicit-def: $vgpr9_vgpr10
.LBB772_371:
	s_wait_alu 0xfffe
	s_and_not1_saveexec_b32 s3, s3
	s_cbranch_execz .LBB772_373
; %bb.372:
	v_lshlrev_b32_e32 v0, 2, v0
	v_readfirstlane_b32 s4, v9
	v_readfirstlane_b32 s5, v10
	ds_load_b32 v7, v0 offset:12288
	s_wait_dscnt 0x0
	global_store_b32 v0, v7, s[4:5] offset:12288
.LBB772_373:
	s_wait_alu 0xfffe
	s_or_b32 exec_lo, exec_lo, s3
                                        ; implicit-def: $vgpr0
                                        ; implicit-def: $vgpr11_vgpr12
.LBB772_374:
	s_wait_alu 0xfffe
	s_and_not1_saveexec_b32 s1, s1
	s_cbranch_execz .LBB772_376
; %bb.375:
	v_lshlrev_b32_e32 v0, 2, v0
	v_readfirstlane_b32 s4, v11
	v_readfirstlane_b32 s5, v12
	ds_load_b32 v7, v0 offset:12288
	s_wait_dscnt 0x0
	global_store_b32 v0, v7, s[4:5] offset:12288
.LBB772_376:
	s_wait_alu 0xfffe
	s_or_b32 exec_lo, exec_lo, s0
	s_and_b32 s0, s2, s26
	s_wait_alu 0xfffe
	s_and_saveexec_b32 s1, s0
	s_cbranch_execz .LBB772_153
.LBB772_377:
	v_add_co_u32 v0, vcc_lo, v3, v6
	s_wait_alu 0xfffd
	v_add_co_ci_u32_e64 v4, null, 0, v4, vcc_lo
	v_mov_b32_e32 v6, 0
	s_delay_alu instid0(VALU_DEP_3) | instskip(SKIP_1) | instid1(VALU_DEP_3)
	v_add_co_u32 v3, vcc_lo, v0, v8
	s_wait_alu 0xfffd
	v_add_co_ci_u32_e64 v4, null, 0, v4, vcc_lo
	v_add_co_u32 v1, vcc_lo, v1, v5
	s_wait_alu 0xfffd
	v_add_co_ci_u32_e64 v2, null, 0, v2, vcc_lo
	global_store_b128 v6, v[1:4], s[24:25]
	s_nop 0
	s_sendmsg sendmsg(MSG_DEALLOC_VGPRS)
	s_endpgm
.LBB772_378:
	s_add_co_i32 s6, s33, 32
	s_mov_b32 s7, 0
	v_dual_mov_b32 v11, 2 :: v_dual_add_nc_u32 v10, v8, v6
	s_wait_alu 0xfffe
	s_lshl_b64 s[6:7], s[6:7], 4
	v_dual_mov_b32 v12, 0 :: v_dual_add_nc_u32 v9, v7, v5
	s_wait_alu 0xfffe
	s_add_nc_u64 s[6:7], s[36:37], s[6:7]
	s_wait_alu 0xfffe
	v_dual_mov_b32 v28, s7 :: v_dual_mov_b32 v27, s6
	;;#ASMSTART
	global_store_b128 v[27:28], v[9:12] off scope:SCOPE_DEV	
s_wait_storecnt 0x0
	;;#ASMEND
	s_or_b32 exec_lo, exec_lo, s5
	s_and_saveexec_b32 s5, s3
	s_cbranch_execz .LBB772_138
.LBB772_379:
	v_mov_b32_e32 v9, 0
	ds_store_b128 v9, v[5:8] offset:13312
	s_wait_alu 0xfffe
	s_or_b32 exec_lo, exec_lo, s5
	s_delay_alu instid0(SALU_CYCLE_1)
	s_and_b32 exec_lo, exec_lo, s2
	s_cbranch_execnz .LBB772_139
	s_branch .LBB772_140
	.section	.rodata,"a",@progbits
	.p2align	6, 0x0
	.amdhsa_kernel _ZN7rocprim17ROCPRIM_400000_NS6detail17trampoline_kernelINS0_13select_configILj256ELj13ELNS0_17block_load_methodE3ELS4_3ELS4_3ELNS0_20block_scan_algorithmE0ELj4294967295EEENS1_25partition_config_selectorILNS1_17partition_subalgoE4EjNS0_10empty_typeEbEEZZNS1_14partition_implILS8_4ELb0ES6_15HIP_vector_typeIjLj2EENS0_17counting_iteratorIjlEEPS9_SG_NS0_5tupleIJPjSI_NS0_16reverse_iteratorISI_EEEEENSH_IJSG_SG_SG_EEES9_SI_JZNS1_25segmented_radix_sort_implINS0_14default_configELb0EPKlPlSQ_SR_N2at6native12_GLOBAL__N_18offset_tEEE10hipError_tPvRmT1_PNSt15iterator_traitsISZ_E10value_typeET2_T3_PNS10_IS15_E10value_typeET4_jRbjT5_S1B_jjP12ihipStream_tbEUljE_ZNSN_ISO_Lb0ESQ_SR_SQ_SR_SV_EESW_SX_SY_SZ_S13_S14_S15_S18_S19_jS1A_jS1B_S1B_jjS1D_bEUljE0_EEESW_SX_SY_S15_S19_S1B_T6_T7_T9_mT8_S1D_bDpT10_ENKUlT_T0_E_clISt17integral_constantIbLb0EES1Q_IbLb1EEEEDaS1M_S1N_EUlS1M_E_NS1_11comp_targetILNS1_3genE10ELNS1_11target_archE1200ELNS1_3gpuE4ELNS1_3repE0EEENS1_30default_config_static_selectorELNS0_4arch9wavefront6targetE0EEEvSZ_
		.amdhsa_group_segment_fixed_size 13328
		.amdhsa_private_segment_fixed_size 0
		.amdhsa_kernarg_size 184
		.amdhsa_user_sgpr_count 2
		.amdhsa_user_sgpr_dispatch_ptr 0
		.amdhsa_user_sgpr_queue_ptr 0
		.amdhsa_user_sgpr_kernarg_segment_ptr 1
		.amdhsa_user_sgpr_dispatch_id 0
		.amdhsa_user_sgpr_private_segment_size 0
		.amdhsa_wavefront_size32 1
		.amdhsa_uses_dynamic_stack 0
		.amdhsa_enable_private_segment 0
		.amdhsa_system_sgpr_workgroup_id_x 1
		.amdhsa_system_sgpr_workgroup_id_y 0
		.amdhsa_system_sgpr_workgroup_id_z 0
		.amdhsa_system_sgpr_workgroup_info 0
		.amdhsa_system_vgpr_workitem_id 0
		.amdhsa_next_free_vgpr 98
		.amdhsa_next_free_sgpr 55
		.amdhsa_reserve_vcc 1
		.amdhsa_float_round_mode_32 0
		.amdhsa_float_round_mode_16_64 0
		.amdhsa_float_denorm_mode_32 3
		.amdhsa_float_denorm_mode_16_64 3
		.amdhsa_fp16_overflow 0
		.amdhsa_workgroup_processor_mode 1
		.amdhsa_memory_ordered 1
		.amdhsa_forward_progress 1
		.amdhsa_inst_pref_size 151
		.amdhsa_round_robin_scheduling 0
		.amdhsa_exception_fp_ieee_invalid_op 0
		.amdhsa_exception_fp_denorm_src 0
		.amdhsa_exception_fp_ieee_div_zero 0
		.amdhsa_exception_fp_ieee_overflow 0
		.amdhsa_exception_fp_ieee_underflow 0
		.amdhsa_exception_fp_ieee_inexact 0
		.amdhsa_exception_int_div_zero 0
	.end_amdhsa_kernel
	.section	.text._ZN7rocprim17ROCPRIM_400000_NS6detail17trampoline_kernelINS0_13select_configILj256ELj13ELNS0_17block_load_methodE3ELS4_3ELS4_3ELNS0_20block_scan_algorithmE0ELj4294967295EEENS1_25partition_config_selectorILNS1_17partition_subalgoE4EjNS0_10empty_typeEbEEZZNS1_14partition_implILS8_4ELb0ES6_15HIP_vector_typeIjLj2EENS0_17counting_iteratorIjlEEPS9_SG_NS0_5tupleIJPjSI_NS0_16reverse_iteratorISI_EEEEENSH_IJSG_SG_SG_EEES9_SI_JZNS1_25segmented_radix_sort_implINS0_14default_configELb0EPKlPlSQ_SR_N2at6native12_GLOBAL__N_18offset_tEEE10hipError_tPvRmT1_PNSt15iterator_traitsISZ_E10value_typeET2_T3_PNS10_IS15_E10value_typeET4_jRbjT5_S1B_jjP12ihipStream_tbEUljE_ZNSN_ISO_Lb0ESQ_SR_SQ_SR_SV_EESW_SX_SY_SZ_S13_S14_S15_S18_S19_jS1A_jS1B_S1B_jjS1D_bEUljE0_EEESW_SX_SY_S15_S19_S1B_T6_T7_T9_mT8_S1D_bDpT10_ENKUlT_T0_E_clISt17integral_constantIbLb0EES1Q_IbLb1EEEEDaS1M_S1N_EUlS1M_E_NS1_11comp_targetILNS1_3genE10ELNS1_11target_archE1200ELNS1_3gpuE4ELNS1_3repE0EEENS1_30default_config_static_selectorELNS0_4arch9wavefront6targetE0EEEvSZ_,"axG",@progbits,_ZN7rocprim17ROCPRIM_400000_NS6detail17trampoline_kernelINS0_13select_configILj256ELj13ELNS0_17block_load_methodE3ELS4_3ELS4_3ELNS0_20block_scan_algorithmE0ELj4294967295EEENS1_25partition_config_selectorILNS1_17partition_subalgoE4EjNS0_10empty_typeEbEEZZNS1_14partition_implILS8_4ELb0ES6_15HIP_vector_typeIjLj2EENS0_17counting_iteratorIjlEEPS9_SG_NS0_5tupleIJPjSI_NS0_16reverse_iteratorISI_EEEEENSH_IJSG_SG_SG_EEES9_SI_JZNS1_25segmented_radix_sort_implINS0_14default_configELb0EPKlPlSQ_SR_N2at6native12_GLOBAL__N_18offset_tEEE10hipError_tPvRmT1_PNSt15iterator_traitsISZ_E10value_typeET2_T3_PNS10_IS15_E10value_typeET4_jRbjT5_S1B_jjP12ihipStream_tbEUljE_ZNSN_ISO_Lb0ESQ_SR_SQ_SR_SV_EESW_SX_SY_SZ_S13_S14_S15_S18_S19_jS1A_jS1B_S1B_jjS1D_bEUljE0_EEESW_SX_SY_S15_S19_S1B_T6_T7_T9_mT8_S1D_bDpT10_ENKUlT_T0_E_clISt17integral_constantIbLb0EES1Q_IbLb1EEEEDaS1M_S1N_EUlS1M_E_NS1_11comp_targetILNS1_3genE10ELNS1_11target_archE1200ELNS1_3gpuE4ELNS1_3repE0EEENS1_30default_config_static_selectorELNS0_4arch9wavefront6targetE0EEEvSZ_,comdat
.Lfunc_end772:
	.size	_ZN7rocprim17ROCPRIM_400000_NS6detail17trampoline_kernelINS0_13select_configILj256ELj13ELNS0_17block_load_methodE3ELS4_3ELS4_3ELNS0_20block_scan_algorithmE0ELj4294967295EEENS1_25partition_config_selectorILNS1_17partition_subalgoE4EjNS0_10empty_typeEbEEZZNS1_14partition_implILS8_4ELb0ES6_15HIP_vector_typeIjLj2EENS0_17counting_iteratorIjlEEPS9_SG_NS0_5tupleIJPjSI_NS0_16reverse_iteratorISI_EEEEENSH_IJSG_SG_SG_EEES9_SI_JZNS1_25segmented_radix_sort_implINS0_14default_configELb0EPKlPlSQ_SR_N2at6native12_GLOBAL__N_18offset_tEEE10hipError_tPvRmT1_PNSt15iterator_traitsISZ_E10value_typeET2_T3_PNS10_IS15_E10value_typeET4_jRbjT5_S1B_jjP12ihipStream_tbEUljE_ZNSN_ISO_Lb0ESQ_SR_SQ_SR_SV_EESW_SX_SY_SZ_S13_S14_S15_S18_S19_jS1A_jS1B_S1B_jjS1D_bEUljE0_EEESW_SX_SY_S15_S19_S1B_T6_T7_T9_mT8_S1D_bDpT10_ENKUlT_T0_E_clISt17integral_constantIbLb0EES1Q_IbLb1EEEEDaS1M_S1N_EUlS1M_E_NS1_11comp_targetILNS1_3genE10ELNS1_11target_archE1200ELNS1_3gpuE4ELNS1_3repE0EEENS1_30default_config_static_selectorELNS0_4arch9wavefront6targetE0EEEvSZ_, .Lfunc_end772-_ZN7rocprim17ROCPRIM_400000_NS6detail17trampoline_kernelINS0_13select_configILj256ELj13ELNS0_17block_load_methodE3ELS4_3ELS4_3ELNS0_20block_scan_algorithmE0ELj4294967295EEENS1_25partition_config_selectorILNS1_17partition_subalgoE4EjNS0_10empty_typeEbEEZZNS1_14partition_implILS8_4ELb0ES6_15HIP_vector_typeIjLj2EENS0_17counting_iteratorIjlEEPS9_SG_NS0_5tupleIJPjSI_NS0_16reverse_iteratorISI_EEEEENSH_IJSG_SG_SG_EEES9_SI_JZNS1_25segmented_radix_sort_implINS0_14default_configELb0EPKlPlSQ_SR_N2at6native12_GLOBAL__N_18offset_tEEE10hipError_tPvRmT1_PNSt15iterator_traitsISZ_E10value_typeET2_T3_PNS10_IS15_E10value_typeET4_jRbjT5_S1B_jjP12ihipStream_tbEUljE_ZNSN_ISO_Lb0ESQ_SR_SQ_SR_SV_EESW_SX_SY_SZ_S13_S14_S15_S18_S19_jS1A_jS1B_S1B_jjS1D_bEUljE0_EEESW_SX_SY_S15_S19_S1B_T6_T7_T9_mT8_S1D_bDpT10_ENKUlT_T0_E_clISt17integral_constantIbLb0EES1Q_IbLb1EEEEDaS1M_S1N_EUlS1M_E_NS1_11comp_targetILNS1_3genE10ELNS1_11target_archE1200ELNS1_3gpuE4ELNS1_3repE0EEENS1_30default_config_static_selectorELNS0_4arch9wavefront6targetE0EEEvSZ_
                                        ; -- End function
	.set _ZN7rocprim17ROCPRIM_400000_NS6detail17trampoline_kernelINS0_13select_configILj256ELj13ELNS0_17block_load_methodE3ELS4_3ELS4_3ELNS0_20block_scan_algorithmE0ELj4294967295EEENS1_25partition_config_selectorILNS1_17partition_subalgoE4EjNS0_10empty_typeEbEEZZNS1_14partition_implILS8_4ELb0ES6_15HIP_vector_typeIjLj2EENS0_17counting_iteratorIjlEEPS9_SG_NS0_5tupleIJPjSI_NS0_16reverse_iteratorISI_EEEEENSH_IJSG_SG_SG_EEES9_SI_JZNS1_25segmented_radix_sort_implINS0_14default_configELb0EPKlPlSQ_SR_N2at6native12_GLOBAL__N_18offset_tEEE10hipError_tPvRmT1_PNSt15iterator_traitsISZ_E10value_typeET2_T3_PNS10_IS15_E10value_typeET4_jRbjT5_S1B_jjP12ihipStream_tbEUljE_ZNSN_ISO_Lb0ESQ_SR_SQ_SR_SV_EESW_SX_SY_SZ_S13_S14_S15_S18_S19_jS1A_jS1B_S1B_jjS1D_bEUljE0_EEESW_SX_SY_S15_S19_S1B_T6_T7_T9_mT8_S1D_bDpT10_ENKUlT_T0_E_clISt17integral_constantIbLb0EES1Q_IbLb1EEEEDaS1M_S1N_EUlS1M_E_NS1_11comp_targetILNS1_3genE10ELNS1_11target_archE1200ELNS1_3gpuE4ELNS1_3repE0EEENS1_30default_config_static_selectorELNS0_4arch9wavefront6targetE0EEEvSZ_.num_vgpr, 98
	.set _ZN7rocprim17ROCPRIM_400000_NS6detail17trampoline_kernelINS0_13select_configILj256ELj13ELNS0_17block_load_methodE3ELS4_3ELS4_3ELNS0_20block_scan_algorithmE0ELj4294967295EEENS1_25partition_config_selectorILNS1_17partition_subalgoE4EjNS0_10empty_typeEbEEZZNS1_14partition_implILS8_4ELb0ES6_15HIP_vector_typeIjLj2EENS0_17counting_iteratorIjlEEPS9_SG_NS0_5tupleIJPjSI_NS0_16reverse_iteratorISI_EEEEENSH_IJSG_SG_SG_EEES9_SI_JZNS1_25segmented_radix_sort_implINS0_14default_configELb0EPKlPlSQ_SR_N2at6native12_GLOBAL__N_18offset_tEEE10hipError_tPvRmT1_PNSt15iterator_traitsISZ_E10value_typeET2_T3_PNS10_IS15_E10value_typeET4_jRbjT5_S1B_jjP12ihipStream_tbEUljE_ZNSN_ISO_Lb0ESQ_SR_SQ_SR_SV_EESW_SX_SY_SZ_S13_S14_S15_S18_S19_jS1A_jS1B_S1B_jjS1D_bEUljE0_EEESW_SX_SY_S15_S19_S1B_T6_T7_T9_mT8_S1D_bDpT10_ENKUlT_T0_E_clISt17integral_constantIbLb0EES1Q_IbLb1EEEEDaS1M_S1N_EUlS1M_E_NS1_11comp_targetILNS1_3genE10ELNS1_11target_archE1200ELNS1_3gpuE4ELNS1_3repE0EEENS1_30default_config_static_selectorELNS0_4arch9wavefront6targetE0EEEvSZ_.num_agpr, 0
	.set _ZN7rocprim17ROCPRIM_400000_NS6detail17trampoline_kernelINS0_13select_configILj256ELj13ELNS0_17block_load_methodE3ELS4_3ELS4_3ELNS0_20block_scan_algorithmE0ELj4294967295EEENS1_25partition_config_selectorILNS1_17partition_subalgoE4EjNS0_10empty_typeEbEEZZNS1_14partition_implILS8_4ELb0ES6_15HIP_vector_typeIjLj2EENS0_17counting_iteratorIjlEEPS9_SG_NS0_5tupleIJPjSI_NS0_16reverse_iteratorISI_EEEEENSH_IJSG_SG_SG_EEES9_SI_JZNS1_25segmented_radix_sort_implINS0_14default_configELb0EPKlPlSQ_SR_N2at6native12_GLOBAL__N_18offset_tEEE10hipError_tPvRmT1_PNSt15iterator_traitsISZ_E10value_typeET2_T3_PNS10_IS15_E10value_typeET4_jRbjT5_S1B_jjP12ihipStream_tbEUljE_ZNSN_ISO_Lb0ESQ_SR_SQ_SR_SV_EESW_SX_SY_SZ_S13_S14_S15_S18_S19_jS1A_jS1B_S1B_jjS1D_bEUljE0_EEESW_SX_SY_S15_S19_S1B_T6_T7_T9_mT8_S1D_bDpT10_ENKUlT_T0_E_clISt17integral_constantIbLb0EES1Q_IbLb1EEEEDaS1M_S1N_EUlS1M_E_NS1_11comp_targetILNS1_3genE10ELNS1_11target_archE1200ELNS1_3gpuE4ELNS1_3repE0EEENS1_30default_config_static_selectorELNS0_4arch9wavefront6targetE0EEEvSZ_.numbered_sgpr, 55
	.set _ZN7rocprim17ROCPRIM_400000_NS6detail17trampoline_kernelINS0_13select_configILj256ELj13ELNS0_17block_load_methodE3ELS4_3ELS4_3ELNS0_20block_scan_algorithmE0ELj4294967295EEENS1_25partition_config_selectorILNS1_17partition_subalgoE4EjNS0_10empty_typeEbEEZZNS1_14partition_implILS8_4ELb0ES6_15HIP_vector_typeIjLj2EENS0_17counting_iteratorIjlEEPS9_SG_NS0_5tupleIJPjSI_NS0_16reverse_iteratorISI_EEEEENSH_IJSG_SG_SG_EEES9_SI_JZNS1_25segmented_radix_sort_implINS0_14default_configELb0EPKlPlSQ_SR_N2at6native12_GLOBAL__N_18offset_tEEE10hipError_tPvRmT1_PNSt15iterator_traitsISZ_E10value_typeET2_T3_PNS10_IS15_E10value_typeET4_jRbjT5_S1B_jjP12ihipStream_tbEUljE_ZNSN_ISO_Lb0ESQ_SR_SQ_SR_SV_EESW_SX_SY_SZ_S13_S14_S15_S18_S19_jS1A_jS1B_S1B_jjS1D_bEUljE0_EEESW_SX_SY_S15_S19_S1B_T6_T7_T9_mT8_S1D_bDpT10_ENKUlT_T0_E_clISt17integral_constantIbLb0EES1Q_IbLb1EEEEDaS1M_S1N_EUlS1M_E_NS1_11comp_targetILNS1_3genE10ELNS1_11target_archE1200ELNS1_3gpuE4ELNS1_3repE0EEENS1_30default_config_static_selectorELNS0_4arch9wavefront6targetE0EEEvSZ_.num_named_barrier, 0
	.set _ZN7rocprim17ROCPRIM_400000_NS6detail17trampoline_kernelINS0_13select_configILj256ELj13ELNS0_17block_load_methodE3ELS4_3ELS4_3ELNS0_20block_scan_algorithmE0ELj4294967295EEENS1_25partition_config_selectorILNS1_17partition_subalgoE4EjNS0_10empty_typeEbEEZZNS1_14partition_implILS8_4ELb0ES6_15HIP_vector_typeIjLj2EENS0_17counting_iteratorIjlEEPS9_SG_NS0_5tupleIJPjSI_NS0_16reverse_iteratorISI_EEEEENSH_IJSG_SG_SG_EEES9_SI_JZNS1_25segmented_radix_sort_implINS0_14default_configELb0EPKlPlSQ_SR_N2at6native12_GLOBAL__N_18offset_tEEE10hipError_tPvRmT1_PNSt15iterator_traitsISZ_E10value_typeET2_T3_PNS10_IS15_E10value_typeET4_jRbjT5_S1B_jjP12ihipStream_tbEUljE_ZNSN_ISO_Lb0ESQ_SR_SQ_SR_SV_EESW_SX_SY_SZ_S13_S14_S15_S18_S19_jS1A_jS1B_S1B_jjS1D_bEUljE0_EEESW_SX_SY_S15_S19_S1B_T6_T7_T9_mT8_S1D_bDpT10_ENKUlT_T0_E_clISt17integral_constantIbLb0EES1Q_IbLb1EEEEDaS1M_S1N_EUlS1M_E_NS1_11comp_targetILNS1_3genE10ELNS1_11target_archE1200ELNS1_3gpuE4ELNS1_3repE0EEENS1_30default_config_static_selectorELNS0_4arch9wavefront6targetE0EEEvSZ_.private_seg_size, 0
	.set _ZN7rocprim17ROCPRIM_400000_NS6detail17trampoline_kernelINS0_13select_configILj256ELj13ELNS0_17block_load_methodE3ELS4_3ELS4_3ELNS0_20block_scan_algorithmE0ELj4294967295EEENS1_25partition_config_selectorILNS1_17partition_subalgoE4EjNS0_10empty_typeEbEEZZNS1_14partition_implILS8_4ELb0ES6_15HIP_vector_typeIjLj2EENS0_17counting_iteratorIjlEEPS9_SG_NS0_5tupleIJPjSI_NS0_16reverse_iteratorISI_EEEEENSH_IJSG_SG_SG_EEES9_SI_JZNS1_25segmented_radix_sort_implINS0_14default_configELb0EPKlPlSQ_SR_N2at6native12_GLOBAL__N_18offset_tEEE10hipError_tPvRmT1_PNSt15iterator_traitsISZ_E10value_typeET2_T3_PNS10_IS15_E10value_typeET4_jRbjT5_S1B_jjP12ihipStream_tbEUljE_ZNSN_ISO_Lb0ESQ_SR_SQ_SR_SV_EESW_SX_SY_SZ_S13_S14_S15_S18_S19_jS1A_jS1B_S1B_jjS1D_bEUljE0_EEESW_SX_SY_S15_S19_S1B_T6_T7_T9_mT8_S1D_bDpT10_ENKUlT_T0_E_clISt17integral_constantIbLb0EES1Q_IbLb1EEEEDaS1M_S1N_EUlS1M_E_NS1_11comp_targetILNS1_3genE10ELNS1_11target_archE1200ELNS1_3gpuE4ELNS1_3repE0EEENS1_30default_config_static_selectorELNS0_4arch9wavefront6targetE0EEEvSZ_.uses_vcc, 1
	.set _ZN7rocprim17ROCPRIM_400000_NS6detail17trampoline_kernelINS0_13select_configILj256ELj13ELNS0_17block_load_methodE3ELS4_3ELS4_3ELNS0_20block_scan_algorithmE0ELj4294967295EEENS1_25partition_config_selectorILNS1_17partition_subalgoE4EjNS0_10empty_typeEbEEZZNS1_14partition_implILS8_4ELb0ES6_15HIP_vector_typeIjLj2EENS0_17counting_iteratorIjlEEPS9_SG_NS0_5tupleIJPjSI_NS0_16reverse_iteratorISI_EEEEENSH_IJSG_SG_SG_EEES9_SI_JZNS1_25segmented_radix_sort_implINS0_14default_configELb0EPKlPlSQ_SR_N2at6native12_GLOBAL__N_18offset_tEEE10hipError_tPvRmT1_PNSt15iterator_traitsISZ_E10value_typeET2_T3_PNS10_IS15_E10value_typeET4_jRbjT5_S1B_jjP12ihipStream_tbEUljE_ZNSN_ISO_Lb0ESQ_SR_SQ_SR_SV_EESW_SX_SY_SZ_S13_S14_S15_S18_S19_jS1A_jS1B_S1B_jjS1D_bEUljE0_EEESW_SX_SY_S15_S19_S1B_T6_T7_T9_mT8_S1D_bDpT10_ENKUlT_T0_E_clISt17integral_constantIbLb0EES1Q_IbLb1EEEEDaS1M_S1N_EUlS1M_E_NS1_11comp_targetILNS1_3genE10ELNS1_11target_archE1200ELNS1_3gpuE4ELNS1_3repE0EEENS1_30default_config_static_selectorELNS0_4arch9wavefront6targetE0EEEvSZ_.uses_flat_scratch, 0
	.set _ZN7rocprim17ROCPRIM_400000_NS6detail17trampoline_kernelINS0_13select_configILj256ELj13ELNS0_17block_load_methodE3ELS4_3ELS4_3ELNS0_20block_scan_algorithmE0ELj4294967295EEENS1_25partition_config_selectorILNS1_17partition_subalgoE4EjNS0_10empty_typeEbEEZZNS1_14partition_implILS8_4ELb0ES6_15HIP_vector_typeIjLj2EENS0_17counting_iteratorIjlEEPS9_SG_NS0_5tupleIJPjSI_NS0_16reverse_iteratorISI_EEEEENSH_IJSG_SG_SG_EEES9_SI_JZNS1_25segmented_radix_sort_implINS0_14default_configELb0EPKlPlSQ_SR_N2at6native12_GLOBAL__N_18offset_tEEE10hipError_tPvRmT1_PNSt15iterator_traitsISZ_E10value_typeET2_T3_PNS10_IS15_E10value_typeET4_jRbjT5_S1B_jjP12ihipStream_tbEUljE_ZNSN_ISO_Lb0ESQ_SR_SQ_SR_SV_EESW_SX_SY_SZ_S13_S14_S15_S18_S19_jS1A_jS1B_S1B_jjS1D_bEUljE0_EEESW_SX_SY_S15_S19_S1B_T6_T7_T9_mT8_S1D_bDpT10_ENKUlT_T0_E_clISt17integral_constantIbLb0EES1Q_IbLb1EEEEDaS1M_S1N_EUlS1M_E_NS1_11comp_targetILNS1_3genE10ELNS1_11target_archE1200ELNS1_3gpuE4ELNS1_3repE0EEENS1_30default_config_static_selectorELNS0_4arch9wavefront6targetE0EEEvSZ_.has_dyn_sized_stack, 0
	.set _ZN7rocprim17ROCPRIM_400000_NS6detail17trampoline_kernelINS0_13select_configILj256ELj13ELNS0_17block_load_methodE3ELS4_3ELS4_3ELNS0_20block_scan_algorithmE0ELj4294967295EEENS1_25partition_config_selectorILNS1_17partition_subalgoE4EjNS0_10empty_typeEbEEZZNS1_14partition_implILS8_4ELb0ES6_15HIP_vector_typeIjLj2EENS0_17counting_iteratorIjlEEPS9_SG_NS0_5tupleIJPjSI_NS0_16reverse_iteratorISI_EEEEENSH_IJSG_SG_SG_EEES9_SI_JZNS1_25segmented_radix_sort_implINS0_14default_configELb0EPKlPlSQ_SR_N2at6native12_GLOBAL__N_18offset_tEEE10hipError_tPvRmT1_PNSt15iterator_traitsISZ_E10value_typeET2_T3_PNS10_IS15_E10value_typeET4_jRbjT5_S1B_jjP12ihipStream_tbEUljE_ZNSN_ISO_Lb0ESQ_SR_SQ_SR_SV_EESW_SX_SY_SZ_S13_S14_S15_S18_S19_jS1A_jS1B_S1B_jjS1D_bEUljE0_EEESW_SX_SY_S15_S19_S1B_T6_T7_T9_mT8_S1D_bDpT10_ENKUlT_T0_E_clISt17integral_constantIbLb0EES1Q_IbLb1EEEEDaS1M_S1N_EUlS1M_E_NS1_11comp_targetILNS1_3genE10ELNS1_11target_archE1200ELNS1_3gpuE4ELNS1_3repE0EEENS1_30default_config_static_selectorELNS0_4arch9wavefront6targetE0EEEvSZ_.has_recursion, 0
	.set _ZN7rocprim17ROCPRIM_400000_NS6detail17trampoline_kernelINS0_13select_configILj256ELj13ELNS0_17block_load_methodE3ELS4_3ELS4_3ELNS0_20block_scan_algorithmE0ELj4294967295EEENS1_25partition_config_selectorILNS1_17partition_subalgoE4EjNS0_10empty_typeEbEEZZNS1_14partition_implILS8_4ELb0ES6_15HIP_vector_typeIjLj2EENS0_17counting_iteratorIjlEEPS9_SG_NS0_5tupleIJPjSI_NS0_16reverse_iteratorISI_EEEEENSH_IJSG_SG_SG_EEES9_SI_JZNS1_25segmented_radix_sort_implINS0_14default_configELb0EPKlPlSQ_SR_N2at6native12_GLOBAL__N_18offset_tEEE10hipError_tPvRmT1_PNSt15iterator_traitsISZ_E10value_typeET2_T3_PNS10_IS15_E10value_typeET4_jRbjT5_S1B_jjP12ihipStream_tbEUljE_ZNSN_ISO_Lb0ESQ_SR_SQ_SR_SV_EESW_SX_SY_SZ_S13_S14_S15_S18_S19_jS1A_jS1B_S1B_jjS1D_bEUljE0_EEESW_SX_SY_S15_S19_S1B_T6_T7_T9_mT8_S1D_bDpT10_ENKUlT_T0_E_clISt17integral_constantIbLb0EES1Q_IbLb1EEEEDaS1M_S1N_EUlS1M_E_NS1_11comp_targetILNS1_3genE10ELNS1_11target_archE1200ELNS1_3gpuE4ELNS1_3repE0EEENS1_30default_config_static_selectorELNS0_4arch9wavefront6targetE0EEEvSZ_.has_indirect_call, 0
	.section	.AMDGPU.csdata,"",@progbits
; Kernel info:
; codeLenInByte = 19208
; TotalNumSgprs: 57
; NumVgprs: 98
; ScratchSize: 0
; MemoryBound: 0
; FloatMode: 240
; IeeeMode: 1
; LDSByteSize: 13328 bytes/workgroup (compile time only)
; SGPRBlocks: 0
; VGPRBlocks: 12
; NumSGPRsForWavesPerEU: 57
; NumVGPRsForWavesPerEU: 98
; Occupancy: 12
; WaveLimiterHint : 1
; COMPUTE_PGM_RSRC2:SCRATCH_EN: 0
; COMPUTE_PGM_RSRC2:USER_SGPR: 2
; COMPUTE_PGM_RSRC2:TRAP_HANDLER: 0
; COMPUTE_PGM_RSRC2:TGID_X_EN: 1
; COMPUTE_PGM_RSRC2:TGID_Y_EN: 0
; COMPUTE_PGM_RSRC2:TGID_Z_EN: 0
; COMPUTE_PGM_RSRC2:TIDIG_COMP_CNT: 0
	.section	.text._ZN7rocprim17ROCPRIM_400000_NS6detail17trampoline_kernelINS0_13select_configILj256ELj13ELNS0_17block_load_methodE3ELS4_3ELS4_3ELNS0_20block_scan_algorithmE0ELj4294967295EEENS1_25partition_config_selectorILNS1_17partition_subalgoE4EjNS0_10empty_typeEbEEZZNS1_14partition_implILS8_4ELb0ES6_15HIP_vector_typeIjLj2EENS0_17counting_iteratorIjlEEPS9_SG_NS0_5tupleIJPjSI_NS0_16reverse_iteratorISI_EEEEENSH_IJSG_SG_SG_EEES9_SI_JZNS1_25segmented_radix_sort_implINS0_14default_configELb0EPKlPlSQ_SR_N2at6native12_GLOBAL__N_18offset_tEEE10hipError_tPvRmT1_PNSt15iterator_traitsISZ_E10value_typeET2_T3_PNS10_IS15_E10value_typeET4_jRbjT5_S1B_jjP12ihipStream_tbEUljE_ZNSN_ISO_Lb0ESQ_SR_SQ_SR_SV_EESW_SX_SY_SZ_S13_S14_S15_S18_S19_jS1A_jS1B_S1B_jjS1D_bEUljE0_EEESW_SX_SY_S15_S19_S1B_T6_T7_T9_mT8_S1D_bDpT10_ENKUlT_T0_E_clISt17integral_constantIbLb0EES1Q_IbLb1EEEEDaS1M_S1N_EUlS1M_E_NS1_11comp_targetILNS1_3genE9ELNS1_11target_archE1100ELNS1_3gpuE3ELNS1_3repE0EEENS1_30default_config_static_selectorELNS0_4arch9wavefront6targetE0EEEvSZ_,"axG",@progbits,_ZN7rocprim17ROCPRIM_400000_NS6detail17trampoline_kernelINS0_13select_configILj256ELj13ELNS0_17block_load_methodE3ELS4_3ELS4_3ELNS0_20block_scan_algorithmE0ELj4294967295EEENS1_25partition_config_selectorILNS1_17partition_subalgoE4EjNS0_10empty_typeEbEEZZNS1_14partition_implILS8_4ELb0ES6_15HIP_vector_typeIjLj2EENS0_17counting_iteratorIjlEEPS9_SG_NS0_5tupleIJPjSI_NS0_16reverse_iteratorISI_EEEEENSH_IJSG_SG_SG_EEES9_SI_JZNS1_25segmented_radix_sort_implINS0_14default_configELb0EPKlPlSQ_SR_N2at6native12_GLOBAL__N_18offset_tEEE10hipError_tPvRmT1_PNSt15iterator_traitsISZ_E10value_typeET2_T3_PNS10_IS15_E10value_typeET4_jRbjT5_S1B_jjP12ihipStream_tbEUljE_ZNSN_ISO_Lb0ESQ_SR_SQ_SR_SV_EESW_SX_SY_SZ_S13_S14_S15_S18_S19_jS1A_jS1B_S1B_jjS1D_bEUljE0_EEESW_SX_SY_S15_S19_S1B_T6_T7_T9_mT8_S1D_bDpT10_ENKUlT_T0_E_clISt17integral_constantIbLb0EES1Q_IbLb1EEEEDaS1M_S1N_EUlS1M_E_NS1_11comp_targetILNS1_3genE9ELNS1_11target_archE1100ELNS1_3gpuE3ELNS1_3repE0EEENS1_30default_config_static_selectorELNS0_4arch9wavefront6targetE0EEEvSZ_,comdat
	.globl	_ZN7rocprim17ROCPRIM_400000_NS6detail17trampoline_kernelINS0_13select_configILj256ELj13ELNS0_17block_load_methodE3ELS4_3ELS4_3ELNS0_20block_scan_algorithmE0ELj4294967295EEENS1_25partition_config_selectorILNS1_17partition_subalgoE4EjNS0_10empty_typeEbEEZZNS1_14partition_implILS8_4ELb0ES6_15HIP_vector_typeIjLj2EENS0_17counting_iteratorIjlEEPS9_SG_NS0_5tupleIJPjSI_NS0_16reverse_iteratorISI_EEEEENSH_IJSG_SG_SG_EEES9_SI_JZNS1_25segmented_radix_sort_implINS0_14default_configELb0EPKlPlSQ_SR_N2at6native12_GLOBAL__N_18offset_tEEE10hipError_tPvRmT1_PNSt15iterator_traitsISZ_E10value_typeET2_T3_PNS10_IS15_E10value_typeET4_jRbjT5_S1B_jjP12ihipStream_tbEUljE_ZNSN_ISO_Lb0ESQ_SR_SQ_SR_SV_EESW_SX_SY_SZ_S13_S14_S15_S18_S19_jS1A_jS1B_S1B_jjS1D_bEUljE0_EEESW_SX_SY_S15_S19_S1B_T6_T7_T9_mT8_S1D_bDpT10_ENKUlT_T0_E_clISt17integral_constantIbLb0EES1Q_IbLb1EEEEDaS1M_S1N_EUlS1M_E_NS1_11comp_targetILNS1_3genE9ELNS1_11target_archE1100ELNS1_3gpuE3ELNS1_3repE0EEENS1_30default_config_static_selectorELNS0_4arch9wavefront6targetE0EEEvSZ_ ; -- Begin function _ZN7rocprim17ROCPRIM_400000_NS6detail17trampoline_kernelINS0_13select_configILj256ELj13ELNS0_17block_load_methodE3ELS4_3ELS4_3ELNS0_20block_scan_algorithmE0ELj4294967295EEENS1_25partition_config_selectorILNS1_17partition_subalgoE4EjNS0_10empty_typeEbEEZZNS1_14partition_implILS8_4ELb0ES6_15HIP_vector_typeIjLj2EENS0_17counting_iteratorIjlEEPS9_SG_NS0_5tupleIJPjSI_NS0_16reverse_iteratorISI_EEEEENSH_IJSG_SG_SG_EEES9_SI_JZNS1_25segmented_radix_sort_implINS0_14default_configELb0EPKlPlSQ_SR_N2at6native12_GLOBAL__N_18offset_tEEE10hipError_tPvRmT1_PNSt15iterator_traitsISZ_E10value_typeET2_T3_PNS10_IS15_E10value_typeET4_jRbjT5_S1B_jjP12ihipStream_tbEUljE_ZNSN_ISO_Lb0ESQ_SR_SQ_SR_SV_EESW_SX_SY_SZ_S13_S14_S15_S18_S19_jS1A_jS1B_S1B_jjS1D_bEUljE0_EEESW_SX_SY_S15_S19_S1B_T6_T7_T9_mT8_S1D_bDpT10_ENKUlT_T0_E_clISt17integral_constantIbLb0EES1Q_IbLb1EEEEDaS1M_S1N_EUlS1M_E_NS1_11comp_targetILNS1_3genE9ELNS1_11target_archE1100ELNS1_3gpuE3ELNS1_3repE0EEENS1_30default_config_static_selectorELNS0_4arch9wavefront6targetE0EEEvSZ_
	.p2align	8
	.type	_ZN7rocprim17ROCPRIM_400000_NS6detail17trampoline_kernelINS0_13select_configILj256ELj13ELNS0_17block_load_methodE3ELS4_3ELS4_3ELNS0_20block_scan_algorithmE0ELj4294967295EEENS1_25partition_config_selectorILNS1_17partition_subalgoE4EjNS0_10empty_typeEbEEZZNS1_14partition_implILS8_4ELb0ES6_15HIP_vector_typeIjLj2EENS0_17counting_iteratorIjlEEPS9_SG_NS0_5tupleIJPjSI_NS0_16reverse_iteratorISI_EEEEENSH_IJSG_SG_SG_EEES9_SI_JZNS1_25segmented_radix_sort_implINS0_14default_configELb0EPKlPlSQ_SR_N2at6native12_GLOBAL__N_18offset_tEEE10hipError_tPvRmT1_PNSt15iterator_traitsISZ_E10value_typeET2_T3_PNS10_IS15_E10value_typeET4_jRbjT5_S1B_jjP12ihipStream_tbEUljE_ZNSN_ISO_Lb0ESQ_SR_SQ_SR_SV_EESW_SX_SY_SZ_S13_S14_S15_S18_S19_jS1A_jS1B_S1B_jjS1D_bEUljE0_EEESW_SX_SY_S15_S19_S1B_T6_T7_T9_mT8_S1D_bDpT10_ENKUlT_T0_E_clISt17integral_constantIbLb0EES1Q_IbLb1EEEEDaS1M_S1N_EUlS1M_E_NS1_11comp_targetILNS1_3genE9ELNS1_11target_archE1100ELNS1_3gpuE3ELNS1_3repE0EEENS1_30default_config_static_selectorELNS0_4arch9wavefront6targetE0EEEvSZ_,@function
_ZN7rocprim17ROCPRIM_400000_NS6detail17trampoline_kernelINS0_13select_configILj256ELj13ELNS0_17block_load_methodE3ELS4_3ELS4_3ELNS0_20block_scan_algorithmE0ELj4294967295EEENS1_25partition_config_selectorILNS1_17partition_subalgoE4EjNS0_10empty_typeEbEEZZNS1_14partition_implILS8_4ELb0ES6_15HIP_vector_typeIjLj2EENS0_17counting_iteratorIjlEEPS9_SG_NS0_5tupleIJPjSI_NS0_16reverse_iteratorISI_EEEEENSH_IJSG_SG_SG_EEES9_SI_JZNS1_25segmented_radix_sort_implINS0_14default_configELb0EPKlPlSQ_SR_N2at6native12_GLOBAL__N_18offset_tEEE10hipError_tPvRmT1_PNSt15iterator_traitsISZ_E10value_typeET2_T3_PNS10_IS15_E10value_typeET4_jRbjT5_S1B_jjP12ihipStream_tbEUljE_ZNSN_ISO_Lb0ESQ_SR_SQ_SR_SV_EESW_SX_SY_SZ_S13_S14_S15_S18_S19_jS1A_jS1B_S1B_jjS1D_bEUljE0_EEESW_SX_SY_S15_S19_S1B_T6_T7_T9_mT8_S1D_bDpT10_ENKUlT_T0_E_clISt17integral_constantIbLb0EES1Q_IbLb1EEEEDaS1M_S1N_EUlS1M_E_NS1_11comp_targetILNS1_3genE9ELNS1_11target_archE1100ELNS1_3gpuE3ELNS1_3repE0EEENS1_30default_config_static_selectorELNS0_4arch9wavefront6targetE0EEEvSZ_: ; @_ZN7rocprim17ROCPRIM_400000_NS6detail17trampoline_kernelINS0_13select_configILj256ELj13ELNS0_17block_load_methodE3ELS4_3ELS4_3ELNS0_20block_scan_algorithmE0ELj4294967295EEENS1_25partition_config_selectorILNS1_17partition_subalgoE4EjNS0_10empty_typeEbEEZZNS1_14partition_implILS8_4ELb0ES6_15HIP_vector_typeIjLj2EENS0_17counting_iteratorIjlEEPS9_SG_NS0_5tupleIJPjSI_NS0_16reverse_iteratorISI_EEEEENSH_IJSG_SG_SG_EEES9_SI_JZNS1_25segmented_radix_sort_implINS0_14default_configELb0EPKlPlSQ_SR_N2at6native12_GLOBAL__N_18offset_tEEE10hipError_tPvRmT1_PNSt15iterator_traitsISZ_E10value_typeET2_T3_PNS10_IS15_E10value_typeET4_jRbjT5_S1B_jjP12ihipStream_tbEUljE_ZNSN_ISO_Lb0ESQ_SR_SQ_SR_SV_EESW_SX_SY_SZ_S13_S14_S15_S18_S19_jS1A_jS1B_S1B_jjS1D_bEUljE0_EEESW_SX_SY_S15_S19_S1B_T6_T7_T9_mT8_S1D_bDpT10_ENKUlT_T0_E_clISt17integral_constantIbLb0EES1Q_IbLb1EEEEDaS1M_S1N_EUlS1M_E_NS1_11comp_targetILNS1_3genE9ELNS1_11target_archE1100ELNS1_3gpuE3ELNS1_3repE0EEENS1_30default_config_static_selectorELNS0_4arch9wavefront6targetE0EEEvSZ_
; %bb.0:
	.section	.rodata,"a",@progbits
	.p2align	6, 0x0
	.amdhsa_kernel _ZN7rocprim17ROCPRIM_400000_NS6detail17trampoline_kernelINS0_13select_configILj256ELj13ELNS0_17block_load_methodE3ELS4_3ELS4_3ELNS0_20block_scan_algorithmE0ELj4294967295EEENS1_25partition_config_selectorILNS1_17partition_subalgoE4EjNS0_10empty_typeEbEEZZNS1_14partition_implILS8_4ELb0ES6_15HIP_vector_typeIjLj2EENS0_17counting_iteratorIjlEEPS9_SG_NS0_5tupleIJPjSI_NS0_16reverse_iteratorISI_EEEEENSH_IJSG_SG_SG_EEES9_SI_JZNS1_25segmented_radix_sort_implINS0_14default_configELb0EPKlPlSQ_SR_N2at6native12_GLOBAL__N_18offset_tEEE10hipError_tPvRmT1_PNSt15iterator_traitsISZ_E10value_typeET2_T3_PNS10_IS15_E10value_typeET4_jRbjT5_S1B_jjP12ihipStream_tbEUljE_ZNSN_ISO_Lb0ESQ_SR_SQ_SR_SV_EESW_SX_SY_SZ_S13_S14_S15_S18_S19_jS1A_jS1B_S1B_jjS1D_bEUljE0_EEESW_SX_SY_S15_S19_S1B_T6_T7_T9_mT8_S1D_bDpT10_ENKUlT_T0_E_clISt17integral_constantIbLb0EES1Q_IbLb1EEEEDaS1M_S1N_EUlS1M_E_NS1_11comp_targetILNS1_3genE9ELNS1_11target_archE1100ELNS1_3gpuE3ELNS1_3repE0EEENS1_30default_config_static_selectorELNS0_4arch9wavefront6targetE0EEEvSZ_
		.amdhsa_group_segment_fixed_size 0
		.amdhsa_private_segment_fixed_size 0
		.amdhsa_kernarg_size 184
		.amdhsa_user_sgpr_count 2
		.amdhsa_user_sgpr_dispatch_ptr 0
		.amdhsa_user_sgpr_queue_ptr 0
		.amdhsa_user_sgpr_kernarg_segment_ptr 1
		.amdhsa_user_sgpr_dispatch_id 0
		.amdhsa_user_sgpr_private_segment_size 0
		.amdhsa_wavefront_size32 1
		.amdhsa_uses_dynamic_stack 0
		.amdhsa_enable_private_segment 0
		.amdhsa_system_sgpr_workgroup_id_x 1
		.amdhsa_system_sgpr_workgroup_id_y 0
		.amdhsa_system_sgpr_workgroup_id_z 0
		.amdhsa_system_sgpr_workgroup_info 0
		.amdhsa_system_vgpr_workitem_id 0
		.amdhsa_next_free_vgpr 1
		.amdhsa_next_free_sgpr 1
		.amdhsa_reserve_vcc 0
		.amdhsa_float_round_mode_32 0
		.amdhsa_float_round_mode_16_64 0
		.amdhsa_float_denorm_mode_32 3
		.amdhsa_float_denorm_mode_16_64 3
		.amdhsa_fp16_overflow 0
		.amdhsa_workgroup_processor_mode 1
		.amdhsa_memory_ordered 1
		.amdhsa_forward_progress 1
		.amdhsa_inst_pref_size 0
		.amdhsa_round_robin_scheduling 0
		.amdhsa_exception_fp_ieee_invalid_op 0
		.amdhsa_exception_fp_denorm_src 0
		.amdhsa_exception_fp_ieee_div_zero 0
		.amdhsa_exception_fp_ieee_overflow 0
		.amdhsa_exception_fp_ieee_underflow 0
		.amdhsa_exception_fp_ieee_inexact 0
		.amdhsa_exception_int_div_zero 0
	.end_amdhsa_kernel
	.section	.text._ZN7rocprim17ROCPRIM_400000_NS6detail17trampoline_kernelINS0_13select_configILj256ELj13ELNS0_17block_load_methodE3ELS4_3ELS4_3ELNS0_20block_scan_algorithmE0ELj4294967295EEENS1_25partition_config_selectorILNS1_17partition_subalgoE4EjNS0_10empty_typeEbEEZZNS1_14partition_implILS8_4ELb0ES6_15HIP_vector_typeIjLj2EENS0_17counting_iteratorIjlEEPS9_SG_NS0_5tupleIJPjSI_NS0_16reverse_iteratorISI_EEEEENSH_IJSG_SG_SG_EEES9_SI_JZNS1_25segmented_radix_sort_implINS0_14default_configELb0EPKlPlSQ_SR_N2at6native12_GLOBAL__N_18offset_tEEE10hipError_tPvRmT1_PNSt15iterator_traitsISZ_E10value_typeET2_T3_PNS10_IS15_E10value_typeET4_jRbjT5_S1B_jjP12ihipStream_tbEUljE_ZNSN_ISO_Lb0ESQ_SR_SQ_SR_SV_EESW_SX_SY_SZ_S13_S14_S15_S18_S19_jS1A_jS1B_S1B_jjS1D_bEUljE0_EEESW_SX_SY_S15_S19_S1B_T6_T7_T9_mT8_S1D_bDpT10_ENKUlT_T0_E_clISt17integral_constantIbLb0EES1Q_IbLb1EEEEDaS1M_S1N_EUlS1M_E_NS1_11comp_targetILNS1_3genE9ELNS1_11target_archE1100ELNS1_3gpuE3ELNS1_3repE0EEENS1_30default_config_static_selectorELNS0_4arch9wavefront6targetE0EEEvSZ_,"axG",@progbits,_ZN7rocprim17ROCPRIM_400000_NS6detail17trampoline_kernelINS0_13select_configILj256ELj13ELNS0_17block_load_methodE3ELS4_3ELS4_3ELNS0_20block_scan_algorithmE0ELj4294967295EEENS1_25partition_config_selectorILNS1_17partition_subalgoE4EjNS0_10empty_typeEbEEZZNS1_14partition_implILS8_4ELb0ES6_15HIP_vector_typeIjLj2EENS0_17counting_iteratorIjlEEPS9_SG_NS0_5tupleIJPjSI_NS0_16reverse_iteratorISI_EEEEENSH_IJSG_SG_SG_EEES9_SI_JZNS1_25segmented_radix_sort_implINS0_14default_configELb0EPKlPlSQ_SR_N2at6native12_GLOBAL__N_18offset_tEEE10hipError_tPvRmT1_PNSt15iterator_traitsISZ_E10value_typeET2_T3_PNS10_IS15_E10value_typeET4_jRbjT5_S1B_jjP12ihipStream_tbEUljE_ZNSN_ISO_Lb0ESQ_SR_SQ_SR_SV_EESW_SX_SY_SZ_S13_S14_S15_S18_S19_jS1A_jS1B_S1B_jjS1D_bEUljE0_EEESW_SX_SY_S15_S19_S1B_T6_T7_T9_mT8_S1D_bDpT10_ENKUlT_T0_E_clISt17integral_constantIbLb0EES1Q_IbLb1EEEEDaS1M_S1N_EUlS1M_E_NS1_11comp_targetILNS1_3genE9ELNS1_11target_archE1100ELNS1_3gpuE3ELNS1_3repE0EEENS1_30default_config_static_selectorELNS0_4arch9wavefront6targetE0EEEvSZ_,comdat
.Lfunc_end773:
	.size	_ZN7rocprim17ROCPRIM_400000_NS6detail17trampoline_kernelINS0_13select_configILj256ELj13ELNS0_17block_load_methodE3ELS4_3ELS4_3ELNS0_20block_scan_algorithmE0ELj4294967295EEENS1_25partition_config_selectorILNS1_17partition_subalgoE4EjNS0_10empty_typeEbEEZZNS1_14partition_implILS8_4ELb0ES6_15HIP_vector_typeIjLj2EENS0_17counting_iteratorIjlEEPS9_SG_NS0_5tupleIJPjSI_NS0_16reverse_iteratorISI_EEEEENSH_IJSG_SG_SG_EEES9_SI_JZNS1_25segmented_radix_sort_implINS0_14default_configELb0EPKlPlSQ_SR_N2at6native12_GLOBAL__N_18offset_tEEE10hipError_tPvRmT1_PNSt15iterator_traitsISZ_E10value_typeET2_T3_PNS10_IS15_E10value_typeET4_jRbjT5_S1B_jjP12ihipStream_tbEUljE_ZNSN_ISO_Lb0ESQ_SR_SQ_SR_SV_EESW_SX_SY_SZ_S13_S14_S15_S18_S19_jS1A_jS1B_S1B_jjS1D_bEUljE0_EEESW_SX_SY_S15_S19_S1B_T6_T7_T9_mT8_S1D_bDpT10_ENKUlT_T0_E_clISt17integral_constantIbLb0EES1Q_IbLb1EEEEDaS1M_S1N_EUlS1M_E_NS1_11comp_targetILNS1_3genE9ELNS1_11target_archE1100ELNS1_3gpuE3ELNS1_3repE0EEENS1_30default_config_static_selectorELNS0_4arch9wavefront6targetE0EEEvSZ_, .Lfunc_end773-_ZN7rocprim17ROCPRIM_400000_NS6detail17trampoline_kernelINS0_13select_configILj256ELj13ELNS0_17block_load_methodE3ELS4_3ELS4_3ELNS0_20block_scan_algorithmE0ELj4294967295EEENS1_25partition_config_selectorILNS1_17partition_subalgoE4EjNS0_10empty_typeEbEEZZNS1_14partition_implILS8_4ELb0ES6_15HIP_vector_typeIjLj2EENS0_17counting_iteratorIjlEEPS9_SG_NS0_5tupleIJPjSI_NS0_16reverse_iteratorISI_EEEEENSH_IJSG_SG_SG_EEES9_SI_JZNS1_25segmented_radix_sort_implINS0_14default_configELb0EPKlPlSQ_SR_N2at6native12_GLOBAL__N_18offset_tEEE10hipError_tPvRmT1_PNSt15iterator_traitsISZ_E10value_typeET2_T3_PNS10_IS15_E10value_typeET4_jRbjT5_S1B_jjP12ihipStream_tbEUljE_ZNSN_ISO_Lb0ESQ_SR_SQ_SR_SV_EESW_SX_SY_SZ_S13_S14_S15_S18_S19_jS1A_jS1B_S1B_jjS1D_bEUljE0_EEESW_SX_SY_S15_S19_S1B_T6_T7_T9_mT8_S1D_bDpT10_ENKUlT_T0_E_clISt17integral_constantIbLb0EES1Q_IbLb1EEEEDaS1M_S1N_EUlS1M_E_NS1_11comp_targetILNS1_3genE9ELNS1_11target_archE1100ELNS1_3gpuE3ELNS1_3repE0EEENS1_30default_config_static_selectorELNS0_4arch9wavefront6targetE0EEEvSZ_
                                        ; -- End function
	.set _ZN7rocprim17ROCPRIM_400000_NS6detail17trampoline_kernelINS0_13select_configILj256ELj13ELNS0_17block_load_methodE3ELS4_3ELS4_3ELNS0_20block_scan_algorithmE0ELj4294967295EEENS1_25partition_config_selectorILNS1_17partition_subalgoE4EjNS0_10empty_typeEbEEZZNS1_14partition_implILS8_4ELb0ES6_15HIP_vector_typeIjLj2EENS0_17counting_iteratorIjlEEPS9_SG_NS0_5tupleIJPjSI_NS0_16reverse_iteratorISI_EEEEENSH_IJSG_SG_SG_EEES9_SI_JZNS1_25segmented_radix_sort_implINS0_14default_configELb0EPKlPlSQ_SR_N2at6native12_GLOBAL__N_18offset_tEEE10hipError_tPvRmT1_PNSt15iterator_traitsISZ_E10value_typeET2_T3_PNS10_IS15_E10value_typeET4_jRbjT5_S1B_jjP12ihipStream_tbEUljE_ZNSN_ISO_Lb0ESQ_SR_SQ_SR_SV_EESW_SX_SY_SZ_S13_S14_S15_S18_S19_jS1A_jS1B_S1B_jjS1D_bEUljE0_EEESW_SX_SY_S15_S19_S1B_T6_T7_T9_mT8_S1D_bDpT10_ENKUlT_T0_E_clISt17integral_constantIbLb0EES1Q_IbLb1EEEEDaS1M_S1N_EUlS1M_E_NS1_11comp_targetILNS1_3genE9ELNS1_11target_archE1100ELNS1_3gpuE3ELNS1_3repE0EEENS1_30default_config_static_selectorELNS0_4arch9wavefront6targetE0EEEvSZ_.num_vgpr, 0
	.set _ZN7rocprim17ROCPRIM_400000_NS6detail17trampoline_kernelINS0_13select_configILj256ELj13ELNS0_17block_load_methodE3ELS4_3ELS4_3ELNS0_20block_scan_algorithmE0ELj4294967295EEENS1_25partition_config_selectorILNS1_17partition_subalgoE4EjNS0_10empty_typeEbEEZZNS1_14partition_implILS8_4ELb0ES6_15HIP_vector_typeIjLj2EENS0_17counting_iteratorIjlEEPS9_SG_NS0_5tupleIJPjSI_NS0_16reverse_iteratorISI_EEEEENSH_IJSG_SG_SG_EEES9_SI_JZNS1_25segmented_radix_sort_implINS0_14default_configELb0EPKlPlSQ_SR_N2at6native12_GLOBAL__N_18offset_tEEE10hipError_tPvRmT1_PNSt15iterator_traitsISZ_E10value_typeET2_T3_PNS10_IS15_E10value_typeET4_jRbjT5_S1B_jjP12ihipStream_tbEUljE_ZNSN_ISO_Lb0ESQ_SR_SQ_SR_SV_EESW_SX_SY_SZ_S13_S14_S15_S18_S19_jS1A_jS1B_S1B_jjS1D_bEUljE0_EEESW_SX_SY_S15_S19_S1B_T6_T7_T9_mT8_S1D_bDpT10_ENKUlT_T0_E_clISt17integral_constantIbLb0EES1Q_IbLb1EEEEDaS1M_S1N_EUlS1M_E_NS1_11comp_targetILNS1_3genE9ELNS1_11target_archE1100ELNS1_3gpuE3ELNS1_3repE0EEENS1_30default_config_static_selectorELNS0_4arch9wavefront6targetE0EEEvSZ_.num_agpr, 0
	.set _ZN7rocprim17ROCPRIM_400000_NS6detail17trampoline_kernelINS0_13select_configILj256ELj13ELNS0_17block_load_methodE3ELS4_3ELS4_3ELNS0_20block_scan_algorithmE0ELj4294967295EEENS1_25partition_config_selectorILNS1_17partition_subalgoE4EjNS0_10empty_typeEbEEZZNS1_14partition_implILS8_4ELb0ES6_15HIP_vector_typeIjLj2EENS0_17counting_iteratorIjlEEPS9_SG_NS0_5tupleIJPjSI_NS0_16reverse_iteratorISI_EEEEENSH_IJSG_SG_SG_EEES9_SI_JZNS1_25segmented_radix_sort_implINS0_14default_configELb0EPKlPlSQ_SR_N2at6native12_GLOBAL__N_18offset_tEEE10hipError_tPvRmT1_PNSt15iterator_traitsISZ_E10value_typeET2_T3_PNS10_IS15_E10value_typeET4_jRbjT5_S1B_jjP12ihipStream_tbEUljE_ZNSN_ISO_Lb0ESQ_SR_SQ_SR_SV_EESW_SX_SY_SZ_S13_S14_S15_S18_S19_jS1A_jS1B_S1B_jjS1D_bEUljE0_EEESW_SX_SY_S15_S19_S1B_T6_T7_T9_mT8_S1D_bDpT10_ENKUlT_T0_E_clISt17integral_constantIbLb0EES1Q_IbLb1EEEEDaS1M_S1N_EUlS1M_E_NS1_11comp_targetILNS1_3genE9ELNS1_11target_archE1100ELNS1_3gpuE3ELNS1_3repE0EEENS1_30default_config_static_selectorELNS0_4arch9wavefront6targetE0EEEvSZ_.numbered_sgpr, 0
	.set _ZN7rocprim17ROCPRIM_400000_NS6detail17trampoline_kernelINS0_13select_configILj256ELj13ELNS0_17block_load_methodE3ELS4_3ELS4_3ELNS0_20block_scan_algorithmE0ELj4294967295EEENS1_25partition_config_selectorILNS1_17partition_subalgoE4EjNS0_10empty_typeEbEEZZNS1_14partition_implILS8_4ELb0ES6_15HIP_vector_typeIjLj2EENS0_17counting_iteratorIjlEEPS9_SG_NS0_5tupleIJPjSI_NS0_16reverse_iteratorISI_EEEEENSH_IJSG_SG_SG_EEES9_SI_JZNS1_25segmented_radix_sort_implINS0_14default_configELb0EPKlPlSQ_SR_N2at6native12_GLOBAL__N_18offset_tEEE10hipError_tPvRmT1_PNSt15iterator_traitsISZ_E10value_typeET2_T3_PNS10_IS15_E10value_typeET4_jRbjT5_S1B_jjP12ihipStream_tbEUljE_ZNSN_ISO_Lb0ESQ_SR_SQ_SR_SV_EESW_SX_SY_SZ_S13_S14_S15_S18_S19_jS1A_jS1B_S1B_jjS1D_bEUljE0_EEESW_SX_SY_S15_S19_S1B_T6_T7_T9_mT8_S1D_bDpT10_ENKUlT_T0_E_clISt17integral_constantIbLb0EES1Q_IbLb1EEEEDaS1M_S1N_EUlS1M_E_NS1_11comp_targetILNS1_3genE9ELNS1_11target_archE1100ELNS1_3gpuE3ELNS1_3repE0EEENS1_30default_config_static_selectorELNS0_4arch9wavefront6targetE0EEEvSZ_.num_named_barrier, 0
	.set _ZN7rocprim17ROCPRIM_400000_NS6detail17trampoline_kernelINS0_13select_configILj256ELj13ELNS0_17block_load_methodE3ELS4_3ELS4_3ELNS0_20block_scan_algorithmE0ELj4294967295EEENS1_25partition_config_selectorILNS1_17partition_subalgoE4EjNS0_10empty_typeEbEEZZNS1_14partition_implILS8_4ELb0ES6_15HIP_vector_typeIjLj2EENS0_17counting_iteratorIjlEEPS9_SG_NS0_5tupleIJPjSI_NS0_16reverse_iteratorISI_EEEEENSH_IJSG_SG_SG_EEES9_SI_JZNS1_25segmented_radix_sort_implINS0_14default_configELb0EPKlPlSQ_SR_N2at6native12_GLOBAL__N_18offset_tEEE10hipError_tPvRmT1_PNSt15iterator_traitsISZ_E10value_typeET2_T3_PNS10_IS15_E10value_typeET4_jRbjT5_S1B_jjP12ihipStream_tbEUljE_ZNSN_ISO_Lb0ESQ_SR_SQ_SR_SV_EESW_SX_SY_SZ_S13_S14_S15_S18_S19_jS1A_jS1B_S1B_jjS1D_bEUljE0_EEESW_SX_SY_S15_S19_S1B_T6_T7_T9_mT8_S1D_bDpT10_ENKUlT_T0_E_clISt17integral_constantIbLb0EES1Q_IbLb1EEEEDaS1M_S1N_EUlS1M_E_NS1_11comp_targetILNS1_3genE9ELNS1_11target_archE1100ELNS1_3gpuE3ELNS1_3repE0EEENS1_30default_config_static_selectorELNS0_4arch9wavefront6targetE0EEEvSZ_.private_seg_size, 0
	.set _ZN7rocprim17ROCPRIM_400000_NS6detail17trampoline_kernelINS0_13select_configILj256ELj13ELNS0_17block_load_methodE3ELS4_3ELS4_3ELNS0_20block_scan_algorithmE0ELj4294967295EEENS1_25partition_config_selectorILNS1_17partition_subalgoE4EjNS0_10empty_typeEbEEZZNS1_14partition_implILS8_4ELb0ES6_15HIP_vector_typeIjLj2EENS0_17counting_iteratorIjlEEPS9_SG_NS0_5tupleIJPjSI_NS0_16reverse_iteratorISI_EEEEENSH_IJSG_SG_SG_EEES9_SI_JZNS1_25segmented_radix_sort_implINS0_14default_configELb0EPKlPlSQ_SR_N2at6native12_GLOBAL__N_18offset_tEEE10hipError_tPvRmT1_PNSt15iterator_traitsISZ_E10value_typeET2_T3_PNS10_IS15_E10value_typeET4_jRbjT5_S1B_jjP12ihipStream_tbEUljE_ZNSN_ISO_Lb0ESQ_SR_SQ_SR_SV_EESW_SX_SY_SZ_S13_S14_S15_S18_S19_jS1A_jS1B_S1B_jjS1D_bEUljE0_EEESW_SX_SY_S15_S19_S1B_T6_T7_T9_mT8_S1D_bDpT10_ENKUlT_T0_E_clISt17integral_constantIbLb0EES1Q_IbLb1EEEEDaS1M_S1N_EUlS1M_E_NS1_11comp_targetILNS1_3genE9ELNS1_11target_archE1100ELNS1_3gpuE3ELNS1_3repE0EEENS1_30default_config_static_selectorELNS0_4arch9wavefront6targetE0EEEvSZ_.uses_vcc, 0
	.set _ZN7rocprim17ROCPRIM_400000_NS6detail17trampoline_kernelINS0_13select_configILj256ELj13ELNS0_17block_load_methodE3ELS4_3ELS4_3ELNS0_20block_scan_algorithmE0ELj4294967295EEENS1_25partition_config_selectorILNS1_17partition_subalgoE4EjNS0_10empty_typeEbEEZZNS1_14partition_implILS8_4ELb0ES6_15HIP_vector_typeIjLj2EENS0_17counting_iteratorIjlEEPS9_SG_NS0_5tupleIJPjSI_NS0_16reverse_iteratorISI_EEEEENSH_IJSG_SG_SG_EEES9_SI_JZNS1_25segmented_radix_sort_implINS0_14default_configELb0EPKlPlSQ_SR_N2at6native12_GLOBAL__N_18offset_tEEE10hipError_tPvRmT1_PNSt15iterator_traitsISZ_E10value_typeET2_T3_PNS10_IS15_E10value_typeET4_jRbjT5_S1B_jjP12ihipStream_tbEUljE_ZNSN_ISO_Lb0ESQ_SR_SQ_SR_SV_EESW_SX_SY_SZ_S13_S14_S15_S18_S19_jS1A_jS1B_S1B_jjS1D_bEUljE0_EEESW_SX_SY_S15_S19_S1B_T6_T7_T9_mT8_S1D_bDpT10_ENKUlT_T0_E_clISt17integral_constantIbLb0EES1Q_IbLb1EEEEDaS1M_S1N_EUlS1M_E_NS1_11comp_targetILNS1_3genE9ELNS1_11target_archE1100ELNS1_3gpuE3ELNS1_3repE0EEENS1_30default_config_static_selectorELNS0_4arch9wavefront6targetE0EEEvSZ_.uses_flat_scratch, 0
	.set _ZN7rocprim17ROCPRIM_400000_NS6detail17trampoline_kernelINS0_13select_configILj256ELj13ELNS0_17block_load_methodE3ELS4_3ELS4_3ELNS0_20block_scan_algorithmE0ELj4294967295EEENS1_25partition_config_selectorILNS1_17partition_subalgoE4EjNS0_10empty_typeEbEEZZNS1_14partition_implILS8_4ELb0ES6_15HIP_vector_typeIjLj2EENS0_17counting_iteratorIjlEEPS9_SG_NS0_5tupleIJPjSI_NS0_16reverse_iteratorISI_EEEEENSH_IJSG_SG_SG_EEES9_SI_JZNS1_25segmented_radix_sort_implINS0_14default_configELb0EPKlPlSQ_SR_N2at6native12_GLOBAL__N_18offset_tEEE10hipError_tPvRmT1_PNSt15iterator_traitsISZ_E10value_typeET2_T3_PNS10_IS15_E10value_typeET4_jRbjT5_S1B_jjP12ihipStream_tbEUljE_ZNSN_ISO_Lb0ESQ_SR_SQ_SR_SV_EESW_SX_SY_SZ_S13_S14_S15_S18_S19_jS1A_jS1B_S1B_jjS1D_bEUljE0_EEESW_SX_SY_S15_S19_S1B_T6_T7_T9_mT8_S1D_bDpT10_ENKUlT_T0_E_clISt17integral_constantIbLb0EES1Q_IbLb1EEEEDaS1M_S1N_EUlS1M_E_NS1_11comp_targetILNS1_3genE9ELNS1_11target_archE1100ELNS1_3gpuE3ELNS1_3repE0EEENS1_30default_config_static_selectorELNS0_4arch9wavefront6targetE0EEEvSZ_.has_dyn_sized_stack, 0
	.set _ZN7rocprim17ROCPRIM_400000_NS6detail17trampoline_kernelINS0_13select_configILj256ELj13ELNS0_17block_load_methodE3ELS4_3ELS4_3ELNS0_20block_scan_algorithmE0ELj4294967295EEENS1_25partition_config_selectorILNS1_17partition_subalgoE4EjNS0_10empty_typeEbEEZZNS1_14partition_implILS8_4ELb0ES6_15HIP_vector_typeIjLj2EENS0_17counting_iteratorIjlEEPS9_SG_NS0_5tupleIJPjSI_NS0_16reverse_iteratorISI_EEEEENSH_IJSG_SG_SG_EEES9_SI_JZNS1_25segmented_radix_sort_implINS0_14default_configELb0EPKlPlSQ_SR_N2at6native12_GLOBAL__N_18offset_tEEE10hipError_tPvRmT1_PNSt15iterator_traitsISZ_E10value_typeET2_T3_PNS10_IS15_E10value_typeET4_jRbjT5_S1B_jjP12ihipStream_tbEUljE_ZNSN_ISO_Lb0ESQ_SR_SQ_SR_SV_EESW_SX_SY_SZ_S13_S14_S15_S18_S19_jS1A_jS1B_S1B_jjS1D_bEUljE0_EEESW_SX_SY_S15_S19_S1B_T6_T7_T9_mT8_S1D_bDpT10_ENKUlT_T0_E_clISt17integral_constantIbLb0EES1Q_IbLb1EEEEDaS1M_S1N_EUlS1M_E_NS1_11comp_targetILNS1_3genE9ELNS1_11target_archE1100ELNS1_3gpuE3ELNS1_3repE0EEENS1_30default_config_static_selectorELNS0_4arch9wavefront6targetE0EEEvSZ_.has_recursion, 0
	.set _ZN7rocprim17ROCPRIM_400000_NS6detail17trampoline_kernelINS0_13select_configILj256ELj13ELNS0_17block_load_methodE3ELS4_3ELS4_3ELNS0_20block_scan_algorithmE0ELj4294967295EEENS1_25partition_config_selectorILNS1_17partition_subalgoE4EjNS0_10empty_typeEbEEZZNS1_14partition_implILS8_4ELb0ES6_15HIP_vector_typeIjLj2EENS0_17counting_iteratorIjlEEPS9_SG_NS0_5tupleIJPjSI_NS0_16reverse_iteratorISI_EEEEENSH_IJSG_SG_SG_EEES9_SI_JZNS1_25segmented_radix_sort_implINS0_14default_configELb0EPKlPlSQ_SR_N2at6native12_GLOBAL__N_18offset_tEEE10hipError_tPvRmT1_PNSt15iterator_traitsISZ_E10value_typeET2_T3_PNS10_IS15_E10value_typeET4_jRbjT5_S1B_jjP12ihipStream_tbEUljE_ZNSN_ISO_Lb0ESQ_SR_SQ_SR_SV_EESW_SX_SY_SZ_S13_S14_S15_S18_S19_jS1A_jS1B_S1B_jjS1D_bEUljE0_EEESW_SX_SY_S15_S19_S1B_T6_T7_T9_mT8_S1D_bDpT10_ENKUlT_T0_E_clISt17integral_constantIbLb0EES1Q_IbLb1EEEEDaS1M_S1N_EUlS1M_E_NS1_11comp_targetILNS1_3genE9ELNS1_11target_archE1100ELNS1_3gpuE3ELNS1_3repE0EEENS1_30default_config_static_selectorELNS0_4arch9wavefront6targetE0EEEvSZ_.has_indirect_call, 0
	.section	.AMDGPU.csdata,"",@progbits
; Kernel info:
; codeLenInByte = 0
; TotalNumSgprs: 0
; NumVgprs: 0
; ScratchSize: 0
; MemoryBound: 0
; FloatMode: 240
; IeeeMode: 1
; LDSByteSize: 0 bytes/workgroup (compile time only)
; SGPRBlocks: 0
; VGPRBlocks: 0
; NumSGPRsForWavesPerEU: 1
; NumVGPRsForWavesPerEU: 1
; Occupancy: 16
; WaveLimiterHint : 0
; COMPUTE_PGM_RSRC2:SCRATCH_EN: 0
; COMPUTE_PGM_RSRC2:USER_SGPR: 2
; COMPUTE_PGM_RSRC2:TRAP_HANDLER: 0
; COMPUTE_PGM_RSRC2:TGID_X_EN: 1
; COMPUTE_PGM_RSRC2:TGID_Y_EN: 0
; COMPUTE_PGM_RSRC2:TGID_Z_EN: 0
; COMPUTE_PGM_RSRC2:TIDIG_COMP_CNT: 0
	.section	.text._ZN7rocprim17ROCPRIM_400000_NS6detail17trampoline_kernelINS0_13select_configILj256ELj13ELNS0_17block_load_methodE3ELS4_3ELS4_3ELNS0_20block_scan_algorithmE0ELj4294967295EEENS1_25partition_config_selectorILNS1_17partition_subalgoE4EjNS0_10empty_typeEbEEZZNS1_14partition_implILS8_4ELb0ES6_15HIP_vector_typeIjLj2EENS0_17counting_iteratorIjlEEPS9_SG_NS0_5tupleIJPjSI_NS0_16reverse_iteratorISI_EEEEENSH_IJSG_SG_SG_EEES9_SI_JZNS1_25segmented_radix_sort_implINS0_14default_configELb0EPKlPlSQ_SR_N2at6native12_GLOBAL__N_18offset_tEEE10hipError_tPvRmT1_PNSt15iterator_traitsISZ_E10value_typeET2_T3_PNS10_IS15_E10value_typeET4_jRbjT5_S1B_jjP12ihipStream_tbEUljE_ZNSN_ISO_Lb0ESQ_SR_SQ_SR_SV_EESW_SX_SY_SZ_S13_S14_S15_S18_S19_jS1A_jS1B_S1B_jjS1D_bEUljE0_EEESW_SX_SY_S15_S19_S1B_T6_T7_T9_mT8_S1D_bDpT10_ENKUlT_T0_E_clISt17integral_constantIbLb0EES1Q_IbLb1EEEEDaS1M_S1N_EUlS1M_E_NS1_11comp_targetILNS1_3genE8ELNS1_11target_archE1030ELNS1_3gpuE2ELNS1_3repE0EEENS1_30default_config_static_selectorELNS0_4arch9wavefront6targetE0EEEvSZ_,"axG",@progbits,_ZN7rocprim17ROCPRIM_400000_NS6detail17trampoline_kernelINS0_13select_configILj256ELj13ELNS0_17block_load_methodE3ELS4_3ELS4_3ELNS0_20block_scan_algorithmE0ELj4294967295EEENS1_25partition_config_selectorILNS1_17partition_subalgoE4EjNS0_10empty_typeEbEEZZNS1_14partition_implILS8_4ELb0ES6_15HIP_vector_typeIjLj2EENS0_17counting_iteratorIjlEEPS9_SG_NS0_5tupleIJPjSI_NS0_16reverse_iteratorISI_EEEEENSH_IJSG_SG_SG_EEES9_SI_JZNS1_25segmented_radix_sort_implINS0_14default_configELb0EPKlPlSQ_SR_N2at6native12_GLOBAL__N_18offset_tEEE10hipError_tPvRmT1_PNSt15iterator_traitsISZ_E10value_typeET2_T3_PNS10_IS15_E10value_typeET4_jRbjT5_S1B_jjP12ihipStream_tbEUljE_ZNSN_ISO_Lb0ESQ_SR_SQ_SR_SV_EESW_SX_SY_SZ_S13_S14_S15_S18_S19_jS1A_jS1B_S1B_jjS1D_bEUljE0_EEESW_SX_SY_S15_S19_S1B_T6_T7_T9_mT8_S1D_bDpT10_ENKUlT_T0_E_clISt17integral_constantIbLb0EES1Q_IbLb1EEEEDaS1M_S1N_EUlS1M_E_NS1_11comp_targetILNS1_3genE8ELNS1_11target_archE1030ELNS1_3gpuE2ELNS1_3repE0EEENS1_30default_config_static_selectorELNS0_4arch9wavefront6targetE0EEEvSZ_,comdat
	.globl	_ZN7rocprim17ROCPRIM_400000_NS6detail17trampoline_kernelINS0_13select_configILj256ELj13ELNS0_17block_load_methodE3ELS4_3ELS4_3ELNS0_20block_scan_algorithmE0ELj4294967295EEENS1_25partition_config_selectorILNS1_17partition_subalgoE4EjNS0_10empty_typeEbEEZZNS1_14partition_implILS8_4ELb0ES6_15HIP_vector_typeIjLj2EENS0_17counting_iteratorIjlEEPS9_SG_NS0_5tupleIJPjSI_NS0_16reverse_iteratorISI_EEEEENSH_IJSG_SG_SG_EEES9_SI_JZNS1_25segmented_radix_sort_implINS0_14default_configELb0EPKlPlSQ_SR_N2at6native12_GLOBAL__N_18offset_tEEE10hipError_tPvRmT1_PNSt15iterator_traitsISZ_E10value_typeET2_T3_PNS10_IS15_E10value_typeET4_jRbjT5_S1B_jjP12ihipStream_tbEUljE_ZNSN_ISO_Lb0ESQ_SR_SQ_SR_SV_EESW_SX_SY_SZ_S13_S14_S15_S18_S19_jS1A_jS1B_S1B_jjS1D_bEUljE0_EEESW_SX_SY_S15_S19_S1B_T6_T7_T9_mT8_S1D_bDpT10_ENKUlT_T0_E_clISt17integral_constantIbLb0EES1Q_IbLb1EEEEDaS1M_S1N_EUlS1M_E_NS1_11comp_targetILNS1_3genE8ELNS1_11target_archE1030ELNS1_3gpuE2ELNS1_3repE0EEENS1_30default_config_static_selectorELNS0_4arch9wavefront6targetE0EEEvSZ_ ; -- Begin function _ZN7rocprim17ROCPRIM_400000_NS6detail17trampoline_kernelINS0_13select_configILj256ELj13ELNS0_17block_load_methodE3ELS4_3ELS4_3ELNS0_20block_scan_algorithmE0ELj4294967295EEENS1_25partition_config_selectorILNS1_17partition_subalgoE4EjNS0_10empty_typeEbEEZZNS1_14partition_implILS8_4ELb0ES6_15HIP_vector_typeIjLj2EENS0_17counting_iteratorIjlEEPS9_SG_NS0_5tupleIJPjSI_NS0_16reverse_iteratorISI_EEEEENSH_IJSG_SG_SG_EEES9_SI_JZNS1_25segmented_radix_sort_implINS0_14default_configELb0EPKlPlSQ_SR_N2at6native12_GLOBAL__N_18offset_tEEE10hipError_tPvRmT1_PNSt15iterator_traitsISZ_E10value_typeET2_T3_PNS10_IS15_E10value_typeET4_jRbjT5_S1B_jjP12ihipStream_tbEUljE_ZNSN_ISO_Lb0ESQ_SR_SQ_SR_SV_EESW_SX_SY_SZ_S13_S14_S15_S18_S19_jS1A_jS1B_S1B_jjS1D_bEUljE0_EEESW_SX_SY_S15_S19_S1B_T6_T7_T9_mT8_S1D_bDpT10_ENKUlT_T0_E_clISt17integral_constantIbLb0EES1Q_IbLb1EEEEDaS1M_S1N_EUlS1M_E_NS1_11comp_targetILNS1_3genE8ELNS1_11target_archE1030ELNS1_3gpuE2ELNS1_3repE0EEENS1_30default_config_static_selectorELNS0_4arch9wavefront6targetE0EEEvSZ_
	.p2align	8
	.type	_ZN7rocprim17ROCPRIM_400000_NS6detail17trampoline_kernelINS0_13select_configILj256ELj13ELNS0_17block_load_methodE3ELS4_3ELS4_3ELNS0_20block_scan_algorithmE0ELj4294967295EEENS1_25partition_config_selectorILNS1_17partition_subalgoE4EjNS0_10empty_typeEbEEZZNS1_14partition_implILS8_4ELb0ES6_15HIP_vector_typeIjLj2EENS0_17counting_iteratorIjlEEPS9_SG_NS0_5tupleIJPjSI_NS0_16reverse_iteratorISI_EEEEENSH_IJSG_SG_SG_EEES9_SI_JZNS1_25segmented_radix_sort_implINS0_14default_configELb0EPKlPlSQ_SR_N2at6native12_GLOBAL__N_18offset_tEEE10hipError_tPvRmT1_PNSt15iterator_traitsISZ_E10value_typeET2_T3_PNS10_IS15_E10value_typeET4_jRbjT5_S1B_jjP12ihipStream_tbEUljE_ZNSN_ISO_Lb0ESQ_SR_SQ_SR_SV_EESW_SX_SY_SZ_S13_S14_S15_S18_S19_jS1A_jS1B_S1B_jjS1D_bEUljE0_EEESW_SX_SY_S15_S19_S1B_T6_T7_T9_mT8_S1D_bDpT10_ENKUlT_T0_E_clISt17integral_constantIbLb0EES1Q_IbLb1EEEEDaS1M_S1N_EUlS1M_E_NS1_11comp_targetILNS1_3genE8ELNS1_11target_archE1030ELNS1_3gpuE2ELNS1_3repE0EEENS1_30default_config_static_selectorELNS0_4arch9wavefront6targetE0EEEvSZ_,@function
_ZN7rocprim17ROCPRIM_400000_NS6detail17trampoline_kernelINS0_13select_configILj256ELj13ELNS0_17block_load_methodE3ELS4_3ELS4_3ELNS0_20block_scan_algorithmE0ELj4294967295EEENS1_25partition_config_selectorILNS1_17partition_subalgoE4EjNS0_10empty_typeEbEEZZNS1_14partition_implILS8_4ELb0ES6_15HIP_vector_typeIjLj2EENS0_17counting_iteratorIjlEEPS9_SG_NS0_5tupleIJPjSI_NS0_16reverse_iteratorISI_EEEEENSH_IJSG_SG_SG_EEES9_SI_JZNS1_25segmented_radix_sort_implINS0_14default_configELb0EPKlPlSQ_SR_N2at6native12_GLOBAL__N_18offset_tEEE10hipError_tPvRmT1_PNSt15iterator_traitsISZ_E10value_typeET2_T3_PNS10_IS15_E10value_typeET4_jRbjT5_S1B_jjP12ihipStream_tbEUljE_ZNSN_ISO_Lb0ESQ_SR_SQ_SR_SV_EESW_SX_SY_SZ_S13_S14_S15_S18_S19_jS1A_jS1B_S1B_jjS1D_bEUljE0_EEESW_SX_SY_S15_S19_S1B_T6_T7_T9_mT8_S1D_bDpT10_ENKUlT_T0_E_clISt17integral_constantIbLb0EES1Q_IbLb1EEEEDaS1M_S1N_EUlS1M_E_NS1_11comp_targetILNS1_3genE8ELNS1_11target_archE1030ELNS1_3gpuE2ELNS1_3repE0EEENS1_30default_config_static_selectorELNS0_4arch9wavefront6targetE0EEEvSZ_: ; @_ZN7rocprim17ROCPRIM_400000_NS6detail17trampoline_kernelINS0_13select_configILj256ELj13ELNS0_17block_load_methodE3ELS4_3ELS4_3ELNS0_20block_scan_algorithmE0ELj4294967295EEENS1_25partition_config_selectorILNS1_17partition_subalgoE4EjNS0_10empty_typeEbEEZZNS1_14partition_implILS8_4ELb0ES6_15HIP_vector_typeIjLj2EENS0_17counting_iteratorIjlEEPS9_SG_NS0_5tupleIJPjSI_NS0_16reverse_iteratorISI_EEEEENSH_IJSG_SG_SG_EEES9_SI_JZNS1_25segmented_radix_sort_implINS0_14default_configELb0EPKlPlSQ_SR_N2at6native12_GLOBAL__N_18offset_tEEE10hipError_tPvRmT1_PNSt15iterator_traitsISZ_E10value_typeET2_T3_PNS10_IS15_E10value_typeET4_jRbjT5_S1B_jjP12ihipStream_tbEUljE_ZNSN_ISO_Lb0ESQ_SR_SQ_SR_SV_EESW_SX_SY_SZ_S13_S14_S15_S18_S19_jS1A_jS1B_S1B_jjS1D_bEUljE0_EEESW_SX_SY_S15_S19_S1B_T6_T7_T9_mT8_S1D_bDpT10_ENKUlT_T0_E_clISt17integral_constantIbLb0EES1Q_IbLb1EEEEDaS1M_S1N_EUlS1M_E_NS1_11comp_targetILNS1_3genE8ELNS1_11target_archE1030ELNS1_3gpuE2ELNS1_3repE0EEENS1_30default_config_static_selectorELNS0_4arch9wavefront6targetE0EEEvSZ_
; %bb.0:
	.section	.rodata,"a",@progbits
	.p2align	6, 0x0
	.amdhsa_kernel _ZN7rocprim17ROCPRIM_400000_NS6detail17trampoline_kernelINS0_13select_configILj256ELj13ELNS0_17block_load_methodE3ELS4_3ELS4_3ELNS0_20block_scan_algorithmE0ELj4294967295EEENS1_25partition_config_selectorILNS1_17partition_subalgoE4EjNS0_10empty_typeEbEEZZNS1_14partition_implILS8_4ELb0ES6_15HIP_vector_typeIjLj2EENS0_17counting_iteratorIjlEEPS9_SG_NS0_5tupleIJPjSI_NS0_16reverse_iteratorISI_EEEEENSH_IJSG_SG_SG_EEES9_SI_JZNS1_25segmented_radix_sort_implINS0_14default_configELb0EPKlPlSQ_SR_N2at6native12_GLOBAL__N_18offset_tEEE10hipError_tPvRmT1_PNSt15iterator_traitsISZ_E10value_typeET2_T3_PNS10_IS15_E10value_typeET4_jRbjT5_S1B_jjP12ihipStream_tbEUljE_ZNSN_ISO_Lb0ESQ_SR_SQ_SR_SV_EESW_SX_SY_SZ_S13_S14_S15_S18_S19_jS1A_jS1B_S1B_jjS1D_bEUljE0_EEESW_SX_SY_S15_S19_S1B_T6_T7_T9_mT8_S1D_bDpT10_ENKUlT_T0_E_clISt17integral_constantIbLb0EES1Q_IbLb1EEEEDaS1M_S1N_EUlS1M_E_NS1_11comp_targetILNS1_3genE8ELNS1_11target_archE1030ELNS1_3gpuE2ELNS1_3repE0EEENS1_30default_config_static_selectorELNS0_4arch9wavefront6targetE0EEEvSZ_
		.amdhsa_group_segment_fixed_size 0
		.amdhsa_private_segment_fixed_size 0
		.amdhsa_kernarg_size 184
		.amdhsa_user_sgpr_count 2
		.amdhsa_user_sgpr_dispatch_ptr 0
		.amdhsa_user_sgpr_queue_ptr 0
		.amdhsa_user_sgpr_kernarg_segment_ptr 1
		.amdhsa_user_sgpr_dispatch_id 0
		.amdhsa_user_sgpr_private_segment_size 0
		.amdhsa_wavefront_size32 1
		.amdhsa_uses_dynamic_stack 0
		.amdhsa_enable_private_segment 0
		.amdhsa_system_sgpr_workgroup_id_x 1
		.amdhsa_system_sgpr_workgroup_id_y 0
		.amdhsa_system_sgpr_workgroup_id_z 0
		.amdhsa_system_sgpr_workgroup_info 0
		.amdhsa_system_vgpr_workitem_id 0
		.amdhsa_next_free_vgpr 1
		.amdhsa_next_free_sgpr 1
		.amdhsa_reserve_vcc 0
		.amdhsa_float_round_mode_32 0
		.amdhsa_float_round_mode_16_64 0
		.amdhsa_float_denorm_mode_32 3
		.amdhsa_float_denorm_mode_16_64 3
		.amdhsa_fp16_overflow 0
		.amdhsa_workgroup_processor_mode 1
		.amdhsa_memory_ordered 1
		.amdhsa_forward_progress 1
		.amdhsa_inst_pref_size 0
		.amdhsa_round_robin_scheduling 0
		.amdhsa_exception_fp_ieee_invalid_op 0
		.amdhsa_exception_fp_denorm_src 0
		.amdhsa_exception_fp_ieee_div_zero 0
		.amdhsa_exception_fp_ieee_overflow 0
		.amdhsa_exception_fp_ieee_underflow 0
		.amdhsa_exception_fp_ieee_inexact 0
		.amdhsa_exception_int_div_zero 0
	.end_amdhsa_kernel
	.section	.text._ZN7rocprim17ROCPRIM_400000_NS6detail17trampoline_kernelINS0_13select_configILj256ELj13ELNS0_17block_load_methodE3ELS4_3ELS4_3ELNS0_20block_scan_algorithmE0ELj4294967295EEENS1_25partition_config_selectorILNS1_17partition_subalgoE4EjNS0_10empty_typeEbEEZZNS1_14partition_implILS8_4ELb0ES6_15HIP_vector_typeIjLj2EENS0_17counting_iteratorIjlEEPS9_SG_NS0_5tupleIJPjSI_NS0_16reverse_iteratorISI_EEEEENSH_IJSG_SG_SG_EEES9_SI_JZNS1_25segmented_radix_sort_implINS0_14default_configELb0EPKlPlSQ_SR_N2at6native12_GLOBAL__N_18offset_tEEE10hipError_tPvRmT1_PNSt15iterator_traitsISZ_E10value_typeET2_T3_PNS10_IS15_E10value_typeET4_jRbjT5_S1B_jjP12ihipStream_tbEUljE_ZNSN_ISO_Lb0ESQ_SR_SQ_SR_SV_EESW_SX_SY_SZ_S13_S14_S15_S18_S19_jS1A_jS1B_S1B_jjS1D_bEUljE0_EEESW_SX_SY_S15_S19_S1B_T6_T7_T9_mT8_S1D_bDpT10_ENKUlT_T0_E_clISt17integral_constantIbLb0EES1Q_IbLb1EEEEDaS1M_S1N_EUlS1M_E_NS1_11comp_targetILNS1_3genE8ELNS1_11target_archE1030ELNS1_3gpuE2ELNS1_3repE0EEENS1_30default_config_static_selectorELNS0_4arch9wavefront6targetE0EEEvSZ_,"axG",@progbits,_ZN7rocprim17ROCPRIM_400000_NS6detail17trampoline_kernelINS0_13select_configILj256ELj13ELNS0_17block_load_methodE3ELS4_3ELS4_3ELNS0_20block_scan_algorithmE0ELj4294967295EEENS1_25partition_config_selectorILNS1_17partition_subalgoE4EjNS0_10empty_typeEbEEZZNS1_14partition_implILS8_4ELb0ES6_15HIP_vector_typeIjLj2EENS0_17counting_iteratorIjlEEPS9_SG_NS0_5tupleIJPjSI_NS0_16reverse_iteratorISI_EEEEENSH_IJSG_SG_SG_EEES9_SI_JZNS1_25segmented_radix_sort_implINS0_14default_configELb0EPKlPlSQ_SR_N2at6native12_GLOBAL__N_18offset_tEEE10hipError_tPvRmT1_PNSt15iterator_traitsISZ_E10value_typeET2_T3_PNS10_IS15_E10value_typeET4_jRbjT5_S1B_jjP12ihipStream_tbEUljE_ZNSN_ISO_Lb0ESQ_SR_SQ_SR_SV_EESW_SX_SY_SZ_S13_S14_S15_S18_S19_jS1A_jS1B_S1B_jjS1D_bEUljE0_EEESW_SX_SY_S15_S19_S1B_T6_T7_T9_mT8_S1D_bDpT10_ENKUlT_T0_E_clISt17integral_constantIbLb0EES1Q_IbLb1EEEEDaS1M_S1N_EUlS1M_E_NS1_11comp_targetILNS1_3genE8ELNS1_11target_archE1030ELNS1_3gpuE2ELNS1_3repE0EEENS1_30default_config_static_selectorELNS0_4arch9wavefront6targetE0EEEvSZ_,comdat
.Lfunc_end774:
	.size	_ZN7rocprim17ROCPRIM_400000_NS6detail17trampoline_kernelINS0_13select_configILj256ELj13ELNS0_17block_load_methodE3ELS4_3ELS4_3ELNS0_20block_scan_algorithmE0ELj4294967295EEENS1_25partition_config_selectorILNS1_17partition_subalgoE4EjNS0_10empty_typeEbEEZZNS1_14partition_implILS8_4ELb0ES6_15HIP_vector_typeIjLj2EENS0_17counting_iteratorIjlEEPS9_SG_NS0_5tupleIJPjSI_NS0_16reverse_iteratorISI_EEEEENSH_IJSG_SG_SG_EEES9_SI_JZNS1_25segmented_radix_sort_implINS0_14default_configELb0EPKlPlSQ_SR_N2at6native12_GLOBAL__N_18offset_tEEE10hipError_tPvRmT1_PNSt15iterator_traitsISZ_E10value_typeET2_T3_PNS10_IS15_E10value_typeET4_jRbjT5_S1B_jjP12ihipStream_tbEUljE_ZNSN_ISO_Lb0ESQ_SR_SQ_SR_SV_EESW_SX_SY_SZ_S13_S14_S15_S18_S19_jS1A_jS1B_S1B_jjS1D_bEUljE0_EEESW_SX_SY_S15_S19_S1B_T6_T7_T9_mT8_S1D_bDpT10_ENKUlT_T0_E_clISt17integral_constantIbLb0EES1Q_IbLb1EEEEDaS1M_S1N_EUlS1M_E_NS1_11comp_targetILNS1_3genE8ELNS1_11target_archE1030ELNS1_3gpuE2ELNS1_3repE0EEENS1_30default_config_static_selectorELNS0_4arch9wavefront6targetE0EEEvSZ_, .Lfunc_end774-_ZN7rocprim17ROCPRIM_400000_NS6detail17trampoline_kernelINS0_13select_configILj256ELj13ELNS0_17block_load_methodE3ELS4_3ELS4_3ELNS0_20block_scan_algorithmE0ELj4294967295EEENS1_25partition_config_selectorILNS1_17partition_subalgoE4EjNS0_10empty_typeEbEEZZNS1_14partition_implILS8_4ELb0ES6_15HIP_vector_typeIjLj2EENS0_17counting_iteratorIjlEEPS9_SG_NS0_5tupleIJPjSI_NS0_16reverse_iteratorISI_EEEEENSH_IJSG_SG_SG_EEES9_SI_JZNS1_25segmented_radix_sort_implINS0_14default_configELb0EPKlPlSQ_SR_N2at6native12_GLOBAL__N_18offset_tEEE10hipError_tPvRmT1_PNSt15iterator_traitsISZ_E10value_typeET2_T3_PNS10_IS15_E10value_typeET4_jRbjT5_S1B_jjP12ihipStream_tbEUljE_ZNSN_ISO_Lb0ESQ_SR_SQ_SR_SV_EESW_SX_SY_SZ_S13_S14_S15_S18_S19_jS1A_jS1B_S1B_jjS1D_bEUljE0_EEESW_SX_SY_S15_S19_S1B_T6_T7_T9_mT8_S1D_bDpT10_ENKUlT_T0_E_clISt17integral_constantIbLb0EES1Q_IbLb1EEEEDaS1M_S1N_EUlS1M_E_NS1_11comp_targetILNS1_3genE8ELNS1_11target_archE1030ELNS1_3gpuE2ELNS1_3repE0EEENS1_30default_config_static_selectorELNS0_4arch9wavefront6targetE0EEEvSZ_
                                        ; -- End function
	.set _ZN7rocprim17ROCPRIM_400000_NS6detail17trampoline_kernelINS0_13select_configILj256ELj13ELNS0_17block_load_methodE3ELS4_3ELS4_3ELNS0_20block_scan_algorithmE0ELj4294967295EEENS1_25partition_config_selectorILNS1_17partition_subalgoE4EjNS0_10empty_typeEbEEZZNS1_14partition_implILS8_4ELb0ES6_15HIP_vector_typeIjLj2EENS0_17counting_iteratorIjlEEPS9_SG_NS0_5tupleIJPjSI_NS0_16reverse_iteratorISI_EEEEENSH_IJSG_SG_SG_EEES9_SI_JZNS1_25segmented_radix_sort_implINS0_14default_configELb0EPKlPlSQ_SR_N2at6native12_GLOBAL__N_18offset_tEEE10hipError_tPvRmT1_PNSt15iterator_traitsISZ_E10value_typeET2_T3_PNS10_IS15_E10value_typeET4_jRbjT5_S1B_jjP12ihipStream_tbEUljE_ZNSN_ISO_Lb0ESQ_SR_SQ_SR_SV_EESW_SX_SY_SZ_S13_S14_S15_S18_S19_jS1A_jS1B_S1B_jjS1D_bEUljE0_EEESW_SX_SY_S15_S19_S1B_T6_T7_T9_mT8_S1D_bDpT10_ENKUlT_T0_E_clISt17integral_constantIbLb0EES1Q_IbLb1EEEEDaS1M_S1N_EUlS1M_E_NS1_11comp_targetILNS1_3genE8ELNS1_11target_archE1030ELNS1_3gpuE2ELNS1_3repE0EEENS1_30default_config_static_selectorELNS0_4arch9wavefront6targetE0EEEvSZ_.num_vgpr, 0
	.set _ZN7rocprim17ROCPRIM_400000_NS6detail17trampoline_kernelINS0_13select_configILj256ELj13ELNS0_17block_load_methodE3ELS4_3ELS4_3ELNS0_20block_scan_algorithmE0ELj4294967295EEENS1_25partition_config_selectorILNS1_17partition_subalgoE4EjNS0_10empty_typeEbEEZZNS1_14partition_implILS8_4ELb0ES6_15HIP_vector_typeIjLj2EENS0_17counting_iteratorIjlEEPS9_SG_NS0_5tupleIJPjSI_NS0_16reverse_iteratorISI_EEEEENSH_IJSG_SG_SG_EEES9_SI_JZNS1_25segmented_radix_sort_implINS0_14default_configELb0EPKlPlSQ_SR_N2at6native12_GLOBAL__N_18offset_tEEE10hipError_tPvRmT1_PNSt15iterator_traitsISZ_E10value_typeET2_T3_PNS10_IS15_E10value_typeET4_jRbjT5_S1B_jjP12ihipStream_tbEUljE_ZNSN_ISO_Lb0ESQ_SR_SQ_SR_SV_EESW_SX_SY_SZ_S13_S14_S15_S18_S19_jS1A_jS1B_S1B_jjS1D_bEUljE0_EEESW_SX_SY_S15_S19_S1B_T6_T7_T9_mT8_S1D_bDpT10_ENKUlT_T0_E_clISt17integral_constantIbLb0EES1Q_IbLb1EEEEDaS1M_S1N_EUlS1M_E_NS1_11comp_targetILNS1_3genE8ELNS1_11target_archE1030ELNS1_3gpuE2ELNS1_3repE0EEENS1_30default_config_static_selectorELNS0_4arch9wavefront6targetE0EEEvSZ_.num_agpr, 0
	.set _ZN7rocprim17ROCPRIM_400000_NS6detail17trampoline_kernelINS0_13select_configILj256ELj13ELNS0_17block_load_methodE3ELS4_3ELS4_3ELNS0_20block_scan_algorithmE0ELj4294967295EEENS1_25partition_config_selectorILNS1_17partition_subalgoE4EjNS0_10empty_typeEbEEZZNS1_14partition_implILS8_4ELb0ES6_15HIP_vector_typeIjLj2EENS0_17counting_iteratorIjlEEPS9_SG_NS0_5tupleIJPjSI_NS0_16reverse_iteratorISI_EEEEENSH_IJSG_SG_SG_EEES9_SI_JZNS1_25segmented_radix_sort_implINS0_14default_configELb0EPKlPlSQ_SR_N2at6native12_GLOBAL__N_18offset_tEEE10hipError_tPvRmT1_PNSt15iterator_traitsISZ_E10value_typeET2_T3_PNS10_IS15_E10value_typeET4_jRbjT5_S1B_jjP12ihipStream_tbEUljE_ZNSN_ISO_Lb0ESQ_SR_SQ_SR_SV_EESW_SX_SY_SZ_S13_S14_S15_S18_S19_jS1A_jS1B_S1B_jjS1D_bEUljE0_EEESW_SX_SY_S15_S19_S1B_T6_T7_T9_mT8_S1D_bDpT10_ENKUlT_T0_E_clISt17integral_constantIbLb0EES1Q_IbLb1EEEEDaS1M_S1N_EUlS1M_E_NS1_11comp_targetILNS1_3genE8ELNS1_11target_archE1030ELNS1_3gpuE2ELNS1_3repE0EEENS1_30default_config_static_selectorELNS0_4arch9wavefront6targetE0EEEvSZ_.numbered_sgpr, 0
	.set _ZN7rocprim17ROCPRIM_400000_NS6detail17trampoline_kernelINS0_13select_configILj256ELj13ELNS0_17block_load_methodE3ELS4_3ELS4_3ELNS0_20block_scan_algorithmE0ELj4294967295EEENS1_25partition_config_selectorILNS1_17partition_subalgoE4EjNS0_10empty_typeEbEEZZNS1_14partition_implILS8_4ELb0ES6_15HIP_vector_typeIjLj2EENS0_17counting_iteratorIjlEEPS9_SG_NS0_5tupleIJPjSI_NS0_16reverse_iteratorISI_EEEEENSH_IJSG_SG_SG_EEES9_SI_JZNS1_25segmented_radix_sort_implINS0_14default_configELb0EPKlPlSQ_SR_N2at6native12_GLOBAL__N_18offset_tEEE10hipError_tPvRmT1_PNSt15iterator_traitsISZ_E10value_typeET2_T3_PNS10_IS15_E10value_typeET4_jRbjT5_S1B_jjP12ihipStream_tbEUljE_ZNSN_ISO_Lb0ESQ_SR_SQ_SR_SV_EESW_SX_SY_SZ_S13_S14_S15_S18_S19_jS1A_jS1B_S1B_jjS1D_bEUljE0_EEESW_SX_SY_S15_S19_S1B_T6_T7_T9_mT8_S1D_bDpT10_ENKUlT_T0_E_clISt17integral_constantIbLb0EES1Q_IbLb1EEEEDaS1M_S1N_EUlS1M_E_NS1_11comp_targetILNS1_3genE8ELNS1_11target_archE1030ELNS1_3gpuE2ELNS1_3repE0EEENS1_30default_config_static_selectorELNS0_4arch9wavefront6targetE0EEEvSZ_.num_named_barrier, 0
	.set _ZN7rocprim17ROCPRIM_400000_NS6detail17trampoline_kernelINS0_13select_configILj256ELj13ELNS0_17block_load_methodE3ELS4_3ELS4_3ELNS0_20block_scan_algorithmE0ELj4294967295EEENS1_25partition_config_selectorILNS1_17partition_subalgoE4EjNS0_10empty_typeEbEEZZNS1_14partition_implILS8_4ELb0ES6_15HIP_vector_typeIjLj2EENS0_17counting_iteratorIjlEEPS9_SG_NS0_5tupleIJPjSI_NS0_16reverse_iteratorISI_EEEEENSH_IJSG_SG_SG_EEES9_SI_JZNS1_25segmented_radix_sort_implINS0_14default_configELb0EPKlPlSQ_SR_N2at6native12_GLOBAL__N_18offset_tEEE10hipError_tPvRmT1_PNSt15iterator_traitsISZ_E10value_typeET2_T3_PNS10_IS15_E10value_typeET4_jRbjT5_S1B_jjP12ihipStream_tbEUljE_ZNSN_ISO_Lb0ESQ_SR_SQ_SR_SV_EESW_SX_SY_SZ_S13_S14_S15_S18_S19_jS1A_jS1B_S1B_jjS1D_bEUljE0_EEESW_SX_SY_S15_S19_S1B_T6_T7_T9_mT8_S1D_bDpT10_ENKUlT_T0_E_clISt17integral_constantIbLb0EES1Q_IbLb1EEEEDaS1M_S1N_EUlS1M_E_NS1_11comp_targetILNS1_3genE8ELNS1_11target_archE1030ELNS1_3gpuE2ELNS1_3repE0EEENS1_30default_config_static_selectorELNS0_4arch9wavefront6targetE0EEEvSZ_.private_seg_size, 0
	.set _ZN7rocprim17ROCPRIM_400000_NS6detail17trampoline_kernelINS0_13select_configILj256ELj13ELNS0_17block_load_methodE3ELS4_3ELS4_3ELNS0_20block_scan_algorithmE0ELj4294967295EEENS1_25partition_config_selectorILNS1_17partition_subalgoE4EjNS0_10empty_typeEbEEZZNS1_14partition_implILS8_4ELb0ES6_15HIP_vector_typeIjLj2EENS0_17counting_iteratorIjlEEPS9_SG_NS0_5tupleIJPjSI_NS0_16reverse_iteratorISI_EEEEENSH_IJSG_SG_SG_EEES9_SI_JZNS1_25segmented_radix_sort_implINS0_14default_configELb0EPKlPlSQ_SR_N2at6native12_GLOBAL__N_18offset_tEEE10hipError_tPvRmT1_PNSt15iterator_traitsISZ_E10value_typeET2_T3_PNS10_IS15_E10value_typeET4_jRbjT5_S1B_jjP12ihipStream_tbEUljE_ZNSN_ISO_Lb0ESQ_SR_SQ_SR_SV_EESW_SX_SY_SZ_S13_S14_S15_S18_S19_jS1A_jS1B_S1B_jjS1D_bEUljE0_EEESW_SX_SY_S15_S19_S1B_T6_T7_T9_mT8_S1D_bDpT10_ENKUlT_T0_E_clISt17integral_constantIbLb0EES1Q_IbLb1EEEEDaS1M_S1N_EUlS1M_E_NS1_11comp_targetILNS1_3genE8ELNS1_11target_archE1030ELNS1_3gpuE2ELNS1_3repE0EEENS1_30default_config_static_selectorELNS0_4arch9wavefront6targetE0EEEvSZ_.uses_vcc, 0
	.set _ZN7rocprim17ROCPRIM_400000_NS6detail17trampoline_kernelINS0_13select_configILj256ELj13ELNS0_17block_load_methodE3ELS4_3ELS4_3ELNS0_20block_scan_algorithmE0ELj4294967295EEENS1_25partition_config_selectorILNS1_17partition_subalgoE4EjNS0_10empty_typeEbEEZZNS1_14partition_implILS8_4ELb0ES6_15HIP_vector_typeIjLj2EENS0_17counting_iteratorIjlEEPS9_SG_NS0_5tupleIJPjSI_NS0_16reverse_iteratorISI_EEEEENSH_IJSG_SG_SG_EEES9_SI_JZNS1_25segmented_radix_sort_implINS0_14default_configELb0EPKlPlSQ_SR_N2at6native12_GLOBAL__N_18offset_tEEE10hipError_tPvRmT1_PNSt15iterator_traitsISZ_E10value_typeET2_T3_PNS10_IS15_E10value_typeET4_jRbjT5_S1B_jjP12ihipStream_tbEUljE_ZNSN_ISO_Lb0ESQ_SR_SQ_SR_SV_EESW_SX_SY_SZ_S13_S14_S15_S18_S19_jS1A_jS1B_S1B_jjS1D_bEUljE0_EEESW_SX_SY_S15_S19_S1B_T6_T7_T9_mT8_S1D_bDpT10_ENKUlT_T0_E_clISt17integral_constantIbLb0EES1Q_IbLb1EEEEDaS1M_S1N_EUlS1M_E_NS1_11comp_targetILNS1_3genE8ELNS1_11target_archE1030ELNS1_3gpuE2ELNS1_3repE0EEENS1_30default_config_static_selectorELNS0_4arch9wavefront6targetE0EEEvSZ_.uses_flat_scratch, 0
	.set _ZN7rocprim17ROCPRIM_400000_NS6detail17trampoline_kernelINS0_13select_configILj256ELj13ELNS0_17block_load_methodE3ELS4_3ELS4_3ELNS0_20block_scan_algorithmE0ELj4294967295EEENS1_25partition_config_selectorILNS1_17partition_subalgoE4EjNS0_10empty_typeEbEEZZNS1_14partition_implILS8_4ELb0ES6_15HIP_vector_typeIjLj2EENS0_17counting_iteratorIjlEEPS9_SG_NS0_5tupleIJPjSI_NS0_16reverse_iteratorISI_EEEEENSH_IJSG_SG_SG_EEES9_SI_JZNS1_25segmented_radix_sort_implINS0_14default_configELb0EPKlPlSQ_SR_N2at6native12_GLOBAL__N_18offset_tEEE10hipError_tPvRmT1_PNSt15iterator_traitsISZ_E10value_typeET2_T3_PNS10_IS15_E10value_typeET4_jRbjT5_S1B_jjP12ihipStream_tbEUljE_ZNSN_ISO_Lb0ESQ_SR_SQ_SR_SV_EESW_SX_SY_SZ_S13_S14_S15_S18_S19_jS1A_jS1B_S1B_jjS1D_bEUljE0_EEESW_SX_SY_S15_S19_S1B_T6_T7_T9_mT8_S1D_bDpT10_ENKUlT_T0_E_clISt17integral_constantIbLb0EES1Q_IbLb1EEEEDaS1M_S1N_EUlS1M_E_NS1_11comp_targetILNS1_3genE8ELNS1_11target_archE1030ELNS1_3gpuE2ELNS1_3repE0EEENS1_30default_config_static_selectorELNS0_4arch9wavefront6targetE0EEEvSZ_.has_dyn_sized_stack, 0
	.set _ZN7rocprim17ROCPRIM_400000_NS6detail17trampoline_kernelINS0_13select_configILj256ELj13ELNS0_17block_load_methodE3ELS4_3ELS4_3ELNS0_20block_scan_algorithmE0ELj4294967295EEENS1_25partition_config_selectorILNS1_17partition_subalgoE4EjNS0_10empty_typeEbEEZZNS1_14partition_implILS8_4ELb0ES6_15HIP_vector_typeIjLj2EENS0_17counting_iteratorIjlEEPS9_SG_NS0_5tupleIJPjSI_NS0_16reverse_iteratorISI_EEEEENSH_IJSG_SG_SG_EEES9_SI_JZNS1_25segmented_radix_sort_implINS0_14default_configELb0EPKlPlSQ_SR_N2at6native12_GLOBAL__N_18offset_tEEE10hipError_tPvRmT1_PNSt15iterator_traitsISZ_E10value_typeET2_T3_PNS10_IS15_E10value_typeET4_jRbjT5_S1B_jjP12ihipStream_tbEUljE_ZNSN_ISO_Lb0ESQ_SR_SQ_SR_SV_EESW_SX_SY_SZ_S13_S14_S15_S18_S19_jS1A_jS1B_S1B_jjS1D_bEUljE0_EEESW_SX_SY_S15_S19_S1B_T6_T7_T9_mT8_S1D_bDpT10_ENKUlT_T0_E_clISt17integral_constantIbLb0EES1Q_IbLb1EEEEDaS1M_S1N_EUlS1M_E_NS1_11comp_targetILNS1_3genE8ELNS1_11target_archE1030ELNS1_3gpuE2ELNS1_3repE0EEENS1_30default_config_static_selectorELNS0_4arch9wavefront6targetE0EEEvSZ_.has_recursion, 0
	.set _ZN7rocprim17ROCPRIM_400000_NS6detail17trampoline_kernelINS0_13select_configILj256ELj13ELNS0_17block_load_methodE3ELS4_3ELS4_3ELNS0_20block_scan_algorithmE0ELj4294967295EEENS1_25partition_config_selectorILNS1_17partition_subalgoE4EjNS0_10empty_typeEbEEZZNS1_14partition_implILS8_4ELb0ES6_15HIP_vector_typeIjLj2EENS0_17counting_iteratorIjlEEPS9_SG_NS0_5tupleIJPjSI_NS0_16reverse_iteratorISI_EEEEENSH_IJSG_SG_SG_EEES9_SI_JZNS1_25segmented_radix_sort_implINS0_14default_configELb0EPKlPlSQ_SR_N2at6native12_GLOBAL__N_18offset_tEEE10hipError_tPvRmT1_PNSt15iterator_traitsISZ_E10value_typeET2_T3_PNS10_IS15_E10value_typeET4_jRbjT5_S1B_jjP12ihipStream_tbEUljE_ZNSN_ISO_Lb0ESQ_SR_SQ_SR_SV_EESW_SX_SY_SZ_S13_S14_S15_S18_S19_jS1A_jS1B_S1B_jjS1D_bEUljE0_EEESW_SX_SY_S15_S19_S1B_T6_T7_T9_mT8_S1D_bDpT10_ENKUlT_T0_E_clISt17integral_constantIbLb0EES1Q_IbLb1EEEEDaS1M_S1N_EUlS1M_E_NS1_11comp_targetILNS1_3genE8ELNS1_11target_archE1030ELNS1_3gpuE2ELNS1_3repE0EEENS1_30default_config_static_selectorELNS0_4arch9wavefront6targetE0EEEvSZ_.has_indirect_call, 0
	.section	.AMDGPU.csdata,"",@progbits
; Kernel info:
; codeLenInByte = 0
; TotalNumSgprs: 0
; NumVgprs: 0
; ScratchSize: 0
; MemoryBound: 0
; FloatMode: 240
; IeeeMode: 1
; LDSByteSize: 0 bytes/workgroup (compile time only)
; SGPRBlocks: 0
; VGPRBlocks: 0
; NumSGPRsForWavesPerEU: 1
; NumVGPRsForWavesPerEU: 1
; Occupancy: 16
; WaveLimiterHint : 0
; COMPUTE_PGM_RSRC2:SCRATCH_EN: 0
; COMPUTE_PGM_RSRC2:USER_SGPR: 2
; COMPUTE_PGM_RSRC2:TRAP_HANDLER: 0
; COMPUTE_PGM_RSRC2:TGID_X_EN: 1
; COMPUTE_PGM_RSRC2:TGID_Y_EN: 0
; COMPUTE_PGM_RSRC2:TGID_Z_EN: 0
; COMPUTE_PGM_RSRC2:TIDIG_COMP_CNT: 0
	.section	.text._ZN7rocprim17ROCPRIM_400000_NS6detail17trampoline_kernelINS0_13select_configILj256ELj13ELNS0_17block_load_methodE3ELS4_3ELS4_3ELNS0_20block_scan_algorithmE0ELj4294967295EEENS1_25partition_config_selectorILNS1_17partition_subalgoE3EjNS0_10empty_typeEbEEZZNS1_14partition_implILS8_3ELb0ES6_jNS0_17counting_iteratorIjlEEPS9_SE_NS0_5tupleIJPjSE_EEENSF_IJSE_SE_EEES9_SG_JZNS1_25segmented_radix_sort_implINS0_14default_configELb0EPKlPlSM_SN_N2at6native12_GLOBAL__N_18offset_tEEE10hipError_tPvRmT1_PNSt15iterator_traitsISV_E10value_typeET2_T3_PNSW_IS11_E10value_typeET4_jRbjT5_S17_jjP12ihipStream_tbEUljE_EEESS_ST_SU_S11_S15_S17_T6_T7_T9_mT8_S19_bDpT10_ENKUlT_T0_E_clISt17integral_constantIbLb0EES1M_EEDaS1H_S1I_EUlS1H_E_NS1_11comp_targetILNS1_3genE0ELNS1_11target_archE4294967295ELNS1_3gpuE0ELNS1_3repE0EEENS1_30default_config_static_selectorELNS0_4arch9wavefront6targetE0EEEvSV_,"axG",@progbits,_ZN7rocprim17ROCPRIM_400000_NS6detail17trampoline_kernelINS0_13select_configILj256ELj13ELNS0_17block_load_methodE3ELS4_3ELS4_3ELNS0_20block_scan_algorithmE0ELj4294967295EEENS1_25partition_config_selectorILNS1_17partition_subalgoE3EjNS0_10empty_typeEbEEZZNS1_14partition_implILS8_3ELb0ES6_jNS0_17counting_iteratorIjlEEPS9_SE_NS0_5tupleIJPjSE_EEENSF_IJSE_SE_EEES9_SG_JZNS1_25segmented_radix_sort_implINS0_14default_configELb0EPKlPlSM_SN_N2at6native12_GLOBAL__N_18offset_tEEE10hipError_tPvRmT1_PNSt15iterator_traitsISV_E10value_typeET2_T3_PNSW_IS11_E10value_typeET4_jRbjT5_S17_jjP12ihipStream_tbEUljE_EEESS_ST_SU_S11_S15_S17_T6_T7_T9_mT8_S19_bDpT10_ENKUlT_T0_E_clISt17integral_constantIbLb0EES1M_EEDaS1H_S1I_EUlS1H_E_NS1_11comp_targetILNS1_3genE0ELNS1_11target_archE4294967295ELNS1_3gpuE0ELNS1_3repE0EEENS1_30default_config_static_selectorELNS0_4arch9wavefront6targetE0EEEvSV_,comdat
	.globl	_ZN7rocprim17ROCPRIM_400000_NS6detail17trampoline_kernelINS0_13select_configILj256ELj13ELNS0_17block_load_methodE3ELS4_3ELS4_3ELNS0_20block_scan_algorithmE0ELj4294967295EEENS1_25partition_config_selectorILNS1_17partition_subalgoE3EjNS0_10empty_typeEbEEZZNS1_14partition_implILS8_3ELb0ES6_jNS0_17counting_iteratorIjlEEPS9_SE_NS0_5tupleIJPjSE_EEENSF_IJSE_SE_EEES9_SG_JZNS1_25segmented_radix_sort_implINS0_14default_configELb0EPKlPlSM_SN_N2at6native12_GLOBAL__N_18offset_tEEE10hipError_tPvRmT1_PNSt15iterator_traitsISV_E10value_typeET2_T3_PNSW_IS11_E10value_typeET4_jRbjT5_S17_jjP12ihipStream_tbEUljE_EEESS_ST_SU_S11_S15_S17_T6_T7_T9_mT8_S19_bDpT10_ENKUlT_T0_E_clISt17integral_constantIbLb0EES1M_EEDaS1H_S1I_EUlS1H_E_NS1_11comp_targetILNS1_3genE0ELNS1_11target_archE4294967295ELNS1_3gpuE0ELNS1_3repE0EEENS1_30default_config_static_selectorELNS0_4arch9wavefront6targetE0EEEvSV_ ; -- Begin function _ZN7rocprim17ROCPRIM_400000_NS6detail17trampoline_kernelINS0_13select_configILj256ELj13ELNS0_17block_load_methodE3ELS4_3ELS4_3ELNS0_20block_scan_algorithmE0ELj4294967295EEENS1_25partition_config_selectorILNS1_17partition_subalgoE3EjNS0_10empty_typeEbEEZZNS1_14partition_implILS8_3ELb0ES6_jNS0_17counting_iteratorIjlEEPS9_SE_NS0_5tupleIJPjSE_EEENSF_IJSE_SE_EEES9_SG_JZNS1_25segmented_radix_sort_implINS0_14default_configELb0EPKlPlSM_SN_N2at6native12_GLOBAL__N_18offset_tEEE10hipError_tPvRmT1_PNSt15iterator_traitsISV_E10value_typeET2_T3_PNSW_IS11_E10value_typeET4_jRbjT5_S17_jjP12ihipStream_tbEUljE_EEESS_ST_SU_S11_S15_S17_T6_T7_T9_mT8_S19_bDpT10_ENKUlT_T0_E_clISt17integral_constantIbLb0EES1M_EEDaS1H_S1I_EUlS1H_E_NS1_11comp_targetILNS1_3genE0ELNS1_11target_archE4294967295ELNS1_3gpuE0ELNS1_3repE0EEENS1_30default_config_static_selectorELNS0_4arch9wavefront6targetE0EEEvSV_
	.p2align	8
	.type	_ZN7rocprim17ROCPRIM_400000_NS6detail17trampoline_kernelINS0_13select_configILj256ELj13ELNS0_17block_load_methodE3ELS4_3ELS4_3ELNS0_20block_scan_algorithmE0ELj4294967295EEENS1_25partition_config_selectorILNS1_17partition_subalgoE3EjNS0_10empty_typeEbEEZZNS1_14partition_implILS8_3ELb0ES6_jNS0_17counting_iteratorIjlEEPS9_SE_NS0_5tupleIJPjSE_EEENSF_IJSE_SE_EEES9_SG_JZNS1_25segmented_radix_sort_implINS0_14default_configELb0EPKlPlSM_SN_N2at6native12_GLOBAL__N_18offset_tEEE10hipError_tPvRmT1_PNSt15iterator_traitsISV_E10value_typeET2_T3_PNSW_IS11_E10value_typeET4_jRbjT5_S17_jjP12ihipStream_tbEUljE_EEESS_ST_SU_S11_S15_S17_T6_T7_T9_mT8_S19_bDpT10_ENKUlT_T0_E_clISt17integral_constantIbLb0EES1M_EEDaS1H_S1I_EUlS1H_E_NS1_11comp_targetILNS1_3genE0ELNS1_11target_archE4294967295ELNS1_3gpuE0ELNS1_3repE0EEENS1_30default_config_static_selectorELNS0_4arch9wavefront6targetE0EEEvSV_,@function
_ZN7rocprim17ROCPRIM_400000_NS6detail17trampoline_kernelINS0_13select_configILj256ELj13ELNS0_17block_load_methodE3ELS4_3ELS4_3ELNS0_20block_scan_algorithmE0ELj4294967295EEENS1_25partition_config_selectorILNS1_17partition_subalgoE3EjNS0_10empty_typeEbEEZZNS1_14partition_implILS8_3ELb0ES6_jNS0_17counting_iteratorIjlEEPS9_SE_NS0_5tupleIJPjSE_EEENSF_IJSE_SE_EEES9_SG_JZNS1_25segmented_radix_sort_implINS0_14default_configELb0EPKlPlSM_SN_N2at6native12_GLOBAL__N_18offset_tEEE10hipError_tPvRmT1_PNSt15iterator_traitsISV_E10value_typeET2_T3_PNSW_IS11_E10value_typeET4_jRbjT5_S17_jjP12ihipStream_tbEUljE_EEESS_ST_SU_S11_S15_S17_T6_T7_T9_mT8_S19_bDpT10_ENKUlT_T0_E_clISt17integral_constantIbLb0EES1M_EEDaS1H_S1I_EUlS1H_E_NS1_11comp_targetILNS1_3genE0ELNS1_11target_archE4294967295ELNS1_3gpuE0ELNS1_3repE0EEENS1_30default_config_static_selectorELNS0_4arch9wavefront6targetE0EEEvSV_: ; @_ZN7rocprim17ROCPRIM_400000_NS6detail17trampoline_kernelINS0_13select_configILj256ELj13ELNS0_17block_load_methodE3ELS4_3ELS4_3ELNS0_20block_scan_algorithmE0ELj4294967295EEENS1_25partition_config_selectorILNS1_17partition_subalgoE3EjNS0_10empty_typeEbEEZZNS1_14partition_implILS8_3ELb0ES6_jNS0_17counting_iteratorIjlEEPS9_SE_NS0_5tupleIJPjSE_EEENSF_IJSE_SE_EEES9_SG_JZNS1_25segmented_radix_sort_implINS0_14default_configELb0EPKlPlSM_SN_N2at6native12_GLOBAL__N_18offset_tEEE10hipError_tPvRmT1_PNSt15iterator_traitsISV_E10value_typeET2_T3_PNSW_IS11_E10value_typeET4_jRbjT5_S17_jjP12ihipStream_tbEUljE_EEESS_ST_SU_S11_S15_S17_T6_T7_T9_mT8_S19_bDpT10_ENKUlT_T0_E_clISt17integral_constantIbLb0EES1M_EEDaS1H_S1I_EUlS1H_E_NS1_11comp_targetILNS1_3genE0ELNS1_11target_archE4294967295ELNS1_3gpuE0ELNS1_3repE0EEENS1_30default_config_static_selectorELNS0_4arch9wavefront6targetE0EEEvSV_
; %bb.0:
	.section	.rodata,"a",@progbits
	.p2align	6, 0x0
	.amdhsa_kernel _ZN7rocprim17ROCPRIM_400000_NS6detail17trampoline_kernelINS0_13select_configILj256ELj13ELNS0_17block_load_methodE3ELS4_3ELS4_3ELNS0_20block_scan_algorithmE0ELj4294967295EEENS1_25partition_config_selectorILNS1_17partition_subalgoE3EjNS0_10empty_typeEbEEZZNS1_14partition_implILS8_3ELb0ES6_jNS0_17counting_iteratorIjlEEPS9_SE_NS0_5tupleIJPjSE_EEENSF_IJSE_SE_EEES9_SG_JZNS1_25segmented_radix_sort_implINS0_14default_configELb0EPKlPlSM_SN_N2at6native12_GLOBAL__N_18offset_tEEE10hipError_tPvRmT1_PNSt15iterator_traitsISV_E10value_typeET2_T3_PNSW_IS11_E10value_typeET4_jRbjT5_S17_jjP12ihipStream_tbEUljE_EEESS_ST_SU_S11_S15_S17_T6_T7_T9_mT8_S19_bDpT10_ENKUlT_T0_E_clISt17integral_constantIbLb0EES1M_EEDaS1H_S1I_EUlS1H_E_NS1_11comp_targetILNS1_3genE0ELNS1_11target_archE4294967295ELNS1_3gpuE0ELNS1_3repE0EEENS1_30default_config_static_selectorELNS0_4arch9wavefront6targetE0EEEvSV_
		.amdhsa_group_segment_fixed_size 0
		.amdhsa_private_segment_fixed_size 0
		.amdhsa_kernarg_size 144
		.amdhsa_user_sgpr_count 2
		.amdhsa_user_sgpr_dispatch_ptr 0
		.amdhsa_user_sgpr_queue_ptr 0
		.amdhsa_user_sgpr_kernarg_segment_ptr 1
		.amdhsa_user_sgpr_dispatch_id 0
		.amdhsa_user_sgpr_private_segment_size 0
		.amdhsa_wavefront_size32 1
		.amdhsa_uses_dynamic_stack 0
		.amdhsa_enable_private_segment 0
		.amdhsa_system_sgpr_workgroup_id_x 1
		.amdhsa_system_sgpr_workgroup_id_y 0
		.amdhsa_system_sgpr_workgroup_id_z 0
		.amdhsa_system_sgpr_workgroup_info 0
		.amdhsa_system_vgpr_workitem_id 0
		.amdhsa_next_free_vgpr 1
		.amdhsa_next_free_sgpr 1
		.amdhsa_reserve_vcc 0
		.amdhsa_float_round_mode_32 0
		.amdhsa_float_round_mode_16_64 0
		.amdhsa_float_denorm_mode_32 3
		.amdhsa_float_denorm_mode_16_64 3
		.amdhsa_fp16_overflow 0
		.amdhsa_workgroup_processor_mode 1
		.amdhsa_memory_ordered 1
		.amdhsa_forward_progress 1
		.amdhsa_inst_pref_size 0
		.amdhsa_round_robin_scheduling 0
		.amdhsa_exception_fp_ieee_invalid_op 0
		.amdhsa_exception_fp_denorm_src 0
		.amdhsa_exception_fp_ieee_div_zero 0
		.amdhsa_exception_fp_ieee_overflow 0
		.amdhsa_exception_fp_ieee_underflow 0
		.amdhsa_exception_fp_ieee_inexact 0
		.amdhsa_exception_int_div_zero 0
	.end_amdhsa_kernel
	.section	.text._ZN7rocprim17ROCPRIM_400000_NS6detail17trampoline_kernelINS0_13select_configILj256ELj13ELNS0_17block_load_methodE3ELS4_3ELS4_3ELNS0_20block_scan_algorithmE0ELj4294967295EEENS1_25partition_config_selectorILNS1_17partition_subalgoE3EjNS0_10empty_typeEbEEZZNS1_14partition_implILS8_3ELb0ES6_jNS0_17counting_iteratorIjlEEPS9_SE_NS0_5tupleIJPjSE_EEENSF_IJSE_SE_EEES9_SG_JZNS1_25segmented_radix_sort_implINS0_14default_configELb0EPKlPlSM_SN_N2at6native12_GLOBAL__N_18offset_tEEE10hipError_tPvRmT1_PNSt15iterator_traitsISV_E10value_typeET2_T3_PNSW_IS11_E10value_typeET4_jRbjT5_S17_jjP12ihipStream_tbEUljE_EEESS_ST_SU_S11_S15_S17_T6_T7_T9_mT8_S19_bDpT10_ENKUlT_T0_E_clISt17integral_constantIbLb0EES1M_EEDaS1H_S1I_EUlS1H_E_NS1_11comp_targetILNS1_3genE0ELNS1_11target_archE4294967295ELNS1_3gpuE0ELNS1_3repE0EEENS1_30default_config_static_selectorELNS0_4arch9wavefront6targetE0EEEvSV_,"axG",@progbits,_ZN7rocprim17ROCPRIM_400000_NS6detail17trampoline_kernelINS0_13select_configILj256ELj13ELNS0_17block_load_methodE3ELS4_3ELS4_3ELNS0_20block_scan_algorithmE0ELj4294967295EEENS1_25partition_config_selectorILNS1_17partition_subalgoE3EjNS0_10empty_typeEbEEZZNS1_14partition_implILS8_3ELb0ES6_jNS0_17counting_iteratorIjlEEPS9_SE_NS0_5tupleIJPjSE_EEENSF_IJSE_SE_EEES9_SG_JZNS1_25segmented_radix_sort_implINS0_14default_configELb0EPKlPlSM_SN_N2at6native12_GLOBAL__N_18offset_tEEE10hipError_tPvRmT1_PNSt15iterator_traitsISV_E10value_typeET2_T3_PNSW_IS11_E10value_typeET4_jRbjT5_S17_jjP12ihipStream_tbEUljE_EEESS_ST_SU_S11_S15_S17_T6_T7_T9_mT8_S19_bDpT10_ENKUlT_T0_E_clISt17integral_constantIbLb0EES1M_EEDaS1H_S1I_EUlS1H_E_NS1_11comp_targetILNS1_3genE0ELNS1_11target_archE4294967295ELNS1_3gpuE0ELNS1_3repE0EEENS1_30default_config_static_selectorELNS0_4arch9wavefront6targetE0EEEvSV_,comdat
.Lfunc_end775:
	.size	_ZN7rocprim17ROCPRIM_400000_NS6detail17trampoline_kernelINS0_13select_configILj256ELj13ELNS0_17block_load_methodE3ELS4_3ELS4_3ELNS0_20block_scan_algorithmE0ELj4294967295EEENS1_25partition_config_selectorILNS1_17partition_subalgoE3EjNS0_10empty_typeEbEEZZNS1_14partition_implILS8_3ELb0ES6_jNS0_17counting_iteratorIjlEEPS9_SE_NS0_5tupleIJPjSE_EEENSF_IJSE_SE_EEES9_SG_JZNS1_25segmented_radix_sort_implINS0_14default_configELb0EPKlPlSM_SN_N2at6native12_GLOBAL__N_18offset_tEEE10hipError_tPvRmT1_PNSt15iterator_traitsISV_E10value_typeET2_T3_PNSW_IS11_E10value_typeET4_jRbjT5_S17_jjP12ihipStream_tbEUljE_EEESS_ST_SU_S11_S15_S17_T6_T7_T9_mT8_S19_bDpT10_ENKUlT_T0_E_clISt17integral_constantIbLb0EES1M_EEDaS1H_S1I_EUlS1H_E_NS1_11comp_targetILNS1_3genE0ELNS1_11target_archE4294967295ELNS1_3gpuE0ELNS1_3repE0EEENS1_30default_config_static_selectorELNS0_4arch9wavefront6targetE0EEEvSV_, .Lfunc_end775-_ZN7rocprim17ROCPRIM_400000_NS6detail17trampoline_kernelINS0_13select_configILj256ELj13ELNS0_17block_load_methodE3ELS4_3ELS4_3ELNS0_20block_scan_algorithmE0ELj4294967295EEENS1_25partition_config_selectorILNS1_17partition_subalgoE3EjNS0_10empty_typeEbEEZZNS1_14partition_implILS8_3ELb0ES6_jNS0_17counting_iteratorIjlEEPS9_SE_NS0_5tupleIJPjSE_EEENSF_IJSE_SE_EEES9_SG_JZNS1_25segmented_radix_sort_implINS0_14default_configELb0EPKlPlSM_SN_N2at6native12_GLOBAL__N_18offset_tEEE10hipError_tPvRmT1_PNSt15iterator_traitsISV_E10value_typeET2_T3_PNSW_IS11_E10value_typeET4_jRbjT5_S17_jjP12ihipStream_tbEUljE_EEESS_ST_SU_S11_S15_S17_T6_T7_T9_mT8_S19_bDpT10_ENKUlT_T0_E_clISt17integral_constantIbLb0EES1M_EEDaS1H_S1I_EUlS1H_E_NS1_11comp_targetILNS1_3genE0ELNS1_11target_archE4294967295ELNS1_3gpuE0ELNS1_3repE0EEENS1_30default_config_static_selectorELNS0_4arch9wavefront6targetE0EEEvSV_
                                        ; -- End function
	.set _ZN7rocprim17ROCPRIM_400000_NS6detail17trampoline_kernelINS0_13select_configILj256ELj13ELNS0_17block_load_methodE3ELS4_3ELS4_3ELNS0_20block_scan_algorithmE0ELj4294967295EEENS1_25partition_config_selectorILNS1_17partition_subalgoE3EjNS0_10empty_typeEbEEZZNS1_14partition_implILS8_3ELb0ES6_jNS0_17counting_iteratorIjlEEPS9_SE_NS0_5tupleIJPjSE_EEENSF_IJSE_SE_EEES9_SG_JZNS1_25segmented_radix_sort_implINS0_14default_configELb0EPKlPlSM_SN_N2at6native12_GLOBAL__N_18offset_tEEE10hipError_tPvRmT1_PNSt15iterator_traitsISV_E10value_typeET2_T3_PNSW_IS11_E10value_typeET4_jRbjT5_S17_jjP12ihipStream_tbEUljE_EEESS_ST_SU_S11_S15_S17_T6_T7_T9_mT8_S19_bDpT10_ENKUlT_T0_E_clISt17integral_constantIbLb0EES1M_EEDaS1H_S1I_EUlS1H_E_NS1_11comp_targetILNS1_3genE0ELNS1_11target_archE4294967295ELNS1_3gpuE0ELNS1_3repE0EEENS1_30default_config_static_selectorELNS0_4arch9wavefront6targetE0EEEvSV_.num_vgpr, 0
	.set _ZN7rocprim17ROCPRIM_400000_NS6detail17trampoline_kernelINS0_13select_configILj256ELj13ELNS0_17block_load_methodE3ELS4_3ELS4_3ELNS0_20block_scan_algorithmE0ELj4294967295EEENS1_25partition_config_selectorILNS1_17partition_subalgoE3EjNS0_10empty_typeEbEEZZNS1_14partition_implILS8_3ELb0ES6_jNS0_17counting_iteratorIjlEEPS9_SE_NS0_5tupleIJPjSE_EEENSF_IJSE_SE_EEES9_SG_JZNS1_25segmented_radix_sort_implINS0_14default_configELb0EPKlPlSM_SN_N2at6native12_GLOBAL__N_18offset_tEEE10hipError_tPvRmT1_PNSt15iterator_traitsISV_E10value_typeET2_T3_PNSW_IS11_E10value_typeET4_jRbjT5_S17_jjP12ihipStream_tbEUljE_EEESS_ST_SU_S11_S15_S17_T6_T7_T9_mT8_S19_bDpT10_ENKUlT_T0_E_clISt17integral_constantIbLb0EES1M_EEDaS1H_S1I_EUlS1H_E_NS1_11comp_targetILNS1_3genE0ELNS1_11target_archE4294967295ELNS1_3gpuE0ELNS1_3repE0EEENS1_30default_config_static_selectorELNS0_4arch9wavefront6targetE0EEEvSV_.num_agpr, 0
	.set _ZN7rocprim17ROCPRIM_400000_NS6detail17trampoline_kernelINS0_13select_configILj256ELj13ELNS0_17block_load_methodE3ELS4_3ELS4_3ELNS0_20block_scan_algorithmE0ELj4294967295EEENS1_25partition_config_selectorILNS1_17partition_subalgoE3EjNS0_10empty_typeEbEEZZNS1_14partition_implILS8_3ELb0ES6_jNS0_17counting_iteratorIjlEEPS9_SE_NS0_5tupleIJPjSE_EEENSF_IJSE_SE_EEES9_SG_JZNS1_25segmented_radix_sort_implINS0_14default_configELb0EPKlPlSM_SN_N2at6native12_GLOBAL__N_18offset_tEEE10hipError_tPvRmT1_PNSt15iterator_traitsISV_E10value_typeET2_T3_PNSW_IS11_E10value_typeET4_jRbjT5_S17_jjP12ihipStream_tbEUljE_EEESS_ST_SU_S11_S15_S17_T6_T7_T9_mT8_S19_bDpT10_ENKUlT_T0_E_clISt17integral_constantIbLb0EES1M_EEDaS1H_S1I_EUlS1H_E_NS1_11comp_targetILNS1_3genE0ELNS1_11target_archE4294967295ELNS1_3gpuE0ELNS1_3repE0EEENS1_30default_config_static_selectorELNS0_4arch9wavefront6targetE0EEEvSV_.numbered_sgpr, 0
	.set _ZN7rocprim17ROCPRIM_400000_NS6detail17trampoline_kernelINS0_13select_configILj256ELj13ELNS0_17block_load_methodE3ELS4_3ELS4_3ELNS0_20block_scan_algorithmE0ELj4294967295EEENS1_25partition_config_selectorILNS1_17partition_subalgoE3EjNS0_10empty_typeEbEEZZNS1_14partition_implILS8_3ELb0ES6_jNS0_17counting_iteratorIjlEEPS9_SE_NS0_5tupleIJPjSE_EEENSF_IJSE_SE_EEES9_SG_JZNS1_25segmented_radix_sort_implINS0_14default_configELb0EPKlPlSM_SN_N2at6native12_GLOBAL__N_18offset_tEEE10hipError_tPvRmT1_PNSt15iterator_traitsISV_E10value_typeET2_T3_PNSW_IS11_E10value_typeET4_jRbjT5_S17_jjP12ihipStream_tbEUljE_EEESS_ST_SU_S11_S15_S17_T6_T7_T9_mT8_S19_bDpT10_ENKUlT_T0_E_clISt17integral_constantIbLb0EES1M_EEDaS1H_S1I_EUlS1H_E_NS1_11comp_targetILNS1_3genE0ELNS1_11target_archE4294967295ELNS1_3gpuE0ELNS1_3repE0EEENS1_30default_config_static_selectorELNS0_4arch9wavefront6targetE0EEEvSV_.num_named_barrier, 0
	.set _ZN7rocprim17ROCPRIM_400000_NS6detail17trampoline_kernelINS0_13select_configILj256ELj13ELNS0_17block_load_methodE3ELS4_3ELS4_3ELNS0_20block_scan_algorithmE0ELj4294967295EEENS1_25partition_config_selectorILNS1_17partition_subalgoE3EjNS0_10empty_typeEbEEZZNS1_14partition_implILS8_3ELb0ES6_jNS0_17counting_iteratorIjlEEPS9_SE_NS0_5tupleIJPjSE_EEENSF_IJSE_SE_EEES9_SG_JZNS1_25segmented_radix_sort_implINS0_14default_configELb0EPKlPlSM_SN_N2at6native12_GLOBAL__N_18offset_tEEE10hipError_tPvRmT1_PNSt15iterator_traitsISV_E10value_typeET2_T3_PNSW_IS11_E10value_typeET4_jRbjT5_S17_jjP12ihipStream_tbEUljE_EEESS_ST_SU_S11_S15_S17_T6_T7_T9_mT8_S19_bDpT10_ENKUlT_T0_E_clISt17integral_constantIbLb0EES1M_EEDaS1H_S1I_EUlS1H_E_NS1_11comp_targetILNS1_3genE0ELNS1_11target_archE4294967295ELNS1_3gpuE0ELNS1_3repE0EEENS1_30default_config_static_selectorELNS0_4arch9wavefront6targetE0EEEvSV_.private_seg_size, 0
	.set _ZN7rocprim17ROCPRIM_400000_NS6detail17trampoline_kernelINS0_13select_configILj256ELj13ELNS0_17block_load_methodE3ELS4_3ELS4_3ELNS0_20block_scan_algorithmE0ELj4294967295EEENS1_25partition_config_selectorILNS1_17partition_subalgoE3EjNS0_10empty_typeEbEEZZNS1_14partition_implILS8_3ELb0ES6_jNS0_17counting_iteratorIjlEEPS9_SE_NS0_5tupleIJPjSE_EEENSF_IJSE_SE_EEES9_SG_JZNS1_25segmented_radix_sort_implINS0_14default_configELb0EPKlPlSM_SN_N2at6native12_GLOBAL__N_18offset_tEEE10hipError_tPvRmT1_PNSt15iterator_traitsISV_E10value_typeET2_T3_PNSW_IS11_E10value_typeET4_jRbjT5_S17_jjP12ihipStream_tbEUljE_EEESS_ST_SU_S11_S15_S17_T6_T7_T9_mT8_S19_bDpT10_ENKUlT_T0_E_clISt17integral_constantIbLb0EES1M_EEDaS1H_S1I_EUlS1H_E_NS1_11comp_targetILNS1_3genE0ELNS1_11target_archE4294967295ELNS1_3gpuE0ELNS1_3repE0EEENS1_30default_config_static_selectorELNS0_4arch9wavefront6targetE0EEEvSV_.uses_vcc, 0
	.set _ZN7rocprim17ROCPRIM_400000_NS6detail17trampoline_kernelINS0_13select_configILj256ELj13ELNS0_17block_load_methodE3ELS4_3ELS4_3ELNS0_20block_scan_algorithmE0ELj4294967295EEENS1_25partition_config_selectorILNS1_17partition_subalgoE3EjNS0_10empty_typeEbEEZZNS1_14partition_implILS8_3ELb0ES6_jNS0_17counting_iteratorIjlEEPS9_SE_NS0_5tupleIJPjSE_EEENSF_IJSE_SE_EEES9_SG_JZNS1_25segmented_radix_sort_implINS0_14default_configELb0EPKlPlSM_SN_N2at6native12_GLOBAL__N_18offset_tEEE10hipError_tPvRmT1_PNSt15iterator_traitsISV_E10value_typeET2_T3_PNSW_IS11_E10value_typeET4_jRbjT5_S17_jjP12ihipStream_tbEUljE_EEESS_ST_SU_S11_S15_S17_T6_T7_T9_mT8_S19_bDpT10_ENKUlT_T0_E_clISt17integral_constantIbLb0EES1M_EEDaS1H_S1I_EUlS1H_E_NS1_11comp_targetILNS1_3genE0ELNS1_11target_archE4294967295ELNS1_3gpuE0ELNS1_3repE0EEENS1_30default_config_static_selectorELNS0_4arch9wavefront6targetE0EEEvSV_.uses_flat_scratch, 0
	.set _ZN7rocprim17ROCPRIM_400000_NS6detail17trampoline_kernelINS0_13select_configILj256ELj13ELNS0_17block_load_methodE3ELS4_3ELS4_3ELNS0_20block_scan_algorithmE0ELj4294967295EEENS1_25partition_config_selectorILNS1_17partition_subalgoE3EjNS0_10empty_typeEbEEZZNS1_14partition_implILS8_3ELb0ES6_jNS0_17counting_iteratorIjlEEPS9_SE_NS0_5tupleIJPjSE_EEENSF_IJSE_SE_EEES9_SG_JZNS1_25segmented_radix_sort_implINS0_14default_configELb0EPKlPlSM_SN_N2at6native12_GLOBAL__N_18offset_tEEE10hipError_tPvRmT1_PNSt15iterator_traitsISV_E10value_typeET2_T3_PNSW_IS11_E10value_typeET4_jRbjT5_S17_jjP12ihipStream_tbEUljE_EEESS_ST_SU_S11_S15_S17_T6_T7_T9_mT8_S19_bDpT10_ENKUlT_T0_E_clISt17integral_constantIbLb0EES1M_EEDaS1H_S1I_EUlS1H_E_NS1_11comp_targetILNS1_3genE0ELNS1_11target_archE4294967295ELNS1_3gpuE0ELNS1_3repE0EEENS1_30default_config_static_selectorELNS0_4arch9wavefront6targetE0EEEvSV_.has_dyn_sized_stack, 0
	.set _ZN7rocprim17ROCPRIM_400000_NS6detail17trampoline_kernelINS0_13select_configILj256ELj13ELNS0_17block_load_methodE3ELS4_3ELS4_3ELNS0_20block_scan_algorithmE0ELj4294967295EEENS1_25partition_config_selectorILNS1_17partition_subalgoE3EjNS0_10empty_typeEbEEZZNS1_14partition_implILS8_3ELb0ES6_jNS0_17counting_iteratorIjlEEPS9_SE_NS0_5tupleIJPjSE_EEENSF_IJSE_SE_EEES9_SG_JZNS1_25segmented_radix_sort_implINS0_14default_configELb0EPKlPlSM_SN_N2at6native12_GLOBAL__N_18offset_tEEE10hipError_tPvRmT1_PNSt15iterator_traitsISV_E10value_typeET2_T3_PNSW_IS11_E10value_typeET4_jRbjT5_S17_jjP12ihipStream_tbEUljE_EEESS_ST_SU_S11_S15_S17_T6_T7_T9_mT8_S19_bDpT10_ENKUlT_T0_E_clISt17integral_constantIbLb0EES1M_EEDaS1H_S1I_EUlS1H_E_NS1_11comp_targetILNS1_3genE0ELNS1_11target_archE4294967295ELNS1_3gpuE0ELNS1_3repE0EEENS1_30default_config_static_selectorELNS0_4arch9wavefront6targetE0EEEvSV_.has_recursion, 0
	.set _ZN7rocprim17ROCPRIM_400000_NS6detail17trampoline_kernelINS0_13select_configILj256ELj13ELNS0_17block_load_methodE3ELS4_3ELS4_3ELNS0_20block_scan_algorithmE0ELj4294967295EEENS1_25partition_config_selectorILNS1_17partition_subalgoE3EjNS0_10empty_typeEbEEZZNS1_14partition_implILS8_3ELb0ES6_jNS0_17counting_iteratorIjlEEPS9_SE_NS0_5tupleIJPjSE_EEENSF_IJSE_SE_EEES9_SG_JZNS1_25segmented_radix_sort_implINS0_14default_configELb0EPKlPlSM_SN_N2at6native12_GLOBAL__N_18offset_tEEE10hipError_tPvRmT1_PNSt15iterator_traitsISV_E10value_typeET2_T3_PNSW_IS11_E10value_typeET4_jRbjT5_S17_jjP12ihipStream_tbEUljE_EEESS_ST_SU_S11_S15_S17_T6_T7_T9_mT8_S19_bDpT10_ENKUlT_T0_E_clISt17integral_constantIbLb0EES1M_EEDaS1H_S1I_EUlS1H_E_NS1_11comp_targetILNS1_3genE0ELNS1_11target_archE4294967295ELNS1_3gpuE0ELNS1_3repE0EEENS1_30default_config_static_selectorELNS0_4arch9wavefront6targetE0EEEvSV_.has_indirect_call, 0
	.section	.AMDGPU.csdata,"",@progbits
; Kernel info:
; codeLenInByte = 0
; TotalNumSgprs: 0
; NumVgprs: 0
; ScratchSize: 0
; MemoryBound: 0
; FloatMode: 240
; IeeeMode: 1
; LDSByteSize: 0 bytes/workgroup (compile time only)
; SGPRBlocks: 0
; VGPRBlocks: 0
; NumSGPRsForWavesPerEU: 1
; NumVGPRsForWavesPerEU: 1
; Occupancy: 16
; WaveLimiterHint : 0
; COMPUTE_PGM_RSRC2:SCRATCH_EN: 0
; COMPUTE_PGM_RSRC2:USER_SGPR: 2
; COMPUTE_PGM_RSRC2:TRAP_HANDLER: 0
; COMPUTE_PGM_RSRC2:TGID_X_EN: 1
; COMPUTE_PGM_RSRC2:TGID_Y_EN: 0
; COMPUTE_PGM_RSRC2:TGID_Z_EN: 0
; COMPUTE_PGM_RSRC2:TIDIG_COMP_CNT: 0
	.section	.text._ZN7rocprim17ROCPRIM_400000_NS6detail17trampoline_kernelINS0_13select_configILj256ELj13ELNS0_17block_load_methodE3ELS4_3ELS4_3ELNS0_20block_scan_algorithmE0ELj4294967295EEENS1_25partition_config_selectorILNS1_17partition_subalgoE3EjNS0_10empty_typeEbEEZZNS1_14partition_implILS8_3ELb0ES6_jNS0_17counting_iteratorIjlEEPS9_SE_NS0_5tupleIJPjSE_EEENSF_IJSE_SE_EEES9_SG_JZNS1_25segmented_radix_sort_implINS0_14default_configELb0EPKlPlSM_SN_N2at6native12_GLOBAL__N_18offset_tEEE10hipError_tPvRmT1_PNSt15iterator_traitsISV_E10value_typeET2_T3_PNSW_IS11_E10value_typeET4_jRbjT5_S17_jjP12ihipStream_tbEUljE_EEESS_ST_SU_S11_S15_S17_T6_T7_T9_mT8_S19_bDpT10_ENKUlT_T0_E_clISt17integral_constantIbLb0EES1M_EEDaS1H_S1I_EUlS1H_E_NS1_11comp_targetILNS1_3genE5ELNS1_11target_archE942ELNS1_3gpuE9ELNS1_3repE0EEENS1_30default_config_static_selectorELNS0_4arch9wavefront6targetE0EEEvSV_,"axG",@progbits,_ZN7rocprim17ROCPRIM_400000_NS6detail17trampoline_kernelINS0_13select_configILj256ELj13ELNS0_17block_load_methodE3ELS4_3ELS4_3ELNS0_20block_scan_algorithmE0ELj4294967295EEENS1_25partition_config_selectorILNS1_17partition_subalgoE3EjNS0_10empty_typeEbEEZZNS1_14partition_implILS8_3ELb0ES6_jNS0_17counting_iteratorIjlEEPS9_SE_NS0_5tupleIJPjSE_EEENSF_IJSE_SE_EEES9_SG_JZNS1_25segmented_radix_sort_implINS0_14default_configELb0EPKlPlSM_SN_N2at6native12_GLOBAL__N_18offset_tEEE10hipError_tPvRmT1_PNSt15iterator_traitsISV_E10value_typeET2_T3_PNSW_IS11_E10value_typeET4_jRbjT5_S17_jjP12ihipStream_tbEUljE_EEESS_ST_SU_S11_S15_S17_T6_T7_T9_mT8_S19_bDpT10_ENKUlT_T0_E_clISt17integral_constantIbLb0EES1M_EEDaS1H_S1I_EUlS1H_E_NS1_11comp_targetILNS1_3genE5ELNS1_11target_archE942ELNS1_3gpuE9ELNS1_3repE0EEENS1_30default_config_static_selectorELNS0_4arch9wavefront6targetE0EEEvSV_,comdat
	.globl	_ZN7rocprim17ROCPRIM_400000_NS6detail17trampoline_kernelINS0_13select_configILj256ELj13ELNS0_17block_load_methodE3ELS4_3ELS4_3ELNS0_20block_scan_algorithmE0ELj4294967295EEENS1_25partition_config_selectorILNS1_17partition_subalgoE3EjNS0_10empty_typeEbEEZZNS1_14partition_implILS8_3ELb0ES6_jNS0_17counting_iteratorIjlEEPS9_SE_NS0_5tupleIJPjSE_EEENSF_IJSE_SE_EEES9_SG_JZNS1_25segmented_radix_sort_implINS0_14default_configELb0EPKlPlSM_SN_N2at6native12_GLOBAL__N_18offset_tEEE10hipError_tPvRmT1_PNSt15iterator_traitsISV_E10value_typeET2_T3_PNSW_IS11_E10value_typeET4_jRbjT5_S17_jjP12ihipStream_tbEUljE_EEESS_ST_SU_S11_S15_S17_T6_T7_T9_mT8_S19_bDpT10_ENKUlT_T0_E_clISt17integral_constantIbLb0EES1M_EEDaS1H_S1I_EUlS1H_E_NS1_11comp_targetILNS1_3genE5ELNS1_11target_archE942ELNS1_3gpuE9ELNS1_3repE0EEENS1_30default_config_static_selectorELNS0_4arch9wavefront6targetE0EEEvSV_ ; -- Begin function _ZN7rocprim17ROCPRIM_400000_NS6detail17trampoline_kernelINS0_13select_configILj256ELj13ELNS0_17block_load_methodE3ELS4_3ELS4_3ELNS0_20block_scan_algorithmE0ELj4294967295EEENS1_25partition_config_selectorILNS1_17partition_subalgoE3EjNS0_10empty_typeEbEEZZNS1_14partition_implILS8_3ELb0ES6_jNS0_17counting_iteratorIjlEEPS9_SE_NS0_5tupleIJPjSE_EEENSF_IJSE_SE_EEES9_SG_JZNS1_25segmented_radix_sort_implINS0_14default_configELb0EPKlPlSM_SN_N2at6native12_GLOBAL__N_18offset_tEEE10hipError_tPvRmT1_PNSt15iterator_traitsISV_E10value_typeET2_T3_PNSW_IS11_E10value_typeET4_jRbjT5_S17_jjP12ihipStream_tbEUljE_EEESS_ST_SU_S11_S15_S17_T6_T7_T9_mT8_S19_bDpT10_ENKUlT_T0_E_clISt17integral_constantIbLb0EES1M_EEDaS1H_S1I_EUlS1H_E_NS1_11comp_targetILNS1_3genE5ELNS1_11target_archE942ELNS1_3gpuE9ELNS1_3repE0EEENS1_30default_config_static_selectorELNS0_4arch9wavefront6targetE0EEEvSV_
	.p2align	8
	.type	_ZN7rocprim17ROCPRIM_400000_NS6detail17trampoline_kernelINS0_13select_configILj256ELj13ELNS0_17block_load_methodE3ELS4_3ELS4_3ELNS0_20block_scan_algorithmE0ELj4294967295EEENS1_25partition_config_selectorILNS1_17partition_subalgoE3EjNS0_10empty_typeEbEEZZNS1_14partition_implILS8_3ELb0ES6_jNS0_17counting_iteratorIjlEEPS9_SE_NS0_5tupleIJPjSE_EEENSF_IJSE_SE_EEES9_SG_JZNS1_25segmented_radix_sort_implINS0_14default_configELb0EPKlPlSM_SN_N2at6native12_GLOBAL__N_18offset_tEEE10hipError_tPvRmT1_PNSt15iterator_traitsISV_E10value_typeET2_T3_PNSW_IS11_E10value_typeET4_jRbjT5_S17_jjP12ihipStream_tbEUljE_EEESS_ST_SU_S11_S15_S17_T6_T7_T9_mT8_S19_bDpT10_ENKUlT_T0_E_clISt17integral_constantIbLb0EES1M_EEDaS1H_S1I_EUlS1H_E_NS1_11comp_targetILNS1_3genE5ELNS1_11target_archE942ELNS1_3gpuE9ELNS1_3repE0EEENS1_30default_config_static_selectorELNS0_4arch9wavefront6targetE0EEEvSV_,@function
_ZN7rocprim17ROCPRIM_400000_NS6detail17trampoline_kernelINS0_13select_configILj256ELj13ELNS0_17block_load_methodE3ELS4_3ELS4_3ELNS0_20block_scan_algorithmE0ELj4294967295EEENS1_25partition_config_selectorILNS1_17partition_subalgoE3EjNS0_10empty_typeEbEEZZNS1_14partition_implILS8_3ELb0ES6_jNS0_17counting_iteratorIjlEEPS9_SE_NS0_5tupleIJPjSE_EEENSF_IJSE_SE_EEES9_SG_JZNS1_25segmented_radix_sort_implINS0_14default_configELb0EPKlPlSM_SN_N2at6native12_GLOBAL__N_18offset_tEEE10hipError_tPvRmT1_PNSt15iterator_traitsISV_E10value_typeET2_T3_PNSW_IS11_E10value_typeET4_jRbjT5_S17_jjP12ihipStream_tbEUljE_EEESS_ST_SU_S11_S15_S17_T6_T7_T9_mT8_S19_bDpT10_ENKUlT_T0_E_clISt17integral_constantIbLb0EES1M_EEDaS1H_S1I_EUlS1H_E_NS1_11comp_targetILNS1_3genE5ELNS1_11target_archE942ELNS1_3gpuE9ELNS1_3repE0EEENS1_30default_config_static_selectorELNS0_4arch9wavefront6targetE0EEEvSV_: ; @_ZN7rocprim17ROCPRIM_400000_NS6detail17trampoline_kernelINS0_13select_configILj256ELj13ELNS0_17block_load_methodE3ELS4_3ELS4_3ELNS0_20block_scan_algorithmE0ELj4294967295EEENS1_25partition_config_selectorILNS1_17partition_subalgoE3EjNS0_10empty_typeEbEEZZNS1_14partition_implILS8_3ELb0ES6_jNS0_17counting_iteratorIjlEEPS9_SE_NS0_5tupleIJPjSE_EEENSF_IJSE_SE_EEES9_SG_JZNS1_25segmented_radix_sort_implINS0_14default_configELb0EPKlPlSM_SN_N2at6native12_GLOBAL__N_18offset_tEEE10hipError_tPvRmT1_PNSt15iterator_traitsISV_E10value_typeET2_T3_PNSW_IS11_E10value_typeET4_jRbjT5_S17_jjP12ihipStream_tbEUljE_EEESS_ST_SU_S11_S15_S17_T6_T7_T9_mT8_S19_bDpT10_ENKUlT_T0_E_clISt17integral_constantIbLb0EES1M_EEDaS1H_S1I_EUlS1H_E_NS1_11comp_targetILNS1_3genE5ELNS1_11target_archE942ELNS1_3gpuE9ELNS1_3repE0EEENS1_30default_config_static_selectorELNS0_4arch9wavefront6targetE0EEEvSV_
; %bb.0:
	.section	.rodata,"a",@progbits
	.p2align	6, 0x0
	.amdhsa_kernel _ZN7rocprim17ROCPRIM_400000_NS6detail17trampoline_kernelINS0_13select_configILj256ELj13ELNS0_17block_load_methodE3ELS4_3ELS4_3ELNS0_20block_scan_algorithmE0ELj4294967295EEENS1_25partition_config_selectorILNS1_17partition_subalgoE3EjNS0_10empty_typeEbEEZZNS1_14partition_implILS8_3ELb0ES6_jNS0_17counting_iteratorIjlEEPS9_SE_NS0_5tupleIJPjSE_EEENSF_IJSE_SE_EEES9_SG_JZNS1_25segmented_radix_sort_implINS0_14default_configELb0EPKlPlSM_SN_N2at6native12_GLOBAL__N_18offset_tEEE10hipError_tPvRmT1_PNSt15iterator_traitsISV_E10value_typeET2_T3_PNSW_IS11_E10value_typeET4_jRbjT5_S17_jjP12ihipStream_tbEUljE_EEESS_ST_SU_S11_S15_S17_T6_T7_T9_mT8_S19_bDpT10_ENKUlT_T0_E_clISt17integral_constantIbLb0EES1M_EEDaS1H_S1I_EUlS1H_E_NS1_11comp_targetILNS1_3genE5ELNS1_11target_archE942ELNS1_3gpuE9ELNS1_3repE0EEENS1_30default_config_static_selectorELNS0_4arch9wavefront6targetE0EEEvSV_
		.amdhsa_group_segment_fixed_size 0
		.amdhsa_private_segment_fixed_size 0
		.amdhsa_kernarg_size 144
		.amdhsa_user_sgpr_count 2
		.amdhsa_user_sgpr_dispatch_ptr 0
		.amdhsa_user_sgpr_queue_ptr 0
		.amdhsa_user_sgpr_kernarg_segment_ptr 1
		.amdhsa_user_sgpr_dispatch_id 0
		.amdhsa_user_sgpr_private_segment_size 0
		.amdhsa_wavefront_size32 1
		.amdhsa_uses_dynamic_stack 0
		.amdhsa_enable_private_segment 0
		.amdhsa_system_sgpr_workgroup_id_x 1
		.amdhsa_system_sgpr_workgroup_id_y 0
		.amdhsa_system_sgpr_workgroup_id_z 0
		.amdhsa_system_sgpr_workgroup_info 0
		.amdhsa_system_vgpr_workitem_id 0
		.amdhsa_next_free_vgpr 1
		.amdhsa_next_free_sgpr 1
		.amdhsa_reserve_vcc 0
		.amdhsa_float_round_mode_32 0
		.amdhsa_float_round_mode_16_64 0
		.amdhsa_float_denorm_mode_32 3
		.amdhsa_float_denorm_mode_16_64 3
		.amdhsa_fp16_overflow 0
		.amdhsa_workgroup_processor_mode 1
		.amdhsa_memory_ordered 1
		.amdhsa_forward_progress 1
		.amdhsa_inst_pref_size 0
		.amdhsa_round_robin_scheduling 0
		.amdhsa_exception_fp_ieee_invalid_op 0
		.amdhsa_exception_fp_denorm_src 0
		.amdhsa_exception_fp_ieee_div_zero 0
		.amdhsa_exception_fp_ieee_overflow 0
		.amdhsa_exception_fp_ieee_underflow 0
		.amdhsa_exception_fp_ieee_inexact 0
		.amdhsa_exception_int_div_zero 0
	.end_amdhsa_kernel
	.section	.text._ZN7rocprim17ROCPRIM_400000_NS6detail17trampoline_kernelINS0_13select_configILj256ELj13ELNS0_17block_load_methodE3ELS4_3ELS4_3ELNS0_20block_scan_algorithmE0ELj4294967295EEENS1_25partition_config_selectorILNS1_17partition_subalgoE3EjNS0_10empty_typeEbEEZZNS1_14partition_implILS8_3ELb0ES6_jNS0_17counting_iteratorIjlEEPS9_SE_NS0_5tupleIJPjSE_EEENSF_IJSE_SE_EEES9_SG_JZNS1_25segmented_radix_sort_implINS0_14default_configELb0EPKlPlSM_SN_N2at6native12_GLOBAL__N_18offset_tEEE10hipError_tPvRmT1_PNSt15iterator_traitsISV_E10value_typeET2_T3_PNSW_IS11_E10value_typeET4_jRbjT5_S17_jjP12ihipStream_tbEUljE_EEESS_ST_SU_S11_S15_S17_T6_T7_T9_mT8_S19_bDpT10_ENKUlT_T0_E_clISt17integral_constantIbLb0EES1M_EEDaS1H_S1I_EUlS1H_E_NS1_11comp_targetILNS1_3genE5ELNS1_11target_archE942ELNS1_3gpuE9ELNS1_3repE0EEENS1_30default_config_static_selectorELNS0_4arch9wavefront6targetE0EEEvSV_,"axG",@progbits,_ZN7rocprim17ROCPRIM_400000_NS6detail17trampoline_kernelINS0_13select_configILj256ELj13ELNS0_17block_load_methodE3ELS4_3ELS4_3ELNS0_20block_scan_algorithmE0ELj4294967295EEENS1_25partition_config_selectorILNS1_17partition_subalgoE3EjNS0_10empty_typeEbEEZZNS1_14partition_implILS8_3ELb0ES6_jNS0_17counting_iteratorIjlEEPS9_SE_NS0_5tupleIJPjSE_EEENSF_IJSE_SE_EEES9_SG_JZNS1_25segmented_radix_sort_implINS0_14default_configELb0EPKlPlSM_SN_N2at6native12_GLOBAL__N_18offset_tEEE10hipError_tPvRmT1_PNSt15iterator_traitsISV_E10value_typeET2_T3_PNSW_IS11_E10value_typeET4_jRbjT5_S17_jjP12ihipStream_tbEUljE_EEESS_ST_SU_S11_S15_S17_T6_T7_T9_mT8_S19_bDpT10_ENKUlT_T0_E_clISt17integral_constantIbLb0EES1M_EEDaS1H_S1I_EUlS1H_E_NS1_11comp_targetILNS1_3genE5ELNS1_11target_archE942ELNS1_3gpuE9ELNS1_3repE0EEENS1_30default_config_static_selectorELNS0_4arch9wavefront6targetE0EEEvSV_,comdat
.Lfunc_end776:
	.size	_ZN7rocprim17ROCPRIM_400000_NS6detail17trampoline_kernelINS0_13select_configILj256ELj13ELNS0_17block_load_methodE3ELS4_3ELS4_3ELNS0_20block_scan_algorithmE0ELj4294967295EEENS1_25partition_config_selectorILNS1_17partition_subalgoE3EjNS0_10empty_typeEbEEZZNS1_14partition_implILS8_3ELb0ES6_jNS0_17counting_iteratorIjlEEPS9_SE_NS0_5tupleIJPjSE_EEENSF_IJSE_SE_EEES9_SG_JZNS1_25segmented_radix_sort_implINS0_14default_configELb0EPKlPlSM_SN_N2at6native12_GLOBAL__N_18offset_tEEE10hipError_tPvRmT1_PNSt15iterator_traitsISV_E10value_typeET2_T3_PNSW_IS11_E10value_typeET4_jRbjT5_S17_jjP12ihipStream_tbEUljE_EEESS_ST_SU_S11_S15_S17_T6_T7_T9_mT8_S19_bDpT10_ENKUlT_T0_E_clISt17integral_constantIbLb0EES1M_EEDaS1H_S1I_EUlS1H_E_NS1_11comp_targetILNS1_3genE5ELNS1_11target_archE942ELNS1_3gpuE9ELNS1_3repE0EEENS1_30default_config_static_selectorELNS0_4arch9wavefront6targetE0EEEvSV_, .Lfunc_end776-_ZN7rocprim17ROCPRIM_400000_NS6detail17trampoline_kernelINS0_13select_configILj256ELj13ELNS0_17block_load_methodE3ELS4_3ELS4_3ELNS0_20block_scan_algorithmE0ELj4294967295EEENS1_25partition_config_selectorILNS1_17partition_subalgoE3EjNS0_10empty_typeEbEEZZNS1_14partition_implILS8_3ELb0ES6_jNS0_17counting_iteratorIjlEEPS9_SE_NS0_5tupleIJPjSE_EEENSF_IJSE_SE_EEES9_SG_JZNS1_25segmented_radix_sort_implINS0_14default_configELb0EPKlPlSM_SN_N2at6native12_GLOBAL__N_18offset_tEEE10hipError_tPvRmT1_PNSt15iterator_traitsISV_E10value_typeET2_T3_PNSW_IS11_E10value_typeET4_jRbjT5_S17_jjP12ihipStream_tbEUljE_EEESS_ST_SU_S11_S15_S17_T6_T7_T9_mT8_S19_bDpT10_ENKUlT_T0_E_clISt17integral_constantIbLb0EES1M_EEDaS1H_S1I_EUlS1H_E_NS1_11comp_targetILNS1_3genE5ELNS1_11target_archE942ELNS1_3gpuE9ELNS1_3repE0EEENS1_30default_config_static_selectorELNS0_4arch9wavefront6targetE0EEEvSV_
                                        ; -- End function
	.set _ZN7rocprim17ROCPRIM_400000_NS6detail17trampoline_kernelINS0_13select_configILj256ELj13ELNS0_17block_load_methodE3ELS4_3ELS4_3ELNS0_20block_scan_algorithmE0ELj4294967295EEENS1_25partition_config_selectorILNS1_17partition_subalgoE3EjNS0_10empty_typeEbEEZZNS1_14partition_implILS8_3ELb0ES6_jNS0_17counting_iteratorIjlEEPS9_SE_NS0_5tupleIJPjSE_EEENSF_IJSE_SE_EEES9_SG_JZNS1_25segmented_radix_sort_implINS0_14default_configELb0EPKlPlSM_SN_N2at6native12_GLOBAL__N_18offset_tEEE10hipError_tPvRmT1_PNSt15iterator_traitsISV_E10value_typeET2_T3_PNSW_IS11_E10value_typeET4_jRbjT5_S17_jjP12ihipStream_tbEUljE_EEESS_ST_SU_S11_S15_S17_T6_T7_T9_mT8_S19_bDpT10_ENKUlT_T0_E_clISt17integral_constantIbLb0EES1M_EEDaS1H_S1I_EUlS1H_E_NS1_11comp_targetILNS1_3genE5ELNS1_11target_archE942ELNS1_3gpuE9ELNS1_3repE0EEENS1_30default_config_static_selectorELNS0_4arch9wavefront6targetE0EEEvSV_.num_vgpr, 0
	.set _ZN7rocprim17ROCPRIM_400000_NS6detail17trampoline_kernelINS0_13select_configILj256ELj13ELNS0_17block_load_methodE3ELS4_3ELS4_3ELNS0_20block_scan_algorithmE0ELj4294967295EEENS1_25partition_config_selectorILNS1_17partition_subalgoE3EjNS0_10empty_typeEbEEZZNS1_14partition_implILS8_3ELb0ES6_jNS0_17counting_iteratorIjlEEPS9_SE_NS0_5tupleIJPjSE_EEENSF_IJSE_SE_EEES9_SG_JZNS1_25segmented_radix_sort_implINS0_14default_configELb0EPKlPlSM_SN_N2at6native12_GLOBAL__N_18offset_tEEE10hipError_tPvRmT1_PNSt15iterator_traitsISV_E10value_typeET2_T3_PNSW_IS11_E10value_typeET4_jRbjT5_S17_jjP12ihipStream_tbEUljE_EEESS_ST_SU_S11_S15_S17_T6_T7_T9_mT8_S19_bDpT10_ENKUlT_T0_E_clISt17integral_constantIbLb0EES1M_EEDaS1H_S1I_EUlS1H_E_NS1_11comp_targetILNS1_3genE5ELNS1_11target_archE942ELNS1_3gpuE9ELNS1_3repE0EEENS1_30default_config_static_selectorELNS0_4arch9wavefront6targetE0EEEvSV_.num_agpr, 0
	.set _ZN7rocprim17ROCPRIM_400000_NS6detail17trampoline_kernelINS0_13select_configILj256ELj13ELNS0_17block_load_methodE3ELS4_3ELS4_3ELNS0_20block_scan_algorithmE0ELj4294967295EEENS1_25partition_config_selectorILNS1_17partition_subalgoE3EjNS0_10empty_typeEbEEZZNS1_14partition_implILS8_3ELb0ES6_jNS0_17counting_iteratorIjlEEPS9_SE_NS0_5tupleIJPjSE_EEENSF_IJSE_SE_EEES9_SG_JZNS1_25segmented_radix_sort_implINS0_14default_configELb0EPKlPlSM_SN_N2at6native12_GLOBAL__N_18offset_tEEE10hipError_tPvRmT1_PNSt15iterator_traitsISV_E10value_typeET2_T3_PNSW_IS11_E10value_typeET4_jRbjT5_S17_jjP12ihipStream_tbEUljE_EEESS_ST_SU_S11_S15_S17_T6_T7_T9_mT8_S19_bDpT10_ENKUlT_T0_E_clISt17integral_constantIbLb0EES1M_EEDaS1H_S1I_EUlS1H_E_NS1_11comp_targetILNS1_3genE5ELNS1_11target_archE942ELNS1_3gpuE9ELNS1_3repE0EEENS1_30default_config_static_selectorELNS0_4arch9wavefront6targetE0EEEvSV_.numbered_sgpr, 0
	.set _ZN7rocprim17ROCPRIM_400000_NS6detail17trampoline_kernelINS0_13select_configILj256ELj13ELNS0_17block_load_methodE3ELS4_3ELS4_3ELNS0_20block_scan_algorithmE0ELj4294967295EEENS1_25partition_config_selectorILNS1_17partition_subalgoE3EjNS0_10empty_typeEbEEZZNS1_14partition_implILS8_3ELb0ES6_jNS0_17counting_iteratorIjlEEPS9_SE_NS0_5tupleIJPjSE_EEENSF_IJSE_SE_EEES9_SG_JZNS1_25segmented_radix_sort_implINS0_14default_configELb0EPKlPlSM_SN_N2at6native12_GLOBAL__N_18offset_tEEE10hipError_tPvRmT1_PNSt15iterator_traitsISV_E10value_typeET2_T3_PNSW_IS11_E10value_typeET4_jRbjT5_S17_jjP12ihipStream_tbEUljE_EEESS_ST_SU_S11_S15_S17_T6_T7_T9_mT8_S19_bDpT10_ENKUlT_T0_E_clISt17integral_constantIbLb0EES1M_EEDaS1H_S1I_EUlS1H_E_NS1_11comp_targetILNS1_3genE5ELNS1_11target_archE942ELNS1_3gpuE9ELNS1_3repE0EEENS1_30default_config_static_selectorELNS0_4arch9wavefront6targetE0EEEvSV_.num_named_barrier, 0
	.set _ZN7rocprim17ROCPRIM_400000_NS6detail17trampoline_kernelINS0_13select_configILj256ELj13ELNS0_17block_load_methodE3ELS4_3ELS4_3ELNS0_20block_scan_algorithmE0ELj4294967295EEENS1_25partition_config_selectorILNS1_17partition_subalgoE3EjNS0_10empty_typeEbEEZZNS1_14partition_implILS8_3ELb0ES6_jNS0_17counting_iteratorIjlEEPS9_SE_NS0_5tupleIJPjSE_EEENSF_IJSE_SE_EEES9_SG_JZNS1_25segmented_radix_sort_implINS0_14default_configELb0EPKlPlSM_SN_N2at6native12_GLOBAL__N_18offset_tEEE10hipError_tPvRmT1_PNSt15iterator_traitsISV_E10value_typeET2_T3_PNSW_IS11_E10value_typeET4_jRbjT5_S17_jjP12ihipStream_tbEUljE_EEESS_ST_SU_S11_S15_S17_T6_T7_T9_mT8_S19_bDpT10_ENKUlT_T0_E_clISt17integral_constantIbLb0EES1M_EEDaS1H_S1I_EUlS1H_E_NS1_11comp_targetILNS1_3genE5ELNS1_11target_archE942ELNS1_3gpuE9ELNS1_3repE0EEENS1_30default_config_static_selectorELNS0_4arch9wavefront6targetE0EEEvSV_.private_seg_size, 0
	.set _ZN7rocprim17ROCPRIM_400000_NS6detail17trampoline_kernelINS0_13select_configILj256ELj13ELNS0_17block_load_methodE3ELS4_3ELS4_3ELNS0_20block_scan_algorithmE0ELj4294967295EEENS1_25partition_config_selectorILNS1_17partition_subalgoE3EjNS0_10empty_typeEbEEZZNS1_14partition_implILS8_3ELb0ES6_jNS0_17counting_iteratorIjlEEPS9_SE_NS0_5tupleIJPjSE_EEENSF_IJSE_SE_EEES9_SG_JZNS1_25segmented_radix_sort_implINS0_14default_configELb0EPKlPlSM_SN_N2at6native12_GLOBAL__N_18offset_tEEE10hipError_tPvRmT1_PNSt15iterator_traitsISV_E10value_typeET2_T3_PNSW_IS11_E10value_typeET4_jRbjT5_S17_jjP12ihipStream_tbEUljE_EEESS_ST_SU_S11_S15_S17_T6_T7_T9_mT8_S19_bDpT10_ENKUlT_T0_E_clISt17integral_constantIbLb0EES1M_EEDaS1H_S1I_EUlS1H_E_NS1_11comp_targetILNS1_3genE5ELNS1_11target_archE942ELNS1_3gpuE9ELNS1_3repE0EEENS1_30default_config_static_selectorELNS0_4arch9wavefront6targetE0EEEvSV_.uses_vcc, 0
	.set _ZN7rocprim17ROCPRIM_400000_NS6detail17trampoline_kernelINS0_13select_configILj256ELj13ELNS0_17block_load_methodE3ELS4_3ELS4_3ELNS0_20block_scan_algorithmE0ELj4294967295EEENS1_25partition_config_selectorILNS1_17partition_subalgoE3EjNS0_10empty_typeEbEEZZNS1_14partition_implILS8_3ELb0ES6_jNS0_17counting_iteratorIjlEEPS9_SE_NS0_5tupleIJPjSE_EEENSF_IJSE_SE_EEES9_SG_JZNS1_25segmented_radix_sort_implINS0_14default_configELb0EPKlPlSM_SN_N2at6native12_GLOBAL__N_18offset_tEEE10hipError_tPvRmT1_PNSt15iterator_traitsISV_E10value_typeET2_T3_PNSW_IS11_E10value_typeET4_jRbjT5_S17_jjP12ihipStream_tbEUljE_EEESS_ST_SU_S11_S15_S17_T6_T7_T9_mT8_S19_bDpT10_ENKUlT_T0_E_clISt17integral_constantIbLb0EES1M_EEDaS1H_S1I_EUlS1H_E_NS1_11comp_targetILNS1_3genE5ELNS1_11target_archE942ELNS1_3gpuE9ELNS1_3repE0EEENS1_30default_config_static_selectorELNS0_4arch9wavefront6targetE0EEEvSV_.uses_flat_scratch, 0
	.set _ZN7rocprim17ROCPRIM_400000_NS6detail17trampoline_kernelINS0_13select_configILj256ELj13ELNS0_17block_load_methodE3ELS4_3ELS4_3ELNS0_20block_scan_algorithmE0ELj4294967295EEENS1_25partition_config_selectorILNS1_17partition_subalgoE3EjNS0_10empty_typeEbEEZZNS1_14partition_implILS8_3ELb0ES6_jNS0_17counting_iteratorIjlEEPS9_SE_NS0_5tupleIJPjSE_EEENSF_IJSE_SE_EEES9_SG_JZNS1_25segmented_radix_sort_implINS0_14default_configELb0EPKlPlSM_SN_N2at6native12_GLOBAL__N_18offset_tEEE10hipError_tPvRmT1_PNSt15iterator_traitsISV_E10value_typeET2_T3_PNSW_IS11_E10value_typeET4_jRbjT5_S17_jjP12ihipStream_tbEUljE_EEESS_ST_SU_S11_S15_S17_T6_T7_T9_mT8_S19_bDpT10_ENKUlT_T0_E_clISt17integral_constantIbLb0EES1M_EEDaS1H_S1I_EUlS1H_E_NS1_11comp_targetILNS1_3genE5ELNS1_11target_archE942ELNS1_3gpuE9ELNS1_3repE0EEENS1_30default_config_static_selectorELNS0_4arch9wavefront6targetE0EEEvSV_.has_dyn_sized_stack, 0
	.set _ZN7rocprim17ROCPRIM_400000_NS6detail17trampoline_kernelINS0_13select_configILj256ELj13ELNS0_17block_load_methodE3ELS4_3ELS4_3ELNS0_20block_scan_algorithmE0ELj4294967295EEENS1_25partition_config_selectorILNS1_17partition_subalgoE3EjNS0_10empty_typeEbEEZZNS1_14partition_implILS8_3ELb0ES6_jNS0_17counting_iteratorIjlEEPS9_SE_NS0_5tupleIJPjSE_EEENSF_IJSE_SE_EEES9_SG_JZNS1_25segmented_radix_sort_implINS0_14default_configELb0EPKlPlSM_SN_N2at6native12_GLOBAL__N_18offset_tEEE10hipError_tPvRmT1_PNSt15iterator_traitsISV_E10value_typeET2_T3_PNSW_IS11_E10value_typeET4_jRbjT5_S17_jjP12ihipStream_tbEUljE_EEESS_ST_SU_S11_S15_S17_T6_T7_T9_mT8_S19_bDpT10_ENKUlT_T0_E_clISt17integral_constantIbLb0EES1M_EEDaS1H_S1I_EUlS1H_E_NS1_11comp_targetILNS1_3genE5ELNS1_11target_archE942ELNS1_3gpuE9ELNS1_3repE0EEENS1_30default_config_static_selectorELNS0_4arch9wavefront6targetE0EEEvSV_.has_recursion, 0
	.set _ZN7rocprim17ROCPRIM_400000_NS6detail17trampoline_kernelINS0_13select_configILj256ELj13ELNS0_17block_load_methodE3ELS4_3ELS4_3ELNS0_20block_scan_algorithmE0ELj4294967295EEENS1_25partition_config_selectorILNS1_17partition_subalgoE3EjNS0_10empty_typeEbEEZZNS1_14partition_implILS8_3ELb0ES6_jNS0_17counting_iteratorIjlEEPS9_SE_NS0_5tupleIJPjSE_EEENSF_IJSE_SE_EEES9_SG_JZNS1_25segmented_radix_sort_implINS0_14default_configELb0EPKlPlSM_SN_N2at6native12_GLOBAL__N_18offset_tEEE10hipError_tPvRmT1_PNSt15iterator_traitsISV_E10value_typeET2_T3_PNSW_IS11_E10value_typeET4_jRbjT5_S17_jjP12ihipStream_tbEUljE_EEESS_ST_SU_S11_S15_S17_T6_T7_T9_mT8_S19_bDpT10_ENKUlT_T0_E_clISt17integral_constantIbLb0EES1M_EEDaS1H_S1I_EUlS1H_E_NS1_11comp_targetILNS1_3genE5ELNS1_11target_archE942ELNS1_3gpuE9ELNS1_3repE0EEENS1_30default_config_static_selectorELNS0_4arch9wavefront6targetE0EEEvSV_.has_indirect_call, 0
	.section	.AMDGPU.csdata,"",@progbits
; Kernel info:
; codeLenInByte = 0
; TotalNumSgprs: 0
; NumVgprs: 0
; ScratchSize: 0
; MemoryBound: 0
; FloatMode: 240
; IeeeMode: 1
; LDSByteSize: 0 bytes/workgroup (compile time only)
; SGPRBlocks: 0
; VGPRBlocks: 0
; NumSGPRsForWavesPerEU: 1
; NumVGPRsForWavesPerEU: 1
; Occupancy: 16
; WaveLimiterHint : 0
; COMPUTE_PGM_RSRC2:SCRATCH_EN: 0
; COMPUTE_PGM_RSRC2:USER_SGPR: 2
; COMPUTE_PGM_RSRC2:TRAP_HANDLER: 0
; COMPUTE_PGM_RSRC2:TGID_X_EN: 1
; COMPUTE_PGM_RSRC2:TGID_Y_EN: 0
; COMPUTE_PGM_RSRC2:TGID_Z_EN: 0
; COMPUTE_PGM_RSRC2:TIDIG_COMP_CNT: 0
	.section	.text._ZN7rocprim17ROCPRIM_400000_NS6detail17trampoline_kernelINS0_13select_configILj256ELj13ELNS0_17block_load_methodE3ELS4_3ELS4_3ELNS0_20block_scan_algorithmE0ELj4294967295EEENS1_25partition_config_selectorILNS1_17partition_subalgoE3EjNS0_10empty_typeEbEEZZNS1_14partition_implILS8_3ELb0ES6_jNS0_17counting_iteratorIjlEEPS9_SE_NS0_5tupleIJPjSE_EEENSF_IJSE_SE_EEES9_SG_JZNS1_25segmented_radix_sort_implINS0_14default_configELb0EPKlPlSM_SN_N2at6native12_GLOBAL__N_18offset_tEEE10hipError_tPvRmT1_PNSt15iterator_traitsISV_E10value_typeET2_T3_PNSW_IS11_E10value_typeET4_jRbjT5_S17_jjP12ihipStream_tbEUljE_EEESS_ST_SU_S11_S15_S17_T6_T7_T9_mT8_S19_bDpT10_ENKUlT_T0_E_clISt17integral_constantIbLb0EES1M_EEDaS1H_S1I_EUlS1H_E_NS1_11comp_targetILNS1_3genE4ELNS1_11target_archE910ELNS1_3gpuE8ELNS1_3repE0EEENS1_30default_config_static_selectorELNS0_4arch9wavefront6targetE0EEEvSV_,"axG",@progbits,_ZN7rocprim17ROCPRIM_400000_NS6detail17trampoline_kernelINS0_13select_configILj256ELj13ELNS0_17block_load_methodE3ELS4_3ELS4_3ELNS0_20block_scan_algorithmE0ELj4294967295EEENS1_25partition_config_selectorILNS1_17partition_subalgoE3EjNS0_10empty_typeEbEEZZNS1_14partition_implILS8_3ELb0ES6_jNS0_17counting_iteratorIjlEEPS9_SE_NS0_5tupleIJPjSE_EEENSF_IJSE_SE_EEES9_SG_JZNS1_25segmented_radix_sort_implINS0_14default_configELb0EPKlPlSM_SN_N2at6native12_GLOBAL__N_18offset_tEEE10hipError_tPvRmT1_PNSt15iterator_traitsISV_E10value_typeET2_T3_PNSW_IS11_E10value_typeET4_jRbjT5_S17_jjP12ihipStream_tbEUljE_EEESS_ST_SU_S11_S15_S17_T6_T7_T9_mT8_S19_bDpT10_ENKUlT_T0_E_clISt17integral_constantIbLb0EES1M_EEDaS1H_S1I_EUlS1H_E_NS1_11comp_targetILNS1_3genE4ELNS1_11target_archE910ELNS1_3gpuE8ELNS1_3repE0EEENS1_30default_config_static_selectorELNS0_4arch9wavefront6targetE0EEEvSV_,comdat
	.globl	_ZN7rocprim17ROCPRIM_400000_NS6detail17trampoline_kernelINS0_13select_configILj256ELj13ELNS0_17block_load_methodE3ELS4_3ELS4_3ELNS0_20block_scan_algorithmE0ELj4294967295EEENS1_25partition_config_selectorILNS1_17partition_subalgoE3EjNS0_10empty_typeEbEEZZNS1_14partition_implILS8_3ELb0ES6_jNS0_17counting_iteratorIjlEEPS9_SE_NS0_5tupleIJPjSE_EEENSF_IJSE_SE_EEES9_SG_JZNS1_25segmented_radix_sort_implINS0_14default_configELb0EPKlPlSM_SN_N2at6native12_GLOBAL__N_18offset_tEEE10hipError_tPvRmT1_PNSt15iterator_traitsISV_E10value_typeET2_T3_PNSW_IS11_E10value_typeET4_jRbjT5_S17_jjP12ihipStream_tbEUljE_EEESS_ST_SU_S11_S15_S17_T6_T7_T9_mT8_S19_bDpT10_ENKUlT_T0_E_clISt17integral_constantIbLb0EES1M_EEDaS1H_S1I_EUlS1H_E_NS1_11comp_targetILNS1_3genE4ELNS1_11target_archE910ELNS1_3gpuE8ELNS1_3repE0EEENS1_30default_config_static_selectorELNS0_4arch9wavefront6targetE0EEEvSV_ ; -- Begin function _ZN7rocprim17ROCPRIM_400000_NS6detail17trampoline_kernelINS0_13select_configILj256ELj13ELNS0_17block_load_methodE3ELS4_3ELS4_3ELNS0_20block_scan_algorithmE0ELj4294967295EEENS1_25partition_config_selectorILNS1_17partition_subalgoE3EjNS0_10empty_typeEbEEZZNS1_14partition_implILS8_3ELb0ES6_jNS0_17counting_iteratorIjlEEPS9_SE_NS0_5tupleIJPjSE_EEENSF_IJSE_SE_EEES9_SG_JZNS1_25segmented_radix_sort_implINS0_14default_configELb0EPKlPlSM_SN_N2at6native12_GLOBAL__N_18offset_tEEE10hipError_tPvRmT1_PNSt15iterator_traitsISV_E10value_typeET2_T3_PNSW_IS11_E10value_typeET4_jRbjT5_S17_jjP12ihipStream_tbEUljE_EEESS_ST_SU_S11_S15_S17_T6_T7_T9_mT8_S19_bDpT10_ENKUlT_T0_E_clISt17integral_constantIbLb0EES1M_EEDaS1H_S1I_EUlS1H_E_NS1_11comp_targetILNS1_3genE4ELNS1_11target_archE910ELNS1_3gpuE8ELNS1_3repE0EEENS1_30default_config_static_selectorELNS0_4arch9wavefront6targetE0EEEvSV_
	.p2align	8
	.type	_ZN7rocprim17ROCPRIM_400000_NS6detail17trampoline_kernelINS0_13select_configILj256ELj13ELNS0_17block_load_methodE3ELS4_3ELS4_3ELNS0_20block_scan_algorithmE0ELj4294967295EEENS1_25partition_config_selectorILNS1_17partition_subalgoE3EjNS0_10empty_typeEbEEZZNS1_14partition_implILS8_3ELb0ES6_jNS0_17counting_iteratorIjlEEPS9_SE_NS0_5tupleIJPjSE_EEENSF_IJSE_SE_EEES9_SG_JZNS1_25segmented_radix_sort_implINS0_14default_configELb0EPKlPlSM_SN_N2at6native12_GLOBAL__N_18offset_tEEE10hipError_tPvRmT1_PNSt15iterator_traitsISV_E10value_typeET2_T3_PNSW_IS11_E10value_typeET4_jRbjT5_S17_jjP12ihipStream_tbEUljE_EEESS_ST_SU_S11_S15_S17_T6_T7_T9_mT8_S19_bDpT10_ENKUlT_T0_E_clISt17integral_constantIbLb0EES1M_EEDaS1H_S1I_EUlS1H_E_NS1_11comp_targetILNS1_3genE4ELNS1_11target_archE910ELNS1_3gpuE8ELNS1_3repE0EEENS1_30default_config_static_selectorELNS0_4arch9wavefront6targetE0EEEvSV_,@function
_ZN7rocprim17ROCPRIM_400000_NS6detail17trampoline_kernelINS0_13select_configILj256ELj13ELNS0_17block_load_methodE3ELS4_3ELS4_3ELNS0_20block_scan_algorithmE0ELj4294967295EEENS1_25partition_config_selectorILNS1_17partition_subalgoE3EjNS0_10empty_typeEbEEZZNS1_14partition_implILS8_3ELb0ES6_jNS0_17counting_iteratorIjlEEPS9_SE_NS0_5tupleIJPjSE_EEENSF_IJSE_SE_EEES9_SG_JZNS1_25segmented_radix_sort_implINS0_14default_configELb0EPKlPlSM_SN_N2at6native12_GLOBAL__N_18offset_tEEE10hipError_tPvRmT1_PNSt15iterator_traitsISV_E10value_typeET2_T3_PNSW_IS11_E10value_typeET4_jRbjT5_S17_jjP12ihipStream_tbEUljE_EEESS_ST_SU_S11_S15_S17_T6_T7_T9_mT8_S19_bDpT10_ENKUlT_T0_E_clISt17integral_constantIbLb0EES1M_EEDaS1H_S1I_EUlS1H_E_NS1_11comp_targetILNS1_3genE4ELNS1_11target_archE910ELNS1_3gpuE8ELNS1_3repE0EEENS1_30default_config_static_selectorELNS0_4arch9wavefront6targetE0EEEvSV_: ; @_ZN7rocprim17ROCPRIM_400000_NS6detail17trampoline_kernelINS0_13select_configILj256ELj13ELNS0_17block_load_methodE3ELS4_3ELS4_3ELNS0_20block_scan_algorithmE0ELj4294967295EEENS1_25partition_config_selectorILNS1_17partition_subalgoE3EjNS0_10empty_typeEbEEZZNS1_14partition_implILS8_3ELb0ES6_jNS0_17counting_iteratorIjlEEPS9_SE_NS0_5tupleIJPjSE_EEENSF_IJSE_SE_EEES9_SG_JZNS1_25segmented_radix_sort_implINS0_14default_configELb0EPKlPlSM_SN_N2at6native12_GLOBAL__N_18offset_tEEE10hipError_tPvRmT1_PNSt15iterator_traitsISV_E10value_typeET2_T3_PNSW_IS11_E10value_typeET4_jRbjT5_S17_jjP12ihipStream_tbEUljE_EEESS_ST_SU_S11_S15_S17_T6_T7_T9_mT8_S19_bDpT10_ENKUlT_T0_E_clISt17integral_constantIbLb0EES1M_EEDaS1H_S1I_EUlS1H_E_NS1_11comp_targetILNS1_3genE4ELNS1_11target_archE910ELNS1_3gpuE8ELNS1_3repE0EEENS1_30default_config_static_selectorELNS0_4arch9wavefront6targetE0EEEvSV_
; %bb.0:
	.section	.rodata,"a",@progbits
	.p2align	6, 0x0
	.amdhsa_kernel _ZN7rocprim17ROCPRIM_400000_NS6detail17trampoline_kernelINS0_13select_configILj256ELj13ELNS0_17block_load_methodE3ELS4_3ELS4_3ELNS0_20block_scan_algorithmE0ELj4294967295EEENS1_25partition_config_selectorILNS1_17partition_subalgoE3EjNS0_10empty_typeEbEEZZNS1_14partition_implILS8_3ELb0ES6_jNS0_17counting_iteratorIjlEEPS9_SE_NS0_5tupleIJPjSE_EEENSF_IJSE_SE_EEES9_SG_JZNS1_25segmented_radix_sort_implINS0_14default_configELb0EPKlPlSM_SN_N2at6native12_GLOBAL__N_18offset_tEEE10hipError_tPvRmT1_PNSt15iterator_traitsISV_E10value_typeET2_T3_PNSW_IS11_E10value_typeET4_jRbjT5_S17_jjP12ihipStream_tbEUljE_EEESS_ST_SU_S11_S15_S17_T6_T7_T9_mT8_S19_bDpT10_ENKUlT_T0_E_clISt17integral_constantIbLb0EES1M_EEDaS1H_S1I_EUlS1H_E_NS1_11comp_targetILNS1_3genE4ELNS1_11target_archE910ELNS1_3gpuE8ELNS1_3repE0EEENS1_30default_config_static_selectorELNS0_4arch9wavefront6targetE0EEEvSV_
		.amdhsa_group_segment_fixed_size 0
		.amdhsa_private_segment_fixed_size 0
		.amdhsa_kernarg_size 144
		.amdhsa_user_sgpr_count 2
		.amdhsa_user_sgpr_dispatch_ptr 0
		.amdhsa_user_sgpr_queue_ptr 0
		.amdhsa_user_sgpr_kernarg_segment_ptr 1
		.amdhsa_user_sgpr_dispatch_id 0
		.amdhsa_user_sgpr_private_segment_size 0
		.amdhsa_wavefront_size32 1
		.amdhsa_uses_dynamic_stack 0
		.amdhsa_enable_private_segment 0
		.amdhsa_system_sgpr_workgroup_id_x 1
		.amdhsa_system_sgpr_workgroup_id_y 0
		.amdhsa_system_sgpr_workgroup_id_z 0
		.amdhsa_system_sgpr_workgroup_info 0
		.amdhsa_system_vgpr_workitem_id 0
		.amdhsa_next_free_vgpr 1
		.amdhsa_next_free_sgpr 1
		.amdhsa_reserve_vcc 0
		.amdhsa_float_round_mode_32 0
		.amdhsa_float_round_mode_16_64 0
		.amdhsa_float_denorm_mode_32 3
		.amdhsa_float_denorm_mode_16_64 3
		.amdhsa_fp16_overflow 0
		.amdhsa_workgroup_processor_mode 1
		.amdhsa_memory_ordered 1
		.amdhsa_forward_progress 1
		.amdhsa_inst_pref_size 0
		.amdhsa_round_robin_scheduling 0
		.amdhsa_exception_fp_ieee_invalid_op 0
		.amdhsa_exception_fp_denorm_src 0
		.amdhsa_exception_fp_ieee_div_zero 0
		.amdhsa_exception_fp_ieee_overflow 0
		.amdhsa_exception_fp_ieee_underflow 0
		.amdhsa_exception_fp_ieee_inexact 0
		.amdhsa_exception_int_div_zero 0
	.end_amdhsa_kernel
	.section	.text._ZN7rocprim17ROCPRIM_400000_NS6detail17trampoline_kernelINS0_13select_configILj256ELj13ELNS0_17block_load_methodE3ELS4_3ELS4_3ELNS0_20block_scan_algorithmE0ELj4294967295EEENS1_25partition_config_selectorILNS1_17partition_subalgoE3EjNS0_10empty_typeEbEEZZNS1_14partition_implILS8_3ELb0ES6_jNS0_17counting_iteratorIjlEEPS9_SE_NS0_5tupleIJPjSE_EEENSF_IJSE_SE_EEES9_SG_JZNS1_25segmented_radix_sort_implINS0_14default_configELb0EPKlPlSM_SN_N2at6native12_GLOBAL__N_18offset_tEEE10hipError_tPvRmT1_PNSt15iterator_traitsISV_E10value_typeET2_T3_PNSW_IS11_E10value_typeET4_jRbjT5_S17_jjP12ihipStream_tbEUljE_EEESS_ST_SU_S11_S15_S17_T6_T7_T9_mT8_S19_bDpT10_ENKUlT_T0_E_clISt17integral_constantIbLb0EES1M_EEDaS1H_S1I_EUlS1H_E_NS1_11comp_targetILNS1_3genE4ELNS1_11target_archE910ELNS1_3gpuE8ELNS1_3repE0EEENS1_30default_config_static_selectorELNS0_4arch9wavefront6targetE0EEEvSV_,"axG",@progbits,_ZN7rocprim17ROCPRIM_400000_NS6detail17trampoline_kernelINS0_13select_configILj256ELj13ELNS0_17block_load_methodE3ELS4_3ELS4_3ELNS0_20block_scan_algorithmE0ELj4294967295EEENS1_25partition_config_selectorILNS1_17partition_subalgoE3EjNS0_10empty_typeEbEEZZNS1_14partition_implILS8_3ELb0ES6_jNS0_17counting_iteratorIjlEEPS9_SE_NS0_5tupleIJPjSE_EEENSF_IJSE_SE_EEES9_SG_JZNS1_25segmented_radix_sort_implINS0_14default_configELb0EPKlPlSM_SN_N2at6native12_GLOBAL__N_18offset_tEEE10hipError_tPvRmT1_PNSt15iterator_traitsISV_E10value_typeET2_T3_PNSW_IS11_E10value_typeET4_jRbjT5_S17_jjP12ihipStream_tbEUljE_EEESS_ST_SU_S11_S15_S17_T6_T7_T9_mT8_S19_bDpT10_ENKUlT_T0_E_clISt17integral_constantIbLb0EES1M_EEDaS1H_S1I_EUlS1H_E_NS1_11comp_targetILNS1_3genE4ELNS1_11target_archE910ELNS1_3gpuE8ELNS1_3repE0EEENS1_30default_config_static_selectorELNS0_4arch9wavefront6targetE0EEEvSV_,comdat
.Lfunc_end777:
	.size	_ZN7rocprim17ROCPRIM_400000_NS6detail17trampoline_kernelINS0_13select_configILj256ELj13ELNS0_17block_load_methodE3ELS4_3ELS4_3ELNS0_20block_scan_algorithmE0ELj4294967295EEENS1_25partition_config_selectorILNS1_17partition_subalgoE3EjNS0_10empty_typeEbEEZZNS1_14partition_implILS8_3ELb0ES6_jNS0_17counting_iteratorIjlEEPS9_SE_NS0_5tupleIJPjSE_EEENSF_IJSE_SE_EEES9_SG_JZNS1_25segmented_radix_sort_implINS0_14default_configELb0EPKlPlSM_SN_N2at6native12_GLOBAL__N_18offset_tEEE10hipError_tPvRmT1_PNSt15iterator_traitsISV_E10value_typeET2_T3_PNSW_IS11_E10value_typeET4_jRbjT5_S17_jjP12ihipStream_tbEUljE_EEESS_ST_SU_S11_S15_S17_T6_T7_T9_mT8_S19_bDpT10_ENKUlT_T0_E_clISt17integral_constantIbLb0EES1M_EEDaS1H_S1I_EUlS1H_E_NS1_11comp_targetILNS1_3genE4ELNS1_11target_archE910ELNS1_3gpuE8ELNS1_3repE0EEENS1_30default_config_static_selectorELNS0_4arch9wavefront6targetE0EEEvSV_, .Lfunc_end777-_ZN7rocprim17ROCPRIM_400000_NS6detail17trampoline_kernelINS0_13select_configILj256ELj13ELNS0_17block_load_methodE3ELS4_3ELS4_3ELNS0_20block_scan_algorithmE0ELj4294967295EEENS1_25partition_config_selectorILNS1_17partition_subalgoE3EjNS0_10empty_typeEbEEZZNS1_14partition_implILS8_3ELb0ES6_jNS0_17counting_iteratorIjlEEPS9_SE_NS0_5tupleIJPjSE_EEENSF_IJSE_SE_EEES9_SG_JZNS1_25segmented_radix_sort_implINS0_14default_configELb0EPKlPlSM_SN_N2at6native12_GLOBAL__N_18offset_tEEE10hipError_tPvRmT1_PNSt15iterator_traitsISV_E10value_typeET2_T3_PNSW_IS11_E10value_typeET4_jRbjT5_S17_jjP12ihipStream_tbEUljE_EEESS_ST_SU_S11_S15_S17_T6_T7_T9_mT8_S19_bDpT10_ENKUlT_T0_E_clISt17integral_constantIbLb0EES1M_EEDaS1H_S1I_EUlS1H_E_NS1_11comp_targetILNS1_3genE4ELNS1_11target_archE910ELNS1_3gpuE8ELNS1_3repE0EEENS1_30default_config_static_selectorELNS0_4arch9wavefront6targetE0EEEvSV_
                                        ; -- End function
	.set _ZN7rocprim17ROCPRIM_400000_NS6detail17trampoline_kernelINS0_13select_configILj256ELj13ELNS0_17block_load_methodE3ELS4_3ELS4_3ELNS0_20block_scan_algorithmE0ELj4294967295EEENS1_25partition_config_selectorILNS1_17partition_subalgoE3EjNS0_10empty_typeEbEEZZNS1_14partition_implILS8_3ELb0ES6_jNS0_17counting_iteratorIjlEEPS9_SE_NS0_5tupleIJPjSE_EEENSF_IJSE_SE_EEES9_SG_JZNS1_25segmented_radix_sort_implINS0_14default_configELb0EPKlPlSM_SN_N2at6native12_GLOBAL__N_18offset_tEEE10hipError_tPvRmT1_PNSt15iterator_traitsISV_E10value_typeET2_T3_PNSW_IS11_E10value_typeET4_jRbjT5_S17_jjP12ihipStream_tbEUljE_EEESS_ST_SU_S11_S15_S17_T6_T7_T9_mT8_S19_bDpT10_ENKUlT_T0_E_clISt17integral_constantIbLb0EES1M_EEDaS1H_S1I_EUlS1H_E_NS1_11comp_targetILNS1_3genE4ELNS1_11target_archE910ELNS1_3gpuE8ELNS1_3repE0EEENS1_30default_config_static_selectorELNS0_4arch9wavefront6targetE0EEEvSV_.num_vgpr, 0
	.set _ZN7rocprim17ROCPRIM_400000_NS6detail17trampoline_kernelINS0_13select_configILj256ELj13ELNS0_17block_load_methodE3ELS4_3ELS4_3ELNS0_20block_scan_algorithmE0ELj4294967295EEENS1_25partition_config_selectorILNS1_17partition_subalgoE3EjNS0_10empty_typeEbEEZZNS1_14partition_implILS8_3ELb0ES6_jNS0_17counting_iteratorIjlEEPS9_SE_NS0_5tupleIJPjSE_EEENSF_IJSE_SE_EEES9_SG_JZNS1_25segmented_radix_sort_implINS0_14default_configELb0EPKlPlSM_SN_N2at6native12_GLOBAL__N_18offset_tEEE10hipError_tPvRmT1_PNSt15iterator_traitsISV_E10value_typeET2_T3_PNSW_IS11_E10value_typeET4_jRbjT5_S17_jjP12ihipStream_tbEUljE_EEESS_ST_SU_S11_S15_S17_T6_T7_T9_mT8_S19_bDpT10_ENKUlT_T0_E_clISt17integral_constantIbLb0EES1M_EEDaS1H_S1I_EUlS1H_E_NS1_11comp_targetILNS1_3genE4ELNS1_11target_archE910ELNS1_3gpuE8ELNS1_3repE0EEENS1_30default_config_static_selectorELNS0_4arch9wavefront6targetE0EEEvSV_.num_agpr, 0
	.set _ZN7rocprim17ROCPRIM_400000_NS6detail17trampoline_kernelINS0_13select_configILj256ELj13ELNS0_17block_load_methodE3ELS4_3ELS4_3ELNS0_20block_scan_algorithmE0ELj4294967295EEENS1_25partition_config_selectorILNS1_17partition_subalgoE3EjNS0_10empty_typeEbEEZZNS1_14partition_implILS8_3ELb0ES6_jNS0_17counting_iteratorIjlEEPS9_SE_NS0_5tupleIJPjSE_EEENSF_IJSE_SE_EEES9_SG_JZNS1_25segmented_radix_sort_implINS0_14default_configELb0EPKlPlSM_SN_N2at6native12_GLOBAL__N_18offset_tEEE10hipError_tPvRmT1_PNSt15iterator_traitsISV_E10value_typeET2_T3_PNSW_IS11_E10value_typeET4_jRbjT5_S17_jjP12ihipStream_tbEUljE_EEESS_ST_SU_S11_S15_S17_T6_T7_T9_mT8_S19_bDpT10_ENKUlT_T0_E_clISt17integral_constantIbLb0EES1M_EEDaS1H_S1I_EUlS1H_E_NS1_11comp_targetILNS1_3genE4ELNS1_11target_archE910ELNS1_3gpuE8ELNS1_3repE0EEENS1_30default_config_static_selectorELNS0_4arch9wavefront6targetE0EEEvSV_.numbered_sgpr, 0
	.set _ZN7rocprim17ROCPRIM_400000_NS6detail17trampoline_kernelINS0_13select_configILj256ELj13ELNS0_17block_load_methodE3ELS4_3ELS4_3ELNS0_20block_scan_algorithmE0ELj4294967295EEENS1_25partition_config_selectorILNS1_17partition_subalgoE3EjNS0_10empty_typeEbEEZZNS1_14partition_implILS8_3ELb0ES6_jNS0_17counting_iteratorIjlEEPS9_SE_NS0_5tupleIJPjSE_EEENSF_IJSE_SE_EEES9_SG_JZNS1_25segmented_radix_sort_implINS0_14default_configELb0EPKlPlSM_SN_N2at6native12_GLOBAL__N_18offset_tEEE10hipError_tPvRmT1_PNSt15iterator_traitsISV_E10value_typeET2_T3_PNSW_IS11_E10value_typeET4_jRbjT5_S17_jjP12ihipStream_tbEUljE_EEESS_ST_SU_S11_S15_S17_T6_T7_T9_mT8_S19_bDpT10_ENKUlT_T0_E_clISt17integral_constantIbLb0EES1M_EEDaS1H_S1I_EUlS1H_E_NS1_11comp_targetILNS1_3genE4ELNS1_11target_archE910ELNS1_3gpuE8ELNS1_3repE0EEENS1_30default_config_static_selectorELNS0_4arch9wavefront6targetE0EEEvSV_.num_named_barrier, 0
	.set _ZN7rocprim17ROCPRIM_400000_NS6detail17trampoline_kernelINS0_13select_configILj256ELj13ELNS0_17block_load_methodE3ELS4_3ELS4_3ELNS0_20block_scan_algorithmE0ELj4294967295EEENS1_25partition_config_selectorILNS1_17partition_subalgoE3EjNS0_10empty_typeEbEEZZNS1_14partition_implILS8_3ELb0ES6_jNS0_17counting_iteratorIjlEEPS9_SE_NS0_5tupleIJPjSE_EEENSF_IJSE_SE_EEES9_SG_JZNS1_25segmented_radix_sort_implINS0_14default_configELb0EPKlPlSM_SN_N2at6native12_GLOBAL__N_18offset_tEEE10hipError_tPvRmT1_PNSt15iterator_traitsISV_E10value_typeET2_T3_PNSW_IS11_E10value_typeET4_jRbjT5_S17_jjP12ihipStream_tbEUljE_EEESS_ST_SU_S11_S15_S17_T6_T7_T9_mT8_S19_bDpT10_ENKUlT_T0_E_clISt17integral_constantIbLb0EES1M_EEDaS1H_S1I_EUlS1H_E_NS1_11comp_targetILNS1_3genE4ELNS1_11target_archE910ELNS1_3gpuE8ELNS1_3repE0EEENS1_30default_config_static_selectorELNS0_4arch9wavefront6targetE0EEEvSV_.private_seg_size, 0
	.set _ZN7rocprim17ROCPRIM_400000_NS6detail17trampoline_kernelINS0_13select_configILj256ELj13ELNS0_17block_load_methodE3ELS4_3ELS4_3ELNS0_20block_scan_algorithmE0ELj4294967295EEENS1_25partition_config_selectorILNS1_17partition_subalgoE3EjNS0_10empty_typeEbEEZZNS1_14partition_implILS8_3ELb0ES6_jNS0_17counting_iteratorIjlEEPS9_SE_NS0_5tupleIJPjSE_EEENSF_IJSE_SE_EEES9_SG_JZNS1_25segmented_radix_sort_implINS0_14default_configELb0EPKlPlSM_SN_N2at6native12_GLOBAL__N_18offset_tEEE10hipError_tPvRmT1_PNSt15iterator_traitsISV_E10value_typeET2_T3_PNSW_IS11_E10value_typeET4_jRbjT5_S17_jjP12ihipStream_tbEUljE_EEESS_ST_SU_S11_S15_S17_T6_T7_T9_mT8_S19_bDpT10_ENKUlT_T0_E_clISt17integral_constantIbLb0EES1M_EEDaS1H_S1I_EUlS1H_E_NS1_11comp_targetILNS1_3genE4ELNS1_11target_archE910ELNS1_3gpuE8ELNS1_3repE0EEENS1_30default_config_static_selectorELNS0_4arch9wavefront6targetE0EEEvSV_.uses_vcc, 0
	.set _ZN7rocprim17ROCPRIM_400000_NS6detail17trampoline_kernelINS0_13select_configILj256ELj13ELNS0_17block_load_methodE3ELS4_3ELS4_3ELNS0_20block_scan_algorithmE0ELj4294967295EEENS1_25partition_config_selectorILNS1_17partition_subalgoE3EjNS0_10empty_typeEbEEZZNS1_14partition_implILS8_3ELb0ES6_jNS0_17counting_iteratorIjlEEPS9_SE_NS0_5tupleIJPjSE_EEENSF_IJSE_SE_EEES9_SG_JZNS1_25segmented_radix_sort_implINS0_14default_configELb0EPKlPlSM_SN_N2at6native12_GLOBAL__N_18offset_tEEE10hipError_tPvRmT1_PNSt15iterator_traitsISV_E10value_typeET2_T3_PNSW_IS11_E10value_typeET4_jRbjT5_S17_jjP12ihipStream_tbEUljE_EEESS_ST_SU_S11_S15_S17_T6_T7_T9_mT8_S19_bDpT10_ENKUlT_T0_E_clISt17integral_constantIbLb0EES1M_EEDaS1H_S1I_EUlS1H_E_NS1_11comp_targetILNS1_3genE4ELNS1_11target_archE910ELNS1_3gpuE8ELNS1_3repE0EEENS1_30default_config_static_selectorELNS0_4arch9wavefront6targetE0EEEvSV_.uses_flat_scratch, 0
	.set _ZN7rocprim17ROCPRIM_400000_NS6detail17trampoline_kernelINS0_13select_configILj256ELj13ELNS0_17block_load_methodE3ELS4_3ELS4_3ELNS0_20block_scan_algorithmE0ELj4294967295EEENS1_25partition_config_selectorILNS1_17partition_subalgoE3EjNS0_10empty_typeEbEEZZNS1_14partition_implILS8_3ELb0ES6_jNS0_17counting_iteratorIjlEEPS9_SE_NS0_5tupleIJPjSE_EEENSF_IJSE_SE_EEES9_SG_JZNS1_25segmented_radix_sort_implINS0_14default_configELb0EPKlPlSM_SN_N2at6native12_GLOBAL__N_18offset_tEEE10hipError_tPvRmT1_PNSt15iterator_traitsISV_E10value_typeET2_T3_PNSW_IS11_E10value_typeET4_jRbjT5_S17_jjP12ihipStream_tbEUljE_EEESS_ST_SU_S11_S15_S17_T6_T7_T9_mT8_S19_bDpT10_ENKUlT_T0_E_clISt17integral_constantIbLb0EES1M_EEDaS1H_S1I_EUlS1H_E_NS1_11comp_targetILNS1_3genE4ELNS1_11target_archE910ELNS1_3gpuE8ELNS1_3repE0EEENS1_30default_config_static_selectorELNS0_4arch9wavefront6targetE0EEEvSV_.has_dyn_sized_stack, 0
	.set _ZN7rocprim17ROCPRIM_400000_NS6detail17trampoline_kernelINS0_13select_configILj256ELj13ELNS0_17block_load_methodE3ELS4_3ELS4_3ELNS0_20block_scan_algorithmE0ELj4294967295EEENS1_25partition_config_selectorILNS1_17partition_subalgoE3EjNS0_10empty_typeEbEEZZNS1_14partition_implILS8_3ELb0ES6_jNS0_17counting_iteratorIjlEEPS9_SE_NS0_5tupleIJPjSE_EEENSF_IJSE_SE_EEES9_SG_JZNS1_25segmented_radix_sort_implINS0_14default_configELb0EPKlPlSM_SN_N2at6native12_GLOBAL__N_18offset_tEEE10hipError_tPvRmT1_PNSt15iterator_traitsISV_E10value_typeET2_T3_PNSW_IS11_E10value_typeET4_jRbjT5_S17_jjP12ihipStream_tbEUljE_EEESS_ST_SU_S11_S15_S17_T6_T7_T9_mT8_S19_bDpT10_ENKUlT_T0_E_clISt17integral_constantIbLb0EES1M_EEDaS1H_S1I_EUlS1H_E_NS1_11comp_targetILNS1_3genE4ELNS1_11target_archE910ELNS1_3gpuE8ELNS1_3repE0EEENS1_30default_config_static_selectorELNS0_4arch9wavefront6targetE0EEEvSV_.has_recursion, 0
	.set _ZN7rocprim17ROCPRIM_400000_NS6detail17trampoline_kernelINS0_13select_configILj256ELj13ELNS0_17block_load_methodE3ELS4_3ELS4_3ELNS0_20block_scan_algorithmE0ELj4294967295EEENS1_25partition_config_selectorILNS1_17partition_subalgoE3EjNS0_10empty_typeEbEEZZNS1_14partition_implILS8_3ELb0ES6_jNS0_17counting_iteratorIjlEEPS9_SE_NS0_5tupleIJPjSE_EEENSF_IJSE_SE_EEES9_SG_JZNS1_25segmented_radix_sort_implINS0_14default_configELb0EPKlPlSM_SN_N2at6native12_GLOBAL__N_18offset_tEEE10hipError_tPvRmT1_PNSt15iterator_traitsISV_E10value_typeET2_T3_PNSW_IS11_E10value_typeET4_jRbjT5_S17_jjP12ihipStream_tbEUljE_EEESS_ST_SU_S11_S15_S17_T6_T7_T9_mT8_S19_bDpT10_ENKUlT_T0_E_clISt17integral_constantIbLb0EES1M_EEDaS1H_S1I_EUlS1H_E_NS1_11comp_targetILNS1_3genE4ELNS1_11target_archE910ELNS1_3gpuE8ELNS1_3repE0EEENS1_30default_config_static_selectorELNS0_4arch9wavefront6targetE0EEEvSV_.has_indirect_call, 0
	.section	.AMDGPU.csdata,"",@progbits
; Kernel info:
; codeLenInByte = 0
; TotalNumSgprs: 0
; NumVgprs: 0
; ScratchSize: 0
; MemoryBound: 0
; FloatMode: 240
; IeeeMode: 1
; LDSByteSize: 0 bytes/workgroup (compile time only)
; SGPRBlocks: 0
; VGPRBlocks: 0
; NumSGPRsForWavesPerEU: 1
; NumVGPRsForWavesPerEU: 1
; Occupancy: 16
; WaveLimiterHint : 0
; COMPUTE_PGM_RSRC2:SCRATCH_EN: 0
; COMPUTE_PGM_RSRC2:USER_SGPR: 2
; COMPUTE_PGM_RSRC2:TRAP_HANDLER: 0
; COMPUTE_PGM_RSRC2:TGID_X_EN: 1
; COMPUTE_PGM_RSRC2:TGID_Y_EN: 0
; COMPUTE_PGM_RSRC2:TGID_Z_EN: 0
; COMPUTE_PGM_RSRC2:TIDIG_COMP_CNT: 0
	.section	.text._ZN7rocprim17ROCPRIM_400000_NS6detail17trampoline_kernelINS0_13select_configILj256ELj13ELNS0_17block_load_methodE3ELS4_3ELS4_3ELNS0_20block_scan_algorithmE0ELj4294967295EEENS1_25partition_config_selectorILNS1_17partition_subalgoE3EjNS0_10empty_typeEbEEZZNS1_14partition_implILS8_3ELb0ES6_jNS0_17counting_iteratorIjlEEPS9_SE_NS0_5tupleIJPjSE_EEENSF_IJSE_SE_EEES9_SG_JZNS1_25segmented_radix_sort_implINS0_14default_configELb0EPKlPlSM_SN_N2at6native12_GLOBAL__N_18offset_tEEE10hipError_tPvRmT1_PNSt15iterator_traitsISV_E10value_typeET2_T3_PNSW_IS11_E10value_typeET4_jRbjT5_S17_jjP12ihipStream_tbEUljE_EEESS_ST_SU_S11_S15_S17_T6_T7_T9_mT8_S19_bDpT10_ENKUlT_T0_E_clISt17integral_constantIbLb0EES1M_EEDaS1H_S1I_EUlS1H_E_NS1_11comp_targetILNS1_3genE3ELNS1_11target_archE908ELNS1_3gpuE7ELNS1_3repE0EEENS1_30default_config_static_selectorELNS0_4arch9wavefront6targetE0EEEvSV_,"axG",@progbits,_ZN7rocprim17ROCPRIM_400000_NS6detail17trampoline_kernelINS0_13select_configILj256ELj13ELNS0_17block_load_methodE3ELS4_3ELS4_3ELNS0_20block_scan_algorithmE0ELj4294967295EEENS1_25partition_config_selectorILNS1_17partition_subalgoE3EjNS0_10empty_typeEbEEZZNS1_14partition_implILS8_3ELb0ES6_jNS0_17counting_iteratorIjlEEPS9_SE_NS0_5tupleIJPjSE_EEENSF_IJSE_SE_EEES9_SG_JZNS1_25segmented_radix_sort_implINS0_14default_configELb0EPKlPlSM_SN_N2at6native12_GLOBAL__N_18offset_tEEE10hipError_tPvRmT1_PNSt15iterator_traitsISV_E10value_typeET2_T3_PNSW_IS11_E10value_typeET4_jRbjT5_S17_jjP12ihipStream_tbEUljE_EEESS_ST_SU_S11_S15_S17_T6_T7_T9_mT8_S19_bDpT10_ENKUlT_T0_E_clISt17integral_constantIbLb0EES1M_EEDaS1H_S1I_EUlS1H_E_NS1_11comp_targetILNS1_3genE3ELNS1_11target_archE908ELNS1_3gpuE7ELNS1_3repE0EEENS1_30default_config_static_selectorELNS0_4arch9wavefront6targetE0EEEvSV_,comdat
	.globl	_ZN7rocprim17ROCPRIM_400000_NS6detail17trampoline_kernelINS0_13select_configILj256ELj13ELNS0_17block_load_methodE3ELS4_3ELS4_3ELNS0_20block_scan_algorithmE0ELj4294967295EEENS1_25partition_config_selectorILNS1_17partition_subalgoE3EjNS0_10empty_typeEbEEZZNS1_14partition_implILS8_3ELb0ES6_jNS0_17counting_iteratorIjlEEPS9_SE_NS0_5tupleIJPjSE_EEENSF_IJSE_SE_EEES9_SG_JZNS1_25segmented_radix_sort_implINS0_14default_configELb0EPKlPlSM_SN_N2at6native12_GLOBAL__N_18offset_tEEE10hipError_tPvRmT1_PNSt15iterator_traitsISV_E10value_typeET2_T3_PNSW_IS11_E10value_typeET4_jRbjT5_S17_jjP12ihipStream_tbEUljE_EEESS_ST_SU_S11_S15_S17_T6_T7_T9_mT8_S19_bDpT10_ENKUlT_T0_E_clISt17integral_constantIbLb0EES1M_EEDaS1H_S1I_EUlS1H_E_NS1_11comp_targetILNS1_3genE3ELNS1_11target_archE908ELNS1_3gpuE7ELNS1_3repE0EEENS1_30default_config_static_selectorELNS0_4arch9wavefront6targetE0EEEvSV_ ; -- Begin function _ZN7rocprim17ROCPRIM_400000_NS6detail17trampoline_kernelINS0_13select_configILj256ELj13ELNS0_17block_load_methodE3ELS4_3ELS4_3ELNS0_20block_scan_algorithmE0ELj4294967295EEENS1_25partition_config_selectorILNS1_17partition_subalgoE3EjNS0_10empty_typeEbEEZZNS1_14partition_implILS8_3ELb0ES6_jNS0_17counting_iteratorIjlEEPS9_SE_NS0_5tupleIJPjSE_EEENSF_IJSE_SE_EEES9_SG_JZNS1_25segmented_radix_sort_implINS0_14default_configELb0EPKlPlSM_SN_N2at6native12_GLOBAL__N_18offset_tEEE10hipError_tPvRmT1_PNSt15iterator_traitsISV_E10value_typeET2_T3_PNSW_IS11_E10value_typeET4_jRbjT5_S17_jjP12ihipStream_tbEUljE_EEESS_ST_SU_S11_S15_S17_T6_T7_T9_mT8_S19_bDpT10_ENKUlT_T0_E_clISt17integral_constantIbLb0EES1M_EEDaS1H_S1I_EUlS1H_E_NS1_11comp_targetILNS1_3genE3ELNS1_11target_archE908ELNS1_3gpuE7ELNS1_3repE0EEENS1_30default_config_static_selectorELNS0_4arch9wavefront6targetE0EEEvSV_
	.p2align	8
	.type	_ZN7rocprim17ROCPRIM_400000_NS6detail17trampoline_kernelINS0_13select_configILj256ELj13ELNS0_17block_load_methodE3ELS4_3ELS4_3ELNS0_20block_scan_algorithmE0ELj4294967295EEENS1_25partition_config_selectorILNS1_17partition_subalgoE3EjNS0_10empty_typeEbEEZZNS1_14partition_implILS8_3ELb0ES6_jNS0_17counting_iteratorIjlEEPS9_SE_NS0_5tupleIJPjSE_EEENSF_IJSE_SE_EEES9_SG_JZNS1_25segmented_radix_sort_implINS0_14default_configELb0EPKlPlSM_SN_N2at6native12_GLOBAL__N_18offset_tEEE10hipError_tPvRmT1_PNSt15iterator_traitsISV_E10value_typeET2_T3_PNSW_IS11_E10value_typeET4_jRbjT5_S17_jjP12ihipStream_tbEUljE_EEESS_ST_SU_S11_S15_S17_T6_T7_T9_mT8_S19_bDpT10_ENKUlT_T0_E_clISt17integral_constantIbLb0EES1M_EEDaS1H_S1I_EUlS1H_E_NS1_11comp_targetILNS1_3genE3ELNS1_11target_archE908ELNS1_3gpuE7ELNS1_3repE0EEENS1_30default_config_static_selectorELNS0_4arch9wavefront6targetE0EEEvSV_,@function
_ZN7rocprim17ROCPRIM_400000_NS6detail17trampoline_kernelINS0_13select_configILj256ELj13ELNS0_17block_load_methodE3ELS4_3ELS4_3ELNS0_20block_scan_algorithmE0ELj4294967295EEENS1_25partition_config_selectorILNS1_17partition_subalgoE3EjNS0_10empty_typeEbEEZZNS1_14partition_implILS8_3ELb0ES6_jNS0_17counting_iteratorIjlEEPS9_SE_NS0_5tupleIJPjSE_EEENSF_IJSE_SE_EEES9_SG_JZNS1_25segmented_radix_sort_implINS0_14default_configELb0EPKlPlSM_SN_N2at6native12_GLOBAL__N_18offset_tEEE10hipError_tPvRmT1_PNSt15iterator_traitsISV_E10value_typeET2_T3_PNSW_IS11_E10value_typeET4_jRbjT5_S17_jjP12ihipStream_tbEUljE_EEESS_ST_SU_S11_S15_S17_T6_T7_T9_mT8_S19_bDpT10_ENKUlT_T0_E_clISt17integral_constantIbLb0EES1M_EEDaS1H_S1I_EUlS1H_E_NS1_11comp_targetILNS1_3genE3ELNS1_11target_archE908ELNS1_3gpuE7ELNS1_3repE0EEENS1_30default_config_static_selectorELNS0_4arch9wavefront6targetE0EEEvSV_: ; @_ZN7rocprim17ROCPRIM_400000_NS6detail17trampoline_kernelINS0_13select_configILj256ELj13ELNS0_17block_load_methodE3ELS4_3ELS4_3ELNS0_20block_scan_algorithmE0ELj4294967295EEENS1_25partition_config_selectorILNS1_17partition_subalgoE3EjNS0_10empty_typeEbEEZZNS1_14partition_implILS8_3ELb0ES6_jNS0_17counting_iteratorIjlEEPS9_SE_NS0_5tupleIJPjSE_EEENSF_IJSE_SE_EEES9_SG_JZNS1_25segmented_radix_sort_implINS0_14default_configELb0EPKlPlSM_SN_N2at6native12_GLOBAL__N_18offset_tEEE10hipError_tPvRmT1_PNSt15iterator_traitsISV_E10value_typeET2_T3_PNSW_IS11_E10value_typeET4_jRbjT5_S17_jjP12ihipStream_tbEUljE_EEESS_ST_SU_S11_S15_S17_T6_T7_T9_mT8_S19_bDpT10_ENKUlT_T0_E_clISt17integral_constantIbLb0EES1M_EEDaS1H_S1I_EUlS1H_E_NS1_11comp_targetILNS1_3genE3ELNS1_11target_archE908ELNS1_3gpuE7ELNS1_3repE0EEENS1_30default_config_static_selectorELNS0_4arch9wavefront6targetE0EEEvSV_
; %bb.0:
	.section	.rodata,"a",@progbits
	.p2align	6, 0x0
	.amdhsa_kernel _ZN7rocprim17ROCPRIM_400000_NS6detail17trampoline_kernelINS0_13select_configILj256ELj13ELNS0_17block_load_methodE3ELS4_3ELS4_3ELNS0_20block_scan_algorithmE0ELj4294967295EEENS1_25partition_config_selectorILNS1_17partition_subalgoE3EjNS0_10empty_typeEbEEZZNS1_14partition_implILS8_3ELb0ES6_jNS0_17counting_iteratorIjlEEPS9_SE_NS0_5tupleIJPjSE_EEENSF_IJSE_SE_EEES9_SG_JZNS1_25segmented_radix_sort_implINS0_14default_configELb0EPKlPlSM_SN_N2at6native12_GLOBAL__N_18offset_tEEE10hipError_tPvRmT1_PNSt15iterator_traitsISV_E10value_typeET2_T3_PNSW_IS11_E10value_typeET4_jRbjT5_S17_jjP12ihipStream_tbEUljE_EEESS_ST_SU_S11_S15_S17_T6_T7_T9_mT8_S19_bDpT10_ENKUlT_T0_E_clISt17integral_constantIbLb0EES1M_EEDaS1H_S1I_EUlS1H_E_NS1_11comp_targetILNS1_3genE3ELNS1_11target_archE908ELNS1_3gpuE7ELNS1_3repE0EEENS1_30default_config_static_selectorELNS0_4arch9wavefront6targetE0EEEvSV_
		.amdhsa_group_segment_fixed_size 0
		.amdhsa_private_segment_fixed_size 0
		.amdhsa_kernarg_size 144
		.amdhsa_user_sgpr_count 2
		.amdhsa_user_sgpr_dispatch_ptr 0
		.amdhsa_user_sgpr_queue_ptr 0
		.amdhsa_user_sgpr_kernarg_segment_ptr 1
		.amdhsa_user_sgpr_dispatch_id 0
		.amdhsa_user_sgpr_private_segment_size 0
		.amdhsa_wavefront_size32 1
		.amdhsa_uses_dynamic_stack 0
		.amdhsa_enable_private_segment 0
		.amdhsa_system_sgpr_workgroup_id_x 1
		.amdhsa_system_sgpr_workgroup_id_y 0
		.amdhsa_system_sgpr_workgroup_id_z 0
		.amdhsa_system_sgpr_workgroup_info 0
		.amdhsa_system_vgpr_workitem_id 0
		.amdhsa_next_free_vgpr 1
		.amdhsa_next_free_sgpr 1
		.amdhsa_reserve_vcc 0
		.amdhsa_float_round_mode_32 0
		.amdhsa_float_round_mode_16_64 0
		.amdhsa_float_denorm_mode_32 3
		.amdhsa_float_denorm_mode_16_64 3
		.amdhsa_fp16_overflow 0
		.amdhsa_workgroup_processor_mode 1
		.amdhsa_memory_ordered 1
		.amdhsa_forward_progress 1
		.amdhsa_inst_pref_size 0
		.amdhsa_round_robin_scheduling 0
		.amdhsa_exception_fp_ieee_invalid_op 0
		.amdhsa_exception_fp_denorm_src 0
		.amdhsa_exception_fp_ieee_div_zero 0
		.amdhsa_exception_fp_ieee_overflow 0
		.amdhsa_exception_fp_ieee_underflow 0
		.amdhsa_exception_fp_ieee_inexact 0
		.amdhsa_exception_int_div_zero 0
	.end_amdhsa_kernel
	.section	.text._ZN7rocprim17ROCPRIM_400000_NS6detail17trampoline_kernelINS0_13select_configILj256ELj13ELNS0_17block_load_methodE3ELS4_3ELS4_3ELNS0_20block_scan_algorithmE0ELj4294967295EEENS1_25partition_config_selectorILNS1_17partition_subalgoE3EjNS0_10empty_typeEbEEZZNS1_14partition_implILS8_3ELb0ES6_jNS0_17counting_iteratorIjlEEPS9_SE_NS0_5tupleIJPjSE_EEENSF_IJSE_SE_EEES9_SG_JZNS1_25segmented_radix_sort_implINS0_14default_configELb0EPKlPlSM_SN_N2at6native12_GLOBAL__N_18offset_tEEE10hipError_tPvRmT1_PNSt15iterator_traitsISV_E10value_typeET2_T3_PNSW_IS11_E10value_typeET4_jRbjT5_S17_jjP12ihipStream_tbEUljE_EEESS_ST_SU_S11_S15_S17_T6_T7_T9_mT8_S19_bDpT10_ENKUlT_T0_E_clISt17integral_constantIbLb0EES1M_EEDaS1H_S1I_EUlS1H_E_NS1_11comp_targetILNS1_3genE3ELNS1_11target_archE908ELNS1_3gpuE7ELNS1_3repE0EEENS1_30default_config_static_selectorELNS0_4arch9wavefront6targetE0EEEvSV_,"axG",@progbits,_ZN7rocprim17ROCPRIM_400000_NS6detail17trampoline_kernelINS0_13select_configILj256ELj13ELNS0_17block_load_methodE3ELS4_3ELS4_3ELNS0_20block_scan_algorithmE0ELj4294967295EEENS1_25partition_config_selectorILNS1_17partition_subalgoE3EjNS0_10empty_typeEbEEZZNS1_14partition_implILS8_3ELb0ES6_jNS0_17counting_iteratorIjlEEPS9_SE_NS0_5tupleIJPjSE_EEENSF_IJSE_SE_EEES9_SG_JZNS1_25segmented_radix_sort_implINS0_14default_configELb0EPKlPlSM_SN_N2at6native12_GLOBAL__N_18offset_tEEE10hipError_tPvRmT1_PNSt15iterator_traitsISV_E10value_typeET2_T3_PNSW_IS11_E10value_typeET4_jRbjT5_S17_jjP12ihipStream_tbEUljE_EEESS_ST_SU_S11_S15_S17_T6_T7_T9_mT8_S19_bDpT10_ENKUlT_T0_E_clISt17integral_constantIbLb0EES1M_EEDaS1H_S1I_EUlS1H_E_NS1_11comp_targetILNS1_3genE3ELNS1_11target_archE908ELNS1_3gpuE7ELNS1_3repE0EEENS1_30default_config_static_selectorELNS0_4arch9wavefront6targetE0EEEvSV_,comdat
.Lfunc_end778:
	.size	_ZN7rocprim17ROCPRIM_400000_NS6detail17trampoline_kernelINS0_13select_configILj256ELj13ELNS0_17block_load_methodE3ELS4_3ELS4_3ELNS0_20block_scan_algorithmE0ELj4294967295EEENS1_25partition_config_selectorILNS1_17partition_subalgoE3EjNS0_10empty_typeEbEEZZNS1_14partition_implILS8_3ELb0ES6_jNS0_17counting_iteratorIjlEEPS9_SE_NS0_5tupleIJPjSE_EEENSF_IJSE_SE_EEES9_SG_JZNS1_25segmented_radix_sort_implINS0_14default_configELb0EPKlPlSM_SN_N2at6native12_GLOBAL__N_18offset_tEEE10hipError_tPvRmT1_PNSt15iterator_traitsISV_E10value_typeET2_T3_PNSW_IS11_E10value_typeET4_jRbjT5_S17_jjP12ihipStream_tbEUljE_EEESS_ST_SU_S11_S15_S17_T6_T7_T9_mT8_S19_bDpT10_ENKUlT_T0_E_clISt17integral_constantIbLb0EES1M_EEDaS1H_S1I_EUlS1H_E_NS1_11comp_targetILNS1_3genE3ELNS1_11target_archE908ELNS1_3gpuE7ELNS1_3repE0EEENS1_30default_config_static_selectorELNS0_4arch9wavefront6targetE0EEEvSV_, .Lfunc_end778-_ZN7rocprim17ROCPRIM_400000_NS6detail17trampoline_kernelINS0_13select_configILj256ELj13ELNS0_17block_load_methodE3ELS4_3ELS4_3ELNS0_20block_scan_algorithmE0ELj4294967295EEENS1_25partition_config_selectorILNS1_17partition_subalgoE3EjNS0_10empty_typeEbEEZZNS1_14partition_implILS8_3ELb0ES6_jNS0_17counting_iteratorIjlEEPS9_SE_NS0_5tupleIJPjSE_EEENSF_IJSE_SE_EEES9_SG_JZNS1_25segmented_radix_sort_implINS0_14default_configELb0EPKlPlSM_SN_N2at6native12_GLOBAL__N_18offset_tEEE10hipError_tPvRmT1_PNSt15iterator_traitsISV_E10value_typeET2_T3_PNSW_IS11_E10value_typeET4_jRbjT5_S17_jjP12ihipStream_tbEUljE_EEESS_ST_SU_S11_S15_S17_T6_T7_T9_mT8_S19_bDpT10_ENKUlT_T0_E_clISt17integral_constantIbLb0EES1M_EEDaS1H_S1I_EUlS1H_E_NS1_11comp_targetILNS1_3genE3ELNS1_11target_archE908ELNS1_3gpuE7ELNS1_3repE0EEENS1_30default_config_static_selectorELNS0_4arch9wavefront6targetE0EEEvSV_
                                        ; -- End function
	.set _ZN7rocprim17ROCPRIM_400000_NS6detail17trampoline_kernelINS0_13select_configILj256ELj13ELNS0_17block_load_methodE3ELS4_3ELS4_3ELNS0_20block_scan_algorithmE0ELj4294967295EEENS1_25partition_config_selectorILNS1_17partition_subalgoE3EjNS0_10empty_typeEbEEZZNS1_14partition_implILS8_3ELb0ES6_jNS0_17counting_iteratorIjlEEPS9_SE_NS0_5tupleIJPjSE_EEENSF_IJSE_SE_EEES9_SG_JZNS1_25segmented_radix_sort_implINS0_14default_configELb0EPKlPlSM_SN_N2at6native12_GLOBAL__N_18offset_tEEE10hipError_tPvRmT1_PNSt15iterator_traitsISV_E10value_typeET2_T3_PNSW_IS11_E10value_typeET4_jRbjT5_S17_jjP12ihipStream_tbEUljE_EEESS_ST_SU_S11_S15_S17_T6_T7_T9_mT8_S19_bDpT10_ENKUlT_T0_E_clISt17integral_constantIbLb0EES1M_EEDaS1H_S1I_EUlS1H_E_NS1_11comp_targetILNS1_3genE3ELNS1_11target_archE908ELNS1_3gpuE7ELNS1_3repE0EEENS1_30default_config_static_selectorELNS0_4arch9wavefront6targetE0EEEvSV_.num_vgpr, 0
	.set _ZN7rocprim17ROCPRIM_400000_NS6detail17trampoline_kernelINS0_13select_configILj256ELj13ELNS0_17block_load_methodE3ELS4_3ELS4_3ELNS0_20block_scan_algorithmE0ELj4294967295EEENS1_25partition_config_selectorILNS1_17partition_subalgoE3EjNS0_10empty_typeEbEEZZNS1_14partition_implILS8_3ELb0ES6_jNS0_17counting_iteratorIjlEEPS9_SE_NS0_5tupleIJPjSE_EEENSF_IJSE_SE_EEES9_SG_JZNS1_25segmented_radix_sort_implINS0_14default_configELb0EPKlPlSM_SN_N2at6native12_GLOBAL__N_18offset_tEEE10hipError_tPvRmT1_PNSt15iterator_traitsISV_E10value_typeET2_T3_PNSW_IS11_E10value_typeET4_jRbjT5_S17_jjP12ihipStream_tbEUljE_EEESS_ST_SU_S11_S15_S17_T6_T7_T9_mT8_S19_bDpT10_ENKUlT_T0_E_clISt17integral_constantIbLb0EES1M_EEDaS1H_S1I_EUlS1H_E_NS1_11comp_targetILNS1_3genE3ELNS1_11target_archE908ELNS1_3gpuE7ELNS1_3repE0EEENS1_30default_config_static_selectorELNS0_4arch9wavefront6targetE0EEEvSV_.num_agpr, 0
	.set _ZN7rocprim17ROCPRIM_400000_NS6detail17trampoline_kernelINS0_13select_configILj256ELj13ELNS0_17block_load_methodE3ELS4_3ELS4_3ELNS0_20block_scan_algorithmE0ELj4294967295EEENS1_25partition_config_selectorILNS1_17partition_subalgoE3EjNS0_10empty_typeEbEEZZNS1_14partition_implILS8_3ELb0ES6_jNS0_17counting_iteratorIjlEEPS9_SE_NS0_5tupleIJPjSE_EEENSF_IJSE_SE_EEES9_SG_JZNS1_25segmented_radix_sort_implINS0_14default_configELb0EPKlPlSM_SN_N2at6native12_GLOBAL__N_18offset_tEEE10hipError_tPvRmT1_PNSt15iterator_traitsISV_E10value_typeET2_T3_PNSW_IS11_E10value_typeET4_jRbjT5_S17_jjP12ihipStream_tbEUljE_EEESS_ST_SU_S11_S15_S17_T6_T7_T9_mT8_S19_bDpT10_ENKUlT_T0_E_clISt17integral_constantIbLb0EES1M_EEDaS1H_S1I_EUlS1H_E_NS1_11comp_targetILNS1_3genE3ELNS1_11target_archE908ELNS1_3gpuE7ELNS1_3repE0EEENS1_30default_config_static_selectorELNS0_4arch9wavefront6targetE0EEEvSV_.numbered_sgpr, 0
	.set _ZN7rocprim17ROCPRIM_400000_NS6detail17trampoline_kernelINS0_13select_configILj256ELj13ELNS0_17block_load_methodE3ELS4_3ELS4_3ELNS0_20block_scan_algorithmE0ELj4294967295EEENS1_25partition_config_selectorILNS1_17partition_subalgoE3EjNS0_10empty_typeEbEEZZNS1_14partition_implILS8_3ELb0ES6_jNS0_17counting_iteratorIjlEEPS9_SE_NS0_5tupleIJPjSE_EEENSF_IJSE_SE_EEES9_SG_JZNS1_25segmented_radix_sort_implINS0_14default_configELb0EPKlPlSM_SN_N2at6native12_GLOBAL__N_18offset_tEEE10hipError_tPvRmT1_PNSt15iterator_traitsISV_E10value_typeET2_T3_PNSW_IS11_E10value_typeET4_jRbjT5_S17_jjP12ihipStream_tbEUljE_EEESS_ST_SU_S11_S15_S17_T6_T7_T9_mT8_S19_bDpT10_ENKUlT_T0_E_clISt17integral_constantIbLb0EES1M_EEDaS1H_S1I_EUlS1H_E_NS1_11comp_targetILNS1_3genE3ELNS1_11target_archE908ELNS1_3gpuE7ELNS1_3repE0EEENS1_30default_config_static_selectorELNS0_4arch9wavefront6targetE0EEEvSV_.num_named_barrier, 0
	.set _ZN7rocprim17ROCPRIM_400000_NS6detail17trampoline_kernelINS0_13select_configILj256ELj13ELNS0_17block_load_methodE3ELS4_3ELS4_3ELNS0_20block_scan_algorithmE0ELj4294967295EEENS1_25partition_config_selectorILNS1_17partition_subalgoE3EjNS0_10empty_typeEbEEZZNS1_14partition_implILS8_3ELb0ES6_jNS0_17counting_iteratorIjlEEPS9_SE_NS0_5tupleIJPjSE_EEENSF_IJSE_SE_EEES9_SG_JZNS1_25segmented_radix_sort_implINS0_14default_configELb0EPKlPlSM_SN_N2at6native12_GLOBAL__N_18offset_tEEE10hipError_tPvRmT1_PNSt15iterator_traitsISV_E10value_typeET2_T3_PNSW_IS11_E10value_typeET4_jRbjT5_S17_jjP12ihipStream_tbEUljE_EEESS_ST_SU_S11_S15_S17_T6_T7_T9_mT8_S19_bDpT10_ENKUlT_T0_E_clISt17integral_constantIbLb0EES1M_EEDaS1H_S1I_EUlS1H_E_NS1_11comp_targetILNS1_3genE3ELNS1_11target_archE908ELNS1_3gpuE7ELNS1_3repE0EEENS1_30default_config_static_selectorELNS0_4arch9wavefront6targetE0EEEvSV_.private_seg_size, 0
	.set _ZN7rocprim17ROCPRIM_400000_NS6detail17trampoline_kernelINS0_13select_configILj256ELj13ELNS0_17block_load_methodE3ELS4_3ELS4_3ELNS0_20block_scan_algorithmE0ELj4294967295EEENS1_25partition_config_selectorILNS1_17partition_subalgoE3EjNS0_10empty_typeEbEEZZNS1_14partition_implILS8_3ELb0ES6_jNS0_17counting_iteratorIjlEEPS9_SE_NS0_5tupleIJPjSE_EEENSF_IJSE_SE_EEES9_SG_JZNS1_25segmented_radix_sort_implINS0_14default_configELb0EPKlPlSM_SN_N2at6native12_GLOBAL__N_18offset_tEEE10hipError_tPvRmT1_PNSt15iterator_traitsISV_E10value_typeET2_T3_PNSW_IS11_E10value_typeET4_jRbjT5_S17_jjP12ihipStream_tbEUljE_EEESS_ST_SU_S11_S15_S17_T6_T7_T9_mT8_S19_bDpT10_ENKUlT_T0_E_clISt17integral_constantIbLb0EES1M_EEDaS1H_S1I_EUlS1H_E_NS1_11comp_targetILNS1_3genE3ELNS1_11target_archE908ELNS1_3gpuE7ELNS1_3repE0EEENS1_30default_config_static_selectorELNS0_4arch9wavefront6targetE0EEEvSV_.uses_vcc, 0
	.set _ZN7rocprim17ROCPRIM_400000_NS6detail17trampoline_kernelINS0_13select_configILj256ELj13ELNS0_17block_load_methodE3ELS4_3ELS4_3ELNS0_20block_scan_algorithmE0ELj4294967295EEENS1_25partition_config_selectorILNS1_17partition_subalgoE3EjNS0_10empty_typeEbEEZZNS1_14partition_implILS8_3ELb0ES6_jNS0_17counting_iteratorIjlEEPS9_SE_NS0_5tupleIJPjSE_EEENSF_IJSE_SE_EEES9_SG_JZNS1_25segmented_radix_sort_implINS0_14default_configELb0EPKlPlSM_SN_N2at6native12_GLOBAL__N_18offset_tEEE10hipError_tPvRmT1_PNSt15iterator_traitsISV_E10value_typeET2_T3_PNSW_IS11_E10value_typeET4_jRbjT5_S17_jjP12ihipStream_tbEUljE_EEESS_ST_SU_S11_S15_S17_T6_T7_T9_mT8_S19_bDpT10_ENKUlT_T0_E_clISt17integral_constantIbLb0EES1M_EEDaS1H_S1I_EUlS1H_E_NS1_11comp_targetILNS1_3genE3ELNS1_11target_archE908ELNS1_3gpuE7ELNS1_3repE0EEENS1_30default_config_static_selectorELNS0_4arch9wavefront6targetE0EEEvSV_.uses_flat_scratch, 0
	.set _ZN7rocprim17ROCPRIM_400000_NS6detail17trampoline_kernelINS0_13select_configILj256ELj13ELNS0_17block_load_methodE3ELS4_3ELS4_3ELNS0_20block_scan_algorithmE0ELj4294967295EEENS1_25partition_config_selectorILNS1_17partition_subalgoE3EjNS0_10empty_typeEbEEZZNS1_14partition_implILS8_3ELb0ES6_jNS0_17counting_iteratorIjlEEPS9_SE_NS0_5tupleIJPjSE_EEENSF_IJSE_SE_EEES9_SG_JZNS1_25segmented_radix_sort_implINS0_14default_configELb0EPKlPlSM_SN_N2at6native12_GLOBAL__N_18offset_tEEE10hipError_tPvRmT1_PNSt15iterator_traitsISV_E10value_typeET2_T3_PNSW_IS11_E10value_typeET4_jRbjT5_S17_jjP12ihipStream_tbEUljE_EEESS_ST_SU_S11_S15_S17_T6_T7_T9_mT8_S19_bDpT10_ENKUlT_T0_E_clISt17integral_constantIbLb0EES1M_EEDaS1H_S1I_EUlS1H_E_NS1_11comp_targetILNS1_3genE3ELNS1_11target_archE908ELNS1_3gpuE7ELNS1_3repE0EEENS1_30default_config_static_selectorELNS0_4arch9wavefront6targetE0EEEvSV_.has_dyn_sized_stack, 0
	.set _ZN7rocprim17ROCPRIM_400000_NS6detail17trampoline_kernelINS0_13select_configILj256ELj13ELNS0_17block_load_methodE3ELS4_3ELS4_3ELNS0_20block_scan_algorithmE0ELj4294967295EEENS1_25partition_config_selectorILNS1_17partition_subalgoE3EjNS0_10empty_typeEbEEZZNS1_14partition_implILS8_3ELb0ES6_jNS0_17counting_iteratorIjlEEPS9_SE_NS0_5tupleIJPjSE_EEENSF_IJSE_SE_EEES9_SG_JZNS1_25segmented_radix_sort_implINS0_14default_configELb0EPKlPlSM_SN_N2at6native12_GLOBAL__N_18offset_tEEE10hipError_tPvRmT1_PNSt15iterator_traitsISV_E10value_typeET2_T3_PNSW_IS11_E10value_typeET4_jRbjT5_S17_jjP12ihipStream_tbEUljE_EEESS_ST_SU_S11_S15_S17_T6_T7_T9_mT8_S19_bDpT10_ENKUlT_T0_E_clISt17integral_constantIbLb0EES1M_EEDaS1H_S1I_EUlS1H_E_NS1_11comp_targetILNS1_3genE3ELNS1_11target_archE908ELNS1_3gpuE7ELNS1_3repE0EEENS1_30default_config_static_selectorELNS0_4arch9wavefront6targetE0EEEvSV_.has_recursion, 0
	.set _ZN7rocprim17ROCPRIM_400000_NS6detail17trampoline_kernelINS0_13select_configILj256ELj13ELNS0_17block_load_methodE3ELS4_3ELS4_3ELNS0_20block_scan_algorithmE0ELj4294967295EEENS1_25partition_config_selectorILNS1_17partition_subalgoE3EjNS0_10empty_typeEbEEZZNS1_14partition_implILS8_3ELb0ES6_jNS0_17counting_iteratorIjlEEPS9_SE_NS0_5tupleIJPjSE_EEENSF_IJSE_SE_EEES9_SG_JZNS1_25segmented_radix_sort_implINS0_14default_configELb0EPKlPlSM_SN_N2at6native12_GLOBAL__N_18offset_tEEE10hipError_tPvRmT1_PNSt15iterator_traitsISV_E10value_typeET2_T3_PNSW_IS11_E10value_typeET4_jRbjT5_S17_jjP12ihipStream_tbEUljE_EEESS_ST_SU_S11_S15_S17_T6_T7_T9_mT8_S19_bDpT10_ENKUlT_T0_E_clISt17integral_constantIbLb0EES1M_EEDaS1H_S1I_EUlS1H_E_NS1_11comp_targetILNS1_3genE3ELNS1_11target_archE908ELNS1_3gpuE7ELNS1_3repE0EEENS1_30default_config_static_selectorELNS0_4arch9wavefront6targetE0EEEvSV_.has_indirect_call, 0
	.section	.AMDGPU.csdata,"",@progbits
; Kernel info:
; codeLenInByte = 0
; TotalNumSgprs: 0
; NumVgprs: 0
; ScratchSize: 0
; MemoryBound: 0
; FloatMode: 240
; IeeeMode: 1
; LDSByteSize: 0 bytes/workgroup (compile time only)
; SGPRBlocks: 0
; VGPRBlocks: 0
; NumSGPRsForWavesPerEU: 1
; NumVGPRsForWavesPerEU: 1
; Occupancy: 16
; WaveLimiterHint : 0
; COMPUTE_PGM_RSRC2:SCRATCH_EN: 0
; COMPUTE_PGM_RSRC2:USER_SGPR: 2
; COMPUTE_PGM_RSRC2:TRAP_HANDLER: 0
; COMPUTE_PGM_RSRC2:TGID_X_EN: 1
; COMPUTE_PGM_RSRC2:TGID_Y_EN: 0
; COMPUTE_PGM_RSRC2:TGID_Z_EN: 0
; COMPUTE_PGM_RSRC2:TIDIG_COMP_CNT: 0
	.section	.text._ZN7rocprim17ROCPRIM_400000_NS6detail17trampoline_kernelINS0_13select_configILj256ELj13ELNS0_17block_load_methodE3ELS4_3ELS4_3ELNS0_20block_scan_algorithmE0ELj4294967295EEENS1_25partition_config_selectorILNS1_17partition_subalgoE3EjNS0_10empty_typeEbEEZZNS1_14partition_implILS8_3ELb0ES6_jNS0_17counting_iteratorIjlEEPS9_SE_NS0_5tupleIJPjSE_EEENSF_IJSE_SE_EEES9_SG_JZNS1_25segmented_radix_sort_implINS0_14default_configELb0EPKlPlSM_SN_N2at6native12_GLOBAL__N_18offset_tEEE10hipError_tPvRmT1_PNSt15iterator_traitsISV_E10value_typeET2_T3_PNSW_IS11_E10value_typeET4_jRbjT5_S17_jjP12ihipStream_tbEUljE_EEESS_ST_SU_S11_S15_S17_T6_T7_T9_mT8_S19_bDpT10_ENKUlT_T0_E_clISt17integral_constantIbLb0EES1M_EEDaS1H_S1I_EUlS1H_E_NS1_11comp_targetILNS1_3genE2ELNS1_11target_archE906ELNS1_3gpuE6ELNS1_3repE0EEENS1_30default_config_static_selectorELNS0_4arch9wavefront6targetE0EEEvSV_,"axG",@progbits,_ZN7rocprim17ROCPRIM_400000_NS6detail17trampoline_kernelINS0_13select_configILj256ELj13ELNS0_17block_load_methodE3ELS4_3ELS4_3ELNS0_20block_scan_algorithmE0ELj4294967295EEENS1_25partition_config_selectorILNS1_17partition_subalgoE3EjNS0_10empty_typeEbEEZZNS1_14partition_implILS8_3ELb0ES6_jNS0_17counting_iteratorIjlEEPS9_SE_NS0_5tupleIJPjSE_EEENSF_IJSE_SE_EEES9_SG_JZNS1_25segmented_radix_sort_implINS0_14default_configELb0EPKlPlSM_SN_N2at6native12_GLOBAL__N_18offset_tEEE10hipError_tPvRmT1_PNSt15iterator_traitsISV_E10value_typeET2_T3_PNSW_IS11_E10value_typeET4_jRbjT5_S17_jjP12ihipStream_tbEUljE_EEESS_ST_SU_S11_S15_S17_T6_T7_T9_mT8_S19_bDpT10_ENKUlT_T0_E_clISt17integral_constantIbLb0EES1M_EEDaS1H_S1I_EUlS1H_E_NS1_11comp_targetILNS1_3genE2ELNS1_11target_archE906ELNS1_3gpuE6ELNS1_3repE0EEENS1_30default_config_static_selectorELNS0_4arch9wavefront6targetE0EEEvSV_,comdat
	.globl	_ZN7rocprim17ROCPRIM_400000_NS6detail17trampoline_kernelINS0_13select_configILj256ELj13ELNS0_17block_load_methodE3ELS4_3ELS4_3ELNS0_20block_scan_algorithmE0ELj4294967295EEENS1_25partition_config_selectorILNS1_17partition_subalgoE3EjNS0_10empty_typeEbEEZZNS1_14partition_implILS8_3ELb0ES6_jNS0_17counting_iteratorIjlEEPS9_SE_NS0_5tupleIJPjSE_EEENSF_IJSE_SE_EEES9_SG_JZNS1_25segmented_radix_sort_implINS0_14default_configELb0EPKlPlSM_SN_N2at6native12_GLOBAL__N_18offset_tEEE10hipError_tPvRmT1_PNSt15iterator_traitsISV_E10value_typeET2_T3_PNSW_IS11_E10value_typeET4_jRbjT5_S17_jjP12ihipStream_tbEUljE_EEESS_ST_SU_S11_S15_S17_T6_T7_T9_mT8_S19_bDpT10_ENKUlT_T0_E_clISt17integral_constantIbLb0EES1M_EEDaS1H_S1I_EUlS1H_E_NS1_11comp_targetILNS1_3genE2ELNS1_11target_archE906ELNS1_3gpuE6ELNS1_3repE0EEENS1_30default_config_static_selectorELNS0_4arch9wavefront6targetE0EEEvSV_ ; -- Begin function _ZN7rocprim17ROCPRIM_400000_NS6detail17trampoline_kernelINS0_13select_configILj256ELj13ELNS0_17block_load_methodE3ELS4_3ELS4_3ELNS0_20block_scan_algorithmE0ELj4294967295EEENS1_25partition_config_selectorILNS1_17partition_subalgoE3EjNS0_10empty_typeEbEEZZNS1_14partition_implILS8_3ELb0ES6_jNS0_17counting_iteratorIjlEEPS9_SE_NS0_5tupleIJPjSE_EEENSF_IJSE_SE_EEES9_SG_JZNS1_25segmented_radix_sort_implINS0_14default_configELb0EPKlPlSM_SN_N2at6native12_GLOBAL__N_18offset_tEEE10hipError_tPvRmT1_PNSt15iterator_traitsISV_E10value_typeET2_T3_PNSW_IS11_E10value_typeET4_jRbjT5_S17_jjP12ihipStream_tbEUljE_EEESS_ST_SU_S11_S15_S17_T6_T7_T9_mT8_S19_bDpT10_ENKUlT_T0_E_clISt17integral_constantIbLb0EES1M_EEDaS1H_S1I_EUlS1H_E_NS1_11comp_targetILNS1_3genE2ELNS1_11target_archE906ELNS1_3gpuE6ELNS1_3repE0EEENS1_30default_config_static_selectorELNS0_4arch9wavefront6targetE0EEEvSV_
	.p2align	8
	.type	_ZN7rocprim17ROCPRIM_400000_NS6detail17trampoline_kernelINS0_13select_configILj256ELj13ELNS0_17block_load_methodE3ELS4_3ELS4_3ELNS0_20block_scan_algorithmE0ELj4294967295EEENS1_25partition_config_selectorILNS1_17partition_subalgoE3EjNS0_10empty_typeEbEEZZNS1_14partition_implILS8_3ELb0ES6_jNS0_17counting_iteratorIjlEEPS9_SE_NS0_5tupleIJPjSE_EEENSF_IJSE_SE_EEES9_SG_JZNS1_25segmented_radix_sort_implINS0_14default_configELb0EPKlPlSM_SN_N2at6native12_GLOBAL__N_18offset_tEEE10hipError_tPvRmT1_PNSt15iterator_traitsISV_E10value_typeET2_T3_PNSW_IS11_E10value_typeET4_jRbjT5_S17_jjP12ihipStream_tbEUljE_EEESS_ST_SU_S11_S15_S17_T6_T7_T9_mT8_S19_bDpT10_ENKUlT_T0_E_clISt17integral_constantIbLb0EES1M_EEDaS1H_S1I_EUlS1H_E_NS1_11comp_targetILNS1_3genE2ELNS1_11target_archE906ELNS1_3gpuE6ELNS1_3repE0EEENS1_30default_config_static_selectorELNS0_4arch9wavefront6targetE0EEEvSV_,@function
_ZN7rocprim17ROCPRIM_400000_NS6detail17trampoline_kernelINS0_13select_configILj256ELj13ELNS0_17block_load_methodE3ELS4_3ELS4_3ELNS0_20block_scan_algorithmE0ELj4294967295EEENS1_25partition_config_selectorILNS1_17partition_subalgoE3EjNS0_10empty_typeEbEEZZNS1_14partition_implILS8_3ELb0ES6_jNS0_17counting_iteratorIjlEEPS9_SE_NS0_5tupleIJPjSE_EEENSF_IJSE_SE_EEES9_SG_JZNS1_25segmented_radix_sort_implINS0_14default_configELb0EPKlPlSM_SN_N2at6native12_GLOBAL__N_18offset_tEEE10hipError_tPvRmT1_PNSt15iterator_traitsISV_E10value_typeET2_T3_PNSW_IS11_E10value_typeET4_jRbjT5_S17_jjP12ihipStream_tbEUljE_EEESS_ST_SU_S11_S15_S17_T6_T7_T9_mT8_S19_bDpT10_ENKUlT_T0_E_clISt17integral_constantIbLb0EES1M_EEDaS1H_S1I_EUlS1H_E_NS1_11comp_targetILNS1_3genE2ELNS1_11target_archE906ELNS1_3gpuE6ELNS1_3repE0EEENS1_30default_config_static_selectorELNS0_4arch9wavefront6targetE0EEEvSV_: ; @_ZN7rocprim17ROCPRIM_400000_NS6detail17trampoline_kernelINS0_13select_configILj256ELj13ELNS0_17block_load_methodE3ELS4_3ELS4_3ELNS0_20block_scan_algorithmE0ELj4294967295EEENS1_25partition_config_selectorILNS1_17partition_subalgoE3EjNS0_10empty_typeEbEEZZNS1_14partition_implILS8_3ELb0ES6_jNS0_17counting_iteratorIjlEEPS9_SE_NS0_5tupleIJPjSE_EEENSF_IJSE_SE_EEES9_SG_JZNS1_25segmented_radix_sort_implINS0_14default_configELb0EPKlPlSM_SN_N2at6native12_GLOBAL__N_18offset_tEEE10hipError_tPvRmT1_PNSt15iterator_traitsISV_E10value_typeET2_T3_PNSW_IS11_E10value_typeET4_jRbjT5_S17_jjP12ihipStream_tbEUljE_EEESS_ST_SU_S11_S15_S17_T6_T7_T9_mT8_S19_bDpT10_ENKUlT_T0_E_clISt17integral_constantIbLb0EES1M_EEDaS1H_S1I_EUlS1H_E_NS1_11comp_targetILNS1_3genE2ELNS1_11target_archE906ELNS1_3gpuE6ELNS1_3repE0EEENS1_30default_config_static_selectorELNS0_4arch9wavefront6targetE0EEEvSV_
; %bb.0:
	.section	.rodata,"a",@progbits
	.p2align	6, 0x0
	.amdhsa_kernel _ZN7rocprim17ROCPRIM_400000_NS6detail17trampoline_kernelINS0_13select_configILj256ELj13ELNS0_17block_load_methodE3ELS4_3ELS4_3ELNS0_20block_scan_algorithmE0ELj4294967295EEENS1_25partition_config_selectorILNS1_17partition_subalgoE3EjNS0_10empty_typeEbEEZZNS1_14partition_implILS8_3ELb0ES6_jNS0_17counting_iteratorIjlEEPS9_SE_NS0_5tupleIJPjSE_EEENSF_IJSE_SE_EEES9_SG_JZNS1_25segmented_radix_sort_implINS0_14default_configELb0EPKlPlSM_SN_N2at6native12_GLOBAL__N_18offset_tEEE10hipError_tPvRmT1_PNSt15iterator_traitsISV_E10value_typeET2_T3_PNSW_IS11_E10value_typeET4_jRbjT5_S17_jjP12ihipStream_tbEUljE_EEESS_ST_SU_S11_S15_S17_T6_T7_T9_mT8_S19_bDpT10_ENKUlT_T0_E_clISt17integral_constantIbLb0EES1M_EEDaS1H_S1I_EUlS1H_E_NS1_11comp_targetILNS1_3genE2ELNS1_11target_archE906ELNS1_3gpuE6ELNS1_3repE0EEENS1_30default_config_static_selectorELNS0_4arch9wavefront6targetE0EEEvSV_
		.amdhsa_group_segment_fixed_size 0
		.amdhsa_private_segment_fixed_size 0
		.amdhsa_kernarg_size 144
		.amdhsa_user_sgpr_count 2
		.amdhsa_user_sgpr_dispatch_ptr 0
		.amdhsa_user_sgpr_queue_ptr 0
		.amdhsa_user_sgpr_kernarg_segment_ptr 1
		.amdhsa_user_sgpr_dispatch_id 0
		.amdhsa_user_sgpr_private_segment_size 0
		.amdhsa_wavefront_size32 1
		.amdhsa_uses_dynamic_stack 0
		.amdhsa_enable_private_segment 0
		.amdhsa_system_sgpr_workgroup_id_x 1
		.amdhsa_system_sgpr_workgroup_id_y 0
		.amdhsa_system_sgpr_workgroup_id_z 0
		.amdhsa_system_sgpr_workgroup_info 0
		.amdhsa_system_vgpr_workitem_id 0
		.amdhsa_next_free_vgpr 1
		.amdhsa_next_free_sgpr 1
		.amdhsa_reserve_vcc 0
		.amdhsa_float_round_mode_32 0
		.amdhsa_float_round_mode_16_64 0
		.amdhsa_float_denorm_mode_32 3
		.amdhsa_float_denorm_mode_16_64 3
		.amdhsa_fp16_overflow 0
		.amdhsa_workgroup_processor_mode 1
		.amdhsa_memory_ordered 1
		.amdhsa_forward_progress 1
		.amdhsa_inst_pref_size 0
		.amdhsa_round_robin_scheduling 0
		.amdhsa_exception_fp_ieee_invalid_op 0
		.amdhsa_exception_fp_denorm_src 0
		.amdhsa_exception_fp_ieee_div_zero 0
		.amdhsa_exception_fp_ieee_overflow 0
		.amdhsa_exception_fp_ieee_underflow 0
		.amdhsa_exception_fp_ieee_inexact 0
		.amdhsa_exception_int_div_zero 0
	.end_amdhsa_kernel
	.section	.text._ZN7rocprim17ROCPRIM_400000_NS6detail17trampoline_kernelINS0_13select_configILj256ELj13ELNS0_17block_load_methodE3ELS4_3ELS4_3ELNS0_20block_scan_algorithmE0ELj4294967295EEENS1_25partition_config_selectorILNS1_17partition_subalgoE3EjNS0_10empty_typeEbEEZZNS1_14partition_implILS8_3ELb0ES6_jNS0_17counting_iteratorIjlEEPS9_SE_NS0_5tupleIJPjSE_EEENSF_IJSE_SE_EEES9_SG_JZNS1_25segmented_radix_sort_implINS0_14default_configELb0EPKlPlSM_SN_N2at6native12_GLOBAL__N_18offset_tEEE10hipError_tPvRmT1_PNSt15iterator_traitsISV_E10value_typeET2_T3_PNSW_IS11_E10value_typeET4_jRbjT5_S17_jjP12ihipStream_tbEUljE_EEESS_ST_SU_S11_S15_S17_T6_T7_T9_mT8_S19_bDpT10_ENKUlT_T0_E_clISt17integral_constantIbLb0EES1M_EEDaS1H_S1I_EUlS1H_E_NS1_11comp_targetILNS1_3genE2ELNS1_11target_archE906ELNS1_3gpuE6ELNS1_3repE0EEENS1_30default_config_static_selectorELNS0_4arch9wavefront6targetE0EEEvSV_,"axG",@progbits,_ZN7rocprim17ROCPRIM_400000_NS6detail17trampoline_kernelINS0_13select_configILj256ELj13ELNS0_17block_load_methodE3ELS4_3ELS4_3ELNS0_20block_scan_algorithmE0ELj4294967295EEENS1_25partition_config_selectorILNS1_17partition_subalgoE3EjNS0_10empty_typeEbEEZZNS1_14partition_implILS8_3ELb0ES6_jNS0_17counting_iteratorIjlEEPS9_SE_NS0_5tupleIJPjSE_EEENSF_IJSE_SE_EEES9_SG_JZNS1_25segmented_radix_sort_implINS0_14default_configELb0EPKlPlSM_SN_N2at6native12_GLOBAL__N_18offset_tEEE10hipError_tPvRmT1_PNSt15iterator_traitsISV_E10value_typeET2_T3_PNSW_IS11_E10value_typeET4_jRbjT5_S17_jjP12ihipStream_tbEUljE_EEESS_ST_SU_S11_S15_S17_T6_T7_T9_mT8_S19_bDpT10_ENKUlT_T0_E_clISt17integral_constantIbLb0EES1M_EEDaS1H_S1I_EUlS1H_E_NS1_11comp_targetILNS1_3genE2ELNS1_11target_archE906ELNS1_3gpuE6ELNS1_3repE0EEENS1_30default_config_static_selectorELNS0_4arch9wavefront6targetE0EEEvSV_,comdat
.Lfunc_end779:
	.size	_ZN7rocprim17ROCPRIM_400000_NS6detail17trampoline_kernelINS0_13select_configILj256ELj13ELNS0_17block_load_methodE3ELS4_3ELS4_3ELNS0_20block_scan_algorithmE0ELj4294967295EEENS1_25partition_config_selectorILNS1_17partition_subalgoE3EjNS0_10empty_typeEbEEZZNS1_14partition_implILS8_3ELb0ES6_jNS0_17counting_iteratorIjlEEPS9_SE_NS0_5tupleIJPjSE_EEENSF_IJSE_SE_EEES9_SG_JZNS1_25segmented_radix_sort_implINS0_14default_configELb0EPKlPlSM_SN_N2at6native12_GLOBAL__N_18offset_tEEE10hipError_tPvRmT1_PNSt15iterator_traitsISV_E10value_typeET2_T3_PNSW_IS11_E10value_typeET4_jRbjT5_S17_jjP12ihipStream_tbEUljE_EEESS_ST_SU_S11_S15_S17_T6_T7_T9_mT8_S19_bDpT10_ENKUlT_T0_E_clISt17integral_constantIbLb0EES1M_EEDaS1H_S1I_EUlS1H_E_NS1_11comp_targetILNS1_3genE2ELNS1_11target_archE906ELNS1_3gpuE6ELNS1_3repE0EEENS1_30default_config_static_selectorELNS0_4arch9wavefront6targetE0EEEvSV_, .Lfunc_end779-_ZN7rocprim17ROCPRIM_400000_NS6detail17trampoline_kernelINS0_13select_configILj256ELj13ELNS0_17block_load_methodE3ELS4_3ELS4_3ELNS0_20block_scan_algorithmE0ELj4294967295EEENS1_25partition_config_selectorILNS1_17partition_subalgoE3EjNS0_10empty_typeEbEEZZNS1_14partition_implILS8_3ELb0ES6_jNS0_17counting_iteratorIjlEEPS9_SE_NS0_5tupleIJPjSE_EEENSF_IJSE_SE_EEES9_SG_JZNS1_25segmented_radix_sort_implINS0_14default_configELb0EPKlPlSM_SN_N2at6native12_GLOBAL__N_18offset_tEEE10hipError_tPvRmT1_PNSt15iterator_traitsISV_E10value_typeET2_T3_PNSW_IS11_E10value_typeET4_jRbjT5_S17_jjP12ihipStream_tbEUljE_EEESS_ST_SU_S11_S15_S17_T6_T7_T9_mT8_S19_bDpT10_ENKUlT_T0_E_clISt17integral_constantIbLb0EES1M_EEDaS1H_S1I_EUlS1H_E_NS1_11comp_targetILNS1_3genE2ELNS1_11target_archE906ELNS1_3gpuE6ELNS1_3repE0EEENS1_30default_config_static_selectorELNS0_4arch9wavefront6targetE0EEEvSV_
                                        ; -- End function
	.set _ZN7rocprim17ROCPRIM_400000_NS6detail17trampoline_kernelINS0_13select_configILj256ELj13ELNS0_17block_load_methodE3ELS4_3ELS4_3ELNS0_20block_scan_algorithmE0ELj4294967295EEENS1_25partition_config_selectorILNS1_17partition_subalgoE3EjNS0_10empty_typeEbEEZZNS1_14partition_implILS8_3ELb0ES6_jNS0_17counting_iteratorIjlEEPS9_SE_NS0_5tupleIJPjSE_EEENSF_IJSE_SE_EEES9_SG_JZNS1_25segmented_radix_sort_implINS0_14default_configELb0EPKlPlSM_SN_N2at6native12_GLOBAL__N_18offset_tEEE10hipError_tPvRmT1_PNSt15iterator_traitsISV_E10value_typeET2_T3_PNSW_IS11_E10value_typeET4_jRbjT5_S17_jjP12ihipStream_tbEUljE_EEESS_ST_SU_S11_S15_S17_T6_T7_T9_mT8_S19_bDpT10_ENKUlT_T0_E_clISt17integral_constantIbLb0EES1M_EEDaS1H_S1I_EUlS1H_E_NS1_11comp_targetILNS1_3genE2ELNS1_11target_archE906ELNS1_3gpuE6ELNS1_3repE0EEENS1_30default_config_static_selectorELNS0_4arch9wavefront6targetE0EEEvSV_.num_vgpr, 0
	.set _ZN7rocprim17ROCPRIM_400000_NS6detail17trampoline_kernelINS0_13select_configILj256ELj13ELNS0_17block_load_methodE3ELS4_3ELS4_3ELNS0_20block_scan_algorithmE0ELj4294967295EEENS1_25partition_config_selectorILNS1_17partition_subalgoE3EjNS0_10empty_typeEbEEZZNS1_14partition_implILS8_3ELb0ES6_jNS0_17counting_iteratorIjlEEPS9_SE_NS0_5tupleIJPjSE_EEENSF_IJSE_SE_EEES9_SG_JZNS1_25segmented_radix_sort_implINS0_14default_configELb0EPKlPlSM_SN_N2at6native12_GLOBAL__N_18offset_tEEE10hipError_tPvRmT1_PNSt15iterator_traitsISV_E10value_typeET2_T3_PNSW_IS11_E10value_typeET4_jRbjT5_S17_jjP12ihipStream_tbEUljE_EEESS_ST_SU_S11_S15_S17_T6_T7_T9_mT8_S19_bDpT10_ENKUlT_T0_E_clISt17integral_constantIbLb0EES1M_EEDaS1H_S1I_EUlS1H_E_NS1_11comp_targetILNS1_3genE2ELNS1_11target_archE906ELNS1_3gpuE6ELNS1_3repE0EEENS1_30default_config_static_selectorELNS0_4arch9wavefront6targetE0EEEvSV_.num_agpr, 0
	.set _ZN7rocprim17ROCPRIM_400000_NS6detail17trampoline_kernelINS0_13select_configILj256ELj13ELNS0_17block_load_methodE3ELS4_3ELS4_3ELNS0_20block_scan_algorithmE0ELj4294967295EEENS1_25partition_config_selectorILNS1_17partition_subalgoE3EjNS0_10empty_typeEbEEZZNS1_14partition_implILS8_3ELb0ES6_jNS0_17counting_iteratorIjlEEPS9_SE_NS0_5tupleIJPjSE_EEENSF_IJSE_SE_EEES9_SG_JZNS1_25segmented_radix_sort_implINS0_14default_configELb0EPKlPlSM_SN_N2at6native12_GLOBAL__N_18offset_tEEE10hipError_tPvRmT1_PNSt15iterator_traitsISV_E10value_typeET2_T3_PNSW_IS11_E10value_typeET4_jRbjT5_S17_jjP12ihipStream_tbEUljE_EEESS_ST_SU_S11_S15_S17_T6_T7_T9_mT8_S19_bDpT10_ENKUlT_T0_E_clISt17integral_constantIbLb0EES1M_EEDaS1H_S1I_EUlS1H_E_NS1_11comp_targetILNS1_3genE2ELNS1_11target_archE906ELNS1_3gpuE6ELNS1_3repE0EEENS1_30default_config_static_selectorELNS0_4arch9wavefront6targetE0EEEvSV_.numbered_sgpr, 0
	.set _ZN7rocprim17ROCPRIM_400000_NS6detail17trampoline_kernelINS0_13select_configILj256ELj13ELNS0_17block_load_methodE3ELS4_3ELS4_3ELNS0_20block_scan_algorithmE0ELj4294967295EEENS1_25partition_config_selectorILNS1_17partition_subalgoE3EjNS0_10empty_typeEbEEZZNS1_14partition_implILS8_3ELb0ES6_jNS0_17counting_iteratorIjlEEPS9_SE_NS0_5tupleIJPjSE_EEENSF_IJSE_SE_EEES9_SG_JZNS1_25segmented_radix_sort_implINS0_14default_configELb0EPKlPlSM_SN_N2at6native12_GLOBAL__N_18offset_tEEE10hipError_tPvRmT1_PNSt15iterator_traitsISV_E10value_typeET2_T3_PNSW_IS11_E10value_typeET4_jRbjT5_S17_jjP12ihipStream_tbEUljE_EEESS_ST_SU_S11_S15_S17_T6_T7_T9_mT8_S19_bDpT10_ENKUlT_T0_E_clISt17integral_constantIbLb0EES1M_EEDaS1H_S1I_EUlS1H_E_NS1_11comp_targetILNS1_3genE2ELNS1_11target_archE906ELNS1_3gpuE6ELNS1_3repE0EEENS1_30default_config_static_selectorELNS0_4arch9wavefront6targetE0EEEvSV_.num_named_barrier, 0
	.set _ZN7rocprim17ROCPRIM_400000_NS6detail17trampoline_kernelINS0_13select_configILj256ELj13ELNS0_17block_load_methodE3ELS4_3ELS4_3ELNS0_20block_scan_algorithmE0ELj4294967295EEENS1_25partition_config_selectorILNS1_17partition_subalgoE3EjNS0_10empty_typeEbEEZZNS1_14partition_implILS8_3ELb0ES6_jNS0_17counting_iteratorIjlEEPS9_SE_NS0_5tupleIJPjSE_EEENSF_IJSE_SE_EEES9_SG_JZNS1_25segmented_radix_sort_implINS0_14default_configELb0EPKlPlSM_SN_N2at6native12_GLOBAL__N_18offset_tEEE10hipError_tPvRmT1_PNSt15iterator_traitsISV_E10value_typeET2_T3_PNSW_IS11_E10value_typeET4_jRbjT5_S17_jjP12ihipStream_tbEUljE_EEESS_ST_SU_S11_S15_S17_T6_T7_T9_mT8_S19_bDpT10_ENKUlT_T0_E_clISt17integral_constantIbLb0EES1M_EEDaS1H_S1I_EUlS1H_E_NS1_11comp_targetILNS1_3genE2ELNS1_11target_archE906ELNS1_3gpuE6ELNS1_3repE0EEENS1_30default_config_static_selectorELNS0_4arch9wavefront6targetE0EEEvSV_.private_seg_size, 0
	.set _ZN7rocprim17ROCPRIM_400000_NS6detail17trampoline_kernelINS0_13select_configILj256ELj13ELNS0_17block_load_methodE3ELS4_3ELS4_3ELNS0_20block_scan_algorithmE0ELj4294967295EEENS1_25partition_config_selectorILNS1_17partition_subalgoE3EjNS0_10empty_typeEbEEZZNS1_14partition_implILS8_3ELb0ES6_jNS0_17counting_iteratorIjlEEPS9_SE_NS0_5tupleIJPjSE_EEENSF_IJSE_SE_EEES9_SG_JZNS1_25segmented_radix_sort_implINS0_14default_configELb0EPKlPlSM_SN_N2at6native12_GLOBAL__N_18offset_tEEE10hipError_tPvRmT1_PNSt15iterator_traitsISV_E10value_typeET2_T3_PNSW_IS11_E10value_typeET4_jRbjT5_S17_jjP12ihipStream_tbEUljE_EEESS_ST_SU_S11_S15_S17_T6_T7_T9_mT8_S19_bDpT10_ENKUlT_T0_E_clISt17integral_constantIbLb0EES1M_EEDaS1H_S1I_EUlS1H_E_NS1_11comp_targetILNS1_3genE2ELNS1_11target_archE906ELNS1_3gpuE6ELNS1_3repE0EEENS1_30default_config_static_selectorELNS0_4arch9wavefront6targetE0EEEvSV_.uses_vcc, 0
	.set _ZN7rocprim17ROCPRIM_400000_NS6detail17trampoline_kernelINS0_13select_configILj256ELj13ELNS0_17block_load_methodE3ELS4_3ELS4_3ELNS0_20block_scan_algorithmE0ELj4294967295EEENS1_25partition_config_selectorILNS1_17partition_subalgoE3EjNS0_10empty_typeEbEEZZNS1_14partition_implILS8_3ELb0ES6_jNS0_17counting_iteratorIjlEEPS9_SE_NS0_5tupleIJPjSE_EEENSF_IJSE_SE_EEES9_SG_JZNS1_25segmented_radix_sort_implINS0_14default_configELb0EPKlPlSM_SN_N2at6native12_GLOBAL__N_18offset_tEEE10hipError_tPvRmT1_PNSt15iterator_traitsISV_E10value_typeET2_T3_PNSW_IS11_E10value_typeET4_jRbjT5_S17_jjP12ihipStream_tbEUljE_EEESS_ST_SU_S11_S15_S17_T6_T7_T9_mT8_S19_bDpT10_ENKUlT_T0_E_clISt17integral_constantIbLb0EES1M_EEDaS1H_S1I_EUlS1H_E_NS1_11comp_targetILNS1_3genE2ELNS1_11target_archE906ELNS1_3gpuE6ELNS1_3repE0EEENS1_30default_config_static_selectorELNS0_4arch9wavefront6targetE0EEEvSV_.uses_flat_scratch, 0
	.set _ZN7rocprim17ROCPRIM_400000_NS6detail17trampoline_kernelINS0_13select_configILj256ELj13ELNS0_17block_load_methodE3ELS4_3ELS4_3ELNS0_20block_scan_algorithmE0ELj4294967295EEENS1_25partition_config_selectorILNS1_17partition_subalgoE3EjNS0_10empty_typeEbEEZZNS1_14partition_implILS8_3ELb0ES6_jNS0_17counting_iteratorIjlEEPS9_SE_NS0_5tupleIJPjSE_EEENSF_IJSE_SE_EEES9_SG_JZNS1_25segmented_radix_sort_implINS0_14default_configELb0EPKlPlSM_SN_N2at6native12_GLOBAL__N_18offset_tEEE10hipError_tPvRmT1_PNSt15iterator_traitsISV_E10value_typeET2_T3_PNSW_IS11_E10value_typeET4_jRbjT5_S17_jjP12ihipStream_tbEUljE_EEESS_ST_SU_S11_S15_S17_T6_T7_T9_mT8_S19_bDpT10_ENKUlT_T0_E_clISt17integral_constantIbLb0EES1M_EEDaS1H_S1I_EUlS1H_E_NS1_11comp_targetILNS1_3genE2ELNS1_11target_archE906ELNS1_3gpuE6ELNS1_3repE0EEENS1_30default_config_static_selectorELNS0_4arch9wavefront6targetE0EEEvSV_.has_dyn_sized_stack, 0
	.set _ZN7rocprim17ROCPRIM_400000_NS6detail17trampoline_kernelINS0_13select_configILj256ELj13ELNS0_17block_load_methodE3ELS4_3ELS4_3ELNS0_20block_scan_algorithmE0ELj4294967295EEENS1_25partition_config_selectorILNS1_17partition_subalgoE3EjNS0_10empty_typeEbEEZZNS1_14partition_implILS8_3ELb0ES6_jNS0_17counting_iteratorIjlEEPS9_SE_NS0_5tupleIJPjSE_EEENSF_IJSE_SE_EEES9_SG_JZNS1_25segmented_radix_sort_implINS0_14default_configELb0EPKlPlSM_SN_N2at6native12_GLOBAL__N_18offset_tEEE10hipError_tPvRmT1_PNSt15iterator_traitsISV_E10value_typeET2_T3_PNSW_IS11_E10value_typeET4_jRbjT5_S17_jjP12ihipStream_tbEUljE_EEESS_ST_SU_S11_S15_S17_T6_T7_T9_mT8_S19_bDpT10_ENKUlT_T0_E_clISt17integral_constantIbLb0EES1M_EEDaS1H_S1I_EUlS1H_E_NS1_11comp_targetILNS1_3genE2ELNS1_11target_archE906ELNS1_3gpuE6ELNS1_3repE0EEENS1_30default_config_static_selectorELNS0_4arch9wavefront6targetE0EEEvSV_.has_recursion, 0
	.set _ZN7rocprim17ROCPRIM_400000_NS6detail17trampoline_kernelINS0_13select_configILj256ELj13ELNS0_17block_load_methodE3ELS4_3ELS4_3ELNS0_20block_scan_algorithmE0ELj4294967295EEENS1_25partition_config_selectorILNS1_17partition_subalgoE3EjNS0_10empty_typeEbEEZZNS1_14partition_implILS8_3ELb0ES6_jNS0_17counting_iteratorIjlEEPS9_SE_NS0_5tupleIJPjSE_EEENSF_IJSE_SE_EEES9_SG_JZNS1_25segmented_radix_sort_implINS0_14default_configELb0EPKlPlSM_SN_N2at6native12_GLOBAL__N_18offset_tEEE10hipError_tPvRmT1_PNSt15iterator_traitsISV_E10value_typeET2_T3_PNSW_IS11_E10value_typeET4_jRbjT5_S17_jjP12ihipStream_tbEUljE_EEESS_ST_SU_S11_S15_S17_T6_T7_T9_mT8_S19_bDpT10_ENKUlT_T0_E_clISt17integral_constantIbLb0EES1M_EEDaS1H_S1I_EUlS1H_E_NS1_11comp_targetILNS1_3genE2ELNS1_11target_archE906ELNS1_3gpuE6ELNS1_3repE0EEENS1_30default_config_static_selectorELNS0_4arch9wavefront6targetE0EEEvSV_.has_indirect_call, 0
	.section	.AMDGPU.csdata,"",@progbits
; Kernel info:
; codeLenInByte = 0
; TotalNumSgprs: 0
; NumVgprs: 0
; ScratchSize: 0
; MemoryBound: 0
; FloatMode: 240
; IeeeMode: 1
; LDSByteSize: 0 bytes/workgroup (compile time only)
; SGPRBlocks: 0
; VGPRBlocks: 0
; NumSGPRsForWavesPerEU: 1
; NumVGPRsForWavesPerEU: 1
; Occupancy: 16
; WaveLimiterHint : 0
; COMPUTE_PGM_RSRC2:SCRATCH_EN: 0
; COMPUTE_PGM_RSRC2:USER_SGPR: 2
; COMPUTE_PGM_RSRC2:TRAP_HANDLER: 0
; COMPUTE_PGM_RSRC2:TGID_X_EN: 1
; COMPUTE_PGM_RSRC2:TGID_Y_EN: 0
; COMPUTE_PGM_RSRC2:TGID_Z_EN: 0
; COMPUTE_PGM_RSRC2:TIDIG_COMP_CNT: 0
	.section	.text._ZN7rocprim17ROCPRIM_400000_NS6detail17trampoline_kernelINS0_13select_configILj256ELj13ELNS0_17block_load_methodE3ELS4_3ELS4_3ELNS0_20block_scan_algorithmE0ELj4294967295EEENS1_25partition_config_selectorILNS1_17partition_subalgoE3EjNS0_10empty_typeEbEEZZNS1_14partition_implILS8_3ELb0ES6_jNS0_17counting_iteratorIjlEEPS9_SE_NS0_5tupleIJPjSE_EEENSF_IJSE_SE_EEES9_SG_JZNS1_25segmented_radix_sort_implINS0_14default_configELb0EPKlPlSM_SN_N2at6native12_GLOBAL__N_18offset_tEEE10hipError_tPvRmT1_PNSt15iterator_traitsISV_E10value_typeET2_T3_PNSW_IS11_E10value_typeET4_jRbjT5_S17_jjP12ihipStream_tbEUljE_EEESS_ST_SU_S11_S15_S17_T6_T7_T9_mT8_S19_bDpT10_ENKUlT_T0_E_clISt17integral_constantIbLb0EES1M_EEDaS1H_S1I_EUlS1H_E_NS1_11comp_targetILNS1_3genE10ELNS1_11target_archE1200ELNS1_3gpuE4ELNS1_3repE0EEENS1_30default_config_static_selectorELNS0_4arch9wavefront6targetE0EEEvSV_,"axG",@progbits,_ZN7rocprim17ROCPRIM_400000_NS6detail17trampoline_kernelINS0_13select_configILj256ELj13ELNS0_17block_load_methodE3ELS4_3ELS4_3ELNS0_20block_scan_algorithmE0ELj4294967295EEENS1_25partition_config_selectorILNS1_17partition_subalgoE3EjNS0_10empty_typeEbEEZZNS1_14partition_implILS8_3ELb0ES6_jNS0_17counting_iteratorIjlEEPS9_SE_NS0_5tupleIJPjSE_EEENSF_IJSE_SE_EEES9_SG_JZNS1_25segmented_radix_sort_implINS0_14default_configELb0EPKlPlSM_SN_N2at6native12_GLOBAL__N_18offset_tEEE10hipError_tPvRmT1_PNSt15iterator_traitsISV_E10value_typeET2_T3_PNSW_IS11_E10value_typeET4_jRbjT5_S17_jjP12ihipStream_tbEUljE_EEESS_ST_SU_S11_S15_S17_T6_T7_T9_mT8_S19_bDpT10_ENKUlT_T0_E_clISt17integral_constantIbLb0EES1M_EEDaS1H_S1I_EUlS1H_E_NS1_11comp_targetILNS1_3genE10ELNS1_11target_archE1200ELNS1_3gpuE4ELNS1_3repE0EEENS1_30default_config_static_selectorELNS0_4arch9wavefront6targetE0EEEvSV_,comdat
	.globl	_ZN7rocprim17ROCPRIM_400000_NS6detail17trampoline_kernelINS0_13select_configILj256ELj13ELNS0_17block_load_methodE3ELS4_3ELS4_3ELNS0_20block_scan_algorithmE0ELj4294967295EEENS1_25partition_config_selectorILNS1_17partition_subalgoE3EjNS0_10empty_typeEbEEZZNS1_14partition_implILS8_3ELb0ES6_jNS0_17counting_iteratorIjlEEPS9_SE_NS0_5tupleIJPjSE_EEENSF_IJSE_SE_EEES9_SG_JZNS1_25segmented_radix_sort_implINS0_14default_configELb0EPKlPlSM_SN_N2at6native12_GLOBAL__N_18offset_tEEE10hipError_tPvRmT1_PNSt15iterator_traitsISV_E10value_typeET2_T3_PNSW_IS11_E10value_typeET4_jRbjT5_S17_jjP12ihipStream_tbEUljE_EEESS_ST_SU_S11_S15_S17_T6_T7_T9_mT8_S19_bDpT10_ENKUlT_T0_E_clISt17integral_constantIbLb0EES1M_EEDaS1H_S1I_EUlS1H_E_NS1_11comp_targetILNS1_3genE10ELNS1_11target_archE1200ELNS1_3gpuE4ELNS1_3repE0EEENS1_30default_config_static_selectorELNS0_4arch9wavefront6targetE0EEEvSV_ ; -- Begin function _ZN7rocprim17ROCPRIM_400000_NS6detail17trampoline_kernelINS0_13select_configILj256ELj13ELNS0_17block_load_methodE3ELS4_3ELS4_3ELNS0_20block_scan_algorithmE0ELj4294967295EEENS1_25partition_config_selectorILNS1_17partition_subalgoE3EjNS0_10empty_typeEbEEZZNS1_14partition_implILS8_3ELb0ES6_jNS0_17counting_iteratorIjlEEPS9_SE_NS0_5tupleIJPjSE_EEENSF_IJSE_SE_EEES9_SG_JZNS1_25segmented_radix_sort_implINS0_14default_configELb0EPKlPlSM_SN_N2at6native12_GLOBAL__N_18offset_tEEE10hipError_tPvRmT1_PNSt15iterator_traitsISV_E10value_typeET2_T3_PNSW_IS11_E10value_typeET4_jRbjT5_S17_jjP12ihipStream_tbEUljE_EEESS_ST_SU_S11_S15_S17_T6_T7_T9_mT8_S19_bDpT10_ENKUlT_T0_E_clISt17integral_constantIbLb0EES1M_EEDaS1H_S1I_EUlS1H_E_NS1_11comp_targetILNS1_3genE10ELNS1_11target_archE1200ELNS1_3gpuE4ELNS1_3repE0EEENS1_30default_config_static_selectorELNS0_4arch9wavefront6targetE0EEEvSV_
	.p2align	8
	.type	_ZN7rocprim17ROCPRIM_400000_NS6detail17trampoline_kernelINS0_13select_configILj256ELj13ELNS0_17block_load_methodE3ELS4_3ELS4_3ELNS0_20block_scan_algorithmE0ELj4294967295EEENS1_25partition_config_selectorILNS1_17partition_subalgoE3EjNS0_10empty_typeEbEEZZNS1_14partition_implILS8_3ELb0ES6_jNS0_17counting_iteratorIjlEEPS9_SE_NS0_5tupleIJPjSE_EEENSF_IJSE_SE_EEES9_SG_JZNS1_25segmented_radix_sort_implINS0_14default_configELb0EPKlPlSM_SN_N2at6native12_GLOBAL__N_18offset_tEEE10hipError_tPvRmT1_PNSt15iterator_traitsISV_E10value_typeET2_T3_PNSW_IS11_E10value_typeET4_jRbjT5_S17_jjP12ihipStream_tbEUljE_EEESS_ST_SU_S11_S15_S17_T6_T7_T9_mT8_S19_bDpT10_ENKUlT_T0_E_clISt17integral_constantIbLb0EES1M_EEDaS1H_S1I_EUlS1H_E_NS1_11comp_targetILNS1_3genE10ELNS1_11target_archE1200ELNS1_3gpuE4ELNS1_3repE0EEENS1_30default_config_static_selectorELNS0_4arch9wavefront6targetE0EEEvSV_,@function
_ZN7rocprim17ROCPRIM_400000_NS6detail17trampoline_kernelINS0_13select_configILj256ELj13ELNS0_17block_load_methodE3ELS4_3ELS4_3ELNS0_20block_scan_algorithmE0ELj4294967295EEENS1_25partition_config_selectorILNS1_17partition_subalgoE3EjNS0_10empty_typeEbEEZZNS1_14partition_implILS8_3ELb0ES6_jNS0_17counting_iteratorIjlEEPS9_SE_NS0_5tupleIJPjSE_EEENSF_IJSE_SE_EEES9_SG_JZNS1_25segmented_radix_sort_implINS0_14default_configELb0EPKlPlSM_SN_N2at6native12_GLOBAL__N_18offset_tEEE10hipError_tPvRmT1_PNSt15iterator_traitsISV_E10value_typeET2_T3_PNSW_IS11_E10value_typeET4_jRbjT5_S17_jjP12ihipStream_tbEUljE_EEESS_ST_SU_S11_S15_S17_T6_T7_T9_mT8_S19_bDpT10_ENKUlT_T0_E_clISt17integral_constantIbLb0EES1M_EEDaS1H_S1I_EUlS1H_E_NS1_11comp_targetILNS1_3genE10ELNS1_11target_archE1200ELNS1_3gpuE4ELNS1_3repE0EEENS1_30default_config_static_selectorELNS0_4arch9wavefront6targetE0EEEvSV_: ; @_ZN7rocprim17ROCPRIM_400000_NS6detail17trampoline_kernelINS0_13select_configILj256ELj13ELNS0_17block_load_methodE3ELS4_3ELS4_3ELNS0_20block_scan_algorithmE0ELj4294967295EEENS1_25partition_config_selectorILNS1_17partition_subalgoE3EjNS0_10empty_typeEbEEZZNS1_14partition_implILS8_3ELb0ES6_jNS0_17counting_iteratorIjlEEPS9_SE_NS0_5tupleIJPjSE_EEENSF_IJSE_SE_EEES9_SG_JZNS1_25segmented_radix_sort_implINS0_14default_configELb0EPKlPlSM_SN_N2at6native12_GLOBAL__N_18offset_tEEE10hipError_tPvRmT1_PNSt15iterator_traitsISV_E10value_typeET2_T3_PNSW_IS11_E10value_typeET4_jRbjT5_S17_jjP12ihipStream_tbEUljE_EEESS_ST_SU_S11_S15_S17_T6_T7_T9_mT8_S19_bDpT10_ENKUlT_T0_E_clISt17integral_constantIbLb0EES1M_EEDaS1H_S1I_EUlS1H_E_NS1_11comp_targetILNS1_3genE10ELNS1_11target_archE1200ELNS1_3gpuE4ELNS1_3repE0EEENS1_30default_config_static_selectorELNS0_4arch9wavefront6targetE0EEEvSV_
; %bb.0:
	s_clause 0x6
	s_load_b32 s2, s[0:1], 0x70
	s_load_b128 s[8:11], s[0:1], 0x48
	s_load_b64 s[12:13], s[0:1], 0x10
	s_load_b64 s[14:15], s[0:1], 0x58
	s_load_b32 s20, s[0:1], 0x8
	s_load_b32 s3, s[0:1], 0x88
	s_load_b128 s[4:7], s[0:1], 0x78
	s_mov_b32 s17, 0
	v_lshlrev_b32_e32 v42, 2, v0
	s_wait_kmcnt 0x0
	s_mul_i32 s16, s2, 0xd00
	s_load_b64 s[18:19], s[10:11], 0x0
	s_add_co_i32 s10, s16, s12
	s_add_co_i32 s2, s2, -1
	s_sub_co_i32 s23, s14, s10
	s_add_nc_u64 s[10:11], s[12:13], s[16:17]
	s_addk_co_i32 s23, 0xd00
	s_cmp_eq_u32 ttmp9, s2
	s_mul_i32 s16, ttmp9, 0xd00
	s_cselect_b32 s22, -1, 0
	s_cmp_lg_u32 ttmp9, s2
	v_cmp_gt_u64_e64 s10, s[14:15], s[10:11]
	s_cselect_b32 s2, -1, 0
	s_add_co_i32 s11, s20, s16
	s_mov_b32 s17, -1
	s_wait_alu 0xfffe
	s_add_co_i32 s11, s11, s12
	s_wait_alu 0xfffe
	v_add_nc_u32_e32 v1, s11, v0
	s_or_b32 s10, s2, s10
	s_wait_alu 0xfffe
	s_and_b32 vcc_lo, exec_lo, s10
	s_cbranch_vccz .LBB780_2
; %bb.1:
	v_add_nc_u32_e32 v2, 0x100, v1
	v_add_nc_u32_e32 v3, 0x200, v1
	;; [unrolled: 1-line block ×12, first 2 shown]
	ds_store_2addr_stride64_b32 v42, v1, v2 offset1:4
	ds_store_2addr_stride64_b32 v42, v3, v4 offset0:8 offset1:12
	ds_store_2addr_stride64_b32 v42, v5, v6 offset0:16 offset1:20
	;; [unrolled: 1-line block ×5, first 2 shown]
	ds_store_b32 v42, v13 offset:12288
	s_wait_dscnt 0x0
	s_barrier_signal -1
	s_mov_b32 s17, 0
	s_barrier_wait -1
.LBB780_2:
	v_cmp_gt_u32_e64 s2, s23, v0
	v_or_b32_e32 v41, 0x100, v0
	v_or_b32_e32 v40, 0x200, v0
	;; [unrolled: 1-line block ×12, first 2 shown]
	s_and_not1_b32 vcc_lo, exec_lo, s17
	s_cbranch_vccnz .LBB780_4
; %bb.3:
	v_cmp_gt_u32_e32 vcc_lo, s23, v41
	v_add_nc_u32_e32 v3, s11, v40
	v_add_nc_u32_e32 v2, s11, v41
	v_cndmask_b32_e64 v1, 0, v1, s2
	s_delay_alu instid0(VALU_DEP_2)
	v_cndmask_b32_e32 v2, 0, v2, vcc_lo
	v_cmp_gt_u32_e32 vcc_lo, s23, v40
	s_wait_alu 0xfffd
	v_cndmask_b32_e32 v3, 0, v3, vcc_lo
	v_cmp_gt_u32_e32 vcc_lo, s23, v39
	v_add_nc_u32_e32 v5, s11, v38
	v_add_nc_u32_e32 v4, s11, v39
	s_wait_alu 0xfffd
	s_delay_alu instid0(VALU_DEP_1)
	v_cndmask_b32_e32 v4, 0, v4, vcc_lo
	v_cmp_gt_u32_e32 vcc_lo, s23, v38
	s_wait_alu 0xfffd
	v_cndmask_b32_e32 v5, 0, v5, vcc_lo
	v_cmp_gt_u32_e32 vcc_lo, s23, v37
	v_add_nc_u32_e32 v7, s11, v36
	v_add_nc_u32_e32 v6, s11, v37
	s_wait_alu 0xfffd
	s_delay_alu instid0(VALU_DEP_1)
	;; [unrolled: 9-line block ×5, first 2 shown]
	v_cndmask_b32_e32 v12, 0, v12, vcc_lo
	v_cmp_gt_u32_e32 vcc_lo, s23, v30
	s_wait_alu 0xfffd
	v_cndmask_b32_e32 v13, 0, v13, vcc_lo
	ds_store_2addr_stride64_b32 v42, v1, v2 offset1:4
	ds_store_2addr_stride64_b32 v42, v3, v4 offset0:8 offset1:12
	ds_store_2addr_stride64_b32 v42, v5, v6 offset0:16 offset1:20
	;; [unrolled: 1-line block ×5, first 2 shown]
	ds_store_b32 v42, v13 offset:12288
	s_wait_dscnt 0x0
	s_barrier_signal -1
	s_barrier_wait -1
.LBB780_4:
	v_mul_u32_u24_e32 v45, 13, v0
	global_inv scope:SCOPE_SE
	v_cndmask_b32_e64 v43, 0, 1, s10
	s_and_not1_b32 vcc_lo, exec_lo, s10
	v_lshlrev_b32_e32 v1, 2, v45
	ds_load_2addr_b32 v[26:27], v1 offset0:2 offset1:3
	ds_load_2addr_b32 v[22:23], v1 offset0:6 offset1:7
	;; [unrolled: 1-line block ×3, first 2 shown]
	ds_load_2addr_b32 v[28:29], v1 offset1:1
	ds_load_2addr_b32 v[18:19], v1 offset0:10 offset1:11
	ds_load_b32 v44, v1 offset:48
	ds_load_2addr_b32 v[20:21], v1 offset0:8 offset1:9
	s_wait_loadcnt_dscnt 0x0
	s_barrier_signal -1
	s_barrier_wait -1
	global_inv scope:SCOPE_SE
	s_wait_alu 0xfffe
	s_cbranch_vccnz .LBB780_6
; %bb.5:
	v_add_nc_u32_e32 v1, s5, v27
	v_add_nc_u32_e32 v2, s7, v27
	;; [unrolled: 1-line block ×5, first 2 shown]
	v_mul_lo_u32 v1, v1, s4
	v_mul_lo_u32 v2, v2, s6
	v_add_nc_u32_e32 v8, s7, v26
	v_add_nc_u32_e32 v3, s5, v29
	;; [unrolled: 1-line block ×3, first 2 shown]
	v_mul_lo_u32 v5, v5, s4
	v_mul_lo_u32 v4, v4, s4
	v_add_nc_u32_e32 v9, s5, v24
	v_mul_lo_u32 v3, v3, s4
	v_sub_nc_u32_e32 v1, v1, v2
	v_mul_lo_u32 v2, v7, s6
	v_mul_lo_u32 v7, v8, s6
	;; [unrolled: 1-line block ×3, first 2 shown]
	v_add_nc_u32_e32 v8, s5, v25
	v_add_nc_u32_e32 v10, s7, v24
	v_mul_lo_u32 v9, v9, s4
	v_cmp_lt_u32_e32 vcc_lo, s3, v1
	v_add_nc_u32_e32 v14, s7, v19
	v_sub_nc_u32_e32 v2, v4, v2
	v_sub_nc_u32_e32 v4, v5, v7
	v_add_nc_u32_e32 v5, s7, v25
	v_sub_nc_u32_e32 v3, v3, v6
	v_add_nc_u32_e32 v6, s5, v23
	v_add_nc_u32_e32 v7, s7, v23
	v_mul_lo_u32 v8, v8, s4
	v_mul_lo_u32 v5, v5, s6
	;; [unrolled: 1-line block ×5, first 2 shown]
	s_wait_alu 0xfffd
	v_cndmask_b32_e64 v1, 0, 1, vcc_lo
	v_cmp_lt_u32_e32 vcc_lo, s3, v3
	v_mul_lo_u32 v14, v14, s6
	v_add_nc_u32_e32 v15, s7, v21
	v_sub_nc_u32_e32 v5, v8, v5
	v_add_nc_u32_e32 v8, s7, v22
	s_wait_alu 0xfffd
	v_cndmask_b32_e64 v3, 0, 1, vcc_lo
	v_sub_nc_u32_e32 v6, v6, v7
	v_mul_lo_u32 v15, v15, s6
	v_cmp_lt_u32_e32 vcc_lo, s3, v5
	v_mul_lo_u32 v7, v8, s6
	v_sub_nc_u32_e32 v8, v9, v10
	v_add_nc_u32_e32 v9, s5, v19
	v_add_nc_u32_e32 v10, s5, v21
	s_wait_alu 0xfffd
	v_cndmask_b32_e64 v5, 0, 1, vcc_lo
	v_cmp_lt_u32_e32 vcc_lo, s3, v6
	v_add_nc_u32_e32 v11, s5, v22
	v_mul_lo_u32 v9, v9, s4
	v_mul_lo_u32 v10, v10, s4
	v_add_nc_u32_e32 v12, s5, v20
	s_wait_alu 0xfffd
	v_cndmask_b32_e64 v6, 0, 1, vcc_lo
	v_mul_lo_u32 v11, v11, s4
	v_add_nc_u32_e32 v16, s7, v20
	v_lshlrev_b16 v3, 8, v3
	v_add_nc_u32_e32 v13, s5, v18
	v_sub_nc_u32_e32 v9, v9, v14
	v_sub_nc_u32_e32 v10, v10, v15
	v_add_nc_u32_e32 v17, s7, v18
	v_mul_lo_u32 v12, v12, s4
	v_mul_lo_u32 v16, v16, s6
	v_cmp_lt_u32_e32 vcc_lo, s3, v9
	v_sub_nc_u32_e32 v7, v11, v7
	v_lshrrev_b32_e32 v3, 8, v3
	v_mul_lo_u32 v11, v13, s4
	v_mul_lo_u32 v13, v17, s6
	s_wait_alu 0xfffd
	v_cndmask_b32_e64 v9, 0, 1, vcc_lo
	v_cmp_lt_u32_e32 vcc_lo, s3, v2
	v_sub_nc_u32_e32 v12, v12, v16
	v_lshlrev_b16 v3, 8, v3
	v_lshlrev_b16 v1, 8, v1
	;; [unrolled: 1-line block ×3, first 2 shown]
	s_wait_alu 0xfffd
	v_cndmask_b32_e64 v2, 0, 1, vcc_lo
	v_cmp_lt_u32_e32 vcc_lo, s3, v10
	v_sub_nc_u32_e32 v11, v11, v13
	v_add_nc_u32_e32 v14, s5, v44
	v_add_nc_u32_e32 v15, s7, v44
	v_or_b32_e32 v2, v2, v3
	s_wait_alu 0xfffd
	v_cndmask_b32_e64 v10, 0, 1, vcc_lo
	v_cmp_lt_u32_e32 vcc_lo, s3, v4
	v_lshlrev_b16 v3, 8, v9
	v_lshrrev_b32_e32 v5, 8, v5
	v_lshrrev_b32_e32 v1, 8, v1
	v_lshlrev_b16 v9, 8, v10
	s_wait_alu 0xfffd
	v_cndmask_b32_e64 v4, 0, 1, vcc_lo
	v_cmp_lt_u32_e32 vcc_lo, s3, v8
	v_lshrrev_b32_e32 v3, 8, v3
	v_mul_lo_u32 v14, v14, s4
	v_lshrrev_b32_e32 v9, 8, v9
	v_mul_lo_u32 v15, v15, s6
	s_wait_alu 0xfffd
	v_cndmask_b32_e64 v8, 0, 1, vcc_lo
	v_cmp_lt_u32_e32 vcc_lo, s3, v7
	v_lshlrev_b16 v6, 8, v6
	v_lshlrev_b16 v1, 8, v1
	;; [unrolled: 1-line block ×4, first 2 shown]
	s_wait_alu 0xfffd
	v_cndmask_b32_e64 v7, 0, 1, vcc_lo
	v_cmp_lt_u32_e32 vcc_lo, s3, v12
	v_lshlrev_b16 v3, 8, v3
	v_sub_nc_u32_e32 v10, v14, v15
	v_or_b32_e32 v1, v4, v1
	v_or_b32_e32 v4, v8, v5
	s_wait_alu 0xfffd
	v_cndmask_b32_e64 v12, 0, 1, vcc_lo
	v_cmp_lt_u32_e32 vcc_lo, s3, v11
	v_or_b32_e32 v5, v7, v6
	v_and_b32_e32 v2, 0xffff, v2
	v_lshlrev_b32_e32 v1, 16, v1
	v_or_b32_e32 v6, v12, v9
	s_wait_alu 0xfffd
	v_cndmask_b32_e64 v11, 0, 1, vcc_lo
	v_and_b32_e32 v4, 0xffff, v4
	v_lshlrev_b32_e32 v5, 16, v5
	v_cmp_lt_u32_e32 vcc_lo, s3, v10
	v_and_b32_e32 v6, 0xffff, v6
	v_or_b32_e32 v3, v11, v3
	v_or_b32_e32 v51, v2, v1
	;; [unrolled: 1-line block ×3, first 2 shown]
	s_wait_alu 0xfffd
	v_cndmask_b32_e64 v46, 0, 1, vcc_lo
	v_lshlrev_b32_e32 v3, 16, v3
	s_delay_alu instid0(VALU_DEP_1)
	v_or_b32_e32 v47, v6, v3
	s_clause 0x1
	s_load_b64 s[10:11], s[0:1], 0x28
	s_load_b64 s[20:21], s[0:1], 0x68
	s_cbranch_execz .LBB780_7
	s_branch .LBB780_34
.LBB780_6:
                                        ; implicit-def: $vgpr46
                                        ; implicit-def: $vgpr47
                                        ; implicit-def: $vgpr49
                                        ; implicit-def: $vgpr51
	s_clause 0x1
	s_load_b64 s[10:11], s[0:1], 0x28
	s_load_b64 s[20:21], s[0:1], 0x68
.LBB780_7:
	v_dual_mov_b32 v2, 0 :: v_dual_mov_b32 v1, 0
	s_mov_b32 s0, exec_lo
	v_cmpx_gt_u32_e64 s23, v45
	s_cbranch_execz .LBB780_9
; %bb.8:
	v_add_nc_u32_e32 v1, s5, v28
	v_add_nc_u32_e32 v3, s7, v28
	s_delay_alu instid0(VALU_DEP_2) | instskip(NEXT) | instid1(VALU_DEP_2)
	v_mul_lo_u32 v1, v1, s4
	v_mul_lo_u32 v3, v3, s6
	s_delay_alu instid0(VALU_DEP_1) | instskip(NEXT) | instid1(VALU_DEP_1)
	v_sub_nc_u32_e32 v1, v1, v3
	v_cmp_lt_u32_e32 vcc_lo, s3, v1
	s_wait_alu 0xfffd
	v_cndmask_b32_e64 v1, 0, 1, vcc_lo
.LBB780_9:
	s_or_b32 exec_lo, exec_lo, s0
	v_add_nc_u32_e32 v3, 1, v45
	s_mov_b32 s0, exec_lo
	s_delay_alu instid0(VALU_DEP_1)
	v_cmpx_gt_u32_e64 s23, v3
	s_cbranch_execz .LBB780_11
; %bb.10:
	v_add_nc_u32_e32 v2, s5, v29
	v_add_nc_u32_e32 v3, s7, v29
	s_delay_alu instid0(VALU_DEP_2) | instskip(NEXT) | instid1(VALU_DEP_2)
	v_mul_lo_u32 v2, v2, s4
	v_mul_lo_u32 v3, v3, s6
	s_delay_alu instid0(VALU_DEP_1) | instskip(NEXT) | instid1(VALU_DEP_1)
	v_sub_nc_u32_e32 v2, v2, v3
	v_cmp_lt_u32_e32 vcc_lo, s3, v2
	s_wait_alu 0xfffd
	v_cndmask_b32_e64 v2, 0, 1, vcc_lo
.LBB780_11:
	s_or_b32 exec_lo, exec_lo, s0
	v_dual_mov_b32 v4, 0 :: v_dual_add_nc_u32 v3, 2, v45
	s_delay_alu instid0(VALU_DEP_1)
	v_cmp_gt_u32_e32 vcc_lo, s23, v3
	v_mov_b32_e32 v3, 0
	s_and_saveexec_b32 s0, vcc_lo
	s_cbranch_execz .LBB780_13
; %bb.12:
	v_add_nc_u32_e32 v3, s5, v26
	v_add_nc_u32_e32 v5, s7, v26
	s_delay_alu instid0(VALU_DEP_2) | instskip(NEXT) | instid1(VALU_DEP_2)
	v_mul_lo_u32 v3, v3, s4
	v_mul_lo_u32 v5, v5, s6
	s_delay_alu instid0(VALU_DEP_1) | instskip(NEXT) | instid1(VALU_DEP_1)
	v_sub_nc_u32_e32 v3, v3, v5
	v_cmp_lt_u32_e32 vcc_lo, s3, v3
	s_wait_alu 0xfffd
	v_cndmask_b32_e64 v3, 0, 1, vcc_lo
.LBB780_13:
	s_or_b32 exec_lo, exec_lo, s0
	v_add_nc_u32_e32 v5, 3, v45
	s_mov_b32 s0, exec_lo
	s_delay_alu instid0(VALU_DEP_1)
	v_cmpx_gt_u32_e64 s23, v5
	s_cbranch_execz .LBB780_15
; %bb.14:
	v_add_nc_u32_e32 v4, s5, v27
	v_add_nc_u32_e32 v5, s7, v27
	s_delay_alu instid0(VALU_DEP_2) | instskip(NEXT) | instid1(VALU_DEP_2)
	v_mul_lo_u32 v4, v4, s4
	v_mul_lo_u32 v5, v5, s6
	s_delay_alu instid0(VALU_DEP_1) | instskip(NEXT) | instid1(VALU_DEP_1)
	v_sub_nc_u32_e32 v4, v4, v5
	v_cmp_lt_u32_e32 vcc_lo, s3, v4
	s_wait_alu 0xfffd
	v_cndmask_b32_e64 v4, 0, 1, vcc_lo
.LBB780_15:
	s_or_b32 exec_lo, exec_lo, s0
	v_dual_mov_b32 v6, 0 :: v_dual_add_nc_u32 v5, 4, v45
	s_delay_alu instid0(VALU_DEP_1)
	v_cmp_gt_u32_e32 vcc_lo, s23, v5
	v_mov_b32_e32 v5, 0
	s_and_saveexec_b32 s0, vcc_lo
	;; [unrolled: 37-line block ×5, first 2 shown]
	s_cbranch_execz .LBB780_29
; %bb.28:
	v_add_nc_u32_e32 v11, s5, v18
	v_add_nc_u32_e32 v13, s7, v18
	s_delay_alu instid0(VALU_DEP_2) | instskip(NEXT) | instid1(VALU_DEP_2)
	v_mul_lo_u32 v11, v11, s4
	v_mul_lo_u32 v13, v13, s6
	s_delay_alu instid0(VALU_DEP_1) | instskip(NEXT) | instid1(VALU_DEP_1)
	v_sub_nc_u32_e32 v11, v11, v13
	v_cmp_lt_u32_e32 vcc_lo, s3, v11
	s_wait_alu 0xfffd
	v_cndmask_b32_e64 v11, 0, 1, vcc_lo
.LBB780_29:
	s_or_b32 exec_lo, exec_lo, s0
	v_add_nc_u32_e32 v13, 11, v45
	s_mov_b32 s0, exec_lo
	s_delay_alu instid0(VALU_DEP_1)
	v_cmpx_gt_u32_e64 s23, v13
	s_cbranch_execz .LBB780_31
; %bb.30:
	v_add_nc_u32_e32 v12, s5, v19
	v_add_nc_u32_e32 v13, s7, v19
	s_delay_alu instid0(VALU_DEP_2) | instskip(NEXT) | instid1(VALU_DEP_2)
	v_mul_lo_u32 v12, v12, s4
	v_mul_lo_u32 v13, v13, s6
	s_delay_alu instid0(VALU_DEP_1) | instskip(NEXT) | instid1(VALU_DEP_1)
	v_sub_nc_u32_e32 v12, v12, v13
	v_cmp_lt_u32_e32 vcc_lo, s3, v12
	s_wait_alu 0xfffd
	v_cndmask_b32_e64 v12, 0, 1, vcc_lo
.LBB780_31:
	s_or_b32 exec_lo, exec_lo, s0
	v_dual_mov_b32 v46, 0 :: v_dual_add_nc_u32 v13, 12, v45
	s_mov_b32 s0, exec_lo
	s_delay_alu instid0(VALU_DEP_1)
	v_cmpx_gt_u32_e64 s23, v13
	s_cbranch_execz .LBB780_33
; %bb.32:
	v_add_nc_u32_e32 v13, s5, v44
	v_add_nc_u32_e32 v14, s7, v44
	s_delay_alu instid0(VALU_DEP_2) | instskip(NEXT) | instid1(VALU_DEP_2)
	v_mul_lo_u32 v13, v13, s4
	v_mul_lo_u32 v14, v14, s6
	s_delay_alu instid0(VALU_DEP_1) | instskip(NEXT) | instid1(VALU_DEP_1)
	v_sub_nc_u32_e32 v13, v13, v14
	v_cmp_lt_u32_e32 vcc_lo, s3, v13
	s_wait_alu 0xfffd
	v_cndmask_b32_e64 v46, 0, 1, vcc_lo
.LBB780_33:
	s_or_b32 exec_lo, exec_lo, s0
	v_lshlrev_b16 v2, 8, v2
	v_lshlrev_b16 v4, 8, v4
	;; [unrolled: 1-line block ×5, first 2 shown]
	v_or_b32_e32 v1, v1, v2
	v_lshlrev_b16 v2, 8, v12
	v_or_b32_e32 v3, v3, v4
	v_or_b32_e32 v4, v5, v6
	;; [unrolled: 1-line block ×5, first 2 shown]
	v_and_b32_e32 v1, 0xffff, v1
	v_lshlrev_b32_e32 v3, 16, v3
	v_and_b32_e32 v4, 0xffff, v4
	v_lshlrev_b32_e32 v5, 16, v5
	;; [unrolled: 2-line block ×3, first 2 shown]
	v_or_b32_e32 v51, v1, v3
	s_delay_alu instid0(VALU_DEP_4) | instskip(NEXT) | instid1(VALU_DEP_3)
	v_or_b32_e32 v49, v4, v5
	v_or_b32_e32 v47, v6, v2
.LBB780_34:
	s_delay_alu instid0(VALU_DEP_3)
	v_and_b32_e32 v53, 0xff, v51
	v_bfe_u32 v54, v51, 8, 8
	v_bfe_u32 v55, v51, 16, 8
	v_lshrrev_b32_e32 v52, 24, v51
	v_and_b32_e32 v56, 0xff, v49
	v_bfe_u32 v57, v49, 8, 8
	v_bfe_u32 v58, v49, 16, 8
	v_add3_u32 v1, v54, v53, v55
	v_lshrrev_b32_e32 v50, 24, v49
	v_and_b32_e32 v59, 0xff, v47
	v_bfe_u32 v60, v47, 8, 8
	v_mbcnt_lo_u32_b32 v62, -1, 0
	v_add3_u32 v1, v1, v52, v56
	v_bfe_u32 v61, v47, 16, 8
	v_lshrrev_b32_e32 v48, 24, v47
	v_and_b32_e32 v2, 0xff, v46
	v_and_b32_e32 v3, 15, v62
	v_add3_u32 v1, v1, v57, v58
	v_or_b32_e32 v4, 31, v0
	v_and_b32_e32 v5, 16, v62
	v_lshrrev_b32_e32 v63, 5, v0
	v_cmp_eq_u32_e64 s5, 0, v3
	v_add3_u32 v1, v1, v50, v59
	v_cmp_lt_u32_e64 s4, 1, v3
	v_cmp_lt_u32_e64 s3, 3, v3
	;; [unrolled: 1-line block ×3, first 2 shown]
	v_cmp_eq_u32_e64 s1, 0, v5
	v_add3_u32 v1, v1, v60, v61
	v_cmp_eq_u32_e64 s0, v0, v4
	s_cmp_lg_u32 ttmp9, 0
	s_mov_b32 s6, -1
	v_add3_u32 v64, v1, v48, v2
	s_cbranch_scc0 .LBB780_55
; %bb.35:
	s_delay_alu instid0(VALU_DEP_1) | instskip(SKIP_1) | instid1(VALU_DEP_1)
	v_mov_b32_dpp v1, v64 row_shr:1 row_mask:0xf bank_mask:0xf
	s_wait_alu 0xf1ff
	v_cndmask_b32_e64 v1, v1, 0, s5
	s_delay_alu instid0(VALU_DEP_1) | instskip(NEXT) | instid1(VALU_DEP_1)
	v_add_nc_u32_e32 v1, v1, v64
	v_mov_b32_dpp v2, v1 row_shr:2 row_mask:0xf bank_mask:0xf
	s_delay_alu instid0(VALU_DEP_1) | instskip(NEXT) | instid1(VALU_DEP_1)
	v_cndmask_b32_e64 v2, 0, v2, s4
	v_add_nc_u32_e32 v1, v1, v2
	s_delay_alu instid0(VALU_DEP_1) | instskip(NEXT) | instid1(VALU_DEP_1)
	v_mov_b32_dpp v2, v1 row_shr:4 row_mask:0xf bank_mask:0xf
	v_cndmask_b32_e64 v2, 0, v2, s3
	s_delay_alu instid0(VALU_DEP_1) | instskip(NEXT) | instid1(VALU_DEP_1)
	v_add_nc_u32_e32 v1, v1, v2
	v_mov_b32_dpp v2, v1 row_shr:8 row_mask:0xf bank_mask:0xf
	s_delay_alu instid0(VALU_DEP_1) | instskip(NEXT) | instid1(VALU_DEP_1)
	v_cndmask_b32_e64 v2, 0, v2, s2
	v_add_nc_u32_e32 v1, v1, v2
	ds_swizzle_b32 v2, v1 offset:swizzle(BROADCAST,32,15)
	s_wait_dscnt 0x0
	v_cndmask_b32_e64 v2, v2, 0, s1
	s_delay_alu instid0(VALU_DEP_1)
	v_add_nc_u32_e32 v1, v1, v2
	s_and_saveexec_b32 s6, s0
; %bb.36:
	v_lshlrev_b32_e32 v2, 2, v63
	ds_store_b32 v2, v1
; %bb.37:
	s_wait_alu 0xfffe
	s_or_b32 exec_lo, exec_lo, s6
	s_delay_alu instid0(SALU_CYCLE_1)
	s_mov_b32 s6, exec_lo
	s_wait_loadcnt_dscnt 0x0
	s_barrier_signal -1
	s_barrier_wait -1
	global_inv scope:SCOPE_SE
	v_cmpx_gt_u32_e32 8, v0
	s_cbranch_execz .LBB780_39
; %bb.38:
	ds_load_b32 v2, v42
	s_wait_dscnt 0x0
	v_mov_b32_dpp v4, v2 row_shr:1 row_mask:0xf bank_mask:0xf
	v_and_b32_e32 v3, 7, v62
	s_delay_alu instid0(VALU_DEP_1) | instskip(SKIP_1) | instid1(VALU_DEP_3)
	v_cmp_ne_u32_e32 vcc_lo, 0, v3
	s_wait_alu 0xfffd
	v_cndmask_b32_e32 v4, 0, v4, vcc_lo
	v_cmp_lt_u32_e32 vcc_lo, 1, v3
	s_delay_alu instid0(VALU_DEP_2) | instskip(NEXT) | instid1(VALU_DEP_1)
	v_add_nc_u32_e32 v2, v4, v2
	v_mov_b32_dpp v4, v2 row_shr:2 row_mask:0xf bank_mask:0xf
	s_wait_alu 0xfffd
	s_delay_alu instid0(VALU_DEP_1) | instskip(SKIP_1) | instid1(VALU_DEP_2)
	v_cndmask_b32_e32 v4, 0, v4, vcc_lo
	v_cmp_lt_u32_e32 vcc_lo, 3, v3
	v_add_nc_u32_e32 v2, v2, v4
	s_delay_alu instid0(VALU_DEP_1) | instskip(SKIP_1) | instid1(VALU_DEP_1)
	v_mov_b32_dpp v4, v2 row_shr:4 row_mask:0xf bank_mask:0xf
	s_wait_alu 0xfffd
	v_cndmask_b32_e32 v3, 0, v4, vcc_lo
	s_delay_alu instid0(VALU_DEP_1)
	v_add_nc_u32_e32 v2, v2, v3
	ds_store_b32 v42, v2
.LBB780_39:
	s_wait_alu 0xfffe
	s_or_b32 exec_lo, exec_lo, s6
	s_delay_alu instid0(SALU_CYCLE_1)
	s_mov_b32 s7, exec_lo
	v_cmp_gt_u32_e32 vcc_lo, 32, v0
	s_wait_loadcnt_dscnt 0x0
	s_barrier_signal -1
	s_barrier_wait -1
	global_inv scope:SCOPE_SE
                                        ; implicit-def: $vgpr9
	v_cmpx_lt_u32_e32 31, v0
	s_cbranch_execz .LBB780_41
; %bb.40:
	v_lshl_add_u32 v2, v63, 2, -4
	ds_load_b32 v9, v2
	s_wait_dscnt 0x0
	v_add_nc_u32_e32 v1, v9, v1
.LBB780_41:
	s_wait_alu 0xfffe
	s_or_b32 exec_lo, exec_lo, s7
	v_sub_co_u32 v2, s6, v62, 1
	s_delay_alu instid0(VALU_DEP_1) | instskip(SKIP_1) | instid1(VALU_DEP_1)
	v_cmp_gt_i32_e64 s7, 0, v2
	s_wait_alu 0xf1ff
	v_cndmask_b32_e64 v2, v2, v62, s7
	s_delay_alu instid0(VALU_DEP_1)
	v_lshlrev_b32_e32 v2, 2, v2
	ds_bpermute_b32 v10, v2, v1
	s_and_saveexec_b32 s7, vcc_lo
	s_cbranch_execz .LBB780_60
; %bb.42:
	v_mov_b32_e32 v5, 0
	ds_load_b32 v1, v5 offset:28
	s_and_saveexec_b32 s17, s6
	s_cbranch_execz .LBB780_44
; %bb.43:
	s_add_co_i32 s24, ttmp9, 32
	s_mov_b32 s25, 0
	v_mov_b32_e32 v2, 1
	s_lshl_b64 s[24:25], s[24:25], 3
	s_wait_kmcnt 0x0
	s_add_nc_u64 s[24:25], s[20:21], s[24:25]
	s_wait_dscnt 0x0
	global_store_b64 v5, v[1:2], s[24:25] scope:SCOPE_DEV
.LBB780_44:
	s_or_b32 exec_lo, exec_lo, s17
	v_xad_u32 v3, v62, -1, ttmp9
	s_mov_b32 s24, 0
	s_mov_b32 s17, exec_lo
	s_delay_alu instid0(VALU_DEP_1) | instskip(NEXT) | instid1(VALU_DEP_1)
	v_add_nc_u32_e32 v4, 32, v3
	v_lshlrev_b64_e32 v[4:5], 3, v[4:5]
	s_wait_kmcnt 0x0
	s_delay_alu instid0(VALU_DEP_1) | instskip(SKIP_1) | instid1(VALU_DEP_2)
	v_add_co_u32 v7, vcc_lo, s20, v4
	s_wait_alu 0xfffd
	v_add_co_ci_u32_e64 v8, null, s21, v5, vcc_lo
	global_load_b64 v[5:6], v[7:8], off scope:SCOPE_DEV
	s_wait_loadcnt 0x0
	v_and_b32_e32 v2, 0xff, v6
	s_delay_alu instid0(VALU_DEP_1)
	v_cmpx_eq_u16_e32 0, v2
	s_cbranch_execz .LBB780_47
.LBB780_45:                             ; =>This Inner Loop Header: Depth=1
	global_load_b64 v[5:6], v[7:8], off scope:SCOPE_DEV
	s_wait_loadcnt 0x0
	v_and_b32_e32 v2, 0xff, v6
	s_delay_alu instid0(VALU_DEP_1) | instskip(SKIP_1) | instid1(SALU_CYCLE_1)
	v_cmp_ne_u16_e32 vcc_lo, 0, v2
	s_or_b32 s24, vcc_lo, s24
	s_and_not1_b32 exec_lo, exec_lo, s24
	s_cbranch_execnz .LBB780_45
; %bb.46:
	s_or_b32 exec_lo, exec_lo, s24
.LBB780_47:
	s_delay_alu instid0(SALU_CYCLE_1)
	s_or_b32 exec_lo, exec_lo, s17
	v_cmp_ne_u32_e32 vcc_lo, 31, v62
	v_lshlrev_b32_e64 v12, v62, -1
	v_add_nc_u32_e32 v14, 2, v62
	v_add_nc_u32_e32 v16, 4, v62
	;; [unrolled: 1-line block ×3, first 2 shown]
	s_wait_alu 0xfffd
	v_add_co_ci_u32_e64 v2, null, 0, v62, vcc_lo
	v_lshl_or_b32 v66, v62, 2, 64
	v_add_nc_u32_e32 v67, 16, v62
	s_delay_alu instid0(VALU_DEP_3)
	v_lshlrev_b32_e32 v11, 2, v2
	v_and_b32_e32 v2, 0xff, v6
	ds_bpermute_b32 v4, v11, v5
	v_cmp_eq_u16_e32 vcc_lo, 2, v2
	s_wait_alu 0xfffd
	v_and_or_b32 v2, vcc_lo, v12, 0x80000000
	v_cmp_gt_u32_e32 vcc_lo, 30, v62
	s_delay_alu instid0(VALU_DEP_2) | instskip(SKIP_2) | instid1(VALU_DEP_2)
	v_ctz_i32_b32_e32 v2, v2
	s_wait_alu 0xfffd
	v_cndmask_b32_e64 v7, 0, 2, vcc_lo
	v_cmp_lt_u32_e32 vcc_lo, v62, v2
	s_delay_alu instid0(VALU_DEP_2) | instskip(SKIP_4) | instid1(VALU_DEP_2)
	v_add_lshl_u32 v13, v7, v62, 2
	s_wait_dscnt 0x0
	s_wait_alu 0xfffd
	v_cndmask_b32_e32 v4, 0, v4, vcc_lo
	v_cmp_gt_u32_e32 vcc_lo, 28, v62
	v_add_nc_u32_e32 v4, v4, v5
	s_wait_alu 0xfffd
	v_cndmask_b32_e64 v7, 0, 4, vcc_lo
	v_cmp_le_u32_e32 vcc_lo, v14, v2
	ds_bpermute_b32 v5, v13, v4
	v_add_lshl_u32 v15, v7, v62, 2
	s_wait_dscnt 0x0
	s_wait_alu 0xfffd
	v_cndmask_b32_e32 v5, 0, v5, vcc_lo
	v_cmp_gt_u32_e32 vcc_lo, 24, v62
	s_delay_alu instid0(VALU_DEP_2)
	v_add_nc_u32_e32 v4, v4, v5
	s_wait_alu 0xfffd
	v_cndmask_b32_e64 v7, 0, 8, vcc_lo
	v_cmp_le_u32_e32 vcc_lo, v16, v2
	ds_bpermute_b32 v5, v15, v4
	v_add_lshl_u32 v17, v7, v62, 2
	s_wait_dscnt 0x0
	s_wait_alu 0xfffd
	v_cndmask_b32_e32 v5, 0, v5, vcc_lo
	v_cmp_le_u32_e32 vcc_lo, v65, v2
	s_delay_alu instid0(VALU_DEP_2)
	v_add_nc_u32_e32 v4, v4, v5
	ds_bpermute_b32 v5, v17, v4
	s_wait_dscnt 0x0
	s_wait_alu 0xfffd
	v_cndmask_b32_e32 v5, 0, v5, vcc_lo
	v_cmp_le_u32_e32 vcc_lo, v67, v2
	s_delay_alu instid0(VALU_DEP_2) | instskip(SKIP_4) | instid1(VALU_DEP_1)
	v_add_nc_u32_e32 v4, v4, v5
	ds_bpermute_b32 v5, v66, v4
	s_wait_dscnt 0x0
	s_wait_alu 0xfffd
	v_cndmask_b32_e32 v2, 0, v5, vcc_lo
	v_dual_mov_b32 v4, 0 :: v_dual_add_nc_u32 v5, v4, v2
	s_branch .LBB780_51
.LBB780_48:                             ;   in Loop: Header=BB780_51 Depth=1
	s_or_b32 exec_lo, exec_lo, s24
.LBB780_49:                             ;   in Loop: Header=BB780_51 Depth=1
	s_delay_alu instid0(SALU_CYCLE_1) | instskip(SKIP_4) | instid1(VALU_DEP_2)
	s_or_b32 exec_lo, exec_lo, s17
	ds_bpermute_b32 v8, v11, v5
	v_and_b32_e32 v7, 0xff, v6
	v_subrev_nc_u32_e32 v3, 32, v3
	s_mov_b32 s17, 0
	v_cmp_eq_u16_e32 vcc_lo, 2, v7
	s_wait_alu 0xfffd
	v_and_or_b32 v7, vcc_lo, v12, 0x80000000
	s_delay_alu instid0(VALU_DEP_1) | instskip(NEXT) | instid1(VALU_DEP_1)
	v_ctz_i32_b32_e32 v7, v7
	v_cmp_lt_u32_e32 vcc_lo, v62, v7
	s_wait_dscnt 0x0
	s_wait_alu 0xfffd
	v_cndmask_b32_e32 v8, 0, v8, vcc_lo
	v_cmp_le_u32_e32 vcc_lo, v14, v7
	s_delay_alu instid0(VALU_DEP_2)
	v_add_nc_u32_e32 v5, v8, v5
	ds_bpermute_b32 v8, v13, v5
	s_wait_dscnt 0x0
	s_wait_alu 0xfffd
	v_cndmask_b32_e32 v8, 0, v8, vcc_lo
	v_cmp_le_u32_e32 vcc_lo, v16, v7
	s_delay_alu instid0(VALU_DEP_2)
	v_add_nc_u32_e32 v5, v5, v8
	ds_bpermute_b32 v8, v15, v5
	;; [unrolled: 7-line block ×3, first 2 shown]
	s_wait_dscnt 0x0
	s_wait_alu 0xfffd
	v_cndmask_b32_e32 v8, 0, v8, vcc_lo
	v_cmp_le_u32_e32 vcc_lo, v67, v7
	s_delay_alu instid0(VALU_DEP_2) | instskip(SKIP_4) | instid1(VALU_DEP_1)
	v_add_nc_u32_e32 v5, v5, v8
	ds_bpermute_b32 v8, v66, v5
	s_wait_dscnt 0x0
	s_wait_alu 0xfffd
	v_cndmask_b32_e32 v7, 0, v8, vcc_lo
	v_add3_u32 v5, v7, v2, v5
.LBB780_50:                             ;   in Loop: Header=BB780_51 Depth=1
	s_and_b32 vcc_lo, exec_lo, s17
	s_wait_alu 0xfffe
	s_cbranch_vccnz .LBB780_56
.LBB780_51:                             ; =>This Loop Header: Depth=1
                                        ;     Child Loop BB780_54 Depth 2
	v_and_b32_e32 v2, 0xff, v6
	s_mov_b32 s17, -1
                                        ; implicit-def: $vgpr6
	s_delay_alu instid0(VALU_DEP_1)
	v_cmp_ne_u16_e32 vcc_lo, 2, v2
	v_mov_b32_e32 v2, v5
                                        ; implicit-def: $vgpr5
	s_cmp_lg_u32 vcc_lo, exec_lo
	s_cbranch_scc1 .LBB780_50
; %bb.52:                               ;   in Loop: Header=BB780_51 Depth=1
	v_lshlrev_b64_e32 v[5:6], 3, v[3:4]
	s_mov_b32 s17, exec_lo
	s_delay_alu instid0(VALU_DEP_1) | instskip(SKIP_1) | instid1(VALU_DEP_2)
	v_add_co_u32 v7, vcc_lo, s20, v5
	s_wait_alu 0xfffd
	v_add_co_ci_u32_e64 v8, null, s21, v6, vcc_lo
	global_load_b64 v[5:6], v[7:8], off scope:SCOPE_DEV
	s_wait_loadcnt 0x0
	v_and_b32_e32 v68, 0xff, v6
	s_delay_alu instid0(VALU_DEP_1)
	v_cmpx_eq_u16_e32 0, v68
	s_cbranch_execz .LBB780_49
; %bb.53:                               ;   in Loop: Header=BB780_51 Depth=1
	s_mov_b32 s24, 0
.LBB780_54:                             ;   Parent Loop BB780_51 Depth=1
                                        ; =>  This Inner Loop Header: Depth=2
	global_load_b64 v[5:6], v[7:8], off scope:SCOPE_DEV
	s_wait_loadcnt 0x0
	v_and_b32_e32 v68, 0xff, v6
	s_delay_alu instid0(VALU_DEP_1) | instskip(SKIP_1) | instid1(SALU_CYCLE_1)
	v_cmp_ne_u16_e32 vcc_lo, 0, v68
	s_or_b32 s24, vcc_lo, s24
	s_and_not1_b32 exec_lo, exec_lo, s24
	s_cbranch_execnz .LBB780_54
	s_branch .LBB780_48
.LBB780_55:
                                        ; implicit-def: $vgpr17
                                        ; implicit-def: $vgpr1_vgpr2_vgpr3_vgpr4_vgpr5_vgpr6_vgpr7_vgpr8_vgpr9_vgpr10_vgpr11_vgpr12_vgpr13_vgpr14_vgpr15_vgpr16
	s_wait_alu 0xfffe
	s_and_b32 vcc_lo, exec_lo, s6
	s_wait_alu 0xfffe
	s_cbranch_vccnz .LBB780_61
	s_branch .LBB780_70
.LBB780_56:
	s_and_saveexec_b32 s17, s6
	s_cbranch_execz .LBB780_58
; %bb.57:
	s_add_co_i32 s24, ttmp9, 32
	s_mov_b32 s25, 0
	v_dual_mov_b32 v4, 2 :: v_dual_add_nc_u32 v3, v2, v1
	v_mov_b32_e32 v5, 0
	s_lshl_b64 s[24:25], s[24:25], 3
	s_delay_alu instid0(SALU_CYCLE_1)
	s_add_nc_u64 s[24:25], s[20:21], s[24:25]
	global_store_b64 v5, v[3:4], s[24:25] scope:SCOPE_DEV
	ds_store_b64 v5, v[1:2] offset:13312
.LBB780_58:
	s_or_b32 exec_lo, exec_lo, s17
	v_cmp_eq_u32_e32 vcc_lo, 0, v0
	s_and_b32 exec_lo, exec_lo, vcc_lo
; %bb.59:
	v_mov_b32_e32 v1, 0
	ds_store_b32 v1, v2 offset:28
.LBB780_60:
	s_wait_alu 0xfffe
	s_or_b32 exec_lo, exec_lo, s7
	s_wait_dscnt 0x0
	v_cndmask_b32_e64 v2, v10, v9, s6
	v_cmp_ne_u32_e32 vcc_lo, 0, v0
	v_mov_b32_e32 v11, 0
	s_wait_loadcnt 0x0
	s_wait_storecnt 0x0
	s_barrier_signal -1
	s_barrier_wait -1
	global_inv scope:SCOPE_SE
	s_wait_alu 0xfffd
	v_cndmask_b32_e32 v2, 0, v2, vcc_lo
	ds_load_b32 v1, v11 offset:28
	s_wait_loadcnt_dscnt 0x0
	s_barrier_signal -1
	s_barrier_wait -1
	global_inv scope:SCOPE_SE
	ds_load_b64 v[16:17], v11 offset:13312
	v_add_nc_u32_e32 v1, v1, v2
	s_delay_alu instid0(VALU_DEP_1) | instskip(NEXT) | instid1(VALU_DEP_1)
	v_add_nc_u32_e32 v2, v1, v53
	v_add_nc_u32_e32 v3, v2, v54
	s_delay_alu instid0(VALU_DEP_1) | instskip(NEXT) | instid1(VALU_DEP_1)
	v_add_nc_u32_e32 v4, v3, v55
	;; [unrolled: 3-line block ×6, first 2 shown]
	v_add_nc_u32_e32 v13, v12, v48
	s_branch .LBB780_70
.LBB780_61:
	v_mov_b32_dpp v1, v64 row_shr:1 row_mask:0xf bank_mask:0xf
	s_delay_alu instid0(VALU_DEP_1) | instskip(NEXT) | instid1(VALU_DEP_1)
	v_cndmask_b32_e64 v1, v1, 0, s5
	v_add_nc_u32_e32 v1, v1, v64
	s_delay_alu instid0(VALU_DEP_1) | instskip(NEXT) | instid1(VALU_DEP_1)
	v_mov_b32_dpp v2, v1 row_shr:2 row_mask:0xf bank_mask:0xf
	v_cndmask_b32_e64 v2, 0, v2, s4
	s_delay_alu instid0(VALU_DEP_1) | instskip(NEXT) | instid1(VALU_DEP_1)
	v_add_nc_u32_e32 v1, v1, v2
	v_mov_b32_dpp v2, v1 row_shr:4 row_mask:0xf bank_mask:0xf
	s_delay_alu instid0(VALU_DEP_1) | instskip(NEXT) | instid1(VALU_DEP_1)
	v_cndmask_b32_e64 v2, 0, v2, s3
	v_add_nc_u32_e32 v1, v1, v2
	s_delay_alu instid0(VALU_DEP_1) | instskip(NEXT) | instid1(VALU_DEP_1)
	v_mov_b32_dpp v2, v1 row_shr:8 row_mask:0xf bank_mask:0xf
	v_cndmask_b32_e64 v2, 0, v2, s2
	s_delay_alu instid0(VALU_DEP_1) | instskip(SKIP_3) | instid1(VALU_DEP_1)
	v_add_nc_u32_e32 v1, v1, v2
	ds_swizzle_b32 v2, v1 offset:swizzle(BROADCAST,32,15)
	s_wait_dscnt 0x0
	v_cndmask_b32_e64 v2, v2, 0, s1
	v_add_nc_u32_e32 v1, v1, v2
	s_and_saveexec_b32 s1, s0
; %bb.62:
	v_lshlrev_b32_e32 v2, 2, v63
	ds_store_b32 v2, v1
; %bb.63:
	s_wait_alu 0xfffe
	s_or_b32 exec_lo, exec_lo, s1
	s_delay_alu instid0(SALU_CYCLE_1)
	s_mov_b32 s0, exec_lo
	s_wait_loadcnt_dscnt 0x0
	s_barrier_signal -1
	s_barrier_wait -1
	global_inv scope:SCOPE_SE
	v_cmpx_gt_u32_e32 8, v0
	s_cbranch_execz .LBB780_65
; %bb.64:
	ds_load_b32 v2, v42
	s_wait_dscnt 0x0
	v_mov_b32_dpp v4, v2 row_shr:1 row_mask:0xf bank_mask:0xf
	v_and_b32_e32 v3, 7, v62
	s_delay_alu instid0(VALU_DEP_1) | instskip(SKIP_1) | instid1(VALU_DEP_3)
	v_cmp_ne_u32_e32 vcc_lo, 0, v3
	s_wait_alu 0xfffd
	v_cndmask_b32_e32 v4, 0, v4, vcc_lo
	v_cmp_lt_u32_e32 vcc_lo, 1, v3
	s_delay_alu instid0(VALU_DEP_2) | instskip(NEXT) | instid1(VALU_DEP_1)
	v_add_nc_u32_e32 v2, v4, v2
	v_mov_b32_dpp v4, v2 row_shr:2 row_mask:0xf bank_mask:0xf
	s_wait_alu 0xfffd
	s_delay_alu instid0(VALU_DEP_1) | instskip(SKIP_1) | instid1(VALU_DEP_2)
	v_cndmask_b32_e32 v4, 0, v4, vcc_lo
	v_cmp_lt_u32_e32 vcc_lo, 3, v3
	v_add_nc_u32_e32 v2, v2, v4
	s_delay_alu instid0(VALU_DEP_1) | instskip(SKIP_1) | instid1(VALU_DEP_1)
	v_mov_b32_dpp v4, v2 row_shr:4 row_mask:0xf bank_mask:0xf
	s_wait_alu 0xfffd
	v_cndmask_b32_e32 v3, 0, v4, vcc_lo
	s_delay_alu instid0(VALU_DEP_1)
	v_add_nc_u32_e32 v2, v2, v3
	ds_store_b32 v42, v2
.LBB780_65:
	s_wait_alu 0xfffe
	s_or_b32 exec_lo, exec_lo, s0
	v_dual_mov_b32 v3, 0 :: v_dual_mov_b32 v2, 0
	s_mov_b32 s0, exec_lo
	s_wait_loadcnt_dscnt 0x0
	s_barrier_signal -1
	s_barrier_wait -1
	global_inv scope:SCOPE_SE
	v_cmpx_lt_u32_e32 31, v0
; %bb.66:
	v_lshl_add_u32 v2, v63, 2, -4
	ds_load_b32 v2, v2
; %bb.67:
	s_wait_alu 0xfffe
	s_or_b32 exec_lo, exec_lo, s0
	v_sub_co_u32 v4, vcc_lo, v62, 1
	s_wait_dscnt 0x0
	v_add_nc_u32_e32 v1, v2, v1
	ds_load_b32 v16, v3 offset:28
	v_cmp_gt_i32_e64 s0, 0, v4
	s_wait_alu 0xf1ff
	s_delay_alu instid0(VALU_DEP_1) | instskip(SKIP_1) | instid1(VALU_DEP_2)
	v_cndmask_b32_e64 v4, v4, v62, s0
	v_cmp_eq_u32_e64 s0, 0, v0
	v_lshlrev_b32_e32 v4, 2, v4
	ds_bpermute_b32 v1, v4, v1
	s_and_saveexec_b32 s1, s0
	s_cbranch_execz .LBB780_69
; %bb.68:
	v_mov_b32_e32 v3, 0
	v_mov_b32_e32 v17, 2
	s_wait_dscnt 0x1
	s_wait_kmcnt 0x0
	global_store_b64 v3, v[16:17], s[20:21] offset:256 scope:SCOPE_DEV
.LBB780_69:
	s_wait_alu 0xfffe
	s_or_b32 exec_lo, exec_lo, s1
	s_wait_dscnt 0x0
	s_wait_alu 0xfffd
	v_cndmask_b32_e32 v1, v1, v2, vcc_lo
	s_wait_loadcnt 0x0
	s_wait_storecnt 0x0
	s_barrier_signal -1
	s_barrier_wait -1
	global_inv scope:SCOPE_SE
	v_cndmask_b32_e64 v1, v1, 0, s0
	s_delay_alu instid0(VALU_DEP_1) | instskip(NEXT) | instid1(VALU_DEP_1)
	v_dual_mov_b32 v17, 0 :: v_dual_add_nc_u32 v2, v1, v53
	v_add_nc_u32_e32 v3, v2, v54
	s_delay_alu instid0(VALU_DEP_1) | instskip(NEXT) | instid1(VALU_DEP_1)
	v_add_nc_u32_e32 v4, v3, v55
	v_add_nc_u32_e32 v5, v4, v52
	s_delay_alu instid0(VALU_DEP_1) | instskip(NEXT) | instid1(VALU_DEP_1)
	v_add_nc_u32_e32 v6, v5, v56
	;; [unrolled: 3-line block ×5, first 2 shown]
	v_add_nc_u32_e32 v13, v12, v48
.LBB780_70:
	v_lshrrev_b32_e32 v56, 8, v51
	v_lshrrev_b32_e32 v55, 16, v51
	s_wait_dscnt 0x0
	v_sub_nc_u32_e32 v1, v1, v17
	v_and_b32_e32 v51, 1, v51
	v_sub_nc_u32_e32 v3, v3, v17
	v_add_nc_u32_e32 v45, v16, v45
	v_sub_nc_u32_e32 v2, v2, v17
	v_sub_nc_u32_e32 v4, v4, v17
	v_cmp_eq_u32_e32 vcc_lo, 1, v51
	v_and_b32_e32 v51, 1, v55
	v_sub_nc_u32_e32 v57, v45, v1
	v_and_b32_e32 v56, 1, v56
	v_sub_nc_u32_e32 v55, v45, v2
	v_lshrrev_b32_e32 v54, 8, v49
	v_lshrrev_b32_e32 v53, 16, v49
	s_wait_alu 0xfffd
	v_cndmask_b32_e32 v1, v57, v1, vcc_lo
	v_sub_nc_u32_e32 v57, v45, v3
	v_add_nc_u32_e32 v55, 1, v55
	v_cmp_eq_u32_e32 vcc_lo, 1, v56
	v_and_b32_e32 v52, 1, v52
	v_lshlrev_b32_e32 v1, 2, v1
	v_add_nc_u32_e32 v57, 2, v57
	v_lshrrev_b32_e32 v15, 8, v47
	v_lshrrev_b32_e32 v14, 16, v47
	ds_store_b32 v1, v28
	s_wait_alu 0xfffd
	v_cndmask_b32_e32 v1, v55, v2, vcc_lo
	v_cmp_eq_u32_e32 vcc_lo, 1, v51
	s_wait_alu 0xfffd
	s_delay_alu instid0(VALU_DEP_2)
	v_dual_cndmask_b32 v2, v57, v3 :: v_dual_lshlrev_b32 v1, 2, v1
	v_sub_nc_u32_e32 v58, v45, v4
	v_cmp_eq_u32_e32 vcc_lo, 1, v52
	ds_store_b32 v1, v29
	v_lshlrev_b32_e32 v2, 2, v2
	v_add_nc_u32_e32 v58, 3, v58
	s_wait_alu 0xfffd
	s_delay_alu instid0(VALU_DEP_1) | instskip(SKIP_2) | instid1(VALU_DEP_3)
	v_cndmask_b32_e32 v3, v58, v4, vcc_lo
	v_sub_nc_u32_e32 v4, v5, v17
	v_sub_nc_u32_e32 v5, v6, v17
	v_lshlrev_b32_e32 v3, 2, v3
	s_delay_alu instid0(VALU_DEP_3) | instskip(NEXT) | instid1(VALU_DEP_3)
	v_sub_nc_u32_e32 v1, v45, v4
	v_sub_nc_u32_e32 v6, v45, v5
	ds_store_b32 v2, v26
	ds_store_b32 v3, v27
	v_and_b32_e32 v2, 1, v49
	v_add_nc_u32_e32 v1, 4, v1
	v_add_nc_u32_e32 v3, 5, v6
	v_sub_nc_u32_e32 v6, v7, v17
	v_and_b32_e32 v7, 1, v54
	v_cmp_eq_u32_e32 vcc_lo, 1, v2
	v_sub_nc_u32_e32 v2, v8, v17
	s_wait_alu 0xfffd
	v_dual_cndmask_b32 v1, v1, v4 :: v_dual_and_b32 v8, 1, v50
	v_sub_nc_u32_e32 v4, v45, v6
	v_cmp_eq_u32_e32 vcc_lo, 1, v7
	v_and_b32_e32 v7, 1, v53
	s_delay_alu instid0(VALU_DEP_4)
	v_lshlrev_b32_e32 v1, 2, v1
	s_wait_alu 0xfffd
	v_dual_cndmask_b32 v3, v3, v5 :: v_dual_add_nc_u32 v4, 6, v4
	v_sub_nc_u32_e32 v5, v45, v2
	v_cmp_eq_u32_e32 vcc_lo, 1, v7
	v_sub_nc_u32_e32 v7, v13, v17
	s_delay_alu instid0(VALU_DEP_4)
	v_lshlrev_b32_e32 v3, 2, v3
	s_wait_alu 0xfffd
	v_dual_cndmask_b32 v4, v4, v6 :: v_dual_add_nc_u32 v5, 7, v5
	v_cmp_eq_u32_e32 vcc_lo, 1, v8
	v_sub_nc_u32_e32 v6, v9, v17
	ds_store_b32 v1, v24
	ds_store_b32 v3, v25
	s_wait_alu 0xfffd
	v_dual_cndmask_b32 v2, v5, v2 :: v_dual_lshlrev_b32 v3, 2, v4
	v_and_b32_e32 v5, 1, v47
	v_sub_nc_u32_e32 v1, v45, v6
	v_sub_nc_u32_e32 v4, v10, v17
	v_and_b32_e32 v10, 1, v48
	s_delay_alu instid0(VALU_DEP_4) | instskip(SKIP_2) | instid1(VALU_DEP_2)
	v_cmp_eq_u32_e32 vcc_lo, 1, v5
	v_sub_nc_u32_e32 v5, v12, v17
	v_add_nc_u32_e32 v1, 8, v1
	v_sub_nc_u32_e32 v9, v45, v5
	s_wait_alu 0xfffd
	s_delay_alu instid0(VALU_DEP_2)
	v_dual_cndmask_b32 v1, v1, v6 :: v_dual_and_b32 v6, 1, v15
	s_wait_kmcnt 0x0
	v_add_co_u32 v15, s0, s18, v17
	v_add_nc_u32_e32 v9, 11, v9
	v_lshlrev_b32_e32 v2, 2, v2
	ds_store_b32 v3, v22
	ds_store_b32 v2, v23
	v_sub_nc_u32_e32 v3, v11, v17
	v_sub_nc_u32_e32 v2, v45, v4
	v_cmp_eq_u32_e32 vcc_lo, 1, v6
	v_and_b32_e32 v11, 1, v46
	v_lshlrev_b32_e32 v1, 2, v1
	v_sub_nc_u32_e32 v8, v45, v3
	v_add_nc_u32_e32 v2, 9, v2
	s_wait_alu 0xf1ff
	v_add_co_ci_u32_e64 v17, null, s19, 0, s0
	s_delay_alu instid0(VALU_DEP_3) | instskip(SKIP_4) | instid1(VALU_DEP_3)
	v_add_nc_u32_e32 v6, 10, v8
	v_and_b32_e32 v8, 1, v14
	s_wait_alu 0xfffd
	v_cndmask_b32_e32 v2, v2, v4, vcc_lo
	v_sub_nc_u32_e32 v4, v45, v7
	v_cmp_eq_u32_e32 vcc_lo, 1, v8
	s_delay_alu instid0(VALU_DEP_3) | instskip(SKIP_1) | instid1(VALU_DEP_3)
	v_lshlrev_b32_e32 v2, 2, v2
	s_wait_alu 0xfffd
	v_dual_cndmask_b32 v3, v6, v3 :: v_dual_add_nc_u32 v4, 12, v4
	v_cmp_eq_u32_e32 vcc_lo, 1, v10
	s_delay_alu instid0(VALU_DEP_2) | instskip(SKIP_4) | instid1(VALU_DEP_2)
	v_lshlrev_b32_e32 v3, 2, v3
	s_wait_alu 0xfffd
	v_cndmask_b32_e32 v5, v9, v5, vcc_lo
	v_cmp_eq_u32_e32 vcc_lo, 1, v11
	s_wait_alu 0xfffd
	v_dual_cndmask_b32 v4, v4, v7 :: v_dual_lshlrev_b32 v5, 2, v5
	v_cmp_ne_u32_e32 vcc_lo, 1, v43
	s_delay_alu instid0(VALU_DEP_2)
	v_lshlrev_b32_e32 v4, 2, v4
	ds_store_b32 v1, v20
	ds_store_b32 v2, v21
	;; [unrolled: 1-line block ×5, first 2 shown]
	s_wait_loadcnt_dscnt 0x0
	s_barrier_signal -1
	s_barrier_wait -1
	global_inv scope:SCOPE_SE
	ds_load_2addr_stride64_b32 v[11:12], v42 offset1:4
	ds_load_2addr_stride64_b32 v[9:10], v42 offset0:8 offset1:12
	ds_load_2addr_stride64_b32 v[7:8], v42 offset0:16 offset1:20
	;; [unrolled: 1-line block ×5, first 2 shown]
	ds_load_b32 v18, v42 offset:12288
	s_cbranch_vccnz .LBB780_124
; %bb.71:
	s_mov_b32 s17, 0
	v_sub_co_u32 v13, vcc_lo, v15, s12
	s_sub_nc_u64 s[0:1], s[14:15], s[16:17]
	s_wait_alu 0xfffd
	v_subrev_co_ci_u32_e64 v14, null, s13, v17, vcc_lo
	s_wait_alu 0xfffe
	v_add_co_u32 v19, s0, s0, v16
	s_wait_alu 0xf1ff
	v_add_co_ci_u32_e64 v20, null, s1, 0, s0
	s_mov_b32 s0, exec_lo
	v_add_co_u32 v19, vcc_lo, v19, v13
	s_wait_alu 0xfffd
	v_add_co_ci_u32_e64 v20, null, v20, v14, vcc_lo
                                        ; implicit-def: $vgpr13_vgpr14
	v_cmpx_ge_u32_e64 v0, v16
	s_wait_alu 0xfffe
	s_xor_b32 s0, exec_lo, s0
; %bb.72:
	v_not_b32_e32 v13, v0
	s_delay_alu instid0(VALU_DEP_1) | instskip(SKIP_2) | instid1(VALU_DEP_2)
	v_ashrrev_i32_e32 v14, 31, v13
	v_add_co_u32 v13, vcc_lo, v19, v13
	s_wait_alu 0xfffd
	v_add_co_ci_u32_e64 v14, null, v20, v14, vcc_lo
; %bb.73:
	s_wait_alu 0xfffe
	s_and_not1_saveexec_b32 s0, s0
; %bb.74:
	v_add_co_u32 v13, vcc_lo, v15, v0
	s_wait_alu 0xfffd
	v_add_co_ci_u32_e64 v14, null, 0, v17, vcc_lo
; %bb.75:
	s_wait_alu 0xfffe
	s_or_b32 exec_lo, exec_lo, s0
	s_delay_alu instid0(VALU_DEP_1) | instskip(SKIP_1) | instid1(VALU_DEP_1)
	v_lshlrev_b64_e32 v[13:14], 2, v[13:14]
	s_mov_b32 s0, exec_lo
	v_add_co_u32 v13, vcc_lo, s10, v13
	s_wait_alu 0xfffd
	s_delay_alu instid0(VALU_DEP_2)
	v_add_co_ci_u32_e64 v14, null, s11, v14, vcc_lo
	s_wait_dscnt 0x6
	global_store_b32 v[13:14], v11, off
                                        ; implicit-def: $vgpr13_vgpr14
	v_cmpx_ge_u32_e64 v41, v16
	s_wait_alu 0xfffe
	s_xor_b32 s0, exec_lo, s0
; %bb.76:
	v_xor_b32_e32 v13, 0xfffffeff, v0
	s_delay_alu instid0(VALU_DEP_1) | instskip(SKIP_2) | instid1(VALU_DEP_2)
	v_ashrrev_i32_e32 v14, 31, v13
	v_add_co_u32 v13, vcc_lo, v19, v13
	s_wait_alu 0xfffd
	v_add_co_ci_u32_e64 v14, null, v20, v14, vcc_lo
; %bb.77:
	s_wait_alu 0xfffe
	s_and_not1_saveexec_b32 s0, s0
; %bb.78:
	v_add_co_u32 v13, vcc_lo, v15, v41
	s_wait_alu 0xfffd
	v_add_co_ci_u32_e64 v14, null, 0, v17, vcc_lo
; %bb.79:
	s_wait_alu 0xfffe
	s_or_b32 exec_lo, exec_lo, s0
	s_delay_alu instid0(VALU_DEP_1) | instskip(SKIP_1) | instid1(VALU_DEP_1)
	v_lshlrev_b64_e32 v[13:14], 2, v[13:14]
	s_mov_b32 s0, exec_lo
	v_add_co_u32 v13, vcc_lo, s10, v13
	s_wait_alu 0xfffd
	s_delay_alu instid0(VALU_DEP_2)
	v_add_co_ci_u32_e64 v14, null, s11, v14, vcc_lo
	global_store_b32 v[13:14], v12, off
                                        ; implicit-def: $vgpr13_vgpr14
	v_cmpx_ge_u32_e64 v40, v16
	s_wait_alu 0xfffe
	s_xor_b32 s0, exec_lo, s0
; %bb.80:
	v_xor_b32_e32 v13, 0xfffffdff, v0
	s_delay_alu instid0(VALU_DEP_1) | instskip(SKIP_2) | instid1(VALU_DEP_2)
	v_ashrrev_i32_e32 v14, 31, v13
	v_add_co_u32 v13, vcc_lo, v19, v13
	s_wait_alu 0xfffd
	v_add_co_ci_u32_e64 v14, null, v20, v14, vcc_lo
; %bb.81:
	s_wait_alu 0xfffe
	s_and_not1_saveexec_b32 s0, s0
; %bb.82:
	v_add_co_u32 v13, vcc_lo, v15, v40
	s_wait_alu 0xfffd
	v_add_co_ci_u32_e64 v14, null, 0, v17, vcc_lo
; %bb.83:
	s_wait_alu 0xfffe
	s_or_b32 exec_lo, exec_lo, s0
	s_delay_alu instid0(VALU_DEP_1) | instskip(SKIP_1) | instid1(VALU_DEP_1)
	v_lshlrev_b64_e32 v[13:14], 2, v[13:14]
	s_mov_b32 s0, exec_lo
	v_add_co_u32 v13, vcc_lo, s10, v13
	s_wait_alu 0xfffd
	s_delay_alu instid0(VALU_DEP_2)
	v_add_co_ci_u32_e64 v14, null, s11, v14, vcc_lo
	s_wait_dscnt 0x5
	global_store_b32 v[13:14], v9, off
                                        ; implicit-def: $vgpr13_vgpr14
	v_cmpx_ge_u32_e64 v39, v16
	s_wait_alu 0xfffe
	s_xor_b32 s0, exec_lo, s0
; %bb.84:
	v_xor_b32_e32 v13, 0xfffffcff, v0
	s_delay_alu instid0(VALU_DEP_1) | instskip(SKIP_2) | instid1(VALU_DEP_2)
	v_ashrrev_i32_e32 v14, 31, v13
	v_add_co_u32 v13, vcc_lo, v19, v13
	s_wait_alu 0xfffd
	v_add_co_ci_u32_e64 v14, null, v20, v14, vcc_lo
; %bb.85:
	s_wait_alu 0xfffe
	s_and_not1_saveexec_b32 s0, s0
; %bb.86:
	v_add_co_u32 v13, vcc_lo, v15, v39
	s_wait_alu 0xfffd
	v_add_co_ci_u32_e64 v14, null, 0, v17, vcc_lo
; %bb.87:
	s_wait_alu 0xfffe
	s_or_b32 exec_lo, exec_lo, s0
	s_delay_alu instid0(VALU_DEP_1) | instskip(SKIP_1) | instid1(VALU_DEP_1)
	v_lshlrev_b64_e32 v[13:14], 2, v[13:14]
	s_mov_b32 s0, exec_lo
	v_add_co_u32 v13, vcc_lo, s10, v13
	s_wait_alu 0xfffd
	s_delay_alu instid0(VALU_DEP_2)
	v_add_co_ci_u32_e64 v14, null, s11, v14, vcc_lo
	global_store_b32 v[13:14], v10, off
                                        ; implicit-def: $vgpr13_vgpr14
	v_cmpx_ge_u32_e64 v38, v16
	s_wait_alu 0xfffe
	s_xor_b32 s0, exec_lo, s0
; %bb.88:
	v_xor_b32_e32 v13, 0xfffffbff, v0
	;; [unrolled: 59-line block ×6, first 2 shown]
	s_delay_alu instid0(VALU_DEP_1) | instskip(SKIP_2) | instid1(VALU_DEP_2)
	v_ashrrev_i32_e32 v14, 31, v13
	v_add_co_u32 v13, vcc_lo, v19, v13
	s_wait_alu 0xfffd
	v_add_co_ci_u32_e64 v14, null, v20, v14, vcc_lo
; %bb.121:
	s_wait_alu 0xfffe
	s_and_not1_saveexec_b32 s0, s0
; %bb.122:
	v_add_co_u32 v13, vcc_lo, v15, v30
	s_wait_alu 0xfffd
	v_add_co_ci_u32_e64 v14, null, 0, v17, vcc_lo
; %bb.123:
	s_wait_alu 0xfffe
	s_or_b32 exec_lo, exec_lo, s0
	s_mov_b32 s0, -1
	s_branch .LBB780_204
.LBB780_124:
	s_mov_b32 s0, 0
                                        ; implicit-def: $vgpr13_vgpr14
	s_cbranch_execz .LBB780_204
; %bb.125:
	s_mov_b32 s17, 0
	s_delay_alu instid0(SALU_CYCLE_1)
	s_add_nc_u64 s[2:3], s[12:13], s[16:17]
	s_wait_alu 0xfffe
	s_sub_nc_u64 s[2:3], s[14:15], s[2:3]
	s_wait_alu 0xfffe
	v_add_co_u32 v13, s1, s2, v16
	s_wait_alu 0xf1ff
	v_add_co_ci_u32_e64 v14, null, s3, 0, s1
	s_mov_b32 s1, exec_lo
	v_add_co_u32 v19, vcc_lo, v13, v15
	s_wait_alu 0xfffd
	v_add_co_ci_u32_e64 v20, null, v14, v17, vcc_lo
	v_cmpx_gt_u32_e64 s23, v0
	s_cbranch_execz .LBB780_161
; %bb.126:
	s_mov_b32 s2, exec_lo
                                        ; implicit-def: $vgpr13_vgpr14
	v_cmpx_ge_u32_e64 v0, v16
	s_wait_alu 0xfffe
	s_xor_b32 s2, exec_lo, s2
; %bb.127:
	v_not_b32_e32 v13, v0
	s_delay_alu instid0(VALU_DEP_1) | instskip(SKIP_2) | instid1(VALU_DEP_2)
	v_ashrrev_i32_e32 v14, 31, v13
	v_add_co_u32 v13, vcc_lo, v19, v13
	s_wait_alu 0xfffd
	v_add_co_ci_u32_e64 v14, null, v20, v14, vcc_lo
; %bb.128:
	s_wait_alu 0xfffe
	s_and_not1_saveexec_b32 s2, s2
; %bb.129:
	v_add_co_u32 v13, vcc_lo, v15, v0
	s_wait_alu 0xfffd
	v_add_co_ci_u32_e64 v14, null, 0, v17, vcc_lo
; %bb.130:
	s_wait_alu 0xfffe
	s_or_b32 exec_lo, exec_lo, s2
	s_delay_alu instid0(VALU_DEP_1) | instskip(NEXT) | instid1(VALU_DEP_1)
	v_lshlrev_b64_e32 v[13:14], 2, v[13:14]
	v_add_co_u32 v13, vcc_lo, s10, v13
	s_wait_alu 0xfffd
	s_delay_alu instid0(VALU_DEP_2) | instskip(SKIP_3) | instid1(SALU_CYCLE_1)
	v_add_co_ci_u32_e64 v14, null, s11, v14, vcc_lo
	s_wait_dscnt 0x6
	global_store_b32 v[13:14], v11, off
	s_or_b32 exec_lo, exec_lo, s1
	s_mov_b32 s1, exec_lo
	v_cmpx_gt_u32_e64 s23, v41
	s_cbranch_execnz .LBB780_162
.LBB780_131:
	s_wait_alu 0xfffe
	s_or_b32 exec_lo, exec_lo, s1
	s_delay_alu instid0(SALU_CYCLE_1)
	s_mov_b32 s1, exec_lo
	v_cmpx_gt_u32_e64 s23, v40
	s_cbranch_execz .LBB780_167
.LBB780_132:
	s_mov_b32 s2, exec_lo
                                        ; implicit-def: $vgpr11_vgpr12
	v_cmpx_ge_u32_e64 v40, v16
	s_wait_alu 0xfffe
	s_xor_b32 s2, exec_lo, s2
	s_cbranch_execz .LBB780_134
; %bb.133:
	s_wait_dscnt 0x6
	v_xor_b32_e32 v11, 0xfffffdff, v0
                                        ; implicit-def: $vgpr40
	s_delay_alu instid0(VALU_DEP_1) | instskip(SKIP_2) | instid1(VALU_DEP_2)
	v_ashrrev_i32_e32 v12, 31, v11
	v_add_co_u32 v11, vcc_lo, v19, v11
	s_wait_alu 0xfffd
	v_add_co_ci_u32_e64 v12, null, v20, v12, vcc_lo
.LBB780_134:
	s_wait_alu 0xfffe
	s_and_not1_saveexec_b32 s2, s2
	s_cbranch_execz .LBB780_136
; %bb.135:
	s_wait_dscnt 0x6
	v_add_co_u32 v11, vcc_lo, v15, v40
	s_wait_alu 0xfffd
	v_add_co_ci_u32_e64 v12, null, 0, v17, vcc_lo
.LBB780_136:
	s_wait_alu 0xfffe
	s_or_b32 exec_lo, exec_lo, s2
	s_wait_dscnt 0x6
	s_delay_alu instid0(VALU_DEP_1) | instskip(NEXT) | instid1(VALU_DEP_1)
	v_lshlrev_b64_e32 v[11:12], 2, v[11:12]
	v_add_co_u32 v11, vcc_lo, s10, v11
	s_wait_alu 0xfffd
	s_delay_alu instid0(VALU_DEP_2) | instskip(SKIP_3) | instid1(SALU_CYCLE_1)
	v_add_co_ci_u32_e64 v12, null, s11, v12, vcc_lo
	s_wait_dscnt 0x5
	global_store_b32 v[11:12], v9, off
	s_or_b32 exec_lo, exec_lo, s1
	s_mov_b32 s1, exec_lo
	v_cmpx_gt_u32_e64 s23, v39
	s_cbranch_execnz .LBB780_168
.LBB780_137:
	s_wait_alu 0xfffe
	s_or_b32 exec_lo, exec_lo, s1
	s_delay_alu instid0(SALU_CYCLE_1)
	s_mov_b32 s1, exec_lo
	v_cmpx_gt_u32_e64 s23, v38
	s_cbranch_execz .LBB780_173
.LBB780_138:
	s_mov_b32 s2, exec_lo
                                        ; implicit-def: $vgpr9_vgpr10
	v_cmpx_ge_u32_e64 v38, v16
	s_wait_alu 0xfffe
	s_xor_b32 s2, exec_lo, s2
	s_cbranch_execz .LBB780_140
; %bb.139:
	s_wait_dscnt 0x5
	v_xor_b32_e32 v9, 0xfffffbff, v0
                                        ; implicit-def: $vgpr38
	s_delay_alu instid0(VALU_DEP_1) | instskip(SKIP_2) | instid1(VALU_DEP_2)
	v_ashrrev_i32_e32 v10, 31, v9
	v_add_co_u32 v9, vcc_lo, v19, v9
	s_wait_alu 0xfffd
	v_add_co_ci_u32_e64 v10, null, v20, v10, vcc_lo
.LBB780_140:
	s_wait_alu 0xfffe
	s_and_not1_saveexec_b32 s2, s2
	s_cbranch_execz .LBB780_142
; %bb.141:
	s_wait_dscnt 0x5
	v_add_co_u32 v9, vcc_lo, v15, v38
	s_wait_alu 0xfffd
	v_add_co_ci_u32_e64 v10, null, 0, v17, vcc_lo
.LBB780_142:
	s_wait_alu 0xfffe
	s_or_b32 exec_lo, exec_lo, s2
	s_wait_dscnt 0x5
	s_delay_alu instid0(VALU_DEP_1) | instskip(NEXT) | instid1(VALU_DEP_1)
	v_lshlrev_b64_e32 v[9:10], 2, v[9:10]
	v_add_co_u32 v9, vcc_lo, s10, v9
	s_wait_alu 0xfffd
	s_delay_alu instid0(VALU_DEP_2) | instskip(SKIP_3) | instid1(SALU_CYCLE_1)
	v_add_co_ci_u32_e64 v10, null, s11, v10, vcc_lo
	s_wait_dscnt 0x4
	global_store_b32 v[9:10], v7, off
	s_or_b32 exec_lo, exec_lo, s1
	s_mov_b32 s1, exec_lo
	v_cmpx_gt_u32_e64 s23, v37
	s_cbranch_execnz .LBB780_174
.LBB780_143:
	s_wait_alu 0xfffe
	s_or_b32 exec_lo, exec_lo, s1
	s_delay_alu instid0(SALU_CYCLE_1)
	s_mov_b32 s1, exec_lo
	v_cmpx_gt_u32_e64 s23, v36
	s_cbranch_execz .LBB780_179
.LBB780_144:
	s_mov_b32 s2, exec_lo
                                        ; implicit-def: $vgpr7_vgpr8
	v_cmpx_ge_u32_e64 v36, v16
	s_wait_alu 0xfffe
	s_xor_b32 s2, exec_lo, s2
	s_cbranch_execz .LBB780_146
; %bb.145:
	s_wait_dscnt 0x4
	v_xor_b32_e32 v7, 0xfffff9ff, v0
                                        ; implicit-def: $vgpr36
	s_delay_alu instid0(VALU_DEP_1) | instskip(SKIP_2) | instid1(VALU_DEP_2)
	v_ashrrev_i32_e32 v8, 31, v7
	v_add_co_u32 v7, vcc_lo, v19, v7
	s_wait_alu 0xfffd
	v_add_co_ci_u32_e64 v8, null, v20, v8, vcc_lo
.LBB780_146:
	s_wait_alu 0xfffe
	s_and_not1_saveexec_b32 s2, s2
	s_cbranch_execz .LBB780_148
; %bb.147:
	s_wait_dscnt 0x4
	v_add_co_u32 v7, vcc_lo, v15, v36
	s_wait_alu 0xfffd
	v_add_co_ci_u32_e64 v8, null, 0, v17, vcc_lo
.LBB780_148:
	s_wait_alu 0xfffe
	s_or_b32 exec_lo, exec_lo, s2
	s_wait_dscnt 0x4
	s_delay_alu instid0(VALU_DEP_1) | instskip(NEXT) | instid1(VALU_DEP_1)
	v_lshlrev_b64_e32 v[7:8], 2, v[7:8]
	v_add_co_u32 v7, vcc_lo, s10, v7
	s_wait_alu 0xfffd
	s_delay_alu instid0(VALU_DEP_2) | instskip(SKIP_3) | instid1(SALU_CYCLE_1)
	v_add_co_ci_u32_e64 v8, null, s11, v8, vcc_lo
	s_wait_dscnt 0x3
	global_store_b32 v[7:8], v5, off
	s_or_b32 exec_lo, exec_lo, s1
	s_mov_b32 s1, exec_lo
	v_cmpx_gt_u32_e64 s23, v35
	s_cbranch_execnz .LBB780_180
.LBB780_149:
	s_wait_alu 0xfffe
	s_or_b32 exec_lo, exec_lo, s1
	s_delay_alu instid0(SALU_CYCLE_1)
	s_mov_b32 s1, exec_lo
	v_cmpx_gt_u32_e64 s23, v34
	s_cbranch_execz .LBB780_185
.LBB780_150:
	s_mov_b32 s2, exec_lo
                                        ; implicit-def: $vgpr5_vgpr6
	v_cmpx_ge_u32_e64 v34, v16
	s_wait_alu 0xfffe
	s_xor_b32 s2, exec_lo, s2
	s_cbranch_execz .LBB780_152
; %bb.151:
	s_wait_dscnt 0x3
	v_xor_b32_e32 v5, 0xfffff7ff, v0
                                        ; implicit-def: $vgpr34
	s_delay_alu instid0(VALU_DEP_1) | instskip(SKIP_2) | instid1(VALU_DEP_2)
	v_ashrrev_i32_e32 v6, 31, v5
	v_add_co_u32 v5, vcc_lo, v19, v5
	s_wait_alu 0xfffd
	v_add_co_ci_u32_e64 v6, null, v20, v6, vcc_lo
.LBB780_152:
	s_wait_alu 0xfffe
	s_and_not1_saveexec_b32 s2, s2
	s_cbranch_execz .LBB780_154
; %bb.153:
	s_wait_dscnt 0x3
	v_add_co_u32 v5, vcc_lo, v15, v34
	s_wait_alu 0xfffd
	v_add_co_ci_u32_e64 v6, null, 0, v17, vcc_lo
.LBB780_154:
	s_wait_alu 0xfffe
	s_or_b32 exec_lo, exec_lo, s2
	s_wait_dscnt 0x3
	s_delay_alu instid0(VALU_DEP_1) | instskip(NEXT) | instid1(VALU_DEP_1)
	v_lshlrev_b64_e32 v[5:6], 2, v[5:6]
	v_add_co_u32 v5, vcc_lo, s10, v5
	s_wait_alu 0xfffd
	s_delay_alu instid0(VALU_DEP_2) | instskip(SKIP_3) | instid1(SALU_CYCLE_1)
	v_add_co_ci_u32_e64 v6, null, s11, v6, vcc_lo
	s_wait_dscnt 0x2
	global_store_b32 v[5:6], v3, off
	s_or_b32 exec_lo, exec_lo, s1
	s_mov_b32 s1, exec_lo
	v_cmpx_gt_u32_e64 s23, v33
	s_cbranch_execnz .LBB780_186
.LBB780_155:
	s_wait_alu 0xfffe
	s_or_b32 exec_lo, exec_lo, s1
	s_delay_alu instid0(SALU_CYCLE_1)
	s_mov_b32 s1, exec_lo
	v_cmpx_gt_u32_e64 s23, v32
	s_cbranch_execz .LBB780_191
.LBB780_156:
	s_mov_b32 s2, exec_lo
                                        ; implicit-def: $vgpr3_vgpr4
	v_cmpx_ge_u32_e64 v32, v16
	s_wait_alu 0xfffe
	s_xor_b32 s2, exec_lo, s2
	s_cbranch_execz .LBB780_158
; %bb.157:
	s_wait_dscnt 0x2
	v_xor_b32_e32 v3, 0xfffff5ff, v0
                                        ; implicit-def: $vgpr32
	s_delay_alu instid0(VALU_DEP_1) | instskip(SKIP_2) | instid1(VALU_DEP_2)
	v_ashrrev_i32_e32 v4, 31, v3
	v_add_co_u32 v3, vcc_lo, v19, v3
	s_wait_alu 0xfffd
	v_add_co_ci_u32_e64 v4, null, v20, v4, vcc_lo
.LBB780_158:
	s_wait_alu 0xfffe
	s_and_not1_saveexec_b32 s2, s2
	s_cbranch_execz .LBB780_160
; %bb.159:
	s_wait_dscnt 0x2
	v_add_co_u32 v3, vcc_lo, v15, v32
	s_wait_alu 0xfffd
	v_add_co_ci_u32_e64 v4, null, 0, v17, vcc_lo
.LBB780_160:
	s_wait_alu 0xfffe
	s_or_b32 exec_lo, exec_lo, s2
	s_wait_dscnt 0x2
	s_delay_alu instid0(VALU_DEP_1) | instskip(NEXT) | instid1(VALU_DEP_1)
	v_lshlrev_b64_e32 v[3:4], 2, v[3:4]
	v_add_co_u32 v3, vcc_lo, s10, v3
	s_wait_alu 0xfffd
	s_delay_alu instid0(VALU_DEP_2) | instskip(SKIP_3) | instid1(SALU_CYCLE_1)
	v_add_co_ci_u32_e64 v4, null, s11, v4, vcc_lo
	s_wait_dscnt 0x1
	global_store_b32 v[3:4], v1, off
	s_or_b32 exec_lo, exec_lo, s1
	s_mov_b32 s1, exec_lo
	v_cmpx_gt_u32_e64 s23, v31
	s_cbranch_execz .LBB780_197
	s_branch .LBB780_192
.LBB780_161:
	s_wait_alu 0xfffe
	s_or_b32 exec_lo, exec_lo, s1
	s_delay_alu instid0(SALU_CYCLE_1)
	s_mov_b32 s1, exec_lo
	v_cmpx_gt_u32_e64 s23, v41
	s_cbranch_execz .LBB780_131
.LBB780_162:
	s_mov_b32 s2, exec_lo
                                        ; implicit-def: $vgpr13_vgpr14
	v_cmpx_ge_u32_e64 v41, v16
	s_wait_alu 0xfffe
	s_xor_b32 s2, exec_lo, s2
	s_cbranch_execz .LBB780_164
; %bb.163:
	s_wait_dscnt 0x6
	v_xor_b32_e32 v11, 0xfffffeff, v0
                                        ; implicit-def: $vgpr41
	s_delay_alu instid0(VALU_DEP_1) | instskip(SKIP_2) | instid1(VALU_DEP_2)
	v_ashrrev_i32_e32 v14, 31, v11
	v_add_co_u32 v13, vcc_lo, v19, v11
	s_wait_alu 0xfffd
	v_add_co_ci_u32_e64 v14, null, v20, v14, vcc_lo
.LBB780_164:
	s_wait_alu 0xfffe
	s_and_not1_saveexec_b32 s2, s2
; %bb.165:
	v_add_co_u32 v13, vcc_lo, v15, v41
	s_wait_alu 0xfffd
	v_add_co_ci_u32_e64 v14, null, 0, v17, vcc_lo
; %bb.166:
	s_wait_alu 0xfffe
	s_or_b32 exec_lo, exec_lo, s2
	s_delay_alu instid0(VALU_DEP_1) | instskip(NEXT) | instid1(VALU_DEP_1)
	v_lshlrev_b64_e32 v[13:14], 2, v[13:14]
	v_add_co_u32 v13, vcc_lo, s10, v13
	s_wait_alu 0xfffd
	s_delay_alu instid0(VALU_DEP_2) | instskip(SKIP_3) | instid1(SALU_CYCLE_1)
	v_add_co_ci_u32_e64 v14, null, s11, v14, vcc_lo
	s_wait_dscnt 0x6
	global_store_b32 v[13:14], v12, off
	s_or_b32 exec_lo, exec_lo, s1
	s_mov_b32 s1, exec_lo
	v_cmpx_gt_u32_e64 s23, v40
	s_cbranch_execnz .LBB780_132
.LBB780_167:
	s_wait_alu 0xfffe
	s_or_b32 exec_lo, exec_lo, s1
	s_delay_alu instid0(SALU_CYCLE_1)
	s_mov_b32 s1, exec_lo
	v_cmpx_gt_u32_e64 s23, v39
	s_cbranch_execz .LBB780_137
.LBB780_168:
	s_mov_b32 s2, exec_lo
                                        ; implicit-def: $vgpr11_vgpr12
	v_cmpx_ge_u32_e64 v39, v16
	s_wait_alu 0xfffe
	s_xor_b32 s2, exec_lo, s2
	s_cbranch_execz .LBB780_170
; %bb.169:
	s_wait_dscnt 0x5
	v_xor_b32_e32 v9, 0xfffffcff, v0
                                        ; implicit-def: $vgpr39
	s_delay_alu instid0(VALU_DEP_1) | instskip(SKIP_2) | instid1(VALU_DEP_2)
	v_ashrrev_i32_e32 v12, 31, v9
	v_add_co_u32 v11, vcc_lo, v19, v9
	s_wait_alu 0xfffd
	v_add_co_ci_u32_e64 v12, null, v20, v12, vcc_lo
.LBB780_170:
	s_wait_alu 0xfffe
	s_and_not1_saveexec_b32 s2, s2
	s_cbranch_execz .LBB780_172
; %bb.171:
	s_wait_dscnt 0x6
	v_add_co_u32 v11, vcc_lo, v15, v39
	s_wait_alu 0xfffd
	v_add_co_ci_u32_e64 v12, null, 0, v17, vcc_lo
.LBB780_172:
	s_wait_alu 0xfffe
	s_or_b32 exec_lo, exec_lo, s2
	s_wait_dscnt 0x6
	s_delay_alu instid0(VALU_DEP_1) | instskip(NEXT) | instid1(VALU_DEP_1)
	v_lshlrev_b64_e32 v[11:12], 2, v[11:12]
	v_add_co_u32 v11, vcc_lo, s10, v11
	s_wait_alu 0xfffd
	s_delay_alu instid0(VALU_DEP_2) | instskip(SKIP_3) | instid1(SALU_CYCLE_1)
	v_add_co_ci_u32_e64 v12, null, s11, v12, vcc_lo
	s_wait_dscnt 0x5
	global_store_b32 v[11:12], v10, off
	s_or_b32 exec_lo, exec_lo, s1
	s_mov_b32 s1, exec_lo
	v_cmpx_gt_u32_e64 s23, v38
	s_cbranch_execnz .LBB780_138
.LBB780_173:
	s_wait_alu 0xfffe
	s_or_b32 exec_lo, exec_lo, s1
	s_delay_alu instid0(SALU_CYCLE_1)
	s_mov_b32 s1, exec_lo
	v_cmpx_gt_u32_e64 s23, v37
	s_cbranch_execz .LBB780_143
.LBB780_174:
	s_mov_b32 s2, exec_lo
                                        ; implicit-def: $vgpr9_vgpr10
	v_cmpx_ge_u32_e64 v37, v16
	s_wait_alu 0xfffe
	s_xor_b32 s2, exec_lo, s2
	s_cbranch_execz .LBB780_176
; %bb.175:
	s_wait_dscnt 0x4
	v_xor_b32_e32 v7, 0xfffffaff, v0
                                        ; implicit-def: $vgpr37
	s_delay_alu instid0(VALU_DEP_1) | instskip(SKIP_2) | instid1(VALU_DEP_2)
	v_ashrrev_i32_e32 v10, 31, v7
	v_add_co_u32 v9, vcc_lo, v19, v7
	s_wait_alu 0xfffd
	v_add_co_ci_u32_e64 v10, null, v20, v10, vcc_lo
.LBB780_176:
	s_wait_alu 0xfffe
	s_and_not1_saveexec_b32 s2, s2
	s_cbranch_execz .LBB780_178
; %bb.177:
	s_wait_dscnt 0x5
	v_add_co_u32 v9, vcc_lo, v15, v37
	s_wait_alu 0xfffd
	v_add_co_ci_u32_e64 v10, null, 0, v17, vcc_lo
.LBB780_178:
	s_wait_alu 0xfffe
	s_or_b32 exec_lo, exec_lo, s2
	s_wait_dscnt 0x5
	s_delay_alu instid0(VALU_DEP_1) | instskip(NEXT) | instid1(VALU_DEP_1)
	v_lshlrev_b64_e32 v[9:10], 2, v[9:10]
	v_add_co_u32 v9, vcc_lo, s10, v9
	s_wait_alu 0xfffd
	s_delay_alu instid0(VALU_DEP_2) | instskip(SKIP_3) | instid1(SALU_CYCLE_1)
	v_add_co_ci_u32_e64 v10, null, s11, v10, vcc_lo
	s_wait_dscnt 0x4
	global_store_b32 v[9:10], v8, off
	s_or_b32 exec_lo, exec_lo, s1
	s_mov_b32 s1, exec_lo
	v_cmpx_gt_u32_e64 s23, v36
	s_cbranch_execnz .LBB780_144
.LBB780_179:
	s_wait_alu 0xfffe
	s_or_b32 exec_lo, exec_lo, s1
	s_delay_alu instid0(SALU_CYCLE_1)
	s_mov_b32 s1, exec_lo
	v_cmpx_gt_u32_e64 s23, v35
	s_cbranch_execz .LBB780_149
.LBB780_180:
	s_mov_b32 s2, exec_lo
                                        ; implicit-def: $vgpr7_vgpr8
	v_cmpx_ge_u32_e64 v35, v16
	s_wait_alu 0xfffe
	s_xor_b32 s2, exec_lo, s2
	s_cbranch_execz .LBB780_182
; %bb.181:
	s_wait_dscnt 0x3
	v_xor_b32_e32 v5, 0xfffff8ff, v0
                                        ; implicit-def: $vgpr35
	s_delay_alu instid0(VALU_DEP_1) | instskip(SKIP_2) | instid1(VALU_DEP_2)
	v_ashrrev_i32_e32 v8, 31, v5
	v_add_co_u32 v7, vcc_lo, v19, v5
	s_wait_alu 0xfffd
	v_add_co_ci_u32_e64 v8, null, v20, v8, vcc_lo
.LBB780_182:
	s_wait_alu 0xfffe
	s_and_not1_saveexec_b32 s2, s2
	s_cbranch_execz .LBB780_184
; %bb.183:
	s_wait_dscnt 0x4
	v_add_co_u32 v7, vcc_lo, v15, v35
	s_wait_alu 0xfffd
	v_add_co_ci_u32_e64 v8, null, 0, v17, vcc_lo
.LBB780_184:
	s_wait_alu 0xfffe
	s_or_b32 exec_lo, exec_lo, s2
	s_wait_dscnt 0x4
	s_delay_alu instid0(VALU_DEP_1) | instskip(NEXT) | instid1(VALU_DEP_1)
	v_lshlrev_b64_e32 v[7:8], 2, v[7:8]
	v_add_co_u32 v7, vcc_lo, s10, v7
	s_wait_alu 0xfffd
	s_delay_alu instid0(VALU_DEP_2) | instskip(SKIP_3) | instid1(SALU_CYCLE_1)
	v_add_co_ci_u32_e64 v8, null, s11, v8, vcc_lo
	s_wait_dscnt 0x3
	global_store_b32 v[7:8], v6, off
	s_or_b32 exec_lo, exec_lo, s1
	s_mov_b32 s1, exec_lo
	v_cmpx_gt_u32_e64 s23, v34
	s_cbranch_execnz .LBB780_150
.LBB780_185:
	s_wait_alu 0xfffe
	s_or_b32 exec_lo, exec_lo, s1
	s_delay_alu instid0(SALU_CYCLE_1)
	s_mov_b32 s1, exec_lo
	v_cmpx_gt_u32_e64 s23, v33
	s_cbranch_execz .LBB780_155
.LBB780_186:
	s_mov_b32 s2, exec_lo
                                        ; implicit-def: $vgpr5_vgpr6
	v_cmpx_ge_u32_e64 v33, v16
	s_wait_alu 0xfffe
	s_xor_b32 s2, exec_lo, s2
	s_cbranch_execz .LBB780_188
; %bb.187:
	s_wait_dscnt 0x2
	v_xor_b32_e32 v3, 0xfffff6ff, v0
                                        ; implicit-def: $vgpr33
	s_delay_alu instid0(VALU_DEP_1) | instskip(SKIP_2) | instid1(VALU_DEP_2)
	v_ashrrev_i32_e32 v6, 31, v3
	v_add_co_u32 v5, vcc_lo, v19, v3
	s_wait_alu 0xfffd
	v_add_co_ci_u32_e64 v6, null, v20, v6, vcc_lo
.LBB780_188:
	s_wait_alu 0xfffe
	s_and_not1_saveexec_b32 s2, s2
	s_cbranch_execz .LBB780_190
; %bb.189:
	s_wait_dscnt 0x3
	v_add_co_u32 v5, vcc_lo, v15, v33
	s_wait_alu 0xfffd
	v_add_co_ci_u32_e64 v6, null, 0, v17, vcc_lo
.LBB780_190:
	s_wait_alu 0xfffe
	s_or_b32 exec_lo, exec_lo, s2
	s_wait_dscnt 0x3
	s_delay_alu instid0(VALU_DEP_1) | instskip(NEXT) | instid1(VALU_DEP_1)
	v_lshlrev_b64_e32 v[5:6], 2, v[5:6]
	v_add_co_u32 v5, vcc_lo, s10, v5
	s_wait_alu 0xfffd
	s_delay_alu instid0(VALU_DEP_2) | instskip(SKIP_3) | instid1(SALU_CYCLE_1)
	v_add_co_ci_u32_e64 v6, null, s11, v6, vcc_lo
	s_wait_dscnt 0x2
	global_store_b32 v[5:6], v4, off
	s_or_b32 exec_lo, exec_lo, s1
	s_mov_b32 s1, exec_lo
	v_cmpx_gt_u32_e64 s23, v32
	s_cbranch_execnz .LBB780_156
.LBB780_191:
	s_wait_alu 0xfffe
	s_or_b32 exec_lo, exec_lo, s1
	s_delay_alu instid0(SALU_CYCLE_1)
	s_mov_b32 s1, exec_lo
	v_cmpx_gt_u32_e64 s23, v31
	s_cbranch_execz .LBB780_197
.LBB780_192:
	s_mov_b32 s2, exec_lo
                                        ; implicit-def: $vgpr3_vgpr4
	v_cmpx_ge_u32_e64 v31, v16
	s_wait_alu 0xfffe
	s_xor_b32 s2, exec_lo, s2
	s_cbranch_execz .LBB780_194
; %bb.193:
	s_wait_dscnt 0x1
	v_xor_b32_e32 v1, 0xfffff4ff, v0
                                        ; implicit-def: $vgpr31
	s_delay_alu instid0(VALU_DEP_1) | instskip(SKIP_2) | instid1(VALU_DEP_2)
	v_ashrrev_i32_e32 v4, 31, v1
	v_add_co_u32 v3, vcc_lo, v19, v1
	s_wait_alu 0xfffd
	v_add_co_ci_u32_e64 v4, null, v20, v4, vcc_lo
.LBB780_194:
	s_wait_alu 0xfffe
	s_and_not1_saveexec_b32 s2, s2
	s_cbranch_execz .LBB780_196
; %bb.195:
	s_wait_dscnt 0x2
	v_add_co_u32 v3, vcc_lo, v15, v31
	s_wait_alu 0xfffd
	v_add_co_ci_u32_e64 v4, null, 0, v17, vcc_lo
.LBB780_196:
	s_wait_alu 0xfffe
	s_or_b32 exec_lo, exec_lo, s2
	s_wait_dscnt 0x2
	s_delay_alu instid0(VALU_DEP_1) | instskip(NEXT) | instid1(VALU_DEP_1)
	v_lshlrev_b64_e32 v[3:4], 2, v[3:4]
	v_add_co_u32 v3, vcc_lo, s10, v3
	s_wait_alu 0xfffd
	s_delay_alu instid0(VALU_DEP_2)
	v_add_co_ci_u32_e64 v4, null, s11, v4, vcc_lo
	s_wait_dscnt 0x1
	global_store_b32 v[3:4], v2, off
.LBB780_197:
	s_wait_alu 0xfffe
	s_or_b32 exec_lo, exec_lo, s1
	s_delay_alu instid0(SALU_CYCLE_1)
	s_mov_b32 s1, exec_lo
                                        ; implicit-def: $vgpr13_vgpr14
	v_cmpx_gt_u32_e64 s23, v30
	s_cbranch_execz .LBB780_203
; %bb.198:
	s_mov_b32 s2, exec_lo
                                        ; implicit-def: $vgpr13_vgpr14
	v_cmpx_ge_u32_e64 v30, v16
	s_wait_alu 0xfffe
	s_xor_b32 s2, exec_lo, s2
	s_cbranch_execz .LBB780_200
; %bb.199:
	s_wait_dscnt 0x1
	v_xor_b32_e32 v1, 0xfffff3ff, v0
                                        ; implicit-def: $vgpr30
	s_delay_alu instid0(VALU_DEP_1) | instskip(SKIP_2) | instid1(VALU_DEP_2)
	v_ashrrev_i32_e32 v2, 31, v1
	v_add_co_u32 v13, vcc_lo, v19, v1
	s_wait_alu 0xfffd
	v_add_co_ci_u32_e64 v14, null, v20, v2, vcc_lo
.LBB780_200:
	s_wait_alu 0xfffe
	s_and_not1_saveexec_b32 s2, s2
; %bb.201:
	v_add_co_u32 v13, vcc_lo, v15, v30
	s_wait_alu 0xfffd
	v_add_co_ci_u32_e64 v14, null, 0, v17, vcc_lo
; %bb.202:
	s_wait_alu 0xfffe
	s_or_b32 exec_lo, exec_lo, s2
	s_delay_alu instid0(SALU_CYCLE_1)
	s_or_b32 s0, s0, exec_lo
.LBB780_203:
	s_wait_alu 0xfffe
	s_or_b32 exec_lo, exec_lo, s1
.LBB780_204:
	s_wait_alu 0xfffe
	s_and_saveexec_b32 s1, s0
	s_cbranch_execz .LBB780_206
; %bb.205:
	s_wait_dscnt 0x1
	v_lshlrev_b64_e32 v[1:2], 2, v[13:14]
	s_delay_alu instid0(VALU_DEP_1) | instskip(SKIP_1) | instid1(VALU_DEP_2)
	v_add_co_u32 v1, vcc_lo, s10, v1
	s_wait_alu 0xfffd
	v_add_co_ci_u32_e64 v2, null, s11, v2, vcc_lo
	s_wait_dscnt 0x0
	global_store_b32 v[1:2], v18, off
.LBB780_206:
	s_wait_alu 0xfffe
	s_or_b32 exec_lo, exec_lo, s1
	v_cmp_eq_u32_e32 vcc_lo, 0, v0
	s_and_b32 s0, vcc_lo, s22
	s_wait_alu 0xfffe
	s_and_saveexec_b32 s1, s0
	s_cbranch_execz .LBB780_208
; %bb.207:
	v_add_co_u32 v0, vcc_lo, v15, v16
	s_wait_dscnt 0x1
	v_mov_b32_e32 v2, 0
	s_wait_alu 0xfffd
	v_add_co_ci_u32_e64 v1, null, 0, v17, vcc_lo
	global_store_b64 v2, v[0:1], s[8:9]
.LBB780_208:
	s_endpgm
	.section	.rodata,"a",@progbits
	.p2align	6, 0x0
	.amdhsa_kernel _ZN7rocprim17ROCPRIM_400000_NS6detail17trampoline_kernelINS0_13select_configILj256ELj13ELNS0_17block_load_methodE3ELS4_3ELS4_3ELNS0_20block_scan_algorithmE0ELj4294967295EEENS1_25partition_config_selectorILNS1_17partition_subalgoE3EjNS0_10empty_typeEbEEZZNS1_14partition_implILS8_3ELb0ES6_jNS0_17counting_iteratorIjlEEPS9_SE_NS0_5tupleIJPjSE_EEENSF_IJSE_SE_EEES9_SG_JZNS1_25segmented_radix_sort_implINS0_14default_configELb0EPKlPlSM_SN_N2at6native12_GLOBAL__N_18offset_tEEE10hipError_tPvRmT1_PNSt15iterator_traitsISV_E10value_typeET2_T3_PNSW_IS11_E10value_typeET4_jRbjT5_S17_jjP12ihipStream_tbEUljE_EEESS_ST_SU_S11_S15_S17_T6_T7_T9_mT8_S19_bDpT10_ENKUlT_T0_E_clISt17integral_constantIbLb0EES1M_EEDaS1H_S1I_EUlS1H_E_NS1_11comp_targetILNS1_3genE10ELNS1_11target_archE1200ELNS1_3gpuE4ELNS1_3repE0EEENS1_30default_config_static_selectorELNS0_4arch9wavefront6targetE0EEEvSV_
		.amdhsa_group_segment_fixed_size 13320
		.amdhsa_private_segment_fixed_size 0
		.amdhsa_kernarg_size 144
		.amdhsa_user_sgpr_count 2
		.amdhsa_user_sgpr_dispatch_ptr 0
		.amdhsa_user_sgpr_queue_ptr 0
		.amdhsa_user_sgpr_kernarg_segment_ptr 1
		.amdhsa_user_sgpr_dispatch_id 0
		.amdhsa_user_sgpr_private_segment_size 0
		.amdhsa_wavefront_size32 1
		.amdhsa_uses_dynamic_stack 0
		.amdhsa_enable_private_segment 0
		.amdhsa_system_sgpr_workgroup_id_x 1
		.amdhsa_system_sgpr_workgroup_id_y 0
		.amdhsa_system_sgpr_workgroup_id_z 0
		.amdhsa_system_sgpr_workgroup_info 0
		.amdhsa_system_vgpr_workitem_id 0
		.amdhsa_next_free_vgpr 69
		.amdhsa_next_free_sgpr 26
		.amdhsa_reserve_vcc 1
		.amdhsa_float_round_mode_32 0
		.amdhsa_float_round_mode_16_64 0
		.amdhsa_float_denorm_mode_32 3
		.amdhsa_float_denorm_mode_16_64 3
		.amdhsa_fp16_overflow 0
		.amdhsa_workgroup_processor_mode 1
		.amdhsa_memory_ordered 1
		.amdhsa_forward_progress 1
		.amdhsa_inst_pref_size 84
		.amdhsa_round_robin_scheduling 0
		.amdhsa_exception_fp_ieee_invalid_op 0
		.amdhsa_exception_fp_denorm_src 0
		.amdhsa_exception_fp_ieee_div_zero 0
		.amdhsa_exception_fp_ieee_overflow 0
		.amdhsa_exception_fp_ieee_underflow 0
		.amdhsa_exception_fp_ieee_inexact 0
		.amdhsa_exception_int_div_zero 0
	.end_amdhsa_kernel
	.section	.text._ZN7rocprim17ROCPRIM_400000_NS6detail17trampoline_kernelINS0_13select_configILj256ELj13ELNS0_17block_load_methodE3ELS4_3ELS4_3ELNS0_20block_scan_algorithmE0ELj4294967295EEENS1_25partition_config_selectorILNS1_17partition_subalgoE3EjNS0_10empty_typeEbEEZZNS1_14partition_implILS8_3ELb0ES6_jNS0_17counting_iteratorIjlEEPS9_SE_NS0_5tupleIJPjSE_EEENSF_IJSE_SE_EEES9_SG_JZNS1_25segmented_radix_sort_implINS0_14default_configELb0EPKlPlSM_SN_N2at6native12_GLOBAL__N_18offset_tEEE10hipError_tPvRmT1_PNSt15iterator_traitsISV_E10value_typeET2_T3_PNSW_IS11_E10value_typeET4_jRbjT5_S17_jjP12ihipStream_tbEUljE_EEESS_ST_SU_S11_S15_S17_T6_T7_T9_mT8_S19_bDpT10_ENKUlT_T0_E_clISt17integral_constantIbLb0EES1M_EEDaS1H_S1I_EUlS1H_E_NS1_11comp_targetILNS1_3genE10ELNS1_11target_archE1200ELNS1_3gpuE4ELNS1_3repE0EEENS1_30default_config_static_selectorELNS0_4arch9wavefront6targetE0EEEvSV_,"axG",@progbits,_ZN7rocprim17ROCPRIM_400000_NS6detail17trampoline_kernelINS0_13select_configILj256ELj13ELNS0_17block_load_methodE3ELS4_3ELS4_3ELNS0_20block_scan_algorithmE0ELj4294967295EEENS1_25partition_config_selectorILNS1_17partition_subalgoE3EjNS0_10empty_typeEbEEZZNS1_14partition_implILS8_3ELb0ES6_jNS0_17counting_iteratorIjlEEPS9_SE_NS0_5tupleIJPjSE_EEENSF_IJSE_SE_EEES9_SG_JZNS1_25segmented_radix_sort_implINS0_14default_configELb0EPKlPlSM_SN_N2at6native12_GLOBAL__N_18offset_tEEE10hipError_tPvRmT1_PNSt15iterator_traitsISV_E10value_typeET2_T3_PNSW_IS11_E10value_typeET4_jRbjT5_S17_jjP12ihipStream_tbEUljE_EEESS_ST_SU_S11_S15_S17_T6_T7_T9_mT8_S19_bDpT10_ENKUlT_T0_E_clISt17integral_constantIbLb0EES1M_EEDaS1H_S1I_EUlS1H_E_NS1_11comp_targetILNS1_3genE10ELNS1_11target_archE1200ELNS1_3gpuE4ELNS1_3repE0EEENS1_30default_config_static_selectorELNS0_4arch9wavefront6targetE0EEEvSV_,comdat
.Lfunc_end780:
	.size	_ZN7rocprim17ROCPRIM_400000_NS6detail17trampoline_kernelINS0_13select_configILj256ELj13ELNS0_17block_load_methodE3ELS4_3ELS4_3ELNS0_20block_scan_algorithmE0ELj4294967295EEENS1_25partition_config_selectorILNS1_17partition_subalgoE3EjNS0_10empty_typeEbEEZZNS1_14partition_implILS8_3ELb0ES6_jNS0_17counting_iteratorIjlEEPS9_SE_NS0_5tupleIJPjSE_EEENSF_IJSE_SE_EEES9_SG_JZNS1_25segmented_radix_sort_implINS0_14default_configELb0EPKlPlSM_SN_N2at6native12_GLOBAL__N_18offset_tEEE10hipError_tPvRmT1_PNSt15iterator_traitsISV_E10value_typeET2_T3_PNSW_IS11_E10value_typeET4_jRbjT5_S17_jjP12ihipStream_tbEUljE_EEESS_ST_SU_S11_S15_S17_T6_T7_T9_mT8_S19_bDpT10_ENKUlT_T0_E_clISt17integral_constantIbLb0EES1M_EEDaS1H_S1I_EUlS1H_E_NS1_11comp_targetILNS1_3genE10ELNS1_11target_archE1200ELNS1_3gpuE4ELNS1_3repE0EEENS1_30default_config_static_selectorELNS0_4arch9wavefront6targetE0EEEvSV_, .Lfunc_end780-_ZN7rocprim17ROCPRIM_400000_NS6detail17trampoline_kernelINS0_13select_configILj256ELj13ELNS0_17block_load_methodE3ELS4_3ELS4_3ELNS0_20block_scan_algorithmE0ELj4294967295EEENS1_25partition_config_selectorILNS1_17partition_subalgoE3EjNS0_10empty_typeEbEEZZNS1_14partition_implILS8_3ELb0ES6_jNS0_17counting_iteratorIjlEEPS9_SE_NS0_5tupleIJPjSE_EEENSF_IJSE_SE_EEES9_SG_JZNS1_25segmented_radix_sort_implINS0_14default_configELb0EPKlPlSM_SN_N2at6native12_GLOBAL__N_18offset_tEEE10hipError_tPvRmT1_PNSt15iterator_traitsISV_E10value_typeET2_T3_PNSW_IS11_E10value_typeET4_jRbjT5_S17_jjP12ihipStream_tbEUljE_EEESS_ST_SU_S11_S15_S17_T6_T7_T9_mT8_S19_bDpT10_ENKUlT_T0_E_clISt17integral_constantIbLb0EES1M_EEDaS1H_S1I_EUlS1H_E_NS1_11comp_targetILNS1_3genE10ELNS1_11target_archE1200ELNS1_3gpuE4ELNS1_3repE0EEENS1_30default_config_static_selectorELNS0_4arch9wavefront6targetE0EEEvSV_
                                        ; -- End function
	.set _ZN7rocprim17ROCPRIM_400000_NS6detail17trampoline_kernelINS0_13select_configILj256ELj13ELNS0_17block_load_methodE3ELS4_3ELS4_3ELNS0_20block_scan_algorithmE0ELj4294967295EEENS1_25partition_config_selectorILNS1_17partition_subalgoE3EjNS0_10empty_typeEbEEZZNS1_14partition_implILS8_3ELb0ES6_jNS0_17counting_iteratorIjlEEPS9_SE_NS0_5tupleIJPjSE_EEENSF_IJSE_SE_EEES9_SG_JZNS1_25segmented_radix_sort_implINS0_14default_configELb0EPKlPlSM_SN_N2at6native12_GLOBAL__N_18offset_tEEE10hipError_tPvRmT1_PNSt15iterator_traitsISV_E10value_typeET2_T3_PNSW_IS11_E10value_typeET4_jRbjT5_S17_jjP12ihipStream_tbEUljE_EEESS_ST_SU_S11_S15_S17_T6_T7_T9_mT8_S19_bDpT10_ENKUlT_T0_E_clISt17integral_constantIbLb0EES1M_EEDaS1H_S1I_EUlS1H_E_NS1_11comp_targetILNS1_3genE10ELNS1_11target_archE1200ELNS1_3gpuE4ELNS1_3repE0EEENS1_30default_config_static_selectorELNS0_4arch9wavefront6targetE0EEEvSV_.num_vgpr, 69
	.set _ZN7rocprim17ROCPRIM_400000_NS6detail17trampoline_kernelINS0_13select_configILj256ELj13ELNS0_17block_load_methodE3ELS4_3ELS4_3ELNS0_20block_scan_algorithmE0ELj4294967295EEENS1_25partition_config_selectorILNS1_17partition_subalgoE3EjNS0_10empty_typeEbEEZZNS1_14partition_implILS8_3ELb0ES6_jNS0_17counting_iteratorIjlEEPS9_SE_NS0_5tupleIJPjSE_EEENSF_IJSE_SE_EEES9_SG_JZNS1_25segmented_radix_sort_implINS0_14default_configELb0EPKlPlSM_SN_N2at6native12_GLOBAL__N_18offset_tEEE10hipError_tPvRmT1_PNSt15iterator_traitsISV_E10value_typeET2_T3_PNSW_IS11_E10value_typeET4_jRbjT5_S17_jjP12ihipStream_tbEUljE_EEESS_ST_SU_S11_S15_S17_T6_T7_T9_mT8_S19_bDpT10_ENKUlT_T0_E_clISt17integral_constantIbLb0EES1M_EEDaS1H_S1I_EUlS1H_E_NS1_11comp_targetILNS1_3genE10ELNS1_11target_archE1200ELNS1_3gpuE4ELNS1_3repE0EEENS1_30default_config_static_selectorELNS0_4arch9wavefront6targetE0EEEvSV_.num_agpr, 0
	.set _ZN7rocprim17ROCPRIM_400000_NS6detail17trampoline_kernelINS0_13select_configILj256ELj13ELNS0_17block_load_methodE3ELS4_3ELS4_3ELNS0_20block_scan_algorithmE0ELj4294967295EEENS1_25partition_config_selectorILNS1_17partition_subalgoE3EjNS0_10empty_typeEbEEZZNS1_14partition_implILS8_3ELb0ES6_jNS0_17counting_iteratorIjlEEPS9_SE_NS0_5tupleIJPjSE_EEENSF_IJSE_SE_EEES9_SG_JZNS1_25segmented_radix_sort_implINS0_14default_configELb0EPKlPlSM_SN_N2at6native12_GLOBAL__N_18offset_tEEE10hipError_tPvRmT1_PNSt15iterator_traitsISV_E10value_typeET2_T3_PNSW_IS11_E10value_typeET4_jRbjT5_S17_jjP12ihipStream_tbEUljE_EEESS_ST_SU_S11_S15_S17_T6_T7_T9_mT8_S19_bDpT10_ENKUlT_T0_E_clISt17integral_constantIbLb0EES1M_EEDaS1H_S1I_EUlS1H_E_NS1_11comp_targetILNS1_3genE10ELNS1_11target_archE1200ELNS1_3gpuE4ELNS1_3repE0EEENS1_30default_config_static_selectorELNS0_4arch9wavefront6targetE0EEEvSV_.numbered_sgpr, 26
	.set _ZN7rocprim17ROCPRIM_400000_NS6detail17trampoline_kernelINS0_13select_configILj256ELj13ELNS0_17block_load_methodE3ELS4_3ELS4_3ELNS0_20block_scan_algorithmE0ELj4294967295EEENS1_25partition_config_selectorILNS1_17partition_subalgoE3EjNS0_10empty_typeEbEEZZNS1_14partition_implILS8_3ELb0ES6_jNS0_17counting_iteratorIjlEEPS9_SE_NS0_5tupleIJPjSE_EEENSF_IJSE_SE_EEES9_SG_JZNS1_25segmented_radix_sort_implINS0_14default_configELb0EPKlPlSM_SN_N2at6native12_GLOBAL__N_18offset_tEEE10hipError_tPvRmT1_PNSt15iterator_traitsISV_E10value_typeET2_T3_PNSW_IS11_E10value_typeET4_jRbjT5_S17_jjP12ihipStream_tbEUljE_EEESS_ST_SU_S11_S15_S17_T6_T7_T9_mT8_S19_bDpT10_ENKUlT_T0_E_clISt17integral_constantIbLb0EES1M_EEDaS1H_S1I_EUlS1H_E_NS1_11comp_targetILNS1_3genE10ELNS1_11target_archE1200ELNS1_3gpuE4ELNS1_3repE0EEENS1_30default_config_static_selectorELNS0_4arch9wavefront6targetE0EEEvSV_.num_named_barrier, 0
	.set _ZN7rocprim17ROCPRIM_400000_NS6detail17trampoline_kernelINS0_13select_configILj256ELj13ELNS0_17block_load_methodE3ELS4_3ELS4_3ELNS0_20block_scan_algorithmE0ELj4294967295EEENS1_25partition_config_selectorILNS1_17partition_subalgoE3EjNS0_10empty_typeEbEEZZNS1_14partition_implILS8_3ELb0ES6_jNS0_17counting_iteratorIjlEEPS9_SE_NS0_5tupleIJPjSE_EEENSF_IJSE_SE_EEES9_SG_JZNS1_25segmented_radix_sort_implINS0_14default_configELb0EPKlPlSM_SN_N2at6native12_GLOBAL__N_18offset_tEEE10hipError_tPvRmT1_PNSt15iterator_traitsISV_E10value_typeET2_T3_PNSW_IS11_E10value_typeET4_jRbjT5_S17_jjP12ihipStream_tbEUljE_EEESS_ST_SU_S11_S15_S17_T6_T7_T9_mT8_S19_bDpT10_ENKUlT_T0_E_clISt17integral_constantIbLb0EES1M_EEDaS1H_S1I_EUlS1H_E_NS1_11comp_targetILNS1_3genE10ELNS1_11target_archE1200ELNS1_3gpuE4ELNS1_3repE0EEENS1_30default_config_static_selectorELNS0_4arch9wavefront6targetE0EEEvSV_.private_seg_size, 0
	.set _ZN7rocprim17ROCPRIM_400000_NS6detail17trampoline_kernelINS0_13select_configILj256ELj13ELNS0_17block_load_methodE3ELS4_3ELS4_3ELNS0_20block_scan_algorithmE0ELj4294967295EEENS1_25partition_config_selectorILNS1_17partition_subalgoE3EjNS0_10empty_typeEbEEZZNS1_14partition_implILS8_3ELb0ES6_jNS0_17counting_iteratorIjlEEPS9_SE_NS0_5tupleIJPjSE_EEENSF_IJSE_SE_EEES9_SG_JZNS1_25segmented_radix_sort_implINS0_14default_configELb0EPKlPlSM_SN_N2at6native12_GLOBAL__N_18offset_tEEE10hipError_tPvRmT1_PNSt15iterator_traitsISV_E10value_typeET2_T3_PNSW_IS11_E10value_typeET4_jRbjT5_S17_jjP12ihipStream_tbEUljE_EEESS_ST_SU_S11_S15_S17_T6_T7_T9_mT8_S19_bDpT10_ENKUlT_T0_E_clISt17integral_constantIbLb0EES1M_EEDaS1H_S1I_EUlS1H_E_NS1_11comp_targetILNS1_3genE10ELNS1_11target_archE1200ELNS1_3gpuE4ELNS1_3repE0EEENS1_30default_config_static_selectorELNS0_4arch9wavefront6targetE0EEEvSV_.uses_vcc, 1
	.set _ZN7rocprim17ROCPRIM_400000_NS6detail17trampoline_kernelINS0_13select_configILj256ELj13ELNS0_17block_load_methodE3ELS4_3ELS4_3ELNS0_20block_scan_algorithmE0ELj4294967295EEENS1_25partition_config_selectorILNS1_17partition_subalgoE3EjNS0_10empty_typeEbEEZZNS1_14partition_implILS8_3ELb0ES6_jNS0_17counting_iteratorIjlEEPS9_SE_NS0_5tupleIJPjSE_EEENSF_IJSE_SE_EEES9_SG_JZNS1_25segmented_radix_sort_implINS0_14default_configELb0EPKlPlSM_SN_N2at6native12_GLOBAL__N_18offset_tEEE10hipError_tPvRmT1_PNSt15iterator_traitsISV_E10value_typeET2_T3_PNSW_IS11_E10value_typeET4_jRbjT5_S17_jjP12ihipStream_tbEUljE_EEESS_ST_SU_S11_S15_S17_T6_T7_T9_mT8_S19_bDpT10_ENKUlT_T0_E_clISt17integral_constantIbLb0EES1M_EEDaS1H_S1I_EUlS1H_E_NS1_11comp_targetILNS1_3genE10ELNS1_11target_archE1200ELNS1_3gpuE4ELNS1_3repE0EEENS1_30default_config_static_selectorELNS0_4arch9wavefront6targetE0EEEvSV_.uses_flat_scratch, 0
	.set _ZN7rocprim17ROCPRIM_400000_NS6detail17trampoline_kernelINS0_13select_configILj256ELj13ELNS0_17block_load_methodE3ELS4_3ELS4_3ELNS0_20block_scan_algorithmE0ELj4294967295EEENS1_25partition_config_selectorILNS1_17partition_subalgoE3EjNS0_10empty_typeEbEEZZNS1_14partition_implILS8_3ELb0ES6_jNS0_17counting_iteratorIjlEEPS9_SE_NS0_5tupleIJPjSE_EEENSF_IJSE_SE_EEES9_SG_JZNS1_25segmented_radix_sort_implINS0_14default_configELb0EPKlPlSM_SN_N2at6native12_GLOBAL__N_18offset_tEEE10hipError_tPvRmT1_PNSt15iterator_traitsISV_E10value_typeET2_T3_PNSW_IS11_E10value_typeET4_jRbjT5_S17_jjP12ihipStream_tbEUljE_EEESS_ST_SU_S11_S15_S17_T6_T7_T9_mT8_S19_bDpT10_ENKUlT_T0_E_clISt17integral_constantIbLb0EES1M_EEDaS1H_S1I_EUlS1H_E_NS1_11comp_targetILNS1_3genE10ELNS1_11target_archE1200ELNS1_3gpuE4ELNS1_3repE0EEENS1_30default_config_static_selectorELNS0_4arch9wavefront6targetE0EEEvSV_.has_dyn_sized_stack, 0
	.set _ZN7rocprim17ROCPRIM_400000_NS6detail17trampoline_kernelINS0_13select_configILj256ELj13ELNS0_17block_load_methodE3ELS4_3ELS4_3ELNS0_20block_scan_algorithmE0ELj4294967295EEENS1_25partition_config_selectorILNS1_17partition_subalgoE3EjNS0_10empty_typeEbEEZZNS1_14partition_implILS8_3ELb0ES6_jNS0_17counting_iteratorIjlEEPS9_SE_NS0_5tupleIJPjSE_EEENSF_IJSE_SE_EEES9_SG_JZNS1_25segmented_radix_sort_implINS0_14default_configELb0EPKlPlSM_SN_N2at6native12_GLOBAL__N_18offset_tEEE10hipError_tPvRmT1_PNSt15iterator_traitsISV_E10value_typeET2_T3_PNSW_IS11_E10value_typeET4_jRbjT5_S17_jjP12ihipStream_tbEUljE_EEESS_ST_SU_S11_S15_S17_T6_T7_T9_mT8_S19_bDpT10_ENKUlT_T0_E_clISt17integral_constantIbLb0EES1M_EEDaS1H_S1I_EUlS1H_E_NS1_11comp_targetILNS1_3genE10ELNS1_11target_archE1200ELNS1_3gpuE4ELNS1_3repE0EEENS1_30default_config_static_selectorELNS0_4arch9wavefront6targetE0EEEvSV_.has_recursion, 0
	.set _ZN7rocprim17ROCPRIM_400000_NS6detail17trampoline_kernelINS0_13select_configILj256ELj13ELNS0_17block_load_methodE3ELS4_3ELS4_3ELNS0_20block_scan_algorithmE0ELj4294967295EEENS1_25partition_config_selectorILNS1_17partition_subalgoE3EjNS0_10empty_typeEbEEZZNS1_14partition_implILS8_3ELb0ES6_jNS0_17counting_iteratorIjlEEPS9_SE_NS0_5tupleIJPjSE_EEENSF_IJSE_SE_EEES9_SG_JZNS1_25segmented_radix_sort_implINS0_14default_configELb0EPKlPlSM_SN_N2at6native12_GLOBAL__N_18offset_tEEE10hipError_tPvRmT1_PNSt15iterator_traitsISV_E10value_typeET2_T3_PNSW_IS11_E10value_typeET4_jRbjT5_S17_jjP12ihipStream_tbEUljE_EEESS_ST_SU_S11_S15_S17_T6_T7_T9_mT8_S19_bDpT10_ENKUlT_T0_E_clISt17integral_constantIbLb0EES1M_EEDaS1H_S1I_EUlS1H_E_NS1_11comp_targetILNS1_3genE10ELNS1_11target_archE1200ELNS1_3gpuE4ELNS1_3repE0EEENS1_30default_config_static_selectorELNS0_4arch9wavefront6targetE0EEEvSV_.has_indirect_call, 0
	.section	.AMDGPU.csdata,"",@progbits
; Kernel info:
; codeLenInByte = 10676
; TotalNumSgprs: 28
; NumVgprs: 69
; ScratchSize: 0
; MemoryBound: 0
; FloatMode: 240
; IeeeMode: 1
; LDSByteSize: 13320 bytes/workgroup (compile time only)
; SGPRBlocks: 0
; VGPRBlocks: 8
; NumSGPRsForWavesPerEU: 28
; NumVGPRsForWavesPerEU: 69
; Occupancy: 16
; WaveLimiterHint : 0
; COMPUTE_PGM_RSRC2:SCRATCH_EN: 0
; COMPUTE_PGM_RSRC2:USER_SGPR: 2
; COMPUTE_PGM_RSRC2:TRAP_HANDLER: 0
; COMPUTE_PGM_RSRC2:TGID_X_EN: 1
; COMPUTE_PGM_RSRC2:TGID_Y_EN: 0
; COMPUTE_PGM_RSRC2:TGID_Z_EN: 0
; COMPUTE_PGM_RSRC2:TIDIG_COMP_CNT: 0
	.section	.text._ZN7rocprim17ROCPRIM_400000_NS6detail17trampoline_kernelINS0_13select_configILj256ELj13ELNS0_17block_load_methodE3ELS4_3ELS4_3ELNS0_20block_scan_algorithmE0ELj4294967295EEENS1_25partition_config_selectorILNS1_17partition_subalgoE3EjNS0_10empty_typeEbEEZZNS1_14partition_implILS8_3ELb0ES6_jNS0_17counting_iteratorIjlEEPS9_SE_NS0_5tupleIJPjSE_EEENSF_IJSE_SE_EEES9_SG_JZNS1_25segmented_radix_sort_implINS0_14default_configELb0EPKlPlSM_SN_N2at6native12_GLOBAL__N_18offset_tEEE10hipError_tPvRmT1_PNSt15iterator_traitsISV_E10value_typeET2_T3_PNSW_IS11_E10value_typeET4_jRbjT5_S17_jjP12ihipStream_tbEUljE_EEESS_ST_SU_S11_S15_S17_T6_T7_T9_mT8_S19_bDpT10_ENKUlT_T0_E_clISt17integral_constantIbLb0EES1M_EEDaS1H_S1I_EUlS1H_E_NS1_11comp_targetILNS1_3genE9ELNS1_11target_archE1100ELNS1_3gpuE3ELNS1_3repE0EEENS1_30default_config_static_selectorELNS0_4arch9wavefront6targetE0EEEvSV_,"axG",@progbits,_ZN7rocprim17ROCPRIM_400000_NS6detail17trampoline_kernelINS0_13select_configILj256ELj13ELNS0_17block_load_methodE3ELS4_3ELS4_3ELNS0_20block_scan_algorithmE0ELj4294967295EEENS1_25partition_config_selectorILNS1_17partition_subalgoE3EjNS0_10empty_typeEbEEZZNS1_14partition_implILS8_3ELb0ES6_jNS0_17counting_iteratorIjlEEPS9_SE_NS0_5tupleIJPjSE_EEENSF_IJSE_SE_EEES9_SG_JZNS1_25segmented_radix_sort_implINS0_14default_configELb0EPKlPlSM_SN_N2at6native12_GLOBAL__N_18offset_tEEE10hipError_tPvRmT1_PNSt15iterator_traitsISV_E10value_typeET2_T3_PNSW_IS11_E10value_typeET4_jRbjT5_S17_jjP12ihipStream_tbEUljE_EEESS_ST_SU_S11_S15_S17_T6_T7_T9_mT8_S19_bDpT10_ENKUlT_T0_E_clISt17integral_constantIbLb0EES1M_EEDaS1H_S1I_EUlS1H_E_NS1_11comp_targetILNS1_3genE9ELNS1_11target_archE1100ELNS1_3gpuE3ELNS1_3repE0EEENS1_30default_config_static_selectorELNS0_4arch9wavefront6targetE0EEEvSV_,comdat
	.globl	_ZN7rocprim17ROCPRIM_400000_NS6detail17trampoline_kernelINS0_13select_configILj256ELj13ELNS0_17block_load_methodE3ELS4_3ELS4_3ELNS0_20block_scan_algorithmE0ELj4294967295EEENS1_25partition_config_selectorILNS1_17partition_subalgoE3EjNS0_10empty_typeEbEEZZNS1_14partition_implILS8_3ELb0ES6_jNS0_17counting_iteratorIjlEEPS9_SE_NS0_5tupleIJPjSE_EEENSF_IJSE_SE_EEES9_SG_JZNS1_25segmented_radix_sort_implINS0_14default_configELb0EPKlPlSM_SN_N2at6native12_GLOBAL__N_18offset_tEEE10hipError_tPvRmT1_PNSt15iterator_traitsISV_E10value_typeET2_T3_PNSW_IS11_E10value_typeET4_jRbjT5_S17_jjP12ihipStream_tbEUljE_EEESS_ST_SU_S11_S15_S17_T6_T7_T9_mT8_S19_bDpT10_ENKUlT_T0_E_clISt17integral_constantIbLb0EES1M_EEDaS1H_S1I_EUlS1H_E_NS1_11comp_targetILNS1_3genE9ELNS1_11target_archE1100ELNS1_3gpuE3ELNS1_3repE0EEENS1_30default_config_static_selectorELNS0_4arch9wavefront6targetE0EEEvSV_ ; -- Begin function _ZN7rocprim17ROCPRIM_400000_NS6detail17trampoline_kernelINS0_13select_configILj256ELj13ELNS0_17block_load_methodE3ELS4_3ELS4_3ELNS0_20block_scan_algorithmE0ELj4294967295EEENS1_25partition_config_selectorILNS1_17partition_subalgoE3EjNS0_10empty_typeEbEEZZNS1_14partition_implILS8_3ELb0ES6_jNS0_17counting_iteratorIjlEEPS9_SE_NS0_5tupleIJPjSE_EEENSF_IJSE_SE_EEES9_SG_JZNS1_25segmented_radix_sort_implINS0_14default_configELb0EPKlPlSM_SN_N2at6native12_GLOBAL__N_18offset_tEEE10hipError_tPvRmT1_PNSt15iterator_traitsISV_E10value_typeET2_T3_PNSW_IS11_E10value_typeET4_jRbjT5_S17_jjP12ihipStream_tbEUljE_EEESS_ST_SU_S11_S15_S17_T6_T7_T9_mT8_S19_bDpT10_ENKUlT_T0_E_clISt17integral_constantIbLb0EES1M_EEDaS1H_S1I_EUlS1H_E_NS1_11comp_targetILNS1_3genE9ELNS1_11target_archE1100ELNS1_3gpuE3ELNS1_3repE0EEENS1_30default_config_static_selectorELNS0_4arch9wavefront6targetE0EEEvSV_
	.p2align	8
	.type	_ZN7rocprim17ROCPRIM_400000_NS6detail17trampoline_kernelINS0_13select_configILj256ELj13ELNS0_17block_load_methodE3ELS4_3ELS4_3ELNS0_20block_scan_algorithmE0ELj4294967295EEENS1_25partition_config_selectorILNS1_17partition_subalgoE3EjNS0_10empty_typeEbEEZZNS1_14partition_implILS8_3ELb0ES6_jNS0_17counting_iteratorIjlEEPS9_SE_NS0_5tupleIJPjSE_EEENSF_IJSE_SE_EEES9_SG_JZNS1_25segmented_radix_sort_implINS0_14default_configELb0EPKlPlSM_SN_N2at6native12_GLOBAL__N_18offset_tEEE10hipError_tPvRmT1_PNSt15iterator_traitsISV_E10value_typeET2_T3_PNSW_IS11_E10value_typeET4_jRbjT5_S17_jjP12ihipStream_tbEUljE_EEESS_ST_SU_S11_S15_S17_T6_T7_T9_mT8_S19_bDpT10_ENKUlT_T0_E_clISt17integral_constantIbLb0EES1M_EEDaS1H_S1I_EUlS1H_E_NS1_11comp_targetILNS1_3genE9ELNS1_11target_archE1100ELNS1_3gpuE3ELNS1_3repE0EEENS1_30default_config_static_selectorELNS0_4arch9wavefront6targetE0EEEvSV_,@function
_ZN7rocprim17ROCPRIM_400000_NS6detail17trampoline_kernelINS0_13select_configILj256ELj13ELNS0_17block_load_methodE3ELS4_3ELS4_3ELNS0_20block_scan_algorithmE0ELj4294967295EEENS1_25partition_config_selectorILNS1_17partition_subalgoE3EjNS0_10empty_typeEbEEZZNS1_14partition_implILS8_3ELb0ES6_jNS0_17counting_iteratorIjlEEPS9_SE_NS0_5tupleIJPjSE_EEENSF_IJSE_SE_EEES9_SG_JZNS1_25segmented_radix_sort_implINS0_14default_configELb0EPKlPlSM_SN_N2at6native12_GLOBAL__N_18offset_tEEE10hipError_tPvRmT1_PNSt15iterator_traitsISV_E10value_typeET2_T3_PNSW_IS11_E10value_typeET4_jRbjT5_S17_jjP12ihipStream_tbEUljE_EEESS_ST_SU_S11_S15_S17_T6_T7_T9_mT8_S19_bDpT10_ENKUlT_T0_E_clISt17integral_constantIbLb0EES1M_EEDaS1H_S1I_EUlS1H_E_NS1_11comp_targetILNS1_3genE9ELNS1_11target_archE1100ELNS1_3gpuE3ELNS1_3repE0EEENS1_30default_config_static_selectorELNS0_4arch9wavefront6targetE0EEEvSV_: ; @_ZN7rocprim17ROCPRIM_400000_NS6detail17trampoline_kernelINS0_13select_configILj256ELj13ELNS0_17block_load_methodE3ELS4_3ELS4_3ELNS0_20block_scan_algorithmE0ELj4294967295EEENS1_25partition_config_selectorILNS1_17partition_subalgoE3EjNS0_10empty_typeEbEEZZNS1_14partition_implILS8_3ELb0ES6_jNS0_17counting_iteratorIjlEEPS9_SE_NS0_5tupleIJPjSE_EEENSF_IJSE_SE_EEES9_SG_JZNS1_25segmented_radix_sort_implINS0_14default_configELb0EPKlPlSM_SN_N2at6native12_GLOBAL__N_18offset_tEEE10hipError_tPvRmT1_PNSt15iterator_traitsISV_E10value_typeET2_T3_PNSW_IS11_E10value_typeET4_jRbjT5_S17_jjP12ihipStream_tbEUljE_EEESS_ST_SU_S11_S15_S17_T6_T7_T9_mT8_S19_bDpT10_ENKUlT_T0_E_clISt17integral_constantIbLb0EES1M_EEDaS1H_S1I_EUlS1H_E_NS1_11comp_targetILNS1_3genE9ELNS1_11target_archE1100ELNS1_3gpuE3ELNS1_3repE0EEENS1_30default_config_static_selectorELNS0_4arch9wavefront6targetE0EEEvSV_
; %bb.0:
	.section	.rodata,"a",@progbits
	.p2align	6, 0x0
	.amdhsa_kernel _ZN7rocprim17ROCPRIM_400000_NS6detail17trampoline_kernelINS0_13select_configILj256ELj13ELNS0_17block_load_methodE3ELS4_3ELS4_3ELNS0_20block_scan_algorithmE0ELj4294967295EEENS1_25partition_config_selectorILNS1_17partition_subalgoE3EjNS0_10empty_typeEbEEZZNS1_14partition_implILS8_3ELb0ES6_jNS0_17counting_iteratorIjlEEPS9_SE_NS0_5tupleIJPjSE_EEENSF_IJSE_SE_EEES9_SG_JZNS1_25segmented_radix_sort_implINS0_14default_configELb0EPKlPlSM_SN_N2at6native12_GLOBAL__N_18offset_tEEE10hipError_tPvRmT1_PNSt15iterator_traitsISV_E10value_typeET2_T3_PNSW_IS11_E10value_typeET4_jRbjT5_S17_jjP12ihipStream_tbEUljE_EEESS_ST_SU_S11_S15_S17_T6_T7_T9_mT8_S19_bDpT10_ENKUlT_T0_E_clISt17integral_constantIbLb0EES1M_EEDaS1H_S1I_EUlS1H_E_NS1_11comp_targetILNS1_3genE9ELNS1_11target_archE1100ELNS1_3gpuE3ELNS1_3repE0EEENS1_30default_config_static_selectorELNS0_4arch9wavefront6targetE0EEEvSV_
		.amdhsa_group_segment_fixed_size 0
		.amdhsa_private_segment_fixed_size 0
		.amdhsa_kernarg_size 144
		.amdhsa_user_sgpr_count 2
		.amdhsa_user_sgpr_dispatch_ptr 0
		.amdhsa_user_sgpr_queue_ptr 0
		.amdhsa_user_sgpr_kernarg_segment_ptr 1
		.amdhsa_user_sgpr_dispatch_id 0
		.amdhsa_user_sgpr_private_segment_size 0
		.amdhsa_wavefront_size32 1
		.amdhsa_uses_dynamic_stack 0
		.amdhsa_enable_private_segment 0
		.amdhsa_system_sgpr_workgroup_id_x 1
		.amdhsa_system_sgpr_workgroup_id_y 0
		.amdhsa_system_sgpr_workgroup_id_z 0
		.amdhsa_system_sgpr_workgroup_info 0
		.amdhsa_system_vgpr_workitem_id 0
		.amdhsa_next_free_vgpr 1
		.amdhsa_next_free_sgpr 1
		.amdhsa_reserve_vcc 0
		.amdhsa_float_round_mode_32 0
		.amdhsa_float_round_mode_16_64 0
		.amdhsa_float_denorm_mode_32 3
		.amdhsa_float_denorm_mode_16_64 3
		.amdhsa_fp16_overflow 0
		.amdhsa_workgroup_processor_mode 1
		.amdhsa_memory_ordered 1
		.amdhsa_forward_progress 1
		.amdhsa_inst_pref_size 0
		.amdhsa_round_robin_scheduling 0
		.amdhsa_exception_fp_ieee_invalid_op 0
		.amdhsa_exception_fp_denorm_src 0
		.amdhsa_exception_fp_ieee_div_zero 0
		.amdhsa_exception_fp_ieee_overflow 0
		.amdhsa_exception_fp_ieee_underflow 0
		.amdhsa_exception_fp_ieee_inexact 0
		.amdhsa_exception_int_div_zero 0
	.end_amdhsa_kernel
	.section	.text._ZN7rocprim17ROCPRIM_400000_NS6detail17trampoline_kernelINS0_13select_configILj256ELj13ELNS0_17block_load_methodE3ELS4_3ELS4_3ELNS0_20block_scan_algorithmE0ELj4294967295EEENS1_25partition_config_selectorILNS1_17partition_subalgoE3EjNS0_10empty_typeEbEEZZNS1_14partition_implILS8_3ELb0ES6_jNS0_17counting_iteratorIjlEEPS9_SE_NS0_5tupleIJPjSE_EEENSF_IJSE_SE_EEES9_SG_JZNS1_25segmented_radix_sort_implINS0_14default_configELb0EPKlPlSM_SN_N2at6native12_GLOBAL__N_18offset_tEEE10hipError_tPvRmT1_PNSt15iterator_traitsISV_E10value_typeET2_T3_PNSW_IS11_E10value_typeET4_jRbjT5_S17_jjP12ihipStream_tbEUljE_EEESS_ST_SU_S11_S15_S17_T6_T7_T9_mT8_S19_bDpT10_ENKUlT_T0_E_clISt17integral_constantIbLb0EES1M_EEDaS1H_S1I_EUlS1H_E_NS1_11comp_targetILNS1_3genE9ELNS1_11target_archE1100ELNS1_3gpuE3ELNS1_3repE0EEENS1_30default_config_static_selectorELNS0_4arch9wavefront6targetE0EEEvSV_,"axG",@progbits,_ZN7rocprim17ROCPRIM_400000_NS6detail17trampoline_kernelINS0_13select_configILj256ELj13ELNS0_17block_load_methodE3ELS4_3ELS4_3ELNS0_20block_scan_algorithmE0ELj4294967295EEENS1_25partition_config_selectorILNS1_17partition_subalgoE3EjNS0_10empty_typeEbEEZZNS1_14partition_implILS8_3ELb0ES6_jNS0_17counting_iteratorIjlEEPS9_SE_NS0_5tupleIJPjSE_EEENSF_IJSE_SE_EEES9_SG_JZNS1_25segmented_radix_sort_implINS0_14default_configELb0EPKlPlSM_SN_N2at6native12_GLOBAL__N_18offset_tEEE10hipError_tPvRmT1_PNSt15iterator_traitsISV_E10value_typeET2_T3_PNSW_IS11_E10value_typeET4_jRbjT5_S17_jjP12ihipStream_tbEUljE_EEESS_ST_SU_S11_S15_S17_T6_T7_T9_mT8_S19_bDpT10_ENKUlT_T0_E_clISt17integral_constantIbLb0EES1M_EEDaS1H_S1I_EUlS1H_E_NS1_11comp_targetILNS1_3genE9ELNS1_11target_archE1100ELNS1_3gpuE3ELNS1_3repE0EEENS1_30default_config_static_selectorELNS0_4arch9wavefront6targetE0EEEvSV_,comdat
.Lfunc_end781:
	.size	_ZN7rocprim17ROCPRIM_400000_NS6detail17trampoline_kernelINS0_13select_configILj256ELj13ELNS0_17block_load_methodE3ELS4_3ELS4_3ELNS0_20block_scan_algorithmE0ELj4294967295EEENS1_25partition_config_selectorILNS1_17partition_subalgoE3EjNS0_10empty_typeEbEEZZNS1_14partition_implILS8_3ELb0ES6_jNS0_17counting_iteratorIjlEEPS9_SE_NS0_5tupleIJPjSE_EEENSF_IJSE_SE_EEES9_SG_JZNS1_25segmented_radix_sort_implINS0_14default_configELb0EPKlPlSM_SN_N2at6native12_GLOBAL__N_18offset_tEEE10hipError_tPvRmT1_PNSt15iterator_traitsISV_E10value_typeET2_T3_PNSW_IS11_E10value_typeET4_jRbjT5_S17_jjP12ihipStream_tbEUljE_EEESS_ST_SU_S11_S15_S17_T6_T7_T9_mT8_S19_bDpT10_ENKUlT_T0_E_clISt17integral_constantIbLb0EES1M_EEDaS1H_S1I_EUlS1H_E_NS1_11comp_targetILNS1_3genE9ELNS1_11target_archE1100ELNS1_3gpuE3ELNS1_3repE0EEENS1_30default_config_static_selectorELNS0_4arch9wavefront6targetE0EEEvSV_, .Lfunc_end781-_ZN7rocprim17ROCPRIM_400000_NS6detail17trampoline_kernelINS0_13select_configILj256ELj13ELNS0_17block_load_methodE3ELS4_3ELS4_3ELNS0_20block_scan_algorithmE0ELj4294967295EEENS1_25partition_config_selectorILNS1_17partition_subalgoE3EjNS0_10empty_typeEbEEZZNS1_14partition_implILS8_3ELb0ES6_jNS0_17counting_iteratorIjlEEPS9_SE_NS0_5tupleIJPjSE_EEENSF_IJSE_SE_EEES9_SG_JZNS1_25segmented_radix_sort_implINS0_14default_configELb0EPKlPlSM_SN_N2at6native12_GLOBAL__N_18offset_tEEE10hipError_tPvRmT1_PNSt15iterator_traitsISV_E10value_typeET2_T3_PNSW_IS11_E10value_typeET4_jRbjT5_S17_jjP12ihipStream_tbEUljE_EEESS_ST_SU_S11_S15_S17_T6_T7_T9_mT8_S19_bDpT10_ENKUlT_T0_E_clISt17integral_constantIbLb0EES1M_EEDaS1H_S1I_EUlS1H_E_NS1_11comp_targetILNS1_3genE9ELNS1_11target_archE1100ELNS1_3gpuE3ELNS1_3repE0EEENS1_30default_config_static_selectorELNS0_4arch9wavefront6targetE0EEEvSV_
                                        ; -- End function
	.set _ZN7rocprim17ROCPRIM_400000_NS6detail17trampoline_kernelINS0_13select_configILj256ELj13ELNS0_17block_load_methodE3ELS4_3ELS4_3ELNS0_20block_scan_algorithmE0ELj4294967295EEENS1_25partition_config_selectorILNS1_17partition_subalgoE3EjNS0_10empty_typeEbEEZZNS1_14partition_implILS8_3ELb0ES6_jNS0_17counting_iteratorIjlEEPS9_SE_NS0_5tupleIJPjSE_EEENSF_IJSE_SE_EEES9_SG_JZNS1_25segmented_radix_sort_implINS0_14default_configELb0EPKlPlSM_SN_N2at6native12_GLOBAL__N_18offset_tEEE10hipError_tPvRmT1_PNSt15iterator_traitsISV_E10value_typeET2_T3_PNSW_IS11_E10value_typeET4_jRbjT5_S17_jjP12ihipStream_tbEUljE_EEESS_ST_SU_S11_S15_S17_T6_T7_T9_mT8_S19_bDpT10_ENKUlT_T0_E_clISt17integral_constantIbLb0EES1M_EEDaS1H_S1I_EUlS1H_E_NS1_11comp_targetILNS1_3genE9ELNS1_11target_archE1100ELNS1_3gpuE3ELNS1_3repE0EEENS1_30default_config_static_selectorELNS0_4arch9wavefront6targetE0EEEvSV_.num_vgpr, 0
	.set _ZN7rocprim17ROCPRIM_400000_NS6detail17trampoline_kernelINS0_13select_configILj256ELj13ELNS0_17block_load_methodE3ELS4_3ELS4_3ELNS0_20block_scan_algorithmE0ELj4294967295EEENS1_25partition_config_selectorILNS1_17partition_subalgoE3EjNS0_10empty_typeEbEEZZNS1_14partition_implILS8_3ELb0ES6_jNS0_17counting_iteratorIjlEEPS9_SE_NS0_5tupleIJPjSE_EEENSF_IJSE_SE_EEES9_SG_JZNS1_25segmented_radix_sort_implINS0_14default_configELb0EPKlPlSM_SN_N2at6native12_GLOBAL__N_18offset_tEEE10hipError_tPvRmT1_PNSt15iterator_traitsISV_E10value_typeET2_T3_PNSW_IS11_E10value_typeET4_jRbjT5_S17_jjP12ihipStream_tbEUljE_EEESS_ST_SU_S11_S15_S17_T6_T7_T9_mT8_S19_bDpT10_ENKUlT_T0_E_clISt17integral_constantIbLb0EES1M_EEDaS1H_S1I_EUlS1H_E_NS1_11comp_targetILNS1_3genE9ELNS1_11target_archE1100ELNS1_3gpuE3ELNS1_3repE0EEENS1_30default_config_static_selectorELNS0_4arch9wavefront6targetE0EEEvSV_.num_agpr, 0
	.set _ZN7rocprim17ROCPRIM_400000_NS6detail17trampoline_kernelINS0_13select_configILj256ELj13ELNS0_17block_load_methodE3ELS4_3ELS4_3ELNS0_20block_scan_algorithmE0ELj4294967295EEENS1_25partition_config_selectorILNS1_17partition_subalgoE3EjNS0_10empty_typeEbEEZZNS1_14partition_implILS8_3ELb0ES6_jNS0_17counting_iteratorIjlEEPS9_SE_NS0_5tupleIJPjSE_EEENSF_IJSE_SE_EEES9_SG_JZNS1_25segmented_radix_sort_implINS0_14default_configELb0EPKlPlSM_SN_N2at6native12_GLOBAL__N_18offset_tEEE10hipError_tPvRmT1_PNSt15iterator_traitsISV_E10value_typeET2_T3_PNSW_IS11_E10value_typeET4_jRbjT5_S17_jjP12ihipStream_tbEUljE_EEESS_ST_SU_S11_S15_S17_T6_T7_T9_mT8_S19_bDpT10_ENKUlT_T0_E_clISt17integral_constantIbLb0EES1M_EEDaS1H_S1I_EUlS1H_E_NS1_11comp_targetILNS1_3genE9ELNS1_11target_archE1100ELNS1_3gpuE3ELNS1_3repE0EEENS1_30default_config_static_selectorELNS0_4arch9wavefront6targetE0EEEvSV_.numbered_sgpr, 0
	.set _ZN7rocprim17ROCPRIM_400000_NS6detail17trampoline_kernelINS0_13select_configILj256ELj13ELNS0_17block_load_methodE3ELS4_3ELS4_3ELNS0_20block_scan_algorithmE0ELj4294967295EEENS1_25partition_config_selectorILNS1_17partition_subalgoE3EjNS0_10empty_typeEbEEZZNS1_14partition_implILS8_3ELb0ES6_jNS0_17counting_iteratorIjlEEPS9_SE_NS0_5tupleIJPjSE_EEENSF_IJSE_SE_EEES9_SG_JZNS1_25segmented_radix_sort_implINS0_14default_configELb0EPKlPlSM_SN_N2at6native12_GLOBAL__N_18offset_tEEE10hipError_tPvRmT1_PNSt15iterator_traitsISV_E10value_typeET2_T3_PNSW_IS11_E10value_typeET4_jRbjT5_S17_jjP12ihipStream_tbEUljE_EEESS_ST_SU_S11_S15_S17_T6_T7_T9_mT8_S19_bDpT10_ENKUlT_T0_E_clISt17integral_constantIbLb0EES1M_EEDaS1H_S1I_EUlS1H_E_NS1_11comp_targetILNS1_3genE9ELNS1_11target_archE1100ELNS1_3gpuE3ELNS1_3repE0EEENS1_30default_config_static_selectorELNS0_4arch9wavefront6targetE0EEEvSV_.num_named_barrier, 0
	.set _ZN7rocprim17ROCPRIM_400000_NS6detail17trampoline_kernelINS0_13select_configILj256ELj13ELNS0_17block_load_methodE3ELS4_3ELS4_3ELNS0_20block_scan_algorithmE0ELj4294967295EEENS1_25partition_config_selectorILNS1_17partition_subalgoE3EjNS0_10empty_typeEbEEZZNS1_14partition_implILS8_3ELb0ES6_jNS0_17counting_iteratorIjlEEPS9_SE_NS0_5tupleIJPjSE_EEENSF_IJSE_SE_EEES9_SG_JZNS1_25segmented_radix_sort_implINS0_14default_configELb0EPKlPlSM_SN_N2at6native12_GLOBAL__N_18offset_tEEE10hipError_tPvRmT1_PNSt15iterator_traitsISV_E10value_typeET2_T3_PNSW_IS11_E10value_typeET4_jRbjT5_S17_jjP12ihipStream_tbEUljE_EEESS_ST_SU_S11_S15_S17_T6_T7_T9_mT8_S19_bDpT10_ENKUlT_T0_E_clISt17integral_constantIbLb0EES1M_EEDaS1H_S1I_EUlS1H_E_NS1_11comp_targetILNS1_3genE9ELNS1_11target_archE1100ELNS1_3gpuE3ELNS1_3repE0EEENS1_30default_config_static_selectorELNS0_4arch9wavefront6targetE0EEEvSV_.private_seg_size, 0
	.set _ZN7rocprim17ROCPRIM_400000_NS6detail17trampoline_kernelINS0_13select_configILj256ELj13ELNS0_17block_load_methodE3ELS4_3ELS4_3ELNS0_20block_scan_algorithmE0ELj4294967295EEENS1_25partition_config_selectorILNS1_17partition_subalgoE3EjNS0_10empty_typeEbEEZZNS1_14partition_implILS8_3ELb0ES6_jNS0_17counting_iteratorIjlEEPS9_SE_NS0_5tupleIJPjSE_EEENSF_IJSE_SE_EEES9_SG_JZNS1_25segmented_radix_sort_implINS0_14default_configELb0EPKlPlSM_SN_N2at6native12_GLOBAL__N_18offset_tEEE10hipError_tPvRmT1_PNSt15iterator_traitsISV_E10value_typeET2_T3_PNSW_IS11_E10value_typeET4_jRbjT5_S17_jjP12ihipStream_tbEUljE_EEESS_ST_SU_S11_S15_S17_T6_T7_T9_mT8_S19_bDpT10_ENKUlT_T0_E_clISt17integral_constantIbLb0EES1M_EEDaS1H_S1I_EUlS1H_E_NS1_11comp_targetILNS1_3genE9ELNS1_11target_archE1100ELNS1_3gpuE3ELNS1_3repE0EEENS1_30default_config_static_selectorELNS0_4arch9wavefront6targetE0EEEvSV_.uses_vcc, 0
	.set _ZN7rocprim17ROCPRIM_400000_NS6detail17trampoline_kernelINS0_13select_configILj256ELj13ELNS0_17block_load_methodE3ELS4_3ELS4_3ELNS0_20block_scan_algorithmE0ELj4294967295EEENS1_25partition_config_selectorILNS1_17partition_subalgoE3EjNS0_10empty_typeEbEEZZNS1_14partition_implILS8_3ELb0ES6_jNS0_17counting_iteratorIjlEEPS9_SE_NS0_5tupleIJPjSE_EEENSF_IJSE_SE_EEES9_SG_JZNS1_25segmented_radix_sort_implINS0_14default_configELb0EPKlPlSM_SN_N2at6native12_GLOBAL__N_18offset_tEEE10hipError_tPvRmT1_PNSt15iterator_traitsISV_E10value_typeET2_T3_PNSW_IS11_E10value_typeET4_jRbjT5_S17_jjP12ihipStream_tbEUljE_EEESS_ST_SU_S11_S15_S17_T6_T7_T9_mT8_S19_bDpT10_ENKUlT_T0_E_clISt17integral_constantIbLb0EES1M_EEDaS1H_S1I_EUlS1H_E_NS1_11comp_targetILNS1_3genE9ELNS1_11target_archE1100ELNS1_3gpuE3ELNS1_3repE0EEENS1_30default_config_static_selectorELNS0_4arch9wavefront6targetE0EEEvSV_.uses_flat_scratch, 0
	.set _ZN7rocprim17ROCPRIM_400000_NS6detail17trampoline_kernelINS0_13select_configILj256ELj13ELNS0_17block_load_methodE3ELS4_3ELS4_3ELNS0_20block_scan_algorithmE0ELj4294967295EEENS1_25partition_config_selectorILNS1_17partition_subalgoE3EjNS0_10empty_typeEbEEZZNS1_14partition_implILS8_3ELb0ES6_jNS0_17counting_iteratorIjlEEPS9_SE_NS0_5tupleIJPjSE_EEENSF_IJSE_SE_EEES9_SG_JZNS1_25segmented_radix_sort_implINS0_14default_configELb0EPKlPlSM_SN_N2at6native12_GLOBAL__N_18offset_tEEE10hipError_tPvRmT1_PNSt15iterator_traitsISV_E10value_typeET2_T3_PNSW_IS11_E10value_typeET4_jRbjT5_S17_jjP12ihipStream_tbEUljE_EEESS_ST_SU_S11_S15_S17_T6_T7_T9_mT8_S19_bDpT10_ENKUlT_T0_E_clISt17integral_constantIbLb0EES1M_EEDaS1H_S1I_EUlS1H_E_NS1_11comp_targetILNS1_3genE9ELNS1_11target_archE1100ELNS1_3gpuE3ELNS1_3repE0EEENS1_30default_config_static_selectorELNS0_4arch9wavefront6targetE0EEEvSV_.has_dyn_sized_stack, 0
	.set _ZN7rocprim17ROCPRIM_400000_NS6detail17trampoline_kernelINS0_13select_configILj256ELj13ELNS0_17block_load_methodE3ELS4_3ELS4_3ELNS0_20block_scan_algorithmE0ELj4294967295EEENS1_25partition_config_selectorILNS1_17partition_subalgoE3EjNS0_10empty_typeEbEEZZNS1_14partition_implILS8_3ELb0ES6_jNS0_17counting_iteratorIjlEEPS9_SE_NS0_5tupleIJPjSE_EEENSF_IJSE_SE_EEES9_SG_JZNS1_25segmented_radix_sort_implINS0_14default_configELb0EPKlPlSM_SN_N2at6native12_GLOBAL__N_18offset_tEEE10hipError_tPvRmT1_PNSt15iterator_traitsISV_E10value_typeET2_T3_PNSW_IS11_E10value_typeET4_jRbjT5_S17_jjP12ihipStream_tbEUljE_EEESS_ST_SU_S11_S15_S17_T6_T7_T9_mT8_S19_bDpT10_ENKUlT_T0_E_clISt17integral_constantIbLb0EES1M_EEDaS1H_S1I_EUlS1H_E_NS1_11comp_targetILNS1_3genE9ELNS1_11target_archE1100ELNS1_3gpuE3ELNS1_3repE0EEENS1_30default_config_static_selectorELNS0_4arch9wavefront6targetE0EEEvSV_.has_recursion, 0
	.set _ZN7rocprim17ROCPRIM_400000_NS6detail17trampoline_kernelINS0_13select_configILj256ELj13ELNS0_17block_load_methodE3ELS4_3ELS4_3ELNS0_20block_scan_algorithmE0ELj4294967295EEENS1_25partition_config_selectorILNS1_17partition_subalgoE3EjNS0_10empty_typeEbEEZZNS1_14partition_implILS8_3ELb0ES6_jNS0_17counting_iteratorIjlEEPS9_SE_NS0_5tupleIJPjSE_EEENSF_IJSE_SE_EEES9_SG_JZNS1_25segmented_radix_sort_implINS0_14default_configELb0EPKlPlSM_SN_N2at6native12_GLOBAL__N_18offset_tEEE10hipError_tPvRmT1_PNSt15iterator_traitsISV_E10value_typeET2_T3_PNSW_IS11_E10value_typeET4_jRbjT5_S17_jjP12ihipStream_tbEUljE_EEESS_ST_SU_S11_S15_S17_T6_T7_T9_mT8_S19_bDpT10_ENKUlT_T0_E_clISt17integral_constantIbLb0EES1M_EEDaS1H_S1I_EUlS1H_E_NS1_11comp_targetILNS1_3genE9ELNS1_11target_archE1100ELNS1_3gpuE3ELNS1_3repE0EEENS1_30default_config_static_selectorELNS0_4arch9wavefront6targetE0EEEvSV_.has_indirect_call, 0
	.section	.AMDGPU.csdata,"",@progbits
; Kernel info:
; codeLenInByte = 0
; TotalNumSgprs: 0
; NumVgprs: 0
; ScratchSize: 0
; MemoryBound: 0
; FloatMode: 240
; IeeeMode: 1
; LDSByteSize: 0 bytes/workgroup (compile time only)
; SGPRBlocks: 0
; VGPRBlocks: 0
; NumSGPRsForWavesPerEU: 1
; NumVGPRsForWavesPerEU: 1
; Occupancy: 16
; WaveLimiterHint : 0
; COMPUTE_PGM_RSRC2:SCRATCH_EN: 0
; COMPUTE_PGM_RSRC2:USER_SGPR: 2
; COMPUTE_PGM_RSRC2:TRAP_HANDLER: 0
; COMPUTE_PGM_RSRC2:TGID_X_EN: 1
; COMPUTE_PGM_RSRC2:TGID_Y_EN: 0
; COMPUTE_PGM_RSRC2:TGID_Z_EN: 0
; COMPUTE_PGM_RSRC2:TIDIG_COMP_CNT: 0
	.section	.text._ZN7rocprim17ROCPRIM_400000_NS6detail17trampoline_kernelINS0_13select_configILj256ELj13ELNS0_17block_load_methodE3ELS4_3ELS4_3ELNS0_20block_scan_algorithmE0ELj4294967295EEENS1_25partition_config_selectorILNS1_17partition_subalgoE3EjNS0_10empty_typeEbEEZZNS1_14partition_implILS8_3ELb0ES6_jNS0_17counting_iteratorIjlEEPS9_SE_NS0_5tupleIJPjSE_EEENSF_IJSE_SE_EEES9_SG_JZNS1_25segmented_radix_sort_implINS0_14default_configELb0EPKlPlSM_SN_N2at6native12_GLOBAL__N_18offset_tEEE10hipError_tPvRmT1_PNSt15iterator_traitsISV_E10value_typeET2_T3_PNSW_IS11_E10value_typeET4_jRbjT5_S17_jjP12ihipStream_tbEUljE_EEESS_ST_SU_S11_S15_S17_T6_T7_T9_mT8_S19_bDpT10_ENKUlT_T0_E_clISt17integral_constantIbLb0EES1M_EEDaS1H_S1I_EUlS1H_E_NS1_11comp_targetILNS1_3genE8ELNS1_11target_archE1030ELNS1_3gpuE2ELNS1_3repE0EEENS1_30default_config_static_selectorELNS0_4arch9wavefront6targetE0EEEvSV_,"axG",@progbits,_ZN7rocprim17ROCPRIM_400000_NS6detail17trampoline_kernelINS0_13select_configILj256ELj13ELNS0_17block_load_methodE3ELS4_3ELS4_3ELNS0_20block_scan_algorithmE0ELj4294967295EEENS1_25partition_config_selectorILNS1_17partition_subalgoE3EjNS0_10empty_typeEbEEZZNS1_14partition_implILS8_3ELb0ES6_jNS0_17counting_iteratorIjlEEPS9_SE_NS0_5tupleIJPjSE_EEENSF_IJSE_SE_EEES9_SG_JZNS1_25segmented_radix_sort_implINS0_14default_configELb0EPKlPlSM_SN_N2at6native12_GLOBAL__N_18offset_tEEE10hipError_tPvRmT1_PNSt15iterator_traitsISV_E10value_typeET2_T3_PNSW_IS11_E10value_typeET4_jRbjT5_S17_jjP12ihipStream_tbEUljE_EEESS_ST_SU_S11_S15_S17_T6_T7_T9_mT8_S19_bDpT10_ENKUlT_T0_E_clISt17integral_constantIbLb0EES1M_EEDaS1H_S1I_EUlS1H_E_NS1_11comp_targetILNS1_3genE8ELNS1_11target_archE1030ELNS1_3gpuE2ELNS1_3repE0EEENS1_30default_config_static_selectorELNS0_4arch9wavefront6targetE0EEEvSV_,comdat
	.globl	_ZN7rocprim17ROCPRIM_400000_NS6detail17trampoline_kernelINS0_13select_configILj256ELj13ELNS0_17block_load_methodE3ELS4_3ELS4_3ELNS0_20block_scan_algorithmE0ELj4294967295EEENS1_25partition_config_selectorILNS1_17partition_subalgoE3EjNS0_10empty_typeEbEEZZNS1_14partition_implILS8_3ELb0ES6_jNS0_17counting_iteratorIjlEEPS9_SE_NS0_5tupleIJPjSE_EEENSF_IJSE_SE_EEES9_SG_JZNS1_25segmented_radix_sort_implINS0_14default_configELb0EPKlPlSM_SN_N2at6native12_GLOBAL__N_18offset_tEEE10hipError_tPvRmT1_PNSt15iterator_traitsISV_E10value_typeET2_T3_PNSW_IS11_E10value_typeET4_jRbjT5_S17_jjP12ihipStream_tbEUljE_EEESS_ST_SU_S11_S15_S17_T6_T7_T9_mT8_S19_bDpT10_ENKUlT_T0_E_clISt17integral_constantIbLb0EES1M_EEDaS1H_S1I_EUlS1H_E_NS1_11comp_targetILNS1_3genE8ELNS1_11target_archE1030ELNS1_3gpuE2ELNS1_3repE0EEENS1_30default_config_static_selectorELNS0_4arch9wavefront6targetE0EEEvSV_ ; -- Begin function _ZN7rocprim17ROCPRIM_400000_NS6detail17trampoline_kernelINS0_13select_configILj256ELj13ELNS0_17block_load_methodE3ELS4_3ELS4_3ELNS0_20block_scan_algorithmE0ELj4294967295EEENS1_25partition_config_selectorILNS1_17partition_subalgoE3EjNS0_10empty_typeEbEEZZNS1_14partition_implILS8_3ELb0ES6_jNS0_17counting_iteratorIjlEEPS9_SE_NS0_5tupleIJPjSE_EEENSF_IJSE_SE_EEES9_SG_JZNS1_25segmented_radix_sort_implINS0_14default_configELb0EPKlPlSM_SN_N2at6native12_GLOBAL__N_18offset_tEEE10hipError_tPvRmT1_PNSt15iterator_traitsISV_E10value_typeET2_T3_PNSW_IS11_E10value_typeET4_jRbjT5_S17_jjP12ihipStream_tbEUljE_EEESS_ST_SU_S11_S15_S17_T6_T7_T9_mT8_S19_bDpT10_ENKUlT_T0_E_clISt17integral_constantIbLb0EES1M_EEDaS1H_S1I_EUlS1H_E_NS1_11comp_targetILNS1_3genE8ELNS1_11target_archE1030ELNS1_3gpuE2ELNS1_3repE0EEENS1_30default_config_static_selectorELNS0_4arch9wavefront6targetE0EEEvSV_
	.p2align	8
	.type	_ZN7rocprim17ROCPRIM_400000_NS6detail17trampoline_kernelINS0_13select_configILj256ELj13ELNS0_17block_load_methodE3ELS4_3ELS4_3ELNS0_20block_scan_algorithmE0ELj4294967295EEENS1_25partition_config_selectorILNS1_17partition_subalgoE3EjNS0_10empty_typeEbEEZZNS1_14partition_implILS8_3ELb0ES6_jNS0_17counting_iteratorIjlEEPS9_SE_NS0_5tupleIJPjSE_EEENSF_IJSE_SE_EEES9_SG_JZNS1_25segmented_radix_sort_implINS0_14default_configELb0EPKlPlSM_SN_N2at6native12_GLOBAL__N_18offset_tEEE10hipError_tPvRmT1_PNSt15iterator_traitsISV_E10value_typeET2_T3_PNSW_IS11_E10value_typeET4_jRbjT5_S17_jjP12ihipStream_tbEUljE_EEESS_ST_SU_S11_S15_S17_T6_T7_T9_mT8_S19_bDpT10_ENKUlT_T0_E_clISt17integral_constantIbLb0EES1M_EEDaS1H_S1I_EUlS1H_E_NS1_11comp_targetILNS1_3genE8ELNS1_11target_archE1030ELNS1_3gpuE2ELNS1_3repE0EEENS1_30default_config_static_selectorELNS0_4arch9wavefront6targetE0EEEvSV_,@function
_ZN7rocprim17ROCPRIM_400000_NS6detail17trampoline_kernelINS0_13select_configILj256ELj13ELNS0_17block_load_methodE3ELS4_3ELS4_3ELNS0_20block_scan_algorithmE0ELj4294967295EEENS1_25partition_config_selectorILNS1_17partition_subalgoE3EjNS0_10empty_typeEbEEZZNS1_14partition_implILS8_3ELb0ES6_jNS0_17counting_iteratorIjlEEPS9_SE_NS0_5tupleIJPjSE_EEENSF_IJSE_SE_EEES9_SG_JZNS1_25segmented_radix_sort_implINS0_14default_configELb0EPKlPlSM_SN_N2at6native12_GLOBAL__N_18offset_tEEE10hipError_tPvRmT1_PNSt15iterator_traitsISV_E10value_typeET2_T3_PNSW_IS11_E10value_typeET4_jRbjT5_S17_jjP12ihipStream_tbEUljE_EEESS_ST_SU_S11_S15_S17_T6_T7_T9_mT8_S19_bDpT10_ENKUlT_T0_E_clISt17integral_constantIbLb0EES1M_EEDaS1H_S1I_EUlS1H_E_NS1_11comp_targetILNS1_3genE8ELNS1_11target_archE1030ELNS1_3gpuE2ELNS1_3repE0EEENS1_30default_config_static_selectorELNS0_4arch9wavefront6targetE0EEEvSV_: ; @_ZN7rocprim17ROCPRIM_400000_NS6detail17trampoline_kernelINS0_13select_configILj256ELj13ELNS0_17block_load_methodE3ELS4_3ELS4_3ELNS0_20block_scan_algorithmE0ELj4294967295EEENS1_25partition_config_selectorILNS1_17partition_subalgoE3EjNS0_10empty_typeEbEEZZNS1_14partition_implILS8_3ELb0ES6_jNS0_17counting_iteratorIjlEEPS9_SE_NS0_5tupleIJPjSE_EEENSF_IJSE_SE_EEES9_SG_JZNS1_25segmented_radix_sort_implINS0_14default_configELb0EPKlPlSM_SN_N2at6native12_GLOBAL__N_18offset_tEEE10hipError_tPvRmT1_PNSt15iterator_traitsISV_E10value_typeET2_T3_PNSW_IS11_E10value_typeET4_jRbjT5_S17_jjP12ihipStream_tbEUljE_EEESS_ST_SU_S11_S15_S17_T6_T7_T9_mT8_S19_bDpT10_ENKUlT_T0_E_clISt17integral_constantIbLb0EES1M_EEDaS1H_S1I_EUlS1H_E_NS1_11comp_targetILNS1_3genE8ELNS1_11target_archE1030ELNS1_3gpuE2ELNS1_3repE0EEENS1_30default_config_static_selectorELNS0_4arch9wavefront6targetE0EEEvSV_
; %bb.0:
	.section	.rodata,"a",@progbits
	.p2align	6, 0x0
	.amdhsa_kernel _ZN7rocprim17ROCPRIM_400000_NS6detail17trampoline_kernelINS0_13select_configILj256ELj13ELNS0_17block_load_methodE3ELS4_3ELS4_3ELNS0_20block_scan_algorithmE0ELj4294967295EEENS1_25partition_config_selectorILNS1_17partition_subalgoE3EjNS0_10empty_typeEbEEZZNS1_14partition_implILS8_3ELb0ES6_jNS0_17counting_iteratorIjlEEPS9_SE_NS0_5tupleIJPjSE_EEENSF_IJSE_SE_EEES9_SG_JZNS1_25segmented_radix_sort_implINS0_14default_configELb0EPKlPlSM_SN_N2at6native12_GLOBAL__N_18offset_tEEE10hipError_tPvRmT1_PNSt15iterator_traitsISV_E10value_typeET2_T3_PNSW_IS11_E10value_typeET4_jRbjT5_S17_jjP12ihipStream_tbEUljE_EEESS_ST_SU_S11_S15_S17_T6_T7_T9_mT8_S19_bDpT10_ENKUlT_T0_E_clISt17integral_constantIbLb0EES1M_EEDaS1H_S1I_EUlS1H_E_NS1_11comp_targetILNS1_3genE8ELNS1_11target_archE1030ELNS1_3gpuE2ELNS1_3repE0EEENS1_30default_config_static_selectorELNS0_4arch9wavefront6targetE0EEEvSV_
		.amdhsa_group_segment_fixed_size 0
		.amdhsa_private_segment_fixed_size 0
		.amdhsa_kernarg_size 144
		.amdhsa_user_sgpr_count 2
		.amdhsa_user_sgpr_dispatch_ptr 0
		.amdhsa_user_sgpr_queue_ptr 0
		.amdhsa_user_sgpr_kernarg_segment_ptr 1
		.amdhsa_user_sgpr_dispatch_id 0
		.amdhsa_user_sgpr_private_segment_size 0
		.amdhsa_wavefront_size32 1
		.amdhsa_uses_dynamic_stack 0
		.amdhsa_enable_private_segment 0
		.amdhsa_system_sgpr_workgroup_id_x 1
		.amdhsa_system_sgpr_workgroup_id_y 0
		.amdhsa_system_sgpr_workgroup_id_z 0
		.amdhsa_system_sgpr_workgroup_info 0
		.amdhsa_system_vgpr_workitem_id 0
		.amdhsa_next_free_vgpr 1
		.amdhsa_next_free_sgpr 1
		.amdhsa_reserve_vcc 0
		.amdhsa_float_round_mode_32 0
		.amdhsa_float_round_mode_16_64 0
		.amdhsa_float_denorm_mode_32 3
		.amdhsa_float_denorm_mode_16_64 3
		.amdhsa_fp16_overflow 0
		.amdhsa_workgroup_processor_mode 1
		.amdhsa_memory_ordered 1
		.amdhsa_forward_progress 1
		.amdhsa_inst_pref_size 0
		.amdhsa_round_robin_scheduling 0
		.amdhsa_exception_fp_ieee_invalid_op 0
		.amdhsa_exception_fp_denorm_src 0
		.amdhsa_exception_fp_ieee_div_zero 0
		.amdhsa_exception_fp_ieee_overflow 0
		.amdhsa_exception_fp_ieee_underflow 0
		.amdhsa_exception_fp_ieee_inexact 0
		.amdhsa_exception_int_div_zero 0
	.end_amdhsa_kernel
	.section	.text._ZN7rocprim17ROCPRIM_400000_NS6detail17trampoline_kernelINS0_13select_configILj256ELj13ELNS0_17block_load_methodE3ELS4_3ELS4_3ELNS0_20block_scan_algorithmE0ELj4294967295EEENS1_25partition_config_selectorILNS1_17partition_subalgoE3EjNS0_10empty_typeEbEEZZNS1_14partition_implILS8_3ELb0ES6_jNS0_17counting_iteratorIjlEEPS9_SE_NS0_5tupleIJPjSE_EEENSF_IJSE_SE_EEES9_SG_JZNS1_25segmented_radix_sort_implINS0_14default_configELb0EPKlPlSM_SN_N2at6native12_GLOBAL__N_18offset_tEEE10hipError_tPvRmT1_PNSt15iterator_traitsISV_E10value_typeET2_T3_PNSW_IS11_E10value_typeET4_jRbjT5_S17_jjP12ihipStream_tbEUljE_EEESS_ST_SU_S11_S15_S17_T6_T7_T9_mT8_S19_bDpT10_ENKUlT_T0_E_clISt17integral_constantIbLb0EES1M_EEDaS1H_S1I_EUlS1H_E_NS1_11comp_targetILNS1_3genE8ELNS1_11target_archE1030ELNS1_3gpuE2ELNS1_3repE0EEENS1_30default_config_static_selectorELNS0_4arch9wavefront6targetE0EEEvSV_,"axG",@progbits,_ZN7rocprim17ROCPRIM_400000_NS6detail17trampoline_kernelINS0_13select_configILj256ELj13ELNS0_17block_load_methodE3ELS4_3ELS4_3ELNS0_20block_scan_algorithmE0ELj4294967295EEENS1_25partition_config_selectorILNS1_17partition_subalgoE3EjNS0_10empty_typeEbEEZZNS1_14partition_implILS8_3ELb0ES6_jNS0_17counting_iteratorIjlEEPS9_SE_NS0_5tupleIJPjSE_EEENSF_IJSE_SE_EEES9_SG_JZNS1_25segmented_radix_sort_implINS0_14default_configELb0EPKlPlSM_SN_N2at6native12_GLOBAL__N_18offset_tEEE10hipError_tPvRmT1_PNSt15iterator_traitsISV_E10value_typeET2_T3_PNSW_IS11_E10value_typeET4_jRbjT5_S17_jjP12ihipStream_tbEUljE_EEESS_ST_SU_S11_S15_S17_T6_T7_T9_mT8_S19_bDpT10_ENKUlT_T0_E_clISt17integral_constantIbLb0EES1M_EEDaS1H_S1I_EUlS1H_E_NS1_11comp_targetILNS1_3genE8ELNS1_11target_archE1030ELNS1_3gpuE2ELNS1_3repE0EEENS1_30default_config_static_selectorELNS0_4arch9wavefront6targetE0EEEvSV_,comdat
.Lfunc_end782:
	.size	_ZN7rocprim17ROCPRIM_400000_NS6detail17trampoline_kernelINS0_13select_configILj256ELj13ELNS0_17block_load_methodE3ELS4_3ELS4_3ELNS0_20block_scan_algorithmE0ELj4294967295EEENS1_25partition_config_selectorILNS1_17partition_subalgoE3EjNS0_10empty_typeEbEEZZNS1_14partition_implILS8_3ELb0ES6_jNS0_17counting_iteratorIjlEEPS9_SE_NS0_5tupleIJPjSE_EEENSF_IJSE_SE_EEES9_SG_JZNS1_25segmented_radix_sort_implINS0_14default_configELb0EPKlPlSM_SN_N2at6native12_GLOBAL__N_18offset_tEEE10hipError_tPvRmT1_PNSt15iterator_traitsISV_E10value_typeET2_T3_PNSW_IS11_E10value_typeET4_jRbjT5_S17_jjP12ihipStream_tbEUljE_EEESS_ST_SU_S11_S15_S17_T6_T7_T9_mT8_S19_bDpT10_ENKUlT_T0_E_clISt17integral_constantIbLb0EES1M_EEDaS1H_S1I_EUlS1H_E_NS1_11comp_targetILNS1_3genE8ELNS1_11target_archE1030ELNS1_3gpuE2ELNS1_3repE0EEENS1_30default_config_static_selectorELNS0_4arch9wavefront6targetE0EEEvSV_, .Lfunc_end782-_ZN7rocprim17ROCPRIM_400000_NS6detail17trampoline_kernelINS0_13select_configILj256ELj13ELNS0_17block_load_methodE3ELS4_3ELS4_3ELNS0_20block_scan_algorithmE0ELj4294967295EEENS1_25partition_config_selectorILNS1_17partition_subalgoE3EjNS0_10empty_typeEbEEZZNS1_14partition_implILS8_3ELb0ES6_jNS0_17counting_iteratorIjlEEPS9_SE_NS0_5tupleIJPjSE_EEENSF_IJSE_SE_EEES9_SG_JZNS1_25segmented_radix_sort_implINS0_14default_configELb0EPKlPlSM_SN_N2at6native12_GLOBAL__N_18offset_tEEE10hipError_tPvRmT1_PNSt15iterator_traitsISV_E10value_typeET2_T3_PNSW_IS11_E10value_typeET4_jRbjT5_S17_jjP12ihipStream_tbEUljE_EEESS_ST_SU_S11_S15_S17_T6_T7_T9_mT8_S19_bDpT10_ENKUlT_T0_E_clISt17integral_constantIbLb0EES1M_EEDaS1H_S1I_EUlS1H_E_NS1_11comp_targetILNS1_3genE8ELNS1_11target_archE1030ELNS1_3gpuE2ELNS1_3repE0EEENS1_30default_config_static_selectorELNS0_4arch9wavefront6targetE0EEEvSV_
                                        ; -- End function
	.set _ZN7rocprim17ROCPRIM_400000_NS6detail17trampoline_kernelINS0_13select_configILj256ELj13ELNS0_17block_load_methodE3ELS4_3ELS4_3ELNS0_20block_scan_algorithmE0ELj4294967295EEENS1_25partition_config_selectorILNS1_17partition_subalgoE3EjNS0_10empty_typeEbEEZZNS1_14partition_implILS8_3ELb0ES6_jNS0_17counting_iteratorIjlEEPS9_SE_NS0_5tupleIJPjSE_EEENSF_IJSE_SE_EEES9_SG_JZNS1_25segmented_radix_sort_implINS0_14default_configELb0EPKlPlSM_SN_N2at6native12_GLOBAL__N_18offset_tEEE10hipError_tPvRmT1_PNSt15iterator_traitsISV_E10value_typeET2_T3_PNSW_IS11_E10value_typeET4_jRbjT5_S17_jjP12ihipStream_tbEUljE_EEESS_ST_SU_S11_S15_S17_T6_T7_T9_mT8_S19_bDpT10_ENKUlT_T0_E_clISt17integral_constantIbLb0EES1M_EEDaS1H_S1I_EUlS1H_E_NS1_11comp_targetILNS1_3genE8ELNS1_11target_archE1030ELNS1_3gpuE2ELNS1_3repE0EEENS1_30default_config_static_selectorELNS0_4arch9wavefront6targetE0EEEvSV_.num_vgpr, 0
	.set _ZN7rocprim17ROCPRIM_400000_NS6detail17trampoline_kernelINS0_13select_configILj256ELj13ELNS0_17block_load_methodE3ELS4_3ELS4_3ELNS0_20block_scan_algorithmE0ELj4294967295EEENS1_25partition_config_selectorILNS1_17partition_subalgoE3EjNS0_10empty_typeEbEEZZNS1_14partition_implILS8_3ELb0ES6_jNS0_17counting_iteratorIjlEEPS9_SE_NS0_5tupleIJPjSE_EEENSF_IJSE_SE_EEES9_SG_JZNS1_25segmented_radix_sort_implINS0_14default_configELb0EPKlPlSM_SN_N2at6native12_GLOBAL__N_18offset_tEEE10hipError_tPvRmT1_PNSt15iterator_traitsISV_E10value_typeET2_T3_PNSW_IS11_E10value_typeET4_jRbjT5_S17_jjP12ihipStream_tbEUljE_EEESS_ST_SU_S11_S15_S17_T6_T7_T9_mT8_S19_bDpT10_ENKUlT_T0_E_clISt17integral_constantIbLb0EES1M_EEDaS1H_S1I_EUlS1H_E_NS1_11comp_targetILNS1_3genE8ELNS1_11target_archE1030ELNS1_3gpuE2ELNS1_3repE0EEENS1_30default_config_static_selectorELNS0_4arch9wavefront6targetE0EEEvSV_.num_agpr, 0
	.set _ZN7rocprim17ROCPRIM_400000_NS6detail17trampoline_kernelINS0_13select_configILj256ELj13ELNS0_17block_load_methodE3ELS4_3ELS4_3ELNS0_20block_scan_algorithmE0ELj4294967295EEENS1_25partition_config_selectorILNS1_17partition_subalgoE3EjNS0_10empty_typeEbEEZZNS1_14partition_implILS8_3ELb0ES6_jNS0_17counting_iteratorIjlEEPS9_SE_NS0_5tupleIJPjSE_EEENSF_IJSE_SE_EEES9_SG_JZNS1_25segmented_radix_sort_implINS0_14default_configELb0EPKlPlSM_SN_N2at6native12_GLOBAL__N_18offset_tEEE10hipError_tPvRmT1_PNSt15iterator_traitsISV_E10value_typeET2_T3_PNSW_IS11_E10value_typeET4_jRbjT5_S17_jjP12ihipStream_tbEUljE_EEESS_ST_SU_S11_S15_S17_T6_T7_T9_mT8_S19_bDpT10_ENKUlT_T0_E_clISt17integral_constantIbLb0EES1M_EEDaS1H_S1I_EUlS1H_E_NS1_11comp_targetILNS1_3genE8ELNS1_11target_archE1030ELNS1_3gpuE2ELNS1_3repE0EEENS1_30default_config_static_selectorELNS0_4arch9wavefront6targetE0EEEvSV_.numbered_sgpr, 0
	.set _ZN7rocprim17ROCPRIM_400000_NS6detail17trampoline_kernelINS0_13select_configILj256ELj13ELNS0_17block_load_methodE3ELS4_3ELS4_3ELNS0_20block_scan_algorithmE0ELj4294967295EEENS1_25partition_config_selectorILNS1_17partition_subalgoE3EjNS0_10empty_typeEbEEZZNS1_14partition_implILS8_3ELb0ES6_jNS0_17counting_iteratorIjlEEPS9_SE_NS0_5tupleIJPjSE_EEENSF_IJSE_SE_EEES9_SG_JZNS1_25segmented_radix_sort_implINS0_14default_configELb0EPKlPlSM_SN_N2at6native12_GLOBAL__N_18offset_tEEE10hipError_tPvRmT1_PNSt15iterator_traitsISV_E10value_typeET2_T3_PNSW_IS11_E10value_typeET4_jRbjT5_S17_jjP12ihipStream_tbEUljE_EEESS_ST_SU_S11_S15_S17_T6_T7_T9_mT8_S19_bDpT10_ENKUlT_T0_E_clISt17integral_constantIbLb0EES1M_EEDaS1H_S1I_EUlS1H_E_NS1_11comp_targetILNS1_3genE8ELNS1_11target_archE1030ELNS1_3gpuE2ELNS1_3repE0EEENS1_30default_config_static_selectorELNS0_4arch9wavefront6targetE0EEEvSV_.num_named_barrier, 0
	.set _ZN7rocprim17ROCPRIM_400000_NS6detail17trampoline_kernelINS0_13select_configILj256ELj13ELNS0_17block_load_methodE3ELS4_3ELS4_3ELNS0_20block_scan_algorithmE0ELj4294967295EEENS1_25partition_config_selectorILNS1_17partition_subalgoE3EjNS0_10empty_typeEbEEZZNS1_14partition_implILS8_3ELb0ES6_jNS0_17counting_iteratorIjlEEPS9_SE_NS0_5tupleIJPjSE_EEENSF_IJSE_SE_EEES9_SG_JZNS1_25segmented_radix_sort_implINS0_14default_configELb0EPKlPlSM_SN_N2at6native12_GLOBAL__N_18offset_tEEE10hipError_tPvRmT1_PNSt15iterator_traitsISV_E10value_typeET2_T3_PNSW_IS11_E10value_typeET4_jRbjT5_S17_jjP12ihipStream_tbEUljE_EEESS_ST_SU_S11_S15_S17_T6_T7_T9_mT8_S19_bDpT10_ENKUlT_T0_E_clISt17integral_constantIbLb0EES1M_EEDaS1H_S1I_EUlS1H_E_NS1_11comp_targetILNS1_3genE8ELNS1_11target_archE1030ELNS1_3gpuE2ELNS1_3repE0EEENS1_30default_config_static_selectorELNS0_4arch9wavefront6targetE0EEEvSV_.private_seg_size, 0
	.set _ZN7rocprim17ROCPRIM_400000_NS6detail17trampoline_kernelINS0_13select_configILj256ELj13ELNS0_17block_load_methodE3ELS4_3ELS4_3ELNS0_20block_scan_algorithmE0ELj4294967295EEENS1_25partition_config_selectorILNS1_17partition_subalgoE3EjNS0_10empty_typeEbEEZZNS1_14partition_implILS8_3ELb0ES6_jNS0_17counting_iteratorIjlEEPS9_SE_NS0_5tupleIJPjSE_EEENSF_IJSE_SE_EEES9_SG_JZNS1_25segmented_radix_sort_implINS0_14default_configELb0EPKlPlSM_SN_N2at6native12_GLOBAL__N_18offset_tEEE10hipError_tPvRmT1_PNSt15iterator_traitsISV_E10value_typeET2_T3_PNSW_IS11_E10value_typeET4_jRbjT5_S17_jjP12ihipStream_tbEUljE_EEESS_ST_SU_S11_S15_S17_T6_T7_T9_mT8_S19_bDpT10_ENKUlT_T0_E_clISt17integral_constantIbLb0EES1M_EEDaS1H_S1I_EUlS1H_E_NS1_11comp_targetILNS1_3genE8ELNS1_11target_archE1030ELNS1_3gpuE2ELNS1_3repE0EEENS1_30default_config_static_selectorELNS0_4arch9wavefront6targetE0EEEvSV_.uses_vcc, 0
	.set _ZN7rocprim17ROCPRIM_400000_NS6detail17trampoline_kernelINS0_13select_configILj256ELj13ELNS0_17block_load_methodE3ELS4_3ELS4_3ELNS0_20block_scan_algorithmE0ELj4294967295EEENS1_25partition_config_selectorILNS1_17partition_subalgoE3EjNS0_10empty_typeEbEEZZNS1_14partition_implILS8_3ELb0ES6_jNS0_17counting_iteratorIjlEEPS9_SE_NS0_5tupleIJPjSE_EEENSF_IJSE_SE_EEES9_SG_JZNS1_25segmented_radix_sort_implINS0_14default_configELb0EPKlPlSM_SN_N2at6native12_GLOBAL__N_18offset_tEEE10hipError_tPvRmT1_PNSt15iterator_traitsISV_E10value_typeET2_T3_PNSW_IS11_E10value_typeET4_jRbjT5_S17_jjP12ihipStream_tbEUljE_EEESS_ST_SU_S11_S15_S17_T6_T7_T9_mT8_S19_bDpT10_ENKUlT_T0_E_clISt17integral_constantIbLb0EES1M_EEDaS1H_S1I_EUlS1H_E_NS1_11comp_targetILNS1_3genE8ELNS1_11target_archE1030ELNS1_3gpuE2ELNS1_3repE0EEENS1_30default_config_static_selectorELNS0_4arch9wavefront6targetE0EEEvSV_.uses_flat_scratch, 0
	.set _ZN7rocprim17ROCPRIM_400000_NS6detail17trampoline_kernelINS0_13select_configILj256ELj13ELNS0_17block_load_methodE3ELS4_3ELS4_3ELNS0_20block_scan_algorithmE0ELj4294967295EEENS1_25partition_config_selectorILNS1_17partition_subalgoE3EjNS0_10empty_typeEbEEZZNS1_14partition_implILS8_3ELb0ES6_jNS0_17counting_iteratorIjlEEPS9_SE_NS0_5tupleIJPjSE_EEENSF_IJSE_SE_EEES9_SG_JZNS1_25segmented_radix_sort_implINS0_14default_configELb0EPKlPlSM_SN_N2at6native12_GLOBAL__N_18offset_tEEE10hipError_tPvRmT1_PNSt15iterator_traitsISV_E10value_typeET2_T3_PNSW_IS11_E10value_typeET4_jRbjT5_S17_jjP12ihipStream_tbEUljE_EEESS_ST_SU_S11_S15_S17_T6_T7_T9_mT8_S19_bDpT10_ENKUlT_T0_E_clISt17integral_constantIbLb0EES1M_EEDaS1H_S1I_EUlS1H_E_NS1_11comp_targetILNS1_3genE8ELNS1_11target_archE1030ELNS1_3gpuE2ELNS1_3repE0EEENS1_30default_config_static_selectorELNS0_4arch9wavefront6targetE0EEEvSV_.has_dyn_sized_stack, 0
	.set _ZN7rocprim17ROCPRIM_400000_NS6detail17trampoline_kernelINS0_13select_configILj256ELj13ELNS0_17block_load_methodE3ELS4_3ELS4_3ELNS0_20block_scan_algorithmE0ELj4294967295EEENS1_25partition_config_selectorILNS1_17partition_subalgoE3EjNS0_10empty_typeEbEEZZNS1_14partition_implILS8_3ELb0ES6_jNS0_17counting_iteratorIjlEEPS9_SE_NS0_5tupleIJPjSE_EEENSF_IJSE_SE_EEES9_SG_JZNS1_25segmented_radix_sort_implINS0_14default_configELb0EPKlPlSM_SN_N2at6native12_GLOBAL__N_18offset_tEEE10hipError_tPvRmT1_PNSt15iterator_traitsISV_E10value_typeET2_T3_PNSW_IS11_E10value_typeET4_jRbjT5_S17_jjP12ihipStream_tbEUljE_EEESS_ST_SU_S11_S15_S17_T6_T7_T9_mT8_S19_bDpT10_ENKUlT_T0_E_clISt17integral_constantIbLb0EES1M_EEDaS1H_S1I_EUlS1H_E_NS1_11comp_targetILNS1_3genE8ELNS1_11target_archE1030ELNS1_3gpuE2ELNS1_3repE0EEENS1_30default_config_static_selectorELNS0_4arch9wavefront6targetE0EEEvSV_.has_recursion, 0
	.set _ZN7rocprim17ROCPRIM_400000_NS6detail17trampoline_kernelINS0_13select_configILj256ELj13ELNS0_17block_load_methodE3ELS4_3ELS4_3ELNS0_20block_scan_algorithmE0ELj4294967295EEENS1_25partition_config_selectorILNS1_17partition_subalgoE3EjNS0_10empty_typeEbEEZZNS1_14partition_implILS8_3ELb0ES6_jNS0_17counting_iteratorIjlEEPS9_SE_NS0_5tupleIJPjSE_EEENSF_IJSE_SE_EEES9_SG_JZNS1_25segmented_radix_sort_implINS0_14default_configELb0EPKlPlSM_SN_N2at6native12_GLOBAL__N_18offset_tEEE10hipError_tPvRmT1_PNSt15iterator_traitsISV_E10value_typeET2_T3_PNSW_IS11_E10value_typeET4_jRbjT5_S17_jjP12ihipStream_tbEUljE_EEESS_ST_SU_S11_S15_S17_T6_T7_T9_mT8_S19_bDpT10_ENKUlT_T0_E_clISt17integral_constantIbLb0EES1M_EEDaS1H_S1I_EUlS1H_E_NS1_11comp_targetILNS1_3genE8ELNS1_11target_archE1030ELNS1_3gpuE2ELNS1_3repE0EEENS1_30default_config_static_selectorELNS0_4arch9wavefront6targetE0EEEvSV_.has_indirect_call, 0
	.section	.AMDGPU.csdata,"",@progbits
; Kernel info:
; codeLenInByte = 0
; TotalNumSgprs: 0
; NumVgprs: 0
; ScratchSize: 0
; MemoryBound: 0
; FloatMode: 240
; IeeeMode: 1
; LDSByteSize: 0 bytes/workgroup (compile time only)
; SGPRBlocks: 0
; VGPRBlocks: 0
; NumSGPRsForWavesPerEU: 1
; NumVGPRsForWavesPerEU: 1
; Occupancy: 16
; WaveLimiterHint : 0
; COMPUTE_PGM_RSRC2:SCRATCH_EN: 0
; COMPUTE_PGM_RSRC2:USER_SGPR: 2
; COMPUTE_PGM_RSRC2:TRAP_HANDLER: 0
; COMPUTE_PGM_RSRC2:TGID_X_EN: 1
; COMPUTE_PGM_RSRC2:TGID_Y_EN: 0
; COMPUTE_PGM_RSRC2:TGID_Z_EN: 0
; COMPUTE_PGM_RSRC2:TIDIG_COMP_CNT: 0
	.section	.text._ZN7rocprim17ROCPRIM_400000_NS6detail17trampoline_kernelINS0_13select_configILj256ELj13ELNS0_17block_load_methodE3ELS4_3ELS4_3ELNS0_20block_scan_algorithmE0ELj4294967295EEENS1_25partition_config_selectorILNS1_17partition_subalgoE3EjNS0_10empty_typeEbEEZZNS1_14partition_implILS8_3ELb0ES6_jNS0_17counting_iteratorIjlEEPS9_SE_NS0_5tupleIJPjSE_EEENSF_IJSE_SE_EEES9_SG_JZNS1_25segmented_radix_sort_implINS0_14default_configELb0EPKlPlSM_SN_N2at6native12_GLOBAL__N_18offset_tEEE10hipError_tPvRmT1_PNSt15iterator_traitsISV_E10value_typeET2_T3_PNSW_IS11_E10value_typeET4_jRbjT5_S17_jjP12ihipStream_tbEUljE_EEESS_ST_SU_S11_S15_S17_T6_T7_T9_mT8_S19_bDpT10_ENKUlT_T0_E_clISt17integral_constantIbLb1EES1M_EEDaS1H_S1I_EUlS1H_E_NS1_11comp_targetILNS1_3genE0ELNS1_11target_archE4294967295ELNS1_3gpuE0ELNS1_3repE0EEENS1_30default_config_static_selectorELNS0_4arch9wavefront6targetE0EEEvSV_,"axG",@progbits,_ZN7rocprim17ROCPRIM_400000_NS6detail17trampoline_kernelINS0_13select_configILj256ELj13ELNS0_17block_load_methodE3ELS4_3ELS4_3ELNS0_20block_scan_algorithmE0ELj4294967295EEENS1_25partition_config_selectorILNS1_17partition_subalgoE3EjNS0_10empty_typeEbEEZZNS1_14partition_implILS8_3ELb0ES6_jNS0_17counting_iteratorIjlEEPS9_SE_NS0_5tupleIJPjSE_EEENSF_IJSE_SE_EEES9_SG_JZNS1_25segmented_radix_sort_implINS0_14default_configELb0EPKlPlSM_SN_N2at6native12_GLOBAL__N_18offset_tEEE10hipError_tPvRmT1_PNSt15iterator_traitsISV_E10value_typeET2_T3_PNSW_IS11_E10value_typeET4_jRbjT5_S17_jjP12ihipStream_tbEUljE_EEESS_ST_SU_S11_S15_S17_T6_T7_T9_mT8_S19_bDpT10_ENKUlT_T0_E_clISt17integral_constantIbLb1EES1M_EEDaS1H_S1I_EUlS1H_E_NS1_11comp_targetILNS1_3genE0ELNS1_11target_archE4294967295ELNS1_3gpuE0ELNS1_3repE0EEENS1_30default_config_static_selectorELNS0_4arch9wavefront6targetE0EEEvSV_,comdat
	.globl	_ZN7rocprim17ROCPRIM_400000_NS6detail17trampoline_kernelINS0_13select_configILj256ELj13ELNS0_17block_load_methodE3ELS4_3ELS4_3ELNS0_20block_scan_algorithmE0ELj4294967295EEENS1_25partition_config_selectorILNS1_17partition_subalgoE3EjNS0_10empty_typeEbEEZZNS1_14partition_implILS8_3ELb0ES6_jNS0_17counting_iteratorIjlEEPS9_SE_NS0_5tupleIJPjSE_EEENSF_IJSE_SE_EEES9_SG_JZNS1_25segmented_radix_sort_implINS0_14default_configELb0EPKlPlSM_SN_N2at6native12_GLOBAL__N_18offset_tEEE10hipError_tPvRmT1_PNSt15iterator_traitsISV_E10value_typeET2_T3_PNSW_IS11_E10value_typeET4_jRbjT5_S17_jjP12ihipStream_tbEUljE_EEESS_ST_SU_S11_S15_S17_T6_T7_T9_mT8_S19_bDpT10_ENKUlT_T0_E_clISt17integral_constantIbLb1EES1M_EEDaS1H_S1I_EUlS1H_E_NS1_11comp_targetILNS1_3genE0ELNS1_11target_archE4294967295ELNS1_3gpuE0ELNS1_3repE0EEENS1_30default_config_static_selectorELNS0_4arch9wavefront6targetE0EEEvSV_ ; -- Begin function _ZN7rocprim17ROCPRIM_400000_NS6detail17trampoline_kernelINS0_13select_configILj256ELj13ELNS0_17block_load_methodE3ELS4_3ELS4_3ELNS0_20block_scan_algorithmE0ELj4294967295EEENS1_25partition_config_selectorILNS1_17partition_subalgoE3EjNS0_10empty_typeEbEEZZNS1_14partition_implILS8_3ELb0ES6_jNS0_17counting_iteratorIjlEEPS9_SE_NS0_5tupleIJPjSE_EEENSF_IJSE_SE_EEES9_SG_JZNS1_25segmented_radix_sort_implINS0_14default_configELb0EPKlPlSM_SN_N2at6native12_GLOBAL__N_18offset_tEEE10hipError_tPvRmT1_PNSt15iterator_traitsISV_E10value_typeET2_T3_PNSW_IS11_E10value_typeET4_jRbjT5_S17_jjP12ihipStream_tbEUljE_EEESS_ST_SU_S11_S15_S17_T6_T7_T9_mT8_S19_bDpT10_ENKUlT_T0_E_clISt17integral_constantIbLb1EES1M_EEDaS1H_S1I_EUlS1H_E_NS1_11comp_targetILNS1_3genE0ELNS1_11target_archE4294967295ELNS1_3gpuE0ELNS1_3repE0EEENS1_30default_config_static_selectorELNS0_4arch9wavefront6targetE0EEEvSV_
	.p2align	8
	.type	_ZN7rocprim17ROCPRIM_400000_NS6detail17trampoline_kernelINS0_13select_configILj256ELj13ELNS0_17block_load_methodE3ELS4_3ELS4_3ELNS0_20block_scan_algorithmE0ELj4294967295EEENS1_25partition_config_selectorILNS1_17partition_subalgoE3EjNS0_10empty_typeEbEEZZNS1_14partition_implILS8_3ELb0ES6_jNS0_17counting_iteratorIjlEEPS9_SE_NS0_5tupleIJPjSE_EEENSF_IJSE_SE_EEES9_SG_JZNS1_25segmented_radix_sort_implINS0_14default_configELb0EPKlPlSM_SN_N2at6native12_GLOBAL__N_18offset_tEEE10hipError_tPvRmT1_PNSt15iterator_traitsISV_E10value_typeET2_T3_PNSW_IS11_E10value_typeET4_jRbjT5_S17_jjP12ihipStream_tbEUljE_EEESS_ST_SU_S11_S15_S17_T6_T7_T9_mT8_S19_bDpT10_ENKUlT_T0_E_clISt17integral_constantIbLb1EES1M_EEDaS1H_S1I_EUlS1H_E_NS1_11comp_targetILNS1_3genE0ELNS1_11target_archE4294967295ELNS1_3gpuE0ELNS1_3repE0EEENS1_30default_config_static_selectorELNS0_4arch9wavefront6targetE0EEEvSV_,@function
_ZN7rocprim17ROCPRIM_400000_NS6detail17trampoline_kernelINS0_13select_configILj256ELj13ELNS0_17block_load_methodE3ELS4_3ELS4_3ELNS0_20block_scan_algorithmE0ELj4294967295EEENS1_25partition_config_selectorILNS1_17partition_subalgoE3EjNS0_10empty_typeEbEEZZNS1_14partition_implILS8_3ELb0ES6_jNS0_17counting_iteratorIjlEEPS9_SE_NS0_5tupleIJPjSE_EEENSF_IJSE_SE_EEES9_SG_JZNS1_25segmented_radix_sort_implINS0_14default_configELb0EPKlPlSM_SN_N2at6native12_GLOBAL__N_18offset_tEEE10hipError_tPvRmT1_PNSt15iterator_traitsISV_E10value_typeET2_T3_PNSW_IS11_E10value_typeET4_jRbjT5_S17_jjP12ihipStream_tbEUljE_EEESS_ST_SU_S11_S15_S17_T6_T7_T9_mT8_S19_bDpT10_ENKUlT_T0_E_clISt17integral_constantIbLb1EES1M_EEDaS1H_S1I_EUlS1H_E_NS1_11comp_targetILNS1_3genE0ELNS1_11target_archE4294967295ELNS1_3gpuE0ELNS1_3repE0EEENS1_30default_config_static_selectorELNS0_4arch9wavefront6targetE0EEEvSV_: ; @_ZN7rocprim17ROCPRIM_400000_NS6detail17trampoline_kernelINS0_13select_configILj256ELj13ELNS0_17block_load_methodE3ELS4_3ELS4_3ELNS0_20block_scan_algorithmE0ELj4294967295EEENS1_25partition_config_selectorILNS1_17partition_subalgoE3EjNS0_10empty_typeEbEEZZNS1_14partition_implILS8_3ELb0ES6_jNS0_17counting_iteratorIjlEEPS9_SE_NS0_5tupleIJPjSE_EEENSF_IJSE_SE_EEES9_SG_JZNS1_25segmented_radix_sort_implINS0_14default_configELb0EPKlPlSM_SN_N2at6native12_GLOBAL__N_18offset_tEEE10hipError_tPvRmT1_PNSt15iterator_traitsISV_E10value_typeET2_T3_PNSW_IS11_E10value_typeET4_jRbjT5_S17_jjP12ihipStream_tbEUljE_EEESS_ST_SU_S11_S15_S17_T6_T7_T9_mT8_S19_bDpT10_ENKUlT_T0_E_clISt17integral_constantIbLb1EES1M_EEDaS1H_S1I_EUlS1H_E_NS1_11comp_targetILNS1_3genE0ELNS1_11target_archE4294967295ELNS1_3gpuE0ELNS1_3repE0EEENS1_30default_config_static_selectorELNS0_4arch9wavefront6targetE0EEEvSV_
; %bb.0:
	.section	.rodata,"a",@progbits
	.p2align	6, 0x0
	.amdhsa_kernel _ZN7rocprim17ROCPRIM_400000_NS6detail17trampoline_kernelINS0_13select_configILj256ELj13ELNS0_17block_load_methodE3ELS4_3ELS4_3ELNS0_20block_scan_algorithmE0ELj4294967295EEENS1_25partition_config_selectorILNS1_17partition_subalgoE3EjNS0_10empty_typeEbEEZZNS1_14partition_implILS8_3ELb0ES6_jNS0_17counting_iteratorIjlEEPS9_SE_NS0_5tupleIJPjSE_EEENSF_IJSE_SE_EEES9_SG_JZNS1_25segmented_radix_sort_implINS0_14default_configELb0EPKlPlSM_SN_N2at6native12_GLOBAL__N_18offset_tEEE10hipError_tPvRmT1_PNSt15iterator_traitsISV_E10value_typeET2_T3_PNSW_IS11_E10value_typeET4_jRbjT5_S17_jjP12ihipStream_tbEUljE_EEESS_ST_SU_S11_S15_S17_T6_T7_T9_mT8_S19_bDpT10_ENKUlT_T0_E_clISt17integral_constantIbLb1EES1M_EEDaS1H_S1I_EUlS1H_E_NS1_11comp_targetILNS1_3genE0ELNS1_11target_archE4294967295ELNS1_3gpuE0ELNS1_3repE0EEENS1_30default_config_static_selectorELNS0_4arch9wavefront6targetE0EEEvSV_
		.amdhsa_group_segment_fixed_size 0
		.amdhsa_private_segment_fixed_size 0
		.amdhsa_kernarg_size 152
		.amdhsa_user_sgpr_count 2
		.amdhsa_user_sgpr_dispatch_ptr 0
		.amdhsa_user_sgpr_queue_ptr 0
		.amdhsa_user_sgpr_kernarg_segment_ptr 1
		.amdhsa_user_sgpr_dispatch_id 0
		.amdhsa_user_sgpr_private_segment_size 0
		.amdhsa_wavefront_size32 1
		.amdhsa_uses_dynamic_stack 0
		.amdhsa_enable_private_segment 0
		.amdhsa_system_sgpr_workgroup_id_x 1
		.amdhsa_system_sgpr_workgroup_id_y 0
		.amdhsa_system_sgpr_workgroup_id_z 0
		.amdhsa_system_sgpr_workgroup_info 0
		.amdhsa_system_vgpr_workitem_id 0
		.amdhsa_next_free_vgpr 1
		.amdhsa_next_free_sgpr 1
		.amdhsa_reserve_vcc 0
		.amdhsa_float_round_mode_32 0
		.amdhsa_float_round_mode_16_64 0
		.amdhsa_float_denorm_mode_32 3
		.amdhsa_float_denorm_mode_16_64 3
		.amdhsa_fp16_overflow 0
		.amdhsa_workgroup_processor_mode 1
		.amdhsa_memory_ordered 1
		.amdhsa_forward_progress 1
		.amdhsa_inst_pref_size 0
		.amdhsa_round_robin_scheduling 0
		.amdhsa_exception_fp_ieee_invalid_op 0
		.amdhsa_exception_fp_denorm_src 0
		.amdhsa_exception_fp_ieee_div_zero 0
		.amdhsa_exception_fp_ieee_overflow 0
		.amdhsa_exception_fp_ieee_underflow 0
		.amdhsa_exception_fp_ieee_inexact 0
		.amdhsa_exception_int_div_zero 0
	.end_amdhsa_kernel
	.section	.text._ZN7rocprim17ROCPRIM_400000_NS6detail17trampoline_kernelINS0_13select_configILj256ELj13ELNS0_17block_load_methodE3ELS4_3ELS4_3ELNS0_20block_scan_algorithmE0ELj4294967295EEENS1_25partition_config_selectorILNS1_17partition_subalgoE3EjNS0_10empty_typeEbEEZZNS1_14partition_implILS8_3ELb0ES6_jNS0_17counting_iteratorIjlEEPS9_SE_NS0_5tupleIJPjSE_EEENSF_IJSE_SE_EEES9_SG_JZNS1_25segmented_radix_sort_implINS0_14default_configELb0EPKlPlSM_SN_N2at6native12_GLOBAL__N_18offset_tEEE10hipError_tPvRmT1_PNSt15iterator_traitsISV_E10value_typeET2_T3_PNSW_IS11_E10value_typeET4_jRbjT5_S17_jjP12ihipStream_tbEUljE_EEESS_ST_SU_S11_S15_S17_T6_T7_T9_mT8_S19_bDpT10_ENKUlT_T0_E_clISt17integral_constantIbLb1EES1M_EEDaS1H_S1I_EUlS1H_E_NS1_11comp_targetILNS1_3genE0ELNS1_11target_archE4294967295ELNS1_3gpuE0ELNS1_3repE0EEENS1_30default_config_static_selectorELNS0_4arch9wavefront6targetE0EEEvSV_,"axG",@progbits,_ZN7rocprim17ROCPRIM_400000_NS6detail17trampoline_kernelINS0_13select_configILj256ELj13ELNS0_17block_load_methodE3ELS4_3ELS4_3ELNS0_20block_scan_algorithmE0ELj4294967295EEENS1_25partition_config_selectorILNS1_17partition_subalgoE3EjNS0_10empty_typeEbEEZZNS1_14partition_implILS8_3ELb0ES6_jNS0_17counting_iteratorIjlEEPS9_SE_NS0_5tupleIJPjSE_EEENSF_IJSE_SE_EEES9_SG_JZNS1_25segmented_radix_sort_implINS0_14default_configELb0EPKlPlSM_SN_N2at6native12_GLOBAL__N_18offset_tEEE10hipError_tPvRmT1_PNSt15iterator_traitsISV_E10value_typeET2_T3_PNSW_IS11_E10value_typeET4_jRbjT5_S17_jjP12ihipStream_tbEUljE_EEESS_ST_SU_S11_S15_S17_T6_T7_T9_mT8_S19_bDpT10_ENKUlT_T0_E_clISt17integral_constantIbLb1EES1M_EEDaS1H_S1I_EUlS1H_E_NS1_11comp_targetILNS1_3genE0ELNS1_11target_archE4294967295ELNS1_3gpuE0ELNS1_3repE0EEENS1_30default_config_static_selectorELNS0_4arch9wavefront6targetE0EEEvSV_,comdat
.Lfunc_end783:
	.size	_ZN7rocprim17ROCPRIM_400000_NS6detail17trampoline_kernelINS0_13select_configILj256ELj13ELNS0_17block_load_methodE3ELS4_3ELS4_3ELNS0_20block_scan_algorithmE0ELj4294967295EEENS1_25partition_config_selectorILNS1_17partition_subalgoE3EjNS0_10empty_typeEbEEZZNS1_14partition_implILS8_3ELb0ES6_jNS0_17counting_iteratorIjlEEPS9_SE_NS0_5tupleIJPjSE_EEENSF_IJSE_SE_EEES9_SG_JZNS1_25segmented_radix_sort_implINS0_14default_configELb0EPKlPlSM_SN_N2at6native12_GLOBAL__N_18offset_tEEE10hipError_tPvRmT1_PNSt15iterator_traitsISV_E10value_typeET2_T3_PNSW_IS11_E10value_typeET4_jRbjT5_S17_jjP12ihipStream_tbEUljE_EEESS_ST_SU_S11_S15_S17_T6_T7_T9_mT8_S19_bDpT10_ENKUlT_T0_E_clISt17integral_constantIbLb1EES1M_EEDaS1H_S1I_EUlS1H_E_NS1_11comp_targetILNS1_3genE0ELNS1_11target_archE4294967295ELNS1_3gpuE0ELNS1_3repE0EEENS1_30default_config_static_selectorELNS0_4arch9wavefront6targetE0EEEvSV_, .Lfunc_end783-_ZN7rocprim17ROCPRIM_400000_NS6detail17trampoline_kernelINS0_13select_configILj256ELj13ELNS0_17block_load_methodE3ELS4_3ELS4_3ELNS0_20block_scan_algorithmE0ELj4294967295EEENS1_25partition_config_selectorILNS1_17partition_subalgoE3EjNS0_10empty_typeEbEEZZNS1_14partition_implILS8_3ELb0ES6_jNS0_17counting_iteratorIjlEEPS9_SE_NS0_5tupleIJPjSE_EEENSF_IJSE_SE_EEES9_SG_JZNS1_25segmented_radix_sort_implINS0_14default_configELb0EPKlPlSM_SN_N2at6native12_GLOBAL__N_18offset_tEEE10hipError_tPvRmT1_PNSt15iterator_traitsISV_E10value_typeET2_T3_PNSW_IS11_E10value_typeET4_jRbjT5_S17_jjP12ihipStream_tbEUljE_EEESS_ST_SU_S11_S15_S17_T6_T7_T9_mT8_S19_bDpT10_ENKUlT_T0_E_clISt17integral_constantIbLb1EES1M_EEDaS1H_S1I_EUlS1H_E_NS1_11comp_targetILNS1_3genE0ELNS1_11target_archE4294967295ELNS1_3gpuE0ELNS1_3repE0EEENS1_30default_config_static_selectorELNS0_4arch9wavefront6targetE0EEEvSV_
                                        ; -- End function
	.set _ZN7rocprim17ROCPRIM_400000_NS6detail17trampoline_kernelINS0_13select_configILj256ELj13ELNS0_17block_load_methodE3ELS4_3ELS4_3ELNS0_20block_scan_algorithmE0ELj4294967295EEENS1_25partition_config_selectorILNS1_17partition_subalgoE3EjNS0_10empty_typeEbEEZZNS1_14partition_implILS8_3ELb0ES6_jNS0_17counting_iteratorIjlEEPS9_SE_NS0_5tupleIJPjSE_EEENSF_IJSE_SE_EEES9_SG_JZNS1_25segmented_radix_sort_implINS0_14default_configELb0EPKlPlSM_SN_N2at6native12_GLOBAL__N_18offset_tEEE10hipError_tPvRmT1_PNSt15iterator_traitsISV_E10value_typeET2_T3_PNSW_IS11_E10value_typeET4_jRbjT5_S17_jjP12ihipStream_tbEUljE_EEESS_ST_SU_S11_S15_S17_T6_T7_T9_mT8_S19_bDpT10_ENKUlT_T0_E_clISt17integral_constantIbLb1EES1M_EEDaS1H_S1I_EUlS1H_E_NS1_11comp_targetILNS1_3genE0ELNS1_11target_archE4294967295ELNS1_3gpuE0ELNS1_3repE0EEENS1_30default_config_static_selectorELNS0_4arch9wavefront6targetE0EEEvSV_.num_vgpr, 0
	.set _ZN7rocprim17ROCPRIM_400000_NS6detail17trampoline_kernelINS0_13select_configILj256ELj13ELNS0_17block_load_methodE3ELS4_3ELS4_3ELNS0_20block_scan_algorithmE0ELj4294967295EEENS1_25partition_config_selectorILNS1_17partition_subalgoE3EjNS0_10empty_typeEbEEZZNS1_14partition_implILS8_3ELb0ES6_jNS0_17counting_iteratorIjlEEPS9_SE_NS0_5tupleIJPjSE_EEENSF_IJSE_SE_EEES9_SG_JZNS1_25segmented_radix_sort_implINS0_14default_configELb0EPKlPlSM_SN_N2at6native12_GLOBAL__N_18offset_tEEE10hipError_tPvRmT1_PNSt15iterator_traitsISV_E10value_typeET2_T3_PNSW_IS11_E10value_typeET4_jRbjT5_S17_jjP12ihipStream_tbEUljE_EEESS_ST_SU_S11_S15_S17_T6_T7_T9_mT8_S19_bDpT10_ENKUlT_T0_E_clISt17integral_constantIbLb1EES1M_EEDaS1H_S1I_EUlS1H_E_NS1_11comp_targetILNS1_3genE0ELNS1_11target_archE4294967295ELNS1_3gpuE0ELNS1_3repE0EEENS1_30default_config_static_selectorELNS0_4arch9wavefront6targetE0EEEvSV_.num_agpr, 0
	.set _ZN7rocprim17ROCPRIM_400000_NS6detail17trampoline_kernelINS0_13select_configILj256ELj13ELNS0_17block_load_methodE3ELS4_3ELS4_3ELNS0_20block_scan_algorithmE0ELj4294967295EEENS1_25partition_config_selectorILNS1_17partition_subalgoE3EjNS0_10empty_typeEbEEZZNS1_14partition_implILS8_3ELb0ES6_jNS0_17counting_iteratorIjlEEPS9_SE_NS0_5tupleIJPjSE_EEENSF_IJSE_SE_EEES9_SG_JZNS1_25segmented_radix_sort_implINS0_14default_configELb0EPKlPlSM_SN_N2at6native12_GLOBAL__N_18offset_tEEE10hipError_tPvRmT1_PNSt15iterator_traitsISV_E10value_typeET2_T3_PNSW_IS11_E10value_typeET4_jRbjT5_S17_jjP12ihipStream_tbEUljE_EEESS_ST_SU_S11_S15_S17_T6_T7_T9_mT8_S19_bDpT10_ENKUlT_T0_E_clISt17integral_constantIbLb1EES1M_EEDaS1H_S1I_EUlS1H_E_NS1_11comp_targetILNS1_3genE0ELNS1_11target_archE4294967295ELNS1_3gpuE0ELNS1_3repE0EEENS1_30default_config_static_selectorELNS0_4arch9wavefront6targetE0EEEvSV_.numbered_sgpr, 0
	.set _ZN7rocprim17ROCPRIM_400000_NS6detail17trampoline_kernelINS0_13select_configILj256ELj13ELNS0_17block_load_methodE3ELS4_3ELS4_3ELNS0_20block_scan_algorithmE0ELj4294967295EEENS1_25partition_config_selectorILNS1_17partition_subalgoE3EjNS0_10empty_typeEbEEZZNS1_14partition_implILS8_3ELb0ES6_jNS0_17counting_iteratorIjlEEPS9_SE_NS0_5tupleIJPjSE_EEENSF_IJSE_SE_EEES9_SG_JZNS1_25segmented_radix_sort_implINS0_14default_configELb0EPKlPlSM_SN_N2at6native12_GLOBAL__N_18offset_tEEE10hipError_tPvRmT1_PNSt15iterator_traitsISV_E10value_typeET2_T3_PNSW_IS11_E10value_typeET4_jRbjT5_S17_jjP12ihipStream_tbEUljE_EEESS_ST_SU_S11_S15_S17_T6_T7_T9_mT8_S19_bDpT10_ENKUlT_T0_E_clISt17integral_constantIbLb1EES1M_EEDaS1H_S1I_EUlS1H_E_NS1_11comp_targetILNS1_3genE0ELNS1_11target_archE4294967295ELNS1_3gpuE0ELNS1_3repE0EEENS1_30default_config_static_selectorELNS0_4arch9wavefront6targetE0EEEvSV_.num_named_barrier, 0
	.set _ZN7rocprim17ROCPRIM_400000_NS6detail17trampoline_kernelINS0_13select_configILj256ELj13ELNS0_17block_load_methodE3ELS4_3ELS4_3ELNS0_20block_scan_algorithmE0ELj4294967295EEENS1_25partition_config_selectorILNS1_17partition_subalgoE3EjNS0_10empty_typeEbEEZZNS1_14partition_implILS8_3ELb0ES6_jNS0_17counting_iteratorIjlEEPS9_SE_NS0_5tupleIJPjSE_EEENSF_IJSE_SE_EEES9_SG_JZNS1_25segmented_radix_sort_implINS0_14default_configELb0EPKlPlSM_SN_N2at6native12_GLOBAL__N_18offset_tEEE10hipError_tPvRmT1_PNSt15iterator_traitsISV_E10value_typeET2_T3_PNSW_IS11_E10value_typeET4_jRbjT5_S17_jjP12ihipStream_tbEUljE_EEESS_ST_SU_S11_S15_S17_T6_T7_T9_mT8_S19_bDpT10_ENKUlT_T0_E_clISt17integral_constantIbLb1EES1M_EEDaS1H_S1I_EUlS1H_E_NS1_11comp_targetILNS1_3genE0ELNS1_11target_archE4294967295ELNS1_3gpuE0ELNS1_3repE0EEENS1_30default_config_static_selectorELNS0_4arch9wavefront6targetE0EEEvSV_.private_seg_size, 0
	.set _ZN7rocprim17ROCPRIM_400000_NS6detail17trampoline_kernelINS0_13select_configILj256ELj13ELNS0_17block_load_methodE3ELS4_3ELS4_3ELNS0_20block_scan_algorithmE0ELj4294967295EEENS1_25partition_config_selectorILNS1_17partition_subalgoE3EjNS0_10empty_typeEbEEZZNS1_14partition_implILS8_3ELb0ES6_jNS0_17counting_iteratorIjlEEPS9_SE_NS0_5tupleIJPjSE_EEENSF_IJSE_SE_EEES9_SG_JZNS1_25segmented_radix_sort_implINS0_14default_configELb0EPKlPlSM_SN_N2at6native12_GLOBAL__N_18offset_tEEE10hipError_tPvRmT1_PNSt15iterator_traitsISV_E10value_typeET2_T3_PNSW_IS11_E10value_typeET4_jRbjT5_S17_jjP12ihipStream_tbEUljE_EEESS_ST_SU_S11_S15_S17_T6_T7_T9_mT8_S19_bDpT10_ENKUlT_T0_E_clISt17integral_constantIbLb1EES1M_EEDaS1H_S1I_EUlS1H_E_NS1_11comp_targetILNS1_3genE0ELNS1_11target_archE4294967295ELNS1_3gpuE0ELNS1_3repE0EEENS1_30default_config_static_selectorELNS0_4arch9wavefront6targetE0EEEvSV_.uses_vcc, 0
	.set _ZN7rocprim17ROCPRIM_400000_NS6detail17trampoline_kernelINS0_13select_configILj256ELj13ELNS0_17block_load_methodE3ELS4_3ELS4_3ELNS0_20block_scan_algorithmE0ELj4294967295EEENS1_25partition_config_selectorILNS1_17partition_subalgoE3EjNS0_10empty_typeEbEEZZNS1_14partition_implILS8_3ELb0ES6_jNS0_17counting_iteratorIjlEEPS9_SE_NS0_5tupleIJPjSE_EEENSF_IJSE_SE_EEES9_SG_JZNS1_25segmented_radix_sort_implINS0_14default_configELb0EPKlPlSM_SN_N2at6native12_GLOBAL__N_18offset_tEEE10hipError_tPvRmT1_PNSt15iterator_traitsISV_E10value_typeET2_T3_PNSW_IS11_E10value_typeET4_jRbjT5_S17_jjP12ihipStream_tbEUljE_EEESS_ST_SU_S11_S15_S17_T6_T7_T9_mT8_S19_bDpT10_ENKUlT_T0_E_clISt17integral_constantIbLb1EES1M_EEDaS1H_S1I_EUlS1H_E_NS1_11comp_targetILNS1_3genE0ELNS1_11target_archE4294967295ELNS1_3gpuE0ELNS1_3repE0EEENS1_30default_config_static_selectorELNS0_4arch9wavefront6targetE0EEEvSV_.uses_flat_scratch, 0
	.set _ZN7rocprim17ROCPRIM_400000_NS6detail17trampoline_kernelINS0_13select_configILj256ELj13ELNS0_17block_load_methodE3ELS4_3ELS4_3ELNS0_20block_scan_algorithmE0ELj4294967295EEENS1_25partition_config_selectorILNS1_17partition_subalgoE3EjNS0_10empty_typeEbEEZZNS1_14partition_implILS8_3ELb0ES6_jNS0_17counting_iteratorIjlEEPS9_SE_NS0_5tupleIJPjSE_EEENSF_IJSE_SE_EEES9_SG_JZNS1_25segmented_radix_sort_implINS0_14default_configELb0EPKlPlSM_SN_N2at6native12_GLOBAL__N_18offset_tEEE10hipError_tPvRmT1_PNSt15iterator_traitsISV_E10value_typeET2_T3_PNSW_IS11_E10value_typeET4_jRbjT5_S17_jjP12ihipStream_tbEUljE_EEESS_ST_SU_S11_S15_S17_T6_T7_T9_mT8_S19_bDpT10_ENKUlT_T0_E_clISt17integral_constantIbLb1EES1M_EEDaS1H_S1I_EUlS1H_E_NS1_11comp_targetILNS1_3genE0ELNS1_11target_archE4294967295ELNS1_3gpuE0ELNS1_3repE0EEENS1_30default_config_static_selectorELNS0_4arch9wavefront6targetE0EEEvSV_.has_dyn_sized_stack, 0
	.set _ZN7rocprim17ROCPRIM_400000_NS6detail17trampoline_kernelINS0_13select_configILj256ELj13ELNS0_17block_load_methodE3ELS4_3ELS4_3ELNS0_20block_scan_algorithmE0ELj4294967295EEENS1_25partition_config_selectorILNS1_17partition_subalgoE3EjNS0_10empty_typeEbEEZZNS1_14partition_implILS8_3ELb0ES6_jNS0_17counting_iteratorIjlEEPS9_SE_NS0_5tupleIJPjSE_EEENSF_IJSE_SE_EEES9_SG_JZNS1_25segmented_radix_sort_implINS0_14default_configELb0EPKlPlSM_SN_N2at6native12_GLOBAL__N_18offset_tEEE10hipError_tPvRmT1_PNSt15iterator_traitsISV_E10value_typeET2_T3_PNSW_IS11_E10value_typeET4_jRbjT5_S17_jjP12ihipStream_tbEUljE_EEESS_ST_SU_S11_S15_S17_T6_T7_T9_mT8_S19_bDpT10_ENKUlT_T0_E_clISt17integral_constantIbLb1EES1M_EEDaS1H_S1I_EUlS1H_E_NS1_11comp_targetILNS1_3genE0ELNS1_11target_archE4294967295ELNS1_3gpuE0ELNS1_3repE0EEENS1_30default_config_static_selectorELNS0_4arch9wavefront6targetE0EEEvSV_.has_recursion, 0
	.set _ZN7rocprim17ROCPRIM_400000_NS6detail17trampoline_kernelINS0_13select_configILj256ELj13ELNS0_17block_load_methodE3ELS4_3ELS4_3ELNS0_20block_scan_algorithmE0ELj4294967295EEENS1_25partition_config_selectorILNS1_17partition_subalgoE3EjNS0_10empty_typeEbEEZZNS1_14partition_implILS8_3ELb0ES6_jNS0_17counting_iteratorIjlEEPS9_SE_NS0_5tupleIJPjSE_EEENSF_IJSE_SE_EEES9_SG_JZNS1_25segmented_radix_sort_implINS0_14default_configELb0EPKlPlSM_SN_N2at6native12_GLOBAL__N_18offset_tEEE10hipError_tPvRmT1_PNSt15iterator_traitsISV_E10value_typeET2_T3_PNSW_IS11_E10value_typeET4_jRbjT5_S17_jjP12ihipStream_tbEUljE_EEESS_ST_SU_S11_S15_S17_T6_T7_T9_mT8_S19_bDpT10_ENKUlT_T0_E_clISt17integral_constantIbLb1EES1M_EEDaS1H_S1I_EUlS1H_E_NS1_11comp_targetILNS1_3genE0ELNS1_11target_archE4294967295ELNS1_3gpuE0ELNS1_3repE0EEENS1_30default_config_static_selectorELNS0_4arch9wavefront6targetE0EEEvSV_.has_indirect_call, 0
	.section	.AMDGPU.csdata,"",@progbits
; Kernel info:
; codeLenInByte = 0
; TotalNumSgprs: 0
; NumVgprs: 0
; ScratchSize: 0
; MemoryBound: 0
; FloatMode: 240
; IeeeMode: 1
; LDSByteSize: 0 bytes/workgroup (compile time only)
; SGPRBlocks: 0
; VGPRBlocks: 0
; NumSGPRsForWavesPerEU: 1
; NumVGPRsForWavesPerEU: 1
; Occupancy: 16
; WaveLimiterHint : 0
; COMPUTE_PGM_RSRC2:SCRATCH_EN: 0
; COMPUTE_PGM_RSRC2:USER_SGPR: 2
; COMPUTE_PGM_RSRC2:TRAP_HANDLER: 0
; COMPUTE_PGM_RSRC2:TGID_X_EN: 1
; COMPUTE_PGM_RSRC2:TGID_Y_EN: 0
; COMPUTE_PGM_RSRC2:TGID_Z_EN: 0
; COMPUTE_PGM_RSRC2:TIDIG_COMP_CNT: 0
	.section	.text._ZN7rocprim17ROCPRIM_400000_NS6detail17trampoline_kernelINS0_13select_configILj256ELj13ELNS0_17block_load_methodE3ELS4_3ELS4_3ELNS0_20block_scan_algorithmE0ELj4294967295EEENS1_25partition_config_selectorILNS1_17partition_subalgoE3EjNS0_10empty_typeEbEEZZNS1_14partition_implILS8_3ELb0ES6_jNS0_17counting_iteratorIjlEEPS9_SE_NS0_5tupleIJPjSE_EEENSF_IJSE_SE_EEES9_SG_JZNS1_25segmented_radix_sort_implINS0_14default_configELb0EPKlPlSM_SN_N2at6native12_GLOBAL__N_18offset_tEEE10hipError_tPvRmT1_PNSt15iterator_traitsISV_E10value_typeET2_T3_PNSW_IS11_E10value_typeET4_jRbjT5_S17_jjP12ihipStream_tbEUljE_EEESS_ST_SU_S11_S15_S17_T6_T7_T9_mT8_S19_bDpT10_ENKUlT_T0_E_clISt17integral_constantIbLb1EES1M_EEDaS1H_S1I_EUlS1H_E_NS1_11comp_targetILNS1_3genE5ELNS1_11target_archE942ELNS1_3gpuE9ELNS1_3repE0EEENS1_30default_config_static_selectorELNS0_4arch9wavefront6targetE0EEEvSV_,"axG",@progbits,_ZN7rocprim17ROCPRIM_400000_NS6detail17trampoline_kernelINS0_13select_configILj256ELj13ELNS0_17block_load_methodE3ELS4_3ELS4_3ELNS0_20block_scan_algorithmE0ELj4294967295EEENS1_25partition_config_selectorILNS1_17partition_subalgoE3EjNS0_10empty_typeEbEEZZNS1_14partition_implILS8_3ELb0ES6_jNS0_17counting_iteratorIjlEEPS9_SE_NS0_5tupleIJPjSE_EEENSF_IJSE_SE_EEES9_SG_JZNS1_25segmented_radix_sort_implINS0_14default_configELb0EPKlPlSM_SN_N2at6native12_GLOBAL__N_18offset_tEEE10hipError_tPvRmT1_PNSt15iterator_traitsISV_E10value_typeET2_T3_PNSW_IS11_E10value_typeET4_jRbjT5_S17_jjP12ihipStream_tbEUljE_EEESS_ST_SU_S11_S15_S17_T6_T7_T9_mT8_S19_bDpT10_ENKUlT_T0_E_clISt17integral_constantIbLb1EES1M_EEDaS1H_S1I_EUlS1H_E_NS1_11comp_targetILNS1_3genE5ELNS1_11target_archE942ELNS1_3gpuE9ELNS1_3repE0EEENS1_30default_config_static_selectorELNS0_4arch9wavefront6targetE0EEEvSV_,comdat
	.globl	_ZN7rocprim17ROCPRIM_400000_NS6detail17trampoline_kernelINS0_13select_configILj256ELj13ELNS0_17block_load_methodE3ELS4_3ELS4_3ELNS0_20block_scan_algorithmE0ELj4294967295EEENS1_25partition_config_selectorILNS1_17partition_subalgoE3EjNS0_10empty_typeEbEEZZNS1_14partition_implILS8_3ELb0ES6_jNS0_17counting_iteratorIjlEEPS9_SE_NS0_5tupleIJPjSE_EEENSF_IJSE_SE_EEES9_SG_JZNS1_25segmented_radix_sort_implINS0_14default_configELb0EPKlPlSM_SN_N2at6native12_GLOBAL__N_18offset_tEEE10hipError_tPvRmT1_PNSt15iterator_traitsISV_E10value_typeET2_T3_PNSW_IS11_E10value_typeET4_jRbjT5_S17_jjP12ihipStream_tbEUljE_EEESS_ST_SU_S11_S15_S17_T6_T7_T9_mT8_S19_bDpT10_ENKUlT_T0_E_clISt17integral_constantIbLb1EES1M_EEDaS1H_S1I_EUlS1H_E_NS1_11comp_targetILNS1_3genE5ELNS1_11target_archE942ELNS1_3gpuE9ELNS1_3repE0EEENS1_30default_config_static_selectorELNS0_4arch9wavefront6targetE0EEEvSV_ ; -- Begin function _ZN7rocprim17ROCPRIM_400000_NS6detail17trampoline_kernelINS0_13select_configILj256ELj13ELNS0_17block_load_methodE3ELS4_3ELS4_3ELNS0_20block_scan_algorithmE0ELj4294967295EEENS1_25partition_config_selectorILNS1_17partition_subalgoE3EjNS0_10empty_typeEbEEZZNS1_14partition_implILS8_3ELb0ES6_jNS0_17counting_iteratorIjlEEPS9_SE_NS0_5tupleIJPjSE_EEENSF_IJSE_SE_EEES9_SG_JZNS1_25segmented_radix_sort_implINS0_14default_configELb0EPKlPlSM_SN_N2at6native12_GLOBAL__N_18offset_tEEE10hipError_tPvRmT1_PNSt15iterator_traitsISV_E10value_typeET2_T3_PNSW_IS11_E10value_typeET4_jRbjT5_S17_jjP12ihipStream_tbEUljE_EEESS_ST_SU_S11_S15_S17_T6_T7_T9_mT8_S19_bDpT10_ENKUlT_T0_E_clISt17integral_constantIbLb1EES1M_EEDaS1H_S1I_EUlS1H_E_NS1_11comp_targetILNS1_3genE5ELNS1_11target_archE942ELNS1_3gpuE9ELNS1_3repE0EEENS1_30default_config_static_selectorELNS0_4arch9wavefront6targetE0EEEvSV_
	.p2align	8
	.type	_ZN7rocprim17ROCPRIM_400000_NS6detail17trampoline_kernelINS0_13select_configILj256ELj13ELNS0_17block_load_methodE3ELS4_3ELS4_3ELNS0_20block_scan_algorithmE0ELj4294967295EEENS1_25partition_config_selectorILNS1_17partition_subalgoE3EjNS0_10empty_typeEbEEZZNS1_14partition_implILS8_3ELb0ES6_jNS0_17counting_iteratorIjlEEPS9_SE_NS0_5tupleIJPjSE_EEENSF_IJSE_SE_EEES9_SG_JZNS1_25segmented_radix_sort_implINS0_14default_configELb0EPKlPlSM_SN_N2at6native12_GLOBAL__N_18offset_tEEE10hipError_tPvRmT1_PNSt15iterator_traitsISV_E10value_typeET2_T3_PNSW_IS11_E10value_typeET4_jRbjT5_S17_jjP12ihipStream_tbEUljE_EEESS_ST_SU_S11_S15_S17_T6_T7_T9_mT8_S19_bDpT10_ENKUlT_T0_E_clISt17integral_constantIbLb1EES1M_EEDaS1H_S1I_EUlS1H_E_NS1_11comp_targetILNS1_3genE5ELNS1_11target_archE942ELNS1_3gpuE9ELNS1_3repE0EEENS1_30default_config_static_selectorELNS0_4arch9wavefront6targetE0EEEvSV_,@function
_ZN7rocprim17ROCPRIM_400000_NS6detail17trampoline_kernelINS0_13select_configILj256ELj13ELNS0_17block_load_methodE3ELS4_3ELS4_3ELNS0_20block_scan_algorithmE0ELj4294967295EEENS1_25partition_config_selectorILNS1_17partition_subalgoE3EjNS0_10empty_typeEbEEZZNS1_14partition_implILS8_3ELb0ES6_jNS0_17counting_iteratorIjlEEPS9_SE_NS0_5tupleIJPjSE_EEENSF_IJSE_SE_EEES9_SG_JZNS1_25segmented_radix_sort_implINS0_14default_configELb0EPKlPlSM_SN_N2at6native12_GLOBAL__N_18offset_tEEE10hipError_tPvRmT1_PNSt15iterator_traitsISV_E10value_typeET2_T3_PNSW_IS11_E10value_typeET4_jRbjT5_S17_jjP12ihipStream_tbEUljE_EEESS_ST_SU_S11_S15_S17_T6_T7_T9_mT8_S19_bDpT10_ENKUlT_T0_E_clISt17integral_constantIbLb1EES1M_EEDaS1H_S1I_EUlS1H_E_NS1_11comp_targetILNS1_3genE5ELNS1_11target_archE942ELNS1_3gpuE9ELNS1_3repE0EEENS1_30default_config_static_selectorELNS0_4arch9wavefront6targetE0EEEvSV_: ; @_ZN7rocprim17ROCPRIM_400000_NS6detail17trampoline_kernelINS0_13select_configILj256ELj13ELNS0_17block_load_methodE3ELS4_3ELS4_3ELNS0_20block_scan_algorithmE0ELj4294967295EEENS1_25partition_config_selectorILNS1_17partition_subalgoE3EjNS0_10empty_typeEbEEZZNS1_14partition_implILS8_3ELb0ES6_jNS0_17counting_iteratorIjlEEPS9_SE_NS0_5tupleIJPjSE_EEENSF_IJSE_SE_EEES9_SG_JZNS1_25segmented_radix_sort_implINS0_14default_configELb0EPKlPlSM_SN_N2at6native12_GLOBAL__N_18offset_tEEE10hipError_tPvRmT1_PNSt15iterator_traitsISV_E10value_typeET2_T3_PNSW_IS11_E10value_typeET4_jRbjT5_S17_jjP12ihipStream_tbEUljE_EEESS_ST_SU_S11_S15_S17_T6_T7_T9_mT8_S19_bDpT10_ENKUlT_T0_E_clISt17integral_constantIbLb1EES1M_EEDaS1H_S1I_EUlS1H_E_NS1_11comp_targetILNS1_3genE5ELNS1_11target_archE942ELNS1_3gpuE9ELNS1_3repE0EEENS1_30default_config_static_selectorELNS0_4arch9wavefront6targetE0EEEvSV_
; %bb.0:
	.section	.rodata,"a",@progbits
	.p2align	6, 0x0
	.amdhsa_kernel _ZN7rocprim17ROCPRIM_400000_NS6detail17trampoline_kernelINS0_13select_configILj256ELj13ELNS0_17block_load_methodE3ELS4_3ELS4_3ELNS0_20block_scan_algorithmE0ELj4294967295EEENS1_25partition_config_selectorILNS1_17partition_subalgoE3EjNS0_10empty_typeEbEEZZNS1_14partition_implILS8_3ELb0ES6_jNS0_17counting_iteratorIjlEEPS9_SE_NS0_5tupleIJPjSE_EEENSF_IJSE_SE_EEES9_SG_JZNS1_25segmented_radix_sort_implINS0_14default_configELb0EPKlPlSM_SN_N2at6native12_GLOBAL__N_18offset_tEEE10hipError_tPvRmT1_PNSt15iterator_traitsISV_E10value_typeET2_T3_PNSW_IS11_E10value_typeET4_jRbjT5_S17_jjP12ihipStream_tbEUljE_EEESS_ST_SU_S11_S15_S17_T6_T7_T9_mT8_S19_bDpT10_ENKUlT_T0_E_clISt17integral_constantIbLb1EES1M_EEDaS1H_S1I_EUlS1H_E_NS1_11comp_targetILNS1_3genE5ELNS1_11target_archE942ELNS1_3gpuE9ELNS1_3repE0EEENS1_30default_config_static_selectorELNS0_4arch9wavefront6targetE0EEEvSV_
		.amdhsa_group_segment_fixed_size 0
		.amdhsa_private_segment_fixed_size 0
		.amdhsa_kernarg_size 152
		.amdhsa_user_sgpr_count 2
		.amdhsa_user_sgpr_dispatch_ptr 0
		.amdhsa_user_sgpr_queue_ptr 0
		.amdhsa_user_sgpr_kernarg_segment_ptr 1
		.amdhsa_user_sgpr_dispatch_id 0
		.amdhsa_user_sgpr_private_segment_size 0
		.amdhsa_wavefront_size32 1
		.amdhsa_uses_dynamic_stack 0
		.amdhsa_enable_private_segment 0
		.amdhsa_system_sgpr_workgroup_id_x 1
		.amdhsa_system_sgpr_workgroup_id_y 0
		.amdhsa_system_sgpr_workgroup_id_z 0
		.amdhsa_system_sgpr_workgroup_info 0
		.amdhsa_system_vgpr_workitem_id 0
		.amdhsa_next_free_vgpr 1
		.amdhsa_next_free_sgpr 1
		.amdhsa_reserve_vcc 0
		.amdhsa_float_round_mode_32 0
		.amdhsa_float_round_mode_16_64 0
		.amdhsa_float_denorm_mode_32 3
		.amdhsa_float_denorm_mode_16_64 3
		.amdhsa_fp16_overflow 0
		.amdhsa_workgroup_processor_mode 1
		.amdhsa_memory_ordered 1
		.amdhsa_forward_progress 1
		.amdhsa_inst_pref_size 0
		.amdhsa_round_robin_scheduling 0
		.amdhsa_exception_fp_ieee_invalid_op 0
		.amdhsa_exception_fp_denorm_src 0
		.amdhsa_exception_fp_ieee_div_zero 0
		.amdhsa_exception_fp_ieee_overflow 0
		.amdhsa_exception_fp_ieee_underflow 0
		.amdhsa_exception_fp_ieee_inexact 0
		.amdhsa_exception_int_div_zero 0
	.end_amdhsa_kernel
	.section	.text._ZN7rocprim17ROCPRIM_400000_NS6detail17trampoline_kernelINS0_13select_configILj256ELj13ELNS0_17block_load_methodE3ELS4_3ELS4_3ELNS0_20block_scan_algorithmE0ELj4294967295EEENS1_25partition_config_selectorILNS1_17partition_subalgoE3EjNS0_10empty_typeEbEEZZNS1_14partition_implILS8_3ELb0ES6_jNS0_17counting_iteratorIjlEEPS9_SE_NS0_5tupleIJPjSE_EEENSF_IJSE_SE_EEES9_SG_JZNS1_25segmented_radix_sort_implINS0_14default_configELb0EPKlPlSM_SN_N2at6native12_GLOBAL__N_18offset_tEEE10hipError_tPvRmT1_PNSt15iterator_traitsISV_E10value_typeET2_T3_PNSW_IS11_E10value_typeET4_jRbjT5_S17_jjP12ihipStream_tbEUljE_EEESS_ST_SU_S11_S15_S17_T6_T7_T9_mT8_S19_bDpT10_ENKUlT_T0_E_clISt17integral_constantIbLb1EES1M_EEDaS1H_S1I_EUlS1H_E_NS1_11comp_targetILNS1_3genE5ELNS1_11target_archE942ELNS1_3gpuE9ELNS1_3repE0EEENS1_30default_config_static_selectorELNS0_4arch9wavefront6targetE0EEEvSV_,"axG",@progbits,_ZN7rocprim17ROCPRIM_400000_NS6detail17trampoline_kernelINS0_13select_configILj256ELj13ELNS0_17block_load_methodE3ELS4_3ELS4_3ELNS0_20block_scan_algorithmE0ELj4294967295EEENS1_25partition_config_selectorILNS1_17partition_subalgoE3EjNS0_10empty_typeEbEEZZNS1_14partition_implILS8_3ELb0ES6_jNS0_17counting_iteratorIjlEEPS9_SE_NS0_5tupleIJPjSE_EEENSF_IJSE_SE_EEES9_SG_JZNS1_25segmented_radix_sort_implINS0_14default_configELb0EPKlPlSM_SN_N2at6native12_GLOBAL__N_18offset_tEEE10hipError_tPvRmT1_PNSt15iterator_traitsISV_E10value_typeET2_T3_PNSW_IS11_E10value_typeET4_jRbjT5_S17_jjP12ihipStream_tbEUljE_EEESS_ST_SU_S11_S15_S17_T6_T7_T9_mT8_S19_bDpT10_ENKUlT_T0_E_clISt17integral_constantIbLb1EES1M_EEDaS1H_S1I_EUlS1H_E_NS1_11comp_targetILNS1_3genE5ELNS1_11target_archE942ELNS1_3gpuE9ELNS1_3repE0EEENS1_30default_config_static_selectorELNS0_4arch9wavefront6targetE0EEEvSV_,comdat
.Lfunc_end784:
	.size	_ZN7rocprim17ROCPRIM_400000_NS6detail17trampoline_kernelINS0_13select_configILj256ELj13ELNS0_17block_load_methodE3ELS4_3ELS4_3ELNS0_20block_scan_algorithmE0ELj4294967295EEENS1_25partition_config_selectorILNS1_17partition_subalgoE3EjNS0_10empty_typeEbEEZZNS1_14partition_implILS8_3ELb0ES6_jNS0_17counting_iteratorIjlEEPS9_SE_NS0_5tupleIJPjSE_EEENSF_IJSE_SE_EEES9_SG_JZNS1_25segmented_radix_sort_implINS0_14default_configELb0EPKlPlSM_SN_N2at6native12_GLOBAL__N_18offset_tEEE10hipError_tPvRmT1_PNSt15iterator_traitsISV_E10value_typeET2_T3_PNSW_IS11_E10value_typeET4_jRbjT5_S17_jjP12ihipStream_tbEUljE_EEESS_ST_SU_S11_S15_S17_T6_T7_T9_mT8_S19_bDpT10_ENKUlT_T0_E_clISt17integral_constantIbLb1EES1M_EEDaS1H_S1I_EUlS1H_E_NS1_11comp_targetILNS1_3genE5ELNS1_11target_archE942ELNS1_3gpuE9ELNS1_3repE0EEENS1_30default_config_static_selectorELNS0_4arch9wavefront6targetE0EEEvSV_, .Lfunc_end784-_ZN7rocprim17ROCPRIM_400000_NS6detail17trampoline_kernelINS0_13select_configILj256ELj13ELNS0_17block_load_methodE3ELS4_3ELS4_3ELNS0_20block_scan_algorithmE0ELj4294967295EEENS1_25partition_config_selectorILNS1_17partition_subalgoE3EjNS0_10empty_typeEbEEZZNS1_14partition_implILS8_3ELb0ES6_jNS0_17counting_iteratorIjlEEPS9_SE_NS0_5tupleIJPjSE_EEENSF_IJSE_SE_EEES9_SG_JZNS1_25segmented_radix_sort_implINS0_14default_configELb0EPKlPlSM_SN_N2at6native12_GLOBAL__N_18offset_tEEE10hipError_tPvRmT1_PNSt15iterator_traitsISV_E10value_typeET2_T3_PNSW_IS11_E10value_typeET4_jRbjT5_S17_jjP12ihipStream_tbEUljE_EEESS_ST_SU_S11_S15_S17_T6_T7_T9_mT8_S19_bDpT10_ENKUlT_T0_E_clISt17integral_constantIbLb1EES1M_EEDaS1H_S1I_EUlS1H_E_NS1_11comp_targetILNS1_3genE5ELNS1_11target_archE942ELNS1_3gpuE9ELNS1_3repE0EEENS1_30default_config_static_selectorELNS0_4arch9wavefront6targetE0EEEvSV_
                                        ; -- End function
	.set _ZN7rocprim17ROCPRIM_400000_NS6detail17trampoline_kernelINS0_13select_configILj256ELj13ELNS0_17block_load_methodE3ELS4_3ELS4_3ELNS0_20block_scan_algorithmE0ELj4294967295EEENS1_25partition_config_selectorILNS1_17partition_subalgoE3EjNS0_10empty_typeEbEEZZNS1_14partition_implILS8_3ELb0ES6_jNS0_17counting_iteratorIjlEEPS9_SE_NS0_5tupleIJPjSE_EEENSF_IJSE_SE_EEES9_SG_JZNS1_25segmented_radix_sort_implINS0_14default_configELb0EPKlPlSM_SN_N2at6native12_GLOBAL__N_18offset_tEEE10hipError_tPvRmT1_PNSt15iterator_traitsISV_E10value_typeET2_T3_PNSW_IS11_E10value_typeET4_jRbjT5_S17_jjP12ihipStream_tbEUljE_EEESS_ST_SU_S11_S15_S17_T6_T7_T9_mT8_S19_bDpT10_ENKUlT_T0_E_clISt17integral_constantIbLb1EES1M_EEDaS1H_S1I_EUlS1H_E_NS1_11comp_targetILNS1_3genE5ELNS1_11target_archE942ELNS1_3gpuE9ELNS1_3repE0EEENS1_30default_config_static_selectorELNS0_4arch9wavefront6targetE0EEEvSV_.num_vgpr, 0
	.set _ZN7rocprim17ROCPRIM_400000_NS6detail17trampoline_kernelINS0_13select_configILj256ELj13ELNS0_17block_load_methodE3ELS4_3ELS4_3ELNS0_20block_scan_algorithmE0ELj4294967295EEENS1_25partition_config_selectorILNS1_17partition_subalgoE3EjNS0_10empty_typeEbEEZZNS1_14partition_implILS8_3ELb0ES6_jNS0_17counting_iteratorIjlEEPS9_SE_NS0_5tupleIJPjSE_EEENSF_IJSE_SE_EEES9_SG_JZNS1_25segmented_radix_sort_implINS0_14default_configELb0EPKlPlSM_SN_N2at6native12_GLOBAL__N_18offset_tEEE10hipError_tPvRmT1_PNSt15iterator_traitsISV_E10value_typeET2_T3_PNSW_IS11_E10value_typeET4_jRbjT5_S17_jjP12ihipStream_tbEUljE_EEESS_ST_SU_S11_S15_S17_T6_T7_T9_mT8_S19_bDpT10_ENKUlT_T0_E_clISt17integral_constantIbLb1EES1M_EEDaS1H_S1I_EUlS1H_E_NS1_11comp_targetILNS1_3genE5ELNS1_11target_archE942ELNS1_3gpuE9ELNS1_3repE0EEENS1_30default_config_static_selectorELNS0_4arch9wavefront6targetE0EEEvSV_.num_agpr, 0
	.set _ZN7rocprim17ROCPRIM_400000_NS6detail17trampoline_kernelINS0_13select_configILj256ELj13ELNS0_17block_load_methodE3ELS4_3ELS4_3ELNS0_20block_scan_algorithmE0ELj4294967295EEENS1_25partition_config_selectorILNS1_17partition_subalgoE3EjNS0_10empty_typeEbEEZZNS1_14partition_implILS8_3ELb0ES6_jNS0_17counting_iteratorIjlEEPS9_SE_NS0_5tupleIJPjSE_EEENSF_IJSE_SE_EEES9_SG_JZNS1_25segmented_radix_sort_implINS0_14default_configELb0EPKlPlSM_SN_N2at6native12_GLOBAL__N_18offset_tEEE10hipError_tPvRmT1_PNSt15iterator_traitsISV_E10value_typeET2_T3_PNSW_IS11_E10value_typeET4_jRbjT5_S17_jjP12ihipStream_tbEUljE_EEESS_ST_SU_S11_S15_S17_T6_T7_T9_mT8_S19_bDpT10_ENKUlT_T0_E_clISt17integral_constantIbLb1EES1M_EEDaS1H_S1I_EUlS1H_E_NS1_11comp_targetILNS1_3genE5ELNS1_11target_archE942ELNS1_3gpuE9ELNS1_3repE0EEENS1_30default_config_static_selectorELNS0_4arch9wavefront6targetE0EEEvSV_.numbered_sgpr, 0
	.set _ZN7rocprim17ROCPRIM_400000_NS6detail17trampoline_kernelINS0_13select_configILj256ELj13ELNS0_17block_load_methodE3ELS4_3ELS4_3ELNS0_20block_scan_algorithmE0ELj4294967295EEENS1_25partition_config_selectorILNS1_17partition_subalgoE3EjNS0_10empty_typeEbEEZZNS1_14partition_implILS8_3ELb0ES6_jNS0_17counting_iteratorIjlEEPS9_SE_NS0_5tupleIJPjSE_EEENSF_IJSE_SE_EEES9_SG_JZNS1_25segmented_radix_sort_implINS0_14default_configELb0EPKlPlSM_SN_N2at6native12_GLOBAL__N_18offset_tEEE10hipError_tPvRmT1_PNSt15iterator_traitsISV_E10value_typeET2_T3_PNSW_IS11_E10value_typeET4_jRbjT5_S17_jjP12ihipStream_tbEUljE_EEESS_ST_SU_S11_S15_S17_T6_T7_T9_mT8_S19_bDpT10_ENKUlT_T0_E_clISt17integral_constantIbLb1EES1M_EEDaS1H_S1I_EUlS1H_E_NS1_11comp_targetILNS1_3genE5ELNS1_11target_archE942ELNS1_3gpuE9ELNS1_3repE0EEENS1_30default_config_static_selectorELNS0_4arch9wavefront6targetE0EEEvSV_.num_named_barrier, 0
	.set _ZN7rocprim17ROCPRIM_400000_NS6detail17trampoline_kernelINS0_13select_configILj256ELj13ELNS0_17block_load_methodE3ELS4_3ELS4_3ELNS0_20block_scan_algorithmE0ELj4294967295EEENS1_25partition_config_selectorILNS1_17partition_subalgoE3EjNS0_10empty_typeEbEEZZNS1_14partition_implILS8_3ELb0ES6_jNS0_17counting_iteratorIjlEEPS9_SE_NS0_5tupleIJPjSE_EEENSF_IJSE_SE_EEES9_SG_JZNS1_25segmented_radix_sort_implINS0_14default_configELb0EPKlPlSM_SN_N2at6native12_GLOBAL__N_18offset_tEEE10hipError_tPvRmT1_PNSt15iterator_traitsISV_E10value_typeET2_T3_PNSW_IS11_E10value_typeET4_jRbjT5_S17_jjP12ihipStream_tbEUljE_EEESS_ST_SU_S11_S15_S17_T6_T7_T9_mT8_S19_bDpT10_ENKUlT_T0_E_clISt17integral_constantIbLb1EES1M_EEDaS1H_S1I_EUlS1H_E_NS1_11comp_targetILNS1_3genE5ELNS1_11target_archE942ELNS1_3gpuE9ELNS1_3repE0EEENS1_30default_config_static_selectorELNS0_4arch9wavefront6targetE0EEEvSV_.private_seg_size, 0
	.set _ZN7rocprim17ROCPRIM_400000_NS6detail17trampoline_kernelINS0_13select_configILj256ELj13ELNS0_17block_load_methodE3ELS4_3ELS4_3ELNS0_20block_scan_algorithmE0ELj4294967295EEENS1_25partition_config_selectorILNS1_17partition_subalgoE3EjNS0_10empty_typeEbEEZZNS1_14partition_implILS8_3ELb0ES6_jNS0_17counting_iteratorIjlEEPS9_SE_NS0_5tupleIJPjSE_EEENSF_IJSE_SE_EEES9_SG_JZNS1_25segmented_radix_sort_implINS0_14default_configELb0EPKlPlSM_SN_N2at6native12_GLOBAL__N_18offset_tEEE10hipError_tPvRmT1_PNSt15iterator_traitsISV_E10value_typeET2_T3_PNSW_IS11_E10value_typeET4_jRbjT5_S17_jjP12ihipStream_tbEUljE_EEESS_ST_SU_S11_S15_S17_T6_T7_T9_mT8_S19_bDpT10_ENKUlT_T0_E_clISt17integral_constantIbLb1EES1M_EEDaS1H_S1I_EUlS1H_E_NS1_11comp_targetILNS1_3genE5ELNS1_11target_archE942ELNS1_3gpuE9ELNS1_3repE0EEENS1_30default_config_static_selectorELNS0_4arch9wavefront6targetE0EEEvSV_.uses_vcc, 0
	.set _ZN7rocprim17ROCPRIM_400000_NS6detail17trampoline_kernelINS0_13select_configILj256ELj13ELNS0_17block_load_methodE3ELS4_3ELS4_3ELNS0_20block_scan_algorithmE0ELj4294967295EEENS1_25partition_config_selectorILNS1_17partition_subalgoE3EjNS0_10empty_typeEbEEZZNS1_14partition_implILS8_3ELb0ES6_jNS0_17counting_iteratorIjlEEPS9_SE_NS0_5tupleIJPjSE_EEENSF_IJSE_SE_EEES9_SG_JZNS1_25segmented_radix_sort_implINS0_14default_configELb0EPKlPlSM_SN_N2at6native12_GLOBAL__N_18offset_tEEE10hipError_tPvRmT1_PNSt15iterator_traitsISV_E10value_typeET2_T3_PNSW_IS11_E10value_typeET4_jRbjT5_S17_jjP12ihipStream_tbEUljE_EEESS_ST_SU_S11_S15_S17_T6_T7_T9_mT8_S19_bDpT10_ENKUlT_T0_E_clISt17integral_constantIbLb1EES1M_EEDaS1H_S1I_EUlS1H_E_NS1_11comp_targetILNS1_3genE5ELNS1_11target_archE942ELNS1_3gpuE9ELNS1_3repE0EEENS1_30default_config_static_selectorELNS0_4arch9wavefront6targetE0EEEvSV_.uses_flat_scratch, 0
	.set _ZN7rocprim17ROCPRIM_400000_NS6detail17trampoline_kernelINS0_13select_configILj256ELj13ELNS0_17block_load_methodE3ELS4_3ELS4_3ELNS0_20block_scan_algorithmE0ELj4294967295EEENS1_25partition_config_selectorILNS1_17partition_subalgoE3EjNS0_10empty_typeEbEEZZNS1_14partition_implILS8_3ELb0ES6_jNS0_17counting_iteratorIjlEEPS9_SE_NS0_5tupleIJPjSE_EEENSF_IJSE_SE_EEES9_SG_JZNS1_25segmented_radix_sort_implINS0_14default_configELb0EPKlPlSM_SN_N2at6native12_GLOBAL__N_18offset_tEEE10hipError_tPvRmT1_PNSt15iterator_traitsISV_E10value_typeET2_T3_PNSW_IS11_E10value_typeET4_jRbjT5_S17_jjP12ihipStream_tbEUljE_EEESS_ST_SU_S11_S15_S17_T6_T7_T9_mT8_S19_bDpT10_ENKUlT_T0_E_clISt17integral_constantIbLb1EES1M_EEDaS1H_S1I_EUlS1H_E_NS1_11comp_targetILNS1_3genE5ELNS1_11target_archE942ELNS1_3gpuE9ELNS1_3repE0EEENS1_30default_config_static_selectorELNS0_4arch9wavefront6targetE0EEEvSV_.has_dyn_sized_stack, 0
	.set _ZN7rocprim17ROCPRIM_400000_NS6detail17trampoline_kernelINS0_13select_configILj256ELj13ELNS0_17block_load_methodE3ELS4_3ELS4_3ELNS0_20block_scan_algorithmE0ELj4294967295EEENS1_25partition_config_selectorILNS1_17partition_subalgoE3EjNS0_10empty_typeEbEEZZNS1_14partition_implILS8_3ELb0ES6_jNS0_17counting_iteratorIjlEEPS9_SE_NS0_5tupleIJPjSE_EEENSF_IJSE_SE_EEES9_SG_JZNS1_25segmented_radix_sort_implINS0_14default_configELb0EPKlPlSM_SN_N2at6native12_GLOBAL__N_18offset_tEEE10hipError_tPvRmT1_PNSt15iterator_traitsISV_E10value_typeET2_T3_PNSW_IS11_E10value_typeET4_jRbjT5_S17_jjP12ihipStream_tbEUljE_EEESS_ST_SU_S11_S15_S17_T6_T7_T9_mT8_S19_bDpT10_ENKUlT_T0_E_clISt17integral_constantIbLb1EES1M_EEDaS1H_S1I_EUlS1H_E_NS1_11comp_targetILNS1_3genE5ELNS1_11target_archE942ELNS1_3gpuE9ELNS1_3repE0EEENS1_30default_config_static_selectorELNS0_4arch9wavefront6targetE0EEEvSV_.has_recursion, 0
	.set _ZN7rocprim17ROCPRIM_400000_NS6detail17trampoline_kernelINS0_13select_configILj256ELj13ELNS0_17block_load_methodE3ELS4_3ELS4_3ELNS0_20block_scan_algorithmE0ELj4294967295EEENS1_25partition_config_selectorILNS1_17partition_subalgoE3EjNS0_10empty_typeEbEEZZNS1_14partition_implILS8_3ELb0ES6_jNS0_17counting_iteratorIjlEEPS9_SE_NS0_5tupleIJPjSE_EEENSF_IJSE_SE_EEES9_SG_JZNS1_25segmented_radix_sort_implINS0_14default_configELb0EPKlPlSM_SN_N2at6native12_GLOBAL__N_18offset_tEEE10hipError_tPvRmT1_PNSt15iterator_traitsISV_E10value_typeET2_T3_PNSW_IS11_E10value_typeET4_jRbjT5_S17_jjP12ihipStream_tbEUljE_EEESS_ST_SU_S11_S15_S17_T6_T7_T9_mT8_S19_bDpT10_ENKUlT_T0_E_clISt17integral_constantIbLb1EES1M_EEDaS1H_S1I_EUlS1H_E_NS1_11comp_targetILNS1_3genE5ELNS1_11target_archE942ELNS1_3gpuE9ELNS1_3repE0EEENS1_30default_config_static_selectorELNS0_4arch9wavefront6targetE0EEEvSV_.has_indirect_call, 0
	.section	.AMDGPU.csdata,"",@progbits
; Kernel info:
; codeLenInByte = 0
; TotalNumSgprs: 0
; NumVgprs: 0
; ScratchSize: 0
; MemoryBound: 0
; FloatMode: 240
; IeeeMode: 1
; LDSByteSize: 0 bytes/workgroup (compile time only)
; SGPRBlocks: 0
; VGPRBlocks: 0
; NumSGPRsForWavesPerEU: 1
; NumVGPRsForWavesPerEU: 1
; Occupancy: 16
; WaveLimiterHint : 0
; COMPUTE_PGM_RSRC2:SCRATCH_EN: 0
; COMPUTE_PGM_RSRC2:USER_SGPR: 2
; COMPUTE_PGM_RSRC2:TRAP_HANDLER: 0
; COMPUTE_PGM_RSRC2:TGID_X_EN: 1
; COMPUTE_PGM_RSRC2:TGID_Y_EN: 0
; COMPUTE_PGM_RSRC2:TGID_Z_EN: 0
; COMPUTE_PGM_RSRC2:TIDIG_COMP_CNT: 0
	.section	.text._ZN7rocprim17ROCPRIM_400000_NS6detail17trampoline_kernelINS0_13select_configILj256ELj13ELNS0_17block_load_methodE3ELS4_3ELS4_3ELNS0_20block_scan_algorithmE0ELj4294967295EEENS1_25partition_config_selectorILNS1_17partition_subalgoE3EjNS0_10empty_typeEbEEZZNS1_14partition_implILS8_3ELb0ES6_jNS0_17counting_iteratorIjlEEPS9_SE_NS0_5tupleIJPjSE_EEENSF_IJSE_SE_EEES9_SG_JZNS1_25segmented_radix_sort_implINS0_14default_configELb0EPKlPlSM_SN_N2at6native12_GLOBAL__N_18offset_tEEE10hipError_tPvRmT1_PNSt15iterator_traitsISV_E10value_typeET2_T3_PNSW_IS11_E10value_typeET4_jRbjT5_S17_jjP12ihipStream_tbEUljE_EEESS_ST_SU_S11_S15_S17_T6_T7_T9_mT8_S19_bDpT10_ENKUlT_T0_E_clISt17integral_constantIbLb1EES1M_EEDaS1H_S1I_EUlS1H_E_NS1_11comp_targetILNS1_3genE4ELNS1_11target_archE910ELNS1_3gpuE8ELNS1_3repE0EEENS1_30default_config_static_selectorELNS0_4arch9wavefront6targetE0EEEvSV_,"axG",@progbits,_ZN7rocprim17ROCPRIM_400000_NS6detail17trampoline_kernelINS0_13select_configILj256ELj13ELNS0_17block_load_methodE3ELS4_3ELS4_3ELNS0_20block_scan_algorithmE0ELj4294967295EEENS1_25partition_config_selectorILNS1_17partition_subalgoE3EjNS0_10empty_typeEbEEZZNS1_14partition_implILS8_3ELb0ES6_jNS0_17counting_iteratorIjlEEPS9_SE_NS0_5tupleIJPjSE_EEENSF_IJSE_SE_EEES9_SG_JZNS1_25segmented_radix_sort_implINS0_14default_configELb0EPKlPlSM_SN_N2at6native12_GLOBAL__N_18offset_tEEE10hipError_tPvRmT1_PNSt15iterator_traitsISV_E10value_typeET2_T3_PNSW_IS11_E10value_typeET4_jRbjT5_S17_jjP12ihipStream_tbEUljE_EEESS_ST_SU_S11_S15_S17_T6_T7_T9_mT8_S19_bDpT10_ENKUlT_T0_E_clISt17integral_constantIbLb1EES1M_EEDaS1H_S1I_EUlS1H_E_NS1_11comp_targetILNS1_3genE4ELNS1_11target_archE910ELNS1_3gpuE8ELNS1_3repE0EEENS1_30default_config_static_selectorELNS0_4arch9wavefront6targetE0EEEvSV_,comdat
	.globl	_ZN7rocprim17ROCPRIM_400000_NS6detail17trampoline_kernelINS0_13select_configILj256ELj13ELNS0_17block_load_methodE3ELS4_3ELS4_3ELNS0_20block_scan_algorithmE0ELj4294967295EEENS1_25partition_config_selectorILNS1_17partition_subalgoE3EjNS0_10empty_typeEbEEZZNS1_14partition_implILS8_3ELb0ES6_jNS0_17counting_iteratorIjlEEPS9_SE_NS0_5tupleIJPjSE_EEENSF_IJSE_SE_EEES9_SG_JZNS1_25segmented_radix_sort_implINS0_14default_configELb0EPKlPlSM_SN_N2at6native12_GLOBAL__N_18offset_tEEE10hipError_tPvRmT1_PNSt15iterator_traitsISV_E10value_typeET2_T3_PNSW_IS11_E10value_typeET4_jRbjT5_S17_jjP12ihipStream_tbEUljE_EEESS_ST_SU_S11_S15_S17_T6_T7_T9_mT8_S19_bDpT10_ENKUlT_T0_E_clISt17integral_constantIbLb1EES1M_EEDaS1H_S1I_EUlS1H_E_NS1_11comp_targetILNS1_3genE4ELNS1_11target_archE910ELNS1_3gpuE8ELNS1_3repE0EEENS1_30default_config_static_selectorELNS0_4arch9wavefront6targetE0EEEvSV_ ; -- Begin function _ZN7rocprim17ROCPRIM_400000_NS6detail17trampoline_kernelINS0_13select_configILj256ELj13ELNS0_17block_load_methodE3ELS4_3ELS4_3ELNS0_20block_scan_algorithmE0ELj4294967295EEENS1_25partition_config_selectorILNS1_17partition_subalgoE3EjNS0_10empty_typeEbEEZZNS1_14partition_implILS8_3ELb0ES6_jNS0_17counting_iteratorIjlEEPS9_SE_NS0_5tupleIJPjSE_EEENSF_IJSE_SE_EEES9_SG_JZNS1_25segmented_radix_sort_implINS0_14default_configELb0EPKlPlSM_SN_N2at6native12_GLOBAL__N_18offset_tEEE10hipError_tPvRmT1_PNSt15iterator_traitsISV_E10value_typeET2_T3_PNSW_IS11_E10value_typeET4_jRbjT5_S17_jjP12ihipStream_tbEUljE_EEESS_ST_SU_S11_S15_S17_T6_T7_T9_mT8_S19_bDpT10_ENKUlT_T0_E_clISt17integral_constantIbLb1EES1M_EEDaS1H_S1I_EUlS1H_E_NS1_11comp_targetILNS1_3genE4ELNS1_11target_archE910ELNS1_3gpuE8ELNS1_3repE0EEENS1_30default_config_static_selectorELNS0_4arch9wavefront6targetE0EEEvSV_
	.p2align	8
	.type	_ZN7rocprim17ROCPRIM_400000_NS6detail17trampoline_kernelINS0_13select_configILj256ELj13ELNS0_17block_load_methodE3ELS4_3ELS4_3ELNS0_20block_scan_algorithmE0ELj4294967295EEENS1_25partition_config_selectorILNS1_17partition_subalgoE3EjNS0_10empty_typeEbEEZZNS1_14partition_implILS8_3ELb0ES6_jNS0_17counting_iteratorIjlEEPS9_SE_NS0_5tupleIJPjSE_EEENSF_IJSE_SE_EEES9_SG_JZNS1_25segmented_radix_sort_implINS0_14default_configELb0EPKlPlSM_SN_N2at6native12_GLOBAL__N_18offset_tEEE10hipError_tPvRmT1_PNSt15iterator_traitsISV_E10value_typeET2_T3_PNSW_IS11_E10value_typeET4_jRbjT5_S17_jjP12ihipStream_tbEUljE_EEESS_ST_SU_S11_S15_S17_T6_T7_T9_mT8_S19_bDpT10_ENKUlT_T0_E_clISt17integral_constantIbLb1EES1M_EEDaS1H_S1I_EUlS1H_E_NS1_11comp_targetILNS1_3genE4ELNS1_11target_archE910ELNS1_3gpuE8ELNS1_3repE0EEENS1_30default_config_static_selectorELNS0_4arch9wavefront6targetE0EEEvSV_,@function
_ZN7rocprim17ROCPRIM_400000_NS6detail17trampoline_kernelINS0_13select_configILj256ELj13ELNS0_17block_load_methodE3ELS4_3ELS4_3ELNS0_20block_scan_algorithmE0ELj4294967295EEENS1_25partition_config_selectorILNS1_17partition_subalgoE3EjNS0_10empty_typeEbEEZZNS1_14partition_implILS8_3ELb0ES6_jNS0_17counting_iteratorIjlEEPS9_SE_NS0_5tupleIJPjSE_EEENSF_IJSE_SE_EEES9_SG_JZNS1_25segmented_radix_sort_implINS0_14default_configELb0EPKlPlSM_SN_N2at6native12_GLOBAL__N_18offset_tEEE10hipError_tPvRmT1_PNSt15iterator_traitsISV_E10value_typeET2_T3_PNSW_IS11_E10value_typeET4_jRbjT5_S17_jjP12ihipStream_tbEUljE_EEESS_ST_SU_S11_S15_S17_T6_T7_T9_mT8_S19_bDpT10_ENKUlT_T0_E_clISt17integral_constantIbLb1EES1M_EEDaS1H_S1I_EUlS1H_E_NS1_11comp_targetILNS1_3genE4ELNS1_11target_archE910ELNS1_3gpuE8ELNS1_3repE0EEENS1_30default_config_static_selectorELNS0_4arch9wavefront6targetE0EEEvSV_: ; @_ZN7rocprim17ROCPRIM_400000_NS6detail17trampoline_kernelINS0_13select_configILj256ELj13ELNS0_17block_load_methodE3ELS4_3ELS4_3ELNS0_20block_scan_algorithmE0ELj4294967295EEENS1_25partition_config_selectorILNS1_17partition_subalgoE3EjNS0_10empty_typeEbEEZZNS1_14partition_implILS8_3ELb0ES6_jNS0_17counting_iteratorIjlEEPS9_SE_NS0_5tupleIJPjSE_EEENSF_IJSE_SE_EEES9_SG_JZNS1_25segmented_radix_sort_implINS0_14default_configELb0EPKlPlSM_SN_N2at6native12_GLOBAL__N_18offset_tEEE10hipError_tPvRmT1_PNSt15iterator_traitsISV_E10value_typeET2_T3_PNSW_IS11_E10value_typeET4_jRbjT5_S17_jjP12ihipStream_tbEUljE_EEESS_ST_SU_S11_S15_S17_T6_T7_T9_mT8_S19_bDpT10_ENKUlT_T0_E_clISt17integral_constantIbLb1EES1M_EEDaS1H_S1I_EUlS1H_E_NS1_11comp_targetILNS1_3genE4ELNS1_11target_archE910ELNS1_3gpuE8ELNS1_3repE0EEENS1_30default_config_static_selectorELNS0_4arch9wavefront6targetE0EEEvSV_
; %bb.0:
	.section	.rodata,"a",@progbits
	.p2align	6, 0x0
	.amdhsa_kernel _ZN7rocprim17ROCPRIM_400000_NS6detail17trampoline_kernelINS0_13select_configILj256ELj13ELNS0_17block_load_methodE3ELS4_3ELS4_3ELNS0_20block_scan_algorithmE0ELj4294967295EEENS1_25partition_config_selectorILNS1_17partition_subalgoE3EjNS0_10empty_typeEbEEZZNS1_14partition_implILS8_3ELb0ES6_jNS0_17counting_iteratorIjlEEPS9_SE_NS0_5tupleIJPjSE_EEENSF_IJSE_SE_EEES9_SG_JZNS1_25segmented_radix_sort_implINS0_14default_configELb0EPKlPlSM_SN_N2at6native12_GLOBAL__N_18offset_tEEE10hipError_tPvRmT1_PNSt15iterator_traitsISV_E10value_typeET2_T3_PNSW_IS11_E10value_typeET4_jRbjT5_S17_jjP12ihipStream_tbEUljE_EEESS_ST_SU_S11_S15_S17_T6_T7_T9_mT8_S19_bDpT10_ENKUlT_T0_E_clISt17integral_constantIbLb1EES1M_EEDaS1H_S1I_EUlS1H_E_NS1_11comp_targetILNS1_3genE4ELNS1_11target_archE910ELNS1_3gpuE8ELNS1_3repE0EEENS1_30default_config_static_selectorELNS0_4arch9wavefront6targetE0EEEvSV_
		.amdhsa_group_segment_fixed_size 0
		.amdhsa_private_segment_fixed_size 0
		.amdhsa_kernarg_size 152
		.amdhsa_user_sgpr_count 2
		.amdhsa_user_sgpr_dispatch_ptr 0
		.amdhsa_user_sgpr_queue_ptr 0
		.amdhsa_user_sgpr_kernarg_segment_ptr 1
		.amdhsa_user_sgpr_dispatch_id 0
		.amdhsa_user_sgpr_private_segment_size 0
		.amdhsa_wavefront_size32 1
		.amdhsa_uses_dynamic_stack 0
		.amdhsa_enable_private_segment 0
		.amdhsa_system_sgpr_workgroup_id_x 1
		.amdhsa_system_sgpr_workgroup_id_y 0
		.amdhsa_system_sgpr_workgroup_id_z 0
		.amdhsa_system_sgpr_workgroup_info 0
		.amdhsa_system_vgpr_workitem_id 0
		.amdhsa_next_free_vgpr 1
		.amdhsa_next_free_sgpr 1
		.amdhsa_reserve_vcc 0
		.amdhsa_float_round_mode_32 0
		.amdhsa_float_round_mode_16_64 0
		.amdhsa_float_denorm_mode_32 3
		.amdhsa_float_denorm_mode_16_64 3
		.amdhsa_fp16_overflow 0
		.amdhsa_workgroup_processor_mode 1
		.amdhsa_memory_ordered 1
		.amdhsa_forward_progress 1
		.amdhsa_inst_pref_size 0
		.amdhsa_round_robin_scheduling 0
		.amdhsa_exception_fp_ieee_invalid_op 0
		.amdhsa_exception_fp_denorm_src 0
		.amdhsa_exception_fp_ieee_div_zero 0
		.amdhsa_exception_fp_ieee_overflow 0
		.amdhsa_exception_fp_ieee_underflow 0
		.amdhsa_exception_fp_ieee_inexact 0
		.amdhsa_exception_int_div_zero 0
	.end_amdhsa_kernel
	.section	.text._ZN7rocprim17ROCPRIM_400000_NS6detail17trampoline_kernelINS0_13select_configILj256ELj13ELNS0_17block_load_methodE3ELS4_3ELS4_3ELNS0_20block_scan_algorithmE0ELj4294967295EEENS1_25partition_config_selectorILNS1_17partition_subalgoE3EjNS0_10empty_typeEbEEZZNS1_14partition_implILS8_3ELb0ES6_jNS0_17counting_iteratorIjlEEPS9_SE_NS0_5tupleIJPjSE_EEENSF_IJSE_SE_EEES9_SG_JZNS1_25segmented_radix_sort_implINS0_14default_configELb0EPKlPlSM_SN_N2at6native12_GLOBAL__N_18offset_tEEE10hipError_tPvRmT1_PNSt15iterator_traitsISV_E10value_typeET2_T3_PNSW_IS11_E10value_typeET4_jRbjT5_S17_jjP12ihipStream_tbEUljE_EEESS_ST_SU_S11_S15_S17_T6_T7_T9_mT8_S19_bDpT10_ENKUlT_T0_E_clISt17integral_constantIbLb1EES1M_EEDaS1H_S1I_EUlS1H_E_NS1_11comp_targetILNS1_3genE4ELNS1_11target_archE910ELNS1_3gpuE8ELNS1_3repE0EEENS1_30default_config_static_selectorELNS0_4arch9wavefront6targetE0EEEvSV_,"axG",@progbits,_ZN7rocprim17ROCPRIM_400000_NS6detail17trampoline_kernelINS0_13select_configILj256ELj13ELNS0_17block_load_methodE3ELS4_3ELS4_3ELNS0_20block_scan_algorithmE0ELj4294967295EEENS1_25partition_config_selectorILNS1_17partition_subalgoE3EjNS0_10empty_typeEbEEZZNS1_14partition_implILS8_3ELb0ES6_jNS0_17counting_iteratorIjlEEPS9_SE_NS0_5tupleIJPjSE_EEENSF_IJSE_SE_EEES9_SG_JZNS1_25segmented_radix_sort_implINS0_14default_configELb0EPKlPlSM_SN_N2at6native12_GLOBAL__N_18offset_tEEE10hipError_tPvRmT1_PNSt15iterator_traitsISV_E10value_typeET2_T3_PNSW_IS11_E10value_typeET4_jRbjT5_S17_jjP12ihipStream_tbEUljE_EEESS_ST_SU_S11_S15_S17_T6_T7_T9_mT8_S19_bDpT10_ENKUlT_T0_E_clISt17integral_constantIbLb1EES1M_EEDaS1H_S1I_EUlS1H_E_NS1_11comp_targetILNS1_3genE4ELNS1_11target_archE910ELNS1_3gpuE8ELNS1_3repE0EEENS1_30default_config_static_selectorELNS0_4arch9wavefront6targetE0EEEvSV_,comdat
.Lfunc_end785:
	.size	_ZN7rocprim17ROCPRIM_400000_NS6detail17trampoline_kernelINS0_13select_configILj256ELj13ELNS0_17block_load_methodE3ELS4_3ELS4_3ELNS0_20block_scan_algorithmE0ELj4294967295EEENS1_25partition_config_selectorILNS1_17partition_subalgoE3EjNS0_10empty_typeEbEEZZNS1_14partition_implILS8_3ELb0ES6_jNS0_17counting_iteratorIjlEEPS9_SE_NS0_5tupleIJPjSE_EEENSF_IJSE_SE_EEES9_SG_JZNS1_25segmented_radix_sort_implINS0_14default_configELb0EPKlPlSM_SN_N2at6native12_GLOBAL__N_18offset_tEEE10hipError_tPvRmT1_PNSt15iterator_traitsISV_E10value_typeET2_T3_PNSW_IS11_E10value_typeET4_jRbjT5_S17_jjP12ihipStream_tbEUljE_EEESS_ST_SU_S11_S15_S17_T6_T7_T9_mT8_S19_bDpT10_ENKUlT_T0_E_clISt17integral_constantIbLb1EES1M_EEDaS1H_S1I_EUlS1H_E_NS1_11comp_targetILNS1_3genE4ELNS1_11target_archE910ELNS1_3gpuE8ELNS1_3repE0EEENS1_30default_config_static_selectorELNS0_4arch9wavefront6targetE0EEEvSV_, .Lfunc_end785-_ZN7rocprim17ROCPRIM_400000_NS6detail17trampoline_kernelINS0_13select_configILj256ELj13ELNS0_17block_load_methodE3ELS4_3ELS4_3ELNS0_20block_scan_algorithmE0ELj4294967295EEENS1_25partition_config_selectorILNS1_17partition_subalgoE3EjNS0_10empty_typeEbEEZZNS1_14partition_implILS8_3ELb0ES6_jNS0_17counting_iteratorIjlEEPS9_SE_NS0_5tupleIJPjSE_EEENSF_IJSE_SE_EEES9_SG_JZNS1_25segmented_radix_sort_implINS0_14default_configELb0EPKlPlSM_SN_N2at6native12_GLOBAL__N_18offset_tEEE10hipError_tPvRmT1_PNSt15iterator_traitsISV_E10value_typeET2_T3_PNSW_IS11_E10value_typeET4_jRbjT5_S17_jjP12ihipStream_tbEUljE_EEESS_ST_SU_S11_S15_S17_T6_T7_T9_mT8_S19_bDpT10_ENKUlT_T0_E_clISt17integral_constantIbLb1EES1M_EEDaS1H_S1I_EUlS1H_E_NS1_11comp_targetILNS1_3genE4ELNS1_11target_archE910ELNS1_3gpuE8ELNS1_3repE0EEENS1_30default_config_static_selectorELNS0_4arch9wavefront6targetE0EEEvSV_
                                        ; -- End function
	.set _ZN7rocprim17ROCPRIM_400000_NS6detail17trampoline_kernelINS0_13select_configILj256ELj13ELNS0_17block_load_methodE3ELS4_3ELS4_3ELNS0_20block_scan_algorithmE0ELj4294967295EEENS1_25partition_config_selectorILNS1_17partition_subalgoE3EjNS0_10empty_typeEbEEZZNS1_14partition_implILS8_3ELb0ES6_jNS0_17counting_iteratorIjlEEPS9_SE_NS0_5tupleIJPjSE_EEENSF_IJSE_SE_EEES9_SG_JZNS1_25segmented_radix_sort_implINS0_14default_configELb0EPKlPlSM_SN_N2at6native12_GLOBAL__N_18offset_tEEE10hipError_tPvRmT1_PNSt15iterator_traitsISV_E10value_typeET2_T3_PNSW_IS11_E10value_typeET4_jRbjT5_S17_jjP12ihipStream_tbEUljE_EEESS_ST_SU_S11_S15_S17_T6_T7_T9_mT8_S19_bDpT10_ENKUlT_T0_E_clISt17integral_constantIbLb1EES1M_EEDaS1H_S1I_EUlS1H_E_NS1_11comp_targetILNS1_3genE4ELNS1_11target_archE910ELNS1_3gpuE8ELNS1_3repE0EEENS1_30default_config_static_selectorELNS0_4arch9wavefront6targetE0EEEvSV_.num_vgpr, 0
	.set _ZN7rocprim17ROCPRIM_400000_NS6detail17trampoline_kernelINS0_13select_configILj256ELj13ELNS0_17block_load_methodE3ELS4_3ELS4_3ELNS0_20block_scan_algorithmE0ELj4294967295EEENS1_25partition_config_selectorILNS1_17partition_subalgoE3EjNS0_10empty_typeEbEEZZNS1_14partition_implILS8_3ELb0ES6_jNS0_17counting_iteratorIjlEEPS9_SE_NS0_5tupleIJPjSE_EEENSF_IJSE_SE_EEES9_SG_JZNS1_25segmented_radix_sort_implINS0_14default_configELb0EPKlPlSM_SN_N2at6native12_GLOBAL__N_18offset_tEEE10hipError_tPvRmT1_PNSt15iterator_traitsISV_E10value_typeET2_T3_PNSW_IS11_E10value_typeET4_jRbjT5_S17_jjP12ihipStream_tbEUljE_EEESS_ST_SU_S11_S15_S17_T6_T7_T9_mT8_S19_bDpT10_ENKUlT_T0_E_clISt17integral_constantIbLb1EES1M_EEDaS1H_S1I_EUlS1H_E_NS1_11comp_targetILNS1_3genE4ELNS1_11target_archE910ELNS1_3gpuE8ELNS1_3repE0EEENS1_30default_config_static_selectorELNS0_4arch9wavefront6targetE0EEEvSV_.num_agpr, 0
	.set _ZN7rocprim17ROCPRIM_400000_NS6detail17trampoline_kernelINS0_13select_configILj256ELj13ELNS0_17block_load_methodE3ELS4_3ELS4_3ELNS0_20block_scan_algorithmE0ELj4294967295EEENS1_25partition_config_selectorILNS1_17partition_subalgoE3EjNS0_10empty_typeEbEEZZNS1_14partition_implILS8_3ELb0ES6_jNS0_17counting_iteratorIjlEEPS9_SE_NS0_5tupleIJPjSE_EEENSF_IJSE_SE_EEES9_SG_JZNS1_25segmented_radix_sort_implINS0_14default_configELb0EPKlPlSM_SN_N2at6native12_GLOBAL__N_18offset_tEEE10hipError_tPvRmT1_PNSt15iterator_traitsISV_E10value_typeET2_T3_PNSW_IS11_E10value_typeET4_jRbjT5_S17_jjP12ihipStream_tbEUljE_EEESS_ST_SU_S11_S15_S17_T6_T7_T9_mT8_S19_bDpT10_ENKUlT_T0_E_clISt17integral_constantIbLb1EES1M_EEDaS1H_S1I_EUlS1H_E_NS1_11comp_targetILNS1_3genE4ELNS1_11target_archE910ELNS1_3gpuE8ELNS1_3repE0EEENS1_30default_config_static_selectorELNS0_4arch9wavefront6targetE0EEEvSV_.numbered_sgpr, 0
	.set _ZN7rocprim17ROCPRIM_400000_NS6detail17trampoline_kernelINS0_13select_configILj256ELj13ELNS0_17block_load_methodE3ELS4_3ELS4_3ELNS0_20block_scan_algorithmE0ELj4294967295EEENS1_25partition_config_selectorILNS1_17partition_subalgoE3EjNS0_10empty_typeEbEEZZNS1_14partition_implILS8_3ELb0ES6_jNS0_17counting_iteratorIjlEEPS9_SE_NS0_5tupleIJPjSE_EEENSF_IJSE_SE_EEES9_SG_JZNS1_25segmented_radix_sort_implINS0_14default_configELb0EPKlPlSM_SN_N2at6native12_GLOBAL__N_18offset_tEEE10hipError_tPvRmT1_PNSt15iterator_traitsISV_E10value_typeET2_T3_PNSW_IS11_E10value_typeET4_jRbjT5_S17_jjP12ihipStream_tbEUljE_EEESS_ST_SU_S11_S15_S17_T6_T7_T9_mT8_S19_bDpT10_ENKUlT_T0_E_clISt17integral_constantIbLb1EES1M_EEDaS1H_S1I_EUlS1H_E_NS1_11comp_targetILNS1_3genE4ELNS1_11target_archE910ELNS1_3gpuE8ELNS1_3repE0EEENS1_30default_config_static_selectorELNS0_4arch9wavefront6targetE0EEEvSV_.num_named_barrier, 0
	.set _ZN7rocprim17ROCPRIM_400000_NS6detail17trampoline_kernelINS0_13select_configILj256ELj13ELNS0_17block_load_methodE3ELS4_3ELS4_3ELNS0_20block_scan_algorithmE0ELj4294967295EEENS1_25partition_config_selectorILNS1_17partition_subalgoE3EjNS0_10empty_typeEbEEZZNS1_14partition_implILS8_3ELb0ES6_jNS0_17counting_iteratorIjlEEPS9_SE_NS0_5tupleIJPjSE_EEENSF_IJSE_SE_EEES9_SG_JZNS1_25segmented_radix_sort_implINS0_14default_configELb0EPKlPlSM_SN_N2at6native12_GLOBAL__N_18offset_tEEE10hipError_tPvRmT1_PNSt15iterator_traitsISV_E10value_typeET2_T3_PNSW_IS11_E10value_typeET4_jRbjT5_S17_jjP12ihipStream_tbEUljE_EEESS_ST_SU_S11_S15_S17_T6_T7_T9_mT8_S19_bDpT10_ENKUlT_T0_E_clISt17integral_constantIbLb1EES1M_EEDaS1H_S1I_EUlS1H_E_NS1_11comp_targetILNS1_3genE4ELNS1_11target_archE910ELNS1_3gpuE8ELNS1_3repE0EEENS1_30default_config_static_selectorELNS0_4arch9wavefront6targetE0EEEvSV_.private_seg_size, 0
	.set _ZN7rocprim17ROCPRIM_400000_NS6detail17trampoline_kernelINS0_13select_configILj256ELj13ELNS0_17block_load_methodE3ELS4_3ELS4_3ELNS0_20block_scan_algorithmE0ELj4294967295EEENS1_25partition_config_selectorILNS1_17partition_subalgoE3EjNS0_10empty_typeEbEEZZNS1_14partition_implILS8_3ELb0ES6_jNS0_17counting_iteratorIjlEEPS9_SE_NS0_5tupleIJPjSE_EEENSF_IJSE_SE_EEES9_SG_JZNS1_25segmented_radix_sort_implINS0_14default_configELb0EPKlPlSM_SN_N2at6native12_GLOBAL__N_18offset_tEEE10hipError_tPvRmT1_PNSt15iterator_traitsISV_E10value_typeET2_T3_PNSW_IS11_E10value_typeET4_jRbjT5_S17_jjP12ihipStream_tbEUljE_EEESS_ST_SU_S11_S15_S17_T6_T7_T9_mT8_S19_bDpT10_ENKUlT_T0_E_clISt17integral_constantIbLb1EES1M_EEDaS1H_S1I_EUlS1H_E_NS1_11comp_targetILNS1_3genE4ELNS1_11target_archE910ELNS1_3gpuE8ELNS1_3repE0EEENS1_30default_config_static_selectorELNS0_4arch9wavefront6targetE0EEEvSV_.uses_vcc, 0
	.set _ZN7rocprim17ROCPRIM_400000_NS6detail17trampoline_kernelINS0_13select_configILj256ELj13ELNS0_17block_load_methodE3ELS4_3ELS4_3ELNS0_20block_scan_algorithmE0ELj4294967295EEENS1_25partition_config_selectorILNS1_17partition_subalgoE3EjNS0_10empty_typeEbEEZZNS1_14partition_implILS8_3ELb0ES6_jNS0_17counting_iteratorIjlEEPS9_SE_NS0_5tupleIJPjSE_EEENSF_IJSE_SE_EEES9_SG_JZNS1_25segmented_radix_sort_implINS0_14default_configELb0EPKlPlSM_SN_N2at6native12_GLOBAL__N_18offset_tEEE10hipError_tPvRmT1_PNSt15iterator_traitsISV_E10value_typeET2_T3_PNSW_IS11_E10value_typeET4_jRbjT5_S17_jjP12ihipStream_tbEUljE_EEESS_ST_SU_S11_S15_S17_T6_T7_T9_mT8_S19_bDpT10_ENKUlT_T0_E_clISt17integral_constantIbLb1EES1M_EEDaS1H_S1I_EUlS1H_E_NS1_11comp_targetILNS1_3genE4ELNS1_11target_archE910ELNS1_3gpuE8ELNS1_3repE0EEENS1_30default_config_static_selectorELNS0_4arch9wavefront6targetE0EEEvSV_.uses_flat_scratch, 0
	.set _ZN7rocprim17ROCPRIM_400000_NS6detail17trampoline_kernelINS0_13select_configILj256ELj13ELNS0_17block_load_methodE3ELS4_3ELS4_3ELNS0_20block_scan_algorithmE0ELj4294967295EEENS1_25partition_config_selectorILNS1_17partition_subalgoE3EjNS0_10empty_typeEbEEZZNS1_14partition_implILS8_3ELb0ES6_jNS0_17counting_iteratorIjlEEPS9_SE_NS0_5tupleIJPjSE_EEENSF_IJSE_SE_EEES9_SG_JZNS1_25segmented_radix_sort_implINS0_14default_configELb0EPKlPlSM_SN_N2at6native12_GLOBAL__N_18offset_tEEE10hipError_tPvRmT1_PNSt15iterator_traitsISV_E10value_typeET2_T3_PNSW_IS11_E10value_typeET4_jRbjT5_S17_jjP12ihipStream_tbEUljE_EEESS_ST_SU_S11_S15_S17_T6_T7_T9_mT8_S19_bDpT10_ENKUlT_T0_E_clISt17integral_constantIbLb1EES1M_EEDaS1H_S1I_EUlS1H_E_NS1_11comp_targetILNS1_3genE4ELNS1_11target_archE910ELNS1_3gpuE8ELNS1_3repE0EEENS1_30default_config_static_selectorELNS0_4arch9wavefront6targetE0EEEvSV_.has_dyn_sized_stack, 0
	.set _ZN7rocprim17ROCPRIM_400000_NS6detail17trampoline_kernelINS0_13select_configILj256ELj13ELNS0_17block_load_methodE3ELS4_3ELS4_3ELNS0_20block_scan_algorithmE0ELj4294967295EEENS1_25partition_config_selectorILNS1_17partition_subalgoE3EjNS0_10empty_typeEbEEZZNS1_14partition_implILS8_3ELb0ES6_jNS0_17counting_iteratorIjlEEPS9_SE_NS0_5tupleIJPjSE_EEENSF_IJSE_SE_EEES9_SG_JZNS1_25segmented_radix_sort_implINS0_14default_configELb0EPKlPlSM_SN_N2at6native12_GLOBAL__N_18offset_tEEE10hipError_tPvRmT1_PNSt15iterator_traitsISV_E10value_typeET2_T3_PNSW_IS11_E10value_typeET4_jRbjT5_S17_jjP12ihipStream_tbEUljE_EEESS_ST_SU_S11_S15_S17_T6_T7_T9_mT8_S19_bDpT10_ENKUlT_T0_E_clISt17integral_constantIbLb1EES1M_EEDaS1H_S1I_EUlS1H_E_NS1_11comp_targetILNS1_3genE4ELNS1_11target_archE910ELNS1_3gpuE8ELNS1_3repE0EEENS1_30default_config_static_selectorELNS0_4arch9wavefront6targetE0EEEvSV_.has_recursion, 0
	.set _ZN7rocprim17ROCPRIM_400000_NS6detail17trampoline_kernelINS0_13select_configILj256ELj13ELNS0_17block_load_methodE3ELS4_3ELS4_3ELNS0_20block_scan_algorithmE0ELj4294967295EEENS1_25partition_config_selectorILNS1_17partition_subalgoE3EjNS0_10empty_typeEbEEZZNS1_14partition_implILS8_3ELb0ES6_jNS0_17counting_iteratorIjlEEPS9_SE_NS0_5tupleIJPjSE_EEENSF_IJSE_SE_EEES9_SG_JZNS1_25segmented_radix_sort_implINS0_14default_configELb0EPKlPlSM_SN_N2at6native12_GLOBAL__N_18offset_tEEE10hipError_tPvRmT1_PNSt15iterator_traitsISV_E10value_typeET2_T3_PNSW_IS11_E10value_typeET4_jRbjT5_S17_jjP12ihipStream_tbEUljE_EEESS_ST_SU_S11_S15_S17_T6_T7_T9_mT8_S19_bDpT10_ENKUlT_T0_E_clISt17integral_constantIbLb1EES1M_EEDaS1H_S1I_EUlS1H_E_NS1_11comp_targetILNS1_3genE4ELNS1_11target_archE910ELNS1_3gpuE8ELNS1_3repE0EEENS1_30default_config_static_selectorELNS0_4arch9wavefront6targetE0EEEvSV_.has_indirect_call, 0
	.section	.AMDGPU.csdata,"",@progbits
; Kernel info:
; codeLenInByte = 0
; TotalNumSgprs: 0
; NumVgprs: 0
; ScratchSize: 0
; MemoryBound: 0
; FloatMode: 240
; IeeeMode: 1
; LDSByteSize: 0 bytes/workgroup (compile time only)
; SGPRBlocks: 0
; VGPRBlocks: 0
; NumSGPRsForWavesPerEU: 1
; NumVGPRsForWavesPerEU: 1
; Occupancy: 16
; WaveLimiterHint : 0
; COMPUTE_PGM_RSRC2:SCRATCH_EN: 0
; COMPUTE_PGM_RSRC2:USER_SGPR: 2
; COMPUTE_PGM_RSRC2:TRAP_HANDLER: 0
; COMPUTE_PGM_RSRC2:TGID_X_EN: 1
; COMPUTE_PGM_RSRC2:TGID_Y_EN: 0
; COMPUTE_PGM_RSRC2:TGID_Z_EN: 0
; COMPUTE_PGM_RSRC2:TIDIG_COMP_CNT: 0
	.section	.text._ZN7rocprim17ROCPRIM_400000_NS6detail17trampoline_kernelINS0_13select_configILj256ELj13ELNS0_17block_load_methodE3ELS4_3ELS4_3ELNS0_20block_scan_algorithmE0ELj4294967295EEENS1_25partition_config_selectorILNS1_17partition_subalgoE3EjNS0_10empty_typeEbEEZZNS1_14partition_implILS8_3ELb0ES6_jNS0_17counting_iteratorIjlEEPS9_SE_NS0_5tupleIJPjSE_EEENSF_IJSE_SE_EEES9_SG_JZNS1_25segmented_radix_sort_implINS0_14default_configELb0EPKlPlSM_SN_N2at6native12_GLOBAL__N_18offset_tEEE10hipError_tPvRmT1_PNSt15iterator_traitsISV_E10value_typeET2_T3_PNSW_IS11_E10value_typeET4_jRbjT5_S17_jjP12ihipStream_tbEUljE_EEESS_ST_SU_S11_S15_S17_T6_T7_T9_mT8_S19_bDpT10_ENKUlT_T0_E_clISt17integral_constantIbLb1EES1M_EEDaS1H_S1I_EUlS1H_E_NS1_11comp_targetILNS1_3genE3ELNS1_11target_archE908ELNS1_3gpuE7ELNS1_3repE0EEENS1_30default_config_static_selectorELNS0_4arch9wavefront6targetE0EEEvSV_,"axG",@progbits,_ZN7rocprim17ROCPRIM_400000_NS6detail17trampoline_kernelINS0_13select_configILj256ELj13ELNS0_17block_load_methodE3ELS4_3ELS4_3ELNS0_20block_scan_algorithmE0ELj4294967295EEENS1_25partition_config_selectorILNS1_17partition_subalgoE3EjNS0_10empty_typeEbEEZZNS1_14partition_implILS8_3ELb0ES6_jNS0_17counting_iteratorIjlEEPS9_SE_NS0_5tupleIJPjSE_EEENSF_IJSE_SE_EEES9_SG_JZNS1_25segmented_radix_sort_implINS0_14default_configELb0EPKlPlSM_SN_N2at6native12_GLOBAL__N_18offset_tEEE10hipError_tPvRmT1_PNSt15iterator_traitsISV_E10value_typeET2_T3_PNSW_IS11_E10value_typeET4_jRbjT5_S17_jjP12ihipStream_tbEUljE_EEESS_ST_SU_S11_S15_S17_T6_T7_T9_mT8_S19_bDpT10_ENKUlT_T0_E_clISt17integral_constantIbLb1EES1M_EEDaS1H_S1I_EUlS1H_E_NS1_11comp_targetILNS1_3genE3ELNS1_11target_archE908ELNS1_3gpuE7ELNS1_3repE0EEENS1_30default_config_static_selectorELNS0_4arch9wavefront6targetE0EEEvSV_,comdat
	.globl	_ZN7rocprim17ROCPRIM_400000_NS6detail17trampoline_kernelINS0_13select_configILj256ELj13ELNS0_17block_load_methodE3ELS4_3ELS4_3ELNS0_20block_scan_algorithmE0ELj4294967295EEENS1_25partition_config_selectorILNS1_17partition_subalgoE3EjNS0_10empty_typeEbEEZZNS1_14partition_implILS8_3ELb0ES6_jNS0_17counting_iteratorIjlEEPS9_SE_NS0_5tupleIJPjSE_EEENSF_IJSE_SE_EEES9_SG_JZNS1_25segmented_radix_sort_implINS0_14default_configELb0EPKlPlSM_SN_N2at6native12_GLOBAL__N_18offset_tEEE10hipError_tPvRmT1_PNSt15iterator_traitsISV_E10value_typeET2_T3_PNSW_IS11_E10value_typeET4_jRbjT5_S17_jjP12ihipStream_tbEUljE_EEESS_ST_SU_S11_S15_S17_T6_T7_T9_mT8_S19_bDpT10_ENKUlT_T0_E_clISt17integral_constantIbLb1EES1M_EEDaS1H_S1I_EUlS1H_E_NS1_11comp_targetILNS1_3genE3ELNS1_11target_archE908ELNS1_3gpuE7ELNS1_3repE0EEENS1_30default_config_static_selectorELNS0_4arch9wavefront6targetE0EEEvSV_ ; -- Begin function _ZN7rocprim17ROCPRIM_400000_NS6detail17trampoline_kernelINS0_13select_configILj256ELj13ELNS0_17block_load_methodE3ELS4_3ELS4_3ELNS0_20block_scan_algorithmE0ELj4294967295EEENS1_25partition_config_selectorILNS1_17partition_subalgoE3EjNS0_10empty_typeEbEEZZNS1_14partition_implILS8_3ELb0ES6_jNS0_17counting_iteratorIjlEEPS9_SE_NS0_5tupleIJPjSE_EEENSF_IJSE_SE_EEES9_SG_JZNS1_25segmented_radix_sort_implINS0_14default_configELb0EPKlPlSM_SN_N2at6native12_GLOBAL__N_18offset_tEEE10hipError_tPvRmT1_PNSt15iterator_traitsISV_E10value_typeET2_T3_PNSW_IS11_E10value_typeET4_jRbjT5_S17_jjP12ihipStream_tbEUljE_EEESS_ST_SU_S11_S15_S17_T6_T7_T9_mT8_S19_bDpT10_ENKUlT_T0_E_clISt17integral_constantIbLb1EES1M_EEDaS1H_S1I_EUlS1H_E_NS1_11comp_targetILNS1_3genE3ELNS1_11target_archE908ELNS1_3gpuE7ELNS1_3repE0EEENS1_30default_config_static_selectorELNS0_4arch9wavefront6targetE0EEEvSV_
	.p2align	8
	.type	_ZN7rocprim17ROCPRIM_400000_NS6detail17trampoline_kernelINS0_13select_configILj256ELj13ELNS0_17block_load_methodE3ELS4_3ELS4_3ELNS0_20block_scan_algorithmE0ELj4294967295EEENS1_25partition_config_selectorILNS1_17partition_subalgoE3EjNS0_10empty_typeEbEEZZNS1_14partition_implILS8_3ELb0ES6_jNS0_17counting_iteratorIjlEEPS9_SE_NS0_5tupleIJPjSE_EEENSF_IJSE_SE_EEES9_SG_JZNS1_25segmented_radix_sort_implINS0_14default_configELb0EPKlPlSM_SN_N2at6native12_GLOBAL__N_18offset_tEEE10hipError_tPvRmT1_PNSt15iterator_traitsISV_E10value_typeET2_T3_PNSW_IS11_E10value_typeET4_jRbjT5_S17_jjP12ihipStream_tbEUljE_EEESS_ST_SU_S11_S15_S17_T6_T7_T9_mT8_S19_bDpT10_ENKUlT_T0_E_clISt17integral_constantIbLb1EES1M_EEDaS1H_S1I_EUlS1H_E_NS1_11comp_targetILNS1_3genE3ELNS1_11target_archE908ELNS1_3gpuE7ELNS1_3repE0EEENS1_30default_config_static_selectorELNS0_4arch9wavefront6targetE0EEEvSV_,@function
_ZN7rocprim17ROCPRIM_400000_NS6detail17trampoline_kernelINS0_13select_configILj256ELj13ELNS0_17block_load_methodE3ELS4_3ELS4_3ELNS0_20block_scan_algorithmE0ELj4294967295EEENS1_25partition_config_selectorILNS1_17partition_subalgoE3EjNS0_10empty_typeEbEEZZNS1_14partition_implILS8_3ELb0ES6_jNS0_17counting_iteratorIjlEEPS9_SE_NS0_5tupleIJPjSE_EEENSF_IJSE_SE_EEES9_SG_JZNS1_25segmented_radix_sort_implINS0_14default_configELb0EPKlPlSM_SN_N2at6native12_GLOBAL__N_18offset_tEEE10hipError_tPvRmT1_PNSt15iterator_traitsISV_E10value_typeET2_T3_PNSW_IS11_E10value_typeET4_jRbjT5_S17_jjP12ihipStream_tbEUljE_EEESS_ST_SU_S11_S15_S17_T6_T7_T9_mT8_S19_bDpT10_ENKUlT_T0_E_clISt17integral_constantIbLb1EES1M_EEDaS1H_S1I_EUlS1H_E_NS1_11comp_targetILNS1_3genE3ELNS1_11target_archE908ELNS1_3gpuE7ELNS1_3repE0EEENS1_30default_config_static_selectorELNS0_4arch9wavefront6targetE0EEEvSV_: ; @_ZN7rocprim17ROCPRIM_400000_NS6detail17trampoline_kernelINS0_13select_configILj256ELj13ELNS0_17block_load_methodE3ELS4_3ELS4_3ELNS0_20block_scan_algorithmE0ELj4294967295EEENS1_25partition_config_selectorILNS1_17partition_subalgoE3EjNS0_10empty_typeEbEEZZNS1_14partition_implILS8_3ELb0ES6_jNS0_17counting_iteratorIjlEEPS9_SE_NS0_5tupleIJPjSE_EEENSF_IJSE_SE_EEES9_SG_JZNS1_25segmented_radix_sort_implINS0_14default_configELb0EPKlPlSM_SN_N2at6native12_GLOBAL__N_18offset_tEEE10hipError_tPvRmT1_PNSt15iterator_traitsISV_E10value_typeET2_T3_PNSW_IS11_E10value_typeET4_jRbjT5_S17_jjP12ihipStream_tbEUljE_EEESS_ST_SU_S11_S15_S17_T6_T7_T9_mT8_S19_bDpT10_ENKUlT_T0_E_clISt17integral_constantIbLb1EES1M_EEDaS1H_S1I_EUlS1H_E_NS1_11comp_targetILNS1_3genE3ELNS1_11target_archE908ELNS1_3gpuE7ELNS1_3repE0EEENS1_30default_config_static_selectorELNS0_4arch9wavefront6targetE0EEEvSV_
; %bb.0:
	.section	.rodata,"a",@progbits
	.p2align	6, 0x0
	.amdhsa_kernel _ZN7rocprim17ROCPRIM_400000_NS6detail17trampoline_kernelINS0_13select_configILj256ELj13ELNS0_17block_load_methodE3ELS4_3ELS4_3ELNS0_20block_scan_algorithmE0ELj4294967295EEENS1_25partition_config_selectorILNS1_17partition_subalgoE3EjNS0_10empty_typeEbEEZZNS1_14partition_implILS8_3ELb0ES6_jNS0_17counting_iteratorIjlEEPS9_SE_NS0_5tupleIJPjSE_EEENSF_IJSE_SE_EEES9_SG_JZNS1_25segmented_radix_sort_implINS0_14default_configELb0EPKlPlSM_SN_N2at6native12_GLOBAL__N_18offset_tEEE10hipError_tPvRmT1_PNSt15iterator_traitsISV_E10value_typeET2_T3_PNSW_IS11_E10value_typeET4_jRbjT5_S17_jjP12ihipStream_tbEUljE_EEESS_ST_SU_S11_S15_S17_T6_T7_T9_mT8_S19_bDpT10_ENKUlT_T0_E_clISt17integral_constantIbLb1EES1M_EEDaS1H_S1I_EUlS1H_E_NS1_11comp_targetILNS1_3genE3ELNS1_11target_archE908ELNS1_3gpuE7ELNS1_3repE0EEENS1_30default_config_static_selectorELNS0_4arch9wavefront6targetE0EEEvSV_
		.amdhsa_group_segment_fixed_size 0
		.amdhsa_private_segment_fixed_size 0
		.amdhsa_kernarg_size 152
		.amdhsa_user_sgpr_count 2
		.amdhsa_user_sgpr_dispatch_ptr 0
		.amdhsa_user_sgpr_queue_ptr 0
		.amdhsa_user_sgpr_kernarg_segment_ptr 1
		.amdhsa_user_sgpr_dispatch_id 0
		.amdhsa_user_sgpr_private_segment_size 0
		.amdhsa_wavefront_size32 1
		.amdhsa_uses_dynamic_stack 0
		.amdhsa_enable_private_segment 0
		.amdhsa_system_sgpr_workgroup_id_x 1
		.amdhsa_system_sgpr_workgroup_id_y 0
		.amdhsa_system_sgpr_workgroup_id_z 0
		.amdhsa_system_sgpr_workgroup_info 0
		.amdhsa_system_vgpr_workitem_id 0
		.amdhsa_next_free_vgpr 1
		.amdhsa_next_free_sgpr 1
		.amdhsa_reserve_vcc 0
		.amdhsa_float_round_mode_32 0
		.amdhsa_float_round_mode_16_64 0
		.amdhsa_float_denorm_mode_32 3
		.amdhsa_float_denorm_mode_16_64 3
		.amdhsa_fp16_overflow 0
		.amdhsa_workgroup_processor_mode 1
		.amdhsa_memory_ordered 1
		.amdhsa_forward_progress 1
		.amdhsa_inst_pref_size 0
		.amdhsa_round_robin_scheduling 0
		.amdhsa_exception_fp_ieee_invalid_op 0
		.amdhsa_exception_fp_denorm_src 0
		.amdhsa_exception_fp_ieee_div_zero 0
		.amdhsa_exception_fp_ieee_overflow 0
		.amdhsa_exception_fp_ieee_underflow 0
		.amdhsa_exception_fp_ieee_inexact 0
		.amdhsa_exception_int_div_zero 0
	.end_amdhsa_kernel
	.section	.text._ZN7rocprim17ROCPRIM_400000_NS6detail17trampoline_kernelINS0_13select_configILj256ELj13ELNS0_17block_load_methodE3ELS4_3ELS4_3ELNS0_20block_scan_algorithmE0ELj4294967295EEENS1_25partition_config_selectorILNS1_17partition_subalgoE3EjNS0_10empty_typeEbEEZZNS1_14partition_implILS8_3ELb0ES6_jNS0_17counting_iteratorIjlEEPS9_SE_NS0_5tupleIJPjSE_EEENSF_IJSE_SE_EEES9_SG_JZNS1_25segmented_radix_sort_implINS0_14default_configELb0EPKlPlSM_SN_N2at6native12_GLOBAL__N_18offset_tEEE10hipError_tPvRmT1_PNSt15iterator_traitsISV_E10value_typeET2_T3_PNSW_IS11_E10value_typeET4_jRbjT5_S17_jjP12ihipStream_tbEUljE_EEESS_ST_SU_S11_S15_S17_T6_T7_T9_mT8_S19_bDpT10_ENKUlT_T0_E_clISt17integral_constantIbLb1EES1M_EEDaS1H_S1I_EUlS1H_E_NS1_11comp_targetILNS1_3genE3ELNS1_11target_archE908ELNS1_3gpuE7ELNS1_3repE0EEENS1_30default_config_static_selectorELNS0_4arch9wavefront6targetE0EEEvSV_,"axG",@progbits,_ZN7rocprim17ROCPRIM_400000_NS6detail17trampoline_kernelINS0_13select_configILj256ELj13ELNS0_17block_load_methodE3ELS4_3ELS4_3ELNS0_20block_scan_algorithmE0ELj4294967295EEENS1_25partition_config_selectorILNS1_17partition_subalgoE3EjNS0_10empty_typeEbEEZZNS1_14partition_implILS8_3ELb0ES6_jNS0_17counting_iteratorIjlEEPS9_SE_NS0_5tupleIJPjSE_EEENSF_IJSE_SE_EEES9_SG_JZNS1_25segmented_radix_sort_implINS0_14default_configELb0EPKlPlSM_SN_N2at6native12_GLOBAL__N_18offset_tEEE10hipError_tPvRmT1_PNSt15iterator_traitsISV_E10value_typeET2_T3_PNSW_IS11_E10value_typeET4_jRbjT5_S17_jjP12ihipStream_tbEUljE_EEESS_ST_SU_S11_S15_S17_T6_T7_T9_mT8_S19_bDpT10_ENKUlT_T0_E_clISt17integral_constantIbLb1EES1M_EEDaS1H_S1I_EUlS1H_E_NS1_11comp_targetILNS1_3genE3ELNS1_11target_archE908ELNS1_3gpuE7ELNS1_3repE0EEENS1_30default_config_static_selectorELNS0_4arch9wavefront6targetE0EEEvSV_,comdat
.Lfunc_end786:
	.size	_ZN7rocprim17ROCPRIM_400000_NS6detail17trampoline_kernelINS0_13select_configILj256ELj13ELNS0_17block_load_methodE3ELS4_3ELS4_3ELNS0_20block_scan_algorithmE0ELj4294967295EEENS1_25partition_config_selectorILNS1_17partition_subalgoE3EjNS0_10empty_typeEbEEZZNS1_14partition_implILS8_3ELb0ES6_jNS0_17counting_iteratorIjlEEPS9_SE_NS0_5tupleIJPjSE_EEENSF_IJSE_SE_EEES9_SG_JZNS1_25segmented_radix_sort_implINS0_14default_configELb0EPKlPlSM_SN_N2at6native12_GLOBAL__N_18offset_tEEE10hipError_tPvRmT1_PNSt15iterator_traitsISV_E10value_typeET2_T3_PNSW_IS11_E10value_typeET4_jRbjT5_S17_jjP12ihipStream_tbEUljE_EEESS_ST_SU_S11_S15_S17_T6_T7_T9_mT8_S19_bDpT10_ENKUlT_T0_E_clISt17integral_constantIbLb1EES1M_EEDaS1H_S1I_EUlS1H_E_NS1_11comp_targetILNS1_3genE3ELNS1_11target_archE908ELNS1_3gpuE7ELNS1_3repE0EEENS1_30default_config_static_selectorELNS0_4arch9wavefront6targetE0EEEvSV_, .Lfunc_end786-_ZN7rocprim17ROCPRIM_400000_NS6detail17trampoline_kernelINS0_13select_configILj256ELj13ELNS0_17block_load_methodE3ELS4_3ELS4_3ELNS0_20block_scan_algorithmE0ELj4294967295EEENS1_25partition_config_selectorILNS1_17partition_subalgoE3EjNS0_10empty_typeEbEEZZNS1_14partition_implILS8_3ELb0ES6_jNS0_17counting_iteratorIjlEEPS9_SE_NS0_5tupleIJPjSE_EEENSF_IJSE_SE_EEES9_SG_JZNS1_25segmented_radix_sort_implINS0_14default_configELb0EPKlPlSM_SN_N2at6native12_GLOBAL__N_18offset_tEEE10hipError_tPvRmT1_PNSt15iterator_traitsISV_E10value_typeET2_T3_PNSW_IS11_E10value_typeET4_jRbjT5_S17_jjP12ihipStream_tbEUljE_EEESS_ST_SU_S11_S15_S17_T6_T7_T9_mT8_S19_bDpT10_ENKUlT_T0_E_clISt17integral_constantIbLb1EES1M_EEDaS1H_S1I_EUlS1H_E_NS1_11comp_targetILNS1_3genE3ELNS1_11target_archE908ELNS1_3gpuE7ELNS1_3repE0EEENS1_30default_config_static_selectorELNS0_4arch9wavefront6targetE0EEEvSV_
                                        ; -- End function
	.set _ZN7rocprim17ROCPRIM_400000_NS6detail17trampoline_kernelINS0_13select_configILj256ELj13ELNS0_17block_load_methodE3ELS4_3ELS4_3ELNS0_20block_scan_algorithmE0ELj4294967295EEENS1_25partition_config_selectorILNS1_17partition_subalgoE3EjNS0_10empty_typeEbEEZZNS1_14partition_implILS8_3ELb0ES6_jNS0_17counting_iteratorIjlEEPS9_SE_NS0_5tupleIJPjSE_EEENSF_IJSE_SE_EEES9_SG_JZNS1_25segmented_radix_sort_implINS0_14default_configELb0EPKlPlSM_SN_N2at6native12_GLOBAL__N_18offset_tEEE10hipError_tPvRmT1_PNSt15iterator_traitsISV_E10value_typeET2_T3_PNSW_IS11_E10value_typeET4_jRbjT5_S17_jjP12ihipStream_tbEUljE_EEESS_ST_SU_S11_S15_S17_T6_T7_T9_mT8_S19_bDpT10_ENKUlT_T0_E_clISt17integral_constantIbLb1EES1M_EEDaS1H_S1I_EUlS1H_E_NS1_11comp_targetILNS1_3genE3ELNS1_11target_archE908ELNS1_3gpuE7ELNS1_3repE0EEENS1_30default_config_static_selectorELNS0_4arch9wavefront6targetE0EEEvSV_.num_vgpr, 0
	.set _ZN7rocprim17ROCPRIM_400000_NS6detail17trampoline_kernelINS0_13select_configILj256ELj13ELNS0_17block_load_methodE3ELS4_3ELS4_3ELNS0_20block_scan_algorithmE0ELj4294967295EEENS1_25partition_config_selectorILNS1_17partition_subalgoE3EjNS0_10empty_typeEbEEZZNS1_14partition_implILS8_3ELb0ES6_jNS0_17counting_iteratorIjlEEPS9_SE_NS0_5tupleIJPjSE_EEENSF_IJSE_SE_EEES9_SG_JZNS1_25segmented_radix_sort_implINS0_14default_configELb0EPKlPlSM_SN_N2at6native12_GLOBAL__N_18offset_tEEE10hipError_tPvRmT1_PNSt15iterator_traitsISV_E10value_typeET2_T3_PNSW_IS11_E10value_typeET4_jRbjT5_S17_jjP12ihipStream_tbEUljE_EEESS_ST_SU_S11_S15_S17_T6_T7_T9_mT8_S19_bDpT10_ENKUlT_T0_E_clISt17integral_constantIbLb1EES1M_EEDaS1H_S1I_EUlS1H_E_NS1_11comp_targetILNS1_3genE3ELNS1_11target_archE908ELNS1_3gpuE7ELNS1_3repE0EEENS1_30default_config_static_selectorELNS0_4arch9wavefront6targetE0EEEvSV_.num_agpr, 0
	.set _ZN7rocprim17ROCPRIM_400000_NS6detail17trampoline_kernelINS0_13select_configILj256ELj13ELNS0_17block_load_methodE3ELS4_3ELS4_3ELNS0_20block_scan_algorithmE0ELj4294967295EEENS1_25partition_config_selectorILNS1_17partition_subalgoE3EjNS0_10empty_typeEbEEZZNS1_14partition_implILS8_3ELb0ES6_jNS0_17counting_iteratorIjlEEPS9_SE_NS0_5tupleIJPjSE_EEENSF_IJSE_SE_EEES9_SG_JZNS1_25segmented_radix_sort_implINS0_14default_configELb0EPKlPlSM_SN_N2at6native12_GLOBAL__N_18offset_tEEE10hipError_tPvRmT1_PNSt15iterator_traitsISV_E10value_typeET2_T3_PNSW_IS11_E10value_typeET4_jRbjT5_S17_jjP12ihipStream_tbEUljE_EEESS_ST_SU_S11_S15_S17_T6_T7_T9_mT8_S19_bDpT10_ENKUlT_T0_E_clISt17integral_constantIbLb1EES1M_EEDaS1H_S1I_EUlS1H_E_NS1_11comp_targetILNS1_3genE3ELNS1_11target_archE908ELNS1_3gpuE7ELNS1_3repE0EEENS1_30default_config_static_selectorELNS0_4arch9wavefront6targetE0EEEvSV_.numbered_sgpr, 0
	.set _ZN7rocprim17ROCPRIM_400000_NS6detail17trampoline_kernelINS0_13select_configILj256ELj13ELNS0_17block_load_methodE3ELS4_3ELS4_3ELNS0_20block_scan_algorithmE0ELj4294967295EEENS1_25partition_config_selectorILNS1_17partition_subalgoE3EjNS0_10empty_typeEbEEZZNS1_14partition_implILS8_3ELb0ES6_jNS0_17counting_iteratorIjlEEPS9_SE_NS0_5tupleIJPjSE_EEENSF_IJSE_SE_EEES9_SG_JZNS1_25segmented_radix_sort_implINS0_14default_configELb0EPKlPlSM_SN_N2at6native12_GLOBAL__N_18offset_tEEE10hipError_tPvRmT1_PNSt15iterator_traitsISV_E10value_typeET2_T3_PNSW_IS11_E10value_typeET4_jRbjT5_S17_jjP12ihipStream_tbEUljE_EEESS_ST_SU_S11_S15_S17_T6_T7_T9_mT8_S19_bDpT10_ENKUlT_T0_E_clISt17integral_constantIbLb1EES1M_EEDaS1H_S1I_EUlS1H_E_NS1_11comp_targetILNS1_3genE3ELNS1_11target_archE908ELNS1_3gpuE7ELNS1_3repE0EEENS1_30default_config_static_selectorELNS0_4arch9wavefront6targetE0EEEvSV_.num_named_barrier, 0
	.set _ZN7rocprim17ROCPRIM_400000_NS6detail17trampoline_kernelINS0_13select_configILj256ELj13ELNS0_17block_load_methodE3ELS4_3ELS4_3ELNS0_20block_scan_algorithmE0ELj4294967295EEENS1_25partition_config_selectorILNS1_17partition_subalgoE3EjNS0_10empty_typeEbEEZZNS1_14partition_implILS8_3ELb0ES6_jNS0_17counting_iteratorIjlEEPS9_SE_NS0_5tupleIJPjSE_EEENSF_IJSE_SE_EEES9_SG_JZNS1_25segmented_radix_sort_implINS0_14default_configELb0EPKlPlSM_SN_N2at6native12_GLOBAL__N_18offset_tEEE10hipError_tPvRmT1_PNSt15iterator_traitsISV_E10value_typeET2_T3_PNSW_IS11_E10value_typeET4_jRbjT5_S17_jjP12ihipStream_tbEUljE_EEESS_ST_SU_S11_S15_S17_T6_T7_T9_mT8_S19_bDpT10_ENKUlT_T0_E_clISt17integral_constantIbLb1EES1M_EEDaS1H_S1I_EUlS1H_E_NS1_11comp_targetILNS1_3genE3ELNS1_11target_archE908ELNS1_3gpuE7ELNS1_3repE0EEENS1_30default_config_static_selectorELNS0_4arch9wavefront6targetE0EEEvSV_.private_seg_size, 0
	.set _ZN7rocprim17ROCPRIM_400000_NS6detail17trampoline_kernelINS0_13select_configILj256ELj13ELNS0_17block_load_methodE3ELS4_3ELS4_3ELNS0_20block_scan_algorithmE0ELj4294967295EEENS1_25partition_config_selectorILNS1_17partition_subalgoE3EjNS0_10empty_typeEbEEZZNS1_14partition_implILS8_3ELb0ES6_jNS0_17counting_iteratorIjlEEPS9_SE_NS0_5tupleIJPjSE_EEENSF_IJSE_SE_EEES9_SG_JZNS1_25segmented_radix_sort_implINS0_14default_configELb0EPKlPlSM_SN_N2at6native12_GLOBAL__N_18offset_tEEE10hipError_tPvRmT1_PNSt15iterator_traitsISV_E10value_typeET2_T3_PNSW_IS11_E10value_typeET4_jRbjT5_S17_jjP12ihipStream_tbEUljE_EEESS_ST_SU_S11_S15_S17_T6_T7_T9_mT8_S19_bDpT10_ENKUlT_T0_E_clISt17integral_constantIbLb1EES1M_EEDaS1H_S1I_EUlS1H_E_NS1_11comp_targetILNS1_3genE3ELNS1_11target_archE908ELNS1_3gpuE7ELNS1_3repE0EEENS1_30default_config_static_selectorELNS0_4arch9wavefront6targetE0EEEvSV_.uses_vcc, 0
	.set _ZN7rocprim17ROCPRIM_400000_NS6detail17trampoline_kernelINS0_13select_configILj256ELj13ELNS0_17block_load_methodE3ELS4_3ELS4_3ELNS0_20block_scan_algorithmE0ELj4294967295EEENS1_25partition_config_selectorILNS1_17partition_subalgoE3EjNS0_10empty_typeEbEEZZNS1_14partition_implILS8_3ELb0ES6_jNS0_17counting_iteratorIjlEEPS9_SE_NS0_5tupleIJPjSE_EEENSF_IJSE_SE_EEES9_SG_JZNS1_25segmented_radix_sort_implINS0_14default_configELb0EPKlPlSM_SN_N2at6native12_GLOBAL__N_18offset_tEEE10hipError_tPvRmT1_PNSt15iterator_traitsISV_E10value_typeET2_T3_PNSW_IS11_E10value_typeET4_jRbjT5_S17_jjP12ihipStream_tbEUljE_EEESS_ST_SU_S11_S15_S17_T6_T7_T9_mT8_S19_bDpT10_ENKUlT_T0_E_clISt17integral_constantIbLb1EES1M_EEDaS1H_S1I_EUlS1H_E_NS1_11comp_targetILNS1_3genE3ELNS1_11target_archE908ELNS1_3gpuE7ELNS1_3repE0EEENS1_30default_config_static_selectorELNS0_4arch9wavefront6targetE0EEEvSV_.uses_flat_scratch, 0
	.set _ZN7rocprim17ROCPRIM_400000_NS6detail17trampoline_kernelINS0_13select_configILj256ELj13ELNS0_17block_load_methodE3ELS4_3ELS4_3ELNS0_20block_scan_algorithmE0ELj4294967295EEENS1_25partition_config_selectorILNS1_17partition_subalgoE3EjNS0_10empty_typeEbEEZZNS1_14partition_implILS8_3ELb0ES6_jNS0_17counting_iteratorIjlEEPS9_SE_NS0_5tupleIJPjSE_EEENSF_IJSE_SE_EEES9_SG_JZNS1_25segmented_radix_sort_implINS0_14default_configELb0EPKlPlSM_SN_N2at6native12_GLOBAL__N_18offset_tEEE10hipError_tPvRmT1_PNSt15iterator_traitsISV_E10value_typeET2_T3_PNSW_IS11_E10value_typeET4_jRbjT5_S17_jjP12ihipStream_tbEUljE_EEESS_ST_SU_S11_S15_S17_T6_T7_T9_mT8_S19_bDpT10_ENKUlT_T0_E_clISt17integral_constantIbLb1EES1M_EEDaS1H_S1I_EUlS1H_E_NS1_11comp_targetILNS1_3genE3ELNS1_11target_archE908ELNS1_3gpuE7ELNS1_3repE0EEENS1_30default_config_static_selectorELNS0_4arch9wavefront6targetE0EEEvSV_.has_dyn_sized_stack, 0
	.set _ZN7rocprim17ROCPRIM_400000_NS6detail17trampoline_kernelINS0_13select_configILj256ELj13ELNS0_17block_load_methodE3ELS4_3ELS4_3ELNS0_20block_scan_algorithmE0ELj4294967295EEENS1_25partition_config_selectorILNS1_17partition_subalgoE3EjNS0_10empty_typeEbEEZZNS1_14partition_implILS8_3ELb0ES6_jNS0_17counting_iteratorIjlEEPS9_SE_NS0_5tupleIJPjSE_EEENSF_IJSE_SE_EEES9_SG_JZNS1_25segmented_radix_sort_implINS0_14default_configELb0EPKlPlSM_SN_N2at6native12_GLOBAL__N_18offset_tEEE10hipError_tPvRmT1_PNSt15iterator_traitsISV_E10value_typeET2_T3_PNSW_IS11_E10value_typeET4_jRbjT5_S17_jjP12ihipStream_tbEUljE_EEESS_ST_SU_S11_S15_S17_T6_T7_T9_mT8_S19_bDpT10_ENKUlT_T0_E_clISt17integral_constantIbLb1EES1M_EEDaS1H_S1I_EUlS1H_E_NS1_11comp_targetILNS1_3genE3ELNS1_11target_archE908ELNS1_3gpuE7ELNS1_3repE0EEENS1_30default_config_static_selectorELNS0_4arch9wavefront6targetE0EEEvSV_.has_recursion, 0
	.set _ZN7rocprim17ROCPRIM_400000_NS6detail17trampoline_kernelINS0_13select_configILj256ELj13ELNS0_17block_load_methodE3ELS4_3ELS4_3ELNS0_20block_scan_algorithmE0ELj4294967295EEENS1_25partition_config_selectorILNS1_17partition_subalgoE3EjNS0_10empty_typeEbEEZZNS1_14partition_implILS8_3ELb0ES6_jNS0_17counting_iteratorIjlEEPS9_SE_NS0_5tupleIJPjSE_EEENSF_IJSE_SE_EEES9_SG_JZNS1_25segmented_radix_sort_implINS0_14default_configELb0EPKlPlSM_SN_N2at6native12_GLOBAL__N_18offset_tEEE10hipError_tPvRmT1_PNSt15iterator_traitsISV_E10value_typeET2_T3_PNSW_IS11_E10value_typeET4_jRbjT5_S17_jjP12ihipStream_tbEUljE_EEESS_ST_SU_S11_S15_S17_T6_T7_T9_mT8_S19_bDpT10_ENKUlT_T0_E_clISt17integral_constantIbLb1EES1M_EEDaS1H_S1I_EUlS1H_E_NS1_11comp_targetILNS1_3genE3ELNS1_11target_archE908ELNS1_3gpuE7ELNS1_3repE0EEENS1_30default_config_static_selectorELNS0_4arch9wavefront6targetE0EEEvSV_.has_indirect_call, 0
	.section	.AMDGPU.csdata,"",@progbits
; Kernel info:
; codeLenInByte = 0
; TotalNumSgprs: 0
; NumVgprs: 0
; ScratchSize: 0
; MemoryBound: 0
; FloatMode: 240
; IeeeMode: 1
; LDSByteSize: 0 bytes/workgroup (compile time only)
; SGPRBlocks: 0
; VGPRBlocks: 0
; NumSGPRsForWavesPerEU: 1
; NumVGPRsForWavesPerEU: 1
; Occupancy: 16
; WaveLimiterHint : 0
; COMPUTE_PGM_RSRC2:SCRATCH_EN: 0
; COMPUTE_PGM_RSRC2:USER_SGPR: 2
; COMPUTE_PGM_RSRC2:TRAP_HANDLER: 0
; COMPUTE_PGM_RSRC2:TGID_X_EN: 1
; COMPUTE_PGM_RSRC2:TGID_Y_EN: 0
; COMPUTE_PGM_RSRC2:TGID_Z_EN: 0
; COMPUTE_PGM_RSRC2:TIDIG_COMP_CNT: 0
	.section	.text._ZN7rocprim17ROCPRIM_400000_NS6detail17trampoline_kernelINS0_13select_configILj256ELj13ELNS0_17block_load_methodE3ELS4_3ELS4_3ELNS0_20block_scan_algorithmE0ELj4294967295EEENS1_25partition_config_selectorILNS1_17partition_subalgoE3EjNS0_10empty_typeEbEEZZNS1_14partition_implILS8_3ELb0ES6_jNS0_17counting_iteratorIjlEEPS9_SE_NS0_5tupleIJPjSE_EEENSF_IJSE_SE_EEES9_SG_JZNS1_25segmented_radix_sort_implINS0_14default_configELb0EPKlPlSM_SN_N2at6native12_GLOBAL__N_18offset_tEEE10hipError_tPvRmT1_PNSt15iterator_traitsISV_E10value_typeET2_T3_PNSW_IS11_E10value_typeET4_jRbjT5_S17_jjP12ihipStream_tbEUljE_EEESS_ST_SU_S11_S15_S17_T6_T7_T9_mT8_S19_bDpT10_ENKUlT_T0_E_clISt17integral_constantIbLb1EES1M_EEDaS1H_S1I_EUlS1H_E_NS1_11comp_targetILNS1_3genE2ELNS1_11target_archE906ELNS1_3gpuE6ELNS1_3repE0EEENS1_30default_config_static_selectorELNS0_4arch9wavefront6targetE0EEEvSV_,"axG",@progbits,_ZN7rocprim17ROCPRIM_400000_NS6detail17trampoline_kernelINS0_13select_configILj256ELj13ELNS0_17block_load_methodE3ELS4_3ELS4_3ELNS0_20block_scan_algorithmE0ELj4294967295EEENS1_25partition_config_selectorILNS1_17partition_subalgoE3EjNS0_10empty_typeEbEEZZNS1_14partition_implILS8_3ELb0ES6_jNS0_17counting_iteratorIjlEEPS9_SE_NS0_5tupleIJPjSE_EEENSF_IJSE_SE_EEES9_SG_JZNS1_25segmented_radix_sort_implINS0_14default_configELb0EPKlPlSM_SN_N2at6native12_GLOBAL__N_18offset_tEEE10hipError_tPvRmT1_PNSt15iterator_traitsISV_E10value_typeET2_T3_PNSW_IS11_E10value_typeET4_jRbjT5_S17_jjP12ihipStream_tbEUljE_EEESS_ST_SU_S11_S15_S17_T6_T7_T9_mT8_S19_bDpT10_ENKUlT_T0_E_clISt17integral_constantIbLb1EES1M_EEDaS1H_S1I_EUlS1H_E_NS1_11comp_targetILNS1_3genE2ELNS1_11target_archE906ELNS1_3gpuE6ELNS1_3repE0EEENS1_30default_config_static_selectorELNS0_4arch9wavefront6targetE0EEEvSV_,comdat
	.globl	_ZN7rocprim17ROCPRIM_400000_NS6detail17trampoline_kernelINS0_13select_configILj256ELj13ELNS0_17block_load_methodE3ELS4_3ELS4_3ELNS0_20block_scan_algorithmE0ELj4294967295EEENS1_25partition_config_selectorILNS1_17partition_subalgoE3EjNS0_10empty_typeEbEEZZNS1_14partition_implILS8_3ELb0ES6_jNS0_17counting_iteratorIjlEEPS9_SE_NS0_5tupleIJPjSE_EEENSF_IJSE_SE_EEES9_SG_JZNS1_25segmented_radix_sort_implINS0_14default_configELb0EPKlPlSM_SN_N2at6native12_GLOBAL__N_18offset_tEEE10hipError_tPvRmT1_PNSt15iterator_traitsISV_E10value_typeET2_T3_PNSW_IS11_E10value_typeET4_jRbjT5_S17_jjP12ihipStream_tbEUljE_EEESS_ST_SU_S11_S15_S17_T6_T7_T9_mT8_S19_bDpT10_ENKUlT_T0_E_clISt17integral_constantIbLb1EES1M_EEDaS1H_S1I_EUlS1H_E_NS1_11comp_targetILNS1_3genE2ELNS1_11target_archE906ELNS1_3gpuE6ELNS1_3repE0EEENS1_30default_config_static_selectorELNS0_4arch9wavefront6targetE0EEEvSV_ ; -- Begin function _ZN7rocprim17ROCPRIM_400000_NS6detail17trampoline_kernelINS0_13select_configILj256ELj13ELNS0_17block_load_methodE3ELS4_3ELS4_3ELNS0_20block_scan_algorithmE0ELj4294967295EEENS1_25partition_config_selectorILNS1_17partition_subalgoE3EjNS0_10empty_typeEbEEZZNS1_14partition_implILS8_3ELb0ES6_jNS0_17counting_iteratorIjlEEPS9_SE_NS0_5tupleIJPjSE_EEENSF_IJSE_SE_EEES9_SG_JZNS1_25segmented_radix_sort_implINS0_14default_configELb0EPKlPlSM_SN_N2at6native12_GLOBAL__N_18offset_tEEE10hipError_tPvRmT1_PNSt15iterator_traitsISV_E10value_typeET2_T3_PNSW_IS11_E10value_typeET4_jRbjT5_S17_jjP12ihipStream_tbEUljE_EEESS_ST_SU_S11_S15_S17_T6_T7_T9_mT8_S19_bDpT10_ENKUlT_T0_E_clISt17integral_constantIbLb1EES1M_EEDaS1H_S1I_EUlS1H_E_NS1_11comp_targetILNS1_3genE2ELNS1_11target_archE906ELNS1_3gpuE6ELNS1_3repE0EEENS1_30default_config_static_selectorELNS0_4arch9wavefront6targetE0EEEvSV_
	.p2align	8
	.type	_ZN7rocprim17ROCPRIM_400000_NS6detail17trampoline_kernelINS0_13select_configILj256ELj13ELNS0_17block_load_methodE3ELS4_3ELS4_3ELNS0_20block_scan_algorithmE0ELj4294967295EEENS1_25partition_config_selectorILNS1_17partition_subalgoE3EjNS0_10empty_typeEbEEZZNS1_14partition_implILS8_3ELb0ES6_jNS0_17counting_iteratorIjlEEPS9_SE_NS0_5tupleIJPjSE_EEENSF_IJSE_SE_EEES9_SG_JZNS1_25segmented_radix_sort_implINS0_14default_configELb0EPKlPlSM_SN_N2at6native12_GLOBAL__N_18offset_tEEE10hipError_tPvRmT1_PNSt15iterator_traitsISV_E10value_typeET2_T3_PNSW_IS11_E10value_typeET4_jRbjT5_S17_jjP12ihipStream_tbEUljE_EEESS_ST_SU_S11_S15_S17_T6_T7_T9_mT8_S19_bDpT10_ENKUlT_T0_E_clISt17integral_constantIbLb1EES1M_EEDaS1H_S1I_EUlS1H_E_NS1_11comp_targetILNS1_3genE2ELNS1_11target_archE906ELNS1_3gpuE6ELNS1_3repE0EEENS1_30default_config_static_selectorELNS0_4arch9wavefront6targetE0EEEvSV_,@function
_ZN7rocprim17ROCPRIM_400000_NS6detail17trampoline_kernelINS0_13select_configILj256ELj13ELNS0_17block_load_methodE3ELS4_3ELS4_3ELNS0_20block_scan_algorithmE0ELj4294967295EEENS1_25partition_config_selectorILNS1_17partition_subalgoE3EjNS0_10empty_typeEbEEZZNS1_14partition_implILS8_3ELb0ES6_jNS0_17counting_iteratorIjlEEPS9_SE_NS0_5tupleIJPjSE_EEENSF_IJSE_SE_EEES9_SG_JZNS1_25segmented_radix_sort_implINS0_14default_configELb0EPKlPlSM_SN_N2at6native12_GLOBAL__N_18offset_tEEE10hipError_tPvRmT1_PNSt15iterator_traitsISV_E10value_typeET2_T3_PNSW_IS11_E10value_typeET4_jRbjT5_S17_jjP12ihipStream_tbEUljE_EEESS_ST_SU_S11_S15_S17_T6_T7_T9_mT8_S19_bDpT10_ENKUlT_T0_E_clISt17integral_constantIbLb1EES1M_EEDaS1H_S1I_EUlS1H_E_NS1_11comp_targetILNS1_3genE2ELNS1_11target_archE906ELNS1_3gpuE6ELNS1_3repE0EEENS1_30default_config_static_selectorELNS0_4arch9wavefront6targetE0EEEvSV_: ; @_ZN7rocprim17ROCPRIM_400000_NS6detail17trampoline_kernelINS0_13select_configILj256ELj13ELNS0_17block_load_methodE3ELS4_3ELS4_3ELNS0_20block_scan_algorithmE0ELj4294967295EEENS1_25partition_config_selectorILNS1_17partition_subalgoE3EjNS0_10empty_typeEbEEZZNS1_14partition_implILS8_3ELb0ES6_jNS0_17counting_iteratorIjlEEPS9_SE_NS0_5tupleIJPjSE_EEENSF_IJSE_SE_EEES9_SG_JZNS1_25segmented_radix_sort_implINS0_14default_configELb0EPKlPlSM_SN_N2at6native12_GLOBAL__N_18offset_tEEE10hipError_tPvRmT1_PNSt15iterator_traitsISV_E10value_typeET2_T3_PNSW_IS11_E10value_typeET4_jRbjT5_S17_jjP12ihipStream_tbEUljE_EEESS_ST_SU_S11_S15_S17_T6_T7_T9_mT8_S19_bDpT10_ENKUlT_T0_E_clISt17integral_constantIbLb1EES1M_EEDaS1H_S1I_EUlS1H_E_NS1_11comp_targetILNS1_3genE2ELNS1_11target_archE906ELNS1_3gpuE6ELNS1_3repE0EEENS1_30default_config_static_selectorELNS0_4arch9wavefront6targetE0EEEvSV_
; %bb.0:
	.section	.rodata,"a",@progbits
	.p2align	6, 0x0
	.amdhsa_kernel _ZN7rocprim17ROCPRIM_400000_NS6detail17trampoline_kernelINS0_13select_configILj256ELj13ELNS0_17block_load_methodE3ELS4_3ELS4_3ELNS0_20block_scan_algorithmE0ELj4294967295EEENS1_25partition_config_selectorILNS1_17partition_subalgoE3EjNS0_10empty_typeEbEEZZNS1_14partition_implILS8_3ELb0ES6_jNS0_17counting_iteratorIjlEEPS9_SE_NS0_5tupleIJPjSE_EEENSF_IJSE_SE_EEES9_SG_JZNS1_25segmented_radix_sort_implINS0_14default_configELb0EPKlPlSM_SN_N2at6native12_GLOBAL__N_18offset_tEEE10hipError_tPvRmT1_PNSt15iterator_traitsISV_E10value_typeET2_T3_PNSW_IS11_E10value_typeET4_jRbjT5_S17_jjP12ihipStream_tbEUljE_EEESS_ST_SU_S11_S15_S17_T6_T7_T9_mT8_S19_bDpT10_ENKUlT_T0_E_clISt17integral_constantIbLb1EES1M_EEDaS1H_S1I_EUlS1H_E_NS1_11comp_targetILNS1_3genE2ELNS1_11target_archE906ELNS1_3gpuE6ELNS1_3repE0EEENS1_30default_config_static_selectorELNS0_4arch9wavefront6targetE0EEEvSV_
		.amdhsa_group_segment_fixed_size 0
		.amdhsa_private_segment_fixed_size 0
		.amdhsa_kernarg_size 152
		.amdhsa_user_sgpr_count 2
		.amdhsa_user_sgpr_dispatch_ptr 0
		.amdhsa_user_sgpr_queue_ptr 0
		.amdhsa_user_sgpr_kernarg_segment_ptr 1
		.amdhsa_user_sgpr_dispatch_id 0
		.amdhsa_user_sgpr_private_segment_size 0
		.amdhsa_wavefront_size32 1
		.amdhsa_uses_dynamic_stack 0
		.amdhsa_enable_private_segment 0
		.amdhsa_system_sgpr_workgroup_id_x 1
		.amdhsa_system_sgpr_workgroup_id_y 0
		.amdhsa_system_sgpr_workgroup_id_z 0
		.amdhsa_system_sgpr_workgroup_info 0
		.amdhsa_system_vgpr_workitem_id 0
		.amdhsa_next_free_vgpr 1
		.amdhsa_next_free_sgpr 1
		.amdhsa_reserve_vcc 0
		.amdhsa_float_round_mode_32 0
		.amdhsa_float_round_mode_16_64 0
		.amdhsa_float_denorm_mode_32 3
		.amdhsa_float_denorm_mode_16_64 3
		.amdhsa_fp16_overflow 0
		.amdhsa_workgroup_processor_mode 1
		.amdhsa_memory_ordered 1
		.amdhsa_forward_progress 1
		.amdhsa_inst_pref_size 0
		.amdhsa_round_robin_scheduling 0
		.amdhsa_exception_fp_ieee_invalid_op 0
		.amdhsa_exception_fp_denorm_src 0
		.amdhsa_exception_fp_ieee_div_zero 0
		.amdhsa_exception_fp_ieee_overflow 0
		.amdhsa_exception_fp_ieee_underflow 0
		.amdhsa_exception_fp_ieee_inexact 0
		.amdhsa_exception_int_div_zero 0
	.end_amdhsa_kernel
	.section	.text._ZN7rocprim17ROCPRIM_400000_NS6detail17trampoline_kernelINS0_13select_configILj256ELj13ELNS0_17block_load_methodE3ELS4_3ELS4_3ELNS0_20block_scan_algorithmE0ELj4294967295EEENS1_25partition_config_selectorILNS1_17partition_subalgoE3EjNS0_10empty_typeEbEEZZNS1_14partition_implILS8_3ELb0ES6_jNS0_17counting_iteratorIjlEEPS9_SE_NS0_5tupleIJPjSE_EEENSF_IJSE_SE_EEES9_SG_JZNS1_25segmented_radix_sort_implINS0_14default_configELb0EPKlPlSM_SN_N2at6native12_GLOBAL__N_18offset_tEEE10hipError_tPvRmT1_PNSt15iterator_traitsISV_E10value_typeET2_T3_PNSW_IS11_E10value_typeET4_jRbjT5_S17_jjP12ihipStream_tbEUljE_EEESS_ST_SU_S11_S15_S17_T6_T7_T9_mT8_S19_bDpT10_ENKUlT_T0_E_clISt17integral_constantIbLb1EES1M_EEDaS1H_S1I_EUlS1H_E_NS1_11comp_targetILNS1_3genE2ELNS1_11target_archE906ELNS1_3gpuE6ELNS1_3repE0EEENS1_30default_config_static_selectorELNS0_4arch9wavefront6targetE0EEEvSV_,"axG",@progbits,_ZN7rocprim17ROCPRIM_400000_NS6detail17trampoline_kernelINS0_13select_configILj256ELj13ELNS0_17block_load_methodE3ELS4_3ELS4_3ELNS0_20block_scan_algorithmE0ELj4294967295EEENS1_25partition_config_selectorILNS1_17partition_subalgoE3EjNS0_10empty_typeEbEEZZNS1_14partition_implILS8_3ELb0ES6_jNS0_17counting_iteratorIjlEEPS9_SE_NS0_5tupleIJPjSE_EEENSF_IJSE_SE_EEES9_SG_JZNS1_25segmented_radix_sort_implINS0_14default_configELb0EPKlPlSM_SN_N2at6native12_GLOBAL__N_18offset_tEEE10hipError_tPvRmT1_PNSt15iterator_traitsISV_E10value_typeET2_T3_PNSW_IS11_E10value_typeET4_jRbjT5_S17_jjP12ihipStream_tbEUljE_EEESS_ST_SU_S11_S15_S17_T6_T7_T9_mT8_S19_bDpT10_ENKUlT_T0_E_clISt17integral_constantIbLb1EES1M_EEDaS1H_S1I_EUlS1H_E_NS1_11comp_targetILNS1_3genE2ELNS1_11target_archE906ELNS1_3gpuE6ELNS1_3repE0EEENS1_30default_config_static_selectorELNS0_4arch9wavefront6targetE0EEEvSV_,comdat
.Lfunc_end787:
	.size	_ZN7rocprim17ROCPRIM_400000_NS6detail17trampoline_kernelINS0_13select_configILj256ELj13ELNS0_17block_load_methodE3ELS4_3ELS4_3ELNS0_20block_scan_algorithmE0ELj4294967295EEENS1_25partition_config_selectorILNS1_17partition_subalgoE3EjNS0_10empty_typeEbEEZZNS1_14partition_implILS8_3ELb0ES6_jNS0_17counting_iteratorIjlEEPS9_SE_NS0_5tupleIJPjSE_EEENSF_IJSE_SE_EEES9_SG_JZNS1_25segmented_radix_sort_implINS0_14default_configELb0EPKlPlSM_SN_N2at6native12_GLOBAL__N_18offset_tEEE10hipError_tPvRmT1_PNSt15iterator_traitsISV_E10value_typeET2_T3_PNSW_IS11_E10value_typeET4_jRbjT5_S17_jjP12ihipStream_tbEUljE_EEESS_ST_SU_S11_S15_S17_T6_T7_T9_mT8_S19_bDpT10_ENKUlT_T0_E_clISt17integral_constantIbLb1EES1M_EEDaS1H_S1I_EUlS1H_E_NS1_11comp_targetILNS1_3genE2ELNS1_11target_archE906ELNS1_3gpuE6ELNS1_3repE0EEENS1_30default_config_static_selectorELNS0_4arch9wavefront6targetE0EEEvSV_, .Lfunc_end787-_ZN7rocprim17ROCPRIM_400000_NS6detail17trampoline_kernelINS0_13select_configILj256ELj13ELNS0_17block_load_methodE3ELS4_3ELS4_3ELNS0_20block_scan_algorithmE0ELj4294967295EEENS1_25partition_config_selectorILNS1_17partition_subalgoE3EjNS0_10empty_typeEbEEZZNS1_14partition_implILS8_3ELb0ES6_jNS0_17counting_iteratorIjlEEPS9_SE_NS0_5tupleIJPjSE_EEENSF_IJSE_SE_EEES9_SG_JZNS1_25segmented_radix_sort_implINS0_14default_configELb0EPKlPlSM_SN_N2at6native12_GLOBAL__N_18offset_tEEE10hipError_tPvRmT1_PNSt15iterator_traitsISV_E10value_typeET2_T3_PNSW_IS11_E10value_typeET4_jRbjT5_S17_jjP12ihipStream_tbEUljE_EEESS_ST_SU_S11_S15_S17_T6_T7_T9_mT8_S19_bDpT10_ENKUlT_T0_E_clISt17integral_constantIbLb1EES1M_EEDaS1H_S1I_EUlS1H_E_NS1_11comp_targetILNS1_3genE2ELNS1_11target_archE906ELNS1_3gpuE6ELNS1_3repE0EEENS1_30default_config_static_selectorELNS0_4arch9wavefront6targetE0EEEvSV_
                                        ; -- End function
	.set _ZN7rocprim17ROCPRIM_400000_NS6detail17trampoline_kernelINS0_13select_configILj256ELj13ELNS0_17block_load_methodE3ELS4_3ELS4_3ELNS0_20block_scan_algorithmE0ELj4294967295EEENS1_25partition_config_selectorILNS1_17partition_subalgoE3EjNS0_10empty_typeEbEEZZNS1_14partition_implILS8_3ELb0ES6_jNS0_17counting_iteratorIjlEEPS9_SE_NS0_5tupleIJPjSE_EEENSF_IJSE_SE_EEES9_SG_JZNS1_25segmented_radix_sort_implINS0_14default_configELb0EPKlPlSM_SN_N2at6native12_GLOBAL__N_18offset_tEEE10hipError_tPvRmT1_PNSt15iterator_traitsISV_E10value_typeET2_T3_PNSW_IS11_E10value_typeET4_jRbjT5_S17_jjP12ihipStream_tbEUljE_EEESS_ST_SU_S11_S15_S17_T6_T7_T9_mT8_S19_bDpT10_ENKUlT_T0_E_clISt17integral_constantIbLb1EES1M_EEDaS1H_S1I_EUlS1H_E_NS1_11comp_targetILNS1_3genE2ELNS1_11target_archE906ELNS1_3gpuE6ELNS1_3repE0EEENS1_30default_config_static_selectorELNS0_4arch9wavefront6targetE0EEEvSV_.num_vgpr, 0
	.set _ZN7rocprim17ROCPRIM_400000_NS6detail17trampoline_kernelINS0_13select_configILj256ELj13ELNS0_17block_load_methodE3ELS4_3ELS4_3ELNS0_20block_scan_algorithmE0ELj4294967295EEENS1_25partition_config_selectorILNS1_17partition_subalgoE3EjNS0_10empty_typeEbEEZZNS1_14partition_implILS8_3ELb0ES6_jNS0_17counting_iteratorIjlEEPS9_SE_NS0_5tupleIJPjSE_EEENSF_IJSE_SE_EEES9_SG_JZNS1_25segmented_radix_sort_implINS0_14default_configELb0EPKlPlSM_SN_N2at6native12_GLOBAL__N_18offset_tEEE10hipError_tPvRmT1_PNSt15iterator_traitsISV_E10value_typeET2_T3_PNSW_IS11_E10value_typeET4_jRbjT5_S17_jjP12ihipStream_tbEUljE_EEESS_ST_SU_S11_S15_S17_T6_T7_T9_mT8_S19_bDpT10_ENKUlT_T0_E_clISt17integral_constantIbLb1EES1M_EEDaS1H_S1I_EUlS1H_E_NS1_11comp_targetILNS1_3genE2ELNS1_11target_archE906ELNS1_3gpuE6ELNS1_3repE0EEENS1_30default_config_static_selectorELNS0_4arch9wavefront6targetE0EEEvSV_.num_agpr, 0
	.set _ZN7rocprim17ROCPRIM_400000_NS6detail17trampoline_kernelINS0_13select_configILj256ELj13ELNS0_17block_load_methodE3ELS4_3ELS4_3ELNS0_20block_scan_algorithmE0ELj4294967295EEENS1_25partition_config_selectorILNS1_17partition_subalgoE3EjNS0_10empty_typeEbEEZZNS1_14partition_implILS8_3ELb0ES6_jNS0_17counting_iteratorIjlEEPS9_SE_NS0_5tupleIJPjSE_EEENSF_IJSE_SE_EEES9_SG_JZNS1_25segmented_radix_sort_implINS0_14default_configELb0EPKlPlSM_SN_N2at6native12_GLOBAL__N_18offset_tEEE10hipError_tPvRmT1_PNSt15iterator_traitsISV_E10value_typeET2_T3_PNSW_IS11_E10value_typeET4_jRbjT5_S17_jjP12ihipStream_tbEUljE_EEESS_ST_SU_S11_S15_S17_T6_T7_T9_mT8_S19_bDpT10_ENKUlT_T0_E_clISt17integral_constantIbLb1EES1M_EEDaS1H_S1I_EUlS1H_E_NS1_11comp_targetILNS1_3genE2ELNS1_11target_archE906ELNS1_3gpuE6ELNS1_3repE0EEENS1_30default_config_static_selectorELNS0_4arch9wavefront6targetE0EEEvSV_.numbered_sgpr, 0
	.set _ZN7rocprim17ROCPRIM_400000_NS6detail17trampoline_kernelINS0_13select_configILj256ELj13ELNS0_17block_load_methodE3ELS4_3ELS4_3ELNS0_20block_scan_algorithmE0ELj4294967295EEENS1_25partition_config_selectorILNS1_17partition_subalgoE3EjNS0_10empty_typeEbEEZZNS1_14partition_implILS8_3ELb0ES6_jNS0_17counting_iteratorIjlEEPS9_SE_NS0_5tupleIJPjSE_EEENSF_IJSE_SE_EEES9_SG_JZNS1_25segmented_radix_sort_implINS0_14default_configELb0EPKlPlSM_SN_N2at6native12_GLOBAL__N_18offset_tEEE10hipError_tPvRmT1_PNSt15iterator_traitsISV_E10value_typeET2_T3_PNSW_IS11_E10value_typeET4_jRbjT5_S17_jjP12ihipStream_tbEUljE_EEESS_ST_SU_S11_S15_S17_T6_T7_T9_mT8_S19_bDpT10_ENKUlT_T0_E_clISt17integral_constantIbLb1EES1M_EEDaS1H_S1I_EUlS1H_E_NS1_11comp_targetILNS1_3genE2ELNS1_11target_archE906ELNS1_3gpuE6ELNS1_3repE0EEENS1_30default_config_static_selectorELNS0_4arch9wavefront6targetE0EEEvSV_.num_named_barrier, 0
	.set _ZN7rocprim17ROCPRIM_400000_NS6detail17trampoline_kernelINS0_13select_configILj256ELj13ELNS0_17block_load_methodE3ELS4_3ELS4_3ELNS0_20block_scan_algorithmE0ELj4294967295EEENS1_25partition_config_selectorILNS1_17partition_subalgoE3EjNS0_10empty_typeEbEEZZNS1_14partition_implILS8_3ELb0ES6_jNS0_17counting_iteratorIjlEEPS9_SE_NS0_5tupleIJPjSE_EEENSF_IJSE_SE_EEES9_SG_JZNS1_25segmented_radix_sort_implINS0_14default_configELb0EPKlPlSM_SN_N2at6native12_GLOBAL__N_18offset_tEEE10hipError_tPvRmT1_PNSt15iterator_traitsISV_E10value_typeET2_T3_PNSW_IS11_E10value_typeET4_jRbjT5_S17_jjP12ihipStream_tbEUljE_EEESS_ST_SU_S11_S15_S17_T6_T7_T9_mT8_S19_bDpT10_ENKUlT_T0_E_clISt17integral_constantIbLb1EES1M_EEDaS1H_S1I_EUlS1H_E_NS1_11comp_targetILNS1_3genE2ELNS1_11target_archE906ELNS1_3gpuE6ELNS1_3repE0EEENS1_30default_config_static_selectorELNS0_4arch9wavefront6targetE0EEEvSV_.private_seg_size, 0
	.set _ZN7rocprim17ROCPRIM_400000_NS6detail17trampoline_kernelINS0_13select_configILj256ELj13ELNS0_17block_load_methodE3ELS4_3ELS4_3ELNS0_20block_scan_algorithmE0ELj4294967295EEENS1_25partition_config_selectorILNS1_17partition_subalgoE3EjNS0_10empty_typeEbEEZZNS1_14partition_implILS8_3ELb0ES6_jNS0_17counting_iteratorIjlEEPS9_SE_NS0_5tupleIJPjSE_EEENSF_IJSE_SE_EEES9_SG_JZNS1_25segmented_radix_sort_implINS0_14default_configELb0EPKlPlSM_SN_N2at6native12_GLOBAL__N_18offset_tEEE10hipError_tPvRmT1_PNSt15iterator_traitsISV_E10value_typeET2_T3_PNSW_IS11_E10value_typeET4_jRbjT5_S17_jjP12ihipStream_tbEUljE_EEESS_ST_SU_S11_S15_S17_T6_T7_T9_mT8_S19_bDpT10_ENKUlT_T0_E_clISt17integral_constantIbLb1EES1M_EEDaS1H_S1I_EUlS1H_E_NS1_11comp_targetILNS1_3genE2ELNS1_11target_archE906ELNS1_3gpuE6ELNS1_3repE0EEENS1_30default_config_static_selectorELNS0_4arch9wavefront6targetE0EEEvSV_.uses_vcc, 0
	.set _ZN7rocprim17ROCPRIM_400000_NS6detail17trampoline_kernelINS0_13select_configILj256ELj13ELNS0_17block_load_methodE3ELS4_3ELS4_3ELNS0_20block_scan_algorithmE0ELj4294967295EEENS1_25partition_config_selectorILNS1_17partition_subalgoE3EjNS0_10empty_typeEbEEZZNS1_14partition_implILS8_3ELb0ES6_jNS0_17counting_iteratorIjlEEPS9_SE_NS0_5tupleIJPjSE_EEENSF_IJSE_SE_EEES9_SG_JZNS1_25segmented_radix_sort_implINS0_14default_configELb0EPKlPlSM_SN_N2at6native12_GLOBAL__N_18offset_tEEE10hipError_tPvRmT1_PNSt15iterator_traitsISV_E10value_typeET2_T3_PNSW_IS11_E10value_typeET4_jRbjT5_S17_jjP12ihipStream_tbEUljE_EEESS_ST_SU_S11_S15_S17_T6_T7_T9_mT8_S19_bDpT10_ENKUlT_T0_E_clISt17integral_constantIbLb1EES1M_EEDaS1H_S1I_EUlS1H_E_NS1_11comp_targetILNS1_3genE2ELNS1_11target_archE906ELNS1_3gpuE6ELNS1_3repE0EEENS1_30default_config_static_selectorELNS0_4arch9wavefront6targetE0EEEvSV_.uses_flat_scratch, 0
	.set _ZN7rocprim17ROCPRIM_400000_NS6detail17trampoline_kernelINS0_13select_configILj256ELj13ELNS0_17block_load_methodE3ELS4_3ELS4_3ELNS0_20block_scan_algorithmE0ELj4294967295EEENS1_25partition_config_selectorILNS1_17partition_subalgoE3EjNS0_10empty_typeEbEEZZNS1_14partition_implILS8_3ELb0ES6_jNS0_17counting_iteratorIjlEEPS9_SE_NS0_5tupleIJPjSE_EEENSF_IJSE_SE_EEES9_SG_JZNS1_25segmented_radix_sort_implINS0_14default_configELb0EPKlPlSM_SN_N2at6native12_GLOBAL__N_18offset_tEEE10hipError_tPvRmT1_PNSt15iterator_traitsISV_E10value_typeET2_T3_PNSW_IS11_E10value_typeET4_jRbjT5_S17_jjP12ihipStream_tbEUljE_EEESS_ST_SU_S11_S15_S17_T6_T7_T9_mT8_S19_bDpT10_ENKUlT_T0_E_clISt17integral_constantIbLb1EES1M_EEDaS1H_S1I_EUlS1H_E_NS1_11comp_targetILNS1_3genE2ELNS1_11target_archE906ELNS1_3gpuE6ELNS1_3repE0EEENS1_30default_config_static_selectorELNS0_4arch9wavefront6targetE0EEEvSV_.has_dyn_sized_stack, 0
	.set _ZN7rocprim17ROCPRIM_400000_NS6detail17trampoline_kernelINS0_13select_configILj256ELj13ELNS0_17block_load_methodE3ELS4_3ELS4_3ELNS0_20block_scan_algorithmE0ELj4294967295EEENS1_25partition_config_selectorILNS1_17partition_subalgoE3EjNS0_10empty_typeEbEEZZNS1_14partition_implILS8_3ELb0ES6_jNS0_17counting_iteratorIjlEEPS9_SE_NS0_5tupleIJPjSE_EEENSF_IJSE_SE_EEES9_SG_JZNS1_25segmented_radix_sort_implINS0_14default_configELb0EPKlPlSM_SN_N2at6native12_GLOBAL__N_18offset_tEEE10hipError_tPvRmT1_PNSt15iterator_traitsISV_E10value_typeET2_T3_PNSW_IS11_E10value_typeET4_jRbjT5_S17_jjP12ihipStream_tbEUljE_EEESS_ST_SU_S11_S15_S17_T6_T7_T9_mT8_S19_bDpT10_ENKUlT_T0_E_clISt17integral_constantIbLb1EES1M_EEDaS1H_S1I_EUlS1H_E_NS1_11comp_targetILNS1_3genE2ELNS1_11target_archE906ELNS1_3gpuE6ELNS1_3repE0EEENS1_30default_config_static_selectorELNS0_4arch9wavefront6targetE0EEEvSV_.has_recursion, 0
	.set _ZN7rocprim17ROCPRIM_400000_NS6detail17trampoline_kernelINS0_13select_configILj256ELj13ELNS0_17block_load_methodE3ELS4_3ELS4_3ELNS0_20block_scan_algorithmE0ELj4294967295EEENS1_25partition_config_selectorILNS1_17partition_subalgoE3EjNS0_10empty_typeEbEEZZNS1_14partition_implILS8_3ELb0ES6_jNS0_17counting_iteratorIjlEEPS9_SE_NS0_5tupleIJPjSE_EEENSF_IJSE_SE_EEES9_SG_JZNS1_25segmented_radix_sort_implINS0_14default_configELb0EPKlPlSM_SN_N2at6native12_GLOBAL__N_18offset_tEEE10hipError_tPvRmT1_PNSt15iterator_traitsISV_E10value_typeET2_T3_PNSW_IS11_E10value_typeET4_jRbjT5_S17_jjP12ihipStream_tbEUljE_EEESS_ST_SU_S11_S15_S17_T6_T7_T9_mT8_S19_bDpT10_ENKUlT_T0_E_clISt17integral_constantIbLb1EES1M_EEDaS1H_S1I_EUlS1H_E_NS1_11comp_targetILNS1_3genE2ELNS1_11target_archE906ELNS1_3gpuE6ELNS1_3repE0EEENS1_30default_config_static_selectorELNS0_4arch9wavefront6targetE0EEEvSV_.has_indirect_call, 0
	.section	.AMDGPU.csdata,"",@progbits
; Kernel info:
; codeLenInByte = 0
; TotalNumSgprs: 0
; NumVgprs: 0
; ScratchSize: 0
; MemoryBound: 0
; FloatMode: 240
; IeeeMode: 1
; LDSByteSize: 0 bytes/workgroup (compile time only)
; SGPRBlocks: 0
; VGPRBlocks: 0
; NumSGPRsForWavesPerEU: 1
; NumVGPRsForWavesPerEU: 1
; Occupancy: 16
; WaveLimiterHint : 0
; COMPUTE_PGM_RSRC2:SCRATCH_EN: 0
; COMPUTE_PGM_RSRC2:USER_SGPR: 2
; COMPUTE_PGM_RSRC2:TRAP_HANDLER: 0
; COMPUTE_PGM_RSRC2:TGID_X_EN: 1
; COMPUTE_PGM_RSRC2:TGID_Y_EN: 0
; COMPUTE_PGM_RSRC2:TGID_Z_EN: 0
; COMPUTE_PGM_RSRC2:TIDIG_COMP_CNT: 0
	.section	.text._ZN7rocprim17ROCPRIM_400000_NS6detail17trampoline_kernelINS0_13select_configILj256ELj13ELNS0_17block_load_methodE3ELS4_3ELS4_3ELNS0_20block_scan_algorithmE0ELj4294967295EEENS1_25partition_config_selectorILNS1_17partition_subalgoE3EjNS0_10empty_typeEbEEZZNS1_14partition_implILS8_3ELb0ES6_jNS0_17counting_iteratorIjlEEPS9_SE_NS0_5tupleIJPjSE_EEENSF_IJSE_SE_EEES9_SG_JZNS1_25segmented_radix_sort_implINS0_14default_configELb0EPKlPlSM_SN_N2at6native12_GLOBAL__N_18offset_tEEE10hipError_tPvRmT1_PNSt15iterator_traitsISV_E10value_typeET2_T3_PNSW_IS11_E10value_typeET4_jRbjT5_S17_jjP12ihipStream_tbEUljE_EEESS_ST_SU_S11_S15_S17_T6_T7_T9_mT8_S19_bDpT10_ENKUlT_T0_E_clISt17integral_constantIbLb1EES1M_EEDaS1H_S1I_EUlS1H_E_NS1_11comp_targetILNS1_3genE10ELNS1_11target_archE1200ELNS1_3gpuE4ELNS1_3repE0EEENS1_30default_config_static_selectorELNS0_4arch9wavefront6targetE0EEEvSV_,"axG",@progbits,_ZN7rocprim17ROCPRIM_400000_NS6detail17trampoline_kernelINS0_13select_configILj256ELj13ELNS0_17block_load_methodE3ELS4_3ELS4_3ELNS0_20block_scan_algorithmE0ELj4294967295EEENS1_25partition_config_selectorILNS1_17partition_subalgoE3EjNS0_10empty_typeEbEEZZNS1_14partition_implILS8_3ELb0ES6_jNS0_17counting_iteratorIjlEEPS9_SE_NS0_5tupleIJPjSE_EEENSF_IJSE_SE_EEES9_SG_JZNS1_25segmented_radix_sort_implINS0_14default_configELb0EPKlPlSM_SN_N2at6native12_GLOBAL__N_18offset_tEEE10hipError_tPvRmT1_PNSt15iterator_traitsISV_E10value_typeET2_T3_PNSW_IS11_E10value_typeET4_jRbjT5_S17_jjP12ihipStream_tbEUljE_EEESS_ST_SU_S11_S15_S17_T6_T7_T9_mT8_S19_bDpT10_ENKUlT_T0_E_clISt17integral_constantIbLb1EES1M_EEDaS1H_S1I_EUlS1H_E_NS1_11comp_targetILNS1_3genE10ELNS1_11target_archE1200ELNS1_3gpuE4ELNS1_3repE0EEENS1_30default_config_static_selectorELNS0_4arch9wavefront6targetE0EEEvSV_,comdat
	.globl	_ZN7rocprim17ROCPRIM_400000_NS6detail17trampoline_kernelINS0_13select_configILj256ELj13ELNS0_17block_load_methodE3ELS4_3ELS4_3ELNS0_20block_scan_algorithmE0ELj4294967295EEENS1_25partition_config_selectorILNS1_17partition_subalgoE3EjNS0_10empty_typeEbEEZZNS1_14partition_implILS8_3ELb0ES6_jNS0_17counting_iteratorIjlEEPS9_SE_NS0_5tupleIJPjSE_EEENSF_IJSE_SE_EEES9_SG_JZNS1_25segmented_radix_sort_implINS0_14default_configELb0EPKlPlSM_SN_N2at6native12_GLOBAL__N_18offset_tEEE10hipError_tPvRmT1_PNSt15iterator_traitsISV_E10value_typeET2_T3_PNSW_IS11_E10value_typeET4_jRbjT5_S17_jjP12ihipStream_tbEUljE_EEESS_ST_SU_S11_S15_S17_T6_T7_T9_mT8_S19_bDpT10_ENKUlT_T0_E_clISt17integral_constantIbLb1EES1M_EEDaS1H_S1I_EUlS1H_E_NS1_11comp_targetILNS1_3genE10ELNS1_11target_archE1200ELNS1_3gpuE4ELNS1_3repE0EEENS1_30default_config_static_selectorELNS0_4arch9wavefront6targetE0EEEvSV_ ; -- Begin function _ZN7rocprim17ROCPRIM_400000_NS6detail17trampoline_kernelINS0_13select_configILj256ELj13ELNS0_17block_load_methodE3ELS4_3ELS4_3ELNS0_20block_scan_algorithmE0ELj4294967295EEENS1_25partition_config_selectorILNS1_17partition_subalgoE3EjNS0_10empty_typeEbEEZZNS1_14partition_implILS8_3ELb0ES6_jNS0_17counting_iteratorIjlEEPS9_SE_NS0_5tupleIJPjSE_EEENSF_IJSE_SE_EEES9_SG_JZNS1_25segmented_radix_sort_implINS0_14default_configELb0EPKlPlSM_SN_N2at6native12_GLOBAL__N_18offset_tEEE10hipError_tPvRmT1_PNSt15iterator_traitsISV_E10value_typeET2_T3_PNSW_IS11_E10value_typeET4_jRbjT5_S17_jjP12ihipStream_tbEUljE_EEESS_ST_SU_S11_S15_S17_T6_T7_T9_mT8_S19_bDpT10_ENKUlT_T0_E_clISt17integral_constantIbLb1EES1M_EEDaS1H_S1I_EUlS1H_E_NS1_11comp_targetILNS1_3genE10ELNS1_11target_archE1200ELNS1_3gpuE4ELNS1_3repE0EEENS1_30default_config_static_selectorELNS0_4arch9wavefront6targetE0EEEvSV_
	.p2align	8
	.type	_ZN7rocprim17ROCPRIM_400000_NS6detail17trampoline_kernelINS0_13select_configILj256ELj13ELNS0_17block_load_methodE3ELS4_3ELS4_3ELNS0_20block_scan_algorithmE0ELj4294967295EEENS1_25partition_config_selectorILNS1_17partition_subalgoE3EjNS0_10empty_typeEbEEZZNS1_14partition_implILS8_3ELb0ES6_jNS0_17counting_iteratorIjlEEPS9_SE_NS0_5tupleIJPjSE_EEENSF_IJSE_SE_EEES9_SG_JZNS1_25segmented_radix_sort_implINS0_14default_configELb0EPKlPlSM_SN_N2at6native12_GLOBAL__N_18offset_tEEE10hipError_tPvRmT1_PNSt15iterator_traitsISV_E10value_typeET2_T3_PNSW_IS11_E10value_typeET4_jRbjT5_S17_jjP12ihipStream_tbEUljE_EEESS_ST_SU_S11_S15_S17_T6_T7_T9_mT8_S19_bDpT10_ENKUlT_T0_E_clISt17integral_constantIbLb1EES1M_EEDaS1H_S1I_EUlS1H_E_NS1_11comp_targetILNS1_3genE10ELNS1_11target_archE1200ELNS1_3gpuE4ELNS1_3repE0EEENS1_30default_config_static_selectorELNS0_4arch9wavefront6targetE0EEEvSV_,@function
_ZN7rocprim17ROCPRIM_400000_NS6detail17trampoline_kernelINS0_13select_configILj256ELj13ELNS0_17block_load_methodE3ELS4_3ELS4_3ELNS0_20block_scan_algorithmE0ELj4294967295EEENS1_25partition_config_selectorILNS1_17partition_subalgoE3EjNS0_10empty_typeEbEEZZNS1_14partition_implILS8_3ELb0ES6_jNS0_17counting_iteratorIjlEEPS9_SE_NS0_5tupleIJPjSE_EEENSF_IJSE_SE_EEES9_SG_JZNS1_25segmented_radix_sort_implINS0_14default_configELb0EPKlPlSM_SN_N2at6native12_GLOBAL__N_18offset_tEEE10hipError_tPvRmT1_PNSt15iterator_traitsISV_E10value_typeET2_T3_PNSW_IS11_E10value_typeET4_jRbjT5_S17_jjP12ihipStream_tbEUljE_EEESS_ST_SU_S11_S15_S17_T6_T7_T9_mT8_S19_bDpT10_ENKUlT_T0_E_clISt17integral_constantIbLb1EES1M_EEDaS1H_S1I_EUlS1H_E_NS1_11comp_targetILNS1_3genE10ELNS1_11target_archE1200ELNS1_3gpuE4ELNS1_3repE0EEENS1_30default_config_static_selectorELNS0_4arch9wavefront6targetE0EEEvSV_: ; @_ZN7rocprim17ROCPRIM_400000_NS6detail17trampoline_kernelINS0_13select_configILj256ELj13ELNS0_17block_load_methodE3ELS4_3ELS4_3ELNS0_20block_scan_algorithmE0ELj4294967295EEENS1_25partition_config_selectorILNS1_17partition_subalgoE3EjNS0_10empty_typeEbEEZZNS1_14partition_implILS8_3ELb0ES6_jNS0_17counting_iteratorIjlEEPS9_SE_NS0_5tupleIJPjSE_EEENSF_IJSE_SE_EEES9_SG_JZNS1_25segmented_radix_sort_implINS0_14default_configELb0EPKlPlSM_SN_N2at6native12_GLOBAL__N_18offset_tEEE10hipError_tPvRmT1_PNSt15iterator_traitsISV_E10value_typeET2_T3_PNSW_IS11_E10value_typeET4_jRbjT5_S17_jjP12ihipStream_tbEUljE_EEESS_ST_SU_S11_S15_S17_T6_T7_T9_mT8_S19_bDpT10_ENKUlT_T0_E_clISt17integral_constantIbLb1EES1M_EEDaS1H_S1I_EUlS1H_E_NS1_11comp_targetILNS1_3genE10ELNS1_11target_archE1200ELNS1_3gpuE4ELNS1_3repE0EEENS1_30default_config_static_selectorELNS0_4arch9wavefront6targetE0EEEvSV_
; %bb.0:
	s_endpgm
	.section	.rodata,"a",@progbits
	.p2align	6, 0x0
	.amdhsa_kernel _ZN7rocprim17ROCPRIM_400000_NS6detail17trampoline_kernelINS0_13select_configILj256ELj13ELNS0_17block_load_methodE3ELS4_3ELS4_3ELNS0_20block_scan_algorithmE0ELj4294967295EEENS1_25partition_config_selectorILNS1_17partition_subalgoE3EjNS0_10empty_typeEbEEZZNS1_14partition_implILS8_3ELb0ES6_jNS0_17counting_iteratorIjlEEPS9_SE_NS0_5tupleIJPjSE_EEENSF_IJSE_SE_EEES9_SG_JZNS1_25segmented_radix_sort_implINS0_14default_configELb0EPKlPlSM_SN_N2at6native12_GLOBAL__N_18offset_tEEE10hipError_tPvRmT1_PNSt15iterator_traitsISV_E10value_typeET2_T3_PNSW_IS11_E10value_typeET4_jRbjT5_S17_jjP12ihipStream_tbEUljE_EEESS_ST_SU_S11_S15_S17_T6_T7_T9_mT8_S19_bDpT10_ENKUlT_T0_E_clISt17integral_constantIbLb1EES1M_EEDaS1H_S1I_EUlS1H_E_NS1_11comp_targetILNS1_3genE10ELNS1_11target_archE1200ELNS1_3gpuE4ELNS1_3repE0EEENS1_30default_config_static_selectorELNS0_4arch9wavefront6targetE0EEEvSV_
		.amdhsa_group_segment_fixed_size 0
		.amdhsa_private_segment_fixed_size 0
		.amdhsa_kernarg_size 152
		.amdhsa_user_sgpr_count 2
		.amdhsa_user_sgpr_dispatch_ptr 0
		.amdhsa_user_sgpr_queue_ptr 0
		.amdhsa_user_sgpr_kernarg_segment_ptr 1
		.amdhsa_user_sgpr_dispatch_id 0
		.amdhsa_user_sgpr_private_segment_size 0
		.amdhsa_wavefront_size32 1
		.amdhsa_uses_dynamic_stack 0
		.amdhsa_enable_private_segment 0
		.amdhsa_system_sgpr_workgroup_id_x 1
		.amdhsa_system_sgpr_workgroup_id_y 0
		.amdhsa_system_sgpr_workgroup_id_z 0
		.amdhsa_system_sgpr_workgroup_info 0
		.amdhsa_system_vgpr_workitem_id 0
		.amdhsa_next_free_vgpr 1
		.amdhsa_next_free_sgpr 1
		.amdhsa_reserve_vcc 0
		.amdhsa_float_round_mode_32 0
		.amdhsa_float_round_mode_16_64 0
		.amdhsa_float_denorm_mode_32 3
		.amdhsa_float_denorm_mode_16_64 3
		.amdhsa_fp16_overflow 0
		.amdhsa_workgroup_processor_mode 1
		.amdhsa_memory_ordered 1
		.amdhsa_forward_progress 1
		.amdhsa_inst_pref_size 1
		.amdhsa_round_robin_scheduling 0
		.amdhsa_exception_fp_ieee_invalid_op 0
		.amdhsa_exception_fp_denorm_src 0
		.amdhsa_exception_fp_ieee_div_zero 0
		.amdhsa_exception_fp_ieee_overflow 0
		.amdhsa_exception_fp_ieee_underflow 0
		.amdhsa_exception_fp_ieee_inexact 0
		.amdhsa_exception_int_div_zero 0
	.end_amdhsa_kernel
	.section	.text._ZN7rocprim17ROCPRIM_400000_NS6detail17trampoline_kernelINS0_13select_configILj256ELj13ELNS0_17block_load_methodE3ELS4_3ELS4_3ELNS0_20block_scan_algorithmE0ELj4294967295EEENS1_25partition_config_selectorILNS1_17partition_subalgoE3EjNS0_10empty_typeEbEEZZNS1_14partition_implILS8_3ELb0ES6_jNS0_17counting_iteratorIjlEEPS9_SE_NS0_5tupleIJPjSE_EEENSF_IJSE_SE_EEES9_SG_JZNS1_25segmented_radix_sort_implINS0_14default_configELb0EPKlPlSM_SN_N2at6native12_GLOBAL__N_18offset_tEEE10hipError_tPvRmT1_PNSt15iterator_traitsISV_E10value_typeET2_T3_PNSW_IS11_E10value_typeET4_jRbjT5_S17_jjP12ihipStream_tbEUljE_EEESS_ST_SU_S11_S15_S17_T6_T7_T9_mT8_S19_bDpT10_ENKUlT_T0_E_clISt17integral_constantIbLb1EES1M_EEDaS1H_S1I_EUlS1H_E_NS1_11comp_targetILNS1_3genE10ELNS1_11target_archE1200ELNS1_3gpuE4ELNS1_3repE0EEENS1_30default_config_static_selectorELNS0_4arch9wavefront6targetE0EEEvSV_,"axG",@progbits,_ZN7rocprim17ROCPRIM_400000_NS6detail17trampoline_kernelINS0_13select_configILj256ELj13ELNS0_17block_load_methodE3ELS4_3ELS4_3ELNS0_20block_scan_algorithmE0ELj4294967295EEENS1_25partition_config_selectorILNS1_17partition_subalgoE3EjNS0_10empty_typeEbEEZZNS1_14partition_implILS8_3ELb0ES6_jNS0_17counting_iteratorIjlEEPS9_SE_NS0_5tupleIJPjSE_EEENSF_IJSE_SE_EEES9_SG_JZNS1_25segmented_radix_sort_implINS0_14default_configELb0EPKlPlSM_SN_N2at6native12_GLOBAL__N_18offset_tEEE10hipError_tPvRmT1_PNSt15iterator_traitsISV_E10value_typeET2_T3_PNSW_IS11_E10value_typeET4_jRbjT5_S17_jjP12ihipStream_tbEUljE_EEESS_ST_SU_S11_S15_S17_T6_T7_T9_mT8_S19_bDpT10_ENKUlT_T0_E_clISt17integral_constantIbLb1EES1M_EEDaS1H_S1I_EUlS1H_E_NS1_11comp_targetILNS1_3genE10ELNS1_11target_archE1200ELNS1_3gpuE4ELNS1_3repE0EEENS1_30default_config_static_selectorELNS0_4arch9wavefront6targetE0EEEvSV_,comdat
.Lfunc_end788:
	.size	_ZN7rocprim17ROCPRIM_400000_NS6detail17trampoline_kernelINS0_13select_configILj256ELj13ELNS0_17block_load_methodE3ELS4_3ELS4_3ELNS0_20block_scan_algorithmE0ELj4294967295EEENS1_25partition_config_selectorILNS1_17partition_subalgoE3EjNS0_10empty_typeEbEEZZNS1_14partition_implILS8_3ELb0ES6_jNS0_17counting_iteratorIjlEEPS9_SE_NS0_5tupleIJPjSE_EEENSF_IJSE_SE_EEES9_SG_JZNS1_25segmented_radix_sort_implINS0_14default_configELb0EPKlPlSM_SN_N2at6native12_GLOBAL__N_18offset_tEEE10hipError_tPvRmT1_PNSt15iterator_traitsISV_E10value_typeET2_T3_PNSW_IS11_E10value_typeET4_jRbjT5_S17_jjP12ihipStream_tbEUljE_EEESS_ST_SU_S11_S15_S17_T6_T7_T9_mT8_S19_bDpT10_ENKUlT_T0_E_clISt17integral_constantIbLb1EES1M_EEDaS1H_S1I_EUlS1H_E_NS1_11comp_targetILNS1_3genE10ELNS1_11target_archE1200ELNS1_3gpuE4ELNS1_3repE0EEENS1_30default_config_static_selectorELNS0_4arch9wavefront6targetE0EEEvSV_, .Lfunc_end788-_ZN7rocprim17ROCPRIM_400000_NS6detail17trampoline_kernelINS0_13select_configILj256ELj13ELNS0_17block_load_methodE3ELS4_3ELS4_3ELNS0_20block_scan_algorithmE0ELj4294967295EEENS1_25partition_config_selectorILNS1_17partition_subalgoE3EjNS0_10empty_typeEbEEZZNS1_14partition_implILS8_3ELb0ES6_jNS0_17counting_iteratorIjlEEPS9_SE_NS0_5tupleIJPjSE_EEENSF_IJSE_SE_EEES9_SG_JZNS1_25segmented_radix_sort_implINS0_14default_configELb0EPKlPlSM_SN_N2at6native12_GLOBAL__N_18offset_tEEE10hipError_tPvRmT1_PNSt15iterator_traitsISV_E10value_typeET2_T3_PNSW_IS11_E10value_typeET4_jRbjT5_S17_jjP12ihipStream_tbEUljE_EEESS_ST_SU_S11_S15_S17_T6_T7_T9_mT8_S19_bDpT10_ENKUlT_T0_E_clISt17integral_constantIbLb1EES1M_EEDaS1H_S1I_EUlS1H_E_NS1_11comp_targetILNS1_3genE10ELNS1_11target_archE1200ELNS1_3gpuE4ELNS1_3repE0EEENS1_30default_config_static_selectorELNS0_4arch9wavefront6targetE0EEEvSV_
                                        ; -- End function
	.set _ZN7rocprim17ROCPRIM_400000_NS6detail17trampoline_kernelINS0_13select_configILj256ELj13ELNS0_17block_load_methodE3ELS4_3ELS4_3ELNS0_20block_scan_algorithmE0ELj4294967295EEENS1_25partition_config_selectorILNS1_17partition_subalgoE3EjNS0_10empty_typeEbEEZZNS1_14partition_implILS8_3ELb0ES6_jNS0_17counting_iteratorIjlEEPS9_SE_NS0_5tupleIJPjSE_EEENSF_IJSE_SE_EEES9_SG_JZNS1_25segmented_radix_sort_implINS0_14default_configELb0EPKlPlSM_SN_N2at6native12_GLOBAL__N_18offset_tEEE10hipError_tPvRmT1_PNSt15iterator_traitsISV_E10value_typeET2_T3_PNSW_IS11_E10value_typeET4_jRbjT5_S17_jjP12ihipStream_tbEUljE_EEESS_ST_SU_S11_S15_S17_T6_T7_T9_mT8_S19_bDpT10_ENKUlT_T0_E_clISt17integral_constantIbLb1EES1M_EEDaS1H_S1I_EUlS1H_E_NS1_11comp_targetILNS1_3genE10ELNS1_11target_archE1200ELNS1_3gpuE4ELNS1_3repE0EEENS1_30default_config_static_selectorELNS0_4arch9wavefront6targetE0EEEvSV_.num_vgpr, 0
	.set _ZN7rocprim17ROCPRIM_400000_NS6detail17trampoline_kernelINS0_13select_configILj256ELj13ELNS0_17block_load_methodE3ELS4_3ELS4_3ELNS0_20block_scan_algorithmE0ELj4294967295EEENS1_25partition_config_selectorILNS1_17partition_subalgoE3EjNS0_10empty_typeEbEEZZNS1_14partition_implILS8_3ELb0ES6_jNS0_17counting_iteratorIjlEEPS9_SE_NS0_5tupleIJPjSE_EEENSF_IJSE_SE_EEES9_SG_JZNS1_25segmented_radix_sort_implINS0_14default_configELb0EPKlPlSM_SN_N2at6native12_GLOBAL__N_18offset_tEEE10hipError_tPvRmT1_PNSt15iterator_traitsISV_E10value_typeET2_T3_PNSW_IS11_E10value_typeET4_jRbjT5_S17_jjP12ihipStream_tbEUljE_EEESS_ST_SU_S11_S15_S17_T6_T7_T9_mT8_S19_bDpT10_ENKUlT_T0_E_clISt17integral_constantIbLb1EES1M_EEDaS1H_S1I_EUlS1H_E_NS1_11comp_targetILNS1_3genE10ELNS1_11target_archE1200ELNS1_3gpuE4ELNS1_3repE0EEENS1_30default_config_static_selectorELNS0_4arch9wavefront6targetE0EEEvSV_.num_agpr, 0
	.set _ZN7rocprim17ROCPRIM_400000_NS6detail17trampoline_kernelINS0_13select_configILj256ELj13ELNS0_17block_load_methodE3ELS4_3ELS4_3ELNS0_20block_scan_algorithmE0ELj4294967295EEENS1_25partition_config_selectorILNS1_17partition_subalgoE3EjNS0_10empty_typeEbEEZZNS1_14partition_implILS8_3ELb0ES6_jNS0_17counting_iteratorIjlEEPS9_SE_NS0_5tupleIJPjSE_EEENSF_IJSE_SE_EEES9_SG_JZNS1_25segmented_radix_sort_implINS0_14default_configELb0EPKlPlSM_SN_N2at6native12_GLOBAL__N_18offset_tEEE10hipError_tPvRmT1_PNSt15iterator_traitsISV_E10value_typeET2_T3_PNSW_IS11_E10value_typeET4_jRbjT5_S17_jjP12ihipStream_tbEUljE_EEESS_ST_SU_S11_S15_S17_T6_T7_T9_mT8_S19_bDpT10_ENKUlT_T0_E_clISt17integral_constantIbLb1EES1M_EEDaS1H_S1I_EUlS1H_E_NS1_11comp_targetILNS1_3genE10ELNS1_11target_archE1200ELNS1_3gpuE4ELNS1_3repE0EEENS1_30default_config_static_selectorELNS0_4arch9wavefront6targetE0EEEvSV_.numbered_sgpr, 0
	.set _ZN7rocprim17ROCPRIM_400000_NS6detail17trampoline_kernelINS0_13select_configILj256ELj13ELNS0_17block_load_methodE3ELS4_3ELS4_3ELNS0_20block_scan_algorithmE0ELj4294967295EEENS1_25partition_config_selectorILNS1_17partition_subalgoE3EjNS0_10empty_typeEbEEZZNS1_14partition_implILS8_3ELb0ES6_jNS0_17counting_iteratorIjlEEPS9_SE_NS0_5tupleIJPjSE_EEENSF_IJSE_SE_EEES9_SG_JZNS1_25segmented_radix_sort_implINS0_14default_configELb0EPKlPlSM_SN_N2at6native12_GLOBAL__N_18offset_tEEE10hipError_tPvRmT1_PNSt15iterator_traitsISV_E10value_typeET2_T3_PNSW_IS11_E10value_typeET4_jRbjT5_S17_jjP12ihipStream_tbEUljE_EEESS_ST_SU_S11_S15_S17_T6_T7_T9_mT8_S19_bDpT10_ENKUlT_T0_E_clISt17integral_constantIbLb1EES1M_EEDaS1H_S1I_EUlS1H_E_NS1_11comp_targetILNS1_3genE10ELNS1_11target_archE1200ELNS1_3gpuE4ELNS1_3repE0EEENS1_30default_config_static_selectorELNS0_4arch9wavefront6targetE0EEEvSV_.num_named_barrier, 0
	.set _ZN7rocprim17ROCPRIM_400000_NS6detail17trampoline_kernelINS0_13select_configILj256ELj13ELNS0_17block_load_methodE3ELS4_3ELS4_3ELNS0_20block_scan_algorithmE0ELj4294967295EEENS1_25partition_config_selectorILNS1_17partition_subalgoE3EjNS0_10empty_typeEbEEZZNS1_14partition_implILS8_3ELb0ES6_jNS0_17counting_iteratorIjlEEPS9_SE_NS0_5tupleIJPjSE_EEENSF_IJSE_SE_EEES9_SG_JZNS1_25segmented_radix_sort_implINS0_14default_configELb0EPKlPlSM_SN_N2at6native12_GLOBAL__N_18offset_tEEE10hipError_tPvRmT1_PNSt15iterator_traitsISV_E10value_typeET2_T3_PNSW_IS11_E10value_typeET4_jRbjT5_S17_jjP12ihipStream_tbEUljE_EEESS_ST_SU_S11_S15_S17_T6_T7_T9_mT8_S19_bDpT10_ENKUlT_T0_E_clISt17integral_constantIbLb1EES1M_EEDaS1H_S1I_EUlS1H_E_NS1_11comp_targetILNS1_3genE10ELNS1_11target_archE1200ELNS1_3gpuE4ELNS1_3repE0EEENS1_30default_config_static_selectorELNS0_4arch9wavefront6targetE0EEEvSV_.private_seg_size, 0
	.set _ZN7rocprim17ROCPRIM_400000_NS6detail17trampoline_kernelINS0_13select_configILj256ELj13ELNS0_17block_load_methodE3ELS4_3ELS4_3ELNS0_20block_scan_algorithmE0ELj4294967295EEENS1_25partition_config_selectorILNS1_17partition_subalgoE3EjNS0_10empty_typeEbEEZZNS1_14partition_implILS8_3ELb0ES6_jNS0_17counting_iteratorIjlEEPS9_SE_NS0_5tupleIJPjSE_EEENSF_IJSE_SE_EEES9_SG_JZNS1_25segmented_radix_sort_implINS0_14default_configELb0EPKlPlSM_SN_N2at6native12_GLOBAL__N_18offset_tEEE10hipError_tPvRmT1_PNSt15iterator_traitsISV_E10value_typeET2_T3_PNSW_IS11_E10value_typeET4_jRbjT5_S17_jjP12ihipStream_tbEUljE_EEESS_ST_SU_S11_S15_S17_T6_T7_T9_mT8_S19_bDpT10_ENKUlT_T0_E_clISt17integral_constantIbLb1EES1M_EEDaS1H_S1I_EUlS1H_E_NS1_11comp_targetILNS1_3genE10ELNS1_11target_archE1200ELNS1_3gpuE4ELNS1_3repE0EEENS1_30default_config_static_selectorELNS0_4arch9wavefront6targetE0EEEvSV_.uses_vcc, 0
	.set _ZN7rocprim17ROCPRIM_400000_NS6detail17trampoline_kernelINS0_13select_configILj256ELj13ELNS0_17block_load_methodE3ELS4_3ELS4_3ELNS0_20block_scan_algorithmE0ELj4294967295EEENS1_25partition_config_selectorILNS1_17partition_subalgoE3EjNS0_10empty_typeEbEEZZNS1_14partition_implILS8_3ELb0ES6_jNS0_17counting_iteratorIjlEEPS9_SE_NS0_5tupleIJPjSE_EEENSF_IJSE_SE_EEES9_SG_JZNS1_25segmented_radix_sort_implINS0_14default_configELb0EPKlPlSM_SN_N2at6native12_GLOBAL__N_18offset_tEEE10hipError_tPvRmT1_PNSt15iterator_traitsISV_E10value_typeET2_T3_PNSW_IS11_E10value_typeET4_jRbjT5_S17_jjP12ihipStream_tbEUljE_EEESS_ST_SU_S11_S15_S17_T6_T7_T9_mT8_S19_bDpT10_ENKUlT_T0_E_clISt17integral_constantIbLb1EES1M_EEDaS1H_S1I_EUlS1H_E_NS1_11comp_targetILNS1_3genE10ELNS1_11target_archE1200ELNS1_3gpuE4ELNS1_3repE0EEENS1_30default_config_static_selectorELNS0_4arch9wavefront6targetE0EEEvSV_.uses_flat_scratch, 0
	.set _ZN7rocprim17ROCPRIM_400000_NS6detail17trampoline_kernelINS0_13select_configILj256ELj13ELNS0_17block_load_methodE3ELS4_3ELS4_3ELNS0_20block_scan_algorithmE0ELj4294967295EEENS1_25partition_config_selectorILNS1_17partition_subalgoE3EjNS0_10empty_typeEbEEZZNS1_14partition_implILS8_3ELb0ES6_jNS0_17counting_iteratorIjlEEPS9_SE_NS0_5tupleIJPjSE_EEENSF_IJSE_SE_EEES9_SG_JZNS1_25segmented_radix_sort_implINS0_14default_configELb0EPKlPlSM_SN_N2at6native12_GLOBAL__N_18offset_tEEE10hipError_tPvRmT1_PNSt15iterator_traitsISV_E10value_typeET2_T3_PNSW_IS11_E10value_typeET4_jRbjT5_S17_jjP12ihipStream_tbEUljE_EEESS_ST_SU_S11_S15_S17_T6_T7_T9_mT8_S19_bDpT10_ENKUlT_T0_E_clISt17integral_constantIbLb1EES1M_EEDaS1H_S1I_EUlS1H_E_NS1_11comp_targetILNS1_3genE10ELNS1_11target_archE1200ELNS1_3gpuE4ELNS1_3repE0EEENS1_30default_config_static_selectorELNS0_4arch9wavefront6targetE0EEEvSV_.has_dyn_sized_stack, 0
	.set _ZN7rocprim17ROCPRIM_400000_NS6detail17trampoline_kernelINS0_13select_configILj256ELj13ELNS0_17block_load_methodE3ELS4_3ELS4_3ELNS0_20block_scan_algorithmE0ELj4294967295EEENS1_25partition_config_selectorILNS1_17partition_subalgoE3EjNS0_10empty_typeEbEEZZNS1_14partition_implILS8_3ELb0ES6_jNS0_17counting_iteratorIjlEEPS9_SE_NS0_5tupleIJPjSE_EEENSF_IJSE_SE_EEES9_SG_JZNS1_25segmented_radix_sort_implINS0_14default_configELb0EPKlPlSM_SN_N2at6native12_GLOBAL__N_18offset_tEEE10hipError_tPvRmT1_PNSt15iterator_traitsISV_E10value_typeET2_T3_PNSW_IS11_E10value_typeET4_jRbjT5_S17_jjP12ihipStream_tbEUljE_EEESS_ST_SU_S11_S15_S17_T6_T7_T9_mT8_S19_bDpT10_ENKUlT_T0_E_clISt17integral_constantIbLb1EES1M_EEDaS1H_S1I_EUlS1H_E_NS1_11comp_targetILNS1_3genE10ELNS1_11target_archE1200ELNS1_3gpuE4ELNS1_3repE0EEENS1_30default_config_static_selectorELNS0_4arch9wavefront6targetE0EEEvSV_.has_recursion, 0
	.set _ZN7rocprim17ROCPRIM_400000_NS6detail17trampoline_kernelINS0_13select_configILj256ELj13ELNS0_17block_load_methodE3ELS4_3ELS4_3ELNS0_20block_scan_algorithmE0ELj4294967295EEENS1_25partition_config_selectorILNS1_17partition_subalgoE3EjNS0_10empty_typeEbEEZZNS1_14partition_implILS8_3ELb0ES6_jNS0_17counting_iteratorIjlEEPS9_SE_NS0_5tupleIJPjSE_EEENSF_IJSE_SE_EEES9_SG_JZNS1_25segmented_radix_sort_implINS0_14default_configELb0EPKlPlSM_SN_N2at6native12_GLOBAL__N_18offset_tEEE10hipError_tPvRmT1_PNSt15iterator_traitsISV_E10value_typeET2_T3_PNSW_IS11_E10value_typeET4_jRbjT5_S17_jjP12ihipStream_tbEUljE_EEESS_ST_SU_S11_S15_S17_T6_T7_T9_mT8_S19_bDpT10_ENKUlT_T0_E_clISt17integral_constantIbLb1EES1M_EEDaS1H_S1I_EUlS1H_E_NS1_11comp_targetILNS1_3genE10ELNS1_11target_archE1200ELNS1_3gpuE4ELNS1_3repE0EEENS1_30default_config_static_selectorELNS0_4arch9wavefront6targetE0EEEvSV_.has_indirect_call, 0
	.section	.AMDGPU.csdata,"",@progbits
; Kernel info:
; codeLenInByte = 4
; TotalNumSgprs: 0
; NumVgprs: 0
; ScratchSize: 0
; MemoryBound: 0
; FloatMode: 240
; IeeeMode: 1
; LDSByteSize: 0 bytes/workgroup (compile time only)
; SGPRBlocks: 0
; VGPRBlocks: 0
; NumSGPRsForWavesPerEU: 1
; NumVGPRsForWavesPerEU: 1
; Occupancy: 16
; WaveLimiterHint : 0
; COMPUTE_PGM_RSRC2:SCRATCH_EN: 0
; COMPUTE_PGM_RSRC2:USER_SGPR: 2
; COMPUTE_PGM_RSRC2:TRAP_HANDLER: 0
; COMPUTE_PGM_RSRC2:TGID_X_EN: 1
; COMPUTE_PGM_RSRC2:TGID_Y_EN: 0
; COMPUTE_PGM_RSRC2:TGID_Z_EN: 0
; COMPUTE_PGM_RSRC2:TIDIG_COMP_CNT: 0
	.section	.text._ZN7rocprim17ROCPRIM_400000_NS6detail17trampoline_kernelINS0_13select_configILj256ELj13ELNS0_17block_load_methodE3ELS4_3ELS4_3ELNS0_20block_scan_algorithmE0ELj4294967295EEENS1_25partition_config_selectorILNS1_17partition_subalgoE3EjNS0_10empty_typeEbEEZZNS1_14partition_implILS8_3ELb0ES6_jNS0_17counting_iteratorIjlEEPS9_SE_NS0_5tupleIJPjSE_EEENSF_IJSE_SE_EEES9_SG_JZNS1_25segmented_radix_sort_implINS0_14default_configELb0EPKlPlSM_SN_N2at6native12_GLOBAL__N_18offset_tEEE10hipError_tPvRmT1_PNSt15iterator_traitsISV_E10value_typeET2_T3_PNSW_IS11_E10value_typeET4_jRbjT5_S17_jjP12ihipStream_tbEUljE_EEESS_ST_SU_S11_S15_S17_T6_T7_T9_mT8_S19_bDpT10_ENKUlT_T0_E_clISt17integral_constantIbLb1EES1M_EEDaS1H_S1I_EUlS1H_E_NS1_11comp_targetILNS1_3genE9ELNS1_11target_archE1100ELNS1_3gpuE3ELNS1_3repE0EEENS1_30default_config_static_selectorELNS0_4arch9wavefront6targetE0EEEvSV_,"axG",@progbits,_ZN7rocprim17ROCPRIM_400000_NS6detail17trampoline_kernelINS0_13select_configILj256ELj13ELNS0_17block_load_methodE3ELS4_3ELS4_3ELNS0_20block_scan_algorithmE0ELj4294967295EEENS1_25partition_config_selectorILNS1_17partition_subalgoE3EjNS0_10empty_typeEbEEZZNS1_14partition_implILS8_3ELb0ES6_jNS0_17counting_iteratorIjlEEPS9_SE_NS0_5tupleIJPjSE_EEENSF_IJSE_SE_EEES9_SG_JZNS1_25segmented_radix_sort_implINS0_14default_configELb0EPKlPlSM_SN_N2at6native12_GLOBAL__N_18offset_tEEE10hipError_tPvRmT1_PNSt15iterator_traitsISV_E10value_typeET2_T3_PNSW_IS11_E10value_typeET4_jRbjT5_S17_jjP12ihipStream_tbEUljE_EEESS_ST_SU_S11_S15_S17_T6_T7_T9_mT8_S19_bDpT10_ENKUlT_T0_E_clISt17integral_constantIbLb1EES1M_EEDaS1H_S1I_EUlS1H_E_NS1_11comp_targetILNS1_3genE9ELNS1_11target_archE1100ELNS1_3gpuE3ELNS1_3repE0EEENS1_30default_config_static_selectorELNS0_4arch9wavefront6targetE0EEEvSV_,comdat
	.globl	_ZN7rocprim17ROCPRIM_400000_NS6detail17trampoline_kernelINS0_13select_configILj256ELj13ELNS0_17block_load_methodE3ELS4_3ELS4_3ELNS0_20block_scan_algorithmE0ELj4294967295EEENS1_25partition_config_selectorILNS1_17partition_subalgoE3EjNS0_10empty_typeEbEEZZNS1_14partition_implILS8_3ELb0ES6_jNS0_17counting_iteratorIjlEEPS9_SE_NS0_5tupleIJPjSE_EEENSF_IJSE_SE_EEES9_SG_JZNS1_25segmented_radix_sort_implINS0_14default_configELb0EPKlPlSM_SN_N2at6native12_GLOBAL__N_18offset_tEEE10hipError_tPvRmT1_PNSt15iterator_traitsISV_E10value_typeET2_T3_PNSW_IS11_E10value_typeET4_jRbjT5_S17_jjP12ihipStream_tbEUljE_EEESS_ST_SU_S11_S15_S17_T6_T7_T9_mT8_S19_bDpT10_ENKUlT_T0_E_clISt17integral_constantIbLb1EES1M_EEDaS1H_S1I_EUlS1H_E_NS1_11comp_targetILNS1_3genE9ELNS1_11target_archE1100ELNS1_3gpuE3ELNS1_3repE0EEENS1_30default_config_static_selectorELNS0_4arch9wavefront6targetE0EEEvSV_ ; -- Begin function _ZN7rocprim17ROCPRIM_400000_NS6detail17trampoline_kernelINS0_13select_configILj256ELj13ELNS0_17block_load_methodE3ELS4_3ELS4_3ELNS0_20block_scan_algorithmE0ELj4294967295EEENS1_25partition_config_selectorILNS1_17partition_subalgoE3EjNS0_10empty_typeEbEEZZNS1_14partition_implILS8_3ELb0ES6_jNS0_17counting_iteratorIjlEEPS9_SE_NS0_5tupleIJPjSE_EEENSF_IJSE_SE_EEES9_SG_JZNS1_25segmented_radix_sort_implINS0_14default_configELb0EPKlPlSM_SN_N2at6native12_GLOBAL__N_18offset_tEEE10hipError_tPvRmT1_PNSt15iterator_traitsISV_E10value_typeET2_T3_PNSW_IS11_E10value_typeET4_jRbjT5_S17_jjP12ihipStream_tbEUljE_EEESS_ST_SU_S11_S15_S17_T6_T7_T9_mT8_S19_bDpT10_ENKUlT_T0_E_clISt17integral_constantIbLb1EES1M_EEDaS1H_S1I_EUlS1H_E_NS1_11comp_targetILNS1_3genE9ELNS1_11target_archE1100ELNS1_3gpuE3ELNS1_3repE0EEENS1_30default_config_static_selectorELNS0_4arch9wavefront6targetE0EEEvSV_
	.p2align	8
	.type	_ZN7rocprim17ROCPRIM_400000_NS6detail17trampoline_kernelINS0_13select_configILj256ELj13ELNS0_17block_load_methodE3ELS4_3ELS4_3ELNS0_20block_scan_algorithmE0ELj4294967295EEENS1_25partition_config_selectorILNS1_17partition_subalgoE3EjNS0_10empty_typeEbEEZZNS1_14partition_implILS8_3ELb0ES6_jNS0_17counting_iteratorIjlEEPS9_SE_NS0_5tupleIJPjSE_EEENSF_IJSE_SE_EEES9_SG_JZNS1_25segmented_radix_sort_implINS0_14default_configELb0EPKlPlSM_SN_N2at6native12_GLOBAL__N_18offset_tEEE10hipError_tPvRmT1_PNSt15iterator_traitsISV_E10value_typeET2_T3_PNSW_IS11_E10value_typeET4_jRbjT5_S17_jjP12ihipStream_tbEUljE_EEESS_ST_SU_S11_S15_S17_T6_T7_T9_mT8_S19_bDpT10_ENKUlT_T0_E_clISt17integral_constantIbLb1EES1M_EEDaS1H_S1I_EUlS1H_E_NS1_11comp_targetILNS1_3genE9ELNS1_11target_archE1100ELNS1_3gpuE3ELNS1_3repE0EEENS1_30default_config_static_selectorELNS0_4arch9wavefront6targetE0EEEvSV_,@function
_ZN7rocprim17ROCPRIM_400000_NS6detail17trampoline_kernelINS0_13select_configILj256ELj13ELNS0_17block_load_methodE3ELS4_3ELS4_3ELNS0_20block_scan_algorithmE0ELj4294967295EEENS1_25partition_config_selectorILNS1_17partition_subalgoE3EjNS0_10empty_typeEbEEZZNS1_14partition_implILS8_3ELb0ES6_jNS0_17counting_iteratorIjlEEPS9_SE_NS0_5tupleIJPjSE_EEENSF_IJSE_SE_EEES9_SG_JZNS1_25segmented_radix_sort_implINS0_14default_configELb0EPKlPlSM_SN_N2at6native12_GLOBAL__N_18offset_tEEE10hipError_tPvRmT1_PNSt15iterator_traitsISV_E10value_typeET2_T3_PNSW_IS11_E10value_typeET4_jRbjT5_S17_jjP12ihipStream_tbEUljE_EEESS_ST_SU_S11_S15_S17_T6_T7_T9_mT8_S19_bDpT10_ENKUlT_T0_E_clISt17integral_constantIbLb1EES1M_EEDaS1H_S1I_EUlS1H_E_NS1_11comp_targetILNS1_3genE9ELNS1_11target_archE1100ELNS1_3gpuE3ELNS1_3repE0EEENS1_30default_config_static_selectorELNS0_4arch9wavefront6targetE0EEEvSV_: ; @_ZN7rocprim17ROCPRIM_400000_NS6detail17trampoline_kernelINS0_13select_configILj256ELj13ELNS0_17block_load_methodE3ELS4_3ELS4_3ELNS0_20block_scan_algorithmE0ELj4294967295EEENS1_25partition_config_selectorILNS1_17partition_subalgoE3EjNS0_10empty_typeEbEEZZNS1_14partition_implILS8_3ELb0ES6_jNS0_17counting_iteratorIjlEEPS9_SE_NS0_5tupleIJPjSE_EEENSF_IJSE_SE_EEES9_SG_JZNS1_25segmented_radix_sort_implINS0_14default_configELb0EPKlPlSM_SN_N2at6native12_GLOBAL__N_18offset_tEEE10hipError_tPvRmT1_PNSt15iterator_traitsISV_E10value_typeET2_T3_PNSW_IS11_E10value_typeET4_jRbjT5_S17_jjP12ihipStream_tbEUljE_EEESS_ST_SU_S11_S15_S17_T6_T7_T9_mT8_S19_bDpT10_ENKUlT_T0_E_clISt17integral_constantIbLb1EES1M_EEDaS1H_S1I_EUlS1H_E_NS1_11comp_targetILNS1_3genE9ELNS1_11target_archE1100ELNS1_3gpuE3ELNS1_3repE0EEENS1_30default_config_static_selectorELNS0_4arch9wavefront6targetE0EEEvSV_
; %bb.0:
	.section	.rodata,"a",@progbits
	.p2align	6, 0x0
	.amdhsa_kernel _ZN7rocprim17ROCPRIM_400000_NS6detail17trampoline_kernelINS0_13select_configILj256ELj13ELNS0_17block_load_methodE3ELS4_3ELS4_3ELNS0_20block_scan_algorithmE0ELj4294967295EEENS1_25partition_config_selectorILNS1_17partition_subalgoE3EjNS0_10empty_typeEbEEZZNS1_14partition_implILS8_3ELb0ES6_jNS0_17counting_iteratorIjlEEPS9_SE_NS0_5tupleIJPjSE_EEENSF_IJSE_SE_EEES9_SG_JZNS1_25segmented_radix_sort_implINS0_14default_configELb0EPKlPlSM_SN_N2at6native12_GLOBAL__N_18offset_tEEE10hipError_tPvRmT1_PNSt15iterator_traitsISV_E10value_typeET2_T3_PNSW_IS11_E10value_typeET4_jRbjT5_S17_jjP12ihipStream_tbEUljE_EEESS_ST_SU_S11_S15_S17_T6_T7_T9_mT8_S19_bDpT10_ENKUlT_T0_E_clISt17integral_constantIbLb1EES1M_EEDaS1H_S1I_EUlS1H_E_NS1_11comp_targetILNS1_3genE9ELNS1_11target_archE1100ELNS1_3gpuE3ELNS1_3repE0EEENS1_30default_config_static_selectorELNS0_4arch9wavefront6targetE0EEEvSV_
		.amdhsa_group_segment_fixed_size 0
		.amdhsa_private_segment_fixed_size 0
		.amdhsa_kernarg_size 152
		.amdhsa_user_sgpr_count 2
		.amdhsa_user_sgpr_dispatch_ptr 0
		.amdhsa_user_sgpr_queue_ptr 0
		.amdhsa_user_sgpr_kernarg_segment_ptr 1
		.amdhsa_user_sgpr_dispatch_id 0
		.amdhsa_user_sgpr_private_segment_size 0
		.amdhsa_wavefront_size32 1
		.amdhsa_uses_dynamic_stack 0
		.amdhsa_enable_private_segment 0
		.amdhsa_system_sgpr_workgroup_id_x 1
		.amdhsa_system_sgpr_workgroup_id_y 0
		.amdhsa_system_sgpr_workgroup_id_z 0
		.amdhsa_system_sgpr_workgroup_info 0
		.amdhsa_system_vgpr_workitem_id 0
		.amdhsa_next_free_vgpr 1
		.amdhsa_next_free_sgpr 1
		.amdhsa_reserve_vcc 0
		.amdhsa_float_round_mode_32 0
		.amdhsa_float_round_mode_16_64 0
		.amdhsa_float_denorm_mode_32 3
		.amdhsa_float_denorm_mode_16_64 3
		.amdhsa_fp16_overflow 0
		.amdhsa_workgroup_processor_mode 1
		.amdhsa_memory_ordered 1
		.amdhsa_forward_progress 1
		.amdhsa_inst_pref_size 0
		.amdhsa_round_robin_scheduling 0
		.amdhsa_exception_fp_ieee_invalid_op 0
		.amdhsa_exception_fp_denorm_src 0
		.amdhsa_exception_fp_ieee_div_zero 0
		.amdhsa_exception_fp_ieee_overflow 0
		.amdhsa_exception_fp_ieee_underflow 0
		.amdhsa_exception_fp_ieee_inexact 0
		.amdhsa_exception_int_div_zero 0
	.end_amdhsa_kernel
	.section	.text._ZN7rocprim17ROCPRIM_400000_NS6detail17trampoline_kernelINS0_13select_configILj256ELj13ELNS0_17block_load_methodE3ELS4_3ELS4_3ELNS0_20block_scan_algorithmE0ELj4294967295EEENS1_25partition_config_selectorILNS1_17partition_subalgoE3EjNS0_10empty_typeEbEEZZNS1_14partition_implILS8_3ELb0ES6_jNS0_17counting_iteratorIjlEEPS9_SE_NS0_5tupleIJPjSE_EEENSF_IJSE_SE_EEES9_SG_JZNS1_25segmented_radix_sort_implINS0_14default_configELb0EPKlPlSM_SN_N2at6native12_GLOBAL__N_18offset_tEEE10hipError_tPvRmT1_PNSt15iterator_traitsISV_E10value_typeET2_T3_PNSW_IS11_E10value_typeET4_jRbjT5_S17_jjP12ihipStream_tbEUljE_EEESS_ST_SU_S11_S15_S17_T6_T7_T9_mT8_S19_bDpT10_ENKUlT_T0_E_clISt17integral_constantIbLb1EES1M_EEDaS1H_S1I_EUlS1H_E_NS1_11comp_targetILNS1_3genE9ELNS1_11target_archE1100ELNS1_3gpuE3ELNS1_3repE0EEENS1_30default_config_static_selectorELNS0_4arch9wavefront6targetE0EEEvSV_,"axG",@progbits,_ZN7rocprim17ROCPRIM_400000_NS6detail17trampoline_kernelINS0_13select_configILj256ELj13ELNS0_17block_load_methodE3ELS4_3ELS4_3ELNS0_20block_scan_algorithmE0ELj4294967295EEENS1_25partition_config_selectorILNS1_17partition_subalgoE3EjNS0_10empty_typeEbEEZZNS1_14partition_implILS8_3ELb0ES6_jNS0_17counting_iteratorIjlEEPS9_SE_NS0_5tupleIJPjSE_EEENSF_IJSE_SE_EEES9_SG_JZNS1_25segmented_radix_sort_implINS0_14default_configELb0EPKlPlSM_SN_N2at6native12_GLOBAL__N_18offset_tEEE10hipError_tPvRmT1_PNSt15iterator_traitsISV_E10value_typeET2_T3_PNSW_IS11_E10value_typeET4_jRbjT5_S17_jjP12ihipStream_tbEUljE_EEESS_ST_SU_S11_S15_S17_T6_T7_T9_mT8_S19_bDpT10_ENKUlT_T0_E_clISt17integral_constantIbLb1EES1M_EEDaS1H_S1I_EUlS1H_E_NS1_11comp_targetILNS1_3genE9ELNS1_11target_archE1100ELNS1_3gpuE3ELNS1_3repE0EEENS1_30default_config_static_selectorELNS0_4arch9wavefront6targetE0EEEvSV_,comdat
.Lfunc_end789:
	.size	_ZN7rocprim17ROCPRIM_400000_NS6detail17trampoline_kernelINS0_13select_configILj256ELj13ELNS0_17block_load_methodE3ELS4_3ELS4_3ELNS0_20block_scan_algorithmE0ELj4294967295EEENS1_25partition_config_selectorILNS1_17partition_subalgoE3EjNS0_10empty_typeEbEEZZNS1_14partition_implILS8_3ELb0ES6_jNS0_17counting_iteratorIjlEEPS9_SE_NS0_5tupleIJPjSE_EEENSF_IJSE_SE_EEES9_SG_JZNS1_25segmented_radix_sort_implINS0_14default_configELb0EPKlPlSM_SN_N2at6native12_GLOBAL__N_18offset_tEEE10hipError_tPvRmT1_PNSt15iterator_traitsISV_E10value_typeET2_T3_PNSW_IS11_E10value_typeET4_jRbjT5_S17_jjP12ihipStream_tbEUljE_EEESS_ST_SU_S11_S15_S17_T6_T7_T9_mT8_S19_bDpT10_ENKUlT_T0_E_clISt17integral_constantIbLb1EES1M_EEDaS1H_S1I_EUlS1H_E_NS1_11comp_targetILNS1_3genE9ELNS1_11target_archE1100ELNS1_3gpuE3ELNS1_3repE0EEENS1_30default_config_static_selectorELNS0_4arch9wavefront6targetE0EEEvSV_, .Lfunc_end789-_ZN7rocprim17ROCPRIM_400000_NS6detail17trampoline_kernelINS0_13select_configILj256ELj13ELNS0_17block_load_methodE3ELS4_3ELS4_3ELNS0_20block_scan_algorithmE0ELj4294967295EEENS1_25partition_config_selectorILNS1_17partition_subalgoE3EjNS0_10empty_typeEbEEZZNS1_14partition_implILS8_3ELb0ES6_jNS0_17counting_iteratorIjlEEPS9_SE_NS0_5tupleIJPjSE_EEENSF_IJSE_SE_EEES9_SG_JZNS1_25segmented_radix_sort_implINS0_14default_configELb0EPKlPlSM_SN_N2at6native12_GLOBAL__N_18offset_tEEE10hipError_tPvRmT1_PNSt15iterator_traitsISV_E10value_typeET2_T3_PNSW_IS11_E10value_typeET4_jRbjT5_S17_jjP12ihipStream_tbEUljE_EEESS_ST_SU_S11_S15_S17_T6_T7_T9_mT8_S19_bDpT10_ENKUlT_T0_E_clISt17integral_constantIbLb1EES1M_EEDaS1H_S1I_EUlS1H_E_NS1_11comp_targetILNS1_3genE9ELNS1_11target_archE1100ELNS1_3gpuE3ELNS1_3repE0EEENS1_30default_config_static_selectorELNS0_4arch9wavefront6targetE0EEEvSV_
                                        ; -- End function
	.set _ZN7rocprim17ROCPRIM_400000_NS6detail17trampoline_kernelINS0_13select_configILj256ELj13ELNS0_17block_load_methodE3ELS4_3ELS4_3ELNS0_20block_scan_algorithmE0ELj4294967295EEENS1_25partition_config_selectorILNS1_17partition_subalgoE3EjNS0_10empty_typeEbEEZZNS1_14partition_implILS8_3ELb0ES6_jNS0_17counting_iteratorIjlEEPS9_SE_NS0_5tupleIJPjSE_EEENSF_IJSE_SE_EEES9_SG_JZNS1_25segmented_radix_sort_implINS0_14default_configELb0EPKlPlSM_SN_N2at6native12_GLOBAL__N_18offset_tEEE10hipError_tPvRmT1_PNSt15iterator_traitsISV_E10value_typeET2_T3_PNSW_IS11_E10value_typeET4_jRbjT5_S17_jjP12ihipStream_tbEUljE_EEESS_ST_SU_S11_S15_S17_T6_T7_T9_mT8_S19_bDpT10_ENKUlT_T0_E_clISt17integral_constantIbLb1EES1M_EEDaS1H_S1I_EUlS1H_E_NS1_11comp_targetILNS1_3genE9ELNS1_11target_archE1100ELNS1_3gpuE3ELNS1_3repE0EEENS1_30default_config_static_selectorELNS0_4arch9wavefront6targetE0EEEvSV_.num_vgpr, 0
	.set _ZN7rocprim17ROCPRIM_400000_NS6detail17trampoline_kernelINS0_13select_configILj256ELj13ELNS0_17block_load_methodE3ELS4_3ELS4_3ELNS0_20block_scan_algorithmE0ELj4294967295EEENS1_25partition_config_selectorILNS1_17partition_subalgoE3EjNS0_10empty_typeEbEEZZNS1_14partition_implILS8_3ELb0ES6_jNS0_17counting_iteratorIjlEEPS9_SE_NS0_5tupleIJPjSE_EEENSF_IJSE_SE_EEES9_SG_JZNS1_25segmented_radix_sort_implINS0_14default_configELb0EPKlPlSM_SN_N2at6native12_GLOBAL__N_18offset_tEEE10hipError_tPvRmT1_PNSt15iterator_traitsISV_E10value_typeET2_T3_PNSW_IS11_E10value_typeET4_jRbjT5_S17_jjP12ihipStream_tbEUljE_EEESS_ST_SU_S11_S15_S17_T6_T7_T9_mT8_S19_bDpT10_ENKUlT_T0_E_clISt17integral_constantIbLb1EES1M_EEDaS1H_S1I_EUlS1H_E_NS1_11comp_targetILNS1_3genE9ELNS1_11target_archE1100ELNS1_3gpuE3ELNS1_3repE0EEENS1_30default_config_static_selectorELNS0_4arch9wavefront6targetE0EEEvSV_.num_agpr, 0
	.set _ZN7rocprim17ROCPRIM_400000_NS6detail17trampoline_kernelINS0_13select_configILj256ELj13ELNS0_17block_load_methodE3ELS4_3ELS4_3ELNS0_20block_scan_algorithmE0ELj4294967295EEENS1_25partition_config_selectorILNS1_17partition_subalgoE3EjNS0_10empty_typeEbEEZZNS1_14partition_implILS8_3ELb0ES6_jNS0_17counting_iteratorIjlEEPS9_SE_NS0_5tupleIJPjSE_EEENSF_IJSE_SE_EEES9_SG_JZNS1_25segmented_radix_sort_implINS0_14default_configELb0EPKlPlSM_SN_N2at6native12_GLOBAL__N_18offset_tEEE10hipError_tPvRmT1_PNSt15iterator_traitsISV_E10value_typeET2_T3_PNSW_IS11_E10value_typeET4_jRbjT5_S17_jjP12ihipStream_tbEUljE_EEESS_ST_SU_S11_S15_S17_T6_T7_T9_mT8_S19_bDpT10_ENKUlT_T0_E_clISt17integral_constantIbLb1EES1M_EEDaS1H_S1I_EUlS1H_E_NS1_11comp_targetILNS1_3genE9ELNS1_11target_archE1100ELNS1_3gpuE3ELNS1_3repE0EEENS1_30default_config_static_selectorELNS0_4arch9wavefront6targetE0EEEvSV_.numbered_sgpr, 0
	.set _ZN7rocprim17ROCPRIM_400000_NS6detail17trampoline_kernelINS0_13select_configILj256ELj13ELNS0_17block_load_methodE3ELS4_3ELS4_3ELNS0_20block_scan_algorithmE0ELj4294967295EEENS1_25partition_config_selectorILNS1_17partition_subalgoE3EjNS0_10empty_typeEbEEZZNS1_14partition_implILS8_3ELb0ES6_jNS0_17counting_iteratorIjlEEPS9_SE_NS0_5tupleIJPjSE_EEENSF_IJSE_SE_EEES9_SG_JZNS1_25segmented_radix_sort_implINS0_14default_configELb0EPKlPlSM_SN_N2at6native12_GLOBAL__N_18offset_tEEE10hipError_tPvRmT1_PNSt15iterator_traitsISV_E10value_typeET2_T3_PNSW_IS11_E10value_typeET4_jRbjT5_S17_jjP12ihipStream_tbEUljE_EEESS_ST_SU_S11_S15_S17_T6_T7_T9_mT8_S19_bDpT10_ENKUlT_T0_E_clISt17integral_constantIbLb1EES1M_EEDaS1H_S1I_EUlS1H_E_NS1_11comp_targetILNS1_3genE9ELNS1_11target_archE1100ELNS1_3gpuE3ELNS1_3repE0EEENS1_30default_config_static_selectorELNS0_4arch9wavefront6targetE0EEEvSV_.num_named_barrier, 0
	.set _ZN7rocprim17ROCPRIM_400000_NS6detail17trampoline_kernelINS0_13select_configILj256ELj13ELNS0_17block_load_methodE3ELS4_3ELS4_3ELNS0_20block_scan_algorithmE0ELj4294967295EEENS1_25partition_config_selectorILNS1_17partition_subalgoE3EjNS0_10empty_typeEbEEZZNS1_14partition_implILS8_3ELb0ES6_jNS0_17counting_iteratorIjlEEPS9_SE_NS0_5tupleIJPjSE_EEENSF_IJSE_SE_EEES9_SG_JZNS1_25segmented_radix_sort_implINS0_14default_configELb0EPKlPlSM_SN_N2at6native12_GLOBAL__N_18offset_tEEE10hipError_tPvRmT1_PNSt15iterator_traitsISV_E10value_typeET2_T3_PNSW_IS11_E10value_typeET4_jRbjT5_S17_jjP12ihipStream_tbEUljE_EEESS_ST_SU_S11_S15_S17_T6_T7_T9_mT8_S19_bDpT10_ENKUlT_T0_E_clISt17integral_constantIbLb1EES1M_EEDaS1H_S1I_EUlS1H_E_NS1_11comp_targetILNS1_3genE9ELNS1_11target_archE1100ELNS1_3gpuE3ELNS1_3repE0EEENS1_30default_config_static_selectorELNS0_4arch9wavefront6targetE0EEEvSV_.private_seg_size, 0
	.set _ZN7rocprim17ROCPRIM_400000_NS6detail17trampoline_kernelINS0_13select_configILj256ELj13ELNS0_17block_load_methodE3ELS4_3ELS4_3ELNS0_20block_scan_algorithmE0ELj4294967295EEENS1_25partition_config_selectorILNS1_17partition_subalgoE3EjNS0_10empty_typeEbEEZZNS1_14partition_implILS8_3ELb0ES6_jNS0_17counting_iteratorIjlEEPS9_SE_NS0_5tupleIJPjSE_EEENSF_IJSE_SE_EEES9_SG_JZNS1_25segmented_radix_sort_implINS0_14default_configELb0EPKlPlSM_SN_N2at6native12_GLOBAL__N_18offset_tEEE10hipError_tPvRmT1_PNSt15iterator_traitsISV_E10value_typeET2_T3_PNSW_IS11_E10value_typeET4_jRbjT5_S17_jjP12ihipStream_tbEUljE_EEESS_ST_SU_S11_S15_S17_T6_T7_T9_mT8_S19_bDpT10_ENKUlT_T0_E_clISt17integral_constantIbLb1EES1M_EEDaS1H_S1I_EUlS1H_E_NS1_11comp_targetILNS1_3genE9ELNS1_11target_archE1100ELNS1_3gpuE3ELNS1_3repE0EEENS1_30default_config_static_selectorELNS0_4arch9wavefront6targetE0EEEvSV_.uses_vcc, 0
	.set _ZN7rocprim17ROCPRIM_400000_NS6detail17trampoline_kernelINS0_13select_configILj256ELj13ELNS0_17block_load_methodE3ELS4_3ELS4_3ELNS0_20block_scan_algorithmE0ELj4294967295EEENS1_25partition_config_selectorILNS1_17partition_subalgoE3EjNS0_10empty_typeEbEEZZNS1_14partition_implILS8_3ELb0ES6_jNS0_17counting_iteratorIjlEEPS9_SE_NS0_5tupleIJPjSE_EEENSF_IJSE_SE_EEES9_SG_JZNS1_25segmented_radix_sort_implINS0_14default_configELb0EPKlPlSM_SN_N2at6native12_GLOBAL__N_18offset_tEEE10hipError_tPvRmT1_PNSt15iterator_traitsISV_E10value_typeET2_T3_PNSW_IS11_E10value_typeET4_jRbjT5_S17_jjP12ihipStream_tbEUljE_EEESS_ST_SU_S11_S15_S17_T6_T7_T9_mT8_S19_bDpT10_ENKUlT_T0_E_clISt17integral_constantIbLb1EES1M_EEDaS1H_S1I_EUlS1H_E_NS1_11comp_targetILNS1_3genE9ELNS1_11target_archE1100ELNS1_3gpuE3ELNS1_3repE0EEENS1_30default_config_static_selectorELNS0_4arch9wavefront6targetE0EEEvSV_.uses_flat_scratch, 0
	.set _ZN7rocprim17ROCPRIM_400000_NS6detail17trampoline_kernelINS0_13select_configILj256ELj13ELNS0_17block_load_methodE3ELS4_3ELS4_3ELNS0_20block_scan_algorithmE0ELj4294967295EEENS1_25partition_config_selectorILNS1_17partition_subalgoE3EjNS0_10empty_typeEbEEZZNS1_14partition_implILS8_3ELb0ES6_jNS0_17counting_iteratorIjlEEPS9_SE_NS0_5tupleIJPjSE_EEENSF_IJSE_SE_EEES9_SG_JZNS1_25segmented_radix_sort_implINS0_14default_configELb0EPKlPlSM_SN_N2at6native12_GLOBAL__N_18offset_tEEE10hipError_tPvRmT1_PNSt15iterator_traitsISV_E10value_typeET2_T3_PNSW_IS11_E10value_typeET4_jRbjT5_S17_jjP12ihipStream_tbEUljE_EEESS_ST_SU_S11_S15_S17_T6_T7_T9_mT8_S19_bDpT10_ENKUlT_T0_E_clISt17integral_constantIbLb1EES1M_EEDaS1H_S1I_EUlS1H_E_NS1_11comp_targetILNS1_3genE9ELNS1_11target_archE1100ELNS1_3gpuE3ELNS1_3repE0EEENS1_30default_config_static_selectorELNS0_4arch9wavefront6targetE0EEEvSV_.has_dyn_sized_stack, 0
	.set _ZN7rocprim17ROCPRIM_400000_NS6detail17trampoline_kernelINS0_13select_configILj256ELj13ELNS0_17block_load_methodE3ELS4_3ELS4_3ELNS0_20block_scan_algorithmE0ELj4294967295EEENS1_25partition_config_selectorILNS1_17partition_subalgoE3EjNS0_10empty_typeEbEEZZNS1_14partition_implILS8_3ELb0ES6_jNS0_17counting_iteratorIjlEEPS9_SE_NS0_5tupleIJPjSE_EEENSF_IJSE_SE_EEES9_SG_JZNS1_25segmented_radix_sort_implINS0_14default_configELb0EPKlPlSM_SN_N2at6native12_GLOBAL__N_18offset_tEEE10hipError_tPvRmT1_PNSt15iterator_traitsISV_E10value_typeET2_T3_PNSW_IS11_E10value_typeET4_jRbjT5_S17_jjP12ihipStream_tbEUljE_EEESS_ST_SU_S11_S15_S17_T6_T7_T9_mT8_S19_bDpT10_ENKUlT_T0_E_clISt17integral_constantIbLb1EES1M_EEDaS1H_S1I_EUlS1H_E_NS1_11comp_targetILNS1_3genE9ELNS1_11target_archE1100ELNS1_3gpuE3ELNS1_3repE0EEENS1_30default_config_static_selectorELNS0_4arch9wavefront6targetE0EEEvSV_.has_recursion, 0
	.set _ZN7rocprim17ROCPRIM_400000_NS6detail17trampoline_kernelINS0_13select_configILj256ELj13ELNS0_17block_load_methodE3ELS4_3ELS4_3ELNS0_20block_scan_algorithmE0ELj4294967295EEENS1_25partition_config_selectorILNS1_17partition_subalgoE3EjNS0_10empty_typeEbEEZZNS1_14partition_implILS8_3ELb0ES6_jNS0_17counting_iteratorIjlEEPS9_SE_NS0_5tupleIJPjSE_EEENSF_IJSE_SE_EEES9_SG_JZNS1_25segmented_radix_sort_implINS0_14default_configELb0EPKlPlSM_SN_N2at6native12_GLOBAL__N_18offset_tEEE10hipError_tPvRmT1_PNSt15iterator_traitsISV_E10value_typeET2_T3_PNSW_IS11_E10value_typeET4_jRbjT5_S17_jjP12ihipStream_tbEUljE_EEESS_ST_SU_S11_S15_S17_T6_T7_T9_mT8_S19_bDpT10_ENKUlT_T0_E_clISt17integral_constantIbLb1EES1M_EEDaS1H_S1I_EUlS1H_E_NS1_11comp_targetILNS1_3genE9ELNS1_11target_archE1100ELNS1_3gpuE3ELNS1_3repE0EEENS1_30default_config_static_selectorELNS0_4arch9wavefront6targetE0EEEvSV_.has_indirect_call, 0
	.section	.AMDGPU.csdata,"",@progbits
; Kernel info:
; codeLenInByte = 0
; TotalNumSgprs: 0
; NumVgprs: 0
; ScratchSize: 0
; MemoryBound: 0
; FloatMode: 240
; IeeeMode: 1
; LDSByteSize: 0 bytes/workgroup (compile time only)
; SGPRBlocks: 0
; VGPRBlocks: 0
; NumSGPRsForWavesPerEU: 1
; NumVGPRsForWavesPerEU: 1
; Occupancy: 16
; WaveLimiterHint : 0
; COMPUTE_PGM_RSRC2:SCRATCH_EN: 0
; COMPUTE_PGM_RSRC2:USER_SGPR: 2
; COMPUTE_PGM_RSRC2:TRAP_HANDLER: 0
; COMPUTE_PGM_RSRC2:TGID_X_EN: 1
; COMPUTE_PGM_RSRC2:TGID_Y_EN: 0
; COMPUTE_PGM_RSRC2:TGID_Z_EN: 0
; COMPUTE_PGM_RSRC2:TIDIG_COMP_CNT: 0
	.section	.text._ZN7rocprim17ROCPRIM_400000_NS6detail17trampoline_kernelINS0_13select_configILj256ELj13ELNS0_17block_load_methodE3ELS4_3ELS4_3ELNS0_20block_scan_algorithmE0ELj4294967295EEENS1_25partition_config_selectorILNS1_17partition_subalgoE3EjNS0_10empty_typeEbEEZZNS1_14partition_implILS8_3ELb0ES6_jNS0_17counting_iteratorIjlEEPS9_SE_NS0_5tupleIJPjSE_EEENSF_IJSE_SE_EEES9_SG_JZNS1_25segmented_radix_sort_implINS0_14default_configELb0EPKlPlSM_SN_N2at6native12_GLOBAL__N_18offset_tEEE10hipError_tPvRmT1_PNSt15iterator_traitsISV_E10value_typeET2_T3_PNSW_IS11_E10value_typeET4_jRbjT5_S17_jjP12ihipStream_tbEUljE_EEESS_ST_SU_S11_S15_S17_T6_T7_T9_mT8_S19_bDpT10_ENKUlT_T0_E_clISt17integral_constantIbLb1EES1M_EEDaS1H_S1I_EUlS1H_E_NS1_11comp_targetILNS1_3genE8ELNS1_11target_archE1030ELNS1_3gpuE2ELNS1_3repE0EEENS1_30default_config_static_selectorELNS0_4arch9wavefront6targetE0EEEvSV_,"axG",@progbits,_ZN7rocprim17ROCPRIM_400000_NS6detail17trampoline_kernelINS0_13select_configILj256ELj13ELNS0_17block_load_methodE3ELS4_3ELS4_3ELNS0_20block_scan_algorithmE0ELj4294967295EEENS1_25partition_config_selectorILNS1_17partition_subalgoE3EjNS0_10empty_typeEbEEZZNS1_14partition_implILS8_3ELb0ES6_jNS0_17counting_iteratorIjlEEPS9_SE_NS0_5tupleIJPjSE_EEENSF_IJSE_SE_EEES9_SG_JZNS1_25segmented_radix_sort_implINS0_14default_configELb0EPKlPlSM_SN_N2at6native12_GLOBAL__N_18offset_tEEE10hipError_tPvRmT1_PNSt15iterator_traitsISV_E10value_typeET2_T3_PNSW_IS11_E10value_typeET4_jRbjT5_S17_jjP12ihipStream_tbEUljE_EEESS_ST_SU_S11_S15_S17_T6_T7_T9_mT8_S19_bDpT10_ENKUlT_T0_E_clISt17integral_constantIbLb1EES1M_EEDaS1H_S1I_EUlS1H_E_NS1_11comp_targetILNS1_3genE8ELNS1_11target_archE1030ELNS1_3gpuE2ELNS1_3repE0EEENS1_30default_config_static_selectorELNS0_4arch9wavefront6targetE0EEEvSV_,comdat
	.globl	_ZN7rocprim17ROCPRIM_400000_NS6detail17trampoline_kernelINS0_13select_configILj256ELj13ELNS0_17block_load_methodE3ELS4_3ELS4_3ELNS0_20block_scan_algorithmE0ELj4294967295EEENS1_25partition_config_selectorILNS1_17partition_subalgoE3EjNS0_10empty_typeEbEEZZNS1_14partition_implILS8_3ELb0ES6_jNS0_17counting_iteratorIjlEEPS9_SE_NS0_5tupleIJPjSE_EEENSF_IJSE_SE_EEES9_SG_JZNS1_25segmented_radix_sort_implINS0_14default_configELb0EPKlPlSM_SN_N2at6native12_GLOBAL__N_18offset_tEEE10hipError_tPvRmT1_PNSt15iterator_traitsISV_E10value_typeET2_T3_PNSW_IS11_E10value_typeET4_jRbjT5_S17_jjP12ihipStream_tbEUljE_EEESS_ST_SU_S11_S15_S17_T6_T7_T9_mT8_S19_bDpT10_ENKUlT_T0_E_clISt17integral_constantIbLb1EES1M_EEDaS1H_S1I_EUlS1H_E_NS1_11comp_targetILNS1_3genE8ELNS1_11target_archE1030ELNS1_3gpuE2ELNS1_3repE0EEENS1_30default_config_static_selectorELNS0_4arch9wavefront6targetE0EEEvSV_ ; -- Begin function _ZN7rocprim17ROCPRIM_400000_NS6detail17trampoline_kernelINS0_13select_configILj256ELj13ELNS0_17block_load_methodE3ELS4_3ELS4_3ELNS0_20block_scan_algorithmE0ELj4294967295EEENS1_25partition_config_selectorILNS1_17partition_subalgoE3EjNS0_10empty_typeEbEEZZNS1_14partition_implILS8_3ELb0ES6_jNS0_17counting_iteratorIjlEEPS9_SE_NS0_5tupleIJPjSE_EEENSF_IJSE_SE_EEES9_SG_JZNS1_25segmented_radix_sort_implINS0_14default_configELb0EPKlPlSM_SN_N2at6native12_GLOBAL__N_18offset_tEEE10hipError_tPvRmT1_PNSt15iterator_traitsISV_E10value_typeET2_T3_PNSW_IS11_E10value_typeET4_jRbjT5_S17_jjP12ihipStream_tbEUljE_EEESS_ST_SU_S11_S15_S17_T6_T7_T9_mT8_S19_bDpT10_ENKUlT_T0_E_clISt17integral_constantIbLb1EES1M_EEDaS1H_S1I_EUlS1H_E_NS1_11comp_targetILNS1_3genE8ELNS1_11target_archE1030ELNS1_3gpuE2ELNS1_3repE0EEENS1_30default_config_static_selectorELNS0_4arch9wavefront6targetE0EEEvSV_
	.p2align	8
	.type	_ZN7rocprim17ROCPRIM_400000_NS6detail17trampoline_kernelINS0_13select_configILj256ELj13ELNS0_17block_load_methodE3ELS4_3ELS4_3ELNS0_20block_scan_algorithmE0ELj4294967295EEENS1_25partition_config_selectorILNS1_17partition_subalgoE3EjNS0_10empty_typeEbEEZZNS1_14partition_implILS8_3ELb0ES6_jNS0_17counting_iteratorIjlEEPS9_SE_NS0_5tupleIJPjSE_EEENSF_IJSE_SE_EEES9_SG_JZNS1_25segmented_radix_sort_implINS0_14default_configELb0EPKlPlSM_SN_N2at6native12_GLOBAL__N_18offset_tEEE10hipError_tPvRmT1_PNSt15iterator_traitsISV_E10value_typeET2_T3_PNSW_IS11_E10value_typeET4_jRbjT5_S17_jjP12ihipStream_tbEUljE_EEESS_ST_SU_S11_S15_S17_T6_T7_T9_mT8_S19_bDpT10_ENKUlT_T0_E_clISt17integral_constantIbLb1EES1M_EEDaS1H_S1I_EUlS1H_E_NS1_11comp_targetILNS1_3genE8ELNS1_11target_archE1030ELNS1_3gpuE2ELNS1_3repE0EEENS1_30default_config_static_selectorELNS0_4arch9wavefront6targetE0EEEvSV_,@function
_ZN7rocprim17ROCPRIM_400000_NS6detail17trampoline_kernelINS0_13select_configILj256ELj13ELNS0_17block_load_methodE3ELS4_3ELS4_3ELNS0_20block_scan_algorithmE0ELj4294967295EEENS1_25partition_config_selectorILNS1_17partition_subalgoE3EjNS0_10empty_typeEbEEZZNS1_14partition_implILS8_3ELb0ES6_jNS0_17counting_iteratorIjlEEPS9_SE_NS0_5tupleIJPjSE_EEENSF_IJSE_SE_EEES9_SG_JZNS1_25segmented_radix_sort_implINS0_14default_configELb0EPKlPlSM_SN_N2at6native12_GLOBAL__N_18offset_tEEE10hipError_tPvRmT1_PNSt15iterator_traitsISV_E10value_typeET2_T3_PNSW_IS11_E10value_typeET4_jRbjT5_S17_jjP12ihipStream_tbEUljE_EEESS_ST_SU_S11_S15_S17_T6_T7_T9_mT8_S19_bDpT10_ENKUlT_T0_E_clISt17integral_constantIbLb1EES1M_EEDaS1H_S1I_EUlS1H_E_NS1_11comp_targetILNS1_3genE8ELNS1_11target_archE1030ELNS1_3gpuE2ELNS1_3repE0EEENS1_30default_config_static_selectorELNS0_4arch9wavefront6targetE0EEEvSV_: ; @_ZN7rocprim17ROCPRIM_400000_NS6detail17trampoline_kernelINS0_13select_configILj256ELj13ELNS0_17block_load_methodE3ELS4_3ELS4_3ELNS0_20block_scan_algorithmE0ELj4294967295EEENS1_25partition_config_selectorILNS1_17partition_subalgoE3EjNS0_10empty_typeEbEEZZNS1_14partition_implILS8_3ELb0ES6_jNS0_17counting_iteratorIjlEEPS9_SE_NS0_5tupleIJPjSE_EEENSF_IJSE_SE_EEES9_SG_JZNS1_25segmented_radix_sort_implINS0_14default_configELb0EPKlPlSM_SN_N2at6native12_GLOBAL__N_18offset_tEEE10hipError_tPvRmT1_PNSt15iterator_traitsISV_E10value_typeET2_T3_PNSW_IS11_E10value_typeET4_jRbjT5_S17_jjP12ihipStream_tbEUljE_EEESS_ST_SU_S11_S15_S17_T6_T7_T9_mT8_S19_bDpT10_ENKUlT_T0_E_clISt17integral_constantIbLb1EES1M_EEDaS1H_S1I_EUlS1H_E_NS1_11comp_targetILNS1_3genE8ELNS1_11target_archE1030ELNS1_3gpuE2ELNS1_3repE0EEENS1_30default_config_static_selectorELNS0_4arch9wavefront6targetE0EEEvSV_
; %bb.0:
	.section	.rodata,"a",@progbits
	.p2align	6, 0x0
	.amdhsa_kernel _ZN7rocprim17ROCPRIM_400000_NS6detail17trampoline_kernelINS0_13select_configILj256ELj13ELNS0_17block_load_methodE3ELS4_3ELS4_3ELNS0_20block_scan_algorithmE0ELj4294967295EEENS1_25partition_config_selectorILNS1_17partition_subalgoE3EjNS0_10empty_typeEbEEZZNS1_14partition_implILS8_3ELb0ES6_jNS0_17counting_iteratorIjlEEPS9_SE_NS0_5tupleIJPjSE_EEENSF_IJSE_SE_EEES9_SG_JZNS1_25segmented_radix_sort_implINS0_14default_configELb0EPKlPlSM_SN_N2at6native12_GLOBAL__N_18offset_tEEE10hipError_tPvRmT1_PNSt15iterator_traitsISV_E10value_typeET2_T3_PNSW_IS11_E10value_typeET4_jRbjT5_S17_jjP12ihipStream_tbEUljE_EEESS_ST_SU_S11_S15_S17_T6_T7_T9_mT8_S19_bDpT10_ENKUlT_T0_E_clISt17integral_constantIbLb1EES1M_EEDaS1H_S1I_EUlS1H_E_NS1_11comp_targetILNS1_3genE8ELNS1_11target_archE1030ELNS1_3gpuE2ELNS1_3repE0EEENS1_30default_config_static_selectorELNS0_4arch9wavefront6targetE0EEEvSV_
		.amdhsa_group_segment_fixed_size 0
		.amdhsa_private_segment_fixed_size 0
		.amdhsa_kernarg_size 152
		.amdhsa_user_sgpr_count 2
		.amdhsa_user_sgpr_dispatch_ptr 0
		.amdhsa_user_sgpr_queue_ptr 0
		.amdhsa_user_sgpr_kernarg_segment_ptr 1
		.amdhsa_user_sgpr_dispatch_id 0
		.amdhsa_user_sgpr_private_segment_size 0
		.amdhsa_wavefront_size32 1
		.amdhsa_uses_dynamic_stack 0
		.amdhsa_enable_private_segment 0
		.amdhsa_system_sgpr_workgroup_id_x 1
		.amdhsa_system_sgpr_workgroup_id_y 0
		.amdhsa_system_sgpr_workgroup_id_z 0
		.amdhsa_system_sgpr_workgroup_info 0
		.amdhsa_system_vgpr_workitem_id 0
		.amdhsa_next_free_vgpr 1
		.amdhsa_next_free_sgpr 1
		.amdhsa_reserve_vcc 0
		.amdhsa_float_round_mode_32 0
		.amdhsa_float_round_mode_16_64 0
		.amdhsa_float_denorm_mode_32 3
		.amdhsa_float_denorm_mode_16_64 3
		.amdhsa_fp16_overflow 0
		.amdhsa_workgroup_processor_mode 1
		.amdhsa_memory_ordered 1
		.amdhsa_forward_progress 1
		.amdhsa_inst_pref_size 0
		.amdhsa_round_robin_scheduling 0
		.amdhsa_exception_fp_ieee_invalid_op 0
		.amdhsa_exception_fp_denorm_src 0
		.amdhsa_exception_fp_ieee_div_zero 0
		.amdhsa_exception_fp_ieee_overflow 0
		.amdhsa_exception_fp_ieee_underflow 0
		.amdhsa_exception_fp_ieee_inexact 0
		.amdhsa_exception_int_div_zero 0
	.end_amdhsa_kernel
	.section	.text._ZN7rocprim17ROCPRIM_400000_NS6detail17trampoline_kernelINS0_13select_configILj256ELj13ELNS0_17block_load_methodE3ELS4_3ELS4_3ELNS0_20block_scan_algorithmE0ELj4294967295EEENS1_25partition_config_selectorILNS1_17partition_subalgoE3EjNS0_10empty_typeEbEEZZNS1_14partition_implILS8_3ELb0ES6_jNS0_17counting_iteratorIjlEEPS9_SE_NS0_5tupleIJPjSE_EEENSF_IJSE_SE_EEES9_SG_JZNS1_25segmented_radix_sort_implINS0_14default_configELb0EPKlPlSM_SN_N2at6native12_GLOBAL__N_18offset_tEEE10hipError_tPvRmT1_PNSt15iterator_traitsISV_E10value_typeET2_T3_PNSW_IS11_E10value_typeET4_jRbjT5_S17_jjP12ihipStream_tbEUljE_EEESS_ST_SU_S11_S15_S17_T6_T7_T9_mT8_S19_bDpT10_ENKUlT_T0_E_clISt17integral_constantIbLb1EES1M_EEDaS1H_S1I_EUlS1H_E_NS1_11comp_targetILNS1_3genE8ELNS1_11target_archE1030ELNS1_3gpuE2ELNS1_3repE0EEENS1_30default_config_static_selectorELNS0_4arch9wavefront6targetE0EEEvSV_,"axG",@progbits,_ZN7rocprim17ROCPRIM_400000_NS6detail17trampoline_kernelINS0_13select_configILj256ELj13ELNS0_17block_load_methodE3ELS4_3ELS4_3ELNS0_20block_scan_algorithmE0ELj4294967295EEENS1_25partition_config_selectorILNS1_17partition_subalgoE3EjNS0_10empty_typeEbEEZZNS1_14partition_implILS8_3ELb0ES6_jNS0_17counting_iteratorIjlEEPS9_SE_NS0_5tupleIJPjSE_EEENSF_IJSE_SE_EEES9_SG_JZNS1_25segmented_radix_sort_implINS0_14default_configELb0EPKlPlSM_SN_N2at6native12_GLOBAL__N_18offset_tEEE10hipError_tPvRmT1_PNSt15iterator_traitsISV_E10value_typeET2_T3_PNSW_IS11_E10value_typeET4_jRbjT5_S17_jjP12ihipStream_tbEUljE_EEESS_ST_SU_S11_S15_S17_T6_T7_T9_mT8_S19_bDpT10_ENKUlT_T0_E_clISt17integral_constantIbLb1EES1M_EEDaS1H_S1I_EUlS1H_E_NS1_11comp_targetILNS1_3genE8ELNS1_11target_archE1030ELNS1_3gpuE2ELNS1_3repE0EEENS1_30default_config_static_selectorELNS0_4arch9wavefront6targetE0EEEvSV_,comdat
.Lfunc_end790:
	.size	_ZN7rocprim17ROCPRIM_400000_NS6detail17trampoline_kernelINS0_13select_configILj256ELj13ELNS0_17block_load_methodE3ELS4_3ELS4_3ELNS0_20block_scan_algorithmE0ELj4294967295EEENS1_25partition_config_selectorILNS1_17partition_subalgoE3EjNS0_10empty_typeEbEEZZNS1_14partition_implILS8_3ELb0ES6_jNS0_17counting_iteratorIjlEEPS9_SE_NS0_5tupleIJPjSE_EEENSF_IJSE_SE_EEES9_SG_JZNS1_25segmented_radix_sort_implINS0_14default_configELb0EPKlPlSM_SN_N2at6native12_GLOBAL__N_18offset_tEEE10hipError_tPvRmT1_PNSt15iterator_traitsISV_E10value_typeET2_T3_PNSW_IS11_E10value_typeET4_jRbjT5_S17_jjP12ihipStream_tbEUljE_EEESS_ST_SU_S11_S15_S17_T6_T7_T9_mT8_S19_bDpT10_ENKUlT_T0_E_clISt17integral_constantIbLb1EES1M_EEDaS1H_S1I_EUlS1H_E_NS1_11comp_targetILNS1_3genE8ELNS1_11target_archE1030ELNS1_3gpuE2ELNS1_3repE0EEENS1_30default_config_static_selectorELNS0_4arch9wavefront6targetE0EEEvSV_, .Lfunc_end790-_ZN7rocprim17ROCPRIM_400000_NS6detail17trampoline_kernelINS0_13select_configILj256ELj13ELNS0_17block_load_methodE3ELS4_3ELS4_3ELNS0_20block_scan_algorithmE0ELj4294967295EEENS1_25partition_config_selectorILNS1_17partition_subalgoE3EjNS0_10empty_typeEbEEZZNS1_14partition_implILS8_3ELb0ES6_jNS0_17counting_iteratorIjlEEPS9_SE_NS0_5tupleIJPjSE_EEENSF_IJSE_SE_EEES9_SG_JZNS1_25segmented_radix_sort_implINS0_14default_configELb0EPKlPlSM_SN_N2at6native12_GLOBAL__N_18offset_tEEE10hipError_tPvRmT1_PNSt15iterator_traitsISV_E10value_typeET2_T3_PNSW_IS11_E10value_typeET4_jRbjT5_S17_jjP12ihipStream_tbEUljE_EEESS_ST_SU_S11_S15_S17_T6_T7_T9_mT8_S19_bDpT10_ENKUlT_T0_E_clISt17integral_constantIbLb1EES1M_EEDaS1H_S1I_EUlS1H_E_NS1_11comp_targetILNS1_3genE8ELNS1_11target_archE1030ELNS1_3gpuE2ELNS1_3repE0EEENS1_30default_config_static_selectorELNS0_4arch9wavefront6targetE0EEEvSV_
                                        ; -- End function
	.set _ZN7rocprim17ROCPRIM_400000_NS6detail17trampoline_kernelINS0_13select_configILj256ELj13ELNS0_17block_load_methodE3ELS4_3ELS4_3ELNS0_20block_scan_algorithmE0ELj4294967295EEENS1_25partition_config_selectorILNS1_17partition_subalgoE3EjNS0_10empty_typeEbEEZZNS1_14partition_implILS8_3ELb0ES6_jNS0_17counting_iteratorIjlEEPS9_SE_NS0_5tupleIJPjSE_EEENSF_IJSE_SE_EEES9_SG_JZNS1_25segmented_radix_sort_implINS0_14default_configELb0EPKlPlSM_SN_N2at6native12_GLOBAL__N_18offset_tEEE10hipError_tPvRmT1_PNSt15iterator_traitsISV_E10value_typeET2_T3_PNSW_IS11_E10value_typeET4_jRbjT5_S17_jjP12ihipStream_tbEUljE_EEESS_ST_SU_S11_S15_S17_T6_T7_T9_mT8_S19_bDpT10_ENKUlT_T0_E_clISt17integral_constantIbLb1EES1M_EEDaS1H_S1I_EUlS1H_E_NS1_11comp_targetILNS1_3genE8ELNS1_11target_archE1030ELNS1_3gpuE2ELNS1_3repE0EEENS1_30default_config_static_selectorELNS0_4arch9wavefront6targetE0EEEvSV_.num_vgpr, 0
	.set _ZN7rocprim17ROCPRIM_400000_NS6detail17trampoline_kernelINS0_13select_configILj256ELj13ELNS0_17block_load_methodE3ELS4_3ELS4_3ELNS0_20block_scan_algorithmE0ELj4294967295EEENS1_25partition_config_selectorILNS1_17partition_subalgoE3EjNS0_10empty_typeEbEEZZNS1_14partition_implILS8_3ELb0ES6_jNS0_17counting_iteratorIjlEEPS9_SE_NS0_5tupleIJPjSE_EEENSF_IJSE_SE_EEES9_SG_JZNS1_25segmented_radix_sort_implINS0_14default_configELb0EPKlPlSM_SN_N2at6native12_GLOBAL__N_18offset_tEEE10hipError_tPvRmT1_PNSt15iterator_traitsISV_E10value_typeET2_T3_PNSW_IS11_E10value_typeET4_jRbjT5_S17_jjP12ihipStream_tbEUljE_EEESS_ST_SU_S11_S15_S17_T6_T7_T9_mT8_S19_bDpT10_ENKUlT_T0_E_clISt17integral_constantIbLb1EES1M_EEDaS1H_S1I_EUlS1H_E_NS1_11comp_targetILNS1_3genE8ELNS1_11target_archE1030ELNS1_3gpuE2ELNS1_3repE0EEENS1_30default_config_static_selectorELNS0_4arch9wavefront6targetE0EEEvSV_.num_agpr, 0
	.set _ZN7rocprim17ROCPRIM_400000_NS6detail17trampoline_kernelINS0_13select_configILj256ELj13ELNS0_17block_load_methodE3ELS4_3ELS4_3ELNS0_20block_scan_algorithmE0ELj4294967295EEENS1_25partition_config_selectorILNS1_17partition_subalgoE3EjNS0_10empty_typeEbEEZZNS1_14partition_implILS8_3ELb0ES6_jNS0_17counting_iteratorIjlEEPS9_SE_NS0_5tupleIJPjSE_EEENSF_IJSE_SE_EEES9_SG_JZNS1_25segmented_radix_sort_implINS0_14default_configELb0EPKlPlSM_SN_N2at6native12_GLOBAL__N_18offset_tEEE10hipError_tPvRmT1_PNSt15iterator_traitsISV_E10value_typeET2_T3_PNSW_IS11_E10value_typeET4_jRbjT5_S17_jjP12ihipStream_tbEUljE_EEESS_ST_SU_S11_S15_S17_T6_T7_T9_mT8_S19_bDpT10_ENKUlT_T0_E_clISt17integral_constantIbLb1EES1M_EEDaS1H_S1I_EUlS1H_E_NS1_11comp_targetILNS1_3genE8ELNS1_11target_archE1030ELNS1_3gpuE2ELNS1_3repE0EEENS1_30default_config_static_selectorELNS0_4arch9wavefront6targetE0EEEvSV_.numbered_sgpr, 0
	.set _ZN7rocprim17ROCPRIM_400000_NS6detail17trampoline_kernelINS0_13select_configILj256ELj13ELNS0_17block_load_methodE3ELS4_3ELS4_3ELNS0_20block_scan_algorithmE0ELj4294967295EEENS1_25partition_config_selectorILNS1_17partition_subalgoE3EjNS0_10empty_typeEbEEZZNS1_14partition_implILS8_3ELb0ES6_jNS0_17counting_iteratorIjlEEPS9_SE_NS0_5tupleIJPjSE_EEENSF_IJSE_SE_EEES9_SG_JZNS1_25segmented_radix_sort_implINS0_14default_configELb0EPKlPlSM_SN_N2at6native12_GLOBAL__N_18offset_tEEE10hipError_tPvRmT1_PNSt15iterator_traitsISV_E10value_typeET2_T3_PNSW_IS11_E10value_typeET4_jRbjT5_S17_jjP12ihipStream_tbEUljE_EEESS_ST_SU_S11_S15_S17_T6_T7_T9_mT8_S19_bDpT10_ENKUlT_T0_E_clISt17integral_constantIbLb1EES1M_EEDaS1H_S1I_EUlS1H_E_NS1_11comp_targetILNS1_3genE8ELNS1_11target_archE1030ELNS1_3gpuE2ELNS1_3repE0EEENS1_30default_config_static_selectorELNS0_4arch9wavefront6targetE0EEEvSV_.num_named_barrier, 0
	.set _ZN7rocprim17ROCPRIM_400000_NS6detail17trampoline_kernelINS0_13select_configILj256ELj13ELNS0_17block_load_methodE3ELS4_3ELS4_3ELNS0_20block_scan_algorithmE0ELj4294967295EEENS1_25partition_config_selectorILNS1_17partition_subalgoE3EjNS0_10empty_typeEbEEZZNS1_14partition_implILS8_3ELb0ES6_jNS0_17counting_iteratorIjlEEPS9_SE_NS0_5tupleIJPjSE_EEENSF_IJSE_SE_EEES9_SG_JZNS1_25segmented_radix_sort_implINS0_14default_configELb0EPKlPlSM_SN_N2at6native12_GLOBAL__N_18offset_tEEE10hipError_tPvRmT1_PNSt15iterator_traitsISV_E10value_typeET2_T3_PNSW_IS11_E10value_typeET4_jRbjT5_S17_jjP12ihipStream_tbEUljE_EEESS_ST_SU_S11_S15_S17_T6_T7_T9_mT8_S19_bDpT10_ENKUlT_T0_E_clISt17integral_constantIbLb1EES1M_EEDaS1H_S1I_EUlS1H_E_NS1_11comp_targetILNS1_3genE8ELNS1_11target_archE1030ELNS1_3gpuE2ELNS1_3repE0EEENS1_30default_config_static_selectorELNS0_4arch9wavefront6targetE0EEEvSV_.private_seg_size, 0
	.set _ZN7rocprim17ROCPRIM_400000_NS6detail17trampoline_kernelINS0_13select_configILj256ELj13ELNS0_17block_load_methodE3ELS4_3ELS4_3ELNS0_20block_scan_algorithmE0ELj4294967295EEENS1_25partition_config_selectorILNS1_17partition_subalgoE3EjNS0_10empty_typeEbEEZZNS1_14partition_implILS8_3ELb0ES6_jNS0_17counting_iteratorIjlEEPS9_SE_NS0_5tupleIJPjSE_EEENSF_IJSE_SE_EEES9_SG_JZNS1_25segmented_radix_sort_implINS0_14default_configELb0EPKlPlSM_SN_N2at6native12_GLOBAL__N_18offset_tEEE10hipError_tPvRmT1_PNSt15iterator_traitsISV_E10value_typeET2_T3_PNSW_IS11_E10value_typeET4_jRbjT5_S17_jjP12ihipStream_tbEUljE_EEESS_ST_SU_S11_S15_S17_T6_T7_T9_mT8_S19_bDpT10_ENKUlT_T0_E_clISt17integral_constantIbLb1EES1M_EEDaS1H_S1I_EUlS1H_E_NS1_11comp_targetILNS1_3genE8ELNS1_11target_archE1030ELNS1_3gpuE2ELNS1_3repE0EEENS1_30default_config_static_selectorELNS0_4arch9wavefront6targetE0EEEvSV_.uses_vcc, 0
	.set _ZN7rocprim17ROCPRIM_400000_NS6detail17trampoline_kernelINS0_13select_configILj256ELj13ELNS0_17block_load_methodE3ELS4_3ELS4_3ELNS0_20block_scan_algorithmE0ELj4294967295EEENS1_25partition_config_selectorILNS1_17partition_subalgoE3EjNS0_10empty_typeEbEEZZNS1_14partition_implILS8_3ELb0ES6_jNS0_17counting_iteratorIjlEEPS9_SE_NS0_5tupleIJPjSE_EEENSF_IJSE_SE_EEES9_SG_JZNS1_25segmented_radix_sort_implINS0_14default_configELb0EPKlPlSM_SN_N2at6native12_GLOBAL__N_18offset_tEEE10hipError_tPvRmT1_PNSt15iterator_traitsISV_E10value_typeET2_T3_PNSW_IS11_E10value_typeET4_jRbjT5_S17_jjP12ihipStream_tbEUljE_EEESS_ST_SU_S11_S15_S17_T6_T7_T9_mT8_S19_bDpT10_ENKUlT_T0_E_clISt17integral_constantIbLb1EES1M_EEDaS1H_S1I_EUlS1H_E_NS1_11comp_targetILNS1_3genE8ELNS1_11target_archE1030ELNS1_3gpuE2ELNS1_3repE0EEENS1_30default_config_static_selectorELNS0_4arch9wavefront6targetE0EEEvSV_.uses_flat_scratch, 0
	.set _ZN7rocprim17ROCPRIM_400000_NS6detail17trampoline_kernelINS0_13select_configILj256ELj13ELNS0_17block_load_methodE3ELS4_3ELS4_3ELNS0_20block_scan_algorithmE0ELj4294967295EEENS1_25partition_config_selectorILNS1_17partition_subalgoE3EjNS0_10empty_typeEbEEZZNS1_14partition_implILS8_3ELb0ES6_jNS0_17counting_iteratorIjlEEPS9_SE_NS0_5tupleIJPjSE_EEENSF_IJSE_SE_EEES9_SG_JZNS1_25segmented_radix_sort_implINS0_14default_configELb0EPKlPlSM_SN_N2at6native12_GLOBAL__N_18offset_tEEE10hipError_tPvRmT1_PNSt15iterator_traitsISV_E10value_typeET2_T3_PNSW_IS11_E10value_typeET4_jRbjT5_S17_jjP12ihipStream_tbEUljE_EEESS_ST_SU_S11_S15_S17_T6_T7_T9_mT8_S19_bDpT10_ENKUlT_T0_E_clISt17integral_constantIbLb1EES1M_EEDaS1H_S1I_EUlS1H_E_NS1_11comp_targetILNS1_3genE8ELNS1_11target_archE1030ELNS1_3gpuE2ELNS1_3repE0EEENS1_30default_config_static_selectorELNS0_4arch9wavefront6targetE0EEEvSV_.has_dyn_sized_stack, 0
	.set _ZN7rocprim17ROCPRIM_400000_NS6detail17trampoline_kernelINS0_13select_configILj256ELj13ELNS0_17block_load_methodE3ELS4_3ELS4_3ELNS0_20block_scan_algorithmE0ELj4294967295EEENS1_25partition_config_selectorILNS1_17partition_subalgoE3EjNS0_10empty_typeEbEEZZNS1_14partition_implILS8_3ELb0ES6_jNS0_17counting_iteratorIjlEEPS9_SE_NS0_5tupleIJPjSE_EEENSF_IJSE_SE_EEES9_SG_JZNS1_25segmented_radix_sort_implINS0_14default_configELb0EPKlPlSM_SN_N2at6native12_GLOBAL__N_18offset_tEEE10hipError_tPvRmT1_PNSt15iterator_traitsISV_E10value_typeET2_T3_PNSW_IS11_E10value_typeET4_jRbjT5_S17_jjP12ihipStream_tbEUljE_EEESS_ST_SU_S11_S15_S17_T6_T7_T9_mT8_S19_bDpT10_ENKUlT_T0_E_clISt17integral_constantIbLb1EES1M_EEDaS1H_S1I_EUlS1H_E_NS1_11comp_targetILNS1_3genE8ELNS1_11target_archE1030ELNS1_3gpuE2ELNS1_3repE0EEENS1_30default_config_static_selectorELNS0_4arch9wavefront6targetE0EEEvSV_.has_recursion, 0
	.set _ZN7rocprim17ROCPRIM_400000_NS6detail17trampoline_kernelINS0_13select_configILj256ELj13ELNS0_17block_load_methodE3ELS4_3ELS4_3ELNS0_20block_scan_algorithmE0ELj4294967295EEENS1_25partition_config_selectorILNS1_17partition_subalgoE3EjNS0_10empty_typeEbEEZZNS1_14partition_implILS8_3ELb0ES6_jNS0_17counting_iteratorIjlEEPS9_SE_NS0_5tupleIJPjSE_EEENSF_IJSE_SE_EEES9_SG_JZNS1_25segmented_radix_sort_implINS0_14default_configELb0EPKlPlSM_SN_N2at6native12_GLOBAL__N_18offset_tEEE10hipError_tPvRmT1_PNSt15iterator_traitsISV_E10value_typeET2_T3_PNSW_IS11_E10value_typeET4_jRbjT5_S17_jjP12ihipStream_tbEUljE_EEESS_ST_SU_S11_S15_S17_T6_T7_T9_mT8_S19_bDpT10_ENKUlT_T0_E_clISt17integral_constantIbLb1EES1M_EEDaS1H_S1I_EUlS1H_E_NS1_11comp_targetILNS1_3genE8ELNS1_11target_archE1030ELNS1_3gpuE2ELNS1_3repE0EEENS1_30default_config_static_selectorELNS0_4arch9wavefront6targetE0EEEvSV_.has_indirect_call, 0
	.section	.AMDGPU.csdata,"",@progbits
; Kernel info:
; codeLenInByte = 0
; TotalNumSgprs: 0
; NumVgprs: 0
; ScratchSize: 0
; MemoryBound: 0
; FloatMode: 240
; IeeeMode: 1
; LDSByteSize: 0 bytes/workgroup (compile time only)
; SGPRBlocks: 0
; VGPRBlocks: 0
; NumSGPRsForWavesPerEU: 1
; NumVGPRsForWavesPerEU: 1
; Occupancy: 16
; WaveLimiterHint : 0
; COMPUTE_PGM_RSRC2:SCRATCH_EN: 0
; COMPUTE_PGM_RSRC2:USER_SGPR: 2
; COMPUTE_PGM_RSRC2:TRAP_HANDLER: 0
; COMPUTE_PGM_RSRC2:TGID_X_EN: 1
; COMPUTE_PGM_RSRC2:TGID_Y_EN: 0
; COMPUTE_PGM_RSRC2:TGID_Z_EN: 0
; COMPUTE_PGM_RSRC2:TIDIG_COMP_CNT: 0
	.section	.text._ZN7rocprim17ROCPRIM_400000_NS6detail17trampoline_kernelINS0_13select_configILj256ELj13ELNS0_17block_load_methodE3ELS4_3ELS4_3ELNS0_20block_scan_algorithmE0ELj4294967295EEENS1_25partition_config_selectorILNS1_17partition_subalgoE3EjNS0_10empty_typeEbEEZZNS1_14partition_implILS8_3ELb0ES6_jNS0_17counting_iteratorIjlEEPS9_SE_NS0_5tupleIJPjSE_EEENSF_IJSE_SE_EEES9_SG_JZNS1_25segmented_radix_sort_implINS0_14default_configELb0EPKlPlSM_SN_N2at6native12_GLOBAL__N_18offset_tEEE10hipError_tPvRmT1_PNSt15iterator_traitsISV_E10value_typeET2_T3_PNSW_IS11_E10value_typeET4_jRbjT5_S17_jjP12ihipStream_tbEUljE_EEESS_ST_SU_S11_S15_S17_T6_T7_T9_mT8_S19_bDpT10_ENKUlT_T0_E_clISt17integral_constantIbLb1EES1L_IbLb0EEEEDaS1H_S1I_EUlS1H_E_NS1_11comp_targetILNS1_3genE0ELNS1_11target_archE4294967295ELNS1_3gpuE0ELNS1_3repE0EEENS1_30default_config_static_selectorELNS0_4arch9wavefront6targetE0EEEvSV_,"axG",@progbits,_ZN7rocprim17ROCPRIM_400000_NS6detail17trampoline_kernelINS0_13select_configILj256ELj13ELNS0_17block_load_methodE3ELS4_3ELS4_3ELNS0_20block_scan_algorithmE0ELj4294967295EEENS1_25partition_config_selectorILNS1_17partition_subalgoE3EjNS0_10empty_typeEbEEZZNS1_14partition_implILS8_3ELb0ES6_jNS0_17counting_iteratorIjlEEPS9_SE_NS0_5tupleIJPjSE_EEENSF_IJSE_SE_EEES9_SG_JZNS1_25segmented_radix_sort_implINS0_14default_configELb0EPKlPlSM_SN_N2at6native12_GLOBAL__N_18offset_tEEE10hipError_tPvRmT1_PNSt15iterator_traitsISV_E10value_typeET2_T3_PNSW_IS11_E10value_typeET4_jRbjT5_S17_jjP12ihipStream_tbEUljE_EEESS_ST_SU_S11_S15_S17_T6_T7_T9_mT8_S19_bDpT10_ENKUlT_T0_E_clISt17integral_constantIbLb1EES1L_IbLb0EEEEDaS1H_S1I_EUlS1H_E_NS1_11comp_targetILNS1_3genE0ELNS1_11target_archE4294967295ELNS1_3gpuE0ELNS1_3repE0EEENS1_30default_config_static_selectorELNS0_4arch9wavefront6targetE0EEEvSV_,comdat
	.globl	_ZN7rocprim17ROCPRIM_400000_NS6detail17trampoline_kernelINS0_13select_configILj256ELj13ELNS0_17block_load_methodE3ELS4_3ELS4_3ELNS0_20block_scan_algorithmE0ELj4294967295EEENS1_25partition_config_selectorILNS1_17partition_subalgoE3EjNS0_10empty_typeEbEEZZNS1_14partition_implILS8_3ELb0ES6_jNS0_17counting_iteratorIjlEEPS9_SE_NS0_5tupleIJPjSE_EEENSF_IJSE_SE_EEES9_SG_JZNS1_25segmented_radix_sort_implINS0_14default_configELb0EPKlPlSM_SN_N2at6native12_GLOBAL__N_18offset_tEEE10hipError_tPvRmT1_PNSt15iterator_traitsISV_E10value_typeET2_T3_PNSW_IS11_E10value_typeET4_jRbjT5_S17_jjP12ihipStream_tbEUljE_EEESS_ST_SU_S11_S15_S17_T6_T7_T9_mT8_S19_bDpT10_ENKUlT_T0_E_clISt17integral_constantIbLb1EES1L_IbLb0EEEEDaS1H_S1I_EUlS1H_E_NS1_11comp_targetILNS1_3genE0ELNS1_11target_archE4294967295ELNS1_3gpuE0ELNS1_3repE0EEENS1_30default_config_static_selectorELNS0_4arch9wavefront6targetE0EEEvSV_ ; -- Begin function _ZN7rocprim17ROCPRIM_400000_NS6detail17trampoline_kernelINS0_13select_configILj256ELj13ELNS0_17block_load_methodE3ELS4_3ELS4_3ELNS0_20block_scan_algorithmE0ELj4294967295EEENS1_25partition_config_selectorILNS1_17partition_subalgoE3EjNS0_10empty_typeEbEEZZNS1_14partition_implILS8_3ELb0ES6_jNS0_17counting_iteratorIjlEEPS9_SE_NS0_5tupleIJPjSE_EEENSF_IJSE_SE_EEES9_SG_JZNS1_25segmented_radix_sort_implINS0_14default_configELb0EPKlPlSM_SN_N2at6native12_GLOBAL__N_18offset_tEEE10hipError_tPvRmT1_PNSt15iterator_traitsISV_E10value_typeET2_T3_PNSW_IS11_E10value_typeET4_jRbjT5_S17_jjP12ihipStream_tbEUljE_EEESS_ST_SU_S11_S15_S17_T6_T7_T9_mT8_S19_bDpT10_ENKUlT_T0_E_clISt17integral_constantIbLb1EES1L_IbLb0EEEEDaS1H_S1I_EUlS1H_E_NS1_11comp_targetILNS1_3genE0ELNS1_11target_archE4294967295ELNS1_3gpuE0ELNS1_3repE0EEENS1_30default_config_static_selectorELNS0_4arch9wavefront6targetE0EEEvSV_
	.p2align	8
	.type	_ZN7rocprim17ROCPRIM_400000_NS6detail17trampoline_kernelINS0_13select_configILj256ELj13ELNS0_17block_load_methodE3ELS4_3ELS4_3ELNS0_20block_scan_algorithmE0ELj4294967295EEENS1_25partition_config_selectorILNS1_17partition_subalgoE3EjNS0_10empty_typeEbEEZZNS1_14partition_implILS8_3ELb0ES6_jNS0_17counting_iteratorIjlEEPS9_SE_NS0_5tupleIJPjSE_EEENSF_IJSE_SE_EEES9_SG_JZNS1_25segmented_radix_sort_implINS0_14default_configELb0EPKlPlSM_SN_N2at6native12_GLOBAL__N_18offset_tEEE10hipError_tPvRmT1_PNSt15iterator_traitsISV_E10value_typeET2_T3_PNSW_IS11_E10value_typeET4_jRbjT5_S17_jjP12ihipStream_tbEUljE_EEESS_ST_SU_S11_S15_S17_T6_T7_T9_mT8_S19_bDpT10_ENKUlT_T0_E_clISt17integral_constantIbLb1EES1L_IbLb0EEEEDaS1H_S1I_EUlS1H_E_NS1_11comp_targetILNS1_3genE0ELNS1_11target_archE4294967295ELNS1_3gpuE0ELNS1_3repE0EEENS1_30default_config_static_selectorELNS0_4arch9wavefront6targetE0EEEvSV_,@function
_ZN7rocprim17ROCPRIM_400000_NS6detail17trampoline_kernelINS0_13select_configILj256ELj13ELNS0_17block_load_methodE3ELS4_3ELS4_3ELNS0_20block_scan_algorithmE0ELj4294967295EEENS1_25partition_config_selectorILNS1_17partition_subalgoE3EjNS0_10empty_typeEbEEZZNS1_14partition_implILS8_3ELb0ES6_jNS0_17counting_iteratorIjlEEPS9_SE_NS0_5tupleIJPjSE_EEENSF_IJSE_SE_EEES9_SG_JZNS1_25segmented_radix_sort_implINS0_14default_configELb0EPKlPlSM_SN_N2at6native12_GLOBAL__N_18offset_tEEE10hipError_tPvRmT1_PNSt15iterator_traitsISV_E10value_typeET2_T3_PNSW_IS11_E10value_typeET4_jRbjT5_S17_jjP12ihipStream_tbEUljE_EEESS_ST_SU_S11_S15_S17_T6_T7_T9_mT8_S19_bDpT10_ENKUlT_T0_E_clISt17integral_constantIbLb1EES1L_IbLb0EEEEDaS1H_S1I_EUlS1H_E_NS1_11comp_targetILNS1_3genE0ELNS1_11target_archE4294967295ELNS1_3gpuE0ELNS1_3repE0EEENS1_30default_config_static_selectorELNS0_4arch9wavefront6targetE0EEEvSV_: ; @_ZN7rocprim17ROCPRIM_400000_NS6detail17trampoline_kernelINS0_13select_configILj256ELj13ELNS0_17block_load_methodE3ELS4_3ELS4_3ELNS0_20block_scan_algorithmE0ELj4294967295EEENS1_25partition_config_selectorILNS1_17partition_subalgoE3EjNS0_10empty_typeEbEEZZNS1_14partition_implILS8_3ELb0ES6_jNS0_17counting_iteratorIjlEEPS9_SE_NS0_5tupleIJPjSE_EEENSF_IJSE_SE_EEES9_SG_JZNS1_25segmented_radix_sort_implINS0_14default_configELb0EPKlPlSM_SN_N2at6native12_GLOBAL__N_18offset_tEEE10hipError_tPvRmT1_PNSt15iterator_traitsISV_E10value_typeET2_T3_PNSW_IS11_E10value_typeET4_jRbjT5_S17_jjP12ihipStream_tbEUljE_EEESS_ST_SU_S11_S15_S17_T6_T7_T9_mT8_S19_bDpT10_ENKUlT_T0_E_clISt17integral_constantIbLb1EES1L_IbLb0EEEEDaS1H_S1I_EUlS1H_E_NS1_11comp_targetILNS1_3genE0ELNS1_11target_archE4294967295ELNS1_3gpuE0ELNS1_3repE0EEENS1_30default_config_static_selectorELNS0_4arch9wavefront6targetE0EEEvSV_
; %bb.0:
	.section	.rodata,"a",@progbits
	.p2align	6, 0x0
	.amdhsa_kernel _ZN7rocprim17ROCPRIM_400000_NS6detail17trampoline_kernelINS0_13select_configILj256ELj13ELNS0_17block_load_methodE3ELS4_3ELS4_3ELNS0_20block_scan_algorithmE0ELj4294967295EEENS1_25partition_config_selectorILNS1_17partition_subalgoE3EjNS0_10empty_typeEbEEZZNS1_14partition_implILS8_3ELb0ES6_jNS0_17counting_iteratorIjlEEPS9_SE_NS0_5tupleIJPjSE_EEENSF_IJSE_SE_EEES9_SG_JZNS1_25segmented_radix_sort_implINS0_14default_configELb0EPKlPlSM_SN_N2at6native12_GLOBAL__N_18offset_tEEE10hipError_tPvRmT1_PNSt15iterator_traitsISV_E10value_typeET2_T3_PNSW_IS11_E10value_typeET4_jRbjT5_S17_jjP12ihipStream_tbEUljE_EEESS_ST_SU_S11_S15_S17_T6_T7_T9_mT8_S19_bDpT10_ENKUlT_T0_E_clISt17integral_constantIbLb1EES1L_IbLb0EEEEDaS1H_S1I_EUlS1H_E_NS1_11comp_targetILNS1_3genE0ELNS1_11target_archE4294967295ELNS1_3gpuE0ELNS1_3repE0EEENS1_30default_config_static_selectorELNS0_4arch9wavefront6targetE0EEEvSV_
		.amdhsa_group_segment_fixed_size 0
		.amdhsa_private_segment_fixed_size 0
		.amdhsa_kernarg_size 144
		.amdhsa_user_sgpr_count 2
		.amdhsa_user_sgpr_dispatch_ptr 0
		.amdhsa_user_sgpr_queue_ptr 0
		.amdhsa_user_sgpr_kernarg_segment_ptr 1
		.amdhsa_user_sgpr_dispatch_id 0
		.amdhsa_user_sgpr_private_segment_size 0
		.amdhsa_wavefront_size32 1
		.amdhsa_uses_dynamic_stack 0
		.amdhsa_enable_private_segment 0
		.amdhsa_system_sgpr_workgroup_id_x 1
		.amdhsa_system_sgpr_workgroup_id_y 0
		.amdhsa_system_sgpr_workgroup_id_z 0
		.amdhsa_system_sgpr_workgroup_info 0
		.amdhsa_system_vgpr_workitem_id 0
		.amdhsa_next_free_vgpr 1
		.amdhsa_next_free_sgpr 1
		.amdhsa_reserve_vcc 0
		.amdhsa_float_round_mode_32 0
		.amdhsa_float_round_mode_16_64 0
		.amdhsa_float_denorm_mode_32 3
		.amdhsa_float_denorm_mode_16_64 3
		.amdhsa_fp16_overflow 0
		.amdhsa_workgroup_processor_mode 1
		.amdhsa_memory_ordered 1
		.amdhsa_forward_progress 1
		.amdhsa_inst_pref_size 0
		.amdhsa_round_robin_scheduling 0
		.amdhsa_exception_fp_ieee_invalid_op 0
		.amdhsa_exception_fp_denorm_src 0
		.amdhsa_exception_fp_ieee_div_zero 0
		.amdhsa_exception_fp_ieee_overflow 0
		.amdhsa_exception_fp_ieee_underflow 0
		.amdhsa_exception_fp_ieee_inexact 0
		.amdhsa_exception_int_div_zero 0
	.end_amdhsa_kernel
	.section	.text._ZN7rocprim17ROCPRIM_400000_NS6detail17trampoline_kernelINS0_13select_configILj256ELj13ELNS0_17block_load_methodE3ELS4_3ELS4_3ELNS0_20block_scan_algorithmE0ELj4294967295EEENS1_25partition_config_selectorILNS1_17partition_subalgoE3EjNS0_10empty_typeEbEEZZNS1_14partition_implILS8_3ELb0ES6_jNS0_17counting_iteratorIjlEEPS9_SE_NS0_5tupleIJPjSE_EEENSF_IJSE_SE_EEES9_SG_JZNS1_25segmented_radix_sort_implINS0_14default_configELb0EPKlPlSM_SN_N2at6native12_GLOBAL__N_18offset_tEEE10hipError_tPvRmT1_PNSt15iterator_traitsISV_E10value_typeET2_T3_PNSW_IS11_E10value_typeET4_jRbjT5_S17_jjP12ihipStream_tbEUljE_EEESS_ST_SU_S11_S15_S17_T6_T7_T9_mT8_S19_bDpT10_ENKUlT_T0_E_clISt17integral_constantIbLb1EES1L_IbLb0EEEEDaS1H_S1I_EUlS1H_E_NS1_11comp_targetILNS1_3genE0ELNS1_11target_archE4294967295ELNS1_3gpuE0ELNS1_3repE0EEENS1_30default_config_static_selectorELNS0_4arch9wavefront6targetE0EEEvSV_,"axG",@progbits,_ZN7rocprim17ROCPRIM_400000_NS6detail17trampoline_kernelINS0_13select_configILj256ELj13ELNS0_17block_load_methodE3ELS4_3ELS4_3ELNS0_20block_scan_algorithmE0ELj4294967295EEENS1_25partition_config_selectorILNS1_17partition_subalgoE3EjNS0_10empty_typeEbEEZZNS1_14partition_implILS8_3ELb0ES6_jNS0_17counting_iteratorIjlEEPS9_SE_NS0_5tupleIJPjSE_EEENSF_IJSE_SE_EEES9_SG_JZNS1_25segmented_radix_sort_implINS0_14default_configELb0EPKlPlSM_SN_N2at6native12_GLOBAL__N_18offset_tEEE10hipError_tPvRmT1_PNSt15iterator_traitsISV_E10value_typeET2_T3_PNSW_IS11_E10value_typeET4_jRbjT5_S17_jjP12ihipStream_tbEUljE_EEESS_ST_SU_S11_S15_S17_T6_T7_T9_mT8_S19_bDpT10_ENKUlT_T0_E_clISt17integral_constantIbLb1EES1L_IbLb0EEEEDaS1H_S1I_EUlS1H_E_NS1_11comp_targetILNS1_3genE0ELNS1_11target_archE4294967295ELNS1_3gpuE0ELNS1_3repE0EEENS1_30default_config_static_selectorELNS0_4arch9wavefront6targetE0EEEvSV_,comdat
.Lfunc_end791:
	.size	_ZN7rocprim17ROCPRIM_400000_NS6detail17trampoline_kernelINS0_13select_configILj256ELj13ELNS0_17block_load_methodE3ELS4_3ELS4_3ELNS0_20block_scan_algorithmE0ELj4294967295EEENS1_25partition_config_selectorILNS1_17partition_subalgoE3EjNS0_10empty_typeEbEEZZNS1_14partition_implILS8_3ELb0ES6_jNS0_17counting_iteratorIjlEEPS9_SE_NS0_5tupleIJPjSE_EEENSF_IJSE_SE_EEES9_SG_JZNS1_25segmented_radix_sort_implINS0_14default_configELb0EPKlPlSM_SN_N2at6native12_GLOBAL__N_18offset_tEEE10hipError_tPvRmT1_PNSt15iterator_traitsISV_E10value_typeET2_T3_PNSW_IS11_E10value_typeET4_jRbjT5_S17_jjP12ihipStream_tbEUljE_EEESS_ST_SU_S11_S15_S17_T6_T7_T9_mT8_S19_bDpT10_ENKUlT_T0_E_clISt17integral_constantIbLb1EES1L_IbLb0EEEEDaS1H_S1I_EUlS1H_E_NS1_11comp_targetILNS1_3genE0ELNS1_11target_archE4294967295ELNS1_3gpuE0ELNS1_3repE0EEENS1_30default_config_static_selectorELNS0_4arch9wavefront6targetE0EEEvSV_, .Lfunc_end791-_ZN7rocprim17ROCPRIM_400000_NS6detail17trampoline_kernelINS0_13select_configILj256ELj13ELNS0_17block_load_methodE3ELS4_3ELS4_3ELNS0_20block_scan_algorithmE0ELj4294967295EEENS1_25partition_config_selectorILNS1_17partition_subalgoE3EjNS0_10empty_typeEbEEZZNS1_14partition_implILS8_3ELb0ES6_jNS0_17counting_iteratorIjlEEPS9_SE_NS0_5tupleIJPjSE_EEENSF_IJSE_SE_EEES9_SG_JZNS1_25segmented_radix_sort_implINS0_14default_configELb0EPKlPlSM_SN_N2at6native12_GLOBAL__N_18offset_tEEE10hipError_tPvRmT1_PNSt15iterator_traitsISV_E10value_typeET2_T3_PNSW_IS11_E10value_typeET4_jRbjT5_S17_jjP12ihipStream_tbEUljE_EEESS_ST_SU_S11_S15_S17_T6_T7_T9_mT8_S19_bDpT10_ENKUlT_T0_E_clISt17integral_constantIbLb1EES1L_IbLb0EEEEDaS1H_S1I_EUlS1H_E_NS1_11comp_targetILNS1_3genE0ELNS1_11target_archE4294967295ELNS1_3gpuE0ELNS1_3repE0EEENS1_30default_config_static_selectorELNS0_4arch9wavefront6targetE0EEEvSV_
                                        ; -- End function
	.set _ZN7rocprim17ROCPRIM_400000_NS6detail17trampoline_kernelINS0_13select_configILj256ELj13ELNS0_17block_load_methodE3ELS4_3ELS4_3ELNS0_20block_scan_algorithmE0ELj4294967295EEENS1_25partition_config_selectorILNS1_17partition_subalgoE3EjNS0_10empty_typeEbEEZZNS1_14partition_implILS8_3ELb0ES6_jNS0_17counting_iteratorIjlEEPS9_SE_NS0_5tupleIJPjSE_EEENSF_IJSE_SE_EEES9_SG_JZNS1_25segmented_radix_sort_implINS0_14default_configELb0EPKlPlSM_SN_N2at6native12_GLOBAL__N_18offset_tEEE10hipError_tPvRmT1_PNSt15iterator_traitsISV_E10value_typeET2_T3_PNSW_IS11_E10value_typeET4_jRbjT5_S17_jjP12ihipStream_tbEUljE_EEESS_ST_SU_S11_S15_S17_T6_T7_T9_mT8_S19_bDpT10_ENKUlT_T0_E_clISt17integral_constantIbLb1EES1L_IbLb0EEEEDaS1H_S1I_EUlS1H_E_NS1_11comp_targetILNS1_3genE0ELNS1_11target_archE4294967295ELNS1_3gpuE0ELNS1_3repE0EEENS1_30default_config_static_selectorELNS0_4arch9wavefront6targetE0EEEvSV_.num_vgpr, 0
	.set _ZN7rocprim17ROCPRIM_400000_NS6detail17trampoline_kernelINS0_13select_configILj256ELj13ELNS0_17block_load_methodE3ELS4_3ELS4_3ELNS0_20block_scan_algorithmE0ELj4294967295EEENS1_25partition_config_selectorILNS1_17partition_subalgoE3EjNS0_10empty_typeEbEEZZNS1_14partition_implILS8_3ELb0ES6_jNS0_17counting_iteratorIjlEEPS9_SE_NS0_5tupleIJPjSE_EEENSF_IJSE_SE_EEES9_SG_JZNS1_25segmented_radix_sort_implINS0_14default_configELb0EPKlPlSM_SN_N2at6native12_GLOBAL__N_18offset_tEEE10hipError_tPvRmT1_PNSt15iterator_traitsISV_E10value_typeET2_T3_PNSW_IS11_E10value_typeET4_jRbjT5_S17_jjP12ihipStream_tbEUljE_EEESS_ST_SU_S11_S15_S17_T6_T7_T9_mT8_S19_bDpT10_ENKUlT_T0_E_clISt17integral_constantIbLb1EES1L_IbLb0EEEEDaS1H_S1I_EUlS1H_E_NS1_11comp_targetILNS1_3genE0ELNS1_11target_archE4294967295ELNS1_3gpuE0ELNS1_3repE0EEENS1_30default_config_static_selectorELNS0_4arch9wavefront6targetE0EEEvSV_.num_agpr, 0
	.set _ZN7rocprim17ROCPRIM_400000_NS6detail17trampoline_kernelINS0_13select_configILj256ELj13ELNS0_17block_load_methodE3ELS4_3ELS4_3ELNS0_20block_scan_algorithmE0ELj4294967295EEENS1_25partition_config_selectorILNS1_17partition_subalgoE3EjNS0_10empty_typeEbEEZZNS1_14partition_implILS8_3ELb0ES6_jNS0_17counting_iteratorIjlEEPS9_SE_NS0_5tupleIJPjSE_EEENSF_IJSE_SE_EEES9_SG_JZNS1_25segmented_radix_sort_implINS0_14default_configELb0EPKlPlSM_SN_N2at6native12_GLOBAL__N_18offset_tEEE10hipError_tPvRmT1_PNSt15iterator_traitsISV_E10value_typeET2_T3_PNSW_IS11_E10value_typeET4_jRbjT5_S17_jjP12ihipStream_tbEUljE_EEESS_ST_SU_S11_S15_S17_T6_T7_T9_mT8_S19_bDpT10_ENKUlT_T0_E_clISt17integral_constantIbLb1EES1L_IbLb0EEEEDaS1H_S1I_EUlS1H_E_NS1_11comp_targetILNS1_3genE0ELNS1_11target_archE4294967295ELNS1_3gpuE0ELNS1_3repE0EEENS1_30default_config_static_selectorELNS0_4arch9wavefront6targetE0EEEvSV_.numbered_sgpr, 0
	.set _ZN7rocprim17ROCPRIM_400000_NS6detail17trampoline_kernelINS0_13select_configILj256ELj13ELNS0_17block_load_methodE3ELS4_3ELS4_3ELNS0_20block_scan_algorithmE0ELj4294967295EEENS1_25partition_config_selectorILNS1_17partition_subalgoE3EjNS0_10empty_typeEbEEZZNS1_14partition_implILS8_3ELb0ES6_jNS0_17counting_iteratorIjlEEPS9_SE_NS0_5tupleIJPjSE_EEENSF_IJSE_SE_EEES9_SG_JZNS1_25segmented_radix_sort_implINS0_14default_configELb0EPKlPlSM_SN_N2at6native12_GLOBAL__N_18offset_tEEE10hipError_tPvRmT1_PNSt15iterator_traitsISV_E10value_typeET2_T3_PNSW_IS11_E10value_typeET4_jRbjT5_S17_jjP12ihipStream_tbEUljE_EEESS_ST_SU_S11_S15_S17_T6_T7_T9_mT8_S19_bDpT10_ENKUlT_T0_E_clISt17integral_constantIbLb1EES1L_IbLb0EEEEDaS1H_S1I_EUlS1H_E_NS1_11comp_targetILNS1_3genE0ELNS1_11target_archE4294967295ELNS1_3gpuE0ELNS1_3repE0EEENS1_30default_config_static_selectorELNS0_4arch9wavefront6targetE0EEEvSV_.num_named_barrier, 0
	.set _ZN7rocprim17ROCPRIM_400000_NS6detail17trampoline_kernelINS0_13select_configILj256ELj13ELNS0_17block_load_methodE3ELS4_3ELS4_3ELNS0_20block_scan_algorithmE0ELj4294967295EEENS1_25partition_config_selectorILNS1_17partition_subalgoE3EjNS0_10empty_typeEbEEZZNS1_14partition_implILS8_3ELb0ES6_jNS0_17counting_iteratorIjlEEPS9_SE_NS0_5tupleIJPjSE_EEENSF_IJSE_SE_EEES9_SG_JZNS1_25segmented_radix_sort_implINS0_14default_configELb0EPKlPlSM_SN_N2at6native12_GLOBAL__N_18offset_tEEE10hipError_tPvRmT1_PNSt15iterator_traitsISV_E10value_typeET2_T3_PNSW_IS11_E10value_typeET4_jRbjT5_S17_jjP12ihipStream_tbEUljE_EEESS_ST_SU_S11_S15_S17_T6_T7_T9_mT8_S19_bDpT10_ENKUlT_T0_E_clISt17integral_constantIbLb1EES1L_IbLb0EEEEDaS1H_S1I_EUlS1H_E_NS1_11comp_targetILNS1_3genE0ELNS1_11target_archE4294967295ELNS1_3gpuE0ELNS1_3repE0EEENS1_30default_config_static_selectorELNS0_4arch9wavefront6targetE0EEEvSV_.private_seg_size, 0
	.set _ZN7rocprim17ROCPRIM_400000_NS6detail17trampoline_kernelINS0_13select_configILj256ELj13ELNS0_17block_load_methodE3ELS4_3ELS4_3ELNS0_20block_scan_algorithmE0ELj4294967295EEENS1_25partition_config_selectorILNS1_17partition_subalgoE3EjNS0_10empty_typeEbEEZZNS1_14partition_implILS8_3ELb0ES6_jNS0_17counting_iteratorIjlEEPS9_SE_NS0_5tupleIJPjSE_EEENSF_IJSE_SE_EEES9_SG_JZNS1_25segmented_radix_sort_implINS0_14default_configELb0EPKlPlSM_SN_N2at6native12_GLOBAL__N_18offset_tEEE10hipError_tPvRmT1_PNSt15iterator_traitsISV_E10value_typeET2_T3_PNSW_IS11_E10value_typeET4_jRbjT5_S17_jjP12ihipStream_tbEUljE_EEESS_ST_SU_S11_S15_S17_T6_T7_T9_mT8_S19_bDpT10_ENKUlT_T0_E_clISt17integral_constantIbLb1EES1L_IbLb0EEEEDaS1H_S1I_EUlS1H_E_NS1_11comp_targetILNS1_3genE0ELNS1_11target_archE4294967295ELNS1_3gpuE0ELNS1_3repE0EEENS1_30default_config_static_selectorELNS0_4arch9wavefront6targetE0EEEvSV_.uses_vcc, 0
	.set _ZN7rocprim17ROCPRIM_400000_NS6detail17trampoline_kernelINS0_13select_configILj256ELj13ELNS0_17block_load_methodE3ELS4_3ELS4_3ELNS0_20block_scan_algorithmE0ELj4294967295EEENS1_25partition_config_selectorILNS1_17partition_subalgoE3EjNS0_10empty_typeEbEEZZNS1_14partition_implILS8_3ELb0ES6_jNS0_17counting_iteratorIjlEEPS9_SE_NS0_5tupleIJPjSE_EEENSF_IJSE_SE_EEES9_SG_JZNS1_25segmented_radix_sort_implINS0_14default_configELb0EPKlPlSM_SN_N2at6native12_GLOBAL__N_18offset_tEEE10hipError_tPvRmT1_PNSt15iterator_traitsISV_E10value_typeET2_T3_PNSW_IS11_E10value_typeET4_jRbjT5_S17_jjP12ihipStream_tbEUljE_EEESS_ST_SU_S11_S15_S17_T6_T7_T9_mT8_S19_bDpT10_ENKUlT_T0_E_clISt17integral_constantIbLb1EES1L_IbLb0EEEEDaS1H_S1I_EUlS1H_E_NS1_11comp_targetILNS1_3genE0ELNS1_11target_archE4294967295ELNS1_3gpuE0ELNS1_3repE0EEENS1_30default_config_static_selectorELNS0_4arch9wavefront6targetE0EEEvSV_.uses_flat_scratch, 0
	.set _ZN7rocprim17ROCPRIM_400000_NS6detail17trampoline_kernelINS0_13select_configILj256ELj13ELNS0_17block_load_methodE3ELS4_3ELS4_3ELNS0_20block_scan_algorithmE0ELj4294967295EEENS1_25partition_config_selectorILNS1_17partition_subalgoE3EjNS0_10empty_typeEbEEZZNS1_14partition_implILS8_3ELb0ES6_jNS0_17counting_iteratorIjlEEPS9_SE_NS0_5tupleIJPjSE_EEENSF_IJSE_SE_EEES9_SG_JZNS1_25segmented_radix_sort_implINS0_14default_configELb0EPKlPlSM_SN_N2at6native12_GLOBAL__N_18offset_tEEE10hipError_tPvRmT1_PNSt15iterator_traitsISV_E10value_typeET2_T3_PNSW_IS11_E10value_typeET4_jRbjT5_S17_jjP12ihipStream_tbEUljE_EEESS_ST_SU_S11_S15_S17_T6_T7_T9_mT8_S19_bDpT10_ENKUlT_T0_E_clISt17integral_constantIbLb1EES1L_IbLb0EEEEDaS1H_S1I_EUlS1H_E_NS1_11comp_targetILNS1_3genE0ELNS1_11target_archE4294967295ELNS1_3gpuE0ELNS1_3repE0EEENS1_30default_config_static_selectorELNS0_4arch9wavefront6targetE0EEEvSV_.has_dyn_sized_stack, 0
	.set _ZN7rocprim17ROCPRIM_400000_NS6detail17trampoline_kernelINS0_13select_configILj256ELj13ELNS0_17block_load_methodE3ELS4_3ELS4_3ELNS0_20block_scan_algorithmE0ELj4294967295EEENS1_25partition_config_selectorILNS1_17partition_subalgoE3EjNS0_10empty_typeEbEEZZNS1_14partition_implILS8_3ELb0ES6_jNS0_17counting_iteratorIjlEEPS9_SE_NS0_5tupleIJPjSE_EEENSF_IJSE_SE_EEES9_SG_JZNS1_25segmented_radix_sort_implINS0_14default_configELb0EPKlPlSM_SN_N2at6native12_GLOBAL__N_18offset_tEEE10hipError_tPvRmT1_PNSt15iterator_traitsISV_E10value_typeET2_T3_PNSW_IS11_E10value_typeET4_jRbjT5_S17_jjP12ihipStream_tbEUljE_EEESS_ST_SU_S11_S15_S17_T6_T7_T9_mT8_S19_bDpT10_ENKUlT_T0_E_clISt17integral_constantIbLb1EES1L_IbLb0EEEEDaS1H_S1I_EUlS1H_E_NS1_11comp_targetILNS1_3genE0ELNS1_11target_archE4294967295ELNS1_3gpuE0ELNS1_3repE0EEENS1_30default_config_static_selectorELNS0_4arch9wavefront6targetE0EEEvSV_.has_recursion, 0
	.set _ZN7rocprim17ROCPRIM_400000_NS6detail17trampoline_kernelINS0_13select_configILj256ELj13ELNS0_17block_load_methodE3ELS4_3ELS4_3ELNS0_20block_scan_algorithmE0ELj4294967295EEENS1_25partition_config_selectorILNS1_17partition_subalgoE3EjNS0_10empty_typeEbEEZZNS1_14partition_implILS8_3ELb0ES6_jNS0_17counting_iteratorIjlEEPS9_SE_NS0_5tupleIJPjSE_EEENSF_IJSE_SE_EEES9_SG_JZNS1_25segmented_radix_sort_implINS0_14default_configELb0EPKlPlSM_SN_N2at6native12_GLOBAL__N_18offset_tEEE10hipError_tPvRmT1_PNSt15iterator_traitsISV_E10value_typeET2_T3_PNSW_IS11_E10value_typeET4_jRbjT5_S17_jjP12ihipStream_tbEUljE_EEESS_ST_SU_S11_S15_S17_T6_T7_T9_mT8_S19_bDpT10_ENKUlT_T0_E_clISt17integral_constantIbLb1EES1L_IbLb0EEEEDaS1H_S1I_EUlS1H_E_NS1_11comp_targetILNS1_3genE0ELNS1_11target_archE4294967295ELNS1_3gpuE0ELNS1_3repE0EEENS1_30default_config_static_selectorELNS0_4arch9wavefront6targetE0EEEvSV_.has_indirect_call, 0
	.section	.AMDGPU.csdata,"",@progbits
; Kernel info:
; codeLenInByte = 0
; TotalNumSgprs: 0
; NumVgprs: 0
; ScratchSize: 0
; MemoryBound: 0
; FloatMode: 240
; IeeeMode: 1
; LDSByteSize: 0 bytes/workgroup (compile time only)
; SGPRBlocks: 0
; VGPRBlocks: 0
; NumSGPRsForWavesPerEU: 1
; NumVGPRsForWavesPerEU: 1
; Occupancy: 16
; WaveLimiterHint : 0
; COMPUTE_PGM_RSRC2:SCRATCH_EN: 0
; COMPUTE_PGM_RSRC2:USER_SGPR: 2
; COMPUTE_PGM_RSRC2:TRAP_HANDLER: 0
; COMPUTE_PGM_RSRC2:TGID_X_EN: 1
; COMPUTE_PGM_RSRC2:TGID_Y_EN: 0
; COMPUTE_PGM_RSRC2:TGID_Z_EN: 0
; COMPUTE_PGM_RSRC2:TIDIG_COMP_CNT: 0
	.section	.text._ZN7rocprim17ROCPRIM_400000_NS6detail17trampoline_kernelINS0_13select_configILj256ELj13ELNS0_17block_load_methodE3ELS4_3ELS4_3ELNS0_20block_scan_algorithmE0ELj4294967295EEENS1_25partition_config_selectorILNS1_17partition_subalgoE3EjNS0_10empty_typeEbEEZZNS1_14partition_implILS8_3ELb0ES6_jNS0_17counting_iteratorIjlEEPS9_SE_NS0_5tupleIJPjSE_EEENSF_IJSE_SE_EEES9_SG_JZNS1_25segmented_radix_sort_implINS0_14default_configELb0EPKlPlSM_SN_N2at6native12_GLOBAL__N_18offset_tEEE10hipError_tPvRmT1_PNSt15iterator_traitsISV_E10value_typeET2_T3_PNSW_IS11_E10value_typeET4_jRbjT5_S17_jjP12ihipStream_tbEUljE_EEESS_ST_SU_S11_S15_S17_T6_T7_T9_mT8_S19_bDpT10_ENKUlT_T0_E_clISt17integral_constantIbLb1EES1L_IbLb0EEEEDaS1H_S1I_EUlS1H_E_NS1_11comp_targetILNS1_3genE5ELNS1_11target_archE942ELNS1_3gpuE9ELNS1_3repE0EEENS1_30default_config_static_selectorELNS0_4arch9wavefront6targetE0EEEvSV_,"axG",@progbits,_ZN7rocprim17ROCPRIM_400000_NS6detail17trampoline_kernelINS0_13select_configILj256ELj13ELNS0_17block_load_methodE3ELS4_3ELS4_3ELNS0_20block_scan_algorithmE0ELj4294967295EEENS1_25partition_config_selectorILNS1_17partition_subalgoE3EjNS0_10empty_typeEbEEZZNS1_14partition_implILS8_3ELb0ES6_jNS0_17counting_iteratorIjlEEPS9_SE_NS0_5tupleIJPjSE_EEENSF_IJSE_SE_EEES9_SG_JZNS1_25segmented_radix_sort_implINS0_14default_configELb0EPKlPlSM_SN_N2at6native12_GLOBAL__N_18offset_tEEE10hipError_tPvRmT1_PNSt15iterator_traitsISV_E10value_typeET2_T3_PNSW_IS11_E10value_typeET4_jRbjT5_S17_jjP12ihipStream_tbEUljE_EEESS_ST_SU_S11_S15_S17_T6_T7_T9_mT8_S19_bDpT10_ENKUlT_T0_E_clISt17integral_constantIbLb1EES1L_IbLb0EEEEDaS1H_S1I_EUlS1H_E_NS1_11comp_targetILNS1_3genE5ELNS1_11target_archE942ELNS1_3gpuE9ELNS1_3repE0EEENS1_30default_config_static_selectorELNS0_4arch9wavefront6targetE0EEEvSV_,comdat
	.globl	_ZN7rocprim17ROCPRIM_400000_NS6detail17trampoline_kernelINS0_13select_configILj256ELj13ELNS0_17block_load_methodE3ELS4_3ELS4_3ELNS0_20block_scan_algorithmE0ELj4294967295EEENS1_25partition_config_selectorILNS1_17partition_subalgoE3EjNS0_10empty_typeEbEEZZNS1_14partition_implILS8_3ELb0ES6_jNS0_17counting_iteratorIjlEEPS9_SE_NS0_5tupleIJPjSE_EEENSF_IJSE_SE_EEES9_SG_JZNS1_25segmented_radix_sort_implINS0_14default_configELb0EPKlPlSM_SN_N2at6native12_GLOBAL__N_18offset_tEEE10hipError_tPvRmT1_PNSt15iterator_traitsISV_E10value_typeET2_T3_PNSW_IS11_E10value_typeET4_jRbjT5_S17_jjP12ihipStream_tbEUljE_EEESS_ST_SU_S11_S15_S17_T6_T7_T9_mT8_S19_bDpT10_ENKUlT_T0_E_clISt17integral_constantIbLb1EES1L_IbLb0EEEEDaS1H_S1I_EUlS1H_E_NS1_11comp_targetILNS1_3genE5ELNS1_11target_archE942ELNS1_3gpuE9ELNS1_3repE0EEENS1_30default_config_static_selectorELNS0_4arch9wavefront6targetE0EEEvSV_ ; -- Begin function _ZN7rocprim17ROCPRIM_400000_NS6detail17trampoline_kernelINS0_13select_configILj256ELj13ELNS0_17block_load_methodE3ELS4_3ELS4_3ELNS0_20block_scan_algorithmE0ELj4294967295EEENS1_25partition_config_selectorILNS1_17partition_subalgoE3EjNS0_10empty_typeEbEEZZNS1_14partition_implILS8_3ELb0ES6_jNS0_17counting_iteratorIjlEEPS9_SE_NS0_5tupleIJPjSE_EEENSF_IJSE_SE_EEES9_SG_JZNS1_25segmented_radix_sort_implINS0_14default_configELb0EPKlPlSM_SN_N2at6native12_GLOBAL__N_18offset_tEEE10hipError_tPvRmT1_PNSt15iterator_traitsISV_E10value_typeET2_T3_PNSW_IS11_E10value_typeET4_jRbjT5_S17_jjP12ihipStream_tbEUljE_EEESS_ST_SU_S11_S15_S17_T6_T7_T9_mT8_S19_bDpT10_ENKUlT_T0_E_clISt17integral_constantIbLb1EES1L_IbLb0EEEEDaS1H_S1I_EUlS1H_E_NS1_11comp_targetILNS1_3genE5ELNS1_11target_archE942ELNS1_3gpuE9ELNS1_3repE0EEENS1_30default_config_static_selectorELNS0_4arch9wavefront6targetE0EEEvSV_
	.p2align	8
	.type	_ZN7rocprim17ROCPRIM_400000_NS6detail17trampoline_kernelINS0_13select_configILj256ELj13ELNS0_17block_load_methodE3ELS4_3ELS4_3ELNS0_20block_scan_algorithmE0ELj4294967295EEENS1_25partition_config_selectorILNS1_17partition_subalgoE3EjNS0_10empty_typeEbEEZZNS1_14partition_implILS8_3ELb0ES6_jNS0_17counting_iteratorIjlEEPS9_SE_NS0_5tupleIJPjSE_EEENSF_IJSE_SE_EEES9_SG_JZNS1_25segmented_radix_sort_implINS0_14default_configELb0EPKlPlSM_SN_N2at6native12_GLOBAL__N_18offset_tEEE10hipError_tPvRmT1_PNSt15iterator_traitsISV_E10value_typeET2_T3_PNSW_IS11_E10value_typeET4_jRbjT5_S17_jjP12ihipStream_tbEUljE_EEESS_ST_SU_S11_S15_S17_T6_T7_T9_mT8_S19_bDpT10_ENKUlT_T0_E_clISt17integral_constantIbLb1EES1L_IbLb0EEEEDaS1H_S1I_EUlS1H_E_NS1_11comp_targetILNS1_3genE5ELNS1_11target_archE942ELNS1_3gpuE9ELNS1_3repE0EEENS1_30default_config_static_selectorELNS0_4arch9wavefront6targetE0EEEvSV_,@function
_ZN7rocprim17ROCPRIM_400000_NS6detail17trampoline_kernelINS0_13select_configILj256ELj13ELNS0_17block_load_methodE3ELS4_3ELS4_3ELNS0_20block_scan_algorithmE0ELj4294967295EEENS1_25partition_config_selectorILNS1_17partition_subalgoE3EjNS0_10empty_typeEbEEZZNS1_14partition_implILS8_3ELb0ES6_jNS0_17counting_iteratorIjlEEPS9_SE_NS0_5tupleIJPjSE_EEENSF_IJSE_SE_EEES9_SG_JZNS1_25segmented_radix_sort_implINS0_14default_configELb0EPKlPlSM_SN_N2at6native12_GLOBAL__N_18offset_tEEE10hipError_tPvRmT1_PNSt15iterator_traitsISV_E10value_typeET2_T3_PNSW_IS11_E10value_typeET4_jRbjT5_S17_jjP12ihipStream_tbEUljE_EEESS_ST_SU_S11_S15_S17_T6_T7_T9_mT8_S19_bDpT10_ENKUlT_T0_E_clISt17integral_constantIbLb1EES1L_IbLb0EEEEDaS1H_S1I_EUlS1H_E_NS1_11comp_targetILNS1_3genE5ELNS1_11target_archE942ELNS1_3gpuE9ELNS1_3repE0EEENS1_30default_config_static_selectorELNS0_4arch9wavefront6targetE0EEEvSV_: ; @_ZN7rocprim17ROCPRIM_400000_NS6detail17trampoline_kernelINS0_13select_configILj256ELj13ELNS0_17block_load_methodE3ELS4_3ELS4_3ELNS0_20block_scan_algorithmE0ELj4294967295EEENS1_25partition_config_selectorILNS1_17partition_subalgoE3EjNS0_10empty_typeEbEEZZNS1_14partition_implILS8_3ELb0ES6_jNS0_17counting_iteratorIjlEEPS9_SE_NS0_5tupleIJPjSE_EEENSF_IJSE_SE_EEES9_SG_JZNS1_25segmented_radix_sort_implINS0_14default_configELb0EPKlPlSM_SN_N2at6native12_GLOBAL__N_18offset_tEEE10hipError_tPvRmT1_PNSt15iterator_traitsISV_E10value_typeET2_T3_PNSW_IS11_E10value_typeET4_jRbjT5_S17_jjP12ihipStream_tbEUljE_EEESS_ST_SU_S11_S15_S17_T6_T7_T9_mT8_S19_bDpT10_ENKUlT_T0_E_clISt17integral_constantIbLb1EES1L_IbLb0EEEEDaS1H_S1I_EUlS1H_E_NS1_11comp_targetILNS1_3genE5ELNS1_11target_archE942ELNS1_3gpuE9ELNS1_3repE0EEENS1_30default_config_static_selectorELNS0_4arch9wavefront6targetE0EEEvSV_
; %bb.0:
	.section	.rodata,"a",@progbits
	.p2align	6, 0x0
	.amdhsa_kernel _ZN7rocprim17ROCPRIM_400000_NS6detail17trampoline_kernelINS0_13select_configILj256ELj13ELNS0_17block_load_methodE3ELS4_3ELS4_3ELNS0_20block_scan_algorithmE0ELj4294967295EEENS1_25partition_config_selectorILNS1_17partition_subalgoE3EjNS0_10empty_typeEbEEZZNS1_14partition_implILS8_3ELb0ES6_jNS0_17counting_iteratorIjlEEPS9_SE_NS0_5tupleIJPjSE_EEENSF_IJSE_SE_EEES9_SG_JZNS1_25segmented_radix_sort_implINS0_14default_configELb0EPKlPlSM_SN_N2at6native12_GLOBAL__N_18offset_tEEE10hipError_tPvRmT1_PNSt15iterator_traitsISV_E10value_typeET2_T3_PNSW_IS11_E10value_typeET4_jRbjT5_S17_jjP12ihipStream_tbEUljE_EEESS_ST_SU_S11_S15_S17_T6_T7_T9_mT8_S19_bDpT10_ENKUlT_T0_E_clISt17integral_constantIbLb1EES1L_IbLb0EEEEDaS1H_S1I_EUlS1H_E_NS1_11comp_targetILNS1_3genE5ELNS1_11target_archE942ELNS1_3gpuE9ELNS1_3repE0EEENS1_30default_config_static_selectorELNS0_4arch9wavefront6targetE0EEEvSV_
		.amdhsa_group_segment_fixed_size 0
		.amdhsa_private_segment_fixed_size 0
		.amdhsa_kernarg_size 144
		.amdhsa_user_sgpr_count 2
		.amdhsa_user_sgpr_dispatch_ptr 0
		.amdhsa_user_sgpr_queue_ptr 0
		.amdhsa_user_sgpr_kernarg_segment_ptr 1
		.amdhsa_user_sgpr_dispatch_id 0
		.amdhsa_user_sgpr_private_segment_size 0
		.amdhsa_wavefront_size32 1
		.amdhsa_uses_dynamic_stack 0
		.amdhsa_enable_private_segment 0
		.amdhsa_system_sgpr_workgroup_id_x 1
		.amdhsa_system_sgpr_workgroup_id_y 0
		.amdhsa_system_sgpr_workgroup_id_z 0
		.amdhsa_system_sgpr_workgroup_info 0
		.amdhsa_system_vgpr_workitem_id 0
		.amdhsa_next_free_vgpr 1
		.amdhsa_next_free_sgpr 1
		.amdhsa_reserve_vcc 0
		.amdhsa_float_round_mode_32 0
		.amdhsa_float_round_mode_16_64 0
		.amdhsa_float_denorm_mode_32 3
		.amdhsa_float_denorm_mode_16_64 3
		.amdhsa_fp16_overflow 0
		.amdhsa_workgroup_processor_mode 1
		.amdhsa_memory_ordered 1
		.amdhsa_forward_progress 1
		.amdhsa_inst_pref_size 0
		.amdhsa_round_robin_scheduling 0
		.amdhsa_exception_fp_ieee_invalid_op 0
		.amdhsa_exception_fp_denorm_src 0
		.amdhsa_exception_fp_ieee_div_zero 0
		.amdhsa_exception_fp_ieee_overflow 0
		.amdhsa_exception_fp_ieee_underflow 0
		.amdhsa_exception_fp_ieee_inexact 0
		.amdhsa_exception_int_div_zero 0
	.end_amdhsa_kernel
	.section	.text._ZN7rocprim17ROCPRIM_400000_NS6detail17trampoline_kernelINS0_13select_configILj256ELj13ELNS0_17block_load_methodE3ELS4_3ELS4_3ELNS0_20block_scan_algorithmE0ELj4294967295EEENS1_25partition_config_selectorILNS1_17partition_subalgoE3EjNS0_10empty_typeEbEEZZNS1_14partition_implILS8_3ELb0ES6_jNS0_17counting_iteratorIjlEEPS9_SE_NS0_5tupleIJPjSE_EEENSF_IJSE_SE_EEES9_SG_JZNS1_25segmented_radix_sort_implINS0_14default_configELb0EPKlPlSM_SN_N2at6native12_GLOBAL__N_18offset_tEEE10hipError_tPvRmT1_PNSt15iterator_traitsISV_E10value_typeET2_T3_PNSW_IS11_E10value_typeET4_jRbjT5_S17_jjP12ihipStream_tbEUljE_EEESS_ST_SU_S11_S15_S17_T6_T7_T9_mT8_S19_bDpT10_ENKUlT_T0_E_clISt17integral_constantIbLb1EES1L_IbLb0EEEEDaS1H_S1I_EUlS1H_E_NS1_11comp_targetILNS1_3genE5ELNS1_11target_archE942ELNS1_3gpuE9ELNS1_3repE0EEENS1_30default_config_static_selectorELNS0_4arch9wavefront6targetE0EEEvSV_,"axG",@progbits,_ZN7rocprim17ROCPRIM_400000_NS6detail17trampoline_kernelINS0_13select_configILj256ELj13ELNS0_17block_load_methodE3ELS4_3ELS4_3ELNS0_20block_scan_algorithmE0ELj4294967295EEENS1_25partition_config_selectorILNS1_17partition_subalgoE3EjNS0_10empty_typeEbEEZZNS1_14partition_implILS8_3ELb0ES6_jNS0_17counting_iteratorIjlEEPS9_SE_NS0_5tupleIJPjSE_EEENSF_IJSE_SE_EEES9_SG_JZNS1_25segmented_radix_sort_implINS0_14default_configELb0EPKlPlSM_SN_N2at6native12_GLOBAL__N_18offset_tEEE10hipError_tPvRmT1_PNSt15iterator_traitsISV_E10value_typeET2_T3_PNSW_IS11_E10value_typeET4_jRbjT5_S17_jjP12ihipStream_tbEUljE_EEESS_ST_SU_S11_S15_S17_T6_T7_T9_mT8_S19_bDpT10_ENKUlT_T0_E_clISt17integral_constantIbLb1EES1L_IbLb0EEEEDaS1H_S1I_EUlS1H_E_NS1_11comp_targetILNS1_3genE5ELNS1_11target_archE942ELNS1_3gpuE9ELNS1_3repE0EEENS1_30default_config_static_selectorELNS0_4arch9wavefront6targetE0EEEvSV_,comdat
.Lfunc_end792:
	.size	_ZN7rocprim17ROCPRIM_400000_NS6detail17trampoline_kernelINS0_13select_configILj256ELj13ELNS0_17block_load_methodE3ELS4_3ELS4_3ELNS0_20block_scan_algorithmE0ELj4294967295EEENS1_25partition_config_selectorILNS1_17partition_subalgoE3EjNS0_10empty_typeEbEEZZNS1_14partition_implILS8_3ELb0ES6_jNS0_17counting_iteratorIjlEEPS9_SE_NS0_5tupleIJPjSE_EEENSF_IJSE_SE_EEES9_SG_JZNS1_25segmented_radix_sort_implINS0_14default_configELb0EPKlPlSM_SN_N2at6native12_GLOBAL__N_18offset_tEEE10hipError_tPvRmT1_PNSt15iterator_traitsISV_E10value_typeET2_T3_PNSW_IS11_E10value_typeET4_jRbjT5_S17_jjP12ihipStream_tbEUljE_EEESS_ST_SU_S11_S15_S17_T6_T7_T9_mT8_S19_bDpT10_ENKUlT_T0_E_clISt17integral_constantIbLb1EES1L_IbLb0EEEEDaS1H_S1I_EUlS1H_E_NS1_11comp_targetILNS1_3genE5ELNS1_11target_archE942ELNS1_3gpuE9ELNS1_3repE0EEENS1_30default_config_static_selectorELNS0_4arch9wavefront6targetE0EEEvSV_, .Lfunc_end792-_ZN7rocprim17ROCPRIM_400000_NS6detail17trampoline_kernelINS0_13select_configILj256ELj13ELNS0_17block_load_methodE3ELS4_3ELS4_3ELNS0_20block_scan_algorithmE0ELj4294967295EEENS1_25partition_config_selectorILNS1_17partition_subalgoE3EjNS0_10empty_typeEbEEZZNS1_14partition_implILS8_3ELb0ES6_jNS0_17counting_iteratorIjlEEPS9_SE_NS0_5tupleIJPjSE_EEENSF_IJSE_SE_EEES9_SG_JZNS1_25segmented_radix_sort_implINS0_14default_configELb0EPKlPlSM_SN_N2at6native12_GLOBAL__N_18offset_tEEE10hipError_tPvRmT1_PNSt15iterator_traitsISV_E10value_typeET2_T3_PNSW_IS11_E10value_typeET4_jRbjT5_S17_jjP12ihipStream_tbEUljE_EEESS_ST_SU_S11_S15_S17_T6_T7_T9_mT8_S19_bDpT10_ENKUlT_T0_E_clISt17integral_constantIbLb1EES1L_IbLb0EEEEDaS1H_S1I_EUlS1H_E_NS1_11comp_targetILNS1_3genE5ELNS1_11target_archE942ELNS1_3gpuE9ELNS1_3repE0EEENS1_30default_config_static_selectorELNS0_4arch9wavefront6targetE0EEEvSV_
                                        ; -- End function
	.set _ZN7rocprim17ROCPRIM_400000_NS6detail17trampoline_kernelINS0_13select_configILj256ELj13ELNS0_17block_load_methodE3ELS4_3ELS4_3ELNS0_20block_scan_algorithmE0ELj4294967295EEENS1_25partition_config_selectorILNS1_17partition_subalgoE3EjNS0_10empty_typeEbEEZZNS1_14partition_implILS8_3ELb0ES6_jNS0_17counting_iteratorIjlEEPS9_SE_NS0_5tupleIJPjSE_EEENSF_IJSE_SE_EEES9_SG_JZNS1_25segmented_radix_sort_implINS0_14default_configELb0EPKlPlSM_SN_N2at6native12_GLOBAL__N_18offset_tEEE10hipError_tPvRmT1_PNSt15iterator_traitsISV_E10value_typeET2_T3_PNSW_IS11_E10value_typeET4_jRbjT5_S17_jjP12ihipStream_tbEUljE_EEESS_ST_SU_S11_S15_S17_T6_T7_T9_mT8_S19_bDpT10_ENKUlT_T0_E_clISt17integral_constantIbLb1EES1L_IbLb0EEEEDaS1H_S1I_EUlS1H_E_NS1_11comp_targetILNS1_3genE5ELNS1_11target_archE942ELNS1_3gpuE9ELNS1_3repE0EEENS1_30default_config_static_selectorELNS0_4arch9wavefront6targetE0EEEvSV_.num_vgpr, 0
	.set _ZN7rocprim17ROCPRIM_400000_NS6detail17trampoline_kernelINS0_13select_configILj256ELj13ELNS0_17block_load_methodE3ELS4_3ELS4_3ELNS0_20block_scan_algorithmE0ELj4294967295EEENS1_25partition_config_selectorILNS1_17partition_subalgoE3EjNS0_10empty_typeEbEEZZNS1_14partition_implILS8_3ELb0ES6_jNS0_17counting_iteratorIjlEEPS9_SE_NS0_5tupleIJPjSE_EEENSF_IJSE_SE_EEES9_SG_JZNS1_25segmented_radix_sort_implINS0_14default_configELb0EPKlPlSM_SN_N2at6native12_GLOBAL__N_18offset_tEEE10hipError_tPvRmT1_PNSt15iterator_traitsISV_E10value_typeET2_T3_PNSW_IS11_E10value_typeET4_jRbjT5_S17_jjP12ihipStream_tbEUljE_EEESS_ST_SU_S11_S15_S17_T6_T7_T9_mT8_S19_bDpT10_ENKUlT_T0_E_clISt17integral_constantIbLb1EES1L_IbLb0EEEEDaS1H_S1I_EUlS1H_E_NS1_11comp_targetILNS1_3genE5ELNS1_11target_archE942ELNS1_3gpuE9ELNS1_3repE0EEENS1_30default_config_static_selectorELNS0_4arch9wavefront6targetE0EEEvSV_.num_agpr, 0
	.set _ZN7rocprim17ROCPRIM_400000_NS6detail17trampoline_kernelINS0_13select_configILj256ELj13ELNS0_17block_load_methodE3ELS4_3ELS4_3ELNS0_20block_scan_algorithmE0ELj4294967295EEENS1_25partition_config_selectorILNS1_17partition_subalgoE3EjNS0_10empty_typeEbEEZZNS1_14partition_implILS8_3ELb0ES6_jNS0_17counting_iteratorIjlEEPS9_SE_NS0_5tupleIJPjSE_EEENSF_IJSE_SE_EEES9_SG_JZNS1_25segmented_radix_sort_implINS0_14default_configELb0EPKlPlSM_SN_N2at6native12_GLOBAL__N_18offset_tEEE10hipError_tPvRmT1_PNSt15iterator_traitsISV_E10value_typeET2_T3_PNSW_IS11_E10value_typeET4_jRbjT5_S17_jjP12ihipStream_tbEUljE_EEESS_ST_SU_S11_S15_S17_T6_T7_T9_mT8_S19_bDpT10_ENKUlT_T0_E_clISt17integral_constantIbLb1EES1L_IbLb0EEEEDaS1H_S1I_EUlS1H_E_NS1_11comp_targetILNS1_3genE5ELNS1_11target_archE942ELNS1_3gpuE9ELNS1_3repE0EEENS1_30default_config_static_selectorELNS0_4arch9wavefront6targetE0EEEvSV_.numbered_sgpr, 0
	.set _ZN7rocprim17ROCPRIM_400000_NS6detail17trampoline_kernelINS0_13select_configILj256ELj13ELNS0_17block_load_methodE3ELS4_3ELS4_3ELNS0_20block_scan_algorithmE0ELj4294967295EEENS1_25partition_config_selectorILNS1_17partition_subalgoE3EjNS0_10empty_typeEbEEZZNS1_14partition_implILS8_3ELb0ES6_jNS0_17counting_iteratorIjlEEPS9_SE_NS0_5tupleIJPjSE_EEENSF_IJSE_SE_EEES9_SG_JZNS1_25segmented_radix_sort_implINS0_14default_configELb0EPKlPlSM_SN_N2at6native12_GLOBAL__N_18offset_tEEE10hipError_tPvRmT1_PNSt15iterator_traitsISV_E10value_typeET2_T3_PNSW_IS11_E10value_typeET4_jRbjT5_S17_jjP12ihipStream_tbEUljE_EEESS_ST_SU_S11_S15_S17_T6_T7_T9_mT8_S19_bDpT10_ENKUlT_T0_E_clISt17integral_constantIbLb1EES1L_IbLb0EEEEDaS1H_S1I_EUlS1H_E_NS1_11comp_targetILNS1_3genE5ELNS1_11target_archE942ELNS1_3gpuE9ELNS1_3repE0EEENS1_30default_config_static_selectorELNS0_4arch9wavefront6targetE0EEEvSV_.num_named_barrier, 0
	.set _ZN7rocprim17ROCPRIM_400000_NS6detail17trampoline_kernelINS0_13select_configILj256ELj13ELNS0_17block_load_methodE3ELS4_3ELS4_3ELNS0_20block_scan_algorithmE0ELj4294967295EEENS1_25partition_config_selectorILNS1_17partition_subalgoE3EjNS0_10empty_typeEbEEZZNS1_14partition_implILS8_3ELb0ES6_jNS0_17counting_iteratorIjlEEPS9_SE_NS0_5tupleIJPjSE_EEENSF_IJSE_SE_EEES9_SG_JZNS1_25segmented_radix_sort_implINS0_14default_configELb0EPKlPlSM_SN_N2at6native12_GLOBAL__N_18offset_tEEE10hipError_tPvRmT1_PNSt15iterator_traitsISV_E10value_typeET2_T3_PNSW_IS11_E10value_typeET4_jRbjT5_S17_jjP12ihipStream_tbEUljE_EEESS_ST_SU_S11_S15_S17_T6_T7_T9_mT8_S19_bDpT10_ENKUlT_T0_E_clISt17integral_constantIbLb1EES1L_IbLb0EEEEDaS1H_S1I_EUlS1H_E_NS1_11comp_targetILNS1_3genE5ELNS1_11target_archE942ELNS1_3gpuE9ELNS1_3repE0EEENS1_30default_config_static_selectorELNS0_4arch9wavefront6targetE0EEEvSV_.private_seg_size, 0
	.set _ZN7rocprim17ROCPRIM_400000_NS6detail17trampoline_kernelINS0_13select_configILj256ELj13ELNS0_17block_load_methodE3ELS4_3ELS4_3ELNS0_20block_scan_algorithmE0ELj4294967295EEENS1_25partition_config_selectorILNS1_17partition_subalgoE3EjNS0_10empty_typeEbEEZZNS1_14partition_implILS8_3ELb0ES6_jNS0_17counting_iteratorIjlEEPS9_SE_NS0_5tupleIJPjSE_EEENSF_IJSE_SE_EEES9_SG_JZNS1_25segmented_radix_sort_implINS0_14default_configELb0EPKlPlSM_SN_N2at6native12_GLOBAL__N_18offset_tEEE10hipError_tPvRmT1_PNSt15iterator_traitsISV_E10value_typeET2_T3_PNSW_IS11_E10value_typeET4_jRbjT5_S17_jjP12ihipStream_tbEUljE_EEESS_ST_SU_S11_S15_S17_T6_T7_T9_mT8_S19_bDpT10_ENKUlT_T0_E_clISt17integral_constantIbLb1EES1L_IbLb0EEEEDaS1H_S1I_EUlS1H_E_NS1_11comp_targetILNS1_3genE5ELNS1_11target_archE942ELNS1_3gpuE9ELNS1_3repE0EEENS1_30default_config_static_selectorELNS0_4arch9wavefront6targetE0EEEvSV_.uses_vcc, 0
	.set _ZN7rocprim17ROCPRIM_400000_NS6detail17trampoline_kernelINS0_13select_configILj256ELj13ELNS0_17block_load_methodE3ELS4_3ELS4_3ELNS0_20block_scan_algorithmE0ELj4294967295EEENS1_25partition_config_selectorILNS1_17partition_subalgoE3EjNS0_10empty_typeEbEEZZNS1_14partition_implILS8_3ELb0ES6_jNS0_17counting_iteratorIjlEEPS9_SE_NS0_5tupleIJPjSE_EEENSF_IJSE_SE_EEES9_SG_JZNS1_25segmented_radix_sort_implINS0_14default_configELb0EPKlPlSM_SN_N2at6native12_GLOBAL__N_18offset_tEEE10hipError_tPvRmT1_PNSt15iterator_traitsISV_E10value_typeET2_T3_PNSW_IS11_E10value_typeET4_jRbjT5_S17_jjP12ihipStream_tbEUljE_EEESS_ST_SU_S11_S15_S17_T6_T7_T9_mT8_S19_bDpT10_ENKUlT_T0_E_clISt17integral_constantIbLb1EES1L_IbLb0EEEEDaS1H_S1I_EUlS1H_E_NS1_11comp_targetILNS1_3genE5ELNS1_11target_archE942ELNS1_3gpuE9ELNS1_3repE0EEENS1_30default_config_static_selectorELNS0_4arch9wavefront6targetE0EEEvSV_.uses_flat_scratch, 0
	.set _ZN7rocprim17ROCPRIM_400000_NS6detail17trampoline_kernelINS0_13select_configILj256ELj13ELNS0_17block_load_methodE3ELS4_3ELS4_3ELNS0_20block_scan_algorithmE0ELj4294967295EEENS1_25partition_config_selectorILNS1_17partition_subalgoE3EjNS0_10empty_typeEbEEZZNS1_14partition_implILS8_3ELb0ES6_jNS0_17counting_iteratorIjlEEPS9_SE_NS0_5tupleIJPjSE_EEENSF_IJSE_SE_EEES9_SG_JZNS1_25segmented_radix_sort_implINS0_14default_configELb0EPKlPlSM_SN_N2at6native12_GLOBAL__N_18offset_tEEE10hipError_tPvRmT1_PNSt15iterator_traitsISV_E10value_typeET2_T3_PNSW_IS11_E10value_typeET4_jRbjT5_S17_jjP12ihipStream_tbEUljE_EEESS_ST_SU_S11_S15_S17_T6_T7_T9_mT8_S19_bDpT10_ENKUlT_T0_E_clISt17integral_constantIbLb1EES1L_IbLb0EEEEDaS1H_S1I_EUlS1H_E_NS1_11comp_targetILNS1_3genE5ELNS1_11target_archE942ELNS1_3gpuE9ELNS1_3repE0EEENS1_30default_config_static_selectorELNS0_4arch9wavefront6targetE0EEEvSV_.has_dyn_sized_stack, 0
	.set _ZN7rocprim17ROCPRIM_400000_NS6detail17trampoline_kernelINS0_13select_configILj256ELj13ELNS0_17block_load_methodE3ELS4_3ELS4_3ELNS0_20block_scan_algorithmE0ELj4294967295EEENS1_25partition_config_selectorILNS1_17partition_subalgoE3EjNS0_10empty_typeEbEEZZNS1_14partition_implILS8_3ELb0ES6_jNS0_17counting_iteratorIjlEEPS9_SE_NS0_5tupleIJPjSE_EEENSF_IJSE_SE_EEES9_SG_JZNS1_25segmented_radix_sort_implINS0_14default_configELb0EPKlPlSM_SN_N2at6native12_GLOBAL__N_18offset_tEEE10hipError_tPvRmT1_PNSt15iterator_traitsISV_E10value_typeET2_T3_PNSW_IS11_E10value_typeET4_jRbjT5_S17_jjP12ihipStream_tbEUljE_EEESS_ST_SU_S11_S15_S17_T6_T7_T9_mT8_S19_bDpT10_ENKUlT_T0_E_clISt17integral_constantIbLb1EES1L_IbLb0EEEEDaS1H_S1I_EUlS1H_E_NS1_11comp_targetILNS1_3genE5ELNS1_11target_archE942ELNS1_3gpuE9ELNS1_3repE0EEENS1_30default_config_static_selectorELNS0_4arch9wavefront6targetE0EEEvSV_.has_recursion, 0
	.set _ZN7rocprim17ROCPRIM_400000_NS6detail17trampoline_kernelINS0_13select_configILj256ELj13ELNS0_17block_load_methodE3ELS4_3ELS4_3ELNS0_20block_scan_algorithmE0ELj4294967295EEENS1_25partition_config_selectorILNS1_17partition_subalgoE3EjNS0_10empty_typeEbEEZZNS1_14partition_implILS8_3ELb0ES6_jNS0_17counting_iteratorIjlEEPS9_SE_NS0_5tupleIJPjSE_EEENSF_IJSE_SE_EEES9_SG_JZNS1_25segmented_radix_sort_implINS0_14default_configELb0EPKlPlSM_SN_N2at6native12_GLOBAL__N_18offset_tEEE10hipError_tPvRmT1_PNSt15iterator_traitsISV_E10value_typeET2_T3_PNSW_IS11_E10value_typeET4_jRbjT5_S17_jjP12ihipStream_tbEUljE_EEESS_ST_SU_S11_S15_S17_T6_T7_T9_mT8_S19_bDpT10_ENKUlT_T0_E_clISt17integral_constantIbLb1EES1L_IbLb0EEEEDaS1H_S1I_EUlS1H_E_NS1_11comp_targetILNS1_3genE5ELNS1_11target_archE942ELNS1_3gpuE9ELNS1_3repE0EEENS1_30default_config_static_selectorELNS0_4arch9wavefront6targetE0EEEvSV_.has_indirect_call, 0
	.section	.AMDGPU.csdata,"",@progbits
; Kernel info:
; codeLenInByte = 0
; TotalNumSgprs: 0
; NumVgprs: 0
; ScratchSize: 0
; MemoryBound: 0
; FloatMode: 240
; IeeeMode: 1
; LDSByteSize: 0 bytes/workgroup (compile time only)
; SGPRBlocks: 0
; VGPRBlocks: 0
; NumSGPRsForWavesPerEU: 1
; NumVGPRsForWavesPerEU: 1
; Occupancy: 16
; WaveLimiterHint : 0
; COMPUTE_PGM_RSRC2:SCRATCH_EN: 0
; COMPUTE_PGM_RSRC2:USER_SGPR: 2
; COMPUTE_PGM_RSRC2:TRAP_HANDLER: 0
; COMPUTE_PGM_RSRC2:TGID_X_EN: 1
; COMPUTE_PGM_RSRC2:TGID_Y_EN: 0
; COMPUTE_PGM_RSRC2:TGID_Z_EN: 0
; COMPUTE_PGM_RSRC2:TIDIG_COMP_CNT: 0
	.section	.text._ZN7rocprim17ROCPRIM_400000_NS6detail17trampoline_kernelINS0_13select_configILj256ELj13ELNS0_17block_load_methodE3ELS4_3ELS4_3ELNS0_20block_scan_algorithmE0ELj4294967295EEENS1_25partition_config_selectorILNS1_17partition_subalgoE3EjNS0_10empty_typeEbEEZZNS1_14partition_implILS8_3ELb0ES6_jNS0_17counting_iteratorIjlEEPS9_SE_NS0_5tupleIJPjSE_EEENSF_IJSE_SE_EEES9_SG_JZNS1_25segmented_radix_sort_implINS0_14default_configELb0EPKlPlSM_SN_N2at6native12_GLOBAL__N_18offset_tEEE10hipError_tPvRmT1_PNSt15iterator_traitsISV_E10value_typeET2_T3_PNSW_IS11_E10value_typeET4_jRbjT5_S17_jjP12ihipStream_tbEUljE_EEESS_ST_SU_S11_S15_S17_T6_T7_T9_mT8_S19_bDpT10_ENKUlT_T0_E_clISt17integral_constantIbLb1EES1L_IbLb0EEEEDaS1H_S1I_EUlS1H_E_NS1_11comp_targetILNS1_3genE4ELNS1_11target_archE910ELNS1_3gpuE8ELNS1_3repE0EEENS1_30default_config_static_selectorELNS0_4arch9wavefront6targetE0EEEvSV_,"axG",@progbits,_ZN7rocprim17ROCPRIM_400000_NS6detail17trampoline_kernelINS0_13select_configILj256ELj13ELNS0_17block_load_methodE3ELS4_3ELS4_3ELNS0_20block_scan_algorithmE0ELj4294967295EEENS1_25partition_config_selectorILNS1_17partition_subalgoE3EjNS0_10empty_typeEbEEZZNS1_14partition_implILS8_3ELb0ES6_jNS0_17counting_iteratorIjlEEPS9_SE_NS0_5tupleIJPjSE_EEENSF_IJSE_SE_EEES9_SG_JZNS1_25segmented_radix_sort_implINS0_14default_configELb0EPKlPlSM_SN_N2at6native12_GLOBAL__N_18offset_tEEE10hipError_tPvRmT1_PNSt15iterator_traitsISV_E10value_typeET2_T3_PNSW_IS11_E10value_typeET4_jRbjT5_S17_jjP12ihipStream_tbEUljE_EEESS_ST_SU_S11_S15_S17_T6_T7_T9_mT8_S19_bDpT10_ENKUlT_T0_E_clISt17integral_constantIbLb1EES1L_IbLb0EEEEDaS1H_S1I_EUlS1H_E_NS1_11comp_targetILNS1_3genE4ELNS1_11target_archE910ELNS1_3gpuE8ELNS1_3repE0EEENS1_30default_config_static_selectorELNS0_4arch9wavefront6targetE0EEEvSV_,comdat
	.globl	_ZN7rocprim17ROCPRIM_400000_NS6detail17trampoline_kernelINS0_13select_configILj256ELj13ELNS0_17block_load_methodE3ELS4_3ELS4_3ELNS0_20block_scan_algorithmE0ELj4294967295EEENS1_25partition_config_selectorILNS1_17partition_subalgoE3EjNS0_10empty_typeEbEEZZNS1_14partition_implILS8_3ELb0ES6_jNS0_17counting_iteratorIjlEEPS9_SE_NS0_5tupleIJPjSE_EEENSF_IJSE_SE_EEES9_SG_JZNS1_25segmented_radix_sort_implINS0_14default_configELb0EPKlPlSM_SN_N2at6native12_GLOBAL__N_18offset_tEEE10hipError_tPvRmT1_PNSt15iterator_traitsISV_E10value_typeET2_T3_PNSW_IS11_E10value_typeET4_jRbjT5_S17_jjP12ihipStream_tbEUljE_EEESS_ST_SU_S11_S15_S17_T6_T7_T9_mT8_S19_bDpT10_ENKUlT_T0_E_clISt17integral_constantIbLb1EES1L_IbLb0EEEEDaS1H_S1I_EUlS1H_E_NS1_11comp_targetILNS1_3genE4ELNS1_11target_archE910ELNS1_3gpuE8ELNS1_3repE0EEENS1_30default_config_static_selectorELNS0_4arch9wavefront6targetE0EEEvSV_ ; -- Begin function _ZN7rocprim17ROCPRIM_400000_NS6detail17trampoline_kernelINS0_13select_configILj256ELj13ELNS0_17block_load_methodE3ELS4_3ELS4_3ELNS0_20block_scan_algorithmE0ELj4294967295EEENS1_25partition_config_selectorILNS1_17partition_subalgoE3EjNS0_10empty_typeEbEEZZNS1_14partition_implILS8_3ELb0ES6_jNS0_17counting_iteratorIjlEEPS9_SE_NS0_5tupleIJPjSE_EEENSF_IJSE_SE_EEES9_SG_JZNS1_25segmented_radix_sort_implINS0_14default_configELb0EPKlPlSM_SN_N2at6native12_GLOBAL__N_18offset_tEEE10hipError_tPvRmT1_PNSt15iterator_traitsISV_E10value_typeET2_T3_PNSW_IS11_E10value_typeET4_jRbjT5_S17_jjP12ihipStream_tbEUljE_EEESS_ST_SU_S11_S15_S17_T6_T7_T9_mT8_S19_bDpT10_ENKUlT_T0_E_clISt17integral_constantIbLb1EES1L_IbLb0EEEEDaS1H_S1I_EUlS1H_E_NS1_11comp_targetILNS1_3genE4ELNS1_11target_archE910ELNS1_3gpuE8ELNS1_3repE0EEENS1_30default_config_static_selectorELNS0_4arch9wavefront6targetE0EEEvSV_
	.p2align	8
	.type	_ZN7rocprim17ROCPRIM_400000_NS6detail17trampoline_kernelINS0_13select_configILj256ELj13ELNS0_17block_load_methodE3ELS4_3ELS4_3ELNS0_20block_scan_algorithmE0ELj4294967295EEENS1_25partition_config_selectorILNS1_17partition_subalgoE3EjNS0_10empty_typeEbEEZZNS1_14partition_implILS8_3ELb0ES6_jNS0_17counting_iteratorIjlEEPS9_SE_NS0_5tupleIJPjSE_EEENSF_IJSE_SE_EEES9_SG_JZNS1_25segmented_radix_sort_implINS0_14default_configELb0EPKlPlSM_SN_N2at6native12_GLOBAL__N_18offset_tEEE10hipError_tPvRmT1_PNSt15iterator_traitsISV_E10value_typeET2_T3_PNSW_IS11_E10value_typeET4_jRbjT5_S17_jjP12ihipStream_tbEUljE_EEESS_ST_SU_S11_S15_S17_T6_T7_T9_mT8_S19_bDpT10_ENKUlT_T0_E_clISt17integral_constantIbLb1EES1L_IbLb0EEEEDaS1H_S1I_EUlS1H_E_NS1_11comp_targetILNS1_3genE4ELNS1_11target_archE910ELNS1_3gpuE8ELNS1_3repE0EEENS1_30default_config_static_selectorELNS0_4arch9wavefront6targetE0EEEvSV_,@function
_ZN7rocprim17ROCPRIM_400000_NS6detail17trampoline_kernelINS0_13select_configILj256ELj13ELNS0_17block_load_methodE3ELS4_3ELS4_3ELNS0_20block_scan_algorithmE0ELj4294967295EEENS1_25partition_config_selectorILNS1_17partition_subalgoE3EjNS0_10empty_typeEbEEZZNS1_14partition_implILS8_3ELb0ES6_jNS0_17counting_iteratorIjlEEPS9_SE_NS0_5tupleIJPjSE_EEENSF_IJSE_SE_EEES9_SG_JZNS1_25segmented_radix_sort_implINS0_14default_configELb0EPKlPlSM_SN_N2at6native12_GLOBAL__N_18offset_tEEE10hipError_tPvRmT1_PNSt15iterator_traitsISV_E10value_typeET2_T3_PNSW_IS11_E10value_typeET4_jRbjT5_S17_jjP12ihipStream_tbEUljE_EEESS_ST_SU_S11_S15_S17_T6_T7_T9_mT8_S19_bDpT10_ENKUlT_T0_E_clISt17integral_constantIbLb1EES1L_IbLb0EEEEDaS1H_S1I_EUlS1H_E_NS1_11comp_targetILNS1_3genE4ELNS1_11target_archE910ELNS1_3gpuE8ELNS1_3repE0EEENS1_30default_config_static_selectorELNS0_4arch9wavefront6targetE0EEEvSV_: ; @_ZN7rocprim17ROCPRIM_400000_NS6detail17trampoline_kernelINS0_13select_configILj256ELj13ELNS0_17block_load_methodE3ELS4_3ELS4_3ELNS0_20block_scan_algorithmE0ELj4294967295EEENS1_25partition_config_selectorILNS1_17partition_subalgoE3EjNS0_10empty_typeEbEEZZNS1_14partition_implILS8_3ELb0ES6_jNS0_17counting_iteratorIjlEEPS9_SE_NS0_5tupleIJPjSE_EEENSF_IJSE_SE_EEES9_SG_JZNS1_25segmented_radix_sort_implINS0_14default_configELb0EPKlPlSM_SN_N2at6native12_GLOBAL__N_18offset_tEEE10hipError_tPvRmT1_PNSt15iterator_traitsISV_E10value_typeET2_T3_PNSW_IS11_E10value_typeET4_jRbjT5_S17_jjP12ihipStream_tbEUljE_EEESS_ST_SU_S11_S15_S17_T6_T7_T9_mT8_S19_bDpT10_ENKUlT_T0_E_clISt17integral_constantIbLb1EES1L_IbLb0EEEEDaS1H_S1I_EUlS1H_E_NS1_11comp_targetILNS1_3genE4ELNS1_11target_archE910ELNS1_3gpuE8ELNS1_3repE0EEENS1_30default_config_static_selectorELNS0_4arch9wavefront6targetE0EEEvSV_
; %bb.0:
	.section	.rodata,"a",@progbits
	.p2align	6, 0x0
	.amdhsa_kernel _ZN7rocprim17ROCPRIM_400000_NS6detail17trampoline_kernelINS0_13select_configILj256ELj13ELNS0_17block_load_methodE3ELS4_3ELS4_3ELNS0_20block_scan_algorithmE0ELj4294967295EEENS1_25partition_config_selectorILNS1_17partition_subalgoE3EjNS0_10empty_typeEbEEZZNS1_14partition_implILS8_3ELb0ES6_jNS0_17counting_iteratorIjlEEPS9_SE_NS0_5tupleIJPjSE_EEENSF_IJSE_SE_EEES9_SG_JZNS1_25segmented_radix_sort_implINS0_14default_configELb0EPKlPlSM_SN_N2at6native12_GLOBAL__N_18offset_tEEE10hipError_tPvRmT1_PNSt15iterator_traitsISV_E10value_typeET2_T3_PNSW_IS11_E10value_typeET4_jRbjT5_S17_jjP12ihipStream_tbEUljE_EEESS_ST_SU_S11_S15_S17_T6_T7_T9_mT8_S19_bDpT10_ENKUlT_T0_E_clISt17integral_constantIbLb1EES1L_IbLb0EEEEDaS1H_S1I_EUlS1H_E_NS1_11comp_targetILNS1_3genE4ELNS1_11target_archE910ELNS1_3gpuE8ELNS1_3repE0EEENS1_30default_config_static_selectorELNS0_4arch9wavefront6targetE0EEEvSV_
		.amdhsa_group_segment_fixed_size 0
		.amdhsa_private_segment_fixed_size 0
		.amdhsa_kernarg_size 144
		.amdhsa_user_sgpr_count 2
		.amdhsa_user_sgpr_dispatch_ptr 0
		.amdhsa_user_sgpr_queue_ptr 0
		.amdhsa_user_sgpr_kernarg_segment_ptr 1
		.amdhsa_user_sgpr_dispatch_id 0
		.amdhsa_user_sgpr_private_segment_size 0
		.amdhsa_wavefront_size32 1
		.amdhsa_uses_dynamic_stack 0
		.amdhsa_enable_private_segment 0
		.amdhsa_system_sgpr_workgroup_id_x 1
		.amdhsa_system_sgpr_workgroup_id_y 0
		.amdhsa_system_sgpr_workgroup_id_z 0
		.amdhsa_system_sgpr_workgroup_info 0
		.amdhsa_system_vgpr_workitem_id 0
		.amdhsa_next_free_vgpr 1
		.amdhsa_next_free_sgpr 1
		.amdhsa_reserve_vcc 0
		.amdhsa_float_round_mode_32 0
		.amdhsa_float_round_mode_16_64 0
		.amdhsa_float_denorm_mode_32 3
		.amdhsa_float_denorm_mode_16_64 3
		.amdhsa_fp16_overflow 0
		.amdhsa_workgroup_processor_mode 1
		.amdhsa_memory_ordered 1
		.amdhsa_forward_progress 1
		.amdhsa_inst_pref_size 0
		.amdhsa_round_robin_scheduling 0
		.amdhsa_exception_fp_ieee_invalid_op 0
		.amdhsa_exception_fp_denorm_src 0
		.amdhsa_exception_fp_ieee_div_zero 0
		.amdhsa_exception_fp_ieee_overflow 0
		.amdhsa_exception_fp_ieee_underflow 0
		.amdhsa_exception_fp_ieee_inexact 0
		.amdhsa_exception_int_div_zero 0
	.end_amdhsa_kernel
	.section	.text._ZN7rocprim17ROCPRIM_400000_NS6detail17trampoline_kernelINS0_13select_configILj256ELj13ELNS0_17block_load_methodE3ELS4_3ELS4_3ELNS0_20block_scan_algorithmE0ELj4294967295EEENS1_25partition_config_selectorILNS1_17partition_subalgoE3EjNS0_10empty_typeEbEEZZNS1_14partition_implILS8_3ELb0ES6_jNS0_17counting_iteratorIjlEEPS9_SE_NS0_5tupleIJPjSE_EEENSF_IJSE_SE_EEES9_SG_JZNS1_25segmented_radix_sort_implINS0_14default_configELb0EPKlPlSM_SN_N2at6native12_GLOBAL__N_18offset_tEEE10hipError_tPvRmT1_PNSt15iterator_traitsISV_E10value_typeET2_T3_PNSW_IS11_E10value_typeET4_jRbjT5_S17_jjP12ihipStream_tbEUljE_EEESS_ST_SU_S11_S15_S17_T6_T7_T9_mT8_S19_bDpT10_ENKUlT_T0_E_clISt17integral_constantIbLb1EES1L_IbLb0EEEEDaS1H_S1I_EUlS1H_E_NS1_11comp_targetILNS1_3genE4ELNS1_11target_archE910ELNS1_3gpuE8ELNS1_3repE0EEENS1_30default_config_static_selectorELNS0_4arch9wavefront6targetE0EEEvSV_,"axG",@progbits,_ZN7rocprim17ROCPRIM_400000_NS6detail17trampoline_kernelINS0_13select_configILj256ELj13ELNS0_17block_load_methodE3ELS4_3ELS4_3ELNS0_20block_scan_algorithmE0ELj4294967295EEENS1_25partition_config_selectorILNS1_17partition_subalgoE3EjNS0_10empty_typeEbEEZZNS1_14partition_implILS8_3ELb0ES6_jNS0_17counting_iteratorIjlEEPS9_SE_NS0_5tupleIJPjSE_EEENSF_IJSE_SE_EEES9_SG_JZNS1_25segmented_radix_sort_implINS0_14default_configELb0EPKlPlSM_SN_N2at6native12_GLOBAL__N_18offset_tEEE10hipError_tPvRmT1_PNSt15iterator_traitsISV_E10value_typeET2_T3_PNSW_IS11_E10value_typeET4_jRbjT5_S17_jjP12ihipStream_tbEUljE_EEESS_ST_SU_S11_S15_S17_T6_T7_T9_mT8_S19_bDpT10_ENKUlT_T0_E_clISt17integral_constantIbLb1EES1L_IbLb0EEEEDaS1H_S1I_EUlS1H_E_NS1_11comp_targetILNS1_3genE4ELNS1_11target_archE910ELNS1_3gpuE8ELNS1_3repE0EEENS1_30default_config_static_selectorELNS0_4arch9wavefront6targetE0EEEvSV_,comdat
.Lfunc_end793:
	.size	_ZN7rocprim17ROCPRIM_400000_NS6detail17trampoline_kernelINS0_13select_configILj256ELj13ELNS0_17block_load_methodE3ELS4_3ELS4_3ELNS0_20block_scan_algorithmE0ELj4294967295EEENS1_25partition_config_selectorILNS1_17partition_subalgoE3EjNS0_10empty_typeEbEEZZNS1_14partition_implILS8_3ELb0ES6_jNS0_17counting_iteratorIjlEEPS9_SE_NS0_5tupleIJPjSE_EEENSF_IJSE_SE_EEES9_SG_JZNS1_25segmented_radix_sort_implINS0_14default_configELb0EPKlPlSM_SN_N2at6native12_GLOBAL__N_18offset_tEEE10hipError_tPvRmT1_PNSt15iterator_traitsISV_E10value_typeET2_T3_PNSW_IS11_E10value_typeET4_jRbjT5_S17_jjP12ihipStream_tbEUljE_EEESS_ST_SU_S11_S15_S17_T6_T7_T9_mT8_S19_bDpT10_ENKUlT_T0_E_clISt17integral_constantIbLb1EES1L_IbLb0EEEEDaS1H_S1I_EUlS1H_E_NS1_11comp_targetILNS1_3genE4ELNS1_11target_archE910ELNS1_3gpuE8ELNS1_3repE0EEENS1_30default_config_static_selectorELNS0_4arch9wavefront6targetE0EEEvSV_, .Lfunc_end793-_ZN7rocprim17ROCPRIM_400000_NS6detail17trampoline_kernelINS0_13select_configILj256ELj13ELNS0_17block_load_methodE3ELS4_3ELS4_3ELNS0_20block_scan_algorithmE0ELj4294967295EEENS1_25partition_config_selectorILNS1_17partition_subalgoE3EjNS0_10empty_typeEbEEZZNS1_14partition_implILS8_3ELb0ES6_jNS0_17counting_iteratorIjlEEPS9_SE_NS0_5tupleIJPjSE_EEENSF_IJSE_SE_EEES9_SG_JZNS1_25segmented_radix_sort_implINS0_14default_configELb0EPKlPlSM_SN_N2at6native12_GLOBAL__N_18offset_tEEE10hipError_tPvRmT1_PNSt15iterator_traitsISV_E10value_typeET2_T3_PNSW_IS11_E10value_typeET4_jRbjT5_S17_jjP12ihipStream_tbEUljE_EEESS_ST_SU_S11_S15_S17_T6_T7_T9_mT8_S19_bDpT10_ENKUlT_T0_E_clISt17integral_constantIbLb1EES1L_IbLb0EEEEDaS1H_S1I_EUlS1H_E_NS1_11comp_targetILNS1_3genE4ELNS1_11target_archE910ELNS1_3gpuE8ELNS1_3repE0EEENS1_30default_config_static_selectorELNS0_4arch9wavefront6targetE0EEEvSV_
                                        ; -- End function
	.set _ZN7rocprim17ROCPRIM_400000_NS6detail17trampoline_kernelINS0_13select_configILj256ELj13ELNS0_17block_load_methodE3ELS4_3ELS4_3ELNS0_20block_scan_algorithmE0ELj4294967295EEENS1_25partition_config_selectorILNS1_17partition_subalgoE3EjNS0_10empty_typeEbEEZZNS1_14partition_implILS8_3ELb0ES6_jNS0_17counting_iteratorIjlEEPS9_SE_NS0_5tupleIJPjSE_EEENSF_IJSE_SE_EEES9_SG_JZNS1_25segmented_radix_sort_implINS0_14default_configELb0EPKlPlSM_SN_N2at6native12_GLOBAL__N_18offset_tEEE10hipError_tPvRmT1_PNSt15iterator_traitsISV_E10value_typeET2_T3_PNSW_IS11_E10value_typeET4_jRbjT5_S17_jjP12ihipStream_tbEUljE_EEESS_ST_SU_S11_S15_S17_T6_T7_T9_mT8_S19_bDpT10_ENKUlT_T0_E_clISt17integral_constantIbLb1EES1L_IbLb0EEEEDaS1H_S1I_EUlS1H_E_NS1_11comp_targetILNS1_3genE4ELNS1_11target_archE910ELNS1_3gpuE8ELNS1_3repE0EEENS1_30default_config_static_selectorELNS0_4arch9wavefront6targetE0EEEvSV_.num_vgpr, 0
	.set _ZN7rocprim17ROCPRIM_400000_NS6detail17trampoline_kernelINS0_13select_configILj256ELj13ELNS0_17block_load_methodE3ELS4_3ELS4_3ELNS0_20block_scan_algorithmE0ELj4294967295EEENS1_25partition_config_selectorILNS1_17partition_subalgoE3EjNS0_10empty_typeEbEEZZNS1_14partition_implILS8_3ELb0ES6_jNS0_17counting_iteratorIjlEEPS9_SE_NS0_5tupleIJPjSE_EEENSF_IJSE_SE_EEES9_SG_JZNS1_25segmented_radix_sort_implINS0_14default_configELb0EPKlPlSM_SN_N2at6native12_GLOBAL__N_18offset_tEEE10hipError_tPvRmT1_PNSt15iterator_traitsISV_E10value_typeET2_T3_PNSW_IS11_E10value_typeET4_jRbjT5_S17_jjP12ihipStream_tbEUljE_EEESS_ST_SU_S11_S15_S17_T6_T7_T9_mT8_S19_bDpT10_ENKUlT_T0_E_clISt17integral_constantIbLb1EES1L_IbLb0EEEEDaS1H_S1I_EUlS1H_E_NS1_11comp_targetILNS1_3genE4ELNS1_11target_archE910ELNS1_3gpuE8ELNS1_3repE0EEENS1_30default_config_static_selectorELNS0_4arch9wavefront6targetE0EEEvSV_.num_agpr, 0
	.set _ZN7rocprim17ROCPRIM_400000_NS6detail17trampoline_kernelINS0_13select_configILj256ELj13ELNS0_17block_load_methodE3ELS4_3ELS4_3ELNS0_20block_scan_algorithmE0ELj4294967295EEENS1_25partition_config_selectorILNS1_17partition_subalgoE3EjNS0_10empty_typeEbEEZZNS1_14partition_implILS8_3ELb0ES6_jNS0_17counting_iteratorIjlEEPS9_SE_NS0_5tupleIJPjSE_EEENSF_IJSE_SE_EEES9_SG_JZNS1_25segmented_radix_sort_implINS0_14default_configELb0EPKlPlSM_SN_N2at6native12_GLOBAL__N_18offset_tEEE10hipError_tPvRmT1_PNSt15iterator_traitsISV_E10value_typeET2_T3_PNSW_IS11_E10value_typeET4_jRbjT5_S17_jjP12ihipStream_tbEUljE_EEESS_ST_SU_S11_S15_S17_T6_T7_T9_mT8_S19_bDpT10_ENKUlT_T0_E_clISt17integral_constantIbLb1EES1L_IbLb0EEEEDaS1H_S1I_EUlS1H_E_NS1_11comp_targetILNS1_3genE4ELNS1_11target_archE910ELNS1_3gpuE8ELNS1_3repE0EEENS1_30default_config_static_selectorELNS0_4arch9wavefront6targetE0EEEvSV_.numbered_sgpr, 0
	.set _ZN7rocprim17ROCPRIM_400000_NS6detail17trampoline_kernelINS0_13select_configILj256ELj13ELNS0_17block_load_methodE3ELS4_3ELS4_3ELNS0_20block_scan_algorithmE0ELj4294967295EEENS1_25partition_config_selectorILNS1_17partition_subalgoE3EjNS0_10empty_typeEbEEZZNS1_14partition_implILS8_3ELb0ES6_jNS0_17counting_iteratorIjlEEPS9_SE_NS0_5tupleIJPjSE_EEENSF_IJSE_SE_EEES9_SG_JZNS1_25segmented_radix_sort_implINS0_14default_configELb0EPKlPlSM_SN_N2at6native12_GLOBAL__N_18offset_tEEE10hipError_tPvRmT1_PNSt15iterator_traitsISV_E10value_typeET2_T3_PNSW_IS11_E10value_typeET4_jRbjT5_S17_jjP12ihipStream_tbEUljE_EEESS_ST_SU_S11_S15_S17_T6_T7_T9_mT8_S19_bDpT10_ENKUlT_T0_E_clISt17integral_constantIbLb1EES1L_IbLb0EEEEDaS1H_S1I_EUlS1H_E_NS1_11comp_targetILNS1_3genE4ELNS1_11target_archE910ELNS1_3gpuE8ELNS1_3repE0EEENS1_30default_config_static_selectorELNS0_4arch9wavefront6targetE0EEEvSV_.num_named_barrier, 0
	.set _ZN7rocprim17ROCPRIM_400000_NS6detail17trampoline_kernelINS0_13select_configILj256ELj13ELNS0_17block_load_methodE3ELS4_3ELS4_3ELNS0_20block_scan_algorithmE0ELj4294967295EEENS1_25partition_config_selectorILNS1_17partition_subalgoE3EjNS0_10empty_typeEbEEZZNS1_14partition_implILS8_3ELb0ES6_jNS0_17counting_iteratorIjlEEPS9_SE_NS0_5tupleIJPjSE_EEENSF_IJSE_SE_EEES9_SG_JZNS1_25segmented_radix_sort_implINS0_14default_configELb0EPKlPlSM_SN_N2at6native12_GLOBAL__N_18offset_tEEE10hipError_tPvRmT1_PNSt15iterator_traitsISV_E10value_typeET2_T3_PNSW_IS11_E10value_typeET4_jRbjT5_S17_jjP12ihipStream_tbEUljE_EEESS_ST_SU_S11_S15_S17_T6_T7_T9_mT8_S19_bDpT10_ENKUlT_T0_E_clISt17integral_constantIbLb1EES1L_IbLb0EEEEDaS1H_S1I_EUlS1H_E_NS1_11comp_targetILNS1_3genE4ELNS1_11target_archE910ELNS1_3gpuE8ELNS1_3repE0EEENS1_30default_config_static_selectorELNS0_4arch9wavefront6targetE0EEEvSV_.private_seg_size, 0
	.set _ZN7rocprim17ROCPRIM_400000_NS6detail17trampoline_kernelINS0_13select_configILj256ELj13ELNS0_17block_load_methodE3ELS4_3ELS4_3ELNS0_20block_scan_algorithmE0ELj4294967295EEENS1_25partition_config_selectorILNS1_17partition_subalgoE3EjNS0_10empty_typeEbEEZZNS1_14partition_implILS8_3ELb0ES6_jNS0_17counting_iteratorIjlEEPS9_SE_NS0_5tupleIJPjSE_EEENSF_IJSE_SE_EEES9_SG_JZNS1_25segmented_radix_sort_implINS0_14default_configELb0EPKlPlSM_SN_N2at6native12_GLOBAL__N_18offset_tEEE10hipError_tPvRmT1_PNSt15iterator_traitsISV_E10value_typeET2_T3_PNSW_IS11_E10value_typeET4_jRbjT5_S17_jjP12ihipStream_tbEUljE_EEESS_ST_SU_S11_S15_S17_T6_T7_T9_mT8_S19_bDpT10_ENKUlT_T0_E_clISt17integral_constantIbLb1EES1L_IbLb0EEEEDaS1H_S1I_EUlS1H_E_NS1_11comp_targetILNS1_3genE4ELNS1_11target_archE910ELNS1_3gpuE8ELNS1_3repE0EEENS1_30default_config_static_selectorELNS0_4arch9wavefront6targetE0EEEvSV_.uses_vcc, 0
	.set _ZN7rocprim17ROCPRIM_400000_NS6detail17trampoline_kernelINS0_13select_configILj256ELj13ELNS0_17block_load_methodE3ELS4_3ELS4_3ELNS0_20block_scan_algorithmE0ELj4294967295EEENS1_25partition_config_selectorILNS1_17partition_subalgoE3EjNS0_10empty_typeEbEEZZNS1_14partition_implILS8_3ELb0ES6_jNS0_17counting_iteratorIjlEEPS9_SE_NS0_5tupleIJPjSE_EEENSF_IJSE_SE_EEES9_SG_JZNS1_25segmented_radix_sort_implINS0_14default_configELb0EPKlPlSM_SN_N2at6native12_GLOBAL__N_18offset_tEEE10hipError_tPvRmT1_PNSt15iterator_traitsISV_E10value_typeET2_T3_PNSW_IS11_E10value_typeET4_jRbjT5_S17_jjP12ihipStream_tbEUljE_EEESS_ST_SU_S11_S15_S17_T6_T7_T9_mT8_S19_bDpT10_ENKUlT_T0_E_clISt17integral_constantIbLb1EES1L_IbLb0EEEEDaS1H_S1I_EUlS1H_E_NS1_11comp_targetILNS1_3genE4ELNS1_11target_archE910ELNS1_3gpuE8ELNS1_3repE0EEENS1_30default_config_static_selectorELNS0_4arch9wavefront6targetE0EEEvSV_.uses_flat_scratch, 0
	.set _ZN7rocprim17ROCPRIM_400000_NS6detail17trampoline_kernelINS0_13select_configILj256ELj13ELNS0_17block_load_methodE3ELS4_3ELS4_3ELNS0_20block_scan_algorithmE0ELj4294967295EEENS1_25partition_config_selectorILNS1_17partition_subalgoE3EjNS0_10empty_typeEbEEZZNS1_14partition_implILS8_3ELb0ES6_jNS0_17counting_iteratorIjlEEPS9_SE_NS0_5tupleIJPjSE_EEENSF_IJSE_SE_EEES9_SG_JZNS1_25segmented_radix_sort_implINS0_14default_configELb0EPKlPlSM_SN_N2at6native12_GLOBAL__N_18offset_tEEE10hipError_tPvRmT1_PNSt15iterator_traitsISV_E10value_typeET2_T3_PNSW_IS11_E10value_typeET4_jRbjT5_S17_jjP12ihipStream_tbEUljE_EEESS_ST_SU_S11_S15_S17_T6_T7_T9_mT8_S19_bDpT10_ENKUlT_T0_E_clISt17integral_constantIbLb1EES1L_IbLb0EEEEDaS1H_S1I_EUlS1H_E_NS1_11comp_targetILNS1_3genE4ELNS1_11target_archE910ELNS1_3gpuE8ELNS1_3repE0EEENS1_30default_config_static_selectorELNS0_4arch9wavefront6targetE0EEEvSV_.has_dyn_sized_stack, 0
	.set _ZN7rocprim17ROCPRIM_400000_NS6detail17trampoline_kernelINS0_13select_configILj256ELj13ELNS0_17block_load_methodE3ELS4_3ELS4_3ELNS0_20block_scan_algorithmE0ELj4294967295EEENS1_25partition_config_selectorILNS1_17partition_subalgoE3EjNS0_10empty_typeEbEEZZNS1_14partition_implILS8_3ELb0ES6_jNS0_17counting_iteratorIjlEEPS9_SE_NS0_5tupleIJPjSE_EEENSF_IJSE_SE_EEES9_SG_JZNS1_25segmented_radix_sort_implINS0_14default_configELb0EPKlPlSM_SN_N2at6native12_GLOBAL__N_18offset_tEEE10hipError_tPvRmT1_PNSt15iterator_traitsISV_E10value_typeET2_T3_PNSW_IS11_E10value_typeET4_jRbjT5_S17_jjP12ihipStream_tbEUljE_EEESS_ST_SU_S11_S15_S17_T6_T7_T9_mT8_S19_bDpT10_ENKUlT_T0_E_clISt17integral_constantIbLb1EES1L_IbLb0EEEEDaS1H_S1I_EUlS1H_E_NS1_11comp_targetILNS1_3genE4ELNS1_11target_archE910ELNS1_3gpuE8ELNS1_3repE0EEENS1_30default_config_static_selectorELNS0_4arch9wavefront6targetE0EEEvSV_.has_recursion, 0
	.set _ZN7rocprim17ROCPRIM_400000_NS6detail17trampoline_kernelINS0_13select_configILj256ELj13ELNS0_17block_load_methodE3ELS4_3ELS4_3ELNS0_20block_scan_algorithmE0ELj4294967295EEENS1_25partition_config_selectorILNS1_17partition_subalgoE3EjNS0_10empty_typeEbEEZZNS1_14partition_implILS8_3ELb0ES6_jNS0_17counting_iteratorIjlEEPS9_SE_NS0_5tupleIJPjSE_EEENSF_IJSE_SE_EEES9_SG_JZNS1_25segmented_radix_sort_implINS0_14default_configELb0EPKlPlSM_SN_N2at6native12_GLOBAL__N_18offset_tEEE10hipError_tPvRmT1_PNSt15iterator_traitsISV_E10value_typeET2_T3_PNSW_IS11_E10value_typeET4_jRbjT5_S17_jjP12ihipStream_tbEUljE_EEESS_ST_SU_S11_S15_S17_T6_T7_T9_mT8_S19_bDpT10_ENKUlT_T0_E_clISt17integral_constantIbLb1EES1L_IbLb0EEEEDaS1H_S1I_EUlS1H_E_NS1_11comp_targetILNS1_3genE4ELNS1_11target_archE910ELNS1_3gpuE8ELNS1_3repE0EEENS1_30default_config_static_selectorELNS0_4arch9wavefront6targetE0EEEvSV_.has_indirect_call, 0
	.section	.AMDGPU.csdata,"",@progbits
; Kernel info:
; codeLenInByte = 0
; TotalNumSgprs: 0
; NumVgprs: 0
; ScratchSize: 0
; MemoryBound: 0
; FloatMode: 240
; IeeeMode: 1
; LDSByteSize: 0 bytes/workgroup (compile time only)
; SGPRBlocks: 0
; VGPRBlocks: 0
; NumSGPRsForWavesPerEU: 1
; NumVGPRsForWavesPerEU: 1
; Occupancy: 16
; WaveLimiterHint : 0
; COMPUTE_PGM_RSRC2:SCRATCH_EN: 0
; COMPUTE_PGM_RSRC2:USER_SGPR: 2
; COMPUTE_PGM_RSRC2:TRAP_HANDLER: 0
; COMPUTE_PGM_RSRC2:TGID_X_EN: 1
; COMPUTE_PGM_RSRC2:TGID_Y_EN: 0
; COMPUTE_PGM_RSRC2:TGID_Z_EN: 0
; COMPUTE_PGM_RSRC2:TIDIG_COMP_CNT: 0
	.section	.text._ZN7rocprim17ROCPRIM_400000_NS6detail17trampoline_kernelINS0_13select_configILj256ELj13ELNS0_17block_load_methodE3ELS4_3ELS4_3ELNS0_20block_scan_algorithmE0ELj4294967295EEENS1_25partition_config_selectorILNS1_17partition_subalgoE3EjNS0_10empty_typeEbEEZZNS1_14partition_implILS8_3ELb0ES6_jNS0_17counting_iteratorIjlEEPS9_SE_NS0_5tupleIJPjSE_EEENSF_IJSE_SE_EEES9_SG_JZNS1_25segmented_radix_sort_implINS0_14default_configELb0EPKlPlSM_SN_N2at6native12_GLOBAL__N_18offset_tEEE10hipError_tPvRmT1_PNSt15iterator_traitsISV_E10value_typeET2_T3_PNSW_IS11_E10value_typeET4_jRbjT5_S17_jjP12ihipStream_tbEUljE_EEESS_ST_SU_S11_S15_S17_T6_T7_T9_mT8_S19_bDpT10_ENKUlT_T0_E_clISt17integral_constantIbLb1EES1L_IbLb0EEEEDaS1H_S1I_EUlS1H_E_NS1_11comp_targetILNS1_3genE3ELNS1_11target_archE908ELNS1_3gpuE7ELNS1_3repE0EEENS1_30default_config_static_selectorELNS0_4arch9wavefront6targetE0EEEvSV_,"axG",@progbits,_ZN7rocprim17ROCPRIM_400000_NS6detail17trampoline_kernelINS0_13select_configILj256ELj13ELNS0_17block_load_methodE3ELS4_3ELS4_3ELNS0_20block_scan_algorithmE0ELj4294967295EEENS1_25partition_config_selectorILNS1_17partition_subalgoE3EjNS0_10empty_typeEbEEZZNS1_14partition_implILS8_3ELb0ES6_jNS0_17counting_iteratorIjlEEPS9_SE_NS0_5tupleIJPjSE_EEENSF_IJSE_SE_EEES9_SG_JZNS1_25segmented_radix_sort_implINS0_14default_configELb0EPKlPlSM_SN_N2at6native12_GLOBAL__N_18offset_tEEE10hipError_tPvRmT1_PNSt15iterator_traitsISV_E10value_typeET2_T3_PNSW_IS11_E10value_typeET4_jRbjT5_S17_jjP12ihipStream_tbEUljE_EEESS_ST_SU_S11_S15_S17_T6_T7_T9_mT8_S19_bDpT10_ENKUlT_T0_E_clISt17integral_constantIbLb1EES1L_IbLb0EEEEDaS1H_S1I_EUlS1H_E_NS1_11comp_targetILNS1_3genE3ELNS1_11target_archE908ELNS1_3gpuE7ELNS1_3repE0EEENS1_30default_config_static_selectorELNS0_4arch9wavefront6targetE0EEEvSV_,comdat
	.globl	_ZN7rocprim17ROCPRIM_400000_NS6detail17trampoline_kernelINS0_13select_configILj256ELj13ELNS0_17block_load_methodE3ELS4_3ELS4_3ELNS0_20block_scan_algorithmE0ELj4294967295EEENS1_25partition_config_selectorILNS1_17partition_subalgoE3EjNS0_10empty_typeEbEEZZNS1_14partition_implILS8_3ELb0ES6_jNS0_17counting_iteratorIjlEEPS9_SE_NS0_5tupleIJPjSE_EEENSF_IJSE_SE_EEES9_SG_JZNS1_25segmented_radix_sort_implINS0_14default_configELb0EPKlPlSM_SN_N2at6native12_GLOBAL__N_18offset_tEEE10hipError_tPvRmT1_PNSt15iterator_traitsISV_E10value_typeET2_T3_PNSW_IS11_E10value_typeET4_jRbjT5_S17_jjP12ihipStream_tbEUljE_EEESS_ST_SU_S11_S15_S17_T6_T7_T9_mT8_S19_bDpT10_ENKUlT_T0_E_clISt17integral_constantIbLb1EES1L_IbLb0EEEEDaS1H_S1I_EUlS1H_E_NS1_11comp_targetILNS1_3genE3ELNS1_11target_archE908ELNS1_3gpuE7ELNS1_3repE0EEENS1_30default_config_static_selectorELNS0_4arch9wavefront6targetE0EEEvSV_ ; -- Begin function _ZN7rocprim17ROCPRIM_400000_NS6detail17trampoline_kernelINS0_13select_configILj256ELj13ELNS0_17block_load_methodE3ELS4_3ELS4_3ELNS0_20block_scan_algorithmE0ELj4294967295EEENS1_25partition_config_selectorILNS1_17partition_subalgoE3EjNS0_10empty_typeEbEEZZNS1_14partition_implILS8_3ELb0ES6_jNS0_17counting_iteratorIjlEEPS9_SE_NS0_5tupleIJPjSE_EEENSF_IJSE_SE_EEES9_SG_JZNS1_25segmented_radix_sort_implINS0_14default_configELb0EPKlPlSM_SN_N2at6native12_GLOBAL__N_18offset_tEEE10hipError_tPvRmT1_PNSt15iterator_traitsISV_E10value_typeET2_T3_PNSW_IS11_E10value_typeET4_jRbjT5_S17_jjP12ihipStream_tbEUljE_EEESS_ST_SU_S11_S15_S17_T6_T7_T9_mT8_S19_bDpT10_ENKUlT_T0_E_clISt17integral_constantIbLb1EES1L_IbLb0EEEEDaS1H_S1I_EUlS1H_E_NS1_11comp_targetILNS1_3genE3ELNS1_11target_archE908ELNS1_3gpuE7ELNS1_3repE0EEENS1_30default_config_static_selectorELNS0_4arch9wavefront6targetE0EEEvSV_
	.p2align	8
	.type	_ZN7rocprim17ROCPRIM_400000_NS6detail17trampoline_kernelINS0_13select_configILj256ELj13ELNS0_17block_load_methodE3ELS4_3ELS4_3ELNS0_20block_scan_algorithmE0ELj4294967295EEENS1_25partition_config_selectorILNS1_17partition_subalgoE3EjNS0_10empty_typeEbEEZZNS1_14partition_implILS8_3ELb0ES6_jNS0_17counting_iteratorIjlEEPS9_SE_NS0_5tupleIJPjSE_EEENSF_IJSE_SE_EEES9_SG_JZNS1_25segmented_radix_sort_implINS0_14default_configELb0EPKlPlSM_SN_N2at6native12_GLOBAL__N_18offset_tEEE10hipError_tPvRmT1_PNSt15iterator_traitsISV_E10value_typeET2_T3_PNSW_IS11_E10value_typeET4_jRbjT5_S17_jjP12ihipStream_tbEUljE_EEESS_ST_SU_S11_S15_S17_T6_T7_T9_mT8_S19_bDpT10_ENKUlT_T0_E_clISt17integral_constantIbLb1EES1L_IbLb0EEEEDaS1H_S1I_EUlS1H_E_NS1_11comp_targetILNS1_3genE3ELNS1_11target_archE908ELNS1_3gpuE7ELNS1_3repE0EEENS1_30default_config_static_selectorELNS0_4arch9wavefront6targetE0EEEvSV_,@function
_ZN7rocprim17ROCPRIM_400000_NS6detail17trampoline_kernelINS0_13select_configILj256ELj13ELNS0_17block_load_methodE3ELS4_3ELS4_3ELNS0_20block_scan_algorithmE0ELj4294967295EEENS1_25partition_config_selectorILNS1_17partition_subalgoE3EjNS0_10empty_typeEbEEZZNS1_14partition_implILS8_3ELb0ES6_jNS0_17counting_iteratorIjlEEPS9_SE_NS0_5tupleIJPjSE_EEENSF_IJSE_SE_EEES9_SG_JZNS1_25segmented_radix_sort_implINS0_14default_configELb0EPKlPlSM_SN_N2at6native12_GLOBAL__N_18offset_tEEE10hipError_tPvRmT1_PNSt15iterator_traitsISV_E10value_typeET2_T3_PNSW_IS11_E10value_typeET4_jRbjT5_S17_jjP12ihipStream_tbEUljE_EEESS_ST_SU_S11_S15_S17_T6_T7_T9_mT8_S19_bDpT10_ENKUlT_T0_E_clISt17integral_constantIbLb1EES1L_IbLb0EEEEDaS1H_S1I_EUlS1H_E_NS1_11comp_targetILNS1_3genE3ELNS1_11target_archE908ELNS1_3gpuE7ELNS1_3repE0EEENS1_30default_config_static_selectorELNS0_4arch9wavefront6targetE0EEEvSV_: ; @_ZN7rocprim17ROCPRIM_400000_NS6detail17trampoline_kernelINS0_13select_configILj256ELj13ELNS0_17block_load_methodE3ELS4_3ELS4_3ELNS0_20block_scan_algorithmE0ELj4294967295EEENS1_25partition_config_selectorILNS1_17partition_subalgoE3EjNS0_10empty_typeEbEEZZNS1_14partition_implILS8_3ELb0ES6_jNS0_17counting_iteratorIjlEEPS9_SE_NS0_5tupleIJPjSE_EEENSF_IJSE_SE_EEES9_SG_JZNS1_25segmented_radix_sort_implINS0_14default_configELb0EPKlPlSM_SN_N2at6native12_GLOBAL__N_18offset_tEEE10hipError_tPvRmT1_PNSt15iterator_traitsISV_E10value_typeET2_T3_PNSW_IS11_E10value_typeET4_jRbjT5_S17_jjP12ihipStream_tbEUljE_EEESS_ST_SU_S11_S15_S17_T6_T7_T9_mT8_S19_bDpT10_ENKUlT_T0_E_clISt17integral_constantIbLb1EES1L_IbLb0EEEEDaS1H_S1I_EUlS1H_E_NS1_11comp_targetILNS1_3genE3ELNS1_11target_archE908ELNS1_3gpuE7ELNS1_3repE0EEENS1_30default_config_static_selectorELNS0_4arch9wavefront6targetE0EEEvSV_
; %bb.0:
	.section	.rodata,"a",@progbits
	.p2align	6, 0x0
	.amdhsa_kernel _ZN7rocprim17ROCPRIM_400000_NS6detail17trampoline_kernelINS0_13select_configILj256ELj13ELNS0_17block_load_methodE3ELS4_3ELS4_3ELNS0_20block_scan_algorithmE0ELj4294967295EEENS1_25partition_config_selectorILNS1_17partition_subalgoE3EjNS0_10empty_typeEbEEZZNS1_14partition_implILS8_3ELb0ES6_jNS0_17counting_iteratorIjlEEPS9_SE_NS0_5tupleIJPjSE_EEENSF_IJSE_SE_EEES9_SG_JZNS1_25segmented_radix_sort_implINS0_14default_configELb0EPKlPlSM_SN_N2at6native12_GLOBAL__N_18offset_tEEE10hipError_tPvRmT1_PNSt15iterator_traitsISV_E10value_typeET2_T3_PNSW_IS11_E10value_typeET4_jRbjT5_S17_jjP12ihipStream_tbEUljE_EEESS_ST_SU_S11_S15_S17_T6_T7_T9_mT8_S19_bDpT10_ENKUlT_T0_E_clISt17integral_constantIbLb1EES1L_IbLb0EEEEDaS1H_S1I_EUlS1H_E_NS1_11comp_targetILNS1_3genE3ELNS1_11target_archE908ELNS1_3gpuE7ELNS1_3repE0EEENS1_30default_config_static_selectorELNS0_4arch9wavefront6targetE0EEEvSV_
		.amdhsa_group_segment_fixed_size 0
		.amdhsa_private_segment_fixed_size 0
		.amdhsa_kernarg_size 144
		.amdhsa_user_sgpr_count 2
		.amdhsa_user_sgpr_dispatch_ptr 0
		.amdhsa_user_sgpr_queue_ptr 0
		.amdhsa_user_sgpr_kernarg_segment_ptr 1
		.amdhsa_user_sgpr_dispatch_id 0
		.amdhsa_user_sgpr_private_segment_size 0
		.amdhsa_wavefront_size32 1
		.amdhsa_uses_dynamic_stack 0
		.amdhsa_enable_private_segment 0
		.amdhsa_system_sgpr_workgroup_id_x 1
		.amdhsa_system_sgpr_workgroup_id_y 0
		.amdhsa_system_sgpr_workgroup_id_z 0
		.amdhsa_system_sgpr_workgroup_info 0
		.amdhsa_system_vgpr_workitem_id 0
		.amdhsa_next_free_vgpr 1
		.amdhsa_next_free_sgpr 1
		.amdhsa_reserve_vcc 0
		.amdhsa_float_round_mode_32 0
		.amdhsa_float_round_mode_16_64 0
		.amdhsa_float_denorm_mode_32 3
		.amdhsa_float_denorm_mode_16_64 3
		.amdhsa_fp16_overflow 0
		.amdhsa_workgroup_processor_mode 1
		.amdhsa_memory_ordered 1
		.amdhsa_forward_progress 1
		.amdhsa_inst_pref_size 0
		.amdhsa_round_robin_scheduling 0
		.amdhsa_exception_fp_ieee_invalid_op 0
		.amdhsa_exception_fp_denorm_src 0
		.amdhsa_exception_fp_ieee_div_zero 0
		.amdhsa_exception_fp_ieee_overflow 0
		.amdhsa_exception_fp_ieee_underflow 0
		.amdhsa_exception_fp_ieee_inexact 0
		.amdhsa_exception_int_div_zero 0
	.end_amdhsa_kernel
	.section	.text._ZN7rocprim17ROCPRIM_400000_NS6detail17trampoline_kernelINS0_13select_configILj256ELj13ELNS0_17block_load_methodE3ELS4_3ELS4_3ELNS0_20block_scan_algorithmE0ELj4294967295EEENS1_25partition_config_selectorILNS1_17partition_subalgoE3EjNS0_10empty_typeEbEEZZNS1_14partition_implILS8_3ELb0ES6_jNS0_17counting_iteratorIjlEEPS9_SE_NS0_5tupleIJPjSE_EEENSF_IJSE_SE_EEES9_SG_JZNS1_25segmented_radix_sort_implINS0_14default_configELb0EPKlPlSM_SN_N2at6native12_GLOBAL__N_18offset_tEEE10hipError_tPvRmT1_PNSt15iterator_traitsISV_E10value_typeET2_T3_PNSW_IS11_E10value_typeET4_jRbjT5_S17_jjP12ihipStream_tbEUljE_EEESS_ST_SU_S11_S15_S17_T6_T7_T9_mT8_S19_bDpT10_ENKUlT_T0_E_clISt17integral_constantIbLb1EES1L_IbLb0EEEEDaS1H_S1I_EUlS1H_E_NS1_11comp_targetILNS1_3genE3ELNS1_11target_archE908ELNS1_3gpuE7ELNS1_3repE0EEENS1_30default_config_static_selectorELNS0_4arch9wavefront6targetE0EEEvSV_,"axG",@progbits,_ZN7rocprim17ROCPRIM_400000_NS6detail17trampoline_kernelINS0_13select_configILj256ELj13ELNS0_17block_load_methodE3ELS4_3ELS4_3ELNS0_20block_scan_algorithmE0ELj4294967295EEENS1_25partition_config_selectorILNS1_17partition_subalgoE3EjNS0_10empty_typeEbEEZZNS1_14partition_implILS8_3ELb0ES6_jNS0_17counting_iteratorIjlEEPS9_SE_NS0_5tupleIJPjSE_EEENSF_IJSE_SE_EEES9_SG_JZNS1_25segmented_radix_sort_implINS0_14default_configELb0EPKlPlSM_SN_N2at6native12_GLOBAL__N_18offset_tEEE10hipError_tPvRmT1_PNSt15iterator_traitsISV_E10value_typeET2_T3_PNSW_IS11_E10value_typeET4_jRbjT5_S17_jjP12ihipStream_tbEUljE_EEESS_ST_SU_S11_S15_S17_T6_T7_T9_mT8_S19_bDpT10_ENKUlT_T0_E_clISt17integral_constantIbLb1EES1L_IbLb0EEEEDaS1H_S1I_EUlS1H_E_NS1_11comp_targetILNS1_3genE3ELNS1_11target_archE908ELNS1_3gpuE7ELNS1_3repE0EEENS1_30default_config_static_selectorELNS0_4arch9wavefront6targetE0EEEvSV_,comdat
.Lfunc_end794:
	.size	_ZN7rocprim17ROCPRIM_400000_NS6detail17trampoline_kernelINS0_13select_configILj256ELj13ELNS0_17block_load_methodE3ELS4_3ELS4_3ELNS0_20block_scan_algorithmE0ELj4294967295EEENS1_25partition_config_selectorILNS1_17partition_subalgoE3EjNS0_10empty_typeEbEEZZNS1_14partition_implILS8_3ELb0ES6_jNS0_17counting_iteratorIjlEEPS9_SE_NS0_5tupleIJPjSE_EEENSF_IJSE_SE_EEES9_SG_JZNS1_25segmented_radix_sort_implINS0_14default_configELb0EPKlPlSM_SN_N2at6native12_GLOBAL__N_18offset_tEEE10hipError_tPvRmT1_PNSt15iterator_traitsISV_E10value_typeET2_T3_PNSW_IS11_E10value_typeET4_jRbjT5_S17_jjP12ihipStream_tbEUljE_EEESS_ST_SU_S11_S15_S17_T6_T7_T9_mT8_S19_bDpT10_ENKUlT_T0_E_clISt17integral_constantIbLb1EES1L_IbLb0EEEEDaS1H_S1I_EUlS1H_E_NS1_11comp_targetILNS1_3genE3ELNS1_11target_archE908ELNS1_3gpuE7ELNS1_3repE0EEENS1_30default_config_static_selectorELNS0_4arch9wavefront6targetE0EEEvSV_, .Lfunc_end794-_ZN7rocprim17ROCPRIM_400000_NS6detail17trampoline_kernelINS0_13select_configILj256ELj13ELNS0_17block_load_methodE3ELS4_3ELS4_3ELNS0_20block_scan_algorithmE0ELj4294967295EEENS1_25partition_config_selectorILNS1_17partition_subalgoE3EjNS0_10empty_typeEbEEZZNS1_14partition_implILS8_3ELb0ES6_jNS0_17counting_iteratorIjlEEPS9_SE_NS0_5tupleIJPjSE_EEENSF_IJSE_SE_EEES9_SG_JZNS1_25segmented_radix_sort_implINS0_14default_configELb0EPKlPlSM_SN_N2at6native12_GLOBAL__N_18offset_tEEE10hipError_tPvRmT1_PNSt15iterator_traitsISV_E10value_typeET2_T3_PNSW_IS11_E10value_typeET4_jRbjT5_S17_jjP12ihipStream_tbEUljE_EEESS_ST_SU_S11_S15_S17_T6_T7_T9_mT8_S19_bDpT10_ENKUlT_T0_E_clISt17integral_constantIbLb1EES1L_IbLb0EEEEDaS1H_S1I_EUlS1H_E_NS1_11comp_targetILNS1_3genE3ELNS1_11target_archE908ELNS1_3gpuE7ELNS1_3repE0EEENS1_30default_config_static_selectorELNS0_4arch9wavefront6targetE0EEEvSV_
                                        ; -- End function
	.set _ZN7rocprim17ROCPRIM_400000_NS6detail17trampoline_kernelINS0_13select_configILj256ELj13ELNS0_17block_load_methodE3ELS4_3ELS4_3ELNS0_20block_scan_algorithmE0ELj4294967295EEENS1_25partition_config_selectorILNS1_17partition_subalgoE3EjNS0_10empty_typeEbEEZZNS1_14partition_implILS8_3ELb0ES6_jNS0_17counting_iteratorIjlEEPS9_SE_NS0_5tupleIJPjSE_EEENSF_IJSE_SE_EEES9_SG_JZNS1_25segmented_radix_sort_implINS0_14default_configELb0EPKlPlSM_SN_N2at6native12_GLOBAL__N_18offset_tEEE10hipError_tPvRmT1_PNSt15iterator_traitsISV_E10value_typeET2_T3_PNSW_IS11_E10value_typeET4_jRbjT5_S17_jjP12ihipStream_tbEUljE_EEESS_ST_SU_S11_S15_S17_T6_T7_T9_mT8_S19_bDpT10_ENKUlT_T0_E_clISt17integral_constantIbLb1EES1L_IbLb0EEEEDaS1H_S1I_EUlS1H_E_NS1_11comp_targetILNS1_3genE3ELNS1_11target_archE908ELNS1_3gpuE7ELNS1_3repE0EEENS1_30default_config_static_selectorELNS0_4arch9wavefront6targetE0EEEvSV_.num_vgpr, 0
	.set _ZN7rocprim17ROCPRIM_400000_NS6detail17trampoline_kernelINS0_13select_configILj256ELj13ELNS0_17block_load_methodE3ELS4_3ELS4_3ELNS0_20block_scan_algorithmE0ELj4294967295EEENS1_25partition_config_selectorILNS1_17partition_subalgoE3EjNS0_10empty_typeEbEEZZNS1_14partition_implILS8_3ELb0ES6_jNS0_17counting_iteratorIjlEEPS9_SE_NS0_5tupleIJPjSE_EEENSF_IJSE_SE_EEES9_SG_JZNS1_25segmented_radix_sort_implINS0_14default_configELb0EPKlPlSM_SN_N2at6native12_GLOBAL__N_18offset_tEEE10hipError_tPvRmT1_PNSt15iterator_traitsISV_E10value_typeET2_T3_PNSW_IS11_E10value_typeET4_jRbjT5_S17_jjP12ihipStream_tbEUljE_EEESS_ST_SU_S11_S15_S17_T6_T7_T9_mT8_S19_bDpT10_ENKUlT_T0_E_clISt17integral_constantIbLb1EES1L_IbLb0EEEEDaS1H_S1I_EUlS1H_E_NS1_11comp_targetILNS1_3genE3ELNS1_11target_archE908ELNS1_3gpuE7ELNS1_3repE0EEENS1_30default_config_static_selectorELNS0_4arch9wavefront6targetE0EEEvSV_.num_agpr, 0
	.set _ZN7rocprim17ROCPRIM_400000_NS6detail17trampoline_kernelINS0_13select_configILj256ELj13ELNS0_17block_load_methodE3ELS4_3ELS4_3ELNS0_20block_scan_algorithmE0ELj4294967295EEENS1_25partition_config_selectorILNS1_17partition_subalgoE3EjNS0_10empty_typeEbEEZZNS1_14partition_implILS8_3ELb0ES6_jNS0_17counting_iteratorIjlEEPS9_SE_NS0_5tupleIJPjSE_EEENSF_IJSE_SE_EEES9_SG_JZNS1_25segmented_radix_sort_implINS0_14default_configELb0EPKlPlSM_SN_N2at6native12_GLOBAL__N_18offset_tEEE10hipError_tPvRmT1_PNSt15iterator_traitsISV_E10value_typeET2_T3_PNSW_IS11_E10value_typeET4_jRbjT5_S17_jjP12ihipStream_tbEUljE_EEESS_ST_SU_S11_S15_S17_T6_T7_T9_mT8_S19_bDpT10_ENKUlT_T0_E_clISt17integral_constantIbLb1EES1L_IbLb0EEEEDaS1H_S1I_EUlS1H_E_NS1_11comp_targetILNS1_3genE3ELNS1_11target_archE908ELNS1_3gpuE7ELNS1_3repE0EEENS1_30default_config_static_selectorELNS0_4arch9wavefront6targetE0EEEvSV_.numbered_sgpr, 0
	.set _ZN7rocprim17ROCPRIM_400000_NS6detail17trampoline_kernelINS0_13select_configILj256ELj13ELNS0_17block_load_methodE3ELS4_3ELS4_3ELNS0_20block_scan_algorithmE0ELj4294967295EEENS1_25partition_config_selectorILNS1_17partition_subalgoE3EjNS0_10empty_typeEbEEZZNS1_14partition_implILS8_3ELb0ES6_jNS0_17counting_iteratorIjlEEPS9_SE_NS0_5tupleIJPjSE_EEENSF_IJSE_SE_EEES9_SG_JZNS1_25segmented_radix_sort_implINS0_14default_configELb0EPKlPlSM_SN_N2at6native12_GLOBAL__N_18offset_tEEE10hipError_tPvRmT1_PNSt15iterator_traitsISV_E10value_typeET2_T3_PNSW_IS11_E10value_typeET4_jRbjT5_S17_jjP12ihipStream_tbEUljE_EEESS_ST_SU_S11_S15_S17_T6_T7_T9_mT8_S19_bDpT10_ENKUlT_T0_E_clISt17integral_constantIbLb1EES1L_IbLb0EEEEDaS1H_S1I_EUlS1H_E_NS1_11comp_targetILNS1_3genE3ELNS1_11target_archE908ELNS1_3gpuE7ELNS1_3repE0EEENS1_30default_config_static_selectorELNS0_4arch9wavefront6targetE0EEEvSV_.num_named_barrier, 0
	.set _ZN7rocprim17ROCPRIM_400000_NS6detail17trampoline_kernelINS0_13select_configILj256ELj13ELNS0_17block_load_methodE3ELS4_3ELS4_3ELNS0_20block_scan_algorithmE0ELj4294967295EEENS1_25partition_config_selectorILNS1_17partition_subalgoE3EjNS0_10empty_typeEbEEZZNS1_14partition_implILS8_3ELb0ES6_jNS0_17counting_iteratorIjlEEPS9_SE_NS0_5tupleIJPjSE_EEENSF_IJSE_SE_EEES9_SG_JZNS1_25segmented_radix_sort_implINS0_14default_configELb0EPKlPlSM_SN_N2at6native12_GLOBAL__N_18offset_tEEE10hipError_tPvRmT1_PNSt15iterator_traitsISV_E10value_typeET2_T3_PNSW_IS11_E10value_typeET4_jRbjT5_S17_jjP12ihipStream_tbEUljE_EEESS_ST_SU_S11_S15_S17_T6_T7_T9_mT8_S19_bDpT10_ENKUlT_T0_E_clISt17integral_constantIbLb1EES1L_IbLb0EEEEDaS1H_S1I_EUlS1H_E_NS1_11comp_targetILNS1_3genE3ELNS1_11target_archE908ELNS1_3gpuE7ELNS1_3repE0EEENS1_30default_config_static_selectorELNS0_4arch9wavefront6targetE0EEEvSV_.private_seg_size, 0
	.set _ZN7rocprim17ROCPRIM_400000_NS6detail17trampoline_kernelINS0_13select_configILj256ELj13ELNS0_17block_load_methodE3ELS4_3ELS4_3ELNS0_20block_scan_algorithmE0ELj4294967295EEENS1_25partition_config_selectorILNS1_17partition_subalgoE3EjNS0_10empty_typeEbEEZZNS1_14partition_implILS8_3ELb0ES6_jNS0_17counting_iteratorIjlEEPS9_SE_NS0_5tupleIJPjSE_EEENSF_IJSE_SE_EEES9_SG_JZNS1_25segmented_radix_sort_implINS0_14default_configELb0EPKlPlSM_SN_N2at6native12_GLOBAL__N_18offset_tEEE10hipError_tPvRmT1_PNSt15iterator_traitsISV_E10value_typeET2_T3_PNSW_IS11_E10value_typeET4_jRbjT5_S17_jjP12ihipStream_tbEUljE_EEESS_ST_SU_S11_S15_S17_T6_T7_T9_mT8_S19_bDpT10_ENKUlT_T0_E_clISt17integral_constantIbLb1EES1L_IbLb0EEEEDaS1H_S1I_EUlS1H_E_NS1_11comp_targetILNS1_3genE3ELNS1_11target_archE908ELNS1_3gpuE7ELNS1_3repE0EEENS1_30default_config_static_selectorELNS0_4arch9wavefront6targetE0EEEvSV_.uses_vcc, 0
	.set _ZN7rocprim17ROCPRIM_400000_NS6detail17trampoline_kernelINS0_13select_configILj256ELj13ELNS0_17block_load_methodE3ELS4_3ELS4_3ELNS0_20block_scan_algorithmE0ELj4294967295EEENS1_25partition_config_selectorILNS1_17partition_subalgoE3EjNS0_10empty_typeEbEEZZNS1_14partition_implILS8_3ELb0ES6_jNS0_17counting_iteratorIjlEEPS9_SE_NS0_5tupleIJPjSE_EEENSF_IJSE_SE_EEES9_SG_JZNS1_25segmented_radix_sort_implINS0_14default_configELb0EPKlPlSM_SN_N2at6native12_GLOBAL__N_18offset_tEEE10hipError_tPvRmT1_PNSt15iterator_traitsISV_E10value_typeET2_T3_PNSW_IS11_E10value_typeET4_jRbjT5_S17_jjP12ihipStream_tbEUljE_EEESS_ST_SU_S11_S15_S17_T6_T7_T9_mT8_S19_bDpT10_ENKUlT_T0_E_clISt17integral_constantIbLb1EES1L_IbLb0EEEEDaS1H_S1I_EUlS1H_E_NS1_11comp_targetILNS1_3genE3ELNS1_11target_archE908ELNS1_3gpuE7ELNS1_3repE0EEENS1_30default_config_static_selectorELNS0_4arch9wavefront6targetE0EEEvSV_.uses_flat_scratch, 0
	.set _ZN7rocprim17ROCPRIM_400000_NS6detail17trampoline_kernelINS0_13select_configILj256ELj13ELNS0_17block_load_methodE3ELS4_3ELS4_3ELNS0_20block_scan_algorithmE0ELj4294967295EEENS1_25partition_config_selectorILNS1_17partition_subalgoE3EjNS0_10empty_typeEbEEZZNS1_14partition_implILS8_3ELb0ES6_jNS0_17counting_iteratorIjlEEPS9_SE_NS0_5tupleIJPjSE_EEENSF_IJSE_SE_EEES9_SG_JZNS1_25segmented_radix_sort_implINS0_14default_configELb0EPKlPlSM_SN_N2at6native12_GLOBAL__N_18offset_tEEE10hipError_tPvRmT1_PNSt15iterator_traitsISV_E10value_typeET2_T3_PNSW_IS11_E10value_typeET4_jRbjT5_S17_jjP12ihipStream_tbEUljE_EEESS_ST_SU_S11_S15_S17_T6_T7_T9_mT8_S19_bDpT10_ENKUlT_T0_E_clISt17integral_constantIbLb1EES1L_IbLb0EEEEDaS1H_S1I_EUlS1H_E_NS1_11comp_targetILNS1_3genE3ELNS1_11target_archE908ELNS1_3gpuE7ELNS1_3repE0EEENS1_30default_config_static_selectorELNS0_4arch9wavefront6targetE0EEEvSV_.has_dyn_sized_stack, 0
	.set _ZN7rocprim17ROCPRIM_400000_NS6detail17trampoline_kernelINS0_13select_configILj256ELj13ELNS0_17block_load_methodE3ELS4_3ELS4_3ELNS0_20block_scan_algorithmE0ELj4294967295EEENS1_25partition_config_selectorILNS1_17partition_subalgoE3EjNS0_10empty_typeEbEEZZNS1_14partition_implILS8_3ELb0ES6_jNS0_17counting_iteratorIjlEEPS9_SE_NS0_5tupleIJPjSE_EEENSF_IJSE_SE_EEES9_SG_JZNS1_25segmented_radix_sort_implINS0_14default_configELb0EPKlPlSM_SN_N2at6native12_GLOBAL__N_18offset_tEEE10hipError_tPvRmT1_PNSt15iterator_traitsISV_E10value_typeET2_T3_PNSW_IS11_E10value_typeET4_jRbjT5_S17_jjP12ihipStream_tbEUljE_EEESS_ST_SU_S11_S15_S17_T6_T7_T9_mT8_S19_bDpT10_ENKUlT_T0_E_clISt17integral_constantIbLb1EES1L_IbLb0EEEEDaS1H_S1I_EUlS1H_E_NS1_11comp_targetILNS1_3genE3ELNS1_11target_archE908ELNS1_3gpuE7ELNS1_3repE0EEENS1_30default_config_static_selectorELNS0_4arch9wavefront6targetE0EEEvSV_.has_recursion, 0
	.set _ZN7rocprim17ROCPRIM_400000_NS6detail17trampoline_kernelINS0_13select_configILj256ELj13ELNS0_17block_load_methodE3ELS4_3ELS4_3ELNS0_20block_scan_algorithmE0ELj4294967295EEENS1_25partition_config_selectorILNS1_17partition_subalgoE3EjNS0_10empty_typeEbEEZZNS1_14partition_implILS8_3ELb0ES6_jNS0_17counting_iteratorIjlEEPS9_SE_NS0_5tupleIJPjSE_EEENSF_IJSE_SE_EEES9_SG_JZNS1_25segmented_radix_sort_implINS0_14default_configELb0EPKlPlSM_SN_N2at6native12_GLOBAL__N_18offset_tEEE10hipError_tPvRmT1_PNSt15iterator_traitsISV_E10value_typeET2_T3_PNSW_IS11_E10value_typeET4_jRbjT5_S17_jjP12ihipStream_tbEUljE_EEESS_ST_SU_S11_S15_S17_T6_T7_T9_mT8_S19_bDpT10_ENKUlT_T0_E_clISt17integral_constantIbLb1EES1L_IbLb0EEEEDaS1H_S1I_EUlS1H_E_NS1_11comp_targetILNS1_3genE3ELNS1_11target_archE908ELNS1_3gpuE7ELNS1_3repE0EEENS1_30default_config_static_selectorELNS0_4arch9wavefront6targetE0EEEvSV_.has_indirect_call, 0
	.section	.AMDGPU.csdata,"",@progbits
; Kernel info:
; codeLenInByte = 0
; TotalNumSgprs: 0
; NumVgprs: 0
; ScratchSize: 0
; MemoryBound: 0
; FloatMode: 240
; IeeeMode: 1
; LDSByteSize: 0 bytes/workgroup (compile time only)
; SGPRBlocks: 0
; VGPRBlocks: 0
; NumSGPRsForWavesPerEU: 1
; NumVGPRsForWavesPerEU: 1
; Occupancy: 16
; WaveLimiterHint : 0
; COMPUTE_PGM_RSRC2:SCRATCH_EN: 0
; COMPUTE_PGM_RSRC2:USER_SGPR: 2
; COMPUTE_PGM_RSRC2:TRAP_HANDLER: 0
; COMPUTE_PGM_RSRC2:TGID_X_EN: 1
; COMPUTE_PGM_RSRC2:TGID_Y_EN: 0
; COMPUTE_PGM_RSRC2:TGID_Z_EN: 0
; COMPUTE_PGM_RSRC2:TIDIG_COMP_CNT: 0
	.section	.text._ZN7rocprim17ROCPRIM_400000_NS6detail17trampoline_kernelINS0_13select_configILj256ELj13ELNS0_17block_load_methodE3ELS4_3ELS4_3ELNS0_20block_scan_algorithmE0ELj4294967295EEENS1_25partition_config_selectorILNS1_17partition_subalgoE3EjNS0_10empty_typeEbEEZZNS1_14partition_implILS8_3ELb0ES6_jNS0_17counting_iteratorIjlEEPS9_SE_NS0_5tupleIJPjSE_EEENSF_IJSE_SE_EEES9_SG_JZNS1_25segmented_radix_sort_implINS0_14default_configELb0EPKlPlSM_SN_N2at6native12_GLOBAL__N_18offset_tEEE10hipError_tPvRmT1_PNSt15iterator_traitsISV_E10value_typeET2_T3_PNSW_IS11_E10value_typeET4_jRbjT5_S17_jjP12ihipStream_tbEUljE_EEESS_ST_SU_S11_S15_S17_T6_T7_T9_mT8_S19_bDpT10_ENKUlT_T0_E_clISt17integral_constantIbLb1EES1L_IbLb0EEEEDaS1H_S1I_EUlS1H_E_NS1_11comp_targetILNS1_3genE2ELNS1_11target_archE906ELNS1_3gpuE6ELNS1_3repE0EEENS1_30default_config_static_selectorELNS0_4arch9wavefront6targetE0EEEvSV_,"axG",@progbits,_ZN7rocprim17ROCPRIM_400000_NS6detail17trampoline_kernelINS0_13select_configILj256ELj13ELNS0_17block_load_methodE3ELS4_3ELS4_3ELNS0_20block_scan_algorithmE0ELj4294967295EEENS1_25partition_config_selectorILNS1_17partition_subalgoE3EjNS0_10empty_typeEbEEZZNS1_14partition_implILS8_3ELb0ES6_jNS0_17counting_iteratorIjlEEPS9_SE_NS0_5tupleIJPjSE_EEENSF_IJSE_SE_EEES9_SG_JZNS1_25segmented_radix_sort_implINS0_14default_configELb0EPKlPlSM_SN_N2at6native12_GLOBAL__N_18offset_tEEE10hipError_tPvRmT1_PNSt15iterator_traitsISV_E10value_typeET2_T3_PNSW_IS11_E10value_typeET4_jRbjT5_S17_jjP12ihipStream_tbEUljE_EEESS_ST_SU_S11_S15_S17_T6_T7_T9_mT8_S19_bDpT10_ENKUlT_T0_E_clISt17integral_constantIbLb1EES1L_IbLb0EEEEDaS1H_S1I_EUlS1H_E_NS1_11comp_targetILNS1_3genE2ELNS1_11target_archE906ELNS1_3gpuE6ELNS1_3repE0EEENS1_30default_config_static_selectorELNS0_4arch9wavefront6targetE0EEEvSV_,comdat
	.globl	_ZN7rocprim17ROCPRIM_400000_NS6detail17trampoline_kernelINS0_13select_configILj256ELj13ELNS0_17block_load_methodE3ELS4_3ELS4_3ELNS0_20block_scan_algorithmE0ELj4294967295EEENS1_25partition_config_selectorILNS1_17partition_subalgoE3EjNS0_10empty_typeEbEEZZNS1_14partition_implILS8_3ELb0ES6_jNS0_17counting_iteratorIjlEEPS9_SE_NS0_5tupleIJPjSE_EEENSF_IJSE_SE_EEES9_SG_JZNS1_25segmented_radix_sort_implINS0_14default_configELb0EPKlPlSM_SN_N2at6native12_GLOBAL__N_18offset_tEEE10hipError_tPvRmT1_PNSt15iterator_traitsISV_E10value_typeET2_T3_PNSW_IS11_E10value_typeET4_jRbjT5_S17_jjP12ihipStream_tbEUljE_EEESS_ST_SU_S11_S15_S17_T6_T7_T9_mT8_S19_bDpT10_ENKUlT_T0_E_clISt17integral_constantIbLb1EES1L_IbLb0EEEEDaS1H_S1I_EUlS1H_E_NS1_11comp_targetILNS1_3genE2ELNS1_11target_archE906ELNS1_3gpuE6ELNS1_3repE0EEENS1_30default_config_static_selectorELNS0_4arch9wavefront6targetE0EEEvSV_ ; -- Begin function _ZN7rocprim17ROCPRIM_400000_NS6detail17trampoline_kernelINS0_13select_configILj256ELj13ELNS0_17block_load_methodE3ELS4_3ELS4_3ELNS0_20block_scan_algorithmE0ELj4294967295EEENS1_25partition_config_selectorILNS1_17partition_subalgoE3EjNS0_10empty_typeEbEEZZNS1_14partition_implILS8_3ELb0ES6_jNS0_17counting_iteratorIjlEEPS9_SE_NS0_5tupleIJPjSE_EEENSF_IJSE_SE_EEES9_SG_JZNS1_25segmented_radix_sort_implINS0_14default_configELb0EPKlPlSM_SN_N2at6native12_GLOBAL__N_18offset_tEEE10hipError_tPvRmT1_PNSt15iterator_traitsISV_E10value_typeET2_T3_PNSW_IS11_E10value_typeET4_jRbjT5_S17_jjP12ihipStream_tbEUljE_EEESS_ST_SU_S11_S15_S17_T6_T7_T9_mT8_S19_bDpT10_ENKUlT_T0_E_clISt17integral_constantIbLb1EES1L_IbLb0EEEEDaS1H_S1I_EUlS1H_E_NS1_11comp_targetILNS1_3genE2ELNS1_11target_archE906ELNS1_3gpuE6ELNS1_3repE0EEENS1_30default_config_static_selectorELNS0_4arch9wavefront6targetE0EEEvSV_
	.p2align	8
	.type	_ZN7rocprim17ROCPRIM_400000_NS6detail17trampoline_kernelINS0_13select_configILj256ELj13ELNS0_17block_load_methodE3ELS4_3ELS4_3ELNS0_20block_scan_algorithmE0ELj4294967295EEENS1_25partition_config_selectorILNS1_17partition_subalgoE3EjNS0_10empty_typeEbEEZZNS1_14partition_implILS8_3ELb0ES6_jNS0_17counting_iteratorIjlEEPS9_SE_NS0_5tupleIJPjSE_EEENSF_IJSE_SE_EEES9_SG_JZNS1_25segmented_radix_sort_implINS0_14default_configELb0EPKlPlSM_SN_N2at6native12_GLOBAL__N_18offset_tEEE10hipError_tPvRmT1_PNSt15iterator_traitsISV_E10value_typeET2_T3_PNSW_IS11_E10value_typeET4_jRbjT5_S17_jjP12ihipStream_tbEUljE_EEESS_ST_SU_S11_S15_S17_T6_T7_T9_mT8_S19_bDpT10_ENKUlT_T0_E_clISt17integral_constantIbLb1EES1L_IbLb0EEEEDaS1H_S1I_EUlS1H_E_NS1_11comp_targetILNS1_3genE2ELNS1_11target_archE906ELNS1_3gpuE6ELNS1_3repE0EEENS1_30default_config_static_selectorELNS0_4arch9wavefront6targetE0EEEvSV_,@function
_ZN7rocprim17ROCPRIM_400000_NS6detail17trampoline_kernelINS0_13select_configILj256ELj13ELNS0_17block_load_methodE3ELS4_3ELS4_3ELNS0_20block_scan_algorithmE0ELj4294967295EEENS1_25partition_config_selectorILNS1_17partition_subalgoE3EjNS0_10empty_typeEbEEZZNS1_14partition_implILS8_3ELb0ES6_jNS0_17counting_iteratorIjlEEPS9_SE_NS0_5tupleIJPjSE_EEENSF_IJSE_SE_EEES9_SG_JZNS1_25segmented_radix_sort_implINS0_14default_configELb0EPKlPlSM_SN_N2at6native12_GLOBAL__N_18offset_tEEE10hipError_tPvRmT1_PNSt15iterator_traitsISV_E10value_typeET2_T3_PNSW_IS11_E10value_typeET4_jRbjT5_S17_jjP12ihipStream_tbEUljE_EEESS_ST_SU_S11_S15_S17_T6_T7_T9_mT8_S19_bDpT10_ENKUlT_T0_E_clISt17integral_constantIbLb1EES1L_IbLb0EEEEDaS1H_S1I_EUlS1H_E_NS1_11comp_targetILNS1_3genE2ELNS1_11target_archE906ELNS1_3gpuE6ELNS1_3repE0EEENS1_30default_config_static_selectorELNS0_4arch9wavefront6targetE0EEEvSV_: ; @_ZN7rocprim17ROCPRIM_400000_NS6detail17trampoline_kernelINS0_13select_configILj256ELj13ELNS0_17block_load_methodE3ELS4_3ELS4_3ELNS0_20block_scan_algorithmE0ELj4294967295EEENS1_25partition_config_selectorILNS1_17partition_subalgoE3EjNS0_10empty_typeEbEEZZNS1_14partition_implILS8_3ELb0ES6_jNS0_17counting_iteratorIjlEEPS9_SE_NS0_5tupleIJPjSE_EEENSF_IJSE_SE_EEES9_SG_JZNS1_25segmented_radix_sort_implINS0_14default_configELb0EPKlPlSM_SN_N2at6native12_GLOBAL__N_18offset_tEEE10hipError_tPvRmT1_PNSt15iterator_traitsISV_E10value_typeET2_T3_PNSW_IS11_E10value_typeET4_jRbjT5_S17_jjP12ihipStream_tbEUljE_EEESS_ST_SU_S11_S15_S17_T6_T7_T9_mT8_S19_bDpT10_ENKUlT_T0_E_clISt17integral_constantIbLb1EES1L_IbLb0EEEEDaS1H_S1I_EUlS1H_E_NS1_11comp_targetILNS1_3genE2ELNS1_11target_archE906ELNS1_3gpuE6ELNS1_3repE0EEENS1_30default_config_static_selectorELNS0_4arch9wavefront6targetE0EEEvSV_
; %bb.0:
	.section	.rodata,"a",@progbits
	.p2align	6, 0x0
	.amdhsa_kernel _ZN7rocprim17ROCPRIM_400000_NS6detail17trampoline_kernelINS0_13select_configILj256ELj13ELNS0_17block_load_methodE3ELS4_3ELS4_3ELNS0_20block_scan_algorithmE0ELj4294967295EEENS1_25partition_config_selectorILNS1_17partition_subalgoE3EjNS0_10empty_typeEbEEZZNS1_14partition_implILS8_3ELb0ES6_jNS0_17counting_iteratorIjlEEPS9_SE_NS0_5tupleIJPjSE_EEENSF_IJSE_SE_EEES9_SG_JZNS1_25segmented_radix_sort_implINS0_14default_configELb0EPKlPlSM_SN_N2at6native12_GLOBAL__N_18offset_tEEE10hipError_tPvRmT1_PNSt15iterator_traitsISV_E10value_typeET2_T3_PNSW_IS11_E10value_typeET4_jRbjT5_S17_jjP12ihipStream_tbEUljE_EEESS_ST_SU_S11_S15_S17_T6_T7_T9_mT8_S19_bDpT10_ENKUlT_T0_E_clISt17integral_constantIbLb1EES1L_IbLb0EEEEDaS1H_S1I_EUlS1H_E_NS1_11comp_targetILNS1_3genE2ELNS1_11target_archE906ELNS1_3gpuE6ELNS1_3repE0EEENS1_30default_config_static_selectorELNS0_4arch9wavefront6targetE0EEEvSV_
		.amdhsa_group_segment_fixed_size 0
		.amdhsa_private_segment_fixed_size 0
		.amdhsa_kernarg_size 144
		.amdhsa_user_sgpr_count 2
		.amdhsa_user_sgpr_dispatch_ptr 0
		.amdhsa_user_sgpr_queue_ptr 0
		.amdhsa_user_sgpr_kernarg_segment_ptr 1
		.amdhsa_user_sgpr_dispatch_id 0
		.amdhsa_user_sgpr_private_segment_size 0
		.amdhsa_wavefront_size32 1
		.amdhsa_uses_dynamic_stack 0
		.amdhsa_enable_private_segment 0
		.amdhsa_system_sgpr_workgroup_id_x 1
		.amdhsa_system_sgpr_workgroup_id_y 0
		.amdhsa_system_sgpr_workgroup_id_z 0
		.amdhsa_system_sgpr_workgroup_info 0
		.amdhsa_system_vgpr_workitem_id 0
		.amdhsa_next_free_vgpr 1
		.amdhsa_next_free_sgpr 1
		.amdhsa_reserve_vcc 0
		.amdhsa_float_round_mode_32 0
		.amdhsa_float_round_mode_16_64 0
		.amdhsa_float_denorm_mode_32 3
		.amdhsa_float_denorm_mode_16_64 3
		.amdhsa_fp16_overflow 0
		.amdhsa_workgroup_processor_mode 1
		.amdhsa_memory_ordered 1
		.amdhsa_forward_progress 1
		.amdhsa_inst_pref_size 0
		.amdhsa_round_robin_scheduling 0
		.amdhsa_exception_fp_ieee_invalid_op 0
		.amdhsa_exception_fp_denorm_src 0
		.amdhsa_exception_fp_ieee_div_zero 0
		.amdhsa_exception_fp_ieee_overflow 0
		.amdhsa_exception_fp_ieee_underflow 0
		.amdhsa_exception_fp_ieee_inexact 0
		.amdhsa_exception_int_div_zero 0
	.end_amdhsa_kernel
	.section	.text._ZN7rocprim17ROCPRIM_400000_NS6detail17trampoline_kernelINS0_13select_configILj256ELj13ELNS0_17block_load_methodE3ELS4_3ELS4_3ELNS0_20block_scan_algorithmE0ELj4294967295EEENS1_25partition_config_selectorILNS1_17partition_subalgoE3EjNS0_10empty_typeEbEEZZNS1_14partition_implILS8_3ELb0ES6_jNS0_17counting_iteratorIjlEEPS9_SE_NS0_5tupleIJPjSE_EEENSF_IJSE_SE_EEES9_SG_JZNS1_25segmented_radix_sort_implINS0_14default_configELb0EPKlPlSM_SN_N2at6native12_GLOBAL__N_18offset_tEEE10hipError_tPvRmT1_PNSt15iterator_traitsISV_E10value_typeET2_T3_PNSW_IS11_E10value_typeET4_jRbjT5_S17_jjP12ihipStream_tbEUljE_EEESS_ST_SU_S11_S15_S17_T6_T7_T9_mT8_S19_bDpT10_ENKUlT_T0_E_clISt17integral_constantIbLb1EES1L_IbLb0EEEEDaS1H_S1I_EUlS1H_E_NS1_11comp_targetILNS1_3genE2ELNS1_11target_archE906ELNS1_3gpuE6ELNS1_3repE0EEENS1_30default_config_static_selectorELNS0_4arch9wavefront6targetE0EEEvSV_,"axG",@progbits,_ZN7rocprim17ROCPRIM_400000_NS6detail17trampoline_kernelINS0_13select_configILj256ELj13ELNS0_17block_load_methodE3ELS4_3ELS4_3ELNS0_20block_scan_algorithmE0ELj4294967295EEENS1_25partition_config_selectorILNS1_17partition_subalgoE3EjNS0_10empty_typeEbEEZZNS1_14partition_implILS8_3ELb0ES6_jNS0_17counting_iteratorIjlEEPS9_SE_NS0_5tupleIJPjSE_EEENSF_IJSE_SE_EEES9_SG_JZNS1_25segmented_radix_sort_implINS0_14default_configELb0EPKlPlSM_SN_N2at6native12_GLOBAL__N_18offset_tEEE10hipError_tPvRmT1_PNSt15iterator_traitsISV_E10value_typeET2_T3_PNSW_IS11_E10value_typeET4_jRbjT5_S17_jjP12ihipStream_tbEUljE_EEESS_ST_SU_S11_S15_S17_T6_T7_T9_mT8_S19_bDpT10_ENKUlT_T0_E_clISt17integral_constantIbLb1EES1L_IbLb0EEEEDaS1H_S1I_EUlS1H_E_NS1_11comp_targetILNS1_3genE2ELNS1_11target_archE906ELNS1_3gpuE6ELNS1_3repE0EEENS1_30default_config_static_selectorELNS0_4arch9wavefront6targetE0EEEvSV_,comdat
.Lfunc_end795:
	.size	_ZN7rocprim17ROCPRIM_400000_NS6detail17trampoline_kernelINS0_13select_configILj256ELj13ELNS0_17block_load_methodE3ELS4_3ELS4_3ELNS0_20block_scan_algorithmE0ELj4294967295EEENS1_25partition_config_selectorILNS1_17partition_subalgoE3EjNS0_10empty_typeEbEEZZNS1_14partition_implILS8_3ELb0ES6_jNS0_17counting_iteratorIjlEEPS9_SE_NS0_5tupleIJPjSE_EEENSF_IJSE_SE_EEES9_SG_JZNS1_25segmented_radix_sort_implINS0_14default_configELb0EPKlPlSM_SN_N2at6native12_GLOBAL__N_18offset_tEEE10hipError_tPvRmT1_PNSt15iterator_traitsISV_E10value_typeET2_T3_PNSW_IS11_E10value_typeET4_jRbjT5_S17_jjP12ihipStream_tbEUljE_EEESS_ST_SU_S11_S15_S17_T6_T7_T9_mT8_S19_bDpT10_ENKUlT_T0_E_clISt17integral_constantIbLb1EES1L_IbLb0EEEEDaS1H_S1I_EUlS1H_E_NS1_11comp_targetILNS1_3genE2ELNS1_11target_archE906ELNS1_3gpuE6ELNS1_3repE0EEENS1_30default_config_static_selectorELNS0_4arch9wavefront6targetE0EEEvSV_, .Lfunc_end795-_ZN7rocprim17ROCPRIM_400000_NS6detail17trampoline_kernelINS0_13select_configILj256ELj13ELNS0_17block_load_methodE3ELS4_3ELS4_3ELNS0_20block_scan_algorithmE0ELj4294967295EEENS1_25partition_config_selectorILNS1_17partition_subalgoE3EjNS0_10empty_typeEbEEZZNS1_14partition_implILS8_3ELb0ES6_jNS0_17counting_iteratorIjlEEPS9_SE_NS0_5tupleIJPjSE_EEENSF_IJSE_SE_EEES9_SG_JZNS1_25segmented_radix_sort_implINS0_14default_configELb0EPKlPlSM_SN_N2at6native12_GLOBAL__N_18offset_tEEE10hipError_tPvRmT1_PNSt15iterator_traitsISV_E10value_typeET2_T3_PNSW_IS11_E10value_typeET4_jRbjT5_S17_jjP12ihipStream_tbEUljE_EEESS_ST_SU_S11_S15_S17_T6_T7_T9_mT8_S19_bDpT10_ENKUlT_T0_E_clISt17integral_constantIbLb1EES1L_IbLb0EEEEDaS1H_S1I_EUlS1H_E_NS1_11comp_targetILNS1_3genE2ELNS1_11target_archE906ELNS1_3gpuE6ELNS1_3repE0EEENS1_30default_config_static_selectorELNS0_4arch9wavefront6targetE0EEEvSV_
                                        ; -- End function
	.set _ZN7rocprim17ROCPRIM_400000_NS6detail17trampoline_kernelINS0_13select_configILj256ELj13ELNS0_17block_load_methodE3ELS4_3ELS4_3ELNS0_20block_scan_algorithmE0ELj4294967295EEENS1_25partition_config_selectorILNS1_17partition_subalgoE3EjNS0_10empty_typeEbEEZZNS1_14partition_implILS8_3ELb0ES6_jNS0_17counting_iteratorIjlEEPS9_SE_NS0_5tupleIJPjSE_EEENSF_IJSE_SE_EEES9_SG_JZNS1_25segmented_radix_sort_implINS0_14default_configELb0EPKlPlSM_SN_N2at6native12_GLOBAL__N_18offset_tEEE10hipError_tPvRmT1_PNSt15iterator_traitsISV_E10value_typeET2_T3_PNSW_IS11_E10value_typeET4_jRbjT5_S17_jjP12ihipStream_tbEUljE_EEESS_ST_SU_S11_S15_S17_T6_T7_T9_mT8_S19_bDpT10_ENKUlT_T0_E_clISt17integral_constantIbLb1EES1L_IbLb0EEEEDaS1H_S1I_EUlS1H_E_NS1_11comp_targetILNS1_3genE2ELNS1_11target_archE906ELNS1_3gpuE6ELNS1_3repE0EEENS1_30default_config_static_selectorELNS0_4arch9wavefront6targetE0EEEvSV_.num_vgpr, 0
	.set _ZN7rocprim17ROCPRIM_400000_NS6detail17trampoline_kernelINS0_13select_configILj256ELj13ELNS0_17block_load_methodE3ELS4_3ELS4_3ELNS0_20block_scan_algorithmE0ELj4294967295EEENS1_25partition_config_selectorILNS1_17partition_subalgoE3EjNS0_10empty_typeEbEEZZNS1_14partition_implILS8_3ELb0ES6_jNS0_17counting_iteratorIjlEEPS9_SE_NS0_5tupleIJPjSE_EEENSF_IJSE_SE_EEES9_SG_JZNS1_25segmented_radix_sort_implINS0_14default_configELb0EPKlPlSM_SN_N2at6native12_GLOBAL__N_18offset_tEEE10hipError_tPvRmT1_PNSt15iterator_traitsISV_E10value_typeET2_T3_PNSW_IS11_E10value_typeET4_jRbjT5_S17_jjP12ihipStream_tbEUljE_EEESS_ST_SU_S11_S15_S17_T6_T7_T9_mT8_S19_bDpT10_ENKUlT_T0_E_clISt17integral_constantIbLb1EES1L_IbLb0EEEEDaS1H_S1I_EUlS1H_E_NS1_11comp_targetILNS1_3genE2ELNS1_11target_archE906ELNS1_3gpuE6ELNS1_3repE0EEENS1_30default_config_static_selectorELNS0_4arch9wavefront6targetE0EEEvSV_.num_agpr, 0
	.set _ZN7rocprim17ROCPRIM_400000_NS6detail17trampoline_kernelINS0_13select_configILj256ELj13ELNS0_17block_load_methodE3ELS4_3ELS4_3ELNS0_20block_scan_algorithmE0ELj4294967295EEENS1_25partition_config_selectorILNS1_17partition_subalgoE3EjNS0_10empty_typeEbEEZZNS1_14partition_implILS8_3ELb0ES6_jNS0_17counting_iteratorIjlEEPS9_SE_NS0_5tupleIJPjSE_EEENSF_IJSE_SE_EEES9_SG_JZNS1_25segmented_radix_sort_implINS0_14default_configELb0EPKlPlSM_SN_N2at6native12_GLOBAL__N_18offset_tEEE10hipError_tPvRmT1_PNSt15iterator_traitsISV_E10value_typeET2_T3_PNSW_IS11_E10value_typeET4_jRbjT5_S17_jjP12ihipStream_tbEUljE_EEESS_ST_SU_S11_S15_S17_T6_T7_T9_mT8_S19_bDpT10_ENKUlT_T0_E_clISt17integral_constantIbLb1EES1L_IbLb0EEEEDaS1H_S1I_EUlS1H_E_NS1_11comp_targetILNS1_3genE2ELNS1_11target_archE906ELNS1_3gpuE6ELNS1_3repE0EEENS1_30default_config_static_selectorELNS0_4arch9wavefront6targetE0EEEvSV_.numbered_sgpr, 0
	.set _ZN7rocprim17ROCPRIM_400000_NS6detail17trampoline_kernelINS0_13select_configILj256ELj13ELNS0_17block_load_methodE3ELS4_3ELS4_3ELNS0_20block_scan_algorithmE0ELj4294967295EEENS1_25partition_config_selectorILNS1_17partition_subalgoE3EjNS0_10empty_typeEbEEZZNS1_14partition_implILS8_3ELb0ES6_jNS0_17counting_iteratorIjlEEPS9_SE_NS0_5tupleIJPjSE_EEENSF_IJSE_SE_EEES9_SG_JZNS1_25segmented_radix_sort_implINS0_14default_configELb0EPKlPlSM_SN_N2at6native12_GLOBAL__N_18offset_tEEE10hipError_tPvRmT1_PNSt15iterator_traitsISV_E10value_typeET2_T3_PNSW_IS11_E10value_typeET4_jRbjT5_S17_jjP12ihipStream_tbEUljE_EEESS_ST_SU_S11_S15_S17_T6_T7_T9_mT8_S19_bDpT10_ENKUlT_T0_E_clISt17integral_constantIbLb1EES1L_IbLb0EEEEDaS1H_S1I_EUlS1H_E_NS1_11comp_targetILNS1_3genE2ELNS1_11target_archE906ELNS1_3gpuE6ELNS1_3repE0EEENS1_30default_config_static_selectorELNS0_4arch9wavefront6targetE0EEEvSV_.num_named_barrier, 0
	.set _ZN7rocprim17ROCPRIM_400000_NS6detail17trampoline_kernelINS0_13select_configILj256ELj13ELNS0_17block_load_methodE3ELS4_3ELS4_3ELNS0_20block_scan_algorithmE0ELj4294967295EEENS1_25partition_config_selectorILNS1_17partition_subalgoE3EjNS0_10empty_typeEbEEZZNS1_14partition_implILS8_3ELb0ES6_jNS0_17counting_iteratorIjlEEPS9_SE_NS0_5tupleIJPjSE_EEENSF_IJSE_SE_EEES9_SG_JZNS1_25segmented_radix_sort_implINS0_14default_configELb0EPKlPlSM_SN_N2at6native12_GLOBAL__N_18offset_tEEE10hipError_tPvRmT1_PNSt15iterator_traitsISV_E10value_typeET2_T3_PNSW_IS11_E10value_typeET4_jRbjT5_S17_jjP12ihipStream_tbEUljE_EEESS_ST_SU_S11_S15_S17_T6_T7_T9_mT8_S19_bDpT10_ENKUlT_T0_E_clISt17integral_constantIbLb1EES1L_IbLb0EEEEDaS1H_S1I_EUlS1H_E_NS1_11comp_targetILNS1_3genE2ELNS1_11target_archE906ELNS1_3gpuE6ELNS1_3repE0EEENS1_30default_config_static_selectorELNS0_4arch9wavefront6targetE0EEEvSV_.private_seg_size, 0
	.set _ZN7rocprim17ROCPRIM_400000_NS6detail17trampoline_kernelINS0_13select_configILj256ELj13ELNS0_17block_load_methodE3ELS4_3ELS4_3ELNS0_20block_scan_algorithmE0ELj4294967295EEENS1_25partition_config_selectorILNS1_17partition_subalgoE3EjNS0_10empty_typeEbEEZZNS1_14partition_implILS8_3ELb0ES6_jNS0_17counting_iteratorIjlEEPS9_SE_NS0_5tupleIJPjSE_EEENSF_IJSE_SE_EEES9_SG_JZNS1_25segmented_radix_sort_implINS0_14default_configELb0EPKlPlSM_SN_N2at6native12_GLOBAL__N_18offset_tEEE10hipError_tPvRmT1_PNSt15iterator_traitsISV_E10value_typeET2_T3_PNSW_IS11_E10value_typeET4_jRbjT5_S17_jjP12ihipStream_tbEUljE_EEESS_ST_SU_S11_S15_S17_T6_T7_T9_mT8_S19_bDpT10_ENKUlT_T0_E_clISt17integral_constantIbLb1EES1L_IbLb0EEEEDaS1H_S1I_EUlS1H_E_NS1_11comp_targetILNS1_3genE2ELNS1_11target_archE906ELNS1_3gpuE6ELNS1_3repE0EEENS1_30default_config_static_selectorELNS0_4arch9wavefront6targetE0EEEvSV_.uses_vcc, 0
	.set _ZN7rocprim17ROCPRIM_400000_NS6detail17trampoline_kernelINS0_13select_configILj256ELj13ELNS0_17block_load_methodE3ELS4_3ELS4_3ELNS0_20block_scan_algorithmE0ELj4294967295EEENS1_25partition_config_selectorILNS1_17partition_subalgoE3EjNS0_10empty_typeEbEEZZNS1_14partition_implILS8_3ELb0ES6_jNS0_17counting_iteratorIjlEEPS9_SE_NS0_5tupleIJPjSE_EEENSF_IJSE_SE_EEES9_SG_JZNS1_25segmented_radix_sort_implINS0_14default_configELb0EPKlPlSM_SN_N2at6native12_GLOBAL__N_18offset_tEEE10hipError_tPvRmT1_PNSt15iterator_traitsISV_E10value_typeET2_T3_PNSW_IS11_E10value_typeET4_jRbjT5_S17_jjP12ihipStream_tbEUljE_EEESS_ST_SU_S11_S15_S17_T6_T7_T9_mT8_S19_bDpT10_ENKUlT_T0_E_clISt17integral_constantIbLb1EES1L_IbLb0EEEEDaS1H_S1I_EUlS1H_E_NS1_11comp_targetILNS1_3genE2ELNS1_11target_archE906ELNS1_3gpuE6ELNS1_3repE0EEENS1_30default_config_static_selectorELNS0_4arch9wavefront6targetE0EEEvSV_.uses_flat_scratch, 0
	.set _ZN7rocprim17ROCPRIM_400000_NS6detail17trampoline_kernelINS0_13select_configILj256ELj13ELNS0_17block_load_methodE3ELS4_3ELS4_3ELNS0_20block_scan_algorithmE0ELj4294967295EEENS1_25partition_config_selectorILNS1_17partition_subalgoE3EjNS0_10empty_typeEbEEZZNS1_14partition_implILS8_3ELb0ES6_jNS0_17counting_iteratorIjlEEPS9_SE_NS0_5tupleIJPjSE_EEENSF_IJSE_SE_EEES9_SG_JZNS1_25segmented_radix_sort_implINS0_14default_configELb0EPKlPlSM_SN_N2at6native12_GLOBAL__N_18offset_tEEE10hipError_tPvRmT1_PNSt15iterator_traitsISV_E10value_typeET2_T3_PNSW_IS11_E10value_typeET4_jRbjT5_S17_jjP12ihipStream_tbEUljE_EEESS_ST_SU_S11_S15_S17_T6_T7_T9_mT8_S19_bDpT10_ENKUlT_T0_E_clISt17integral_constantIbLb1EES1L_IbLb0EEEEDaS1H_S1I_EUlS1H_E_NS1_11comp_targetILNS1_3genE2ELNS1_11target_archE906ELNS1_3gpuE6ELNS1_3repE0EEENS1_30default_config_static_selectorELNS0_4arch9wavefront6targetE0EEEvSV_.has_dyn_sized_stack, 0
	.set _ZN7rocprim17ROCPRIM_400000_NS6detail17trampoline_kernelINS0_13select_configILj256ELj13ELNS0_17block_load_methodE3ELS4_3ELS4_3ELNS0_20block_scan_algorithmE0ELj4294967295EEENS1_25partition_config_selectorILNS1_17partition_subalgoE3EjNS0_10empty_typeEbEEZZNS1_14partition_implILS8_3ELb0ES6_jNS0_17counting_iteratorIjlEEPS9_SE_NS0_5tupleIJPjSE_EEENSF_IJSE_SE_EEES9_SG_JZNS1_25segmented_radix_sort_implINS0_14default_configELb0EPKlPlSM_SN_N2at6native12_GLOBAL__N_18offset_tEEE10hipError_tPvRmT1_PNSt15iterator_traitsISV_E10value_typeET2_T3_PNSW_IS11_E10value_typeET4_jRbjT5_S17_jjP12ihipStream_tbEUljE_EEESS_ST_SU_S11_S15_S17_T6_T7_T9_mT8_S19_bDpT10_ENKUlT_T0_E_clISt17integral_constantIbLb1EES1L_IbLb0EEEEDaS1H_S1I_EUlS1H_E_NS1_11comp_targetILNS1_3genE2ELNS1_11target_archE906ELNS1_3gpuE6ELNS1_3repE0EEENS1_30default_config_static_selectorELNS0_4arch9wavefront6targetE0EEEvSV_.has_recursion, 0
	.set _ZN7rocprim17ROCPRIM_400000_NS6detail17trampoline_kernelINS0_13select_configILj256ELj13ELNS0_17block_load_methodE3ELS4_3ELS4_3ELNS0_20block_scan_algorithmE0ELj4294967295EEENS1_25partition_config_selectorILNS1_17partition_subalgoE3EjNS0_10empty_typeEbEEZZNS1_14partition_implILS8_3ELb0ES6_jNS0_17counting_iteratorIjlEEPS9_SE_NS0_5tupleIJPjSE_EEENSF_IJSE_SE_EEES9_SG_JZNS1_25segmented_radix_sort_implINS0_14default_configELb0EPKlPlSM_SN_N2at6native12_GLOBAL__N_18offset_tEEE10hipError_tPvRmT1_PNSt15iterator_traitsISV_E10value_typeET2_T3_PNSW_IS11_E10value_typeET4_jRbjT5_S17_jjP12ihipStream_tbEUljE_EEESS_ST_SU_S11_S15_S17_T6_T7_T9_mT8_S19_bDpT10_ENKUlT_T0_E_clISt17integral_constantIbLb1EES1L_IbLb0EEEEDaS1H_S1I_EUlS1H_E_NS1_11comp_targetILNS1_3genE2ELNS1_11target_archE906ELNS1_3gpuE6ELNS1_3repE0EEENS1_30default_config_static_selectorELNS0_4arch9wavefront6targetE0EEEvSV_.has_indirect_call, 0
	.section	.AMDGPU.csdata,"",@progbits
; Kernel info:
; codeLenInByte = 0
; TotalNumSgprs: 0
; NumVgprs: 0
; ScratchSize: 0
; MemoryBound: 0
; FloatMode: 240
; IeeeMode: 1
; LDSByteSize: 0 bytes/workgroup (compile time only)
; SGPRBlocks: 0
; VGPRBlocks: 0
; NumSGPRsForWavesPerEU: 1
; NumVGPRsForWavesPerEU: 1
; Occupancy: 16
; WaveLimiterHint : 0
; COMPUTE_PGM_RSRC2:SCRATCH_EN: 0
; COMPUTE_PGM_RSRC2:USER_SGPR: 2
; COMPUTE_PGM_RSRC2:TRAP_HANDLER: 0
; COMPUTE_PGM_RSRC2:TGID_X_EN: 1
; COMPUTE_PGM_RSRC2:TGID_Y_EN: 0
; COMPUTE_PGM_RSRC2:TGID_Z_EN: 0
; COMPUTE_PGM_RSRC2:TIDIG_COMP_CNT: 0
	.section	.text._ZN7rocprim17ROCPRIM_400000_NS6detail17trampoline_kernelINS0_13select_configILj256ELj13ELNS0_17block_load_methodE3ELS4_3ELS4_3ELNS0_20block_scan_algorithmE0ELj4294967295EEENS1_25partition_config_selectorILNS1_17partition_subalgoE3EjNS0_10empty_typeEbEEZZNS1_14partition_implILS8_3ELb0ES6_jNS0_17counting_iteratorIjlEEPS9_SE_NS0_5tupleIJPjSE_EEENSF_IJSE_SE_EEES9_SG_JZNS1_25segmented_radix_sort_implINS0_14default_configELb0EPKlPlSM_SN_N2at6native12_GLOBAL__N_18offset_tEEE10hipError_tPvRmT1_PNSt15iterator_traitsISV_E10value_typeET2_T3_PNSW_IS11_E10value_typeET4_jRbjT5_S17_jjP12ihipStream_tbEUljE_EEESS_ST_SU_S11_S15_S17_T6_T7_T9_mT8_S19_bDpT10_ENKUlT_T0_E_clISt17integral_constantIbLb1EES1L_IbLb0EEEEDaS1H_S1I_EUlS1H_E_NS1_11comp_targetILNS1_3genE10ELNS1_11target_archE1200ELNS1_3gpuE4ELNS1_3repE0EEENS1_30default_config_static_selectorELNS0_4arch9wavefront6targetE0EEEvSV_,"axG",@progbits,_ZN7rocprim17ROCPRIM_400000_NS6detail17trampoline_kernelINS0_13select_configILj256ELj13ELNS0_17block_load_methodE3ELS4_3ELS4_3ELNS0_20block_scan_algorithmE0ELj4294967295EEENS1_25partition_config_selectorILNS1_17partition_subalgoE3EjNS0_10empty_typeEbEEZZNS1_14partition_implILS8_3ELb0ES6_jNS0_17counting_iteratorIjlEEPS9_SE_NS0_5tupleIJPjSE_EEENSF_IJSE_SE_EEES9_SG_JZNS1_25segmented_radix_sort_implINS0_14default_configELb0EPKlPlSM_SN_N2at6native12_GLOBAL__N_18offset_tEEE10hipError_tPvRmT1_PNSt15iterator_traitsISV_E10value_typeET2_T3_PNSW_IS11_E10value_typeET4_jRbjT5_S17_jjP12ihipStream_tbEUljE_EEESS_ST_SU_S11_S15_S17_T6_T7_T9_mT8_S19_bDpT10_ENKUlT_T0_E_clISt17integral_constantIbLb1EES1L_IbLb0EEEEDaS1H_S1I_EUlS1H_E_NS1_11comp_targetILNS1_3genE10ELNS1_11target_archE1200ELNS1_3gpuE4ELNS1_3repE0EEENS1_30default_config_static_selectorELNS0_4arch9wavefront6targetE0EEEvSV_,comdat
	.globl	_ZN7rocprim17ROCPRIM_400000_NS6detail17trampoline_kernelINS0_13select_configILj256ELj13ELNS0_17block_load_methodE3ELS4_3ELS4_3ELNS0_20block_scan_algorithmE0ELj4294967295EEENS1_25partition_config_selectorILNS1_17partition_subalgoE3EjNS0_10empty_typeEbEEZZNS1_14partition_implILS8_3ELb0ES6_jNS0_17counting_iteratorIjlEEPS9_SE_NS0_5tupleIJPjSE_EEENSF_IJSE_SE_EEES9_SG_JZNS1_25segmented_radix_sort_implINS0_14default_configELb0EPKlPlSM_SN_N2at6native12_GLOBAL__N_18offset_tEEE10hipError_tPvRmT1_PNSt15iterator_traitsISV_E10value_typeET2_T3_PNSW_IS11_E10value_typeET4_jRbjT5_S17_jjP12ihipStream_tbEUljE_EEESS_ST_SU_S11_S15_S17_T6_T7_T9_mT8_S19_bDpT10_ENKUlT_T0_E_clISt17integral_constantIbLb1EES1L_IbLb0EEEEDaS1H_S1I_EUlS1H_E_NS1_11comp_targetILNS1_3genE10ELNS1_11target_archE1200ELNS1_3gpuE4ELNS1_3repE0EEENS1_30default_config_static_selectorELNS0_4arch9wavefront6targetE0EEEvSV_ ; -- Begin function _ZN7rocprim17ROCPRIM_400000_NS6detail17trampoline_kernelINS0_13select_configILj256ELj13ELNS0_17block_load_methodE3ELS4_3ELS4_3ELNS0_20block_scan_algorithmE0ELj4294967295EEENS1_25partition_config_selectorILNS1_17partition_subalgoE3EjNS0_10empty_typeEbEEZZNS1_14partition_implILS8_3ELb0ES6_jNS0_17counting_iteratorIjlEEPS9_SE_NS0_5tupleIJPjSE_EEENSF_IJSE_SE_EEES9_SG_JZNS1_25segmented_radix_sort_implINS0_14default_configELb0EPKlPlSM_SN_N2at6native12_GLOBAL__N_18offset_tEEE10hipError_tPvRmT1_PNSt15iterator_traitsISV_E10value_typeET2_T3_PNSW_IS11_E10value_typeET4_jRbjT5_S17_jjP12ihipStream_tbEUljE_EEESS_ST_SU_S11_S15_S17_T6_T7_T9_mT8_S19_bDpT10_ENKUlT_T0_E_clISt17integral_constantIbLb1EES1L_IbLb0EEEEDaS1H_S1I_EUlS1H_E_NS1_11comp_targetILNS1_3genE10ELNS1_11target_archE1200ELNS1_3gpuE4ELNS1_3repE0EEENS1_30default_config_static_selectorELNS0_4arch9wavefront6targetE0EEEvSV_
	.p2align	8
	.type	_ZN7rocprim17ROCPRIM_400000_NS6detail17trampoline_kernelINS0_13select_configILj256ELj13ELNS0_17block_load_methodE3ELS4_3ELS4_3ELNS0_20block_scan_algorithmE0ELj4294967295EEENS1_25partition_config_selectorILNS1_17partition_subalgoE3EjNS0_10empty_typeEbEEZZNS1_14partition_implILS8_3ELb0ES6_jNS0_17counting_iteratorIjlEEPS9_SE_NS0_5tupleIJPjSE_EEENSF_IJSE_SE_EEES9_SG_JZNS1_25segmented_radix_sort_implINS0_14default_configELb0EPKlPlSM_SN_N2at6native12_GLOBAL__N_18offset_tEEE10hipError_tPvRmT1_PNSt15iterator_traitsISV_E10value_typeET2_T3_PNSW_IS11_E10value_typeET4_jRbjT5_S17_jjP12ihipStream_tbEUljE_EEESS_ST_SU_S11_S15_S17_T6_T7_T9_mT8_S19_bDpT10_ENKUlT_T0_E_clISt17integral_constantIbLb1EES1L_IbLb0EEEEDaS1H_S1I_EUlS1H_E_NS1_11comp_targetILNS1_3genE10ELNS1_11target_archE1200ELNS1_3gpuE4ELNS1_3repE0EEENS1_30default_config_static_selectorELNS0_4arch9wavefront6targetE0EEEvSV_,@function
_ZN7rocprim17ROCPRIM_400000_NS6detail17trampoline_kernelINS0_13select_configILj256ELj13ELNS0_17block_load_methodE3ELS4_3ELS4_3ELNS0_20block_scan_algorithmE0ELj4294967295EEENS1_25partition_config_selectorILNS1_17partition_subalgoE3EjNS0_10empty_typeEbEEZZNS1_14partition_implILS8_3ELb0ES6_jNS0_17counting_iteratorIjlEEPS9_SE_NS0_5tupleIJPjSE_EEENSF_IJSE_SE_EEES9_SG_JZNS1_25segmented_radix_sort_implINS0_14default_configELb0EPKlPlSM_SN_N2at6native12_GLOBAL__N_18offset_tEEE10hipError_tPvRmT1_PNSt15iterator_traitsISV_E10value_typeET2_T3_PNSW_IS11_E10value_typeET4_jRbjT5_S17_jjP12ihipStream_tbEUljE_EEESS_ST_SU_S11_S15_S17_T6_T7_T9_mT8_S19_bDpT10_ENKUlT_T0_E_clISt17integral_constantIbLb1EES1L_IbLb0EEEEDaS1H_S1I_EUlS1H_E_NS1_11comp_targetILNS1_3genE10ELNS1_11target_archE1200ELNS1_3gpuE4ELNS1_3repE0EEENS1_30default_config_static_selectorELNS0_4arch9wavefront6targetE0EEEvSV_: ; @_ZN7rocprim17ROCPRIM_400000_NS6detail17trampoline_kernelINS0_13select_configILj256ELj13ELNS0_17block_load_methodE3ELS4_3ELS4_3ELNS0_20block_scan_algorithmE0ELj4294967295EEENS1_25partition_config_selectorILNS1_17partition_subalgoE3EjNS0_10empty_typeEbEEZZNS1_14partition_implILS8_3ELb0ES6_jNS0_17counting_iteratorIjlEEPS9_SE_NS0_5tupleIJPjSE_EEENSF_IJSE_SE_EEES9_SG_JZNS1_25segmented_radix_sort_implINS0_14default_configELb0EPKlPlSM_SN_N2at6native12_GLOBAL__N_18offset_tEEE10hipError_tPvRmT1_PNSt15iterator_traitsISV_E10value_typeET2_T3_PNSW_IS11_E10value_typeET4_jRbjT5_S17_jjP12ihipStream_tbEUljE_EEESS_ST_SU_S11_S15_S17_T6_T7_T9_mT8_S19_bDpT10_ENKUlT_T0_E_clISt17integral_constantIbLb1EES1L_IbLb0EEEEDaS1H_S1I_EUlS1H_E_NS1_11comp_targetILNS1_3genE10ELNS1_11target_archE1200ELNS1_3gpuE4ELNS1_3repE0EEENS1_30default_config_static_selectorELNS0_4arch9wavefront6targetE0EEEvSV_
; %bb.0:
	s_endpgm
	.section	.rodata,"a",@progbits
	.p2align	6, 0x0
	.amdhsa_kernel _ZN7rocprim17ROCPRIM_400000_NS6detail17trampoline_kernelINS0_13select_configILj256ELj13ELNS0_17block_load_methodE3ELS4_3ELS4_3ELNS0_20block_scan_algorithmE0ELj4294967295EEENS1_25partition_config_selectorILNS1_17partition_subalgoE3EjNS0_10empty_typeEbEEZZNS1_14partition_implILS8_3ELb0ES6_jNS0_17counting_iteratorIjlEEPS9_SE_NS0_5tupleIJPjSE_EEENSF_IJSE_SE_EEES9_SG_JZNS1_25segmented_radix_sort_implINS0_14default_configELb0EPKlPlSM_SN_N2at6native12_GLOBAL__N_18offset_tEEE10hipError_tPvRmT1_PNSt15iterator_traitsISV_E10value_typeET2_T3_PNSW_IS11_E10value_typeET4_jRbjT5_S17_jjP12ihipStream_tbEUljE_EEESS_ST_SU_S11_S15_S17_T6_T7_T9_mT8_S19_bDpT10_ENKUlT_T0_E_clISt17integral_constantIbLb1EES1L_IbLb0EEEEDaS1H_S1I_EUlS1H_E_NS1_11comp_targetILNS1_3genE10ELNS1_11target_archE1200ELNS1_3gpuE4ELNS1_3repE0EEENS1_30default_config_static_selectorELNS0_4arch9wavefront6targetE0EEEvSV_
		.amdhsa_group_segment_fixed_size 0
		.amdhsa_private_segment_fixed_size 0
		.amdhsa_kernarg_size 144
		.amdhsa_user_sgpr_count 2
		.amdhsa_user_sgpr_dispatch_ptr 0
		.amdhsa_user_sgpr_queue_ptr 0
		.amdhsa_user_sgpr_kernarg_segment_ptr 1
		.amdhsa_user_sgpr_dispatch_id 0
		.amdhsa_user_sgpr_private_segment_size 0
		.amdhsa_wavefront_size32 1
		.amdhsa_uses_dynamic_stack 0
		.amdhsa_enable_private_segment 0
		.amdhsa_system_sgpr_workgroup_id_x 1
		.amdhsa_system_sgpr_workgroup_id_y 0
		.amdhsa_system_sgpr_workgroup_id_z 0
		.amdhsa_system_sgpr_workgroup_info 0
		.amdhsa_system_vgpr_workitem_id 0
		.amdhsa_next_free_vgpr 1
		.amdhsa_next_free_sgpr 1
		.amdhsa_reserve_vcc 0
		.amdhsa_float_round_mode_32 0
		.amdhsa_float_round_mode_16_64 0
		.amdhsa_float_denorm_mode_32 3
		.amdhsa_float_denorm_mode_16_64 3
		.amdhsa_fp16_overflow 0
		.amdhsa_workgroup_processor_mode 1
		.amdhsa_memory_ordered 1
		.amdhsa_forward_progress 1
		.amdhsa_inst_pref_size 1
		.amdhsa_round_robin_scheduling 0
		.amdhsa_exception_fp_ieee_invalid_op 0
		.amdhsa_exception_fp_denorm_src 0
		.amdhsa_exception_fp_ieee_div_zero 0
		.amdhsa_exception_fp_ieee_overflow 0
		.amdhsa_exception_fp_ieee_underflow 0
		.amdhsa_exception_fp_ieee_inexact 0
		.amdhsa_exception_int_div_zero 0
	.end_amdhsa_kernel
	.section	.text._ZN7rocprim17ROCPRIM_400000_NS6detail17trampoline_kernelINS0_13select_configILj256ELj13ELNS0_17block_load_methodE3ELS4_3ELS4_3ELNS0_20block_scan_algorithmE0ELj4294967295EEENS1_25partition_config_selectorILNS1_17partition_subalgoE3EjNS0_10empty_typeEbEEZZNS1_14partition_implILS8_3ELb0ES6_jNS0_17counting_iteratorIjlEEPS9_SE_NS0_5tupleIJPjSE_EEENSF_IJSE_SE_EEES9_SG_JZNS1_25segmented_radix_sort_implINS0_14default_configELb0EPKlPlSM_SN_N2at6native12_GLOBAL__N_18offset_tEEE10hipError_tPvRmT1_PNSt15iterator_traitsISV_E10value_typeET2_T3_PNSW_IS11_E10value_typeET4_jRbjT5_S17_jjP12ihipStream_tbEUljE_EEESS_ST_SU_S11_S15_S17_T6_T7_T9_mT8_S19_bDpT10_ENKUlT_T0_E_clISt17integral_constantIbLb1EES1L_IbLb0EEEEDaS1H_S1I_EUlS1H_E_NS1_11comp_targetILNS1_3genE10ELNS1_11target_archE1200ELNS1_3gpuE4ELNS1_3repE0EEENS1_30default_config_static_selectorELNS0_4arch9wavefront6targetE0EEEvSV_,"axG",@progbits,_ZN7rocprim17ROCPRIM_400000_NS6detail17trampoline_kernelINS0_13select_configILj256ELj13ELNS0_17block_load_methodE3ELS4_3ELS4_3ELNS0_20block_scan_algorithmE0ELj4294967295EEENS1_25partition_config_selectorILNS1_17partition_subalgoE3EjNS0_10empty_typeEbEEZZNS1_14partition_implILS8_3ELb0ES6_jNS0_17counting_iteratorIjlEEPS9_SE_NS0_5tupleIJPjSE_EEENSF_IJSE_SE_EEES9_SG_JZNS1_25segmented_radix_sort_implINS0_14default_configELb0EPKlPlSM_SN_N2at6native12_GLOBAL__N_18offset_tEEE10hipError_tPvRmT1_PNSt15iterator_traitsISV_E10value_typeET2_T3_PNSW_IS11_E10value_typeET4_jRbjT5_S17_jjP12ihipStream_tbEUljE_EEESS_ST_SU_S11_S15_S17_T6_T7_T9_mT8_S19_bDpT10_ENKUlT_T0_E_clISt17integral_constantIbLb1EES1L_IbLb0EEEEDaS1H_S1I_EUlS1H_E_NS1_11comp_targetILNS1_3genE10ELNS1_11target_archE1200ELNS1_3gpuE4ELNS1_3repE0EEENS1_30default_config_static_selectorELNS0_4arch9wavefront6targetE0EEEvSV_,comdat
.Lfunc_end796:
	.size	_ZN7rocprim17ROCPRIM_400000_NS6detail17trampoline_kernelINS0_13select_configILj256ELj13ELNS0_17block_load_methodE3ELS4_3ELS4_3ELNS0_20block_scan_algorithmE0ELj4294967295EEENS1_25partition_config_selectorILNS1_17partition_subalgoE3EjNS0_10empty_typeEbEEZZNS1_14partition_implILS8_3ELb0ES6_jNS0_17counting_iteratorIjlEEPS9_SE_NS0_5tupleIJPjSE_EEENSF_IJSE_SE_EEES9_SG_JZNS1_25segmented_radix_sort_implINS0_14default_configELb0EPKlPlSM_SN_N2at6native12_GLOBAL__N_18offset_tEEE10hipError_tPvRmT1_PNSt15iterator_traitsISV_E10value_typeET2_T3_PNSW_IS11_E10value_typeET4_jRbjT5_S17_jjP12ihipStream_tbEUljE_EEESS_ST_SU_S11_S15_S17_T6_T7_T9_mT8_S19_bDpT10_ENKUlT_T0_E_clISt17integral_constantIbLb1EES1L_IbLb0EEEEDaS1H_S1I_EUlS1H_E_NS1_11comp_targetILNS1_3genE10ELNS1_11target_archE1200ELNS1_3gpuE4ELNS1_3repE0EEENS1_30default_config_static_selectorELNS0_4arch9wavefront6targetE0EEEvSV_, .Lfunc_end796-_ZN7rocprim17ROCPRIM_400000_NS6detail17trampoline_kernelINS0_13select_configILj256ELj13ELNS0_17block_load_methodE3ELS4_3ELS4_3ELNS0_20block_scan_algorithmE0ELj4294967295EEENS1_25partition_config_selectorILNS1_17partition_subalgoE3EjNS0_10empty_typeEbEEZZNS1_14partition_implILS8_3ELb0ES6_jNS0_17counting_iteratorIjlEEPS9_SE_NS0_5tupleIJPjSE_EEENSF_IJSE_SE_EEES9_SG_JZNS1_25segmented_radix_sort_implINS0_14default_configELb0EPKlPlSM_SN_N2at6native12_GLOBAL__N_18offset_tEEE10hipError_tPvRmT1_PNSt15iterator_traitsISV_E10value_typeET2_T3_PNSW_IS11_E10value_typeET4_jRbjT5_S17_jjP12ihipStream_tbEUljE_EEESS_ST_SU_S11_S15_S17_T6_T7_T9_mT8_S19_bDpT10_ENKUlT_T0_E_clISt17integral_constantIbLb1EES1L_IbLb0EEEEDaS1H_S1I_EUlS1H_E_NS1_11comp_targetILNS1_3genE10ELNS1_11target_archE1200ELNS1_3gpuE4ELNS1_3repE0EEENS1_30default_config_static_selectorELNS0_4arch9wavefront6targetE0EEEvSV_
                                        ; -- End function
	.set _ZN7rocprim17ROCPRIM_400000_NS6detail17trampoline_kernelINS0_13select_configILj256ELj13ELNS0_17block_load_methodE3ELS4_3ELS4_3ELNS0_20block_scan_algorithmE0ELj4294967295EEENS1_25partition_config_selectorILNS1_17partition_subalgoE3EjNS0_10empty_typeEbEEZZNS1_14partition_implILS8_3ELb0ES6_jNS0_17counting_iteratorIjlEEPS9_SE_NS0_5tupleIJPjSE_EEENSF_IJSE_SE_EEES9_SG_JZNS1_25segmented_radix_sort_implINS0_14default_configELb0EPKlPlSM_SN_N2at6native12_GLOBAL__N_18offset_tEEE10hipError_tPvRmT1_PNSt15iterator_traitsISV_E10value_typeET2_T3_PNSW_IS11_E10value_typeET4_jRbjT5_S17_jjP12ihipStream_tbEUljE_EEESS_ST_SU_S11_S15_S17_T6_T7_T9_mT8_S19_bDpT10_ENKUlT_T0_E_clISt17integral_constantIbLb1EES1L_IbLb0EEEEDaS1H_S1I_EUlS1H_E_NS1_11comp_targetILNS1_3genE10ELNS1_11target_archE1200ELNS1_3gpuE4ELNS1_3repE0EEENS1_30default_config_static_selectorELNS0_4arch9wavefront6targetE0EEEvSV_.num_vgpr, 0
	.set _ZN7rocprim17ROCPRIM_400000_NS6detail17trampoline_kernelINS0_13select_configILj256ELj13ELNS0_17block_load_methodE3ELS4_3ELS4_3ELNS0_20block_scan_algorithmE0ELj4294967295EEENS1_25partition_config_selectorILNS1_17partition_subalgoE3EjNS0_10empty_typeEbEEZZNS1_14partition_implILS8_3ELb0ES6_jNS0_17counting_iteratorIjlEEPS9_SE_NS0_5tupleIJPjSE_EEENSF_IJSE_SE_EEES9_SG_JZNS1_25segmented_radix_sort_implINS0_14default_configELb0EPKlPlSM_SN_N2at6native12_GLOBAL__N_18offset_tEEE10hipError_tPvRmT1_PNSt15iterator_traitsISV_E10value_typeET2_T3_PNSW_IS11_E10value_typeET4_jRbjT5_S17_jjP12ihipStream_tbEUljE_EEESS_ST_SU_S11_S15_S17_T6_T7_T9_mT8_S19_bDpT10_ENKUlT_T0_E_clISt17integral_constantIbLb1EES1L_IbLb0EEEEDaS1H_S1I_EUlS1H_E_NS1_11comp_targetILNS1_3genE10ELNS1_11target_archE1200ELNS1_3gpuE4ELNS1_3repE0EEENS1_30default_config_static_selectorELNS0_4arch9wavefront6targetE0EEEvSV_.num_agpr, 0
	.set _ZN7rocprim17ROCPRIM_400000_NS6detail17trampoline_kernelINS0_13select_configILj256ELj13ELNS0_17block_load_methodE3ELS4_3ELS4_3ELNS0_20block_scan_algorithmE0ELj4294967295EEENS1_25partition_config_selectorILNS1_17partition_subalgoE3EjNS0_10empty_typeEbEEZZNS1_14partition_implILS8_3ELb0ES6_jNS0_17counting_iteratorIjlEEPS9_SE_NS0_5tupleIJPjSE_EEENSF_IJSE_SE_EEES9_SG_JZNS1_25segmented_radix_sort_implINS0_14default_configELb0EPKlPlSM_SN_N2at6native12_GLOBAL__N_18offset_tEEE10hipError_tPvRmT1_PNSt15iterator_traitsISV_E10value_typeET2_T3_PNSW_IS11_E10value_typeET4_jRbjT5_S17_jjP12ihipStream_tbEUljE_EEESS_ST_SU_S11_S15_S17_T6_T7_T9_mT8_S19_bDpT10_ENKUlT_T0_E_clISt17integral_constantIbLb1EES1L_IbLb0EEEEDaS1H_S1I_EUlS1H_E_NS1_11comp_targetILNS1_3genE10ELNS1_11target_archE1200ELNS1_3gpuE4ELNS1_3repE0EEENS1_30default_config_static_selectorELNS0_4arch9wavefront6targetE0EEEvSV_.numbered_sgpr, 0
	.set _ZN7rocprim17ROCPRIM_400000_NS6detail17trampoline_kernelINS0_13select_configILj256ELj13ELNS0_17block_load_methodE3ELS4_3ELS4_3ELNS0_20block_scan_algorithmE0ELj4294967295EEENS1_25partition_config_selectorILNS1_17partition_subalgoE3EjNS0_10empty_typeEbEEZZNS1_14partition_implILS8_3ELb0ES6_jNS0_17counting_iteratorIjlEEPS9_SE_NS0_5tupleIJPjSE_EEENSF_IJSE_SE_EEES9_SG_JZNS1_25segmented_radix_sort_implINS0_14default_configELb0EPKlPlSM_SN_N2at6native12_GLOBAL__N_18offset_tEEE10hipError_tPvRmT1_PNSt15iterator_traitsISV_E10value_typeET2_T3_PNSW_IS11_E10value_typeET4_jRbjT5_S17_jjP12ihipStream_tbEUljE_EEESS_ST_SU_S11_S15_S17_T6_T7_T9_mT8_S19_bDpT10_ENKUlT_T0_E_clISt17integral_constantIbLb1EES1L_IbLb0EEEEDaS1H_S1I_EUlS1H_E_NS1_11comp_targetILNS1_3genE10ELNS1_11target_archE1200ELNS1_3gpuE4ELNS1_3repE0EEENS1_30default_config_static_selectorELNS0_4arch9wavefront6targetE0EEEvSV_.num_named_barrier, 0
	.set _ZN7rocprim17ROCPRIM_400000_NS6detail17trampoline_kernelINS0_13select_configILj256ELj13ELNS0_17block_load_methodE3ELS4_3ELS4_3ELNS0_20block_scan_algorithmE0ELj4294967295EEENS1_25partition_config_selectorILNS1_17partition_subalgoE3EjNS0_10empty_typeEbEEZZNS1_14partition_implILS8_3ELb0ES6_jNS0_17counting_iteratorIjlEEPS9_SE_NS0_5tupleIJPjSE_EEENSF_IJSE_SE_EEES9_SG_JZNS1_25segmented_radix_sort_implINS0_14default_configELb0EPKlPlSM_SN_N2at6native12_GLOBAL__N_18offset_tEEE10hipError_tPvRmT1_PNSt15iterator_traitsISV_E10value_typeET2_T3_PNSW_IS11_E10value_typeET4_jRbjT5_S17_jjP12ihipStream_tbEUljE_EEESS_ST_SU_S11_S15_S17_T6_T7_T9_mT8_S19_bDpT10_ENKUlT_T0_E_clISt17integral_constantIbLb1EES1L_IbLb0EEEEDaS1H_S1I_EUlS1H_E_NS1_11comp_targetILNS1_3genE10ELNS1_11target_archE1200ELNS1_3gpuE4ELNS1_3repE0EEENS1_30default_config_static_selectorELNS0_4arch9wavefront6targetE0EEEvSV_.private_seg_size, 0
	.set _ZN7rocprim17ROCPRIM_400000_NS6detail17trampoline_kernelINS0_13select_configILj256ELj13ELNS0_17block_load_methodE3ELS4_3ELS4_3ELNS0_20block_scan_algorithmE0ELj4294967295EEENS1_25partition_config_selectorILNS1_17partition_subalgoE3EjNS0_10empty_typeEbEEZZNS1_14partition_implILS8_3ELb0ES6_jNS0_17counting_iteratorIjlEEPS9_SE_NS0_5tupleIJPjSE_EEENSF_IJSE_SE_EEES9_SG_JZNS1_25segmented_radix_sort_implINS0_14default_configELb0EPKlPlSM_SN_N2at6native12_GLOBAL__N_18offset_tEEE10hipError_tPvRmT1_PNSt15iterator_traitsISV_E10value_typeET2_T3_PNSW_IS11_E10value_typeET4_jRbjT5_S17_jjP12ihipStream_tbEUljE_EEESS_ST_SU_S11_S15_S17_T6_T7_T9_mT8_S19_bDpT10_ENKUlT_T0_E_clISt17integral_constantIbLb1EES1L_IbLb0EEEEDaS1H_S1I_EUlS1H_E_NS1_11comp_targetILNS1_3genE10ELNS1_11target_archE1200ELNS1_3gpuE4ELNS1_3repE0EEENS1_30default_config_static_selectorELNS0_4arch9wavefront6targetE0EEEvSV_.uses_vcc, 0
	.set _ZN7rocprim17ROCPRIM_400000_NS6detail17trampoline_kernelINS0_13select_configILj256ELj13ELNS0_17block_load_methodE3ELS4_3ELS4_3ELNS0_20block_scan_algorithmE0ELj4294967295EEENS1_25partition_config_selectorILNS1_17partition_subalgoE3EjNS0_10empty_typeEbEEZZNS1_14partition_implILS8_3ELb0ES6_jNS0_17counting_iteratorIjlEEPS9_SE_NS0_5tupleIJPjSE_EEENSF_IJSE_SE_EEES9_SG_JZNS1_25segmented_radix_sort_implINS0_14default_configELb0EPKlPlSM_SN_N2at6native12_GLOBAL__N_18offset_tEEE10hipError_tPvRmT1_PNSt15iterator_traitsISV_E10value_typeET2_T3_PNSW_IS11_E10value_typeET4_jRbjT5_S17_jjP12ihipStream_tbEUljE_EEESS_ST_SU_S11_S15_S17_T6_T7_T9_mT8_S19_bDpT10_ENKUlT_T0_E_clISt17integral_constantIbLb1EES1L_IbLb0EEEEDaS1H_S1I_EUlS1H_E_NS1_11comp_targetILNS1_3genE10ELNS1_11target_archE1200ELNS1_3gpuE4ELNS1_3repE0EEENS1_30default_config_static_selectorELNS0_4arch9wavefront6targetE0EEEvSV_.uses_flat_scratch, 0
	.set _ZN7rocprim17ROCPRIM_400000_NS6detail17trampoline_kernelINS0_13select_configILj256ELj13ELNS0_17block_load_methodE3ELS4_3ELS4_3ELNS0_20block_scan_algorithmE0ELj4294967295EEENS1_25partition_config_selectorILNS1_17partition_subalgoE3EjNS0_10empty_typeEbEEZZNS1_14partition_implILS8_3ELb0ES6_jNS0_17counting_iteratorIjlEEPS9_SE_NS0_5tupleIJPjSE_EEENSF_IJSE_SE_EEES9_SG_JZNS1_25segmented_radix_sort_implINS0_14default_configELb0EPKlPlSM_SN_N2at6native12_GLOBAL__N_18offset_tEEE10hipError_tPvRmT1_PNSt15iterator_traitsISV_E10value_typeET2_T3_PNSW_IS11_E10value_typeET4_jRbjT5_S17_jjP12ihipStream_tbEUljE_EEESS_ST_SU_S11_S15_S17_T6_T7_T9_mT8_S19_bDpT10_ENKUlT_T0_E_clISt17integral_constantIbLb1EES1L_IbLb0EEEEDaS1H_S1I_EUlS1H_E_NS1_11comp_targetILNS1_3genE10ELNS1_11target_archE1200ELNS1_3gpuE4ELNS1_3repE0EEENS1_30default_config_static_selectorELNS0_4arch9wavefront6targetE0EEEvSV_.has_dyn_sized_stack, 0
	.set _ZN7rocprim17ROCPRIM_400000_NS6detail17trampoline_kernelINS0_13select_configILj256ELj13ELNS0_17block_load_methodE3ELS4_3ELS4_3ELNS0_20block_scan_algorithmE0ELj4294967295EEENS1_25partition_config_selectorILNS1_17partition_subalgoE3EjNS0_10empty_typeEbEEZZNS1_14partition_implILS8_3ELb0ES6_jNS0_17counting_iteratorIjlEEPS9_SE_NS0_5tupleIJPjSE_EEENSF_IJSE_SE_EEES9_SG_JZNS1_25segmented_radix_sort_implINS0_14default_configELb0EPKlPlSM_SN_N2at6native12_GLOBAL__N_18offset_tEEE10hipError_tPvRmT1_PNSt15iterator_traitsISV_E10value_typeET2_T3_PNSW_IS11_E10value_typeET4_jRbjT5_S17_jjP12ihipStream_tbEUljE_EEESS_ST_SU_S11_S15_S17_T6_T7_T9_mT8_S19_bDpT10_ENKUlT_T0_E_clISt17integral_constantIbLb1EES1L_IbLb0EEEEDaS1H_S1I_EUlS1H_E_NS1_11comp_targetILNS1_3genE10ELNS1_11target_archE1200ELNS1_3gpuE4ELNS1_3repE0EEENS1_30default_config_static_selectorELNS0_4arch9wavefront6targetE0EEEvSV_.has_recursion, 0
	.set _ZN7rocprim17ROCPRIM_400000_NS6detail17trampoline_kernelINS0_13select_configILj256ELj13ELNS0_17block_load_methodE3ELS4_3ELS4_3ELNS0_20block_scan_algorithmE0ELj4294967295EEENS1_25partition_config_selectorILNS1_17partition_subalgoE3EjNS0_10empty_typeEbEEZZNS1_14partition_implILS8_3ELb0ES6_jNS0_17counting_iteratorIjlEEPS9_SE_NS0_5tupleIJPjSE_EEENSF_IJSE_SE_EEES9_SG_JZNS1_25segmented_radix_sort_implINS0_14default_configELb0EPKlPlSM_SN_N2at6native12_GLOBAL__N_18offset_tEEE10hipError_tPvRmT1_PNSt15iterator_traitsISV_E10value_typeET2_T3_PNSW_IS11_E10value_typeET4_jRbjT5_S17_jjP12ihipStream_tbEUljE_EEESS_ST_SU_S11_S15_S17_T6_T7_T9_mT8_S19_bDpT10_ENKUlT_T0_E_clISt17integral_constantIbLb1EES1L_IbLb0EEEEDaS1H_S1I_EUlS1H_E_NS1_11comp_targetILNS1_3genE10ELNS1_11target_archE1200ELNS1_3gpuE4ELNS1_3repE0EEENS1_30default_config_static_selectorELNS0_4arch9wavefront6targetE0EEEvSV_.has_indirect_call, 0
	.section	.AMDGPU.csdata,"",@progbits
; Kernel info:
; codeLenInByte = 4
; TotalNumSgprs: 0
; NumVgprs: 0
; ScratchSize: 0
; MemoryBound: 0
; FloatMode: 240
; IeeeMode: 1
; LDSByteSize: 0 bytes/workgroup (compile time only)
; SGPRBlocks: 0
; VGPRBlocks: 0
; NumSGPRsForWavesPerEU: 1
; NumVGPRsForWavesPerEU: 1
; Occupancy: 16
; WaveLimiterHint : 0
; COMPUTE_PGM_RSRC2:SCRATCH_EN: 0
; COMPUTE_PGM_RSRC2:USER_SGPR: 2
; COMPUTE_PGM_RSRC2:TRAP_HANDLER: 0
; COMPUTE_PGM_RSRC2:TGID_X_EN: 1
; COMPUTE_PGM_RSRC2:TGID_Y_EN: 0
; COMPUTE_PGM_RSRC2:TGID_Z_EN: 0
; COMPUTE_PGM_RSRC2:TIDIG_COMP_CNT: 0
	.section	.text._ZN7rocprim17ROCPRIM_400000_NS6detail17trampoline_kernelINS0_13select_configILj256ELj13ELNS0_17block_load_methodE3ELS4_3ELS4_3ELNS0_20block_scan_algorithmE0ELj4294967295EEENS1_25partition_config_selectorILNS1_17partition_subalgoE3EjNS0_10empty_typeEbEEZZNS1_14partition_implILS8_3ELb0ES6_jNS0_17counting_iteratorIjlEEPS9_SE_NS0_5tupleIJPjSE_EEENSF_IJSE_SE_EEES9_SG_JZNS1_25segmented_radix_sort_implINS0_14default_configELb0EPKlPlSM_SN_N2at6native12_GLOBAL__N_18offset_tEEE10hipError_tPvRmT1_PNSt15iterator_traitsISV_E10value_typeET2_T3_PNSW_IS11_E10value_typeET4_jRbjT5_S17_jjP12ihipStream_tbEUljE_EEESS_ST_SU_S11_S15_S17_T6_T7_T9_mT8_S19_bDpT10_ENKUlT_T0_E_clISt17integral_constantIbLb1EES1L_IbLb0EEEEDaS1H_S1I_EUlS1H_E_NS1_11comp_targetILNS1_3genE9ELNS1_11target_archE1100ELNS1_3gpuE3ELNS1_3repE0EEENS1_30default_config_static_selectorELNS0_4arch9wavefront6targetE0EEEvSV_,"axG",@progbits,_ZN7rocprim17ROCPRIM_400000_NS6detail17trampoline_kernelINS0_13select_configILj256ELj13ELNS0_17block_load_methodE3ELS4_3ELS4_3ELNS0_20block_scan_algorithmE0ELj4294967295EEENS1_25partition_config_selectorILNS1_17partition_subalgoE3EjNS0_10empty_typeEbEEZZNS1_14partition_implILS8_3ELb0ES6_jNS0_17counting_iteratorIjlEEPS9_SE_NS0_5tupleIJPjSE_EEENSF_IJSE_SE_EEES9_SG_JZNS1_25segmented_radix_sort_implINS0_14default_configELb0EPKlPlSM_SN_N2at6native12_GLOBAL__N_18offset_tEEE10hipError_tPvRmT1_PNSt15iterator_traitsISV_E10value_typeET2_T3_PNSW_IS11_E10value_typeET4_jRbjT5_S17_jjP12ihipStream_tbEUljE_EEESS_ST_SU_S11_S15_S17_T6_T7_T9_mT8_S19_bDpT10_ENKUlT_T0_E_clISt17integral_constantIbLb1EES1L_IbLb0EEEEDaS1H_S1I_EUlS1H_E_NS1_11comp_targetILNS1_3genE9ELNS1_11target_archE1100ELNS1_3gpuE3ELNS1_3repE0EEENS1_30default_config_static_selectorELNS0_4arch9wavefront6targetE0EEEvSV_,comdat
	.globl	_ZN7rocprim17ROCPRIM_400000_NS6detail17trampoline_kernelINS0_13select_configILj256ELj13ELNS0_17block_load_methodE3ELS4_3ELS4_3ELNS0_20block_scan_algorithmE0ELj4294967295EEENS1_25partition_config_selectorILNS1_17partition_subalgoE3EjNS0_10empty_typeEbEEZZNS1_14partition_implILS8_3ELb0ES6_jNS0_17counting_iteratorIjlEEPS9_SE_NS0_5tupleIJPjSE_EEENSF_IJSE_SE_EEES9_SG_JZNS1_25segmented_radix_sort_implINS0_14default_configELb0EPKlPlSM_SN_N2at6native12_GLOBAL__N_18offset_tEEE10hipError_tPvRmT1_PNSt15iterator_traitsISV_E10value_typeET2_T3_PNSW_IS11_E10value_typeET4_jRbjT5_S17_jjP12ihipStream_tbEUljE_EEESS_ST_SU_S11_S15_S17_T6_T7_T9_mT8_S19_bDpT10_ENKUlT_T0_E_clISt17integral_constantIbLb1EES1L_IbLb0EEEEDaS1H_S1I_EUlS1H_E_NS1_11comp_targetILNS1_3genE9ELNS1_11target_archE1100ELNS1_3gpuE3ELNS1_3repE0EEENS1_30default_config_static_selectorELNS0_4arch9wavefront6targetE0EEEvSV_ ; -- Begin function _ZN7rocprim17ROCPRIM_400000_NS6detail17trampoline_kernelINS0_13select_configILj256ELj13ELNS0_17block_load_methodE3ELS4_3ELS4_3ELNS0_20block_scan_algorithmE0ELj4294967295EEENS1_25partition_config_selectorILNS1_17partition_subalgoE3EjNS0_10empty_typeEbEEZZNS1_14partition_implILS8_3ELb0ES6_jNS0_17counting_iteratorIjlEEPS9_SE_NS0_5tupleIJPjSE_EEENSF_IJSE_SE_EEES9_SG_JZNS1_25segmented_radix_sort_implINS0_14default_configELb0EPKlPlSM_SN_N2at6native12_GLOBAL__N_18offset_tEEE10hipError_tPvRmT1_PNSt15iterator_traitsISV_E10value_typeET2_T3_PNSW_IS11_E10value_typeET4_jRbjT5_S17_jjP12ihipStream_tbEUljE_EEESS_ST_SU_S11_S15_S17_T6_T7_T9_mT8_S19_bDpT10_ENKUlT_T0_E_clISt17integral_constantIbLb1EES1L_IbLb0EEEEDaS1H_S1I_EUlS1H_E_NS1_11comp_targetILNS1_3genE9ELNS1_11target_archE1100ELNS1_3gpuE3ELNS1_3repE0EEENS1_30default_config_static_selectorELNS0_4arch9wavefront6targetE0EEEvSV_
	.p2align	8
	.type	_ZN7rocprim17ROCPRIM_400000_NS6detail17trampoline_kernelINS0_13select_configILj256ELj13ELNS0_17block_load_methodE3ELS4_3ELS4_3ELNS0_20block_scan_algorithmE0ELj4294967295EEENS1_25partition_config_selectorILNS1_17partition_subalgoE3EjNS0_10empty_typeEbEEZZNS1_14partition_implILS8_3ELb0ES6_jNS0_17counting_iteratorIjlEEPS9_SE_NS0_5tupleIJPjSE_EEENSF_IJSE_SE_EEES9_SG_JZNS1_25segmented_radix_sort_implINS0_14default_configELb0EPKlPlSM_SN_N2at6native12_GLOBAL__N_18offset_tEEE10hipError_tPvRmT1_PNSt15iterator_traitsISV_E10value_typeET2_T3_PNSW_IS11_E10value_typeET4_jRbjT5_S17_jjP12ihipStream_tbEUljE_EEESS_ST_SU_S11_S15_S17_T6_T7_T9_mT8_S19_bDpT10_ENKUlT_T0_E_clISt17integral_constantIbLb1EES1L_IbLb0EEEEDaS1H_S1I_EUlS1H_E_NS1_11comp_targetILNS1_3genE9ELNS1_11target_archE1100ELNS1_3gpuE3ELNS1_3repE0EEENS1_30default_config_static_selectorELNS0_4arch9wavefront6targetE0EEEvSV_,@function
_ZN7rocprim17ROCPRIM_400000_NS6detail17trampoline_kernelINS0_13select_configILj256ELj13ELNS0_17block_load_methodE3ELS4_3ELS4_3ELNS0_20block_scan_algorithmE0ELj4294967295EEENS1_25partition_config_selectorILNS1_17partition_subalgoE3EjNS0_10empty_typeEbEEZZNS1_14partition_implILS8_3ELb0ES6_jNS0_17counting_iteratorIjlEEPS9_SE_NS0_5tupleIJPjSE_EEENSF_IJSE_SE_EEES9_SG_JZNS1_25segmented_radix_sort_implINS0_14default_configELb0EPKlPlSM_SN_N2at6native12_GLOBAL__N_18offset_tEEE10hipError_tPvRmT1_PNSt15iterator_traitsISV_E10value_typeET2_T3_PNSW_IS11_E10value_typeET4_jRbjT5_S17_jjP12ihipStream_tbEUljE_EEESS_ST_SU_S11_S15_S17_T6_T7_T9_mT8_S19_bDpT10_ENKUlT_T0_E_clISt17integral_constantIbLb1EES1L_IbLb0EEEEDaS1H_S1I_EUlS1H_E_NS1_11comp_targetILNS1_3genE9ELNS1_11target_archE1100ELNS1_3gpuE3ELNS1_3repE0EEENS1_30default_config_static_selectorELNS0_4arch9wavefront6targetE0EEEvSV_: ; @_ZN7rocprim17ROCPRIM_400000_NS6detail17trampoline_kernelINS0_13select_configILj256ELj13ELNS0_17block_load_methodE3ELS4_3ELS4_3ELNS0_20block_scan_algorithmE0ELj4294967295EEENS1_25partition_config_selectorILNS1_17partition_subalgoE3EjNS0_10empty_typeEbEEZZNS1_14partition_implILS8_3ELb0ES6_jNS0_17counting_iteratorIjlEEPS9_SE_NS0_5tupleIJPjSE_EEENSF_IJSE_SE_EEES9_SG_JZNS1_25segmented_radix_sort_implINS0_14default_configELb0EPKlPlSM_SN_N2at6native12_GLOBAL__N_18offset_tEEE10hipError_tPvRmT1_PNSt15iterator_traitsISV_E10value_typeET2_T3_PNSW_IS11_E10value_typeET4_jRbjT5_S17_jjP12ihipStream_tbEUljE_EEESS_ST_SU_S11_S15_S17_T6_T7_T9_mT8_S19_bDpT10_ENKUlT_T0_E_clISt17integral_constantIbLb1EES1L_IbLb0EEEEDaS1H_S1I_EUlS1H_E_NS1_11comp_targetILNS1_3genE9ELNS1_11target_archE1100ELNS1_3gpuE3ELNS1_3repE0EEENS1_30default_config_static_selectorELNS0_4arch9wavefront6targetE0EEEvSV_
; %bb.0:
	.section	.rodata,"a",@progbits
	.p2align	6, 0x0
	.amdhsa_kernel _ZN7rocprim17ROCPRIM_400000_NS6detail17trampoline_kernelINS0_13select_configILj256ELj13ELNS0_17block_load_methodE3ELS4_3ELS4_3ELNS0_20block_scan_algorithmE0ELj4294967295EEENS1_25partition_config_selectorILNS1_17partition_subalgoE3EjNS0_10empty_typeEbEEZZNS1_14partition_implILS8_3ELb0ES6_jNS0_17counting_iteratorIjlEEPS9_SE_NS0_5tupleIJPjSE_EEENSF_IJSE_SE_EEES9_SG_JZNS1_25segmented_radix_sort_implINS0_14default_configELb0EPKlPlSM_SN_N2at6native12_GLOBAL__N_18offset_tEEE10hipError_tPvRmT1_PNSt15iterator_traitsISV_E10value_typeET2_T3_PNSW_IS11_E10value_typeET4_jRbjT5_S17_jjP12ihipStream_tbEUljE_EEESS_ST_SU_S11_S15_S17_T6_T7_T9_mT8_S19_bDpT10_ENKUlT_T0_E_clISt17integral_constantIbLb1EES1L_IbLb0EEEEDaS1H_S1I_EUlS1H_E_NS1_11comp_targetILNS1_3genE9ELNS1_11target_archE1100ELNS1_3gpuE3ELNS1_3repE0EEENS1_30default_config_static_selectorELNS0_4arch9wavefront6targetE0EEEvSV_
		.amdhsa_group_segment_fixed_size 0
		.amdhsa_private_segment_fixed_size 0
		.amdhsa_kernarg_size 144
		.amdhsa_user_sgpr_count 2
		.amdhsa_user_sgpr_dispatch_ptr 0
		.amdhsa_user_sgpr_queue_ptr 0
		.amdhsa_user_sgpr_kernarg_segment_ptr 1
		.amdhsa_user_sgpr_dispatch_id 0
		.amdhsa_user_sgpr_private_segment_size 0
		.amdhsa_wavefront_size32 1
		.amdhsa_uses_dynamic_stack 0
		.amdhsa_enable_private_segment 0
		.amdhsa_system_sgpr_workgroup_id_x 1
		.amdhsa_system_sgpr_workgroup_id_y 0
		.amdhsa_system_sgpr_workgroup_id_z 0
		.amdhsa_system_sgpr_workgroup_info 0
		.amdhsa_system_vgpr_workitem_id 0
		.amdhsa_next_free_vgpr 1
		.amdhsa_next_free_sgpr 1
		.amdhsa_reserve_vcc 0
		.amdhsa_float_round_mode_32 0
		.amdhsa_float_round_mode_16_64 0
		.amdhsa_float_denorm_mode_32 3
		.amdhsa_float_denorm_mode_16_64 3
		.amdhsa_fp16_overflow 0
		.amdhsa_workgroup_processor_mode 1
		.amdhsa_memory_ordered 1
		.amdhsa_forward_progress 1
		.amdhsa_inst_pref_size 0
		.amdhsa_round_robin_scheduling 0
		.amdhsa_exception_fp_ieee_invalid_op 0
		.amdhsa_exception_fp_denorm_src 0
		.amdhsa_exception_fp_ieee_div_zero 0
		.amdhsa_exception_fp_ieee_overflow 0
		.amdhsa_exception_fp_ieee_underflow 0
		.amdhsa_exception_fp_ieee_inexact 0
		.amdhsa_exception_int_div_zero 0
	.end_amdhsa_kernel
	.section	.text._ZN7rocprim17ROCPRIM_400000_NS6detail17trampoline_kernelINS0_13select_configILj256ELj13ELNS0_17block_load_methodE3ELS4_3ELS4_3ELNS0_20block_scan_algorithmE0ELj4294967295EEENS1_25partition_config_selectorILNS1_17partition_subalgoE3EjNS0_10empty_typeEbEEZZNS1_14partition_implILS8_3ELb0ES6_jNS0_17counting_iteratorIjlEEPS9_SE_NS0_5tupleIJPjSE_EEENSF_IJSE_SE_EEES9_SG_JZNS1_25segmented_radix_sort_implINS0_14default_configELb0EPKlPlSM_SN_N2at6native12_GLOBAL__N_18offset_tEEE10hipError_tPvRmT1_PNSt15iterator_traitsISV_E10value_typeET2_T3_PNSW_IS11_E10value_typeET4_jRbjT5_S17_jjP12ihipStream_tbEUljE_EEESS_ST_SU_S11_S15_S17_T6_T7_T9_mT8_S19_bDpT10_ENKUlT_T0_E_clISt17integral_constantIbLb1EES1L_IbLb0EEEEDaS1H_S1I_EUlS1H_E_NS1_11comp_targetILNS1_3genE9ELNS1_11target_archE1100ELNS1_3gpuE3ELNS1_3repE0EEENS1_30default_config_static_selectorELNS0_4arch9wavefront6targetE0EEEvSV_,"axG",@progbits,_ZN7rocprim17ROCPRIM_400000_NS6detail17trampoline_kernelINS0_13select_configILj256ELj13ELNS0_17block_load_methodE3ELS4_3ELS4_3ELNS0_20block_scan_algorithmE0ELj4294967295EEENS1_25partition_config_selectorILNS1_17partition_subalgoE3EjNS0_10empty_typeEbEEZZNS1_14partition_implILS8_3ELb0ES6_jNS0_17counting_iteratorIjlEEPS9_SE_NS0_5tupleIJPjSE_EEENSF_IJSE_SE_EEES9_SG_JZNS1_25segmented_radix_sort_implINS0_14default_configELb0EPKlPlSM_SN_N2at6native12_GLOBAL__N_18offset_tEEE10hipError_tPvRmT1_PNSt15iterator_traitsISV_E10value_typeET2_T3_PNSW_IS11_E10value_typeET4_jRbjT5_S17_jjP12ihipStream_tbEUljE_EEESS_ST_SU_S11_S15_S17_T6_T7_T9_mT8_S19_bDpT10_ENKUlT_T0_E_clISt17integral_constantIbLb1EES1L_IbLb0EEEEDaS1H_S1I_EUlS1H_E_NS1_11comp_targetILNS1_3genE9ELNS1_11target_archE1100ELNS1_3gpuE3ELNS1_3repE0EEENS1_30default_config_static_selectorELNS0_4arch9wavefront6targetE0EEEvSV_,comdat
.Lfunc_end797:
	.size	_ZN7rocprim17ROCPRIM_400000_NS6detail17trampoline_kernelINS0_13select_configILj256ELj13ELNS0_17block_load_methodE3ELS4_3ELS4_3ELNS0_20block_scan_algorithmE0ELj4294967295EEENS1_25partition_config_selectorILNS1_17partition_subalgoE3EjNS0_10empty_typeEbEEZZNS1_14partition_implILS8_3ELb0ES6_jNS0_17counting_iteratorIjlEEPS9_SE_NS0_5tupleIJPjSE_EEENSF_IJSE_SE_EEES9_SG_JZNS1_25segmented_radix_sort_implINS0_14default_configELb0EPKlPlSM_SN_N2at6native12_GLOBAL__N_18offset_tEEE10hipError_tPvRmT1_PNSt15iterator_traitsISV_E10value_typeET2_T3_PNSW_IS11_E10value_typeET4_jRbjT5_S17_jjP12ihipStream_tbEUljE_EEESS_ST_SU_S11_S15_S17_T6_T7_T9_mT8_S19_bDpT10_ENKUlT_T0_E_clISt17integral_constantIbLb1EES1L_IbLb0EEEEDaS1H_S1I_EUlS1H_E_NS1_11comp_targetILNS1_3genE9ELNS1_11target_archE1100ELNS1_3gpuE3ELNS1_3repE0EEENS1_30default_config_static_selectorELNS0_4arch9wavefront6targetE0EEEvSV_, .Lfunc_end797-_ZN7rocprim17ROCPRIM_400000_NS6detail17trampoline_kernelINS0_13select_configILj256ELj13ELNS0_17block_load_methodE3ELS4_3ELS4_3ELNS0_20block_scan_algorithmE0ELj4294967295EEENS1_25partition_config_selectorILNS1_17partition_subalgoE3EjNS0_10empty_typeEbEEZZNS1_14partition_implILS8_3ELb0ES6_jNS0_17counting_iteratorIjlEEPS9_SE_NS0_5tupleIJPjSE_EEENSF_IJSE_SE_EEES9_SG_JZNS1_25segmented_radix_sort_implINS0_14default_configELb0EPKlPlSM_SN_N2at6native12_GLOBAL__N_18offset_tEEE10hipError_tPvRmT1_PNSt15iterator_traitsISV_E10value_typeET2_T3_PNSW_IS11_E10value_typeET4_jRbjT5_S17_jjP12ihipStream_tbEUljE_EEESS_ST_SU_S11_S15_S17_T6_T7_T9_mT8_S19_bDpT10_ENKUlT_T0_E_clISt17integral_constantIbLb1EES1L_IbLb0EEEEDaS1H_S1I_EUlS1H_E_NS1_11comp_targetILNS1_3genE9ELNS1_11target_archE1100ELNS1_3gpuE3ELNS1_3repE0EEENS1_30default_config_static_selectorELNS0_4arch9wavefront6targetE0EEEvSV_
                                        ; -- End function
	.set _ZN7rocprim17ROCPRIM_400000_NS6detail17trampoline_kernelINS0_13select_configILj256ELj13ELNS0_17block_load_methodE3ELS4_3ELS4_3ELNS0_20block_scan_algorithmE0ELj4294967295EEENS1_25partition_config_selectorILNS1_17partition_subalgoE3EjNS0_10empty_typeEbEEZZNS1_14partition_implILS8_3ELb0ES6_jNS0_17counting_iteratorIjlEEPS9_SE_NS0_5tupleIJPjSE_EEENSF_IJSE_SE_EEES9_SG_JZNS1_25segmented_radix_sort_implINS0_14default_configELb0EPKlPlSM_SN_N2at6native12_GLOBAL__N_18offset_tEEE10hipError_tPvRmT1_PNSt15iterator_traitsISV_E10value_typeET2_T3_PNSW_IS11_E10value_typeET4_jRbjT5_S17_jjP12ihipStream_tbEUljE_EEESS_ST_SU_S11_S15_S17_T6_T7_T9_mT8_S19_bDpT10_ENKUlT_T0_E_clISt17integral_constantIbLb1EES1L_IbLb0EEEEDaS1H_S1I_EUlS1H_E_NS1_11comp_targetILNS1_3genE9ELNS1_11target_archE1100ELNS1_3gpuE3ELNS1_3repE0EEENS1_30default_config_static_selectorELNS0_4arch9wavefront6targetE0EEEvSV_.num_vgpr, 0
	.set _ZN7rocprim17ROCPRIM_400000_NS6detail17trampoline_kernelINS0_13select_configILj256ELj13ELNS0_17block_load_methodE3ELS4_3ELS4_3ELNS0_20block_scan_algorithmE0ELj4294967295EEENS1_25partition_config_selectorILNS1_17partition_subalgoE3EjNS0_10empty_typeEbEEZZNS1_14partition_implILS8_3ELb0ES6_jNS0_17counting_iteratorIjlEEPS9_SE_NS0_5tupleIJPjSE_EEENSF_IJSE_SE_EEES9_SG_JZNS1_25segmented_radix_sort_implINS0_14default_configELb0EPKlPlSM_SN_N2at6native12_GLOBAL__N_18offset_tEEE10hipError_tPvRmT1_PNSt15iterator_traitsISV_E10value_typeET2_T3_PNSW_IS11_E10value_typeET4_jRbjT5_S17_jjP12ihipStream_tbEUljE_EEESS_ST_SU_S11_S15_S17_T6_T7_T9_mT8_S19_bDpT10_ENKUlT_T0_E_clISt17integral_constantIbLb1EES1L_IbLb0EEEEDaS1H_S1I_EUlS1H_E_NS1_11comp_targetILNS1_3genE9ELNS1_11target_archE1100ELNS1_3gpuE3ELNS1_3repE0EEENS1_30default_config_static_selectorELNS0_4arch9wavefront6targetE0EEEvSV_.num_agpr, 0
	.set _ZN7rocprim17ROCPRIM_400000_NS6detail17trampoline_kernelINS0_13select_configILj256ELj13ELNS0_17block_load_methodE3ELS4_3ELS4_3ELNS0_20block_scan_algorithmE0ELj4294967295EEENS1_25partition_config_selectorILNS1_17partition_subalgoE3EjNS0_10empty_typeEbEEZZNS1_14partition_implILS8_3ELb0ES6_jNS0_17counting_iteratorIjlEEPS9_SE_NS0_5tupleIJPjSE_EEENSF_IJSE_SE_EEES9_SG_JZNS1_25segmented_radix_sort_implINS0_14default_configELb0EPKlPlSM_SN_N2at6native12_GLOBAL__N_18offset_tEEE10hipError_tPvRmT1_PNSt15iterator_traitsISV_E10value_typeET2_T3_PNSW_IS11_E10value_typeET4_jRbjT5_S17_jjP12ihipStream_tbEUljE_EEESS_ST_SU_S11_S15_S17_T6_T7_T9_mT8_S19_bDpT10_ENKUlT_T0_E_clISt17integral_constantIbLb1EES1L_IbLb0EEEEDaS1H_S1I_EUlS1H_E_NS1_11comp_targetILNS1_3genE9ELNS1_11target_archE1100ELNS1_3gpuE3ELNS1_3repE0EEENS1_30default_config_static_selectorELNS0_4arch9wavefront6targetE0EEEvSV_.numbered_sgpr, 0
	.set _ZN7rocprim17ROCPRIM_400000_NS6detail17trampoline_kernelINS0_13select_configILj256ELj13ELNS0_17block_load_methodE3ELS4_3ELS4_3ELNS0_20block_scan_algorithmE0ELj4294967295EEENS1_25partition_config_selectorILNS1_17partition_subalgoE3EjNS0_10empty_typeEbEEZZNS1_14partition_implILS8_3ELb0ES6_jNS0_17counting_iteratorIjlEEPS9_SE_NS0_5tupleIJPjSE_EEENSF_IJSE_SE_EEES9_SG_JZNS1_25segmented_radix_sort_implINS0_14default_configELb0EPKlPlSM_SN_N2at6native12_GLOBAL__N_18offset_tEEE10hipError_tPvRmT1_PNSt15iterator_traitsISV_E10value_typeET2_T3_PNSW_IS11_E10value_typeET4_jRbjT5_S17_jjP12ihipStream_tbEUljE_EEESS_ST_SU_S11_S15_S17_T6_T7_T9_mT8_S19_bDpT10_ENKUlT_T0_E_clISt17integral_constantIbLb1EES1L_IbLb0EEEEDaS1H_S1I_EUlS1H_E_NS1_11comp_targetILNS1_3genE9ELNS1_11target_archE1100ELNS1_3gpuE3ELNS1_3repE0EEENS1_30default_config_static_selectorELNS0_4arch9wavefront6targetE0EEEvSV_.num_named_barrier, 0
	.set _ZN7rocprim17ROCPRIM_400000_NS6detail17trampoline_kernelINS0_13select_configILj256ELj13ELNS0_17block_load_methodE3ELS4_3ELS4_3ELNS0_20block_scan_algorithmE0ELj4294967295EEENS1_25partition_config_selectorILNS1_17partition_subalgoE3EjNS0_10empty_typeEbEEZZNS1_14partition_implILS8_3ELb0ES6_jNS0_17counting_iteratorIjlEEPS9_SE_NS0_5tupleIJPjSE_EEENSF_IJSE_SE_EEES9_SG_JZNS1_25segmented_radix_sort_implINS0_14default_configELb0EPKlPlSM_SN_N2at6native12_GLOBAL__N_18offset_tEEE10hipError_tPvRmT1_PNSt15iterator_traitsISV_E10value_typeET2_T3_PNSW_IS11_E10value_typeET4_jRbjT5_S17_jjP12ihipStream_tbEUljE_EEESS_ST_SU_S11_S15_S17_T6_T7_T9_mT8_S19_bDpT10_ENKUlT_T0_E_clISt17integral_constantIbLb1EES1L_IbLb0EEEEDaS1H_S1I_EUlS1H_E_NS1_11comp_targetILNS1_3genE9ELNS1_11target_archE1100ELNS1_3gpuE3ELNS1_3repE0EEENS1_30default_config_static_selectorELNS0_4arch9wavefront6targetE0EEEvSV_.private_seg_size, 0
	.set _ZN7rocprim17ROCPRIM_400000_NS6detail17trampoline_kernelINS0_13select_configILj256ELj13ELNS0_17block_load_methodE3ELS4_3ELS4_3ELNS0_20block_scan_algorithmE0ELj4294967295EEENS1_25partition_config_selectorILNS1_17partition_subalgoE3EjNS0_10empty_typeEbEEZZNS1_14partition_implILS8_3ELb0ES6_jNS0_17counting_iteratorIjlEEPS9_SE_NS0_5tupleIJPjSE_EEENSF_IJSE_SE_EEES9_SG_JZNS1_25segmented_radix_sort_implINS0_14default_configELb0EPKlPlSM_SN_N2at6native12_GLOBAL__N_18offset_tEEE10hipError_tPvRmT1_PNSt15iterator_traitsISV_E10value_typeET2_T3_PNSW_IS11_E10value_typeET4_jRbjT5_S17_jjP12ihipStream_tbEUljE_EEESS_ST_SU_S11_S15_S17_T6_T7_T9_mT8_S19_bDpT10_ENKUlT_T0_E_clISt17integral_constantIbLb1EES1L_IbLb0EEEEDaS1H_S1I_EUlS1H_E_NS1_11comp_targetILNS1_3genE9ELNS1_11target_archE1100ELNS1_3gpuE3ELNS1_3repE0EEENS1_30default_config_static_selectorELNS0_4arch9wavefront6targetE0EEEvSV_.uses_vcc, 0
	.set _ZN7rocprim17ROCPRIM_400000_NS6detail17trampoline_kernelINS0_13select_configILj256ELj13ELNS0_17block_load_methodE3ELS4_3ELS4_3ELNS0_20block_scan_algorithmE0ELj4294967295EEENS1_25partition_config_selectorILNS1_17partition_subalgoE3EjNS0_10empty_typeEbEEZZNS1_14partition_implILS8_3ELb0ES6_jNS0_17counting_iteratorIjlEEPS9_SE_NS0_5tupleIJPjSE_EEENSF_IJSE_SE_EEES9_SG_JZNS1_25segmented_radix_sort_implINS0_14default_configELb0EPKlPlSM_SN_N2at6native12_GLOBAL__N_18offset_tEEE10hipError_tPvRmT1_PNSt15iterator_traitsISV_E10value_typeET2_T3_PNSW_IS11_E10value_typeET4_jRbjT5_S17_jjP12ihipStream_tbEUljE_EEESS_ST_SU_S11_S15_S17_T6_T7_T9_mT8_S19_bDpT10_ENKUlT_T0_E_clISt17integral_constantIbLb1EES1L_IbLb0EEEEDaS1H_S1I_EUlS1H_E_NS1_11comp_targetILNS1_3genE9ELNS1_11target_archE1100ELNS1_3gpuE3ELNS1_3repE0EEENS1_30default_config_static_selectorELNS0_4arch9wavefront6targetE0EEEvSV_.uses_flat_scratch, 0
	.set _ZN7rocprim17ROCPRIM_400000_NS6detail17trampoline_kernelINS0_13select_configILj256ELj13ELNS0_17block_load_methodE3ELS4_3ELS4_3ELNS0_20block_scan_algorithmE0ELj4294967295EEENS1_25partition_config_selectorILNS1_17partition_subalgoE3EjNS0_10empty_typeEbEEZZNS1_14partition_implILS8_3ELb0ES6_jNS0_17counting_iteratorIjlEEPS9_SE_NS0_5tupleIJPjSE_EEENSF_IJSE_SE_EEES9_SG_JZNS1_25segmented_radix_sort_implINS0_14default_configELb0EPKlPlSM_SN_N2at6native12_GLOBAL__N_18offset_tEEE10hipError_tPvRmT1_PNSt15iterator_traitsISV_E10value_typeET2_T3_PNSW_IS11_E10value_typeET4_jRbjT5_S17_jjP12ihipStream_tbEUljE_EEESS_ST_SU_S11_S15_S17_T6_T7_T9_mT8_S19_bDpT10_ENKUlT_T0_E_clISt17integral_constantIbLb1EES1L_IbLb0EEEEDaS1H_S1I_EUlS1H_E_NS1_11comp_targetILNS1_3genE9ELNS1_11target_archE1100ELNS1_3gpuE3ELNS1_3repE0EEENS1_30default_config_static_selectorELNS0_4arch9wavefront6targetE0EEEvSV_.has_dyn_sized_stack, 0
	.set _ZN7rocprim17ROCPRIM_400000_NS6detail17trampoline_kernelINS0_13select_configILj256ELj13ELNS0_17block_load_methodE3ELS4_3ELS4_3ELNS0_20block_scan_algorithmE0ELj4294967295EEENS1_25partition_config_selectorILNS1_17partition_subalgoE3EjNS0_10empty_typeEbEEZZNS1_14partition_implILS8_3ELb0ES6_jNS0_17counting_iteratorIjlEEPS9_SE_NS0_5tupleIJPjSE_EEENSF_IJSE_SE_EEES9_SG_JZNS1_25segmented_radix_sort_implINS0_14default_configELb0EPKlPlSM_SN_N2at6native12_GLOBAL__N_18offset_tEEE10hipError_tPvRmT1_PNSt15iterator_traitsISV_E10value_typeET2_T3_PNSW_IS11_E10value_typeET4_jRbjT5_S17_jjP12ihipStream_tbEUljE_EEESS_ST_SU_S11_S15_S17_T6_T7_T9_mT8_S19_bDpT10_ENKUlT_T0_E_clISt17integral_constantIbLb1EES1L_IbLb0EEEEDaS1H_S1I_EUlS1H_E_NS1_11comp_targetILNS1_3genE9ELNS1_11target_archE1100ELNS1_3gpuE3ELNS1_3repE0EEENS1_30default_config_static_selectorELNS0_4arch9wavefront6targetE0EEEvSV_.has_recursion, 0
	.set _ZN7rocprim17ROCPRIM_400000_NS6detail17trampoline_kernelINS0_13select_configILj256ELj13ELNS0_17block_load_methodE3ELS4_3ELS4_3ELNS0_20block_scan_algorithmE0ELj4294967295EEENS1_25partition_config_selectorILNS1_17partition_subalgoE3EjNS0_10empty_typeEbEEZZNS1_14partition_implILS8_3ELb0ES6_jNS0_17counting_iteratorIjlEEPS9_SE_NS0_5tupleIJPjSE_EEENSF_IJSE_SE_EEES9_SG_JZNS1_25segmented_radix_sort_implINS0_14default_configELb0EPKlPlSM_SN_N2at6native12_GLOBAL__N_18offset_tEEE10hipError_tPvRmT1_PNSt15iterator_traitsISV_E10value_typeET2_T3_PNSW_IS11_E10value_typeET4_jRbjT5_S17_jjP12ihipStream_tbEUljE_EEESS_ST_SU_S11_S15_S17_T6_T7_T9_mT8_S19_bDpT10_ENKUlT_T0_E_clISt17integral_constantIbLb1EES1L_IbLb0EEEEDaS1H_S1I_EUlS1H_E_NS1_11comp_targetILNS1_3genE9ELNS1_11target_archE1100ELNS1_3gpuE3ELNS1_3repE0EEENS1_30default_config_static_selectorELNS0_4arch9wavefront6targetE0EEEvSV_.has_indirect_call, 0
	.section	.AMDGPU.csdata,"",@progbits
; Kernel info:
; codeLenInByte = 0
; TotalNumSgprs: 0
; NumVgprs: 0
; ScratchSize: 0
; MemoryBound: 0
; FloatMode: 240
; IeeeMode: 1
; LDSByteSize: 0 bytes/workgroup (compile time only)
; SGPRBlocks: 0
; VGPRBlocks: 0
; NumSGPRsForWavesPerEU: 1
; NumVGPRsForWavesPerEU: 1
; Occupancy: 16
; WaveLimiterHint : 0
; COMPUTE_PGM_RSRC2:SCRATCH_EN: 0
; COMPUTE_PGM_RSRC2:USER_SGPR: 2
; COMPUTE_PGM_RSRC2:TRAP_HANDLER: 0
; COMPUTE_PGM_RSRC2:TGID_X_EN: 1
; COMPUTE_PGM_RSRC2:TGID_Y_EN: 0
; COMPUTE_PGM_RSRC2:TGID_Z_EN: 0
; COMPUTE_PGM_RSRC2:TIDIG_COMP_CNT: 0
	.section	.text._ZN7rocprim17ROCPRIM_400000_NS6detail17trampoline_kernelINS0_13select_configILj256ELj13ELNS0_17block_load_methodE3ELS4_3ELS4_3ELNS0_20block_scan_algorithmE0ELj4294967295EEENS1_25partition_config_selectorILNS1_17partition_subalgoE3EjNS0_10empty_typeEbEEZZNS1_14partition_implILS8_3ELb0ES6_jNS0_17counting_iteratorIjlEEPS9_SE_NS0_5tupleIJPjSE_EEENSF_IJSE_SE_EEES9_SG_JZNS1_25segmented_radix_sort_implINS0_14default_configELb0EPKlPlSM_SN_N2at6native12_GLOBAL__N_18offset_tEEE10hipError_tPvRmT1_PNSt15iterator_traitsISV_E10value_typeET2_T3_PNSW_IS11_E10value_typeET4_jRbjT5_S17_jjP12ihipStream_tbEUljE_EEESS_ST_SU_S11_S15_S17_T6_T7_T9_mT8_S19_bDpT10_ENKUlT_T0_E_clISt17integral_constantIbLb1EES1L_IbLb0EEEEDaS1H_S1I_EUlS1H_E_NS1_11comp_targetILNS1_3genE8ELNS1_11target_archE1030ELNS1_3gpuE2ELNS1_3repE0EEENS1_30default_config_static_selectorELNS0_4arch9wavefront6targetE0EEEvSV_,"axG",@progbits,_ZN7rocprim17ROCPRIM_400000_NS6detail17trampoline_kernelINS0_13select_configILj256ELj13ELNS0_17block_load_methodE3ELS4_3ELS4_3ELNS0_20block_scan_algorithmE0ELj4294967295EEENS1_25partition_config_selectorILNS1_17partition_subalgoE3EjNS0_10empty_typeEbEEZZNS1_14partition_implILS8_3ELb0ES6_jNS0_17counting_iteratorIjlEEPS9_SE_NS0_5tupleIJPjSE_EEENSF_IJSE_SE_EEES9_SG_JZNS1_25segmented_radix_sort_implINS0_14default_configELb0EPKlPlSM_SN_N2at6native12_GLOBAL__N_18offset_tEEE10hipError_tPvRmT1_PNSt15iterator_traitsISV_E10value_typeET2_T3_PNSW_IS11_E10value_typeET4_jRbjT5_S17_jjP12ihipStream_tbEUljE_EEESS_ST_SU_S11_S15_S17_T6_T7_T9_mT8_S19_bDpT10_ENKUlT_T0_E_clISt17integral_constantIbLb1EES1L_IbLb0EEEEDaS1H_S1I_EUlS1H_E_NS1_11comp_targetILNS1_3genE8ELNS1_11target_archE1030ELNS1_3gpuE2ELNS1_3repE0EEENS1_30default_config_static_selectorELNS0_4arch9wavefront6targetE0EEEvSV_,comdat
	.globl	_ZN7rocprim17ROCPRIM_400000_NS6detail17trampoline_kernelINS0_13select_configILj256ELj13ELNS0_17block_load_methodE3ELS4_3ELS4_3ELNS0_20block_scan_algorithmE0ELj4294967295EEENS1_25partition_config_selectorILNS1_17partition_subalgoE3EjNS0_10empty_typeEbEEZZNS1_14partition_implILS8_3ELb0ES6_jNS0_17counting_iteratorIjlEEPS9_SE_NS0_5tupleIJPjSE_EEENSF_IJSE_SE_EEES9_SG_JZNS1_25segmented_radix_sort_implINS0_14default_configELb0EPKlPlSM_SN_N2at6native12_GLOBAL__N_18offset_tEEE10hipError_tPvRmT1_PNSt15iterator_traitsISV_E10value_typeET2_T3_PNSW_IS11_E10value_typeET4_jRbjT5_S17_jjP12ihipStream_tbEUljE_EEESS_ST_SU_S11_S15_S17_T6_T7_T9_mT8_S19_bDpT10_ENKUlT_T0_E_clISt17integral_constantIbLb1EES1L_IbLb0EEEEDaS1H_S1I_EUlS1H_E_NS1_11comp_targetILNS1_3genE8ELNS1_11target_archE1030ELNS1_3gpuE2ELNS1_3repE0EEENS1_30default_config_static_selectorELNS0_4arch9wavefront6targetE0EEEvSV_ ; -- Begin function _ZN7rocprim17ROCPRIM_400000_NS6detail17trampoline_kernelINS0_13select_configILj256ELj13ELNS0_17block_load_methodE3ELS4_3ELS4_3ELNS0_20block_scan_algorithmE0ELj4294967295EEENS1_25partition_config_selectorILNS1_17partition_subalgoE3EjNS0_10empty_typeEbEEZZNS1_14partition_implILS8_3ELb0ES6_jNS0_17counting_iteratorIjlEEPS9_SE_NS0_5tupleIJPjSE_EEENSF_IJSE_SE_EEES9_SG_JZNS1_25segmented_radix_sort_implINS0_14default_configELb0EPKlPlSM_SN_N2at6native12_GLOBAL__N_18offset_tEEE10hipError_tPvRmT1_PNSt15iterator_traitsISV_E10value_typeET2_T3_PNSW_IS11_E10value_typeET4_jRbjT5_S17_jjP12ihipStream_tbEUljE_EEESS_ST_SU_S11_S15_S17_T6_T7_T9_mT8_S19_bDpT10_ENKUlT_T0_E_clISt17integral_constantIbLb1EES1L_IbLb0EEEEDaS1H_S1I_EUlS1H_E_NS1_11comp_targetILNS1_3genE8ELNS1_11target_archE1030ELNS1_3gpuE2ELNS1_3repE0EEENS1_30default_config_static_selectorELNS0_4arch9wavefront6targetE0EEEvSV_
	.p2align	8
	.type	_ZN7rocprim17ROCPRIM_400000_NS6detail17trampoline_kernelINS0_13select_configILj256ELj13ELNS0_17block_load_methodE3ELS4_3ELS4_3ELNS0_20block_scan_algorithmE0ELj4294967295EEENS1_25partition_config_selectorILNS1_17partition_subalgoE3EjNS0_10empty_typeEbEEZZNS1_14partition_implILS8_3ELb0ES6_jNS0_17counting_iteratorIjlEEPS9_SE_NS0_5tupleIJPjSE_EEENSF_IJSE_SE_EEES9_SG_JZNS1_25segmented_radix_sort_implINS0_14default_configELb0EPKlPlSM_SN_N2at6native12_GLOBAL__N_18offset_tEEE10hipError_tPvRmT1_PNSt15iterator_traitsISV_E10value_typeET2_T3_PNSW_IS11_E10value_typeET4_jRbjT5_S17_jjP12ihipStream_tbEUljE_EEESS_ST_SU_S11_S15_S17_T6_T7_T9_mT8_S19_bDpT10_ENKUlT_T0_E_clISt17integral_constantIbLb1EES1L_IbLb0EEEEDaS1H_S1I_EUlS1H_E_NS1_11comp_targetILNS1_3genE8ELNS1_11target_archE1030ELNS1_3gpuE2ELNS1_3repE0EEENS1_30default_config_static_selectorELNS0_4arch9wavefront6targetE0EEEvSV_,@function
_ZN7rocprim17ROCPRIM_400000_NS6detail17trampoline_kernelINS0_13select_configILj256ELj13ELNS0_17block_load_methodE3ELS4_3ELS4_3ELNS0_20block_scan_algorithmE0ELj4294967295EEENS1_25partition_config_selectorILNS1_17partition_subalgoE3EjNS0_10empty_typeEbEEZZNS1_14partition_implILS8_3ELb0ES6_jNS0_17counting_iteratorIjlEEPS9_SE_NS0_5tupleIJPjSE_EEENSF_IJSE_SE_EEES9_SG_JZNS1_25segmented_radix_sort_implINS0_14default_configELb0EPKlPlSM_SN_N2at6native12_GLOBAL__N_18offset_tEEE10hipError_tPvRmT1_PNSt15iterator_traitsISV_E10value_typeET2_T3_PNSW_IS11_E10value_typeET4_jRbjT5_S17_jjP12ihipStream_tbEUljE_EEESS_ST_SU_S11_S15_S17_T6_T7_T9_mT8_S19_bDpT10_ENKUlT_T0_E_clISt17integral_constantIbLb1EES1L_IbLb0EEEEDaS1H_S1I_EUlS1H_E_NS1_11comp_targetILNS1_3genE8ELNS1_11target_archE1030ELNS1_3gpuE2ELNS1_3repE0EEENS1_30default_config_static_selectorELNS0_4arch9wavefront6targetE0EEEvSV_: ; @_ZN7rocprim17ROCPRIM_400000_NS6detail17trampoline_kernelINS0_13select_configILj256ELj13ELNS0_17block_load_methodE3ELS4_3ELS4_3ELNS0_20block_scan_algorithmE0ELj4294967295EEENS1_25partition_config_selectorILNS1_17partition_subalgoE3EjNS0_10empty_typeEbEEZZNS1_14partition_implILS8_3ELb0ES6_jNS0_17counting_iteratorIjlEEPS9_SE_NS0_5tupleIJPjSE_EEENSF_IJSE_SE_EEES9_SG_JZNS1_25segmented_radix_sort_implINS0_14default_configELb0EPKlPlSM_SN_N2at6native12_GLOBAL__N_18offset_tEEE10hipError_tPvRmT1_PNSt15iterator_traitsISV_E10value_typeET2_T3_PNSW_IS11_E10value_typeET4_jRbjT5_S17_jjP12ihipStream_tbEUljE_EEESS_ST_SU_S11_S15_S17_T6_T7_T9_mT8_S19_bDpT10_ENKUlT_T0_E_clISt17integral_constantIbLb1EES1L_IbLb0EEEEDaS1H_S1I_EUlS1H_E_NS1_11comp_targetILNS1_3genE8ELNS1_11target_archE1030ELNS1_3gpuE2ELNS1_3repE0EEENS1_30default_config_static_selectorELNS0_4arch9wavefront6targetE0EEEvSV_
; %bb.0:
	.section	.rodata,"a",@progbits
	.p2align	6, 0x0
	.amdhsa_kernel _ZN7rocprim17ROCPRIM_400000_NS6detail17trampoline_kernelINS0_13select_configILj256ELj13ELNS0_17block_load_methodE3ELS4_3ELS4_3ELNS0_20block_scan_algorithmE0ELj4294967295EEENS1_25partition_config_selectorILNS1_17partition_subalgoE3EjNS0_10empty_typeEbEEZZNS1_14partition_implILS8_3ELb0ES6_jNS0_17counting_iteratorIjlEEPS9_SE_NS0_5tupleIJPjSE_EEENSF_IJSE_SE_EEES9_SG_JZNS1_25segmented_radix_sort_implINS0_14default_configELb0EPKlPlSM_SN_N2at6native12_GLOBAL__N_18offset_tEEE10hipError_tPvRmT1_PNSt15iterator_traitsISV_E10value_typeET2_T3_PNSW_IS11_E10value_typeET4_jRbjT5_S17_jjP12ihipStream_tbEUljE_EEESS_ST_SU_S11_S15_S17_T6_T7_T9_mT8_S19_bDpT10_ENKUlT_T0_E_clISt17integral_constantIbLb1EES1L_IbLb0EEEEDaS1H_S1I_EUlS1H_E_NS1_11comp_targetILNS1_3genE8ELNS1_11target_archE1030ELNS1_3gpuE2ELNS1_3repE0EEENS1_30default_config_static_selectorELNS0_4arch9wavefront6targetE0EEEvSV_
		.amdhsa_group_segment_fixed_size 0
		.amdhsa_private_segment_fixed_size 0
		.amdhsa_kernarg_size 144
		.amdhsa_user_sgpr_count 2
		.amdhsa_user_sgpr_dispatch_ptr 0
		.amdhsa_user_sgpr_queue_ptr 0
		.amdhsa_user_sgpr_kernarg_segment_ptr 1
		.amdhsa_user_sgpr_dispatch_id 0
		.amdhsa_user_sgpr_private_segment_size 0
		.amdhsa_wavefront_size32 1
		.amdhsa_uses_dynamic_stack 0
		.amdhsa_enable_private_segment 0
		.amdhsa_system_sgpr_workgroup_id_x 1
		.amdhsa_system_sgpr_workgroup_id_y 0
		.amdhsa_system_sgpr_workgroup_id_z 0
		.amdhsa_system_sgpr_workgroup_info 0
		.amdhsa_system_vgpr_workitem_id 0
		.amdhsa_next_free_vgpr 1
		.amdhsa_next_free_sgpr 1
		.amdhsa_reserve_vcc 0
		.amdhsa_float_round_mode_32 0
		.amdhsa_float_round_mode_16_64 0
		.amdhsa_float_denorm_mode_32 3
		.amdhsa_float_denorm_mode_16_64 3
		.amdhsa_fp16_overflow 0
		.amdhsa_workgroup_processor_mode 1
		.amdhsa_memory_ordered 1
		.amdhsa_forward_progress 1
		.amdhsa_inst_pref_size 0
		.amdhsa_round_robin_scheduling 0
		.amdhsa_exception_fp_ieee_invalid_op 0
		.amdhsa_exception_fp_denorm_src 0
		.amdhsa_exception_fp_ieee_div_zero 0
		.amdhsa_exception_fp_ieee_overflow 0
		.amdhsa_exception_fp_ieee_underflow 0
		.amdhsa_exception_fp_ieee_inexact 0
		.amdhsa_exception_int_div_zero 0
	.end_amdhsa_kernel
	.section	.text._ZN7rocprim17ROCPRIM_400000_NS6detail17trampoline_kernelINS0_13select_configILj256ELj13ELNS0_17block_load_methodE3ELS4_3ELS4_3ELNS0_20block_scan_algorithmE0ELj4294967295EEENS1_25partition_config_selectorILNS1_17partition_subalgoE3EjNS0_10empty_typeEbEEZZNS1_14partition_implILS8_3ELb0ES6_jNS0_17counting_iteratorIjlEEPS9_SE_NS0_5tupleIJPjSE_EEENSF_IJSE_SE_EEES9_SG_JZNS1_25segmented_radix_sort_implINS0_14default_configELb0EPKlPlSM_SN_N2at6native12_GLOBAL__N_18offset_tEEE10hipError_tPvRmT1_PNSt15iterator_traitsISV_E10value_typeET2_T3_PNSW_IS11_E10value_typeET4_jRbjT5_S17_jjP12ihipStream_tbEUljE_EEESS_ST_SU_S11_S15_S17_T6_T7_T9_mT8_S19_bDpT10_ENKUlT_T0_E_clISt17integral_constantIbLb1EES1L_IbLb0EEEEDaS1H_S1I_EUlS1H_E_NS1_11comp_targetILNS1_3genE8ELNS1_11target_archE1030ELNS1_3gpuE2ELNS1_3repE0EEENS1_30default_config_static_selectorELNS0_4arch9wavefront6targetE0EEEvSV_,"axG",@progbits,_ZN7rocprim17ROCPRIM_400000_NS6detail17trampoline_kernelINS0_13select_configILj256ELj13ELNS0_17block_load_methodE3ELS4_3ELS4_3ELNS0_20block_scan_algorithmE0ELj4294967295EEENS1_25partition_config_selectorILNS1_17partition_subalgoE3EjNS0_10empty_typeEbEEZZNS1_14partition_implILS8_3ELb0ES6_jNS0_17counting_iteratorIjlEEPS9_SE_NS0_5tupleIJPjSE_EEENSF_IJSE_SE_EEES9_SG_JZNS1_25segmented_radix_sort_implINS0_14default_configELb0EPKlPlSM_SN_N2at6native12_GLOBAL__N_18offset_tEEE10hipError_tPvRmT1_PNSt15iterator_traitsISV_E10value_typeET2_T3_PNSW_IS11_E10value_typeET4_jRbjT5_S17_jjP12ihipStream_tbEUljE_EEESS_ST_SU_S11_S15_S17_T6_T7_T9_mT8_S19_bDpT10_ENKUlT_T0_E_clISt17integral_constantIbLb1EES1L_IbLb0EEEEDaS1H_S1I_EUlS1H_E_NS1_11comp_targetILNS1_3genE8ELNS1_11target_archE1030ELNS1_3gpuE2ELNS1_3repE0EEENS1_30default_config_static_selectorELNS0_4arch9wavefront6targetE0EEEvSV_,comdat
.Lfunc_end798:
	.size	_ZN7rocprim17ROCPRIM_400000_NS6detail17trampoline_kernelINS0_13select_configILj256ELj13ELNS0_17block_load_methodE3ELS4_3ELS4_3ELNS0_20block_scan_algorithmE0ELj4294967295EEENS1_25partition_config_selectorILNS1_17partition_subalgoE3EjNS0_10empty_typeEbEEZZNS1_14partition_implILS8_3ELb0ES6_jNS0_17counting_iteratorIjlEEPS9_SE_NS0_5tupleIJPjSE_EEENSF_IJSE_SE_EEES9_SG_JZNS1_25segmented_radix_sort_implINS0_14default_configELb0EPKlPlSM_SN_N2at6native12_GLOBAL__N_18offset_tEEE10hipError_tPvRmT1_PNSt15iterator_traitsISV_E10value_typeET2_T3_PNSW_IS11_E10value_typeET4_jRbjT5_S17_jjP12ihipStream_tbEUljE_EEESS_ST_SU_S11_S15_S17_T6_T7_T9_mT8_S19_bDpT10_ENKUlT_T0_E_clISt17integral_constantIbLb1EES1L_IbLb0EEEEDaS1H_S1I_EUlS1H_E_NS1_11comp_targetILNS1_3genE8ELNS1_11target_archE1030ELNS1_3gpuE2ELNS1_3repE0EEENS1_30default_config_static_selectorELNS0_4arch9wavefront6targetE0EEEvSV_, .Lfunc_end798-_ZN7rocprim17ROCPRIM_400000_NS6detail17trampoline_kernelINS0_13select_configILj256ELj13ELNS0_17block_load_methodE3ELS4_3ELS4_3ELNS0_20block_scan_algorithmE0ELj4294967295EEENS1_25partition_config_selectorILNS1_17partition_subalgoE3EjNS0_10empty_typeEbEEZZNS1_14partition_implILS8_3ELb0ES6_jNS0_17counting_iteratorIjlEEPS9_SE_NS0_5tupleIJPjSE_EEENSF_IJSE_SE_EEES9_SG_JZNS1_25segmented_radix_sort_implINS0_14default_configELb0EPKlPlSM_SN_N2at6native12_GLOBAL__N_18offset_tEEE10hipError_tPvRmT1_PNSt15iterator_traitsISV_E10value_typeET2_T3_PNSW_IS11_E10value_typeET4_jRbjT5_S17_jjP12ihipStream_tbEUljE_EEESS_ST_SU_S11_S15_S17_T6_T7_T9_mT8_S19_bDpT10_ENKUlT_T0_E_clISt17integral_constantIbLb1EES1L_IbLb0EEEEDaS1H_S1I_EUlS1H_E_NS1_11comp_targetILNS1_3genE8ELNS1_11target_archE1030ELNS1_3gpuE2ELNS1_3repE0EEENS1_30default_config_static_selectorELNS0_4arch9wavefront6targetE0EEEvSV_
                                        ; -- End function
	.set _ZN7rocprim17ROCPRIM_400000_NS6detail17trampoline_kernelINS0_13select_configILj256ELj13ELNS0_17block_load_methodE3ELS4_3ELS4_3ELNS0_20block_scan_algorithmE0ELj4294967295EEENS1_25partition_config_selectorILNS1_17partition_subalgoE3EjNS0_10empty_typeEbEEZZNS1_14partition_implILS8_3ELb0ES6_jNS0_17counting_iteratorIjlEEPS9_SE_NS0_5tupleIJPjSE_EEENSF_IJSE_SE_EEES9_SG_JZNS1_25segmented_radix_sort_implINS0_14default_configELb0EPKlPlSM_SN_N2at6native12_GLOBAL__N_18offset_tEEE10hipError_tPvRmT1_PNSt15iterator_traitsISV_E10value_typeET2_T3_PNSW_IS11_E10value_typeET4_jRbjT5_S17_jjP12ihipStream_tbEUljE_EEESS_ST_SU_S11_S15_S17_T6_T7_T9_mT8_S19_bDpT10_ENKUlT_T0_E_clISt17integral_constantIbLb1EES1L_IbLb0EEEEDaS1H_S1I_EUlS1H_E_NS1_11comp_targetILNS1_3genE8ELNS1_11target_archE1030ELNS1_3gpuE2ELNS1_3repE0EEENS1_30default_config_static_selectorELNS0_4arch9wavefront6targetE0EEEvSV_.num_vgpr, 0
	.set _ZN7rocprim17ROCPRIM_400000_NS6detail17trampoline_kernelINS0_13select_configILj256ELj13ELNS0_17block_load_methodE3ELS4_3ELS4_3ELNS0_20block_scan_algorithmE0ELj4294967295EEENS1_25partition_config_selectorILNS1_17partition_subalgoE3EjNS0_10empty_typeEbEEZZNS1_14partition_implILS8_3ELb0ES6_jNS0_17counting_iteratorIjlEEPS9_SE_NS0_5tupleIJPjSE_EEENSF_IJSE_SE_EEES9_SG_JZNS1_25segmented_radix_sort_implINS0_14default_configELb0EPKlPlSM_SN_N2at6native12_GLOBAL__N_18offset_tEEE10hipError_tPvRmT1_PNSt15iterator_traitsISV_E10value_typeET2_T3_PNSW_IS11_E10value_typeET4_jRbjT5_S17_jjP12ihipStream_tbEUljE_EEESS_ST_SU_S11_S15_S17_T6_T7_T9_mT8_S19_bDpT10_ENKUlT_T0_E_clISt17integral_constantIbLb1EES1L_IbLb0EEEEDaS1H_S1I_EUlS1H_E_NS1_11comp_targetILNS1_3genE8ELNS1_11target_archE1030ELNS1_3gpuE2ELNS1_3repE0EEENS1_30default_config_static_selectorELNS0_4arch9wavefront6targetE0EEEvSV_.num_agpr, 0
	.set _ZN7rocprim17ROCPRIM_400000_NS6detail17trampoline_kernelINS0_13select_configILj256ELj13ELNS0_17block_load_methodE3ELS4_3ELS4_3ELNS0_20block_scan_algorithmE0ELj4294967295EEENS1_25partition_config_selectorILNS1_17partition_subalgoE3EjNS0_10empty_typeEbEEZZNS1_14partition_implILS8_3ELb0ES6_jNS0_17counting_iteratorIjlEEPS9_SE_NS0_5tupleIJPjSE_EEENSF_IJSE_SE_EEES9_SG_JZNS1_25segmented_radix_sort_implINS0_14default_configELb0EPKlPlSM_SN_N2at6native12_GLOBAL__N_18offset_tEEE10hipError_tPvRmT1_PNSt15iterator_traitsISV_E10value_typeET2_T3_PNSW_IS11_E10value_typeET4_jRbjT5_S17_jjP12ihipStream_tbEUljE_EEESS_ST_SU_S11_S15_S17_T6_T7_T9_mT8_S19_bDpT10_ENKUlT_T0_E_clISt17integral_constantIbLb1EES1L_IbLb0EEEEDaS1H_S1I_EUlS1H_E_NS1_11comp_targetILNS1_3genE8ELNS1_11target_archE1030ELNS1_3gpuE2ELNS1_3repE0EEENS1_30default_config_static_selectorELNS0_4arch9wavefront6targetE0EEEvSV_.numbered_sgpr, 0
	.set _ZN7rocprim17ROCPRIM_400000_NS6detail17trampoline_kernelINS0_13select_configILj256ELj13ELNS0_17block_load_methodE3ELS4_3ELS4_3ELNS0_20block_scan_algorithmE0ELj4294967295EEENS1_25partition_config_selectorILNS1_17partition_subalgoE3EjNS0_10empty_typeEbEEZZNS1_14partition_implILS8_3ELb0ES6_jNS0_17counting_iteratorIjlEEPS9_SE_NS0_5tupleIJPjSE_EEENSF_IJSE_SE_EEES9_SG_JZNS1_25segmented_radix_sort_implINS0_14default_configELb0EPKlPlSM_SN_N2at6native12_GLOBAL__N_18offset_tEEE10hipError_tPvRmT1_PNSt15iterator_traitsISV_E10value_typeET2_T3_PNSW_IS11_E10value_typeET4_jRbjT5_S17_jjP12ihipStream_tbEUljE_EEESS_ST_SU_S11_S15_S17_T6_T7_T9_mT8_S19_bDpT10_ENKUlT_T0_E_clISt17integral_constantIbLb1EES1L_IbLb0EEEEDaS1H_S1I_EUlS1H_E_NS1_11comp_targetILNS1_3genE8ELNS1_11target_archE1030ELNS1_3gpuE2ELNS1_3repE0EEENS1_30default_config_static_selectorELNS0_4arch9wavefront6targetE0EEEvSV_.num_named_barrier, 0
	.set _ZN7rocprim17ROCPRIM_400000_NS6detail17trampoline_kernelINS0_13select_configILj256ELj13ELNS0_17block_load_methodE3ELS4_3ELS4_3ELNS0_20block_scan_algorithmE0ELj4294967295EEENS1_25partition_config_selectorILNS1_17partition_subalgoE3EjNS0_10empty_typeEbEEZZNS1_14partition_implILS8_3ELb0ES6_jNS0_17counting_iteratorIjlEEPS9_SE_NS0_5tupleIJPjSE_EEENSF_IJSE_SE_EEES9_SG_JZNS1_25segmented_radix_sort_implINS0_14default_configELb0EPKlPlSM_SN_N2at6native12_GLOBAL__N_18offset_tEEE10hipError_tPvRmT1_PNSt15iterator_traitsISV_E10value_typeET2_T3_PNSW_IS11_E10value_typeET4_jRbjT5_S17_jjP12ihipStream_tbEUljE_EEESS_ST_SU_S11_S15_S17_T6_T7_T9_mT8_S19_bDpT10_ENKUlT_T0_E_clISt17integral_constantIbLb1EES1L_IbLb0EEEEDaS1H_S1I_EUlS1H_E_NS1_11comp_targetILNS1_3genE8ELNS1_11target_archE1030ELNS1_3gpuE2ELNS1_3repE0EEENS1_30default_config_static_selectorELNS0_4arch9wavefront6targetE0EEEvSV_.private_seg_size, 0
	.set _ZN7rocprim17ROCPRIM_400000_NS6detail17trampoline_kernelINS0_13select_configILj256ELj13ELNS0_17block_load_methodE3ELS4_3ELS4_3ELNS0_20block_scan_algorithmE0ELj4294967295EEENS1_25partition_config_selectorILNS1_17partition_subalgoE3EjNS0_10empty_typeEbEEZZNS1_14partition_implILS8_3ELb0ES6_jNS0_17counting_iteratorIjlEEPS9_SE_NS0_5tupleIJPjSE_EEENSF_IJSE_SE_EEES9_SG_JZNS1_25segmented_radix_sort_implINS0_14default_configELb0EPKlPlSM_SN_N2at6native12_GLOBAL__N_18offset_tEEE10hipError_tPvRmT1_PNSt15iterator_traitsISV_E10value_typeET2_T3_PNSW_IS11_E10value_typeET4_jRbjT5_S17_jjP12ihipStream_tbEUljE_EEESS_ST_SU_S11_S15_S17_T6_T7_T9_mT8_S19_bDpT10_ENKUlT_T0_E_clISt17integral_constantIbLb1EES1L_IbLb0EEEEDaS1H_S1I_EUlS1H_E_NS1_11comp_targetILNS1_3genE8ELNS1_11target_archE1030ELNS1_3gpuE2ELNS1_3repE0EEENS1_30default_config_static_selectorELNS0_4arch9wavefront6targetE0EEEvSV_.uses_vcc, 0
	.set _ZN7rocprim17ROCPRIM_400000_NS6detail17trampoline_kernelINS0_13select_configILj256ELj13ELNS0_17block_load_methodE3ELS4_3ELS4_3ELNS0_20block_scan_algorithmE0ELj4294967295EEENS1_25partition_config_selectorILNS1_17partition_subalgoE3EjNS0_10empty_typeEbEEZZNS1_14partition_implILS8_3ELb0ES6_jNS0_17counting_iteratorIjlEEPS9_SE_NS0_5tupleIJPjSE_EEENSF_IJSE_SE_EEES9_SG_JZNS1_25segmented_radix_sort_implINS0_14default_configELb0EPKlPlSM_SN_N2at6native12_GLOBAL__N_18offset_tEEE10hipError_tPvRmT1_PNSt15iterator_traitsISV_E10value_typeET2_T3_PNSW_IS11_E10value_typeET4_jRbjT5_S17_jjP12ihipStream_tbEUljE_EEESS_ST_SU_S11_S15_S17_T6_T7_T9_mT8_S19_bDpT10_ENKUlT_T0_E_clISt17integral_constantIbLb1EES1L_IbLb0EEEEDaS1H_S1I_EUlS1H_E_NS1_11comp_targetILNS1_3genE8ELNS1_11target_archE1030ELNS1_3gpuE2ELNS1_3repE0EEENS1_30default_config_static_selectorELNS0_4arch9wavefront6targetE0EEEvSV_.uses_flat_scratch, 0
	.set _ZN7rocprim17ROCPRIM_400000_NS6detail17trampoline_kernelINS0_13select_configILj256ELj13ELNS0_17block_load_methodE3ELS4_3ELS4_3ELNS0_20block_scan_algorithmE0ELj4294967295EEENS1_25partition_config_selectorILNS1_17partition_subalgoE3EjNS0_10empty_typeEbEEZZNS1_14partition_implILS8_3ELb0ES6_jNS0_17counting_iteratorIjlEEPS9_SE_NS0_5tupleIJPjSE_EEENSF_IJSE_SE_EEES9_SG_JZNS1_25segmented_radix_sort_implINS0_14default_configELb0EPKlPlSM_SN_N2at6native12_GLOBAL__N_18offset_tEEE10hipError_tPvRmT1_PNSt15iterator_traitsISV_E10value_typeET2_T3_PNSW_IS11_E10value_typeET4_jRbjT5_S17_jjP12ihipStream_tbEUljE_EEESS_ST_SU_S11_S15_S17_T6_T7_T9_mT8_S19_bDpT10_ENKUlT_T0_E_clISt17integral_constantIbLb1EES1L_IbLb0EEEEDaS1H_S1I_EUlS1H_E_NS1_11comp_targetILNS1_3genE8ELNS1_11target_archE1030ELNS1_3gpuE2ELNS1_3repE0EEENS1_30default_config_static_selectorELNS0_4arch9wavefront6targetE0EEEvSV_.has_dyn_sized_stack, 0
	.set _ZN7rocprim17ROCPRIM_400000_NS6detail17trampoline_kernelINS0_13select_configILj256ELj13ELNS0_17block_load_methodE3ELS4_3ELS4_3ELNS0_20block_scan_algorithmE0ELj4294967295EEENS1_25partition_config_selectorILNS1_17partition_subalgoE3EjNS0_10empty_typeEbEEZZNS1_14partition_implILS8_3ELb0ES6_jNS0_17counting_iteratorIjlEEPS9_SE_NS0_5tupleIJPjSE_EEENSF_IJSE_SE_EEES9_SG_JZNS1_25segmented_radix_sort_implINS0_14default_configELb0EPKlPlSM_SN_N2at6native12_GLOBAL__N_18offset_tEEE10hipError_tPvRmT1_PNSt15iterator_traitsISV_E10value_typeET2_T3_PNSW_IS11_E10value_typeET4_jRbjT5_S17_jjP12ihipStream_tbEUljE_EEESS_ST_SU_S11_S15_S17_T6_T7_T9_mT8_S19_bDpT10_ENKUlT_T0_E_clISt17integral_constantIbLb1EES1L_IbLb0EEEEDaS1H_S1I_EUlS1H_E_NS1_11comp_targetILNS1_3genE8ELNS1_11target_archE1030ELNS1_3gpuE2ELNS1_3repE0EEENS1_30default_config_static_selectorELNS0_4arch9wavefront6targetE0EEEvSV_.has_recursion, 0
	.set _ZN7rocprim17ROCPRIM_400000_NS6detail17trampoline_kernelINS0_13select_configILj256ELj13ELNS0_17block_load_methodE3ELS4_3ELS4_3ELNS0_20block_scan_algorithmE0ELj4294967295EEENS1_25partition_config_selectorILNS1_17partition_subalgoE3EjNS0_10empty_typeEbEEZZNS1_14partition_implILS8_3ELb0ES6_jNS0_17counting_iteratorIjlEEPS9_SE_NS0_5tupleIJPjSE_EEENSF_IJSE_SE_EEES9_SG_JZNS1_25segmented_radix_sort_implINS0_14default_configELb0EPKlPlSM_SN_N2at6native12_GLOBAL__N_18offset_tEEE10hipError_tPvRmT1_PNSt15iterator_traitsISV_E10value_typeET2_T3_PNSW_IS11_E10value_typeET4_jRbjT5_S17_jjP12ihipStream_tbEUljE_EEESS_ST_SU_S11_S15_S17_T6_T7_T9_mT8_S19_bDpT10_ENKUlT_T0_E_clISt17integral_constantIbLb1EES1L_IbLb0EEEEDaS1H_S1I_EUlS1H_E_NS1_11comp_targetILNS1_3genE8ELNS1_11target_archE1030ELNS1_3gpuE2ELNS1_3repE0EEENS1_30default_config_static_selectorELNS0_4arch9wavefront6targetE0EEEvSV_.has_indirect_call, 0
	.section	.AMDGPU.csdata,"",@progbits
; Kernel info:
; codeLenInByte = 0
; TotalNumSgprs: 0
; NumVgprs: 0
; ScratchSize: 0
; MemoryBound: 0
; FloatMode: 240
; IeeeMode: 1
; LDSByteSize: 0 bytes/workgroup (compile time only)
; SGPRBlocks: 0
; VGPRBlocks: 0
; NumSGPRsForWavesPerEU: 1
; NumVGPRsForWavesPerEU: 1
; Occupancy: 16
; WaveLimiterHint : 0
; COMPUTE_PGM_RSRC2:SCRATCH_EN: 0
; COMPUTE_PGM_RSRC2:USER_SGPR: 2
; COMPUTE_PGM_RSRC2:TRAP_HANDLER: 0
; COMPUTE_PGM_RSRC2:TGID_X_EN: 1
; COMPUTE_PGM_RSRC2:TGID_Y_EN: 0
; COMPUTE_PGM_RSRC2:TGID_Z_EN: 0
; COMPUTE_PGM_RSRC2:TIDIG_COMP_CNT: 0
	.section	.text._ZN7rocprim17ROCPRIM_400000_NS6detail17trampoline_kernelINS0_13select_configILj256ELj13ELNS0_17block_load_methodE3ELS4_3ELS4_3ELNS0_20block_scan_algorithmE0ELj4294967295EEENS1_25partition_config_selectorILNS1_17partition_subalgoE3EjNS0_10empty_typeEbEEZZNS1_14partition_implILS8_3ELb0ES6_jNS0_17counting_iteratorIjlEEPS9_SE_NS0_5tupleIJPjSE_EEENSF_IJSE_SE_EEES9_SG_JZNS1_25segmented_radix_sort_implINS0_14default_configELb0EPKlPlSM_SN_N2at6native12_GLOBAL__N_18offset_tEEE10hipError_tPvRmT1_PNSt15iterator_traitsISV_E10value_typeET2_T3_PNSW_IS11_E10value_typeET4_jRbjT5_S17_jjP12ihipStream_tbEUljE_EEESS_ST_SU_S11_S15_S17_T6_T7_T9_mT8_S19_bDpT10_ENKUlT_T0_E_clISt17integral_constantIbLb0EES1L_IbLb1EEEEDaS1H_S1I_EUlS1H_E_NS1_11comp_targetILNS1_3genE0ELNS1_11target_archE4294967295ELNS1_3gpuE0ELNS1_3repE0EEENS1_30default_config_static_selectorELNS0_4arch9wavefront6targetE0EEEvSV_,"axG",@progbits,_ZN7rocprim17ROCPRIM_400000_NS6detail17trampoline_kernelINS0_13select_configILj256ELj13ELNS0_17block_load_methodE3ELS4_3ELS4_3ELNS0_20block_scan_algorithmE0ELj4294967295EEENS1_25partition_config_selectorILNS1_17partition_subalgoE3EjNS0_10empty_typeEbEEZZNS1_14partition_implILS8_3ELb0ES6_jNS0_17counting_iteratorIjlEEPS9_SE_NS0_5tupleIJPjSE_EEENSF_IJSE_SE_EEES9_SG_JZNS1_25segmented_radix_sort_implINS0_14default_configELb0EPKlPlSM_SN_N2at6native12_GLOBAL__N_18offset_tEEE10hipError_tPvRmT1_PNSt15iterator_traitsISV_E10value_typeET2_T3_PNSW_IS11_E10value_typeET4_jRbjT5_S17_jjP12ihipStream_tbEUljE_EEESS_ST_SU_S11_S15_S17_T6_T7_T9_mT8_S19_bDpT10_ENKUlT_T0_E_clISt17integral_constantIbLb0EES1L_IbLb1EEEEDaS1H_S1I_EUlS1H_E_NS1_11comp_targetILNS1_3genE0ELNS1_11target_archE4294967295ELNS1_3gpuE0ELNS1_3repE0EEENS1_30default_config_static_selectorELNS0_4arch9wavefront6targetE0EEEvSV_,comdat
	.globl	_ZN7rocprim17ROCPRIM_400000_NS6detail17trampoline_kernelINS0_13select_configILj256ELj13ELNS0_17block_load_methodE3ELS4_3ELS4_3ELNS0_20block_scan_algorithmE0ELj4294967295EEENS1_25partition_config_selectorILNS1_17partition_subalgoE3EjNS0_10empty_typeEbEEZZNS1_14partition_implILS8_3ELb0ES6_jNS0_17counting_iteratorIjlEEPS9_SE_NS0_5tupleIJPjSE_EEENSF_IJSE_SE_EEES9_SG_JZNS1_25segmented_radix_sort_implINS0_14default_configELb0EPKlPlSM_SN_N2at6native12_GLOBAL__N_18offset_tEEE10hipError_tPvRmT1_PNSt15iterator_traitsISV_E10value_typeET2_T3_PNSW_IS11_E10value_typeET4_jRbjT5_S17_jjP12ihipStream_tbEUljE_EEESS_ST_SU_S11_S15_S17_T6_T7_T9_mT8_S19_bDpT10_ENKUlT_T0_E_clISt17integral_constantIbLb0EES1L_IbLb1EEEEDaS1H_S1I_EUlS1H_E_NS1_11comp_targetILNS1_3genE0ELNS1_11target_archE4294967295ELNS1_3gpuE0ELNS1_3repE0EEENS1_30default_config_static_selectorELNS0_4arch9wavefront6targetE0EEEvSV_ ; -- Begin function _ZN7rocprim17ROCPRIM_400000_NS6detail17trampoline_kernelINS0_13select_configILj256ELj13ELNS0_17block_load_methodE3ELS4_3ELS4_3ELNS0_20block_scan_algorithmE0ELj4294967295EEENS1_25partition_config_selectorILNS1_17partition_subalgoE3EjNS0_10empty_typeEbEEZZNS1_14partition_implILS8_3ELb0ES6_jNS0_17counting_iteratorIjlEEPS9_SE_NS0_5tupleIJPjSE_EEENSF_IJSE_SE_EEES9_SG_JZNS1_25segmented_radix_sort_implINS0_14default_configELb0EPKlPlSM_SN_N2at6native12_GLOBAL__N_18offset_tEEE10hipError_tPvRmT1_PNSt15iterator_traitsISV_E10value_typeET2_T3_PNSW_IS11_E10value_typeET4_jRbjT5_S17_jjP12ihipStream_tbEUljE_EEESS_ST_SU_S11_S15_S17_T6_T7_T9_mT8_S19_bDpT10_ENKUlT_T0_E_clISt17integral_constantIbLb0EES1L_IbLb1EEEEDaS1H_S1I_EUlS1H_E_NS1_11comp_targetILNS1_3genE0ELNS1_11target_archE4294967295ELNS1_3gpuE0ELNS1_3repE0EEENS1_30default_config_static_selectorELNS0_4arch9wavefront6targetE0EEEvSV_
	.p2align	8
	.type	_ZN7rocprim17ROCPRIM_400000_NS6detail17trampoline_kernelINS0_13select_configILj256ELj13ELNS0_17block_load_methodE3ELS4_3ELS4_3ELNS0_20block_scan_algorithmE0ELj4294967295EEENS1_25partition_config_selectorILNS1_17partition_subalgoE3EjNS0_10empty_typeEbEEZZNS1_14partition_implILS8_3ELb0ES6_jNS0_17counting_iteratorIjlEEPS9_SE_NS0_5tupleIJPjSE_EEENSF_IJSE_SE_EEES9_SG_JZNS1_25segmented_radix_sort_implINS0_14default_configELb0EPKlPlSM_SN_N2at6native12_GLOBAL__N_18offset_tEEE10hipError_tPvRmT1_PNSt15iterator_traitsISV_E10value_typeET2_T3_PNSW_IS11_E10value_typeET4_jRbjT5_S17_jjP12ihipStream_tbEUljE_EEESS_ST_SU_S11_S15_S17_T6_T7_T9_mT8_S19_bDpT10_ENKUlT_T0_E_clISt17integral_constantIbLb0EES1L_IbLb1EEEEDaS1H_S1I_EUlS1H_E_NS1_11comp_targetILNS1_3genE0ELNS1_11target_archE4294967295ELNS1_3gpuE0ELNS1_3repE0EEENS1_30default_config_static_selectorELNS0_4arch9wavefront6targetE0EEEvSV_,@function
_ZN7rocprim17ROCPRIM_400000_NS6detail17trampoline_kernelINS0_13select_configILj256ELj13ELNS0_17block_load_methodE3ELS4_3ELS4_3ELNS0_20block_scan_algorithmE0ELj4294967295EEENS1_25partition_config_selectorILNS1_17partition_subalgoE3EjNS0_10empty_typeEbEEZZNS1_14partition_implILS8_3ELb0ES6_jNS0_17counting_iteratorIjlEEPS9_SE_NS0_5tupleIJPjSE_EEENSF_IJSE_SE_EEES9_SG_JZNS1_25segmented_radix_sort_implINS0_14default_configELb0EPKlPlSM_SN_N2at6native12_GLOBAL__N_18offset_tEEE10hipError_tPvRmT1_PNSt15iterator_traitsISV_E10value_typeET2_T3_PNSW_IS11_E10value_typeET4_jRbjT5_S17_jjP12ihipStream_tbEUljE_EEESS_ST_SU_S11_S15_S17_T6_T7_T9_mT8_S19_bDpT10_ENKUlT_T0_E_clISt17integral_constantIbLb0EES1L_IbLb1EEEEDaS1H_S1I_EUlS1H_E_NS1_11comp_targetILNS1_3genE0ELNS1_11target_archE4294967295ELNS1_3gpuE0ELNS1_3repE0EEENS1_30default_config_static_selectorELNS0_4arch9wavefront6targetE0EEEvSV_: ; @_ZN7rocprim17ROCPRIM_400000_NS6detail17trampoline_kernelINS0_13select_configILj256ELj13ELNS0_17block_load_methodE3ELS4_3ELS4_3ELNS0_20block_scan_algorithmE0ELj4294967295EEENS1_25partition_config_selectorILNS1_17partition_subalgoE3EjNS0_10empty_typeEbEEZZNS1_14partition_implILS8_3ELb0ES6_jNS0_17counting_iteratorIjlEEPS9_SE_NS0_5tupleIJPjSE_EEENSF_IJSE_SE_EEES9_SG_JZNS1_25segmented_radix_sort_implINS0_14default_configELb0EPKlPlSM_SN_N2at6native12_GLOBAL__N_18offset_tEEE10hipError_tPvRmT1_PNSt15iterator_traitsISV_E10value_typeET2_T3_PNSW_IS11_E10value_typeET4_jRbjT5_S17_jjP12ihipStream_tbEUljE_EEESS_ST_SU_S11_S15_S17_T6_T7_T9_mT8_S19_bDpT10_ENKUlT_T0_E_clISt17integral_constantIbLb0EES1L_IbLb1EEEEDaS1H_S1I_EUlS1H_E_NS1_11comp_targetILNS1_3genE0ELNS1_11target_archE4294967295ELNS1_3gpuE0ELNS1_3repE0EEENS1_30default_config_static_selectorELNS0_4arch9wavefront6targetE0EEEvSV_
; %bb.0:
	.section	.rodata,"a",@progbits
	.p2align	6, 0x0
	.amdhsa_kernel _ZN7rocprim17ROCPRIM_400000_NS6detail17trampoline_kernelINS0_13select_configILj256ELj13ELNS0_17block_load_methodE3ELS4_3ELS4_3ELNS0_20block_scan_algorithmE0ELj4294967295EEENS1_25partition_config_selectorILNS1_17partition_subalgoE3EjNS0_10empty_typeEbEEZZNS1_14partition_implILS8_3ELb0ES6_jNS0_17counting_iteratorIjlEEPS9_SE_NS0_5tupleIJPjSE_EEENSF_IJSE_SE_EEES9_SG_JZNS1_25segmented_radix_sort_implINS0_14default_configELb0EPKlPlSM_SN_N2at6native12_GLOBAL__N_18offset_tEEE10hipError_tPvRmT1_PNSt15iterator_traitsISV_E10value_typeET2_T3_PNSW_IS11_E10value_typeET4_jRbjT5_S17_jjP12ihipStream_tbEUljE_EEESS_ST_SU_S11_S15_S17_T6_T7_T9_mT8_S19_bDpT10_ENKUlT_T0_E_clISt17integral_constantIbLb0EES1L_IbLb1EEEEDaS1H_S1I_EUlS1H_E_NS1_11comp_targetILNS1_3genE0ELNS1_11target_archE4294967295ELNS1_3gpuE0ELNS1_3repE0EEENS1_30default_config_static_selectorELNS0_4arch9wavefront6targetE0EEEvSV_
		.amdhsa_group_segment_fixed_size 0
		.amdhsa_private_segment_fixed_size 0
		.amdhsa_kernarg_size 152
		.amdhsa_user_sgpr_count 2
		.amdhsa_user_sgpr_dispatch_ptr 0
		.amdhsa_user_sgpr_queue_ptr 0
		.amdhsa_user_sgpr_kernarg_segment_ptr 1
		.amdhsa_user_sgpr_dispatch_id 0
		.amdhsa_user_sgpr_private_segment_size 0
		.amdhsa_wavefront_size32 1
		.amdhsa_uses_dynamic_stack 0
		.amdhsa_enable_private_segment 0
		.amdhsa_system_sgpr_workgroup_id_x 1
		.amdhsa_system_sgpr_workgroup_id_y 0
		.amdhsa_system_sgpr_workgroup_id_z 0
		.amdhsa_system_sgpr_workgroup_info 0
		.amdhsa_system_vgpr_workitem_id 0
		.amdhsa_next_free_vgpr 1
		.amdhsa_next_free_sgpr 1
		.amdhsa_reserve_vcc 0
		.amdhsa_float_round_mode_32 0
		.amdhsa_float_round_mode_16_64 0
		.amdhsa_float_denorm_mode_32 3
		.amdhsa_float_denorm_mode_16_64 3
		.amdhsa_fp16_overflow 0
		.amdhsa_workgroup_processor_mode 1
		.amdhsa_memory_ordered 1
		.amdhsa_forward_progress 1
		.amdhsa_inst_pref_size 0
		.amdhsa_round_robin_scheduling 0
		.amdhsa_exception_fp_ieee_invalid_op 0
		.amdhsa_exception_fp_denorm_src 0
		.amdhsa_exception_fp_ieee_div_zero 0
		.amdhsa_exception_fp_ieee_overflow 0
		.amdhsa_exception_fp_ieee_underflow 0
		.amdhsa_exception_fp_ieee_inexact 0
		.amdhsa_exception_int_div_zero 0
	.end_amdhsa_kernel
	.section	.text._ZN7rocprim17ROCPRIM_400000_NS6detail17trampoline_kernelINS0_13select_configILj256ELj13ELNS0_17block_load_methodE3ELS4_3ELS4_3ELNS0_20block_scan_algorithmE0ELj4294967295EEENS1_25partition_config_selectorILNS1_17partition_subalgoE3EjNS0_10empty_typeEbEEZZNS1_14partition_implILS8_3ELb0ES6_jNS0_17counting_iteratorIjlEEPS9_SE_NS0_5tupleIJPjSE_EEENSF_IJSE_SE_EEES9_SG_JZNS1_25segmented_radix_sort_implINS0_14default_configELb0EPKlPlSM_SN_N2at6native12_GLOBAL__N_18offset_tEEE10hipError_tPvRmT1_PNSt15iterator_traitsISV_E10value_typeET2_T3_PNSW_IS11_E10value_typeET4_jRbjT5_S17_jjP12ihipStream_tbEUljE_EEESS_ST_SU_S11_S15_S17_T6_T7_T9_mT8_S19_bDpT10_ENKUlT_T0_E_clISt17integral_constantIbLb0EES1L_IbLb1EEEEDaS1H_S1I_EUlS1H_E_NS1_11comp_targetILNS1_3genE0ELNS1_11target_archE4294967295ELNS1_3gpuE0ELNS1_3repE0EEENS1_30default_config_static_selectorELNS0_4arch9wavefront6targetE0EEEvSV_,"axG",@progbits,_ZN7rocprim17ROCPRIM_400000_NS6detail17trampoline_kernelINS0_13select_configILj256ELj13ELNS0_17block_load_methodE3ELS4_3ELS4_3ELNS0_20block_scan_algorithmE0ELj4294967295EEENS1_25partition_config_selectorILNS1_17partition_subalgoE3EjNS0_10empty_typeEbEEZZNS1_14partition_implILS8_3ELb0ES6_jNS0_17counting_iteratorIjlEEPS9_SE_NS0_5tupleIJPjSE_EEENSF_IJSE_SE_EEES9_SG_JZNS1_25segmented_radix_sort_implINS0_14default_configELb0EPKlPlSM_SN_N2at6native12_GLOBAL__N_18offset_tEEE10hipError_tPvRmT1_PNSt15iterator_traitsISV_E10value_typeET2_T3_PNSW_IS11_E10value_typeET4_jRbjT5_S17_jjP12ihipStream_tbEUljE_EEESS_ST_SU_S11_S15_S17_T6_T7_T9_mT8_S19_bDpT10_ENKUlT_T0_E_clISt17integral_constantIbLb0EES1L_IbLb1EEEEDaS1H_S1I_EUlS1H_E_NS1_11comp_targetILNS1_3genE0ELNS1_11target_archE4294967295ELNS1_3gpuE0ELNS1_3repE0EEENS1_30default_config_static_selectorELNS0_4arch9wavefront6targetE0EEEvSV_,comdat
.Lfunc_end799:
	.size	_ZN7rocprim17ROCPRIM_400000_NS6detail17trampoline_kernelINS0_13select_configILj256ELj13ELNS0_17block_load_methodE3ELS4_3ELS4_3ELNS0_20block_scan_algorithmE0ELj4294967295EEENS1_25partition_config_selectorILNS1_17partition_subalgoE3EjNS0_10empty_typeEbEEZZNS1_14partition_implILS8_3ELb0ES6_jNS0_17counting_iteratorIjlEEPS9_SE_NS0_5tupleIJPjSE_EEENSF_IJSE_SE_EEES9_SG_JZNS1_25segmented_radix_sort_implINS0_14default_configELb0EPKlPlSM_SN_N2at6native12_GLOBAL__N_18offset_tEEE10hipError_tPvRmT1_PNSt15iterator_traitsISV_E10value_typeET2_T3_PNSW_IS11_E10value_typeET4_jRbjT5_S17_jjP12ihipStream_tbEUljE_EEESS_ST_SU_S11_S15_S17_T6_T7_T9_mT8_S19_bDpT10_ENKUlT_T0_E_clISt17integral_constantIbLb0EES1L_IbLb1EEEEDaS1H_S1I_EUlS1H_E_NS1_11comp_targetILNS1_3genE0ELNS1_11target_archE4294967295ELNS1_3gpuE0ELNS1_3repE0EEENS1_30default_config_static_selectorELNS0_4arch9wavefront6targetE0EEEvSV_, .Lfunc_end799-_ZN7rocprim17ROCPRIM_400000_NS6detail17trampoline_kernelINS0_13select_configILj256ELj13ELNS0_17block_load_methodE3ELS4_3ELS4_3ELNS0_20block_scan_algorithmE0ELj4294967295EEENS1_25partition_config_selectorILNS1_17partition_subalgoE3EjNS0_10empty_typeEbEEZZNS1_14partition_implILS8_3ELb0ES6_jNS0_17counting_iteratorIjlEEPS9_SE_NS0_5tupleIJPjSE_EEENSF_IJSE_SE_EEES9_SG_JZNS1_25segmented_radix_sort_implINS0_14default_configELb0EPKlPlSM_SN_N2at6native12_GLOBAL__N_18offset_tEEE10hipError_tPvRmT1_PNSt15iterator_traitsISV_E10value_typeET2_T3_PNSW_IS11_E10value_typeET4_jRbjT5_S17_jjP12ihipStream_tbEUljE_EEESS_ST_SU_S11_S15_S17_T6_T7_T9_mT8_S19_bDpT10_ENKUlT_T0_E_clISt17integral_constantIbLb0EES1L_IbLb1EEEEDaS1H_S1I_EUlS1H_E_NS1_11comp_targetILNS1_3genE0ELNS1_11target_archE4294967295ELNS1_3gpuE0ELNS1_3repE0EEENS1_30default_config_static_selectorELNS0_4arch9wavefront6targetE0EEEvSV_
                                        ; -- End function
	.set _ZN7rocprim17ROCPRIM_400000_NS6detail17trampoline_kernelINS0_13select_configILj256ELj13ELNS0_17block_load_methodE3ELS4_3ELS4_3ELNS0_20block_scan_algorithmE0ELj4294967295EEENS1_25partition_config_selectorILNS1_17partition_subalgoE3EjNS0_10empty_typeEbEEZZNS1_14partition_implILS8_3ELb0ES6_jNS0_17counting_iteratorIjlEEPS9_SE_NS0_5tupleIJPjSE_EEENSF_IJSE_SE_EEES9_SG_JZNS1_25segmented_radix_sort_implINS0_14default_configELb0EPKlPlSM_SN_N2at6native12_GLOBAL__N_18offset_tEEE10hipError_tPvRmT1_PNSt15iterator_traitsISV_E10value_typeET2_T3_PNSW_IS11_E10value_typeET4_jRbjT5_S17_jjP12ihipStream_tbEUljE_EEESS_ST_SU_S11_S15_S17_T6_T7_T9_mT8_S19_bDpT10_ENKUlT_T0_E_clISt17integral_constantIbLb0EES1L_IbLb1EEEEDaS1H_S1I_EUlS1H_E_NS1_11comp_targetILNS1_3genE0ELNS1_11target_archE4294967295ELNS1_3gpuE0ELNS1_3repE0EEENS1_30default_config_static_selectorELNS0_4arch9wavefront6targetE0EEEvSV_.num_vgpr, 0
	.set _ZN7rocprim17ROCPRIM_400000_NS6detail17trampoline_kernelINS0_13select_configILj256ELj13ELNS0_17block_load_methodE3ELS4_3ELS4_3ELNS0_20block_scan_algorithmE0ELj4294967295EEENS1_25partition_config_selectorILNS1_17partition_subalgoE3EjNS0_10empty_typeEbEEZZNS1_14partition_implILS8_3ELb0ES6_jNS0_17counting_iteratorIjlEEPS9_SE_NS0_5tupleIJPjSE_EEENSF_IJSE_SE_EEES9_SG_JZNS1_25segmented_radix_sort_implINS0_14default_configELb0EPKlPlSM_SN_N2at6native12_GLOBAL__N_18offset_tEEE10hipError_tPvRmT1_PNSt15iterator_traitsISV_E10value_typeET2_T3_PNSW_IS11_E10value_typeET4_jRbjT5_S17_jjP12ihipStream_tbEUljE_EEESS_ST_SU_S11_S15_S17_T6_T7_T9_mT8_S19_bDpT10_ENKUlT_T0_E_clISt17integral_constantIbLb0EES1L_IbLb1EEEEDaS1H_S1I_EUlS1H_E_NS1_11comp_targetILNS1_3genE0ELNS1_11target_archE4294967295ELNS1_3gpuE0ELNS1_3repE0EEENS1_30default_config_static_selectorELNS0_4arch9wavefront6targetE0EEEvSV_.num_agpr, 0
	.set _ZN7rocprim17ROCPRIM_400000_NS6detail17trampoline_kernelINS0_13select_configILj256ELj13ELNS0_17block_load_methodE3ELS4_3ELS4_3ELNS0_20block_scan_algorithmE0ELj4294967295EEENS1_25partition_config_selectorILNS1_17partition_subalgoE3EjNS0_10empty_typeEbEEZZNS1_14partition_implILS8_3ELb0ES6_jNS0_17counting_iteratorIjlEEPS9_SE_NS0_5tupleIJPjSE_EEENSF_IJSE_SE_EEES9_SG_JZNS1_25segmented_radix_sort_implINS0_14default_configELb0EPKlPlSM_SN_N2at6native12_GLOBAL__N_18offset_tEEE10hipError_tPvRmT1_PNSt15iterator_traitsISV_E10value_typeET2_T3_PNSW_IS11_E10value_typeET4_jRbjT5_S17_jjP12ihipStream_tbEUljE_EEESS_ST_SU_S11_S15_S17_T6_T7_T9_mT8_S19_bDpT10_ENKUlT_T0_E_clISt17integral_constantIbLb0EES1L_IbLb1EEEEDaS1H_S1I_EUlS1H_E_NS1_11comp_targetILNS1_3genE0ELNS1_11target_archE4294967295ELNS1_3gpuE0ELNS1_3repE0EEENS1_30default_config_static_selectorELNS0_4arch9wavefront6targetE0EEEvSV_.numbered_sgpr, 0
	.set _ZN7rocprim17ROCPRIM_400000_NS6detail17trampoline_kernelINS0_13select_configILj256ELj13ELNS0_17block_load_methodE3ELS4_3ELS4_3ELNS0_20block_scan_algorithmE0ELj4294967295EEENS1_25partition_config_selectorILNS1_17partition_subalgoE3EjNS0_10empty_typeEbEEZZNS1_14partition_implILS8_3ELb0ES6_jNS0_17counting_iteratorIjlEEPS9_SE_NS0_5tupleIJPjSE_EEENSF_IJSE_SE_EEES9_SG_JZNS1_25segmented_radix_sort_implINS0_14default_configELb0EPKlPlSM_SN_N2at6native12_GLOBAL__N_18offset_tEEE10hipError_tPvRmT1_PNSt15iterator_traitsISV_E10value_typeET2_T3_PNSW_IS11_E10value_typeET4_jRbjT5_S17_jjP12ihipStream_tbEUljE_EEESS_ST_SU_S11_S15_S17_T6_T7_T9_mT8_S19_bDpT10_ENKUlT_T0_E_clISt17integral_constantIbLb0EES1L_IbLb1EEEEDaS1H_S1I_EUlS1H_E_NS1_11comp_targetILNS1_3genE0ELNS1_11target_archE4294967295ELNS1_3gpuE0ELNS1_3repE0EEENS1_30default_config_static_selectorELNS0_4arch9wavefront6targetE0EEEvSV_.num_named_barrier, 0
	.set _ZN7rocprim17ROCPRIM_400000_NS6detail17trampoline_kernelINS0_13select_configILj256ELj13ELNS0_17block_load_methodE3ELS4_3ELS4_3ELNS0_20block_scan_algorithmE0ELj4294967295EEENS1_25partition_config_selectorILNS1_17partition_subalgoE3EjNS0_10empty_typeEbEEZZNS1_14partition_implILS8_3ELb0ES6_jNS0_17counting_iteratorIjlEEPS9_SE_NS0_5tupleIJPjSE_EEENSF_IJSE_SE_EEES9_SG_JZNS1_25segmented_radix_sort_implINS0_14default_configELb0EPKlPlSM_SN_N2at6native12_GLOBAL__N_18offset_tEEE10hipError_tPvRmT1_PNSt15iterator_traitsISV_E10value_typeET2_T3_PNSW_IS11_E10value_typeET4_jRbjT5_S17_jjP12ihipStream_tbEUljE_EEESS_ST_SU_S11_S15_S17_T6_T7_T9_mT8_S19_bDpT10_ENKUlT_T0_E_clISt17integral_constantIbLb0EES1L_IbLb1EEEEDaS1H_S1I_EUlS1H_E_NS1_11comp_targetILNS1_3genE0ELNS1_11target_archE4294967295ELNS1_3gpuE0ELNS1_3repE0EEENS1_30default_config_static_selectorELNS0_4arch9wavefront6targetE0EEEvSV_.private_seg_size, 0
	.set _ZN7rocprim17ROCPRIM_400000_NS6detail17trampoline_kernelINS0_13select_configILj256ELj13ELNS0_17block_load_methodE3ELS4_3ELS4_3ELNS0_20block_scan_algorithmE0ELj4294967295EEENS1_25partition_config_selectorILNS1_17partition_subalgoE3EjNS0_10empty_typeEbEEZZNS1_14partition_implILS8_3ELb0ES6_jNS0_17counting_iteratorIjlEEPS9_SE_NS0_5tupleIJPjSE_EEENSF_IJSE_SE_EEES9_SG_JZNS1_25segmented_radix_sort_implINS0_14default_configELb0EPKlPlSM_SN_N2at6native12_GLOBAL__N_18offset_tEEE10hipError_tPvRmT1_PNSt15iterator_traitsISV_E10value_typeET2_T3_PNSW_IS11_E10value_typeET4_jRbjT5_S17_jjP12ihipStream_tbEUljE_EEESS_ST_SU_S11_S15_S17_T6_T7_T9_mT8_S19_bDpT10_ENKUlT_T0_E_clISt17integral_constantIbLb0EES1L_IbLb1EEEEDaS1H_S1I_EUlS1H_E_NS1_11comp_targetILNS1_3genE0ELNS1_11target_archE4294967295ELNS1_3gpuE0ELNS1_3repE0EEENS1_30default_config_static_selectorELNS0_4arch9wavefront6targetE0EEEvSV_.uses_vcc, 0
	.set _ZN7rocprim17ROCPRIM_400000_NS6detail17trampoline_kernelINS0_13select_configILj256ELj13ELNS0_17block_load_methodE3ELS4_3ELS4_3ELNS0_20block_scan_algorithmE0ELj4294967295EEENS1_25partition_config_selectorILNS1_17partition_subalgoE3EjNS0_10empty_typeEbEEZZNS1_14partition_implILS8_3ELb0ES6_jNS0_17counting_iteratorIjlEEPS9_SE_NS0_5tupleIJPjSE_EEENSF_IJSE_SE_EEES9_SG_JZNS1_25segmented_radix_sort_implINS0_14default_configELb0EPKlPlSM_SN_N2at6native12_GLOBAL__N_18offset_tEEE10hipError_tPvRmT1_PNSt15iterator_traitsISV_E10value_typeET2_T3_PNSW_IS11_E10value_typeET4_jRbjT5_S17_jjP12ihipStream_tbEUljE_EEESS_ST_SU_S11_S15_S17_T6_T7_T9_mT8_S19_bDpT10_ENKUlT_T0_E_clISt17integral_constantIbLb0EES1L_IbLb1EEEEDaS1H_S1I_EUlS1H_E_NS1_11comp_targetILNS1_3genE0ELNS1_11target_archE4294967295ELNS1_3gpuE0ELNS1_3repE0EEENS1_30default_config_static_selectorELNS0_4arch9wavefront6targetE0EEEvSV_.uses_flat_scratch, 0
	.set _ZN7rocprim17ROCPRIM_400000_NS6detail17trampoline_kernelINS0_13select_configILj256ELj13ELNS0_17block_load_methodE3ELS4_3ELS4_3ELNS0_20block_scan_algorithmE0ELj4294967295EEENS1_25partition_config_selectorILNS1_17partition_subalgoE3EjNS0_10empty_typeEbEEZZNS1_14partition_implILS8_3ELb0ES6_jNS0_17counting_iteratorIjlEEPS9_SE_NS0_5tupleIJPjSE_EEENSF_IJSE_SE_EEES9_SG_JZNS1_25segmented_radix_sort_implINS0_14default_configELb0EPKlPlSM_SN_N2at6native12_GLOBAL__N_18offset_tEEE10hipError_tPvRmT1_PNSt15iterator_traitsISV_E10value_typeET2_T3_PNSW_IS11_E10value_typeET4_jRbjT5_S17_jjP12ihipStream_tbEUljE_EEESS_ST_SU_S11_S15_S17_T6_T7_T9_mT8_S19_bDpT10_ENKUlT_T0_E_clISt17integral_constantIbLb0EES1L_IbLb1EEEEDaS1H_S1I_EUlS1H_E_NS1_11comp_targetILNS1_3genE0ELNS1_11target_archE4294967295ELNS1_3gpuE0ELNS1_3repE0EEENS1_30default_config_static_selectorELNS0_4arch9wavefront6targetE0EEEvSV_.has_dyn_sized_stack, 0
	.set _ZN7rocprim17ROCPRIM_400000_NS6detail17trampoline_kernelINS0_13select_configILj256ELj13ELNS0_17block_load_methodE3ELS4_3ELS4_3ELNS0_20block_scan_algorithmE0ELj4294967295EEENS1_25partition_config_selectorILNS1_17partition_subalgoE3EjNS0_10empty_typeEbEEZZNS1_14partition_implILS8_3ELb0ES6_jNS0_17counting_iteratorIjlEEPS9_SE_NS0_5tupleIJPjSE_EEENSF_IJSE_SE_EEES9_SG_JZNS1_25segmented_radix_sort_implINS0_14default_configELb0EPKlPlSM_SN_N2at6native12_GLOBAL__N_18offset_tEEE10hipError_tPvRmT1_PNSt15iterator_traitsISV_E10value_typeET2_T3_PNSW_IS11_E10value_typeET4_jRbjT5_S17_jjP12ihipStream_tbEUljE_EEESS_ST_SU_S11_S15_S17_T6_T7_T9_mT8_S19_bDpT10_ENKUlT_T0_E_clISt17integral_constantIbLb0EES1L_IbLb1EEEEDaS1H_S1I_EUlS1H_E_NS1_11comp_targetILNS1_3genE0ELNS1_11target_archE4294967295ELNS1_3gpuE0ELNS1_3repE0EEENS1_30default_config_static_selectorELNS0_4arch9wavefront6targetE0EEEvSV_.has_recursion, 0
	.set _ZN7rocprim17ROCPRIM_400000_NS6detail17trampoline_kernelINS0_13select_configILj256ELj13ELNS0_17block_load_methodE3ELS4_3ELS4_3ELNS0_20block_scan_algorithmE0ELj4294967295EEENS1_25partition_config_selectorILNS1_17partition_subalgoE3EjNS0_10empty_typeEbEEZZNS1_14partition_implILS8_3ELb0ES6_jNS0_17counting_iteratorIjlEEPS9_SE_NS0_5tupleIJPjSE_EEENSF_IJSE_SE_EEES9_SG_JZNS1_25segmented_radix_sort_implINS0_14default_configELb0EPKlPlSM_SN_N2at6native12_GLOBAL__N_18offset_tEEE10hipError_tPvRmT1_PNSt15iterator_traitsISV_E10value_typeET2_T3_PNSW_IS11_E10value_typeET4_jRbjT5_S17_jjP12ihipStream_tbEUljE_EEESS_ST_SU_S11_S15_S17_T6_T7_T9_mT8_S19_bDpT10_ENKUlT_T0_E_clISt17integral_constantIbLb0EES1L_IbLb1EEEEDaS1H_S1I_EUlS1H_E_NS1_11comp_targetILNS1_3genE0ELNS1_11target_archE4294967295ELNS1_3gpuE0ELNS1_3repE0EEENS1_30default_config_static_selectorELNS0_4arch9wavefront6targetE0EEEvSV_.has_indirect_call, 0
	.section	.AMDGPU.csdata,"",@progbits
; Kernel info:
; codeLenInByte = 0
; TotalNumSgprs: 0
; NumVgprs: 0
; ScratchSize: 0
; MemoryBound: 0
; FloatMode: 240
; IeeeMode: 1
; LDSByteSize: 0 bytes/workgroup (compile time only)
; SGPRBlocks: 0
; VGPRBlocks: 0
; NumSGPRsForWavesPerEU: 1
; NumVGPRsForWavesPerEU: 1
; Occupancy: 16
; WaveLimiterHint : 0
; COMPUTE_PGM_RSRC2:SCRATCH_EN: 0
; COMPUTE_PGM_RSRC2:USER_SGPR: 2
; COMPUTE_PGM_RSRC2:TRAP_HANDLER: 0
; COMPUTE_PGM_RSRC2:TGID_X_EN: 1
; COMPUTE_PGM_RSRC2:TGID_Y_EN: 0
; COMPUTE_PGM_RSRC2:TGID_Z_EN: 0
; COMPUTE_PGM_RSRC2:TIDIG_COMP_CNT: 0
	.section	.text._ZN7rocprim17ROCPRIM_400000_NS6detail17trampoline_kernelINS0_13select_configILj256ELj13ELNS0_17block_load_methodE3ELS4_3ELS4_3ELNS0_20block_scan_algorithmE0ELj4294967295EEENS1_25partition_config_selectorILNS1_17partition_subalgoE3EjNS0_10empty_typeEbEEZZNS1_14partition_implILS8_3ELb0ES6_jNS0_17counting_iteratorIjlEEPS9_SE_NS0_5tupleIJPjSE_EEENSF_IJSE_SE_EEES9_SG_JZNS1_25segmented_radix_sort_implINS0_14default_configELb0EPKlPlSM_SN_N2at6native12_GLOBAL__N_18offset_tEEE10hipError_tPvRmT1_PNSt15iterator_traitsISV_E10value_typeET2_T3_PNSW_IS11_E10value_typeET4_jRbjT5_S17_jjP12ihipStream_tbEUljE_EEESS_ST_SU_S11_S15_S17_T6_T7_T9_mT8_S19_bDpT10_ENKUlT_T0_E_clISt17integral_constantIbLb0EES1L_IbLb1EEEEDaS1H_S1I_EUlS1H_E_NS1_11comp_targetILNS1_3genE5ELNS1_11target_archE942ELNS1_3gpuE9ELNS1_3repE0EEENS1_30default_config_static_selectorELNS0_4arch9wavefront6targetE0EEEvSV_,"axG",@progbits,_ZN7rocprim17ROCPRIM_400000_NS6detail17trampoline_kernelINS0_13select_configILj256ELj13ELNS0_17block_load_methodE3ELS4_3ELS4_3ELNS0_20block_scan_algorithmE0ELj4294967295EEENS1_25partition_config_selectorILNS1_17partition_subalgoE3EjNS0_10empty_typeEbEEZZNS1_14partition_implILS8_3ELb0ES6_jNS0_17counting_iteratorIjlEEPS9_SE_NS0_5tupleIJPjSE_EEENSF_IJSE_SE_EEES9_SG_JZNS1_25segmented_radix_sort_implINS0_14default_configELb0EPKlPlSM_SN_N2at6native12_GLOBAL__N_18offset_tEEE10hipError_tPvRmT1_PNSt15iterator_traitsISV_E10value_typeET2_T3_PNSW_IS11_E10value_typeET4_jRbjT5_S17_jjP12ihipStream_tbEUljE_EEESS_ST_SU_S11_S15_S17_T6_T7_T9_mT8_S19_bDpT10_ENKUlT_T0_E_clISt17integral_constantIbLb0EES1L_IbLb1EEEEDaS1H_S1I_EUlS1H_E_NS1_11comp_targetILNS1_3genE5ELNS1_11target_archE942ELNS1_3gpuE9ELNS1_3repE0EEENS1_30default_config_static_selectorELNS0_4arch9wavefront6targetE0EEEvSV_,comdat
	.globl	_ZN7rocprim17ROCPRIM_400000_NS6detail17trampoline_kernelINS0_13select_configILj256ELj13ELNS0_17block_load_methodE3ELS4_3ELS4_3ELNS0_20block_scan_algorithmE0ELj4294967295EEENS1_25partition_config_selectorILNS1_17partition_subalgoE3EjNS0_10empty_typeEbEEZZNS1_14partition_implILS8_3ELb0ES6_jNS0_17counting_iteratorIjlEEPS9_SE_NS0_5tupleIJPjSE_EEENSF_IJSE_SE_EEES9_SG_JZNS1_25segmented_radix_sort_implINS0_14default_configELb0EPKlPlSM_SN_N2at6native12_GLOBAL__N_18offset_tEEE10hipError_tPvRmT1_PNSt15iterator_traitsISV_E10value_typeET2_T3_PNSW_IS11_E10value_typeET4_jRbjT5_S17_jjP12ihipStream_tbEUljE_EEESS_ST_SU_S11_S15_S17_T6_T7_T9_mT8_S19_bDpT10_ENKUlT_T0_E_clISt17integral_constantIbLb0EES1L_IbLb1EEEEDaS1H_S1I_EUlS1H_E_NS1_11comp_targetILNS1_3genE5ELNS1_11target_archE942ELNS1_3gpuE9ELNS1_3repE0EEENS1_30default_config_static_selectorELNS0_4arch9wavefront6targetE0EEEvSV_ ; -- Begin function _ZN7rocprim17ROCPRIM_400000_NS6detail17trampoline_kernelINS0_13select_configILj256ELj13ELNS0_17block_load_methodE3ELS4_3ELS4_3ELNS0_20block_scan_algorithmE0ELj4294967295EEENS1_25partition_config_selectorILNS1_17partition_subalgoE3EjNS0_10empty_typeEbEEZZNS1_14partition_implILS8_3ELb0ES6_jNS0_17counting_iteratorIjlEEPS9_SE_NS0_5tupleIJPjSE_EEENSF_IJSE_SE_EEES9_SG_JZNS1_25segmented_radix_sort_implINS0_14default_configELb0EPKlPlSM_SN_N2at6native12_GLOBAL__N_18offset_tEEE10hipError_tPvRmT1_PNSt15iterator_traitsISV_E10value_typeET2_T3_PNSW_IS11_E10value_typeET4_jRbjT5_S17_jjP12ihipStream_tbEUljE_EEESS_ST_SU_S11_S15_S17_T6_T7_T9_mT8_S19_bDpT10_ENKUlT_T0_E_clISt17integral_constantIbLb0EES1L_IbLb1EEEEDaS1H_S1I_EUlS1H_E_NS1_11comp_targetILNS1_3genE5ELNS1_11target_archE942ELNS1_3gpuE9ELNS1_3repE0EEENS1_30default_config_static_selectorELNS0_4arch9wavefront6targetE0EEEvSV_
	.p2align	8
	.type	_ZN7rocprim17ROCPRIM_400000_NS6detail17trampoline_kernelINS0_13select_configILj256ELj13ELNS0_17block_load_methodE3ELS4_3ELS4_3ELNS0_20block_scan_algorithmE0ELj4294967295EEENS1_25partition_config_selectorILNS1_17partition_subalgoE3EjNS0_10empty_typeEbEEZZNS1_14partition_implILS8_3ELb0ES6_jNS0_17counting_iteratorIjlEEPS9_SE_NS0_5tupleIJPjSE_EEENSF_IJSE_SE_EEES9_SG_JZNS1_25segmented_radix_sort_implINS0_14default_configELb0EPKlPlSM_SN_N2at6native12_GLOBAL__N_18offset_tEEE10hipError_tPvRmT1_PNSt15iterator_traitsISV_E10value_typeET2_T3_PNSW_IS11_E10value_typeET4_jRbjT5_S17_jjP12ihipStream_tbEUljE_EEESS_ST_SU_S11_S15_S17_T6_T7_T9_mT8_S19_bDpT10_ENKUlT_T0_E_clISt17integral_constantIbLb0EES1L_IbLb1EEEEDaS1H_S1I_EUlS1H_E_NS1_11comp_targetILNS1_3genE5ELNS1_11target_archE942ELNS1_3gpuE9ELNS1_3repE0EEENS1_30default_config_static_selectorELNS0_4arch9wavefront6targetE0EEEvSV_,@function
_ZN7rocprim17ROCPRIM_400000_NS6detail17trampoline_kernelINS0_13select_configILj256ELj13ELNS0_17block_load_methodE3ELS4_3ELS4_3ELNS0_20block_scan_algorithmE0ELj4294967295EEENS1_25partition_config_selectorILNS1_17partition_subalgoE3EjNS0_10empty_typeEbEEZZNS1_14partition_implILS8_3ELb0ES6_jNS0_17counting_iteratorIjlEEPS9_SE_NS0_5tupleIJPjSE_EEENSF_IJSE_SE_EEES9_SG_JZNS1_25segmented_radix_sort_implINS0_14default_configELb0EPKlPlSM_SN_N2at6native12_GLOBAL__N_18offset_tEEE10hipError_tPvRmT1_PNSt15iterator_traitsISV_E10value_typeET2_T3_PNSW_IS11_E10value_typeET4_jRbjT5_S17_jjP12ihipStream_tbEUljE_EEESS_ST_SU_S11_S15_S17_T6_T7_T9_mT8_S19_bDpT10_ENKUlT_T0_E_clISt17integral_constantIbLb0EES1L_IbLb1EEEEDaS1H_S1I_EUlS1H_E_NS1_11comp_targetILNS1_3genE5ELNS1_11target_archE942ELNS1_3gpuE9ELNS1_3repE0EEENS1_30default_config_static_selectorELNS0_4arch9wavefront6targetE0EEEvSV_: ; @_ZN7rocprim17ROCPRIM_400000_NS6detail17trampoline_kernelINS0_13select_configILj256ELj13ELNS0_17block_load_methodE3ELS4_3ELS4_3ELNS0_20block_scan_algorithmE0ELj4294967295EEENS1_25partition_config_selectorILNS1_17partition_subalgoE3EjNS0_10empty_typeEbEEZZNS1_14partition_implILS8_3ELb0ES6_jNS0_17counting_iteratorIjlEEPS9_SE_NS0_5tupleIJPjSE_EEENSF_IJSE_SE_EEES9_SG_JZNS1_25segmented_radix_sort_implINS0_14default_configELb0EPKlPlSM_SN_N2at6native12_GLOBAL__N_18offset_tEEE10hipError_tPvRmT1_PNSt15iterator_traitsISV_E10value_typeET2_T3_PNSW_IS11_E10value_typeET4_jRbjT5_S17_jjP12ihipStream_tbEUljE_EEESS_ST_SU_S11_S15_S17_T6_T7_T9_mT8_S19_bDpT10_ENKUlT_T0_E_clISt17integral_constantIbLb0EES1L_IbLb1EEEEDaS1H_S1I_EUlS1H_E_NS1_11comp_targetILNS1_3genE5ELNS1_11target_archE942ELNS1_3gpuE9ELNS1_3repE0EEENS1_30default_config_static_selectorELNS0_4arch9wavefront6targetE0EEEvSV_
; %bb.0:
	.section	.rodata,"a",@progbits
	.p2align	6, 0x0
	.amdhsa_kernel _ZN7rocprim17ROCPRIM_400000_NS6detail17trampoline_kernelINS0_13select_configILj256ELj13ELNS0_17block_load_methodE3ELS4_3ELS4_3ELNS0_20block_scan_algorithmE0ELj4294967295EEENS1_25partition_config_selectorILNS1_17partition_subalgoE3EjNS0_10empty_typeEbEEZZNS1_14partition_implILS8_3ELb0ES6_jNS0_17counting_iteratorIjlEEPS9_SE_NS0_5tupleIJPjSE_EEENSF_IJSE_SE_EEES9_SG_JZNS1_25segmented_radix_sort_implINS0_14default_configELb0EPKlPlSM_SN_N2at6native12_GLOBAL__N_18offset_tEEE10hipError_tPvRmT1_PNSt15iterator_traitsISV_E10value_typeET2_T3_PNSW_IS11_E10value_typeET4_jRbjT5_S17_jjP12ihipStream_tbEUljE_EEESS_ST_SU_S11_S15_S17_T6_T7_T9_mT8_S19_bDpT10_ENKUlT_T0_E_clISt17integral_constantIbLb0EES1L_IbLb1EEEEDaS1H_S1I_EUlS1H_E_NS1_11comp_targetILNS1_3genE5ELNS1_11target_archE942ELNS1_3gpuE9ELNS1_3repE0EEENS1_30default_config_static_selectorELNS0_4arch9wavefront6targetE0EEEvSV_
		.amdhsa_group_segment_fixed_size 0
		.amdhsa_private_segment_fixed_size 0
		.amdhsa_kernarg_size 152
		.amdhsa_user_sgpr_count 2
		.amdhsa_user_sgpr_dispatch_ptr 0
		.amdhsa_user_sgpr_queue_ptr 0
		.amdhsa_user_sgpr_kernarg_segment_ptr 1
		.amdhsa_user_sgpr_dispatch_id 0
		.amdhsa_user_sgpr_private_segment_size 0
		.amdhsa_wavefront_size32 1
		.amdhsa_uses_dynamic_stack 0
		.amdhsa_enable_private_segment 0
		.amdhsa_system_sgpr_workgroup_id_x 1
		.amdhsa_system_sgpr_workgroup_id_y 0
		.amdhsa_system_sgpr_workgroup_id_z 0
		.amdhsa_system_sgpr_workgroup_info 0
		.amdhsa_system_vgpr_workitem_id 0
		.amdhsa_next_free_vgpr 1
		.amdhsa_next_free_sgpr 1
		.amdhsa_reserve_vcc 0
		.amdhsa_float_round_mode_32 0
		.amdhsa_float_round_mode_16_64 0
		.amdhsa_float_denorm_mode_32 3
		.amdhsa_float_denorm_mode_16_64 3
		.amdhsa_fp16_overflow 0
		.amdhsa_workgroup_processor_mode 1
		.amdhsa_memory_ordered 1
		.amdhsa_forward_progress 1
		.amdhsa_inst_pref_size 0
		.amdhsa_round_robin_scheduling 0
		.amdhsa_exception_fp_ieee_invalid_op 0
		.amdhsa_exception_fp_denorm_src 0
		.amdhsa_exception_fp_ieee_div_zero 0
		.amdhsa_exception_fp_ieee_overflow 0
		.amdhsa_exception_fp_ieee_underflow 0
		.amdhsa_exception_fp_ieee_inexact 0
		.amdhsa_exception_int_div_zero 0
	.end_amdhsa_kernel
	.section	.text._ZN7rocprim17ROCPRIM_400000_NS6detail17trampoline_kernelINS0_13select_configILj256ELj13ELNS0_17block_load_methodE3ELS4_3ELS4_3ELNS0_20block_scan_algorithmE0ELj4294967295EEENS1_25partition_config_selectorILNS1_17partition_subalgoE3EjNS0_10empty_typeEbEEZZNS1_14partition_implILS8_3ELb0ES6_jNS0_17counting_iteratorIjlEEPS9_SE_NS0_5tupleIJPjSE_EEENSF_IJSE_SE_EEES9_SG_JZNS1_25segmented_radix_sort_implINS0_14default_configELb0EPKlPlSM_SN_N2at6native12_GLOBAL__N_18offset_tEEE10hipError_tPvRmT1_PNSt15iterator_traitsISV_E10value_typeET2_T3_PNSW_IS11_E10value_typeET4_jRbjT5_S17_jjP12ihipStream_tbEUljE_EEESS_ST_SU_S11_S15_S17_T6_T7_T9_mT8_S19_bDpT10_ENKUlT_T0_E_clISt17integral_constantIbLb0EES1L_IbLb1EEEEDaS1H_S1I_EUlS1H_E_NS1_11comp_targetILNS1_3genE5ELNS1_11target_archE942ELNS1_3gpuE9ELNS1_3repE0EEENS1_30default_config_static_selectorELNS0_4arch9wavefront6targetE0EEEvSV_,"axG",@progbits,_ZN7rocprim17ROCPRIM_400000_NS6detail17trampoline_kernelINS0_13select_configILj256ELj13ELNS0_17block_load_methodE3ELS4_3ELS4_3ELNS0_20block_scan_algorithmE0ELj4294967295EEENS1_25partition_config_selectorILNS1_17partition_subalgoE3EjNS0_10empty_typeEbEEZZNS1_14partition_implILS8_3ELb0ES6_jNS0_17counting_iteratorIjlEEPS9_SE_NS0_5tupleIJPjSE_EEENSF_IJSE_SE_EEES9_SG_JZNS1_25segmented_radix_sort_implINS0_14default_configELb0EPKlPlSM_SN_N2at6native12_GLOBAL__N_18offset_tEEE10hipError_tPvRmT1_PNSt15iterator_traitsISV_E10value_typeET2_T3_PNSW_IS11_E10value_typeET4_jRbjT5_S17_jjP12ihipStream_tbEUljE_EEESS_ST_SU_S11_S15_S17_T6_T7_T9_mT8_S19_bDpT10_ENKUlT_T0_E_clISt17integral_constantIbLb0EES1L_IbLb1EEEEDaS1H_S1I_EUlS1H_E_NS1_11comp_targetILNS1_3genE5ELNS1_11target_archE942ELNS1_3gpuE9ELNS1_3repE0EEENS1_30default_config_static_selectorELNS0_4arch9wavefront6targetE0EEEvSV_,comdat
.Lfunc_end800:
	.size	_ZN7rocprim17ROCPRIM_400000_NS6detail17trampoline_kernelINS0_13select_configILj256ELj13ELNS0_17block_load_methodE3ELS4_3ELS4_3ELNS0_20block_scan_algorithmE0ELj4294967295EEENS1_25partition_config_selectorILNS1_17partition_subalgoE3EjNS0_10empty_typeEbEEZZNS1_14partition_implILS8_3ELb0ES6_jNS0_17counting_iteratorIjlEEPS9_SE_NS0_5tupleIJPjSE_EEENSF_IJSE_SE_EEES9_SG_JZNS1_25segmented_radix_sort_implINS0_14default_configELb0EPKlPlSM_SN_N2at6native12_GLOBAL__N_18offset_tEEE10hipError_tPvRmT1_PNSt15iterator_traitsISV_E10value_typeET2_T3_PNSW_IS11_E10value_typeET4_jRbjT5_S17_jjP12ihipStream_tbEUljE_EEESS_ST_SU_S11_S15_S17_T6_T7_T9_mT8_S19_bDpT10_ENKUlT_T0_E_clISt17integral_constantIbLb0EES1L_IbLb1EEEEDaS1H_S1I_EUlS1H_E_NS1_11comp_targetILNS1_3genE5ELNS1_11target_archE942ELNS1_3gpuE9ELNS1_3repE0EEENS1_30default_config_static_selectorELNS0_4arch9wavefront6targetE0EEEvSV_, .Lfunc_end800-_ZN7rocprim17ROCPRIM_400000_NS6detail17trampoline_kernelINS0_13select_configILj256ELj13ELNS0_17block_load_methodE3ELS4_3ELS4_3ELNS0_20block_scan_algorithmE0ELj4294967295EEENS1_25partition_config_selectorILNS1_17partition_subalgoE3EjNS0_10empty_typeEbEEZZNS1_14partition_implILS8_3ELb0ES6_jNS0_17counting_iteratorIjlEEPS9_SE_NS0_5tupleIJPjSE_EEENSF_IJSE_SE_EEES9_SG_JZNS1_25segmented_radix_sort_implINS0_14default_configELb0EPKlPlSM_SN_N2at6native12_GLOBAL__N_18offset_tEEE10hipError_tPvRmT1_PNSt15iterator_traitsISV_E10value_typeET2_T3_PNSW_IS11_E10value_typeET4_jRbjT5_S17_jjP12ihipStream_tbEUljE_EEESS_ST_SU_S11_S15_S17_T6_T7_T9_mT8_S19_bDpT10_ENKUlT_T0_E_clISt17integral_constantIbLb0EES1L_IbLb1EEEEDaS1H_S1I_EUlS1H_E_NS1_11comp_targetILNS1_3genE5ELNS1_11target_archE942ELNS1_3gpuE9ELNS1_3repE0EEENS1_30default_config_static_selectorELNS0_4arch9wavefront6targetE0EEEvSV_
                                        ; -- End function
	.set _ZN7rocprim17ROCPRIM_400000_NS6detail17trampoline_kernelINS0_13select_configILj256ELj13ELNS0_17block_load_methodE3ELS4_3ELS4_3ELNS0_20block_scan_algorithmE0ELj4294967295EEENS1_25partition_config_selectorILNS1_17partition_subalgoE3EjNS0_10empty_typeEbEEZZNS1_14partition_implILS8_3ELb0ES6_jNS0_17counting_iteratorIjlEEPS9_SE_NS0_5tupleIJPjSE_EEENSF_IJSE_SE_EEES9_SG_JZNS1_25segmented_radix_sort_implINS0_14default_configELb0EPKlPlSM_SN_N2at6native12_GLOBAL__N_18offset_tEEE10hipError_tPvRmT1_PNSt15iterator_traitsISV_E10value_typeET2_T3_PNSW_IS11_E10value_typeET4_jRbjT5_S17_jjP12ihipStream_tbEUljE_EEESS_ST_SU_S11_S15_S17_T6_T7_T9_mT8_S19_bDpT10_ENKUlT_T0_E_clISt17integral_constantIbLb0EES1L_IbLb1EEEEDaS1H_S1I_EUlS1H_E_NS1_11comp_targetILNS1_3genE5ELNS1_11target_archE942ELNS1_3gpuE9ELNS1_3repE0EEENS1_30default_config_static_selectorELNS0_4arch9wavefront6targetE0EEEvSV_.num_vgpr, 0
	.set _ZN7rocprim17ROCPRIM_400000_NS6detail17trampoline_kernelINS0_13select_configILj256ELj13ELNS0_17block_load_methodE3ELS4_3ELS4_3ELNS0_20block_scan_algorithmE0ELj4294967295EEENS1_25partition_config_selectorILNS1_17partition_subalgoE3EjNS0_10empty_typeEbEEZZNS1_14partition_implILS8_3ELb0ES6_jNS0_17counting_iteratorIjlEEPS9_SE_NS0_5tupleIJPjSE_EEENSF_IJSE_SE_EEES9_SG_JZNS1_25segmented_radix_sort_implINS0_14default_configELb0EPKlPlSM_SN_N2at6native12_GLOBAL__N_18offset_tEEE10hipError_tPvRmT1_PNSt15iterator_traitsISV_E10value_typeET2_T3_PNSW_IS11_E10value_typeET4_jRbjT5_S17_jjP12ihipStream_tbEUljE_EEESS_ST_SU_S11_S15_S17_T6_T7_T9_mT8_S19_bDpT10_ENKUlT_T0_E_clISt17integral_constantIbLb0EES1L_IbLb1EEEEDaS1H_S1I_EUlS1H_E_NS1_11comp_targetILNS1_3genE5ELNS1_11target_archE942ELNS1_3gpuE9ELNS1_3repE0EEENS1_30default_config_static_selectorELNS0_4arch9wavefront6targetE0EEEvSV_.num_agpr, 0
	.set _ZN7rocprim17ROCPRIM_400000_NS6detail17trampoline_kernelINS0_13select_configILj256ELj13ELNS0_17block_load_methodE3ELS4_3ELS4_3ELNS0_20block_scan_algorithmE0ELj4294967295EEENS1_25partition_config_selectorILNS1_17partition_subalgoE3EjNS0_10empty_typeEbEEZZNS1_14partition_implILS8_3ELb0ES6_jNS0_17counting_iteratorIjlEEPS9_SE_NS0_5tupleIJPjSE_EEENSF_IJSE_SE_EEES9_SG_JZNS1_25segmented_radix_sort_implINS0_14default_configELb0EPKlPlSM_SN_N2at6native12_GLOBAL__N_18offset_tEEE10hipError_tPvRmT1_PNSt15iterator_traitsISV_E10value_typeET2_T3_PNSW_IS11_E10value_typeET4_jRbjT5_S17_jjP12ihipStream_tbEUljE_EEESS_ST_SU_S11_S15_S17_T6_T7_T9_mT8_S19_bDpT10_ENKUlT_T0_E_clISt17integral_constantIbLb0EES1L_IbLb1EEEEDaS1H_S1I_EUlS1H_E_NS1_11comp_targetILNS1_3genE5ELNS1_11target_archE942ELNS1_3gpuE9ELNS1_3repE0EEENS1_30default_config_static_selectorELNS0_4arch9wavefront6targetE0EEEvSV_.numbered_sgpr, 0
	.set _ZN7rocprim17ROCPRIM_400000_NS6detail17trampoline_kernelINS0_13select_configILj256ELj13ELNS0_17block_load_methodE3ELS4_3ELS4_3ELNS0_20block_scan_algorithmE0ELj4294967295EEENS1_25partition_config_selectorILNS1_17partition_subalgoE3EjNS0_10empty_typeEbEEZZNS1_14partition_implILS8_3ELb0ES6_jNS0_17counting_iteratorIjlEEPS9_SE_NS0_5tupleIJPjSE_EEENSF_IJSE_SE_EEES9_SG_JZNS1_25segmented_radix_sort_implINS0_14default_configELb0EPKlPlSM_SN_N2at6native12_GLOBAL__N_18offset_tEEE10hipError_tPvRmT1_PNSt15iterator_traitsISV_E10value_typeET2_T3_PNSW_IS11_E10value_typeET4_jRbjT5_S17_jjP12ihipStream_tbEUljE_EEESS_ST_SU_S11_S15_S17_T6_T7_T9_mT8_S19_bDpT10_ENKUlT_T0_E_clISt17integral_constantIbLb0EES1L_IbLb1EEEEDaS1H_S1I_EUlS1H_E_NS1_11comp_targetILNS1_3genE5ELNS1_11target_archE942ELNS1_3gpuE9ELNS1_3repE0EEENS1_30default_config_static_selectorELNS0_4arch9wavefront6targetE0EEEvSV_.num_named_barrier, 0
	.set _ZN7rocprim17ROCPRIM_400000_NS6detail17trampoline_kernelINS0_13select_configILj256ELj13ELNS0_17block_load_methodE3ELS4_3ELS4_3ELNS0_20block_scan_algorithmE0ELj4294967295EEENS1_25partition_config_selectorILNS1_17partition_subalgoE3EjNS0_10empty_typeEbEEZZNS1_14partition_implILS8_3ELb0ES6_jNS0_17counting_iteratorIjlEEPS9_SE_NS0_5tupleIJPjSE_EEENSF_IJSE_SE_EEES9_SG_JZNS1_25segmented_radix_sort_implINS0_14default_configELb0EPKlPlSM_SN_N2at6native12_GLOBAL__N_18offset_tEEE10hipError_tPvRmT1_PNSt15iterator_traitsISV_E10value_typeET2_T3_PNSW_IS11_E10value_typeET4_jRbjT5_S17_jjP12ihipStream_tbEUljE_EEESS_ST_SU_S11_S15_S17_T6_T7_T9_mT8_S19_bDpT10_ENKUlT_T0_E_clISt17integral_constantIbLb0EES1L_IbLb1EEEEDaS1H_S1I_EUlS1H_E_NS1_11comp_targetILNS1_3genE5ELNS1_11target_archE942ELNS1_3gpuE9ELNS1_3repE0EEENS1_30default_config_static_selectorELNS0_4arch9wavefront6targetE0EEEvSV_.private_seg_size, 0
	.set _ZN7rocprim17ROCPRIM_400000_NS6detail17trampoline_kernelINS0_13select_configILj256ELj13ELNS0_17block_load_methodE3ELS4_3ELS4_3ELNS0_20block_scan_algorithmE0ELj4294967295EEENS1_25partition_config_selectorILNS1_17partition_subalgoE3EjNS0_10empty_typeEbEEZZNS1_14partition_implILS8_3ELb0ES6_jNS0_17counting_iteratorIjlEEPS9_SE_NS0_5tupleIJPjSE_EEENSF_IJSE_SE_EEES9_SG_JZNS1_25segmented_radix_sort_implINS0_14default_configELb0EPKlPlSM_SN_N2at6native12_GLOBAL__N_18offset_tEEE10hipError_tPvRmT1_PNSt15iterator_traitsISV_E10value_typeET2_T3_PNSW_IS11_E10value_typeET4_jRbjT5_S17_jjP12ihipStream_tbEUljE_EEESS_ST_SU_S11_S15_S17_T6_T7_T9_mT8_S19_bDpT10_ENKUlT_T0_E_clISt17integral_constantIbLb0EES1L_IbLb1EEEEDaS1H_S1I_EUlS1H_E_NS1_11comp_targetILNS1_3genE5ELNS1_11target_archE942ELNS1_3gpuE9ELNS1_3repE0EEENS1_30default_config_static_selectorELNS0_4arch9wavefront6targetE0EEEvSV_.uses_vcc, 0
	.set _ZN7rocprim17ROCPRIM_400000_NS6detail17trampoline_kernelINS0_13select_configILj256ELj13ELNS0_17block_load_methodE3ELS4_3ELS4_3ELNS0_20block_scan_algorithmE0ELj4294967295EEENS1_25partition_config_selectorILNS1_17partition_subalgoE3EjNS0_10empty_typeEbEEZZNS1_14partition_implILS8_3ELb0ES6_jNS0_17counting_iteratorIjlEEPS9_SE_NS0_5tupleIJPjSE_EEENSF_IJSE_SE_EEES9_SG_JZNS1_25segmented_radix_sort_implINS0_14default_configELb0EPKlPlSM_SN_N2at6native12_GLOBAL__N_18offset_tEEE10hipError_tPvRmT1_PNSt15iterator_traitsISV_E10value_typeET2_T3_PNSW_IS11_E10value_typeET4_jRbjT5_S17_jjP12ihipStream_tbEUljE_EEESS_ST_SU_S11_S15_S17_T6_T7_T9_mT8_S19_bDpT10_ENKUlT_T0_E_clISt17integral_constantIbLb0EES1L_IbLb1EEEEDaS1H_S1I_EUlS1H_E_NS1_11comp_targetILNS1_3genE5ELNS1_11target_archE942ELNS1_3gpuE9ELNS1_3repE0EEENS1_30default_config_static_selectorELNS0_4arch9wavefront6targetE0EEEvSV_.uses_flat_scratch, 0
	.set _ZN7rocprim17ROCPRIM_400000_NS6detail17trampoline_kernelINS0_13select_configILj256ELj13ELNS0_17block_load_methodE3ELS4_3ELS4_3ELNS0_20block_scan_algorithmE0ELj4294967295EEENS1_25partition_config_selectorILNS1_17partition_subalgoE3EjNS0_10empty_typeEbEEZZNS1_14partition_implILS8_3ELb0ES6_jNS0_17counting_iteratorIjlEEPS9_SE_NS0_5tupleIJPjSE_EEENSF_IJSE_SE_EEES9_SG_JZNS1_25segmented_radix_sort_implINS0_14default_configELb0EPKlPlSM_SN_N2at6native12_GLOBAL__N_18offset_tEEE10hipError_tPvRmT1_PNSt15iterator_traitsISV_E10value_typeET2_T3_PNSW_IS11_E10value_typeET4_jRbjT5_S17_jjP12ihipStream_tbEUljE_EEESS_ST_SU_S11_S15_S17_T6_T7_T9_mT8_S19_bDpT10_ENKUlT_T0_E_clISt17integral_constantIbLb0EES1L_IbLb1EEEEDaS1H_S1I_EUlS1H_E_NS1_11comp_targetILNS1_3genE5ELNS1_11target_archE942ELNS1_3gpuE9ELNS1_3repE0EEENS1_30default_config_static_selectorELNS0_4arch9wavefront6targetE0EEEvSV_.has_dyn_sized_stack, 0
	.set _ZN7rocprim17ROCPRIM_400000_NS6detail17trampoline_kernelINS0_13select_configILj256ELj13ELNS0_17block_load_methodE3ELS4_3ELS4_3ELNS0_20block_scan_algorithmE0ELj4294967295EEENS1_25partition_config_selectorILNS1_17partition_subalgoE3EjNS0_10empty_typeEbEEZZNS1_14partition_implILS8_3ELb0ES6_jNS0_17counting_iteratorIjlEEPS9_SE_NS0_5tupleIJPjSE_EEENSF_IJSE_SE_EEES9_SG_JZNS1_25segmented_radix_sort_implINS0_14default_configELb0EPKlPlSM_SN_N2at6native12_GLOBAL__N_18offset_tEEE10hipError_tPvRmT1_PNSt15iterator_traitsISV_E10value_typeET2_T3_PNSW_IS11_E10value_typeET4_jRbjT5_S17_jjP12ihipStream_tbEUljE_EEESS_ST_SU_S11_S15_S17_T6_T7_T9_mT8_S19_bDpT10_ENKUlT_T0_E_clISt17integral_constantIbLb0EES1L_IbLb1EEEEDaS1H_S1I_EUlS1H_E_NS1_11comp_targetILNS1_3genE5ELNS1_11target_archE942ELNS1_3gpuE9ELNS1_3repE0EEENS1_30default_config_static_selectorELNS0_4arch9wavefront6targetE0EEEvSV_.has_recursion, 0
	.set _ZN7rocprim17ROCPRIM_400000_NS6detail17trampoline_kernelINS0_13select_configILj256ELj13ELNS0_17block_load_methodE3ELS4_3ELS4_3ELNS0_20block_scan_algorithmE0ELj4294967295EEENS1_25partition_config_selectorILNS1_17partition_subalgoE3EjNS0_10empty_typeEbEEZZNS1_14partition_implILS8_3ELb0ES6_jNS0_17counting_iteratorIjlEEPS9_SE_NS0_5tupleIJPjSE_EEENSF_IJSE_SE_EEES9_SG_JZNS1_25segmented_radix_sort_implINS0_14default_configELb0EPKlPlSM_SN_N2at6native12_GLOBAL__N_18offset_tEEE10hipError_tPvRmT1_PNSt15iterator_traitsISV_E10value_typeET2_T3_PNSW_IS11_E10value_typeET4_jRbjT5_S17_jjP12ihipStream_tbEUljE_EEESS_ST_SU_S11_S15_S17_T6_T7_T9_mT8_S19_bDpT10_ENKUlT_T0_E_clISt17integral_constantIbLb0EES1L_IbLb1EEEEDaS1H_S1I_EUlS1H_E_NS1_11comp_targetILNS1_3genE5ELNS1_11target_archE942ELNS1_3gpuE9ELNS1_3repE0EEENS1_30default_config_static_selectorELNS0_4arch9wavefront6targetE0EEEvSV_.has_indirect_call, 0
	.section	.AMDGPU.csdata,"",@progbits
; Kernel info:
; codeLenInByte = 0
; TotalNumSgprs: 0
; NumVgprs: 0
; ScratchSize: 0
; MemoryBound: 0
; FloatMode: 240
; IeeeMode: 1
; LDSByteSize: 0 bytes/workgroup (compile time only)
; SGPRBlocks: 0
; VGPRBlocks: 0
; NumSGPRsForWavesPerEU: 1
; NumVGPRsForWavesPerEU: 1
; Occupancy: 16
; WaveLimiterHint : 0
; COMPUTE_PGM_RSRC2:SCRATCH_EN: 0
; COMPUTE_PGM_RSRC2:USER_SGPR: 2
; COMPUTE_PGM_RSRC2:TRAP_HANDLER: 0
; COMPUTE_PGM_RSRC2:TGID_X_EN: 1
; COMPUTE_PGM_RSRC2:TGID_Y_EN: 0
; COMPUTE_PGM_RSRC2:TGID_Z_EN: 0
; COMPUTE_PGM_RSRC2:TIDIG_COMP_CNT: 0
	.section	.text._ZN7rocprim17ROCPRIM_400000_NS6detail17trampoline_kernelINS0_13select_configILj256ELj13ELNS0_17block_load_methodE3ELS4_3ELS4_3ELNS0_20block_scan_algorithmE0ELj4294967295EEENS1_25partition_config_selectorILNS1_17partition_subalgoE3EjNS0_10empty_typeEbEEZZNS1_14partition_implILS8_3ELb0ES6_jNS0_17counting_iteratorIjlEEPS9_SE_NS0_5tupleIJPjSE_EEENSF_IJSE_SE_EEES9_SG_JZNS1_25segmented_radix_sort_implINS0_14default_configELb0EPKlPlSM_SN_N2at6native12_GLOBAL__N_18offset_tEEE10hipError_tPvRmT1_PNSt15iterator_traitsISV_E10value_typeET2_T3_PNSW_IS11_E10value_typeET4_jRbjT5_S17_jjP12ihipStream_tbEUljE_EEESS_ST_SU_S11_S15_S17_T6_T7_T9_mT8_S19_bDpT10_ENKUlT_T0_E_clISt17integral_constantIbLb0EES1L_IbLb1EEEEDaS1H_S1I_EUlS1H_E_NS1_11comp_targetILNS1_3genE4ELNS1_11target_archE910ELNS1_3gpuE8ELNS1_3repE0EEENS1_30default_config_static_selectorELNS0_4arch9wavefront6targetE0EEEvSV_,"axG",@progbits,_ZN7rocprim17ROCPRIM_400000_NS6detail17trampoline_kernelINS0_13select_configILj256ELj13ELNS0_17block_load_methodE3ELS4_3ELS4_3ELNS0_20block_scan_algorithmE0ELj4294967295EEENS1_25partition_config_selectorILNS1_17partition_subalgoE3EjNS0_10empty_typeEbEEZZNS1_14partition_implILS8_3ELb0ES6_jNS0_17counting_iteratorIjlEEPS9_SE_NS0_5tupleIJPjSE_EEENSF_IJSE_SE_EEES9_SG_JZNS1_25segmented_radix_sort_implINS0_14default_configELb0EPKlPlSM_SN_N2at6native12_GLOBAL__N_18offset_tEEE10hipError_tPvRmT1_PNSt15iterator_traitsISV_E10value_typeET2_T3_PNSW_IS11_E10value_typeET4_jRbjT5_S17_jjP12ihipStream_tbEUljE_EEESS_ST_SU_S11_S15_S17_T6_T7_T9_mT8_S19_bDpT10_ENKUlT_T0_E_clISt17integral_constantIbLb0EES1L_IbLb1EEEEDaS1H_S1I_EUlS1H_E_NS1_11comp_targetILNS1_3genE4ELNS1_11target_archE910ELNS1_3gpuE8ELNS1_3repE0EEENS1_30default_config_static_selectorELNS0_4arch9wavefront6targetE0EEEvSV_,comdat
	.globl	_ZN7rocprim17ROCPRIM_400000_NS6detail17trampoline_kernelINS0_13select_configILj256ELj13ELNS0_17block_load_methodE3ELS4_3ELS4_3ELNS0_20block_scan_algorithmE0ELj4294967295EEENS1_25partition_config_selectorILNS1_17partition_subalgoE3EjNS0_10empty_typeEbEEZZNS1_14partition_implILS8_3ELb0ES6_jNS0_17counting_iteratorIjlEEPS9_SE_NS0_5tupleIJPjSE_EEENSF_IJSE_SE_EEES9_SG_JZNS1_25segmented_radix_sort_implINS0_14default_configELb0EPKlPlSM_SN_N2at6native12_GLOBAL__N_18offset_tEEE10hipError_tPvRmT1_PNSt15iterator_traitsISV_E10value_typeET2_T3_PNSW_IS11_E10value_typeET4_jRbjT5_S17_jjP12ihipStream_tbEUljE_EEESS_ST_SU_S11_S15_S17_T6_T7_T9_mT8_S19_bDpT10_ENKUlT_T0_E_clISt17integral_constantIbLb0EES1L_IbLb1EEEEDaS1H_S1I_EUlS1H_E_NS1_11comp_targetILNS1_3genE4ELNS1_11target_archE910ELNS1_3gpuE8ELNS1_3repE0EEENS1_30default_config_static_selectorELNS0_4arch9wavefront6targetE0EEEvSV_ ; -- Begin function _ZN7rocprim17ROCPRIM_400000_NS6detail17trampoline_kernelINS0_13select_configILj256ELj13ELNS0_17block_load_methodE3ELS4_3ELS4_3ELNS0_20block_scan_algorithmE0ELj4294967295EEENS1_25partition_config_selectorILNS1_17partition_subalgoE3EjNS0_10empty_typeEbEEZZNS1_14partition_implILS8_3ELb0ES6_jNS0_17counting_iteratorIjlEEPS9_SE_NS0_5tupleIJPjSE_EEENSF_IJSE_SE_EEES9_SG_JZNS1_25segmented_radix_sort_implINS0_14default_configELb0EPKlPlSM_SN_N2at6native12_GLOBAL__N_18offset_tEEE10hipError_tPvRmT1_PNSt15iterator_traitsISV_E10value_typeET2_T3_PNSW_IS11_E10value_typeET4_jRbjT5_S17_jjP12ihipStream_tbEUljE_EEESS_ST_SU_S11_S15_S17_T6_T7_T9_mT8_S19_bDpT10_ENKUlT_T0_E_clISt17integral_constantIbLb0EES1L_IbLb1EEEEDaS1H_S1I_EUlS1H_E_NS1_11comp_targetILNS1_3genE4ELNS1_11target_archE910ELNS1_3gpuE8ELNS1_3repE0EEENS1_30default_config_static_selectorELNS0_4arch9wavefront6targetE0EEEvSV_
	.p2align	8
	.type	_ZN7rocprim17ROCPRIM_400000_NS6detail17trampoline_kernelINS0_13select_configILj256ELj13ELNS0_17block_load_methodE3ELS4_3ELS4_3ELNS0_20block_scan_algorithmE0ELj4294967295EEENS1_25partition_config_selectorILNS1_17partition_subalgoE3EjNS0_10empty_typeEbEEZZNS1_14partition_implILS8_3ELb0ES6_jNS0_17counting_iteratorIjlEEPS9_SE_NS0_5tupleIJPjSE_EEENSF_IJSE_SE_EEES9_SG_JZNS1_25segmented_radix_sort_implINS0_14default_configELb0EPKlPlSM_SN_N2at6native12_GLOBAL__N_18offset_tEEE10hipError_tPvRmT1_PNSt15iterator_traitsISV_E10value_typeET2_T3_PNSW_IS11_E10value_typeET4_jRbjT5_S17_jjP12ihipStream_tbEUljE_EEESS_ST_SU_S11_S15_S17_T6_T7_T9_mT8_S19_bDpT10_ENKUlT_T0_E_clISt17integral_constantIbLb0EES1L_IbLb1EEEEDaS1H_S1I_EUlS1H_E_NS1_11comp_targetILNS1_3genE4ELNS1_11target_archE910ELNS1_3gpuE8ELNS1_3repE0EEENS1_30default_config_static_selectorELNS0_4arch9wavefront6targetE0EEEvSV_,@function
_ZN7rocprim17ROCPRIM_400000_NS6detail17trampoline_kernelINS0_13select_configILj256ELj13ELNS0_17block_load_methodE3ELS4_3ELS4_3ELNS0_20block_scan_algorithmE0ELj4294967295EEENS1_25partition_config_selectorILNS1_17partition_subalgoE3EjNS0_10empty_typeEbEEZZNS1_14partition_implILS8_3ELb0ES6_jNS0_17counting_iteratorIjlEEPS9_SE_NS0_5tupleIJPjSE_EEENSF_IJSE_SE_EEES9_SG_JZNS1_25segmented_radix_sort_implINS0_14default_configELb0EPKlPlSM_SN_N2at6native12_GLOBAL__N_18offset_tEEE10hipError_tPvRmT1_PNSt15iterator_traitsISV_E10value_typeET2_T3_PNSW_IS11_E10value_typeET4_jRbjT5_S17_jjP12ihipStream_tbEUljE_EEESS_ST_SU_S11_S15_S17_T6_T7_T9_mT8_S19_bDpT10_ENKUlT_T0_E_clISt17integral_constantIbLb0EES1L_IbLb1EEEEDaS1H_S1I_EUlS1H_E_NS1_11comp_targetILNS1_3genE4ELNS1_11target_archE910ELNS1_3gpuE8ELNS1_3repE0EEENS1_30default_config_static_selectorELNS0_4arch9wavefront6targetE0EEEvSV_: ; @_ZN7rocprim17ROCPRIM_400000_NS6detail17trampoline_kernelINS0_13select_configILj256ELj13ELNS0_17block_load_methodE3ELS4_3ELS4_3ELNS0_20block_scan_algorithmE0ELj4294967295EEENS1_25partition_config_selectorILNS1_17partition_subalgoE3EjNS0_10empty_typeEbEEZZNS1_14partition_implILS8_3ELb0ES6_jNS0_17counting_iteratorIjlEEPS9_SE_NS0_5tupleIJPjSE_EEENSF_IJSE_SE_EEES9_SG_JZNS1_25segmented_radix_sort_implINS0_14default_configELb0EPKlPlSM_SN_N2at6native12_GLOBAL__N_18offset_tEEE10hipError_tPvRmT1_PNSt15iterator_traitsISV_E10value_typeET2_T3_PNSW_IS11_E10value_typeET4_jRbjT5_S17_jjP12ihipStream_tbEUljE_EEESS_ST_SU_S11_S15_S17_T6_T7_T9_mT8_S19_bDpT10_ENKUlT_T0_E_clISt17integral_constantIbLb0EES1L_IbLb1EEEEDaS1H_S1I_EUlS1H_E_NS1_11comp_targetILNS1_3genE4ELNS1_11target_archE910ELNS1_3gpuE8ELNS1_3repE0EEENS1_30default_config_static_selectorELNS0_4arch9wavefront6targetE0EEEvSV_
; %bb.0:
	.section	.rodata,"a",@progbits
	.p2align	6, 0x0
	.amdhsa_kernel _ZN7rocprim17ROCPRIM_400000_NS6detail17trampoline_kernelINS0_13select_configILj256ELj13ELNS0_17block_load_methodE3ELS4_3ELS4_3ELNS0_20block_scan_algorithmE0ELj4294967295EEENS1_25partition_config_selectorILNS1_17partition_subalgoE3EjNS0_10empty_typeEbEEZZNS1_14partition_implILS8_3ELb0ES6_jNS0_17counting_iteratorIjlEEPS9_SE_NS0_5tupleIJPjSE_EEENSF_IJSE_SE_EEES9_SG_JZNS1_25segmented_radix_sort_implINS0_14default_configELb0EPKlPlSM_SN_N2at6native12_GLOBAL__N_18offset_tEEE10hipError_tPvRmT1_PNSt15iterator_traitsISV_E10value_typeET2_T3_PNSW_IS11_E10value_typeET4_jRbjT5_S17_jjP12ihipStream_tbEUljE_EEESS_ST_SU_S11_S15_S17_T6_T7_T9_mT8_S19_bDpT10_ENKUlT_T0_E_clISt17integral_constantIbLb0EES1L_IbLb1EEEEDaS1H_S1I_EUlS1H_E_NS1_11comp_targetILNS1_3genE4ELNS1_11target_archE910ELNS1_3gpuE8ELNS1_3repE0EEENS1_30default_config_static_selectorELNS0_4arch9wavefront6targetE0EEEvSV_
		.amdhsa_group_segment_fixed_size 0
		.amdhsa_private_segment_fixed_size 0
		.amdhsa_kernarg_size 152
		.amdhsa_user_sgpr_count 2
		.amdhsa_user_sgpr_dispatch_ptr 0
		.amdhsa_user_sgpr_queue_ptr 0
		.amdhsa_user_sgpr_kernarg_segment_ptr 1
		.amdhsa_user_sgpr_dispatch_id 0
		.amdhsa_user_sgpr_private_segment_size 0
		.amdhsa_wavefront_size32 1
		.amdhsa_uses_dynamic_stack 0
		.amdhsa_enable_private_segment 0
		.amdhsa_system_sgpr_workgroup_id_x 1
		.amdhsa_system_sgpr_workgroup_id_y 0
		.amdhsa_system_sgpr_workgroup_id_z 0
		.amdhsa_system_sgpr_workgroup_info 0
		.amdhsa_system_vgpr_workitem_id 0
		.amdhsa_next_free_vgpr 1
		.amdhsa_next_free_sgpr 1
		.amdhsa_reserve_vcc 0
		.amdhsa_float_round_mode_32 0
		.amdhsa_float_round_mode_16_64 0
		.amdhsa_float_denorm_mode_32 3
		.amdhsa_float_denorm_mode_16_64 3
		.amdhsa_fp16_overflow 0
		.amdhsa_workgroup_processor_mode 1
		.amdhsa_memory_ordered 1
		.amdhsa_forward_progress 1
		.amdhsa_inst_pref_size 0
		.amdhsa_round_robin_scheduling 0
		.amdhsa_exception_fp_ieee_invalid_op 0
		.amdhsa_exception_fp_denorm_src 0
		.amdhsa_exception_fp_ieee_div_zero 0
		.amdhsa_exception_fp_ieee_overflow 0
		.amdhsa_exception_fp_ieee_underflow 0
		.amdhsa_exception_fp_ieee_inexact 0
		.amdhsa_exception_int_div_zero 0
	.end_amdhsa_kernel
	.section	.text._ZN7rocprim17ROCPRIM_400000_NS6detail17trampoline_kernelINS0_13select_configILj256ELj13ELNS0_17block_load_methodE3ELS4_3ELS4_3ELNS0_20block_scan_algorithmE0ELj4294967295EEENS1_25partition_config_selectorILNS1_17partition_subalgoE3EjNS0_10empty_typeEbEEZZNS1_14partition_implILS8_3ELb0ES6_jNS0_17counting_iteratorIjlEEPS9_SE_NS0_5tupleIJPjSE_EEENSF_IJSE_SE_EEES9_SG_JZNS1_25segmented_radix_sort_implINS0_14default_configELb0EPKlPlSM_SN_N2at6native12_GLOBAL__N_18offset_tEEE10hipError_tPvRmT1_PNSt15iterator_traitsISV_E10value_typeET2_T3_PNSW_IS11_E10value_typeET4_jRbjT5_S17_jjP12ihipStream_tbEUljE_EEESS_ST_SU_S11_S15_S17_T6_T7_T9_mT8_S19_bDpT10_ENKUlT_T0_E_clISt17integral_constantIbLb0EES1L_IbLb1EEEEDaS1H_S1I_EUlS1H_E_NS1_11comp_targetILNS1_3genE4ELNS1_11target_archE910ELNS1_3gpuE8ELNS1_3repE0EEENS1_30default_config_static_selectorELNS0_4arch9wavefront6targetE0EEEvSV_,"axG",@progbits,_ZN7rocprim17ROCPRIM_400000_NS6detail17trampoline_kernelINS0_13select_configILj256ELj13ELNS0_17block_load_methodE3ELS4_3ELS4_3ELNS0_20block_scan_algorithmE0ELj4294967295EEENS1_25partition_config_selectorILNS1_17partition_subalgoE3EjNS0_10empty_typeEbEEZZNS1_14partition_implILS8_3ELb0ES6_jNS0_17counting_iteratorIjlEEPS9_SE_NS0_5tupleIJPjSE_EEENSF_IJSE_SE_EEES9_SG_JZNS1_25segmented_radix_sort_implINS0_14default_configELb0EPKlPlSM_SN_N2at6native12_GLOBAL__N_18offset_tEEE10hipError_tPvRmT1_PNSt15iterator_traitsISV_E10value_typeET2_T3_PNSW_IS11_E10value_typeET4_jRbjT5_S17_jjP12ihipStream_tbEUljE_EEESS_ST_SU_S11_S15_S17_T6_T7_T9_mT8_S19_bDpT10_ENKUlT_T0_E_clISt17integral_constantIbLb0EES1L_IbLb1EEEEDaS1H_S1I_EUlS1H_E_NS1_11comp_targetILNS1_3genE4ELNS1_11target_archE910ELNS1_3gpuE8ELNS1_3repE0EEENS1_30default_config_static_selectorELNS0_4arch9wavefront6targetE0EEEvSV_,comdat
.Lfunc_end801:
	.size	_ZN7rocprim17ROCPRIM_400000_NS6detail17trampoline_kernelINS0_13select_configILj256ELj13ELNS0_17block_load_methodE3ELS4_3ELS4_3ELNS0_20block_scan_algorithmE0ELj4294967295EEENS1_25partition_config_selectorILNS1_17partition_subalgoE3EjNS0_10empty_typeEbEEZZNS1_14partition_implILS8_3ELb0ES6_jNS0_17counting_iteratorIjlEEPS9_SE_NS0_5tupleIJPjSE_EEENSF_IJSE_SE_EEES9_SG_JZNS1_25segmented_radix_sort_implINS0_14default_configELb0EPKlPlSM_SN_N2at6native12_GLOBAL__N_18offset_tEEE10hipError_tPvRmT1_PNSt15iterator_traitsISV_E10value_typeET2_T3_PNSW_IS11_E10value_typeET4_jRbjT5_S17_jjP12ihipStream_tbEUljE_EEESS_ST_SU_S11_S15_S17_T6_T7_T9_mT8_S19_bDpT10_ENKUlT_T0_E_clISt17integral_constantIbLb0EES1L_IbLb1EEEEDaS1H_S1I_EUlS1H_E_NS1_11comp_targetILNS1_3genE4ELNS1_11target_archE910ELNS1_3gpuE8ELNS1_3repE0EEENS1_30default_config_static_selectorELNS0_4arch9wavefront6targetE0EEEvSV_, .Lfunc_end801-_ZN7rocprim17ROCPRIM_400000_NS6detail17trampoline_kernelINS0_13select_configILj256ELj13ELNS0_17block_load_methodE3ELS4_3ELS4_3ELNS0_20block_scan_algorithmE0ELj4294967295EEENS1_25partition_config_selectorILNS1_17partition_subalgoE3EjNS0_10empty_typeEbEEZZNS1_14partition_implILS8_3ELb0ES6_jNS0_17counting_iteratorIjlEEPS9_SE_NS0_5tupleIJPjSE_EEENSF_IJSE_SE_EEES9_SG_JZNS1_25segmented_radix_sort_implINS0_14default_configELb0EPKlPlSM_SN_N2at6native12_GLOBAL__N_18offset_tEEE10hipError_tPvRmT1_PNSt15iterator_traitsISV_E10value_typeET2_T3_PNSW_IS11_E10value_typeET4_jRbjT5_S17_jjP12ihipStream_tbEUljE_EEESS_ST_SU_S11_S15_S17_T6_T7_T9_mT8_S19_bDpT10_ENKUlT_T0_E_clISt17integral_constantIbLb0EES1L_IbLb1EEEEDaS1H_S1I_EUlS1H_E_NS1_11comp_targetILNS1_3genE4ELNS1_11target_archE910ELNS1_3gpuE8ELNS1_3repE0EEENS1_30default_config_static_selectorELNS0_4arch9wavefront6targetE0EEEvSV_
                                        ; -- End function
	.set _ZN7rocprim17ROCPRIM_400000_NS6detail17trampoline_kernelINS0_13select_configILj256ELj13ELNS0_17block_load_methodE3ELS4_3ELS4_3ELNS0_20block_scan_algorithmE0ELj4294967295EEENS1_25partition_config_selectorILNS1_17partition_subalgoE3EjNS0_10empty_typeEbEEZZNS1_14partition_implILS8_3ELb0ES6_jNS0_17counting_iteratorIjlEEPS9_SE_NS0_5tupleIJPjSE_EEENSF_IJSE_SE_EEES9_SG_JZNS1_25segmented_radix_sort_implINS0_14default_configELb0EPKlPlSM_SN_N2at6native12_GLOBAL__N_18offset_tEEE10hipError_tPvRmT1_PNSt15iterator_traitsISV_E10value_typeET2_T3_PNSW_IS11_E10value_typeET4_jRbjT5_S17_jjP12ihipStream_tbEUljE_EEESS_ST_SU_S11_S15_S17_T6_T7_T9_mT8_S19_bDpT10_ENKUlT_T0_E_clISt17integral_constantIbLb0EES1L_IbLb1EEEEDaS1H_S1I_EUlS1H_E_NS1_11comp_targetILNS1_3genE4ELNS1_11target_archE910ELNS1_3gpuE8ELNS1_3repE0EEENS1_30default_config_static_selectorELNS0_4arch9wavefront6targetE0EEEvSV_.num_vgpr, 0
	.set _ZN7rocprim17ROCPRIM_400000_NS6detail17trampoline_kernelINS0_13select_configILj256ELj13ELNS0_17block_load_methodE3ELS4_3ELS4_3ELNS0_20block_scan_algorithmE0ELj4294967295EEENS1_25partition_config_selectorILNS1_17partition_subalgoE3EjNS0_10empty_typeEbEEZZNS1_14partition_implILS8_3ELb0ES6_jNS0_17counting_iteratorIjlEEPS9_SE_NS0_5tupleIJPjSE_EEENSF_IJSE_SE_EEES9_SG_JZNS1_25segmented_radix_sort_implINS0_14default_configELb0EPKlPlSM_SN_N2at6native12_GLOBAL__N_18offset_tEEE10hipError_tPvRmT1_PNSt15iterator_traitsISV_E10value_typeET2_T3_PNSW_IS11_E10value_typeET4_jRbjT5_S17_jjP12ihipStream_tbEUljE_EEESS_ST_SU_S11_S15_S17_T6_T7_T9_mT8_S19_bDpT10_ENKUlT_T0_E_clISt17integral_constantIbLb0EES1L_IbLb1EEEEDaS1H_S1I_EUlS1H_E_NS1_11comp_targetILNS1_3genE4ELNS1_11target_archE910ELNS1_3gpuE8ELNS1_3repE0EEENS1_30default_config_static_selectorELNS0_4arch9wavefront6targetE0EEEvSV_.num_agpr, 0
	.set _ZN7rocprim17ROCPRIM_400000_NS6detail17trampoline_kernelINS0_13select_configILj256ELj13ELNS0_17block_load_methodE3ELS4_3ELS4_3ELNS0_20block_scan_algorithmE0ELj4294967295EEENS1_25partition_config_selectorILNS1_17partition_subalgoE3EjNS0_10empty_typeEbEEZZNS1_14partition_implILS8_3ELb0ES6_jNS0_17counting_iteratorIjlEEPS9_SE_NS0_5tupleIJPjSE_EEENSF_IJSE_SE_EEES9_SG_JZNS1_25segmented_radix_sort_implINS0_14default_configELb0EPKlPlSM_SN_N2at6native12_GLOBAL__N_18offset_tEEE10hipError_tPvRmT1_PNSt15iterator_traitsISV_E10value_typeET2_T3_PNSW_IS11_E10value_typeET4_jRbjT5_S17_jjP12ihipStream_tbEUljE_EEESS_ST_SU_S11_S15_S17_T6_T7_T9_mT8_S19_bDpT10_ENKUlT_T0_E_clISt17integral_constantIbLb0EES1L_IbLb1EEEEDaS1H_S1I_EUlS1H_E_NS1_11comp_targetILNS1_3genE4ELNS1_11target_archE910ELNS1_3gpuE8ELNS1_3repE0EEENS1_30default_config_static_selectorELNS0_4arch9wavefront6targetE0EEEvSV_.numbered_sgpr, 0
	.set _ZN7rocprim17ROCPRIM_400000_NS6detail17trampoline_kernelINS0_13select_configILj256ELj13ELNS0_17block_load_methodE3ELS4_3ELS4_3ELNS0_20block_scan_algorithmE0ELj4294967295EEENS1_25partition_config_selectorILNS1_17partition_subalgoE3EjNS0_10empty_typeEbEEZZNS1_14partition_implILS8_3ELb0ES6_jNS0_17counting_iteratorIjlEEPS9_SE_NS0_5tupleIJPjSE_EEENSF_IJSE_SE_EEES9_SG_JZNS1_25segmented_radix_sort_implINS0_14default_configELb0EPKlPlSM_SN_N2at6native12_GLOBAL__N_18offset_tEEE10hipError_tPvRmT1_PNSt15iterator_traitsISV_E10value_typeET2_T3_PNSW_IS11_E10value_typeET4_jRbjT5_S17_jjP12ihipStream_tbEUljE_EEESS_ST_SU_S11_S15_S17_T6_T7_T9_mT8_S19_bDpT10_ENKUlT_T0_E_clISt17integral_constantIbLb0EES1L_IbLb1EEEEDaS1H_S1I_EUlS1H_E_NS1_11comp_targetILNS1_3genE4ELNS1_11target_archE910ELNS1_3gpuE8ELNS1_3repE0EEENS1_30default_config_static_selectorELNS0_4arch9wavefront6targetE0EEEvSV_.num_named_barrier, 0
	.set _ZN7rocprim17ROCPRIM_400000_NS6detail17trampoline_kernelINS0_13select_configILj256ELj13ELNS0_17block_load_methodE3ELS4_3ELS4_3ELNS0_20block_scan_algorithmE0ELj4294967295EEENS1_25partition_config_selectorILNS1_17partition_subalgoE3EjNS0_10empty_typeEbEEZZNS1_14partition_implILS8_3ELb0ES6_jNS0_17counting_iteratorIjlEEPS9_SE_NS0_5tupleIJPjSE_EEENSF_IJSE_SE_EEES9_SG_JZNS1_25segmented_radix_sort_implINS0_14default_configELb0EPKlPlSM_SN_N2at6native12_GLOBAL__N_18offset_tEEE10hipError_tPvRmT1_PNSt15iterator_traitsISV_E10value_typeET2_T3_PNSW_IS11_E10value_typeET4_jRbjT5_S17_jjP12ihipStream_tbEUljE_EEESS_ST_SU_S11_S15_S17_T6_T7_T9_mT8_S19_bDpT10_ENKUlT_T0_E_clISt17integral_constantIbLb0EES1L_IbLb1EEEEDaS1H_S1I_EUlS1H_E_NS1_11comp_targetILNS1_3genE4ELNS1_11target_archE910ELNS1_3gpuE8ELNS1_3repE0EEENS1_30default_config_static_selectorELNS0_4arch9wavefront6targetE0EEEvSV_.private_seg_size, 0
	.set _ZN7rocprim17ROCPRIM_400000_NS6detail17trampoline_kernelINS0_13select_configILj256ELj13ELNS0_17block_load_methodE3ELS4_3ELS4_3ELNS0_20block_scan_algorithmE0ELj4294967295EEENS1_25partition_config_selectorILNS1_17partition_subalgoE3EjNS0_10empty_typeEbEEZZNS1_14partition_implILS8_3ELb0ES6_jNS0_17counting_iteratorIjlEEPS9_SE_NS0_5tupleIJPjSE_EEENSF_IJSE_SE_EEES9_SG_JZNS1_25segmented_radix_sort_implINS0_14default_configELb0EPKlPlSM_SN_N2at6native12_GLOBAL__N_18offset_tEEE10hipError_tPvRmT1_PNSt15iterator_traitsISV_E10value_typeET2_T3_PNSW_IS11_E10value_typeET4_jRbjT5_S17_jjP12ihipStream_tbEUljE_EEESS_ST_SU_S11_S15_S17_T6_T7_T9_mT8_S19_bDpT10_ENKUlT_T0_E_clISt17integral_constantIbLb0EES1L_IbLb1EEEEDaS1H_S1I_EUlS1H_E_NS1_11comp_targetILNS1_3genE4ELNS1_11target_archE910ELNS1_3gpuE8ELNS1_3repE0EEENS1_30default_config_static_selectorELNS0_4arch9wavefront6targetE0EEEvSV_.uses_vcc, 0
	.set _ZN7rocprim17ROCPRIM_400000_NS6detail17trampoline_kernelINS0_13select_configILj256ELj13ELNS0_17block_load_methodE3ELS4_3ELS4_3ELNS0_20block_scan_algorithmE0ELj4294967295EEENS1_25partition_config_selectorILNS1_17partition_subalgoE3EjNS0_10empty_typeEbEEZZNS1_14partition_implILS8_3ELb0ES6_jNS0_17counting_iteratorIjlEEPS9_SE_NS0_5tupleIJPjSE_EEENSF_IJSE_SE_EEES9_SG_JZNS1_25segmented_radix_sort_implINS0_14default_configELb0EPKlPlSM_SN_N2at6native12_GLOBAL__N_18offset_tEEE10hipError_tPvRmT1_PNSt15iterator_traitsISV_E10value_typeET2_T3_PNSW_IS11_E10value_typeET4_jRbjT5_S17_jjP12ihipStream_tbEUljE_EEESS_ST_SU_S11_S15_S17_T6_T7_T9_mT8_S19_bDpT10_ENKUlT_T0_E_clISt17integral_constantIbLb0EES1L_IbLb1EEEEDaS1H_S1I_EUlS1H_E_NS1_11comp_targetILNS1_3genE4ELNS1_11target_archE910ELNS1_3gpuE8ELNS1_3repE0EEENS1_30default_config_static_selectorELNS0_4arch9wavefront6targetE0EEEvSV_.uses_flat_scratch, 0
	.set _ZN7rocprim17ROCPRIM_400000_NS6detail17trampoline_kernelINS0_13select_configILj256ELj13ELNS0_17block_load_methodE3ELS4_3ELS4_3ELNS0_20block_scan_algorithmE0ELj4294967295EEENS1_25partition_config_selectorILNS1_17partition_subalgoE3EjNS0_10empty_typeEbEEZZNS1_14partition_implILS8_3ELb0ES6_jNS0_17counting_iteratorIjlEEPS9_SE_NS0_5tupleIJPjSE_EEENSF_IJSE_SE_EEES9_SG_JZNS1_25segmented_radix_sort_implINS0_14default_configELb0EPKlPlSM_SN_N2at6native12_GLOBAL__N_18offset_tEEE10hipError_tPvRmT1_PNSt15iterator_traitsISV_E10value_typeET2_T3_PNSW_IS11_E10value_typeET4_jRbjT5_S17_jjP12ihipStream_tbEUljE_EEESS_ST_SU_S11_S15_S17_T6_T7_T9_mT8_S19_bDpT10_ENKUlT_T0_E_clISt17integral_constantIbLb0EES1L_IbLb1EEEEDaS1H_S1I_EUlS1H_E_NS1_11comp_targetILNS1_3genE4ELNS1_11target_archE910ELNS1_3gpuE8ELNS1_3repE0EEENS1_30default_config_static_selectorELNS0_4arch9wavefront6targetE0EEEvSV_.has_dyn_sized_stack, 0
	.set _ZN7rocprim17ROCPRIM_400000_NS6detail17trampoline_kernelINS0_13select_configILj256ELj13ELNS0_17block_load_methodE3ELS4_3ELS4_3ELNS0_20block_scan_algorithmE0ELj4294967295EEENS1_25partition_config_selectorILNS1_17partition_subalgoE3EjNS0_10empty_typeEbEEZZNS1_14partition_implILS8_3ELb0ES6_jNS0_17counting_iteratorIjlEEPS9_SE_NS0_5tupleIJPjSE_EEENSF_IJSE_SE_EEES9_SG_JZNS1_25segmented_radix_sort_implINS0_14default_configELb0EPKlPlSM_SN_N2at6native12_GLOBAL__N_18offset_tEEE10hipError_tPvRmT1_PNSt15iterator_traitsISV_E10value_typeET2_T3_PNSW_IS11_E10value_typeET4_jRbjT5_S17_jjP12ihipStream_tbEUljE_EEESS_ST_SU_S11_S15_S17_T6_T7_T9_mT8_S19_bDpT10_ENKUlT_T0_E_clISt17integral_constantIbLb0EES1L_IbLb1EEEEDaS1H_S1I_EUlS1H_E_NS1_11comp_targetILNS1_3genE4ELNS1_11target_archE910ELNS1_3gpuE8ELNS1_3repE0EEENS1_30default_config_static_selectorELNS0_4arch9wavefront6targetE0EEEvSV_.has_recursion, 0
	.set _ZN7rocprim17ROCPRIM_400000_NS6detail17trampoline_kernelINS0_13select_configILj256ELj13ELNS0_17block_load_methodE3ELS4_3ELS4_3ELNS0_20block_scan_algorithmE0ELj4294967295EEENS1_25partition_config_selectorILNS1_17partition_subalgoE3EjNS0_10empty_typeEbEEZZNS1_14partition_implILS8_3ELb0ES6_jNS0_17counting_iteratorIjlEEPS9_SE_NS0_5tupleIJPjSE_EEENSF_IJSE_SE_EEES9_SG_JZNS1_25segmented_radix_sort_implINS0_14default_configELb0EPKlPlSM_SN_N2at6native12_GLOBAL__N_18offset_tEEE10hipError_tPvRmT1_PNSt15iterator_traitsISV_E10value_typeET2_T3_PNSW_IS11_E10value_typeET4_jRbjT5_S17_jjP12ihipStream_tbEUljE_EEESS_ST_SU_S11_S15_S17_T6_T7_T9_mT8_S19_bDpT10_ENKUlT_T0_E_clISt17integral_constantIbLb0EES1L_IbLb1EEEEDaS1H_S1I_EUlS1H_E_NS1_11comp_targetILNS1_3genE4ELNS1_11target_archE910ELNS1_3gpuE8ELNS1_3repE0EEENS1_30default_config_static_selectorELNS0_4arch9wavefront6targetE0EEEvSV_.has_indirect_call, 0
	.section	.AMDGPU.csdata,"",@progbits
; Kernel info:
; codeLenInByte = 0
; TotalNumSgprs: 0
; NumVgprs: 0
; ScratchSize: 0
; MemoryBound: 0
; FloatMode: 240
; IeeeMode: 1
; LDSByteSize: 0 bytes/workgroup (compile time only)
; SGPRBlocks: 0
; VGPRBlocks: 0
; NumSGPRsForWavesPerEU: 1
; NumVGPRsForWavesPerEU: 1
; Occupancy: 16
; WaveLimiterHint : 0
; COMPUTE_PGM_RSRC2:SCRATCH_EN: 0
; COMPUTE_PGM_RSRC2:USER_SGPR: 2
; COMPUTE_PGM_RSRC2:TRAP_HANDLER: 0
; COMPUTE_PGM_RSRC2:TGID_X_EN: 1
; COMPUTE_PGM_RSRC2:TGID_Y_EN: 0
; COMPUTE_PGM_RSRC2:TGID_Z_EN: 0
; COMPUTE_PGM_RSRC2:TIDIG_COMP_CNT: 0
	.section	.text._ZN7rocprim17ROCPRIM_400000_NS6detail17trampoline_kernelINS0_13select_configILj256ELj13ELNS0_17block_load_methodE3ELS4_3ELS4_3ELNS0_20block_scan_algorithmE0ELj4294967295EEENS1_25partition_config_selectorILNS1_17partition_subalgoE3EjNS0_10empty_typeEbEEZZNS1_14partition_implILS8_3ELb0ES6_jNS0_17counting_iteratorIjlEEPS9_SE_NS0_5tupleIJPjSE_EEENSF_IJSE_SE_EEES9_SG_JZNS1_25segmented_radix_sort_implINS0_14default_configELb0EPKlPlSM_SN_N2at6native12_GLOBAL__N_18offset_tEEE10hipError_tPvRmT1_PNSt15iterator_traitsISV_E10value_typeET2_T3_PNSW_IS11_E10value_typeET4_jRbjT5_S17_jjP12ihipStream_tbEUljE_EEESS_ST_SU_S11_S15_S17_T6_T7_T9_mT8_S19_bDpT10_ENKUlT_T0_E_clISt17integral_constantIbLb0EES1L_IbLb1EEEEDaS1H_S1I_EUlS1H_E_NS1_11comp_targetILNS1_3genE3ELNS1_11target_archE908ELNS1_3gpuE7ELNS1_3repE0EEENS1_30default_config_static_selectorELNS0_4arch9wavefront6targetE0EEEvSV_,"axG",@progbits,_ZN7rocprim17ROCPRIM_400000_NS6detail17trampoline_kernelINS0_13select_configILj256ELj13ELNS0_17block_load_methodE3ELS4_3ELS4_3ELNS0_20block_scan_algorithmE0ELj4294967295EEENS1_25partition_config_selectorILNS1_17partition_subalgoE3EjNS0_10empty_typeEbEEZZNS1_14partition_implILS8_3ELb0ES6_jNS0_17counting_iteratorIjlEEPS9_SE_NS0_5tupleIJPjSE_EEENSF_IJSE_SE_EEES9_SG_JZNS1_25segmented_radix_sort_implINS0_14default_configELb0EPKlPlSM_SN_N2at6native12_GLOBAL__N_18offset_tEEE10hipError_tPvRmT1_PNSt15iterator_traitsISV_E10value_typeET2_T3_PNSW_IS11_E10value_typeET4_jRbjT5_S17_jjP12ihipStream_tbEUljE_EEESS_ST_SU_S11_S15_S17_T6_T7_T9_mT8_S19_bDpT10_ENKUlT_T0_E_clISt17integral_constantIbLb0EES1L_IbLb1EEEEDaS1H_S1I_EUlS1H_E_NS1_11comp_targetILNS1_3genE3ELNS1_11target_archE908ELNS1_3gpuE7ELNS1_3repE0EEENS1_30default_config_static_selectorELNS0_4arch9wavefront6targetE0EEEvSV_,comdat
	.globl	_ZN7rocprim17ROCPRIM_400000_NS6detail17trampoline_kernelINS0_13select_configILj256ELj13ELNS0_17block_load_methodE3ELS4_3ELS4_3ELNS0_20block_scan_algorithmE0ELj4294967295EEENS1_25partition_config_selectorILNS1_17partition_subalgoE3EjNS0_10empty_typeEbEEZZNS1_14partition_implILS8_3ELb0ES6_jNS0_17counting_iteratorIjlEEPS9_SE_NS0_5tupleIJPjSE_EEENSF_IJSE_SE_EEES9_SG_JZNS1_25segmented_radix_sort_implINS0_14default_configELb0EPKlPlSM_SN_N2at6native12_GLOBAL__N_18offset_tEEE10hipError_tPvRmT1_PNSt15iterator_traitsISV_E10value_typeET2_T3_PNSW_IS11_E10value_typeET4_jRbjT5_S17_jjP12ihipStream_tbEUljE_EEESS_ST_SU_S11_S15_S17_T6_T7_T9_mT8_S19_bDpT10_ENKUlT_T0_E_clISt17integral_constantIbLb0EES1L_IbLb1EEEEDaS1H_S1I_EUlS1H_E_NS1_11comp_targetILNS1_3genE3ELNS1_11target_archE908ELNS1_3gpuE7ELNS1_3repE0EEENS1_30default_config_static_selectorELNS0_4arch9wavefront6targetE0EEEvSV_ ; -- Begin function _ZN7rocprim17ROCPRIM_400000_NS6detail17trampoline_kernelINS0_13select_configILj256ELj13ELNS0_17block_load_methodE3ELS4_3ELS4_3ELNS0_20block_scan_algorithmE0ELj4294967295EEENS1_25partition_config_selectorILNS1_17partition_subalgoE3EjNS0_10empty_typeEbEEZZNS1_14partition_implILS8_3ELb0ES6_jNS0_17counting_iteratorIjlEEPS9_SE_NS0_5tupleIJPjSE_EEENSF_IJSE_SE_EEES9_SG_JZNS1_25segmented_radix_sort_implINS0_14default_configELb0EPKlPlSM_SN_N2at6native12_GLOBAL__N_18offset_tEEE10hipError_tPvRmT1_PNSt15iterator_traitsISV_E10value_typeET2_T3_PNSW_IS11_E10value_typeET4_jRbjT5_S17_jjP12ihipStream_tbEUljE_EEESS_ST_SU_S11_S15_S17_T6_T7_T9_mT8_S19_bDpT10_ENKUlT_T0_E_clISt17integral_constantIbLb0EES1L_IbLb1EEEEDaS1H_S1I_EUlS1H_E_NS1_11comp_targetILNS1_3genE3ELNS1_11target_archE908ELNS1_3gpuE7ELNS1_3repE0EEENS1_30default_config_static_selectorELNS0_4arch9wavefront6targetE0EEEvSV_
	.p2align	8
	.type	_ZN7rocprim17ROCPRIM_400000_NS6detail17trampoline_kernelINS0_13select_configILj256ELj13ELNS0_17block_load_methodE3ELS4_3ELS4_3ELNS0_20block_scan_algorithmE0ELj4294967295EEENS1_25partition_config_selectorILNS1_17partition_subalgoE3EjNS0_10empty_typeEbEEZZNS1_14partition_implILS8_3ELb0ES6_jNS0_17counting_iteratorIjlEEPS9_SE_NS0_5tupleIJPjSE_EEENSF_IJSE_SE_EEES9_SG_JZNS1_25segmented_radix_sort_implINS0_14default_configELb0EPKlPlSM_SN_N2at6native12_GLOBAL__N_18offset_tEEE10hipError_tPvRmT1_PNSt15iterator_traitsISV_E10value_typeET2_T3_PNSW_IS11_E10value_typeET4_jRbjT5_S17_jjP12ihipStream_tbEUljE_EEESS_ST_SU_S11_S15_S17_T6_T7_T9_mT8_S19_bDpT10_ENKUlT_T0_E_clISt17integral_constantIbLb0EES1L_IbLb1EEEEDaS1H_S1I_EUlS1H_E_NS1_11comp_targetILNS1_3genE3ELNS1_11target_archE908ELNS1_3gpuE7ELNS1_3repE0EEENS1_30default_config_static_selectorELNS0_4arch9wavefront6targetE0EEEvSV_,@function
_ZN7rocprim17ROCPRIM_400000_NS6detail17trampoline_kernelINS0_13select_configILj256ELj13ELNS0_17block_load_methodE3ELS4_3ELS4_3ELNS0_20block_scan_algorithmE0ELj4294967295EEENS1_25partition_config_selectorILNS1_17partition_subalgoE3EjNS0_10empty_typeEbEEZZNS1_14partition_implILS8_3ELb0ES6_jNS0_17counting_iteratorIjlEEPS9_SE_NS0_5tupleIJPjSE_EEENSF_IJSE_SE_EEES9_SG_JZNS1_25segmented_radix_sort_implINS0_14default_configELb0EPKlPlSM_SN_N2at6native12_GLOBAL__N_18offset_tEEE10hipError_tPvRmT1_PNSt15iterator_traitsISV_E10value_typeET2_T3_PNSW_IS11_E10value_typeET4_jRbjT5_S17_jjP12ihipStream_tbEUljE_EEESS_ST_SU_S11_S15_S17_T6_T7_T9_mT8_S19_bDpT10_ENKUlT_T0_E_clISt17integral_constantIbLb0EES1L_IbLb1EEEEDaS1H_S1I_EUlS1H_E_NS1_11comp_targetILNS1_3genE3ELNS1_11target_archE908ELNS1_3gpuE7ELNS1_3repE0EEENS1_30default_config_static_selectorELNS0_4arch9wavefront6targetE0EEEvSV_: ; @_ZN7rocprim17ROCPRIM_400000_NS6detail17trampoline_kernelINS0_13select_configILj256ELj13ELNS0_17block_load_methodE3ELS4_3ELS4_3ELNS0_20block_scan_algorithmE0ELj4294967295EEENS1_25partition_config_selectorILNS1_17partition_subalgoE3EjNS0_10empty_typeEbEEZZNS1_14partition_implILS8_3ELb0ES6_jNS0_17counting_iteratorIjlEEPS9_SE_NS0_5tupleIJPjSE_EEENSF_IJSE_SE_EEES9_SG_JZNS1_25segmented_radix_sort_implINS0_14default_configELb0EPKlPlSM_SN_N2at6native12_GLOBAL__N_18offset_tEEE10hipError_tPvRmT1_PNSt15iterator_traitsISV_E10value_typeET2_T3_PNSW_IS11_E10value_typeET4_jRbjT5_S17_jjP12ihipStream_tbEUljE_EEESS_ST_SU_S11_S15_S17_T6_T7_T9_mT8_S19_bDpT10_ENKUlT_T0_E_clISt17integral_constantIbLb0EES1L_IbLb1EEEEDaS1H_S1I_EUlS1H_E_NS1_11comp_targetILNS1_3genE3ELNS1_11target_archE908ELNS1_3gpuE7ELNS1_3repE0EEENS1_30default_config_static_selectorELNS0_4arch9wavefront6targetE0EEEvSV_
; %bb.0:
	.section	.rodata,"a",@progbits
	.p2align	6, 0x0
	.amdhsa_kernel _ZN7rocprim17ROCPRIM_400000_NS6detail17trampoline_kernelINS0_13select_configILj256ELj13ELNS0_17block_load_methodE3ELS4_3ELS4_3ELNS0_20block_scan_algorithmE0ELj4294967295EEENS1_25partition_config_selectorILNS1_17partition_subalgoE3EjNS0_10empty_typeEbEEZZNS1_14partition_implILS8_3ELb0ES6_jNS0_17counting_iteratorIjlEEPS9_SE_NS0_5tupleIJPjSE_EEENSF_IJSE_SE_EEES9_SG_JZNS1_25segmented_radix_sort_implINS0_14default_configELb0EPKlPlSM_SN_N2at6native12_GLOBAL__N_18offset_tEEE10hipError_tPvRmT1_PNSt15iterator_traitsISV_E10value_typeET2_T3_PNSW_IS11_E10value_typeET4_jRbjT5_S17_jjP12ihipStream_tbEUljE_EEESS_ST_SU_S11_S15_S17_T6_T7_T9_mT8_S19_bDpT10_ENKUlT_T0_E_clISt17integral_constantIbLb0EES1L_IbLb1EEEEDaS1H_S1I_EUlS1H_E_NS1_11comp_targetILNS1_3genE3ELNS1_11target_archE908ELNS1_3gpuE7ELNS1_3repE0EEENS1_30default_config_static_selectorELNS0_4arch9wavefront6targetE0EEEvSV_
		.amdhsa_group_segment_fixed_size 0
		.amdhsa_private_segment_fixed_size 0
		.amdhsa_kernarg_size 152
		.amdhsa_user_sgpr_count 2
		.amdhsa_user_sgpr_dispatch_ptr 0
		.amdhsa_user_sgpr_queue_ptr 0
		.amdhsa_user_sgpr_kernarg_segment_ptr 1
		.amdhsa_user_sgpr_dispatch_id 0
		.amdhsa_user_sgpr_private_segment_size 0
		.amdhsa_wavefront_size32 1
		.amdhsa_uses_dynamic_stack 0
		.amdhsa_enable_private_segment 0
		.amdhsa_system_sgpr_workgroup_id_x 1
		.amdhsa_system_sgpr_workgroup_id_y 0
		.amdhsa_system_sgpr_workgroup_id_z 0
		.amdhsa_system_sgpr_workgroup_info 0
		.amdhsa_system_vgpr_workitem_id 0
		.amdhsa_next_free_vgpr 1
		.amdhsa_next_free_sgpr 1
		.amdhsa_reserve_vcc 0
		.amdhsa_float_round_mode_32 0
		.amdhsa_float_round_mode_16_64 0
		.amdhsa_float_denorm_mode_32 3
		.amdhsa_float_denorm_mode_16_64 3
		.amdhsa_fp16_overflow 0
		.amdhsa_workgroup_processor_mode 1
		.amdhsa_memory_ordered 1
		.amdhsa_forward_progress 1
		.amdhsa_inst_pref_size 0
		.amdhsa_round_robin_scheduling 0
		.amdhsa_exception_fp_ieee_invalid_op 0
		.amdhsa_exception_fp_denorm_src 0
		.amdhsa_exception_fp_ieee_div_zero 0
		.amdhsa_exception_fp_ieee_overflow 0
		.amdhsa_exception_fp_ieee_underflow 0
		.amdhsa_exception_fp_ieee_inexact 0
		.amdhsa_exception_int_div_zero 0
	.end_amdhsa_kernel
	.section	.text._ZN7rocprim17ROCPRIM_400000_NS6detail17trampoline_kernelINS0_13select_configILj256ELj13ELNS0_17block_load_methodE3ELS4_3ELS4_3ELNS0_20block_scan_algorithmE0ELj4294967295EEENS1_25partition_config_selectorILNS1_17partition_subalgoE3EjNS0_10empty_typeEbEEZZNS1_14partition_implILS8_3ELb0ES6_jNS0_17counting_iteratorIjlEEPS9_SE_NS0_5tupleIJPjSE_EEENSF_IJSE_SE_EEES9_SG_JZNS1_25segmented_radix_sort_implINS0_14default_configELb0EPKlPlSM_SN_N2at6native12_GLOBAL__N_18offset_tEEE10hipError_tPvRmT1_PNSt15iterator_traitsISV_E10value_typeET2_T3_PNSW_IS11_E10value_typeET4_jRbjT5_S17_jjP12ihipStream_tbEUljE_EEESS_ST_SU_S11_S15_S17_T6_T7_T9_mT8_S19_bDpT10_ENKUlT_T0_E_clISt17integral_constantIbLb0EES1L_IbLb1EEEEDaS1H_S1I_EUlS1H_E_NS1_11comp_targetILNS1_3genE3ELNS1_11target_archE908ELNS1_3gpuE7ELNS1_3repE0EEENS1_30default_config_static_selectorELNS0_4arch9wavefront6targetE0EEEvSV_,"axG",@progbits,_ZN7rocprim17ROCPRIM_400000_NS6detail17trampoline_kernelINS0_13select_configILj256ELj13ELNS0_17block_load_methodE3ELS4_3ELS4_3ELNS0_20block_scan_algorithmE0ELj4294967295EEENS1_25partition_config_selectorILNS1_17partition_subalgoE3EjNS0_10empty_typeEbEEZZNS1_14partition_implILS8_3ELb0ES6_jNS0_17counting_iteratorIjlEEPS9_SE_NS0_5tupleIJPjSE_EEENSF_IJSE_SE_EEES9_SG_JZNS1_25segmented_radix_sort_implINS0_14default_configELb0EPKlPlSM_SN_N2at6native12_GLOBAL__N_18offset_tEEE10hipError_tPvRmT1_PNSt15iterator_traitsISV_E10value_typeET2_T3_PNSW_IS11_E10value_typeET4_jRbjT5_S17_jjP12ihipStream_tbEUljE_EEESS_ST_SU_S11_S15_S17_T6_T7_T9_mT8_S19_bDpT10_ENKUlT_T0_E_clISt17integral_constantIbLb0EES1L_IbLb1EEEEDaS1H_S1I_EUlS1H_E_NS1_11comp_targetILNS1_3genE3ELNS1_11target_archE908ELNS1_3gpuE7ELNS1_3repE0EEENS1_30default_config_static_selectorELNS0_4arch9wavefront6targetE0EEEvSV_,comdat
.Lfunc_end802:
	.size	_ZN7rocprim17ROCPRIM_400000_NS6detail17trampoline_kernelINS0_13select_configILj256ELj13ELNS0_17block_load_methodE3ELS4_3ELS4_3ELNS0_20block_scan_algorithmE0ELj4294967295EEENS1_25partition_config_selectorILNS1_17partition_subalgoE3EjNS0_10empty_typeEbEEZZNS1_14partition_implILS8_3ELb0ES6_jNS0_17counting_iteratorIjlEEPS9_SE_NS0_5tupleIJPjSE_EEENSF_IJSE_SE_EEES9_SG_JZNS1_25segmented_radix_sort_implINS0_14default_configELb0EPKlPlSM_SN_N2at6native12_GLOBAL__N_18offset_tEEE10hipError_tPvRmT1_PNSt15iterator_traitsISV_E10value_typeET2_T3_PNSW_IS11_E10value_typeET4_jRbjT5_S17_jjP12ihipStream_tbEUljE_EEESS_ST_SU_S11_S15_S17_T6_T7_T9_mT8_S19_bDpT10_ENKUlT_T0_E_clISt17integral_constantIbLb0EES1L_IbLb1EEEEDaS1H_S1I_EUlS1H_E_NS1_11comp_targetILNS1_3genE3ELNS1_11target_archE908ELNS1_3gpuE7ELNS1_3repE0EEENS1_30default_config_static_selectorELNS0_4arch9wavefront6targetE0EEEvSV_, .Lfunc_end802-_ZN7rocprim17ROCPRIM_400000_NS6detail17trampoline_kernelINS0_13select_configILj256ELj13ELNS0_17block_load_methodE3ELS4_3ELS4_3ELNS0_20block_scan_algorithmE0ELj4294967295EEENS1_25partition_config_selectorILNS1_17partition_subalgoE3EjNS0_10empty_typeEbEEZZNS1_14partition_implILS8_3ELb0ES6_jNS0_17counting_iteratorIjlEEPS9_SE_NS0_5tupleIJPjSE_EEENSF_IJSE_SE_EEES9_SG_JZNS1_25segmented_radix_sort_implINS0_14default_configELb0EPKlPlSM_SN_N2at6native12_GLOBAL__N_18offset_tEEE10hipError_tPvRmT1_PNSt15iterator_traitsISV_E10value_typeET2_T3_PNSW_IS11_E10value_typeET4_jRbjT5_S17_jjP12ihipStream_tbEUljE_EEESS_ST_SU_S11_S15_S17_T6_T7_T9_mT8_S19_bDpT10_ENKUlT_T0_E_clISt17integral_constantIbLb0EES1L_IbLb1EEEEDaS1H_S1I_EUlS1H_E_NS1_11comp_targetILNS1_3genE3ELNS1_11target_archE908ELNS1_3gpuE7ELNS1_3repE0EEENS1_30default_config_static_selectorELNS0_4arch9wavefront6targetE0EEEvSV_
                                        ; -- End function
	.set _ZN7rocprim17ROCPRIM_400000_NS6detail17trampoline_kernelINS0_13select_configILj256ELj13ELNS0_17block_load_methodE3ELS4_3ELS4_3ELNS0_20block_scan_algorithmE0ELj4294967295EEENS1_25partition_config_selectorILNS1_17partition_subalgoE3EjNS0_10empty_typeEbEEZZNS1_14partition_implILS8_3ELb0ES6_jNS0_17counting_iteratorIjlEEPS9_SE_NS0_5tupleIJPjSE_EEENSF_IJSE_SE_EEES9_SG_JZNS1_25segmented_radix_sort_implINS0_14default_configELb0EPKlPlSM_SN_N2at6native12_GLOBAL__N_18offset_tEEE10hipError_tPvRmT1_PNSt15iterator_traitsISV_E10value_typeET2_T3_PNSW_IS11_E10value_typeET4_jRbjT5_S17_jjP12ihipStream_tbEUljE_EEESS_ST_SU_S11_S15_S17_T6_T7_T9_mT8_S19_bDpT10_ENKUlT_T0_E_clISt17integral_constantIbLb0EES1L_IbLb1EEEEDaS1H_S1I_EUlS1H_E_NS1_11comp_targetILNS1_3genE3ELNS1_11target_archE908ELNS1_3gpuE7ELNS1_3repE0EEENS1_30default_config_static_selectorELNS0_4arch9wavefront6targetE0EEEvSV_.num_vgpr, 0
	.set _ZN7rocprim17ROCPRIM_400000_NS6detail17trampoline_kernelINS0_13select_configILj256ELj13ELNS0_17block_load_methodE3ELS4_3ELS4_3ELNS0_20block_scan_algorithmE0ELj4294967295EEENS1_25partition_config_selectorILNS1_17partition_subalgoE3EjNS0_10empty_typeEbEEZZNS1_14partition_implILS8_3ELb0ES6_jNS0_17counting_iteratorIjlEEPS9_SE_NS0_5tupleIJPjSE_EEENSF_IJSE_SE_EEES9_SG_JZNS1_25segmented_radix_sort_implINS0_14default_configELb0EPKlPlSM_SN_N2at6native12_GLOBAL__N_18offset_tEEE10hipError_tPvRmT1_PNSt15iterator_traitsISV_E10value_typeET2_T3_PNSW_IS11_E10value_typeET4_jRbjT5_S17_jjP12ihipStream_tbEUljE_EEESS_ST_SU_S11_S15_S17_T6_T7_T9_mT8_S19_bDpT10_ENKUlT_T0_E_clISt17integral_constantIbLb0EES1L_IbLb1EEEEDaS1H_S1I_EUlS1H_E_NS1_11comp_targetILNS1_3genE3ELNS1_11target_archE908ELNS1_3gpuE7ELNS1_3repE0EEENS1_30default_config_static_selectorELNS0_4arch9wavefront6targetE0EEEvSV_.num_agpr, 0
	.set _ZN7rocprim17ROCPRIM_400000_NS6detail17trampoline_kernelINS0_13select_configILj256ELj13ELNS0_17block_load_methodE3ELS4_3ELS4_3ELNS0_20block_scan_algorithmE0ELj4294967295EEENS1_25partition_config_selectorILNS1_17partition_subalgoE3EjNS0_10empty_typeEbEEZZNS1_14partition_implILS8_3ELb0ES6_jNS0_17counting_iteratorIjlEEPS9_SE_NS0_5tupleIJPjSE_EEENSF_IJSE_SE_EEES9_SG_JZNS1_25segmented_radix_sort_implINS0_14default_configELb0EPKlPlSM_SN_N2at6native12_GLOBAL__N_18offset_tEEE10hipError_tPvRmT1_PNSt15iterator_traitsISV_E10value_typeET2_T3_PNSW_IS11_E10value_typeET4_jRbjT5_S17_jjP12ihipStream_tbEUljE_EEESS_ST_SU_S11_S15_S17_T6_T7_T9_mT8_S19_bDpT10_ENKUlT_T0_E_clISt17integral_constantIbLb0EES1L_IbLb1EEEEDaS1H_S1I_EUlS1H_E_NS1_11comp_targetILNS1_3genE3ELNS1_11target_archE908ELNS1_3gpuE7ELNS1_3repE0EEENS1_30default_config_static_selectorELNS0_4arch9wavefront6targetE0EEEvSV_.numbered_sgpr, 0
	.set _ZN7rocprim17ROCPRIM_400000_NS6detail17trampoline_kernelINS0_13select_configILj256ELj13ELNS0_17block_load_methodE3ELS4_3ELS4_3ELNS0_20block_scan_algorithmE0ELj4294967295EEENS1_25partition_config_selectorILNS1_17partition_subalgoE3EjNS0_10empty_typeEbEEZZNS1_14partition_implILS8_3ELb0ES6_jNS0_17counting_iteratorIjlEEPS9_SE_NS0_5tupleIJPjSE_EEENSF_IJSE_SE_EEES9_SG_JZNS1_25segmented_radix_sort_implINS0_14default_configELb0EPKlPlSM_SN_N2at6native12_GLOBAL__N_18offset_tEEE10hipError_tPvRmT1_PNSt15iterator_traitsISV_E10value_typeET2_T3_PNSW_IS11_E10value_typeET4_jRbjT5_S17_jjP12ihipStream_tbEUljE_EEESS_ST_SU_S11_S15_S17_T6_T7_T9_mT8_S19_bDpT10_ENKUlT_T0_E_clISt17integral_constantIbLb0EES1L_IbLb1EEEEDaS1H_S1I_EUlS1H_E_NS1_11comp_targetILNS1_3genE3ELNS1_11target_archE908ELNS1_3gpuE7ELNS1_3repE0EEENS1_30default_config_static_selectorELNS0_4arch9wavefront6targetE0EEEvSV_.num_named_barrier, 0
	.set _ZN7rocprim17ROCPRIM_400000_NS6detail17trampoline_kernelINS0_13select_configILj256ELj13ELNS0_17block_load_methodE3ELS4_3ELS4_3ELNS0_20block_scan_algorithmE0ELj4294967295EEENS1_25partition_config_selectorILNS1_17partition_subalgoE3EjNS0_10empty_typeEbEEZZNS1_14partition_implILS8_3ELb0ES6_jNS0_17counting_iteratorIjlEEPS9_SE_NS0_5tupleIJPjSE_EEENSF_IJSE_SE_EEES9_SG_JZNS1_25segmented_radix_sort_implINS0_14default_configELb0EPKlPlSM_SN_N2at6native12_GLOBAL__N_18offset_tEEE10hipError_tPvRmT1_PNSt15iterator_traitsISV_E10value_typeET2_T3_PNSW_IS11_E10value_typeET4_jRbjT5_S17_jjP12ihipStream_tbEUljE_EEESS_ST_SU_S11_S15_S17_T6_T7_T9_mT8_S19_bDpT10_ENKUlT_T0_E_clISt17integral_constantIbLb0EES1L_IbLb1EEEEDaS1H_S1I_EUlS1H_E_NS1_11comp_targetILNS1_3genE3ELNS1_11target_archE908ELNS1_3gpuE7ELNS1_3repE0EEENS1_30default_config_static_selectorELNS0_4arch9wavefront6targetE0EEEvSV_.private_seg_size, 0
	.set _ZN7rocprim17ROCPRIM_400000_NS6detail17trampoline_kernelINS0_13select_configILj256ELj13ELNS0_17block_load_methodE3ELS4_3ELS4_3ELNS0_20block_scan_algorithmE0ELj4294967295EEENS1_25partition_config_selectorILNS1_17partition_subalgoE3EjNS0_10empty_typeEbEEZZNS1_14partition_implILS8_3ELb0ES6_jNS0_17counting_iteratorIjlEEPS9_SE_NS0_5tupleIJPjSE_EEENSF_IJSE_SE_EEES9_SG_JZNS1_25segmented_radix_sort_implINS0_14default_configELb0EPKlPlSM_SN_N2at6native12_GLOBAL__N_18offset_tEEE10hipError_tPvRmT1_PNSt15iterator_traitsISV_E10value_typeET2_T3_PNSW_IS11_E10value_typeET4_jRbjT5_S17_jjP12ihipStream_tbEUljE_EEESS_ST_SU_S11_S15_S17_T6_T7_T9_mT8_S19_bDpT10_ENKUlT_T0_E_clISt17integral_constantIbLb0EES1L_IbLb1EEEEDaS1H_S1I_EUlS1H_E_NS1_11comp_targetILNS1_3genE3ELNS1_11target_archE908ELNS1_3gpuE7ELNS1_3repE0EEENS1_30default_config_static_selectorELNS0_4arch9wavefront6targetE0EEEvSV_.uses_vcc, 0
	.set _ZN7rocprim17ROCPRIM_400000_NS6detail17trampoline_kernelINS0_13select_configILj256ELj13ELNS0_17block_load_methodE3ELS4_3ELS4_3ELNS0_20block_scan_algorithmE0ELj4294967295EEENS1_25partition_config_selectorILNS1_17partition_subalgoE3EjNS0_10empty_typeEbEEZZNS1_14partition_implILS8_3ELb0ES6_jNS0_17counting_iteratorIjlEEPS9_SE_NS0_5tupleIJPjSE_EEENSF_IJSE_SE_EEES9_SG_JZNS1_25segmented_radix_sort_implINS0_14default_configELb0EPKlPlSM_SN_N2at6native12_GLOBAL__N_18offset_tEEE10hipError_tPvRmT1_PNSt15iterator_traitsISV_E10value_typeET2_T3_PNSW_IS11_E10value_typeET4_jRbjT5_S17_jjP12ihipStream_tbEUljE_EEESS_ST_SU_S11_S15_S17_T6_T7_T9_mT8_S19_bDpT10_ENKUlT_T0_E_clISt17integral_constantIbLb0EES1L_IbLb1EEEEDaS1H_S1I_EUlS1H_E_NS1_11comp_targetILNS1_3genE3ELNS1_11target_archE908ELNS1_3gpuE7ELNS1_3repE0EEENS1_30default_config_static_selectorELNS0_4arch9wavefront6targetE0EEEvSV_.uses_flat_scratch, 0
	.set _ZN7rocprim17ROCPRIM_400000_NS6detail17trampoline_kernelINS0_13select_configILj256ELj13ELNS0_17block_load_methodE3ELS4_3ELS4_3ELNS0_20block_scan_algorithmE0ELj4294967295EEENS1_25partition_config_selectorILNS1_17partition_subalgoE3EjNS0_10empty_typeEbEEZZNS1_14partition_implILS8_3ELb0ES6_jNS0_17counting_iteratorIjlEEPS9_SE_NS0_5tupleIJPjSE_EEENSF_IJSE_SE_EEES9_SG_JZNS1_25segmented_radix_sort_implINS0_14default_configELb0EPKlPlSM_SN_N2at6native12_GLOBAL__N_18offset_tEEE10hipError_tPvRmT1_PNSt15iterator_traitsISV_E10value_typeET2_T3_PNSW_IS11_E10value_typeET4_jRbjT5_S17_jjP12ihipStream_tbEUljE_EEESS_ST_SU_S11_S15_S17_T6_T7_T9_mT8_S19_bDpT10_ENKUlT_T0_E_clISt17integral_constantIbLb0EES1L_IbLb1EEEEDaS1H_S1I_EUlS1H_E_NS1_11comp_targetILNS1_3genE3ELNS1_11target_archE908ELNS1_3gpuE7ELNS1_3repE0EEENS1_30default_config_static_selectorELNS0_4arch9wavefront6targetE0EEEvSV_.has_dyn_sized_stack, 0
	.set _ZN7rocprim17ROCPRIM_400000_NS6detail17trampoline_kernelINS0_13select_configILj256ELj13ELNS0_17block_load_methodE3ELS4_3ELS4_3ELNS0_20block_scan_algorithmE0ELj4294967295EEENS1_25partition_config_selectorILNS1_17partition_subalgoE3EjNS0_10empty_typeEbEEZZNS1_14partition_implILS8_3ELb0ES6_jNS0_17counting_iteratorIjlEEPS9_SE_NS0_5tupleIJPjSE_EEENSF_IJSE_SE_EEES9_SG_JZNS1_25segmented_radix_sort_implINS0_14default_configELb0EPKlPlSM_SN_N2at6native12_GLOBAL__N_18offset_tEEE10hipError_tPvRmT1_PNSt15iterator_traitsISV_E10value_typeET2_T3_PNSW_IS11_E10value_typeET4_jRbjT5_S17_jjP12ihipStream_tbEUljE_EEESS_ST_SU_S11_S15_S17_T6_T7_T9_mT8_S19_bDpT10_ENKUlT_T0_E_clISt17integral_constantIbLb0EES1L_IbLb1EEEEDaS1H_S1I_EUlS1H_E_NS1_11comp_targetILNS1_3genE3ELNS1_11target_archE908ELNS1_3gpuE7ELNS1_3repE0EEENS1_30default_config_static_selectorELNS0_4arch9wavefront6targetE0EEEvSV_.has_recursion, 0
	.set _ZN7rocprim17ROCPRIM_400000_NS6detail17trampoline_kernelINS0_13select_configILj256ELj13ELNS0_17block_load_methodE3ELS4_3ELS4_3ELNS0_20block_scan_algorithmE0ELj4294967295EEENS1_25partition_config_selectorILNS1_17partition_subalgoE3EjNS0_10empty_typeEbEEZZNS1_14partition_implILS8_3ELb0ES6_jNS0_17counting_iteratorIjlEEPS9_SE_NS0_5tupleIJPjSE_EEENSF_IJSE_SE_EEES9_SG_JZNS1_25segmented_radix_sort_implINS0_14default_configELb0EPKlPlSM_SN_N2at6native12_GLOBAL__N_18offset_tEEE10hipError_tPvRmT1_PNSt15iterator_traitsISV_E10value_typeET2_T3_PNSW_IS11_E10value_typeET4_jRbjT5_S17_jjP12ihipStream_tbEUljE_EEESS_ST_SU_S11_S15_S17_T6_T7_T9_mT8_S19_bDpT10_ENKUlT_T0_E_clISt17integral_constantIbLb0EES1L_IbLb1EEEEDaS1H_S1I_EUlS1H_E_NS1_11comp_targetILNS1_3genE3ELNS1_11target_archE908ELNS1_3gpuE7ELNS1_3repE0EEENS1_30default_config_static_selectorELNS0_4arch9wavefront6targetE0EEEvSV_.has_indirect_call, 0
	.section	.AMDGPU.csdata,"",@progbits
; Kernel info:
; codeLenInByte = 0
; TotalNumSgprs: 0
; NumVgprs: 0
; ScratchSize: 0
; MemoryBound: 0
; FloatMode: 240
; IeeeMode: 1
; LDSByteSize: 0 bytes/workgroup (compile time only)
; SGPRBlocks: 0
; VGPRBlocks: 0
; NumSGPRsForWavesPerEU: 1
; NumVGPRsForWavesPerEU: 1
; Occupancy: 16
; WaveLimiterHint : 0
; COMPUTE_PGM_RSRC2:SCRATCH_EN: 0
; COMPUTE_PGM_RSRC2:USER_SGPR: 2
; COMPUTE_PGM_RSRC2:TRAP_HANDLER: 0
; COMPUTE_PGM_RSRC2:TGID_X_EN: 1
; COMPUTE_PGM_RSRC2:TGID_Y_EN: 0
; COMPUTE_PGM_RSRC2:TGID_Z_EN: 0
; COMPUTE_PGM_RSRC2:TIDIG_COMP_CNT: 0
	.section	.text._ZN7rocprim17ROCPRIM_400000_NS6detail17trampoline_kernelINS0_13select_configILj256ELj13ELNS0_17block_load_methodE3ELS4_3ELS4_3ELNS0_20block_scan_algorithmE0ELj4294967295EEENS1_25partition_config_selectorILNS1_17partition_subalgoE3EjNS0_10empty_typeEbEEZZNS1_14partition_implILS8_3ELb0ES6_jNS0_17counting_iteratorIjlEEPS9_SE_NS0_5tupleIJPjSE_EEENSF_IJSE_SE_EEES9_SG_JZNS1_25segmented_radix_sort_implINS0_14default_configELb0EPKlPlSM_SN_N2at6native12_GLOBAL__N_18offset_tEEE10hipError_tPvRmT1_PNSt15iterator_traitsISV_E10value_typeET2_T3_PNSW_IS11_E10value_typeET4_jRbjT5_S17_jjP12ihipStream_tbEUljE_EEESS_ST_SU_S11_S15_S17_T6_T7_T9_mT8_S19_bDpT10_ENKUlT_T0_E_clISt17integral_constantIbLb0EES1L_IbLb1EEEEDaS1H_S1I_EUlS1H_E_NS1_11comp_targetILNS1_3genE2ELNS1_11target_archE906ELNS1_3gpuE6ELNS1_3repE0EEENS1_30default_config_static_selectorELNS0_4arch9wavefront6targetE0EEEvSV_,"axG",@progbits,_ZN7rocprim17ROCPRIM_400000_NS6detail17trampoline_kernelINS0_13select_configILj256ELj13ELNS0_17block_load_methodE3ELS4_3ELS4_3ELNS0_20block_scan_algorithmE0ELj4294967295EEENS1_25partition_config_selectorILNS1_17partition_subalgoE3EjNS0_10empty_typeEbEEZZNS1_14partition_implILS8_3ELb0ES6_jNS0_17counting_iteratorIjlEEPS9_SE_NS0_5tupleIJPjSE_EEENSF_IJSE_SE_EEES9_SG_JZNS1_25segmented_radix_sort_implINS0_14default_configELb0EPKlPlSM_SN_N2at6native12_GLOBAL__N_18offset_tEEE10hipError_tPvRmT1_PNSt15iterator_traitsISV_E10value_typeET2_T3_PNSW_IS11_E10value_typeET4_jRbjT5_S17_jjP12ihipStream_tbEUljE_EEESS_ST_SU_S11_S15_S17_T6_T7_T9_mT8_S19_bDpT10_ENKUlT_T0_E_clISt17integral_constantIbLb0EES1L_IbLb1EEEEDaS1H_S1I_EUlS1H_E_NS1_11comp_targetILNS1_3genE2ELNS1_11target_archE906ELNS1_3gpuE6ELNS1_3repE0EEENS1_30default_config_static_selectorELNS0_4arch9wavefront6targetE0EEEvSV_,comdat
	.globl	_ZN7rocprim17ROCPRIM_400000_NS6detail17trampoline_kernelINS0_13select_configILj256ELj13ELNS0_17block_load_methodE3ELS4_3ELS4_3ELNS0_20block_scan_algorithmE0ELj4294967295EEENS1_25partition_config_selectorILNS1_17partition_subalgoE3EjNS0_10empty_typeEbEEZZNS1_14partition_implILS8_3ELb0ES6_jNS0_17counting_iteratorIjlEEPS9_SE_NS0_5tupleIJPjSE_EEENSF_IJSE_SE_EEES9_SG_JZNS1_25segmented_radix_sort_implINS0_14default_configELb0EPKlPlSM_SN_N2at6native12_GLOBAL__N_18offset_tEEE10hipError_tPvRmT1_PNSt15iterator_traitsISV_E10value_typeET2_T3_PNSW_IS11_E10value_typeET4_jRbjT5_S17_jjP12ihipStream_tbEUljE_EEESS_ST_SU_S11_S15_S17_T6_T7_T9_mT8_S19_bDpT10_ENKUlT_T0_E_clISt17integral_constantIbLb0EES1L_IbLb1EEEEDaS1H_S1I_EUlS1H_E_NS1_11comp_targetILNS1_3genE2ELNS1_11target_archE906ELNS1_3gpuE6ELNS1_3repE0EEENS1_30default_config_static_selectorELNS0_4arch9wavefront6targetE0EEEvSV_ ; -- Begin function _ZN7rocprim17ROCPRIM_400000_NS6detail17trampoline_kernelINS0_13select_configILj256ELj13ELNS0_17block_load_methodE3ELS4_3ELS4_3ELNS0_20block_scan_algorithmE0ELj4294967295EEENS1_25partition_config_selectorILNS1_17partition_subalgoE3EjNS0_10empty_typeEbEEZZNS1_14partition_implILS8_3ELb0ES6_jNS0_17counting_iteratorIjlEEPS9_SE_NS0_5tupleIJPjSE_EEENSF_IJSE_SE_EEES9_SG_JZNS1_25segmented_radix_sort_implINS0_14default_configELb0EPKlPlSM_SN_N2at6native12_GLOBAL__N_18offset_tEEE10hipError_tPvRmT1_PNSt15iterator_traitsISV_E10value_typeET2_T3_PNSW_IS11_E10value_typeET4_jRbjT5_S17_jjP12ihipStream_tbEUljE_EEESS_ST_SU_S11_S15_S17_T6_T7_T9_mT8_S19_bDpT10_ENKUlT_T0_E_clISt17integral_constantIbLb0EES1L_IbLb1EEEEDaS1H_S1I_EUlS1H_E_NS1_11comp_targetILNS1_3genE2ELNS1_11target_archE906ELNS1_3gpuE6ELNS1_3repE0EEENS1_30default_config_static_selectorELNS0_4arch9wavefront6targetE0EEEvSV_
	.p2align	8
	.type	_ZN7rocprim17ROCPRIM_400000_NS6detail17trampoline_kernelINS0_13select_configILj256ELj13ELNS0_17block_load_methodE3ELS4_3ELS4_3ELNS0_20block_scan_algorithmE0ELj4294967295EEENS1_25partition_config_selectorILNS1_17partition_subalgoE3EjNS0_10empty_typeEbEEZZNS1_14partition_implILS8_3ELb0ES6_jNS0_17counting_iteratorIjlEEPS9_SE_NS0_5tupleIJPjSE_EEENSF_IJSE_SE_EEES9_SG_JZNS1_25segmented_radix_sort_implINS0_14default_configELb0EPKlPlSM_SN_N2at6native12_GLOBAL__N_18offset_tEEE10hipError_tPvRmT1_PNSt15iterator_traitsISV_E10value_typeET2_T3_PNSW_IS11_E10value_typeET4_jRbjT5_S17_jjP12ihipStream_tbEUljE_EEESS_ST_SU_S11_S15_S17_T6_T7_T9_mT8_S19_bDpT10_ENKUlT_T0_E_clISt17integral_constantIbLb0EES1L_IbLb1EEEEDaS1H_S1I_EUlS1H_E_NS1_11comp_targetILNS1_3genE2ELNS1_11target_archE906ELNS1_3gpuE6ELNS1_3repE0EEENS1_30default_config_static_selectorELNS0_4arch9wavefront6targetE0EEEvSV_,@function
_ZN7rocprim17ROCPRIM_400000_NS6detail17trampoline_kernelINS0_13select_configILj256ELj13ELNS0_17block_load_methodE3ELS4_3ELS4_3ELNS0_20block_scan_algorithmE0ELj4294967295EEENS1_25partition_config_selectorILNS1_17partition_subalgoE3EjNS0_10empty_typeEbEEZZNS1_14partition_implILS8_3ELb0ES6_jNS0_17counting_iteratorIjlEEPS9_SE_NS0_5tupleIJPjSE_EEENSF_IJSE_SE_EEES9_SG_JZNS1_25segmented_radix_sort_implINS0_14default_configELb0EPKlPlSM_SN_N2at6native12_GLOBAL__N_18offset_tEEE10hipError_tPvRmT1_PNSt15iterator_traitsISV_E10value_typeET2_T3_PNSW_IS11_E10value_typeET4_jRbjT5_S17_jjP12ihipStream_tbEUljE_EEESS_ST_SU_S11_S15_S17_T6_T7_T9_mT8_S19_bDpT10_ENKUlT_T0_E_clISt17integral_constantIbLb0EES1L_IbLb1EEEEDaS1H_S1I_EUlS1H_E_NS1_11comp_targetILNS1_3genE2ELNS1_11target_archE906ELNS1_3gpuE6ELNS1_3repE0EEENS1_30default_config_static_selectorELNS0_4arch9wavefront6targetE0EEEvSV_: ; @_ZN7rocprim17ROCPRIM_400000_NS6detail17trampoline_kernelINS0_13select_configILj256ELj13ELNS0_17block_load_methodE3ELS4_3ELS4_3ELNS0_20block_scan_algorithmE0ELj4294967295EEENS1_25partition_config_selectorILNS1_17partition_subalgoE3EjNS0_10empty_typeEbEEZZNS1_14partition_implILS8_3ELb0ES6_jNS0_17counting_iteratorIjlEEPS9_SE_NS0_5tupleIJPjSE_EEENSF_IJSE_SE_EEES9_SG_JZNS1_25segmented_radix_sort_implINS0_14default_configELb0EPKlPlSM_SN_N2at6native12_GLOBAL__N_18offset_tEEE10hipError_tPvRmT1_PNSt15iterator_traitsISV_E10value_typeET2_T3_PNSW_IS11_E10value_typeET4_jRbjT5_S17_jjP12ihipStream_tbEUljE_EEESS_ST_SU_S11_S15_S17_T6_T7_T9_mT8_S19_bDpT10_ENKUlT_T0_E_clISt17integral_constantIbLb0EES1L_IbLb1EEEEDaS1H_S1I_EUlS1H_E_NS1_11comp_targetILNS1_3genE2ELNS1_11target_archE906ELNS1_3gpuE6ELNS1_3repE0EEENS1_30default_config_static_selectorELNS0_4arch9wavefront6targetE0EEEvSV_
; %bb.0:
	.section	.rodata,"a",@progbits
	.p2align	6, 0x0
	.amdhsa_kernel _ZN7rocprim17ROCPRIM_400000_NS6detail17trampoline_kernelINS0_13select_configILj256ELj13ELNS0_17block_load_methodE3ELS4_3ELS4_3ELNS0_20block_scan_algorithmE0ELj4294967295EEENS1_25partition_config_selectorILNS1_17partition_subalgoE3EjNS0_10empty_typeEbEEZZNS1_14partition_implILS8_3ELb0ES6_jNS0_17counting_iteratorIjlEEPS9_SE_NS0_5tupleIJPjSE_EEENSF_IJSE_SE_EEES9_SG_JZNS1_25segmented_radix_sort_implINS0_14default_configELb0EPKlPlSM_SN_N2at6native12_GLOBAL__N_18offset_tEEE10hipError_tPvRmT1_PNSt15iterator_traitsISV_E10value_typeET2_T3_PNSW_IS11_E10value_typeET4_jRbjT5_S17_jjP12ihipStream_tbEUljE_EEESS_ST_SU_S11_S15_S17_T6_T7_T9_mT8_S19_bDpT10_ENKUlT_T0_E_clISt17integral_constantIbLb0EES1L_IbLb1EEEEDaS1H_S1I_EUlS1H_E_NS1_11comp_targetILNS1_3genE2ELNS1_11target_archE906ELNS1_3gpuE6ELNS1_3repE0EEENS1_30default_config_static_selectorELNS0_4arch9wavefront6targetE0EEEvSV_
		.amdhsa_group_segment_fixed_size 0
		.amdhsa_private_segment_fixed_size 0
		.amdhsa_kernarg_size 152
		.amdhsa_user_sgpr_count 2
		.amdhsa_user_sgpr_dispatch_ptr 0
		.amdhsa_user_sgpr_queue_ptr 0
		.amdhsa_user_sgpr_kernarg_segment_ptr 1
		.amdhsa_user_sgpr_dispatch_id 0
		.amdhsa_user_sgpr_private_segment_size 0
		.amdhsa_wavefront_size32 1
		.amdhsa_uses_dynamic_stack 0
		.amdhsa_enable_private_segment 0
		.amdhsa_system_sgpr_workgroup_id_x 1
		.amdhsa_system_sgpr_workgroup_id_y 0
		.amdhsa_system_sgpr_workgroup_id_z 0
		.amdhsa_system_sgpr_workgroup_info 0
		.amdhsa_system_vgpr_workitem_id 0
		.amdhsa_next_free_vgpr 1
		.amdhsa_next_free_sgpr 1
		.amdhsa_reserve_vcc 0
		.amdhsa_float_round_mode_32 0
		.amdhsa_float_round_mode_16_64 0
		.amdhsa_float_denorm_mode_32 3
		.amdhsa_float_denorm_mode_16_64 3
		.amdhsa_fp16_overflow 0
		.amdhsa_workgroup_processor_mode 1
		.amdhsa_memory_ordered 1
		.amdhsa_forward_progress 1
		.amdhsa_inst_pref_size 0
		.amdhsa_round_robin_scheduling 0
		.amdhsa_exception_fp_ieee_invalid_op 0
		.amdhsa_exception_fp_denorm_src 0
		.amdhsa_exception_fp_ieee_div_zero 0
		.amdhsa_exception_fp_ieee_overflow 0
		.amdhsa_exception_fp_ieee_underflow 0
		.amdhsa_exception_fp_ieee_inexact 0
		.amdhsa_exception_int_div_zero 0
	.end_amdhsa_kernel
	.section	.text._ZN7rocprim17ROCPRIM_400000_NS6detail17trampoline_kernelINS0_13select_configILj256ELj13ELNS0_17block_load_methodE3ELS4_3ELS4_3ELNS0_20block_scan_algorithmE0ELj4294967295EEENS1_25partition_config_selectorILNS1_17partition_subalgoE3EjNS0_10empty_typeEbEEZZNS1_14partition_implILS8_3ELb0ES6_jNS0_17counting_iteratorIjlEEPS9_SE_NS0_5tupleIJPjSE_EEENSF_IJSE_SE_EEES9_SG_JZNS1_25segmented_radix_sort_implINS0_14default_configELb0EPKlPlSM_SN_N2at6native12_GLOBAL__N_18offset_tEEE10hipError_tPvRmT1_PNSt15iterator_traitsISV_E10value_typeET2_T3_PNSW_IS11_E10value_typeET4_jRbjT5_S17_jjP12ihipStream_tbEUljE_EEESS_ST_SU_S11_S15_S17_T6_T7_T9_mT8_S19_bDpT10_ENKUlT_T0_E_clISt17integral_constantIbLb0EES1L_IbLb1EEEEDaS1H_S1I_EUlS1H_E_NS1_11comp_targetILNS1_3genE2ELNS1_11target_archE906ELNS1_3gpuE6ELNS1_3repE0EEENS1_30default_config_static_selectorELNS0_4arch9wavefront6targetE0EEEvSV_,"axG",@progbits,_ZN7rocprim17ROCPRIM_400000_NS6detail17trampoline_kernelINS0_13select_configILj256ELj13ELNS0_17block_load_methodE3ELS4_3ELS4_3ELNS0_20block_scan_algorithmE0ELj4294967295EEENS1_25partition_config_selectorILNS1_17partition_subalgoE3EjNS0_10empty_typeEbEEZZNS1_14partition_implILS8_3ELb0ES6_jNS0_17counting_iteratorIjlEEPS9_SE_NS0_5tupleIJPjSE_EEENSF_IJSE_SE_EEES9_SG_JZNS1_25segmented_radix_sort_implINS0_14default_configELb0EPKlPlSM_SN_N2at6native12_GLOBAL__N_18offset_tEEE10hipError_tPvRmT1_PNSt15iterator_traitsISV_E10value_typeET2_T3_PNSW_IS11_E10value_typeET4_jRbjT5_S17_jjP12ihipStream_tbEUljE_EEESS_ST_SU_S11_S15_S17_T6_T7_T9_mT8_S19_bDpT10_ENKUlT_T0_E_clISt17integral_constantIbLb0EES1L_IbLb1EEEEDaS1H_S1I_EUlS1H_E_NS1_11comp_targetILNS1_3genE2ELNS1_11target_archE906ELNS1_3gpuE6ELNS1_3repE0EEENS1_30default_config_static_selectorELNS0_4arch9wavefront6targetE0EEEvSV_,comdat
.Lfunc_end803:
	.size	_ZN7rocprim17ROCPRIM_400000_NS6detail17trampoline_kernelINS0_13select_configILj256ELj13ELNS0_17block_load_methodE3ELS4_3ELS4_3ELNS0_20block_scan_algorithmE0ELj4294967295EEENS1_25partition_config_selectorILNS1_17partition_subalgoE3EjNS0_10empty_typeEbEEZZNS1_14partition_implILS8_3ELb0ES6_jNS0_17counting_iteratorIjlEEPS9_SE_NS0_5tupleIJPjSE_EEENSF_IJSE_SE_EEES9_SG_JZNS1_25segmented_radix_sort_implINS0_14default_configELb0EPKlPlSM_SN_N2at6native12_GLOBAL__N_18offset_tEEE10hipError_tPvRmT1_PNSt15iterator_traitsISV_E10value_typeET2_T3_PNSW_IS11_E10value_typeET4_jRbjT5_S17_jjP12ihipStream_tbEUljE_EEESS_ST_SU_S11_S15_S17_T6_T7_T9_mT8_S19_bDpT10_ENKUlT_T0_E_clISt17integral_constantIbLb0EES1L_IbLb1EEEEDaS1H_S1I_EUlS1H_E_NS1_11comp_targetILNS1_3genE2ELNS1_11target_archE906ELNS1_3gpuE6ELNS1_3repE0EEENS1_30default_config_static_selectorELNS0_4arch9wavefront6targetE0EEEvSV_, .Lfunc_end803-_ZN7rocprim17ROCPRIM_400000_NS6detail17trampoline_kernelINS0_13select_configILj256ELj13ELNS0_17block_load_methodE3ELS4_3ELS4_3ELNS0_20block_scan_algorithmE0ELj4294967295EEENS1_25partition_config_selectorILNS1_17partition_subalgoE3EjNS0_10empty_typeEbEEZZNS1_14partition_implILS8_3ELb0ES6_jNS0_17counting_iteratorIjlEEPS9_SE_NS0_5tupleIJPjSE_EEENSF_IJSE_SE_EEES9_SG_JZNS1_25segmented_radix_sort_implINS0_14default_configELb0EPKlPlSM_SN_N2at6native12_GLOBAL__N_18offset_tEEE10hipError_tPvRmT1_PNSt15iterator_traitsISV_E10value_typeET2_T3_PNSW_IS11_E10value_typeET4_jRbjT5_S17_jjP12ihipStream_tbEUljE_EEESS_ST_SU_S11_S15_S17_T6_T7_T9_mT8_S19_bDpT10_ENKUlT_T0_E_clISt17integral_constantIbLb0EES1L_IbLb1EEEEDaS1H_S1I_EUlS1H_E_NS1_11comp_targetILNS1_3genE2ELNS1_11target_archE906ELNS1_3gpuE6ELNS1_3repE0EEENS1_30default_config_static_selectorELNS0_4arch9wavefront6targetE0EEEvSV_
                                        ; -- End function
	.set _ZN7rocprim17ROCPRIM_400000_NS6detail17trampoline_kernelINS0_13select_configILj256ELj13ELNS0_17block_load_methodE3ELS4_3ELS4_3ELNS0_20block_scan_algorithmE0ELj4294967295EEENS1_25partition_config_selectorILNS1_17partition_subalgoE3EjNS0_10empty_typeEbEEZZNS1_14partition_implILS8_3ELb0ES6_jNS0_17counting_iteratorIjlEEPS9_SE_NS0_5tupleIJPjSE_EEENSF_IJSE_SE_EEES9_SG_JZNS1_25segmented_radix_sort_implINS0_14default_configELb0EPKlPlSM_SN_N2at6native12_GLOBAL__N_18offset_tEEE10hipError_tPvRmT1_PNSt15iterator_traitsISV_E10value_typeET2_T3_PNSW_IS11_E10value_typeET4_jRbjT5_S17_jjP12ihipStream_tbEUljE_EEESS_ST_SU_S11_S15_S17_T6_T7_T9_mT8_S19_bDpT10_ENKUlT_T0_E_clISt17integral_constantIbLb0EES1L_IbLb1EEEEDaS1H_S1I_EUlS1H_E_NS1_11comp_targetILNS1_3genE2ELNS1_11target_archE906ELNS1_3gpuE6ELNS1_3repE0EEENS1_30default_config_static_selectorELNS0_4arch9wavefront6targetE0EEEvSV_.num_vgpr, 0
	.set _ZN7rocprim17ROCPRIM_400000_NS6detail17trampoline_kernelINS0_13select_configILj256ELj13ELNS0_17block_load_methodE3ELS4_3ELS4_3ELNS0_20block_scan_algorithmE0ELj4294967295EEENS1_25partition_config_selectorILNS1_17partition_subalgoE3EjNS0_10empty_typeEbEEZZNS1_14partition_implILS8_3ELb0ES6_jNS0_17counting_iteratorIjlEEPS9_SE_NS0_5tupleIJPjSE_EEENSF_IJSE_SE_EEES9_SG_JZNS1_25segmented_radix_sort_implINS0_14default_configELb0EPKlPlSM_SN_N2at6native12_GLOBAL__N_18offset_tEEE10hipError_tPvRmT1_PNSt15iterator_traitsISV_E10value_typeET2_T3_PNSW_IS11_E10value_typeET4_jRbjT5_S17_jjP12ihipStream_tbEUljE_EEESS_ST_SU_S11_S15_S17_T6_T7_T9_mT8_S19_bDpT10_ENKUlT_T0_E_clISt17integral_constantIbLb0EES1L_IbLb1EEEEDaS1H_S1I_EUlS1H_E_NS1_11comp_targetILNS1_3genE2ELNS1_11target_archE906ELNS1_3gpuE6ELNS1_3repE0EEENS1_30default_config_static_selectorELNS0_4arch9wavefront6targetE0EEEvSV_.num_agpr, 0
	.set _ZN7rocprim17ROCPRIM_400000_NS6detail17trampoline_kernelINS0_13select_configILj256ELj13ELNS0_17block_load_methodE3ELS4_3ELS4_3ELNS0_20block_scan_algorithmE0ELj4294967295EEENS1_25partition_config_selectorILNS1_17partition_subalgoE3EjNS0_10empty_typeEbEEZZNS1_14partition_implILS8_3ELb0ES6_jNS0_17counting_iteratorIjlEEPS9_SE_NS0_5tupleIJPjSE_EEENSF_IJSE_SE_EEES9_SG_JZNS1_25segmented_radix_sort_implINS0_14default_configELb0EPKlPlSM_SN_N2at6native12_GLOBAL__N_18offset_tEEE10hipError_tPvRmT1_PNSt15iterator_traitsISV_E10value_typeET2_T3_PNSW_IS11_E10value_typeET4_jRbjT5_S17_jjP12ihipStream_tbEUljE_EEESS_ST_SU_S11_S15_S17_T6_T7_T9_mT8_S19_bDpT10_ENKUlT_T0_E_clISt17integral_constantIbLb0EES1L_IbLb1EEEEDaS1H_S1I_EUlS1H_E_NS1_11comp_targetILNS1_3genE2ELNS1_11target_archE906ELNS1_3gpuE6ELNS1_3repE0EEENS1_30default_config_static_selectorELNS0_4arch9wavefront6targetE0EEEvSV_.numbered_sgpr, 0
	.set _ZN7rocprim17ROCPRIM_400000_NS6detail17trampoline_kernelINS0_13select_configILj256ELj13ELNS0_17block_load_methodE3ELS4_3ELS4_3ELNS0_20block_scan_algorithmE0ELj4294967295EEENS1_25partition_config_selectorILNS1_17partition_subalgoE3EjNS0_10empty_typeEbEEZZNS1_14partition_implILS8_3ELb0ES6_jNS0_17counting_iteratorIjlEEPS9_SE_NS0_5tupleIJPjSE_EEENSF_IJSE_SE_EEES9_SG_JZNS1_25segmented_radix_sort_implINS0_14default_configELb0EPKlPlSM_SN_N2at6native12_GLOBAL__N_18offset_tEEE10hipError_tPvRmT1_PNSt15iterator_traitsISV_E10value_typeET2_T3_PNSW_IS11_E10value_typeET4_jRbjT5_S17_jjP12ihipStream_tbEUljE_EEESS_ST_SU_S11_S15_S17_T6_T7_T9_mT8_S19_bDpT10_ENKUlT_T0_E_clISt17integral_constantIbLb0EES1L_IbLb1EEEEDaS1H_S1I_EUlS1H_E_NS1_11comp_targetILNS1_3genE2ELNS1_11target_archE906ELNS1_3gpuE6ELNS1_3repE0EEENS1_30default_config_static_selectorELNS0_4arch9wavefront6targetE0EEEvSV_.num_named_barrier, 0
	.set _ZN7rocprim17ROCPRIM_400000_NS6detail17trampoline_kernelINS0_13select_configILj256ELj13ELNS0_17block_load_methodE3ELS4_3ELS4_3ELNS0_20block_scan_algorithmE0ELj4294967295EEENS1_25partition_config_selectorILNS1_17partition_subalgoE3EjNS0_10empty_typeEbEEZZNS1_14partition_implILS8_3ELb0ES6_jNS0_17counting_iteratorIjlEEPS9_SE_NS0_5tupleIJPjSE_EEENSF_IJSE_SE_EEES9_SG_JZNS1_25segmented_radix_sort_implINS0_14default_configELb0EPKlPlSM_SN_N2at6native12_GLOBAL__N_18offset_tEEE10hipError_tPvRmT1_PNSt15iterator_traitsISV_E10value_typeET2_T3_PNSW_IS11_E10value_typeET4_jRbjT5_S17_jjP12ihipStream_tbEUljE_EEESS_ST_SU_S11_S15_S17_T6_T7_T9_mT8_S19_bDpT10_ENKUlT_T0_E_clISt17integral_constantIbLb0EES1L_IbLb1EEEEDaS1H_S1I_EUlS1H_E_NS1_11comp_targetILNS1_3genE2ELNS1_11target_archE906ELNS1_3gpuE6ELNS1_3repE0EEENS1_30default_config_static_selectorELNS0_4arch9wavefront6targetE0EEEvSV_.private_seg_size, 0
	.set _ZN7rocprim17ROCPRIM_400000_NS6detail17trampoline_kernelINS0_13select_configILj256ELj13ELNS0_17block_load_methodE3ELS4_3ELS4_3ELNS0_20block_scan_algorithmE0ELj4294967295EEENS1_25partition_config_selectorILNS1_17partition_subalgoE3EjNS0_10empty_typeEbEEZZNS1_14partition_implILS8_3ELb0ES6_jNS0_17counting_iteratorIjlEEPS9_SE_NS0_5tupleIJPjSE_EEENSF_IJSE_SE_EEES9_SG_JZNS1_25segmented_radix_sort_implINS0_14default_configELb0EPKlPlSM_SN_N2at6native12_GLOBAL__N_18offset_tEEE10hipError_tPvRmT1_PNSt15iterator_traitsISV_E10value_typeET2_T3_PNSW_IS11_E10value_typeET4_jRbjT5_S17_jjP12ihipStream_tbEUljE_EEESS_ST_SU_S11_S15_S17_T6_T7_T9_mT8_S19_bDpT10_ENKUlT_T0_E_clISt17integral_constantIbLb0EES1L_IbLb1EEEEDaS1H_S1I_EUlS1H_E_NS1_11comp_targetILNS1_3genE2ELNS1_11target_archE906ELNS1_3gpuE6ELNS1_3repE0EEENS1_30default_config_static_selectorELNS0_4arch9wavefront6targetE0EEEvSV_.uses_vcc, 0
	.set _ZN7rocprim17ROCPRIM_400000_NS6detail17trampoline_kernelINS0_13select_configILj256ELj13ELNS0_17block_load_methodE3ELS4_3ELS4_3ELNS0_20block_scan_algorithmE0ELj4294967295EEENS1_25partition_config_selectorILNS1_17partition_subalgoE3EjNS0_10empty_typeEbEEZZNS1_14partition_implILS8_3ELb0ES6_jNS0_17counting_iteratorIjlEEPS9_SE_NS0_5tupleIJPjSE_EEENSF_IJSE_SE_EEES9_SG_JZNS1_25segmented_radix_sort_implINS0_14default_configELb0EPKlPlSM_SN_N2at6native12_GLOBAL__N_18offset_tEEE10hipError_tPvRmT1_PNSt15iterator_traitsISV_E10value_typeET2_T3_PNSW_IS11_E10value_typeET4_jRbjT5_S17_jjP12ihipStream_tbEUljE_EEESS_ST_SU_S11_S15_S17_T6_T7_T9_mT8_S19_bDpT10_ENKUlT_T0_E_clISt17integral_constantIbLb0EES1L_IbLb1EEEEDaS1H_S1I_EUlS1H_E_NS1_11comp_targetILNS1_3genE2ELNS1_11target_archE906ELNS1_3gpuE6ELNS1_3repE0EEENS1_30default_config_static_selectorELNS0_4arch9wavefront6targetE0EEEvSV_.uses_flat_scratch, 0
	.set _ZN7rocprim17ROCPRIM_400000_NS6detail17trampoline_kernelINS0_13select_configILj256ELj13ELNS0_17block_load_methodE3ELS4_3ELS4_3ELNS0_20block_scan_algorithmE0ELj4294967295EEENS1_25partition_config_selectorILNS1_17partition_subalgoE3EjNS0_10empty_typeEbEEZZNS1_14partition_implILS8_3ELb0ES6_jNS0_17counting_iteratorIjlEEPS9_SE_NS0_5tupleIJPjSE_EEENSF_IJSE_SE_EEES9_SG_JZNS1_25segmented_radix_sort_implINS0_14default_configELb0EPKlPlSM_SN_N2at6native12_GLOBAL__N_18offset_tEEE10hipError_tPvRmT1_PNSt15iterator_traitsISV_E10value_typeET2_T3_PNSW_IS11_E10value_typeET4_jRbjT5_S17_jjP12ihipStream_tbEUljE_EEESS_ST_SU_S11_S15_S17_T6_T7_T9_mT8_S19_bDpT10_ENKUlT_T0_E_clISt17integral_constantIbLb0EES1L_IbLb1EEEEDaS1H_S1I_EUlS1H_E_NS1_11comp_targetILNS1_3genE2ELNS1_11target_archE906ELNS1_3gpuE6ELNS1_3repE0EEENS1_30default_config_static_selectorELNS0_4arch9wavefront6targetE0EEEvSV_.has_dyn_sized_stack, 0
	.set _ZN7rocprim17ROCPRIM_400000_NS6detail17trampoline_kernelINS0_13select_configILj256ELj13ELNS0_17block_load_methodE3ELS4_3ELS4_3ELNS0_20block_scan_algorithmE0ELj4294967295EEENS1_25partition_config_selectorILNS1_17partition_subalgoE3EjNS0_10empty_typeEbEEZZNS1_14partition_implILS8_3ELb0ES6_jNS0_17counting_iteratorIjlEEPS9_SE_NS0_5tupleIJPjSE_EEENSF_IJSE_SE_EEES9_SG_JZNS1_25segmented_radix_sort_implINS0_14default_configELb0EPKlPlSM_SN_N2at6native12_GLOBAL__N_18offset_tEEE10hipError_tPvRmT1_PNSt15iterator_traitsISV_E10value_typeET2_T3_PNSW_IS11_E10value_typeET4_jRbjT5_S17_jjP12ihipStream_tbEUljE_EEESS_ST_SU_S11_S15_S17_T6_T7_T9_mT8_S19_bDpT10_ENKUlT_T0_E_clISt17integral_constantIbLb0EES1L_IbLb1EEEEDaS1H_S1I_EUlS1H_E_NS1_11comp_targetILNS1_3genE2ELNS1_11target_archE906ELNS1_3gpuE6ELNS1_3repE0EEENS1_30default_config_static_selectorELNS0_4arch9wavefront6targetE0EEEvSV_.has_recursion, 0
	.set _ZN7rocprim17ROCPRIM_400000_NS6detail17trampoline_kernelINS0_13select_configILj256ELj13ELNS0_17block_load_methodE3ELS4_3ELS4_3ELNS0_20block_scan_algorithmE0ELj4294967295EEENS1_25partition_config_selectorILNS1_17partition_subalgoE3EjNS0_10empty_typeEbEEZZNS1_14partition_implILS8_3ELb0ES6_jNS0_17counting_iteratorIjlEEPS9_SE_NS0_5tupleIJPjSE_EEENSF_IJSE_SE_EEES9_SG_JZNS1_25segmented_radix_sort_implINS0_14default_configELb0EPKlPlSM_SN_N2at6native12_GLOBAL__N_18offset_tEEE10hipError_tPvRmT1_PNSt15iterator_traitsISV_E10value_typeET2_T3_PNSW_IS11_E10value_typeET4_jRbjT5_S17_jjP12ihipStream_tbEUljE_EEESS_ST_SU_S11_S15_S17_T6_T7_T9_mT8_S19_bDpT10_ENKUlT_T0_E_clISt17integral_constantIbLb0EES1L_IbLb1EEEEDaS1H_S1I_EUlS1H_E_NS1_11comp_targetILNS1_3genE2ELNS1_11target_archE906ELNS1_3gpuE6ELNS1_3repE0EEENS1_30default_config_static_selectorELNS0_4arch9wavefront6targetE0EEEvSV_.has_indirect_call, 0
	.section	.AMDGPU.csdata,"",@progbits
; Kernel info:
; codeLenInByte = 0
; TotalNumSgprs: 0
; NumVgprs: 0
; ScratchSize: 0
; MemoryBound: 0
; FloatMode: 240
; IeeeMode: 1
; LDSByteSize: 0 bytes/workgroup (compile time only)
; SGPRBlocks: 0
; VGPRBlocks: 0
; NumSGPRsForWavesPerEU: 1
; NumVGPRsForWavesPerEU: 1
; Occupancy: 16
; WaveLimiterHint : 0
; COMPUTE_PGM_RSRC2:SCRATCH_EN: 0
; COMPUTE_PGM_RSRC2:USER_SGPR: 2
; COMPUTE_PGM_RSRC2:TRAP_HANDLER: 0
; COMPUTE_PGM_RSRC2:TGID_X_EN: 1
; COMPUTE_PGM_RSRC2:TGID_Y_EN: 0
; COMPUTE_PGM_RSRC2:TGID_Z_EN: 0
; COMPUTE_PGM_RSRC2:TIDIG_COMP_CNT: 0
	.section	.text._ZN7rocprim17ROCPRIM_400000_NS6detail17trampoline_kernelINS0_13select_configILj256ELj13ELNS0_17block_load_methodE3ELS4_3ELS4_3ELNS0_20block_scan_algorithmE0ELj4294967295EEENS1_25partition_config_selectorILNS1_17partition_subalgoE3EjNS0_10empty_typeEbEEZZNS1_14partition_implILS8_3ELb0ES6_jNS0_17counting_iteratorIjlEEPS9_SE_NS0_5tupleIJPjSE_EEENSF_IJSE_SE_EEES9_SG_JZNS1_25segmented_radix_sort_implINS0_14default_configELb0EPKlPlSM_SN_N2at6native12_GLOBAL__N_18offset_tEEE10hipError_tPvRmT1_PNSt15iterator_traitsISV_E10value_typeET2_T3_PNSW_IS11_E10value_typeET4_jRbjT5_S17_jjP12ihipStream_tbEUljE_EEESS_ST_SU_S11_S15_S17_T6_T7_T9_mT8_S19_bDpT10_ENKUlT_T0_E_clISt17integral_constantIbLb0EES1L_IbLb1EEEEDaS1H_S1I_EUlS1H_E_NS1_11comp_targetILNS1_3genE10ELNS1_11target_archE1200ELNS1_3gpuE4ELNS1_3repE0EEENS1_30default_config_static_selectorELNS0_4arch9wavefront6targetE0EEEvSV_,"axG",@progbits,_ZN7rocprim17ROCPRIM_400000_NS6detail17trampoline_kernelINS0_13select_configILj256ELj13ELNS0_17block_load_methodE3ELS4_3ELS4_3ELNS0_20block_scan_algorithmE0ELj4294967295EEENS1_25partition_config_selectorILNS1_17partition_subalgoE3EjNS0_10empty_typeEbEEZZNS1_14partition_implILS8_3ELb0ES6_jNS0_17counting_iteratorIjlEEPS9_SE_NS0_5tupleIJPjSE_EEENSF_IJSE_SE_EEES9_SG_JZNS1_25segmented_radix_sort_implINS0_14default_configELb0EPKlPlSM_SN_N2at6native12_GLOBAL__N_18offset_tEEE10hipError_tPvRmT1_PNSt15iterator_traitsISV_E10value_typeET2_T3_PNSW_IS11_E10value_typeET4_jRbjT5_S17_jjP12ihipStream_tbEUljE_EEESS_ST_SU_S11_S15_S17_T6_T7_T9_mT8_S19_bDpT10_ENKUlT_T0_E_clISt17integral_constantIbLb0EES1L_IbLb1EEEEDaS1H_S1I_EUlS1H_E_NS1_11comp_targetILNS1_3genE10ELNS1_11target_archE1200ELNS1_3gpuE4ELNS1_3repE0EEENS1_30default_config_static_selectorELNS0_4arch9wavefront6targetE0EEEvSV_,comdat
	.globl	_ZN7rocprim17ROCPRIM_400000_NS6detail17trampoline_kernelINS0_13select_configILj256ELj13ELNS0_17block_load_methodE3ELS4_3ELS4_3ELNS0_20block_scan_algorithmE0ELj4294967295EEENS1_25partition_config_selectorILNS1_17partition_subalgoE3EjNS0_10empty_typeEbEEZZNS1_14partition_implILS8_3ELb0ES6_jNS0_17counting_iteratorIjlEEPS9_SE_NS0_5tupleIJPjSE_EEENSF_IJSE_SE_EEES9_SG_JZNS1_25segmented_radix_sort_implINS0_14default_configELb0EPKlPlSM_SN_N2at6native12_GLOBAL__N_18offset_tEEE10hipError_tPvRmT1_PNSt15iterator_traitsISV_E10value_typeET2_T3_PNSW_IS11_E10value_typeET4_jRbjT5_S17_jjP12ihipStream_tbEUljE_EEESS_ST_SU_S11_S15_S17_T6_T7_T9_mT8_S19_bDpT10_ENKUlT_T0_E_clISt17integral_constantIbLb0EES1L_IbLb1EEEEDaS1H_S1I_EUlS1H_E_NS1_11comp_targetILNS1_3genE10ELNS1_11target_archE1200ELNS1_3gpuE4ELNS1_3repE0EEENS1_30default_config_static_selectorELNS0_4arch9wavefront6targetE0EEEvSV_ ; -- Begin function _ZN7rocprim17ROCPRIM_400000_NS6detail17trampoline_kernelINS0_13select_configILj256ELj13ELNS0_17block_load_methodE3ELS4_3ELS4_3ELNS0_20block_scan_algorithmE0ELj4294967295EEENS1_25partition_config_selectorILNS1_17partition_subalgoE3EjNS0_10empty_typeEbEEZZNS1_14partition_implILS8_3ELb0ES6_jNS0_17counting_iteratorIjlEEPS9_SE_NS0_5tupleIJPjSE_EEENSF_IJSE_SE_EEES9_SG_JZNS1_25segmented_radix_sort_implINS0_14default_configELb0EPKlPlSM_SN_N2at6native12_GLOBAL__N_18offset_tEEE10hipError_tPvRmT1_PNSt15iterator_traitsISV_E10value_typeET2_T3_PNSW_IS11_E10value_typeET4_jRbjT5_S17_jjP12ihipStream_tbEUljE_EEESS_ST_SU_S11_S15_S17_T6_T7_T9_mT8_S19_bDpT10_ENKUlT_T0_E_clISt17integral_constantIbLb0EES1L_IbLb1EEEEDaS1H_S1I_EUlS1H_E_NS1_11comp_targetILNS1_3genE10ELNS1_11target_archE1200ELNS1_3gpuE4ELNS1_3repE0EEENS1_30default_config_static_selectorELNS0_4arch9wavefront6targetE0EEEvSV_
	.p2align	8
	.type	_ZN7rocprim17ROCPRIM_400000_NS6detail17trampoline_kernelINS0_13select_configILj256ELj13ELNS0_17block_load_methodE3ELS4_3ELS4_3ELNS0_20block_scan_algorithmE0ELj4294967295EEENS1_25partition_config_selectorILNS1_17partition_subalgoE3EjNS0_10empty_typeEbEEZZNS1_14partition_implILS8_3ELb0ES6_jNS0_17counting_iteratorIjlEEPS9_SE_NS0_5tupleIJPjSE_EEENSF_IJSE_SE_EEES9_SG_JZNS1_25segmented_radix_sort_implINS0_14default_configELb0EPKlPlSM_SN_N2at6native12_GLOBAL__N_18offset_tEEE10hipError_tPvRmT1_PNSt15iterator_traitsISV_E10value_typeET2_T3_PNSW_IS11_E10value_typeET4_jRbjT5_S17_jjP12ihipStream_tbEUljE_EEESS_ST_SU_S11_S15_S17_T6_T7_T9_mT8_S19_bDpT10_ENKUlT_T0_E_clISt17integral_constantIbLb0EES1L_IbLb1EEEEDaS1H_S1I_EUlS1H_E_NS1_11comp_targetILNS1_3genE10ELNS1_11target_archE1200ELNS1_3gpuE4ELNS1_3repE0EEENS1_30default_config_static_selectorELNS0_4arch9wavefront6targetE0EEEvSV_,@function
_ZN7rocprim17ROCPRIM_400000_NS6detail17trampoline_kernelINS0_13select_configILj256ELj13ELNS0_17block_load_methodE3ELS4_3ELS4_3ELNS0_20block_scan_algorithmE0ELj4294967295EEENS1_25partition_config_selectorILNS1_17partition_subalgoE3EjNS0_10empty_typeEbEEZZNS1_14partition_implILS8_3ELb0ES6_jNS0_17counting_iteratorIjlEEPS9_SE_NS0_5tupleIJPjSE_EEENSF_IJSE_SE_EEES9_SG_JZNS1_25segmented_radix_sort_implINS0_14default_configELb0EPKlPlSM_SN_N2at6native12_GLOBAL__N_18offset_tEEE10hipError_tPvRmT1_PNSt15iterator_traitsISV_E10value_typeET2_T3_PNSW_IS11_E10value_typeET4_jRbjT5_S17_jjP12ihipStream_tbEUljE_EEESS_ST_SU_S11_S15_S17_T6_T7_T9_mT8_S19_bDpT10_ENKUlT_T0_E_clISt17integral_constantIbLb0EES1L_IbLb1EEEEDaS1H_S1I_EUlS1H_E_NS1_11comp_targetILNS1_3genE10ELNS1_11target_archE1200ELNS1_3gpuE4ELNS1_3repE0EEENS1_30default_config_static_selectorELNS0_4arch9wavefront6targetE0EEEvSV_: ; @_ZN7rocprim17ROCPRIM_400000_NS6detail17trampoline_kernelINS0_13select_configILj256ELj13ELNS0_17block_load_methodE3ELS4_3ELS4_3ELNS0_20block_scan_algorithmE0ELj4294967295EEENS1_25partition_config_selectorILNS1_17partition_subalgoE3EjNS0_10empty_typeEbEEZZNS1_14partition_implILS8_3ELb0ES6_jNS0_17counting_iteratorIjlEEPS9_SE_NS0_5tupleIJPjSE_EEENSF_IJSE_SE_EEES9_SG_JZNS1_25segmented_radix_sort_implINS0_14default_configELb0EPKlPlSM_SN_N2at6native12_GLOBAL__N_18offset_tEEE10hipError_tPvRmT1_PNSt15iterator_traitsISV_E10value_typeET2_T3_PNSW_IS11_E10value_typeET4_jRbjT5_S17_jjP12ihipStream_tbEUljE_EEESS_ST_SU_S11_S15_S17_T6_T7_T9_mT8_S19_bDpT10_ENKUlT_T0_E_clISt17integral_constantIbLb0EES1L_IbLb1EEEEDaS1H_S1I_EUlS1H_E_NS1_11comp_targetILNS1_3genE10ELNS1_11target_archE1200ELNS1_3gpuE4ELNS1_3repE0EEENS1_30default_config_static_selectorELNS0_4arch9wavefront6targetE0EEEvSV_
; %bb.0:
	s_clause 0x6
	s_load_b64 s[16:17], s[0:1], 0x10
	s_load_b64 s[10:11], s[0:1], 0x28
	;; [unrolled: 1-line block ×3, first 2 shown]
	s_load_b128 s[12:15], s[0:1], 0x48
	s_load_b32 s3, s[0:1], 0x90
	s_load_b64 s[20:21], s[0:1], 0x68
	s_load_b128 s[4:7], s[0:1], 0x80
	v_cmp_eq_u32_e64 s2, 0, v0
	s_and_saveexec_b32 s8, s2
	s_cbranch_execz .LBB804_4
; %bb.1:
	s_mov_b32 s22, exec_lo
	s_mov_b32 s9, exec_lo
	v_mbcnt_lo_u32_b32 v1, s22, 0
                                        ; implicit-def: $vgpr2
	s_delay_alu instid0(VALU_DEP_1)
	v_cmpx_eq_u32_e32 0, v1
	s_cbranch_execz .LBB804_3
; %bb.2:
	s_load_b64 s[24:25], s[0:1], 0x78
	s_bcnt1_i32_b32 s22, s22
	s_wait_alu 0xfffe
	v_dual_mov_b32 v2, 0 :: v_dual_mov_b32 v3, s22
	s_wait_kmcnt 0x0
	global_atomic_add_u32 v2, v2, v3, s[24:25] th:TH_ATOMIC_RETURN scope:SCOPE_DEV
.LBB804_3:
	s_or_b32 exec_lo, exec_lo, s9
	s_wait_loadcnt 0x0
	v_readfirstlane_b32 s9, v2
	s_delay_alu instid0(VALU_DEP_1)
	v_dual_mov_b32 v2, 0 :: v_dual_add_nc_u32 v1, s9, v1
	ds_store_b32 v2, v1
.LBB804_4:
	s_or_b32 exec_lo, exec_lo, s8
	v_mov_b32_e32 v1, 0
	s_clause 0x1
	s_load_b32 s8, s[0:1], 0x8
	s_load_b32 s0, s[0:1], 0x70
	s_wait_dscnt 0x0
	s_barrier_signal -1
	s_barrier_wait -1
	global_inv scope:SCOPE_SE
	ds_load_b32 v2, v1
	s_wait_loadcnt_dscnt 0x0
	s_barrier_signal -1
	s_barrier_wait -1
	global_inv scope:SCOPE_SE
	s_wait_kmcnt 0x0
	global_load_b64 v[17:18], v1, s[14:15]
	s_mov_b32 s1, 0
	v_lshlrev_b32_e32 v45, 2, v0
	s_mov_b32 s23, -1
	s_add_co_i32 s8, s8, s16
	s_add_co_i32 s9, s0, -1
	s_mulk_i32 s0, 0xd00
	s_delay_alu instid0(SALU_CYCLE_1)
	s_add_co_i32 s14, s0, s16
	s_add_nc_u64 s[0:1], s[16:17], s[0:1]
	v_readfirstlane_b32 s15, v2
	v_cmp_gt_u64_e64 s0, s[18:19], s[0:1]
	s_sub_co_i32 s22, s18, s14
	s_wait_alu 0xfffe
	v_cmp_ne_u32_e32 vcc_lo, s9, v2
	s_addk_co_i32 s22, 0xd00
	s_cmp_eq_u32 s15, s9
	s_mul_i32 s14, s15, 0xd00
	s_cselect_b32 s9, -1, 0
	s_or_b32 s1, s0, vcc_lo
	s_wait_alu 0xfffe
	s_and_b32 vcc_lo, exec_lo, s1
	s_cbranch_vccz .LBB804_6
; %bb.5:
	v_add3_u32 v1, s14, s8, v0
	s_mov_b32 s23, 0
	s_delay_alu instid0(VALU_DEP_1)
	v_add_nc_u32_e32 v2, 0x100, v1
	v_add_nc_u32_e32 v3, 0x200, v1
	v_add_nc_u32_e32 v4, 0x300, v1
	v_add_nc_u32_e32 v5, 0x400, v1
	v_add_nc_u32_e32 v6, 0x500, v1
	v_add_nc_u32_e32 v7, 0x600, v1
	v_add_nc_u32_e32 v8, 0x700, v1
	v_add_nc_u32_e32 v9, 0x800, v1
	v_add_nc_u32_e32 v10, 0x900, v1
	v_add_nc_u32_e32 v11, 0xa00, v1
	v_add_nc_u32_e32 v12, 0xb00, v1
	v_add_nc_u32_e32 v13, 0xc00, v1
	ds_store_2addr_stride64_b32 v45, v1, v2 offset1:4
	ds_store_2addr_stride64_b32 v45, v3, v4 offset0:8 offset1:12
	ds_store_2addr_stride64_b32 v45, v5, v6 offset0:16 offset1:20
	;; [unrolled: 1-line block ×5, first 2 shown]
	ds_store_b32 v45, v13 offset:12288
	s_wait_loadcnt_dscnt 0x0
	s_barrier_signal -1
	s_barrier_wait -1
.LBB804_6:
	v_cmp_gt_u32_e64 s0, s22, v0
	v_or_b32_e32 v44, 0x100, v0
	v_or_b32_e32 v43, 0x200, v0
	;; [unrolled: 1-line block ×12, first 2 shown]
	s_wait_alu 0xfffe
	s_and_not1_b32 vcc_lo, exec_lo, s23
	s_cbranch_vccnz .LBB804_8
; %bb.7:
	s_add_co_i32 s8, s14, s8
	v_cmp_gt_u32_e32 vcc_lo, s22, v44
	s_wait_alu 0xfffe
	v_add_nc_u32_e32 v13, s8, v33
	v_add_nc_u32_e32 v12, s8, v34
	;; [unrolled: 1-line block ×12, first 2 shown]
	s_delay_alu instid0(VALU_DEP_1) | instskip(SKIP_1) | instid1(VALU_DEP_2)
	v_dual_cndmask_b32 v2, 0, v2 :: v_dual_add_nc_u32 v1, s8, v0
	v_cmp_gt_u32_e32 vcc_lo, s22, v43
	v_cndmask_b32_e64 v1, 0, v1, s0
	s_wait_alu 0xfffd
	v_cndmask_b32_e32 v3, 0, v3, vcc_lo
	v_cmp_gt_u32_e32 vcc_lo, s22, v42
	s_wait_alu 0xfffd
	v_cndmask_b32_e32 v4, 0, v4, vcc_lo
	v_cmp_gt_u32_e32 vcc_lo, s22, v41
	;; [unrolled: 3-line block ×10, first 2 shown]
	s_wait_alu 0xfffd
	v_cndmask_b32_e32 v13, 0, v13, vcc_lo
	ds_store_2addr_stride64_b32 v45, v1, v2 offset1:4
	ds_store_2addr_stride64_b32 v45, v3, v4 offset0:8 offset1:12
	ds_store_2addr_stride64_b32 v45, v5, v6 offset0:16 offset1:20
	;; [unrolled: 1-line block ×5, first 2 shown]
	ds_store_b32 v45, v13 offset:12288
	s_wait_loadcnt_dscnt 0x0
	s_barrier_signal -1
	s_barrier_wait -1
.LBB804_8:
	v_mul_u32_u24_e32 v48, 13, v0
	s_wait_loadcnt 0x0
	global_inv scope:SCOPE_SE
	v_cndmask_b32_e64 v46, 0, 1, s1
	s_and_not1_b32 vcc_lo, exec_lo, s1
	v_lshlrev_b32_e32 v1, 2, v48
	ds_load_2addr_b32 v[29:30], v1 offset0:2 offset1:3
	ds_load_2addr_b32 v[25:26], v1 offset0:6 offset1:7
	;; [unrolled: 1-line block ×3, first 2 shown]
	ds_load_2addr_b32 v[31:32], v1 offset1:1
	ds_load_2addr_b32 v[21:22], v1 offset0:10 offset1:11
	ds_load_b32 v47, v1 offset:48
	ds_load_2addr_b32 v[23:24], v1 offset0:8 offset1:9
	s_wait_loadcnt_dscnt 0x0
	s_barrier_signal -1
	s_barrier_wait -1
	global_inv scope:SCOPE_SE
	s_wait_alu 0xfffe
	s_cbranch_vccnz .LBB804_10
; %bb.9:
	v_add_nc_u32_e32 v1, s5, v30
	v_add_nc_u32_e32 v2, s7, v30
	v_add_nc_u32_e32 v4, s5, v31
	v_add_nc_u32_e32 v5, s5, v29
	v_add_nc_u32_e32 v7, s7, v31
	v_mul_lo_u32 v1, v1, s4
	v_mul_lo_u32 v2, v2, s6
	v_add_nc_u32_e32 v8, s7, v29
	v_add_nc_u32_e32 v3, s5, v32
	v_add_nc_u32_e32 v6, s7, v32
	v_mul_lo_u32 v5, v5, s4
	v_mul_lo_u32 v4, v4, s4
	v_add_nc_u32_e32 v9, s5, v27
	v_mul_lo_u32 v3, v3, s4
	v_sub_nc_u32_e32 v1, v1, v2
	v_mul_lo_u32 v2, v7, s6
	v_mul_lo_u32 v7, v8, s6
	;; [unrolled: 1-line block ×3, first 2 shown]
	v_add_nc_u32_e32 v8, s5, v28
	v_add_nc_u32_e32 v10, s7, v27
	v_mul_lo_u32 v9, v9, s4
	v_cmp_lt_u32_e32 vcc_lo, s3, v1
	v_add_nc_u32_e32 v14, s7, v22
	v_sub_nc_u32_e32 v2, v4, v2
	v_sub_nc_u32_e32 v4, v5, v7
	v_add_nc_u32_e32 v5, s7, v28
	v_sub_nc_u32_e32 v3, v3, v6
	v_add_nc_u32_e32 v6, s5, v26
	v_add_nc_u32_e32 v7, s7, v26
	v_mul_lo_u32 v8, v8, s4
	v_mul_lo_u32 v5, v5, s6
	;; [unrolled: 1-line block ×5, first 2 shown]
	s_wait_alu 0xfffd
	v_cndmask_b32_e64 v1, 0, 1, vcc_lo
	v_cmp_lt_u32_e32 vcc_lo, s3, v3
	v_mul_lo_u32 v14, v14, s6
	v_add_nc_u32_e32 v15, s7, v24
	v_sub_nc_u32_e32 v5, v8, v5
	v_add_nc_u32_e32 v8, s7, v25
	s_wait_alu 0xfffd
	v_cndmask_b32_e64 v3, 0, 1, vcc_lo
	v_sub_nc_u32_e32 v6, v6, v7
	v_mul_lo_u32 v15, v15, s6
	v_cmp_lt_u32_e32 vcc_lo, s3, v5
	v_mul_lo_u32 v7, v8, s6
	v_sub_nc_u32_e32 v8, v9, v10
	v_add_nc_u32_e32 v9, s5, v22
	v_add_nc_u32_e32 v10, s5, v24
	s_wait_alu 0xfffd
	v_cndmask_b32_e64 v5, 0, 1, vcc_lo
	v_cmp_lt_u32_e32 vcc_lo, s3, v6
	v_add_nc_u32_e32 v11, s5, v25
	v_mul_lo_u32 v9, v9, s4
	v_mul_lo_u32 v10, v10, s4
	v_add_nc_u32_e32 v12, s5, v23
	s_wait_alu 0xfffd
	v_cndmask_b32_e64 v6, 0, 1, vcc_lo
	v_mul_lo_u32 v11, v11, s4
	v_add_nc_u32_e32 v16, s7, v23
	v_lshlrev_b16 v3, 8, v3
	v_add_nc_u32_e32 v13, s5, v21
	v_sub_nc_u32_e32 v9, v9, v14
	v_sub_nc_u32_e32 v10, v10, v15
	v_add_nc_u32_e32 v19, s7, v21
	v_mul_lo_u32 v12, v12, s4
	v_mul_lo_u32 v16, v16, s6
	v_cmp_lt_u32_e32 vcc_lo, s3, v9
	v_sub_nc_u32_e32 v7, v11, v7
	v_lshrrev_b32_e32 v3, 8, v3
	v_mul_lo_u32 v11, v13, s4
	v_mul_lo_u32 v13, v19, s6
	s_wait_alu 0xfffd
	v_cndmask_b32_e64 v9, 0, 1, vcc_lo
	v_cmp_lt_u32_e32 vcc_lo, s3, v2
	v_sub_nc_u32_e32 v12, v12, v16
	v_lshlrev_b16 v3, 8, v3
	v_lshlrev_b16 v1, 8, v1
	v_lshlrev_b16 v5, 8, v5
	s_wait_alu 0xfffd
	v_cndmask_b32_e64 v2, 0, 1, vcc_lo
	v_cmp_lt_u32_e32 vcc_lo, s3, v10
	v_sub_nc_u32_e32 v11, v11, v13
	v_add_nc_u32_e32 v14, s5, v47
	v_add_nc_u32_e32 v15, s7, v47
	v_or_b32_e32 v2, v2, v3
	s_wait_alu 0xfffd
	v_cndmask_b32_e64 v10, 0, 1, vcc_lo
	v_cmp_lt_u32_e32 vcc_lo, s3, v4
	v_lshlrev_b16 v3, 8, v9
	v_lshrrev_b32_e32 v5, 8, v5
	v_lshrrev_b32_e32 v1, 8, v1
	v_lshlrev_b16 v9, 8, v10
	s_wait_alu 0xfffd
	v_cndmask_b32_e64 v4, 0, 1, vcc_lo
	v_cmp_lt_u32_e32 vcc_lo, s3, v8
	v_lshrrev_b32_e32 v3, 8, v3
	v_mul_lo_u32 v14, v14, s4
	v_lshrrev_b32_e32 v9, 8, v9
	v_mul_lo_u32 v15, v15, s6
	s_wait_alu 0xfffd
	v_cndmask_b32_e64 v8, 0, 1, vcc_lo
	v_cmp_lt_u32_e32 vcc_lo, s3, v7
	v_lshlrev_b16 v6, 8, v6
	v_lshlrev_b16 v1, 8, v1
	;; [unrolled: 1-line block ×4, first 2 shown]
	s_wait_alu 0xfffd
	v_cndmask_b32_e64 v7, 0, 1, vcc_lo
	v_cmp_lt_u32_e32 vcc_lo, s3, v12
	v_lshlrev_b16 v3, 8, v3
	v_sub_nc_u32_e32 v10, v14, v15
	v_or_b32_e32 v1, v4, v1
	v_or_b32_e32 v4, v8, v5
	s_wait_alu 0xfffd
	v_cndmask_b32_e64 v12, 0, 1, vcc_lo
	v_cmp_lt_u32_e32 vcc_lo, s3, v11
	v_or_b32_e32 v5, v7, v6
	v_and_b32_e32 v2, 0xffff, v2
	v_lshlrev_b32_e32 v1, 16, v1
	v_or_b32_e32 v6, v12, v9
	s_wait_alu 0xfffd
	v_cndmask_b32_e64 v11, 0, 1, vcc_lo
	v_and_b32_e32 v4, 0xffff, v4
	v_lshlrev_b32_e32 v5, 16, v5
	v_cmp_lt_u32_e32 vcc_lo, s3, v10
	v_and_b32_e32 v6, 0xffff, v6
	v_or_b32_e32 v3, v11, v3
	v_or_b32_e32 v54, v2, v1
	;; [unrolled: 1-line block ×3, first 2 shown]
	s_wait_alu 0xfffd
	v_cndmask_b32_e64 v49, 0, 1, vcc_lo
	v_lshlrev_b32_e32 v3, 16, v3
	s_delay_alu instid0(VALU_DEP_1)
	v_or_b32_e32 v50, v6, v3
	s_cbranch_execz .LBB804_11
	s_branch .LBB804_38
.LBB804_10:
                                        ; implicit-def: $vgpr49
                                        ; implicit-def: $vgpr50
                                        ; implicit-def: $vgpr52
                                        ; implicit-def: $vgpr54
.LBB804_11:
	v_dual_mov_b32 v2, 0 :: v_dual_mov_b32 v1, 0
	s_mov_b32 s0, exec_lo
	v_cmpx_gt_u32_e64 s22, v48
	s_cbranch_execz .LBB804_13
; %bb.12:
	v_add_nc_u32_e32 v1, s5, v31
	v_add_nc_u32_e32 v3, s7, v31
	s_delay_alu instid0(VALU_DEP_2) | instskip(NEXT) | instid1(VALU_DEP_2)
	v_mul_lo_u32 v1, v1, s4
	v_mul_lo_u32 v3, v3, s6
	s_delay_alu instid0(VALU_DEP_1) | instskip(NEXT) | instid1(VALU_DEP_1)
	v_sub_nc_u32_e32 v1, v1, v3
	v_cmp_lt_u32_e32 vcc_lo, s3, v1
	s_wait_alu 0xfffd
	v_cndmask_b32_e64 v1, 0, 1, vcc_lo
.LBB804_13:
	s_wait_alu 0xfffe
	s_or_b32 exec_lo, exec_lo, s0
	v_add_nc_u32_e32 v3, 1, v48
	s_mov_b32 s0, exec_lo
	s_delay_alu instid0(VALU_DEP_1)
	v_cmpx_gt_u32_e64 s22, v3
	s_cbranch_execz .LBB804_15
; %bb.14:
	v_add_nc_u32_e32 v2, s5, v32
	v_add_nc_u32_e32 v3, s7, v32
	s_delay_alu instid0(VALU_DEP_2) | instskip(NEXT) | instid1(VALU_DEP_2)
	v_mul_lo_u32 v2, v2, s4
	v_mul_lo_u32 v3, v3, s6
	s_delay_alu instid0(VALU_DEP_1) | instskip(NEXT) | instid1(VALU_DEP_1)
	v_sub_nc_u32_e32 v2, v2, v3
	v_cmp_lt_u32_e32 vcc_lo, s3, v2
	s_wait_alu 0xfffd
	v_cndmask_b32_e64 v2, 0, 1, vcc_lo
.LBB804_15:
	s_wait_alu 0xfffe
	s_or_b32 exec_lo, exec_lo, s0
	v_dual_mov_b32 v4, 0 :: v_dual_add_nc_u32 v3, 2, v48
	s_delay_alu instid0(VALU_DEP_1)
	v_cmp_gt_u32_e32 vcc_lo, s22, v3
	v_mov_b32_e32 v3, 0
	s_and_saveexec_b32 s0, vcc_lo
	s_cbranch_execz .LBB804_17
; %bb.16:
	v_add_nc_u32_e32 v3, s5, v29
	v_add_nc_u32_e32 v5, s7, v29
	s_delay_alu instid0(VALU_DEP_2) | instskip(NEXT) | instid1(VALU_DEP_2)
	v_mul_lo_u32 v3, v3, s4
	v_mul_lo_u32 v5, v5, s6
	s_delay_alu instid0(VALU_DEP_1) | instskip(NEXT) | instid1(VALU_DEP_1)
	v_sub_nc_u32_e32 v3, v3, v5
	v_cmp_lt_u32_e32 vcc_lo, s3, v3
	s_wait_alu 0xfffd
	v_cndmask_b32_e64 v3, 0, 1, vcc_lo
.LBB804_17:
	s_wait_alu 0xfffe
	s_or_b32 exec_lo, exec_lo, s0
	v_add_nc_u32_e32 v5, 3, v48
	s_mov_b32 s0, exec_lo
	s_delay_alu instid0(VALU_DEP_1)
	v_cmpx_gt_u32_e64 s22, v5
	s_cbranch_execz .LBB804_19
; %bb.18:
	v_add_nc_u32_e32 v4, s5, v30
	v_add_nc_u32_e32 v5, s7, v30
	s_delay_alu instid0(VALU_DEP_2) | instskip(NEXT) | instid1(VALU_DEP_2)
	v_mul_lo_u32 v4, v4, s4
	v_mul_lo_u32 v5, v5, s6
	s_delay_alu instid0(VALU_DEP_1) | instskip(NEXT) | instid1(VALU_DEP_1)
	v_sub_nc_u32_e32 v4, v4, v5
	v_cmp_lt_u32_e32 vcc_lo, s3, v4
	s_wait_alu 0xfffd
	v_cndmask_b32_e64 v4, 0, 1, vcc_lo
.LBB804_19:
	s_wait_alu 0xfffe
	s_or_b32 exec_lo, exec_lo, s0
	v_dual_mov_b32 v6, 0 :: v_dual_add_nc_u32 v5, 4, v48
	s_delay_alu instid0(VALU_DEP_1)
	v_cmp_gt_u32_e32 vcc_lo, s22, v5
	v_mov_b32_e32 v5, 0
	s_and_saveexec_b32 s0, vcc_lo
	;; [unrolled: 39-line block ×5, first 2 shown]
	s_cbranch_execz .LBB804_33
; %bb.32:
	v_add_nc_u32_e32 v11, s5, v21
	v_add_nc_u32_e32 v13, s7, v21
	s_delay_alu instid0(VALU_DEP_2) | instskip(NEXT) | instid1(VALU_DEP_2)
	v_mul_lo_u32 v11, v11, s4
	v_mul_lo_u32 v13, v13, s6
	s_delay_alu instid0(VALU_DEP_1) | instskip(NEXT) | instid1(VALU_DEP_1)
	v_sub_nc_u32_e32 v11, v11, v13
	v_cmp_lt_u32_e32 vcc_lo, s3, v11
	s_wait_alu 0xfffd
	v_cndmask_b32_e64 v11, 0, 1, vcc_lo
.LBB804_33:
	s_wait_alu 0xfffe
	s_or_b32 exec_lo, exec_lo, s0
	v_add_nc_u32_e32 v13, 11, v48
	s_mov_b32 s0, exec_lo
	s_delay_alu instid0(VALU_DEP_1)
	v_cmpx_gt_u32_e64 s22, v13
	s_cbranch_execz .LBB804_35
; %bb.34:
	v_add_nc_u32_e32 v12, s5, v22
	v_add_nc_u32_e32 v13, s7, v22
	s_delay_alu instid0(VALU_DEP_2) | instskip(NEXT) | instid1(VALU_DEP_2)
	v_mul_lo_u32 v12, v12, s4
	v_mul_lo_u32 v13, v13, s6
	s_delay_alu instid0(VALU_DEP_1) | instskip(NEXT) | instid1(VALU_DEP_1)
	v_sub_nc_u32_e32 v12, v12, v13
	v_cmp_lt_u32_e32 vcc_lo, s3, v12
	s_wait_alu 0xfffd
	v_cndmask_b32_e64 v12, 0, 1, vcc_lo
.LBB804_35:
	s_wait_alu 0xfffe
	s_or_b32 exec_lo, exec_lo, s0
	v_add_nc_u32_e32 v13, 12, v48
	v_mov_b32_e32 v49, 0
	s_mov_b32 s0, exec_lo
	s_delay_alu instid0(VALU_DEP_2)
	v_cmpx_gt_u32_e64 s22, v13
	s_cbranch_execz .LBB804_37
; %bb.36:
	v_add_nc_u32_e32 v13, s5, v47
	v_add_nc_u32_e32 v14, s7, v47
	s_delay_alu instid0(VALU_DEP_2) | instskip(NEXT) | instid1(VALU_DEP_2)
	v_mul_lo_u32 v13, v13, s4
	v_mul_lo_u32 v14, v14, s6
	s_delay_alu instid0(VALU_DEP_1) | instskip(NEXT) | instid1(VALU_DEP_1)
	v_sub_nc_u32_e32 v13, v13, v14
	v_cmp_lt_u32_e32 vcc_lo, s3, v13
	s_wait_alu 0xfffd
	v_cndmask_b32_e64 v49, 0, 1, vcc_lo
.LBB804_37:
	s_wait_alu 0xfffe
	s_or_b32 exec_lo, exec_lo, s0
	v_lshlrev_b16 v2, 8, v2
	v_lshlrev_b16 v4, 8, v4
	;; [unrolled: 1-line block ×5, first 2 shown]
	v_or_b32_e32 v1, v1, v2
	v_lshlrev_b16 v2, 8, v12
	v_or_b32_e32 v3, v3, v4
	v_or_b32_e32 v4, v5, v6
	;; [unrolled: 1-line block ×5, first 2 shown]
	v_and_b32_e32 v1, 0xffff, v1
	v_lshlrev_b32_e32 v3, 16, v3
	v_and_b32_e32 v4, 0xffff, v4
	v_lshlrev_b32_e32 v5, 16, v5
	;; [unrolled: 2-line block ×3, first 2 shown]
	v_or_b32_e32 v54, v1, v3
	s_delay_alu instid0(VALU_DEP_4) | instskip(NEXT) | instid1(VALU_DEP_3)
	v_or_b32_e32 v52, v4, v5
	v_or_b32_e32 v50, v6, v2
.LBB804_38:
	s_delay_alu instid0(VALU_DEP_3)
	v_and_b32_e32 v56, 0xff, v54
	v_bfe_u32 v57, v54, 8, 8
	v_bfe_u32 v58, v54, 16, 8
	v_lshrrev_b32_e32 v55, 24, v54
	v_and_b32_e32 v59, 0xff, v52
	v_bfe_u32 v60, v52, 8, 8
	v_bfe_u32 v61, v52, 16, 8
	v_add3_u32 v1, v57, v56, v58
	v_lshrrev_b32_e32 v53, 24, v52
	v_and_b32_e32 v62, 0xff, v50
	v_bfe_u32 v63, v50, 8, 8
	v_mbcnt_lo_u32_b32 v65, -1, 0
	v_add3_u32 v1, v1, v55, v59
	v_bfe_u32 v64, v50, 16, 8
	v_lshrrev_b32_e32 v51, 24, v50
	v_and_b32_e32 v2, 0xff, v49
	v_and_b32_e32 v3, 15, v65
	v_add3_u32 v1, v1, v60, v61
	v_or_b32_e32 v4, 31, v0
	v_and_b32_e32 v5, 16, v65
	v_lshrrev_b32_e32 v66, 5, v0
	v_cmp_eq_u32_e64 s6, 0, v3
	v_add3_u32 v1, v1, v53, v62
	v_cmp_lt_u32_e64 s5, 1, v3
	v_cmp_lt_u32_e64 s4, 3, v3
	;; [unrolled: 1-line block ×3, first 2 shown]
	v_cmp_eq_u32_e64 s1, 0, v5
	v_add3_u32 v1, v1, v63, v64
	v_cmp_eq_u32_e64 s0, v0, v4
	s_cmp_lg_u32 s15, 0
	s_mov_b32 s7, -1
	v_add3_u32 v67, v1, v51, v2
	s_cbranch_scc0 .LBB804_59
; %bb.39:
	s_delay_alu instid0(VALU_DEP_1) | instskip(NEXT) | instid1(VALU_DEP_1)
	v_mov_b32_dpp v1, v67 row_shr:1 row_mask:0xf bank_mask:0xf
	v_cndmask_b32_e64 v1, v1, 0, s6
	s_delay_alu instid0(VALU_DEP_1) | instskip(NEXT) | instid1(VALU_DEP_1)
	v_add_nc_u32_e32 v1, v1, v67
	v_mov_b32_dpp v2, v1 row_shr:2 row_mask:0xf bank_mask:0xf
	s_delay_alu instid0(VALU_DEP_1) | instskip(NEXT) | instid1(VALU_DEP_1)
	v_cndmask_b32_e64 v2, 0, v2, s5
	v_add_nc_u32_e32 v1, v1, v2
	s_delay_alu instid0(VALU_DEP_1) | instskip(NEXT) | instid1(VALU_DEP_1)
	v_mov_b32_dpp v2, v1 row_shr:4 row_mask:0xf bank_mask:0xf
	v_cndmask_b32_e64 v2, 0, v2, s4
	s_delay_alu instid0(VALU_DEP_1) | instskip(NEXT) | instid1(VALU_DEP_1)
	v_add_nc_u32_e32 v1, v1, v2
	v_mov_b32_dpp v2, v1 row_shr:8 row_mask:0xf bank_mask:0xf
	s_delay_alu instid0(VALU_DEP_1) | instskip(NEXT) | instid1(VALU_DEP_1)
	v_cndmask_b32_e64 v2, 0, v2, s3
	v_add_nc_u32_e32 v1, v1, v2
	ds_swizzle_b32 v2, v1 offset:swizzle(BROADCAST,32,15)
	s_wait_dscnt 0x0
	v_cndmask_b32_e64 v2, v2, 0, s1
	s_delay_alu instid0(VALU_DEP_1)
	v_add_nc_u32_e32 v1, v1, v2
	s_and_saveexec_b32 s7, s0
; %bb.40:
	v_lshlrev_b32_e32 v2, 2, v66
	ds_store_b32 v2, v1
; %bb.41:
	s_wait_alu 0xfffe
	s_or_b32 exec_lo, exec_lo, s7
	s_delay_alu instid0(SALU_CYCLE_1)
	s_mov_b32 s7, exec_lo
	s_wait_loadcnt_dscnt 0x0
	s_barrier_signal -1
	s_barrier_wait -1
	global_inv scope:SCOPE_SE
	v_cmpx_gt_u32_e32 8, v0
	s_cbranch_execz .LBB804_43
; %bb.42:
	ds_load_b32 v2, v45
	s_wait_dscnt 0x0
	v_mov_b32_dpp v4, v2 row_shr:1 row_mask:0xf bank_mask:0xf
	v_and_b32_e32 v3, 7, v65
	s_delay_alu instid0(VALU_DEP_1) | instskip(SKIP_1) | instid1(VALU_DEP_3)
	v_cmp_ne_u32_e32 vcc_lo, 0, v3
	s_wait_alu 0xfffd
	v_cndmask_b32_e32 v4, 0, v4, vcc_lo
	v_cmp_lt_u32_e32 vcc_lo, 1, v3
	s_delay_alu instid0(VALU_DEP_2) | instskip(NEXT) | instid1(VALU_DEP_1)
	v_add_nc_u32_e32 v2, v4, v2
	v_mov_b32_dpp v4, v2 row_shr:2 row_mask:0xf bank_mask:0xf
	s_wait_alu 0xfffd
	s_delay_alu instid0(VALU_DEP_1) | instskip(SKIP_1) | instid1(VALU_DEP_2)
	v_cndmask_b32_e32 v4, 0, v4, vcc_lo
	v_cmp_lt_u32_e32 vcc_lo, 3, v3
	v_add_nc_u32_e32 v2, v2, v4
	s_delay_alu instid0(VALU_DEP_1) | instskip(SKIP_1) | instid1(VALU_DEP_1)
	v_mov_b32_dpp v4, v2 row_shr:4 row_mask:0xf bank_mask:0xf
	s_wait_alu 0xfffd
	v_cndmask_b32_e32 v3, 0, v4, vcc_lo
	s_delay_alu instid0(VALU_DEP_1)
	v_add_nc_u32_e32 v2, v2, v3
	ds_store_b32 v45, v2
.LBB804_43:
	s_wait_alu 0xfffe
	s_or_b32 exec_lo, exec_lo, s7
	s_delay_alu instid0(SALU_CYCLE_1)
	s_mov_b32 s8, exec_lo
	v_cmp_gt_u32_e32 vcc_lo, 32, v0
	s_wait_loadcnt_dscnt 0x0
	s_barrier_signal -1
	s_barrier_wait -1
	global_inv scope:SCOPE_SE
                                        ; implicit-def: $vgpr9
	v_cmpx_lt_u32_e32 31, v0
	s_cbranch_execz .LBB804_45
; %bb.44:
	v_lshl_add_u32 v2, v66, 2, -4
	ds_load_b32 v9, v2
	s_wait_dscnt 0x0
	v_add_nc_u32_e32 v1, v9, v1
.LBB804_45:
	s_wait_alu 0xfffe
	s_or_b32 exec_lo, exec_lo, s8
	v_sub_co_u32 v2, s7, v65, 1
	s_delay_alu instid0(VALU_DEP_1) | instskip(SKIP_1) | instid1(VALU_DEP_1)
	v_cmp_gt_i32_e64 s8, 0, v2
	s_wait_alu 0xf1ff
	v_cndmask_b32_e64 v2, v2, v65, s8
	s_delay_alu instid0(VALU_DEP_1)
	v_lshlrev_b32_e32 v2, 2, v2
	ds_bpermute_b32 v10, v2, v1
	s_and_saveexec_b32 s8, vcc_lo
	s_cbranch_execz .LBB804_64
; %bb.46:
	v_mov_b32_e32 v5, 0
	ds_load_b32 v1, v5 offset:28
	s_and_saveexec_b32 s23, s7
	s_cbranch_execz .LBB804_48
; %bb.47:
	s_add_co_i32 s24, s15, 32
	s_mov_b32 s25, 0
	v_mov_b32_e32 v2, 1
	s_lshl_b64 s[24:25], s[24:25], 3
	s_delay_alu instid0(SALU_CYCLE_1)
	s_add_nc_u64 s[24:25], s[20:21], s[24:25]
	s_wait_dscnt 0x0
	global_store_b64 v5, v[1:2], s[24:25] scope:SCOPE_DEV
.LBB804_48:
	s_wait_alu 0xfffe
	s_or_b32 exec_lo, exec_lo, s23
	v_xad_u32 v3, v65, -1, s15
	s_mov_b32 s24, 0
	s_mov_b32 s23, exec_lo
	s_delay_alu instid0(VALU_DEP_1) | instskip(NEXT) | instid1(VALU_DEP_1)
	v_add_nc_u32_e32 v4, 32, v3
	v_lshlrev_b64_e32 v[4:5], 3, v[4:5]
	s_delay_alu instid0(VALU_DEP_1) | instskip(SKIP_1) | instid1(VALU_DEP_2)
	v_add_co_u32 v7, vcc_lo, s20, v4
	s_wait_alu 0xfffd
	v_add_co_ci_u32_e64 v8, null, s21, v5, vcc_lo
	global_load_b64 v[5:6], v[7:8], off scope:SCOPE_DEV
	s_wait_loadcnt 0x0
	v_and_b32_e32 v2, 0xff, v6
	s_delay_alu instid0(VALU_DEP_1)
	v_cmpx_eq_u16_e32 0, v2
	s_cbranch_execz .LBB804_51
.LBB804_49:                             ; =>This Inner Loop Header: Depth=1
	global_load_b64 v[5:6], v[7:8], off scope:SCOPE_DEV
	s_wait_loadcnt 0x0
	v_and_b32_e32 v2, 0xff, v6
	s_delay_alu instid0(VALU_DEP_1) | instskip(SKIP_1) | instid1(SALU_CYCLE_1)
	v_cmp_ne_u16_e32 vcc_lo, 0, v2
	s_or_b32 s24, vcc_lo, s24
	s_and_not1_b32 exec_lo, exec_lo, s24
	s_cbranch_execnz .LBB804_49
; %bb.50:
	s_or_b32 exec_lo, exec_lo, s24
.LBB804_51:
	s_wait_alu 0xfffe
	s_or_b32 exec_lo, exec_lo, s23
	v_cmp_ne_u32_e32 vcc_lo, 31, v65
	v_lshlrev_b32_e64 v12, v65, -1
	v_add_nc_u32_e32 v14, 2, v65
	v_add_nc_u32_e32 v16, 4, v65
	v_add_nc_u32_e32 v20, 8, v65
	s_wait_alu 0xfffd
	v_add_co_ci_u32_e64 v2, null, 0, v65, vcc_lo
	v_lshl_or_b32 v68, v65, 2, 64
	v_add_nc_u32_e32 v69, 16, v65
	s_delay_alu instid0(VALU_DEP_3)
	v_lshlrev_b32_e32 v11, 2, v2
	v_and_b32_e32 v2, 0xff, v6
	ds_bpermute_b32 v4, v11, v5
	v_cmp_eq_u16_e32 vcc_lo, 2, v2
	s_wait_alu 0xfffd
	v_and_or_b32 v2, vcc_lo, v12, 0x80000000
	v_cmp_gt_u32_e32 vcc_lo, 30, v65
	s_delay_alu instid0(VALU_DEP_2) | instskip(SKIP_2) | instid1(VALU_DEP_2)
	v_ctz_i32_b32_e32 v2, v2
	s_wait_alu 0xfffd
	v_cndmask_b32_e64 v7, 0, 2, vcc_lo
	v_cmp_lt_u32_e32 vcc_lo, v65, v2
	s_delay_alu instid0(VALU_DEP_2) | instskip(SKIP_4) | instid1(VALU_DEP_2)
	v_add_lshl_u32 v13, v7, v65, 2
	s_wait_dscnt 0x0
	s_wait_alu 0xfffd
	v_cndmask_b32_e32 v4, 0, v4, vcc_lo
	v_cmp_gt_u32_e32 vcc_lo, 28, v65
	v_add_nc_u32_e32 v4, v4, v5
	s_wait_alu 0xfffd
	v_cndmask_b32_e64 v7, 0, 4, vcc_lo
	v_cmp_le_u32_e32 vcc_lo, v14, v2
	ds_bpermute_b32 v5, v13, v4
	v_add_lshl_u32 v15, v7, v65, 2
	s_wait_dscnt 0x0
	s_wait_alu 0xfffd
	v_cndmask_b32_e32 v5, 0, v5, vcc_lo
	v_cmp_gt_u32_e32 vcc_lo, 24, v65
	s_delay_alu instid0(VALU_DEP_2)
	v_add_nc_u32_e32 v4, v4, v5
	s_wait_alu 0xfffd
	v_cndmask_b32_e64 v7, 0, 8, vcc_lo
	v_cmp_le_u32_e32 vcc_lo, v16, v2
	ds_bpermute_b32 v5, v15, v4
	v_add_lshl_u32 v19, v7, v65, 2
	s_wait_dscnt 0x0
	s_wait_alu 0xfffd
	v_cndmask_b32_e32 v5, 0, v5, vcc_lo
	v_cmp_le_u32_e32 vcc_lo, v20, v2
	s_delay_alu instid0(VALU_DEP_2)
	v_add_nc_u32_e32 v4, v4, v5
	ds_bpermute_b32 v5, v19, v4
	s_wait_dscnt 0x0
	s_wait_alu 0xfffd
	v_cndmask_b32_e32 v5, 0, v5, vcc_lo
	v_cmp_le_u32_e32 vcc_lo, v69, v2
	s_delay_alu instid0(VALU_DEP_2) | instskip(SKIP_4) | instid1(VALU_DEP_1)
	v_add_nc_u32_e32 v4, v4, v5
	ds_bpermute_b32 v5, v68, v4
	s_wait_dscnt 0x0
	s_wait_alu 0xfffd
	v_cndmask_b32_e32 v2, 0, v5, vcc_lo
	v_dual_mov_b32 v4, 0 :: v_dual_add_nc_u32 v5, v4, v2
	s_branch .LBB804_55
.LBB804_52:                             ;   in Loop: Header=BB804_55 Depth=1
	s_or_b32 exec_lo, exec_lo, s24
.LBB804_53:                             ;   in Loop: Header=BB804_55 Depth=1
	s_wait_alu 0xfffe
	s_or_b32 exec_lo, exec_lo, s23
	ds_bpermute_b32 v8, v11, v5
	v_and_b32_e32 v7, 0xff, v6
	v_subrev_nc_u32_e32 v3, 32, v3
	s_mov_b32 s23, 0
	s_delay_alu instid0(VALU_DEP_2) | instskip(SKIP_2) | instid1(VALU_DEP_1)
	v_cmp_eq_u16_e32 vcc_lo, 2, v7
	s_wait_alu 0xfffd
	v_and_or_b32 v7, vcc_lo, v12, 0x80000000
	v_ctz_i32_b32_e32 v7, v7
	s_delay_alu instid0(VALU_DEP_1) | instskip(SKIP_4) | instid1(VALU_DEP_2)
	v_cmp_lt_u32_e32 vcc_lo, v65, v7
	s_wait_dscnt 0x0
	s_wait_alu 0xfffd
	v_cndmask_b32_e32 v8, 0, v8, vcc_lo
	v_cmp_le_u32_e32 vcc_lo, v14, v7
	v_add_nc_u32_e32 v5, v8, v5
	ds_bpermute_b32 v8, v13, v5
	s_wait_dscnt 0x0
	s_wait_alu 0xfffd
	v_cndmask_b32_e32 v8, 0, v8, vcc_lo
	v_cmp_le_u32_e32 vcc_lo, v16, v7
	s_delay_alu instid0(VALU_DEP_2)
	v_add_nc_u32_e32 v5, v5, v8
	ds_bpermute_b32 v8, v15, v5
	s_wait_dscnt 0x0
	s_wait_alu 0xfffd
	v_cndmask_b32_e32 v8, 0, v8, vcc_lo
	v_cmp_le_u32_e32 vcc_lo, v20, v7
	s_delay_alu instid0(VALU_DEP_2)
	v_add_nc_u32_e32 v5, v5, v8
	ds_bpermute_b32 v8, v19, v5
	s_wait_dscnt 0x0
	s_wait_alu 0xfffd
	v_cndmask_b32_e32 v8, 0, v8, vcc_lo
	v_cmp_le_u32_e32 vcc_lo, v69, v7
	s_delay_alu instid0(VALU_DEP_2) | instskip(SKIP_4) | instid1(VALU_DEP_1)
	v_add_nc_u32_e32 v5, v5, v8
	ds_bpermute_b32 v8, v68, v5
	s_wait_dscnt 0x0
	s_wait_alu 0xfffd
	v_cndmask_b32_e32 v7, 0, v8, vcc_lo
	v_add3_u32 v5, v7, v2, v5
.LBB804_54:                             ;   in Loop: Header=BB804_55 Depth=1
	s_wait_alu 0xfffe
	s_and_b32 vcc_lo, exec_lo, s23
	s_wait_alu 0xfffe
	s_cbranch_vccnz .LBB804_60
.LBB804_55:                             ; =>This Loop Header: Depth=1
                                        ;     Child Loop BB804_58 Depth 2
	v_and_b32_e32 v2, 0xff, v6
	s_mov_b32 s23, -1
                                        ; implicit-def: $vgpr6
	s_delay_alu instid0(VALU_DEP_1)
	v_cmp_ne_u16_e32 vcc_lo, 2, v2
	v_mov_b32_e32 v2, v5
                                        ; implicit-def: $vgpr5
	s_cmp_lg_u32 vcc_lo, exec_lo
	s_cbranch_scc1 .LBB804_54
; %bb.56:                               ;   in Loop: Header=BB804_55 Depth=1
	v_lshlrev_b64_e32 v[5:6], 3, v[3:4]
	s_mov_b32 s23, exec_lo
	s_delay_alu instid0(VALU_DEP_1) | instskip(SKIP_1) | instid1(VALU_DEP_2)
	v_add_co_u32 v7, vcc_lo, s20, v5
	s_wait_alu 0xfffd
	v_add_co_ci_u32_e64 v8, null, s21, v6, vcc_lo
	global_load_b64 v[5:6], v[7:8], off scope:SCOPE_DEV
	s_wait_loadcnt 0x0
	v_and_b32_e32 v70, 0xff, v6
	s_delay_alu instid0(VALU_DEP_1)
	v_cmpx_eq_u16_e32 0, v70
	s_cbranch_execz .LBB804_53
; %bb.57:                               ;   in Loop: Header=BB804_55 Depth=1
	s_mov_b32 s24, 0
.LBB804_58:                             ;   Parent Loop BB804_55 Depth=1
                                        ; =>  This Inner Loop Header: Depth=2
	global_load_b64 v[5:6], v[7:8], off scope:SCOPE_DEV
	s_wait_loadcnt 0x0
	v_and_b32_e32 v70, 0xff, v6
	s_delay_alu instid0(VALU_DEP_1) | instskip(SKIP_1) | instid1(SALU_CYCLE_1)
	v_cmp_ne_u16_e32 vcc_lo, 0, v70
	s_or_b32 s24, vcc_lo, s24
	s_and_not1_b32 exec_lo, exec_lo, s24
	s_cbranch_execnz .LBB804_58
	s_branch .LBB804_52
.LBB804_59:
                                        ; implicit-def: $vgpr20
                                        ; implicit-def: $vgpr1_vgpr2_vgpr3_vgpr4_vgpr5_vgpr6_vgpr7_vgpr8_vgpr9_vgpr10_vgpr11_vgpr12_vgpr13_vgpr14_vgpr15_vgpr16
	s_wait_alu 0xfffe
	s_and_b32 vcc_lo, exec_lo, s7
	s_wait_alu 0xfffe
	s_cbranch_vccnz .LBB804_65
	s_branch .LBB804_74
.LBB804_60:
	s_and_saveexec_b32 s23, s7
	s_cbranch_execz .LBB804_62
; %bb.61:
	s_add_co_i32 s24, s15, 32
	s_mov_b32 s25, 0
	v_dual_mov_b32 v4, 2 :: v_dual_add_nc_u32 v3, v2, v1
	v_mov_b32_e32 v5, 0
	s_lshl_b64 s[24:25], s[24:25], 3
	s_delay_alu instid0(SALU_CYCLE_1)
	s_add_nc_u64 s[24:25], s[20:21], s[24:25]
	global_store_b64 v5, v[3:4], s[24:25] scope:SCOPE_DEV
	ds_store_b64 v5, v[1:2] offset:13312
.LBB804_62:
	s_wait_alu 0xfffe
	s_or_b32 exec_lo, exec_lo, s23
	s_delay_alu instid0(SALU_CYCLE_1)
	s_and_b32 exec_lo, exec_lo, s2
; %bb.63:
	v_mov_b32_e32 v1, 0
	ds_store_b32 v1, v2 offset:28
.LBB804_64:
	s_wait_alu 0xfffe
	s_or_b32 exec_lo, exec_lo, s8
	v_mov_b32_e32 v11, 0
	s_wait_storecnt 0x0
	s_wait_loadcnt_dscnt 0x0
	s_barrier_signal -1
	s_barrier_wait -1
	global_inv scope:SCOPE_SE
	ds_load_b32 v1, v11 offset:28
	v_cndmask_b32_e64 v2, v10, v9, s7
	s_wait_loadcnt_dscnt 0x0
	s_barrier_signal -1
	s_barrier_wait -1
	global_inv scope:SCOPE_SE
	v_cndmask_b32_e64 v2, v2, 0, s2
	s_delay_alu instid0(VALU_DEP_1) | instskip(NEXT) | instid1(VALU_DEP_1)
	v_add_nc_u32_e32 v1, v1, v2
	v_add_nc_u32_e32 v2, v1, v56
	ds_load_b64 v[19:20], v11 offset:13312
	v_add_nc_u32_e32 v3, v2, v57
	s_delay_alu instid0(VALU_DEP_1) | instskip(NEXT) | instid1(VALU_DEP_1)
	v_add_nc_u32_e32 v4, v3, v58
	v_add_nc_u32_e32 v5, v4, v55
	s_delay_alu instid0(VALU_DEP_1) | instskip(NEXT) | instid1(VALU_DEP_1)
	v_add_nc_u32_e32 v6, v5, v59
	;; [unrolled: 3-line block ×5, first 2 shown]
	v_add_nc_u32_e32 v13, v12, v51
	s_branch .LBB804_74
.LBB804_65:
	v_mov_b32_dpp v1, v67 row_shr:1 row_mask:0xf bank_mask:0xf
	s_delay_alu instid0(VALU_DEP_1) | instskip(NEXT) | instid1(VALU_DEP_1)
	v_cndmask_b32_e64 v1, v1, 0, s6
	v_add_nc_u32_e32 v1, v1, v67
	s_delay_alu instid0(VALU_DEP_1) | instskip(NEXT) | instid1(VALU_DEP_1)
	v_mov_b32_dpp v2, v1 row_shr:2 row_mask:0xf bank_mask:0xf
	v_cndmask_b32_e64 v2, 0, v2, s5
	s_delay_alu instid0(VALU_DEP_1) | instskip(NEXT) | instid1(VALU_DEP_1)
	v_add_nc_u32_e32 v1, v1, v2
	v_mov_b32_dpp v2, v1 row_shr:4 row_mask:0xf bank_mask:0xf
	s_delay_alu instid0(VALU_DEP_1) | instskip(NEXT) | instid1(VALU_DEP_1)
	v_cndmask_b32_e64 v2, 0, v2, s4
	v_add_nc_u32_e32 v1, v1, v2
	s_delay_alu instid0(VALU_DEP_1) | instskip(NEXT) | instid1(VALU_DEP_1)
	v_mov_b32_dpp v2, v1 row_shr:8 row_mask:0xf bank_mask:0xf
	v_cndmask_b32_e64 v2, 0, v2, s3
	s_delay_alu instid0(VALU_DEP_1) | instskip(SKIP_3) | instid1(VALU_DEP_1)
	v_add_nc_u32_e32 v1, v1, v2
	ds_swizzle_b32 v2, v1 offset:swizzle(BROADCAST,32,15)
	s_wait_dscnt 0x0
	v_cndmask_b32_e64 v2, v2, 0, s1
	v_add_nc_u32_e32 v1, v1, v2
	s_and_saveexec_b32 s1, s0
; %bb.66:
	v_lshlrev_b32_e32 v2, 2, v66
	ds_store_b32 v2, v1
; %bb.67:
	s_wait_alu 0xfffe
	s_or_b32 exec_lo, exec_lo, s1
	s_delay_alu instid0(SALU_CYCLE_1)
	s_mov_b32 s0, exec_lo
	s_wait_loadcnt_dscnt 0x0
	s_barrier_signal -1
	s_barrier_wait -1
	global_inv scope:SCOPE_SE
	v_cmpx_gt_u32_e32 8, v0
	s_cbranch_execz .LBB804_69
; %bb.68:
	ds_load_b32 v2, v45
	s_wait_dscnt 0x0
	v_mov_b32_dpp v4, v2 row_shr:1 row_mask:0xf bank_mask:0xf
	v_and_b32_e32 v3, 7, v65
	s_delay_alu instid0(VALU_DEP_1) | instskip(SKIP_1) | instid1(VALU_DEP_3)
	v_cmp_ne_u32_e32 vcc_lo, 0, v3
	s_wait_alu 0xfffd
	v_cndmask_b32_e32 v4, 0, v4, vcc_lo
	v_cmp_lt_u32_e32 vcc_lo, 1, v3
	s_delay_alu instid0(VALU_DEP_2) | instskip(NEXT) | instid1(VALU_DEP_1)
	v_add_nc_u32_e32 v2, v4, v2
	v_mov_b32_dpp v4, v2 row_shr:2 row_mask:0xf bank_mask:0xf
	s_wait_alu 0xfffd
	s_delay_alu instid0(VALU_DEP_1) | instskip(SKIP_1) | instid1(VALU_DEP_2)
	v_cndmask_b32_e32 v4, 0, v4, vcc_lo
	v_cmp_lt_u32_e32 vcc_lo, 3, v3
	v_add_nc_u32_e32 v2, v2, v4
	s_delay_alu instid0(VALU_DEP_1) | instskip(SKIP_1) | instid1(VALU_DEP_1)
	v_mov_b32_dpp v4, v2 row_shr:4 row_mask:0xf bank_mask:0xf
	s_wait_alu 0xfffd
	v_cndmask_b32_e32 v3, 0, v4, vcc_lo
	s_delay_alu instid0(VALU_DEP_1)
	v_add_nc_u32_e32 v2, v2, v3
	ds_store_b32 v45, v2
.LBB804_69:
	s_wait_alu 0xfffe
	s_or_b32 exec_lo, exec_lo, s0
	v_dual_mov_b32 v3, 0 :: v_dual_mov_b32 v2, 0
	s_mov_b32 s0, exec_lo
	s_wait_loadcnt_dscnt 0x0
	s_barrier_signal -1
	s_barrier_wait -1
	global_inv scope:SCOPE_SE
	v_cmpx_lt_u32_e32 31, v0
; %bb.70:
	v_lshl_add_u32 v2, v66, 2, -4
	ds_load_b32 v2, v2
; %bb.71:
	s_wait_alu 0xfffe
	s_or_b32 exec_lo, exec_lo, s0
	v_sub_co_u32 v4, vcc_lo, v65, 1
	s_wait_dscnt 0x0
	v_add_nc_u32_e32 v1, v2, v1
	ds_load_b32 v19, v3 offset:28
	v_cmp_gt_i32_e64 s0, 0, v4
	s_wait_alu 0xf1ff
	s_delay_alu instid0(VALU_DEP_1) | instskip(NEXT) | instid1(VALU_DEP_1)
	v_cndmask_b32_e64 v4, v4, v65, s0
	v_lshlrev_b32_e32 v4, 2, v4
	ds_bpermute_b32 v1, v4, v1
	s_and_saveexec_b32 s0, s2
	s_cbranch_execz .LBB804_73
; %bb.72:
	v_dual_mov_b32 v3, 0 :: v_dual_mov_b32 v20, 2
	s_wait_dscnt 0x1
	global_store_b64 v3, v[19:20], s[20:21] offset:256 scope:SCOPE_DEV
.LBB804_73:
	s_wait_alu 0xfffe
	s_or_b32 exec_lo, exec_lo, s0
	s_wait_dscnt 0x0
	s_wait_alu 0xfffd
	v_cndmask_b32_e32 v1, v1, v2, vcc_lo
	s_wait_loadcnt 0x0
	s_wait_storecnt 0x0
	s_barrier_signal -1
	s_barrier_wait -1
	global_inv scope:SCOPE_SE
	v_cndmask_b32_e64 v1, v1, 0, s2
	v_mov_b32_e32 v20, 0
	s_delay_alu instid0(VALU_DEP_2) | instskip(NEXT) | instid1(VALU_DEP_1)
	v_add_nc_u32_e32 v2, v1, v56
	v_add_nc_u32_e32 v3, v2, v57
	s_delay_alu instid0(VALU_DEP_1) | instskip(NEXT) | instid1(VALU_DEP_1)
	v_add_nc_u32_e32 v4, v3, v58
	v_add_nc_u32_e32 v5, v4, v55
	s_delay_alu instid0(VALU_DEP_1) | instskip(NEXT) | instid1(VALU_DEP_1)
	;; [unrolled: 3-line block ×5, first 2 shown]
	v_add_nc_u32_e32 v12, v11, v64
	v_add_nc_u32_e32 v13, v12, v51
.LBB804_74:
	s_wait_dscnt 0x0
	v_sub_nc_u32_e32 v1, v1, v20
	v_sub_nc_u32_e32 v2, v2, v20
	v_add_nc_u32_e32 v48, v19, v48
	v_lshrrev_b32_e32 v58, 8, v54
	v_lshrrev_b32_e32 v57, 16, v54
	v_sub_nc_u32_e32 v4, v4, v20
	v_sub_nc_u32_e32 v3, v3, v20
	;; [unrolled: 1-line block ×3, first 2 shown]
	v_and_b32_e32 v54, 1, v54
	v_and_b32_e32 v58, 1, v58
	;; [unrolled: 1-line block ×3, first 2 shown]
	v_lshrrev_b32_e32 v56, 8, v52
	v_lshrrev_b32_e32 v16, 16, v52
	v_cmp_eq_u32_e32 vcc_lo, 1, v54
	v_and_b32_e32 v54, 1, v57
	v_sub_nc_u32_e32 v57, v48, v2
	v_lshrrev_b32_e32 v15, 8, v50
	v_lshrrev_b32_e32 v14, 16, v50
	s_wait_alu 0xfffd
	v_cndmask_b32_e32 v1, v59, v1, vcc_lo
	v_cmp_eq_u32_e32 vcc_lo, 1, v58
	v_add_nc_u32_e32 v57, 1, v57
	s_delay_alu instid0(VALU_DEP_3)
	v_lshlrev_b32_e32 v1, 2, v1
	ds_store_b32 v1, v31
	s_wait_alu 0xfffd
	v_cndmask_b32_e32 v1, v57, v2, vcc_lo
	v_sub_nc_u32_e32 v59, v48, v3
	v_sub_nc_u32_e32 v60, v48, v4
	v_cmp_eq_u32_e32 vcc_lo, 1, v54
	s_delay_alu instid0(VALU_DEP_4) | instskip(NEXT) | instid1(VALU_DEP_4)
	v_lshlrev_b32_e32 v1, 2, v1
	v_add_nc_u32_e32 v59, 2, v59
	s_delay_alu instid0(VALU_DEP_4)
	v_add_nc_u32_e32 v60, 3, v60
	ds_store_b32 v1, v32
	s_wait_alu 0xfffd
	v_cndmask_b32_e32 v2, v59, v3, vcc_lo
	v_cmp_eq_u32_e32 vcc_lo, 1, v55
	s_wait_alu 0xfffd
	s_delay_alu instid0(VALU_DEP_2) | instskip(SKIP_2) | instid1(VALU_DEP_3)
	v_dual_cndmask_b32 v3, v60, v4 :: v_dual_lshlrev_b32 v2, 2, v2
	v_sub_nc_u32_e32 v4, v5, v20
	v_sub_nc_u32_e32 v5, v6, v20
	v_lshlrev_b32_e32 v3, 2, v3
	s_delay_alu instid0(VALU_DEP_3) | instskip(NEXT) | instid1(VALU_DEP_3)
	v_sub_nc_u32_e32 v1, v48, v4
	v_sub_nc_u32_e32 v6, v48, v5
	ds_store_b32 v2, v29
	ds_store_b32 v3, v30
	v_and_b32_e32 v2, 1, v52
	v_add_nc_u32_e32 v1, 4, v1
	v_add_nc_u32_e32 v3, 5, v6
	v_sub_nc_u32_e32 v6, v7, v20
	v_and_b32_e32 v7, 1, v56
	v_cmp_eq_u32_e32 vcc_lo, 1, v2
	v_sub_nc_u32_e32 v2, v8, v20
	s_wait_alu 0xfffd
	v_dual_cndmask_b32 v1, v1, v4 :: v_dual_and_b32 v8, 1, v53
	v_sub_nc_u32_e32 v4, v48, v6
	v_cmp_eq_u32_e32 vcc_lo, 1, v7
	v_and_b32_e32 v7, 1, v16
	s_delay_alu instid0(VALU_DEP_4)
	v_lshlrev_b32_e32 v1, 2, v1
	s_wait_alu 0xfffd
	v_dual_cndmask_b32 v3, v3, v5 :: v_dual_add_nc_u32 v4, 6, v4
	v_sub_nc_u32_e32 v5, v48, v2
	v_cmp_eq_u32_e32 vcc_lo, 1, v7
	v_sub_nc_u32_e32 v7, v13, v20
	s_delay_alu instid0(VALU_DEP_4)
	v_lshlrev_b32_e32 v3, 2, v3
	s_wait_alu 0xfffd
	v_dual_cndmask_b32 v4, v4, v6 :: v_dual_add_nc_u32 v5, 7, v5
	v_cmp_eq_u32_e32 vcc_lo, 1, v8
	v_sub_nc_u32_e32 v6, v9, v20
	ds_store_b32 v1, v27
	ds_store_b32 v3, v28
	s_wait_alu 0xfffd
	v_dual_cndmask_b32 v2, v5, v2 :: v_dual_lshlrev_b32 v3, 2, v4
	v_sub_nc_u32_e32 v1, v48, v6
	v_and_b32_e32 v5, 1, v50
	v_sub_nc_u32_e32 v4, v10, v20
	v_and_b32_e32 v10, 1, v51
	v_lshlrev_b32_e32 v2, 2, v2
	v_add_nc_u32_e32 v1, 8, v1
	ds_store_b32 v3, v25
	ds_store_b32 v2, v26
	v_cmp_eq_u32_e32 vcc_lo, 1, v5
	v_sub_nc_u32_e32 v3, v11, v20
	v_sub_nc_u32_e32 v2, v48, v4
	;; [unrolled: 1-line block ×3, first 2 shown]
	v_and_b32_e32 v11, 1, v49
	s_wait_alu 0xfffd
	v_dual_cndmask_b32 v1, v1, v6 :: v_dual_and_b32 v6, 1, v15
	v_sub_nc_u32_e32 v8, v48, v3
	v_add_nc_u32_e32 v2, 9, v2
	v_sub_nc_u32_e32 v9, v48, v5
	s_delay_alu instid0(VALU_DEP_4)
	v_lshlrev_b32_e32 v1, 2, v1
	v_cmp_eq_u32_e32 vcc_lo, 1, v6
	v_add_nc_u32_e32 v6, 10, v8
	v_and_b32_e32 v8, 1, v14
	v_add_nc_u32_e32 v9, 11, v9
	v_add_co_u32 v15, s0, v17, v20
	s_wait_alu 0xfffd
	v_cndmask_b32_e32 v2, v2, v4, vcc_lo
	v_cmp_eq_u32_e32 vcc_lo, 1, v8
	v_sub_nc_u32_e32 v4, v48, v7
	s_wait_alu 0xf1ff
	v_add_co_ci_u32_e64 v16, null, 0, v18, s0
	s_wait_alu 0xfffd
	v_dual_cndmask_b32 v3, v6, v3 :: v_dual_lshlrev_b32 v2, 2, v2
	v_cmp_eq_u32_e32 vcc_lo, 1, v10
	v_add_nc_u32_e32 v4, 12, v4
	s_delay_alu instid0(VALU_DEP_3) | instskip(SKIP_4) | instid1(VALU_DEP_2)
	v_lshlrev_b32_e32 v3, 2, v3
	s_wait_alu 0xfffd
	v_cndmask_b32_e32 v5, v9, v5, vcc_lo
	v_cmp_eq_u32_e32 vcc_lo, 1, v11
	s_wait_alu 0xfffd
	v_dual_cndmask_b32 v4, v4, v7 :: v_dual_lshlrev_b32 v5, 2, v5
	v_cmp_ne_u32_e32 vcc_lo, 1, v46
	s_delay_alu instid0(VALU_DEP_2)
	v_lshlrev_b32_e32 v4, 2, v4
	ds_store_b32 v1, v23
	ds_store_b32 v2, v24
	;; [unrolled: 1-line block ×5, first 2 shown]
	s_wait_loadcnt_dscnt 0x0
	s_barrier_signal -1
	s_barrier_wait -1
	global_inv scope:SCOPE_SE
	ds_load_2addr_stride64_b32 v[11:12], v45 offset1:4
	ds_load_2addr_stride64_b32 v[9:10], v45 offset0:8 offset1:12
	ds_load_2addr_stride64_b32 v[7:8], v45 offset0:16 offset1:20
	;; [unrolled: 1-line block ×5, first 2 shown]
	ds_load_b32 v21, v45 offset:12288
	s_cbranch_vccnz .LBB804_131
; %bb.75:
	s_mov_b32 s15, 0
	v_sub_co_u32 v13, vcc_lo, v15, s16
	s_wait_alu 0xfffe
	s_sub_nc_u64 s[0:1], s[18:19], s[14:15]
	s_wait_alu 0xfffd
	v_subrev_co_ci_u32_e64 v14, null, s17, v16, vcc_lo
	s_wait_alu 0xfffe
	v_add_co_u32 v17, s0, s0, v19
	s_wait_alu 0xf1ff
	v_add_co_ci_u32_e64 v18, null, s1, 0, s0
	s_mov_b32 s0, exec_lo
	v_add_co_u32 v17, vcc_lo, v17, v13
	s_wait_alu 0xfffd
	v_add_co_ci_u32_e64 v18, null, v18, v14, vcc_lo
                                        ; implicit-def: $vgpr13_vgpr14
	v_cmpx_ge_u32_e64 v0, v19
	s_wait_alu 0xfffe
	s_xor_b32 s0, exec_lo, s0
; %bb.76:
	v_not_b32_e32 v13, v0
	s_delay_alu instid0(VALU_DEP_1) | instskip(SKIP_2) | instid1(VALU_DEP_2)
	v_ashrrev_i32_e32 v14, 31, v13
	v_add_co_u32 v13, vcc_lo, v17, v13
	s_wait_alu 0xfffd
	v_add_co_ci_u32_e64 v14, null, v18, v14, vcc_lo
; %bb.77:
	s_wait_alu 0xfffe
	s_and_not1_saveexec_b32 s0, s0
; %bb.78:
	v_add_co_u32 v13, vcc_lo, v15, v0
	s_wait_alu 0xfffd
	v_add_co_ci_u32_e64 v14, null, 0, v16, vcc_lo
; %bb.79:
	s_wait_alu 0xfffe
	s_or_b32 exec_lo, exec_lo, s0
	s_delay_alu instid0(VALU_DEP_1) | instskip(SKIP_1) | instid1(VALU_DEP_1)
	v_lshlrev_b64_e32 v[13:14], 2, v[13:14]
	s_mov_b32 s0, exec_lo
	v_add_co_u32 v13, vcc_lo, s10, v13
	s_wait_alu 0xfffd
	s_delay_alu instid0(VALU_DEP_2)
	v_add_co_ci_u32_e64 v14, null, s11, v14, vcc_lo
	s_wait_dscnt 0x6
	global_store_b32 v[13:14], v11, off
                                        ; implicit-def: $vgpr13_vgpr14
	v_cmpx_ge_u32_e64 v44, v19
	s_wait_alu 0xfffe
	s_xor_b32 s0, exec_lo, s0
; %bb.80:
	v_xor_b32_e32 v13, 0xfffffeff, v0
	s_delay_alu instid0(VALU_DEP_1) | instskip(SKIP_2) | instid1(VALU_DEP_2)
	v_ashrrev_i32_e32 v14, 31, v13
	v_add_co_u32 v13, vcc_lo, v17, v13
	s_wait_alu 0xfffd
	v_add_co_ci_u32_e64 v14, null, v18, v14, vcc_lo
; %bb.81:
	s_wait_alu 0xfffe
	s_and_not1_saveexec_b32 s0, s0
; %bb.82:
	v_add_co_u32 v13, vcc_lo, v15, v44
	s_wait_alu 0xfffd
	v_add_co_ci_u32_e64 v14, null, 0, v16, vcc_lo
; %bb.83:
	s_wait_alu 0xfffe
	s_or_b32 exec_lo, exec_lo, s0
	s_delay_alu instid0(VALU_DEP_1) | instskip(SKIP_1) | instid1(VALU_DEP_1)
	v_lshlrev_b64_e32 v[13:14], 2, v[13:14]
	s_mov_b32 s0, exec_lo
	v_add_co_u32 v13, vcc_lo, s10, v13
	s_wait_alu 0xfffd
	s_delay_alu instid0(VALU_DEP_2)
	v_add_co_ci_u32_e64 v14, null, s11, v14, vcc_lo
	global_store_b32 v[13:14], v12, off
                                        ; implicit-def: $vgpr13_vgpr14
	v_cmpx_ge_u32_e64 v43, v19
	s_wait_alu 0xfffe
	s_xor_b32 s0, exec_lo, s0
; %bb.84:
	v_xor_b32_e32 v13, 0xfffffdff, v0
	s_delay_alu instid0(VALU_DEP_1) | instskip(SKIP_2) | instid1(VALU_DEP_2)
	v_ashrrev_i32_e32 v14, 31, v13
	v_add_co_u32 v13, vcc_lo, v17, v13
	s_wait_alu 0xfffd
	v_add_co_ci_u32_e64 v14, null, v18, v14, vcc_lo
; %bb.85:
	s_wait_alu 0xfffe
	s_and_not1_saveexec_b32 s0, s0
; %bb.86:
	v_add_co_u32 v13, vcc_lo, v15, v43
	s_wait_alu 0xfffd
	v_add_co_ci_u32_e64 v14, null, 0, v16, vcc_lo
; %bb.87:
	s_wait_alu 0xfffe
	s_or_b32 exec_lo, exec_lo, s0
	s_delay_alu instid0(VALU_DEP_1) | instskip(SKIP_1) | instid1(VALU_DEP_1)
	v_lshlrev_b64_e32 v[13:14], 2, v[13:14]
	s_mov_b32 s0, exec_lo
	v_add_co_u32 v13, vcc_lo, s10, v13
	s_wait_alu 0xfffd
	s_delay_alu instid0(VALU_DEP_2)
	v_add_co_ci_u32_e64 v14, null, s11, v14, vcc_lo
	s_wait_dscnt 0x5
	global_store_b32 v[13:14], v9, off
                                        ; implicit-def: $vgpr13_vgpr14
	v_cmpx_ge_u32_e64 v42, v19
	s_wait_alu 0xfffe
	s_xor_b32 s0, exec_lo, s0
; %bb.88:
	v_xor_b32_e32 v13, 0xfffffcff, v0
	s_delay_alu instid0(VALU_DEP_1) | instskip(SKIP_2) | instid1(VALU_DEP_2)
	v_ashrrev_i32_e32 v14, 31, v13
	v_add_co_u32 v13, vcc_lo, v17, v13
	s_wait_alu 0xfffd
	v_add_co_ci_u32_e64 v14, null, v18, v14, vcc_lo
; %bb.89:
	s_wait_alu 0xfffe
	s_and_not1_saveexec_b32 s0, s0
; %bb.90:
	v_add_co_u32 v13, vcc_lo, v15, v42
	s_wait_alu 0xfffd
	v_add_co_ci_u32_e64 v14, null, 0, v16, vcc_lo
; %bb.91:
	s_wait_alu 0xfffe
	s_or_b32 exec_lo, exec_lo, s0
	s_delay_alu instid0(VALU_DEP_1) | instskip(SKIP_1) | instid1(VALU_DEP_1)
	v_lshlrev_b64_e32 v[13:14], 2, v[13:14]
	s_mov_b32 s0, exec_lo
	v_add_co_u32 v13, vcc_lo, s10, v13
	s_wait_alu 0xfffd
	s_delay_alu instid0(VALU_DEP_2)
	v_add_co_ci_u32_e64 v14, null, s11, v14, vcc_lo
	global_store_b32 v[13:14], v10, off
                                        ; implicit-def: $vgpr13_vgpr14
	v_cmpx_ge_u32_e64 v41, v19
	s_wait_alu 0xfffe
	s_xor_b32 s0, exec_lo, s0
; %bb.92:
	v_xor_b32_e32 v13, 0xfffffbff, v0
	;; [unrolled: 59-line block ×6, first 2 shown]
	s_delay_alu instid0(VALU_DEP_1) | instskip(SKIP_2) | instid1(VALU_DEP_2)
	v_ashrrev_i32_e32 v14, 31, v13
	v_add_co_u32 v13, vcc_lo, v17, v13
	s_wait_alu 0xfffd
	v_add_co_ci_u32_e64 v14, null, v18, v14, vcc_lo
; %bb.125:
	s_wait_alu 0xfffe
	s_and_not1_saveexec_b32 s0, s0
; %bb.126:
	v_add_co_u32 v13, vcc_lo, v15, v33
	s_wait_alu 0xfffd
	v_add_co_ci_u32_e64 v14, null, 0, v16, vcc_lo
; %bb.127:
	s_wait_alu 0xfffe
	s_or_b32 exec_lo, exec_lo, s0
	s_mov_b32 s0, -1
.LBB804_128:
	s_wait_alu 0xfffe
	s_and_saveexec_b32 s1, s0
	s_cbranch_execz .LBB804_211
.LBB804_129:
	s_wait_dscnt 0x1
	v_lshlrev_b64_e32 v[0:1], 2, v[13:14]
	s_delay_alu instid0(VALU_DEP_1) | instskip(SKIP_1) | instid1(VALU_DEP_2)
	v_add_co_u32 v0, vcc_lo, s10, v0
	s_wait_alu 0xfffd
	v_add_co_ci_u32_e64 v1, null, s11, v1, vcc_lo
	s_wait_dscnt 0x0
	global_store_b32 v[0:1], v21, off
	s_wait_alu 0xfffe
	s_or_b32 exec_lo, exec_lo, s1
	s_and_b32 s0, s2, s9
	s_wait_alu 0xfffe
	s_and_saveexec_b32 s1, s0
	s_cbranch_execnz .LBB804_212
.LBB804_130:
	s_endpgm
.LBB804_131:
	s_mov_b32 s0, 0
                                        ; implicit-def: $vgpr13_vgpr14
	s_cbranch_execz .LBB804_128
; %bb.132:
	s_mov_b32 s15, 0
	s_wait_alu 0xfffe
	s_add_nc_u64 s[4:5], s[16:17], s[14:15]
	s_wait_alu 0xfffe
	s_sub_nc_u64 s[4:5], s[18:19], s[4:5]
	s_wait_alu 0xfffe
	v_add_co_u32 v13, s1, s4, v19
	s_wait_alu 0xf1ff
	v_add_co_ci_u32_e64 v14, null, s5, 0, s1
	s_mov_b32 s1, exec_lo
	v_add_co_u32 v17, vcc_lo, v13, v15
	s_wait_alu 0xfffd
	v_add_co_ci_u32_e64 v18, null, v14, v16, vcc_lo
	v_cmpx_gt_u32_e64 s22, v0
	s_cbranch_execz .LBB804_168
; %bb.133:
	s_mov_b32 s3, exec_lo
                                        ; implicit-def: $vgpr13_vgpr14
	v_cmpx_ge_u32_e64 v0, v19
	s_wait_alu 0xfffe
	s_xor_b32 s3, exec_lo, s3
; %bb.134:
	v_not_b32_e32 v13, v0
	s_delay_alu instid0(VALU_DEP_1) | instskip(SKIP_2) | instid1(VALU_DEP_2)
	v_ashrrev_i32_e32 v14, 31, v13
	v_add_co_u32 v13, vcc_lo, v17, v13
	s_wait_alu 0xfffd
	v_add_co_ci_u32_e64 v14, null, v18, v14, vcc_lo
; %bb.135:
	s_wait_alu 0xfffe
	s_and_not1_saveexec_b32 s3, s3
; %bb.136:
	v_add_co_u32 v13, vcc_lo, v15, v0
	s_wait_alu 0xfffd
	v_add_co_ci_u32_e64 v14, null, 0, v16, vcc_lo
; %bb.137:
	s_wait_alu 0xfffe
	s_or_b32 exec_lo, exec_lo, s3
	s_delay_alu instid0(VALU_DEP_1) | instskip(NEXT) | instid1(VALU_DEP_1)
	v_lshlrev_b64_e32 v[13:14], 2, v[13:14]
	v_add_co_u32 v13, vcc_lo, s10, v13
	s_wait_alu 0xfffd
	s_delay_alu instid0(VALU_DEP_2) | instskip(SKIP_3) | instid1(SALU_CYCLE_1)
	v_add_co_ci_u32_e64 v14, null, s11, v14, vcc_lo
	s_wait_dscnt 0x6
	global_store_b32 v[13:14], v11, off
	s_or_b32 exec_lo, exec_lo, s1
	s_mov_b32 s1, exec_lo
	v_cmpx_gt_u32_e64 s22, v44
	s_cbranch_execnz .LBB804_169
.LBB804_138:
	s_wait_alu 0xfffe
	s_or_b32 exec_lo, exec_lo, s1
	s_delay_alu instid0(SALU_CYCLE_1)
	s_mov_b32 s1, exec_lo
	v_cmpx_gt_u32_e64 s22, v43
	s_cbranch_execz .LBB804_174
.LBB804_139:
	s_mov_b32 s3, exec_lo
                                        ; implicit-def: $vgpr11_vgpr12
	v_cmpx_ge_u32_e64 v43, v19
	s_wait_alu 0xfffe
	s_xor_b32 s3, exec_lo, s3
	s_cbranch_execz .LBB804_141
; %bb.140:
	s_wait_dscnt 0x6
	v_xor_b32_e32 v11, 0xfffffdff, v0
                                        ; implicit-def: $vgpr43
	s_delay_alu instid0(VALU_DEP_1) | instskip(SKIP_2) | instid1(VALU_DEP_2)
	v_ashrrev_i32_e32 v12, 31, v11
	v_add_co_u32 v11, vcc_lo, v17, v11
	s_wait_alu 0xfffd
	v_add_co_ci_u32_e64 v12, null, v18, v12, vcc_lo
.LBB804_141:
	s_wait_alu 0xfffe
	s_and_not1_saveexec_b32 s3, s3
	s_cbranch_execz .LBB804_143
; %bb.142:
	s_wait_dscnt 0x6
	v_add_co_u32 v11, vcc_lo, v15, v43
	s_wait_alu 0xfffd
	v_add_co_ci_u32_e64 v12, null, 0, v16, vcc_lo
.LBB804_143:
	s_wait_alu 0xfffe
	s_or_b32 exec_lo, exec_lo, s3
	s_wait_dscnt 0x6
	s_delay_alu instid0(VALU_DEP_1) | instskip(NEXT) | instid1(VALU_DEP_1)
	v_lshlrev_b64_e32 v[11:12], 2, v[11:12]
	v_add_co_u32 v11, vcc_lo, s10, v11
	s_wait_alu 0xfffd
	s_delay_alu instid0(VALU_DEP_2) | instskip(SKIP_3) | instid1(SALU_CYCLE_1)
	v_add_co_ci_u32_e64 v12, null, s11, v12, vcc_lo
	s_wait_dscnt 0x5
	global_store_b32 v[11:12], v9, off
	s_or_b32 exec_lo, exec_lo, s1
	s_mov_b32 s1, exec_lo
	v_cmpx_gt_u32_e64 s22, v42
	s_cbranch_execnz .LBB804_175
.LBB804_144:
	s_wait_alu 0xfffe
	s_or_b32 exec_lo, exec_lo, s1
	s_delay_alu instid0(SALU_CYCLE_1)
	s_mov_b32 s1, exec_lo
	v_cmpx_gt_u32_e64 s22, v41
	s_cbranch_execz .LBB804_180
.LBB804_145:
	s_mov_b32 s3, exec_lo
                                        ; implicit-def: $vgpr9_vgpr10
	v_cmpx_ge_u32_e64 v41, v19
	s_wait_alu 0xfffe
	s_xor_b32 s3, exec_lo, s3
	s_cbranch_execz .LBB804_147
; %bb.146:
	s_wait_dscnt 0x5
	v_xor_b32_e32 v9, 0xfffffbff, v0
                                        ; implicit-def: $vgpr41
	s_delay_alu instid0(VALU_DEP_1) | instskip(SKIP_2) | instid1(VALU_DEP_2)
	v_ashrrev_i32_e32 v10, 31, v9
	v_add_co_u32 v9, vcc_lo, v17, v9
	s_wait_alu 0xfffd
	v_add_co_ci_u32_e64 v10, null, v18, v10, vcc_lo
.LBB804_147:
	s_wait_alu 0xfffe
	s_and_not1_saveexec_b32 s3, s3
	s_cbranch_execz .LBB804_149
; %bb.148:
	s_wait_dscnt 0x5
	v_add_co_u32 v9, vcc_lo, v15, v41
	s_wait_alu 0xfffd
	v_add_co_ci_u32_e64 v10, null, 0, v16, vcc_lo
.LBB804_149:
	s_wait_alu 0xfffe
	s_or_b32 exec_lo, exec_lo, s3
	s_wait_dscnt 0x5
	s_delay_alu instid0(VALU_DEP_1) | instskip(NEXT) | instid1(VALU_DEP_1)
	v_lshlrev_b64_e32 v[9:10], 2, v[9:10]
	v_add_co_u32 v9, vcc_lo, s10, v9
	s_wait_alu 0xfffd
	s_delay_alu instid0(VALU_DEP_2) | instskip(SKIP_3) | instid1(SALU_CYCLE_1)
	v_add_co_ci_u32_e64 v10, null, s11, v10, vcc_lo
	s_wait_dscnt 0x4
	global_store_b32 v[9:10], v7, off
	s_or_b32 exec_lo, exec_lo, s1
	s_mov_b32 s1, exec_lo
	v_cmpx_gt_u32_e64 s22, v40
	s_cbranch_execnz .LBB804_181
.LBB804_150:
	s_wait_alu 0xfffe
	s_or_b32 exec_lo, exec_lo, s1
	s_delay_alu instid0(SALU_CYCLE_1)
	s_mov_b32 s1, exec_lo
	v_cmpx_gt_u32_e64 s22, v39
	s_cbranch_execz .LBB804_186
.LBB804_151:
	s_mov_b32 s3, exec_lo
                                        ; implicit-def: $vgpr7_vgpr8
	v_cmpx_ge_u32_e64 v39, v19
	s_wait_alu 0xfffe
	s_xor_b32 s3, exec_lo, s3
	s_cbranch_execz .LBB804_153
; %bb.152:
	s_wait_dscnt 0x4
	v_xor_b32_e32 v7, 0xfffff9ff, v0
                                        ; implicit-def: $vgpr39
	s_delay_alu instid0(VALU_DEP_1) | instskip(SKIP_2) | instid1(VALU_DEP_2)
	v_ashrrev_i32_e32 v8, 31, v7
	v_add_co_u32 v7, vcc_lo, v17, v7
	s_wait_alu 0xfffd
	v_add_co_ci_u32_e64 v8, null, v18, v8, vcc_lo
.LBB804_153:
	s_wait_alu 0xfffe
	s_and_not1_saveexec_b32 s3, s3
	s_cbranch_execz .LBB804_155
; %bb.154:
	s_wait_dscnt 0x4
	v_add_co_u32 v7, vcc_lo, v15, v39
	s_wait_alu 0xfffd
	v_add_co_ci_u32_e64 v8, null, 0, v16, vcc_lo
.LBB804_155:
	s_wait_alu 0xfffe
	s_or_b32 exec_lo, exec_lo, s3
	s_wait_dscnt 0x4
	s_delay_alu instid0(VALU_DEP_1) | instskip(NEXT) | instid1(VALU_DEP_1)
	v_lshlrev_b64_e32 v[7:8], 2, v[7:8]
	v_add_co_u32 v7, vcc_lo, s10, v7
	s_wait_alu 0xfffd
	s_delay_alu instid0(VALU_DEP_2) | instskip(SKIP_3) | instid1(SALU_CYCLE_1)
	v_add_co_ci_u32_e64 v8, null, s11, v8, vcc_lo
	s_wait_dscnt 0x3
	global_store_b32 v[7:8], v5, off
	s_or_b32 exec_lo, exec_lo, s1
	s_mov_b32 s1, exec_lo
	v_cmpx_gt_u32_e64 s22, v38
	s_cbranch_execnz .LBB804_187
.LBB804_156:
	s_wait_alu 0xfffe
	s_or_b32 exec_lo, exec_lo, s1
	s_delay_alu instid0(SALU_CYCLE_1)
	s_mov_b32 s1, exec_lo
	v_cmpx_gt_u32_e64 s22, v37
	s_cbranch_execz .LBB804_192
.LBB804_157:
	s_mov_b32 s3, exec_lo
                                        ; implicit-def: $vgpr5_vgpr6
	v_cmpx_ge_u32_e64 v37, v19
	s_wait_alu 0xfffe
	s_xor_b32 s3, exec_lo, s3
	s_cbranch_execz .LBB804_159
; %bb.158:
	s_wait_dscnt 0x3
	v_xor_b32_e32 v5, 0xfffff7ff, v0
                                        ; implicit-def: $vgpr37
	s_delay_alu instid0(VALU_DEP_1) | instskip(SKIP_2) | instid1(VALU_DEP_2)
	v_ashrrev_i32_e32 v6, 31, v5
	v_add_co_u32 v5, vcc_lo, v17, v5
	s_wait_alu 0xfffd
	v_add_co_ci_u32_e64 v6, null, v18, v6, vcc_lo
.LBB804_159:
	s_wait_alu 0xfffe
	s_and_not1_saveexec_b32 s3, s3
	s_cbranch_execz .LBB804_161
; %bb.160:
	s_wait_dscnt 0x3
	v_add_co_u32 v5, vcc_lo, v15, v37
	s_wait_alu 0xfffd
	v_add_co_ci_u32_e64 v6, null, 0, v16, vcc_lo
.LBB804_161:
	s_wait_alu 0xfffe
	s_or_b32 exec_lo, exec_lo, s3
	s_wait_dscnt 0x3
	s_delay_alu instid0(VALU_DEP_1) | instskip(NEXT) | instid1(VALU_DEP_1)
	v_lshlrev_b64_e32 v[5:6], 2, v[5:6]
	v_add_co_u32 v5, vcc_lo, s10, v5
	s_wait_alu 0xfffd
	s_delay_alu instid0(VALU_DEP_2) | instskip(SKIP_3) | instid1(SALU_CYCLE_1)
	v_add_co_ci_u32_e64 v6, null, s11, v6, vcc_lo
	s_wait_dscnt 0x2
	global_store_b32 v[5:6], v3, off
	s_or_b32 exec_lo, exec_lo, s1
	s_mov_b32 s1, exec_lo
	v_cmpx_gt_u32_e64 s22, v36
	s_cbranch_execnz .LBB804_193
.LBB804_162:
	s_wait_alu 0xfffe
	s_or_b32 exec_lo, exec_lo, s1
	s_delay_alu instid0(SALU_CYCLE_1)
	s_mov_b32 s1, exec_lo
	v_cmpx_gt_u32_e64 s22, v35
	s_cbranch_execz .LBB804_198
.LBB804_163:
	s_mov_b32 s3, exec_lo
                                        ; implicit-def: $vgpr3_vgpr4
	v_cmpx_ge_u32_e64 v35, v19
	s_wait_alu 0xfffe
	s_xor_b32 s3, exec_lo, s3
	s_cbranch_execz .LBB804_165
; %bb.164:
	s_wait_dscnt 0x2
	v_xor_b32_e32 v3, 0xfffff5ff, v0
                                        ; implicit-def: $vgpr35
	s_delay_alu instid0(VALU_DEP_1) | instskip(SKIP_2) | instid1(VALU_DEP_2)
	v_ashrrev_i32_e32 v4, 31, v3
	v_add_co_u32 v3, vcc_lo, v17, v3
	s_wait_alu 0xfffd
	v_add_co_ci_u32_e64 v4, null, v18, v4, vcc_lo
.LBB804_165:
	s_wait_alu 0xfffe
	s_and_not1_saveexec_b32 s3, s3
	s_cbranch_execz .LBB804_167
; %bb.166:
	s_wait_dscnt 0x2
	v_add_co_u32 v3, vcc_lo, v15, v35
	s_wait_alu 0xfffd
	v_add_co_ci_u32_e64 v4, null, 0, v16, vcc_lo
.LBB804_167:
	s_wait_alu 0xfffe
	s_or_b32 exec_lo, exec_lo, s3
	s_wait_dscnt 0x2
	s_delay_alu instid0(VALU_DEP_1) | instskip(NEXT) | instid1(VALU_DEP_1)
	v_lshlrev_b64_e32 v[3:4], 2, v[3:4]
	v_add_co_u32 v3, vcc_lo, s10, v3
	s_wait_alu 0xfffd
	s_delay_alu instid0(VALU_DEP_2) | instskip(SKIP_3) | instid1(SALU_CYCLE_1)
	v_add_co_ci_u32_e64 v4, null, s11, v4, vcc_lo
	s_wait_dscnt 0x1
	global_store_b32 v[3:4], v1, off
	s_or_b32 exec_lo, exec_lo, s1
	s_mov_b32 s1, exec_lo
	v_cmpx_gt_u32_e64 s22, v34
	s_cbranch_execz .LBB804_204
	s_branch .LBB804_199
.LBB804_168:
	s_wait_alu 0xfffe
	s_or_b32 exec_lo, exec_lo, s1
	s_delay_alu instid0(SALU_CYCLE_1)
	s_mov_b32 s1, exec_lo
	v_cmpx_gt_u32_e64 s22, v44
	s_cbranch_execz .LBB804_138
.LBB804_169:
	s_mov_b32 s3, exec_lo
                                        ; implicit-def: $vgpr13_vgpr14
	v_cmpx_ge_u32_e64 v44, v19
	s_wait_alu 0xfffe
	s_xor_b32 s3, exec_lo, s3
	s_cbranch_execz .LBB804_171
; %bb.170:
	s_wait_dscnt 0x6
	v_xor_b32_e32 v11, 0xfffffeff, v0
                                        ; implicit-def: $vgpr44
	s_delay_alu instid0(VALU_DEP_1) | instskip(SKIP_2) | instid1(VALU_DEP_2)
	v_ashrrev_i32_e32 v14, 31, v11
	v_add_co_u32 v13, vcc_lo, v17, v11
	s_wait_alu 0xfffd
	v_add_co_ci_u32_e64 v14, null, v18, v14, vcc_lo
.LBB804_171:
	s_wait_alu 0xfffe
	s_and_not1_saveexec_b32 s3, s3
; %bb.172:
	v_add_co_u32 v13, vcc_lo, v15, v44
	s_wait_alu 0xfffd
	v_add_co_ci_u32_e64 v14, null, 0, v16, vcc_lo
; %bb.173:
	s_wait_alu 0xfffe
	s_or_b32 exec_lo, exec_lo, s3
	s_delay_alu instid0(VALU_DEP_1) | instskip(NEXT) | instid1(VALU_DEP_1)
	v_lshlrev_b64_e32 v[13:14], 2, v[13:14]
	v_add_co_u32 v13, vcc_lo, s10, v13
	s_wait_alu 0xfffd
	s_delay_alu instid0(VALU_DEP_2) | instskip(SKIP_3) | instid1(SALU_CYCLE_1)
	v_add_co_ci_u32_e64 v14, null, s11, v14, vcc_lo
	s_wait_dscnt 0x6
	global_store_b32 v[13:14], v12, off
	s_or_b32 exec_lo, exec_lo, s1
	s_mov_b32 s1, exec_lo
	v_cmpx_gt_u32_e64 s22, v43
	s_cbranch_execnz .LBB804_139
.LBB804_174:
	s_wait_alu 0xfffe
	s_or_b32 exec_lo, exec_lo, s1
	s_delay_alu instid0(SALU_CYCLE_1)
	s_mov_b32 s1, exec_lo
	v_cmpx_gt_u32_e64 s22, v42
	s_cbranch_execz .LBB804_144
.LBB804_175:
	s_mov_b32 s3, exec_lo
                                        ; implicit-def: $vgpr11_vgpr12
	v_cmpx_ge_u32_e64 v42, v19
	s_wait_alu 0xfffe
	s_xor_b32 s3, exec_lo, s3
	s_cbranch_execz .LBB804_177
; %bb.176:
	s_wait_dscnt 0x5
	v_xor_b32_e32 v9, 0xfffffcff, v0
                                        ; implicit-def: $vgpr42
	s_delay_alu instid0(VALU_DEP_1) | instskip(SKIP_2) | instid1(VALU_DEP_2)
	v_ashrrev_i32_e32 v12, 31, v9
	v_add_co_u32 v11, vcc_lo, v17, v9
	s_wait_alu 0xfffd
	v_add_co_ci_u32_e64 v12, null, v18, v12, vcc_lo
.LBB804_177:
	s_wait_alu 0xfffe
	s_and_not1_saveexec_b32 s3, s3
	s_cbranch_execz .LBB804_179
; %bb.178:
	s_wait_dscnt 0x6
	v_add_co_u32 v11, vcc_lo, v15, v42
	s_wait_alu 0xfffd
	v_add_co_ci_u32_e64 v12, null, 0, v16, vcc_lo
.LBB804_179:
	s_wait_alu 0xfffe
	s_or_b32 exec_lo, exec_lo, s3
	s_wait_dscnt 0x6
	s_delay_alu instid0(VALU_DEP_1) | instskip(NEXT) | instid1(VALU_DEP_1)
	v_lshlrev_b64_e32 v[11:12], 2, v[11:12]
	v_add_co_u32 v11, vcc_lo, s10, v11
	s_wait_alu 0xfffd
	s_delay_alu instid0(VALU_DEP_2) | instskip(SKIP_3) | instid1(SALU_CYCLE_1)
	v_add_co_ci_u32_e64 v12, null, s11, v12, vcc_lo
	s_wait_dscnt 0x5
	global_store_b32 v[11:12], v10, off
	s_or_b32 exec_lo, exec_lo, s1
	s_mov_b32 s1, exec_lo
	v_cmpx_gt_u32_e64 s22, v41
	s_cbranch_execnz .LBB804_145
.LBB804_180:
	s_wait_alu 0xfffe
	s_or_b32 exec_lo, exec_lo, s1
	s_delay_alu instid0(SALU_CYCLE_1)
	s_mov_b32 s1, exec_lo
	v_cmpx_gt_u32_e64 s22, v40
	s_cbranch_execz .LBB804_150
.LBB804_181:
	s_mov_b32 s3, exec_lo
                                        ; implicit-def: $vgpr9_vgpr10
	v_cmpx_ge_u32_e64 v40, v19
	s_wait_alu 0xfffe
	s_xor_b32 s3, exec_lo, s3
	s_cbranch_execz .LBB804_183
; %bb.182:
	s_wait_dscnt 0x4
	v_xor_b32_e32 v7, 0xfffffaff, v0
                                        ; implicit-def: $vgpr40
	s_delay_alu instid0(VALU_DEP_1) | instskip(SKIP_2) | instid1(VALU_DEP_2)
	v_ashrrev_i32_e32 v10, 31, v7
	v_add_co_u32 v9, vcc_lo, v17, v7
	s_wait_alu 0xfffd
	v_add_co_ci_u32_e64 v10, null, v18, v10, vcc_lo
.LBB804_183:
	s_wait_alu 0xfffe
	s_and_not1_saveexec_b32 s3, s3
	s_cbranch_execz .LBB804_185
; %bb.184:
	s_wait_dscnt 0x5
	v_add_co_u32 v9, vcc_lo, v15, v40
	s_wait_alu 0xfffd
	v_add_co_ci_u32_e64 v10, null, 0, v16, vcc_lo
.LBB804_185:
	s_wait_alu 0xfffe
	s_or_b32 exec_lo, exec_lo, s3
	s_wait_dscnt 0x5
	s_delay_alu instid0(VALU_DEP_1) | instskip(NEXT) | instid1(VALU_DEP_1)
	v_lshlrev_b64_e32 v[9:10], 2, v[9:10]
	v_add_co_u32 v9, vcc_lo, s10, v9
	s_wait_alu 0xfffd
	s_delay_alu instid0(VALU_DEP_2) | instskip(SKIP_3) | instid1(SALU_CYCLE_1)
	v_add_co_ci_u32_e64 v10, null, s11, v10, vcc_lo
	s_wait_dscnt 0x4
	global_store_b32 v[9:10], v8, off
	s_or_b32 exec_lo, exec_lo, s1
	s_mov_b32 s1, exec_lo
	v_cmpx_gt_u32_e64 s22, v39
	s_cbranch_execnz .LBB804_151
.LBB804_186:
	s_wait_alu 0xfffe
	s_or_b32 exec_lo, exec_lo, s1
	s_delay_alu instid0(SALU_CYCLE_1)
	s_mov_b32 s1, exec_lo
	v_cmpx_gt_u32_e64 s22, v38
	s_cbranch_execz .LBB804_156
.LBB804_187:
	s_mov_b32 s3, exec_lo
                                        ; implicit-def: $vgpr7_vgpr8
	v_cmpx_ge_u32_e64 v38, v19
	s_wait_alu 0xfffe
	s_xor_b32 s3, exec_lo, s3
	s_cbranch_execz .LBB804_189
; %bb.188:
	s_wait_dscnt 0x3
	v_xor_b32_e32 v5, 0xfffff8ff, v0
                                        ; implicit-def: $vgpr38
	s_delay_alu instid0(VALU_DEP_1) | instskip(SKIP_2) | instid1(VALU_DEP_2)
	v_ashrrev_i32_e32 v8, 31, v5
	v_add_co_u32 v7, vcc_lo, v17, v5
	s_wait_alu 0xfffd
	v_add_co_ci_u32_e64 v8, null, v18, v8, vcc_lo
.LBB804_189:
	s_wait_alu 0xfffe
	s_and_not1_saveexec_b32 s3, s3
	s_cbranch_execz .LBB804_191
; %bb.190:
	s_wait_dscnt 0x4
	v_add_co_u32 v7, vcc_lo, v15, v38
	s_wait_alu 0xfffd
	v_add_co_ci_u32_e64 v8, null, 0, v16, vcc_lo
.LBB804_191:
	s_wait_alu 0xfffe
	s_or_b32 exec_lo, exec_lo, s3
	s_wait_dscnt 0x4
	s_delay_alu instid0(VALU_DEP_1) | instskip(NEXT) | instid1(VALU_DEP_1)
	v_lshlrev_b64_e32 v[7:8], 2, v[7:8]
	v_add_co_u32 v7, vcc_lo, s10, v7
	s_wait_alu 0xfffd
	s_delay_alu instid0(VALU_DEP_2) | instskip(SKIP_3) | instid1(SALU_CYCLE_1)
	v_add_co_ci_u32_e64 v8, null, s11, v8, vcc_lo
	s_wait_dscnt 0x3
	global_store_b32 v[7:8], v6, off
	s_or_b32 exec_lo, exec_lo, s1
	s_mov_b32 s1, exec_lo
	v_cmpx_gt_u32_e64 s22, v37
	s_cbranch_execnz .LBB804_157
.LBB804_192:
	s_wait_alu 0xfffe
	s_or_b32 exec_lo, exec_lo, s1
	s_delay_alu instid0(SALU_CYCLE_1)
	s_mov_b32 s1, exec_lo
	v_cmpx_gt_u32_e64 s22, v36
	s_cbranch_execz .LBB804_162
.LBB804_193:
	s_mov_b32 s3, exec_lo
                                        ; implicit-def: $vgpr5_vgpr6
	v_cmpx_ge_u32_e64 v36, v19
	s_wait_alu 0xfffe
	s_xor_b32 s3, exec_lo, s3
	s_cbranch_execz .LBB804_195
; %bb.194:
	s_wait_dscnt 0x2
	v_xor_b32_e32 v3, 0xfffff6ff, v0
                                        ; implicit-def: $vgpr36
	s_delay_alu instid0(VALU_DEP_1) | instskip(SKIP_2) | instid1(VALU_DEP_2)
	v_ashrrev_i32_e32 v6, 31, v3
	v_add_co_u32 v5, vcc_lo, v17, v3
	s_wait_alu 0xfffd
	v_add_co_ci_u32_e64 v6, null, v18, v6, vcc_lo
.LBB804_195:
	s_wait_alu 0xfffe
	s_and_not1_saveexec_b32 s3, s3
	s_cbranch_execz .LBB804_197
; %bb.196:
	s_wait_dscnt 0x3
	v_add_co_u32 v5, vcc_lo, v15, v36
	s_wait_alu 0xfffd
	v_add_co_ci_u32_e64 v6, null, 0, v16, vcc_lo
.LBB804_197:
	s_wait_alu 0xfffe
	s_or_b32 exec_lo, exec_lo, s3
	s_wait_dscnt 0x3
	s_delay_alu instid0(VALU_DEP_1) | instskip(NEXT) | instid1(VALU_DEP_1)
	v_lshlrev_b64_e32 v[5:6], 2, v[5:6]
	v_add_co_u32 v5, vcc_lo, s10, v5
	s_wait_alu 0xfffd
	s_delay_alu instid0(VALU_DEP_2) | instskip(SKIP_3) | instid1(SALU_CYCLE_1)
	v_add_co_ci_u32_e64 v6, null, s11, v6, vcc_lo
	s_wait_dscnt 0x2
	global_store_b32 v[5:6], v4, off
	s_or_b32 exec_lo, exec_lo, s1
	s_mov_b32 s1, exec_lo
	v_cmpx_gt_u32_e64 s22, v35
	s_cbranch_execnz .LBB804_163
.LBB804_198:
	s_wait_alu 0xfffe
	s_or_b32 exec_lo, exec_lo, s1
	s_delay_alu instid0(SALU_CYCLE_1)
	s_mov_b32 s1, exec_lo
	v_cmpx_gt_u32_e64 s22, v34
	s_cbranch_execz .LBB804_204
.LBB804_199:
	s_mov_b32 s3, exec_lo
                                        ; implicit-def: $vgpr3_vgpr4
	v_cmpx_ge_u32_e64 v34, v19
	s_wait_alu 0xfffe
	s_xor_b32 s3, exec_lo, s3
	s_cbranch_execz .LBB804_201
; %bb.200:
	s_wait_dscnt 0x1
	v_xor_b32_e32 v1, 0xfffff4ff, v0
                                        ; implicit-def: $vgpr34
	s_delay_alu instid0(VALU_DEP_1) | instskip(SKIP_2) | instid1(VALU_DEP_2)
	v_ashrrev_i32_e32 v4, 31, v1
	v_add_co_u32 v3, vcc_lo, v17, v1
	s_wait_alu 0xfffd
	v_add_co_ci_u32_e64 v4, null, v18, v4, vcc_lo
.LBB804_201:
	s_wait_alu 0xfffe
	s_and_not1_saveexec_b32 s3, s3
	s_cbranch_execz .LBB804_203
; %bb.202:
	s_wait_dscnt 0x2
	v_add_co_u32 v3, vcc_lo, v15, v34
	s_wait_alu 0xfffd
	v_add_co_ci_u32_e64 v4, null, 0, v16, vcc_lo
.LBB804_203:
	s_wait_alu 0xfffe
	s_or_b32 exec_lo, exec_lo, s3
	s_wait_dscnt 0x2
	s_delay_alu instid0(VALU_DEP_1) | instskip(NEXT) | instid1(VALU_DEP_1)
	v_lshlrev_b64_e32 v[3:4], 2, v[3:4]
	v_add_co_u32 v3, vcc_lo, s10, v3
	s_wait_alu 0xfffd
	s_delay_alu instid0(VALU_DEP_2)
	v_add_co_ci_u32_e64 v4, null, s11, v4, vcc_lo
	s_wait_dscnt 0x1
	global_store_b32 v[3:4], v2, off
.LBB804_204:
	s_wait_alu 0xfffe
	s_or_b32 exec_lo, exec_lo, s1
	s_delay_alu instid0(SALU_CYCLE_1)
	s_mov_b32 s1, exec_lo
                                        ; implicit-def: $vgpr13_vgpr14
	v_cmpx_gt_u32_e64 s22, v33
	s_cbranch_execz .LBB804_210
; %bb.205:
	s_mov_b32 s3, exec_lo
                                        ; implicit-def: $vgpr13_vgpr14
	v_cmpx_ge_u32_e64 v33, v19
	s_wait_alu 0xfffe
	s_xor_b32 s3, exec_lo, s3
	s_cbranch_execz .LBB804_207
; %bb.206:
	v_xor_b32_e32 v0, 0xfffff3ff, v0
                                        ; implicit-def: $vgpr33
	s_wait_dscnt 0x1
	s_delay_alu instid0(VALU_DEP_1) | instskip(SKIP_2) | instid1(VALU_DEP_2)
	v_ashrrev_i32_e32 v1, 31, v0
	v_add_co_u32 v13, vcc_lo, v17, v0
	s_wait_alu 0xfffd
	v_add_co_ci_u32_e64 v14, null, v18, v1, vcc_lo
.LBB804_207:
	s_wait_alu 0xfffe
	s_and_not1_saveexec_b32 s3, s3
; %bb.208:
	v_add_co_u32 v13, vcc_lo, v15, v33
	s_wait_alu 0xfffd
	v_add_co_ci_u32_e64 v14, null, 0, v16, vcc_lo
; %bb.209:
	s_wait_alu 0xfffe
	s_or_b32 exec_lo, exec_lo, s3
	s_delay_alu instid0(SALU_CYCLE_1)
	s_or_b32 s0, s0, exec_lo
.LBB804_210:
	s_wait_alu 0xfffe
	s_or_b32 exec_lo, exec_lo, s1
	s_and_saveexec_b32 s1, s0
	s_cbranch_execnz .LBB804_129
.LBB804_211:
	s_wait_alu 0xfffe
	s_or_b32 exec_lo, exec_lo, s1
	s_and_b32 s0, s2, s9
	s_wait_alu 0xfffe
	s_and_saveexec_b32 s1, s0
	s_cbranch_execz .LBB804_130
.LBB804_212:
	v_add_co_u32 v0, vcc_lo, v15, v19
	s_wait_dscnt 0x1
	v_mov_b32_e32 v2, 0
	s_wait_alu 0xfffd
	v_add_co_ci_u32_e64 v1, null, 0, v16, vcc_lo
	global_store_b64 v2, v[0:1], s[12:13]
	s_endpgm
	.section	.rodata,"a",@progbits
	.p2align	6, 0x0
	.amdhsa_kernel _ZN7rocprim17ROCPRIM_400000_NS6detail17trampoline_kernelINS0_13select_configILj256ELj13ELNS0_17block_load_methodE3ELS4_3ELS4_3ELNS0_20block_scan_algorithmE0ELj4294967295EEENS1_25partition_config_selectorILNS1_17partition_subalgoE3EjNS0_10empty_typeEbEEZZNS1_14partition_implILS8_3ELb0ES6_jNS0_17counting_iteratorIjlEEPS9_SE_NS0_5tupleIJPjSE_EEENSF_IJSE_SE_EEES9_SG_JZNS1_25segmented_radix_sort_implINS0_14default_configELb0EPKlPlSM_SN_N2at6native12_GLOBAL__N_18offset_tEEE10hipError_tPvRmT1_PNSt15iterator_traitsISV_E10value_typeET2_T3_PNSW_IS11_E10value_typeET4_jRbjT5_S17_jjP12ihipStream_tbEUljE_EEESS_ST_SU_S11_S15_S17_T6_T7_T9_mT8_S19_bDpT10_ENKUlT_T0_E_clISt17integral_constantIbLb0EES1L_IbLb1EEEEDaS1H_S1I_EUlS1H_E_NS1_11comp_targetILNS1_3genE10ELNS1_11target_archE1200ELNS1_3gpuE4ELNS1_3repE0EEENS1_30default_config_static_selectorELNS0_4arch9wavefront6targetE0EEEvSV_
		.amdhsa_group_segment_fixed_size 13320
		.amdhsa_private_segment_fixed_size 0
		.amdhsa_kernarg_size 152
		.amdhsa_user_sgpr_count 2
		.amdhsa_user_sgpr_dispatch_ptr 0
		.amdhsa_user_sgpr_queue_ptr 0
		.amdhsa_user_sgpr_kernarg_segment_ptr 1
		.amdhsa_user_sgpr_dispatch_id 0
		.amdhsa_user_sgpr_private_segment_size 0
		.amdhsa_wavefront_size32 1
		.amdhsa_uses_dynamic_stack 0
		.amdhsa_enable_private_segment 0
		.amdhsa_system_sgpr_workgroup_id_x 1
		.amdhsa_system_sgpr_workgroup_id_y 0
		.amdhsa_system_sgpr_workgroup_id_z 0
		.amdhsa_system_sgpr_workgroup_info 0
		.amdhsa_system_vgpr_workitem_id 0
		.amdhsa_next_free_vgpr 71
		.amdhsa_next_free_sgpr 26
		.amdhsa_reserve_vcc 1
		.amdhsa_float_round_mode_32 0
		.amdhsa_float_round_mode_16_64 0
		.amdhsa_float_denorm_mode_32 3
		.amdhsa_float_denorm_mode_16_64 3
		.amdhsa_fp16_overflow 0
		.amdhsa_workgroup_processor_mode 1
		.amdhsa_memory_ordered 1
		.amdhsa_forward_progress 1
		.amdhsa_inst_pref_size 86
		.amdhsa_round_robin_scheduling 0
		.amdhsa_exception_fp_ieee_invalid_op 0
		.amdhsa_exception_fp_denorm_src 0
		.amdhsa_exception_fp_ieee_div_zero 0
		.amdhsa_exception_fp_ieee_overflow 0
		.amdhsa_exception_fp_ieee_underflow 0
		.amdhsa_exception_fp_ieee_inexact 0
		.amdhsa_exception_int_div_zero 0
	.end_amdhsa_kernel
	.section	.text._ZN7rocprim17ROCPRIM_400000_NS6detail17trampoline_kernelINS0_13select_configILj256ELj13ELNS0_17block_load_methodE3ELS4_3ELS4_3ELNS0_20block_scan_algorithmE0ELj4294967295EEENS1_25partition_config_selectorILNS1_17partition_subalgoE3EjNS0_10empty_typeEbEEZZNS1_14partition_implILS8_3ELb0ES6_jNS0_17counting_iteratorIjlEEPS9_SE_NS0_5tupleIJPjSE_EEENSF_IJSE_SE_EEES9_SG_JZNS1_25segmented_radix_sort_implINS0_14default_configELb0EPKlPlSM_SN_N2at6native12_GLOBAL__N_18offset_tEEE10hipError_tPvRmT1_PNSt15iterator_traitsISV_E10value_typeET2_T3_PNSW_IS11_E10value_typeET4_jRbjT5_S17_jjP12ihipStream_tbEUljE_EEESS_ST_SU_S11_S15_S17_T6_T7_T9_mT8_S19_bDpT10_ENKUlT_T0_E_clISt17integral_constantIbLb0EES1L_IbLb1EEEEDaS1H_S1I_EUlS1H_E_NS1_11comp_targetILNS1_3genE10ELNS1_11target_archE1200ELNS1_3gpuE4ELNS1_3repE0EEENS1_30default_config_static_selectorELNS0_4arch9wavefront6targetE0EEEvSV_,"axG",@progbits,_ZN7rocprim17ROCPRIM_400000_NS6detail17trampoline_kernelINS0_13select_configILj256ELj13ELNS0_17block_load_methodE3ELS4_3ELS4_3ELNS0_20block_scan_algorithmE0ELj4294967295EEENS1_25partition_config_selectorILNS1_17partition_subalgoE3EjNS0_10empty_typeEbEEZZNS1_14partition_implILS8_3ELb0ES6_jNS0_17counting_iteratorIjlEEPS9_SE_NS0_5tupleIJPjSE_EEENSF_IJSE_SE_EEES9_SG_JZNS1_25segmented_radix_sort_implINS0_14default_configELb0EPKlPlSM_SN_N2at6native12_GLOBAL__N_18offset_tEEE10hipError_tPvRmT1_PNSt15iterator_traitsISV_E10value_typeET2_T3_PNSW_IS11_E10value_typeET4_jRbjT5_S17_jjP12ihipStream_tbEUljE_EEESS_ST_SU_S11_S15_S17_T6_T7_T9_mT8_S19_bDpT10_ENKUlT_T0_E_clISt17integral_constantIbLb0EES1L_IbLb1EEEEDaS1H_S1I_EUlS1H_E_NS1_11comp_targetILNS1_3genE10ELNS1_11target_archE1200ELNS1_3gpuE4ELNS1_3repE0EEENS1_30default_config_static_selectorELNS0_4arch9wavefront6targetE0EEEvSV_,comdat
.Lfunc_end804:
	.size	_ZN7rocprim17ROCPRIM_400000_NS6detail17trampoline_kernelINS0_13select_configILj256ELj13ELNS0_17block_load_methodE3ELS4_3ELS4_3ELNS0_20block_scan_algorithmE0ELj4294967295EEENS1_25partition_config_selectorILNS1_17partition_subalgoE3EjNS0_10empty_typeEbEEZZNS1_14partition_implILS8_3ELb0ES6_jNS0_17counting_iteratorIjlEEPS9_SE_NS0_5tupleIJPjSE_EEENSF_IJSE_SE_EEES9_SG_JZNS1_25segmented_radix_sort_implINS0_14default_configELb0EPKlPlSM_SN_N2at6native12_GLOBAL__N_18offset_tEEE10hipError_tPvRmT1_PNSt15iterator_traitsISV_E10value_typeET2_T3_PNSW_IS11_E10value_typeET4_jRbjT5_S17_jjP12ihipStream_tbEUljE_EEESS_ST_SU_S11_S15_S17_T6_T7_T9_mT8_S19_bDpT10_ENKUlT_T0_E_clISt17integral_constantIbLb0EES1L_IbLb1EEEEDaS1H_S1I_EUlS1H_E_NS1_11comp_targetILNS1_3genE10ELNS1_11target_archE1200ELNS1_3gpuE4ELNS1_3repE0EEENS1_30default_config_static_selectorELNS0_4arch9wavefront6targetE0EEEvSV_, .Lfunc_end804-_ZN7rocprim17ROCPRIM_400000_NS6detail17trampoline_kernelINS0_13select_configILj256ELj13ELNS0_17block_load_methodE3ELS4_3ELS4_3ELNS0_20block_scan_algorithmE0ELj4294967295EEENS1_25partition_config_selectorILNS1_17partition_subalgoE3EjNS0_10empty_typeEbEEZZNS1_14partition_implILS8_3ELb0ES6_jNS0_17counting_iteratorIjlEEPS9_SE_NS0_5tupleIJPjSE_EEENSF_IJSE_SE_EEES9_SG_JZNS1_25segmented_radix_sort_implINS0_14default_configELb0EPKlPlSM_SN_N2at6native12_GLOBAL__N_18offset_tEEE10hipError_tPvRmT1_PNSt15iterator_traitsISV_E10value_typeET2_T3_PNSW_IS11_E10value_typeET4_jRbjT5_S17_jjP12ihipStream_tbEUljE_EEESS_ST_SU_S11_S15_S17_T6_T7_T9_mT8_S19_bDpT10_ENKUlT_T0_E_clISt17integral_constantIbLb0EES1L_IbLb1EEEEDaS1H_S1I_EUlS1H_E_NS1_11comp_targetILNS1_3genE10ELNS1_11target_archE1200ELNS1_3gpuE4ELNS1_3repE0EEENS1_30default_config_static_selectorELNS0_4arch9wavefront6targetE0EEEvSV_
                                        ; -- End function
	.set _ZN7rocprim17ROCPRIM_400000_NS6detail17trampoline_kernelINS0_13select_configILj256ELj13ELNS0_17block_load_methodE3ELS4_3ELS4_3ELNS0_20block_scan_algorithmE0ELj4294967295EEENS1_25partition_config_selectorILNS1_17partition_subalgoE3EjNS0_10empty_typeEbEEZZNS1_14partition_implILS8_3ELb0ES6_jNS0_17counting_iteratorIjlEEPS9_SE_NS0_5tupleIJPjSE_EEENSF_IJSE_SE_EEES9_SG_JZNS1_25segmented_radix_sort_implINS0_14default_configELb0EPKlPlSM_SN_N2at6native12_GLOBAL__N_18offset_tEEE10hipError_tPvRmT1_PNSt15iterator_traitsISV_E10value_typeET2_T3_PNSW_IS11_E10value_typeET4_jRbjT5_S17_jjP12ihipStream_tbEUljE_EEESS_ST_SU_S11_S15_S17_T6_T7_T9_mT8_S19_bDpT10_ENKUlT_T0_E_clISt17integral_constantIbLb0EES1L_IbLb1EEEEDaS1H_S1I_EUlS1H_E_NS1_11comp_targetILNS1_3genE10ELNS1_11target_archE1200ELNS1_3gpuE4ELNS1_3repE0EEENS1_30default_config_static_selectorELNS0_4arch9wavefront6targetE0EEEvSV_.num_vgpr, 71
	.set _ZN7rocprim17ROCPRIM_400000_NS6detail17trampoline_kernelINS0_13select_configILj256ELj13ELNS0_17block_load_methodE3ELS4_3ELS4_3ELNS0_20block_scan_algorithmE0ELj4294967295EEENS1_25partition_config_selectorILNS1_17partition_subalgoE3EjNS0_10empty_typeEbEEZZNS1_14partition_implILS8_3ELb0ES6_jNS0_17counting_iteratorIjlEEPS9_SE_NS0_5tupleIJPjSE_EEENSF_IJSE_SE_EEES9_SG_JZNS1_25segmented_radix_sort_implINS0_14default_configELb0EPKlPlSM_SN_N2at6native12_GLOBAL__N_18offset_tEEE10hipError_tPvRmT1_PNSt15iterator_traitsISV_E10value_typeET2_T3_PNSW_IS11_E10value_typeET4_jRbjT5_S17_jjP12ihipStream_tbEUljE_EEESS_ST_SU_S11_S15_S17_T6_T7_T9_mT8_S19_bDpT10_ENKUlT_T0_E_clISt17integral_constantIbLb0EES1L_IbLb1EEEEDaS1H_S1I_EUlS1H_E_NS1_11comp_targetILNS1_3genE10ELNS1_11target_archE1200ELNS1_3gpuE4ELNS1_3repE0EEENS1_30default_config_static_selectorELNS0_4arch9wavefront6targetE0EEEvSV_.num_agpr, 0
	.set _ZN7rocprim17ROCPRIM_400000_NS6detail17trampoline_kernelINS0_13select_configILj256ELj13ELNS0_17block_load_methodE3ELS4_3ELS4_3ELNS0_20block_scan_algorithmE0ELj4294967295EEENS1_25partition_config_selectorILNS1_17partition_subalgoE3EjNS0_10empty_typeEbEEZZNS1_14partition_implILS8_3ELb0ES6_jNS0_17counting_iteratorIjlEEPS9_SE_NS0_5tupleIJPjSE_EEENSF_IJSE_SE_EEES9_SG_JZNS1_25segmented_radix_sort_implINS0_14default_configELb0EPKlPlSM_SN_N2at6native12_GLOBAL__N_18offset_tEEE10hipError_tPvRmT1_PNSt15iterator_traitsISV_E10value_typeET2_T3_PNSW_IS11_E10value_typeET4_jRbjT5_S17_jjP12ihipStream_tbEUljE_EEESS_ST_SU_S11_S15_S17_T6_T7_T9_mT8_S19_bDpT10_ENKUlT_T0_E_clISt17integral_constantIbLb0EES1L_IbLb1EEEEDaS1H_S1I_EUlS1H_E_NS1_11comp_targetILNS1_3genE10ELNS1_11target_archE1200ELNS1_3gpuE4ELNS1_3repE0EEENS1_30default_config_static_selectorELNS0_4arch9wavefront6targetE0EEEvSV_.numbered_sgpr, 26
	.set _ZN7rocprim17ROCPRIM_400000_NS6detail17trampoline_kernelINS0_13select_configILj256ELj13ELNS0_17block_load_methodE3ELS4_3ELS4_3ELNS0_20block_scan_algorithmE0ELj4294967295EEENS1_25partition_config_selectorILNS1_17partition_subalgoE3EjNS0_10empty_typeEbEEZZNS1_14partition_implILS8_3ELb0ES6_jNS0_17counting_iteratorIjlEEPS9_SE_NS0_5tupleIJPjSE_EEENSF_IJSE_SE_EEES9_SG_JZNS1_25segmented_radix_sort_implINS0_14default_configELb0EPKlPlSM_SN_N2at6native12_GLOBAL__N_18offset_tEEE10hipError_tPvRmT1_PNSt15iterator_traitsISV_E10value_typeET2_T3_PNSW_IS11_E10value_typeET4_jRbjT5_S17_jjP12ihipStream_tbEUljE_EEESS_ST_SU_S11_S15_S17_T6_T7_T9_mT8_S19_bDpT10_ENKUlT_T0_E_clISt17integral_constantIbLb0EES1L_IbLb1EEEEDaS1H_S1I_EUlS1H_E_NS1_11comp_targetILNS1_3genE10ELNS1_11target_archE1200ELNS1_3gpuE4ELNS1_3repE0EEENS1_30default_config_static_selectorELNS0_4arch9wavefront6targetE0EEEvSV_.num_named_barrier, 0
	.set _ZN7rocprim17ROCPRIM_400000_NS6detail17trampoline_kernelINS0_13select_configILj256ELj13ELNS0_17block_load_methodE3ELS4_3ELS4_3ELNS0_20block_scan_algorithmE0ELj4294967295EEENS1_25partition_config_selectorILNS1_17partition_subalgoE3EjNS0_10empty_typeEbEEZZNS1_14partition_implILS8_3ELb0ES6_jNS0_17counting_iteratorIjlEEPS9_SE_NS0_5tupleIJPjSE_EEENSF_IJSE_SE_EEES9_SG_JZNS1_25segmented_radix_sort_implINS0_14default_configELb0EPKlPlSM_SN_N2at6native12_GLOBAL__N_18offset_tEEE10hipError_tPvRmT1_PNSt15iterator_traitsISV_E10value_typeET2_T3_PNSW_IS11_E10value_typeET4_jRbjT5_S17_jjP12ihipStream_tbEUljE_EEESS_ST_SU_S11_S15_S17_T6_T7_T9_mT8_S19_bDpT10_ENKUlT_T0_E_clISt17integral_constantIbLb0EES1L_IbLb1EEEEDaS1H_S1I_EUlS1H_E_NS1_11comp_targetILNS1_3genE10ELNS1_11target_archE1200ELNS1_3gpuE4ELNS1_3repE0EEENS1_30default_config_static_selectorELNS0_4arch9wavefront6targetE0EEEvSV_.private_seg_size, 0
	.set _ZN7rocprim17ROCPRIM_400000_NS6detail17trampoline_kernelINS0_13select_configILj256ELj13ELNS0_17block_load_methodE3ELS4_3ELS4_3ELNS0_20block_scan_algorithmE0ELj4294967295EEENS1_25partition_config_selectorILNS1_17partition_subalgoE3EjNS0_10empty_typeEbEEZZNS1_14partition_implILS8_3ELb0ES6_jNS0_17counting_iteratorIjlEEPS9_SE_NS0_5tupleIJPjSE_EEENSF_IJSE_SE_EEES9_SG_JZNS1_25segmented_radix_sort_implINS0_14default_configELb0EPKlPlSM_SN_N2at6native12_GLOBAL__N_18offset_tEEE10hipError_tPvRmT1_PNSt15iterator_traitsISV_E10value_typeET2_T3_PNSW_IS11_E10value_typeET4_jRbjT5_S17_jjP12ihipStream_tbEUljE_EEESS_ST_SU_S11_S15_S17_T6_T7_T9_mT8_S19_bDpT10_ENKUlT_T0_E_clISt17integral_constantIbLb0EES1L_IbLb1EEEEDaS1H_S1I_EUlS1H_E_NS1_11comp_targetILNS1_3genE10ELNS1_11target_archE1200ELNS1_3gpuE4ELNS1_3repE0EEENS1_30default_config_static_selectorELNS0_4arch9wavefront6targetE0EEEvSV_.uses_vcc, 1
	.set _ZN7rocprim17ROCPRIM_400000_NS6detail17trampoline_kernelINS0_13select_configILj256ELj13ELNS0_17block_load_methodE3ELS4_3ELS4_3ELNS0_20block_scan_algorithmE0ELj4294967295EEENS1_25partition_config_selectorILNS1_17partition_subalgoE3EjNS0_10empty_typeEbEEZZNS1_14partition_implILS8_3ELb0ES6_jNS0_17counting_iteratorIjlEEPS9_SE_NS0_5tupleIJPjSE_EEENSF_IJSE_SE_EEES9_SG_JZNS1_25segmented_radix_sort_implINS0_14default_configELb0EPKlPlSM_SN_N2at6native12_GLOBAL__N_18offset_tEEE10hipError_tPvRmT1_PNSt15iterator_traitsISV_E10value_typeET2_T3_PNSW_IS11_E10value_typeET4_jRbjT5_S17_jjP12ihipStream_tbEUljE_EEESS_ST_SU_S11_S15_S17_T6_T7_T9_mT8_S19_bDpT10_ENKUlT_T0_E_clISt17integral_constantIbLb0EES1L_IbLb1EEEEDaS1H_S1I_EUlS1H_E_NS1_11comp_targetILNS1_3genE10ELNS1_11target_archE1200ELNS1_3gpuE4ELNS1_3repE0EEENS1_30default_config_static_selectorELNS0_4arch9wavefront6targetE0EEEvSV_.uses_flat_scratch, 0
	.set _ZN7rocprim17ROCPRIM_400000_NS6detail17trampoline_kernelINS0_13select_configILj256ELj13ELNS0_17block_load_methodE3ELS4_3ELS4_3ELNS0_20block_scan_algorithmE0ELj4294967295EEENS1_25partition_config_selectorILNS1_17partition_subalgoE3EjNS0_10empty_typeEbEEZZNS1_14partition_implILS8_3ELb0ES6_jNS0_17counting_iteratorIjlEEPS9_SE_NS0_5tupleIJPjSE_EEENSF_IJSE_SE_EEES9_SG_JZNS1_25segmented_radix_sort_implINS0_14default_configELb0EPKlPlSM_SN_N2at6native12_GLOBAL__N_18offset_tEEE10hipError_tPvRmT1_PNSt15iterator_traitsISV_E10value_typeET2_T3_PNSW_IS11_E10value_typeET4_jRbjT5_S17_jjP12ihipStream_tbEUljE_EEESS_ST_SU_S11_S15_S17_T6_T7_T9_mT8_S19_bDpT10_ENKUlT_T0_E_clISt17integral_constantIbLb0EES1L_IbLb1EEEEDaS1H_S1I_EUlS1H_E_NS1_11comp_targetILNS1_3genE10ELNS1_11target_archE1200ELNS1_3gpuE4ELNS1_3repE0EEENS1_30default_config_static_selectorELNS0_4arch9wavefront6targetE0EEEvSV_.has_dyn_sized_stack, 0
	.set _ZN7rocprim17ROCPRIM_400000_NS6detail17trampoline_kernelINS0_13select_configILj256ELj13ELNS0_17block_load_methodE3ELS4_3ELS4_3ELNS0_20block_scan_algorithmE0ELj4294967295EEENS1_25partition_config_selectorILNS1_17partition_subalgoE3EjNS0_10empty_typeEbEEZZNS1_14partition_implILS8_3ELb0ES6_jNS0_17counting_iteratorIjlEEPS9_SE_NS0_5tupleIJPjSE_EEENSF_IJSE_SE_EEES9_SG_JZNS1_25segmented_radix_sort_implINS0_14default_configELb0EPKlPlSM_SN_N2at6native12_GLOBAL__N_18offset_tEEE10hipError_tPvRmT1_PNSt15iterator_traitsISV_E10value_typeET2_T3_PNSW_IS11_E10value_typeET4_jRbjT5_S17_jjP12ihipStream_tbEUljE_EEESS_ST_SU_S11_S15_S17_T6_T7_T9_mT8_S19_bDpT10_ENKUlT_T0_E_clISt17integral_constantIbLb0EES1L_IbLb1EEEEDaS1H_S1I_EUlS1H_E_NS1_11comp_targetILNS1_3genE10ELNS1_11target_archE1200ELNS1_3gpuE4ELNS1_3repE0EEENS1_30default_config_static_selectorELNS0_4arch9wavefront6targetE0EEEvSV_.has_recursion, 0
	.set _ZN7rocprim17ROCPRIM_400000_NS6detail17trampoline_kernelINS0_13select_configILj256ELj13ELNS0_17block_load_methodE3ELS4_3ELS4_3ELNS0_20block_scan_algorithmE0ELj4294967295EEENS1_25partition_config_selectorILNS1_17partition_subalgoE3EjNS0_10empty_typeEbEEZZNS1_14partition_implILS8_3ELb0ES6_jNS0_17counting_iteratorIjlEEPS9_SE_NS0_5tupleIJPjSE_EEENSF_IJSE_SE_EEES9_SG_JZNS1_25segmented_radix_sort_implINS0_14default_configELb0EPKlPlSM_SN_N2at6native12_GLOBAL__N_18offset_tEEE10hipError_tPvRmT1_PNSt15iterator_traitsISV_E10value_typeET2_T3_PNSW_IS11_E10value_typeET4_jRbjT5_S17_jjP12ihipStream_tbEUljE_EEESS_ST_SU_S11_S15_S17_T6_T7_T9_mT8_S19_bDpT10_ENKUlT_T0_E_clISt17integral_constantIbLb0EES1L_IbLb1EEEEDaS1H_S1I_EUlS1H_E_NS1_11comp_targetILNS1_3genE10ELNS1_11target_archE1200ELNS1_3gpuE4ELNS1_3repE0EEENS1_30default_config_static_selectorELNS0_4arch9wavefront6targetE0EEEvSV_.has_indirect_call, 0
	.section	.AMDGPU.csdata,"",@progbits
; Kernel info:
; codeLenInByte = 10900
; TotalNumSgprs: 28
; NumVgprs: 71
; ScratchSize: 0
; MemoryBound: 0
; FloatMode: 240
; IeeeMode: 1
; LDSByteSize: 13320 bytes/workgroup (compile time only)
; SGPRBlocks: 0
; VGPRBlocks: 8
; NumSGPRsForWavesPerEU: 28
; NumVGPRsForWavesPerEU: 71
; Occupancy: 16
; WaveLimiterHint : 0
; COMPUTE_PGM_RSRC2:SCRATCH_EN: 0
; COMPUTE_PGM_RSRC2:USER_SGPR: 2
; COMPUTE_PGM_RSRC2:TRAP_HANDLER: 0
; COMPUTE_PGM_RSRC2:TGID_X_EN: 1
; COMPUTE_PGM_RSRC2:TGID_Y_EN: 0
; COMPUTE_PGM_RSRC2:TGID_Z_EN: 0
; COMPUTE_PGM_RSRC2:TIDIG_COMP_CNT: 0
	.section	.text._ZN7rocprim17ROCPRIM_400000_NS6detail17trampoline_kernelINS0_13select_configILj256ELj13ELNS0_17block_load_methodE3ELS4_3ELS4_3ELNS0_20block_scan_algorithmE0ELj4294967295EEENS1_25partition_config_selectorILNS1_17partition_subalgoE3EjNS0_10empty_typeEbEEZZNS1_14partition_implILS8_3ELb0ES6_jNS0_17counting_iteratorIjlEEPS9_SE_NS0_5tupleIJPjSE_EEENSF_IJSE_SE_EEES9_SG_JZNS1_25segmented_radix_sort_implINS0_14default_configELb0EPKlPlSM_SN_N2at6native12_GLOBAL__N_18offset_tEEE10hipError_tPvRmT1_PNSt15iterator_traitsISV_E10value_typeET2_T3_PNSW_IS11_E10value_typeET4_jRbjT5_S17_jjP12ihipStream_tbEUljE_EEESS_ST_SU_S11_S15_S17_T6_T7_T9_mT8_S19_bDpT10_ENKUlT_T0_E_clISt17integral_constantIbLb0EES1L_IbLb1EEEEDaS1H_S1I_EUlS1H_E_NS1_11comp_targetILNS1_3genE9ELNS1_11target_archE1100ELNS1_3gpuE3ELNS1_3repE0EEENS1_30default_config_static_selectorELNS0_4arch9wavefront6targetE0EEEvSV_,"axG",@progbits,_ZN7rocprim17ROCPRIM_400000_NS6detail17trampoline_kernelINS0_13select_configILj256ELj13ELNS0_17block_load_methodE3ELS4_3ELS4_3ELNS0_20block_scan_algorithmE0ELj4294967295EEENS1_25partition_config_selectorILNS1_17partition_subalgoE3EjNS0_10empty_typeEbEEZZNS1_14partition_implILS8_3ELb0ES6_jNS0_17counting_iteratorIjlEEPS9_SE_NS0_5tupleIJPjSE_EEENSF_IJSE_SE_EEES9_SG_JZNS1_25segmented_radix_sort_implINS0_14default_configELb0EPKlPlSM_SN_N2at6native12_GLOBAL__N_18offset_tEEE10hipError_tPvRmT1_PNSt15iterator_traitsISV_E10value_typeET2_T3_PNSW_IS11_E10value_typeET4_jRbjT5_S17_jjP12ihipStream_tbEUljE_EEESS_ST_SU_S11_S15_S17_T6_T7_T9_mT8_S19_bDpT10_ENKUlT_T0_E_clISt17integral_constantIbLb0EES1L_IbLb1EEEEDaS1H_S1I_EUlS1H_E_NS1_11comp_targetILNS1_3genE9ELNS1_11target_archE1100ELNS1_3gpuE3ELNS1_3repE0EEENS1_30default_config_static_selectorELNS0_4arch9wavefront6targetE0EEEvSV_,comdat
	.globl	_ZN7rocprim17ROCPRIM_400000_NS6detail17trampoline_kernelINS0_13select_configILj256ELj13ELNS0_17block_load_methodE3ELS4_3ELS4_3ELNS0_20block_scan_algorithmE0ELj4294967295EEENS1_25partition_config_selectorILNS1_17partition_subalgoE3EjNS0_10empty_typeEbEEZZNS1_14partition_implILS8_3ELb0ES6_jNS0_17counting_iteratorIjlEEPS9_SE_NS0_5tupleIJPjSE_EEENSF_IJSE_SE_EEES9_SG_JZNS1_25segmented_radix_sort_implINS0_14default_configELb0EPKlPlSM_SN_N2at6native12_GLOBAL__N_18offset_tEEE10hipError_tPvRmT1_PNSt15iterator_traitsISV_E10value_typeET2_T3_PNSW_IS11_E10value_typeET4_jRbjT5_S17_jjP12ihipStream_tbEUljE_EEESS_ST_SU_S11_S15_S17_T6_T7_T9_mT8_S19_bDpT10_ENKUlT_T0_E_clISt17integral_constantIbLb0EES1L_IbLb1EEEEDaS1H_S1I_EUlS1H_E_NS1_11comp_targetILNS1_3genE9ELNS1_11target_archE1100ELNS1_3gpuE3ELNS1_3repE0EEENS1_30default_config_static_selectorELNS0_4arch9wavefront6targetE0EEEvSV_ ; -- Begin function _ZN7rocprim17ROCPRIM_400000_NS6detail17trampoline_kernelINS0_13select_configILj256ELj13ELNS0_17block_load_methodE3ELS4_3ELS4_3ELNS0_20block_scan_algorithmE0ELj4294967295EEENS1_25partition_config_selectorILNS1_17partition_subalgoE3EjNS0_10empty_typeEbEEZZNS1_14partition_implILS8_3ELb0ES6_jNS0_17counting_iteratorIjlEEPS9_SE_NS0_5tupleIJPjSE_EEENSF_IJSE_SE_EEES9_SG_JZNS1_25segmented_radix_sort_implINS0_14default_configELb0EPKlPlSM_SN_N2at6native12_GLOBAL__N_18offset_tEEE10hipError_tPvRmT1_PNSt15iterator_traitsISV_E10value_typeET2_T3_PNSW_IS11_E10value_typeET4_jRbjT5_S17_jjP12ihipStream_tbEUljE_EEESS_ST_SU_S11_S15_S17_T6_T7_T9_mT8_S19_bDpT10_ENKUlT_T0_E_clISt17integral_constantIbLb0EES1L_IbLb1EEEEDaS1H_S1I_EUlS1H_E_NS1_11comp_targetILNS1_3genE9ELNS1_11target_archE1100ELNS1_3gpuE3ELNS1_3repE0EEENS1_30default_config_static_selectorELNS0_4arch9wavefront6targetE0EEEvSV_
	.p2align	8
	.type	_ZN7rocprim17ROCPRIM_400000_NS6detail17trampoline_kernelINS0_13select_configILj256ELj13ELNS0_17block_load_methodE3ELS4_3ELS4_3ELNS0_20block_scan_algorithmE0ELj4294967295EEENS1_25partition_config_selectorILNS1_17partition_subalgoE3EjNS0_10empty_typeEbEEZZNS1_14partition_implILS8_3ELb0ES6_jNS0_17counting_iteratorIjlEEPS9_SE_NS0_5tupleIJPjSE_EEENSF_IJSE_SE_EEES9_SG_JZNS1_25segmented_radix_sort_implINS0_14default_configELb0EPKlPlSM_SN_N2at6native12_GLOBAL__N_18offset_tEEE10hipError_tPvRmT1_PNSt15iterator_traitsISV_E10value_typeET2_T3_PNSW_IS11_E10value_typeET4_jRbjT5_S17_jjP12ihipStream_tbEUljE_EEESS_ST_SU_S11_S15_S17_T6_T7_T9_mT8_S19_bDpT10_ENKUlT_T0_E_clISt17integral_constantIbLb0EES1L_IbLb1EEEEDaS1H_S1I_EUlS1H_E_NS1_11comp_targetILNS1_3genE9ELNS1_11target_archE1100ELNS1_3gpuE3ELNS1_3repE0EEENS1_30default_config_static_selectorELNS0_4arch9wavefront6targetE0EEEvSV_,@function
_ZN7rocprim17ROCPRIM_400000_NS6detail17trampoline_kernelINS0_13select_configILj256ELj13ELNS0_17block_load_methodE3ELS4_3ELS4_3ELNS0_20block_scan_algorithmE0ELj4294967295EEENS1_25partition_config_selectorILNS1_17partition_subalgoE3EjNS0_10empty_typeEbEEZZNS1_14partition_implILS8_3ELb0ES6_jNS0_17counting_iteratorIjlEEPS9_SE_NS0_5tupleIJPjSE_EEENSF_IJSE_SE_EEES9_SG_JZNS1_25segmented_radix_sort_implINS0_14default_configELb0EPKlPlSM_SN_N2at6native12_GLOBAL__N_18offset_tEEE10hipError_tPvRmT1_PNSt15iterator_traitsISV_E10value_typeET2_T3_PNSW_IS11_E10value_typeET4_jRbjT5_S17_jjP12ihipStream_tbEUljE_EEESS_ST_SU_S11_S15_S17_T6_T7_T9_mT8_S19_bDpT10_ENKUlT_T0_E_clISt17integral_constantIbLb0EES1L_IbLb1EEEEDaS1H_S1I_EUlS1H_E_NS1_11comp_targetILNS1_3genE9ELNS1_11target_archE1100ELNS1_3gpuE3ELNS1_3repE0EEENS1_30default_config_static_selectorELNS0_4arch9wavefront6targetE0EEEvSV_: ; @_ZN7rocprim17ROCPRIM_400000_NS6detail17trampoline_kernelINS0_13select_configILj256ELj13ELNS0_17block_load_methodE3ELS4_3ELS4_3ELNS0_20block_scan_algorithmE0ELj4294967295EEENS1_25partition_config_selectorILNS1_17partition_subalgoE3EjNS0_10empty_typeEbEEZZNS1_14partition_implILS8_3ELb0ES6_jNS0_17counting_iteratorIjlEEPS9_SE_NS0_5tupleIJPjSE_EEENSF_IJSE_SE_EEES9_SG_JZNS1_25segmented_radix_sort_implINS0_14default_configELb0EPKlPlSM_SN_N2at6native12_GLOBAL__N_18offset_tEEE10hipError_tPvRmT1_PNSt15iterator_traitsISV_E10value_typeET2_T3_PNSW_IS11_E10value_typeET4_jRbjT5_S17_jjP12ihipStream_tbEUljE_EEESS_ST_SU_S11_S15_S17_T6_T7_T9_mT8_S19_bDpT10_ENKUlT_T0_E_clISt17integral_constantIbLb0EES1L_IbLb1EEEEDaS1H_S1I_EUlS1H_E_NS1_11comp_targetILNS1_3genE9ELNS1_11target_archE1100ELNS1_3gpuE3ELNS1_3repE0EEENS1_30default_config_static_selectorELNS0_4arch9wavefront6targetE0EEEvSV_
; %bb.0:
	.section	.rodata,"a",@progbits
	.p2align	6, 0x0
	.amdhsa_kernel _ZN7rocprim17ROCPRIM_400000_NS6detail17trampoline_kernelINS0_13select_configILj256ELj13ELNS0_17block_load_methodE3ELS4_3ELS4_3ELNS0_20block_scan_algorithmE0ELj4294967295EEENS1_25partition_config_selectorILNS1_17partition_subalgoE3EjNS0_10empty_typeEbEEZZNS1_14partition_implILS8_3ELb0ES6_jNS0_17counting_iteratorIjlEEPS9_SE_NS0_5tupleIJPjSE_EEENSF_IJSE_SE_EEES9_SG_JZNS1_25segmented_radix_sort_implINS0_14default_configELb0EPKlPlSM_SN_N2at6native12_GLOBAL__N_18offset_tEEE10hipError_tPvRmT1_PNSt15iterator_traitsISV_E10value_typeET2_T3_PNSW_IS11_E10value_typeET4_jRbjT5_S17_jjP12ihipStream_tbEUljE_EEESS_ST_SU_S11_S15_S17_T6_T7_T9_mT8_S19_bDpT10_ENKUlT_T0_E_clISt17integral_constantIbLb0EES1L_IbLb1EEEEDaS1H_S1I_EUlS1H_E_NS1_11comp_targetILNS1_3genE9ELNS1_11target_archE1100ELNS1_3gpuE3ELNS1_3repE0EEENS1_30default_config_static_selectorELNS0_4arch9wavefront6targetE0EEEvSV_
		.amdhsa_group_segment_fixed_size 0
		.amdhsa_private_segment_fixed_size 0
		.amdhsa_kernarg_size 152
		.amdhsa_user_sgpr_count 2
		.amdhsa_user_sgpr_dispatch_ptr 0
		.amdhsa_user_sgpr_queue_ptr 0
		.amdhsa_user_sgpr_kernarg_segment_ptr 1
		.amdhsa_user_sgpr_dispatch_id 0
		.amdhsa_user_sgpr_private_segment_size 0
		.amdhsa_wavefront_size32 1
		.amdhsa_uses_dynamic_stack 0
		.amdhsa_enable_private_segment 0
		.amdhsa_system_sgpr_workgroup_id_x 1
		.amdhsa_system_sgpr_workgroup_id_y 0
		.amdhsa_system_sgpr_workgroup_id_z 0
		.amdhsa_system_sgpr_workgroup_info 0
		.amdhsa_system_vgpr_workitem_id 0
		.amdhsa_next_free_vgpr 1
		.amdhsa_next_free_sgpr 1
		.amdhsa_reserve_vcc 0
		.amdhsa_float_round_mode_32 0
		.amdhsa_float_round_mode_16_64 0
		.amdhsa_float_denorm_mode_32 3
		.amdhsa_float_denorm_mode_16_64 3
		.amdhsa_fp16_overflow 0
		.amdhsa_workgroup_processor_mode 1
		.amdhsa_memory_ordered 1
		.amdhsa_forward_progress 1
		.amdhsa_inst_pref_size 0
		.amdhsa_round_robin_scheduling 0
		.amdhsa_exception_fp_ieee_invalid_op 0
		.amdhsa_exception_fp_denorm_src 0
		.amdhsa_exception_fp_ieee_div_zero 0
		.amdhsa_exception_fp_ieee_overflow 0
		.amdhsa_exception_fp_ieee_underflow 0
		.amdhsa_exception_fp_ieee_inexact 0
		.amdhsa_exception_int_div_zero 0
	.end_amdhsa_kernel
	.section	.text._ZN7rocprim17ROCPRIM_400000_NS6detail17trampoline_kernelINS0_13select_configILj256ELj13ELNS0_17block_load_methodE3ELS4_3ELS4_3ELNS0_20block_scan_algorithmE0ELj4294967295EEENS1_25partition_config_selectorILNS1_17partition_subalgoE3EjNS0_10empty_typeEbEEZZNS1_14partition_implILS8_3ELb0ES6_jNS0_17counting_iteratorIjlEEPS9_SE_NS0_5tupleIJPjSE_EEENSF_IJSE_SE_EEES9_SG_JZNS1_25segmented_radix_sort_implINS0_14default_configELb0EPKlPlSM_SN_N2at6native12_GLOBAL__N_18offset_tEEE10hipError_tPvRmT1_PNSt15iterator_traitsISV_E10value_typeET2_T3_PNSW_IS11_E10value_typeET4_jRbjT5_S17_jjP12ihipStream_tbEUljE_EEESS_ST_SU_S11_S15_S17_T6_T7_T9_mT8_S19_bDpT10_ENKUlT_T0_E_clISt17integral_constantIbLb0EES1L_IbLb1EEEEDaS1H_S1I_EUlS1H_E_NS1_11comp_targetILNS1_3genE9ELNS1_11target_archE1100ELNS1_3gpuE3ELNS1_3repE0EEENS1_30default_config_static_selectorELNS0_4arch9wavefront6targetE0EEEvSV_,"axG",@progbits,_ZN7rocprim17ROCPRIM_400000_NS6detail17trampoline_kernelINS0_13select_configILj256ELj13ELNS0_17block_load_methodE3ELS4_3ELS4_3ELNS0_20block_scan_algorithmE0ELj4294967295EEENS1_25partition_config_selectorILNS1_17partition_subalgoE3EjNS0_10empty_typeEbEEZZNS1_14partition_implILS8_3ELb0ES6_jNS0_17counting_iteratorIjlEEPS9_SE_NS0_5tupleIJPjSE_EEENSF_IJSE_SE_EEES9_SG_JZNS1_25segmented_radix_sort_implINS0_14default_configELb0EPKlPlSM_SN_N2at6native12_GLOBAL__N_18offset_tEEE10hipError_tPvRmT1_PNSt15iterator_traitsISV_E10value_typeET2_T3_PNSW_IS11_E10value_typeET4_jRbjT5_S17_jjP12ihipStream_tbEUljE_EEESS_ST_SU_S11_S15_S17_T6_T7_T9_mT8_S19_bDpT10_ENKUlT_T0_E_clISt17integral_constantIbLb0EES1L_IbLb1EEEEDaS1H_S1I_EUlS1H_E_NS1_11comp_targetILNS1_3genE9ELNS1_11target_archE1100ELNS1_3gpuE3ELNS1_3repE0EEENS1_30default_config_static_selectorELNS0_4arch9wavefront6targetE0EEEvSV_,comdat
.Lfunc_end805:
	.size	_ZN7rocprim17ROCPRIM_400000_NS6detail17trampoline_kernelINS0_13select_configILj256ELj13ELNS0_17block_load_methodE3ELS4_3ELS4_3ELNS0_20block_scan_algorithmE0ELj4294967295EEENS1_25partition_config_selectorILNS1_17partition_subalgoE3EjNS0_10empty_typeEbEEZZNS1_14partition_implILS8_3ELb0ES6_jNS0_17counting_iteratorIjlEEPS9_SE_NS0_5tupleIJPjSE_EEENSF_IJSE_SE_EEES9_SG_JZNS1_25segmented_radix_sort_implINS0_14default_configELb0EPKlPlSM_SN_N2at6native12_GLOBAL__N_18offset_tEEE10hipError_tPvRmT1_PNSt15iterator_traitsISV_E10value_typeET2_T3_PNSW_IS11_E10value_typeET4_jRbjT5_S17_jjP12ihipStream_tbEUljE_EEESS_ST_SU_S11_S15_S17_T6_T7_T9_mT8_S19_bDpT10_ENKUlT_T0_E_clISt17integral_constantIbLb0EES1L_IbLb1EEEEDaS1H_S1I_EUlS1H_E_NS1_11comp_targetILNS1_3genE9ELNS1_11target_archE1100ELNS1_3gpuE3ELNS1_3repE0EEENS1_30default_config_static_selectorELNS0_4arch9wavefront6targetE0EEEvSV_, .Lfunc_end805-_ZN7rocprim17ROCPRIM_400000_NS6detail17trampoline_kernelINS0_13select_configILj256ELj13ELNS0_17block_load_methodE3ELS4_3ELS4_3ELNS0_20block_scan_algorithmE0ELj4294967295EEENS1_25partition_config_selectorILNS1_17partition_subalgoE3EjNS0_10empty_typeEbEEZZNS1_14partition_implILS8_3ELb0ES6_jNS0_17counting_iteratorIjlEEPS9_SE_NS0_5tupleIJPjSE_EEENSF_IJSE_SE_EEES9_SG_JZNS1_25segmented_radix_sort_implINS0_14default_configELb0EPKlPlSM_SN_N2at6native12_GLOBAL__N_18offset_tEEE10hipError_tPvRmT1_PNSt15iterator_traitsISV_E10value_typeET2_T3_PNSW_IS11_E10value_typeET4_jRbjT5_S17_jjP12ihipStream_tbEUljE_EEESS_ST_SU_S11_S15_S17_T6_T7_T9_mT8_S19_bDpT10_ENKUlT_T0_E_clISt17integral_constantIbLb0EES1L_IbLb1EEEEDaS1H_S1I_EUlS1H_E_NS1_11comp_targetILNS1_3genE9ELNS1_11target_archE1100ELNS1_3gpuE3ELNS1_3repE0EEENS1_30default_config_static_selectorELNS0_4arch9wavefront6targetE0EEEvSV_
                                        ; -- End function
	.set _ZN7rocprim17ROCPRIM_400000_NS6detail17trampoline_kernelINS0_13select_configILj256ELj13ELNS0_17block_load_methodE3ELS4_3ELS4_3ELNS0_20block_scan_algorithmE0ELj4294967295EEENS1_25partition_config_selectorILNS1_17partition_subalgoE3EjNS0_10empty_typeEbEEZZNS1_14partition_implILS8_3ELb0ES6_jNS0_17counting_iteratorIjlEEPS9_SE_NS0_5tupleIJPjSE_EEENSF_IJSE_SE_EEES9_SG_JZNS1_25segmented_radix_sort_implINS0_14default_configELb0EPKlPlSM_SN_N2at6native12_GLOBAL__N_18offset_tEEE10hipError_tPvRmT1_PNSt15iterator_traitsISV_E10value_typeET2_T3_PNSW_IS11_E10value_typeET4_jRbjT5_S17_jjP12ihipStream_tbEUljE_EEESS_ST_SU_S11_S15_S17_T6_T7_T9_mT8_S19_bDpT10_ENKUlT_T0_E_clISt17integral_constantIbLb0EES1L_IbLb1EEEEDaS1H_S1I_EUlS1H_E_NS1_11comp_targetILNS1_3genE9ELNS1_11target_archE1100ELNS1_3gpuE3ELNS1_3repE0EEENS1_30default_config_static_selectorELNS0_4arch9wavefront6targetE0EEEvSV_.num_vgpr, 0
	.set _ZN7rocprim17ROCPRIM_400000_NS6detail17trampoline_kernelINS0_13select_configILj256ELj13ELNS0_17block_load_methodE3ELS4_3ELS4_3ELNS0_20block_scan_algorithmE0ELj4294967295EEENS1_25partition_config_selectorILNS1_17partition_subalgoE3EjNS0_10empty_typeEbEEZZNS1_14partition_implILS8_3ELb0ES6_jNS0_17counting_iteratorIjlEEPS9_SE_NS0_5tupleIJPjSE_EEENSF_IJSE_SE_EEES9_SG_JZNS1_25segmented_radix_sort_implINS0_14default_configELb0EPKlPlSM_SN_N2at6native12_GLOBAL__N_18offset_tEEE10hipError_tPvRmT1_PNSt15iterator_traitsISV_E10value_typeET2_T3_PNSW_IS11_E10value_typeET4_jRbjT5_S17_jjP12ihipStream_tbEUljE_EEESS_ST_SU_S11_S15_S17_T6_T7_T9_mT8_S19_bDpT10_ENKUlT_T0_E_clISt17integral_constantIbLb0EES1L_IbLb1EEEEDaS1H_S1I_EUlS1H_E_NS1_11comp_targetILNS1_3genE9ELNS1_11target_archE1100ELNS1_3gpuE3ELNS1_3repE0EEENS1_30default_config_static_selectorELNS0_4arch9wavefront6targetE0EEEvSV_.num_agpr, 0
	.set _ZN7rocprim17ROCPRIM_400000_NS6detail17trampoline_kernelINS0_13select_configILj256ELj13ELNS0_17block_load_methodE3ELS4_3ELS4_3ELNS0_20block_scan_algorithmE0ELj4294967295EEENS1_25partition_config_selectorILNS1_17partition_subalgoE3EjNS0_10empty_typeEbEEZZNS1_14partition_implILS8_3ELb0ES6_jNS0_17counting_iteratorIjlEEPS9_SE_NS0_5tupleIJPjSE_EEENSF_IJSE_SE_EEES9_SG_JZNS1_25segmented_radix_sort_implINS0_14default_configELb0EPKlPlSM_SN_N2at6native12_GLOBAL__N_18offset_tEEE10hipError_tPvRmT1_PNSt15iterator_traitsISV_E10value_typeET2_T3_PNSW_IS11_E10value_typeET4_jRbjT5_S17_jjP12ihipStream_tbEUljE_EEESS_ST_SU_S11_S15_S17_T6_T7_T9_mT8_S19_bDpT10_ENKUlT_T0_E_clISt17integral_constantIbLb0EES1L_IbLb1EEEEDaS1H_S1I_EUlS1H_E_NS1_11comp_targetILNS1_3genE9ELNS1_11target_archE1100ELNS1_3gpuE3ELNS1_3repE0EEENS1_30default_config_static_selectorELNS0_4arch9wavefront6targetE0EEEvSV_.numbered_sgpr, 0
	.set _ZN7rocprim17ROCPRIM_400000_NS6detail17trampoline_kernelINS0_13select_configILj256ELj13ELNS0_17block_load_methodE3ELS4_3ELS4_3ELNS0_20block_scan_algorithmE0ELj4294967295EEENS1_25partition_config_selectorILNS1_17partition_subalgoE3EjNS0_10empty_typeEbEEZZNS1_14partition_implILS8_3ELb0ES6_jNS0_17counting_iteratorIjlEEPS9_SE_NS0_5tupleIJPjSE_EEENSF_IJSE_SE_EEES9_SG_JZNS1_25segmented_radix_sort_implINS0_14default_configELb0EPKlPlSM_SN_N2at6native12_GLOBAL__N_18offset_tEEE10hipError_tPvRmT1_PNSt15iterator_traitsISV_E10value_typeET2_T3_PNSW_IS11_E10value_typeET4_jRbjT5_S17_jjP12ihipStream_tbEUljE_EEESS_ST_SU_S11_S15_S17_T6_T7_T9_mT8_S19_bDpT10_ENKUlT_T0_E_clISt17integral_constantIbLb0EES1L_IbLb1EEEEDaS1H_S1I_EUlS1H_E_NS1_11comp_targetILNS1_3genE9ELNS1_11target_archE1100ELNS1_3gpuE3ELNS1_3repE0EEENS1_30default_config_static_selectorELNS0_4arch9wavefront6targetE0EEEvSV_.num_named_barrier, 0
	.set _ZN7rocprim17ROCPRIM_400000_NS6detail17trampoline_kernelINS0_13select_configILj256ELj13ELNS0_17block_load_methodE3ELS4_3ELS4_3ELNS0_20block_scan_algorithmE0ELj4294967295EEENS1_25partition_config_selectorILNS1_17partition_subalgoE3EjNS0_10empty_typeEbEEZZNS1_14partition_implILS8_3ELb0ES6_jNS0_17counting_iteratorIjlEEPS9_SE_NS0_5tupleIJPjSE_EEENSF_IJSE_SE_EEES9_SG_JZNS1_25segmented_radix_sort_implINS0_14default_configELb0EPKlPlSM_SN_N2at6native12_GLOBAL__N_18offset_tEEE10hipError_tPvRmT1_PNSt15iterator_traitsISV_E10value_typeET2_T3_PNSW_IS11_E10value_typeET4_jRbjT5_S17_jjP12ihipStream_tbEUljE_EEESS_ST_SU_S11_S15_S17_T6_T7_T9_mT8_S19_bDpT10_ENKUlT_T0_E_clISt17integral_constantIbLb0EES1L_IbLb1EEEEDaS1H_S1I_EUlS1H_E_NS1_11comp_targetILNS1_3genE9ELNS1_11target_archE1100ELNS1_3gpuE3ELNS1_3repE0EEENS1_30default_config_static_selectorELNS0_4arch9wavefront6targetE0EEEvSV_.private_seg_size, 0
	.set _ZN7rocprim17ROCPRIM_400000_NS6detail17trampoline_kernelINS0_13select_configILj256ELj13ELNS0_17block_load_methodE3ELS4_3ELS4_3ELNS0_20block_scan_algorithmE0ELj4294967295EEENS1_25partition_config_selectorILNS1_17partition_subalgoE3EjNS0_10empty_typeEbEEZZNS1_14partition_implILS8_3ELb0ES6_jNS0_17counting_iteratorIjlEEPS9_SE_NS0_5tupleIJPjSE_EEENSF_IJSE_SE_EEES9_SG_JZNS1_25segmented_radix_sort_implINS0_14default_configELb0EPKlPlSM_SN_N2at6native12_GLOBAL__N_18offset_tEEE10hipError_tPvRmT1_PNSt15iterator_traitsISV_E10value_typeET2_T3_PNSW_IS11_E10value_typeET4_jRbjT5_S17_jjP12ihipStream_tbEUljE_EEESS_ST_SU_S11_S15_S17_T6_T7_T9_mT8_S19_bDpT10_ENKUlT_T0_E_clISt17integral_constantIbLb0EES1L_IbLb1EEEEDaS1H_S1I_EUlS1H_E_NS1_11comp_targetILNS1_3genE9ELNS1_11target_archE1100ELNS1_3gpuE3ELNS1_3repE0EEENS1_30default_config_static_selectorELNS0_4arch9wavefront6targetE0EEEvSV_.uses_vcc, 0
	.set _ZN7rocprim17ROCPRIM_400000_NS6detail17trampoline_kernelINS0_13select_configILj256ELj13ELNS0_17block_load_methodE3ELS4_3ELS4_3ELNS0_20block_scan_algorithmE0ELj4294967295EEENS1_25partition_config_selectorILNS1_17partition_subalgoE3EjNS0_10empty_typeEbEEZZNS1_14partition_implILS8_3ELb0ES6_jNS0_17counting_iteratorIjlEEPS9_SE_NS0_5tupleIJPjSE_EEENSF_IJSE_SE_EEES9_SG_JZNS1_25segmented_radix_sort_implINS0_14default_configELb0EPKlPlSM_SN_N2at6native12_GLOBAL__N_18offset_tEEE10hipError_tPvRmT1_PNSt15iterator_traitsISV_E10value_typeET2_T3_PNSW_IS11_E10value_typeET4_jRbjT5_S17_jjP12ihipStream_tbEUljE_EEESS_ST_SU_S11_S15_S17_T6_T7_T9_mT8_S19_bDpT10_ENKUlT_T0_E_clISt17integral_constantIbLb0EES1L_IbLb1EEEEDaS1H_S1I_EUlS1H_E_NS1_11comp_targetILNS1_3genE9ELNS1_11target_archE1100ELNS1_3gpuE3ELNS1_3repE0EEENS1_30default_config_static_selectorELNS0_4arch9wavefront6targetE0EEEvSV_.uses_flat_scratch, 0
	.set _ZN7rocprim17ROCPRIM_400000_NS6detail17trampoline_kernelINS0_13select_configILj256ELj13ELNS0_17block_load_methodE3ELS4_3ELS4_3ELNS0_20block_scan_algorithmE0ELj4294967295EEENS1_25partition_config_selectorILNS1_17partition_subalgoE3EjNS0_10empty_typeEbEEZZNS1_14partition_implILS8_3ELb0ES6_jNS0_17counting_iteratorIjlEEPS9_SE_NS0_5tupleIJPjSE_EEENSF_IJSE_SE_EEES9_SG_JZNS1_25segmented_radix_sort_implINS0_14default_configELb0EPKlPlSM_SN_N2at6native12_GLOBAL__N_18offset_tEEE10hipError_tPvRmT1_PNSt15iterator_traitsISV_E10value_typeET2_T3_PNSW_IS11_E10value_typeET4_jRbjT5_S17_jjP12ihipStream_tbEUljE_EEESS_ST_SU_S11_S15_S17_T6_T7_T9_mT8_S19_bDpT10_ENKUlT_T0_E_clISt17integral_constantIbLb0EES1L_IbLb1EEEEDaS1H_S1I_EUlS1H_E_NS1_11comp_targetILNS1_3genE9ELNS1_11target_archE1100ELNS1_3gpuE3ELNS1_3repE0EEENS1_30default_config_static_selectorELNS0_4arch9wavefront6targetE0EEEvSV_.has_dyn_sized_stack, 0
	.set _ZN7rocprim17ROCPRIM_400000_NS6detail17trampoline_kernelINS0_13select_configILj256ELj13ELNS0_17block_load_methodE3ELS4_3ELS4_3ELNS0_20block_scan_algorithmE0ELj4294967295EEENS1_25partition_config_selectorILNS1_17partition_subalgoE3EjNS0_10empty_typeEbEEZZNS1_14partition_implILS8_3ELb0ES6_jNS0_17counting_iteratorIjlEEPS9_SE_NS0_5tupleIJPjSE_EEENSF_IJSE_SE_EEES9_SG_JZNS1_25segmented_radix_sort_implINS0_14default_configELb0EPKlPlSM_SN_N2at6native12_GLOBAL__N_18offset_tEEE10hipError_tPvRmT1_PNSt15iterator_traitsISV_E10value_typeET2_T3_PNSW_IS11_E10value_typeET4_jRbjT5_S17_jjP12ihipStream_tbEUljE_EEESS_ST_SU_S11_S15_S17_T6_T7_T9_mT8_S19_bDpT10_ENKUlT_T0_E_clISt17integral_constantIbLb0EES1L_IbLb1EEEEDaS1H_S1I_EUlS1H_E_NS1_11comp_targetILNS1_3genE9ELNS1_11target_archE1100ELNS1_3gpuE3ELNS1_3repE0EEENS1_30default_config_static_selectorELNS0_4arch9wavefront6targetE0EEEvSV_.has_recursion, 0
	.set _ZN7rocprim17ROCPRIM_400000_NS6detail17trampoline_kernelINS0_13select_configILj256ELj13ELNS0_17block_load_methodE3ELS4_3ELS4_3ELNS0_20block_scan_algorithmE0ELj4294967295EEENS1_25partition_config_selectorILNS1_17partition_subalgoE3EjNS0_10empty_typeEbEEZZNS1_14partition_implILS8_3ELb0ES6_jNS0_17counting_iteratorIjlEEPS9_SE_NS0_5tupleIJPjSE_EEENSF_IJSE_SE_EEES9_SG_JZNS1_25segmented_radix_sort_implINS0_14default_configELb0EPKlPlSM_SN_N2at6native12_GLOBAL__N_18offset_tEEE10hipError_tPvRmT1_PNSt15iterator_traitsISV_E10value_typeET2_T3_PNSW_IS11_E10value_typeET4_jRbjT5_S17_jjP12ihipStream_tbEUljE_EEESS_ST_SU_S11_S15_S17_T6_T7_T9_mT8_S19_bDpT10_ENKUlT_T0_E_clISt17integral_constantIbLb0EES1L_IbLb1EEEEDaS1H_S1I_EUlS1H_E_NS1_11comp_targetILNS1_3genE9ELNS1_11target_archE1100ELNS1_3gpuE3ELNS1_3repE0EEENS1_30default_config_static_selectorELNS0_4arch9wavefront6targetE0EEEvSV_.has_indirect_call, 0
	.section	.AMDGPU.csdata,"",@progbits
; Kernel info:
; codeLenInByte = 0
; TotalNumSgprs: 0
; NumVgprs: 0
; ScratchSize: 0
; MemoryBound: 0
; FloatMode: 240
; IeeeMode: 1
; LDSByteSize: 0 bytes/workgroup (compile time only)
; SGPRBlocks: 0
; VGPRBlocks: 0
; NumSGPRsForWavesPerEU: 1
; NumVGPRsForWavesPerEU: 1
; Occupancy: 16
; WaveLimiterHint : 0
; COMPUTE_PGM_RSRC2:SCRATCH_EN: 0
; COMPUTE_PGM_RSRC2:USER_SGPR: 2
; COMPUTE_PGM_RSRC2:TRAP_HANDLER: 0
; COMPUTE_PGM_RSRC2:TGID_X_EN: 1
; COMPUTE_PGM_RSRC2:TGID_Y_EN: 0
; COMPUTE_PGM_RSRC2:TGID_Z_EN: 0
; COMPUTE_PGM_RSRC2:TIDIG_COMP_CNT: 0
	.section	.text._ZN7rocprim17ROCPRIM_400000_NS6detail17trampoline_kernelINS0_13select_configILj256ELj13ELNS0_17block_load_methodE3ELS4_3ELS4_3ELNS0_20block_scan_algorithmE0ELj4294967295EEENS1_25partition_config_selectorILNS1_17partition_subalgoE3EjNS0_10empty_typeEbEEZZNS1_14partition_implILS8_3ELb0ES6_jNS0_17counting_iteratorIjlEEPS9_SE_NS0_5tupleIJPjSE_EEENSF_IJSE_SE_EEES9_SG_JZNS1_25segmented_radix_sort_implINS0_14default_configELb0EPKlPlSM_SN_N2at6native12_GLOBAL__N_18offset_tEEE10hipError_tPvRmT1_PNSt15iterator_traitsISV_E10value_typeET2_T3_PNSW_IS11_E10value_typeET4_jRbjT5_S17_jjP12ihipStream_tbEUljE_EEESS_ST_SU_S11_S15_S17_T6_T7_T9_mT8_S19_bDpT10_ENKUlT_T0_E_clISt17integral_constantIbLb0EES1L_IbLb1EEEEDaS1H_S1I_EUlS1H_E_NS1_11comp_targetILNS1_3genE8ELNS1_11target_archE1030ELNS1_3gpuE2ELNS1_3repE0EEENS1_30default_config_static_selectorELNS0_4arch9wavefront6targetE0EEEvSV_,"axG",@progbits,_ZN7rocprim17ROCPRIM_400000_NS6detail17trampoline_kernelINS0_13select_configILj256ELj13ELNS0_17block_load_methodE3ELS4_3ELS4_3ELNS0_20block_scan_algorithmE0ELj4294967295EEENS1_25partition_config_selectorILNS1_17partition_subalgoE3EjNS0_10empty_typeEbEEZZNS1_14partition_implILS8_3ELb0ES6_jNS0_17counting_iteratorIjlEEPS9_SE_NS0_5tupleIJPjSE_EEENSF_IJSE_SE_EEES9_SG_JZNS1_25segmented_radix_sort_implINS0_14default_configELb0EPKlPlSM_SN_N2at6native12_GLOBAL__N_18offset_tEEE10hipError_tPvRmT1_PNSt15iterator_traitsISV_E10value_typeET2_T3_PNSW_IS11_E10value_typeET4_jRbjT5_S17_jjP12ihipStream_tbEUljE_EEESS_ST_SU_S11_S15_S17_T6_T7_T9_mT8_S19_bDpT10_ENKUlT_T0_E_clISt17integral_constantIbLb0EES1L_IbLb1EEEEDaS1H_S1I_EUlS1H_E_NS1_11comp_targetILNS1_3genE8ELNS1_11target_archE1030ELNS1_3gpuE2ELNS1_3repE0EEENS1_30default_config_static_selectorELNS0_4arch9wavefront6targetE0EEEvSV_,comdat
	.globl	_ZN7rocprim17ROCPRIM_400000_NS6detail17trampoline_kernelINS0_13select_configILj256ELj13ELNS0_17block_load_methodE3ELS4_3ELS4_3ELNS0_20block_scan_algorithmE0ELj4294967295EEENS1_25partition_config_selectorILNS1_17partition_subalgoE3EjNS0_10empty_typeEbEEZZNS1_14partition_implILS8_3ELb0ES6_jNS0_17counting_iteratorIjlEEPS9_SE_NS0_5tupleIJPjSE_EEENSF_IJSE_SE_EEES9_SG_JZNS1_25segmented_radix_sort_implINS0_14default_configELb0EPKlPlSM_SN_N2at6native12_GLOBAL__N_18offset_tEEE10hipError_tPvRmT1_PNSt15iterator_traitsISV_E10value_typeET2_T3_PNSW_IS11_E10value_typeET4_jRbjT5_S17_jjP12ihipStream_tbEUljE_EEESS_ST_SU_S11_S15_S17_T6_T7_T9_mT8_S19_bDpT10_ENKUlT_T0_E_clISt17integral_constantIbLb0EES1L_IbLb1EEEEDaS1H_S1I_EUlS1H_E_NS1_11comp_targetILNS1_3genE8ELNS1_11target_archE1030ELNS1_3gpuE2ELNS1_3repE0EEENS1_30default_config_static_selectorELNS0_4arch9wavefront6targetE0EEEvSV_ ; -- Begin function _ZN7rocprim17ROCPRIM_400000_NS6detail17trampoline_kernelINS0_13select_configILj256ELj13ELNS0_17block_load_methodE3ELS4_3ELS4_3ELNS0_20block_scan_algorithmE0ELj4294967295EEENS1_25partition_config_selectorILNS1_17partition_subalgoE3EjNS0_10empty_typeEbEEZZNS1_14partition_implILS8_3ELb0ES6_jNS0_17counting_iteratorIjlEEPS9_SE_NS0_5tupleIJPjSE_EEENSF_IJSE_SE_EEES9_SG_JZNS1_25segmented_radix_sort_implINS0_14default_configELb0EPKlPlSM_SN_N2at6native12_GLOBAL__N_18offset_tEEE10hipError_tPvRmT1_PNSt15iterator_traitsISV_E10value_typeET2_T3_PNSW_IS11_E10value_typeET4_jRbjT5_S17_jjP12ihipStream_tbEUljE_EEESS_ST_SU_S11_S15_S17_T6_T7_T9_mT8_S19_bDpT10_ENKUlT_T0_E_clISt17integral_constantIbLb0EES1L_IbLb1EEEEDaS1H_S1I_EUlS1H_E_NS1_11comp_targetILNS1_3genE8ELNS1_11target_archE1030ELNS1_3gpuE2ELNS1_3repE0EEENS1_30default_config_static_selectorELNS0_4arch9wavefront6targetE0EEEvSV_
	.p2align	8
	.type	_ZN7rocprim17ROCPRIM_400000_NS6detail17trampoline_kernelINS0_13select_configILj256ELj13ELNS0_17block_load_methodE3ELS4_3ELS4_3ELNS0_20block_scan_algorithmE0ELj4294967295EEENS1_25partition_config_selectorILNS1_17partition_subalgoE3EjNS0_10empty_typeEbEEZZNS1_14partition_implILS8_3ELb0ES6_jNS0_17counting_iteratorIjlEEPS9_SE_NS0_5tupleIJPjSE_EEENSF_IJSE_SE_EEES9_SG_JZNS1_25segmented_radix_sort_implINS0_14default_configELb0EPKlPlSM_SN_N2at6native12_GLOBAL__N_18offset_tEEE10hipError_tPvRmT1_PNSt15iterator_traitsISV_E10value_typeET2_T3_PNSW_IS11_E10value_typeET4_jRbjT5_S17_jjP12ihipStream_tbEUljE_EEESS_ST_SU_S11_S15_S17_T6_T7_T9_mT8_S19_bDpT10_ENKUlT_T0_E_clISt17integral_constantIbLb0EES1L_IbLb1EEEEDaS1H_S1I_EUlS1H_E_NS1_11comp_targetILNS1_3genE8ELNS1_11target_archE1030ELNS1_3gpuE2ELNS1_3repE0EEENS1_30default_config_static_selectorELNS0_4arch9wavefront6targetE0EEEvSV_,@function
_ZN7rocprim17ROCPRIM_400000_NS6detail17trampoline_kernelINS0_13select_configILj256ELj13ELNS0_17block_load_methodE3ELS4_3ELS4_3ELNS0_20block_scan_algorithmE0ELj4294967295EEENS1_25partition_config_selectorILNS1_17partition_subalgoE3EjNS0_10empty_typeEbEEZZNS1_14partition_implILS8_3ELb0ES6_jNS0_17counting_iteratorIjlEEPS9_SE_NS0_5tupleIJPjSE_EEENSF_IJSE_SE_EEES9_SG_JZNS1_25segmented_radix_sort_implINS0_14default_configELb0EPKlPlSM_SN_N2at6native12_GLOBAL__N_18offset_tEEE10hipError_tPvRmT1_PNSt15iterator_traitsISV_E10value_typeET2_T3_PNSW_IS11_E10value_typeET4_jRbjT5_S17_jjP12ihipStream_tbEUljE_EEESS_ST_SU_S11_S15_S17_T6_T7_T9_mT8_S19_bDpT10_ENKUlT_T0_E_clISt17integral_constantIbLb0EES1L_IbLb1EEEEDaS1H_S1I_EUlS1H_E_NS1_11comp_targetILNS1_3genE8ELNS1_11target_archE1030ELNS1_3gpuE2ELNS1_3repE0EEENS1_30default_config_static_selectorELNS0_4arch9wavefront6targetE0EEEvSV_: ; @_ZN7rocprim17ROCPRIM_400000_NS6detail17trampoline_kernelINS0_13select_configILj256ELj13ELNS0_17block_load_methodE3ELS4_3ELS4_3ELNS0_20block_scan_algorithmE0ELj4294967295EEENS1_25partition_config_selectorILNS1_17partition_subalgoE3EjNS0_10empty_typeEbEEZZNS1_14partition_implILS8_3ELb0ES6_jNS0_17counting_iteratorIjlEEPS9_SE_NS0_5tupleIJPjSE_EEENSF_IJSE_SE_EEES9_SG_JZNS1_25segmented_radix_sort_implINS0_14default_configELb0EPKlPlSM_SN_N2at6native12_GLOBAL__N_18offset_tEEE10hipError_tPvRmT1_PNSt15iterator_traitsISV_E10value_typeET2_T3_PNSW_IS11_E10value_typeET4_jRbjT5_S17_jjP12ihipStream_tbEUljE_EEESS_ST_SU_S11_S15_S17_T6_T7_T9_mT8_S19_bDpT10_ENKUlT_T0_E_clISt17integral_constantIbLb0EES1L_IbLb1EEEEDaS1H_S1I_EUlS1H_E_NS1_11comp_targetILNS1_3genE8ELNS1_11target_archE1030ELNS1_3gpuE2ELNS1_3repE0EEENS1_30default_config_static_selectorELNS0_4arch9wavefront6targetE0EEEvSV_
; %bb.0:
	.section	.rodata,"a",@progbits
	.p2align	6, 0x0
	.amdhsa_kernel _ZN7rocprim17ROCPRIM_400000_NS6detail17trampoline_kernelINS0_13select_configILj256ELj13ELNS0_17block_load_methodE3ELS4_3ELS4_3ELNS0_20block_scan_algorithmE0ELj4294967295EEENS1_25partition_config_selectorILNS1_17partition_subalgoE3EjNS0_10empty_typeEbEEZZNS1_14partition_implILS8_3ELb0ES6_jNS0_17counting_iteratorIjlEEPS9_SE_NS0_5tupleIJPjSE_EEENSF_IJSE_SE_EEES9_SG_JZNS1_25segmented_radix_sort_implINS0_14default_configELb0EPKlPlSM_SN_N2at6native12_GLOBAL__N_18offset_tEEE10hipError_tPvRmT1_PNSt15iterator_traitsISV_E10value_typeET2_T3_PNSW_IS11_E10value_typeET4_jRbjT5_S17_jjP12ihipStream_tbEUljE_EEESS_ST_SU_S11_S15_S17_T6_T7_T9_mT8_S19_bDpT10_ENKUlT_T0_E_clISt17integral_constantIbLb0EES1L_IbLb1EEEEDaS1H_S1I_EUlS1H_E_NS1_11comp_targetILNS1_3genE8ELNS1_11target_archE1030ELNS1_3gpuE2ELNS1_3repE0EEENS1_30default_config_static_selectorELNS0_4arch9wavefront6targetE0EEEvSV_
		.amdhsa_group_segment_fixed_size 0
		.amdhsa_private_segment_fixed_size 0
		.amdhsa_kernarg_size 152
		.amdhsa_user_sgpr_count 2
		.amdhsa_user_sgpr_dispatch_ptr 0
		.amdhsa_user_sgpr_queue_ptr 0
		.amdhsa_user_sgpr_kernarg_segment_ptr 1
		.amdhsa_user_sgpr_dispatch_id 0
		.amdhsa_user_sgpr_private_segment_size 0
		.amdhsa_wavefront_size32 1
		.amdhsa_uses_dynamic_stack 0
		.amdhsa_enable_private_segment 0
		.amdhsa_system_sgpr_workgroup_id_x 1
		.amdhsa_system_sgpr_workgroup_id_y 0
		.amdhsa_system_sgpr_workgroup_id_z 0
		.amdhsa_system_sgpr_workgroup_info 0
		.amdhsa_system_vgpr_workitem_id 0
		.amdhsa_next_free_vgpr 1
		.amdhsa_next_free_sgpr 1
		.amdhsa_reserve_vcc 0
		.amdhsa_float_round_mode_32 0
		.amdhsa_float_round_mode_16_64 0
		.amdhsa_float_denorm_mode_32 3
		.amdhsa_float_denorm_mode_16_64 3
		.amdhsa_fp16_overflow 0
		.amdhsa_workgroup_processor_mode 1
		.amdhsa_memory_ordered 1
		.amdhsa_forward_progress 1
		.amdhsa_inst_pref_size 0
		.amdhsa_round_robin_scheduling 0
		.amdhsa_exception_fp_ieee_invalid_op 0
		.amdhsa_exception_fp_denorm_src 0
		.amdhsa_exception_fp_ieee_div_zero 0
		.amdhsa_exception_fp_ieee_overflow 0
		.amdhsa_exception_fp_ieee_underflow 0
		.amdhsa_exception_fp_ieee_inexact 0
		.amdhsa_exception_int_div_zero 0
	.end_amdhsa_kernel
	.section	.text._ZN7rocprim17ROCPRIM_400000_NS6detail17trampoline_kernelINS0_13select_configILj256ELj13ELNS0_17block_load_methodE3ELS4_3ELS4_3ELNS0_20block_scan_algorithmE0ELj4294967295EEENS1_25partition_config_selectorILNS1_17partition_subalgoE3EjNS0_10empty_typeEbEEZZNS1_14partition_implILS8_3ELb0ES6_jNS0_17counting_iteratorIjlEEPS9_SE_NS0_5tupleIJPjSE_EEENSF_IJSE_SE_EEES9_SG_JZNS1_25segmented_radix_sort_implINS0_14default_configELb0EPKlPlSM_SN_N2at6native12_GLOBAL__N_18offset_tEEE10hipError_tPvRmT1_PNSt15iterator_traitsISV_E10value_typeET2_T3_PNSW_IS11_E10value_typeET4_jRbjT5_S17_jjP12ihipStream_tbEUljE_EEESS_ST_SU_S11_S15_S17_T6_T7_T9_mT8_S19_bDpT10_ENKUlT_T0_E_clISt17integral_constantIbLb0EES1L_IbLb1EEEEDaS1H_S1I_EUlS1H_E_NS1_11comp_targetILNS1_3genE8ELNS1_11target_archE1030ELNS1_3gpuE2ELNS1_3repE0EEENS1_30default_config_static_selectorELNS0_4arch9wavefront6targetE0EEEvSV_,"axG",@progbits,_ZN7rocprim17ROCPRIM_400000_NS6detail17trampoline_kernelINS0_13select_configILj256ELj13ELNS0_17block_load_methodE3ELS4_3ELS4_3ELNS0_20block_scan_algorithmE0ELj4294967295EEENS1_25partition_config_selectorILNS1_17partition_subalgoE3EjNS0_10empty_typeEbEEZZNS1_14partition_implILS8_3ELb0ES6_jNS0_17counting_iteratorIjlEEPS9_SE_NS0_5tupleIJPjSE_EEENSF_IJSE_SE_EEES9_SG_JZNS1_25segmented_radix_sort_implINS0_14default_configELb0EPKlPlSM_SN_N2at6native12_GLOBAL__N_18offset_tEEE10hipError_tPvRmT1_PNSt15iterator_traitsISV_E10value_typeET2_T3_PNSW_IS11_E10value_typeET4_jRbjT5_S17_jjP12ihipStream_tbEUljE_EEESS_ST_SU_S11_S15_S17_T6_T7_T9_mT8_S19_bDpT10_ENKUlT_T0_E_clISt17integral_constantIbLb0EES1L_IbLb1EEEEDaS1H_S1I_EUlS1H_E_NS1_11comp_targetILNS1_3genE8ELNS1_11target_archE1030ELNS1_3gpuE2ELNS1_3repE0EEENS1_30default_config_static_selectorELNS0_4arch9wavefront6targetE0EEEvSV_,comdat
.Lfunc_end806:
	.size	_ZN7rocprim17ROCPRIM_400000_NS6detail17trampoline_kernelINS0_13select_configILj256ELj13ELNS0_17block_load_methodE3ELS4_3ELS4_3ELNS0_20block_scan_algorithmE0ELj4294967295EEENS1_25partition_config_selectorILNS1_17partition_subalgoE3EjNS0_10empty_typeEbEEZZNS1_14partition_implILS8_3ELb0ES6_jNS0_17counting_iteratorIjlEEPS9_SE_NS0_5tupleIJPjSE_EEENSF_IJSE_SE_EEES9_SG_JZNS1_25segmented_radix_sort_implINS0_14default_configELb0EPKlPlSM_SN_N2at6native12_GLOBAL__N_18offset_tEEE10hipError_tPvRmT1_PNSt15iterator_traitsISV_E10value_typeET2_T3_PNSW_IS11_E10value_typeET4_jRbjT5_S17_jjP12ihipStream_tbEUljE_EEESS_ST_SU_S11_S15_S17_T6_T7_T9_mT8_S19_bDpT10_ENKUlT_T0_E_clISt17integral_constantIbLb0EES1L_IbLb1EEEEDaS1H_S1I_EUlS1H_E_NS1_11comp_targetILNS1_3genE8ELNS1_11target_archE1030ELNS1_3gpuE2ELNS1_3repE0EEENS1_30default_config_static_selectorELNS0_4arch9wavefront6targetE0EEEvSV_, .Lfunc_end806-_ZN7rocprim17ROCPRIM_400000_NS6detail17trampoline_kernelINS0_13select_configILj256ELj13ELNS0_17block_load_methodE3ELS4_3ELS4_3ELNS0_20block_scan_algorithmE0ELj4294967295EEENS1_25partition_config_selectorILNS1_17partition_subalgoE3EjNS0_10empty_typeEbEEZZNS1_14partition_implILS8_3ELb0ES6_jNS0_17counting_iteratorIjlEEPS9_SE_NS0_5tupleIJPjSE_EEENSF_IJSE_SE_EEES9_SG_JZNS1_25segmented_radix_sort_implINS0_14default_configELb0EPKlPlSM_SN_N2at6native12_GLOBAL__N_18offset_tEEE10hipError_tPvRmT1_PNSt15iterator_traitsISV_E10value_typeET2_T3_PNSW_IS11_E10value_typeET4_jRbjT5_S17_jjP12ihipStream_tbEUljE_EEESS_ST_SU_S11_S15_S17_T6_T7_T9_mT8_S19_bDpT10_ENKUlT_T0_E_clISt17integral_constantIbLb0EES1L_IbLb1EEEEDaS1H_S1I_EUlS1H_E_NS1_11comp_targetILNS1_3genE8ELNS1_11target_archE1030ELNS1_3gpuE2ELNS1_3repE0EEENS1_30default_config_static_selectorELNS0_4arch9wavefront6targetE0EEEvSV_
                                        ; -- End function
	.set _ZN7rocprim17ROCPRIM_400000_NS6detail17trampoline_kernelINS0_13select_configILj256ELj13ELNS0_17block_load_methodE3ELS4_3ELS4_3ELNS0_20block_scan_algorithmE0ELj4294967295EEENS1_25partition_config_selectorILNS1_17partition_subalgoE3EjNS0_10empty_typeEbEEZZNS1_14partition_implILS8_3ELb0ES6_jNS0_17counting_iteratorIjlEEPS9_SE_NS0_5tupleIJPjSE_EEENSF_IJSE_SE_EEES9_SG_JZNS1_25segmented_radix_sort_implINS0_14default_configELb0EPKlPlSM_SN_N2at6native12_GLOBAL__N_18offset_tEEE10hipError_tPvRmT1_PNSt15iterator_traitsISV_E10value_typeET2_T3_PNSW_IS11_E10value_typeET4_jRbjT5_S17_jjP12ihipStream_tbEUljE_EEESS_ST_SU_S11_S15_S17_T6_T7_T9_mT8_S19_bDpT10_ENKUlT_T0_E_clISt17integral_constantIbLb0EES1L_IbLb1EEEEDaS1H_S1I_EUlS1H_E_NS1_11comp_targetILNS1_3genE8ELNS1_11target_archE1030ELNS1_3gpuE2ELNS1_3repE0EEENS1_30default_config_static_selectorELNS0_4arch9wavefront6targetE0EEEvSV_.num_vgpr, 0
	.set _ZN7rocprim17ROCPRIM_400000_NS6detail17trampoline_kernelINS0_13select_configILj256ELj13ELNS0_17block_load_methodE3ELS4_3ELS4_3ELNS0_20block_scan_algorithmE0ELj4294967295EEENS1_25partition_config_selectorILNS1_17partition_subalgoE3EjNS0_10empty_typeEbEEZZNS1_14partition_implILS8_3ELb0ES6_jNS0_17counting_iteratorIjlEEPS9_SE_NS0_5tupleIJPjSE_EEENSF_IJSE_SE_EEES9_SG_JZNS1_25segmented_radix_sort_implINS0_14default_configELb0EPKlPlSM_SN_N2at6native12_GLOBAL__N_18offset_tEEE10hipError_tPvRmT1_PNSt15iterator_traitsISV_E10value_typeET2_T3_PNSW_IS11_E10value_typeET4_jRbjT5_S17_jjP12ihipStream_tbEUljE_EEESS_ST_SU_S11_S15_S17_T6_T7_T9_mT8_S19_bDpT10_ENKUlT_T0_E_clISt17integral_constantIbLb0EES1L_IbLb1EEEEDaS1H_S1I_EUlS1H_E_NS1_11comp_targetILNS1_3genE8ELNS1_11target_archE1030ELNS1_3gpuE2ELNS1_3repE0EEENS1_30default_config_static_selectorELNS0_4arch9wavefront6targetE0EEEvSV_.num_agpr, 0
	.set _ZN7rocprim17ROCPRIM_400000_NS6detail17trampoline_kernelINS0_13select_configILj256ELj13ELNS0_17block_load_methodE3ELS4_3ELS4_3ELNS0_20block_scan_algorithmE0ELj4294967295EEENS1_25partition_config_selectorILNS1_17partition_subalgoE3EjNS0_10empty_typeEbEEZZNS1_14partition_implILS8_3ELb0ES6_jNS0_17counting_iteratorIjlEEPS9_SE_NS0_5tupleIJPjSE_EEENSF_IJSE_SE_EEES9_SG_JZNS1_25segmented_radix_sort_implINS0_14default_configELb0EPKlPlSM_SN_N2at6native12_GLOBAL__N_18offset_tEEE10hipError_tPvRmT1_PNSt15iterator_traitsISV_E10value_typeET2_T3_PNSW_IS11_E10value_typeET4_jRbjT5_S17_jjP12ihipStream_tbEUljE_EEESS_ST_SU_S11_S15_S17_T6_T7_T9_mT8_S19_bDpT10_ENKUlT_T0_E_clISt17integral_constantIbLb0EES1L_IbLb1EEEEDaS1H_S1I_EUlS1H_E_NS1_11comp_targetILNS1_3genE8ELNS1_11target_archE1030ELNS1_3gpuE2ELNS1_3repE0EEENS1_30default_config_static_selectorELNS0_4arch9wavefront6targetE0EEEvSV_.numbered_sgpr, 0
	.set _ZN7rocprim17ROCPRIM_400000_NS6detail17trampoline_kernelINS0_13select_configILj256ELj13ELNS0_17block_load_methodE3ELS4_3ELS4_3ELNS0_20block_scan_algorithmE0ELj4294967295EEENS1_25partition_config_selectorILNS1_17partition_subalgoE3EjNS0_10empty_typeEbEEZZNS1_14partition_implILS8_3ELb0ES6_jNS0_17counting_iteratorIjlEEPS9_SE_NS0_5tupleIJPjSE_EEENSF_IJSE_SE_EEES9_SG_JZNS1_25segmented_radix_sort_implINS0_14default_configELb0EPKlPlSM_SN_N2at6native12_GLOBAL__N_18offset_tEEE10hipError_tPvRmT1_PNSt15iterator_traitsISV_E10value_typeET2_T3_PNSW_IS11_E10value_typeET4_jRbjT5_S17_jjP12ihipStream_tbEUljE_EEESS_ST_SU_S11_S15_S17_T6_T7_T9_mT8_S19_bDpT10_ENKUlT_T0_E_clISt17integral_constantIbLb0EES1L_IbLb1EEEEDaS1H_S1I_EUlS1H_E_NS1_11comp_targetILNS1_3genE8ELNS1_11target_archE1030ELNS1_3gpuE2ELNS1_3repE0EEENS1_30default_config_static_selectorELNS0_4arch9wavefront6targetE0EEEvSV_.num_named_barrier, 0
	.set _ZN7rocprim17ROCPRIM_400000_NS6detail17trampoline_kernelINS0_13select_configILj256ELj13ELNS0_17block_load_methodE3ELS4_3ELS4_3ELNS0_20block_scan_algorithmE0ELj4294967295EEENS1_25partition_config_selectorILNS1_17partition_subalgoE3EjNS0_10empty_typeEbEEZZNS1_14partition_implILS8_3ELb0ES6_jNS0_17counting_iteratorIjlEEPS9_SE_NS0_5tupleIJPjSE_EEENSF_IJSE_SE_EEES9_SG_JZNS1_25segmented_radix_sort_implINS0_14default_configELb0EPKlPlSM_SN_N2at6native12_GLOBAL__N_18offset_tEEE10hipError_tPvRmT1_PNSt15iterator_traitsISV_E10value_typeET2_T3_PNSW_IS11_E10value_typeET4_jRbjT5_S17_jjP12ihipStream_tbEUljE_EEESS_ST_SU_S11_S15_S17_T6_T7_T9_mT8_S19_bDpT10_ENKUlT_T0_E_clISt17integral_constantIbLb0EES1L_IbLb1EEEEDaS1H_S1I_EUlS1H_E_NS1_11comp_targetILNS1_3genE8ELNS1_11target_archE1030ELNS1_3gpuE2ELNS1_3repE0EEENS1_30default_config_static_selectorELNS0_4arch9wavefront6targetE0EEEvSV_.private_seg_size, 0
	.set _ZN7rocprim17ROCPRIM_400000_NS6detail17trampoline_kernelINS0_13select_configILj256ELj13ELNS0_17block_load_methodE3ELS4_3ELS4_3ELNS0_20block_scan_algorithmE0ELj4294967295EEENS1_25partition_config_selectorILNS1_17partition_subalgoE3EjNS0_10empty_typeEbEEZZNS1_14partition_implILS8_3ELb0ES6_jNS0_17counting_iteratorIjlEEPS9_SE_NS0_5tupleIJPjSE_EEENSF_IJSE_SE_EEES9_SG_JZNS1_25segmented_radix_sort_implINS0_14default_configELb0EPKlPlSM_SN_N2at6native12_GLOBAL__N_18offset_tEEE10hipError_tPvRmT1_PNSt15iterator_traitsISV_E10value_typeET2_T3_PNSW_IS11_E10value_typeET4_jRbjT5_S17_jjP12ihipStream_tbEUljE_EEESS_ST_SU_S11_S15_S17_T6_T7_T9_mT8_S19_bDpT10_ENKUlT_T0_E_clISt17integral_constantIbLb0EES1L_IbLb1EEEEDaS1H_S1I_EUlS1H_E_NS1_11comp_targetILNS1_3genE8ELNS1_11target_archE1030ELNS1_3gpuE2ELNS1_3repE0EEENS1_30default_config_static_selectorELNS0_4arch9wavefront6targetE0EEEvSV_.uses_vcc, 0
	.set _ZN7rocprim17ROCPRIM_400000_NS6detail17trampoline_kernelINS0_13select_configILj256ELj13ELNS0_17block_load_methodE3ELS4_3ELS4_3ELNS0_20block_scan_algorithmE0ELj4294967295EEENS1_25partition_config_selectorILNS1_17partition_subalgoE3EjNS0_10empty_typeEbEEZZNS1_14partition_implILS8_3ELb0ES6_jNS0_17counting_iteratorIjlEEPS9_SE_NS0_5tupleIJPjSE_EEENSF_IJSE_SE_EEES9_SG_JZNS1_25segmented_radix_sort_implINS0_14default_configELb0EPKlPlSM_SN_N2at6native12_GLOBAL__N_18offset_tEEE10hipError_tPvRmT1_PNSt15iterator_traitsISV_E10value_typeET2_T3_PNSW_IS11_E10value_typeET4_jRbjT5_S17_jjP12ihipStream_tbEUljE_EEESS_ST_SU_S11_S15_S17_T6_T7_T9_mT8_S19_bDpT10_ENKUlT_T0_E_clISt17integral_constantIbLb0EES1L_IbLb1EEEEDaS1H_S1I_EUlS1H_E_NS1_11comp_targetILNS1_3genE8ELNS1_11target_archE1030ELNS1_3gpuE2ELNS1_3repE0EEENS1_30default_config_static_selectorELNS0_4arch9wavefront6targetE0EEEvSV_.uses_flat_scratch, 0
	.set _ZN7rocprim17ROCPRIM_400000_NS6detail17trampoline_kernelINS0_13select_configILj256ELj13ELNS0_17block_load_methodE3ELS4_3ELS4_3ELNS0_20block_scan_algorithmE0ELj4294967295EEENS1_25partition_config_selectorILNS1_17partition_subalgoE3EjNS0_10empty_typeEbEEZZNS1_14partition_implILS8_3ELb0ES6_jNS0_17counting_iteratorIjlEEPS9_SE_NS0_5tupleIJPjSE_EEENSF_IJSE_SE_EEES9_SG_JZNS1_25segmented_radix_sort_implINS0_14default_configELb0EPKlPlSM_SN_N2at6native12_GLOBAL__N_18offset_tEEE10hipError_tPvRmT1_PNSt15iterator_traitsISV_E10value_typeET2_T3_PNSW_IS11_E10value_typeET4_jRbjT5_S17_jjP12ihipStream_tbEUljE_EEESS_ST_SU_S11_S15_S17_T6_T7_T9_mT8_S19_bDpT10_ENKUlT_T0_E_clISt17integral_constantIbLb0EES1L_IbLb1EEEEDaS1H_S1I_EUlS1H_E_NS1_11comp_targetILNS1_3genE8ELNS1_11target_archE1030ELNS1_3gpuE2ELNS1_3repE0EEENS1_30default_config_static_selectorELNS0_4arch9wavefront6targetE0EEEvSV_.has_dyn_sized_stack, 0
	.set _ZN7rocprim17ROCPRIM_400000_NS6detail17trampoline_kernelINS0_13select_configILj256ELj13ELNS0_17block_load_methodE3ELS4_3ELS4_3ELNS0_20block_scan_algorithmE0ELj4294967295EEENS1_25partition_config_selectorILNS1_17partition_subalgoE3EjNS0_10empty_typeEbEEZZNS1_14partition_implILS8_3ELb0ES6_jNS0_17counting_iteratorIjlEEPS9_SE_NS0_5tupleIJPjSE_EEENSF_IJSE_SE_EEES9_SG_JZNS1_25segmented_radix_sort_implINS0_14default_configELb0EPKlPlSM_SN_N2at6native12_GLOBAL__N_18offset_tEEE10hipError_tPvRmT1_PNSt15iterator_traitsISV_E10value_typeET2_T3_PNSW_IS11_E10value_typeET4_jRbjT5_S17_jjP12ihipStream_tbEUljE_EEESS_ST_SU_S11_S15_S17_T6_T7_T9_mT8_S19_bDpT10_ENKUlT_T0_E_clISt17integral_constantIbLb0EES1L_IbLb1EEEEDaS1H_S1I_EUlS1H_E_NS1_11comp_targetILNS1_3genE8ELNS1_11target_archE1030ELNS1_3gpuE2ELNS1_3repE0EEENS1_30default_config_static_selectorELNS0_4arch9wavefront6targetE0EEEvSV_.has_recursion, 0
	.set _ZN7rocprim17ROCPRIM_400000_NS6detail17trampoline_kernelINS0_13select_configILj256ELj13ELNS0_17block_load_methodE3ELS4_3ELS4_3ELNS0_20block_scan_algorithmE0ELj4294967295EEENS1_25partition_config_selectorILNS1_17partition_subalgoE3EjNS0_10empty_typeEbEEZZNS1_14partition_implILS8_3ELb0ES6_jNS0_17counting_iteratorIjlEEPS9_SE_NS0_5tupleIJPjSE_EEENSF_IJSE_SE_EEES9_SG_JZNS1_25segmented_radix_sort_implINS0_14default_configELb0EPKlPlSM_SN_N2at6native12_GLOBAL__N_18offset_tEEE10hipError_tPvRmT1_PNSt15iterator_traitsISV_E10value_typeET2_T3_PNSW_IS11_E10value_typeET4_jRbjT5_S17_jjP12ihipStream_tbEUljE_EEESS_ST_SU_S11_S15_S17_T6_T7_T9_mT8_S19_bDpT10_ENKUlT_T0_E_clISt17integral_constantIbLb0EES1L_IbLb1EEEEDaS1H_S1I_EUlS1H_E_NS1_11comp_targetILNS1_3genE8ELNS1_11target_archE1030ELNS1_3gpuE2ELNS1_3repE0EEENS1_30default_config_static_selectorELNS0_4arch9wavefront6targetE0EEEvSV_.has_indirect_call, 0
	.section	.AMDGPU.csdata,"",@progbits
; Kernel info:
; codeLenInByte = 0
; TotalNumSgprs: 0
; NumVgprs: 0
; ScratchSize: 0
; MemoryBound: 0
; FloatMode: 240
; IeeeMode: 1
; LDSByteSize: 0 bytes/workgroup (compile time only)
; SGPRBlocks: 0
; VGPRBlocks: 0
; NumSGPRsForWavesPerEU: 1
; NumVGPRsForWavesPerEU: 1
; Occupancy: 16
; WaveLimiterHint : 0
; COMPUTE_PGM_RSRC2:SCRATCH_EN: 0
; COMPUTE_PGM_RSRC2:USER_SGPR: 2
; COMPUTE_PGM_RSRC2:TRAP_HANDLER: 0
; COMPUTE_PGM_RSRC2:TGID_X_EN: 1
; COMPUTE_PGM_RSRC2:TGID_Y_EN: 0
; COMPUTE_PGM_RSRC2:TGID_Z_EN: 0
; COMPUTE_PGM_RSRC2:TIDIG_COMP_CNT: 0
	.section	.text._ZN7rocprim17ROCPRIM_400000_NS6detail17trampoline_kernelINS0_14default_configENS1_36segmented_radix_sort_config_selectorIllEEZNS1_25segmented_radix_sort_implIS3_Lb0EPKlPlS8_S9_N2at6native12_GLOBAL__N_18offset_tEEE10hipError_tPvRmT1_PNSt15iterator_traitsISH_E10value_typeET2_T3_PNSI_ISN_E10value_typeET4_jRbjT5_ST_jjP12ihipStream_tbEUlT_E_NS1_11comp_targetILNS1_3genE0ELNS1_11target_archE4294967295ELNS1_3gpuE0ELNS1_3repE0EEENS1_30default_config_static_selectorELNS0_4arch9wavefront6targetE0EEEvSH_,"axG",@progbits,_ZN7rocprim17ROCPRIM_400000_NS6detail17trampoline_kernelINS0_14default_configENS1_36segmented_radix_sort_config_selectorIllEEZNS1_25segmented_radix_sort_implIS3_Lb0EPKlPlS8_S9_N2at6native12_GLOBAL__N_18offset_tEEE10hipError_tPvRmT1_PNSt15iterator_traitsISH_E10value_typeET2_T3_PNSI_ISN_E10value_typeET4_jRbjT5_ST_jjP12ihipStream_tbEUlT_E_NS1_11comp_targetILNS1_3genE0ELNS1_11target_archE4294967295ELNS1_3gpuE0ELNS1_3repE0EEENS1_30default_config_static_selectorELNS0_4arch9wavefront6targetE0EEEvSH_,comdat
	.globl	_ZN7rocprim17ROCPRIM_400000_NS6detail17trampoline_kernelINS0_14default_configENS1_36segmented_radix_sort_config_selectorIllEEZNS1_25segmented_radix_sort_implIS3_Lb0EPKlPlS8_S9_N2at6native12_GLOBAL__N_18offset_tEEE10hipError_tPvRmT1_PNSt15iterator_traitsISH_E10value_typeET2_T3_PNSI_ISN_E10value_typeET4_jRbjT5_ST_jjP12ihipStream_tbEUlT_E_NS1_11comp_targetILNS1_3genE0ELNS1_11target_archE4294967295ELNS1_3gpuE0ELNS1_3repE0EEENS1_30default_config_static_selectorELNS0_4arch9wavefront6targetE0EEEvSH_ ; -- Begin function _ZN7rocprim17ROCPRIM_400000_NS6detail17trampoline_kernelINS0_14default_configENS1_36segmented_radix_sort_config_selectorIllEEZNS1_25segmented_radix_sort_implIS3_Lb0EPKlPlS8_S9_N2at6native12_GLOBAL__N_18offset_tEEE10hipError_tPvRmT1_PNSt15iterator_traitsISH_E10value_typeET2_T3_PNSI_ISN_E10value_typeET4_jRbjT5_ST_jjP12ihipStream_tbEUlT_E_NS1_11comp_targetILNS1_3genE0ELNS1_11target_archE4294967295ELNS1_3gpuE0ELNS1_3repE0EEENS1_30default_config_static_selectorELNS0_4arch9wavefront6targetE0EEEvSH_
	.p2align	8
	.type	_ZN7rocprim17ROCPRIM_400000_NS6detail17trampoline_kernelINS0_14default_configENS1_36segmented_radix_sort_config_selectorIllEEZNS1_25segmented_radix_sort_implIS3_Lb0EPKlPlS8_S9_N2at6native12_GLOBAL__N_18offset_tEEE10hipError_tPvRmT1_PNSt15iterator_traitsISH_E10value_typeET2_T3_PNSI_ISN_E10value_typeET4_jRbjT5_ST_jjP12ihipStream_tbEUlT_E_NS1_11comp_targetILNS1_3genE0ELNS1_11target_archE4294967295ELNS1_3gpuE0ELNS1_3repE0EEENS1_30default_config_static_selectorELNS0_4arch9wavefront6targetE0EEEvSH_,@function
_ZN7rocprim17ROCPRIM_400000_NS6detail17trampoline_kernelINS0_14default_configENS1_36segmented_radix_sort_config_selectorIllEEZNS1_25segmented_radix_sort_implIS3_Lb0EPKlPlS8_S9_N2at6native12_GLOBAL__N_18offset_tEEE10hipError_tPvRmT1_PNSt15iterator_traitsISH_E10value_typeET2_T3_PNSI_ISN_E10value_typeET4_jRbjT5_ST_jjP12ihipStream_tbEUlT_E_NS1_11comp_targetILNS1_3genE0ELNS1_11target_archE4294967295ELNS1_3gpuE0ELNS1_3repE0EEENS1_30default_config_static_selectorELNS0_4arch9wavefront6targetE0EEEvSH_: ; @_ZN7rocprim17ROCPRIM_400000_NS6detail17trampoline_kernelINS0_14default_configENS1_36segmented_radix_sort_config_selectorIllEEZNS1_25segmented_radix_sort_implIS3_Lb0EPKlPlS8_S9_N2at6native12_GLOBAL__N_18offset_tEEE10hipError_tPvRmT1_PNSt15iterator_traitsISH_E10value_typeET2_T3_PNSI_ISN_E10value_typeET4_jRbjT5_ST_jjP12ihipStream_tbEUlT_E_NS1_11comp_targetILNS1_3genE0ELNS1_11target_archE4294967295ELNS1_3gpuE0ELNS1_3repE0EEENS1_30default_config_static_selectorELNS0_4arch9wavefront6targetE0EEEvSH_
; %bb.0:
	.section	.rodata,"a",@progbits
	.p2align	6, 0x0
	.amdhsa_kernel _ZN7rocprim17ROCPRIM_400000_NS6detail17trampoline_kernelINS0_14default_configENS1_36segmented_radix_sort_config_selectorIllEEZNS1_25segmented_radix_sort_implIS3_Lb0EPKlPlS8_S9_N2at6native12_GLOBAL__N_18offset_tEEE10hipError_tPvRmT1_PNSt15iterator_traitsISH_E10value_typeET2_T3_PNSI_ISN_E10value_typeET4_jRbjT5_ST_jjP12ihipStream_tbEUlT_E_NS1_11comp_targetILNS1_3genE0ELNS1_11target_archE4294967295ELNS1_3gpuE0ELNS1_3repE0EEENS1_30default_config_static_selectorELNS0_4arch9wavefront6targetE0EEEvSH_
		.amdhsa_group_segment_fixed_size 0
		.amdhsa_private_segment_fixed_size 0
		.amdhsa_kernarg_size 96
		.amdhsa_user_sgpr_count 2
		.amdhsa_user_sgpr_dispatch_ptr 0
		.amdhsa_user_sgpr_queue_ptr 0
		.amdhsa_user_sgpr_kernarg_segment_ptr 1
		.amdhsa_user_sgpr_dispatch_id 0
		.amdhsa_user_sgpr_private_segment_size 0
		.amdhsa_wavefront_size32 1
		.amdhsa_uses_dynamic_stack 0
		.amdhsa_enable_private_segment 0
		.amdhsa_system_sgpr_workgroup_id_x 1
		.amdhsa_system_sgpr_workgroup_id_y 0
		.amdhsa_system_sgpr_workgroup_id_z 0
		.amdhsa_system_sgpr_workgroup_info 0
		.amdhsa_system_vgpr_workitem_id 0
		.amdhsa_next_free_vgpr 1
		.amdhsa_next_free_sgpr 1
		.amdhsa_reserve_vcc 0
		.amdhsa_float_round_mode_32 0
		.amdhsa_float_round_mode_16_64 0
		.amdhsa_float_denorm_mode_32 3
		.amdhsa_float_denorm_mode_16_64 3
		.amdhsa_fp16_overflow 0
		.amdhsa_workgroup_processor_mode 1
		.amdhsa_memory_ordered 1
		.amdhsa_forward_progress 1
		.amdhsa_inst_pref_size 0
		.amdhsa_round_robin_scheduling 0
		.amdhsa_exception_fp_ieee_invalid_op 0
		.amdhsa_exception_fp_denorm_src 0
		.amdhsa_exception_fp_ieee_div_zero 0
		.amdhsa_exception_fp_ieee_overflow 0
		.amdhsa_exception_fp_ieee_underflow 0
		.amdhsa_exception_fp_ieee_inexact 0
		.amdhsa_exception_int_div_zero 0
	.end_amdhsa_kernel
	.section	.text._ZN7rocprim17ROCPRIM_400000_NS6detail17trampoline_kernelINS0_14default_configENS1_36segmented_radix_sort_config_selectorIllEEZNS1_25segmented_radix_sort_implIS3_Lb0EPKlPlS8_S9_N2at6native12_GLOBAL__N_18offset_tEEE10hipError_tPvRmT1_PNSt15iterator_traitsISH_E10value_typeET2_T3_PNSI_ISN_E10value_typeET4_jRbjT5_ST_jjP12ihipStream_tbEUlT_E_NS1_11comp_targetILNS1_3genE0ELNS1_11target_archE4294967295ELNS1_3gpuE0ELNS1_3repE0EEENS1_30default_config_static_selectorELNS0_4arch9wavefront6targetE0EEEvSH_,"axG",@progbits,_ZN7rocprim17ROCPRIM_400000_NS6detail17trampoline_kernelINS0_14default_configENS1_36segmented_radix_sort_config_selectorIllEEZNS1_25segmented_radix_sort_implIS3_Lb0EPKlPlS8_S9_N2at6native12_GLOBAL__N_18offset_tEEE10hipError_tPvRmT1_PNSt15iterator_traitsISH_E10value_typeET2_T3_PNSI_ISN_E10value_typeET4_jRbjT5_ST_jjP12ihipStream_tbEUlT_E_NS1_11comp_targetILNS1_3genE0ELNS1_11target_archE4294967295ELNS1_3gpuE0ELNS1_3repE0EEENS1_30default_config_static_selectorELNS0_4arch9wavefront6targetE0EEEvSH_,comdat
.Lfunc_end807:
	.size	_ZN7rocprim17ROCPRIM_400000_NS6detail17trampoline_kernelINS0_14default_configENS1_36segmented_radix_sort_config_selectorIllEEZNS1_25segmented_radix_sort_implIS3_Lb0EPKlPlS8_S9_N2at6native12_GLOBAL__N_18offset_tEEE10hipError_tPvRmT1_PNSt15iterator_traitsISH_E10value_typeET2_T3_PNSI_ISN_E10value_typeET4_jRbjT5_ST_jjP12ihipStream_tbEUlT_E_NS1_11comp_targetILNS1_3genE0ELNS1_11target_archE4294967295ELNS1_3gpuE0ELNS1_3repE0EEENS1_30default_config_static_selectorELNS0_4arch9wavefront6targetE0EEEvSH_, .Lfunc_end807-_ZN7rocprim17ROCPRIM_400000_NS6detail17trampoline_kernelINS0_14default_configENS1_36segmented_radix_sort_config_selectorIllEEZNS1_25segmented_radix_sort_implIS3_Lb0EPKlPlS8_S9_N2at6native12_GLOBAL__N_18offset_tEEE10hipError_tPvRmT1_PNSt15iterator_traitsISH_E10value_typeET2_T3_PNSI_ISN_E10value_typeET4_jRbjT5_ST_jjP12ihipStream_tbEUlT_E_NS1_11comp_targetILNS1_3genE0ELNS1_11target_archE4294967295ELNS1_3gpuE0ELNS1_3repE0EEENS1_30default_config_static_selectorELNS0_4arch9wavefront6targetE0EEEvSH_
                                        ; -- End function
	.set _ZN7rocprim17ROCPRIM_400000_NS6detail17trampoline_kernelINS0_14default_configENS1_36segmented_radix_sort_config_selectorIllEEZNS1_25segmented_radix_sort_implIS3_Lb0EPKlPlS8_S9_N2at6native12_GLOBAL__N_18offset_tEEE10hipError_tPvRmT1_PNSt15iterator_traitsISH_E10value_typeET2_T3_PNSI_ISN_E10value_typeET4_jRbjT5_ST_jjP12ihipStream_tbEUlT_E_NS1_11comp_targetILNS1_3genE0ELNS1_11target_archE4294967295ELNS1_3gpuE0ELNS1_3repE0EEENS1_30default_config_static_selectorELNS0_4arch9wavefront6targetE0EEEvSH_.num_vgpr, 0
	.set _ZN7rocprim17ROCPRIM_400000_NS6detail17trampoline_kernelINS0_14default_configENS1_36segmented_radix_sort_config_selectorIllEEZNS1_25segmented_radix_sort_implIS3_Lb0EPKlPlS8_S9_N2at6native12_GLOBAL__N_18offset_tEEE10hipError_tPvRmT1_PNSt15iterator_traitsISH_E10value_typeET2_T3_PNSI_ISN_E10value_typeET4_jRbjT5_ST_jjP12ihipStream_tbEUlT_E_NS1_11comp_targetILNS1_3genE0ELNS1_11target_archE4294967295ELNS1_3gpuE0ELNS1_3repE0EEENS1_30default_config_static_selectorELNS0_4arch9wavefront6targetE0EEEvSH_.num_agpr, 0
	.set _ZN7rocprim17ROCPRIM_400000_NS6detail17trampoline_kernelINS0_14default_configENS1_36segmented_radix_sort_config_selectorIllEEZNS1_25segmented_radix_sort_implIS3_Lb0EPKlPlS8_S9_N2at6native12_GLOBAL__N_18offset_tEEE10hipError_tPvRmT1_PNSt15iterator_traitsISH_E10value_typeET2_T3_PNSI_ISN_E10value_typeET4_jRbjT5_ST_jjP12ihipStream_tbEUlT_E_NS1_11comp_targetILNS1_3genE0ELNS1_11target_archE4294967295ELNS1_3gpuE0ELNS1_3repE0EEENS1_30default_config_static_selectorELNS0_4arch9wavefront6targetE0EEEvSH_.numbered_sgpr, 0
	.set _ZN7rocprim17ROCPRIM_400000_NS6detail17trampoline_kernelINS0_14default_configENS1_36segmented_radix_sort_config_selectorIllEEZNS1_25segmented_radix_sort_implIS3_Lb0EPKlPlS8_S9_N2at6native12_GLOBAL__N_18offset_tEEE10hipError_tPvRmT1_PNSt15iterator_traitsISH_E10value_typeET2_T3_PNSI_ISN_E10value_typeET4_jRbjT5_ST_jjP12ihipStream_tbEUlT_E_NS1_11comp_targetILNS1_3genE0ELNS1_11target_archE4294967295ELNS1_3gpuE0ELNS1_3repE0EEENS1_30default_config_static_selectorELNS0_4arch9wavefront6targetE0EEEvSH_.num_named_barrier, 0
	.set _ZN7rocprim17ROCPRIM_400000_NS6detail17trampoline_kernelINS0_14default_configENS1_36segmented_radix_sort_config_selectorIllEEZNS1_25segmented_radix_sort_implIS3_Lb0EPKlPlS8_S9_N2at6native12_GLOBAL__N_18offset_tEEE10hipError_tPvRmT1_PNSt15iterator_traitsISH_E10value_typeET2_T3_PNSI_ISN_E10value_typeET4_jRbjT5_ST_jjP12ihipStream_tbEUlT_E_NS1_11comp_targetILNS1_3genE0ELNS1_11target_archE4294967295ELNS1_3gpuE0ELNS1_3repE0EEENS1_30default_config_static_selectorELNS0_4arch9wavefront6targetE0EEEvSH_.private_seg_size, 0
	.set _ZN7rocprim17ROCPRIM_400000_NS6detail17trampoline_kernelINS0_14default_configENS1_36segmented_radix_sort_config_selectorIllEEZNS1_25segmented_radix_sort_implIS3_Lb0EPKlPlS8_S9_N2at6native12_GLOBAL__N_18offset_tEEE10hipError_tPvRmT1_PNSt15iterator_traitsISH_E10value_typeET2_T3_PNSI_ISN_E10value_typeET4_jRbjT5_ST_jjP12ihipStream_tbEUlT_E_NS1_11comp_targetILNS1_3genE0ELNS1_11target_archE4294967295ELNS1_3gpuE0ELNS1_3repE0EEENS1_30default_config_static_selectorELNS0_4arch9wavefront6targetE0EEEvSH_.uses_vcc, 0
	.set _ZN7rocprim17ROCPRIM_400000_NS6detail17trampoline_kernelINS0_14default_configENS1_36segmented_radix_sort_config_selectorIllEEZNS1_25segmented_radix_sort_implIS3_Lb0EPKlPlS8_S9_N2at6native12_GLOBAL__N_18offset_tEEE10hipError_tPvRmT1_PNSt15iterator_traitsISH_E10value_typeET2_T3_PNSI_ISN_E10value_typeET4_jRbjT5_ST_jjP12ihipStream_tbEUlT_E_NS1_11comp_targetILNS1_3genE0ELNS1_11target_archE4294967295ELNS1_3gpuE0ELNS1_3repE0EEENS1_30default_config_static_selectorELNS0_4arch9wavefront6targetE0EEEvSH_.uses_flat_scratch, 0
	.set _ZN7rocprim17ROCPRIM_400000_NS6detail17trampoline_kernelINS0_14default_configENS1_36segmented_radix_sort_config_selectorIllEEZNS1_25segmented_radix_sort_implIS3_Lb0EPKlPlS8_S9_N2at6native12_GLOBAL__N_18offset_tEEE10hipError_tPvRmT1_PNSt15iterator_traitsISH_E10value_typeET2_T3_PNSI_ISN_E10value_typeET4_jRbjT5_ST_jjP12ihipStream_tbEUlT_E_NS1_11comp_targetILNS1_3genE0ELNS1_11target_archE4294967295ELNS1_3gpuE0ELNS1_3repE0EEENS1_30default_config_static_selectorELNS0_4arch9wavefront6targetE0EEEvSH_.has_dyn_sized_stack, 0
	.set _ZN7rocprim17ROCPRIM_400000_NS6detail17trampoline_kernelINS0_14default_configENS1_36segmented_radix_sort_config_selectorIllEEZNS1_25segmented_radix_sort_implIS3_Lb0EPKlPlS8_S9_N2at6native12_GLOBAL__N_18offset_tEEE10hipError_tPvRmT1_PNSt15iterator_traitsISH_E10value_typeET2_T3_PNSI_ISN_E10value_typeET4_jRbjT5_ST_jjP12ihipStream_tbEUlT_E_NS1_11comp_targetILNS1_3genE0ELNS1_11target_archE4294967295ELNS1_3gpuE0ELNS1_3repE0EEENS1_30default_config_static_selectorELNS0_4arch9wavefront6targetE0EEEvSH_.has_recursion, 0
	.set _ZN7rocprim17ROCPRIM_400000_NS6detail17trampoline_kernelINS0_14default_configENS1_36segmented_radix_sort_config_selectorIllEEZNS1_25segmented_radix_sort_implIS3_Lb0EPKlPlS8_S9_N2at6native12_GLOBAL__N_18offset_tEEE10hipError_tPvRmT1_PNSt15iterator_traitsISH_E10value_typeET2_T3_PNSI_ISN_E10value_typeET4_jRbjT5_ST_jjP12ihipStream_tbEUlT_E_NS1_11comp_targetILNS1_3genE0ELNS1_11target_archE4294967295ELNS1_3gpuE0ELNS1_3repE0EEENS1_30default_config_static_selectorELNS0_4arch9wavefront6targetE0EEEvSH_.has_indirect_call, 0
	.section	.AMDGPU.csdata,"",@progbits
; Kernel info:
; codeLenInByte = 0
; TotalNumSgprs: 0
; NumVgprs: 0
; ScratchSize: 0
; MemoryBound: 0
; FloatMode: 240
; IeeeMode: 1
; LDSByteSize: 0 bytes/workgroup (compile time only)
; SGPRBlocks: 0
; VGPRBlocks: 0
; NumSGPRsForWavesPerEU: 1
; NumVGPRsForWavesPerEU: 1
; Occupancy: 16
; WaveLimiterHint : 0
; COMPUTE_PGM_RSRC2:SCRATCH_EN: 0
; COMPUTE_PGM_RSRC2:USER_SGPR: 2
; COMPUTE_PGM_RSRC2:TRAP_HANDLER: 0
; COMPUTE_PGM_RSRC2:TGID_X_EN: 1
; COMPUTE_PGM_RSRC2:TGID_Y_EN: 0
; COMPUTE_PGM_RSRC2:TGID_Z_EN: 0
; COMPUTE_PGM_RSRC2:TIDIG_COMP_CNT: 0
	.section	.text._ZN7rocprim17ROCPRIM_400000_NS6detail17trampoline_kernelINS0_14default_configENS1_36segmented_radix_sort_config_selectorIllEEZNS1_25segmented_radix_sort_implIS3_Lb0EPKlPlS8_S9_N2at6native12_GLOBAL__N_18offset_tEEE10hipError_tPvRmT1_PNSt15iterator_traitsISH_E10value_typeET2_T3_PNSI_ISN_E10value_typeET4_jRbjT5_ST_jjP12ihipStream_tbEUlT_E_NS1_11comp_targetILNS1_3genE5ELNS1_11target_archE942ELNS1_3gpuE9ELNS1_3repE0EEENS1_30default_config_static_selectorELNS0_4arch9wavefront6targetE0EEEvSH_,"axG",@progbits,_ZN7rocprim17ROCPRIM_400000_NS6detail17trampoline_kernelINS0_14default_configENS1_36segmented_radix_sort_config_selectorIllEEZNS1_25segmented_radix_sort_implIS3_Lb0EPKlPlS8_S9_N2at6native12_GLOBAL__N_18offset_tEEE10hipError_tPvRmT1_PNSt15iterator_traitsISH_E10value_typeET2_T3_PNSI_ISN_E10value_typeET4_jRbjT5_ST_jjP12ihipStream_tbEUlT_E_NS1_11comp_targetILNS1_3genE5ELNS1_11target_archE942ELNS1_3gpuE9ELNS1_3repE0EEENS1_30default_config_static_selectorELNS0_4arch9wavefront6targetE0EEEvSH_,comdat
	.globl	_ZN7rocprim17ROCPRIM_400000_NS6detail17trampoline_kernelINS0_14default_configENS1_36segmented_radix_sort_config_selectorIllEEZNS1_25segmented_radix_sort_implIS3_Lb0EPKlPlS8_S9_N2at6native12_GLOBAL__N_18offset_tEEE10hipError_tPvRmT1_PNSt15iterator_traitsISH_E10value_typeET2_T3_PNSI_ISN_E10value_typeET4_jRbjT5_ST_jjP12ihipStream_tbEUlT_E_NS1_11comp_targetILNS1_3genE5ELNS1_11target_archE942ELNS1_3gpuE9ELNS1_3repE0EEENS1_30default_config_static_selectorELNS0_4arch9wavefront6targetE0EEEvSH_ ; -- Begin function _ZN7rocprim17ROCPRIM_400000_NS6detail17trampoline_kernelINS0_14default_configENS1_36segmented_radix_sort_config_selectorIllEEZNS1_25segmented_radix_sort_implIS3_Lb0EPKlPlS8_S9_N2at6native12_GLOBAL__N_18offset_tEEE10hipError_tPvRmT1_PNSt15iterator_traitsISH_E10value_typeET2_T3_PNSI_ISN_E10value_typeET4_jRbjT5_ST_jjP12ihipStream_tbEUlT_E_NS1_11comp_targetILNS1_3genE5ELNS1_11target_archE942ELNS1_3gpuE9ELNS1_3repE0EEENS1_30default_config_static_selectorELNS0_4arch9wavefront6targetE0EEEvSH_
	.p2align	8
	.type	_ZN7rocprim17ROCPRIM_400000_NS6detail17trampoline_kernelINS0_14default_configENS1_36segmented_radix_sort_config_selectorIllEEZNS1_25segmented_radix_sort_implIS3_Lb0EPKlPlS8_S9_N2at6native12_GLOBAL__N_18offset_tEEE10hipError_tPvRmT1_PNSt15iterator_traitsISH_E10value_typeET2_T3_PNSI_ISN_E10value_typeET4_jRbjT5_ST_jjP12ihipStream_tbEUlT_E_NS1_11comp_targetILNS1_3genE5ELNS1_11target_archE942ELNS1_3gpuE9ELNS1_3repE0EEENS1_30default_config_static_selectorELNS0_4arch9wavefront6targetE0EEEvSH_,@function
_ZN7rocprim17ROCPRIM_400000_NS6detail17trampoline_kernelINS0_14default_configENS1_36segmented_radix_sort_config_selectorIllEEZNS1_25segmented_radix_sort_implIS3_Lb0EPKlPlS8_S9_N2at6native12_GLOBAL__N_18offset_tEEE10hipError_tPvRmT1_PNSt15iterator_traitsISH_E10value_typeET2_T3_PNSI_ISN_E10value_typeET4_jRbjT5_ST_jjP12ihipStream_tbEUlT_E_NS1_11comp_targetILNS1_3genE5ELNS1_11target_archE942ELNS1_3gpuE9ELNS1_3repE0EEENS1_30default_config_static_selectorELNS0_4arch9wavefront6targetE0EEEvSH_: ; @_ZN7rocprim17ROCPRIM_400000_NS6detail17trampoline_kernelINS0_14default_configENS1_36segmented_radix_sort_config_selectorIllEEZNS1_25segmented_radix_sort_implIS3_Lb0EPKlPlS8_S9_N2at6native12_GLOBAL__N_18offset_tEEE10hipError_tPvRmT1_PNSt15iterator_traitsISH_E10value_typeET2_T3_PNSI_ISN_E10value_typeET4_jRbjT5_ST_jjP12ihipStream_tbEUlT_E_NS1_11comp_targetILNS1_3genE5ELNS1_11target_archE942ELNS1_3gpuE9ELNS1_3repE0EEENS1_30default_config_static_selectorELNS0_4arch9wavefront6targetE0EEEvSH_
; %bb.0:
	.section	.rodata,"a",@progbits
	.p2align	6, 0x0
	.amdhsa_kernel _ZN7rocprim17ROCPRIM_400000_NS6detail17trampoline_kernelINS0_14default_configENS1_36segmented_radix_sort_config_selectorIllEEZNS1_25segmented_radix_sort_implIS3_Lb0EPKlPlS8_S9_N2at6native12_GLOBAL__N_18offset_tEEE10hipError_tPvRmT1_PNSt15iterator_traitsISH_E10value_typeET2_T3_PNSI_ISN_E10value_typeET4_jRbjT5_ST_jjP12ihipStream_tbEUlT_E_NS1_11comp_targetILNS1_3genE5ELNS1_11target_archE942ELNS1_3gpuE9ELNS1_3repE0EEENS1_30default_config_static_selectorELNS0_4arch9wavefront6targetE0EEEvSH_
		.amdhsa_group_segment_fixed_size 0
		.amdhsa_private_segment_fixed_size 0
		.amdhsa_kernarg_size 96
		.amdhsa_user_sgpr_count 2
		.amdhsa_user_sgpr_dispatch_ptr 0
		.amdhsa_user_sgpr_queue_ptr 0
		.amdhsa_user_sgpr_kernarg_segment_ptr 1
		.amdhsa_user_sgpr_dispatch_id 0
		.amdhsa_user_sgpr_private_segment_size 0
		.amdhsa_wavefront_size32 1
		.amdhsa_uses_dynamic_stack 0
		.amdhsa_enable_private_segment 0
		.amdhsa_system_sgpr_workgroup_id_x 1
		.amdhsa_system_sgpr_workgroup_id_y 0
		.amdhsa_system_sgpr_workgroup_id_z 0
		.amdhsa_system_sgpr_workgroup_info 0
		.amdhsa_system_vgpr_workitem_id 0
		.amdhsa_next_free_vgpr 1
		.amdhsa_next_free_sgpr 1
		.amdhsa_reserve_vcc 0
		.amdhsa_float_round_mode_32 0
		.amdhsa_float_round_mode_16_64 0
		.amdhsa_float_denorm_mode_32 3
		.amdhsa_float_denorm_mode_16_64 3
		.amdhsa_fp16_overflow 0
		.amdhsa_workgroup_processor_mode 1
		.amdhsa_memory_ordered 1
		.amdhsa_forward_progress 1
		.amdhsa_inst_pref_size 0
		.amdhsa_round_robin_scheduling 0
		.amdhsa_exception_fp_ieee_invalid_op 0
		.amdhsa_exception_fp_denorm_src 0
		.amdhsa_exception_fp_ieee_div_zero 0
		.amdhsa_exception_fp_ieee_overflow 0
		.amdhsa_exception_fp_ieee_underflow 0
		.amdhsa_exception_fp_ieee_inexact 0
		.amdhsa_exception_int_div_zero 0
	.end_amdhsa_kernel
	.section	.text._ZN7rocprim17ROCPRIM_400000_NS6detail17trampoline_kernelINS0_14default_configENS1_36segmented_radix_sort_config_selectorIllEEZNS1_25segmented_radix_sort_implIS3_Lb0EPKlPlS8_S9_N2at6native12_GLOBAL__N_18offset_tEEE10hipError_tPvRmT1_PNSt15iterator_traitsISH_E10value_typeET2_T3_PNSI_ISN_E10value_typeET4_jRbjT5_ST_jjP12ihipStream_tbEUlT_E_NS1_11comp_targetILNS1_3genE5ELNS1_11target_archE942ELNS1_3gpuE9ELNS1_3repE0EEENS1_30default_config_static_selectorELNS0_4arch9wavefront6targetE0EEEvSH_,"axG",@progbits,_ZN7rocprim17ROCPRIM_400000_NS6detail17trampoline_kernelINS0_14default_configENS1_36segmented_radix_sort_config_selectorIllEEZNS1_25segmented_radix_sort_implIS3_Lb0EPKlPlS8_S9_N2at6native12_GLOBAL__N_18offset_tEEE10hipError_tPvRmT1_PNSt15iterator_traitsISH_E10value_typeET2_T3_PNSI_ISN_E10value_typeET4_jRbjT5_ST_jjP12ihipStream_tbEUlT_E_NS1_11comp_targetILNS1_3genE5ELNS1_11target_archE942ELNS1_3gpuE9ELNS1_3repE0EEENS1_30default_config_static_selectorELNS0_4arch9wavefront6targetE0EEEvSH_,comdat
.Lfunc_end808:
	.size	_ZN7rocprim17ROCPRIM_400000_NS6detail17trampoline_kernelINS0_14default_configENS1_36segmented_radix_sort_config_selectorIllEEZNS1_25segmented_radix_sort_implIS3_Lb0EPKlPlS8_S9_N2at6native12_GLOBAL__N_18offset_tEEE10hipError_tPvRmT1_PNSt15iterator_traitsISH_E10value_typeET2_T3_PNSI_ISN_E10value_typeET4_jRbjT5_ST_jjP12ihipStream_tbEUlT_E_NS1_11comp_targetILNS1_3genE5ELNS1_11target_archE942ELNS1_3gpuE9ELNS1_3repE0EEENS1_30default_config_static_selectorELNS0_4arch9wavefront6targetE0EEEvSH_, .Lfunc_end808-_ZN7rocprim17ROCPRIM_400000_NS6detail17trampoline_kernelINS0_14default_configENS1_36segmented_radix_sort_config_selectorIllEEZNS1_25segmented_radix_sort_implIS3_Lb0EPKlPlS8_S9_N2at6native12_GLOBAL__N_18offset_tEEE10hipError_tPvRmT1_PNSt15iterator_traitsISH_E10value_typeET2_T3_PNSI_ISN_E10value_typeET4_jRbjT5_ST_jjP12ihipStream_tbEUlT_E_NS1_11comp_targetILNS1_3genE5ELNS1_11target_archE942ELNS1_3gpuE9ELNS1_3repE0EEENS1_30default_config_static_selectorELNS0_4arch9wavefront6targetE0EEEvSH_
                                        ; -- End function
	.set _ZN7rocprim17ROCPRIM_400000_NS6detail17trampoline_kernelINS0_14default_configENS1_36segmented_radix_sort_config_selectorIllEEZNS1_25segmented_radix_sort_implIS3_Lb0EPKlPlS8_S9_N2at6native12_GLOBAL__N_18offset_tEEE10hipError_tPvRmT1_PNSt15iterator_traitsISH_E10value_typeET2_T3_PNSI_ISN_E10value_typeET4_jRbjT5_ST_jjP12ihipStream_tbEUlT_E_NS1_11comp_targetILNS1_3genE5ELNS1_11target_archE942ELNS1_3gpuE9ELNS1_3repE0EEENS1_30default_config_static_selectorELNS0_4arch9wavefront6targetE0EEEvSH_.num_vgpr, 0
	.set _ZN7rocprim17ROCPRIM_400000_NS6detail17trampoline_kernelINS0_14default_configENS1_36segmented_radix_sort_config_selectorIllEEZNS1_25segmented_radix_sort_implIS3_Lb0EPKlPlS8_S9_N2at6native12_GLOBAL__N_18offset_tEEE10hipError_tPvRmT1_PNSt15iterator_traitsISH_E10value_typeET2_T3_PNSI_ISN_E10value_typeET4_jRbjT5_ST_jjP12ihipStream_tbEUlT_E_NS1_11comp_targetILNS1_3genE5ELNS1_11target_archE942ELNS1_3gpuE9ELNS1_3repE0EEENS1_30default_config_static_selectorELNS0_4arch9wavefront6targetE0EEEvSH_.num_agpr, 0
	.set _ZN7rocprim17ROCPRIM_400000_NS6detail17trampoline_kernelINS0_14default_configENS1_36segmented_radix_sort_config_selectorIllEEZNS1_25segmented_radix_sort_implIS3_Lb0EPKlPlS8_S9_N2at6native12_GLOBAL__N_18offset_tEEE10hipError_tPvRmT1_PNSt15iterator_traitsISH_E10value_typeET2_T3_PNSI_ISN_E10value_typeET4_jRbjT5_ST_jjP12ihipStream_tbEUlT_E_NS1_11comp_targetILNS1_3genE5ELNS1_11target_archE942ELNS1_3gpuE9ELNS1_3repE0EEENS1_30default_config_static_selectorELNS0_4arch9wavefront6targetE0EEEvSH_.numbered_sgpr, 0
	.set _ZN7rocprim17ROCPRIM_400000_NS6detail17trampoline_kernelINS0_14default_configENS1_36segmented_radix_sort_config_selectorIllEEZNS1_25segmented_radix_sort_implIS3_Lb0EPKlPlS8_S9_N2at6native12_GLOBAL__N_18offset_tEEE10hipError_tPvRmT1_PNSt15iterator_traitsISH_E10value_typeET2_T3_PNSI_ISN_E10value_typeET4_jRbjT5_ST_jjP12ihipStream_tbEUlT_E_NS1_11comp_targetILNS1_3genE5ELNS1_11target_archE942ELNS1_3gpuE9ELNS1_3repE0EEENS1_30default_config_static_selectorELNS0_4arch9wavefront6targetE0EEEvSH_.num_named_barrier, 0
	.set _ZN7rocprim17ROCPRIM_400000_NS6detail17trampoline_kernelINS0_14default_configENS1_36segmented_radix_sort_config_selectorIllEEZNS1_25segmented_radix_sort_implIS3_Lb0EPKlPlS8_S9_N2at6native12_GLOBAL__N_18offset_tEEE10hipError_tPvRmT1_PNSt15iterator_traitsISH_E10value_typeET2_T3_PNSI_ISN_E10value_typeET4_jRbjT5_ST_jjP12ihipStream_tbEUlT_E_NS1_11comp_targetILNS1_3genE5ELNS1_11target_archE942ELNS1_3gpuE9ELNS1_3repE0EEENS1_30default_config_static_selectorELNS0_4arch9wavefront6targetE0EEEvSH_.private_seg_size, 0
	.set _ZN7rocprim17ROCPRIM_400000_NS6detail17trampoline_kernelINS0_14default_configENS1_36segmented_radix_sort_config_selectorIllEEZNS1_25segmented_radix_sort_implIS3_Lb0EPKlPlS8_S9_N2at6native12_GLOBAL__N_18offset_tEEE10hipError_tPvRmT1_PNSt15iterator_traitsISH_E10value_typeET2_T3_PNSI_ISN_E10value_typeET4_jRbjT5_ST_jjP12ihipStream_tbEUlT_E_NS1_11comp_targetILNS1_3genE5ELNS1_11target_archE942ELNS1_3gpuE9ELNS1_3repE0EEENS1_30default_config_static_selectorELNS0_4arch9wavefront6targetE0EEEvSH_.uses_vcc, 0
	.set _ZN7rocprim17ROCPRIM_400000_NS6detail17trampoline_kernelINS0_14default_configENS1_36segmented_radix_sort_config_selectorIllEEZNS1_25segmented_radix_sort_implIS3_Lb0EPKlPlS8_S9_N2at6native12_GLOBAL__N_18offset_tEEE10hipError_tPvRmT1_PNSt15iterator_traitsISH_E10value_typeET2_T3_PNSI_ISN_E10value_typeET4_jRbjT5_ST_jjP12ihipStream_tbEUlT_E_NS1_11comp_targetILNS1_3genE5ELNS1_11target_archE942ELNS1_3gpuE9ELNS1_3repE0EEENS1_30default_config_static_selectorELNS0_4arch9wavefront6targetE0EEEvSH_.uses_flat_scratch, 0
	.set _ZN7rocprim17ROCPRIM_400000_NS6detail17trampoline_kernelINS0_14default_configENS1_36segmented_radix_sort_config_selectorIllEEZNS1_25segmented_radix_sort_implIS3_Lb0EPKlPlS8_S9_N2at6native12_GLOBAL__N_18offset_tEEE10hipError_tPvRmT1_PNSt15iterator_traitsISH_E10value_typeET2_T3_PNSI_ISN_E10value_typeET4_jRbjT5_ST_jjP12ihipStream_tbEUlT_E_NS1_11comp_targetILNS1_3genE5ELNS1_11target_archE942ELNS1_3gpuE9ELNS1_3repE0EEENS1_30default_config_static_selectorELNS0_4arch9wavefront6targetE0EEEvSH_.has_dyn_sized_stack, 0
	.set _ZN7rocprim17ROCPRIM_400000_NS6detail17trampoline_kernelINS0_14default_configENS1_36segmented_radix_sort_config_selectorIllEEZNS1_25segmented_radix_sort_implIS3_Lb0EPKlPlS8_S9_N2at6native12_GLOBAL__N_18offset_tEEE10hipError_tPvRmT1_PNSt15iterator_traitsISH_E10value_typeET2_T3_PNSI_ISN_E10value_typeET4_jRbjT5_ST_jjP12ihipStream_tbEUlT_E_NS1_11comp_targetILNS1_3genE5ELNS1_11target_archE942ELNS1_3gpuE9ELNS1_3repE0EEENS1_30default_config_static_selectorELNS0_4arch9wavefront6targetE0EEEvSH_.has_recursion, 0
	.set _ZN7rocprim17ROCPRIM_400000_NS6detail17trampoline_kernelINS0_14default_configENS1_36segmented_radix_sort_config_selectorIllEEZNS1_25segmented_radix_sort_implIS3_Lb0EPKlPlS8_S9_N2at6native12_GLOBAL__N_18offset_tEEE10hipError_tPvRmT1_PNSt15iterator_traitsISH_E10value_typeET2_T3_PNSI_ISN_E10value_typeET4_jRbjT5_ST_jjP12ihipStream_tbEUlT_E_NS1_11comp_targetILNS1_3genE5ELNS1_11target_archE942ELNS1_3gpuE9ELNS1_3repE0EEENS1_30default_config_static_selectorELNS0_4arch9wavefront6targetE0EEEvSH_.has_indirect_call, 0
	.section	.AMDGPU.csdata,"",@progbits
; Kernel info:
; codeLenInByte = 0
; TotalNumSgprs: 0
; NumVgprs: 0
; ScratchSize: 0
; MemoryBound: 0
; FloatMode: 240
; IeeeMode: 1
; LDSByteSize: 0 bytes/workgroup (compile time only)
; SGPRBlocks: 0
; VGPRBlocks: 0
; NumSGPRsForWavesPerEU: 1
; NumVGPRsForWavesPerEU: 1
; Occupancy: 16
; WaveLimiterHint : 0
; COMPUTE_PGM_RSRC2:SCRATCH_EN: 0
; COMPUTE_PGM_RSRC2:USER_SGPR: 2
; COMPUTE_PGM_RSRC2:TRAP_HANDLER: 0
; COMPUTE_PGM_RSRC2:TGID_X_EN: 1
; COMPUTE_PGM_RSRC2:TGID_Y_EN: 0
; COMPUTE_PGM_RSRC2:TGID_Z_EN: 0
; COMPUTE_PGM_RSRC2:TIDIG_COMP_CNT: 0
	.section	.text._ZN7rocprim17ROCPRIM_400000_NS6detail17trampoline_kernelINS0_14default_configENS1_36segmented_radix_sort_config_selectorIllEEZNS1_25segmented_radix_sort_implIS3_Lb0EPKlPlS8_S9_N2at6native12_GLOBAL__N_18offset_tEEE10hipError_tPvRmT1_PNSt15iterator_traitsISH_E10value_typeET2_T3_PNSI_ISN_E10value_typeET4_jRbjT5_ST_jjP12ihipStream_tbEUlT_E_NS1_11comp_targetILNS1_3genE4ELNS1_11target_archE910ELNS1_3gpuE8ELNS1_3repE0EEENS1_30default_config_static_selectorELNS0_4arch9wavefront6targetE0EEEvSH_,"axG",@progbits,_ZN7rocprim17ROCPRIM_400000_NS6detail17trampoline_kernelINS0_14default_configENS1_36segmented_radix_sort_config_selectorIllEEZNS1_25segmented_radix_sort_implIS3_Lb0EPKlPlS8_S9_N2at6native12_GLOBAL__N_18offset_tEEE10hipError_tPvRmT1_PNSt15iterator_traitsISH_E10value_typeET2_T3_PNSI_ISN_E10value_typeET4_jRbjT5_ST_jjP12ihipStream_tbEUlT_E_NS1_11comp_targetILNS1_3genE4ELNS1_11target_archE910ELNS1_3gpuE8ELNS1_3repE0EEENS1_30default_config_static_selectorELNS0_4arch9wavefront6targetE0EEEvSH_,comdat
	.globl	_ZN7rocprim17ROCPRIM_400000_NS6detail17trampoline_kernelINS0_14default_configENS1_36segmented_radix_sort_config_selectorIllEEZNS1_25segmented_radix_sort_implIS3_Lb0EPKlPlS8_S9_N2at6native12_GLOBAL__N_18offset_tEEE10hipError_tPvRmT1_PNSt15iterator_traitsISH_E10value_typeET2_T3_PNSI_ISN_E10value_typeET4_jRbjT5_ST_jjP12ihipStream_tbEUlT_E_NS1_11comp_targetILNS1_3genE4ELNS1_11target_archE910ELNS1_3gpuE8ELNS1_3repE0EEENS1_30default_config_static_selectorELNS0_4arch9wavefront6targetE0EEEvSH_ ; -- Begin function _ZN7rocprim17ROCPRIM_400000_NS6detail17trampoline_kernelINS0_14default_configENS1_36segmented_radix_sort_config_selectorIllEEZNS1_25segmented_radix_sort_implIS3_Lb0EPKlPlS8_S9_N2at6native12_GLOBAL__N_18offset_tEEE10hipError_tPvRmT1_PNSt15iterator_traitsISH_E10value_typeET2_T3_PNSI_ISN_E10value_typeET4_jRbjT5_ST_jjP12ihipStream_tbEUlT_E_NS1_11comp_targetILNS1_3genE4ELNS1_11target_archE910ELNS1_3gpuE8ELNS1_3repE0EEENS1_30default_config_static_selectorELNS0_4arch9wavefront6targetE0EEEvSH_
	.p2align	8
	.type	_ZN7rocprim17ROCPRIM_400000_NS6detail17trampoline_kernelINS0_14default_configENS1_36segmented_radix_sort_config_selectorIllEEZNS1_25segmented_radix_sort_implIS3_Lb0EPKlPlS8_S9_N2at6native12_GLOBAL__N_18offset_tEEE10hipError_tPvRmT1_PNSt15iterator_traitsISH_E10value_typeET2_T3_PNSI_ISN_E10value_typeET4_jRbjT5_ST_jjP12ihipStream_tbEUlT_E_NS1_11comp_targetILNS1_3genE4ELNS1_11target_archE910ELNS1_3gpuE8ELNS1_3repE0EEENS1_30default_config_static_selectorELNS0_4arch9wavefront6targetE0EEEvSH_,@function
_ZN7rocprim17ROCPRIM_400000_NS6detail17trampoline_kernelINS0_14default_configENS1_36segmented_radix_sort_config_selectorIllEEZNS1_25segmented_radix_sort_implIS3_Lb0EPKlPlS8_S9_N2at6native12_GLOBAL__N_18offset_tEEE10hipError_tPvRmT1_PNSt15iterator_traitsISH_E10value_typeET2_T3_PNSI_ISN_E10value_typeET4_jRbjT5_ST_jjP12ihipStream_tbEUlT_E_NS1_11comp_targetILNS1_3genE4ELNS1_11target_archE910ELNS1_3gpuE8ELNS1_3repE0EEENS1_30default_config_static_selectorELNS0_4arch9wavefront6targetE0EEEvSH_: ; @_ZN7rocprim17ROCPRIM_400000_NS6detail17trampoline_kernelINS0_14default_configENS1_36segmented_radix_sort_config_selectorIllEEZNS1_25segmented_radix_sort_implIS3_Lb0EPKlPlS8_S9_N2at6native12_GLOBAL__N_18offset_tEEE10hipError_tPvRmT1_PNSt15iterator_traitsISH_E10value_typeET2_T3_PNSI_ISN_E10value_typeET4_jRbjT5_ST_jjP12ihipStream_tbEUlT_E_NS1_11comp_targetILNS1_3genE4ELNS1_11target_archE910ELNS1_3gpuE8ELNS1_3repE0EEENS1_30default_config_static_selectorELNS0_4arch9wavefront6targetE0EEEvSH_
; %bb.0:
	.section	.rodata,"a",@progbits
	.p2align	6, 0x0
	.amdhsa_kernel _ZN7rocprim17ROCPRIM_400000_NS6detail17trampoline_kernelINS0_14default_configENS1_36segmented_radix_sort_config_selectorIllEEZNS1_25segmented_radix_sort_implIS3_Lb0EPKlPlS8_S9_N2at6native12_GLOBAL__N_18offset_tEEE10hipError_tPvRmT1_PNSt15iterator_traitsISH_E10value_typeET2_T3_PNSI_ISN_E10value_typeET4_jRbjT5_ST_jjP12ihipStream_tbEUlT_E_NS1_11comp_targetILNS1_3genE4ELNS1_11target_archE910ELNS1_3gpuE8ELNS1_3repE0EEENS1_30default_config_static_selectorELNS0_4arch9wavefront6targetE0EEEvSH_
		.amdhsa_group_segment_fixed_size 0
		.amdhsa_private_segment_fixed_size 0
		.amdhsa_kernarg_size 96
		.amdhsa_user_sgpr_count 2
		.amdhsa_user_sgpr_dispatch_ptr 0
		.amdhsa_user_sgpr_queue_ptr 0
		.amdhsa_user_sgpr_kernarg_segment_ptr 1
		.amdhsa_user_sgpr_dispatch_id 0
		.amdhsa_user_sgpr_private_segment_size 0
		.amdhsa_wavefront_size32 1
		.amdhsa_uses_dynamic_stack 0
		.amdhsa_enable_private_segment 0
		.amdhsa_system_sgpr_workgroup_id_x 1
		.amdhsa_system_sgpr_workgroup_id_y 0
		.amdhsa_system_sgpr_workgroup_id_z 0
		.amdhsa_system_sgpr_workgroup_info 0
		.amdhsa_system_vgpr_workitem_id 0
		.amdhsa_next_free_vgpr 1
		.amdhsa_next_free_sgpr 1
		.amdhsa_reserve_vcc 0
		.amdhsa_float_round_mode_32 0
		.amdhsa_float_round_mode_16_64 0
		.amdhsa_float_denorm_mode_32 3
		.amdhsa_float_denorm_mode_16_64 3
		.amdhsa_fp16_overflow 0
		.amdhsa_workgroup_processor_mode 1
		.amdhsa_memory_ordered 1
		.amdhsa_forward_progress 1
		.amdhsa_inst_pref_size 0
		.amdhsa_round_robin_scheduling 0
		.amdhsa_exception_fp_ieee_invalid_op 0
		.amdhsa_exception_fp_denorm_src 0
		.amdhsa_exception_fp_ieee_div_zero 0
		.amdhsa_exception_fp_ieee_overflow 0
		.amdhsa_exception_fp_ieee_underflow 0
		.amdhsa_exception_fp_ieee_inexact 0
		.amdhsa_exception_int_div_zero 0
	.end_amdhsa_kernel
	.section	.text._ZN7rocprim17ROCPRIM_400000_NS6detail17trampoline_kernelINS0_14default_configENS1_36segmented_radix_sort_config_selectorIllEEZNS1_25segmented_radix_sort_implIS3_Lb0EPKlPlS8_S9_N2at6native12_GLOBAL__N_18offset_tEEE10hipError_tPvRmT1_PNSt15iterator_traitsISH_E10value_typeET2_T3_PNSI_ISN_E10value_typeET4_jRbjT5_ST_jjP12ihipStream_tbEUlT_E_NS1_11comp_targetILNS1_3genE4ELNS1_11target_archE910ELNS1_3gpuE8ELNS1_3repE0EEENS1_30default_config_static_selectorELNS0_4arch9wavefront6targetE0EEEvSH_,"axG",@progbits,_ZN7rocprim17ROCPRIM_400000_NS6detail17trampoline_kernelINS0_14default_configENS1_36segmented_radix_sort_config_selectorIllEEZNS1_25segmented_radix_sort_implIS3_Lb0EPKlPlS8_S9_N2at6native12_GLOBAL__N_18offset_tEEE10hipError_tPvRmT1_PNSt15iterator_traitsISH_E10value_typeET2_T3_PNSI_ISN_E10value_typeET4_jRbjT5_ST_jjP12ihipStream_tbEUlT_E_NS1_11comp_targetILNS1_3genE4ELNS1_11target_archE910ELNS1_3gpuE8ELNS1_3repE0EEENS1_30default_config_static_selectorELNS0_4arch9wavefront6targetE0EEEvSH_,comdat
.Lfunc_end809:
	.size	_ZN7rocprim17ROCPRIM_400000_NS6detail17trampoline_kernelINS0_14default_configENS1_36segmented_radix_sort_config_selectorIllEEZNS1_25segmented_radix_sort_implIS3_Lb0EPKlPlS8_S9_N2at6native12_GLOBAL__N_18offset_tEEE10hipError_tPvRmT1_PNSt15iterator_traitsISH_E10value_typeET2_T3_PNSI_ISN_E10value_typeET4_jRbjT5_ST_jjP12ihipStream_tbEUlT_E_NS1_11comp_targetILNS1_3genE4ELNS1_11target_archE910ELNS1_3gpuE8ELNS1_3repE0EEENS1_30default_config_static_selectorELNS0_4arch9wavefront6targetE0EEEvSH_, .Lfunc_end809-_ZN7rocprim17ROCPRIM_400000_NS6detail17trampoline_kernelINS0_14default_configENS1_36segmented_radix_sort_config_selectorIllEEZNS1_25segmented_radix_sort_implIS3_Lb0EPKlPlS8_S9_N2at6native12_GLOBAL__N_18offset_tEEE10hipError_tPvRmT1_PNSt15iterator_traitsISH_E10value_typeET2_T3_PNSI_ISN_E10value_typeET4_jRbjT5_ST_jjP12ihipStream_tbEUlT_E_NS1_11comp_targetILNS1_3genE4ELNS1_11target_archE910ELNS1_3gpuE8ELNS1_3repE0EEENS1_30default_config_static_selectorELNS0_4arch9wavefront6targetE0EEEvSH_
                                        ; -- End function
	.set _ZN7rocprim17ROCPRIM_400000_NS6detail17trampoline_kernelINS0_14default_configENS1_36segmented_radix_sort_config_selectorIllEEZNS1_25segmented_radix_sort_implIS3_Lb0EPKlPlS8_S9_N2at6native12_GLOBAL__N_18offset_tEEE10hipError_tPvRmT1_PNSt15iterator_traitsISH_E10value_typeET2_T3_PNSI_ISN_E10value_typeET4_jRbjT5_ST_jjP12ihipStream_tbEUlT_E_NS1_11comp_targetILNS1_3genE4ELNS1_11target_archE910ELNS1_3gpuE8ELNS1_3repE0EEENS1_30default_config_static_selectorELNS0_4arch9wavefront6targetE0EEEvSH_.num_vgpr, 0
	.set _ZN7rocprim17ROCPRIM_400000_NS6detail17trampoline_kernelINS0_14default_configENS1_36segmented_radix_sort_config_selectorIllEEZNS1_25segmented_radix_sort_implIS3_Lb0EPKlPlS8_S9_N2at6native12_GLOBAL__N_18offset_tEEE10hipError_tPvRmT1_PNSt15iterator_traitsISH_E10value_typeET2_T3_PNSI_ISN_E10value_typeET4_jRbjT5_ST_jjP12ihipStream_tbEUlT_E_NS1_11comp_targetILNS1_3genE4ELNS1_11target_archE910ELNS1_3gpuE8ELNS1_3repE0EEENS1_30default_config_static_selectorELNS0_4arch9wavefront6targetE0EEEvSH_.num_agpr, 0
	.set _ZN7rocprim17ROCPRIM_400000_NS6detail17trampoline_kernelINS0_14default_configENS1_36segmented_radix_sort_config_selectorIllEEZNS1_25segmented_radix_sort_implIS3_Lb0EPKlPlS8_S9_N2at6native12_GLOBAL__N_18offset_tEEE10hipError_tPvRmT1_PNSt15iterator_traitsISH_E10value_typeET2_T3_PNSI_ISN_E10value_typeET4_jRbjT5_ST_jjP12ihipStream_tbEUlT_E_NS1_11comp_targetILNS1_3genE4ELNS1_11target_archE910ELNS1_3gpuE8ELNS1_3repE0EEENS1_30default_config_static_selectorELNS0_4arch9wavefront6targetE0EEEvSH_.numbered_sgpr, 0
	.set _ZN7rocprim17ROCPRIM_400000_NS6detail17trampoline_kernelINS0_14default_configENS1_36segmented_radix_sort_config_selectorIllEEZNS1_25segmented_radix_sort_implIS3_Lb0EPKlPlS8_S9_N2at6native12_GLOBAL__N_18offset_tEEE10hipError_tPvRmT1_PNSt15iterator_traitsISH_E10value_typeET2_T3_PNSI_ISN_E10value_typeET4_jRbjT5_ST_jjP12ihipStream_tbEUlT_E_NS1_11comp_targetILNS1_3genE4ELNS1_11target_archE910ELNS1_3gpuE8ELNS1_3repE0EEENS1_30default_config_static_selectorELNS0_4arch9wavefront6targetE0EEEvSH_.num_named_barrier, 0
	.set _ZN7rocprim17ROCPRIM_400000_NS6detail17trampoline_kernelINS0_14default_configENS1_36segmented_radix_sort_config_selectorIllEEZNS1_25segmented_radix_sort_implIS3_Lb0EPKlPlS8_S9_N2at6native12_GLOBAL__N_18offset_tEEE10hipError_tPvRmT1_PNSt15iterator_traitsISH_E10value_typeET2_T3_PNSI_ISN_E10value_typeET4_jRbjT5_ST_jjP12ihipStream_tbEUlT_E_NS1_11comp_targetILNS1_3genE4ELNS1_11target_archE910ELNS1_3gpuE8ELNS1_3repE0EEENS1_30default_config_static_selectorELNS0_4arch9wavefront6targetE0EEEvSH_.private_seg_size, 0
	.set _ZN7rocprim17ROCPRIM_400000_NS6detail17trampoline_kernelINS0_14default_configENS1_36segmented_radix_sort_config_selectorIllEEZNS1_25segmented_radix_sort_implIS3_Lb0EPKlPlS8_S9_N2at6native12_GLOBAL__N_18offset_tEEE10hipError_tPvRmT1_PNSt15iterator_traitsISH_E10value_typeET2_T3_PNSI_ISN_E10value_typeET4_jRbjT5_ST_jjP12ihipStream_tbEUlT_E_NS1_11comp_targetILNS1_3genE4ELNS1_11target_archE910ELNS1_3gpuE8ELNS1_3repE0EEENS1_30default_config_static_selectorELNS0_4arch9wavefront6targetE0EEEvSH_.uses_vcc, 0
	.set _ZN7rocprim17ROCPRIM_400000_NS6detail17trampoline_kernelINS0_14default_configENS1_36segmented_radix_sort_config_selectorIllEEZNS1_25segmented_radix_sort_implIS3_Lb0EPKlPlS8_S9_N2at6native12_GLOBAL__N_18offset_tEEE10hipError_tPvRmT1_PNSt15iterator_traitsISH_E10value_typeET2_T3_PNSI_ISN_E10value_typeET4_jRbjT5_ST_jjP12ihipStream_tbEUlT_E_NS1_11comp_targetILNS1_3genE4ELNS1_11target_archE910ELNS1_3gpuE8ELNS1_3repE0EEENS1_30default_config_static_selectorELNS0_4arch9wavefront6targetE0EEEvSH_.uses_flat_scratch, 0
	.set _ZN7rocprim17ROCPRIM_400000_NS6detail17trampoline_kernelINS0_14default_configENS1_36segmented_radix_sort_config_selectorIllEEZNS1_25segmented_radix_sort_implIS3_Lb0EPKlPlS8_S9_N2at6native12_GLOBAL__N_18offset_tEEE10hipError_tPvRmT1_PNSt15iterator_traitsISH_E10value_typeET2_T3_PNSI_ISN_E10value_typeET4_jRbjT5_ST_jjP12ihipStream_tbEUlT_E_NS1_11comp_targetILNS1_3genE4ELNS1_11target_archE910ELNS1_3gpuE8ELNS1_3repE0EEENS1_30default_config_static_selectorELNS0_4arch9wavefront6targetE0EEEvSH_.has_dyn_sized_stack, 0
	.set _ZN7rocprim17ROCPRIM_400000_NS6detail17trampoline_kernelINS0_14default_configENS1_36segmented_radix_sort_config_selectorIllEEZNS1_25segmented_radix_sort_implIS3_Lb0EPKlPlS8_S9_N2at6native12_GLOBAL__N_18offset_tEEE10hipError_tPvRmT1_PNSt15iterator_traitsISH_E10value_typeET2_T3_PNSI_ISN_E10value_typeET4_jRbjT5_ST_jjP12ihipStream_tbEUlT_E_NS1_11comp_targetILNS1_3genE4ELNS1_11target_archE910ELNS1_3gpuE8ELNS1_3repE0EEENS1_30default_config_static_selectorELNS0_4arch9wavefront6targetE0EEEvSH_.has_recursion, 0
	.set _ZN7rocprim17ROCPRIM_400000_NS6detail17trampoline_kernelINS0_14default_configENS1_36segmented_radix_sort_config_selectorIllEEZNS1_25segmented_radix_sort_implIS3_Lb0EPKlPlS8_S9_N2at6native12_GLOBAL__N_18offset_tEEE10hipError_tPvRmT1_PNSt15iterator_traitsISH_E10value_typeET2_T3_PNSI_ISN_E10value_typeET4_jRbjT5_ST_jjP12ihipStream_tbEUlT_E_NS1_11comp_targetILNS1_3genE4ELNS1_11target_archE910ELNS1_3gpuE8ELNS1_3repE0EEENS1_30default_config_static_selectorELNS0_4arch9wavefront6targetE0EEEvSH_.has_indirect_call, 0
	.section	.AMDGPU.csdata,"",@progbits
; Kernel info:
; codeLenInByte = 0
; TotalNumSgprs: 0
; NumVgprs: 0
; ScratchSize: 0
; MemoryBound: 0
; FloatMode: 240
; IeeeMode: 1
; LDSByteSize: 0 bytes/workgroup (compile time only)
; SGPRBlocks: 0
; VGPRBlocks: 0
; NumSGPRsForWavesPerEU: 1
; NumVGPRsForWavesPerEU: 1
; Occupancy: 16
; WaveLimiterHint : 0
; COMPUTE_PGM_RSRC2:SCRATCH_EN: 0
; COMPUTE_PGM_RSRC2:USER_SGPR: 2
; COMPUTE_PGM_RSRC2:TRAP_HANDLER: 0
; COMPUTE_PGM_RSRC2:TGID_X_EN: 1
; COMPUTE_PGM_RSRC2:TGID_Y_EN: 0
; COMPUTE_PGM_RSRC2:TGID_Z_EN: 0
; COMPUTE_PGM_RSRC2:TIDIG_COMP_CNT: 0
	.section	.text._ZN7rocprim17ROCPRIM_400000_NS6detail17trampoline_kernelINS0_14default_configENS1_36segmented_radix_sort_config_selectorIllEEZNS1_25segmented_radix_sort_implIS3_Lb0EPKlPlS8_S9_N2at6native12_GLOBAL__N_18offset_tEEE10hipError_tPvRmT1_PNSt15iterator_traitsISH_E10value_typeET2_T3_PNSI_ISN_E10value_typeET4_jRbjT5_ST_jjP12ihipStream_tbEUlT_E_NS1_11comp_targetILNS1_3genE3ELNS1_11target_archE908ELNS1_3gpuE7ELNS1_3repE0EEENS1_30default_config_static_selectorELNS0_4arch9wavefront6targetE0EEEvSH_,"axG",@progbits,_ZN7rocprim17ROCPRIM_400000_NS6detail17trampoline_kernelINS0_14default_configENS1_36segmented_radix_sort_config_selectorIllEEZNS1_25segmented_radix_sort_implIS3_Lb0EPKlPlS8_S9_N2at6native12_GLOBAL__N_18offset_tEEE10hipError_tPvRmT1_PNSt15iterator_traitsISH_E10value_typeET2_T3_PNSI_ISN_E10value_typeET4_jRbjT5_ST_jjP12ihipStream_tbEUlT_E_NS1_11comp_targetILNS1_3genE3ELNS1_11target_archE908ELNS1_3gpuE7ELNS1_3repE0EEENS1_30default_config_static_selectorELNS0_4arch9wavefront6targetE0EEEvSH_,comdat
	.globl	_ZN7rocprim17ROCPRIM_400000_NS6detail17trampoline_kernelINS0_14default_configENS1_36segmented_radix_sort_config_selectorIllEEZNS1_25segmented_radix_sort_implIS3_Lb0EPKlPlS8_S9_N2at6native12_GLOBAL__N_18offset_tEEE10hipError_tPvRmT1_PNSt15iterator_traitsISH_E10value_typeET2_T3_PNSI_ISN_E10value_typeET4_jRbjT5_ST_jjP12ihipStream_tbEUlT_E_NS1_11comp_targetILNS1_3genE3ELNS1_11target_archE908ELNS1_3gpuE7ELNS1_3repE0EEENS1_30default_config_static_selectorELNS0_4arch9wavefront6targetE0EEEvSH_ ; -- Begin function _ZN7rocprim17ROCPRIM_400000_NS6detail17trampoline_kernelINS0_14default_configENS1_36segmented_radix_sort_config_selectorIllEEZNS1_25segmented_radix_sort_implIS3_Lb0EPKlPlS8_S9_N2at6native12_GLOBAL__N_18offset_tEEE10hipError_tPvRmT1_PNSt15iterator_traitsISH_E10value_typeET2_T3_PNSI_ISN_E10value_typeET4_jRbjT5_ST_jjP12ihipStream_tbEUlT_E_NS1_11comp_targetILNS1_3genE3ELNS1_11target_archE908ELNS1_3gpuE7ELNS1_3repE0EEENS1_30default_config_static_selectorELNS0_4arch9wavefront6targetE0EEEvSH_
	.p2align	8
	.type	_ZN7rocprim17ROCPRIM_400000_NS6detail17trampoline_kernelINS0_14default_configENS1_36segmented_radix_sort_config_selectorIllEEZNS1_25segmented_radix_sort_implIS3_Lb0EPKlPlS8_S9_N2at6native12_GLOBAL__N_18offset_tEEE10hipError_tPvRmT1_PNSt15iterator_traitsISH_E10value_typeET2_T3_PNSI_ISN_E10value_typeET4_jRbjT5_ST_jjP12ihipStream_tbEUlT_E_NS1_11comp_targetILNS1_3genE3ELNS1_11target_archE908ELNS1_3gpuE7ELNS1_3repE0EEENS1_30default_config_static_selectorELNS0_4arch9wavefront6targetE0EEEvSH_,@function
_ZN7rocprim17ROCPRIM_400000_NS6detail17trampoline_kernelINS0_14default_configENS1_36segmented_radix_sort_config_selectorIllEEZNS1_25segmented_radix_sort_implIS3_Lb0EPKlPlS8_S9_N2at6native12_GLOBAL__N_18offset_tEEE10hipError_tPvRmT1_PNSt15iterator_traitsISH_E10value_typeET2_T3_PNSI_ISN_E10value_typeET4_jRbjT5_ST_jjP12ihipStream_tbEUlT_E_NS1_11comp_targetILNS1_3genE3ELNS1_11target_archE908ELNS1_3gpuE7ELNS1_3repE0EEENS1_30default_config_static_selectorELNS0_4arch9wavefront6targetE0EEEvSH_: ; @_ZN7rocprim17ROCPRIM_400000_NS6detail17trampoline_kernelINS0_14default_configENS1_36segmented_radix_sort_config_selectorIllEEZNS1_25segmented_radix_sort_implIS3_Lb0EPKlPlS8_S9_N2at6native12_GLOBAL__N_18offset_tEEE10hipError_tPvRmT1_PNSt15iterator_traitsISH_E10value_typeET2_T3_PNSI_ISN_E10value_typeET4_jRbjT5_ST_jjP12ihipStream_tbEUlT_E_NS1_11comp_targetILNS1_3genE3ELNS1_11target_archE908ELNS1_3gpuE7ELNS1_3repE0EEENS1_30default_config_static_selectorELNS0_4arch9wavefront6targetE0EEEvSH_
; %bb.0:
	.section	.rodata,"a",@progbits
	.p2align	6, 0x0
	.amdhsa_kernel _ZN7rocprim17ROCPRIM_400000_NS6detail17trampoline_kernelINS0_14default_configENS1_36segmented_radix_sort_config_selectorIllEEZNS1_25segmented_radix_sort_implIS3_Lb0EPKlPlS8_S9_N2at6native12_GLOBAL__N_18offset_tEEE10hipError_tPvRmT1_PNSt15iterator_traitsISH_E10value_typeET2_T3_PNSI_ISN_E10value_typeET4_jRbjT5_ST_jjP12ihipStream_tbEUlT_E_NS1_11comp_targetILNS1_3genE3ELNS1_11target_archE908ELNS1_3gpuE7ELNS1_3repE0EEENS1_30default_config_static_selectorELNS0_4arch9wavefront6targetE0EEEvSH_
		.amdhsa_group_segment_fixed_size 0
		.amdhsa_private_segment_fixed_size 0
		.amdhsa_kernarg_size 96
		.amdhsa_user_sgpr_count 2
		.amdhsa_user_sgpr_dispatch_ptr 0
		.amdhsa_user_sgpr_queue_ptr 0
		.amdhsa_user_sgpr_kernarg_segment_ptr 1
		.amdhsa_user_sgpr_dispatch_id 0
		.amdhsa_user_sgpr_private_segment_size 0
		.amdhsa_wavefront_size32 1
		.amdhsa_uses_dynamic_stack 0
		.amdhsa_enable_private_segment 0
		.amdhsa_system_sgpr_workgroup_id_x 1
		.amdhsa_system_sgpr_workgroup_id_y 0
		.amdhsa_system_sgpr_workgroup_id_z 0
		.amdhsa_system_sgpr_workgroup_info 0
		.amdhsa_system_vgpr_workitem_id 0
		.amdhsa_next_free_vgpr 1
		.amdhsa_next_free_sgpr 1
		.amdhsa_reserve_vcc 0
		.amdhsa_float_round_mode_32 0
		.amdhsa_float_round_mode_16_64 0
		.amdhsa_float_denorm_mode_32 3
		.amdhsa_float_denorm_mode_16_64 3
		.amdhsa_fp16_overflow 0
		.amdhsa_workgroup_processor_mode 1
		.amdhsa_memory_ordered 1
		.amdhsa_forward_progress 1
		.amdhsa_inst_pref_size 0
		.amdhsa_round_robin_scheduling 0
		.amdhsa_exception_fp_ieee_invalid_op 0
		.amdhsa_exception_fp_denorm_src 0
		.amdhsa_exception_fp_ieee_div_zero 0
		.amdhsa_exception_fp_ieee_overflow 0
		.amdhsa_exception_fp_ieee_underflow 0
		.amdhsa_exception_fp_ieee_inexact 0
		.amdhsa_exception_int_div_zero 0
	.end_amdhsa_kernel
	.section	.text._ZN7rocprim17ROCPRIM_400000_NS6detail17trampoline_kernelINS0_14default_configENS1_36segmented_radix_sort_config_selectorIllEEZNS1_25segmented_radix_sort_implIS3_Lb0EPKlPlS8_S9_N2at6native12_GLOBAL__N_18offset_tEEE10hipError_tPvRmT1_PNSt15iterator_traitsISH_E10value_typeET2_T3_PNSI_ISN_E10value_typeET4_jRbjT5_ST_jjP12ihipStream_tbEUlT_E_NS1_11comp_targetILNS1_3genE3ELNS1_11target_archE908ELNS1_3gpuE7ELNS1_3repE0EEENS1_30default_config_static_selectorELNS0_4arch9wavefront6targetE0EEEvSH_,"axG",@progbits,_ZN7rocprim17ROCPRIM_400000_NS6detail17trampoline_kernelINS0_14default_configENS1_36segmented_radix_sort_config_selectorIllEEZNS1_25segmented_radix_sort_implIS3_Lb0EPKlPlS8_S9_N2at6native12_GLOBAL__N_18offset_tEEE10hipError_tPvRmT1_PNSt15iterator_traitsISH_E10value_typeET2_T3_PNSI_ISN_E10value_typeET4_jRbjT5_ST_jjP12ihipStream_tbEUlT_E_NS1_11comp_targetILNS1_3genE3ELNS1_11target_archE908ELNS1_3gpuE7ELNS1_3repE0EEENS1_30default_config_static_selectorELNS0_4arch9wavefront6targetE0EEEvSH_,comdat
.Lfunc_end810:
	.size	_ZN7rocprim17ROCPRIM_400000_NS6detail17trampoline_kernelINS0_14default_configENS1_36segmented_radix_sort_config_selectorIllEEZNS1_25segmented_radix_sort_implIS3_Lb0EPKlPlS8_S9_N2at6native12_GLOBAL__N_18offset_tEEE10hipError_tPvRmT1_PNSt15iterator_traitsISH_E10value_typeET2_T3_PNSI_ISN_E10value_typeET4_jRbjT5_ST_jjP12ihipStream_tbEUlT_E_NS1_11comp_targetILNS1_3genE3ELNS1_11target_archE908ELNS1_3gpuE7ELNS1_3repE0EEENS1_30default_config_static_selectorELNS0_4arch9wavefront6targetE0EEEvSH_, .Lfunc_end810-_ZN7rocprim17ROCPRIM_400000_NS6detail17trampoline_kernelINS0_14default_configENS1_36segmented_radix_sort_config_selectorIllEEZNS1_25segmented_radix_sort_implIS3_Lb0EPKlPlS8_S9_N2at6native12_GLOBAL__N_18offset_tEEE10hipError_tPvRmT1_PNSt15iterator_traitsISH_E10value_typeET2_T3_PNSI_ISN_E10value_typeET4_jRbjT5_ST_jjP12ihipStream_tbEUlT_E_NS1_11comp_targetILNS1_3genE3ELNS1_11target_archE908ELNS1_3gpuE7ELNS1_3repE0EEENS1_30default_config_static_selectorELNS0_4arch9wavefront6targetE0EEEvSH_
                                        ; -- End function
	.set _ZN7rocprim17ROCPRIM_400000_NS6detail17trampoline_kernelINS0_14default_configENS1_36segmented_radix_sort_config_selectorIllEEZNS1_25segmented_radix_sort_implIS3_Lb0EPKlPlS8_S9_N2at6native12_GLOBAL__N_18offset_tEEE10hipError_tPvRmT1_PNSt15iterator_traitsISH_E10value_typeET2_T3_PNSI_ISN_E10value_typeET4_jRbjT5_ST_jjP12ihipStream_tbEUlT_E_NS1_11comp_targetILNS1_3genE3ELNS1_11target_archE908ELNS1_3gpuE7ELNS1_3repE0EEENS1_30default_config_static_selectorELNS0_4arch9wavefront6targetE0EEEvSH_.num_vgpr, 0
	.set _ZN7rocprim17ROCPRIM_400000_NS6detail17trampoline_kernelINS0_14default_configENS1_36segmented_radix_sort_config_selectorIllEEZNS1_25segmented_radix_sort_implIS3_Lb0EPKlPlS8_S9_N2at6native12_GLOBAL__N_18offset_tEEE10hipError_tPvRmT1_PNSt15iterator_traitsISH_E10value_typeET2_T3_PNSI_ISN_E10value_typeET4_jRbjT5_ST_jjP12ihipStream_tbEUlT_E_NS1_11comp_targetILNS1_3genE3ELNS1_11target_archE908ELNS1_3gpuE7ELNS1_3repE0EEENS1_30default_config_static_selectorELNS0_4arch9wavefront6targetE0EEEvSH_.num_agpr, 0
	.set _ZN7rocprim17ROCPRIM_400000_NS6detail17trampoline_kernelINS0_14default_configENS1_36segmented_radix_sort_config_selectorIllEEZNS1_25segmented_radix_sort_implIS3_Lb0EPKlPlS8_S9_N2at6native12_GLOBAL__N_18offset_tEEE10hipError_tPvRmT1_PNSt15iterator_traitsISH_E10value_typeET2_T3_PNSI_ISN_E10value_typeET4_jRbjT5_ST_jjP12ihipStream_tbEUlT_E_NS1_11comp_targetILNS1_3genE3ELNS1_11target_archE908ELNS1_3gpuE7ELNS1_3repE0EEENS1_30default_config_static_selectorELNS0_4arch9wavefront6targetE0EEEvSH_.numbered_sgpr, 0
	.set _ZN7rocprim17ROCPRIM_400000_NS6detail17trampoline_kernelINS0_14default_configENS1_36segmented_radix_sort_config_selectorIllEEZNS1_25segmented_radix_sort_implIS3_Lb0EPKlPlS8_S9_N2at6native12_GLOBAL__N_18offset_tEEE10hipError_tPvRmT1_PNSt15iterator_traitsISH_E10value_typeET2_T3_PNSI_ISN_E10value_typeET4_jRbjT5_ST_jjP12ihipStream_tbEUlT_E_NS1_11comp_targetILNS1_3genE3ELNS1_11target_archE908ELNS1_3gpuE7ELNS1_3repE0EEENS1_30default_config_static_selectorELNS0_4arch9wavefront6targetE0EEEvSH_.num_named_barrier, 0
	.set _ZN7rocprim17ROCPRIM_400000_NS6detail17trampoline_kernelINS0_14default_configENS1_36segmented_radix_sort_config_selectorIllEEZNS1_25segmented_radix_sort_implIS3_Lb0EPKlPlS8_S9_N2at6native12_GLOBAL__N_18offset_tEEE10hipError_tPvRmT1_PNSt15iterator_traitsISH_E10value_typeET2_T3_PNSI_ISN_E10value_typeET4_jRbjT5_ST_jjP12ihipStream_tbEUlT_E_NS1_11comp_targetILNS1_3genE3ELNS1_11target_archE908ELNS1_3gpuE7ELNS1_3repE0EEENS1_30default_config_static_selectorELNS0_4arch9wavefront6targetE0EEEvSH_.private_seg_size, 0
	.set _ZN7rocprim17ROCPRIM_400000_NS6detail17trampoline_kernelINS0_14default_configENS1_36segmented_radix_sort_config_selectorIllEEZNS1_25segmented_radix_sort_implIS3_Lb0EPKlPlS8_S9_N2at6native12_GLOBAL__N_18offset_tEEE10hipError_tPvRmT1_PNSt15iterator_traitsISH_E10value_typeET2_T3_PNSI_ISN_E10value_typeET4_jRbjT5_ST_jjP12ihipStream_tbEUlT_E_NS1_11comp_targetILNS1_3genE3ELNS1_11target_archE908ELNS1_3gpuE7ELNS1_3repE0EEENS1_30default_config_static_selectorELNS0_4arch9wavefront6targetE0EEEvSH_.uses_vcc, 0
	.set _ZN7rocprim17ROCPRIM_400000_NS6detail17trampoline_kernelINS0_14default_configENS1_36segmented_radix_sort_config_selectorIllEEZNS1_25segmented_radix_sort_implIS3_Lb0EPKlPlS8_S9_N2at6native12_GLOBAL__N_18offset_tEEE10hipError_tPvRmT1_PNSt15iterator_traitsISH_E10value_typeET2_T3_PNSI_ISN_E10value_typeET4_jRbjT5_ST_jjP12ihipStream_tbEUlT_E_NS1_11comp_targetILNS1_3genE3ELNS1_11target_archE908ELNS1_3gpuE7ELNS1_3repE0EEENS1_30default_config_static_selectorELNS0_4arch9wavefront6targetE0EEEvSH_.uses_flat_scratch, 0
	.set _ZN7rocprim17ROCPRIM_400000_NS6detail17trampoline_kernelINS0_14default_configENS1_36segmented_radix_sort_config_selectorIllEEZNS1_25segmented_radix_sort_implIS3_Lb0EPKlPlS8_S9_N2at6native12_GLOBAL__N_18offset_tEEE10hipError_tPvRmT1_PNSt15iterator_traitsISH_E10value_typeET2_T3_PNSI_ISN_E10value_typeET4_jRbjT5_ST_jjP12ihipStream_tbEUlT_E_NS1_11comp_targetILNS1_3genE3ELNS1_11target_archE908ELNS1_3gpuE7ELNS1_3repE0EEENS1_30default_config_static_selectorELNS0_4arch9wavefront6targetE0EEEvSH_.has_dyn_sized_stack, 0
	.set _ZN7rocprim17ROCPRIM_400000_NS6detail17trampoline_kernelINS0_14default_configENS1_36segmented_radix_sort_config_selectorIllEEZNS1_25segmented_radix_sort_implIS3_Lb0EPKlPlS8_S9_N2at6native12_GLOBAL__N_18offset_tEEE10hipError_tPvRmT1_PNSt15iterator_traitsISH_E10value_typeET2_T3_PNSI_ISN_E10value_typeET4_jRbjT5_ST_jjP12ihipStream_tbEUlT_E_NS1_11comp_targetILNS1_3genE3ELNS1_11target_archE908ELNS1_3gpuE7ELNS1_3repE0EEENS1_30default_config_static_selectorELNS0_4arch9wavefront6targetE0EEEvSH_.has_recursion, 0
	.set _ZN7rocprim17ROCPRIM_400000_NS6detail17trampoline_kernelINS0_14default_configENS1_36segmented_radix_sort_config_selectorIllEEZNS1_25segmented_radix_sort_implIS3_Lb0EPKlPlS8_S9_N2at6native12_GLOBAL__N_18offset_tEEE10hipError_tPvRmT1_PNSt15iterator_traitsISH_E10value_typeET2_T3_PNSI_ISN_E10value_typeET4_jRbjT5_ST_jjP12ihipStream_tbEUlT_E_NS1_11comp_targetILNS1_3genE3ELNS1_11target_archE908ELNS1_3gpuE7ELNS1_3repE0EEENS1_30default_config_static_selectorELNS0_4arch9wavefront6targetE0EEEvSH_.has_indirect_call, 0
	.section	.AMDGPU.csdata,"",@progbits
; Kernel info:
; codeLenInByte = 0
; TotalNumSgprs: 0
; NumVgprs: 0
; ScratchSize: 0
; MemoryBound: 0
; FloatMode: 240
; IeeeMode: 1
; LDSByteSize: 0 bytes/workgroup (compile time only)
; SGPRBlocks: 0
; VGPRBlocks: 0
; NumSGPRsForWavesPerEU: 1
; NumVGPRsForWavesPerEU: 1
; Occupancy: 16
; WaveLimiterHint : 0
; COMPUTE_PGM_RSRC2:SCRATCH_EN: 0
; COMPUTE_PGM_RSRC2:USER_SGPR: 2
; COMPUTE_PGM_RSRC2:TRAP_HANDLER: 0
; COMPUTE_PGM_RSRC2:TGID_X_EN: 1
; COMPUTE_PGM_RSRC2:TGID_Y_EN: 0
; COMPUTE_PGM_RSRC2:TGID_Z_EN: 0
; COMPUTE_PGM_RSRC2:TIDIG_COMP_CNT: 0
	.section	.text._ZN7rocprim17ROCPRIM_400000_NS6detail17trampoline_kernelINS0_14default_configENS1_36segmented_radix_sort_config_selectorIllEEZNS1_25segmented_radix_sort_implIS3_Lb0EPKlPlS8_S9_N2at6native12_GLOBAL__N_18offset_tEEE10hipError_tPvRmT1_PNSt15iterator_traitsISH_E10value_typeET2_T3_PNSI_ISN_E10value_typeET4_jRbjT5_ST_jjP12ihipStream_tbEUlT_E_NS1_11comp_targetILNS1_3genE2ELNS1_11target_archE906ELNS1_3gpuE6ELNS1_3repE0EEENS1_30default_config_static_selectorELNS0_4arch9wavefront6targetE0EEEvSH_,"axG",@progbits,_ZN7rocprim17ROCPRIM_400000_NS6detail17trampoline_kernelINS0_14default_configENS1_36segmented_radix_sort_config_selectorIllEEZNS1_25segmented_radix_sort_implIS3_Lb0EPKlPlS8_S9_N2at6native12_GLOBAL__N_18offset_tEEE10hipError_tPvRmT1_PNSt15iterator_traitsISH_E10value_typeET2_T3_PNSI_ISN_E10value_typeET4_jRbjT5_ST_jjP12ihipStream_tbEUlT_E_NS1_11comp_targetILNS1_3genE2ELNS1_11target_archE906ELNS1_3gpuE6ELNS1_3repE0EEENS1_30default_config_static_selectorELNS0_4arch9wavefront6targetE0EEEvSH_,comdat
	.globl	_ZN7rocprim17ROCPRIM_400000_NS6detail17trampoline_kernelINS0_14default_configENS1_36segmented_radix_sort_config_selectorIllEEZNS1_25segmented_radix_sort_implIS3_Lb0EPKlPlS8_S9_N2at6native12_GLOBAL__N_18offset_tEEE10hipError_tPvRmT1_PNSt15iterator_traitsISH_E10value_typeET2_T3_PNSI_ISN_E10value_typeET4_jRbjT5_ST_jjP12ihipStream_tbEUlT_E_NS1_11comp_targetILNS1_3genE2ELNS1_11target_archE906ELNS1_3gpuE6ELNS1_3repE0EEENS1_30default_config_static_selectorELNS0_4arch9wavefront6targetE0EEEvSH_ ; -- Begin function _ZN7rocprim17ROCPRIM_400000_NS6detail17trampoline_kernelINS0_14default_configENS1_36segmented_radix_sort_config_selectorIllEEZNS1_25segmented_radix_sort_implIS3_Lb0EPKlPlS8_S9_N2at6native12_GLOBAL__N_18offset_tEEE10hipError_tPvRmT1_PNSt15iterator_traitsISH_E10value_typeET2_T3_PNSI_ISN_E10value_typeET4_jRbjT5_ST_jjP12ihipStream_tbEUlT_E_NS1_11comp_targetILNS1_3genE2ELNS1_11target_archE906ELNS1_3gpuE6ELNS1_3repE0EEENS1_30default_config_static_selectorELNS0_4arch9wavefront6targetE0EEEvSH_
	.p2align	8
	.type	_ZN7rocprim17ROCPRIM_400000_NS6detail17trampoline_kernelINS0_14default_configENS1_36segmented_radix_sort_config_selectorIllEEZNS1_25segmented_radix_sort_implIS3_Lb0EPKlPlS8_S9_N2at6native12_GLOBAL__N_18offset_tEEE10hipError_tPvRmT1_PNSt15iterator_traitsISH_E10value_typeET2_T3_PNSI_ISN_E10value_typeET4_jRbjT5_ST_jjP12ihipStream_tbEUlT_E_NS1_11comp_targetILNS1_3genE2ELNS1_11target_archE906ELNS1_3gpuE6ELNS1_3repE0EEENS1_30default_config_static_selectorELNS0_4arch9wavefront6targetE0EEEvSH_,@function
_ZN7rocprim17ROCPRIM_400000_NS6detail17trampoline_kernelINS0_14default_configENS1_36segmented_radix_sort_config_selectorIllEEZNS1_25segmented_radix_sort_implIS3_Lb0EPKlPlS8_S9_N2at6native12_GLOBAL__N_18offset_tEEE10hipError_tPvRmT1_PNSt15iterator_traitsISH_E10value_typeET2_T3_PNSI_ISN_E10value_typeET4_jRbjT5_ST_jjP12ihipStream_tbEUlT_E_NS1_11comp_targetILNS1_3genE2ELNS1_11target_archE906ELNS1_3gpuE6ELNS1_3repE0EEENS1_30default_config_static_selectorELNS0_4arch9wavefront6targetE0EEEvSH_: ; @_ZN7rocprim17ROCPRIM_400000_NS6detail17trampoline_kernelINS0_14default_configENS1_36segmented_radix_sort_config_selectorIllEEZNS1_25segmented_radix_sort_implIS3_Lb0EPKlPlS8_S9_N2at6native12_GLOBAL__N_18offset_tEEE10hipError_tPvRmT1_PNSt15iterator_traitsISH_E10value_typeET2_T3_PNSI_ISN_E10value_typeET4_jRbjT5_ST_jjP12ihipStream_tbEUlT_E_NS1_11comp_targetILNS1_3genE2ELNS1_11target_archE906ELNS1_3gpuE6ELNS1_3repE0EEENS1_30default_config_static_selectorELNS0_4arch9wavefront6targetE0EEEvSH_
; %bb.0:
	.section	.rodata,"a",@progbits
	.p2align	6, 0x0
	.amdhsa_kernel _ZN7rocprim17ROCPRIM_400000_NS6detail17trampoline_kernelINS0_14default_configENS1_36segmented_radix_sort_config_selectorIllEEZNS1_25segmented_radix_sort_implIS3_Lb0EPKlPlS8_S9_N2at6native12_GLOBAL__N_18offset_tEEE10hipError_tPvRmT1_PNSt15iterator_traitsISH_E10value_typeET2_T3_PNSI_ISN_E10value_typeET4_jRbjT5_ST_jjP12ihipStream_tbEUlT_E_NS1_11comp_targetILNS1_3genE2ELNS1_11target_archE906ELNS1_3gpuE6ELNS1_3repE0EEENS1_30default_config_static_selectorELNS0_4arch9wavefront6targetE0EEEvSH_
		.amdhsa_group_segment_fixed_size 0
		.amdhsa_private_segment_fixed_size 0
		.amdhsa_kernarg_size 96
		.amdhsa_user_sgpr_count 2
		.amdhsa_user_sgpr_dispatch_ptr 0
		.amdhsa_user_sgpr_queue_ptr 0
		.amdhsa_user_sgpr_kernarg_segment_ptr 1
		.amdhsa_user_sgpr_dispatch_id 0
		.amdhsa_user_sgpr_private_segment_size 0
		.amdhsa_wavefront_size32 1
		.amdhsa_uses_dynamic_stack 0
		.amdhsa_enable_private_segment 0
		.amdhsa_system_sgpr_workgroup_id_x 1
		.amdhsa_system_sgpr_workgroup_id_y 0
		.amdhsa_system_sgpr_workgroup_id_z 0
		.amdhsa_system_sgpr_workgroup_info 0
		.amdhsa_system_vgpr_workitem_id 0
		.amdhsa_next_free_vgpr 1
		.amdhsa_next_free_sgpr 1
		.amdhsa_reserve_vcc 0
		.amdhsa_float_round_mode_32 0
		.amdhsa_float_round_mode_16_64 0
		.amdhsa_float_denorm_mode_32 3
		.amdhsa_float_denorm_mode_16_64 3
		.amdhsa_fp16_overflow 0
		.amdhsa_workgroup_processor_mode 1
		.amdhsa_memory_ordered 1
		.amdhsa_forward_progress 1
		.amdhsa_inst_pref_size 0
		.amdhsa_round_robin_scheduling 0
		.amdhsa_exception_fp_ieee_invalid_op 0
		.amdhsa_exception_fp_denorm_src 0
		.amdhsa_exception_fp_ieee_div_zero 0
		.amdhsa_exception_fp_ieee_overflow 0
		.amdhsa_exception_fp_ieee_underflow 0
		.amdhsa_exception_fp_ieee_inexact 0
		.amdhsa_exception_int_div_zero 0
	.end_amdhsa_kernel
	.section	.text._ZN7rocprim17ROCPRIM_400000_NS6detail17trampoline_kernelINS0_14default_configENS1_36segmented_radix_sort_config_selectorIllEEZNS1_25segmented_radix_sort_implIS3_Lb0EPKlPlS8_S9_N2at6native12_GLOBAL__N_18offset_tEEE10hipError_tPvRmT1_PNSt15iterator_traitsISH_E10value_typeET2_T3_PNSI_ISN_E10value_typeET4_jRbjT5_ST_jjP12ihipStream_tbEUlT_E_NS1_11comp_targetILNS1_3genE2ELNS1_11target_archE906ELNS1_3gpuE6ELNS1_3repE0EEENS1_30default_config_static_selectorELNS0_4arch9wavefront6targetE0EEEvSH_,"axG",@progbits,_ZN7rocprim17ROCPRIM_400000_NS6detail17trampoline_kernelINS0_14default_configENS1_36segmented_radix_sort_config_selectorIllEEZNS1_25segmented_radix_sort_implIS3_Lb0EPKlPlS8_S9_N2at6native12_GLOBAL__N_18offset_tEEE10hipError_tPvRmT1_PNSt15iterator_traitsISH_E10value_typeET2_T3_PNSI_ISN_E10value_typeET4_jRbjT5_ST_jjP12ihipStream_tbEUlT_E_NS1_11comp_targetILNS1_3genE2ELNS1_11target_archE906ELNS1_3gpuE6ELNS1_3repE0EEENS1_30default_config_static_selectorELNS0_4arch9wavefront6targetE0EEEvSH_,comdat
.Lfunc_end811:
	.size	_ZN7rocprim17ROCPRIM_400000_NS6detail17trampoline_kernelINS0_14default_configENS1_36segmented_radix_sort_config_selectorIllEEZNS1_25segmented_radix_sort_implIS3_Lb0EPKlPlS8_S9_N2at6native12_GLOBAL__N_18offset_tEEE10hipError_tPvRmT1_PNSt15iterator_traitsISH_E10value_typeET2_T3_PNSI_ISN_E10value_typeET4_jRbjT5_ST_jjP12ihipStream_tbEUlT_E_NS1_11comp_targetILNS1_3genE2ELNS1_11target_archE906ELNS1_3gpuE6ELNS1_3repE0EEENS1_30default_config_static_selectorELNS0_4arch9wavefront6targetE0EEEvSH_, .Lfunc_end811-_ZN7rocprim17ROCPRIM_400000_NS6detail17trampoline_kernelINS0_14default_configENS1_36segmented_radix_sort_config_selectorIllEEZNS1_25segmented_radix_sort_implIS3_Lb0EPKlPlS8_S9_N2at6native12_GLOBAL__N_18offset_tEEE10hipError_tPvRmT1_PNSt15iterator_traitsISH_E10value_typeET2_T3_PNSI_ISN_E10value_typeET4_jRbjT5_ST_jjP12ihipStream_tbEUlT_E_NS1_11comp_targetILNS1_3genE2ELNS1_11target_archE906ELNS1_3gpuE6ELNS1_3repE0EEENS1_30default_config_static_selectorELNS0_4arch9wavefront6targetE0EEEvSH_
                                        ; -- End function
	.set _ZN7rocprim17ROCPRIM_400000_NS6detail17trampoline_kernelINS0_14default_configENS1_36segmented_radix_sort_config_selectorIllEEZNS1_25segmented_radix_sort_implIS3_Lb0EPKlPlS8_S9_N2at6native12_GLOBAL__N_18offset_tEEE10hipError_tPvRmT1_PNSt15iterator_traitsISH_E10value_typeET2_T3_PNSI_ISN_E10value_typeET4_jRbjT5_ST_jjP12ihipStream_tbEUlT_E_NS1_11comp_targetILNS1_3genE2ELNS1_11target_archE906ELNS1_3gpuE6ELNS1_3repE0EEENS1_30default_config_static_selectorELNS0_4arch9wavefront6targetE0EEEvSH_.num_vgpr, 0
	.set _ZN7rocprim17ROCPRIM_400000_NS6detail17trampoline_kernelINS0_14default_configENS1_36segmented_radix_sort_config_selectorIllEEZNS1_25segmented_radix_sort_implIS3_Lb0EPKlPlS8_S9_N2at6native12_GLOBAL__N_18offset_tEEE10hipError_tPvRmT1_PNSt15iterator_traitsISH_E10value_typeET2_T3_PNSI_ISN_E10value_typeET4_jRbjT5_ST_jjP12ihipStream_tbEUlT_E_NS1_11comp_targetILNS1_3genE2ELNS1_11target_archE906ELNS1_3gpuE6ELNS1_3repE0EEENS1_30default_config_static_selectorELNS0_4arch9wavefront6targetE0EEEvSH_.num_agpr, 0
	.set _ZN7rocprim17ROCPRIM_400000_NS6detail17trampoline_kernelINS0_14default_configENS1_36segmented_radix_sort_config_selectorIllEEZNS1_25segmented_radix_sort_implIS3_Lb0EPKlPlS8_S9_N2at6native12_GLOBAL__N_18offset_tEEE10hipError_tPvRmT1_PNSt15iterator_traitsISH_E10value_typeET2_T3_PNSI_ISN_E10value_typeET4_jRbjT5_ST_jjP12ihipStream_tbEUlT_E_NS1_11comp_targetILNS1_3genE2ELNS1_11target_archE906ELNS1_3gpuE6ELNS1_3repE0EEENS1_30default_config_static_selectorELNS0_4arch9wavefront6targetE0EEEvSH_.numbered_sgpr, 0
	.set _ZN7rocprim17ROCPRIM_400000_NS6detail17trampoline_kernelINS0_14default_configENS1_36segmented_radix_sort_config_selectorIllEEZNS1_25segmented_radix_sort_implIS3_Lb0EPKlPlS8_S9_N2at6native12_GLOBAL__N_18offset_tEEE10hipError_tPvRmT1_PNSt15iterator_traitsISH_E10value_typeET2_T3_PNSI_ISN_E10value_typeET4_jRbjT5_ST_jjP12ihipStream_tbEUlT_E_NS1_11comp_targetILNS1_3genE2ELNS1_11target_archE906ELNS1_3gpuE6ELNS1_3repE0EEENS1_30default_config_static_selectorELNS0_4arch9wavefront6targetE0EEEvSH_.num_named_barrier, 0
	.set _ZN7rocprim17ROCPRIM_400000_NS6detail17trampoline_kernelINS0_14default_configENS1_36segmented_radix_sort_config_selectorIllEEZNS1_25segmented_radix_sort_implIS3_Lb0EPKlPlS8_S9_N2at6native12_GLOBAL__N_18offset_tEEE10hipError_tPvRmT1_PNSt15iterator_traitsISH_E10value_typeET2_T3_PNSI_ISN_E10value_typeET4_jRbjT5_ST_jjP12ihipStream_tbEUlT_E_NS1_11comp_targetILNS1_3genE2ELNS1_11target_archE906ELNS1_3gpuE6ELNS1_3repE0EEENS1_30default_config_static_selectorELNS0_4arch9wavefront6targetE0EEEvSH_.private_seg_size, 0
	.set _ZN7rocprim17ROCPRIM_400000_NS6detail17trampoline_kernelINS0_14default_configENS1_36segmented_radix_sort_config_selectorIllEEZNS1_25segmented_radix_sort_implIS3_Lb0EPKlPlS8_S9_N2at6native12_GLOBAL__N_18offset_tEEE10hipError_tPvRmT1_PNSt15iterator_traitsISH_E10value_typeET2_T3_PNSI_ISN_E10value_typeET4_jRbjT5_ST_jjP12ihipStream_tbEUlT_E_NS1_11comp_targetILNS1_3genE2ELNS1_11target_archE906ELNS1_3gpuE6ELNS1_3repE0EEENS1_30default_config_static_selectorELNS0_4arch9wavefront6targetE0EEEvSH_.uses_vcc, 0
	.set _ZN7rocprim17ROCPRIM_400000_NS6detail17trampoline_kernelINS0_14default_configENS1_36segmented_radix_sort_config_selectorIllEEZNS1_25segmented_radix_sort_implIS3_Lb0EPKlPlS8_S9_N2at6native12_GLOBAL__N_18offset_tEEE10hipError_tPvRmT1_PNSt15iterator_traitsISH_E10value_typeET2_T3_PNSI_ISN_E10value_typeET4_jRbjT5_ST_jjP12ihipStream_tbEUlT_E_NS1_11comp_targetILNS1_3genE2ELNS1_11target_archE906ELNS1_3gpuE6ELNS1_3repE0EEENS1_30default_config_static_selectorELNS0_4arch9wavefront6targetE0EEEvSH_.uses_flat_scratch, 0
	.set _ZN7rocprim17ROCPRIM_400000_NS6detail17trampoline_kernelINS0_14default_configENS1_36segmented_radix_sort_config_selectorIllEEZNS1_25segmented_radix_sort_implIS3_Lb0EPKlPlS8_S9_N2at6native12_GLOBAL__N_18offset_tEEE10hipError_tPvRmT1_PNSt15iterator_traitsISH_E10value_typeET2_T3_PNSI_ISN_E10value_typeET4_jRbjT5_ST_jjP12ihipStream_tbEUlT_E_NS1_11comp_targetILNS1_3genE2ELNS1_11target_archE906ELNS1_3gpuE6ELNS1_3repE0EEENS1_30default_config_static_selectorELNS0_4arch9wavefront6targetE0EEEvSH_.has_dyn_sized_stack, 0
	.set _ZN7rocprim17ROCPRIM_400000_NS6detail17trampoline_kernelINS0_14default_configENS1_36segmented_radix_sort_config_selectorIllEEZNS1_25segmented_radix_sort_implIS3_Lb0EPKlPlS8_S9_N2at6native12_GLOBAL__N_18offset_tEEE10hipError_tPvRmT1_PNSt15iterator_traitsISH_E10value_typeET2_T3_PNSI_ISN_E10value_typeET4_jRbjT5_ST_jjP12ihipStream_tbEUlT_E_NS1_11comp_targetILNS1_3genE2ELNS1_11target_archE906ELNS1_3gpuE6ELNS1_3repE0EEENS1_30default_config_static_selectorELNS0_4arch9wavefront6targetE0EEEvSH_.has_recursion, 0
	.set _ZN7rocprim17ROCPRIM_400000_NS6detail17trampoline_kernelINS0_14default_configENS1_36segmented_radix_sort_config_selectorIllEEZNS1_25segmented_radix_sort_implIS3_Lb0EPKlPlS8_S9_N2at6native12_GLOBAL__N_18offset_tEEE10hipError_tPvRmT1_PNSt15iterator_traitsISH_E10value_typeET2_T3_PNSI_ISN_E10value_typeET4_jRbjT5_ST_jjP12ihipStream_tbEUlT_E_NS1_11comp_targetILNS1_3genE2ELNS1_11target_archE906ELNS1_3gpuE6ELNS1_3repE0EEENS1_30default_config_static_selectorELNS0_4arch9wavefront6targetE0EEEvSH_.has_indirect_call, 0
	.section	.AMDGPU.csdata,"",@progbits
; Kernel info:
; codeLenInByte = 0
; TotalNumSgprs: 0
; NumVgprs: 0
; ScratchSize: 0
; MemoryBound: 0
; FloatMode: 240
; IeeeMode: 1
; LDSByteSize: 0 bytes/workgroup (compile time only)
; SGPRBlocks: 0
; VGPRBlocks: 0
; NumSGPRsForWavesPerEU: 1
; NumVGPRsForWavesPerEU: 1
; Occupancy: 16
; WaveLimiterHint : 0
; COMPUTE_PGM_RSRC2:SCRATCH_EN: 0
; COMPUTE_PGM_RSRC2:USER_SGPR: 2
; COMPUTE_PGM_RSRC2:TRAP_HANDLER: 0
; COMPUTE_PGM_RSRC2:TGID_X_EN: 1
; COMPUTE_PGM_RSRC2:TGID_Y_EN: 0
; COMPUTE_PGM_RSRC2:TGID_Z_EN: 0
; COMPUTE_PGM_RSRC2:TIDIG_COMP_CNT: 0
	.text
	.p2align	2                               ; -- Begin function _ZN7rocprim17ROCPRIM_400000_NS6detail40segmented_radix_sort_single_block_helperIllLj256ELj16ELb0EE4sortIPKlPlS6_S7_EEbT_T0_T1_T2_jjjjRNS3_12storage_typeE
	.type	_ZN7rocprim17ROCPRIM_400000_NS6detail40segmented_radix_sort_single_block_helperIllLj256ELj16ELb0EE4sortIPKlPlS6_S7_EEbT_T0_T1_T2_jjjjRNS3_12storage_typeE,@function
_ZN7rocprim17ROCPRIM_400000_NS6detail40segmented_radix_sort_single_block_helperIllLj256ELj16ELb0EE4sortIPKlPlS6_S7_EEbT_T0_T1_T2_jjjjRNS3_12storage_typeE: ; @_ZN7rocprim17ROCPRIM_400000_NS6detail40segmented_radix_sort_single_block_helperIllLj256ELj16ELb0EE4sortIPKlPlS6_S7_EEbT_T0_T1_T2_jjjjRNS3_12storage_typeE
; %bb.0:
	s_wait_loadcnt_dscnt 0x0
	s_wait_expcnt 0x0
	s_wait_samplecnt 0x0
	s_wait_bvhcnt 0x0
	s_wait_kmcnt 0x0
	s_clause 0x1f
	scratch_store_b32 off, v40, s32 offset:168
	; meta instruction
	scratch_store_b32 off, v41, s32 offset:164
	; meta instruction
	;; [unrolled: 2-line block ×31, first 2 shown]
	scratch_store_b32 off, v95, s32 offset:44
	s_clause 0xa
	scratch_store_b32 off, v104, s32 offset:40
	; meta instruction
	scratch_store_b32 off, v105, s32 offset:36
	; meta instruction
	;; [unrolled: 2-line block ×10, first 2 shown]
	scratch_store_b32 off, v122, s32
	v_sub_nc_u32_e32 v119, v9, v8
	s_mov_b32 s18, exec_lo
	s_delay_alu instid0(VALU_DEP_1)
	v_cmpx_gt_u32_e32 0x1001, v119
	s_cbranch_execz .LBB812_372
; %bb.1:
	v_bfe_u32 v9, v31, 10, 10
	v_bfe_u32 v13, v31, 20, 10
	v_and_b32_e32 v21, 0x3ff, v31
	v_mbcnt_lo_u32_b32 v22, -1, 0
	s_mov_b32 s0, exec_lo
	v_cmpx_lt_u32_e32 0x800, v119
	s_wait_alu 0xfffe
	s_xor_b32 s19, exec_lo, s0
	s_cbranch_execz .LBB812_143
; %bb.2:
	s_load_b64 s[0:1], s[8:9], 0x0
	s_and_b32 s2, ttmp7, 0xffff
	s_mov_b32 s3, 0
	v_dual_mov_b32 v117, -1 :: v_dual_mov_b32 v128, -1
	v_mov_b32_e32 v118, -1
	s_wait_kmcnt 0x0
	s_wait_alu 0xfffe
	s_cmp_lt_u32 s2, s1
	s_cselect_b32 s2, 14, 20
	s_cmp_lt_u32 ttmp9, s0
	s_wait_alu 0xfffe
	s_add_nc_u64 s[4:5], s[8:9], s[2:3]
	s_cselect_b32 s2, 12, 18
	s_load_u16 s4, s[4:5], 0x0
	s_add_nc_u64 s[0:1], s[8:9], s[2:3]
	s_load_u16 s0, s[0:1], 0x0
	s_wait_kmcnt 0x0
	v_mad_u32_u24 v9, v13, s4, v9
	v_lshlrev_b32_e32 v13, 3, v22
	s_delay_alu instid0(VALU_DEP_2) | instskip(NEXT) | instid1(VALU_DEP_1)
	v_mad_co_u64_u32 v[114:115], null, v9, s0, v[21:22]
	v_dual_mov_b32 v9, 0 :: v_dual_lshlrev_b32 v14, 4, v114
	s_delay_alu instid0(VALU_DEP_1) | instskip(NEXT) | instid1(VALU_DEP_2)
	v_lshlrev_b64_e32 v[112:113], 3, v[8:9]
	v_dual_mov_b32 v129, -1 :: v_dual_and_b32 v8, 0xfffffe00, v14
	s_delay_alu instid0(VALU_DEP_2) | instskip(SKIP_1) | instid1(VALU_DEP_3)
	v_add_co_u32 v14, vcc_lo, v0, v112
	s_wait_alu 0xfffd
	v_add_co_ci_u32_e64 v15, null, v1, v113, vcc_lo
	s_delay_alu instid0(VALU_DEP_3) | instskip(NEXT) | instid1(VALU_DEP_3)
	v_lshlrev_b64_e32 v[0:1], 3, v[8:9]
	v_add_co_u32 v9, vcc_lo, v14, v13
	s_wait_alu 0xfffd
	s_delay_alu instid0(VALU_DEP_3) | instskip(SKIP_1) | instid1(VALU_DEP_3)
	v_add_co_ci_u32_e64 v15, null, 0, v15, vcc_lo
	v_or_b32_e32 v14, v8, v22
	v_add_co_u32 v8, vcc_lo, v9, v0
	s_wait_alu 0xfffd
	s_delay_alu instid0(VALU_DEP_3) | instskip(NEXT) | instid1(VALU_DEP_3)
	v_add_co_ci_u32_e64 v9, null, v15, v1, vcc_lo
	v_cmp_lt_u32_e32 vcc_lo, v14, v119
	s_and_saveexec_b32 s0, vcc_lo
	s_cbranch_execz .LBB812_4
; %bb.3:
	flat_load_b64 v[128:129], v[8:9]
	s_wait_loadcnt_dscnt 0x0
	v_xor_b32_e32 v129, 0x80000000, v129
.LBB812_4:
	s_wait_alu 0xfffe
	s_or_b32 exec_lo, exec_lo, s0
	v_or_b32_e32 v15, 32, v14
	s_delay_alu instid0(VALU_DEP_1)
	v_cmp_lt_u32_e64 s0, v15, v119
	s_and_saveexec_b32 s1, s0
	s_cbranch_execz .LBB812_6
; %bb.5:
	flat_load_b64 v[117:118], v[8:9] offset:256
	s_wait_loadcnt_dscnt 0x0
	v_xor_b32_e32 v118, 0x80000000, v118
.LBB812_6:
	s_wait_alu 0xfffe
	s_or_b32 exec_lo, exec_lo, s1
	v_or_b32_e32 v15, 64, v14
	v_mov_b32_e32 v130, -1
	v_dual_mov_b32 v131, -1 :: v_dual_mov_b32 v132, -1
	v_mov_b32_e32 v133, -1
	s_delay_alu instid0(VALU_DEP_4)
	v_cmp_lt_u32_e64 s1, v15, v119
	s_and_saveexec_b32 s2, s1
	s_cbranch_execz .LBB812_8
; %bb.7:
	flat_load_b64 v[132:133], v[8:9] offset:512
	s_wait_loadcnt_dscnt 0x0
	v_xor_b32_e32 v133, 0x80000000, v133
.LBB812_8:
	s_wait_alu 0xfffe
	s_or_b32 exec_lo, exec_lo, s2
	v_or_b32_e32 v15, 0x60, v14
	s_delay_alu instid0(VALU_DEP_1)
	v_cmp_lt_u32_e64 s2, v15, v119
	s_and_saveexec_b32 s3, s2
	s_cbranch_execz .LBB812_10
; %bb.9:
	flat_load_b64 v[130:131], v[8:9] offset:768
	s_wait_loadcnt_dscnt 0x0
	v_xor_b32_e32 v131, 0x80000000, v131
.LBB812_10:
	s_wait_alu 0xfffe
	s_or_b32 exec_lo, exec_lo, s3
	v_or_b32_e32 v15, 0x80, v14
	v_mov_b32_e32 v134, -1
	v_dual_mov_b32 v135, -1 :: v_dual_mov_b32 v144, -1
	v_mov_b32_e32 v145, -1
	s_delay_alu instid0(VALU_DEP_4)
	v_cmp_lt_u32_e64 s3, v15, v119
	s_and_saveexec_b32 s4, s3
	s_cbranch_execz .LBB812_12
; %bb.11:
	flat_load_b64 v[144:145], v[8:9] offset:1024
	s_wait_loadcnt_dscnt 0x0
	v_xor_b32_e32 v145, 0x80000000, v145
.LBB812_12:
	;; [unrolled: 27-line block ×7, first 2 shown]
	s_wait_alu 0xfffe
	s_or_b32 exec_lo, exec_lo, s16
	v_or_b32_e32 v14, 0x1e0, v14
	s_delay_alu instid0(VALU_DEP_1)
	v_cmp_lt_u32_e64 s16, v14, v119
	s_and_saveexec_b32 s17, s16
	s_cbranch_execz .LBB812_34
; %bb.33:
	flat_load_b64 v[178:179], v[8:9] offset:3840
	s_wait_loadcnt_dscnt 0x0
	v_xor_b32_e32 v179, 0x80000000, v179
.LBB812_34:
	s_wait_alu 0xfffe
	s_or_b32 exec_lo, exec_lo, s17
	v_add_co_u32 v4, s17, v4, v112
	s_wait_alu 0xf1ff
	v_add_co_ci_u32_e64 v5, null, v5, v113, s17
                                        ; implicit-def: $vgpr192_vgpr193
	s_delay_alu instid0(VALU_DEP_2) | instskip(SKIP_1) | instid1(VALU_DEP_2)
	v_add_co_u32 v4, s17, v4, v13
	s_wait_alu 0xf1ff
	v_add_co_ci_u32_e64 v5, null, 0, v5, s17
	s_delay_alu instid0(VALU_DEP_2) | instskip(SKIP_1) | instid1(VALU_DEP_2)
	v_add_co_u32 v0, s17, v4, v0
	s_wait_alu 0xf1ff
	v_add_co_ci_u32_e64 v1, null, v5, v1, s17
	s_and_saveexec_b32 s17, vcc_lo
	s_cbranch_execnz .LBB812_196
; %bb.35:
	s_wait_alu 0xfffe
	s_or_b32 exec_lo, exec_lo, s17
                                        ; implicit-def: $vgpr196_vgpr197
	s_and_saveexec_b32 s17, s0
	s_cbranch_execnz .LBB812_197
.LBB812_36:
	s_wait_alu 0xfffe
	s_or_b32 exec_lo, exec_lo, s17
                                        ; implicit-def: $vgpr182_vgpr183
	s_and_saveexec_b32 s0, s1
	s_cbranch_execnz .LBB812_198
.LBB812_37:
	s_wait_alu 0xfffe
	s_or_b32 exec_lo, exec_lo, s0
                                        ; implicit-def: $vgpr194_vgpr195
	s_and_saveexec_b32 s0, s2
	s_cbranch_execnz .LBB812_199
.LBB812_38:
	s_wait_alu 0xfffe
	s_or_b32 exec_lo, exec_lo, s0
                                        ; implicit-def: $vgpr208_vgpr209
	s_and_saveexec_b32 s0, s3
	s_cbranch_execnz .LBB812_200
.LBB812_39:
	s_wait_alu 0xfffe
	s_or_b32 exec_lo, exec_lo, s0
                                        ; implicit-def: $vgpr198_vgpr199
	s_and_saveexec_b32 s0, s4
	s_cbranch_execnz .LBB812_201
.LBB812_40:
	s_wait_alu 0xfffe
	s_or_b32 exec_lo, exec_lo, s0
                                        ; implicit-def: $vgpr210_vgpr211
	s_and_saveexec_b32 s0, s5
	s_cbranch_execnz .LBB812_202
.LBB812_41:
	s_wait_alu 0xfffe
	s_or_b32 exec_lo, exec_lo, s0
                                        ; implicit-def: $vgpr212_vgpr213
	s_and_saveexec_b32 s0, s6
	s_cbranch_execnz .LBB812_203
.LBB812_42:
	s_wait_alu 0xfffe
	s_or_b32 exec_lo, exec_lo, s0
                                        ; implicit-def: $vgpr214_vgpr215
	s_and_saveexec_b32 s0, s7
	s_cbranch_execnz .LBB812_204
.LBB812_43:
	s_wait_alu 0xfffe
	s_or_b32 exec_lo, exec_lo, s0
                                        ; implicit-def: $vgpr224_vgpr225
	s_and_saveexec_b32 s0, s10
	s_cbranch_execnz .LBB812_205
.LBB812_44:
	s_wait_alu 0xfffe
	s_or_b32 exec_lo, exec_lo, s0
                                        ; implicit-def: $vgpr226_vgpr227
	s_and_saveexec_b32 s0, s11
	s_cbranch_execnz .LBB812_206
.LBB812_45:
	s_wait_alu 0xfffe
	s_or_b32 exec_lo, exec_lo, s0
                                        ; implicit-def: $vgpr228_vgpr229
	s_and_saveexec_b32 s0, s12
	s_cbranch_execnz .LBB812_207
.LBB812_46:
	s_wait_alu 0xfffe
	s_or_b32 exec_lo, exec_lo, s0
                                        ; implicit-def: $vgpr230_vgpr231
	s_and_saveexec_b32 s0, s13
	s_cbranch_execnz .LBB812_208
.LBB812_47:
	s_wait_alu 0xfffe
	s_or_b32 exec_lo, exec_lo, s0
                                        ; implicit-def: $vgpr240_vgpr241
	s_and_saveexec_b32 s0, s14
	s_cbranch_execnz .LBB812_209
.LBB812_48:
	s_wait_alu 0xfffe
	s_or_b32 exec_lo, exec_lo, s0
                                        ; implicit-def: $vgpr242_vgpr243
	s_and_saveexec_b32 s0, s15
	s_cbranch_execnz .LBB812_210
.LBB812_49:
	s_wait_alu 0xfffe
	s_or_b32 exec_lo, exec_lo, s0
                                        ; implicit-def: $vgpr244_vgpr245
	s_and_saveexec_b32 s0, s16
	s_cbranch_execz .LBB812_51
.LBB812_50:
	flat_load_b64 v[244:245], v[0:1] offset:3840
.LBB812_51:
	s_wait_alu 0xfffe
	s_or_b32 exec_lo, exec_lo, s0
	v_lshl_add_u32 v0, v21, 5, v12
	v_and_b32_e32 v1, 0x3e0, v21
	v_and_b32_e32 v4, 15, v22
	s_getpc_b64 s[0:1]
	s_wait_alu 0xfffe
	s_sext_i32_i16 s1, s1
	s_add_co_u32 s0, s0, _ZN7rocprim17ROCPRIM_400000_NS16block_radix_sortIlLj256ELj16ElLj1ELj1ELj8ELNS0_26block_radix_rank_algorithmE2ELNS0_18block_padding_hintE2ELNS0_4arch9wavefront6targetE0EE19radix_bits_per_passE@rel32@lo+12
	s_wait_alu 0xfffe
	s_add_co_ci_u32 s1, s1, _ZN7rocprim17ROCPRIM_400000_NS16block_radix_sortIlLj256ELj16ElLj1ELj1ELj8ELNS0_26block_radix_rank_algorithmE2ELNS0_18block_padding_hintE2ELNS0_4arch9wavefront6targetE0EE19radix_bits_per_passE@rel32@hi+24
	v_sub_co_u32 v5, s2, v22, 1
	v_add_nc_u32_e32 v246, 32, v0
	v_add_nc_u32_e32 v247, 36, v0
	v_add_nc_u32_e32 v40, 40, v0
	v_add_nc_u32_e32 v41, 44, v0
	v_add_nc_u32_e32 v42, 48, v0
	v_add_nc_u32_e32 v43, 52, v0
	v_add_nc_u32_e32 v44, 56, v0
	v_add_nc_u32_e32 v45, 60, v0
	v_min_u32_e32 v0, 0xe0, v1
	s_load_b32 s16, s[0:1], 0x0
	v_cmp_eq_u32_e32 vcc_lo, 0, v4
	v_cmp_lt_u32_e64 s0, 1, v4
	v_cmp_lt_u32_e64 s1, 3, v4
	v_or_b32_e32 v0, 31, v0
	v_cmp_lt_u32_e64 s3, 7, v4
	v_lshlrev_b32_e32 v4, 4, v21
	v_and_b32_e32 v1, 16, v22
	v_cmp_gt_i32_e64 s6, 0, v5
	v_cmp_eq_u32_e64 s5, v21, v0
	v_lshrrev_b32_e32 v0, 3, v21
	v_and_or_b32 v4, 0x3e00, v4, v22
	v_cmp_eq_u32_e64 s4, 0, v1
	s_wait_alu 0xf1ff
	v_cndmask_b32_e64 v1, v5, v22, s6
	v_and_b32_e32 v5, 7, v22
	v_and_b32_e32 v0, 0x7c, v0
	v_lshl_add_u32 v58, v4, 3, v12
	v_lshrrev_b32_e32 v46, 5, v114
	v_cmp_gt_u32_e64 s6, 8, v21
	v_cmp_lt_u32_e64 s7, 31, v21
	v_add_nc_u32_e32 v56, v12, v0
	v_lshlrev_b32_e32 v47, 2, v1
	v_cmp_eq_u32_e64 s10, 0, v21
	v_mov_b32_e32 v1, 0
	v_lshl_add_u32 v57, v21, 2, v12
	v_cmp_eq_u32_e64 s11, 0, v5
	v_cmp_lt_u32_e64 s12, 1, v5
	v_cmp_lt_u32_e64 s13, 3, v5
	v_add_nc_u32_e32 v59, -4, v56
	v_add_nc_u32_e32 v60, 0x100, v58
	v_add_nc_u32_e32 v61, 0x200, v58
	;; [unrolled: 1-line block ×15, first 2 shown]
	v_sub_nc_u32_e32 v91, v11, v10
	s_mov_b32 s17, 0
	s_wait_storecnt 0x0
	s_wait_loadcnt_dscnt 0x0
	s_barrier_signal -1
	s_barrier_wait -1
	global_inv scope:SCOPE_SE
	s_branch .LBB812_53
.LBB812_52:                             ;   in Loop: Header=BB812_53 Depth=1
	s_wait_alu 0xfffe
	s_or_b32 exec_lo, exec_lo, s15
	s_delay_alu instid0(SALU_CYCLE_1)
	s_and_b32 s14, exec_lo, s20
	s_wait_alu 0xfffe
	s_or_b32 s17, s14, s17
	s_wait_alu 0xfffe
	s_and_not1_b32 exec_lo, exec_lo, s17
	s_cbranch_execz .LBB812_93
.LBB812_53:                             ; =>This Inner Loop Header: Depth=1
	s_wait_kmcnt 0x0
	v_min_u32_e32 v0, s16, v91
	v_dual_mov_b32 v36, v128 :: v_dual_mov_b32 v37, v129
	v_dual_mov_b32 v17, v182 :: v_dual_mov_b32 v18, v183
	s_delay_alu instid0(VALU_DEP_3) | instskip(SKIP_1) | instid1(VALU_DEP_4)
	v_lshlrev_b32_e64 v0, v0, -1
	v_mov_b32_e32 v50, v240
	v_lshrrev_b64 v[34:35], v10, v[36:37]
	v_mov_b32_e32 v52, v132
	v_mov_b32_e32 v54, v117
	v_not_b32_e32 v182, v0
	v_mov_b32_e32 v48, v242
	v_mov_b32_e32 v68, v134
	;; [unrolled: 1-line block ×3, first 2 shown]
	v_dual_mov_b32 v8, v192 :: v_dual_mov_b32 v9, v193
	v_dual_mov_b32 v51, v241 :: v_dual_and_b32 v0, v34, v182
	v_mov_b32_e32 v38, v130
	v_dual_mov_b32 v80, v160 :: v_dual_mov_b32 v53, v133
	s_delay_alu instid0(VALU_DEP_3)
	v_and_b32_e32 v64, 1, v0
	v_lshlrev_b32_e32 v83, 30, v0
	v_lshlrev_b32_e32 v85, 29, v0
	;; [unrolled: 1-line block ×4, first 2 shown]
	v_add_co_u32 v82, s14, v64, -1
	s_wait_alu 0xf1ff
	v_cndmask_b32_e64 v70, 0, 1, s14
	v_not_b32_e32 v84, v83
	v_not_b32_e32 v87, v85
	v_dual_mov_b32 v34, v244 :: v_dual_lshlrev_b32 v101, 26, v0
	v_mov_b32_e32 v55, v118
	v_cmp_ne_u32_e64 s14, 0, v70
	v_ashrrev_i32_e32 v84, 31, v84
	v_ashrrev_i32_e32 v87, 31, v87
	v_dual_mov_b32 v39, v131 :: v_dual_lshlrev_b32 v128, 24, v0
	s_wait_alu 0xf1ff
	v_xor_b32_e32 v86, s14, v82
	v_cmp_gt_i32_e64 s14, 0, v83
	v_dual_mov_b32 v64, v144 :: v_dual_mov_b32 v69, v135
	v_not_b32_e32 v130, v128
	s_delay_alu instid0(VALU_DEP_4)
	v_and_b32_e32 v86, exec_lo, v86
	s_wait_alu 0xf1ff
	v_xor_b32_e32 v97, s14, v84
	v_cmp_gt_i32_e64 s14, 0, v85
	v_dual_mov_b32 v84, v164 :: v_dual_mov_b32 v85, v165
	v_dual_mov_b32 v70, v146 :: v_dual_mov_b32 v81, v161
	s_delay_alu instid0(VALU_DEP_4)
	v_and_b32_e32 v97, v86, v97
	s_wait_alu 0xf1ff
	v_xor_b32_e32 v100, s14, v87
	v_dual_mov_b32 v86, v162 :: v_dual_mov_b32 v87, v163
	v_not_b32_e32 v98, v96
	v_cmp_gt_i32_e64 s14, 0, v96
	s_delay_alu instid0(VALU_DEP_4) | instskip(SKIP_1) | instid1(VALU_DEP_4)
	v_and_b32_e32 v100, v97, v100
	v_dual_mov_b32 v4, v196 :: v_dual_mov_b32 v5, v197
	v_ashrrev_i32_e32 v96, 31, v98
	v_not_b32_e32 v98, v99
	v_dual_mov_b32 v15, v194 :: v_dual_mov_b32 v16, v195
	v_dual_mov_b32 v13, v208 :: v_dual_mov_b32 v14, v209
	s_wait_alu 0xf1ff
	v_xor_b32_e32 v102, s14, v96
	v_cmp_gt_i32_e64 s14, 0, v99
	v_ashrrev_i32_e32 v98, 31, v98
	v_mov_b32_e32 v96, v176
	v_not_b32_e32 v99, v101
	v_dual_mov_b32 v24, v198 :: v_dual_mov_b32 v25, v199
	s_wait_alu 0xf1ff
	v_xor_b32_e32 v103, s14, v98
	v_cmp_gt_i32_e64 s14, 0, v101
	v_ashrrev_i32_e32 v101, 31, v99
	v_dual_mov_b32 v98, v166 :: v_dual_mov_b32 v99, v167
	v_dual_mov_b32 v97, v177 :: v_dual_and_b32 v100, v100, v102
	s_wait_alu 0xf1ff
	s_delay_alu instid0(VALU_DEP_3)
	v_xor_b32_e32 v129, s14, v101
	v_lshlrev_b32_e32 v102, 25, v0
	v_lshl_add_u32 v0, v0, 3, v46
	v_dual_mov_b32 v22, v210 :: v_dual_mov_b32 v23, v211
	v_and_b32_e32 v118, v100, v103
	v_dual_mov_b32 v19, v212 :: v_dual_mov_b32 v20, v213
	v_dual_mov_b32 v32, v214 :: v_dual_mov_b32 v33, v215
	s_delay_alu instid0(VALU_DEP_3)
	v_and_b32_e32 v118, v118, v129
	v_dual_mov_b32 v100, v180 :: v_dual_mov_b32 v101, v181
	v_not_b32_e32 v117, v102
	v_cmp_gt_i32_e64 s14, 0, v102
	v_mov_b32_e32 v102, v178
	v_dual_mov_b32 v30, v224 :: v_dual_mov_b32 v31, v225
	s_delay_alu instid0(VALU_DEP_4) | instskip(SKIP_3) | instid1(VALU_DEP_3)
	v_ashrrev_i32_e32 v117, 31, v117
	v_dual_mov_b32 v28, v226 :: v_dual_mov_b32 v29, v227
	v_dual_mov_b32 v26, v228 :: v_dual_mov_b32 v27, v229
	s_wait_alu 0xf1ff
	v_xor_b32_e32 v117, s14, v117
	v_cmp_gt_i32_e64 s14, 0, v128
	v_ashrrev_i32_e32 v128, 31, v130
	v_dual_mov_b32 v115, v230 :: v_dual_mov_b32 v116, v231
	s_delay_alu instid0(VALU_DEP_4)
	v_and_b32_e32 v117, v118, v117
	v_mov_b32_e32 v49, v243
	s_wait_alu 0xf1ff
	v_xor_b32_e32 v118, s14, v128
	v_lshlrev_b64_e32 v[128:129], 2, v[0:1]
	v_mov_b32_e32 v35, v245
	v_mov_b32_e32 v65, v145
	;; [unrolled: 1-line block ×3, first 2 shown]
	v_dual_mov_b32 v71, v147 :: v_dual_and_b32 v118, v117, v118
	v_add_co_u32 v117, null, v12, v128
	v_dual_mov_b32 v82, v150 :: v_dual_mov_b32 v83, v151
	s_delay_alu instid0(VALU_DEP_3) | instskip(SKIP_3) | instid1(VALU_DEP_4)
	v_mbcnt_lo_u32_b32 v0, v118, 0
	v_cmp_ne_u32_e64 s15, 0, v118
	v_mov_b32_e32 v103, v179
	v_add_co_u32 v117, null, v117, 32
	v_cmp_eq_u32_e64 s14, 0, v0
	ds_store_b32 v246, v1
	ds_store_b32 v247, v1
	;; [unrolled: 1-line block ×7, first 2 shown]
	s_and_b32 s15, s15, s14
	ds_store_b32 v45, v1
	s_wait_loadcnt_dscnt 0x0
	s_barrier_signal -1
	s_barrier_wait -1
	global_inv scope:SCOPE_SE
	; wave barrier
	s_wait_alu 0xfffe
	s_and_saveexec_b32 s14, s15
; %bb.54:                               ;   in Loop: Header=BB812_53 Depth=1
	v_bcnt_u32_b32 v118, v118, 0
	ds_store_b32 v117, v118
; %bb.55:                               ;   in Loop: Header=BB812_53 Depth=1
	s_wait_alu 0xfffe
	s_or_b32 exec_lo, exec_lo, s14
	v_lshrrev_b64 v[128:129], v10, v[54:55]
	; wave barrier
	s_delay_alu instid0(VALU_DEP_1) | instskip(NEXT) | instid1(VALU_DEP_1)
	v_and_b32_e32 v118, v128, v182
	v_and_b32_e32 v128, 1, v118
	v_lshlrev_b32_e32 v129, 30, v118
	v_lshlrev_b32_e32 v130, 29, v118
	v_lshlrev_b32_e32 v131, 28, v118
	v_lshlrev_b32_e32 v133, 27, v118
	v_add_co_u32 v128, s14, v128, -1
	s_wait_alu 0xf1ff
	v_cndmask_b32_e64 v132, 0, 1, s14
	v_not_b32_e32 v144, v129
	v_cmp_gt_i32_e64 s15, 0, v129
	v_not_b32_e32 v129, v130
	v_lshlrev_b32_e32 v134, 26, v118
	v_cmp_ne_u32_e64 s14, 0, v132
	v_ashrrev_i32_e32 v144, 31, v144
	v_lshlrev_b32_e32 v135, 25, v118
	v_ashrrev_i32_e32 v129, 31, v129
	v_lshlrev_b32_e32 v132, 24, v118
	s_wait_alu 0xf1ff
	v_xor_b32_e32 v128, s14, v128
	v_cmp_gt_i32_e64 s14, 0, v130
	v_not_b32_e32 v130, v131
	v_xor_b32_e32 v144, s15, v144
	v_cmp_gt_i32_e64 s15, 0, v131
	v_and_b32_e32 v128, exec_lo, v128
	v_not_b32_e32 v131, v133
	v_ashrrev_i32_e32 v130, 31, v130
	s_wait_alu 0xf1ff
	v_xor_b32_e32 v129, s14, v129
	v_cmp_gt_i32_e64 s14, 0, v133
	v_and_b32_e32 v128, v128, v144
	v_not_b32_e32 v133, v134
	v_ashrrev_i32_e32 v131, 31, v131
	v_xor_b32_e32 v130, s15, v130
	v_cmp_gt_i32_e64 s15, 0, v134
	v_and_b32_e32 v128, v128, v129
	v_not_b32_e32 v129, v135
	v_ashrrev_i32_e32 v133, 31, v133
	s_wait_alu 0xf1ff
	v_xor_b32_e32 v131, s14, v131
	v_cmp_gt_i32_e64 s14, 0, v135
	v_and_b32_e32 v128, v128, v130
	v_not_b32_e32 v130, v132
	v_ashrrev_i32_e32 v129, 31, v129
	v_xor_b32_e32 v133, s15, v133
	v_lshl_add_u32 v118, v118, 3, v46
	v_and_b32_e32 v128, v128, v131
	v_cmp_gt_i32_e64 s15, 0, v132
	v_ashrrev_i32_e32 v130, 31, v130
	s_wait_alu 0xf1ff
	v_xor_b32_e32 v129, s14, v129
	v_lshl_add_u32 v131, v118, 2, v12
	v_and_b32_e32 v128, v128, v133
	v_xor_b32_e32 v130, s15, v130
	ds_load_b32 v118, v131 offset:32
	v_and_b32_e32 v128, v128, v129
	v_add_nc_u32_e32 v129, 32, v131
	; wave barrier
	s_delay_alu instid0(VALU_DEP_2) | instskip(NEXT) | instid1(VALU_DEP_1)
	v_and_b32_e32 v130, v128, v130
	v_mbcnt_lo_u32_b32 v128, v130, 0
	v_cmp_ne_u32_e64 s15, 0, v130
	s_delay_alu instid0(VALU_DEP_2)
	v_cmp_eq_u32_e64 s14, 0, v128
	s_and_b32 s15, s15, s14
	s_wait_alu 0xfffe
	s_and_saveexec_b32 s14, s15
	s_cbranch_execz .LBB812_57
; %bb.56:                               ;   in Loop: Header=BB812_53 Depth=1
	s_wait_dscnt 0x0
	v_bcnt_u32_b32 v130, v130, v118
	ds_store_b32 v129, v130
.LBB812_57:                             ;   in Loop: Header=BB812_53 Depth=1
	s_wait_alu 0xfffe
	s_or_b32 exec_lo, exec_lo, s14
	v_lshrrev_b64 v[130:131], v10, v[52:53]
	; wave barrier
	s_delay_alu instid0(VALU_DEP_1) | instskip(NEXT) | instid1(VALU_DEP_1)
	v_and_b32_e32 v130, v130, v182
	v_and_b32_e32 v131, 1, v130
	v_lshlrev_b32_e32 v132, 30, v130
	v_lshlrev_b32_e32 v133, 29, v130
	;; [unrolled: 1-line block ×4, first 2 shown]
	v_add_co_u32 v131, s14, v131, -1
	s_wait_alu 0xf1ff
	v_cndmask_b32_e64 v135, 0, 1, s14
	v_not_b32_e32 v147, v132
	v_cmp_gt_i32_e64 s15, 0, v132
	v_not_b32_e32 v132, v133
	v_lshlrev_b32_e32 v145, 26, v130
	v_cmp_ne_u32_e64 s14, 0, v135
	v_ashrrev_i32_e32 v147, 31, v147
	v_lshlrev_b32_e32 v146, 25, v130
	v_ashrrev_i32_e32 v132, 31, v132
	v_lshlrev_b32_e32 v135, 24, v130
	s_wait_alu 0xf1ff
	v_xor_b32_e32 v131, s14, v131
	v_cmp_gt_i32_e64 s14, 0, v133
	v_not_b32_e32 v133, v134
	v_xor_b32_e32 v147, s15, v147
	v_cmp_gt_i32_e64 s15, 0, v134
	v_and_b32_e32 v131, exec_lo, v131
	v_not_b32_e32 v134, v144
	v_ashrrev_i32_e32 v133, 31, v133
	s_wait_alu 0xf1ff
	v_xor_b32_e32 v132, s14, v132
	v_cmp_gt_i32_e64 s14, 0, v144
	v_and_b32_e32 v131, v131, v147
	v_not_b32_e32 v144, v145
	v_ashrrev_i32_e32 v134, 31, v134
	v_xor_b32_e32 v133, s15, v133
	v_cmp_gt_i32_e64 s15, 0, v145
	v_and_b32_e32 v131, v131, v132
	v_not_b32_e32 v132, v146
	v_ashrrev_i32_e32 v144, 31, v144
	s_wait_alu 0xf1ff
	v_xor_b32_e32 v134, s14, v134
	v_cmp_gt_i32_e64 s14, 0, v146
	v_and_b32_e32 v131, v131, v133
	v_not_b32_e32 v133, v135
	v_ashrrev_i32_e32 v132, 31, v132
	v_xor_b32_e32 v144, s15, v144
	v_lshl_add_u32 v130, v130, 3, v46
	v_and_b32_e32 v131, v131, v134
	v_cmp_gt_i32_e64 s15, 0, v135
	v_ashrrev_i32_e32 v133, 31, v133
	s_wait_alu 0xf1ff
	v_xor_b32_e32 v132, s14, v132
	v_lshl_add_u32 v134, v130, 2, v12
	v_and_b32_e32 v131, v131, v144
	v_xor_b32_e32 v133, s15, v133
	ds_load_b32 v130, v134 offset:32
	v_and_b32_e32 v131, v131, v132
	v_add_nc_u32_e32 v132, 32, v134
	; wave barrier
	s_delay_alu instid0(VALU_DEP_2) | instskip(NEXT) | instid1(VALU_DEP_1)
	v_and_b32_e32 v133, v131, v133
	v_mbcnt_lo_u32_b32 v131, v133, 0
	v_cmp_ne_u32_e64 s15, 0, v133
	s_delay_alu instid0(VALU_DEP_2)
	v_cmp_eq_u32_e64 s14, 0, v131
	s_and_b32 s15, s15, s14
	s_wait_alu 0xfffe
	s_and_saveexec_b32 s14, s15
	s_cbranch_execz .LBB812_59
; %bb.58:                               ;   in Loop: Header=BB812_53 Depth=1
	s_wait_dscnt 0x0
	v_bcnt_u32_b32 v133, v133, v130
	ds_store_b32 v132, v133
.LBB812_59:                             ;   in Loop: Header=BB812_53 Depth=1
	s_wait_alu 0xfffe
	s_or_b32 exec_lo, exec_lo, s14
	v_lshrrev_b64 v[133:134], v10, v[38:39]
	; wave barrier
	s_delay_alu instid0(VALU_DEP_1) | instskip(NEXT) | instid1(VALU_DEP_1)
	v_and_b32_e32 v133, v133, v182
	v_and_b32_e32 v134, 1, v133
	v_lshlrev_b32_e32 v135, 30, v133
	v_lshlrev_b32_e32 v144, 29, v133
	;; [unrolled: 1-line block ×4, first 2 shown]
	v_add_co_u32 v134, s14, v134, -1
	s_wait_alu 0xf1ff
	v_cndmask_b32_e64 v146, 0, 1, s14
	v_not_b32_e32 v150, v135
	v_cmp_gt_i32_e64 s15, 0, v135
	v_not_b32_e32 v135, v144
	v_lshlrev_b32_e32 v148, 26, v133
	v_cmp_ne_u32_e64 s14, 0, v146
	v_ashrrev_i32_e32 v150, 31, v150
	v_lshlrev_b32_e32 v149, 25, v133
	v_ashrrev_i32_e32 v135, 31, v135
	v_lshlrev_b32_e32 v146, 24, v133
	s_wait_alu 0xf1ff
	v_xor_b32_e32 v134, s14, v134
	v_cmp_gt_i32_e64 s14, 0, v144
	v_not_b32_e32 v144, v145
	v_xor_b32_e32 v150, s15, v150
	v_cmp_gt_i32_e64 s15, 0, v145
	v_and_b32_e32 v134, exec_lo, v134
	v_not_b32_e32 v145, v147
	v_ashrrev_i32_e32 v144, 31, v144
	s_wait_alu 0xf1ff
	v_xor_b32_e32 v135, s14, v135
	v_cmp_gt_i32_e64 s14, 0, v147
	v_and_b32_e32 v134, v134, v150
	v_not_b32_e32 v147, v148
	v_ashrrev_i32_e32 v145, 31, v145
	v_xor_b32_e32 v144, s15, v144
	v_cmp_gt_i32_e64 s15, 0, v148
	v_and_b32_e32 v134, v134, v135
	v_not_b32_e32 v135, v149
	v_ashrrev_i32_e32 v147, 31, v147
	s_wait_alu 0xf1ff
	v_xor_b32_e32 v145, s14, v145
	v_cmp_gt_i32_e64 s14, 0, v149
	v_and_b32_e32 v134, v134, v144
	v_not_b32_e32 v144, v146
	v_ashrrev_i32_e32 v135, 31, v135
	v_xor_b32_e32 v147, s15, v147
	v_lshl_add_u32 v133, v133, 3, v46
	v_and_b32_e32 v134, v134, v145
	v_cmp_gt_i32_e64 s15, 0, v146
	v_ashrrev_i32_e32 v144, 31, v144
	s_wait_alu 0xf1ff
	v_xor_b32_e32 v135, s14, v135
	v_lshl_add_u32 v145, v133, 2, v12
	v_and_b32_e32 v134, v134, v147
	v_xor_b32_e32 v144, s15, v144
	ds_load_b32 v133, v145 offset:32
	v_and_b32_e32 v134, v134, v135
	v_add_nc_u32_e32 v135, 32, v145
	; wave barrier
	s_delay_alu instid0(VALU_DEP_2) | instskip(NEXT) | instid1(VALU_DEP_1)
	v_and_b32_e32 v144, v134, v144
	v_mbcnt_lo_u32_b32 v134, v144, 0
	v_cmp_ne_u32_e64 s15, 0, v144
	s_delay_alu instid0(VALU_DEP_2)
	v_cmp_eq_u32_e64 s14, 0, v134
	s_and_b32 s15, s15, s14
	s_wait_alu 0xfffe
	s_and_saveexec_b32 s14, s15
	s_cbranch_execz .LBB812_61
; %bb.60:                               ;   in Loop: Header=BB812_53 Depth=1
	s_wait_dscnt 0x0
	v_bcnt_u32_b32 v144, v144, v133
	ds_store_b32 v135, v144
.LBB812_61:                             ;   in Loop: Header=BB812_53 Depth=1
	s_wait_alu 0xfffe
	s_or_b32 exec_lo, exec_lo, s14
	v_lshrrev_b64 v[144:145], v10, v[64:65]
	; wave barrier
	s_delay_alu instid0(VALU_DEP_1) | instskip(NEXT) | instid1(VALU_DEP_1)
	v_and_b32_e32 v144, v144, v182
	v_and_b32_e32 v145, 1, v144
	v_lshlrev_b32_e32 v146, 30, v144
	v_lshlrev_b32_e32 v147, 29, v144
	v_lshlrev_b32_e32 v148, 28, v144
	v_lshlrev_b32_e32 v150, 27, v144
	v_add_co_u32 v145, s14, v145, -1
	s_wait_alu 0xf1ff
	v_cndmask_b32_e64 v149, 0, 1, s14
	v_not_b32_e32 v161, v146
	v_cmp_gt_i32_e64 s15, 0, v146
	v_not_b32_e32 v146, v147
	v_lshlrev_b32_e32 v151, 26, v144
	v_cmp_ne_u32_e64 s14, 0, v149
	v_ashrrev_i32_e32 v161, 31, v161
	v_lshlrev_b32_e32 v160, 25, v144
	v_ashrrev_i32_e32 v146, 31, v146
	v_lshlrev_b32_e32 v149, 24, v144
	s_wait_alu 0xf1ff
	v_xor_b32_e32 v145, s14, v145
	v_cmp_gt_i32_e64 s14, 0, v147
	v_not_b32_e32 v147, v148
	v_xor_b32_e32 v161, s15, v161
	v_cmp_gt_i32_e64 s15, 0, v148
	v_and_b32_e32 v145, exec_lo, v145
	v_not_b32_e32 v148, v150
	v_ashrrev_i32_e32 v147, 31, v147
	s_wait_alu 0xf1ff
	v_xor_b32_e32 v146, s14, v146
	v_cmp_gt_i32_e64 s14, 0, v150
	v_and_b32_e32 v145, v145, v161
	v_not_b32_e32 v150, v151
	v_ashrrev_i32_e32 v148, 31, v148
	v_xor_b32_e32 v147, s15, v147
	v_cmp_gt_i32_e64 s15, 0, v151
	v_and_b32_e32 v145, v145, v146
	v_not_b32_e32 v146, v160
	v_ashrrev_i32_e32 v150, 31, v150
	s_wait_alu 0xf1ff
	v_xor_b32_e32 v148, s14, v148
	v_cmp_gt_i32_e64 s14, 0, v160
	v_and_b32_e32 v145, v145, v147
	v_not_b32_e32 v147, v149
	v_ashrrev_i32_e32 v146, 31, v146
	v_xor_b32_e32 v150, s15, v150
	v_lshl_add_u32 v144, v144, 3, v46
	v_and_b32_e32 v145, v145, v148
	v_cmp_gt_i32_e64 s15, 0, v149
	v_ashrrev_i32_e32 v147, 31, v147
	s_wait_alu 0xf1ff
	v_xor_b32_e32 v146, s14, v146
	v_lshl_add_u32 v148, v144, 2, v12
	v_and_b32_e32 v145, v145, v150
	v_xor_b32_e32 v147, s15, v147
	ds_load_b32 v144, v148 offset:32
	v_and_b32_e32 v145, v145, v146
	v_add_nc_u32_e32 v146, 32, v148
	; wave barrier
	s_delay_alu instid0(VALU_DEP_2) | instskip(NEXT) | instid1(VALU_DEP_1)
	v_and_b32_e32 v147, v145, v147
	v_mbcnt_lo_u32_b32 v145, v147, 0
	v_cmp_ne_u32_e64 s15, 0, v147
	s_delay_alu instid0(VALU_DEP_2)
	v_cmp_eq_u32_e64 s14, 0, v145
	s_and_b32 s15, s15, s14
	s_wait_alu 0xfffe
	s_and_saveexec_b32 s14, s15
	s_cbranch_execz .LBB812_63
; %bb.62:                               ;   in Loop: Header=BB812_53 Depth=1
	s_wait_dscnt 0x0
	v_bcnt_u32_b32 v147, v147, v144
	ds_store_b32 v146, v147
.LBB812_63:                             ;   in Loop: Header=BB812_53 Depth=1
	s_wait_alu 0xfffe
	s_or_b32 exec_lo, exec_lo, s14
	v_lshrrev_b64 v[147:148], v10, v[68:69]
	; wave barrier
	s_delay_alu instid0(VALU_DEP_1) | instskip(NEXT) | instid1(VALU_DEP_1)
	v_and_b32_e32 v147, v147, v182
	v_and_b32_e32 v148, 1, v147
	v_lshlrev_b32_e32 v149, 30, v147
	v_lshlrev_b32_e32 v150, 29, v147
	;; [unrolled: 1-line block ×4, first 2 shown]
	v_add_co_u32 v148, s14, v148, -1
	s_wait_alu 0xf1ff
	v_cndmask_b32_e64 v160, 0, 1, s14
	v_not_b32_e32 v164, v149
	v_cmp_gt_i32_e64 s15, 0, v149
	v_not_b32_e32 v149, v150
	v_lshlrev_b32_e32 v162, 26, v147
	v_cmp_ne_u32_e64 s14, 0, v160
	v_ashrrev_i32_e32 v164, 31, v164
	v_lshlrev_b32_e32 v163, 25, v147
	v_ashrrev_i32_e32 v149, 31, v149
	v_lshlrev_b32_e32 v160, 24, v147
	s_wait_alu 0xf1ff
	v_xor_b32_e32 v148, s14, v148
	v_cmp_gt_i32_e64 s14, 0, v150
	v_not_b32_e32 v150, v151
	v_xor_b32_e32 v164, s15, v164
	v_cmp_gt_i32_e64 s15, 0, v151
	v_and_b32_e32 v148, exec_lo, v148
	v_not_b32_e32 v151, v161
	v_ashrrev_i32_e32 v150, 31, v150
	s_wait_alu 0xf1ff
	v_xor_b32_e32 v149, s14, v149
	v_cmp_gt_i32_e64 s14, 0, v161
	v_and_b32_e32 v148, v148, v164
	v_not_b32_e32 v161, v162
	v_ashrrev_i32_e32 v151, 31, v151
	v_xor_b32_e32 v150, s15, v150
	v_cmp_gt_i32_e64 s15, 0, v162
	v_and_b32_e32 v148, v148, v149
	v_not_b32_e32 v149, v163
	v_ashrrev_i32_e32 v161, 31, v161
	s_wait_alu 0xf1ff
	v_xor_b32_e32 v151, s14, v151
	v_cmp_gt_i32_e64 s14, 0, v163
	v_and_b32_e32 v148, v148, v150
	v_not_b32_e32 v150, v160
	v_ashrrev_i32_e32 v149, 31, v149
	v_xor_b32_e32 v161, s15, v161
	v_lshl_add_u32 v147, v147, 3, v46
	v_and_b32_e32 v148, v148, v151
	v_cmp_gt_i32_e64 s15, 0, v160
	v_ashrrev_i32_e32 v150, 31, v150
	s_wait_alu 0xf1ff
	v_xor_b32_e32 v149, s14, v149
	v_lshl_add_u32 v151, v147, 2, v12
	v_and_b32_e32 v148, v148, v161
	v_xor_b32_e32 v150, s15, v150
	ds_load_b32 v147, v151 offset:32
	v_and_b32_e32 v148, v148, v149
	v_add_nc_u32_e32 v149, 32, v151
	; wave barrier
	s_delay_alu instid0(VALU_DEP_2) | instskip(NEXT) | instid1(VALU_DEP_1)
	v_and_b32_e32 v150, v148, v150
	v_mbcnt_lo_u32_b32 v148, v150, 0
	v_cmp_ne_u32_e64 s15, 0, v150
	s_delay_alu instid0(VALU_DEP_2)
	v_cmp_eq_u32_e64 s14, 0, v148
	s_and_b32 s15, s15, s14
	s_wait_alu 0xfffe
	s_and_saveexec_b32 s14, s15
	s_cbranch_execz .LBB812_65
; %bb.64:                               ;   in Loop: Header=BB812_53 Depth=1
	s_wait_dscnt 0x0
	v_bcnt_u32_b32 v150, v150, v147
	ds_store_b32 v149, v150
.LBB812_65:                             ;   in Loop: Header=BB812_53 Depth=1
	s_wait_alu 0xfffe
	s_or_b32 exec_lo, exec_lo, s14
	v_lshrrev_b64 v[150:151], v10, v[66:67]
	; wave barrier
	s_delay_alu instid0(VALU_DEP_1) | instskip(NEXT) | instid1(VALU_DEP_1)
	v_and_b32_e32 v150, v150, v182
	v_and_b32_e32 v151, 1, v150
	v_lshlrev_b32_e32 v160, 30, v150
	v_lshlrev_b32_e32 v161, 29, v150
	;; [unrolled: 1-line block ×4, first 2 shown]
	v_add_co_u32 v151, s14, v151, -1
	s_wait_alu 0xf1ff
	v_cndmask_b32_e64 v163, 0, 1, s14
	v_not_b32_e32 v167, v160
	v_cmp_gt_i32_e64 s15, 0, v160
	v_not_b32_e32 v160, v161
	v_lshlrev_b32_e32 v165, 26, v150
	v_cmp_ne_u32_e64 s14, 0, v163
	v_ashrrev_i32_e32 v167, 31, v167
	v_lshlrev_b32_e32 v166, 25, v150
	v_ashrrev_i32_e32 v160, 31, v160
	v_lshlrev_b32_e32 v163, 24, v150
	s_wait_alu 0xf1ff
	v_xor_b32_e32 v151, s14, v151
	v_cmp_gt_i32_e64 s14, 0, v161
	v_not_b32_e32 v161, v162
	v_xor_b32_e32 v167, s15, v167
	v_cmp_gt_i32_e64 s15, 0, v162
	v_and_b32_e32 v151, exec_lo, v151
	v_not_b32_e32 v162, v164
	v_ashrrev_i32_e32 v161, 31, v161
	s_wait_alu 0xf1ff
	v_xor_b32_e32 v160, s14, v160
	v_cmp_gt_i32_e64 s14, 0, v164
	v_and_b32_e32 v151, v151, v167
	v_not_b32_e32 v164, v165
	v_ashrrev_i32_e32 v162, 31, v162
	v_xor_b32_e32 v161, s15, v161
	v_cmp_gt_i32_e64 s15, 0, v165
	v_and_b32_e32 v151, v151, v160
	v_not_b32_e32 v160, v166
	v_ashrrev_i32_e32 v164, 31, v164
	s_wait_alu 0xf1ff
	v_xor_b32_e32 v162, s14, v162
	v_cmp_gt_i32_e64 s14, 0, v166
	v_and_b32_e32 v151, v151, v161
	v_not_b32_e32 v161, v163
	v_ashrrev_i32_e32 v160, 31, v160
	v_xor_b32_e32 v164, s15, v164
	v_lshl_add_u32 v150, v150, 3, v46
	v_and_b32_e32 v151, v151, v162
	v_cmp_gt_i32_e64 s15, 0, v163
	v_ashrrev_i32_e32 v161, 31, v161
	s_wait_alu 0xf1ff
	v_xor_b32_e32 v160, s14, v160
	v_lshl_add_u32 v162, v150, 2, v12
	v_and_b32_e32 v151, v151, v164
	v_xor_b32_e32 v161, s15, v161
	ds_load_b32 v150, v162 offset:32
	v_and_b32_e32 v151, v151, v160
	v_add_nc_u32_e32 v160, 32, v162
	; wave barrier
	s_delay_alu instid0(VALU_DEP_2) | instskip(NEXT) | instid1(VALU_DEP_1)
	v_and_b32_e32 v161, v151, v161
	v_mbcnt_lo_u32_b32 v151, v161, 0
	v_cmp_ne_u32_e64 s15, 0, v161
	s_delay_alu instid0(VALU_DEP_2)
	v_cmp_eq_u32_e64 s14, 0, v151
	s_and_b32 s15, s15, s14
	s_wait_alu 0xfffe
	s_and_saveexec_b32 s14, s15
	s_cbranch_execz .LBB812_67
; %bb.66:                               ;   in Loop: Header=BB812_53 Depth=1
	s_wait_dscnt 0x0
	v_bcnt_u32_b32 v161, v161, v150
	ds_store_b32 v160, v161
.LBB812_67:                             ;   in Loop: Header=BB812_53 Depth=1
	s_wait_alu 0xfffe
	s_or_b32 exec_lo, exec_lo, s14
	v_lshrrev_b64 v[161:162], v10, v[70:71]
	; wave barrier
	s_delay_alu instid0(VALU_DEP_1) | instskip(NEXT) | instid1(VALU_DEP_1)
	v_and_b32_e32 v161, v161, v182
	v_and_b32_e32 v162, 1, v161
	v_lshlrev_b32_e32 v163, 30, v161
	v_lshlrev_b32_e32 v164, 29, v161
	;; [unrolled: 1-line block ×4, first 2 shown]
	v_add_co_u32 v162, s14, v162, -1
	s_wait_alu 0xf1ff
	v_cndmask_b32_e64 v166, 0, 1, s14
	v_not_b32_e32 v178, v163
	v_cmp_gt_i32_e64 s15, 0, v163
	v_not_b32_e32 v163, v164
	v_lshlrev_b32_e32 v176, 26, v161
	v_cmp_ne_u32_e64 s14, 0, v166
	v_ashrrev_i32_e32 v178, 31, v178
	v_lshlrev_b32_e32 v177, 25, v161
	v_ashrrev_i32_e32 v163, 31, v163
	v_lshlrev_b32_e32 v166, 24, v161
	s_wait_alu 0xf1ff
	v_xor_b32_e32 v162, s14, v162
	v_cmp_gt_i32_e64 s14, 0, v164
	v_not_b32_e32 v164, v165
	v_xor_b32_e32 v178, s15, v178
	v_cmp_gt_i32_e64 s15, 0, v165
	v_and_b32_e32 v162, exec_lo, v162
	v_not_b32_e32 v165, v167
	v_ashrrev_i32_e32 v164, 31, v164
	s_wait_alu 0xf1ff
	v_xor_b32_e32 v163, s14, v163
	v_cmp_gt_i32_e64 s14, 0, v167
	v_and_b32_e32 v162, v162, v178
	v_not_b32_e32 v167, v176
	v_ashrrev_i32_e32 v165, 31, v165
	v_xor_b32_e32 v164, s15, v164
	v_cmp_gt_i32_e64 s15, 0, v176
	v_and_b32_e32 v162, v162, v163
	v_not_b32_e32 v163, v177
	v_ashrrev_i32_e32 v167, 31, v167
	s_wait_alu 0xf1ff
	v_xor_b32_e32 v165, s14, v165
	v_cmp_gt_i32_e64 s14, 0, v177
	v_and_b32_e32 v162, v162, v164
	v_not_b32_e32 v164, v166
	v_ashrrev_i32_e32 v163, 31, v163
	v_xor_b32_e32 v167, s15, v167
	v_lshl_add_u32 v161, v161, 3, v46
	v_and_b32_e32 v162, v162, v165
	v_cmp_gt_i32_e64 s15, 0, v166
	v_ashrrev_i32_e32 v164, 31, v164
	s_wait_alu 0xf1ff
	v_xor_b32_e32 v163, s14, v163
	v_lshl_add_u32 v165, v161, 2, v12
	v_and_b32_e32 v162, v162, v167
	v_xor_b32_e32 v164, s15, v164
	ds_load_b32 v161, v165 offset:32
	v_and_b32_e32 v162, v162, v163
	v_add_nc_u32_e32 v163, 32, v165
	; wave barrier
	s_delay_alu instid0(VALU_DEP_2) | instskip(NEXT) | instid1(VALU_DEP_1)
	v_and_b32_e32 v164, v162, v164
	v_mbcnt_lo_u32_b32 v162, v164, 0
	v_cmp_ne_u32_e64 s15, 0, v164
	s_delay_alu instid0(VALU_DEP_2)
	v_cmp_eq_u32_e64 s14, 0, v162
	s_and_b32 s15, s15, s14
	s_wait_alu 0xfffe
	s_and_saveexec_b32 s14, s15
	s_cbranch_execz .LBB812_69
; %bb.68:                               ;   in Loop: Header=BB812_53 Depth=1
	s_wait_dscnt 0x0
	v_bcnt_u32_b32 v164, v164, v161
	ds_store_b32 v163, v164
.LBB812_69:                             ;   in Loop: Header=BB812_53 Depth=1
	s_wait_alu 0xfffe
	s_or_b32 exec_lo, exec_lo, s14
	v_lshrrev_b64 v[164:165], v10, v[80:81]
	; wave barrier
	s_delay_alu instid0(VALU_DEP_1) | instskip(NEXT) | instid1(VALU_DEP_1)
	v_and_b32_e32 v164, v164, v182
	v_and_b32_e32 v165, 1, v164
	v_lshlrev_b32_e32 v166, 30, v164
	v_lshlrev_b32_e32 v167, 29, v164
	;; [unrolled: 1-line block ×4, first 2 shown]
	v_add_co_u32 v165, s14, v165, -1
	s_wait_alu 0xf1ff
	v_cndmask_b32_e64 v177, 0, 1, s14
	v_not_b32_e32 v181, v166
	v_cmp_gt_i32_e64 s15, 0, v166
	v_not_b32_e32 v166, v167
	v_lshlrev_b32_e32 v179, 26, v164
	v_cmp_ne_u32_e64 s14, 0, v177
	v_ashrrev_i32_e32 v181, 31, v181
	v_lshlrev_b32_e32 v180, 25, v164
	v_ashrrev_i32_e32 v166, 31, v166
	v_lshlrev_b32_e32 v177, 24, v164
	s_wait_alu 0xf1ff
	v_xor_b32_e32 v165, s14, v165
	v_cmp_gt_i32_e64 s14, 0, v167
	v_not_b32_e32 v167, v176
	v_xor_b32_e32 v181, s15, v181
	v_cmp_gt_i32_e64 s15, 0, v176
	v_and_b32_e32 v165, exec_lo, v165
	v_not_b32_e32 v176, v178
	v_ashrrev_i32_e32 v167, 31, v167
	s_wait_alu 0xf1ff
	v_xor_b32_e32 v166, s14, v166
	v_cmp_gt_i32_e64 s14, 0, v178
	v_and_b32_e32 v165, v165, v181
	v_not_b32_e32 v178, v179
	v_ashrrev_i32_e32 v176, 31, v176
	v_xor_b32_e32 v167, s15, v167
	v_cmp_gt_i32_e64 s15, 0, v179
	v_and_b32_e32 v165, v165, v166
	v_not_b32_e32 v166, v180
	v_ashrrev_i32_e32 v178, 31, v178
	s_wait_alu 0xf1ff
	v_xor_b32_e32 v176, s14, v176
	v_cmp_gt_i32_e64 s14, 0, v180
	v_and_b32_e32 v165, v165, v167
	v_not_b32_e32 v167, v177
	v_ashrrev_i32_e32 v166, 31, v166
	v_xor_b32_e32 v178, s15, v178
	v_lshl_add_u32 v164, v164, 3, v46
	v_and_b32_e32 v165, v165, v176
	v_cmp_gt_i32_e64 s15, 0, v177
	v_ashrrev_i32_e32 v167, 31, v167
	s_wait_alu 0xf1ff
	v_xor_b32_e32 v166, s14, v166
	v_lshl_add_u32 v176, v164, 2, v12
	v_and_b32_e32 v165, v165, v178
	v_xor_b32_e32 v167, s15, v167
	ds_load_b32 v164, v176 offset:32
	v_and_b32_e32 v165, v165, v166
	v_add_nc_u32_e32 v166, 32, v176
	; wave barrier
	s_delay_alu instid0(VALU_DEP_2) | instskip(NEXT) | instid1(VALU_DEP_1)
	v_and_b32_e32 v167, v165, v167
	v_mbcnt_lo_u32_b32 v165, v167, 0
	v_cmp_ne_u32_e64 s15, 0, v167
	s_delay_alu instid0(VALU_DEP_2)
	v_cmp_eq_u32_e64 s14, 0, v165
	s_and_b32 s15, s15, s14
	s_wait_alu 0xfffe
	s_and_saveexec_b32 s14, s15
	s_cbranch_execz .LBB812_71
; %bb.70:                               ;   in Loop: Header=BB812_53 Depth=1
	s_wait_dscnt 0x0
	v_bcnt_u32_b32 v167, v167, v164
	ds_store_b32 v166, v167
.LBB812_71:                             ;   in Loop: Header=BB812_53 Depth=1
	s_wait_alu 0xfffe
	s_or_b32 exec_lo, exec_lo, s14
	v_lshrrev_b64 v[176:177], v10, v[82:83]
	; wave barrier
	s_delay_alu instid0(VALU_DEP_1) | instskip(NEXT) | instid1(VALU_DEP_1)
	v_and_b32_e32 v167, v176, v182
	v_and_b32_e32 v176, 1, v167
	v_lshlrev_b32_e32 v177, 30, v167
	v_lshlrev_b32_e32 v178, 29, v167
	;; [unrolled: 1-line block ×4, first 2 shown]
	v_add_co_u32 v176, s14, v176, -1
	s_wait_alu 0xf1ff
	v_cndmask_b32_e64 v180, 0, 1, s14
	v_not_b32_e32 v193, v177
	v_cmp_gt_i32_e64 s15, 0, v177
	v_not_b32_e32 v177, v178
	v_lshlrev_b32_e32 v183, 26, v167
	v_cmp_ne_u32_e64 s14, 0, v180
	v_ashrrev_i32_e32 v193, 31, v193
	v_lshlrev_b32_e32 v192, 25, v167
	v_ashrrev_i32_e32 v177, 31, v177
	v_lshlrev_b32_e32 v180, 24, v167
	s_wait_alu 0xf1ff
	v_xor_b32_e32 v176, s14, v176
	v_cmp_gt_i32_e64 s14, 0, v178
	v_not_b32_e32 v178, v179
	v_xor_b32_e32 v193, s15, v193
	v_cmp_gt_i32_e64 s15, 0, v179
	v_and_b32_e32 v176, exec_lo, v176
	v_not_b32_e32 v179, v181
	v_ashrrev_i32_e32 v178, 31, v178
	s_wait_alu 0xf1ff
	v_xor_b32_e32 v177, s14, v177
	v_cmp_gt_i32_e64 s14, 0, v181
	v_and_b32_e32 v176, v176, v193
	v_not_b32_e32 v181, v183
	v_ashrrev_i32_e32 v179, 31, v179
	v_xor_b32_e32 v178, s15, v178
	v_cmp_gt_i32_e64 s15, 0, v183
	v_and_b32_e32 v176, v176, v177
	v_not_b32_e32 v177, v192
	v_ashrrev_i32_e32 v181, 31, v181
	s_wait_alu 0xf1ff
	v_xor_b32_e32 v179, s14, v179
	v_cmp_gt_i32_e64 s14, 0, v192
	v_and_b32_e32 v176, v176, v178
	v_not_b32_e32 v178, v180
	v_ashrrev_i32_e32 v177, 31, v177
	v_xor_b32_e32 v181, s15, v181
	v_lshl_add_u32 v167, v167, 3, v46
	v_and_b32_e32 v176, v176, v179
	v_cmp_gt_i32_e64 s15, 0, v180
	v_ashrrev_i32_e32 v178, 31, v178
	s_wait_alu 0xf1ff
	v_xor_b32_e32 v177, s14, v177
	v_lshl_add_u32 v179, v167, 2, v12
	v_and_b32_e32 v176, v176, v181
	v_xor_b32_e32 v178, s15, v178
	ds_load_b32 v167, v179 offset:32
	v_and_b32_e32 v176, v176, v177
	v_add_nc_u32_e32 v177, 32, v179
	; wave barrier
	s_delay_alu instid0(VALU_DEP_2) | instskip(NEXT) | instid1(VALU_DEP_1)
	v_and_b32_e32 v178, v176, v178
	v_mbcnt_lo_u32_b32 v176, v178, 0
	v_cmp_ne_u32_e64 s15, 0, v178
	s_delay_alu instid0(VALU_DEP_2)
	v_cmp_eq_u32_e64 s14, 0, v176
	s_and_b32 s15, s15, s14
	s_wait_alu 0xfffe
	s_and_saveexec_b32 s14, s15
	s_cbranch_execz .LBB812_73
; %bb.72:                               ;   in Loop: Header=BB812_53 Depth=1
	s_wait_dscnt 0x0
	v_bcnt_u32_b32 v178, v178, v167
	ds_store_b32 v177, v178
.LBB812_73:                             ;   in Loop: Header=BB812_53 Depth=1
	s_wait_alu 0xfffe
	s_or_b32 exec_lo, exec_lo, s14
	v_lshrrev_b64 v[178:179], v10, v[84:85]
	; wave barrier
	s_delay_alu instid0(VALU_DEP_1) | instskip(NEXT) | instid1(VALU_DEP_1)
	v_and_b32_e32 v178, v178, v182
	v_and_b32_e32 v179, 1, v178
	v_lshlrev_b32_e32 v180, 30, v178
	v_lshlrev_b32_e32 v181, 29, v178
	;; [unrolled: 1-line block ×4, first 2 shown]
	v_add_co_u32 v179, s14, v179, -1
	s_wait_alu 0xf1ff
	v_cndmask_b32_e64 v192, 0, 1, s14
	v_not_b32_e32 v196, v180
	v_cmp_gt_i32_e64 s15, 0, v180
	v_not_b32_e32 v180, v181
	v_lshlrev_b32_e32 v194, 26, v178
	v_cmp_ne_u32_e64 s14, 0, v192
	v_ashrrev_i32_e32 v196, 31, v196
	v_lshlrev_b32_e32 v195, 25, v178
	v_ashrrev_i32_e32 v180, 31, v180
	v_lshlrev_b32_e32 v192, 24, v178
	s_wait_alu 0xf1ff
	v_xor_b32_e32 v179, s14, v179
	v_cmp_gt_i32_e64 s14, 0, v181
	v_not_b32_e32 v181, v183
	v_xor_b32_e32 v196, s15, v196
	v_cmp_gt_i32_e64 s15, 0, v183
	v_and_b32_e32 v179, exec_lo, v179
	v_not_b32_e32 v183, v193
	v_ashrrev_i32_e32 v181, 31, v181
	s_wait_alu 0xf1ff
	v_xor_b32_e32 v180, s14, v180
	v_cmp_gt_i32_e64 s14, 0, v193
	v_and_b32_e32 v179, v179, v196
	v_not_b32_e32 v193, v194
	v_ashrrev_i32_e32 v183, 31, v183
	v_xor_b32_e32 v181, s15, v181
	v_cmp_gt_i32_e64 s15, 0, v194
	v_and_b32_e32 v179, v179, v180
	v_not_b32_e32 v180, v195
	v_ashrrev_i32_e32 v193, 31, v193
	s_wait_alu 0xf1ff
	v_xor_b32_e32 v183, s14, v183
	v_cmp_gt_i32_e64 s14, 0, v195
	v_and_b32_e32 v179, v179, v181
	v_not_b32_e32 v181, v192
	v_ashrrev_i32_e32 v180, 31, v180
	v_xor_b32_e32 v193, s15, v193
	v_lshl_add_u32 v178, v178, 3, v46
	v_and_b32_e32 v179, v179, v183
	v_cmp_gt_i32_e64 s15, 0, v192
	v_ashrrev_i32_e32 v181, 31, v181
	s_wait_alu 0xf1ff
	v_xor_b32_e32 v180, s14, v180
	v_lshl_add_u32 v183, v178, 2, v12
	v_and_b32_e32 v179, v179, v193
	v_xor_b32_e32 v181, s15, v181
	ds_load_b32 v178, v183 offset:32
	v_and_b32_e32 v179, v179, v180
	v_add_nc_u32_e32 v180, 32, v183
	; wave barrier
	s_delay_alu instid0(VALU_DEP_2) | instskip(NEXT) | instid1(VALU_DEP_1)
	v_and_b32_e32 v181, v179, v181
	v_mbcnt_lo_u32_b32 v179, v181, 0
	v_cmp_ne_u32_e64 s15, 0, v181
	s_delay_alu instid0(VALU_DEP_2)
	v_cmp_eq_u32_e64 s14, 0, v179
	s_and_b32 s15, s15, s14
	s_wait_alu 0xfffe
	s_and_saveexec_b32 s14, s15
	s_cbranch_execz .LBB812_75
; %bb.74:                               ;   in Loop: Header=BB812_53 Depth=1
	s_wait_dscnt 0x0
	v_bcnt_u32_b32 v181, v181, v178
	ds_store_b32 v180, v181
.LBB812_75:                             ;   in Loop: Header=BB812_53 Depth=1
	s_wait_alu 0xfffe
	s_or_b32 exec_lo, exec_lo, s14
	v_lshrrev_b64 v[192:193], v10, v[86:87]
	; wave barrier
	s_delay_alu instid0(VALU_DEP_1) | instskip(NEXT) | instid1(VALU_DEP_1)
	v_and_b32_e32 v181, v192, v182
	v_and_b32_e32 v183, 1, v181
	v_lshlrev_b32_e32 v192, 30, v181
	v_lshlrev_b32_e32 v193, 29, v181
	;; [unrolled: 1-line block ×4, first 2 shown]
	v_add_co_u32 v183, s14, v183, -1
	s_wait_alu 0xf1ff
	v_cndmask_b32_e64 v195, 0, 1, s14
	v_not_b32_e32 v199, v192
	v_cmp_gt_i32_e64 s15, 0, v192
	v_not_b32_e32 v192, v193
	v_lshlrev_b32_e32 v197, 26, v181
	v_cmp_ne_u32_e64 s14, 0, v195
	v_ashrrev_i32_e32 v199, 31, v199
	v_lshlrev_b32_e32 v198, 25, v181
	v_ashrrev_i32_e32 v192, 31, v192
	v_lshlrev_b32_e32 v195, 24, v181
	s_wait_alu 0xf1ff
	v_xor_b32_e32 v183, s14, v183
	v_cmp_gt_i32_e64 s14, 0, v193
	v_not_b32_e32 v193, v194
	v_xor_b32_e32 v199, s15, v199
	v_cmp_gt_i32_e64 s15, 0, v194
	v_and_b32_e32 v183, exec_lo, v183
	v_not_b32_e32 v194, v196
	v_ashrrev_i32_e32 v193, 31, v193
	s_wait_alu 0xf1ff
	v_xor_b32_e32 v192, s14, v192
	v_cmp_gt_i32_e64 s14, 0, v196
	v_and_b32_e32 v183, v183, v199
	v_not_b32_e32 v196, v197
	v_ashrrev_i32_e32 v194, 31, v194
	v_xor_b32_e32 v193, s15, v193
	v_cmp_gt_i32_e64 s15, 0, v197
	v_and_b32_e32 v183, v183, v192
	v_not_b32_e32 v192, v198
	v_ashrrev_i32_e32 v196, 31, v196
	s_wait_alu 0xf1ff
	v_xor_b32_e32 v194, s14, v194
	v_cmp_gt_i32_e64 s14, 0, v198
	v_and_b32_e32 v183, v183, v193
	v_not_b32_e32 v193, v195
	v_ashrrev_i32_e32 v192, 31, v192
	v_xor_b32_e32 v196, s15, v196
	v_lshl_add_u32 v181, v181, 3, v46
	v_and_b32_e32 v183, v183, v194
	v_cmp_gt_i32_e64 s15, 0, v195
	v_ashrrev_i32_e32 v193, 31, v193
	s_wait_alu 0xf1ff
	v_xor_b32_e32 v192, s14, v192
	v_lshl_add_u32 v194, v181, 2, v12
	v_and_b32_e32 v183, v183, v196
	v_xor_b32_e32 v193, s15, v193
	ds_load_b32 v181, v194 offset:32
	v_and_b32_e32 v183, v183, v192
	v_add_nc_u32_e32 v192, 32, v194
	; wave barrier
	s_delay_alu instid0(VALU_DEP_2) | instskip(NEXT) | instid1(VALU_DEP_1)
	v_and_b32_e32 v193, v183, v193
	v_mbcnt_lo_u32_b32 v183, v193, 0
	v_cmp_ne_u32_e64 s15, 0, v193
	s_delay_alu instid0(VALU_DEP_2)
	v_cmp_eq_u32_e64 s14, 0, v183
	s_and_b32 s15, s15, s14
	s_wait_alu 0xfffe
	s_and_saveexec_b32 s14, s15
	s_cbranch_execz .LBB812_77
; %bb.76:                               ;   in Loop: Header=BB812_53 Depth=1
	s_wait_dscnt 0x0
	v_bcnt_u32_b32 v193, v193, v181
	ds_store_b32 v192, v193
.LBB812_77:                             ;   in Loop: Header=BB812_53 Depth=1
	s_wait_alu 0xfffe
	s_or_b32 exec_lo, exec_lo, s14
	v_lshrrev_b64 v[193:194], v10, v[96:97]
	; wave barrier
	s_delay_alu instid0(VALU_DEP_1) | instskip(NEXT) | instid1(VALU_DEP_1)
	v_and_b32_e32 v193, v193, v182
	v_and_b32_e32 v194, 1, v193
	v_lshlrev_b32_e32 v195, 30, v193
	v_lshlrev_b32_e32 v196, 29, v193
	;; [unrolled: 1-line block ×4, first 2 shown]
	v_add_co_u32 v194, s14, v194, -1
	s_wait_alu 0xf1ff
	v_cndmask_b32_e64 v198, 0, 1, s14
	v_not_b32_e32 v210, v195
	v_cmp_gt_i32_e64 s15, 0, v195
	v_not_b32_e32 v195, v196
	v_lshlrev_b32_e32 v208, 26, v193
	v_cmp_ne_u32_e64 s14, 0, v198
	v_ashrrev_i32_e32 v210, 31, v210
	v_lshlrev_b32_e32 v209, 25, v193
	v_ashrrev_i32_e32 v195, 31, v195
	v_lshlrev_b32_e32 v198, 24, v193
	s_wait_alu 0xf1ff
	v_xor_b32_e32 v194, s14, v194
	v_cmp_gt_i32_e64 s14, 0, v196
	v_not_b32_e32 v196, v197
	v_xor_b32_e32 v210, s15, v210
	v_cmp_gt_i32_e64 s15, 0, v197
	v_and_b32_e32 v194, exec_lo, v194
	v_not_b32_e32 v197, v199
	v_ashrrev_i32_e32 v196, 31, v196
	s_wait_alu 0xf1ff
	v_xor_b32_e32 v195, s14, v195
	v_cmp_gt_i32_e64 s14, 0, v199
	v_and_b32_e32 v194, v194, v210
	v_not_b32_e32 v199, v208
	v_ashrrev_i32_e32 v197, 31, v197
	v_xor_b32_e32 v196, s15, v196
	v_cmp_gt_i32_e64 s15, 0, v208
	v_and_b32_e32 v194, v194, v195
	v_not_b32_e32 v195, v209
	v_ashrrev_i32_e32 v199, 31, v199
	s_wait_alu 0xf1ff
	v_xor_b32_e32 v197, s14, v197
	v_cmp_gt_i32_e64 s14, 0, v209
	v_and_b32_e32 v194, v194, v196
	v_not_b32_e32 v196, v198
	v_ashrrev_i32_e32 v195, 31, v195
	v_xor_b32_e32 v199, s15, v199
	v_lshl_add_u32 v193, v193, 3, v46
	v_and_b32_e32 v194, v194, v197
	v_cmp_gt_i32_e64 s15, 0, v198
	v_ashrrev_i32_e32 v196, 31, v196
	s_wait_alu 0xf1ff
	v_xor_b32_e32 v195, s14, v195
	v_lshl_add_u32 v197, v193, 2, v12
	v_and_b32_e32 v194, v194, v199
	v_xor_b32_e32 v196, s15, v196
	ds_load_b32 v193, v197 offset:32
	v_and_b32_e32 v194, v194, v195
	v_add_nc_u32_e32 v195, 32, v197
	; wave barrier
	s_delay_alu instid0(VALU_DEP_2) | instskip(NEXT) | instid1(VALU_DEP_1)
	v_and_b32_e32 v196, v194, v196
	v_mbcnt_lo_u32_b32 v194, v196, 0
	v_cmp_ne_u32_e64 s15, 0, v196
	s_delay_alu instid0(VALU_DEP_2)
	v_cmp_eq_u32_e64 s14, 0, v194
	s_and_b32 s15, s15, s14
	s_wait_alu 0xfffe
	s_and_saveexec_b32 s14, s15
	s_cbranch_execz .LBB812_79
; %bb.78:                               ;   in Loop: Header=BB812_53 Depth=1
	s_wait_dscnt 0x0
	v_bcnt_u32_b32 v196, v196, v193
	ds_store_b32 v195, v196
.LBB812_79:                             ;   in Loop: Header=BB812_53 Depth=1
	s_wait_alu 0xfffe
	s_or_b32 exec_lo, exec_lo, s14
	v_lshrrev_b64 v[196:197], v10, v[98:99]
	; wave barrier
	s_delay_alu instid0(VALU_DEP_1) | instskip(NEXT) | instid1(VALU_DEP_1)
	v_and_b32_e32 v196, v196, v182
	v_and_b32_e32 v197, 1, v196
	v_lshlrev_b32_e32 v198, 30, v196
	v_lshlrev_b32_e32 v199, 29, v196
	;; [unrolled: 1-line block ×4, first 2 shown]
	v_add_co_u32 v197, s14, v197, -1
	s_wait_alu 0xf1ff
	v_cndmask_b32_e64 v209, 0, 1, s14
	v_not_b32_e32 v213, v198
	v_cmp_gt_i32_e64 s15, 0, v198
	v_not_b32_e32 v198, v199
	v_lshlrev_b32_e32 v211, 26, v196
	v_cmp_ne_u32_e64 s14, 0, v209
	v_ashrrev_i32_e32 v213, 31, v213
	v_lshlrev_b32_e32 v212, 25, v196
	v_ashrrev_i32_e32 v198, 31, v198
	v_lshlrev_b32_e32 v209, 24, v196
	s_wait_alu 0xf1ff
	v_xor_b32_e32 v197, s14, v197
	v_cmp_gt_i32_e64 s14, 0, v199
	v_not_b32_e32 v199, v208
	v_xor_b32_e32 v213, s15, v213
	v_cmp_gt_i32_e64 s15, 0, v208
	v_and_b32_e32 v197, exec_lo, v197
	v_not_b32_e32 v208, v210
	v_ashrrev_i32_e32 v199, 31, v199
	s_wait_alu 0xf1ff
	v_xor_b32_e32 v198, s14, v198
	v_cmp_gt_i32_e64 s14, 0, v210
	v_and_b32_e32 v197, v197, v213
	v_not_b32_e32 v210, v211
	v_ashrrev_i32_e32 v208, 31, v208
	v_xor_b32_e32 v199, s15, v199
	v_cmp_gt_i32_e64 s15, 0, v211
	v_and_b32_e32 v197, v197, v198
	v_not_b32_e32 v198, v212
	v_ashrrev_i32_e32 v210, 31, v210
	s_wait_alu 0xf1ff
	v_xor_b32_e32 v208, s14, v208
	v_cmp_gt_i32_e64 s14, 0, v212
	v_and_b32_e32 v197, v197, v199
	v_not_b32_e32 v199, v209
	v_ashrrev_i32_e32 v198, 31, v198
	v_xor_b32_e32 v210, s15, v210
	v_lshl_add_u32 v196, v196, 3, v46
	v_and_b32_e32 v197, v197, v208
	v_cmp_gt_i32_e64 s15, 0, v209
	v_ashrrev_i32_e32 v199, 31, v199
	s_wait_alu 0xf1ff
	v_xor_b32_e32 v198, s14, v198
	v_lshl_add_u32 v208, v196, 2, v12
	v_and_b32_e32 v197, v197, v210
	v_xor_b32_e32 v199, s15, v199
	ds_load_b32 v196, v208 offset:32
	v_and_b32_e32 v197, v197, v198
	v_add_nc_u32_e32 v198, 32, v208
	; wave barrier
	s_delay_alu instid0(VALU_DEP_2) | instskip(NEXT) | instid1(VALU_DEP_1)
	v_and_b32_e32 v199, v197, v199
	v_mbcnt_lo_u32_b32 v197, v199, 0
	v_cmp_ne_u32_e64 s15, 0, v199
	s_delay_alu instid0(VALU_DEP_2)
	v_cmp_eq_u32_e64 s14, 0, v197
	s_and_b32 s15, s15, s14
	s_wait_alu 0xfffe
	s_and_saveexec_b32 s14, s15
	s_cbranch_execz .LBB812_81
; %bb.80:                               ;   in Loop: Header=BB812_53 Depth=1
	s_wait_dscnt 0x0
	v_bcnt_u32_b32 v199, v199, v196
	ds_store_b32 v198, v199
.LBB812_81:                             ;   in Loop: Header=BB812_53 Depth=1
	s_wait_alu 0xfffe
	s_or_b32 exec_lo, exec_lo, s14
	v_lshrrev_b64 v[208:209], v10, v[100:101]
	; wave barrier
	s_delay_alu instid0(VALU_DEP_1) | instskip(NEXT) | instid1(VALU_DEP_1)
	v_and_b32_e32 v199, v208, v182
	v_and_b32_e32 v208, 1, v199
	v_lshlrev_b32_e32 v209, 30, v199
	v_lshlrev_b32_e32 v210, 29, v199
	v_lshlrev_b32_e32 v211, 28, v199
	v_lshlrev_b32_e32 v213, 27, v199
	v_add_co_u32 v208, s14, v208, -1
	s_wait_alu 0xf1ff
	v_cndmask_b32_e64 v212, 0, 1, s14
	v_not_b32_e32 v224, v209
	v_cmp_gt_i32_e64 s15, 0, v209
	v_not_b32_e32 v209, v210
	v_lshlrev_b32_e32 v214, 26, v199
	v_cmp_ne_u32_e64 s14, 0, v212
	v_ashrrev_i32_e32 v224, 31, v224
	v_lshlrev_b32_e32 v215, 25, v199
	v_ashrrev_i32_e32 v209, 31, v209
	v_lshlrev_b32_e32 v212, 24, v199
	s_wait_alu 0xf1ff
	v_xor_b32_e32 v208, s14, v208
	v_cmp_gt_i32_e64 s14, 0, v210
	v_not_b32_e32 v210, v211
	v_xor_b32_e32 v224, s15, v224
	v_cmp_gt_i32_e64 s15, 0, v211
	v_and_b32_e32 v208, exec_lo, v208
	v_not_b32_e32 v211, v213
	v_ashrrev_i32_e32 v210, 31, v210
	s_wait_alu 0xf1ff
	v_xor_b32_e32 v209, s14, v209
	v_cmp_gt_i32_e64 s14, 0, v213
	v_and_b32_e32 v208, v208, v224
	v_not_b32_e32 v213, v214
	v_ashrrev_i32_e32 v211, 31, v211
	v_xor_b32_e32 v210, s15, v210
	v_cmp_gt_i32_e64 s15, 0, v214
	v_and_b32_e32 v208, v208, v209
	v_not_b32_e32 v209, v215
	v_ashrrev_i32_e32 v213, 31, v213
	s_wait_alu 0xf1ff
	v_xor_b32_e32 v211, s14, v211
	v_cmp_gt_i32_e64 s14, 0, v215
	v_and_b32_e32 v208, v208, v210
	v_not_b32_e32 v210, v212
	v_ashrrev_i32_e32 v209, 31, v209
	v_xor_b32_e32 v213, s15, v213
	v_lshl_add_u32 v199, v199, 3, v46
	v_and_b32_e32 v208, v208, v211
	v_cmp_gt_i32_e64 s15, 0, v212
	v_ashrrev_i32_e32 v210, 31, v210
	s_wait_alu 0xf1ff
	v_xor_b32_e32 v209, s14, v209
	v_lshl_add_u32 v211, v199, 2, v12
	v_and_b32_e32 v208, v208, v213
	v_xor_b32_e32 v210, s15, v210
	ds_load_b32 v199, v211 offset:32
	v_and_b32_e32 v208, v208, v209
	v_add_nc_u32_e32 v209, 32, v211
	; wave barrier
	s_delay_alu instid0(VALU_DEP_2) | instskip(NEXT) | instid1(VALU_DEP_1)
	v_and_b32_e32 v210, v208, v210
	v_mbcnt_lo_u32_b32 v208, v210, 0
	v_cmp_ne_u32_e64 s15, 0, v210
	s_delay_alu instid0(VALU_DEP_2)
	v_cmp_eq_u32_e64 s14, 0, v208
	s_and_b32 s15, s15, s14
	s_wait_alu 0xfffe
	s_and_saveexec_b32 s14, s15
	s_cbranch_execz .LBB812_83
; %bb.82:                               ;   in Loop: Header=BB812_53 Depth=1
	s_wait_dscnt 0x0
	v_bcnt_u32_b32 v210, v210, v199
	ds_store_b32 v209, v210
.LBB812_83:                             ;   in Loop: Header=BB812_53 Depth=1
	s_wait_alu 0xfffe
	s_or_b32 exec_lo, exec_lo, s14
	v_lshrrev_b64 v[210:211], v10, v[102:103]
	; wave barrier
	s_delay_alu instid0(VALU_DEP_1) | instskip(NEXT) | instid1(VALU_DEP_1)
	v_and_b32_e32 v182, v210, v182
	v_and_b32_e32 v210, 1, v182
	v_lshlrev_b32_e32 v211, 30, v182
	v_lshlrev_b32_e32 v212, 29, v182
	;; [unrolled: 1-line block ×4, first 2 shown]
	v_add_co_u32 v210, s14, v210, -1
	s_wait_alu 0xf1ff
	v_cndmask_b32_e64 v214, 0, 1, s14
	v_not_b32_e32 v226, v211
	v_cmp_gt_i32_e64 s15, 0, v211
	v_not_b32_e32 v211, v212
	v_lshlrev_b32_e32 v224, 26, v182
	v_cmp_ne_u32_e64 s14, 0, v214
	v_ashrrev_i32_e32 v226, 31, v226
	v_lshlrev_b32_e32 v225, 25, v182
	v_ashrrev_i32_e32 v211, 31, v211
	v_lshlrev_b32_e32 v214, 24, v182
	s_wait_alu 0xf1ff
	v_xor_b32_e32 v210, s14, v210
	v_cmp_gt_i32_e64 s14, 0, v212
	v_not_b32_e32 v212, v213
	v_xor_b32_e32 v226, s15, v226
	v_cmp_gt_i32_e64 s15, 0, v213
	v_and_b32_e32 v210, exec_lo, v210
	v_not_b32_e32 v213, v215
	v_ashrrev_i32_e32 v212, 31, v212
	s_wait_alu 0xf1ff
	v_xor_b32_e32 v211, s14, v211
	v_cmp_gt_i32_e64 s14, 0, v215
	v_and_b32_e32 v210, v210, v226
	v_not_b32_e32 v215, v224
	v_ashrrev_i32_e32 v213, 31, v213
	v_xor_b32_e32 v212, s15, v212
	v_cmp_gt_i32_e64 s15, 0, v224
	v_and_b32_e32 v210, v210, v211
	v_not_b32_e32 v211, v225
	v_ashrrev_i32_e32 v215, 31, v215
	s_wait_alu 0xf1ff
	v_xor_b32_e32 v213, s14, v213
	v_cmp_gt_i32_e64 s14, 0, v225
	v_and_b32_e32 v210, v210, v212
	v_not_b32_e32 v212, v214
	v_ashrrev_i32_e32 v211, 31, v211
	v_xor_b32_e32 v215, s15, v215
	v_lshl_add_u32 v182, v182, 3, v46
	v_and_b32_e32 v210, v210, v213
	v_cmp_gt_i32_e64 s15, 0, v214
	v_ashrrev_i32_e32 v212, 31, v212
	s_wait_alu 0xf1ff
	v_xor_b32_e32 v211, s14, v211
	v_lshl_add_u32 v213, v182, 2, v12
	v_and_b32_e32 v210, v210, v215
	v_xor_b32_e32 v212, s15, v212
	ds_load_b32 v182, v213 offset:32
	v_and_b32_e32 v210, v210, v211
	v_add_nc_u32_e32 v211, 32, v213
	; wave barrier
	s_delay_alu instid0(VALU_DEP_2) | instskip(NEXT) | instid1(VALU_DEP_1)
	v_and_b32_e32 v212, v210, v212
	v_mbcnt_lo_u32_b32 v210, v212, 0
	v_cmp_ne_u32_e64 s15, 0, v212
	s_delay_alu instid0(VALU_DEP_2)
	v_cmp_eq_u32_e64 s14, 0, v210
	s_and_b32 s15, s15, s14
	s_wait_alu 0xfffe
	s_and_saveexec_b32 s14, s15
	s_cbranch_execz .LBB812_85
; %bb.84:                               ;   in Loop: Header=BB812_53 Depth=1
	s_wait_dscnt 0x0
	v_bcnt_u32_b32 v212, v212, v182
	ds_store_b32 v211, v212
.LBB812_85:                             ;   in Loop: Header=BB812_53 Depth=1
	s_wait_alu 0xfffe
	s_or_b32 exec_lo, exec_lo, s14
	; wave barrier
	s_wait_loadcnt_dscnt 0x0
	s_barrier_signal -1
	s_barrier_wait -1
	global_inv scope:SCOPE_SE
	ds_load_b32 v224, v246
	ds_load_b32 v225, v247
	;; [unrolled: 1-line block ×8, first 2 shown]
	s_wait_dscnt 0x6
	v_add_nc_u32_e32 v228, v225, v224
	s_wait_dscnt 0x4
	s_delay_alu instid0(VALU_DEP_1) | instskip(SKIP_1) | instid1(VALU_DEP_1)
	v_add3_u32 v228, v228, v226, v215
	s_wait_dscnt 0x2
	v_add3_u32 v228, v228, v214, v213
	s_wait_dscnt 0x0
	s_delay_alu instid0(VALU_DEP_1) | instskip(NEXT) | instid1(VALU_DEP_1)
	v_add3_u32 v227, v228, v212, v227
	v_mov_b32_dpp v228, v227 row_shr:1 row_mask:0xf bank_mask:0xf
	s_wait_alu 0xfffd
	s_delay_alu instid0(VALU_DEP_1) | instskip(NEXT) | instid1(VALU_DEP_1)
	v_cndmask_b32_e64 v228, v228, 0, vcc_lo
	v_add_nc_u32_e32 v227, v228, v227
	s_delay_alu instid0(VALU_DEP_1) | instskip(NEXT) | instid1(VALU_DEP_1)
	v_mov_b32_dpp v228, v227 row_shr:2 row_mask:0xf bank_mask:0xf
	v_cndmask_b32_e64 v228, 0, v228, s0
	s_delay_alu instid0(VALU_DEP_1) | instskip(NEXT) | instid1(VALU_DEP_1)
	v_add_nc_u32_e32 v227, v227, v228
	v_mov_b32_dpp v228, v227 row_shr:4 row_mask:0xf bank_mask:0xf
	s_delay_alu instid0(VALU_DEP_1) | instskip(NEXT) | instid1(VALU_DEP_1)
	v_cndmask_b32_e64 v228, 0, v228, s1
	v_add_nc_u32_e32 v227, v227, v228
	s_delay_alu instid0(VALU_DEP_1) | instskip(NEXT) | instid1(VALU_DEP_1)
	v_mov_b32_dpp v228, v227 row_shr:8 row_mask:0xf bank_mask:0xf
	v_cndmask_b32_e64 v228, 0, v228, s3
	s_delay_alu instid0(VALU_DEP_1) | instskip(SKIP_3) | instid1(VALU_DEP_1)
	v_add_nc_u32_e32 v227, v227, v228
	ds_swizzle_b32 v228, v227 offset:swizzle(BROADCAST,32,15)
	s_wait_dscnt 0x0
	v_cndmask_b32_e64 v228, v228, 0, s4
	v_add_nc_u32_e32 v227, v227, v228
	s_and_saveexec_b32 s14, s5
; %bb.86:                               ;   in Loop: Header=BB812_53 Depth=1
	ds_store_b32 v56, v227
; %bb.87:                               ;   in Loop: Header=BB812_53 Depth=1
	s_wait_alu 0xfffe
	s_or_b32 exec_lo, exec_lo, s14
	s_wait_loadcnt_dscnt 0x0
	s_barrier_signal -1
	s_barrier_wait -1
	global_inv scope:SCOPE_SE
	s_and_saveexec_b32 s14, s6
	s_cbranch_execz .LBB812_89
; %bb.88:                               ;   in Loop: Header=BB812_53 Depth=1
	ds_load_b32 v228, v57
	s_wait_dscnt 0x0
	v_mov_b32_dpp v229, v228 row_shr:1 row_mask:0xf bank_mask:0xf
	s_delay_alu instid0(VALU_DEP_1) | instskip(NEXT) | instid1(VALU_DEP_1)
	v_cndmask_b32_e64 v229, v229, 0, s11
	v_add_nc_u32_e32 v228, v229, v228
	s_delay_alu instid0(VALU_DEP_1) | instskip(NEXT) | instid1(VALU_DEP_1)
	v_mov_b32_dpp v229, v228 row_shr:2 row_mask:0xf bank_mask:0xf
	v_cndmask_b32_e64 v229, 0, v229, s12
	s_delay_alu instid0(VALU_DEP_1) | instskip(NEXT) | instid1(VALU_DEP_1)
	v_add_nc_u32_e32 v228, v228, v229
	v_mov_b32_dpp v229, v228 row_shr:4 row_mask:0xf bank_mask:0xf
	s_delay_alu instid0(VALU_DEP_1) | instskip(NEXT) | instid1(VALU_DEP_1)
	v_cndmask_b32_e64 v229, 0, v229, s13
	v_add_nc_u32_e32 v228, v228, v229
	ds_store_b32 v57, v228
.LBB812_89:                             ;   in Loop: Header=BB812_53 Depth=1
	s_wait_alu 0xfffe
	s_or_b32 exec_lo, exec_lo, s14
	v_mov_b32_e32 v228, 0
	s_wait_loadcnt_dscnt 0x0
	s_barrier_signal -1
	s_barrier_wait -1
	global_inv scope:SCOPE_SE
	s_and_saveexec_b32 s14, s7
; %bb.90:                               ;   in Loop: Header=BB812_53 Depth=1
	ds_load_b32 v228, v59
; %bb.91:                               ;   in Loop: Header=BB812_53 Depth=1
	s_wait_alu 0xfffe
	s_or_b32 exec_lo, exec_lo, s14
	s_wait_dscnt 0x0
	v_add_nc_u32_e32 v227, v228, v227
	v_dual_mov_b32 v229, v1 :: v_dual_add_nc_u32 v10, 8, v10
	s_mov_b32 s20, -1
	v_mov_b32_e32 v231, v1
	ds_bpermute_b32 v227, v47, v227
	v_cmp_lt_u32_e64 s14, v10, v11
	v_mov_b32_e32 v241, v1
	s_wait_dscnt 0x0
	v_cndmask_b32_e64 v227, v227, v228, s2
	s_delay_alu instid0(VALU_DEP_1) | instskip(NEXT) | instid1(VALU_DEP_1)
	v_cndmask_b32_e64 v228, v227, 0, s10
	v_dual_mov_b32 v227, v1 :: v_dual_add_nc_u32 v224, v228, v224
	s_delay_alu instid0(VALU_DEP_1) | instskip(NEXT) | instid1(VALU_DEP_1)
	v_dual_mov_b32 v225, v1 :: v_dual_add_nc_u32 v230, v224, v225
	v_add_nc_u32_e32 v226, v230, v226
	s_delay_alu instid0(VALU_DEP_1) | instskip(SKIP_4) | instid1(VALU_DEP_1)
	v_dual_mov_b32 v215, v1 :: v_dual_add_nc_u32 v240, v226, v215
	ds_store_b32 v246, v228
	ds_store_b32 v247, v224
	;; [unrolled: 1-line block ×3, first 2 shown]
	v_dual_mov_b32 v243, v1 :: v_dual_add_nc_u32 v214, v240, v214
	v_dual_mov_b32 v245, v1 :: v_dual_add_nc_u32 v242, v214, v213
	s_delay_alu instid0(VALU_DEP_1)
	v_dual_mov_b32 v213, v1 :: v_dual_add_nc_u32 v212, v242, v212
	ds_store_b32 v41, v226
	ds_store_b32 v42, v240
	;; [unrolled: 1-line block ×5, first 2 shown]
	s_wait_loadcnt_dscnt 0x0
	s_barrier_signal -1
	s_barrier_wait -1
	global_inv scope:SCOPE_SE
	ds_load_b32 v117, v117
	ds_load_b32 v212, v129
	;; [unrolled: 1-line block ×16, first 2 shown]
	v_dual_mov_b32 v129, v1 :: v_dual_mov_b32 v132, v1
	v_mov_b32_e32 v135, v1
	s_wait_loadcnt_dscnt 0x0
	v_add_nc_u32_e32 v0, v117, v0
	v_add3_u32 v214, v128, v118, v212
	v_add3_u32 v224, v131, v130, v224
	;; [unrolled: 1-line block ×4, first 2 shown]
	v_mov_b32_e32 v118, v1
	v_add3_u32 v240, v151, v150, v160
	v_add3_u32 v242, v162, v161, v163
	;; [unrolled: 1-line block ×7, first 2 shown]
	v_lshlrev_b64_e32 v[160:161], 3, v[242:243]
	v_lshlrev_b64_e32 v[161:162], 3, v[244:245]
	;; [unrolled: 1-line block ×4, first 2 shown]
	v_add3_u32 v230, v148, v147, v149
	v_add3_u32 v130, v208, v199, v209
	v_lshlrev_b64_e32 v[144:145], 3, v[0:1]
	v_lshlrev_b64_e32 v[163:164], 3, v[131:132]
	v_mov_b32_e32 v131, v1
	v_add3_u32 v117, v197, v196, v198
	v_add3_u32 v133, v210, v182, v211
	v_lshlrev_b64_e32 v[145:146], 3, v[214:215]
	v_add_co_u32 v109, null, v12, v128
	v_lshlrev_b64_e32 v[128:129], 3, v[134:135]
	v_mov_b32_e32 v134, v1
	v_lshlrev_b64_e32 v[146:147], 3, v[224:225]
	v_lshlrev_b64_e32 v[147:148], 3, v[226:227]
	;; [unrolled: 1-line block ×8, first 2 shown]
	v_add_co_u32 v0, null, v12, v144
	v_add_co_u32 v92, null, v12, v145
	;; [unrolled: 1-line block ×15, first 2 shown]
                                        ; implicit-def: $vgpr192_vgpr193
                                        ; implicit-def: $vgpr196_vgpr197
                                        ; implicit-def: $vgpr182_vgpr183
                                        ; implicit-def: $vgpr194_vgpr195
                                        ; implicit-def: $vgpr208_vgpr209
                                        ; implicit-def: $vgpr198_vgpr199
                                        ; implicit-def: $vgpr210_vgpr211
                                        ; implicit-def: $vgpr212_vgpr213
                                        ; implicit-def: $vgpr214_vgpr215
                                        ; implicit-def: $vgpr224_vgpr225
                                        ; implicit-def: $vgpr226_vgpr227
                                        ; implicit-def: $vgpr228_vgpr229
                                        ; implicit-def: $vgpr230_vgpr231
                                        ; implicit-def: $vgpr240_vgpr241
                                        ; implicit-def: $vgpr242_vgpr243
                                        ; implicit-def: $vgpr244_vgpr245
                                        ; implicit-def: $vgpr128_vgpr129
                                        ; implicit-def: $vgpr117_vgpr118
                                        ; implicit-def: $vgpr132_vgpr133
                                        ; implicit-def: $vgpr130_vgpr131
                                        ; implicit-def: $vgpr144_vgpr145
                                        ; implicit-def: $vgpr134_vgpr135
                                        ; implicit-def: $vgpr148_vgpr149
                                        ; implicit-def: $vgpr146_vgpr147
                                        ; implicit-def: $vgpr160_vgpr161
                                        ; implicit-def: $vgpr150_vgpr151
                                        ; implicit-def: $vgpr164_vgpr165
                                        ; implicit-def: $vgpr162_vgpr163
                                        ; implicit-def: $vgpr176_vgpr177
                                        ; implicit-def: $vgpr166_vgpr167
                                        ; implicit-def: $vgpr180_vgpr181
                                        ; implicit-def: $vgpr178_vgpr179
	s_and_saveexec_b32 s15, s14
	s_cbranch_execz .LBB812_52
; %bb.92:                               ;   in Loop: Header=BB812_53 Depth=1
	s_barrier_signal -1
	s_barrier_wait -1
	global_inv scope:SCOPE_SE
	ds_store_b64 v0, v[36:37]
	ds_store_b64 v92, v[54:55]
	;; [unrolled: 1-line block ×16, first 2 shown]
	s_wait_loadcnt_dscnt 0x0
	s_barrier_signal -1
	s_barrier_wait -1
	global_inv scope:SCOPE_SE
	ds_load_b64 v[128:129], v58
	ds_load_b64 v[117:118], v60
	;; [unrolled: 1-line block ×16, first 2 shown]
	s_wait_loadcnt_dscnt 0x0
	s_barrier_signal -1
	s_barrier_wait -1
	global_inv scope:SCOPE_SE
	ds_store_b64 v0, v[8:9]
	ds_store_b64 v92, v[4:5]
	;; [unrolled: 1-line block ×16, first 2 shown]
	s_wait_loadcnt_dscnt 0x0
	s_barrier_signal -1
	s_barrier_wait -1
	global_inv scope:SCOPE_SE
	ds_load_b64 v[192:193], v58
	ds_load_b64 v[196:197], v60
	;; [unrolled: 1-line block ×16, first 2 shown]
	v_add_nc_u32_e32 v91, -8, v91
	s_xor_b32 s20, exec_lo, -1
	s_wait_loadcnt_dscnt 0x0
	s_barrier_signal -1
	s_barrier_wait -1
	global_inv scope:SCOPE_SE
	s_branch .LBB812_52
.LBB812_93:
	s_or_b32 exec_lo, exec_lo, s17
	v_lshl_add_u32 v1, v21, 3, v12
	s_barrier_signal -1
	s_barrier_wait -1
	s_wait_loadcnt 0x0
	global_inv scope:SCOPE_SE
	ds_store_b64 v0, v[36:37]
	ds_store_b64 v92, v[54:55]
	;; [unrolled: 1-line block ×16, first 2 shown]
	s_wait_loadcnt_dscnt 0x0
	s_barrier_signal -1
	s_barrier_wait -1
	global_inv scope:SCOPE_SE
	ds_load_2addr_stride64_b64 v[100:103], v1 offset1:4
	ds_load_2addr_stride64_b64 v[96:99], v1 offset0:8 offset1:12
	ds_load_2addr_stride64_b64 v[84:87], v1 offset0:16 offset1:20
	ds_load_2addr_stride64_b64 v[80:83], v1 offset0:24 offset1:28
	ds_load_2addr_stride64_b64 v[68:71], v1 offset0:32 offset1:36
	ds_load_2addr_stride64_b64 v[64:67], v1 offset0:40 offset1:44
	ds_load_2addr_stride64_b64 v[52:55], v1 offset0:48 offset1:52
	ds_load_2addr_stride64_b64 v[36:39], v1 offset0:56 offset1:60
	s_wait_loadcnt_dscnt 0x0
	s_barrier_signal -1
	s_barrier_wait -1
	global_inv scope:SCOPE_SE
	ds_store_b64 v0, v[8:9]
	ds_store_b64 v92, v[4:5]
	;; [unrolled: 1-line block ×16, first 2 shown]
	s_wait_loadcnt_dscnt 0x0
	s_barrier_signal -1
	s_barrier_wait -1
	global_inv scope:SCOPE_SE
	ds_load_2addr_stride64_b64 v[48:51], v1 offset1:4
	ds_load_2addr_stride64_b64 v[32:35], v1 offset0:8 offset1:12
	ds_load_2addr_stride64_b64 v[28:31], v1 offset0:16 offset1:20
	;; [unrolled: 1-line block ×7, first 2 shown]
	v_mov_b32_e32 v115, 0
	v_add_co_u32 v2, vcc_lo, v2, v112
	s_wait_alu 0xfffd
	v_add_co_ci_u32_e64 v3, null, v3, v113, vcc_lo
	s_delay_alu instid0(VALU_DEP_3)
	v_lshlrev_b64_e32 v[0:1], 3, v[114:115]
	s_wait_loadcnt_dscnt 0x0
	s_barrier_signal -1
	s_barrier_wait -1
	global_inv scope:SCOPE_SE
	v_add_co_u32 v2, vcc_lo, v2, v0
	s_wait_alu 0xfffd
	v_add_co_ci_u32_e64 v3, null, v3, v1, vcc_lo
	v_cmp_lt_u32_e32 vcc_lo, v114, v119
	s_and_saveexec_b32 s0, vcc_lo
	s_cbranch_execz .LBB812_95
; %bb.94:
	v_xor_b32_e32 v101, 0x80000000, v101
	flat_store_b64 v[2:3], v[100:101]
.LBB812_95:
	s_wait_alu 0xfffe
	s_or_b32 exec_lo, exec_lo, s0
	v_add_nc_u32_e32 v4, 0x100, v114
	s_delay_alu instid0(VALU_DEP_1)
	v_cmp_lt_u32_e64 s0, v4, v119
	s_and_saveexec_b32 s1, s0
	s_cbranch_execz .LBB812_97
; %bb.96:
	v_xor_b32_e32 v103, 0x80000000, v103
	flat_store_b64 v[2:3], v[102:103] offset:2048
.LBB812_97:
	s_wait_alu 0xfffe
	s_or_b32 exec_lo, exec_lo, s1
	v_add_nc_u32_e32 v4, 0x200, v114
	s_delay_alu instid0(VALU_DEP_1)
	v_cmp_lt_u32_e64 s1, v4, v119
	s_and_saveexec_b32 s2, s1
	s_cbranch_execz .LBB812_99
; %bb.98:
	v_xor_b32_e32 v97, 0x80000000, v97
	flat_store_b64 v[2:3], v[96:97] offset:4096
.LBB812_99:
	;; [unrolled: 11-line block ×15, first 2 shown]
	s_wait_alu 0xfffe
	s_or_b32 exec_lo, exec_lo, s17
	v_add_co_u32 v2, s17, v6, v112
	s_wait_alu 0xf1ff
	v_add_co_ci_u32_e64 v3, null, v7, v113, s17
	s_delay_alu instid0(VALU_DEP_2) | instskip(SKIP_1) | instid1(VALU_DEP_2)
	v_add_co_u32 v0, s17, v2, v0
	s_wait_alu 0xf1ff
	v_add_co_ci_u32_e64 v1, null, v3, v1, s17
	s_and_saveexec_b32 s17, vcc_lo
	s_cbranch_execnz .LBB812_211
; %bb.126:
	s_wait_alu 0xfffe
	s_or_b32 exec_lo, exec_lo, s17
	s_and_saveexec_b32 s17, s0
	s_cbranch_execnz .LBB812_212
.LBB812_127:
	s_wait_alu 0xfffe
	s_or_b32 exec_lo, exec_lo, s17
	s_and_saveexec_b32 s0, s1
	s_cbranch_execnz .LBB812_213
.LBB812_128:
	s_wait_alu 0xfffe
	s_or_b32 exec_lo, exec_lo, s0
	s_and_saveexec_b32 s0, s2
	s_cbranch_execnz .LBB812_214
.LBB812_129:
	s_wait_alu 0xfffe
	s_or_b32 exec_lo, exec_lo, s0
	s_and_saveexec_b32 s0, s3
	s_cbranch_execnz .LBB812_215
.LBB812_130:
	s_wait_alu 0xfffe
	s_or_b32 exec_lo, exec_lo, s0
	s_and_saveexec_b32 s0, s4
	s_cbranch_execnz .LBB812_216
.LBB812_131:
	s_wait_alu 0xfffe
	s_or_b32 exec_lo, exec_lo, s0
	s_and_saveexec_b32 s0, s5
	s_cbranch_execnz .LBB812_217
.LBB812_132:
	s_wait_alu 0xfffe
	s_or_b32 exec_lo, exec_lo, s0
	s_and_saveexec_b32 s0, s6
	s_cbranch_execnz .LBB812_218
.LBB812_133:
	s_wait_alu 0xfffe
	s_or_b32 exec_lo, exec_lo, s0
	s_and_saveexec_b32 s0, s7
	s_cbranch_execnz .LBB812_219
.LBB812_134:
	s_wait_alu 0xfffe
	s_or_b32 exec_lo, exec_lo, s0
	s_and_saveexec_b32 s0, s10
	s_cbranch_execnz .LBB812_220
.LBB812_135:
	s_wait_alu 0xfffe
	s_or_b32 exec_lo, exec_lo, s0
	s_and_saveexec_b32 s0, s11
	s_cbranch_execnz .LBB812_221
.LBB812_136:
	s_wait_alu 0xfffe
	s_or_b32 exec_lo, exec_lo, s0
	s_and_saveexec_b32 s0, s12
	s_cbranch_execnz .LBB812_222
.LBB812_137:
	s_wait_alu 0xfffe
	s_or_b32 exec_lo, exec_lo, s0
	s_and_saveexec_b32 s0, s13
	s_cbranch_execnz .LBB812_223
.LBB812_138:
	s_wait_alu 0xfffe
	s_or_b32 exec_lo, exec_lo, s0
	s_and_saveexec_b32 s0, s14
	s_cbranch_execnz .LBB812_224
.LBB812_139:
	s_wait_alu 0xfffe
	s_or_b32 exec_lo, exec_lo, s0
	s_and_saveexec_b32 s0, s15
	s_cbranch_execnz .LBB812_225
.LBB812_140:
	s_wait_alu 0xfffe
	s_or_b32 exec_lo, exec_lo, s0
	s_and_saveexec_b32 s0, s16
	s_cbranch_execz .LBB812_142
.LBB812_141:
	flat_store_b64 v[0:1], v[10:11] offset:30720
.LBB812_142:
	s_wait_alu 0xfffe
	s_or_b32 exec_lo, exec_lo, s0
                                        ; implicit-def: $vgpr119
                                        ; implicit-def: $vgpr0
                                        ; implicit-def: $vgpr1
                                        ; implicit-def: $vgpr2
                                        ; implicit-def: $vgpr3
                                        ; implicit-def: $vgpr4
                                        ; implicit-def: $vgpr5
                                        ; implicit-def: $vgpr6
                                        ; implicit-def: $vgpr7
                                        ; implicit-def: $vgpr8
                                        ; implicit-def: $vgpr10
                                        ; implicit-def: $vgpr11
                                        ; implicit-def: $vgpr12
                                        ; implicit-def: $vgpr9
                                        ; implicit-def: $vgpr13
                                        ; implicit-def: $vgpr21
                                        ; implicit-def: $vgpr22
.LBB812_143:
	s_wait_alu 0xfffe
	s_and_not1_saveexec_b32 s0, s19
	s_cbranch_execz .LBB812_372
; %bb.144:
	s_mov_b32 s0, exec_lo
	v_cmpx_lt_u32_e32 0x400, v119
	s_wait_alu 0xfffe
	s_xor_b32 s16, exec_lo, s0
	s_cbranch_execz .LBB812_252
; %bb.145:
	s_load_b64 s[0:1], s[8:9], 0x0
	s_and_b32 s2, ttmp7, 0xffff
	s_mov_b32 s3, 0
	v_dual_mov_b32 v53, -1 :: v_dual_mov_b32 v64, -1
	v_mov_b32_e32 v54, -1
	s_wait_kmcnt 0x0
	s_wait_alu 0xfffe
	s_cmp_lt_u32 s2, s1
	s_cselect_b32 s2, 14, 20
	s_cmp_lt_u32 ttmp9, s0
	s_wait_alu 0xfffe
	s_add_nc_u64 s[4:5], s[8:9], s[2:3]
	s_cselect_b32 s2, 12, 18
	s_load_u16 s4, s[4:5], 0x0
	s_add_nc_u64 s[0:1], s[8:9], s[2:3]
	s_load_u16 s0, s[0:1], 0x0
	s_wait_kmcnt 0x0
	v_mad_u32_u24 v9, v13, s4, v9
	v_lshlrev_b32_e32 v13, 3, v22
	s_delay_alu instid0(VALU_DEP_2) | instskip(NEXT) | instid1(VALU_DEP_1)
	v_mad_co_u64_u32 v[50:51], null, v9, s0, v[21:22]
	v_dual_mov_b32 v9, 0 :: v_dual_lshlrev_b32 v14, 3, v50
	s_delay_alu instid0(VALU_DEP_1) | instskip(NEXT) | instid1(VALU_DEP_2)
	v_lshlrev_b64_e32 v[48:49], 3, v[8:9]
	v_dual_mov_b32 v65, -1 :: v_dual_and_b32 v8, 0xffffff00, v14
	s_delay_alu instid0(VALU_DEP_2) | instskip(SKIP_1) | instid1(VALU_DEP_3)
	v_add_co_u32 v14, vcc_lo, v0, v48
	s_wait_alu 0xfffd
	v_add_co_ci_u32_e64 v15, null, v1, v49, vcc_lo
	s_delay_alu instid0(VALU_DEP_3) | instskip(NEXT) | instid1(VALU_DEP_3)
	v_lshlrev_b64_e32 v[0:1], 3, v[8:9]
	v_add_co_u32 v9, vcc_lo, v14, v13
	s_wait_alu 0xfffd
	s_delay_alu instid0(VALU_DEP_3) | instskip(SKIP_1) | instid1(VALU_DEP_3)
	v_add_co_ci_u32_e64 v15, null, 0, v15, vcc_lo
	v_or_b32_e32 v14, v8, v22
	v_add_co_u32 v8, vcc_lo, v9, v0
	s_wait_alu 0xfffd
	s_delay_alu instid0(VALU_DEP_3) | instskip(NEXT) | instid1(VALU_DEP_3)
	v_add_co_ci_u32_e64 v9, null, v15, v1, vcc_lo
	v_cmp_lt_u32_e32 vcc_lo, v14, v119
	s_and_saveexec_b32 s0, vcc_lo
	s_cbranch_execz .LBB812_147
; %bb.146:
	flat_load_b64 v[64:65], v[8:9]
	s_wait_loadcnt_dscnt 0x0
	v_xor_b32_e32 v65, 0x80000000, v65
.LBB812_147:
	s_wait_alu 0xfffe
	s_or_b32 exec_lo, exec_lo, s0
	v_or_b32_e32 v15, 32, v14
	s_delay_alu instid0(VALU_DEP_1)
	v_cmp_lt_u32_e64 s0, v15, v119
	s_and_saveexec_b32 s1, s0
	s_cbranch_execz .LBB812_149
; %bb.148:
	flat_load_b64 v[53:54], v[8:9] offset:256
	s_wait_loadcnt_dscnt 0x0
	v_xor_b32_e32 v54, 0x80000000, v54
.LBB812_149:
	s_wait_alu 0xfffe
	s_or_b32 exec_lo, exec_lo, s1
	v_or_b32_e32 v15, 64, v14
	v_mov_b32_e32 v68, -1
	v_dual_mov_b32 v69, -1 :: v_dual_mov_b32 v70, -1
	v_mov_b32_e32 v71, -1
	s_delay_alu instid0(VALU_DEP_4)
	v_cmp_lt_u32_e64 s1, v15, v119
	s_and_saveexec_b32 s2, s1
	s_cbranch_execz .LBB812_151
; %bb.150:
	flat_load_b64 v[70:71], v[8:9] offset:512
	s_wait_loadcnt_dscnt 0x0
	v_xor_b32_e32 v71, 0x80000000, v71
.LBB812_151:
	s_wait_alu 0xfffe
	s_or_b32 exec_lo, exec_lo, s2
	v_or_b32_e32 v15, 0x60, v14
	s_delay_alu instid0(VALU_DEP_1)
	v_cmp_lt_u32_e64 s2, v15, v119
	s_and_saveexec_b32 s3, s2
	s_cbranch_execz .LBB812_153
; %bb.152:
	flat_load_b64 v[68:69], v[8:9] offset:768
	s_wait_loadcnt_dscnt 0x0
	v_xor_b32_e32 v69, 0x80000000, v69
.LBB812_153:
	s_wait_alu 0xfffe
	s_or_b32 exec_lo, exec_lo, s3
	v_or_b32_e32 v15, 0x80, v14
	v_mov_b32_e32 v80, -1
	v_dual_mov_b32 v81, -1 :: v_dual_mov_b32 v82, -1
	v_mov_b32_e32 v83, -1
	s_delay_alu instid0(VALU_DEP_4)
	v_cmp_lt_u32_e64 s3, v15, v119
	s_and_saveexec_b32 s4, s3
	s_cbranch_execz .LBB812_155
; %bb.154:
	flat_load_b64 v[82:83], v[8:9] offset:1024
	s_wait_loadcnt_dscnt 0x0
	v_xor_b32_e32 v83, 0x80000000, v83
.LBB812_155:
	;; [unrolled: 27-line block ×3, first 2 shown]
	s_wait_alu 0xfffe
	s_or_b32 exec_lo, exec_lo, s6
	v_or_b32_e32 v14, 0xe0, v14
	s_delay_alu instid0(VALU_DEP_1)
	v_cmp_lt_u32_e64 s6, v14, v119
	s_and_saveexec_b32 s7, s6
	s_cbranch_execz .LBB812_161
; %bb.160:
	flat_load_b64 v[66:67], v[8:9] offset:1792
	s_wait_loadcnt_dscnt 0x0
	v_xor_b32_e32 v67, 0x80000000, v67
.LBB812_161:
	s_wait_alu 0xfffe
	s_or_b32 exec_lo, exec_lo, s7
	v_add_co_u32 v4, s7, v4, v48
	s_wait_alu 0xf1ff
	v_add_co_ci_u32_e64 v5, null, v5, v49, s7
                                        ; implicit-def: $vgpr86_vgpr87
	s_delay_alu instid0(VALU_DEP_2) | instskip(SKIP_1) | instid1(VALU_DEP_2)
	v_add_co_u32 v4, s7, v4, v13
	s_wait_alu 0xf1ff
	v_add_co_ci_u32_e64 v5, null, 0, v5, s7
	s_delay_alu instid0(VALU_DEP_2) | instskip(SKIP_1) | instid1(VALU_DEP_2)
	v_add_co_u32 v0, s7, v4, v0
	s_wait_alu 0xf1ff
	v_add_co_ci_u32_e64 v1, null, v5, v1, s7
	s_and_saveexec_b32 s7, vcc_lo
	s_cbranch_execnz .LBB812_285
; %bb.162:
	s_wait_alu 0xfffe
	s_or_b32 exec_lo, exec_lo, s7
                                        ; implicit-def: $vgpr98_vgpr99
	s_and_saveexec_b32 s7, s0
	s_cbranch_execnz .LBB812_286
.LBB812_163:
	s_wait_alu 0xfffe
	s_or_b32 exec_lo, exec_lo, s7
                                        ; implicit-def: $vgpr96_vgpr97
	s_and_saveexec_b32 s0, s1
	s_cbranch_execnz .LBB812_287
.LBB812_164:
	s_wait_alu 0xfffe
	s_or_b32 exec_lo, exec_lo, s0
                                        ; implicit-def: $vgpr100_vgpr101
	s_and_saveexec_b32 s0, s2
	s_cbranch_execnz .LBB812_288
.LBB812_165:
	s_wait_alu 0xfffe
	s_or_b32 exec_lo, exec_lo, s0
                                        ; implicit-def: $vgpr102_vgpr103
	s_and_saveexec_b32 s0, s3
	s_cbranch_execnz .LBB812_289
.LBB812_166:
	s_wait_alu 0xfffe
	s_or_b32 exec_lo, exec_lo, s0
                                        ; implicit-def: $vgpr112_vgpr113
	s_and_saveexec_b32 s0, s4
	s_cbranch_execnz .LBB812_290
.LBB812_167:
	s_wait_alu 0xfffe
	s_or_b32 exec_lo, exec_lo, s0
                                        ; implicit-def: $vgpr114_vgpr115
	s_and_saveexec_b32 s0, s5
	s_cbranch_execnz .LBB812_291
.LBB812_168:
	s_wait_alu 0xfffe
	s_or_b32 exec_lo, exec_lo, s0
                                        ; implicit-def: $vgpr116_vgpr117
	s_and_saveexec_b32 s0, s6
	s_cbranch_execz .LBB812_170
.LBB812_169:
	flat_load_b64 v[116:117], v[0:1] offset:1792
.LBB812_170:
	s_wait_alu 0xfffe
	s_or_b32 exec_lo, exec_lo, s0
	v_lshl_add_u32 v0, v21, 5, v12
	v_and_b32_e32 v4, 15, v22
	v_sub_co_u32 v8, s2, v22, 1
	s_getpc_b64 s[0:1]
	s_wait_alu 0xfffe
	s_sext_i32_i16 s1, s1
	s_add_co_u32 s0, s0, _ZN7rocprim17ROCPRIM_400000_NS16block_radix_sortIlLj256ELj8ElLj1ELj1ELj8ELNS0_26block_radix_rank_algorithmE2ELNS0_18block_padding_hintE2ELNS0_4arch9wavefront6targetE0EE19radix_bits_per_passE@rel32@lo+12
	s_wait_alu 0xfffe
	s_add_co_ci_u32 s1, s1, _ZN7rocprim17ROCPRIM_400000_NS16block_radix_sortIlLj256ELj8ElLj1ELj1ELj8ELNS0_26block_radix_rank_algorithmE2ELNS0_18block_padding_hintE2ELNS0_4arch9wavefront6targetE0EE19radix_bits_per_passE@rel32@hi+24
	v_add_nc_u32_e32 v55, 32, v0
	v_add_nc_u32_e32 v118, 36, v0
	;; [unrolled: 1-line block ×8, first 2 shown]
	v_and_b32_e32 v0, 0x3e0, v21
	v_lshlrev_b32_e32 v1, 3, v21
	s_load_b32 s17, s[0:1], 0x0
	v_cmp_eq_u32_e32 vcc_lo, 0, v4
	v_cmp_lt_u32_e64 s0, 1, v4
	v_min_u32_e32 v0, 0xe0, v0
	v_cmp_lt_u32_e64 s1, 3, v4
	v_and_b32_e32 v5, 16, v22
	v_cmp_lt_u32_e64 s3, 7, v4
	v_lshrrev_b32_e32 v4, 3, v21
	v_or_b32_e32 v0, 31, v0
	v_cmp_gt_i32_e64 s5, 0, v8
	v_cmp_eq_u32_e64 s4, 0, v5
	v_lshrrev_b32_e32 v134, 5, v50
	v_cmp_gt_u32_e64 s6, 8, v21
	v_cmp_lt_u32_e64 s7, 31, v21
	s_wait_alu 0xf1ff
	v_cndmask_b32_e64 v5, v8, v22, s5
	v_cmp_eq_u32_e64 s5, v21, v0
	v_and_b32_e32 v0, 0x7c, v4
	v_and_or_b32 v4, 0x1f00, v1, v22
	v_cmp_eq_u32_e64 s10, 0, v21
	v_lshlrev_b32_e32 v135, 2, v5
	v_and_b32_e32 v5, 7, v22
	v_add_nc_u32_e32 v144, v12, v0
	v_lshl_add_u32 v146, v4, 3, v12
	v_mov_b32_e32 v1, 0
	v_lshl_add_u32 v145, v21, 2, v12
	v_cmp_eq_u32_e64 s11, 0, v5
	v_cmp_lt_u32_e64 s12, 1, v5
	v_cmp_lt_u32_e64 s13, 3, v5
	v_add_nc_u32_e32 v147, -4, v144
	v_add_nc_u32_e32 v148, 0x100, v146
	v_add_nc_u32_e32 v149, 0x200, v146
	;; [unrolled: 1-line block ×7, first 2 shown]
	v_sub_nc_u32_e32 v163, v11, v10
	s_mov_b32 s19, 0
	s_wait_storecnt 0x0
	s_wait_loadcnt_dscnt 0x0
	s_barrier_signal -1
	s_barrier_wait -1
	global_inv scope:SCOPE_SE
	s_branch .LBB812_172
.LBB812_171:                            ;   in Loop: Header=BB812_172 Depth=1
	s_wait_alu 0xfffe
	s_or_b32 exec_lo, exec_lo, s15
	s_delay_alu instid0(SALU_CYCLE_1)
	s_and_b32 s14, exec_lo, s20
	s_wait_alu 0xfffe
	s_or_b32 s19, s14, s19
	s_wait_alu 0xfffe
	s_and_not1_b32 exec_lo, exec_lo, s19
	s_cbranch_execz .LBB812_226
.LBB812_172:                            ; =>This Inner Loop Header: Depth=1
	s_wait_kmcnt 0x0
	v_min_u32_e32 v0, s17, v163
	v_dual_mov_b32 v24, v64 :: v_dual_mov_b32 v25, v65
	v_mov_b32_e32 v34, v70
	v_dual_mov_b32 v26, v53 :: v_dual_mov_b32 v27, v54
	s_delay_alu instid0(VALU_DEP_4) | instskip(NEXT) | instid1(VALU_DEP_4)
	v_lshlrev_b32_e64 v0, v0, -1
	v_lshrrev_b64 v[28:29], v10, v[24:25]
	v_dual_mov_b32 v32, v68 :: v_dual_mov_b32 v33, v69
	v_mov_b32_e32 v30, v82
	s_delay_alu instid0(VALU_DEP_4) | instskip(SKIP_2) | instid1(VALU_DEP_3)
	v_not_b32_e32 v65, v0
	v_dual_mov_b32 v8, v86 :: v_dual_mov_b32 v9, v87
	v_dual_mov_b32 v4, v98 :: v_dual_mov_b32 v5, v99
	v_dual_mov_b32 v35, v71 :: v_dual_and_b32 v0, v28, v65
	v_mov_b32_e32 v36, v84
	v_dual_mov_b32 v28, v80 :: v_dual_mov_b32 v37, v85
	s_delay_alu instid0(VALU_DEP_3)
	v_and_b32_e32 v38, 1, v0
	v_lshlrev_b32_e32 v39, 30, v0
	v_lshlrev_b32_e32 v53, 29, v0
	;; [unrolled: 1-line block ×4, first 2 shown]
	v_add_co_u32 v38, s14, v38, -1
	s_wait_alu 0xf1ff
	v_cndmask_b32_e64 v54, 0, 1, s14
	v_not_b32_e32 v70, v39
	v_cmp_gt_i32_e64 s15, 0, v39
	v_not_b32_e32 v39, v53
	v_lshlrev_b32_e32 v69, 26, v0
	v_cmp_ne_u32_e64 s14, 0, v54
	v_ashrrev_i32_e32 v70, 31, v70
	v_lshlrev_b32_e32 v54, 25, v0
	v_ashrrev_i32_e32 v39, 31, v39
	v_dual_mov_b32 v17, v96 :: v_dual_mov_b32 v18, v97
	s_wait_alu 0xf1ff
	v_xor_b32_e32 v38, s14, v38
	v_cmp_gt_i32_e64 s14, 0, v53
	v_not_b32_e32 v53, v64
	v_xor_b32_e32 v70, s15, v70
	v_cmp_gt_i32_e64 s15, 0, v64
	v_and_b32_e32 v38, exec_lo, v38
	v_not_b32_e32 v64, v68
	v_ashrrev_i32_e32 v53, 31, v53
	s_wait_alu 0xf1ff
	v_xor_b32_e32 v39, s14, v39
	v_cmp_gt_i32_e64 s14, 0, v68
	v_and_b32_e32 v38, v38, v70
	v_not_b32_e32 v68, v69
	v_ashrrev_i32_e32 v64, 31, v64
	v_xor_b32_e32 v53, s15, v53
	v_cmp_gt_i32_e64 s15, 0, v69
	v_and_b32_e32 v38, v38, v39
	v_not_b32_e32 v39, v54
	v_ashrrev_i32_e32 v68, 31, v68
	s_wait_alu 0xf1ff
	v_xor_b32_e32 v64, s14, v64
	v_cmp_gt_i32_e64 s14, 0, v54
	v_and_b32_e32 v38, v38, v53
	v_lshlrev_b32_e32 v53, 24, v0
	v_ashrrev_i32_e32 v54, 31, v39
	v_xor_b32_e32 v68, s15, v68
	v_lshl_add_u32 v0, v0, 3, v134
	v_and_b32_e32 v64, v38, v64
	v_not_b32_e32 v69, v53
	v_cmp_gt_i32_e64 s15, 0, v53
	s_wait_alu 0xf1ff
	v_xor_b32_e32 v53, s14, v54
	v_mov_b32_e32 v38, v66
	v_and_b32_e32 v54, v64, v68
	v_ashrrev_i32_e32 v64, 31, v69
	v_mov_b32_e32 v39, v67
	v_lshlrev_b64_e32 v[66:67], 2, v[0:1]
	v_dual_mov_b32 v15, v100 :: v_dual_mov_b32 v16, v101
	v_and_b32_e32 v53, v54, v53
	v_xor_b32_e32 v54, s15, v64
	v_dual_mov_b32 v13, v102 :: v_dual_mov_b32 v14, v103
	v_dual_mov_b32 v51, v112 :: v_dual_mov_b32 v52, v113
	s_delay_alu instid0(VALU_DEP_3) | instskip(SKIP_2) | instid1(VALU_DEP_3)
	v_and_b32_e32 v54, v53, v54
	v_add_co_u32 v53, null, v12, v66
	v_dual_mov_b32 v22, v114 :: v_dual_mov_b32 v23, v115
	v_mbcnt_lo_u32_b32 v0, v54, 0
	v_cmp_ne_u32_e64 s15, 0, v54
	v_dual_mov_b32 v19, v116 :: v_dual_mov_b32 v20, v117
	v_mov_b32_e32 v31, v83
	s_delay_alu instid0(VALU_DEP_4)
	v_cmp_eq_u32_e64 s14, 0, v0
	v_mov_b32_e32 v29, v81
	v_add_co_u32 v53, null, v53, 32
	ds_store_b32 v55, v1
	ds_store_b32 v118, v1
	;; [unrolled: 1-line block ×3, first 2 shown]
	s_and_b32 s15, s15, s14
	ds_store_b32 v129, v1
	ds_store_b32 v130, v1
	;; [unrolled: 1-line block ×5, first 2 shown]
	s_wait_loadcnt_dscnt 0x0
	s_barrier_signal -1
	s_barrier_wait -1
	global_inv scope:SCOPE_SE
	; wave barrier
	s_wait_alu 0xfffe
	s_and_saveexec_b32 s14, s15
; %bb.173:                              ;   in Loop: Header=BB812_172 Depth=1
	v_bcnt_u32_b32 v54, v54, 0
	ds_store_b32 v53, v54
; %bb.174:                              ;   in Loop: Header=BB812_172 Depth=1
	s_wait_alu 0xfffe
	s_or_b32 exec_lo, exec_lo, s14
	v_lshrrev_b64 v[66:67], v10, v[26:27]
	; wave barrier
	s_delay_alu instid0(VALU_DEP_1) | instskip(NEXT) | instid1(VALU_DEP_1)
	v_and_b32_e32 v54, v66, v65
	v_and_b32_e32 v64, 1, v54
	v_lshlrev_b32_e32 v66, 30, v54
	v_lshlrev_b32_e32 v67, 29, v54
	;; [unrolled: 1-line block ×4, first 2 shown]
	v_add_co_u32 v64, s14, v64, -1
	s_wait_alu 0xf1ff
	v_cndmask_b32_e64 v69, 0, 1, s14
	v_not_b32_e32 v81, v66
	v_cmp_gt_i32_e64 s15, 0, v66
	v_not_b32_e32 v66, v67
	v_lshlrev_b32_e32 v71, 26, v54
	v_cmp_ne_u32_e64 s14, 0, v69
	v_ashrrev_i32_e32 v81, 31, v81
	v_lshlrev_b32_e32 v80, 25, v54
	v_ashrrev_i32_e32 v66, 31, v66
	v_lshlrev_b32_e32 v69, 24, v54
	s_wait_alu 0xf1ff
	v_xor_b32_e32 v64, s14, v64
	v_cmp_gt_i32_e64 s14, 0, v67
	v_not_b32_e32 v67, v68
	v_xor_b32_e32 v81, s15, v81
	v_cmp_gt_i32_e64 s15, 0, v68
	v_and_b32_e32 v64, exec_lo, v64
	v_not_b32_e32 v68, v70
	v_ashrrev_i32_e32 v67, 31, v67
	s_wait_alu 0xf1ff
	v_xor_b32_e32 v66, s14, v66
	v_cmp_gt_i32_e64 s14, 0, v70
	v_and_b32_e32 v64, v64, v81
	v_not_b32_e32 v70, v71
	v_ashrrev_i32_e32 v68, 31, v68
	v_xor_b32_e32 v67, s15, v67
	v_cmp_gt_i32_e64 s15, 0, v71
	v_and_b32_e32 v64, v64, v66
	v_not_b32_e32 v66, v80
	v_ashrrev_i32_e32 v70, 31, v70
	s_wait_alu 0xf1ff
	v_xor_b32_e32 v68, s14, v68
	v_cmp_gt_i32_e64 s14, 0, v80
	v_and_b32_e32 v64, v64, v67
	v_not_b32_e32 v67, v69
	v_ashrrev_i32_e32 v66, 31, v66
	v_xor_b32_e32 v70, s15, v70
	v_lshl_add_u32 v54, v54, 3, v134
	v_and_b32_e32 v64, v64, v68
	v_cmp_gt_i32_e64 s15, 0, v69
	v_ashrrev_i32_e32 v67, 31, v67
	s_wait_alu 0xf1ff
	v_xor_b32_e32 v66, s14, v66
	v_lshl_add_u32 v68, v54, 2, v12
	v_and_b32_e32 v64, v64, v70
	v_xor_b32_e32 v67, s15, v67
	ds_load_b32 v54, v68 offset:32
	v_and_b32_e32 v64, v64, v66
	v_add_nc_u32_e32 v66, 32, v68
	; wave barrier
	s_delay_alu instid0(VALU_DEP_2) | instskip(NEXT) | instid1(VALU_DEP_1)
	v_and_b32_e32 v67, v64, v67
	v_mbcnt_lo_u32_b32 v64, v67, 0
	v_cmp_ne_u32_e64 s15, 0, v67
	s_delay_alu instid0(VALU_DEP_2)
	v_cmp_eq_u32_e64 s14, 0, v64
	s_and_b32 s15, s15, s14
	s_wait_alu 0xfffe
	s_and_saveexec_b32 s14, s15
	s_cbranch_execz .LBB812_176
; %bb.175:                              ;   in Loop: Header=BB812_172 Depth=1
	s_wait_dscnt 0x0
	v_bcnt_u32_b32 v67, v67, v54
	ds_store_b32 v66, v67
.LBB812_176:                            ;   in Loop: Header=BB812_172 Depth=1
	s_wait_alu 0xfffe
	s_or_b32 exec_lo, exec_lo, s14
	v_lshrrev_b64 v[67:68], v10, v[34:35]
	; wave barrier
	s_delay_alu instid0(VALU_DEP_1) | instskip(NEXT) | instid1(VALU_DEP_1)
	v_and_b32_e32 v67, v67, v65
	v_and_b32_e32 v68, 1, v67
	v_lshlrev_b32_e32 v69, 30, v67
	v_lshlrev_b32_e32 v70, 29, v67
	;; [unrolled: 1-line block ×4, first 2 shown]
	v_add_co_u32 v68, s14, v68, -1
	s_wait_alu 0xf1ff
	v_cndmask_b32_e64 v80, 0, 1, s14
	v_not_b32_e32 v84, v69
	v_cmp_gt_i32_e64 s15, 0, v69
	v_not_b32_e32 v69, v70
	v_lshlrev_b32_e32 v82, 26, v67
	v_cmp_ne_u32_e64 s14, 0, v80
	v_ashrrev_i32_e32 v84, 31, v84
	v_lshlrev_b32_e32 v83, 25, v67
	v_ashrrev_i32_e32 v69, 31, v69
	v_lshlrev_b32_e32 v80, 24, v67
	s_wait_alu 0xf1ff
	v_xor_b32_e32 v68, s14, v68
	v_cmp_gt_i32_e64 s14, 0, v70
	v_not_b32_e32 v70, v71
	v_xor_b32_e32 v84, s15, v84
	v_cmp_gt_i32_e64 s15, 0, v71
	v_and_b32_e32 v68, exec_lo, v68
	v_not_b32_e32 v71, v81
	v_ashrrev_i32_e32 v70, 31, v70
	s_wait_alu 0xf1ff
	v_xor_b32_e32 v69, s14, v69
	v_cmp_gt_i32_e64 s14, 0, v81
	v_and_b32_e32 v68, v68, v84
	v_not_b32_e32 v81, v82
	v_ashrrev_i32_e32 v71, 31, v71
	v_xor_b32_e32 v70, s15, v70
	v_cmp_gt_i32_e64 s15, 0, v82
	v_and_b32_e32 v68, v68, v69
	v_not_b32_e32 v69, v83
	v_ashrrev_i32_e32 v81, 31, v81
	s_wait_alu 0xf1ff
	v_xor_b32_e32 v71, s14, v71
	v_cmp_gt_i32_e64 s14, 0, v83
	v_and_b32_e32 v68, v68, v70
	v_not_b32_e32 v70, v80
	v_ashrrev_i32_e32 v69, 31, v69
	v_xor_b32_e32 v81, s15, v81
	v_lshl_add_u32 v67, v67, 3, v134
	v_and_b32_e32 v68, v68, v71
	v_cmp_gt_i32_e64 s15, 0, v80
	v_ashrrev_i32_e32 v70, 31, v70
	s_wait_alu 0xf1ff
	v_xor_b32_e32 v69, s14, v69
	v_lshl_add_u32 v71, v67, 2, v12
	v_and_b32_e32 v68, v68, v81
	v_xor_b32_e32 v70, s15, v70
	ds_load_b32 v67, v71 offset:32
	v_and_b32_e32 v68, v68, v69
	v_add_nc_u32_e32 v69, 32, v71
	; wave barrier
	s_delay_alu instid0(VALU_DEP_2) | instskip(NEXT) | instid1(VALU_DEP_1)
	v_and_b32_e32 v70, v68, v70
	v_mbcnt_lo_u32_b32 v68, v70, 0
	v_cmp_ne_u32_e64 s15, 0, v70
	s_delay_alu instid0(VALU_DEP_2)
	v_cmp_eq_u32_e64 s14, 0, v68
	s_and_b32 s15, s15, s14
	s_wait_alu 0xfffe
	s_and_saveexec_b32 s14, s15
	s_cbranch_execz .LBB812_178
; %bb.177:                              ;   in Loop: Header=BB812_172 Depth=1
	s_wait_dscnt 0x0
	v_bcnt_u32_b32 v70, v70, v67
	ds_store_b32 v69, v70
.LBB812_178:                            ;   in Loop: Header=BB812_172 Depth=1
	s_wait_alu 0xfffe
	s_or_b32 exec_lo, exec_lo, s14
	v_lshrrev_b64 v[70:71], v10, v[32:33]
	; wave barrier
	s_delay_alu instid0(VALU_DEP_1) | instskip(NEXT) | instid1(VALU_DEP_1)
	v_and_b32_e32 v70, v70, v65
	v_and_b32_e32 v71, 1, v70
	v_lshlrev_b32_e32 v80, 30, v70
	v_lshlrev_b32_e32 v81, 29, v70
	v_lshlrev_b32_e32 v82, 28, v70
	v_lshlrev_b32_e32 v84, 27, v70
	v_add_co_u32 v71, s14, v71, -1
	s_wait_alu 0xf1ff
	v_cndmask_b32_e64 v83, 0, 1, s14
	v_not_b32_e32 v87, v80
	v_cmp_gt_i32_e64 s15, 0, v80
	v_not_b32_e32 v80, v81
	v_lshlrev_b32_e32 v85, 26, v70
	v_cmp_ne_u32_e64 s14, 0, v83
	v_ashrrev_i32_e32 v87, 31, v87
	v_lshlrev_b32_e32 v86, 25, v70
	v_ashrrev_i32_e32 v80, 31, v80
	v_lshlrev_b32_e32 v83, 24, v70
	s_wait_alu 0xf1ff
	v_xor_b32_e32 v71, s14, v71
	v_cmp_gt_i32_e64 s14, 0, v81
	v_not_b32_e32 v81, v82
	v_xor_b32_e32 v87, s15, v87
	v_cmp_gt_i32_e64 s15, 0, v82
	v_and_b32_e32 v71, exec_lo, v71
	v_not_b32_e32 v82, v84
	v_ashrrev_i32_e32 v81, 31, v81
	s_wait_alu 0xf1ff
	v_xor_b32_e32 v80, s14, v80
	v_cmp_gt_i32_e64 s14, 0, v84
	v_and_b32_e32 v71, v71, v87
	v_not_b32_e32 v84, v85
	v_ashrrev_i32_e32 v82, 31, v82
	v_xor_b32_e32 v81, s15, v81
	v_cmp_gt_i32_e64 s15, 0, v85
	v_and_b32_e32 v71, v71, v80
	v_not_b32_e32 v80, v86
	v_ashrrev_i32_e32 v84, 31, v84
	s_wait_alu 0xf1ff
	v_xor_b32_e32 v82, s14, v82
	v_cmp_gt_i32_e64 s14, 0, v86
	v_and_b32_e32 v71, v71, v81
	v_not_b32_e32 v81, v83
	v_ashrrev_i32_e32 v80, 31, v80
	v_xor_b32_e32 v84, s15, v84
	v_lshl_add_u32 v70, v70, 3, v134
	v_and_b32_e32 v71, v71, v82
	v_cmp_gt_i32_e64 s15, 0, v83
	v_ashrrev_i32_e32 v81, 31, v81
	s_wait_alu 0xf1ff
	v_xor_b32_e32 v80, s14, v80
	v_lshl_add_u32 v82, v70, 2, v12
	v_and_b32_e32 v71, v71, v84
	v_xor_b32_e32 v81, s15, v81
	ds_load_b32 v70, v82 offset:32
	v_and_b32_e32 v71, v71, v80
	v_add_nc_u32_e32 v80, 32, v82
	; wave barrier
	s_delay_alu instid0(VALU_DEP_2) | instskip(NEXT) | instid1(VALU_DEP_1)
	v_and_b32_e32 v81, v71, v81
	v_mbcnt_lo_u32_b32 v71, v81, 0
	v_cmp_ne_u32_e64 s15, 0, v81
	s_delay_alu instid0(VALU_DEP_2)
	v_cmp_eq_u32_e64 s14, 0, v71
	s_and_b32 s15, s15, s14
	s_wait_alu 0xfffe
	s_and_saveexec_b32 s14, s15
	s_cbranch_execz .LBB812_180
; %bb.179:                              ;   in Loop: Header=BB812_172 Depth=1
	s_wait_dscnt 0x0
	v_bcnt_u32_b32 v81, v81, v70
	ds_store_b32 v80, v81
.LBB812_180:                            ;   in Loop: Header=BB812_172 Depth=1
	s_wait_alu 0xfffe
	s_or_b32 exec_lo, exec_lo, s14
	v_lshrrev_b64 v[81:82], v10, v[30:31]
	; wave barrier
	s_delay_alu instid0(VALU_DEP_1) | instskip(NEXT) | instid1(VALU_DEP_1)
	v_and_b32_e32 v81, v81, v65
	v_and_b32_e32 v82, 1, v81
	v_lshlrev_b32_e32 v83, 30, v81
	v_lshlrev_b32_e32 v84, 29, v81
	v_lshlrev_b32_e32 v85, 28, v81
	v_lshlrev_b32_e32 v87, 27, v81
	v_add_co_u32 v82, s14, v82, -1
	s_wait_alu 0xf1ff
	v_cndmask_b32_e64 v86, 0, 1, s14
	v_not_b32_e32 v98, v83
	v_cmp_gt_i32_e64 s15, 0, v83
	v_not_b32_e32 v83, v84
	v_lshlrev_b32_e32 v96, 26, v81
	v_cmp_ne_u32_e64 s14, 0, v86
	v_ashrrev_i32_e32 v98, 31, v98
	v_lshlrev_b32_e32 v97, 25, v81
	v_ashrrev_i32_e32 v83, 31, v83
	v_lshlrev_b32_e32 v86, 24, v81
	s_wait_alu 0xf1ff
	v_xor_b32_e32 v82, s14, v82
	v_cmp_gt_i32_e64 s14, 0, v84
	v_not_b32_e32 v84, v85
	v_xor_b32_e32 v98, s15, v98
	v_cmp_gt_i32_e64 s15, 0, v85
	v_and_b32_e32 v82, exec_lo, v82
	v_not_b32_e32 v85, v87
	v_ashrrev_i32_e32 v84, 31, v84
	s_wait_alu 0xf1ff
	v_xor_b32_e32 v83, s14, v83
	v_cmp_gt_i32_e64 s14, 0, v87
	v_and_b32_e32 v82, v82, v98
	v_not_b32_e32 v87, v96
	v_ashrrev_i32_e32 v85, 31, v85
	v_xor_b32_e32 v84, s15, v84
	v_cmp_gt_i32_e64 s15, 0, v96
	v_and_b32_e32 v82, v82, v83
	v_not_b32_e32 v83, v97
	v_ashrrev_i32_e32 v87, 31, v87
	s_wait_alu 0xf1ff
	v_xor_b32_e32 v85, s14, v85
	v_cmp_gt_i32_e64 s14, 0, v97
	v_and_b32_e32 v82, v82, v84
	v_not_b32_e32 v84, v86
	v_ashrrev_i32_e32 v83, 31, v83
	v_xor_b32_e32 v87, s15, v87
	v_lshl_add_u32 v81, v81, 3, v134
	v_and_b32_e32 v82, v82, v85
	v_cmp_gt_i32_e64 s15, 0, v86
	v_ashrrev_i32_e32 v84, 31, v84
	s_wait_alu 0xf1ff
	v_xor_b32_e32 v83, s14, v83
	v_lshl_add_u32 v85, v81, 2, v12
	v_and_b32_e32 v82, v82, v87
	v_xor_b32_e32 v84, s15, v84
	ds_load_b32 v81, v85 offset:32
	v_and_b32_e32 v82, v82, v83
	v_add_nc_u32_e32 v83, 32, v85
	; wave barrier
	s_delay_alu instid0(VALU_DEP_2) | instskip(NEXT) | instid1(VALU_DEP_1)
	v_and_b32_e32 v84, v82, v84
	v_mbcnt_lo_u32_b32 v82, v84, 0
	v_cmp_ne_u32_e64 s15, 0, v84
	s_delay_alu instid0(VALU_DEP_2)
	v_cmp_eq_u32_e64 s14, 0, v82
	s_and_b32 s15, s15, s14
	s_wait_alu 0xfffe
	s_and_saveexec_b32 s14, s15
	s_cbranch_execz .LBB812_182
; %bb.181:                              ;   in Loop: Header=BB812_172 Depth=1
	s_wait_dscnt 0x0
	v_bcnt_u32_b32 v84, v84, v81
	ds_store_b32 v83, v84
.LBB812_182:                            ;   in Loop: Header=BB812_172 Depth=1
	s_wait_alu 0xfffe
	s_or_b32 exec_lo, exec_lo, s14
	v_lshrrev_b64 v[84:85], v10, v[28:29]
	; wave barrier
	s_delay_alu instid0(VALU_DEP_1) | instskip(NEXT) | instid1(VALU_DEP_1)
	v_and_b32_e32 v84, v84, v65
	v_and_b32_e32 v85, 1, v84
	v_lshlrev_b32_e32 v86, 30, v84
	v_lshlrev_b32_e32 v87, 29, v84
	;; [unrolled: 1-line block ×4, first 2 shown]
	v_add_co_u32 v85, s14, v85, -1
	s_wait_alu 0xf1ff
	v_cndmask_b32_e64 v97, 0, 1, s14
	v_not_b32_e32 v101, v86
	v_cmp_gt_i32_e64 s15, 0, v86
	v_not_b32_e32 v86, v87
	v_lshlrev_b32_e32 v99, 26, v84
	v_cmp_ne_u32_e64 s14, 0, v97
	v_ashrrev_i32_e32 v101, 31, v101
	v_lshlrev_b32_e32 v100, 25, v84
	v_ashrrev_i32_e32 v86, 31, v86
	v_lshlrev_b32_e32 v97, 24, v84
	s_wait_alu 0xf1ff
	v_xor_b32_e32 v85, s14, v85
	v_cmp_gt_i32_e64 s14, 0, v87
	v_not_b32_e32 v87, v96
	v_xor_b32_e32 v101, s15, v101
	v_cmp_gt_i32_e64 s15, 0, v96
	v_and_b32_e32 v85, exec_lo, v85
	v_not_b32_e32 v96, v98
	v_ashrrev_i32_e32 v87, 31, v87
	s_wait_alu 0xf1ff
	v_xor_b32_e32 v86, s14, v86
	v_cmp_gt_i32_e64 s14, 0, v98
	v_and_b32_e32 v85, v85, v101
	v_not_b32_e32 v98, v99
	v_ashrrev_i32_e32 v96, 31, v96
	v_xor_b32_e32 v87, s15, v87
	v_cmp_gt_i32_e64 s15, 0, v99
	v_and_b32_e32 v85, v85, v86
	v_not_b32_e32 v86, v100
	v_ashrrev_i32_e32 v98, 31, v98
	s_wait_alu 0xf1ff
	v_xor_b32_e32 v96, s14, v96
	v_cmp_gt_i32_e64 s14, 0, v100
	v_and_b32_e32 v85, v85, v87
	v_not_b32_e32 v87, v97
	v_ashrrev_i32_e32 v86, 31, v86
	v_xor_b32_e32 v98, s15, v98
	v_lshl_add_u32 v84, v84, 3, v134
	v_and_b32_e32 v85, v85, v96
	v_cmp_gt_i32_e64 s15, 0, v97
	v_ashrrev_i32_e32 v87, 31, v87
	s_wait_alu 0xf1ff
	v_xor_b32_e32 v86, s14, v86
	v_lshl_add_u32 v96, v84, 2, v12
	v_and_b32_e32 v85, v85, v98
	v_xor_b32_e32 v87, s15, v87
	ds_load_b32 v84, v96 offset:32
	v_and_b32_e32 v85, v85, v86
	v_add_nc_u32_e32 v86, 32, v96
	; wave barrier
	s_delay_alu instid0(VALU_DEP_2) | instskip(NEXT) | instid1(VALU_DEP_1)
	v_and_b32_e32 v87, v85, v87
	v_mbcnt_lo_u32_b32 v85, v87, 0
	v_cmp_ne_u32_e64 s15, 0, v87
	s_delay_alu instid0(VALU_DEP_2)
	v_cmp_eq_u32_e64 s14, 0, v85
	s_and_b32 s15, s15, s14
	s_wait_alu 0xfffe
	s_and_saveexec_b32 s14, s15
	s_cbranch_execz .LBB812_184
; %bb.183:                              ;   in Loop: Header=BB812_172 Depth=1
	s_wait_dscnt 0x0
	v_bcnt_u32_b32 v87, v87, v84
	ds_store_b32 v86, v87
.LBB812_184:                            ;   in Loop: Header=BB812_172 Depth=1
	s_wait_alu 0xfffe
	s_or_b32 exec_lo, exec_lo, s14
	v_lshrrev_b64 v[96:97], v10, v[36:37]
	; wave barrier
	s_delay_alu instid0(VALU_DEP_1) | instskip(NEXT) | instid1(VALU_DEP_1)
	v_and_b32_e32 v87, v96, v65
	v_and_b32_e32 v96, 1, v87
	v_lshlrev_b32_e32 v97, 30, v87
	v_lshlrev_b32_e32 v98, 29, v87
	;; [unrolled: 1-line block ×4, first 2 shown]
	v_add_co_u32 v96, s14, v96, -1
	s_wait_alu 0xf1ff
	v_cndmask_b32_e64 v100, 0, 1, s14
	v_not_b32_e32 v112, v97
	v_cmp_gt_i32_e64 s15, 0, v97
	v_not_b32_e32 v97, v98
	v_lshlrev_b32_e32 v102, 26, v87
	v_cmp_ne_u32_e64 s14, 0, v100
	v_ashrrev_i32_e32 v112, 31, v112
	v_lshlrev_b32_e32 v103, 25, v87
	v_ashrrev_i32_e32 v97, 31, v97
	v_lshlrev_b32_e32 v100, 24, v87
	s_wait_alu 0xf1ff
	v_xor_b32_e32 v96, s14, v96
	v_cmp_gt_i32_e64 s14, 0, v98
	v_not_b32_e32 v98, v99
	v_xor_b32_e32 v112, s15, v112
	v_cmp_gt_i32_e64 s15, 0, v99
	v_and_b32_e32 v96, exec_lo, v96
	v_not_b32_e32 v99, v101
	v_ashrrev_i32_e32 v98, 31, v98
	s_wait_alu 0xf1ff
	v_xor_b32_e32 v97, s14, v97
	v_cmp_gt_i32_e64 s14, 0, v101
	v_and_b32_e32 v96, v96, v112
	v_not_b32_e32 v101, v102
	v_ashrrev_i32_e32 v99, 31, v99
	v_xor_b32_e32 v98, s15, v98
	v_cmp_gt_i32_e64 s15, 0, v102
	v_and_b32_e32 v96, v96, v97
	v_not_b32_e32 v97, v103
	v_ashrrev_i32_e32 v101, 31, v101
	s_wait_alu 0xf1ff
	v_xor_b32_e32 v99, s14, v99
	v_cmp_gt_i32_e64 s14, 0, v103
	v_and_b32_e32 v96, v96, v98
	v_not_b32_e32 v98, v100
	v_ashrrev_i32_e32 v97, 31, v97
	v_xor_b32_e32 v101, s15, v101
	v_lshl_add_u32 v87, v87, 3, v134
	v_and_b32_e32 v96, v96, v99
	v_cmp_gt_i32_e64 s15, 0, v100
	v_ashrrev_i32_e32 v98, 31, v98
	s_wait_alu 0xf1ff
	v_xor_b32_e32 v97, s14, v97
	v_lshl_add_u32 v99, v87, 2, v12
	v_and_b32_e32 v96, v96, v101
	v_xor_b32_e32 v98, s15, v98
	ds_load_b32 v87, v99 offset:32
	v_and_b32_e32 v96, v96, v97
	v_add_nc_u32_e32 v97, 32, v99
	; wave barrier
	s_delay_alu instid0(VALU_DEP_2) | instskip(NEXT) | instid1(VALU_DEP_1)
	v_and_b32_e32 v98, v96, v98
	v_mbcnt_lo_u32_b32 v96, v98, 0
	v_cmp_ne_u32_e64 s15, 0, v98
	s_delay_alu instid0(VALU_DEP_2)
	v_cmp_eq_u32_e64 s14, 0, v96
	s_and_b32 s15, s15, s14
	s_wait_alu 0xfffe
	s_and_saveexec_b32 s14, s15
	s_cbranch_execz .LBB812_186
; %bb.185:                              ;   in Loop: Header=BB812_172 Depth=1
	s_wait_dscnt 0x0
	v_bcnt_u32_b32 v98, v98, v87
	ds_store_b32 v97, v98
.LBB812_186:                            ;   in Loop: Header=BB812_172 Depth=1
	s_wait_alu 0xfffe
	s_or_b32 exec_lo, exec_lo, s14
	v_lshrrev_b64 v[98:99], v10, v[38:39]
	; wave barrier
	s_delay_alu instid0(VALU_DEP_1) | instskip(NEXT) | instid1(VALU_DEP_1)
	v_and_b32_e32 v65, v98, v65
	v_and_b32_e32 v98, 1, v65
	v_lshlrev_b32_e32 v99, 30, v65
	v_lshlrev_b32_e32 v100, 29, v65
	;; [unrolled: 1-line block ×4, first 2 shown]
	v_add_co_u32 v98, s14, v98, -1
	s_wait_alu 0xf1ff
	v_cndmask_b32_e64 v102, 0, 1, s14
	v_not_b32_e32 v114, v99
	v_cmp_gt_i32_e64 s15, 0, v99
	v_not_b32_e32 v99, v100
	v_lshlrev_b32_e32 v112, 26, v65
	v_cmp_ne_u32_e64 s14, 0, v102
	v_ashrrev_i32_e32 v114, 31, v114
	v_lshlrev_b32_e32 v113, 25, v65
	v_ashrrev_i32_e32 v99, 31, v99
	v_lshlrev_b32_e32 v102, 24, v65
	s_wait_alu 0xf1ff
	v_xor_b32_e32 v98, s14, v98
	v_cmp_gt_i32_e64 s14, 0, v100
	v_not_b32_e32 v100, v101
	v_xor_b32_e32 v114, s15, v114
	v_cmp_gt_i32_e64 s15, 0, v101
	v_and_b32_e32 v98, exec_lo, v98
	v_not_b32_e32 v101, v103
	v_ashrrev_i32_e32 v100, 31, v100
	s_wait_alu 0xf1ff
	v_xor_b32_e32 v99, s14, v99
	v_cmp_gt_i32_e64 s14, 0, v103
	v_and_b32_e32 v98, v98, v114
	v_not_b32_e32 v103, v112
	v_ashrrev_i32_e32 v101, 31, v101
	v_xor_b32_e32 v100, s15, v100
	v_cmp_gt_i32_e64 s15, 0, v112
	v_and_b32_e32 v98, v98, v99
	v_not_b32_e32 v99, v113
	v_ashrrev_i32_e32 v103, 31, v103
	s_wait_alu 0xf1ff
	v_xor_b32_e32 v101, s14, v101
	v_cmp_gt_i32_e64 s14, 0, v113
	v_and_b32_e32 v98, v98, v100
	v_not_b32_e32 v100, v102
	v_ashrrev_i32_e32 v99, 31, v99
	v_xor_b32_e32 v103, s15, v103
	v_lshl_add_u32 v65, v65, 3, v134
	v_and_b32_e32 v98, v98, v101
	v_cmp_gt_i32_e64 s15, 0, v102
	v_ashrrev_i32_e32 v100, 31, v100
	s_wait_alu 0xf1ff
	v_xor_b32_e32 v99, s14, v99
	v_lshl_add_u32 v101, v65, 2, v12
	v_and_b32_e32 v98, v98, v103
	v_xor_b32_e32 v100, s15, v100
	ds_load_b32 v65, v101 offset:32
	v_and_b32_e32 v98, v98, v99
	v_add_nc_u32_e32 v99, 32, v101
	; wave barrier
	s_delay_alu instid0(VALU_DEP_2) | instskip(NEXT) | instid1(VALU_DEP_1)
	v_and_b32_e32 v100, v98, v100
	v_mbcnt_lo_u32_b32 v98, v100, 0
	v_cmp_ne_u32_e64 s15, 0, v100
	s_delay_alu instid0(VALU_DEP_2)
	v_cmp_eq_u32_e64 s14, 0, v98
	s_and_b32 s15, s15, s14
	s_wait_alu 0xfffe
	s_and_saveexec_b32 s14, s15
	s_cbranch_execz .LBB812_188
; %bb.187:                              ;   in Loop: Header=BB812_172 Depth=1
	s_wait_dscnt 0x0
	v_bcnt_u32_b32 v100, v100, v65
	ds_store_b32 v99, v100
.LBB812_188:                            ;   in Loop: Header=BB812_172 Depth=1
	s_wait_alu 0xfffe
	s_or_b32 exec_lo, exec_lo, s14
	; wave barrier
	s_wait_loadcnt_dscnt 0x0
	s_barrier_signal -1
	s_barrier_wait -1
	global_inv scope:SCOPE_SE
	ds_load_b32 v101, v55
	ds_load_b32 v102, v118
	;; [unrolled: 1-line block ×8, first 2 shown]
	s_wait_dscnt 0x6
	v_add_nc_u32_e32 v116, v102, v101
	s_wait_dscnt 0x4
	s_delay_alu instid0(VALU_DEP_1) | instskip(SKIP_1) | instid1(VALU_DEP_1)
	v_add3_u32 v116, v116, v103, v112
	s_wait_dscnt 0x2
	v_add3_u32 v116, v116, v113, v114
	s_wait_dscnt 0x0
	s_delay_alu instid0(VALU_DEP_1) | instskip(NEXT) | instid1(VALU_DEP_1)
	v_add3_u32 v115, v116, v100, v115
	v_mov_b32_dpp v116, v115 row_shr:1 row_mask:0xf bank_mask:0xf
	s_wait_alu 0xfffd
	s_delay_alu instid0(VALU_DEP_1) | instskip(NEXT) | instid1(VALU_DEP_1)
	v_cndmask_b32_e64 v116, v116, 0, vcc_lo
	v_add_nc_u32_e32 v115, v116, v115
	s_delay_alu instid0(VALU_DEP_1) | instskip(NEXT) | instid1(VALU_DEP_1)
	v_mov_b32_dpp v116, v115 row_shr:2 row_mask:0xf bank_mask:0xf
	v_cndmask_b32_e64 v116, 0, v116, s0
	s_delay_alu instid0(VALU_DEP_1) | instskip(NEXT) | instid1(VALU_DEP_1)
	v_add_nc_u32_e32 v115, v115, v116
	v_mov_b32_dpp v116, v115 row_shr:4 row_mask:0xf bank_mask:0xf
	s_delay_alu instid0(VALU_DEP_1) | instskip(NEXT) | instid1(VALU_DEP_1)
	v_cndmask_b32_e64 v116, 0, v116, s1
	v_add_nc_u32_e32 v115, v115, v116
	s_delay_alu instid0(VALU_DEP_1) | instskip(NEXT) | instid1(VALU_DEP_1)
	v_mov_b32_dpp v116, v115 row_shr:8 row_mask:0xf bank_mask:0xf
	v_cndmask_b32_e64 v116, 0, v116, s3
	s_delay_alu instid0(VALU_DEP_1) | instskip(SKIP_3) | instid1(VALU_DEP_1)
	v_add_nc_u32_e32 v115, v115, v116
	ds_swizzle_b32 v116, v115 offset:swizzle(BROADCAST,32,15)
	s_wait_dscnt 0x0
	v_cndmask_b32_e64 v116, v116, 0, s4
	v_add_nc_u32_e32 v115, v115, v116
	s_and_saveexec_b32 s14, s5
; %bb.189:                              ;   in Loop: Header=BB812_172 Depth=1
	ds_store_b32 v144, v115
; %bb.190:                              ;   in Loop: Header=BB812_172 Depth=1
	s_wait_alu 0xfffe
	s_or_b32 exec_lo, exec_lo, s14
	s_wait_loadcnt_dscnt 0x0
	s_barrier_signal -1
	s_barrier_wait -1
	global_inv scope:SCOPE_SE
	s_and_saveexec_b32 s14, s6
	s_cbranch_execz .LBB812_192
; %bb.191:                              ;   in Loop: Header=BB812_172 Depth=1
	ds_load_b32 v116, v145
	s_wait_dscnt 0x0
	v_mov_b32_dpp v117, v116 row_shr:1 row_mask:0xf bank_mask:0xf
	s_delay_alu instid0(VALU_DEP_1) | instskip(NEXT) | instid1(VALU_DEP_1)
	v_cndmask_b32_e64 v117, v117, 0, s11
	v_add_nc_u32_e32 v116, v117, v116
	s_delay_alu instid0(VALU_DEP_1) | instskip(NEXT) | instid1(VALU_DEP_1)
	v_mov_b32_dpp v117, v116 row_shr:2 row_mask:0xf bank_mask:0xf
	v_cndmask_b32_e64 v117, 0, v117, s12
	s_delay_alu instid0(VALU_DEP_1) | instskip(NEXT) | instid1(VALU_DEP_1)
	v_add_nc_u32_e32 v116, v116, v117
	v_mov_b32_dpp v117, v116 row_shr:4 row_mask:0xf bank_mask:0xf
	s_delay_alu instid0(VALU_DEP_1) | instskip(NEXT) | instid1(VALU_DEP_1)
	v_cndmask_b32_e64 v117, 0, v117, s13
	v_add_nc_u32_e32 v116, v116, v117
	ds_store_b32 v145, v116
.LBB812_192:                            ;   in Loop: Header=BB812_172 Depth=1
	s_wait_alu 0xfffe
	s_or_b32 exec_lo, exec_lo, s14
	v_mov_b32_e32 v116, 0
	s_wait_loadcnt_dscnt 0x0
	s_barrier_signal -1
	s_barrier_wait -1
	global_inv scope:SCOPE_SE
	s_and_saveexec_b32 s14, s7
; %bb.193:                              ;   in Loop: Header=BB812_172 Depth=1
	ds_load_b32 v116, v147
; %bb.194:                              ;   in Loop: Header=BB812_172 Depth=1
	s_wait_alu 0xfffe
	s_or_b32 exec_lo, exec_lo, s14
	s_wait_dscnt 0x0
	v_add_nc_u32_e32 v115, v116, v115
	v_add_nc_u32_e32 v10, 8, v10
	s_mov_b32 s20, -1
	ds_bpermute_b32 v115, v135, v115
	s_wait_dscnt 0x0
	v_cndmask_b32_e64 v115, v115, v116, s2
                                        ; implicit-def: $vgpr116_vgpr117
	s_delay_alu instid0(VALU_DEP_1) | instskip(NEXT) | instid1(VALU_DEP_1)
	v_cndmask_b32_e64 v115, v115, 0, s10
	v_add_nc_u32_e32 v101, v115, v101
	s_delay_alu instid0(VALU_DEP_1) | instskip(SKIP_4) | instid1(VALU_DEP_1)
	v_add_nc_u32_e32 v102, v101, v102
	ds_store_b32 v55, v115
	ds_store_b32 v118, v101
	;; [unrolled: 1-line block ×3, first 2 shown]
	v_dual_mov_b32 v102, v1 :: v_dual_add_nc_u32 v103, v102, v103
	v_add_nc_u32_e32 v112, v103, v112
	s_delay_alu instid0(VALU_DEP_1) | instskip(NEXT) | instid1(VALU_DEP_1)
	v_add_nc_u32_e32 v113, v112, v113
	v_add_nc_u32_e32 v114, v113, v114
	s_delay_alu instid0(VALU_DEP_1)
	v_add_nc_u32_e32 v100, v114, v100
	ds_store_b32 v129, v103
	ds_store_b32 v130, v112
	;; [unrolled: 1-line block ×5, first 2 shown]
	s_wait_loadcnt_dscnt 0x0
	s_barrier_signal -1
	s_barrier_wait -1
	global_inv scope:SCOPE_SE
	ds_load_b32 v53, v53
	ds_load_b32 v101, v66
	;; [unrolled: 1-line block ×8, first 2 shown]
	v_mov_b32_e32 v83, v1
	v_dual_mov_b32 v69, v1 :: v_dual_mov_b32 v86, v1
	v_dual_mov_b32 v100, v1 :: v_dual_mov_b32 v97, v1
	v_mov_b32_e32 v66, v1
	v_cmp_lt_u32_e64 s14, v10, v11
	s_wait_loadcnt_dscnt 0x0
	v_add_nc_u32_e32 v0, v53, v0
	v_add3_u32 v99, v64, v54, v101
	v_add3_u32 v68, v68, v67, v103
	;; [unrolled: 1-line block ×7, first 2 shown]
	v_lshlrev_b64_e32 v[67:68], 3, v[68:69]
	v_lshlrev_b64_e32 v[80:81], 3, v[82:83]
	;; [unrolled: 1-line block ×8, first 2 shown]
	v_add_co_u32 v165, null, v12, v67
	v_add_co_u32 v0, null, v12, v53
	v_add_co_u32 v164, null, v12, v70
	v_add_co_u32 v166, null, v12, v68
	v_add_co_u32 v167, null, v12, v80
	v_add_co_u32 v176, null, v12, v81
	v_add_co_u32 v177, null, v12, v82
	v_add_co_u32 v178, null, v12, v64
                                        ; implicit-def: $vgpr86_vgpr87
                                        ; implicit-def: $vgpr98_vgpr99
                                        ; implicit-def: $vgpr96_vgpr97
                                        ; implicit-def: $vgpr100_vgpr101
                                        ; implicit-def: $vgpr102_vgpr103
                                        ; implicit-def: $vgpr112_vgpr113
                                        ; implicit-def: $vgpr114_vgpr115
                                        ; implicit-def: $vgpr64_vgpr65
                                        ; implicit-def: $vgpr53_vgpr54
                                        ; implicit-def: $vgpr70_vgpr71
                                        ; implicit-def: $vgpr68_vgpr69
                                        ; implicit-def: $vgpr82_vgpr83
                                        ; implicit-def: $vgpr80_vgpr81
                                        ; implicit-def: $vgpr84_vgpr85
                                        ; implicit-def: $vgpr66_vgpr67
	s_and_saveexec_b32 s15, s14
	s_cbranch_execz .LBB812_171
; %bb.195:                              ;   in Loop: Header=BB812_172 Depth=1
	s_barrier_signal -1
	s_barrier_wait -1
	global_inv scope:SCOPE_SE
	ds_store_b64 v0, v[24:25]
	ds_store_b64 v164, v[26:27]
	;; [unrolled: 1-line block ×8, first 2 shown]
	s_wait_loadcnt_dscnt 0x0
	s_barrier_signal -1
	s_barrier_wait -1
	global_inv scope:SCOPE_SE
	ds_load_b64 v[64:65], v146
	ds_load_b64 v[53:54], v148
	;; [unrolled: 1-line block ×8, first 2 shown]
	s_wait_loadcnt_dscnt 0x0
	s_barrier_signal -1
	s_barrier_wait -1
	global_inv scope:SCOPE_SE
	ds_store_b64 v0, v[8:9]
	ds_store_b64 v164, v[4:5]
	ds_store_b64 v165, v[17:18]
	ds_store_b64 v166, v[15:16]
	ds_store_b64 v167, v[13:14]
	ds_store_b64 v176, v[51:52]
	ds_store_b64 v177, v[22:23]
	ds_store_b64 v178, v[19:20]
	s_wait_loadcnt_dscnt 0x0
	s_barrier_signal -1
	s_barrier_wait -1
	global_inv scope:SCOPE_SE
	ds_load_b64 v[86:87], v146
	ds_load_b64 v[98:99], v148
	;; [unrolled: 1-line block ×8, first 2 shown]
	v_add_nc_u32_e32 v163, -8, v163
	s_xor_b32 s20, exec_lo, -1
	s_wait_loadcnt_dscnt 0x0
	s_barrier_signal -1
	s_barrier_wait -1
	global_inv scope:SCOPE_SE
	s_branch .LBB812_171
.LBB812_196:
	flat_load_b64 v[192:193], v[0:1]
	s_wait_alu 0xfffe
	s_or_b32 exec_lo, exec_lo, s17
                                        ; implicit-def: $vgpr196_vgpr197
	s_and_saveexec_b32 s17, s0
	s_cbranch_execz .LBB812_36
.LBB812_197:
	flat_load_b64 v[196:197], v[0:1] offset:256
	s_wait_alu 0xfffe
	s_or_b32 exec_lo, exec_lo, s17
                                        ; implicit-def: $vgpr182_vgpr183
	s_and_saveexec_b32 s0, s1
	s_cbranch_execz .LBB812_37
.LBB812_198:
	flat_load_b64 v[182:183], v[0:1] offset:512
	s_wait_alu 0xfffe
	s_or_b32 exec_lo, exec_lo, s0
                                        ; implicit-def: $vgpr194_vgpr195
	s_and_saveexec_b32 s0, s2
	s_cbranch_execz .LBB812_38
.LBB812_199:
	flat_load_b64 v[194:195], v[0:1] offset:768
	s_wait_alu 0xfffe
	s_or_b32 exec_lo, exec_lo, s0
                                        ; implicit-def: $vgpr208_vgpr209
	s_and_saveexec_b32 s0, s3
	s_cbranch_execz .LBB812_39
.LBB812_200:
	flat_load_b64 v[208:209], v[0:1] offset:1024
	s_wait_alu 0xfffe
	s_or_b32 exec_lo, exec_lo, s0
                                        ; implicit-def: $vgpr198_vgpr199
	s_and_saveexec_b32 s0, s4
	s_cbranch_execz .LBB812_40
.LBB812_201:
	flat_load_b64 v[198:199], v[0:1] offset:1280
	s_wait_alu 0xfffe
	s_or_b32 exec_lo, exec_lo, s0
                                        ; implicit-def: $vgpr210_vgpr211
	s_and_saveexec_b32 s0, s5
	s_cbranch_execz .LBB812_41
.LBB812_202:
	flat_load_b64 v[210:211], v[0:1] offset:1536
	s_wait_alu 0xfffe
	s_or_b32 exec_lo, exec_lo, s0
                                        ; implicit-def: $vgpr212_vgpr213
	s_and_saveexec_b32 s0, s6
	s_cbranch_execz .LBB812_42
.LBB812_203:
	flat_load_b64 v[212:213], v[0:1] offset:1792
	s_wait_alu 0xfffe
	s_or_b32 exec_lo, exec_lo, s0
                                        ; implicit-def: $vgpr214_vgpr215
	s_and_saveexec_b32 s0, s7
	s_cbranch_execz .LBB812_43
.LBB812_204:
	flat_load_b64 v[214:215], v[0:1] offset:2048
	s_wait_alu 0xfffe
	s_or_b32 exec_lo, exec_lo, s0
                                        ; implicit-def: $vgpr224_vgpr225
	s_and_saveexec_b32 s0, s10
	s_cbranch_execz .LBB812_44
.LBB812_205:
	flat_load_b64 v[224:225], v[0:1] offset:2304
	s_wait_alu 0xfffe
	s_or_b32 exec_lo, exec_lo, s0
                                        ; implicit-def: $vgpr226_vgpr227
	s_and_saveexec_b32 s0, s11
	s_cbranch_execz .LBB812_45
.LBB812_206:
	flat_load_b64 v[226:227], v[0:1] offset:2560
	s_wait_alu 0xfffe
	s_or_b32 exec_lo, exec_lo, s0
                                        ; implicit-def: $vgpr228_vgpr229
	s_and_saveexec_b32 s0, s12
	s_cbranch_execz .LBB812_46
.LBB812_207:
	flat_load_b64 v[228:229], v[0:1] offset:2816
	s_wait_alu 0xfffe
	s_or_b32 exec_lo, exec_lo, s0
                                        ; implicit-def: $vgpr230_vgpr231
	s_and_saveexec_b32 s0, s13
	s_cbranch_execz .LBB812_47
.LBB812_208:
	flat_load_b64 v[230:231], v[0:1] offset:3072
	s_wait_alu 0xfffe
	s_or_b32 exec_lo, exec_lo, s0
                                        ; implicit-def: $vgpr240_vgpr241
	s_and_saveexec_b32 s0, s14
	s_cbranch_execz .LBB812_48
.LBB812_209:
	flat_load_b64 v[240:241], v[0:1] offset:3328
	s_wait_alu 0xfffe
	s_or_b32 exec_lo, exec_lo, s0
                                        ; implicit-def: $vgpr242_vgpr243
	s_and_saveexec_b32 s0, s15
	s_cbranch_execz .LBB812_49
.LBB812_210:
	flat_load_b64 v[242:243], v[0:1] offset:3584
	s_wait_alu 0xfffe
	s_or_b32 exec_lo, exec_lo, s0
                                        ; implicit-def: $vgpr244_vgpr245
	s_and_saveexec_b32 s0, s16
	s_cbranch_execnz .LBB812_50
	s_branch .LBB812_51
.LBB812_211:
	flat_store_b64 v[0:1], v[48:49]
	s_wait_alu 0xfffe
	s_or_b32 exec_lo, exec_lo, s17
	s_and_saveexec_b32 s17, s0
	s_cbranch_execz .LBB812_127
.LBB812_212:
	flat_store_b64 v[0:1], v[50:51] offset:2048
	s_wait_alu 0xfffe
	s_or_b32 exec_lo, exec_lo, s17
	s_and_saveexec_b32 s0, s1
	s_cbranch_execz .LBB812_128
.LBB812_213:
	flat_store_b64 v[0:1], v[32:33] offset:4096
	s_wait_alu 0xfffe
	s_or_b32 exec_lo, exec_lo, s0
	s_and_saveexec_b32 s0, s2
	s_cbranch_execz .LBB812_129
.LBB812_214:
	flat_store_b64 v[0:1], v[34:35] offset:6144
	s_wait_alu 0xfffe
	s_or_b32 exec_lo, exec_lo, s0
	s_and_saveexec_b32 s0, s3
	s_cbranch_execz .LBB812_130
.LBB812_215:
	flat_store_b64 v[0:1], v[28:29] offset:8192
	s_wait_alu 0xfffe
	s_or_b32 exec_lo, exec_lo, s0
	s_and_saveexec_b32 s0, s4
	s_cbranch_execz .LBB812_131
.LBB812_216:
	flat_store_b64 v[0:1], v[30:31] offset:10240
	s_wait_alu 0xfffe
	s_or_b32 exec_lo, exec_lo, s0
	s_and_saveexec_b32 s0, s5
	s_cbranch_execz .LBB812_132
.LBB812_217:
	flat_store_b64 v[0:1], v[24:25] offset:12288
	s_wait_alu 0xfffe
	s_or_b32 exec_lo, exec_lo, s0
	s_and_saveexec_b32 s0, s6
	s_cbranch_execz .LBB812_133
.LBB812_218:
	flat_store_b64 v[0:1], v[26:27] offset:14336
	s_wait_alu 0xfffe
	s_or_b32 exec_lo, exec_lo, s0
	s_and_saveexec_b32 s0, s7
	s_cbranch_execz .LBB812_134
.LBB812_219:
	flat_store_b64 v[0:1], v[20:21] offset:16384
	s_wait_alu 0xfffe
	s_or_b32 exec_lo, exec_lo, s0
	s_and_saveexec_b32 s0, s10
	s_cbranch_execz .LBB812_135
.LBB812_220:
	flat_store_b64 v[0:1], v[22:23] offset:18432
	s_wait_alu 0xfffe
	s_or_b32 exec_lo, exec_lo, s0
	s_and_saveexec_b32 s0, s11
	s_cbranch_execz .LBB812_136
.LBB812_221:
	flat_store_b64 v[0:1], v[16:17] offset:20480
	s_wait_alu 0xfffe
	s_or_b32 exec_lo, exec_lo, s0
	s_and_saveexec_b32 s0, s12
	s_cbranch_execz .LBB812_137
.LBB812_222:
	flat_store_b64 v[0:1], v[18:19] offset:22528
	s_wait_alu 0xfffe
	s_or_b32 exec_lo, exec_lo, s0
	s_and_saveexec_b32 s0, s13
	s_cbranch_execz .LBB812_138
.LBB812_223:
	flat_store_b64 v[0:1], v[12:13] offset:24576
	s_wait_alu 0xfffe
	s_or_b32 exec_lo, exec_lo, s0
	s_and_saveexec_b32 s0, s14
	s_cbranch_execz .LBB812_139
.LBB812_224:
	flat_store_b64 v[0:1], v[14:15] offset:26624
	s_wait_alu 0xfffe
	s_or_b32 exec_lo, exec_lo, s0
	s_and_saveexec_b32 s0, s15
	s_cbranch_execz .LBB812_140
.LBB812_225:
	flat_store_b64 v[0:1], v[8:9] offset:28672
	s_wait_alu 0xfffe
	s_or_b32 exec_lo, exec_lo, s0
	s_and_saveexec_b32 s0, s16
	s_cbranch_execnz .LBB812_141
	s_branch .LBB812_142
.LBB812_226:
	s_or_b32 exec_lo, exec_lo, s19
	v_lshl_add_u32 v1, v21, 3, v12
	s_barrier_signal -1
	s_barrier_wait -1
	s_wait_loadcnt 0x0
	global_inv scope:SCOPE_SE
	ds_store_b64 v0, v[24:25]
	ds_store_b64 v164, v[26:27]
	ds_store_b64 v165, v[34:35]
	ds_store_b64 v166, v[32:33]
	ds_store_b64 v167, v[30:31]
	ds_store_b64 v176, v[28:29]
	ds_store_b64 v177, v[36:37]
	ds_store_b64 v178, v[38:39]
	s_wait_loadcnt_dscnt 0x0
	s_barrier_signal -1
	s_barrier_wait -1
	global_inv scope:SCOPE_SE
	ds_load_2addr_stride64_b64 v[36:39], v1 offset1:4
	ds_load_2addr_stride64_b64 v[32:35], v1 offset0:8 offset1:12
	ds_load_2addr_stride64_b64 v[28:31], v1 offset0:16 offset1:20
	;; [unrolled: 1-line block ×3, first 2 shown]
	s_wait_loadcnt_dscnt 0x0
	s_barrier_signal -1
	s_barrier_wait -1
	global_inv scope:SCOPE_SE
	ds_store_b64 v0, v[8:9]
	ds_store_b64 v164, v[4:5]
	;; [unrolled: 1-line block ×8, first 2 shown]
	s_wait_loadcnt_dscnt 0x0
	s_barrier_signal -1
	s_barrier_wait -1
	global_inv scope:SCOPE_SE
	ds_load_2addr_stride64_b64 v[20:23], v1 offset1:4
	ds_load_2addr_stride64_b64 v[16:19], v1 offset0:8 offset1:12
	ds_load_2addr_stride64_b64 v[12:15], v1 offset0:16 offset1:20
	;; [unrolled: 1-line block ×3, first 2 shown]
	v_mov_b32_e32 v51, 0
	v_add_co_u32 v2, vcc_lo, v2, v48
	s_wait_alu 0xfffd
	v_add_co_ci_u32_e64 v3, null, v3, v49, vcc_lo
	s_delay_alu instid0(VALU_DEP_3)
	v_lshlrev_b64_e32 v[0:1], 3, v[50:51]
	s_wait_loadcnt_dscnt 0x0
	s_barrier_signal -1
	s_barrier_wait -1
	global_inv scope:SCOPE_SE
	v_add_co_u32 v2, vcc_lo, v2, v0
	s_wait_alu 0xfffd
	v_add_co_ci_u32_e64 v3, null, v3, v1, vcc_lo
	v_cmp_lt_u32_e32 vcc_lo, v50, v119
	s_and_saveexec_b32 s0, vcc_lo
	s_cbranch_execz .LBB812_228
; %bb.227:
	v_xor_b32_e32 v37, 0x80000000, v37
	flat_store_b64 v[2:3], v[36:37]
.LBB812_228:
	s_wait_alu 0xfffe
	s_or_b32 exec_lo, exec_lo, s0
	v_add_nc_u32_e32 v4, 0x100, v50
	s_delay_alu instid0(VALU_DEP_1)
	v_cmp_lt_u32_e64 s0, v4, v119
	s_and_saveexec_b32 s1, s0
	s_cbranch_execz .LBB812_230
; %bb.229:
	v_xor_b32_e32 v39, 0x80000000, v39
	flat_store_b64 v[2:3], v[38:39] offset:2048
.LBB812_230:
	s_wait_alu 0xfffe
	s_or_b32 exec_lo, exec_lo, s1
	v_add_nc_u32_e32 v4, 0x200, v50
	s_delay_alu instid0(VALU_DEP_1)
	v_cmp_lt_u32_e64 s1, v4, v119
	s_and_saveexec_b32 s2, s1
	s_cbranch_execz .LBB812_232
; %bb.231:
	v_xor_b32_e32 v33, 0x80000000, v33
	flat_store_b64 v[2:3], v[32:33] offset:4096
.LBB812_232:
	;; [unrolled: 11-line block ×7, first 2 shown]
	s_wait_alu 0xfffe
	s_or_b32 exec_lo, exec_lo, s7
	v_add_co_u32 v2, s7, v6, v48
	s_wait_alu 0xf1ff
	v_add_co_ci_u32_e64 v3, null, v7, v49, s7
	s_delay_alu instid0(VALU_DEP_2) | instskip(SKIP_1) | instid1(VALU_DEP_2)
	v_add_co_u32 v0, s7, v2, v0
	s_wait_alu 0xf1ff
	v_add_co_ci_u32_e64 v1, null, v3, v1, s7
	s_and_saveexec_b32 s7, vcc_lo
	s_cbranch_execnz .LBB812_292
; %bb.243:
	s_wait_alu 0xfffe
	s_or_b32 exec_lo, exec_lo, s7
	s_and_saveexec_b32 s7, s0
	s_cbranch_execnz .LBB812_293
.LBB812_244:
	s_wait_alu 0xfffe
	s_or_b32 exec_lo, exec_lo, s7
	s_and_saveexec_b32 s0, s1
	s_cbranch_execnz .LBB812_294
.LBB812_245:
	s_wait_alu 0xfffe
	s_or_b32 exec_lo, exec_lo, s0
	s_and_saveexec_b32 s0, s2
	s_cbranch_execnz .LBB812_295
.LBB812_246:
	s_wait_alu 0xfffe
	s_or_b32 exec_lo, exec_lo, s0
	s_and_saveexec_b32 s0, s3
	s_cbranch_execnz .LBB812_296
.LBB812_247:
	s_wait_alu 0xfffe
	s_or_b32 exec_lo, exec_lo, s0
	s_and_saveexec_b32 s0, s4
	s_cbranch_execnz .LBB812_297
.LBB812_248:
	s_wait_alu 0xfffe
	s_or_b32 exec_lo, exec_lo, s0
	s_and_saveexec_b32 s0, s5
	s_cbranch_execnz .LBB812_298
.LBB812_249:
	s_wait_alu 0xfffe
	s_or_b32 exec_lo, exec_lo, s0
	s_and_saveexec_b32 s0, s6
	s_cbranch_execz .LBB812_251
.LBB812_250:
	flat_store_b64 v[0:1], v[10:11] offset:14336
.LBB812_251:
	s_wait_alu 0xfffe
	s_or_b32 exec_lo, exec_lo, s0
                                        ; implicit-def: $vgpr119
                                        ; implicit-def: $vgpr0
                                        ; implicit-def: $vgpr1
                                        ; implicit-def: $vgpr2
                                        ; implicit-def: $vgpr3
                                        ; implicit-def: $vgpr4
                                        ; implicit-def: $vgpr5
                                        ; implicit-def: $vgpr6
                                        ; implicit-def: $vgpr7
                                        ; implicit-def: $vgpr8
                                        ; implicit-def: $vgpr10
                                        ; implicit-def: $vgpr11
                                        ; implicit-def: $vgpr12
                                        ; implicit-def: $vgpr9
                                        ; implicit-def: $vgpr13
                                        ; implicit-def: $vgpr21
                                        ; implicit-def: $vgpr22
.LBB812_252:
	s_wait_alu 0xfffe
	s_and_not1_saveexec_b32 s0, s16
	s_cbranch_execz .LBB812_372
; %bb.253:
	s_mov_b32 s0, exec_lo
	v_cmpx_lt_u32_e32 0x200, v119
	s_wait_alu 0xfffe
	s_xor_b32 s16, exec_lo, s0
	s_cbranch_execz .LBB812_313
; %bb.254:
	s_load_b64 s[0:1], s[8:9], 0x0
	s_and_b32 s2, ttmp7, 0xffff
	s_mov_b32 s3, 0
	v_bfrev_b32_e32 v14, -2
	s_delay_alu instid0(VALU_DEP_1)
	v_dual_mov_b32 v18, v14 :: v_dual_lshlrev_b32 v23, 3, v22
	v_mov_b32_e32 v16, v14
	s_wait_kmcnt 0x0
	s_wait_alu 0xfffe
	s_cmp_lt_u32 s2, s1
	s_cselect_b32 s2, 14, 20
	s_cmp_lt_u32 ttmp9, s0
	s_wait_alu 0xfffe
	s_add_nc_u64 s[4:5], s[8:9], s[2:3]
	s_cselect_b32 s2, 12, 18
	s_load_u16 s4, s[4:5], 0x0
	s_add_nc_u64 s[0:1], s[8:9], s[2:3]
	s_load_u16 s0, s[0:1], 0x0
	s_wait_kmcnt 0x0
	v_mad_u32_u24 v9, v13, s4, v9
	v_mov_b32_e32 v13, -1
	s_delay_alu instid0(VALU_DEP_2) | instskip(SKIP_1) | instid1(VALU_DEP_3)
	v_mad_co_u64_u32 v[24:25], null, v9, s0, v[21:22]
	v_mov_b32_e32 v9, 0
	v_mov_b32_e32 v17, v13
	;; [unrolled: 1-line block ×3, first 2 shown]
	s_delay_alu instid0(VALU_DEP_3) | instskip(SKIP_1) | instid1(VALU_DEP_1)
	v_lshlrev_b64_e32 v[26:27], 3, v[8:9]
	v_dual_mov_b32 v15, v13 :: v_dual_lshlrev_b32 v8, 2, v24
	v_and_b32_e32 v8, 0xffffff80, v8
	s_delay_alu instid0(VALU_DEP_3) | instskip(SKIP_1) | instid1(VALU_DEP_4)
	v_add_co_u32 v20, vcc_lo, v0, v26
	s_wait_alu 0xfffd
	v_add_co_ci_u32_e64 v28, null, v1, v27, vcc_lo
	s_delay_alu instid0(VALU_DEP_3) | instskip(SKIP_4) | instid1(VALU_DEP_3)
	v_lshlrev_b64_e32 v[0:1], 3, v[8:9]
	v_or_b32_e32 v25, v8, v22
	v_add_co_u32 v8, vcc_lo, v20, v23
	s_wait_alu 0xfffd
	v_add_co_ci_u32_e64 v9, null, 0, v28, vcc_lo
	v_cmp_lt_u32_e32 vcc_lo, v25, v119
	s_delay_alu instid0(VALU_DEP_3) | instskip(SKIP_1) | instid1(VALU_DEP_3)
	v_add_co_u32 v8, s0, v8, v0
	s_wait_alu 0xf1ff
	v_add_co_ci_u32_e64 v9, null, v9, v1, s0
	v_mov_b32_e32 v20, v14
	s_and_saveexec_b32 s0, vcc_lo
	s_cbranch_execz .LBB812_256
; %bb.255:
	flat_load_b64 v[28:29], v[8:9]
	v_dual_mov_b32 v30, v13 :: v_dual_mov_b32 v31, v14
	v_dual_mov_b32 v32, v13 :: v_dual_mov_b32 v33, v14
	;; [unrolled: 1-line block ×3, first 2 shown]
	s_wait_loadcnt_dscnt 0x0
	v_dual_mov_b32 v13, v28 :: v_dual_mov_b32 v14, v29
	v_dual_mov_b32 v15, v30 :: v_dual_mov_b32 v16, v31
	;; [unrolled: 1-line block ×4, first 2 shown]
.LBB812_256:
	s_wait_alu 0xfffe
	s_or_b32 exec_lo, exec_lo, s0
	v_or_b32_e32 v28, 32, v25
	s_delay_alu instid0(VALU_DEP_1)
	v_cmp_lt_u32_e64 s0, v28, v119
	s_and_saveexec_b32 s1, s0
	s_cbranch_execz .LBB812_258
; %bb.257:
	flat_load_b64 v[15:16], v[8:9] offset:256
.LBB812_258:
	s_wait_alu 0xfffe
	s_or_b32 exec_lo, exec_lo, s1
	v_or_b32_e32 v28, 64, v25
	s_delay_alu instid0(VALU_DEP_1)
	v_cmp_lt_u32_e64 s1, v28, v119
	s_and_saveexec_b32 s2, s1
	s_cbranch_execz .LBB812_260
; %bb.259:
	flat_load_b64 v[17:18], v[8:9] offset:512
.LBB812_260:
	;; [unrolled: 10-line block ×3, first 2 shown]
	s_wait_alu 0xfffe
	s_or_b32 exec_lo, exec_lo, s3
	v_add_co_u32 v4, s3, v4, v26
	s_wait_alu 0xf1ff
	v_add_co_ci_u32_e64 v5, null, v5, v27, s3
                                        ; implicit-def: $vgpr48_vgpr49
	s_delay_alu instid0(VALU_DEP_2) | instskip(SKIP_1) | instid1(VALU_DEP_2)
	v_add_co_u32 v4, s3, v4, v23
	s_wait_alu 0xf1ff
	v_add_co_ci_u32_e64 v5, null, 0, v5, s3
	s_delay_alu instid0(VALU_DEP_2) | instskip(SKIP_1) | instid1(VALU_DEP_2)
	v_add_co_u32 v0, s3, v4, v0
	s_wait_alu 0xf1ff
	v_add_co_ci_u32_e64 v1, null, v5, v1, s3
	s_and_saveexec_b32 s3, vcc_lo
	s_cbranch_execnz .LBB812_337
; %bb.263:
	s_wait_alu 0xfffe
	s_or_b32 exec_lo, exec_lo, s3
                                        ; implicit-def: $vgpr50_vgpr51
	s_and_saveexec_b32 s3, s0
	s_cbranch_execnz .LBB812_338
.LBB812_264:
	s_wait_alu 0xfffe
	s_or_b32 exec_lo, exec_lo, s3
                                        ; implicit-def: $vgpr52_vgpr53
	s_and_saveexec_b32 s0, s1
	s_cbranch_execnz .LBB812_339
.LBB812_265:
	s_wait_alu 0xfffe
	s_or_b32 exec_lo, exec_lo, s0
                                        ; implicit-def: $vgpr38_vgpr39
	s_and_saveexec_b32 s0, s2
	s_cbranch_execz .LBB812_267
.LBB812_266:
	flat_load_b64 v[38:39], v[0:1] offset:768
.LBB812_267:
	s_wait_alu 0xfffe
	s_or_b32 exec_lo, exec_lo, s0
	v_lshl_add_u32 v0, v21, 5, v12
	v_and_b32_e32 v1, 0x3e0, v21
	v_and_b32_e32 v4, 15, v22
	v_sub_co_u32 v5, s2, v22, 1
	s_delay_alu instid0(VALU_DEP_4)
	v_add_nc_u32_e32 v25, 32, v0
	v_add_nc_u32_e32 v54, 36, v0
	;; [unrolled: 1-line block ×8, first 2 shown]
	v_min_u32_e32 v0, 0xe0, v1
	s_getpc_b64 s[0:1]
	s_wait_alu 0xfffe
	s_sext_i32_i16 s1, s1
	s_add_co_u32 s0, s0, _ZN7rocprim17ROCPRIM_400000_NS16block_radix_sortIlLj256ELj4ElLj1ELj1ELj8ELNS0_26block_radix_rank_algorithmE2ELNS0_18block_padding_hintE2ELNS0_4arch9wavefront6targetE0EE19radix_bits_per_passE@rel32@lo+12
	s_wait_alu 0xfffe
	s_add_co_ci_u32 s1, s1, _ZN7rocprim17ROCPRIM_400000_NS16block_radix_sortIlLj256ELj4ElLj1ELj1ELj8ELNS0_26block_radix_rank_algorithmE2ELNS0_18block_padding_hintE2ELNS0_4arch9wavefront6targetE0EE19radix_bits_per_passE@rel32@hi+24
	v_cmp_eq_u32_e32 vcc_lo, 0, v4
	s_load_b32 s17, s[0:1], 0x0
	v_cmp_lt_u32_e64 s0, 1, v4
	v_or_b32_e32 v0, 31, v0
	v_cmp_lt_u32_e64 s1, 3, v4
	v_and_b32_e32 v1, 16, v22
	v_cmp_lt_u32_e64 s3, 7, v4
	v_cmp_gt_i32_e64 s6, 0, v5
	v_cmp_eq_u32_e64 s5, v21, v0
	v_lshrrev_b32_e32 v0, 3, v21
	v_lshlrev_b32_e32 v4, 2, v21
	v_cmp_eq_u32_e64 s4, 0, v1
	s_wait_alu 0xf1ff
	v_cndmask_b32_e64 v1, v5, v22, s6
	v_and_b32_e32 v8, 7, v22
	v_and_b32_e32 v0, 0x7c, v0
	v_and_or_b32 v5, 0xf80, v4, v22
	v_xor_b32_e32 v14, 0x80000000, v14
	s_wait_loadcnt_dscnt 0x0
	v_xor_b32_e32 v16, 0x80000000, v16
	v_xor_b32_e32 v18, 0x80000000, v18
	v_add_nc_u32_e32 v71, v12, v0
	v_lshl_add_u32 v81, v5, 3, v12
	v_xor_b32_e32 v20, 0x80000000, v20
	v_lshrrev_b32_e32 v69, 5, v24
	v_cmp_gt_u32_e64 s6, 8, v21
	v_cmp_lt_u32_e64 s7, 31, v21
	v_lshlrev_b32_e32 v70, 2, v1
	v_cmp_eq_u32_e64 s10, 0, v21
	v_dual_mov_b32 v1, 0 :: v_dual_add_nc_u32 v80, v12, v4
	v_cmp_eq_u32_e64 s11, 0, v8
	v_cmp_lt_u32_e64 s12, 1, v8
	v_cmp_lt_u32_e64 s13, 3, v8
	v_add_nc_u32_e32 v82, -4, v71
	v_add_nc_u32_e32 v83, 0x100, v81
	v_add_nc_u32_e32 v84, 0x200, v81
	;; [unrolled: 1-line block ×3, first 2 shown]
	v_sub_nc_u32_e32 v86, v11, v10
	s_mov_b32 s19, 0
	s_wait_storecnt 0x0
	s_barrier_signal -1
	s_barrier_wait -1
	global_inv scope:SCOPE_SE
	s_branch .LBB812_269
.LBB812_268:                            ;   in Loop: Header=BB812_269 Depth=1
	s_wait_alu 0xfffe
	s_or_b32 exec_lo, exec_lo, s15
	s_delay_alu instid0(SALU_CYCLE_1)
	s_and_b32 s14, exec_lo, s20
	s_wait_alu 0xfffe
	s_or_b32 s19, s14, s19
	s_wait_alu 0xfffe
	s_and_not1_b32 exec_lo, exec_lo, s19
	s_cbranch_execz .LBB812_299
.LBB812_269:                            ; =>This Inner Loop Header: Depth=1
	s_wait_kmcnt 0x0
	v_min_u32_e32 v0, s17, v86
	v_dual_mov_b32 v23, v14 :: v_dual_mov_b32 v22, v13
	v_dual_mov_b32 v28, v48 :: v_dual_mov_b32 v33, v18
	v_mov_b32_e32 v32, v17
	s_delay_alu instid0(VALU_DEP_4) | instskip(NEXT) | instid1(VALU_DEP_4)
	v_lshlrev_b32_e64 v0, v0, -1
	v_lshrrev_b64 v[4:5], v10, v[22:23]
	v_dual_mov_b32 v35, v16 :: v_dual_mov_b32 v34, v15
	v_dual_mov_b32 v31, v20 :: v_dual_mov_b32 v30, v19
	s_delay_alu instid0(VALU_DEP_4)
	v_not_b32_e32 v87, v0
	v_dual_mov_b32 v8, v50 :: v_dual_mov_b32 v9, v51
	v_mov_b32_e32 v29, v49
	ds_store_b32 v25, v1
	ds_store_b32 v54, v1
	;; [unrolled: 1-line block ×3, first 2 shown]
	v_and_b32_e32 v0, v4, v87
	v_dual_mov_b32 v4, v52 :: v_dual_mov_b32 v5, v53
	ds_store_b32 v64, v1
	ds_store_b32 v65, v1
	;; [unrolled: 1-line block ×3, first 2 shown]
	v_and_b32_e32 v13, 1, v0
	v_lshlrev_b32_e32 v14, 30, v0
	v_lshlrev_b32_e32 v15, 29, v0
	v_lshlrev_b32_e32 v16, 28, v0
	v_lshlrev_b32_e32 v18, 27, v0
	v_add_co_u32 v13, s14, v13, -1
	s_wait_alu 0xf1ff
	v_cndmask_b32_e64 v17, 0, 1, s14
	v_not_b32_e32 v36, v14
	v_cmp_gt_i32_e64 s15, 0, v14
	v_lshlrev_b32_e32 v19, 26, v0
	v_lshlrev_b32_e32 v20, 25, v0
	v_cmp_ne_u32_e64 s14, 0, v17
	v_ashrrev_i32_e32 v36, 31, v36
	v_lshlrev_b32_e32 v17, 24, v0
	v_lshl_add_u32 v0, v0, 3, v69
	ds_store_b32 v67, v1
	s_wait_alu 0xf1ff
	v_xor_b32_e32 v13, s14, v13
	v_xor_b32_e32 v36, s15, v36
	v_cmp_gt_i32_e64 s15, 0, v16
	ds_store_b32 v68, v1
	s_wait_loadcnt_dscnt 0x0
	v_and_b32_e32 v13, exec_lo, v13
	s_barrier_signal -1
	s_barrier_wait -1
	global_inv scope:SCOPE_SE
	v_dual_mov_b32 v36, v38 :: v_dual_and_b32 v13, v13, v36
	v_not_b32_e32 v14, v15
	v_cmp_gt_i32_e64 s14, 0, v15
	v_not_b32_e32 v15, v16
	v_not_b32_e32 v16, v18
	v_mov_b32_e32 v37, v39
	v_ashrrev_i32_e32 v14, 31, v14
	; wave barrier
	s_delay_alu instid0(VALU_DEP_4) | instskip(NEXT) | instid1(VALU_DEP_4)
	v_ashrrev_i32_e32 v15, 31, v15
	v_ashrrev_i32_e32 v16, 31, v16
	s_wait_alu 0xf1ff
	s_delay_alu instid0(VALU_DEP_3)
	v_xor_b32_e32 v14, s14, v14
	v_cmp_gt_i32_e64 s14, 0, v18
	v_not_b32_e32 v18, v19
	v_xor_b32_e32 v15, s15, v15
	v_cmp_gt_i32_e64 s15, 0, v19
	v_and_b32_e32 v13, v13, v14
	v_not_b32_e32 v14, v20
	v_ashrrev_i32_e32 v18, 31, v18
	s_wait_alu 0xf1ff
	v_xor_b32_e32 v16, s14, v16
	v_cmp_gt_i32_e64 s14, 0, v20
	v_and_b32_e32 v13, v13, v15
	v_not_b32_e32 v15, v17
	v_ashrrev_i32_e32 v14, 31, v14
	v_xor_b32_e32 v18, s15, v18
	v_cmp_gt_i32_e64 s15, 0, v17
	v_and_b32_e32 v13, v13, v16
	v_ashrrev_i32_e32 v15, 31, v15
	s_wait_alu 0xf1ff
	v_xor_b32_e32 v14, s14, v14
	s_delay_alu instid0(VALU_DEP_3) | instskip(NEXT) | instid1(VALU_DEP_3)
	v_and_b32_e32 v13, v13, v18
	v_xor_b32_e32 v15, s15, v15
	s_delay_alu instid0(VALU_DEP_2) | instskip(NEXT) | instid1(VALU_DEP_1)
	v_and_b32_e32 v13, v13, v14
	v_and_b32_e32 v14, v13, v15
	v_lshlrev_b64_e32 v[15:16], 2, v[0:1]
	s_delay_alu instid0(VALU_DEP_2) | instskip(SKIP_1) | instid1(VALU_DEP_3)
	v_mbcnt_lo_u32_b32 v0, v14, 0
	v_cmp_ne_u32_e64 s15, 0, v14
	v_add_co_u32 v13, null, v12, v15
	s_delay_alu instid0(VALU_DEP_3) | instskip(NEXT) | instid1(VALU_DEP_2)
	v_cmp_eq_u32_e64 s14, 0, v0
	v_add_co_u32 v13, null, v13, 32
	s_and_b32 s15, s15, s14
	s_wait_alu 0xfffe
	s_and_saveexec_b32 s14, s15
; %bb.270:                              ;   in Loop: Header=BB812_269 Depth=1
	v_bcnt_u32_b32 v14, v14, 0
	ds_store_b32 v13, v14
; %bb.271:                              ;   in Loop: Header=BB812_269 Depth=1
	s_wait_alu 0xfffe
	s_or_b32 exec_lo, exec_lo, s14
	v_lshrrev_b64 v[14:15], v10, v[34:35]
	; wave barrier
	s_delay_alu instid0(VALU_DEP_1) | instskip(NEXT) | instid1(VALU_DEP_1)
	v_and_b32_e32 v14, v14, v87
	v_and_b32_e32 v15, 1, v14
	v_lshlrev_b32_e32 v16, 30, v14
	v_lshlrev_b32_e32 v17, 29, v14
	;; [unrolled: 1-line block ×4, first 2 shown]
	v_add_co_u32 v15, s14, v15, -1
	s_wait_alu 0xf1ff
	v_cndmask_b32_e64 v19, 0, 1, s14
	v_not_b32_e32 v48, v16
	v_cmp_gt_i32_e64 s15, 0, v16
	v_not_b32_e32 v16, v17
	v_lshlrev_b32_e32 v38, 26, v14
	v_cmp_ne_u32_e64 s14, 0, v19
	v_ashrrev_i32_e32 v48, 31, v48
	v_lshlrev_b32_e32 v39, 25, v14
	v_ashrrev_i32_e32 v16, 31, v16
	v_lshlrev_b32_e32 v19, 24, v14
	s_wait_alu 0xf1ff
	v_xor_b32_e32 v15, s14, v15
	v_cmp_gt_i32_e64 s14, 0, v17
	v_not_b32_e32 v17, v18
	v_xor_b32_e32 v48, s15, v48
	v_cmp_gt_i32_e64 s15, 0, v18
	v_and_b32_e32 v15, exec_lo, v15
	v_not_b32_e32 v18, v20
	v_ashrrev_i32_e32 v17, 31, v17
	s_wait_alu 0xf1ff
	v_xor_b32_e32 v16, s14, v16
	v_cmp_gt_i32_e64 s14, 0, v20
	v_and_b32_e32 v15, v15, v48
	v_not_b32_e32 v20, v38
	v_ashrrev_i32_e32 v18, 31, v18
	v_xor_b32_e32 v17, s15, v17
	v_cmp_gt_i32_e64 s15, 0, v38
	v_and_b32_e32 v15, v15, v16
	v_not_b32_e32 v16, v39
	v_ashrrev_i32_e32 v20, 31, v20
	s_wait_alu 0xf1ff
	v_xor_b32_e32 v18, s14, v18
	v_cmp_gt_i32_e64 s14, 0, v39
	v_and_b32_e32 v15, v15, v17
	v_not_b32_e32 v17, v19
	v_ashrrev_i32_e32 v16, 31, v16
	v_xor_b32_e32 v20, s15, v20
	v_lshl_add_u32 v14, v14, 3, v69
	v_and_b32_e32 v15, v15, v18
	v_cmp_gt_i32_e64 s15, 0, v19
	v_ashrrev_i32_e32 v17, 31, v17
	s_wait_alu 0xf1ff
	v_xor_b32_e32 v16, s14, v16
	v_lshl_add_u32 v18, v14, 2, v12
	v_and_b32_e32 v15, v15, v20
	v_xor_b32_e32 v17, s15, v17
	ds_load_b32 v14, v18 offset:32
	v_and_b32_e32 v15, v15, v16
	v_add_nc_u32_e32 v16, 32, v18
	; wave barrier
	s_delay_alu instid0(VALU_DEP_2) | instskip(NEXT) | instid1(VALU_DEP_1)
	v_and_b32_e32 v17, v15, v17
	v_mbcnt_lo_u32_b32 v15, v17, 0
	v_cmp_ne_u32_e64 s15, 0, v17
	s_delay_alu instid0(VALU_DEP_2)
	v_cmp_eq_u32_e64 s14, 0, v15
	s_and_b32 s15, s15, s14
	s_wait_alu 0xfffe
	s_and_saveexec_b32 s14, s15
	s_cbranch_execz .LBB812_273
; %bb.272:                              ;   in Loop: Header=BB812_269 Depth=1
	s_wait_dscnt 0x0
	v_bcnt_u32_b32 v17, v17, v14
	ds_store_b32 v16, v17
.LBB812_273:                            ;   in Loop: Header=BB812_269 Depth=1
	s_wait_alu 0xfffe
	s_or_b32 exec_lo, exec_lo, s14
	v_lshrrev_b64 v[17:18], v10, v[32:33]
	; wave barrier
	s_delay_alu instid0(VALU_DEP_1) | instskip(NEXT) | instid1(VALU_DEP_1)
	v_and_b32_e32 v17, v17, v87
	v_and_b32_e32 v18, 1, v17
	v_lshlrev_b32_e32 v19, 30, v17
	v_lshlrev_b32_e32 v20, 29, v17
	;; [unrolled: 1-line block ×4, first 2 shown]
	v_add_co_u32 v18, s14, v18, -1
	s_wait_alu 0xf1ff
	v_cndmask_b32_e64 v39, 0, 1, s14
	v_not_b32_e32 v51, v19
	v_cmp_gt_i32_e64 s15, 0, v19
	v_not_b32_e32 v19, v20
	v_lshlrev_b32_e32 v49, 26, v17
	v_cmp_ne_u32_e64 s14, 0, v39
	v_ashrrev_i32_e32 v51, 31, v51
	v_lshlrev_b32_e32 v50, 25, v17
	v_ashrrev_i32_e32 v19, 31, v19
	v_lshlrev_b32_e32 v39, 24, v17
	s_wait_alu 0xf1ff
	v_xor_b32_e32 v18, s14, v18
	v_cmp_gt_i32_e64 s14, 0, v20
	v_not_b32_e32 v20, v38
	v_xor_b32_e32 v51, s15, v51
	v_cmp_gt_i32_e64 s15, 0, v38
	v_and_b32_e32 v18, exec_lo, v18
	v_not_b32_e32 v38, v48
	v_ashrrev_i32_e32 v20, 31, v20
	s_wait_alu 0xf1ff
	v_xor_b32_e32 v19, s14, v19
	v_cmp_gt_i32_e64 s14, 0, v48
	v_and_b32_e32 v18, v18, v51
	v_not_b32_e32 v48, v49
	v_ashrrev_i32_e32 v38, 31, v38
	v_xor_b32_e32 v20, s15, v20
	v_cmp_gt_i32_e64 s15, 0, v49
	v_and_b32_e32 v18, v18, v19
	v_not_b32_e32 v19, v50
	v_ashrrev_i32_e32 v48, 31, v48
	s_wait_alu 0xf1ff
	v_xor_b32_e32 v38, s14, v38
	v_cmp_gt_i32_e64 s14, 0, v50
	v_and_b32_e32 v18, v18, v20
	v_not_b32_e32 v20, v39
	v_ashrrev_i32_e32 v19, 31, v19
	v_xor_b32_e32 v48, s15, v48
	v_lshl_add_u32 v17, v17, 3, v69
	v_and_b32_e32 v18, v18, v38
	v_cmp_gt_i32_e64 s15, 0, v39
	v_ashrrev_i32_e32 v20, 31, v20
	s_wait_alu 0xf1ff
	v_xor_b32_e32 v19, s14, v19
	v_lshl_add_u32 v38, v17, 2, v12
	v_and_b32_e32 v18, v18, v48
	v_xor_b32_e32 v20, s15, v20
	ds_load_b32 v17, v38 offset:32
	v_and_b32_e32 v18, v18, v19
	v_add_nc_u32_e32 v19, 32, v38
	; wave barrier
	s_delay_alu instid0(VALU_DEP_2) | instskip(NEXT) | instid1(VALU_DEP_1)
	v_and_b32_e32 v20, v18, v20
	v_mbcnt_lo_u32_b32 v18, v20, 0
	v_cmp_ne_u32_e64 s15, 0, v20
	s_delay_alu instid0(VALU_DEP_2)
	v_cmp_eq_u32_e64 s14, 0, v18
	s_and_b32 s15, s15, s14
	s_wait_alu 0xfffe
	s_and_saveexec_b32 s14, s15
	s_cbranch_execz .LBB812_275
; %bb.274:                              ;   in Loop: Header=BB812_269 Depth=1
	s_wait_dscnt 0x0
	v_bcnt_u32_b32 v20, v20, v17
	ds_store_b32 v19, v20
.LBB812_275:                            ;   in Loop: Header=BB812_269 Depth=1
	s_wait_alu 0xfffe
	s_or_b32 exec_lo, exec_lo, s14
	v_lshrrev_b64 v[38:39], v10, v[30:31]
	; wave barrier
	s_delay_alu instid0(VALU_DEP_1) | instskip(NEXT) | instid1(VALU_DEP_1)
	v_and_b32_e32 v20, v38, v87
	v_and_b32_e32 v38, 1, v20
	v_lshlrev_b32_e32 v39, 30, v20
	v_lshlrev_b32_e32 v48, 29, v20
	;; [unrolled: 1-line block ×4, first 2 shown]
	v_add_co_u32 v38, s14, v38, -1
	s_wait_alu 0xf1ff
	v_cndmask_b32_e64 v50, 0, 1, s14
	v_not_b32_e32 v87, v39
	v_cmp_gt_i32_e64 s15, 0, v39
	v_not_b32_e32 v39, v48
	v_lshlrev_b32_e32 v52, 26, v20
	v_cmp_ne_u32_e64 s14, 0, v50
	v_ashrrev_i32_e32 v87, 31, v87
	v_lshlrev_b32_e32 v53, 25, v20
	v_ashrrev_i32_e32 v39, 31, v39
	v_lshlrev_b32_e32 v50, 24, v20
	s_wait_alu 0xf1ff
	v_xor_b32_e32 v38, s14, v38
	v_cmp_gt_i32_e64 s14, 0, v48
	v_not_b32_e32 v48, v49
	v_xor_b32_e32 v87, s15, v87
	v_cmp_gt_i32_e64 s15, 0, v49
	v_and_b32_e32 v38, exec_lo, v38
	v_not_b32_e32 v49, v51
	v_ashrrev_i32_e32 v48, 31, v48
	s_wait_alu 0xf1ff
	v_xor_b32_e32 v39, s14, v39
	v_cmp_gt_i32_e64 s14, 0, v51
	v_and_b32_e32 v38, v38, v87
	v_not_b32_e32 v51, v52
	v_ashrrev_i32_e32 v49, 31, v49
	v_xor_b32_e32 v48, s15, v48
	v_cmp_gt_i32_e64 s15, 0, v52
	v_and_b32_e32 v38, v38, v39
	v_not_b32_e32 v39, v53
	v_ashrrev_i32_e32 v51, 31, v51
	s_wait_alu 0xf1ff
	v_xor_b32_e32 v49, s14, v49
	v_cmp_gt_i32_e64 s14, 0, v53
	v_and_b32_e32 v38, v38, v48
	v_not_b32_e32 v48, v50
	v_ashrrev_i32_e32 v39, 31, v39
	v_xor_b32_e32 v51, s15, v51
	v_lshl_add_u32 v20, v20, 3, v69
	v_and_b32_e32 v38, v38, v49
	v_cmp_gt_i32_e64 s15, 0, v50
	v_ashrrev_i32_e32 v48, 31, v48
	s_wait_alu 0xf1ff
	v_xor_b32_e32 v39, s14, v39
	v_lshl_add_u32 v49, v20, 2, v12
	v_and_b32_e32 v38, v38, v51
	v_xor_b32_e32 v48, s15, v48
	ds_load_b32 v20, v49 offset:32
	v_and_b32_e32 v38, v38, v39
	v_add_nc_u32_e32 v39, 32, v49
	; wave barrier
	s_delay_alu instid0(VALU_DEP_2) | instskip(NEXT) | instid1(VALU_DEP_1)
	v_and_b32_e32 v48, v38, v48
	v_mbcnt_lo_u32_b32 v38, v48, 0
	v_cmp_ne_u32_e64 s15, 0, v48
	s_delay_alu instid0(VALU_DEP_2)
	v_cmp_eq_u32_e64 s14, 0, v38
	s_and_b32 s15, s15, s14
	s_wait_alu 0xfffe
	s_and_saveexec_b32 s14, s15
	s_cbranch_execz .LBB812_277
; %bb.276:                              ;   in Loop: Header=BB812_269 Depth=1
	s_wait_dscnt 0x0
	v_bcnt_u32_b32 v48, v48, v20
	ds_store_b32 v39, v48
.LBB812_277:                            ;   in Loop: Header=BB812_269 Depth=1
	s_wait_alu 0xfffe
	s_or_b32 exec_lo, exec_lo, s14
	; wave barrier
	s_wait_loadcnt_dscnt 0x0
	s_barrier_signal -1
	s_barrier_wait -1
	global_inv scope:SCOPE_SE
	ds_load_b32 v49, v25
	ds_load_b32 v50, v54
	;; [unrolled: 1-line block ×8, first 2 shown]
	s_wait_dscnt 0x6
	v_add_nc_u32_e32 v97, v50, v49
	s_wait_dscnt 0x4
	s_delay_alu instid0(VALU_DEP_1) | instskip(SKIP_1) | instid1(VALU_DEP_1)
	v_add3_u32 v97, v97, v51, v52
	s_wait_dscnt 0x2
	v_add3_u32 v97, v97, v53, v87
	s_wait_dscnt 0x0
	s_delay_alu instid0(VALU_DEP_1) | instskip(NEXT) | instid1(VALU_DEP_1)
	v_add3_u32 v96, v97, v48, v96
	v_mov_b32_dpp v97, v96 row_shr:1 row_mask:0xf bank_mask:0xf
	s_delay_alu instid0(VALU_DEP_1) | instskip(NEXT) | instid1(VALU_DEP_1)
	v_cndmask_b32_e64 v97, v97, 0, vcc_lo
	v_add_nc_u32_e32 v96, v97, v96
	s_delay_alu instid0(VALU_DEP_1) | instskip(NEXT) | instid1(VALU_DEP_1)
	v_mov_b32_dpp v97, v96 row_shr:2 row_mask:0xf bank_mask:0xf
	v_cndmask_b32_e64 v97, 0, v97, s0
	s_delay_alu instid0(VALU_DEP_1) | instskip(NEXT) | instid1(VALU_DEP_1)
	v_add_nc_u32_e32 v96, v96, v97
	v_mov_b32_dpp v97, v96 row_shr:4 row_mask:0xf bank_mask:0xf
	s_delay_alu instid0(VALU_DEP_1) | instskip(NEXT) | instid1(VALU_DEP_1)
	v_cndmask_b32_e64 v97, 0, v97, s1
	v_add_nc_u32_e32 v96, v96, v97
	s_delay_alu instid0(VALU_DEP_1) | instskip(NEXT) | instid1(VALU_DEP_1)
	v_mov_b32_dpp v97, v96 row_shr:8 row_mask:0xf bank_mask:0xf
	v_cndmask_b32_e64 v97, 0, v97, s3
	s_delay_alu instid0(VALU_DEP_1) | instskip(SKIP_3) | instid1(VALU_DEP_1)
	v_add_nc_u32_e32 v96, v96, v97
	ds_swizzle_b32 v97, v96 offset:swizzle(BROADCAST,32,15)
	s_wait_dscnt 0x0
	v_cndmask_b32_e64 v97, v97, 0, s4
	v_add_nc_u32_e32 v96, v96, v97
	s_and_saveexec_b32 s14, s5
; %bb.278:                              ;   in Loop: Header=BB812_269 Depth=1
	ds_store_b32 v71, v96
; %bb.279:                              ;   in Loop: Header=BB812_269 Depth=1
	s_wait_alu 0xfffe
	s_or_b32 exec_lo, exec_lo, s14
	s_wait_loadcnt_dscnt 0x0
	s_barrier_signal -1
	s_barrier_wait -1
	global_inv scope:SCOPE_SE
	s_and_saveexec_b32 s14, s6
	s_cbranch_execz .LBB812_281
; %bb.280:                              ;   in Loop: Header=BB812_269 Depth=1
	ds_load_b32 v97, v80
	s_wait_dscnt 0x0
	v_mov_b32_dpp v98, v97 row_shr:1 row_mask:0xf bank_mask:0xf
	s_delay_alu instid0(VALU_DEP_1) | instskip(NEXT) | instid1(VALU_DEP_1)
	v_cndmask_b32_e64 v98, v98, 0, s11
	v_add_nc_u32_e32 v97, v98, v97
	s_delay_alu instid0(VALU_DEP_1) | instskip(NEXT) | instid1(VALU_DEP_1)
	v_mov_b32_dpp v98, v97 row_shr:2 row_mask:0xf bank_mask:0xf
	v_cndmask_b32_e64 v98, 0, v98, s12
	s_delay_alu instid0(VALU_DEP_1) | instskip(NEXT) | instid1(VALU_DEP_1)
	v_add_nc_u32_e32 v97, v97, v98
	v_mov_b32_dpp v98, v97 row_shr:4 row_mask:0xf bank_mask:0xf
	s_delay_alu instid0(VALU_DEP_1) | instskip(NEXT) | instid1(VALU_DEP_1)
	v_cndmask_b32_e64 v98, 0, v98, s13
	v_add_nc_u32_e32 v97, v97, v98
	ds_store_b32 v80, v97
.LBB812_281:                            ;   in Loop: Header=BB812_269 Depth=1
	s_wait_alu 0xfffe
	s_or_b32 exec_lo, exec_lo, s14
	v_mov_b32_e32 v97, 0
	s_wait_loadcnt_dscnt 0x0
	s_barrier_signal -1
	s_barrier_wait -1
	global_inv scope:SCOPE_SE
	s_and_saveexec_b32 s14, s7
; %bb.282:                              ;   in Loop: Header=BB812_269 Depth=1
	ds_load_b32 v97, v82
; %bb.283:                              ;   in Loop: Header=BB812_269 Depth=1
	s_wait_alu 0xfffe
	s_or_b32 exec_lo, exec_lo, s14
	s_wait_dscnt 0x0
	v_add_nc_u32_e32 v96, v97, v96
	v_add_nc_u32_e32 v10, 8, v10
	s_mov_b32 s20, -1
	s_mov_b32 s15, exec_lo
	ds_bpermute_b32 v96, v70, v96
	s_wait_dscnt 0x0
	v_cndmask_b32_e64 v96, v96, v97, s2
	s_delay_alu instid0(VALU_DEP_1) | instskip(NEXT) | instid1(VALU_DEP_1)
	v_cndmask_b32_e64 v96, v96, 0, s10
	v_add_nc_u32_e32 v49, v96, v49
	s_delay_alu instid0(VALU_DEP_1) | instskip(SKIP_4) | instid1(VALU_DEP_1)
	v_add_nc_u32_e32 v50, v49, v50
	ds_store_b32 v25, v96
	ds_store_b32 v54, v49
	;; [unrolled: 1-line block ×3, first 2 shown]
	v_add_nc_u32_e32 v51, v50, v51
	v_add_nc_u32_e32 v52, v51, v52
	s_delay_alu instid0(VALU_DEP_1) | instskip(NEXT) | instid1(VALU_DEP_1)
	v_add_nc_u32_e32 v53, v52, v53
	v_add_nc_u32_e32 v87, v53, v87
	s_delay_alu instid0(VALU_DEP_1)
	v_add_nc_u32_e32 v48, v87, v48
	ds_store_b32 v64, v51
	ds_store_b32 v65, v52
	;; [unrolled: 1-line block ×5, first 2 shown]
	s_wait_loadcnt_dscnt 0x0
	s_barrier_signal -1
	s_barrier_wait -1
	global_inv scope:SCOPE_SE
	ds_load_b32 v13, v13
	ds_load_b32 v48, v16
	;; [unrolled: 1-line block ×4, first 2 shown]
	v_dual_mov_b32 v16, v1 :: v_dual_mov_b32 v19, v1
	v_mov_b32_e32 v39, v1
                                        ; implicit-def: $vgpr52_vgpr53
	s_wait_loadcnt_dscnt 0x0
	v_add_nc_u32_e32 v0, v13, v0
	v_add3_u32 v15, v15, v14, v48
	v_add3_u32 v18, v18, v17, v49
	;; [unrolled: 1-line block ×3, first 2 shown]
                                        ; implicit-def: $vgpr48_vgpr49
                                        ; implicit-def: $vgpr50_vgpr51
	s_delay_alu instid0(VALU_DEP_4) | instskip(NEXT) | instid1(VALU_DEP_4)
	v_lshlrev_b64_e32 v[13:14], 3, v[0:1]
	v_lshlrev_b64_e32 v[14:15], 3, v[15:16]
	s_delay_alu instid0(VALU_DEP_4) | instskip(NEXT) | instid1(VALU_DEP_4)
	v_lshlrev_b64_e32 v[15:16], 3, v[18:19]
	v_lshlrev_b64_e32 v[16:17], 3, v[38:39]
                                        ; implicit-def: $vgpr38_vgpr39
	s_delay_alu instid0(VALU_DEP_4) | instskip(NEXT) | instid1(VALU_DEP_4)
	v_add_co_u32 v0, null, v12, v13
	v_add_co_u32 v87, null, v12, v14
	s_delay_alu instid0(VALU_DEP_4) | instskip(NEXT) | instid1(VALU_DEP_4)
	v_add_co_u32 v96, null, v12, v15
	v_add_co_u32 v97, null, v12, v16
                                        ; implicit-def: $vgpr19_vgpr20
	v_cmpx_lt_u32_e64 v10, v11
	s_cbranch_execz .LBB812_268
; %bb.284:                              ;   in Loop: Header=BB812_269 Depth=1
	s_barrier_signal -1
	s_barrier_wait -1
	global_inv scope:SCOPE_SE
	ds_store_b64 v0, v[22:23]
	ds_store_b64 v87, v[34:35]
	;; [unrolled: 1-line block ×4, first 2 shown]
	s_wait_loadcnt_dscnt 0x0
	s_barrier_signal -1
	s_barrier_wait -1
	global_inv scope:SCOPE_SE
	ds_load_b64 v[13:14], v81
	ds_load_b64 v[15:16], v83
	;; [unrolled: 1-line block ×4, first 2 shown]
	s_wait_loadcnt_dscnt 0x0
	s_barrier_signal -1
	s_barrier_wait -1
	global_inv scope:SCOPE_SE
	ds_store_b64 v0, v[28:29]
	ds_store_b64 v87, v[8:9]
	;; [unrolled: 1-line block ×4, first 2 shown]
	s_wait_loadcnt_dscnt 0x0
	s_barrier_signal -1
	s_barrier_wait -1
	global_inv scope:SCOPE_SE
	ds_load_b64 v[48:49], v81
	ds_load_b64 v[50:51], v83
	;; [unrolled: 1-line block ×4, first 2 shown]
	v_add_nc_u32_e32 v86, -8, v86
	s_xor_b32 s20, exec_lo, -1
	s_wait_loadcnt_dscnt 0x0
	s_barrier_signal -1
	s_barrier_wait -1
	global_inv scope:SCOPE_SE
	s_branch .LBB812_268
.LBB812_285:
	flat_load_b64 v[86:87], v[0:1]
	s_wait_alu 0xfffe
	s_or_b32 exec_lo, exec_lo, s7
                                        ; implicit-def: $vgpr98_vgpr99
	s_and_saveexec_b32 s7, s0
	s_cbranch_execz .LBB812_163
.LBB812_286:
	flat_load_b64 v[98:99], v[0:1] offset:256
	s_wait_alu 0xfffe
	s_or_b32 exec_lo, exec_lo, s7
                                        ; implicit-def: $vgpr96_vgpr97
	s_and_saveexec_b32 s0, s1
	s_cbranch_execz .LBB812_164
.LBB812_287:
	flat_load_b64 v[96:97], v[0:1] offset:512
	s_wait_alu 0xfffe
	s_or_b32 exec_lo, exec_lo, s0
                                        ; implicit-def: $vgpr100_vgpr101
	s_and_saveexec_b32 s0, s2
	s_cbranch_execz .LBB812_165
.LBB812_288:
	flat_load_b64 v[100:101], v[0:1] offset:768
	s_wait_alu 0xfffe
	s_or_b32 exec_lo, exec_lo, s0
                                        ; implicit-def: $vgpr102_vgpr103
	s_and_saveexec_b32 s0, s3
	s_cbranch_execz .LBB812_166
.LBB812_289:
	flat_load_b64 v[102:103], v[0:1] offset:1024
	s_wait_alu 0xfffe
	s_or_b32 exec_lo, exec_lo, s0
                                        ; implicit-def: $vgpr112_vgpr113
	s_and_saveexec_b32 s0, s4
	s_cbranch_execz .LBB812_167
.LBB812_290:
	flat_load_b64 v[112:113], v[0:1] offset:1280
	s_wait_alu 0xfffe
	s_or_b32 exec_lo, exec_lo, s0
                                        ; implicit-def: $vgpr114_vgpr115
	s_and_saveexec_b32 s0, s5
	s_cbranch_execz .LBB812_168
.LBB812_291:
	flat_load_b64 v[114:115], v[0:1] offset:1536
	s_wait_alu 0xfffe
	s_or_b32 exec_lo, exec_lo, s0
                                        ; implicit-def: $vgpr116_vgpr117
	s_and_saveexec_b32 s0, s6
	s_cbranch_execnz .LBB812_169
	s_branch .LBB812_170
.LBB812_292:
	flat_store_b64 v[0:1], v[20:21]
	s_wait_alu 0xfffe
	s_or_b32 exec_lo, exec_lo, s7
	s_and_saveexec_b32 s7, s0
	s_cbranch_execz .LBB812_244
.LBB812_293:
	flat_store_b64 v[0:1], v[22:23] offset:2048
	s_wait_alu 0xfffe
	s_or_b32 exec_lo, exec_lo, s7
	s_and_saveexec_b32 s0, s1
	s_cbranch_execz .LBB812_245
.LBB812_294:
	flat_store_b64 v[0:1], v[16:17] offset:4096
	s_wait_alu 0xfffe
	s_or_b32 exec_lo, exec_lo, s0
	s_and_saveexec_b32 s0, s2
	s_cbranch_execz .LBB812_246
.LBB812_295:
	flat_store_b64 v[0:1], v[18:19] offset:6144
	s_wait_alu 0xfffe
	s_or_b32 exec_lo, exec_lo, s0
	s_and_saveexec_b32 s0, s3
	s_cbranch_execz .LBB812_247
.LBB812_296:
	flat_store_b64 v[0:1], v[12:13] offset:8192
	s_wait_alu 0xfffe
	s_or_b32 exec_lo, exec_lo, s0
	s_and_saveexec_b32 s0, s4
	s_cbranch_execz .LBB812_248
.LBB812_297:
	flat_store_b64 v[0:1], v[14:15] offset:10240
	s_wait_alu 0xfffe
	s_or_b32 exec_lo, exec_lo, s0
	s_and_saveexec_b32 s0, s5
	s_cbranch_execz .LBB812_249
.LBB812_298:
	flat_store_b64 v[0:1], v[8:9] offset:12288
	s_wait_alu 0xfffe
	s_or_b32 exec_lo, exec_lo, s0
	s_and_saveexec_b32 s0, s6
	s_cbranch_execnz .LBB812_250
	s_branch .LBB812_251
.LBB812_299:
	s_or_b32 exec_lo, exec_lo, s19
	v_lshl_add_u32 v1, v21, 3, v12
	s_barrier_signal -1
	s_barrier_wait -1
	s_wait_loadcnt 0x0
	global_inv scope:SCOPE_SE
	ds_store_b64 v0, v[22:23]
	ds_store_b64 v87, v[34:35]
	;; [unrolled: 1-line block ×4, first 2 shown]
	s_wait_loadcnt_dscnt 0x0
	s_barrier_signal -1
	s_barrier_wait -1
	global_inv scope:SCOPE_SE
	ds_load_2addr_stride64_b64 v[20:23], v1 offset1:4
	ds_load_2addr_stride64_b64 v[16:19], v1 offset0:8 offset1:12
	s_wait_loadcnt_dscnt 0x0
	s_barrier_signal -1
	s_barrier_wait -1
	global_inv scope:SCOPE_SE
	ds_store_b64 v0, v[28:29]
	ds_store_b64 v87, v[8:9]
	;; [unrolled: 1-line block ×4, first 2 shown]
	s_wait_loadcnt_dscnt 0x0
	s_barrier_signal -1
	s_barrier_wait -1
	global_inv scope:SCOPE_SE
	ds_load_2addr_stride64_b64 v[12:15], v1 offset1:4
	ds_load_2addr_stride64_b64 v[8:11], v1 offset0:8 offset1:12
	v_mov_b32_e32 v25, 0
	v_add_co_u32 v2, vcc_lo, v2, v26
	s_wait_alu 0xfffd
	v_add_co_ci_u32_e64 v3, null, v3, v27, vcc_lo
	s_delay_alu instid0(VALU_DEP_3)
	v_lshlrev_b64_e32 v[0:1], 3, v[24:25]
	s_wait_loadcnt_dscnt 0x0
	s_barrier_signal -1
	s_barrier_wait -1
	global_inv scope:SCOPE_SE
	v_add_co_u32 v2, vcc_lo, v2, v0
	s_wait_alu 0xfffd
	v_add_co_ci_u32_e64 v3, null, v3, v1, vcc_lo
	v_cmp_lt_u32_e32 vcc_lo, v24, v119
	s_and_saveexec_b32 s0, vcc_lo
	s_cbranch_execz .LBB812_301
; %bb.300:
	v_xor_b32_e32 v21, 0x80000000, v21
	flat_store_b64 v[2:3], v[20:21]
.LBB812_301:
	s_wait_alu 0xfffe
	s_or_b32 exec_lo, exec_lo, s0
	v_add_nc_u32_e32 v4, 0x100, v24
	s_delay_alu instid0(VALU_DEP_1)
	v_cmp_lt_u32_e64 s0, v4, v119
	s_and_saveexec_b32 s1, s0
	s_cbranch_execz .LBB812_303
; %bb.302:
	v_xor_b32_e32 v23, 0x80000000, v23
	flat_store_b64 v[2:3], v[22:23] offset:2048
.LBB812_303:
	s_wait_alu 0xfffe
	s_or_b32 exec_lo, exec_lo, s1
	v_add_nc_u32_e32 v4, 0x200, v24
	s_delay_alu instid0(VALU_DEP_1)
	v_cmp_lt_u32_e64 s1, v4, v119
	s_and_saveexec_b32 s2, s1
	s_cbranch_execz .LBB812_305
; %bb.304:
	v_xor_b32_e32 v17, 0x80000000, v17
	flat_store_b64 v[2:3], v[16:17] offset:4096
.LBB812_305:
	;; [unrolled: 11-line block ×3, first 2 shown]
	s_wait_alu 0xfffe
	s_or_b32 exec_lo, exec_lo, s3
	v_add_co_u32 v2, s3, v6, v26
	s_wait_alu 0xf1ff
	v_add_co_ci_u32_e64 v3, null, v7, v27, s3
	s_delay_alu instid0(VALU_DEP_2) | instskip(SKIP_1) | instid1(VALU_DEP_2)
	v_add_co_u32 v0, s3, v2, v0
	s_wait_alu 0xf1ff
	v_add_co_ci_u32_e64 v1, null, v3, v1, s3
	s_and_saveexec_b32 s3, vcc_lo
	s_cbranch_execnz .LBB812_340
; %bb.308:
	s_wait_alu 0xfffe
	s_or_b32 exec_lo, exec_lo, s3
	s_and_saveexec_b32 s3, s0
	s_cbranch_execnz .LBB812_341
.LBB812_309:
	s_wait_alu 0xfffe
	s_or_b32 exec_lo, exec_lo, s3
	s_and_saveexec_b32 s0, s1
	s_cbranch_execnz .LBB812_342
.LBB812_310:
	s_wait_alu 0xfffe
	s_or_b32 exec_lo, exec_lo, s0
	s_and_saveexec_b32 s0, s2
	s_cbranch_execz .LBB812_312
.LBB812_311:
	flat_store_b64 v[0:1], v[10:11] offset:6144
.LBB812_312:
	s_wait_alu 0xfffe
	s_or_b32 exec_lo, exec_lo, s0
                                        ; implicit-def: $vgpr119
                                        ; implicit-def: $vgpr0
                                        ; implicit-def: $vgpr1
                                        ; implicit-def: $vgpr2
                                        ; implicit-def: $vgpr3
                                        ; implicit-def: $vgpr4
                                        ; implicit-def: $vgpr5
                                        ; implicit-def: $vgpr6
                                        ; implicit-def: $vgpr7
                                        ; implicit-def: $vgpr8
                                        ; implicit-def: $vgpr10
                                        ; implicit-def: $vgpr11
                                        ; implicit-def: $vgpr12
                                        ; implicit-def: $vgpr9
                                        ; implicit-def: $vgpr13
                                        ; implicit-def: $vgpr21
                                        ; implicit-def: $vgpr22
.LBB812_313:
	s_wait_alu 0xfffe
	s_and_not1_saveexec_b32 s0, s16
	s_cbranch_execz .LBB812_372
; %bb.314:
	s_load_b64 s[0:1], s[8:9], 0x0
	s_and_b32 s2, ttmp7, 0xffff
	s_mov_b32 s3, 0
	s_wait_kmcnt 0x0
	s_wait_alu 0xfffe
	s_cmp_lt_u32 s2, s1
	s_cselect_b32 s2, 14, 20
	s_cmp_lt_u32 ttmp9, s0
	s_wait_alu 0xfffe
	s_add_nc_u64 s[4:5], s[8:9], s[2:3]
	s_cselect_b32 s2, 12, 18
	s_load_u16 s4, s[4:5], 0x0
	s_add_nc_u64 s[0:1], s[8:9], s[2:3]
	s_load_u16 s0, s[0:1], 0x0
	s_wait_kmcnt 0x0
	v_mad_u32_u24 v13, v13, s4, v9
	v_mov_b32_e32 v9, 0
	s_delay_alu instid0(VALU_DEP_2) | instskip(NEXT) | instid1(VALU_DEP_2)
	v_mad_co_u64_u32 v[19:20], null, v13, s0, v[21:22]
	v_lshlrev_b64_e32 v[17:18], 3, v[8:9]
	s_mov_b32 s0, exec_lo
	v_cmpx_lt_u32_e32 0x100, v119
	s_wait_alu 0xfffe
	s_xor_b32 s14, exec_lo, s0
	s_cbranch_execz .LBB812_352
; %bb.315:
	s_delay_alu instid0(VALU_DEP_3) | instskip(SKIP_2) | instid1(VALU_DEP_3)
	v_dual_mov_b32 v13, -1 :: v_dual_lshlrev_b32 v8, 1, v19
	v_add_co_u32 v15, vcc_lo, v0, v17
	v_lshlrev_b32_e32 v20, 3, v22
	v_and_b32_e32 v8, 0xffffffc0, v8
	s_wait_alu 0xfffd
	v_add_co_ci_u32_e64 v16, null, v1, v18, vcc_lo
	v_bfrev_b32_e32 v14, -2
	s_delay_alu instid0(VALU_DEP_3) | instskip(SKIP_4) | instid1(VALU_DEP_3)
	v_lshlrev_b64_e32 v[0:1], 3, v[8:9]
	v_add_co_u32 v9, vcc_lo, v15, v20
	s_wait_alu 0xfffd
	v_add_co_ci_u32_e64 v15, null, 0, v16, vcc_lo
	v_or_b32_e32 v23, v22, v8
	v_add_co_u32 v8, vcc_lo, v9, v0
	s_wait_alu 0xfffd
	s_delay_alu instid0(VALU_DEP_3) | instskip(NEXT) | instid1(VALU_DEP_3)
	v_add_co_ci_u32_e64 v9, null, v15, v1, vcc_lo
	v_cmp_lt_u32_e32 vcc_lo, v23, v119
	v_dual_mov_b32 v15, v13 :: v_dual_mov_b32 v16, v14
	s_and_saveexec_b32 s0, vcc_lo
	s_cbranch_execz .LBB812_317
; %bb.316:
	flat_load_b64 v[24:25], v[8:9]
	v_dual_mov_b32 v26, v13 :: v_dual_mov_b32 v27, v14
	s_wait_loadcnt_dscnt 0x0
	v_dual_mov_b32 v13, v24 :: v_dual_mov_b32 v14, v25
	s_delay_alu instid0(VALU_DEP_2)
	v_dual_mov_b32 v15, v26 :: v_dual_mov_b32 v16, v27
.LBB812_317:
	s_wait_alu 0xfffe
	s_or_b32 exec_lo, exec_lo, s0
	v_or_b32_e32 v23, 32, v23
	s_delay_alu instid0(VALU_DEP_1)
	v_cmp_lt_u32_e64 s0, v23, v119
	s_and_saveexec_b32 s1, s0
	s_cbranch_execz .LBB812_319
; %bb.318:
	flat_load_b64 v[15:16], v[8:9] offset:256
.LBB812_319:
	s_wait_alu 0xfffe
	s_or_b32 exec_lo, exec_lo, s1
	v_add_co_u32 v4, s1, v4, v17
	s_wait_alu 0xf1ff
	v_add_co_ci_u32_e64 v5, null, v5, v18, s1
	v_mov_b32_e32 v28, 0
	s_delay_alu instid0(VALU_DEP_3) | instskip(SKIP_1) | instid1(VALU_DEP_3)
	v_add_co_u32 v4, s1, v4, v20
	s_wait_alu 0xf1ff
	v_add_co_ci_u32_e64 v5, null, 0, v5, s1
	v_dual_mov_b32 v29, 0 :: v_dual_mov_b32 v26, 0
	s_delay_alu instid0(VALU_DEP_3)
	v_add_co_u32 v0, s1, v4, v0
	v_mov_b32_e32 v27, 0
	s_wait_alu 0xf1ff
	v_add_co_ci_u32_e64 v1, null, v5, v1, s1
	s_and_saveexec_b32 s1, vcc_lo
	s_cbranch_execz .LBB812_321
; %bb.320:
	flat_load_b64 v[26:27], v[0:1]
.LBB812_321:
	s_wait_alu 0xfffe
	s_or_b32 exec_lo, exec_lo, s1
	s_and_saveexec_b32 s1, s0
	s_cbranch_execz .LBB812_323
; %bb.322:
	flat_load_b64 v[28:29], v[0:1] offset:256
.LBB812_323:
	s_wait_alu 0xfffe
	s_or_b32 exec_lo, exec_lo, s1
	v_lshl_add_u32 v0, v21, 5, v12
	v_and_b32_e32 v1, 0x3e0, v21
	v_and_b32_e32 v4, 15, v22
	s_getpc_b64 s[0:1]
	s_wait_alu 0xfffe
	s_sext_i32_i16 s1, s1
	s_add_co_u32 s0, s0, _ZN7rocprim17ROCPRIM_400000_NS16block_radix_sortIlLj256ELj2ElLj1ELj1ELj8ELNS0_26block_radix_rank_algorithmE2ELNS0_18block_padding_hintE2ELNS0_4arch9wavefront6targetE0EE19radix_bits_per_passE@rel32@lo+12
	s_wait_alu 0xfffe
	s_add_co_ci_u32 s1, s1, _ZN7rocprim17ROCPRIM_400000_NS16block_radix_sortIlLj256ELj2ElLj1ELj1ELj8ELNS0_26block_radix_rank_algorithmE2ELNS0_18block_padding_hintE2ELNS0_4arch9wavefront6targetE0EE19radix_bits_per_passE@rel32@hi+24
	v_sub_co_u32 v5, s2, v22, 1
	v_add_nc_u32_e32 v20, 32, v0
	v_add_nc_u32_e32 v30, 36, v0
	v_add_nc_u32_e32 v31, 40, v0
	v_add_nc_u32_e32 v32, 44, v0
	v_add_nc_u32_e32 v33, 48, v0
	v_add_nc_u32_e32 v34, 52, v0
	v_add_nc_u32_e32 v35, 56, v0
	v_add_nc_u32_e32 v36, 60, v0
	v_min_u32_e32 v0, 0xe0, v1
	s_load_b32 s15, s[0:1], 0x0
	v_cmp_eq_u32_e32 vcc_lo, 0, v4
	v_cmp_lt_u32_e64 s0, 1, v4
	v_cmp_lt_u32_e64 s1, 3, v4
	v_or_b32_e32 v0, 31, v0
	v_cmp_lt_u32_e64 s3, 7, v4
	v_lshlrev_b32_e32 v4, 1, v21
	v_and_b32_e32 v1, 16, v22
	v_cmp_gt_i32_e64 s6, 0, v5
	v_cmp_eq_u32_e64 s5, v21, v0
	v_lshrrev_b32_e32 v0, 3, v21
	v_and_or_b32 v4, 0x7c0, v4, v22
	v_cmp_eq_u32_e64 s4, 0, v1
	s_wait_alu 0xf1ff
	v_cndmask_b32_e64 v1, v5, v22, s6
	v_and_b32_e32 v5, 7, v22
	v_and_b32_e32 v0, 0x7c, v0
	v_lshl_add_u32 v49, v4, 3, v12
	v_xor_b32_e32 v14, 0x80000000, v14
	s_wait_loadcnt_dscnt 0x0
	v_xor_b32_e32 v16, 0x80000000, v16
	v_lshrrev_b32_e32 v37, 5, v19
	v_add_nc_u32_e32 v39, v12, v0
	v_cmp_gt_u32_e64 s6, 8, v21
	v_cmp_lt_u32_e64 s7, 31, v21
	v_lshlrev_b32_e32 v38, 2, v1
	v_cmp_eq_u32_e64 s8, 0, v21
	v_mov_b32_e32 v1, 0
	v_lshl_add_u32 v48, v21, 2, v12
	v_cmp_eq_u32_e64 s9, 0, v5
	v_cmp_lt_u32_e64 s10, 1, v5
	v_cmp_lt_u32_e64 s11, 3, v5
	v_add_nc_u32_e32 v50, -4, v39
	v_add_nc_u32_e32 v51, 0x100, v49
	v_sub_nc_u32_e32 v52, v11, v10
	s_mov_b32 s16, 0
	s_wait_storecnt 0x0
	s_barrier_signal -1
	s_barrier_wait -1
	global_inv scope:SCOPE_SE
	s_branch .LBB812_325
.LBB812_324:                            ;   in Loop: Header=BB812_325 Depth=1
	s_wait_alu 0xfffe
	s_or_b32 exec_lo, exec_lo, s13
	s_delay_alu instid0(SALU_CYCLE_1)
	s_and_b32 s12, exec_lo, s17
	s_wait_alu 0xfffe
	s_or_b32 s16, s12, s16
	s_wait_alu 0xfffe
	s_and_not1_b32 exec_lo, exec_lo, s16
	s_cbranch_execz .LBB812_343
.LBB812_325:                            ; =>This Inner Loop Header: Depth=1
	s_wait_kmcnt 0x0
	v_min_u32_e32 v0, s15, v52
	v_dual_mov_b32 v8, v13 :: v_dual_mov_b32 v9, v14
	v_dual_mov_b32 v23, v16 :: v_dual_mov_b32 v22, v15
	s_delay_alu instid0(VALU_DEP_3)
	v_lshlrev_b32_e64 v0, v0, -1
	ds_store_b32 v20, v1
	ds_store_b32 v30, v1
	;; [unrolled: 1-line block ×3, first 2 shown]
	v_lshrrev_b64 v[4:5], v10, v[8:9]
	ds_store_b32 v32, v1
	ds_store_b32 v33, v1
	ds_store_b32 v34, v1
	v_not_b32_e32 v14, v0
	ds_store_b32 v35, v1
	ds_store_b32 v36, v1
	s_wait_loadcnt_dscnt 0x0
	s_barrier_signal -1
	v_and_b32_e32 v0, v4, v14
	v_dual_mov_b32 v4, v28 :: v_dual_mov_b32 v5, v29
	s_barrier_wait -1
	global_inv scope:SCOPE_SE
	v_and_b32_e32 v13, 1, v0
	v_lshlrev_b32_e32 v15, 30, v0
	v_lshlrev_b32_e32 v16, 29, v0
	;; [unrolled: 1-line block ×4, first 2 shown]
	v_add_co_u32 v13, s12, v13, -1
	s_wait_alu 0xf1ff
	v_cndmask_b32_e64 v25, 0, 1, s12
	v_not_b32_e32 v54, v15
	v_cmp_gt_i32_e64 s13, 0, v15
	v_not_b32_e32 v15, v16
	v_lshlrev_b32_e32 v29, 26, v0
	v_cmp_ne_u32_e64 s12, 0, v25
	v_ashrrev_i32_e32 v25, 31, v54
	v_lshlrev_b32_e32 v53, 25, v0
	v_ashrrev_i32_e32 v15, 31, v15
	v_lshlrev_b32_e32 v55, 24, v0
	s_wait_alu 0xf1ff
	v_xor_b32_e32 v13, s12, v13
	v_cmp_gt_i32_e64 s12, 0, v16
	v_not_b32_e32 v16, v24
	v_xor_b32_e32 v25, s13, v25
	v_cmp_gt_i32_e64 s13, 0, v24
	v_and_b32_e32 v13, exec_lo, v13
	v_not_b32_e32 v24, v28
	v_ashrrev_i32_e32 v16, 31, v16
	s_wait_alu 0xf1ff
	v_xor_b32_e32 v15, s12, v15
	v_cmp_gt_i32_e64 s12, 0, v28
	v_and_b32_e32 v13, v13, v25
	v_not_b32_e32 v25, v29
	v_ashrrev_i32_e32 v24, 31, v24
	v_xor_b32_e32 v16, s13, v16
	v_cmp_gt_i32_e64 s13, 0, v29
	v_and_b32_e32 v13, v13, v15
	v_not_b32_e32 v15, v53
	v_ashrrev_i32_e32 v25, 31, v25
	s_wait_alu 0xf1ff
	v_xor_b32_e32 v24, s12, v24
	v_cmp_gt_i32_e64 s12, 0, v53
	v_and_b32_e32 v13, v13, v16
	v_not_b32_e32 v16, v55
	v_ashrrev_i32_e32 v15, 31, v15
	v_xor_b32_e32 v28, s13, v25
	v_cmp_gt_i32_e64 s13, 0, v55
	v_and_b32_e32 v13, v13, v24
	v_ashrrev_i32_e32 v16, 31, v16
	s_wait_alu 0xf1ff
	v_xor_b32_e32 v15, s12, v15
	v_lshl_add_u32 v0, v0, 3, v37
	v_dual_mov_b32 v24, v26 :: v_dual_and_b32 v13, v13, v28
	v_xor_b32_e32 v16, s13, v16
	v_mov_b32_e32 v25, v27
	s_delay_alu instid0(VALU_DEP_4) | instskip(NEXT) | instid1(VALU_DEP_4)
	v_lshlrev_b64_e32 v[26:27], 2, v[0:1]
	v_and_b32_e32 v13, v13, v15
	; wave barrier
	s_delay_alu instid0(VALU_DEP_1) | instskip(NEXT) | instid1(VALU_DEP_3)
	v_and_b32_e32 v15, v13, v16
	v_add_co_u32 v13, null, v12, v26
	s_delay_alu instid0(VALU_DEP_2) | instskip(SKIP_1) | instid1(VALU_DEP_3)
	v_mbcnt_lo_u32_b32 v0, v15, 0
	v_cmp_ne_u32_e64 s13, 0, v15
	v_add_co_u32 v13, null, v13, 32
	s_delay_alu instid0(VALU_DEP_3)
	v_cmp_eq_u32_e64 s12, 0, v0
	s_and_b32 s13, s13, s12
	s_wait_alu 0xfffe
	s_and_saveexec_b32 s12, s13
; %bb.326:                              ;   in Loop: Header=BB812_325 Depth=1
	v_bcnt_u32_b32 v15, v15, 0
	ds_store_b32 v13, v15
; %bb.327:                              ;   in Loop: Header=BB812_325 Depth=1
	s_wait_alu 0xfffe
	s_or_b32 exec_lo, exec_lo, s12
	v_lshrrev_b64 v[15:16], v10, v[22:23]
	; wave barrier
	s_delay_alu instid0(VALU_DEP_1) | instskip(NEXT) | instid1(VALU_DEP_1)
	v_and_b32_e32 v14, v15, v14
	v_and_b32_e32 v15, 1, v14
	v_lshlrev_b32_e32 v16, 30, v14
	v_lshlrev_b32_e32 v26, 29, v14
	v_lshlrev_b32_e32 v27, 28, v14
	v_lshlrev_b32_e32 v29, 27, v14
	v_add_co_u32 v15, s12, v15, -1
	s_wait_alu 0xf1ff
	v_cndmask_b32_e64 v28, 0, 1, s12
	v_not_b32_e32 v55, v16
	v_cmp_gt_i32_e64 s13, 0, v16
	v_not_b32_e32 v16, v26
	v_lshlrev_b32_e32 v53, 26, v14
	v_cmp_ne_u32_e64 s12, 0, v28
	v_ashrrev_i32_e32 v55, 31, v55
	v_lshlrev_b32_e32 v54, 25, v14
	v_ashrrev_i32_e32 v16, 31, v16
	v_lshlrev_b32_e32 v28, 24, v14
	s_wait_alu 0xf1ff
	v_xor_b32_e32 v15, s12, v15
	v_cmp_gt_i32_e64 s12, 0, v26
	v_not_b32_e32 v26, v27
	v_xor_b32_e32 v55, s13, v55
	v_cmp_gt_i32_e64 s13, 0, v27
	v_and_b32_e32 v15, exec_lo, v15
	v_not_b32_e32 v27, v29
	v_ashrrev_i32_e32 v26, 31, v26
	s_wait_alu 0xf1ff
	v_xor_b32_e32 v16, s12, v16
	v_cmp_gt_i32_e64 s12, 0, v29
	v_and_b32_e32 v15, v15, v55
	v_not_b32_e32 v29, v53
	v_ashrrev_i32_e32 v27, 31, v27
	v_xor_b32_e32 v26, s13, v26
	v_cmp_gt_i32_e64 s13, 0, v53
	v_and_b32_e32 v15, v15, v16
	v_not_b32_e32 v16, v54
	v_ashrrev_i32_e32 v29, 31, v29
	s_wait_alu 0xf1ff
	v_xor_b32_e32 v27, s12, v27
	v_cmp_gt_i32_e64 s12, 0, v54
	v_and_b32_e32 v15, v15, v26
	v_not_b32_e32 v26, v28
	v_ashrrev_i32_e32 v16, 31, v16
	v_xor_b32_e32 v29, s13, v29
	v_lshl_add_u32 v14, v14, 3, v37
	v_and_b32_e32 v15, v15, v27
	v_cmp_gt_i32_e64 s13, 0, v28
	v_ashrrev_i32_e32 v26, 31, v26
	s_wait_alu 0xf1ff
	v_xor_b32_e32 v16, s12, v16
	v_lshl_add_u32 v27, v14, 2, v12
	v_and_b32_e32 v15, v15, v29
	v_xor_b32_e32 v26, s13, v26
	ds_load_b32 v14, v27 offset:32
	v_and_b32_e32 v15, v15, v16
	v_add_nc_u32_e32 v16, 32, v27
	; wave barrier
	s_delay_alu instid0(VALU_DEP_2) | instskip(NEXT) | instid1(VALU_DEP_1)
	v_and_b32_e32 v26, v15, v26
	v_mbcnt_lo_u32_b32 v15, v26, 0
	v_cmp_ne_u32_e64 s13, 0, v26
	s_delay_alu instid0(VALU_DEP_2)
	v_cmp_eq_u32_e64 s12, 0, v15
	s_and_b32 s13, s13, s12
	s_wait_alu 0xfffe
	s_and_saveexec_b32 s12, s13
	s_cbranch_execz .LBB812_329
; %bb.328:                              ;   in Loop: Header=BB812_325 Depth=1
	s_wait_dscnt 0x0
	v_bcnt_u32_b32 v26, v26, v14
	ds_store_b32 v16, v26
.LBB812_329:                            ;   in Loop: Header=BB812_325 Depth=1
	s_wait_alu 0xfffe
	s_or_b32 exec_lo, exec_lo, s12
	; wave barrier
	s_wait_loadcnt_dscnt 0x0
	s_barrier_signal -1
	s_barrier_wait -1
	global_inv scope:SCOPE_SE
	ds_load_b32 v27, v20
	ds_load_b32 v28, v30
	;; [unrolled: 1-line block ×8, first 2 shown]
	s_wait_dscnt 0x6
	v_add_nc_u32_e32 v65, v28, v27
	s_wait_dscnt 0x4
	s_delay_alu instid0(VALU_DEP_1) | instskip(SKIP_1) | instid1(VALU_DEP_1)
	v_add3_u32 v65, v65, v29, v53
	s_wait_dscnt 0x2
	v_add3_u32 v65, v65, v54, v55
	s_wait_dscnt 0x0
	s_delay_alu instid0(VALU_DEP_1) | instskip(NEXT) | instid1(VALU_DEP_1)
	v_add3_u32 v64, v65, v26, v64
	v_mov_b32_dpp v65, v64 row_shr:1 row_mask:0xf bank_mask:0xf
	s_wait_alu 0xfffd
	s_delay_alu instid0(VALU_DEP_1) | instskip(NEXT) | instid1(VALU_DEP_1)
	v_cndmask_b32_e64 v65, v65, 0, vcc_lo
	v_add_nc_u32_e32 v64, v65, v64
	s_delay_alu instid0(VALU_DEP_1) | instskip(NEXT) | instid1(VALU_DEP_1)
	v_mov_b32_dpp v65, v64 row_shr:2 row_mask:0xf bank_mask:0xf
	v_cndmask_b32_e64 v65, 0, v65, s0
	s_delay_alu instid0(VALU_DEP_1) | instskip(NEXT) | instid1(VALU_DEP_1)
	v_add_nc_u32_e32 v64, v64, v65
	v_mov_b32_dpp v65, v64 row_shr:4 row_mask:0xf bank_mask:0xf
	s_delay_alu instid0(VALU_DEP_1) | instskip(NEXT) | instid1(VALU_DEP_1)
	v_cndmask_b32_e64 v65, 0, v65, s1
	v_add_nc_u32_e32 v64, v64, v65
	s_delay_alu instid0(VALU_DEP_1) | instskip(NEXT) | instid1(VALU_DEP_1)
	v_mov_b32_dpp v65, v64 row_shr:8 row_mask:0xf bank_mask:0xf
	v_cndmask_b32_e64 v65, 0, v65, s3
	s_delay_alu instid0(VALU_DEP_1) | instskip(SKIP_3) | instid1(VALU_DEP_1)
	v_add_nc_u32_e32 v64, v64, v65
	ds_swizzle_b32 v65, v64 offset:swizzle(BROADCAST,32,15)
	s_wait_dscnt 0x0
	v_cndmask_b32_e64 v65, v65, 0, s4
	v_add_nc_u32_e32 v64, v64, v65
	s_and_saveexec_b32 s12, s5
; %bb.330:                              ;   in Loop: Header=BB812_325 Depth=1
	ds_store_b32 v39, v64
; %bb.331:                              ;   in Loop: Header=BB812_325 Depth=1
	s_wait_alu 0xfffe
	s_or_b32 exec_lo, exec_lo, s12
	s_wait_loadcnt_dscnt 0x0
	s_barrier_signal -1
	s_barrier_wait -1
	global_inv scope:SCOPE_SE
	s_and_saveexec_b32 s12, s6
	s_cbranch_execz .LBB812_333
; %bb.332:                              ;   in Loop: Header=BB812_325 Depth=1
	ds_load_b32 v65, v48
	s_wait_dscnt 0x0
	v_mov_b32_dpp v66, v65 row_shr:1 row_mask:0xf bank_mask:0xf
	s_delay_alu instid0(VALU_DEP_1) | instskip(NEXT) | instid1(VALU_DEP_1)
	v_cndmask_b32_e64 v66, v66, 0, s9
	v_add_nc_u32_e32 v65, v66, v65
	s_delay_alu instid0(VALU_DEP_1) | instskip(NEXT) | instid1(VALU_DEP_1)
	v_mov_b32_dpp v66, v65 row_shr:2 row_mask:0xf bank_mask:0xf
	v_cndmask_b32_e64 v66, 0, v66, s10
	s_delay_alu instid0(VALU_DEP_1) | instskip(NEXT) | instid1(VALU_DEP_1)
	v_add_nc_u32_e32 v65, v65, v66
	v_mov_b32_dpp v66, v65 row_shr:4 row_mask:0xf bank_mask:0xf
	s_delay_alu instid0(VALU_DEP_1) | instskip(NEXT) | instid1(VALU_DEP_1)
	v_cndmask_b32_e64 v66, 0, v66, s11
	v_add_nc_u32_e32 v65, v65, v66
	ds_store_b32 v48, v65
.LBB812_333:                            ;   in Loop: Header=BB812_325 Depth=1
	s_wait_alu 0xfffe
	s_or_b32 exec_lo, exec_lo, s12
	v_mov_b32_e32 v65, 0
	s_wait_loadcnt_dscnt 0x0
	s_barrier_signal -1
	s_barrier_wait -1
	global_inv scope:SCOPE_SE
	s_and_saveexec_b32 s12, s7
; %bb.334:                              ;   in Loop: Header=BB812_325 Depth=1
	ds_load_b32 v65, v50
; %bb.335:                              ;   in Loop: Header=BB812_325 Depth=1
	s_wait_alu 0xfffe
	s_or_b32 exec_lo, exec_lo, s12
	s_wait_dscnt 0x0
	v_add_nc_u32_e32 v64, v65, v64
	v_add_nc_u32_e32 v10, 8, v10
	s_mov_b32 s17, -1
	s_mov_b32 s13, exec_lo
	ds_bpermute_b32 v64, v38, v64
	s_wait_dscnt 0x0
	v_cndmask_b32_e64 v64, v64, v65, s2
	s_delay_alu instid0(VALU_DEP_1) | instskip(NEXT) | instid1(VALU_DEP_1)
	v_cndmask_b32_e64 v64, v64, 0, s8
	v_add_nc_u32_e32 v27, v64, v27
	s_delay_alu instid0(VALU_DEP_1) | instskip(SKIP_4) | instid1(VALU_DEP_1)
	v_add_nc_u32_e32 v28, v27, v28
	ds_store_b32 v20, v64
	ds_store_b32 v30, v27
	;; [unrolled: 1-line block ×3, first 2 shown]
	v_add_nc_u32_e32 v29, v28, v29
	v_add_nc_u32_e32 v53, v29, v53
	s_delay_alu instid0(VALU_DEP_1) | instskip(NEXT) | instid1(VALU_DEP_1)
	v_add_nc_u32_e32 v54, v53, v54
	v_add_nc_u32_e32 v55, v54, v55
	s_delay_alu instid0(VALU_DEP_1)
	v_add_nc_u32_e32 v26, v55, v26
	ds_store_b32 v32, v29
	ds_store_b32 v33, v53
	;; [unrolled: 1-line block ×5, first 2 shown]
	s_wait_loadcnt_dscnt 0x0
	s_barrier_signal -1
	s_barrier_wait -1
	global_inv scope:SCOPE_SE
	ds_load_b32 v13, v13
	ds_load_b32 v26, v16
	v_mov_b32_e32 v16, v1
                                        ; implicit-def: $vgpr28_vgpr29
	s_wait_loadcnt_dscnt 0x0
	v_add_nc_u32_e32 v0, v13, v0
	v_add3_u32 v15, v15, v14, v26
                                        ; implicit-def: $vgpr26_vgpr27
	s_delay_alu instid0(VALU_DEP_2) | instskip(NEXT) | instid1(VALU_DEP_2)
	v_lshlrev_b64_e32 v[13:14], 3, v[0:1]
	v_lshlrev_b64_e32 v[14:15], 3, v[15:16]
	s_delay_alu instid0(VALU_DEP_2) | instskip(NEXT) | instid1(VALU_DEP_2)
	v_add_co_u32 v0, null, v12, v13
	v_add_co_u32 v53, null, v12, v14
                                        ; implicit-def: $vgpr15_vgpr16
	v_cmpx_lt_u32_e64 v10, v11
	s_cbranch_execz .LBB812_324
; %bb.336:                              ;   in Loop: Header=BB812_325 Depth=1
	s_barrier_signal -1
	s_barrier_wait -1
	global_inv scope:SCOPE_SE
	ds_store_b64 v0, v[8:9]
	ds_store_b64 v53, v[22:23]
	s_wait_loadcnt_dscnt 0x0
	s_barrier_signal -1
	s_barrier_wait -1
	global_inv scope:SCOPE_SE
	ds_load_b64 v[13:14], v49
	ds_load_b64 v[15:16], v51
	s_wait_loadcnt_dscnt 0x0
	s_barrier_signal -1
	s_barrier_wait -1
	global_inv scope:SCOPE_SE
	ds_store_b64 v0, v[24:25]
	ds_store_b64 v53, v[4:5]
	s_wait_loadcnt_dscnt 0x0
	s_barrier_signal -1
	s_barrier_wait -1
	global_inv scope:SCOPE_SE
	ds_load_b64 v[26:27], v49
	ds_load_b64 v[28:29], v51
	v_add_nc_u32_e32 v52, -8, v52
	s_xor_b32 s17, exec_lo, -1
	s_wait_loadcnt_dscnt 0x0
	s_barrier_signal -1
	s_barrier_wait -1
	global_inv scope:SCOPE_SE
	s_branch .LBB812_324
.LBB812_337:
	flat_load_b64 v[48:49], v[0:1]
	s_wait_alu 0xfffe
	s_or_b32 exec_lo, exec_lo, s3
                                        ; implicit-def: $vgpr50_vgpr51
	s_and_saveexec_b32 s3, s0
	s_cbranch_execz .LBB812_264
.LBB812_338:
	flat_load_b64 v[50:51], v[0:1] offset:256
	s_wait_alu 0xfffe
	s_or_b32 exec_lo, exec_lo, s3
                                        ; implicit-def: $vgpr52_vgpr53
	s_and_saveexec_b32 s0, s1
	s_cbranch_execz .LBB812_265
.LBB812_339:
	flat_load_b64 v[52:53], v[0:1] offset:512
	s_wait_alu 0xfffe
	s_or_b32 exec_lo, exec_lo, s0
                                        ; implicit-def: $vgpr38_vgpr39
	s_and_saveexec_b32 s0, s2
	s_cbranch_execnz .LBB812_266
	s_branch .LBB812_267
.LBB812_340:
	flat_store_b64 v[0:1], v[12:13]
	s_wait_alu 0xfffe
	s_or_b32 exec_lo, exec_lo, s3
	s_and_saveexec_b32 s3, s0
	s_cbranch_execz .LBB812_309
.LBB812_341:
	flat_store_b64 v[0:1], v[14:15] offset:2048
	s_wait_alu 0xfffe
	s_or_b32 exec_lo, exec_lo, s3
	s_and_saveexec_b32 s0, s1
	s_cbranch_execz .LBB812_310
.LBB812_342:
	flat_store_b64 v[0:1], v[8:9] offset:4096
	s_wait_alu 0xfffe
	s_or_b32 exec_lo, exec_lo, s0
	s_and_saveexec_b32 s0, s2
	s_cbranch_execnz .LBB812_311
	s_branch .LBB812_312
.LBB812_343:
	s_or_b32 exec_lo, exec_lo, s16
	v_lshl_add_u32 v1, v21, 3, v12
	s_barrier_signal -1
	s_barrier_wait -1
	s_wait_loadcnt 0x0
	global_inv scope:SCOPE_SE
	ds_store_b64 v0, v[8:9]
	ds_store_b64 v53, v[22:23]
	s_wait_loadcnt_dscnt 0x0
	s_barrier_signal -1
	s_barrier_wait -1
	global_inv scope:SCOPE_SE
	ds_load_2addr_stride64_b64 v[12:15], v1 offset1:4
	s_wait_loadcnt_dscnt 0x0
	s_barrier_signal -1
	s_barrier_wait -1
	global_inv scope:SCOPE_SE
	ds_store_b64 v0, v[24:25]
	ds_store_b64 v53, v[4:5]
	s_wait_loadcnt_dscnt 0x0
	s_barrier_signal -1
	s_barrier_wait -1
	global_inv scope:SCOPE_SE
	ds_load_2addr_stride64_b64 v[8:11], v1 offset1:4
	v_mov_b32_e32 v20, 0
	v_add_co_u32 v2, vcc_lo, v2, v17
	s_wait_alu 0xfffd
	v_add_co_ci_u32_e64 v3, null, v3, v18, vcc_lo
	s_delay_alu instid0(VALU_DEP_3)
	v_lshlrev_b64_e32 v[0:1], 3, v[19:20]
	s_wait_loadcnt_dscnt 0x0
	s_barrier_signal -1
	s_barrier_wait -1
	global_inv scope:SCOPE_SE
	v_add_co_u32 v2, vcc_lo, v2, v0
	s_wait_alu 0xfffd
	v_add_co_ci_u32_e64 v3, null, v3, v1, vcc_lo
	v_cmp_lt_u32_e32 vcc_lo, v19, v119
	s_and_saveexec_b32 s0, vcc_lo
	s_cbranch_execz .LBB812_345
; %bb.344:
	v_xor_b32_e32 v13, 0x80000000, v13
	flat_store_b64 v[2:3], v[12:13]
.LBB812_345:
	s_wait_alu 0xfffe
	s_or_b32 exec_lo, exec_lo, s0
	v_add_nc_u32_e32 v4, 0x100, v19
	s_delay_alu instid0(VALU_DEP_1)
	v_cmp_lt_u32_e64 s0, v4, v119
	s_and_saveexec_b32 s1, s0
	s_cbranch_execz .LBB812_347
; %bb.346:
	v_xor_b32_e32 v15, 0x80000000, v15
	flat_store_b64 v[2:3], v[14:15] offset:2048
.LBB812_347:
	s_wait_alu 0xfffe
	s_or_b32 exec_lo, exec_lo, s1
	v_add_co_u32 v2, s1, v6, v17
	s_wait_alu 0xf1ff
	v_add_co_ci_u32_e64 v3, null, v7, v18, s1
	s_delay_alu instid0(VALU_DEP_2) | instskip(SKIP_1) | instid1(VALU_DEP_2)
	v_add_co_u32 v0, s1, v2, v0
	s_wait_alu 0xf1ff
	v_add_co_ci_u32_e64 v1, null, v3, v1, s1
	s_and_saveexec_b32 s1, vcc_lo
	s_cbranch_execz .LBB812_349
; %bb.348:
	flat_store_b64 v[0:1], v[8:9]
.LBB812_349:
	s_wait_alu 0xfffe
	s_or_b32 exec_lo, exec_lo, s1
	s_and_saveexec_b32 s1, s0
	s_cbranch_execz .LBB812_351
; %bb.350:
	flat_store_b64 v[0:1], v[10:11] offset:2048
.LBB812_351:
	s_wait_alu 0xfffe
	s_or_b32 exec_lo, exec_lo, s1
                                        ; implicit-def: $vgpr19_vgpr20
                                        ; implicit-def: $vgpr17_vgpr18
                                        ; implicit-def: $vgpr119
                                        ; implicit-def: $vgpr0
                                        ; implicit-def: $vgpr1
                                        ; implicit-def: $vgpr2
                                        ; implicit-def: $vgpr3
                                        ; implicit-def: $vgpr4
                                        ; implicit-def: $vgpr5
                                        ; implicit-def: $vgpr6
                                        ; implicit-def: $vgpr7
                                        ; implicit-def: $vgpr10
                                        ; implicit-def: $vgpr11
                                        ; implicit-def: $vgpr12
                                        ; implicit-def: $vgpr21
                                        ; implicit-def: $vgpr22
.LBB812_352:
	s_wait_alu 0xfffe
	s_and_not1_saveexec_b32 s0, s14
	s_cbranch_execz .LBB812_372
; %bb.353:
	v_dual_mov_b32 v15, -1 :: v_dual_and_b32 v8, 0xffffffe0, v19
	v_mov_b32_e32 v16, -1
	v_lshlrev_b32_e32 v20, 3, v22
	s_delay_alu instid0(VALU_DEP_3) | instskip(NEXT) | instid1(VALU_DEP_1)
	v_or_b32_e32 v9, v22, v8
	v_cmp_lt_u32_e32 vcc_lo, v9, v119
	s_and_saveexec_b32 s1, vcc_lo
	s_cbranch_execz .LBB812_355
; %bb.354:
	v_mov_b32_e32 v9, 0
	v_add_co_u32 v13, s0, v0, v17
	s_wait_alu 0xf1fe
	v_add_co_ci_u32_e64 v14, null, v1, v18, s0
	s_delay_alu instid0(VALU_DEP_3) | instskip(NEXT) | instid1(VALU_DEP_3)
	v_lshlrev_b64_e32 v[0:1], 3, v[8:9]
	v_add_co_u32 v9, s0, v13, v20
	s_wait_alu 0xf1ff
	s_delay_alu instid0(VALU_DEP_3) | instskip(NEXT) | instid1(VALU_DEP_2)
	v_add_co_ci_u32_e64 v13, null, 0, v14, s0
	v_add_co_u32 v0, s0, v9, v0
	s_wait_alu 0xf1ff
	s_delay_alu instid0(VALU_DEP_2)
	v_add_co_ci_u32_e64 v1, null, v13, v1, s0
	flat_load_b64 v[15:16], v[0:1]
	s_wait_loadcnt_dscnt 0x0
	v_xor_b32_e32 v16, 0x80000000, v16
.LBB812_355:
	s_wait_alu 0xfffe
	s_or_b32 exec_lo, exec_lo, s1
                                        ; implicit-def: $vgpr13_vgpr14
	s_and_saveexec_b32 s0, vcc_lo
	s_cbranch_execz .LBB812_357
; %bb.356:
	v_mov_b32_e32 v9, 0
	v_add_co_u32 v4, vcc_lo, v4, v17
	s_wait_alu 0xfffd
	v_add_co_ci_u32_e64 v5, null, v5, v18, vcc_lo
	s_delay_alu instid0(VALU_DEP_3) | instskip(NEXT) | instid1(VALU_DEP_3)
	v_lshlrev_b64_e32 v[0:1], 3, v[8:9]
	v_add_co_u32 v4, vcc_lo, v4, v20
	s_wait_alu 0xfffd
	s_delay_alu instid0(VALU_DEP_3) | instskip(NEXT) | instid1(VALU_DEP_2)
	v_add_co_ci_u32_e64 v5, null, 0, v5, vcc_lo
	v_add_co_u32 v0, vcc_lo, v4, v0
	s_wait_alu 0xfffd
	s_delay_alu instid0(VALU_DEP_2)
	v_add_co_ci_u32_e64 v1, null, v5, v1, vcc_lo
	flat_load_b64 v[13:14], v[0:1]
.LBB812_357:
	s_wait_alu 0xfffe
	s_or_b32 exec_lo, exec_lo, s0
	v_lshl_add_u32 v0, v21, 5, v12
	v_and_b32_e32 v1, 15, v22
	v_sub_co_u32 v8, s2, v22, 1
	s_getpc_b64 s[0:1]
	s_wait_alu 0xfffe
	s_sext_i32_i16 s1, s1
	s_add_co_u32 s0, s0, _ZN7rocprim17ROCPRIM_400000_NS16block_radix_sortIlLj256ELj1ElLj1ELj1ELj8ELNS0_26block_radix_rank_algorithmE2ELNS0_18block_padding_hintE2ELNS0_4arch9wavefront6targetE0EE19radix_bits_per_passE@rel32@lo+12
	s_wait_alu 0xfffe
	s_add_co_ci_u32 s1, s1, _ZN7rocprim17ROCPRIM_400000_NS16block_radix_sortIlLj256ELj1ElLj1ELj1ELj8ELNS0_26block_radix_rank_algorithmE2ELNS0_18block_padding_hintE2ELNS0_4arch9wavefront6targetE0EE19radix_bits_per_passE@rel32@hi+24
	v_add_nc_u32_e32 v20, 32, v0
	v_add_nc_u32_e32 v23, 36, v0
	;; [unrolled: 1-line block ×8, first 2 shown]
	v_and_b32_e32 v0, 0x3e0, v21
	s_load_b32 s14, s[0:1], 0x0
	v_cmp_eq_u32_e32 vcc_lo, 0, v1
	v_cmp_lt_u32_e64 s0, 1, v1
	v_cmp_lt_u32_e64 s1, 3, v1
	v_min_u32_e32 v4, 0xe0, v0
	v_and_b32_e32 v5, 16, v22
	v_cmp_lt_u32_e64 s3, 7, v1
	v_cmp_gt_i32_e64 s5, 0, v8
	v_or_b32_e32 v0, v22, v0
	v_or_b32_e32 v1, 31, v4
	v_lshrrev_b32_e32 v4, 3, v21
	v_cmp_eq_u32_e64 s4, 0, v5
	s_wait_alu 0xf1ff
	v_cndmask_b32_e64 v5, v8, v22, s5
	v_lshrrev_b32_e32 v30, 5, v19
	v_cmp_eq_u32_e64 s5, v21, v1
	v_and_b32_e32 v1, 0x7c, v4
	v_and_b32_e32 v4, 7, v22
	v_cmp_gt_u32_e64 s6, 8, v21
	v_cmp_lt_u32_e64 s7, 31, v21
	v_lshlrev_b32_e32 v31, 2, v5
	v_add_nc_u32_e32 v32, v12, v1
	v_cmp_eq_u32_e64 s8, 0, v21
	v_mov_b32_e32 v1, 0
	v_lshl_add_u32 v33, v21, 2, v12
	v_cmp_eq_u32_e64 s9, 0, v4
	v_cmp_lt_u32_e64 s10, 1, v4
	v_cmp_lt_u32_e64 s11, 3, v4
	v_add_nc_u32_e32 v22, -4, v32
	v_lshl_add_u32 v34, v0, 3, v12
	v_sub_nc_u32_e32 v35, v11, v10
	s_mov_b32 s15, 0
	s_wait_storecnt 0x0
	s_wait_loadcnt_dscnt 0x0
	s_barrier_signal -1
	s_barrier_wait -1
	global_inv scope:SCOPE_SE
	s_branch .LBB812_359
.LBB812_358:                            ;   in Loop: Header=BB812_359 Depth=1
	s_wait_alu 0xfffe
	s_or_b32 exec_lo, exec_lo, s13
	s_delay_alu instid0(SALU_CYCLE_1)
	s_and_b32 s12, exec_lo, s16
	s_wait_alu 0xfffe
	s_or_b32 s15, s12, s15
	s_wait_alu 0xfffe
	s_and_not1_b32 exec_lo, exec_lo, s15
	s_cbranch_execz .LBB812_369
.LBB812_359:                            ; =>This Inner Loop Header: Depth=1
	v_dual_mov_b32 v4, v15 :: v_dual_mov_b32 v5, v16
	s_wait_kmcnt 0x0
	v_min_u32_e32 v0, s14, v35
	ds_store_b32 v20, v1
	ds_store_b32 v23, v1
	;; [unrolled: 1-line block ×6, first 2 shown]
	v_lshrrev_b64 v[8:9], v10, v[4:5]
	ds_store_b32 v28, v1
	ds_store_b32 v29, v1
	s_wait_loadcnt_dscnt 0x0
	s_barrier_signal -1
	s_barrier_wait -1
	v_bfe_u32 v0, v8, 0, v0
	global_inv scope:SCOPE_SE
	; wave barrier
	v_and_b32_e32 v8, 1, v0
	v_lshlrev_b32_e32 v9, 30, v0
	v_lshlrev_b32_e32 v15, 29, v0
	;; [unrolled: 1-line block ×4, first 2 shown]
	v_add_co_u32 v8, s12, v8, -1
	s_wait_alu 0xf1ff
	v_cndmask_b32_e64 v36, 0, 1, s12
	v_not_b32_e32 v48, v9
	v_cmp_gt_i32_e64 s13, 0, v9
	v_not_b32_e32 v9, v15
	v_lshlrev_b32_e32 v38, 26, v0
	v_cmp_ne_u32_e64 s12, 0, v36
	v_ashrrev_i32_e32 v48, 31, v48
	v_lshlrev_b32_e32 v39, 25, v0
	v_ashrrev_i32_e32 v9, 31, v9
	v_lshlrev_b32_e32 v36, 24, v0
	s_wait_alu 0xf1ff
	v_xor_b32_e32 v8, s12, v8
	v_cmp_gt_i32_e64 s12, 0, v15
	v_not_b32_e32 v15, v16
	v_xor_b32_e32 v48, s13, v48
	v_cmp_gt_i32_e64 s13, 0, v16
	v_and_b32_e32 v8, exec_lo, v8
	v_not_b32_e32 v16, v37
	v_ashrrev_i32_e32 v15, 31, v15
	s_wait_alu 0xf1ff
	v_xor_b32_e32 v9, s12, v9
	v_cmp_gt_i32_e64 s12, 0, v37
	v_and_b32_e32 v8, v8, v48
	v_not_b32_e32 v37, v38
	v_ashrrev_i32_e32 v16, 31, v16
	v_xor_b32_e32 v15, s13, v15
	v_cmp_gt_i32_e64 s13, 0, v38
	v_and_b32_e32 v8, v8, v9
	v_not_b32_e32 v9, v39
	v_ashrrev_i32_e32 v37, 31, v37
	s_wait_alu 0xf1ff
	v_xor_b32_e32 v16, s12, v16
	v_cmp_gt_i32_e64 s12, 0, v39
	v_and_b32_e32 v8, v8, v15
	v_not_b32_e32 v15, v36
	v_ashrrev_i32_e32 v38, 31, v9
	v_xor_b32_e32 v37, s13, v37
	v_cmp_gt_i32_e64 s13, 0, v36
	v_and_b32_e32 v16, v8, v16
	v_dual_mov_b32 v8, v13 :: v_dual_mov_b32 v9, v14
	v_ashrrev_i32_e32 v13, 31, v15
	s_wait_alu 0xf1ff
	v_xor_b32_e32 v14, s12, v38
	v_and_b32_e32 v15, v16, v37
	v_lshl_add_u32 v0, v0, 3, v30
	v_xor_b32_e32 v13, s13, v13
	s_delay_alu instid0(VALU_DEP_3) | instskip(NEXT) | instid1(VALU_DEP_3)
	v_and_b32_e32 v14, v15, v14
	v_lshlrev_b64_e32 v[15:16], 2, v[0:1]
	s_delay_alu instid0(VALU_DEP_2) | instskip(NEXT) | instid1(VALU_DEP_2)
	v_and_b32_e32 v14, v14, v13
	v_add_co_u32 v13, null, v12, v15
	s_delay_alu instid0(VALU_DEP_2) | instskip(SKIP_1) | instid1(VALU_DEP_3)
	v_mbcnt_lo_u32_b32 v0, v14, 0
	v_cmp_ne_u32_e64 s13, 0, v14
	v_add_co_u32 v13, null, v13, 32
	s_delay_alu instid0(VALU_DEP_3)
	v_cmp_eq_u32_e64 s12, 0, v0
	s_and_b32 s13, s13, s12
	s_wait_alu 0xfffe
	s_and_saveexec_b32 s12, s13
; %bb.360:                              ;   in Loop: Header=BB812_359 Depth=1
	v_bcnt_u32_b32 v14, v14, 0
	ds_store_b32 v13, v14
; %bb.361:                              ;   in Loop: Header=BB812_359 Depth=1
	s_wait_alu 0xfffe
	s_or_b32 exec_lo, exec_lo, s12
	; wave barrier
	s_wait_loadcnt_dscnt 0x0
	s_barrier_signal -1
	s_barrier_wait -1
	global_inv scope:SCOPE_SE
	ds_load_b32 v15, v20
	ds_load_b32 v16, v23
	;; [unrolled: 1-line block ×8, first 2 shown]
	s_wait_dscnt 0x6
	v_add_nc_u32_e32 v49, v16, v15
	s_wait_dscnt 0x4
	s_delay_alu instid0(VALU_DEP_1) | instskip(SKIP_1) | instid1(VALU_DEP_1)
	v_add3_u32 v49, v49, v36, v37
	s_wait_dscnt 0x2
	v_add3_u32 v49, v49, v38, v39
	s_wait_dscnt 0x0
	s_delay_alu instid0(VALU_DEP_1) | instskip(NEXT) | instid1(VALU_DEP_1)
	v_add3_u32 v48, v49, v14, v48
	v_mov_b32_dpp v49, v48 row_shr:1 row_mask:0xf bank_mask:0xf
	s_wait_alu 0xfffd
	s_delay_alu instid0(VALU_DEP_1) | instskip(NEXT) | instid1(VALU_DEP_1)
	v_cndmask_b32_e64 v49, v49, 0, vcc_lo
	v_add_nc_u32_e32 v48, v49, v48
	s_delay_alu instid0(VALU_DEP_1) | instskip(NEXT) | instid1(VALU_DEP_1)
	v_mov_b32_dpp v49, v48 row_shr:2 row_mask:0xf bank_mask:0xf
	v_cndmask_b32_e64 v49, 0, v49, s0
	s_delay_alu instid0(VALU_DEP_1) | instskip(NEXT) | instid1(VALU_DEP_1)
	v_add_nc_u32_e32 v48, v48, v49
	v_mov_b32_dpp v49, v48 row_shr:4 row_mask:0xf bank_mask:0xf
	s_delay_alu instid0(VALU_DEP_1) | instskip(NEXT) | instid1(VALU_DEP_1)
	v_cndmask_b32_e64 v49, 0, v49, s1
	v_add_nc_u32_e32 v48, v48, v49
	s_delay_alu instid0(VALU_DEP_1) | instskip(NEXT) | instid1(VALU_DEP_1)
	v_mov_b32_dpp v49, v48 row_shr:8 row_mask:0xf bank_mask:0xf
	v_cndmask_b32_e64 v49, 0, v49, s3
	s_delay_alu instid0(VALU_DEP_1) | instskip(SKIP_3) | instid1(VALU_DEP_1)
	v_add_nc_u32_e32 v48, v48, v49
	ds_swizzle_b32 v49, v48 offset:swizzle(BROADCAST,32,15)
	s_wait_dscnt 0x0
	v_cndmask_b32_e64 v49, v49, 0, s4
	v_add_nc_u32_e32 v48, v48, v49
	s_and_saveexec_b32 s12, s5
; %bb.362:                              ;   in Loop: Header=BB812_359 Depth=1
	ds_store_b32 v32, v48
; %bb.363:                              ;   in Loop: Header=BB812_359 Depth=1
	s_wait_alu 0xfffe
	s_or_b32 exec_lo, exec_lo, s12
	s_wait_loadcnt_dscnt 0x0
	s_barrier_signal -1
	s_barrier_wait -1
	global_inv scope:SCOPE_SE
	s_and_saveexec_b32 s12, s6
	s_cbranch_execz .LBB812_365
; %bb.364:                              ;   in Loop: Header=BB812_359 Depth=1
	ds_load_b32 v49, v33
	s_wait_dscnt 0x0
	v_mov_b32_dpp v50, v49 row_shr:1 row_mask:0xf bank_mask:0xf
	s_delay_alu instid0(VALU_DEP_1) | instskip(NEXT) | instid1(VALU_DEP_1)
	v_cndmask_b32_e64 v50, v50, 0, s9
	v_add_nc_u32_e32 v49, v50, v49
	s_delay_alu instid0(VALU_DEP_1) | instskip(NEXT) | instid1(VALU_DEP_1)
	v_mov_b32_dpp v50, v49 row_shr:2 row_mask:0xf bank_mask:0xf
	v_cndmask_b32_e64 v50, 0, v50, s10
	s_delay_alu instid0(VALU_DEP_1) | instskip(NEXT) | instid1(VALU_DEP_1)
	v_add_nc_u32_e32 v49, v49, v50
	v_mov_b32_dpp v50, v49 row_shr:4 row_mask:0xf bank_mask:0xf
	s_delay_alu instid0(VALU_DEP_1) | instskip(NEXT) | instid1(VALU_DEP_1)
	v_cndmask_b32_e64 v50, 0, v50, s11
	v_add_nc_u32_e32 v49, v49, v50
	ds_store_b32 v33, v49
.LBB812_365:                            ;   in Loop: Header=BB812_359 Depth=1
	s_wait_alu 0xfffe
	s_or_b32 exec_lo, exec_lo, s12
	v_mov_b32_e32 v49, 0
	s_wait_loadcnt_dscnt 0x0
	s_barrier_signal -1
	s_barrier_wait -1
	global_inv scope:SCOPE_SE
	s_and_saveexec_b32 s12, s7
; %bb.366:                              ;   in Loop: Header=BB812_359 Depth=1
	ds_load_b32 v49, v22
; %bb.367:                              ;   in Loop: Header=BB812_359 Depth=1
	s_wait_alu 0xfffe
	s_or_b32 exec_lo, exec_lo, s12
	s_wait_dscnt 0x0
	v_add_nc_u32_e32 v48, v49, v48
	v_add_nc_u32_e32 v10, 8, v10
	s_mov_b32 s16, -1
	s_mov_b32 s13, exec_lo
	ds_bpermute_b32 v48, v31, v48
	s_wait_dscnt 0x0
	v_cndmask_b32_e64 v48, v48, v49, s2
	s_delay_alu instid0(VALU_DEP_1) | instskip(NEXT) | instid1(VALU_DEP_1)
	v_cndmask_b32_e64 v48, v48, 0, s8
	v_add_nc_u32_e32 v15, v48, v15
	s_delay_alu instid0(VALU_DEP_1) | instskip(SKIP_4) | instid1(VALU_DEP_1)
	v_add_nc_u32_e32 v16, v15, v16
	ds_store_b32 v20, v48
	ds_store_b32 v23, v15
	;; [unrolled: 1-line block ×3, first 2 shown]
	v_add_nc_u32_e32 v36, v16, v36
                                        ; implicit-def: $vgpr15_vgpr16
	v_add_nc_u32_e32 v37, v36, v37
	s_delay_alu instid0(VALU_DEP_1) | instskip(NEXT) | instid1(VALU_DEP_1)
	v_add_nc_u32_e32 v38, v37, v38
	v_add_nc_u32_e32 v39, v38, v39
	s_delay_alu instid0(VALU_DEP_1)
	v_add_nc_u32_e32 v14, v39, v14
	ds_store_b32 v25, v36
	ds_store_b32 v26, v37
	;; [unrolled: 1-line block ×5, first 2 shown]
	s_wait_loadcnt_dscnt 0x0
	s_barrier_signal -1
	s_barrier_wait -1
	global_inv scope:SCOPE_SE
	ds_load_b32 v13, v13
	s_wait_loadcnt_dscnt 0x0
	v_add_nc_u32_e32 v0, v13, v0
	s_delay_alu instid0(VALU_DEP_1) | instskip(NEXT) | instid1(VALU_DEP_1)
	v_lshlrev_b64_e32 v[13:14], 3, v[0:1]
	v_add_co_u32 v36, null, v12, v13
                                        ; implicit-def: $vgpr13_vgpr14
	v_cmpx_lt_u32_e64 v10, v11
	s_cbranch_execz .LBB812_358
; %bb.368:                              ;   in Loop: Header=BB812_359 Depth=1
	s_barrier_signal -1
	s_barrier_wait -1
	global_inv scope:SCOPE_SE
	ds_store_b64 v36, v[4:5]
	s_wait_loadcnt_dscnt 0x0
	s_barrier_signal -1
	s_barrier_wait -1
	global_inv scope:SCOPE_SE
	ds_load_b64 v[15:16], v34
	s_wait_loadcnt_dscnt 0x0
	s_barrier_signal -1
	s_barrier_wait -1
	global_inv scope:SCOPE_SE
	ds_store_b64 v36, v[8:9]
	s_wait_loadcnt_dscnt 0x0
	s_barrier_signal -1
	s_barrier_wait -1
	global_inv scope:SCOPE_SE
	ds_load_b64 v[13:14], v34
	v_add_nc_u32_e32 v35, -8, v35
	s_xor_b32 s16, exec_lo, -1
	s_wait_loadcnt_dscnt 0x0
	s_barrier_signal -1
	s_barrier_wait -1
	global_inv scope:SCOPE_SE
	s_branch .LBB812_358
.LBB812_369:
	s_or_b32 exec_lo, exec_lo, s15
	s_barrier_signal -1
	s_barrier_wait -1
	s_wait_loadcnt 0x0
	global_inv scope:SCOPE_SE
	ds_store_b64 v36, v[4:5]
	v_lshl_add_u32 v4, v21, 3, v12
	s_wait_loadcnt_dscnt 0x0
	s_barrier_signal -1
	s_barrier_wait -1
	global_inv scope:SCOPE_SE
	ds_load_b64 v[0:1], v4
	s_wait_loadcnt_dscnt 0x0
	s_barrier_signal -1
	s_barrier_wait -1
	global_inv scope:SCOPE_SE
	ds_store_b64 v36, v[8:9]
	s_wait_loadcnt_dscnt 0x0
	s_barrier_signal -1
	s_barrier_wait -1
	global_inv scope:SCOPE_SE
	ds_load_b64 v[4:5], v4
	s_mov_b32 s0, exec_lo
	s_wait_loadcnt_dscnt 0x0
	s_barrier_signal -1
	s_barrier_wait -1
	global_inv scope:SCOPE_SE
	v_cmpx_lt_u32_e64 v19, v119
	s_cbranch_execz .LBB812_371
; %bb.370:
	v_mov_b32_e32 v20, 0
	v_add_co_u32 v2, vcc_lo, v2, v17
	s_wait_alu 0xfffd
	v_add_co_ci_u32_e64 v3, null, v3, v18, vcc_lo
	s_delay_alu instid0(VALU_DEP_3) | instskip(SKIP_1) | instid1(VALU_DEP_2)
	v_lshlrev_b64_e32 v[8:9], 3, v[19:20]
	v_xor_b32_e32 v1, 0x80000000, v1
	v_add_co_u32 v2, vcc_lo, v2, v8
	s_wait_alu 0xfffd
	s_delay_alu instid0(VALU_DEP_3) | instskip(SKIP_3) | instid1(VALU_DEP_2)
	v_add_co_ci_u32_e64 v3, null, v3, v9, vcc_lo
	v_add_co_u32 v6, vcc_lo, v6, v17
	s_wait_alu 0xfffd
	v_add_co_ci_u32_e64 v7, null, v7, v18, vcc_lo
	v_add_co_u32 v6, vcc_lo, v6, v8
	s_wait_alu 0xfffd
	s_delay_alu instid0(VALU_DEP_2)
	v_add_co_ci_u32_e64 v7, null, v7, v9, vcc_lo
	flat_store_b64 v[2:3], v[0:1]
	flat_store_b64 v[6:7], v[4:5]
.LBB812_371:
	s_wait_alu 0xfffe
	s_or_b32 exec_lo, exec_lo, s0
.LBB812_372:
	s_wait_alu 0xfffe
	s_or_b32 exec_lo, exec_lo, s18
	s_clause 0x1f
	scratch_load_b32 v122, off, s32
	scratch_load_b32 v121, off, s32 offset:4
	scratch_load_b32 v120, off, s32 offset:8
	;; [unrolled: 1-line block ×31, first 2 shown]
	s_clause 0xa
	scratch_load_b32 v58, off, s32 offset:128
	scratch_load_b32 v57, off, s32 offset:132
	;; [unrolled: 1-line block ×11, first 2 shown]
	s_wait_loadcnt_dscnt 0x0
	s_setpc_b64 s[30:31]
.Lfunc_end812:
	.size	_ZN7rocprim17ROCPRIM_400000_NS6detail40segmented_radix_sort_single_block_helperIllLj256ELj16ELb0EE4sortIPKlPlS6_S7_EEbT_T0_T1_T2_jjjjRNS3_12storage_typeE, .Lfunc_end812-_ZN7rocprim17ROCPRIM_400000_NS6detail40segmented_radix_sort_single_block_helperIllLj256ELj16ELb0EE4sortIPKlPlS6_S7_EEbT_T0_T1_T2_jjjjRNS3_12storage_typeE
                                        ; -- End function
	.set .L_ZN7rocprim17ROCPRIM_400000_NS6detail40segmented_radix_sort_single_block_helperIllLj256ELj16ELb0EE4sortIPKlPlS6_S7_EEbT_T0_T1_T2_jjjjRNS3_12storage_typeE.num_vgpr, 248
	.set .L_ZN7rocprim17ROCPRIM_400000_NS6detail40segmented_radix_sort_single_block_helperIllLj256ELj16ELb0EE4sortIPKlPlS6_S7_EEbT_T0_T1_T2_jjjjRNS3_12storage_typeE.num_agpr, 0
	.set .L_ZN7rocprim17ROCPRIM_400000_NS6detail40segmented_radix_sort_single_block_helperIllLj256ELj16ELb0EE4sortIPKlPlS6_S7_EEbT_T0_T1_T2_jjjjRNS3_12storage_typeE.numbered_sgpr, 33
	.set .L_ZN7rocprim17ROCPRIM_400000_NS6detail40segmented_radix_sort_single_block_helperIllLj256ELj16ELb0EE4sortIPKlPlS6_S7_EEbT_T0_T1_T2_jjjjRNS3_12storage_typeE.num_named_barrier, 0
	.set .L_ZN7rocprim17ROCPRIM_400000_NS6detail40segmented_radix_sort_single_block_helperIllLj256ELj16ELb0EE4sortIPKlPlS6_S7_EEbT_T0_T1_T2_jjjjRNS3_12storage_typeE.private_seg_size, 176
	.set .L_ZN7rocprim17ROCPRIM_400000_NS6detail40segmented_radix_sort_single_block_helperIllLj256ELj16ELb0EE4sortIPKlPlS6_S7_EEbT_T0_T1_T2_jjjjRNS3_12storage_typeE.uses_vcc, 1
	.set .L_ZN7rocprim17ROCPRIM_400000_NS6detail40segmented_radix_sort_single_block_helperIllLj256ELj16ELb0EE4sortIPKlPlS6_S7_EEbT_T0_T1_T2_jjjjRNS3_12storage_typeE.uses_flat_scratch, 1
	.set .L_ZN7rocprim17ROCPRIM_400000_NS6detail40segmented_radix_sort_single_block_helperIllLj256ELj16ELb0EE4sortIPKlPlS6_S7_EEbT_T0_T1_T2_jjjjRNS3_12storage_typeE.has_dyn_sized_stack, 0
	.set .L_ZN7rocprim17ROCPRIM_400000_NS6detail40segmented_radix_sort_single_block_helperIllLj256ELj16ELb0EE4sortIPKlPlS6_S7_EEbT_T0_T1_T2_jjjjRNS3_12storage_typeE.has_recursion, 0
	.set .L_ZN7rocprim17ROCPRIM_400000_NS6detail40segmented_radix_sort_single_block_helperIllLj256ELj16ELb0EE4sortIPKlPlS6_S7_EEbT_T0_T1_T2_jjjjRNS3_12storage_typeE.has_indirect_call, 0
	.section	.AMDGPU.csdata,"",@progbits
; Function info:
; codeLenInByte = 31372
; TotalNumSgprs: 35
; NumVgprs: 248
; ScratchSize: 176
; MemoryBound: 1
	.section	.text._ZN7rocprim17ROCPRIM_400000_NS6detail17trampoline_kernelINS0_14default_configENS1_36segmented_radix_sort_config_selectorIllEEZNS1_25segmented_radix_sort_implIS3_Lb0EPKlPlS8_S9_N2at6native12_GLOBAL__N_18offset_tEEE10hipError_tPvRmT1_PNSt15iterator_traitsISH_E10value_typeET2_T3_PNSI_ISN_E10value_typeET4_jRbjT5_ST_jjP12ihipStream_tbEUlT_E_NS1_11comp_targetILNS1_3genE10ELNS1_11target_archE1201ELNS1_3gpuE5ELNS1_3repE0EEENS1_30default_config_static_selectorELNS0_4arch9wavefront6targetE0EEEvSH_,"axG",@progbits,_ZN7rocprim17ROCPRIM_400000_NS6detail17trampoline_kernelINS0_14default_configENS1_36segmented_radix_sort_config_selectorIllEEZNS1_25segmented_radix_sort_implIS3_Lb0EPKlPlS8_S9_N2at6native12_GLOBAL__N_18offset_tEEE10hipError_tPvRmT1_PNSt15iterator_traitsISH_E10value_typeET2_T3_PNSI_ISN_E10value_typeET4_jRbjT5_ST_jjP12ihipStream_tbEUlT_E_NS1_11comp_targetILNS1_3genE10ELNS1_11target_archE1201ELNS1_3gpuE5ELNS1_3repE0EEENS1_30default_config_static_selectorELNS0_4arch9wavefront6targetE0EEEvSH_,comdat
	.globl	_ZN7rocprim17ROCPRIM_400000_NS6detail17trampoline_kernelINS0_14default_configENS1_36segmented_radix_sort_config_selectorIllEEZNS1_25segmented_radix_sort_implIS3_Lb0EPKlPlS8_S9_N2at6native12_GLOBAL__N_18offset_tEEE10hipError_tPvRmT1_PNSt15iterator_traitsISH_E10value_typeET2_T3_PNSI_ISN_E10value_typeET4_jRbjT5_ST_jjP12ihipStream_tbEUlT_E_NS1_11comp_targetILNS1_3genE10ELNS1_11target_archE1201ELNS1_3gpuE5ELNS1_3repE0EEENS1_30default_config_static_selectorELNS0_4arch9wavefront6targetE0EEEvSH_ ; -- Begin function _ZN7rocprim17ROCPRIM_400000_NS6detail17trampoline_kernelINS0_14default_configENS1_36segmented_radix_sort_config_selectorIllEEZNS1_25segmented_radix_sort_implIS3_Lb0EPKlPlS8_S9_N2at6native12_GLOBAL__N_18offset_tEEE10hipError_tPvRmT1_PNSt15iterator_traitsISH_E10value_typeET2_T3_PNSI_ISN_E10value_typeET4_jRbjT5_ST_jjP12ihipStream_tbEUlT_E_NS1_11comp_targetILNS1_3genE10ELNS1_11target_archE1201ELNS1_3gpuE5ELNS1_3repE0EEENS1_30default_config_static_selectorELNS0_4arch9wavefront6targetE0EEEvSH_
	.p2align	8
	.type	_ZN7rocprim17ROCPRIM_400000_NS6detail17trampoline_kernelINS0_14default_configENS1_36segmented_radix_sort_config_selectorIllEEZNS1_25segmented_radix_sort_implIS3_Lb0EPKlPlS8_S9_N2at6native12_GLOBAL__N_18offset_tEEE10hipError_tPvRmT1_PNSt15iterator_traitsISH_E10value_typeET2_T3_PNSI_ISN_E10value_typeET4_jRbjT5_ST_jjP12ihipStream_tbEUlT_E_NS1_11comp_targetILNS1_3genE10ELNS1_11target_archE1201ELNS1_3gpuE5ELNS1_3repE0EEENS1_30default_config_static_selectorELNS0_4arch9wavefront6targetE0EEEvSH_,@function
_ZN7rocprim17ROCPRIM_400000_NS6detail17trampoline_kernelINS0_14default_configENS1_36segmented_radix_sort_config_selectorIllEEZNS1_25segmented_radix_sort_implIS3_Lb0EPKlPlS8_S9_N2at6native12_GLOBAL__N_18offset_tEEE10hipError_tPvRmT1_PNSt15iterator_traitsISH_E10value_typeET2_T3_PNSI_ISN_E10value_typeET4_jRbjT5_ST_jjP12ihipStream_tbEUlT_E_NS1_11comp_targetILNS1_3genE10ELNS1_11target_archE1201ELNS1_3gpuE5ELNS1_3repE0EEENS1_30default_config_static_selectorELNS0_4arch9wavefront6targetE0EEEvSH_: ; @_ZN7rocprim17ROCPRIM_400000_NS6detail17trampoline_kernelINS0_14default_configENS1_36segmented_radix_sort_config_selectorIllEEZNS1_25segmented_radix_sort_implIS3_Lb0EPKlPlS8_S9_N2at6native12_GLOBAL__N_18offset_tEEE10hipError_tPvRmT1_PNSt15iterator_traitsISH_E10value_typeET2_T3_PNSI_ISN_E10value_typeET4_jRbjT5_ST_jjP12ihipStream_tbEUlT_E_NS1_11comp_targetILNS1_3genE10ELNS1_11target_archE1201ELNS1_3gpuE5ELNS1_3repE0EEENS1_30default_config_static_selectorELNS0_4arch9wavefront6targetE0EEEvSH_
; %bb.0:
	s_clause 0x1
	s_load_b64 s[8:9], s[0:1], 0x38
	s_load_b128 s[4:7], s[0:1], 0x40
	s_mov_b32 s2, ttmp9
	s_mov_b32 s3, 0
	s_mov_b32 s32, 0
	s_lshl_b64 s[2:3], s[2:3], 2
	s_wait_kmcnt 0x0
	s_add_nc_u64 s[2:3], s[8:9], s[2:3]
	s_load_b32 s2, s[2:3], 0x0
	s_wait_kmcnt 0x0
	s_add_co_i32 s33, s2, s5
	s_add_co_i32 s51, s2, s7
	s_mul_i32 s33, s33, s4
	s_mul_i32 s51, s51, s6
	s_delay_alu instid0(SALU_CYCLE_1)
	s_cmp_le_u32 s51, s33
	s_cbranch_scc1 .LBB813_1182
; %bb.1:
	s_clause 0x3
	s_load_b32 s2, s[0:1], 0x30
	s_load_b128 s[44:47], s[0:1], 0x20
	s_load_b96 s[48:50], s[0:1], 0x50
	s_load_b256 s[36:43], s[0:1], 0x0
	s_wait_kmcnt 0x0
	s_bitcmp1_b32 s2, 0
	s_mov_b32 s2, -1
	s_cselect_b32 s52, -1, 0
	s_sub_co_i32 s53, s51, s33
	s_delay_alu instid0(SALU_CYCLE_1)
	s_cmp_lt_u32 s53, 0x1001
	s_cbranch_scc0 .LBB813_7
; %bb.2:
	v_cndmask_b32_e64 v1, 0, 1, s52
	s_and_b32 s2, s48, 1
	s_delay_alu instid0(VALU_DEP_1) | instid1(SALU_CYCLE_1)
	v_cmp_ne_u32_e32 vcc_lo, s2, v1
	s_mov_b32 s2, -1
	s_cbranch_vccnz .LBB813_4
; %bb.3:
	s_mov_b64 s[2:3], src_shared_base
	v_dual_mov_b32 v31, v0 :: v_dual_mov_b32 v40, v0
	v_dual_mov_b32 v0, s36 :: v_dual_mov_b32 v1, s37
	;; [unrolled: 1-line block ×7, first 2 shown]
	s_wait_alu 0xfffe
	v_dual_mov_b32 v12, 0 :: v_dual_mov_b32 v13, s3
	s_add_nc_u64 s[8:9], s[0:1], 0x60
	s_getpc_b64 s[4:5]
	s_sext_i32_i16 s5, s5
	s_add_co_u32 s4, s4, _ZN7rocprim17ROCPRIM_400000_NS6detail40segmented_radix_sort_single_block_helperIllLj256ELj16ELb0EE4sortIPKlPlS6_S7_EEbT_T0_T1_T2_jjjjRNS3_12storage_typeE@rel32@lo+8
	s_add_co_ci_u32 s5, s5, _ZN7rocprim17ROCPRIM_400000_NS6detail40segmented_radix_sort_single_block_helperIllLj256ELj16ELb0EE4sortIPKlPlS6_S7_EEbT_T0_T1_T2_jjjjRNS3_12storage_typeE@rel32@hi+16
	s_mov_b64 s[22:23], s[0:1]
	s_swappc_b64 s[30:31], s[4:5]
	v_mov_b32_e32 v0, v40
	s_mov_b64 s[0:1], s[22:23]
	s_mov_b32 s2, 0
.LBB813_4:
	s_wait_alu 0xfffe
	s_and_not1_b32 vcc_lo, exec_lo, s2
	s_wait_alu 0xfffe
	s_cbranch_vccnz .LBB813_6
; %bb.5:
	s_mov_b64 s[2:3], src_shared_base
	v_dual_mov_b32 v31, v0 :: v_dual_mov_b32 v40, v0
	v_dual_mov_b32 v0, s36 :: v_dual_mov_b32 v1, s37
	;; [unrolled: 1-line block ×7, first 2 shown]
	s_wait_alu 0xfffe
	v_dual_mov_b32 v12, 0 :: v_dual_mov_b32 v13, s3
	s_add_nc_u64 s[8:9], s[0:1], 0x60
	s_getpc_b64 s[4:5]
	s_wait_alu 0xfffe
	s_sext_i32_i16 s5, s5
	s_add_co_u32 s4, s4, _ZN7rocprim17ROCPRIM_400000_NS6detail40segmented_radix_sort_single_block_helperIllLj256ELj16ELb0EE4sortIPKlPlS6_S7_EEbT_T0_T1_T2_jjjjRNS3_12storage_typeE@rel32@lo+12
	s_wait_alu 0xfffe
	s_add_co_ci_u32 s5, s5, _ZN7rocprim17ROCPRIM_400000_NS6detail40segmented_radix_sort_single_block_helperIllLj256ELj16ELb0EE4sortIPKlPlS6_S7_EEbT_T0_T1_T2_jjjjRNS3_12storage_typeE@rel32@hi+24
	s_mov_b64 s[22:23], s[0:1]
	s_wait_alu 0xfffe
	s_swappc_b64 s[30:31], s[4:5]
	v_mov_b32_e32 v0, v40
	s_mov_b64 s[0:1], s[22:23]
.LBB813_6:
	s_mov_b32 s2, 0
.LBB813_7:
	s_wait_alu 0xfffe
	s_and_not1_b32 vcc_lo, exec_lo, s2
	s_wait_alu 0xfffe
	s_cbranch_vccnz .LBB813_1182
; %bb.8:
	s_cmp_ge_u32 s49, s50
	s_cbranch_scc1 .LBB813_1182
; %bb.9:
	v_and_b32_e32 v1, 0x3ff, v0
	v_lshrrev_b32_e32 v5, 3, v0
	v_dual_mov_b32 v3, 0 :: v_dual_and_b32 v2, 3, v0
	v_bfe_u32 v104, v0, 20, 10
	s_delay_alu instid0(VALU_DEP_4) | instskip(NEXT) | instid1(VALU_DEP_4)
	v_lshlrev_b32_e32 v4, 3, v1
	v_and_b32_e32 v97, 28, v5
	v_lshlrev_b32_e32 v5, 4, v1
	v_lshlrev_b32_e32 v96, 2, v2
	v_bfe_u32 v0, v0, 10, 10
	v_add_co_u32 v82, s2, s40, v4
	s_delay_alu instid0(VALU_DEP_4)
	v_and_b32_e32 v101, 0xe00, v5
	s_wait_alu 0xf1ff
	v_add_co_ci_u32_e64 v83, null, s41, 0, s2
	v_or_b32_e32 v99, 0x8400, v97
	v_add_nc_u32_e32 v103, 0x83fc, v97
	v_lshlrev_b32_e32 v5, 3, v101
	v_mbcnt_lo_u32_b32 v125, -1, 0
	s_mov_b32 s35, 0
	s_mov_b32 s31, s49
	;; [unrolled: 1-line block ×3, first 2 shown]
	v_add_co_u32 v106, s8, s46, v5
	s_wait_alu 0xf1ff
	v_add_co_ci_u32_e64 v107, null, s47, 0, s8
	v_add_co_u32 v108, s8, s40, v5
	s_wait_alu 0xf1ff
	v_add_co_ci_u32_e64 v109, null, s41, 0, s8
	;; [unrolled: 3-line block ×5, first 2 shown]
	v_add_co_u32 v117, s8, s36, v4
	v_mov_b32_e32 v4, -1
	v_dual_mov_b32 v123, 1 :: v_dual_lshlrev_b32 v78, 2, v1
	v_or_b32_e32 v2, 31, v1
	s_wait_alu 0xf1ff
	v_add_co_ci_u32_e64 v118, null, s37, 0, s8
	s_delay_alu instid0(VALU_DEP_3) | instskip(SKIP_3) | instid1(VALU_DEP_4)
	v_mad_u32_u24 v98, v1, 12, v78
	v_add_co_u32 v119, s8, s42, v5
	v_cmp_eq_u32_e64 s3, v1, v2
	v_lshlrev_b32_e32 v2, 5, v1
	v_mad_u32_u24 v102, v1, 20, v98
	s_wait_alu 0xf1ff
	v_add_co_ci_u32_e64 v120, null, s43, 0, s8
	v_add_co_u32 v121, s8, s36, v5
	s_delay_alu instid0(VALU_DEP_3)
	v_sub_nc_u32_e32 v105, v102, v2
	v_or_b32_e32 v79, 0x100, v1
	v_or_b32_e32 v80, 0x200, v1
	;; [unrolled: 1-line block ×15, first 2 shown]
	v_cmp_gt_u32_e64 s2, 0x100, v1
	v_cmp_gt_u32_e64 s4, 8, v1
	v_add_nc_u32_e32 v100, 0x8400, v78
	v_cmp_lt_u32_e64 s5, 31, v1
	v_cmp_eq_u32_e64 s6, 0, v1
	v_cmp_ne_u32_e64 s7, 0xff, v1
	v_add_nc_u32_e32 v110, v105, v78
	s_wait_alu 0xf1ff
	v_add_co_ci_u32_e64 v122, null, s37, 0, s8
	v_lshlrev_b32_e32 v124, 3, v1
	v_bfrev_b32_e32 v5, -2
	s_add_nc_u64 s[42:43], s[0:1], 0x60
	s_branch .LBB813_12
.LBB813_10:                             ;   in Loop: Header=BB813_12 Depth=1
	s_wait_loadcnt_dscnt 0x0
	s_barrier_signal -1
	s_barrier_wait -1
.LBB813_11:                             ;   in Loop: Header=BB813_12 Depth=1
	s_add_co_i32 s48, s48, 8
	global_inv scope:SCOPE_SE
	s_wait_alu 0xfffe
	s_cmp_ge_u32 s48, s50
	s_cbranch_scc1 .LBB813_1182
.LBB813_12:                             ; =>This Loop Header: Depth=1
                                        ;     Child Loop BB813_16 Depth 2
                                        ;     Child Loop BB813_96 Depth 2
	;; [unrolled: 1-line block ×8, first 2 shown]
	s_wait_alu 0xfffe
	s_sub_co_i32 s0, s50, s48
	s_xor_b32 s52, s52, -1
	s_wait_alu 0xfffe
	s_min_u32 s54, s0, 8
	s_cmp_lg_u32 s48, s49
	s_mov_b32 s0, -1
	ds_store_2addr_stride64_b32 v78, v3, v3 offset1:4
	ds_store_2addr_stride64_b32 v78, v3, v3 offset0:8 offset1:12
	s_wait_storecnt_dscnt 0x0
	s_cbranch_scc0 .LBB813_598
; %bb.13:                               ;   in Loop: Header=BB813_12 Depth=1
	s_wait_alu 0xfffe
	s_lshl_b32 s0, -1, s54
	s_and_b32 vcc_lo, exec_lo, s52
	s_wait_alu 0xfffe
	s_not_b32 s55, s0
	s_mov_b32 s0, -1
	s_cbranch_vccz .LBB813_305
; %bb.14:                               ;   in Loop: Header=BB813_12 Depth=1
	s_mov_b32 s8, s53
	s_mov_b32 s34, s33
	s_barrier_signal -1
	s_barrier_wait -1
	global_inv scope:SCOPE_SE
                                        ; implicit-def: $vgpr6_vgpr7
                                        ; implicit-def: $vgpr8_vgpr9
                                        ; implicit-def: $vgpr10_vgpr11
                                        ; implicit-def: $vgpr12_vgpr13
                                        ; implicit-def: $vgpr14_vgpr15
                                        ; implicit-def: $vgpr16_vgpr17
                                        ; implicit-def: $vgpr18_vgpr19
                                        ; implicit-def: $vgpr20_vgpr21
                                        ; implicit-def: $vgpr22_vgpr23
                                        ; implicit-def: $vgpr24_vgpr25
                                        ; implicit-def: $vgpr26_vgpr27
                                        ; implicit-def: $vgpr28_vgpr29
                                        ; implicit-def: $vgpr30_vgpr31
                                        ; implicit-def: $vgpr32_vgpr33
                                        ; implicit-def: $vgpr34_vgpr35
                                        ; implicit-def: $vgpr36_vgpr37
	s_branch .LBB813_16
.LBB813_15:                             ;   in Loop: Header=BB813_16 Depth=2
	s_wait_alu 0xfffe
	s_or_b32 exec_lo, exec_lo, s0
	s_addk_co_i32 s8, 0xf000
	s_cmp_ge_u32 s9, s51
	s_mov_b32 s34, s9
	s_cbranch_scc1 .LBB813_84
.LBB813_16:                             ;   Parent Loop BB813_12 Depth=1
                                        ; =>  This Inner Loop Header: Depth=2
	s_wait_alu 0xfffe
	s_add_co_i32 s9, s34, 0x1000
	s_mov_b32 s0, -1
	s_wait_alu 0xfffe
	s_cmp_gt_u32 s9, s51
                                        ; implicit-def: $vgpr38_vgpr39
                                        ; implicit-def: $vgpr40_vgpr41
                                        ; implicit-def: $vgpr42_vgpr43
                                        ; implicit-def: $vgpr44_vgpr45
                                        ; implicit-def: $vgpr46_vgpr47
                                        ; implicit-def: $vgpr48_vgpr49
                                        ; implicit-def: $vgpr50_vgpr51
                                        ; implicit-def: $vgpr52_vgpr53
                                        ; implicit-def: $vgpr54_vgpr55
                                        ; implicit-def: $vgpr56_vgpr57
                                        ; implicit-def: $vgpr58_vgpr59
                                        ; implicit-def: $vgpr60_vgpr61
                                        ; implicit-def: $vgpr62_vgpr63
                                        ; implicit-def: $vgpr64_vgpr65
                                        ; implicit-def: $vgpr66_vgpr67
                                        ; implicit-def: $vgpr68_vgpr69
	s_cbranch_scc1 .LBB813_18
; %bb.17:                               ;   in Loop: Header=BB813_16 Depth=2
	s_lshl_b64 s[0:1], s[34:35], 3
	s_wait_alu 0xfffe
	v_add_co_u32 v68, vcc_lo, v82, s0
	s_wait_alu 0xfffd
	v_add_co_ci_u32_e64 v69, null, s1, v83, vcc_lo
	s_mov_b32 s0, 0
	s_clause 0xf
	global_load_b64 v[38:39], v[68:69], off
	global_load_b64 v[40:41], v[68:69], off offset:2048
	global_load_b64 v[42:43], v[68:69], off offset:4096
	;; [unrolled: 1-line block ×15, first 2 shown]
.LBB813_18:                             ;   in Loop: Header=BB813_16 Depth=2
	s_wait_alu 0xfffe
	s_and_not1_b32 vcc_lo, exec_lo, s0
	s_movk_i32 s0, 0x1000
	s_wait_alu 0xfffe
	s_cbranch_vccnz .LBB813_37
; %bb.19:                               ;   in Loop: Header=BB813_16 Depth=2
	s_lshl_b64 s[0:1], s[34:35], 3
	s_mov_b32 s10, exec_lo
	s_wait_alu 0xfffe
	s_add_nc_u64 s[0:1], s[40:41], s[0:1]
	v_cmpx_gt_u32_e64 s8, v1
	s_cbranch_execnz .LBB813_69
; %bb.20:                               ;   in Loop: Header=BB813_16 Depth=2
	s_or_b32 exec_lo, exec_lo, s10
	s_delay_alu instid0(SALU_CYCLE_1)
	s_mov_b32 s10, exec_lo
	v_cmpx_gt_u32_e64 s8, v79
	s_cbranch_execnz .LBB813_70
.LBB813_21:                             ;   in Loop: Header=BB813_16 Depth=2
	s_wait_alu 0xfffe
	s_or_b32 exec_lo, exec_lo, s10
	s_delay_alu instid0(SALU_CYCLE_1)
	s_mov_b32 s10, exec_lo
	v_cmpx_gt_u32_e64 s8, v80
	s_cbranch_execnz .LBB813_71
.LBB813_22:                             ;   in Loop: Header=BB813_16 Depth=2
	s_wait_alu 0xfffe
	s_or_b32 exec_lo, exec_lo, s10
	s_delay_alu instid0(SALU_CYCLE_1)
	s_mov_b32 s10, exec_lo
	v_cmpx_gt_u32_e64 s8, v81
	s_cbranch_execnz .LBB813_72
.LBB813_23:                             ;   in Loop: Header=BB813_16 Depth=2
	s_wait_alu 0xfffe
	s_or_b32 exec_lo, exec_lo, s10
	s_delay_alu instid0(SALU_CYCLE_1)
	s_mov_b32 s10, exec_lo
	v_cmpx_gt_u32_e64 s8, v84
	s_cbranch_execnz .LBB813_73
.LBB813_24:                             ;   in Loop: Header=BB813_16 Depth=2
	s_wait_alu 0xfffe
	s_or_b32 exec_lo, exec_lo, s10
	s_delay_alu instid0(SALU_CYCLE_1)
	s_mov_b32 s10, exec_lo
	v_cmpx_gt_u32_e64 s8, v85
	s_cbranch_execnz .LBB813_74
.LBB813_25:                             ;   in Loop: Header=BB813_16 Depth=2
	s_wait_alu 0xfffe
	s_or_b32 exec_lo, exec_lo, s10
	s_delay_alu instid0(SALU_CYCLE_1)
	s_mov_b32 s10, exec_lo
	v_cmpx_gt_u32_e64 s8, v86
	s_cbranch_execnz .LBB813_75
.LBB813_26:                             ;   in Loop: Header=BB813_16 Depth=2
	s_wait_alu 0xfffe
	s_or_b32 exec_lo, exec_lo, s10
	s_delay_alu instid0(SALU_CYCLE_1)
	s_mov_b32 s10, exec_lo
	v_cmpx_gt_u32_e64 s8, v87
	s_cbranch_execnz .LBB813_76
.LBB813_27:                             ;   in Loop: Header=BB813_16 Depth=2
	s_wait_alu 0xfffe
	s_or_b32 exec_lo, exec_lo, s10
	s_delay_alu instid0(SALU_CYCLE_1)
	s_mov_b32 s10, exec_lo
	v_cmpx_gt_u32_e64 s8, v88
	s_cbranch_execnz .LBB813_77
.LBB813_28:                             ;   in Loop: Header=BB813_16 Depth=2
	s_wait_alu 0xfffe
	s_or_b32 exec_lo, exec_lo, s10
	s_delay_alu instid0(SALU_CYCLE_1)
	s_mov_b32 s10, exec_lo
	v_cmpx_gt_u32_e64 s8, v89
	s_cbranch_execnz .LBB813_78
.LBB813_29:                             ;   in Loop: Header=BB813_16 Depth=2
	s_wait_alu 0xfffe
	s_or_b32 exec_lo, exec_lo, s10
	s_delay_alu instid0(SALU_CYCLE_1)
	s_mov_b32 s10, exec_lo
	v_cmpx_gt_u32_e64 s8, v90
	s_cbranch_execnz .LBB813_79
.LBB813_30:                             ;   in Loop: Header=BB813_16 Depth=2
	s_wait_alu 0xfffe
	s_or_b32 exec_lo, exec_lo, s10
	s_delay_alu instid0(SALU_CYCLE_1)
	s_mov_b32 s10, exec_lo
	v_cmpx_gt_u32_e64 s8, v91
	s_cbranch_execnz .LBB813_80
.LBB813_31:                             ;   in Loop: Header=BB813_16 Depth=2
	s_wait_alu 0xfffe
	s_or_b32 exec_lo, exec_lo, s10
	s_delay_alu instid0(SALU_CYCLE_1)
	s_mov_b32 s10, exec_lo
	v_cmpx_gt_u32_e64 s8, v92
	s_cbranch_execnz .LBB813_81
.LBB813_32:                             ;   in Loop: Header=BB813_16 Depth=2
	s_wait_alu 0xfffe
	s_or_b32 exec_lo, exec_lo, s10
	s_delay_alu instid0(SALU_CYCLE_1)
	s_mov_b32 s10, exec_lo
	v_cmpx_gt_u32_e64 s8, v93
	s_cbranch_execnz .LBB813_82
.LBB813_33:                             ;   in Loop: Header=BB813_16 Depth=2
	s_wait_alu 0xfffe
	s_or_b32 exec_lo, exec_lo, s10
	s_delay_alu instid0(SALU_CYCLE_1)
	s_mov_b32 s10, exec_lo
	v_cmpx_gt_u32_e64 s8, v94
	s_cbranch_execnz .LBB813_83
.LBB813_34:                             ;   in Loop: Header=BB813_16 Depth=2
	s_wait_alu 0xfffe
	s_or_b32 exec_lo, exec_lo, s10
	s_delay_alu instid0(SALU_CYCLE_1)
	s_mov_b32 s10, exec_lo
	v_cmpx_gt_u32_e64 s8, v95
	s_cbranch_execz .LBB813_36
.LBB813_35:                             ;   in Loop: Header=BB813_16 Depth=2
	global_load_b64 v[6:7], v124, s[0:1] offset:30720
.LBB813_36:                             ;   in Loop: Header=BB813_16 Depth=2
	s_wait_alu 0xfffe
	s_or_b32 exec_lo, exec_lo, s10
	s_wait_loadcnt 0x0
	v_dual_mov_b32 v39, v37 :: v_dual_mov_b32 v38, v36
	v_dual_mov_b32 v41, v35 :: v_dual_mov_b32 v40, v34
	;; [unrolled: 1-line block ×16, first 2 shown]
	s_mov_b32 s0, s8
.LBB813_37:                             ;   in Loop: Header=BB813_16 Depth=2
	s_wait_loadcnt 0x0
	s_delay_alu instid0(VALU_DEP_1)
	v_dual_mov_b32 v6, v68 :: v_dual_mov_b32 v7, v69
	v_dual_mov_b32 v8, v66 :: v_dual_mov_b32 v9, v67
	;; [unrolled: 1-line block ×16, first 2 shown]
	s_mov_b32 s1, exec_lo
	s_wait_alu 0xfffe
	v_cmpx_gt_u32_e64 s0, v1
	s_cbranch_execnz .LBB813_53
; %bb.38:                               ;   in Loop: Header=BB813_16 Depth=2
	s_or_b32 exec_lo, exec_lo, s1
	s_delay_alu instid0(SALU_CYCLE_1)
	s_mov_b32 s1, exec_lo
	v_cmpx_gt_u32_e64 s0, v79
	s_cbranch_execnz .LBB813_54
.LBB813_39:                             ;   in Loop: Header=BB813_16 Depth=2
	s_wait_alu 0xfffe
	s_or_b32 exec_lo, exec_lo, s1
	s_delay_alu instid0(SALU_CYCLE_1)
	s_mov_b32 s1, exec_lo
	v_cmpx_gt_u32_e64 s0, v80
	s_cbranch_execnz .LBB813_55
.LBB813_40:                             ;   in Loop: Header=BB813_16 Depth=2
	s_wait_alu 0xfffe
	s_or_b32 exec_lo, exec_lo, s1
	s_delay_alu instid0(SALU_CYCLE_1)
	s_mov_b32 s1, exec_lo
	v_cmpx_gt_u32_e64 s0, v81
	s_cbranch_execnz .LBB813_56
.LBB813_41:                             ;   in Loop: Header=BB813_16 Depth=2
	s_wait_alu 0xfffe
	s_or_b32 exec_lo, exec_lo, s1
	s_delay_alu instid0(SALU_CYCLE_1)
	s_mov_b32 s1, exec_lo
	v_cmpx_gt_u32_e64 s0, v84
	s_cbranch_execnz .LBB813_57
.LBB813_42:                             ;   in Loop: Header=BB813_16 Depth=2
	s_wait_alu 0xfffe
	s_or_b32 exec_lo, exec_lo, s1
	s_delay_alu instid0(SALU_CYCLE_1)
	s_mov_b32 s1, exec_lo
	v_cmpx_gt_u32_e64 s0, v85
	s_cbranch_execnz .LBB813_58
.LBB813_43:                             ;   in Loop: Header=BB813_16 Depth=2
	s_wait_alu 0xfffe
	s_or_b32 exec_lo, exec_lo, s1
	s_delay_alu instid0(SALU_CYCLE_1)
	s_mov_b32 s1, exec_lo
	v_cmpx_gt_u32_e64 s0, v86
	s_cbranch_execnz .LBB813_59
.LBB813_44:                             ;   in Loop: Header=BB813_16 Depth=2
	s_wait_alu 0xfffe
	s_or_b32 exec_lo, exec_lo, s1
	s_delay_alu instid0(SALU_CYCLE_1)
	s_mov_b32 s1, exec_lo
	v_cmpx_gt_u32_e64 s0, v87
	s_cbranch_execnz .LBB813_60
.LBB813_45:                             ;   in Loop: Header=BB813_16 Depth=2
	s_wait_alu 0xfffe
	s_or_b32 exec_lo, exec_lo, s1
	s_delay_alu instid0(SALU_CYCLE_1)
	s_mov_b32 s1, exec_lo
	v_cmpx_gt_u32_e64 s0, v88
	s_cbranch_execnz .LBB813_61
.LBB813_46:                             ;   in Loop: Header=BB813_16 Depth=2
	s_wait_alu 0xfffe
	s_or_b32 exec_lo, exec_lo, s1
	s_delay_alu instid0(SALU_CYCLE_1)
	s_mov_b32 s1, exec_lo
	v_cmpx_gt_u32_e64 s0, v89
	s_cbranch_execnz .LBB813_62
.LBB813_47:                             ;   in Loop: Header=BB813_16 Depth=2
	s_wait_alu 0xfffe
	s_or_b32 exec_lo, exec_lo, s1
	s_delay_alu instid0(SALU_CYCLE_1)
	s_mov_b32 s1, exec_lo
	v_cmpx_gt_u32_e64 s0, v90
	s_cbranch_execnz .LBB813_63
.LBB813_48:                             ;   in Loop: Header=BB813_16 Depth=2
	s_wait_alu 0xfffe
	s_or_b32 exec_lo, exec_lo, s1
	s_delay_alu instid0(SALU_CYCLE_1)
	s_mov_b32 s1, exec_lo
	v_cmpx_gt_u32_e64 s0, v91
	s_cbranch_execnz .LBB813_64
.LBB813_49:                             ;   in Loop: Header=BB813_16 Depth=2
	s_wait_alu 0xfffe
	s_or_b32 exec_lo, exec_lo, s1
	s_delay_alu instid0(SALU_CYCLE_1)
	s_mov_b32 s1, exec_lo
	v_cmpx_gt_u32_e64 s0, v92
	s_cbranch_execnz .LBB813_65
.LBB813_50:                             ;   in Loop: Header=BB813_16 Depth=2
	s_wait_alu 0xfffe
	s_or_b32 exec_lo, exec_lo, s1
	s_delay_alu instid0(SALU_CYCLE_1)
	s_mov_b32 s1, exec_lo
	v_cmpx_gt_u32_e64 s0, v93
	s_cbranch_execnz .LBB813_66
.LBB813_51:                             ;   in Loop: Header=BB813_16 Depth=2
	s_wait_alu 0xfffe
	s_or_b32 exec_lo, exec_lo, s1
	s_delay_alu instid0(SALU_CYCLE_1)
	s_mov_b32 s1, exec_lo
	v_cmpx_gt_u32_e64 s0, v94
	s_cbranch_execnz .LBB813_67
.LBB813_52:                             ;   in Loop: Header=BB813_16 Depth=2
	s_wait_alu 0xfffe
	s_or_b32 exec_lo, exec_lo, s1
	v_cmp_gt_u32_e32 vcc_lo, s0, v95
	s_and_saveexec_b32 s0, vcc_lo
	s_cbranch_execz .LBB813_15
	s_branch .LBB813_68
.LBB813_53:                             ;   in Loop: Header=BB813_16 Depth=2
	v_xor_b32_e32 v39, 0x80000000, v37
	v_mov_b32_e32 v38, v36
	s_delay_alu instid0(VALU_DEP_1) | instskip(NEXT) | instid1(VALU_DEP_1)
	v_lshrrev_b64 v[38:39], s48, v[38:39]
	v_and_b32_e32 v2, s55, v38
	s_delay_alu instid0(VALU_DEP_1) | instskip(SKIP_2) | instid1(SALU_CYCLE_1)
	v_lshl_or_b32 v2, v2, 4, v96
	ds_add_u32 v2, v123
	s_or_b32 exec_lo, exec_lo, s1
	s_mov_b32 s1, exec_lo
	v_cmpx_gt_u32_e64 s0, v79
	s_cbranch_execz .LBB813_39
.LBB813_54:                             ;   in Loop: Header=BB813_16 Depth=2
	v_xor_b32_e32 v39, 0x80000000, v35
	v_mov_b32_e32 v38, v34
	s_delay_alu instid0(VALU_DEP_1) | instskip(NEXT) | instid1(VALU_DEP_1)
	v_lshrrev_b64 v[38:39], s48, v[38:39]
	v_and_b32_e32 v2, s55, v38
	s_delay_alu instid0(VALU_DEP_1) | instskip(SKIP_3) | instid1(SALU_CYCLE_1)
	v_lshl_or_b32 v2, v2, 4, v96
	ds_add_u32 v2, v123
	s_wait_alu 0xfffe
	s_or_b32 exec_lo, exec_lo, s1
	s_mov_b32 s1, exec_lo
	v_cmpx_gt_u32_e64 s0, v80
	s_cbranch_execz .LBB813_40
.LBB813_55:                             ;   in Loop: Header=BB813_16 Depth=2
	v_xor_b32_e32 v39, 0x80000000, v33
	v_mov_b32_e32 v38, v32
	s_delay_alu instid0(VALU_DEP_1) | instskip(NEXT) | instid1(VALU_DEP_1)
	v_lshrrev_b64 v[38:39], s48, v[38:39]
	v_and_b32_e32 v2, s55, v38
	s_delay_alu instid0(VALU_DEP_1) | instskip(SKIP_3) | instid1(SALU_CYCLE_1)
	v_lshl_or_b32 v2, v2, 4, v96
	ds_add_u32 v2, v123
	s_wait_alu 0xfffe
	s_or_b32 exec_lo, exec_lo, s1
	s_mov_b32 s1, exec_lo
	v_cmpx_gt_u32_e64 s0, v81
	s_cbranch_execz .LBB813_41
.LBB813_56:                             ;   in Loop: Header=BB813_16 Depth=2
	v_xor_b32_e32 v39, 0x80000000, v31
	v_mov_b32_e32 v38, v30
	s_delay_alu instid0(VALU_DEP_1) | instskip(NEXT) | instid1(VALU_DEP_1)
	v_lshrrev_b64 v[38:39], s48, v[38:39]
	v_and_b32_e32 v2, s55, v38
	s_delay_alu instid0(VALU_DEP_1) | instskip(SKIP_3) | instid1(SALU_CYCLE_1)
	v_lshl_or_b32 v2, v2, 4, v96
	ds_add_u32 v2, v123
	s_wait_alu 0xfffe
	s_or_b32 exec_lo, exec_lo, s1
	s_mov_b32 s1, exec_lo
	v_cmpx_gt_u32_e64 s0, v84
	s_cbranch_execz .LBB813_42
.LBB813_57:                             ;   in Loop: Header=BB813_16 Depth=2
	v_xor_b32_e32 v39, 0x80000000, v29
	v_mov_b32_e32 v38, v28
	s_delay_alu instid0(VALU_DEP_1) | instskip(NEXT) | instid1(VALU_DEP_1)
	v_lshrrev_b64 v[38:39], s48, v[38:39]
	v_and_b32_e32 v2, s55, v38
	s_delay_alu instid0(VALU_DEP_1) | instskip(SKIP_3) | instid1(SALU_CYCLE_1)
	v_lshl_or_b32 v2, v2, 4, v96
	ds_add_u32 v2, v123
	s_wait_alu 0xfffe
	s_or_b32 exec_lo, exec_lo, s1
	s_mov_b32 s1, exec_lo
	v_cmpx_gt_u32_e64 s0, v85
	s_cbranch_execz .LBB813_43
.LBB813_58:                             ;   in Loop: Header=BB813_16 Depth=2
	v_xor_b32_e32 v39, 0x80000000, v27
	v_mov_b32_e32 v38, v26
	s_delay_alu instid0(VALU_DEP_1) | instskip(NEXT) | instid1(VALU_DEP_1)
	v_lshrrev_b64 v[38:39], s48, v[38:39]
	v_and_b32_e32 v2, s55, v38
	s_delay_alu instid0(VALU_DEP_1) | instskip(SKIP_3) | instid1(SALU_CYCLE_1)
	v_lshl_or_b32 v2, v2, 4, v96
	ds_add_u32 v2, v123
	s_wait_alu 0xfffe
	s_or_b32 exec_lo, exec_lo, s1
	s_mov_b32 s1, exec_lo
	v_cmpx_gt_u32_e64 s0, v86
	s_cbranch_execz .LBB813_44
.LBB813_59:                             ;   in Loop: Header=BB813_16 Depth=2
	v_xor_b32_e32 v39, 0x80000000, v25
	v_mov_b32_e32 v38, v24
	s_delay_alu instid0(VALU_DEP_1) | instskip(NEXT) | instid1(VALU_DEP_1)
	v_lshrrev_b64 v[38:39], s48, v[38:39]
	v_and_b32_e32 v2, s55, v38
	s_delay_alu instid0(VALU_DEP_1) | instskip(SKIP_3) | instid1(SALU_CYCLE_1)
	v_lshl_or_b32 v2, v2, 4, v96
	ds_add_u32 v2, v123
	s_wait_alu 0xfffe
	s_or_b32 exec_lo, exec_lo, s1
	s_mov_b32 s1, exec_lo
	v_cmpx_gt_u32_e64 s0, v87
	s_cbranch_execz .LBB813_45
.LBB813_60:                             ;   in Loop: Header=BB813_16 Depth=2
	v_xor_b32_e32 v39, 0x80000000, v23
	v_mov_b32_e32 v38, v22
	s_delay_alu instid0(VALU_DEP_1) | instskip(NEXT) | instid1(VALU_DEP_1)
	v_lshrrev_b64 v[38:39], s48, v[38:39]
	v_and_b32_e32 v2, s55, v38
	s_delay_alu instid0(VALU_DEP_1) | instskip(SKIP_3) | instid1(SALU_CYCLE_1)
	v_lshl_or_b32 v2, v2, 4, v96
	ds_add_u32 v2, v123
	s_wait_alu 0xfffe
	s_or_b32 exec_lo, exec_lo, s1
	s_mov_b32 s1, exec_lo
	v_cmpx_gt_u32_e64 s0, v88
	s_cbranch_execz .LBB813_46
.LBB813_61:                             ;   in Loop: Header=BB813_16 Depth=2
	v_xor_b32_e32 v39, 0x80000000, v21
	v_mov_b32_e32 v38, v20
	s_delay_alu instid0(VALU_DEP_1) | instskip(NEXT) | instid1(VALU_DEP_1)
	v_lshrrev_b64 v[38:39], s48, v[38:39]
	v_and_b32_e32 v2, s55, v38
	s_delay_alu instid0(VALU_DEP_1) | instskip(SKIP_3) | instid1(SALU_CYCLE_1)
	v_lshl_or_b32 v2, v2, 4, v96
	ds_add_u32 v2, v123
	s_wait_alu 0xfffe
	s_or_b32 exec_lo, exec_lo, s1
	s_mov_b32 s1, exec_lo
	v_cmpx_gt_u32_e64 s0, v89
	s_cbranch_execz .LBB813_47
.LBB813_62:                             ;   in Loop: Header=BB813_16 Depth=2
	v_xor_b32_e32 v39, 0x80000000, v19
	v_mov_b32_e32 v38, v18
	s_delay_alu instid0(VALU_DEP_1) | instskip(NEXT) | instid1(VALU_DEP_1)
	v_lshrrev_b64 v[38:39], s48, v[38:39]
	v_and_b32_e32 v2, s55, v38
	s_delay_alu instid0(VALU_DEP_1) | instskip(SKIP_3) | instid1(SALU_CYCLE_1)
	v_lshl_or_b32 v2, v2, 4, v96
	ds_add_u32 v2, v123
	s_wait_alu 0xfffe
	s_or_b32 exec_lo, exec_lo, s1
	s_mov_b32 s1, exec_lo
	v_cmpx_gt_u32_e64 s0, v90
	s_cbranch_execz .LBB813_48
.LBB813_63:                             ;   in Loop: Header=BB813_16 Depth=2
	v_xor_b32_e32 v39, 0x80000000, v17
	v_mov_b32_e32 v38, v16
	s_delay_alu instid0(VALU_DEP_1) | instskip(NEXT) | instid1(VALU_DEP_1)
	v_lshrrev_b64 v[38:39], s48, v[38:39]
	v_and_b32_e32 v2, s55, v38
	s_delay_alu instid0(VALU_DEP_1) | instskip(SKIP_3) | instid1(SALU_CYCLE_1)
	v_lshl_or_b32 v2, v2, 4, v96
	ds_add_u32 v2, v123
	s_wait_alu 0xfffe
	s_or_b32 exec_lo, exec_lo, s1
	s_mov_b32 s1, exec_lo
	v_cmpx_gt_u32_e64 s0, v91
	s_cbranch_execz .LBB813_49
.LBB813_64:                             ;   in Loop: Header=BB813_16 Depth=2
	v_xor_b32_e32 v39, 0x80000000, v15
	v_mov_b32_e32 v38, v14
	s_delay_alu instid0(VALU_DEP_1) | instskip(NEXT) | instid1(VALU_DEP_1)
	v_lshrrev_b64 v[38:39], s48, v[38:39]
	v_and_b32_e32 v2, s55, v38
	s_delay_alu instid0(VALU_DEP_1) | instskip(SKIP_3) | instid1(SALU_CYCLE_1)
	v_lshl_or_b32 v2, v2, 4, v96
	ds_add_u32 v2, v123
	s_wait_alu 0xfffe
	s_or_b32 exec_lo, exec_lo, s1
	s_mov_b32 s1, exec_lo
	v_cmpx_gt_u32_e64 s0, v92
	s_cbranch_execz .LBB813_50
.LBB813_65:                             ;   in Loop: Header=BB813_16 Depth=2
	v_xor_b32_e32 v39, 0x80000000, v13
	v_mov_b32_e32 v38, v12
	s_delay_alu instid0(VALU_DEP_1) | instskip(NEXT) | instid1(VALU_DEP_1)
	v_lshrrev_b64 v[38:39], s48, v[38:39]
	v_and_b32_e32 v2, s55, v38
	s_delay_alu instid0(VALU_DEP_1) | instskip(SKIP_3) | instid1(SALU_CYCLE_1)
	v_lshl_or_b32 v2, v2, 4, v96
	ds_add_u32 v2, v123
	s_wait_alu 0xfffe
	s_or_b32 exec_lo, exec_lo, s1
	s_mov_b32 s1, exec_lo
	v_cmpx_gt_u32_e64 s0, v93
	s_cbranch_execz .LBB813_51
.LBB813_66:                             ;   in Loop: Header=BB813_16 Depth=2
	v_xor_b32_e32 v39, 0x80000000, v11
	v_mov_b32_e32 v38, v10
	s_delay_alu instid0(VALU_DEP_1) | instskip(NEXT) | instid1(VALU_DEP_1)
	v_lshrrev_b64 v[38:39], s48, v[38:39]
	v_and_b32_e32 v2, s55, v38
	s_delay_alu instid0(VALU_DEP_1) | instskip(SKIP_3) | instid1(SALU_CYCLE_1)
	v_lshl_or_b32 v2, v2, 4, v96
	ds_add_u32 v2, v123
	s_wait_alu 0xfffe
	s_or_b32 exec_lo, exec_lo, s1
	s_mov_b32 s1, exec_lo
	v_cmpx_gt_u32_e64 s0, v94
	s_cbranch_execz .LBB813_52
.LBB813_67:                             ;   in Loop: Header=BB813_16 Depth=2
	v_xor_b32_e32 v39, 0x80000000, v9
	v_mov_b32_e32 v38, v8
	s_delay_alu instid0(VALU_DEP_1) | instskip(NEXT) | instid1(VALU_DEP_1)
	v_lshrrev_b64 v[38:39], s48, v[38:39]
	v_and_b32_e32 v2, s55, v38
	s_delay_alu instid0(VALU_DEP_1)
	v_lshl_or_b32 v2, v2, 4, v96
	ds_add_u32 v2, v123
	s_wait_alu 0xfffe
	s_or_b32 exec_lo, exec_lo, s1
	v_cmp_gt_u32_e32 vcc_lo, s0, v95
	s_and_saveexec_b32 s0, vcc_lo
	s_cbranch_execz .LBB813_15
.LBB813_68:                             ;   in Loop: Header=BB813_16 Depth=2
	v_xor_b32_e32 v39, 0x80000000, v7
	v_mov_b32_e32 v38, v6
	s_delay_alu instid0(VALU_DEP_1) | instskip(NEXT) | instid1(VALU_DEP_1)
	v_lshrrev_b64 v[38:39], s48, v[38:39]
	v_and_b32_e32 v2, s55, v38
	s_delay_alu instid0(VALU_DEP_1)
	v_lshl_or_b32 v2, v2, 4, v96
	ds_add_u32 v2, v123
	s_branch .LBB813_15
.LBB813_69:                             ;   in Loop: Header=BB813_16 Depth=2
	global_load_b64 v[36:37], v124, s[0:1]
	s_or_b32 exec_lo, exec_lo, s10
	s_delay_alu instid0(SALU_CYCLE_1)
	s_mov_b32 s10, exec_lo
	v_cmpx_gt_u32_e64 s8, v79
	s_cbranch_execz .LBB813_21
.LBB813_70:                             ;   in Loop: Header=BB813_16 Depth=2
	global_load_b64 v[34:35], v124, s[0:1] offset:2048
	s_wait_alu 0xfffe
	s_or_b32 exec_lo, exec_lo, s10
	s_delay_alu instid0(SALU_CYCLE_1)
	s_mov_b32 s10, exec_lo
	v_cmpx_gt_u32_e64 s8, v80
	s_cbranch_execz .LBB813_22
.LBB813_71:                             ;   in Loop: Header=BB813_16 Depth=2
	global_load_b64 v[32:33], v124, s[0:1] offset:4096
	s_wait_alu 0xfffe
	s_or_b32 exec_lo, exec_lo, s10
	s_delay_alu instid0(SALU_CYCLE_1)
	s_mov_b32 s10, exec_lo
	v_cmpx_gt_u32_e64 s8, v81
	s_cbranch_execz .LBB813_23
.LBB813_72:                             ;   in Loop: Header=BB813_16 Depth=2
	global_load_b64 v[30:31], v124, s[0:1] offset:6144
	s_wait_alu 0xfffe
	s_or_b32 exec_lo, exec_lo, s10
	s_delay_alu instid0(SALU_CYCLE_1)
	s_mov_b32 s10, exec_lo
	v_cmpx_gt_u32_e64 s8, v84
	s_cbranch_execz .LBB813_24
.LBB813_73:                             ;   in Loop: Header=BB813_16 Depth=2
	global_load_b64 v[28:29], v124, s[0:1] offset:8192
	s_wait_alu 0xfffe
	s_or_b32 exec_lo, exec_lo, s10
	s_delay_alu instid0(SALU_CYCLE_1)
	s_mov_b32 s10, exec_lo
	v_cmpx_gt_u32_e64 s8, v85
	s_cbranch_execz .LBB813_25
.LBB813_74:                             ;   in Loop: Header=BB813_16 Depth=2
	global_load_b64 v[26:27], v124, s[0:1] offset:10240
	s_wait_alu 0xfffe
	s_or_b32 exec_lo, exec_lo, s10
	s_delay_alu instid0(SALU_CYCLE_1)
	s_mov_b32 s10, exec_lo
	v_cmpx_gt_u32_e64 s8, v86
	s_cbranch_execz .LBB813_26
.LBB813_75:                             ;   in Loop: Header=BB813_16 Depth=2
	global_load_b64 v[24:25], v124, s[0:1] offset:12288
	s_wait_alu 0xfffe
	s_or_b32 exec_lo, exec_lo, s10
	s_delay_alu instid0(SALU_CYCLE_1)
	s_mov_b32 s10, exec_lo
	v_cmpx_gt_u32_e64 s8, v87
	s_cbranch_execz .LBB813_27
.LBB813_76:                             ;   in Loop: Header=BB813_16 Depth=2
	global_load_b64 v[22:23], v124, s[0:1] offset:14336
	s_wait_alu 0xfffe
	s_or_b32 exec_lo, exec_lo, s10
	s_delay_alu instid0(SALU_CYCLE_1)
	s_mov_b32 s10, exec_lo
	v_cmpx_gt_u32_e64 s8, v88
	s_cbranch_execz .LBB813_28
.LBB813_77:                             ;   in Loop: Header=BB813_16 Depth=2
	global_load_b64 v[20:21], v124, s[0:1] offset:16384
	s_wait_alu 0xfffe
	s_or_b32 exec_lo, exec_lo, s10
	s_delay_alu instid0(SALU_CYCLE_1)
	s_mov_b32 s10, exec_lo
	v_cmpx_gt_u32_e64 s8, v89
	s_cbranch_execz .LBB813_29
.LBB813_78:                             ;   in Loop: Header=BB813_16 Depth=2
	global_load_b64 v[18:19], v124, s[0:1] offset:18432
	s_wait_alu 0xfffe
	s_or_b32 exec_lo, exec_lo, s10
	s_delay_alu instid0(SALU_CYCLE_1)
	s_mov_b32 s10, exec_lo
	v_cmpx_gt_u32_e64 s8, v90
	s_cbranch_execz .LBB813_30
.LBB813_79:                             ;   in Loop: Header=BB813_16 Depth=2
	global_load_b64 v[16:17], v124, s[0:1] offset:20480
	s_wait_alu 0xfffe
	s_or_b32 exec_lo, exec_lo, s10
	s_delay_alu instid0(SALU_CYCLE_1)
	s_mov_b32 s10, exec_lo
	v_cmpx_gt_u32_e64 s8, v91
	s_cbranch_execz .LBB813_31
.LBB813_80:                             ;   in Loop: Header=BB813_16 Depth=2
	global_load_b64 v[14:15], v124, s[0:1] offset:22528
	s_wait_alu 0xfffe
	s_or_b32 exec_lo, exec_lo, s10
	s_delay_alu instid0(SALU_CYCLE_1)
	s_mov_b32 s10, exec_lo
	v_cmpx_gt_u32_e64 s8, v92
	s_cbranch_execz .LBB813_32
.LBB813_81:                             ;   in Loop: Header=BB813_16 Depth=2
	global_load_b64 v[12:13], v124, s[0:1] offset:24576
	s_wait_alu 0xfffe
	s_or_b32 exec_lo, exec_lo, s10
	s_delay_alu instid0(SALU_CYCLE_1)
	s_mov_b32 s10, exec_lo
	v_cmpx_gt_u32_e64 s8, v93
	s_cbranch_execz .LBB813_33
.LBB813_82:                             ;   in Loop: Header=BB813_16 Depth=2
	global_load_b64 v[10:11], v124, s[0:1] offset:26624
	s_wait_alu 0xfffe
	s_or_b32 exec_lo, exec_lo, s10
	s_delay_alu instid0(SALU_CYCLE_1)
	s_mov_b32 s10, exec_lo
	v_cmpx_gt_u32_e64 s8, v94
	s_cbranch_execz .LBB813_34
.LBB813_83:                             ;   in Loop: Header=BB813_16 Depth=2
	global_load_b64 v[8:9], v124, s[0:1] offset:28672
	s_wait_alu 0xfffe
	s_or_b32 exec_lo, exec_lo, s10
	s_delay_alu instid0(SALU_CYCLE_1)
	s_mov_b32 s10, exec_lo
	v_cmpx_gt_u32_e64 s8, v95
	s_cbranch_execnz .LBB813_35
	s_branch .LBB813_36
.LBB813_84:                             ;   in Loop: Header=BB813_12 Depth=1
	v_mov_b32_e32 v2, 0
	s_wait_dscnt 0x0
	s_barrier_signal -1
	s_barrier_wait -1
	global_inv scope:SCOPE_SE
	s_and_saveexec_b32 s0, s2
	s_cbranch_execz .LBB813_86
; %bb.85:                               ;   in Loop: Header=BB813_12 Depth=1
	ds_load_2addr_b64 v[6:9], v98 offset1:1
	s_wait_dscnt 0x0
	v_add_nc_u32_e32 v2, v7, v6
	s_delay_alu instid0(VALU_DEP_1)
	v_add3_u32 v2, v2, v8, v9
.LBB813_86:                             ;   in Loop: Header=BB813_12 Depth=1
	s_wait_alu 0xfffe
	s_or_b32 exec_lo, exec_lo, s0
	v_and_b32_e32 v6, 15, v125
	s_delay_alu instid0(VALU_DEP_2) | instskip(SKIP_1) | instid1(VALU_DEP_3)
	v_mov_b32_dpp v7, v2 row_shr:1 row_mask:0xf bank_mask:0xf
	v_and_b32_e32 v8, 16, v125
	v_cmp_eq_u32_e64 s0, 0, v6
	v_cmp_lt_u32_e64 s1, 1, v6
	v_cmp_lt_u32_e64 s8, 3, v6
	;; [unrolled: 1-line block ×3, first 2 shown]
	v_cmp_eq_u32_e64 s10, 0, v8
	s_wait_alu 0xf1ff
	v_cndmask_b32_e64 v7, v7, 0, s0
	s_delay_alu instid0(VALU_DEP_1) | instskip(NEXT) | instid1(VALU_DEP_1)
	v_add_nc_u32_e32 v2, v7, v2
	v_mov_b32_dpp v7, v2 row_shr:2 row_mask:0xf bank_mask:0xf
	s_delay_alu instid0(VALU_DEP_1) | instskip(NEXT) | instid1(VALU_DEP_1)
	v_cndmask_b32_e64 v7, 0, v7, s1
	v_add_nc_u32_e32 v2, v2, v7
	s_delay_alu instid0(VALU_DEP_1) | instskip(NEXT) | instid1(VALU_DEP_1)
	v_mov_b32_dpp v7, v2 row_shr:4 row_mask:0xf bank_mask:0xf
	v_cndmask_b32_e64 v7, 0, v7, s8
	s_delay_alu instid0(VALU_DEP_1) | instskip(NEXT) | instid1(VALU_DEP_1)
	v_add_nc_u32_e32 v2, v2, v7
	v_mov_b32_dpp v7, v2 row_shr:8 row_mask:0xf bank_mask:0xf
	s_delay_alu instid0(VALU_DEP_1) | instskip(SKIP_1) | instid1(VALU_DEP_2)
	v_cndmask_b32_e64 v6, 0, v7, s9
	v_bfe_i32 v7, v125, 4, 1
	v_add_nc_u32_e32 v2, v2, v6
	ds_swizzle_b32 v6, v2 offset:swizzle(BROADCAST,32,15)
	s_wait_dscnt 0x0
	v_and_b32_e32 v6, v7, v6
	s_delay_alu instid0(VALU_DEP_1)
	v_add_nc_u32_e32 v6, v2, v6
	s_and_saveexec_b32 s11, s3
; %bb.87:                               ;   in Loop: Header=BB813_12 Depth=1
	ds_store_b32 v99, v6
; %bb.88:                               ;   in Loop: Header=BB813_12 Depth=1
	s_wait_alu 0xfffe
	s_or_b32 exec_lo, exec_lo, s11
	v_and_b32_e32 v2, 7, v125
	s_wait_loadcnt_dscnt 0x0
	s_barrier_signal -1
	s_barrier_wait -1
	global_inv scope:SCOPE_SE
	s_and_saveexec_b32 s11, s4
	s_cbranch_execz .LBB813_90
; %bb.89:                               ;   in Loop: Header=BB813_12 Depth=1
	ds_load_b32 v7, v100
	v_cmp_ne_u32_e32 vcc_lo, 0, v2
	s_wait_dscnt 0x0
	v_mov_b32_dpp v8, v7 row_shr:1 row_mask:0xf bank_mask:0xf
	s_wait_alu 0xfffd
	s_delay_alu instid0(VALU_DEP_1) | instskip(SKIP_1) | instid1(VALU_DEP_2)
	v_cndmask_b32_e32 v8, 0, v8, vcc_lo
	v_cmp_lt_u32_e32 vcc_lo, 1, v2
	v_add_nc_u32_e32 v7, v8, v7
	s_delay_alu instid0(VALU_DEP_1) | instskip(SKIP_1) | instid1(VALU_DEP_1)
	v_mov_b32_dpp v8, v7 row_shr:2 row_mask:0xf bank_mask:0xf
	s_wait_alu 0xfffd
	v_cndmask_b32_e32 v8, 0, v8, vcc_lo
	v_cmp_lt_u32_e32 vcc_lo, 3, v2
	s_delay_alu instid0(VALU_DEP_2) | instskip(NEXT) | instid1(VALU_DEP_1)
	v_add_nc_u32_e32 v7, v7, v8
	v_mov_b32_dpp v8, v7 row_shr:4 row_mask:0xf bank_mask:0xf
	s_wait_alu 0xfffd
	s_delay_alu instid0(VALU_DEP_1) | instskip(NEXT) | instid1(VALU_DEP_1)
	v_cndmask_b32_e32 v8, 0, v8, vcc_lo
	v_add_nc_u32_e32 v7, v7, v8
	ds_store_b32 v100, v7
.LBB813_90:                             ;   in Loop: Header=BB813_12 Depth=1
	s_wait_alu 0xfffe
	s_or_b32 exec_lo, exec_lo, s11
	v_mov_b32_e32 v7, 0
	s_wait_loadcnt_dscnt 0x0
	s_barrier_signal -1
	s_barrier_wait -1
	global_inv scope:SCOPE_SE
	s_and_saveexec_b32 s11, s5
; %bb.91:                               ;   in Loop: Header=BB813_12 Depth=1
	ds_load_b32 v7, v103
; %bb.92:                               ;   in Loop: Header=BB813_12 Depth=1
	s_wait_alu 0xfffe
	s_or_b32 exec_lo, exec_lo, s11
	v_sub_co_u32 v8, s11, v125, 1
	s_wait_dscnt 0x0
	v_add_nc_u32_e32 v6, v7, v6
	s_wait_loadcnt 0x0
	s_barrier_signal -1
	v_cmp_gt_i32_e32 vcc_lo, 0, v8
	s_barrier_wait -1
	global_inv scope:SCOPE_SE
	s_wait_alu 0xfffd
	v_cndmask_b32_e32 v8, v8, v125, vcc_lo
	s_delay_alu instid0(VALU_DEP_1)
	v_lshlrev_b32_e32 v126, 2, v8
	ds_bpermute_b32 v6, v126, v6
	s_and_saveexec_b32 s12, s2
	s_cbranch_execz .LBB813_94
; %bb.93:                               ;   in Loop: Header=BB813_12 Depth=1
	s_wait_dscnt 0x0
	v_cndmask_b32_e64 v6, v6, v7, s11
	s_delay_alu instid0(VALU_DEP_1)
	v_add_nc_u32_e32 v6, s33, v6
	ds_store_b32 v78, v6
.LBB813_94:                             ;   in Loop: Header=BB813_12 Depth=1
	s_wait_alu 0xfffe
	s_or_b32 exec_lo, exec_lo, s12
	s_clause 0x1
	s_load_b32 s12, s[42:43], 0x4
	s_load_b32 s15, s[42:43], 0xc
	v_cmp_lt_u32_e64 s14, 3, v2
	v_lshlrev_b32_e32 v8, 3, v125
	v_or_b32_e32 v127, v125, v101
	s_mov_b32 s56, s53
                                        ; implicit-def: $vgpr10_vgpr11
                                        ; implicit-def: $vgpr12_vgpr13
                                        ; implicit-def: $vgpr14_vgpr15
                                        ; implicit-def: $vgpr16_vgpr17
                                        ; implicit-def: $vgpr18_vgpr19
                                        ; implicit-def: $vgpr20_vgpr21
                                        ; implicit-def: $vgpr22_vgpr23
                                        ; implicit-def: $vgpr24_vgpr25
                                        ; implicit-def: $vgpr26_vgpr27
                                        ; implicit-def: $vgpr28_vgpr29
                                        ; implicit-def: $vgpr30_vgpr31
                                        ; implicit-def: $vgpr32_vgpr33
                                        ; implicit-def: $vgpr34_vgpr35
                                        ; implicit-def: $vgpr36_vgpr37
                                        ; implicit-def: $vgpr148
                                        ; implicit-def: $vgpr149
                                        ; implicit-def: $vgpr150
                                        ; implicit-def: $vgpr151
                                        ; implicit-def: $vgpr152
                                        ; implicit-def: $vgpr153
                                        ; implicit-def: $vgpr154
                                        ; implicit-def: $vgpr155
                                        ; implicit-def: $vgpr156
                                        ; implicit-def: $vgpr157
                                        ; implicit-def: $vgpr158
                                        ; implicit-def: $vgpr159
                                        ; implicit-def: $vgpr160
                                        ; implicit-def: $vgpr161
                                        ; implicit-def: $vgpr162
                                        ; implicit-def: $vgpr163
	s_delay_alu instid0(VALU_DEP_2)
	v_add_co_u32 v128, vcc_lo, v106, v8
	s_wait_alu 0xfffd
	v_add_co_ci_u32_e64 v129, null, 0, v107, vcc_lo
	v_add_co_u32 v145, vcc_lo, v108, v8
	v_or_b32_e32 v130, 32, v127
	v_or_b32_e32 v131, 64, v127
	;; [unrolled: 1-line block ×6, first 2 shown]
	s_wait_kmcnt 0x0
	s_cmp_lt_u32 ttmp7, s12
	v_or_b32_e32 v136, 0xe0, v127
	s_cselect_b32 s34, 14, 20
	s_and_b32 s15, s15, 0xffff
	s_wait_alu 0xfffe
	s_add_nc_u64 s[12:13], s[42:43], s[34:35]
	v_or_b32_e32 v137, 0x100, v127
	s_load_u16 s16, s[12:13], 0x0
	v_cmp_eq_u32_e64 s12, 0, v2
	v_cmp_lt_u32_e64 s13, 1, v2
	v_or_b32_e32 v138, 0x120, v127
	v_or_b32_e32 v139, 0x140, v127
	;; [unrolled: 1-line block ×7, first 2 shown]
	v_add_co_ci_u32_e64 v146, null, 0, v109, vcc_lo
	s_mov_b32 s34, s33
                                        ; implicit-def: $vgpr8_vgpr9
	s_wait_kmcnt 0x0
	v_mad_u32_u24 v2, v104, s16, v0
	s_wait_dscnt 0x0
	s_delay_alu instid0(VALU_DEP_1) | instskip(NEXT) | instid1(VALU_DEP_1)
	v_mad_co_u64_u32 v[6:7], null, v2, s15, v[1:2]
	v_lshrrev_b32_e32 v2, 3, v6
                                        ; implicit-def: $vgpr6_vgpr7
	s_delay_alu instid0(VALU_DEP_1)
	v_and_b32_e32 v147, 0x1ffffffc, v2
	s_branch .LBB813_96
.LBB813_95:                             ;   in Loop: Header=BB813_96 Depth=2
	s_wait_alu 0xfffe
	s_or_b32 exec_lo, exec_lo, s15
	s_addk_co_i32 s56, 0xf000
	s_cmp_lt_u32 s57, s51
	s_mov_b32 s34, s57
	s_cbranch_scc0 .LBB813_304
.LBB813_96:                             ;   Parent Loop BB813_12 Depth=1
                                        ; =>  This Inner Loop Header: Depth=2
	s_wait_alu 0xfffe
	s_add_co_i32 s57, s34, 0x1000
	s_wait_alu 0xfffe
	s_cmp_gt_u32 s57, s51
	s_cbranch_scc1 .LBB813_98
; %bb.97:                               ;   in Loop: Header=BB813_96 Depth=2
	s_lshl_b64 s[16:17], s[34:35], 3
	s_mov_b32 s15, -1
	s_wait_alu 0xfffe
	v_add_co_u32 v66, vcc_lo, v145, s16
	s_wait_alu 0xfffd
	v_add_co_ci_u32_e64 v67, null, s17, v146, vcc_lo
	s_clause 0xe
	global_load_b64 v[40:41], v[66:67], off
	global_load_b64 v[38:39], v[66:67], off offset:256
	global_load_b64 v[42:43], v[66:67], off offset:512
	;; [unrolled: 1-line block ×14, first 2 shown]
	s_movk_i32 s16, 0x1000
	s_cbranch_execz .LBB813_99
	s_branch .LBB813_130
.LBB813_98:                             ;   in Loop: Header=BB813_96 Depth=2
	s_mov_b32 s15, 0
                                        ; implicit-def: $vgpr40_vgpr41
                                        ; implicit-def: $vgpr38_vgpr39
                                        ; implicit-def: $vgpr42_vgpr43
                                        ; implicit-def: $vgpr44_vgpr45
                                        ; implicit-def: $vgpr46_vgpr47
                                        ; implicit-def: $vgpr50_vgpr51
                                        ; implicit-def: $vgpr48_vgpr49
                                        ; implicit-def: $vgpr52_vgpr53
                                        ; implicit-def: $vgpr54_vgpr55
                                        ; implicit-def: $vgpr56_vgpr57
                                        ; implicit-def: $vgpr60_vgpr61
                                        ; implicit-def: $vgpr58_vgpr59
                                        ; implicit-def: $vgpr62_vgpr63
                                        ; implicit-def: $vgpr64_vgpr65
                                        ; implicit-def: $vgpr66_vgpr67
	s_movk_i32 s16, 0x1000
.LBB813_99:                             ;   in Loop: Header=BB813_96 Depth=2
	s_wait_loadcnt 0xd
	v_dual_mov_b32 v38, v4 :: v_dual_mov_b32 v39, v5
	s_lshl_b64 s[16:17], s[34:35], 3
	s_mov_b32 s15, exec_lo
	s_wait_alu 0xfffe
	v_add_co_u32 v68, vcc_lo, v145, s16
	s_wait_alu 0xfffd
	v_add_co_ci_u32_e64 v69, null, s17, v146, vcc_lo
	v_dual_mov_b32 v41, v39 :: v_dual_mov_b32 v40, v38
	v_cmpx_gt_u32_e64 s56, v127
	s_cbranch_execz .LBB813_101
; %bb.100:                              ;   in Loop: Header=BB813_96 Depth=2
	global_load_b64 v[40:41], v[68:69], off
.LBB813_101:                            ;   in Loop: Header=BB813_96 Depth=2
	s_or_b32 exec_lo, exec_lo, s15
	s_delay_alu instid0(SALU_CYCLE_1)
	s_mov_b32 s15, exec_lo
	v_cmpx_gt_u32_e64 s56, v130
	s_cbranch_execz .LBB813_103
; %bb.102:                              ;   in Loop: Header=BB813_96 Depth=2
	global_load_b64 v[38:39], v[68:69], off offset:256
.LBB813_103:                            ;   in Loop: Header=BB813_96 Depth=2
	s_wait_alu 0xfffe
	s_or_b32 exec_lo, exec_lo, s15
	s_wait_loadcnt 0xc
	v_dual_mov_b32 v43, v5 :: v_dual_mov_b32 v42, v4
	s_mov_b32 s15, exec_lo
	v_cmpx_gt_u32_e64 s56, v131
	s_cbranch_execz .LBB813_105
; %bb.104:                              ;   in Loop: Header=BB813_96 Depth=2
	global_load_b64 v[42:43], v[68:69], off offset:512
.LBB813_105:                            ;   in Loop: Header=BB813_96 Depth=2
	s_wait_alu 0xfffe
	s_or_b32 exec_lo, exec_lo, s15
	s_wait_loadcnt 0xb
	v_dual_mov_b32 v45, v5 :: v_dual_mov_b32 v44, v4
	;; [unrolled: 10-line block ×13, first 2 shown]
	s_mov_b32 s15, exec_lo
	v_cmpx_gt_u32_e64 s56, v143
	s_cbranch_execz .LBB813_129
; %bb.128:                              ;   in Loop: Header=BB813_96 Depth=2
	global_load_b64 v[66:67], v[68:69], off offset:3584
.LBB813_129:                            ;   in Loop: Header=BB813_96 Depth=2
	s_wait_alu 0xfffe
	s_or_b32 exec_lo, exec_lo, s15
	v_cmp_gt_u32_e64 s15, s56, v144
	s_sub_co_i32 s16, s51, s34
.LBB813_130:                            ;   in Loop: Header=BB813_96 Depth=2
	v_mov_b32_e32 v68, -1
	v_dual_mov_b32 v69, -1 :: v_dual_mov_b32 v164, s56
	s_and_saveexec_b32 s17, s15
	s_cbranch_execz .LBB813_132
; %bb.131:                              ;   in Loop: Header=BB813_96 Depth=2
	s_lshl_b64 s[18:19], s[34:35], 3
	s_wait_alu 0xfffe
	v_mov_b32_e32 v164, s16
	v_add_co_u32 v68, vcc_lo, v145, s18
	s_wait_alu 0xfffd
	v_add_co_ci_u32_e64 v69, null, s19, v146, vcc_lo
	global_load_b64 v[68:69], v[68:69], off offset:3840
	s_wait_loadcnt 0x0
	v_xor_b32_e32 v69, 0x80000000, v69
.LBB813_132:                            ;   in Loop: Header=BB813_96 Depth=2
	s_wait_alu 0xfffe
	s_or_b32 exec_lo, exec_lo, s17
	s_wait_loadcnt 0xe
	v_xor_b32_e32 v41, 0x80000000, v41
	v_add_nc_u32_e32 v166, 0x420, v102
	v_add_nc_u32_e32 v167, 0x428, v102
	;; [unrolled: 1-line block ×3, first 2 shown]
	s_delay_alu instid0(VALU_DEP_4) | instskip(NEXT) | instid1(VALU_DEP_1)
	v_lshrrev_b64 v[70:71], s48, v[40:41]
	v_and_b32_e32 v71, s55, v70
	s_delay_alu instid0(VALU_DEP_1)
	v_and_b32_e32 v2, 1, v71
	v_lshlrev_b32_e32 v70, 30, v71
	v_lshlrev_b32_e32 v72, 29, v71
	;; [unrolled: 1-line block ×4, first 2 shown]
	v_add_co_u32 v2, s15, v2, -1
	s_wait_alu 0xf1ff
	v_cndmask_b32_e64 v74, 0, 1, s15
	v_not_b32_e32 v165, v70
	v_cmp_gt_i32_e64 s15, 0, v70
	v_not_b32_e32 v70, v72
	v_lshlrev_b32_e32 v76, 26, v71
	v_cmp_ne_u32_e32 vcc_lo, 0, v74
	v_ashrrev_i32_e32 v165, 31, v165
	v_lshlrev_b32_e32 v77, 25, v71
	v_ashrrev_i32_e32 v70, 31, v70
	v_lshlrev_b32_e32 v74, 24, v71
	s_wait_alu 0xfffd
	v_xor_b32_e32 v2, vcc_lo, v2
	v_cmp_gt_i32_e32 vcc_lo, 0, v72
	v_not_b32_e32 v72, v73
	s_wait_alu 0xf1ff
	v_xor_b32_e32 v165, s15, v165
	v_cmp_gt_i32_e64 s15, 0, v73
	v_and_b32_e32 v2, exec_lo, v2
	v_not_b32_e32 v73, v75
	v_ashrrev_i32_e32 v72, 31, v72
	s_wait_alu 0xfffd
	v_xor_b32_e32 v70, vcc_lo, v70
	v_cmp_gt_i32_e32 vcc_lo, 0, v75
	v_and_b32_e32 v2, v2, v165
	v_not_b32_e32 v75, v76
	v_ashrrev_i32_e32 v73, 31, v73
	s_wait_alu 0xf1ff
	v_xor_b32_e32 v72, s15, v72
	v_cmp_gt_i32_e64 s15, 0, v76
	v_and_b32_e32 v2, v2, v70
	v_not_b32_e32 v70, v77
	v_ashrrev_i32_e32 v75, 31, v75
	s_wait_alu 0xfffd
	v_xor_b32_e32 v73, vcc_lo, v73
	v_cmp_gt_i32_e32 vcc_lo, 0, v77
	v_and_b32_e32 v2, v2, v72
	v_not_b32_e32 v72, v74
	v_ashrrev_i32_e32 v70, 31, v70
	s_wait_alu 0xf1ff
	v_xor_b32_e32 v75, s15, v75
	v_cmp_gt_i32_e64 s15, 0, v74
	v_and_b32_e32 v2, v2, v73
	v_ashrrev_i32_e32 v72, 31, v72
	s_wait_alu 0xfffd
	v_xor_b32_e32 v70, vcc_lo, v70
	v_mul_u32_u24_e32 v71, 36, v71
	v_add_nc_u32_e32 v165, 0x438, v102
	v_and_b32_e32 v2, v2, v75
	s_wait_alu 0xf1ff
	v_xor_b32_e32 v72, s15, v72
	v_add_nc_u32_e32 v169, v147, v71
	ds_store_2addr_b32 v165, v3, v3 offset1:1
	v_and_b32_e32 v2, v2, v70
	ds_store_2addr_b32 v166, v3, v3 offset1:1
	ds_store_2addr_b32 v167, v3, v3 offset1:1
	;; [unrolled: 1-line block ×3, first 2 shown]
	ds_store_b32 v102, v3 offset:1088
	s_wait_loadcnt_dscnt 0x0
	s_barrier_signal -1
	s_barrier_wait -1
	v_and_b32_e32 v70, v2, v72
	global_inv scope:SCOPE_SE
	; wave barrier
	v_mbcnt_lo_u32_b32 v2, v70, 0
	v_cmp_ne_u32_e64 s15, 0, v70
	s_delay_alu instid0(VALU_DEP_2)
	v_cmp_eq_u32_e32 vcc_lo, 0, v2
	s_and_b32 s16, s15, vcc_lo
	s_wait_alu 0xfffe
	s_and_saveexec_b32 s15, s16
; %bb.133:                              ;   in Loop: Header=BB813_96 Depth=2
	v_bcnt_u32_b32 v70, v70, 0
	ds_store_b32 v169, v70 offset:1056
; %bb.134:                              ;   in Loop: Header=BB813_96 Depth=2
	s_wait_alu 0xfffe
	s_or_b32 exec_lo, exec_lo, s15
	v_xor_b32_e32 v39, 0x80000000, v39
	; wave barrier
	s_delay_alu instid0(VALU_DEP_1) | instskip(NEXT) | instid1(VALU_DEP_1)
	v_lshrrev_b64 v[70:71], s48, v[38:39]
	v_and_b32_e32 v71, s55, v70
	s_delay_alu instid0(VALU_DEP_1)
	v_and_b32_e32 v70, 1, v71
	v_lshlrev_b32_e32 v72, 30, v71
	v_lshlrev_b32_e32 v73, 29, v71
	;; [unrolled: 1-line block ×4, first 2 shown]
	v_add_co_u32 v70, s15, v70, -1
	s_wait_alu 0xf1ff
	v_cndmask_b32_e64 v75, 0, 1, s15
	v_not_b32_e32 v171, v72
	v_cmp_gt_i32_e64 s15, 0, v72
	v_not_b32_e32 v72, v73
	v_lshlrev_b32_e32 v77, 26, v71
	v_cmp_ne_u32_e32 vcc_lo, 0, v75
	v_ashrrev_i32_e32 v171, 31, v171
	v_lshlrev_b32_e32 v170, 25, v71
	v_ashrrev_i32_e32 v72, 31, v72
	v_lshlrev_b32_e32 v75, 24, v71
	s_wait_alu 0xfffd
	v_xor_b32_e32 v70, vcc_lo, v70
	v_cmp_gt_i32_e32 vcc_lo, 0, v73
	v_not_b32_e32 v73, v74
	s_wait_alu 0xf1ff
	v_xor_b32_e32 v171, s15, v171
	v_cmp_gt_i32_e64 s15, 0, v74
	v_and_b32_e32 v70, exec_lo, v70
	v_not_b32_e32 v74, v76
	v_ashrrev_i32_e32 v73, 31, v73
	s_wait_alu 0xfffd
	v_xor_b32_e32 v72, vcc_lo, v72
	v_cmp_gt_i32_e32 vcc_lo, 0, v76
	v_and_b32_e32 v70, v70, v171
	v_not_b32_e32 v76, v77
	v_ashrrev_i32_e32 v74, 31, v74
	s_wait_alu 0xf1ff
	v_xor_b32_e32 v73, s15, v73
	v_cmp_gt_i32_e64 s15, 0, v77
	v_and_b32_e32 v70, v70, v72
	v_not_b32_e32 v72, v170
	v_ashrrev_i32_e32 v76, 31, v76
	s_wait_alu 0xfffd
	v_xor_b32_e32 v74, vcc_lo, v74
	v_cmp_gt_i32_e32 vcc_lo, 0, v170
	v_and_b32_e32 v70, v70, v73
	v_not_b32_e32 v73, v75
	v_ashrrev_i32_e32 v72, 31, v72
	s_wait_alu 0xf1ff
	v_xor_b32_e32 v76, s15, v76
	v_cmp_gt_i32_e64 s15, 0, v75
	v_and_b32_e32 v70, v70, v74
	v_ashrrev_i32_e32 v73, 31, v73
	s_wait_alu 0xfffd
	v_xor_b32_e32 v72, vcc_lo, v72
	v_mad_u32_u24 v74, v71, 36, v147
	v_mul_u32_u24_e32 v71, 36, v71
	v_and_b32_e32 v70, v70, v76
	s_wait_alu 0xf1ff
	v_xor_b32_e32 v73, s15, v73
	ds_load_b32 v170, v74 offset:1056
	v_add_nc_u32_e32 v172, v147, v71
	v_and_b32_e32 v70, v70, v72
	; wave barrier
	s_delay_alu instid0(VALU_DEP_1) | instskip(NEXT) | instid1(VALU_DEP_1)
	v_and_b32_e32 v70, v70, v73
	v_mbcnt_lo_u32_b32 v171, v70, 0
	v_cmp_ne_u32_e64 s15, 0, v70
	s_delay_alu instid0(VALU_DEP_2)
	v_cmp_eq_u32_e32 vcc_lo, 0, v171
	s_and_b32 s16, s15, vcc_lo
	s_wait_alu 0xfffe
	s_and_saveexec_b32 s15, s16
	s_cbranch_execz .LBB813_136
; %bb.135:                              ;   in Loop: Header=BB813_96 Depth=2
	s_wait_dscnt 0x0
	v_bcnt_u32_b32 v70, v70, v170
	ds_store_b32 v172, v70 offset:1056
.LBB813_136:                            ;   in Loop: Header=BB813_96 Depth=2
	s_wait_alu 0xfffe
	s_or_b32 exec_lo, exec_lo, s15
	v_xor_b32_e32 v43, 0x80000000, v43
	; wave barrier
	s_delay_alu instid0(VALU_DEP_1) | instskip(NEXT) | instid1(VALU_DEP_1)
	v_lshrrev_b64 v[70:71], s48, v[42:43]
	v_and_b32_e32 v71, s55, v70
	s_delay_alu instid0(VALU_DEP_1)
	v_and_b32_e32 v70, 1, v71
	v_lshlrev_b32_e32 v72, 30, v71
	v_lshlrev_b32_e32 v73, 29, v71
	;; [unrolled: 1-line block ×4, first 2 shown]
	v_add_co_u32 v70, s15, v70, -1
	s_wait_alu 0xf1ff
	v_cndmask_b32_e64 v75, 0, 1, s15
	v_not_b32_e32 v174, v72
	v_cmp_gt_i32_e64 s15, 0, v72
	v_not_b32_e32 v72, v73
	v_lshlrev_b32_e32 v77, 26, v71
	v_cmp_ne_u32_e32 vcc_lo, 0, v75
	v_ashrrev_i32_e32 v174, 31, v174
	v_lshlrev_b32_e32 v173, 25, v71
	v_ashrrev_i32_e32 v72, 31, v72
	v_lshlrev_b32_e32 v75, 24, v71
	s_wait_alu 0xfffd
	v_xor_b32_e32 v70, vcc_lo, v70
	v_cmp_gt_i32_e32 vcc_lo, 0, v73
	v_not_b32_e32 v73, v74
	s_wait_alu 0xf1ff
	v_xor_b32_e32 v174, s15, v174
	v_cmp_gt_i32_e64 s15, 0, v74
	v_and_b32_e32 v70, exec_lo, v70
	v_not_b32_e32 v74, v76
	v_ashrrev_i32_e32 v73, 31, v73
	s_wait_alu 0xfffd
	v_xor_b32_e32 v72, vcc_lo, v72
	v_cmp_gt_i32_e32 vcc_lo, 0, v76
	v_and_b32_e32 v70, v70, v174
	v_not_b32_e32 v76, v77
	v_ashrrev_i32_e32 v74, 31, v74
	s_wait_alu 0xf1ff
	v_xor_b32_e32 v73, s15, v73
	v_cmp_gt_i32_e64 s15, 0, v77
	v_and_b32_e32 v70, v70, v72
	v_not_b32_e32 v72, v173
	v_ashrrev_i32_e32 v76, 31, v76
	s_wait_alu 0xfffd
	v_xor_b32_e32 v74, vcc_lo, v74
	v_cmp_gt_i32_e32 vcc_lo, 0, v173
	v_and_b32_e32 v70, v70, v73
	v_not_b32_e32 v73, v75
	v_ashrrev_i32_e32 v72, 31, v72
	s_wait_alu 0xf1ff
	v_xor_b32_e32 v76, s15, v76
	v_cmp_gt_i32_e64 s15, 0, v75
	v_and_b32_e32 v70, v70, v74
	v_ashrrev_i32_e32 v73, 31, v73
	s_wait_alu 0xfffd
	v_xor_b32_e32 v72, vcc_lo, v72
	v_mad_u32_u24 v74, v71, 36, v147
	v_mul_u32_u24_e32 v71, 36, v71
	v_and_b32_e32 v70, v70, v76
	s_wait_alu 0xf1ff
	v_xor_b32_e32 v73, s15, v73
	ds_load_b32 v173, v74 offset:1056
	v_add_nc_u32_e32 v175, v147, v71
	v_and_b32_e32 v70, v70, v72
	; wave barrier
	s_delay_alu instid0(VALU_DEP_1) | instskip(NEXT) | instid1(VALU_DEP_1)
	v_and_b32_e32 v70, v70, v73
	v_mbcnt_lo_u32_b32 v174, v70, 0
	v_cmp_ne_u32_e64 s15, 0, v70
	s_delay_alu instid0(VALU_DEP_2)
	v_cmp_eq_u32_e32 vcc_lo, 0, v174
	s_and_b32 s16, s15, vcc_lo
	s_wait_alu 0xfffe
	s_and_saveexec_b32 s15, s16
	s_cbranch_execz .LBB813_138
; %bb.137:                              ;   in Loop: Header=BB813_96 Depth=2
	s_wait_dscnt 0x0
	v_bcnt_u32_b32 v70, v70, v173
	ds_store_b32 v175, v70 offset:1056
.LBB813_138:                            ;   in Loop: Header=BB813_96 Depth=2
	s_wait_alu 0xfffe
	s_or_b32 exec_lo, exec_lo, s15
	v_xor_b32_e32 v45, 0x80000000, v45
	; wave barrier
	s_delay_alu instid0(VALU_DEP_1) | instskip(NEXT) | instid1(VALU_DEP_1)
	v_lshrrev_b64 v[70:71], s48, v[44:45]
	v_and_b32_e32 v71, s55, v70
	s_delay_alu instid0(VALU_DEP_1)
	v_and_b32_e32 v70, 1, v71
	v_lshlrev_b32_e32 v72, 30, v71
	v_lshlrev_b32_e32 v73, 29, v71
	;; [unrolled: 1-line block ×4, first 2 shown]
	v_add_co_u32 v70, s15, v70, -1
	s_wait_alu 0xf1ff
	v_cndmask_b32_e64 v75, 0, 1, s15
	v_not_b32_e32 v177, v72
	v_cmp_gt_i32_e64 s15, 0, v72
	v_not_b32_e32 v72, v73
	v_lshlrev_b32_e32 v77, 26, v71
	v_cmp_ne_u32_e32 vcc_lo, 0, v75
	v_ashrrev_i32_e32 v177, 31, v177
	v_lshlrev_b32_e32 v176, 25, v71
	v_ashrrev_i32_e32 v72, 31, v72
	v_lshlrev_b32_e32 v75, 24, v71
	s_wait_alu 0xfffd
	v_xor_b32_e32 v70, vcc_lo, v70
	v_cmp_gt_i32_e32 vcc_lo, 0, v73
	v_not_b32_e32 v73, v74
	s_wait_alu 0xf1ff
	v_xor_b32_e32 v177, s15, v177
	v_cmp_gt_i32_e64 s15, 0, v74
	v_and_b32_e32 v70, exec_lo, v70
	v_not_b32_e32 v74, v76
	v_ashrrev_i32_e32 v73, 31, v73
	s_wait_alu 0xfffd
	v_xor_b32_e32 v72, vcc_lo, v72
	v_cmp_gt_i32_e32 vcc_lo, 0, v76
	v_and_b32_e32 v70, v70, v177
	v_not_b32_e32 v76, v77
	v_ashrrev_i32_e32 v74, 31, v74
	s_wait_alu 0xf1ff
	v_xor_b32_e32 v73, s15, v73
	v_cmp_gt_i32_e64 s15, 0, v77
	v_and_b32_e32 v70, v70, v72
	v_not_b32_e32 v72, v176
	v_ashrrev_i32_e32 v76, 31, v76
	s_wait_alu 0xfffd
	v_xor_b32_e32 v74, vcc_lo, v74
	v_cmp_gt_i32_e32 vcc_lo, 0, v176
	v_and_b32_e32 v70, v70, v73
	v_not_b32_e32 v73, v75
	v_ashrrev_i32_e32 v72, 31, v72
	s_wait_alu 0xf1ff
	v_xor_b32_e32 v76, s15, v76
	v_cmp_gt_i32_e64 s15, 0, v75
	v_and_b32_e32 v70, v70, v74
	v_ashrrev_i32_e32 v73, 31, v73
	s_wait_alu 0xfffd
	v_xor_b32_e32 v72, vcc_lo, v72
	v_mad_u32_u24 v74, v71, 36, v147
	v_mul_u32_u24_e32 v71, 36, v71
	v_and_b32_e32 v70, v70, v76
	s_wait_alu 0xf1ff
	v_xor_b32_e32 v73, s15, v73
	ds_load_b32 v176, v74 offset:1056
	v_add_nc_u32_e32 v178, v147, v71
	v_and_b32_e32 v70, v70, v72
	; wave barrier
	s_delay_alu instid0(VALU_DEP_1) | instskip(NEXT) | instid1(VALU_DEP_1)
	v_and_b32_e32 v70, v70, v73
	v_mbcnt_lo_u32_b32 v177, v70, 0
	v_cmp_ne_u32_e64 s15, 0, v70
	s_delay_alu instid0(VALU_DEP_2)
	v_cmp_eq_u32_e32 vcc_lo, 0, v177
	s_and_b32 s16, s15, vcc_lo
	s_wait_alu 0xfffe
	s_and_saveexec_b32 s15, s16
	s_cbranch_execz .LBB813_140
; %bb.139:                              ;   in Loop: Header=BB813_96 Depth=2
	s_wait_dscnt 0x0
	v_bcnt_u32_b32 v70, v70, v176
	ds_store_b32 v178, v70 offset:1056
.LBB813_140:                            ;   in Loop: Header=BB813_96 Depth=2
	s_wait_alu 0xfffe
	s_or_b32 exec_lo, exec_lo, s15
	v_xor_b32_e32 v47, 0x80000000, v47
	; wave barrier
	s_delay_alu instid0(VALU_DEP_1) | instskip(NEXT) | instid1(VALU_DEP_1)
	v_lshrrev_b64 v[70:71], s48, v[46:47]
	v_and_b32_e32 v71, s55, v70
	s_delay_alu instid0(VALU_DEP_1)
	v_and_b32_e32 v70, 1, v71
	v_lshlrev_b32_e32 v72, 30, v71
	v_lshlrev_b32_e32 v73, 29, v71
	;; [unrolled: 1-line block ×4, first 2 shown]
	v_add_co_u32 v70, s15, v70, -1
	s_wait_alu 0xf1ff
	v_cndmask_b32_e64 v75, 0, 1, s15
	v_not_b32_e32 v180, v72
	v_cmp_gt_i32_e64 s15, 0, v72
	v_not_b32_e32 v72, v73
	v_lshlrev_b32_e32 v77, 26, v71
	v_cmp_ne_u32_e32 vcc_lo, 0, v75
	v_ashrrev_i32_e32 v180, 31, v180
	v_lshlrev_b32_e32 v179, 25, v71
	v_ashrrev_i32_e32 v72, 31, v72
	v_lshlrev_b32_e32 v75, 24, v71
	s_wait_alu 0xfffd
	v_xor_b32_e32 v70, vcc_lo, v70
	v_cmp_gt_i32_e32 vcc_lo, 0, v73
	v_not_b32_e32 v73, v74
	s_wait_alu 0xf1ff
	v_xor_b32_e32 v180, s15, v180
	v_cmp_gt_i32_e64 s15, 0, v74
	v_and_b32_e32 v70, exec_lo, v70
	v_not_b32_e32 v74, v76
	v_ashrrev_i32_e32 v73, 31, v73
	s_wait_alu 0xfffd
	v_xor_b32_e32 v72, vcc_lo, v72
	v_cmp_gt_i32_e32 vcc_lo, 0, v76
	v_and_b32_e32 v70, v70, v180
	v_not_b32_e32 v76, v77
	v_ashrrev_i32_e32 v74, 31, v74
	s_wait_alu 0xf1ff
	v_xor_b32_e32 v73, s15, v73
	v_cmp_gt_i32_e64 s15, 0, v77
	v_and_b32_e32 v70, v70, v72
	v_not_b32_e32 v72, v179
	v_ashrrev_i32_e32 v76, 31, v76
	s_wait_alu 0xfffd
	v_xor_b32_e32 v74, vcc_lo, v74
	v_cmp_gt_i32_e32 vcc_lo, 0, v179
	v_and_b32_e32 v70, v70, v73
	v_not_b32_e32 v73, v75
	v_ashrrev_i32_e32 v72, 31, v72
	s_wait_alu 0xf1ff
	v_xor_b32_e32 v76, s15, v76
	v_cmp_gt_i32_e64 s15, 0, v75
	v_and_b32_e32 v70, v70, v74
	v_ashrrev_i32_e32 v73, 31, v73
	s_wait_alu 0xfffd
	v_xor_b32_e32 v72, vcc_lo, v72
	v_mad_u32_u24 v74, v71, 36, v147
	v_mul_u32_u24_e32 v71, 36, v71
	v_and_b32_e32 v70, v70, v76
	s_wait_alu 0xf1ff
	v_xor_b32_e32 v73, s15, v73
	ds_load_b32 v179, v74 offset:1056
	v_add_nc_u32_e32 v181, v147, v71
	v_and_b32_e32 v70, v70, v72
	; wave barrier
	s_delay_alu instid0(VALU_DEP_1) | instskip(NEXT) | instid1(VALU_DEP_1)
	v_and_b32_e32 v70, v70, v73
	v_mbcnt_lo_u32_b32 v180, v70, 0
	v_cmp_ne_u32_e64 s15, 0, v70
	s_delay_alu instid0(VALU_DEP_2)
	v_cmp_eq_u32_e32 vcc_lo, 0, v180
	s_and_b32 s16, s15, vcc_lo
	s_wait_alu 0xfffe
	s_and_saveexec_b32 s15, s16
	s_cbranch_execz .LBB813_142
; %bb.141:                              ;   in Loop: Header=BB813_96 Depth=2
	s_wait_dscnt 0x0
	v_bcnt_u32_b32 v70, v70, v179
	ds_store_b32 v181, v70 offset:1056
.LBB813_142:                            ;   in Loop: Header=BB813_96 Depth=2
	s_wait_alu 0xfffe
	s_or_b32 exec_lo, exec_lo, s15
	v_xor_b32_e32 v51, 0x80000000, v51
	; wave barrier
	s_delay_alu instid0(VALU_DEP_1) | instskip(NEXT) | instid1(VALU_DEP_1)
	v_lshrrev_b64 v[70:71], s48, v[50:51]
	v_and_b32_e32 v71, s55, v70
	s_delay_alu instid0(VALU_DEP_1)
	v_and_b32_e32 v70, 1, v71
	v_lshlrev_b32_e32 v72, 30, v71
	v_lshlrev_b32_e32 v73, 29, v71
	;; [unrolled: 1-line block ×4, first 2 shown]
	v_add_co_u32 v70, s15, v70, -1
	s_wait_alu 0xf1ff
	v_cndmask_b32_e64 v75, 0, 1, s15
	v_not_b32_e32 v183, v72
	v_cmp_gt_i32_e64 s15, 0, v72
	v_not_b32_e32 v72, v73
	v_lshlrev_b32_e32 v77, 26, v71
	v_cmp_ne_u32_e32 vcc_lo, 0, v75
	v_ashrrev_i32_e32 v183, 31, v183
	v_lshlrev_b32_e32 v182, 25, v71
	v_ashrrev_i32_e32 v72, 31, v72
	v_lshlrev_b32_e32 v75, 24, v71
	s_wait_alu 0xfffd
	v_xor_b32_e32 v70, vcc_lo, v70
	v_cmp_gt_i32_e32 vcc_lo, 0, v73
	v_not_b32_e32 v73, v74
	s_wait_alu 0xf1ff
	v_xor_b32_e32 v183, s15, v183
	v_cmp_gt_i32_e64 s15, 0, v74
	v_and_b32_e32 v70, exec_lo, v70
	v_not_b32_e32 v74, v76
	v_ashrrev_i32_e32 v73, 31, v73
	s_wait_alu 0xfffd
	v_xor_b32_e32 v72, vcc_lo, v72
	v_cmp_gt_i32_e32 vcc_lo, 0, v76
	v_and_b32_e32 v70, v70, v183
	v_not_b32_e32 v76, v77
	v_ashrrev_i32_e32 v74, 31, v74
	s_wait_alu 0xf1ff
	v_xor_b32_e32 v73, s15, v73
	v_cmp_gt_i32_e64 s15, 0, v77
	v_and_b32_e32 v70, v70, v72
	v_not_b32_e32 v72, v182
	v_ashrrev_i32_e32 v76, 31, v76
	s_wait_alu 0xfffd
	v_xor_b32_e32 v74, vcc_lo, v74
	v_cmp_gt_i32_e32 vcc_lo, 0, v182
	v_and_b32_e32 v70, v70, v73
	v_not_b32_e32 v73, v75
	v_ashrrev_i32_e32 v72, 31, v72
	s_wait_alu 0xf1ff
	v_xor_b32_e32 v76, s15, v76
	v_cmp_gt_i32_e64 s15, 0, v75
	v_and_b32_e32 v70, v70, v74
	v_ashrrev_i32_e32 v73, 31, v73
	s_wait_alu 0xfffd
	v_xor_b32_e32 v72, vcc_lo, v72
	v_mad_u32_u24 v74, v71, 36, v147
	v_mul_u32_u24_e32 v71, 36, v71
	v_and_b32_e32 v70, v70, v76
	s_wait_alu 0xf1ff
	v_xor_b32_e32 v73, s15, v73
	ds_load_b32 v182, v74 offset:1056
	v_add_nc_u32_e32 v184, v147, v71
	v_and_b32_e32 v70, v70, v72
	; wave barrier
	s_delay_alu instid0(VALU_DEP_1) | instskip(NEXT) | instid1(VALU_DEP_1)
	v_and_b32_e32 v70, v70, v73
	v_mbcnt_lo_u32_b32 v183, v70, 0
	v_cmp_ne_u32_e64 s15, 0, v70
	s_delay_alu instid0(VALU_DEP_2)
	v_cmp_eq_u32_e32 vcc_lo, 0, v183
	s_and_b32 s16, s15, vcc_lo
	s_wait_alu 0xfffe
	s_and_saveexec_b32 s15, s16
	s_cbranch_execz .LBB813_144
; %bb.143:                              ;   in Loop: Header=BB813_96 Depth=2
	s_wait_dscnt 0x0
	v_bcnt_u32_b32 v70, v70, v182
	ds_store_b32 v184, v70 offset:1056
.LBB813_144:                            ;   in Loop: Header=BB813_96 Depth=2
	s_wait_alu 0xfffe
	s_or_b32 exec_lo, exec_lo, s15
	v_xor_b32_e32 v49, 0x80000000, v49
	; wave barrier
	s_delay_alu instid0(VALU_DEP_1) | instskip(NEXT) | instid1(VALU_DEP_1)
	v_lshrrev_b64 v[70:71], s48, v[48:49]
	v_and_b32_e32 v71, s55, v70
	s_delay_alu instid0(VALU_DEP_1)
	v_and_b32_e32 v70, 1, v71
	v_lshlrev_b32_e32 v72, 30, v71
	v_lshlrev_b32_e32 v73, 29, v71
	;; [unrolled: 1-line block ×4, first 2 shown]
	v_add_co_u32 v70, s15, v70, -1
	s_wait_alu 0xf1ff
	v_cndmask_b32_e64 v75, 0, 1, s15
	v_not_b32_e32 v186, v72
	v_cmp_gt_i32_e64 s15, 0, v72
	v_not_b32_e32 v72, v73
	v_lshlrev_b32_e32 v77, 26, v71
	v_cmp_ne_u32_e32 vcc_lo, 0, v75
	v_ashrrev_i32_e32 v186, 31, v186
	v_lshlrev_b32_e32 v185, 25, v71
	v_ashrrev_i32_e32 v72, 31, v72
	v_lshlrev_b32_e32 v75, 24, v71
	s_wait_alu 0xfffd
	v_xor_b32_e32 v70, vcc_lo, v70
	v_cmp_gt_i32_e32 vcc_lo, 0, v73
	v_not_b32_e32 v73, v74
	s_wait_alu 0xf1ff
	v_xor_b32_e32 v186, s15, v186
	v_cmp_gt_i32_e64 s15, 0, v74
	v_and_b32_e32 v70, exec_lo, v70
	v_not_b32_e32 v74, v76
	v_ashrrev_i32_e32 v73, 31, v73
	s_wait_alu 0xfffd
	v_xor_b32_e32 v72, vcc_lo, v72
	v_cmp_gt_i32_e32 vcc_lo, 0, v76
	v_and_b32_e32 v70, v70, v186
	v_not_b32_e32 v76, v77
	v_ashrrev_i32_e32 v74, 31, v74
	s_wait_alu 0xf1ff
	v_xor_b32_e32 v73, s15, v73
	v_cmp_gt_i32_e64 s15, 0, v77
	v_and_b32_e32 v70, v70, v72
	v_not_b32_e32 v72, v185
	v_ashrrev_i32_e32 v76, 31, v76
	s_wait_alu 0xfffd
	v_xor_b32_e32 v74, vcc_lo, v74
	v_cmp_gt_i32_e32 vcc_lo, 0, v185
	v_and_b32_e32 v70, v70, v73
	v_not_b32_e32 v73, v75
	v_ashrrev_i32_e32 v72, 31, v72
	s_wait_alu 0xf1ff
	v_xor_b32_e32 v76, s15, v76
	v_cmp_gt_i32_e64 s15, 0, v75
	v_and_b32_e32 v70, v70, v74
	v_ashrrev_i32_e32 v73, 31, v73
	s_wait_alu 0xfffd
	v_xor_b32_e32 v72, vcc_lo, v72
	v_mad_u32_u24 v74, v71, 36, v147
	v_mul_u32_u24_e32 v71, 36, v71
	v_and_b32_e32 v70, v70, v76
	s_wait_alu 0xf1ff
	v_xor_b32_e32 v73, s15, v73
	ds_load_b32 v185, v74 offset:1056
	v_add_nc_u32_e32 v187, v147, v71
	v_and_b32_e32 v70, v70, v72
	; wave barrier
	s_delay_alu instid0(VALU_DEP_1) | instskip(NEXT) | instid1(VALU_DEP_1)
	v_and_b32_e32 v70, v70, v73
	v_mbcnt_lo_u32_b32 v186, v70, 0
	v_cmp_ne_u32_e64 s15, 0, v70
	s_delay_alu instid0(VALU_DEP_2)
	v_cmp_eq_u32_e32 vcc_lo, 0, v186
	s_and_b32 s16, s15, vcc_lo
	s_wait_alu 0xfffe
	s_and_saveexec_b32 s15, s16
	s_cbranch_execz .LBB813_146
; %bb.145:                              ;   in Loop: Header=BB813_96 Depth=2
	s_wait_dscnt 0x0
	v_bcnt_u32_b32 v70, v70, v185
	ds_store_b32 v187, v70 offset:1056
.LBB813_146:                            ;   in Loop: Header=BB813_96 Depth=2
	s_wait_alu 0xfffe
	s_or_b32 exec_lo, exec_lo, s15
	v_xor_b32_e32 v53, 0x80000000, v53
	; wave barrier
	s_delay_alu instid0(VALU_DEP_1) | instskip(NEXT) | instid1(VALU_DEP_1)
	v_lshrrev_b64 v[70:71], s48, v[52:53]
	v_and_b32_e32 v71, s55, v70
	s_delay_alu instid0(VALU_DEP_1)
	v_and_b32_e32 v70, 1, v71
	v_lshlrev_b32_e32 v72, 30, v71
	v_lshlrev_b32_e32 v73, 29, v71
	;; [unrolled: 1-line block ×4, first 2 shown]
	v_add_co_u32 v70, s15, v70, -1
	s_wait_alu 0xf1ff
	v_cndmask_b32_e64 v75, 0, 1, s15
	v_not_b32_e32 v189, v72
	v_cmp_gt_i32_e64 s15, 0, v72
	v_not_b32_e32 v72, v73
	v_lshlrev_b32_e32 v77, 26, v71
	v_cmp_ne_u32_e32 vcc_lo, 0, v75
	v_ashrrev_i32_e32 v189, 31, v189
	v_lshlrev_b32_e32 v188, 25, v71
	v_ashrrev_i32_e32 v72, 31, v72
	v_lshlrev_b32_e32 v75, 24, v71
	s_wait_alu 0xfffd
	v_xor_b32_e32 v70, vcc_lo, v70
	v_cmp_gt_i32_e32 vcc_lo, 0, v73
	v_not_b32_e32 v73, v74
	s_wait_alu 0xf1ff
	v_xor_b32_e32 v189, s15, v189
	v_cmp_gt_i32_e64 s15, 0, v74
	v_and_b32_e32 v70, exec_lo, v70
	v_not_b32_e32 v74, v76
	v_ashrrev_i32_e32 v73, 31, v73
	s_wait_alu 0xfffd
	v_xor_b32_e32 v72, vcc_lo, v72
	v_cmp_gt_i32_e32 vcc_lo, 0, v76
	v_and_b32_e32 v70, v70, v189
	v_not_b32_e32 v76, v77
	v_ashrrev_i32_e32 v74, 31, v74
	s_wait_alu 0xf1ff
	v_xor_b32_e32 v73, s15, v73
	v_cmp_gt_i32_e64 s15, 0, v77
	v_and_b32_e32 v70, v70, v72
	v_not_b32_e32 v72, v188
	v_ashrrev_i32_e32 v76, 31, v76
	s_wait_alu 0xfffd
	v_xor_b32_e32 v74, vcc_lo, v74
	v_cmp_gt_i32_e32 vcc_lo, 0, v188
	v_and_b32_e32 v70, v70, v73
	v_not_b32_e32 v73, v75
	v_ashrrev_i32_e32 v72, 31, v72
	s_wait_alu 0xf1ff
	v_xor_b32_e32 v76, s15, v76
	v_cmp_gt_i32_e64 s15, 0, v75
	v_and_b32_e32 v70, v70, v74
	v_ashrrev_i32_e32 v73, 31, v73
	s_wait_alu 0xfffd
	v_xor_b32_e32 v72, vcc_lo, v72
	v_mad_u32_u24 v74, v71, 36, v147
	v_mul_u32_u24_e32 v71, 36, v71
	v_and_b32_e32 v70, v70, v76
	s_wait_alu 0xf1ff
	v_xor_b32_e32 v73, s15, v73
	ds_load_b32 v188, v74 offset:1056
	v_add_nc_u32_e32 v190, v147, v71
	v_and_b32_e32 v70, v70, v72
	; wave barrier
	s_delay_alu instid0(VALU_DEP_1) | instskip(NEXT) | instid1(VALU_DEP_1)
	v_and_b32_e32 v70, v70, v73
	v_mbcnt_lo_u32_b32 v189, v70, 0
	v_cmp_ne_u32_e64 s15, 0, v70
	s_delay_alu instid0(VALU_DEP_2)
	v_cmp_eq_u32_e32 vcc_lo, 0, v189
	s_and_b32 s16, s15, vcc_lo
	s_wait_alu 0xfffe
	s_and_saveexec_b32 s15, s16
	s_cbranch_execz .LBB813_148
; %bb.147:                              ;   in Loop: Header=BB813_96 Depth=2
	s_wait_dscnt 0x0
	v_bcnt_u32_b32 v70, v70, v188
	ds_store_b32 v190, v70 offset:1056
.LBB813_148:                            ;   in Loop: Header=BB813_96 Depth=2
	s_wait_alu 0xfffe
	s_or_b32 exec_lo, exec_lo, s15
	v_xor_b32_e32 v55, 0x80000000, v55
	; wave barrier
	s_delay_alu instid0(VALU_DEP_1) | instskip(NEXT) | instid1(VALU_DEP_1)
	v_lshrrev_b64 v[70:71], s48, v[54:55]
	v_and_b32_e32 v71, s55, v70
	s_delay_alu instid0(VALU_DEP_1)
	v_and_b32_e32 v70, 1, v71
	v_lshlrev_b32_e32 v72, 30, v71
	v_lshlrev_b32_e32 v73, 29, v71
	;; [unrolled: 1-line block ×4, first 2 shown]
	v_add_co_u32 v70, s15, v70, -1
	s_wait_alu 0xf1ff
	v_cndmask_b32_e64 v75, 0, 1, s15
	v_not_b32_e32 v192, v72
	v_cmp_gt_i32_e64 s15, 0, v72
	v_not_b32_e32 v72, v73
	v_lshlrev_b32_e32 v77, 26, v71
	v_cmp_ne_u32_e32 vcc_lo, 0, v75
	v_ashrrev_i32_e32 v192, 31, v192
	v_lshlrev_b32_e32 v191, 25, v71
	v_ashrrev_i32_e32 v72, 31, v72
	v_lshlrev_b32_e32 v75, 24, v71
	s_wait_alu 0xfffd
	v_xor_b32_e32 v70, vcc_lo, v70
	v_cmp_gt_i32_e32 vcc_lo, 0, v73
	v_not_b32_e32 v73, v74
	s_wait_alu 0xf1ff
	v_xor_b32_e32 v192, s15, v192
	v_cmp_gt_i32_e64 s15, 0, v74
	v_and_b32_e32 v70, exec_lo, v70
	v_not_b32_e32 v74, v76
	v_ashrrev_i32_e32 v73, 31, v73
	s_wait_alu 0xfffd
	v_xor_b32_e32 v72, vcc_lo, v72
	v_cmp_gt_i32_e32 vcc_lo, 0, v76
	v_and_b32_e32 v70, v70, v192
	v_not_b32_e32 v76, v77
	v_ashrrev_i32_e32 v74, 31, v74
	s_wait_alu 0xf1ff
	v_xor_b32_e32 v73, s15, v73
	v_cmp_gt_i32_e64 s15, 0, v77
	v_and_b32_e32 v70, v70, v72
	v_not_b32_e32 v72, v191
	v_ashrrev_i32_e32 v76, 31, v76
	s_wait_alu 0xfffd
	v_xor_b32_e32 v74, vcc_lo, v74
	v_cmp_gt_i32_e32 vcc_lo, 0, v191
	v_and_b32_e32 v70, v70, v73
	v_not_b32_e32 v73, v75
	v_ashrrev_i32_e32 v72, 31, v72
	s_wait_alu 0xf1ff
	v_xor_b32_e32 v76, s15, v76
	v_cmp_gt_i32_e64 s15, 0, v75
	v_and_b32_e32 v70, v70, v74
	v_ashrrev_i32_e32 v73, 31, v73
	s_wait_alu 0xfffd
	v_xor_b32_e32 v72, vcc_lo, v72
	v_mad_u32_u24 v74, v71, 36, v147
	v_mul_u32_u24_e32 v71, 36, v71
	v_and_b32_e32 v70, v70, v76
	s_wait_alu 0xf1ff
	v_xor_b32_e32 v73, s15, v73
	ds_load_b32 v191, v74 offset:1056
	v_add_nc_u32_e32 v193, v147, v71
	v_and_b32_e32 v70, v70, v72
	; wave barrier
	s_delay_alu instid0(VALU_DEP_1) | instskip(NEXT) | instid1(VALU_DEP_1)
	v_and_b32_e32 v70, v70, v73
	v_mbcnt_lo_u32_b32 v192, v70, 0
	v_cmp_ne_u32_e64 s15, 0, v70
	s_delay_alu instid0(VALU_DEP_2)
	v_cmp_eq_u32_e32 vcc_lo, 0, v192
	s_and_b32 s16, s15, vcc_lo
	s_wait_alu 0xfffe
	s_and_saveexec_b32 s15, s16
	s_cbranch_execz .LBB813_150
; %bb.149:                              ;   in Loop: Header=BB813_96 Depth=2
	s_wait_dscnt 0x0
	v_bcnt_u32_b32 v70, v70, v191
	ds_store_b32 v193, v70 offset:1056
.LBB813_150:                            ;   in Loop: Header=BB813_96 Depth=2
	s_wait_alu 0xfffe
	s_or_b32 exec_lo, exec_lo, s15
	v_xor_b32_e32 v57, 0x80000000, v57
	; wave barrier
	s_delay_alu instid0(VALU_DEP_1) | instskip(NEXT) | instid1(VALU_DEP_1)
	v_lshrrev_b64 v[70:71], s48, v[56:57]
	v_and_b32_e32 v71, s55, v70
	s_delay_alu instid0(VALU_DEP_1)
	v_and_b32_e32 v70, 1, v71
	v_lshlrev_b32_e32 v72, 30, v71
	v_lshlrev_b32_e32 v73, 29, v71
	;; [unrolled: 1-line block ×4, first 2 shown]
	v_add_co_u32 v70, s15, v70, -1
	s_wait_alu 0xf1ff
	v_cndmask_b32_e64 v75, 0, 1, s15
	v_not_b32_e32 v195, v72
	v_cmp_gt_i32_e64 s15, 0, v72
	v_not_b32_e32 v72, v73
	v_lshlrev_b32_e32 v77, 26, v71
	v_cmp_ne_u32_e32 vcc_lo, 0, v75
	v_ashrrev_i32_e32 v195, 31, v195
	v_lshlrev_b32_e32 v194, 25, v71
	v_ashrrev_i32_e32 v72, 31, v72
	v_lshlrev_b32_e32 v75, 24, v71
	s_wait_alu 0xfffd
	v_xor_b32_e32 v70, vcc_lo, v70
	v_cmp_gt_i32_e32 vcc_lo, 0, v73
	v_not_b32_e32 v73, v74
	s_wait_alu 0xf1ff
	v_xor_b32_e32 v195, s15, v195
	v_cmp_gt_i32_e64 s15, 0, v74
	v_and_b32_e32 v70, exec_lo, v70
	v_not_b32_e32 v74, v76
	v_ashrrev_i32_e32 v73, 31, v73
	s_wait_alu 0xfffd
	v_xor_b32_e32 v72, vcc_lo, v72
	v_cmp_gt_i32_e32 vcc_lo, 0, v76
	v_and_b32_e32 v70, v70, v195
	v_not_b32_e32 v76, v77
	v_ashrrev_i32_e32 v74, 31, v74
	s_wait_alu 0xf1ff
	v_xor_b32_e32 v73, s15, v73
	v_cmp_gt_i32_e64 s15, 0, v77
	v_and_b32_e32 v70, v70, v72
	v_not_b32_e32 v72, v194
	v_ashrrev_i32_e32 v76, 31, v76
	s_wait_alu 0xfffd
	v_xor_b32_e32 v74, vcc_lo, v74
	v_cmp_gt_i32_e32 vcc_lo, 0, v194
	v_and_b32_e32 v70, v70, v73
	v_not_b32_e32 v73, v75
	v_ashrrev_i32_e32 v72, 31, v72
	s_wait_alu 0xf1ff
	v_xor_b32_e32 v76, s15, v76
	v_cmp_gt_i32_e64 s15, 0, v75
	v_and_b32_e32 v70, v70, v74
	v_ashrrev_i32_e32 v73, 31, v73
	s_wait_alu 0xfffd
	v_xor_b32_e32 v72, vcc_lo, v72
	v_mad_u32_u24 v74, v71, 36, v147
	v_mul_u32_u24_e32 v71, 36, v71
	v_and_b32_e32 v70, v70, v76
	s_wait_alu 0xf1ff
	v_xor_b32_e32 v73, s15, v73
	ds_load_b32 v194, v74 offset:1056
	v_add_nc_u32_e32 v196, v147, v71
	v_and_b32_e32 v70, v70, v72
	; wave barrier
	s_delay_alu instid0(VALU_DEP_1) | instskip(NEXT) | instid1(VALU_DEP_1)
	v_and_b32_e32 v70, v70, v73
	v_mbcnt_lo_u32_b32 v195, v70, 0
	v_cmp_ne_u32_e64 s15, 0, v70
	s_delay_alu instid0(VALU_DEP_2)
	v_cmp_eq_u32_e32 vcc_lo, 0, v195
	s_and_b32 s16, s15, vcc_lo
	s_wait_alu 0xfffe
	s_and_saveexec_b32 s15, s16
	s_cbranch_execz .LBB813_152
; %bb.151:                              ;   in Loop: Header=BB813_96 Depth=2
	s_wait_dscnt 0x0
	v_bcnt_u32_b32 v70, v70, v194
	ds_store_b32 v196, v70 offset:1056
.LBB813_152:                            ;   in Loop: Header=BB813_96 Depth=2
	s_wait_alu 0xfffe
	s_or_b32 exec_lo, exec_lo, s15
	v_xor_b32_e32 v61, 0x80000000, v61
	; wave barrier
	s_delay_alu instid0(VALU_DEP_1) | instskip(NEXT) | instid1(VALU_DEP_1)
	v_lshrrev_b64 v[70:71], s48, v[60:61]
	v_and_b32_e32 v71, s55, v70
	s_delay_alu instid0(VALU_DEP_1)
	v_and_b32_e32 v70, 1, v71
	v_lshlrev_b32_e32 v72, 30, v71
	v_lshlrev_b32_e32 v73, 29, v71
	;; [unrolled: 1-line block ×4, first 2 shown]
	v_add_co_u32 v70, s15, v70, -1
	s_wait_alu 0xf1ff
	v_cndmask_b32_e64 v75, 0, 1, s15
	v_not_b32_e32 v198, v72
	v_cmp_gt_i32_e64 s15, 0, v72
	v_not_b32_e32 v72, v73
	v_lshlrev_b32_e32 v77, 26, v71
	v_cmp_ne_u32_e32 vcc_lo, 0, v75
	v_ashrrev_i32_e32 v198, 31, v198
	v_lshlrev_b32_e32 v197, 25, v71
	v_ashrrev_i32_e32 v72, 31, v72
	v_lshlrev_b32_e32 v75, 24, v71
	s_wait_alu 0xfffd
	v_xor_b32_e32 v70, vcc_lo, v70
	v_cmp_gt_i32_e32 vcc_lo, 0, v73
	v_not_b32_e32 v73, v74
	s_wait_alu 0xf1ff
	v_xor_b32_e32 v198, s15, v198
	v_cmp_gt_i32_e64 s15, 0, v74
	v_and_b32_e32 v70, exec_lo, v70
	v_not_b32_e32 v74, v76
	v_ashrrev_i32_e32 v73, 31, v73
	s_wait_alu 0xfffd
	v_xor_b32_e32 v72, vcc_lo, v72
	v_cmp_gt_i32_e32 vcc_lo, 0, v76
	v_and_b32_e32 v70, v70, v198
	v_not_b32_e32 v76, v77
	v_ashrrev_i32_e32 v74, 31, v74
	s_wait_alu 0xf1ff
	v_xor_b32_e32 v73, s15, v73
	v_cmp_gt_i32_e64 s15, 0, v77
	v_and_b32_e32 v70, v70, v72
	v_not_b32_e32 v72, v197
	v_ashrrev_i32_e32 v76, 31, v76
	s_wait_alu 0xfffd
	v_xor_b32_e32 v74, vcc_lo, v74
	v_cmp_gt_i32_e32 vcc_lo, 0, v197
	v_and_b32_e32 v70, v70, v73
	v_not_b32_e32 v73, v75
	v_ashrrev_i32_e32 v72, 31, v72
	s_wait_alu 0xf1ff
	v_xor_b32_e32 v76, s15, v76
	v_cmp_gt_i32_e64 s15, 0, v75
	v_and_b32_e32 v70, v70, v74
	v_ashrrev_i32_e32 v73, 31, v73
	s_wait_alu 0xfffd
	v_xor_b32_e32 v72, vcc_lo, v72
	v_mad_u32_u24 v74, v71, 36, v147
	v_mul_u32_u24_e32 v71, 36, v71
	v_and_b32_e32 v70, v70, v76
	s_wait_alu 0xf1ff
	v_xor_b32_e32 v73, s15, v73
	ds_load_b32 v197, v74 offset:1056
	v_add_nc_u32_e32 v199, v147, v71
	v_and_b32_e32 v70, v70, v72
	; wave barrier
	s_delay_alu instid0(VALU_DEP_1) | instskip(NEXT) | instid1(VALU_DEP_1)
	v_and_b32_e32 v70, v70, v73
	v_mbcnt_lo_u32_b32 v198, v70, 0
	v_cmp_ne_u32_e64 s15, 0, v70
	s_delay_alu instid0(VALU_DEP_2)
	v_cmp_eq_u32_e32 vcc_lo, 0, v198
	s_and_b32 s16, s15, vcc_lo
	s_wait_alu 0xfffe
	s_and_saveexec_b32 s15, s16
	s_cbranch_execz .LBB813_154
; %bb.153:                              ;   in Loop: Header=BB813_96 Depth=2
	s_wait_dscnt 0x0
	v_bcnt_u32_b32 v70, v70, v197
	ds_store_b32 v199, v70 offset:1056
.LBB813_154:                            ;   in Loop: Header=BB813_96 Depth=2
	s_wait_alu 0xfffe
	s_or_b32 exec_lo, exec_lo, s15
	v_xor_b32_e32 v59, 0x80000000, v59
	; wave barrier
	s_delay_alu instid0(VALU_DEP_1) | instskip(NEXT) | instid1(VALU_DEP_1)
	v_lshrrev_b64 v[70:71], s48, v[58:59]
	v_and_b32_e32 v71, s55, v70
	s_delay_alu instid0(VALU_DEP_1)
	v_and_b32_e32 v70, 1, v71
	v_lshlrev_b32_e32 v72, 30, v71
	v_lshlrev_b32_e32 v73, 29, v71
	;; [unrolled: 1-line block ×4, first 2 shown]
	v_add_co_u32 v70, s15, v70, -1
	s_wait_alu 0xf1ff
	v_cndmask_b32_e64 v75, 0, 1, s15
	v_not_b32_e32 v201, v72
	v_cmp_gt_i32_e64 s15, 0, v72
	v_not_b32_e32 v72, v73
	v_lshlrev_b32_e32 v77, 26, v71
	v_cmp_ne_u32_e32 vcc_lo, 0, v75
	v_ashrrev_i32_e32 v201, 31, v201
	v_lshlrev_b32_e32 v200, 25, v71
	v_ashrrev_i32_e32 v72, 31, v72
	v_lshlrev_b32_e32 v75, 24, v71
	s_wait_alu 0xfffd
	v_xor_b32_e32 v70, vcc_lo, v70
	v_cmp_gt_i32_e32 vcc_lo, 0, v73
	v_not_b32_e32 v73, v74
	s_wait_alu 0xf1ff
	v_xor_b32_e32 v201, s15, v201
	v_cmp_gt_i32_e64 s15, 0, v74
	v_and_b32_e32 v70, exec_lo, v70
	v_not_b32_e32 v74, v76
	v_ashrrev_i32_e32 v73, 31, v73
	s_wait_alu 0xfffd
	v_xor_b32_e32 v72, vcc_lo, v72
	v_cmp_gt_i32_e32 vcc_lo, 0, v76
	v_and_b32_e32 v70, v70, v201
	v_not_b32_e32 v76, v77
	v_ashrrev_i32_e32 v74, 31, v74
	s_wait_alu 0xf1ff
	v_xor_b32_e32 v73, s15, v73
	v_cmp_gt_i32_e64 s15, 0, v77
	v_and_b32_e32 v70, v70, v72
	v_not_b32_e32 v72, v200
	v_ashrrev_i32_e32 v76, 31, v76
	s_wait_alu 0xfffd
	v_xor_b32_e32 v74, vcc_lo, v74
	v_cmp_gt_i32_e32 vcc_lo, 0, v200
	v_and_b32_e32 v70, v70, v73
	v_not_b32_e32 v73, v75
	v_ashrrev_i32_e32 v72, 31, v72
	s_wait_alu 0xf1ff
	v_xor_b32_e32 v76, s15, v76
	v_cmp_gt_i32_e64 s15, 0, v75
	v_and_b32_e32 v70, v70, v74
	v_ashrrev_i32_e32 v73, 31, v73
	s_wait_alu 0xfffd
	v_xor_b32_e32 v72, vcc_lo, v72
	v_mad_u32_u24 v74, v71, 36, v147
	v_mul_u32_u24_e32 v71, 36, v71
	v_and_b32_e32 v70, v70, v76
	s_wait_alu 0xf1ff
	v_xor_b32_e32 v73, s15, v73
	ds_load_b32 v200, v74 offset:1056
	v_add_nc_u32_e32 v202, v147, v71
	v_and_b32_e32 v70, v70, v72
	; wave barrier
	s_delay_alu instid0(VALU_DEP_1) | instskip(NEXT) | instid1(VALU_DEP_1)
	v_and_b32_e32 v70, v70, v73
	v_mbcnt_lo_u32_b32 v201, v70, 0
	v_cmp_ne_u32_e64 s15, 0, v70
	s_delay_alu instid0(VALU_DEP_2)
	v_cmp_eq_u32_e32 vcc_lo, 0, v201
	s_and_b32 s16, s15, vcc_lo
	s_wait_alu 0xfffe
	s_and_saveexec_b32 s15, s16
	s_cbranch_execz .LBB813_156
; %bb.155:                              ;   in Loop: Header=BB813_96 Depth=2
	s_wait_dscnt 0x0
	v_bcnt_u32_b32 v70, v70, v200
	ds_store_b32 v202, v70 offset:1056
.LBB813_156:                            ;   in Loop: Header=BB813_96 Depth=2
	s_wait_alu 0xfffe
	s_or_b32 exec_lo, exec_lo, s15
	v_xor_b32_e32 v63, 0x80000000, v63
	; wave barrier
	s_delay_alu instid0(VALU_DEP_1) | instskip(NEXT) | instid1(VALU_DEP_1)
	v_lshrrev_b64 v[70:71], s48, v[62:63]
	v_and_b32_e32 v71, s55, v70
	s_delay_alu instid0(VALU_DEP_1)
	v_and_b32_e32 v70, 1, v71
	v_lshlrev_b32_e32 v72, 30, v71
	v_lshlrev_b32_e32 v73, 29, v71
	;; [unrolled: 1-line block ×4, first 2 shown]
	v_add_co_u32 v70, s15, v70, -1
	s_wait_alu 0xf1ff
	v_cndmask_b32_e64 v75, 0, 1, s15
	v_not_b32_e32 v204, v72
	v_cmp_gt_i32_e64 s15, 0, v72
	v_not_b32_e32 v72, v73
	v_lshlrev_b32_e32 v77, 26, v71
	v_cmp_ne_u32_e32 vcc_lo, 0, v75
	v_ashrrev_i32_e32 v204, 31, v204
	v_lshlrev_b32_e32 v203, 25, v71
	v_ashrrev_i32_e32 v72, 31, v72
	v_lshlrev_b32_e32 v75, 24, v71
	s_wait_alu 0xfffd
	v_xor_b32_e32 v70, vcc_lo, v70
	v_cmp_gt_i32_e32 vcc_lo, 0, v73
	v_not_b32_e32 v73, v74
	s_wait_alu 0xf1ff
	v_xor_b32_e32 v204, s15, v204
	v_cmp_gt_i32_e64 s15, 0, v74
	v_and_b32_e32 v70, exec_lo, v70
	v_not_b32_e32 v74, v76
	v_ashrrev_i32_e32 v73, 31, v73
	s_wait_alu 0xfffd
	v_xor_b32_e32 v72, vcc_lo, v72
	v_cmp_gt_i32_e32 vcc_lo, 0, v76
	v_and_b32_e32 v70, v70, v204
	v_not_b32_e32 v76, v77
	v_ashrrev_i32_e32 v74, 31, v74
	s_wait_alu 0xf1ff
	v_xor_b32_e32 v73, s15, v73
	v_cmp_gt_i32_e64 s15, 0, v77
	v_and_b32_e32 v70, v70, v72
	v_not_b32_e32 v72, v203
	v_ashrrev_i32_e32 v76, 31, v76
	s_wait_alu 0xfffd
	v_xor_b32_e32 v74, vcc_lo, v74
	v_cmp_gt_i32_e32 vcc_lo, 0, v203
	v_and_b32_e32 v70, v70, v73
	v_not_b32_e32 v73, v75
	v_ashrrev_i32_e32 v72, 31, v72
	s_wait_alu 0xf1ff
	v_xor_b32_e32 v76, s15, v76
	v_cmp_gt_i32_e64 s15, 0, v75
	v_and_b32_e32 v70, v70, v74
	v_ashrrev_i32_e32 v73, 31, v73
	s_wait_alu 0xfffd
	v_xor_b32_e32 v72, vcc_lo, v72
	v_mad_u32_u24 v74, v71, 36, v147
	v_mul_u32_u24_e32 v71, 36, v71
	v_and_b32_e32 v70, v70, v76
	s_wait_alu 0xf1ff
	v_xor_b32_e32 v73, s15, v73
	ds_load_b32 v203, v74 offset:1056
	v_add_nc_u32_e32 v206, v147, v71
	v_and_b32_e32 v70, v70, v72
	; wave barrier
	s_delay_alu instid0(VALU_DEP_1) | instskip(NEXT) | instid1(VALU_DEP_1)
	v_and_b32_e32 v70, v70, v73
	v_mbcnt_lo_u32_b32 v204, v70, 0
	v_cmp_ne_u32_e64 s15, 0, v70
	s_delay_alu instid0(VALU_DEP_2)
	v_cmp_eq_u32_e32 vcc_lo, 0, v204
	s_and_b32 s16, s15, vcc_lo
	s_wait_alu 0xfffe
	s_and_saveexec_b32 s15, s16
	s_cbranch_execz .LBB813_158
; %bb.157:                              ;   in Loop: Header=BB813_96 Depth=2
	s_wait_dscnt 0x0
	v_bcnt_u32_b32 v70, v70, v203
	ds_store_b32 v206, v70 offset:1056
.LBB813_158:                            ;   in Loop: Header=BB813_96 Depth=2
	s_wait_alu 0xfffe
	s_or_b32 exec_lo, exec_lo, s15
	v_xor_b32_e32 v65, 0x80000000, v65
	; wave barrier
	s_delay_alu instid0(VALU_DEP_1) | instskip(NEXT) | instid1(VALU_DEP_1)
	v_lshrrev_b64 v[70:71], s48, v[64:65]
	v_and_b32_e32 v71, s55, v70
	s_delay_alu instid0(VALU_DEP_1)
	v_and_b32_e32 v70, 1, v71
	v_lshlrev_b32_e32 v72, 30, v71
	v_lshlrev_b32_e32 v73, 29, v71
	;; [unrolled: 1-line block ×4, first 2 shown]
	v_add_co_u32 v70, s15, v70, -1
	s_wait_alu 0xf1ff
	v_cndmask_b32_e64 v75, 0, 1, s15
	v_not_b32_e32 v207, v72
	v_cmp_gt_i32_e64 s15, 0, v72
	v_not_b32_e32 v72, v73
	v_lshlrev_b32_e32 v77, 26, v71
	v_cmp_ne_u32_e32 vcc_lo, 0, v75
	v_ashrrev_i32_e32 v207, 31, v207
	v_lshlrev_b32_e32 v205, 25, v71
	v_ashrrev_i32_e32 v72, 31, v72
	v_lshlrev_b32_e32 v75, 24, v71
	s_wait_alu 0xfffd
	v_xor_b32_e32 v70, vcc_lo, v70
	v_cmp_gt_i32_e32 vcc_lo, 0, v73
	v_not_b32_e32 v73, v74
	s_wait_alu 0xf1ff
	v_xor_b32_e32 v207, s15, v207
	v_cmp_gt_i32_e64 s15, 0, v74
	v_and_b32_e32 v70, exec_lo, v70
	v_not_b32_e32 v74, v76
	v_ashrrev_i32_e32 v73, 31, v73
	s_wait_alu 0xfffd
	v_xor_b32_e32 v72, vcc_lo, v72
	v_cmp_gt_i32_e32 vcc_lo, 0, v76
	v_and_b32_e32 v70, v70, v207
	v_not_b32_e32 v76, v77
	v_ashrrev_i32_e32 v74, 31, v74
	s_wait_alu 0xf1ff
	v_xor_b32_e32 v73, s15, v73
	v_cmp_gt_i32_e64 s15, 0, v77
	v_and_b32_e32 v70, v70, v72
	v_not_b32_e32 v72, v205
	v_ashrrev_i32_e32 v76, 31, v76
	s_wait_alu 0xfffd
	v_xor_b32_e32 v74, vcc_lo, v74
	v_cmp_gt_i32_e32 vcc_lo, 0, v205
	v_and_b32_e32 v70, v70, v73
	v_not_b32_e32 v73, v75
	v_ashrrev_i32_e32 v72, 31, v72
	s_wait_alu 0xf1ff
	v_xor_b32_e32 v76, s15, v76
	v_cmp_gt_i32_e64 s15, 0, v75
	v_and_b32_e32 v70, v70, v74
	v_ashrrev_i32_e32 v73, 31, v73
	s_wait_alu 0xfffd
	v_xor_b32_e32 v72, vcc_lo, v72
	v_mad_u32_u24 v74, v71, 36, v147
	v_mul_u32_u24_e32 v71, 36, v71
	v_and_b32_e32 v70, v70, v76
	s_wait_alu 0xf1ff
	v_xor_b32_e32 v73, s15, v73
	ds_load_b32 v205, v74 offset:1056
	v_add_nc_u32_e32 v209, v147, v71
	v_and_b32_e32 v70, v70, v72
	; wave barrier
	s_delay_alu instid0(VALU_DEP_1) | instskip(NEXT) | instid1(VALU_DEP_1)
	v_and_b32_e32 v70, v70, v73
	v_mbcnt_lo_u32_b32 v207, v70, 0
	v_cmp_ne_u32_e64 s15, 0, v70
	s_delay_alu instid0(VALU_DEP_2)
	v_cmp_eq_u32_e32 vcc_lo, 0, v207
	s_and_b32 s16, s15, vcc_lo
	s_wait_alu 0xfffe
	s_and_saveexec_b32 s15, s16
	s_cbranch_execz .LBB813_160
; %bb.159:                              ;   in Loop: Header=BB813_96 Depth=2
	s_wait_dscnt 0x0
	v_bcnt_u32_b32 v70, v70, v205
	ds_store_b32 v209, v70 offset:1056
.LBB813_160:                            ;   in Loop: Header=BB813_96 Depth=2
	s_wait_alu 0xfffe
	s_or_b32 exec_lo, exec_lo, s15
	v_xor_b32_e32 v67, 0x80000000, v67
	; wave barrier
	s_delay_alu instid0(VALU_DEP_1) | instskip(NEXT) | instid1(VALU_DEP_1)
	v_lshrrev_b64 v[70:71], s48, v[66:67]
	v_and_b32_e32 v71, s55, v70
	s_delay_alu instid0(VALU_DEP_1)
	v_and_b32_e32 v70, 1, v71
	v_lshlrev_b32_e32 v72, 30, v71
	v_lshlrev_b32_e32 v73, 29, v71
	;; [unrolled: 1-line block ×4, first 2 shown]
	v_add_co_u32 v70, s15, v70, -1
	s_wait_alu 0xf1ff
	v_cndmask_b32_e64 v75, 0, 1, s15
	v_not_b32_e32 v210, v72
	v_cmp_gt_i32_e64 s15, 0, v72
	v_not_b32_e32 v72, v73
	v_lshlrev_b32_e32 v77, 26, v71
	v_cmp_ne_u32_e32 vcc_lo, 0, v75
	v_ashrrev_i32_e32 v210, 31, v210
	v_lshlrev_b32_e32 v208, 25, v71
	v_ashrrev_i32_e32 v72, 31, v72
	v_lshlrev_b32_e32 v75, 24, v71
	s_wait_alu 0xfffd
	v_xor_b32_e32 v70, vcc_lo, v70
	v_cmp_gt_i32_e32 vcc_lo, 0, v73
	v_not_b32_e32 v73, v74
	s_wait_alu 0xf1ff
	v_xor_b32_e32 v210, s15, v210
	v_cmp_gt_i32_e64 s15, 0, v74
	v_and_b32_e32 v70, exec_lo, v70
	v_not_b32_e32 v74, v76
	v_ashrrev_i32_e32 v73, 31, v73
	s_wait_alu 0xfffd
	v_xor_b32_e32 v72, vcc_lo, v72
	v_cmp_gt_i32_e32 vcc_lo, 0, v76
	v_and_b32_e32 v70, v70, v210
	v_not_b32_e32 v76, v77
	v_ashrrev_i32_e32 v74, 31, v74
	s_wait_alu 0xf1ff
	v_xor_b32_e32 v73, s15, v73
	v_cmp_gt_i32_e64 s15, 0, v77
	v_and_b32_e32 v70, v70, v72
	v_not_b32_e32 v72, v208
	v_ashrrev_i32_e32 v76, 31, v76
	s_wait_alu 0xfffd
	v_xor_b32_e32 v74, vcc_lo, v74
	v_cmp_gt_i32_e32 vcc_lo, 0, v208
	v_and_b32_e32 v70, v70, v73
	v_not_b32_e32 v73, v75
	v_ashrrev_i32_e32 v72, 31, v72
	s_wait_alu 0xf1ff
	v_xor_b32_e32 v76, s15, v76
	v_cmp_gt_i32_e64 s15, 0, v75
	v_and_b32_e32 v70, v70, v74
	v_ashrrev_i32_e32 v73, 31, v73
	s_wait_alu 0xfffd
	v_xor_b32_e32 v72, vcc_lo, v72
	v_mad_u32_u24 v74, v71, 36, v147
	v_mul_u32_u24_e32 v71, 36, v71
	v_and_b32_e32 v70, v70, v76
	s_wait_alu 0xf1ff
	v_xor_b32_e32 v73, s15, v73
	ds_load_b32 v208, v74 offset:1056
	v_add_nc_u32_e32 v213, v147, v71
	v_and_b32_e32 v70, v70, v72
	; wave barrier
	s_delay_alu instid0(VALU_DEP_1) | instskip(NEXT) | instid1(VALU_DEP_1)
	v_and_b32_e32 v70, v70, v73
	v_mbcnt_lo_u32_b32 v210, v70, 0
	v_cmp_ne_u32_e64 s15, 0, v70
	s_delay_alu instid0(VALU_DEP_2)
	v_cmp_eq_u32_e32 vcc_lo, 0, v210
	s_and_b32 s16, s15, vcc_lo
	s_wait_alu 0xfffe
	s_and_saveexec_b32 s15, s16
	s_cbranch_execz .LBB813_162
; %bb.161:                              ;   in Loop: Header=BB813_96 Depth=2
	s_wait_dscnt 0x0
	v_bcnt_u32_b32 v70, v70, v208
	ds_store_b32 v213, v70 offset:1056
.LBB813_162:                            ;   in Loop: Header=BB813_96 Depth=2
	s_wait_alu 0xfffe
	s_or_b32 exec_lo, exec_lo, s15
	v_lshrrev_b64 v[70:71], s48, v[68:69]
	; wave barrier
	s_delay_alu instid0(VALU_DEP_1) | instskip(NEXT) | instid1(VALU_DEP_1)
	v_and_b32_e32 v71, s55, v70
	v_and_b32_e32 v70, 1, v71
	v_lshlrev_b32_e32 v72, 30, v71
	v_lshlrev_b32_e32 v73, 29, v71
	;; [unrolled: 1-line block ×4, first 2 shown]
	v_add_co_u32 v70, s15, v70, -1
	s_wait_alu 0xf1ff
	v_cndmask_b32_e64 v75, 0, 1, s15
	v_not_b32_e32 v212, v72
	v_cmp_gt_i32_e64 s15, 0, v72
	v_not_b32_e32 v72, v73
	v_lshlrev_b32_e32 v77, 26, v71
	v_cmp_ne_u32_e32 vcc_lo, 0, v75
	v_ashrrev_i32_e32 v212, 31, v212
	v_lshlrev_b32_e32 v211, 25, v71
	v_ashrrev_i32_e32 v72, 31, v72
	v_lshlrev_b32_e32 v75, 24, v71
	s_wait_alu 0xfffd
	v_xor_b32_e32 v70, vcc_lo, v70
	v_cmp_gt_i32_e32 vcc_lo, 0, v73
	v_not_b32_e32 v73, v74
	s_wait_alu 0xf1ff
	v_xor_b32_e32 v212, s15, v212
	v_cmp_gt_i32_e64 s15, 0, v74
	v_and_b32_e32 v70, exec_lo, v70
	v_not_b32_e32 v74, v76
	v_ashrrev_i32_e32 v73, 31, v73
	s_wait_alu 0xfffd
	v_xor_b32_e32 v72, vcc_lo, v72
	v_cmp_gt_i32_e32 vcc_lo, 0, v76
	v_and_b32_e32 v70, v70, v212
	v_not_b32_e32 v76, v77
	v_ashrrev_i32_e32 v74, 31, v74
	s_wait_alu 0xf1ff
	v_xor_b32_e32 v73, s15, v73
	v_cmp_gt_i32_e64 s15, 0, v77
	v_and_b32_e32 v70, v70, v72
	v_not_b32_e32 v72, v211
	v_ashrrev_i32_e32 v76, 31, v76
	s_wait_alu 0xfffd
	v_xor_b32_e32 v74, vcc_lo, v74
	v_cmp_gt_i32_e32 vcc_lo, 0, v211
	v_and_b32_e32 v70, v70, v73
	v_not_b32_e32 v73, v75
	v_ashrrev_i32_e32 v72, 31, v72
	s_wait_alu 0xf1ff
	v_xor_b32_e32 v76, s15, v76
	v_cmp_gt_i32_e64 s15, 0, v75
	v_and_b32_e32 v70, v70, v74
	v_ashrrev_i32_e32 v73, 31, v73
	s_wait_alu 0xfffd
	v_xor_b32_e32 v72, vcc_lo, v72
	v_mad_u32_u24 v74, v71, 36, v147
	v_mul_u32_u24_e32 v71, 36, v71
	v_and_b32_e32 v70, v70, v76
	s_wait_alu 0xf1ff
	v_xor_b32_e32 v73, s15, v73
	ds_load_b32 v211, v74 offset:1056
	v_add_nc_u32_e32 v214, v147, v71
	v_and_b32_e32 v70, v70, v72
	; wave barrier
	s_delay_alu instid0(VALU_DEP_1) | instskip(NEXT) | instid1(VALU_DEP_1)
	v_and_b32_e32 v70, v70, v73
	v_mbcnt_lo_u32_b32 v212, v70, 0
	v_cmp_ne_u32_e64 s15, 0, v70
	s_delay_alu instid0(VALU_DEP_2)
	v_cmp_eq_u32_e32 vcc_lo, 0, v212
	s_and_b32 s16, s15, vcc_lo
	s_wait_alu 0xfffe
	s_and_saveexec_b32 s15, s16
	s_cbranch_execz .LBB813_164
; %bb.163:                              ;   in Loop: Header=BB813_96 Depth=2
	s_wait_dscnt 0x0
	v_bcnt_u32_b32 v70, v70, v211
	ds_store_b32 v214, v70 offset:1056
.LBB813_164:                            ;   in Loop: Header=BB813_96 Depth=2
	s_wait_alu 0xfffe
	s_or_b32 exec_lo, exec_lo, s15
	; wave barrier
	s_wait_loadcnt_dscnt 0x0
	s_barrier_signal -1
	s_barrier_wait -1
	global_inv scope:SCOPE_SE
	ds_load_2addr_b32 v[76:77], v166 offset1:1
	ds_load_2addr_b32 v[74:75], v167 offset1:1
	;; [unrolled: 1-line block ×4, first 2 shown]
	ds_load_b32 v215, v102 offset:1088
	s_wait_dscnt 0x3
	v_add3_u32 v216, v77, v76, v74
	s_wait_dscnt 0x2
	s_delay_alu instid0(VALU_DEP_1) | instskip(SKIP_1) | instid1(VALU_DEP_1)
	v_add3_u32 v216, v216, v75, v72
	s_wait_dscnt 0x1
	v_add3_u32 v216, v216, v73, v70
	s_wait_dscnt 0x0
	s_delay_alu instid0(VALU_DEP_1) | instskip(NEXT) | instid1(VALU_DEP_1)
	v_add3_u32 v215, v216, v71, v215
	v_mov_b32_dpp v216, v215 row_shr:1 row_mask:0xf bank_mask:0xf
	s_delay_alu instid0(VALU_DEP_1) | instskip(NEXT) | instid1(VALU_DEP_1)
	v_cndmask_b32_e64 v216, v216, 0, s0
	v_add_nc_u32_e32 v215, v216, v215
	s_delay_alu instid0(VALU_DEP_1) | instskip(NEXT) | instid1(VALU_DEP_1)
	v_mov_b32_dpp v216, v215 row_shr:2 row_mask:0xf bank_mask:0xf
	v_cndmask_b32_e64 v216, 0, v216, s1
	s_delay_alu instid0(VALU_DEP_1) | instskip(NEXT) | instid1(VALU_DEP_1)
	v_add_nc_u32_e32 v215, v215, v216
	v_mov_b32_dpp v216, v215 row_shr:4 row_mask:0xf bank_mask:0xf
	s_delay_alu instid0(VALU_DEP_1) | instskip(NEXT) | instid1(VALU_DEP_1)
	v_cndmask_b32_e64 v216, 0, v216, s8
	v_add_nc_u32_e32 v215, v215, v216
	s_delay_alu instid0(VALU_DEP_1) | instskip(NEXT) | instid1(VALU_DEP_1)
	v_mov_b32_dpp v216, v215 row_shr:8 row_mask:0xf bank_mask:0xf
	v_cndmask_b32_e64 v216, 0, v216, s9
	s_delay_alu instid0(VALU_DEP_1) | instskip(SKIP_3) | instid1(VALU_DEP_1)
	v_add_nc_u32_e32 v215, v215, v216
	ds_swizzle_b32 v216, v215 offset:swizzle(BROADCAST,32,15)
	s_wait_dscnt 0x0
	v_cndmask_b32_e64 v216, v216, 0, s10
	v_add_nc_u32_e32 v215, v215, v216
	s_and_saveexec_b32 s15, s3
; %bb.165:                              ;   in Loop: Header=BB813_96 Depth=2
	ds_store_b32 v97, v215 offset:1024
; %bb.166:                              ;   in Loop: Header=BB813_96 Depth=2
	s_wait_alu 0xfffe
	s_or_b32 exec_lo, exec_lo, s15
	s_wait_loadcnt_dscnt 0x0
	s_barrier_signal -1
	s_barrier_wait -1
	global_inv scope:SCOPE_SE
	s_and_saveexec_b32 s15, s4
	s_cbranch_execz .LBB813_168
; %bb.167:                              ;   in Loop: Header=BB813_96 Depth=2
	ds_load_b32 v216, v105 offset:1024
	s_wait_dscnt 0x0
	v_mov_b32_dpp v217, v216 row_shr:1 row_mask:0xf bank_mask:0xf
	s_delay_alu instid0(VALU_DEP_1) | instskip(NEXT) | instid1(VALU_DEP_1)
	v_cndmask_b32_e64 v217, v217, 0, s12
	v_add_nc_u32_e32 v216, v217, v216
	s_delay_alu instid0(VALU_DEP_1) | instskip(NEXT) | instid1(VALU_DEP_1)
	v_mov_b32_dpp v217, v216 row_shr:2 row_mask:0xf bank_mask:0xf
	v_cndmask_b32_e64 v217, 0, v217, s13
	s_delay_alu instid0(VALU_DEP_1) | instskip(NEXT) | instid1(VALU_DEP_1)
	v_add_nc_u32_e32 v216, v216, v217
	v_mov_b32_dpp v217, v216 row_shr:4 row_mask:0xf bank_mask:0xf
	s_delay_alu instid0(VALU_DEP_1) | instskip(NEXT) | instid1(VALU_DEP_1)
	v_cndmask_b32_e64 v217, 0, v217, s14
	v_add_nc_u32_e32 v216, v216, v217
	ds_store_b32 v105, v216 offset:1024
.LBB813_168:                            ;   in Loop: Header=BB813_96 Depth=2
	s_wait_alu 0xfffe
	s_or_b32 exec_lo, exec_lo, s15
	v_mov_b32_e32 v216, 0
	s_wait_loadcnt_dscnt 0x0
	s_barrier_signal -1
	s_barrier_wait -1
	global_inv scope:SCOPE_SE
	s_and_saveexec_b32 s15, s5
; %bb.169:                              ;   in Loop: Header=BB813_96 Depth=2
	ds_load_b32 v216, v97 offset:1020
; %bb.170:                              ;   in Loop: Header=BB813_96 Depth=2
	s_wait_alu 0xfffe
	s_or_b32 exec_lo, exec_lo, s15
	s_wait_dscnt 0x0
	v_add_nc_u32_e32 v215, v216, v215
	ds_bpermute_b32 v215, v126, v215
	s_wait_dscnt 0x0
	v_cndmask_b32_e64 v215, v215, v216, s11
	s_delay_alu instid0(VALU_DEP_1) | instskip(NEXT) | instid1(VALU_DEP_1)
	v_cndmask_b32_e64 v215, v215, 0, s6
	v_add_nc_u32_e32 v76, v215, v76
	s_delay_alu instid0(VALU_DEP_1) | instskip(NEXT) | instid1(VALU_DEP_1)
	v_add_nc_u32_e32 v77, v76, v77
	v_add_nc_u32_e32 v74, v77, v74
	s_delay_alu instid0(VALU_DEP_1) | instskip(NEXT) | instid1(VALU_DEP_1)
	v_add_nc_u32_e32 v75, v74, v75
	;; [unrolled: 3-line block ×3, first 2 shown]
	v_add_nc_u32_e32 v70, v73, v70
	s_delay_alu instid0(VALU_DEP_1)
	v_add_nc_u32_e32 v71, v70, v71
	ds_store_2addr_b32 v165, v73, v70 offset1:1
	ds_store_2addr_b32 v166, v215, v76 offset1:1
	;; [unrolled: 1-line block ×4, first 2 shown]
	ds_store_b32 v102, v71 offset:1088
	s_wait_loadcnt_dscnt 0x0
	s_barrier_signal -1
	s_barrier_wait -1
	global_inv scope:SCOPE_SE
	ds_load_b32 v71, v169 offset:1056
	ds_load_b32 v216, v172 offset:1056
	;; [unrolled: 1-line block ×17, first 2 shown]
	v_mov_b32_e32 v70, 0x1000
	s_and_saveexec_b32 s15, s7
; %bb.171:                              ;   in Loop: Header=BB813_96 Depth=2
	ds_load_b32 v70, v102 offset:1092
; %bb.172:                              ;   in Loop: Header=BB813_96 Depth=2
	s_wait_alu 0xfffe
	s_or_b32 exec_lo, exec_lo, s15
	s_wait_loadcnt_dscnt 0x0
	s_barrier_signal -1
	s_barrier_wait -1
	global_inv scope:SCOPE_SE
	s_and_saveexec_b32 s15, s2
	s_cbranch_execz .LBB813_174
; %bb.173:                              ;   in Loop: Header=BB813_96 Depth=2
	ds_load_b32 v181, v78
	s_wait_dscnt 0x0
	v_sub_nc_u32_e32 v178, v181, v178
	ds_store_b32 v78, v178
.LBB813_174:                            ;   in Loop: Header=BB813_96 Depth=2
	s_wait_alu 0xfffe
	s_or_b32 exec_lo, exec_lo, s15
	v_lshlrev_b32_e32 v2, 3, v2
	v_lshlrev_b32_e32 v171, 3, v171
	;; [unrolled: 1-line block ×5, first 2 shown]
	v_lshl_add_u32 v71, v71, 3, v2
	v_lshlrev_b32_e32 v2, 3, v173
	v_lshlrev_b32_e32 v173, 3, v215
	v_lshlrev_b32_e32 v177, 3, v177
	v_lshlrev_b32_e32 v176, 3, v176
	v_lshlrev_b32_e32 v74, 3, v74
	v_lshlrev_b32_e32 v180, 3, v180
	v_lshlrev_b32_e32 v179, 3, v179
	v_lshlrev_b32_e32 v73, 3, v73
	v_lshlrev_b32_e32 v181, 3, v183
	v_lshlrev_b32_e32 v182, 3, v182
	v_lshlrev_b32_e32 v183, 3, v72
	ds_store_b64 v71, v[40:41] offset:1024
	v_add3_u32 v40, v171, v170, v178
	v_add3_u32 v41, v174, v2, v173
	;; [unrolled: 1-line block ×5, first 2 shown]
	ds_store_b64 v40, v[38:39] offset:1024
	ds_store_b64 v41, v[42:43] offset:1024
	ds_store_b64 v72, v[44:45] offset:1024
	ds_store_b64 v73, v[46:47] offset:1024
	ds_store_b64 v74, v[50:51] offset:1024
	v_lshlrev_b32_e32 v2, 3, v186
	v_lshlrev_b32_e32 v38, 3, v185
	v_lshlrev_b32_e32 v39, 3, v175
	v_lshlrev_b32_e32 v43, 3, v189
	v_lshlrev_b32_e32 v44, 3, v188
	v_lshlrev_b32_e32 v45, 3, v172
	v_lshlrev_b32_e32 v46, 3, v192
	v_lshlrev_b32_e32 v47, 3, v191
	v_lshlrev_b32_e32 v50, 3, v169
	v_lshlrev_b32_e32 v51, 3, v195
	v_lshlrev_b32_e32 v169, 3, v194
	v_lshlrev_b32_e32 v168, 3, v168
	v_lshlrev_b32_e32 v170, 3, v198
	v_lshlrev_b32_e32 v171, 3, v197
	v_lshlrev_b32_e32 v167, 3, v167
	v_add3_u32 v42, v2, v38, v39
	v_add3_u32 v43, v43, v44, v45
	;; [unrolled: 1-line block ×5, first 2 shown]
	ds_store_b64 v42, v[48:49] offset:1024
	ds_store_b64 v43, v[52:53] offset:1024
	;; [unrolled: 1-line block ×5, first 2 shown]
	v_lshlrev_b32_e32 v2, 3, v201
	v_lshlrev_b32_e32 v38, 3, v200
	;; [unrolled: 1-line block ×15, first 2 shown]
	v_add3_u32 v47, v2, v38, v39
	v_add3_u32 v48, v48, v49, v50
	;; [unrolled: 1-line block ×5, first 2 shown]
	v_cmp_lt_u32_e32 vcc_lo, v1, v164
	ds_store_b64 v47, v[58:59] offset:1024
	ds_store_b64 v48, v[62:63] offset:1024
	;; [unrolled: 1-line block ×5, first 2 shown]
	s_wait_loadcnt_dscnt 0x0
	s_barrier_signal -1
	s_barrier_wait -1
	global_inv scope:SCOPE_SE
	s_and_saveexec_b32 s16, vcc_lo
	s_cbranch_execnz .LBB813_243
; %bb.175:                              ;   in Loop: Header=BB813_96 Depth=2
	s_wait_alu 0xfffe
	s_or_b32 exec_lo, exec_lo, s16
	v_cmp_lt_u32_e64 s15, v79, v164
	s_and_saveexec_b32 s17, s15
	s_cbranch_execnz .LBB813_244
.LBB813_176:                            ;   in Loop: Header=BB813_96 Depth=2
	s_wait_alu 0xfffe
	s_or_b32 exec_lo, exec_lo, s17
	v_cmp_lt_u32_e64 s16, v80, v164
	s_and_saveexec_b32 s18, s16
	s_cbranch_execnz .LBB813_245
.LBB813_177:                            ;   in Loop: Header=BB813_96 Depth=2
	s_wait_alu 0xfffe
	s_or_b32 exec_lo, exec_lo, s18
	v_cmp_lt_u32_e64 s17, v81, v164
	s_and_saveexec_b32 s19, s17
	s_cbranch_execnz .LBB813_246
.LBB813_178:                            ;   in Loop: Header=BB813_96 Depth=2
	s_wait_alu 0xfffe
	s_or_b32 exec_lo, exec_lo, s19
	v_cmp_lt_u32_e64 s18, v84, v164
	s_and_saveexec_b32 s20, s18
	s_cbranch_execnz .LBB813_247
.LBB813_179:                            ;   in Loop: Header=BB813_96 Depth=2
	s_wait_alu 0xfffe
	s_or_b32 exec_lo, exec_lo, s20
	v_cmp_lt_u32_e64 s19, v85, v164
	s_and_saveexec_b32 s21, s19
	s_cbranch_execnz .LBB813_248
.LBB813_180:                            ;   in Loop: Header=BB813_96 Depth=2
	s_wait_alu 0xfffe
	s_or_b32 exec_lo, exec_lo, s21
	v_cmp_lt_u32_e64 s20, v86, v164
	s_and_saveexec_b32 s22, s20
	s_cbranch_execnz .LBB813_249
.LBB813_181:                            ;   in Loop: Header=BB813_96 Depth=2
	s_wait_alu 0xfffe
	s_or_b32 exec_lo, exec_lo, s22
	v_cmp_lt_u32_e64 s21, v87, v164
	s_and_saveexec_b32 s23, s21
	s_cbranch_execnz .LBB813_250
.LBB813_182:                            ;   in Loop: Header=BB813_96 Depth=2
	s_wait_alu 0xfffe
	s_or_b32 exec_lo, exec_lo, s23
	v_cmp_lt_u32_e64 s22, v88, v164
	s_and_saveexec_b32 s24, s22
	s_cbranch_execnz .LBB813_251
.LBB813_183:                            ;   in Loop: Header=BB813_96 Depth=2
	s_wait_alu 0xfffe
	s_or_b32 exec_lo, exec_lo, s24
	v_cmp_lt_u32_e64 s23, v89, v164
	s_and_saveexec_b32 s25, s23
	s_cbranch_execnz .LBB813_252
.LBB813_184:                            ;   in Loop: Header=BB813_96 Depth=2
	s_wait_alu 0xfffe
	s_or_b32 exec_lo, exec_lo, s25
	v_cmp_lt_u32_e64 s24, v90, v164
	s_and_saveexec_b32 s26, s24
	s_cbranch_execnz .LBB813_253
.LBB813_185:                            ;   in Loop: Header=BB813_96 Depth=2
	s_wait_alu 0xfffe
	s_or_b32 exec_lo, exec_lo, s26
	v_cmp_lt_u32_e64 s25, v91, v164
	s_and_saveexec_b32 s27, s25
	s_cbranch_execnz .LBB813_254
.LBB813_186:                            ;   in Loop: Header=BB813_96 Depth=2
	s_wait_alu 0xfffe
	s_or_b32 exec_lo, exec_lo, s27
	v_cmp_lt_u32_e64 s26, v92, v164
	s_and_saveexec_b32 s28, s26
	s_cbranch_execnz .LBB813_255
.LBB813_187:                            ;   in Loop: Header=BB813_96 Depth=2
	s_wait_alu 0xfffe
	s_or_b32 exec_lo, exec_lo, s28
	v_cmp_lt_u32_e64 s27, v93, v164
	s_and_saveexec_b32 s29, s27
	s_cbranch_execnz .LBB813_256
.LBB813_188:                            ;   in Loop: Header=BB813_96 Depth=2
	s_wait_alu 0xfffe
	s_or_b32 exec_lo, exec_lo, s29
	v_cmp_lt_u32_e64 s28, v94, v164
	s_and_saveexec_b32 s30, s28
	s_cbranch_execnz .LBB813_257
.LBB813_189:                            ;   in Loop: Header=BB813_96 Depth=2
	s_wait_alu 0xfffe
	s_or_b32 exec_lo, exec_lo, s30
	v_cmp_lt_u32_e64 s29, v95, v164
	s_and_saveexec_b32 s58, s29
	s_cbranch_execz .LBB813_191
.LBB813_190:                            ;   in Loop: Header=BB813_96 Depth=2
	ds_load_b64 v[38:39], v110 offset:31744
	s_wait_dscnt 0x0
	v_lshrrev_b64 v[52:53], s48, v[38:39]
	v_xor_b32_e32 v39, 0x80000000, v39
	s_delay_alu instid0(VALU_DEP_2) | instskip(NEXT) | instid1(VALU_DEP_1)
	v_and_b32_e32 v2, s55, v52
	v_lshlrev_b32_e32 v2, 2, v2
	ds_load_b32 v2, v2
	s_wait_dscnt 0x0
	v_add_nc_u32_e32 v2, v2, v95
	s_delay_alu instid0(VALU_DEP_1) | instskip(NEXT) | instid1(VALU_DEP_1)
	v_lshlrev_b64_e32 v[52:53], 3, v[2:3]
	v_add_co_u32 v52, s30, s38, v52
	s_wait_alu 0xf1ff
	s_delay_alu instid0(VALU_DEP_2)
	v_add_co_ci_u32_e64 v53, null, s39, v53, s30
	global_store_b64 v[52:53], v[38:39], off
.LBB813_191:                            ;   in Loop: Header=BB813_96 Depth=2
	s_wait_alu 0xfffe
	s_or_b32 exec_lo, exec_lo, s58
	s_lshl_b64 s[58:59], s[34:35], 3
	s_wait_alu 0xfffe
	v_add_co_u32 v38, s30, v128, s58
	s_wait_alu 0xf1ff
	v_add_co_ci_u32_e64 v39, null, s59, v129, s30
	v_cmp_lt_u32_e64 s30, v127, v164
	s_and_saveexec_b32 s34, s30
	s_wait_alu 0xfffe
	s_xor_b32 s30, exec_lo, s34
	s_cbranch_execnz .LBB813_258
; %bb.192:                              ;   in Loop: Header=BB813_96 Depth=2
	s_wait_alu 0xfffe
	s_or_b32 exec_lo, exec_lo, s30
	s_delay_alu instid0(SALU_CYCLE_1)
	s_mov_b32 s34, exec_lo
	v_cmpx_lt_u32_e64 v130, v164
	s_cbranch_execnz .LBB813_259
.LBB813_193:                            ;   in Loop: Header=BB813_96 Depth=2
	s_wait_alu 0xfffe
	s_or_b32 exec_lo, exec_lo, s34
	s_delay_alu instid0(SALU_CYCLE_1)
	s_mov_b32 s34, exec_lo
	v_cmpx_lt_u32_e64 v131, v164
	s_cbranch_execnz .LBB813_260
.LBB813_194:                            ;   in Loop: Header=BB813_96 Depth=2
	s_wait_alu 0xfffe
	s_or_b32 exec_lo, exec_lo, s34
	s_delay_alu instid0(SALU_CYCLE_1)
	s_mov_b32 s34, exec_lo
	v_cmpx_lt_u32_e64 v132, v164
	s_cbranch_execnz .LBB813_261
.LBB813_195:                            ;   in Loop: Header=BB813_96 Depth=2
	s_wait_alu 0xfffe
	s_or_b32 exec_lo, exec_lo, s34
	s_delay_alu instid0(SALU_CYCLE_1)
	s_mov_b32 s34, exec_lo
	v_cmpx_lt_u32_e64 v133, v164
	s_cbranch_execnz .LBB813_262
.LBB813_196:                            ;   in Loop: Header=BB813_96 Depth=2
	s_wait_alu 0xfffe
	s_or_b32 exec_lo, exec_lo, s34
	s_delay_alu instid0(SALU_CYCLE_1)
	s_mov_b32 s34, exec_lo
	v_cmpx_lt_u32_e64 v134, v164
	s_cbranch_execnz .LBB813_263
.LBB813_197:                            ;   in Loop: Header=BB813_96 Depth=2
	s_wait_alu 0xfffe
	s_or_b32 exec_lo, exec_lo, s34
	s_delay_alu instid0(SALU_CYCLE_1)
	s_mov_b32 s34, exec_lo
	v_cmpx_lt_u32_e64 v135, v164
	s_cbranch_execnz .LBB813_264
.LBB813_198:                            ;   in Loop: Header=BB813_96 Depth=2
	s_wait_alu 0xfffe
	s_or_b32 exec_lo, exec_lo, s34
	s_delay_alu instid0(SALU_CYCLE_1)
	s_mov_b32 s34, exec_lo
	v_cmpx_lt_u32_e64 v136, v164
	s_cbranch_execnz .LBB813_265
.LBB813_199:                            ;   in Loop: Header=BB813_96 Depth=2
	s_wait_alu 0xfffe
	s_or_b32 exec_lo, exec_lo, s34
	s_delay_alu instid0(SALU_CYCLE_1)
	s_mov_b32 s34, exec_lo
	v_cmpx_lt_u32_e64 v137, v164
	s_cbranch_execnz .LBB813_266
.LBB813_200:                            ;   in Loop: Header=BB813_96 Depth=2
	s_wait_alu 0xfffe
	s_or_b32 exec_lo, exec_lo, s34
	s_delay_alu instid0(SALU_CYCLE_1)
	s_mov_b32 s34, exec_lo
	v_cmpx_lt_u32_e64 v138, v164
	s_cbranch_execnz .LBB813_267
.LBB813_201:                            ;   in Loop: Header=BB813_96 Depth=2
	s_wait_alu 0xfffe
	s_or_b32 exec_lo, exec_lo, s34
	s_delay_alu instid0(SALU_CYCLE_1)
	s_mov_b32 s34, exec_lo
	v_cmpx_lt_u32_e64 v139, v164
	s_cbranch_execnz .LBB813_268
.LBB813_202:                            ;   in Loop: Header=BB813_96 Depth=2
	s_wait_alu 0xfffe
	s_or_b32 exec_lo, exec_lo, s34
	s_delay_alu instid0(SALU_CYCLE_1)
	s_mov_b32 s34, exec_lo
	v_cmpx_lt_u32_e64 v140, v164
	s_cbranch_execnz .LBB813_269
.LBB813_203:                            ;   in Loop: Header=BB813_96 Depth=2
	s_wait_alu 0xfffe
	s_or_b32 exec_lo, exec_lo, s34
	s_delay_alu instid0(SALU_CYCLE_1)
	s_mov_b32 s34, exec_lo
	v_cmpx_lt_u32_e64 v141, v164
	s_cbranch_execnz .LBB813_270
.LBB813_204:                            ;   in Loop: Header=BB813_96 Depth=2
	s_wait_alu 0xfffe
	s_or_b32 exec_lo, exec_lo, s34
	s_delay_alu instid0(SALU_CYCLE_1)
	s_mov_b32 s34, exec_lo
	v_cmpx_lt_u32_e64 v142, v164
	s_cbranch_execnz .LBB813_271
.LBB813_205:                            ;   in Loop: Header=BB813_96 Depth=2
	s_wait_alu 0xfffe
	s_or_b32 exec_lo, exec_lo, s34
	s_delay_alu instid0(SALU_CYCLE_1)
	s_mov_b32 s34, exec_lo
	v_cmpx_lt_u32_e64 v143, v164
	s_cbranch_execnz .LBB813_272
.LBB813_206:                            ;   in Loop: Header=BB813_96 Depth=2
	s_wait_alu 0xfffe
	s_or_b32 exec_lo, exec_lo, s34
	s_delay_alu instid0(SALU_CYCLE_1)
	s_mov_b32 s34, exec_lo
	v_cmpx_lt_u32_e64 v144, v164
	s_cbranch_execnz .LBB813_273
.LBB813_207:                            ;   in Loop: Header=BB813_96 Depth=2
	s_wait_alu 0xfffe
	s_or_b32 exec_lo, exec_lo, s34
	s_and_saveexec_b32 s30, vcc_lo
	s_cbranch_execnz .LBB813_274
.LBB813_208:                            ;   in Loop: Header=BB813_96 Depth=2
	s_wait_alu 0xfffe
	s_or_b32 exec_lo, exec_lo, s30
	s_and_saveexec_b32 s30, s15
	s_cbranch_execnz .LBB813_275
.LBB813_209:                            ;   in Loop: Header=BB813_96 Depth=2
	s_wait_alu 0xfffe
	s_or_b32 exec_lo, exec_lo, s30
	s_and_saveexec_b32 s30, s16
	s_cbranch_execnz .LBB813_276
.LBB813_210:                            ;   in Loop: Header=BB813_96 Depth=2
	s_wait_alu 0xfffe
	s_or_b32 exec_lo, exec_lo, s30
	s_and_saveexec_b32 s30, s17
	s_cbranch_execnz .LBB813_277
.LBB813_211:                            ;   in Loop: Header=BB813_96 Depth=2
	s_wait_alu 0xfffe
	s_or_b32 exec_lo, exec_lo, s30
	s_and_saveexec_b32 s30, s18
	s_cbranch_execnz .LBB813_278
.LBB813_212:                            ;   in Loop: Header=BB813_96 Depth=2
	s_wait_alu 0xfffe
	s_or_b32 exec_lo, exec_lo, s30
	s_and_saveexec_b32 s30, s19
	s_cbranch_execnz .LBB813_279
.LBB813_213:                            ;   in Loop: Header=BB813_96 Depth=2
	s_wait_alu 0xfffe
	s_or_b32 exec_lo, exec_lo, s30
	s_and_saveexec_b32 s30, s20
	s_cbranch_execnz .LBB813_280
.LBB813_214:                            ;   in Loop: Header=BB813_96 Depth=2
	s_wait_alu 0xfffe
	s_or_b32 exec_lo, exec_lo, s30
	s_and_saveexec_b32 s30, s21
	s_cbranch_execnz .LBB813_281
.LBB813_215:                            ;   in Loop: Header=BB813_96 Depth=2
	s_wait_alu 0xfffe
	s_or_b32 exec_lo, exec_lo, s30
	s_and_saveexec_b32 s30, s22
	s_cbranch_execnz .LBB813_282
.LBB813_216:                            ;   in Loop: Header=BB813_96 Depth=2
	s_wait_alu 0xfffe
	s_or_b32 exec_lo, exec_lo, s30
	s_and_saveexec_b32 s30, s23
	s_cbranch_execnz .LBB813_283
.LBB813_217:                            ;   in Loop: Header=BB813_96 Depth=2
	s_wait_alu 0xfffe
	s_or_b32 exec_lo, exec_lo, s30
	s_and_saveexec_b32 s30, s24
	s_cbranch_execnz .LBB813_284
.LBB813_218:                            ;   in Loop: Header=BB813_96 Depth=2
	s_wait_alu 0xfffe
	s_or_b32 exec_lo, exec_lo, s30
	s_and_saveexec_b32 s30, s25
	s_cbranch_execnz .LBB813_285
.LBB813_219:                            ;   in Loop: Header=BB813_96 Depth=2
	s_wait_alu 0xfffe
	s_or_b32 exec_lo, exec_lo, s30
	s_and_saveexec_b32 s30, s26
	s_cbranch_execnz .LBB813_286
.LBB813_220:                            ;   in Loop: Header=BB813_96 Depth=2
	s_wait_alu 0xfffe
	s_or_b32 exec_lo, exec_lo, s30
	s_and_saveexec_b32 s30, s27
	s_cbranch_execnz .LBB813_287
.LBB813_221:                            ;   in Loop: Header=BB813_96 Depth=2
	s_wait_alu 0xfffe
	s_or_b32 exec_lo, exec_lo, s30
	s_and_saveexec_b32 s30, s28
	s_cbranch_execnz .LBB813_288
.LBB813_222:                            ;   in Loop: Header=BB813_96 Depth=2
	s_wait_alu 0xfffe
	s_or_b32 exec_lo, exec_lo, s30
	s_and_saveexec_b32 s30, s29
	s_cbranch_execz .LBB813_224
.LBB813_223:                            ;   in Loop: Header=BB813_96 Depth=2
	ds_load_b64 v[38:39], v110 offset:31744
	s_wait_dscnt 0x0
	v_lshrrev_b64 v[38:39], s48, v[38:39]
	s_delay_alu instid0(VALU_DEP_1)
	v_and_b32_e32 v148, s55, v38
.LBB813_224:                            ;   in Loop: Header=BB813_96 Depth=2
	s_wait_alu 0xfffe
	s_or_b32 exec_lo, exec_lo, s30
	s_wait_loadcnt 0x0
	s_wait_storecnt 0x0
	s_barrier_signal -1
	s_barrier_wait -1
	global_inv scope:SCOPE_SE
	ds_store_b64 v71, v[36:37] offset:1024
	ds_store_b64 v40, v[34:35] offset:1024
	;; [unrolled: 1-line block ×16, first 2 shown]
	s_wait_loadcnt_dscnt 0x0
	s_barrier_signal -1
	s_barrier_wait -1
	global_inv scope:SCOPE_SE
	s_and_saveexec_b32 s30, vcc_lo
	s_cbranch_execnz .LBB813_289
; %bb.225:                              ;   in Loop: Header=BB813_96 Depth=2
	s_wait_alu 0xfffe
	s_or_b32 exec_lo, exec_lo, s30
	s_and_saveexec_b32 s30, s15
	s_cbranch_execnz .LBB813_290
.LBB813_226:                            ;   in Loop: Header=BB813_96 Depth=2
	s_wait_alu 0xfffe
	s_or_b32 exec_lo, exec_lo, s30
	s_and_saveexec_b32 s15, s16
	s_cbranch_execnz .LBB813_291
.LBB813_227:                            ;   in Loop: Header=BB813_96 Depth=2
	s_wait_alu 0xfffe
	s_or_b32 exec_lo, exec_lo, s15
	s_and_saveexec_b32 s15, s17
	s_cbranch_execnz .LBB813_292
.LBB813_228:                            ;   in Loop: Header=BB813_96 Depth=2
	s_wait_alu 0xfffe
	s_or_b32 exec_lo, exec_lo, s15
	s_and_saveexec_b32 s15, s18
	s_cbranch_execnz .LBB813_293
.LBB813_229:                            ;   in Loop: Header=BB813_96 Depth=2
	s_wait_alu 0xfffe
	s_or_b32 exec_lo, exec_lo, s15
	s_and_saveexec_b32 s15, s19
	s_cbranch_execnz .LBB813_294
.LBB813_230:                            ;   in Loop: Header=BB813_96 Depth=2
	s_wait_alu 0xfffe
	s_or_b32 exec_lo, exec_lo, s15
	s_and_saveexec_b32 s15, s20
	s_cbranch_execnz .LBB813_295
.LBB813_231:                            ;   in Loop: Header=BB813_96 Depth=2
	s_wait_alu 0xfffe
	s_or_b32 exec_lo, exec_lo, s15
	s_and_saveexec_b32 s15, s21
	s_cbranch_execnz .LBB813_296
.LBB813_232:                            ;   in Loop: Header=BB813_96 Depth=2
	s_wait_alu 0xfffe
	s_or_b32 exec_lo, exec_lo, s15
	s_and_saveexec_b32 s15, s22
	s_cbranch_execnz .LBB813_297
.LBB813_233:                            ;   in Loop: Header=BB813_96 Depth=2
	s_wait_alu 0xfffe
	s_or_b32 exec_lo, exec_lo, s15
	s_and_saveexec_b32 s15, s23
	s_cbranch_execnz .LBB813_298
.LBB813_234:                            ;   in Loop: Header=BB813_96 Depth=2
	s_wait_alu 0xfffe
	s_or_b32 exec_lo, exec_lo, s15
	s_and_saveexec_b32 s15, s24
	s_cbranch_execnz .LBB813_299
.LBB813_235:                            ;   in Loop: Header=BB813_96 Depth=2
	s_wait_alu 0xfffe
	s_or_b32 exec_lo, exec_lo, s15
	s_and_saveexec_b32 s15, s25
	s_cbranch_execnz .LBB813_300
.LBB813_236:                            ;   in Loop: Header=BB813_96 Depth=2
	s_wait_alu 0xfffe
	s_or_b32 exec_lo, exec_lo, s15
	s_and_saveexec_b32 s15, s26
	s_cbranch_execnz .LBB813_301
.LBB813_237:                            ;   in Loop: Header=BB813_96 Depth=2
	s_wait_alu 0xfffe
	s_or_b32 exec_lo, exec_lo, s15
	s_and_saveexec_b32 s15, s27
	s_cbranch_execnz .LBB813_302
.LBB813_238:                            ;   in Loop: Header=BB813_96 Depth=2
	s_wait_alu 0xfffe
	s_or_b32 exec_lo, exec_lo, s15
	s_and_saveexec_b32 s15, s28
	s_cbranch_execnz .LBB813_303
.LBB813_239:                            ;   in Loop: Header=BB813_96 Depth=2
	s_wait_alu 0xfffe
	s_or_b32 exec_lo, exec_lo, s15
	s_and_saveexec_b32 s15, s29
	s_cbranch_execz .LBB813_241
.LBB813_240:                            ;   in Loop: Header=BB813_96 Depth=2
	v_lshlrev_b32_e32 v2, 2, v148
	ds_load_b32 v2, v2
	ds_load_b64 v[38:39], v110 offset:31744
	s_wait_dscnt 0x1
	v_add_nc_u32_e32 v2, v2, v95
	s_delay_alu instid0(VALU_DEP_1) | instskip(NEXT) | instid1(VALU_DEP_1)
	v_lshlrev_b64_e32 v[40:41], 3, v[2:3]
	v_add_co_u32 v40, vcc_lo, s44, v40
	s_wait_alu 0xfffd
	s_delay_alu instid0(VALU_DEP_2)
	v_add_co_ci_u32_e64 v41, null, s45, v41, vcc_lo
	s_wait_dscnt 0x0
	global_store_b64 v[40:41], v[38:39], off
.LBB813_241:                            ;   in Loop: Header=BB813_96 Depth=2
	s_wait_alu 0xfffe
	s_or_b32 exec_lo, exec_lo, s15
	s_wait_loadcnt 0x0
	s_wait_storecnt 0x0
	s_barrier_signal -1
	s_barrier_wait -1
	global_inv scope:SCOPE_SE
	s_and_saveexec_b32 s15, s2
	s_cbranch_execz .LBB813_95
; %bb.242:                              ;   in Loop: Header=BB813_96 Depth=2
	ds_load_b32 v2, v78
	s_wait_dscnt 0x0
	v_add_nc_u32_e32 v2, v2, v70
	ds_store_b32 v78, v2
	s_branch .LBB813_95
.LBB813_243:                            ;   in Loop: Header=BB813_96 Depth=2
	ds_load_b64 v[38:39], v110 offset:1024
	s_wait_dscnt 0x0
	v_lshrrev_b64 v[52:53], s48, v[38:39]
	v_xor_b32_e32 v39, 0x80000000, v39
	s_delay_alu instid0(VALU_DEP_2) | instskip(NEXT) | instid1(VALU_DEP_1)
	v_and_b32_e32 v2, s55, v52
	v_lshlrev_b32_e32 v2, 2, v2
	ds_load_b32 v2, v2
	s_wait_dscnt 0x0
	v_add_nc_u32_e32 v2, v2, v1
	s_delay_alu instid0(VALU_DEP_1) | instskip(NEXT) | instid1(VALU_DEP_1)
	v_lshlrev_b64_e32 v[52:53], 3, v[2:3]
	v_add_co_u32 v52, s15, s38, v52
	s_wait_alu 0xf1ff
	s_delay_alu instid0(VALU_DEP_2)
	v_add_co_ci_u32_e64 v53, null, s39, v53, s15
	global_store_b64 v[52:53], v[38:39], off
	s_wait_alu 0xfffe
	s_or_b32 exec_lo, exec_lo, s16
	v_cmp_lt_u32_e64 s15, v79, v164
	s_and_saveexec_b32 s17, s15
	s_cbranch_execz .LBB813_176
.LBB813_244:                            ;   in Loop: Header=BB813_96 Depth=2
	ds_load_b64 v[38:39], v110 offset:3072
	s_wait_dscnt 0x0
	v_lshrrev_b64 v[52:53], s48, v[38:39]
	v_xor_b32_e32 v39, 0x80000000, v39
	s_delay_alu instid0(VALU_DEP_2) | instskip(NEXT) | instid1(VALU_DEP_1)
	v_and_b32_e32 v2, s55, v52
	v_lshlrev_b32_e32 v2, 2, v2
	ds_load_b32 v2, v2
	s_wait_dscnt 0x0
	v_add_nc_u32_e32 v2, v2, v79
	s_delay_alu instid0(VALU_DEP_1) | instskip(NEXT) | instid1(VALU_DEP_1)
	v_lshlrev_b64_e32 v[52:53], 3, v[2:3]
	v_add_co_u32 v52, s16, s38, v52
	s_wait_alu 0xf1ff
	s_delay_alu instid0(VALU_DEP_2)
	v_add_co_ci_u32_e64 v53, null, s39, v53, s16
	global_store_b64 v[52:53], v[38:39], off
	s_wait_alu 0xfffe
	s_or_b32 exec_lo, exec_lo, s17
	v_cmp_lt_u32_e64 s16, v80, v164
	s_and_saveexec_b32 s18, s16
	s_cbranch_execz .LBB813_177
.LBB813_245:                            ;   in Loop: Header=BB813_96 Depth=2
	ds_load_b64 v[38:39], v110 offset:5120
	s_wait_dscnt 0x0
	v_lshrrev_b64 v[52:53], s48, v[38:39]
	v_xor_b32_e32 v39, 0x80000000, v39
	s_delay_alu instid0(VALU_DEP_2) | instskip(NEXT) | instid1(VALU_DEP_1)
	v_and_b32_e32 v2, s55, v52
	v_lshlrev_b32_e32 v2, 2, v2
	ds_load_b32 v2, v2
	s_wait_dscnt 0x0
	v_add_nc_u32_e32 v2, v2, v80
	s_delay_alu instid0(VALU_DEP_1) | instskip(NEXT) | instid1(VALU_DEP_1)
	v_lshlrev_b64_e32 v[52:53], 3, v[2:3]
	v_add_co_u32 v52, s17, s38, v52
	s_wait_alu 0xf1ff
	s_delay_alu instid0(VALU_DEP_2)
	v_add_co_ci_u32_e64 v53, null, s39, v53, s17
	global_store_b64 v[52:53], v[38:39], off
	s_wait_alu 0xfffe
	s_or_b32 exec_lo, exec_lo, s18
	v_cmp_lt_u32_e64 s17, v81, v164
	s_and_saveexec_b32 s19, s17
	s_cbranch_execz .LBB813_178
.LBB813_246:                            ;   in Loop: Header=BB813_96 Depth=2
	ds_load_b64 v[38:39], v110 offset:7168
	s_wait_dscnt 0x0
	v_lshrrev_b64 v[52:53], s48, v[38:39]
	v_xor_b32_e32 v39, 0x80000000, v39
	s_delay_alu instid0(VALU_DEP_2) | instskip(NEXT) | instid1(VALU_DEP_1)
	v_and_b32_e32 v2, s55, v52
	v_lshlrev_b32_e32 v2, 2, v2
	ds_load_b32 v2, v2
	s_wait_dscnt 0x0
	v_add_nc_u32_e32 v2, v2, v81
	s_delay_alu instid0(VALU_DEP_1) | instskip(NEXT) | instid1(VALU_DEP_1)
	v_lshlrev_b64_e32 v[52:53], 3, v[2:3]
	v_add_co_u32 v52, s18, s38, v52
	s_wait_alu 0xf1ff
	s_delay_alu instid0(VALU_DEP_2)
	v_add_co_ci_u32_e64 v53, null, s39, v53, s18
	global_store_b64 v[52:53], v[38:39], off
	s_wait_alu 0xfffe
	s_or_b32 exec_lo, exec_lo, s19
	v_cmp_lt_u32_e64 s18, v84, v164
	s_and_saveexec_b32 s20, s18
	s_cbranch_execz .LBB813_179
.LBB813_247:                            ;   in Loop: Header=BB813_96 Depth=2
	ds_load_b64 v[38:39], v110 offset:9216
	s_wait_dscnt 0x0
	v_lshrrev_b64 v[52:53], s48, v[38:39]
	v_xor_b32_e32 v39, 0x80000000, v39
	s_delay_alu instid0(VALU_DEP_2) | instskip(NEXT) | instid1(VALU_DEP_1)
	v_and_b32_e32 v2, s55, v52
	v_lshlrev_b32_e32 v2, 2, v2
	ds_load_b32 v2, v2
	s_wait_dscnt 0x0
	v_add_nc_u32_e32 v2, v2, v84
	s_delay_alu instid0(VALU_DEP_1) | instskip(NEXT) | instid1(VALU_DEP_1)
	v_lshlrev_b64_e32 v[52:53], 3, v[2:3]
	v_add_co_u32 v52, s19, s38, v52
	s_wait_alu 0xf1ff
	s_delay_alu instid0(VALU_DEP_2)
	v_add_co_ci_u32_e64 v53, null, s39, v53, s19
	global_store_b64 v[52:53], v[38:39], off
	s_wait_alu 0xfffe
	s_or_b32 exec_lo, exec_lo, s20
	v_cmp_lt_u32_e64 s19, v85, v164
	s_and_saveexec_b32 s21, s19
	s_cbranch_execz .LBB813_180
.LBB813_248:                            ;   in Loop: Header=BB813_96 Depth=2
	ds_load_b64 v[38:39], v110 offset:11264
	s_wait_dscnt 0x0
	v_lshrrev_b64 v[52:53], s48, v[38:39]
	v_xor_b32_e32 v39, 0x80000000, v39
	s_delay_alu instid0(VALU_DEP_2) | instskip(NEXT) | instid1(VALU_DEP_1)
	v_and_b32_e32 v2, s55, v52
	v_lshlrev_b32_e32 v2, 2, v2
	ds_load_b32 v2, v2
	s_wait_dscnt 0x0
	v_add_nc_u32_e32 v2, v2, v85
	s_delay_alu instid0(VALU_DEP_1) | instskip(NEXT) | instid1(VALU_DEP_1)
	v_lshlrev_b64_e32 v[52:53], 3, v[2:3]
	v_add_co_u32 v52, s20, s38, v52
	s_wait_alu 0xf1ff
	s_delay_alu instid0(VALU_DEP_2)
	v_add_co_ci_u32_e64 v53, null, s39, v53, s20
	global_store_b64 v[52:53], v[38:39], off
	s_wait_alu 0xfffe
	s_or_b32 exec_lo, exec_lo, s21
	v_cmp_lt_u32_e64 s20, v86, v164
	s_and_saveexec_b32 s22, s20
	s_cbranch_execz .LBB813_181
.LBB813_249:                            ;   in Loop: Header=BB813_96 Depth=2
	ds_load_b64 v[38:39], v110 offset:13312
	s_wait_dscnt 0x0
	v_lshrrev_b64 v[52:53], s48, v[38:39]
	v_xor_b32_e32 v39, 0x80000000, v39
	s_delay_alu instid0(VALU_DEP_2) | instskip(NEXT) | instid1(VALU_DEP_1)
	v_and_b32_e32 v2, s55, v52
	v_lshlrev_b32_e32 v2, 2, v2
	ds_load_b32 v2, v2
	s_wait_dscnt 0x0
	v_add_nc_u32_e32 v2, v2, v86
	s_delay_alu instid0(VALU_DEP_1) | instskip(NEXT) | instid1(VALU_DEP_1)
	v_lshlrev_b64_e32 v[52:53], 3, v[2:3]
	v_add_co_u32 v52, s21, s38, v52
	s_wait_alu 0xf1ff
	s_delay_alu instid0(VALU_DEP_2)
	v_add_co_ci_u32_e64 v53, null, s39, v53, s21
	global_store_b64 v[52:53], v[38:39], off
	s_wait_alu 0xfffe
	s_or_b32 exec_lo, exec_lo, s22
	v_cmp_lt_u32_e64 s21, v87, v164
	s_and_saveexec_b32 s23, s21
	s_cbranch_execz .LBB813_182
.LBB813_250:                            ;   in Loop: Header=BB813_96 Depth=2
	ds_load_b64 v[38:39], v110 offset:15360
	s_wait_dscnt 0x0
	v_lshrrev_b64 v[52:53], s48, v[38:39]
	v_xor_b32_e32 v39, 0x80000000, v39
	s_delay_alu instid0(VALU_DEP_2) | instskip(NEXT) | instid1(VALU_DEP_1)
	v_and_b32_e32 v2, s55, v52
	v_lshlrev_b32_e32 v2, 2, v2
	ds_load_b32 v2, v2
	s_wait_dscnt 0x0
	v_add_nc_u32_e32 v2, v2, v87
	s_delay_alu instid0(VALU_DEP_1) | instskip(NEXT) | instid1(VALU_DEP_1)
	v_lshlrev_b64_e32 v[52:53], 3, v[2:3]
	v_add_co_u32 v52, s22, s38, v52
	s_wait_alu 0xf1ff
	s_delay_alu instid0(VALU_DEP_2)
	v_add_co_ci_u32_e64 v53, null, s39, v53, s22
	global_store_b64 v[52:53], v[38:39], off
	s_wait_alu 0xfffe
	s_or_b32 exec_lo, exec_lo, s23
	v_cmp_lt_u32_e64 s22, v88, v164
	s_and_saveexec_b32 s24, s22
	s_cbranch_execz .LBB813_183
.LBB813_251:                            ;   in Loop: Header=BB813_96 Depth=2
	ds_load_b64 v[38:39], v110 offset:17408
	s_wait_dscnt 0x0
	v_lshrrev_b64 v[52:53], s48, v[38:39]
	v_xor_b32_e32 v39, 0x80000000, v39
	s_delay_alu instid0(VALU_DEP_2) | instskip(NEXT) | instid1(VALU_DEP_1)
	v_and_b32_e32 v2, s55, v52
	v_lshlrev_b32_e32 v2, 2, v2
	ds_load_b32 v2, v2
	s_wait_dscnt 0x0
	v_add_nc_u32_e32 v2, v2, v88
	s_delay_alu instid0(VALU_DEP_1) | instskip(NEXT) | instid1(VALU_DEP_1)
	v_lshlrev_b64_e32 v[52:53], 3, v[2:3]
	v_add_co_u32 v52, s23, s38, v52
	s_wait_alu 0xf1ff
	s_delay_alu instid0(VALU_DEP_2)
	v_add_co_ci_u32_e64 v53, null, s39, v53, s23
	global_store_b64 v[52:53], v[38:39], off
	s_wait_alu 0xfffe
	s_or_b32 exec_lo, exec_lo, s24
	v_cmp_lt_u32_e64 s23, v89, v164
	s_and_saveexec_b32 s25, s23
	s_cbranch_execz .LBB813_184
.LBB813_252:                            ;   in Loop: Header=BB813_96 Depth=2
	ds_load_b64 v[38:39], v110 offset:19456
	s_wait_dscnt 0x0
	v_lshrrev_b64 v[52:53], s48, v[38:39]
	v_xor_b32_e32 v39, 0x80000000, v39
	s_delay_alu instid0(VALU_DEP_2) | instskip(NEXT) | instid1(VALU_DEP_1)
	v_and_b32_e32 v2, s55, v52
	v_lshlrev_b32_e32 v2, 2, v2
	ds_load_b32 v2, v2
	s_wait_dscnt 0x0
	v_add_nc_u32_e32 v2, v2, v89
	s_delay_alu instid0(VALU_DEP_1) | instskip(NEXT) | instid1(VALU_DEP_1)
	v_lshlrev_b64_e32 v[52:53], 3, v[2:3]
	v_add_co_u32 v52, s24, s38, v52
	s_wait_alu 0xf1ff
	s_delay_alu instid0(VALU_DEP_2)
	v_add_co_ci_u32_e64 v53, null, s39, v53, s24
	global_store_b64 v[52:53], v[38:39], off
	s_wait_alu 0xfffe
	s_or_b32 exec_lo, exec_lo, s25
	v_cmp_lt_u32_e64 s24, v90, v164
	s_and_saveexec_b32 s26, s24
	s_cbranch_execz .LBB813_185
.LBB813_253:                            ;   in Loop: Header=BB813_96 Depth=2
	ds_load_b64 v[38:39], v110 offset:21504
	s_wait_dscnt 0x0
	v_lshrrev_b64 v[52:53], s48, v[38:39]
	v_xor_b32_e32 v39, 0x80000000, v39
	s_delay_alu instid0(VALU_DEP_2) | instskip(NEXT) | instid1(VALU_DEP_1)
	v_and_b32_e32 v2, s55, v52
	v_lshlrev_b32_e32 v2, 2, v2
	ds_load_b32 v2, v2
	s_wait_dscnt 0x0
	v_add_nc_u32_e32 v2, v2, v90
	s_delay_alu instid0(VALU_DEP_1) | instskip(NEXT) | instid1(VALU_DEP_1)
	v_lshlrev_b64_e32 v[52:53], 3, v[2:3]
	v_add_co_u32 v52, s25, s38, v52
	s_wait_alu 0xf1ff
	s_delay_alu instid0(VALU_DEP_2)
	v_add_co_ci_u32_e64 v53, null, s39, v53, s25
	global_store_b64 v[52:53], v[38:39], off
	s_wait_alu 0xfffe
	s_or_b32 exec_lo, exec_lo, s26
	v_cmp_lt_u32_e64 s25, v91, v164
	s_and_saveexec_b32 s27, s25
	s_cbranch_execz .LBB813_186
.LBB813_254:                            ;   in Loop: Header=BB813_96 Depth=2
	ds_load_b64 v[38:39], v110 offset:23552
	s_wait_dscnt 0x0
	v_lshrrev_b64 v[52:53], s48, v[38:39]
	v_xor_b32_e32 v39, 0x80000000, v39
	s_delay_alu instid0(VALU_DEP_2) | instskip(NEXT) | instid1(VALU_DEP_1)
	v_and_b32_e32 v2, s55, v52
	v_lshlrev_b32_e32 v2, 2, v2
	ds_load_b32 v2, v2
	s_wait_dscnt 0x0
	v_add_nc_u32_e32 v2, v2, v91
	s_delay_alu instid0(VALU_DEP_1) | instskip(NEXT) | instid1(VALU_DEP_1)
	v_lshlrev_b64_e32 v[52:53], 3, v[2:3]
	v_add_co_u32 v52, s26, s38, v52
	s_wait_alu 0xf1ff
	s_delay_alu instid0(VALU_DEP_2)
	v_add_co_ci_u32_e64 v53, null, s39, v53, s26
	global_store_b64 v[52:53], v[38:39], off
	s_wait_alu 0xfffe
	s_or_b32 exec_lo, exec_lo, s27
	v_cmp_lt_u32_e64 s26, v92, v164
	s_and_saveexec_b32 s28, s26
	s_cbranch_execz .LBB813_187
.LBB813_255:                            ;   in Loop: Header=BB813_96 Depth=2
	ds_load_b64 v[38:39], v110 offset:25600
	s_wait_dscnt 0x0
	v_lshrrev_b64 v[52:53], s48, v[38:39]
	v_xor_b32_e32 v39, 0x80000000, v39
	s_delay_alu instid0(VALU_DEP_2) | instskip(NEXT) | instid1(VALU_DEP_1)
	v_and_b32_e32 v2, s55, v52
	v_lshlrev_b32_e32 v2, 2, v2
	ds_load_b32 v2, v2
	s_wait_dscnt 0x0
	v_add_nc_u32_e32 v2, v2, v92
	s_delay_alu instid0(VALU_DEP_1) | instskip(NEXT) | instid1(VALU_DEP_1)
	v_lshlrev_b64_e32 v[52:53], 3, v[2:3]
	v_add_co_u32 v52, s27, s38, v52
	s_wait_alu 0xf1ff
	s_delay_alu instid0(VALU_DEP_2)
	v_add_co_ci_u32_e64 v53, null, s39, v53, s27
	global_store_b64 v[52:53], v[38:39], off
	s_wait_alu 0xfffe
	s_or_b32 exec_lo, exec_lo, s28
	v_cmp_lt_u32_e64 s27, v93, v164
	s_and_saveexec_b32 s29, s27
	s_cbranch_execz .LBB813_188
.LBB813_256:                            ;   in Loop: Header=BB813_96 Depth=2
	ds_load_b64 v[38:39], v110 offset:27648
	s_wait_dscnt 0x0
	v_lshrrev_b64 v[52:53], s48, v[38:39]
	v_xor_b32_e32 v39, 0x80000000, v39
	s_delay_alu instid0(VALU_DEP_2) | instskip(NEXT) | instid1(VALU_DEP_1)
	v_and_b32_e32 v2, s55, v52
	v_lshlrev_b32_e32 v2, 2, v2
	ds_load_b32 v2, v2
	s_wait_dscnt 0x0
	v_add_nc_u32_e32 v2, v2, v93
	s_delay_alu instid0(VALU_DEP_1) | instskip(NEXT) | instid1(VALU_DEP_1)
	v_lshlrev_b64_e32 v[52:53], 3, v[2:3]
	v_add_co_u32 v52, s28, s38, v52
	s_wait_alu 0xf1ff
	s_delay_alu instid0(VALU_DEP_2)
	v_add_co_ci_u32_e64 v53, null, s39, v53, s28
	global_store_b64 v[52:53], v[38:39], off
	s_wait_alu 0xfffe
	s_or_b32 exec_lo, exec_lo, s29
	v_cmp_lt_u32_e64 s28, v94, v164
	s_and_saveexec_b32 s30, s28
	s_cbranch_execz .LBB813_189
.LBB813_257:                            ;   in Loop: Header=BB813_96 Depth=2
	ds_load_b64 v[38:39], v110 offset:29696
	s_wait_dscnt 0x0
	v_lshrrev_b64 v[52:53], s48, v[38:39]
	v_xor_b32_e32 v39, 0x80000000, v39
	s_delay_alu instid0(VALU_DEP_2) | instskip(NEXT) | instid1(VALU_DEP_1)
	v_and_b32_e32 v2, s55, v52
	v_lshlrev_b32_e32 v2, 2, v2
	ds_load_b32 v2, v2
	s_wait_dscnt 0x0
	v_add_nc_u32_e32 v2, v2, v94
	s_delay_alu instid0(VALU_DEP_1) | instskip(NEXT) | instid1(VALU_DEP_1)
	v_lshlrev_b64_e32 v[52:53], 3, v[2:3]
	v_add_co_u32 v52, s29, s38, v52
	s_wait_alu 0xf1ff
	s_delay_alu instid0(VALU_DEP_2)
	v_add_co_ci_u32_e64 v53, null, s39, v53, s29
	global_store_b64 v[52:53], v[38:39], off
	s_wait_alu 0xfffe
	s_or_b32 exec_lo, exec_lo, s30
	v_cmp_lt_u32_e64 s29, v95, v164
	s_and_saveexec_b32 s58, s29
	s_cbranch_execnz .LBB813_190
	s_branch .LBB813_191
.LBB813_258:                            ;   in Loop: Header=BB813_96 Depth=2
	global_load_b64 v[36:37], v[38:39], off
	s_wait_alu 0xfffe
	s_or_b32 exec_lo, exec_lo, s30
	s_delay_alu instid0(SALU_CYCLE_1)
	s_mov_b32 s34, exec_lo
	v_cmpx_lt_u32_e64 v130, v164
	s_cbranch_execz .LBB813_193
.LBB813_259:                            ;   in Loop: Header=BB813_96 Depth=2
	global_load_b64 v[34:35], v[38:39], off offset:256
	s_wait_alu 0xfffe
	s_or_b32 exec_lo, exec_lo, s34
	s_delay_alu instid0(SALU_CYCLE_1)
	s_mov_b32 s34, exec_lo
	v_cmpx_lt_u32_e64 v131, v164
	s_cbranch_execz .LBB813_194
.LBB813_260:                            ;   in Loop: Header=BB813_96 Depth=2
	global_load_b64 v[32:33], v[38:39], off offset:512
	s_wait_alu 0xfffe
	s_or_b32 exec_lo, exec_lo, s34
	s_delay_alu instid0(SALU_CYCLE_1)
	s_mov_b32 s34, exec_lo
	v_cmpx_lt_u32_e64 v132, v164
	s_cbranch_execz .LBB813_195
.LBB813_261:                            ;   in Loop: Header=BB813_96 Depth=2
	global_load_b64 v[30:31], v[38:39], off offset:768
	s_wait_alu 0xfffe
	s_or_b32 exec_lo, exec_lo, s34
	s_delay_alu instid0(SALU_CYCLE_1)
	s_mov_b32 s34, exec_lo
	v_cmpx_lt_u32_e64 v133, v164
	s_cbranch_execz .LBB813_196
.LBB813_262:                            ;   in Loop: Header=BB813_96 Depth=2
	global_load_b64 v[28:29], v[38:39], off offset:1024
	s_wait_alu 0xfffe
	s_or_b32 exec_lo, exec_lo, s34
	s_delay_alu instid0(SALU_CYCLE_1)
	s_mov_b32 s34, exec_lo
	v_cmpx_lt_u32_e64 v134, v164
	s_cbranch_execz .LBB813_197
.LBB813_263:                            ;   in Loop: Header=BB813_96 Depth=2
	global_load_b64 v[26:27], v[38:39], off offset:1280
	s_wait_alu 0xfffe
	s_or_b32 exec_lo, exec_lo, s34
	s_delay_alu instid0(SALU_CYCLE_1)
	s_mov_b32 s34, exec_lo
	v_cmpx_lt_u32_e64 v135, v164
	s_cbranch_execz .LBB813_198
.LBB813_264:                            ;   in Loop: Header=BB813_96 Depth=2
	global_load_b64 v[24:25], v[38:39], off offset:1536
	s_wait_alu 0xfffe
	s_or_b32 exec_lo, exec_lo, s34
	s_delay_alu instid0(SALU_CYCLE_1)
	s_mov_b32 s34, exec_lo
	v_cmpx_lt_u32_e64 v136, v164
	s_cbranch_execz .LBB813_199
.LBB813_265:                            ;   in Loop: Header=BB813_96 Depth=2
	global_load_b64 v[22:23], v[38:39], off offset:1792
	s_wait_alu 0xfffe
	s_or_b32 exec_lo, exec_lo, s34
	s_delay_alu instid0(SALU_CYCLE_1)
	s_mov_b32 s34, exec_lo
	v_cmpx_lt_u32_e64 v137, v164
	s_cbranch_execz .LBB813_200
.LBB813_266:                            ;   in Loop: Header=BB813_96 Depth=2
	global_load_b64 v[20:21], v[38:39], off offset:2048
	s_wait_alu 0xfffe
	s_or_b32 exec_lo, exec_lo, s34
	s_delay_alu instid0(SALU_CYCLE_1)
	s_mov_b32 s34, exec_lo
	v_cmpx_lt_u32_e64 v138, v164
	s_cbranch_execz .LBB813_201
.LBB813_267:                            ;   in Loop: Header=BB813_96 Depth=2
	global_load_b64 v[18:19], v[38:39], off offset:2304
	s_wait_alu 0xfffe
	s_or_b32 exec_lo, exec_lo, s34
	s_delay_alu instid0(SALU_CYCLE_1)
	s_mov_b32 s34, exec_lo
	v_cmpx_lt_u32_e64 v139, v164
	s_cbranch_execz .LBB813_202
.LBB813_268:                            ;   in Loop: Header=BB813_96 Depth=2
	global_load_b64 v[16:17], v[38:39], off offset:2560
	s_wait_alu 0xfffe
	s_or_b32 exec_lo, exec_lo, s34
	s_delay_alu instid0(SALU_CYCLE_1)
	s_mov_b32 s34, exec_lo
	v_cmpx_lt_u32_e64 v140, v164
	s_cbranch_execz .LBB813_203
.LBB813_269:                            ;   in Loop: Header=BB813_96 Depth=2
	global_load_b64 v[14:15], v[38:39], off offset:2816
	s_wait_alu 0xfffe
	s_or_b32 exec_lo, exec_lo, s34
	s_delay_alu instid0(SALU_CYCLE_1)
	s_mov_b32 s34, exec_lo
	v_cmpx_lt_u32_e64 v141, v164
	s_cbranch_execz .LBB813_204
.LBB813_270:                            ;   in Loop: Header=BB813_96 Depth=2
	global_load_b64 v[12:13], v[38:39], off offset:3072
	s_wait_alu 0xfffe
	s_or_b32 exec_lo, exec_lo, s34
	s_delay_alu instid0(SALU_CYCLE_1)
	s_mov_b32 s34, exec_lo
	v_cmpx_lt_u32_e64 v142, v164
	s_cbranch_execz .LBB813_205
.LBB813_271:                            ;   in Loop: Header=BB813_96 Depth=2
	global_load_b64 v[10:11], v[38:39], off offset:3328
	s_wait_alu 0xfffe
	s_or_b32 exec_lo, exec_lo, s34
	s_delay_alu instid0(SALU_CYCLE_1)
	s_mov_b32 s34, exec_lo
	v_cmpx_lt_u32_e64 v143, v164
	s_cbranch_execz .LBB813_206
.LBB813_272:                            ;   in Loop: Header=BB813_96 Depth=2
	global_load_b64 v[8:9], v[38:39], off offset:3584
	s_wait_alu 0xfffe
	s_or_b32 exec_lo, exec_lo, s34
	s_delay_alu instid0(SALU_CYCLE_1)
	s_mov_b32 s34, exec_lo
	v_cmpx_lt_u32_e64 v144, v164
	s_cbranch_execz .LBB813_207
.LBB813_273:                            ;   in Loop: Header=BB813_96 Depth=2
	global_load_b64 v[6:7], v[38:39], off offset:3840
	s_wait_alu 0xfffe
	s_or_b32 exec_lo, exec_lo, s34
	s_and_saveexec_b32 s30, vcc_lo
	s_cbranch_execz .LBB813_208
.LBB813_274:                            ;   in Loop: Header=BB813_96 Depth=2
	ds_load_b64 v[38:39], v110 offset:1024
	s_wait_dscnt 0x0
	v_lshrrev_b64 v[38:39], s48, v[38:39]
	s_delay_alu instid0(VALU_DEP_1)
	v_and_b32_e32 v163, s55, v38
	s_wait_alu 0xfffe
	s_or_b32 exec_lo, exec_lo, s30
	s_and_saveexec_b32 s30, s15
	s_cbranch_execz .LBB813_209
.LBB813_275:                            ;   in Loop: Header=BB813_96 Depth=2
	ds_load_b64 v[38:39], v110 offset:3072
	s_wait_dscnt 0x0
	v_lshrrev_b64 v[38:39], s48, v[38:39]
	s_delay_alu instid0(VALU_DEP_1)
	v_and_b32_e32 v162, s55, v38
	s_wait_alu 0xfffe
	s_or_b32 exec_lo, exec_lo, s30
	s_and_saveexec_b32 s30, s16
	s_cbranch_execz .LBB813_210
.LBB813_276:                            ;   in Loop: Header=BB813_96 Depth=2
	ds_load_b64 v[38:39], v110 offset:5120
	s_wait_dscnt 0x0
	v_lshrrev_b64 v[38:39], s48, v[38:39]
	s_delay_alu instid0(VALU_DEP_1)
	v_and_b32_e32 v161, s55, v38
	s_wait_alu 0xfffe
	s_or_b32 exec_lo, exec_lo, s30
	s_and_saveexec_b32 s30, s17
	s_cbranch_execz .LBB813_211
.LBB813_277:                            ;   in Loop: Header=BB813_96 Depth=2
	ds_load_b64 v[38:39], v110 offset:7168
	s_wait_dscnt 0x0
	v_lshrrev_b64 v[38:39], s48, v[38:39]
	s_delay_alu instid0(VALU_DEP_1)
	v_and_b32_e32 v160, s55, v38
	s_wait_alu 0xfffe
	s_or_b32 exec_lo, exec_lo, s30
	s_and_saveexec_b32 s30, s18
	s_cbranch_execz .LBB813_212
.LBB813_278:                            ;   in Loop: Header=BB813_96 Depth=2
	ds_load_b64 v[38:39], v110 offset:9216
	s_wait_dscnt 0x0
	v_lshrrev_b64 v[38:39], s48, v[38:39]
	s_delay_alu instid0(VALU_DEP_1)
	v_and_b32_e32 v159, s55, v38
	s_wait_alu 0xfffe
	s_or_b32 exec_lo, exec_lo, s30
	s_and_saveexec_b32 s30, s19
	s_cbranch_execz .LBB813_213
.LBB813_279:                            ;   in Loop: Header=BB813_96 Depth=2
	ds_load_b64 v[38:39], v110 offset:11264
	s_wait_dscnt 0x0
	v_lshrrev_b64 v[38:39], s48, v[38:39]
	s_delay_alu instid0(VALU_DEP_1)
	v_and_b32_e32 v158, s55, v38
	s_wait_alu 0xfffe
	s_or_b32 exec_lo, exec_lo, s30
	s_and_saveexec_b32 s30, s20
	s_cbranch_execz .LBB813_214
.LBB813_280:                            ;   in Loop: Header=BB813_96 Depth=2
	ds_load_b64 v[38:39], v110 offset:13312
	s_wait_dscnt 0x0
	v_lshrrev_b64 v[38:39], s48, v[38:39]
	s_delay_alu instid0(VALU_DEP_1)
	v_and_b32_e32 v157, s55, v38
	s_wait_alu 0xfffe
	s_or_b32 exec_lo, exec_lo, s30
	s_and_saveexec_b32 s30, s21
	s_cbranch_execz .LBB813_215
.LBB813_281:                            ;   in Loop: Header=BB813_96 Depth=2
	ds_load_b64 v[38:39], v110 offset:15360
	s_wait_dscnt 0x0
	v_lshrrev_b64 v[38:39], s48, v[38:39]
	s_delay_alu instid0(VALU_DEP_1)
	v_and_b32_e32 v156, s55, v38
	s_wait_alu 0xfffe
	s_or_b32 exec_lo, exec_lo, s30
	s_and_saveexec_b32 s30, s22
	s_cbranch_execz .LBB813_216
.LBB813_282:                            ;   in Loop: Header=BB813_96 Depth=2
	ds_load_b64 v[38:39], v110 offset:17408
	s_wait_dscnt 0x0
	v_lshrrev_b64 v[38:39], s48, v[38:39]
	s_delay_alu instid0(VALU_DEP_1)
	v_and_b32_e32 v155, s55, v38
	s_wait_alu 0xfffe
	s_or_b32 exec_lo, exec_lo, s30
	s_and_saveexec_b32 s30, s23
	s_cbranch_execz .LBB813_217
.LBB813_283:                            ;   in Loop: Header=BB813_96 Depth=2
	ds_load_b64 v[38:39], v110 offset:19456
	s_wait_dscnt 0x0
	v_lshrrev_b64 v[38:39], s48, v[38:39]
	s_delay_alu instid0(VALU_DEP_1)
	v_and_b32_e32 v154, s55, v38
	s_wait_alu 0xfffe
	s_or_b32 exec_lo, exec_lo, s30
	s_and_saveexec_b32 s30, s24
	s_cbranch_execz .LBB813_218
.LBB813_284:                            ;   in Loop: Header=BB813_96 Depth=2
	ds_load_b64 v[38:39], v110 offset:21504
	s_wait_dscnt 0x0
	v_lshrrev_b64 v[38:39], s48, v[38:39]
	s_delay_alu instid0(VALU_DEP_1)
	v_and_b32_e32 v153, s55, v38
	s_wait_alu 0xfffe
	s_or_b32 exec_lo, exec_lo, s30
	s_and_saveexec_b32 s30, s25
	s_cbranch_execz .LBB813_219
.LBB813_285:                            ;   in Loop: Header=BB813_96 Depth=2
	ds_load_b64 v[38:39], v110 offset:23552
	s_wait_dscnt 0x0
	v_lshrrev_b64 v[38:39], s48, v[38:39]
	s_delay_alu instid0(VALU_DEP_1)
	v_and_b32_e32 v152, s55, v38
	s_wait_alu 0xfffe
	s_or_b32 exec_lo, exec_lo, s30
	s_and_saveexec_b32 s30, s26
	s_cbranch_execz .LBB813_220
.LBB813_286:                            ;   in Loop: Header=BB813_96 Depth=2
	ds_load_b64 v[38:39], v110 offset:25600
	s_wait_dscnt 0x0
	v_lshrrev_b64 v[38:39], s48, v[38:39]
	s_delay_alu instid0(VALU_DEP_1)
	v_and_b32_e32 v151, s55, v38
	s_wait_alu 0xfffe
	s_or_b32 exec_lo, exec_lo, s30
	s_and_saveexec_b32 s30, s27
	s_cbranch_execz .LBB813_221
.LBB813_287:                            ;   in Loop: Header=BB813_96 Depth=2
	ds_load_b64 v[38:39], v110 offset:27648
	s_wait_dscnt 0x0
	v_lshrrev_b64 v[38:39], s48, v[38:39]
	s_delay_alu instid0(VALU_DEP_1)
	v_and_b32_e32 v150, s55, v38
	s_wait_alu 0xfffe
	s_or_b32 exec_lo, exec_lo, s30
	s_and_saveexec_b32 s30, s28
	s_cbranch_execz .LBB813_222
.LBB813_288:                            ;   in Loop: Header=BB813_96 Depth=2
	ds_load_b64 v[38:39], v110 offset:29696
	s_wait_dscnt 0x0
	v_lshrrev_b64 v[38:39], s48, v[38:39]
	s_delay_alu instid0(VALU_DEP_1)
	v_and_b32_e32 v149, s55, v38
	s_wait_alu 0xfffe
	s_or_b32 exec_lo, exec_lo, s30
	s_and_saveexec_b32 s30, s29
	s_cbranch_execnz .LBB813_223
	s_branch .LBB813_224
.LBB813_289:                            ;   in Loop: Header=BB813_96 Depth=2
	v_lshlrev_b32_e32 v2, 2, v163
	ds_load_b32 v2, v2
	ds_load_b64 v[38:39], v110 offset:1024
	s_wait_dscnt 0x1
	v_add_nc_u32_e32 v2, v2, v1
	s_delay_alu instid0(VALU_DEP_1) | instskip(NEXT) | instid1(VALU_DEP_1)
	v_lshlrev_b64_e32 v[40:41], 3, v[2:3]
	v_add_co_u32 v40, vcc_lo, s44, v40
	s_wait_alu 0xfffd
	s_delay_alu instid0(VALU_DEP_2)
	v_add_co_ci_u32_e64 v41, null, s45, v41, vcc_lo
	s_wait_dscnt 0x0
	global_store_b64 v[40:41], v[38:39], off
	s_wait_alu 0xfffe
	s_or_b32 exec_lo, exec_lo, s30
	s_and_saveexec_b32 s30, s15
	s_cbranch_execz .LBB813_226
.LBB813_290:                            ;   in Loop: Header=BB813_96 Depth=2
	v_lshlrev_b32_e32 v2, 2, v162
	ds_load_b32 v2, v2
	ds_load_b64 v[38:39], v110 offset:3072
	s_wait_dscnt 0x1
	v_add_nc_u32_e32 v2, v2, v79
	s_delay_alu instid0(VALU_DEP_1) | instskip(NEXT) | instid1(VALU_DEP_1)
	v_lshlrev_b64_e32 v[40:41], 3, v[2:3]
	v_add_co_u32 v40, vcc_lo, s44, v40
	s_wait_alu 0xfffd
	s_delay_alu instid0(VALU_DEP_2)
	v_add_co_ci_u32_e64 v41, null, s45, v41, vcc_lo
	s_wait_dscnt 0x0
	global_store_b64 v[40:41], v[38:39], off
	s_wait_alu 0xfffe
	s_or_b32 exec_lo, exec_lo, s30
	s_and_saveexec_b32 s15, s16
	s_cbranch_execz .LBB813_227
.LBB813_291:                            ;   in Loop: Header=BB813_96 Depth=2
	v_lshlrev_b32_e32 v2, 2, v161
	ds_load_b32 v2, v2
	ds_load_b64 v[38:39], v110 offset:5120
	s_wait_dscnt 0x1
	v_add_nc_u32_e32 v2, v2, v80
	s_delay_alu instid0(VALU_DEP_1) | instskip(NEXT) | instid1(VALU_DEP_1)
	v_lshlrev_b64_e32 v[40:41], 3, v[2:3]
	v_add_co_u32 v40, vcc_lo, s44, v40
	s_wait_alu 0xfffd
	s_delay_alu instid0(VALU_DEP_2)
	v_add_co_ci_u32_e64 v41, null, s45, v41, vcc_lo
	s_wait_dscnt 0x0
	global_store_b64 v[40:41], v[38:39], off
	s_wait_alu 0xfffe
	s_or_b32 exec_lo, exec_lo, s15
	s_and_saveexec_b32 s15, s17
	s_cbranch_execz .LBB813_228
.LBB813_292:                            ;   in Loop: Header=BB813_96 Depth=2
	v_lshlrev_b32_e32 v2, 2, v160
	ds_load_b32 v2, v2
	ds_load_b64 v[38:39], v110 offset:7168
	s_wait_dscnt 0x1
	v_add_nc_u32_e32 v2, v2, v81
	s_delay_alu instid0(VALU_DEP_1) | instskip(NEXT) | instid1(VALU_DEP_1)
	v_lshlrev_b64_e32 v[40:41], 3, v[2:3]
	v_add_co_u32 v40, vcc_lo, s44, v40
	s_wait_alu 0xfffd
	s_delay_alu instid0(VALU_DEP_2)
	v_add_co_ci_u32_e64 v41, null, s45, v41, vcc_lo
	s_wait_dscnt 0x0
	global_store_b64 v[40:41], v[38:39], off
	s_wait_alu 0xfffe
	s_or_b32 exec_lo, exec_lo, s15
	s_and_saveexec_b32 s15, s18
	s_cbranch_execz .LBB813_229
.LBB813_293:                            ;   in Loop: Header=BB813_96 Depth=2
	v_lshlrev_b32_e32 v2, 2, v159
	ds_load_b32 v2, v2
	ds_load_b64 v[38:39], v110 offset:9216
	s_wait_dscnt 0x1
	v_add_nc_u32_e32 v2, v2, v84
	s_delay_alu instid0(VALU_DEP_1) | instskip(NEXT) | instid1(VALU_DEP_1)
	v_lshlrev_b64_e32 v[40:41], 3, v[2:3]
	v_add_co_u32 v40, vcc_lo, s44, v40
	s_wait_alu 0xfffd
	s_delay_alu instid0(VALU_DEP_2)
	v_add_co_ci_u32_e64 v41, null, s45, v41, vcc_lo
	s_wait_dscnt 0x0
	global_store_b64 v[40:41], v[38:39], off
	s_wait_alu 0xfffe
	s_or_b32 exec_lo, exec_lo, s15
	s_and_saveexec_b32 s15, s19
	s_cbranch_execz .LBB813_230
.LBB813_294:                            ;   in Loop: Header=BB813_96 Depth=2
	v_lshlrev_b32_e32 v2, 2, v158
	ds_load_b32 v2, v2
	ds_load_b64 v[38:39], v110 offset:11264
	s_wait_dscnt 0x1
	v_add_nc_u32_e32 v2, v2, v85
	s_delay_alu instid0(VALU_DEP_1) | instskip(NEXT) | instid1(VALU_DEP_1)
	v_lshlrev_b64_e32 v[40:41], 3, v[2:3]
	v_add_co_u32 v40, vcc_lo, s44, v40
	s_wait_alu 0xfffd
	s_delay_alu instid0(VALU_DEP_2)
	v_add_co_ci_u32_e64 v41, null, s45, v41, vcc_lo
	s_wait_dscnt 0x0
	global_store_b64 v[40:41], v[38:39], off
	s_wait_alu 0xfffe
	s_or_b32 exec_lo, exec_lo, s15
	s_and_saveexec_b32 s15, s20
	s_cbranch_execz .LBB813_231
.LBB813_295:                            ;   in Loop: Header=BB813_96 Depth=2
	v_lshlrev_b32_e32 v2, 2, v157
	ds_load_b32 v2, v2
	ds_load_b64 v[38:39], v110 offset:13312
	s_wait_dscnt 0x1
	v_add_nc_u32_e32 v2, v2, v86
	s_delay_alu instid0(VALU_DEP_1) | instskip(NEXT) | instid1(VALU_DEP_1)
	v_lshlrev_b64_e32 v[40:41], 3, v[2:3]
	v_add_co_u32 v40, vcc_lo, s44, v40
	s_wait_alu 0xfffd
	s_delay_alu instid0(VALU_DEP_2)
	v_add_co_ci_u32_e64 v41, null, s45, v41, vcc_lo
	s_wait_dscnt 0x0
	global_store_b64 v[40:41], v[38:39], off
	s_wait_alu 0xfffe
	s_or_b32 exec_lo, exec_lo, s15
	s_and_saveexec_b32 s15, s21
	s_cbranch_execz .LBB813_232
.LBB813_296:                            ;   in Loop: Header=BB813_96 Depth=2
	v_lshlrev_b32_e32 v2, 2, v156
	ds_load_b32 v2, v2
	ds_load_b64 v[38:39], v110 offset:15360
	s_wait_dscnt 0x1
	v_add_nc_u32_e32 v2, v2, v87
	s_delay_alu instid0(VALU_DEP_1) | instskip(NEXT) | instid1(VALU_DEP_1)
	v_lshlrev_b64_e32 v[40:41], 3, v[2:3]
	v_add_co_u32 v40, vcc_lo, s44, v40
	s_wait_alu 0xfffd
	s_delay_alu instid0(VALU_DEP_2)
	v_add_co_ci_u32_e64 v41, null, s45, v41, vcc_lo
	s_wait_dscnt 0x0
	global_store_b64 v[40:41], v[38:39], off
	s_wait_alu 0xfffe
	s_or_b32 exec_lo, exec_lo, s15
	s_and_saveexec_b32 s15, s22
	s_cbranch_execz .LBB813_233
.LBB813_297:                            ;   in Loop: Header=BB813_96 Depth=2
	v_lshlrev_b32_e32 v2, 2, v155
	ds_load_b32 v2, v2
	ds_load_b64 v[38:39], v110 offset:17408
	s_wait_dscnt 0x1
	v_add_nc_u32_e32 v2, v2, v88
	s_delay_alu instid0(VALU_DEP_1) | instskip(NEXT) | instid1(VALU_DEP_1)
	v_lshlrev_b64_e32 v[40:41], 3, v[2:3]
	v_add_co_u32 v40, vcc_lo, s44, v40
	s_wait_alu 0xfffd
	s_delay_alu instid0(VALU_DEP_2)
	v_add_co_ci_u32_e64 v41, null, s45, v41, vcc_lo
	s_wait_dscnt 0x0
	global_store_b64 v[40:41], v[38:39], off
	s_wait_alu 0xfffe
	s_or_b32 exec_lo, exec_lo, s15
	s_and_saveexec_b32 s15, s23
	s_cbranch_execz .LBB813_234
.LBB813_298:                            ;   in Loop: Header=BB813_96 Depth=2
	v_lshlrev_b32_e32 v2, 2, v154
	ds_load_b32 v2, v2
	ds_load_b64 v[38:39], v110 offset:19456
	s_wait_dscnt 0x1
	v_add_nc_u32_e32 v2, v2, v89
	s_delay_alu instid0(VALU_DEP_1) | instskip(NEXT) | instid1(VALU_DEP_1)
	v_lshlrev_b64_e32 v[40:41], 3, v[2:3]
	v_add_co_u32 v40, vcc_lo, s44, v40
	s_wait_alu 0xfffd
	s_delay_alu instid0(VALU_DEP_2)
	v_add_co_ci_u32_e64 v41, null, s45, v41, vcc_lo
	s_wait_dscnt 0x0
	global_store_b64 v[40:41], v[38:39], off
	s_wait_alu 0xfffe
	s_or_b32 exec_lo, exec_lo, s15
	s_and_saveexec_b32 s15, s24
	s_cbranch_execz .LBB813_235
.LBB813_299:                            ;   in Loop: Header=BB813_96 Depth=2
	v_lshlrev_b32_e32 v2, 2, v153
	ds_load_b32 v2, v2
	ds_load_b64 v[38:39], v110 offset:21504
	s_wait_dscnt 0x1
	v_add_nc_u32_e32 v2, v2, v90
	s_delay_alu instid0(VALU_DEP_1) | instskip(NEXT) | instid1(VALU_DEP_1)
	v_lshlrev_b64_e32 v[40:41], 3, v[2:3]
	v_add_co_u32 v40, vcc_lo, s44, v40
	s_wait_alu 0xfffd
	s_delay_alu instid0(VALU_DEP_2)
	v_add_co_ci_u32_e64 v41, null, s45, v41, vcc_lo
	s_wait_dscnt 0x0
	global_store_b64 v[40:41], v[38:39], off
	s_wait_alu 0xfffe
	s_or_b32 exec_lo, exec_lo, s15
	s_and_saveexec_b32 s15, s25
	s_cbranch_execz .LBB813_236
.LBB813_300:                            ;   in Loop: Header=BB813_96 Depth=2
	v_lshlrev_b32_e32 v2, 2, v152
	ds_load_b32 v2, v2
	ds_load_b64 v[38:39], v110 offset:23552
	s_wait_dscnt 0x1
	v_add_nc_u32_e32 v2, v2, v91
	s_delay_alu instid0(VALU_DEP_1) | instskip(NEXT) | instid1(VALU_DEP_1)
	v_lshlrev_b64_e32 v[40:41], 3, v[2:3]
	v_add_co_u32 v40, vcc_lo, s44, v40
	s_wait_alu 0xfffd
	s_delay_alu instid0(VALU_DEP_2)
	v_add_co_ci_u32_e64 v41, null, s45, v41, vcc_lo
	s_wait_dscnt 0x0
	global_store_b64 v[40:41], v[38:39], off
	s_wait_alu 0xfffe
	s_or_b32 exec_lo, exec_lo, s15
	s_and_saveexec_b32 s15, s26
	s_cbranch_execz .LBB813_237
.LBB813_301:                            ;   in Loop: Header=BB813_96 Depth=2
	v_lshlrev_b32_e32 v2, 2, v151
	ds_load_b32 v2, v2
	ds_load_b64 v[38:39], v110 offset:25600
	s_wait_dscnt 0x1
	v_add_nc_u32_e32 v2, v2, v92
	s_delay_alu instid0(VALU_DEP_1) | instskip(NEXT) | instid1(VALU_DEP_1)
	v_lshlrev_b64_e32 v[40:41], 3, v[2:3]
	v_add_co_u32 v40, vcc_lo, s44, v40
	s_wait_alu 0xfffd
	s_delay_alu instid0(VALU_DEP_2)
	v_add_co_ci_u32_e64 v41, null, s45, v41, vcc_lo
	s_wait_dscnt 0x0
	global_store_b64 v[40:41], v[38:39], off
	s_wait_alu 0xfffe
	s_or_b32 exec_lo, exec_lo, s15
	s_and_saveexec_b32 s15, s27
	s_cbranch_execz .LBB813_238
.LBB813_302:                            ;   in Loop: Header=BB813_96 Depth=2
	v_lshlrev_b32_e32 v2, 2, v150
	ds_load_b32 v2, v2
	ds_load_b64 v[38:39], v110 offset:27648
	s_wait_dscnt 0x1
	v_add_nc_u32_e32 v2, v2, v93
	s_delay_alu instid0(VALU_DEP_1) | instskip(NEXT) | instid1(VALU_DEP_1)
	v_lshlrev_b64_e32 v[40:41], 3, v[2:3]
	v_add_co_u32 v40, vcc_lo, s44, v40
	s_wait_alu 0xfffd
	s_delay_alu instid0(VALU_DEP_2)
	v_add_co_ci_u32_e64 v41, null, s45, v41, vcc_lo
	s_wait_dscnt 0x0
	global_store_b64 v[40:41], v[38:39], off
	s_wait_alu 0xfffe
	s_or_b32 exec_lo, exec_lo, s15
	s_and_saveexec_b32 s15, s28
	s_cbranch_execz .LBB813_239
.LBB813_303:                            ;   in Loop: Header=BB813_96 Depth=2
	v_lshlrev_b32_e32 v2, 2, v149
	ds_load_b32 v2, v2
	ds_load_b64 v[38:39], v110 offset:29696
	s_wait_dscnt 0x1
	v_add_nc_u32_e32 v2, v2, v94
	s_delay_alu instid0(VALU_DEP_1) | instskip(NEXT) | instid1(VALU_DEP_1)
	v_lshlrev_b64_e32 v[40:41], 3, v[2:3]
	v_add_co_u32 v40, vcc_lo, s44, v40
	s_wait_alu 0xfffd
	s_delay_alu instid0(VALU_DEP_2)
	v_add_co_ci_u32_e64 v41, null, s45, v41, vcc_lo
	s_wait_dscnt 0x0
	global_store_b64 v[40:41], v[38:39], off
	s_wait_alu 0xfffe
	s_or_b32 exec_lo, exec_lo, s15
	s_and_saveexec_b32 s15, s29
	s_cbranch_execnz .LBB813_240
	s_branch .LBB813_241
.LBB813_304:                            ;   in Loop: Header=BB813_12 Depth=1
	s_wait_loadcnt_dscnt 0x0
	s_barrier_signal -1
	s_mov_b32 s0, 0
	s_barrier_wait -1
.LBB813_305:                            ;   in Loop: Header=BB813_12 Depth=1
	s_wait_alu 0xfffe
	s_and_b32 vcc_lo, exec_lo, s0
	s_wait_alu 0xfffe
	s_cbranch_vccz .LBB813_597
; %bb.306:                              ;   in Loop: Header=BB813_12 Depth=1
	s_mov_b32 s8, s53
	s_mov_b32 s34, s33
	s_barrier_signal -1
	s_barrier_wait -1
	global_inv scope:SCOPE_SE
                                        ; implicit-def: $vgpr6_vgpr7
                                        ; implicit-def: $vgpr8_vgpr9
                                        ; implicit-def: $vgpr10_vgpr11
                                        ; implicit-def: $vgpr12_vgpr13
                                        ; implicit-def: $vgpr14_vgpr15
                                        ; implicit-def: $vgpr16_vgpr17
                                        ; implicit-def: $vgpr18_vgpr19
                                        ; implicit-def: $vgpr20_vgpr21
                                        ; implicit-def: $vgpr22_vgpr23
                                        ; implicit-def: $vgpr24_vgpr25
                                        ; implicit-def: $vgpr26_vgpr27
                                        ; implicit-def: $vgpr28_vgpr29
                                        ; implicit-def: $vgpr30_vgpr31
                                        ; implicit-def: $vgpr32_vgpr33
                                        ; implicit-def: $vgpr34_vgpr35
                                        ; implicit-def: $vgpr36_vgpr37
	s_branch .LBB813_308
.LBB813_307:                            ;   in Loop: Header=BB813_308 Depth=2
	s_wait_alu 0xfffe
	s_or_b32 exec_lo, exec_lo, s0
	s_addk_co_i32 s8, 0xf000
	s_cmp_ge_u32 s9, s51
	s_mov_b32 s34, s9
	s_cbranch_scc1 .LBB813_376
.LBB813_308:                            ;   Parent Loop BB813_12 Depth=1
                                        ; =>  This Inner Loop Header: Depth=2
	s_wait_alu 0xfffe
	s_add_co_i32 s9, s34, 0x1000
	s_mov_b32 s0, -1
	s_wait_alu 0xfffe
	s_cmp_gt_u32 s9, s51
                                        ; implicit-def: $vgpr38_vgpr39
                                        ; implicit-def: $vgpr40_vgpr41
                                        ; implicit-def: $vgpr42_vgpr43
                                        ; implicit-def: $vgpr44_vgpr45
                                        ; implicit-def: $vgpr46_vgpr47
                                        ; implicit-def: $vgpr48_vgpr49
                                        ; implicit-def: $vgpr50_vgpr51
                                        ; implicit-def: $vgpr52_vgpr53
                                        ; implicit-def: $vgpr54_vgpr55
                                        ; implicit-def: $vgpr56_vgpr57
                                        ; implicit-def: $vgpr58_vgpr59
                                        ; implicit-def: $vgpr60_vgpr61
                                        ; implicit-def: $vgpr62_vgpr63
                                        ; implicit-def: $vgpr64_vgpr65
                                        ; implicit-def: $vgpr66_vgpr67
                                        ; implicit-def: $vgpr68_vgpr69
	s_cbranch_scc1 .LBB813_310
; %bb.309:                              ;   in Loop: Header=BB813_308 Depth=2
	s_lshl_b64 s[0:1], s[34:35], 3
	s_wait_alu 0xfffe
	v_add_co_u32 v68, vcc_lo, v111, s0
	s_wait_alu 0xfffd
	v_add_co_ci_u32_e64 v69, null, s1, v112, vcc_lo
	s_mov_b32 s0, 0
	s_clause 0xf
	global_load_b64 v[38:39], v[68:69], off
	global_load_b64 v[40:41], v[68:69], off offset:2048
	global_load_b64 v[42:43], v[68:69], off offset:4096
	;; [unrolled: 1-line block ×15, first 2 shown]
.LBB813_310:                            ;   in Loop: Header=BB813_308 Depth=2
	s_wait_alu 0xfffe
	s_and_not1_b32 vcc_lo, exec_lo, s0
	s_movk_i32 s0, 0x1000
	s_wait_alu 0xfffe
	s_cbranch_vccnz .LBB813_329
; %bb.311:                              ;   in Loop: Header=BB813_308 Depth=2
	s_lshl_b64 s[0:1], s[34:35], 3
	s_mov_b32 s10, exec_lo
	s_wait_alu 0xfffe
	s_add_nc_u64 s[0:1], s[38:39], s[0:1]
	v_cmpx_gt_u32_e64 s8, v1
	s_cbranch_execnz .LBB813_361
; %bb.312:                              ;   in Loop: Header=BB813_308 Depth=2
	s_or_b32 exec_lo, exec_lo, s10
	s_delay_alu instid0(SALU_CYCLE_1)
	s_mov_b32 s10, exec_lo
	v_cmpx_gt_u32_e64 s8, v79
	s_cbranch_execnz .LBB813_362
.LBB813_313:                            ;   in Loop: Header=BB813_308 Depth=2
	s_wait_alu 0xfffe
	s_or_b32 exec_lo, exec_lo, s10
	s_delay_alu instid0(SALU_CYCLE_1)
	s_mov_b32 s10, exec_lo
	v_cmpx_gt_u32_e64 s8, v80
	s_cbranch_execnz .LBB813_363
.LBB813_314:                            ;   in Loop: Header=BB813_308 Depth=2
	s_wait_alu 0xfffe
	s_or_b32 exec_lo, exec_lo, s10
	s_delay_alu instid0(SALU_CYCLE_1)
	s_mov_b32 s10, exec_lo
	v_cmpx_gt_u32_e64 s8, v81
	s_cbranch_execnz .LBB813_364
.LBB813_315:                            ;   in Loop: Header=BB813_308 Depth=2
	s_wait_alu 0xfffe
	s_or_b32 exec_lo, exec_lo, s10
	s_delay_alu instid0(SALU_CYCLE_1)
	s_mov_b32 s10, exec_lo
	v_cmpx_gt_u32_e64 s8, v84
	s_cbranch_execnz .LBB813_365
.LBB813_316:                            ;   in Loop: Header=BB813_308 Depth=2
	s_wait_alu 0xfffe
	s_or_b32 exec_lo, exec_lo, s10
	s_delay_alu instid0(SALU_CYCLE_1)
	s_mov_b32 s10, exec_lo
	v_cmpx_gt_u32_e64 s8, v85
	s_cbranch_execnz .LBB813_366
.LBB813_317:                            ;   in Loop: Header=BB813_308 Depth=2
	s_wait_alu 0xfffe
	s_or_b32 exec_lo, exec_lo, s10
	s_delay_alu instid0(SALU_CYCLE_1)
	s_mov_b32 s10, exec_lo
	v_cmpx_gt_u32_e64 s8, v86
	s_cbranch_execnz .LBB813_367
.LBB813_318:                            ;   in Loop: Header=BB813_308 Depth=2
	s_wait_alu 0xfffe
	s_or_b32 exec_lo, exec_lo, s10
	s_delay_alu instid0(SALU_CYCLE_1)
	s_mov_b32 s10, exec_lo
	v_cmpx_gt_u32_e64 s8, v87
	s_cbranch_execnz .LBB813_368
.LBB813_319:                            ;   in Loop: Header=BB813_308 Depth=2
	s_wait_alu 0xfffe
	s_or_b32 exec_lo, exec_lo, s10
	s_delay_alu instid0(SALU_CYCLE_1)
	s_mov_b32 s10, exec_lo
	v_cmpx_gt_u32_e64 s8, v88
	s_cbranch_execnz .LBB813_369
.LBB813_320:                            ;   in Loop: Header=BB813_308 Depth=2
	s_wait_alu 0xfffe
	s_or_b32 exec_lo, exec_lo, s10
	s_delay_alu instid0(SALU_CYCLE_1)
	s_mov_b32 s10, exec_lo
	v_cmpx_gt_u32_e64 s8, v89
	s_cbranch_execnz .LBB813_370
.LBB813_321:                            ;   in Loop: Header=BB813_308 Depth=2
	s_wait_alu 0xfffe
	s_or_b32 exec_lo, exec_lo, s10
	s_delay_alu instid0(SALU_CYCLE_1)
	s_mov_b32 s10, exec_lo
	v_cmpx_gt_u32_e64 s8, v90
	s_cbranch_execnz .LBB813_371
.LBB813_322:                            ;   in Loop: Header=BB813_308 Depth=2
	s_wait_alu 0xfffe
	s_or_b32 exec_lo, exec_lo, s10
	s_delay_alu instid0(SALU_CYCLE_1)
	s_mov_b32 s10, exec_lo
	v_cmpx_gt_u32_e64 s8, v91
	s_cbranch_execnz .LBB813_372
.LBB813_323:                            ;   in Loop: Header=BB813_308 Depth=2
	s_wait_alu 0xfffe
	s_or_b32 exec_lo, exec_lo, s10
	s_delay_alu instid0(SALU_CYCLE_1)
	s_mov_b32 s10, exec_lo
	v_cmpx_gt_u32_e64 s8, v92
	s_cbranch_execnz .LBB813_373
.LBB813_324:                            ;   in Loop: Header=BB813_308 Depth=2
	s_wait_alu 0xfffe
	s_or_b32 exec_lo, exec_lo, s10
	s_delay_alu instid0(SALU_CYCLE_1)
	s_mov_b32 s10, exec_lo
	v_cmpx_gt_u32_e64 s8, v93
	s_cbranch_execnz .LBB813_374
.LBB813_325:                            ;   in Loop: Header=BB813_308 Depth=2
	s_wait_alu 0xfffe
	s_or_b32 exec_lo, exec_lo, s10
	s_delay_alu instid0(SALU_CYCLE_1)
	s_mov_b32 s10, exec_lo
	v_cmpx_gt_u32_e64 s8, v94
	s_cbranch_execnz .LBB813_375
.LBB813_326:                            ;   in Loop: Header=BB813_308 Depth=2
	s_wait_alu 0xfffe
	s_or_b32 exec_lo, exec_lo, s10
	s_delay_alu instid0(SALU_CYCLE_1)
	s_mov_b32 s10, exec_lo
	v_cmpx_gt_u32_e64 s8, v95
	s_cbranch_execz .LBB813_328
.LBB813_327:                            ;   in Loop: Header=BB813_308 Depth=2
	global_load_b64 v[6:7], v124, s[0:1] offset:30720
.LBB813_328:                            ;   in Loop: Header=BB813_308 Depth=2
	s_wait_alu 0xfffe
	s_or_b32 exec_lo, exec_lo, s10
	s_wait_loadcnt 0x0
	v_dual_mov_b32 v39, v37 :: v_dual_mov_b32 v38, v36
	v_dual_mov_b32 v41, v35 :: v_dual_mov_b32 v40, v34
	;; [unrolled: 1-line block ×16, first 2 shown]
	s_mov_b32 s0, s8
.LBB813_329:                            ;   in Loop: Header=BB813_308 Depth=2
	s_wait_loadcnt 0x0
	s_delay_alu instid0(VALU_DEP_1)
	v_dual_mov_b32 v6, v68 :: v_dual_mov_b32 v7, v69
	v_dual_mov_b32 v8, v66 :: v_dual_mov_b32 v9, v67
	;; [unrolled: 1-line block ×16, first 2 shown]
	s_mov_b32 s1, exec_lo
	s_wait_alu 0xfffe
	v_cmpx_gt_u32_e64 s0, v1
	s_cbranch_execnz .LBB813_345
; %bb.330:                              ;   in Loop: Header=BB813_308 Depth=2
	s_or_b32 exec_lo, exec_lo, s1
	s_delay_alu instid0(SALU_CYCLE_1)
	s_mov_b32 s1, exec_lo
	v_cmpx_gt_u32_e64 s0, v79
	s_cbranch_execnz .LBB813_346
.LBB813_331:                            ;   in Loop: Header=BB813_308 Depth=2
	s_wait_alu 0xfffe
	s_or_b32 exec_lo, exec_lo, s1
	s_delay_alu instid0(SALU_CYCLE_1)
	s_mov_b32 s1, exec_lo
	v_cmpx_gt_u32_e64 s0, v80
	s_cbranch_execnz .LBB813_347
.LBB813_332:                            ;   in Loop: Header=BB813_308 Depth=2
	s_wait_alu 0xfffe
	s_or_b32 exec_lo, exec_lo, s1
	s_delay_alu instid0(SALU_CYCLE_1)
	s_mov_b32 s1, exec_lo
	v_cmpx_gt_u32_e64 s0, v81
	s_cbranch_execnz .LBB813_348
.LBB813_333:                            ;   in Loop: Header=BB813_308 Depth=2
	s_wait_alu 0xfffe
	s_or_b32 exec_lo, exec_lo, s1
	s_delay_alu instid0(SALU_CYCLE_1)
	s_mov_b32 s1, exec_lo
	v_cmpx_gt_u32_e64 s0, v84
	s_cbranch_execnz .LBB813_349
.LBB813_334:                            ;   in Loop: Header=BB813_308 Depth=2
	s_wait_alu 0xfffe
	s_or_b32 exec_lo, exec_lo, s1
	s_delay_alu instid0(SALU_CYCLE_1)
	s_mov_b32 s1, exec_lo
	v_cmpx_gt_u32_e64 s0, v85
	s_cbranch_execnz .LBB813_350
.LBB813_335:                            ;   in Loop: Header=BB813_308 Depth=2
	s_wait_alu 0xfffe
	s_or_b32 exec_lo, exec_lo, s1
	s_delay_alu instid0(SALU_CYCLE_1)
	s_mov_b32 s1, exec_lo
	v_cmpx_gt_u32_e64 s0, v86
	s_cbranch_execnz .LBB813_351
.LBB813_336:                            ;   in Loop: Header=BB813_308 Depth=2
	s_wait_alu 0xfffe
	s_or_b32 exec_lo, exec_lo, s1
	s_delay_alu instid0(SALU_CYCLE_1)
	s_mov_b32 s1, exec_lo
	v_cmpx_gt_u32_e64 s0, v87
	s_cbranch_execnz .LBB813_352
.LBB813_337:                            ;   in Loop: Header=BB813_308 Depth=2
	s_wait_alu 0xfffe
	s_or_b32 exec_lo, exec_lo, s1
	s_delay_alu instid0(SALU_CYCLE_1)
	s_mov_b32 s1, exec_lo
	v_cmpx_gt_u32_e64 s0, v88
	s_cbranch_execnz .LBB813_353
.LBB813_338:                            ;   in Loop: Header=BB813_308 Depth=2
	s_wait_alu 0xfffe
	s_or_b32 exec_lo, exec_lo, s1
	s_delay_alu instid0(SALU_CYCLE_1)
	s_mov_b32 s1, exec_lo
	v_cmpx_gt_u32_e64 s0, v89
	s_cbranch_execnz .LBB813_354
.LBB813_339:                            ;   in Loop: Header=BB813_308 Depth=2
	s_wait_alu 0xfffe
	s_or_b32 exec_lo, exec_lo, s1
	s_delay_alu instid0(SALU_CYCLE_1)
	s_mov_b32 s1, exec_lo
	v_cmpx_gt_u32_e64 s0, v90
	s_cbranch_execnz .LBB813_355
.LBB813_340:                            ;   in Loop: Header=BB813_308 Depth=2
	s_wait_alu 0xfffe
	s_or_b32 exec_lo, exec_lo, s1
	s_delay_alu instid0(SALU_CYCLE_1)
	s_mov_b32 s1, exec_lo
	v_cmpx_gt_u32_e64 s0, v91
	s_cbranch_execnz .LBB813_356
.LBB813_341:                            ;   in Loop: Header=BB813_308 Depth=2
	s_wait_alu 0xfffe
	s_or_b32 exec_lo, exec_lo, s1
	s_delay_alu instid0(SALU_CYCLE_1)
	s_mov_b32 s1, exec_lo
	v_cmpx_gt_u32_e64 s0, v92
	s_cbranch_execnz .LBB813_357
.LBB813_342:                            ;   in Loop: Header=BB813_308 Depth=2
	s_wait_alu 0xfffe
	s_or_b32 exec_lo, exec_lo, s1
	s_delay_alu instid0(SALU_CYCLE_1)
	s_mov_b32 s1, exec_lo
	v_cmpx_gt_u32_e64 s0, v93
	s_cbranch_execnz .LBB813_358
.LBB813_343:                            ;   in Loop: Header=BB813_308 Depth=2
	s_wait_alu 0xfffe
	s_or_b32 exec_lo, exec_lo, s1
	s_delay_alu instid0(SALU_CYCLE_1)
	s_mov_b32 s1, exec_lo
	v_cmpx_gt_u32_e64 s0, v94
	s_cbranch_execnz .LBB813_359
.LBB813_344:                            ;   in Loop: Header=BB813_308 Depth=2
	s_wait_alu 0xfffe
	s_or_b32 exec_lo, exec_lo, s1
	v_cmp_gt_u32_e32 vcc_lo, s0, v95
	s_and_saveexec_b32 s0, vcc_lo
	s_cbranch_execz .LBB813_307
	s_branch .LBB813_360
.LBB813_345:                            ;   in Loop: Header=BB813_308 Depth=2
	v_xor_b32_e32 v39, 0x80000000, v37
	v_mov_b32_e32 v38, v36
	s_delay_alu instid0(VALU_DEP_1) | instskip(NEXT) | instid1(VALU_DEP_1)
	v_lshrrev_b64 v[38:39], s48, v[38:39]
	v_and_b32_e32 v2, s55, v38
	s_delay_alu instid0(VALU_DEP_1) | instskip(SKIP_2) | instid1(SALU_CYCLE_1)
	v_lshl_or_b32 v2, v2, 4, v96
	ds_add_u32 v2, v123
	s_or_b32 exec_lo, exec_lo, s1
	s_mov_b32 s1, exec_lo
	v_cmpx_gt_u32_e64 s0, v79
	s_cbranch_execz .LBB813_331
.LBB813_346:                            ;   in Loop: Header=BB813_308 Depth=2
	v_xor_b32_e32 v39, 0x80000000, v35
	v_mov_b32_e32 v38, v34
	s_delay_alu instid0(VALU_DEP_1) | instskip(NEXT) | instid1(VALU_DEP_1)
	v_lshrrev_b64 v[38:39], s48, v[38:39]
	v_and_b32_e32 v2, s55, v38
	s_delay_alu instid0(VALU_DEP_1) | instskip(SKIP_3) | instid1(SALU_CYCLE_1)
	v_lshl_or_b32 v2, v2, 4, v96
	ds_add_u32 v2, v123
	s_wait_alu 0xfffe
	s_or_b32 exec_lo, exec_lo, s1
	s_mov_b32 s1, exec_lo
	v_cmpx_gt_u32_e64 s0, v80
	s_cbranch_execz .LBB813_332
.LBB813_347:                            ;   in Loop: Header=BB813_308 Depth=2
	v_xor_b32_e32 v39, 0x80000000, v33
	v_mov_b32_e32 v38, v32
	s_delay_alu instid0(VALU_DEP_1) | instskip(NEXT) | instid1(VALU_DEP_1)
	v_lshrrev_b64 v[38:39], s48, v[38:39]
	v_and_b32_e32 v2, s55, v38
	s_delay_alu instid0(VALU_DEP_1) | instskip(SKIP_3) | instid1(SALU_CYCLE_1)
	v_lshl_or_b32 v2, v2, 4, v96
	ds_add_u32 v2, v123
	s_wait_alu 0xfffe
	s_or_b32 exec_lo, exec_lo, s1
	s_mov_b32 s1, exec_lo
	v_cmpx_gt_u32_e64 s0, v81
	s_cbranch_execz .LBB813_333
.LBB813_348:                            ;   in Loop: Header=BB813_308 Depth=2
	v_xor_b32_e32 v39, 0x80000000, v31
	v_mov_b32_e32 v38, v30
	s_delay_alu instid0(VALU_DEP_1) | instskip(NEXT) | instid1(VALU_DEP_1)
	v_lshrrev_b64 v[38:39], s48, v[38:39]
	v_and_b32_e32 v2, s55, v38
	s_delay_alu instid0(VALU_DEP_1) | instskip(SKIP_3) | instid1(SALU_CYCLE_1)
	v_lshl_or_b32 v2, v2, 4, v96
	ds_add_u32 v2, v123
	s_wait_alu 0xfffe
	s_or_b32 exec_lo, exec_lo, s1
	s_mov_b32 s1, exec_lo
	v_cmpx_gt_u32_e64 s0, v84
	s_cbranch_execz .LBB813_334
.LBB813_349:                            ;   in Loop: Header=BB813_308 Depth=2
	v_xor_b32_e32 v39, 0x80000000, v29
	v_mov_b32_e32 v38, v28
	s_delay_alu instid0(VALU_DEP_1) | instskip(NEXT) | instid1(VALU_DEP_1)
	v_lshrrev_b64 v[38:39], s48, v[38:39]
	v_and_b32_e32 v2, s55, v38
	s_delay_alu instid0(VALU_DEP_1) | instskip(SKIP_3) | instid1(SALU_CYCLE_1)
	v_lshl_or_b32 v2, v2, 4, v96
	ds_add_u32 v2, v123
	s_wait_alu 0xfffe
	s_or_b32 exec_lo, exec_lo, s1
	s_mov_b32 s1, exec_lo
	v_cmpx_gt_u32_e64 s0, v85
	s_cbranch_execz .LBB813_335
.LBB813_350:                            ;   in Loop: Header=BB813_308 Depth=2
	v_xor_b32_e32 v39, 0x80000000, v27
	v_mov_b32_e32 v38, v26
	s_delay_alu instid0(VALU_DEP_1) | instskip(NEXT) | instid1(VALU_DEP_1)
	v_lshrrev_b64 v[38:39], s48, v[38:39]
	v_and_b32_e32 v2, s55, v38
	s_delay_alu instid0(VALU_DEP_1) | instskip(SKIP_3) | instid1(SALU_CYCLE_1)
	v_lshl_or_b32 v2, v2, 4, v96
	ds_add_u32 v2, v123
	s_wait_alu 0xfffe
	s_or_b32 exec_lo, exec_lo, s1
	s_mov_b32 s1, exec_lo
	v_cmpx_gt_u32_e64 s0, v86
	s_cbranch_execz .LBB813_336
.LBB813_351:                            ;   in Loop: Header=BB813_308 Depth=2
	v_xor_b32_e32 v39, 0x80000000, v25
	v_mov_b32_e32 v38, v24
	s_delay_alu instid0(VALU_DEP_1) | instskip(NEXT) | instid1(VALU_DEP_1)
	v_lshrrev_b64 v[38:39], s48, v[38:39]
	v_and_b32_e32 v2, s55, v38
	s_delay_alu instid0(VALU_DEP_1) | instskip(SKIP_3) | instid1(SALU_CYCLE_1)
	v_lshl_or_b32 v2, v2, 4, v96
	ds_add_u32 v2, v123
	s_wait_alu 0xfffe
	s_or_b32 exec_lo, exec_lo, s1
	s_mov_b32 s1, exec_lo
	v_cmpx_gt_u32_e64 s0, v87
	s_cbranch_execz .LBB813_337
.LBB813_352:                            ;   in Loop: Header=BB813_308 Depth=2
	v_xor_b32_e32 v39, 0x80000000, v23
	v_mov_b32_e32 v38, v22
	s_delay_alu instid0(VALU_DEP_1) | instskip(NEXT) | instid1(VALU_DEP_1)
	v_lshrrev_b64 v[38:39], s48, v[38:39]
	v_and_b32_e32 v2, s55, v38
	s_delay_alu instid0(VALU_DEP_1) | instskip(SKIP_3) | instid1(SALU_CYCLE_1)
	v_lshl_or_b32 v2, v2, 4, v96
	ds_add_u32 v2, v123
	s_wait_alu 0xfffe
	s_or_b32 exec_lo, exec_lo, s1
	s_mov_b32 s1, exec_lo
	v_cmpx_gt_u32_e64 s0, v88
	s_cbranch_execz .LBB813_338
.LBB813_353:                            ;   in Loop: Header=BB813_308 Depth=2
	v_xor_b32_e32 v39, 0x80000000, v21
	v_mov_b32_e32 v38, v20
	s_delay_alu instid0(VALU_DEP_1) | instskip(NEXT) | instid1(VALU_DEP_1)
	v_lshrrev_b64 v[38:39], s48, v[38:39]
	v_and_b32_e32 v2, s55, v38
	s_delay_alu instid0(VALU_DEP_1) | instskip(SKIP_3) | instid1(SALU_CYCLE_1)
	v_lshl_or_b32 v2, v2, 4, v96
	ds_add_u32 v2, v123
	s_wait_alu 0xfffe
	s_or_b32 exec_lo, exec_lo, s1
	s_mov_b32 s1, exec_lo
	v_cmpx_gt_u32_e64 s0, v89
	s_cbranch_execz .LBB813_339
.LBB813_354:                            ;   in Loop: Header=BB813_308 Depth=2
	v_xor_b32_e32 v39, 0x80000000, v19
	v_mov_b32_e32 v38, v18
	s_delay_alu instid0(VALU_DEP_1) | instskip(NEXT) | instid1(VALU_DEP_1)
	v_lshrrev_b64 v[38:39], s48, v[38:39]
	v_and_b32_e32 v2, s55, v38
	s_delay_alu instid0(VALU_DEP_1) | instskip(SKIP_3) | instid1(SALU_CYCLE_1)
	v_lshl_or_b32 v2, v2, 4, v96
	ds_add_u32 v2, v123
	s_wait_alu 0xfffe
	s_or_b32 exec_lo, exec_lo, s1
	s_mov_b32 s1, exec_lo
	v_cmpx_gt_u32_e64 s0, v90
	s_cbranch_execz .LBB813_340
.LBB813_355:                            ;   in Loop: Header=BB813_308 Depth=2
	v_xor_b32_e32 v39, 0x80000000, v17
	v_mov_b32_e32 v38, v16
	s_delay_alu instid0(VALU_DEP_1) | instskip(NEXT) | instid1(VALU_DEP_1)
	v_lshrrev_b64 v[38:39], s48, v[38:39]
	v_and_b32_e32 v2, s55, v38
	s_delay_alu instid0(VALU_DEP_1) | instskip(SKIP_3) | instid1(SALU_CYCLE_1)
	v_lshl_or_b32 v2, v2, 4, v96
	ds_add_u32 v2, v123
	s_wait_alu 0xfffe
	s_or_b32 exec_lo, exec_lo, s1
	s_mov_b32 s1, exec_lo
	v_cmpx_gt_u32_e64 s0, v91
	s_cbranch_execz .LBB813_341
.LBB813_356:                            ;   in Loop: Header=BB813_308 Depth=2
	v_xor_b32_e32 v39, 0x80000000, v15
	v_mov_b32_e32 v38, v14
	s_delay_alu instid0(VALU_DEP_1) | instskip(NEXT) | instid1(VALU_DEP_1)
	v_lshrrev_b64 v[38:39], s48, v[38:39]
	v_and_b32_e32 v2, s55, v38
	s_delay_alu instid0(VALU_DEP_1) | instskip(SKIP_3) | instid1(SALU_CYCLE_1)
	v_lshl_or_b32 v2, v2, 4, v96
	ds_add_u32 v2, v123
	s_wait_alu 0xfffe
	s_or_b32 exec_lo, exec_lo, s1
	s_mov_b32 s1, exec_lo
	v_cmpx_gt_u32_e64 s0, v92
	s_cbranch_execz .LBB813_342
.LBB813_357:                            ;   in Loop: Header=BB813_308 Depth=2
	v_xor_b32_e32 v39, 0x80000000, v13
	v_mov_b32_e32 v38, v12
	s_delay_alu instid0(VALU_DEP_1) | instskip(NEXT) | instid1(VALU_DEP_1)
	v_lshrrev_b64 v[38:39], s48, v[38:39]
	v_and_b32_e32 v2, s55, v38
	s_delay_alu instid0(VALU_DEP_1) | instskip(SKIP_3) | instid1(SALU_CYCLE_1)
	v_lshl_or_b32 v2, v2, 4, v96
	ds_add_u32 v2, v123
	s_wait_alu 0xfffe
	s_or_b32 exec_lo, exec_lo, s1
	s_mov_b32 s1, exec_lo
	v_cmpx_gt_u32_e64 s0, v93
	s_cbranch_execz .LBB813_343
.LBB813_358:                            ;   in Loop: Header=BB813_308 Depth=2
	v_xor_b32_e32 v39, 0x80000000, v11
	v_mov_b32_e32 v38, v10
	s_delay_alu instid0(VALU_DEP_1) | instskip(NEXT) | instid1(VALU_DEP_1)
	v_lshrrev_b64 v[38:39], s48, v[38:39]
	v_and_b32_e32 v2, s55, v38
	s_delay_alu instid0(VALU_DEP_1) | instskip(SKIP_3) | instid1(SALU_CYCLE_1)
	v_lshl_or_b32 v2, v2, 4, v96
	ds_add_u32 v2, v123
	s_wait_alu 0xfffe
	s_or_b32 exec_lo, exec_lo, s1
	s_mov_b32 s1, exec_lo
	v_cmpx_gt_u32_e64 s0, v94
	s_cbranch_execz .LBB813_344
.LBB813_359:                            ;   in Loop: Header=BB813_308 Depth=2
	v_xor_b32_e32 v39, 0x80000000, v9
	v_mov_b32_e32 v38, v8
	s_delay_alu instid0(VALU_DEP_1) | instskip(NEXT) | instid1(VALU_DEP_1)
	v_lshrrev_b64 v[38:39], s48, v[38:39]
	v_and_b32_e32 v2, s55, v38
	s_delay_alu instid0(VALU_DEP_1)
	v_lshl_or_b32 v2, v2, 4, v96
	ds_add_u32 v2, v123
	s_wait_alu 0xfffe
	s_or_b32 exec_lo, exec_lo, s1
	v_cmp_gt_u32_e32 vcc_lo, s0, v95
	s_and_saveexec_b32 s0, vcc_lo
	s_cbranch_execz .LBB813_307
.LBB813_360:                            ;   in Loop: Header=BB813_308 Depth=2
	v_xor_b32_e32 v39, 0x80000000, v7
	v_mov_b32_e32 v38, v6
	s_delay_alu instid0(VALU_DEP_1) | instskip(NEXT) | instid1(VALU_DEP_1)
	v_lshrrev_b64 v[38:39], s48, v[38:39]
	v_and_b32_e32 v2, s55, v38
	s_delay_alu instid0(VALU_DEP_1)
	v_lshl_or_b32 v2, v2, 4, v96
	ds_add_u32 v2, v123
	s_branch .LBB813_307
.LBB813_361:                            ;   in Loop: Header=BB813_308 Depth=2
	global_load_b64 v[36:37], v124, s[0:1]
	s_or_b32 exec_lo, exec_lo, s10
	s_delay_alu instid0(SALU_CYCLE_1)
	s_mov_b32 s10, exec_lo
	v_cmpx_gt_u32_e64 s8, v79
	s_cbranch_execz .LBB813_313
.LBB813_362:                            ;   in Loop: Header=BB813_308 Depth=2
	global_load_b64 v[34:35], v124, s[0:1] offset:2048
	s_wait_alu 0xfffe
	s_or_b32 exec_lo, exec_lo, s10
	s_delay_alu instid0(SALU_CYCLE_1)
	s_mov_b32 s10, exec_lo
	v_cmpx_gt_u32_e64 s8, v80
	s_cbranch_execz .LBB813_314
.LBB813_363:                            ;   in Loop: Header=BB813_308 Depth=2
	global_load_b64 v[32:33], v124, s[0:1] offset:4096
	s_wait_alu 0xfffe
	s_or_b32 exec_lo, exec_lo, s10
	s_delay_alu instid0(SALU_CYCLE_1)
	s_mov_b32 s10, exec_lo
	v_cmpx_gt_u32_e64 s8, v81
	s_cbranch_execz .LBB813_315
.LBB813_364:                            ;   in Loop: Header=BB813_308 Depth=2
	global_load_b64 v[30:31], v124, s[0:1] offset:6144
	s_wait_alu 0xfffe
	s_or_b32 exec_lo, exec_lo, s10
	s_delay_alu instid0(SALU_CYCLE_1)
	s_mov_b32 s10, exec_lo
	v_cmpx_gt_u32_e64 s8, v84
	s_cbranch_execz .LBB813_316
.LBB813_365:                            ;   in Loop: Header=BB813_308 Depth=2
	global_load_b64 v[28:29], v124, s[0:1] offset:8192
	s_wait_alu 0xfffe
	s_or_b32 exec_lo, exec_lo, s10
	s_delay_alu instid0(SALU_CYCLE_1)
	s_mov_b32 s10, exec_lo
	v_cmpx_gt_u32_e64 s8, v85
	s_cbranch_execz .LBB813_317
.LBB813_366:                            ;   in Loop: Header=BB813_308 Depth=2
	global_load_b64 v[26:27], v124, s[0:1] offset:10240
	s_wait_alu 0xfffe
	s_or_b32 exec_lo, exec_lo, s10
	s_delay_alu instid0(SALU_CYCLE_1)
	s_mov_b32 s10, exec_lo
	v_cmpx_gt_u32_e64 s8, v86
	s_cbranch_execz .LBB813_318
.LBB813_367:                            ;   in Loop: Header=BB813_308 Depth=2
	global_load_b64 v[24:25], v124, s[0:1] offset:12288
	s_wait_alu 0xfffe
	s_or_b32 exec_lo, exec_lo, s10
	s_delay_alu instid0(SALU_CYCLE_1)
	s_mov_b32 s10, exec_lo
	v_cmpx_gt_u32_e64 s8, v87
	s_cbranch_execz .LBB813_319
.LBB813_368:                            ;   in Loop: Header=BB813_308 Depth=2
	global_load_b64 v[22:23], v124, s[0:1] offset:14336
	s_wait_alu 0xfffe
	s_or_b32 exec_lo, exec_lo, s10
	s_delay_alu instid0(SALU_CYCLE_1)
	s_mov_b32 s10, exec_lo
	v_cmpx_gt_u32_e64 s8, v88
	s_cbranch_execz .LBB813_320
.LBB813_369:                            ;   in Loop: Header=BB813_308 Depth=2
	global_load_b64 v[20:21], v124, s[0:1] offset:16384
	s_wait_alu 0xfffe
	s_or_b32 exec_lo, exec_lo, s10
	s_delay_alu instid0(SALU_CYCLE_1)
	s_mov_b32 s10, exec_lo
	v_cmpx_gt_u32_e64 s8, v89
	s_cbranch_execz .LBB813_321
.LBB813_370:                            ;   in Loop: Header=BB813_308 Depth=2
	global_load_b64 v[18:19], v124, s[0:1] offset:18432
	s_wait_alu 0xfffe
	s_or_b32 exec_lo, exec_lo, s10
	s_delay_alu instid0(SALU_CYCLE_1)
	s_mov_b32 s10, exec_lo
	v_cmpx_gt_u32_e64 s8, v90
	s_cbranch_execz .LBB813_322
.LBB813_371:                            ;   in Loop: Header=BB813_308 Depth=2
	global_load_b64 v[16:17], v124, s[0:1] offset:20480
	s_wait_alu 0xfffe
	s_or_b32 exec_lo, exec_lo, s10
	s_delay_alu instid0(SALU_CYCLE_1)
	s_mov_b32 s10, exec_lo
	v_cmpx_gt_u32_e64 s8, v91
	s_cbranch_execz .LBB813_323
.LBB813_372:                            ;   in Loop: Header=BB813_308 Depth=2
	global_load_b64 v[14:15], v124, s[0:1] offset:22528
	s_wait_alu 0xfffe
	s_or_b32 exec_lo, exec_lo, s10
	s_delay_alu instid0(SALU_CYCLE_1)
	s_mov_b32 s10, exec_lo
	v_cmpx_gt_u32_e64 s8, v92
	s_cbranch_execz .LBB813_324
.LBB813_373:                            ;   in Loop: Header=BB813_308 Depth=2
	global_load_b64 v[12:13], v124, s[0:1] offset:24576
	s_wait_alu 0xfffe
	s_or_b32 exec_lo, exec_lo, s10
	s_delay_alu instid0(SALU_CYCLE_1)
	s_mov_b32 s10, exec_lo
	v_cmpx_gt_u32_e64 s8, v93
	s_cbranch_execz .LBB813_325
.LBB813_374:                            ;   in Loop: Header=BB813_308 Depth=2
	global_load_b64 v[10:11], v124, s[0:1] offset:26624
	s_wait_alu 0xfffe
	s_or_b32 exec_lo, exec_lo, s10
	s_delay_alu instid0(SALU_CYCLE_1)
	s_mov_b32 s10, exec_lo
	v_cmpx_gt_u32_e64 s8, v94
	s_cbranch_execz .LBB813_326
.LBB813_375:                            ;   in Loop: Header=BB813_308 Depth=2
	global_load_b64 v[8:9], v124, s[0:1] offset:28672
	s_wait_alu 0xfffe
	s_or_b32 exec_lo, exec_lo, s10
	s_delay_alu instid0(SALU_CYCLE_1)
	s_mov_b32 s10, exec_lo
	v_cmpx_gt_u32_e64 s8, v95
	s_cbranch_execnz .LBB813_327
	s_branch .LBB813_328
.LBB813_376:                            ;   in Loop: Header=BB813_12 Depth=1
	v_mov_b32_e32 v2, 0
	s_wait_dscnt 0x0
	s_barrier_signal -1
	s_barrier_wait -1
	global_inv scope:SCOPE_SE
	s_and_saveexec_b32 s0, s2
	s_cbranch_execz .LBB813_378
; %bb.377:                              ;   in Loop: Header=BB813_12 Depth=1
	ds_load_2addr_b64 v[6:9], v98 offset1:1
	s_wait_dscnt 0x0
	v_add_nc_u32_e32 v2, v7, v6
	s_delay_alu instid0(VALU_DEP_1)
	v_add3_u32 v2, v2, v8, v9
.LBB813_378:                            ;   in Loop: Header=BB813_12 Depth=1
	s_wait_alu 0xfffe
	s_or_b32 exec_lo, exec_lo, s0
	v_and_b32_e32 v6, 15, v125
	s_delay_alu instid0(VALU_DEP_2) | instskip(SKIP_1) | instid1(VALU_DEP_3)
	v_mov_b32_dpp v7, v2 row_shr:1 row_mask:0xf bank_mask:0xf
	v_and_b32_e32 v8, 16, v125
	v_cmp_eq_u32_e64 s0, 0, v6
	v_cmp_lt_u32_e64 s1, 1, v6
	v_cmp_lt_u32_e64 s8, 3, v6
	;; [unrolled: 1-line block ×3, first 2 shown]
	v_cmp_eq_u32_e64 s10, 0, v8
	s_wait_alu 0xf1ff
	v_cndmask_b32_e64 v7, v7, 0, s0
	s_delay_alu instid0(VALU_DEP_1) | instskip(NEXT) | instid1(VALU_DEP_1)
	v_add_nc_u32_e32 v2, v7, v2
	v_mov_b32_dpp v7, v2 row_shr:2 row_mask:0xf bank_mask:0xf
	s_delay_alu instid0(VALU_DEP_1) | instskip(NEXT) | instid1(VALU_DEP_1)
	v_cndmask_b32_e64 v7, 0, v7, s1
	v_add_nc_u32_e32 v2, v2, v7
	s_delay_alu instid0(VALU_DEP_1) | instskip(NEXT) | instid1(VALU_DEP_1)
	v_mov_b32_dpp v7, v2 row_shr:4 row_mask:0xf bank_mask:0xf
	v_cndmask_b32_e64 v7, 0, v7, s8
	s_delay_alu instid0(VALU_DEP_1) | instskip(NEXT) | instid1(VALU_DEP_1)
	v_add_nc_u32_e32 v2, v2, v7
	v_mov_b32_dpp v7, v2 row_shr:8 row_mask:0xf bank_mask:0xf
	s_delay_alu instid0(VALU_DEP_1) | instskip(SKIP_1) | instid1(VALU_DEP_2)
	v_cndmask_b32_e64 v6, 0, v7, s9
	v_bfe_i32 v7, v125, 4, 1
	v_add_nc_u32_e32 v2, v2, v6
	ds_swizzle_b32 v6, v2 offset:swizzle(BROADCAST,32,15)
	s_wait_dscnt 0x0
	v_and_b32_e32 v6, v7, v6
	s_delay_alu instid0(VALU_DEP_1)
	v_add_nc_u32_e32 v6, v2, v6
	s_and_saveexec_b32 s11, s3
; %bb.379:                              ;   in Loop: Header=BB813_12 Depth=1
	ds_store_b32 v99, v6
; %bb.380:                              ;   in Loop: Header=BB813_12 Depth=1
	s_wait_alu 0xfffe
	s_or_b32 exec_lo, exec_lo, s11
	v_and_b32_e32 v2, 7, v125
	s_wait_loadcnt_dscnt 0x0
	s_barrier_signal -1
	s_barrier_wait -1
	global_inv scope:SCOPE_SE
	s_and_saveexec_b32 s11, s4
	s_cbranch_execz .LBB813_382
; %bb.381:                              ;   in Loop: Header=BB813_12 Depth=1
	ds_load_b32 v7, v100
	v_cmp_ne_u32_e32 vcc_lo, 0, v2
	s_wait_dscnt 0x0
	v_mov_b32_dpp v8, v7 row_shr:1 row_mask:0xf bank_mask:0xf
	s_wait_alu 0xfffd
	s_delay_alu instid0(VALU_DEP_1) | instskip(SKIP_1) | instid1(VALU_DEP_2)
	v_cndmask_b32_e32 v8, 0, v8, vcc_lo
	v_cmp_lt_u32_e32 vcc_lo, 1, v2
	v_add_nc_u32_e32 v7, v8, v7
	s_delay_alu instid0(VALU_DEP_1) | instskip(SKIP_1) | instid1(VALU_DEP_1)
	v_mov_b32_dpp v8, v7 row_shr:2 row_mask:0xf bank_mask:0xf
	s_wait_alu 0xfffd
	v_cndmask_b32_e32 v8, 0, v8, vcc_lo
	v_cmp_lt_u32_e32 vcc_lo, 3, v2
	s_delay_alu instid0(VALU_DEP_2) | instskip(NEXT) | instid1(VALU_DEP_1)
	v_add_nc_u32_e32 v7, v7, v8
	v_mov_b32_dpp v8, v7 row_shr:4 row_mask:0xf bank_mask:0xf
	s_wait_alu 0xfffd
	s_delay_alu instid0(VALU_DEP_1) | instskip(NEXT) | instid1(VALU_DEP_1)
	v_cndmask_b32_e32 v8, 0, v8, vcc_lo
	v_add_nc_u32_e32 v7, v7, v8
	ds_store_b32 v100, v7
.LBB813_382:                            ;   in Loop: Header=BB813_12 Depth=1
	s_wait_alu 0xfffe
	s_or_b32 exec_lo, exec_lo, s11
	v_mov_b32_e32 v7, 0
	s_wait_loadcnt_dscnt 0x0
	s_barrier_signal -1
	s_barrier_wait -1
	global_inv scope:SCOPE_SE
	s_and_saveexec_b32 s11, s5
; %bb.383:                              ;   in Loop: Header=BB813_12 Depth=1
	ds_load_b32 v7, v103
; %bb.384:                              ;   in Loop: Header=BB813_12 Depth=1
	s_wait_alu 0xfffe
	s_or_b32 exec_lo, exec_lo, s11
	v_sub_co_u32 v8, s11, v125, 1
	s_wait_dscnt 0x0
	v_add_nc_u32_e32 v6, v7, v6
	s_wait_loadcnt 0x0
	s_barrier_signal -1
	v_cmp_gt_i32_e32 vcc_lo, 0, v8
	s_barrier_wait -1
	global_inv scope:SCOPE_SE
	s_wait_alu 0xfffd
	v_cndmask_b32_e32 v8, v8, v125, vcc_lo
	s_delay_alu instid0(VALU_DEP_1)
	v_lshlrev_b32_e32 v126, 2, v8
	ds_bpermute_b32 v6, v126, v6
	s_and_saveexec_b32 s12, s2
	s_cbranch_execz .LBB813_386
; %bb.385:                              ;   in Loop: Header=BB813_12 Depth=1
	s_wait_dscnt 0x0
	v_cndmask_b32_e64 v6, v6, v7, s11
	s_delay_alu instid0(VALU_DEP_1)
	v_add_nc_u32_e32 v6, s33, v6
	ds_store_b32 v78, v6
.LBB813_386:                            ;   in Loop: Header=BB813_12 Depth=1
	s_wait_alu 0xfffe
	s_or_b32 exec_lo, exec_lo, s12
	s_load_b64 s[12:13], s[42:43], 0x0
	v_lshlrev_b32_e32 v8, 3, v125
	v_or_b32_e32 v127, v125, v101
	s_mov_b32 s56, s53
                                        ; implicit-def: $vgpr10_vgpr11
                                        ; implicit-def: $vgpr12_vgpr13
                                        ; implicit-def: $vgpr14_vgpr15
                                        ; implicit-def: $vgpr16_vgpr17
                                        ; implicit-def: $vgpr18_vgpr19
                                        ; implicit-def: $vgpr20_vgpr21
                                        ; implicit-def: $vgpr22_vgpr23
                                        ; implicit-def: $vgpr24_vgpr25
                                        ; implicit-def: $vgpr26_vgpr27
                                        ; implicit-def: $vgpr28_vgpr29
                                        ; implicit-def: $vgpr30_vgpr31
                                        ; implicit-def: $vgpr32_vgpr33
                                        ; implicit-def: $vgpr34_vgpr35
                                        ; implicit-def: $vgpr36_vgpr37
                                        ; implicit-def: $vgpr148
                                        ; implicit-def: $vgpr149
                                        ; implicit-def: $vgpr150
                                        ; implicit-def: $vgpr151
                                        ; implicit-def: $vgpr152
                                        ; implicit-def: $vgpr153
                                        ; implicit-def: $vgpr154
                                        ; implicit-def: $vgpr155
                                        ; implicit-def: $vgpr156
                                        ; implicit-def: $vgpr157
                                        ; implicit-def: $vgpr158
                                        ; implicit-def: $vgpr159
                                        ; implicit-def: $vgpr160
                                        ; implicit-def: $vgpr161
                                        ; implicit-def: $vgpr162
                                        ; implicit-def: $vgpr163
	s_delay_alu instid0(VALU_DEP_2)
	v_add_co_u32 v128, vcc_lo, v113, v8
	s_wait_alu 0xfffd
	v_add_co_ci_u32_e64 v129, null, 0, v114, vcc_lo
	v_add_co_u32 v145, vcc_lo, v115, v8
	v_or_b32_e32 v130, 32, v127
	v_or_b32_e32 v131, 64, v127
	;; [unrolled: 1-line block ×8, first 2 shown]
	s_wait_kmcnt 0x0
	s_cmp_lt_u32 ttmp7, s13
	v_or_b32_e32 v138, 0x120, v127
	s_cselect_b32 s34, 14, 20
	s_cmp_lt_u32 ttmp9, s12
	s_wait_alu 0xfffe
	s_add_nc_u64 s[14:15], s[42:43], s[34:35]
	s_cselect_b32 s34, 12, 18
	s_load_u16 s15, s[14:15], 0x0
	s_add_nc_u64 s[12:13], s[42:43], s[34:35]
	v_or_b32_e32 v139, 0x140, v127
	s_load_u16 s16, s[12:13], 0x0
	v_cmp_eq_u32_e64 s12, 0, v2
	v_cmp_lt_u32_e64 s13, 1, v2
	v_cmp_lt_u32_e64 s14, 3, v2
	v_or_b32_e32 v140, 0x160, v127
	v_or_b32_e32 v141, 0x180, v127
	;; [unrolled: 1-line block ×5, first 2 shown]
	v_add_co_ci_u32_e64 v146, null, 0, v116, vcc_lo
	s_mov_b32 s34, s33
                                        ; implicit-def: $vgpr8_vgpr9
	s_wait_kmcnt 0x0
	v_mad_u32_u24 v2, v104, s15, v0
	s_wait_dscnt 0x0
	s_delay_alu instid0(VALU_DEP_1) | instskip(NEXT) | instid1(VALU_DEP_1)
	v_mad_co_u64_u32 v[6:7], null, v2, s16, v[1:2]
	v_lshrrev_b32_e32 v2, 3, v6
                                        ; implicit-def: $vgpr6_vgpr7
	s_delay_alu instid0(VALU_DEP_1)
	v_and_b32_e32 v147, 0x1ffffffc, v2
	s_branch .LBB813_388
.LBB813_387:                            ;   in Loop: Header=BB813_388 Depth=2
	s_wait_alu 0xfffe
	s_or_b32 exec_lo, exec_lo, s15
	s_addk_co_i32 s56, 0xf000
	s_cmp_lt_u32 s57, s51
	s_mov_b32 s34, s57
	s_cbranch_scc0 .LBB813_596
.LBB813_388:                            ;   Parent Loop BB813_12 Depth=1
                                        ; =>  This Inner Loop Header: Depth=2
	s_wait_alu 0xfffe
	s_add_co_i32 s57, s34, 0x1000
	s_wait_alu 0xfffe
	s_cmp_gt_u32 s57, s51
	s_cbranch_scc1 .LBB813_390
; %bb.389:                              ;   in Loop: Header=BB813_388 Depth=2
	s_lshl_b64 s[16:17], s[34:35], 3
	s_mov_b32 s15, -1
	s_wait_alu 0xfffe
	v_add_co_u32 v66, vcc_lo, v145, s16
	s_wait_alu 0xfffd
	v_add_co_ci_u32_e64 v67, null, s17, v146, vcc_lo
	s_clause 0xe
	global_load_b64 v[40:41], v[66:67], off
	global_load_b64 v[38:39], v[66:67], off offset:256
	global_load_b64 v[42:43], v[66:67], off offset:512
	;; [unrolled: 1-line block ×14, first 2 shown]
	s_movk_i32 s16, 0x1000
	s_cbranch_execz .LBB813_391
	s_branch .LBB813_422
.LBB813_390:                            ;   in Loop: Header=BB813_388 Depth=2
	s_mov_b32 s15, 0
                                        ; implicit-def: $vgpr40_vgpr41
                                        ; implicit-def: $vgpr38_vgpr39
                                        ; implicit-def: $vgpr42_vgpr43
                                        ; implicit-def: $vgpr44_vgpr45
                                        ; implicit-def: $vgpr46_vgpr47
                                        ; implicit-def: $vgpr50_vgpr51
                                        ; implicit-def: $vgpr48_vgpr49
                                        ; implicit-def: $vgpr52_vgpr53
                                        ; implicit-def: $vgpr54_vgpr55
                                        ; implicit-def: $vgpr56_vgpr57
                                        ; implicit-def: $vgpr60_vgpr61
                                        ; implicit-def: $vgpr58_vgpr59
                                        ; implicit-def: $vgpr62_vgpr63
                                        ; implicit-def: $vgpr64_vgpr65
                                        ; implicit-def: $vgpr66_vgpr67
	s_movk_i32 s16, 0x1000
.LBB813_391:                            ;   in Loop: Header=BB813_388 Depth=2
	s_wait_loadcnt 0xd
	v_dual_mov_b32 v38, v4 :: v_dual_mov_b32 v39, v5
	s_lshl_b64 s[16:17], s[34:35], 3
	s_mov_b32 s15, exec_lo
	s_wait_alu 0xfffe
	v_add_co_u32 v68, vcc_lo, v145, s16
	s_wait_alu 0xfffd
	v_add_co_ci_u32_e64 v69, null, s17, v146, vcc_lo
	v_dual_mov_b32 v41, v39 :: v_dual_mov_b32 v40, v38
	v_cmpx_gt_u32_e64 s56, v127
	s_cbranch_execz .LBB813_393
; %bb.392:                              ;   in Loop: Header=BB813_388 Depth=2
	global_load_b64 v[40:41], v[68:69], off
.LBB813_393:                            ;   in Loop: Header=BB813_388 Depth=2
	s_or_b32 exec_lo, exec_lo, s15
	s_delay_alu instid0(SALU_CYCLE_1)
	s_mov_b32 s15, exec_lo
	v_cmpx_gt_u32_e64 s56, v130
	s_cbranch_execz .LBB813_395
; %bb.394:                              ;   in Loop: Header=BB813_388 Depth=2
	global_load_b64 v[38:39], v[68:69], off offset:256
.LBB813_395:                            ;   in Loop: Header=BB813_388 Depth=2
	s_wait_alu 0xfffe
	s_or_b32 exec_lo, exec_lo, s15
	s_wait_loadcnt 0xc
	v_dual_mov_b32 v43, v5 :: v_dual_mov_b32 v42, v4
	s_mov_b32 s15, exec_lo
	v_cmpx_gt_u32_e64 s56, v131
	s_cbranch_execz .LBB813_397
; %bb.396:                              ;   in Loop: Header=BB813_388 Depth=2
	global_load_b64 v[42:43], v[68:69], off offset:512
.LBB813_397:                            ;   in Loop: Header=BB813_388 Depth=2
	s_wait_alu 0xfffe
	s_or_b32 exec_lo, exec_lo, s15
	s_wait_loadcnt 0xb
	v_dual_mov_b32 v45, v5 :: v_dual_mov_b32 v44, v4
	;; [unrolled: 10-line block ×13, first 2 shown]
	s_mov_b32 s15, exec_lo
	v_cmpx_gt_u32_e64 s56, v143
	s_cbranch_execz .LBB813_421
; %bb.420:                              ;   in Loop: Header=BB813_388 Depth=2
	global_load_b64 v[66:67], v[68:69], off offset:3584
.LBB813_421:                            ;   in Loop: Header=BB813_388 Depth=2
	s_wait_alu 0xfffe
	s_or_b32 exec_lo, exec_lo, s15
	v_cmp_gt_u32_e64 s15, s56, v144
	s_sub_co_i32 s16, s51, s34
.LBB813_422:                            ;   in Loop: Header=BB813_388 Depth=2
	v_mov_b32_e32 v68, -1
	v_dual_mov_b32 v69, -1 :: v_dual_mov_b32 v164, s56
	s_and_saveexec_b32 s17, s15
	s_cbranch_execz .LBB813_424
; %bb.423:                              ;   in Loop: Header=BB813_388 Depth=2
	s_lshl_b64 s[18:19], s[34:35], 3
	s_wait_alu 0xfffe
	v_mov_b32_e32 v164, s16
	v_add_co_u32 v68, vcc_lo, v145, s18
	s_wait_alu 0xfffd
	v_add_co_ci_u32_e64 v69, null, s19, v146, vcc_lo
	global_load_b64 v[68:69], v[68:69], off offset:3840
	s_wait_loadcnt 0x0
	v_xor_b32_e32 v69, 0x80000000, v69
.LBB813_424:                            ;   in Loop: Header=BB813_388 Depth=2
	s_wait_alu 0xfffe
	s_or_b32 exec_lo, exec_lo, s17
	s_wait_loadcnt 0xe
	v_xor_b32_e32 v41, 0x80000000, v41
	v_add_nc_u32_e32 v166, 0x420, v102
	v_add_nc_u32_e32 v167, 0x428, v102
	;; [unrolled: 1-line block ×3, first 2 shown]
	s_delay_alu instid0(VALU_DEP_4) | instskip(NEXT) | instid1(VALU_DEP_1)
	v_lshrrev_b64 v[70:71], s48, v[40:41]
	v_and_b32_e32 v71, s55, v70
	s_delay_alu instid0(VALU_DEP_1)
	v_and_b32_e32 v2, 1, v71
	v_lshlrev_b32_e32 v70, 30, v71
	v_lshlrev_b32_e32 v72, 29, v71
	;; [unrolled: 1-line block ×4, first 2 shown]
	v_add_co_u32 v2, s15, v2, -1
	s_wait_alu 0xf1ff
	v_cndmask_b32_e64 v74, 0, 1, s15
	v_not_b32_e32 v165, v70
	v_cmp_gt_i32_e64 s15, 0, v70
	v_not_b32_e32 v70, v72
	v_lshlrev_b32_e32 v76, 26, v71
	v_cmp_ne_u32_e32 vcc_lo, 0, v74
	v_ashrrev_i32_e32 v165, 31, v165
	v_lshlrev_b32_e32 v77, 25, v71
	v_ashrrev_i32_e32 v70, 31, v70
	v_lshlrev_b32_e32 v74, 24, v71
	s_wait_alu 0xfffd
	v_xor_b32_e32 v2, vcc_lo, v2
	v_cmp_gt_i32_e32 vcc_lo, 0, v72
	v_not_b32_e32 v72, v73
	s_wait_alu 0xf1ff
	v_xor_b32_e32 v165, s15, v165
	v_cmp_gt_i32_e64 s15, 0, v73
	v_and_b32_e32 v2, exec_lo, v2
	v_not_b32_e32 v73, v75
	v_ashrrev_i32_e32 v72, 31, v72
	s_wait_alu 0xfffd
	v_xor_b32_e32 v70, vcc_lo, v70
	v_cmp_gt_i32_e32 vcc_lo, 0, v75
	v_and_b32_e32 v2, v2, v165
	v_not_b32_e32 v75, v76
	v_ashrrev_i32_e32 v73, 31, v73
	s_wait_alu 0xf1ff
	v_xor_b32_e32 v72, s15, v72
	v_cmp_gt_i32_e64 s15, 0, v76
	v_and_b32_e32 v2, v2, v70
	v_not_b32_e32 v70, v77
	v_ashrrev_i32_e32 v75, 31, v75
	s_wait_alu 0xfffd
	v_xor_b32_e32 v73, vcc_lo, v73
	v_cmp_gt_i32_e32 vcc_lo, 0, v77
	v_and_b32_e32 v2, v2, v72
	v_not_b32_e32 v72, v74
	v_ashrrev_i32_e32 v70, 31, v70
	s_wait_alu 0xf1ff
	v_xor_b32_e32 v75, s15, v75
	v_cmp_gt_i32_e64 s15, 0, v74
	v_and_b32_e32 v2, v2, v73
	v_ashrrev_i32_e32 v72, 31, v72
	s_wait_alu 0xfffd
	v_xor_b32_e32 v70, vcc_lo, v70
	v_mul_u32_u24_e32 v71, 36, v71
	v_add_nc_u32_e32 v165, 0x438, v102
	v_and_b32_e32 v2, v2, v75
	s_wait_alu 0xf1ff
	v_xor_b32_e32 v72, s15, v72
	v_add_nc_u32_e32 v169, v147, v71
	ds_store_2addr_b32 v165, v3, v3 offset1:1
	v_and_b32_e32 v2, v2, v70
	ds_store_2addr_b32 v166, v3, v3 offset1:1
	ds_store_2addr_b32 v167, v3, v3 offset1:1
	;; [unrolled: 1-line block ×3, first 2 shown]
	ds_store_b32 v102, v3 offset:1088
	s_wait_loadcnt_dscnt 0x0
	s_barrier_signal -1
	s_barrier_wait -1
	v_and_b32_e32 v70, v2, v72
	global_inv scope:SCOPE_SE
	; wave barrier
	v_mbcnt_lo_u32_b32 v2, v70, 0
	v_cmp_ne_u32_e64 s15, 0, v70
	s_delay_alu instid0(VALU_DEP_2)
	v_cmp_eq_u32_e32 vcc_lo, 0, v2
	s_and_b32 s16, s15, vcc_lo
	s_wait_alu 0xfffe
	s_and_saveexec_b32 s15, s16
; %bb.425:                              ;   in Loop: Header=BB813_388 Depth=2
	v_bcnt_u32_b32 v70, v70, 0
	ds_store_b32 v169, v70 offset:1056
; %bb.426:                              ;   in Loop: Header=BB813_388 Depth=2
	s_wait_alu 0xfffe
	s_or_b32 exec_lo, exec_lo, s15
	v_xor_b32_e32 v39, 0x80000000, v39
	; wave barrier
	s_delay_alu instid0(VALU_DEP_1) | instskip(NEXT) | instid1(VALU_DEP_1)
	v_lshrrev_b64 v[70:71], s48, v[38:39]
	v_and_b32_e32 v71, s55, v70
	s_delay_alu instid0(VALU_DEP_1)
	v_and_b32_e32 v70, 1, v71
	v_lshlrev_b32_e32 v72, 30, v71
	v_lshlrev_b32_e32 v73, 29, v71
	;; [unrolled: 1-line block ×4, first 2 shown]
	v_add_co_u32 v70, s15, v70, -1
	s_wait_alu 0xf1ff
	v_cndmask_b32_e64 v75, 0, 1, s15
	v_not_b32_e32 v171, v72
	v_cmp_gt_i32_e64 s15, 0, v72
	v_not_b32_e32 v72, v73
	v_lshlrev_b32_e32 v77, 26, v71
	v_cmp_ne_u32_e32 vcc_lo, 0, v75
	v_ashrrev_i32_e32 v171, 31, v171
	v_lshlrev_b32_e32 v170, 25, v71
	v_ashrrev_i32_e32 v72, 31, v72
	v_lshlrev_b32_e32 v75, 24, v71
	s_wait_alu 0xfffd
	v_xor_b32_e32 v70, vcc_lo, v70
	v_cmp_gt_i32_e32 vcc_lo, 0, v73
	v_not_b32_e32 v73, v74
	s_wait_alu 0xf1ff
	v_xor_b32_e32 v171, s15, v171
	v_cmp_gt_i32_e64 s15, 0, v74
	v_and_b32_e32 v70, exec_lo, v70
	v_not_b32_e32 v74, v76
	v_ashrrev_i32_e32 v73, 31, v73
	s_wait_alu 0xfffd
	v_xor_b32_e32 v72, vcc_lo, v72
	v_cmp_gt_i32_e32 vcc_lo, 0, v76
	v_and_b32_e32 v70, v70, v171
	v_not_b32_e32 v76, v77
	v_ashrrev_i32_e32 v74, 31, v74
	s_wait_alu 0xf1ff
	v_xor_b32_e32 v73, s15, v73
	v_cmp_gt_i32_e64 s15, 0, v77
	v_and_b32_e32 v70, v70, v72
	v_not_b32_e32 v72, v170
	v_ashrrev_i32_e32 v76, 31, v76
	s_wait_alu 0xfffd
	v_xor_b32_e32 v74, vcc_lo, v74
	v_cmp_gt_i32_e32 vcc_lo, 0, v170
	v_and_b32_e32 v70, v70, v73
	v_not_b32_e32 v73, v75
	v_ashrrev_i32_e32 v72, 31, v72
	s_wait_alu 0xf1ff
	v_xor_b32_e32 v76, s15, v76
	v_cmp_gt_i32_e64 s15, 0, v75
	v_and_b32_e32 v70, v70, v74
	v_ashrrev_i32_e32 v73, 31, v73
	s_wait_alu 0xfffd
	v_xor_b32_e32 v72, vcc_lo, v72
	v_mad_u32_u24 v74, v71, 36, v147
	v_mul_u32_u24_e32 v71, 36, v71
	v_and_b32_e32 v70, v70, v76
	s_wait_alu 0xf1ff
	v_xor_b32_e32 v73, s15, v73
	ds_load_b32 v170, v74 offset:1056
	v_add_nc_u32_e32 v172, v147, v71
	v_and_b32_e32 v70, v70, v72
	; wave barrier
	s_delay_alu instid0(VALU_DEP_1) | instskip(NEXT) | instid1(VALU_DEP_1)
	v_and_b32_e32 v70, v70, v73
	v_mbcnt_lo_u32_b32 v171, v70, 0
	v_cmp_ne_u32_e64 s15, 0, v70
	s_delay_alu instid0(VALU_DEP_2)
	v_cmp_eq_u32_e32 vcc_lo, 0, v171
	s_and_b32 s16, s15, vcc_lo
	s_wait_alu 0xfffe
	s_and_saveexec_b32 s15, s16
	s_cbranch_execz .LBB813_428
; %bb.427:                              ;   in Loop: Header=BB813_388 Depth=2
	s_wait_dscnt 0x0
	v_bcnt_u32_b32 v70, v70, v170
	ds_store_b32 v172, v70 offset:1056
.LBB813_428:                            ;   in Loop: Header=BB813_388 Depth=2
	s_wait_alu 0xfffe
	s_or_b32 exec_lo, exec_lo, s15
	v_xor_b32_e32 v43, 0x80000000, v43
	; wave barrier
	s_delay_alu instid0(VALU_DEP_1) | instskip(NEXT) | instid1(VALU_DEP_1)
	v_lshrrev_b64 v[70:71], s48, v[42:43]
	v_and_b32_e32 v71, s55, v70
	s_delay_alu instid0(VALU_DEP_1)
	v_and_b32_e32 v70, 1, v71
	v_lshlrev_b32_e32 v72, 30, v71
	v_lshlrev_b32_e32 v73, 29, v71
	;; [unrolled: 1-line block ×4, first 2 shown]
	v_add_co_u32 v70, s15, v70, -1
	s_wait_alu 0xf1ff
	v_cndmask_b32_e64 v75, 0, 1, s15
	v_not_b32_e32 v174, v72
	v_cmp_gt_i32_e64 s15, 0, v72
	v_not_b32_e32 v72, v73
	v_lshlrev_b32_e32 v77, 26, v71
	v_cmp_ne_u32_e32 vcc_lo, 0, v75
	v_ashrrev_i32_e32 v174, 31, v174
	v_lshlrev_b32_e32 v173, 25, v71
	v_ashrrev_i32_e32 v72, 31, v72
	v_lshlrev_b32_e32 v75, 24, v71
	s_wait_alu 0xfffd
	v_xor_b32_e32 v70, vcc_lo, v70
	v_cmp_gt_i32_e32 vcc_lo, 0, v73
	v_not_b32_e32 v73, v74
	s_wait_alu 0xf1ff
	v_xor_b32_e32 v174, s15, v174
	v_cmp_gt_i32_e64 s15, 0, v74
	v_and_b32_e32 v70, exec_lo, v70
	v_not_b32_e32 v74, v76
	v_ashrrev_i32_e32 v73, 31, v73
	s_wait_alu 0xfffd
	v_xor_b32_e32 v72, vcc_lo, v72
	v_cmp_gt_i32_e32 vcc_lo, 0, v76
	v_and_b32_e32 v70, v70, v174
	v_not_b32_e32 v76, v77
	v_ashrrev_i32_e32 v74, 31, v74
	s_wait_alu 0xf1ff
	v_xor_b32_e32 v73, s15, v73
	v_cmp_gt_i32_e64 s15, 0, v77
	v_and_b32_e32 v70, v70, v72
	v_not_b32_e32 v72, v173
	v_ashrrev_i32_e32 v76, 31, v76
	s_wait_alu 0xfffd
	v_xor_b32_e32 v74, vcc_lo, v74
	v_cmp_gt_i32_e32 vcc_lo, 0, v173
	v_and_b32_e32 v70, v70, v73
	v_not_b32_e32 v73, v75
	v_ashrrev_i32_e32 v72, 31, v72
	s_wait_alu 0xf1ff
	v_xor_b32_e32 v76, s15, v76
	v_cmp_gt_i32_e64 s15, 0, v75
	v_and_b32_e32 v70, v70, v74
	v_ashrrev_i32_e32 v73, 31, v73
	s_wait_alu 0xfffd
	v_xor_b32_e32 v72, vcc_lo, v72
	v_mad_u32_u24 v74, v71, 36, v147
	v_mul_u32_u24_e32 v71, 36, v71
	v_and_b32_e32 v70, v70, v76
	s_wait_alu 0xf1ff
	v_xor_b32_e32 v73, s15, v73
	ds_load_b32 v173, v74 offset:1056
	v_add_nc_u32_e32 v175, v147, v71
	v_and_b32_e32 v70, v70, v72
	; wave barrier
	s_delay_alu instid0(VALU_DEP_1) | instskip(NEXT) | instid1(VALU_DEP_1)
	v_and_b32_e32 v70, v70, v73
	v_mbcnt_lo_u32_b32 v174, v70, 0
	v_cmp_ne_u32_e64 s15, 0, v70
	s_delay_alu instid0(VALU_DEP_2)
	v_cmp_eq_u32_e32 vcc_lo, 0, v174
	s_and_b32 s16, s15, vcc_lo
	s_wait_alu 0xfffe
	s_and_saveexec_b32 s15, s16
	s_cbranch_execz .LBB813_430
; %bb.429:                              ;   in Loop: Header=BB813_388 Depth=2
	s_wait_dscnt 0x0
	v_bcnt_u32_b32 v70, v70, v173
	ds_store_b32 v175, v70 offset:1056
.LBB813_430:                            ;   in Loop: Header=BB813_388 Depth=2
	s_wait_alu 0xfffe
	s_or_b32 exec_lo, exec_lo, s15
	v_xor_b32_e32 v45, 0x80000000, v45
	; wave barrier
	s_delay_alu instid0(VALU_DEP_1) | instskip(NEXT) | instid1(VALU_DEP_1)
	v_lshrrev_b64 v[70:71], s48, v[44:45]
	v_and_b32_e32 v71, s55, v70
	s_delay_alu instid0(VALU_DEP_1)
	v_and_b32_e32 v70, 1, v71
	v_lshlrev_b32_e32 v72, 30, v71
	v_lshlrev_b32_e32 v73, 29, v71
	v_lshlrev_b32_e32 v74, 28, v71
	v_lshlrev_b32_e32 v76, 27, v71
	v_add_co_u32 v70, s15, v70, -1
	s_wait_alu 0xf1ff
	v_cndmask_b32_e64 v75, 0, 1, s15
	v_not_b32_e32 v177, v72
	v_cmp_gt_i32_e64 s15, 0, v72
	v_not_b32_e32 v72, v73
	v_lshlrev_b32_e32 v77, 26, v71
	v_cmp_ne_u32_e32 vcc_lo, 0, v75
	v_ashrrev_i32_e32 v177, 31, v177
	v_lshlrev_b32_e32 v176, 25, v71
	v_ashrrev_i32_e32 v72, 31, v72
	v_lshlrev_b32_e32 v75, 24, v71
	s_wait_alu 0xfffd
	v_xor_b32_e32 v70, vcc_lo, v70
	v_cmp_gt_i32_e32 vcc_lo, 0, v73
	v_not_b32_e32 v73, v74
	s_wait_alu 0xf1ff
	v_xor_b32_e32 v177, s15, v177
	v_cmp_gt_i32_e64 s15, 0, v74
	v_and_b32_e32 v70, exec_lo, v70
	v_not_b32_e32 v74, v76
	v_ashrrev_i32_e32 v73, 31, v73
	s_wait_alu 0xfffd
	v_xor_b32_e32 v72, vcc_lo, v72
	v_cmp_gt_i32_e32 vcc_lo, 0, v76
	v_and_b32_e32 v70, v70, v177
	v_not_b32_e32 v76, v77
	v_ashrrev_i32_e32 v74, 31, v74
	s_wait_alu 0xf1ff
	v_xor_b32_e32 v73, s15, v73
	v_cmp_gt_i32_e64 s15, 0, v77
	v_and_b32_e32 v70, v70, v72
	v_not_b32_e32 v72, v176
	v_ashrrev_i32_e32 v76, 31, v76
	s_wait_alu 0xfffd
	v_xor_b32_e32 v74, vcc_lo, v74
	v_cmp_gt_i32_e32 vcc_lo, 0, v176
	v_and_b32_e32 v70, v70, v73
	v_not_b32_e32 v73, v75
	v_ashrrev_i32_e32 v72, 31, v72
	s_wait_alu 0xf1ff
	v_xor_b32_e32 v76, s15, v76
	v_cmp_gt_i32_e64 s15, 0, v75
	v_and_b32_e32 v70, v70, v74
	v_ashrrev_i32_e32 v73, 31, v73
	s_wait_alu 0xfffd
	v_xor_b32_e32 v72, vcc_lo, v72
	v_mad_u32_u24 v74, v71, 36, v147
	v_mul_u32_u24_e32 v71, 36, v71
	v_and_b32_e32 v70, v70, v76
	s_wait_alu 0xf1ff
	v_xor_b32_e32 v73, s15, v73
	ds_load_b32 v176, v74 offset:1056
	v_add_nc_u32_e32 v178, v147, v71
	v_and_b32_e32 v70, v70, v72
	; wave barrier
	s_delay_alu instid0(VALU_DEP_1) | instskip(NEXT) | instid1(VALU_DEP_1)
	v_and_b32_e32 v70, v70, v73
	v_mbcnt_lo_u32_b32 v177, v70, 0
	v_cmp_ne_u32_e64 s15, 0, v70
	s_delay_alu instid0(VALU_DEP_2)
	v_cmp_eq_u32_e32 vcc_lo, 0, v177
	s_and_b32 s16, s15, vcc_lo
	s_wait_alu 0xfffe
	s_and_saveexec_b32 s15, s16
	s_cbranch_execz .LBB813_432
; %bb.431:                              ;   in Loop: Header=BB813_388 Depth=2
	s_wait_dscnt 0x0
	v_bcnt_u32_b32 v70, v70, v176
	ds_store_b32 v178, v70 offset:1056
.LBB813_432:                            ;   in Loop: Header=BB813_388 Depth=2
	s_wait_alu 0xfffe
	s_or_b32 exec_lo, exec_lo, s15
	v_xor_b32_e32 v47, 0x80000000, v47
	; wave barrier
	s_delay_alu instid0(VALU_DEP_1) | instskip(NEXT) | instid1(VALU_DEP_1)
	v_lshrrev_b64 v[70:71], s48, v[46:47]
	v_and_b32_e32 v71, s55, v70
	s_delay_alu instid0(VALU_DEP_1)
	v_and_b32_e32 v70, 1, v71
	v_lshlrev_b32_e32 v72, 30, v71
	v_lshlrev_b32_e32 v73, 29, v71
	;; [unrolled: 1-line block ×4, first 2 shown]
	v_add_co_u32 v70, s15, v70, -1
	s_wait_alu 0xf1ff
	v_cndmask_b32_e64 v75, 0, 1, s15
	v_not_b32_e32 v180, v72
	v_cmp_gt_i32_e64 s15, 0, v72
	v_not_b32_e32 v72, v73
	v_lshlrev_b32_e32 v77, 26, v71
	v_cmp_ne_u32_e32 vcc_lo, 0, v75
	v_ashrrev_i32_e32 v180, 31, v180
	v_lshlrev_b32_e32 v179, 25, v71
	v_ashrrev_i32_e32 v72, 31, v72
	v_lshlrev_b32_e32 v75, 24, v71
	s_wait_alu 0xfffd
	v_xor_b32_e32 v70, vcc_lo, v70
	v_cmp_gt_i32_e32 vcc_lo, 0, v73
	v_not_b32_e32 v73, v74
	s_wait_alu 0xf1ff
	v_xor_b32_e32 v180, s15, v180
	v_cmp_gt_i32_e64 s15, 0, v74
	v_and_b32_e32 v70, exec_lo, v70
	v_not_b32_e32 v74, v76
	v_ashrrev_i32_e32 v73, 31, v73
	s_wait_alu 0xfffd
	v_xor_b32_e32 v72, vcc_lo, v72
	v_cmp_gt_i32_e32 vcc_lo, 0, v76
	v_and_b32_e32 v70, v70, v180
	v_not_b32_e32 v76, v77
	v_ashrrev_i32_e32 v74, 31, v74
	s_wait_alu 0xf1ff
	v_xor_b32_e32 v73, s15, v73
	v_cmp_gt_i32_e64 s15, 0, v77
	v_and_b32_e32 v70, v70, v72
	v_not_b32_e32 v72, v179
	v_ashrrev_i32_e32 v76, 31, v76
	s_wait_alu 0xfffd
	v_xor_b32_e32 v74, vcc_lo, v74
	v_cmp_gt_i32_e32 vcc_lo, 0, v179
	v_and_b32_e32 v70, v70, v73
	v_not_b32_e32 v73, v75
	v_ashrrev_i32_e32 v72, 31, v72
	s_wait_alu 0xf1ff
	v_xor_b32_e32 v76, s15, v76
	v_cmp_gt_i32_e64 s15, 0, v75
	v_and_b32_e32 v70, v70, v74
	v_ashrrev_i32_e32 v73, 31, v73
	s_wait_alu 0xfffd
	v_xor_b32_e32 v72, vcc_lo, v72
	v_mad_u32_u24 v74, v71, 36, v147
	v_mul_u32_u24_e32 v71, 36, v71
	v_and_b32_e32 v70, v70, v76
	s_wait_alu 0xf1ff
	v_xor_b32_e32 v73, s15, v73
	ds_load_b32 v179, v74 offset:1056
	v_add_nc_u32_e32 v181, v147, v71
	v_and_b32_e32 v70, v70, v72
	; wave barrier
	s_delay_alu instid0(VALU_DEP_1) | instskip(NEXT) | instid1(VALU_DEP_1)
	v_and_b32_e32 v70, v70, v73
	v_mbcnt_lo_u32_b32 v180, v70, 0
	v_cmp_ne_u32_e64 s15, 0, v70
	s_delay_alu instid0(VALU_DEP_2)
	v_cmp_eq_u32_e32 vcc_lo, 0, v180
	s_and_b32 s16, s15, vcc_lo
	s_wait_alu 0xfffe
	s_and_saveexec_b32 s15, s16
	s_cbranch_execz .LBB813_434
; %bb.433:                              ;   in Loop: Header=BB813_388 Depth=2
	s_wait_dscnt 0x0
	v_bcnt_u32_b32 v70, v70, v179
	ds_store_b32 v181, v70 offset:1056
.LBB813_434:                            ;   in Loop: Header=BB813_388 Depth=2
	s_wait_alu 0xfffe
	s_or_b32 exec_lo, exec_lo, s15
	v_xor_b32_e32 v51, 0x80000000, v51
	; wave barrier
	s_delay_alu instid0(VALU_DEP_1) | instskip(NEXT) | instid1(VALU_DEP_1)
	v_lshrrev_b64 v[70:71], s48, v[50:51]
	v_and_b32_e32 v71, s55, v70
	s_delay_alu instid0(VALU_DEP_1)
	v_and_b32_e32 v70, 1, v71
	v_lshlrev_b32_e32 v72, 30, v71
	v_lshlrev_b32_e32 v73, 29, v71
	v_lshlrev_b32_e32 v74, 28, v71
	v_lshlrev_b32_e32 v76, 27, v71
	v_add_co_u32 v70, s15, v70, -1
	s_wait_alu 0xf1ff
	v_cndmask_b32_e64 v75, 0, 1, s15
	v_not_b32_e32 v183, v72
	v_cmp_gt_i32_e64 s15, 0, v72
	v_not_b32_e32 v72, v73
	v_lshlrev_b32_e32 v77, 26, v71
	v_cmp_ne_u32_e32 vcc_lo, 0, v75
	v_ashrrev_i32_e32 v183, 31, v183
	v_lshlrev_b32_e32 v182, 25, v71
	v_ashrrev_i32_e32 v72, 31, v72
	v_lshlrev_b32_e32 v75, 24, v71
	s_wait_alu 0xfffd
	v_xor_b32_e32 v70, vcc_lo, v70
	v_cmp_gt_i32_e32 vcc_lo, 0, v73
	v_not_b32_e32 v73, v74
	s_wait_alu 0xf1ff
	v_xor_b32_e32 v183, s15, v183
	v_cmp_gt_i32_e64 s15, 0, v74
	v_and_b32_e32 v70, exec_lo, v70
	v_not_b32_e32 v74, v76
	v_ashrrev_i32_e32 v73, 31, v73
	s_wait_alu 0xfffd
	v_xor_b32_e32 v72, vcc_lo, v72
	v_cmp_gt_i32_e32 vcc_lo, 0, v76
	v_and_b32_e32 v70, v70, v183
	v_not_b32_e32 v76, v77
	v_ashrrev_i32_e32 v74, 31, v74
	s_wait_alu 0xf1ff
	v_xor_b32_e32 v73, s15, v73
	v_cmp_gt_i32_e64 s15, 0, v77
	v_and_b32_e32 v70, v70, v72
	v_not_b32_e32 v72, v182
	v_ashrrev_i32_e32 v76, 31, v76
	s_wait_alu 0xfffd
	v_xor_b32_e32 v74, vcc_lo, v74
	v_cmp_gt_i32_e32 vcc_lo, 0, v182
	v_and_b32_e32 v70, v70, v73
	v_not_b32_e32 v73, v75
	v_ashrrev_i32_e32 v72, 31, v72
	s_wait_alu 0xf1ff
	v_xor_b32_e32 v76, s15, v76
	v_cmp_gt_i32_e64 s15, 0, v75
	v_and_b32_e32 v70, v70, v74
	v_ashrrev_i32_e32 v73, 31, v73
	s_wait_alu 0xfffd
	v_xor_b32_e32 v72, vcc_lo, v72
	v_mad_u32_u24 v74, v71, 36, v147
	v_mul_u32_u24_e32 v71, 36, v71
	v_and_b32_e32 v70, v70, v76
	s_wait_alu 0xf1ff
	v_xor_b32_e32 v73, s15, v73
	ds_load_b32 v182, v74 offset:1056
	v_add_nc_u32_e32 v184, v147, v71
	v_and_b32_e32 v70, v70, v72
	; wave barrier
	s_delay_alu instid0(VALU_DEP_1) | instskip(NEXT) | instid1(VALU_DEP_1)
	v_and_b32_e32 v70, v70, v73
	v_mbcnt_lo_u32_b32 v183, v70, 0
	v_cmp_ne_u32_e64 s15, 0, v70
	s_delay_alu instid0(VALU_DEP_2)
	v_cmp_eq_u32_e32 vcc_lo, 0, v183
	s_and_b32 s16, s15, vcc_lo
	s_wait_alu 0xfffe
	s_and_saveexec_b32 s15, s16
	s_cbranch_execz .LBB813_436
; %bb.435:                              ;   in Loop: Header=BB813_388 Depth=2
	s_wait_dscnt 0x0
	v_bcnt_u32_b32 v70, v70, v182
	ds_store_b32 v184, v70 offset:1056
.LBB813_436:                            ;   in Loop: Header=BB813_388 Depth=2
	s_wait_alu 0xfffe
	s_or_b32 exec_lo, exec_lo, s15
	v_xor_b32_e32 v49, 0x80000000, v49
	; wave barrier
	s_delay_alu instid0(VALU_DEP_1) | instskip(NEXT) | instid1(VALU_DEP_1)
	v_lshrrev_b64 v[70:71], s48, v[48:49]
	v_and_b32_e32 v71, s55, v70
	s_delay_alu instid0(VALU_DEP_1)
	v_and_b32_e32 v70, 1, v71
	v_lshlrev_b32_e32 v72, 30, v71
	v_lshlrev_b32_e32 v73, 29, v71
	;; [unrolled: 1-line block ×4, first 2 shown]
	v_add_co_u32 v70, s15, v70, -1
	s_wait_alu 0xf1ff
	v_cndmask_b32_e64 v75, 0, 1, s15
	v_not_b32_e32 v186, v72
	v_cmp_gt_i32_e64 s15, 0, v72
	v_not_b32_e32 v72, v73
	v_lshlrev_b32_e32 v77, 26, v71
	v_cmp_ne_u32_e32 vcc_lo, 0, v75
	v_ashrrev_i32_e32 v186, 31, v186
	v_lshlrev_b32_e32 v185, 25, v71
	v_ashrrev_i32_e32 v72, 31, v72
	v_lshlrev_b32_e32 v75, 24, v71
	s_wait_alu 0xfffd
	v_xor_b32_e32 v70, vcc_lo, v70
	v_cmp_gt_i32_e32 vcc_lo, 0, v73
	v_not_b32_e32 v73, v74
	s_wait_alu 0xf1ff
	v_xor_b32_e32 v186, s15, v186
	v_cmp_gt_i32_e64 s15, 0, v74
	v_and_b32_e32 v70, exec_lo, v70
	v_not_b32_e32 v74, v76
	v_ashrrev_i32_e32 v73, 31, v73
	s_wait_alu 0xfffd
	v_xor_b32_e32 v72, vcc_lo, v72
	v_cmp_gt_i32_e32 vcc_lo, 0, v76
	v_and_b32_e32 v70, v70, v186
	v_not_b32_e32 v76, v77
	v_ashrrev_i32_e32 v74, 31, v74
	s_wait_alu 0xf1ff
	v_xor_b32_e32 v73, s15, v73
	v_cmp_gt_i32_e64 s15, 0, v77
	v_and_b32_e32 v70, v70, v72
	v_not_b32_e32 v72, v185
	v_ashrrev_i32_e32 v76, 31, v76
	s_wait_alu 0xfffd
	v_xor_b32_e32 v74, vcc_lo, v74
	v_cmp_gt_i32_e32 vcc_lo, 0, v185
	v_and_b32_e32 v70, v70, v73
	v_not_b32_e32 v73, v75
	v_ashrrev_i32_e32 v72, 31, v72
	s_wait_alu 0xf1ff
	v_xor_b32_e32 v76, s15, v76
	v_cmp_gt_i32_e64 s15, 0, v75
	v_and_b32_e32 v70, v70, v74
	v_ashrrev_i32_e32 v73, 31, v73
	s_wait_alu 0xfffd
	v_xor_b32_e32 v72, vcc_lo, v72
	v_mad_u32_u24 v74, v71, 36, v147
	v_mul_u32_u24_e32 v71, 36, v71
	v_and_b32_e32 v70, v70, v76
	s_wait_alu 0xf1ff
	v_xor_b32_e32 v73, s15, v73
	ds_load_b32 v185, v74 offset:1056
	v_add_nc_u32_e32 v187, v147, v71
	v_and_b32_e32 v70, v70, v72
	; wave barrier
	s_delay_alu instid0(VALU_DEP_1) | instskip(NEXT) | instid1(VALU_DEP_1)
	v_and_b32_e32 v70, v70, v73
	v_mbcnt_lo_u32_b32 v186, v70, 0
	v_cmp_ne_u32_e64 s15, 0, v70
	s_delay_alu instid0(VALU_DEP_2)
	v_cmp_eq_u32_e32 vcc_lo, 0, v186
	s_and_b32 s16, s15, vcc_lo
	s_wait_alu 0xfffe
	s_and_saveexec_b32 s15, s16
	s_cbranch_execz .LBB813_438
; %bb.437:                              ;   in Loop: Header=BB813_388 Depth=2
	s_wait_dscnt 0x0
	v_bcnt_u32_b32 v70, v70, v185
	ds_store_b32 v187, v70 offset:1056
.LBB813_438:                            ;   in Loop: Header=BB813_388 Depth=2
	s_wait_alu 0xfffe
	s_or_b32 exec_lo, exec_lo, s15
	v_xor_b32_e32 v53, 0x80000000, v53
	; wave barrier
	s_delay_alu instid0(VALU_DEP_1) | instskip(NEXT) | instid1(VALU_DEP_1)
	v_lshrrev_b64 v[70:71], s48, v[52:53]
	v_and_b32_e32 v71, s55, v70
	s_delay_alu instid0(VALU_DEP_1)
	v_and_b32_e32 v70, 1, v71
	v_lshlrev_b32_e32 v72, 30, v71
	v_lshlrev_b32_e32 v73, 29, v71
	;; [unrolled: 1-line block ×4, first 2 shown]
	v_add_co_u32 v70, s15, v70, -1
	s_wait_alu 0xf1ff
	v_cndmask_b32_e64 v75, 0, 1, s15
	v_not_b32_e32 v189, v72
	v_cmp_gt_i32_e64 s15, 0, v72
	v_not_b32_e32 v72, v73
	v_lshlrev_b32_e32 v77, 26, v71
	v_cmp_ne_u32_e32 vcc_lo, 0, v75
	v_ashrrev_i32_e32 v189, 31, v189
	v_lshlrev_b32_e32 v188, 25, v71
	v_ashrrev_i32_e32 v72, 31, v72
	v_lshlrev_b32_e32 v75, 24, v71
	s_wait_alu 0xfffd
	v_xor_b32_e32 v70, vcc_lo, v70
	v_cmp_gt_i32_e32 vcc_lo, 0, v73
	v_not_b32_e32 v73, v74
	s_wait_alu 0xf1ff
	v_xor_b32_e32 v189, s15, v189
	v_cmp_gt_i32_e64 s15, 0, v74
	v_and_b32_e32 v70, exec_lo, v70
	v_not_b32_e32 v74, v76
	v_ashrrev_i32_e32 v73, 31, v73
	s_wait_alu 0xfffd
	v_xor_b32_e32 v72, vcc_lo, v72
	v_cmp_gt_i32_e32 vcc_lo, 0, v76
	v_and_b32_e32 v70, v70, v189
	v_not_b32_e32 v76, v77
	v_ashrrev_i32_e32 v74, 31, v74
	s_wait_alu 0xf1ff
	v_xor_b32_e32 v73, s15, v73
	v_cmp_gt_i32_e64 s15, 0, v77
	v_and_b32_e32 v70, v70, v72
	v_not_b32_e32 v72, v188
	v_ashrrev_i32_e32 v76, 31, v76
	s_wait_alu 0xfffd
	v_xor_b32_e32 v74, vcc_lo, v74
	v_cmp_gt_i32_e32 vcc_lo, 0, v188
	v_and_b32_e32 v70, v70, v73
	v_not_b32_e32 v73, v75
	v_ashrrev_i32_e32 v72, 31, v72
	s_wait_alu 0xf1ff
	v_xor_b32_e32 v76, s15, v76
	v_cmp_gt_i32_e64 s15, 0, v75
	v_and_b32_e32 v70, v70, v74
	v_ashrrev_i32_e32 v73, 31, v73
	s_wait_alu 0xfffd
	v_xor_b32_e32 v72, vcc_lo, v72
	v_mad_u32_u24 v74, v71, 36, v147
	v_mul_u32_u24_e32 v71, 36, v71
	v_and_b32_e32 v70, v70, v76
	s_wait_alu 0xf1ff
	v_xor_b32_e32 v73, s15, v73
	ds_load_b32 v188, v74 offset:1056
	v_add_nc_u32_e32 v190, v147, v71
	v_and_b32_e32 v70, v70, v72
	; wave barrier
	s_delay_alu instid0(VALU_DEP_1) | instskip(NEXT) | instid1(VALU_DEP_1)
	v_and_b32_e32 v70, v70, v73
	v_mbcnt_lo_u32_b32 v189, v70, 0
	v_cmp_ne_u32_e64 s15, 0, v70
	s_delay_alu instid0(VALU_DEP_2)
	v_cmp_eq_u32_e32 vcc_lo, 0, v189
	s_and_b32 s16, s15, vcc_lo
	s_wait_alu 0xfffe
	s_and_saveexec_b32 s15, s16
	s_cbranch_execz .LBB813_440
; %bb.439:                              ;   in Loop: Header=BB813_388 Depth=2
	s_wait_dscnt 0x0
	v_bcnt_u32_b32 v70, v70, v188
	ds_store_b32 v190, v70 offset:1056
.LBB813_440:                            ;   in Loop: Header=BB813_388 Depth=2
	s_wait_alu 0xfffe
	s_or_b32 exec_lo, exec_lo, s15
	v_xor_b32_e32 v55, 0x80000000, v55
	; wave barrier
	s_delay_alu instid0(VALU_DEP_1) | instskip(NEXT) | instid1(VALU_DEP_1)
	v_lshrrev_b64 v[70:71], s48, v[54:55]
	v_and_b32_e32 v71, s55, v70
	s_delay_alu instid0(VALU_DEP_1)
	v_and_b32_e32 v70, 1, v71
	v_lshlrev_b32_e32 v72, 30, v71
	v_lshlrev_b32_e32 v73, 29, v71
	;; [unrolled: 1-line block ×4, first 2 shown]
	v_add_co_u32 v70, s15, v70, -1
	s_wait_alu 0xf1ff
	v_cndmask_b32_e64 v75, 0, 1, s15
	v_not_b32_e32 v192, v72
	v_cmp_gt_i32_e64 s15, 0, v72
	v_not_b32_e32 v72, v73
	v_lshlrev_b32_e32 v77, 26, v71
	v_cmp_ne_u32_e32 vcc_lo, 0, v75
	v_ashrrev_i32_e32 v192, 31, v192
	v_lshlrev_b32_e32 v191, 25, v71
	v_ashrrev_i32_e32 v72, 31, v72
	v_lshlrev_b32_e32 v75, 24, v71
	s_wait_alu 0xfffd
	v_xor_b32_e32 v70, vcc_lo, v70
	v_cmp_gt_i32_e32 vcc_lo, 0, v73
	v_not_b32_e32 v73, v74
	s_wait_alu 0xf1ff
	v_xor_b32_e32 v192, s15, v192
	v_cmp_gt_i32_e64 s15, 0, v74
	v_and_b32_e32 v70, exec_lo, v70
	v_not_b32_e32 v74, v76
	v_ashrrev_i32_e32 v73, 31, v73
	s_wait_alu 0xfffd
	v_xor_b32_e32 v72, vcc_lo, v72
	v_cmp_gt_i32_e32 vcc_lo, 0, v76
	v_and_b32_e32 v70, v70, v192
	v_not_b32_e32 v76, v77
	v_ashrrev_i32_e32 v74, 31, v74
	s_wait_alu 0xf1ff
	v_xor_b32_e32 v73, s15, v73
	v_cmp_gt_i32_e64 s15, 0, v77
	v_and_b32_e32 v70, v70, v72
	v_not_b32_e32 v72, v191
	v_ashrrev_i32_e32 v76, 31, v76
	s_wait_alu 0xfffd
	v_xor_b32_e32 v74, vcc_lo, v74
	v_cmp_gt_i32_e32 vcc_lo, 0, v191
	v_and_b32_e32 v70, v70, v73
	v_not_b32_e32 v73, v75
	v_ashrrev_i32_e32 v72, 31, v72
	s_wait_alu 0xf1ff
	v_xor_b32_e32 v76, s15, v76
	v_cmp_gt_i32_e64 s15, 0, v75
	v_and_b32_e32 v70, v70, v74
	v_ashrrev_i32_e32 v73, 31, v73
	s_wait_alu 0xfffd
	v_xor_b32_e32 v72, vcc_lo, v72
	v_mad_u32_u24 v74, v71, 36, v147
	v_mul_u32_u24_e32 v71, 36, v71
	v_and_b32_e32 v70, v70, v76
	s_wait_alu 0xf1ff
	v_xor_b32_e32 v73, s15, v73
	ds_load_b32 v191, v74 offset:1056
	v_add_nc_u32_e32 v193, v147, v71
	v_and_b32_e32 v70, v70, v72
	; wave barrier
	s_delay_alu instid0(VALU_DEP_1) | instskip(NEXT) | instid1(VALU_DEP_1)
	v_and_b32_e32 v70, v70, v73
	v_mbcnt_lo_u32_b32 v192, v70, 0
	v_cmp_ne_u32_e64 s15, 0, v70
	s_delay_alu instid0(VALU_DEP_2)
	v_cmp_eq_u32_e32 vcc_lo, 0, v192
	s_and_b32 s16, s15, vcc_lo
	s_wait_alu 0xfffe
	s_and_saveexec_b32 s15, s16
	s_cbranch_execz .LBB813_442
; %bb.441:                              ;   in Loop: Header=BB813_388 Depth=2
	s_wait_dscnt 0x0
	v_bcnt_u32_b32 v70, v70, v191
	ds_store_b32 v193, v70 offset:1056
.LBB813_442:                            ;   in Loop: Header=BB813_388 Depth=2
	s_wait_alu 0xfffe
	s_or_b32 exec_lo, exec_lo, s15
	v_xor_b32_e32 v57, 0x80000000, v57
	; wave barrier
	s_delay_alu instid0(VALU_DEP_1) | instskip(NEXT) | instid1(VALU_DEP_1)
	v_lshrrev_b64 v[70:71], s48, v[56:57]
	v_and_b32_e32 v71, s55, v70
	s_delay_alu instid0(VALU_DEP_1)
	v_and_b32_e32 v70, 1, v71
	v_lshlrev_b32_e32 v72, 30, v71
	v_lshlrev_b32_e32 v73, 29, v71
	v_lshlrev_b32_e32 v74, 28, v71
	v_lshlrev_b32_e32 v76, 27, v71
	v_add_co_u32 v70, s15, v70, -1
	s_wait_alu 0xf1ff
	v_cndmask_b32_e64 v75, 0, 1, s15
	v_not_b32_e32 v195, v72
	v_cmp_gt_i32_e64 s15, 0, v72
	v_not_b32_e32 v72, v73
	v_lshlrev_b32_e32 v77, 26, v71
	v_cmp_ne_u32_e32 vcc_lo, 0, v75
	v_ashrrev_i32_e32 v195, 31, v195
	v_lshlrev_b32_e32 v194, 25, v71
	v_ashrrev_i32_e32 v72, 31, v72
	v_lshlrev_b32_e32 v75, 24, v71
	s_wait_alu 0xfffd
	v_xor_b32_e32 v70, vcc_lo, v70
	v_cmp_gt_i32_e32 vcc_lo, 0, v73
	v_not_b32_e32 v73, v74
	s_wait_alu 0xf1ff
	v_xor_b32_e32 v195, s15, v195
	v_cmp_gt_i32_e64 s15, 0, v74
	v_and_b32_e32 v70, exec_lo, v70
	v_not_b32_e32 v74, v76
	v_ashrrev_i32_e32 v73, 31, v73
	s_wait_alu 0xfffd
	v_xor_b32_e32 v72, vcc_lo, v72
	v_cmp_gt_i32_e32 vcc_lo, 0, v76
	v_and_b32_e32 v70, v70, v195
	v_not_b32_e32 v76, v77
	v_ashrrev_i32_e32 v74, 31, v74
	s_wait_alu 0xf1ff
	v_xor_b32_e32 v73, s15, v73
	v_cmp_gt_i32_e64 s15, 0, v77
	v_and_b32_e32 v70, v70, v72
	v_not_b32_e32 v72, v194
	v_ashrrev_i32_e32 v76, 31, v76
	s_wait_alu 0xfffd
	v_xor_b32_e32 v74, vcc_lo, v74
	v_cmp_gt_i32_e32 vcc_lo, 0, v194
	v_and_b32_e32 v70, v70, v73
	v_not_b32_e32 v73, v75
	v_ashrrev_i32_e32 v72, 31, v72
	s_wait_alu 0xf1ff
	v_xor_b32_e32 v76, s15, v76
	v_cmp_gt_i32_e64 s15, 0, v75
	v_and_b32_e32 v70, v70, v74
	v_ashrrev_i32_e32 v73, 31, v73
	s_wait_alu 0xfffd
	v_xor_b32_e32 v72, vcc_lo, v72
	v_mad_u32_u24 v74, v71, 36, v147
	v_mul_u32_u24_e32 v71, 36, v71
	v_and_b32_e32 v70, v70, v76
	s_wait_alu 0xf1ff
	v_xor_b32_e32 v73, s15, v73
	ds_load_b32 v194, v74 offset:1056
	v_add_nc_u32_e32 v196, v147, v71
	v_and_b32_e32 v70, v70, v72
	; wave barrier
	s_delay_alu instid0(VALU_DEP_1) | instskip(NEXT) | instid1(VALU_DEP_1)
	v_and_b32_e32 v70, v70, v73
	v_mbcnt_lo_u32_b32 v195, v70, 0
	v_cmp_ne_u32_e64 s15, 0, v70
	s_delay_alu instid0(VALU_DEP_2)
	v_cmp_eq_u32_e32 vcc_lo, 0, v195
	s_and_b32 s16, s15, vcc_lo
	s_wait_alu 0xfffe
	s_and_saveexec_b32 s15, s16
	s_cbranch_execz .LBB813_444
; %bb.443:                              ;   in Loop: Header=BB813_388 Depth=2
	s_wait_dscnt 0x0
	v_bcnt_u32_b32 v70, v70, v194
	ds_store_b32 v196, v70 offset:1056
.LBB813_444:                            ;   in Loop: Header=BB813_388 Depth=2
	s_wait_alu 0xfffe
	s_or_b32 exec_lo, exec_lo, s15
	v_xor_b32_e32 v61, 0x80000000, v61
	; wave barrier
	s_delay_alu instid0(VALU_DEP_1) | instskip(NEXT) | instid1(VALU_DEP_1)
	v_lshrrev_b64 v[70:71], s48, v[60:61]
	v_and_b32_e32 v71, s55, v70
	s_delay_alu instid0(VALU_DEP_1)
	v_and_b32_e32 v70, 1, v71
	v_lshlrev_b32_e32 v72, 30, v71
	v_lshlrev_b32_e32 v73, 29, v71
	;; [unrolled: 1-line block ×4, first 2 shown]
	v_add_co_u32 v70, s15, v70, -1
	s_wait_alu 0xf1ff
	v_cndmask_b32_e64 v75, 0, 1, s15
	v_not_b32_e32 v198, v72
	v_cmp_gt_i32_e64 s15, 0, v72
	v_not_b32_e32 v72, v73
	v_lshlrev_b32_e32 v77, 26, v71
	v_cmp_ne_u32_e32 vcc_lo, 0, v75
	v_ashrrev_i32_e32 v198, 31, v198
	v_lshlrev_b32_e32 v197, 25, v71
	v_ashrrev_i32_e32 v72, 31, v72
	v_lshlrev_b32_e32 v75, 24, v71
	s_wait_alu 0xfffd
	v_xor_b32_e32 v70, vcc_lo, v70
	v_cmp_gt_i32_e32 vcc_lo, 0, v73
	v_not_b32_e32 v73, v74
	s_wait_alu 0xf1ff
	v_xor_b32_e32 v198, s15, v198
	v_cmp_gt_i32_e64 s15, 0, v74
	v_and_b32_e32 v70, exec_lo, v70
	v_not_b32_e32 v74, v76
	v_ashrrev_i32_e32 v73, 31, v73
	s_wait_alu 0xfffd
	v_xor_b32_e32 v72, vcc_lo, v72
	v_cmp_gt_i32_e32 vcc_lo, 0, v76
	v_and_b32_e32 v70, v70, v198
	v_not_b32_e32 v76, v77
	v_ashrrev_i32_e32 v74, 31, v74
	s_wait_alu 0xf1ff
	v_xor_b32_e32 v73, s15, v73
	v_cmp_gt_i32_e64 s15, 0, v77
	v_and_b32_e32 v70, v70, v72
	v_not_b32_e32 v72, v197
	v_ashrrev_i32_e32 v76, 31, v76
	s_wait_alu 0xfffd
	v_xor_b32_e32 v74, vcc_lo, v74
	v_cmp_gt_i32_e32 vcc_lo, 0, v197
	v_and_b32_e32 v70, v70, v73
	v_not_b32_e32 v73, v75
	v_ashrrev_i32_e32 v72, 31, v72
	s_wait_alu 0xf1ff
	v_xor_b32_e32 v76, s15, v76
	v_cmp_gt_i32_e64 s15, 0, v75
	v_and_b32_e32 v70, v70, v74
	v_ashrrev_i32_e32 v73, 31, v73
	s_wait_alu 0xfffd
	v_xor_b32_e32 v72, vcc_lo, v72
	v_mad_u32_u24 v74, v71, 36, v147
	v_mul_u32_u24_e32 v71, 36, v71
	v_and_b32_e32 v70, v70, v76
	s_wait_alu 0xf1ff
	v_xor_b32_e32 v73, s15, v73
	ds_load_b32 v197, v74 offset:1056
	v_add_nc_u32_e32 v199, v147, v71
	v_and_b32_e32 v70, v70, v72
	; wave barrier
	s_delay_alu instid0(VALU_DEP_1) | instskip(NEXT) | instid1(VALU_DEP_1)
	v_and_b32_e32 v70, v70, v73
	v_mbcnt_lo_u32_b32 v198, v70, 0
	v_cmp_ne_u32_e64 s15, 0, v70
	s_delay_alu instid0(VALU_DEP_2)
	v_cmp_eq_u32_e32 vcc_lo, 0, v198
	s_and_b32 s16, s15, vcc_lo
	s_wait_alu 0xfffe
	s_and_saveexec_b32 s15, s16
	s_cbranch_execz .LBB813_446
; %bb.445:                              ;   in Loop: Header=BB813_388 Depth=2
	s_wait_dscnt 0x0
	v_bcnt_u32_b32 v70, v70, v197
	ds_store_b32 v199, v70 offset:1056
.LBB813_446:                            ;   in Loop: Header=BB813_388 Depth=2
	s_wait_alu 0xfffe
	s_or_b32 exec_lo, exec_lo, s15
	v_xor_b32_e32 v59, 0x80000000, v59
	; wave barrier
	s_delay_alu instid0(VALU_DEP_1) | instskip(NEXT) | instid1(VALU_DEP_1)
	v_lshrrev_b64 v[70:71], s48, v[58:59]
	v_and_b32_e32 v71, s55, v70
	s_delay_alu instid0(VALU_DEP_1)
	v_and_b32_e32 v70, 1, v71
	v_lshlrev_b32_e32 v72, 30, v71
	v_lshlrev_b32_e32 v73, 29, v71
	;; [unrolled: 1-line block ×4, first 2 shown]
	v_add_co_u32 v70, s15, v70, -1
	s_wait_alu 0xf1ff
	v_cndmask_b32_e64 v75, 0, 1, s15
	v_not_b32_e32 v201, v72
	v_cmp_gt_i32_e64 s15, 0, v72
	v_not_b32_e32 v72, v73
	v_lshlrev_b32_e32 v77, 26, v71
	v_cmp_ne_u32_e32 vcc_lo, 0, v75
	v_ashrrev_i32_e32 v201, 31, v201
	v_lshlrev_b32_e32 v200, 25, v71
	v_ashrrev_i32_e32 v72, 31, v72
	v_lshlrev_b32_e32 v75, 24, v71
	s_wait_alu 0xfffd
	v_xor_b32_e32 v70, vcc_lo, v70
	v_cmp_gt_i32_e32 vcc_lo, 0, v73
	v_not_b32_e32 v73, v74
	s_wait_alu 0xf1ff
	v_xor_b32_e32 v201, s15, v201
	v_cmp_gt_i32_e64 s15, 0, v74
	v_and_b32_e32 v70, exec_lo, v70
	v_not_b32_e32 v74, v76
	v_ashrrev_i32_e32 v73, 31, v73
	s_wait_alu 0xfffd
	v_xor_b32_e32 v72, vcc_lo, v72
	v_cmp_gt_i32_e32 vcc_lo, 0, v76
	v_and_b32_e32 v70, v70, v201
	v_not_b32_e32 v76, v77
	v_ashrrev_i32_e32 v74, 31, v74
	s_wait_alu 0xf1ff
	v_xor_b32_e32 v73, s15, v73
	v_cmp_gt_i32_e64 s15, 0, v77
	v_and_b32_e32 v70, v70, v72
	v_not_b32_e32 v72, v200
	v_ashrrev_i32_e32 v76, 31, v76
	s_wait_alu 0xfffd
	v_xor_b32_e32 v74, vcc_lo, v74
	v_cmp_gt_i32_e32 vcc_lo, 0, v200
	v_and_b32_e32 v70, v70, v73
	v_not_b32_e32 v73, v75
	v_ashrrev_i32_e32 v72, 31, v72
	s_wait_alu 0xf1ff
	v_xor_b32_e32 v76, s15, v76
	v_cmp_gt_i32_e64 s15, 0, v75
	v_and_b32_e32 v70, v70, v74
	v_ashrrev_i32_e32 v73, 31, v73
	s_wait_alu 0xfffd
	v_xor_b32_e32 v72, vcc_lo, v72
	v_mad_u32_u24 v74, v71, 36, v147
	v_mul_u32_u24_e32 v71, 36, v71
	v_and_b32_e32 v70, v70, v76
	s_wait_alu 0xf1ff
	v_xor_b32_e32 v73, s15, v73
	ds_load_b32 v200, v74 offset:1056
	v_add_nc_u32_e32 v202, v147, v71
	v_and_b32_e32 v70, v70, v72
	; wave barrier
	s_delay_alu instid0(VALU_DEP_1) | instskip(NEXT) | instid1(VALU_DEP_1)
	v_and_b32_e32 v70, v70, v73
	v_mbcnt_lo_u32_b32 v201, v70, 0
	v_cmp_ne_u32_e64 s15, 0, v70
	s_delay_alu instid0(VALU_DEP_2)
	v_cmp_eq_u32_e32 vcc_lo, 0, v201
	s_and_b32 s16, s15, vcc_lo
	s_wait_alu 0xfffe
	s_and_saveexec_b32 s15, s16
	s_cbranch_execz .LBB813_448
; %bb.447:                              ;   in Loop: Header=BB813_388 Depth=2
	s_wait_dscnt 0x0
	v_bcnt_u32_b32 v70, v70, v200
	ds_store_b32 v202, v70 offset:1056
.LBB813_448:                            ;   in Loop: Header=BB813_388 Depth=2
	s_wait_alu 0xfffe
	s_or_b32 exec_lo, exec_lo, s15
	v_xor_b32_e32 v63, 0x80000000, v63
	; wave barrier
	s_delay_alu instid0(VALU_DEP_1) | instskip(NEXT) | instid1(VALU_DEP_1)
	v_lshrrev_b64 v[70:71], s48, v[62:63]
	v_and_b32_e32 v71, s55, v70
	s_delay_alu instid0(VALU_DEP_1)
	v_and_b32_e32 v70, 1, v71
	v_lshlrev_b32_e32 v72, 30, v71
	v_lshlrev_b32_e32 v73, 29, v71
	;; [unrolled: 1-line block ×4, first 2 shown]
	v_add_co_u32 v70, s15, v70, -1
	s_wait_alu 0xf1ff
	v_cndmask_b32_e64 v75, 0, 1, s15
	v_not_b32_e32 v204, v72
	v_cmp_gt_i32_e64 s15, 0, v72
	v_not_b32_e32 v72, v73
	v_lshlrev_b32_e32 v77, 26, v71
	v_cmp_ne_u32_e32 vcc_lo, 0, v75
	v_ashrrev_i32_e32 v204, 31, v204
	v_lshlrev_b32_e32 v203, 25, v71
	v_ashrrev_i32_e32 v72, 31, v72
	v_lshlrev_b32_e32 v75, 24, v71
	s_wait_alu 0xfffd
	v_xor_b32_e32 v70, vcc_lo, v70
	v_cmp_gt_i32_e32 vcc_lo, 0, v73
	v_not_b32_e32 v73, v74
	s_wait_alu 0xf1ff
	v_xor_b32_e32 v204, s15, v204
	v_cmp_gt_i32_e64 s15, 0, v74
	v_and_b32_e32 v70, exec_lo, v70
	v_not_b32_e32 v74, v76
	v_ashrrev_i32_e32 v73, 31, v73
	s_wait_alu 0xfffd
	v_xor_b32_e32 v72, vcc_lo, v72
	v_cmp_gt_i32_e32 vcc_lo, 0, v76
	v_and_b32_e32 v70, v70, v204
	v_not_b32_e32 v76, v77
	v_ashrrev_i32_e32 v74, 31, v74
	s_wait_alu 0xf1ff
	v_xor_b32_e32 v73, s15, v73
	v_cmp_gt_i32_e64 s15, 0, v77
	v_and_b32_e32 v70, v70, v72
	v_not_b32_e32 v72, v203
	v_ashrrev_i32_e32 v76, 31, v76
	s_wait_alu 0xfffd
	v_xor_b32_e32 v74, vcc_lo, v74
	v_cmp_gt_i32_e32 vcc_lo, 0, v203
	v_and_b32_e32 v70, v70, v73
	v_not_b32_e32 v73, v75
	v_ashrrev_i32_e32 v72, 31, v72
	s_wait_alu 0xf1ff
	v_xor_b32_e32 v76, s15, v76
	v_cmp_gt_i32_e64 s15, 0, v75
	v_and_b32_e32 v70, v70, v74
	v_ashrrev_i32_e32 v73, 31, v73
	s_wait_alu 0xfffd
	v_xor_b32_e32 v72, vcc_lo, v72
	v_mad_u32_u24 v74, v71, 36, v147
	v_mul_u32_u24_e32 v71, 36, v71
	v_and_b32_e32 v70, v70, v76
	s_wait_alu 0xf1ff
	v_xor_b32_e32 v73, s15, v73
	ds_load_b32 v203, v74 offset:1056
	v_add_nc_u32_e32 v206, v147, v71
	v_and_b32_e32 v70, v70, v72
	; wave barrier
	s_delay_alu instid0(VALU_DEP_1) | instskip(NEXT) | instid1(VALU_DEP_1)
	v_and_b32_e32 v70, v70, v73
	v_mbcnt_lo_u32_b32 v204, v70, 0
	v_cmp_ne_u32_e64 s15, 0, v70
	s_delay_alu instid0(VALU_DEP_2)
	v_cmp_eq_u32_e32 vcc_lo, 0, v204
	s_and_b32 s16, s15, vcc_lo
	s_wait_alu 0xfffe
	s_and_saveexec_b32 s15, s16
	s_cbranch_execz .LBB813_450
; %bb.449:                              ;   in Loop: Header=BB813_388 Depth=2
	s_wait_dscnt 0x0
	v_bcnt_u32_b32 v70, v70, v203
	ds_store_b32 v206, v70 offset:1056
.LBB813_450:                            ;   in Loop: Header=BB813_388 Depth=2
	s_wait_alu 0xfffe
	s_or_b32 exec_lo, exec_lo, s15
	v_xor_b32_e32 v65, 0x80000000, v65
	; wave barrier
	s_delay_alu instid0(VALU_DEP_1) | instskip(NEXT) | instid1(VALU_DEP_1)
	v_lshrrev_b64 v[70:71], s48, v[64:65]
	v_and_b32_e32 v71, s55, v70
	s_delay_alu instid0(VALU_DEP_1)
	v_and_b32_e32 v70, 1, v71
	v_lshlrev_b32_e32 v72, 30, v71
	v_lshlrev_b32_e32 v73, 29, v71
	;; [unrolled: 1-line block ×4, first 2 shown]
	v_add_co_u32 v70, s15, v70, -1
	s_wait_alu 0xf1ff
	v_cndmask_b32_e64 v75, 0, 1, s15
	v_not_b32_e32 v207, v72
	v_cmp_gt_i32_e64 s15, 0, v72
	v_not_b32_e32 v72, v73
	v_lshlrev_b32_e32 v77, 26, v71
	v_cmp_ne_u32_e32 vcc_lo, 0, v75
	v_ashrrev_i32_e32 v207, 31, v207
	v_lshlrev_b32_e32 v205, 25, v71
	v_ashrrev_i32_e32 v72, 31, v72
	v_lshlrev_b32_e32 v75, 24, v71
	s_wait_alu 0xfffd
	v_xor_b32_e32 v70, vcc_lo, v70
	v_cmp_gt_i32_e32 vcc_lo, 0, v73
	v_not_b32_e32 v73, v74
	s_wait_alu 0xf1ff
	v_xor_b32_e32 v207, s15, v207
	v_cmp_gt_i32_e64 s15, 0, v74
	v_and_b32_e32 v70, exec_lo, v70
	v_not_b32_e32 v74, v76
	v_ashrrev_i32_e32 v73, 31, v73
	s_wait_alu 0xfffd
	v_xor_b32_e32 v72, vcc_lo, v72
	v_cmp_gt_i32_e32 vcc_lo, 0, v76
	v_and_b32_e32 v70, v70, v207
	v_not_b32_e32 v76, v77
	v_ashrrev_i32_e32 v74, 31, v74
	s_wait_alu 0xf1ff
	v_xor_b32_e32 v73, s15, v73
	v_cmp_gt_i32_e64 s15, 0, v77
	v_and_b32_e32 v70, v70, v72
	v_not_b32_e32 v72, v205
	v_ashrrev_i32_e32 v76, 31, v76
	s_wait_alu 0xfffd
	v_xor_b32_e32 v74, vcc_lo, v74
	v_cmp_gt_i32_e32 vcc_lo, 0, v205
	v_and_b32_e32 v70, v70, v73
	v_not_b32_e32 v73, v75
	v_ashrrev_i32_e32 v72, 31, v72
	s_wait_alu 0xf1ff
	v_xor_b32_e32 v76, s15, v76
	v_cmp_gt_i32_e64 s15, 0, v75
	v_and_b32_e32 v70, v70, v74
	v_ashrrev_i32_e32 v73, 31, v73
	s_wait_alu 0xfffd
	v_xor_b32_e32 v72, vcc_lo, v72
	v_mad_u32_u24 v74, v71, 36, v147
	v_mul_u32_u24_e32 v71, 36, v71
	v_and_b32_e32 v70, v70, v76
	s_wait_alu 0xf1ff
	v_xor_b32_e32 v73, s15, v73
	ds_load_b32 v205, v74 offset:1056
	v_add_nc_u32_e32 v209, v147, v71
	v_and_b32_e32 v70, v70, v72
	; wave barrier
	s_delay_alu instid0(VALU_DEP_1) | instskip(NEXT) | instid1(VALU_DEP_1)
	v_and_b32_e32 v70, v70, v73
	v_mbcnt_lo_u32_b32 v207, v70, 0
	v_cmp_ne_u32_e64 s15, 0, v70
	s_delay_alu instid0(VALU_DEP_2)
	v_cmp_eq_u32_e32 vcc_lo, 0, v207
	s_and_b32 s16, s15, vcc_lo
	s_wait_alu 0xfffe
	s_and_saveexec_b32 s15, s16
	s_cbranch_execz .LBB813_452
; %bb.451:                              ;   in Loop: Header=BB813_388 Depth=2
	s_wait_dscnt 0x0
	v_bcnt_u32_b32 v70, v70, v205
	ds_store_b32 v209, v70 offset:1056
.LBB813_452:                            ;   in Loop: Header=BB813_388 Depth=2
	s_wait_alu 0xfffe
	s_or_b32 exec_lo, exec_lo, s15
	v_xor_b32_e32 v67, 0x80000000, v67
	; wave barrier
	s_delay_alu instid0(VALU_DEP_1) | instskip(NEXT) | instid1(VALU_DEP_1)
	v_lshrrev_b64 v[70:71], s48, v[66:67]
	v_and_b32_e32 v71, s55, v70
	s_delay_alu instid0(VALU_DEP_1)
	v_and_b32_e32 v70, 1, v71
	v_lshlrev_b32_e32 v72, 30, v71
	v_lshlrev_b32_e32 v73, 29, v71
	;; [unrolled: 1-line block ×4, first 2 shown]
	v_add_co_u32 v70, s15, v70, -1
	s_wait_alu 0xf1ff
	v_cndmask_b32_e64 v75, 0, 1, s15
	v_not_b32_e32 v210, v72
	v_cmp_gt_i32_e64 s15, 0, v72
	v_not_b32_e32 v72, v73
	v_lshlrev_b32_e32 v77, 26, v71
	v_cmp_ne_u32_e32 vcc_lo, 0, v75
	v_ashrrev_i32_e32 v210, 31, v210
	v_lshlrev_b32_e32 v208, 25, v71
	v_ashrrev_i32_e32 v72, 31, v72
	v_lshlrev_b32_e32 v75, 24, v71
	s_wait_alu 0xfffd
	v_xor_b32_e32 v70, vcc_lo, v70
	v_cmp_gt_i32_e32 vcc_lo, 0, v73
	v_not_b32_e32 v73, v74
	s_wait_alu 0xf1ff
	v_xor_b32_e32 v210, s15, v210
	v_cmp_gt_i32_e64 s15, 0, v74
	v_and_b32_e32 v70, exec_lo, v70
	v_not_b32_e32 v74, v76
	v_ashrrev_i32_e32 v73, 31, v73
	s_wait_alu 0xfffd
	v_xor_b32_e32 v72, vcc_lo, v72
	v_cmp_gt_i32_e32 vcc_lo, 0, v76
	v_and_b32_e32 v70, v70, v210
	v_not_b32_e32 v76, v77
	v_ashrrev_i32_e32 v74, 31, v74
	s_wait_alu 0xf1ff
	v_xor_b32_e32 v73, s15, v73
	v_cmp_gt_i32_e64 s15, 0, v77
	v_and_b32_e32 v70, v70, v72
	v_not_b32_e32 v72, v208
	v_ashrrev_i32_e32 v76, 31, v76
	s_wait_alu 0xfffd
	v_xor_b32_e32 v74, vcc_lo, v74
	v_cmp_gt_i32_e32 vcc_lo, 0, v208
	v_and_b32_e32 v70, v70, v73
	v_not_b32_e32 v73, v75
	v_ashrrev_i32_e32 v72, 31, v72
	s_wait_alu 0xf1ff
	v_xor_b32_e32 v76, s15, v76
	v_cmp_gt_i32_e64 s15, 0, v75
	v_and_b32_e32 v70, v70, v74
	v_ashrrev_i32_e32 v73, 31, v73
	s_wait_alu 0xfffd
	v_xor_b32_e32 v72, vcc_lo, v72
	v_mad_u32_u24 v74, v71, 36, v147
	v_mul_u32_u24_e32 v71, 36, v71
	v_and_b32_e32 v70, v70, v76
	s_wait_alu 0xf1ff
	v_xor_b32_e32 v73, s15, v73
	ds_load_b32 v208, v74 offset:1056
	v_add_nc_u32_e32 v213, v147, v71
	v_and_b32_e32 v70, v70, v72
	; wave barrier
	s_delay_alu instid0(VALU_DEP_1) | instskip(NEXT) | instid1(VALU_DEP_1)
	v_and_b32_e32 v70, v70, v73
	v_mbcnt_lo_u32_b32 v210, v70, 0
	v_cmp_ne_u32_e64 s15, 0, v70
	s_delay_alu instid0(VALU_DEP_2)
	v_cmp_eq_u32_e32 vcc_lo, 0, v210
	s_and_b32 s16, s15, vcc_lo
	s_wait_alu 0xfffe
	s_and_saveexec_b32 s15, s16
	s_cbranch_execz .LBB813_454
; %bb.453:                              ;   in Loop: Header=BB813_388 Depth=2
	s_wait_dscnt 0x0
	v_bcnt_u32_b32 v70, v70, v208
	ds_store_b32 v213, v70 offset:1056
.LBB813_454:                            ;   in Loop: Header=BB813_388 Depth=2
	s_wait_alu 0xfffe
	s_or_b32 exec_lo, exec_lo, s15
	v_lshrrev_b64 v[70:71], s48, v[68:69]
	; wave barrier
	s_delay_alu instid0(VALU_DEP_1) | instskip(NEXT) | instid1(VALU_DEP_1)
	v_and_b32_e32 v71, s55, v70
	v_and_b32_e32 v70, 1, v71
	v_lshlrev_b32_e32 v72, 30, v71
	v_lshlrev_b32_e32 v73, 29, v71
	;; [unrolled: 1-line block ×4, first 2 shown]
	v_add_co_u32 v70, s15, v70, -1
	s_wait_alu 0xf1ff
	v_cndmask_b32_e64 v75, 0, 1, s15
	v_not_b32_e32 v212, v72
	v_cmp_gt_i32_e64 s15, 0, v72
	v_not_b32_e32 v72, v73
	v_lshlrev_b32_e32 v77, 26, v71
	v_cmp_ne_u32_e32 vcc_lo, 0, v75
	v_ashrrev_i32_e32 v212, 31, v212
	v_lshlrev_b32_e32 v211, 25, v71
	v_ashrrev_i32_e32 v72, 31, v72
	v_lshlrev_b32_e32 v75, 24, v71
	s_wait_alu 0xfffd
	v_xor_b32_e32 v70, vcc_lo, v70
	v_cmp_gt_i32_e32 vcc_lo, 0, v73
	v_not_b32_e32 v73, v74
	s_wait_alu 0xf1ff
	v_xor_b32_e32 v212, s15, v212
	v_cmp_gt_i32_e64 s15, 0, v74
	v_and_b32_e32 v70, exec_lo, v70
	v_not_b32_e32 v74, v76
	v_ashrrev_i32_e32 v73, 31, v73
	s_wait_alu 0xfffd
	v_xor_b32_e32 v72, vcc_lo, v72
	v_cmp_gt_i32_e32 vcc_lo, 0, v76
	v_and_b32_e32 v70, v70, v212
	v_not_b32_e32 v76, v77
	v_ashrrev_i32_e32 v74, 31, v74
	s_wait_alu 0xf1ff
	v_xor_b32_e32 v73, s15, v73
	v_cmp_gt_i32_e64 s15, 0, v77
	v_and_b32_e32 v70, v70, v72
	v_not_b32_e32 v72, v211
	v_ashrrev_i32_e32 v76, 31, v76
	s_wait_alu 0xfffd
	v_xor_b32_e32 v74, vcc_lo, v74
	v_cmp_gt_i32_e32 vcc_lo, 0, v211
	v_and_b32_e32 v70, v70, v73
	v_not_b32_e32 v73, v75
	v_ashrrev_i32_e32 v72, 31, v72
	s_wait_alu 0xf1ff
	v_xor_b32_e32 v76, s15, v76
	v_cmp_gt_i32_e64 s15, 0, v75
	v_and_b32_e32 v70, v70, v74
	v_ashrrev_i32_e32 v73, 31, v73
	s_wait_alu 0xfffd
	v_xor_b32_e32 v72, vcc_lo, v72
	v_mad_u32_u24 v74, v71, 36, v147
	v_mul_u32_u24_e32 v71, 36, v71
	v_and_b32_e32 v70, v70, v76
	s_wait_alu 0xf1ff
	v_xor_b32_e32 v73, s15, v73
	ds_load_b32 v211, v74 offset:1056
	v_add_nc_u32_e32 v214, v147, v71
	v_and_b32_e32 v70, v70, v72
	; wave barrier
	s_delay_alu instid0(VALU_DEP_1) | instskip(NEXT) | instid1(VALU_DEP_1)
	v_and_b32_e32 v70, v70, v73
	v_mbcnt_lo_u32_b32 v212, v70, 0
	v_cmp_ne_u32_e64 s15, 0, v70
	s_delay_alu instid0(VALU_DEP_2)
	v_cmp_eq_u32_e32 vcc_lo, 0, v212
	s_and_b32 s16, s15, vcc_lo
	s_wait_alu 0xfffe
	s_and_saveexec_b32 s15, s16
	s_cbranch_execz .LBB813_456
; %bb.455:                              ;   in Loop: Header=BB813_388 Depth=2
	s_wait_dscnt 0x0
	v_bcnt_u32_b32 v70, v70, v211
	ds_store_b32 v214, v70 offset:1056
.LBB813_456:                            ;   in Loop: Header=BB813_388 Depth=2
	s_wait_alu 0xfffe
	s_or_b32 exec_lo, exec_lo, s15
	; wave barrier
	s_wait_loadcnt_dscnt 0x0
	s_barrier_signal -1
	s_barrier_wait -1
	global_inv scope:SCOPE_SE
	ds_load_2addr_b32 v[76:77], v166 offset1:1
	ds_load_2addr_b32 v[74:75], v167 offset1:1
	;; [unrolled: 1-line block ×4, first 2 shown]
	ds_load_b32 v215, v102 offset:1088
	s_wait_dscnt 0x3
	v_add3_u32 v216, v77, v76, v74
	s_wait_dscnt 0x2
	s_delay_alu instid0(VALU_DEP_1) | instskip(SKIP_1) | instid1(VALU_DEP_1)
	v_add3_u32 v216, v216, v75, v72
	s_wait_dscnt 0x1
	v_add3_u32 v216, v216, v73, v70
	s_wait_dscnt 0x0
	s_delay_alu instid0(VALU_DEP_1) | instskip(NEXT) | instid1(VALU_DEP_1)
	v_add3_u32 v215, v216, v71, v215
	v_mov_b32_dpp v216, v215 row_shr:1 row_mask:0xf bank_mask:0xf
	s_delay_alu instid0(VALU_DEP_1) | instskip(NEXT) | instid1(VALU_DEP_1)
	v_cndmask_b32_e64 v216, v216, 0, s0
	v_add_nc_u32_e32 v215, v216, v215
	s_delay_alu instid0(VALU_DEP_1) | instskip(NEXT) | instid1(VALU_DEP_1)
	v_mov_b32_dpp v216, v215 row_shr:2 row_mask:0xf bank_mask:0xf
	v_cndmask_b32_e64 v216, 0, v216, s1
	s_delay_alu instid0(VALU_DEP_1) | instskip(NEXT) | instid1(VALU_DEP_1)
	v_add_nc_u32_e32 v215, v215, v216
	v_mov_b32_dpp v216, v215 row_shr:4 row_mask:0xf bank_mask:0xf
	s_delay_alu instid0(VALU_DEP_1) | instskip(NEXT) | instid1(VALU_DEP_1)
	v_cndmask_b32_e64 v216, 0, v216, s8
	v_add_nc_u32_e32 v215, v215, v216
	s_delay_alu instid0(VALU_DEP_1) | instskip(NEXT) | instid1(VALU_DEP_1)
	v_mov_b32_dpp v216, v215 row_shr:8 row_mask:0xf bank_mask:0xf
	v_cndmask_b32_e64 v216, 0, v216, s9
	s_delay_alu instid0(VALU_DEP_1) | instskip(SKIP_3) | instid1(VALU_DEP_1)
	v_add_nc_u32_e32 v215, v215, v216
	ds_swizzle_b32 v216, v215 offset:swizzle(BROADCAST,32,15)
	s_wait_dscnt 0x0
	v_cndmask_b32_e64 v216, v216, 0, s10
	v_add_nc_u32_e32 v215, v215, v216
	s_and_saveexec_b32 s15, s3
; %bb.457:                              ;   in Loop: Header=BB813_388 Depth=2
	ds_store_b32 v97, v215 offset:1024
; %bb.458:                              ;   in Loop: Header=BB813_388 Depth=2
	s_wait_alu 0xfffe
	s_or_b32 exec_lo, exec_lo, s15
	s_wait_loadcnt_dscnt 0x0
	s_barrier_signal -1
	s_barrier_wait -1
	global_inv scope:SCOPE_SE
	s_and_saveexec_b32 s15, s4
	s_cbranch_execz .LBB813_460
; %bb.459:                              ;   in Loop: Header=BB813_388 Depth=2
	ds_load_b32 v216, v105 offset:1024
	s_wait_dscnt 0x0
	v_mov_b32_dpp v217, v216 row_shr:1 row_mask:0xf bank_mask:0xf
	s_delay_alu instid0(VALU_DEP_1) | instskip(NEXT) | instid1(VALU_DEP_1)
	v_cndmask_b32_e64 v217, v217, 0, s12
	v_add_nc_u32_e32 v216, v217, v216
	s_delay_alu instid0(VALU_DEP_1) | instskip(NEXT) | instid1(VALU_DEP_1)
	v_mov_b32_dpp v217, v216 row_shr:2 row_mask:0xf bank_mask:0xf
	v_cndmask_b32_e64 v217, 0, v217, s13
	s_delay_alu instid0(VALU_DEP_1) | instskip(NEXT) | instid1(VALU_DEP_1)
	v_add_nc_u32_e32 v216, v216, v217
	v_mov_b32_dpp v217, v216 row_shr:4 row_mask:0xf bank_mask:0xf
	s_delay_alu instid0(VALU_DEP_1) | instskip(NEXT) | instid1(VALU_DEP_1)
	v_cndmask_b32_e64 v217, 0, v217, s14
	v_add_nc_u32_e32 v216, v216, v217
	ds_store_b32 v105, v216 offset:1024
.LBB813_460:                            ;   in Loop: Header=BB813_388 Depth=2
	s_wait_alu 0xfffe
	s_or_b32 exec_lo, exec_lo, s15
	v_mov_b32_e32 v216, 0
	s_wait_loadcnt_dscnt 0x0
	s_barrier_signal -1
	s_barrier_wait -1
	global_inv scope:SCOPE_SE
	s_and_saveexec_b32 s15, s5
; %bb.461:                              ;   in Loop: Header=BB813_388 Depth=2
	ds_load_b32 v216, v97 offset:1020
; %bb.462:                              ;   in Loop: Header=BB813_388 Depth=2
	s_wait_alu 0xfffe
	s_or_b32 exec_lo, exec_lo, s15
	s_wait_dscnt 0x0
	v_add_nc_u32_e32 v215, v216, v215
	ds_bpermute_b32 v215, v126, v215
	s_wait_dscnt 0x0
	v_cndmask_b32_e64 v215, v215, v216, s11
	s_delay_alu instid0(VALU_DEP_1) | instskip(NEXT) | instid1(VALU_DEP_1)
	v_cndmask_b32_e64 v215, v215, 0, s6
	v_add_nc_u32_e32 v76, v215, v76
	s_delay_alu instid0(VALU_DEP_1) | instskip(NEXT) | instid1(VALU_DEP_1)
	v_add_nc_u32_e32 v77, v76, v77
	v_add_nc_u32_e32 v74, v77, v74
	s_delay_alu instid0(VALU_DEP_1) | instskip(NEXT) | instid1(VALU_DEP_1)
	v_add_nc_u32_e32 v75, v74, v75
	;; [unrolled: 3-line block ×3, first 2 shown]
	v_add_nc_u32_e32 v70, v73, v70
	s_delay_alu instid0(VALU_DEP_1)
	v_add_nc_u32_e32 v71, v70, v71
	ds_store_2addr_b32 v165, v73, v70 offset1:1
	ds_store_2addr_b32 v166, v215, v76 offset1:1
	;; [unrolled: 1-line block ×4, first 2 shown]
	ds_store_b32 v102, v71 offset:1088
	s_wait_loadcnt_dscnt 0x0
	s_barrier_signal -1
	s_barrier_wait -1
	global_inv scope:SCOPE_SE
	ds_load_b32 v71, v169 offset:1056
	ds_load_b32 v216, v172 offset:1056
	;; [unrolled: 1-line block ×17, first 2 shown]
	v_mov_b32_e32 v70, 0x1000
	s_and_saveexec_b32 s15, s7
; %bb.463:                              ;   in Loop: Header=BB813_388 Depth=2
	ds_load_b32 v70, v102 offset:1092
; %bb.464:                              ;   in Loop: Header=BB813_388 Depth=2
	s_wait_alu 0xfffe
	s_or_b32 exec_lo, exec_lo, s15
	s_wait_loadcnt_dscnt 0x0
	s_barrier_signal -1
	s_barrier_wait -1
	global_inv scope:SCOPE_SE
	s_and_saveexec_b32 s15, s2
	s_cbranch_execz .LBB813_466
; %bb.465:                              ;   in Loop: Header=BB813_388 Depth=2
	ds_load_b32 v181, v78
	s_wait_dscnt 0x0
	v_sub_nc_u32_e32 v178, v181, v178
	ds_store_b32 v78, v178
.LBB813_466:                            ;   in Loop: Header=BB813_388 Depth=2
	s_wait_alu 0xfffe
	s_or_b32 exec_lo, exec_lo, s15
	v_lshlrev_b32_e32 v2, 3, v2
	v_lshlrev_b32_e32 v171, 3, v171
	;; [unrolled: 1-line block ×5, first 2 shown]
	v_lshl_add_u32 v71, v71, 3, v2
	v_lshlrev_b32_e32 v2, 3, v173
	v_lshlrev_b32_e32 v173, 3, v215
	;; [unrolled: 1-line block ×11, first 2 shown]
	ds_store_b64 v71, v[40:41] offset:1024
	v_add3_u32 v40, v171, v170, v178
	v_add3_u32 v41, v174, v2, v173
	;; [unrolled: 1-line block ×5, first 2 shown]
	ds_store_b64 v40, v[38:39] offset:1024
	ds_store_b64 v41, v[42:43] offset:1024
	;; [unrolled: 1-line block ×5, first 2 shown]
	v_lshlrev_b32_e32 v2, 3, v186
	v_lshlrev_b32_e32 v38, 3, v185
	;; [unrolled: 1-line block ×15, first 2 shown]
	v_add3_u32 v42, v2, v38, v39
	v_add3_u32 v43, v43, v44, v45
	;; [unrolled: 1-line block ×5, first 2 shown]
	ds_store_b64 v42, v[48:49] offset:1024
	ds_store_b64 v43, v[52:53] offset:1024
	;; [unrolled: 1-line block ×5, first 2 shown]
	v_lshlrev_b32_e32 v2, 3, v201
	v_lshlrev_b32_e32 v38, 3, v200
	;; [unrolled: 1-line block ×15, first 2 shown]
	v_add3_u32 v47, v2, v38, v39
	v_add3_u32 v48, v48, v49, v50
	;; [unrolled: 1-line block ×5, first 2 shown]
	v_cmp_lt_u32_e32 vcc_lo, v1, v164
	ds_store_b64 v47, v[58:59] offset:1024
	ds_store_b64 v48, v[62:63] offset:1024
	;; [unrolled: 1-line block ×5, first 2 shown]
	s_wait_loadcnt_dscnt 0x0
	s_barrier_signal -1
	s_barrier_wait -1
	global_inv scope:SCOPE_SE
	s_and_saveexec_b32 s16, vcc_lo
	s_cbranch_execnz .LBB813_535
; %bb.467:                              ;   in Loop: Header=BB813_388 Depth=2
	s_wait_alu 0xfffe
	s_or_b32 exec_lo, exec_lo, s16
	v_cmp_lt_u32_e64 s15, v79, v164
	s_and_saveexec_b32 s17, s15
	s_cbranch_execnz .LBB813_536
.LBB813_468:                            ;   in Loop: Header=BB813_388 Depth=2
	s_wait_alu 0xfffe
	s_or_b32 exec_lo, exec_lo, s17
	v_cmp_lt_u32_e64 s16, v80, v164
	s_and_saveexec_b32 s18, s16
	s_cbranch_execnz .LBB813_537
.LBB813_469:                            ;   in Loop: Header=BB813_388 Depth=2
	s_wait_alu 0xfffe
	s_or_b32 exec_lo, exec_lo, s18
	v_cmp_lt_u32_e64 s17, v81, v164
	s_and_saveexec_b32 s19, s17
	s_cbranch_execnz .LBB813_538
.LBB813_470:                            ;   in Loop: Header=BB813_388 Depth=2
	s_wait_alu 0xfffe
	s_or_b32 exec_lo, exec_lo, s19
	v_cmp_lt_u32_e64 s18, v84, v164
	s_and_saveexec_b32 s20, s18
	s_cbranch_execnz .LBB813_539
.LBB813_471:                            ;   in Loop: Header=BB813_388 Depth=2
	s_wait_alu 0xfffe
	s_or_b32 exec_lo, exec_lo, s20
	v_cmp_lt_u32_e64 s19, v85, v164
	s_and_saveexec_b32 s21, s19
	s_cbranch_execnz .LBB813_540
.LBB813_472:                            ;   in Loop: Header=BB813_388 Depth=2
	s_wait_alu 0xfffe
	s_or_b32 exec_lo, exec_lo, s21
	v_cmp_lt_u32_e64 s20, v86, v164
	s_and_saveexec_b32 s22, s20
	s_cbranch_execnz .LBB813_541
.LBB813_473:                            ;   in Loop: Header=BB813_388 Depth=2
	s_wait_alu 0xfffe
	s_or_b32 exec_lo, exec_lo, s22
	v_cmp_lt_u32_e64 s21, v87, v164
	s_and_saveexec_b32 s23, s21
	s_cbranch_execnz .LBB813_542
.LBB813_474:                            ;   in Loop: Header=BB813_388 Depth=2
	s_wait_alu 0xfffe
	s_or_b32 exec_lo, exec_lo, s23
	v_cmp_lt_u32_e64 s22, v88, v164
	s_and_saveexec_b32 s24, s22
	s_cbranch_execnz .LBB813_543
.LBB813_475:                            ;   in Loop: Header=BB813_388 Depth=2
	s_wait_alu 0xfffe
	s_or_b32 exec_lo, exec_lo, s24
	v_cmp_lt_u32_e64 s23, v89, v164
	s_and_saveexec_b32 s25, s23
	s_cbranch_execnz .LBB813_544
.LBB813_476:                            ;   in Loop: Header=BB813_388 Depth=2
	s_wait_alu 0xfffe
	s_or_b32 exec_lo, exec_lo, s25
	v_cmp_lt_u32_e64 s24, v90, v164
	s_and_saveexec_b32 s26, s24
	s_cbranch_execnz .LBB813_545
.LBB813_477:                            ;   in Loop: Header=BB813_388 Depth=2
	s_wait_alu 0xfffe
	s_or_b32 exec_lo, exec_lo, s26
	v_cmp_lt_u32_e64 s25, v91, v164
	s_and_saveexec_b32 s27, s25
	s_cbranch_execnz .LBB813_546
.LBB813_478:                            ;   in Loop: Header=BB813_388 Depth=2
	s_wait_alu 0xfffe
	s_or_b32 exec_lo, exec_lo, s27
	v_cmp_lt_u32_e64 s26, v92, v164
	s_and_saveexec_b32 s28, s26
	s_cbranch_execnz .LBB813_547
.LBB813_479:                            ;   in Loop: Header=BB813_388 Depth=2
	s_wait_alu 0xfffe
	s_or_b32 exec_lo, exec_lo, s28
	v_cmp_lt_u32_e64 s27, v93, v164
	s_and_saveexec_b32 s29, s27
	s_cbranch_execnz .LBB813_548
.LBB813_480:                            ;   in Loop: Header=BB813_388 Depth=2
	s_wait_alu 0xfffe
	s_or_b32 exec_lo, exec_lo, s29
	v_cmp_lt_u32_e64 s28, v94, v164
	s_and_saveexec_b32 s30, s28
	s_cbranch_execnz .LBB813_549
.LBB813_481:                            ;   in Loop: Header=BB813_388 Depth=2
	s_wait_alu 0xfffe
	s_or_b32 exec_lo, exec_lo, s30
	v_cmp_lt_u32_e64 s29, v95, v164
	s_and_saveexec_b32 s58, s29
	s_cbranch_execz .LBB813_483
.LBB813_482:                            ;   in Loop: Header=BB813_388 Depth=2
	ds_load_b64 v[38:39], v110 offset:31744
	s_wait_dscnt 0x0
	v_lshrrev_b64 v[52:53], s48, v[38:39]
	v_xor_b32_e32 v39, 0x80000000, v39
	s_delay_alu instid0(VALU_DEP_2) | instskip(NEXT) | instid1(VALU_DEP_1)
	v_and_b32_e32 v2, s55, v52
	v_lshlrev_b32_e32 v2, 2, v2
	ds_load_b32 v2, v2
	s_wait_dscnt 0x0
	v_add_nc_u32_e32 v2, v2, v95
	s_delay_alu instid0(VALU_DEP_1) | instskip(NEXT) | instid1(VALU_DEP_1)
	v_lshlrev_b64_e32 v[52:53], 3, v[2:3]
	v_add_co_u32 v52, s30, s40, v52
	s_wait_alu 0xf1ff
	s_delay_alu instid0(VALU_DEP_2)
	v_add_co_ci_u32_e64 v53, null, s41, v53, s30
	global_store_b64 v[52:53], v[38:39], off
.LBB813_483:                            ;   in Loop: Header=BB813_388 Depth=2
	s_wait_alu 0xfffe
	s_or_b32 exec_lo, exec_lo, s58
	s_lshl_b64 s[58:59], s[34:35], 3
	s_wait_alu 0xfffe
	v_add_co_u32 v38, s30, v128, s58
	s_wait_alu 0xf1ff
	v_add_co_ci_u32_e64 v39, null, s59, v129, s30
	v_cmp_lt_u32_e64 s30, v127, v164
	s_and_saveexec_b32 s34, s30
	s_wait_alu 0xfffe
	s_xor_b32 s30, exec_lo, s34
	s_cbranch_execnz .LBB813_550
; %bb.484:                              ;   in Loop: Header=BB813_388 Depth=2
	s_wait_alu 0xfffe
	s_or_b32 exec_lo, exec_lo, s30
	s_delay_alu instid0(SALU_CYCLE_1)
	s_mov_b32 s34, exec_lo
	v_cmpx_lt_u32_e64 v130, v164
	s_cbranch_execnz .LBB813_551
.LBB813_485:                            ;   in Loop: Header=BB813_388 Depth=2
	s_wait_alu 0xfffe
	s_or_b32 exec_lo, exec_lo, s34
	s_delay_alu instid0(SALU_CYCLE_1)
	s_mov_b32 s34, exec_lo
	v_cmpx_lt_u32_e64 v131, v164
	s_cbranch_execnz .LBB813_552
.LBB813_486:                            ;   in Loop: Header=BB813_388 Depth=2
	s_wait_alu 0xfffe
	s_or_b32 exec_lo, exec_lo, s34
	s_delay_alu instid0(SALU_CYCLE_1)
	s_mov_b32 s34, exec_lo
	v_cmpx_lt_u32_e64 v132, v164
	s_cbranch_execnz .LBB813_553
.LBB813_487:                            ;   in Loop: Header=BB813_388 Depth=2
	s_wait_alu 0xfffe
	s_or_b32 exec_lo, exec_lo, s34
	s_delay_alu instid0(SALU_CYCLE_1)
	s_mov_b32 s34, exec_lo
	v_cmpx_lt_u32_e64 v133, v164
	s_cbranch_execnz .LBB813_554
.LBB813_488:                            ;   in Loop: Header=BB813_388 Depth=2
	s_wait_alu 0xfffe
	s_or_b32 exec_lo, exec_lo, s34
	s_delay_alu instid0(SALU_CYCLE_1)
	s_mov_b32 s34, exec_lo
	v_cmpx_lt_u32_e64 v134, v164
	s_cbranch_execnz .LBB813_555
.LBB813_489:                            ;   in Loop: Header=BB813_388 Depth=2
	s_wait_alu 0xfffe
	s_or_b32 exec_lo, exec_lo, s34
	s_delay_alu instid0(SALU_CYCLE_1)
	s_mov_b32 s34, exec_lo
	v_cmpx_lt_u32_e64 v135, v164
	s_cbranch_execnz .LBB813_556
.LBB813_490:                            ;   in Loop: Header=BB813_388 Depth=2
	s_wait_alu 0xfffe
	s_or_b32 exec_lo, exec_lo, s34
	s_delay_alu instid0(SALU_CYCLE_1)
	s_mov_b32 s34, exec_lo
	v_cmpx_lt_u32_e64 v136, v164
	s_cbranch_execnz .LBB813_557
.LBB813_491:                            ;   in Loop: Header=BB813_388 Depth=2
	s_wait_alu 0xfffe
	s_or_b32 exec_lo, exec_lo, s34
	s_delay_alu instid0(SALU_CYCLE_1)
	s_mov_b32 s34, exec_lo
	v_cmpx_lt_u32_e64 v137, v164
	s_cbranch_execnz .LBB813_558
.LBB813_492:                            ;   in Loop: Header=BB813_388 Depth=2
	s_wait_alu 0xfffe
	s_or_b32 exec_lo, exec_lo, s34
	s_delay_alu instid0(SALU_CYCLE_1)
	s_mov_b32 s34, exec_lo
	v_cmpx_lt_u32_e64 v138, v164
	s_cbranch_execnz .LBB813_559
.LBB813_493:                            ;   in Loop: Header=BB813_388 Depth=2
	s_wait_alu 0xfffe
	s_or_b32 exec_lo, exec_lo, s34
	s_delay_alu instid0(SALU_CYCLE_1)
	s_mov_b32 s34, exec_lo
	v_cmpx_lt_u32_e64 v139, v164
	s_cbranch_execnz .LBB813_560
.LBB813_494:                            ;   in Loop: Header=BB813_388 Depth=2
	s_wait_alu 0xfffe
	s_or_b32 exec_lo, exec_lo, s34
	s_delay_alu instid0(SALU_CYCLE_1)
	s_mov_b32 s34, exec_lo
	v_cmpx_lt_u32_e64 v140, v164
	s_cbranch_execnz .LBB813_561
.LBB813_495:                            ;   in Loop: Header=BB813_388 Depth=2
	s_wait_alu 0xfffe
	s_or_b32 exec_lo, exec_lo, s34
	s_delay_alu instid0(SALU_CYCLE_1)
	s_mov_b32 s34, exec_lo
	v_cmpx_lt_u32_e64 v141, v164
	s_cbranch_execnz .LBB813_562
.LBB813_496:                            ;   in Loop: Header=BB813_388 Depth=2
	s_wait_alu 0xfffe
	s_or_b32 exec_lo, exec_lo, s34
	s_delay_alu instid0(SALU_CYCLE_1)
	s_mov_b32 s34, exec_lo
	v_cmpx_lt_u32_e64 v142, v164
	s_cbranch_execnz .LBB813_563
.LBB813_497:                            ;   in Loop: Header=BB813_388 Depth=2
	s_wait_alu 0xfffe
	s_or_b32 exec_lo, exec_lo, s34
	s_delay_alu instid0(SALU_CYCLE_1)
	s_mov_b32 s34, exec_lo
	v_cmpx_lt_u32_e64 v143, v164
	s_cbranch_execnz .LBB813_564
.LBB813_498:                            ;   in Loop: Header=BB813_388 Depth=2
	s_wait_alu 0xfffe
	s_or_b32 exec_lo, exec_lo, s34
	s_delay_alu instid0(SALU_CYCLE_1)
	s_mov_b32 s34, exec_lo
	v_cmpx_lt_u32_e64 v144, v164
	s_cbranch_execnz .LBB813_565
.LBB813_499:                            ;   in Loop: Header=BB813_388 Depth=2
	s_wait_alu 0xfffe
	s_or_b32 exec_lo, exec_lo, s34
	s_and_saveexec_b32 s30, vcc_lo
	s_cbranch_execnz .LBB813_566
.LBB813_500:                            ;   in Loop: Header=BB813_388 Depth=2
	s_wait_alu 0xfffe
	s_or_b32 exec_lo, exec_lo, s30
	s_and_saveexec_b32 s30, s15
	s_cbranch_execnz .LBB813_567
.LBB813_501:                            ;   in Loop: Header=BB813_388 Depth=2
	s_wait_alu 0xfffe
	s_or_b32 exec_lo, exec_lo, s30
	s_and_saveexec_b32 s30, s16
	s_cbranch_execnz .LBB813_568
.LBB813_502:                            ;   in Loop: Header=BB813_388 Depth=2
	s_wait_alu 0xfffe
	s_or_b32 exec_lo, exec_lo, s30
	s_and_saveexec_b32 s30, s17
	s_cbranch_execnz .LBB813_569
.LBB813_503:                            ;   in Loop: Header=BB813_388 Depth=2
	s_wait_alu 0xfffe
	s_or_b32 exec_lo, exec_lo, s30
	s_and_saveexec_b32 s30, s18
	s_cbranch_execnz .LBB813_570
.LBB813_504:                            ;   in Loop: Header=BB813_388 Depth=2
	s_wait_alu 0xfffe
	s_or_b32 exec_lo, exec_lo, s30
	s_and_saveexec_b32 s30, s19
	s_cbranch_execnz .LBB813_571
.LBB813_505:                            ;   in Loop: Header=BB813_388 Depth=2
	s_wait_alu 0xfffe
	s_or_b32 exec_lo, exec_lo, s30
	s_and_saveexec_b32 s30, s20
	s_cbranch_execnz .LBB813_572
.LBB813_506:                            ;   in Loop: Header=BB813_388 Depth=2
	s_wait_alu 0xfffe
	s_or_b32 exec_lo, exec_lo, s30
	s_and_saveexec_b32 s30, s21
	s_cbranch_execnz .LBB813_573
.LBB813_507:                            ;   in Loop: Header=BB813_388 Depth=2
	s_wait_alu 0xfffe
	s_or_b32 exec_lo, exec_lo, s30
	s_and_saveexec_b32 s30, s22
	s_cbranch_execnz .LBB813_574
.LBB813_508:                            ;   in Loop: Header=BB813_388 Depth=2
	s_wait_alu 0xfffe
	s_or_b32 exec_lo, exec_lo, s30
	s_and_saveexec_b32 s30, s23
	s_cbranch_execnz .LBB813_575
.LBB813_509:                            ;   in Loop: Header=BB813_388 Depth=2
	s_wait_alu 0xfffe
	s_or_b32 exec_lo, exec_lo, s30
	s_and_saveexec_b32 s30, s24
	s_cbranch_execnz .LBB813_576
.LBB813_510:                            ;   in Loop: Header=BB813_388 Depth=2
	s_wait_alu 0xfffe
	s_or_b32 exec_lo, exec_lo, s30
	s_and_saveexec_b32 s30, s25
	s_cbranch_execnz .LBB813_577
.LBB813_511:                            ;   in Loop: Header=BB813_388 Depth=2
	s_wait_alu 0xfffe
	s_or_b32 exec_lo, exec_lo, s30
	s_and_saveexec_b32 s30, s26
	s_cbranch_execnz .LBB813_578
.LBB813_512:                            ;   in Loop: Header=BB813_388 Depth=2
	s_wait_alu 0xfffe
	s_or_b32 exec_lo, exec_lo, s30
	s_and_saveexec_b32 s30, s27
	s_cbranch_execnz .LBB813_579
.LBB813_513:                            ;   in Loop: Header=BB813_388 Depth=2
	s_wait_alu 0xfffe
	s_or_b32 exec_lo, exec_lo, s30
	s_and_saveexec_b32 s30, s28
	s_cbranch_execnz .LBB813_580
.LBB813_514:                            ;   in Loop: Header=BB813_388 Depth=2
	s_wait_alu 0xfffe
	s_or_b32 exec_lo, exec_lo, s30
	s_and_saveexec_b32 s30, s29
	s_cbranch_execz .LBB813_516
.LBB813_515:                            ;   in Loop: Header=BB813_388 Depth=2
	ds_load_b64 v[38:39], v110 offset:31744
	s_wait_dscnt 0x0
	v_lshrrev_b64 v[38:39], s48, v[38:39]
	s_delay_alu instid0(VALU_DEP_1)
	v_and_b32_e32 v148, s55, v38
.LBB813_516:                            ;   in Loop: Header=BB813_388 Depth=2
	s_wait_alu 0xfffe
	s_or_b32 exec_lo, exec_lo, s30
	s_wait_loadcnt 0x0
	s_wait_storecnt 0x0
	s_barrier_signal -1
	s_barrier_wait -1
	global_inv scope:SCOPE_SE
	ds_store_b64 v71, v[36:37] offset:1024
	ds_store_b64 v40, v[34:35] offset:1024
	;; [unrolled: 1-line block ×16, first 2 shown]
	s_wait_loadcnt_dscnt 0x0
	s_barrier_signal -1
	s_barrier_wait -1
	global_inv scope:SCOPE_SE
	s_and_saveexec_b32 s30, vcc_lo
	s_cbranch_execnz .LBB813_581
; %bb.517:                              ;   in Loop: Header=BB813_388 Depth=2
	s_wait_alu 0xfffe
	s_or_b32 exec_lo, exec_lo, s30
	s_and_saveexec_b32 s30, s15
	s_cbranch_execnz .LBB813_582
.LBB813_518:                            ;   in Loop: Header=BB813_388 Depth=2
	s_wait_alu 0xfffe
	s_or_b32 exec_lo, exec_lo, s30
	s_and_saveexec_b32 s15, s16
	s_cbranch_execnz .LBB813_583
.LBB813_519:                            ;   in Loop: Header=BB813_388 Depth=2
	s_wait_alu 0xfffe
	s_or_b32 exec_lo, exec_lo, s15
	s_and_saveexec_b32 s15, s17
	s_cbranch_execnz .LBB813_584
.LBB813_520:                            ;   in Loop: Header=BB813_388 Depth=2
	s_wait_alu 0xfffe
	s_or_b32 exec_lo, exec_lo, s15
	s_and_saveexec_b32 s15, s18
	s_cbranch_execnz .LBB813_585
.LBB813_521:                            ;   in Loop: Header=BB813_388 Depth=2
	s_wait_alu 0xfffe
	s_or_b32 exec_lo, exec_lo, s15
	s_and_saveexec_b32 s15, s19
	s_cbranch_execnz .LBB813_586
.LBB813_522:                            ;   in Loop: Header=BB813_388 Depth=2
	s_wait_alu 0xfffe
	s_or_b32 exec_lo, exec_lo, s15
	s_and_saveexec_b32 s15, s20
	s_cbranch_execnz .LBB813_587
.LBB813_523:                            ;   in Loop: Header=BB813_388 Depth=2
	s_wait_alu 0xfffe
	s_or_b32 exec_lo, exec_lo, s15
	s_and_saveexec_b32 s15, s21
	s_cbranch_execnz .LBB813_588
.LBB813_524:                            ;   in Loop: Header=BB813_388 Depth=2
	s_wait_alu 0xfffe
	s_or_b32 exec_lo, exec_lo, s15
	s_and_saveexec_b32 s15, s22
	s_cbranch_execnz .LBB813_589
.LBB813_525:                            ;   in Loop: Header=BB813_388 Depth=2
	s_wait_alu 0xfffe
	s_or_b32 exec_lo, exec_lo, s15
	s_and_saveexec_b32 s15, s23
	s_cbranch_execnz .LBB813_590
.LBB813_526:                            ;   in Loop: Header=BB813_388 Depth=2
	s_wait_alu 0xfffe
	s_or_b32 exec_lo, exec_lo, s15
	s_and_saveexec_b32 s15, s24
	s_cbranch_execnz .LBB813_591
.LBB813_527:                            ;   in Loop: Header=BB813_388 Depth=2
	s_wait_alu 0xfffe
	s_or_b32 exec_lo, exec_lo, s15
	s_and_saveexec_b32 s15, s25
	s_cbranch_execnz .LBB813_592
.LBB813_528:                            ;   in Loop: Header=BB813_388 Depth=2
	s_wait_alu 0xfffe
	s_or_b32 exec_lo, exec_lo, s15
	s_and_saveexec_b32 s15, s26
	s_cbranch_execnz .LBB813_593
.LBB813_529:                            ;   in Loop: Header=BB813_388 Depth=2
	s_wait_alu 0xfffe
	s_or_b32 exec_lo, exec_lo, s15
	s_and_saveexec_b32 s15, s27
	s_cbranch_execnz .LBB813_594
.LBB813_530:                            ;   in Loop: Header=BB813_388 Depth=2
	s_wait_alu 0xfffe
	s_or_b32 exec_lo, exec_lo, s15
	s_and_saveexec_b32 s15, s28
	s_cbranch_execnz .LBB813_595
.LBB813_531:                            ;   in Loop: Header=BB813_388 Depth=2
	s_wait_alu 0xfffe
	s_or_b32 exec_lo, exec_lo, s15
	s_and_saveexec_b32 s15, s29
	s_cbranch_execz .LBB813_533
.LBB813_532:                            ;   in Loop: Header=BB813_388 Depth=2
	v_lshlrev_b32_e32 v2, 2, v148
	ds_load_b32 v2, v2
	ds_load_b64 v[38:39], v110 offset:31744
	s_wait_dscnt 0x1
	v_add_nc_u32_e32 v2, v2, v95
	s_delay_alu instid0(VALU_DEP_1) | instskip(NEXT) | instid1(VALU_DEP_1)
	v_lshlrev_b64_e32 v[40:41], 3, v[2:3]
	v_add_co_u32 v40, vcc_lo, s46, v40
	s_wait_alu 0xfffd
	s_delay_alu instid0(VALU_DEP_2)
	v_add_co_ci_u32_e64 v41, null, s47, v41, vcc_lo
	s_wait_dscnt 0x0
	global_store_b64 v[40:41], v[38:39], off
.LBB813_533:                            ;   in Loop: Header=BB813_388 Depth=2
	s_wait_alu 0xfffe
	s_or_b32 exec_lo, exec_lo, s15
	s_wait_loadcnt 0x0
	s_wait_storecnt 0x0
	s_barrier_signal -1
	s_barrier_wait -1
	global_inv scope:SCOPE_SE
	s_and_saveexec_b32 s15, s2
	s_cbranch_execz .LBB813_387
; %bb.534:                              ;   in Loop: Header=BB813_388 Depth=2
	ds_load_b32 v2, v78
	s_wait_dscnt 0x0
	v_add_nc_u32_e32 v2, v2, v70
	ds_store_b32 v78, v2
	s_branch .LBB813_387
.LBB813_535:                            ;   in Loop: Header=BB813_388 Depth=2
	ds_load_b64 v[38:39], v110 offset:1024
	s_wait_dscnt 0x0
	v_lshrrev_b64 v[52:53], s48, v[38:39]
	v_xor_b32_e32 v39, 0x80000000, v39
	s_delay_alu instid0(VALU_DEP_2) | instskip(NEXT) | instid1(VALU_DEP_1)
	v_and_b32_e32 v2, s55, v52
	v_lshlrev_b32_e32 v2, 2, v2
	ds_load_b32 v2, v2
	s_wait_dscnt 0x0
	v_add_nc_u32_e32 v2, v2, v1
	s_delay_alu instid0(VALU_DEP_1) | instskip(NEXT) | instid1(VALU_DEP_1)
	v_lshlrev_b64_e32 v[52:53], 3, v[2:3]
	v_add_co_u32 v52, s15, s40, v52
	s_wait_alu 0xf1ff
	s_delay_alu instid0(VALU_DEP_2)
	v_add_co_ci_u32_e64 v53, null, s41, v53, s15
	global_store_b64 v[52:53], v[38:39], off
	s_wait_alu 0xfffe
	s_or_b32 exec_lo, exec_lo, s16
	v_cmp_lt_u32_e64 s15, v79, v164
	s_and_saveexec_b32 s17, s15
	s_cbranch_execz .LBB813_468
.LBB813_536:                            ;   in Loop: Header=BB813_388 Depth=2
	ds_load_b64 v[38:39], v110 offset:3072
	s_wait_dscnt 0x0
	v_lshrrev_b64 v[52:53], s48, v[38:39]
	v_xor_b32_e32 v39, 0x80000000, v39
	s_delay_alu instid0(VALU_DEP_2) | instskip(NEXT) | instid1(VALU_DEP_1)
	v_and_b32_e32 v2, s55, v52
	v_lshlrev_b32_e32 v2, 2, v2
	ds_load_b32 v2, v2
	s_wait_dscnt 0x0
	v_add_nc_u32_e32 v2, v2, v79
	s_delay_alu instid0(VALU_DEP_1) | instskip(NEXT) | instid1(VALU_DEP_1)
	v_lshlrev_b64_e32 v[52:53], 3, v[2:3]
	v_add_co_u32 v52, s16, s40, v52
	s_wait_alu 0xf1ff
	s_delay_alu instid0(VALU_DEP_2)
	v_add_co_ci_u32_e64 v53, null, s41, v53, s16
	global_store_b64 v[52:53], v[38:39], off
	s_wait_alu 0xfffe
	s_or_b32 exec_lo, exec_lo, s17
	v_cmp_lt_u32_e64 s16, v80, v164
	s_and_saveexec_b32 s18, s16
	s_cbranch_execz .LBB813_469
.LBB813_537:                            ;   in Loop: Header=BB813_388 Depth=2
	ds_load_b64 v[38:39], v110 offset:5120
	s_wait_dscnt 0x0
	v_lshrrev_b64 v[52:53], s48, v[38:39]
	v_xor_b32_e32 v39, 0x80000000, v39
	s_delay_alu instid0(VALU_DEP_2) | instskip(NEXT) | instid1(VALU_DEP_1)
	v_and_b32_e32 v2, s55, v52
	v_lshlrev_b32_e32 v2, 2, v2
	ds_load_b32 v2, v2
	s_wait_dscnt 0x0
	v_add_nc_u32_e32 v2, v2, v80
	s_delay_alu instid0(VALU_DEP_1) | instskip(NEXT) | instid1(VALU_DEP_1)
	v_lshlrev_b64_e32 v[52:53], 3, v[2:3]
	v_add_co_u32 v52, s17, s40, v52
	s_wait_alu 0xf1ff
	s_delay_alu instid0(VALU_DEP_2)
	v_add_co_ci_u32_e64 v53, null, s41, v53, s17
	global_store_b64 v[52:53], v[38:39], off
	s_wait_alu 0xfffe
	s_or_b32 exec_lo, exec_lo, s18
	v_cmp_lt_u32_e64 s17, v81, v164
	s_and_saveexec_b32 s19, s17
	s_cbranch_execz .LBB813_470
.LBB813_538:                            ;   in Loop: Header=BB813_388 Depth=2
	ds_load_b64 v[38:39], v110 offset:7168
	s_wait_dscnt 0x0
	v_lshrrev_b64 v[52:53], s48, v[38:39]
	v_xor_b32_e32 v39, 0x80000000, v39
	s_delay_alu instid0(VALU_DEP_2) | instskip(NEXT) | instid1(VALU_DEP_1)
	v_and_b32_e32 v2, s55, v52
	v_lshlrev_b32_e32 v2, 2, v2
	ds_load_b32 v2, v2
	s_wait_dscnt 0x0
	v_add_nc_u32_e32 v2, v2, v81
	s_delay_alu instid0(VALU_DEP_1) | instskip(NEXT) | instid1(VALU_DEP_1)
	v_lshlrev_b64_e32 v[52:53], 3, v[2:3]
	v_add_co_u32 v52, s18, s40, v52
	s_wait_alu 0xf1ff
	s_delay_alu instid0(VALU_DEP_2)
	v_add_co_ci_u32_e64 v53, null, s41, v53, s18
	global_store_b64 v[52:53], v[38:39], off
	s_wait_alu 0xfffe
	s_or_b32 exec_lo, exec_lo, s19
	v_cmp_lt_u32_e64 s18, v84, v164
	s_and_saveexec_b32 s20, s18
	s_cbranch_execz .LBB813_471
.LBB813_539:                            ;   in Loop: Header=BB813_388 Depth=2
	ds_load_b64 v[38:39], v110 offset:9216
	s_wait_dscnt 0x0
	v_lshrrev_b64 v[52:53], s48, v[38:39]
	v_xor_b32_e32 v39, 0x80000000, v39
	s_delay_alu instid0(VALU_DEP_2) | instskip(NEXT) | instid1(VALU_DEP_1)
	v_and_b32_e32 v2, s55, v52
	v_lshlrev_b32_e32 v2, 2, v2
	ds_load_b32 v2, v2
	s_wait_dscnt 0x0
	v_add_nc_u32_e32 v2, v2, v84
	s_delay_alu instid0(VALU_DEP_1) | instskip(NEXT) | instid1(VALU_DEP_1)
	v_lshlrev_b64_e32 v[52:53], 3, v[2:3]
	v_add_co_u32 v52, s19, s40, v52
	s_wait_alu 0xf1ff
	s_delay_alu instid0(VALU_DEP_2)
	v_add_co_ci_u32_e64 v53, null, s41, v53, s19
	global_store_b64 v[52:53], v[38:39], off
	s_wait_alu 0xfffe
	s_or_b32 exec_lo, exec_lo, s20
	v_cmp_lt_u32_e64 s19, v85, v164
	s_and_saveexec_b32 s21, s19
	s_cbranch_execz .LBB813_472
.LBB813_540:                            ;   in Loop: Header=BB813_388 Depth=2
	ds_load_b64 v[38:39], v110 offset:11264
	s_wait_dscnt 0x0
	v_lshrrev_b64 v[52:53], s48, v[38:39]
	v_xor_b32_e32 v39, 0x80000000, v39
	s_delay_alu instid0(VALU_DEP_2) | instskip(NEXT) | instid1(VALU_DEP_1)
	v_and_b32_e32 v2, s55, v52
	v_lshlrev_b32_e32 v2, 2, v2
	ds_load_b32 v2, v2
	s_wait_dscnt 0x0
	v_add_nc_u32_e32 v2, v2, v85
	s_delay_alu instid0(VALU_DEP_1) | instskip(NEXT) | instid1(VALU_DEP_1)
	v_lshlrev_b64_e32 v[52:53], 3, v[2:3]
	v_add_co_u32 v52, s20, s40, v52
	s_wait_alu 0xf1ff
	s_delay_alu instid0(VALU_DEP_2)
	v_add_co_ci_u32_e64 v53, null, s41, v53, s20
	global_store_b64 v[52:53], v[38:39], off
	s_wait_alu 0xfffe
	s_or_b32 exec_lo, exec_lo, s21
	v_cmp_lt_u32_e64 s20, v86, v164
	s_and_saveexec_b32 s22, s20
	s_cbranch_execz .LBB813_473
.LBB813_541:                            ;   in Loop: Header=BB813_388 Depth=2
	ds_load_b64 v[38:39], v110 offset:13312
	s_wait_dscnt 0x0
	v_lshrrev_b64 v[52:53], s48, v[38:39]
	v_xor_b32_e32 v39, 0x80000000, v39
	s_delay_alu instid0(VALU_DEP_2) | instskip(NEXT) | instid1(VALU_DEP_1)
	v_and_b32_e32 v2, s55, v52
	v_lshlrev_b32_e32 v2, 2, v2
	ds_load_b32 v2, v2
	s_wait_dscnt 0x0
	v_add_nc_u32_e32 v2, v2, v86
	s_delay_alu instid0(VALU_DEP_1) | instskip(NEXT) | instid1(VALU_DEP_1)
	v_lshlrev_b64_e32 v[52:53], 3, v[2:3]
	v_add_co_u32 v52, s21, s40, v52
	s_wait_alu 0xf1ff
	s_delay_alu instid0(VALU_DEP_2)
	v_add_co_ci_u32_e64 v53, null, s41, v53, s21
	global_store_b64 v[52:53], v[38:39], off
	s_wait_alu 0xfffe
	s_or_b32 exec_lo, exec_lo, s22
	v_cmp_lt_u32_e64 s21, v87, v164
	s_and_saveexec_b32 s23, s21
	s_cbranch_execz .LBB813_474
.LBB813_542:                            ;   in Loop: Header=BB813_388 Depth=2
	ds_load_b64 v[38:39], v110 offset:15360
	s_wait_dscnt 0x0
	v_lshrrev_b64 v[52:53], s48, v[38:39]
	v_xor_b32_e32 v39, 0x80000000, v39
	s_delay_alu instid0(VALU_DEP_2) | instskip(NEXT) | instid1(VALU_DEP_1)
	v_and_b32_e32 v2, s55, v52
	v_lshlrev_b32_e32 v2, 2, v2
	ds_load_b32 v2, v2
	s_wait_dscnt 0x0
	v_add_nc_u32_e32 v2, v2, v87
	s_delay_alu instid0(VALU_DEP_1) | instskip(NEXT) | instid1(VALU_DEP_1)
	v_lshlrev_b64_e32 v[52:53], 3, v[2:3]
	v_add_co_u32 v52, s22, s40, v52
	s_wait_alu 0xf1ff
	s_delay_alu instid0(VALU_DEP_2)
	v_add_co_ci_u32_e64 v53, null, s41, v53, s22
	global_store_b64 v[52:53], v[38:39], off
	s_wait_alu 0xfffe
	s_or_b32 exec_lo, exec_lo, s23
	v_cmp_lt_u32_e64 s22, v88, v164
	s_and_saveexec_b32 s24, s22
	s_cbranch_execz .LBB813_475
.LBB813_543:                            ;   in Loop: Header=BB813_388 Depth=2
	ds_load_b64 v[38:39], v110 offset:17408
	s_wait_dscnt 0x0
	v_lshrrev_b64 v[52:53], s48, v[38:39]
	v_xor_b32_e32 v39, 0x80000000, v39
	s_delay_alu instid0(VALU_DEP_2) | instskip(NEXT) | instid1(VALU_DEP_1)
	v_and_b32_e32 v2, s55, v52
	v_lshlrev_b32_e32 v2, 2, v2
	ds_load_b32 v2, v2
	s_wait_dscnt 0x0
	v_add_nc_u32_e32 v2, v2, v88
	s_delay_alu instid0(VALU_DEP_1) | instskip(NEXT) | instid1(VALU_DEP_1)
	v_lshlrev_b64_e32 v[52:53], 3, v[2:3]
	v_add_co_u32 v52, s23, s40, v52
	s_wait_alu 0xf1ff
	s_delay_alu instid0(VALU_DEP_2)
	v_add_co_ci_u32_e64 v53, null, s41, v53, s23
	global_store_b64 v[52:53], v[38:39], off
	s_wait_alu 0xfffe
	s_or_b32 exec_lo, exec_lo, s24
	v_cmp_lt_u32_e64 s23, v89, v164
	s_and_saveexec_b32 s25, s23
	s_cbranch_execz .LBB813_476
.LBB813_544:                            ;   in Loop: Header=BB813_388 Depth=2
	ds_load_b64 v[38:39], v110 offset:19456
	s_wait_dscnt 0x0
	v_lshrrev_b64 v[52:53], s48, v[38:39]
	v_xor_b32_e32 v39, 0x80000000, v39
	s_delay_alu instid0(VALU_DEP_2) | instskip(NEXT) | instid1(VALU_DEP_1)
	v_and_b32_e32 v2, s55, v52
	v_lshlrev_b32_e32 v2, 2, v2
	ds_load_b32 v2, v2
	s_wait_dscnt 0x0
	v_add_nc_u32_e32 v2, v2, v89
	s_delay_alu instid0(VALU_DEP_1) | instskip(NEXT) | instid1(VALU_DEP_1)
	v_lshlrev_b64_e32 v[52:53], 3, v[2:3]
	v_add_co_u32 v52, s24, s40, v52
	s_wait_alu 0xf1ff
	s_delay_alu instid0(VALU_DEP_2)
	v_add_co_ci_u32_e64 v53, null, s41, v53, s24
	global_store_b64 v[52:53], v[38:39], off
	s_wait_alu 0xfffe
	s_or_b32 exec_lo, exec_lo, s25
	v_cmp_lt_u32_e64 s24, v90, v164
	s_and_saveexec_b32 s26, s24
	s_cbranch_execz .LBB813_477
.LBB813_545:                            ;   in Loop: Header=BB813_388 Depth=2
	ds_load_b64 v[38:39], v110 offset:21504
	s_wait_dscnt 0x0
	v_lshrrev_b64 v[52:53], s48, v[38:39]
	v_xor_b32_e32 v39, 0x80000000, v39
	s_delay_alu instid0(VALU_DEP_2) | instskip(NEXT) | instid1(VALU_DEP_1)
	v_and_b32_e32 v2, s55, v52
	v_lshlrev_b32_e32 v2, 2, v2
	ds_load_b32 v2, v2
	s_wait_dscnt 0x0
	v_add_nc_u32_e32 v2, v2, v90
	s_delay_alu instid0(VALU_DEP_1) | instskip(NEXT) | instid1(VALU_DEP_1)
	v_lshlrev_b64_e32 v[52:53], 3, v[2:3]
	v_add_co_u32 v52, s25, s40, v52
	s_wait_alu 0xf1ff
	s_delay_alu instid0(VALU_DEP_2)
	v_add_co_ci_u32_e64 v53, null, s41, v53, s25
	global_store_b64 v[52:53], v[38:39], off
	s_wait_alu 0xfffe
	s_or_b32 exec_lo, exec_lo, s26
	v_cmp_lt_u32_e64 s25, v91, v164
	s_and_saveexec_b32 s27, s25
	s_cbranch_execz .LBB813_478
.LBB813_546:                            ;   in Loop: Header=BB813_388 Depth=2
	ds_load_b64 v[38:39], v110 offset:23552
	s_wait_dscnt 0x0
	v_lshrrev_b64 v[52:53], s48, v[38:39]
	v_xor_b32_e32 v39, 0x80000000, v39
	s_delay_alu instid0(VALU_DEP_2) | instskip(NEXT) | instid1(VALU_DEP_1)
	v_and_b32_e32 v2, s55, v52
	v_lshlrev_b32_e32 v2, 2, v2
	ds_load_b32 v2, v2
	s_wait_dscnt 0x0
	v_add_nc_u32_e32 v2, v2, v91
	s_delay_alu instid0(VALU_DEP_1) | instskip(NEXT) | instid1(VALU_DEP_1)
	v_lshlrev_b64_e32 v[52:53], 3, v[2:3]
	v_add_co_u32 v52, s26, s40, v52
	s_wait_alu 0xf1ff
	s_delay_alu instid0(VALU_DEP_2)
	v_add_co_ci_u32_e64 v53, null, s41, v53, s26
	global_store_b64 v[52:53], v[38:39], off
	s_wait_alu 0xfffe
	s_or_b32 exec_lo, exec_lo, s27
	v_cmp_lt_u32_e64 s26, v92, v164
	s_and_saveexec_b32 s28, s26
	s_cbranch_execz .LBB813_479
.LBB813_547:                            ;   in Loop: Header=BB813_388 Depth=2
	ds_load_b64 v[38:39], v110 offset:25600
	s_wait_dscnt 0x0
	v_lshrrev_b64 v[52:53], s48, v[38:39]
	v_xor_b32_e32 v39, 0x80000000, v39
	s_delay_alu instid0(VALU_DEP_2) | instskip(NEXT) | instid1(VALU_DEP_1)
	v_and_b32_e32 v2, s55, v52
	v_lshlrev_b32_e32 v2, 2, v2
	ds_load_b32 v2, v2
	s_wait_dscnt 0x0
	v_add_nc_u32_e32 v2, v2, v92
	s_delay_alu instid0(VALU_DEP_1) | instskip(NEXT) | instid1(VALU_DEP_1)
	v_lshlrev_b64_e32 v[52:53], 3, v[2:3]
	v_add_co_u32 v52, s27, s40, v52
	s_wait_alu 0xf1ff
	s_delay_alu instid0(VALU_DEP_2)
	v_add_co_ci_u32_e64 v53, null, s41, v53, s27
	global_store_b64 v[52:53], v[38:39], off
	s_wait_alu 0xfffe
	s_or_b32 exec_lo, exec_lo, s28
	v_cmp_lt_u32_e64 s27, v93, v164
	s_and_saveexec_b32 s29, s27
	s_cbranch_execz .LBB813_480
.LBB813_548:                            ;   in Loop: Header=BB813_388 Depth=2
	ds_load_b64 v[38:39], v110 offset:27648
	s_wait_dscnt 0x0
	v_lshrrev_b64 v[52:53], s48, v[38:39]
	v_xor_b32_e32 v39, 0x80000000, v39
	s_delay_alu instid0(VALU_DEP_2) | instskip(NEXT) | instid1(VALU_DEP_1)
	v_and_b32_e32 v2, s55, v52
	v_lshlrev_b32_e32 v2, 2, v2
	ds_load_b32 v2, v2
	s_wait_dscnt 0x0
	v_add_nc_u32_e32 v2, v2, v93
	s_delay_alu instid0(VALU_DEP_1) | instskip(NEXT) | instid1(VALU_DEP_1)
	v_lshlrev_b64_e32 v[52:53], 3, v[2:3]
	v_add_co_u32 v52, s28, s40, v52
	s_wait_alu 0xf1ff
	s_delay_alu instid0(VALU_DEP_2)
	v_add_co_ci_u32_e64 v53, null, s41, v53, s28
	global_store_b64 v[52:53], v[38:39], off
	s_wait_alu 0xfffe
	s_or_b32 exec_lo, exec_lo, s29
	v_cmp_lt_u32_e64 s28, v94, v164
	s_and_saveexec_b32 s30, s28
	s_cbranch_execz .LBB813_481
.LBB813_549:                            ;   in Loop: Header=BB813_388 Depth=2
	ds_load_b64 v[38:39], v110 offset:29696
	s_wait_dscnt 0x0
	v_lshrrev_b64 v[52:53], s48, v[38:39]
	v_xor_b32_e32 v39, 0x80000000, v39
	s_delay_alu instid0(VALU_DEP_2) | instskip(NEXT) | instid1(VALU_DEP_1)
	v_and_b32_e32 v2, s55, v52
	v_lshlrev_b32_e32 v2, 2, v2
	ds_load_b32 v2, v2
	s_wait_dscnt 0x0
	v_add_nc_u32_e32 v2, v2, v94
	s_delay_alu instid0(VALU_DEP_1) | instskip(NEXT) | instid1(VALU_DEP_1)
	v_lshlrev_b64_e32 v[52:53], 3, v[2:3]
	v_add_co_u32 v52, s29, s40, v52
	s_wait_alu 0xf1ff
	s_delay_alu instid0(VALU_DEP_2)
	v_add_co_ci_u32_e64 v53, null, s41, v53, s29
	global_store_b64 v[52:53], v[38:39], off
	s_wait_alu 0xfffe
	s_or_b32 exec_lo, exec_lo, s30
	v_cmp_lt_u32_e64 s29, v95, v164
	s_and_saveexec_b32 s58, s29
	s_cbranch_execnz .LBB813_482
	s_branch .LBB813_483
.LBB813_550:                            ;   in Loop: Header=BB813_388 Depth=2
	global_load_b64 v[36:37], v[38:39], off
	s_wait_alu 0xfffe
	s_or_b32 exec_lo, exec_lo, s30
	s_delay_alu instid0(SALU_CYCLE_1)
	s_mov_b32 s34, exec_lo
	v_cmpx_lt_u32_e64 v130, v164
	s_cbranch_execz .LBB813_485
.LBB813_551:                            ;   in Loop: Header=BB813_388 Depth=2
	global_load_b64 v[34:35], v[38:39], off offset:256
	s_wait_alu 0xfffe
	s_or_b32 exec_lo, exec_lo, s34
	s_delay_alu instid0(SALU_CYCLE_1)
	s_mov_b32 s34, exec_lo
	v_cmpx_lt_u32_e64 v131, v164
	s_cbranch_execz .LBB813_486
.LBB813_552:                            ;   in Loop: Header=BB813_388 Depth=2
	global_load_b64 v[32:33], v[38:39], off offset:512
	s_wait_alu 0xfffe
	s_or_b32 exec_lo, exec_lo, s34
	s_delay_alu instid0(SALU_CYCLE_1)
	s_mov_b32 s34, exec_lo
	v_cmpx_lt_u32_e64 v132, v164
	s_cbranch_execz .LBB813_487
.LBB813_553:                            ;   in Loop: Header=BB813_388 Depth=2
	global_load_b64 v[30:31], v[38:39], off offset:768
	s_wait_alu 0xfffe
	s_or_b32 exec_lo, exec_lo, s34
	s_delay_alu instid0(SALU_CYCLE_1)
	s_mov_b32 s34, exec_lo
	v_cmpx_lt_u32_e64 v133, v164
	s_cbranch_execz .LBB813_488
.LBB813_554:                            ;   in Loop: Header=BB813_388 Depth=2
	global_load_b64 v[28:29], v[38:39], off offset:1024
	s_wait_alu 0xfffe
	s_or_b32 exec_lo, exec_lo, s34
	s_delay_alu instid0(SALU_CYCLE_1)
	s_mov_b32 s34, exec_lo
	v_cmpx_lt_u32_e64 v134, v164
	s_cbranch_execz .LBB813_489
.LBB813_555:                            ;   in Loop: Header=BB813_388 Depth=2
	global_load_b64 v[26:27], v[38:39], off offset:1280
	s_wait_alu 0xfffe
	s_or_b32 exec_lo, exec_lo, s34
	s_delay_alu instid0(SALU_CYCLE_1)
	s_mov_b32 s34, exec_lo
	v_cmpx_lt_u32_e64 v135, v164
	s_cbranch_execz .LBB813_490
.LBB813_556:                            ;   in Loop: Header=BB813_388 Depth=2
	global_load_b64 v[24:25], v[38:39], off offset:1536
	s_wait_alu 0xfffe
	s_or_b32 exec_lo, exec_lo, s34
	s_delay_alu instid0(SALU_CYCLE_1)
	s_mov_b32 s34, exec_lo
	v_cmpx_lt_u32_e64 v136, v164
	s_cbranch_execz .LBB813_491
.LBB813_557:                            ;   in Loop: Header=BB813_388 Depth=2
	global_load_b64 v[22:23], v[38:39], off offset:1792
	s_wait_alu 0xfffe
	s_or_b32 exec_lo, exec_lo, s34
	s_delay_alu instid0(SALU_CYCLE_1)
	s_mov_b32 s34, exec_lo
	v_cmpx_lt_u32_e64 v137, v164
	s_cbranch_execz .LBB813_492
.LBB813_558:                            ;   in Loop: Header=BB813_388 Depth=2
	global_load_b64 v[20:21], v[38:39], off offset:2048
	s_wait_alu 0xfffe
	s_or_b32 exec_lo, exec_lo, s34
	s_delay_alu instid0(SALU_CYCLE_1)
	s_mov_b32 s34, exec_lo
	v_cmpx_lt_u32_e64 v138, v164
	s_cbranch_execz .LBB813_493
.LBB813_559:                            ;   in Loop: Header=BB813_388 Depth=2
	global_load_b64 v[18:19], v[38:39], off offset:2304
	s_wait_alu 0xfffe
	s_or_b32 exec_lo, exec_lo, s34
	s_delay_alu instid0(SALU_CYCLE_1)
	s_mov_b32 s34, exec_lo
	v_cmpx_lt_u32_e64 v139, v164
	s_cbranch_execz .LBB813_494
.LBB813_560:                            ;   in Loop: Header=BB813_388 Depth=2
	global_load_b64 v[16:17], v[38:39], off offset:2560
	s_wait_alu 0xfffe
	s_or_b32 exec_lo, exec_lo, s34
	s_delay_alu instid0(SALU_CYCLE_1)
	s_mov_b32 s34, exec_lo
	v_cmpx_lt_u32_e64 v140, v164
	s_cbranch_execz .LBB813_495
.LBB813_561:                            ;   in Loop: Header=BB813_388 Depth=2
	global_load_b64 v[14:15], v[38:39], off offset:2816
	s_wait_alu 0xfffe
	s_or_b32 exec_lo, exec_lo, s34
	s_delay_alu instid0(SALU_CYCLE_1)
	s_mov_b32 s34, exec_lo
	v_cmpx_lt_u32_e64 v141, v164
	s_cbranch_execz .LBB813_496
.LBB813_562:                            ;   in Loop: Header=BB813_388 Depth=2
	global_load_b64 v[12:13], v[38:39], off offset:3072
	s_wait_alu 0xfffe
	s_or_b32 exec_lo, exec_lo, s34
	s_delay_alu instid0(SALU_CYCLE_1)
	s_mov_b32 s34, exec_lo
	v_cmpx_lt_u32_e64 v142, v164
	s_cbranch_execz .LBB813_497
.LBB813_563:                            ;   in Loop: Header=BB813_388 Depth=2
	global_load_b64 v[10:11], v[38:39], off offset:3328
	s_wait_alu 0xfffe
	s_or_b32 exec_lo, exec_lo, s34
	s_delay_alu instid0(SALU_CYCLE_1)
	s_mov_b32 s34, exec_lo
	v_cmpx_lt_u32_e64 v143, v164
	s_cbranch_execz .LBB813_498
.LBB813_564:                            ;   in Loop: Header=BB813_388 Depth=2
	global_load_b64 v[8:9], v[38:39], off offset:3584
	s_wait_alu 0xfffe
	s_or_b32 exec_lo, exec_lo, s34
	s_delay_alu instid0(SALU_CYCLE_1)
	s_mov_b32 s34, exec_lo
	v_cmpx_lt_u32_e64 v144, v164
	s_cbranch_execz .LBB813_499
.LBB813_565:                            ;   in Loop: Header=BB813_388 Depth=2
	global_load_b64 v[6:7], v[38:39], off offset:3840
	s_wait_alu 0xfffe
	s_or_b32 exec_lo, exec_lo, s34
	s_and_saveexec_b32 s30, vcc_lo
	s_cbranch_execz .LBB813_500
.LBB813_566:                            ;   in Loop: Header=BB813_388 Depth=2
	ds_load_b64 v[38:39], v110 offset:1024
	s_wait_dscnt 0x0
	v_lshrrev_b64 v[38:39], s48, v[38:39]
	s_delay_alu instid0(VALU_DEP_1)
	v_and_b32_e32 v163, s55, v38
	s_wait_alu 0xfffe
	s_or_b32 exec_lo, exec_lo, s30
	s_and_saveexec_b32 s30, s15
	s_cbranch_execz .LBB813_501
.LBB813_567:                            ;   in Loop: Header=BB813_388 Depth=2
	ds_load_b64 v[38:39], v110 offset:3072
	s_wait_dscnt 0x0
	v_lshrrev_b64 v[38:39], s48, v[38:39]
	s_delay_alu instid0(VALU_DEP_1)
	v_and_b32_e32 v162, s55, v38
	s_wait_alu 0xfffe
	s_or_b32 exec_lo, exec_lo, s30
	s_and_saveexec_b32 s30, s16
	s_cbranch_execz .LBB813_502
.LBB813_568:                            ;   in Loop: Header=BB813_388 Depth=2
	ds_load_b64 v[38:39], v110 offset:5120
	s_wait_dscnt 0x0
	v_lshrrev_b64 v[38:39], s48, v[38:39]
	s_delay_alu instid0(VALU_DEP_1)
	v_and_b32_e32 v161, s55, v38
	s_wait_alu 0xfffe
	s_or_b32 exec_lo, exec_lo, s30
	s_and_saveexec_b32 s30, s17
	s_cbranch_execz .LBB813_503
.LBB813_569:                            ;   in Loop: Header=BB813_388 Depth=2
	ds_load_b64 v[38:39], v110 offset:7168
	s_wait_dscnt 0x0
	v_lshrrev_b64 v[38:39], s48, v[38:39]
	s_delay_alu instid0(VALU_DEP_1)
	v_and_b32_e32 v160, s55, v38
	s_wait_alu 0xfffe
	s_or_b32 exec_lo, exec_lo, s30
	s_and_saveexec_b32 s30, s18
	s_cbranch_execz .LBB813_504
.LBB813_570:                            ;   in Loop: Header=BB813_388 Depth=2
	ds_load_b64 v[38:39], v110 offset:9216
	s_wait_dscnt 0x0
	v_lshrrev_b64 v[38:39], s48, v[38:39]
	s_delay_alu instid0(VALU_DEP_1)
	v_and_b32_e32 v159, s55, v38
	s_wait_alu 0xfffe
	s_or_b32 exec_lo, exec_lo, s30
	s_and_saveexec_b32 s30, s19
	s_cbranch_execz .LBB813_505
.LBB813_571:                            ;   in Loop: Header=BB813_388 Depth=2
	ds_load_b64 v[38:39], v110 offset:11264
	s_wait_dscnt 0x0
	v_lshrrev_b64 v[38:39], s48, v[38:39]
	s_delay_alu instid0(VALU_DEP_1)
	v_and_b32_e32 v158, s55, v38
	s_wait_alu 0xfffe
	s_or_b32 exec_lo, exec_lo, s30
	s_and_saveexec_b32 s30, s20
	s_cbranch_execz .LBB813_506
.LBB813_572:                            ;   in Loop: Header=BB813_388 Depth=2
	ds_load_b64 v[38:39], v110 offset:13312
	s_wait_dscnt 0x0
	v_lshrrev_b64 v[38:39], s48, v[38:39]
	s_delay_alu instid0(VALU_DEP_1)
	v_and_b32_e32 v157, s55, v38
	s_wait_alu 0xfffe
	s_or_b32 exec_lo, exec_lo, s30
	s_and_saveexec_b32 s30, s21
	s_cbranch_execz .LBB813_507
.LBB813_573:                            ;   in Loop: Header=BB813_388 Depth=2
	ds_load_b64 v[38:39], v110 offset:15360
	s_wait_dscnt 0x0
	v_lshrrev_b64 v[38:39], s48, v[38:39]
	s_delay_alu instid0(VALU_DEP_1)
	v_and_b32_e32 v156, s55, v38
	s_wait_alu 0xfffe
	s_or_b32 exec_lo, exec_lo, s30
	s_and_saveexec_b32 s30, s22
	s_cbranch_execz .LBB813_508
.LBB813_574:                            ;   in Loop: Header=BB813_388 Depth=2
	ds_load_b64 v[38:39], v110 offset:17408
	s_wait_dscnt 0x0
	v_lshrrev_b64 v[38:39], s48, v[38:39]
	s_delay_alu instid0(VALU_DEP_1)
	v_and_b32_e32 v155, s55, v38
	s_wait_alu 0xfffe
	s_or_b32 exec_lo, exec_lo, s30
	s_and_saveexec_b32 s30, s23
	s_cbranch_execz .LBB813_509
.LBB813_575:                            ;   in Loop: Header=BB813_388 Depth=2
	ds_load_b64 v[38:39], v110 offset:19456
	s_wait_dscnt 0x0
	v_lshrrev_b64 v[38:39], s48, v[38:39]
	s_delay_alu instid0(VALU_DEP_1)
	v_and_b32_e32 v154, s55, v38
	s_wait_alu 0xfffe
	s_or_b32 exec_lo, exec_lo, s30
	s_and_saveexec_b32 s30, s24
	s_cbranch_execz .LBB813_510
.LBB813_576:                            ;   in Loop: Header=BB813_388 Depth=2
	ds_load_b64 v[38:39], v110 offset:21504
	s_wait_dscnt 0x0
	v_lshrrev_b64 v[38:39], s48, v[38:39]
	s_delay_alu instid0(VALU_DEP_1)
	v_and_b32_e32 v153, s55, v38
	s_wait_alu 0xfffe
	s_or_b32 exec_lo, exec_lo, s30
	s_and_saveexec_b32 s30, s25
	s_cbranch_execz .LBB813_511
.LBB813_577:                            ;   in Loop: Header=BB813_388 Depth=2
	ds_load_b64 v[38:39], v110 offset:23552
	s_wait_dscnt 0x0
	v_lshrrev_b64 v[38:39], s48, v[38:39]
	s_delay_alu instid0(VALU_DEP_1)
	v_and_b32_e32 v152, s55, v38
	s_wait_alu 0xfffe
	s_or_b32 exec_lo, exec_lo, s30
	s_and_saveexec_b32 s30, s26
	s_cbranch_execz .LBB813_512
.LBB813_578:                            ;   in Loop: Header=BB813_388 Depth=2
	ds_load_b64 v[38:39], v110 offset:25600
	s_wait_dscnt 0x0
	v_lshrrev_b64 v[38:39], s48, v[38:39]
	s_delay_alu instid0(VALU_DEP_1)
	v_and_b32_e32 v151, s55, v38
	s_wait_alu 0xfffe
	s_or_b32 exec_lo, exec_lo, s30
	s_and_saveexec_b32 s30, s27
	s_cbranch_execz .LBB813_513
.LBB813_579:                            ;   in Loop: Header=BB813_388 Depth=2
	ds_load_b64 v[38:39], v110 offset:27648
	s_wait_dscnt 0x0
	v_lshrrev_b64 v[38:39], s48, v[38:39]
	s_delay_alu instid0(VALU_DEP_1)
	v_and_b32_e32 v150, s55, v38
	s_wait_alu 0xfffe
	s_or_b32 exec_lo, exec_lo, s30
	s_and_saveexec_b32 s30, s28
	s_cbranch_execz .LBB813_514
.LBB813_580:                            ;   in Loop: Header=BB813_388 Depth=2
	ds_load_b64 v[38:39], v110 offset:29696
	s_wait_dscnt 0x0
	v_lshrrev_b64 v[38:39], s48, v[38:39]
	s_delay_alu instid0(VALU_DEP_1)
	v_and_b32_e32 v149, s55, v38
	s_wait_alu 0xfffe
	s_or_b32 exec_lo, exec_lo, s30
	s_and_saveexec_b32 s30, s29
	s_cbranch_execnz .LBB813_515
	s_branch .LBB813_516
.LBB813_581:                            ;   in Loop: Header=BB813_388 Depth=2
	v_lshlrev_b32_e32 v2, 2, v163
	ds_load_b32 v2, v2
	ds_load_b64 v[38:39], v110 offset:1024
	s_wait_dscnt 0x1
	v_add_nc_u32_e32 v2, v2, v1
	s_delay_alu instid0(VALU_DEP_1) | instskip(NEXT) | instid1(VALU_DEP_1)
	v_lshlrev_b64_e32 v[40:41], 3, v[2:3]
	v_add_co_u32 v40, vcc_lo, s46, v40
	s_wait_alu 0xfffd
	s_delay_alu instid0(VALU_DEP_2)
	v_add_co_ci_u32_e64 v41, null, s47, v41, vcc_lo
	s_wait_dscnt 0x0
	global_store_b64 v[40:41], v[38:39], off
	s_wait_alu 0xfffe
	s_or_b32 exec_lo, exec_lo, s30
	s_and_saveexec_b32 s30, s15
	s_cbranch_execz .LBB813_518
.LBB813_582:                            ;   in Loop: Header=BB813_388 Depth=2
	v_lshlrev_b32_e32 v2, 2, v162
	ds_load_b32 v2, v2
	ds_load_b64 v[38:39], v110 offset:3072
	s_wait_dscnt 0x1
	v_add_nc_u32_e32 v2, v2, v79
	s_delay_alu instid0(VALU_DEP_1) | instskip(NEXT) | instid1(VALU_DEP_1)
	v_lshlrev_b64_e32 v[40:41], 3, v[2:3]
	v_add_co_u32 v40, vcc_lo, s46, v40
	s_wait_alu 0xfffd
	s_delay_alu instid0(VALU_DEP_2)
	v_add_co_ci_u32_e64 v41, null, s47, v41, vcc_lo
	s_wait_dscnt 0x0
	global_store_b64 v[40:41], v[38:39], off
	s_wait_alu 0xfffe
	s_or_b32 exec_lo, exec_lo, s30
	s_and_saveexec_b32 s15, s16
	s_cbranch_execz .LBB813_519
.LBB813_583:                            ;   in Loop: Header=BB813_388 Depth=2
	v_lshlrev_b32_e32 v2, 2, v161
	ds_load_b32 v2, v2
	ds_load_b64 v[38:39], v110 offset:5120
	s_wait_dscnt 0x1
	v_add_nc_u32_e32 v2, v2, v80
	s_delay_alu instid0(VALU_DEP_1) | instskip(NEXT) | instid1(VALU_DEP_1)
	v_lshlrev_b64_e32 v[40:41], 3, v[2:3]
	v_add_co_u32 v40, vcc_lo, s46, v40
	s_wait_alu 0xfffd
	s_delay_alu instid0(VALU_DEP_2)
	v_add_co_ci_u32_e64 v41, null, s47, v41, vcc_lo
	s_wait_dscnt 0x0
	global_store_b64 v[40:41], v[38:39], off
	s_wait_alu 0xfffe
	s_or_b32 exec_lo, exec_lo, s15
	s_and_saveexec_b32 s15, s17
	s_cbranch_execz .LBB813_520
.LBB813_584:                            ;   in Loop: Header=BB813_388 Depth=2
	v_lshlrev_b32_e32 v2, 2, v160
	ds_load_b32 v2, v2
	ds_load_b64 v[38:39], v110 offset:7168
	s_wait_dscnt 0x1
	v_add_nc_u32_e32 v2, v2, v81
	s_delay_alu instid0(VALU_DEP_1) | instskip(NEXT) | instid1(VALU_DEP_1)
	v_lshlrev_b64_e32 v[40:41], 3, v[2:3]
	v_add_co_u32 v40, vcc_lo, s46, v40
	s_wait_alu 0xfffd
	s_delay_alu instid0(VALU_DEP_2)
	v_add_co_ci_u32_e64 v41, null, s47, v41, vcc_lo
	s_wait_dscnt 0x0
	global_store_b64 v[40:41], v[38:39], off
	s_wait_alu 0xfffe
	s_or_b32 exec_lo, exec_lo, s15
	s_and_saveexec_b32 s15, s18
	s_cbranch_execz .LBB813_521
.LBB813_585:                            ;   in Loop: Header=BB813_388 Depth=2
	v_lshlrev_b32_e32 v2, 2, v159
	ds_load_b32 v2, v2
	ds_load_b64 v[38:39], v110 offset:9216
	s_wait_dscnt 0x1
	v_add_nc_u32_e32 v2, v2, v84
	s_delay_alu instid0(VALU_DEP_1) | instskip(NEXT) | instid1(VALU_DEP_1)
	v_lshlrev_b64_e32 v[40:41], 3, v[2:3]
	v_add_co_u32 v40, vcc_lo, s46, v40
	s_wait_alu 0xfffd
	s_delay_alu instid0(VALU_DEP_2)
	v_add_co_ci_u32_e64 v41, null, s47, v41, vcc_lo
	s_wait_dscnt 0x0
	global_store_b64 v[40:41], v[38:39], off
	s_wait_alu 0xfffe
	s_or_b32 exec_lo, exec_lo, s15
	s_and_saveexec_b32 s15, s19
	s_cbranch_execz .LBB813_522
.LBB813_586:                            ;   in Loop: Header=BB813_388 Depth=2
	v_lshlrev_b32_e32 v2, 2, v158
	ds_load_b32 v2, v2
	ds_load_b64 v[38:39], v110 offset:11264
	s_wait_dscnt 0x1
	v_add_nc_u32_e32 v2, v2, v85
	s_delay_alu instid0(VALU_DEP_1) | instskip(NEXT) | instid1(VALU_DEP_1)
	v_lshlrev_b64_e32 v[40:41], 3, v[2:3]
	v_add_co_u32 v40, vcc_lo, s46, v40
	s_wait_alu 0xfffd
	s_delay_alu instid0(VALU_DEP_2)
	v_add_co_ci_u32_e64 v41, null, s47, v41, vcc_lo
	s_wait_dscnt 0x0
	global_store_b64 v[40:41], v[38:39], off
	s_wait_alu 0xfffe
	s_or_b32 exec_lo, exec_lo, s15
	s_and_saveexec_b32 s15, s20
	s_cbranch_execz .LBB813_523
.LBB813_587:                            ;   in Loop: Header=BB813_388 Depth=2
	v_lshlrev_b32_e32 v2, 2, v157
	ds_load_b32 v2, v2
	ds_load_b64 v[38:39], v110 offset:13312
	s_wait_dscnt 0x1
	v_add_nc_u32_e32 v2, v2, v86
	s_delay_alu instid0(VALU_DEP_1) | instskip(NEXT) | instid1(VALU_DEP_1)
	v_lshlrev_b64_e32 v[40:41], 3, v[2:3]
	v_add_co_u32 v40, vcc_lo, s46, v40
	s_wait_alu 0xfffd
	s_delay_alu instid0(VALU_DEP_2)
	v_add_co_ci_u32_e64 v41, null, s47, v41, vcc_lo
	s_wait_dscnt 0x0
	global_store_b64 v[40:41], v[38:39], off
	s_wait_alu 0xfffe
	s_or_b32 exec_lo, exec_lo, s15
	s_and_saveexec_b32 s15, s21
	s_cbranch_execz .LBB813_524
.LBB813_588:                            ;   in Loop: Header=BB813_388 Depth=2
	v_lshlrev_b32_e32 v2, 2, v156
	ds_load_b32 v2, v2
	ds_load_b64 v[38:39], v110 offset:15360
	s_wait_dscnt 0x1
	v_add_nc_u32_e32 v2, v2, v87
	s_delay_alu instid0(VALU_DEP_1) | instskip(NEXT) | instid1(VALU_DEP_1)
	v_lshlrev_b64_e32 v[40:41], 3, v[2:3]
	v_add_co_u32 v40, vcc_lo, s46, v40
	s_wait_alu 0xfffd
	s_delay_alu instid0(VALU_DEP_2)
	v_add_co_ci_u32_e64 v41, null, s47, v41, vcc_lo
	s_wait_dscnt 0x0
	global_store_b64 v[40:41], v[38:39], off
	s_wait_alu 0xfffe
	s_or_b32 exec_lo, exec_lo, s15
	s_and_saveexec_b32 s15, s22
	s_cbranch_execz .LBB813_525
.LBB813_589:                            ;   in Loop: Header=BB813_388 Depth=2
	v_lshlrev_b32_e32 v2, 2, v155
	ds_load_b32 v2, v2
	ds_load_b64 v[38:39], v110 offset:17408
	s_wait_dscnt 0x1
	v_add_nc_u32_e32 v2, v2, v88
	s_delay_alu instid0(VALU_DEP_1) | instskip(NEXT) | instid1(VALU_DEP_1)
	v_lshlrev_b64_e32 v[40:41], 3, v[2:3]
	v_add_co_u32 v40, vcc_lo, s46, v40
	s_wait_alu 0xfffd
	s_delay_alu instid0(VALU_DEP_2)
	v_add_co_ci_u32_e64 v41, null, s47, v41, vcc_lo
	s_wait_dscnt 0x0
	global_store_b64 v[40:41], v[38:39], off
	s_wait_alu 0xfffe
	s_or_b32 exec_lo, exec_lo, s15
	s_and_saveexec_b32 s15, s23
	s_cbranch_execz .LBB813_526
.LBB813_590:                            ;   in Loop: Header=BB813_388 Depth=2
	v_lshlrev_b32_e32 v2, 2, v154
	ds_load_b32 v2, v2
	ds_load_b64 v[38:39], v110 offset:19456
	s_wait_dscnt 0x1
	v_add_nc_u32_e32 v2, v2, v89
	s_delay_alu instid0(VALU_DEP_1) | instskip(NEXT) | instid1(VALU_DEP_1)
	v_lshlrev_b64_e32 v[40:41], 3, v[2:3]
	v_add_co_u32 v40, vcc_lo, s46, v40
	s_wait_alu 0xfffd
	s_delay_alu instid0(VALU_DEP_2)
	v_add_co_ci_u32_e64 v41, null, s47, v41, vcc_lo
	s_wait_dscnt 0x0
	global_store_b64 v[40:41], v[38:39], off
	s_wait_alu 0xfffe
	s_or_b32 exec_lo, exec_lo, s15
	s_and_saveexec_b32 s15, s24
	s_cbranch_execz .LBB813_527
.LBB813_591:                            ;   in Loop: Header=BB813_388 Depth=2
	v_lshlrev_b32_e32 v2, 2, v153
	ds_load_b32 v2, v2
	ds_load_b64 v[38:39], v110 offset:21504
	s_wait_dscnt 0x1
	v_add_nc_u32_e32 v2, v2, v90
	s_delay_alu instid0(VALU_DEP_1) | instskip(NEXT) | instid1(VALU_DEP_1)
	v_lshlrev_b64_e32 v[40:41], 3, v[2:3]
	v_add_co_u32 v40, vcc_lo, s46, v40
	s_wait_alu 0xfffd
	s_delay_alu instid0(VALU_DEP_2)
	v_add_co_ci_u32_e64 v41, null, s47, v41, vcc_lo
	s_wait_dscnt 0x0
	global_store_b64 v[40:41], v[38:39], off
	s_wait_alu 0xfffe
	s_or_b32 exec_lo, exec_lo, s15
	s_and_saveexec_b32 s15, s25
	s_cbranch_execz .LBB813_528
.LBB813_592:                            ;   in Loop: Header=BB813_388 Depth=2
	v_lshlrev_b32_e32 v2, 2, v152
	ds_load_b32 v2, v2
	ds_load_b64 v[38:39], v110 offset:23552
	s_wait_dscnt 0x1
	v_add_nc_u32_e32 v2, v2, v91
	s_delay_alu instid0(VALU_DEP_1) | instskip(NEXT) | instid1(VALU_DEP_1)
	v_lshlrev_b64_e32 v[40:41], 3, v[2:3]
	v_add_co_u32 v40, vcc_lo, s46, v40
	s_wait_alu 0xfffd
	s_delay_alu instid0(VALU_DEP_2)
	v_add_co_ci_u32_e64 v41, null, s47, v41, vcc_lo
	s_wait_dscnt 0x0
	global_store_b64 v[40:41], v[38:39], off
	s_wait_alu 0xfffe
	s_or_b32 exec_lo, exec_lo, s15
	s_and_saveexec_b32 s15, s26
	s_cbranch_execz .LBB813_529
.LBB813_593:                            ;   in Loop: Header=BB813_388 Depth=2
	v_lshlrev_b32_e32 v2, 2, v151
	ds_load_b32 v2, v2
	ds_load_b64 v[38:39], v110 offset:25600
	s_wait_dscnt 0x1
	v_add_nc_u32_e32 v2, v2, v92
	s_delay_alu instid0(VALU_DEP_1) | instskip(NEXT) | instid1(VALU_DEP_1)
	v_lshlrev_b64_e32 v[40:41], 3, v[2:3]
	v_add_co_u32 v40, vcc_lo, s46, v40
	s_wait_alu 0xfffd
	s_delay_alu instid0(VALU_DEP_2)
	v_add_co_ci_u32_e64 v41, null, s47, v41, vcc_lo
	s_wait_dscnt 0x0
	global_store_b64 v[40:41], v[38:39], off
	s_wait_alu 0xfffe
	s_or_b32 exec_lo, exec_lo, s15
	s_and_saveexec_b32 s15, s27
	s_cbranch_execz .LBB813_530
.LBB813_594:                            ;   in Loop: Header=BB813_388 Depth=2
	v_lshlrev_b32_e32 v2, 2, v150
	ds_load_b32 v2, v2
	ds_load_b64 v[38:39], v110 offset:27648
	s_wait_dscnt 0x1
	v_add_nc_u32_e32 v2, v2, v93
	s_delay_alu instid0(VALU_DEP_1) | instskip(NEXT) | instid1(VALU_DEP_1)
	v_lshlrev_b64_e32 v[40:41], 3, v[2:3]
	v_add_co_u32 v40, vcc_lo, s46, v40
	s_wait_alu 0xfffd
	s_delay_alu instid0(VALU_DEP_2)
	v_add_co_ci_u32_e64 v41, null, s47, v41, vcc_lo
	s_wait_dscnt 0x0
	global_store_b64 v[40:41], v[38:39], off
	s_wait_alu 0xfffe
	s_or_b32 exec_lo, exec_lo, s15
	s_and_saveexec_b32 s15, s28
	s_cbranch_execz .LBB813_531
.LBB813_595:                            ;   in Loop: Header=BB813_388 Depth=2
	v_lshlrev_b32_e32 v2, 2, v149
	ds_load_b32 v2, v2
	ds_load_b64 v[38:39], v110 offset:29696
	s_wait_dscnt 0x1
	v_add_nc_u32_e32 v2, v2, v94
	s_delay_alu instid0(VALU_DEP_1) | instskip(NEXT) | instid1(VALU_DEP_1)
	v_lshlrev_b64_e32 v[40:41], 3, v[2:3]
	v_add_co_u32 v40, vcc_lo, s46, v40
	s_wait_alu 0xfffd
	s_delay_alu instid0(VALU_DEP_2)
	v_add_co_ci_u32_e64 v41, null, s47, v41, vcc_lo
	s_wait_dscnt 0x0
	global_store_b64 v[40:41], v[38:39], off
	s_wait_alu 0xfffe
	s_or_b32 exec_lo, exec_lo, s15
	s_and_saveexec_b32 s15, s29
	s_cbranch_execnz .LBB813_532
	s_branch .LBB813_533
.LBB813_596:                            ;   in Loop: Header=BB813_12 Depth=1
	s_wait_loadcnt_dscnt 0x0
	s_barrier_signal -1
	s_barrier_wait -1
.LBB813_597:                            ;   in Loop: Header=BB813_12 Depth=1
	s_mov_b32 s0, 0
.LBB813_598:                            ;   in Loop: Header=BB813_12 Depth=1
	s_wait_alu 0xfffe
	s_and_not1_b32 vcc_lo, exec_lo, s0
	s_wait_alu 0xfffe
	s_cbranch_vccnz .LBB813_11
; %bb.599:                              ;   in Loop: Header=BB813_12 Depth=1
	s_lshl_b32 s0, -1, s54
	s_and_b32 vcc_lo, exec_lo, s52
	s_wait_alu 0xfffe
	s_not_b32 s54, s0
	s_mov_b32 s0, -1
	s_cbranch_vccz .LBB813_891
; %bb.600:                              ;   in Loop: Header=BB813_12 Depth=1
	s_mov_b32 s8, s53
	s_mov_b32 s34, s33
	s_barrier_signal -1
	s_barrier_wait -1
	global_inv scope:SCOPE_SE
                                        ; implicit-def: $vgpr6_vgpr7
                                        ; implicit-def: $vgpr8_vgpr9
                                        ; implicit-def: $vgpr10_vgpr11
                                        ; implicit-def: $vgpr12_vgpr13
                                        ; implicit-def: $vgpr14_vgpr15
                                        ; implicit-def: $vgpr16_vgpr17
                                        ; implicit-def: $vgpr18_vgpr19
                                        ; implicit-def: $vgpr20_vgpr21
                                        ; implicit-def: $vgpr22_vgpr23
                                        ; implicit-def: $vgpr24_vgpr25
                                        ; implicit-def: $vgpr26_vgpr27
                                        ; implicit-def: $vgpr28_vgpr29
                                        ; implicit-def: $vgpr30_vgpr31
                                        ; implicit-def: $vgpr32_vgpr33
                                        ; implicit-def: $vgpr34_vgpr35
                                        ; implicit-def: $vgpr36_vgpr37
	s_branch .LBB813_602
.LBB813_601:                            ;   in Loop: Header=BB813_602 Depth=2
	s_wait_alu 0xfffe
	s_or_b32 exec_lo, exec_lo, s0
	s_addk_co_i32 s8, 0xf000
	s_cmp_ge_u32 s9, s51
	s_mov_b32 s34, s9
	s_cbranch_scc1 .LBB813_670
.LBB813_602:                            ;   Parent Loop BB813_12 Depth=1
                                        ; =>  This Inner Loop Header: Depth=2
	s_wait_alu 0xfffe
	s_add_co_i32 s9, s34, 0x1000
	s_mov_b32 s0, -1
	s_wait_alu 0xfffe
	s_cmp_gt_u32 s9, s51
                                        ; implicit-def: $vgpr38_vgpr39
                                        ; implicit-def: $vgpr40_vgpr41
                                        ; implicit-def: $vgpr42_vgpr43
                                        ; implicit-def: $vgpr44_vgpr45
                                        ; implicit-def: $vgpr46_vgpr47
                                        ; implicit-def: $vgpr48_vgpr49
                                        ; implicit-def: $vgpr50_vgpr51
                                        ; implicit-def: $vgpr52_vgpr53
                                        ; implicit-def: $vgpr54_vgpr55
                                        ; implicit-def: $vgpr56_vgpr57
                                        ; implicit-def: $vgpr58_vgpr59
                                        ; implicit-def: $vgpr60_vgpr61
                                        ; implicit-def: $vgpr62_vgpr63
                                        ; implicit-def: $vgpr64_vgpr65
                                        ; implicit-def: $vgpr66_vgpr67
                                        ; implicit-def: $vgpr68_vgpr69
	s_cbranch_scc1 .LBB813_604
; %bb.603:                              ;   in Loop: Header=BB813_602 Depth=2
	s_lshl_b64 s[0:1], s[34:35], 3
	s_wait_alu 0xfffe
	v_add_co_u32 v68, vcc_lo, v117, s0
	s_wait_alu 0xfffd
	v_add_co_ci_u32_e64 v69, null, s1, v118, vcc_lo
	s_mov_b32 s0, 0
	s_clause 0xf
	global_load_b64 v[38:39], v[68:69], off
	global_load_b64 v[40:41], v[68:69], off offset:2048
	global_load_b64 v[42:43], v[68:69], off offset:4096
	;; [unrolled: 1-line block ×15, first 2 shown]
.LBB813_604:                            ;   in Loop: Header=BB813_602 Depth=2
	s_wait_alu 0xfffe
	s_and_not1_b32 vcc_lo, exec_lo, s0
	s_movk_i32 s0, 0x1000
	s_wait_alu 0xfffe
	s_cbranch_vccnz .LBB813_623
; %bb.605:                              ;   in Loop: Header=BB813_602 Depth=2
	s_lshl_b64 s[0:1], s[34:35], 3
	s_mov_b32 s10, exec_lo
	s_wait_alu 0xfffe
	s_add_nc_u64 s[0:1], s[36:37], s[0:1]
	v_cmpx_gt_u32_e64 s8, v1
	s_cbranch_execnz .LBB813_655
; %bb.606:                              ;   in Loop: Header=BB813_602 Depth=2
	s_or_b32 exec_lo, exec_lo, s10
	s_delay_alu instid0(SALU_CYCLE_1)
	s_mov_b32 s10, exec_lo
	v_cmpx_gt_u32_e64 s8, v79
	s_cbranch_execnz .LBB813_656
.LBB813_607:                            ;   in Loop: Header=BB813_602 Depth=2
	s_wait_alu 0xfffe
	s_or_b32 exec_lo, exec_lo, s10
	s_delay_alu instid0(SALU_CYCLE_1)
	s_mov_b32 s10, exec_lo
	v_cmpx_gt_u32_e64 s8, v80
	s_cbranch_execnz .LBB813_657
.LBB813_608:                            ;   in Loop: Header=BB813_602 Depth=2
	s_wait_alu 0xfffe
	s_or_b32 exec_lo, exec_lo, s10
	s_delay_alu instid0(SALU_CYCLE_1)
	s_mov_b32 s10, exec_lo
	v_cmpx_gt_u32_e64 s8, v81
	s_cbranch_execnz .LBB813_658
.LBB813_609:                            ;   in Loop: Header=BB813_602 Depth=2
	s_wait_alu 0xfffe
	s_or_b32 exec_lo, exec_lo, s10
	s_delay_alu instid0(SALU_CYCLE_1)
	s_mov_b32 s10, exec_lo
	v_cmpx_gt_u32_e64 s8, v84
	s_cbranch_execnz .LBB813_659
.LBB813_610:                            ;   in Loop: Header=BB813_602 Depth=2
	s_wait_alu 0xfffe
	s_or_b32 exec_lo, exec_lo, s10
	s_delay_alu instid0(SALU_CYCLE_1)
	s_mov_b32 s10, exec_lo
	v_cmpx_gt_u32_e64 s8, v85
	s_cbranch_execnz .LBB813_660
.LBB813_611:                            ;   in Loop: Header=BB813_602 Depth=2
	s_wait_alu 0xfffe
	s_or_b32 exec_lo, exec_lo, s10
	s_delay_alu instid0(SALU_CYCLE_1)
	s_mov_b32 s10, exec_lo
	v_cmpx_gt_u32_e64 s8, v86
	s_cbranch_execnz .LBB813_661
.LBB813_612:                            ;   in Loop: Header=BB813_602 Depth=2
	s_wait_alu 0xfffe
	s_or_b32 exec_lo, exec_lo, s10
	s_delay_alu instid0(SALU_CYCLE_1)
	s_mov_b32 s10, exec_lo
	v_cmpx_gt_u32_e64 s8, v87
	s_cbranch_execnz .LBB813_662
.LBB813_613:                            ;   in Loop: Header=BB813_602 Depth=2
	s_wait_alu 0xfffe
	s_or_b32 exec_lo, exec_lo, s10
	s_delay_alu instid0(SALU_CYCLE_1)
	s_mov_b32 s10, exec_lo
	v_cmpx_gt_u32_e64 s8, v88
	s_cbranch_execnz .LBB813_663
.LBB813_614:                            ;   in Loop: Header=BB813_602 Depth=2
	s_wait_alu 0xfffe
	s_or_b32 exec_lo, exec_lo, s10
	s_delay_alu instid0(SALU_CYCLE_1)
	s_mov_b32 s10, exec_lo
	v_cmpx_gt_u32_e64 s8, v89
	s_cbranch_execnz .LBB813_664
.LBB813_615:                            ;   in Loop: Header=BB813_602 Depth=2
	s_wait_alu 0xfffe
	s_or_b32 exec_lo, exec_lo, s10
	s_delay_alu instid0(SALU_CYCLE_1)
	s_mov_b32 s10, exec_lo
	v_cmpx_gt_u32_e64 s8, v90
	s_cbranch_execnz .LBB813_665
.LBB813_616:                            ;   in Loop: Header=BB813_602 Depth=2
	s_wait_alu 0xfffe
	s_or_b32 exec_lo, exec_lo, s10
	s_delay_alu instid0(SALU_CYCLE_1)
	s_mov_b32 s10, exec_lo
	v_cmpx_gt_u32_e64 s8, v91
	s_cbranch_execnz .LBB813_666
.LBB813_617:                            ;   in Loop: Header=BB813_602 Depth=2
	s_wait_alu 0xfffe
	s_or_b32 exec_lo, exec_lo, s10
	s_delay_alu instid0(SALU_CYCLE_1)
	s_mov_b32 s10, exec_lo
	v_cmpx_gt_u32_e64 s8, v92
	s_cbranch_execnz .LBB813_667
.LBB813_618:                            ;   in Loop: Header=BB813_602 Depth=2
	s_wait_alu 0xfffe
	s_or_b32 exec_lo, exec_lo, s10
	s_delay_alu instid0(SALU_CYCLE_1)
	s_mov_b32 s10, exec_lo
	v_cmpx_gt_u32_e64 s8, v93
	s_cbranch_execnz .LBB813_668
.LBB813_619:                            ;   in Loop: Header=BB813_602 Depth=2
	s_wait_alu 0xfffe
	s_or_b32 exec_lo, exec_lo, s10
	s_delay_alu instid0(SALU_CYCLE_1)
	s_mov_b32 s10, exec_lo
	v_cmpx_gt_u32_e64 s8, v94
	s_cbranch_execnz .LBB813_669
.LBB813_620:                            ;   in Loop: Header=BB813_602 Depth=2
	s_wait_alu 0xfffe
	s_or_b32 exec_lo, exec_lo, s10
	s_delay_alu instid0(SALU_CYCLE_1)
	s_mov_b32 s10, exec_lo
	v_cmpx_gt_u32_e64 s8, v95
	s_cbranch_execz .LBB813_622
.LBB813_621:                            ;   in Loop: Header=BB813_602 Depth=2
	global_load_b64 v[6:7], v124, s[0:1] offset:30720
.LBB813_622:                            ;   in Loop: Header=BB813_602 Depth=2
	s_wait_alu 0xfffe
	s_or_b32 exec_lo, exec_lo, s10
	s_wait_loadcnt 0x0
	v_dual_mov_b32 v39, v37 :: v_dual_mov_b32 v38, v36
	v_dual_mov_b32 v41, v35 :: v_dual_mov_b32 v40, v34
	;; [unrolled: 1-line block ×16, first 2 shown]
	s_mov_b32 s0, s8
.LBB813_623:                            ;   in Loop: Header=BB813_602 Depth=2
	s_wait_loadcnt 0x0
	s_delay_alu instid0(VALU_DEP_1)
	v_dual_mov_b32 v6, v68 :: v_dual_mov_b32 v7, v69
	v_dual_mov_b32 v8, v66 :: v_dual_mov_b32 v9, v67
	v_dual_mov_b32 v10, v64 :: v_dual_mov_b32 v11, v65
	v_dual_mov_b32 v12, v62 :: v_dual_mov_b32 v13, v63
	v_dual_mov_b32 v14, v60 :: v_dual_mov_b32 v15, v61
	v_dual_mov_b32 v16, v58 :: v_dual_mov_b32 v17, v59
	v_dual_mov_b32 v18, v56 :: v_dual_mov_b32 v19, v57
	v_dual_mov_b32 v20, v54 :: v_dual_mov_b32 v21, v55
	v_dual_mov_b32 v22, v52 :: v_dual_mov_b32 v23, v53
	v_dual_mov_b32 v24, v50 :: v_dual_mov_b32 v25, v51
	v_dual_mov_b32 v26, v48 :: v_dual_mov_b32 v27, v49
	v_dual_mov_b32 v28, v46 :: v_dual_mov_b32 v29, v47
	v_dual_mov_b32 v30, v44 :: v_dual_mov_b32 v31, v45
	v_dual_mov_b32 v32, v42 :: v_dual_mov_b32 v33, v43
	v_dual_mov_b32 v34, v40 :: v_dual_mov_b32 v35, v41
	v_dual_mov_b32 v36, v38 :: v_dual_mov_b32 v37, v39
	s_mov_b32 s1, exec_lo
	s_wait_alu 0xfffe
	v_cmpx_gt_u32_e64 s0, v1
	s_cbranch_execnz .LBB813_639
; %bb.624:                              ;   in Loop: Header=BB813_602 Depth=2
	s_or_b32 exec_lo, exec_lo, s1
	s_delay_alu instid0(SALU_CYCLE_1)
	s_mov_b32 s1, exec_lo
	v_cmpx_gt_u32_e64 s0, v79
	s_cbranch_execnz .LBB813_640
.LBB813_625:                            ;   in Loop: Header=BB813_602 Depth=2
	s_wait_alu 0xfffe
	s_or_b32 exec_lo, exec_lo, s1
	s_delay_alu instid0(SALU_CYCLE_1)
	s_mov_b32 s1, exec_lo
	v_cmpx_gt_u32_e64 s0, v80
	s_cbranch_execnz .LBB813_641
.LBB813_626:                            ;   in Loop: Header=BB813_602 Depth=2
	s_wait_alu 0xfffe
	s_or_b32 exec_lo, exec_lo, s1
	s_delay_alu instid0(SALU_CYCLE_1)
	s_mov_b32 s1, exec_lo
	v_cmpx_gt_u32_e64 s0, v81
	s_cbranch_execnz .LBB813_642
.LBB813_627:                            ;   in Loop: Header=BB813_602 Depth=2
	s_wait_alu 0xfffe
	s_or_b32 exec_lo, exec_lo, s1
	s_delay_alu instid0(SALU_CYCLE_1)
	s_mov_b32 s1, exec_lo
	v_cmpx_gt_u32_e64 s0, v84
	s_cbranch_execnz .LBB813_643
.LBB813_628:                            ;   in Loop: Header=BB813_602 Depth=2
	s_wait_alu 0xfffe
	s_or_b32 exec_lo, exec_lo, s1
	s_delay_alu instid0(SALU_CYCLE_1)
	s_mov_b32 s1, exec_lo
	v_cmpx_gt_u32_e64 s0, v85
	s_cbranch_execnz .LBB813_644
.LBB813_629:                            ;   in Loop: Header=BB813_602 Depth=2
	s_wait_alu 0xfffe
	s_or_b32 exec_lo, exec_lo, s1
	s_delay_alu instid0(SALU_CYCLE_1)
	s_mov_b32 s1, exec_lo
	v_cmpx_gt_u32_e64 s0, v86
	s_cbranch_execnz .LBB813_645
.LBB813_630:                            ;   in Loop: Header=BB813_602 Depth=2
	s_wait_alu 0xfffe
	s_or_b32 exec_lo, exec_lo, s1
	s_delay_alu instid0(SALU_CYCLE_1)
	s_mov_b32 s1, exec_lo
	v_cmpx_gt_u32_e64 s0, v87
	s_cbranch_execnz .LBB813_646
.LBB813_631:                            ;   in Loop: Header=BB813_602 Depth=2
	s_wait_alu 0xfffe
	s_or_b32 exec_lo, exec_lo, s1
	s_delay_alu instid0(SALU_CYCLE_1)
	s_mov_b32 s1, exec_lo
	v_cmpx_gt_u32_e64 s0, v88
	s_cbranch_execnz .LBB813_647
.LBB813_632:                            ;   in Loop: Header=BB813_602 Depth=2
	s_wait_alu 0xfffe
	s_or_b32 exec_lo, exec_lo, s1
	s_delay_alu instid0(SALU_CYCLE_1)
	s_mov_b32 s1, exec_lo
	v_cmpx_gt_u32_e64 s0, v89
	s_cbranch_execnz .LBB813_648
.LBB813_633:                            ;   in Loop: Header=BB813_602 Depth=2
	s_wait_alu 0xfffe
	s_or_b32 exec_lo, exec_lo, s1
	s_delay_alu instid0(SALU_CYCLE_1)
	s_mov_b32 s1, exec_lo
	v_cmpx_gt_u32_e64 s0, v90
	s_cbranch_execnz .LBB813_649
.LBB813_634:                            ;   in Loop: Header=BB813_602 Depth=2
	s_wait_alu 0xfffe
	s_or_b32 exec_lo, exec_lo, s1
	s_delay_alu instid0(SALU_CYCLE_1)
	s_mov_b32 s1, exec_lo
	v_cmpx_gt_u32_e64 s0, v91
	s_cbranch_execnz .LBB813_650
.LBB813_635:                            ;   in Loop: Header=BB813_602 Depth=2
	s_wait_alu 0xfffe
	s_or_b32 exec_lo, exec_lo, s1
	s_delay_alu instid0(SALU_CYCLE_1)
	s_mov_b32 s1, exec_lo
	v_cmpx_gt_u32_e64 s0, v92
	s_cbranch_execnz .LBB813_651
.LBB813_636:                            ;   in Loop: Header=BB813_602 Depth=2
	s_wait_alu 0xfffe
	s_or_b32 exec_lo, exec_lo, s1
	s_delay_alu instid0(SALU_CYCLE_1)
	s_mov_b32 s1, exec_lo
	v_cmpx_gt_u32_e64 s0, v93
	s_cbranch_execnz .LBB813_652
.LBB813_637:                            ;   in Loop: Header=BB813_602 Depth=2
	s_wait_alu 0xfffe
	s_or_b32 exec_lo, exec_lo, s1
	s_delay_alu instid0(SALU_CYCLE_1)
	s_mov_b32 s1, exec_lo
	v_cmpx_gt_u32_e64 s0, v94
	s_cbranch_execnz .LBB813_653
.LBB813_638:                            ;   in Loop: Header=BB813_602 Depth=2
	s_wait_alu 0xfffe
	s_or_b32 exec_lo, exec_lo, s1
	v_cmp_gt_u32_e32 vcc_lo, s0, v95
	s_and_saveexec_b32 s0, vcc_lo
	s_cbranch_execz .LBB813_601
	s_branch .LBB813_654
.LBB813_639:                            ;   in Loop: Header=BB813_602 Depth=2
	v_xor_b32_e32 v39, 0x80000000, v37
	v_mov_b32_e32 v38, v36
	s_delay_alu instid0(VALU_DEP_1) | instskip(NEXT) | instid1(VALU_DEP_1)
	v_lshrrev_b64 v[38:39], s31, v[38:39]
	v_and_b32_e32 v2, s54, v38
	s_delay_alu instid0(VALU_DEP_1) | instskip(SKIP_2) | instid1(SALU_CYCLE_1)
	v_lshl_or_b32 v2, v2, 4, v96
	ds_add_u32 v2, v123
	s_or_b32 exec_lo, exec_lo, s1
	s_mov_b32 s1, exec_lo
	v_cmpx_gt_u32_e64 s0, v79
	s_cbranch_execz .LBB813_625
.LBB813_640:                            ;   in Loop: Header=BB813_602 Depth=2
	v_xor_b32_e32 v39, 0x80000000, v35
	v_mov_b32_e32 v38, v34
	s_delay_alu instid0(VALU_DEP_1) | instskip(NEXT) | instid1(VALU_DEP_1)
	v_lshrrev_b64 v[38:39], s31, v[38:39]
	v_and_b32_e32 v2, s54, v38
	s_delay_alu instid0(VALU_DEP_1) | instskip(SKIP_3) | instid1(SALU_CYCLE_1)
	v_lshl_or_b32 v2, v2, 4, v96
	ds_add_u32 v2, v123
	s_wait_alu 0xfffe
	s_or_b32 exec_lo, exec_lo, s1
	s_mov_b32 s1, exec_lo
	v_cmpx_gt_u32_e64 s0, v80
	s_cbranch_execz .LBB813_626
.LBB813_641:                            ;   in Loop: Header=BB813_602 Depth=2
	v_xor_b32_e32 v39, 0x80000000, v33
	v_mov_b32_e32 v38, v32
	s_delay_alu instid0(VALU_DEP_1) | instskip(NEXT) | instid1(VALU_DEP_1)
	v_lshrrev_b64 v[38:39], s31, v[38:39]
	v_and_b32_e32 v2, s54, v38
	s_delay_alu instid0(VALU_DEP_1) | instskip(SKIP_3) | instid1(SALU_CYCLE_1)
	v_lshl_or_b32 v2, v2, 4, v96
	ds_add_u32 v2, v123
	s_wait_alu 0xfffe
	s_or_b32 exec_lo, exec_lo, s1
	s_mov_b32 s1, exec_lo
	v_cmpx_gt_u32_e64 s0, v81
	s_cbranch_execz .LBB813_627
.LBB813_642:                            ;   in Loop: Header=BB813_602 Depth=2
	v_xor_b32_e32 v39, 0x80000000, v31
	v_mov_b32_e32 v38, v30
	s_delay_alu instid0(VALU_DEP_1) | instskip(NEXT) | instid1(VALU_DEP_1)
	v_lshrrev_b64 v[38:39], s31, v[38:39]
	v_and_b32_e32 v2, s54, v38
	s_delay_alu instid0(VALU_DEP_1) | instskip(SKIP_3) | instid1(SALU_CYCLE_1)
	v_lshl_or_b32 v2, v2, 4, v96
	ds_add_u32 v2, v123
	s_wait_alu 0xfffe
	s_or_b32 exec_lo, exec_lo, s1
	s_mov_b32 s1, exec_lo
	v_cmpx_gt_u32_e64 s0, v84
	s_cbranch_execz .LBB813_628
.LBB813_643:                            ;   in Loop: Header=BB813_602 Depth=2
	v_xor_b32_e32 v39, 0x80000000, v29
	v_mov_b32_e32 v38, v28
	s_delay_alu instid0(VALU_DEP_1) | instskip(NEXT) | instid1(VALU_DEP_1)
	v_lshrrev_b64 v[38:39], s31, v[38:39]
	v_and_b32_e32 v2, s54, v38
	s_delay_alu instid0(VALU_DEP_1) | instskip(SKIP_3) | instid1(SALU_CYCLE_1)
	v_lshl_or_b32 v2, v2, 4, v96
	ds_add_u32 v2, v123
	s_wait_alu 0xfffe
	s_or_b32 exec_lo, exec_lo, s1
	s_mov_b32 s1, exec_lo
	v_cmpx_gt_u32_e64 s0, v85
	s_cbranch_execz .LBB813_629
.LBB813_644:                            ;   in Loop: Header=BB813_602 Depth=2
	v_xor_b32_e32 v39, 0x80000000, v27
	v_mov_b32_e32 v38, v26
	s_delay_alu instid0(VALU_DEP_1) | instskip(NEXT) | instid1(VALU_DEP_1)
	v_lshrrev_b64 v[38:39], s31, v[38:39]
	v_and_b32_e32 v2, s54, v38
	s_delay_alu instid0(VALU_DEP_1) | instskip(SKIP_3) | instid1(SALU_CYCLE_1)
	v_lshl_or_b32 v2, v2, 4, v96
	ds_add_u32 v2, v123
	s_wait_alu 0xfffe
	s_or_b32 exec_lo, exec_lo, s1
	s_mov_b32 s1, exec_lo
	v_cmpx_gt_u32_e64 s0, v86
	s_cbranch_execz .LBB813_630
.LBB813_645:                            ;   in Loop: Header=BB813_602 Depth=2
	v_xor_b32_e32 v39, 0x80000000, v25
	v_mov_b32_e32 v38, v24
	s_delay_alu instid0(VALU_DEP_1) | instskip(NEXT) | instid1(VALU_DEP_1)
	v_lshrrev_b64 v[38:39], s31, v[38:39]
	v_and_b32_e32 v2, s54, v38
	s_delay_alu instid0(VALU_DEP_1) | instskip(SKIP_3) | instid1(SALU_CYCLE_1)
	v_lshl_or_b32 v2, v2, 4, v96
	ds_add_u32 v2, v123
	s_wait_alu 0xfffe
	s_or_b32 exec_lo, exec_lo, s1
	s_mov_b32 s1, exec_lo
	v_cmpx_gt_u32_e64 s0, v87
	s_cbranch_execz .LBB813_631
.LBB813_646:                            ;   in Loop: Header=BB813_602 Depth=2
	v_xor_b32_e32 v39, 0x80000000, v23
	v_mov_b32_e32 v38, v22
	s_delay_alu instid0(VALU_DEP_1) | instskip(NEXT) | instid1(VALU_DEP_1)
	v_lshrrev_b64 v[38:39], s31, v[38:39]
	v_and_b32_e32 v2, s54, v38
	s_delay_alu instid0(VALU_DEP_1) | instskip(SKIP_3) | instid1(SALU_CYCLE_1)
	v_lshl_or_b32 v2, v2, 4, v96
	ds_add_u32 v2, v123
	s_wait_alu 0xfffe
	s_or_b32 exec_lo, exec_lo, s1
	s_mov_b32 s1, exec_lo
	v_cmpx_gt_u32_e64 s0, v88
	s_cbranch_execz .LBB813_632
.LBB813_647:                            ;   in Loop: Header=BB813_602 Depth=2
	v_xor_b32_e32 v39, 0x80000000, v21
	v_mov_b32_e32 v38, v20
	s_delay_alu instid0(VALU_DEP_1) | instskip(NEXT) | instid1(VALU_DEP_1)
	v_lshrrev_b64 v[38:39], s31, v[38:39]
	v_and_b32_e32 v2, s54, v38
	s_delay_alu instid0(VALU_DEP_1) | instskip(SKIP_3) | instid1(SALU_CYCLE_1)
	v_lshl_or_b32 v2, v2, 4, v96
	ds_add_u32 v2, v123
	s_wait_alu 0xfffe
	s_or_b32 exec_lo, exec_lo, s1
	s_mov_b32 s1, exec_lo
	v_cmpx_gt_u32_e64 s0, v89
	s_cbranch_execz .LBB813_633
.LBB813_648:                            ;   in Loop: Header=BB813_602 Depth=2
	v_xor_b32_e32 v39, 0x80000000, v19
	v_mov_b32_e32 v38, v18
	s_delay_alu instid0(VALU_DEP_1) | instskip(NEXT) | instid1(VALU_DEP_1)
	v_lshrrev_b64 v[38:39], s31, v[38:39]
	v_and_b32_e32 v2, s54, v38
	s_delay_alu instid0(VALU_DEP_1) | instskip(SKIP_3) | instid1(SALU_CYCLE_1)
	v_lshl_or_b32 v2, v2, 4, v96
	ds_add_u32 v2, v123
	s_wait_alu 0xfffe
	s_or_b32 exec_lo, exec_lo, s1
	s_mov_b32 s1, exec_lo
	v_cmpx_gt_u32_e64 s0, v90
	s_cbranch_execz .LBB813_634
.LBB813_649:                            ;   in Loop: Header=BB813_602 Depth=2
	v_xor_b32_e32 v39, 0x80000000, v17
	v_mov_b32_e32 v38, v16
	s_delay_alu instid0(VALU_DEP_1) | instskip(NEXT) | instid1(VALU_DEP_1)
	v_lshrrev_b64 v[38:39], s31, v[38:39]
	v_and_b32_e32 v2, s54, v38
	s_delay_alu instid0(VALU_DEP_1) | instskip(SKIP_3) | instid1(SALU_CYCLE_1)
	v_lshl_or_b32 v2, v2, 4, v96
	ds_add_u32 v2, v123
	s_wait_alu 0xfffe
	s_or_b32 exec_lo, exec_lo, s1
	s_mov_b32 s1, exec_lo
	v_cmpx_gt_u32_e64 s0, v91
	s_cbranch_execz .LBB813_635
.LBB813_650:                            ;   in Loop: Header=BB813_602 Depth=2
	v_xor_b32_e32 v39, 0x80000000, v15
	v_mov_b32_e32 v38, v14
	s_delay_alu instid0(VALU_DEP_1) | instskip(NEXT) | instid1(VALU_DEP_1)
	v_lshrrev_b64 v[38:39], s31, v[38:39]
	v_and_b32_e32 v2, s54, v38
	s_delay_alu instid0(VALU_DEP_1) | instskip(SKIP_3) | instid1(SALU_CYCLE_1)
	v_lshl_or_b32 v2, v2, 4, v96
	ds_add_u32 v2, v123
	s_wait_alu 0xfffe
	s_or_b32 exec_lo, exec_lo, s1
	s_mov_b32 s1, exec_lo
	v_cmpx_gt_u32_e64 s0, v92
	s_cbranch_execz .LBB813_636
.LBB813_651:                            ;   in Loop: Header=BB813_602 Depth=2
	v_xor_b32_e32 v39, 0x80000000, v13
	v_mov_b32_e32 v38, v12
	s_delay_alu instid0(VALU_DEP_1) | instskip(NEXT) | instid1(VALU_DEP_1)
	v_lshrrev_b64 v[38:39], s31, v[38:39]
	v_and_b32_e32 v2, s54, v38
	s_delay_alu instid0(VALU_DEP_1) | instskip(SKIP_3) | instid1(SALU_CYCLE_1)
	v_lshl_or_b32 v2, v2, 4, v96
	ds_add_u32 v2, v123
	s_wait_alu 0xfffe
	s_or_b32 exec_lo, exec_lo, s1
	s_mov_b32 s1, exec_lo
	v_cmpx_gt_u32_e64 s0, v93
	s_cbranch_execz .LBB813_637
.LBB813_652:                            ;   in Loop: Header=BB813_602 Depth=2
	v_xor_b32_e32 v39, 0x80000000, v11
	v_mov_b32_e32 v38, v10
	s_delay_alu instid0(VALU_DEP_1) | instskip(NEXT) | instid1(VALU_DEP_1)
	v_lshrrev_b64 v[38:39], s31, v[38:39]
	v_and_b32_e32 v2, s54, v38
	s_delay_alu instid0(VALU_DEP_1) | instskip(SKIP_3) | instid1(SALU_CYCLE_1)
	v_lshl_or_b32 v2, v2, 4, v96
	ds_add_u32 v2, v123
	s_wait_alu 0xfffe
	s_or_b32 exec_lo, exec_lo, s1
	s_mov_b32 s1, exec_lo
	v_cmpx_gt_u32_e64 s0, v94
	s_cbranch_execz .LBB813_638
.LBB813_653:                            ;   in Loop: Header=BB813_602 Depth=2
	v_xor_b32_e32 v39, 0x80000000, v9
	v_mov_b32_e32 v38, v8
	s_delay_alu instid0(VALU_DEP_1) | instskip(NEXT) | instid1(VALU_DEP_1)
	v_lshrrev_b64 v[38:39], s31, v[38:39]
	v_and_b32_e32 v2, s54, v38
	s_delay_alu instid0(VALU_DEP_1)
	v_lshl_or_b32 v2, v2, 4, v96
	ds_add_u32 v2, v123
	s_wait_alu 0xfffe
	s_or_b32 exec_lo, exec_lo, s1
	v_cmp_gt_u32_e32 vcc_lo, s0, v95
	s_and_saveexec_b32 s0, vcc_lo
	s_cbranch_execz .LBB813_601
.LBB813_654:                            ;   in Loop: Header=BB813_602 Depth=2
	v_xor_b32_e32 v39, 0x80000000, v7
	v_mov_b32_e32 v38, v6
	s_delay_alu instid0(VALU_DEP_1) | instskip(NEXT) | instid1(VALU_DEP_1)
	v_lshrrev_b64 v[38:39], s31, v[38:39]
	v_and_b32_e32 v2, s54, v38
	s_delay_alu instid0(VALU_DEP_1)
	v_lshl_or_b32 v2, v2, 4, v96
	ds_add_u32 v2, v123
	s_branch .LBB813_601
.LBB813_655:                            ;   in Loop: Header=BB813_602 Depth=2
	global_load_b64 v[36:37], v124, s[0:1]
	s_or_b32 exec_lo, exec_lo, s10
	s_delay_alu instid0(SALU_CYCLE_1)
	s_mov_b32 s10, exec_lo
	v_cmpx_gt_u32_e64 s8, v79
	s_cbranch_execz .LBB813_607
.LBB813_656:                            ;   in Loop: Header=BB813_602 Depth=2
	global_load_b64 v[34:35], v124, s[0:1] offset:2048
	s_wait_alu 0xfffe
	s_or_b32 exec_lo, exec_lo, s10
	s_delay_alu instid0(SALU_CYCLE_1)
	s_mov_b32 s10, exec_lo
	v_cmpx_gt_u32_e64 s8, v80
	s_cbranch_execz .LBB813_608
.LBB813_657:                            ;   in Loop: Header=BB813_602 Depth=2
	global_load_b64 v[32:33], v124, s[0:1] offset:4096
	s_wait_alu 0xfffe
	s_or_b32 exec_lo, exec_lo, s10
	s_delay_alu instid0(SALU_CYCLE_1)
	s_mov_b32 s10, exec_lo
	v_cmpx_gt_u32_e64 s8, v81
	s_cbranch_execz .LBB813_609
.LBB813_658:                            ;   in Loop: Header=BB813_602 Depth=2
	global_load_b64 v[30:31], v124, s[0:1] offset:6144
	s_wait_alu 0xfffe
	s_or_b32 exec_lo, exec_lo, s10
	s_delay_alu instid0(SALU_CYCLE_1)
	s_mov_b32 s10, exec_lo
	v_cmpx_gt_u32_e64 s8, v84
	s_cbranch_execz .LBB813_610
.LBB813_659:                            ;   in Loop: Header=BB813_602 Depth=2
	global_load_b64 v[28:29], v124, s[0:1] offset:8192
	s_wait_alu 0xfffe
	s_or_b32 exec_lo, exec_lo, s10
	s_delay_alu instid0(SALU_CYCLE_1)
	s_mov_b32 s10, exec_lo
	v_cmpx_gt_u32_e64 s8, v85
	s_cbranch_execz .LBB813_611
.LBB813_660:                            ;   in Loop: Header=BB813_602 Depth=2
	global_load_b64 v[26:27], v124, s[0:1] offset:10240
	s_wait_alu 0xfffe
	s_or_b32 exec_lo, exec_lo, s10
	s_delay_alu instid0(SALU_CYCLE_1)
	s_mov_b32 s10, exec_lo
	v_cmpx_gt_u32_e64 s8, v86
	s_cbranch_execz .LBB813_612
.LBB813_661:                            ;   in Loop: Header=BB813_602 Depth=2
	global_load_b64 v[24:25], v124, s[0:1] offset:12288
	s_wait_alu 0xfffe
	s_or_b32 exec_lo, exec_lo, s10
	s_delay_alu instid0(SALU_CYCLE_1)
	s_mov_b32 s10, exec_lo
	v_cmpx_gt_u32_e64 s8, v87
	s_cbranch_execz .LBB813_613
.LBB813_662:                            ;   in Loop: Header=BB813_602 Depth=2
	global_load_b64 v[22:23], v124, s[0:1] offset:14336
	s_wait_alu 0xfffe
	s_or_b32 exec_lo, exec_lo, s10
	s_delay_alu instid0(SALU_CYCLE_1)
	s_mov_b32 s10, exec_lo
	v_cmpx_gt_u32_e64 s8, v88
	s_cbranch_execz .LBB813_614
.LBB813_663:                            ;   in Loop: Header=BB813_602 Depth=2
	global_load_b64 v[20:21], v124, s[0:1] offset:16384
	s_wait_alu 0xfffe
	s_or_b32 exec_lo, exec_lo, s10
	s_delay_alu instid0(SALU_CYCLE_1)
	s_mov_b32 s10, exec_lo
	v_cmpx_gt_u32_e64 s8, v89
	s_cbranch_execz .LBB813_615
.LBB813_664:                            ;   in Loop: Header=BB813_602 Depth=2
	global_load_b64 v[18:19], v124, s[0:1] offset:18432
	s_wait_alu 0xfffe
	s_or_b32 exec_lo, exec_lo, s10
	s_delay_alu instid0(SALU_CYCLE_1)
	s_mov_b32 s10, exec_lo
	v_cmpx_gt_u32_e64 s8, v90
	s_cbranch_execz .LBB813_616
.LBB813_665:                            ;   in Loop: Header=BB813_602 Depth=2
	global_load_b64 v[16:17], v124, s[0:1] offset:20480
	s_wait_alu 0xfffe
	s_or_b32 exec_lo, exec_lo, s10
	s_delay_alu instid0(SALU_CYCLE_1)
	s_mov_b32 s10, exec_lo
	v_cmpx_gt_u32_e64 s8, v91
	s_cbranch_execz .LBB813_617
.LBB813_666:                            ;   in Loop: Header=BB813_602 Depth=2
	global_load_b64 v[14:15], v124, s[0:1] offset:22528
	s_wait_alu 0xfffe
	s_or_b32 exec_lo, exec_lo, s10
	s_delay_alu instid0(SALU_CYCLE_1)
	s_mov_b32 s10, exec_lo
	v_cmpx_gt_u32_e64 s8, v92
	s_cbranch_execz .LBB813_618
.LBB813_667:                            ;   in Loop: Header=BB813_602 Depth=2
	global_load_b64 v[12:13], v124, s[0:1] offset:24576
	s_wait_alu 0xfffe
	s_or_b32 exec_lo, exec_lo, s10
	s_delay_alu instid0(SALU_CYCLE_1)
	s_mov_b32 s10, exec_lo
	v_cmpx_gt_u32_e64 s8, v93
	s_cbranch_execz .LBB813_619
.LBB813_668:                            ;   in Loop: Header=BB813_602 Depth=2
	global_load_b64 v[10:11], v124, s[0:1] offset:26624
	s_wait_alu 0xfffe
	s_or_b32 exec_lo, exec_lo, s10
	s_delay_alu instid0(SALU_CYCLE_1)
	s_mov_b32 s10, exec_lo
	v_cmpx_gt_u32_e64 s8, v94
	s_cbranch_execz .LBB813_620
.LBB813_669:                            ;   in Loop: Header=BB813_602 Depth=2
	global_load_b64 v[8:9], v124, s[0:1] offset:28672
	s_wait_alu 0xfffe
	s_or_b32 exec_lo, exec_lo, s10
	s_delay_alu instid0(SALU_CYCLE_1)
	s_mov_b32 s10, exec_lo
	v_cmpx_gt_u32_e64 s8, v95
	s_cbranch_execnz .LBB813_621
	s_branch .LBB813_622
.LBB813_670:                            ;   in Loop: Header=BB813_12 Depth=1
	v_mov_b32_e32 v2, 0
	s_wait_dscnt 0x0
	s_barrier_signal -1
	s_barrier_wait -1
	global_inv scope:SCOPE_SE
	s_and_saveexec_b32 s0, s2
	s_cbranch_execz .LBB813_672
; %bb.671:                              ;   in Loop: Header=BB813_12 Depth=1
	ds_load_2addr_b64 v[6:9], v98 offset1:1
	s_wait_dscnt 0x0
	v_add_nc_u32_e32 v2, v7, v6
	s_delay_alu instid0(VALU_DEP_1)
	v_add3_u32 v2, v2, v8, v9
.LBB813_672:                            ;   in Loop: Header=BB813_12 Depth=1
	s_wait_alu 0xfffe
	s_or_b32 exec_lo, exec_lo, s0
	v_and_b32_e32 v6, 15, v125
	s_delay_alu instid0(VALU_DEP_2) | instskip(SKIP_1) | instid1(VALU_DEP_3)
	v_mov_b32_dpp v7, v2 row_shr:1 row_mask:0xf bank_mask:0xf
	v_and_b32_e32 v8, 16, v125
	v_cmp_eq_u32_e64 s0, 0, v6
	v_cmp_lt_u32_e64 s1, 1, v6
	v_cmp_lt_u32_e64 s8, 3, v6
	;; [unrolled: 1-line block ×3, first 2 shown]
	v_cmp_eq_u32_e64 s10, 0, v8
	s_wait_alu 0xf1ff
	v_cndmask_b32_e64 v7, v7, 0, s0
	s_delay_alu instid0(VALU_DEP_1) | instskip(NEXT) | instid1(VALU_DEP_1)
	v_add_nc_u32_e32 v2, v7, v2
	v_mov_b32_dpp v7, v2 row_shr:2 row_mask:0xf bank_mask:0xf
	s_delay_alu instid0(VALU_DEP_1) | instskip(NEXT) | instid1(VALU_DEP_1)
	v_cndmask_b32_e64 v7, 0, v7, s1
	v_add_nc_u32_e32 v2, v2, v7
	s_delay_alu instid0(VALU_DEP_1) | instskip(NEXT) | instid1(VALU_DEP_1)
	v_mov_b32_dpp v7, v2 row_shr:4 row_mask:0xf bank_mask:0xf
	v_cndmask_b32_e64 v7, 0, v7, s8
	s_delay_alu instid0(VALU_DEP_1) | instskip(NEXT) | instid1(VALU_DEP_1)
	v_add_nc_u32_e32 v2, v2, v7
	v_mov_b32_dpp v7, v2 row_shr:8 row_mask:0xf bank_mask:0xf
	s_delay_alu instid0(VALU_DEP_1) | instskip(SKIP_1) | instid1(VALU_DEP_2)
	v_cndmask_b32_e64 v6, 0, v7, s9
	v_bfe_i32 v7, v125, 4, 1
	v_add_nc_u32_e32 v2, v2, v6
	ds_swizzle_b32 v6, v2 offset:swizzle(BROADCAST,32,15)
	s_wait_dscnt 0x0
	v_and_b32_e32 v6, v7, v6
	s_delay_alu instid0(VALU_DEP_1)
	v_add_nc_u32_e32 v6, v2, v6
	s_and_saveexec_b32 s11, s3
; %bb.673:                              ;   in Loop: Header=BB813_12 Depth=1
	ds_store_b32 v99, v6
; %bb.674:                              ;   in Loop: Header=BB813_12 Depth=1
	s_wait_alu 0xfffe
	s_or_b32 exec_lo, exec_lo, s11
	v_and_b32_e32 v2, 7, v125
	s_wait_loadcnt_dscnt 0x0
	s_barrier_signal -1
	s_barrier_wait -1
	global_inv scope:SCOPE_SE
	s_and_saveexec_b32 s11, s4
	s_cbranch_execz .LBB813_676
; %bb.675:                              ;   in Loop: Header=BB813_12 Depth=1
	ds_load_b32 v7, v100
	v_cmp_ne_u32_e32 vcc_lo, 0, v2
	s_wait_dscnt 0x0
	v_mov_b32_dpp v8, v7 row_shr:1 row_mask:0xf bank_mask:0xf
	s_wait_alu 0xfffd
	s_delay_alu instid0(VALU_DEP_1) | instskip(SKIP_1) | instid1(VALU_DEP_2)
	v_cndmask_b32_e32 v8, 0, v8, vcc_lo
	v_cmp_lt_u32_e32 vcc_lo, 1, v2
	v_add_nc_u32_e32 v7, v8, v7
	s_delay_alu instid0(VALU_DEP_1) | instskip(SKIP_1) | instid1(VALU_DEP_1)
	v_mov_b32_dpp v8, v7 row_shr:2 row_mask:0xf bank_mask:0xf
	s_wait_alu 0xfffd
	v_cndmask_b32_e32 v8, 0, v8, vcc_lo
	v_cmp_lt_u32_e32 vcc_lo, 3, v2
	s_delay_alu instid0(VALU_DEP_2) | instskip(NEXT) | instid1(VALU_DEP_1)
	v_add_nc_u32_e32 v7, v7, v8
	v_mov_b32_dpp v8, v7 row_shr:4 row_mask:0xf bank_mask:0xf
	s_wait_alu 0xfffd
	s_delay_alu instid0(VALU_DEP_1) | instskip(NEXT) | instid1(VALU_DEP_1)
	v_cndmask_b32_e32 v8, 0, v8, vcc_lo
	v_add_nc_u32_e32 v7, v7, v8
	ds_store_b32 v100, v7
.LBB813_676:                            ;   in Loop: Header=BB813_12 Depth=1
	s_wait_alu 0xfffe
	s_or_b32 exec_lo, exec_lo, s11
	v_mov_b32_e32 v7, 0
	s_wait_loadcnt_dscnt 0x0
	s_barrier_signal -1
	s_barrier_wait -1
	global_inv scope:SCOPE_SE
	s_and_saveexec_b32 s11, s5
; %bb.677:                              ;   in Loop: Header=BB813_12 Depth=1
	ds_load_b32 v7, v103
; %bb.678:                              ;   in Loop: Header=BB813_12 Depth=1
	s_wait_alu 0xfffe
	s_or_b32 exec_lo, exec_lo, s11
	v_sub_co_u32 v8, s11, v125, 1
	s_wait_dscnt 0x0
	v_add_nc_u32_e32 v6, v7, v6
	s_wait_loadcnt 0x0
	s_barrier_signal -1
	v_cmp_gt_i32_e32 vcc_lo, 0, v8
	s_barrier_wait -1
	global_inv scope:SCOPE_SE
	s_wait_alu 0xfffd
	v_cndmask_b32_e32 v8, v8, v125, vcc_lo
	s_delay_alu instid0(VALU_DEP_1)
	v_lshlrev_b32_e32 v126, 2, v8
	ds_bpermute_b32 v6, v126, v6
	s_and_saveexec_b32 s12, s2
	s_cbranch_execz .LBB813_680
; %bb.679:                              ;   in Loop: Header=BB813_12 Depth=1
	s_wait_dscnt 0x0
	v_cndmask_b32_e64 v6, v6, v7, s11
	s_delay_alu instid0(VALU_DEP_1)
	v_add_nc_u32_e32 v6, s33, v6
	ds_store_b32 v78, v6
.LBB813_680:                            ;   in Loop: Header=BB813_12 Depth=1
	s_wait_alu 0xfffe
	s_or_b32 exec_lo, exec_lo, s12
	s_load_b64 s[12:13], s[42:43], 0x0
	v_lshlrev_b32_e32 v8, 3, v125
	v_or_b32_e32 v127, v125, v101
	s_mov_b32 s55, s53
                                        ; implicit-def: $vgpr10_vgpr11
                                        ; implicit-def: $vgpr12_vgpr13
                                        ; implicit-def: $vgpr14_vgpr15
                                        ; implicit-def: $vgpr16_vgpr17
                                        ; implicit-def: $vgpr18_vgpr19
                                        ; implicit-def: $vgpr20_vgpr21
                                        ; implicit-def: $vgpr22_vgpr23
                                        ; implicit-def: $vgpr24_vgpr25
                                        ; implicit-def: $vgpr26_vgpr27
                                        ; implicit-def: $vgpr28_vgpr29
                                        ; implicit-def: $vgpr30_vgpr31
                                        ; implicit-def: $vgpr32_vgpr33
                                        ; implicit-def: $vgpr34_vgpr35
                                        ; implicit-def: $vgpr36_vgpr37
                                        ; implicit-def: $vgpr148
                                        ; implicit-def: $vgpr149
                                        ; implicit-def: $vgpr150
                                        ; implicit-def: $vgpr151
                                        ; implicit-def: $vgpr152
                                        ; implicit-def: $vgpr153
                                        ; implicit-def: $vgpr154
                                        ; implicit-def: $vgpr155
                                        ; implicit-def: $vgpr156
                                        ; implicit-def: $vgpr157
                                        ; implicit-def: $vgpr158
                                        ; implicit-def: $vgpr159
                                        ; implicit-def: $vgpr160
                                        ; implicit-def: $vgpr161
                                        ; implicit-def: $vgpr162
                                        ; implicit-def: $vgpr163
	s_delay_alu instid0(VALU_DEP_2)
	v_add_co_u32 v128, vcc_lo, v119, v8
	s_wait_alu 0xfffd
	v_add_co_ci_u32_e64 v129, null, 0, v120, vcc_lo
	v_add_co_u32 v145, vcc_lo, v121, v8
	v_or_b32_e32 v130, 32, v127
	v_or_b32_e32 v131, 64, v127
	;; [unrolled: 1-line block ×8, first 2 shown]
	s_wait_kmcnt 0x0
	s_cmp_lt_u32 ttmp7, s13
	v_or_b32_e32 v138, 0x120, v127
	s_cselect_b32 s34, 14, 20
	s_cmp_lt_u32 ttmp9, s12
	s_wait_alu 0xfffe
	s_add_nc_u64 s[14:15], s[42:43], s[34:35]
	s_cselect_b32 s34, 12, 18
	s_load_u16 s15, s[14:15], 0x0
	s_add_nc_u64 s[12:13], s[42:43], s[34:35]
	v_or_b32_e32 v139, 0x140, v127
	s_load_u16 s16, s[12:13], 0x0
	v_cmp_eq_u32_e64 s12, 0, v2
	v_cmp_lt_u32_e64 s13, 1, v2
	v_cmp_lt_u32_e64 s14, 3, v2
	v_or_b32_e32 v140, 0x160, v127
	v_or_b32_e32 v141, 0x180, v127
	;; [unrolled: 1-line block ×5, first 2 shown]
	v_add_co_ci_u32_e64 v146, null, 0, v122, vcc_lo
	s_mov_b32 s34, s33
                                        ; implicit-def: $vgpr8_vgpr9
	s_wait_kmcnt 0x0
	v_mad_u32_u24 v2, v104, s15, v0
	s_wait_dscnt 0x0
	s_delay_alu instid0(VALU_DEP_1) | instskip(NEXT) | instid1(VALU_DEP_1)
	v_mad_co_u64_u32 v[6:7], null, v2, s16, v[1:2]
	v_lshrrev_b32_e32 v2, 3, v6
                                        ; implicit-def: $vgpr6_vgpr7
	s_delay_alu instid0(VALU_DEP_1)
	v_and_b32_e32 v147, 0x1ffffffc, v2
	s_branch .LBB813_682
.LBB813_681:                            ;   in Loop: Header=BB813_682 Depth=2
	s_wait_alu 0xfffe
	s_or_b32 exec_lo, exec_lo, s15
	s_addk_co_i32 s55, 0xf000
	s_cmp_lt_u32 s56, s51
	s_mov_b32 s34, s56
	s_cbranch_scc0 .LBB813_890
.LBB813_682:                            ;   Parent Loop BB813_12 Depth=1
                                        ; =>  This Inner Loop Header: Depth=2
	s_wait_alu 0xfffe
	s_add_co_i32 s56, s34, 0x1000
	s_wait_alu 0xfffe
	s_cmp_gt_u32 s56, s51
	s_cbranch_scc1 .LBB813_684
; %bb.683:                              ;   in Loop: Header=BB813_682 Depth=2
	s_lshl_b64 s[16:17], s[34:35], 3
	s_mov_b32 s15, -1
	s_wait_alu 0xfffe
	v_add_co_u32 v66, vcc_lo, v145, s16
	s_wait_alu 0xfffd
	v_add_co_ci_u32_e64 v67, null, s17, v146, vcc_lo
	s_clause 0xe
	global_load_b64 v[40:41], v[66:67], off
	global_load_b64 v[38:39], v[66:67], off offset:256
	global_load_b64 v[42:43], v[66:67], off offset:512
	;; [unrolled: 1-line block ×14, first 2 shown]
	s_movk_i32 s16, 0x1000
	s_cbranch_execz .LBB813_685
	s_branch .LBB813_716
.LBB813_684:                            ;   in Loop: Header=BB813_682 Depth=2
	s_mov_b32 s15, 0
                                        ; implicit-def: $vgpr40_vgpr41
                                        ; implicit-def: $vgpr38_vgpr39
                                        ; implicit-def: $vgpr42_vgpr43
                                        ; implicit-def: $vgpr44_vgpr45
                                        ; implicit-def: $vgpr46_vgpr47
                                        ; implicit-def: $vgpr50_vgpr51
                                        ; implicit-def: $vgpr48_vgpr49
                                        ; implicit-def: $vgpr52_vgpr53
                                        ; implicit-def: $vgpr54_vgpr55
                                        ; implicit-def: $vgpr56_vgpr57
                                        ; implicit-def: $vgpr60_vgpr61
                                        ; implicit-def: $vgpr58_vgpr59
                                        ; implicit-def: $vgpr62_vgpr63
                                        ; implicit-def: $vgpr64_vgpr65
                                        ; implicit-def: $vgpr66_vgpr67
	s_movk_i32 s16, 0x1000
.LBB813_685:                            ;   in Loop: Header=BB813_682 Depth=2
	s_wait_loadcnt 0xd
	v_dual_mov_b32 v38, v4 :: v_dual_mov_b32 v39, v5
	s_lshl_b64 s[16:17], s[34:35], 3
	s_mov_b32 s15, exec_lo
	s_wait_alu 0xfffe
	v_add_co_u32 v68, vcc_lo, v145, s16
	s_wait_alu 0xfffd
	v_add_co_ci_u32_e64 v69, null, s17, v146, vcc_lo
	v_dual_mov_b32 v41, v39 :: v_dual_mov_b32 v40, v38
	v_cmpx_gt_u32_e64 s55, v127
	s_cbranch_execz .LBB813_687
; %bb.686:                              ;   in Loop: Header=BB813_682 Depth=2
	global_load_b64 v[40:41], v[68:69], off
.LBB813_687:                            ;   in Loop: Header=BB813_682 Depth=2
	s_or_b32 exec_lo, exec_lo, s15
	s_delay_alu instid0(SALU_CYCLE_1)
	s_mov_b32 s15, exec_lo
	v_cmpx_gt_u32_e64 s55, v130
	s_cbranch_execz .LBB813_689
; %bb.688:                              ;   in Loop: Header=BB813_682 Depth=2
	global_load_b64 v[38:39], v[68:69], off offset:256
.LBB813_689:                            ;   in Loop: Header=BB813_682 Depth=2
	s_wait_alu 0xfffe
	s_or_b32 exec_lo, exec_lo, s15
	s_wait_loadcnt 0xc
	v_dual_mov_b32 v43, v5 :: v_dual_mov_b32 v42, v4
	s_mov_b32 s15, exec_lo
	v_cmpx_gt_u32_e64 s55, v131
	s_cbranch_execz .LBB813_691
; %bb.690:                              ;   in Loop: Header=BB813_682 Depth=2
	global_load_b64 v[42:43], v[68:69], off offset:512
.LBB813_691:                            ;   in Loop: Header=BB813_682 Depth=2
	s_wait_alu 0xfffe
	s_or_b32 exec_lo, exec_lo, s15
	s_wait_loadcnt 0xb
	v_dual_mov_b32 v45, v5 :: v_dual_mov_b32 v44, v4
	;; [unrolled: 10-line block ×13, first 2 shown]
	s_mov_b32 s15, exec_lo
	v_cmpx_gt_u32_e64 s55, v143
	s_cbranch_execz .LBB813_715
; %bb.714:                              ;   in Loop: Header=BB813_682 Depth=2
	global_load_b64 v[66:67], v[68:69], off offset:3584
.LBB813_715:                            ;   in Loop: Header=BB813_682 Depth=2
	s_wait_alu 0xfffe
	s_or_b32 exec_lo, exec_lo, s15
	v_cmp_gt_u32_e64 s15, s55, v144
	s_sub_co_i32 s16, s51, s34
.LBB813_716:                            ;   in Loop: Header=BB813_682 Depth=2
	v_mov_b32_e32 v68, -1
	v_dual_mov_b32 v69, -1 :: v_dual_mov_b32 v164, s55
	s_and_saveexec_b32 s17, s15
	s_cbranch_execz .LBB813_718
; %bb.717:                              ;   in Loop: Header=BB813_682 Depth=2
	s_lshl_b64 s[18:19], s[34:35], 3
	s_wait_alu 0xfffe
	v_mov_b32_e32 v164, s16
	v_add_co_u32 v68, vcc_lo, v145, s18
	s_wait_alu 0xfffd
	v_add_co_ci_u32_e64 v69, null, s19, v146, vcc_lo
	global_load_b64 v[68:69], v[68:69], off offset:3840
	s_wait_loadcnt 0x0
	v_xor_b32_e32 v69, 0x80000000, v69
.LBB813_718:                            ;   in Loop: Header=BB813_682 Depth=2
	s_wait_alu 0xfffe
	s_or_b32 exec_lo, exec_lo, s17
	s_wait_loadcnt 0xe
	v_xor_b32_e32 v41, 0x80000000, v41
	v_add_nc_u32_e32 v166, 0x420, v102
	v_add_nc_u32_e32 v167, 0x428, v102
	;; [unrolled: 1-line block ×3, first 2 shown]
	s_delay_alu instid0(VALU_DEP_4) | instskip(NEXT) | instid1(VALU_DEP_1)
	v_lshrrev_b64 v[70:71], s31, v[40:41]
	v_and_b32_e32 v71, s54, v70
	s_delay_alu instid0(VALU_DEP_1)
	v_and_b32_e32 v2, 1, v71
	v_lshlrev_b32_e32 v70, 30, v71
	v_lshlrev_b32_e32 v72, 29, v71
	;; [unrolled: 1-line block ×4, first 2 shown]
	v_add_co_u32 v2, s15, v2, -1
	s_wait_alu 0xf1ff
	v_cndmask_b32_e64 v74, 0, 1, s15
	v_not_b32_e32 v165, v70
	v_cmp_gt_i32_e64 s15, 0, v70
	v_not_b32_e32 v70, v72
	v_lshlrev_b32_e32 v76, 26, v71
	v_cmp_ne_u32_e32 vcc_lo, 0, v74
	v_ashrrev_i32_e32 v165, 31, v165
	v_lshlrev_b32_e32 v77, 25, v71
	v_ashrrev_i32_e32 v70, 31, v70
	v_lshlrev_b32_e32 v74, 24, v71
	s_wait_alu 0xfffd
	v_xor_b32_e32 v2, vcc_lo, v2
	v_cmp_gt_i32_e32 vcc_lo, 0, v72
	v_not_b32_e32 v72, v73
	s_wait_alu 0xf1ff
	v_xor_b32_e32 v165, s15, v165
	v_cmp_gt_i32_e64 s15, 0, v73
	v_and_b32_e32 v2, exec_lo, v2
	v_not_b32_e32 v73, v75
	v_ashrrev_i32_e32 v72, 31, v72
	s_wait_alu 0xfffd
	v_xor_b32_e32 v70, vcc_lo, v70
	v_cmp_gt_i32_e32 vcc_lo, 0, v75
	v_and_b32_e32 v2, v2, v165
	v_not_b32_e32 v75, v76
	v_ashrrev_i32_e32 v73, 31, v73
	s_wait_alu 0xf1ff
	v_xor_b32_e32 v72, s15, v72
	v_cmp_gt_i32_e64 s15, 0, v76
	v_and_b32_e32 v2, v2, v70
	v_not_b32_e32 v70, v77
	v_ashrrev_i32_e32 v75, 31, v75
	s_wait_alu 0xfffd
	v_xor_b32_e32 v73, vcc_lo, v73
	v_cmp_gt_i32_e32 vcc_lo, 0, v77
	v_and_b32_e32 v2, v2, v72
	v_not_b32_e32 v72, v74
	v_ashrrev_i32_e32 v70, 31, v70
	s_wait_alu 0xf1ff
	v_xor_b32_e32 v75, s15, v75
	v_cmp_gt_i32_e64 s15, 0, v74
	v_and_b32_e32 v2, v2, v73
	v_ashrrev_i32_e32 v72, 31, v72
	s_wait_alu 0xfffd
	v_xor_b32_e32 v70, vcc_lo, v70
	v_mul_u32_u24_e32 v71, 36, v71
	v_add_nc_u32_e32 v165, 0x438, v102
	v_and_b32_e32 v2, v2, v75
	s_wait_alu 0xf1ff
	v_xor_b32_e32 v72, s15, v72
	v_add_nc_u32_e32 v169, v147, v71
	ds_store_2addr_b32 v165, v3, v3 offset1:1
	v_and_b32_e32 v2, v2, v70
	ds_store_2addr_b32 v166, v3, v3 offset1:1
	ds_store_2addr_b32 v167, v3, v3 offset1:1
	;; [unrolled: 1-line block ×3, first 2 shown]
	ds_store_b32 v102, v3 offset:1088
	s_wait_loadcnt_dscnt 0x0
	s_barrier_signal -1
	s_barrier_wait -1
	v_and_b32_e32 v70, v2, v72
	global_inv scope:SCOPE_SE
	; wave barrier
	v_mbcnt_lo_u32_b32 v2, v70, 0
	v_cmp_ne_u32_e64 s15, 0, v70
	s_delay_alu instid0(VALU_DEP_2)
	v_cmp_eq_u32_e32 vcc_lo, 0, v2
	s_and_b32 s16, s15, vcc_lo
	s_wait_alu 0xfffe
	s_and_saveexec_b32 s15, s16
; %bb.719:                              ;   in Loop: Header=BB813_682 Depth=2
	v_bcnt_u32_b32 v70, v70, 0
	ds_store_b32 v169, v70 offset:1056
; %bb.720:                              ;   in Loop: Header=BB813_682 Depth=2
	s_wait_alu 0xfffe
	s_or_b32 exec_lo, exec_lo, s15
	v_xor_b32_e32 v39, 0x80000000, v39
	; wave barrier
	s_delay_alu instid0(VALU_DEP_1) | instskip(NEXT) | instid1(VALU_DEP_1)
	v_lshrrev_b64 v[70:71], s31, v[38:39]
	v_and_b32_e32 v71, s54, v70
	s_delay_alu instid0(VALU_DEP_1)
	v_and_b32_e32 v70, 1, v71
	v_lshlrev_b32_e32 v72, 30, v71
	v_lshlrev_b32_e32 v73, 29, v71
	;; [unrolled: 1-line block ×4, first 2 shown]
	v_add_co_u32 v70, s15, v70, -1
	s_wait_alu 0xf1ff
	v_cndmask_b32_e64 v75, 0, 1, s15
	v_not_b32_e32 v171, v72
	v_cmp_gt_i32_e64 s15, 0, v72
	v_not_b32_e32 v72, v73
	v_lshlrev_b32_e32 v77, 26, v71
	v_cmp_ne_u32_e32 vcc_lo, 0, v75
	v_ashrrev_i32_e32 v171, 31, v171
	v_lshlrev_b32_e32 v170, 25, v71
	v_ashrrev_i32_e32 v72, 31, v72
	v_lshlrev_b32_e32 v75, 24, v71
	s_wait_alu 0xfffd
	v_xor_b32_e32 v70, vcc_lo, v70
	v_cmp_gt_i32_e32 vcc_lo, 0, v73
	v_not_b32_e32 v73, v74
	s_wait_alu 0xf1ff
	v_xor_b32_e32 v171, s15, v171
	v_cmp_gt_i32_e64 s15, 0, v74
	v_and_b32_e32 v70, exec_lo, v70
	v_not_b32_e32 v74, v76
	v_ashrrev_i32_e32 v73, 31, v73
	s_wait_alu 0xfffd
	v_xor_b32_e32 v72, vcc_lo, v72
	v_cmp_gt_i32_e32 vcc_lo, 0, v76
	v_and_b32_e32 v70, v70, v171
	v_not_b32_e32 v76, v77
	v_ashrrev_i32_e32 v74, 31, v74
	s_wait_alu 0xf1ff
	v_xor_b32_e32 v73, s15, v73
	v_cmp_gt_i32_e64 s15, 0, v77
	v_and_b32_e32 v70, v70, v72
	v_not_b32_e32 v72, v170
	v_ashrrev_i32_e32 v76, 31, v76
	s_wait_alu 0xfffd
	v_xor_b32_e32 v74, vcc_lo, v74
	v_cmp_gt_i32_e32 vcc_lo, 0, v170
	v_and_b32_e32 v70, v70, v73
	v_not_b32_e32 v73, v75
	v_ashrrev_i32_e32 v72, 31, v72
	s_wait_alu 0xf1ff
	v_xor_b32_e32 v76, s15, v76
	v_cmp_gt_i32_e64 s15, 0, v75
	v_and_b32_e32 v70, v70, v74
	v_ashrrev_i32_e32 v73, 31, v73
	s_wait_alu 0xfffd
	v_xor_b32_e32 v72, vcc_lo, v72
	v_mad_u32_u24 v74, v71, 36, v147
	v_mul_u32_u24_e32 v71, 36, v71
	v_and_b32_e32 v70, v70, v76
	s_wait_alu 0xf1ff
	v_xor_b32_e32 v73, s15, v73
	ds_load_b32 v170, v74 offset:1056
	v_add_nc_u32_e32 v172, v147, v71
	v_and_b32_e32 v70, v70, v72
	; wave barrier
	s_delay_alu instid0(VALU_DEP_1) | instskip(NEXT) | instid1(VALU_DEP_1)
	v_and_b32_e32 v70, v70, v73
	v_mbcnt_lo_u32_b32 v171, v70, 0
	v_cmp_ne_u32_e64 s15, 0, v70
	s_delay_alu instid0(VALU_DEP_2)
	v_cmp_eq_u32_e32 vcc_lo, 0, v171
	s_and_b32 s16, s15, vcc_lo
	s_wait_alu 0xfffe
	s_and_saveexec_b32 s15, s16
	s_cbranch_execz .LBB813_722
; %bb.721:                              ;   in Loop: Header=BB813_682 Depth=2
	s_wait_dscnt 0x0
	v_bcnt_u32_b32 v70, v70, v170
	ds_store_b32 v172, v70 offset:1056
.LBB813_722:                            ;   in Loop: Header=BB813_682 Depth=2
	s_wait_alu 0xfffe
	s_or_b32 exec_lo, exec_lo, s15
	v_xor_b32_e32 v43, 0x80000000, v43
	; wave barrier
	s_delay_alu instid0(VALU_DEP_1) | instskip(NEXT) | instid1(VALU_DEP_1)
	v_lshrrev_b64 v[70:71], s31, v[42:43]
	v_and_b32_e32 v71, s54, v70
	s_delay_alu instid0(VALU_DEP_1)
	v_and_b32_e32 v70, 1, v71
	v_lshlrev_b32_e32 v72, 30, v71
	v_lshlrev_b32_e32 v73, 29, v71
	v_lshlrev_b32_e32 v74, 28, v71
	v_lshlrev_b32_e32 v76, 27, v71
	v_add_co_u32 v70, s15, v70, -1
	s_wait_alu 0xf1ff
	v_cndmask_b32_e64 v75, 0, 1, s15
	v_not_b32_e32 v174, v72
	v_cmp_gt_i32_e64 s15, 0, v72
	v_not_b32_e32 v72, v73
	v_lshlrev_b32_e32 v77, 26, v71
	v_cmp_ne_u32_e32 vcc_lo, 0, v75
	v_ashrrev_i32_e32 v174, 31, v174
	v_lshlrev_b32_e32 v173, 25, v71
	v_ashrrev_i32_e32 v72, 31, v72
	v_lshlrev_b32_e32 v75, 24, v71
	s_wait_alu 0xfffd
	v_xor_b32_e32 v70, vcc_lo, v70
	v_cmp_gt_i32_e32 vcc_lo, 0, v73
	v_not_b32_e32 v73, v74
	s_wait_alu 0xf1ff
	v_xor_b32_e32 v174, s15, v174
	v_cmp_gt_i32_e64 s15, 0, v74
	v_and_b32_e32 v70, exec_lo, v70
	v_not_b32_e32 v74, v76
	v_ashrrev_i32_e32 v73, 31, v73
	s_wait_alu 0xfffd
	v_xor_b32_e32 v72, vcc_lo, v72
	v_cmp_gt_i32_e32 vcc_lo, 0, v76
	v_and_b32_e32 v70, v70, v174
	v_not_b32_e32 v76, v77
	v_ashrrev_i32_e32 v74, 31, v74
	s_wait_alu 0xf1ff
	v_xor_b32_e32 v73, s15, v73
	v_cmp_gt_i32_e64 s15, 0, v77
	v_and_b32_e32 v70, v70, v72
	v_not_b32_e32 v72, v173
	v_ashrrev_i32_e32 v76, 31, v76
	s_wait_alu 0xfffd
	v_xor_b32_e32 v74, vcc_lo, v74
	v_cmp_gt_i32_e32 vcc_lo, 0, v173
	v_and_b32_e32 v70, v70, v73
	v_not_b32_e32 v73, v75
	v_ashrrev_i32_e32 v72, 31, v72
	s_wait_alu 0xf1ff
	v_xor_b32_e32 v76, s15, v76
	v_cmp_gt_i32_e64 s15, 0, v75
	v_and_b32_e32 v70, v70, v74
	v_ashrrev_i32_e32 v73, 31, v73
	s_wait_alu 0xfffd
	v_xor_b32_e32 v72, vcc_lo, v72
	v_mad_u32_u24 v74, v71, 36, v147
	v_mul_u32_u24_e32 v71, 36, v71
	v_and_b32_e32 v70, v70, v76
	s_wait_alu 0xf1ff
	v_xor_b32_e32 v73, s15, v73
	ds_load_b32 v173, v74 offset:1056
	v_add_nc_u32_e32 v175, v147, v71
	v_and_b32_e32 v70, v70, v72
	; wave barrier
	s_delay_alu instid0(VALU_DEP_1) | instskip(NEXT) | instid1(VALU_DEP_1)
	v_and_b32_e32 v70, v70, v73
	v_mbcnt_lo_u32_b32 v174, v70, 0
	v_cmp_ne_u32_e64 s15, 0, v70
	s_delay_alu instid0(VALU_DEP_2)
	v_cmp_eq_u32_e32 vcc_lo, 0, v174
	s_and_b32 s16, s15, vcc_lo
	s_wait_alu 0xfffe
	s_and_saveexec_b32 s15, s16
	s_cbranch_execz .LBB813_724
; %bb.723:                              ;   in Loop: Header=BB813_682 Depth=2
	s_wait_dscnt 0x0
	v_bcnt_u32_b32 v70, v70, v173
	ds_store_b32 v175, v70 offset:1056
.LBB813_724:                            ;   in Loop: Header=BB813_682 Depth=2
	s_wait_alu 0xfffe
	s_or_b32 exec_lo, exec_lo, s15
	v_xor_b32_e32 v45, 0x80000000, v45
	; wave barrier
	s_delay_alu instid0(VALU_DEP_1) | instskip(NEXT) | instid1(VALU_DEP_1)
	v_lshrrev_b64 v[70:71], s31, v[44:45]
	v_and_b32_e32 v71, s54, v70
	s_delay_alu instid0(VALU_DEP_1)
	v_and_b32_e32 v70, 1, v71
	v_lshlrev_b32_e32 v72, 30, v71
	v_lshlrev_b32_e32 v73, 29, v71
	;; [unrolled: 1-line block ×4, first 2 shown]
	v_add_co_u32 v70, s15, v70, -1
	s_wait_alu 0xf1ff
	v_cndmask_b32_e64 v75, 0, 1, s15
	v_not_b32_e32 v177, v72
	v_cmp_gt_i32_e64 s15, 0, v72
	v_not_b32_e32 v72, v73
	v_lshlrev_b32_e32 v77, 26, v71
	v_cmp_ne_u32_e32 vcc_lo, 0, v75
	v_ashrrev_i32_e32 v177, 31, v177
	v_lshlrev_b32_e32 v176, 25, v71
	v_ashrrev_i32_e32 v72, 31, v72
	v_lshlrev_b32_e32 v75, 24, v71
	s_wait_alu 0xfffd
	v_xor_b32_e32 v70, vcc_lo, v70
	v_cmp_gt_i32_e32 vcc_lo, 0, v73
	v_not_b32_e32 v73, v74
	s_wait_alu 0xf1ff
	v_xor_b32_e32 v177, s15, v177
	v_cmp_gt_i32_e64 s15, 0, v74
	v_and_b32_e32 v70, exec_lo, v70
	v_not_b32_e32 v74, v76
	v_ashrrev_i32_e32 v73, 31, v73
	s_wait_alu 0xfffd
	v_xor_b32_e32 v72, vcc_lo, v72
	v_cmp_gt_i32_e32 vcc_lo, 0, v76
	v_and_b32_e32 v70, v70, v177
	v_not_b32_e32 v76, v77
	v_ashrrev_i32_e32 v74, 31, v74
	s_wait_alu 0xf1ff
	v_xor_b32_e32 v73, s15, v73
	v_cmp_gt_i32_e64 s15, 0, v77
	v_and_b32_e32 v70, v70, v72
	v_not_b32_e32 v72, v176
	v_ashrrev_i32_e32 v76, 31, v76
	s_wait_alu 0xfffd
	v_xor_b32_e32 v74, vcc_lo, v74
	v_cmp_gt_i32_e32 vcc_lo, 0, v176
	v_and_b32_e32 v70, v70, v73
	v_not_b32_e32 v73, v75
	v_ashrrev_i32_e32 v72, 31, v72
	s_wait_alu 0xf1ff
	v_xor_b32_e32 v76, s15, v76
	v_cmp_gt_i32_e64 s15, 0, v75
	v_and_b32_e32 v70, v70, v74
	v_ashrrev_i32_e32 v73, 31, v73
	s_wait_alu 0xfffd
	v_xor_b32_e32 v72, vcc_lo, v72
	v_mad_u32_u24 v74, v71, 36, v147
	v_mul_u32_u24_e32 v71, 36, v71
	v_and_b32_e32 v70, v70, v76
	s_wait_alu 0xf1ff
	v_xor_b32_e32 v73, s15, v73
	ds_load_b32 v176, v74 offset:1056
	v_add_nc_u32_e32 v178, v147, v71
	v_and_b32_e32 v70, v70, v72
	; wave barrier
	s_delay_alu instid0(VALU_DEP_1) | instskip(NEXT) | instid1(VALU_DEP_1)
	v_and_b32_e32 v70, v70, v73
	v_mbcnt_lo_u32_b32 v177, v70, 0
	v_cmp_ne_u32_e64 s15, 0, v70
	s_delay_alu instid0(VALU_DEP_2)
	v_cmp_eq_u32_e32 vcc_lo, 0, v177
	s_and_b32 s16, s15, vcc_lo
	s_wait_alu 0xfffe
	s_and_saveexec_b32 s15, s16
	s_cbranch_execz .LBB813_726
; %bb.725:                              ;   in Loop: Header=BB813_682 Depth=2
	s_wait_dscnt 0x0
	v_bcnt_u32_b32 v70, v70, v176
	ds_store_b32 v178, v70 offset:1056
.LBB813_726:                            ;   in Loop: Header=BB813_682 Depth=2
	s_wait_alu 0xfffe
	s_or_b32 exec_lo, exec_lo, s15
	v_xor_b32_e32 v47, 0x80000000, v47
	; wave barrier
	s_delay_alu instid0(VALU_DEP_1) | instskip(NEXT) | instid1(VALU_DEP_1)
	v_lshrrev_b64 v[70:71], s31, v[46:47]
	v_and_b32_e32 v71, s54, v70
	s_delay_alu instid0(VALU_DEP_1)
	v_and_b32_e32 v70, 1, v71
	v_lshlrev_b32_e32 v72, 30, v71
	v_lshlrev_b32_e32 v73, 29, v71
	;; [unrolled: 1-line block ×4, first 2 shown]
	v_add_co_u32 v70, s15, v70, -1
	s_wait_alu 0xf1ff
	v_cndmask_b32_e64 v75, 0, 1, s15
	v_not_b32_e32 v180, v72
	v_cmp_gt_i32_e64 s15, 0, v72
	v_not_b32_e32 v72, v73
	v_lshlrev_b32_e32 v77, 26, v71
	v_cmp_ne_u32_e32 vcc_lo, 0, v75
	v_ashrrev_i32_e32 v180, 31, v180
	v_lshlrev_b32_e32 v179, 25, v71
	v_ashrrev_i32_e32 v72, 31, v72
	v_lshlrev_b32_e32 v75, 24, v71
	s_wait_alu 0xfffd
	v_xor_b32_e32 v70, vcc_lo, v70
	v_cmp_gt_i32_e32 vcc_lo, 0, v73
	v_not_b32_e32 v73, v74
	s_wait_alu 0xf1ff
	v_xor_b32_e32 v180, s15, v180
	v_cmp_gt_i32_e64 s15, 0, v74
	v_and_b32_e32 v70, exec_lo, v70
	v_not_b32_e32 v74, v76
	v_ashrrev_i32_e32 v73, 31, v73
	s_wait_alu 0xfffd
	v_xor_b32_e32 v72, vcc_lo, v72
	v_cmp_gt_i32_e32 vcc_lo, 0, v76
	v_and_b32_e32 v70, v70, v180
	v_not_b32_e32 v76, v77
	v_ashrrev_i32_e32 v74, 31, v74
	s_wait_alu 0xf1ff
	v_xor_b32_e32 v73, s15, v73
	v_cmp_gt_i32_e64 s15, 0, v77
	v_and_b32_e32 v70, v70, v72
	v_not_b32_e32 v72, v179
	v_ashrrev_i32_e32 v76, 31, v76
	s_wait_alu 0xfffd
	v_xor_b32_e32 v74, vcc_lo, v74
	v_cmp_gt_i32_e32 vcc_lo, 0, v179
	v_and_b32_e32 v70, v70, v73
	v_not_b32_e32 v73, v75
	v_ashrrev_i32_e32 v72, 31, v72
	s_wait_alu 0xf1ff
	v_xor_b32_e32 v76, s15, v76
	v_cmp_gt_i32_e64 s15, 0, v75
	v_and_b32_e32 v70, v70, v74
	v_ashrrev_i32_e32 v73, 31, v73
	s_wait_alu 0xfffd
	v_xor_b32_e32 v72, vcc_lo, v72
	v_mad_u32_u24 v74, v71, 36, v147
	v_mul_u32_u24_e32 v71, 36, v71
	v_and_b32_e32 v70, v70, v76
	s_wait_alu 0xf1ff
	v_xor_b32_e32 v73, s15, v73
	ds_load_b32 v179, v74 offset:1056
	v_add_nc_u32_e32 v181, v147, v71
	v_and_b32_e32 v70, v70, v72
	; wave barrier
	s_delay_alu instid0(VALU_DEP_1) | instskip(NEXT) | instid1(VALU_DEP_1)
	v_and_b32_e32 v70, v70, v73
	v_mbcnt_lo_u32_b32 v180, v70, 0
	v_cmp_ne_u32_e64 s15, 0, v70
	s_delay_alu instid0(VALU_DEP_2)
	v_cmp_eq_u32_e32 vcc_lo, 0, v180
	s_and_b32 s16, s15, vcc_lo
	s_wait_alu 0xfffe
	s_and_saveexec_b32 s15, s16
	s_cbranch_execz .LBB813_728
; %bb.727:                              ;   in Loop: Header=BB813_682 Depth=2
	s_wait_dscnt 0x0
	v_bcnt_u32_b32 v70, v70, v179
	ds_store_b32 v181, v70 offset:1056
.LBB813_728:                            ;   in Loop: Header=BB813_682 Depth=2
	s_wait_alu 0xfffe
	s_or_b32 exec_lo, exec_lo, s15
	v_xor_b32_e32 v51, 0x80000000, v51
	; wave barrier
	s_delay_alu instid0(VALU_DEP_1) | instskip(NEXT) | instid1(VALU_DEP_1)
	v_lshrrev_b64 v[70:71], s31, v[50:51]
	v_and_b32_e32 v71, s54, v70
	s_delay_alu instid0(VALU_DEP_1)
	v_and_b32_e32 v70, 1, v71
	v_lshlrev_b32_e32 v72, 30, v71
	v_lshlrev_b32_e32 v73, 29, v71
	;; [unrolled: 1-line block ×4, first 2 shown]
	v_add_co_u32 v70, s15, v70, -1
	s_wait_alu 0xf1ff
	v_cndmask_b32_e64 v75, 0, 1, s15
	v_not_b32_e32 v183, v72
	v_cmp_gt_i32_e64 s15, 0, v72
	v_not_b32_e32 v72, v73
	v_lshlrev_b32_e32 v77, 26, v71
	v_cmp_ne_u32_e32 vcc_lo, 0, v75
	v_ashrrev_i32_e32 v183, 31, v183
	v_lshlrev_b32_e32 v182, 25, v71
	v_ashrrev_i32_e32 v72, 31, v72
	v_lshlrev_b32_e32 v75, 24, v71
	s_wait_alu 0xfffd
	v_xor_b32_e32 v70, vcc_lo, v70
	v_cmp_gt_i32_e32 vcc_lo, 0, v73
	v_not_b32_e32 v73, v74
	s_wait_alu 0xf1ff
	v_xor_b32_e32 v183, s15, v183
	v_cmp_gt_i32_e64 s15, 0, v74
	v_and_b32_e32 v70, exec_lo, v70
	v_not_b32_e32 v74, v76
	v_ashrrev_i32_e32 v73, 31, v73
	s_wait_alu 0xfffd
	v_xor_b32_e32 v72, vcc_lo, v72
	v_cmp_gt_i32_e32 vcc_lo, 0, v76
	v_and_b32_e32 v70, v70, v183
	v_not_b32_e32 v76, v77
	v_ashrrev_i32_e32 v74, 31, v74
	s_wait_alu 0xf1ff
	v_xor_b32_e32 v73, s15, v73
	v_cmp_gt_i32_e64 s15, 0, v77
	v_and_b32_e32 v70, v70, v72
	v_not_b32_e32 v72, v182
	v_ashrrev_i32_e32 v76, 31, v76
	s_wait_alu 0xfffd
	v_xor_b32_e32 v74, vcc_lo, v74
	v_cmp_gt_i32_e32 vcc_lo, 0, v182
	v_and_b32_e32 v70, v70, v73
	v_not_b32_e32 v73, v75
	v_ashrrev_i32_e32 v72, 31, v72
	s_wait_alu 0xf1ff
	v_xor_b32_e32 v76, s15, v76
	v_cmp_gt_i32_e64 s15, 0, v75
	v_and_b32_e32 v70, v70, v74
	v_ashrrev_i32_e32 v73, 31, v73
	s_wait_alu 0xfffd
	v_xor_b32_e32 v72, vcc_lo, v72
	v_mad_u32_u24 v74, v71, 36, v147
	v_mul_u32_u24_e32 v71, 36, v71
	v_and_b32_e32 v70, v70, v76
	s_wait_alu 0xf1ff
	v_xor_b32_e32 v73, s15, v73
	ds_load_b32 v182, v74 offset:1056
	v_add_nc_u32_e32 v184, v147, v71
	v_and_b32_e32 v70, v70, v72
	; wave barrier
	s_delay_alu instid0(VALU_DEP_1) | instskip(NEXT) | instid1(VALU_DEP_1)
	v_and_b32_e32 v70, v70, v73
	v_mbcnt_lo_u32_b32 v183, v70, 0
	v_cmp_ne_u32_e64 s15, 0, v70
	s_delay_alu instid0(VALU_DEP_2)
	v_cmp_eq_u32_e32 vcc_lo, 0, v183
	s_and_b32 s16, s15, vcc_lo
	s_wait_alu 0xfffe
	s_and_saveexec_b32 s15, s16
	s_cbranch_execz .LBB813_730
; %bb.729:                              ;   in Loop: Header=BB813_682 Depth=2
	s_wait_dscnt 0x0
	v_bcnt_u32_b32 v70, v70, v182
	ds_store_b32 v184, v70 offset:1056
.LBB813_730:                            ;   in Loop: Header=BB813_682 Depth=2
	s_wait_alu 0xfffe
	s_or_b32 exec_lo, exec_lo, s15
	v_xor_b32_e32 v49, 0x80000000, v49
	; wave barrier
	s_delay_alu instid0(VALU_DEP_1) | instskip(NEXT) | instid1(VALU_DEP_1)
	v_lshrrev_b64 v[70:71], s31, v[48:49]
	v_and_b32_e32 v71, s54, v70
	s_delay_alu instid0(VALU_DEP_1)
	v_and_b32_e32 v70, 1, v71
	v_lshlrev_b32_e32 v72, 30, v71
	v_lshlrev_b32_e32 v73, 29, v71
	;; [unrolled: 1-line block ×4, first 2 shown]
	v_add_co_u32 v70, s15, v70, -1
	s_wait_alu 0xf1ff
	v_cndmask_b32_e64 v75, 0, 1, s15
	v_not_b32_e32 v186, v72
	v_cmp_gt_i32_e64 s15, 0, v72
	v_not_b32_e32 v72, v73
	v_lshlrev_b32_e32 v77, 26, v71
	v_cmp_ne_u32_e32 vcc_lo, 0, v75
	v_ashrrev_i32_e32 v186, 31, v186
	v_lshlrev_b32_e32 v185, 25, v71
	v_ashrrev_i32_e32 v72, 31, v72
	v_lshlrev_b32_e32 v75, 24, v71
	s_wait_alu 0xfffd
	v_xor_b32_e32 v70, vcc_lo, v70
	v_cmp_gt_i32_e32 vcc_lo, 0, v73
	v_not_b32_e32 v73, v74
	s_wait_alu 0xf1ff
	v_xor_b32_e32 v186, s15, v186
	v_cmp_gt_i32_e64 s15, 0, v74
	v_and_b32_e32 v70, exec_lo, v70
	v_not_b32_e32 v74, v76
	v_ashrrev_i32_e32 v73, 31, v73
	s_wait_alu 0xfffd
	v_xor_b32_e32 v72, vcc_lo, v72
	v_cmp_gt_i32_e32 vcc_lo, 0, v76
	v_and_b32_e32 v70, v70, v186
	v_not_b32_e32 v76, v77
	v_ashrrev_i32_e32 v74, 31, v74
	s_wait_alu 0xf1ff
	v_xor_b32_e32 v73, s15, v73
	v_cmp_gt_i32_e64 s15, 0, v77
	v_and_b32_e32 v70, v70, v72
	v_not_b32_e32 v72, v185
	v_ashrrev_i32_e32 v76, 31, v76
	s_wait_alu 0xfffd
	v_xor_b32_e32 v74, vcc_lo, v74
	v_cmp_gt_i32_e32 vcc_lo, 0, v185
	v_and_b32_e32 v70, v70, v73
	v_not_b32_e32 v73, v75
	v_ashrrev_i32_e32 v72, 31, v72
	s_wait_alu 0xf1ff
	v_xor_b32_e32 v76, s15, v76
	v_cmp_gt_i32_e64 s15, 0, v75
	v_and_b32_e32 v70, v70, v74
	v_ashrrev_i32_e32 v73, 31, v73
	s_wait_alu 0xfffd
	v_xor_b32_e32 v72, vcc_lo, v72
	v_mad_u32_u24 v74, v71, 36, v147
	v_mul_u32_u24_e32 v71, 36, v71
	v_and_b32_e32 v70, v70, v76
	s_wait_alu 0xf1ff
	v_xor_b32_e32 v73, s15, v73
	ds_load_b32 v185, v74 offset:1056
	v_add_nc_u32_e32 v187, v147, v71
	v_and_b32_e32 v70, v70, v72
	; wave barrier
	s_delay_alu instid0(VALU_DEP_1) | instskip(NEXT) | instid1(VALU_DEP_1)
	v_and_b32_e32 v70, v70, v73
	v_mbcnt_lo_u32_b32 v186, v70, 0
	v_cmp_ne_u32_e64 s15, 0, v70
	s_delay_alu instid0(VALU_DEP_2)
	v_cmp_eq_u32_e32 vcc_lo, 0, v186
	s_and_b32 s16, s15, vcc_lo
	s_wait_alu 0xfffe
	s_and_saveexec_b32 s15, s16
	s_cbranch_execz .LBB813_732
; %bb.731:                              ;   in Loop: Header=BB813_682 Depth=2
	s_wait_dscnt 0x0
	v_bcnt_u32_b32 v70, v70, v185
	ds_store_b32 v187, v70 offset:1056
.LBB813_732:                            ;   in Loop: Header=BB813_682 Depth=2
	s_wait_alu 0xfffe
	s_or_b32 exec_lo, exec_lo, s15
	v_xor_b32_e32 v53, 0x80000000, v53
	; wave barrier
	s_delay_alu instid0(VALU_DEP_1) | instskip(NEXT) | instid1(VALU_DEP_1)
	v_lshrrev_b64 v[70:71], s31, v[52:53]
	v_and_b32_e32 v71, s54, v70
	s_delay_alu instid0(VALU_DEP_1)
	v_and_b32_e32 v70, 1, v71
	v_lshlrev_b32_e32 v72, 30, v71
	v_lshlrev_b32_e32 v73, 29, v71
	;; [unrolled: 1-line block ×4, first 2 shown]
	v_add_co_u32 v70, s15, v70, -1
	s_wait_alu 0xf1ff
	v_cndmask_b32_e64 v75, 0, 1, s15
	v_not_b32_e32 v189, v72
	v_cmp_gt_i32_e64 s15, 0, v72
	v_not_b32_e32 v72, v73
	v_lshlrev_b32_e32 v77, 26, v71
	v_cmp_ne_u32_e32 vcc_lo, 0, v75
	v_ashrrev_i32_e32 v189, 31, v189
	v_lshlrev_b32_e32 v188, 25, v71
	v_ashrrev_i32_e32 v72, 31, v72
	v_lshlrev_b32_e32 v75, 24, v71
	s_wait_alu 0xfffd
	v_xor_b32_e32 v70, vcc_lo, v70
	v_cmp_gt_i32_e32 vcc_lo, 0, v73
	v_not_b32_e32 v73, v74
	s_wait_alu 0xf1ff
	v_xor_b32_e32 v189, s15, v189
	v_cmp_gt_i32_e64 s15, 0, v74
	v_and_b32_e32 v70, exec_lo, v70
	v_not_b32_e32 v74, v76
	v_ashrrev_i32_e32 v73, 31, v73
	s_wait_alu 0xfffd
	v_xor_b32_e32 v72, vcc_lo, v72
	v_cmp_gt_i32_e32 vcc_lo, 0, v76
	v_and_b32_e32 v70, v70, v189
	v_not_b32_e32 v76, v77
	v_ashrrev_i32_e32 v74, 31, v74
	s_wait_alu 0xf1ff
	v_xor_b32_e32 v73, s15, v73
	v_cmp_gt_i32_e64 s15, 0, v77
	v_and_b32_e32 v70, v70, v72
	v_not_b32_e32 v72, v188
	v_ashrrev_i32_e32 v76, 31, v76
	s_wait_alu 0xfffd
	v_xor_b32_e32 v74, vcc_lo, v74
	v_cmp_gt_i32_e32 vcc_lo, 0, v188
	v_and_b32_e32 v70, v70, v73
	v_not_b32_e32 v73, v75
	v_ashrrev_i32_e32 v72, 31, v72
	s_wait_alu 0xf1ff
	v_xor_b32_e32 v76, s15, v76
	v_cmp_gt_i32_e64 s15, 0, v75
	v_and_b32_e32 v70, v70, v74
	v_ashrrev_i32_e32 v73, 31, v73
	s_wait_alu 0xfffd
	v_xor_b32_e32 v72, vcc_lo, v72
	v_mad_u32_u24 v74, v71, 36, v147
	v_mul_u32_u24_e32 v71, 36, v71
	v_and_b32_e32 v70, v70, v76
	s_wait_alu 0xf1ff
	v_xor_b32_e32 v73, s15, v73
	ds_load_b32 v188, v74 offset:1056
	v_add_nc_u32_e32 v190, v147, v71
	v_and_b32_e32 v70, v70, v72
	; wave barrier
	s_delay_alu instid0(VALU_DEP_1) | instskip(NEXT) | instid1(VALU_DEP_1)
	v_and_b32_e32 v70, v70, v73
	v_mbcnt_lo_u32_b32 v189, v70, 0
	v_cmp_ne_u32_e64 s15, 0, v70
	s_delay_alu instid0(VALU_DEP_2)
	v_cmp_eq_u32_e32 vcc_lo, 0, v189
	s_and_b32 s16, s15, vcc_lo
	s_wait_alu 0xfffe
	s_and_saveexec_b32 s15, s16
	s_cbranch_execz .LBB813_734
; %bb.733:                              ;   in Loop: Header=BB813_682 Depth=2
	s_wait_dscnt 0x0
	v_bcnt_u32_b32 v70, v70, v188
	ds_store_b32 v190, v70 offset:1056
.LBB813_734:                            ;   in Loop: Header=BB813_682 Depth=2
	s_wait_alu 0xfffe
	s_or_b32 exec_lo, exec_lo, s15
	v_xor_b32_e32 v55, 0x80000000, v55
	; wave barrier
	s_delay_alu instid0(VALU_DEP_1) | instskip(NEXT) | instid1(VALU_DEP_1)
	v_lshrrev_b64 v[70:71], s31, v[54:55]
	v_and_b32_e32 v71, s54, v70
	s_delay_alu instid0(VALU_DEP_1)
	v_and_b32_e32 v70, 1, v71
	v_lshlrev_b32_e32 v72, 30, v71
	v_lshlrev_b32_e32 v73, 29, v71
	;; [unrolled: 1-line block ×4, first 2 shown]
	v_add_co_u32 v70, s15, v70, -1
	s_wait_alu 0xf1ff
	v_cndmask_b32_e64 v75, 0, 1, s15
	v_not_b32_e32 v192, v72
	v_cmp_gt_i32_e64 s15, 0, v72
	v_not_b32_e32 v72, v73
	v_lshlrev_b32_e32 v77, 26, v71
	v_cmp_ne_u32_e32 vcc_lo, 0, v75
	v_ashrrev_i32_e32 v192, 31, v192
	v_lshlrev_b32_e32 v191, 25, v71
	v_ashrrev_i32_e32 v72, 31, v72
	v_lshlrev_b32_e32 v75, 24, v71
	s_wait_alu 0xfffd
	v_xor_b32_e32 v70, vcc_lo, v70
	v_cmp_gt_i32_e32 vcc_lo, 0, v73
	v_not_b32_e32 v73, v74
	s_wait_alu 0xf1ff
	v_xor_b32_e32 v192, s15, v192
	v_cmp_gt_i32_e64 s15, 0, v74
	v_and_b32_e32 v70, exec_lo, v70
	v_not_b32_e32 v74, v76
	v_ashrrev_i32_e32 v73, 31, v73
	s_wait_alu 0xfffd
	v_xor_b32_e32 v72, vcc_lo, v72
	v_cmp_gt_i32_e32 vcc_lo, 0, v76
	v_and_b32_e32 v70, v70, v192
	v_not_b32_e32 v76, v77
	v_ashrrev_i32_e32 v74, 31, v74
	s_wait_alu 0xf1ff
	v_xor_b32_e32 v73, s15, v73
	v_cmp_gt_i32_e64 s15, 0, v77
	v_and_b32_e32 v70, v70, v72
	v_not_b32_e32 v72, v191
	v_ashrrev_i32_e32 v76, 31, v76
	s_wait_alu 0xfffd
	v_xor_b32_e32 v74, vcc_lo, v74
	v_cmp_gt_i32_e32 vcc_lo, 0, v191
	v_and_b32_e32 v70, v70, v73
	v_not_b32_e32 v73, v75
	v_ashrrev_i32_e32 v72, 31, v72
	s_wait_alu 0xf1ff
	v_xor_b32_e32 v76, s15, v76
	v_cmp_gt_i32_e64 s15, 0, v75
	v_and_b32_e32 v70, v70, v74
	v_ashrrev_i32_e32 v73, 31, v73
	s_wait_alu 0xfffd
	v_xor_b32_e32 v72, vcc_lo, v72
	v_mad_u32_u24 v74, v71, 36, v147
	v_mul_u32_u24_e32 v71, 36, v71
	v_and_b32_e32 v70, v70, v76
	s_wait_alu 0xf1ff
	v_xor_b32_e32 v73, s15, v73
	ds_load_b32 v191, v74 offset:1056
	v_add_nc_u32_e32 v193, v147, v71
	v_and_b32_e32 v70, v70, v72
	; wave barrier
	s_delay_alu instid0(VALU_DEP_1) | instskip(NEXT) | instid1(VALU_DEP_1)
	v_and_b32_e32 v70, v70, v73
	v_mbcnt_lo_u32_b32 v192, v70, 0
	v_cmp_ne_u32_e64 s15, 0, v70
	s_delay_alu instid0(VALU_DEP_2)
	v_cmp_eq_u32_e32 vcc_lo, 0, v192
	s_and_b32 s16, s15, vcc_lo
	s_wait_alu 0xfffe
	s_and_saveexec_b32 s15, s16
	s_cbranch_execz .LBB813_736
; %bb.735:                              ;   in Loop: Header=BB813_682 Depth=2
	s_wait_dscnt 0x0
	v_bcnt_u32_b32 v70, v70, v191
	ds_store_b32 v193, v70 offset:1056
.LBB813_736:                            ;   in Loop: Header=BB813_682 Depth=2
	s_wait_alu 0xfffe
	s_or_b32 exec_lo, exec_lo, s15
	v_xor_b32_e32 v57, 0x80000000, v57
	; wave barrier
	s_delay_alu instid0(VALU_DEP_1) | instskip(NEXT) | instid1(VALU_DEP_1)
	v_lshrrev_b64 v[70:71], s31, v[56:57]
	v_and_b32_e32 v71, s54, v70
	s_delay_alu instid0(VALU_DEP_1)
	v_and_b32_e32 v70, 1, v71
	v_lshlrev_b32_e32 v72, 30, v71
	v_lshlrev_b32_e32 v73, 29, v71
	;; [unrolled: 1-line block ×4, first 2 shown]
	v_add_co_u32 v70, s15, v70, -1
	s_wait_alu 0xf1ff
	v_cndmask_b32_e64 v75, 0, 1, s15
	v_not_b32_e32 v195, v72
	v_cmp_gt_i32_e64 s15, 0, v72
	v_not_b32_e32 v72, v73
	v_lshlrev_b32_e32 v77, 26, v71
	v_cmp_ne_u32_e32 vcc_lo, 0, v75
	v_ashrrev_i32_e32 v195, 31, v195
	v_lshlrev_b32_e32 v194, 25, v71
	v_ashrrev_i32_e32 v72, 31, v72
	v_lshlrev_b32_e32 v75, 24, v71
	s_wait_alu 0xfffd
	v_xor_b32_e32 v70, vcc_lo, v70
	v_cmp_gt_i32_e32 vcc_lo, 0, v73
	v_not_b32_e32 v73, v74
	s_wait_alu 0xf1ff
	v_xor_b32_e32 v195, s15, v195
	v_cmp_gt_i32_e64 s15, 0, v74
	v_and_b32_e32 v70, exec_lo, v70
	v_not_b32_e32 v74, v76
	v_ashrrev_i32_e32 v73, 31, v73
	s_wait_alu 0xfffd
	v_xor_b32_e32 v72, vcc_lo, v72
	v_cmp_gt_i32_e32 vcc_lo, 0, v76
	v_and_b32_e32 v70, v70, v195
	v_not_b32_e32 v76, v77
	v_ashrrev_i32_e32 v74, 31, v74
	s_wait_alu 0xf1ff
	v_xor_b32_e32 v73, s15, v73
	v_cmp_gt_i32_e64 s15, 0, v77
	v_and_b32_e32 v70, v70, v72
	v_not_b32_e32 v72, v194
	v_ashrrev_i32_e32 v76, 31, v76
	s_wait_alu 0xfffd
	v_xor_b32_e32 v74, vcc_lo, v74
	v_cmp_gt_i32_e32 vcc_lo, 0, v194
	v_and_b32_e32 v70, v70, v73
	v_not_b32_e32 v73, v75
	v_ashrrev_i32_e32 v72, 31, v72
	s_wait_alu 0xf1ff
	v_xor_b32_e32 v76, s15, v76
	v_cmp_gt_i32_e64 s15, 0, v75
	v_and_b32_e32 v70, v70, v74
	v_ashrrev_i32_e32 v73, 31, v73
	s_wait_alu 0xfffd
	v_xor_b32_e32 v72, vcc_lo, v72
	v_mad_u32_u24 v74, v71, 36, v147
	v_mul_u32_u24_e32 v71, 36, v71
	v_and_b32_e32 v70, v70, v76
	s_wait_alu 0xf1ff
	v_xor_b32_e32 v73, s15, v73
	ds_load_b32 v194, v74 offset:1056
	v_add_nc_u32_e32 v196, v147, v71
	v_and_b32_e32 v70, v70, v72
	; wave barrier
	s_delay_alu instid0(VALU_DEP_1) | instskip(NEXT) | instid1(VALU_DEP_1)
	v_and_b32_e32 v70, v70, v73
	v_mbcnt_lo_u32_b32 v195, v70, 0
	v_cmp_ne_u32_e64 s15, 0, v70
	s_delay_alu instid0(VALU_DEP_2)
	v_cmp_eq_u32_e32 vcc_lo, 0, v195
	s_and_b32 s16, s15, vcc_lo
	s_wait_alu 0xfffe
	s_and_saveexec_b32 s15, s16
	s_cbranch_execz .LBB813_738
; %bb.737:                              ;   in Loop: Header=BB813_682 Depth=2
	s_wait_dscnt 0x0
	v_bcnt_u32_b32 v70, v70, v194
	ds_store_b32 v196, v70 offset:1056
.LBB813_738:                            ;   in Loop: Header=BB813_682 Depth=2
	s_wait_alu 0xfffe
	s_or_b32 exec_lo, exec_lo, s15
	v_xor_b32_e32 v61, 0x80000000, v61
	; wave barrier
	s_delay_alu instid0(VALU_DEP_1) | instskip(NEXT) | instid1(VALU_DEP_1)
	v_lshrrev_b64 v[70:71], s31, v[60:61]
	v_and_b32_e32 v71, s54, v70
	s_delay_alu instid0(VALU_DEP_1)
	v_and_b32_e32 v70, 1, v71
	v_lshlrev_b32_e32 v72, 30, v71
	v_lshlrev_b32_e32 v73, 29, v71
	;; [unrolled: 1-line block ×4, first 2 shown]
	v_add_co_u32 v70, s15, v70, -1
	s_wait_alu 0xf1ff
	v_cndmask_b32_e64 v75, 0, 1, s15
	v_not_b32_e32 v198, v72
	v_cmp_gt_i32_e64 s15, 0, v72
	v_not_b32_e32 v72, v73
	v_lshlrev_b32_e32 v77, 26, v71
	v_cmp_ne_u32_e32 vcc_lo, 0, v75
	v_ashrrev_i32_e32 v198, 31, v198
	v_lshlrev_b32_e32 v197, 25, v71
	v_ashrrev_i32_e32 v72, 31, v72
	v_lshlrev_b32_e32 v75, 24, v71
	s_wait_alu 0xfffd
	v_xor_b32_e32 v70, vcc_lo, v70
	v_cmp_gt_i32_e32 vcc_lo, 0, v73
	v_not_b32_e32 v73, v74
	s_wait_alu 0xf1ff
	v_xor_b32_e32 v198, s15, v198
	v_cmp_gt_i32_e64 s15, 0, v74
	v_and_b32_e32 v70, exec_lo, v70
	v_not_b32_e32 v74, v76
	v_ashrrev_i32_e32 v73, 31, v73
	s_wait_alu 0xfffd
	v_xor_b32_e32 v72, vcc_lo, v72
	v_cmp_gt_i32_e32 vcc_lo, 0, v76
	v_and_b32_e32 v70, v70, v198
	v_not_b32_e32 v76, v77
	v_ashrrev_i32_e32 v74, 31, v74
	s_wait_alu 0xf1ff
	v_xor_b32_e32 v73, s15, v73
	v_cmp_gt_i32_e64 s15, 0, v77
	v_and_b32_e32 v70, v70, v72
	v_not_b32_e32 v72, v197
	v_ashrrev_i32_e32 v76, 31, v76
	s_wait_alu 0xfffd
	v_xor_b32_e32 v74, vcc_lo, v74
	v_cmp_gt_i32_e32 vcc_lo, 0, v197
	v_and_b32_e32 v70, v70, v73
	v_not_b32_e32 v73, v75
	v_ashrrev_i32_e32 v72, 31, v72
	s_wait_alu 0xf1ff
	v_xor_b32_e32 v76, s15, v76
	v_cmp_gt_i32_e64 s15, 0, v75
	v_and_b32_e32 v70, v70, v74
	v_ashrrev_i32_e32 v73, 31, v73
	s_wait_alu 0xfffd
	v_xor_b32_e32 v72, vcc_lo, v72
	v_mad_u32_u24 v74, v71, 36, v147
	v_mul_u32_u24_e32 v71, 36, v71
	v_and_b32_e32 v70, v70, v76
	s_wait_alu 0xf1ff
	v_xor_b32_e32 v73, s15, v73
	ds_load_b32 v197, v74 offset:1056
	v_add_nc_u32_e32 v199, v147, v71
	v_and_b32_e32 v70, v70, v72
	; wave barrier
	s_delay_alu instid0(VALU_DEP_1) | instskip(NEXT) | instid1(VALU_DEP_1)
	v_and_b32_e32 v70, v70, v73
	v_mbcnt_lo_u32_b32 v198, v70, 0
	v_cmp_ne_u32_e64 s15, 0, v70
	s_delay_alu instid0(VALU_DEP_2)
	v_cmp_eq_u32_e32 vcc_lo, 0, v198
	s_and_b32 s16, s15, vcc_lo
	s_wait_alu 0xfffe
	s_and_saveexec_b32 s15, s16
	s_cbranch_execz .LBB813_740
; %bb.739:                              ;   in Loop: Header=BB813_682 Depth=2
	s_wait_dscnt 0x0
	v_bcnt_u32_b32 v70, v70, v197
	ds_store_b32 v199, v70 offset:1056
.LBB813_740:                            ;   in Loop: Header=BB813_682 Depth=2
	s_wait_alu 0xfffe
	s_or_b32 exec_lo, exec_lo, s15
	v_xor_b32_e32 v59, 0x80000000, v59
	; wave barrier
	s_delay_alu instid0(VALU_DEP_1) | instskip(NEXT) | instid1(VALU_DEP_1)
	v_lshrrev_b64 v[70:71], s31, v[58:59]
	v_and_b32_e32 v71, s54, v70
	s_delay_alu instid0(VALU_DEP_1)
	v_and_b32_e32 v70, 1, v71
	v_lshlrev_b32_e32 v72, 30, v71
	v_lshlrev_b32_e32 v73, 29, v71
	;; [unrolled: 1-line block ×4, first 2 shown]
	v_add_co_u32 v70, s15, v70, -1
	s_wait_alu 0xf1ff
	v_cndmask_b32_e64 v75, 0, 1, s15
	v_not_b32_e32 v201, v72
	v_cmp_gt_i32_e64 s15, 0, v72
	v_not_b32_e32 v72, v73
	v_lshlrev_b32_e32 v77, 26, v71
	v_cmp_ne_u32_e32 vcc_lo, 0, v75
	v_ashrrev_i32_e32 v201, 31, v201
	v_lshlrev_b32_e32 v200, 25, v71
	v_ashrrev_i32_e32 v72, 31, v72
	v_lshlrev_b32_e32 v75, 24, v71
	s_wait_alu 0xfffd
	v_xor_b32_e32 v70, vcc_lo, v70
	v_cmp_gt_i32_e32 vcc_lo, 0, v73
	v_not_b32_e32 v73, v74
	s_wait_alu 0xf1ff
	v_xor_b32_e32 v201, s15, v201
	v_cmp_gt_i32_e64 s15, 0, v74
	v_and_b32_e32 v70, exec_lo, v70
	v_not_b32_e32 v74, v76
	v_ashrrev_i32_e32 v73, 31, v73
	s_wait_alu 0xfffd
	v_xor_b32_e32 v72, vcc_lo, v72
	v_cmp_gt_i32_e32 vcc_lo, 0, v76
	v_and_b32_e32 v70, v70, v201
	v_not_b32_e32 v76, v77
	v_ashrrev_i32_e32 v74, 31, v74
	s_wait_alu 0xf1ff
	v_xor_b32_e32 v73, s15, v73
	v_cmp_gt_i32_e64 s15, 0, v77
	v_and_b32_e32 v70, v70, v72
	v_not_b32_e32 v72, v200
	v_ashrrev_i32_e32 v76, 31, v76
	s_wait_alu 0xfffd
	v_xor_b32_e32 v74, vcc_lo, v74
	v_cmp_gt_i32_e32 vcc_lo, 0, v200
	v_and_b32_e32 v70, v70, v73
	v_not_b32_e32 v73, v75
	v_ashrrev_i32_e32 v72, 31, v72
	s_wait_alu 0xf1ff
	v_xor_b32_e32 v76, s15, v76
	v_cmp_gt_i32_e64 s15, 0, v75
	v_and_b32_e32 v70, v70, v74
	v_ashrrev_i32_e32 v73, 31, v73
	s_wait_alu 0xfffd
	v_xor_b32_e32 v72, vcc_lo, v72
	v_mad_u32_u24 v74, v71, 36, v147
	v_mul_u32_u24_e32 v71, 36, v71
	v_and_b32_e32 v70, v70, v76
	s_wait_alu 0xf1ff
	v_xor_b32_e32 v73, s15, v73
	ds_load_b32 v200, v74 offset:1056
	v_add_nc_u32_e32 v202, v147, v71
	v_and_b32_e32 v70, v70, v72
	; wave barrier
	s_delay_alu instid0(VALU_DEP_1) | instskip(NEXT) | instid1(VALU_DEP_1)
	v_and_b32_e32 v70, v70, v73
	v_mbcnt_lo_u32_b32 v201, v70, 0
	v_cmp_ne_u32_e64 s15, 0, v70
	s_delay_alu instid0(VALU_DEP_2)
	v_cmp_eq_u32_e32 vcc_lo, 0, v201
	s_and_b32 s16, s15, vcc_lo
	s_wait_alu 0xfffe
	s_and_saveexec_b32 s15, s16
	s_cbranch_execz .LBB813_742
; %bb.741:                              ;   in Loop: Header=BB813_682 Depth=2
	s_wait_dscnt 0x0
	v_bcnt_u32_b32 v70, v70, v200
	ds_store_b32 v202, v70 offset:1056
.LBB813_742:                            ;   in Loop: Header=BB813_682 Depth=2
	s_wait_alu 0xfffe
	s_or_b32 exec_lo, exec_lo, s15
	v_xor_b32_e32 v63, 0x80000000, v63
	; wave barrier
	s_delay_alu instid0(VALU_DEP_1) | instskip(NEXT) | instid1(VALU_DEP_1)
	v_lshrrev_b64 v[70:71], s31, v[62:63]
	v_and_b32_e32 v71, s54, v70
	s_delay_alu instid0(VALU_DEP_1)
	v_and_b32_e32 v70, 1, v71
	v_lshlrev_b32_e32 v72, 30, v71
	v_lshlrev_b32_e32 v73, 29, v71
	;; [unrolled: 1-line block ×4, first 2 shown]
	v_add_co_u32 v70, s15, v70, -1
	s_wait_alu 0xf1ff
	v_cndmask_b32_e64 v75, 0, 1, s15
	v_not_b32_e32 v204, v72
	v_cmp_gt_i32_e64 s15, 0, v72
	v_not_b32_e32 v72, v73
	v_lshlrev_b32_e32 v77, 26, v71
	v_cmp_ne_u32_e32 vcc_lo, 0, v75
	v_ashrrev_i32_e32 v204, 31, v204
	v_lshlrev_b32_e32 v203, 25, v71
	v_ashrrev_i32_e32 v72, 31, v72
	v_lshlrev_b32_e32 v75, 24, v71
	s_wait_alu 0xfffd
	v_xor_b32_e32 v70, vcc_lo, v70
	v_cmp_gt_i32_e32 vcc_lo, 0, v73
	v_not_b32_e32 v73, v74
	s_wait_alu 0xf1ff
	v_xor_b32_e32 v204, s15, v204
	v_cmp_gt_i32_e64 s15, 0, v74
	v_and_b32_e32 v70, exec_lo, v70
	v_not_b32_e32 v74, v76
	v_ashrrev_i32_e32 v73, 31, v73
	s_wait_alu 0xfffd
	v_xor_b32_e32 v72, vcc_lo, v72
	v_cmp_gt_i32_e32 vcc_lo, 0, v76
	v_and_b32_e32 v70, v70, v204
	v_not_b32_e32 v76, v77
	v_ashrrev_i32_e32 v74, 31, v74
	s_wait_alu 0xf1ff
	v_xor_b32_e32 v73, s15, v73
	v_cmp_gt_i32_e64 s15, 0, v77
	v_and_b32_e32 v70, v70, v72
	v_not_b32_e32 v72, v203
	v_ashrrev_i32_e32 v76, 31, v76
	s_wait_alu 0xfffd
	v_xor_b32_e32 v74, vcc_lo, v74
	v_cmp_gt_i32_e32 vcc_lo, 0, v203
	v_and_b32_e32 v70, v70, v73
	v_not_b32_e32 v73, v75
	v_ashrrev_i32_e32 v72, 31, v72
	s_wait_alu 0xf1ff
	v_xor_b32_e32 v76, s15, v76
	v_cmp_gt_i32_e64 s15, 0, v75
	v_and_b32_e32 v70, v70, v74
	v_ashrrev_i32_e32 v73, 31, v73
	s_wait_alu 0xfffd
	v_xor_b32_e32 v72, vcc_lo, v72
	v_mad_u32_u24 v74, v71, 36, v147
	v_mul_u32_u24_e32 v71, 36, v71
	v_and_b32_e32 v70, v70, v76
	s_wait_alu 0xf1ff
	v_xor_b32_e32 v73, s15, v73
	ds_load_b32 v203, v74 offset:1056
	v_add_nc_u32_e32 v206, v147, v71
	v_and_b32_e32 v70, v70, v72
	; wave barrier
	s_delay_alu instid0(VALU_DEP_1) | instskip(NEXT) | instid1(VALU_DEP_1)
	v_and_b32_e32 v70, v70, v73
	v_mbcnt_lo_u32_b32 v204, v70, 0
	v_cmp_ne_u32_e64 s15, 0, v70
	s_delay_alu instid0(VALU_DEP_2)
	v_cmp_eq_u32_e32 vcc_lo, 0, v204
	s_and_b32 s16, s15, vcc_lo
	s_wait_alu 0xfffe
	s_and_saveexec_b32 s15, s16
	s_cbranch_execz .LBB813_744
; %bb.743:                              ;   in Loop: Header=BB813_682 Depth=2
	s_wait_dscnt 0x0
	v_bcnt_u32_b32 v70, v70, v203
	ds_store_b32 v206, v70 offset:1056
.LBB813_744:                            ;   in Loop: Header=BB813_682 Depth=2
	s_wait_alu 0xfffe
	s_or_b32 exec_lo, exec_lo, s15
	v_xor_b32_e32 v65, 0x80000000, v65
	; wave barrier
	s_delay_alu instid0(VALU_DEP_1) | instskip(NEXT) | instid1(VALU_DEP_1)
	v_lshrrev_b64 v[70:71], s31, v[64:65]
	v_and_b32_e32 v71, s54, v70
	s_delay_alu instid0(VALU_DEP_1)
	v_and_b32_e32 v70, 1, v71
	v_lshlrev_b32_e32 v72, 30, v71
	v_lshlrev_b32_e32 v73, 29, v71
	v_lshlrev_b32_e32 v74, 28, v71
	v_lshlrev_b32_e32 v76, 27, v71
	v_add_co_u32 v70, s15, v70, -1
	s_wait_alu 0xf1ff
	v_cndmask_b32_e64 v75, 0, 1, s15
	v_not_b32_e32 v207, v72
	v_cmp_gt_i32_e64 s15, 0, v72
	v_not_b32_e32 v72, v73
	v_lshlrev_b32_e32 v77, 26, v71
	v_cmp_ne_u32_e32 vcc_lo, 0, v75
	v_ashrrev_i32_e32 v207, 31, v207
	v_lshlrev_b32_e32 v205, 25, v71
	v_ashrrev_i32_e32 v72, 31, v72
	v_lshlrev_b32_e32 v75, 24, v71
	s_wait_alu 0xfffd
	v_xor_b32_e32 v70, vcc_lo, v70
	v_cmp_gt_i32_e32 vcc_lo, 0, v73
	v_not_b32_e32 v73, v74
	s_wait_alu 0xf1ff
	v_xor_b32_e32 v207, s15, v207
	v_cmp_gt_i32_e64 s15, 0, v74
	v_and_b32_e32 v70, exec_lo, v70
	v_not_b32_e32 v74, v76
	v_ashrrev_i32_e32 v73, 31, v73
	s_wait_alu 0xfffd
	v_xor_b32_e32 v72, vcc_lo, v72
	v_cmp_gt_i32_e32 vcc_lo, 0, v76
	v_and_b32_e32 v70, v70, v207
	v_not_b32_e32 v76, v77
	v_ashrrev_i32_e32 v74, 31, v74
	s_wait_alu 0xf1ff
	v_xor_b32_e32 v73, s15, v73
	v_cmp_gt_i32_e64 s15, 0, v77
	v_and_b32_e32 v70, v70, v72
	v_not_b32_e32 v72, v205
	v_ashrrev_i32_e32 v76, 31, v76
	s_wait_alu 0xfffd
	v_xor_b32_e32 v74, vcc_lo, v74
	v_cmp_gt_i32_e32 vcc_lo, 0, v205
	v_and_b32_e32 v70, v70, v73
	v_not_b32_e32 v73, v75
	v_ashrrev_i32_e32 v72, 31, v72
	s_wait_alu 0xf1ff
	v_xor_b32_e32 v76, s15, v76
	v_cmp_gt_i32_e64 s15, 0, v75
	v_and_b32_e32 v70, v70, v74
	v_ashrrev_i32_e32 v73, 31, v73
	s_wait_alu 0xfffd
	v_xor_b32_e32 v72, vcc_lo, v72
	v_mad_u32_u24 v74, v71, 36, v147
	v_mul_u32_u24_e32 v71, 36, v71
	v_and_b32_e32 v70, v70, v76
	s_wait_alu 0xf1ff
	v_xor_b32_e32 v73, s15, v73
	ds_load_b32 v205, v74 offset:1056
	v_add_nc_u32_e32 v209, v147, v71
	v_and_b32_e32 v70, v70, v72
	; wave barrier
	s_delay_alu instid0(VALU_DEP_1) | instskip(NEXT) | instid1(VALU_DEP_1)
	v_and_b32_e32 v70, v70, v73
	v_mbcnt_lo_u32_b32 v207, v70, 0
	v_cmp_ne_u32_e64 s15, 0, v70
	s_delay_alu instid0(VALU_DEP_2)
	v_cmp_eq_u32_e32 vcc_lo, 0, v207
	s_and_b32 s16, s15, vcc_lo
	s_wait_alu 0xfffe
	s_and_saveexec_b32 s15, s16
	s_cbranch_execz .LBB813_746
; %bb.745:                              ;   in Loop: Header=BB813_682 Depth=2
	s_wait_dscnt 0x0
	v_bcnt_u32_b32 v70, v70, v205
	ds_store_b32 v209, v70 offset:1056
.LBB813_746:                            ;   in Loop: Header=BB813_682 Depth=2
	s_wait_alu 0xfffe
	s_or_b32 exec_lo, exec_lo, s15
	v_xor_b32_e32 v67, 0x80000000, v67
	; wave barrier
	s_delay_alu instid0(VALU_DEP_1) | instskip(NEXT) | instid1(VALU_DEP_1)
	v_lshrrev_b64 v[70:71], s31, v[66:67]
	v_and_b32_e32 v71, s54, v70
	s_delay_alu instid0(VALU_DEP_1)
	v_and_b32_e32 v70, 1, v71
	v_lshlrev_b32_e32 v72, 30, v71
	v_lshlrev_b32_e32 v73, 29, v71
	;; [unrolled: 1-line block ×4, first 2 shown]
	v_add_co_u32 v70, s15, v70, -1
	s_wait_alu 0xf1ff
	v_cndmask_b32_e64 v75, 0, 1, s15
	v_not_b32_e32 v210, v72
	v_cmp_gt_i32_e64 s15, 0, v72
	v_not_b32_e32 v72, v73
	v_lshlrev_b32_e32 v77, 26, v71
	v_cmp_ne_u32_e32 vcc_lo, 0, v75
	v_ashrrev_i32_e32 v210, 31, v210
	v_lshlrev_b32_e32 v208, 25, v71
	v_ashrrev_i32_e32 v72, 31, v72
	v_lshlrev_b32_e32 v75, 24, v71
	s_wait_alu 0xfffd
	v_xor_b32_e32 v70, vcc_lo, v70
	v_cmp_gt_i32_e32 vcc_lo, 0, v73
	v_not_b32_e32 v73, v74
	s_wait_alu 0xf1ff
	v_xor_b32_e32 v210, s15, v210
	v_cmp_gt_i32_e64 s15, 0, v74
	v_and_b32_e32 v70, exec_lo, v70
	v_not_b32_e32 v74, v76
	v_ashrrev_i32_e32 v73, 31, v73
	s_wait_alu 0xfffd
	v_xor_b32_e32 v72, vcc_lo, v72
	v_cmp_gt_i32_e32 vcc_lo, 0, v76
	v_and_b32_e32 v70, v70, v210
	v_not_b32_e32 v76, v77
	v_ashrrev_i32_e32 v74, 31, v74
	s_wait_alu 0xf1ff
	v_xor_b32_e32 v73, s15, v73
	v_cmp_gt_i32_e64 s15, 0, v77
	v_and_b32_e32 v70, v70, v72
	v_not_b32_e32 v72, v208
	v_ashrrev_i32_e32 v76, 31, v76
	s_wait_alu 0xfffd
	v_xor_b32_e32 v74, vcc_lo, v74
	v_cmp_gt_i32_e32 vcc_lo, 0, v208
	v_and_b32_e32 v70, v70, v73
	v_not_b32_e32 v73, v75
	v_ashrrev_i32_e32 v72, 31, v72
	s_wait_alu 0xf1ff
	v_xor_b32_e32 v76, s15, v76
	v_cmp_gt_i32_e64 s15, 0, v75
	v_and_b32_e32 v70, v70, v74
	v_ashrrev_i32_e32 v73, 31, v73
	s_wait_alu 0xfffd
	v_xor_b32_e32 v72, vcc_lo, v72
	v_mad_u32_u24 v74, v71, 36, v147
	v_mul_u32_u24_e32 v71, 36, v71
	v_and_b32_e32 v70, v70, v76
	s_wait_alu 0xf1ff
	v_xor_b32_e32 v73, s15, v73
	ds_load_b32 v208, v74 offset:1056
	v_add_nc_u32_e32 v213, v147, v71
	v_and_b32_e32 v70, v70, v72
	; wave barrier
	s_delay_alu instid0(VALU_DEP_1) | instskip(NEXT) | instid1(VALU_DEP_1)
	v_and_b32_e32 v70, v70, v73
	v_mbcnt_lo_u32_b32 v210, v70, 0
	v_cmp_ne_u32_e64 s15, 0, v70
	s_delay_alu instid0(VALU_DEP_2)
	v_cmp_eq_u32_e32 vcc_lo, 0, v210
	s_and_b32 s16, s15, vcc_lo
	s_wait_alu 0xfffe
	s_and_saveexec_b32 s15, s16
	s_cbranch_execz .LBB813_748
; %bb.747:                              ;   in Loop: Header=BB813_682 Depth=2
	s_wait_dscnt 0x0
	v_bcnt_u32_b32 v70, v70, v208
	ds_store_b32 v213, v70 offset:1056
.LBB813_748:                            ;   in Loop: Header=BB813_682 Depth=2
	s_wait_alu 0xfffe
	s_or_b32 exec_lo, exec_lo, s15
	v_lshrrev_b64 v[70:71], s31, v[68:69]
	; wave barrier
	s_delay_alu instid0(VALU_DEP_1) | instskip(NEXT) | instid1(VALU_DEP_1)
	v_and_b32_e32 v71, s54, v70
	v_and_b32_e32 v70, 1, v71
	v_lshlrev_b32_e32 v72, 30, v71
	v_lshlrev_b32_e32 v73, 29, v71
	;; [unrolled: 1-line block ×4, first 2 shown]
	v_add_co_u32 v70, s15, v70, -1
	s_wait_alu 0xf1ff
	v_cndmask_b32_e64 v75, 0, 1, s15
	v_not_b32_e32 v212, v72
	v_cmp_gt_i32_e64 s15, 0, v72
	v_not_b32_e32 v72, v73
	v_lshlrev_b32_e32 v77, 26, v71
	v_cmp_ne_u32_e32 vcc_lo, 0, v75
	v_ashrrev_i32_e32 v212, 31, v212
	v_lshlrev_b32_e32 v211, 25, v71
	v_ashrrev_i32_e32 v72, 31, v72
	v_lshlrev_b32_e32 v75, 24, v71
	s_wait_alu 0xfffd
	v_xor_b32_e32 v70, vcc_lo, v70
	v_cmp_gt_i32_e32 vcc_lo, 0, v73
	v_not_b32_e32 v73, v74
	s_wait_alu 0xf1ff
	v_xor_b32_e32 v212, s15, v212
	v_cmp_gt_i32_e64 s15, 0, v74
	v_and_b32_e32 v70, exec_lo, v70
	v_not_b32_e32 v74, v76
	v_ashrrev_i32_e32 v73, 31, v73
	s_wait_alu 0xfffd
	v_xor_b32_e32 v72, vcc_lo, v72
	v_cmp_gt_i32_e32 vcc_lo, 0, v76
	v_and_b32_e32 v70, v70, v212
	v_not_b32_e32 v76, v77
	v_ashrrev_i32_e32 v74, 31, v74
	s_wait_alu 0xf1ff
	v_xor_b32_e32 v73, s15, v73
	v_cmp_gt_i32_e64 s15, 0, v77
	v_and_b32_e32 v70, v70, v72
	v_not_b32_e32 v72, v211
	v_ashrrev_i32_e32 v76, 31, v76
	s_wait_alu 0xfffd
	v_xor_b32_e32 v74, vcc_lo, v74
	v_cmp_gt_i32_e32 vcc_lo, 0, v211
	v_and_b32_e32 v70, v70, v73
	v_not_b32_e32 v73, v75
	v_ashrrev_i32_e32 v72, 31, v72
	s_wait_alu 0xf1ff
	v_xor_b32_e32 v76, s15, v76
	v_cmp_gt_i32_e64 s15, 0, v75
	v_and_b32_e32 v70, v70, v74
	v_ashrrev_i32_e32 v73, 31, v73
	s_wait_alu 0xfffd
	v_xor_b32_e32 v72, vcc_lo, v72
	v_mad_u32_u24 v74, v71, 36, v147
	v_mul_u32_u24_e32 v71, 36, v71
	v_and_b32_e32 v70, v70, v76
	s_wait_alu 0xf1ff
	v_xor_b32_e32 v73, s15, v73
	ds_load_b32 v211, v74 offset:1056
	v_add_nc_u32_e32 v214, v147, v71
	v_and_b32_e32 v70, v70, v72
	; wave barrier
	s_delay_alu instid0(VALU_DEP_1) | instskip(NEXT) | instid1(VALU_DEP_1)
	v_and_b32_e32 v70, v70, v73
	v_mbcnt_lo_u32_b32 v212, v70, 0
	v_cmp_ne_u32_e64 s15, 0, v70
	s_delay_alu instid0(VALU_DEP_2)
	v_cmp_eq_u32_e32 vcc_lo, 0, v212
	s_and_b32 s16, s15, vcc_lo
	s_wait_alu 0xfffe
	s_and_saveexec_b32 s15, s16
	s_cbranch_execz .LBB813_750
; %bb.749:                              ;   in Loop: Header=BB813_682 Depth=2
	s_wait_dscnt 0x0
	v_bcnt_u32_b32 v70, v70, v211
	ds_store_b32 v214, v70 offset:1056
.LBB813_750:                            ;   in Loop: Header=BB813_682 Depth=2
	s_wait_alu 0xfffe
	s_or_b32 exec_lo, exec_lo, s15
	; wave barrier
	s_wait_loadcnt_dscnt 0x0
	s_barrier_signal -1
	s_barrier_wait -1
	global_inv scope:SCOPE_SE
	ds_load_2addr_b32 v[76:77], v166 offset1:1
	ds_load_2addr_b32 v[74:75], v167 offset1:1
	;; [unrolled: 1-line block ×4, first 2 shown]
	ds_load_b32 v215, v102 offset:1088
	s_wait_dscnt 0x3
	v_add3_u32 v216, v77, v76, v74
	s_wait_dscnt 0x2
	s_delay_alu instid0(VALU_DEP_1) | instskip(SKIP_1) | instid1(VALU_DEP_1)
	v_add3_u32 v216, v216, v75, v72
	s_wait_dscnt 0x1
	v_add3_u32 v216, v216, v73, v70
	s_wait_dscnt 0x0
	s_delay_alu instid0(VALU_DEP_1) | instskip(NEXT) | instid1(VALU_DEP_1)
	v_add3_u32 v215, v216, v71, v215
	v_mov_b32_dpp v216, v215 row_shr:1 row_mask:0xf bank_mask:0xf
	s_delay_alu instid0(VALU_DEP_1) | instskip(NEXT) | instid1(VALU_DEP_1)
	v_cndmask_b32_e64 v216, v216, 0, s0
	v_add_nc_u32_e32 v215, v216, v215
	s_delay_alu instid0(VALU_DEP_1) | instskip(NEXT) | instid1(VALU_DEP_1)
	v_mov_b32_dpp v216, v215 row_shr:2 row_mask:0xf bank_mask:0xf
	v_cndmask_b32_e64 v216, 0, v216, s1
	s_delay_alu instid0(VALU_DEP_1) | instskip(NEXT) | instid1(VALU_DEP_1)
	v_add_nc_u32_e32 v215, v215, v216
	v_mov_b32_dpp v216, v215 row_shr:4 row_mask:0xf bank_mask:0xf
	s_delay_alu instid0(VALU_DEP_1) | instskip(NEXT) | instid1(VALU_DEP_1)
	v_cndmask_b32_e64 v216, 0, v216, s8
	v_add_nc_u32_e32 v215, v215, v216
	s_delay_alu instid0(VALU_DEP_1) | instskip(NEXT) | instid1(VALU_DEP_1)
	v_mov_b32_dpp v216, v215 row_shr:8 row_mask:0xf bank_mask:0xf
	v_cndmask_b32_e64 v216, 0, v216, s9
	s_delay_alu instid0(VALU_DEP_1) | instskip(SKIP_3) | instid1(VALU_DEP_1)
	v_add_nc_u32_e32 v215, v215, v216
	ds_swizzle_b32 v216, v215 offset:swizzle(BROADCAST,32,15)
	s_wait_dscnt 0x0
	v_cndmask_b32_e64 v216, v216, 0, s10
	v_add_nc_u32_e32 v215, v215, v216
	s_and_saveexec_b32 s15, s3
; %bb.751:                              ;   in Loop: Header=BB813_682 Depth=2
	ds_store_b32 v97, v215 offset:1024
; %bb.752:                              ;   in Loop: Header=BB813_682 Depth=2
	s_wait_alu 0xfffe
	s_or_b32 exec_lo, exec_lo, s15
	s_wait_loadcnt_dscnt 0x0
	s_barrier_signal -1
	s_barrier_wait -1
	global_inv scope:SCOPE_SE
	s_and_saveexec_b32 s15, s4
	s_cbranch_execz .LBB813_754
; %bb.753:                              ;   in Loop: Header=BB813_682 Depth=2
	ds_load_b32 v216, v105 offset:1024
	s_wait_dscnt 0x0
	v_mov_b32_dpp v217, v216 row_shr:1 row_mask:0xf bank_mask:0xf
	s_delay_alu instid0(VALU_DEP_1) | instskip(NEXT) | instid1(VALU_DEP_1)
	v_cndmask_b32_e64 v217, v217, 0, s12
	v_add_nc_u32_e32 v216, v217, v216
	s_delay_alu instid0(VALU_DEP_1) | instskip(NEXT) | instid1(VALU_DEP_1)
	v_mov_b32_dpp v217, v216 row_shr:2 row_mask:0xf bank_mask:0xf
	v_cndmask_b32_e64 v217, 0, v217, s13
	s_delay_alu instid0(VALU_DEP_1) | instskip(NEXT) | instid1(VALU_DEP_1)
	v_add_nc_u32_e32 v216, v216, v217
	v_mov_b32_dpp v217, v216 row_shr:4 row_mask:0xf bank_mask:0xf
	s_delay_alu instid0(VALU_DEP_1) | instskip(NEXT) | instid1(VALU_DEP_1)
	v_cndmask_b32_e64 v217, 0, v217, s14
	v_add_nc_u32_e32 v216, v216, v217
	ds_store_b32 v105, v216 offset:1024
.LBB813_754:                            ;   in Loop: Header=BB813_682 Depth=2
	s_wait_alu 0xfffe
	s_or_b32 exec_lo, exec_lo, s15
	v_mov_b32_e32 v216, 0
	s_wait_loadcnt_dscnt 0x0
	s_barrier_signal -1
	s_barrier_wait -1
	global_inv scope:SCOPE_SE
	s_and_saveexec_b32 s15, s5
; %bb.755:                              ;   in Loop: Header=BB813_682 Depth=2
	ds_load_b32 v216, v97 offset:1020
; %bb.756:                              ;   in Loop: Header=BB813_682 Depth=2
	s_wait_alu 0xfffe
	s_or_b32 exec_lo, exec_lo, s15
	s_wait_dscnt 0x0
	v_add_nc_u32_e32 v215, v216, v215
	ds_bpermute_b32 v215, v126, v215
	s_wait_dscnt 0x0
	v_cndmask_b32_e64 v215, v215, v216, s11
	s_delay_alu instid0(VALU_DEP_1) | instskip(NEXT) | instid1(VALU_DEP_1)
	v_cndmask_b32_e64 v215, v215, 0, s6
	v_add_nc_u32_e32 v76, v215, v76
	s_delay_alu instid0(VALU_DEP_1) | instskip(NEXT) | instid1(VALU_DEP_1)
	v_add_nc_u32_e32 v77, v76, v77
	v_add_nc_u32_e32 v74, v77, v74
	s_delay_alu instid0(VALU_DEP_1) | instskip(NEXT) | instid1(VALU_DEP_1)
	v_add_nc_u32_e32 v75, v74, v75
	;; [unrolled: 3-line block ×3, first 2 shown]
	v_add_nc_u32_e32 v70, v73, v70
	s_delay_alu instid0(VALU_DEP_1)
	v_add_nc_u32_e32 v71, v70, v71
	ds_store_2addr_b32 v165, v73, v70 offset1:1
	ds_store_2addr_b32 v166, v215, v76 offset1:1
	;; [unrolled: 1-line block ×4, first 2 shown]
	ds_store_b32 v102, v71 offset:1088
	s_wait_loadcnt_dscnt 0x0
	s_barrier_signal -1
	s_barrier_wait -1
	global_inv scope:SCOPE_SE
	ds_load_b32 v71, v169 offset:1056
	ds_load_b32 v216, v172 offset:1056
	ds_load_b32 v215, v175 offset:1056
	ds_load_b32 v74, v178 offset:1056
	ds_load_b32 v73, v181 offset:1056
	ds_load_b32 v72, v184 offset:1056
	ds_load_b32 v175, v187 offset:1056
	ds_load_b32 v172, v190 offset:1056
	ds_load_b32 v169, v193 offset:1056
	ds_load_b32 v168, v196 offset:1056
	ds_load_b32 v167, v199 offset:1056
	ds_load_b32 v166, v202 offset:1056
	ds_load_b32 v165, v206 offset:1056
	ds_load_b32 v77, v209 offset:1056
	ds_load_b32 v76, v213 offset:1056
	ds_load_b32 v75, v214 offset:1056
	ds_load_b32 v178, v102 offset:1056
	v_mov_b32_e32 v70, 0x1000
	s_and_saveexec_b32 s15, s7
; %bb.757:                              ;   in Loop: Header=BB813_682 Depth=2
	ds_load_b32 v70, v102 offset:1092
; %bb.758:                              ;   in Loop: Header=BB813_682 Depth=2
	s_wait_alu 0xfffe
	s_or_b32 exec_lo, exec_lo, s15
	s_wait_loadcnt_dscnt 0x0
	s_barrier_signal -1
	s_barrier_wait -1
	global_inv scope:SCOPE_SE
	s_and_saveexec_b32 s15, s2
	s_cbranch_execz .LBB813_760
; %bb.759:                              ;   in Loop: Header=BB813_682 Depth=2
	ds_load_b32 v181, v78
	s_wait_dscnt 0x0
	v_sub_nc_u32_e32 v178, v181, v178
	ds_store_b32 v78, v178
.LBB813_760:                            ;   in Loop: Header=BB813_682 Depth=2
	s_wait_alu 0xfffe
	s_or_b32 exec_lo, exec_lo, s15
	v_lshlrev_b32_e32 v2, 3, v2
	v_lshlrev_b32_e32 v171, 3, v171
	;; [unrolled: 1-line block ×5, first 2 shown]
	v_lshl_add_u32 v71, v71, 3, v2
	v_lshlrev_b32_e32 v2, 3, v173
	v_lshlrev_b32_e32 v173, 3, v215
	;; [unrolled: 1-line block ×11, first 2 shown]
	ds_store_b64 v71, v[40:41] offset:1024
	v_add3_u32 v40, v171, v170, v178
	v_add3_u32 v41, v174, v2, v173
	;; [unrolled: 1-line block ×5, first 2 shown]
	ds_store_b64 v40, v[38:39] offset:1024
	ds_store_b64 v41, v[42:43] offset:1024
	;; [unrolled: 1-line block ×5, first 2 shown]
	v_lshlrev_b32_e32 v2, 3, v186
	v_lshlrev_b32_e32 v38, 3, v185
	;; [unrolled: 1-line block ×15, first 2 shown]
	v_add3_u32 v42, v2, v38, v39
	v_add3_u32 v43, v43, v44, v45
	;; [unrolled: 1-line block ×5, first 2 shown]
	ds_store_b64 v42, v[48:49] offset:1024
	ds_store_b64 v43, v[52:53] offset:1024
	;; [unrolled: 1-line block ×5, first 2 shown]
	v_lshlrev_b32_e32 v2, 3, v201
	v_lshlrev_b32_e32 v38, 3, v200
	;; [unrolled: 1-line block ×15, first 2 shown]
	v_add3_u32 v47, v2, v38, v39
	v_add3_u32 v48, v48, v49, v50
	;; [unrolled: 1-line block ×5, first 2 shown]
	v_cmp_lt_u32_e32 vcc_lo, v1, v164
	ds_store_b64 v47, v[58:59] offset:1024
	ds_store_b64 v48, v[62:63] offset:1024
	;; [unrolled: 1-line block ×5, first 2 shown]
	s_wait_loadcnt_dscnt 0x0
	s_barrier_signal -1
	s_barrier_wait -1
	global_inv scope:SCOPE_SE
	s_and_saveexec_b32 s16, vcc_lo
	s_cbranch_execnz .LBB813_829
; %bb.761:                              ;   in Loop: Header=BB813_682 Depth=2
	s_wait_alu 0xfffe
	s_or_b32 exec_lo, exec_lo, s16
	v_cmp_lt_u32_e64 s15, v79, v164
	s_and_saveexec_b32 s17, s15
	s_cbranch_execnz .LBB813_830
.LBB813_762:                            ;   in Loop: Header=BB813_682 Depth=2
	s_wait_alu 0xfffe
	s_or_b32 exec_lo, exec_lo, s17
	v_cmp_lt_u32_e64 s16, v80, v164
	s_and_saveexec_b32 s18, s16
	s_cbranch_execnz .LBB813_831
.LBB813_763:                            ;   in Loop: Header=BB813_682 Depth=2
	s_wait_alu 0xfffe
	s_or_b32 exec_lo, exec_lo, s18
	v_cmp_lt_u32_e64 s17, v81, v164
	s_and_saveexec_b32 s19, s17
	s_cbranch_execnz .LBB813_832
.LBB813_764:                            ;   in Loop: Header=BB813_682 Depth=2
	s_wait_alu 0xfffe
	s_or_b32 exec_lo, exec_lo, s19
	v_cmp_lt_u32_e64 s18, v84, v164
	s_and_saveexec_b32 s20, s18
	s_cbranch_execnz .LBB813_833
.LBB813_765:                            ;   in Loop: Header=BB813_682 Depth=2
	s_wait_alu 0xfffe
	s_or_b32 exec_lo, exec_lo, s20
	v_cmp_lt_u32_e64 s19, v85, v164
	s_and_saveexec_b32 s21, s19
	s_cbranch_execnz .LBB813_834
.LBB813_766:                            ;   in Loop: Header=BB813_682 Depth=2
	s_wait_alu 0xfffe
	s_or_b32 exec_lo, exec_lo, s21
	v_cmp_lt_u32_e64 s20, v86, v164
	s_and_saveexec_b32 s22, s20
	s_cbranch_execnz .LBB813_835
.LBB813_767:                            ;   in Loop: Header=BB813_682 Depth=2
	s_wait_alu 0xfffe
	s_or_b32 exec_lo, exec_lo, s22
	v_cmp_lt_u32_e64 s21, v87, v164
	s_and_saveexec_b32 s23, s21
	s_cbranch_execnz .LBB813_836
.LBB813_768:                            ;   in Loop: Header=BB813_682 Depth=2
	s_wait_alu 0xfffe
	s_or_b32 exec_lo, exec_lo, s23
	v_cmp_lt_u32_e64 s22, v88, v164
	s_and_saveexec_b32 s24, s22
	s_cbranch_execnz .LBB813_837
.LBB813_769:                            ;   in Loop: Header=BB813_682 Depth=2
	s_wait_alu 0xfffe
	s_or_b32 exec_lo, exec_lo, s24
	v_cmp_lt_u32_e64 s23, v89, v164
	s_and_saveexec_b32 s25, s23
	s_cbranch_execnz .LBB813_838
.LBB813_770:                            ;   in Loop: Header=BB813_682 Depth=2
	s_wait_alu 0xfffe
	s_or_b32 exec_lo, exec_lo, s25
	v_cmp_lt_u32_e64 s24, v90, v164
	s_and_saveexec_b32 s26, s24
	s_cbranch_execnz .LBB813_839
.LBB813_771:                            ;   in Loop: Header=BB813_682 Depth=2
	s_wait_alu 0xfffe
	s_or_b32 exec_lo, exec_lo, s26
	v_cmp_lt_u32_e64 s25, v91, v164
	s_and_saveexec_b32 s27, s25
	s_cbranch_execnz .LBB813_840
.LBB813_772:                            ;   in Loop: Header=BB813_682 Depth=2
	s_wait_alu 0xfffe
	s_or_b32 exec_lo, exec_lo, s27
	v_cmp_lt_u32_e64 s26, v92, v164
	s_and_saveexec_b32 s28, s26
	s_cbranch_execnz .LBB813_841
.LBB813_773:                            ;   in Loop: Header=BB813_682 Depth=2
	s_wait_alu 0xfffe
	s_or_b32 exec_lo, exec_lo, s28
	v_cmp_lt_u32_e64 s27, v93, v164
	s_and_saveexec_b32 s29, s27
	s_cbranch_execnz .LBB813_842
.LBB813_774:                            ;   in Loop: Header=BB813_682 Depth=2
	s_wait_alu 0xfffe
	s_or_b32 exec_lo, exec_lo, s29
	v_cmp_lt_u32_e64 s28, v94, v164
	s_and_saveexec_b32 s30, s28
	s_cbranch_execnz .LBB813_843
.LBB813_775:                            ;   in Loop: Header=BB813_682 Depth=2
	s_wait_alu 0xfffe
	s_or_b32 exec_lo, exec_lo, s30
	v_cmp_lt_u32_e64 s29, v95, v164
	s_and_saveexec_b32 s57, s29
	s_cbranch_execz .LBB813_777
.LBB813_776:                            ;   in Loop: Header=BB813_682 Depth=2
	ds_load_b64 v[38:39], v110 offset:31744
	s_wait_dscnt 0x0
	v_lshrrev_b64 v[52:53], s31, v[38:39]
	v_xor_b32_e32 v39, 0x80000000, v39
	s_delay_alu instid0(VALU_DEP_2) | instskip(NEXT) | instid1(VALU_DEP_1)
	v_and_b32_e32 v2, s54, v52
	v_lshlrev_b32_e32 v2, 2, v2
	ds_load_b32 v2, v2
	s_wait_dscnt 0x0
	v_add_nc_u32_e32 v2, v2, v95
	s_delay_alu instid0(VALU_DEP_1) | instskip(NEXT) | instid1(VALU_DEP_1)
	v_lshlrev_b64_e32 v[52:53], 3, v[2:3]
	v_add_co_u32 v52, s30, s38, v52
	s_wait_alu 0xf1ff
	s_delay_alu instid0(VALU_DEP_2)
	v_add_co_ci_u32_e64 v53, null, s39, v53, s30
	global_store_b64 v[52:53], v[38:39], off
.LBB813_777:                            ;   in Loop: Header=BB813_682 Depth=2
	s_wait_alu 0xfffe
	s_or_b32 exec_lo, exec_lo, s57
	s_lshl_b64 s[58:59], s[34:35], 3
	s_wait_alu 0xfffe
	v_add_co_u32 v38, s30, v128, s58
	s_wait_alu 0xf1ff
	v_add_co_ci_u32_e64 v39, null, s59, v129, s30
	v_cmp_lt_u32_e64 s30, v127, v164
	s_and_saveexec_b32 s34, s30
	s_wait_alu 0xfffe
	s_xor_b32 s30, exec_lo, s34
	s_cbranch_execnz .LBB813_844
; %bb.778:                              ;   in Loop: Header=BB813_682 Depth=2
	s_wait_alu 0xfffe
	s_or_b32 exec_lo, exec_lo, s30
	s_delay_alu instid0(SALU_CYCLE_1)
	s_mov_b32 s34, exec_lo
	v_cmpx_lt_u32_e64 v130, v164
	s_cbranch_execnz .LBB813_845
.LBB813_779:                            ;   in Loop: Header=BB813_682 Depth=2
	s_wait_alu 0xfffe
	s_or_b32 exec_lo, exec_lo, s34
	s_delay_alu instid0(SALU_CYCLE_1)
	s_mov_b32 s34, exec_lo
	v_cmpx_lt_u32_e64 v131, v164
	s_cbranch_execnz .LBB813_846
.LBB813_780:                            ;   in Loop: Header=BB813_682 Depth=2
	s_wait_alu 0xfffe
	s_or_b32 exec_lo, exec_lo, s34
	s_delay_alu instid0(SALU_CYCLE_1)
	s_mov_b32 s34, exec_lo
	v_cmpx_lt_u32_e64 v132, v164
	s_cbranch_execnz .LBB813_847
.LBB813_781:                            ;   in Loop: Header=BB813_682 Depth=2
	s_wait_alu 0xfffe
	s_or_b32 exec_lo, exec_lo, s34
	s_delay_alu instid0(SALU_CYCLE_1)
	s_mov_b32 s34, exec_lo
	v_cmpx_lt_u32_e64 v133, v164
	s_cbranch_execnz .LBB813_848
.LBB813_782:                            ;   in Loop: Header=BB813_682 Depth=2
	s_wait_alu 0xfffe
	s_or_b32 exec_lo, exec_lo, s34
	s_delay_alu instid0(SALU_CYCLE_1)
	s_mov_b32 s34, exec_lo
	v_cmpx_lt_u32_e64 v134, v164
	s_cbranch_execnz .LBB813_849
.LBB813_783:                            ;   in Loop: Header=BB813_682 Depth=2
	s_wait_alu 0xfffe
	s_or_b32 exec_lo, exec_lo, s34
	s_delay_alu instid0(SALU_CYCLE_1)
	s_mov_b32 s34, exec_lo
	v_cmpx_lt_u32_e64 v135, v164
	s_cbranch_execnz .LBB813_850
.LBB813_784:                            ;   in Loop: Header=BB813_682 Depth=2
	s_wait_alu 0xfffe
	s_or_b32 exec_lo, exec_lo, s34
	s_delay_alu instid0(SALU_CYCLE_1)
	s_mov_b32 s34, exec_lo
	v_cmpx_lt_u32_e64 v136, v164
	s_cbranch_execnz .LBB813_851
.LBB813_785:                            ;   in Loop: Header=BB813_682 Depth=2
	s_wait_alu 0xfffe
	s_or_b32 exec_lo, exec_lo, s34
	s_delay_alu instid0(SALU_CYCLE_1)
	s_mov_b32 s34, exec_lo
	v_cmpx_lt_u32_e64 v137, v164
	s_cbranch_execnz .LBB813_852
.LBB813_786:                            ;   in Loop: Header=BB813_682 Depth=2
	s_wait_alu 0xfffe
	s_or_b32 exec_lo, exec_lo, s34
	s_delay_alu instid0(SALU_CYCLE_1)
	s_mov_b32 s34, exec_lo
	v_cmpx_lt_u32_e64 v138, v164
	s_cbranch_execnz .LBB813_853
.LBB813_787:                            ;   in Loop: Header=BB813_682 Depth=2
	s_wait_alu 0xfffe
	s_or_b32 exec_lo, exec_lo, s34
	s_delay_alu instid0(SALU_CYCLE_1)
	s_mov_b32 s34, exec_lo
	v_cmpx_lt_u32_e64 v139, v164
	s_cbranch_execnz .LBB813_854
.LBB813_788:                            ;   in Loop: Header=BB813_682 Depth=2
	s_wait_alu 0xfffe
	s_or_b32 exec_lo, exec_lo, s34
	s_delay_alu instid0(SALU_CYCLE_1)
	s_mov_b32 s34, exec_lo
	v_cmpx_lt_u32_e64 v140, v164
	s_cbranch_execnz .LBB813_855
.LBB813_789:                            ;   in Loop: Header=BB813_682 Depth=2
	s_wait_alu 0xfffe
	s_or_b32 exec_lo, exec_lo, s34
	s_delay_alu instid0(SALU_CYCLE_1)
	s_mov_b32 s34, exec_lo
	v_cmpx_lt_u32_e64 v141, v164
	s_cbranch_execnz .LBB813_856
.LBB813_790:                            ;   in Loop: Header=BB813_682 Depth=2
	s_wait_alu 0xfffe
	s_or_b32 exec_lo, exec_lo, s34
	s_delay_alu instid0(SALU_CYCLE_1)
	s_mov_b32 s34, exec_lo
	v_cmpx_lt_u32_e64 v142, v164
	s_cbranch_execnz .LBB813_857
.LBB813_791:                            ;   in Loop: Header=BB813_682 Depth=2
	s_wait_alu 0xfffe
	s_or_b32 exec_lo, exec_lo, s34
	s_delay_alu instid0(SALU_CYCLE_1)
	s_mov_b32 s34, exec_lo
	v_cmpx_lt_u32_e64 v143, v164
	s_cbranch_execnz .LBB813_858
.LBB813_792:                            ;   in Loop: Header=BB813_682 Depth=2
	s_wait_alu 0xfffe
	s_or_b32 exec_lo, exec_lo, s34
	s_delay_alu instid0(SALU_CYCLE_1)
	s_mov_b32 s34, exec_lo
	v_cmpx_lt_u32_e64 v144, v164
	s_cbranch_execnz .LBB813_859
.LBB813_793:                            ;   in Loop: Header=BB813_682 Depth=2
	s_wait_alu 0xfffe
	s_or_b32 exec_lo, exec_lo, s34
	s_and_saveexec_b32 s30, vcc_lo
	s_cbranch_execnz .LBB813_860
.LBB813_794:                            ;   in Loop: Header=BB813_682 Depth=2
	s_wait_alu 0xfffe
	s_or_b32 exec_lo, exec_lo, s30
	s_and_saveexec_b32 s30, s15
	s_cbranch_execnz .LBB813_861
.LBB813_795:                            ;   in Loop: Header=BB813_682 Depth=2
	s_wait_alu 0xfffe
	s_or_b32 exec_lo, exec_lo, s30
	s_and_saveexec_b32 s30, s16
	s_cbranch_execnz .LBB813_862
.LBB813_796:                            ;   in Loop: Header=BB813_682 Depth=2
	s_wait_alu 0xfffe
	s_or_b32 exec_lo, exec_lo, s30
	s_and_saveexec_b32 s30, s17
	s_cbranch_execnz .LBB813_863
.LBB813_797:                            ;   in Loop: Header=BB813_682 Depth=2
	s_wait_alu 0xfffe
	s_or_b32 exec_lo, exec_lo, s30
	s_and_saveexec_b32 s30, s18
	s_cbranch_execnz .LBB813_864
.LBB813_798:                            ;   in Loop: Header=BB813_682 Depth=2
	s_wait_alu 0xfffe
	s_or_b32 exec_lo, exec_lo, s30
	s_and_saveexec_b32 s30, s19
	s_cbranch_execnz .LBB813_865
.LBB813_799:                            ;   in Loop: Header=BB813_682 Depth=2
	s_wait_alu 0xfffe
	s_or_b32 exec_lo, exec_lo, s30
	s_and_saveexec_b32 s30, s20
	s_cbranch_execnz .LBB813_866
.LBB813_800:                            ;   in Loop: Header=BB813_682 Depth=2
	s_wait_alu 0xfffe
	s_or_b32 exec_lo, exec_lo, s30
	s_and_saveexec_b32 s30, s21
	s_cbranch_execnz .LBB813_867
.LBB813_801:                            ;   in Loop: Header=BB813_682 Depth=2
	s_wait_alu 0xfffe
	s_or_b32 exec_lo, exec_lo, s30
	s_and_saveexec_b32 s30, s22
	s_cbranch_execnz .LBB813_868
.LBB813_802:                            ;   in Loop: Header=BB813_682 Depth=2
	s_wait_alu 0xfffe
	s_or_b32 exec_lo, exec_lo, s30
	s_and_saveexec_b32 s30, s23
	s_cbranch_execnz .LBB813_869
.LBB813_803:                            ;   in Loop: Header=BB813_682 Depth=2
	s_wait_alu 0xfffe
	s_or_b32 exec_lo, exec_lo, s30
	s_and_saveexec_b32 s30, s24
	s_cbranch_execnz .LBB813_870
.LBB813_804:                            ;   in Loop: Header=BB813_682 Depth=2
	s_wait_alu 0xfffe
	s_or_b32 exec_lo, exec_lo, s30
	s_and_saveexec_b32 s30, s25
	s_cbranch_execnz .LBB813_871
.LBB813_805:                            ;   in Loop: Header=BB813_682 Depth=2
	s_wait_alu 0xfffe
	s_or_b32 exec_lo, exec_lo, s30
	s_and_saveexec_b32 s30, s26
	s_cbranch_execnz .LBB813_872
.LBB813_806:                            ;   in Loop: Header=BB813_682 Depth=2
	s_wait_alu 0xfffe
	s_or_b32 exec_lo, exec_lo, s30
	s_and_saveexec_b32 s30, s27
	s_cbranch_execnz .LBB813_873
.LBB813_807:                            ;   in Loop: Header=BB813_682 Depth=2
	s_wait_alu 0xfffe
	s_or_b32 exec_lo, exec_lo, s30
	s_and_saveexec_b32 s30, s28
	s_cbranch_execnz .LBB813_874
.LBB813_808:                            ;   in Loop: Header=BB813_682 Depth=2
	s_wait_alu 0xfffe
	s_or_b32 exec_lo, exec_lo, s30
	s_and_saveexec_b32 s30, s29
	s_cbranch_execz .LBB813_810
.LBB813_809:                            ;   in Loop: Header=BB813_682 Depth=2
	ds_load_b64 v[38:39], v110 offset:31744
	s_wait_dscnt 0x0
	v_lshrrev_b64 v[38:39], s31, v[38:39]
	s_delay_alu instid0(VALU_DEP_1)
	v_and_b32_e32 v148, s54, v38
.LBB813_810:                            ;   in Loop: Header=BB813_682 Depth=2
	s_wait_alu 0xfffe
	s_or_b32 exec_lo, exec_lo, s30
	s_wait_loadcnt 0x0
	s_wait_storecnt 0x0
	s_barrier_signal -1
	s_barrier_wait -1
	global_inv scope:SCOPE_SE
	ds_store_b64 v71, v[36:37] offset:1024
	ds_store_b64 v40, v[34:35] offset:1024
	;; [unrolled: 1-line block ×16, first 2 shown]
	s_wait_loadcnt_dscnt 0x0
	s_barrier_signal -1
	s_barrier_wait -1
	global_inv scope:SCOPE_SE
	s_and_saveexec_b32 s30, vcc_lo
	s_cbranch_execnz .LBB813_875
; %bb.811:                              ;   in Loop: Header=BB813_682 Depth=2
	s_wait_alu 0xfffe
	s_or_b32 exec_lo, exec_lo, s30
	s_and_saveexec_b32 s30, s15
	s_cbranch_execnz .LBB813_876
.LBB813_812:                            ;   in Loop: Header=BB813_682 Depth=2
	s_wait_alu 0xfffe
	s_or_b32 exec_lo, exec_lo, s30
	s_and_saveexec_b32 s15, s16
	s_cbranch_execnz .LBB813_877
.LBB813_813:                            ;   in Loop: Header=BB813_682 Depth=2
	s_wait_alu 0xfffe
	s_or_b32 exec_lo, exec_lo, s15
	s_and_saveexec_b32 s15, s17
	s_cbranch_execnz .LBB813_878
.LBB813_814:                            ;   in Loop: Header=BB813_682 Depth=2
	s_wait_alu 0xfffe
	s_or_b32 exec_lo, exec_lo, s15
	s_and_saveexec_b32 s15, s18
	s_cbranch_execnz .LBB813_879
.LBB813_815:                            ;   in Loop: Header=BB813_682 Depth=2
	s_wait_alu 0xfffe
	s_or_b32 exec_lo, exec_lo, s15
	s_and_saveexec_b32 s15, s19
	s_cbranch_execnz .LBB813_880
.LBB813_816:                            ;   in Loop: Header=BB813_682 Depth=2
	s_wait_alu 0xfffe
	s_or_b32 exec_lo, exec_lo, s15
	s_and_saveexec_b32 s15, s20
	s_cbranch_execnz .LBB813_881
.LBB813_817:                            ;   in Loop: Header=BB813_682 Depth=2
	s_wait_alu 0xfffe
	s_or_b32 exec_lo, exec_lo, s15
	s_and_saveexec_b32 s15, s21
	s_cbranch_execnz .LBB813_882
.LBB813_818:                            ;   in Loop: Header=BB813_682 Depth=2
	s_wait_alu 0xfffe
	s_or_b32 exec_lo, exec_lo, s15
	s_and_saveexec_b32 s15, s22
	s_cbranch_execnz .LBB813_883
.LBB813_819:                            ;   in Loop: Header=BB813_682 Depth=2
	s_wait_alu 0xfffe
	s_or_b32 exec_lo, exec_lo, s15
	s_and_saveexec_b32 s15, s23
	s_cbranch_execnz .LBB813_884
.LBB813_820:                            ;   in Loop: Header=BB813_682 Depth=2
	s_wait_alu 0xfffe
	s_or_b32 exec_lo, exec_lo, s15
	s_and_saveexec_b32 s15, s24
	s_cbranch_execnz .LBB813_885
.LBB813_821:                            ;   in Loop: Header=BB813_682 Depth=2
	s_wait_alu 0xfffe
	s_or_b32 exec_lo, exec_lo, s15
	s_and_saveexec_b32 s15, s25
	s_cbranch_execnz .LBB813_886
.LBB813_822:                            ;   in Loop: Header=BB813_682 Depth=2
	s_wait_alu 0xfffe
	s_or_b32 exec_lo, exec_lo, s15
	s_and_saveexec_b32 s15, s26
	s_cbranch_execnz .LBB813_887
.LBB813_823:                            ;   in Loop: Header=BB813_682 Depth=2
	s_wait_alu 0xfffe
	s_or_b32 exec_lo, exec_lo, s15
	s_and_saveexec_b32 s15, s27
	s_cbranch_execnz .LBB813_888
.LBB813_824:                            ;   in Loop: Header=BB813_682 Depth=2
	s_wait_alu 0xfffe
	s_or_b32 exec_lo, exec_lo, s15
	s_and_saveexec_b32 s15, s28
	s_cbranch_execnz .LBB813_889
.LBB813_825:                            ;   in Loop: Header=BB813_682 Depth=2
	s_wait_alu 0xfffe
	s_or_b32 exec_lo, exec_lo, s15
	s_and_saveexec_b32 s15, s29
	s_cbranch_execz .LBB813_827
.LBB813_826:                            ;   in Loop: Header=BB813_682 Depth=2
	v_lshlrev_b32_e32 v2, 2, v148
	ds_load_b32 v2, v2
	ds_load_b64 v[38:39], v110 offset:31744
	s_wait_dscnt 0x1
	v_add_nc_u32_e32 v2, v2, v95
	s_delay_alu instid0(VALU_DEP_1) | instskip(NEXT) | instid1(VALU_DEP_1)
	v_lshlrev_b64_e32 v[40:41], 3, v[2:3]
	v_add_co_u32 v40, vcc_lo, s44, v40
	s_wait_alu 0xfffd
	s_delay_alu instid0(VALU_DEP_2)
	v_add_co_ci_u32_e64 v41, null, s45, v41, vcc_lo
	s_wait_dscnt 0x0
	global_store_b64 v[40:41], v[38:39], off
.LBB813_827:                            ;   in Loop: Header=BB813_682 Depth=2
	s_wait_alu 0xfffe
	s_or_b32 exec_lo, exec_lo, s15
	s_wait_loadcnt 0x0
	s_wait_storecnt 0x0
	s_barrier_signal -1
	s_barrier_wait -1
	global_inv scope:SCOPE_SE
	s_and_saveexec_b32 s15, s2
	s_cbranch_execz .LBB813_681
; %bb.828:                              ;   in Loop: Header=BB813_682 Depth=2
	ds_load_b32 v2, v78
	s_wait_dscnt 0x0
	v_add_nc_u32_e32 v2, v2, v70
	ds_store_b32 v78, v2
	s_branch .LBB813_681
.LBB813_829:                            ;   in Loop: Header=BB813_682 Depth=2
	ds_load_b64 v[38:39], v110 offset:1024
	s_wait_dscnt 0x0
	v_lshrrev_b64 v[52:53], s31, v[38:39]
	v_xor_b32_e32 v39, 0x80000000, v39
	s_delay_alu instid0(VALU_DEP_2) | instskip(NEXT) | instid1(VALU_DEP_1)
	v_and_b32_e32 v2, s54, v52
	v_lshlrev_b32_e32 v2, 2, v2
	ds_load_b32 v2, v2
	s_wait_dscnt 0x0
	v_add_nc_u32_e32 v2, v2, v1
	s_delay_alu instid0(VALU_DEP_1) | instskip(NEXT) | instid1(VALU_DEP_1)
	v_lshlrev_b64_e32 v[52:53], 3, v[2:3]
	v_add_co_u32 v52, s15, s38, v52
	s_wait_alu 0xf1ff
	s_delay_alu instid0(VALU_DEP_2)
	v_add_co_ci_u32_e64 v53, null, s39, v53, s15
	global_store_b64 v[52:53], v[38:39], off
	s_wait_alu 0xfffe
	s_or_b32 exec_lo, exec_lo, s16
	v_cmp_lt_u32_e64 s15, v79, v164
	s_and_saveexec_b32 s17, s15
	s_cbranch_execz .LBB813_762
.LBB813_830:                            ;   in Loop: Header=BB813_682 Depth=2
	ds_load_b64 v[38:39], v110 offset:3072
	s_wait_dscnt 0x0
	v_lshrrev_b64 v[52:53], s31, v[38:39]
	v_xor_b32_e32 v39, 0x80000000, v39
	s_delay_alu instid0(VALU_DEP_2) | instskip(NEXT) | instid1(VALU_DEP_1)
	v_and_b32_e32 v2, s54, v52
	v_lshlrev_b32_e32 v2, 2, v2
	ds_load_b32 v2, v2
	s_wait_dscnt 0x0
	v_add_nc_u32_e32 v2, v2, v79
	s_delay_alu instid0(VALU_DEP_1) | instskip(NEXT) | instid1(VALU_DEP_1)
	v_lshlrev_b64_e32 v[52:53], 3, v[2:3]
	v_add_co_u32 v52, s16, s38, v52
	s_wait_alu 0xf1ff
	s_delay_alu instid0(VALU_DEP_2)
	v_add_co_ci_u32_e64 v53, null, s39, v53, s16
	global_store_b64 v[52:53], v[38:39], off
	s_wait_alu 0xfffe
	s_or_b32 exec_lo, exec_lo, s17
	v_cmp_lt_u32_e64 s16, v80, v164
	s_and_saveexec_b32 s18, s16
	s_cbranch_execz .LBB813_763
.LBB813_831:                            ;   in Loop: Header=BB813_682 Depth=2
	ds_load_b64 v[38:39], v110 offset:5120
	s_wait_dscnt 0x0
	v_lshrrev_b64 v[52:53], s31, v[38:39]
	v_xor_b32_e32 v39, 0x80000000, v39
	s_delay_alu instid0(VALU_DEP_2) | instskip(NEXT) | instid1(VALU_DEP_1)
	v_and_b32_e32 v2, s54, v52
	v_lshlrev_b32_e32 v2, 2, v2
	ds_load_b32 v2, v2
	s_wait_dscnt 0x0
	v_add_nc_u32_e32 v2, v2, v80
	s_delay_alu instid0(VALU_DEP_1) | instskip(NEXT) | instid1(VALU_DEP_1)
	v_lshlrev_b64_e32 v[52:53], 3, v[2:3]
	v_add_co_u32 v52, s17, s38, v52
	s_wait_alu 0xf1ff
	s_delay_alu instid0(VALU_DEP_2)
	v_add_co_ci_u32_e64 v53, null, s39, v53, s17
	global_store_b64 v[52:53], v[38:39], off
	s_wait_alu 0xfffe
	s_or_b32 exec_lo, exec_lo, s18
	v_cmp_lt_u32_e64 s17, v81, v164
	s_and_saveexec_b32 s19, s17
	s_cbranch_execz .LBB813_764
.LBB813_832:                            ;   in Loop: Header=BB813_682 Depth=2
	ds_load_b64 v[38:39], v110 offset:7168
	s_wait_dscnt 0x0
	v_lshrrev_b64 v[52:53], s31, v[38:39]
	v_xor_b32_e32 v39, 0x80000000, v39
	s_delay_alu instid0(VALU_DEP_2) | instskip(NEXT) | instid1(VALU_DEP_1)
	v_and_b32_e32 v2, s54, v52
	v_lshlrev_b32_e32 v2, 2, v2
	ds_load_b32 v2, v2
	s_wait_dscnt 0x0
	v_add_nc_u32_e32 v2, v2, v81
	s_delay_alu instid0(VALU_DEP_1) | instskip(NEXT) | instid1(VALU_DEP_1)
	v_lshlrev_b64_e32 v[52:53], 3, v[2:3]
	v_add_co_u32 v52, s18, s38, v52
	s_wait_alu 0xf1ff
	s_delay_alu instid0(VALU_DEP_2)
	v_add_co_ci_u32_e64 v53, null, s39, v53, s18
	global_store_b64 v[52:53], v[38:39], off
	s_wait_alu 0xfffe
	s_or_b32 exec_lo, exec_lo, s19
	v_cmp_lt_u32_e64 s18, v84, v164
	s_and_saveexec_b32 s20, s18
	s_cbranch_execz .LBB813_765
.LBB813_833:                            ;   in Loop: Header=BB813_682 Depth=2
	ds_load_b64 v[38:39], v110 offset:9216
	s_wait_dscnt 0x0
	v_lshrrev_b64 v[52:53], s31, v[38:39]
	v_xor_b32_e32 v39, 0x80000000, v39
	s_delay_alu instid0(VALU_DEP_2) | instskip(NEXT) | instid1(VALU_DEP_1)
	v_and_b32_e32 v2, s54, v52
	v_lshlrev_b32_e32 v2, 2, v2
	ds_load_b32 v2, v2
	s_wait_dscnt 0x0
	v_add_nc_u32_e32 v2, v2, v84
	s_delay_alu instid0(VALU_DEP_1) | instskip(NEXT) | instid1(VALU_DEP_1)
	v_lshlrev_b64_e32 v[52:53], 3, v[2:3]
	v_add_co_u32 v52, s19, s38, v52
	s_wait_alu 0xf1ff
	s_delay_alu instid0(VALU_DEP_2)
	v_add_co_ci_u32_e64 v53, null, s39, v53, s19
	global_store_b64 v[52:53], v[38:39], off
	s_wait_alu 0xfffe
	s_or_b32 exec_lo, exec_lo, s20
	v_cmp_lt_u32_e64 s19, v85, v164
	s_and_saveexec_b32 s21, s19
	s_cbranch_execz .LBB813_766
.LBB813_834:                            ;   in Loop: Header=BB813_682 Depth=2
	ds_load_b64 v[38:39], v110 offset:11264
	s_wait_dscnt 0x0
	v_lshrrev_b64 v[52:53], s31, v[38:39]
	v_xor_b32_e32 v39, 0x80000000, v39
	s_delay_alu instid0(VALU_DEP_2) | instskip(NEXT) | instid1(VALU_DEP_1)
	v_and_b32_e32 v2, s54, v52
	v_lshlrev_b32_e32 v2, 2, v2
	ds_load_b32 v2, v2
	s_wait_dscnt 0x0
	v_add_nc_u32_e32 v2, v2, v85
	s_delay_alu instid0(VALU_DEP_1) | instskip(NEXT) | instid1(VALU_DEP_1)
	v_lshlrev_b64_e32 v[52:53], 3, v[2:3]
	v_add_co_u32 v52, s20, s38, v52
	s_wait_alu 0xf1ff
	s_delay_alu instid0(VALU_DEP_2)
	v_add_co_ci_u32_e64 v53, null, s39, v53, s20
	global_store_b64 v[52:53], v[38:39], off
	s_wait_alu 0xfffe
	s_or_b32 exec_lo, exec_lo, s21
	v_cmp_lt_u32_e64 s20, v86, v164
	s_and_saveexec_b32 s22, s20
	s_cbranch_execz .LBB813_767
.LBB813_835:                            ;   in Loop: Header=BB813_682 Depth=2
	ds_load_b64 v[38:39], v110 offset:13312
	s_wait_dscnt 0x0
	v_lshrrev_b64 v[52:53], s31, v[38:39]
	v_xor_b32_e32 v39, 0x80000000, v39
	s_delay_alu instid0(VALU_DEP_2) | instskip(NEXT) | instid1(VALU_DEP_1)
	v_and_b32_e32 v2, s54, v52
	v_lshlrev_b32_e32 v2, 2, v2
	ds_load_b32 v2, v2
	s_wait_dscnt 0x0
	v_add_nc_u32_e32 v2, v2, v86
	s_delay_alu instid0(VALU_DEP_1) | instskip(NEXT) | instid1(VALU_DEP_1)
	v_lshlrev_b64_e32 v[52:53], 3, v[2:3]
	v_add_co_u32 v52, s21, s38, v52
	s_wait_alu 0xf1ff
	s_delay_alu instid0(VALU_DEP_2)
	v_add_co_ci_u32_e64 v53, null, s39, v53, s21
	global_store_b64 v[52:53], v[38:39], off
	s_wait_alu 0xfffe
	s_or_b32 exec_lo, exec_lo, s22
	v_cmp_lt_u32_e64 s21, v87, v164
	s_and_saveexec_b32 s23, s21
	s_cbranch_execz .LBB813_768
.LBB813_836:                            ;   in Loop: Header=BB813_682 Depth=2
	ds_load_b64 v[38:39], v110 offset:15360
	s_wait_dscnt 0x0
	v_lshrrev_b64 v[52:53], s31, v[38:39]
	v_xor_b32_e32 v39, 0x80000000, v39
	s_delay_alu instid0(VALU_DEP_2) | instskip(NEXT) | instid1(VALU_DEP_1)
	v_and_b32_e32 v2, s54, v52
	v_lshlrev_b32_e32 v2, 2, v2
	ds_load_b32 v2, v2
	s_wait_dscnt 0x0
	v_add_nc_u32_e32 v2, v2, v87
	s_delay_alu instid0(VALU_DEP_1) | instskip(NEXT) | instid1(VALU_DEP_1)
	v_lshlrev_b64_e32 v[52:53], 3, v[2:3]
	v_add_co_u32 v52, s22, s38, v52
	s_wait_alu 0xf1ff
	s_delay_alu instid0(VALU_DEP_2)
	v_add_co_ci_u32_e64 v53, null, s39, v53, s22
	global_store_b64 v[52:53], v[38:39], off
	s_wait_alu 0xfffe
	s_or_b32 exec_lo, exec_lo, s23
	v_cmp_lt_u32_e64 s22, v88, v164
	s_and_saveexec_b32 s24, s22
	s_cbranch_execz .LBB813_769
.LBB813_837:                            ;   in Loop: Header=BB813_682 Depth=2
	ds_load_b64 v[38:39], v110 offset:17408
	s_wait_dscnt 0x0
	v_lshrrev_b64 v[52:53], s31, v[38:39]
	v_xor_b32_e32 v39, 0x80000000, v39
	s_delay_alu instid0(VALU_DEP_2) | instskip(NEXT) | instid1(VALU_DEP_1)
	v_and_b32_e32 v2, s54, v52
	v_lshlrev_b32_e32 v2, 2, v2
	ds_load_b32 v2, v2
	s_wait_dscnt 0x0
	v_add_nc_u32_e32 v2, v2, v88
	s_delay_alu instid0(VALU_DEP_1) | instskip(NEXT) | instid1(VALU_DEP_1)
	v_lshlrev_b64_e32 v[52:53], 3, v[2:3]
	v_add_co_u32 v52, s23, s38, v52
	s_wait_alu 0xf1ff
	s_delay_alu instid0(VALU_DEP_2)
	v_add_co_ci_u32_e64 v53, null, s39, v53, s23
	global_store_b64 v[52:53], v[38:39], off
	s_wait_alu 0xfffe
	s_or_b32 exec_lo, exec_lo, s24
	v_cmp_lt_u32_e64 s23, v89, v164
	s_and_saveexec_b32 s25, s23
	s_cbranch_execz .LBB813_770
.LBB813_838:                            ;   in Loop: Header=BB813_682 Depth=2
	ds_load_b64 v[38:39], v110 offset:19456
	s_wait_dscnt 0x0
	v_lshrrev_b64 v[52:53], s31, v[38:39]
	v_xor_b32_e32 v39, 0x80000000, v39
	s_delay_alu instid0(VALU_DEP_2) | instskip(NEXT) | instid1(VALU_DEP_1)
	v_and_b32_e32 v2, s54, v52
	v_lshlrev_b32_e32 v2, 2, v2
	ds_load_b32 v2, v2
	s_wait_dscnt 0x0
	v_add_nc_u32_e32 v2, v2, v89
	s_delay_alu instid0(VALU_DEP_1) | instskip(NEXT) | instid1(VALU_DEP_1)
	v_lshlrev_b64_e32 v[52:53], 3, v[2:3]
	v_add_co_u32 v52, s24, s38, v52
	s_wait_alu 0xf1ff
	s_delay_alu instid0(VALU_DEP_2)
	v_add_co_ci_u32_e64 v53, null, s39, v53, s24
	global_store_b64 v[52:53], v[38:39], off
	s_wait_alu 0xfffe
	s_or_b32 exec_lo, exec_lo, s25
	v_cmp_lt_u32_e64 s24, v90, v164
	s_and_saveexec_b32 s26, s24
	s_cbranch_execz .LBB813_771
.LBB813_839:                            ;   in Loop: Header=BB813_682 Depth=2
	ds_load_b64 v[38:39], v110 offset:21504
	s_wait_dscnt 0x0
	v_lshrrev_b64 v[52:53], s31, v[38:39]
	v_xor_b32_e32 v39, 0x80000000, v39
	s_delay_alu instid0(VALU_DEP_2) | instskip(NEXT) | instid1(VALU_DEP_1)
	v_and_b32_e32 v2, s54, v52
	v_lshlrev_b32_e32 v2, 2, v2
	ds_load_b32 v2, v2
	s_wait_dscnt 0x0
	v_add_nc_u32_e32 v2, v2, v90
	s_delay_alu instid0(VALU_DEP_1) | instskip(NEXT) | instid1(VALU_DEP_1)
	v_lshlrev_b64_e32 v[52:53], 3, v[2:3]
	v_add_co_u32 v52, s25, s38, v52
	s_wait_alu 0xf1ff
	s_delay_alu instid0(VALU_DEP_2)
	v_add_co_ci_u32_e64 v53, null, s39, v53, s25
	global_store_b64 v[52:53], v[38:39], off
	s_wait_alu 0xfffe
	s_or_b32 exec_lo, exec_lo, s26
	v_cmp_lt_u32_e64 s25, v91, v164
	s_and_saveexec_b32 s27, s25
	s_cbranch_execz .LBB813_772
.LBB813_840:                            ;   in Loop: Header=BB813_682 Depth=2
	ds_load_b64 v[38:39], v110 offset:23552
	s_wait_dscnt 0x0
	v_lshrrev_b64 v[52:53], s31, v[38:39]
	v_xor_b32_e32 v39, 0x80000000, v39
	s_delay_alu instid0(VALU_DEP_2) | instskip(NEXT) | instid1(VALU_DEP_1)
	v_and_b32_e32 v2, s54, v52
	v_lshlrev_b32_e32 v2, 2, v2
	ds_load_b32 v2, v2
	s_wait_dscnt 0x0
	v_add_nc_u32_e32 v2, v2, v91
	s_delay_alu instid0(VALU_DEP_1) | instskip(NEXT) | instid1(VALU_DEP_1)
	v_lshlrev_b64_e32 v[52:53], 3, v[2:3]
	v_add_co_u32 v52, s26, s38, v52
	s_wait_alu 0xf1ff
	s_delay_alu instid0(VALU_DEP_2)
	v_add_co_ci_u32_e64 v53, null, s39, v53, s26
	global_store_b64 v[52:53], v[38:39], off
	s_wait_alu 0xfffe
	s_or_b32 exec_lo, exec_lo, s27
	v_cmp_lt_u32_e64 s26, v92, v164
	s_and_saveexec_b32 s28, s26
	s_cbranch_execz .LBB813_773
.LBB813_841:                            ;   in Loop: Header=BB813_682 Depth=2
	ds_load_b64 v[38:39], v110 offset:25600
	s_wait_dscnt 0x0
	v_lshrrev_b64 v[52:53], s31, v[38:39]
	v_xor_b32_e32 v39, 0x80000000, v39
	s_delay_alu instid0(VALU_DEP_2) | instskip(NEXT) | instid1(VALU_DEP_1)
	v_and_b32_e32 v2, s54, v52
	v_lshlrev_b32_e32 v2, 2, v2
	ds_load_b32 v2, v2
	s_wait_dscnt 0x0
	v_add_nc_u32_e32 v2, v2, v92
	s_delay_alu instid0(VALU_DEP_1) | instskip(NEXT) | instid1(VALU_DEP_1)
	v_lshlrev_b64_e32 v[52:53], 3, v[2:3]
	v_add_co_u32 v52, s27, s38, v52
	s_wait_alu 0xf1ff
	s_delay_alu instid0(VALU_DEP_2)
	v_add_co_ci_u32_e64 v53, null, s39, v53, s27
	global_store_b64 v[52:53], v[38:39], off
	s_wait_alu 0xfffe
	s_or_b32 exec_lo, exec_lo, s28
	v_cmp_lt_u32_e64 s27, v93, v164
	s_and_saveexec_b32 s29, s27
	s_cbranch_execz .LBB813_774
.LBB813_842:                            ;   in Loop: Header=BB813_682 Depth=2
	ds_load_b64 v[38:39], v110 offset:27648
	s_wait_dscnt 0x0
	v_lshrrev_b64 v[52:53], s31, v[38:39]
	v_xor_b32_e32 v39, 0x80000000, v39
	s_delay_alu instid0(VALU_DEP_2) | instskip(NEXT) | instid1(VALU_DEP_1)
	v_and_b32_e32 v2, s54, v52
	v_lshlrev_b32_e32 v2, 2, v2
	ds_load_b32 v2, v2
	s_wait_dscnt 0x0
	v_add_nc_u32_e32 v2, v2, v93
	s_delay_alu instid0(VALU_DEP_1) | instskip(NEXT) | instid1(VALU_DEP_1)
	v_lshlrev_b64_e32 v[52:53], 3, v[2:3]
	v_add_co_u32 v52, s28, s38, v52
	s_wait_alu 0xf1ff
	s_delay_alu instid0(VALU_DEP_2)
	v_add_co_ci_u32_e64 v53, null, s39, v53, s28
	global_store_b64 v[52:53], v[38:39], off
	s_wait_alu 0xfffe
	s_or_b32 exec_lo, exec_lo, s29
	v_cmp_lt_u32_e64 s28, v94, v164
	s_and_saveexec_b32 s30, s28
	s_cbranch_execz .LBB813_775
.LBB813_843:                            ;   in Loop: Header=BB813_682 Depth=2
	ds_load_b64 v[38:39], v110 offset:29696
	s_wait_dscnt 0x0
	v_lshrrev_b64 v[52:53], s31, v[38:39]
	v_xor_b32_e32 v39, 0x80000000, v39
	s_delay_alu instid0(VALU_DEP_2) | instskip(NEXT) | instid1(VALU_DEP_1)
	v_and_b32_e32 v2, s54, v52
	v_lshlrev_b32_e32 v2, 2, v2
	ds_load_b32 v2, v2
	s_wait_dscnt 0x0
	v_add_nc_u32_e32 v2, v2, v94
	s_delay_alu instid0(VALU_DEP_1) | instskip(NEXT) | instid1(VALU_DEP_1)
	v_lshlrev_b64_e32 v[52:53], 3, v[2:3]
	v_add_co_u32 v52, s29, s38, v52
	s_wait_alu 0xf1ff
	s_delay_alu instid0(VALU_DEP_2)
	v_add_co_ci_u32_e64 v53, null, s39, v53, s29
	global_store_b64 v[52:53], v[38:39], off
	s_wait_alu 0xfffe
	s_or_b32 exec_lo, exec_lo, s30
	v_cmp_lt_u32_e64 s29, v95, v164
	s_and_saveexec_b32 s57, s29
	s_cbranch_execnz .LBB813_776
	s_branch .LBB813_777
.LBB813_844:                            ;   in Loop: Header=BB813_682 Depth=2
	global_load_b64 v[36:37], v[38:39], off
	s_wait_alu 0xfffe
	s_or_b32 exec_lo, exec_lo, s30
	s_delay_alu instid0(SALU_CYCLE_1)
	s_mov_b32 s34, exec_lo
	v_cmpx_lt_u32_e64 v130, v164
	s_cbranch_execz .LBB813_779
.LBB813_845:                            ;   in Loop: Header=BB813_682 Depth=2
	global_load_b64 v[34:35], v[38:39], off offset:256
	s_wait_alu 0xfffe
	s_or_b32 exec_lo, exec_lo, s34
	s_delay_alu instid0(SALU_CYCLE_1)
	s_mov_b32 s34, exec_lo
	v_cmpx_lt_u32_e64 v131, v164
	s_cbranch_execz .LBB813_780
.LBB813_846:                            ;   in Loop: Header=BB813_682 Depth=2
	global_load_b64 v[32:33], v[38:39], off offset:512
	s_wait_alu 0xfffe
	s_or_b32 exec_lo, exec_lo, s34
	s_delay_alu instid0(SALU_CYCLE_1)
	s_mov_b32 s34, exec_lo
	v_cmpx_lt_u32_e64 v132, v164
	s_cbranch_execz .LBB813_781
.LBB813_847:                            ;   in Loop: Header=BB813_682 Depth=2
	global_load_b64 v[30:31], v[38:39], off offset:768
	s_wait_alu 0xfffe
	s_or_b32 exec_lo, exec_lo, s34
	s_delay_alu instid0(SALU_CYCLE_1)
	s_mov_b32 s34, exec_lo
	v_cmpx_lt_u32_e64 v133, v164
	s_cbranch_execz .LBB813_782
.LBB813_848:                            ;   in Loop: Header=BB813_682 Depth=2
	global_load_b64 v[28:29], v[38:39], off offset:1024
	s_wait_alu 0xfffe
	s_or_b32 exec_lo, exec_lo, s34
	s_delay_alu instid0(SALU_CYCLE_1)
	s_mov_b32 s34, exec_lo
	v_cmpx_lt_u32_e64 v134, v164
	s_cbranch_execz .LBB813_783
.LBB813_849:                            ;   in Loop: Header=BB813_682 Depth=2
	global_load_b64 v[26:27], v[38:39], off offset:1280
	s_wait_alu 0xfffe
	s_or_b32 exec_lo, exec_lo, s34
	s_delay_alu instid0(SALU_CYCLE_1)
	s_mov_b32 s34, exec_lo
	v_cmpx_lt_u32_e64 v135, v164
	s_cbranch_execz .LBB813_784
.LBB813_850:                            ;   in Loop: Header=BB813_682 Depth=2
	global_load_b64 v[24:25], v[38:39], off offset:1536
	s_wait_alu 0xfffe
	s_or_b32 exec_lo, exec_lo, s34
	s_delay_alu instid0(SALU_CYCLE_1)
	s_mov_b32 s34, exec_lo
	v_cmpx_lt_u32_e64 v136, v164
	s_cbranch_execz .LBB813_785
.LBB813_851:                            ;   in Loop: Header=BB813_682 Depth=2
	global_load_b64 v[22:23], v[38:39], off offset:1792
	s_wait_alu 0xfffe
	s_or_b32 exec_lo, exec_lo, s34
	s_delay_alu instid0(SALU_CYCLE_1)
	s_mov_b32 s34, exec_lo
	v_cmpx_lt_u32_e64 v137, v164
	s_cbranch_execz .LBB813_786
.LBB813_852:                            ;   in Loop: Header=BB813_682 Depth=2
	global_load_b64 v[20:21], v[38:39], off offset:2048
	s_wait_alu 0xfffe
	s_or_b32 exec_lo, exec_lo, s34
	s_delay_alu instid0(SALU_CYCLE_1)
	s_mov_b32 s34, exec_lo
	v_cmpx_lt_u32_e64 v138, v164
	s_cbranch_execz .LBB813_787
.LBB813_853:                            ;   in Loop: Header=BB813_682 Depth=2
	global_load_b64 v[18:19], v[38:39], off offset:2304
	s_wait_alu 0xfffe
	s_or_b32 exec_lo, exec_lo, s34
	s_delay_alu instid0(SALU_CYCLE_1)
	s_mov_b32 s34, exec_lo
	v_cmpx_lt_u32_e64 v139, v164
	s_cbranch_execz .LBB813_788
.LBB813_854:                            ;   in Loop: Header=BB813_682 Depth=2
	global_load_b64 v[16:17], v[38:39], off offset:2560
	s_wait_alu 0xfffe
	s_or_b32 exec_lo, exec_lo, s34
	s_delay_alu instid0(SALU_CYCLE_1)
	s_mov_b32 s34, exec_lo
	v_cmpx_lt_u32_e64 v140, v164
	s_cbranch_execz .LBB813_789
.LBB813_855:                            ;   in Loop: Header=BB813_682 Depth=2
	global_load_b64 v[14:15], v[38:39], off offset:2816
	s_wait_alu 0xfffe
	s_or_b32 exec_lo, exec_lo, s34
	s_delay_alu instid0(SALU_CYCLE_1)
	s_mov_b32 s34, exec_lo
	v_cmpx_lt_u32_e64 v141, v164
	s_cbranch_execz .LBB813_790
.LBB813_856:                            ;   in Loop: Header=BB813_682 Depth=2
	global_load_b64 v[12:13], v[38:39], off offset:3072
	s_wait_alu 0xfffe
	s_or_b32 exec_lo, exec_lo, s34
	s_delay_alu instid0(SALU_CYCLE_1)
	s_mov_b32 s34, exec_lo
	v_cmpx_lt_u32_e64 v142, v164
	s_cbranch_execz .LBB813_791
.LBB813_857:                            ;   in Loop: Header=BB813_682 Depth=2
	global_load_b64 v[10:11], v[38:39], off offset:3328
	s_wait_alu 0xfffe
	s_or_b32 exec_lo, exec_lo, s34
	s_delay_alu instid0(SALU_CYCLE_1)
	s_mov_b32 s34, exec_lo
	v_cmpx_lt_u32_e64 v143, v164
	s_cbranch_execz .LBB813_792
.LBB813_858:                            ;   in Loop: Header=BB813_682 Depth=2
	global_load_b64 v[8:9], v[38:39], off offset:3584
	s_wait_alu 0xfffe
	s_or_b32 exec_lo, exec_lo, s34
	s_delay_alu instid0(SALU_CYCLE_1)
	s_mov_b32 s34, exec_lo
	v_cmpx_lt_u32_e64 v144, v164
	s_cbranch_execz .LBB813_793
.LBB813_859:                            ;   in Loop: Header=BB813_682 Depth=2
	global_load_b64 v[6:7], v[38:39], off offset:3840
	s_wait_alu 0xfffe
	s_or_b32 exec_lo, exec_lo, s34
	s_and_saveexec_b32 s30, vcc_lo
	s_cbranch_execz .LBB813_794
.LBB813_860:                            ;   in Loop: Header=BB813_682 Depth=2
	ds_load_b64 v[38:39], v110 offset:1024
	s_wait_dscnt 0x0
	v_lshrrev_b64 v[38:39], s31, v[38:39]
	s_delay_alu instid0(VALU_DEP_1)
	v_and_b32_e32 v163, s54, v38
	s_wait_alu 0xfffe
	s_or_b32 exec_lo, exec_lo, s30
	s_and_saveexec_b32 s30, s15
	s_cbranch_execz .LBB813_795
.LBB813_861:                            ;   in Loop: Header=BB813_682 Depth=2
	ds_load_b64 v[38:39], v110 offset:3072
	s_wait_dscnt 0x0
	v_lshrrev_b64 v[38:39], s31, v[38:39]
	s_delay_alu instid0(VALU_DEP_1)
	v_and_b32_e32 v162, s54, v38
	s_wait_alu 0xfffe
	s_or_b32 exec_lo, exec_lo, s30
	s_and_saveexec_b32 s30, s16
	s_cbranch_execz .LBB813_796
.LBB813_862:                            ;   in Loop: Header=BB813_682 Depth=2
	ds_load_b64 v[38:39], v110 offset:5120
	s_wait_dscnt 0x0
	v_lshrrev_b64 v[38:39], s31, v[38:39]
	s_delay_alu instid0(VALU_DEP_1)
	v_and_b32_e32 v161, s54, v38
	s_wait_alu 0xfffe
	s_or_b32 exec_lo, exec_lo, s30
	s_and_saveexec_b32 s30, s17
	s_cbranch_execz .LBB813_797
.LBB813_863:                            ;   in Loop: Header=BB813_682 Depth=2
	ds_load_b64 v[38:39], v110 offset:7168
	s_wait_dscnt 0x0
	v_lshrrev_b64 v[38:39], s31, v[38:39]
	s_delay_alu instid0(VALU_DEP_1)
	v_and_b32_e32 v160, s54, v38
	s_wait_alu 0xfffe
	s_or_b32 exec_lo, exec_lo, s30
	s_and_saveexec_b32 s30, s18
	s_cbranch_execz .LBB813_798
.LBB813_864:                            ;   in Loop: Header=BB813_682 Depth=2
	ds_load_b64 v[38:39], v110 offset:9216
	s_wait_dscnt 0x0
	v_lshrrev_b64 v[38:39], s31, v[38:39]
	s_delay_alu instid0(VALU_DEP_1)
	v_and_b32_e32 v159, s54, v38
	s_wait_alu 0xfffe
	s_or_b32 exec_lo, exec_lo, s30
	s_and_saveexec_b32 s30, s19
	s_cbranch_execz .LBB813_799
.LBB813_865:                            ;   in Loop: Header=BB813_682 Depth=2
	ds_load_b64 v[38:39], v110 offset:11264
	s_wait_dscnt 0x0
	v_lshrrev_b64 v[38:39], s31, v[38:39]
	s_delay_alu instid0(VALU_DEP_1)
	v_and_b32_e32 v158, s54, v38
	s_wait_alu 0xfffe
	s_or_b32 exec_lo, exec_lo, s30
	s_and_saveexec_b32 s30, s20
	s_cbranch_execz .LBB813_800
.LBB813_866:                            ;   in Loop: Header=BB813_682 Depth=2
	ds_load_b64 v[38:39], v110 offset:13312
	s_wait_dscnt 0x0
	v_lshrrev_b64 v[38:39], s31, v[38:39]
	s_delay_alu instid0(VALU_DEP_1)
	v_and_b32_e32 v157, s54, v38
	s_wait_alu 0xfffe
	s_or_b32 exec_lo, exec_lo, s30
	s_and_saveexec_b32 s30, s21
	s_cbranch_execz .LBB813_801
.LBB813_867:                            ;   in Loop: Header=BB813_682 Depth=2
	ds_load_b64 v[38:39], v110 offset:15360
	s_wait_dscnt 0x0
	v_lshrrev_b64 v[38:39], s31, v[38:39]
	s_delay_alu instid0(VALU_DEP_1)
	v_and_b32_e32 v156, s54, v38
	s_wait_alu 0xfffe
	s_or_b32 exec_lo, exec_lo, s30
	s_and_saveexec_b32 s30, s22
	s_cbranch_execz .LBB813_802
.LBB813_868:                            ;   in Loop: Header=BB813_682 Depth=2
	ds_load_b64 v[38:39], v110 offset:17408
	s_wait_dscnt 0x0
	v_lshrrev_b64 v[38:39], s31, v[38:39]
	s_delay_alu instid0(VALU_DEP_1)
	v_and_b32_e32 v155, s54, v38
	s_wait_alu 0xfffe
	s_or_b32 exec_lo, exec_lo, s30
	s_and_saveexec_b32 s30, s23
	s_cbranch_execz .LBB813_803
.LBB813_869:                            ;   in Loop: Header=BB813_682 Depth=2
	ds_load_b64 v[38:39], v110 offset:19456
	s_wait_dscnt 0x0
	v_lshrrev_b64 v[38:39], s31, v[38:39]
	s_delay_alu instid0(VALU_DEP_1)
	v_and_b32_e32 v154, s54, v38
	s_wait_alu 0xfffe
	s_or_b32 exec_lo, exec_lo, s30
	s_and_saveexec_b32 s30, s24
	s_cbranch_execz .LBB813_804
.LBB813_870:                            ;   in Loop: Header=BB813_682 Depth=2
	ds_load_b64 v[38:39], v110 offset:21504
	s_wait_dscnt 0x0
	v_lshrrev_b64 v[38:39], s31, v[38:39]
	s_delay_alu instid0(VALU_DEP_1)
	v_and_b32_e32 v153, s54, v38
	s_wait_alu 0xfffe
	s_or_b32 exec_lo, exec_lo, s30
	s_and_saveexec_b32 s30, s25
	s_cbranch_execz .LBB813_805
.LBB813_871:                            ;   in Loop: Header=BB813_682 Depth=2
	ds_load_b64 v[38:39], v110 offset:23552
	s_wait_dscnt 0x0
	v_lshrrev_b64 v[38:39], s31, v[38:39]
	s_delay_alu instid0(VALU_DEP_1)
	v_and_b32_e32 v152, s54, v38
	s_wait_alu 0xfffe
	s_or_b32 exec_lo, exec_lo, s30
	s_and_saveexec_b32 s30, s26
	s_cbranch_execz .LBB813_806
.LBB813_872:                            ;   in Loop: Header=BB813_682 Depth=2
	ds_load_b64 v[38:39], v110 offset:25600
	s_wait_dscnt 0x0
	v_lshrrev_b64 v[38:39], s31, v[38:39]
	s_delay_alu instid0(VALU_DEP_1)
	v_and_b32_e32 v151, s54, v38
	s_wait_alu 0xfffe
	s_or_b32 exec_lo, exec_lo, s30
	s_and_saveexec_b32 s30, s27
	s_cbranch_execz .LBB813_807
.LBB813_873:                            ;   in Loop: Header=BB813_682 Depth=2
	ds_load_b64 v[38:39], v110 offset:27648
	s_wait_dscnt 0x0
	v_lshrrev_b64 v[38:39], s31, v[38:39]
	s_delay_alu instid0(VALU_DEP_1)
	v_and_b32_e32 v150, s54, v38
	s_wait_alu 0xfffe
	s_or_b32 exec_lo, exec_lo, s30
	s_and_saveexec_b32 s30, s28
	s_cbranch_execz .LBB813_808
.LBB813_874:                            ;   in Loop: Header=BB813_682 Depth=2
	ds_load_b64 v[38:39], v110 offset:29696
	s_wait_dscnt 0x0
	v_lshrrev_b64 v[38:39], s31, v[38:39]
	s_delay_alu instid0(VALU_DEP_1)
	v_and_b32_e32 v149, s54, v38
	s_wait_alu 0xfffe
	s_or_b32 exec_lo, exec_lo, s30
	s_and_saveexec_b32 s30, s29
	s_cbranch_execnz .LBB813_809
	s_branch .LBB813_810
.LBB813_875:                            ;   in Loop: Header=BB813_682 Depth=2
	v_lshlrev_b32_e32 v2, 2, v163
	ds_load_b32 v2, v2
	ds_load_b64 v[38:39], v110 offset:1024
	s_wait_dscnt 0x1
	v_add_nc_u32_e32 v2, v2, v1
	s_delay_alu instid0(VALU_DEP_1) | instskip(NEXT) | instid1(VALU_DEP_1)
	v_lshlrev_b64_e32 v[40:41], 3, v[2:3]
	v_add_co_u32 v40, vcc_lo, s44, v40
	s_wait_alu 0xfffd
	s_delay_alu instid0(VALU_DEP_2)
	v_add_co_ci_u32_e64 v41, null, s45, v41, vcc_lo
	s_wait_dscnt 0x0
	global_store_b64 v[40:41], v[38:39], off
	s_wait_alu 0xfffe
	s_or_b32 exec_lo, exec_lo, s30
	s_and_saveexec_b32 s30, s15
	s_cbranch_execz .LBB813_812
.LBB813_876:                            ;   in Loop: Header=BB813_682 Depth=2
	v_lshlrev_b32_e32 v2, 2, v162
	ds_load_b32 v2, v2
	ds_load_b64 v[38:39], v110 offset:3072
	s_wait_dscnt 0x1
	v_add_nc_u32_e32 v2, v2, v79
	s_delay_alu instid0(VALU_DEP_1) | instskip(NEXT) | instid1(VALU_DEP_1)
	v_lshlrev_b64_e32 v[40:41], 3, v[2:3]
	v_add_co_u32 v40, vcc_lo, s44, v40
	s_wait_alu 0xfffd
	s_delay_alu instid0(VALU_DEP_2)
	v_add_co_ci_u32_e64 v41, null, s45, v41, vcc_lo
	s_wait_dscnt 0x0
	global_store_b64 v[40:41], v[38:39], off
	s_wait_alu 0xfffe
	s_or_b32 exec_lo, exec_lo, s30
	s_and_saveexec_b32 s15, s16
	s_cbranch_execz .LBB813_813
.LBB813_877:                            ;   in Loop: Header=BB813_682 Depth=2
	v_lshlrev_b32_e32 v2, 2, v161
	ds_load_b32 v2, v2
	ds_load_b64 v[38:39], v110 offset:5120
	s_wait_dscnt 0x1
	v_add_nc_u32_e32 v2, v2, v80
	s_delay_alu instid0(VALU_DEP_1) | instskip(NEXT) | instid1(VALU_DEP_1)
	v_lshlrev_b64_e32 v[40:41], 3, v[2:3]
	v_add_co_u32 v40, vcc_lo, s44, v40
	s_wait_alu 0xfffd
	s_delay_alu instid0(VALU_DEP_2)
	v_add_co_ci_u32_e64 v41, null, s45, v41, vcc_lo
	s_wait_dscnt 0x0
	global_store_b64 v[40:41], v[38:39], off
	s_wait_alu 0xfffe
	s_or_b32 exec_lo, exec_lo, s15
	s_and_saveexec_b32 s15, s17
	s_cbranch_execz .LBB813_814
.LBB813_878:                            ;   in Loop: Header=BB813_682 Depth=2
	v_lshlrev_b32_e32 v2, 2, v160
	ds_load_b32 v2, v2
	ds_load_b64 v[38:39], v110 offset:7168
	s_wait_dscnt 0x1
	v_add_nc_u32_e32 v2, v2, v81
	s_delay_alu instid0(VALU_DEP_1) | instskip(NEXT) | instid1(VALU_DEP_1)
	v_lshlrev_b64_e32 v[40:41], 3, v[2:3]
	v_add_co_u32 v40, vcc_lo, s44, v40
	s_wait_alu 0xfffd
	s_delay_alu instid0(VALU_DEP_2)
	v_add_co_ci_u32_e64 v41, null, s45, v41, vcc_lo
	s_wait_dscnt 0x0
	global_store_b64 v[40:41], v[38:39], off
	s_wait_alu 0xfffe
	s_or_b32 exec_lo, exec_lo, s15
	s_and_saveexec_b32 s15, s18
	s_cbranch_execz .LBB813_815
.LBB813_879:                            ;   in Loop: Header=BB813_682 Depth=2
	v_lshlrev_b32_e32 v2, 2, v159
	ds_load_b32 v2, v2
	ds_load_b64 v[38:39], v110 offset:9216
	s_wait_dscnt 0x1
	v_add_nc_u32_e32 v2, v2, v84
	s_delay_alu instid0(VALU_DEP_1) | instskip(NEXT) | instid1(VALU_DEP_1)
	v_lshlrev_b64_e32 v[40:41], 3, v[2:3]
	v_add_co_u32 v40, vcc_lo, s44, v40
	s_wait_alu 0xfffd
	s_delay_alu instid0(VALU_DEP_2)
	v_add_co_ci_u32_e64 v41, null, s45, v41, vcc_lo
	s_wait_dscnt 0x0
	global_store_b64 v[40:41], v[38:39], off
	s_wait_alu 0xfffe
	s_or_b32 exec_lo, exec_lo, s15
	s_and_saveexec_b32 s15, s19
	s_cbranch_execz .LBB813_816
.LBB813_880:                            ;   in Loop: Header=BB813_682 Depth=2
	v_lshlrev_b32_e32 v2, 2, v158
	ds_load_b32 v2, v2
	ds_load_b64 v[38:39], v110 offset:11264
	s_wait_dscnt 0x1
	v_add_nc_u32_e32 v2, v2, v85
	s_delay_alu instid0(VALU_DEP_1) | instskip(NEXT) | instid1(VALU_DEP_1)
	v_lshlrev_b64_e32 v[40:41], 3, v[2:3]
	v_add_co_u32 v40, vcc_lo, s44, v40
	s_wait_alu 0xfffd
	s_delay_alu instid0(VALU_DEP_2)
	v_add_co_ci_u32_e64 v41, null, s45, v41, vcc_lo
	s_wait_dscnt 0x0
	global_store_b64 v[40:41], v[38:39], off
	s_wait_alu 0xfffe
	s_or_b32 exec_lo, exec_lo, s15
	s_and_saveexec_b32 s15, s20
	s_cbranch_execz .LBB813_817
.LBB813_881:                            ;   in Loop: Header=BB813_682 Depth=2
	v_lshlrev_b32_e32 v2, 2, v157
	ds_load_b32 v2, v2
	ds_load_b64 v[38:39], v110 offset:13312
	s_wait_dscnt 0x1
	v_add_nc_u32_e32 v2, v2, v86
	s_delay_alu instid0(VALU_DEP_1) | instskip(NEXT) | instid1(VALU_DEP_1)
	v_lshlrev_b64_e32 v[40:41], 3, v[2:3]
	v_add_co_u32 v40, vcc_lo, s44, v40
	s_wait_alu 0xfffd
	s_delay_alu instid0(VALU_DEP_2)
	v_add_co_ci_u32_e64 v41, null, s45, v41, vcc_lo
	s_wait_dscnt 0x0
	global_store_b64 v[40:41], v[38:39], off
	s_wait_alu 0xfffe
	s_or_b32 exec_lo, exec_lo, s15
	s_and_saveexec_b32 s15, s21
	s_cbranch_execz .LBB813_818
.LBB813_882:                            ;   in Loop: Header=BB813_682 Depth=2
	v_lshlrev_b32_e32 v2, 2, v156
	ds_load_b32 v2, v2
	ds_load_b64 v[38:39], v110 offset:15360
	s_wait_dscnt 0x1
	v_add_nc_u32_e32 v2, v2, v87
	s_delay_alu instid0(VALU_DEP_1) | instskip(NEXT) | instid1(VALU_DEP_1)
	v_lshlrev_b64_e32 v[40:41], 3, v[2:3]
	v_add_co_u32 v40, vcc_lo, s44, v40
	s_wait_alu 0xfffd
	s_delay_alu instid0(VALU_DEP_2)
	v_add_co_ci_u32_e64 v41, null, s45, v41, vcc_lo
	s_wait_dscnt 0x0
	global_store_b64 v[40:41], v[38:39], off
	s_wait_alu 0xfffe
	s_or_b32 exec_lo, exec_lo, s15
	s_and_saveexec_b32 s15, s22
	s_cbranch_execz .LBB813_819
.LBB813_883:                            ;   in Loop: Header=BB813_682 Depth=2
	v_lshlrev_b32_e32 v2, 2, v155
	ds_load_b32 v2, v2
	ds_load_b64 v[38:39], v110 offset:17408
	s_wait_dscnt 0x1
	v_add_nc_u32_e32 v2, v2, v88
	s_delay_alu instid0(VALU_DEP_1) | instskip(NEXT) | instid1(VALU_DEP_1)
	v_lshlrev_b64_e32 v[40:41], 3, v[2:3]
	v_add_co_u32 v40, vcc_lo, s44, v40
	s_wait_alu 0xfffd
	s_delay_alu instid0(VALU_DEP_2)
	v_add_co_ci_u32_e64 v41, null, s45, v41, vcc_lo
	s_wait_dscnt 0x0
	global_store_b64 v[40:41], v[38:39], off
	s_wait_alu 0xfffe
	s_or_b32 exec_lo, exec_lo, s15
	s_and_saveexec_b32 s15, s23
	s_cbranch_execz .LBB813_820
.LBB813_884:                            ;   in Loop: Header=BB813_682 Depth=2
	v_lshlrev_b32_e32 v2, 2, v154
	ds_load_b32 v2, v2
	ds_load_b64 v[38:39], v110 offset:19456
	s_wait_dscnt 0x1
	v_add_nc_u32_e32 v2, v2, v89
	s_delay_alu instid0(VALU_DEP_1) | instskip(NEXT) | instid1(VALU_DEP_1)
	v_lshlrev_b64_e32 v[40:41], 3, v[2:3]
	v_add_co_u32 v40, vcc_lo, s44, v40
	s_wait_alu 0xfffd
	s_delay_alu instid0(VALU_DEP_2)
	v_add_co_ci_u32_e64 v41, null, s45, v41, vcc_lo
	s_wait_dscnt 0x0
	global_store_b64 v[40:41], v[38:39], off
	s_wait_alu 0xfffe
	s_or_b32 exec_lo, exec_lo, s15
	s_and_saveexec_b32 s15, s24
	s_cbranch_execz .LBB813_821
.LBB813_885:                            ;   in Loop: Header=BB813_682 Depth=2
	v_lshlrev_b32_e32 v2, 2, v153
	ds_load_b32 v2, v2
	ds_load_b64 v[38:39], v110 offset:21504
	s_wait_dscnt 0x1
	v_add_nc_u32_e32 v2, v2, v90
	s_delay_alu instid0(VALU_DEP_1) | instskip(NEXT) | instid1(VALU_DEP_1)
	v_lshlrev_b64_e32 v[40:41], 3, v[2:3]
	v_add_co_u32 v40, vcc_lo, s44, v40
	s_wait_alu 0xfffd
	s_delay_alu instid0(VALU_DEP_2)
	v_add_co_ci_u32_e64 v41, null, s45, v41, vcc_lo
	s_wait_dscnt 0x0
	global_store_b64 v[40:41], v[38:39], off
	s_wait_alu 0xfffe
	s_or_b32 exec_lo, exec_lo, s15
	s_and_saveexec_b32 s15, s25
	s_cbranch_execz .LBB813_822
.LBB813_886:                            ;   in Loop: Header=BB813_682 Depth=2
	v_lshlrev_b32_e32 v2, 2, v152
	ds_load_b32 v2, v2
	ds_load_b64 v[38:39], v110 offset:23552
	s_wait_dscnt 0x1
	v_add_nc_u32_e32 v2, v2, v91
	s_delay_alu instid0(VALU_DEP_1) | instskip(NEXT) | instid1(VALU_DEP_1)
	v_lshlrev_b64_e32 v[40:41], 3, v[2:3]
	v_add_co_u32 v40, vcc_lo, s44, v40
	s_wait_alu 0xfffd
	s_delay_alu instid0(VALU_DEP_2)
	v_add_co_ci_u32_e64 v41, null, s45, v41, vcc_lo
	s_wait_dscnt 0x0
	global_store_b64 v[40:41], v[38:39], off
	s_wait_alu 0xfffe
	s_or_b32 exec_lo, exec_lo, s15
	s_and_saveexec_b32 s15, s26
	s_cbranch_execz .LBB813_823
.LBB813_887:                            ;   in Loop: Header=BB813_682 Depth=2
	v_lshlrev_b32_e32 v2, 2, v151
	ds_load_b32 v2, v2
	ds_load_b64 v[38:39], v110 offset:25600
	s_wait_dscnt 0x1
	v_add_nc_u32_e32 v2, v2, v92
	s_delay_alu instid0(VALU_DEP_1) | instskip(NEXT) | instid1(VALU_DEP_1)
	v_lshlrev_b64_e32 v[40:41], 3, v[2:3]
	v_add_co_u32 v40, vcc_lo, s44, v40
	s_wait_alu 0xfffd
	s_delay_alu instid0(VALU_DEP_2)
	v_add_co_ci_u32_e64 v41, null, s45, v41, vcc_lo
	s_wait_dscnt 0x0
	global_store_b64 v[40:41], v[38:39], off
	s_wait_alu 0xfffe
	s_or_b32 exec_lo, exec_lo, s15
	s_and_saveexec_b32 s15, s27
	s_cbranch_execz .LBB813_824
.LBB813_888:                            ;   in Loop: Header=BB813_682 Depth=2
	v_lshlrev_b32_e32 v2, 2, v150
	ds_load_b32 v2, v2
	ds_load_b64 v[38:39], v110 offset:27648
	s_wait_dscnt 0x1
	v_add_nc_u32_e32 v2, v2, v93
	s_delay_alu instid0(VALU_DEP_1) | instskip(NEXT) | instid1(VALU_DEP_1)
	v_lshlrev_b64_e32 v[40:41], 3, v[2:3]
	v_add_co_u32 v40, vcc_lo, s44, v40
	s_wait_alu 0xfffd
	s_delay_alu instid0(VALU_DEP_2)
	v_add_co_ci_u32_e64 v41, null, s45, v41, vcc_lo
	s_wait_dscnt 0x0
	global_store_b64 v[40:41], v[38:39], off
	s_wait_alu 0xfffe
	s_or_b32 exec_lo, exec_lo, s15
	s_and_saveexec_b32 s15, s28
	s_cbranch_execz .LBB813_825
.LBB813_889:                            ;   in Loop: Header=BB813_682 Depth=2
	v_lshlrev_b32_e32 v2, 2, v149
	ds_load_b32 v2, v2
	ds_load_b64 v[38:39], v110 offset:29696
	s_wait_dscnt 0x1
	v_add_nc_u32_e32 v2, v2, v94
	s_delay_alu instid0(VALU_DEP_1) | instskip(NEXT) | instid1(VALU_DEP_1)
	v_lshlrev_b64_e32 v[40:41], 3, v[2:3]
	v_add_co_u32 v40, vcc_lo, s44, v40
	s_wait_alu 0xfffd
	s_delay_alu instid0(VALU_DEP_2)
	v_add_co_ci_u32_e64 v41, null, s45, v41, vcc_lo
	s_wait_dscnt 0x0
	global_store_b64 v[40:41], v[38:39], off
	s_wait_alu 0xfffe
	s_or_b32 exec_lo, exec_lo, s15
	s_and_saveexec_b32 s15, s29
	s_cbranch_execnz .LBB813_826
	s_branch .LBB813_827
.LBB813_890:                            ;   in Loop: Header=BB813_12 Depth=1
	s_wait_loadcnt_dscnt 0x0
	s_barrier_signal -1
	s_mov_b32 s0, 0
	s_barrier_wait -1
.LBB813_891:                            ;   in Loop: Header=BB813_12 Depth=1
	s_wait_alu 0xfffe
	s_and_b32 vcc_lo, exec_lo, s0
	s_wait_alu 0xfffe
	s_cbranch_vccz .LBB813_11
; %bb.892:                              ;   in Loop: Header=BB813_12 Depth=1
	s_mov_b32 s8, s53
	s_mov_b32 s34, s33
	s_barrier_signal -1
	s_barrier_wait -1
	global_inv scope:SCOPE_SE
                                        ; implicit-def: $vgpr6_vgpr7
                                        ; implicit-def: $vgpr8_vgpr9
                                        ; implicit-def: $vgpr10_vgpr11
                                        ; implicit-def: $vgpr12_vgpr13
                                        ; implicit-def: $vgpr14_vgpr15
                                        ; implicit-def: $vgpr16_vgpr17
                                        ; implicit-def: $vgpr18_vgpr19
                                        ; implicit-def: $vgpr20_vgpr21
                                        ; implicit-def: $vgpr22_vgpr23
                                        ; implicit-def: $vgpr24_vgpr25
                                        ; implicit-def: $vgpr26_vgpr27
                                        ; implicit-def: $vgpr28_vgpr29
                                        ; implicit-def: $vgpr30_vgpr31
                                        ; implicit-def: $vgpr32_vgpr33
                                        ; implicit-def: $vgpr34_vgpr35
                                        ; implicit-def: $vgpr36_vgpr37
	s_branch .LBB813_894
.LBB813_893:                            ;   in Loop: Header=BB813_894 Depth=2
	s_wait_alu 0xfffe
	s_or_b32 exec_lo, exec_lo, s0
	s_addk_co_i32 s8, 0xf000
	s_cmp_ge_u32 s9, s51
	s_mov_b32 s34, s9
	s_cbranch_scc1 .LBB813_962
.LBB813_894:                            ;   Parent Loop BB813_12 Depth=1
                                        ; =>  This Inner Loop Header: Depth=2
	s_wait_alu 0xfffe
	s_add_co_i32 s9, s34, 0x1000
	s_mov_b32 s0, -1
	s_wait_alu 0xfffe
	s_cmp_gt_u32 s9, s51
                                        ; implicit-def: $vgpr38_vgpr39
                                        ; implicit-def: $vgpr40_vgpr41
                                        ; implicit-def: $vgpr42_vgpr43
                                        ; implicit-def: $vgpr44_vgpr45
                                        ; implicit-def: $vgpr46_vgpr47
                                        ; implicit-def: $vgpr48_vgpr49
                                        ; implicit-def: $vgpr50_vgpr51
                                        ; implicit-def: $vgpr52_vgpr53
                                        ; implicit-def: $vgpr54_vgpr55
                                        ; implicit-def: $vgpr56_vgpr57
                                        ; implicit-def: $vgpr58_vgpr59
                                        ; implicit-def: $vgpr60_vgpr61
                                        ; implicit-def: $vgpr62_vgpr63
                                        ; implicit-def: $vgpr64_vgpr65
                                        ; implicit-def: $vgpr66_vgpr67
                                        ; implicit-def: $vgpr68_vgpr69
	s_cbranch_scc1 .LBB813_896
; %bb.895:                              ;   in Loop: Header=BB813_894 Depth=2
	s_lshl_b64 s[0:1], s[34:35], 3
	s_wait_alu 0xfffe
	v_add_co_u32 v68, vcc_lo, v117, s0
	s_wait_alu 0xfffd
	v_add_co_ci_u32_e64 v69, null, s1, v118, vcc_lo
	s_mov_b32 s0, 0
	s_clause 0xf
	global_load_b64 v[38:39], v[68:69], off
	global_load_b64 v[40:41], v[68:69], off offset:2048
	global_load_b64 v[42:43], v[68:69], off offset:4096
	;; [unrolled: 1-line block ×15, first 2 shown]
.LBB813_896:                            ;   in Loop: Header=BB813_894 Depth=2
	s_wait_alu 0xfffe
	s_and_not1_b32 vcc_lo, exec_lo, s0
	s_movk_i32 s0, 0x1000
	s_wait_alu 0xfffe
	s_cbranch_vccnz .LBB813_915
; %bb.897:                              ;   in Loop: Header=BB813_894 Depth=2
	s_lshl_b64 s[0:1], s[34:35], 3
	s_mov_b32 s10, exec_lo
	s_wait_alu 0xfffe
	s_add_nc_u64 s[0:1], s[36:37], s[0:1]
	v_cmpx_gt_u32_e64 s8, v1
	s_cbranch_execnz .LBB813_947
; %bb.898:                              ;   in Loop: Header=BB813_894 Depth=2
	s_or_b32 exec_lo, exec_lo, s10
	s_delay_alu instid0(SALU_CYCLE_1)
	s_mov_b32 s10, exec_lo
	v_cmpx_gt_u32_e64 s8, v79
	s_cbranch_execnz .LBB813_948
.LBB813_899:                            ;   in Loop: Header=BB813_894 Depth=2
	s_wait_alu 0xfffe
	s_or_b32 exec_lo, exec_lo, s10
	s_delay_alu instid0(SALU_CYCLE_1)
	s_mov_b32 s10, exec_lo
	v_cmpx_gt_u32_e64 s8, v80
	s_cbranch_execnz .LBB813_949
.LBB813_900:                            ;   in Loop: Header=BB813_894 Depth=2
	s_wait_alu 0xfffe
	s_or_b32 exec_lo, exec_lo, s10
	s_delay_alu instid0(SALU_CYCLE_1)
	s_mov_b32 s10, exec_lo
	v_cmpx_gt_u32_e64 s8, v81
	s_cbranch_execnz .LBB813_950
.LBB813_901:                            ;   in Loop: Header=BB813_894 Depth=2
	s_wait_alu 0xfffe
	s_or_b32 exec_lo, exec_lo, s10
	s_delay_alu instid0(SALU_CYCLE_1)
	s_mov_b32 s10, exec_lo
	v_cmpx_gt_u32_e64 s8, v84
	s_cbranch_execnz .LBB813_951
.LBB813_902:                            ;   in Loop: Header=BB813_894 Depth=2
	s_wait_alu 0xfffe
	s_or_b32 exec_lo, exec_lo, s10
	s_delay_alu instid0(SALU_CYCLE_1)
	s_mov_b32 s10, exec_lo
	v_cmpx_gt_u32_e64 s8, v85
	s_cbranch_execnz .LBB813_952
.LBB813_903:                            ;   in Loop: Header=BB813_894 Depth=2
	s_wait_alu 0xfffe
	s_or_b32 exec_lo, exec_lo, s10
	s_delay_alu instid0(SALU_CYCLE_1)
	s_mov_b32 s10, exec_lo
	v_cmpx_gt_u32_e64 s8, v86
	s_cbranch_execnz .LBB813_953
.LBB813_904:                            ;   in Loop: Header=BB813_894 Depth=2
	s_wait_alu 0xfffe
	s_or_b32 exec_lo, exec_lo, s10
	s_delay_alu instid0(SALU_CYCLE_1)
	s_mov_b32 s10, exec_lo
	v_cmpx_gt_u32_e64 s8, v87
	s_cbranch_execnz .LBB813_954
.LBB813_905:                            ;   in Loop: Header=BB813_894 Depth=2
	s_wait_alu 0xfffe
	s_or_b32 exec_lo, exec_lo, s10
	s_delay_alu instid0(SALU_CYCLE_1)
	s_mov_b32 s10, exec_lo
	v_cmpx_gt_u32_e64 s8, v88
	s_cbranch_execnz .LBB813_955
.LBB813_906:                            ;   in Loop: Header=BB813_894 Depth=2
	s_wait_alu 0xfffe
	s_or_b32 exec_lo, exec_lo, s10
	s_delay_alu instid0(SALU_CYCLE_1)
	s_mov_b32 s10, exec_lo
	v_cmpx_gt_u32_e64 s8, v89
	s_cbranch_execnz .LBB813_956
.LBB813_907:                            ;   in Loop: Header=BB813_894 Depth=2
	s_wait_alu 0xfffe
	s_or_b32 exec_lo, exec_lo, s10
	s_delay_alu instid0(SALU_CYCLE_1)
	s_mov_b32 s10, exec_lo
	v_cmpx_gt_u32_e64 s8, v90
	s_cbranch_execnz .LBB813_957
.LBB813_908:                            ;   in Loop: Header=BB813_894 Depth=2
	s_wait_alu 0xfffe
	s_or_b32 exec_lo, exec_lo, s10
	s_delay_alu instid0(SALU_CYCLE_1)
	s_mov_b32 s10, exec_lo
	v_cmpx_gt_u32_e64 s8, v91
	s_cbranch_execnz .LBB813_958
.LBB813_909:                            ;   in Loop: Header=BB813_894 Depth=2
	s_wait_alu 0xfffe
	s_or_b32 exec_lo, exec_lo, s10
	s_delay_alu instid0(SALU_CYCLE_1)
	s_mov_b32 s10, exec_lo
	v_cmpx_gt_u32_e64 s8, v92
	s_cbranch_execnz .LBB813_959
.LBB813_910:                            ;   in Loop: Header=BB813_894 Depth=2
	s_wait_alu 0xfffe
	s_or_b32 exec_lo, exec_lo, s10
	s_delay_alu instid0(SALU_CYCLE_1)
	s_mov_b32 s10, exec_lo
	v_cmpx_gt_u32_e64 s8, v93
	s_cbranch_execnz .LBB813_960
.LBB813_911:                            ;   in Loop: Header=BB813_894 Depth=2
	s_wait_alu 0xfffe
	s_or_b32 exec_lo, exec_lo, s10
	s_delay_alu instid0(SALU_CYCLE_1)
	s_mov_b32 s10, exec_lo
	v_cmpx_gt_u32_e64 s8, v94
	s_cbranch_execnz .LBB813_961
.LBB813_912:                            ;   in Loop: Header=BB813_894 Depth=2
	s_wait_alu 0xfffe
	s_or_b32 exec_lo, exec_lo, s10
	s_delay_alu instid0(SALU_CYCLE_1)
	s_mov_b32 s10, exec_lo
	v_cmpx_gt_u32_e64 s8, v95
	s_cbranch_execz .LBB813_914
.LBB813_913:                            ;   in Loop: Header=BB813_894 Depth=2
	global_load_b64 v[6:7], v124, s[0:1] offset:30720
.LBB813_914:                            ;   in Loop: Header=BB813_894 Depth=2
	s_wait_alu 0xfffe
	s_or_b32 exec_lo, exec_lo, s10
	s_wait_loadcnt 0x0
	v_dual_mov_b32 v39, v37 :: v_dual_mov_b32 v38, v36
	v_dual_mov_b32 v41, v35 :: v_dual_mov_b32 v40, v34
	;; [unrolled: 1-line block ×16, first 2 shown]
	s_mov_b32 s0, s8
.LBB813_915:                            ;   in Loop: Header=BB813_894 Depth=2
	s_wait_loadcnt 0x0
	s_delay_alu instid0(VALU_DEP_1)
	v_dual_mov_b32 v6, v68 :: v_dual_mov_b32 v7, v69
	v_dual_mov_b32 v8, v66 :: v_dual_mov_b32 v9, v67
	;; [unrolled: 1-line block ×16, first 2 shown]
	s_mov_b32 s1, exec_lo
	s_wait_alu 0xfffe
	v_cmpx_gt_u32_e64 s0, v1
	s_cbranch_execnz .LBB813_931
; %bb.916:                              ;   in Loop: Header=BB813_894 Depth=2
	s_or_b32 exec_lo, exec_lo, s1
	s_delay_alu instid0(SALU_CYCLE_1)
	s_mov_b32 s1, exec_lo
	v_cmpx_gt_u32_e64 s0, v79
	s_cbranch_execnz .LBB813_932
.LBB813_917:                            ;   in Loop: Header=BB813_894 Depth=2
	s_wait_alu 0xfffe
	s_or_b32 exec_lo, exec_lo, s1
	s_delay_alu instid0(SALU_CYCLE_1)
	s_mov_b32 s1, exec_lo
	v_cmpx_gt_u32_e64 s0, v80
	s_cbranch_execnz .LBB813_933
.LBB813_918:                            ;   in Loop: Header=BB813_894 Depth=2
	s_wait_alu 0xfffe
	s_or_b32 exec_lo, exec_lo, s1
	s_delay_alu instid0(SALU_CYCLE_1)
	s_mov_b32 s1, exec_lo
	v_cmpx_gt_u32_e64 s0, v81
	s_cbranch_execnz .LBB813_934
.LBB813_919:                            ;   in Loop: Header=BB813_894 Depth=2
	s_wait_alu 0xfffe
	s_or_b32 exec_lo, exec_lo, s1
	s_delay_alu instid0(SALU_CYCLE_1)
	s_mov_b32 s1, exec_lo
	v_cmpx_gt_u32_e64 s0, v84
	s_cbranch_execnz .LBB813_935
.LBB813_920:                            ;   in Loop: Header=BB813_894 Depth=2
	s_wait_alu 0xfffe
	s_or_b32 exec_lo, exec_lo, s1
	s_delay_alu instid0(SALU_CYCLE_1)
	s_mov_b32 s1, exec_lo
	v_cmpx_gt_u32_e64 s0, v85
	s_cbranch_execnz .LBB813_936
.LBB813_921:                            ;   in Loop: Header=BB813_894 Depth=2
	s_wait_alu 0xfffe
	s_or_b32 exec_lo, exec_lo, s1
	s_delay_alu instid0(SALU_CYCLE_1)
	s_mov_b32 s1, exec_lo
	v_cmpx_gt_u32_e64 s0, v86
	s_cbranch_execnz .LBB813_937
.LBB813_922:                            ;   in Loop: Header=BB813_894 Depth=2
	s_wait_alu 0xfffe
	s_or_b32 exec_lo, exec_lo, s1
	s_delay_alu instid0(SALU_CYCLE_1)
	s_mov_b32 s1, exec_lo
	v_cmpx_gt_u32_e64 s0, v87
	s_cbranch_execnz .LBB813_938
.LBB813_923:                            ;   in Loop: Header=BB813_894 Depth=2
	s_wait_alu 0xfffe
	s_or_b32 exec_lo, exec_lo, s1
	s_delay_alu instid0(SALU_CYCLE_1)
	s_mov_b32 s1, exec_lo
	v_cmpx_gt_u32_e64 s0, v88
	s_cbranch_execnz .LBB813_939
.LBB813_924:                            ;   in Loop: Header=BB813_894 Depth=2
	s_wait_alu 0xfffe
	s_or_b32 exec_lo, exec_lo, s1
	s_delay_alu instid0(SALU_CYCLE_1)
	s_mov_b32 s1, exec_lo
	v_cmpx_gt_u32_e64 s0, v89
	s_cbranch_execnz .LBB813_940
.LBB813_925:                            ;   in Loop: Header=BB813_894 Depth=2
	s_wait_alu 0xfffe
	s_or_b32 exec_lo, exec_lo, s1
	s_delay_alu instid0(SALU_CYCLE_1)
	s_mov_b32 s1, exec_lo
	v_cmpx_gt_u32_e64 s0, v90
	s_cbranch_execnz .LBB813_941
.LBB813_926:                            ;   in Loop: Header=BB813_894 Depth=2
	s_wait_alu 0xfffe
	s_or_b32 exec_lo, exec_lo, s1
	s_delay_alu instid0(SALU_CYCLE_1)
	s_mov_b32 s1, exec_lo
	v_cmpx_gt_u32_e64 s0, v91
	s_cbranch_execnz .LBB813_942
.LBB813_927:                            ;   in Loop: Header=BB813_894 Depth=2
	s_wait_alu 0xfffe
	s_or_b32 exec_lo, exec_lo, s1
	s_delay_alu instid0(SALU_CYCLE_1)
	s_mov_b32 s1, exec_lo
	v_cmpx_gt_u32_e64 s0, v92
	s_cbranch_execnz .LBB813_943
.LBB813_928:                            ;   in Loop: Header=BB813_894 Depth=2
	s_wait_alu 0xfffe
	s_or_b32 exec_lo, exec_lo, s1
	s_delay_alu instid0(SALU_CYCLE_1)
	s_mov_b32 s1, exec_lo
	v_cmpx_gt_u32_e64 s0, v93
	s_cbranch_execnz .LBB813_944
.LBB813_929:                            ;   in Loop: Header=BB813_894 Depth=2
	s_wait_alu 0xfffe
	s_or_b32 exec_lo, exec_lo, s1
	s_delay_alu instid0(SALU_CYCLE_1)
	s_mov_b32 s1, exec_lo
	v_cmpx_gt_u32_e64 s0, v94
	s_cbranch_execnz .LBB813_945
.LBB813_930:                            ;   in Loop: Header=BB813_894 Depth=2
	s_wait_alu 0xfffe
	s_or_b32 exec_lo, exec_lo, s1
	v_cmp_gt_u32_e32 vcc_lo, s0, v95
	s_and_saveexec_b32 s0, vcc_lo
	s_cbranch_execz .LBB813_893
	s_branch .LBB813_946
.LBB813_931:                            ;   in Loop: Header=BB813_894 Depth=2
	v_xor_b32_e32 v39, 0x80000000, v37
	v_mov_b32_e32 v38, v36
	s_delay_alu instid0(VALU_DEP_1) | instskip(NEXT) | instid1(VALU_DEP_1)
	v_lshrrev_b64 v[38:39], s31, v[38:39]
	v_and_b32_e32 v2, s54, v38
	s_delay_alu instid0(VALU_DEP_1) | instskip(SKIP_2) | instid1(SALU_CYCLE_1)
	v_lshl_or_b32 v2, v2, 4, v96
	ds_add_u32 v2, v123
	s_or_b32 exec_lo, exec_lo, s1
	s_mov_b32 s1, exec_lo
	v_cmpx_gt_u32_e64 s0, v79
	s_cbranch_execz .LBB813_917
.LBB813_932:                            ;   in Loop: Header=BB813_894 Depth=2
	v_xor_b32_e32 v39, 0x80000000, v35
	v_mov_b32_e32 v38, v34
	s_delay_alu instid0(VALU_DEP_1) | instskip(NEXT) | instid1(VALU_DEP_1)
	v_lshrrev_b64 v[38:39], s31, v[38:39]
	v_and_b32_e32 v2, s54, v38
	s_delay_alu instid0(VALU_DEP_1) | instskip(SKIP_3) | instid1(SALU_CYCLE_1)
	v_lshl_or_b32 v2, v2, 4, v96
	ds_add_u32 v2, v123
	s_wait_alu 0xfffe
	s_or_b32 exec_lo, exec_lo, s1
	s_mov_b32 s1, exec_lo
	v_cmpx_gt_u32_e64 s0, v80
	s_cbranch_execz .LBB813_918
.LBB813_933:                            ;   in Loop: Header=BB813_894 Depth=2
	v_xor_b32_e32 v39, 0x80000000, v33
	v_mov_b32_e32 v38, v32
	s_delay_alu instid0(VALU_DEP_1) | instskip(NEXT) | instid1(VALU_DEP_1)
	v_lshrrev_b64 v[38:39], s31, v[38:39]
	v_and_b32_e32 v2, s54, v38
	s_delay_alu instid0(VALU_DEP_1) | instskip(SKIP_3) | instid1(SALU_CYCLE_1)
	v_lshl_or_b32 v2, v2, 4, v96
	ds_add_u32 v2, v123
	s_wait_alu 0xfffe
	s_or_b32 exec_lo, exec_lo, s1
	s_mov_b32 s1, exec_lo
	v_cmpx_gt_u32_e64 s0, v81
	s_cbranch_execz .LBB813_919
.LBB813_934:                            ;   in Loop: Header=BB813_894 Depth=2
	v_xor_b32_e32 v39, 0x80000000, v31
	v_mov_b32_e32 v38, v30
	s_delay_alu instid0(VALU_DEP_1) | instskip(NEXT) | instid1(VALU_DEP_1)
	v_lshrrev_b64 v[38:39], s31, v[38:39]
	v_and_b32_e32 v2, s54, v38
	s_delay_alu instid0(VALU_DEP_1) | instskip(SKIP_3) | instid1(SALU_CYCLE_1)
	v_lshl_or_b32 v2, v2, 4, v96
	ds_add_u32 v2, v123
	s_wait_alu 0xfffe
	s_or_b32 exec_lo, exec_lo, s1
	s_mov_b32 s1, exec_lo
	v_cmpx_gt_u32_e64 s0, v84
	s_cbranch_execz .LBB813_920
.LBB813_935:                            ;   in Loop: Header=BB813_894 Depth=2
	v_xor_b32_e32 v39, 0x80000000, v29
	v_mov_b32_e32 v38, v28
	s_delay_alu instid0(VALU_DEP_1) | instskip(NEXT) | instid1(VALU_DEP_1)
	v_lshrrev_b64 v[38:39], s31, v[38:39]
	v_and_b32_e32 v2, s54, v38
	s_delay_alu instid0(VALU_DEP_1) | instskip(SKIP_3) | instid1(SALU_CYCLE_1)
	v_lshl_or_b32 v2, v2, 4, v96
	ds_add_u32 v2, v123
	s_wait_alu 0xfffe
	s_or_b32 exec_lo, exec_lo, s1
	s_mov_b32 s1, exec_lo
	v_cmpx_gt_u32_e64 s0, v85
	s_cbranch_execz .LBB813_921
.LBB813_936:                            ;   in Loop: Header=BB813_894 Depth=2
	v_xor_b32_e32 v39, 0x80000000, v27
	v_mov_b32_e32 v38, v26
	s_delay_alu instid0(VALU_DEP_1) | instskip(NEXT) | instid1(VALU_DEP_1)
	v_lshrrev_b64 v[38:39], s31, v[38:39]
	v_and_b32_e32 v2, s54, v38
	s_delay_alu instid0(VALU_DEP_1) | instskip(SKIP_3) | instid1(SALU_CYCLE_1)
	v_lshl_or_b32 v2, v2, 4, v96
	ds_add_u32 v2, v123
	s_wait_alu 0xfffe
	s_or_b32 exec_lo, exec_lo, s1
	s_mov_b32 s1, exec_lo
	v_cmpx_gt_u32_e64 s0, v86
	s_cbranch_execz .LBB813_922
.LBB813_937:                            ;   in Loop: Header=BB813_894 Depth=2
	v_xor_b32_e32 v39, 0x80000000, v25
	v_mov_b32_e32 v38, v24
	s_delay_alu instid0(VALU_DEP_1) | instskip(NEXT) | instid1(VALU_DEP_1)
	v_lshrrev_b64 v[38:39], s31, v[38:39]
	v_and_b32_e32 v2, s54, v38
	s_delay_alu instid0(VALU_DEP_1) | instskip(SKIP_3) | instid1(SALU_CYCLE_1)
	v_lshl_or_b32 v2, v2, 4, v96
	ds_add_u32 v2, v123
	s_wait_alu 0xfffe
	s_or_b32 exec_lo, exec_lo, s1
	s_mov_b32 s1, exec_lo
	v_cmpx_gt_u32_e64 s0, v87
	s_cbranch_execz .LBB813_923
.LBB813_938:                            ;   in Loop: Header=BB813_894 Depth=2
	v_xor_b32_e32 v39, 0x80000000, v23
	v_mov_b32_e32 v38, v22
	s_delay_alu instid0(VALU_DEP_1) | instskip(NEXT) | instid1(VALU_DEP_1)
	v_lshrrev_b64 v[38:39], s31, v[38:39]
	v_and_b32_e32 v2, s54, v38
	s_delay_alu instid0(VALU_DEP_1) | instskip(SKIP_3) | instid1(SALU_CYCLE_1)
	v_lshl_or_b32 v2, v2, 4, v96
	ds_add_u32 v2, v123
	s_wait_alu 0xfffe
	s_or_b32 exec_lo, exec_lo, s1
	s_mov_b32 s1, exec_lo
	v_cmpx_gt_u32_e64 s0, v88
	s_cbranch_execz .LBB813_924
.LBB813_939:                            ;   in Loop: Header=BB813_894 Depth=2
	v_xor_b32_e32 v39, 0x80000000, v21
	v_mov_b32_e32 v38, v20
	s_delay_alu instid0(VALU_DEP_1) | instskip(NEXT) | instid1(VALU_DEP_1)
	v_lshrrev_b64 v[38:39], s31, v[38:39]
	v_and_b32_e32 v2, s54, v38
	s_delay_alu instid0(VALU_DEP_1) | instskip(SKIP_3) | instid1(SALU_CYCLE_1)
	v_lshl_or_b32 v2, v2, 4, v96
	ds_add_u32 v2, v123
	s_wait_alu 0xfffe
	s_or_b32 exec_lo, exec_lo, s1
	s_mov_b32 s1, exec_lo
	v_cmpx_gt_u32_e64 s0, v89
	s_cbranch_execz .LBB813_925
.LBB813_940:                            ;   in Loop: Header=BB813_894 Depth=2
	v_xor_b32_e32 v39, 0x80000000, v19
	v_mov_b32_e32 v38, v18
	s_delay_alu instid0(VALU_DEP_1) | instskip(NEXT) | instid1(VALU_DEP_1)
	v_lshrrev_b64 v[38:39], s31, v[38:39]
	v_and_b32_e32 v2, s54, v38
	s_delay_alu instid0(VALU_DEP_1) | instskip(SKIP_3) | instid1(SALU_CYCLE_1)
	v_lshl_or_b32 v2, v2, 4, v96
	ds_add_u32 v2, v123
	s_wait_alu 0xfffe
	s_or_b32 exec_lo, exec_lo, s1
	s_mov_b32 s1, exec_lo
	v_cmpx_gt_u32_e64 s0, v90
	s_cbranch_execz .LBB813_926
.LBB813_941:                            ;   in Loop: Header=BB813_894 Depth=2
	v_xor_b32_e32 v39, 0x80000000, v17
	v_mov_b32_e32 v38, v16
	s_delay_alu instid0(VALU_DEP_1) | instskip(NEXT) | instid1(VALU_DEP_1)
	v_lshrrev_b64 v[38:39], s31, v[38:39]
	v_and_b32_e32 v2, s54, v38
	s_delay_alu instid0(VALU_DEP_1) | instskip(SKIP_3) | instid1(SALU_CYCLE_1)
	v_lshl_or_b32 v2, v2, 4, v96
	ds_add_u32 v2, v123
	s_wait_alu 0xfffe
	s_or_b32 exec_lo, exec_lo, s1
	s_mov_b32 s1, exec_lo
	v_cmpx_gt_u32_e64 s0, v91
	s_cbranch_execz .LBB813_927
.LBB813_942:                            ;   in Loop: Header=BB813_894 Depth=2
	v_xor_b32_e32 v39, 0x80000000, v15
	v_mov_b32_e32 v38, v14
	s_delay_alu instid0(VALU_DEP_1) | instskip(NEXT) | instid1(VALU_DEP_1)
	v_lshrrev_b64 v[38:39], s31, v[38:39]
	v_and_b32_e32 v2, s54, v38
	s_delay_alu instid0(VALU_DEP_1) | instskip(SKIP_3) | instid1(SALU_CYCLE_1)
	v_lshl_or_b32 v2, v2, 4, v96
	ds_add_u32 v2, v123
	s_wait_alu 0xfffe
	s_or_b32 exec_lo, exec_lo, s1
	s_mov_b32 s1, exec_lo
	v_cmpx_gt_u32_e64 s0, v92
	s_cbranch_execz .LBB813_928
.LBB813_943:                            ;   in Loop: Header=BB813_894 Depth=2
	v_xor_b32_e32 v39, 0x80000000, v13
	v_mov_b32_e32 v38, v12
	s_delay_alu instid0(VALU_DEP_1) | instskip(NEXT) | instid1(VALU_DEP_1)
	v_lshrrev_b64 v[38:39], s31, v[38:39]
	v_and_b32_e32 v2, s54, v38
	s_delay_alu instid0(VALU_DEP_1) | instskip(SKIP_3) | instid1(SALU_CYCLE_1)
	v_lshl_or_b32 v2, v2, 4, v96
	ds_add_u32 v2, v123
	s_wait_alu 0xfffe
	s_or_b32 exec_lo, exec_lo, s1
	s_mov_b32 s1, exec_lo
	v_cmpx_gt_u32_e64 s0, v93
	s_cbranch_execz .LBB813_929
.LBB813_944:                            ;   in Loop: Header=BB813_894 Depth=2
	v_xor_b32_e32 v39, 0x80000000, v11
	v_mov_b32_e32 v38, v10
	s_delay_alu instid0(VALU_DEP_1) | instskip(NEXT) | instid1(VALU_DEP_1)
	v_lshrrev_b64 v[38:39], s31, v[38:39]
	v_and_b32_e32 v2, s54, v38
	s_delay_alu instid0(VALU_DEP_1) | instskip(SKIP_3) | instid1(SALU_CYCLE_1)
	v_lshl_or_b32 v2, v2, 4, v96
	ds_add_u32 v2, v123
	s_wait_alu 0xfffe
	s_or_b32 exec_lo, exec_lo, s1
	s_mov_b32 s1, exec_lo
	v_cmpx_gt_u32_e64 s0, v94
	s_cbranch_execz .LBB813_930
.LBB813_945:                            ;   in Loop: Header=BB813_894 Depth=2
	v_xor_b32_e32 v39, 0x80000000, v9
	v_mov_b32_e32 v38, v8
	s_delay_alu instid0(VALU_DEP_1) | instskip(NEXT) | instid1(VALU_DEP_1)
	v_lshrrev_b64 v[38:39], s31, v[38:39]
	v_and_b32_e32 v2, s54, v38
	s_delay_alu instid0(VALU_DEP_1)
	v_lshl_or_b32 v2, v2, 4, v96
	ds_add_u32 v2, v123
	s_wait_alu 0xfffe
	s_or_b32 exec_lo, exec_lo, s1
	v_cmp_gt_u32_e32 vcc_lo, s0, v95
	s_and_saveexec_b32 s0, vcc_lo
	s_cbranch_execz .LBB813_893
.LBB813_946:                            ;   in Loop: Header=BB813_894 Depth=2
	v_xor_b32_e32 v39, 0x80000000, v7
	v_mov_b32_e32 v38, v6
	s_delay_alu instid0(VALU_DEP_1) | instskip(NEXT) | instid1(VALU_DEP_1)
	v_lshrrev_b64 v[38:39], s31, v[38:39]
	v_and_b32_e32 v2, s54, v38
	s_delay_alu instid0(VALU_DEP_1)
	v_lshl_or_b32 v2, v2, 4, v96
	ds_add_u32 v2, v123
	s_branch .LBB813_893
.LBB813_947:                            ;   in Loop: Header=BB813_894 Depth=2
	global_load_b64 v[36:37], v124, s[0:1]
	s_or_b32 exec_lo, exec_lo, s10
	s_delay_alu instid0(SALU_CYCLE_1)
	s_mov_b32 s10, exec_lo
	v_cmpx_gt_u32_e64 s8, v79
	s_cbranch_execz .LBB813_899
.LBB813_948:                            ;   in Loop: Header=BB813_894 Depth=2
	global_load_b64 v[34:35], v124, s[0:1] offset:2048
	s_wait_alu 0xfffe
	s_or_b32 exec_lo, exec_lo, s10
	s_delay_alu instid0(SALU_CYCLE_1)
	s_mov_b32 s10, exec_lo
	v_cmpx_gt_u32_e64 s8, v80
	s_cbranch_execz .LBB813_900
.LBB813_949:                            ;   in Loop: Header=BB813_894 Depth=2
	global_load_b64 v[32:33], v124, s[0:1] offset:4096
	s_wait_alu 0xfffe
	s_or_b32 exec_lo, exec_lo, s10
	s_delay_alu instid0(SALU_CYCLE_1)
	s_mov_b32 s10, exec_lo
	v_cmpx_gt_u32_e64 s8, v81
	s_cbranch_execz .LBB813_901
.LBB813_950:                            ;   in Loop: Header=BB813_894 Depth=2
	global_load_b64 v[30:31], v124, s[0:1] offset:6144
	s_wait_alu 0xfffe
	s_or_b32 exec_lo, exec_lo, s10
	s_delay_alu instid0(SALU_CYCLE_1)
	s_mov_b32 s10, exec_lo
	v_cmpx_gt_u32_e64 s8, v84
	s_cbranch_execz .LBB813_902
.LBB813_951:                            ;   in Loop: Header=BB813_894 Depth=2
	global_load_b64 v[28:29], v124, s[0:1] offset:8192
	s_wait_alu 0xfffe
	s_or_b32 exec_lo, exec_lo, s10
	s_delay_alu instid0(SALU_CYCLE_1)
	s_mov_b32 s10, exec_lo
	v_cmpx_gt_u32_e64 s8, v85
	s_cbranch_execz .LBB813_903
.LBB813_952:                            ;   in Loop: Header=BB813_894 Depth=2
	global_load_b64 v[26:27], v124, s[0:1] offset:10240
	s_wait_alu 0xfffe
	s_or_b32 exec_lo, exec_lo, s10
	s_delay_alu instid0(SALU_CYCLE_1)
	s_mov_b32 s10, exec_lo
	v_cmpx_gt_u32_e64 s8, v86
	s_cbranch_execz .LBB813_904
.LBB813_953:                            ;   in Loop: Header=BB813_894 Depth=2
	global_load_b64 v[24:25], v124, s[0:1] offset:12288
	s_wait_alu 0xfffe
	s_or_b32 exec_lo, exec_lo, s10
	s_delay_alu instid0(SALU_CYCLE_1)
	s_mov_b32 s10, exec_lo
	v_cmpx_gt_u32_e64 s8, v87
	s_cbranch_execz .LBB813_905
.LBB813_954:                            ;   in Loop: Header=BB813_894 Depth=2
	global_load_b64 v[22:23], v124, s[0:1] offset:14336
	s_wait_alu 0xfffe
	s_or_b32 exec_lo, exec_lo, s10
	s_delay_alu instid0(SALU_CYCLE_1)
	s_mov_b32 s10, exec_lo
	v_cmpx_gt_u32_e64 s8, v88
	s_cbranch_execz .LBB813_906
.LBB813_955:                            ;   in Loop: Header=BB813_894 Depth=2
	global_load_b64 v[20:21], v124, s[0:1] offset:16384
	s_wait_alu 0xfffe
	s_or_b32 exec_lo, exec_lo, s10
	s_delay_alu instid0(SALU_CYCLE_1)
	s_mov_b32 s10, exec_lo
	v_cmpx_gt_u32_e64 s8, v89
	s_cbranch_execz .LBB813_907
.LBB813_956:                            ;   in Loop: Header=BB813_894 Depth=2
	global_load_b64 v[18:19], v124, s[0:1] offset:18432
	s_wait_alu 0xfffe
	s_or_b32 exec_lo, exec_lo, s10
	s_delay_alu instid0(SALU_CYCLE_1)
	s_mov_b32 s10, exec_lo
	v_cmpx_gt_u32_e64 s8, v90
	s_cbranch_execz .LBB813_908
.LBB813_957:                            ;   in Loop: Header=BB813_894 Depth=2
	global_load_b64 v[16:17], v124, s[0:1] offset:20480
	s_wait_alu 0xfffe
	s_or_b32 exec_lo, exec_lo, s10
	s_delay_alu instid0(SALU_CYCLE_1)
	s_mov_b32 s10, exec_lo
	v_cmpx_gt_u32_e64 s8, v91
	s_cbranch_execz .LBB813_909
.LBB813_958:                            ;   in Loop: Header=BB813_894 Depth=2
	global_load_b64 v[14:15], v124, s[0:1] offset:22528
	s_wait_alu 0xfffe
	s_or_b32 exec_lo, exec_lo, s10
	s_delay_alu instid0(SALU_CYCLE_1)
	s_mov_b32 s10, exec_lo
	v_cmpx_gt_u32_e64 s8, v92
	s_cbranch_execz .LBB813_910
.LBB813_959:                            ;   in Loop: Header=BB813_894 Depth=2
	global_load_b64 v[12:13], v124, s[0:1] offset:24576
	s_wait_alu 0xfffe
	s_or_b32 exec_lo, exec_lo, s10
	s_delay_alu instid0(SALU_CYCLE_1)
	s_mov_b32 s10, exec_lo
	v_cmpx_gt_u32_e64 s8, v93
	s_cbranch_execz .LBB813_911
.LBB813_960:                            ;   in Loop: Header=BB813_894 Depth=2
	global_load_b64 v[10:11], v124, s[0:1] offset:26624
	s_wait_alu 0xfffe
	s_or_b32 exec_lo, exec_lo, s10
	s_delay_alu instid0(SALU_CYCLE_1)
	s_mov_b32 s10, exec_lo
	v_cmpx_gt_u32_e64 s8, v94
	s_cbranch_execz .LBB813_912
.LBB813_961:                            ;   in Loop: Header=BB813_894 Depth=2
	global_load_b64 v[8:9], v124, s[0:1] offset:28672
	s_wait_alu 0xfffe
	s_or_b32 exec_lo, exec_lo, s10
	s_delay_alu instid0(SALU_CYCLE_1)
	s_mov_b32 s10, exec_lo
	v_cmpx_gt_u32_e64 s8, v95
	s_cbranch_execnz .LBB813_913
	s_branch .LBB813_914
.LBB813_962:                            ;   in Loop: Header=BB813_12 Depth=1
	v_mov_b32_e32 v2, 0
	s_wait_dscnt 0x0
	s_barrier_signal -1
	s_barrier_wait -1
	global_inv scope:SCOPE_SE
	s_and_saveexec_b32 s0, s2
	s_cbranch_execz .LBB813_964
; %bb.963:                              ;   in Loop: Header=BB813_12 Depth=1
	ds_load_2addr_b64 v[6:9], v98 offset1:1
	s_wait_dscnt 0x0
	v_add_nc_u32_e32 v2, v7, v6
	s_delay_alu instid0(VALU_DEP_1)
	v_add3_u32 v2, v2, v8, v9
.LBB813_964:                            ;   in Loop: Header=BB813_12 Depth=1
	s_wait_alu 0xfffe
	s_or_b32 exec_lo, exec_lo, s0
	v_and_b32_e32 v6, 15, v125
	s_delay_alu instid0(VALU_DEP_2) | instskip(SKIP_1) | instid1(VALU_DEP_3)
	v_mov_b32_dpp v7, v2 row_shr:1 row_mask:0xf bank_mask:0xf
	v_and_b32_e32 v8, 16, v125
	v_cmp_eq_u32_e64 s0, 0, v6
	v_cmp_lt_u32_e64 s1, 1, v6
	v_cmp_lt_u32_e64 s8, 3, v6
	;; [unrolled: 1-line block ×3, first 2 shown]
	v_cmp_eq_u32_e64 s10, 0, v8
	s_wait_alu 0xf1ff
	v_cndmask_b32_e64 v7, v7, 0, s0
	s_delay_alu instid0(VALU_DEP_1) | instskip(NEXT) | instid1(VALU_DEP_1)
	v_add_nc_u32_e32 v2, v7, v2
	v_mov_b32_dpp v7, v2 row_shr:2 row_mask:0xf bank_mask:0xf
	s_delay_alu instid0(VALU_DEP_1) | instskip(NEXT) | instid1(VALU_DEP_1)
	v_cndmask_b32_e64 v7, 0, v7, s1
	v_add_nc_u32_e32 v2, v2, v7
	s_delay_alu instid0(VALU_DEP_1) | instskip(NEXT) | instid1(VALU_DEP_1)
	v_mov_b32_dpp v7, v2 row_shr:4 row_mask:0xf bank_mask:0xf
	v_cndmask_b32_e64 v7, 0, v7, s8
	s_delay_alu instid0(VALU_DEP_1) | instskip(NEXT) | instid1(VALU_DEP_1)
	v_add_nc_u32_e32 v2, v2, v7
	v_mov_b32_dpp v7, v2 row_shr:8 row_mask:0xf bank_mask:0xf
	s_delay_alu instid0(VALU_DEP_1) | instskip(SKIP_1) | instid1(VALU_DEP_2)
	v_cndmask_b32_e64 v6, 0, v7, s9
	v_bfe_i32 v7, v125, 4, 1
	v_add_nc_u32_e32 v2, v2, v6
	ds_swizzle_b32 v6, v2 offset:swizzle(BROADCAST,32,15)
	s_wait_dscnt 0x0
	v_and_b32_e32 v6, v7, v6
	s_delay_alu instid0(VALU_DEP_1)
	v_add_nc_u32_e32 v6, v2, v6
	s_and_saveexec_b32 s11, s3
; %bb.965:                              ;   in Loop: Header=BB813_12 Depth=1
	ds_store_b32 v99, v6
; %bb.966:                              ;   in Loop: Header=BB813_12 Depth=1
	s_wait_alu 0xfffe
	s_or_b32 exec_lo, exec_lo, s11
	v_and_b32_e32 v2, 7, v125
	s_wait_loadcnt_dscnt 0x0
	s_barrier_signal -1
	s_barrier_wait -1
	global_inv scope:SCOPE_SE
	s_and_saveexec_b32 s11, s4
	s_cbranch_execz .LBB813_968
; %bb.967:                              ;   in Loop: Header=BB813_12 Depth=1
	ds_load_b32 v7, v100
	v_cmp_ne_u32_e32 vcc_lo, 0, v2
	s_wait_dscnt 0x0
	v_mov_b32_dpp v8, v7 row_shr:1 row_mask:0xf bank_mask:0xf
	s_wait_alu 0xfffd
	s_delay_alu instid0(VALU_DEP_1) | instskip(SKIP_1) | instid1(VALU_DEP_2)
	v_cndmask_b32_e32 v8, 0, v8, vcc_lo
	v_cmp_lt_u32_e32 vcc_lo, 1, v2
	v_add_nc_u32_e32 v7, v8, v7
	s_delay_alu instid0(VALU_DEP_1) | instskip(SKIP_1) | instid1(VALU_DEP_1)
	v_mov_b32_dpp v8, v7 row_shr:2 row_mask:0xf bank_mask:0xf
	s_wait_alu 0xfffd
	v_cndmask_b32_e32 v8, 0, v8, vcc_lo
	v_cmp_lt_u32_e32 vcc_lo, 3, v2
	s_delay_alu instid0(VALU_DEP_2) | instskip(NEXT) | instid1(VALU_DEP_1)
	v_add_nc_u32_e32 v7, v7, v8
	v_mov_b32_dpp v8, v7 row_shr:4 row_mask:0xf bank_mask:0xf
	s_wait_alu 0xfffd
	s_delay_alu instid0(VALU_DEP_1) | instskip(NEXT) | instid1(VALU_DEP_1)
	v_cndmask_b32_e32 v8, 0, v8, vcc_lo
	v_add_nc_u32_e32 v7, v7, v8
	ds_store_b32 v100, v7
.LBB813_968:                            ;   in Loop: Header=BB813_12 Depth=1
	s_wait_alu 0xfffe
	s_or_b32 exec_lo, exec_lo, s11
	v_mov_b32_e32 v7, 0
	s_wait_loadcnt_dscnt 0x0
	s_barrier_signal -1
	s_barrier_wait -1
	global_inv scope:SCOPE_SE
	s_and_saveexec_b32 s11, s5
; %bb.969:                              ;   in Loop: Header=BB813_12 Depth=1
	ds_load_b32 v7, v103
; %bb.970:                              ;   in Loop: Header=BB813_12 Depth=1
	s_wait_alu 0xfffe
	s_or_b32 exec_lo, exec_lo, s11
	v_sub_co_u32 v8, s11, v125, 1
	s_wait_dscnt 0x0
	v_add_nc_u32_e32 v6, v7, v6
	s_wait_loadcnt 0x0
	s_barrier_signal -1
	v_cmp_gt_i32_e32 vcc_lo, 0, v8
	s_barrier_wait -1
	global_inv scope:SCOPE_SE
	s_wait_alu 0xfffd
	v_cndmask_b32_e32 v8, v8, v125, vcc_lo
	s_delay_alu instid0(VALU_DEP_1)
	v_lshlrev_b32_e32 v126, 2, v8
	ds_bpermute_b32 v6, v126, v6
	s_and_saveexec_b32 s12, s2
	s_cbranch_execz .LBB813_972
; %bb.971:                              ;   in Loop: Header=BB813_12 Depth=1
	s_wait_dscnt 0x0
	v_cndmask_b32_e64 v6, v6, v7, s11
	s_delay_alu instid0(VALU_DEP_1)
	v_add_nc_u32_e32 v6, s33, v6
	ds_store_b32 v78, v6
.LBB813_972:                            ;   in Loop: Header=BB813_12 Depth=1
	s_wait_alu 0xfffe
	s_or_b32 exec_lo, exec_lo, s12
	s_load_b64 s[12:13], s[42:43], 0x0
	v_lshlrev_b32_e32 v8, 3, v125
	v_or_b32_e32 v127, v125, v101
	s_mov_b32 s55, s53
                                        ; implicit-def: $vgpr10_vgpr11
                                        ; implicit-def: $vgpr12_vgpr13
                                        ; implicit-def: $vgpr14_vgpr15
                                        ; implicit-def: $vgpr16_vgpr17
                                        ; implicit-def: $vgpr18_vgpr19
                                        ; implicit-def: $vgpr20_vgpr21
                                        ; implicit-def: $vgpr22_vgpr23
                                        ; implicit-def: $vgpr24_vgpr25
                                        ; implicit-def: $vgpr26_vgpr27
                                        ; implicit-def: $vgpr28_vgpr29
                                        ; implicit-def: $vgpr30_vgpr31
                                        ; implicit-def: $vgpr32_vgpr33
                                        ; implicit-def: $vgpr34_vgpr35
                                        ; implicit-def: $vgpr36_vgpr37
                                        ; implicit-def: $vgpr148
                                        ; implicit-def: $vgpr149
                                        ; implicit-def: $vgpr150
                                        ; implicit-def: $vgpr151
                                        ; implicit-def: $vgpr152
                                        ; implicit-def: $vgpr153
                                        ; implicit-def: $vgpr154
                                        ; implicit-def: $vgpr155
                                        ; implicit-def: $vgpr156
                                        ; implicit-def: $vgpr157
                                        ; implicit-def: $vgpr158
                                        ; implicit-def: $vgpr159
                                        ; implicit-def: $vgpr160
                                        ; implicit-def: $vgpr161
                                        ; implicit-def: $vgpr162
                                        ; implicit-def: $vgpr163
	s_delay_alu instid0(VALU_DEP_2)
	v_add_co_u32 v128, vcc_lo, v119, v8
	s_wait_alu 0xfffd
	v_add_co_ci_u32_e64 v129, null, 0, v120, vcc_lo
	v_add_co_u32 v145, vcc_lo, v121, v8
	v_or_b32_e32 v130, 32, v127
	v_or_b32_e32 v131, 64, v127
	;; [unrolled: 1-line block ×8, first 2 shown]
	s_wait_kmcnt 0x0
	s_cmp_lt_u32 ttmp7, s13
	v_or_b32_e32 v138, 0x120, v127
	s_cselect_b32 s34, 14, 20
	s_cmp_lt_u32 ttmp9, s12
	s_wait_alu 0xfffe
	s_add_nc_u64 s[14:15], s[42:43], s[34:35]
	s_cselect_b32 s34, 12, 18
	s_load_u16 s15, s[14:15], 0x0
	s_add_nc_u64 s[12:13], s[42:43], s[34:35]
	v_or_b32_e32 v139, 0x140, v127
	s_load_u16 s16, s[12:13], 0x0
	v_cmp_eq_u32_e64 s12, 0, v2
	v_cmp_lt_u32_e64 s13, 1, v2
	v_cmp_lt_u32_e64 s14, 3, v2
	v_or_b32_e32 v140, 0x160, v127
	v_or_b32_e32 v141, 0x180, v127
	v_or_b32_e32 v142, 0x1a0, v127
	v_or_b32_e32 v143, 0x1c0, v127
	v_or_b32_e32 v144, 0x1e0, v127
	v_add_co_ci_u32_e64 v146, null, 0, v122, vcc_lo
	s_mov_b32 s34, s33
                                        ; implicit-def: $vgpr8_vgpr9
	s_wait_kmcnt 0x0
	v_mad_u32_u24 v2, v104, s15, v0
	s_wait_dscnt 0x0
	s_delay_alu instid0(VALU_DEP_1) | instskip(NEXT) | instid1(VALU_DEP_1)
	v_mad_co_u64_u32 v[6:7], null, v2, s16, v[1:2]
	v_lshrrev_b32_e32 v2, 3, v6
                                        ; implicit-def: $vgpr6_vgpr7
	s_delay_alu instid0(VALU_DEP_1)
	v_and_b32_e32 v147, 0x1ffffffc, v2
	s_branch .LBB813_974
.LBB813_973:                            ;   in Loop: Header=BB813_974 Depth=2
	s_wait_alu 0xfffe
	s_or_b32 exec_lo, exec_lo, s15
	s_addk_co_i32 s55, 0xf000
	s_cmp_lt_u32 s56, s51
	s_mov_b32 s34, s56
	s_cbranch_scc0 .LBB813_10
.LBB813_974:                            ;   Parent Loop BB813_12 Depth=1
                                        ; =>  This Inner Loop Header: Depth=2
	s_wait_alu 0xfffe
	s_add_co_i32 s56, s34, 0x1000
	s_wait_alu 0xfffe
	s_cmp_gt_u32 s56, s51
	s_cbranch_scc1 .LBB813_976
; %bb.975:                              ;   in Loop: Header=BB813_974 Depth=2
	s_lshl_b64 s[16:17], s[34:35], 3
	s_mov_b32 s15, -1
	s_wait_alu 0xfffe
	v_add_co_u32 v66, vcc_lo, v145, s16
	s_wait_alu 0xfffd
	v_add_co_ci_u32_e64 v67, null, s17, v146, vcc_lo
	s_clause 0xe
	global_load_b64 v[40:41], v[66:67], off
	global_load_b64 v[38:39], v[66:67], off offset:256
	global_load_b64 v[42:43], v[66:67], off offset:512
	;; [unrolled: 1-line block ×14, first 2 shown]
	s_movk_i32 s16, 0x1000
	s_cbranch_execz .LBB813_977
	s_branch .LBB813_1008
.LBB813_976:                            ;   in Loop: Header=BB813_974 Depth=2
	s_mov_b32 s15, 0
                                        ; implicit-def: $vgpr40_vgpr41
                                        ; implicit-def: $vgpr38_vgpr39
                                        ; implicit-def: $vgpr42_vgpr43
                                        ; implicit-def: $vgpr44_vgpr45
                                        ; implicit-def: $vgpr46_vgpr47
                                        ; implicit-def: $vgpr50_vgpr51
                                        ; implicit-def: $vgpr48_vgpr49
                                        ; implicit-def: $vgpr52_vgpr53
                                        ; implicit-def: $vgpr54_vgpr55
                                        ; implicit-def: $vgpr56_vgpr57
                                        ; implicit-def: $vgpr60_vgpr61
                                        ; implicit-def: $vgpr58_vgpr59
                                        ; implicit-def: $vgpr62_vgpr63
                                        ; implicit-def: $vgpr64_vgpr65
                                        ; implicit-def: $vgpr66_vgpr67
	s_movk_i32 s16, 0x1000
.LBB813_977:                            ;   in Loop: Header=BB813_974 Depth=2
	s_wait_loadcnt 0xd
	v_dual_mov_b32 v38, v4 :: v_dual_mov_b32 v39, v5
	s_lshl_b64 s[16:17], s[34:35], 3
	s_mov_b32 s15, exec_lo
	s_wait_alu 0xfffe
	v_add_co_u32 v68, vcc_lo, v145, s16
	s_wait_alu 0xfffd
	v_add_co_ci_u32_e64 v69, null, s17, v146, vcc_lo
	v_dual_mov_b32 v41, v39 :: v_dual_mov_b32 v40, v38
	v_cmpx_gt_u32_e64 s55, v127
	s_cbranch_execz .LBB813_979
; %bb.978:                              ;   in Loop: Header=BB813_974 Depth=2
	global_load_b64 v[40:41], v[68:69], off
.LBB813_979:                            ;   in Loop: Header=BB813_974 Depth=2
	s_or_b32 exec_lo, exec_lo, s15
	s_delay_alu instid0(SALU_CYCLE_1)
	s_mov_b32 s15, exec_lo
	v_cmpx_gt_u32_e64 s55, v130
	s_cbranch_execz .LBB813_981
; %bb.980:                              ;   in Loop: Header=BB813_974 Depth=2
	global_load_b64 v[38:39], v[68:69], off offset:256
.LBB813_981:                            ;   in Loop: Header=BB813_974 Depth=2
	s_wait_alu 0xfffe
	s_or_b32 exec_lo, exec_lo, s15
	s_wait_loadcnt 0xc
	v_dual_mov_b32 v43, v5 :: v_dual_mov_b32 v42, v4
	s_mov_b32 s15, exec_lo
	v_cmpx_gt_u32_e64 s55, v131
	s_cbranch_execz .LBB813_983
; %bb.982:                              ;   in Loop: Header=BB813_974 Depth=2
	global_load_b64 v[42:43], v[68:69], off offset:512
.LBB813_983:                            ;   in Loop: Header=BB813_974 Depth=2
	s_wait_alu 0xfffe
	s_or_b32 exec_lo, exec_lo, s15
	s_wait_loadcnt 0xb
	v_dual_mov_b32 v45, v5 :: v_dual_mov_b32 v44, v4
	s_mov_b32 s15, exec_lo
	v_cmpx_gt_u32_e64 s55, v132
	s_cbranch_execz .LBB813_985
; %bb.984:                              ;   in Loop: Header=BB813_974 Depth=2
	global_load_b64 v[44:45], v[68:69], off offset:768
.LBB813_985:                            ;   in Loop: Header=BB813_974 Depth=2
	s_wait_alu 0xfffe
	s_or_b32 exec_lo, exec_lo, s15
	s_wait_loadcnt 0xa
	v_dual_mov_b32 v47, v5 :: v_dual_mov_b32 v46, v4
	s_mov_b32 s15, exec_lo
	v_cmpx_gt_u32_e64 s55, v133
	s_cbranch_execz .LBB813_987
; %bb.986:                              ;   in Loop: Header=BB813_974 Depth=2
	global_load_b64 v[46:47], v[68:69], off offset:1024
.LBB813_987:                            ;   in Loop: Header=BB813_974 Depth=2
	s_wait_alu 0xfffe
	s_or_b32 exec_lo, exec_lo, s15
	s_wait_loadcnt 0x9
	v_dual_mov_b32 v51, v5 :: v_dual_mov_b32 v50, v4
	s_mov_b32 s15, exec_lo
	v_cmpx_gt_u32_e64 s55, v134
	s_cbranch_execz .LBB813_989
; %bb.988:                              ;   in Loop: Header=BB813_974 Depth=2
	global_load_b64 v[50:51], v[68:69], off offset:1280
.LBB813_989:                            ;   in Loop: Header=BB813_974 Depth=2
	s_wait_alu 0xfffe
	s_or_b32 exec_lo, exec_lo, s15
	s_wait_loadcnt 0x8
	v_dual_mov_b32 v49, v5 :: v_dual_mov_b32 v48, v4
	s_mov_b32 s15, exec_lo
	v_cmpx_gt_u32_e64 s55, v135
	s_cbranch_execz .LBB813_991
; %bb.990:                              ;   in Loop: Header=BB813_974 Depth=2
	global_load_b64 v[48:49], v[68:69], off offset:1536
.LBB813_991:                            ;   in Loop: Header=BB813_974 Depth=2
	s_wait_alu 0xfffe
	s_or_b32 exec_lo, exec_lo, s15
	s_wait_loadcnt 0x7
	v_dual_mov_b32 v53, v5 :: v_dual_mov_b32 v52, v4
	s_mov_b32 s15, exec_lo
	v_cmpx_gt_u32_e64 s55, v136
	s_cbranch_execz .LBB813_993
; %bb.992:                              ;   in Loop: Header=BB813_974 Depth=2
	global_load_b64 v[52:53], v[68:69], off offset:1792
.LBB813_993:                            ;   in Loop: Header=BB813_974 Depth=2
	s_wait_alu 0xfffe
	s_or_b32 exec_lo, exec_lo, s15
	s_wait_loadcnt 0x6
	v_dual_mov_b32 v55, v5 :: v_dual_mov_b32 v54, v4
	s_mov_b32 s15, exec_lo
	v_cmpx_gt_u32_e64 s55, v137
	s_cbranch_execz .LBB813_995
; %bb.994:                              ;   in Loop: Header=BB813_974 Depth=2
	global_load_b64 v[54:55], v[68:69], off offset:2048
.LBB813_995:                            ;   in Loop: Header=BB813_974 Depth=2
	s_wait_alu 0xfffe
	s_or_b32 exec_lo, exec_lo, s15
	s_wait_loadcnt 0x5
	v_dual_mov_b32 v57, v5 :: v_dual_mov_b32 v56, v4
	s_mov_b32 s15, exec_lo
	v_cmpx_gt_u32_e64 s55, v138
	s_cbranch_execz .LBB813_997
; %bb.996:                              ;   in Loop: Header=BB813_974 Depth=2
	global_load_b64 v[56:57], v[68:69], off offset:2304
.LBB813_997:                            ;   in Loop: Header=BB813_974 Depth=2
	s_wait_alu 0xfffe
	s_or_b32 exec_lo, exec_lo, s15
	s_wait_loadcnt 0x4
	v_dual_mov_b32 v61, v5 :: v_dual_mov_b32 v60, v4
	s_mov_b32 s15, exec_lo
	v_cmpx_gt_u32_e64 s55, v139
	s_cbranch_execz .LBB813_999
; %bb.998:                              ;   in Loop: Header=BB813_974 Depth=2
	global_load_b64 v[60:61], v[68:69], off offset:2560
.LBB813_999:                            ;   in Loop: Header=BB813_974 Depth=2
	s_wait_alu 0xfffe
	s_or_b32 exec_lo, exec_lo, s15
	s_wait_loadcnt 0x3
	v_dual_mov_b32 v59, v5 :: v_dual_mov_b32 v58, v4
	s_mov_b32 s15, exec_lo
	v_cmpx_gt_u32_e64 s55, v140
	s_cbranch_execz .LBB813_1001
; %bb.1000:                             ;   in Loop: Header=BB813_974 Depth=2
	global_load_b64 v[58:59], v[68:69], off offset:2816
.LBB813_1001:                           ;   in Loop: Header=BB813_974 Depth=2
	s_wait_alu 0xfffe
	s_or_b32 exec_lo, exec_lo, s15
	s_wait_loadcnt 0x2
	v_dual_mov_b32 v63, v5 :: v_dual_mov_b32 v62, v4
	s_mov_b32 s15, exec_lo
	v_cmpx_gt_u32_e64 s55, v141
	s_cbranch_execz .LBB813_1003
; %bb.1002:                             ;   in Loop: Header=BB813_974 Depth=2
	global_load_b64 v[62:63], v[68:69], off offset:3072
.LBB813_1003:                           ;   in Loop: Header=BB813_974 Depth=2
	s_wait_alu 0xfffe
	s_or_b32 exec_lo, exec_lo, s15
	s_wait_loadcnt 0x1
	v_dual_mov_b32 v65, v5 :: v_dual_mov_b32 v64, v4
	s_mov_b32 s15, exec_lo
	v_cmpx_gt_u32_e64 s55, v142
	s_cbranch_execz .LBB813_1005
; %bb.1004:                             ;   in Loop: Header=BB813_974 Depth=2
	global_load_b64 v[64:65], v[68:69], off offset:3328
.LBB813_1005:                           ;   in Loop: Header=BB813_974 Depth=2
	s_wait_alu 0xfffe
	s_or_b32 exec_lo, exec_lo, s15
	s_wait_loadcnt 0x0
	v_dual_mov_b32 v67, v5 :: v_dual_mov_b32 v66, v4
	s_mov_b32 s15, exec_lo
	v_cmpx_gt_u32_e64 s55, v143
	s_cbranch_execz .LBB813_1007
; %bb.1006:                             ;   in Loop: Header=BB813_974 Depth=2
	global_load_b64 v[66:67], v[68:69], off offset:3584
.LBB813_1007:                           ;   in Loop: Header=BB813_974 Depth=2
	s_wait_alu 0xfffe
	s_or_b32 exec_lo, exec_lo, s15
	v_cmp_gt_u32_e64 s15, s55, v144
	s_sub_co_i32 s16, s51, s34
.LBB813_1008:                           ;   in Loop: Header=BB813_974 Depth=2
	v_mov_b32_e32 v68, -1
	v_dual_mov_b32 v69, -1 :: v_dual_mov_b32 v164, s55
	s_and_saveexec_b32 s17, s15
	s_cbranch_execz .LBB813_1010
; %bb.1009:                             ;   in Loop: Header=BB813_974 Depth=2
	s_lshl_b64 s[18:19], s[34:35], 3
	s_wait_alu 0xfffe
	v_mov_b32_e32 v164, s16
	v_add_co_u32 v68, vcc_lo, v145, s18
	s_wait_alu 0xfffd
	v_add_co_ci_u32_e64 v69, null, s19, v146, vcc_lo
	global_load_b64 v[68:69], v[68:69], off offset:3840
	s_wait_loadcnt 0x0
	v_xor_b32_e32 v69, 0x80000000, v69
.LBB813_1010:                           ;   in Loop: Header=BB813_974 Depth=2
	s_wait_alu 0xfffe
	s_or_b32 exec_lo, exec_lo, s17
	s_wait_loadcnt 0xe
	v_xor_b32_e32 v41, 0x80000000, v41
	v_add_nc_u32_e32 v166, 0x420, v102
	v_add_nc_u32_e32 v167, 0x428, v102
	;; [unrolled: 1-line block ×3, first 2 shown]
	s_delay_alu instid0(VALU_DEP_4) | instskip(NEXT) | instid1(VALU_DEP_1)
	v_lshrrev_b64 v[70:71], s31, v[40:41]
	v_and_b32_e32 v71, s54, v70
	s_delay_alu instid0(VALU_DEP_1)
	v_and_b32_e32 v2, 1, v71
	v_lshlrev_b32_e32 v70, 30, v71
	v_lshlrev_b32_e32 v72, 29, v71
	;; [unrolled: 1-line block ×4, first 2 shown]
	v_add_co_u32 v2, s15, v2, -1
	s_wait_alu 0xf1ff
	v_cndmask_b32_e64 v74, 0, 1, s15
	v_not_b32_e32 v165, v70
	v_cmp_gt_i32_e64 s15, 0, v70
	v_not_b32_e32 v70, v72
	v_lshlrev_b32_e32 v76, 26, v71
	v_cmp_ne_u32_e32 vcc_lo, 0, v74
	v_ashrrev_i32_e32 v165, 31, v165
	v_lshlrev_b32_e32 v77, 25, v71
	v_ashrrev_i32_e32 v70, 31, v70
	v_lshlrev_b32_e32 v74, 24, v71
	s_wait_alu 0xfffd
	v_xor_b32_e32 v2, vcc_lo, v2
	v_cmp_gt_i32_e32 vcc_lo, 0, v72
	v_not_b32_e32 v72, v73
	s_wait_alu 0xf1ff
	v_xor_b32_e32 v165, s15, v165
	v_cmp_gt_i32_e64 s15, 0, v73
	v_and_b32_e32 v2, exec_lo, v2
	v_not_b32_e32 v73, v75
	v_ashrrev_i32_e32 v72, 31, v72
	s_wait_alu 0xfffd
	v_xor_b32_e32 v70, vcc_lo, v70
	v_cmp_gt_i32_e32 vcc_lo, 0, v75
	v_and_b32_e32 v2, v2, v165
	v_not_b32_e32 v75, v76
	v_ashrrev_i32_e32 v73, 31, v73
	s_wait_alu 0xf1ff
	v_xor_b32_e32 v72, s15, v72
	v_cmp_gt_i32_e64 s15, 0, v76
	v_and_b32_e32 v2, v2, v70
	v_not_b32_e32 v70, v77
	v_ashrrev_i32_e32 v75, 31, v75
	s_wait_alu 0xfffd
	v_xor_b32_e32 v73, vcc_lo, v73
	v_cmp_gt_i32_e32 vcc_lo, 0, v77
	v_and_b32_e32 v2, v2, v72
	v_not_b32_e32 v72, v74
	v_ashrrev_i32_e32 v70, 31, v70
	s_wait_alu 0xf1ff
	v_xor_b32_e32 v75, s15, v75
	v_cmp_gt_i32_e64 s15, 0, v74
	v_and_b32_e32 v2, v2, v73
	v_ashrrev_i32_e32 v72, 31, v72
	s_wait_alu 0xfffd
	v_xor_b32_e32 v70, vcc_lo, v70
	v_mul_u32_u24_e32 v71, 36, v71
	v_add_nc_u32_e32 v165, 0x438, v102
	v_and_b32_e32 v2, v2, v75
	s_wait_alu 0xf1ff
	v_xor_b32_e32 v72, s15, v72
	v_add_nc_u32_e32 v169, v147, v71
	ds_store_2addr_b32 v165, v3, v3 offset1:1
	v_and_b32_e32 v2, v2, v70
	ds_store_2addr_b32 v166, v3, v3 offset1:1
	ds_store_2addr_b32 v167, v3, v3 offset1:1
	;; [unrolled: 1-line block ×3, first 2 shown]
	ds_store_b32 v102, v3 offset:1088
	s_wait_loadcnt_dscnt 0x0
	s_barrier_signal -1
	s_barrier_wait -1
	v_and_b32_e32 v70, v2, v72
	global_inv scope:SCOPE_SE
	; wave barrier
	v_mbcnt_lo_u32_b32 v2, v70, 0
	v_cmp_ne_u32_e64 s15, 0, v70
	s_delay_alu instid0(VALU_DEP_2)
	v_cmp_eq_u32_e32 vcc_lo, 0, v2
	s_and_b32 s16, s15, vcc_lo
	s_wait_alu 0xfffe
	s_and_saveexec_b32 s15, s16
; %bb.1011:                             ;   in Loop: Header=BB813_974 Depth=2
	v_bcnt_u32_b32 v70, v70, 0
	ds_store_b32 v169, v70 offset:1056
; %bb.1012:                             ;   in Loop: Header=BB813_974 Depth=2
	s_wait_alu 0xfffe
	s_or_b32 exec_lo, exec_lo, s15
	v_xor_b32_e32 v39, 0x80000000, v39
	; wave barrier
	s_delay_alu instid0(VALU_DEP_1) | instskip(NEXT) | instid1(VALU_DEP_1)
	v_lshrrev_b64 v[70:71], s31, v[38:39]
	v_and_b32_e32 v71, s54, v70
	s_delay_alu instid0(VALU_DEP_1)
	v_and_b32_e32 v70, 1, v71
	v_lshlrev_b32_e32 v72, 30, v71
	v_lshlrev_b32_e32 v73, 29, v71
	;; [unrolled: 1-line block ×4, first 2 shown]
	v_add_co_u32 v70, s15, v70, -1
	s_wait_alu 0xf1ff
	v_cndmask_b32_e64 v75, 0, 1, s15
	v_not_b32_e32 v171, v72
	v_cmp_gt_i32_e64 s15, 0, v72
	v_not_b32_e32 v72, v73
	v_lshlrev_b32_e32 v77, 26, v71
	v_cmp_ne_u32_e32 vcc_lo, 0, v75
	v_ashrrev_i32_e32 v171, 31, v171
	v_lshlrev_b32_e32 v170, 25, v71
	v_ashrrev_i32_e32 v72, 31, v72
	v_lshlrev_b32_e32 v75, 24, v71
	s_wait_alu 0xfffd
	v_xor_b32_e32 v70, vcc_lo, v70
	v_cmp_gt_i32_e32 vcc_lo, 0, v73
	v_not_b32_e32 v73, v74
	s_wait_alu 0xf1ff
	v_xor_b32_e32 v171, s15, v171
	v_cmp_gt_i32_e64 s15, 0, v74
	v_and_b32_e32 v70, exec_lo, v70
	v_not_b32_e32 v74, v76
	v_ashrrev_i32_e32 v73, 31, v73
	s_wait_alu 0xfffd
	v_xor_b32_e32 v72, vcc_lo, v72
	v_cmp_gt_i32_e32 vcc_lo, 0, v76
	v_and_b32_e32 v70, v70, v171
	v_not_b32_e32 v76, v77
	v_ashrrev_i32_e32 v74, 31, v74
	s_wait_alu 0xf1ff
	v_xor_b32_e32 v73, s15, v73
	v_cmp_gt_i32_e64 s15, 0, v77
	v_and_b32_e32 v70, v70, v72
	v_not_b32_e32 v72, v170
	v_ashrrev_i32_e32 v76, 31, v76
	s_wait_alu 0xfffd
	v_xor_b32_e32 v74, vcc_lo, v74
	v_cmp_gt_i32_e32 vcc_lo, 0, v170
	v_and_b32_e32 v70, v70, v73
	v_not_b32_e32 v73, v75
	v_ashrrev_i32_e32 v72, 31, v72
	s_wait_alu 0xf1ff
	v_xor_b32_e32 v76, s15, v76
	v_cmp_gt_i32_e64 s15, 0, v75
	v_and_b32_e32 v70, v70, v74
	v_ashrrev_i32_e32 v73, 31, v73
	s_wait_alu 0xfffd
	v_xor_b32_e32 v72, vcc_lo, v72
	v_mad_u32_u24 v74, v71, 36, v147
	v_mul_u32_u24_e32 v71, 36, v71
	v_and_b32_e32 v70, v70, v76
	s_wait_alu 0xf1ff
	v_xor_b32_e32 v73, s15, v73
	ds_load_b32 v170, v74 offset:1056
	v_add_nc_u32_e32 v172, v147, v71
	v_and_b32_e32 v70, v70, v72
	; wave barrier
	s_delay_alu instid0(VALU_DEP_1) | instskip(NEXT) | instid1(VALU_DEP_1)
	v_and_b32_e32 v70, v70, v73
	v_mbcnt_lo_u32_b32 v171, v70, 0
	v_cmp_ne_u32_e64 s15, 0, v70
	s_delay_alu instid0(VALU_DEP_2)
	v_cmp_eq_u32_e32 vcc_lo, 0, v171
	s_and_b32 s16, s15, vcc_lo
	s_wait_alu 0xfffe
	s_and_saveexec_b32 s15, s16
	s_cbranch_execz .LBB813_1014
; %bb.1013:                             ;   in Loop: Header=BB813_974 Depth=2
	s_wait_dscnt 0x0
	v_bcnt_u32_b32 v70, v70, v170
	ds_store_b32 v172, v70 offset:1056
.LBB813_1014:                           ;   in Loop: Header=BB813_974 Depth=2
	s_wait_alu 0xfffe
	s_or_b32 exec_lo, exec_lo, s15
	v_xor_b32_e32 v43, 0x80000000, v43
	; wave barrier
	s_delay_alu instid0(VALU_DEP_1) | instskip(NEXT) | instid1(VALU_DEP_1)
	v_lshrrev_b64 v[70:71], s31, v[42:43]
	v_and_b32_e32 v71, s54, v70
	s_delay_alu instid0(VALU_DEP_1)
	v_and_b32_e32 v70, 1, v71
	v_lshlrev_b32_e32 v72, 30, v71
	v_lshlrev_b32_e32 v73, 29, v71
	;; [unrolled: 1-line block ×4, first 2 shown]
	v_add_co_u32 v70, s15, v70, -1
	s_wait_alu 0xf1ff
	v_cndmask_b32_e64 v75, 0, 1, s15
	v_not_b32_e32 v174, v72
	v_cmp_gt_i32_e64 s15, 0, v72
	v_not_b32_e32 v72, v73
	v_lshlrev_b32_e32 v77, 26, v71
	v_cmp_ne_u32_e32 vcc_lo, 0, v75
	v_ashrrev_i32_e32 v174, 31, v174
	v_lshlrev_b32_e32 v173, 25, v71
	v_ashrrev_i32_e32 v72, 31, v72
	v_lshlrev_b32_e32 v75, 24, v71
	s_wait_alu 0xfffd
	v_xor_b32_e32 v70, vcc_lo, v70
	v_cmp_gt_i32_e32 vcc_lo, 0, v73
	v_not_b32_e32 v73, v74
	s_wait_alu 0xf1ff
	v_xor_b32_e32 v174, s15, v174
	v_cmp_gt_i32_e64 s15, 0, v74
	v_and_b32_e32 v70, exec_lo, v70
	v_not_b32_e32 v74, v76
	v_ashrrev_i32_e32 v73, 31, v73
	s_wait_alu 0xfffd
	v_xor_b32_e32 v72, vcc_lo, v72
	v_cmp_gt_i32_e32 vcc_lo, 0, v76
	v_and_b32_e32 v70, v70, v174
	v_not_b32_e32 v76, v77
	v_ashrrev_i32_e32 v74, 31, v74
	s_wait_alu 0xf1ff
	v_xor_b32_e32 v73, s15, v73
	v_cmp_gt_i32_e64 s15, 0, v77
	v_and_b32_e32 v70, v70, v72
	v_not_b32_e32 v72, v173
	v_ashrrev_i32_e32 v76, 31, v76
	s_wait_alu 0xfffd
	v_xor_b32_e32 v74, vcc_lo, v74
	v_cmp_gt_i32_e32 vcc_lo, 0, v173
	v_and_b32_e32 v70, v70, v73
	v_not_b32_e32 v73, v75
	v_ashrrev_i32_e32 v72, 31, v72
	s_wait_alu 0xf1ff
	v_xor_b32_e32 v76, s15, v76
	v_cmp_gt_i32_e64 s15, 0, v75
	v_and_b32_e32 v70, v70, v74
	v_ashrrev_i32_e32 v73, 31, v73
	s_wait_alu 0xfffd
	v_xor_b32_e32 v72, vcc_lo, v72
	v_mad_u32_u24 v74, v71, 36, v147
	v_mul_u32_u24_e32 v71, 36, v71
	v_and_b32_e32 v70, v70, v76
	s_wait_alu 0xf1ff
	v_xor_b32_e32 v73, s15, v73
	ds_load_b32 v173, v74 offset:1056
	v_add_nc_u32_e32 v175, v147, v71
	v_and_b32_e32 v70, v70, v72
	; wave barrier
	s_delay_alu instid0(VALU_DEP_1) | instskip(NEXT) | instid1(VALU_DEP_1)
	v_and_b32_e32 v70, v70, v73
	v_mbcnt_lo_u32_b32 v174, v70, 0
	v_cmp_ne_u32_e64 s15, 0, v70
	s_delay_alu instid0(VALU_DEP_2)
	v_cmp_eq_u32_e32 vcc_lo, 0, v174
	s_and_b32 s16, s15, vcc_lo
	s_wait_alu 0xfffe
	s_and_saveexec_b32 s15, s16
	s_cbranch_execz .LBB813_1016
; %bb.1015:                             ;   in Loop: Header=BB813_974 Depth=2
	s_wait_dscnt 0x0
	v_bcnt_u32_b32 v70, v70, v173
	ds_store_b32 v175, v70 offset:1056
.LBB813_1016:                           ;   in Loop: Header=BB813_974 Depth=2
	s_wait_alu 0xfffe
	s_or_b32 exec_lo, exec_lo, s15
	v_xor_b32_e32 v45, 0x80000000, v45
	; wave barrier
	s_delay_alu instid0(VALU_DEP_1) | instskip(NEXT) | instid1(VALU_DEP_1)
	v_lshrrev_b64 v[70:71], s31, v[44:45]
	v_and_b32_e32 v71, s54, v70
	s_delay_alu instid0(VALU_DEP_1)
	v_and_b32_e32 v70, 1, v71
	v_lshlrev_b32_e32 v72, 30, v71
	v_lshlrev_b32_e32 v73, 29, v71
	;; [unrolled: 1-line block ×4, first 2 shown]
	v_add_co_u32 v70, s15, v70, -1
	s_wait_alu 0xf1ff
	v_cndmask_b32_e64 v75, 0, 1, s15
	v_not_b32_e32 v177, v72
	v_cmp_gt_i32_e64 s15, 0, v72
	v_not_b32_e32 v72, v73
	v_lshlrev_b32_e32 v77, 26, v71
	v_cmp_ne_u32_e32 vcc_lo, 0, v75
	v_ashrrev_i32_e32 v177, 31, v177
	v_lshlrev_b32_e32 v176, 25, v71
	v_ashrrev_i32_e32 v72, 31, v72
	v_lshlrev_b32_e32 v75, 24, v71
	s_wait_alu 0xfffd
	v_xor_b32_e32 v70, vcc_lo, v70
	v_cmp_gt_i32_e32 vcc_lo, 0, v73
	v_not_b32_e32 v73, v74
	s_wait_alu 0xf1ff
	v_xor_b32_e32 v177, s15, v177
	v_cmp_gt_i32_e64 s15, 0, v74
	v_and_b32_e32 v70, exec_lo, v70
	v_not_b32_e32 v74, v76
	v_ashrrev_i32_e32 v73, 31, v73
	s_wait_alu 0xfffd
	v_xor_b32_e32 v72, vcc_lo, v72
	v_cmp_gt_i32_e32 vcc_lo, 0, v76
	v_and_b32_e32 v70, v70, v177
	v_not_b32_e32 v76, v77
	v_ashrrev_i32_e32 v74, 31, v74
	s_wait_alu 0xf1ff
	v_xor_b32_e32 v73, s15, v73
	v_cmp_gt_i32_e64 s15, 0, v77
	v_and_b32_e32 v70, v70, v72
	v_not_b32_e32 v72, v176
	v_ashrrev_i32_e32 v76, 31, v76
	s_wait_alu 0xfffd
	v_xor_b32_e32 v74, vcc_lo, v74
	v_cmp_gt_i32_e32 vcc_lo, 0, v176
	v_and_b32_e32 v70, v70, v73
	v_not_b32_e32 v73, v75
	v_ashrrev_i32_e32 v72, 31, v72
	s_wait_alu 0xf1ff
	v_xor_b32_e32 v76, s15, v76
	v_cmp_gt_i32_e64 s15, 0, v75
	v_and_b32_e32 v70, v70, v74
	v_ashrrev_i32_e32 v73, 31, v73
	s_wait_alu 0xfffd
	v_xor_b32_e32 v72, vcc_lo, v72
	v_mad_u32_u24 v74, v71, 36, v147
	v_mul_u32_u24_e32 v71, 36, v71
	v_and_b32_e32 v70, v70, v76
	s_wait_alu 0xf1ff
	v_xor_b32_e32 v73, s15, v73
	ds_load_b32 v176, v74 offset:1056
	v_add_nc_u32_e32 v178, v147, v71
	v_and_b32_e32 v70, v70, v72
	; wave barrier
	s_delay_alu instid0(VALU_DEP_1) | instskip(NEXT) | instid1(VALU_DEP_1)
	v_and_b32_e32 v70, v70, v73
	v_mbcnt_lo_u32_b32 v177, v70, 0
	v_cmp_ne_u32_e64 s15, 0, v70
	s_delay_alu instid0(VALU_DEP_2)
	v_cmp_eq_u32_e32 vcc_lo, 0, v177
	s_and_b32 s16, s15, vcc_lo
	s_wait_alu 0xfffe
	s_and_saveexec_b32 s15, s16
	s_cbranch_execz .LBB813_1018
; %bb.1017:                             ;   in Loop: Header=BB813_974 Depth=2
	s_wait_dscnt 0x0
	v_bcnt_u32_b32 v70, v70, v176
	ds_store_b32 v178, v70 offset:1056
.LBB813_1018:                           ;   in Loop: Header=BB813_974 Depth=2
	s_wait_alu 0xfffe
	s_or_b32 exec_lo, exec_lo, s15
	v_xor_b32_e32 v47, 0x80000000, v47
	; wave barrier
	s_delay_alu instid0(VALU_DEP_1) | instskip(NEXT) | instid1(VALU_DEP_1)
	v_lshrrev_b64 v[70:71], s31, v[46:47]
	v_and_b32_e32 v71, s54, v70
	s_delay_alu instid0(VALU_DEP_1)
	v_and_b32_e32 v70, 1, v71
	v_lshlrev_b32_e32 v72, 30, v71
	v_lshlrev_b32_e32 v73, 29, v71
	;; [unrolled: 1-line block ×4, first 2 shown]
	v_add_co_u32 v70, s15, v70, -1
	s_wait_alu 0xf1ff
	v_cndmask_b32_e64 v75, 0, 1, s15
	v_not_b32_e32 v180, v72
	v_cmp_gt_i32_e64 s15, 0, v72
	v_not_b32_e32 v72, v73
	v_lshlrev_b32_e32 v77, 26, v71
	v_cmp_ne_u32_e32 vcc_lo, 0, v75
	v_ashrrev_i32_e32 v180, 31, v180
	v_lshlrev_b32_e32 v179, 25, v71
	v_ashrrev_i32_e32 v72, 31, v72
	v_lshlrev_b32_e32 v75, 24, v71
	s_wait_alu 0xfffd
	v_xor_b32_e32 v70, vcc_lo, v70
	v_cmp_gt_i32_e32 vcc_lo, 0, v73
	v_not_b32_e32 v73, v74
	s_wait_alu 0xf1ff
	v_xor_b32_e32 v180, s15, v180
	v_cmp_gt_i32_e64 s15, 0, v74
	v_and_b32_e32 v70, exec_lo, v70
	v_not_b32_e32 v74, v76
	v_ashrrev_i32_e32 v73, 31, v73
	s_wait_alu 0xfffd
	v_xor_b32_e32 v72, vcc_lo, v72
	v_cmp_gt_i32_e32 vcc_lo, 0, v76
	v_and_b32_e32 v70, v70, v180
	v_not_b32_e32 v76, v77
	v_ashrrev_i32_e32 v74, 31, v74
	s_wait_alu 0xf1ff
	v_xor_b32_e32 v73, s15, v73
	v_cmp_gt_i32_e64 s15, 0, v77
	v_and_b32_e32 v70, v70, v72
	v_not_b32_e32 v72, v179
	v_ashrrev_i32_e32 v76, 31, v76
	s_wait_alu 0xfffd
	v_xor_b32_e32 v74, vcc_lo, v74
	v_cmp_gt_i32_e32 vcc_lo, 0, v179
	v_and_b32_e32 v70, v70, v73
	v_not_b32_e32 v73, v75
	v_ashrrev_i32_e32 v72, 31, v72
	s_wait_alu 0xf1ff
	v_xor_b32_e32 v76, s15, v76
	v_cmp_gt_i32_e64 s15, 0, v75
	v_and_b32_e32 v70, v70, v74
	v_ashrrev_i32_e32 v73, 31, v73
	s_wait_alu 0xfffd
	v_xor_b32_e32 v72, vcc_lo, v72
	v_mad_u32_u24 v74, v71, 36, v147
	v_mul_u32_u24_e32 v71, 36, v71
	v_and_b32_e32 v70, v70, v76
	s_wait_alu 0xf1ff
	v_xor_b32_e32 v73, s15, v73
	ds_load_b32 v179, v74 offset:1056
	v_add_nc_u32_e32 v181, v147, v71
	v_and_b32_e32 v70, v70, v72
	; wave barrier
	s_delay_alu instid0(VALU_DEP_1) | instskip(NEXT) | instid1(VALU_DEP_1)
	v_and_b32_e32 v70, v70, v73
	v_mbcnt_lo_u32_b32 v180, v70, 0
	v_cmp_ne_u32_e64 s15, 0, v70
	s_delay_alu instid0(VALU_DEP_2)
	v_cmp_eq_u32_e32 vcc_lo, 0, v180
	s_and_b32 s16, s15, vcc_lo
	s_wait_alu 0xfffe
	s_and_saveexec_b32 s15, s16
	s_cbranch_execz .LBB813_1020
; %bb.1019:                             ;   in Loop: Header=BB813_974 Depth=2
	s_wait_dscnt 0x0
	v_bcnt_u32_b32 v70, v70, v179
	ds_store_b32 v181, v70 offset:1056
.LBB813_1020:                           ;   in Loop: Header=BB813_974 Depth=2
	s_wait_alu 0xfffe
	s_or_b32 exec_lo, exec_lo, s15
	v_xor_b32_e32 v51, 0x80000000, v51
	; wave barrier
	s_delay_alu instid0(VALU_DEP_1) | instskip(NEXT) | instid1(VALU_DEP_1)
	v_lshrrev_b64 v[70:71], s31, v[50:51]
	v_and_b32_e32 v71, s54, v70
	s_delay_alu instid0(VALU_DEP_1)
	v_and_b32_e32 v70, 1, v71
	v_lshlrev_b32_e32 v72, 30, v71
	v_lshlrev_b32_e32 v73, 29, v71
	;; [unrolled: 1-line block ×4, first 2 shown]
	v_add_co_u32 v70, s15, v70, -1
	s_wait_alu 0xf1ff
	v_cndmask_b32_e64 v75, 0, 1, s15
	v_not_b32_e32 v183, v72
	v_cmp_gt_i32_e64 s15, 0, v72
	v_not_b32_e32 v72, v73
	v_lshlrev_b32_e32 v77, 26, v71
	v_cmp_ne_u32_e32 vcc_lo, 0, v75
	v_ashrrev_i32_e32 v183, 31, v183
	v_lshlrev_b32_e32 v182, 25, v71
	v_ashrrev_i32_e32 v72, 31, v72
	v_lshlrev_b32_e32 v75, 24, v71
	s_wait_alu 0xfffd
	v_xor_b32_e32 v70, vcc_lo, v70
	v_cmp_gt_i32_e32 vcc_lo, 0, v73
	v_not_b32_e32 v73, v74
	s_wait_alu 0xf1ff
	v_xor_b32_e32 v183, s15, v183
	v_cmp_gt_i32_e64 s15, 0, v74
	v_and_b32_e32 v70, exec_lo, v70
	v_not_b32_e32 v74, v76
	v_ashrrev_i32_e32 v73, 31, v73
	s_wait_alu 0xfffd
	v_xor_b32_e32 v72, vcc_lo, v72
	v_cmp_gt_i32_e32 vcc_lo, 0, v76
	v_and_b32_e32 v70, v70, v183
	v_not_b32_e32 v76, v77
	v_ashrrev_i32_e32 v74, 31, v74
	s_wait_alu 0xf1ff
	v_xor_b32_e32 v73, s15, v73
	v_cmp_gt_i32_e64 s15, 0, v77
	v_and_b32_e32 v70, v70, v72
	v_not_b32_e32 v72, v182
	v_ashrrev_i32_e32 v76, 31, v76
	s_wait_alu 0xfffd
	v_xor_b32_e32 v74, vcc_lo, v74
	v_cmp_gt_i32_e32 vcc_lo, 0, v182
	v_and_b32_e32 v70, v70, v73
	v_not_b32_e32 v73, v75
	v_ashrrev_i32_e32 v72, 31, v72
	s_wait_alu 0xf1ff
	v_xor_b32_e32 v76, s15, v76
	v_cmp_gt_i32_e64 s15, 0, v75
	v_and_b32_e32 v70, v70, v74
	v_ashrrev_i32_e32 v73, 31, v73
	s_wait_alu 0xfffd
	v_xor_b32_e32 v72, vcc_lo, v72
	v_mad_u32_u24 v74, v71, 36, v147
	v_mul_u32_u24_e32 v71, 36, v71
	v_and_b32_e32 v70, v70, v76
	s_wait_alu 0xf1ff
	v_xor_b32_e32 v73, s15, v73
	ds_load_b32 v182, v74 offset:1056
	v_add_nc_u32_e32 v184, v147, v71
	v_and_b32_e32 v70, v70, v72
	; wave barrier
	s_delay_alu instid0(VALU_DEP_1) | instskip(NEXT) | instid1(VALU_DEP_1)
	v_and_b32_e32 v70, v70, v73
	v_mbcnt_lo_u32_b32 v183, v70, 0
	v_cmp_ne_u32_e64 s15, 0, v70
	s_delay_alu instid0(VALU_DEP_2)
	v_cmp_eq_u32_e32 vcc_lo, 0, v183
	s_and_b32 s16, s15, vcc_lo
	s_wait_alu 0xfffe
	s_and_saveexec_b32 s15, s16
	s_cbranch_execz .LBB813_1022
; %bb.1021:                             ;   in Loop: Header=BB813_974 Depth=2
	s_wait_dscnt 0x0
	v_bcnt_u32_b32 v70, v70, v182
	ds_store_b32 v184, v70 offset:1056
.LBB813_1022:                           ;   in Loop: Header=BB813_974 Depth=2
	s_wait_alu 0xfffe
	s_or_b32 exec_lo, exec_lo, s15
	v_xor_b32_e32 v49, 0x80000000, v49
	; wave barrier
	s_delay_alu instid0(VALU_DEP_1) | instskip(NEXT) | instid1(VALU_DEP_1)
	v_lshrrev_b64 v[70:71], s31, v[48:49]
	v_and_b32_e32 v71, s54, v70
	s_delay_alu instid0(VALU_DEP_1)
	v_and_b32_e32 v70, 1, v71
	v_lshlrev_b32_e32 v72, 30, v71
	v_lshlrev_b32_e32 v73, 29, v71
	;; [unrolled: 1-line block ×4, first 2 shown]
	v_add_co_u32 v70, s15, v70, -1
	s_wait_alu 0xf1ff
	v_cndmask_b32_e64 v75, 0, 1, s15
	v_not_b32_e32 v186, v72
	v_cmp_gt_i32_e64 s15, 0, v72
	v_not_b32_e32 v72, v73
	v_lshlrev_b32_e32 v77, 26, v71
	v_cmp_ne_u32_e32 vcc_lo, 0, v75
	v_ashrrev_i32_e32 v186, 31, v186
	v_lshlrev_b32_e32 v185, 25, v71
	v_ashrrev_i32_e32 v72, 31, v72
	v_lshlrev_b32_e32 v75, 24, v71
	s_wait_alu 0xfffd
	v_xor_b32_e32 v70, vcc_lo, v70
	v_cmp_gt_i32_e32 vcc_lo, 0, v73
	v_not_b32_e32 v73, v74
	s_wait_alu 0xf1ff
	v_xor_b32_e32 v186, s15, v186
	v_cmp_gt_i32_e64 s15, 0, v74
	v_and_b32_e32 v70, exec_lo, v70
	v_not_b32_e32 v74, v76
	v_ashrrev_i32_e32 v73, 31, v73
	s_wait_alu 0xfffd
	v_xor_b32_e32 v72, vcc_lo, v72
	v_cmp_gt_i32_e32 vcc_lo, 0, v76
	v_and_b32_e32 v70, v70, v186
	v_not_b32_e32 v76, v77
	v_ashrrev_i32_e32 v74, 31, v74
	s_wait_alu 0xf1ff
	v_xor_b32_e32 v73, s15, v73
	v_cmp_gt_i32_e64 s15, 0, v77
	v_and_b32_e32 v70, v70, v72
	v_not_b32_e32 v72, v185
	v_ashrrev_i32_e32 v76, 31, v76
	s_wait_alu 0xfffd
	v_xor_b32_e32 v74, vcc_lo, v74
	v_cmp_gt_i32_e32 vcc_lo, 0, v185
	v_and_b32_e32 v70, v70, v73
	v_not_b32_e32 v73, v75
	v_ashrrev_i32_e32 v72, 31, v72
	s_wait_alu 0xf1ff
	v_xor_b32_e32 v76, s15, v76
	v_cmp_gt_i32_e64 s15, 0, v75
	v_and_b32_e32 v70, v70, v74
	v_ashrrev_i32_e32 v73, 31, v73
	s_wait_alu 0xfffd
	v_xor_b32_e32 v72, vcc_lo, v72
	v_mad_u32_u24 v74, v71, 36, v147
	v_mul_u32_u24_e32 v71, 36, v71
	v_and_b32_e32 v70, v70, v76
	s_wait_alu 0xf1ff
	v_xor_b32_e32 v73, s15, v73
	ds_load_b32 v185, v74 offset:1056
	v_add_nc_u32_e32 v187, v147, v71
	v_and_b32_e32 v70, v70, v72
	; wave barrier
	s_delay_alu instid0(VALU_DEP_1) | instskip(NEXT) | instid1(VALU_DEP_1)
	v_and_b32_e32 v70, v70, v73
	v_mbcnt_lo_u32_b32 v186, v70, 0
	v_cmp_ne_u32_e64 s15, 0, v70
	s_delay_alu instid0(VALU_DEP_2)
	v_cmp_eq_u32_e32 vcc_lo, 0, v186
	s_and_b32 s16, s15, vcc_lo
	s_wait_alu 0xfffe
	s_and_saveexec_b32 s15, s16
	s_cbranch_execz .LBB813_1024
; %bb.1023:                             ;   in Loop: Header=BB813_974 Depth=2
	s_wait_dscnt 0x0
	v_bcnt_u32_b32 v70, v70, v185
	ds_store_b32 v187, v70 offset:1056
.LBB813_1024:                           ;   in Loop: Header=BB813_974 Depth=2
	s_wait_alu 0xfffe
	s_or_b32 exec_lo, exec_lo, s15
	v_xor_b32_e32 v53, 0x80000000, v53
	; wave barrier
	s_delay_alu instid0(VALU_DEP_1) | instskip(NEXT) | instid1(VALU_DEP_1)
	v_lshrrev_b64 v[70:71], s31, v[52:53]
	v_and_b32_e32 v71, s54, v70
	s_delay_alu instid0(VALU_DEP_1)
	v_and_b32_e32 v70, 1, v71
	v_lshlrev_b32_e32 v72, 30, v71
	v_lshlrev_b32_e32 v73, 29, v71
	;; [unrolled: 1-line block ×4, first 2 shown]
	v_add_co_u32 v70, s15, v70, -1
	s_wait_alu 0xf1ff
	v_cndmask_b32_e64 v75, 0, 1, s15
	v_not_b32_e32 v189, v72
	v_cmp_gt_i32_e64 s15, 0, v72
	v_not_b32_e32 v72, v73
	v_lshlrev_b32_e32 v77, 26, v71
	v_cmp_ne_u32_e32 vcc_lo, 0, v75
	v_ashrrev_i32_e32 v189, 31, v189
	v_lshlrev_b32_e32 v188, 25, v71
	v_ashrrev_i32_e32 v72, 31, v72
	v_lshlrev_b32_e32 v75, 24, v71
	s_wait_alu 0xfffd
	v_xor_b32_e32 v70, vcc_lo, v70
	v_cmp_gt_i32_e32 vcc_lo, 0, v73
	v_not_b32_e32 v73, v74
	s_wait_alu 0xf1ff
	v_xor_b32_e32 v189, s15, v189
	v_cmp_gt_i32_e64 s15, 0, v74
	v_and_b32_e32 v70, exec_lo, v70
	v_not_b32_e32 v74, v76
	v_ashrrev_i32_e32 v73, 31, v73
	s_wait_alu 0xfffd
	v_xor_b32_e32 v72, vcc_lo, v72
	v_cmp_gt_i32_e32 vcc_lo, 0, v76
	v_and_b32_e32 v70, v70, v189
	v_not_b32_e32 v76, v77
	v_ashrrev_i32_e32 v74, 31, v74
	s_wait_alu 0xf1ff
	v_xor_b32_e32 v73, s15, v73
	v_cmp_gt_i32_e64 s15, 0, v77
	v_and_b32_e32 v70, v70, v72
	v_not_b32_e32 v72, v188
	v_ashrrev_i32_e32 v76, 31, v76
	s_wait_alu 0xfffd
	v_xor_b32_e32 v74, vcc_lo, v74
	v_cmp_gt_i32_e32 vcc_lo, 0, v188
	v_and_b32_e32 v70, v70, v73
	v_not_b32_e32 v73, v75
	v_ashrrev_i32_e32 v72, 31, v72
	s_wait_alu 0xf1ff
	v_xor_b32_e32 v76, s15, v76
	v_cmp_gt_i32_e64 s15, 0, v75
	v_and_b32_e32 v70, v70, v74
	v_ashrrev_i32_e32 v73, 31, v73
	s_wait_alu 0xfffd
	v_xor_b32_e32 v72, vcc_lo, v72
	v_mad_u32_u24 v74, v71, 36, v147
	v_mul_u32_u24_e32 v71, 36, v71
	v_and_b32_e32 v70, v70, v76
	s_wait_alu 0xf1ff
	v_xor_b32_e32 v73, s15, v73
	ds_load_b32 v188, v74 offset:1056
	v_add_nc_u32_e32 v190, v147, v71
	v_and_b32_e32 v70, v70, v72
	; wave barrier
	s_delay_alu instid0(VALU_DEP_1) | instskip(NEXT) | instid1(VALU_DEP_1)
	v_and_b32_e32 v70, v70, v73
	v_mbcnt_lo_u32_b32 v189, v70, 0
	v_cmp_ne_u32_e64 s15, 0, v70
	s_delay_alu instid0(VALU_DEP_2)
	v_cmp_eq_u32_e32 vcc_lo, 0, v189
	s_and_b32 s16, s15, vcc_lo
	s_wait_alu 0xfffe
	s_and_saveexec_b32 s15, s16
	s_cbranch_execz .LBB813_1026
; %bb.1025:                             ;   in Loop: Header=BB813_974 Depth=2
	s_wait_dscnt 0x0
	v_bcnt_u32_b32 v70, v70, v188
	ds_store_b32 v190, v70 offset:1056
.LBB813_1026:                           ;   in Loop: Header=BB813_974 Depth=2
	s_wait_alu 0xfffe
	s_or_b32 exec_lo, exec_lo, s15
	v_xor_b32_e32 v55, 0x80000000, v55
	; wave barrier
	s_delay_alu instid0(VALU_DEP_1) | instskip(NEXT) | instid1(VALU_DEP_1)
	v_lshrrev_b64 v[70:71], s31, v[54:55]
	v_and_b32_e32 v71, s54, v70
	s_delay_alu instid0(VALU_DEP_1)
	v_and_b32_e32 v70, 1, v71
	v_lshlrev_b32_e32 v72, 30, v71
	v_lshlrev_b32_e32 v73, 29, v71
	;; [unrolled: 1-line block ×4, first 2 shown]
	v_add_co_u32 v70, s15, v70, -1
	s_wait_alu 0xf1ff
	v_cndmask_b32_e64 v75, 0, 1, s15
	v_not_b32_e32 v192, v72
	v_cmp_gt_i32_e64 s15, 0, v72
	v_not_b32_e32 v72, v73
	v_lshlrev_b32_e32 v77, 26, v71
	v_cmp_ne_u32_e32 vcc_lo, 0, v75
	v_ashrrev_i32_e32 v192, 31, v192
	v_lshlrev_b32_e32 v191, 25, v71
	v_ashrrev_i32_e32 v72, 31, v72
	v_lshlrev_b32_e32 v75, 24, v71
	s_wait_alu 0xfffd
	v_xor_b32_e32 v70, vcc_lo, v70
	v_cmp_gt_i32_e32 vcc_lo, 0, v73
	v_not_b32_e32 v73, v74
	s_wait_alu 0xf1ff
	v_xor_b32_e32 v192, s15, v192
	v_cmp_gt_i32_e64 s15, 0, v74
	v_and_b32_e32 v70, exec_lo, v70
	v_not_b32_e32 v74, v76
	v_ashrrev_i32_e32 v73, 31, v73
	s_wait_alu 0xfffd
	v_xor_b32_e32 v72, vcc_lo, v72
	v_cmp_gt_i32_e32 vcc_lo, 0, v76
	v_and_b32_e32 v70, v70, v192
	v_not_b32_e32 v76, v77
	v_ashrrev_i32_e32 v74, 31, v74
	s_wait_alu 0xf1ff
	v_xor_b32_e32 v73, s15, v73
	v_cmp_gt_i32_e64 s15, 0, v77
	v_and_b32_e32 v70, v70, v72
	v_not_b32_e32 v72, v191
	v_ashrrev_i32_e32 v76, 31, v76
	s_wait_alu 0xfffd
	v_xor_b32_e32 v74, vcc_lo, v74
	v_cmp_gt_i32_e32 vcc_lo, 0, v191
	v_and_b32_e32 v70, v70, v73
	v_not_b32_e32 v73, v75
	v_ashrrev_i32_e32 v72, 31, v72
	s_wait_alu 0xf1ff
	v_xor_b32_e32 v76, s15, v76
	v_cmp_gt_i32_e64 s15, 0, v75
	v_and_b32_e32 v70, v70, v74
	v_ashrrev_i32_e32 v73, 31, v73
	s_wait_alu 0xfffd
	v_xor_b32_e32 v72, vcc_lo, v72
	v_mad_u32_u24 v74, v71, 36, v147
	v_mul_u32_u24_e32 v71, 36, v71
	v_and_b32_e32 v70, v70, v76
	s_wait_alu 0xf1ff
	v_xor_b32_e32 v73, s15, v73
	ds_load_b32 v191, v74 offset:1056
	v_add_nc_u32_e32 v193, v147, v71
	v_and_b32_e32 v70, v70, v72
	; wave barrier
	s_delay_alu instid0(VALU_DEP_1) | instskip(NEXT) | instid1(VALU_DEP_1)
	v_and_b32_e32 v70, v70, v73
	v_mbcnt_lo_u32_b32 v192, v70, 0
	v_cmp_ne_u32_e64 s15, 0, v70
	s_delay_alu instid0(VALU_DEP_2)
	v_cmp_eq_u32_e32 vcc_lo, 0, v192
	s_and_b32 s16, s15, vcc_lo
	s_wait_alu 0xfffe
	s_and_saveexec_b32 s15, s16
	s_cbranch_execz .LBB813_1028
; %bb.1027:                             ;   in Loop: Header=BB813_974 Depth=2
	s_wait_dscnt 0x0
	v_bcnt_u32_b32 v70, v70, v191
	ds_store_b32 v193, v70 offset:1056
.LBB813_1028:                           ;   in Loop: Header=BB813_974 Depth=2
	s_wait_alu 0xfffe
	s_or_b32 exec_lo, exec_lo, s15
	v_xor_b32_e32 v57, 0x80000000, v57
	; wave barrier
	s_delay_alu instid0(VALU_DEP_1) | instskip(NEXT) | instid1(VALU_DEP_1)
	v_lshrrev_b64 v[70:71], s31, v[56:57]
	v_and_b32_e32 v71, s54, v70
	s_delay_alu instid0(VALU_DEP_1)
	v_and_b32_e32 v70, 1, v71
	v_lshlrev_b32_e32 v72, 30, v71
	v_lshlrev_b32_e32 v73, 29, v71
	;; [unrolled: 1-line block ×4, first 2 shown]
	v_add_co_u32 v70, s15, v70, -1
	s_wait_alu 0xf1ff
	v_cndmask_b32_e64 v75, 0, 1, s15
	v_not_b32_e32 v195, v72
	v_cmp_gt_i32_e64 s15, 0, v72
	v_not_b32_e32 v72, v73
	v_lshlrev_b32_e32 v77, 26, v71
	v_cmp_ne_u32_e32 vcc_lo, 0, v75
	v_ashrrev_i32_e32 v195, 31, v195
	v_lshlrev_b32_e32 v194, 25, v71
	v_ashrrev_i32_e32 v72, 31, v72
	v_lshlrev_b32_e32 v75, 24, v71
	s_wait_alu 0xfffd
	v_xor_b32_e32 v70, vcc_lo, v70
	v_cmp_gt_i32_e32 vcc_lo, 0, v73
	v_not_b32_e32 v73, v74
	s_wait_alu 0xf1ff
	v_xor_b32_e32 v195, s15, v195
	v_cmp_gt_i32_e64 s15, 0, v74
	v_and_b32_e32 v70, exec_lo, v70
	v_not_b32_e32 v74, v76
	v_ashrrev_i32_e32 v73, 31, v73
	s_wait_alu 0xfffd
	v_xor_b32_e32 v72, vcc_lo, v72
	v_cmp_gt_i32_e32 vcc_lo, 0, v76
	v_and_b32_e32 v70, v70, v195
	v_not_b32_e32 v76, v77
	v_ashrrev_i32_e32 v74, 31, v74
	s_wait_alu 0xf1ff
	v_xor_b32_e32 v73, s15, v73
	v_cmp_gt_i32_e64 s15, 0, v77
	v_and_b32_e32 v70, v70, v72
	v_not_b32_e32 v72, v194
	v_ashrrev_i32_e32 v76, 31, v76
	s_wait_alu 0xfffd
	v_xor_b32_e32 v74, vcc_lo, v74
	v_cmp_gt_i32_e32 vcc_lo, 0, v194
	v_and_b32_e32 v70, v70, v73
	v_not_b32_e32 v73, v75
	v_ashrrev_i32_e32 v72, 31, v72
	s_wait_alu 0xf1ff
	v_xor_b32_e32 v76, s15, v76
	v_cmp_gt_i32_e64 s15, 0, v75
	v_and_b32_e32 v70, v70, v74
	v_ashrrev_i32_e32 v73, 31, v73
	s_wait_alu 0xfffd
	v_xor_b32_e32 v72, vcc_lo, v72
	v_mad_u32_u24 v74, v71, 36, v147
	v_mul_u32_u24_e32 v71, 36, v71
	v_and_b32_e32 v70, v70, v76
	s_wait_alu 0xf1ff
	v_xor_b32_e32 v73, s15, v73
	ds_load_b32 v194, v74 offset:1056
	v_add_nc_u32_e32 v196, v147, v71
	v_and_b32_e32 v70, v70, v72
	; wave barrier
	s_delay_alu instid0(VALU_DEP_1) | instskip(NEXT) | instid1(VALU_DEP_1)
	v_and_b32_e32 v70, v70, v73
	v_mbcnt_lo_u32_b32 v195, v70, 0
	v_cmp_ne_u32_e64 s15, 0, v70
	s_delay_alu instid0(VALU_DEP_2)
	v_cmp_eq_u32_e32 vcc_lo, 0, v195
	s_and_b32 s16, s15, vcc_lo
	s_wait_alu 0xfffe
	s_and_saveexec_b32 s15, s16
	s_cbranch_execz .LBB813_1030
; %bb.1029:                             ;   in Loop: Header=BB813_974 Depth=2
	s_wait_dscnt 0x0
	v_bcnt_u32_b32 v70, v70, v194
	ds_store_b32 v196, v70 offset:1056
.LBB813_1030:                           ;   in Loop: Header=BB813_974 Depth=2
	s_wait_alu 0xfffe
	s_or_b32 exec_lo, exec_lo, s15
	v_xor_b32_e32 v61, 0x80000000, v61
	; wave barrier
	s_delay_alu instid0(VALU_DEP_1) | instskip(NEXT) | instid1(VALU_DEP_1)
	v_lshrrev_b64 v[70:71], s31, v[60:61]
	v_and_b32_e32 v71, s54, v70
	s_delay_alu instid0(VALU_DEP_1)
	v_and_b32_e32 v70, 1, v71
	v_lshlrev_b32_e32 v72, 30, v71
	v_lshlrev_b32_e32 v73, 29, v71
	;; [unrolled: 1-line block ×4, first 2 shown]
	v_add_co_u32 v70, s15, v70, -1
	s_wait_alu 0xf1ff
	v_cndmask_b32_e64 v75, 0, 1, s15
	v_not_b32_e32 v198, v72
	v_cmp_gt_i32_e64 s15, 0, v72
	v_not_b32_e32 v72, v73
	v_lshlrev_b32_e32 v77, 26, v71
	v_cmp_ne_u32_e32 vcc_lo, 0, v75
	v_ashrrev_i32_e32 v198, 31, v198
	v_lshlrev_b32_e32 v197, 25, v71
	v_ashrrev_i32_e32 v72, 31, v72
	v_lshlrev_b32_e32 v75, 24, v71
	s_wait_alu 0xfffd
	v_xor_b32_e32 v70, vcc_lo, v70
	v_cmp_gt_i32_e32 vcc_lo, 0, v73
	v_not_b32_e32 v73, v74
	s_wait_alu 0xf1ff
	v_xor_b32_e32 v198, s15, v198
	v_cmp_gt_i32_e64 s15, 0, v74
	v_and_b32_e32 v70, exec_lo, v70
	v_not_b32_e32 v74, v76
	v_ashrrev_i32_e32 v73, 31, v73
	s_wait_alu 0xfffd
	v_xor_b32_e32 v72, vcc_lo, v72
	v_cmp_gt_i32_e32 vcc_lo, 0, v76
	v_and_b32_e32 v70, v70, v198
	v_not_b32_e32 v76, v77
	v_ashrrev_i32_e32 v74, 31, v74
	s_wait_alu 0xf1ff
	v_xor_b32_e32 v73, s15, v73
	v_cmp_gt_i32_e64 s15, 0, v77
	v_and_b32_e32 v70, v70, v72
	v_not_b32_e32 v72, v197
	v_ashrrev_i32_e32 v76, 31, v76
	s_wait_alu 0xfffd
	v_xor_b32_e32 v74, vcc_lo, v74
	v_cmp_gt_i32_e32 vcc_lo, 0, v197
	v_and_b32_e32 v70, v70, v73
	v_not_b32_e32 v73, v75
	v_ashrrev_i32_e32 v72, 31, v72
	s_wait_alu 0xf1ff
	v_xor_b32_e32 v76, s15, v76
	v_cmp_gt_i32_e64 s15, 0, v75
	v_and_b32_e32 v70, v70, v74
	v_ashrrev_i32_e32 v73, 31, v73
	s_wait_alu 0xfffd
	v_xor_b32_e32 v72, vcc_lo, v72
	v_mad_u32_u24 v74, v71, 36, v147
	v_mul_u32_u24_e32 v71, 36, v71
	v_and_b32_e32 v70, v70, v76
	s_wait_alu 0xf1ff
	v_xor_b32_e32 v73, s15, v73
	ds_load_b32 v197, v74 offset:1056
	v_add_nc_u32_e32 v199, v147, v71
	v_and_b32_e32 v70, v70, v72
	; wave barrier
	s_delay_alu instid0(VALU_DEP_1) | instskip(NEXT) | instid1(VALU_DEP_1)
	v_and_b32_e32 v70, v70, v73
	v_mbcnt_lo_u32_b32 v198, v70, 0
	v_cmp_ne_u32_e64 s15, 0, v70
	s_delay_alu instid0(VALU_DEP_2)
	v_cmp_eq_u32_e32 vcc_lo, 0, v198
	s_and_b32 s16, s15, vcc_lo
	s_wait_alu 0xfffe
	s_and_saveexec_b32 s15, s16
	s_cbranch_execz .LBB813_1032
; %bb.1031:                             ;   in Loop: Header=BB813_974 Depth=2
	s_wait_dscnt 0x0
	v_bcnt_u32_b32 v70, v70, v197
	ds_store_b32 v199, v70 offset:1056
.LBB813_1032:                           ;   in Loop: Header=BB813_974 Depth=2
	s_wait_alu 0xfffe
	s_or_b32 exec_lo, exec_lo, s15
	v_xor_b32_e32 v59, 0x80000000, v59
	; wave barrier
	s_delay_alu instid0(VALU_DEP_1) | instskip(NEXT) | instid1(VALU_DEP_1)
	v_lshrrev_b64 v[70:71], s31, v[58:59]
	v_and_b32_e32 v71, s54, v70
	s_delay_alu instid0(VALU_DEP_1)
	v_and_b32_e32 v70, 1, v71
	v_lshlrev_b32_e32 v72, 30, v71
	v_lshlrev_b32_e32 v73, 29, v71
	;; [unrolled: 1-line block ×4, first 2 shown]
	v_add_co_u32 v70, s15, v70, -1
	s_wait_alu 0xf1ff
	v_cndmask_b32_e64 v75, 0, 1, s15
	v_not_b32_e32 v201, v72
	v_cmp_gt_i32_e64 s15, 0, v72
	v_not_b32_e32 v72, v73
	v_lshlrev_b32_e32 v77, 26, v71
	v_cmp_ne_u32_e32 vcc_lo, 0, v75
	v_ashrrev_i32_e32 v201, 31, v201
	v_lshlrev_b32_e32 v200, 25, v71
	v_ashrrev_i32_e32 v72, 31, v72
	v_lshlrev_b32_e32 v75, 24, v71
	s_wait_alu 0xfffd
	v_xor_b32_e32 v70, vcc_lo, v70
	v_cmp_gt_i32_e32 vcc_lo, 0, v73
	v_not_b32_e32 v73, v74
	s_wait_alu 0xf1ff
	v_xor_b32_e32 v201, s15, v201
	v_cmp_gt_i32_e64 s15, 0, v74
	v_and_b32_e32 v70, exec_lo, v70
	v_not_b32_e32 v74, v76
	v_ashrrev_i32_e32 v73, 31, v73
	s_wait_alu 0xfffd
	v_xor_b32_e32 v72, vcc_lo, v72
	v_cmp_gt_i32_e32 vcc_lo, 0, v76
	v_and_b32_e32 v70, v70, v201
	v_not_b32_e32 v76, v77
	v_ashrrev_i32_e32 v74, 31, v74
	s_wait_alu 0xf1ff
	v_xor_b32_e32 v73, s15, v73
	v_cmp_gt_i32_e64 s15, 0, v77
	v_and_b32_e32 v70, v70, v72
	v_not_b32_e32 v72, v200
	v_ashrrev_i32_e32 v76, 31, v76
	s_wait_alu 0xfffd
	v_xor_b32_e32 v74, vcc_lo, v74
	v_cmp_gt_i32_e32 vcc_lo, 0, v200
	v_and_b32_e32 v70, v70, v73
	v_not_b32_e32 v73, v75
	v_ashrrev_i32_e32 v72, 31, v72
	s_wait_alu 0xf1ff
	v_xor_b32_e32 v76, s15, v76
	v_cmp_gt_i32_e64 s15, 0, v75
	v_and_b32_e32 v70, v70, v74
	v_ashrrev_i32_e32 v73, 31, v73
	s_wait_alu 0xfffd
	v_xor_b32_e32 v72, vcc_lo, v72
	v_mad_u32_u24 v74, v71, 36, v147
	v_mul_u32_u24_e32 v71, 36, v71
	v_and_b32_e32 v70, v70, v76
	s_wait_alu 0xf1ff
	v_xor_b32_e32 v73, s15, v73
	ds_load_b32 v200, v74 offset:1056
	v_add_nc_u32_e32 v202, v147, v71
	v_and_b32_e32 v70, v70, v72
	; wave barrier
	s_delay_alu instid0(VALU_DEP_1) | instskip(NEXT) | instid1(VALU_DEP_1)
	v_and_b32_e32 v70, v70, v73
	v_mbcnt_lo_u32_b32 v201, v70, 0
	v_cmp_ne_u32_e64 s15, 0, v70
	s_delay_alu instid0(VALU_DEP_2)
	v_cmp_eq_u32_e32 vcc_lo, 0, v201
	s_and_b32 s16, s15, vcc_lo
	s_wait_alu 0xfffe
	s_and_saveexec_b32 s15, s16
	s_cbranch_execz .LBB813_1034
; %bb.1033:                             ;   in Loop: Header=BB813_974 Depth=2
	s_wait_dscnt 0x0
	v_bcnt_u32_b32 v70, v70, v200
	ds_store_b32 v202, v70 offset:1056
.LBB813_1034:                           ;   in Loop: Header=BB813_974 Depth=2
	s_wait_alu 0xfffe
	s_or_b32 exec_lo, exec_lo, s15
	v_xor_b32_e32 v63, 0x80000000, v63
	; wave barrier
	s_delay_alu instid0(VALU_DEP_1) | instskip(NEXT) | instid1(VALU_DEP_1)
	v_lshrrev_b64 v[70:71], s31, v[62:63]
	v_and_b32_e32 v71, s54, v70
	s_delay_alu instid0(VALU_DEP_1)
	v_and_b32_e32 v70, 1, v71
	v_lshlrev_b32_e32 v72, 30, v71
	v_lshlrev_b32_e32 v73, 29, v71
	;; [unrolled: 1-line block ×4, first 2 shown]
	v_add_co_u32 v70, s15, v70, -1
	s_wait_alu 0xf1ff
	v_cndmask_b32_e64 v75, 0, 1, s15
	v_not_b32_e32 v204, v72
	v_cmp_gt_i32_e64 s15, 0, v72
	v_not_b32_e32 v72, v73
	v_lshlrev_b32_e32 v77, 26, v71
	v_cmp_ne_u32_e32 vcc_lo, 0, v75
	v_ashrrev_i32_e32 v204, 31, v204
	v_lshlrev_b32_e32 v203, 25, v71
	v_ashrrev_i32_e32 v72, 31, v72
	v_lshlrev_b32_e32 v75, 24, v71
	s_wait_alu 0xfffd
	v_xor_b32_e32 v70, vcc_lo, v70
	v_cmp_gt_i32_e32 vcc_lo, 0, v73
	v_not_b32_e32 v73, v74
	s_wait_alu 0xf1ff
	v_xor_b32_e32 v204, s15, v204
	v_cmp_gt_i32_e64 s15, 0, v74
	v_and_b32_e32 v70, exec_lo, v70
	v_not_b32_e32 v74, v76
	v_ashrrev_i32_e32 v73, 31, v73
	s_wait_alu 0xfffd
	v_xor_b32_e32 v72, vcc_lo, v72
	v_cmp_gt_i32_e32 vcc_lo, 0, v76
	v_and_b32_e32 v70, v70, v204
	v_not_b32_e32 v76, v77
	v_ashrrev_i32_e32 v74, 31, v74
	s_wait_alu 0xf1ff
	v_xor_b32_e32 v73, s15, v73
	v_cmp_gt_i32_e64 s15, 0, v77
	v_and_b32_e32 v70, v70, v72
	v_not_b32_e32 v72, v203
	v_ashrrev_i32_e32 v76, 31, v76
	s_wait_alu 0xfffd
	v_xor_b32_e32 v74, vcc_lo, v74
	v_cmp_gt_i32_e32 vcc_lo, 0, v203
	v_and_b32_e32 v70, v70, v73
	v_not_b32_e32 v73, v75
	v_ashrrev_i32_e32 v72, 31, v72
	s_wait_alu 0xf1ff
	v_xor_b32_e32 v76, s15, v76
	v_cmp_gt_i32_e64 s15, 0, v75
	v_and_b32_e32 v70, v70, v74
	v_ashrrev_i32_e32 v73, 31, v73
	s_wait_alu 0xfffd
	v_xor_b32_e32 v72, vcc_lo, v72
	v_mad_u32_u24 v74, v71, 36, v147
	v_mul_u32_u24_e32 v71, 36, v71
	v_and_b32_e32 v70, v70, v76
	s_wait_alu 0xf1ff
	v_xor_b32_e32 v73, s15, v73
	ds_load_b32 v203, v74 offset:1056
	v_add_nc_u32_e32 v206, v147, v71
	v_and_b32_e32 v70, v70, v72
	; wave barrier
	s_delay_alu instid0(VALU_DEP_1) | instskip(NEXT) | instid1(VALU_DEP_1)
	v_and_b32_e32 v70, v70, v73
	v_mbcnt_lo_u32_b32 v204, v70, 0
	v_cmp_ne_u32_e64 s15, 0, v70
	s_delay_alu instid0(VALU_DEP_2)
	v_cmp_eq_u32_e32 vcc_lo, 0, v204
	s_and_b32 s16, s15, vcc_lo
	s_wait_alu 0xfffe
	s_and_saveexec_b32 s15, s16
	s_cbranch_execz .LBB813_1036
; %bb.1035:                             ;   in Loop: Header=BB813_974 Depth=2
	s_wait_dscnt 0x0
	v_bcnt_u32_b32 v70, v70, v203
	ds_store_b32 v206, v70 offset:1056
.LBB813_1036:                           ;   in Loop: Header=BB813_974 Depth=2
	s_wait_alu 0xfffe
	s_or_b32 exec_lo, exec_lo, s15
	v_xor_b32_e32 v65, 0x80000000, v65
	; wave barrier
	s_delay_alu instid0(VALU_DEP_1) | instskip(NEXT) | instid1(VALU_DEP_1)
	v_lshrrev_b64 v[70:71], s31, v[64:65]
	v_and_b32_e32 v71, s54, v70
	s_delay_alu instid0(VALU_DEP_1)
	v_and_b32_e32 v70, 1, v71
	v_lshlrev_b32_e32 v72, 30, v71
	v_lshlrev_b32_e32 v73, 29, v71
	;; [unrolled: 1-line block ×4, first 2 shown]
	v_add_co_u32 v70, s15, v70, -1
	s_wait_alu 0xf1ff
	v_cndmask_b32_e64 v75, 0, 1, s15
	v_not_b32_e32 v207, v72
	v_cmp_gt_i32_e64 s15, 0, v72
	v_not_b32_e32 v72, v73
	v_lshlrev_b32_e32 v77, 26, v71
	v_cmp_ne_u32_e32 vcc_lo, 0, v75
	v_ashrrev_i32_e32 v207, 31, v207
	v_lshlrev_b32_e32 v205, 25, v71
	v_ashrrev_i32_e32 v72, 31, v72
	v_lshlrev_b32_e32 v75, 24, v71
	s_wait_alu 0xfffd
	v_xor_b32_e32 v70, vcc_lo, v70
	v_cmp_gt_i32_e32 vcc_lo, 0, v73
	v_not_b32_e32 v73, v74
	s_wait_alu 0xf1ff
	v_xor_b32_e32 v207, s15, v207
	v_cmp_gt_i32_e64 s15, 0, v74
	v_and_b32_e32 v70, exec_lo, v70
	v_not_b32_e32 v74, v76
	v_ashrrev_i32_e32 v73, 31, v73
	s_wait_alu 0xfffd
	v_xor_b32_e32 v72, vcc_lo, v72
	v_cmp_gt_i32_e32 vcc_lo, 0, v76
	v_and_b32_e32 v70, v70, v207
	v_not_b32_e32 v76, v77
	v_ashrrev_i32_e32 v74, 31, v74
	s_wait_alu 0xf1ff
	v_xor_b32_e32 v73, s15, v73
	v_cmp_gt_i32_e64 s15, 0, v77
	v_and_b32_e32 v70, v70, v72
	v_not_b32_e32 v72, v205
	v_ashrrev_i32_e32 v76, 31, v76
	s_wait_alu 0xfffd
	v_xor_b32_e32 v74, vcc_lo, v74
	v_cmp_gt_i32_e32 vcc_lo, 0, v205
	v_and_b32_e32 v70, v70, v73
	v_not_b32_e32 v73, v75
	v_ashrrev_i32_e32 v72, 31, v72
	s_wait_alu 0xf1ff
	v_xor_b32_e32 v76, s15, v76
	v_cmp_gt_i32_e64 s15, 0, v75
	v_and_b32_e32 v70, v70, v74
	v_ashrrev_i32_e32 v73, 31, v73
	s_wait_alu 0xfffd
	v_xor_b32_e32 v72, vcc_lo, v72
	v_mad_u32_u24 v74, v71, 36, v147
	v_mul_u32_u24_e32 v71, 36, v71
	v_and_b32_e32 v70, v70, v76
	s_wait_alu 0xf1ff
	v_xor_b32_e32 v73, s15, v73
	ds_load_b32 v205, v74 offset:1056
	v_add_nc_u32_e32 v209, v147, v71
	v_and_b32_e32 v70, v70, v72
	; wave barrier
	s_delay_alu instid0(VALU_DEP_1) | instskip(NEXT) | instid1(VALU_DEP_1)
	v_and_b32_e32 v70, v70, v73
	v_mbcnt_lo_u32_b32 v207, v70, 0
	v_cmp_ne_u32_e64 s15, 0, v70
	s_delay_alu instid0(VALU_DEP_2)
	v_cmp_eq_u32_e32 vcc_lo, 0, v207
	s_and_b32 s16, s15, vcc_lo
	s_wait_alu 0xfffe
	s_and_saveexec_b32 s15, s16
	s_cbranch_execz .LBB813_1038
; %bb.1037:                             ;   in Loop: Header=BB813_974 Depth=2
	s_wait_dscnt 0x0
	v_bcnt_u32_b32 v70, v70, v205
	ds_store_b32 v209, v70 offset:1056
.LBB813_1038:                           ;   in Loop: Header=BB813_974 Depth=2
	s_wait_alu 0xfffe
	s_or_b32 exec_lo, exec_lo, s15
	v_xor_b32_e32 v67, 0x80000000, v67
	; wave barrier
	s_delay_alu instid0(VALU_DEP_1) | instskip(NEXT) | instid1(VALU_DEP_1)
	v_lshrrev_b64 v[70:71], s31, v[66:67]
	v_and_b32_e32 v71, s54, v70
	s_delay_alu instid0(VALU_DEP_1)
	v_and_b32_e32 v70, 1, v71
	v_lshlrev_b32_e32 v72, 30, v71
	v_lshlrev_b32_e32 v73, 29, v71
	;; [unrolled: 1-line block ×4, first 2 shown]
	v_add_co_u32 v70, s15, v70, -1
	s_wait_alu 0xf1ff
	v_cndmask_b32_e64 v75, 0, 1, s15
	v_not_b32_e32 v210, v72
	v_cmp_gt_i32_e64 s15, 0, v72
	v_not_b32_e32 v72, v73
	v_lshlrev_b32_e32 v77, 26, v71
	v_cmp_ne_u32_e32 vcc_lo, 0, v75
	v_ashrrev_i32_e32 v210, 31, v210
	v_lshlrev_b32_e32 v208, 25, v71
	v_ashrrev_i32_e32 v72, 31, v72
	v_lshlrev_b32_e32 v75, 24, v71
	s_wait_alu 0xfffd
	v_xor_b32_e32 v70, vcc_lo, v70
	v_cmp_gt_i32_e32 vcc_lo, 0, v73
	v_not_b32_e32 v73, v74
	s_wait_alu 0xf1ff
	v_xor_b32_e32 v210, s15, v210
	v_cmp_gt_i32_e64 s15, 0, v74
	v_and_b32_e32 v70, exec_lo, v70
	v_not_b32_e32 v74, v76
	v_ashrrev_i32_e32 v73, 31, v73
	s_wait_alu 0xfffd
	v_xor_b32_e32 v72, vcc_lo, v72
	v_cmp_gt_i32_e32 vcc_lo, 0, v76
	v_and_b32_e32 v70, v70, v210
	v_not_b32_e32 v76, v77
	v_ashrrev_i32_e32 v74, 31, v74
	s_wait_alu 0xf1ff
	v_xor_b32_e32 v73, s15, v73
	v_cmp_gt_i32_e64 s15, 0, v77
	v_and_b32_e32 v70, v70, v72
	v_not_b32_e32 v72, v208
	v_ashrrev_i32_e32 v76, 31, v76
	s_wait_alu 0xfffd
	v_xor_b32_e32 v74, vcc_lo, v74
	v_cmp_gt_i32_e32 vcc_lo, 0, v208
	v_and_b32_e32 v70, v70, v73
	v_not_b32_e32 v73, v75
	v_ashrrev_i32_e32 v72, 31, v72
	s_wait_alu 0xf1ff
	v_xor_b32_e32 v76, s15, v76
	v_cmp_gt_i32_e64 s15, 0, v75
	v_and_b32_e32 v70, v70, v74
	v_ashrrev_i32_e32 v73, 31, v73
	s_wait_alu 0xfffd
	v_xor_b32_e32 v72, vcc_lo, v72
	v_mad_u32_u24 v74, v71, 36, v147
	v_mul_u32_u24_e32 v71, 36, v71
	v_and_b32_e32 v70, v70, v76
	s_wait_alu 0xf1ff
	v_xor_b32_e32 v73, s15, v73
	ds_load_b32 v208, v74 offset:1056
	v_add_nc_u32_e32 v213, v147, v71
	v_and_b32_e32 v70, v70, v72
	; wave barrier
	s_delay_alu instid0(VALU_DEP_1) | instskip(NEXT) | instid1(VALU_DEP_1)
	v_and_b32_e32 v70, v70, v73
	v_mbcnt_lo_u32_b32 v210, v70, 0
	v_cmp_ne_u32_e64 s15, 0, v70
	s_delay_alu instid0(VALU_DEP_2)
	v_cmp_eq_u32_e32 vcc_lo, 0, v210
	s_and_b32 s16, s15, vcc_lo
	s_wait_alu 0xfffe
	s_and_saveexec_b32 s15, s16
	s_cbranch_execz .LBB813_1040
; %bb.1039:                             ;   in Loop: Header=BB813_974 Depth=2
	s_wait_dscnt 0x0
	v_bcnt_u32_b32 v70, v70, v208
	ds_store_b32 v213, v70 offset:1056
.LBB813_1040:                           ;   in Loop: Header=BB813_974 Depth=2
	s_wait_alu 0xfffe
	s_or_b32 exec_lo, exec_lo, s15
	v_lshrrev_b64 v[70:71], s31, v[68:69]
	; wave barrier
	s_delay_alu instid0(VALU_DEP_1) | instskip(NEXT) | instid1(VALU_DEP_1)
	v_and_b32_e32 v71, s54, v70
	v_and_b32_e32 v70, 1, v71
	v_lshlrev_b32_e32 v72, 30, v71
	v_lshlrev_b32_e32 v73, 29, v71
	;; [unrolled: 1-line block ×4, first 2 shown]
	v_add_co_u32 v70, s15, v70, -1
	s_wait_alu 0xf1ff
	v_cndmask_b32_e64 v75, 0, 1, s15
	v_not_b32_e32 v212, v72
	v_cmp_gt_i32_e64 s15, 0, v72
	v_not_b32_e32 v72, v73
	v_lshlrev_b32_e32 v77, 26, v71
	v_cmp_ne_u32_e32 vcc_lo, 0, v75
	v_ashrrev_i32_e32 v212, 31, v212
	v_lshlrev_b32_e32 v211, 25, v71
	v_ashrrev_i32_e32 v72, 31, v72
	v_lshlrev_b32_e32 v75, 24, v71
	s_wait_alu 0xfffd
	v_xor_b32_e32 v70, vcc_lo, v70
	v_cmp_gt_i32_e32 vcc_lo, 0, v73
	v_not_b32_e32 v73, v74
	s_wait_alu 0xf1ff
	v_xor_b32_e32 v212, s15, v212
	v_cmp_gt_i32_e64 s15, 0, v74
	v_and_b32_e32 v70, exec_lo, v70
	v_not_b32_e32 v74, v76
	v_ashrrev_i32_e32 v73, 31, v73
	s_wait_alu 0xfffd
	v_xor_b32_e32 v72, vcc_lo, v72
	v_cmp_gt_i32_e32 vcc_lo, 0, v76
	v_and_b32_e32 v70, v70, v212
	v_not_b32_e32 v76, v77
	v_ashrrev_i32_e32 v74, 31, v74
	s_wait_alu 0xf1ff
	v_xor_b32_e32 v73, s15, v73
	v_cmp_gt_i32_e64 s15, 0, v77
	v_and_b32_e32 v70, v70, v72
	v_not_b32_e32 v72, v211
	v_ashrrev_i32_e32 v76, 31, v76
	s_wait_alu 0xfffd
	v_xor_b32_e32 v74, vcc_lo, v74
	v_cmp_gt_i32_e32 vcc_lo, 0, v211
	v_and_b32_e32 v70, v70, v73
	v_not_b32_e32 v73, v75
	v_ashrrev_i32_e32 v72, 31, v72
	s_wait_alu 0xf1ff
	v_xor_b32_e32 v76, s15, v76
	v_cmp_gt_i32_e64 s15, 0, v75
	v_and_b32_e32 v70, v70, v74
	v_ashrrev_i32_e32 v73, 31, v73
	s_wait_alu 0xfffd
	v_xor_b32_e32 v72, vcc_lo, v72
	v_mad_u32_u24 v74, v71, 36, v147
	v_mul_u32_u24_e32 v71, 36, v71
	v_and_b32_e32 v70, v70, v76
	s_wait_alu 0xf1ff
	v_xor_b32_e32 v73, s15, v73
	ds_load_b32 v211, v74 offset:1056
	v_add_nc_u32_e32 v214, v147, v71
	v_and_b32_e32 v70, v70, v72
	; wave barrier
	s_delay_alu instid0(VALU_DEP_1) | instskip(NEXT) | instid1(VALU_DEP_1)
	v_and_b32_e32 v70, v70, v73
	v_mbcnt_lo_u32_b32 v212, v70, 0
	v_cmp_ne_u32_e64 s15, 0, v70
	s_delay_alu instid0(VALU_DEP_2)
	v_cmp_eq_u32_e32 vcc_lo, 0, v212
	s_and_b32 s16, s15, vcc_lo
	s_wait_alu 0xfffe
	s_and_saveexec_b32 s15, s16
	s_cbranch_execz .LBB813_1042
; %bb.1041:                             ;   in Loop: Header=BB813_974 Depth=2
	s_wait_dscnt 0x0
	v_bcnt_u32_b32 v70, v70, v211
	ds_store_b32 v214, v70 offset:1056
.LBB813_1042:                           ;   in Loop: Header=BB813_974 Depth=2
	s_wait_alu 0xfffe
	s_or_b32 exec_lo, exec_lo, s15
	; wave barrier
	s_wait_loadcnt_dscnt 0x0
	s_barrier_signal -1
	s_barrier_wait -1
	global_inv scope:SCOPE_SE
	ds_load_2addr_b32 v[76:77], v166 offset1:1
	ds_load_2addr_b32 v[74:75], v167 offset1:1
	;; [unrolled: 1-line block ×4, first 2 shown]
	ds_load_b32 v215, v102 offset:1088
	s_wait_dscnt 0x3
	v_add3_u32 v216, v77, v76, v74
	s_wait_dscnt 0x2
	s_delay_alu instid0(VALU_DEP_1) | instskip(SKIP_1) | instid1(VALU_DEP_1)
	v_add3_u32 v216, v216, v75, v72
	s_wait_dscnt 0x1
	v_add3_u32 v216, v216, v73, v70
	s_wait_dscnt 0x0
	s_delay_alu instid0(VALU_DEP_1) | instskip(NEXT) | instid1(VALU_DEP_1)
	v_add3_u32 v215, v216, v71, v215
	v_mov_b32_dpp v216, v215 row_shr:1 row_mask:0xf bank_mask:0xf
	s_delay_alu instid0(VALU_DEP_1) | instskip(NEXT) | instid1(VALU_DEP_1)
	v_cndmask_b32_e64 v216, v216, 0, s0
	v_add_nc_u32_e32 v215, v216, v215
	s_delay_alu instid0(VALU_DEP_1) | instskip(NEXT) | instid1(VALU_DEP_1)
	v_mov_b32_dpp v216, v215 row_shr:2 row_mask:0xf bank_mask:0xf
	v_cndmask_b32_e64 v216, 0, v216, s1
	s_delay_alu instid0(VALU_DEP_1) | instskip(NEXT) | instid1(VALU_DEP_1)
	v_add_nc_u32_e32 v215, v215, v216
	v_mov_b32_dpp v216, v215 row_shr:4 row_mask:0xf bank_mask:0xf
	s_delay_alu instid0(VALU_DEP_1) | instskip(NEXT) | instid1(VALU_DEP_1)
	v_cndmask_b32_e64 v216, 0, v216, s8
	v_add_nc_u32_e32 v215, v215, v216
	s_delay_alu instid0(VALU_DEP_1) | instskip(NEXT) | instid1(VALU_DEP_1)
	v_mov_b32_dpp v216, v215 row_shr:8 row_mask:0xf bank_mask:0xf
	v_cndmask_b32_e64 v216, 0, v216, s9
	s_delay_alu instid0(VALU_DEP_1) | instskip(SKIP_3) | instid1(VALU_DEP_1)
	v_add_nc_u32_e32 v215, v215, v216
	ds_swizzle_b32 v216, v215 offset:swizzle(BROADCAST,32,15)
	s_wait_dscnt 0x0
	v_cndmask_b32_e64 v216, v216, 0, s10
	v_add_nc_u32_e32 v215, v215, v216
	s_and_saveexec_b32 s15, s3
; %bb.1043:                             ;   in Loop: Header=BB813_974 Depth=2
	ds_store_b32 v97, v215 offset:1024
; %bb.1044:                             ;   in Loop: Header=BB813_974 Depth=2
	s_wait_alu 0xfffe
	s_or_b32 exec_lo, exec_lo, s15
	s_wait_loadcnt_dscnt 0x0
	s_barrier_signal -1
	s_barrier_wait -1
	global_inv scope:SCOPE_SE
	s_and_saveexec_b32 s15, s4
	s_cbranch_execz .LBB813_1046
; %bb.1045:                             ;   in Loop: Header=BB813_974 Depth=2
	ds_load_b32 v216, v105 offset:1024
	s_wait_dscnt 0x0
	v_mov_b32_dpp v217, v216 row_shr:1 row_mask:0xf bank_mask:0xf
	s_delay_alu instid0(VALU_DEP_1) | instskip(NEXT) | instid1(VALU_DEP_1)
	v_cndmask_b32_e64 v217, v217, 0, s12
	v_add_nc_u32_e32 v216, v217, v216
	s_delay_alu instid0(VALU_DEP_1) | instskip(NEXT) | instid1(VALU_DEP_1)
	v_mov_b32_dpp v217, v216 row_shr:2 row_mask:0xf bank_mask:0xf
	v_cndmask_b32_e64 v217, 0, v217, s13
	s_delay_alu instid0(VALU_DEP_1) | instskip(NEXT) | instid1(VALU_DEP_1)
	v_add_nc_u32_e32 v216, v216, v217
	v_mov_b32_dpp v217, v216 row_shr:4 row_mask:0xf bank_mask:0xf
	s_delay_alu instid0(VALU_DEP_1) | instskip(NEXT) | instid1(VALU_DEP_1)
	v_cndmask_b32_e64 v217, 0, v217, s14
	v_add_nc_u32_e32 v216, v216, v217
	ds_store_b32 v105, v216 offset:1024
.LBB813_1046:                           ;   in Loop: Header=BB813_974 Depth=2
	s_wait_alu 0xfffe
	s_or_b32 exec_lo, exec_lo, s15
	v_mov_b32_e32 v216, 0
	s_wait_loadcnt_dscnt 0x0
	s_barrier_signal -1
	s_barrier_wait -1
	global_inv scope:SCOPE_SE
	s_and_saveexec_b32 s15, s5
; %bb.1047:                             ;   in Loop: Header=BB813_974 Depth=2
	ds_load_b32 v216, v97 offset:1020
; %bb.1048:                             ;   in Loop: Header=BB813_974 Depth=2
	s_wait_alu 0xfffe
	s_or_b32 exec_lo, exec_lo, s15
	s_wait_dscnt 0x0
	v_add_nc_u32_e32 v215, v216, v215
	ds_bpermute_b32 v215, v126, v215
	s_wait_dscnt 0x0
	v_cndmask_b32_e64 v215, v215, v216, s11
	s_delay_alu instid0(VALU_DEP_1) | instskip(NEXT) | instid1(VALU_DEP_1)
	v_cndmask_b32_e64 v215, v215, 0, s6
	v_add_nc_u32_e32 v76, v215, v76
	s_delay_alu instid0(VALU_DEP_1) | instskip(NEXT) | instid1(VALU_DEP_1)
	v_add_nc_u32_e32 v77, v76, v77
	v_add_nc_u32_e32 v74, v77, v74
	s_delay_alu instid0(VALU_DEP_1) | instskip(NEXT) | instid1(VALU_DEP_1)
	v_add_nc_u32_e32 v75, v74, v75
	;; [unrolled: 3-line block ×3, first 2 shown]
	v_add_nc_u32_e32 v70, v73, v70
	s_delay_alu instid0(VALU_DEP_1)
	v_add_nc_u32_e32 v71, v70, v71
	ds_store_2addr_b32 v165, v73, v70 offset1:1
	ds_store_2addr_b32 v166, v215, v76 offset1:1
	;; [unrolled: 1-line block ×4, first 2 shown]
	ds_store_b32 v102, v71 offset:1088
	s_wait_loadcnt_dscnt 0x0
	s_barrier_signal -1
	s_barrier_wait -1
	global_inv scope:SCOPE_SE
	ds_load_b32 v71, v169 offset:1056
	ds_load_b32 v216, v172 offset:1056
	ds_load_b32 v215, v175 offset:1056
	ds_load_b32 v74, v178 offset:1056
	ds_load_b32 v73, v181 offset:1056
	ds_load_b32 v72, v184 offset:1056
	ds_load_b32 v175, v187 offset:1056
	ds_load_b32 v172, v190 offset:1056
	ds_load_b32 v169, v193 offset:1056
	ds_load_b32 v168, v196 offset:1056
	ds_load_b32 v167, v199 offset:1056
	ds_load_b32 v166, v202 offset:1056
	ds_load_b32 v165, v206 offset:1056
	ds_load_b32 v77, v209 offset:1056
	ds_load_b32 v76, v213 offset:1056
	ds_load_b32 v75, v214 offset:1056
	ds_load_b32 v178, v102 offset:1056
	v_mov_b32_e32 v70, 0x1000
	s_and_saveexec_b32 s15, s7
; %bb.1049:                             ;   in Loop: Header=BB813_974 Depth=2
	ds_load_b32 v70, v102 offset:1092
; %bb.1050:                             ;   in Loop: Header=BB813_974 Depth=2
	s_wait_alu 0xfffe
	s_or_b32 exec_lo, exec_lo, s15
	s_wait_loadcnt_dscnt 0x0
	s_barrier_signal -1
	s_barrier_wait -1
	global_inv scope:SCOPE_SE
	s_and_saveexec_b32 s15, s2
	s_cbranch_execz .LBB813_1052
; %bb.1051:                             ;   in Loop: Header=BB813_974 Depth=2
	ds_load_b32 v181, v78
	s_wait_dscnt 0x0
	v_sub_nc_u32_e32 v178, v181, v178
	ds_store_b32 v78, v178
.LBB813_1052:                           ;   in Loop: Header=BB813_974 Depth=2
	s_wait_alu 0xfffe
	s_or_b32 exec_lo, exec_lo, s15
	v_lshlrev_b32_e32 v2, 3, v2
	v_lshlrev_b32_e32 v171, 3, v171
	;; [unrolled: 1-line block ×5, first 2 shown]
	v_lshl_add_u32 v71, v71, 3, v2
	v_lshlrev_b32_e32 v2, 3, v173
	v_lshlrev_b32_e32 v173, 3, v215
	;; [unrolled: 1-line block ×11, first 2 shown]
	ds_store_b64 v71, v[40:41] offset:1024
	v_add3_u32 v40, v171, v170, v178
	v_add3_u32 v41, v174, v2, v173
	;; [unrolled: 1-line block ×5, first 2 shown]
	ds_store_b64 v40, v[38:39] offset:1024
	ds_store_b64 v41, v[42:43] offset:1024
	;; [unrolled: 1-line block ×5, first 2 shown]
	v_lshlrev_b32_e32 v2, 3, v186
	v_lshlrev_b32_e32 v38, 3, v185
	;; [unrolled: 1-line block ×15, first 2 shown]
	v_add3_u32 v42, v2, v38, v39
	v_add3_u32 v43, v43, v44, v45
	;; [unrolled: 1-line block ×5, first 2 shown]
	ds_store_b64 v42, v[48:49] offset:1024
	ds_store_b64 v43, v[52:53] offset:1024
	;; [unrolled: 1-line block ×5, first 2 shown]
	v_lshlrev_b32_e32 v2, 3, v201
	v_lshlrev_b32_e32 v38, 3, v200
	;; [unrolled: 1-line block ×15, first 2 shown]
	v_add3_u32 v47, v2, v38, v39
	v_add3_u32 v48, v48, v49, v50
	;; [unrolled: 1-line block ×5, first 2 shown]
	v_cmp_lt_u32_e32 vcc_lo, v1, v164
	ds_store_b64 v47, v[58:59] offset:1024
	ds_store_b64 v48, v[62:63] offset:1024
	;; [unrolled: 1-line block ×5, first 2 shown]
	s_wait_loadcnt_dscnt 0x0
	s_barrier_signal -1
	s_barrier_wait -1
	global_inv scope:SCOPE_SE
	s_and_saveexec_b32 s16, vcc_lo
	s_cbranch_execnz .LBB813_1121
; %bb.1053:                             ;   in Loop: Header=BB813_974 Depth=2
	s_wait_alu 0xfffe
	s_or_b32 exec_lo, exec_lo, s16
	v_cmp_lt_u32_e64 s15, v79, v164
	s_and_saveexec_b32 s17, s15
	s_cbranch_execnz .LBB813_1122
.LBB813_1054:                           ;   in Loop: Header=BB813_974 Depth=2
	s_wait_alu 0xfffe
	s_or_b32 exec_lo, exec_lo, s17
	v_cmp_lt_u32_e64 s16, v80, v164
	s_and_saveexec_b32 s18, s16
	s_cbranch_execnz .LBB813_1123
.LBB813_1055:                           ;   in Loop: Header=BB813_974 Depth=2
	s_wait_alu 0xfffe
	s_or_b32 exec_lo, exec_lo, s18
	v_cmp_lt_u32_e64 s17, v81, v164
	s_and_saveexec_b32 s19, s17
	s_cbranch_execnz .LBB813_1124
.LBB813_1056:                           ;   in Loop: Header=BB813_974 Depth=2
	s_wait_alu 0xfffe
	s_or_b32 exec_lo, exec_lo, s19
	v_cmp_lt_u32_e64 s18, v84, v164
	s_and_saveexec_b32 s20, s18
	s_cbranch_execnz .LBB813_1125
.LBB813_1057:                           ;   in Loop: Header=BB813_974 Depth=2
	s_wait_alu 0xfffe
	s_or_b32 exec_lo, exec_lo, s20
	v_cmp_lt_u32_e64 s19, v85, v164
	s_and_saveexec_b32 s21, s19
	s_cbranch_execnz .LBB813_1126
.LBB813_1058:                           ;   in Loop: Header=BB813_974 Depth=2
	s_wait_alu 0xfffe
	s_or_b32 exec_lo, exec_lo, s21
	v_cmp_lt_u32_e64 s20, v86, v164
	s_and_saveexec_b32 s22, s20
	s_cbranch_execnz .LBB813_1127
.LBB813_1059:                           ;   in Loop: Header=BB813_974 Depth=2
	s_wait_alu 0xfffe
	s_or_b32 exec_lo, exec_lo, s22
	v_cmp_lt_u32_e64 s21, v87, v164
	s_and_saveexec_b32 s23, s21
	s_cbranch_execnz .LBB813_1128
.LBB813_1060:                           ;   in Loop: Header=BB813_974 Depth=2
	s_wait_alu 0xfffe
	s_or_b32 exec_lo, exec_lo, s23
	v_cmp_lt_u32_e64 s22, v88, v164
	s_and_saveexec_b32 s24, s22
	s_cbranch_execnz .LBB813_1129
.LBB813_1061:                           ;   in Loop: Header=BB813_974 Depth=2
	s_wait_alu 0xfffe
	s_or_b32 exec_lo, exec_lo, s24
	v_cmp_lt_u32_e64 s23, v89, v164
	s_and_saveexec_b32 s25, s23
	s_cbranch_execnz .LBB813_1130
.LBB813_1062:                           ;   in Loop: Header=BB813_974 Depth=2
	s_wait_alu 0xfffe
	s_or_b32 exec_lo, exec_lo, s25
	v_cmp_lt_u32_e64 s24, v90, v164
	s_and_saveexec_b32 s26, s24
	s_cbranch_execnz .LBB813_1131
.LBB813_1063:                           ;   in Loop: Header=BB813_974 Depth=2
	s_wait_alu 0xfffe
	s_or_b32 exec_lo, exec_lo, s26
	v_cmp_lt_u32_e64 s25, v91, v164
	s_and_saveexec_b32 s27, s25
	s_cbranch_execnz .LBB813_1132
.LBB813_1064:                           ;   in Loop: Header=BB813_974 Depth=2
	s_wait_alu 0xfffe
	s_or_b32 exec_lo, exec_lo, s27
	v_cmp_lt_u32_e64 s26, v92, v164
	s_and_saveexec_b32 s28, s26
	s_cbranch_execnz .LBB813_1133
.LBB813_1065:                           ;   in Loop: Header=BB813_974 Depth=2
	s_wait_alu 0xfffe
	s_or_b32 exec_lo, exec_lo, s28
	v_cmp_lt_u32_e64 s27, v93, v164
	s_and_saveexec_b32 s29, s27
	s_cbranch_execnz .LBB813_1134
.LBB813_1066:                           ;   in Loop: Header=BB813_974 Depth=2
	s_wait_alu 0xfffe
	s_or_b32 exec_lo, exec_lo, s29
	v_cmp_lt_u32_e64 s28, v94, v164
	s_and_saveexec_b32 s30, s28
	s_cbranch_execnz .LBB813_1135
.LBB813_1067:                           ;   in Loop: Header=BB813_974 Depth=2
	s_wait_alu 0xfffe
	s_or_b32 exec_lo, exec_lo, s30
	v_cmp_lt_u32_e64 s29, v95, v164
	s_and_saveexec_b32 s57, s29
	s_cbranch_execz .LBB813_1069
.LBB813_1068:                           ;   in Loop: Header=BB813_974 Depth=2
	ds_load_b64 v[38:39], v110 offset:31744
	s_wait_dscnt 0x0
	v_lshrrev_b64 v[52:53], s31, v[38:39]
	v_xor_b32_e32 v39, 0x80000000, v39
	s_delay_alu instid0(VALU_DEP_2) | instskip(NEXT) | instid1(VALU_DEP_1)
	v_and_b32_e32 v2, s54, v52
	v_lshlrev_b32_e32 v2, 2, v2
	ds_load_b32 v2, v2
	s_wait_dscnt 0x0
	v_add_nc_u32_e32 v2, v2, v95
	s_delay_alu instid0(VALU_DEP_1) | instskip(NEXT) | instid1(VALU_DEP_1)
	v_lshlrev_b64_e32 v[52:53], 3, v[2:3]
	v_add_co_u32 v52, s30, s40, v52
	s_wait_alu 0xf1ff
	s_delay_alu instid0(VALU_DEP_2)
	v_add_co_ci_u32_e64 v53, null, s41, v53, s30
	global_store_b64 v[52:53], v[38:39], off
.LBB813_1069:                           ;   in Loop: Header=BB813_974 Depth=2
	s_wait_alu 0xfffe
	s_or_b32 exec_lo, exec_lo, s57
	s_lshl_b64 s[58:59], s[34:35], 3
	s_wait_alu 0xfffe
	v_add_co_u32 v38, s30, v128, s58
	s_wait_alu 0xf1ff
	v_add_co_ci_u32_e64 v39, null, s59, v129, s30
	v_cmp_lt_u32_e64 s30, v127, v164
	s_and_saveexec_b32 s34, s30
	s_wait_alu 0xfffe
	s_xor_b32 s30, exec_lo, s34
	s_cbranch_execnz .LBB813_1136
; %bb.1070:                             ;   in Loop: Header=BB813_974 Depth=2
	s_wait_alu 0xfffe
	s_or_b32 exec_lo, exec_lo, s30
	s_delay_alu instid0(SALU_CYCLE_1)
	s_mov_b32 s34, exec_lo
	v_cmpx_lt_u32_e64 v130, v164
	s_cbranch_execnz .LBB813_1137
.LBB813_1071:                           ;   in Loop: Header=BB813_974 Depth=2
	s_wait_alu 0xfffe
	s_or_b32 exec_lo, exec_lo, s34
	s_delay_alu instid0(SALU_CYCLE_1)
	s_mov_b32 s34, exec_lo
	v_cmpx_lt_u32_e64 v131, v164
	s_cbranch_execnz .LBB813_1138
.LBB813_1072:                           ;   in Loop: Header=BB813_974 Depth=2
	s_wait_alu 0xfffe
	s_or_b32 exec_lo, exec_lo, s34
	s_delay_alu instid0(SALU_CYCLE_1)
	s_mov_b32 s34, exec_lo
	v_cmpx_lt_u32_e64 v132, v164
	s_cbranch_execnz .LBB813_1139
.LBB813_1073:                           ;   in Loop: Header=BB813_974 Depth=2
	s_wait_alu 0xfffe
	s_or_b32 exec_lo, exec_lo, s34
	s_delay_alu instid0(SALU_CYCLE_1)
	s_mov_b32 s34, exec_lo
	v_cmpx_lt_u32_e64 v133, v164
	s_cbranch_execnz .LBB813_1140
.LBB813_1074:                           ;   in Loop: Header=BB813_974 Depth=2
	s_wait_alu 0xfffe
	s_or_b32 exec_lo, exec_lo, s34
	s_delay_alu instid0(SALU_CYCLE_1)
	s_mov_b32 s34, exec_lo
	v_cmpx_lt_u32_e64 v134, v164
	s_cbranch_execnz .LBB813_1141
.LBB813_1075:                           ;   in Loop: Header=BB813_974 Depth=2
	s_wait_alu 0xfffe
	s_or_b32 exec_lo, exec_lo, s34
	s_delay_alu instid0(SALU_CYCLE_1)
	s_mov_b32 s34, exec_lo
	v_cmpx_lt_u32_e64 v135, v164
	s_cbranch_execnz .LBB813_1142
.LBB813_1076:                           ;   in Loop: Header=BB813_974 Depth=2
	s_wait_alu 0xfffe
	s_or_b32 exec_lo, exec_lo, s34
	s_delay_alu instid0(SALU_CYCLE_1)
	s_mov_b32 s34, exec_lo
	v_cmpx_lt_u32_e64 v136, v164
	s_cbranch_execnz .LBB813_1143
.LBB813_1077:                           ;   in Loop: Header=BB813_974 Depth=2
	s_wait_alu 0xfffe
	s_or_b32 exec_lo, exec_lo, s34
	s_delay_alu instid0(SALU_CYCLE_1)
	s_mov_b32 s34, exec_lo
	v_cmpx_lt_u32_e64 v137, v164
	s_cbranch_execnz .LBB813_1144
.LBB813_1078:                           ;   in Loop: Header=BB813_974 Depth=2
	s_wait_alu 0xfffe
	s_or_b32 exec_lo, exec_lo, s34
	s_delay_alu instid0(SALU_CYCLE_1)
	s_mov_b32 s34, exec_lo
	v_cmpx_lt_u32_e64 v138, v164
	s_cbranch_execnz .LBB813_1145
.LBB813_1079:                           ;   in Loop: Header=BB813_974 Depth=2
	s_wait_alu 0xfffe
	s_or_b32 exec_lo, exec_lo, s34
	s_delay_alu instid0(SALU_CYCLE_1)
	s_mov_b32 s34, exec_lo
	v_cmpx_lt_u32_e64 v139, v164
	s_cbranch_execnz .LBB813_1146
.LBB813_1080:                           ;   in Loop: Header=BB813_974 Depth=2
	s_wait_alu 0xfffe
	s_or_b32 exec_lo, exec_lo, s34
	s_delay_alu instid0(SALU_CYCLE_1)
	s_mov_b32 s34, exec_lo
	v_cmpx_lt_u32_e64 v140, v164
	s_cbranch_execnz .LBB813_1147
.LBB813_1081:                           ;   in Loop: Header=BB813_974 Depth=2
	s_wait_alu 0xfffe
	s_or_b32 exec_lo, exec_lo, s34
	s_delay_alu instid0(SALU_CYCLE_1)
	s_mov_b32 s34, exec_lo
	v_cmpx_lt_u32_e64 v141, v164
	s_cbranch_execnz .LBB813_1148
.LBB813_1082:                           ;   in Loop: Header=BB813_974 Depth=2
	s_wait_alu 0xfffe
	s_or_b32 exec_lo, exec_lo, s34
	s_delay_alu instid0(SALU_CYCLE_1)
	s_mov_b32 s34, exec_lo
	v_cmpx_lt_u32_e64 v142, v164
	s_cbranch_execnz .LBB813_1149
.LBB813_1083:                           ;   in Loop: Header=BB813_974 Depth=2
	s_wait_alu 0xfffe
	s_or_b32 exec_lo, exec_lo, s34
	s_delay_alu instid0(SALU_CYCLE_1)
	s_mov_b32 s34, exec_lo
	v_cmpx_lt_u32_e64 v143, v164
	s_cbranch_execnz .LBB813_1150
.LBB813_1084:                           ;   in Loop: Header=BB813_974 Depth=2
	s_wait_alu 0xfffe
	s_or_b32 exec_lo, exec_lo, s34
	s_delay_alu instid0(SALU_CYCLE_1)
	s_mov_b32 s34, exec_lo
	v_cmpx_lt_u32_e64 v144, v164
	s_cbranch_execnz .LBB813_1151
.LBB813_1085:                           ;   in Loop: Header=BB813_974 Depth=2
	s_wait_alu 0xfffe
	s_or_b32 exec_lo, exec_lo, s34
	s_and_saveexec_b32 s30, vcc_lo
	s_cbranch_execnz .LBB813_1152
.LBB813_1086:                           ;   in Loop: Header=BB813_974 Depth=2
	s_wait_alu 0xfffe
	s_or_b32 exec_lo, exec_lo, s30
	s_and_saveexec_b32 s30, s15
	s_cbranch_execnz .LBB813_1153
.LBB813_1087:                           ;   in Loop: Header=BB813_974 Depth=2
	s_wait_alu 0xfffe
	s_or_b32 exec_lo, exec_lo, s30
	s_and_saveexec_b32 s30, s16
	s_cbranch_execnz .LBB813_1154
.LBB813_1088:                           ;   in Loop: Header=BB813_974 Depth=2
	s_wait_alu 0xfffe
	s_or_b32 exec_lo, exec_lo, s30
	s_and_saveexec_b32 s30, s17
	s_cbranch_execnz .LBB813_1155
.LBB813_1089:                           ;   in Loop: Header=BB813_974 Depth=2
	s_wait_alu 0xfffe
	s_or_b32 exec_lo, exec_lo, s30
	s_and_saveexec_b32 s30, s18
	s_cbranch_execnz .LBB813_1156
.LBB813_1090:                           ;   in Loop: Header=BB813_974 Depth=2
	s_wait_alu 0xfffe
	s_or_b32 exec_lo, exec_lo, s30
	s_and_saveexec_b32 s30, s19
	s_cbranch_execnz .LBB813_1157
.LBB813_1091:                           ;   in Loop: Header=BB813_974 Depth=2
	s_wait_alu 0xfffe
	s_or_b32 exec_lo, exec_lo, s30
	s_and_saveexec_b32 s30, s20
	s_cbranch_execnz .LBB813_1158
.LBB813_1092:                           ;   in Loop: Header=BB813_974 Depth=2
	s_wait_alu 0xfffe
	s_or_b32 exec_lo, exec_lo, s30
	s_and_saveexec_b32 s30, s21
	s_cbranch_execnz .LBB813_1159
.LBB813_1093:                           ;   in Loop: Header=BB813_974 Depth=2
	s_wait_alu 0xfffe
	s_or_b32 exec_lo, exec_lo, s30
	s_and_saveexec_b32 s30, s22
	s_cbranch_execnz .LBB813_1160
.LBB813_1094:                           ;   in Loop: Header=BB813_974 Depth=2
	s_wait_alu 0xfffe
	s_or_b32 exec_lo, exec_lo, s30
	s_and_saveexec_b32 s30, s23
	s_cbranch_execnz .LBB813_1161
.LBB813_1095:                           ;   in Loop: Header=BB813_974 Depth=2
	s_wait_alu 0xfffe
	s_or_b32 exec_lo, exec_lo, s30
	s_and_saveexec_b32 s30, s24
	s_cbranch_execnz .LBB813_1162
.LBB813_1096:                           ;   in Loop: Header=BB813_974 Depth=2
	s_wait_alu 0xfffe
	s_or_b32 exec_lo, exec_lo, s30
	s_and_saveexec_b32 s30, s25
	s_cbranch_execnz .LBB813_1163
.LBB813_1097:                           ;   in Loop: Header=BB813_974 Depth=2
	s_wait_alu 0xfffe
	s_or_b32 exec_lo, exec_lo, s30
	s_and_saveexec_b32 s30, s26
	s_cbranch_execnz .LBB813_1164
.LBB813_1098:                           ;   in Loop: Header=BB813_974 Depth=2
	s_wait_alu 0xfffe
	s_or_b32 exec_lo, exec_lo, s30
	s_and_saveexec_b32 s30, s27
	s_cbranch_execnz .LBB813_1165
.LBB813_1099:                           ;   in Loop: Header=BB813_974 Depth=2
	s_wait_alu 0xfffe
	s_or_b32 exec_lo, exec_lo, s30
	s_and_saveexec_b32 s30, s28
	s_cbranch_execnz .LBB813_1166
.LBB813_1100:                           ;   in Loop: Header=BB813_974 Depth=2
	s_wait_alu 0xfffe
	s_or_b32 exec_lo, exec_lo, s30
	s_and_saveexec_b32 s30, s29
	s_cbranch_execz .LBB813_1102
.LBB813_1101:                           ;   in Loop: Header=BB813_974 Depth=2
	ds_load_b64 v[38:39], v110 offset:31744
	s_wait_dscnt 0x0
	v_lshrrev_b64 v[38:39], s31, v[38:39]
	s_delay_alu instid0(VALU_DEP_1)
	v_and_b32_e32 v148, s54, v38
.LBB813_1102:                           ;   in Loop: Header=BB813_974 Depth=2
	s_wait_alu 0xfffe
	s_or_b32 exec_lo, exec_lo, s30
	s_wait_loadcnt 0x0
	s_wait_storecnt 0x0
	s_barrier_signal -1
	s_barrier_wait -1
	global_inv scope:SCOPE_SE
	ds_store_b64 v71, v[36:37] offset:1024
	ds_store_b64 v40, v[34:35] offset:1024
	;; [unrolled: 1-line block ×16, first 2 shown]
	s_wait_loadcnt_dscnt 0x0
	s_barrier_signal -1
	s_barrier_wait -1
	global_inv scope:SCOPE_SE
	s_and_saveexec_b32 s30, vcc_lo
	s_cbranch_execnz .LBB813_1167
; %bb.1103:                             ;   in Loop: Header=BB813_974 Depth=2
	s_wait_alu 0xfffe
	s_or_b32 exec_lo, exec_lo, s30
	s_and_saveexec_b32 s30, s15
	s_cbranch_execnz .LBB813_1168
.LBB813_1104:                           ;   in Loop: Header=BB813_974 Depth=2
	s_wait_alu 0xfffe
	s_or_b32 exec_lo, exec_lo, s30
	s_and_saveexec_b32 s15, s16
	s_cbranch_execnz .LBB813_1169
.LBB813_1105:                           ;   in Loop: Header=BB813_974 Depth=2
	s_wait_alu 0xfffe
	s_or_b32 exec_lo, exec_lo, s15
	s_and_saveexec_b32 s15, s17
	s_cbranch_execnz .LBB813_1170
.LBB813_1106:                           ;   in Loop: Header=BB813_974 Depth=2
	s_wait_alu 0xfffe
	s_or_b32 exec_lo, exec_lo, s15
	s_and_saveexec_b32 s15, s18
	s_cbranch_execnz .LBB813_1171
.LBB813_1107:                           ;   in Loop: Header=BB813_974 Depth=2
	s_wait_alu 0xfffe
	s_or_b32 exec_lo, exec_lo, s15
	s_and_saveexec_b32 s15, s19
	s_cbranch_execnz .LBB813_1172
.LBB813_1108:                           ;   in Loop: Header=BB813_974 Depth=2
	s_wait_alu 0xfffe
	s_or_b32 exec_lo, exec_lo, s15
	s_and_saveexec_b32 s15, s20
	s_cbranch_execnz .LBB813_1173
.LBB813_1109:                           ;   in Loop: Header=BB813_974 Depth=2
	s_wait_alu 0xfffe
	s_or_b32 exec_lo, exec_lo, s15
	s_and_saveexec_b32 s15, s21
	s_cbranch_execnz .LBB813_1174
.LBB813_1110:                           ;   in Loop: Header=BB813_974 Depth=2
	s_wait_alu 0xfffe
	s_or_b32 exec_lo, exec_lo, s15
	s_and_saveexec_b32 s15, s22
	s_cbranch_execnz .LBB813_1175
.LBB813_1111:                           ;   in Loop: Header=BB813_974 Depth=2
	s_wait_alu 0xfffe
	s_or_b32 exec_lo, exec_lo, s15
	s_and_saveexec_b32 s15, s23
	s_cbranch_execnz .LBB813_1176
.LBB813_1112:                           ;   in Loop: Header=BB813_974 Depth=2
	s_wait_alu 0xfffe
	s_or_b32 exec_lo, exec_lo, s15
	s_and_saveexec_b32 s15, s24
	s_cbranch_execnz .LBB813_1177
.LBB813_1113:                           ;   in Loop: Header=BB813_974 Depth=2
	s_wait_alu 0xfffe
	s_or_b32 exec_lo, exec_lo, s15
	s_and_saveexec_b32 s15, s25
	s_cbranch_execnz .LBB813_1178
.LBB813_1114:                           ;   in Loop: Header=BB813_974 Depth=2
	s_wait_alu 0xfffe
	s_or_b32 exec_lo, exec_lo, s15
	s_and_saveexec_b32 s15, s26
	s_cbranch_execnz .LBB813_1179
.LBB813_1115:                           ;   in Loop: Header=BB813_974 Depth=2
	s_wait_alu 0xfffe
	s_or_b32 exec_lo, exec_lo, s15
	s_and_saveexec_b32 s15, s27
	s_cbranch_execnz .LBB813_1180
.LBB813_1116:                           ;   in Loop: Header=BB813_974 Depth=2
	s_wait_alu 0xfffe
	s_or_b32 exec_lo, exec_lo, s15
	s_and_saveexec_b32 s15, s28
	s_cbranch_execnz .LBB813_1181
.LBB813_1117:                           ;   in Loop: Header=BB813_974 Depth=2
	s_wait_alu 0xfffe
	s_or_b32 exec_lo, exec_lo, s15
	s_and_saveexec_b32 s15, s29
	s_cbranch_execz .LBB813_1119
.LBB813_1118:                           ;   in Loop: Header=BB813_974 Depth=2
	v_lshlrev_b32_e32 v2, 2, v148
	ds_load_b32 v2, v2
	ds_load_b64 v[38:39], v110 offset:31744
	s_wait_dscnt 0x1
	v_add_nc_u32_e32 v2, v2, v95
	s_delay_alu instid0(VALU_DEP_1) | instskip(NEXT) | instid1(VALU_DEP_1)
	v_lshlrev_b64_e32 v[40:41], 3, v[2:3]
	v_add_co_u32 v40, vcc_lo, s46, v40
	s_wait_alu 0xfffd
	s_delay_alu instid0(VALU_DEP_2)
	v_add_co_ci_u32_e64 v41, null, s47, v41, vcc_lo
	s_wait_dscnt 0x0
	global_store_b64 v[40:41], v[38:39], off
.LBB813_1119:                           ;   in Loop: Header=BB813_974 Depth=2
	s_wait_alu 0xfffe
	s_or_b32 exec_lo, exec_lo, s15
	s_wait_loadcnt 0x0
	s_wait_storecnt 0x0
	s_barrier_signal -1
	s_barrier_wait -1
	global_inv scope:SCOPE_SE
	s_and_saveexec_b32 s15, s2
	s_cbranch_execz .LBB813_973
; %bb.1120:                             ;   in Loop: Header=BB813_974 Depth=2
	ds_load_b32 v2, v78
	s_wait_dscnt 0x0
	v_add_nc_u32_e32 v2, v2, v70
	ds_store_b32 v78, v2
	s_branch .LBB813_973
.LBB813_1121:                           ;   in Loop: Header=BB813_974 Depth=2
	ds_load_b64 v[38:39], v110 offset:1024
	s_wait_dscnt 0x0
	v_lshrrev_b64 v[52:53], s31, v[38:39]
	v_xor_b32_e32 v39, 0x80000000, v39
	s_delay_alu instid0(VALU_DEP_2) | instskip(NEXT) | instid1(VALU_DEP_1)
	v_and_b32_e32 v2, s54, v52
	v_lshlrev_b32_e32 v2, 2, v2
	ds_load_b32 v2, v2
	s_wait_dscnt 0x0
	v_add_nc_u32_e32 v2, v2, v1
	s_delay_alu instid0(VALU_DEP_1) | instskip(NEXT) | instid1(VALU_DEP_1)
	v_lshlrev_b64_e32 v[52:53], 3, v[2:3]
	v_add_co_u32 v52, s15, s40, v52
	s_wait_alu 0xf1ff
	s_delay_alu instid0(VALU_DEP_2)
	v_add_co_ci_u32_e64 v53, null, s41, v53, s15
	global_store_b64 v[52:53], v[38:39], off
	s_wait_alu 0xfffe
	s_or_b32 exec_lo, exec_lo, s16
	v_cmp_lt_u32_e64 s15, v79, v164
	s_and_saveexec_b32 s17, s15
	s_cbranch_execz .LBB813_1054
.LBB813_1122:                           ;   in Loop: Header=BB813_974 Depth=2
	ds_load_b64 v[38:39], v110 offset:3072
	s_wait_dscnt 0x0
	v_lshrrev_b64 v[52:53], s31, v[38:39]
	v_xor_b32_e32 v39, 0x80000000, v39
	s_delay_alu instid0(VALU_DEP_2) | instskip(NEXT) | instid1(VALU_DEP_1)
	v_and_b32_e32 v2, s54, v52
	v_lshlrev_b32_e32 v2, 2, v2
	ds_load_b32 v2, v2
	s_wait_dscnt 0x0
	v_add_nc_u32_e32 v2, v2, v79
	s_delay_alu instid0(VALU_DEP_1) | instskip(NEXT) | instid1(VALU_DEP_1)
	v_lshlrev_b64_e32 v[52:53], 3, v[2:3]
	v_add_co_u32 v52, s16, s40, v52
	s_wait_alu 0xf1ff
	s_delay_alu instid0(VALU_DEP_2)
	v_add_co_ci_u32_e64 v53, null, s41, v53, s16
	global_store_b64 v[52:53], v[38:39], off
	s_wait_alu 0xfffe
	s_or_b32 exec_lo, exec_lo, s17
	v_cmp_lt_u32_e64 s16, v80, v164
	s_and_saveexec_b32 s18, s16
	s_cbranch_execz .LBB813_1055
.LBB813_1123:                           ;   in Loop: Header=BB813_974 Depth=2
	ds_load_b64 v[38:39], v110 offset:5120
	s_wait_dscnt 0x0
	v_lshrrev_b64 v[52:53], s31, v[38:39]
	v_xor_b32_e32 v39, 0x80000000, v39
	s_delay_alu instid0(VALU_DEP_2) | instskip(NEXT) | instid1(VALU_DEP_1)
	v_and_b32_e32 v2, s54, v52
	v_lshlrev_b32_e32 v2, 2, v2
	ds_load_b32 v2, v2
	s_wait_dscnt 0x0
	v_add_nc_u32_e32 v2, v2, v80
	s_delay_alu instid0(VALU_DEP_1) | instskip(NEXT) | instid1(VALU_DEP_1)
	v_lshlrev_b64_e32 v[52:53], 3, v[2:3]
	v_add_co_u32 v52, s17, s40, v52
	s_wait_alu 0xf1ff
	s_delay_alu instid0(VALU_DEP_2)
	v_add_co_ci_u32_e64 v53, null, s41, v53, s17
	global_store_b64 v[52:53], v[38:39], off
	s_wait_alu 0xfffe
	s_or_b32 exec_lo, exec_lo, s18
	v_cmp_lt_u32_e64 s17, v81, v164
	s_and_saveexec_b32 s19, s17
	s_cbranch_execz .LBB813_1056
.LBB813_1124:                           ;   in Loop: Header=BB813_974 Depth=2
	ds_load_b64 v[38:39], v110 offset:7168
	s_wait_dscnt 0x0
	v_lshrrev_b64 v[52:53], s31, v[38:39]
	v_xor_b32_e32 v39, 0x80000000, v39
	s_delay_alu instid0(VALU_DEP_2) | instskip(NEXT) | instid1(VALU_DEP_1)
	v_and_b32_e32 v2, s54, v52
	v_lshlrev_b32_e32 v2, 2, v2
	ds_load_b32 v2, v2
	s_wait_dscnt 0x0
	v_add_nc_u32_e32 v2, v2, v81
	s_delay_alu instid0(VALU_DEP_1) | instskip(NEXT) | instid1(VALU_DEP_1)
	v_lshlrev_b64_e32 v[52:53], 3, v[2:3]
	v_add_co_u32 v52, s18, s40, v52
	s_wait_alu 0xf1ff
	s_delay_alu instid0(VALU_DEP_2)
	v_add_co_ci_u32_e64 v53, null, s41, v53, s18
	global_store_b64 v[52:53], v[38:39], off
	s_wait_alu 0xfffe
	s_or_b32 exec_lo, exec_lo, s19
	v_cmp_lt_u32_e64 s18, v84, v164
	s_and_saveexec_b32 s20, s18
	s_cbranch_execz .LBB813_1057
.LBB813_1125:                           ;   in Loop: Header=BB813_974 Depth=2
	ds_load_b64 v[38:39], v110 offset:9216
	s_wait_dscnt 0x0
	v_lshrrev_b64 v[52:53], s31, v[38:39]
	v_xor_b32_e32 v39, 0x80000000, v39
	s_delay_alu instid0(VALU_DEP_2) | instskip(NEXT) | instid1(VALU_DEP_1)
	v_and_b32_e32 v2, s54, v52
	v_lshlrev_b32_e32 v2, 2, v2
	ds_load_b32 v2, v2
	s_wait_dscnt 0x0
	v_add_nc_u32_e32 v2, v2, v84
	s_delay_alu instid0(VALU_DEP_1) | instskip(NEXT) | instid1(VALU_DEP_1)
	v_lshlrev_b64_e32 v[52:53], 3, v[2:3]
	v_add_co_u32 v52, s19, s40, v52
	s_wait_alu 0xf1ff
	s_delay_alu instid0(VALU_DEP_2)
	v_add_co_ci_u32_e64 v53, null, s41, v53, s19
	global_store_b64 v[52:53], v[38:39], off
	s_wait_alu 0xfffe
	s_or_b32 exec_lo, exec_lo, s20
	v_cmp_lt_u32_e64 s19, v85, v164
	s_and_saveexec_b32 s21, s19
	s_cbranch_execz .LBB813_1058
.LBB813_1126:                           ;   in Loop: Header=BB813_974 Depth=2
	ds_load_b64 v[38:39], v110 offset:11264
	s_wait_dscnt 0x0
	v_lshrrev_b64 v[52:53], s31, v[38:39]
	v_xor_b32_e32 v39, 0x80000000, v39
	s_delay_alu instid0(VALU_DEP_2) | instskip(NEXT) | instid1(VALU_DEP_1)
	v_and_b32_e32 v2, s54, v52
	v_lshlrev_b32_e32 v2, 2, v2
	ds_load_b32 v2, v2
	s_wait_dscnt 0x0
	v_add_nc_u32_e32 v2, v2, v85
	s_delay_alu instid0(VALU_DEP_1) | instskip(NEXT) | instid1(VALU_DEP_1)
	v_lshlrev_b64_e32 v[52:53], 3, v[2:3]
	v_add_co_u32 v52, s20, s40, v52
	s_wait_alu 0xf1ff
	s_delay_alu instid0(VALU_DEP_2)
	v_add_co_ci_u32_e64 v53, null, s41, v53, s20
	global_store_b64 v[52:53], v[38:39], off
	s_wait_alu 0xfffe
	s_or_b32 exec_lo, exec_lo, s21
	v_cmp_lt_u32_e64 s20, v86, v164
	s_and_saveexec_b32 s22, s20
	s_cbranch_execz .LBB813_1059
.LBB813_1127:                           ;   in Loop: Header=BB813_974 Depth=2
	ds_load_b64 v[38:39], v110 offset:13312
	s_wait_dscnt 0x0
	v_lshrrev_b64 v[52:53], s31, v[38:39]
	v_xor_b32_e32 v39, 0x80000000, v39
	s_delay_alu instid0(VALU_DEP_2) | instskip(NEXT) | instid1(VALU_DEP_1)
	v_and_b32_e32 v2, s54, v52
	v_lshlrev_b32_e32 v2, 2, v2
	ds_load_b32 v2, v2
	s_wait_dscnt 0x0
	v_add_nc_u32_e32 v2, v2, v86
	s_delay_alu instid0(VALU_DEP_1) | instskip(NEXT) | instid1(VALU_DEP_1)
	v_lshlrev_b64_e32 v[52:53], 3, v[2:3]
	v_add_co_u32 v52, s21, s40, v52
	s_wait_alu 0xf1ff
	s_delay_alu instid0(VALU_DEP_2)
	v_add_co_ci_u32_e64 v53, null, s41, v53, s21
	global_store_b64 v[52:53], v[38:39], off
	s_wait_alu 0xfffe
	s_or_b32 exec_lo, exec_lo, s22
	v_cmp_lt_u32_e64 s21, v87, v164
	s_and_saveexec_b32 s23, s21
	s_cbranch_execz .LBB813_1060
.LBB813_1128:                           ;   in Loop: Header=BB813_974 Depth=2
	ds_load_b64 v[38:39], v110 offset:15360
	s_wait_dscnt 0x0
	v_lshrrev_b64 v[52:53], s31, v[38:39]
	v_xor_b32_e32 v39, 0x80000000, v39
	s_delay_alu instid0(VALU_DEP_2) | instskip(NEXT) | instid1(VALU_DEP_1)
	v_and_b32_e32 v2, s54, v52
	v_lshlrev_b32_e32 v2, 2, v2
	ds_load_b32 v2, v2
	s_wait_dscnt 0x0
	v_add_nc_u32_e32 v2, v2, v87
	s_delay_alu instid0(VALU_DEP_1) | instskip(NEXT) | instid1(VALU_DEP_1)
	v_lshlrev_b64_e32 v[52:53], 3, v[2:3]
	v_add_co_u32 v52, s22, s40, v52
	s_wait_alu 0xf1ff
	s_delay_alu instid0(VALU_DEP_2)
	v_add_co_ci_u32_e64 v53, null, s41, v53, s22
	global_store_b64 v[52:53], v[38:39], off
	s_wait_alu 0xfffe
	s_or_b32 exec_lo, exec_lo, s23
	v_cmp_lt_u32_e64 s22, v88, v164
	s_and_saveexec_b32 s24, s22
	s_cbranch_execz .LBB813_1061
.LBB813_1129:                           ;   in Loop: Header=BB813_974 Depth=2
	ds_load_b64 v[38:39], v110 offset:17408
	s_wait_dscnt 0x0
	v_lshrrev_b64 v[52:53], s31, v[38:39]
	v_xor_b32_e32 v39, 0x80000000, v39
	s_delay_alu instid0(VALU_DEP_2) | instskip(NEXT) | instid1(VALU_DEP_1)
	v_and_b32_e32 v2, s54, v52
	v_lshlrev_b32_e32 v2, 2, v2
	ds_load_b32 v2, v2
	s_wait_dscnt 0x0
	v_add_nc_u32_e32 v2, v2, v88
	s_delay_alu instid0(VALU_DEP_1) | instskip(NEXT) | instid1(VALU_DEP_1)
	v_lshlrev_b64_e32 v[52:53], 3, v[2:3]
	v_add_co_u32 v52, s23, s40, v52
	s_wait_alu 0xf1ff
	s_delay_alu instid0(VALU_DEP_2)
	v_add_co_ci_u32_e64 v53, null, s41, v53, s23
	global_store_b64 v[52:53], v[38:39], off
	s_wait_alu 0xfffe
	s_or_b32 exec_lo, exec_lo, s24
	v_cmp_lt_u32_e64 s23, v89, v164
	s_and_saveexec_b32 s25, s23
	s_cbranch_execz .LBB813_1062
.LBB813_1130:                           ;   in Loop: Header=BB813_974 Depth=2
	ds_load_b64 v[38:39], v110 offset:19456
	s_wait_dscnt 0x0
	v_lshrrev_b64 v[52:53], s31, v[38:39]
	v_xor_b32_e32 v39, 0x80000000, v39
	s_delay_alu instid0(VALU_DEP_2) | instskip(NEXT) | instid1(VALU_DEP_1)
	v_and_b32_e32 v2, s54, v52
	v_lshlrev_b32_e32 v2, 2, v2
	ds_load_b32 v2, v2
	s_wait_dscnt 0x0
	v_add_nc_u32_e32 v2, v2, v89
	s_delay_alu instid0(VALU_DEP_1) | instskip(NEXT) | instid1(VALU_DEP_1)
	v_lshlrev_b64_e32 v[52:53], 3, v[2:3]
	v_add_co_u32 v52, s24, s40, v52
	s_wait_alu 0xf1ff
	s_delay_alu instid0(VALU_DEP_2)
	v_add_co_ci_u32_e64 v53, null, s41, v53, s24
	global_store_b64 v[52:53], v[38:39], off
	s_wait_alu 0xfffe
	s_or_b32 exec_lo, exec_lo, s25
	v_cmp_lt_u32_e64 s24, v90, v164
	s_and_saveexec_b32 s26, s24
	s_cbranch_execz .LBB813_1063
.LBB813_1131:                           ;   in Loop: Header=BB813_974 Depth=2
	ds_load_b64 v[38:39], v110 offset:21504
	s_wait_dscnt 0x0
	v_lshrrev_b64 v[52:53], s31, v[38:39]
	v_xor_b32_e32 v39, 0x80000000, v39
	s_delay_alu instid0(VALU_DEP_2) | instskip(NEXT) | instid1(VALU_DEP_1)
	v_and_b32_e32 v2, s54, v52
	v_lshlrev_b32_e32 v2, 2, v2
	ds_load_b32 v2, v2
	s_wait_dscnt 0x0
	v_add_nc_u32_e32 v2, v2, v90
	s_delay_alu instid0(VALU_DEP_1) | instskip(NEXT) | instid1(VALU_DEP_1)
	v_lshlrev_b64_e32 v[52:53], 3, v[2:3]
	v_add_co_u32 v52, s25, s40, v52
	s_wait_alu 0xf1ff
	s_delay_alu instid0(VALU_DEP_2)
	v_add_co_ci_u32_e64 v53, null, s41, v53, s25
	global_store_b64 v[52:53], v[38:39], off
	s_wait_alu 0xfffe
	s_or_b32 exec_lo, exec_lo, s26
	v_cmp_lt_u32_e64 s25, v91, v164
	s_and_saveexec_b32 s27, s25
	s_cbranch_execz .LBB813_1064
.LBB813_1132:                           ;   in Loop: Header=BB813_974 Depth=2
	ds_load_b64 v[38:39], v110 offset:23552
	s_wait_dscnt 0x0
	v_lshrrev_b64 v[52:53], s31, v[38:39]
	v_xor_b32_e32 v39, 0x80000000, v39
	s_delay_alu instid0(VALU_DEP_2) | instskip(NEXT) | instid1(VALU_DEP_1)
	v_and_b32_e32 v2, s54, v52
	v_lshlrev_b32_e32 v2, 2, v2
	ds_load_b32 v2, v2
	s_wait_dscnt 0x0
	v_add_nc_u32_e32 v2, v2, v91
	s_delay_alu instid0(VALU_DEP_1) | instskip(NEXT) | instid1(VALU_DEP_1)
	v_lshlrev_b64_e32 v[52:53], 3, v[2:3]
	v_add_co_u32 v52, s26, s40, v52
	s_wait_alu 0xf1ff
	s_delay_alu instid0(VALU_DEP_2)
	v_add_co_ci_u32_e64 v53, null, s41, v53, s26
	global_store_b64 v[52:53], v[38:39], off
	s_wait_alu 0xfffe
	s_or_b32 exec_lo, exec_lo, s27
	v_cmp_lt_u32_e64 s26, v92, v164
	s_and_saveexec_b32 s28, s26
	s_cbranch_execz .LBB813_1065
.LBB813_1133:                           ;   in Loop: Header=BB813_974 Depth=2
	ds_load_b64 v[38:39], v110 offset:25600
	s_wait_dscnt 0x0
	v_lshrrev_b64 v[52:53], s31, v[38:39]
	v_xor_b32_e32 v39, 0x80000000, v39
	s_delay_alu instid0(VALU_DEP_2) | instskip(NEXT) | instid1(VALU_DEP_1)
	v_and_b32_e32 v2, s54, v52
	v_lshlrev_b32_e32 v2, 2, v2
	ds_load_b32 v2, v2
	s_wait_dscnt 0x0
	v_add_nc_u32_e32 v2, v2, v92
	s_delay_alu instid0(VALU_DEP_1) | instskip(NEXT) | instid1(VALU_DEP_1)
	v_lshlrev_b64_e32 v[52:53], 3, v[2:3]
	v_add_co_u32 v52, s27, s40, v52
	s_wait_alu 0xf1ff
	s_delay_alu instid0(VALU_DEP_2)
	v_add_co_ci_u32_e64 v53, null, s41, v53, s27
	global_store_b64 v[52:53], v[38:39], off
	s_wait_alu 0xfffe
	s_or_b32 exec_lo, exec_lo, s28
	v_cmp_lt_u32_e64 s27, v93, v164
	s_and_saveexec_b32 s29, s27
	s_cbranch_execz .LBB813_1066
.LBB813_1134:                           ;   in Loop: Header=BB813_974 Depth=2
	ds_load_b64 v[38:39], v110 offset:27648
	s_wait_dscnt 0x0
	v_lshrrev_b64 v[52:53], s31, v[38:39]
	v_xor_b32_e32 v39, 0x80000000, v39
	s_delay_alu instid0(VALU_DEP_2) | instskip(NEXT) | instid1(VALU_DEP_1)
	v_and_b32_e32 v2, s54, v52
	v_lshlrev_b32_e32 v2, 2, v2
	ds_load_b32 v2, v2
	s_wait_dscnt 0x0
	v_add_nc_u32_e32 v2, v2, v93
	s_delay_alu instid0(VALU_DEP_1) | instskip(NEXT) | instid1(VALU_DEP_1)
	v_lshlrev_b64_e32 v[52:53], 3, v[2:3]
	v_add_co_u32 v52, s28, s40, v52
	s_wait_alu 0xf1ff
	s_delay_alu instid0(VALU_DEP_2)
	v_add_co_ci_u32_e64 v53, null, s41, v53, s28
	global_store_b64 v[52:53], v[38:39], off
	s_wait_alu 0xfffe
	s_or_b32 exec_lo, exec_lo, s29
	v_cmp_lt_u32_e64 s28, v94, v164
	s_and_saveexec_b32 s30, s28
	s_cbranch_execz .LBB813_1067
.LBB813_1135:                           ;   in Loop: Header=BB813_974 Depth=2
	ds_load_b64 v[38:39], v110 offset:29696
	s_wait_dscnt 0x0
	v_lshrrev_b64 v[52:53], s31, v[38:39]
	v_xor_b32_e32 v39, 0x80000000, v39
	s_delay_alu instid0(VALU_DEP_2) | instskip(NEXT) | instid1(VALU_DEP_1)
	v_and_b32_e32 v2, s54, v52
	v_lshlrev_b32_e32 v2, 2, v2
	ds_load_b32 v2, v2
	s_wait_dscnt 0x0
	v_add_nc_u32_e32 v2, v2, v94
	s_delay_alu instid0(VALU_DEP_1) | instskip(NEXT) | instid1(VALU_DEP_1)
	v_lshlrev_b64_e32 v[52:53], 3, v[2:3]
	v_add_co_u32 v52, s29, s40, v52
	s_wait_alu 0xf1ff
	s_delay_alu instid0(VALU_DEP_2)
	v_add_co_ci_u32_e64 v53, null, s41, v53, s29
	global_store_b64 v[52:53], v[38:39], off
	s_wait_alu 0xfffe
	s_or_b32 exec_lo, exec_lo, s30
	v_cmp_lt_u32_e64 s29, v95, v164
	s_and_saveexec_b32 s57, s29
	s_cbranch_execnz .LBB813_1068
	s_branch .LBB813_1069
.LBB813_1136:                           ;   in Loop: Header=BB813_974 Depth=2
	global_load_b64 v[36:37], v[38:39], off
	s_wait_alu 0xfffe
	s_or_b32 exec_lo, exec_lo, s30
	s_delay_alu instid0(SALU_CYCLE_1)
	s_mov_b32 s34, exec_lo
	v_cmpx_lt_u32_e64 v130, v164
	s_cbranch_execz .LBB813_1071
.LBB813_1137:                           ;   in Loop: Header=BB813_974 Depth=2
	global_load_b64 v[34:35], v[38:39], off offset:256
	s_wait_alu 0xfffe
	s_or_b32 exec_lo, exec_lo, s34
	s_delay_alu instid0(SALU_CYCLE_1)
	s_mov_b32 s34, exec_lo
	v_cmpx_lt_u32_e64 v131, v164
	s_cbranch_execz .LBB813_1072
.LBB813_1138:                           ;   in Loop: Header=BB813_974 Depth=2
	global_load_b64 v[32:33], v[38:39], off offset:512
	s_wait_alu 0xfffe
	s_or_b32 exec_lo, exec_lo, s34
	s_delay_alu instid0(SALU_CYCLE_1)
	s_mov_b32 s34, exec_lo
	v_cmpx_lt_u32_e64 v132, v164
	s_cbranch_execz .LBB813_1073
.LBB813_1139:                           ;   in Loop: Header=BB813_974 Depth=2
	global_load_b64 v[30:31], v[38:39], off offset:768
	s_wait_alu 0xfffe
	s_or_b32 exec_lo, exec_lo, s34
	s_delay_alu instid0(SALU_CYCLE_1)
	s_mov_b32 s34, exec_lo
	v_cmpx_lt_u32_e64 v133, v164
	s_cbranch_execz .LBB813_1074
.LBB813_1140:                           ;   in Loop: Header=BB813_974 Depth=2
	global_load_b64 v[28:29], v[38:39], off offset:1024
	s_wait_alu 0xfffe
	s_or_b32 exec_lo, exec_lo, s34
	s_delay_alu instid0(SALU_CYCLE_1)
	s_mov_b32 s34, exec_lo
	v_cmpx_lt_u32_e64 v134, v164
	s_cbranch_execz .LBB813_1075
.LBB813_1141:                           ;   in Loop: Header=BB813_974 Depth=2
	global_load_b64 v[26:27], v[38:39], off offset:1280
	s_wait_alu 0xfffe
	s_or_b32 exec_lo, exec_lo, s34
	s_delay_alu instid0(SALU_CYCLE_1)
	s_mov_b32 s34, exec_lo
	v_cmpx_lt_u32_e64 v135, v164
	s_cbranch_execz .LBB813_1076
.LBB813_1142:                           ;   in Loop: Header=BB813_974 Depth=2
	global_load_b64 v[24:25], v[38:39], off offset:1536
	s_wait_alu 0xfffe
	s_or_b32 exec_lo, exec_lo, s34
	s_delay_alu instid0(SALU_CYCLE_1)
	s_mov_b32 s34, exec_lo
	v_cmpx_lt_u32_e64 v136, v164
	s_cbranch_execz .LBB813_1077
.LBB813_1143:                           ;   in Loop: Header=BB813_974 Depth=2
	global_load_b64 v[22:23], v[38:39], off offset:1792
	s_wait_alu 0xfffe
	s_or_b32 exec_lo, exec_lo, s34
	s_delay_alu instid0(SALU_CYCLE_1)
	s_mov_b32 s34, exec_lo
	v_cmpx_lt_u32_e64 v137, v164
	s_cbranch_execz .LBB813_1078
.LBB813_1144:                           ;   in Loop: Header=BB813_974 Depth=2
	global_load_b64 v[20:21], v[38:39], off offset:2048
	s_wait_alu 0xfffe
	s_or_b32 exec_lo, exec_lo, s34
	s_delay_alu instid0(SALU_CYCLE_1)
	s_mov_b32 s34, exec_lo
	v_cmpx_lt_u32_e64 v138, v164
	s_cbranch_execz .LBB813_1079
.LBB813_1145:                           ;   in Loop: Header=BB813_974 Depth=2
	global_load_b64 v[18:19], v[38:39], off offset:2304
	s_wait_alu 0xfffe
	s_or_b32 exec_lo, exec_lo, s34
	s_delay_alu instid0(SALU_CYCLE_1)
	s_mov_b32 s34, exec_lo
	v_cmpx_lt_u32_e64 v139, v164
	s_cbranch_execz .LBB813_1080
.LBB813_1146:                           ;   in Loop: Header=BB813_974 Depth=2
	global_load_b64 v[16:17], v[38:39], off offset:2560
	s_wait_alu 0xfffe
	s_or_b32 exec_lo, exec_lo, s34
	s_delay_alu instid0(SALU_CYCLE_1)
	s_mov_b32 s34, exec_lo
	v_cmpx_lt_u32_e64 v140, v164
	s_cbranch_execz .LBB813_1081
.LBB813_1147:                           ;   in Loop: Header=BB813_974 Depth=2
	global_load_b64 v[14:15], v[38:39], off offset:2816
	s_wait_alu 0xfffe
	s_or_b32 exec_lo, exec_lo, s34
	s_delay_alu instid0(SALU_CYCLE_1)
	s_mov_b32 s34, exec_lo
	v_cmpx_lt_u32_e64 v141, v164
	s_cbranch_execz .LBB813_1082
.LBB813_1148:                           ;   in Loop: Header=BB813_974 Depth=2
	global_load_b64 v[12:13], v[38:39], off offset:3072
	s_wait_alu 0xfffe
	s_or_b32 exec_lo, exec_lo, s34
	s_delay_alu instid0(SALU_CYCLE_1)
	s_mov_b32 s34, exec_lo
	v_cmpx_lt_u32_e64 v142, v164
	s_cbranch_execz .LBB813_1083
.LBB813_1149:                           ;   in Loop: Header=BB813_974 Depth=2
	global_load_b64 v[10:11], v[38:39], off offset:3328
	s_wait_alu 0xfffe
	s_or_b32 exec_lo, exec_lo, s34
	s_delay_alu instid0(SALU_CYCLE_1)
	s_mov_b32 s34, exec_lo
	v_cmpx_lt_u32_e64 v143, v164
	s_cbranch_execz .LBB813_1084
.LBB813_1150:                           ;   in Loop: Header=BB813_974 Depth=2
	global_load_b64 v[8:9], v[38:39], off offset:3584
	s_wait_alu 0xfffe
	s_or_b32 exec_lo, exec_lo, s34
	s_delay_alu instid0(SALU_CYCLE_1)
	s_mov_b32 s34, exec_lo
	v_cmpx_lt_u32_e64 v144, v164
	s_cbranch_execz .LBB813_1085
.LBB813_1151:                           ;   in Loop: Header=BB813_974 Depth=2
	global_load_b64 v[6:7], v[38:39], off offset:3840
	s_wait_alu 0xfffe
	s_or_b32 exec_lo, exec_lo, s34
	s_and_saveexec_b32 s30, vcc_lo
	s_cbranch_execz .LBB813_1086
.LBB813_1152:                           ;   in Loop: Header=BB813_974 Depth=2
	ds_load_b64 v[38:39], v110 offset:1024
	s_wait_dscnt 0x0
	v_lshrrev_b64 v[38:39], s31, v[38:39]
	s_delay_alu instid0(VALU_DEP_1)
	v_and_b32_e32 v163, s54, v38
	s_wait_alu 0xfffe
	s_or_b32 exec_lo, exec_lo, s30
	s_and_saveexec_b32 s30, s15
	s_cbranch_execz .LBB813_1087
.LBB813_1153:                           ;   in Loop: Header=BB813_974 Depth=2
	ds_load_b64 v[38:39], v110 offset:3072
	s_wait_dscnt 0x0
	v_lshrrev_b64 v[38:39], s31, v[38:39]
	s_delay_alu instid0(VALU_DEP_1)
	v_and_b32_e32 v162, s54, v38
	s_wait_alu 0xfffe
	s_or_b32 exec_lo, exec_lo, s30
	s_and_saveexec_b32 s30, s16
	s_cbranch_execz .LBB813_1088
.LBB813_1154:                           ;   in Loop: Header=BB813_974 Depth=2
	ds_load_b64 v[38:39], v110 offset:5120
	s_wait_dscnt 0x0
	v_lshrrev_b64 v[38:39], s31, v[38:39]
	s_delay_alu instid0(VALU_DEP_1)
	v_and_b32_e32 v161, s54, v38
	s_wait_alu 0xfffe
	s_or_b32 exec_lo, exec_lo, s30
	s_and_saveexec_b32 s30, s17
	s_cbranch_execz .LBB813_1089
.LBB813_1155:                           ;   in Loop: Header=BB813_974 Depth=2
	ds_load_b64 v[38:39], v110 offset:7168
	s_wait_dscnt 0x0
	v_lshrrev_b64 v[38:39], s31, v[38:39]
	s_delay_alu instid0(VALU_DEP_1)
	v_and_b32_e32 v160, s54, v38
	s_wait_alu 0xfffe
	s_or_b32 exec_lo, exec_lo, s30
	s_and_saveexec_b32 s30, s18
	s_cbranch_execz .LBB813_1090
.LBB813_1156:                           ;   in Loop: Header=BB813_974 Depth=2
	ds_load_b64 v[38:39], v110 offset:9216
	s_wait_dscnt 0x0
	v_lshrrev_b64 v[38:39], s31, v[38:39]
	s_delay_alu instid0(VALU_DEP_1)
	v_and_b32_e32 v159, s54, v38
	s_wait_alu 0xfffe
	s_or_b32 exec_lo, exec_lo, s30
	s_and_saveexec_b32 s30, s19
	s_cbranch_execz .LBB813_1091
.LBB813_1157:                           ;   in Loop: Header=BB813_974 Depth=2
	ds_load_b64 v[38:39], v110 offset:11264
	s_wait_dscnt 0x0
	v_lshrrev_b64 v[38:39], s31, v[38:39]
	s_delay_alu instid0(VALU_DEP_1)
	v_and_b32_e32 v158, s54, v38
	s_wait_alu 0xfffe
	s_or_b32 exec_lo, exec_lo, s30
	s_and_saveexec_b32 s30, s20
	s_cbranch_execz .LBB813_1092
.LBB813_1158:                           ;   in Loop: Header=BB813_974 Depth=2
	ds_load_b64 v[38:39], v110 offset:13312
	s_wait_dscnt 0x0
	v_lshrrev_b64 v[38:39], s31, v[38:39]
	s_delay_alu instid0(VALU_DEP_1)
	v_and_b32_e32 v157, s54, v38
	s_wait_alu 0xfffe
	s_or_b32 exec_lo, exec_lo, s30
	s_and_saveexec_b32 s30, s21
	s_cbranch_execz .LBB813_1093
.LBB813_1159:                           ;   in Loop: Header=BB813_974 Depth=2
	ds_load_b64 v[38:39], v110 offset:15360
	s_wait_dscnt 0x0
	v_lshrrev_b64 v[38:39], s31, v[38:39]
	s_delay_alu instid0(VALU_DEP_1)
	v_and_b32_e32 v156, s54, v38
	s_wait_alu 0xfffe
	s_or_b32 exec_lo, exec_lo, s30
	s_and_saveexec_b32 s30, s22
	s_cbranch_execz .LBB813_1094
.LBB813_1160:                           ;   in Loop: Header=BB813_974 Depth=2
	ds_load_b64 v[38:39], v110 offset:17408
	s_wait_dscnt 0x0
	v_lshrrev_b64 v[38:39], s31, v[38:39]
	s_delay_alu instid0(VALU_DEP_1)
	v_and_b32_e32 v155, s54, v38
	s_wait_alu 0xfffe
	s_or_b32 exec_lo, exec_lo, s30
	s_and_saveexec_b32 s30, s23
	s_cbranch_execz .LBB813_1095
.LBB813_1161:                           ;   in Loop: Header=BB813_974 Depth=2
	ds_load_b64 v[38:39], v110 offset:19456
	s_wait_dscnt 0x0
	v_lshrrev_b64 v[38:39], s31, v[38:39]
	s_delay_alu instid0(VALU_DEP_1)
	v_and_b32_e32 v154, s54, v38
	s_wait_alu 0xfffe
	s_or_b32 exec_lo, exec_lo, s30
	s_and_saveexec_b32 s30, s24
	s_cbranch_execz .LBB813_1096
.LBB813_1162:                           ;   in Loop: Header=BB813_974 Depth=2
	ds_load_b64 v[38:39], v110 offset:21504
	s_wait_dscnt 0x0
	v_lshrrev_b64 v[38:39], s31, v[38:39]
	s_delay_alu instid0(VALU_DEP_1)
	v_and_b32_e32 v153, s54, v38
	s_wait_alu 0xfffe
	s_or_b32 exec_lo, exec_lo, s30
	s_and_saveexec_b32 s30, s25
	s_cbranch_execz .LBB813_1097
.LBB813_1163:                           ;   in Loop: Header=BB813_974 Depth=2
	ds_load_b64 v[38:39], v110 offset:23552
	s_wait_dscnt 0x0
	v_lshrrev_b64 v[38:39], s31, v[38:39]
	s_delay_alu instid0(VALU_DEP_1)
	v_and_b32_e32 v152, s54, v38
	s_wait_alu 0xfffe
	s_or_b32 exec_lo, exec_lo, s30
	s_and_saveexec_b32 s30, s26
	s_cbranch_execz .LBB813_1098
.LBB813_1164:                           ;   in Loop: Header=BB813_974 Depth=2
	ds_load_b64 v[38:39], v110 offset:25600
	s_wait_dscnt 0x0
	v_lshrrev_b64 v[38:39], s31, v[38:39]
	s_delay_alu instid0(VALU_DEP_1)
	v_and_b32_e32 v151, s54, v38
	s_wait_alu 0xfffe
	s_or_b32 exec_lo, exec_lo, s30
	s_and_saveexec_b32 s30, s27
	s_cbranch_execz .LBB813_1099
.LBB813_1165:                           ;   in Loop: Header=BB813_974 Depth=2
	ds_load_b64 v[38:39], v110 offset:27648
	s_wait_dscnt 0x0
	v_lshrrev_b64 v[38:39], s31, v[38:39]
	s_delay_alu instid0(VALU_DEP_1)
	v_and_b32_e32 v150, s54, v38
	s_wait_alu 0xfffe
	s_or_b32 exec_lo, exec_lo, s30
	s_and_saveexec_b32 s30, s28
	s_cbranch_execz .LBB813_1100
.LBB813_1166:                           ;   in Loop: Header=BB813_974 Depth=2
	ds_load_b64 v[38:39], v110 offset:29696
	s_wait_dscnt 0x0
	v_lshrrev_b64 v[38:39], s31, v[38:39]
	s_delay_alu instid0(VALU_DEP_1)
	v_and_b32_e32 v149, s54, v38
	s_wait_alu 0xfffe
	s_or_b32 exec_lo, exec_lo, s30
	s_and_saveexec_b32 s30, s29
	s_cbranch_execnz .LBB813_1101
	s_branch .LBB813_1102
.LBB813_1167:                           ;   in Loop: Header=BB813_974 Depth=2
	v_lshlrev_b32_e32 v2, 2, v163
	ds_load_b32 v2, v2
	ds_load_b64 v[38:39], v110 offset:1024
	s_wait_dscnt 0x1
	v_add_nc_u32_e32 v2, v2, v1
	s_delay_alu instid0(VALU_DEP_1) | instskip(NEXT) | instid1(VALU_DEP_1)
	v_lshlrev_b64_e32 v[40:41], 3, v[2:3]
	v_add_co_u32 v40, vcc_lo, s46, v40
	s_wait_alu 0xfffd
	s_delay_alu instid0(VALU_DEP_2)
	v_add_co_ci_u32_e64 v41, null, s47, v41, vcc_lo
	s_wait_dscnt 0x0
	global_store_b64 v[40:41], v[38:39], off
	s_wait_alu 0xfffe
	s_or_b32 exec_lo, exec_lo, s30
	s_and_saveexec_b32 s30, s15
	s_cbranch_execz .LBB813_1104
.LBB813_1168:                           ;   in Loop: Header=BB813_974 Depth=2
	v_lshlrev_b32_e32 v2, 2, v162
	ds_load_b32 v2, v2
	ds_load_b64 v[38:39], v110 offset:3072
	s_wait_dscnt 0x1
	v_add_nc_u32_e32 v2, v2, v79
	s_delay_alu instid0(VALU_DEP_1) | instskip(NEXT) | instid1(VALU_DEP_1)
	v_lshlrev_b64_e32 v[40:41], 3, v[2:3]
	v_add_co_u32 v40, vcc_lo, s46, v40
	s_wait_alu 0xfffd
	s_delay_alu instid0(VALU_DEP_2)
	v_add_co_ci_u32_e64 v41, null, s47, v41, vcc_lo
	s_wait_dscnt 0x0
	global_store_b64 v[40:41], v[38:39], off
	s_wait_alu 0xfffe
	s_or_b32 exec_lo, exec_lo, s30
	s_and_saveexec_b32 s15, s16
	s_cbranch_execz .LBB813_1105
.LBB813_1169:                           ;   in Loop: Header=BB813_974 Depth=2
	v_lshlrev_b32_e32 v2, 2, v161
	ds_load_b32 v2, v2
	ds_load_b64 v[38:39], v110 offset:5120
	s_wait_dscnt 0x1
	v_add_nc_u32_e32 v2, v2, v80
	s_delay_alu instid0(VALU_DEP_1) | instskip(NEXT) | instid1(VALU_DEP_1)
	v_lshlrev_b64_e32 v[40:41], 3, v[2:3]
	v_add_co_u32 v40, vcc_lo, s46, v40
	s_wait_alu 0xfffd
	s_delay_alu instid0(VALU_DEP_2)
	v_add_co_ci_u32_e64 v41, null, s47, v41, vcc_lo
	s_wait_dscnt 0x0
	global_store_b64 v[40:41], v[38:39], off
	s_wait_alu 0xfffe
	s_or_b32 exec_lo, exec_lo, s15
	s_and_saveexec_b32 s15, s17
	s_cbranch_execz .LBB813_1106
.LBB813_1170:                           ;   in Loop: Header=BB813_974 Depth=2
	v_lshlrev_b32_e32 v2, 2, v160
	ds_load_b32 v2, v2
	ds_load_b64 v[38:39], v110 offset:7168
	s_wait_dscnt 0x1
	v_add_nc_u32_e32 v2, v2, v81
	s_delay_alu instid0(VALU_DEP_1) | instskip(NEXT) | instid1(VALU_DEP_1)
	v_lshlrev_b64_e32 v[40:41], 3, v[2:3]
	v_add_co_u32 v40, vcc_lo, s46, v40
	s_wait_alu 0xfffd
	s_delay_alu instid0(VALU_DEP_2)
	v_add_co_ci_u32_e64 v41, null, s47, v41, vcc_lo
	s_wait_dscnt 0x0
	global_store_b64 v[40:41], v[38:39], off
	s_wait_alu 0xfffe
	s_or_b32 exec_lo, exec_lo, s15
	s_and_saveexec_b32 s15, s18
	s_cbranch_execz .LBB813_1107
.LBB813_1171:                           ;   in Loop: Header=BB813_974 Depth=2
	v_lshlrev_b32_e32 v2, 2, v159
	ds_load_b32 v2, v2
	ds_load_b64 v[38:39], v110 offset:9216
	s_wait_dscnt 0x1
	v_add_nc_u32_e32 v2, v2, v84
	s_delay_alu instid0(VALU_DEP_1) | instskip(NEXT) | instid1(VALU_DEP_1)
	v_lshlrev_b64_e32 v[40:41], 3, v[2:3]
	v_add_co_u32 v40, vcc_lo, s46, v40
	s_wait_alu 0xfffd
	s_delay_alu instid0(VALU_DEP_2)
	v_add_co_ci_u32_e64 v41, null, s47, v41, vcc_lo
	s_wait_dscnt 0x0
	global_store_b64 v[40:41], v[38:39], off
	s_wait_alu 0xfffe
	s_or_b32 exec_lo, exec_lo, s15
	s_and_saveexec_b32 s15, s19
	s_cbranch_execz .LBB813_1108
.LBB813_1172:                           ;   in Loop: Header=BB813_974 Depth=2
	v_lshlrev_b32_e32 v2, 2, v158
	ds_load_b32 v2, v2
	ds_load_b64 v[38:39], v110 offset:11264
	s_wait_dscnt 0x1
	v_add_nc_u32_e32 v2, v2, v85
	s_delay_alu instid0(VALU_DEP_1) | instskip(NEXT) | instid1(VALU_DEP_1)
	v_lshlrev_b64_e32 v[40:41], 3, v[2:3]
	v_add_co_u32 v40, vcc_lo, s46, v40
	s_wait_alu 0xfffd
	s_delay_alu instid0(VALU_DEP_2)
	v_add_co_ci_u32_e64 v41, null, s47, v41, vcc_lo
	s_wait_dscnt 0x0
	global_store_b64 v[40:41], v[38:39], off
	s_wait_alu 0xfffe
	s_or_b32 exec_lo, exec_lo, s15
	s_and_saveexec_b32 s15, s20
	s_cbranch_execz .LBB813_1109
.LBB813_1173:                           ;   in Loop: Header=BB813_974 Depth=2
	v_lshlrev_b32_e32 v2, 2, v157
	ds_load_b32 v2, v2
	ds_load_b64 v[38:39], v110 offset:13312
	s_wait_dscnt 0x1
	v_add_nc_u32_e32 v2, v2, v86
	s_delay_alu instid0(VALU_DEP_1) | instskip(NEXT) | instid1(VALU_DEP_1)
	v_lshlrev_b64_e32 v[40:41], 3, v[2:3]
	v_add_co_u32 v40, vcc_lo, s46, v40
	s_wait_alu 0xfffd
	s_delay_alu instid0(VALU_DEP_2)
	v_add_co_ci_u32_e64 v41, null, s47, v41, vcc_lo
	s_wait_dscnt 0x0
	global_store_b64 v[40:41], v[38:39], off
	s_wait_alu 0xfffe
	s_or_b32 exec_lo, exec_lo, s15
	s_and_saveexec_b32 s15, s21
	s_cbranch_execz .LBB813_1110
.LBB813_1174:                           ;   in Loop: Header=BB813_974 Depth=2
	v_lshlrev_b32_e32 v2, 2, v156
	ds_load_b32 v2, v2
	ds_load_b64 v[38:39], v110 offset:15360
	s_wait_dscnt 0x1
	v_add_nc_u32_e32 v2, v2, v87
	s_delay_alu instid0(VALU_DEP_1) | instskip(NEXT) | instid1(VALU_DEP_1)
	v_lshlrev_b64_e32 v[40:41], 3, v[2:3]
	v_add_co_u32 v40, vcc_lo, s46, v40
	s_wait_alu 0xfffd
	s_delay_alu instid0(VALU_DEP_2)
	v_add_co_ci_u32_e64 v41, null, s47, v41, vcc_lo
	s_wait_dscnt 0x0
	global_store_b64 v[40:41], v[38:39], off
	s_wait_alu 0xfffe
	s_or_b32 exec_lo, exec_lo, s15
	s_and_saveexec_b32 s15, s22
	s_cbranch_execz .LBB813_1111
.LBB813_1175:                           ;   in Loop: Header=BB813_974 Depth=2
	v_lshlrev_b32_e32 v2, 2, v155
	ds_load_b32 v2, v2
	ds_load_b64 v[38:39], v110 offset:17408
	s_wait_dscnt 0x1
	v_add_nc_u32_e32 v2, v2, v88
	s_delay_alu instid0(VALU_DEP_1) | instskip(NEXT) | instid1(VALU_DEP_1)
	v_lshlrev_b64_e32 v[40:41], 3, v[2:3]
	v_add_co_u32 v40, vcc_lo, s46, v40
	s_wait_alu 0xfffd
	s_delay_alu instid0(VALU_DEP_2)
	v_add_co_ci_u32_e64 v41, null, s47, v41, vcc_lo
	s_wait_dscnt 0x0
	global_store_b64 v[40:41], v[38:39], off
	s_wait_alu 0xfffe
	s_or_b32 exec_lo, exec_lo, s15
	s_and_saveexec_b32 s15, s23
	s_cbranch_execz .LBB813_1112
.LBB813_1176:                           ;   in Loop: Header=BB813_974 Depth=2
	v_lshlrev_b32_e32 v2, 2, v154
	ds_load_b32 v2, v2
	ds_load_b64 v[38:39], v110 offset:19456
	s_wait_dscnt 0x1
	v_add_nc_u32_e32 v2, v2, v89
	s_delay_alu instid0(VALU_DEP_1) | instskip(NEXT) | instid1(VALU_DEP_1)
	v_lshlrev_b64_e32 v[40:41], 3, v[2:3]
	v_add_co_u32 v40, vcc_lo, s46, v40
	s_wait_alu 0xfffd
	s_delay_alu instid0(VALU_DEP_2)
	v_add_co_ci_u32_e64 v41, null, s47, v41, vcc_lo
	s_wait_dscnt 0x0
	global_store_b64 v[40:41], v[38:39], off
	s_wait_alu 0xfffe
	s_or_b32 exec_lo, exec_lo, s15
	s_and_saveexec_b32 s15, s24
	s_cbranch_execz .LBB813_1113
.LBB813_1177:                           ;   in Loop: Header=BB813_974 Depth=2
	v_lshlrev_b32_e32 v2, 2, v153
	ds_load_b32 v2, v2
	ds_load_b64 v[38:39], v110 offset:21504
	s_wait_dscnt 0x1
	v_add_nc_u32_e32 v2, v2, v90
	s_delay_alu instid0(VALU_DEP_1) | instskip(NEXT) | instid1(VALU_DEP_1)
	v_lshlrev_b64_e32 v[40:41], 3, v[2:3]
	v_add_co_u32 v40, vcc_lo, s46, v40
	s_wait_alu 0xfffd
	s_delay_alu instid0(VALU_DEP_2)
	v_add_co_ci_u32_e64 v41, null, s47, v41, vcc_lo
	s_wait_dscnt 0x0
	global_store_b64 v[40:41], v[38:39], off
	s_wait_alu 0xfffe
	s_or_b32 exec_lo, exec_lo, s15
	s_and_saveexec_b32 s15, s25
	s_cbranch_execz .LBB813_1114
.LBB813_1178:                           ;   in Loop: Header=BB813_974 Depth=2
	v_lshlrev_b32_e32 v2, 2, v152
	ds_load_b32 v2, v2
	ds_load_b64 v[38:39], v110 offset:23552
	s_wait_dscnt 0x1
	v_add_nc_u32_e32 v2, v2, v91
	s_delay_alu instid0(VALU_DEP_1) | instskip(NEXT) | instid1(VALU_DEP_1)
	v_lshlrev_b64_e32 v[40:41], 3, v[2:3]
	v_add_co_u32 v40, vcc_lo, s46, v40
	s_wait_alu 0xfffd
	s_delay_alu instid0(VALU_DEP_2)
	v_add_co_ci_u32_e64 v41, null, s47, v41, vcc_lo
	s_wait_dscnt 0x0
	global_store_b64 v[40:41], v[38:39], off
	s_wait_alu 0xfffe
	s_or_b32 exec_lo, exec_lo, s15
	s_and_saveexec_b32 s15, s26
	s_cbranch_execz .LBB813_1115
.LBB813_1179:                           ;   in Loop: Header=BB813_974 Depth=2
	v_lshlrev_b32_e32 v2, 2, v151
	ds_load_b32 v2, v2
	ds_load_b64 v[38:39], v110 offset:25600
	s_wait_dscnt 0x1
	v_add_nc_u32_e32 v2, v2, v92
	s_delay_alu instid0(VALU_DEP_1) | instskip(NEXT) | instid1(VALU_DEP_1)
	v_lshlrev_b64_e32 v[40:41], 3, v[2:3]
	v_add_co_u32 v40, vcc_lo, s46, v40
	s_wait_alu 0xfffd
	s_delay_alu instid0(VALU_DEP_2)
	v_add_co_ci_u32_e64 v41, null, s47, v41, vcc_lo
	s_wait_dscnt 0x0
	global_store_b64 v[40:41], v[38:39], off
	s_wait_alu 0xfffe
	s_or_b32 exec_lo, exec_lo, s15
	s_and_saveexec_b32 s15, s27
	s_cbranch_execz .LBB813_1116
.LBB813_1180:                           ;   in Loop: Header=BB813_974 Depth=2
	v_lshlrev_b32_e32 v2, 2, v150
	ds_load_b32 v2, v2
	ds_load_b64 v[38:39], v110 offset:27648
	s_wait_dscnt 0x1
	v_add_nc_u32_e32 v2, v2, v93
	s_delay_alu instid0(VALU_DEP_1) | instskip(NEXT) | instid1(VALU_DEP_1)
	v_lshlrev_b64_e32 v[40:41], 3, v[2:3]
	v_add_co_u32 v40, vcc_lo, s46, v40
	s_wait_alu 0xfffd
	s_delay_alu instid0(VALU_DEP_2)
	v_add_co_ci_u32_e64 v41, null, s47, v41, vcc_lo
	s_wait_dscnt 0x0
	global_store_b64 v[40:41], v[38:39], off
	s_wait_alu 0xfffe
	s_or_b32 exec_lo, exec_lo, s15
	s_and_saveexec_b32 s15, s28
	s_cbranch_execz .LBB813_1117
.LBB813_1181:                           ;   in Loop: Header=BB813_974 Depth=2
	v_lshlrev_b32_e32 v2, 2, v149
	ds_load_b32 v2, v2
	ds_load_b64 v[38:39], v110 offset:29696
	s_wait_dscnt 0x1
	v_add_nc_u32_e32 v2, v2, v94
	s_delay_alu instid0(VALU_DEP_1) | instskip(NEXT) | instid1(VALU_DEP_1)
	v_lshlrev_b64_e32 v[40:41], 3, v[2:3]
	v_add_co_u32 v40, vcc_lo, s46, v40
	s_wait_alu 0xfffd
	s_delay_alu instid0(VALU_DEP_2)
	v_add_co_ci_u32_e64 v41, null, s47, v41, vcc_lo
	s_wait_dscnt 0x0
	global_store_b64 v[40:41], v[38:39], off
	s_wait_alu 0xfffe
	s_or_b32 exec_lo, exec_lo, s15
	s_and_saveexec_b32 s15, s29
	s_cbranch_execnz .LBB813_1118
	s_branch .LBB813_1119
.LBB813_1182:
	s_endpgm
	.section	.rodata,"a",@progbits
	.p2align	6, 0x0
	.amdhsa_kernel _ZN7rocprim17ROCPRIM_400000_NS6detail17trampoline_kernelINS0_14default_configENS1_36segmented_radix_sort_config_selectorIllEEZNS1_25segmented_radix_sort_implIS3_Lb0EPKlPlS8_S9_N2at6native12_GLOBAL__N_18offset_tEEE10hipError_tPvRmT1_PNSt15iterator_traitsISH_E10value_typeET2_T3_PNSI_ISN_E10value_typeET4_jRbjT5_ST_jjP12ihipStream_tbEUlT_E_NS1_11comp_targetILNS1_3genE10ELNS1_11target_archE1201ELNS1_3gpuE5ELNS1_3repE0EEENS1_30default_config_static_selectorELNS0_4arch9wavefront6targetE0EEEvSH_
		.amdhsa_group_segment_fixed_size 33824
		.amdhsa_private_segment_fixed_size 176
		.amdhsa_kernarg_size 352
		.amdhsa_user_sgpr_count 2
		.amdhsa_user_sgpr_dispatch_ptr 0
		.amdhsa_user_sgpr_queue_ptr 0
		.amdhsa_user_sgpr_kernarg_segment_ptr 1
		.amdhsa_user_sgpr_dispatch_id 0
		.amdhsa_user_sgpr_private_segment_size 0
		.amdhsa_wavefront_size32 1
		.amdhsa_uses_dynamic_stack 0
		.amdhsa_enable_private_segment 1
		.amdhsa_system_sgpr_workgroup_id_x 1
		.amdhsa_system_sgpr_workgroup_id_y 1
		.amdhsa_system_sgpr_workgroup_id_z 0
		.amdhsa_system_sgpr_workgroup_info 0
		.amdhsa_system_vgpr_workitem_id 2
		.amdhsa_next_free_vgpr 248
		.amdhsa_next_free_sgpr 60
		.amdhsa_reserve_vcc 1
		.amdhsa_float_round_mode_32 0
		.amdhsa_float_round_mode_16_64 0
		.amdhsa_float_denorm_mode_32 3
		.amdhsa_float_denorm_mode_16_64 3
		.amdhsa_fp16_overflow 0
		.amdhsa_workgroup_processor_mode 1
		.amdhsa_memory_ordered 1
		.amdhsa_forward_progress 1
		.amdhsa_inst_pref_size 255
		.amdhsa_round_robin_scheduling 0
		.amdhsa_exception_fp_ieee_invalid_op 0
		.amdhsa_exception_fp_denorm_src 0
		.amdhsa_exception_fp_ieee_div_zero 0
		.amdhsa_exception_fp_ieee_overflow 0
		.amdhsa_exception_fp_ieee_underflow 0
		.amdhsa_exception_fp_ieee_inexact 0
		.amdhsa_exception_int_div_zero 0
	.end_amdhsa_kernel
	.section	.text._ZN7rocprim17ROCPRIM_400000_NS6detail17trampoline_kernelINS0_14default_configENS1_36segmented_radix_sort_config_selectorIllEEZNS1_25segmented_radix_sort_implIS3_Lb0EPKlPlS8_S9_N2at6native12_GLOBAL__N_18offset_tEEE10hipError_tPvRmT1_PNSt15iterator_traitsISH_E10value_typeET2_T3_PNSI_ISN_E10value_typeET4_jRbjT5_ST_jjP12ihipStream_tbEUlT_E_NS1_11comp_targetILNS1_3genE10ELNS1_11target_archE1201ELNS1_3gpuE5ELNS1_3repE0EEENS1_30default_config_static_selectorELNS0_4arch9wavefront6targetE0EEEvSH_,"axG",@progbits,_ZN7rocprim17ROCPRIM_400000_NS6detail17trampoline_kernelINS0_14default_configENS1_36segmented_radix_sort_config_selectorIllEEZNS1_25segmented_radix_sort_implIS3_Lb0EPKlPlS8_S9_N2at6native12_GLOBAL__N_18offset_tEEE10hipError_tPvRmT1_PNSt15iterator_traitsISH_E10value_typeET2_T3_PNSI_ISN_E10value_typeET4_jRbjT5_ST_jjP12ihipStream_tbEUlT_E_NS1_11comp_targetILNS1_3genE10ELNS1_11target_archE1201ELNS1_3gpuE5ELNS1_3repE0EEENS1_30default_config_static_selectorELNS0_4arch9wavefront6targetE0EEEvSH_,comdat
.Lfunc_end813:
	.size	_ZN7rocprim17ROCPRIM_400000_NS6detail17trampoline_kernelINS0_14default_configENS1_36segmented_radix_sort_config_selectorIllEEZNS1_25segmented_radix_sort_implIS3_Lb0EPKlPlS8_S9_N2at6native12_GLOBAL__N_18offset_tEEE10hipError_tPvRmT1_PNSt15iterator_traitsISH_E10value_typeET2_T3_PNSI_ISN_E10value_typeET4_jRbjT5_ST_jjP12ihipStream_tbEUlT_E_NS1_11comp_targetILNS1_3genE10ELNS1_11target_archE1201ELNS1_3gpuE5ELNS1_3repE0EEENS1_30default_config_static_selectorELNS0_4arch9wavefront6targetE0EEEvSH_, .Lfunc_end813-_ZN7rocprim17ROCPRIM_400000_NS6detail17trampoline_kernelINS0_14default_configENS1_36segmented_radix_sort_config_selectorIllEEZNS1_25segmented_radix_sort_implIS3_Lb0EPKlPlS8_S9_N2at6native12_GLOBAL__N_18offset_tEEE10hipError_tPvRmT1_PNSt15iterator_traitsISH_E10value_typeET2_T3_PNSI_ISN_E10value_typeET4_jRbjT5_ST_jjP12ihipStream_tbEUlT_E_NS1_11comp_targetILNS1_3genE10ELNS1_11target_archE1201ELNS1_3gpuE5ELNS1_3repE0EEENS1_30default_config_static_selectorELNS0_4arch9wavefront6targetE0EEEvSH_
                                        ; -- End function
	.set _ZN7rocprim17ROCPRIM_400000_NS6detail17trampoline_kernelINS0_14default_configENS1_36segmented_radix_sort_config_selectorIllEEZNS1_25segmented_radix_sort_implIS3_Lb0EPKlPlS8_S9_N2at6native12_GLOBAL__N_18offset_tEEE10hipError_tPvRmT1_PNSt15iterator_traitsISH_E10value_typeET2_T3_PNSI_ISN_E10value_typeET4_jRbjT5_ST_jjP12ihipStream_tbEUlT_E_NS1_11comp_targetILNS1_3genE10ELNS1_11target_archE1201ELNS1_3gpuE5ELNS1_3repE0EEENS1_30default_config_static_selectorELNS0_4arch9wavefront6targetE0EEEvSH_.num_vgpr, max(218, .L_ZN7rocprim17ROCPRIM_400000_NS6detail40segmented_radix_sort_single_block_helperIllLj256ELj16ELb0EE4sortIPKlPlS6_S7_EEbT_T0_T1_T2_jjjjRNS3_12storage_typeE.num_vgpr)
	.set _ZN7rocprim17ROCPRIM_400000_NS6detail17trampoline_kernelINS0_14default_configENS1_36segmented_radix_sort_config_selectorIllEEZNS1_25segmented_radix_sort_implIS3_Lb0EPKlPlS8_S9_N2at6native12_GLOBAL__N_18offset_tEEE10hipError_tPvRmT1_PNSt15iterator_traitsISH_E10value_typeET2_T3_PNSI_ISN_E10value_typeET4_jRbjT5_ST_jjP12ihipStream_tbEUlT_E_NS1_11comp_targetILNS1_3genE10ELNS1_11target_archE1201ELNS1_3gpuE5ELNS1_3repE0EEENS1_30default_config_static_selectorELNS0_4arch9wavefront6targetE0EEEvSH_.num_agpr, max(0, .L_ZN7rocprim17ROCPRIM_400000_NS6detail40segmented_radix_sort_single_block_helperIllLj256ELj16ELb0EE4sortIPKlPlS6_S7_EEbT_T0_T1_T2_jjjjRNS3_12storage_typeE.num_agpr)
	.set _ZN7rocprim17ROCPRIM_400000_NS6detail17trampoline_kernelINS0_14default_configENS1_36segmented_radix_sort_config_selectorIllEEZNS1_25segmented_radix_sort_implIS3_Lb0EPKlPlS8_S9_N2at6native12_GLOBAL__N_18offset_tEEE10hipError_tPvRmT1_PNSt15iterator_traitsISH_E10value_typeET2_T3_PNSI_ISN_E10value_typeET4_jRbjT5_ST_jjP12ihipStream_tbEUlT_E_NS1_11comp_targetILNS1_3genE10ELNS1_11target_archE1201ELNS1_3gpuE5ELNS1_3repE0EEENS1_30default_config_static_selectorELNS0_4arch9wavefront6targetE0EEEvSH_.numbered_sgpr, max(60, .L_ZN7rocprim17ROCPRIM_400000_NS6detail40segmented_radix_sort_single_block_helperIllLj256ELj16ELb0EE4sortIPKlPlS6_S7_EEbT_T0_T1_T2_jjjjRNS3_12storage_typeE.numbered_sgpr)
	.set _ZN7rocprim17ROCPRIM_400000_NS6detail17trampoline_kernelINS0_14default_configENS1_36segmented_radix_sort_config_selectorIllEEZNS1_25segmented_radix_sort_implIS3_Lb0EPKlPlS8_S9_N2at6native12_GLOBAL__N_18offset_tEEE10hipError_tPvRmT1_PNSt15iterator_traitsISH_E10value_typeET2_T3_PNSI_ISN_E10value_typeET4_jRbjT5_ST_jjP12ihipStream_tbEUlT_E_NS1_11comp_targetILNS1_3genE10ELNS1_11target_archE1201ELNS1_3gpuE5ELNS1_3repE0EEENS1_30default_config_static_selectorELNS0_4arch9wavefront6targetE0EEEvSH_.num_named_barrier, max(0, .L_ZN7rocprim17ROCPRIM_400000_NS6detail40segmented_radix_sort_single_block_helperIllLj256ELj16ELb0EE4sortIPKlPlS6_S7_EEbT_T0_T1_T2_jjjjRNS3_12storage_typeE.num_named_barrier)
	.set _ZN7rocprim17ROCPRIM_400000_NS6detail17trampoline_kernelINS0_14default_configENS1_36segmented_radix_sort_config_selectorIllEEZNS1_25segmented_radix_sort_implIS3_Lb0EPKlPlS8_S9_N2at6native12_GLOBAL__N_18offset_tEEE10hipError_tPvRmT1_PNSt15iterator_traitsISH_E10value_typeET2_T3_PNSI_ISN_E10value_typeET4_jRbjT5_ST_jjP12ihipStream_tbEUlT_E_NS1_11comp_targetILNS1_3genE10ELNS1_11target_archE1201ELNS1_3gpuE5ELNS1_3repE0EEENS1_30default_config_static_selectorELNS0_4arch9wavefront6targetE0EEEvSH_.private_seg_size, 0+max(.L_ZN7rocprim17ROCPRIM_400000_NS6detail40segmented_radix_sort_single_block_helperIllLj256ELj16ELb0EE4sortIPKlPlS6_S7_EEbT_T0_T1_T2_jjjjRNS3_12storage_typeE.private_seg_size)
	.set _ZN7rocprim17ROCPRIM_400000_NS6detail17trampoline_kernelINS0_14default_configENS1_36segmented_radix_sort_config_selectorIllEEZNS1_25segmented_radix_sort_implIS3_Lb0EPKlPlS8_S9_N2at6native12_GLOBAL__N_18offset_tEEE10hipError_tPvRmT1_PNSt15iterator_traitsISH_E10value_typeET2_T3_PNSI_ISN_E10value_typeET4_jRbjT5_ST_jjP12ihipStream_tbEUlT_E_NS1_11comp_targetILNS1_3genE10ELNS1_11target_archE1201ELNS1_3gpuE5ELNS1_3repE0EEENS1_30default_config_static_selectorELNS0_4arch9wavefront6targetE0EEEvSH_.uses_vcc, or(1, .L_ZN7rocprim17ROCPRIM_400000_NS6detail40segmented_radix_sort_single_block_helperIllLj256ELj16ELb0EE4sortIPKlPlS6_S7_EEbT_T0_T1_T2_jjjjRNS3_12storage_typeE.uses_vcc)
	.set _ZN7rocprim17ROCPRIM_400000_NS6detail17trampoline_kernelINS0_14default_configENS1_36segmented_radix_sort_config_selectorIllEEZNS1_25segmented_radix_sort_implIS3_Lb0EPKlPlS8_S9_N2at6native12_GLOBAL__N_18offset_tEEE10hipError_tPvRmT1_PNSt15iterator_traitsISH_E10value_typeET2_T3_PNSI_ISN_E10value_typeET4_jRbjT5_ST_jjP12ihipStream_tbEUlT_E_NS1_11comp_targetILNS1_3genE10ELNS1_11target_archE1201ELNS1_3gpuE5ELNS1_3repE0EEENS1_30default_config_static_selectorELNS0_4arch9wavefront6targetE0EEEvSH_.uses_flat_scratch, or(0, .L_ZN7rocprim17ROCPRIM_400000_NS6detail40segmented_radix_sort_single_block_helperIllLj256ELj16ELb0EE4sortIPKlPlS6_S7_EEbT_T0_T1_T2_jjjjRNS3_12storage_typeE.uses_flat_scratch)
	.set _ZN7rocprim17ROCPRIM_400000_NS6detail17trampoline_kernelINS0_14default_configENS1_36segmented_radix_sort_config_selectorIllEEZNS1_25segmented_radix_sort_implIS3_Lb0EPKlPlS8_S9_N2at6native12_GLOBAL__N_18offset_tEEE10hipError_tPvRmT1_PNSt15iterator_traitsISH_E10value_typeET2_T3_PNSI_ISN_E10value_typeET4_jRbjT5_ST_jjP12ihipStream_tbEUlT_E_NS1_11comp_targetILNS1_3genE10ELNS1_11target_archE1201ELNS1_3gpuE5ELNS1_3repE0EEENS1_30default_config_static_selectorELNS0_4arch9wavefront6targetE0EEEvSH_.has_dyn_sized_stack, or(0, .L_ZN7rocprim17ROCPRIM_400000_NS6detail40segmented_radix_sort_single_block_helperIllLj256ELj16ELb0EE4sortIPKlPlS6_S7_EEbT_T0_T1_T2_jjjjRNS3_12storage_typeE.has_dyn_sized_stack)
	.set _ZN7rocprim17ROCPRIM_400000_NS6detail17trampoline_kernelINS0_14default_configENS1_36segmented_radix_sort_config_selectorIllEEZNS1_25segmented_radix_sort_implIS3_Lb0EPKlPlS8_S9_N2at6native12_GLOBAL__N_18offset_tEEE10hipError_tPvRmT1_PNSt15iterator_traitsISH_E10value_typeET2_T3_PNSI_ISN_E10value_typeET4_jRbjT5_ST_jjP12ihipStream_tbEUlT_E_NS1_11comp_targetILNS1_3genE10ELNS1_11target_archE1201ELNS1_3gpuE5ELNS1_3repE0EEENS1_30default_config_static_selectorELNS0_4arch9wavefront6targetE0EEEvSH_.has_recursion, or(0, .L_ZN7rocprim17ROCPRIM_400000_NS6detail40segmented_radix_sort_single_block_helperIllLj256ELj16ELb0EE4sortIPKlPlS6_S7_EEbT_T0_T1_T2_jjjjRNS3_12storage_typeE.has_recursion)
	.set _ZN7rocprim17ROCPRIM_400000_NS6detail17trampoline_kernelINS0_14default_configENS1_36segmented_radix_sort_config_selectorIllEEZNS1_25segmented_radix_sort_implIS3_Lb0EPKlPlS8_S9_N2at6native12_GLOBAL__N_18offset_tEEE10hipError_tPvRmT1_PNSt15iterator_traitsISH_E10value_typeET2_T3_PNSI_ISN_E10value_typeET4_jRbjT5_ST_jjP12ihipStream_tbEUlT_E_NS1_11comp_targetILNS1_3genE10ELNS1_11target_archE1201ELNS1_3gpuE5ELNS1_3repE0EEENS1_30default_config_static_selectorELNS0_4arch9wavefront6targetE0EEEvSH_.has_indirect_call, or(0, .L_ZN7rocprim17ROCPRIM_400000_NS6detail40segmented_radix_sort_single_block_helperIllLj256ELj16ELb0EE4sortIPKlPlS6_S7_EEbT_T0_T1_T2_jjjjRNS3_12storage_typeE.has_indirect_call)
	.section	.AMDGPU.csdata,"",@progbits
; Kernel info:
; codeLenInByte = 77144
; TotalNumSgprs: 62
; NumVgprs: 248
; ScratchSize: 176
; MemoryBound: 0
; FloatMode: 240
; IeeeMode: 1
; LDSByteSize: 33824 bytes/workgroup (compile time only)
; SGPRBlocks: 0
; VGPRBlocks: 30
; NumSGPRsForWavesPerEU: 62
; NumVGPRsForWavesPerEU: 248
; Occupancy: 5
; WaveLimiterHint : 1
; COMPUTE_PGM_RSRC2:SCRATCH_EN: 1
; COMPUTE_PGM_RSRC2:USER_SGPR: 2
; COMPUTE_PGM_RSRC2:TRAP_HANDLER: 0
; COMPUTE_PGM_RSRC2:TGID_X_EN: 1
; COMPUTE_PGM_RSRC2:TGID_Y_EN: 1
; COMPUTE_PGM_RSRC2:TGID_Z_EN: 0
; COMPUTE_PGM_RSRC2:TIDIG_COMP_CNT: 2
	.section	.text._ZN7rocprim17ROCPRIM_400000_NS6detail17trampoline_kernelINS0_14default_configENS1_36segmented_radix_sort_config_selectorIllEEZNS1_25segmented_radix_sort_implIS3_Lb0EPKlPlS8_S9_N2at6native12_GLOBAL__N_18offset_tEEE10hipError_tPvRmT1_PNSt15iterator_traitsISH_E10value_typeET2_T3_PNSI_ISN_E10value_typeET4_jRbjT5_ST_jjP12ihipStream_tbEUlT_E_NS1_11comp_targetILNS1_3genE10ELNS1_11target_archE1200ELNS1_3gpuE4ELNS1_3repE0EEENS1_30default_config_static_selectorELNS0_4arch9wavefront6targetE0EEEvSH_,"axG",@progbits,_ZN7rocprim17ROCPRIM_400000_NS6detail17trampoline_kernelINS0_14default_configENS1_36segmented_radix_sort_config_selectorIllEEZNS1_25segmented_radix_sort_implIS3_Lb0EPKlPlS8_S9_N2at6native12_GLOBAL__N_18offset_tEEE10hipError_tPvRmT1_PNSt15iterator_traitsISH_E10value_typeET2_T3_PNSI_ISN_E10value_typeET4_jRbjT5_ST_jjP12ihipStream_tbEUlT_E_NS1_11comp_targetILNS1_3genE10ELNS1_11target_archE1200ELNS1_3gpuE4ELNS1_3repE0EEENS1_30default_config_static_selectorELNS0_4arch9wavefront6targetE0EEEvSH_,comdat
	.globl	_ZN7rocprim17ROCPRIM_400000_NS6detail17trampoline_kernelINS0_14default_configENS1_36segmented_radix_sort_config_selectorIllEEZNS1_25segmented_radix_sort_implIS3_Lb0EPKlPlS8_S9_N2at6native12_GLOBAL__N_18offset_tEEE10hipError_tPvRmT1_PNSt15iterator_traitsISH_E10value_typeET2_T3_PNSI_ISN_E10value_typeET4_jRbjT5_ST_jjP12ihipStream_tbEUlT_E_NS1_11comp_targetILNS1_3genE10ELNS1_11target_archE1200ELNS1_3gpuE4ELNS1_3repE0EEENS1_30default_config_static_selectorELNS0_4arch9wavefront6targetE0EEEvSH_ ; -- Begin function _ZN7rocprim17ROCPRIM_400000_NS6detail17trampoline_kernelINS0_14default_configENS1_36segmented_radix_sort_config_selectorIllEEZNS1_25segmented_radix_sort_implIS3_Lb0EPKlPlS8_S9_N2at6native12_GLOBAL__N_18offset_tEEE10hipError_tPvRmT1_PNSt15iterator_traitsISH_E10value_typeET2_T3_PNSI_ISN_E10value_typeET4_jRbjT5_ST_jjP12ihipStream_tbEUlT_E_NS1_11comp_targetILNS1_3genE10ELNS1_11target_archE1200ELNS1_3gpuE4ELNS1_3repE0EEENS1_30default_config_static_selectorELNS0_4arch9wavefront6targetE0EEEvSH_
	.p2align	8
	.type	_ZN7rocprim17ROCPRIM_400000_NS6detail17trampoline_kernelINS0_14default_configENS1_36segmented_radix_sort_config_selectorIllEEZNS1_25segmented_radix_sort_implIS3_Lb0EPKlPlS8_S9_N2at6native12_GLOBAL__N_18offset_tEEE10hipError_tPvRmT1_PNSt15iterator_traitsISH_E10value_typeET2_T3_PNSI_ISN_E10value_typeET4_jRbjT5_ST_jjP12ihipStream_tbEUlT_E_NS1_11comp_targetILNS1_3genE10ELNS1_11target_archE1200ELNS1_3gpuE4ELNS1_3repE0EEENS1_30default_config_static_selectorELNS0_4arch9wavefront6targetE0EEEvSH_,@function
_ZN7rocprim17ROCPRIM_400000_NS6detail17trampoline_kernelINS0_14default_configENS1_36segmented_radix_sort_config_selectorIllEEZNS1_25segmented_radix_sort_implIS3_Lb0EPKlPlS8_S9_N2at6native12_GLOBAL__N_18offset_tEEE10hipError_tPvRmT1_PNSt15iterator_traitsISH_E10value_typeET2_T3_PNSI_ISN_E10value_typeET4_jRbjT5_ST_jjP12ihipStream_tbEUlT_E_NS1_11comp_targetILNS1_3genE10ELNS1_11target_archE1200ELNS1_3gpuE4ELNS1_3repE0EEENS1_30default_config_static_selectorELNS0_4arch9wavefront6targetE0EEEvSH_: ; @_ZN7rocprim17ROCPRIM_400000_NS6detail17trampoline_kernelINS0_14default_configENS1_36segmented_radix_sort_config_selectorIllEEZNS1_25segmented_radix_sort_implIS3_Lb0EPKlPlS8_S9_N2at6native12_GLOBAL__N_18offset_tEEE10hipError_tPvRmT1_PNSt15iterator_traitsISH_E10value_typeET2_T3_PNSI_ISN_E10value_typeET4_jRbjT5_ST_jjP12ihipStream_tbEUlT_E_NS1_11comp_targetILNS1_3genE10ELNS1_11target_archE1200ELNS1_3gpuE4ELNS1_3repE0EEENS1_30default_config_static_selectorELNS0_4arch9wavefront6targetE0EEEvSH_
; %bb.0:
	.section	.rodata,"a",@progbits
	.p2align	6, 0x0
	.amdhsa_kernel _ZN7rocprim17ROCPRIM_400000_NS6detail17trampoline_kernelINS0_14default_configENS1_36segmented_radix_sort_config_selectorIllEEZNS1_25segmented_radix_sort_implIS3_Lb0EPKlPlS8_S9_N2at6native12_GLOBAL__N_18offset_tEEE10hipError_tPvRmT1_PNSt15iterator_traitsISH_E10value_typeET2_T3_PNSI_ISN_E10value_typeET4_jRbjT5_ST_jjP12ihipStream_tbEUlT_E_NS1_11comp_targetILNS1_3genE10ELNS1_11target_archE1200ELNS1_3gpuE4ELNS1_3repE0EEENS1_30default_config_static_selectorELNS0_4arch9wavefront6targetE0EEEvSH_
		.amdhsa_group_segment_fixed_size 0
		.amdhsa_private_segment_fixed_size 0
		.amdhsa_kernarg_size 96
		.amdhsa_user_sgpr_count 2
		.amdhsa_user_sgpr_dispatch_ptr 0
		.amdhsa_user_sgpr_queue_ptr 0
		.amdhsa_user_sgpr_kernarg_segment_ptr 1
		.amdhsa_user_sgpr_dispatch_id 0
		.amdhsa_user_sgpr_private_segment_size 0
		.amdhsa_wavefront_size32 1
		.amdhsa_uses_dynamic_stack 0
		.amdhsa_enable_private_segment 0
		.amdhsa_system_sgpr_workgroup_id_x 1
		.amdhsa_system_sgpr_workgroup_id_y 0
		.amdhsa_system_sgpr_workgroup_id_z 0
		.amdhsa_system_sgpr_workgroup_info 0
		.amdhsa_system_vgpr_workitem_id 0
		.amdhsa_next_free_vgpr 1
		.amdhsa_next_free_sgpr 1
		.amdhsa_reserve_vcc 0
		.amdhsa_float_round_mode_32 0
		.amdhsa_float_round_mode_16_64 0
		.amdhsa_float_denorm_mode_32 3
		.amdhsa_float_denorm_mode_16_64 3
		.amdhsa_fp16_overflow 0
		.amdhsa_workgroup_processor_mode 1
		.amdhsa_memory_ordered 1
		.amdhsa_forward_progress 1
		.amdhsa_inst_pref_size 0
		.amdhsa_round_robin_scheduling 0
		.amdhsa_exception_fp_ieee_invalid_op 0
		.amdhsa_exception_fp_denorm_src 0
		.amdhsa_exception_fp_ieee_div_zero 0
		.amdhsa_exception_fp_ieee_overflow 0
		.amdhsa_exception_fp_ieee_underflow 0
		.amdhsa_exception_fp_ieee_inexact 0
		.amdhsa_exception_int_div_zero 0
	.end_amdhsa_kernel
	.section	.text._ZN7rocprim17ROCPRIM_400000_NS6detail17trampoline_kernelINS0_14default_configENS1_36segmented_radix_sort_config_selectorIllEEZNS1_25segmented_radix_sort_implIS3_Lb0EPKlPlS8_S9_N2at6native12_GLOBAL__N_18offset_tEEE10hipError_tPvRmT1_PNSt15iterator_traitsISH_E10value_typeET2_T3_PNSI_ISN_E10value_typeET4_jRbjT5_ST_jjP12ihipStream_tbEUlT_E_NS1_11comp_targetILNS1_3genE10ELNS1_11target_archE1200ELNS1_3gpuE4ELNS1_3repE0EEENS1_30default_config_static_selectorELNS0_4arch9wavefront6targetE0EEEvSH_,"axG",@progbits,_ZN7rocprim17ROCPRIM_400000_NS6detail17trampoline_kernelINS0_14default_configENS1_36segmented_radix_sort_config_selectorIllEEZNS1_25segmented_radix_sort_implIS3_Lb0EPKlPlS8_S9_N2at6native12_GLOBAL__N_18offset_tEEE10hipError_tPvRmT1_PNSt15iterator_traitsISH_E10value_typeET2_T3_PNSI_ISN_E10value_typeET4_jRbjT5_ST_jjP12ihipStream_tbEUlT_E_NS1_11comp_targetILNS1_3genE10ELNS1_11target_archE1200ELNS1_3gpuE4ELNS1_3repE0EEENS1_30default_config_static_selectorELNS0_4arch9wavefront6targetE0EEEvSH_,comdat
.Lfunc_end814:
	.size	_ZN7rocprim17ROCPRIM_400000_NS6detail17trampoline_kernelINS0_14default_configENS1_36segmented_radix_sort_config_selectorIllEEZNS1_25segmented_radix_sort_implIS3_Lb0EPKlPlS8_S9_N2at6native12_GLOBAL__N_18offset_tEEE10hipError_tPvRmT1_PNSt15iterator_traitsISH_E10value_typeET2_T3_PNSI_ISN_E10value_typeET4_jRbjT5_ST_jjP12ihipStream_tbEUlT_E_NS1_11comp_targetILNS1_3genE10ELNS1_11target_archE1200ELNS1_3gpuE4ELNS1_3repE0EEENS1_30default_config_static_selectorELNS0_4arch9wavefront6targetE0EEEvSH_, .Lfunc_end814-_ZN7rocprim17ROCPRIM_400000_NS6detail17trampoline_kernelINS0_14default_configENS1_36segmented_radix_sort_config_selectorIllEEZNS1_25segmented_radix_sort_implIS3_Lb0EPKlPlS8_S9_N2at6native12_GLOBAL__N_18offset_tEEE10hipError_tPvRmT1_PNSt15iterator_traitsISH_E10value_typeET2_T3_PNSI_ISN_E10value_typeET4_jRbjT5_ST_jjP12ihipStream_tbEUlT_E_NS1_11comp_targetILNS1_3genE10ELNS1_11target_archE1200ELNS1_3gpuE4ELNS1_3repE0EEENS1_30default_config_static_selectorELNS0_4arch9wavefront6targetE0EEEvSH_
                                        ; -- End function
	.set _ZN7rocprim17ROCPRIM_400000_NS6detail17trampoline_kernelINS0_14default_configENS1_36segmented_radix_sort_config_selectorIllEEZNS1_25segmented_radix_sort_implIS3_Lb0EPKlPlS8_S9_N2at6native12_GLOBAL__N_18offset_tEEE10hipError_tPvRmT1_PNSt15iterator_traitsISH_E10value_typeET2_T3_PNSI_ISN_E10value_typeET4_jRbjT5_ST_jjP12ihipStream_tbEUlT_E_NS1_11comp_targetILNS1_3genE10ELNS1_11target_archE1200ELNS1_3gpuE4ELNS1_3repE0EEENS1_30default_config_static_selectorELNS0_4arch9wavefront6targetE0EEEvSH_.num_vgpr, 0
	.set _ZN7rocprim17ROCPRIM_400000_NS6detail17trampoline_kernelINS0_14default_configENS1_36segmented_radix_sort_config_selectorIllEEZNS1_25segmented_radix_sort_implIS3_Lb0EPKlPlS8_S9_N2at6native12_GLOBAL__N_18offset_tEEE10hipError_tPvRmT1_PNSt15iterator_traitsISH_E10value_typeET2_T3_PNSI_ISN_E10value_typeET4_jRbjT5_ST_jjP12ihipStream_tbEUlT_E_NS1_11comp_targetILNS1_3genE10ELNS1_11target_archE1200ELNS1_3gpuE4ELNS1_3repE0EEENS1_30default_config_static_selectorELNS0_4arch9wavefront6targetE0EEEvSH_.num_agpr, 0
	.set _ZN7rocprim17ROCPRIM_400000_NS6detail17trampoline_kernelINS0_14default_configENS1_36segmented_radix_sort_config_selectorIllEEZNS1_25segmented_radix_sort_implIS3_Lb0EPKlPlS8_S9_N2at6native12_GLOBAL__N_18offset_tEEE10hipError_tPvRmT1_PNSt15iterator_traitsISH_E10value_typeET2_T3_PNSI_ISN_E10value_typeET4_jRbjT5_ST_jjP12ihipStream_tbEUlT_E_NS1_11comp_targetILNS1_3genE10ELNS1_11target_archE1200ELNS1_3gpuE4ELNS1_3repE0EEENS1_30default_config_static_selectorELNS0_4arch9wavefront6targetE0EEEvSH_.numbered_sgpr, 0
	.set _ZN7rocprim17ROCPRIM_400000_NS6detail17trampoline_kernelINS0_14default_configENS1_36segmented_radix_sort_config_selectorIllEEZNS1_25segmented_radix_sort_implIS3_Lb0EPKlPlS8_S9_N2at6native12_GLOBAL__N_18offset_tEEE10hipError_tPvRmT1_PNSt15iterator_traitsISH_E10value_typeET2_T3_PNSI_ISN_E10value_typeET4_jRbjT5_ST_jjP12ihipStream_tbEUlT_E_NS1_11comp_targetILNS1_3genE10ELNS1_11target_archE1200ELNS1_3gpuE4ELNS1_3repE0EEENS1_30default_config_static_selectorELNS0_4arch9wavefront6targetE0EEEvSH_.num_named_barrier, 0
	.set _ZN7rocprim17ROCPRIM_400000_NS6detail17trampoline_kernelINS0_14default_configENS1_36segmented_radix_sort_config_selectorIllEEZNS1_25segmented_radix_sort_implIS3_Lb0EPKlPlS8_S9_N2at6native12_GLOBAL__N_18offset_tEEE10hipError_tPvRmT1_PNSt15iterator_traitsISH_E10value_typeET2_T3_PNSI_ISN_E10value_typeET4_jRbjT5_ST_jjP12ihipStream_tbEUlT_E_NS1_11comp_targetILNS1_3genE10ELNS1_11target_archE1200ELNS1_3gpuE4ELNS1_3repE0EEENS1_30default_config_static_selectorELNS0_4arch9wavefront6targetE0EEEvSH_.private_seg_size, 0
	.set _ZN7rocprim17ROCPRIM_400000_NS6detail17trampoline_kernelINS0_14default_configENS1_36segmented_radix_sort_config_selectorIllEEZNS1_25segmented_radix_sort_implIS3_Lb0EPKlPlS8_S9_N2at6native12_GLOBAL__N_18offset_tEEE10hipError_tPvRmT1_PNSt15iterator_traitsISH_E10value_typeET2_T3_PNSI_ISN_E10value_typeET4_jRbjT5_ST_jjP12ihipStream_tbEUlT_E_NS1_11comp_targetILNS1_3genE10ELNS1_11target_archE1200ELNS1_3gpuE4ELNS1_3repE0EEENS1_30default_config_static_selectorELNS0_4arch9wavefront6targetE0EEEvSH_.uses_vcc, 0
	.set _ZN7rocprim17ROCPRIM_400000_NS6detail17trampoline_kernelINS0_14default_configENS1_36segmented_radix_sort_config_selectorIllEEZNS1_25segmented_radix_sort_implIS3_Lb0EPKlPlS8_S9_N2at6native12_GLOBAL__N_18offset_tEEE10hipError_tPvRmT1_PNSt15iterator_traitsISH_E10value_typeET2_T3_PNSI_ISN_E10value_typeET4_jRbjT5_ST_jjP12ihipStream_tbEUlT_E_NS1_11comp_targetILNS1_3genE10ELNS1_11target_archE1200ELNS1_3gpuE4ELNS1_3repE0EEENS1_30default_config_static_selectorELNS0_4arch9wavefront6targetE0EEEvSH_.uses_flat_scratch, 0
	.set _ZN7rocprim17ROCPRIM_400000_NS6detail17trampoline_kernelINS0_14default_configENS1_36segmented_radix_sort_config_selectorIllEEZNS1_25segmented_radix_sort_implIS3_Lb0EPKlPlS8_S9_N2at6native12_GLOBAL__N_18offset_tEEE10hipError_tPvRmT1_PNSt15iterator_traitsISH_E10value_typeET2_T3_PNSI_ISN_E10value_typeET4_jRbjT5_ST_jjP12ihipStream_tbEUlT_E_NS1_11comp_targetILNS1_3genE10ELNS1_11target_archE1200ELNS1_3gpuE4ELNS1_3repE0EEENS1_30default_config_static_selectorELNS0_4arch9wavefront6targetE0EEEvSH_.has_dyn_sized_stack, 0
	.set _ZN7rocprim17ROCPRIM_400000_NS6detail17trampoline_kernelINS0_14default_configENS1_36segmented_radix_sort_config_selectorIllEEZNS1_25segmented_radix_sort_implIS3_Lb0EPKlPlS8_S9_N2at6native12_GLOBAL__N_18offset_tEEE10hipError_tPvRmT1_PNSt15iterator_traitsISH_E10value_typeET2_T3_PNSI_ISN_E10value_typeET4_jRbjT5_ST_jjP12ihipStream_tbEUlT_E_NS1_11comp_targetILNS1_3genE10ELNS1_11target_archE1200ELNS1_3gpuE4ELNS1_3repE0EEENS1_30default_config_static_selectorELNS0_4arch9wavefront6targetE0EEEvSH_.has_recursion, 0
	.set _ZN7rocprim17ROCPRIM_400000_NS6detail17trampoline_kernelINS0_14default_configENS1_36segmented_radix_sort_config_selectorIllEEZNS1_25segmented_radix_sort_implIS3_Lb0EPKlPlS8_S9_N2at6native12_GLOBAL__N_18offset_tEEE10hipError_tPvRmT1_PNSt15iterator_traitsISH_E10value_typeET2_T3_PNSI_ISN_E10value_typeET4_jRbjT5_ST_jjP12ihipStream_tbEUlT_E_NS1_11comp_targetILNS1_3genE10ELNS1_11target_archE1200ELNS1_3gpuE4ELNS1_3repE0EEENS1_30default_config_static_selectorELNS0_4arch9wavefront6targetE0EEEvSH_.has_indirect_call, 0
	.section	.AMDGPU.csdata,"",@progbits
; Kernel info:
; codeLenInByte = 0
; TotalNumSgprs: 0
; NumVgprs: 0
; ScratchSize: 0
; MemoryBound: 0
; FloatMode: 240
; IeeeMode: 1
; LDSByteSize: 0 bytes/workgroup (compile time only)
; SGPRBlocks: 0
; VGPRBlocks: 0
; NumSGPRsForWavesPerEU: 1
; NumVGPRsForWavesPerEU: 1
; Occupancy: 16
; WaveLimiterHint : 0
; COMPUTE_PGM_RSRC2:SCRATCH_EN: 0
; COMPUTE_PGM_RSRC2:USER_SGPR: 2
; COMPUTE_PGM_RSRC2:TRAP_HANDLER: 0
; COMPUTE_PGM_RSRC2:TGID_X_EN: 1
; COMPUTE_PGM_RSRC2:TGID_Y_EN: 0
; COMPUTE_PGM_RSRC2:TGID_Z_EN: 0
; COMPUTE_PGM_RSRC2:TIDIG_COMP_CNT: 0
	.section	.text._ZN7rocprim17ROCPRIM_400000_NS6detail17trampoline_kernelINS0_14default_configENS1_36segmented_radix_sort_config_selectorIllEEZNS1_25segmented_radix_sort_implIS3_Lb0EPKlPlS8_S9_N2at6native12_GLOBAL__N_18offset_tEEE10hipError_tPvRmT1_PNSt15iterator_traitsISH_E10value_typeET2_T3_PNSI_ISN_E10value_typeET4_jRbjT5_ST_jjP12ihipStream_tbEUlT_E_NS1_11comp_targetILNS1_3genE9ELNS1_11target_archE1100ELNS1_3gpuE3ELNS1_3repE0EEENS1_30default_config_static_selectorELNS0_4arch9wavefront6targetE0EEEvSH_,"axG",@progbits,_ZN7rocprim17ROCPRIM_400000_NS6detail17trampoline_kernelINS0_14default_configENS1_36segmented_radix_sort_config_selectorIllEEZNS1_25segmented_radix_sort_implIS3_Lb0EPKlPlS8_S9_N2at6native12_GLOBAL__N_18offset_tEEE10hipError_tPvRmT1_PNSt15iterator_traitsISH_E10value_typeET2_T3_PNSI_ISN_E10value_typeET4_jRbjT5_ST_jjP12ihipStream_tbEUlT_E_NS1_11comp_targetILNS1_3genE9ELNS1_11target_archE1100ELNS1_3gpuE3ELNS1_3repE0EEENS1_30default_config_static_selectorELNS0_4arch9wavefront6targetE0EEEvSH_,comdat
	.globl	_ZN7rocprim17ROCPRIM_400000_NS6detail17trampoline_kernelINS0_14default_configENS1_36segmented_radix_sort_config_selectorIllEEZNS1_25segmented_radix_sort_implIS3_Lb0EPKlPlS8_S9_N2at6native12_GLOBAL__N_18offset_tEEE10hipError_tPvRmT1_PNSt15iterator_traitsISH_E10value_typeET2_T3_PNSI_ISN_E10value_typeET4_jRbjT5_ST_jjP12ihipStream_tbEUlT_E_NS1_11comp_targetILNS1_3genE9ELNS1_11target_archE1100ELNS1_3gpuE3ELNS1_3repE0EEENS1_30default_config_static_selectorELNS0_4arch9wavefront6targetE0EEEvSH_ ; -- Begin function _ZN7rocprim17ROCPRIM_400000_NS6detail17trampoline_kernelINS0_14default_configENS1_36segmented_radix_sort_config_selectorIllEEZNS1_25segmented_radix_sort_implIS3_Lb0EPKlPlS8_S9_N2at6native12_GLOBAL__N_18offset_tEEE10hipError_tPvRmT1_PNSt15iterator_traitsISH_E10value_typeET2_T3_PNSI_ISN_E10value_typeET4_jRbjT5_ST_jjP12ihipStream_tbEUlT_E_NS1_11comp_targetILNS1_3genE9ELNS1_11target_archE1100ELNS1_3gpuE3ELNS1_3repE0EEENS1_30default_config_static_selectorELNS0_4arch9wavefront6targetE0EEEvSH_
	.p2align	8
	.type	_ZN7rocprim17ROCPRIM_400000_NS6detail17trampoline_kernelINS0_14default_configENS1_36segmented_radix_sort_config_selectorIllEEZNS1_25segmented_radix_sort_implIS3_Lb0EPKlPlS8_S9_N2at6native12_GLOBAL__N_18offset_tEEE10hipError_tPvRmT1_PNSt15iterator_traitsISH_E10value_typeET2_T3_PNSI_ISN_E10value_typeET4_jRbjT5_ST_jjP12ihipStream_tbEUlT_E_NS1_11comp_targetILNS1_3genE9ELNS1_11target_archE1100ELNS1_3gpuE3ELNS1_3repE0EEENS1_30default_config_static_selectorELNS0_4arch9wavefront6targetE0EEEvSH_,@function
_ZN7rocprim17ROCPRIM_400000_NS6detail17trampoline_kernelINS0_14default_configENS1_36segmented_radix_sort_config_selectorIllEEZNS1_25segmented_radix_sort_implIS3_Lb0EPKlPlS8_S9_N2at6native12_GLOBAL__N_18offset_tEEE10hipError_tPvRmT1_PNSt15iterator_traitsISH_E10value_typeET2_T3_PNSI_ISN_E10value_typeET4_jRbjT5_ST_jjP12ihipStream_tbEUlT_E_NS1_11comp_targetILNS1_3genE9ELNS1_11target_archE1100ELNS1_3gpuE3ELNS1_3repE0EEENS1_30default_config_static_selectorELNS0_4arch9wavefront6targetE0EEEvSH_: ; @_ZN7rocprim17ROCPRIM_400000_NS6detail17trampoline_kernelINS0_14default_configENS1_36segmented_radix_sort_config_selectorIllEEZNS1_25segmented_radix_sort_implIS3_Lb0EPKlPlS8_S9_N2at6native12_GLOBAL__N_18offset_tEEE10hipError_tPvRmT1_PNSt15iterator_traitsISH_E10value_typeET2_T3_PNSI_ISN_E10value_typeET4_jRbjT5_ST_jjP12ihipStream_tbEUlT_E_NS1_11comp_targetILNS1_3genE9ELNS1_11target_archE1100ELNS1_3gpuE3ELNS1_3repE0EEENS1_30default_config_static_selectorELNS0_4arch9wavefront6targetE0EEEvSH_
; %bb.0:
	.section	.rodata,"a",@progbits
	.p2align	6, 0x0
	.amdhsa_kernel _ZN7rocprim17ROCPRIM_400000_NS6detail17trampoline_kernelINS0_14default_configENS1_36segmented_radix_sort_config_selectorIllEEZNS1_25segmented_radix_sort_implIS3_Lb0EPKlPlS8_S9_N2at6native12_GLOBAL__N_18offset_tEEE10hipError_tPvRmT1_PNSt15iterator_traitsISH_E10value_typeET2_T3_PNSI_ISN_E10value_typeET4_jRbjT5_ST_jjP12ihipStream_tbEUlT_E_NS1_11comp_targetILNS1_3genE9ELNS1_11target_archE1100ELNS1_3gpuE3ELNS1_3repE0EEENS1_30default_config_static_selectorELNS0_4arch9wavefront6targetE0EEEvSH_
		.amdhsa_group_segment_fixed_size 0
		.amdhsa_private_segment_fixed_size 0
		.amdhsa_kernarg_size 96
		.amdhsa_user_sgpr_count 2
		.amdhsa_user_sgpr_dispatch_ptr 0
		.amdhsa_user_sgpr_queue_ptr 0
		.amdhsa_user_sgpr_kernarg_segment_ptr 1
		.amdhsa_user_sgpr_dispatch_id 0
		.amdhsa_user_sgpr_private_segment_size 0
		.amdhsa_wavefront_size32 1
		.amdhsa_uses_dynamic_stack 0
		.amdhsa_enable_private_segment 0
		.amdhsa_system_sgpr_workgroup_id_x 1
		.amdhsa_system_sgpr_workgroup_id_y 0
		.amdhsa_system_sgpr_workgroup_id_z 0
		.amdhsa_system_sgpr_workgroup_info 0
		.amdhsa_system_vgpr_workitem_id 0
		.amdhsa_next_free_vgpr 1
		.amdhsa_next_free_sgpr 1
		.amdhsa_reserve_vcc 0
		.amdhsa_float_round_mode_32 0
		.amdhsa_float_round_mode_16_64 0
		.amdhsa_float_denorm_mode_32 3
		.amdhsa_float_denorm_mode_16_64 3
		.amdhsa_fp16_overflow 0
		.amdhsa_workgroup_processor_mode 1
		.amdhsa_memory_ordered 1
		.amdhsa_forward_progress 1
		.amdhsa_inst_pref_size 0
		.amdhsa_round_robin_scheduling 0
		.amdhsa_exception_fp_ieee_invalid_op 0
		.amdhsa_exception_fp_denorm_src 0
		.amdhsa_exception_fp_ieee_div_zero 0
		.amdhsa_exception_fp_ieee_overflow 0
		.amdhsa_exception_fp_ieee_underflow 0
		.amdhsa_exception_fp_ieee_inexact 0
		.amdhsa_exception_int_div_zero 0
	.end_amdhsa_kernel
	.section	.text._ZN7rocprim17ROCPRIM_400000_NS6detail17trampoline_kernelINS0_14default_configENS1_36segmented_radix_sort_config_selectorIllEEZNS1_25segmented_radix_sort_implIS3_Lb0EPKlPlS8_S9_N2at6native12_GLOBAL__N_18offset_tEEE10hipError_tPvRmT1_PNSt15iterator_traitsISH_E10value_typeET2_T3_PNSI_ISN_E10value_typeET4_jRbjT5_ST_jjP12ihipStream_tbEUlT_E_NS1_11comp_targetILNS1_3genE9ELNS1_11target_archE1100ELNS1_3gpuE3ELNS1_3repE0EEENS1_30default_config_static_selectorELNS0_4arch9wavefront6targetE0EEEvSH_,"axG",@progbits,_ZN7rocprim17ROCPRIM_400000_NS6detail17trampoline_kernelINS0_14default_configENS1_36segmented_radix_sort_config_selectorIllEEZNS1_25segmented_radix_sort_implIS3_Lb0EPKlPlS8_S9_N2at6native12_GLOBAL__N_18offset_tEEE10hipError_tPvRmT1_PNSt15iterator_traitsISH_E10value_typeET2_T3_PNSI_ISN_E10value_typeET4_jRbjT5_ST_jjP12ihipStream_tbEUlT_E_NS1_11comp_targetILNS1_3genE9ELNS1_11target_archE1100ELNS1_3gpuE3ELNS1_3repE0EEENS1_30default_config_static_selectorELNS0_4arch9wavefront6targetE0EEEvSH_,comdat
.Lfunc_end815:
	.size	_ZN7rocprim17ROCPRIM_400000_NS6detail17trampoline_kernelINS0_14default_configENS1_36segmented_radix_sort_config_selectorIllEEZNS1_25segmented_radix_sort_implIS3_Lb0EPKlPlS8_S9_N2at6native12_GLOBAL__N_18offset_tEEE10hipError_tPvRmT1_PNSt15iterator_traitsISH_E10value_typeET2_T3_PNSI_ISN_E10value_typeET4_jRbjT5_ST_jjP12ihipStream_tbEUlT_E_NS1_11comp_targetILNS1_3genE9ELNS1_11target_archE1100ELNS1_3gpuE3ELNS1_3repE0EEENS1_30default_config_static_selectorELNS0_4arch9wavefront6targetE0EEEvSH_, .Lfunc_end815-_ZN7rocprim17ROCPRIM_400000_NS6detail17trampoline_kernelINS0_14default_configENS1_36segmented_radix_sort_config_selectorIllEEZNS1_25segmented_radix_sort_implIS3_Lb0EPKlPlS8_S9_N2at6native12_GLOBAL__N_18offset_tEEE10hipError_tPvRmT1_PNSt15iterator_traitsISH_E10value_typeET2_T3_PNSI_ISN_E10value_typeET4_jRbjT5_ST_jjP12ihipStream_tbEUlT_E_NS1_11comp_targetILNS1_3genE9ELNS1_11target_archE1100ELNS1_3gpuE3ELNS1_3repE0EEENS1_30default_config_static_selectorELNS0_4arch9wavefront6targetE0EEEvSH_
                                        ; -- End function
	.set _ZN7rocprim17ROCPRIM_400000_NS6detail17trampoline_kernelINS0_14default_configENS1_36segmented_radix_sort_config_selectorIllEEZNS1_25segmented_radix_sort_implIS3_Lb0EPKlPlS8_S9_N2at6native12_GLOBAL__N_18offset_tEEE10hipError_tPvRmT1_PNSt15iterator_traitsISH_E10value_typeET2_T3_PNSI_ISN_E10value_typeET4_jRbjT5_ST_jjP12ihipStream_tbEUlT_E_NS1_11comp_targetILNS1_3genE9ELNS1_11target_archE1100ELNS1_3gpuE3ELNS1_3repE0EEENS1_30default_config_static_selectorELNS0_4arch9wavefront6targetE0EEEvSH_.num_vgpr, 0
	.set _ZN7rocprim17ROCPRIM_400000_NS6detail17trampoline_kernelINS0_14default_configENS1_36segmented_radix_sort_config_selectorIllEEZNS1_25segmented_radix_sort_implIS3_Lb0EPKlPlS8_S9_N2at6native12_GLOBAL__N_18offset_tEEE10hipError_tPvRmT1_PNSt15iterator_traitsISH_E10value_typeET2_T3_PNSI_ISN_E10value_typeET4_jRbjT5_ST_jjP12ihipStream_tbEUlT_E_NS1_11comp_targetILNS1_3genE9ELNS1_11target_archE1100ELNS1_3gpuE3ELNS1_3repE0EEENS1_30default_config_static_selectorELNS0_4arch9wavefront6targetE0EEEvSH_.num_agpr, 0
	.set _ZN7rocprim17ROCPRIM_400000_NS6detail17trampoline_kernelINS0_14default_configENS1_36segmented_radix_sort_config_selectorIllEEZNS1_25segmented_radix_sort_implIS3_Lb0EPKlPlS8_S9_N2at6native12_GLOBAL__N_18offset_tEEE10hipError_tPvRmT1_PNSt15iterator_traitsISH_E10value_typeET2_T3_PNSI_ISN_E10value_typeET4_jRbjT5_ST_jjP12ihipStream_tbEUlT_E_NS1_11comp_targetILNS1_3genE9ELNS1_11target_archE1100ELNS1_3gpuE3ELNS1_3repE0EEENS1_30default_config_static_selectorELNS0_4arch9wavefront6targetE0EEEvSH_.numbered_sgpr, 0
	.set _ZN7rocprim17ROCPRIM_400000_NS6detail17trampoline_kernelINS0_14default_configENS1_36segmented_radix_sort_config_selectorIllEEZNS1_25segmented_radix_sort_implIS3_Lb0EPKlPlS8_S9_N2at6native12_GLOBAL__N_18offset_tEEE10hipError_tPvRmT1_PNSt15iterator_traitsISH_E10value_typeET2_T3_PNSI_ISN_E10value_typeET4_jRbjT5_ST_jjP12ihipStream_tbEUlT_E_NS1_11comp_targetILNS1_3genE9ELNS1_11target_archE1100ELNS1_3gpuE3ELNS1_3repE0EEENS1_30default_config_static_selectorELNS0_4arch9wavefront6targetE0EEEvSH_.num_named_barrier, 0
	.set _ZN7rocprim17ROCPRIM_400000_NS6detail17trampoline_kernelINS0_14default_configENS1_36segmented_radix_sort_config_selectorIllEEZNS1_25segmented_radix_sort_implIS3_Lb0EPKlPlS8_S9_N2at6native12_GLOBAL__N_18offset_tEEE10hipError_tPvRmT1_PNSt15iterator_traitsISH_E10value_typeET2_T3_PNSI_ISN_E10value_typeET4_jRbjT5_ST_jjP12ihipStream_tbEUlT_E_NS1_11comp_targetILNS1_3genE9ELNS1_11target_archE1100ELNS1_3gpuE3ELNS1_3repE0EEENS1_30default_config_static_selectorELNS0_4arch9wavefront6targetE0EEEvSH_.private_seg_size, 0
	.set _ZN7rocprim17ROCPRIM_400000_NS6detail17trampoline_kernelINS0_14default_configENS1_36segmented_radix_sort_config_selectorIllEEZNS1_25segmented_radix_sort_implIS3_Lb0EPKlPlS8_S9_N2at6native12_GLOBAL__N_18offset_tEEE10hipError_tPvRmT1_PNSt15iterator_traitsISH_E10value_typeET2_T3_PNSI_ISN_E10value_typeET4_jRbjT5_ST_jjP12ihipStream_tbEUlT_E_NS1_11comp_targetILNS1_3genE9ELNS1_11target_archE1100ELNS1_3gpuE3ELNS1_3repE0EEENS1_30default_config_static_selectorELNS0_4arch9wavefront6targetE0EEEvSH_.uses_vcc, 0
	.set _ZN7rocprim17ROCPRIM_400000_NS6detail17trampoline_kernelINS0_14default_configENS1_36segmented_radix_sort_config_selectorIllEEZNS1_25segmented_radix_sort_implIS3_Lb0EPKlPlS8_S9_N2at6native12_GLOBAL__N_18offset_tEEE10hipError_tPvRmT1_PNSt15iterator_traitsISH_E10value_typeET2_T3_PNSI_ISN_E10value_typeET4_jRbjT5_ST_jjP12ihipStream_tbEUlT_E_NS1_11comp_targetILNS1_3genE9ELNS1_11target_archE1100ELNS1_3gpuE3ELNS1_3repE0EEENS1_30default_config_static_selectorELNS0_4arch9wavefront6targetE0EEEvSH_.uses_flat_scratch, 0
	.set _ZN7rocprim17ROCPRIM_400000_NS6detail17trampoline_kernelINS0_14default_configENS1_36segmented_radix_sort_config_selectorIllEEZNS1_25segmented_radix_sort_implIS3_Lb0EPKlPlS8_S9_N2at6native12_GLOBAL__N_18offset_tEEE10hipError_tPvRmT1_PNSt15iterator_traitsISH_E10value_typeET2_T3_PNSI_ISN_E10value_typeET4_jRbjT5_ST_jjP12ihipStream_tbEUlT_E_NS1_11comp_targetILNS1_3genE9ELNS1_11target_archE1100ELNS1_3gpuE3ELNS1_3repE0EEENS1_30default_config_static_selectorELNS0_4arch9wavefront6targetE0EEEvSH_.has_dyn_sized_stack, 0
	.set _ZN7rocprim17ROCPRIM_400000_NS6detail17trampoline_kernelINS0_14default_configENS1_36segmented_radix_sort_config_selectorIllEEZNS1_25segmented_radix_sort_implIS3_Lb0EPKlPlS8_S9_N2at6native12_GLOBAL__N_18offset_tEEE10hipError_tPvRmT1_PNSt15iterator_traitsISH_E10value_typeET2_T3_PNSI_ISN_E10value_typeET4_jRbjT5_ST_jjP12ihipStream_tbEUlT_E_NS1_11comp_targetILNS1_3genE9ELNS1_11target_archE1100ELNS1_3gpuE3ELNS1_3repE0EEENS1_30default_config_static_selectorELNS0_4arch9wavefront6targetE0EEEvSH_.has_recursion, 0
	.set _ZN7rocprim17ROCPRIM_400000_NS6detail17trampoline_kernelINS0_14default_configENS1_36segmented_radix_sort_config_selectorIllEEZNS1_25segmented_radix_sort_implIS3_Lb0EPKlPlS8_S9_N2at6native12_GLOBAL__N_18offset_tEEE10hipError_tPvRmT1_PNSt15iterator_traitsISH_E10value_typeET2_T3_PNSI_ISN_E10value_typeET4_jRbjT5_ST_jjP12ihipStream_tbEUlT_E_NS1_11comp_targetILNS1_3genE9ELNS1_11target_archE1100ELNS1_3gpuE3ELNS1_3repE0EEENS1_30default_config_static_selectorELNS0_4arch9wavefront6targetE0EEEvSH_.has_indirect_call, 0
	.section	.AMDGPU.csdata,"",@progbits
; Kernel info:
; codeLenInByte = 0
; TotalNumSgprs: 0
; NumVgprs: 0
; ScratchSize: 0
; MemoryBound: 0
; FloatMode: 240
; IeeeMode: 1
; LDSByteSize: 0 bytes/workgroup (compile time only)
; SGPRBlocks: 0
; VGPRBlocks: 0
; NumSGPRsForWavesPerEU: 1
; NumVGPRsForWavesPerEU: 1
; Occupancy: 16
; WaveLimiterHint : 0
; COMPUTE_PGM_RSRC2:SCRATCH_EN: 0
; COMPUTE_PGM_RSRC2:USER_SGPR: 2
; COMPUTE_PGM_RSRC2:TRAP_HANDLER: 0
; COMPUTE_PGM_RSRC2:TGID_X_EN: 1
; COMPUTE_PGM_RSRC2:TGID_Y_EN: 0
; COMPUTE_PGM_RSRC2:TGID_Z_EN: 0
; COMPUTE_PGM_RSRC2:TIDIG_COMP_CNT: 0
	.section	.text._ZN7rocprim17ROCPRIM_400000_NS6detail17trampoline_kernelINS0_14default_configENS1_36segmented_radix_sort_config_selectorIllEEZNS1_25segmented_radix_sort_implIS3_Lb0EPKlPlS8_S9_N2at6native12_GLOBAL__N_18offset_tEEE10hipError_tPvRmT1_PNSt15iterator_traitsISH_E10value_typeET2_T3_PNSI_ISN_E10value_typeET4_jRbjT5_ST_jjP12ihipStream_tbEUlT_E_NS1_11comp_targetILNS1_3genE8ELNS1_11target_archE1030ELNS1_3gpuE2ELNS1_3repE0EEENS1_30default_config_static_selectorELNS0_4arch9wavefront6targetE0EEEvSH_,"axG",@progbits,_ZN7rocprim17ROCPRIM_400000_NS6detail17trampoline_kernelINS0_14default_configENS1_36segmented_radix_sort_config_selectorIllEEZNS1_25segmented_radix_sort_implIS3_Lb0EPKlPlS8_S9_N2at6native12_GLOBAL__N_18offset_tEEE10hipError_tPvRmT1_PNSt15iterator_traitsISH_E10value_typeET2_T3_PNSI_ISN_E10value_typeET4_jRbjT5_ST_jjP12ihipStream_tbEUlT_E_NS1_11comp_targetILNS1_3genE8ELNS1_11target_archE1030ELNS1_3gpuE2ELNS1_3repE0EEENS1_30default_config_static_selectorELNS0_4arch9wavefront6targetE0EEEvSH_,comdat
	.globl	_ZN7rocprim17ROCPRIM_400000_NS6detail17trampoline_kernelINS0_14default_configENS1_36segmented_radix_sort_config_selectorIllEEZNS1_25segmented_radix_sort_implIS3_Lb0EPKlPlS8_S9_N2at6native12_GLOBAL__N_18offset_tEEE10hipError_tPvRmT1_PNSt15iterator_traitsISH_E10value_typeET2_T3_PNSI_ISN_E10value_typeET4_jRbjT5_ST_jjP12ihipStream_tbEUlT_E_NS1_11comp_targetILNS1_3genE8ELNS1_11target_archE1030ELNS1_3gpuE2ELNS1_3repE0EEENS1_30default_config_static_selectorELNS0_4arch9wavefront6targetE0EEEvSH_ ; -- Begin function _ZN7rocprim17ROCPRIM_400000_NS6detail17trampoline_kernelINS0_14default_configENS1_36segmented_radix_sort_config_selectorIllEEZNS1_25segmented_radix_sort_implIS3_Lb0EPKlPlS8_S9_N2at6native12_GLOBAL__N_18offset_tEEE10hipError_tPvRmT1_PNSt15iterator_traitsISH_E10value_typeET2_T3_PNSI_ISN_E10value_typeET4_jRbjT5_ST_jjP12ihipStream_tbEUlT_E_NS1_11comp_targetILNS1_3genE8ELNS1_11target_archE1030ELNS1_3gpuE2ELNS1_3repE0EEENS1_30default_config_static_selectorELNS0_4arch9wavefront6targetE0EEEvSH_
	.p2align	8
	.type	_ZN7rocprim17ROCPRIM_400000_NS6detail17trampoline_kernelINS0_14default_configENS1_36segmented_radix_sort_config_selectorIllEEZNS1_25segmented_radix_sort_implIS3_Lb0EPKlPlS8_S9_N2at6native12_GLOBAL__N_18offset_tEEE10hipError_tPvRmT1_PNSt15iterator_traitsISH_E10value_typeET2_T3_PNSI_ISN_E10value_typeET4_jRbjT5_ST_jjP12ihipStream_tbEUlT_E_NS1_11comp_targetILNS1_3genE8ELNS1_11target_archE1030ELNS1_3gpuE2ELNS1_3repE0EEENS1_30default_config_static_selectorELNS0_4arch9wavefront6targetE0EEEvSH_,@function
_ZN7rocprim17ROCPRIM_400000_NS6detail17trampoline_kernelINS0_14default_configENS1_36segmented_radix_sort_config_selectorIllEEZNS1_25segmented_radix_sort_implIS3_Lb0EPKlPlS8_S9_N2at6native12_GLOBAL__N_18offset_tEEE10hipError_tPvRmT1_PNSt15iterator_traitsISH_E10value_typeET2_T3_PNSI_ISN_E10value_typeET4_jRbjT5_ST_jjP12ihipStream_tbEUlT_E_NS1_11comp_targetILNS1_3genE8ELNS1_11target_archE1030ELNS1_3gpuE2ELNS1_3repE0EEENS1_30default_config_static_selectorELNS0_4arch9wavefront6targetE0EEEvSH_: ; @_ZN7rocprim17ROCPRIM_400000_NS6detail17trampoline_kernelINS0_14default_configENS1_36segmented_radix_sort_config_selectorIllEEZNS1_25segmented_radix_sort_implIS3_Lb0EPKlPlS8_S9_N2at6native12_GLOBAL__N_18offset_tEEE10hipError_tPvRmT1_PNSt15iterator_traitsISH_E10value_typeET2_T3_PNSI_ISN_E10value_typeET4_jRbjT5_ST_jjP12ihipStream_tbEUlT_E_NS1_11comp_targetILNS1_3genE8ELNS1_11target_archE1030ELNS1_3gpuE2ELNS1_3repE0EEENS1_30default_config_static_selectorELNS0_4arch9wavefront6targetE0EEEvSH_
; %bb.0:
	.section	.rodata,"a",@progbits
	.p2align	6, 0x0
	.amdhsa_kernel _ZN7rocprim17ROCPRIM_400000_NS6detail17trampoline_kernelINS0_14default_configENS1_36segmented_radix_sort_config_selectorIllEEZNS1_25segmented_radix_sort_implIS3_Lb0EPKlPlS8_S9_N2at6native12_GLOBAL__N_18offset_tEEE10hipError_tPvRmT1_PNSt15iterator_traitsISH_E10value_typeET2_T3_PNSI_ISN_E10value_typeET4_jRbjT5_ST_jjP12ihipStream_tbEUlT_E_NS1_11comp_targetILNS1_3genE8ELNS1_11target_archE1030ELNS1_3gpuE2ELNS1_3repE0EEENS1_30default_config_static_selectorELNS0_4arch9wavefront6targetE0EEEvSH_
		.amdhsa_group_segment_fixed_size 0
		.amdhsa_private_segment_fixed_size 0
		.amdhsa_kernarg_size 96
		.amdhsa_user_sgpr_count 2
		.amdhsa_user_sgpr_dispatch_ptr 0
		.amdhsa_user_sgpr_queue_ptr 0
		.amdhsa_user_sgpr_kernarg_segment_ptr 1
		.amdhsa_user_sgpr_dispatch_id 0
		.amdhsa_user_sgpr_private_segment_size 0
		.amdhsa_wavefront_size32 1
		.amdhsa_uses_dynamic_stack 0
		.amdhsa_enable_private_segment 0
		.amdhsa_system_sgpr_workgroup_id_x 1
		.amdhsa_system_sgpr_workgroup_id_y 0
		.amdhsa_system_sgpr_workgroup_id_z 0
		.amdhsa_system_sgpr_workgroup_info 0
		.amdhsa_system_vgpr_workitem_id 0
		.amdhsa_next_free_vgpr 1
		.amdhsa_next_free_sgpr 1
		.amdhsa_reserve_vcc 0
		.amdhsa_float_round_mode_32 0
		.amdhsa_float_round_mode_16_64 0
		.amdhsa_float_denorm_mode_32 3
		.amdhsa_float_denorm_mode_16_64 3
		.amdhsa_fp16_overflow 0
		.amdhsa_workgroup_processor_mode 1
		.amdhsa_memory_ordered 1
		.amdhsa_forward_progress 1
		.amdhsa_inst_pref_size 0
		.amdhsa_round_robin_scheduling 0
		.amdhsa_exception_fp_ieee_invalid_op 0
		.amdhsa_exception_fp_denorm_src 0
		.amdhsa_exception_fp_ieee_div_zero 0
		.amdhsa_exception_fp_ieee_overflow 0
		.amdhsa_exception_fp_ieee_underflow 0
		.amdhsa_exception_fp_ieee_inexact 0
		.amdhsa_exception_int_div_zero 0
	.end_amdhsa_kernel
	.section	.text._ZN7rocprim17ROCPRIM_400000_NS6detail17trampoline_kernelINS0_14default_configENS1_36segmented_radix_sort_config_selectorIllEEZNS1_25segmented_radix_sort_implIS3_Lb0EPKlPlS8_S9_N2at6native12_GLOBAL__N_18offset_tEEE10hipError_tPvRmT1_PNSt15iterator_traitsISH_E10value_typeET2_T3_PNSI_ISN_E10value_typeET4_jRbjT5_ST_jjP12ihipStream_tbEUlT_E_NS1_11comp_targetILNS1_3genE8ELNS1_11target_archE1030ELNS1_3gpuE2ELNS1_3repE0EEENS1_30default_config_static_selectorELNS0_4arch9wavefront6targetE0EEEvSH_,"axG",@progbits,_ZN7rocprim17ROCPRIM_400000_NS6detail17trampoline_kernelINS0_14default_configENS1_36segmented_radix_sort_config_selectorIllEEZNS1_25segmented_radix_sort_implIS3_Lb0EPKlPlS8_S9_N2at6native12_GLOBAL__N_18offset_tEEE10hipError_tPvRmT1_PNSt15iterator_traitsISH_E10value_typeET2_T3_PNSI_ISN_E10value_typeET4_jRbjT5_ST_jjP12ihipStream_tbEUlT_E_NS1_11comp_targetILNS1_3genE8ELNS1_11target_archE1030ELNS1_3gpuE2ELNS1_3repE0EEENS1_30default_config_static_selectorELNS0_4arch9wavefront6targetE0EEEvSH_,comdat
.Lfunc_end816:
	.size	_ZN7rocprim17ROCPRIM_400000_NS6detail17trampoline_kernelINS0_14default_configENS1_36segmented_radix_sort_config_selectorIllEEZNS1_25segmented_radix_sort_implIS3_Lb0EPKlPlS8_S9_N2at6native12_GLOBAL__N_18offset_tEEE10hipError_tPvRmT1_PNSt15iterator_traitsISH_E10value_typeET2_T3_PNSI_ISN_E10value_typeET4_jRbjT5_ST_jjP12ihipStream_tbEUlT_E_NS1_11comp_targetILNS1_3genE8ELNS1_11target_archE1030ELNS1_3gpuE2ELNS1_3repE0EEENS1_30default_config_static_selectorELNS0_4arch9wavefront6targetE0EEEvSH_, .Lfunc_end816-_ZN7rocprim17ROCPRIM_400000_NS6detail17trampoline_kernelINS0_14default_configENS1_36segmented_radix_sort_config_selectorIllEEZNS1_25segmented_radix_sort_implIS3_Lb0EPKlPlS8_S9_N2at6native12_GLOBAL__N_18offset_tEEE10hipError_tPvRmT1_PNSt15iterator_traitsISH_E10value_typeET2_T3_PNSI_ISN_E10value_typeET4_jRbjT5_ST_jjP12ihipStream_tbEUlT_E_NS1_11comp_targetILNS1_3genE8ELNS1_11target_archE1030ELNS1_3gpuE2ELNS1_3repE0EEENS1_30default_config_static_selectorELNS0_4arch9wavefront6targetE0EEEvSH_
                                        ; -- End function
	.set _ZN7rocprim17ROCPRIM_400000_NS6detail17trampoline_kernelINS0_14default_configENS1_36segmented_radix_sort_config_selectorIllEEZNS1_25segmented_radix_sort_implIS3_Lb0EPKlPlS8_S9_N2at6native12_GLOBAL__N_18offset_tEEE10hipError_tPvRmT1_PNSt15iterator_traitsISH_E10value_typeET2_T3_PNSI_ISN_E10value_typeET4_jRbjT5_ST_jjP12ihipStream_tbEUlT_E_NS1_11comp_targetILNS1_3genE8ELNS1_11target_archE1030ELNS1_3gpuE2ELNS1_3repE0EEENS1_30default_config_static_selectorELNS0_4arch9wavefront6targetE0EEEvSH_.num_vgpr, 0
	.set _ZN7rocprim17ROCPRIM_400000_NS6detail17trampoline_kernelINS0_14default_configENS1_36segmented_radix_sort_config_selectorIllEEZNS1_25segmented_radix_sort_implIS3_Lb0EPKlPlS8_S9_N2at6native12_GLOBAL__N_18offset_tEEE10hipError_tPvRmT1_PNSt15iterator_traitsISH_E10value_typeET2_T3_PNSI_ISN_E10value_typeET4_jRbjT5_ST_jjP12ihipStream_tbEUlT_E_NS1_11comp_targetILNS1_3genE8ELNS1_11target_archE1030ELNS1_3gpuE2ELNS1_3repE0EEENS1_30default_config_static_selectorELNS0_4arch9wavefront6targetE0EEEvSH_.num_agpr, 0
	.set _ZN7rocprim17ROCPRIM_400000_NS6detail17trampoline_kernelINS0_14default_configENS1_36segmented_radix_sort_config_selectorIllEEZNS1_25segmented_radix_sort_implIS3_Lb0EPKlPlS8_S9_N2at6native12_GLOBAL__N_18offset_tEEE10hipError_tPvRmT1_PNSt15iterator_traitsISH_E10value_typeET2_T3_PNSI_ISN_E10value_typeET4_jRbjT5_ST_jjP12ihipStream_tbEUlT_E_NS1_11comp_targetILNS1_3genE8ELNS1_11target_archE1030ELNS1_3gpuE2ELNS1_3repE0EEENS1_30default_config_static_selectorELNS0_4arch9wavefront6targetE0EEEvSH_.numbered_sgpr, 0
	.set _ZN7rocprim17ROCPRIM_400000_NS6detail17trampoline_kernelINS0_14default_configENS1_36segmented_radix_sort_config_selectorIllEEZNS1_25segmented_radix_sort_implIS3_Lb0EPKlPlS8_S9_N2at6native12_GLOBAL__N_18offset_tEEE10hipError_tPvRmT1_PNSt15iterator_traitsISH_E10value_typeET2_T3_PNSI_ISN_E10value_typeET4_jRbjT5_ST_jjP12ihipStream_tbEUlT_E_NS1_11comp_targetILNS1_3genE8ELNS1_11target_archE1030ELNS1_3gpuE2ELNS1_3repE0EEENS1_30default_config_static_selectorELNS0_4arch9wavefront6targetE0EEEvSH_.num_named_barrier, 0
	.set _ZN7rocprim17ROCPRIM_400000_NS6detail17trampoline_kernelINS0_14default_configENS1_36segmented_radix_sort_config_selectorIllEEZNS1_25segmented_radix_sort_implIS3_Lb0EPKlPlS8_S9_N2at6native12_GLOBAL__N_18offset_tEEE10hipError_tPvRmT1_PNSt15iterator_traitsISH_E10value_typeET2_T3_PNSI_ISN_E10value_typeET4_jRbjT5_ST_jjP12ihipStream_tbEUlT_E_NS1_11comp_targetILNS1_3genE8ELNS1_11target_archE1030ELNS1_3gpuE2ELNS1_3repE0EEENS1_30default_config_static_selectorELNS0_4arch9wavefront6targetE0EEEvSH_.private_seg_size, 0
	.set _ZN7rocprim17ROCPRIM_400000_NS6detail17trampoline_kernelINS0_14default_configENS1_36segmented_radix_sort_config_selectorIllEEZNS1_25segmented_radix_sort_implIS3_Lb0EPKlPlS8_S9_N2at6native12_GLOBAL__N_18offset_tEEE10hipError_tPvRmT1_PNSt15iterator_traitsISH_E10value_typeET2_T3_PNSI_ISN_E10value_typeET4_jRbjT5_ST_jjP12ihipStream_tbEUlT_E_NS1_11comp_targetILNS1_3genE8ELNS1_11target_archE1030ELNS1_3gpuE2ELNS1_3repE0EEENS1_30default_config_static_selectorELNS0_4arch9wavefront6targetE0EEEvSH_.uses_vcc, 0
	.set _ZN7rocprim17ROCPRIM_400000_NS6detail17trampoline_kernelINS0_14default_configENS1_36segmented_radix_sort_config_selectorIllEEZNS1_25segmented_radix_sort_implIS3_Lb0EPKlPlS8_S9_N2at6native12_GLOBAL__N_18offset_tEEE10hipError_tPvRmT1_PNSt15iterator_traitsISH_E10value_typeET2_T3_PNSI_ISN_E10value_typeET4_jRbjT5_ST_jjP12ihipStream_tbEUlT_E_NS1_11comp_targetILNS1_3genE8ELNS1_11target_archE1030ELNS1_3gpuE2ELNS1_3repE0EEENS1_30default_config_static_selectorELNS0_4arch9wavefront6targetE0EEEvSH_.uses_flat_scratch, 0
	.set _ZN7rocprim17ROCPRIM_400000_NS6detail17trampoline_kernelINS0_14default_configENS1_36segmented_radix_sort_config_selectorIllEEZNS1_25segmented_radix_sort_implIS3_Lb0EPKlPlS8_S9_N2at6native12_GLOBAL__N_18offset_tEEE10hipError_tPvRmT1_PNSt15iterator_traitsISH_E10value_typeET2_T3_PNSI_ISN_E10value_typeET4_jRbjT5_ST_jjP12ihipStream_tbEUlT_E_NS1_11comp_targetILNS1_3genE8ELNS1_11target_archE1030ELNS1_3gpuE2ELNS1_3repE0EEENS1_30default_config_static_selectorELNS0_4arch9wavefront6targetE0EEEvSH_.has_dyn_sized_stack, 0
	.set _ZN7rocprim17ROCPRIM_400000_NS6detail17trampoline_kernelINS0_14default_configENS1_36segmented_radix_sort_config_selectorIllEEZNS1_25segmented_radix_sort_implIS3_Lb0EPKlPlS8_S9_N2at6native12_GLOBAL__N_18offset_tEEE10hipError_tPvRmT1_PNSt15iterator_traitsISH_E10value_typeET2_T3_PNSI_ISN_E10value_typeET4_jRbjT5_ST_jjP12ihipStream_tbEUlT_E_NS1_11comp_targetILNS1_3genE8ELNS1_11target_archE1030ELNS1_3gpuE2ELNS1_3repE0EEENS1_30default_config_static_selectorELNS0_4arch9wavefront6targetE0EEEvSH_.has_recursion, 0
	.set _ZN7rocprim17ROCPRIM_400000_NS6detail17trampoline_kernelINS0_14default_configENS1_36segmented_radix_sort_config_selectorIllEEZNS1_25segmented_radix_sort_implIS3_Lb0EPKlPlS8_S9_N2at6native12_GLOBAL__N_18offset_tEEE10hipError_tPvRmT1_PNSt15iterator_traitsISH_E10value_typeET2_T3_PNSI_ISN_E10value_typeET4_jRbjT5_ST_jjP12ihipStream_tbEUlT_E_NS1_11comp_targetILNS1_3genE8ELNS1_11target_archE1030ELNS1_3gpuE2ELNS1_3repE0EEENS1_30default_config_static_selectorELNS0_4arch9wavefront6targetE0EEEvSH_.has_indirect_call, 0
	.section	.AMDGPU.csdata,"",@progbits
; Kernel info:
; codeLenInByte = 0
; TotalNumSgprs: 0
; NumVgprs: 0
; ScratchSize: 0
; MemoryBound: 0
; FloatMode: 240
; IeeeMode: 1
; LDSByteSize: 0 bytes/workgroup (compile time only)
; SGPRBlocks: 0
; VGPRBlocks: 0
; NumSGPRsForWavesPerEU: 1
; NumVGPRsForWavesPerEU: 1
; Occupancy: 16
; WaveLimiterHint : 0
; COMPUTE_PGM_RSRC2:SCRATCH_EN: 0
; COMPUTE_PGM_RSRC2:USER_SGPR: 2
; COMPUTE_PGM_RSRC2:TRAP_HANDLER: 0
; COMPUTE_PGM_RSRC2:TGID_X_EN: 1
; COMPUTE_PGM_RSRC2:TGID_Y_EN: 0
; COMPUTE_PGM_RSRC2:TGID_Z_EN: 0
; COMPUTE_PGM_RSRC2:TIDIG_COMP_CNT: 0
	.section	.text._ZN7rocprim17ROCPRIM_400000_NS6detail17trampoline_kernelINS0_14default_configENS1_36segmented_radix_sort_config_selectorIllEEZNS1_25segmented_radix_sort_implIS3_Lb0EPKlPlS8_S9_N2at6native12_GLOBAL__N_18offset_tEEE10hipError_tPvRmT1_PNSt15iterator_traitsISH_E10value_typeET2_T3_PNSI_ISN_E10value_typeET4_jRbjT5_ST_jjP12ihipStream_tbEUlT_E0_NS1_11comp_targetILNS1_3genE0ELNS1_11target_archE4294967295ELNS1_3gpuE0ELNS1_3repE0EEENS1_60segmented_radix_sort_warp_sort_medium_config_static_selectorELNS0_4arch9wavefront6targetE0EEEvSH_,"axG",@progbits,_ZN7rocprim17ROCPRIM_400000_NS6detail17trampoline_kernelINS0_14default_configENS1_36segmented_radix_sort_config_selectorIllEEZNS1_25segmented_radix_sort_implIS3_Lb0EPKlPlS8_S9_N2at6native12_GLOBAL__N_18offset_tEEE10hipError_tPvRmT1_PNSt15iterator_traitsISH_E10value_typeET2_T3_PNSI_ISN_E10value_typeET4_jRbjT5_ST_jjP12ihipStream_tbEUlT_E0_NS1_11comp_targetILNS1_3genE0ELNS1_11target_archE4294967295ELNS1_3gpuE0ELNS1_3repE0EEENS1_60segmented_radix_sort_warp_sort_medium_config_static_selectorELNS0_4arch9wavefront6targetE0EEEvSH_,comdat
	.globl	_ZN7rocprim17ROCPRIM_400000_NS6detail17trampoline_kernelINS0_14default_configENS1_36segmented_radix_sort_config_selectorIllEEZNS1_25segmented_radix_sort_implIS3_Lb0EPKlPlS8_S9_N2at6native12_GLOBAL__N_18offset_tEEE10hipError_tPvRmT1_PNSt15iterator_traitsISH_E10value_typeET2_T3_PNSI_ISN_E10value_typeET4_jRbjT5_ST_jjP12ihipStream_tbEUlT_E0_NS1_11comp_targetILNS1_3genE0ELNS1_11target_archE4294967295ELNS1_3gpuE0ELNS1_3repE0EEENS1_60segmented_radix_sort_warp_sort_medium_config_static_selectorELNS0_4arch9wavefront6targetE0EEEvSH_ ; -- Begin function _ZN7rocprim17ROCPRIM_400000_NS6detail17trampoline_kernelINS0_14default_configENS1_36segmented_radix_sort_config_selectorIllEEZNS1_25segmented_radix_sort_implIS3_Lb0EPKlPlS8_S9_N2at6native12_GLOBAL__N_18offset_tEEE10hipError_tPvRmT1_PNSt15iterator_traitsISH_E10value_typeET2_T3_PNSI_ISN_E10value_typeET4_jRbjT5_ST_jjP12ihipStream_tbEUlT_E0_NS1_11comp_targetILNS1_3genE0ELNS1_11target_archE4294967295ELNS1_3gpuE0ELNS1_3repE0EEENS1_60segmented_radix_sort_warp_sort_medium_config_static_selectorELNS0_4arch9wavefront6targetE0EEEvSH_
	.p2align	8
	.type	_ZN7rocprim17ROCPRIM_400000_NS6detail17trampoline_kernelINS0_14default_configENS1_36segmented_radix_sort_config_selectorIllEEZNS1_25segmented_radix_sort_implIS3_Lb0EPKlPlS8_S9_N2at6native12_GLOBAL__N_18offset_tEEE10hipError_tPvRmT1_PNSt15iterator_traitsISH_E10value_typeET2_T3_PNSI_ISN_E10value_typeET4_jRbjT5_ST_jjP12ihipStream_tbEUlT_E0_NS1_11comp_targetILNS1_3genE0ELNS1_11target_archE4294967295ELNS1_3gpuE0ELNS1_3repE0EEENS1_60segmented_radix_sort_warp_sort_medium_config_static_selectorELNS0_4arch9wavefront6targetE0EEEvSH_,@function
_ZN7rocprim17ROCPRIM_400000_NS6detail17trampoline_kernelINS0_14default_configENS1_36segmented_radix_sort_config_selectorIllEEZNS1_25segmented_radix_sort_implIS3_Lb0EPKlPlS8_S9_N2at6native12_GLOBAL__N_18offset_tEEE10hipError_tPvRmT1_PNSt15iterator_traitsISH_E10value_typeET2_T3_PNSI_ISN_E10value_typeET4_jRbjT5_ST_jjP12ihipStream_tbEUlT_E0_NS1_11comp_targetILNS1_3genE0ELNS1_11target_archE4294967295ELNS1_3gpuE0ELNS1_3repE0EEENS1_60segmented_radix_sort_warp_sort_medium_config_static_selectorELNS0_4arch9wavefront6targetE0EEEvSH_: ; @_ZN7rocprim17ROCPRIM_400000_NS6detail17trampoline_kernelINS0_14default_configENS1_36segmented_radix_sort_config_selectorIllEEZNS1_25segmented_radix_sort_implIS3_Lb0EPKlPlS8_S9_N2at6native12_GLOBAL__N_18offset_tEEE10hipError_tPvRmT1_PNSt15iterator_traitsISH_E10value_typeET2_T3_PNSI_ISN_E10value_typeET4_jRbjT5_ST_jjP12ihipStream_tbEUlT_E0_NS1_11comp_targetILNS1_3genE0ELNS1_11target_archE4294967295ELNS1_3gpuE0ELNS1_3repE0EEENS1_60segmented_radix_sort_warp_sort_medium_config_static_selectorELNS0_4arch9wavefront6targetE0EEEvSH_
; %bb.0:
	.section	.rodata,"a",@progbits
	.p2align	6, 0x0
	.amdhsa_kernel _ZN7rocprim17ROCPRIM_400000_NS6detail17trampoline_kernelINS0_14default_configENS1_36segmented_radix_sort_config_selectorIllEEZNS1_25segmented_radix_sort_implIS3_Lb0EPKlPlS8_S9_N2at6native12_GLOBAL__N_18offset_tEEE10hipError_tPvRmT1_PNSt15iterator_traitsISH_E10value_typeET2_T3_PNSI_ISN_E10value_typeET4_jRbjT5_ST_jjP12ihipStream_tbEUlT_E0_NS1_11comp_targetILNS1_3genE0ELNS1_11target_archE4294967295ELNS1_3gpuE0ELNS1_3repE0EEENS1_60segmented_radix_sort_warp_sort_medium_config_static_selectorELNS0_4arch9wavefront6targetE0EEEvSH_
		.amdhsa_group_segment_fixed_size 0
		.amdhsa_private_segment_fixed_size 0
		.amdhsa_kernarg_size 88
		.amdhsa_user_sgpr_count 2
		.amdhsa_user_sgpr_dispatch_ptr 0
		.amdhsa_user_sgpr_queue_ptr 0
		.amdhsa_user_sgpr_kernarg_segment_ptr 1
		.amdhsa_user_sgpr_dispatch_id 0
		.amdhsa_user_sgpr_private_segment_size 0
		.amdhsa_wavefront_size32 1
		.amdhsa_uses_dynamic_stack 0
		.amdhsa_enable_private_segment 0
		.amdhsa_system_sgpr_workgroup_id_x 1
		.amdhsa_system_sgpr_workgroup_id_y 0
		.amdhsa_system_sgpr_workgroup_id_z 0
		.amdhsa_system_sgpr_workgroup_info 0
		.amdhsa_system_vgpr_workitem_id 0
		.amdhsa_next_free_vgpr 1
		.amdhsa_next_free_sgpr 1
		.amdhsa_reserve_vcc 0
		.amdhsa_float_round_mode_32 0
		.amdhsa_float_round_mode_16_64 0
		.amdhsa_float_denorm_mode_32 3
		.amdhsa_float_denorm_mode_16_64 3
		.amdhsa_fp16_overflow 0
		.amdhsa_workgroup_processor_mode 1
		.amdhsa_memory_ordered 1
		.amdhsa_forward_progress 1
		.amdhsa_inst_pref_size 0
		.amdhsa_round_robin_scheduling 0
		.amdhsa_exception_fp_ieee_invalid_op 0
		.amdhsa_exception_fp_denorm_src 0
		.amdhsa_exception_fp_ieee_div_zero 0
		.amdhsa_exception_fp_ieee_overflow 0
		.amdhsa_exception_fp_ieee_underflow 0
		.amdhsa_exception_fp_ieee_inexact 0
		.amdhsa_exception_int_div_zero 0
	.end_amdhsa_kernel
	.section	.text._ZN7rocprim17ROCPRIM_400000_NS6detail17trampoline_kernelINS0_14default_configENS1_36segmented_radix_sort_config_selectorIllEEZNS1_25segmented_radix_sort_implIS3_Lb0EPKlPlS8_S9_N2at6native12_GLOBAL__N_18offset_tEEE10hipError_tPvRmT1_PNSt15iterator_traitsISH_E10value_typeET2_T3_PNSI_ISN_E10value_typeET4_jRbjT5_ST_jjP12ihipStream_tbEUlT_E0_NS1_11comp_targetILNS1_3genE0ELNS1_11target_archE4294967295ELNS1_3gpuE0ELNS1_3repE0EEENS1_60segmented_radix_sort_warp_sort_medium_config_static_selectorELNS0_4arch9wavefront6targetE0EEEvSH_,"axG",@progbits,_ZN7rocprim17ROCPRIM_400000_NS6detail17trampoline_kernelINS0_14default_configENS1_36segmented_radix_sort_config_selectorIllEEZNS1_25segmented_radix_sort_implIS3_Lb0EPKlPlS8_S9_N2at6native12_GLOBAL__N_18offset_tEEE10hipError_tPvRmT1_PNSt15iterator_traitsISH_E10value_typeET2_T3_PNSI_ISN_E10value_typeET4_jRbjT5_ST_jjP12ihipStream_tbEUlT_E0_NS1_11comp_targetILNS1_3genE0ELNS1_11target_archE4294967295ELNS1_3gpuE0ELNS1_3repE0EEENS1_60segmented_radix_sort_warp_sort_medium_config_static_selectorELNS0_4arch9wavefront6targetE0EEEvSH_,comdat
.Lfunc_end817:
	.size	_ZN7rocprim17ROCPRIM_400000_NS6detail17trampoline_kernelINS0_14default_configENS1_36segmented_radix_sort_config_selectorIllEEZNS1_25segmented_radix_sort_implIS3_Lb0EPKlPlS8_S9_N2at6native12_GLOBAL__N_18offset_tEEE10hipError_tPvRmT1_PNSt15iterator_traitsISH_E10value_typeET2_T3_PNSI_ISN_E10value_typeET4_jRbjT5_ST_jjP12ihipStream_tbEUlT_E0_NS1_11comp_targetILNS1_3genE0ELNS1_11target_archE4294967295ELNS1_3gpuE0ELNS1_3repE0EEENS1_60segmented_radix_sort_warp_sort_medium_config_static_selectorELNS0_4arch9wavefront6targetE0EEEvSH_, .Lfunc_end817-_ZN7rocprim17ROCPRIM_400000_NS6detail17trampoline_kernelINS0_14default_configENS1_36segmented_radix_sort_config_selectorIllEEZNS1_25segmented_radix_sort_implIS3_Lb0EPKlPlS8_S9_N2at6native12_GLOBAL__N_18offset_tEEE10hipError_tPvRmT1_PNSt15iterator_traitsISH_E10value_typeET2_T3_PNSI_ISN_E10value_typeET4_jRbjT5_ST_jjP12ihipStream_tbEUlT_E0_NS1_11comp_targetILNS1_3genE0ELNS1_11target_archE4294967295ELNS1_3gpuE0ELNS1_3repE0EEENS1_60segmented_radix_sort_warp_sort_medium_config_static_selectorELNS0_4arch9wavefront6targetE0EEEvSH_
                                        ; -- End function
	.set _ZN7rocprim17ROCPRIM_400000_NS6detail17trampoline_kernelINS0_14default_configENS1_36segmented_radix_sort_config_selectorIllEEZNS1_25segmented_radix_sort_implIS3_Lb0EPKlPlS8_S9_N2at6native12_GLOBAL__N_18offset_tEEE10hipError_tPvRmT1_PNSt15iterator_traitsISH_E10value_typeET2_T3_PNSI_ISN_E10value_typeET4_jRbjT5_ST_jjP12ihipStream_tbEUlT_E0_NS1_11comp_targetILNS1_3genE0ELNS1_11target_archE4294967295ELNS1_3gpuE0ELNS1_3repE0EEENS1_60segmented_radix_sort_warp_sort_medium_config_static_selectorELNS0_4arch9wavefront6targetE0EEEvSH_.num_vgpr, 0
	.set _ZN7rocprim17ROCPRIM_400000_NS6detail17trampoline_kernelINS0_14default_configENS1_36segmented_radix_sort_config_selectorIllEEZNS1_25segmented_radix_sort_implIS3_Lb0EPKlPlS8_S9_N2at6native12_GLOBAL__N_18offset_tEEE10hipError_tPvRmT1_PNSt15iterator_traitsISH_E10value_typeET2_T3_PNSI_ISN_E10value_typeET4_jRbjT5_ST_jjP12ihipStream_tbEUlT_E0_NS1_11comp_targetILNS1_3genE0ELNS1_11target_archE4294967295ELNS1_3gpuE0ELNS1_3repE0EEENS1_60segmented_radix_sort_warp_sort_medium_config_static_selectorELNS0_4arch9wavefront6targetE0EEEvSH_.num_agpr, 0
	.set _ZN7rocprim17ROCPRIM_400000_NS6detail17trampoline_kernelINS0_14default_configENS1_36segmented_radix_sort_config_selectorIllEEZNS1_25segmented_radix_sort_implIS3_Lb0EPKlPlS8_S9_N2at6native12_GLOBAL__N_18offset_tEEE10hipError_tPvRmT1_PNSt15iterator_traitsISH_E10value_typeET2_T3_PNSI_ISN_E10value_typeET4_jRbjT5_ST_jjP12ihipStream_tbEUlT_E0_NS1_11comp_targetILNS1_3genE0ELNS1_11target_archE4294967295ELNS1_3gpuE0ELNS1_3repE0EEENS1_60segmented_radix_sort_warp_sort_medium_config_static_selectorELNS0_4arch9wavefront6targetE0EEEvSH_.numbered_sgpr, 0
	.set _ZN7rocprim17ROCPRIM_400000_NS6detail17trampoline_kernelINS0_14default_configENS1_36segmented_radix_sort_config_selectorIllEEZNS1_25segmented_radix_sort_implIS3_Lb0EPKlPlS8_S9_N2at6native12_GLOBAL__N_18offset_tEEE10hipError_tPvRmT1_PNSt15iterator_traitsISH_E10value_typeET2_T3_PNSI_ISN_E10value_typeET4_jRbjT5_ST_jjP12ihipStream_tbEUlT_E0_NS1_11comp_targetILNS1_3genE0ELNS1_11target_archE4294967295ELNS1_3gpuE0ELNS1_3repE0EEENS1_60segmented_radix_sort_warp_sort_medium_config_static_selectorELNS0_4arch9wavefront6targetE0EEEvSH_.num_named_barrier, 0
	.set _ZN7rocprim17ROCPRIM_400000_NS6detail17trampoline_kernelINS0_14default_configENS1_36segmented_radix_sort_config_selectorIllEEZNS1_25segmented_radix_sort_implIS3_Lb0EPKlPlS8_S9_N2at6native12_GLOBAL__N_18offset_tEEE10hipError_tPvRmT1_PNSt15iterator_traitsISH_E10value_typeET2_T3_PNSI_ISN_E10value_typeET4_jRbjT5_ST_jjP12ihipStream_tbEUlT_E0_NS1_11comp_targetILNS1_3genE0ELNS1_11target_archE4294967295ELNS1_3gpuE0ELNS1_3repE0EEENS1_60segmented_radix_sort_warp_sort_medium_config_static_selectorELNS0_4arch9wavefront6targetE0EEEvSH_.private_seg_size, 0
	.set _ZN7rocprim17ROCPRIM_400000_NS6detail17trampoline_kernelINS0_14default_configENS1_36segmented_radix_sort_config_selectorIllEEZNS1_25segmented_radix_sort_implIS3_Lb0EPKlPlS8_S9_N2at6native12_GLOBAL__N_18offset_tEEE10hipError_tPvRmT1_PNSt15iterator_traitsISH_E10value_typeET2_T3_PNSI_ISN_E10value_typeET4_jRbjT5_ST_jjP12ihipStream_tbEUlT_E0_NS1_11comp_targetILNS1_3genE0ELNS1_11target_archE4294967295ELNS1_3gpuE0ELNS1_3repE0EEENS1_60segmented_radix_sort_warp_sort_medium_config_static_selectorELNS0_4arch9wavefront6targetE0EEEvSH_.uses_vcc, 0
	.set _ZN7rocprim17ROCPRIM_400000_NS6detail17trampoline_kernelINS0_14default_configENS1_36segmented_radix_sort_config_selectorIllEEZNS1_25segmented_radix_sort_implIS3_Lb0EPKlPlS8_S9_N2at6native12_GLOBAL__N_18offset_tEEE10hipError_tPvRmT1_PNSt15iterator_traitsISH_E10value_typeET2_T3_PNSI_ISN_E10value_typeET4_jRbjT5_ST_jjP12ihipStream_tbEUlT_E0_NS1_11comp_targetILNS1_3genE0ELNS1_11target_archE4294967295ELNS1_3gpuE0ELNS1_3repE0EEENS1_60segmented_radix_sort_warp_sort_medium_config_static_selectorELNS0_4arch9wavefront6targetE0EEEvSH_.uses_flat_scratch, 0
	.set _ZN7rocprim17ROCPRIM_400000_NS6detail17trampoline_kernelINS0_14default_configENS1_36segmented_radix_sort_config_selectorIllEEZNS1_25segmented_radix_sort_implIS3_Lb0EPKlPlS8_S9_N2at6native12_GLOBAL__N_18offset_tEEE10hipError_tPvRmT1_PNSt15iterator_traitsISH_E10value_typeET2_T3_PNSI_ISN_E10value_typeET4_jRbjT5_ST_jjP12ihipStream_tbEUlT_E0_NS1_11comp_targetILNS1_3genE0ELNS1_11target_archE4294967295ELNS1_3gpuE0ELNS1_3repE0EEENS1_60segmented_radix_sort_warp_sort_medium_config_static_selectorELNS0_4arch9wavefront6targetE0EEEvSH_.has_dyn_sized_stack, 0
	.set _ZN7rocprim17ROCPRIM_400000_NS6detail17trampoline_kernelINS0_14default_configENS1_36segmented_radix_sort_config_selectorIllEEZNS1_25segmented_radix_sort_implIS3_Lb0EPKlPlS8_S9_N2at6native12_GLOBAL__N_18offset_tEEE10hipError_tPvRmT1_PNSt15iterator_traitsISH_E10value_typeET2_T3_PNSI_ISN_E10value_typeET4_jRbjT5_ST_jjP12ihipStream_tbEUlT_E0_NS1_11comp_targetILNS1_3genE0ELNS1_11target_archE4294967295ELNS1_3gpuE0ELNS1_3repE0EEENS1_60segmented_radix_sort_warp_sort_medium_config_static_selectorELNS0_4arch9wavefront6targetE0EEEvSH_.has_recursion, 0
	.set _ZN7rocprim17ROCPRIM_400000_NS6detail17trampoline_kernelINS0_14default_configENS1_36segmented_radix_sort_config_selectorIllEEZNS1_25segmented_radix_sort_implIS3_Lb0EPKlPlS8_S9_N2at6native12_GLOBAL__N_18offset_tEEE10hipError_tPvRmT1_PNSt15iterator_traitsISH_E10value_typeET2_T3_PNSI_ISN_E10value_typeET4_jRbjT5_ST_jjP12ihipStream_tbEUlT_E0_NS1_11comp_targetILNS1_3genE0ELNS1_11target_archE4294967295ELNS1_3gpuE0ELNS1_3repE0EEENS1_60segmented_radix_sort_warp_sort_medium_config_static_selectorELNS0_4arch9wavefront6targetE0EEEvSH_.has_indirect_call, 0
	.section	.AMDGPU.csdata,"",@progbits
; Kernel info:
; codeLenInByte = 0
; TotalNumSgprs: 0
; NumVgprs: 0
; ScratchSize: 0
; MemoryBound: 0
; FloatMode: 240
; IeeeMode: 1
; LDSByteSize: 0 bytes/workgroup (compile time only)
; SGPRBlocks: 0
; VGPRBlocks: 0
; NumSGPRsForWavesPerEU: 1
; NumVGPRsForWavesPerEU: 1
; Occupancy: 16
; WaveLimiterHint : 0
; COMPUTE_PGM_RSRC2:SCRATCH_EN: 0
; COMPUTE_PGM_RSRC2:USER_SGPR: 2
; COMPUTE_PGM_RSRC2:TRAP_HANDLER: 0
; COMPUTE_PGM_RSRC2:TGID_X_EN: 1
; COMPUTE_PGM_RSRC2:TGID_Y_EN: 0
; COMPUTE_PGM_RSRC2:TGID_Z_EN: 0
; COMPUTE_PGM_RSRC2:TIDIG_COMP_CNT: 0
	.section	.text._ZN7rocprim17ROCPRIM_400000_NS6detail17trampoline_kernelINS0_14default_configENS1_36segmented_radix_sort_config_selectorIllEEZNS1_25segmented_radix_sort_implIS3_Lb0EPKlPlS8_S9_N2at6native12_GLOBAL__N_18offset_tEEE10hipError_tPvRmT1_PNSt15iterator_traitsISH_E10value_typeET2_T3_PNSI_ISN_E10value_typeET4_jRbjT5_ST_jjP12ihipStream_tbEUlT_E0_NS1_11comp_targetILNS1_3genE5ELNS1_11target_archE942ELNS1_3gpuE9ELNS1_3repE0EEENS1_60segmented_radix_sort_warp_sort_medium_config_static_selectorELNS0_4arch9wavefront6targetE0EEEvSH_,"axG",@progbits,_ZN7rocprim17ROCPRIM_400000_NS6detail17trampoline_kernelINS0_14default_configENS1_36segmented_radix_sort_config_selectorIllEEZNS1_25segmented_radix_sort_implIS3_Lb0EPKlPlS8_S9_N2at6native12_GLOBAL__N_18offset_tEEE10hipError_tPvRmT1_PNSt15iterator_traitsISH_E10value_typeET2_T3_PNSI_ISN_E10value_typeET4_jRbjT5_ST_jjP12ihipStream_tbEUlT_E0_NS1_11comp_targetILNS1_3genE5ELNS1_11target_archE942ELNS1_3gpuE9ELNS1_3repE0EEENS1_60segmented_radix_sort_warp_sort_medium_config_static_selectorELNS0_4arch9wavefront6targetE0EEEvSH_,comdat
	.globl	_ZN7rocprim17ROCPRIM_400000_NS6detail17trampoline_kernelINS0_14default_configENS1_36segmented_radix_sort_config_selectorIllEEZNS1_25segmented_radix_sort_implIS3_Lb0EPKlPlS8_S9_N2at6native12_GLOBAL__N_18offset_tEEE10hipError_tPvRmT1_PNSt15iterator_traitsISH_E10value_typeET2_T3_PNSI_ISN_E10value_typeET4_jRbjT5_ST_jjP12ihipStream_tbEUlT_E0_NS1_11comp_targetILNS1_3genE5ELNS1_11target_archE942ELNS1_3gpuE9ELNS1_3repE0EEENS1_60segmented_radix_sort_warp_sort_medium_config_static_selectorELNS0_4arch9wavefront6targetE0EEEvSH_ ; -- Begin function _ZN7rocprim17ROCPRIM_400000_NS6detail17trampoline_kernelINS0_14default_configENS1_36segmented_radix_sort_config_selectorIllEEZNS1_25segmented_radix_sort_implIS3_Lb0EPKlPlS8_S9_N2at6native12_GLOBAL__N_18offset_tEEE10hipError_tPvRmT1_PNSt15iterator_traitsISH_E10value_typeET2_T3_PNSI_ISN_E10value_typeET4_jRbjT5_ST_jjP12ihipStream_tbEUlT_E0_NS1_11comp_targetILNS1_3genE5ELNS1_11target_archE942ELNS1_3gpuE9ELNS1_3repE0EEENS1_60segmented_radix_sort_warp_sort_medium_config_static_selectorELNS0_4arch9wavefront6targetE0EEEvSH_
	.p2align	8
	.type	_ZN7rocprim17ROCPRIM_400000_NS6detail17trampoline_kernelINS0_14default_configENS1_36segmented_radix_sort_config_selectorIllEEZNS1_25segmented_radix_sort_implIS3_Lb0EPKlPlS8_S9_N2at6native12_GLOBAL__N_18offset_tEEE10hipError_tPvRmT1_PNSt15iterator_traitsISH_E10value_typeET2_T3_PNSI_ISN_E10value_typeET4_jRbjT5_ST_jjP12ihipStream_tbEUlT_E0_NS1_11comp_targetILNS1_3genE5ELNS1_11target_archE942ELNS1_3gpuE9ELNS1_3repE0EEENS1_60segmented_radix_sort_warp_sort_medium_config_static_selectorELNS0_4arch9wavefront6targetE0EEEvSH_,@function
_ZN7rocprim17ROCPRIM_400000_NS6detail17trampoline_kernelINS0_14default_configENS1_36segmented_radix_sort_config_selectorIllEEZNS1_25segmented_radix_sort_implIS3_Lb0EPKlPlS8_S9_N2at6native12_GLOBAL__N_18offset_tEEE10hipError_tPvRmT1_PNSt15iterator_traitsISH_E10value_typeET2_T3_PNSI_ISN_E10value_typeET4_jRbjT5_ST_jjP12ihipStream_tbEUlT_E0_NS1_11comp_targetILNS1_3genE5ELNS1_11target_archE942ELNS1_3gpuE9ELNS1_3repE0EEENS1_60segmented_radix_sort_warp_sort_medium_config_static_selectorELNS0_4arch9wavefront6targetE0EEEvSH_: ; @_ZN7rocprim17ROCPRIM_400000_NS6detail17trampoline_kernelINS0_14default_configENS1_36segmented_radix_sort_config_selectorIllEEZNS1_25segmented_radix_sort_implIS3_Lb0EPKlPlS8_S9_N2at6native12_GLOBAL__N_18offset_tEEE10hipError_tPvRmT1_PNSt15iterator_traitsISH_E10value_typeET2_T3_PNSI_ISN_E10value_typeET4_jRbjT5_ST_jjP12ihipStream_tbEUlT_E0_NS1_11comp_targetILNS1_3genE5ELNS1_11target_archE942ELNS1_3gpuE9ELNS1_3repE0EEENS1_60segmented_radix_sort_warp_sort_medium_config_static_selectorELNS0_4arch9wavefront6targetE0EEEvSH_
; %bb.0:
	.section	.rodata,"a",@progbits
	.p2align	6, 0x0
	.amdhsa_kernel _ZN7rocprim17ROCPRIM_400000_NS6detail17trampoline_kernelINS0_14default_configENS1_36segmented_radix_sort_config_selectorIllEEZNS1_25segmented_radix_sort_implIS3_Lb0EPKlPlS8_S9_N2at6native12_GLOBAL__N_18offset_tEEE10hipError_tPvRmT1_PNSt15iterator_traitsISH_E10value_typeET2_T3_PNSI_ISN_E10value_typeET4_jRbjT5_ST_jjP12ihipStream_tbEUlT_E0_NS1_11comp_targetILNS1_3genE5ELNS1_11target_archE942ELNS1_3gpuE9ELNS1_3repE0EEENS1_60segmented_radix_sort_warp_sort_medium_config_static_selectorELNS0_4arch9wavefront6targetE0EEEvSH_
		.amdhsa_group_segment_fixed_size 0
		.amdhsa_private_segment_fixed_size 0
		.amdhsa_kernarg_size 88
		.amdhsa_user_sgpr_count 2
		.amdhsa_user_sgpr_dispatch_ptr 0
		.amdhsa_user_sgpr_queue_ptr 0
		.amdhsa_user_sgpr_kernarg_segment_ptr 1
		.amdhsa_user_sgpr_dispatch_id 0
		.amdhsa_user_sgpr_private_segment_size 0
		.amdhsa_wavefront_size32 1
		.amdhsa_uses_dynamic_stack 0
		.amdhsa_enable_private_segment 0
		.amdhsa_system_sgpr_workgroup_id_x 1
		.amdhsa_system_sgpr_workgroup_id_y 0
		.amdhsa_system_sgpr_workgroup_id_z 0
		.amdhsa_system_sgpr_workgroup_info 0
		.amdhsa_system_vgpr_workitem_id 0
		.amdhsa_next_free_vgpr 1
		.amdhsa_next_free_sgpr 1
		.amdhsa_reserve_vcc 0
		.amdhsa_float_round_mode_32 0
		.amdhsa_float_round_mode_16_64 0
		.amdhsa_float_denorm_mode_32 3
		.amdhsa_float_denorm_mode_16_64 3
		.amdhsa_fp16_overflow 0
		.amdhsa_workgroup_processor_mode 1
		.amdhsa_memory_ordered 1
		.amdhsa_forward_progress 1
		.amdhsa_inst_pref_size 0
		.amdhsa_round_robin_scheduling 0
		.amdhsa_exception_fp_ieee_invalid_op 0
		.amdhsa_exception_fp_denorm_src 0
		.amdhsa_exception_fp_ieee_div_zero 0
		.amdhsa_exception_fp_ieee_overflow 0
		.amdhsa_exception_fp_ieee_underflow 0
		.amdhsa_exception_fp_ieee_inexact 0
		.amdhsa_exception_int_div_zero 0
	.end_amdhsa_kernel
	.section	.text._ZN7rocprim17ROCPRIM_400000_NS6detail17trampoline_kernelINS0_14default_configENS1_36segmented_radix_sort_config_selectorIllEEZNS1_25segmented_radix_sort_implIS3_Lb0EPKlPlS8_S9_N2at6native12_GLOBAL__N_18offset_tEEE10hipError_tPvRmT1_PNSt15iterator_traitsISH_E10value_typeET2_T3_PNSI_ISN_E10value_typeET4_jRbjT5_ST_jjP12ihipStream_tbEUlT_E0_NS1_11comp_targetILNS1_3genE5ELNS1_11target_archE942ELNS1_3gpuE9ELNS1_3repE0EEENS1_60segmented_radix_sort_warp_sort_medium_config_static_selectorELNS0_4arch9wavefront6targetE0EEEvSH_,"axG",@progbits,_ZN7rocprim17ROCPRIM_400000_NS6detail17trampoline_kernelINS0_14default_configENS1_36segmented_radix_sort_config_selectorIllEEZNS1_25segmented_radix_sort_implIS3_Lb0EPKlPlS8_S9_N2at6native12_GLOBAL__N_18offset_tEEE10hipError_tPvRmT1_PNSt15iterator_traitsISH_E10value_typeET2_T3_PNSI_ISN_E10value_typeET4_jRbjT5_ST_jjP12ihipStream_tbEUlT_E0_NS1_11comp_targetILNS1_3genE5ELNS1_11target_archE942ELNS1_3gpuE9ELNS1_3repE0EEENS1_60segmented_radix_sort_warp_sort_medium_config_static_selectorELNS0_4arch9wavefront6targetE0EEEvSH_,comdat
.Lfunc_end818:
	.size	_ZN7rocprim17ROCPRIM_400000_NS6detail17trampoline_kernelINS0_14default_configENS1_36segmented_radix_sort_config_selectorIllEEZNS1_25segmented_radix_sort_implIS3_Lb0EPKlPlS8_S9_N2at6native12_GLOBAL__N_18offset_tEEE10hipError_tPvRmT1_PNSt15iterator_traitsISH_E10value_typeET2_T3_PNSI_ISN_E10value_typeET4_jRbjT5_ST_jjP12ihipStream_tbEUlT_E0_NS1_11comp_targetILNS1_3genE5ELNS1_11target_archE942ELNS1_3gpuE9ELNS1_3repE0EEENS1_60segmented_radix_sort_warp_sort_medium_config_static_selectorELNS0_4arch9wavefront6targetE0EEEvSH_, .Lfunc_end818-_ZN7rocprim17ROCPRIM_400000_NS6detail17trampoline_kernelINS0_14default_configENS1_36segmented_radix_sort_config_selectorIllEEZNS1_25segmented_radix_sort_implIS3_Lb0EPKlPlS8_S9_N2at6native12_GLOBAL__N_18offset_tEEE10hipError_tPvRmT1_PNSt15iterator_traitsISH_E10value_typeET2_T3_PNSI_ISN_E10value_typeET4_jRbjT5_ST_jjP12ihipStream_tbEUlT_E0_NS1_11comp_targetILNS1_3genE5ELNS1_11target_archE942ELNS1_3gpuE9ELNS1_3repE0EEENS1_60segmented_radix_sort_warp_sort_medium_config_static_selectorELNS0_4arch9wavefront6targetE0EEEvSH_
                                        ; -- End function
	.set _ZN7rocprim17ROCPRIM_400000_NS6detail17trampoline_kernelINS0_14default_configENS1_36segmented_radix_sort_config_selectorIllEEZNS1_25segmented_radix_sort_implIS3_Lb0EPKlPlS8_S9_N2at6native12_GLOBAL__N_18offset_tEEE10hipError_tPvRmT1_PNSt15iterator_traitsISH_E10value_typeET2_T3_PNSI_ISN_E10value_typeET4_jRbjT5_ST_jjP12ihipStream_tbEUlT_E0_NS1_11comp_targetILNS1_3genE5ELNS1_11target_archE942ELNS1_3gpuE9ELNS1_3repE0EEENS1_60segmented_radix_sort_warp_sort_medium_config_static_selectorELNS0_4arch9wavefront6targetE0EEEvSH_.num_vgpr, 0
	.set _ZN7rocprim17ROCPRIM_400000_NS6detail17trampoline_kernelINS0_14default_configENS1_36segmented_radix_sort_config_selectorIllEEZNS1_25segmented_radix_sort_implIS3_Lb0EPKlPlS8_S9_N2at6native12_GLOBAL__N_18offset_tEEE10hipError_tPvRmT1_PNSt15iterator_traitsISH_E10value_typeET2_T3_PNSI_ISN_E10value_typeET4_jRbjT5_ST_jjP12ihipStream_tbEUlT_E0_NS1_11comp_targetILNS1_3genE5ELNS1_11target_archE942ELNS1_3gpuE9ELNS1_3repE0EEENS1_60segmented_radix_sort_warp_sort_medium_config_static_selectorELNS0_4arch9wavefront6targetE0EEEvSH_.num_agpr, 0
	.set _ZN7rocprim17ROCPRIM_400000_NS6detail17trampoline_kernelINS0_14default_configENS1_36segmented_radix_sort_config_selectorIllEEZNS1_25segmented_radix_sort_implIS3_Lb0EPKlPlS8_S9_N2at6native12_GLOBAL__N_18offset_tEEE10hipError_tPvRmT1_PNSt15iterator_traitsISH_E10value_typeET2_T3_PNSI_ISN_E10value_typeET4_jRbjT5_ST_jjP12ihipStream_tbEUlT_E0_NS1_11comp_targetILNS1_3genE5ELNS1_11target_archE942ELNS1_3gpuE9ELNS1_3repE0EEENS1_60segmented_radix_sort_warp_sort_medium_config_static_selectorELNS0_4arch9wavefront6targetE0EEEvSH_.numbered_sgpr, 0
	.set _ZN7rocprim17ROCPRIM_400000_NS6detail17trampoline_kernelINS0_14default_configENS1_36segmented_radix_sort_config_selectorIllEEZNS1_25segmented_radix_sort_implIS3_Lb0EPKlPlS8_S9_N2at6native12_GLOBAL__N_18offset_tEEE10hipError_tPvRmT1_PNSt15iterator_traitsISH_E10value_typeET2_T3_PNSI_ISN_E10value_typeET4_jRbjT5_ST_jjP12ihipStream_tbEUlT_E0_NS1_11comp_targetILNS1_3genE5ELNS1_11target_archE942ELNS1_3gpuE9ELNS1_3repE0EEENS1_60segmented_radix_sort_warp_sort_medium_config_static_selectorELNS0_4arch9wavefront6targetE0EEEvSH_.num_named_barrier, 0
	.set _ZN7rocprim17ROCPRIM_400000_NS6detail17trampoline_kernelINS0_14default_configENS1_36segmented_radix_sort_config_selectorIllEEZNS1_25segmented_radix_sort_implIS3_Lb0EPKlPlS8_S9_N2at6native12_GLOBAL__N_18offset_tEEE10hipError_tPvRmT1_PNSt15iterator_traitsISH_E10value_typeET2_T3_PNSI_ISN_E10value_typeET4_jRbjT5_ST_jjP12ihipStream_tbEUlT_E0_NS1_11comp_targetILNS1_3genE5ELNS1_11target_archE942ELNS1_3gpuE9ELNS1_3repE0EEENS1_60segmented_radix_sort_warp_sort_medium_config_static_selectorELNS0_4arch9wavefront6targetE0EEEvSH_.private_seg_size, 0
	.set _ZN7rocprim17ROCPRIM_400000_NS6detail17trampoline_kernelINS0_14default_configENS1_36segmented_radix_sort_config_selectorIllEEZNS1_25segmented_radix_sort_implIS3_Lb0EPKlPlS8_S9_N2at6native12_GLOBAL__N_18offset_tEEE10hipError_tPvRmT1_PNSt15iterator_traitsISH_E10value_typeET2_T3_PNSI_ISN_E10value_typeET4_jRbjT5_ST_jjP12ihipStream_tbEUlT_E0_NS1_11comp_targetILNS1_3genE5ELNS1_11target_archE942ELNS1_3gpuE9ELNS1_3repE0EEENS1_60segmented_radix_sort_warp_sort_medium_config_static_selectorELNS0_4arch9wavefront6targetE0EEEvSH_.uses_vcc, 0
	.set _ZN7rocprim17ROCPRIM_400000_NS6detail17trampoline_kernelINS0_14default_configENS1_36segmented_radix_sort_config_selectorIllEEZNS1_25segmented_radix_sort_implIS3_Lb0EPKlPlS8_S9_N2at6native12_GLOBAL__N_18offset_tEEE10hipError_tPvRmT1_PNSt15iterator_traitsISH_E10value_typeET2_T3_PNSI_ISN_E10value_typeET4_jRbjT5_ST_jjP12ihipStream_tbEUlT_E0_NS1_11comp_targetILNS1_3genE5ELNS1_11target_archE942ELNS1_3gpuE9ELNS1_3repE0EEENS1_60segmented_radix_sort_warp_sort_medium_config_static_selectorELNS0_4arch9wavefront6targetE0EEEvSH_.uses_flat_scratch, 0
	.set _ZN7rocprim17ROCPRIM_400000_NS6detail17trampoline_kernelINS0_14default_configENS1_36segmented_radix_sort_config_selectorIllEEZNS1_25segmented_radix_sort_implIS3_Lb0EPKlPlS8_S9_N2at6native12_GLOBAL__N_18offset_tEEE10hipError_tPvRmT1_PNSt15iterator_traitsISH_E10value_typeET2_T3_PNSI_ISN_E10value_typeET4_jRbjT5_ST_jjP12ihipStream_tbEUlT_E0_NS1_11comp_targetILNS1_3genE5ELNS1_11target_archE942ELNS1_3gpuE9ELNS1_3repE0EEENS1_60segmented_radix_sort_warp_sort_medium_config_static_selectorELNS0_4arch9wavefront6targetE0EEEvSH_.has_dyn_sized_stack, 0
	.set _ZN7rocprim17ROCPRIM_400000_NS6detail17trampoline_kernelINS0_14default_configENS1_36segmented_radix_sort_config_selectorIllEEZNS1_25segmented_radix_sort_implIS3_Lb0EPKlPlS8_S9_N2at6native12_GLOBAL__N_18offset_tEEE10hipError_tPvRmT1_PNSt15iterator_traitsISH_E10value_typeET2_T3_PNSI_ISN_E10value_typeET4_jRbjT5_ST_jjP12ihipStream_tbEUlT_E0_NS1_11comp_targetILNS1_3genE5ELNS1_11target_archE942ELNS1_3gpuE9ELNS1_3repE0EEENS1_60segmented_radix_sort_warp_sort_medium_config_static_selectorELNS0_4arch9wavefront6targetE0EEEvSH_.has_recursion, 0
	.set _ZN7rocprim17ROCPRIM_400000_NS6detail17trampoline_kernelINS0_14default_configENS1_36segmented_radix_sort_config_selectorIllEEZNS1_25segmented_radix_sort_implIS3_Lb0EPKlPlS8_S9_N2at6native12_GLOBAL__N_18offset_tEEE10hipError_tPvRmT1_PNSt15iterator_traitsISH_E10value_typeET2_T3_PNSI_ISN_E10value_typeET4_jRbjT5_ST_jjP12ihipStream_tbEUlT_E0_NS1_11comp_targetILNS1_3genE5ELNS1_11target_archE942ELNS1_3gpuE9ELNS1_3repE0EEENS1_60segmented_radix_sort_warp_sort_medium_config_static_selectorELNS0_4arch9wavefront6targetE0EEEvSH_.has_indirect_call, 0
	.section	.AMDGPU.csdata,"",@progbits
; Kernel info:
; codeLenInByte = 0
; TotalNumSgprs: 0
; NumVgprs: 0
; ScratchSize: 0
; MemoryBound: 0
; FloatMode: 240
; IeeeMode: 1
; LDSByteSize: 0 bytes/workgroup (compile time only)
; SGPRBlocks: 0
; VGPRBlocks: 0
; NumSGPRsForWavesPerEU: 1
; NumVGPRsForWavesPerEU: 1
; Occupancy: 16
; WaveLimiterHint : 0
; COMPUTE_PGM_RSRC2:SCRATCH_EN: 0
; COMPUTE_PGM_RSRC2:USER_SGPR: 2
; COMPUTE_PGM_RSRC2:TRAP_HANDLER: 0
; COMPUTE_PGM_RSRC2:TGID_X_EN: 1
; COMPUTE_PGM_RSRC2:TGID_Y_EN: 0
; COMPUTE_PGM_RSRC2:TGID_Z_EN: 0
; COMPUTE_PGM_RSRC2:TIDIG_COMP_CNT: 0
	.section	.text._ZN7rocprim17ROCPRIM_400000_NS6detail17trampoline_kernelINS0_14default_configENS1_36segmented_radix_sort_config_selectorIllEEZNS1_25segmented_radix_sort_implIS3_Lb0EPKlPlS8_S9_N2at6native12_GLOBAL__N_18offset_tEEE10hipError_tPvRmT1_PNSt15iterator_traitsISH_E10value_typeET2_T3_PNSI_ISN_E10value_typeET4_jRbjT5_ST_jjP12ihipStream_tbEUlT_E0_NS1_11comp_targetILNS1_3genE4ELNS1_11target_archE910ELNS1_3gpuE8ELNS1_3repE0EEENS1_60segmented_radix_sort_warp_sort_medium_config_static_selectorELNS0_4arch9wavefront6targetE0EEEvSH_,"axG",@progbits,_ZN7rocprim17ROCPRIM_400000_NS6detail17trampoline_kernelINS0_14default_configENS1_36segmented_radix_sort_config_selectorIllEEZNS1_25segmented_radix_sort_implIS3_Lb0EPKlPlS8_S9_N2at6native12_GLOBAL__N_18offset_tEEE10hipError_tPvRmT1_PNSt15iterator_traitsISH_E10value_typeET2_T3_PNSI_ISN_E10value_typeET4_jRbjT5_ST_jjP12ihipStream_tbEUlT_E0_NS1_11comp_targetILNS1_3genE4ELNS1_11target_archE910ELNS1_3gpuE8ELNS1_3repE0EEENS1_60segmented_radix_sort_warp_sort_medium_config_static_selectorELNS0_4arch9wavefront6targetE0EEEvSH_,comdat
	.globl	_ZN7rocprim17ROCPRIM_400000_NS6detail17trampoline_kernelINS0_14default_configENS1_36segmented_radix_sort_config_selectorIllEEZNS1_25segmented_radix_sort_implIS3_Lb0EPKlPlS8_S9_N2at6native12_GLOBAL__N_18offset_tEEE10hipError_tPvRmT1_PNSt15iterator_traitsISH_E10value_typeET2_T3_PNSI_ISN_E10value_typeET4_jRbjT5_ST_jjP12ihipStream_tbEUlT_E0_NS1_11comp_targetILNS1_3genE4ELNS1_11target_archE910ELNS1_3gpuE8ELNS1_3repE0EEENS1_60segmented_radix_sort_warp_sort_medium_config_static_selectorELNS0_4arch9wavefront6targetE0EEEvSH_ ; -- Begin function _ZN7rocprim17ROCPRIM_400000_NS6detail17trampoline_kernelINS0_14default_configENS1_36segmented_radix_sort_config_selectorIllEEZNS1_25segmented_radix_sort_implIS3_Lb0EPKlPlS8_S9_N2at6native12_GLOBAL__N_18offset_tEEE10hipError_tPvRmT1_PNSt15iterator_traitsISH_E10value_typeET2_T3_PNSI_ISN_E10value_typeET4_jRbjT5_ST_jjP12ihipStream_tbEUlT_E0_NS1_11comp_targetILNS1_3genE4ELNS1_11target_archE910ELNS1_3gpuE8ELNS1_3repE0EEENS1_60segmented_radix_sort_warp_sort_medium_config_static_selectorELNS0_4arch9wavefront6targetE0EEEvSH_
	.p2align	8
	.type	_ZN7rocprim17ROCPRIM_400000_NS6detail17trampoline_kernelINS0_14default_configENS1_36segmented_radix_sort_config_selectorIllEEZNS1_25segmented_radix_sort_implIS3_Lb0EPKlPlS8_S9_N2at6native12_GLOBAL__N_18offset_tEEE10hipError_tPvRmT1_PNSt15iterator_traitsISH_E10value_typeET2_T3_PNSI_ISN_E10value_typeET4_jRbjT5_ST_jjP12ihipStream_tbEUlT_E0_NS1_11comp_targetILNS1_3genE4ELNS1_11target_archE910ELNS1_3gpuE8ELNS1_3repE0EEENS1_60segmented_radix_sort_warp_sort_medium_config_static_selectorELNS0_4arch9wavefront6targetE0EEEvSH_,@function
_ZN7rocprim17ROCPRIM_400000_NS6detail17trampoline_kernelINS0_14default_configENS1_36segmented_radix_sort_config_selectorIllEEZNS1_25segmented_radix_sort_implIS3_Lb0EPKlPlS8_S9_N2at6native12_GLOBAL__N_18offset_tEEE10hipError_tPvRmT1_PNSt15iterator_traitsISH_E10value_typeET2_T3_PNSI_ISN_E10value_typeET4_jRbjT5_ST_jjP12ihipStream_tbEUlT_E0_NS1_11comp_targetILNS1_3genE4ELNS1_11target_archE910ELNS1_3gpuE8ELNS1_3repE0EEENS1_60segmented_radix_sort_warp_sort_medium_config_static_selectorELNS0_4arch9wavefront6targetE0EEEvSH_: ; @_ZN7rocprim17ROCPRIM_400000_NS6detail17trampoline_kernelINS0_14default_configENS1_36segmented_radix_sort_config_selectorIllEEZNS1_25segmented_radix_sort_implIS3_Lb0EPKlPlS8_S9_N2at6native12_GLOBAL__N_18offset_tEEE10hipError_tPvRmT1_PNSt15iterator_traitsISH_E10value_typeET2_T3_PNSI_ISN_E10value_typeET4_jRbjT5_ST_jjP12ihipStream_tbEUlT_E0_NS1_11comp_targetILNS1_3genE4ELNS1_11target_archE910ELNS1_3gpuE8ELNS1_3repE0EEENS1_60segmented_radix_sort_warp_sort_medium_config_static_selectorELNS0_4arch9wavefront6targetE0EEEvSH_
; %bb.0:
	.section	.rodata,"a",@progbits
	.p2align	6, 0x0
	.amdhsa_kernel _ZN7rocprim17ROCPRIM_400000_NS6detail17trampoline_kernelINS0_14default_configENS1_36segmented_radix_sort_config_selectorIllEEZNS1_25segmented_radix_sort_implIS3_Lb0EPKlPlS8_S9_N2at6native12_GLOBAL__N_18offset_tEEE10hipError_tPvRmT1_PNSt15iterator_traitsISH_E10value_typeET2_T3_PNSI_ISN_E10value_typeET4_jRbjT5_ST_jjP12ihipStream_tbEUlT_E0_NS1_11comp_targetILNS1_3genE4ELNS1_11target_archE910ELNS1_3gpuE8ELNS1_3repE0EEENS1_60segmented_radix_sort_warp_sort_medium_config_static_selectorELNS0_4arch9wavefront6targetE0EEEvSH_
		.amdhsa_group_segment_fixed_size 0
		.amdhsa_private_segment_fixed_size 0
		.amdhsa_kernarg_size 88
		.amdhsa_user_sgpr_count 2
		.amdhsa_user_sgpr_dispatch_ptr 0
		.amdhsa_user_sgpr_queue_ptr 0
		.amdhsa_user_sgpr_kernarg_segment_ptr 1
		.amdhsa_user_sgpr_dispatch_id 0
		.amdhsa_user_sgpr_private_segment_size 0
		.amdhsa_wavefront_size32 1
		.amdhsa_uses_dynamic_stack 0
		.amdhsa_enable_private_segment 0
		.amdhsa_system_sgpr_workgroup_id_x 1
		.amdhsa_system_sgpr_workgroup_id_y 0
		.amdhsa_system_sgpr_workgroup_id_z 0
		.amdhsa_system_sgpr_workgroup_info 0
		.amdhsa_system_vgpr_workitem_id 0
		.amdhsa_next_free_vgpr 1
		.amdhsa_next_free_sgpr 1
		.amdhsa_reserve_vcc 0
		.amdhsa_float_round_mode_32 0
		.amdhsa_float_round_mode_16_64 0
		.amdhsa_float_denorm_mode_32 3
		.amdhsa_float_denorm_mode_16_64 3
		.amdhsa_fp16_overflow 0
		.amdhsa_workgroup_processor_mode 1
		.amdhsa_memory_ordered 1
		.amdhsa_forward_progress 1
		.amdhsa_inst_pref_size 0
		.amdhsa_round_robin_scheduling 0
		.amdhsa_exception_fp_ieee_invalid_op 0
		.amdhsa_exception_fp_denorm_src 0
		.amdhsa_exception_fp_ieee_div_zero 0
		.amdhsa_exception_fp_ieee_overflow 0
		.amdhsa_exception_fp_ieee_underflow 0
		.amdhsa_exception_fp_ieee_inexact 0
		.amdhsa_exception_int_div_zero 0
	.end_amdhsa_kernel
	.section	.text._ZN7rocprim17ROCPRIM_400000_NS6detail17trampoline_kernelINS0_14default_configENS1_36segmented_radix_sort_config_selectorIllEEZNS1_25segmented_radix_sort_implIS3_Lb0EPKlPlS8_S9_N2at6native12_GLOBAL__N_18offset_tEEE10hipError_tPvRmT1_PNSt15iterator_traitsISH_E10value_typeET2_T3_PNSI_ISN_E10value_typeET4_jRbjT5_ST_jjP12ihipStream_tbEUlT_E0_NS1_11comp_targetILNS1_3genE4ELNS1_11target_archE910ELNS1_3gpuE8ELNS1_3repE0EEENS1_60segmented_radix_sort_warp_sort_medium_config_static_selectorELNS0_4arch9wavefront6targetE0EEEvSH_,"axG",@progbits,_ZN7rocprim17ROCPRIM_400000_NS6detail17trampoline_kernelINS0_14default_configENS1_36segmented_radix_sort_config_selectorIllEEZNS1_25segmented_radix_sort_implIS3_Lb0EPKlPlS8_S9_N2at6native12_GLOBAL__N_18offset_tEEE10hipError_tPvRmT1_PNSt15iterator_traitsISH_E10value_typeET2_T3_PNSI_ISN_E10value_typeET4_jRbjT5_ST_jjP12ihipStream_tbEUlT_E0_NS1_11comp_targetILNS1_3genE4ELNS1_11target_archE910ELNS1_3gpuE8ELNS1_3repE0EEENS1_60segmented_radix_sort_warp_sort_medium_config_static_selectorELNS0_4arch9wavefront6targetE0EEEvSH_,comdat
.Lfunc_end819:
	.size	_ZN7rocprim17ROCPRIM_400000_NS6detail17trampoline_kernelINS0_14default_configENS1_36segmented_radix_sort_config_selectorIllEEZNS1_25segmented_radix_sort_implIS3_Lb0EPKlPlS8_S9_N2at6native12_GLOBAL__N_18offset_tEEE10hipError_tPvRmT1_PNSt15iterator_traitsISH_E10value_typeET2_T3_PNSI_ISN_E10value_typeET4_jRbjT5_ST_jjP12ihipStream_tbEUlT_E0_NS1_11comp_targetILNS1_3genE4ELNS1_11target_archE910ELNS1_3gpuE8ELNS1_3repE0EEENS1_60segmented_radix_sort_warp_sort_medium_config_static_selectorELNS0_4arch9wavefront6targetE0EEEvSH_, .Lfunc_end819-_ZN7rocprim17ROCPRIM_400000_NS6detail17trampoline_kernelINS0_14default_configENS1_36segmented_radix_sort_config_selectorIllEEZNS1_25segmented_radix_sort_implIS3_Lb0EPKlPlS8_S9_N2at6native12_GLOBAL__N_18offset_tEEE10hipError_tPvRmT1_PNSt15iterator_traitsISH_E10value_typeET2_T3_PNSI_ISN_E10value_typeET4_jRbjT5_ST_jjP12ihipStream_tbEUlT_E0_NS1_11comp_targetILNS1_3genE4ELNS1_11target_archE910ELNS1_3gpuE8ELNS1_3repE0EEENS1_60segmented_radix_sort_warp_sort_medium_config_static_selectorELNS0_4arch9wavefront6targetE0EEEvSH_
                                        ; -- End function
	.set _ZN7rocprim17ROCPRIM_400000_NS6detail17trampoline_kernelINS0_14default_configENS1_36segmented_radix_sort_config_selectorIllEEZNS1_25segmented_radix_sort_implIS3_Lb0EPKlPlS8_S9_N2at6native12_GLOBAL__N_18offset_tEEE10hipError_tPvRmT1_PNSt15iterator_traitsISH_E10value_typeET2_T3_PNSI_ISN_E10value_typeET4_jRbjT5_ST_jjP12ihipStream_tbEUlT_E0_NS1_11comp_targetILNS1_3genE4ELNS1_11target_archE910ELNS1_3gpuE8ELNS1_3repE0EEENS1_60segmented_radix_sort_warp_sort_medium_config_static_selectorELNS0_4arch9wavefront6targetE0EEEvSH_.num_vgpr, 0
	.set _ZN7rocprim17ROCPRIM_400000_NS6detail17trampoline_kernelINS0_14default_configENS1_36segmented_radix_sort_config_selectorIllEEZNS1_25segmented_radix_sort_implIS3_Lb0EPKlPlS8_S9_N2at6native12_GLOBAL__N_18offset_tEEE10hipError_tPvRmT1_PNSt15iterator_traitsISH_E10value_typeET2_T3_PNSI_ISN_E10value_typeET4_jRbjT5_ST_jjP12ihipStream_tbEUlT_E0_NS1_11comp_targetILNS1_3genE4ELNS1_11target_archE910ELNS1_3gpuE8ELNS1_3repE0EEENS1_60segmented_radix_sort_warp_sort_medium_config_static_selectorELNS0_4arch9wavefront6targetE0EEEvSH_.num_agpr, 0
	.set _ZN7rocprim17ROCPRIM_400000_NS6detail17trampoline_kernelINS0_14default_configENS1_36segmented_radix_sort_config_selectorIllEEZNS1_25segmented_radix_sort_implIS3_Lb0EPKlPlS8_S9_N2at6native12_GLOBAL__N_18offset_tEEE10hipError_tPvRmT1_PNSt15iterator_traitsISH_E10value_typeET2_T3_PNSI_ISN_E10value_typeET4_jRbjT5_ST_jjP12ihipStream_tbEUlT_E0_NS1_11comp_targetILNS1_3genE4ELNS1_11target_archE910ELNS1_3gpuE8ELNS1_3repE0EEENS1_60segmented_radix_sort_warp_sort_medium_config_static_selectorELNS0_4arch9wavefront6targetE0EEEvSH_.numbered_sgpr, 0
	.set _ZN7rocprim17ROCPRIM_400000_NS6detail17trampoline_kernelINS0_14default_configENS1_36segmented_radix_sort_config_selectorIllEEZNS1_25segmented_radix_sort_implIS3_Lb0EPKlPlS8_S9_N2at6native12_GLOBAL__N_18offset_tEEE10hipError_tPvRmT1_PNSt15iterator_traitsISH_E10value_typeET2_T3_PNSI_ISN_E10value_typeET4_jRbjT5_ST_jjP12ihipStream_tbEUlT_E0_NS1_11comp_targetILNS1_3genE4ELNS1_11target_archE910ELNS1_3gpuE8ELNS1_3repE0EEENS1_60segmented_radix_sort_warp_sort_medium_config_static_selectorELNS0_4arch9wavefront6targetE0EEEvSH_.num_named_barrier, 0
	.set _ZN7rocprim17ROCPRIM_400000_NS6detail17trampoline_kernelINS0_14default_configENS1_36segmented_radix_sort_config_selectorIllEEZNS1_25segmented_radix_sort_implIS3_Lb0EPKlPlS8_S9_N2at6native12_GLOBAL__N_18offset_tEEE10hipError_tPvRmT1_PNSt15iterator_traitsISH_E10value_typeET2_T3_PNSI_ISN_E10value_typeET4_jRbjT5_ST_jjP12ihipStream_tbEUlT_E0_NS1_11comp_targetILNS1_3genE4ELNS1_11target_archE910ELNS1_3gpuE8ELNS1_3repE0EEENS1_60segmented_radix_sort_warp_sort_medium_config_static_selectorELNS0_4arch9wavefront6targetE0EEEvSH_.private_seg_size, 0
	.set _ZN7rocprim17ROCPRIM_400000_NS6detail17trampoline_kernelINS0_14default_configENS1_36segmented_radix_sort_config_selectorIllEEZNS1_25segmented_radix_sort_implIS3_Lb0EPKlPlS8_S9_N2at6native12_GLOBAL__N_18offset_tEEE10hipError_tPvRmT1_PNSt15iterator_traitsISH_E10value_typeET2_T3_PNSI_ISN_E10value_typeET4_jRbjT5_ST_jjP12ihipStream_tbEUlT_E0_NS1_11comp_targetILNS1_3genE4ELNS1_11target_archE910ELNS1_3gpuE8ELNS1_3repE0EEENS1_60segmented_radix_sort_warp_sort_medium_config_static_selectorELNS0_4arch9wavefront6targetE0EEEvSH_.uses_vcc, 0
	.set _ZN7rocprim17ROCPRIM_400000_NS6detail17trampoline_kernelINS0_14default_configENS1_36segmented_radix_sort_config_selectorIllEEZNS1_25segmented_radix_sort_implIS3_Lb0EPKlPlS8_S9_N2at6native12_GLOBAL__N_18offset_tEEE10hipError_tPvRmT1_PNSt15iterator_traitsISH_E10value_typeET2_T3_PNSI_ISN_E10value_typeET4_jRbjT5_ST_jjP12ihipStream_tbEUlT_E0_NS1_11comp_targetILNS1_3genE4ELNS1_11target_archE910ELNS1_3gpuE8ELNS1_3repE0EEENS1_60segmented_radix_sort_warp_sort_medium_config_static_selectorELNS0_4arch9wavefront6targetE0EEEvSH_.uses_flat_scratch, 0
	.set _ZN7rocprim17ROCPRIM_400000_NS6detail17trampoline_kernelINS0_14default_configENS1_36segmented_radix_sort_config_selectorIllEEZNS1_25segmented_radix_sort_implIS3_Lb0EPKlPlS8_S9_N2at6native12_GLOBAL__N_18offset_tEEE10hipError_tPvRmT1_PNSt15iterator_traitsISH_E10value_typeET2_T3_PNSI_ISN_E10value_typeET4_jRbjT5_ST_jjP12ihipStream_tbEUlT_E0_NS1_11comp_targetILNS1_3genE4ELNS1_11target_archE910ELNS1_3gpuE8ELNS1_3repE0EEENS1_60segmented_radix_sort_warp_sort_medium_config_static_selectorELNS0_4arch9wavefront6targetE0EEEvSH_.has_dyn_sized_stack, 0
	.set _ZN7rocprim17ROCPRIM_400000_NS6detail17trampoline_kernelINS0_14default_configENS1_36segmented_radix_sort_config_selectorIllEEZNS1_25segmented_radix_sort_implIS3_Lb0EPKlPlS8_S9_N2at6native12_GLOBAL__N_18offset_tEEE10hipError_tPvRmT1_PNSt15iterator_traitsISH_E10value_typeET2_T3_PNSI_ISN_E10value_typeET4_jRbjT5_ST_jjP12ihipStream_tbEUlT_E0_NS1_11comp_targetILNS1_3genE4ELNS1_11target_archE910ELNS1_3gpuE8ELNS1_3repE0EEENS1_60segmented_radix_sort_warp_sort_medium_config_static_selectorELNS0_4arch9wavefront6targetE0EEEvSH_.has_recursion, 0
	.set _ZN7rocprim17ROCPRIM_400000_NS6detail17trampoline_kernelINS0_14default_configENS1_36segmented_radix_sort_config_selectorIllEEZNS1_25segmented_radix_sort_implIS3_Lb0EPKlPlS8_S9_N2at6native12_GLOBAL__N_18offset_tEEE10hipError_tPvRmT1_PNSt15iterator_traitsISH_E10value_typeET2_T3_PNSI_ISN_E10value_typeET4_jRbjT5_ST_jjP12ihipStream_tbEUlT_E0_NS1_11comp_targetILNS1_3genE4ELNS1_11target_archE910ELNS1_3gpuE8ELNS1_3repE0EEENS1_60segmented_radix_sort_warp_sort_medium_config_static_selectorELNS0_4arch9wavefront6targetE0EEEvSH_.has_indirect_call, 0
	.section	.AMDGPU.csdata,"",@progbits
; Kernel info:
; codeLenInByte = 0
; TotalNumSgprs: 0
; NumVgprs: 0
; ScratchSize: 0
; MemoryBound: 0
; FloatMode: 240
; IeeeMode: 1
; LDSByteSize: 0 bytes/workgroup (compile time only)
; SGPRBlocks: 0
; VGPRBlocks: 0
; NumSGPRsForWavesPerEU: 1
; NumVGPRsForWavesPerEU: 1
; Occupancy: 16
; WaveLimiterHint : 0
; COMPUTE_PGM_RSRC2:SCRATCH_EN: 0
; COMPUTE_PGM_RSRC2:USER_SGPR: 2
; COMPUTE_PGM_RSRC2:TRAP_HANDLER: 0
; COMPUTE_PGM_RSRC2:TGID_X_EN: 1
; COMPUTE_PGM_RSRC2:TGID_Y_EN: 0
; COMPUTE_PGM_RSRC2:TGID_Z_EN: 0
; COMPUTE_PGM_RSRC2:TIDIG_COMP_CNT: 0
	.section	.text._ZN7rocprim17ROCPRIM_400000_NS6detail17trampoline_kernelINS0_14default_configENS1_36segmented_radix_sort_config_selectorIllEEZNS1_25segmented_radix_sort_implIS3_Lb0EPKlPlS8_S9_N2at6native12_GLOBAL__N_18offset_tEEE10hipError_tPvRmT1_PNSt15iterator_traitsISH_E10value_typeET2_T3_PNSI_ISN_E10value_typeET4_jRbjT5_ST_jjP12ihipStream_tbEUlT_E0_NS1_11comp_targetILNS1_3genE3ELNS1_11target_archE908ELNS1_3gpuE7ELNS1_3repE0EEENS1_60segmented_radix_sort_warp_sort_medium_config_static_selectorELNS0_4arch9wavefront6targetE0EEEvSH_,"axG",@progbits,_ZN7rocprim17ROCPRIM_400000_NS6detail17trampoline_kernelINS0_14default_configENS1_36segmented_radix_sort_config_selectorIllEEZNS1_25segmented_radix_sort_implIS3_Lb0EPKlPlS8_S9_N2at6native12_GLOBAL__N_18offset_tEEE10hipError_tPvRmT1_PNSt15iterator_traitsISH_E10value_typeET2_T3_PNSI_ISN_E10value_typeET4_jRbjT5_ST_jjP12ihipStream_tbEUlT_E0_NS1_11comp_targetILNS1_3genE3ELNS1_11target_archE908ELNS1_3gpuE7ELNS1_3repE0EEENS1_60segmented_radix_sort_warp_sort_medium_config_static_selectorELNS0_4arch9wavefront6targetE0EEEvSH_,comdat
	.globl	_ZN7rocprim17ROCPRIM_400000_NS6detail17trampoline_kernelINS0_14default_configENS1_36segmented_radix_sort_config_selectorIllEEZNS1_25segmented_radix_sort_implIS3_Lb0EPKlPlS8_S9_N2at6native12_GLOBAL__N_18offset_tEEE10hipError_tPvRmT1_PNSt15iterator_traitsISH_E10value_typeET2_T3_PNSI_ISN_E10value_typeET4_jRbjT5_ST_jjP12ihipStream_tbEUlT_E0_NS1_11comp_targetILNS1_3genE3ELNS1_11target_archE908ELNS1_3gpuE7ELNS1_3repE0EEENS1_60segmented_radix_sort_warp_sort_medium_config_static_selectorELNS0_4arch9wavefront6targetE0EEEvSH_ ; -- Begin function _ZN7rocprim17ROCPRIM_400000_NS6detail17trampoline_kernelINS0_14default_configENS1_36segmented_radix_sort_config_selectorIllEEZNS1_25segmented_radix_sort_implIS3_Lb0EPKlPlS8_S9_N2at6native12_GLOBAL__N_18offset_tEEE10hipError_tPvRmT1_PNSt15iterator_traitsISH_E10value_typeET2_T3_PNSI_ISN_E10value_typeET4_jRbjT5_ST_jjP12ihipStream_tbEUlT_E0_NS1_11comp_targetILNS1_3genE3ELNS1_11target_archE908ELNS1_3gpuE7ELNS1_3repE0EEENS1_60segmented_radix_sort_warp_sort_medium_config_static_selectorELNS0_4arch9wavefront6targetE0EEEvSH_
	.p2align	8
	.type	_ZN7rocprim17ROCPRIM_400000_NS6detail17trampoline_kernelINS0_14default_configENS1_36segmented_radix_sort_config_selectorIllEEZNS1_25segmented_radix_sort_implIS3_Lb0EPKlPlS8_S9_N2at6native12_GLOBAL__N_18offset_tEEE10hipError_tPvRmT1_PNSt15iterator_traitsISH_E10value_typeET2_T3_PNSI_ISN_E10value_typeET4_jRbjT5_ST_jjP12ihipStream_tbEUlT_E0_NS1_11comp_targetILNS1_3genE3ELNS1_11target_archE908ELNS1_3gpuE7ELNS1_3repE0EEENS1_60segmented_radix_sort_warp_sort_medium_config_static_selectorELNS0_4arch9wavefront6targetE0EEEvSH_,@function
_ZN7rocprim17ROCPRIM_400000_NS6detail17trampoline_kernelINS0_14default_configENS1_36segmented_radix_sort_config_selectorIllEEZNS1_25segmented_radix_sort_implIS3_Lb0EPKlPlS8_S9_N2at6native12_GLOBAL__N_18offset_tEEE10hipError_tPvRmT1_PNSt15iterator_traitsISH_E10value_typeET2_T3_PNSI_ISN_E10value_typeET4_jRbjT5_ST_jjP12ihipStream_tbEUlT_E0_NS1_11comp_targetILNS1_3genE3ELNS1_11target_archE908ELNS1_3gpuE7ELNS1_3repE0EEENS1_60segmented_radix_sort_warp_sort_medium_config_static_selectorELNS0_4arch9wavefront6targetE0EEEvSH_: ; @_ZN7rocprim17ROCPRIM_400000_NS6detail17trampoline_kernelINS0_14default_configENS1_36segmented_radix_sort_config_selectorIllEEZNS1_25segmented_radix_sort_implIS3_Lb0EPKlPlS8_S9_N2at6native12_GLOBAL__N_18offset_tEEE10hipError_tPvRmT1_PNSt15iterator_traitsISH_E10value_typeET2_T3_PNSI_ISN_E10value_typeET4_jRbjT5_ST_jjP12ihipStream_tbEUlT_E0_NS1_11comp_targetILNS1_3genE3ELNS1_11target_archE908ELNS1_3gpuE7ELNS1_3repE0EEENS1_60segmented_radix_sort_warp_sort_medium_config_static_selectorELNS0_4arch9wavefront6targetE0EEEvSH_
; %bb.0:
	.section	.rodata,"a",@progbits
	.p2align	6, 0x0
	.amdhsa_kernel _ZN7rocprim17ROCPRIM_400000_NS6detail17trampoline_kernelINS0_14default_configENS1_36segmented_radix_sort_config_selectorIllEEZNS1_25segmented_radix_sort_implIS3_Lb0EPKlPlS8_S9_N2at6native12_GLOBAL__N_18offset_tEEE10hipError_tPvRmT1_PNSt15iterator_traitsISH_E10value_typeET2_T3_PNSI_ISN_E10value_typeET4_jRbjT5_ST_jjP12ihipStream_tbEUlT_E0_NS1_11comp_targetILNS1_3genE3ELNS1_11target_archE908ELNS1_3gpuE7ELNS1_3repE0EEENS1_60segmented_radix_sort_warp_sort_medium_config_static_selectorELNS0_4arch9wavefront6targetE0EEEvSH_
		.amdhsa_group_segment_fixed_size 0
		.amdhsa_private_segment_fixed_size 0
		.amdhsa_kernarg_size 88
		.amdhsa_user_sgpr_count 2
		.amdhsa_user_sgpr_dispatch_ptr 0
		.amdhsa_user_sgpr_queue_ptr 0
		.amdhsa_user_sgpr_kernarg_segment_ptr 1
		.amdhsa_user_sgpr_dispatch_id 0
		.amdhsa_user_sgpr_private_segment_size 0
		.amdhsa_wavefront_size32 1
		.amdhsa_uses_dynamic_stack 0
		.amdhsa_enable_private_segment 0
		.amdhsa_system_sgpr_workgroup_id_x 1
		.amdhsa_system_sgpr_workgroup_id_y 0
		.amdhsa_system_sgpr_workgroup_id_z 0
		.amdhsa_system_sgpr_workgroup_info 0
		.amdhsa_system_vgpr_workitem_id 0
		.amdhsa_next_free_vgpr 1
		.amdhsa_next_free_sgpr 1
		.amdhsa_reserve_vcc 0
		.amdhsa_float_round_mode_32 0
		.amdhsa_float_round_mode_16_64 0
		.amdhsa_float_denorm_mode_32 3
		.amdhsa_float_denorm_mode_16_64 3
		.amdhsa_fp16_overflow 0
		.amdhsa_workgroup_processor_mode 1
		.amdhsa_memory_ordered 1
		.amdhsa_forward_progress 1
		.amdhsa_inst_pref_size 0
		.amdhsa_round_robin_scheduling 0
		.amdhsa_exception_fp_ieee_invalid_op 0
		.amdhsa_exception_fp_denorm_src 0
		.amdhsa_exception_fp_ieee_div_zero 0
		.amdhsa_exception_fp_ieee_overflow 0
		.amdhsa_exception_fp_ieee_underflow 0
		.amdhsa_exception_fp_ieee_inexact 0
		.amdhsa_exception_int_div_zero 0
	.end_amdhsa_kernel
	.section	.text._ZN7rocprim17ROCPRIM_400000_NS6detail17trampoline_kernelINS0_14default_configENS1_36segmented_radix_sort_config_selectorIllEEZNS1_25segmented_radix_sort_implIS3_Lb0EPKlPlS8_S9_N2at6native12_GLOBAL__N_18offset_tEEE10hipError_tPvRmT1_PNSt15iterator_traitsISH_E10value_typeET2_T3_PNSI_ISN_E10value_typeET4_jRbjT5_ST_jjP12ihipStream_tbEUlT_E0_NS1_11comp_targetILNS1_3genE3ELNS1_11target_archE908ELNS1_3gpuE7ELNS1_3repE0EEENS1_60segmented_radix_sort_warp_sort_medium_config_static_selectorELNS0_4arch9wavefront6targetE0EEEvSH_,"axG",@progbits,_ZN7rocprim17ROCPRIM_400000_NS6detail17trampoline_kernelINS0_14default_configENS1_36segmented_radix_sort_config_selectorIllEEZNS1_25segmented_radix_sort_implIS3_Lb0EPKlPlS8_S9_N2at6native12_GLOBAL__N_18offset_tEEE10hipError_tPvRmT1_PNSt15iterator_traitsISH_E10value_typeET2_T3_PNSI_ISN_E10value_typeET4_jRbjT5_ST_jjP12ihipStream_tbEUlT_E0_NS1_11comp_targetILNS1_3genE3ELNS1_11target_archE908ELNS1_3gpuE7ELNS1_3repE0EEENS1_60segmented_radix_sort_warp_sort_medium_config_static_selectorELNS0_4arch9wavefront6targetE0EEEvSH_,comdat
.Lfunc_end820:
	.size	_ZN7rocprim17ROCPRIM_400000_NS6detail17trampoline_kernelINS0_14default_configENS1_36segmented_radix_sort_config_selectorIllEEZNS1_25segmented_radix_sort_implIS3_Lb0EPKlPlS8_S9_N2at6native12_GLOBAL__N_18offset_tEEE10hipError_tPvRmT1_PNSt15iterator_traitsISH_E10value_typeET2_T3_PNSI_ISN_E10value_typeET4_jRbjT5_ST_jjP12ihipStream_tbEUlT_E0_NS1_11comp_targetILNS1_3genE3ELNS1_11target_archE908ELNS1_3gpuE7ELNS1_3repE0EEENS1_60segmented_radix_sort_warp_sort_medium_config_static_selectorELNS0_4arch9wavefront6targetE0EEEvSH_, .Lfunc_end820-_ZN7rocprim17ROCPRIM_400000_NS6detail17trampoline_kernelINS0_14default_configENS1_36segmented_radix_sort_config_selectorIllEEZNS1_25segmented_radix_sort_implIS3_Lb0EPKlPlS8_S9_N2at6native12_GLOBAL__N_18offset_tEEE10hipError_tPvRmT1_PNSt15iterator_traitsISH_E10value_typeET2_T3_PNSI_ISN_E10value_typeET4_jRbjT5_ST_jjP12ihipStream_tbEUlT_E0_NS1_11comp_targetILNS1_3genE3ELNS1_11target_archE908ELNS1_3gpuE7ELNS1_3repE0EEENS1_60segmented_radix_sort_warp_sort_medium_config_static_selectorELNS0_4arch9wavefront6targetE0EEEvSH_
                                        ; -- End function
	.set _ZN7rocprim17ROCPRIM_400000_NS6detail17trampoline_kernelINS0_14default_configENS1_36segmented_radix_sort_config_selectorIllEEZNS1_25segmented_radix_sort_implIS3_Lb0EPKlPlS8_S9_N2at6native12_GLOBAL__N_18offset_tEEE10hipError_tPvRmT1_PNSt15iterator_traitsISH_E10value_typeET2_T3_PNSI_ISN_E10value_typeET4_jRbjT5_ST_jjP12ihipStream_tbEUlT_E0_NS1_11comp_targetILNS1_3genE3ELNS1_11target_archE908ELNS1_3gpuE7ELNS1_3repE0EEENS1_60segmented_radix_sort_warp_sort_medium_config_static_selectorELNS0_4arch9wavefront6targetE0EEEvSH_.num_vgpr, 0
	.set _ZN7rocprim17ROCPRIM_400000_NS6detail17trampoline_kernelINS0_14default_configENS1_36segmented_radix_sort_config_selectorIllEEZNS1_25segmented_radix_sort_implIS3_Lb0EPKlPlS8_S9_N2at6native12_GLOBAL__N_18offset_tEEE10hipError_tPvRmT1_PNSt15iterator_traitsISH_E10value_typeET2_T3_PNSI_ISN_E10value_typeET4_jRbjT5_ST_jjP12ihipStream_tbEUlT_E0_NS1_11comp_targetILNS1_3genE3ELNS1_11target_archE908ELNS1_3gpuE7ELNS1_3repE0EEENS1_60segmented_radix_sort_warp_sort_medium_config_static_selectorELNS0_4arch9wavefront6targetE0EEEvSH_.num_agpr, 0
	.set _ZN7rocprim17ROCPRIM_400000_NS6detail17trampoline_kernelINS0_14default_configENS1_36segmented_radix_sort_config_selectorIllEEZNS1_25segmented_radix_sort_implIS3_Lb0EPKlPlS8_S9_N2at6native12_GLOBAL__N_18offset_tEEE10hipError_tPvRmT1_PNSt15iterator_traitsISH_E10value_typeET2_T3_PNSI_ISN_E10value_typeET4_jRbjT5_ST_jjP12ihipStream_tbEUlT_E0_NS1_11comp_targetILNS1_3genE3ELNS1_11target_archE908ELNS1_3gpuE7ELNS1_3repE0EEENS1_60segmented_radix_sort_warp_sort_medium_config_static_selectorELNS0_4arch9wavefront6targetE0EEEvSH_.numbered_sgpr, 0
	.set _ZN7rocprim17ROCPRIM_400000_NS6detail17trampoline_kernelINS0_14default_configENS1_36segmented_radix_sort_config_selectorIllEEZNS1_25segmented_radix_sort_implIS3_Lb0EPKlPlS8_S9_N2at6native12_GLOBAL__N_18offset_tEEE10hipError_tPvRmT1_PNSt15iterator_traitsISH_E10value_typeET2_T3_PNSI_ISN_E10value_typeET4_jRbjT5_ST_jjP12ihipStream_tbEUlT_E0_NS1_11comp_targetILNS1_3genE3ELNS1_11target_archE908ELNS1_3gpuE7ELNS1_3repE0EEENS1_60segmented_radix_sort_warp_sort_medium_config_static_selectorELNS0_4arch9wavefront6targetE0EEEvSH_.num_named_barrier, 0
	.set _ZN7rocprim17ROCPRIM_400000_NS6detail17trampoline_kernelINS0_14default_configENS1_36segmented_radix_sort_config_selectorIllEEZNS1_25segmented_radix_sort_implIS3_Lb0EPKlPlS8_S9_N2at6native12_GLOBAL__N_18offset_tEEE10hipError_tPvRmT1_PNSt15iterator_traitsISH_E10value_typeET2_T3_PNSI_ISN_E10value_typeET4_jRbjT5_ST_jjP12ihipStream_tbEUlT_E0_NS1_11comp_targetILNS1_3genE3ELNS1_11target_archE908ELNS1_3gpuE7ELNS1_3repE0EEENS1_60segmented_radix_sort_warp_sort_medium_config_static_selectorELNS0_4arch9wavefront6targetE0EEEvSH_.private_seg_size, 0
	.set _ZN7rocprim17ROCPRIM_400000_NS6detail17trampoline_kernelINS0_14default_configENS1_36segmented_radix_sort_config_selectorIllEEZNS1_25segmented_radix_sort_implIS3_Lb0EPKlPlS8_S9_N2at6native12_GLOBAL__N_18offset_tEEE10hipError_tPvRmT1_PNSt15iterator_traitsISH_E10value_typeET2_T3_PNSI_ISN_E10value_typeET4_jRbjT5_ST_jjP12ihipStream_tbEUlT_E0_NS1_11comp_targetILNS1_3genE3ELNS1_11target_archE908ELNS1_3gpuE7ELNS1_3repE0EEENS1_60segmented_radix_sort_warp_sort_medium_config_static_selectorELNS0_4arch9wavefront6targetE0EEEvSH_.uses_vcc, 0
	.set _ZN7rocprim17ROCPRIM_400000_NS6detail17trampoline_kernelINS0_14default_configENS1_36segmented_radix_sort_config_selectorIllEEZNS1_25segmented_radix_sort_implIS3_Lb0EPKlPlS8_S9_N2at6native12_GLOBAL__N_18offset_tEEE10hipError_tPvRmT1_PNSt15iterator_traitsISH_E10value_typeET2_T3_PNSI_ISN_E10value_typeET4_jRbjT5_ST_jjP12ihipStream_tbEUlT_E0_NS1_11comp_targetILNS1_3genE3ELNS1_11target_archE908ELNS1_3gpuE7ELNS1_3repE0EEENS1_60segmented_radix_sort_warp_sort_medium_config_static_selectorELNS0_4arch9wavefront6targetE0EEEvSH_.uses_flat_scratch, 0
	.set _ZN7rocprim17ROCPRIM_400000_NS6detail17trampoline_kernelINS0_14default_configENS1_36segmented_radix_sort_config_selectorIllEEZNS1_25segmented_radix_sort_implIS3_Lb0EPKlPlS8_S9_N2at6native12_GLOBAL__N_18offset_tEEE10hipError_tPvRmT1_PNSt15iterator_traitsISH_E10value_typeET2_T3_PNSI_ISN_E10value_typeET4_jRbjT5_ST_jjP12ihipStream_tbEUlT_E0_NS1_11comp_targetILNS1_3genE3ELNS1_11target_archE908ELNS1_3gpuE7ELNS1_3repE0EEENS1_60segmented_radix_sort_warp_sort_medium_config_static_selectorELNS0_4arch9wavefront6targetE0EEEvSH_.has_dyn_sized_stack, 0
	.set _ZN7rocprim17ROCPRIM_400000_NS6detail17trampoline_kernelINS0_14default_configENS1_36segmented_radix_sort_config_selectorIllEEZNS1_25segmented_radix_sort_implIS3_Lb0EPKlPlS8_S9_N2at6native12_GLOBAL__N_18offset_tEEE10hipError_tPvRmT1_PNSt15iterator_traitsISH_E10value_typeET2_T3_PNSI_ISN_E10value_typeET4_jRbjT5_ST_jjP12ihipStream_tbEUlT_E0_NS1_11comp_targetILNS1_3genE3ELNS1_11target_archE908ELNS1_3gpuE7ELNS1_3repE0EEENS1_60segmented_radix_sort_warp_sort_medium_config_static_selectorELNS0_4arch9wavefront6targetE0EEEvSH_.has_recursion, 0
	.set _ZN7rocprim17ROCPRIM_400000_NS6detail17trampoline_kernelINS0_14default_configENS1_36segmented_radix_sort_config_selectorIllEEZNS1_25segmented_radix_sort_implIS3_Lb0EPKlPlS8_S9_N2at6native12_GLOBAL__N_18offset_tEEE10hipError_tPvRmT1_PNSt15iterator_traitsISH_E10value_typeET2_T3_PNSI_ISN_E10value_typeET4_jRbjT5_ST_jjP12ihipStream_tbEUlT_E0_NS1_11comp_targetILNS1_3genE3ELNS1_11target_archE908ELNS1_3gpuE7ELNS1_3repE0EEENS1_60segmented_radix_sort_warp_sort_medium_config_static_selectorELNS0_4arch9wavefront6targetE0EEEvSH_.has_indirect_call, 0
	.section	.AMDGPU.csdata,"",@progbits
; Kernel info:
; codeLenInByte = 0
; TotalNumSgprs: 0
; NumVgprs: 0
; ScratchSize: 0
; MemoryBound: 0
; FloatMode: 240
; IeeeMode: 1
; LDSByteSize: 0 bytes/workgroup (compile time only)
; SGPRBlocks: 0
; VGPRBlocks: 0
; NumSGPRsForWavesPerEU: 1
; NumVGPRsForWavesPerEU: 1
; Occupancy: 16
; WaveLimiterHint : 0
; COMPUTE_PGM_RSRC2:SCRATCH_EN: 0
; COMPUTE_PGM_RSRC2:USER_SGPR: 2
; COMPUTE_PGM_RSRC2:TRAP_HANDLER: 0
; COMPUTE_PGM_RSRC2:TGID_X_EN: 1
; COMPUTE_PGM_RSRC2:TGID_Y_EN: 0
; COMPUTE_PGM_RSRC2:TGID_Z_EN: 0
; COMPUTE_PGM_RSRC2:TIDIG_COMP_CNT: 0
	.section	.text._ZN7rocprim17ROCPRIM_400000_NS6detail17trampoline_kernelINS0_14default_configENS1_36segmented_radix_sort_config_selectorIllEEZNS1_25segmented_radix_sort_implIS3_Lb0EPKlPlS8_S9_N2at6native12_GLOBAL__N_18offset_tEEE10hipError_tPvRmT1_PNSt15iterator_traitsISH_E10value_typeET2_T3_PNSI_ISN_E10value_typeET4_jRbjT5_ST_jjP12ihipStream_tbEUlT_E0_NS1_11comp_targetILNS1_3genE2ELNS1_11target_archE906ELNS1_3gpuE6ELNS1_3repE0EEENS1_60segmented_radix_sort_warp_sort_medium_config_static_selectorELNS0_4arch9wavefront6targetE0EEEvSH_,"axG",@progbits,_ZN7rocprim17ROCPRIM_400000_NS6detail17trampoline_kernelINS0_14default_configENS1_36segmented_radix_sort_config_selectorIllEEZNS1_25segmented_radix_sort_implIS3_Lb0EPKlPlS8_S9_N2at6native12_GLOBAL__N_18offset_tEEE10hipError_tPvRmT1_PNSt15iterator_traitsISH_E10value_typeET2_T3_PNSI_ISN_E10value_typeET4_jRbjT5_ST_jjP12ihipStream_tbEUlT_E0_NS1_11comp_targetILNS1_3genE2ELNS1_11target_archE906ELNS1_3gpuE6ELNS1_3repE0EEENS1_60segmented_radix_sort_warp_sort_medium_config_static_selectorELNS0_4arch9wavefront6targetE0EEEvSH_,comdat
	.globl	_ZN7rocprim17ROCPRIM_400000_NS6detail17trampoline_kernelINS0_14default_configENS1_36segmented_radix_sort_config_selectorIllEEZNS1_25segmented_radix_sort_implIS3_Lb0EPKlPlS8_S9_N2at6native12_GLOBAL__N_18offset_tEEE10hipError_tPvRmT1_PNSt15iterator_traitsISH_E10value_typeET2_T3_PNSI_ISN_E10value_typeET4_jRbjT5_ST_jjP12ihipStream_tbEUlT_E0_NS1_11comp_targetILNS1_3genE2ELNS1_11target_archE906ELNS1_3gpuE6ELNS1_3repE0EEENS1_60segmented_radix_sort_warp_sort_medium_config_static_selectorELNS0_4arch9wavefront6targetE0EEEvSH_ ; -- Begin function _ZN7rocprim17ROCPRIM_400000_NS6detail17trampoline_kernelINS0_14default_configENS1_36segmented_radix_sort_config_selectorIllEEZNS1_25segmented_radix_sort_implIS3_Lb0EPKlPlS8_S9_N2at6native12_GLOBAL__N_18offset_tEEE10hipError_tPvRmT1_PNSt15iterator_traitsISH_E10value_typeET2_T3_PNSI_ISN_E10value_typeET4_jRbjT5_ST_jjP12ihipStream_tbEUlT_E0_NS1_11comp_targetILNS1_3genE2ELNS1_11target_archE906ELNS1_3gpuE6ELNS1_3repE0EEENS1_60segmented_radix_sort_warp_sort_medium_config_static_selectorELNS0_4arch9wavefront6targetE0EEEvSH_
	.p2align	8
	.type	_ZN7rocprim17ROCPRIM_400000_NS6detail17trampoline_kernelINS0_14default_configENS1_36segmented_radix_sort_config_selectorIllEEZNS1_25segmented_radix_sort_implIS3_Lb0EPKlPlS8_S9_N2at6native12_GLOBAL__N_18offset_tEEE10hipError_tPvRmT1_PNSt15iterator_traitsISH_E10value_typeET2_T3_PNSI_ISN_E10value_typeET4_jRbjT5_ST_jjP12ihipStream_tbEUlT_E0_NS1_11comp_targetILNS1_3genE2ELNS1_11target_archE906ELNS1_3gpuE6ELNS1_3repE0EEENS1_60segmented_radix_sort_warp_sort_medium_config_static_selectorELNS0_4arch9wavefront6targetE0EEEvSH_,@function
_ZN7rocprim17ROCPRIM_400000_NS6detail17trampoline_kernelINS0_14default_configENS1_36segmented_radix_sort_config_selectorIllEEZNS1_25segmented_radix_sort_implIS3_Lb0EPKlPlS8_S9_N2at6native12_GLOBAL__N_18offset_tEEE10hipError_tPvRmT1_PNSt15iterator_traitsISH_E10value_typeET2_T3_PNSI_ISN_E10value_typeET4_jRbjT5_ST_jjP12ihipStream_tbEUlT_E0_NS1_11comp_targetILNS1_3genE2ELNS1_11target_archE906ELNS1_3gpuE6ELNS1_3repE0EEENS1_60segmented_radix_sort_warp_sort_medium_config_static_selectorELNS0_4arch9wavefront6targetE0EEEvSH_: ; @_ZN7rocprim17ROCPRIM_400000_NS6detail17trampoline_kernelINS0_14default_configENS1_36segmented_radix_sort_config_selectorIllEEZNS1_25segmented_radix_sort_implIS3_Lb0EPKlPlS8_S9_N2at6native12_GLOBAL__N_18offset_tEEE10hipError_tPvRmT1_PNSt15iterator_traitsISH_E10value_typeET2_T3_PNSI_ISN_E10value_typeET4_jRbjT5_ST_jjP12ihipStream_tbEUlT_E0_NS1_11comp_targetILNS1_3genE2ELNS1_11target_archE906ELNS1_3gpuE6ELNS1_3repE0EEENS1_60segmented_radix_sort_warp_sort_medium_config_static_selectorELNS0_4arch9wavefront6targetE0EEEvSH_
; %bb.0:
	.section	.rodata,"a",@progbits
	.p2align	6, 0x0
	.amdhsa_kernel _ZN7rocprim17ROCPRIM_400000_NS6detail17trampoline_kernelINS0_14default_configENS1_36segmented_radix_sort_config_selectorIllEEZNS1_25segmented_radix_sort_implIS3_Lb0EPKlPlS8_S9_N2at6native12_GLOBAL__N_18offset_tEEE10hipError_tPvRmT1_PNSt15iterator_traitsISH_E10value_typeET2_T3_PNSI_ISN_E10value_typeET4_jRbjT5_ST_jjP12ihipStream_tbEUlT_E0_NS1_11comp_targetILNS1_3genE2ELNS1_11target_archE906ELNS1_3gpuE6ELNS1_3repE0EEENS1_60segmented_radix_sort_warp_sort_medium_config_static_selectorELNS0_4arch9wavefront6targetE0EEEvSH_
		.amdhsa_group_segment_fixed_size 0
		.amdhsa_private_segment_fixed_size 0
		.amdhsa_kernarg_size 88
		.amdhsa_user_sgpr_count 2
		.amdhsa_user_sgpr_dispatch_ptr 0
		.amdhsa_user_sgpr_queue_ptr 0
		.amdhsa_user_sgpr_kernarg_segment_ptr 1
		.amdhsa_user_sgpr_dispatch_id 0
		.amdhsa_user_sgpr_private_segment_size 0
		.amdhsa_wavefront_size32 1
		.amdhsa_uses_dynamic_stack 0
		.amdhsa_enable_private_segment 0
		.amdhsa_system_sgpr_workgroup_id_x 1
		.amdhsa_system_sgpr_workgroup_id_y 0
		.amdhsa_system_sgpr_workgroup_id_z 0
		.amdhsa_system_sgpr_workgroup_info 0
		.amdhsa_system_vgpr_workitem_id 0
		.amdhsa_next_free_vgpr 1
		.amdhsa_next_free_sgpr 1
		.amdhsa_reserve_vcc 0
		.amdhsa_float_round_mode_32 0
		.amdhsa_float_round_mode_16_64 0
		.amdhsa_float_denorm_mode_32 3
		.amdhsa_float_denorm_mode_16_64 3
		.amdhsa_fp16_overflow 0
		.amdhsa_workgroup_processor_mode 1
		.amdhsa_memory_ordered 1
		.amdhsa_forward_progress 1
		.amdhsa_inst_pref_size 0
		.amdhsa_round_robin_scheduling 0
		.amdhsa_exception_fp_ieee_invalid_op 0
		.amdhsa_exception_fp_denorm_src 0
		.amdhsa_exception_fp_ieee_div_zero 0
		.amdhsa_exception_fp_ieee_overflow 0
		.amdhsa_exception_fp_ieee_underflow 0
		.amdhsa_exception_fp_ieee_inexact 0
		.amdhsa_exception_int_div_zero 0
	.end_amdhsa_kernel
	.section	.text._ZN7rocprim17ROCPRIM_400000_NS6detail17trampoline_kernelINS0_14default_configENS1_36segmented_radix_sort_config_selectorIllEEZNS1_25segmented_radix_sort_implIS3_Lb0EPKlPlS8_S9_N2at6native12_GLOBAL__N_18offset_tEEE10hipError_tPvRmT1_PNSt15iterator_traitsISH_E10value_typeET2_T3_PNSI_ISN_E10value_typeET4_jRbjT5_ST_jjP12ihipStream_tbEUlT_E0_NS1_11comp_targetILNS1_3genE2ELNS1_11target_archE906ELNS1_3gpuE6ELNS1_3repE0EEENS1_60segmented_radix_sort_warp_sort_medium_config_static_selectorELNS0_4arch9wavefront6targetE0EEEvSH_,"axG",@progbits,_ZN7rocprim17ROCPRIM_400000_NS6detail17trampoline_kernelINS0_14default_configENS1_36segmented_radix_sort_config_selectorIllEEZNS1_25segmented_radix_sort_implIS3_Lb0EPKlPlS8_S9_N2at6native12_GLOBAL__N_18offset_tEEE10hipError_tPvRmT1_PNSt15iterator_traitsISH_E10value_typeET2_T3_PNSI_ISN_E10value_typeET4_jRbjT5_ST_jjP12ihipStream_tbEUlT_E0_NS1_11comp_targetILNS1_3genE2ELNS1_11target_archE906ELNS1_3gpuE6ELNS1_3repE0EEENS1_60segmented_radix_sort_warp_sort_medium_config_static_selectorELNS0_4arch9wavefront6targetE0EEEvSH_,comdat
.Lfunc_end821:
	.size	_ZN7rocprim17ROCPRIM_400000_NS6detail17trampoline_kernelINS0_14default_configENS1_36segmented_radix_sort_config_selectorIllEEZNS1_25segmented_radix_sort_implIS3_Lb0EPKlPlS8_S9_N2at6native12_GLOBAL__N_18offset_tEEE10hipError_tPvRmT1_PNSt15iterator_traitsISH_E10value_typeET2_T3_PNSI_ISN_E10value_typeET4_jRbjT5_ST_jjP12ihipStream_tbEUlT_E0_NS1_11comp_targetILNS1_3genE2ELNS1_11target_archE906ELNS1_3gpuE6ELNS1_3repE0EEENS1_60segmented_radix_sort_warp_sort_medium_config_static_selectorELNS0_4arch9wavefront6targetE0EEEvSH_, .Lfunc_end821-_ZN7rocprim17ROCPRIM_400000_NS6detail17trampoline_kernelINS0_14default_configENS1_36segmented_radix_sort_config_selectorIllEEZNS1_25segmented_radix_sort_implIS3_Lb0EPKlPlS8_S9_N2at6native12_GLOBAL__N_18offset_tEEE10hipError_tPvRmT1_PNSt15iterator_traitsISH_E10value_typeET2_T3_PNSI_ISN_E10value_typeET4_jRbjT5_ST_jjP12ihipStream_tbEUlT_E0_NS1_11comp_targetILNS1_3genE2ELNS1_11target_archE906ELNS1_3gpuE6ELNS1_3repE0EEENS1_60segmented_radix_sort_warp_sort_medium_config_static_selectorELNS0_4arch9wavefront6targetE0EEEvSH_
                                        ; -- End function
	.set _ZN7rocprim17ROCPRIM_400000_NS6detail17trampoline_kernelINS0_14default_configENS1_36segmented_radix_sort_config_selectorIllEEZNS1_25segmented_radix_sort_implIS3_Lb0EPKlPlS8_S9_N2at6native12_GLOBAL__N_18offset_tEEE10hipError_tPvRmT1_PNSt15iterator_traitsISH_E10value_typeET2_T3_PNSI_ISN_E10value_typeET4_jRbjT5_ST_jjP12ihipStream_tbEUlT_E0_NS1_11comp_targetILNS1_3genE2ELNS1_11target_archE906ELNS1_3gpuE6ELNS1_3repE0EEENS1_60segmented_radix_sort_warp_sort_medium_config_static_selectorELNS0_4arch9wavefront6targetE0EEEvSH_.num_vgpr, 0
	.set _ZN7rocprim17ROCPRIM_400000_NS6detail17trampoline_kernelINS0_14default_configENS1_36segmented_radix_sort_config_selectorIllEEZNS1_25segmented_radix_sort_implIS3_Lb0EPKlPlS8_S9_N2at6native12_GLOBAL__N_18offset_tEEE10hipError_tPvRmT1_PNSt15iterator_traitsISH_E10value_typeET2_T3_PNSI_ISN_E10value_typeET4_jRbjT5_ST_jjP12ihipStream_tbEUlT_E0_NS1_11comp_targetILNS1_3genE2ELNS1_11target_archE906ELNS1_3gpuE6ELNS1_3repE0EEENS1_60segmented_radix_sort_warp_sort_medium_config_static_selectorELNS0_4arch9wavefront6targetE0EEEvSH_.num_agpr, 0
	.set _ZN7rocprim17ROCPRIM_400000_NS6detail17trampoline_kernelINS0_14default_configENS1_36segmented_radix_sort_config_selectorIllEEZNS1_25segmented_radix_sort_implIS3_Lb0EPKlPlS8_S9_N2at6native12_GLOBAL__N_18offset_tEEE10hipError_tPvRmT1_PNSt15iterator_traitsISH_E10value_typeET2_T3_PNSI_ISN_E10value_typeET4_jRbjT5_ST_jjP12ihipStream_tbEUlT_E0_NS1_11comp_targetILNS1_3genE2ELNS1_11target_archE906ELNS1_3gpuE6ELNS1_3repE0EEENS1_60segmented_radix_sort_warp_sort_medium_config_static_selectorELNS0_4arch9wavefront6targetE0EEEvSH_.numbered_sgpr, 0
	.set _ZN7rocprim17ROCPRIM_400000_NS6detail17trampoline_kernelINS0_14default_configENS1_36segmented_radix_sort_config_selectorIllEEZNS1_25segmented_radix_sort_implIS3_Lb0EPKlPlS8_S9_N2at6native12_GLOBAL__N_18offset_tEEE10hipError_tPvRmT1_PNSt15iterator_traitsISH_E10value_typeET2_T3_PNSI_ISN_E10value_typeET4_jRbjT5_ST_jjP12ihipStream_tbEUlT_E0_NS1_11comp_targetILNS1_3genE2ELNS1_11target_archE906ELNS1_3gpuE6ELNS1_3repE0EEENS1_60segmented_radix_sort_warp_sort_medium_config_static_selectorELNS0_4arch9wavefront6targetE0EEEvSH_.num_named_barrier, 0
	.set _ZN7rocprim17ROCPRIM_400000_NS6detail17trampoline_kernelINS0_14default_configENS1_36segmented_radix_sort_config_selectorIllEEZNS1_25segmented_radix_sort_implIS3_Lb0EPKlPlS8_S9_N2at6native12_GLOBAL__N_18offset_tEEE10hipError_tPvRmT1_PNSt15iterator_traitsISH_E10value_typeET2_T3_PNSI_ISN_E10value_typeET4_jRbjT5_ST_jjP12ihipStream_tbEUlT_E0_NS1_11comp_targetILNS1_3genE2ELNS1_11target_archE906ELNS1_3gpuE6ELNS1_3repE0EEENS1_60segmented_radix_sort_warp_sort_medium_config_static_selectorELNS0_4arch9wavefront6targetE0EEEvSH_.private_seg_size, 0
	.set _ZN7rocprim17ROCPRIM_400000_NS6detail17trampoline_kernelINS0_14default_configENS1_36segmented_radix_sort_config_selectorIllEEZNS1_25segmented_radix_sort_implIS3_Lb0EPKlPlS8_S9_N2at6native12_GLOBAL__N_18offset_tEEE10hipError_tPvRmT1_PNSt15iterator_traitsISH_E10value_typeET2_T3_PNSI_ISN_E10value_typeET4_jRbjT5_ST_jjP12ihipStream_tbEUlT_E0_NS1_11comp_targetILNS1_3genE2ELNS1_11target_archE906ELNS1_3gpuE6ELNS1_3repE0EEENS1_60segmented_radix_sort_warp_sort_medium_config_static_selectorELNS0_4arch9wavefront6targetE0EEEvSH_.uses_vcc, 0
	.set _ZN7rocprim17ROCPRIM_400000_NS6detail17trampoline_kernelINS0_14default_configENS1_36segmented_radix_sort_config_selectorIllEEZNS1_25segmented_radix_sort_implIS3_Lb0EPKlPlS8_S9_N2at6native12_GLOBAL__N_18offset_tEEE10hipError_tPvRmT1_PNSt15iterator_traitsISH_E10value_typeET2_T3_PNSI_ISN_E10value_typeET4_jRbjT5_ST_jjP12ihipStream_tbEUlT_E0_NS1_11comp_targetILNS1_3genE2ELNS1_11target_archE906ELNS1_3gpuE6ELNS1_3repE0EEENS1_60segmented_radix_sort_warp_sort_medium_config_static_selectorELNS0_4arch9wavefront6targetE0EEEvSH_.uses_flat_scratch, 0
	.set _ZN7rocprim17ROCPRIM_400000_NS6detail17trampoline_kernelINS0_14default_configENS1_36segmented_radix_sort_config_selectorIllEEZNS1_25segmented_radix_sort_implIS3_Lb0EPKlPlS8_S9_N2at6native12_GLOBAL__N_18offset_tEEE10hipError_tPvRmT1_PNSt15iterator_traitsISH_E10value_typeET2_T3_PNSI_ISN_E10value_typeET4_jRbjT5_ST_jjP12ihipStream_tbEUlT_E0_NS1_11comp_targetILNS1_3genE2ELNS1_11target_archE906ELNS1_3gpuE6ELNS1_3repE0EEENS1_60segmented_radix_sort_warp_sort_medium_config_static_selectorELNS0_4arch9wavefront6targetE0EEEvSH_.has_dyn_sized_stack, 0
	.set _ZN7rocprim17ROCPRIM_400000_NS6detail17trampoline_kernelINS0_14default_configENS1_36segmented_radix_sort_config_selectorIllEEZNS1_25segmented_radix_sort_implIS3_Lb0EPKlPlS8_S9_N2at6native12_GLOBAL__N_18offset_tEEE10hipError_tPvRmT1_PNSt15iterator_traitsISH_E10value_typeET2_T3_PNSI_ISN_E10value_typeET4_jRbjT5_ST_jjP12ihipStream_tbEUlT_E0_NS1_11comp_targetILNS1_3genE2ELNS1_11target_archE906ELNS1_3gpuE6ELNS1_3repE0EEENS1_60segmented_radix_sort_warp_sort_medium_config_static_selectorELNS0_4arch9wavefront6targetE0EEEvSH_.has_recursion, 0
	.set _ZN7rocprim17ROCPRIM_400000_NS6detail17trampoline_kernelINS0_14default_configENS1_36segmented_radix_sort_config_selectorIllEEZNS1_25segmented_radix_sort_implIS3_Lb0EPKlPlS8_S9_N2at6native12_GLOBAL__N_18offset_tEEE10hipError_tPvRmT1_PNSt15iterator_traitsISH_E10value_typeET2_T3_PNSI_ISN_E10value_typeET4_jRbjT5_ST_jjP12ihipStream_tbEUlT_E0_NS1_11comp_targetILNS1_3genE2ELNS1_11target_archE906ELNS1_3gpuE6ELNS1_3repE0EEENS1_60segmented_radix_sort_warp_sort_medium_config_static_selectorELNS0_4arch9wavefront6targetE0EEEvSH_.has_indirect_call, 0
	.section	.AMDGPU.csdata,"",@progbits
; Kernel info:
; codeLenInByte = 0
; TotalNumSgprs: 0
; NumVgprs: 0
; ScratchSize: 0
; MemoryBound: 0
; FloatMode: 240
; IeeeMode: 1
; LDSByteSize: 0 bytes/workgroup (compile time only)
; SGPRBlocks: 0
; VGPRBlocks: 0
; NumSGPRsForWavesPerEU: 1
; NumVGPRsForWavesPerEU: 1
; Occupancy: 16
; WaveLimiterHint : 0
; COMPUTE_PGM_RSRC2:SCRATCH_EN: 0
; COMPUTE_PGM_RSRC2:USER_SGPR: 2
; COMPUTE_PGM_RSRC2:TRAP_HANDLER: 0
; COMPUTE_PGM_RSRC2:TGID_X_EN: 1
; COMPUTE_PGM_RSRC2:TGID_Y_EN: 0
; COMPUTE_PGM_RSRC2:TGID_Z_EN: 0
; COMPUTE_PGM_RSRC2:TIDIG_COMP_CNT: 0
	.text
	.p2align	2                               ; -- Begin function _ZN7rocprim17ROCPRIM_400000_NS6detail26segmented_warp_sort_helperINS1_20WarpSortHelperConfigILj16ELj8ELj256EEEllLi256ELb0EvE4sortIPKlPlS8_S9_EEvT_T0_T1_T2_jjjjRNS5_12storage_typeE
	.type	_ZN7rocprim17ROCPRIM_400000_NS6detail26segmented_warp_sort_helperINS1_20WarpSortHelperConfigILj16ELj8ELj256EEEllLi256ELb0EvE4sortIPKlPlS8_S9_EEvT_T0_T1_T2_jjjjRNS5_12storage_typeE,@function
_ZN7rocprim17ROCPRIM_400000_NS6detail26segmented_warp_sort_helperINS1_20WarpSortHelperConfigILj16ELj8ELj256EEEllLi256ELb0EvE4sortIPKlPlS8_S9_EEvT_T0_T1_T2_jjjjRNS5_12storage_typeE: ; @_ZN7rocprim17ROCPRIM_400000_NS6detail26segmented_warp_sort_helperINS1_20WarpSortHelperConfigILj16ELj8ELj256EEEllLi256ELb0EvE4sortIPKlPlS8_S9_EEvT_T0_T1_T2_jjjjRNS5_12storage_typeE
; %bb.0:
	s_wait_loadcnt_dscnt 0x0
	s_wait_expcnt 0x0
	s_wait_samplecnt 0x0
	s_wait_bvhcnt 0x0
	s_wait_kmcnt 0x0
	v_mov_b32_e32 v12, v9
	v_mbcnt_lo_u32_b32 v9, -1, 0
	v_bfrev_b32_e32 v26, -2
	s_delay_alu instid0(VALU_DEP_2) | instskip(SKIP_2) | instid1(VALU_DEP_3)
	v_dual_mov_b32 v25, -1 :: v_dual_lshlrev_b32 v66, 3, v9
	v_mov_b32_e32 v9, 0
	v_sub_nc_u32_e32 v19, v12, v8
	v_and_b32_e32 v67, 0x78, v66
	s_delay_alu instid0(VALU_DEP_3) | instskip(SKIP_1) | instid1(VALU_DEP_3)
	v_lshlrev_b64_e32 v[13:14], 3, v[8:9]
	v_dual_mov_b32 v8, v25 :: v_dual_mov_b32 v9, v26
	v_lshlrev_b32_e32 v12, 3, v67
	s_delay_alu instid0(VALU_DEP_3) | instskip(SKIP_1) | instid1(VALU_DEP_4)
	v_add_co_u32 v0, vcc_lo, v0, v13
	s_wait_alu 0xfffd
	v_add_co_ci_u32_e64 v1, null, v1, v14, vcc_lo
	s_delay_alu instid0(VALU_DEP_2) | instskip(SKIP_1) | instid1(VALU_DEP_2)
	v_add_co_u32 v0, vcc_lo, v0, v12
	s_wait_alu 0xfffd
	v_add_co_ci_u32_e64 v1, null, 0, v1, vcc_lo
	v_cmp_lt_u32_e32 vcc_lo, v67, v19
	s_and_saveexec_b32 s0, vcc_lo
	s_cbranch_execz .LBB822_2
; %bb.1:
	flat_load_b64 v[8:9], v[0:1]
.LBB822_2:
	s_wait_alu 0xfffe
	s_or_b32 exec_lo, exec_lo, s0
	v_or_b32_e32 v15, 1, v67
	s_delay_alu instid0(VALU_DEP_1)
	v_cmp_lt_u32_e64 s0, v15, v19
	s_and_saveexec_b32 s1, s0
	s_cbranch_execz .LBB822_4
; %bb.3:
	flat_load_b64 v[25:26], v[0:1] offset:8
.LBB822_4:
	s_wait_alu 0xfffe
	s_or_b32 exec_lo, exec_lo, s1
	v_or_b32_e32 v15, 2, v67
	v_mov_b32_e32 v36, -1
	v_bfrev_b32_e32 v37, -2
	s_delay_alu instid0(VALU_DEP_3) | instskip(NEXT) | instid1(VALU_DEP_2)
	v_cmp_lt_u32_e64 s1, v15, v19
	v_dual_mov_b32 v29, v36 :: v_dual_mov_b32 v30, v37
	s_and_saveexec_b32 s2, s1
	s_cbranch_execz .LBB822_6
; %bb.5:
	flat_load_b64 v[29:30], v[0:1] offset:16
.LBB822_6:
	s_wait_alu 0xfffe
	s_or_b32 exec_lo, exec_lo, s2
	v_or_b32_e32 v15, 3, v67
	s_delay_alu instid0(VALU_DEP_1)
	v_cmp_lt_u32_e64 s2, v15, v19
	s_and_saveexec_b32 s3, s2
	s_cbranch_execz .LBB822_8
; %bb.7:
	flat_load_b64 v[36:37], v[0:1] offset:24
.LBB822_8:
	s_wait_alu 0xfffe
	s_or_b32 exec_lo, exec_lo, s3
	v_or_b32_e32 v15, 4, v67
	v_mov_b32_e32 v17, -1
	v_bfrev_b32_e32 v18, -2
	s_delay_alu instid0(VALU_DEP_3) | instskip(NEXT) | instid1(VALU_DEP_2)
	v_cmp_lt_u32_e64 s3, v15, v19
	v_dual_mov_b32 v35, v18 :: v_dual_mov_b32 v34, v17
	s_and_saveexec_b32 s4, s3
	s_cbranch_execz .LBB822_10
; %bb.9:
	flat_load_b64 v[34:35], v[0:1] offset:32
.LBB822_10:
	;; [unrolled: 23-line block ×3, first 2 shown]
	s_wait_alu 0xfffe
	s_or_b32 exec_lo, exec_lo, s6
	v_or_b32_e32 v20, 7, v67
	s_delay_alu instid0(VALU_DEP_1)
	v_cmp_lt_u32_e64 s6, v20, v19
	s_and_saveexec_b32 s7, s6
	s_cbranch_execz .LBB822_16
; %bb.15:
	flat_load_b64 v[15:16], v[0:1] offset:56
.LBB822_16:
	s_wait_alu 0xfffe
	s_or_b32 exec_lo, exec_lo, s7
	v_add_co_u32 v0, s7, v4, v13
	s_wait_alu 0xf1ff
	v_add_co_ci_u32_e64 v1, null, v5, v14, s7
	s_delay_alu instid0(VALU_DEP_2) | instskip(SKIP_1) | instid1(VALU_DEP_2)
	v_add_co_u32 v50, s7, v0, v12
	s_wait_alu 0xf1ff
	v_add_co_ci_u32_e64 v51, null, 0, v1, s7
	; wave barrier
                                        ; implicit-def: $vgpr0_vgpr1
	s_and_saveexec_b32 s7, vcc_lo
	s_cbranch_execnz .LBB822_243
; %bb.17:
	s_wait_alu 0xfffe
	s_or_b32 exec_lo, exec_lo, s7
	s_and_saveexec_b32 s7, s0
                                        ; implicit-def: $vgpr19_vgpr20
	s_cbranch_execnz .LBB822_244
.LBB822_18:
	s_wait_alu 0xfffe
	s_or_b32 exec_lo, exec_lo, s7
                                        ; implicit-def: $vgpr21_vgpr22
	s_and_saveexec_b32 s7, s1
	s_cbranch_execnz .LBB822_245
.LBB822_19:
	s_wait_alu 0xfffe
	s_or_b32 exec_lo, exec_lo, s7
	s_and_saveexec_b32 s7, s2
                                        ; implicit-def: $vgpr23_vgpr24
	s_cbranch_execnz .LBB822_246
.LBB822_20:
	s_wait_alu 0xfffe
	s_or_b32 exec_lo, exec_lo, s7
                                        ; implicit-def: $vgpr27_vgpr28
	s_and_saveexec_b32 s7, s3
	s_cbranch_execnz .LBB822_247
.LBB822_21:
	s_wait_alu 0xfffe
	s_or_b32 exec_lo, exec_lo, s7
	s_and_saveexec_b32 s7, s4
                                        ; implicit-def: $vgpr38_vgpr39
	s_cbranch_execnz .LBB822_248
.LBB822_22:
	s_wait_alu 0xfffe
	s_or_b32 exec_lo, exec_lo, s7
                                        ; implicit-def: $vgpr4_vgpr5
	s_and_saveexec_b32 s7, s5
	s_cbranch_execnz .LBB822_249
.LBB822_23:
	s_wait_alu 0xfffe
	s_or_b32 exec_lo, exec_lo, s7
	s_and_saveexec_b32 s7, s6
                                        ; implicit-def: $vgpr32_vgpr33
	s_cbranch_execz .LBB822_25
.LBB822_24:
	flat_load_b64 v[32:33], v[50:51] offset:56
.LBB822_25:
	s_wait_alu 0xfffe
	s_or_b32 exec_lo, exec_lo, s7
	v_cmp_ne_u32_e64 s7, 0, v10
	v_cmp_ne_u32_e64 s10, 64, v11
	v_bfe_u32 v50, v31, 10, 10
	v_bfe_u32 v51, v31, 20, 10
	v_and_b32_e32 v31, 0x3ff, v31
	s_mov_b32 s11, 0
	s_or_b32 s7, s7, s10
	; wave barrier
	s_wait_alu 0xfffe
	s_and_saveexec_b32 s10, s7
	s_wait_alu 0xfffe
	s_xor_b32 s19, exec_lo, s10
	s_cbranch_execz .LBB822_125
; %bb.26:
	s_load_b64 s[12:13], s[8:9], 0x0
	s_and_b32 s7, ttmp7, 0xffff
	s_wait_kmcnt 0x0
	s_wait_alu 0xfffe
	s_cmp_lt_u32 s7, s13
	s_cselect_b32 s10, 14, 20
	s_cmp_lt_u32 ttmp9, s12
	s_wait_alu 0xfffe
	s_add_nc_u64 s[14:15], s[8:9], s[10:11]
	s_cselect_b32 s10, 12, 18
	s_load_u16 s7, s[14:15], 0x0
	s_add_nc_u64 s[10:11], s[8:9], s[10:11]
	s_load_u16 s10, s[10:11], 0x0
	s_wait_kmcnt 0x0
	v_mad_u32_u24 v50, v51, s7, v50
	s_delay_alu instid0(VALU_DEP_1) | instskip(SKIP_3) | instid1(VALU_DEP_1)
	v_mul_lo_u32 v52, v50, s10
	v_lshlrev_b64_e64 v[50:51], v11, -1
	v_lshlrev_b64_e64 v[10:11], v10, -1
	s_mov_b32 s10, exec_lo
	v_xor_b32_e32 v69, v51, v11
	s_delay_alu instid0(VALU_DEP_4) | instskip(NEXT) | instid1(VALU_DEP_3)
	v_add_lshl_u32 v70, v52, v31, 3
	v_xor_b32_e32 v68, v50, v10
	s_delay_alu instid0(VALU_DEP_2)
	v_cmpx_gt_u32_e32 0x800, v70
	s_cbranch_execz .LBB822_84
; %bb.27:
	s_wait_loadcnt_dscnt 0x0
	v_and_b32_e32 v11, v26, v69
	v_and_b32_e32 v10, v25, v68
	;; [unrolled: 1-line block ×4, first 2 shown]
	s_delay_alu instid0(VALU_DEP_1)
	v_cmp_gt_u64_e64 s7, v[50:51], v[10:11]
	v_dual_mov_b32 v10, v25 :: v_dual_mov_b32 v51, v20
	v_dual_mov_b32 v11, v26 :: v_dual_mov_b32 v50, v19
	s_and_saveexec_b32 s11, s7
; %bb.28:
	v_dual_mov_b32 v11, v9 :: v_dual_mov_b32 v10, v8
	v_dual_mov_b32 v8, v25 :: v_dual_mov_b32 v9, v26
	;; [unrolled: 1-line block ×4, first 2 shown]
; %bb.29:
	s_wait_alu 0xfffe
	s_or_b32 exec_lo, exec_lo, s11
	v_dual_mov_b32 v53, v24 :: v_dual_and_b32 v20, v37, v69
	v_dual_mov_b32 v65, v37 :: v_dual_and_b32 v26, v30, v69
	v_dual_mov_b32 v52, v23 :: v_dual_and_b32 v19, v36, v68
	v_dual_mov_b32 v64, v36 :: v_dual_and_b32 v25, v29, v68
	s_mov_b32 s11, exec_lo
	s_delay_alu instid0(VALU_DEP_1)
	v_cmpx_gt_u64_e64 v[25:26], v[19:20]
; %bb.30:
	v_dual_mov_b32 v65, v30 :: v_dual_mov_b32 v64, v29
	v_dual_mov_b32 v29, v36 :: v_dual_mov_b32 v30, v37
	;; [unrolled: 1-line block ×4, first 2 shown]
; %bb.31:
	s_wait_alu 0xfffe
	s_or_b32 exec_lo, exec_lo, s11
	v_dual_mov_b32 v55, v35 :: v_dual_and_b32 v20, v18, v69
	v_and_b32_e32 v19, v17, v68
	v_and_b32_e32 v24, v35, v69
	;; [unrolled: 1-line block ×3, first 2 shown]
	v_mov_b32_e32 v54, v34
	s_delay_alu instid0(VALU_DEP_2)
	v_cmp_gt_u64_e64 s7, v[23:24], v[19:20]
	v_dual_mov_b32 v23, v38 :: v_dual_mov_b32 v24, v39
	s_and_saveexec_b32 s11, s7
; %bb.32:
	v_dual_mov_b32 v23, v27 :: v_dual_mov_b32 v24, v28
	v_dual_mov_b32 v27, v38 :: v_dual_mov_b32 v28, v39
	;; [unrolled: 1-line block ×4, first 2 shown]
; %bb.33:
	s_wait_alu 0xfffe
	s_or_b32 exec_lo, exec_lo, s11
	v_and_b32_e32 v20, v16, v69
	v_and_b32_e32 v19, v15, v68
	;; [unrolled: 1-line block ×4, first 2 shown]
	v_dual_mov_b32 v34, v48 :: v_dual_mov_b32 v35, v49
	s_delay_alu instid0(VALU_DEP_2)
	v_cmp_gt_u64_e64 s7, v[25:26], v[19:20]
	v_dual_mov_b32 v19, v32 :: v_dual_mov_b32 v20, v33
	s_and_saveexec_b32 s11, s7
; %bb.34:
	v_dual_mov_b32 v20, v5 :: v_dual_mov_b32 v19, v4
	v_dual_mov_b32 v4, v32 :: v_dual_mov_b32 v5, v33
	;; [unrolled: 1-line block ×4, first 2 shown]
; %bb.35:
	s_wait_alu 0xfffe
	s_or_b32 exec_lo, exec_lo, s11
	v_and_b32_e32 v26, v30, v69
	v_and_b32_e32 v25, v29, v68
	;; [unrolled: 1-line block ×4, first 2 shown]
	s_delay_alu instid0(VALU_DEP_1)
	v_cmp_gt_u64_e64 s7, v[31:32], v[25:26]
	v_dual_mov_b32 v25, v29 :: v_dual_mov_b32 v32, v22
	v_dual_mov_b32 v26, v30 :: v_dual_mov_b32 v31, v21
	s_and_saveexec_b32 s11, s7
	s_wait_alu 0xfffe
	s_xor_b32 s7, exec_lo, s11
; %bb.36:
	v_dual_mov_b32 v26, v11 :: v_dual_mov_b32 v25, v10
	v_dual_mov_b32 v10, v29 :: v_dual_mov_b32 v11, v30
	;; [unrolled: 1-line block ×4, first 2 shown]
; %bb.37:
	s_wait_alu 0xfffe
	s_or_b32 exec_lo, exec_lo, s7
	v_and_b32_e32 v22, v55, v69
	v_dual_mov_b32 v48, v64 :: v_dual_and_b32 v21, v54, v68
	v_and_b32_e32 v30, v65, v69
	v_and_b32_e32 v29, v64, v68
	v_mov_b32_e32 v49, v65
	s_delay_alu instid0(VALU_DEP_2)
	v_cmp_gt_u64_e64 s7, v[29:30], v[21:22]
	v_dual_mov_b32 v30, v28 :: v_dual_mov_b32 v29, v27
	s_and_saveexec_b32 s11, s7
; %bb.38:
	v_dual_mov_b32 v48, v54 :: v_dual_mov_b32 v49, v55
	v_dual_mov_b32 v29, v52 :: v_dual_mov_b32 v30, v53
	;; [unrolled: 1-line block ×4, first 2 shown]
; %bb.39:
	s_wait_alu 0xfffe
	s_or_b32 exec_lo, exec_lo, s11
	v_and_b32_e32 v22, v35, v69
	v_and_b32_e32 v21, v34, v68
	;; [unrolled: 1-line block ×4, first 2 shown]
	s_delay_alu instid0(VALU_DEP_1)
	v_cmp_gt_u64_e64 s7, v[27:28], v[21:22]
	v_mov_b32_e32 v22, v5
	v_dual_mov_b32 v28, v18 :: v_dual_mov_b32 v21, v4
	v_mov_b32_e32 v27, v17
	s_and_saveexec_b32 s11, s7
; %bb.40:
	v_dual_mov_b32 v21, v23 :: v_dual_mov_b32 v22, v24
	v_dual_mov_b32 v24, v5 :: v_dual_mov_b32 v23, v4
	;; [unrolled: 1-line block ×4, first 2 shown]
; %bb.41:
	s_wait_alu 0xfffe
	s_or_b32 exec_lo, exec_lo, s11
	v_dual_mov_b32 v36, v50 :: v_dual_and_b32 v5, v11, v69
	v_dual_mov_b32 v37, v51 :: v_dual_and_b32 v4, v10, v68
	v_and_b32_e32 v18, v9, v69
	v_and_b32_e32 v17, v8, v68
	s_delay_alu instid0(VALU_DEP_1)
	v_cmp_gt_u64_e64 s7, v[17:18], v[4:5]
	v_dual_mov_b32 v18, v11 :: v_dual_mov_b32 v17, v10
	s_and_saveexec_b32 s11, s7
; %bb.42:
	v_dual_mov_b32 v18, v9 :: v_dual_mov_b32 v17, v8
	v_dual_mov_b32 v8, v10 :: v_dual_mov_b32 v9, v11
	;; [unrolled: 1-line block ×4, first 2 shown]
; %bb.43:
	s_wait_alu 0xfffe
	s_or_b32 exec_lo, exec_lo, s11
	v_dual_mov_b32 v51, v49 :: v_dual_and_b32 v4, v48, v68
	v_dual_mov_b32 v38, v52 :: v_dual_and_b32 v11, v26, v69
	;; [unrolled: 1-line block ×3, first 2 shown]
	v_and_b32_e32 v10, v25, v68
	v_mov_b32_e32 v39, v53
	s_mov_b32 s11, exec_lo
	s_delay_alu instid0(VALU_DEP_2)
	v_cmpx_gt_u64_e64 v[10:11], v[4:5]
; %bb.44:
	v_dual_mov_b32 v51, v26 :: v_dual_mov_b32 v50, v25
	v_dual_mov_b32 v25, v48 :: v_dual_mov_b32 v26, v49
	;; [unrolled: 1-line block ×4, first 2 shown]
; %bb.45:
	s_wait_alu 0xfffe
	s_or_b32 exec_lo, exec_lo, s11
	v_and_b32_e32 v5, v28, v69
	v_and_b32_e32 v4, v27, v68
	v_dual_mov_b32 v52, v54 :: v_dual_and_b32 v11, v55, v69
	v_dual_mov_b32 v53, v55 :: v_dual_and_b32 v10, v54, v68
	s_delay_alu instid0(VALU_DEP_1)
	v_cmp_gt_u64_e64 s7, v[10:11], v[4:5]
	v_dual_mov_b32 v10, v23 :: v_dual_mov_b32 v11, v24
	s_and_saveexec_b32 s11, s7
; %bb.46:
	v_dual_mov_b32 v10, v29 :: v_dual_mov_b32 v11, v30
	v_dual_mov_b32 v30, v24 :: v_dual_mov_b32 v29, v23
	;; [unrolled: 1-line block ×4, first 2 shown]
; %bb.47:
	s_wait_alu 0xfffe
	s_or_b32 exec_lo, exec_lo, s11
	v_and_b32_e32 v5, v16, v69
	v_and_b32_e32 v4, v15, v68
	;; [unrolled: 1-line block ×4, first 2 shown]
	v_dual_mov_b32 v49, v35 :: v_dual_mov_b32 v48, v34
	s_delay_alu instid0(VALU_DEP_2)
	v_cmp_gt_u64_e64 s7, v[23:24], v[4:5]
	v_dual_mov_b32 v4, v19 :: v_dual_mov_b32 v5, v20
	s_and_saveexec_b32 s11, s7
; %bb.48:
	v_dual_mov_b32 v4, v21 :: v_dual_mov_b32 v5, v22
	v_dual_mov_b32 v22, v20 :: v_dual_mov_b32 v21, v19
	;; [unrolled: 1-line block ×4, first 2 shown]
; %bb.49:
	s_wait_alu 0xfffe
	s_or_b32 exec_lo, exec_lo, s11
	v_and_b32_e32 v20, v26, v69
	v_and_b32_e32 v19, v25, v68
	;; [unrolled: 1-line block ×3, first 2 shown]
	v_dual_mov_b32 v34, v32 :: v_dual_and_b32 v23, v17, v68
	v_mov_b32_e32 v33, v31
	s_delay_alu instid0(VALU_DEP_2)
	v_cmp_gt_u64_e64 s7, v[23:24], v[19:20]
	v_dual_mov_b32 v19, v25 :: v_dual_mov_b32 v20, v26
	s_and_saveexec_b32 s11, s7
; %bb.50:
	v_dual_mov_b32 v20, v18 :: v_dual_mov_b32 v19, v17
	v_dual_mov_b32 v17, v25 :: v_dual_mov_b32 v18, v26
	;; [unrolled: 1-line block ×4, first 2 shown]
; %bb.51:
	s_wait_alu 0xfffe
	s_or_b32 exec_lo, exec_lo, s11
	v_dual_mov_b32 v55, v51 :: v_dual_and_b32 v24, v53, v69
	v_dual_mov_b32 v54, v50 :: v_dual_and_b32 v23, v52, v68
	v_and_b32_e32 v26, v51, v69
	v_and_b32_e32 v25, v50, v68
	s_delay_alu instid0(VALU_DEP_1)
	v_cmp_gt_u64_e64 s7, v[25:26], v[23:24]
	v_dual_mov_b32 v25, v29 :: v_dual_mov_b32 v26, v30
	s_and_saveexec_b32 s11, s7
; %bb.52:
	v_dual_mov_b32 v55, v53 :: v_dual_mov_b32 v54, v52
	v_dual_mov_b32 v25, v38 :: v_dual_mov_b32 v26, v39
	;; [unrolled: 1-line block ×4, first 2 shown]
; %bb.53:
	s_wait_alu 0xfffe
	s_or_b32 exec_lo, exec_lo, s11
	v_and_b32_e32 v24, v49, v69
	v_and_b32_e32 v23, v48, v68
	v_and_b32_e32 v30, v28, v69
	v_and_b32_e32 v29, v27, v68
	s_delay_alu instid0(VALU_DEP_1)
	v_cmp_gt_u64_e64 s7, v[29:30], v[23:24]
	v_mov_b32_e32 v24, v22
	v_dual_mov_b32 v30, v28 :: v_dual_mov_b32 v23, v21
	v_mov_b32_e32 v29, v27
	s_and_saveexec_b32 s11, s7
; %bb.54:
	v_dual_mov_b32 v24, v11 :: v_dual_mov_b32 v23, v10
	v_dual_mov_b32 v10, v21 :: v_dual_mov_b32 v11, v22
	;; [unrolled: 1-line block ×4, first 2 shown]
; %bb.55:
	s_wait_alu 0xfffe
	s_or_b32 exec_lo, exec_lo, s11
	v_and_b32_e32 v22, v18, v69
	v_and_b32_e32 v21, v17, v68
	v_dual_mov_b32 v31, v36 :: v_dual_and_b32 v28, v9, v69
	v_dual_mov_b32 v32, v37 :: v_dual_and_b32 v27, v8, v68
	s_delay_alu instid0(VALU_DEP_1)
	v_cmp_gt_u64_e64 s7, v[27:28], v[21:22]
	v_dual_mov_b32 v22, v18 :: v_dual_mov_b32 v21, v17
	s_and_saveexec_b32 s11, s7
; %bb.56:
	v_dual_mov_b32 v22, v9 :: v_dual_mov_b32 v21, v8
	v_dual_mov_b32 v8, v17 :: v_dual_mov_b32 v9, v18
	;; [unrolled: 1-line block ×4, first 2 shown]
; %bb.57:
	s_wait_alu 0xfffe
	s_or_b32 exec_lo, exec_lo, s11
	v_and_b32_e32 v18, v55, v69
	v_and_b32_e32 v17, v54, v68
	;; [unrolled: 1-line block ×4, first 2 shown]
	v_dual_mov_b32 v51, v39 :: v_dual_mov_b32 v50, v38
	s_delay_alu instid0(VALU_DEP_2)
	v_cmp_gt_u64_e64 s7, v[27:28], v[17:18]
	v_dual_mov_b32 v17, v54 :: v_dual_mov_b32 v18, v55
	s_and_saveexec_b32 s11, s7
; %bb.58:
	v_dual_mov_b32 v17, v19 :: v_dual_mov_b32 v18, v20
	v_dual_mov_b32 v19, v54 :: v_dual_mov_b32 v20, v55
	;; [unrolled: 1-line block ×4, first 2 shown]
; %bb.59:
	s_wait_alu 0xfffe
	s_or_b32 exec_lo, exec_lo, s11
	v_dual_mov_b32 v55, v53 :: v_dual_and_b32 v28, v30, v69
	v_dual_mov_b32 v54, v52 :: v_dual_and_b32 v27, v29, v68
	v_and_b32_e32 v36, v53, v69
	v_and_b32_e32 v35, v52, v68
	s_delay_alu instid0(VALU_DEP_1)
	v_cmp_gt_u64_e64 s7, v[35:36], v[27:28]
	v_dual_mov_b32 v28, v11 :: v_dual_mov_b32 v27, v10
	s_and_saveexec_b32 s11, s7
; %bb.60:
	v_dual_mov_b32 v28, v26 :: v_dual_mov_b32 v27, v25
	v_dual_mov_b32 v26, v11 :: v_dual_mov_b32 v25, v10
	v_dual_mov_b32 v55, v30 :: v_dual_mov_b32 v54, v29
	v_dual_mov_b32 v29, v52 :: v_dual_mov_b32 v30, v53
; %bb.61:
	s_wait_alu 0xfffe
	s_or_b32 exec_lo, exec_lo, s11
	v_and_b32_e32 v11, v16, v69
	v_dual_mov_b32 v53, v49 :: v_dual_and_b32 v10, v15, v68
	v_and_b32_e32 v36, v49, v69
	v_and_b32_e32 v35, v48, v68
	v_mov_b32_e32 v52, v48
	s_delay_alu instid0(VALU_DEP_2)
	v_cmp_gt_u64_e64 s7, v[35:36], v[10:11]
	v_dual_mov_b32 v11, v5 :: v_dual_mov_b32 v10, v4
	s_and_saveexec_b32 s11, s7
; %bb.62:
	v_dual_mov_b32 v10, v23 :: v_dual_mov_b32 v11, v24
	v_dual_mov_b32 v24, v5 :: v_dual_mov_b32 v23, v4
	;; [unrolled: 1-line block ×4, first 2 shown]
; %bb.63:
	s_wait_alu 0xfffe
	s_or_b32 exec_lo, exec_lo, s11
	v_and_b32_e32 v5, v20, v69
	v_and_b32_e32 v4, v19, v68
	;; [unrolled: 1-line block ×4, first 2 shown]
	v_dual_mov_b32 v49, v34 :: v_dual_mov_b32 v48, v33
	s_delay_alu instid0(VALU_DEP_2)
	v_cmp_gt_u64_e64 s7, v[35:36], v[4:5]
	v_dual_mov_b32 v37, v20 :: v_dual_mov_b32 v36, v19
	s_and_saveexec_b32 s11, s7
; %bb.64:
	v_dual_mov_b32 v37, v22 :: v_dual_mov_b32 v36, v21
	v_dual_mov_b32 v22, v20 :: v_dual_mov_b32 v21, v19
	;; [unrolled: 1-line block ×4, first 2 shown]
; %bb.65:
	s_wait_alu 0xfffe
	s_or_b32 exec_lo, exec_lo, s11
	v_dual_mov_b32 v34, v18 :: v_dual_and_b32 v5, v55, v69
	v_dual_mov_b32 v33, v17 :: v_dual_and_b32 v4, v54, v68
	v_and_b32_e32 v20, v18, v69
	v_and_b32_e32 v19, v17, v68
	v_dual_mov_b32 v39, v26 :: v_dual_mov_b32 v38, v25
	s_mov_b32 s11, exec_lo
	s_delay_alu instid0(VALU_DEP_2)
	v_cmpx_gt_u64_e64 v[19:20], v[4:5]
; %bb.66:
	v_dual_mov_b32 v33, v54 :: v_dual_mov_b32 v34, v55
	v_dual_mov_b32 v38, v50 :: v_dual_mov_b32 v39, v51
	;; [unrolled: 1-line block ×4, first 2 shown]
; %bb.67:
	s_wait_alu 0xfffe
	s_or_b32 exec_lo, exec_lo, s11
	v_and_b32_e32 v5, v53, v69
	v_and_b32_e32 v4, v52, v68
	v_and_b32_e32 v18, v30, v69
	v_and_b32_e32 v17, v29, v68
	s_delay_alu instid0(VALU_DEP_1)
	v_cmp_gt_u64_e64 s7, v[17:18], v[4:5]
	v_dual_mov_b32 v4, v23 :: v_dual_mov_b32 v17, v29
	v_dual_mov_b32 v5, v24 :: v_dual_mov_b32 v18, v30
	s_and_saveexec_b32 s11, s7
; %bb.68:
	v_dual_mov_b32 v4, v27 :: v_dual_mov_b32 v5, v28
	v_dual_mov_b32 v28, v24 :: v_dual_mov_b32 v27, v23
	;; [unrolled: 1-line block ×4, first 2 shown]
; %bb.69:
	s_wait_alu 0xfffe
	s_or_b32 exec_lo, exec_lo, s11
	v_and_b32_e32 v20, v22, v69
	v_dual_mov_b32 v26, v22 :: v_dual_and_b32 v19, v21, v68
	v_and_b32_e32 v24, v9, v69
	v_and_b32_e32 v23, v8, v68
	v_mov_b32_e32 v25, v21
	s_delay_alu instid0(VALU_DEP_2)
	v_cmp_gt_u64_e64 s7, v[23:24], v[19:20]
	v_dual_mov_b32 v19, v31 :: v_dual_mov_b32 v20, v32
	s_and_saveexec_b32 s11, s7
; %bb.70:
	v_dual_mov_b32 v26, v9 :: v_dual_mov_b32 v25, v8
	v_dual_mov_b32 v8, v21 :: v_dual_mov_b32 v9, v22
	;; [unrolled: 1-line block ×4, first 2 shown]
; %bb.71:
	s_wait_alu 0xfffe
	s_or_b32 exec_lo, exec_lo, s11
	v_and_b32_e32 v22, v34, v69
	v_and_b32_e32 v21, v33, v68
	v_dual_mov_b32 v65, v34 :: v_dual_and_b32 v24, v37, v69
	v_dual_mov_b32 v64, v33 :: v_dual_and_b32 v23, v36, v68
	s_delay_alu instid0(VALU_DEP_1)
	v_cmp_gt_u64_e64 s7, v[23:24], v[21:22]
	v_dual_mov_b32 v23, v50 :: v_dual_mov_b32 v24, v51
	s_and_saveexec_b32 s11, s7
; %bb.72:
	v_dual_mov_b32 v65, v37 :: v_dual_mov_b32 v64, v36
	v_dual_mov_b32 v37, v34 :: v_dual_mov_b32 v36, v33
	;; [unrolled: 1-line block ×4, first 2 shown]
; %bb.73:
	s_wait_alu 0xfffe
	s_or_b32 exec_lo, exec_lo, s11
	v_dual_mov_b32 v51, v28 :: v_dual_and_b32 v22, v18, v69
	v_dual_mov_b32 v50, v27 :: v_dual_and_b32 v21, v17, v68
	v_and_b32_e32 v30, v55, v69
	v_and_b32_e32 v29, v54, v68
	v_dual_mov_b32 v34, v54 :: v_dual_mov_b32 v35, v55
	s_mov_b32 s11, exec_lo
	s_delay_alu instid0(VALU_DEP_2)
	v_cmpx_gt_u64_e64 v[29:30], v[21:22]
; %bb.74:
	v_dual_mov_b32 v51, v39 :: v_dual_mov_b32 v50, v38
	v_dual_mov_b32 v39, v28 :: v_dual_mov_b32 v38, v27
	;; [unrolled: 1-line block ×4, first 2 shown]
; %bb.75:
	s_wait_alu 0xfffe
	s_or_b32 exec_lo, exec_lo, s11
	v_dual_mov_b32 v33, v11 :: v_dual_and_b32 v22, v16, v69
	v_dual_mov_b32 v32, v10 :: v_dual_and_b32 v21, v15, v68
	v_and_b32_e32 v28, v53, v69
	v_and_b32_e32 v27, v52, v68
	v_dual_mov_b32 v55, v53 :: v_dual_mov_b32 v54, v52
	s_mov_b32 s11, exec_lo
	s_delay_alu instid0(VALU_DEP_2)
	v_cmpx_gt_u64_e64 v[27:28], v[21:22]
; %bb.76:
	v_dual_mov_b32 v33, v5 :: v_dual_mov_b32 v32, v4
	v_dual_mov_b32 v4, v10 :: v_dual_mov_b32 v5, v11
	;; [unrolled: 1-line block ×4, first 2 shown]
; %bb.77:
	s_wait_alu 0xfffe
	s_or_b32 exec_lo, exec_lo, s11
	v_and_b32_e32 v11, v37, v69
	v_and_b32_e32 v10, v36, v68
	v_dual_mov_b32 v29, v36 :: v_dual_and_b32 v22, v26, v69
	v_and_b32_e32 v21, v25, v68
	v_mov_b32_e32 v30, v37
	s_delay_alu instid0(VALU_DEP_2)
	v_cmp_gt_u64_e64 s7, v[21:22], v[10:11]
	v_dual_mov_b32 v21, v48 :: v_dual_mov_b32 v22, v49
	s_and_saveexec_b32 s11, s7
; %bb.78:
	v_dual_mov_b32 v30, v26 :: v_dual_mov_b32 v29, v25
	v_dual_mov_b32 v25, v36 :: v_dual_mov_b32 v26, v37
	;; [unrolled: 1-line block ×4, first 2 shown]
; %bb.79:
	s_wait_alu 0xfffe
	s_or_b32 exec_lo, exec_lo, s11
	v_dual_mov_b32 v36, v64 :: v_dual_and_b32 v11, v35, v69
	v_dual_mov_b32 v37, v65 :: v_dual_and_b32 v10, v34, v68
	v_and_b32_e32 v28, v65, v69
	v_and_b32_e32 v27, v64, v68
	s_delay_alu instid0(VALU_DEP_1)
	v_cmp_gt_u64_e64 s7, v[27:28], v[10:11]
	v_dual_mov_b32 v27, v38 :: v_dual_mov_b32 v28, v39
	s_and_saveexec_b32 s11, s7
; %bb.80:
	v_dual_mov_b32 v37, v35 :: v_dual_mov_b32 v36, v34
	v_dual_mov_b32 v28, v24 :: v_dual_mov_b32 v27, v23
	;; [unrolled: 1-line block ×4, first 2 shown]
; %bb.81:
	s_wait_alu 0xfffe
	s_or_b32 exec_lo, exec_lo, s11
	v_dual_mov_b32 v48, v54 :: v_dual_and_b32 v11, v55, v69
	v_dual_mov_b32 v49, v55 :: v_dual_and_b32 v10, v54, v68
	v_and_b32_e32 v39, v18, v69
	v_and_b32_e32 v38, v17, v68
	s_delay_alu instid0(VALU_DEP_1)
	v_cmp_gt_u64_e64 s7, v[38:39], v[10:11]
	v_dual_mov_b32 v38, v50 :: v_dual_mov_b32 v39, v51
	s_and_saveexec_b32 s11, s7
; %bb.82:
	v_dual_mov_b32 v49, v18 :: v_dual_mov_b32 v48, v17
	v_dual_mov_b32 v17, v54 :: v_dual_mov_b32 v18, v55
	;; [unrolled: 1-line block ×4, first 2 shown]
; %bb.83:
	s_wait_alu 0xfffe
	s_or_b32 exec_lo, exec_lo, s11
.LBB822_84:
	s_wait_alu 0xfffe
	s_or_b32 exec_lo, exec_lo, s10
	v_and_b32_e32 v10, 0xffffff00, v70
	v_or_b32_e32 v11, 8, v66
	v_and_b32_e32 v70, 0xf0, v66
	s_mov_b32 s10, exec_lo
	s_delay_alu instid0(VALU_DEP_3) | instskip(SKIP_2) | instid1(VALU_DEP_3)
	v_sub_nc_u32_e64 v51, 0x800, v10 clamp
	v_lshlrev_b32_e32 v31, 3, v10
	v_and_b32_e32 v10, 8, v66
	v_min_u32_e32 v64, v51, v11
	s_delay_alu instid0(VALU_DEP_3) | instskip(NEXT) | instid1(VALU_DEP_3)
	v_lshl_or_b32 v50, v66, 3, v31
	v_min_u32_e32 v71, v51, v10
	s_wait_loadcnt_dscnt 0x0
	ds_store_2addr_b64 v50, v[8:9], v[25:26] offset1:1
	ds_store_2addr_b64 v50, v[29:30], v[36:37] offset0:2 offset1:3
	v_add_nc_u32_e32 v11, 8, v64
	v_add_nc_u32_e32 v52, 0x4000, v50
	;; [unrolled: 1-line block ×5, first 2 shown]
	v_min_u32_e32 v65, v51, v11
	v_sub_nc_u32_e32 v11, v64, v70
	ds_store_2addr_b64 v52, v[0:1], v[19:20] offset1:1
	ds_store_2addr_b64 v53, v[21:22], v[23:24] offset1:1
	ds_store_2addr_b64 v50, v[34:35], v[17:18] offset0:4 offset1:5
	ds_store_2addr_b64 v50, v[48:49], v[15:16] offset0:6 offset1:7
	ds_store_2addr_b64 v54, v[27:28], v[38:39] offset1:1
	ds_store_2addr_b64 v55, v[4:5], v[32:33] offset1:1
	v_sub_nc_u32_e32 v10, v65, v64
	v_min_u32_e32 v80, v71, v11
	v_lshl_or_b32 v11, v70, 3, v31
	; wave barrier
	s_delay_alu instid0(VALU_DEP_3) | instskip(NEXT) | instid1(VALU_DEP_1)
	v_sub_nc_u32_e64 v10, v71, v10 clamp
	v_cmpx_lt_u32_e64 v10, v80
	s_cbranch_execz .LBB822_88
; %bb.85:
	v_lshlrev_b32_e32 v81, 3, v64
	v_lshlrev_b32_e32 v82, 3, v71
	s_mov_b32 s11, 0
	s_delay_alu instid0(VALU_DEP_1)
	v_add3_u32 v81, v31, v81, v82
.LBB822_86:                             ; =>This Inner Loop Header: Depth=1
	v_add_nc_u32_e32 v82, v80, v10
	s_delay_alu instid0(VALU_DEP_1) | instskip(NEXT) | instid1(VALU_DEP_1)
	v_lshrrev_b32_e32 v86, 1, v82
	v_not_b32_e32 v82, v86
	v_lshl_add_u32 v83, v86, 3, v11
	s_delay_alu instid0(VALU_DEP_2)
	v_lshl_add_u32 v84, v82, 3, v81
	ds_load_b64 v[82:83], v83
	ds_load_b64 v[84:85], v84
	s_wait_dscnt 0x1
	v_and_b32_e32 v83, v83, v69
	v_and_b32_e32 v82, v82, v68
	s_wait_dscnt 0x0
	v_and_b32_e32 v85, v85, v69
	v_and_b32_e32 v84, v84, v68
	s_delay_alu instid0(VALU_DEP_1) | instskip(SKIP_2) | instid1(VALU_DEP_2)
	v_cmp_gt_u64_e64 s7, v[82:83], v[84:85]
	v_add_nc_u32_e32 v82, 1, v86
	s_wait_alu 0xf1ff
	v_cndmask_b32_e64 v80, v80, v86, s7
	s_delay_alu instid0(VALU_DEP_2) | instskip(NEXT) | instid1(VALU_DEP_1)
	v_cndmask_b32_e64 v10, v82, v10, s7
	v_cmp_ge_u32_e64 s7, v10, v80
	s_wait_alu 0xfffe
	s_or_b32 s11, s7, s11
	s_wait_alu 0xfffe
	s_and_not1_b32 exec_lo, exec_lo, s11
	s_cbranch_execnz .LBB822_86
; %bb.87:
	s_or_b32 exec_lo, exec_lo, s11
.LBB822_88:
	s_wait_alu 0xfffe
	s_or_b32 exec_lo, exec_lo, s10
	v_add_nc_u32_e32 v71, v64, v71
	v_add_nc_u32_e32 v70, v10, v70
	s_delay_alu instid0(VALU_DEP_2) | instskip(NEXT) | instid1(VALU_DEP_2)
	v_sub_nc_u32_e32 v71, v71, v10
	v_cmp_le_u32_e64 s7, v70, v64
	s_delay_alu instid0(VALU_DEP_2)
	v_cmp_le_u32_e64 s10, v71, v65
	s_or_b32 s7, s7, s10
	s_wait_alu 0xfffe
	s_and_saveexec_b32 s20, s7
	s_cbranch_execz .LBB822_94
; %bb.89:
	v_cmp_lt_u32_e64 s7, v70, v64
                                        ; implicit-def: $vgpr8_vgpr9
	s_and_saveexec_b32 s10, s7
; %bb.90:
	v_lshl_add_u32 v0, v10, 3, v11
	ds_load_b64 v[8:9], v0
; %bb.91:
	s_wait_alu 0xfffe
	s_or_b32 exec_lo, exec_lo, s10
	v_cmp_ge_u32_e64 s10, v71, v65
	s_mov_b32 s12, exec_lo
                                        ; implicit-def: $vgpr10_vgpr11
	v_cmpx_lt_u32_e64 v71, v65
; %bb.92:
	v_lshl_add_u32 v0, v71, 3, v31
	ds_load_b64 v[10:11], v0
; %bb.93:
	s_wait_alu 0xfffe
	s_or_b32 exec_lo, exec_lo, s12
	s_wait_dscnt 0x0
	v_and_b32_e32 v1, v11, v69
	v_and_b32_e32 v0, v10, v68
	;; [unrolled: 1-line block ×4, first 2 shown]
	s_delay_alu instid0(VALU_DEP_1)
	v_cmp_le_u64_e64 s11, v[4:5], v[0:1]
	s_and_b32 s7, s7, s11
	s_wait_alu 0xfffe
	s_or_b32 s7, s10, s7
	s_wait_alu 0xfffe
	v_cndmask_b32_e64 v15, v71, v70, s7
	v_cndmask_b32_e64 v0, v65, v64, s7
	s_delay_alu instid0(VALU_DEP_2) | instskip(NEXT) | instid1(VALU_DEP_2)
	v_add_nc_u32_e32 v16, 1, v15
	v_add_nc_u32_e32 v0, -1, v0
	v_lshl_add_u32 v15, v15, 3, v31
	s_delay_alu instid0(VALU_DEP_3) | instskip(NEXT) | instid1(VALU_DEP_3)
	v_cndmask_b32_e64 v19, v70, v16, s7
	v_min_u32_e32 v0, v16, v0
	v_cndmask_b32_e64 v16, v16, v71, s7
	s_delay_alu instid0(VALU_DEP_3) | instskip(NEXT) | instid1(VALU_DEP_3)
	v_cmp_lt_u32_e64 s11, v19, v64
	v_lshl_add_u32 v0, v0, 3, v31
	s_delay_alu instid0(VALU_DEP_3)
	v_cmp_ge_u32_e64 s12, v16, v65
	ds_load_b64 v[0:1], v0
	s_wait_dscnt 0x0
	v_cndmask_b32_e64 v17, v1, v11, s7
	v_cndmask_b32_e64 v18, v0, v10, s7
	;; [unrolled: 1-line block ×5, first 2 shown]
	v_and_b32_e32 v1, v17, v69
	v_and_b32_e32 v0, v18, v68
	;; [unrolled: 1-line block ×4, first 2 shown]
	v_cndmask_b32_e64 v8, v10, v8, s7
	s_delay_alu instid0(VALU_DEP_2)
	v_cmp_le_u64_e64 s10, v[4:5], v[0:1]
	s_and_b32 s10, s11, s10
	s_wait_alu 0xfffe
	s_or_b32 s10, s12, s10
	s_wait_alu 0xfffe
	v_cndmask_b32_e64 v20, v16, v19, s10
	v_cndmask_b32_e64 v0, v65, v64, s10
	s_delay_alu instid0(VALU_DEP_2) | instskip(NEXT) | instid1(VALU_DEP_2)
	v_add_nc_u32_e32 v21, 1, v20
	v_add_nc_u32_e32 v0, -1, v0
	s_delay_alu instid0(VALU_DEP_2) | instskip(NEXT) | instid1(VALU_DEP_2)
	v_cndmask_b32_e64 v19, v19, v21, s10
	v_min_u32_e32 v0, v21, v0
	v_cndmask_b32_e64 v16, v21, v16, s10
	s_delay_alu instid0(VALU_DEP_3) | instskip(NEXT) | instid1(VALU_DEP_3)
	v_cmp_lt_u32_e64 s12, v19, v64
	v_lshl_add_u32 v0, v0, 3, v31
	s_delay_alu instid0(VALU_DEP_3)
	v_cmp_ge_u32_e64 s13, v16, v65
	ds_load_b64 v[0:1], v0
	s_wait_dscnt 0x0
	v_cndmask_b32_e64 v30, v1, v17, s10
	v_cndmask_b32_e64 v34, v0, v18, s10
	;; [unrolled: 1-line block ×4, first 2 shown]
	s_delay_alu instid0(VALU_DEP_4) | instskip(NEXT) | instid1(VALU_DEP_4)
	v_and_b32_e32 v1, v30, v69
	v_and_b32_e32 v0, v34, v68
	s_delay_alu instid0(VALU_DEP_4) | instskip(NEXT) | instid1(VALU_DEP_4)
	v_and_b32_e32 v5, v35, v69
	v_and_b32_e32 v4, v36, v68
	s_delay_alu instid0(VALU_DEP_1)
	v_cmp_le_u64_e64 s11, v[4:5], v[0:1]
	s_and_b32 s11, s12, s11
	s_wait_alu 0xfffe
	s_or_b32 s11, s13, s11
	s_wait_alu 0xfffe
	v_cndmask_b32_e64 v21, v16, v19, s11
	v_cndmask_b32_e64 v0, v65, v64, s11
	s_delay_alu instid0(VALU_DEP_2) | instskip(NEXT) | instid1(VALU_DEP_2)
	v_add_nc_u32_e32 v22, 1, v21
	v_add_nc_u32_e32 v0, -1, v0
	v_lshl_add_u32 v21, v21, 3, v31
	s_delay_alu instid0(VALU_DEP_3) | instskip(NEXT) | instid1(VALU_DEP_3)
	v_cndmask_b32_e64 v19, v19, v22, s11
	v_min_u32_e32 v0, v22, v0
	v_cndmask_b32_e64 v16, v22, v16, s11
	s_delay_alu instid0(VALU_DEP_3) | instskip(NEXT) | instid1(VALU_DEP_3)
	v_cmp_lt_u32_e64 s13, v19, v64
	v_lshl_add_u32 v0, v0, 3, v31
	s_delay_alu instid0(VALU_DEP_3)
	v_cmp_ge_u32_e64 s14, v16, v65
	ds_load_b64 v[0:1], v0
	s_wait_dscnt 0x0
	v_cndmask_b32_e64 v37, v1, v30, s11
	v_cndmask_b32_e64 v48, v0, v34, s11
	;; [unrolled: 1-line block ×5, first 2 shown]
	v_and_b32_e32 v1, v37, v69
	v_and_b32_e32 v0, v48, v68
	;; [unrolled: 1-line block ×4, first 2 shown]
	s_delay_alu instid0(VALU_DEP_1)
	v_cmp_le_u64_e64 s12, v[4:5], v[0:1]
	s_and_b32 s12, s13, s12
	s_wait_alu 0xfffe
	s_or_b32 s12, s14, s12
	s_wait_alu 0xfffe
	v_cndmask_b32_e64 v23, v16, v19, s12
	v_cndmask_b32_e64 v0, v65, v64, s12
	s_delay_alu instid0(VALU_DEP_2) | instskip(NEXT) | instid1(VALU_DEP_2)
	v_add_nc_u32_e32 v22, 1, v23
	v_add_nc_u32_e32 v0, -1, v0
	s_delay_alu instid0(VALU_DEP_2) | instskip(NEXT) | instid1(VALU_DEP_2)
	v_cndmask_b32_e64 v19, v19, v22, s12
	v_min_u32_e32 v0, v22, v0
	v_cndmask_b32_e64 v16, v22, v16, s12
	s_delay_alu instid0(VALU_DEP_3) | instskip(NEXT) | instid1(VALU_DEP_3)
	v_cmp_lt_u32_e64 s14, v19, v64
	v_lshl_add_u32 v0, v0, 3, v31
	s_delay_alu instid0(VALU_DEP_3)
	v_cmp_ge_u32_e64 s15, v16, v65
	ds_load_b64 v[0:1], v0
	s_wait_dscnt 0x0
	v_cndmask_b32_e64 v71, v1, v37, s12
	v_cndmask_b32_e64 v80, v0, v48, s12
	;; [unrolled: 1-line block ×5, first 2 shown]
	v_and_b32_e32 v1, v71, v69
	v_and_b32_e32 v0, v80, v68
	;; [unrolled: 1-line block ×4, first 2 shown]
	s_delay_alu instid0(VALU_DEP_1)
	v_cmp_le_u64_e64 s13, v[4:5], v[0:1]
	s_and_b32 s13, s14, s13
	s_wait_alu 0xfffe
	s_or_b32 s13, s15, s13
	s_wait_alu 0xfffe
	v_cndmask_b32_e64 v24, v16, v19, s13
	v_cndmask_b32_e64 v0, v65, v64, s13
	v_cndmask_b32_e64 v35, v71, v81, s13
	s_delay_alu instid0(VALU_DEP_3) | instskip(NEXT) | instid1(VALU_DEP_3)
	v_add_nc_u32_e32 v22, 1, v24
	v_add_nc_u32_e32 v0, -1, v0
	s_delay_alu instid0(VALU_DEP_2) | instskip(NEXT) | instid1(VALU_DEP_2)
	v_cndmask_b32_e64 v19, v19, v22, s13
	v_min_u32_e32 v0, v22, v0
	v_cndmask_b32_e64 v16, v22, v16, s13
	s_delay_alu instid0(VALU_DEP_3) | instskip(NEXT) | instid1(VALU_DEP_3)
	v_cmp_lt_u32_e64 s15, v19, v64
	v_lshl_add_u32 v0, v0, 3, v31
	s_delay_alu instid0(VALU_DEP_3)
	v_cmp_ge_u32_e64 s16, v16, v65
	ds_load_b64 v[0:1], v0
	s_wait_dscnt 0x0
	v_cndmask_b32_e64 v83, v1, v71, s13
	v_cndmask_b32_e64 v84, v0, v80, s13
	;; [unrolled: 1-line block ×4, first 2 shown]
	s_delay_alu instid0(VALU_DEP_4) | instskip(NEXT) | instid1(VALU_DEP_4)
	v_and_b32_e32 v1, v83, v69
	v_and_b32_e32 v0, v84, v68
	s_delay_alu instid0(VALU_DEP_4) | instskip(NEXT) | instid1(VALU_DEP_4)
	v_and_b32_e32 v5, v85, v69
	v_and_b32_e32 v4, v86, v68
	s_delay_alu instid0(VALU_DEP_1)
	v_cmp_le_u64_e64 s14, v[4:5], v[0:1]
	s_and_b32 s14, s15, s14
	s_wait_alu 0xfffe
	s_or_b32 s14, s16, s14
	s_wait_alu 0xfffe
	v_cndmask_b32_e64 v26, v16, v19, s14
	v_cndmask_b32_e64 v0, v65, v64, s14
	s_delay_alu instid0(VALU_DEP_2) | instskip(NEXT) | instid1(VALU_DEP_2)
	v_add_nc_u32_e32 v22, 1, v26
	v_add_nc_u32_e32 v0, -1, v0
	s_delay_alu instid0(VALU_DEP_2) | instskip(NEXT) | instid1(VALU_DEP_2)
	v_cndmask_b32_e64 v19, v19, v22, s14
	v_min_u32_e32 v0, v22, v0
	v_cndmask_b32_e64 v16, v22, v16, s14
	s_delay_alu instid0(VALU_DEP_3) | instskip(NEXT) | instid1(VALU_DEP_3)
	v_cmp_lt_u32_e64 s16, v19, v64
	v_lshl_add_u32 v0, v0, 3, v31
	s_delay_alu instid0(VALU_DEP_3)
	v_cmp_ge_u32_e64 s17, v16, v65
	ds_load_b64 v[0:1], v0
	s_wait_dscnt 0x0
	v_cndmask_b32_e64 v87, v1, v83, s14
	v_cndmask_b32_e64 v96, v0, v84, s14
	;; [unrolled: 1-line block ×4, first 2 shown]
	s_delay_alu instid0(VALU_DEP_4) | instskip(NEXT) | instid1(VALU_DEP_4)
	v_and_b32_e32 v1, v87, v69
	v_and_b32_e32 v0, v96, v68
	s_delay_alu instid0(VALU_DEP_4) | instskip(NEXT) | instid1(VALU_DEP_4)
	v_and_b32_e32 v5, v97, v69
	v_and_b32_e32 v4, v98, v68
	s_delay_alu instid0(VALU_DEP_1)
	v_cmp_le_u64_e64 s15, v[4:5], v[0:1]
	s_and_b32 s15, s16, s15
	s_wait_alu 0xfffe
	s_or_b32 s15, s17, s15
	s_wait_alu 0xfffe
	v_cndmask_b32_e64 v27, v16, v19, s15
	v_cndmask_b32_e64 v0, v65, v64, s15
	;; [unrolled: 1-line block ×3, first 2 shown]
	s_delay_alu instid0(VALU_DEP_3) | instskip(NEXT) | instid1(VALU_DEP_3)
	v_add_nc_u32_e32 v22, 1, v27
	v_add_nc_u32_e32 v0, -1, v0
	s_delay_alu instid0(VALU_DEP_2) | instskip(NEXT) | instid1(VALU_DEP_2)
	v_cndmask_b32_e64 v28, v19, v22, s15
	v_min_u32_e32 v0, v22, v0
	v_cndmask_b32_e64 v16, v22, v16, s15
	v_lshl_add_u32 v19, v20, 3, v31
	s_delay_alu instid0(VALU_DEP_4) | instskip(NEXT) | instid1(VALU_DEP_4)
	v_cmp_lt_u32_e64 s17, v28, v64
	v_lshl_add_u32 v0, v0, 3, v31
	s_delay_alu instid0(VALU_DEP_4)
	v_cmp_ge_u32_e64 s18, v16, v65
	ds_load_b64 v[0:1], v0
	s_wait_dscnt 0x0
	v_cndmask_b32_e64 v99, v1, v87, s15
	v_cndmask_b32_e64 v100, v0, v96, s15
	;; [unrolled: 1-line block ×4, first 2 shown]
	s_delay_alu instid0(VALU_DEP_4) | instskip(NEXT) | instid1(VALU_DEP_4)
	v_and_b32_e32 v1, v99, v69
	v_and_b32_e32 v0, v100, v68
	s_delay_alu instid0(VALU_DEP_4) | instskip(NEXT) | instid1(VALU_DEP_4)
	v_and_b32_e32 v5, v101, v69
	v_and_b32_e32 v4, v102, v68
	s_delay_alu instid0(VALU_DEP_1)
	v_cmp_le_u64_e64 s16, v[4:5], v[0:1]
	ds_load_b64 v[0:1], v15 offset:16384
	v_lshl_add_u32 v4, v23, 3, v31
	v_lshl_add_u32 v15, v24, 3, v31
	ds_load_b64 v[19:20], v19 offset:16384
	ds_load_b64 v[21:22], v21 offset:16384
	s_and_b32 s16, s17, s16
	ds_load_b64 v[23:24], v4 offset:16384
	s_wait_alu 0xfffe
	s_or_b32 s16, s18, s16
	s_wait_alu 0xfffe
	v_cndmask_b32_e64 v5, v16, v28, s16
	v_lshl_add_u32 v16, v26, 3, v31
	v_lshl_add_u32 v26, v27, 3, v31
	s_delay_alu instid0(VALU_DEP_3)
	v_lshl_add_u32 v32, v5, 3, v31
	ds_load_b64 v[27:28], v15 offset:16384
	ds_load_b64 v[38:39], v16 offset:16384
	;; [unrolled: 1-line block ×3, first 2 shown]
	v_cndmask_b32_e64 v26, v17, v25, s10
	v_cndmask_b32_e64 v25, v18, v29, s10
	;; [unrolled: 1-line block ×3, first 2 shown]
	ds_load_b64 v[32:33], v32 offset:16384
	v_cndmask_b32_e64 v36, v48, v70, s12
	v_cndmask_b32_e64 v34, v80, v82, s13
	;; [unrolled: 1-line block ×7, first 2 shown]
.LBB822_94:
	s_wait_alu 0xfffe
	s_or_b32 exec_lo, exec_lo, s20
	v_and_b32_e32 v70, 0xe0, v66
	v_and_b32_e32 v11, 24, v66
	s_mov_b32 s10, exec_lo
	; wave barrier
	s_delay_alu instid0(VALU_DEP_2) | instskip(NEXT) | instid1(VALU_DEP_2)
	v_or_b32_e32 v10, 16, v70
	v_min_u32_e32 v71, v51, v11
	ds_store_2addr_b64 v50, v[8:9], v[25:26] offset1:1
	ds_store_2addr_b64 v50, v[29:30], v[36:37] offset0:2 offset1:3
	s_wait_dscnt 0x8
	ds_store_2addr_b64 v52, v[0:1], v[19:20] offset1:1
	s_wait_dscnt 0x7
	ds_store_2addr_b64 v53, v[21:22], v[23:24] offset1:1
	ds_store_2addr_b64 v50, v[34:35], v[17:18] offset0:4 offset1:5
	ds_store_2addr_b64 v50, v[48:49], v[15:16] offset0:6 offset1:7
	s_wait_dscnt 0x8
	ds_store_2addr_b64 v54, v[27:28], v[38:39] offset1:1
	s_wait_dscnt 0x7
	ds_store_2addr_b64 v55, v[4:5], v[32:33] offset1:1
	v_min_u32_e32 v64, v51, v10
	; wave barrier
	s_delay_alu instid0(VALU_DEP_1) | instskip(NEXT) | instid1(VALU_DEP_1)
	v_add_nc_u32_e32 v10, 16, v64
	v_min_u32_e32 v65, v51, v10
	v_sub_nc_u32_e32 v10, v64, v70
	s_delay_alu instid0(VALU_DEP_2) | instskip(NEXT) | instid1(VALU_DEP_2)
	v_sub_nc_u32_e32 v11, v65, v64
	v_min_u32_e32 v80, v71, v10
	s_delay_alu instid0(VALU_DEP_2) | instskip(SKIP_1) | instid1(VALU_DEP_2)
	v_sub_nc_u32_e64 v10, v71, v11 clamp
	v_lshl_add_u32 v11, v70, 3, v31
	v_cmpx_lt_u32_e64 v10, v80
	s_cbranch_execz .LBB822_98
; %bb.95:
	v_lshlrev_b32_e32 v81, 3, v64
	v_lshlrev_b32_e32 v82, 3, v71
	s_mov_b32 s11, 0
	s_delay_alu instid0(VALU_DEP_1)
	v_add3_u32 v81, v31, v81, v82
.LBB822_96:                             ; =>This Inner Loop Header: Depth=1
	v_add_nc_u32_e32 v82, v80, v10
	s_delay_alu instid0(VALU_DEP_1) | instskip(NEXT) | instid1(VALU_DEP_1)
	v_lshrrev_b32_e32 v86, 1, v82
	v_not_b32_e32 v82, v86
	v_lshl_add_u32 v83, v86, 3, v11
	s_delay_alu instid0(VALU_DEP_2)
	v_lshl_add_u32 v84, v82, 3, v81
	ds_load_b64 v[82:83], v83
	ds_load_b64 v[84:85], v84
	s_wait_dscnt 0x1
	v_and_b32_e32 v83, v83, v69
	v_and_b32_e32 v82, v82, v68
	s_wait_dscnt 0x0
	v_and_b32_e32 v85, v85, v69
	v_and_b32_e32 v84, v84, v68
	s_delay_alu instid0(VALU_DEP_1) | instskip(SKIP_2) | instid1(VALU_DEP_2)
	v_cmp_gt_u64_e64 s7, v[82:83], v[84:85]
	v_add_nc_u32_e32 v82, 1, v86
	s_wait_alu 0xf1ff
	v_cndmask_b32_e64 v80, v80, v86, s7
	s_delay_alu instid0(VALU_DEP_2) | instskip(NEXT) | instid1(VALU_DEP_1)
	v_cndmask_b32_e64 v10, v82, v10, s7
	v_cmp_ge_u32_e64 s7, v10, v80
	s_wait_alu 0xfffe
	s_or_b32 s11, s7, s11
	s_wait_alu 0xfffe
	s_and_not1_b32 exec_lo, exec_lo, s11
	s_cbranch_execnz .LBB822_96
; %bb.97:
	s_or_b32 exec_lo, exec_lo, s11
.LBB822_98:
	s_wait_alu 0xfffe
	s_or_b32 exec_lo, exec_lo, s10
	v_add_nc_u32_e32 v71, v64, v71
	v_add_nc_u32_e32 v70, v10, v70
	s_delay_alu instid0(VALU_DEP_2) | instskip(NEXT) | instid1(VALU_DEP_2)
	v_sub_nc_u32_e32 v71, v71, v10
	v_cmp_le_u32_e64 s7, v70, v64
	s_delay_alu instid0(VALU_DEP_2)
	v_cmp_le_u32_e64 s10, v71, v65
	s_or_b32 s7, s7, s10
	s_wait_alu 0xfffe
	s_and_saveexec_b32 s20, s7
	s_cbranch_execz .LBB822_104
; %bb.99:
	v_cmp_lt_u32_e64 s7, v70, v64
                                        ; implicit-def: $vgpr8_vgpr9
	s_and_saveexec_b32 s10, s7
; %bb.100:
	v_lshl_add_u32 v0, v10, 3, v11
	ds_load_b64 v[8:9], v0
; %bb.101:
	s_wait_alu 0xfffe
	s_or_b32 exec_lo, exec_lo, s10
	v_cmp_ge_u32_e64 s10, v71, v65
	s_mov_b32 s12, exec_lo
                                        ; implicit-def: $vgpr10_vgpr11
	v_cmpx_lt_u32_e64 v71, v65
; %bb.102:
	v_lshl_add_u32 v0, v71, 3, v31
	ds_load_b64 v[10:11], v0
; %bb.103:
	s_wait_alu 0xfffe
	s_or_b32 exec_lo, exec_lo, s12
	s_wait_dscnt 0x0
	v_and_b32_e32 v1, v11, v69
	v_and_b32_e32 v0, v10, v68
	;; [unrolled: 1-line block ×4, first 2 shown]
	s_delay_alu instid0(VALU_DEP_1)
	v_cmp_le_u64_e64 s11, v[4:5], v[0:1]
	s_and_b32 s7, s7, s11
	s_wait_alu 0xfffe
	s_or_b32 s7, s10, s7
	s_wait_alu 0xfffe
	v_cndmask_b32_e64 v15, v71, v70, s7
	v_cndmask_b32_e64 v0, v65, v64, s7
	s_delay_alu instid0(VALU_DEP_2) | instskip(NEXT) | instid1(VALU_DEP_2)
	v_add_nc_u32_e32 v16, 1, v15
	v_add_nc_u32_e32 v0, -1, v0
	v_lshl_add_u32 v15, v15, 3, v31
	s_delay_alu instid0(VALU_DEP_3) | instskip(NEXT) | instid1(VALU_DEP_3)
	v_cndmask_b32_e64 v19, v70, v16, s7
	v_min_u32_e32 v0, v16, v0
	v_cndmask_b32_e64 v16, v16, v71, s7
	s_delay_alu instid0(VALU_DEP_3) | instskip(NEXT) | instid1(VALU_DEP_3)
	v_cmp_lt_u32_e64 s11, v19, v64
	v_lshl_add_u32 v0, v0, 3, v31
	s_delay_alu instid0(VALU_DEP_3)
	v_cmp_ge_u32_e64 s12, v16, v65
	ds_load_b64 v[0:1], v0
	s_wait_dscnt 0x0
	v_cndmask_b32_e64 v17, v1, v11, s7
	v_cndmask_b32_e64 v18, v0, v10, s7
	;; [unrolled: 1-line block ×5, first 2 shown]
	v_and_b32_e32 v1, v17, v69
	v_and_b32_e32 v0, v18, v68
	;; [unrolled: 1-line block ×4, first 2 shown]
	v_cndmask_b32_e64 v8, v10, v8, s7
	s_delay_alu instid0(VALU_DEP_2)
	v_cmp_le_u64_e64 s10, v[4:5], v[0:1]
	s_and_b32 s10, s11, s10
	s_wait_alu 0xfffe
	s_or_b32 s10, s12, s10
	s_wait_alu 0xfffe
	v_cndmask_b32_e64 v20, v16, v19, s10
	v_cndmask_b32_e64 v0, v65, v64, s10
	s_delay_alu instid0(VALU_DEP_2) | instskip(NEXT) | instid1(VALU_DEP_2)
	v_add_nc_u32_e32 v21, 1, v20
	v_add_nc_u32_e32 v0, -1, v0
	s_delay_alu instid0(VALU_DEP_2) | instskip(NEXT) | instid1(VALU_DEP_2)
	v_cndmask_b32_e64 v19, v19, v21, s10
	v_min_u32_e32 v0, v21, v0
	v_cndmask_b32_e64 v16, v21, v16, s10
	s_delay_alu instid0(VALU_DEP_3) | instskip(NEXT) | instid1(VALU_DEP_3)
	v_cmp_lt_u32_e64 s12, v19, v64
	v_lshl_add_u32 v0, v0, 3, v31
	s_delay_alu instid0(VALU_DEP_3)
	v_cmp_ge_u32_e64 s13, v16, v65
	ds_load_b64 v[0:1], v0
	s_wait_dscnt 0x0
	v_cndmask_b32_e64 v30, v1, v17, s10
	v_cndmask_b32_e64 v34, v0, v18, s10
	;; [unrolled: 1-line block ×4, first 2 shown]
	s_delay_alu instid0(VALU_DEP_4) | instskip(NEXT) | instid1(VALU_DEP_4)
	v_and_b32_e32 v1, v30, v69
	v_and_b32_e32 v0, v34, v68
	s_delay_alu instid0(VALU_DEP_4) | instskip(NEXT) | instid1(VALU_DEP_4)
	v_and_b32_e32 v5, v35, v69
	v_and_b32_e32 v4, v36, v68
	s_delay_alu instid0(VALU_DEP_1)
	v_cmp_le_u64_e64 s11, v[4:5], v[0:1]
	s_and_b32 s11, s12, s11
	s_wait_alu 0xfffe
	s_or_b32 s11, s13, s11
	s_wait_alu 0xfffe
	v_cndmask_b32_e64 v21, v16, v19, s11
	v_cndmask_b32_e64 v0, v65, v64, s11
	s_delay_alu instid0(VALU_DEP_2) | instskip(NEXT) | instid1(VALU_DEP_2)
	v_add_nc_u32_e32 v22, 1, v21
	v_add_nc_u32_e32 v0, -1, v0
	v_lshl_add_u32 v21, v21, 3, v31
	s_delay_alu instid0(VALU_DEP_3) | instskip(NEXT) | instid1(VALU_DEP_3)
	v_cndmask_b32_e64 v19, v19, v22, s11
	v_min_u32_e32 v0, v22, v0
	v_cndmask_b32_e64 v16, v22, v16, s11
	s_delay_alu instid0(VALU_DEP_3) | instskip(NEXT) | instid1(VALU_DEP_3)
	v_cmp_lt_u32_e64 s13, v19, v64
	v_lshl_add_u32 v0, v0, 3, v31
	s_delay_alu instid0(VALU_DEP_3)
	v_cmp_ge_u32_e64 s14, v16, v65
	ds_load_b64 v[0:1], v0
	s_wait_dscnt 0x0
	v_cndmask_b32_e64 v37, v1, v30, s11
	v_cndmask_b32_e64 v48, v0, v34, s11
	v_cndmask_b32_e64 v49, v35, v1, s11
	v_cndmask_b32_e64 v70, v36, v0, s11
	v_cndmask_b32_e64 v30, v30, v35, s11
	v_and_b32_e32 v1, v37, v69
	v_and_b32_e32 v0, v48, v68
	v_and_b32_e32 v5, v49, v69
	v_and_b32_e32 v4, v70, v68
	s_delay_alu instid0(VALU_DEP_1)
	v_cmp_le_u64_e64 s12, v[4:5], v[0:1]
	s_and_b32 s12, s13, s12
	s_wait_alu 0xfffe
	s_or_b32 s12, s14, s12
	s_wait_alu 0xfffe
	v_cndmask_b32_e64 v23, v16, v19, s12
	v_cndmask_b32_e64 v0, v65, v64, s12
	s_delay_alu instid0(VALU_DEP_2) | instskip(NEXT) | instid1(VALU_DEP_2)
	v_add_nc_u32_e32 v22, 1, v23
	v_add_nc_u32_e32 v0, -1, v0
	s_delay_alu instid0(VALU_DEP_2) | instskip(NEXT) | instid1(VALU_DEP_2)
	v_cndmask_b32_e64 v19, v19, v22, s12
	v_min_u32_e32 v0, v22, v0
	v_cndmask_b32_e64 v16, v22, v16, s12
	s_delay_alu instid0(VALU_DEP_3) | instskip(NEXT) | instid1(VALU_DEP_3)
	v_cmp_lt_u32_e64 s14, v19, v64
	v_lshl_add_u32 v0, v0, 3, v31
	s_delay_alu instid0(VALU_DEP_3)
	v_cmp_ge_u32_e64 s15, v16, v65
	ds_load_b64 v[0:1], v0
	s_wait_dscnt 0x0
	v_cndmask_b32_e64 v71, v1, v37, s12
	v_cndmask_b32_e64 v80, v0, v48, s12
	;; [unrolled: 1-line block ×5, first 2 shown]
	v_and_b32_e32 v1, v71, v69
	v_and_b32_e32 v0, v80, v68
	;; [unrolled: 1-line block ×4, first 2 shown]
	s_delay_alu instid0(VALU_DEP_1)
	v_cmp_le_u64_e64 s13, v[4:5], v[0:1]
	s_and_b32 s13, s14, s13
	s_wait_alu 0xfffe
	s_or_b32 s13, s15, s13
	s_wait_alu 0xfffe
	v_cndmask_b32_e64 v24, v16, v19, s13
	v_cndmask_b32_e64 v0, v65, v64, s13
	;; [unrolled: 1-line block ×3, first 2 shown]
	s_delay_alu instid0(VALU_DEP_3) | instskip(NEXT) | instid1(VALU_DEP_3)
	v_add_nc_u32_e32 v22, 1, v24
	v_add_nc_u32_e32 v0, -1, v0
	s_delay_alu instid0(VALU_DEP_2) | instskip(NEXT) | instid1(VALU_DEP_2)
	v_cndmask_b32_e64 v19, v19, v22, s13
	v_min_u32_e32 v0, v22, v0
	v_cndmask_b32_e64 v16, v22, v16, s13
	s_delay_alu instid0(VALU_DEP_3) | instskip(NEXT) | instid1(VALU_DEP_3)
	v_cmp_lt_u32_e64 s15, v19, v64
	v_lshl_add_u32 v0, v0, 3, v31
	s_delay_alu instid0(VALU_DEP_3)
	v_cmp_ge_u32_e64 s16, v16, v65
	ds_load_b64 v[0:1], v0
	s_wait_dscnt 0x0
	v_cndmask_b32_e64 v83, v1, v71, s13
	v_cndmask_b32_e64 v84, v0, v80, s13
	;; [unrolled: 1-line block ×4, first 2 shown]
	s_delay_alu instid0(VALU_DEP_4) | instskip(NEXT) | instid1(VALU_DEP_4)
	v_and_b32_e32 v1, v83, v69
	v_and_b32_e32 v0, v84, v68
	s_delay_alu instid0(VALU_DEP_4) | instskip(NEXT) | instid1(VALU_DEP_4)
	v_and_b32_e32 v5, v85, v69
	v_and_b32_e32 v4, v86, v68
	s_delay_alu instid0(VALU_DEP_1)
	v_cmp_le_u64_e64 s14, v[4:5], v[0:1]
	s_and_b32 s14, s15, s14
	s_wait_alu 0xfffe
	s_or_b32 s14, s16, s14
	s_wait_alu 0xfffe
	v_cndmask_b32_e64 v26, v16, v19, s14
	v_cndmask_b32_e64 v0, v65, v64, s14
	s_delay_alu instid0(VALU_DEP_2) | instskip(NEXT) | instid1(VALU_DEP_2)
	v_add_nc_u32_e32 v22, 1, v26
	v_add_nc_u32_e32 v0, -1, v0
	s_delay_alu instid0(VALU_DEP_2) | instskip(NEXT) | instid1(VALU_DEP_2)
	v_cndmask_b32_e64 v19, v19, v22, s14
	v_min_u32_e32 v0, v22, v0
	v_cndmask_b32_e64 v16, v22, v16, s14
	s_delay_alu instid0(VALU_DEP_3) | instskip(NEXT) | instid1(VALU_DEP_3)
	v_cmp_lt_u32_e64 s16, v19, v64
	v_lshl_add_u32 v0, v0, 3, v31
	s_delay_alu instid0(VALU_DEP_3)
	v_cmp_ge_u32_e64 s17, v16, v65
	ds_load_b64 v[0:1], v0
	s_wait_dscnt 0x0
	v_cndmask_b32_e64 v87, v1, v83, s14
	v_cndmask_b32_e64 v96, v0, v84, s14
	;; [unrolled: 1-line block ×4, first 2 shown]
	s_delay_alu instid0(VALU_DEP_4) | instskip(NEXT) | instid1(VALU_DEP_4)
	v_and_b32_e32 v1, v87, v69
	v_and_b32_e32 v0, v96, v68
	s_delay_alu instid0(VALU_DEP_4) | instskip(NEXT) | instid1(VALU_DEP_4)
	v_and_b32_e32 v5, v97, v69
	v_and_b32_e32 v4, v98, v68
	s_delay_alu instid0(VALU_DEP_1)
	v_cmp_le_u64_e64 s15, v[4:5], v[0:1]
	s_and_b32 s15, s16, s15
	s_wait_alu 0xfffe
	s_or_b32 s15, s17, s15
	s_wait_alu 0xfffe
	v_cndmask_b32_e64 v27, v16, v19, s15
	v_cndmask_b32_e64 v0, v65, v64, s15
	;; [unrolled: 1-line block ×3, first 2 shown]
	s_delay_alu instid0(VALU_DEP_3) | instskip(NEXT) | instid1(VALU_DEP_3)
	v_add_nc_u32_e32 v22, 1, v27
	v_add_nc_u32_e32 v0, -1, v0
	s_delay_alu instid0(VALU_DEP_2) | instskip(NEXT) | instid1(VALU_DEP_2)
	v_cndmask_b32_e64 v28, v19, v22, s15
	v_min_u32_e32 v0, v22, v0
	v_cndmask_b32_e64 v16, v22, v16, s15
	v_lshl_add_u32 v19, v20, 3, v31
	s_delay_alu instid0(VALU_DEP_4) | instskip(NEXT) | instid1(VALU_DEP_4)
	v_cmp_lt_u32_e64 s17, v28, v64
	v_lshl_add_u32 v0, v0, 3, v31
	s_delay_alu instid0(VALU_DEP_4)
	v_cmp_ge_u32_e64 s18, v16, v65
	ds_load_b64 v[0:1], v0
	s_wait_dscnt 0x0
	v_cndmask_b32_e64 v99, v1, v87, s15
	v_cndmask_b32_e64 v100, v0, v96, s15
	;; [unrolled: 1-line block ×4, first 2 shown]
	s_delay_alu instid0(VALU_DEP_4) | instskip(NEXT) | instid1(VALU_DEP_4)
	v_and_b32_e32 v1, v99, v69
	v_and_b32_e32 v0, v100, v68
	s_delay_alu instid0(VALU_DEP_4) | instskip(NEXT) | instid1(VALU_DEP_4)
	v_and_b32_e32 v5, v101, v69
	v_and_b32_e32 v4, v102, v68
	s_delay_alu instid0(VALU_DEP_1)
	v_cmp_le_u64_e64 s16, v[4:5], v[0:1]
	ds_load_b64 v[0:1], v15 offset:16384
	v_lshl_add_u32 v4, v23, 3, v31
	v_lshl_add_u32 v15, v24, 3, v31
	ds_load_b64 v[19:20], v19 offset:16384
	ds_load_b64 v[21:22], v21 offset:16384
	s_and_b32 s16, s17, s16
	ds_load_b64 v[23:24], v4 offset:16384
	s_wait_alu 0xfffe
	s_or_b32 s16, s18, s16
	s_wait_alu 0xfffe
	v_cndmask_b32_e64 v5, v16, v28, s16
	v_lshl_add_u32 v16, v26, 3, v31
	v_lshl_add_u32 v26, v27, 3, v31
	s_delay_alu instid0(VALU_DEP_3)
	v_lshl_add_u32 v32, v5, 3, v31
	ds_load_b64 v[27:28], v15 offset:16384
	ds_load_b64 v[38:39], v16 offset:16384
	;; [unrolled: 1-line block ×3, first 2 shown]
	v_cndmask_b32_e64 v26, v17, v25, s10
	v_cndmask_b32_e64 v25, v18, v29, s10
	;; [unrolled: 1-line block ×3, first 2 shown]
	ds_load_b64 v[32:33], v32 offset:16384
	v_cndmask_b32_e64 v36, v48, v70, s12
	v_cndmask_b32_e64 v34, v80, v82, s13
	;; [unrolled: 1-line block ×7, first 2 shown]
.LBB822_104:
	s_wait_alu 0xfffe
	s_or_b32 exec_lo, exec_lo, s20
	v_and_b32_e32 v70, 0xc0, v66
	v_and_b32_e32 v11, 56, v66
	s_mov_b32 s10, exec_lo
	; wave barrier
	s_delay_alu instid0(VALU_DEP_2) | instskip(NEXT) | instid1(VALU_DEP_2)
	v_or_b32_e32 v10, 32, v70
	v_min_u32_e32 v71, v51, v11
	ds_store_2addr_b64 v50, v[8:9], v[25:26] offset1:1
	ds_store_2addr_b64 v50, v[29:30], v[36:37] offset0:2 offset1:3
	s_wait_dscnt 0x8
	ds_store_2addr_b64 v52, v[0:1], v[19:20] offset1:1
	s_wait_dscnt 0x7
	ds_store_2addr_b64 v53, v[21:22], v[23:24] offset1:1
	ds_store_2addr_b64 v50, v[34:35], v[17:18] offset0:4 offset1:5
	ds_store_2addr_b64 v50, v[48:49], v[15:16] offset0:6 offset1:7
	s_wait_dscnt 0x8
	ds_store_2addr_b64 v54, v[27:28], v[38:39] offset1:1
	s_wait_dscnt 0x7
	ds_store_2addr_b64 v55, v[4:5], v[32:33] offset1:1
	v_min_u32_e32 v64, v51, v10
	; wave barrier
	s_delay_alu instid0(VALU_DEP_1) | instskip(NEXT) | instid1(VALU_DEP_1)
	v_add_nc_u32_e32 v10, 32, v64
	v_min_u32_e32 v65, v51, v10
	v_sub_nc_u32_e32 v10, v64, v70
	s_delay_alu instid0(VALU_DEP_2) | instskip(NEXT) | instid1(VALU_DEP_2)
	v_sub_nc_u32_e32 v11, v65, v64
	v_min_u32_e32 v80, v71, v10
	s_delay_alu instid0(VALU_DEP_2) | instskip(SKIP_1) | instid1(VALU_DEP_2)
	v_sub_nc_u32_e64 v10, v71, v11 clamp
	v_lshl_add_u32 v11, v70, 3, v31
	v_cmpx_lt_u32_e64 v10, v80
	s_cbranch_execz .LBB822_108
; %bb.105:
	v_lshlrev_b32_e32 v81, 3, v64
	v_lshlrev_b32_e32 v82, 3, v71
	s_mov_b32 s11, 0
	s_delay_alu instid0(VALU_DEP_1)
	v_add3_u32 v81, v31, v81, v82
.LBB822_106:                            ; =>This Inner Loop Header: Depth=1
	v_add_nc_u32_e32 v82, v80, v10
	s_delay_alu instid0(VALU_DEP_1) | instskip(NEXT) | instid1(VALU_DEP_1)
	v_lshrrev_b32_e32 v86, 1, v82
	v_not_b32_e32 v82, v86
	v_lshl_add_u32 v83, v86, 3, v11
	s_delay_alu instid0(VALU_DEP_2)
	v_lshl_add_u32 v84, v82, 3, v81
	ds_load_b64 v[82:83], v83
	ds_load_b64 v[84:85], v84
	s_wait_dscnt 0x1
	v_and_b32_e32 v83, v83, v69
	v_and_b32_e32 v82, v82, v68
	s_wait_dscnt 0x0
	v_and_b32_e32 v85, v85, v69
	v_and_b32_e32 v84, v84, v68
	s_delay_alu instid0(VALU_DEP_1) | instskip(SKIP_2) | instid1(VALU_DEP_2)
	v_cmp_gt_u64_e64 s7, v[82:83], v[84:85]
	v_add_nc_u32_e32 v82, 1, v86
	s_wait_alu 0xf1ff
	v_cndmask_b32_e64 v80, v80, v86, s7
	s_delay_alu instid0(VALU_DEP_2) | instskip(NEXT) | instid1(VALU_DEP_1)
	v_cndmask_b32_e64 v10, v82, v10, s7
	v_cmp_ge_u32_e64 s7, v10, v80
	s_wait_alu 0xfffe
	s_or_b32 s11, s7, s11
	s_wait_alu 0xfffe
	s_and_not1_b32 exec_lo, exec_lo, s11
	s_cbranch_execnz .LBB822_106
; %bb.107:
	s_or_b32 exec_lo, exec_lo, s11
.LBB822_108:
	s_wait_alu 0xfffe
	s_or_b32 exec_lo, exec_lo, s10
	v_add_nc_u32_e32 v71, v64, v71
	v_add_nc_u32_e32 v70, v10, v70
	s_delay_alu instid0(VALU_DEP_2) | instskip(NEXT) | instid1(VALU_DEP_2)
	v_sub_nc_u32_e32 v71, v71, v10
	v_cmp_le_u32_e64 s7, v70, v64
	s_delay_alu instid0(VALU_DEP_2)
	v_cmp_le_u32_e64 s10, v71, v65
	s_or_b32 s7, s7, s10
	s_wait_alu 0xfffe
	s_and_saveexec_b32 s20, s7
	s_cbranch_execz .LBB822_114
; %bb.109:
	v_cmp_lt_u32_e64 s7, v70, v64
                                        ; implicit-def: $vgpr8_vgpr9
	s_and_saveexec_b32 s10, s7
; %bb.110:
	v_lshl_add_u32 v0, v10, 3, v11
	ds_load_b64 v[8:9], v0
; %bb.111:
	s_wait_alu 0xfffe
	s_or_b32 exec_lo, exec_lo, s10
	v_cmp_ge_u32_e64 s10, v71, v65
	s_mov_b32 s12, exec_lo
                                        ; implicit-def: $vgpr10_vgpr11
	v_cmpx_lt_u32_e64 v71, v65
; %bb.112:
	v_lshl_add_u32 v0, v71, 3, v31
	ds_load_b64 v[10:11], v0
; %bb.113:
	s_wait_alu 0xfffe
	s_or_b32 exec_lo, exec_lo, s12
	s_wait_dscnt 0x0
	v_and_b32_e32 v1, v11, v69
	v_and_b32_e32 v0, v10, v68
	;; [unrolled: 1-line block ×4, first 2 shown]
	s_delay_alu instid0(VALU_DEP_1)
	v_cmp_le_u64_e64 s11, v[4:5], v[0:1]
	s_and_b32 s7, s7, s11
	s_wait_alu 0xfffe
	s_or_b32 s7, s10, s7
	s_wait_alu 0xfffe
	v_cndmask_b32_e64 v15, v71, v70, s7
	v_cndmask_b32_e64 v0, v65, v64, s7
	s_delay_alu instid0(VALU_DEP_2) | instskip(NEXT) | instid1(VALU_DEP_2)
	v_add_nc_u32_e32 v16, 1, v15
	v_add_nc_u32_e32 v0, -1, v0
	v_lshl_add_u32 v15, v15, 3, v31
	s_delay_alu instid0(VALU_DEP_3) | instskip(NEXT) | instid1(VALU_DEP_3)
	v_cndmask_b32_e64 v19, v70, v16, s7
	v_min_u32_e32 v0, v16, v0
	v_cndmask_b32_e64 v16, v16, v71, s7
	s_delay_alu instid0(VALU_DEP_3) | instskip(NEXT) | instid1(VALU_DEP_3)
	v_cmp_lt_u32_e64 s11, v19, v64
	v_lshl_add_u32 v0, v0, 3, v31
	s_delay_alu instid0(VALU_DEP_3)
	v_cmp_ge_u32_e64 s12, v16, v65
	ds_load_b64 v[0:1], v0
	s_wait_dscnt 0x0
	v_cndmask_b32_e64 v17, v1, v11, s7
	v_cndmask_b32_e64 v18, v0, v10, s7
	;; [unrolled: 1-line block ×5, first 2 shown]
	v_and_b32_e32 v1, v17, v69
	v_and_b32_e32 v0, v18, v68
	;; [unrolled: 1-line block ×4, first 2 shown]
	v_cndmask_b32_e64 v8, v10, v8, s7
	s_delay_alu instid0(VALU_DEP_2)
	v_cmp_le_u64_e64 s10, v[4:5], v[0:1]
	s_and_b32 s10, s11, s10
	s_wait_alu 0xfffe
	s_or_b32 s10, s12, s10
	s_wait_alu 0xfffe
	v_cndmask_b32_e64 v20, v16, v19, s10
	v_cndmask_b32_e64 v0, v65, v64, s10
	s_delay_alu instid0(VALU_DEP_2) | instskip(NEXT) | instid1(VALU_DEP_2)
	v_add_nc_u32_e32 v21, 1, v20
	v_add_nc_u32_e32 v0, -1, v0
	s_delay_alu instid0(VALU_DEP_2) | instskip(NEXT) | instid1(VALU_DEP_2)
	v_cndmask_b32_e64 v19, v19, v21, s10
	v_min_u32_e32 v0, v21, v0
	v_cndmask_b32_e64 v16, v21, v16, s10
	s_delay_alu instid0(VALU_DEP_3) | instskip(NEXT) | instid1(VALU_DEP_3)
	v_cmp_lt_u32_e64 s12, v19, v64
	v_lshl_add_u32 v0, v0, 3, v31
	s_delay_alu instid0(VALU_DEP_3)
	v_cmp_ge_u32_e64 s13, v16, v65
	ds_load_b64 v[0:1], v0
	s_wait_dscnt 0x0
	v_cndmask_b32_e64 v30, v1, v17, s10
	v_cndmask_b32_e64 v34, v0, v18, s10
	;; [unrolled: 1-line block ×4, first 2 shown]
	s_delay_alu instid0(VALU_DEP_4) | instskip(NEXT) | instid1(VALU_DEP_4)
	v_and_b32_e32 v1, v30, v69
	v_and_b32_e32 v0, v34, v68
	s_delay_alu instid0(VALU_DEP_4) | instskip(NEXT) | instid1(VALU_DEP_4)
	v_and_b32_e32 v5, v35, v69
	v_and_b32_e32 v4, v36, v68
	s_delay_alu instid0(VALU_DEP_1)
	v_cmp_le_u64_e64 s11, v[4:5], v[0:1]
	s_and_b32 s11, s12, s11
	s_wait_alu 0xfffe
	s_or_b32 s11, s13, s11
	s_wait_alu 0xfffe
	v_cndmask_b32_e64 v21, v16, v19, s11
	v_cndmask_b32_e64 v0, v65, v64, s11
	s_delay_alu instid0(VALU_DEP_2) | instskip(NEXT) | instid1(VALU_DEP_2)
	v_add_nc_u32_e32 v22, 1, v21
	v_add_nc_u32_e32 v0, -1, v0
	v_lshl_add_u32 v21, v21, 3, v31
	s_delay_alu instid0(VALU_DEP_3) | instskip(NEXT) | instid1(VALU_DEP_3)
	v_cndmask_b32_e64 v19, v19, v22, s11
	v_min_u32_e32 v0, v22, v0
	v_cndmask_b32_e64 v16, v22, v16, s11
	s_delay_alu instid0(VALU_DEP_3) | instskip(NEXT) | instid1(VALU_DEP_3)
	v_cmp_lt_u32_e64 s13, v19, v64
	v_lshl_add_u32 v0, v0, 3, v31
	s_delay_alu instid0(VALU_DEP_3)
	v_cmp_ge_u32_e64 s14, v16, v65
	ds_load_b64 v[0:1], v0
	s_wait_dscnt 0x0
	v_cndmask_b32_e64 v37, v1, v30, s11
	v_cndmask_b32_e64 v48, v0, v34, s11
	;; [unrolled: 1-line block ×5, first 2 shown]
	v_and_b32_e32 v1, v37, v69
	v_and_b32_e32 v0, v48, v68
	v_and_b32_e32 v5, v49, v69
	v_and_b32_e32 v4, v70, v68
	s_delay_alu instid0(VALU_DEP_1)
	v_cmp_le_u64_e64 s12, v[4:5], v[0:1]
	s_and_b32 s12, s13, s12
	s_wait_alu 0xfffe
	s_or_b32 s12, s14, s12
	s_wait_alu 0xfffe
	v_cndmask_b32_e64 v23, v16, v19, s12
	v_cndmask_b32_e64 v0, v65, v64, s12
	s_delay_alu instid0(VALU_DEP_2) | instskip(NEXT) | instid1(VALU_DEP_2)
	v_add_nc_u32_e32 v22, 1, v23
	v_add_nc_u32_e32 v0, -1, v0
	s_delay_alu instid0(VALU_DEP_2) | instskip(NEXT) | instid1(VALU_DEP_2)
	v_cndmask_b32_e64 v19, v19, v22, s12
	v_min_u32_e32 v0, v22, v0
	v_cndmask_b32_e64 v16, v22, v16, s12
	s_delay_alu instid0(VALU_DEP_3) | instskip(NEXT) | instid1(VALU_DEP_3)
	v_cmp_lt_u32_e64 s14, v19, v64
	v_lshl_add_u32 v0, v0, 3, v31
	s_delay_alu instid0(VALU_DEP_3)
	v_cmp_ge_u32_e64 s15, v16, v65
	ds_load_b64 v[0:1], v0
	s_wait_dscnt 0x0
	v_cndmask_b32_e64 v71, v1, v37, s12
	v_cndmask_b32_e64 v80, v0, v48, s12
	;; [unrolled: 1-line block ×5, first 2 shown]
	v_and_b32_e32 v1, v71, v69
	v_and_b32_e32 v0, v80, v68
	v_and_b32_e32 v5, v81, v69
	v_and_b32_e32 v4, v82, v68
	s_delay_alu instid0(VALU_DEP_1)
	v_cmp_le_u64_e64 s13, v[4:5], v[0:1]
	s_and_b32 s13, s14, s13
	s_wait_alu 0xfffe
	s_or_b32 s13, s15, s13
	s_wait_alu 0xfffe
	v_cndmask_b32_e64 v24, v16, v19, s13
	v_cndmask_b32_e64 v0, v65, v64, s13
	;; [unrolled: 1-line block ×3, first 2 shown]
	s_delay_alu instid0(VALU_DEP_3) | instskip(NEXT) | instid1(VALU_DEP_3)
	v_add_nc_u32_e32 v22, 1, v24
	v_add_nc_u32_e32 v0, -1, v0
	s_delay_alu instid0(VALU_DEP_2) | instskip(NEXT) | instid1(VALU_DEP_2)
	v_cndmask_b32_e64 v19, v19, v22, s13
	v_min_u32_e32 v0, v22, v0
	v_cndmask_b32_e64 v16, v22, v16, s13
	s_delay_alu instid0(VALU_DEP_3) | instskip(NEXT) | instid1(VALU_DEP_3)
	v_cmp_lt_u32_e64 s15, v19, v64
	v_lshl_add_u32 v0, v0, 3, v31
	s_delay_alu instid0(VALU_DEP_3)
	v_cmp_ge_u32_e64 s16, v16, v65
	ds_load_b64 v[0:1], v0
	s_wait_dscnt 0x0
	v_cndmask_b32_e64 v83, v1, v71, s13
	v_cndmask_b32_e64 v84, v0, v80, s13
	;; [unrolled: 1-line block ×4, first 2 shown]
	s_delay_alu instid0(VALU_DEP_4) | instskip(NEXT) | instid1(VALU_DEP_4)
	v_and_b32_e32 v1, v83, v69
	v_and_b32_e32 v0, v84, v68
	s_delay_alu instid0(VALU_DEP_4) | instskip(NEXT) | instid1(VALU_DEP_4)
	v_and_b32_e32 v5, v85, v69
	v_and_b32_e32 v4, v86, v68
	s_delay_alu instid0(VALU_DEP_1)
	v_cmp_le_u64_e64 s14, v[4:5], v[0:1]
	s_and_b32 s14, s15, s14
	s_wait_alu 0xfffe
	s_or_b32 s14, s16, s14
	s_wait_alu 0xfffe
	v_cndmask_b32_e64 v26, v16, v19, s14
	v_cndmask_b32_e64 v0, v65, v64, s14
	s_delay_alu instid0(VALU_DEP_2) | instskip(NEXT) | instid1(VALU_DEP_2)
	v_add_nc_u32_e32 v22, 1, v26
	v_add_nc_u32_e32 v0, -1, v0
	s_delay_alu instid0(VALU_DEP_2) | instskip(NEXT) | instid1(VALU_DEP_2)
	v_cndmask_b32_e64 v19, v19, v22, s14
	v_min_u32_e32 v0, v22, v0
	v_cndmask_b32_e64 v16, v22, v16, s14
	s_delay_alu instid0(VALU_DEP_3) | instskip(NEXT) | instid1(VALU_DEP_3)
	v_cmp_lt_u32_e64 s16, v19, v64
	v_lshl_add_u32 v0, v0, 3, v31
	s_delay_alu instid0(VALU_DEP_3)
	v_cmp_ge_u32_e64 s17, v16, v65
	ds_load_b64 v[0:1], v0
	s_wait_dscnt 0x0
	v_cndmask_b32_e64 v87, v1, v83, s14
	v_cndmask_b32_e64 v96, v0, v84, s14
	;; [unrolled: 1-line block ×4, first 2 shown]
	s_delay_alu instid0(VALU_DEP_4) | instskip(NEXT) | instid1(VALU_DEP_4)
	v_and_b32_e32 v1, v87, v69
	v_and_b32_e32 v0, v96, v68
	s_delay_alu instid0(VALU_DEP_4) | instskip(NEXT) | instid1(VALU_DEP_4)
	v_and_b32_e32 v5, v97, v69
	v_and_b32_e32 v4, v98, v68
	s_delay_alu instid0(VALU_DEP_1)
	v_cmp_le_u64_e64 s15, v[4:5], v[0:1]
	s_and_b32 s15, s16, s15
	s_wait_alu 0xfffe
	s_or_b32 s15, s17, s15
	s_wait_alu 0xfffe
	v_cndmask_b32_e64 v27, v16, v19, s15
	v_cndmask_b32_e64 v0, v65, v64, s15
	;; [unrolled: 1-line block ×3, first 2 shown]
	s_delay_alu instid0(VALU_DEP_3) | instskip(NEXT) | instid1(VALU_DEP_3)
	v_add_nc_u32_e32 v22, 1, v27
	v_add_nc_u32_e32 v0, -1, v0
	s_delay_alu instid0(VALU_DEP_2) | instskip(NEXT) | instid1(VALU_DEP_2)
	v_cndmask_b32_e64 v28, v19, v22, s15
	v_min_u32_e32 v0, v22, v0
	v_cndmask_b32_e64 v16, v22, v16, s15
	v_lshl_add_u32 v19, v20, 3, v31
	s_delay_alu instid0(VALU_DEP_4) | instskip(NEXT) | instid1(VALU_DEP_4)
	v_cmp_lt_u32_e64 s17, v28, v64
	v_lshl_add_u32 v0, v0, 3, v31
	s_delay_alu instid0(VALU_DEP_4)
	v_cmp_ge_u32_e64 s18, v16, v65
	ds_load_b64 v[0:1], v0
	s_wait_dscnt 0x0
	v_cndmask_b32_e64 v99, v1, v87, s15
	v_cndmask_b32_e64 v100, v0, v96, s15
	;; [unrolled: 1-line block ×4, first 2 shown]
	s_delay_alu instid0(VALU_DEP_4) | instskip(NEXT) | instid1(VALU_DEP_4)
	v_and_b32_e32 v1, v99, v69
	v_and_b32_e32 v0, v100, v68
	s_delay_alu instid0(VALU_DEP_4) | instskip(NEXT) | instid1(VALU_DEP_4)
	v_and_b32_e32 v5, v101, v69
	v_and_b32_e32 v4, v102, v68
	s_delay_alu instid0(VALU_DEP_1)
	v_cmp_le_u64_e64 s16, v[4:5], v[0:1]
	ds_load_b64 v[0:1], v15 offset:16384
	v_lshl_add_u32 v4, v23, 3, v31
	v_lshl_add_u32 v15, v24, 3, v31
	ds_load_b64 v[19:20], v19 offset:16384
	ds_load_b64 v[21:22], v21 offset:16384
	s_and_b32 s16, s17, s16
	ds_load_b64 v[23:24], v4 offset:16384
	s_wait_alu 0xfffe
	s_or_b32 s16, s18, s16
	s_wait_alu 0xfffe
	v_cndmask_b32_e64 v5, v16, v28, s16
	v_lshl_add_u32 v16, v26, 3, v31
	v_lshl_add_u32 v26, v27, 3, v31
	s_delay_alu instid0(VALU_DEP_3)
	v_lshl_add_u32 v32, v5, 3, v31
	ds_load_b64 v[27:28], v15 offset:16384
	ds_load_b64 v[38:39], v16 offset:16384
	;; [unrolled: 1-line block ×3, first 2 shown]
	v_cndmask_b32_e64 v26, v17, v25, s10
	v_cndmask_b32_e64 v25, v18, v29, s10
	;; [unrolled: 1-line block ×3, first 2 shown]
	ds_load_b64 v[32:33], v32 offset:16384
	v_cndmask_b32_e64 v36, v48, v70, s12
	v_cndmask_b32_e64 v34, v80, v82, s13
	;; [unrolled: 1-line block ×7, first 2 shown]
.LBB822_114:
	s_wait_alu 0xfffe
	s_or_b32 exec_lo, exec_lo, s20
	v_and_b32_e32 v66, 0x80, v66
	s_mov_b32 s10, exec_lo
	; wave barrier
	ds_store_2addr_b64 v50, v[8:9], v[25:26] offset1:1
	ds_store_2addr_b64 v50, v[29:30], v[36:37] offset0:2 offset1:3
	v_or_b32_e32 v10, 64, v66
	s_wait_dscnt 0x8
	ds_store_2addr_b64 v52, v[0:1], v[19:20] offset1:1
	s_wait_dscnt 0x7
	ds_store_2addr_b64 v53, v[21:22], v[23:24] offset1:1
	ds_store_2addr_b64 v50, v[34:35], v[17:18] offset0:4 offset1:5
	ds_store_2addr_b64 v50, v[48:49], v[15:16] offset0:6 offset1:7
	s_wait_dscnt 0x8
	ds_store_2addr_b64 v54, v[27:28], v[38:39] offset1:1
	s_wait_dscnt 0x7
	ds_store_2addr_b64 v55, v[4:5], v[32:33] offset1:1
	; wave barrier
	v_min_u32_e32 v64, v51, v10
	s_delay_alu instid0(VALU_DEP_1) | instskip(NEXT) | instid1(VALU_DEP_1)
	v_add_nc_u32_e32 v10, 64, v64
	v_min_u32_e32 v65, v51, v10
	v_min_u32_e32 v51, v51, v67
	v_sub_nc_u32_e32 v10, v64, v66
	s_delay_alu instid0(VALU_DEP_3) | instskip(NEXT) | instid1(VALU_DEP_2)
	v_sub_nc_u32_e32 v11, v65, v64
	v_min_u32_e32 v67, v51, v10
	s_delay_alu instid0(VALU_DEP_2) | instskip(SKIP_1) | instid1(VALU_DEP_2)
	v_sub_nc_u32_e64 v10, v51, v11 clamp
	v_lshl_add_u32 v11, v66, 3, v31
	v_cmpx_lt_u32_e64 v10, v67
	s_cbranch_execz .LBB822_118
; %bb.115:
	v_lshlrev_b32_e32 v50, 3, v64
	v_lshlrev_b32_e32 v52, 3, v51
	s_mov_b32 s11, 0
	s_delay_alu instid0(VALU_DEP_1)
	v_add3_u32 v50, v31, v50, v52
.LBB822_116:                            ; =>This Inner Loop Header: Depth=1
	v_add_nc_u32_e32 v52, v67, v10
	s_delay_alu instid0(VALU_DEP_1) | instskip(NEXT) | instid1(VALU_DEP_1)
	v_lshrrev_b32_e32 v70, 1, v52
	v_not_b32_e32 v52, v70
	v_lshl_add_u32 v53, v70, 3, v11
	s_delay_alu instid0(VALU_DEP_2)
	v_lshl_add_u32 v54, v52, 3, v50
	ds_load_b64 v[52:53], v53
	ds_load_b64 v[54:55], v54
	s_wait_dscnt 0x1
	v_and_b32_e32 v53, v53, v69
	v_and_b32_e32 v52, v52, v68
	s_wait_dscnt 0x0
	v_and_b32_e32 v55, v55, v69
	v_and_b32_e32 v54, v54, v68
	s_delay_alu instid0(VALU_DEP_1) | instskip(SKIP_2) | instid1(VALU_DEP_2)
	v_cmp_gt_u64_e64 s7, v[52:53], v[54:55]
	v_add_nc_u32_e32 v52, 1, v70
	s_wait_alu 0xf1ff
	v_cndmask_b32_e64 v67, v67, v70, s7
	s_delay_alu instid0(VALU_DEP_2) | instskip(NEXT) | instid1(VALU_DEP_1)
	v_cndmask_b32_e64 v10, v52, v10, s7
	v_cmp_ge_u32_e64 s7, v10, v67
	s_wait_alu 0xfffe
	s_or_b32 s11, s7, s11
	s_wait_alu 0xfffe
	s_and_not1_b32 exec_lo, exec_lo, s11
	s_cbranch_execnz .LBB822_116
; %bb.117:
	s_or_b32 exec_lo, exec_lo, s11
.LBB822_118:
	s_wait_alu 0xfffe
	s_or_b32 exec_lo, exec_lo, s10
	v_add_nc_u32_e32 v51, v64, v51
	v_add_nc_u32_e32 v50, v10, v66
	s_delay_alu instid0(VALU_DEP_2) | instskip(NEXT) | instid1(VALU_DEP_2)
	v_sub_nc_u32_e32 v51, v51, v10
	v_cmp_le_u32_e64 s7, v50, v64
	s_delay_alu instid0(VALU_DEP_2)
	v_cmp_le_u32_e64 s10, v51, v65
	s_or_b32 s7, s7, s10
	s_wait_alu 0xfffe
	s_and_saveexec_b32 s20, s7
	s_cbranch_execz .LBB822_124
; %bb.119:
	v_cmp_lt_u32_e64 s7, v50, v64
                                        ; implicit-def: $vgpr8_vgpr9
	s_and_saveexec_b32 s10, s7
; %bb.120:
	v_lshl_add_u32 v0, v10, 3, v11
	ds_load_b64 v[8:9], v0
; %bb.121:
	s_wait_alu 0xfffe
	s_or_b32 exec_lo, exec_lo, s10
	v_cmp_ge_u32_e64 s10, v51, v65
	s_mov_b32 s12, exec_lo
                                        ; implicit-def: $vgpr10_vgpr11
	v_cmpx_lt_u32_e64 v51, v65
; %bb.122:
	v_lshl_add_u32 v0, v51, 3, v31
	ds_load_b64 v[10:11], v0
; %bb.123:
	s_wait_alu 0xfffe
	s_or_b32 exec_lo, exec_lo, s12
	s_wait_dscnt 0x0
	v_and_b32_e32 v1, v11, v69
	v_and_b32_e32 v0, v10, v68
	;; [unrolled: 1-line block ×4, first 2 shown]
	s_delay_alu instid0(VALU_DEP_1)
	v_cmp_le_u64_e64 s11, v[4:5], v[0:1]
	s_and_b32 s7, s7, s11
	s_wait_alu 0xfffe
	s_or_b32 s7, s10, s7
	s_wait_alu 0xfffe
	v_cndmask_b32_e64 v15, v51, v50, s7
	v_cndmask_b32_e64 v0, v65, v64, s7
	s_delay_alu instid0(VALU_DEP_2) | instskip(NEXT) | instid1(VALU_DEP_2)
	v_add_nc_u32_e32 v16, 1, v15
	v_add_nc_u32_e32 v0, -1, v0
	v_lshl_add_u32 v15, v15, 3, v31
	s_delay_alu instid0(VALU_DEP_3) | instskip(NEXT) | instid1(VALU_DEP_3)
	v_cndmask_b32_e64 v19, v50, v16, s7
	v_min_u32_e32 v0, v16, v0
	v_cndmask_b32_e64 v16, v16, v51, s7
	s_delay_alu instid0(VALU_DEP_3) | instskip(NEXT) | instid1(VALU_DEP_3)
	v_cmp_lt_u32_e64 s11, v19, v64
	v_lshl_add_u32 v0, v0, 3, v31
	s_delay_alu instid0(VALU_DEP_3)
	v_cmp_ge_u32_e64 s12, v16, v65
	ds_load_b64 v[0:1], v0
	s_wait_dscnt 0x0
	v_cndmask_b32_e64 v17, v1, v11, s7
	v_cndmask_b32_e64 v18, v0, v10, s7
	;; [unrolled: 1-line block ×5, first 2 shown]
	v_and_b32_e32 v1, v17, v69
	v_and_b32_e32 v0, v18, v68
	;; [unrolled: 1-line block ×4, first 2 shown]
	v_cndmask_b32_e64 v8, v10, v8, s7
	s_delay_alu instid0(VALU_DEP_2)
	v_cmp_le_u64_e64 s10, v[4:5], v[0:1]
	s_and_b32 s10, s11, s10
	s_wait_alu 0xfffe
	s_or_b32 s10, s12, s10
	s_wait_alu 0xfffe
	v_cndmask_b32_e64 v20, v16, v19, s10
	v_cndmask_b32_e64 v0, v65, v64, s10
	s_delay_alu instid0(VALU_DEP_2) | instskip(NEXT) | instid1(VALU_DEP_2)
	v_add_nc_u32_e32 v21, 1, v20
	v_add_nc_u32_e32 v0, -1, v0
	s_delay_alu instid0(VALU_DEP_2) | instskip(NEXT) | instid1(VALU_DEP_2)
	v_cndmask_b32_e64 v19, v19, v21, s10
	v_min_u32_e32 v0, v21, v0
	v_cndmask_b32_e64 v16, v21, v16, s10
	s_delay_alu instid0(VALU_DEP_3) | instskip(NEXT) | instid1(VALU_DEP_3)
	v_cmp_lt_u32_e64 s12, v19, v64
	v_lshl_add_u32 v0, v0, 3, v31
	s_delay_alu instid0(VALU_DEP_3)
	v_cmp_ge_u32_e64 s13, v16, v65
	ds_load_b64 v[0:1], v0
	s_wait_dscnt 0x0
	v_cndmask_b32_e64 v30, v1, v17, s10
	v_cndmask_b32_e64 v34, v0, v18, s10
	;; [unrolled: 1-line block ×4, first 2 shown]
	s_delay_alu instid0(VALU_DEP_4) | instskip(NEXT) | instid1(VALU_DEP_4)
	v_and_b32_e32 v1, v30, v69
	v_and_b32_e32 v0, v34, v68
	s_delay_alu instid0(VALU_DEP_4) | instskip(NEXT) | instid1(VALU_DEP_4)
	v_and_b32_e32 v5, v35, v69
	v_and_b32_e32 v4, v36, v68
	s_delay_alu instid0(VALU_DEP_1)
	v_cmp_le_u64_e64 s11, v[4:5], v[0:1]
	s_and_b32 s11, s12, s11
	s_wait_alu 0xfffe
	s_or_b32 s11, s13, s11
	s_wait_alu 0xfffe
	v_cndmask_b32_e64 v21, v16, v19, s11
	v_cndmask_b32_e64 v0, v65, v64, s11
	s_delay_alu instid0(VALU_DEP_2) | instskip(NEXT) | instid1(VALU_DEP_2)
	v_add_nc_u32_e32 v22, 1, v21
	v_add_nc_u32_e32 v0, -1, v0
	v_lshl_add_u32 v21, v21, 3, v31
	s_delay_alu instid0(VALU_DEP_3) | instskip(NEXT) | instid1(VALU_DEP_3)
	v_cndmask_b32_e64 v19, v19, v22, s11
	v_min_u32_e32 v0, v22, v0
	v_cndmask_b32_e64 v16, v22, v16, s11
	s_delay_alu instid0(VALU_DEP_3) | instskip(NEXT) | instid1(VALU_DEP_3)
	v_cmp_lt_u32_e64 s13, v19, v64
	v_lshl_add_u32 v0, v0, 3, v31
	s_delay_alu instid0(VALU_DEP_3)
	v_cmp_ge_u32_e64 s14, v16, v65
	ds_load_b64 v[0:1], v0
	s_wait_dscnt 0x0
	v_cndmask_b32_e64 v37, v1, v30, s11
	v_cndmask_b32_e64 v48, v0, v34, s11
	;; [unrolled: 1-line block ×5, first 2 shown]
	v_and_b32_e32 v1, v37, v69
	v_and_b32_e32 v0, v48, v68
	;; [unrolled: 1-line block ×4, first 2 shown]
	s_delay_alu instid0(VALU_DEP_1)
	v_cmp_le_u64_e64 s12, v[4:5], v[0:1]
	s_and_b32 s12, s13, s12
	s_wait_alu 0xfffe
	s_or_b32 s12, s14, s12
	s_wait_alu 0xfffe
	v_cndmask_b32_e64 v23, v16, v19, s12
	v_cndmask_b32_e64 v0, v65, v64, s12
	s_delay_alu instid0(VALU_DEP_2) | instskip(NEXT) | instid1(VALU_DEP_2)
	v_add_nc_u32_e32 v22, 1, v23
	v_add_nc_u32_e32 v0, -1, v0
	s_delay_alu instid0(VALU_DEP_2) | instskip(NEXT) | instid1(VALU_DEP_2)
	v_cndmask_b32_e64 v19, v19, v22, s12
	v_min_u32_e32 v0, v22, v0
	v_cndmask_b32_e64 v16, v22, v16, s12
	s_delay_alu instid0(VALU_DEP_3) | instskip(NEXT) | instid1(VALU_DEP_3)
	v_cmp_lt_u32_e64 s14, v19, v64
	v_lshl_add_u32 v0, v0, 3, v31
	s_delay_alu instid0(VALU_DEP_3)
	v_cmp_ge_u32_e64 s15, v16, v65
	ds_load_b64 v[0:1], v0
	s_wait_dscnt 0x0
	v_cndmask_b32_e64 v51, v1, v37, s12
	v_cndmask_b32_e64 v52, v0, v48, s12
	;; [unrolled: 1-line block ×5, first 2 shown]
	v_and_b32_e32 v1, v51, v69
	v_and_b32_e32 v0, v52, v68
	v_and_b32_e32 v5, v53, v69
	v_and_b32_e32 v4, v54, v68
	s_delay_alu instid0(VALU_DEP_1)
	v_cmp_le_u64_e64 s13, v[4:5], v[0:1]
	s_and_b32 s13, s14, s13
	s_wait_alu 0xfffe
	s_or_b32 s13, s15, s13
	s_wait_alu 0xfffe
	v_cndmask_b32_e64 v24, v16, v19, s13
	v_cndmask_b32_e64 v0, v65, v64, s13
	;; [unrolled: 1-line block ×3, first 2 shown]
	s_delay_alu instid0(VALU_DEP_3) | instskip(NEXT) | instid1(VALU_DEP_3)
	v_add_nc_u32_e32 v22, 1, v24
	v_add_nc_u32_e32 v0, -1, v0
	s_delay_alu instid0(VALU_DEP_2) | instskip(NEXT) | instid1(VALU_DEP_2)
	v_cndmask_b32_e64 v19, v19, v22, s13
	v_min_u32_e32 v0, v22, v0
	v_cndmask_b32_e64 v16, v22, v16, s13
	s_delay_alu instid0(VALU_DEP_3) | instskip(NEXT) | instid1(VALU_DEP_3)
	v_cmp_lt_u32_e64 s15, v19, v64
	v_lshl_add_u32 v0, v0, 3, v31
	s_delay_alu instid0(VALU_DEP_3)
	v_cmp_ge_u32_e64 s16, v16, v65
	ds_load_b64 v[0:1], v0
	s_wait_dscnt 0x0
	v_cndmask_b32_e64 v55, v1, v51, s13
	v_cndmask_b32_e64 v66, v0, v52, s13
	;; [unrolled: 1-line block ×4, first 2 shown]
	s_delay_alu instid0(VALU_DEP_4) | instskip(NEXT) | instid1(VALU_DEP_4)
	v_and_b32_e32 v1, v55, v69
	v_and_b32_e32 v0, v66, v68
	s_delay_alu instid0(VALU_DEP_4) | instskip(NEXT) | instid1(VALU_DEP_4)
	v_and_b32_e32 v5, v67, v69
	v_and_b32_e32 v4, v70, v68
	s_delay_alu instid0(VALU_DEP_1)
	v_cmp_le_u64_e64 s14, v[4:5], v[0:1]
	s_and_b32 s14, s15, s14
	s_wait_alu 0xfffe
	s_or_b32 s14, s16, s14
	s_wait_alu 0xfffe
	v_cndmask_b32_e64 v26, v16, v19, s14
	v_cndmask_b32_e64 v0, v65, v64, s14
	s_delay_alu instid0(VALU_DEP_2) | instskip(NEXT) | instid1(VALU_DEP_2)
	v_add_nc_u32_e32 v22, 1, v26
	v_add_nc_u32_e32 v0, -1, v0
	s_delay_alu instid0(VALU_DEP_2) | instskip(NEXT) | instid1(VALU_DEP_2)
	v_cndmask_b32_e64 v19, v19, v22, s14
	v_min_u32_e32 v0, v22, v0
	v_cndmask_b32_e64 v16, v22, v16, s14
	s_delay_alu instid0(VALU_DEP_3) | instskip(NEXT) | instid1(VALU_DEP_3)
	v_cmp_lt_u32_e64 s16, v19, v64
	v_lshl_add_u32 v0, v0, 3, v31
	s_delay_alu instid0(VALU_DEP_3)
	v_cmp_ge_u32_e64 s17, v16, v65
	ds_load_b64 v[0:1], v0
	s_wait_dscnt 0x0
	v_cndmask_b32_e64 v71, v1, v55, s14
	v_cndmask_b32_e64 v80, v0, v66, s14
	v_cndmask_b32_e64 v81, v67, v1, s14
	v_cndmask_b32_e64 v82, v70, v0, s14
	s_delay_alu instid0(VALU_DEP_4) | instskip(NEXT) | instid1(VALU_DEP_4)
	v_and_b32_e32 v1, v71, v69
	v_and_b32_e32 v0, v80, v68
	s_delay_alu instid0(VALU_DEP_4) | instskip(NEXT) | instid1(VALU_DEP_4)
	v_and_b32_e32 v5, v81, v69
	v_and_b32_e32 v4, v82, v68
	s_delay_alu instid0(VALU_DEP_1)
	v_cmp_le_u64_e64 s15, v[4:5], v[0:1]
	s_and_b32 s15, s16, s15
	s_wait_alu 0xfffe
	s_or_b32 s15, s17, s15
	s_wait_alu 0xfffe
	v_cndmask_b32_e64 v27, v16, v19, s15
	v_cndmask_b32_e64 v0, v65, v64, s15
	;; [unrolled: 1-line block ×3, first 2 shown]
	s_delay_alu instid0(VALU_DEP_3) | instskip(NEXT) | instid1(VALU_DEP_3)
	v_add_nc_u32_e32 v22, 1, v27
	v_add_nc_u32_e32 v0, -1, v0
	s_delay_alu instid0(VALU_DEP_2) | instskip(NEXT) | instid1(VALU_DEP_2)
	v_cndmask_b32_e64 v28, v19, v22, s15
	v_min_u32_e32 v0, v22, v0
	v_cndmask_b32_e64 v16, v22, v16, s15
	v_lshl_add_u32 v19, v20, 3, v31
	s_delay_alu instid0(VALU_DEP_4) | instskip(NEXT) | instid1(VALU_DEP_4)
	v_cmp_lt_u32_e64 s17, v28, v64
	v_lshl_add_u32 v0, v0, 3, v31
	s_delay_alu instid0(VALU_DEP_4)
	v_cmp_ge_u32_e64 s18, v16, v65
	ds_load_b64 v[0:1], v0
	s_wait_dscnt 0x0
	v_cndmask_b32_e64 v83, v1, v71, s15
	v_cndmask_b32_e64 v84, v0, v80, s15
	v_cndmask_b32_e64 v85, v81, v1, s15
	v_cndmask_b32_e64 v86, v82, v0, s15
	s_delay_alu instid0(VALU_DEP_4) | instskip(NEXT) | instid1(VALU_DEP_4)
	v_and_b32_e32 v1, v83, v69
	v_and_b32_e32 v0, v84, v68
	s_delay_alu instid0(VALU_DEP_4) | instskip(NEXT) | instid1(VALU_DEP_4)
	v_and_b32_e32 v5, v85, v69
	v_and_b32_e32 v4, v86, v68
	s_delay_alu instid0(VALU_DEP_1)
	v_cmp_le_u64_e64 s16, v[4:5], v[0:1]
	ds_load_b64 v[0:1], v15 offset:16384
	v_lshl_add_u32 v4, v23, 3, v31
	v_lshl_add_u32 v15, v24, 3, v31
	ds_load_b64 v[19:20], v19 offset:16384
	ds_load_b64 v[21:22], v21 offset:16384
	s_and_b32 s16, s17, s16
	ds_load_b64 v[23:24], v4 offset:16384
	s_wait_alu 0xfffe
	s_or_b32 s16, s18, s16
	s_wait_alu 0xfffe
	v_cndmask_b32_e64 v5, v16, v28, s16
	v_lshl_add_u32 v16, v26, 3, v31
	v_lshl_add_u32 v26, v27, 3, v31
	s_delay_alu instid0(VALU_DEP_3)
	v_lshl_add_u32 v31, v5, 3, v31
	ds_load_b64 v[27:28], v15 offset:16384
	ds_load_b64 v[38:39], v16 offset:16384
	;; [unrolled: 1-line block ×3, first 2 shown]
	v_cndmask_b32_e64 v26, v17, v25, s10
	v_cndmask_b32_e64 v25, v18, v29, s10
	;; [unrolled: 1-line block ×3, first 2 shown]
	ds_load_b64 v[32:33], v31 offset:16384
	v_cndmask_b32_e64 v36, v48, v50, s12
	v_cndmask_b32_e64 v34, v52, v54, s13
	;; [unrolled: 1-line block ×7, first 2 shown]
.LBB822_124:
	s_wait_alu 0xfffe
	s_or_b32 exec_lo, exec_lo, s20
	; wave barrier
	s_wait_storecnt_dscnt 0x0
	s_barrier_signal -1
	s_barrier_wait -1
                                        ; implicit-def: $vgpr66
                                        ; implicit-def: $vgpr67
                                        ; implicit-def: $vgpr50
                                        ; implicit-def: $vgpr51
                                        ; implicit-def: $vgpr31
.LBB822_125:
	s_wait_alu 0xfffe
	s_and_not1_saveexec_b32 s17, s19
	s_cbranch_execz .LBB822_225
; %bb.126:
	s_load_b64 s[10:11], s[8:9], 0x0
	s_and_b32 s7, ttmp7, 0xffff
	s_mov_b32 s13, 0
	s_wait_kmcnt 0x0
	s_wait_alu 0xfffe
	s_cmp_lt_u32 s7, s11
	s_cselect_b32 s12, 14, 20
	s_cmp_lt_u32 ttmp9, s10
	s_wait_alu 0xfffe
	s_add_nc_u64 s[14:15], s[8:9], s[12:13]
	s_cselect_b32 s12, 12, 18
	s_load_u16 s7, s[14:15], 0x0
	s_add_nc_u64 s[8:9], s[8:9], s[12:13]
	s_load_u16 s8, s[8:9], 0x0
	s_wait_kmcnt 0x0
	v_mad_u32_u24 v10, v51, s7, v50
	s_delay_alu instid0(VALU_DEP_1) | instskip(SKIP_1) | instid1(VALU_DEP_1)
	v_mul_lo_u32 v10, v10, s8
	s_mov_b32 s8, exec_lo
	v_add_lshl_u32 v68, v10, v31, 3
	s_delay_alu instid0(VALU_DEP_1)
	v_cmpx_gt_u32_e32 0x800, v68
	s_cbranch_execz .LBB822_184
; %bb.127:
	s_wait_loadcnt_dscnt 0x0
	v_dual_mov_b32 v10, v25 :: v_dual_mov_b32 v11, v26
	v_dual_mov_b32 v51, v20 :: v_dual_mov_b32 v50, v19
	s_mov_b32 s9, exec_lo
	v_cmpx_gt_i64_e64 v[8:9], v[25:26]
; %bb.128:
	v_dual_mov_b32 v11, v9 :: v_dual_mov_b32 v10, v8
	v_dual_mov_b32 v8, v25 :: v_dual_mov_b32 v9, v26
	v_dual_mov_b32 v51, v1 :: v_dual_mov_b32 v50, v0
	v_dual_mov_b32 v0, v19 :: v_dual_mov_b32 v1, v20
; %bb.129:
	s_wait_alu 0xfffe
	s_or_b32 exec_lo, exec_lo, s9
	v_dual_mov_b32 v65, v37 :: v_dual_mov_b32 v64, v36
	v_dual_mov_b32 v53, v24 :: v_dual_mov_b32 v52, v23
	s_mov_b32 s9, exec_lo
	v_cmpx_gt_i64_e64 v[29:30], v[36:37]
; %bb.130:
	v_dual_mov_b32 v65, v30 :: v_dual_mov_b32 v64, v29
	v_dual_mov_b32 v29, v36 :: v_dual_mov_b32 v30, v37
	v_dual_mov_b32 v53, v22 :: v_dual_mov_b32 v52, v21
	v_dual_mov_b32 v21, v23 :: v_dual_mov_b32 v22, v24
; %bb.131:
	s_wait_alu 0xfffe
	s_or_b32 exec_lo, exec_lo, s9
	;; [unrolled: 12-line block ×4, first 2 shown]
	v_cmp_gt_i64_e64 s7, v[10:11], v[29:30]
	v_dual_mov_b32 v25, v29 :: v_dual_mov_b32 v26, v30
	v_dual_mov_b32 v32, v22 :: v_dual_mov_b32 v31, v21
	s_and_saveexec_b32 s9, s7
	s_wait_alu 0xfffe
	s_xor_b32 s7, exec_lo, s9
; %bb.136:
	v_dual_mov_b32 v26, v11 :: v_dual_mov_b32 v25, v10
	v_dual_mov_b32 v10, v29 :: v_dual_mov_b32 v11, v30
	v_dual_mov_b32 v31, v50 :: v_dual_mov_b32 v32, v51
	v_dual_mov_b32 v51, v22 :: v_dual_mov_b32 v50, v21
; %bb.137:
	s_wait_alu 0xfffe
	s_or_b32 exec_lo, exec_lo, s7
	v_dual_mov_b32 v48, v64 :: v_dual_mov_b32 v49, v65
	v_dual_mov_b32 v30, v28 :: v_dual_mov_b32 v29, v27
	s_mov_b32 s9, exec_lo
	v_cmpx_gt_i64_e64 v[64:65], v[54:55]
; %bb.138:
	v_dual_mov_b32 v48, v54 :: v_dual_mov_b32 v49, v55
	v_dual_mov_b32 v29, v52 :: v_dual_mov_b32 v30, v53
	v_dual_mov_b32 v53, v28 :: v_dual_mov_b32 v52, v27
	v_dual_mov_b32 v54, v64 :: v_dual_mov_b32 v55, v65
; %bb.139:
	s_wait_alu 0xfffe
	s_or_b32 exec_lo, exec_lo, s9
	v_dual_mov_b32 v22, v5 :: v_dual_mov_b32 v21, v4
	v_dual_mov_b32 v28, v18 :: v_dual_mov_b32 v27, v17
	s_mov_b32 s9, exec_lo
	v_cmpx_gt_i64_e64 v[17:18], v[34:35]
	;; [unrolled: 12-line block ×23, first 2 shown]
; %bb.182:
	v_dual_mov_b32 v49, v18 :: v_dual_mov_b32 v48, v17
	v_dual_mov_b32 v17, v54 :: v_dual_mov_b32 v18, v55
	;; [unrolled: 1-line block ×4, first 2 shown]
; %bb.183:
	s_wait_alu 0xfffe
	s_or_b32 exec_lo, exec_lo, s9
.LBB822_184:
	s_wait_alu 0xfffe
	s_or_b32 exec_lo, exec_lo, s8
	v_and_b32_e32 v10, 0xffffff00, v68
	v_or_b32_e32 v11, 8, v66
	v_and_b32_e32 v68, 0xf0, v66
	s_mov_b32 s8, exec_lo
	s_delay_alu instid0(VALU_DEP_3) | instskip(SKIP_2) | instid1(VALU_DEP_3)
	v_sub_nc_u32_e64 v51, 0x800, v10 clamp
	v_lshlrev_b32_e32 v31, 3, v10
	v_and_b32_e32 v10, 8, v66
	v_min_u32_e32 v64, v51, v11
	s_delay_alu instid0(VALU_DEP_3) | instskip(NEXT) | instid1(VALU_DEP_3)
	v_lshl_or_b32 v50, v66, 3, v31
	v_min_u32_e32 v69, v51, v10
	s_wait_loadcnt_dscnt 0x0
	ds_store_2addr_b64 v50, v[8:9], v[25:26] offset1:1
	ds_store_2addr_b64 v50, v[29:30], v[36:37] offset0:2 offset1:3
	v_add_nc_u32_e32 v11, 8, v64
	v_add_nc_u32_e32 v52, 0x4000, v50
	;; [unrolled: 1-line block ×5, first 2 shown]
	v_min_u32_e32 v65, v51, v11
	v_sub_nc_u32_e32 v11, v64, v68
	ds_store_2addr_b64 v52, v[0:1], v[19:20] offset1:1
	ds_store_2addr_b64 v53, v[21:22], v[23:24] offset1:1
	ds_store_2addr_b64 v50, v[34:35], v[17:18] offset0:4 offset1:5
	ds_store_2addr_b64 v50, v[48:49], v[15:16] offset0:6 offset1:7
	ds_store_2addr_b64 v54, v[27:28], v[38:39] offset1:1
	ds_store_2addr_b64 v55, v[4:5], v[32:33] offset1:1
	v_sub_nc_u32_e32 v10, v65, v64
	v_min_u32_e32 v70, v69, v11
	v_lshl_or_b32 v11, v68, 3, v31
	; wave barrier
	s_delay_alu instid0(VALU_DEP_3) | instskip(NEXT) | instid1(VALU_DEP_1)
	v_sub_nc_u32_e64 v10, v69, v10 clamp
	v_cmpx_lt_u32_e64 v10, v70
	s_cbranch_execz .LBB822_188
; %bb.185:
	v_lshlrev_b32_e32 v71, 3, v64
	v_lshlrev_b32_e32 v80, 3, v69
	s_mov_b32 s9, 0
	s_delay_alu instid0(VALU_DEP_1)
	v_add3_u32 v71, v31, v71, v80
.LBB822_186:                            ; =>This Inner Loop Header: Depth=1
	v_add_nc_u32_e32 v80, v70, v10
	s_delay_alu instid0(VALU_DEP_1) | instskip(NEXT) | instid1(VALU_DEP_1)
	v_lshrrev_b32_e32 v84, 1, v80
	v_not_b32_e32 v80, v84
	v_lshl_add_u32 v81, v84, 3, v11
	s_delay_alu instid0(VALU_DEP_2)
	v_lshl_add_u32 v82, v80, 3, v71
	ds_load_b64 v[80:81], v81
	ds_load_b64 v[82:83], v82
	s_wait_dscnt 0x0
	v_cmp_gt_i64_e64 s7, v[80:81], v[82:83]
	v_add_nc_u32_e32 v80, 1, v84
	s_wait_alu 0xf1ff
	s_delay_alu instid0(VALU_DEP_2) | instskip(NEXT) | instid1(VALU_DEP_2)
	v_cndmask_b32_e64 v70, v70, v84, s7
	v_cndmask_b32_e64 v10, v80, v10, s7
	s_delay_alu instid0(VALU_DEP_1)
	v_cmp_ge_u32_e64 s7, v10, v70
	s_wait_alu 0xfffe
	s_or_b32 s9, s7, s9
	s_wait_alu 0xfffe
	s_and_not1_b32 exec_lo, exec_lo, s9
	s_cbranch_execnz .LBB822_186
; %bb.187:
	s_or_b32 exec_lo, exec_lo, s9
.LBB822_188:
	s_wait_alu 0xfffe
	s_or_b32 exec_lo, exec_lo, s8
	v_add_nc_u32_e32 v69, v64, v69
	v_add_nc_u32_e32 v68, v10, v68
	s_delay_alu instid0(VALU_DEP_2) | instskip(NEXT) | instid1(VALU_DEP_2)
	v_sub_nc_u32_e32 v69, v69, v10
	v_cmp_le_u32_e64 s7, v68, v64
	s_delay_alu instid0(VALU_DEP_2)
	v_cmp_le_u32_e64 s8, v69, v65
	s_or_b32 s7, s7, s8
	s_wait_alu 0xfffe
	s_and_saveexec_b32 s18, s7
	s_cbranch_execz .LBB822_194
; %bb.189:
	v_cmp_lt_u32_e64 s7, v68, v64
                                        ; implicit-def: $vgpr8_vgpr9
	s_and_saveexec_b32 s8, s7
; %bb.190:
	v_lshl_add_u32 v0, v10, 3, v11
	ds_load_b64 v[8:9], v0
; %bb.191:
	s_wait_alu 0xfffe
	s_or_b32 exec_lo, exec_lo, s8
	v_cmp_ge_u32_e64 s8, v69, v65
	s_mov_b32 s10, exec_lo
                                        ; implicit-def: $vgpr10_vgpr11
	v_cmpx_lt_u32_e64 v69, v65
; %bb.192:
	v_lshl_add_u32 v0, v69, 3, v31
	ds_load_b64 v[10:11], v0
; %bb.193:
	s_wait_alu 0xfffe
	s_or_b32 exec_lo, exec_lo, s10
	s_wait_dscnt 0x0
	v_cmp_le_i64_e64 s9, v[8:9], v[10:11]
	s_and_b32 s7, s7, s9
	s_wait_alu 0xfffe
	s_or_b32 s7, s8, s7
	s_wait_alu 0xfffe
	v_cndmask_b32_e64 v4, v69, v68, s7
	v_cndmask_b32_e64 v0, v65, v64, s7
	s_delay_alu instid0(VALU_DEP_2) | instskip(NEXT) | instid1(VALU_DEP_2)
	v_add_nc_u32_e32 v5, 1, v4
	v_add_nc_u32_e32 v0, -1, v0
	v_lshl_add_u32 v4, v4, 3, v31
	s_delay_alu instid0(VALU_DEP_3) | instskip(NEXT) | instid1(VALU_DEP_3)
	v_cndmask_b32_e64 v19, v68, v5, s7
	v_min_u32_e32 v0, v5, v0
	v_cndmask_b32_e64 v5, v5, v69, s7
	s_delay_alu instid0(VALU_DEP_3) | instskip(NEXT) | instid1(VALU_DEP_3)
	v_cmp_lt_u32_e64 s9, v19, v64
	v_lshl_add_u32 v0, v0, 3, v31
	s_delay_alu instid0(VALU_DEP_3)
	v_cmp_ge_u32_e64 s10, v5, v65
	ds_load_b64 v[0:1], v0
	s_wait_dscnt 0x0
	v_cndmask_b32_e64 v16, v1, v11, s7
	v_cndmask_b32_e64 v15, v0, v10, s7
	;; [unrolled: 1-line block ×6, first 2 shown]
	s_delay_alu instid0(VALU_DEP_3)
	v_cmp_le_i64_e64 s8, v[17:18], v[15:16]
	s_and_b32 s8, s9, s8
	s_wait_alu 0xfffe
	s_or_b32 s8, s10, s8
	s_wait_alu 0xfffe
	v_cndmask_b32_e64 v20, v5, v19, s8
	v_cndmask_b32_e64 v0, v65, v64, s8
	s_delay_alu instid0(VALU_DEP_2) | instskip(NEXT) | instid1(VALU_DEP_2)
	v_add_nc_u32_e32 v21, 1, v20
	v_add_nc_u32_e32 v0, -1, v0
	s_delay_alu instid0(VALU_DEP_2) | instskip(NEXT) | instid1(VALU_DEP_2)
	v_cndmask_b32_e64 v19, v19, v21, s8
	v_min_u32_e32 v0, v21, v0
	v_cndmask_b32_e64 v5, v21, v5, s8
	s_delay_alu instid0(VALU_DEP_3) | instskip(NEXT) | instid1(VALU_DEP_3)
	v_cmp_lt_u32_e64 s10, v19, v64
	v_lshl_add_u32 v0, v0, 3, v31
	s_delay_alu instid0(VALU_DEP_3)
	v_cmp_ge_u32_e64 s11, v5, v65
	ds_load_b64 v[0:1], v0
	s_wait_dscnt 0x0
	v_cndmask_b32_e64 v30, v1, v16, s8
	v_cndmask_b32_e64 v29, v0, v15, s8
	v_cndmask_b32_e64 v35, v18, v1, s8
	v_cndmask_b32_e64 v34, v17, v0, s8
	s_delay_alu instid0(VALU_DEP_1)
	v_cmp_le_i64_e64 s9, v[34:35], v[29:30]
	s_and_b32 s9, s10, s9
	s_wait_alu 0xfffe
	s_or_b32 s9, s11, s9
	s_wait_alu 0xfffe
	v_cndmask_b32_e64 v21, v5, v19, s9
	v_cndmask_b32_e64 v0, v65, v64, s9
	s_delay_alu instid0(VALU_DEP_2) | instskip(NEXT) | instid1(VALU_DEP_2)
	v_add_nc_u32_e32 v22, 1, v21
	v_add_nc_u32_e32 v0, -1, v0
	v_lshl_add_u32 v21, v21, 3, v31
	s_delay_alu instid0(VALU_DEP_3) | instskip(NEXT) | instid1(VALU_DEP_3)
	v_cndmask_b32_e64 v19, v19, v22, s9
	v_min_u32_e32 v0, v22, v0
	v_cndmask_b32_e64 v5, v22, v5, s9
	s_delay_alu instid0(VALU_DEP_3) | instskip(NEXT) | instid1(VALU_DEP_3)
	v_cmp_lt_u32_e64 s11, v19, v64
	v_lshl_add_u32 v0, v0, 3, v31
	s_delay_alu instid0(VALU_DEP_3)
	v_cmp_ge_u32_e64 s12, v5, v65
	ds_load_b64 v[0:1], v0
	s_wait_dscnt 0x0
	v_cndmask_b32_e64 v37, v1, v30, s9
	v_cndmask_b32_e64 v36, v0, v29, s9
	;; [unrolled: 1-line block ×6, first 2 shown]
	s_delay_alu instid0(VALU_DEP_3)
	v_cmp_le_i64_e64 s10, v[48:49], v[36:37]
	s_and_b32 s10, s11, s10
	s_wait_alu 0xfffe
	s_or_b32 s10, s12, s10
	s_wait_alu 0xfffe
	v_cndmask_b32_e64 v23, v5, v19, s10
	v_cndmask_b32_e64 v0, v65, v64, s10
	s_delay_alu instid0(VALU_DEP_2) | instskip(NEXT) | instid1(VALU_DEP_2)
	v_add_nc_u32_e32 v22, 1, v23
	v_add_nc_u32_e32 v0, -1, v0
	s_delay_alu instid0(VALU_DEP_2) | instskip(NEXT) | instid1(VALU_DEP_2)
	v_cndmask_b32_e64 v19, v19, v22, s10
	v_min_u32_e32 v0, v22, v0
	v_cndmask_b32_e64 v5, v22, v5, s10
	s_delay_alu instid0(VALU_DEP_3) | instskip(NEXT) | instid1(VALU_DEP_3)
	v_cmp_lt_u32_e64 s12, v19, v64
	v_lshl_add_u32 v0, v0, 3, v31
	s_delay_alu instid0(VALU_DEP_3)
	v_cmp_ge_u32_e64 s13, v5, v65
	ds_load_b64 v[0:1], v0
	s_wait_dscnt 0x0
	v_cndmask_b32_e64 v69, v1, v37, s10
	v_cndmask_b32_e64 v68, v0, v36, s10
	;; [unrolled: 1-line block ×6, first 2 shown]
	s_delay_alu instid0(VALU_DEP_3)
	v_cmp_le_i64_e64 s11, v[70:71], v[68:69]
	s_and_b32 s11, s12, s11
	s_wait_alu 0xfffe
	s_or_b32 s11, s13, s11
	s_wait_alu 0xfffe
	v_cndmask_b32_e64 v24, v5, v19, s11
	v_cndmask_b32_e64 v0, v65, v64, s11
	;; [unrolled: 1-line block ×4, first 2 shown]
	s_delay_alu instid0(VALU_DEP_4) | instskip(NEXT) | instid1(VALU_DEP_4)
	v_add_nc_u32_e32 v22, 1, v24
	v_add_nc_u32_e32 v0, -1, v0
	s_delay_alu instid0(VALU_DEP_2) | instskip(NEXT) | instid1(VALU_DEP_2)
	v_cndmask_b32_e64 v19, v19, v22, s11
	v_min_u32_e32 v0, v22, v0
	v_cndmask_b32_e64 v5, v22, v5, s11
	s_delay_alu instid0(VALU_DEP_3) | instskip(NEXT) | instid1(VALU_DEP_3)
	v_cmp_lt_u32_e64 s13, v19, v64
	v_lshl_add_u32 v0, v0, 3, v31
	s_delay_alu instid0(VALU_DEP_3)
	v_cmp_ge_u32_e64 s14, v5, v65
	ds_load_b64 v[0:1], v0
	s_wait_dscnt 0x0
	v_cndmask_b32_e64 v81, v1, v69, s11
	v_cndmask_b32_e64 v80, v0, v68, s11
	;; [unrolled: 1-line block ×4, first 2 shown]
	s_delay_alu instid0(VALU_DEP_1)
	v_cmp_le_i64_e64 s12, v[82:83], v[80:81]
	s_and_b32 s12, s13, s12
	s_wait_alu 0xfffe
	s_or_b32 s12, s14, s12
	s_wait_alu 0xfffe
	v_cndmask_b32_e64 v25, v5, v19, s12
	v_cndmask_b32_e64 v0, v65, v64, s12
	s_delay_alu instid0(VALU_DEP_2) | instskip(NEXT) | instid1(VALU_DEP_2)
	v_add_nc_u32_e32 v22, 1, v25
	v_add_nc_u32_e32 v0, -1, v0
	v_lshl_add_u32 v25, v25, 3, v31
	s_delay_alu instid0(VALU_DEP_3) | instskip(NEXT) | instid1(VALU_DEP_3)
	v_cndmask_b32_e64 v19, v19, v22, s12
	v_min_u32_e32 v0, v22, v0
	v_cndmask_b32_e64 v5, v22, v5, s12
	s_delay_alu instid0(VALU_DEP_3) | instskip(NEXT) | instid1(VALU_DEP_3)
	v_cmp_lt_u32_e64 s14, v19, v64
	v_lshl_add_u32 v0, v0, 3, v31
	s_delay_alu instid0(VALU_DEP_3)
	v_cmp_ge_u32_e64 s15, v5, v65
	ds_load_b64 v[0:1], v0
	s_wait_dscnt 0x0
	v_cndmask_b32_e64 v85, v1, v81, s12
	v_cndmask_b32_e64 v84, v0, v80, s12
	;; [unrolled: 1-line block ×4, first 2 shown]
	s_delay_alu instid0(VALU_DEP_1)
	v_cmp_le_i64_e64 s13, v[86:87], v[84:85]
	s_and_b32 s13, s14, s13
	s_wait_alu 0xfffe
	s_or_b32 s13, s15, s13
	s_wait_alu 0xfffe
	v_cndmask_b32_e64 v26, v5, v19, s13
	v_cndmask_b32_e64 v0, v65, v64, s13
	;; [unrolled: 1-line block ×4, first 2 shown]
	s_delay_alu instid0(VALU_DEP_4) | instskip(NEXT) | instid1(VALU_DEP_4)
	v_add_nc_u32_e32 v22, 1, v26
	v_add_nc_u32_e32 v0, -1, v0
	v_lshl_add_u32 v26, v26, 3, v31
	s_delay_alu instid0(VALU_DEP_3) | instskip(NEXT) | instid1(VALU_DEP_3)
	v_cndmask_b32_e64 v27, v19, v22, s13
	v_min_u32_e32 v0, v22, v0
	v_cndmask_b32_e64 v5, v22, v5, s13
	v_lshl_add_u32 v19, v20, 3, v31
	s_delay_alu instid0(VALU_DEP_4) | instskip(NEXT) | instid1(VALU_DEP_4)
	v_cmp_lt_u32_e64 s15, v27, v64
	v_lshl_add_u32 v0, v0, 3, v31
	s_delay_alu instid0(VALU_DEP_4)
	v_cmp_ge_u32_e64 s16, v5, v65
	ds_load_b64 v[0:1], v0
	s_wait_dscnt 0x0
	v_cndmask_b32_e64 v97, v1, v85, s13
	v_cndmask_b32_e64 v96, v0, v84, s13
	;; [unrolled: 1-line block ×4, first 2 shown]
	ds_load_b64 v[0:1], v4 offset:16384
	v_lshl_add_u32 v4, v23, 3, v31
	ds_load_b64 v[19:20], v19 offset:16384
	ds_load_b64 v[21:22], v21 offset:16384
	v_cmp_le_i64_e64 s14, v[98:99], v[96:97]
	s_and_b32 s14, s15, s14
	s_wait_alu 0xfffe
	s_or_b32 s14, s16, s14
	s_wait_alu 0xfffe
	v_cndmask_b32_e64 v5, v5, v27, s14
	v_lshl_add_u32 v27, v24, 3, v31
	ds_load_b64 v[23:24], v4 offset:16384
	v_lshl_add_u32 v32, v5, 3, v31
	ds_load_b64 v[27:28], v27 offset:16384
	ds_load_b64 v[38:39], v25 offset:16384
	;; [unrolled: 1-line block ×3, first 2 shown]
	v_cndmask_b32_e64 v26, v16, v18, s8
	v_cndmask_b32_e64 v25, v15, v17, s8
	;; [unrolled: 1-line block ×3, first 2 shown]
	ds_load_b64 v[32:33], v32 offset:16384
	v_cndmask_b32_e64 v17, v80, v82, s12
	v_cndmask_b32_e64 v16, v97, v99, s14
	;; [unrolled: 1-line block ×3, first 2 shown]
.LBB822_194:
	s_wait_alu 0xfffe
	s_or_b32 exec_lo, exec_lo, s18
	v_and_b32_e32 v68, 0xe0, v66
	v_and_b32_e32 v11, 24, v66
	s_mov_b32 s8, exec_lo
	; wave barrier
	s_delay_alu instid0(VALU_DEP_2) | instskip(NEXT) | instid1(VALU_DEP_2)
	v_or_b32_e32 v10, 16, v68
	v_min_u32_e32 v69, v51, v11
	ds_store_2addr_b64 v50, v[8:9], v[25:26] offset1:1
	ds_store_2addr_b64 v50, v[29:30], v[36:37] offset0:2 offset1:3
	s_wait_dscnt 0x8
	ds_store_2addr_b64 v52, v[0:1], v[19:20] offset1:1
	s_wait_dscnt 0x7
	ds_store_2addr_b64 v53, v[21:22], v[23:24] offset1:1
	ds_store_2addr_b64 v50, v[34:35], v[17:18] offset0:4 offset1:5
	ds_store_2addr_b64 v50, v[48:49], v[15:16] offset0:6 offset1:7
	s_wait_dscnt 0x8
	ds_store_2addr_b64 v54, v[27:28], v[38:39] offset1:1
	s_wait_dscnt 0x7
	ds_store_2addr_b64 v55, v[4:5], v[32:33] offset1:1
	v_min_u32_e32 v64, v51, v10
	; wave barrier
	s_delay_alu instid0(VALU_DEP_1) | instskip(NEXT) | instid1(VALU_DEP_1)
	v_add_nc_u32_e32 v10, 16, v64
	v_min_u32_e32 v65, v51, v10
	v_sub_nc_u32_e32 v10, v64, v68
	s_delay_alu instid0(VALU_DEP_2) | instskip(NEXT) | instid1(VALU_DEP_2)
	v_sub_nc_u32_e32 v11, v65, v64
	v_min_u32_e32 v70, v69, v10
	s_delay_alu instid0(VALU_DEP_2) | instskip(SKIP_1) | instid1(VALU_DEP_2)
	v_sub_nc_u32_e64 v10, v69, v11 clamp
	v_lshl_add_u32 v11, v68, 3, v31
	v_cmpx_lt_u32_e64 v10, v70
	s_cbranch_execz .LBB822_198
; %bb.195:
	v_lshlrev_b32_e32 v71, 3, v64
	v_lshlrev_b32_e32 v80, 3, v69
	s_mov_b32 s9, 0
	s_delay_alu instid0(VALU_DEP_1)
	v_add3_u32 v71, v31, v71, v80
.LBB822_196:                            ; =>This Inner Loop Header: Depth=1
	v_add_nc_u32_e32 v80, v70, v10
	s_delay_alu instid0(VALU_DEP_1) | instskip(NEXT) | instid1(VALU_DEP_1)
	v_lshrrev_b32_e32 v84, 1, v80
	v_not_b32_e32 v80, v84
	v_lshl_add_u32 v81, v84, 3, v11
	s_delay_alu instid0(VALU_DEP_2)
	v_lshl_add_u32 v82, v80, 3, v71
	ds_load_b64 v[80:81], v81
	ds_load_b64 v[82:83], v82
	s_wait_dscnt 0x0
	v_cmp_gt_i64_e64 s7, v[80:81], v[82:83]
	v_add_nc_u32_e32 v80, 1, v84
	s_wait_alu 0xf1ff
	s_delay_alu instid0(VALU_DEP_2) | instskip(NEXT) | instid1(VALU_DEP_2)
	v_cndmask_b32_e64 v70, v70, v84, s7
	v_cndmask_b32_e64 v10, v80, v10, s7
	s_delay_alu instid0(VALU_DEP_1)
	v_cmp_ge_u32_e64 s7, v10, v70
	s_wait_alu 0xfffe
	s_or_b32 s9, s7, s9
	s_wait_alu 0xfffe
	s_and_not1_b32 exec_lo, exec_lo, s9
	s_cbranch_execnz .LBB822_196
; %bb.197:
	s_or_b32 exec_lo, exec_lo, s9
.LBB822_198:
	s_wait_alu 0xfffe
	s_or_b32 exec_lo, exec_lo, s8
	v_add_nc_u32_e32 v69, v64, v69
	v_add_nc_u32_e32 v68, v10, v68
	s_delay_alu instid0(VALU_DEP_2) | instskip(NEXT) | instid1(VALU_DEP_2)
	v_sub_nc_u32_e32 v69, v69, v10
	v_cmp_le_u32_e64 s7, v68, v64
	s_delay_alu instid0(VALU_DEP_2)
	v_cmp_le_u32_e64 s8, v69, v65
	s_or_b32 s7, s7, s8
	s_wait_alu 0xfffe
	s_and_saveexec_b32 s18, s7
	s_cbranch_execz .LBB822_204
; %bb.199:
	v_cmp_lt_u32_e64 s7, v68, v64
                                        ; implicit-def: $vgpr8_vgpr9
	s_and_saveexec_b32 s8, s7
; %bb.200:
	v_lshl_add_u32 v0, v10, 3, v11
	ds_load_b64 v[8:9], v0
; %bb.201:
	s_wait_alu 0xfffe
	s_or_b32 exec_lo, exec_lo, s8
	v_cmp_ge_u32_e64 s8, v69, v65
	s_mov_b32 s10, exec_lo
                                        ; implicit-def: $vgpr10_vgpr11
	v_cmpx_lt_u32_e64 v69, v65
; %bb.202:
	v_lshl_add_u32 v0, v69, 3, v31
	ds_load_b64 v[10:11], v0
; %bb.203:
	s_wait_alu 0xfffe
	s_or_b32 exec_lo, exec_lo, s10
	s_wait_dscnt 0x0
	v_cmp_le_i64_e64 s9, v[8:9], v[10:11]
	s_and_b32 s7, s7, s9
	s_wait_alu 0xfffe
	s_or_b32 s7, s8, s7
	s_wait_alu 0xfffe
	v_cndmask_b32_e64 v4, v69, v68, s7
	v_cndmask_b32_e64 v0, v65, v64, s7
	s_delay_alu instid0(VALU_DEP_2) | instskip(NEXT) | instid1(VALU_DEP_2)
	v_add_nc_u32_e32 v5, 1, v4
	v_add_nc_u32_e32 v0, -1, v0
	v_lshl_add_u32 v4, v4, 3, v31
	s_delay_alu instid0(VALU_DEP_3) | instskip(NEXT) | instid1(VALU_DEP_3)
	v_cndmask_b32_e64 v19, v68, v5, s7
	v_min_u32_e32 v0, v5, v0
	v_cndmask_b32_e64 v5, v5, v69, s7
	s_delay_alu instid0(VALU_DEP_3) | instskip(NEXT) | instid1(VALU_DEP_3)
	v_cmp_lt_u32_e64 s9, v19, v64
	v_lshl_add_u32 v0, v0, 3, v31
	s_delay_alu instid0(VALU_DEP_3)
	v_cmp_ge_u32_e64 s10, v5, v65
	ds_load_b64 v[0:1], v0
	s_wait_dscnt 0x0
	v_cndmask_b32_e64 v16, v1, v11, s7
	v_cndmask_b32_e64 v15, v0, v10, s7
	v_cndmask_b32_e64 v18, v9, v1, s7
	v_cndmask_b32_e64 v17, v8, v0, s7
	v_cndmask_b32_e64 v9, v11, v9, s7
	v_cndmask_b32_e64 v8, v10, v8, s7
	s_delay_alu instid0(VALU_DEP_3)
	v_cmp_le_i64_e64 s8, v[17:18], v[15:16]
	s_and_b32 s8, s9, s8
	s_wait_alu 0xfffe
	s_or_b32 s8, s10, s8
	s_wait_alu 0xfffe
	v_cndmask_b32_e64 v20, v5, v19, s8
	v_cndmask_b32_e64 v0, v65, v64, s8
	s_delay_alu instid0(VALU_DEP_2) | instskip(NEXT) | instid1(VALU_DEP_2)
	v_add_nc_u32_e32 v21, 1, v20
	v_add_nc_u32_e32 v0, -1, v0
	s_delay_alu instid0(VALU_DEP_2) | instskip(NEXT) | instid1(VALU_DEP_2)
	v_cndmask_b32_e64 v19, v19, v21, s8
	v_min_u32_e32 v0, v21, v0
	v_cndmask_b32_e64 v5, v21, v5, s8
	s_delay_alu instid0(VALU_DEP_3) | instskip(NEXT) | instid1(VALU_DEP_3)
	v_cmp_lt_u32_e64 s10, v19, v64
	v_lshl_add_u32 v0, v0, 3, v31
	s_delay_alu instid0(VALU_DEP_3)
	v_cmp_ge_u32_e64 s11, v5, v65
	ds_load_b64 v[0:1], v0
	s_wait_dscnt 0x0
	v_cndmask_b32_e64 v30, v1, v16, s8
	v_cndmask_b32_e64 v29, v0, v15, s8
	;; [unrolled: 1-line block ×4, first 2 shown]
	s_delay_alu instid0(VALU_DEP_1)
	v_cmp_le_i64_e64 s9, v[34:35], v[29:30]
	s_and_b32 s9, s10, s9
	s_wait_alu 0xfffe
	s_or_b32 s9, s11, s9
	s_wait_alu 0xfffe
	v_cndmask_b32_e64 v21, v5, v19, s9
	v_cndmask_b32_e64 v0, v65, v64, s9
	s_delay_alu instid0(VALU_DEP_2) | instskip(NEXT) | instid1(VALU_DEP_2)
	v_add_nc_u32_e32 v22, 1, v21
	v_add_nc_u32_e32 v0, -1, v0
	v_lshl_add_u32 v21, v21, 3, v31
	s_delay_alu instid0(VALU_DEP_3) | instskip(NEXT) | instid1(VALU_DEP_3)
	v_cndmask_b32_e64 v19, v19, v22, s9
	v_min_u32_e32 v0, v22, v0
	v_cndmask_b32_e64 v5, v22, v5, s9
	s_delay_alu instid0(VALU_DEP_3) | instskip(NEXT) | instid1(VALU_DEP_3)
	v_cmp_lt_u32_e64 s11, v19, v64
	v_lshl_add_u32 v0, v0, 3, v31
	s_delay_alu instid0(VALU_DEP_3)
	v_cmp_ge_u32_e64 s12, v5, v65
	ds_load_b64 v[0:1], v0
	s_wait_dscnt 0x0
	v_cndmask_b32_e64 v37, v1, v30, s9
	v_cndmask_b32_e64 v36, v0, v29, s9
	;; [unrolled: 1-line block ×6, first 2 shown]
	s_delay_alu instid0(VALU_DEP_3)
	v_cmp_le_i64_e64 s10, v[48:49], v[36:37]
	s_and_b32 s10, s11, s10
	s_wait_alu 0xfffe
	s_or_b32 s10, s12, s10
	s_wait_alu 0xfffe
	v_cndmask_b32_e64 v23, v5, v19, s10
	v_cndmask_b32_e64 v0, v65, v64, s10
	s_delay_alu instid0(VALU_DEP_2) | instskip(NEXT) | instid1(VALU_DEP_2)
	v_add_nc_u32_e32 v22, 1, v23
	v_add_nc_u32_e32 v0, -1, v0
	s_delay_alu instid0(VALU_DEP_2) | instskip(NEXT) | instid1(VALU_DEP_2)
	v_cndmask_b32_e64 v19, v19, v22, s10
	v_min_u32_e32 v0, v22, v0
	v_cndmask_b32_e64 v5, v22, v5, s10
	s_delay_alu instid0(VALU_DEP_3) | instskip(NEXT) | instid1(VALU_DEP_3)
	v_cmp_lt_u32_e64 s12, v19, v64
	v_lshl_add_u32 v0, v0, 3, v31
	s_delay_alu instid0(VALU_DEP_3)
	v_cmp_ge_u32_e64 s13, v5, v65
	ds_load_b64 v[0:1], v0
	s_wait_dscnt 0x0
	v_cndmask_b32_e64 v69, v1, v37, s10
	v_cndmask_b32_e64 v68, v0, v36, s10
	;; [unrolled: 1-line block ×6, first 2 shown]
	s_delay_alu instid0(VALU_DEP_3)
	v_cmp_le_i64_e64 s11, v[70:71], v[68:69]
	s_and_b32 s11, s12, s11
	s_wait_alu 0xfffe
	s_or_b32 s11, s13, s11
	s_wait_alu 0xfffe
	v_cndmask_b32_e64 v24, v5, v19, s11
	v_cndmask_b32_e64 v0, v65, v64, s11
	;; [unrolled: 1-line block ×4, first 2 shown]
	s_delay_alu instid0(VALU_DEP_4) | instskip(NEXT) | instid1(VALU_DEP_4)
	v_add_nc_u32_e32 v22, 1, v24
	v_add_nc_u32_e32 v0, -1, v0
	s_delay_alu instid0(VALU_DEP_2) | instskip(NEXT) | instid1(VALU_DEP_2)
	v_cndmask_b32_e64 v19, v19, v22, s11
	v_min_u32_e32 v0, v22, v0
	v_cndmask_b32_e64 v5, v22, v5, s11
	s_delay_alu instid0(VALU_DEP_3) | instskip(NEXT) | instid1(VALU_DEP_3)
	v_cmp_lt_u32_e64 s13, v19, v64
	v_lshl_add_u32 v0, v0, 3, v31
	s_delay_alu instid0(VALU_DEP_3)
	v_cmp_ge_u32_e64 s14, v5, v65
	ds_load_b64 v[0:1], v0
	s_wait_dscnt 0x0
	v_cndmask_b32_e64 v81, v1, v69, s11
	v_cndmask_b32_e64 v80, v0, v68, s11
	v_cndmask_b32_e64 v83, v71, v1, s11
	v_cndmask_b32_e64 v82, v70, v0, s11
	s_delay_alu instid0(VALU_DEP_1)
	v_cmp_le_i64_e64 s12, v[82:83], v[80:81]
	s_and_b32 s12, s13, s12
	s_wait_alu 0xfffe
	s_or_b32 s12, s14, s12
	s_wait_alu 0xfffe
	v_cndmask_b32_e64 v25, v5, v19, s12
	v_cndmask_b32_e64 v0, v65, v64, s12
	s_delay_alu instid0(VALU_DEP_2) | instskip(NEXT) | instid1(VALU_DEP_2)
	v_add_nc_u32_e32 v22, 1, v25
	v_add_nc_u32_e32 v0, -1, v0
	v_lshl_add_u32 v25, v25, 3, v31
	s_delay_alu instid0(VALU_DEP_3) | instskip(NEXT) | instid1(VALU_DEP_3)
	v_cndmask_b32_e64 v19, v19, v22, s12
	v_min_u32_e32 v0, v22, v0
	v_cndmask_b32_e64 v5, v22, v5, s12
	s_delay_alu instid0(VALU_DEP_3) | instskip(NEXT) | instid1(VALU_DEP_3)
	v_cmp_lt_u32_e64 s14, v19, v64
	v_lshl_add_u32 v0, v0, 3, v31
	s_delay_alu instid0(VALU_DEP_3)
	v_cmp_ge_u32_e64 s15, v5, v65
	ds_load_b64 v[0:1], v0
	s_wait_dscnt 0x0
	v_cndmask_b32_e64 v85, v1, v81, s12
	v_cndmask_b32_e64 v84, v0, v80, s12
	;; [unrolled: 1-line block ×4, first 2 shown]
	s_delay_alu instid0(VALU_DEP_1)
	v_cmp_le_i64_e64 s13, v[86:87], v[84:85]
	s_and_b32 s13, s14, s13
	s_wait_alu 0xfffe
	s_or_b32 s13, s15, s13
	s_wait_alu 0xfffe
	v_cndmask_b32_e64 v26, v5, v19, s13
	v_cndmask_b32_e64 v0, v65, v64, s13
	;; [unrolled: 1-line block ×4, first 2 shown]
	s_delay_alu instid0(VALU_DEP_4) | instskip(NEXT) | instid1(VALU_DEP_4)
	v_add_nc_u32_e32 v22, 1, v26
	v_add_nc_u32_e32 v0, -1, v0
	v_lshl_add_u32 v26, v26, 3, v31
	s_delay_alu instid0(VALU_DEP_3) | instskip(NEXT) | instid1(VALU_DEP_3)
	v_cndmask_b32_e64 v27, v19, v22, s13
	v_min_u32_e32 v0, v22, v0
	v_cndmask_b32_e64 v5, v22, v5, s13
	v_lshl_add_u32 v19, v20, 3, v31
	s_delay_alu instid0(VALU_DEP_4) | instskip(NEXT) | instid1(VALU_DEP_4)
	v_cmp_lt_u32_e64 s15, v27, v64
	v_lshl_add_u32 v0, v0, 3, v31
	s_delay_alu instid0(VALU_DEP_4)
	v_cmp_ge_u32_e64 s16, v5, v65
	ds_load_b64 v[0:1], v0
	s_wait_dscnt 0x0
	v_cndmask_b32_e64 v97, v1, v85, s13
	v_cndmask_b32_e64 v96, v0, v84, s13
	;; [unrolled: 1-line block ×4, first 2 shown]
	ds_load_b64 v[0:1], v4 offset:16384
	v_lshl_add_u32 v4, v23, 3, v31
	ds_load_b64 v[19:20], v19 offset:16384
	ds_load_b64 v[21:22], v21 offset:16384
	v_cmp_le_i64_e64 s14, v[98:99], v[96:97]
	s_and_b32 s14, s15, s14
	s_wait_alu 0xfffe
	s_or_b32 s14, s16, s14
	s_wait_alu 0xfffe
	v_cndmask_b32_e64 v5, v5, v27, s14
	v_lshl_add_u32 v27, v24, 3, v31
	ds_load_b64 v[23:24], v4 offset:16384
	v_lshl_add_u32 v32, v5, 3, v31
	ds_load_b64 v[27:28], v27 offset:16384
	ds_load_b64 v[38:39], v25 offset:16384
	;; [unrolled: 1-line block ×3, first 2 shown]
	v_cndmask_b32_e64 v26, v16, v18, s8
	v_cndmask_b32_e64 v25, v15, v17, s8
	;; [unrolled: 1-line block ×3, first 2 shown]
	ds_load_b64 v[32:33], v32 offset:16384
	v_cndmask_b32_e64 v17, v80, v82, s12
	v_cndmask_b32_e64 v16, v97, v99, s14
	;; [unrolled: 1-line block ×3, first 2 shown]
.LBB822_204:
	s_wait_alu 0xfffe
	s_or_b32 exec_lo, exec_lo, s18
	v_and_b32_e32 v68, 0xc0, v66
	v_and_b32_e32 v11, 56, v66
	s_mov_b32 s8, exec_lo
	; wave barrier
	s_delay_alu instid0(VALU_DEP_2) | instskip(NEXT) | instid1(VALU_DEP_2)
	v_or_b32_e32 v10, 32, v68
	v_min_u32_e32 v69, v51, v11
	ds_store_2addr_b64 v50, v[8:9], v[25:26] offset1:1
	ds_store_2addr_b64 v50, v[29:30], v[36:37] offset0:2 offset1:3
	s_wait_dscnt 0x8
	ds_store_2addr_b64 v52, v[0:1], v[19:20] offset1:1
	s_wait_dscnt 0x7
	ds_store_2addr_b64 v53, v[21:22], v[23:24] offset1:1
	ds_store_2addr_b64 v50, v[34:35], v[17:18] offset0:4 offset1:5
	ds_store_2addr_b64 v50, v[48:49], v[15:16] offset0:6 offset1:7
	s_wait_dscnt 0x8
	ds_store_2addr_b64 v54, v[27:28], v[38:39] offset1:1
	s_wait_dscnt 0x7
	ds_store_2addr_b64 v55, v[4:5], v[32:33] offset1:1
	v_min_u32_e32 v64, v51, v10
	; wave barrier
	s_delay_alu instid0(VALU_DEP_1) | instskip(NEXT) | instid1(VALU_DEP_1)
	v_add_nc_u32_e32 v10, 32, v64
	v_min_u32_e32 v65, v51, v10
	v_sub_nc_u32_e32 v10, v64, v68
	s_delay_alu instid0(VALU_DEP_2) | instskip(NEXT) | instid1(VALU_DEP_2)
	v_sub_nc_u32_e32 v11, v65, v64
	v_min_u32_e32 v70, v69, v10
	s_delay_alu instid0(VALU_DEP_2) | instskip(SKIP_1) | instid1(VALU_DEP_2)
	v_sub_nc_u32_e64 v10, v69, v11 clamp
	v_lshl_add_u32 v11, v68, 3, v31
	v_cmpx_lt_u32_e64 v10, v70
	s_cbranch_execz .LBB822_208
; %bb.205:
	v_lshlrev_b32_e32 v71, 3, v64
	v_lshlrev_b32_e32 v80, 3, v69
	s_mov_b32 s9, 0
	s_delay_alu instid0(VALU_DEP_1)
	v_add3_u32 v71, v31, v71, v80
.LBB822_206:                            ; =>This Inner Loop Header: Depth=1
	v_add_nc_u32_e32 v80, v70, v10
	s_delay_alu instid0(VALU_DEP_1) | instskip(NEXT) | instid1(VALU_DEP_1)
	v_lshrrev_b32_e32 v84, 1, v80
	v_not_b32_e32 v80, v84
	v_lshl_add_u32 v81, v84, 3, v11
	s_delay_alu instid0(VALU_DEP_2)
	v_lshl_add_u32 v82, v80, 3, v71
	ds_load_b64 v[80:81], v81
	ds_load_b64 v[82:83], v82
	s_wait_dscnt 0x0
	v_cmp_gt_i64_e64 s7, v[80:81], v[82:83]
	v_add_nc_u32_e32 v80, 1, v84
	s_wait_alu 0xf1ff
	s_delay_alu instid0(VALU_DEP_2) | instskip(NEXT) | instid1(VALU_DEP_2)
	v_cndmask_b32_e64 v70, v70, v84, s7
	v_cndmask_b32_e64 v10, v80, v10, s7
	s_delay_alu instid0(VALU_DEP_1)
	v_cmp_ge_u32_e64 s7, v10, v70
	s_wait_alu 0xfffe
	s_or_b32 s9, s7, s9
	s_wait_alu 0xfffe
	s_and_not1_b32 exec_lo, exec_lo, s9
	s_cbranch_execnz .LBB822_206
; %bb.207:
	s_or_b32 exec_lo, exec_lo, s9
.LBB822_208:
	s_wait_alu 0xfffe
	s_or_b32 exec_lo, exec_lo, s8
	v_add_nc_u32_e32 v69, v64, v69
	v_add_nc_u32_e32 v68, v10, v68
	s_delay_alu instid0(VALU_DEP_2) | instskip(NEXT) | instid1(VALU_DEP_2)
	v_sub_nc_u32_e32 v69, v69, v10
	v_cmp_le_u32_e64 s7, v68, v64
	s_delay_alu instid0(VALU_DEP_2)
	v_cmp_le_u32_e64 s8, v69, v65
	s_or_b32 s7, s7, s8
	s_wait_alu 0xfffe
	s_and_saveexec_b32 s18, s7
	s_cbranch_execz .LBB822_214
; %bb.209:
	v_cmp_lt_u32_e64 s7, v68, v64
                                        ; implicit-def: $vgpr8_vgpr9
	s_and_saveexec_b32 s8, s7
; %bb.210:
	v_lshl_add_u32 v0, v10, 3, v11
	ds_load_b64 v[8:9], v0
; %bb.211:
	s_wait_alu 0xfffe
	s_or_b32 exec_lo, exec_lo, s8
	v_cmp_ge_u32_e64 s8, v69, v65
	s_mov_b32 s10, exec_lo
                                        ; implicit-def: $vgpr10_vgpr11
	v_cmpx_lt_u32_e64 v69, v65
; %bb.212:
	v_lshl_add_u32 v0, v69, 3, v31
	ds_load_b64 v[10:11], v0
; %bb.213:
	s_wait_alu 0xfffe
	s_or_b32 exec_lo, exec_lo, s10
	s_wait_dscnt 0x0
	v_cmp_le_i64_e64 s9, v[8:9], v[10:11]
	s_and_b32 s7, s7, s9
	s_wait_alu 0xfffe
	s_or_b32 s7, s8, s7
	s_wait_alu 0xfffe
	v_cndmask_b32_e64 v4, v69, v68, s7
	v_cndmask_b32_e64 v0, v65, v64, s7
	s_delay_alu instid0(VALU_DEP_2) | instskip(NEXT) | instid1(VALU_DEP_2)
	v_add_nc_u32_e32 v5, 1, v4
	v_add_nc_u32_e32 v0, -1, v0
	v_lshl_add_u32 v4, v4, 3, v31
	s_delay_alu instid0(VALU_DEP_3) | instskip(NEXT) | instid1(VALU_DEP_3)
	v_cndmask_b32_e64 v19, v68, v5, s7
	v_min_u32_e32 v0, v5, v0
	v_cndmask_b32_e64 v5, v5, v69, s7
	s_delay_alu instid0(VALU_DEP_3) | instskip(NEXT) | instid1(VALU_DEP_3)
	v_cmp_lt_u32_e64 s9, v19, v64
	v_lshl_add_u32 v0, v0, 3, v31
	s_delay_alu instid0(VALU_DEP_3)
	v_cmp_ge_u32_e64 s10, v5, v65
	ds_load_b64 v[0:1], v0
	s_wait_dscnt 0x0
	v_cndmask_b32_e64 v16, v1, v11, s7
	v_cndmask_b32_e64 v15, v0, v10, s7
	;; [unrolled: 1-line block ×6, first 2 shown]
	s_delay_alu instid0(VALU_DEP_3)
	v_cmp_le_i64_e64 s8, v[17:18], v[15:16]
	s_and_b32 s8, s9, s8
	s_wait_alu 0xfffe
	s_or_b32 s8, s10, s8
	s_wait_alu 0xfffe
	v_cndmask_b32_e64 v20, v5, v19, s8
	v_cndmask_b32_e64 v0, v65, v64, s8
	s_delay_alu instid0(VALU_DEP_2) | instskip(NEXT) | instid1(VALU_DEP_2)
	v_add_nc_u32_e32 v21, 1, v20
	v_add_nc_u32_e32 v0, -1, v0
	s_delay_alu instid0(VALU_DEP_2) | instskip(NEXT) | instid1(VALU_DEP_2)
	v_cndmask_b32_e64 v19, v19, v21, s8
	v_min_u32_e32 v0, v21, v0
	v_cndmask_b32_e64 v5, v21, v5, s8
	s_delay_alu instid0(VALU_DEP_3) | instskip(NEXT) | instid1(VALU_DEP_3)
	v_cmp_lt_u32_e64 s10, v19, v64
	v_lshl_add_u32 v0, v0, 3, v31
	s_delay_alu instid0(VALU_DEP_3)
	v_cmp_ge_u32_e64 s11, v5, v65
	ds_load_b64 v[0:1], v0
	s_wait_dscnt 0x0
	v_cndmask_b32_e64 v30, v1, v16, s8
	v_cndmask_b32_e64 v29, v0, v15, s8
	;; [unrolled: 1-line block ×4, first 2 shown]
	s_delay_alu instid0(VALU_DEP_1)
	v_cmp_le_i64_e64 s9, v[34:35], v[29:30]
	s_and_b32 s9, s10, s9
	s_wait_alu 0xfffe
	s_or_b32 s9, s11, s9
	s_wait_alu 0xfffe
	v_cndmask_b32_e64 v21, v5, v19, s9
	v_cndmask_b32_e64 v0, v65, v64, s9
	s_delay_alu instid0(VALU_DEP_2) | instskip(NEXT) | instid1(VALU_DEP_2)
	v_add_nc_u32_e32 v22, 1, v21
	v_add_nc_u32_e32 v0, -1, v0
	v_lshl_add_u32 v21, v21, 3, v31
	s_delay_alu instid0(VALU_DEP_3) | instskip(NEXT) | instid1(VALU_DEP_3)
	v_cndmask_b32_e64 v19, v19, v22, s9
	v_min_u32_e32 v0, v22, v0
	v_cndmask_b32_e64 v5, v22, v5, s9
	s_delay_alu instid0(VALU_DEP_3) | instskip(NEXT) | instid1(VALU_DEP_3)
	v_cmp_lt_u32_e64 s11, v19, v64
	v_lshl_add_u32 v0, v0, 3, v31
	s_delay_alu instid0(VALU_DEP_3)
	v_cmp_ge_u32_e64 s12, v5, v65
	ds_load_b64 v[0:1], v0
	s_wait_dscnt 0x0
	v_cndmask_b32_e64 v37, v1, v30, s9
	v_cndmask_b32_e64 v36, v0, v29, s9
	;; [unrolled: 1-line block ×6, first 2 shown]
	s_delay_alu instid0(VALU_DEP_3)
	v_cmp_le_i64_e64 s10, v[48:49], v[36:37]
	s_and_b32 s10, s11, s10
	s_wait_alu 0xfffe
	s_or_b32 s10, s12, s10
	s_wait_alu 0xfffe
	v_cndmask_b32_e64 v23, v5, v19, s10
	v_cndmask_b32_e64 v0, v65, v64, s10
	s_delay_alu instid0(VALU_DEP_2) | instskip(NEXT) | instid1(VALU_DEP_2)
	v_add_nc_u32_e32 v22, 1, v23
	v_add_nc_u32_e32 v0, -1, v0
	s_delay_alu instid0(VALU_DEP_2) | instskip(NEXT) | instid1(VALU_DEP_2)
	v_cndmask_b32_e64 v19, v19, v22, s10
	v_min_u32_e32 v0, v22, v0
	v_cndmask_b32_e64 v5, v22, v5, s10
	s_delay_alu instid0(VALU_DEP_3) | instskip(NEXT) | instid1(VALU_DEP_3)
	v_cmp_lt_u32_e64 s12, v19, v64
	v_lshl_add_u32 v0, v0, 3, v31
	s_delay_alu instid0(VALU_DEP_3)
	v_cmp_ge_u32_e64 s13, v5, v65
	ds_load_b64 v[0:1], v0
	s_wait_dscnt 0x0
	v_cndmask_b32_e64 v69, v1, v37, s10
	v_cndmask_b32_e64 v68, v0, v36, s10
	v_cndmask_b32_e64 v71, v49, v1, s10
	v_cndmask_b32_e64 v70, v48, v0, s10
	v_cndmask_b32_e64 v37, v37, v49, s10
	v_cndmask_b32_e64 v36, v36, v48, s10
	s_delay_alu instid0(VALU_DEP_3)
	v_cmp_le_i64_e64 s11, v[70:71], v[68:69]
	s_and_b32 s11, s12, s11
	s_wait_alu 0xfffe
	s_or_b32 s11, s13, s11
	s_wait_alu 0xfffe
	v_cndmask_b32_e64 v24, v5, v19, s11
	v_cndmask_b32_e64 v0, v65, v64, s11
	;; [unrolled: 1-line block ×4, first 2 shown]
	s_delay_alu instid0(VALU_DEP_4) | instskip(NEXT) | instid1(VALU_DEP_4)
	v_add_nc_u32_e32 v22, 1, v24
	v_add_nc_u32_e32 v0, -1, v0
	s_delay_alu instid0(VALU_DEP_2) | instskip(NEXT) | instid1(VALU_DEP_2)
	v_cndmask_b32_e64 v19, v19, v22, s11
	v_min_u32_e32 v0, v22, v0
	v_cndmask_b32_e64 v5, v22, v5, s11
	s_delay_alu instid0(VALU_DEP_3) | instskip(NEXT) | instid1(VALU_DEP_3)
	v_cmp_lt_u32_e64 s13, v19, v64
	v_lshl_add_u32 v0, v0, 3, v31
	s_delay_alu instid0(VALU_DEP_3)
	v_cmp_ge_u32_e64 s14, v5, v65
	ds_load_b64 v[0:1], v0
	s_wait_dscnt 0x0
	v_cndmask_b32_e64 v81, v1, v69, s11
	v_cndmask_b32_e64 v80, v0, v68, s11
	v_cndmask_b32_e64 v83, v71, v1, s11
	v_cndmask_b32_e64 v82, v70, v0, s11
	s_delay_alu instid0(VALU_DEP_1)
	v_cmp_le_i64_e64 s12, v[82:83], v[80:81]
	s_and_b32 s12, s13, s12
	s_wait_alu 0xfffe
	s_or_b32 s12, s14, s12
	s_wait_alu 0xfffe
	v_cndmask_b32_e64 v25, v5, v19, s12
	v_cndmask_b32_e64 v0, v65, v64, s12
	s_delay_alu instid0(VALU_DEP_2) | instskip(NEXT) | instid1(VALU_DEP_2)
	v_add_nc_u32_e32 v22, 1, v25
	v_add_nc_u32_e32 v0, -1, v0
	v_lshl_add_u32 v25, v25, 3, v31
	s_delay_alu instid0(VALU_DEP_3) | instskip(NEXT) | instid1(VALU_DEP_3)
	v_cndmask_b32_e64 v19, v19, v22, s12
	v_min_u32_e32 v0, v22, v0
	v_cndmask_b32_e64 v5, v22, v5, s12
	s_delay_alu instid0(VALU_DEP_3) | instskip(NEXT) | instid1(VALU_DEP_3)
	v_cmp_lt_u32_e64 s14, v19, v64
	v_lshl_add_u32 v0, v0, 3, v31
	s_delay_alu instid0(VALU_DEP_3)
	v_cmp_ge_u32_e64 s15, v5, v65
	ds_load_b64 v[0:1], v0
	s_wait_dscnt 0x0
	v_cndmask_b32_e64 v85, v1, v81, s12
	v_cndmask_b32_e64 v84, v0, v80, s12
	;; [unrolled: 1-line block ×4, first 2 shown]
	s_delay_alu instid0(VALU_DEP_1)
	v_cmp_le_i64_e64 s13, v[86:87], v[84:85]
	s_and_b32 s13, s14, s13
	s_wait_alu 0xfffe
	s_or_b32 s13, s15, s13
	s_wait_alu 0xfffe
	v_cndmask_b32_e64 v26, v5, v19, s13
	v_cndmask_b32_e64 v0, v65, v64, s13
	;; [unrolled: 1-line block ×4, first 2 shown]
	s_delay_alu instid0(VALU_DEP_4) | instskip(NEXT) | instid1(VALU_DEP_4)
	v_add_nc_u32_e32 v22, 1, v26
	v_add_nc_u32_e32 v0, -1, v0
	v_lshl_add_u32 v26, v26, 3, v31
	s_delay_alu instid0(VALU_DEP_3) | instskip(NEXT) | instid1(VALU_DEP_3)
	v_cndmask_b32_e64 v27, v19, v22, s13
	v_min_u32_e32 v0, v22, v0
	v_cndmask_b32_e64 v5, v22, v5, s13
	v_lshl_add_u32 v19, v20, 3, v31
	s_delay_alu instid0(VALU_DEP_4) | instskip(NEXT) | instid1(VALU_DEP_4)
	v_cmp_lt_u32_e64 s15, v27, v64
	v_lshl_add_u32 v0, v0, 3, v31
	s_delay_alu instid0(VALU_DEP_4)
	v_cmp_ge_u32_e64 s16, v5, v65
	ds_load_b64 v[0:1], v0
	s_wait_dscnt 0x0
	v_cndmask_b32_e64 v97, v1, v85, s13
	v_cndmask_b32_e64 v96, v0, v84, s13
	;; [unrolled: 1-line block ×4, first 2 shown]
	ds_load_b64 v[0:1], v4 offset:16384
	v_lshl_add_u32 v4, v23, 3, v31
	ds_load_b64 v[19:20], v19 offset:16384
	ds_load_b64 v[21:22], v21 offset:16384
	v_cmp_le_i64_e64 s14, v[98:99], v[96:97]
	s_and_b32 s14, s15, s14
	s_wait_alu 0xfffe
	s_or_b32 s14, s16, s14
	s_wait_alu 0xfffe
	v_cndmask_b32_e64 v5, v5, v27, s14
	v_lshl_add_u32 v27, v24, 3, v31
	ds_load_b64 v[23:24], v4 offset:16384
	v_lshl_add_u32 v32, v5, 3, v31
	ds_load_b64 v[27:28], v27 offset:16384
	ds_load_b64 v[38:39], v25 offset:16384
	;; [unrolled: 1-line block ×3, first 2 shown]
	v_cndmask_b32_e64 v26, v16, v18, s8
	v_cndmask_b32_e64 v25, v15, v17, s8
	v_cndmask_b32_e64 v18, v81, v83, s12
	ds_load_b64 v[32:33], v32 offset:16384
	v_cndmask_b32_e64 v17, v80, v82, s12
	v_cndmask_b32_e64 v16, v97, v99, s14
	;; [unrolled: 1-line block ×3, first 2 shown]
.LBB822_214:
	s_wait_alu 0xfffe
	s_or_b32 exec_lo, exec_lo, s18
	v_and_b32_e32 v66, 0x80, v66
	s_mov_b32 s8, exec_lo
	; wave barrier
	ds_store_2addr_b64 v50, v[8:9], v[25:26] offset1:1
	ds_store_2addr_b64 v50, v[29:30], v[36:37] offset0:2 offset1:3
	v_or_b32_e32 v10, 64, v66
	s_wait_dscnt 0x8
	ds_store_2addr_b64 v52, v[0:1], v[19:20] offset1:1
	s_wait_dscnt 0x7
	ds_store_2addr_b64 v53, v[21:22], v[23:24] offset1:1
	ds_store_2addr_b64 v50, v[34:35], v[17:18] offset0:4 offset1:5
	ds_store_2addr_b64 v50, v[48:49], v[15:16] offset0:6 offset1:7
	s_wait_dscnt 0x8
	ds_store_2addr_b64 v54, v[27:28], v[38:39] offset1:1
	s_wait_dscnt 0x7
	ds_store_2addr_b64 v55, v[4:5], v[32:33] offset1:1
	; wave barrier
	v_min_u32_e32 v64, v51, v10
	s_delay_alu instid0(VALU_DEP_1) | instskip(NEXT) | instid1(VALU_DEP_1)
	v_add_nc_u32_e32 v10, 64, v64
	v_min_u32_e32 v65, v51, v10
	v_min_u32_e32 v51, v51, v67
	v_sub_nc_u32_e32 v10, v64, v66
	s_delay_alu instid0(VALU_DEP_3) | instskip(NEXT) | instid1(VALU_DEP_2)
	v_sub_nc_u32_e32 v11, v65, v64
	v_min_u32_e32 v67, v51, v10
	s_delay_alu instid0(VALU_DEP_2) | instskip(SKIP_1) | instid1(VALU_DEP_2)
	v_sub_nc_u32_e64 v10, v51, v11 clamp
	v_lshl_add_u32 v11, v66, 3, v31
	v_cmpx_lt_u32_e64 v10, v67
	s_cbranch_execz .LBB822_218
; %bb.215:
	v_lshlrev_b32_e32 v50, 3, v64
	v_lshlrev_b32_e32 v52, 3, v51
	s_mov_b32 s9, 0
	s_delay_alu instid0(VALU_DEP_1)
	v_add3_u32 v50, v31, v50, v52
.LBB822_216:                            ; =>This Inner Loop Header: Depth=1
	v_add_nc_u32_e32 v52, v67, v10
	s_delay_alu instid0(VALU_DEP_1) | instskip(NEXT) | instid1(VALU_DEP_1)
	v_lshrrev_b32_e32 v68, 1, v52
	v_not_b32_e32 v52, v68
	v_lshl_add_u32 v53, v68, 3, v11
	s_delay_alu instid0(VALU_DEP_2)
	v_lshl_add_u32 v54, v52, 3, v50
	ds_load_b64 v[52:53], v53
	ds_load_b64 v[54:55], v54
	s_wait_dscnt 0x0
	v_cmp_gt_i64_e64 s7, v[52:53], v[54:55]
	v_add_nc_u32_e32 v52, 1, v68
	s_wait_alu 0xf1ff
	s_delay_alu instid0(VALU_DEP_2) | instskip(NEXT) | instid1(VALU_DEP_2)
	v_cndmask_b32_e64 v67, v67, v68, s7
	v_cndmask_b32_e64 v10, v52, v10, s7
	s_delay_alu instid0(VALU_DEP_1)
	v_cmp_ge_u32_e64 s7, v10, v67
	s_wait_alu 0xfffe
	s_or_b32 s9, s7, s9
	s_wait_alu 0xfffe
	s_and_not1_b32 exec_lo, exec_lo, s9
	s_cbranch_execnz .LBB822_216
; %bb.217:
	s_or_b32 exec_lo, exec_lo, s9
.LBB822_218:
	s_wait_alu 0xfffe
	s_or_b32 exec_lo, exec_lo, s8
	v_add_nc_u32_e32 v51, v64, v51
	v_add_nc_u32_e32 v50, v10, v66
	s_delay_alu instid0(VALU_DEP_2) | instskip(NEXT) | instid1(VALU_DEP_2)
	v_sub_nc_u32_e32 v51, v51, v10
	v_cmp_le_u32_e64 s7, v50, v64
	s_delay_alu instid0(VALU_DEP_2)
	v_cmp_le_u32_e64 s8, v51, v65
	s_or_b32 s7, s7, s8
	s_wait_alu 0xfffe
	s_and_saveexec_b32 s18, s7
	s_cbranch_execz .LBB822_224
; %bb.219:
	v_cmp_lt_u32_e64 s7, v50, v64
                                        ; implicit-def: $vgpr8_vgpr9
	s_and_saveexec_b32 s8, s7
; %bb.220:
	v_lshl_add_u32 v0, v10, 3, v11
	ds_load_b64 v[8:9], v0
; %bb.221:
	s_wait_alu 0xfffe
	s_or_b32 exec_lo, exec_lo, s8
	v_cmp_ge_u32_e64 s8, v51, v65
	s_mov_b32 s10, exec_lo
                                        ; implicit-def: $vgpr10_vgpr11
	v_cmpx_lt_u32_e64 v51, v65
; %bb.222:
	v_lshl_add_u32 v0, v51, 3, v31
	ds_load_b64 v[10:11], v0
; %bb.223:
	s_wait_alu 0xfffe
	s_or_b32 exec_lo, exec_lo, s10
	s_wait_dscnt 0x0
	v_cmp_le_i64_e64 s9, v[8:9], v[10:11]
	s_and_b32 s7, s7, s9
	s_wait_alu 0xfffe
	s_or_b32 s7, s8, s7
	s_wait_alu 0xfffe
	v_cndmask_b32_e64 v4, v51, v50, s7
	v_cndmask_b32_e64 v0, v65, v64, s7
	s_delay_alu instid0(VALU_DEP_2) | instskip(NEXT) | instid1(VALU_DEP_2)
	v_add_nc_u32_e32 v5, 1, v4
	v_add_nc_u32_e32 v0, -1, v0
	v_lshl_add_u32 v4, v4, 3, v31
	s_delay_alu instid0(VALU_DEP_3) | instskip(NEXT) | instid1(VALU_DEP_3)
	v_cndmask_b32_e64 v19, v50, v5, s7
	v_min_u32_e32 v0, v5, v0
	v_cndmask_b32_e64 v5, v5, v51, s7
	s_delay_alu instid0(VALU_DEP_3) | instskip(NEXT) | instid1(VALU_DEP_3)
	v_cmp_lt_u32_e64 s9, v19, v64
	v_lshl_add_u32 v0, v0, 3, v31
	s_delay_alu instid0(VALU_DEP_3)
	v_cmp_ge_u32_e64 s10, v5, v65
	ds_load_b64 v[0:1], v0
	s_wait_dscnt 0x0
	v_cndmask_b32_e64 v16, v1, v11, s7
	v_cndmask_b32_e64 v15, v0, v10, s7
	;; [unrolled: 1-line block ×6, first 2 shown]
	s_delay_alu instid0(VALU_DEP_3)
	v_cmp_le_i64_e64 s8, v[17:18], v[15:16]
	s_and_b32 s8, s9, s8
	s_wait_alu 0xfffe
	s_or_b32 s8, s10, s8
	s_wait_alu 0xfffe
	v_cndmask_b32_e64 v20, v5, v19, s8
	v_cndmask_b32_e64 v0, v65, v64, s8
	s_delay_alu instid0(VALU_DEP_2) | instskip(NEXT) | instid1(VALU_DEP_2)
	v_add_nc_u32_e32 v21, 1, v20
	v_add_nc_u32_e32 v0, -1, v0
	s_delay_alu instid0(VALU_DEP_2) | instskip(NEXT) | instid1(VALU_DEP_2)
	v_cndmask_b32_e64 v19, v19, v21, s8
	v_min_u32_e32 v0, v21, v0
	v_cndmask_b32_e64 v5, v21, v5, s8
	s_delay_alu instid0(VALU_DEP_3) | instskip(NEXT) | instid1(VALU_DEP_3)
	v_cmp_lt_u32_e64 s10, v19, v64
	v_lshl_add_u32 v0, v0, 3, v31
	s_delay_alu instid0(VALU_DEP_3)
	v_cmp_ge_u32_e64 s11, v5, v65
	ds_load_b64 v[0:1], v0
	s_wait_dscnt 0x0
	v_cndmask_b32_e64 v30, v1, v16, s8
	v_cndmask_b32_e64 v29, v0, v15, s8
	;; [unrolled: 1-line block ×4, first 2 shown]
	s_delay_alu instid0(VALU_DEP_1)
	v_cmp_le_i64_e64 s9, v[34:35], v[29:30]
	s_and_b32 s9, s10, s9
	s_wait_alu 0xfffe
	s_or_b32 s9, s11, s9
	s_wait_alu 0xfffe
	v_cndmask_b32_e64 v21, v5, v19, s9
	v_cndmask_b32_e64 v0, v65, v64, s9
	s_delay_alu instid0(VALU_DEP_2) | instskip(NEXT) | instid1(VALU_DEP_2)
	v_add_nc_u32_e32 v22, 1, v21
	v_add_nc_u32_e32 v0, -1, v0
	v_lshl_add_u32 v21, v21, 3, v31
	s_delay_alu instid0(VALU_DEP_3) | instskip(NEXT) | instid1(VALU_DEP_3)
	v_cndmask_b32_e64 v19, v19, v22, s9
	v_min_u32_e32 v0, v22, v0
	v_cndmask_b32_e64 v5, v22, v5, s9
	s_delay_alu instid0(VALU_DEP_3) | instskip(NEXT) | instid1(VALU_DEP_3)
	v_cmp_lt_u32_e64 s11, v19, v64
	v_lshl_add_u32 v0, v0, 3, v31
	s_delay_alu instid0(VALU_DEP_3)
	v_cmp_ge_u32_e64 s12, v5, v65
	ds_load_b64 v[0:1], v0
	s_wait_dscnt 0x0
	v_cndmask_b32_e64 v37, v1, v30, s9
	v_cndmask_b32_e64 v36, v0, v29, s9
	;; [unrolled: 1-line block ×6, first 2 shown]
	s_delay_alu instid0(VALU_DEP_3)
	v_cmp_le_i64_e64 s10, v[48:49], v[36:37]
	s_and_b32 s10, s11, s10
	s_wait_alu 0xfffe
	s_or_b32 s10, s12, s10
	s_wait_alu 0xfffe
	v_cndmask_b32_e64 v23, v5, v19, s10
	v_cndmask_b32_e64 v0, v65, v64, s10
	s_delay_alu instid0(VALU_DEP_2) | instskip(NEXT) | instid1(VALU_DEP_2)
	v_add_nc_u32_e32 v22, 1, v23
	v_add_nc_u32_e32 v0, -1, v0
	s_delay_alu instid0(VALU_DEP_2) | instskip(NEXT) | instid1(VALU_DEP_2)
	v_cndmask_b32_e64 v19, v19, v22, s10
	v_min_u32_e32 v0, v22, v0
	v_cndmask_b32_e64 v5, v22, v5, s10
	s_delay_alu instid0(VALU_DEP_3) | instskip(NEXT) | instid1(VALU_DEP_3)
	v_cmp_lt_u32_e64 s12, v19, v64
	v_lshl_add_u32 v0, v0, 3, v31
	s_delay_alu instid0(VALU_DEP_3)
	v_cmp_ge_u32_e64 s13, v5, v65
	ds_load_b64 v[0:1], v0
	s_wait_dscnt 0x0
	v_cndmask_b32_e64 v51, v1, v37, s10
	v_cndmask_b32_e64 v50, v0, v36, s10
	v_cndmask_b32_e64 v53, v49, v1, s10
	v_cndmask_b32_e64 v52, v48, v0, s10
	v_cndmask_b32_e64 v37, v37, v49, s10
	v_cndmask_b32_e64 v36, v36, v48, s10
	s_delay_alu instid0(VALU_DEP_3)
	v_cmp_le_i64_e64 s11, v[52:53], v[50:51]
	s_and_b32 s11, s12, s11
	s_wait_alu 0xfffe
	s_or_b32 s11, s13, s11
	s_wait_alu 0xfffe
	v_cndmask_b32_e64 v24, v5, v19, s11
	v_cndmask_b32_e64 v0, v65, v64, s11
	;; [unrolled: 1-line block ×4, first 2 shown]
	s_delay_alu instid0(VALU_DEP_4) | instskip(NEXT) | instid1(VALU_DEP_4)
	v_add_nc_u32_e32 v22, 1, v24
	v_add_nc_u32_e32 v0, -1, v0
	s_delay_alu instid0(VALU_DEP_2) | instskip(NEXT) | instid1(VALU_DEP_2)
	v_cndmask_b32_e64 v19, v19, v22, s11
	v_min_u32_e32 v0, v22, v0
	v_cndmask_b32_e64 v5, v22, v5, s11
	s_delay_alu instid0(VALU_DEP_3) | instskip(NEXT) | instid1(VALU_DEP_3)
	v_cmp_lt_u32_e64 s13, v19, v64
	v_lshl_add_u32 v0, v0, 3, v31
	s_delay_alu instid0(VALU_DEP_3)
	v_cmp_ge_u32_e64 s14, v5, v65
	ds_load_b64 v[0:1], v0
	s_wait_dscnt 0x0
	v_cndmask_b32_e64 v55, v1, v51, s11
	v_cndmask_b32_e64 v54, v0, v50, s11
	;; [unrolled: 1-line block ×4, first 2 shown]
	s_delay_alu instid0(VALU_DEP_1)
	v_cmp_le_i64_e64 s12, v[66:67], v[54:55]
	s_and_b32 s12, s13, s12
	s_wait_alu 0xfffe
	s_or_b32 s12, s14, s12
	s_wait_alu 0xfffe
	v_cndmask_b32_e64 v25, v5, v19, s12
	v_cndmask_b32_e64 v0, v65, v64, s12
	s_delay_alu instid0(VALU_DEP_2) | instskip(NEXT) | instid1(VALU_DEP_2)
	v_add_nc_u32_e32 v22, 1, v25
	v_add_nc_u32_e32 v0, -1, v0
	v_lshl_add_u32 v25, v25, 3, v31
	s_delay_alu instid0(VALU_DEP_3) | instskip(NEXT) | instid1(VALU_DEP_3)
	v_cndmask_b32_e64 v19, v19, v22, s12
	v_min_u32_e32 v0, v22, v0
	v_cndmask_b32_e64 v5, v22, v5, s12
	s_delay_alu instid0(VALU_DEP_3) | instskip(NEXT) | instid1(VALU_DEP_3)
	v_cmp_lt_u32_e64 s14, v19, v64
	v_lshl_add_u32 v0, v0, 3, v31
	s_delay_alu instid0(VALU_DEP_3)
	v_cmp_ge_u32_e64 s15, v5, v65
	ds_load_b64 v[0:1], v0
	s_wait_dscnt 0x0
	v_cndmask_b32_e64 v69, v1, v55, s12
	v_cndmask_b32_e64 v68, v0, v54, s12
	;; [unrolled: 1-line block ×4, first 2 shown]
	s_delay_alu instid0(VALU_DEP_1)
	v_cmp_le_i64_e64 s13, v[70:71], v[68:69]
	s_and_b32 s13, s14, s13
	s_wait_alu 0xfffe
	s_or_b32 s13, s15, s13
	s_wait_alu 0xfffe
	v_cndmask_b32_e64 v26, v5, v19, s13
	v_cndmask_b32_e64 v0, v65, v64, s13
	;; [unrolled: 1-line block ×4, first 2 shown]
	s_delay_alu instid0(VALU_DEP_4) | instskip(NEXT) | instid1(VALU_DEP_4)
	v_add_nc_u32_e32 v22, 1, v26
	v_add_nc_u32_e32 v0, -1, v0
	v_lshl_add_u32 v26, v26, 3, v31
	s_delay_alu instid0(VALU_DEP_3) | instskip(NEXT) | instid1(VALU_DEP_3)
	v_cndmask_b32_e64 v27, v19, v22, s13
	v_min_u32_e32 v0, v22, v0
	v_cndmask_b32_e64 v5, v22, v5, s13
	v_lshl_add_u32 v19, v20, 3, v31
	s_delay_alu instid0(VALU_DEP_4) | instskip(NEXT) | instid1(VALU_DEP_4)
	v_cmp_lt_u32_e64 s15, v27, v64
	v_lshl_add_u32 v0, v0, 3, v31
	s_delay_alu instid0(VALU_DEP_4)
	v_cmp_ge_u32_e64 s16, v5, v65
	ds_load_b64 v[0:1], v0
	s_wait_dscnt 0x0
	v_cndmask_b32_e64 v81, v1, v69, s13
	v_cndmask_b32_e64 v80, v0, v68, s13
	;; [unrolled: 1-line block ×4, first 2 shown]
	ds_load_b64 v[0:1], v4 offset:16384
	v_lshl_add_u32 v4, v23, 3, v31
	ds_load_b64 v[19:20], v19 offset:16384
	ds_load_b64 v[21:22], v21 offset:16384
	v_cmp_le_i64_e64 s14, v[82:83], v[80:81]
	s_and_b32 s14, s15, s14
	s_wait_alu 0xfffe
	s_or_b32 s14, s16, s14
	s_wait_alu 0xfffe
	v_cndmask_b32_e64 v5, v5, v27, s14
	v_lshl_add_u32 v27, v24, 3, v31
	ds_load_b64 v[23:24], v4 offset:16384
	v_lshl_add_u32 v31, v5, 3, v31
	ds_load_b64 v[27:28], v27 offset:16384
	ds_load_b64 v[38:39], v25 offset:16384
	;; [unrolled: 1-line block ×3, first 2 shown]
	v_cndmask_b32_e64 v26, v16, v18, s8
	v_cndmask_b32_e64 v25, v15, v17, s8
	;; [unrolled: 1-line block ×3, first 2 shown]
	ds_load_b64 v[32:33], v31 offset:16384
	v_cndmask_b32_e64 v17, v54, v66, s12
	v_cndmask_b32_e64 v16, v81, v83, s14
	v_cndmask_b32_e64 v15, v80, v82, s14
.LBB822_224:
	s_wait_alu 0xfffe
	s_or_b32 exec_lo, exec_lo, s18
	; wave barrier
	s_wait_storecnt_dscnt 0x0
	s_barrier_signal -1
	s_barrier_wait -1
.LBB822_225:
	s_wait_alu 0xfffe
	s_or_b32 exec_lo, exec_lo, s17
	v_add_co_u32 v2, s7, v2, v13
	s_wait_alu 0xf1ff
	v_add_co_ci_u32_e64 v3, null, v3, v14, s7
	s_wait_storecnt 0x0
	s_wait_loadcnt_dscnt 0x0
	global_inv scope:SCOPE_SE
	v_add_co_u32 v2, s7, v2, v12
	s_wait_alu 0xf1ff
	v_add_co_ci_u32_e64 v3, null, 0, v3, s7
	; wave barrier
	s_and_saveexec_b32 s7, vcc_lo
	s_cbranch_execnz .LBB822_250
; %bb.226:
	s_wait_alu 0xfffe
	s_or_b32 exec_lo, exec_lo, s7
	s_and_saveexec_b32 s7, s0
	s_cbranch_execnz .LBB822_251
.LBB822_227:
	s_wait_alu 0xfffe
	s_or_b32 exec_lo, exec_lo, s7
	s_and_saveexec_b32 s7, s1
	s_cbranch_execnz .LBB822_252
.LBB822_228:
	s_wait_alu 0xfffe
	s_or_b32 exec_lo, exec_lo, s7
	s_and_saveexec_b32 s7, s2
	s_cbranch_execnz .LBB822_253
.LBB822_229:
	s_wait_alu 0xfffe
	s_or_b32 exec_lo, exec_lo, s7
	s_and_saveexec_b32 s7, s3
	s_cbranch_execnz .LBB822_254
.LBB822_230:
	s_wait_alu 0xfffe
	s_or_b32 exec_lo, exec_lo, s7
	s_and_saveexec_b32 s7, s4
	s_cbranch_execnz .LBB822_255
.LBB822_231:
	s_wait_alu 0xfffe
	s_or_b32 exec_lo, exec_lo, s7
	s_and_saveexec_b32 s7, s5
	s_cbranch_execnz .LBB822_256
.LBB822_232:
	s_wait_alu 0xfffe
	s_or_b32 exec_lo, exec_lo, s7
	s_and_saveexec_b32 s7, s6
	s_cbranch_execz .LBB822_234
.LBB822_233:
	flat_store_b64 v[2:3], v[15:16] offset:56
.LBB822_234:
	s_wait_alu 0xfffe
	s_or_b32 exec_lo, exec_lo, s7
	v_add_co_u32 v2, s7, v6, v13
	s_wait_alu 0xf1ff
	v_add_co_ci_u32_e64 v3, null, v7, v14, s7
	s_delay_alu instid0(VALU_DEP_2) | instskip(SKIP_1) | instid1(VALU_DEP_2)
	v_add_co_u32 v2, s7, v2, v12
	s_wait_alu 0xf1ff
	v_add_co_ci_u32_e64 v3, null, 0, v3, s7
	; wave barrier
	s_and_saveexec_b32 s7, vcc_lo
	s_cbranch_execnz .LBB822_257
; %bb.235:
	s_wait_alu 0xfffe
	s_or_b32 exec_lo, exec_lo, s7
	s_and_saveexec_b32 s7, s0
	s_cbranch_execnz .LBB822_258
.LBB822_236:
	s_wait_alu 0xfffe
	s_or_b32 exec_lo, exec_lo, s7
	s_and_saveexec_b32 s0, s1
	s_cbranch_execnz .LBB822_259
.LBB822_237:
	s_wait_alu 0xfffe
	s_or_b32 exec_lo, exec_lo, s0
	s_and_saveexec_b32 s0, s2
	s_cbranch_execnz .LBB822_260
.LBB822_238:
	s_wait_alu 0xfffe
	s_or_b32 exec_lo, exec_lo, s0
	s_and_saveexec_b32 s0, s3
	s_cbranch_execnz .LBB822_261
.LBB822_239:
	s_wait_alu 0xfffe
	s_or_b32 exec_lo, exec_lo, s0
	s_and_saveexec_b32 s0, s4
	s_cbranch_execnz .LBB822_262
.LBB822_240:
	s_wait_alu 0xfffe
	s_or_b32 exec_lo, exec_lo, s0
	s_and_saveexec_b32 s0, s5
	s_cbranch_execnz .LBB822_263
.LBB822_241:
	s_wait_alu 0xfffe
	s_or_b32 exec_lo, exec_lo, s0
	s_and_saveexec_b32 s0, s6
	s_cbranch_execnz .LBB822_264
.LBB822_242:
	s_wait_alu 0xfffe
	s_or_b32 exec_lo, exec_lo, s0
	s_wait_loadcnt_dscnt 0x0
	s_setpc_b64 s[30:31]
.LBB822_243:
	flat_load_b64 v[0:1], v[50:51]
	s_wait_alu 0xfffe
	s_or_b32 exec_lo, exec_lo, s7
	s_and_saveexec_b32 s7, s0
                                        ; implicit-def: $vgpr19_vgpr20
	s_cbranch_execz .LBB822_18
.LBB822_244:
	flat_load_b64 v[19:20], v[50:51] offset:8
	s_wait_alu 0xfffe
	s_or_b32 exec_lo, exec_lo, s7
                                        ; implicit-def: $vgpr21_vgpr22
	s_and_saveexec_b32 s7, s1
	s_cbranch_execz .LBB822_19
.LBB822_245:
	flat_load_b64 v[21:22], v[50:51] offset:16
	s_wait_alu 0xfffe
	s_or_b32 exec_lo, exec_lo, s7
	s_and_saveexec_b32 s7, s2
                                        ; implicit-def: $vgpr23_vgpr24
	s_cbranch_execz .LBB822_20
.LBB822_246:
	flat_load_b64 v[23:24], v[50:51] offset:24
	s_wait_alu 0xfffe
	s_or_b32 exec_lo, exec_lo, s7
                                        ; implicit-def: $vgpr27_vgpr28
	s_and_saveexec_b32 s7, s3
	s_cbranch_execz .LBB822_21
.LBB822_247:
	flat_load_b64 v[27:28], v[50:51] offset:32
	s_wait_alu 0xfffe
	s_or_b32 exec_lo, exec_lo, s7
	s_and_saveexec_b32 s7, s4
                                        ; implicit-def: $vgpr38_vgpr39
	s_cbranch_execz .LBB822_22
.LBB822_248:
	flat_load_b64 v[38:39], v[50:51] offset:40
	s_wait_alu 0xfffe
	s_or_b32 exec_lo, exec_lo, s7
                                        ; implicit-def: $vgpr4_vgpr5
	s_and_saveexec_b32 s7, s5
	s_cbranch_execz .LBB822_23
.LBB822_249:
	flat_load_b64 v[4:5], v[50:51] offset:48
	s_wait_alu 0xfffe
	s_or_b32 exec_lo, exec_lo, s7
	s_and_saveexec_b32 s7, s6
                                        ; implicit-def: $vgpr32_vgpr33
	s_cbranch_execnz .LBB822_24
	s_branch .LBB822_25
.LBB822_250:
	flat_store_b64 v[2:3], v[8:9]
	s_wait_alu 0xfffe
	s_or_b32 exec_lo, exec_lo, s7
	s_and_saveexec_b32 s7, s0
	s_cbranch_execz .LBB822_227
.LBB822_251:
	flat_store_b64 v[2:3], v[25:26] offset:8
	s_wait_alu 0xfffe
	s_or_b32 exec_lo, exec_lo, s7
	s_and_saveexec_b32 s7, s1
	s_cbranch_execz .LBB822_228
.LBB822_252:
	flat_store_b64 v[2:3], v[29:30] offset:16
	s_wait_alu 0xfffe
	s_or_b32 exec_lo, exec_lo, s7
	s_and_saveexec_b32 s7, s2
	s_cbranch_execz .LBB822_229
.LBB822_253:
	flat_store_b64 v[2:3], v[36:37] offset:24
	s_wait_alu 0xfffe
	s_or_b32 exec_lo, exec_lo, s7
	s_and_saveexec_b32 s7, s3
	s_cbranch_execz .LBB822_230
.LBB822_254:
	flat_store_b64 v[2:3], v[34:35] offset:32
	s_wait_alu 0xfffe
	s_or_b32 exec_lo, exec_lo, s7
	s_and_saveexec_b32 s7, s4
	s_cbranch_execz .LBB822_231
.LBB822_255:
	flat_store_b64 v[2:3], v[17:18] offset:40
	s_wait_alu 0xfffe
	s_or_b32 exec_lo, exec_lo, s7
	s_and_saveexec_b32 s7, s5
	s_cbranch_execz .LBB822_232
.LBB822_256:
	flat_store_b64 v[2:3], v[48:49] offset:48
	s_wait_alu 0xfffe
	s_or_b32 exec_lo, exec_lo, s7
	s_and_saveexec_b32 s7, s6
	s_cbranch_execnz .LBB822_233
	s_branch .LBB822_234
.LBB822_257:
	flat_store_b64 v[2:3], v[0:1]
	s_wait_alu 0xfffe
	s_or_b32 exec_lo, exec_lo, s7
	s_and_saveexec_b32 s7, s0
	s_cbranch_execz .LBB822_236
.LBB822_258:
	flat_store_b64 v[2:3], v[19:20] offset:8
	s_wait_alu 0xfffe
	s_or_b32 exec_lo, exec_lo, s7
	s_and_saveexec_b32 s0, s1
	s_cbranch_execz .LBB822_237
.LBB822_259:
	flat_store_b64 v[2:3], v[21:22] offset:16
	s_wait_alu 0xfffe
	s_or_b32 exec_lo, exec_lo, s0
	s_and_saveexec_b32 s0, s2
	s_cbranch_execz .LBB822_238
.LBB822_260:
	flat_store_b64 v[2:3], v[23:24] offset:24
	s_wait_alu 0xfffe
	s_or_b32 exec_lo, exec_lo, s0
	s_and_saveexec_b32 s0, s3
	s_cbranch_execz .LBB822_239
.LBB822_261:
	flat_store_b64 v[2:3], v[27:28] offset:32
	s_wait_alu 0xfffe
	s_or_b32 exec_lo, exec_lo, s0
	s_and_saveexec_b32 s0, s4
	s_cbranch_execz .LBB822_240
.LBB822_262:
	flat_store_b64 v[2:3], v[38:39] offset:40
	s_wait_alu 0xfffe
	s_or_b32 exec_lo, exec_lo, s0
	s_and_saveexec_b32 s0, s5
	s_cbranch_execz .LBB822_241
.LBB822_263:
	flat_store_b64 v[2:3], v[4:5] offset:48
	s_wait_alu 0xfffe
	s_or_b32 exec_lo, exec_lo, s0
	s_and_saveexec_b32 s0, s6
	s_cbranch_execz .LBB822_242
.LBB822_264:
	flat_store_b64 v[2:3], v[32:33] offset:56
	s_wait_alu 0xfffe
	s_or_b32 exec_lo, exec_lo, s0
	s_wait_loadcnt_dscnt 0x0
	s_setpc_b64 s[30:31]
.Lfunc_end822:
	.size	_ZN7rocprim17ROCPRIM_400000_NS6detail26segmented_warp_sort_helperINS1_20WarpSortHelperConfigILj16ELj8ELj256EEEllLi256ELb0EvE4sortIPKlPlS8_S9_EEvT_T0_T1_T2_jjjjRNS5_12storage_typeE, .Lfunc_end822-_ZN7rocprim17ROCPRIM_400000_NS6detail26segmented_warp_sort_helperINS1_20WarpSortHelperConfigILj16ELj8ELj256EEEllLi256ELb0EvE4sortIPKlPlS8_S9_EEvT_T0_T1_T2_jjjjRNS5_12storage_typeE
                                        ; -- End function
	.set .L_ZN7rocprim17ROCPRIM_400000_NS6detail26segmented_warp_sort_helperINS1_20WarpSortHelperConfigILj16ELj8ELj256EEEllLi256ELb0EvE4sortIPKlPlS8_S9_EEvT_T0_T1_T2_jjjjRNS5_12storage_typeE.num_vgpr, 103
	.set .L_ZN7rocprim17ROCPRIM_400000_NS6detail26segmented_warp_sort_helperINS1_20WarpSortHelperConfigILj16ELj8ELj256EEEllLi256ELb0EvE4sortIPKlPlS8_S9_EEvT_T0_T1_T2_jjjjRNS5_12storage_typeE.num_agpr, 0
	.set .L_ZN7rocprim17ROCPRIM_400000_NS6detail26segmented_warp_sort_helperINS1_20WarpSortHelperConfigILj16ELj8ELj256EEEllLi256ELb0EvE4sortIPKlPlS8_S9_EEvT_T0_T1_T2_jjjjRNS5_12storage_typeE.numbered_sgpr, 32
	.set .L_ZN7rocprim17ROCPRIM_400000_NS6detail26segmented_warp_sort_helperINS1_20WarpSortHelperConfigILj16ELj8ELj256EEEllLi256ELb0EvE4sortIPKlPlS8_S9_EEvT_T0_T1_T2_jjjjRNS5_12storage_typeE.num_named_barrier, 0
	.set .L_ZN7rocprim17ROCPRIM_400000_NS6detail26segmented_warp_sort_helperINS1_20WarpSortHelperConfigILj16ELj8ELj256EEEllLi256ELb0EvE4sortIPKlPlS8_S9_EEvT_T0_T1_T2_jjjjRNS5_12storage_typeE.private_seg_size, 0
	.set .L_ZN7rocprim17ROCPRIM_400000_NS6detail26segmented_warp_sort_helperINS1_20WarpSortHelperConfigILj16ELj8ELj256EEEllLi256ELb0EvE4sortIPKlPlS8_S9_EEvT_T0_T1_T2_jjjjRNS5_12storage_typeE.uses_vcc, 1
	.set .L_ZN7rocprim17ROCPRIM_400000_NS6detail26segmented_warp_sort_helperINS1_20WarpSortHelperConfigILj16ELj8ELj256EEEllLi256ELb0EvE4sortIPKlPlS8_S9_EEvT_T0_T1_T2_jjjjRNS5_12storage_typeE.uses_flat_scratch, 0
	.set .L_ZN7rocprim17ROCPRIM_400000_NS6detail26segmented_warp_sort_helperINS1_20WarpSortHelperConfigILj16ELj8ELj256EEEllLi256ELb0EvE4sortIPKlPlS8_S9_EEvT_T0_T1_T2_jjjjRNS5_12storage_typeE.has_dyn_sized_stack, 0
	.set .L_ZN7rocprim17ROCPRIM_400000_NS6detail26segmented_warp_sort_helperINS1_20WarpSortHelperConfigILj16ELj8ELj256EEEllLi256ELb0EvE4sortIPKlPlS8_S9_EEvT_T0_T1_T2_jjjjRNS5_12storage_typeE.has_recursion, 0
	.set .L_ZN7rocprim17ROCPRIM_400000_NS6detail26segmented_warp_sort_helperINS1_20WarpSortHelperConfigILj16ELj8ELj256EEEllLi256ELb0EvE4sortIPKlPlS8_S9_EEvT_T0_T1_T2_jjjjRNS5_12storage_typeE.has_indirect_call, 0
	.section	.AMDGPU.csdata,"",@progbits
; Function info:
; codeLenInByte = 22164
; TotalNumSgprs: 34
; NumVgprs: 103
; ScratchSize: 0
; MemoryBound: 0
	.section	.text._ZN7rocprim17ROCPRIM_400000_NS6detail17trampoline_kernelINS0_14default_configENS1_36segmented_radix_sort_config_selectorIllEEZNS1_25segmented_radix_sort_implIS3_Lb0EPKlPlS8_S9_N2at6native12_GLOBAL__N_18offset_tEEE10hipError_tPvRmT1_PNSt15iterator_traitsISH_E10value_typeET2_T3_PNSI_ISN_E10value_typeET4_jRbjT5_ST_jjP12ihipStream_tbEUlT_E0_NS1_11comp_targetILNS1_3genE10ELNS1_11target_archE1201ELNS1_3gpuE5ELNS1_3repE0EEENS1_60segmented_radix_sort_warp_sort_medium_config_static_selectorELNS0_4arch9wavefront6targetE0EEEvSH_,"axG",@progbits,_ZN7rocprim17ROCPRIM_400000_NS6detail17trampoline_kernelINS0_14default_configENS1_36segmented_radix_sort_config_selectorIllEEZNS1_25segmented_radix_sort_implIS3_Lb0EPKlPlS8_S9_N2at6native12_GLOBAL__N_18offset_tEEE10hipError_tPvRmT1_PNSt15iterator_traitsISH_E10value_typeET2_T3_PNSI_ISN_E10value_typeET4_jRbjT5_ST_jjP12ihipStream_tbEUlT_E0_NS1_11comp_targetILNS1_3genE10ELNS1_11target_archE1201ELNS1_3gpuE5ELNS1_3repE0EEENS1_60segmented_radix_sort_warp_sort_medium_config_static_selectorELNS0_4arch9wavefront6targetE0EEEvSH_,comdat
	.globl	_ZN7rocprim17ROCPRIM_400000_NS6detail17trampoline_kernelINS0_14default_configENS1_36segmented_radix_sort_config_selectorIllEEZNS1_25segmented_radix_sort_implIS3_Lb0EPKlPlS8_S9_N2at6native12_GLOBAL__N_18offset_tEEE10hipError_tPvRmT1_PNSt15iterator_traitsISH_E10value_typeET2_T3_PNSI_ISN_E10value_typeET4_jRbjT5_ST_jjP12ihipStream_tbEUlT_E0_NS1_11comp_targetILNS1_3genE10ELNS1_11target_archE1201ELNS1_3gpuE5ELNS1_3repE0EEENS1_60segmented_radix_sort_warp_sort_medium_config_static_selectorELNS0_4arch9wavefront6targetE0EEEvSH_ ; -- Begin function _ZN7rocprim17ROCPRIM_400000_NS6detail17trampoline_kernelINS0_14default_configENS1_36segmented_radix_sort_config_selectorIllEEZNS1_25segmented_radix_sort_implIS3_Lb0EPKlPlS8_S9_N2at6native12_GLOBAL__N_18offset_tEEE10hipError_tPvRmT1_PNSt15iterator_traitsISH_E10value_typeET2_T3_PNSI_ISN_E10value_typeET4_jRbjT5_ST_jjP12ihipStream_tbEUlT_E0_NS1_11comp_targetILNS1_3genE10ELNS1_11target_archE1201ELNS1_3gpuE5ELNS1_3repE0EEENS1_60segmented_radix_sort_warp_sort_medium_config_static_selectorELNS0_4arch9wavefront6targetE0EEEvSH_
	.p2align	8
	.type	_ZN7rocprim17ROCPRIM_400000_NS6detail17trampoline_kernelINS0_14default_configENS1_36segmented_radix_sort_config_selectorIllEEZNS1_25segmented_radix_sort_implIS3_Lb0EPKlPlS8_S9_N2at6native12_GLOBAL__N_18offset_tEEE10hipError_tPvRmT1_PNSt15iterator_traitsISH_E10value_typeET2_T3_PNSI_ISN_E10value_typeET4_jRbjT5_ST_jjP12ihipStream_tbEUlT_E0_NS1_11comp_targetILNS1_3genE10ELNS1_11target_archE1201ELNS1_3gpuE5ELNS1_3repE0EEENS1_60segmented_radix_sort_warp_sort_medium_config_static_selectorELNS0_4arch9wavefront6targetE0EEEvSH_,@function
_ZN7rocprim17ROCPRIM_400000_NS6detail17trampoline_kernelINS0_14default_configENS1_36segmented_radix_sort_config_selectorIllEEZNS1_25segmented_radix_sort_implIS3_Lb0EPKlPlS8_S9_N2at6native12_GLOBAL__N_18offset_tEEE10hipError_tPvRmT1_PNSt15iterator_traitsISH_E10value_typeET2_T3_PNSI_ISN_E10value_typeET4_jRbjT5_ST_jjP12ihipStream_tbEUlT_E0_NS1_11comp_targetILNS1_3genE10ELNS1_11target_archE1201ELNS1_3gpuE5ELNS1_3repE0EEENS1_60segmented_radix_sort_warp_sort_medium_config_static_selectorELNS0_4arch9wavefront6targetE0EEEvSH_: ; @_ZN7rocprim17ROCPRIM_400000_NS6detail17trampoline_kernelINS0_14default_configENS1_36segmented_radix_sort_config_selectorIllEEZNS1_25segmented_radix_sort_implIS3_Lb0EPKlPlS8_S9_N2at6native12_GLOBAL__N_18offset_tEEE10hipError_tPvRmT1_PNSt15iterator_traitsISH_E10value_typeET2_T3_PNSI_ISN_E10value_typeET4_jRbjT5_ST_jjP12ihipStream_tbEUlT_E0_NS1_11comp_targetILNS1_3genE10ELNS1_11target_archE1201ELNS1_3gpuE5ELNS1_3repE0EEENS1_60segmented_radix_sort_warp_sort_medium_config_static_selectorELNS0_4arch9wavefront6targetE0EEEvSH_
; %bb.0:
	s_load_b32 s2, s[0:1], 0x64
	v_bfe_u32 v1, v0, 10, 10
	v_bfe_u32 v2, v0, 20, 10
	s_mov_b32 s32, 0
	s_wait_kmcnt 0x0
	s_lshr_b32 s3, s2, 16
	s_and_b32 s2, s2, 0xffff
	v_mad_u32_u24 v2, v2, s3, v1
	v_and_b32_e32 v1, 0x3ff, v0
	s_load_b32 s3, s[0:1], 0x34
	s_delay_alu instid0(VALU_DEP_1) | instskip(SKIP_2) | instid1(VALU_DEP_1)
	v_mad_co_u64_u32 v[1:2], null, v2, s2, v[1:2]
	s_mov_b32 s2, exec_lo
	v_lshrrev_b32_e32 v1, 4, v1
	v_lshl_add_u32 v1, ttmp9, 4, v1
	s_wait_kmcnt 0x0
	s_delay_alu instid0(VALU_DEP_1)
	v_cmpx_gt_u32_e64 s3, v1
	s_cbranch_execz .LBB823_6
; %bb.1:
	s_clause 0x1
	s_load_b64 s[2:3], s[0:1], 0x38
	s_load_b128 s[4:7], s[0:1], 0x40
	v_mov_b32_e32 v2, 0
	s_delay_alu instid0(VALU_DEP_1) | instskip(SKIP_1) | instid1(VALU_DEP_1)
	v_lshlrev_b64_e32 v[1:2], 2, v[1:2]
	s_wait_kmcnt 0x0
	v_add_co_u32 v1, vcc_lo, s2, v1
	s_delay_alu instid0(VALU_DEP_1) | instskip(SKIP_4) | instid1(VALU_DEP_2)
	v_add_co_ci_u32_e64 v2, null, s3, v2, vcc_lo
	global_load_b32 v1, v[1:2], off
	s_wait_loadcnt 0x0
	v_add_nc_u32_e32 v2, s5, v1
	v_add_nc_u32_e32 v1, s7, v1
	v_mul_lo_u32 v40, v2, s4
	s_delay_alu instid0(VALU_DEP_2) | instskip(NEXT) | instid1(VALU_DEP_1)
	v_mul_lo_u32 v41, v1, s6
	v_cmp_gt_u32_e32 vcc_lo, v41, v40
	s_and_b32 exec_lo, exec_lo, vcc_lo
	s_cbranch_execz .LBB823_6
; %bb.2:
	s_clause 0x3
	s_load_b32 s2, s[0:1], 0x30
	s_load_b128 s[24:27], s[0:1], 0x20
	s_load_b256 s[36:43], s[0:1], 0x0
	s_load_b64 s[28:29], s[0:1], 0x50
	s_add_nc_u64 s[22:23], s[0:1], 0x58
	s_wait_kmcnt 0x0
	s_bitcmp0_b32 s2, 0
	s_mov_b32 s2, -1
	s_cbranch_scc0 .LBB823_4
; %bb.3:
	v_dual_mov_b32 v31, v0 :: v_dual_mov_b32 v42, v0
	v_dual_mov_b32 v0, s36 :: v_dual_mov_b32 v1, s37
	;; [unrolled: 1-line block ×7, first 2 shown]
	s_getpc_b64 s[0:1]
	s_wait_alu 0xfffe
	s_sext_i32_i16 s1, s1
	s_add_co_u32 s0, s0, _ZN7rocprim17ROCPRIM_400000_NS6detail26segmented_warp_sort_helperINS1_20WarpSortHelperConfigILj16ELj8ELj256EEEllLi256ELb0EvE4sortIPKlPlS8_S9_EEvT_T0_T1_T2_jjjjRNS5_12storage_typeE@rel32@lo+12
	s_wait_alu 0xfffe
	s_add_co_ci_u32 s1, s1, _ZN7rocprim17ROCPRIM_400000_NS6detail26segmented_warp_sort_helperINS1_20WarpSortHelperConfigILj16ELj8ELj256EEEllLi256ELb0EvE4sortIPKlPlS8_S9_EEvT_T0_T1_T2_jjjjRNS5_12storage_typeE@rel32@hi+24
	s_mov_b64 s[8:9], s[22:23]
	s_wait_alu 0xfffe
	s_swappc_b64 s[30:31], s[0:1]
	v_mov_b32_e32 v0, v42
	s_mov_b32 s2, 0
.LBB823_4:
	s_wait_alu 0xfffe
	s_and_not1_b32 vcc_lo, exec_lo, s2
	s_wait_alu 0xfffe
	s_cbranch_vccnz .LBB823_6
; %bb.5:
	v_dual_mov_b32 v31, v0 :: v_dual_mov_b32 v0, s36
	v_dual_mov_b32 v1, s37 :: v_dual_mov_b32 v2, s40
	;; [unrolled: 1-line block ×6, first 2 shown]
	v_mov_b32_e32 v11, s29
	s_getpc_b64 s[0:1]
	s_wait_alu 0xfffe
	s_sext_i32_i16 s1, s1
	s_add_co_u32 s0, s0, _ZN7rocprim17ROCPRIM_400000_NS6detail26segmented_warp_sort_helperINS1_20WarpSortHelperConfigILj16ELj8ELj256EEEllLi256ELb0EvE4sortIPKlPlS8_S9_EEvT_T0_T1_T2_jjjjRNS5_12storage_typeE@rel32@lo+12
	s_wait_alu 0xfffe
	s_add_co_ci_u32 s1, s1, _ZN7rocprim17ROCPRIM_400000_NS6detail26segmented_warp_sort_helperINS1_20WarpSortHelperConfigILj16ELj8ELj256EEEllLi256ELb0EvE4sortIPKlPlS8_S9_EEvT_T0_T1_T2_jjjjRNS5_12storage_typeE@rel32@hi+24
	s_mov_b64 s[8:9], s[22:23]
	s_wait_alu 0xfffe
	s_swappc_b64 s[30:31], s[0:1]
.LBB823_6:
	s_endpgm
	.section	.rodata,"a",@progbits
	.p2align	6, 0x0
	.amdhsa_kernel _ZN7rocprim17ROCPRIM_400000_NS6detail17trampoline_kernelINS0_14default_configENS1_36segmented_radix_sort_config_selectorIllEEZNS1_25segmented_radix_sort_implIS3_Lb0EPKlPlS8_S9_N2at6native12_GLOBAL__N_18offset_tEEE10hipError_tPvRmT1_PNSt15iterator_traitsISH_E10value_typeET2_T3_PNSI_ISN_E10value_typeET4_jRbjT5_ST_jjP12ihipStream_tbEUlT_E0_NS1_11comp_targetILNS1_3genE10ELNS1_11target_archE1201ELNS1_3gpuE5ELNS1_3repE0EEENS1_60segmented_radix_sort_warp_sort_medium_config_static_selectorELNS0_4arch9wavefront6targetE0EEEvSH_
		.amdhsa_group_segment_fixed_size 32768
		.amdhsa_private_segment_fixed_size 0
		.amdhsa_kernarg_size 344
		.amdhsa_user_sgpr_count 2
		.amdhsa_user_sgpr_dispatch_ptr 0
		.amdhsa_user_sgpr_queue_ptr 0
		.amdhsa_user_sgpr_kernarg_segment_ptr 1
		.amdhsa_user_sgpr_dispatch_id 0
		.amdhsa_user_sgpr_private_segment_size 0
		.amdhsa_wavefront_size32 1
		.amdhsa_uses_dynamic_stack 0
		.amdhsa_enable_private_segment 0
		.amdhsa_system_sgpr_workgroup_id_x 1
		.amdhsa_system_sgpr_workgroup_id_y 1
		.amdhsa_system_sgpr_workgroup_id_z 0
		.amdhsa_system_sgpr_workgroup_info 0
		.amdhsa_system_vgpr_workitem_id 2
		.amdhsa_next_free_vgpr 169
		.amdhsa_next_free_sgpr 44
		.amdhsa_reserve_vcc 1
		.amdhsa_float_round_mode_32 0
		.amdhsa_float_round_mode_16_64 0
		.amdhsa_float_denorm_mode_32 3
		.amdhsa_float_denorm_mode_16_64 3
		.amdhsa_fp16_overflow 0
		.amdhsa_workgroup_processor_mode 1
		.amdhsa_memory_ordered 1
		.amdhsa_forward_progress 1
		.amdhsa_inst_pref_size 4
		.amdhsa_round_robin_scheduling 0
		.amdhsa_exception_fp_ieee_invalid_op 0
		.amdhsa_exception_fp_denorm_src 0
		.amdhsa_exception_fp_ieee_div_zero 0
		.amdhsa_exception_fp_ieee_overflow 0
		.amdhsa_exception_fp_ieee_underflow 0
		.amdhsa_exception_fp_ieee_inexact 0
		.amdhsa_exception_int_div_zero 0
	.end_amdhsa_kernel
	.section	.text._ZN7rocprim17ROCPRIM_400000_NS6detail17trampoline_kernelINS0_14default_configENS1_36segmented_radix_sort_config_selectorIllEEZNS1_25segmented_radix_sort_implIS3_Lb0EPKlPlS8_S9_N2at6native12_GLOBAL__N_18offset_tEEE10hipError_tPvRmT1_PNSt15iterator_traitsISH_E10value_typeET2_T3_PNSI_ISN_E10value_typeET4_jRbjT5_ST_jjP12ihipStream_tbEUlT_E0_NS1_11comp_targetILNS1_3genE10ELNS1_11target_archE1201ELNS1_3gpuE5ELNS1_3repE0EEENS1_60segmented_radix_sort_warp_sort_medium_config_static_selectorELNS0_4arch9wavefront6targetE0EEEvSH_,"axG",@progbits,_ZN7rocprim17ROCPRIM_400000_NS6detail17trampoline_kernelINS0_14default_configENS1_36segmented_radix_sort_config_selectorIllEEZNS1_25segmented_radix_sort_implIS3_Lb0EPKlPlS8_S9_N2at6native12_GLOBAL__N_18offset_tEEE10hipError_tPvRmT1_PNSt15iterator_traitsISH_E10value_typeET2_T3_PNSI_ISN_E10value_typeET4_jRbjT5_ST_jjP12ihipStream_tbEUlT_E0_NS1_11comp_targetILNS1_3genE10ELNS1_11target_archE1201ELNS1_3gpuE5ELNS1_3repE0EEENS1_60segmented_radix_sort_warp_sort_medium_config_static_selectorELNS0_4arch9wavefront6targetE0EEEvSH_,comdat
.Lfunc_end823:
	.size	_ZN7rocprim17ROCPRIM_400000_NS6detail17trampoline_kernelINS0_14default_configENS1_36segmented_radix_sort_config_selectorIllEEZNS1_25segmented_radix_sort_implIS3_Lb0EPKlPlS8_S9_N2at6native12_GLOBAL__N_18offset_tEEE10hipError_tPvRmT1_PNSt15iterator_traitsISH_E10value_typeET2_T3_PNSI_ISN_E10value_typeET4_jRbjT5_ST_jjP12ihipStream_tbEUlT_E0_NS1_11comp_targetILNS1_3genE10ELNS1_11target_archE1201ELNS1_3gpuE5ELNS1_3repE0EEENS1_60segmented_radix_sort_warp_sort_medium_config_static_selectorELNS0_4arch9wavefront6targetE0EEEvSH_, .Lfunc_end823-_ZN7rocprim17ROCPRIM_400000_NS6detail17trampoline_kernelINS0_14default_configENS1_36segmented_radix_sort_config_selectorIllEEZNS1_25segmented_radix_sort_implIS3_Lb0EPKlPlS8_S9_N2at6native12_GLOBAL__N_18offset_tEEE10hipError_tPvRmT1_PNSt15iterator_traitsISH_E10value_typeET2_T3_PNSI_ISN_E10value_typeET4_jRbjT5_ST_jjP12ihipStream_tbEUlT_E0_NS1_11comp_targetILNS1_3genE10ELNS1_11target_archE1201ELNS1_3gpuE5ELNS1_3repE0EEENS1_60segmented_radix_sort_warp_sort_medium_config_static_selectorELNS0_4arch9wavefront6targetE0EEEvSH_
                                        ; -- End function
	.set _ZN7rocprim17ROCPRIM_400000_NS6detail17trampoline_kernelINS0_14default_configENS1_36segmented_radix_sort_config_selectorIllEEZNS1_25segmented_radix_sort_implIS3_Lb0EPKlPlS8_S9_N2at6native12_GLOBAL__N_18offset_tEEE10hipError_tPvRmT1_PNSt15iterator_traitsISH_E10value_typeET2_T3_PNSI_ISN_E10value_typeET4_jRbjT5_ST_jjP12ihipStream_tbEUlT_E0_NS1_11comp_targetILNS1_3genE10ELNS1_11target_archE1201ELNS1_3gpuE5ELNS1_3repE0EEENS1_60segmented_radix_sort_warp_sort_medium_config_static_selectorELNS0_4arch9wavefront6targetE0EEEvSH_.num_vgpr, max(43, .L_ZN7rocprim17ROCPRIM_400000_NS6detail26segmented_warp_sort_helperINS1_20WarpSortHelperConfigILj16ELj8ELj256EEEllLi256ELb0EvE4sortIPKlPlS8_S9_EEvT_T0_T1_T2_jjjjRNS5_12storage_typeE.num_vgpr)
	.set _ZN7rocprim17ROCPRIM_400000_NS6detail17trampoline_kernelINS0_14default_configENS1_36segmented_radix_sort_config_selectorIllEEZNS1_25segmented_radix_sort_implIS3_Lb0EPKlPlS8_S9_N2at6native12_GLOBAL__N_18offset_tEEE10hipError_tPvRmT1_PNSt15iterator_traitsISH_E10value_typeET2_T3_PNSI_ISN_E10value_typeET4_jRbjT5_ST_jjP12ihipStream_tbEUlT_E0_NS1_11comp_targetILNS1_3genE10ELNS1_11target_archE1201ELNS1_3gpuE5ELNS1_3repE0EEENS1_60segmented_radix_sort_warp_sort_medium_config_static_selectorELNS0_4arch9wavefront6targetE0EEEvSH_.num_agpr, max(0, .L_ZN7rocprim17ROCPRIM_400000_NS6detail26segmented_warp_sort_helperINS1_20WarpSortHelperConfigILj16ELj8ELj256EEEllLi256ELb0EvE4sortIPKlPlS8_S9_EEvT_T0_T1_T2_jjjjRNS5_12storage_typeE.num_agpr)
	.set _ZN7rocprim17ROCPRIM_400000_NS6detail17trampoline_kernelINS0_14default_configENS1_36segmented_radix_sort_config_selectorIllEEZNS1_25segmented_radix_sort_implIS3_Lb0EPKlPlS8_S9_N2at6native12_GLOBAL__N_18offset_tEEE10hipError_tPvRmT1_PNSt15iterator_traitsISH_E10value_typeET2_T3_PNSI_ISN_E10value_typeET4_jRbjT5_ST_jjP12ihipStream_tbEUlT_E0_NS1_11comp_targetILNS1_3genE10ELNS1_11target_archE1201ELNS1_3gpuE5ELNS1_3repE0EEENS1_60segmented_radix_sort_warp_sort_medium_config_static_selectorELNS0_4arch9wavefront6targetE0EEEvSH_.numbered_sgpr, max(44, .L_ZN7rocprim17ROCPRIM_400000_NS6detail26segmented_warp_sort_helperINS1_20WarpSortHelperConfigILj16ELj8ELj256EEEllLi256ELb0EvE4sortIPKlPlS8_S9_EEvT_T0_T1_T2_jjjjRNS5_12storage_typeE.numbered_sgpr)
	.set _ZN7rocprim17ROCPRIM_400000_NS6detail17trampoline_kernelINS0_14default_configENS1_36segmented_radix_sort_config_selectorIllEEZNS1_25segmented_radix_sort_implIS3_Lb0EPKlPlS8_S9_N2at6native12_GLOBAL__N_18offset_tEEE10hipError_tPvRmT1_PNSt15iterator_traitsISH_E10value_typeET2_T3_PNSI_ISN_E10value_typeET4_jRbjT5_ST_jjP12ihipStream_tbEUlT_E0_NS1_11comp_targetILNS1_3genE10ELNS1_11target_archE1201ELNS1_3gpuE5ELNS1_3repE0EEENS1_60segmented_radix_sort_warp_sort_medium_config_static_selectorELNS0_4arch9wavefront6targetE0EEEvSH_.num_named_barrier, max(0, .L_ZN7rocprim17ROCPRIM_400000_NS6detail26segmented_warp_sort_helperINS1_20WarpSortHelperConfigILj16ELj8ELj256EEEllLi256ELb0EvE4sortIPKlPlS8_S9_EEvT_T0_T1_T2_jjjjRNS5_12storage_typeE.num_named_barrier)
	.set _ZN7rocprim17ROCPRIM_400000_NS6detail17trampoline_kernelINS0_14default_configENS1_36segmented_radix_sort_config_selectorIllEEZNS1_25segmented_radix_sort_implIS3_Lb0EPKlPlS8_S9_N2at6native12_GLOBAL__N_18offset_tEEE10hipError_tPvRmT1_PNSt15iterator_traitsISH_E10value_typeET2_T3_PNSI_ISN_E10value_typeET4_jRbjT5_ST_jjP12ihipStream_tbEUlT_E0_NS1_11comp_targetILNS1_3genE10ELNS1_11target_archE1201ELNS1_3gpuE5ELNS1_3repE0EEENS1_60segmented_radix_sort_warp_sort_medium_config_static_selectorELNS0_4arch9wavefront6targetE0EEEvSH_.private_seg_size, 0+max(.L_ZN7rocprim17ROCPRIM_400000_NS6detail26segmented_warp_sort_helperINS1_20WarpSortHelperConfigILj16ELj8ELj256EEEllLi256ELb0EvE4sortIPKlPlS8_S9_EEvT_T0_T1_T2_jjjjRNS5_12storage_typeE.private_seg_size)
	.set _ZN7rocprim17ROCPRIM_400000_NS6detail17trampoline_kernelINS0_14default_configENS1_36segmented_radix_sort_config_selectorIllEEZNS1_25segmented_radix_sort_implIS3_Lb0EPKlPlS8_S9_N2at6native12_GLOBAL__N_18offset_tEEE10hipError_tPvRmT1_PNSt15iterator_traitsISH_E10value_typeET2_T3_PNSI_ISN_E10value_typeET4_jRbjT5_ST_jjP12ihipStream_tbEUlT_E0_NS1_11comp_targetILNS1_3genE10ELNS1_11target_archE1201ELNS1_3gpuE5ELNS1_3repE0EEENS1_60segmented_radix_sort_warp_sort_medium_config_static_selectorELNS0_4arch9wavefront6targetE0EEEvSH_.uses_vcc, or(1, .L_ZN7rocprim17ROCPRIM_400000_NS6detail26segmented_warp_sort_helperINS1_20WarpSortHelperConfigILj16ELj8ELj256EEEllLi256ELb0EvE4sortIPKlPlS8_S9_EEvT_T0_T1_T2_jjjjRNS5_12storage_typeE.uses_vcc)
	.set _ZN7rocprim17ROCPRIM_400000_NS6detail17trampoline_kernelINS0_14default_configENS1_36segmented_radix_sort_config_selectorIllEEZNS1_25segmented_radix_sort_implIS3_Lb0EPKlPlS8_S9_N2at6native12_GLOBAL__N_18offset_tEEE10hipError_tPvRmT1_PNSt15iterator_traitsISH_E10value_typeET2_T3_PNSI_ISN_E10value_typeET4_jRbjT5_ST_jjP12ihipStream_tbEUlT_E0_NS1_11comp_targetILNS1_3genE10ELNS1_11target_archE1201ELNS1_3gpuE5ELNS1_3repE0EEENS1_60segmented_radix_sort_warp_sort_medium_config_static_selectorELNS0_4arch9wavefront6targetE0EEEvSH_.uses_flat_scratch, or(0, .L_ZN7rocprim17ROCPRIM_400000_NS6detail26segmented_warp_sort_helperINS1_20WarpSortHelperConfigILj16ELj8ELj256EEEllLi256ELb0EvE4sortIPKlPlS8_S9_EEvT_T0_T1_T2_jjjjRNS5_12storage_typeE.uses_flat_scratch)
	.set _ZN7rocprim17ROCPRIM_400000_NS6detail17trampoline_kernelINS0_14default_configENS1_36segmented_radix_sort_config_selectorIllEEZNS1_25segmented_radix_sort_implIS3_Lb0EPKlPlS8_S9_N2at6native12_GLOBAL__N_18offset_tEEE10hipError_tPvRmT1_PNSt15iterator_traitsISH_E10value_typeET2_T3_PNSI_ISN_E10value_typeET4_jRbjT5_ST_jjP12ihipStream_tbEUlT_E0_NS1_11comp_targetILNS1_3genE10ELNS1_11target_archE1201ELNS1_3gpuE5ELNS1_3repE0EEENS1_60segmented_radix_sort_warp_sort_medium_config_static_selectorELNS0_4arch9wavefront6targetE0EEEvSH_.has_dyn_sized_stack, or(0, .L_ZN7rocprim17ROCPRIM_400000_NS6detail26segmented_warp_sort_helperINS1_20WarpSortHelperConfigILj16ELj8ELj256EEEllLi256ELb0EvE4sortIPKlPlS8_S9_EEvT_T0_T1_T2_jjjjRNS5_12storage_typeE.has_dyn_sized_stack)
	.set _ZN7rocprim17ROCPRIM_400000_NS6detail17trampoline_kernelINS0_14default_configENS1_36segmented_radix_sort_config_selectorIllEEZNS1_25segmented_radix_sort_implIS3_Lb0EPKlPlS8_S9_N2at6native12_GLOBAL__N_18offset_tEEE10hipError_tPvRmT1_PNSt15iterator_traitsISH_E10value_typeET2_T3_PNSI_ISN_E10value_typeET4_jRbjT5_ST_jjP12ihipStream_tbEUlT_E0_NS1_11comp_targetILNS1_3genE10ELNS1_11target_archE1201ELNS1_3gpuE5ELNS1_3repE0EEENS1_60segmented_radix_sort_warp_sort_medium_config_static_selectorELNS0_4arch9wavefront6targetE0EEEvSH_.has_recursion, or(0, .L_ZN7rocprim17ROCPRIM_400000_NS6detail26segmented_warp_sort_helperINS1_20WarpSortHelperConfigILj16ELj8ELj256EEEllLi256ELb0EvE4sortIPKlPlS8_S9_EEvT_T0_T1_T2_jjjjRNS5_12storage_typeE.has_recursion)
	.set _ZN7rocprim17ROCPRIM_400000_NS6detail17trampoline_kernelINS0_14default_configENS1_36segmented_radix_sort_config_selectorIllEEZNS1_25segmented_radix_sort_implIS3_Lb0EPKlPlS8_S9_N2at6native12_GLOBAL__N_18offset_tEEE10hipError_tPvRmT1_PNSt15iterator_traitsISH_E10value_typeET2_T3_PNSI_ISN_E10value_typeET4_jRbjT5_ST_jjP12ihipStream_tbEUlT_E0_NS1_11comp_targetILNS1_3genE10ELNS1_11target_archE1201ELNS1_3gpuE5ELNS1_3repE0EEENS1_60segmented_radix_sort_warp_sort_medium_config_static_selectorELNS0_4arch9wavefront6targetE0EEEvSH_.has_indirect_call, or(0, .L_ZN7rocprim17ROCPRIM_400000_NS6detail26segmented_warp_sort_helperINS1_20WarpSortHelperConfigILj16ELj8ELj256EEEllLi256ELb0EvE4sortIPKlPlS8_S9_EEvT_T0_T1_T2_jjjjRNS5_12storage_typeE.has_indirect_call)
	.section	.AMDGPU.csdata,"",@progbits
; Kernel info:
; codeLenInByte = 512
; TotalNumSgprs: 46
; NumVgprs: 103
; ScratchSize: 0
; MemoryBound: 0
; FloatMode: 240
; IeeeMode: 1
; LDSByteSize: 32768 bytes/workgroup (compile time only)
; SGPRBlocks: 0
; VGPRBlocks: 21
; NumSGPRsForWavesPerEU: 46
; NumVGPRsForWavesPerEU: 169
; Occupancy: 8
; WaveLimiterHint : 0
; COMPUTE_PGM_RSRC2:SCRATCH_EN: 0
; COMPUTE_PGM_RSRC2:USER_SGPR: 2
; COMPUTE_PGM_RSRC2:TRAP_HANDLER: 0
; COMPUTE_PGM_RSRC2:TGID_X_EN: 1
; COMPUTE_PGM_RSRC2:TGID_Y_EN: 1
; COMPUTE_PGM_RSRC2:TGID_Z_EN: 0
; COMPUTE_PGM_RSRC2:TIDIG_COMP_CNT: 2
	.section	.text._ZN7rocprim17ROCPRIM_400000_NS6detail17trampoline_kernelINS0_14default_configENS1_36segmented_radix_sort_config_selectorIllEEZNS1_25segmented_radix_sort_implIS3_Lb0EPKlPlS8_S9_N2at6native12_GLOBAL__N_18offset_tEEE10hipError_tPvRmT1_PNSt15iterator_traitsISH_E10value_typeET2_T3_PNSI_ISN_E10value_typeET4_jRbjT5_ST_jjP12ihipStream_tbEUlT_E0_NS1_11comp_targetILNS1_3genE10ELNS1_11target_archE1200ELNS1_3gpuE4ELNS1_3repE0EEENS1_60segmented_radix_sort_warp_sort_medium_config_static_selectorELNS0_4arch9wavefront6targetE0EEEvSH_,"axG",@progbits,_ZN7rocprim17ROCPRIM_400000_NS6detail17trampoline_kernelINS0_14default_configENS1_36segmented_radix_sort_config_selectorIllEEZNS1_25segmented_radix_sort_implIS3_Lb0EPKlPlS8_S9_N2at6native12_GLOBAL__N_18offset_tEEE10hipError_tPvRmT1_PNSt15iterator_traitsISH_E10value_typeET2_T3_PNSI_ISN_E10value_typeET4_jRbjT5_ST_jjP12ihipStream_tbEUlT_E0_NS1_11comp_targetILNS1_3genE10ELNS1_11target_archE1200ELNS1_3gpuE4ELNS1_3repE0EEENS1_60segmented_radix_sort_warp_sort_medium_config_static_selectorELNS0_4arch9wavefront6targetE0EEEvSH_,comdat
	.globl	_ZN7rocprim17ROCPRIM_400000_NS6detail17trampoline_kernelINS0_14default_configENS1_36segmented_radix_sort_config_selectorIllEEZNS1_25segmented_radix_sort_implIS3_Lb0EPKlPlS8_S9_N2at6native12_GLOBAL__N_18offset_tEEE10hipError_tPvRmT1_PNSt15iterator_traitsISH_E10value_typeET2_T3_PNSI_ISN_E10value_typeET4_jRbjT5_ST_jjP12ihipStream_tbEUlT_E0_NS1_11comp_targetILNS1_3genE10ELNS1_11target_archE1200ELNS1_3gpuE4ELNS1_3repE0EEENS1_60segmented_radix_sort_warp_sort_medium_config_static_selectorELNS0_4arch9wavefront6targetE0EEEvSH_ ; -- Begin function _ZN7rocprim17ROCPRIM_400000_NS6detail17trampoline_kernelINS0_14default_configENS1_36segmented_radix_sort_config_selectorIllEEZNS1_25segmented_radix_sort_implIS3_Lb0EPKlPlS8_S9_N2at6native12_GLOBAL__N_18offset_tEEE10hipError_tPvRmT1_PNSt15iterator_traitsISH_E10value_typeET2_T3_PNSI_ISN_E10value_typeET4_jRbjT5_ST_jjP12ihipStream_tbEUlT_E0_NS1_11comp_targetILNS1_3genE10ELNS1_11target_archE1200ELNS1_3gpuE4ELNS1_3repE0EEENS1_60segmented_radix_sort_warp_sort_medium_config_static_selectorELNS0_4arch9wavefront6targetE0EEEvSH_
	.p2align	8
	.type	_ZN7rocprim17ROCPRIM_400000_NS6detail17trampoline_kernelINS0_14default_configENS1_36segmented_radix_sort_config_selectorIllEEZNS1_25segmented_radix_sort_implIS3_Lb0EPKlPlS8_S9_N2at6native12_GLOBAL__N_18offset_tEEE10hipError_tPvRmT1_PNSt15iterator_traitsISH_E10value_typeET2_T3_PNSI_ISN_E10value_typeET4_jRbjT5_ST_jjP12ihipStream_tbEUlT_E0_NS1_11comp_targetILNS1_3genE10ELNS1_11target_archE1200ELNS1_3gpuE4ELNS1_3repE0EEENS1_60segmented_radix_sort_warp_sort_medium_config_static_selectorELNS0_4arch9wavefront6targetE0EEEvSH_,@function
_ZN7rocprim17ROCPRIM_400000_NS6detail17trampoline_kernelINS0_14default_configENS1_36segmented_radix_sort_config_selectorIllEEZNS1_25segmented_radix_sort_implIS3_Lb0EPKlPlS8_S9_N2at6native12_GLOBAL__N_18offset_tEEE10hipError_tPvRmT1_PNSt15iterator_traitsISH_E10value_typeET2_T3_PNSI_ISN_E10value_typeET4_jRbjT5_ST_jjP12ihipStream_tbEUlT_E0_NS1_11comp_targetILNS1_3genE10ELNS1_11target_archE1200ELNS1_3gpuE4ELNS1_3repE0EEENS1_60segmented_radix_sort_warp_sort_medium_config_static_selectorELNS0_4arch9wavefront6targetE0EEEvSH_: ; @_ZN7rocprim17ROCPRIM_400000_NS6detail17trampoline_kernelINS0_14default_configENS1_36segmented_radix_sort_config_selectorIllEEZNS1_25segmented_radix_sort_implIS3_Lb0EPKlPlS8_S9_N2at6native12_GLOBAL__N_18offset_tEEE10hipError_tPvRmT1_PNSt15iterator_traitsISH_E10value_typeET2_T3_PNSI_ISN_E10value_typeET4_jRbjT5_ST_jjP12ihipStream_tbEUlT_E0_NS1_11comp_targetILNS1_3genE10ELNS1_11target_archE1200ELNS1_3gpuE4ELNS1_3repE0EEENS1_60segmented_radix_sort_warp_sort_medium_config_static_selectorELNS0_4arch9wavefront6targetE0EEEvSH_
; %bb.0:
	.section	.rodata,"a",@progbits
	.p2align	6, 0x0
	.amdhsa_kernel _ZN7rocprim17ROCPRIM_400000_NS6detail17trampoline_kernelINS0_14default_configENS1_36segmented_radix_sort_config_selectorIllEEZNS1_25segmented_radix_sort_implIS3_Lb0EPKlPlS8_S9_N2at6native12_GLOBAL__N_18offset_tEEE10hipError_tPvRmT1_PNSt15iterator_traitsISH_E10value_typeET2_T3_PNSI_ISN_E10value_typeET4_jRbjT5_ST_jjP12ihipStream_tbEUlT_E0_NS1_11comp_targetILNS1_3genE10ELNS1_11target_archE1200ELNS1_3gpuE4ELNS1_3repE0EEENS1_60segmented_radix_sort_warp_sort_medium_config_static_selectorELNS0_4arch9wavefront6targetE0EEEvSH_
		.amdhsa_group_segment_fixed_size 0
		.amdhsa_private_segment_fixed_size 0
		.amdhsa_kernarg_size 88
		.amdhsa_user_sgpr_count 2
		.amdhsa_user_sgpr_dispatch_ptr 0
		.amdhsa_user_sgpr_queue_ptr 0
		.amdhsa_user_sgpr_kernarg_segment_ptr 1
		.amdhsa_user_sgpr_dispatch_id 0
		.amdhsa_user_sgpr_private_segment_size 0
		.amdhsa_wavefront_size32 1
		.amdhsa_uses_dynamic_stack 0
		.amdhsa_enable_private_segment 0
		.amdhsa_system_sgpr_workgroup_id_x 1
		.amdhsa_system_sgpr_workgroup_id_y 0
		.amdhsa_system_sgpr_workgroup_id_z 0
		.amdhsa_system_sgpr_workgroup_info 0
		.amdhsa_system_vgpr_workitem_id 0
		.amdhsa_next_free_vgpr 1
		.amdhsa_next_free_sgpr 1
		.amdhsa_reserve_vcc 0
		.amdhsa_float_round_mode_32 0
		.amdhsa_float_round_mode_16_64 0
		.amdhsa_float_denorm_mode_32 3
		.amdhsa_float_denorm_mode_16_64 3
		.amdhsa_fp16_overflow 0
		.amdhsa_workgroup_processor_mode 1
		.amdhsa_memory_ordered 1
		.amdhsa_forward_progress 1
		.amdhsa_inst_pref_size 0
		.amdhsa_round_robin_scheduling 0
		.amdhsa_exception_fp_ieee_invalid_op 0
		.amdhsa_exception_fp_denorm_src 0
		.amdhsa_exception_fp_ieee_div_zero 0
		.amdhsa_exception_fp_ieee_overflow 0
		.amdhsa_exception_fp_ieee_underflow 0
		.amdhsa_exception_fp_ieee_inexact 0
		.amdhsa_exception_int_div_zero 0
	.end_amdhsa_kernel
	.section	.text._ZN7rocprim17ROCPRIM_400000_NS6detail17trampoline_kernelINS0_14default_configENS1_36segmented_radix_sort_config_selectorIllEEZNS1_25segmented_radix_sort_implIS3_Lb0EPKlPlS8_S9_N2at6native12_GLOBAL__N_18offset_tEEE10hipError_tPvRmT1_PNSt15iterator_traitsISH_E10value_typeET2_T3_PNSI_ISN_E10value_typeET4_jRbjT5_ST_jjP12ihipStream_tbEUlT_E0_NS1_11comp_targetILNS1_3genE10ELNS1_11target_archE1200ELNS1_3gpuE4ELNS1_3repE0EEENS1_60segmented_radix_sort_warp_sort_medium_config_static_selectorELNS0_4arch9wavefront6targetE0EEEvSH_,"axG",@progbits,_ZN7rocprim17ROCPRIM_400000_NS6detail17trampoline_kernelINS0_14default_configENS1_36segmented_radix_sort_config_selectorIllEEZNS1_25segmented_radix_sort_implIS3_Lb0EPKlPlS8_S9_N2at6native12_GLOBAL__N_18offset_tEEE10hipError_tPvRmT1_PNSt15iterator_traitsISH_E10value_typeET2_T3_PNSI_ISN_E10value_typeET4_jRbjT5_ST_jjP12ihipStream_tbEUlT_E0_NS1_11comp_targetILNS1_3genE10ELNS1_11target_archE1200ELNS1_3gpuE4ELNS1_3repE0EEENS1_60segmented_radix_sort_warp_sort_medium_config_static_selectorELNS0_4arch9wavefront6targetE0EEEvSH_,comdat
.Lfunc_end824:
	.size	_ZN7rocprim17ROCPRIM_400000_NS6detail17trampoline_kernelINS0_14default_configENS1_36segmented_radix_sort_config_selectorIllEEZNS1_25segmented_radix_sort_implIS3_Lb0EPKlPlS8_S9_N2at6native12_GLOBAL__N_18offset_tEEE10hipError_tPvRmT1_PNSt15iterator_traitsISH_E10value_typeET2_T3_PNSI_ISN_E10value_typeET4_jRbjT5_ST_jjP12ihipStream_tbEUlT_E0_NS1_11comp_targetILNS1_3genE10ELNS1_11target_archE1200ELNS1_3gpuE4ELNS1_3repE0EEENS1_60segmented_radix_sort_warp_sort_medium_config_static_selectorELNS0_4arch9wavefront6targetE0EEEvSH_, .Lfunc_end824-_ZN7rocprim17ROCPRIM_400000_NS6detail17trampoline_kernelINS0_14default_configENS1_36segmented_radix_sort_config_selectorIllEEZNS1_25segmented_radix_sort_implIS3_Lb0EPKlPlS8_S9_N2at6native12_GLOBAL__N_18offset_tEEE10hipError_tPvRmT1_PNSt15iterator_traitsISH_E10value_typeET2_T3_PNSI_ISN_E10value_typeET4_jRbjT5_ST_jjP12ihipStream_tbEUlT_E0_NS1_11comp_targetILNS1_3genE10ELNS1_11target_archE1200ELNS1_3gpuE4ELNS1_3repE0EEENS1_60segmented_radix_sort_warp_sort_medium_config_static_selectorELNS0_4arch9wavefront6targetE0EEEvSH_
                                        ; -- End function
	.set _ZN7rocprim17ROCPRIM_400000_NS6detail17trampoline_kernelINS0_14default_configENS1_36segmented_radix_sort_config_selectorIllEEZNS1_25segmented_radix_sort_implIS3_Lb0EPKlPlS8_S9_N2at6native12_GLOBAL__N_18offset_tEEE10hipError_tPvRmT1_PNSt15iterator_traitsISH_E10value_typeET2_T3_PNSI_ISN_E10value_typeET4_jRbjT5_ST_jjP12ihipStream_tbEUlT_E0_NS1_11comp_targetILNS1_3genE10ELNS1_11target_archE1200ELNS1_3gpuE4ELNS1_3repE0EEENS1_60segmented_radix_sort_warp_sort_medium_config_static_selectorELNS0_4arch9wavefront6targetE0EEEvSH_.num_vgpr, 0
	.set _ZN7rocprim17ROCPRIM_400000_NS6detail17trampoline_kernelINS0_14default_configENS1_36segmented_radix_sort_config_selectorIllEEZNS1_25segmented_radix_sort_implIS3_Lb0EPKlPlS8_S9_N2at6native12_GLOBAL__N_18offset_tEEE10hipError_tPvRmT1_PNSt15iterator_traitsISH_E10value_typeET2_T3_PNSI_ISN_E10value_typeET4_jRbjT5_ST_jjP12ihipStream_tbEUlT_E0_NS1_11comp_targetILNS1_3genE10ELNS1_11target_archE1200ELNS1_3gpuE4ELNS1_3repE0EEENS1_60segmented_radix_sort_warp_sort_medium_config_static_selectorELNS0_4arch9wavefront6targetE0EEEvSH_.num_agpr, 0
	.set _ZN7rocprim17ROCPRIM_400000_NS6detail17trampoline_kernelINS0_14default_configENS1_36segmented_radix_sort_config_selectorIllEEZNS1_25segmented_radix_sort_implIS3_Lb0EPKlPlS8_S9_N2at6native12_GLOBAL__N_18offset_tEEE10hipError_tPvRmT1_PNSt15iterator_traitsISH_E10value_typeET2_T3_PNSI_ISN_E10value_typeET4_jRbjT5_ST_jjP12ihipStream_tbEUlT_E0_NS1_11comp_targetILNS1_3genE10ELNS1_11target_archE1200ELNS1_3gpuE4ELNS1_3repE0EEENS1_60segmented_radix_sort_warp_sort_medium_config_static_selectorELNS0_4arch9wavefront6targetE0EEEvSH_.numbered_sgpr, 0
	.set _ZN7rocprim17ROCPRIM_400000_NS6detail17trampoline_kernelINS0_14default_configENS1_36segmented_radix_sort_config_selectorIllEEZNS1_25segmented_radix_sort_implIS3_Lb0EPKlPlS8_S9_N2at6native12_GLOBAL__N_18offset_tEEE10hipError_tPvRmT1_PNSt15iterator_traitsISH_E10value_typeET2_T3_PNSI_ISN_E10value_typeET4_jRbjT5_ST_jjP12ihipStream_tbEUlT_E0_NS1_11comp_targetILNS1_3genE10ELNS1_11target_archE1200ELNS1_3gpuE4ELNS1_3repE0EEENS1_60segmented_radix_sort_warp_sort_medium_config_static_selectorELNS0_4arch9wavefront6targetE0EEEvSH_.num_named_barrier, 0
	.set _ZN7rocprim17ROCPRIM_400000_NS6detail17trampoline_kernelINS0_14default_configENS1_36segmented_radix_sort_config_selectorIllEEZNS1_25segmented_radix_sort_implIS3_Lb0EPKlPlS8_S9_N2at6native12_GLOBAL__N_18offset_tEEE10hipError_tPvRmT1_PNSt15iterator_traitsISH_E10value_typeET2_T3_PNSI_ISN_E10value_typeET4_jRbjT5_ST_jjP12ihipStream_tbEUlT_E0_NS1_11comp_targetILNS1_3genE10ELNS1_11target_archE1200ELNS1_3gpuE4ELNS1_3repE0EEENS1_60segmented_radix_sort_warp_sort_medium_config_static_selectorELNS0_4arch9wavefront6targetE0EEEvSH_.private_seg_size, 0
	.set _ZN7rocprim17ROCPRIM_400000_NS6detail17trampoline_kernelINS0_14default_configENS1_36segmented_radix_sort_config_selectorIllEEZNS1_25segmented_radix_sort_implIS3_Lb0EPKlPlS8_S9_N2at6native12_GLOBAL__N_18offset_tEEE10hipError_tPvRmT1_PNSt15iterator_traitsISH_E10value_typeET2_T3_PNSI_ISN_E10value_typeET4_jRbjT5_ST_jjP12ihipStream_tbEUlT_E0_NS1_11comp_targetILNS1_3genE10ELNS1_11target_archE1200ELNS1_3gpuE4ELNS1_3repE0EEENS1_60segmented_radix_sort_warp_sort_medium_config_static_selectorELNS0_4arch9wavefront6targetE0EEEvSH_.uses_vcc, 0
	.set _ZN7rocprim17ROCPRIM_400000_NS6detail17trampoline_kernelINS0_14default_configENS1_36segmented_radix_sort_config_selectorIllEEZNS1_25segmented_radix_sort_implIS3_Lb0EPKlPlS8_S9_N2at6native12_GLOBAL__N_18offset_tEEE10hipError_tPvRmT1_PNSt15iterator_traitsISH_E10value_typeET2_T3_PNSI_ISN_E10value_typeET4_jRbjT5_ST_jjP12ihipStream_tbEUlT_E0_NS1_11comp_targetILNS1_3genE10ELNS1_11target_archE1200ELNS1_3gpuE4ELNS1_3repE0EEENS1_60segmented_radix_sort_warp_sort_medium_config_static_selectorELNS0_4arch9wavefront6targetE0EEEvSH_.uses_flat_scratch, 0
	.set _ZN7rocprim17ROCPRIM_400000_NS6detail17trampoline_kernelINS0_14default_configENS1_36segmented_radix_sort_config_selectorIllEEZNS1_25segmented_radix_sort_implIS3_Lb0EPKlPlS8_S9_N2at6native12_GLOBAL__N_18offset_tEEE10hipError_tPvRmT1_PNSt15iterator_traitsISH_E10value_typeET2_T3_PNSI_ISN_E10value_typeET4_jRbjT5_ST_jjP12ihipStream_tbEUlT_E0_NS1_11comp_targetILNS1_3genE10ELNS1_11target_archE1200ELNS1_3gpuE4ELNS1_3repE0EEENS1_60segmented_radix_sort_warp_sort_medium_config_static_selectorELNS0_4arch9wavefront6targetE0EEEvSH_.has_dyn_sized_stack, 0
	.set _ZN7rocprim17ROCPRIM_400000_NS6detail17trampoline_kernelINS0_14default_configENS1_36segmented_radix_sort_config_selectorIllEEZNS1_25segmented_radix_sort_implIS3_Lb0EPKlPlS8_S9_N2at6native12_GLOBAL__N_18offset_tEEE10hipError_tPvRmT1_PNSt15iterator_traitsISH_E10value_typeET2_T3_PNSI_ISN_E10value_typeET4_jRbjT5_ST_jjP12ihipStream_tbEUlT_E0_NS1_11comp_targetILNS1_3genE10ELNS1_11target_archE1200ELNS1_3gpuE4ELNS1_3repE0EEENS1_60segmented_radix_sort_warp_sort_medium_config_static_selectorELNS0_4arch9wavefront6targetE0EEEvSH_.has_recursion, 0
	.set _ZN7rocprim17ROCPRIM_400000_NS6detail17trampoline_kernelINS0_14default_configENS1_36segmented_radix_sort_config_selectorIllEEZNS1_25segmented_radix_sort_implIS3_Lb0EPKlPlS8_S9_N2at6native12_GLOBAL__N_18offset_tEEE10hipError_tPvRmT1_PNSt15iterator_traitsISH_E10value_typeET2_T3_PNSI_ISN_E10value_typeET4_jRbjT5_ST_jjP12ihipStream_tbEUlT_E0_NS1_11comp_targetILNS1_3genE10ELNS1_11target_archE1200ELNS1_3gpuE4ELNS1_3repE0EEENS1_60segmented_radix_sort_warp_sort_medium_config_static_selectorELNS0_4arch9wavefront6targetE0EEEvSH_.has_indirect_call, 0
	.section	.AMDGPU.csdata,"",@progbits
; Kernel info:
; codeLenInByte = 0
; TotalNumSgprs: 0
; NumVgprs: 0
; ScratchSize: 0
; MemoryBound: 0
; FloatMode: 240
; IeeeMode: 1
; LDSByteSize: 0 bytes/workgroup (compile time only)
; SGPRBlocks: 0
; VGPRBlocks: 0
; NumSGPRsForWavesPerEU: 1
; NumVGPRsForWavesPerEU: 1
; Occupancy: 16
; WaveLimiterHint : 0
; COMPUTE_PGM_RSRC2:SCRATCH_EN: 0
; COMPUTE_PGM_RSRC2:USER_SGPR: 2
; COMPUTE_PGM_RSRC2:TRAP_HANDLER: 0
; COMPUTE_PGM_RSRC2:TGID_X_EN: 1
; COMPUTE_PGM_RSRC2:TGID_Y_EN: 0
; COMPUTE_PGM_RSRC2:TGID_Z_EN: 0
; COMPUTE_PGM_RSRC2:TIDIG_COMP_CNT: 0
	.section	.text._ZN7rocprim17ROCPRIM_400000_NS6detail17trampoline_kernelINS0_14default_configENS1_36segmented_radix_sort_config_selectorIllEEZNS1_25segmented_radix_sort_implIS3_Lb0EPKlPlS8_S9_N2at6native12_GLOBAL__N_18offset_tEEE10hipError_tPvRmT1_PNSt15iterator_traitsISH_E10value_typeET2_T3_PNSI_ISN_E10value_typeET4_jRbjT5_ST_jjP12ihipStream_tbEUlT_E0_NS1_11comp_targetILNS1_3genE9ELNS1_11target_archE1100ELNS1_3gpuE3ELNS1_3repE0EEENS1_60segmented_radix_sort_warp_sort_medium_config_static_selectorELNS0_4arch9wavefront6targetE0EEEvSH_,"axG",@progbits,_ZN7rocprim17ROCPRIM_400000_NS6detail17trampoline_kernelINS0_14default_configENS1_36segmented_radix_sort_config_selectorIllEEZNS1_25segmented_radix_sort_implIS3_Lb0EPKlPlS8_S9_N2at6native12_GLOBAL__N_18offset_tEEE10hipError_tPvRmT1_PNSt15iterator_traitsISH_E10value_typeET2_T3_PNSI_ISN_E10value_typeET4_jRbjT5_ST_jjP12ihipStream_tbEUlT_E0_NS1_11comp_targetILNS1_3genE9ELNS1_11target_archE1100ELNS1_3gpuE3ELNS1_3repE0EEENS1_60segmented_radix_sort_warp_sort_medium_config_static_selectorELNS0_4arch9wavefront6targetE0EEEvSH_,comdat
	.globl	_ZN7rocprim17ROCPRIM_400000_NS6detail17trampoline_kernelINS0_14default_configENS1_36segmented_radix_sort_config_selectorIllEEZNS1_25segmented_radix_sort_implIS3_Lb0EPKlPlS8_S9_N2at6native12_GLOBAL__N_18offset_tEEE10hipError_tPvRmT1_PNSt15iterator_traitsISH_E10value_typeET2_T3_PNSI_ISN_E10value_typeET4_jRbjT5_ST_jjP12ihipStream_tbEUlT_E0_NS1_11comp_targetILNS1_3genE9ELNS1_11target_archE1100ELNS1_3gpuE3ELNS1_3repE0EEENS1_60segmented_radix_sort_warp_sort_medium_config_static_selectorELNS0_4arch9wavefront6targetE0EEEvSH_ ; -- Begin function _ZN7rocprim17ROCPRIM_400000_NS6detail17trampoline_kernelINS0_14default_configENS1_36segmented_radix_sort_config_selectorIllEEZNS1_25segmented_radix_sort_implIS3_Lb0EPKlPlS8_S9_N2at6native12_GLOBAL__N_18offset_tEEE10hipError_tPvRmT1_PNSt15iterator_traitsISH_E10value_typeET2_T3_PNSI_ISN_E10value_typeET4_jRbjT5_ST_jjP12ihipStream_tbEUlT_E0_NS1_11comp_targetILNS1_3genE9ELNS1_11target_archE1100ELNS1_3gpuE3ELNS1_3repE0EEENS1_60segmented_radix_sort_warp_sort_medium_config_static_selectorELNS0_4arch9wavefront6targetE0EEEvSH_
	.p2align	8
	.type	_ZN7rocprim17ROCPRIM_400000_NS6detail17trampoline_kernelINS0_14default_configENS1_36segmented_radix_sort_config_selectorIllEEZNS1_25segmented_radix_sort_implIS3_Lb0EPKlPlS8_S9_N2at6native12_GLOBAL__N_18offset_tEEE10hipError_tPvRmT1_PNSt15iterator_traitsISH_E10value_typeET2_T3_PNSI_ISN_E10value_typeET4_jRbjT5_ST_jjP12ihipStream_tbEUlT_E0_NS1_11comp_targetILNS1_3genE9ELNS1_11target_archE1100ELNS1_3gpuE3ELNS1_3repE0EEENS1_60segmented_radix_sort_warp_sort_medium_config_static_selectorELNS0_4arch9wavefront6targetE0EEEvSH_,@function
_ZN7rocprim17ROCPRIM_400000_NS6detail17trampoline_kernelINS0_14default_configENS1_36segmented_radix_sort_config_selectorIllEEZNS1_25segmented_radix_sort_implIS3_Lb0EPKlPlS8_S9_N2at6native12_GLOBAL__N_18offset_tEEE10hipError_tPvRmT1_PNSt15iterator_traitsISH_E10value_typeET2_T3_PNSI_ISN_E10value_typeET4_jRbjT5_ST_jjP12ihipStream_tbEUlT_E0_NS1_11comp_targetILNS1_3genE9ELNS1_11target_archE1100ELNS1_3gpuE3ELNS1_3repE0EEENS1_60segmented_radix_sort_warp_sort_medium_config_static_selectorELNS0_4arch9wavefront6targetE0EEEvSH_: ; @_ZN7rocprim17ROCPRIM_400000_NS6detail17trampoline_kernelINS0_14default_configENS1_36segmented_radix_sort_config_selectorIllEEZNS1_25segmented_radix_sort_implIS3_Lb0EPKlPlS8_S9_N2at6native12_GLOBAL__N_18offset_tEEE10hipError_tPvRmT1_PNSt15iterator_traitsISH_E10value_typeET2_T3_PNSI_ISN_E10value_typeET4_jRbjT5_ST_jjP12ihipStream_tbEUlT_E0_NS1_11comp_targetILNS1_3genE9ELNS1_11target_archE1100ELNS1_3gpuE3ELNS1_3repE0EEENS1_60segmented_radix_sort_warp_sort_medium_config_static_selectorELNS0_4arch9wavefront6targetE0EEEvSH_
; %bb.0:
	.section	.rodata,"a",@progbits
	.p2align	6, 0x0
	.amdhsa_kernel _ZN7rocprim17ROCPRIM_400000_NS6detail17trampoline_kernelINS0_14default_configENS1_36segmented_radix_sort_config_selectorIllEEZNS1_25segmented_radix_sort_implIS3_Lb0EPKlPlS8_S9_N2at6native12_GLOBAL__N_18offset_tEEE10hipError_tPvRmT1_PNSt15iterator_traitsISH_E10value_typeET2_T3_PNSI_ISN_E10value_typeET4_jRbjT5_ST_jjP12ihipStream_tbEUlT_E0_NS1_11comp_targetILNS1_3genE9ELNS1_11target_archE1100ELNS1_3gpuE3ELNS1_3repE0EEENS1_60segmented_radix_sort_warp_sort_medium_config_static_selectorELNS0_4arch9wavefront6targetE0EEEvSH_
		.amdhsa_group_segment_fixed_size 0
		.amdhsa_private_segment_fixed_size 0
		.amdhsa_kernarg_size 88
		.amdhsa_user_sgpr_count 2
		.amdhsa_user_sgpr_dispatch_ptr 0
		.amdhsa_user_sgpr_queue_ptr 0
		.amdhsa_user_sgpr_kernarg_segment_ptr 1
		.amdhsa_user_sgpr_dispatch_id 0
		.amdhsa_user_sgpr_private_segment_size 0
		.amdhsa_wavefront_size32 1
		.amdhsa_uses_dynamic_stack 0
		.amdhsa_enable_private_segment 0
		.amdhsa_system_sgpr_workgroup_id_x 1
		.amdhsa_system_sgpr_workgroup_id_y 0
		.amdhsa_system_sgpr_workgroup_id_z 0
		.amdhsa_system_sgpr_workgroup_info 0
		.amdhsa_system_vgpr_workitem_id 0
		.amdhsa_next_free_vgpr 1
		.amdhsa_next_free_sgpr 1
		.amdhsa_reserve_vcc 0
		.amdhsa_float_round_mode_32 0
		.amdhsa_float_round_mode_16_64 0
		.amdhsa_float_denorm_mode_32 3
		.amdhsa_float_denorm_mode_16_64 3
		.amdhsa_fp16_overflow 0
		.amdhsa_workgroup_processor_mode 1
		.amdhsa_memory_ordered 1
		.amdhsa_forward_progress 1
		.amdhsa_inst_pref_size 0
		.amdhsa_round_robin_scheduling 0
		.amdhsa_exception_fp_ieee_invalid_op 0
		.amdhsa_exception_fp_denorm_src 0
		.amdhsa_exception_fp_ieee_div_zero 0
		.amdhsa_exception_fp_ieee_overflow 0
		.amdhsa_exception_fp_ieee_underflow 0
		.amdhsa_exception_fp_ieee_inexact 0
		.amdhsa_exception_int_div_zero 0
	.end_amdhsa_kernel
	.section	.text._ZN7rocprim17ROCPRIM_400000_NS6detail17trampoline_kernelINS0_14default_configENS1_36segmented_radix_sort_config_selectorIllEEZNS1_25segmented_radix_sort_implIS3_Lb0EPKlPlS8_S9_N2at6native12_GLOBAL__N_18offset_tEEE10hipError_tPvRmT1_PNSt15iterator_traitsISH_E10value_typeET2_T3_PNSI_ISN_E10value_typeET4_jRbjT5_ST_jjP12ihipStream_tbEUlT_E0_NS1_11comp_targetILNS1_3genE9ELNS1_11target_archE1100ELNS1_3gpuE3ELNS1_3repE0EEENS1_60segmented_radix_sort_warp_sort_medium_config_static_selectorELNS0_4arch9wavefront6targetE0EEEvSH_,"axG",@progbits,_ZN7rocprim17ROCPRIM_400000_NS6detail17trampoline_kernelINS0_14default_configENS1_36segmented_radix_sort_config_selectorIllEEZNS1_25segmented_radix_sort_implIS3_Lb0EPKlPlS8_S9_N2at6native12_GLOBAL__N_18offset_tEEE10hipError_tPvRmT1_PNSt15iterator_traitsISH_E10value_typeET2_T3_PNSI_ISN_E10value_typeET4_jRbjT5_ST_jjP12ihipStream_tbEUlT_E0_NS1_11comp_targetILNS1_3genE9ELNS1_11target_archE1100ELNS1_3gpuE3ELNS1_3repE0EEENS1_60segmented_radix_sort_warp_sort_medium_config_static_selectorELNS0_4arch9wavefront6targetE0EEEvSH_,comdat
.Lfunc_end825:
	.size	_ZN7rocprim17ROCPRIM_400000_NS6detail17trampoline_kernelINS0_14default_configENS1_36segmented_radix_sort_config_selectorIllEEZNS1_25segmented_radix_sort_implIS3_Lb0EPKlPlS8_S9_N2at6native12_GLOBAL__N_18offset_tEEE10hipError_tPvRmT1_PNSt15iterator_traitsISH_E10value_typeET2_T3_PNSI_ISN_E10value_typeET4_jRbjT5_ST_jjP12ihipStream_tbEUlT_E0_NS1_11comp_targetILNS1_3genE9ELNS1_11target_archE1100ELNS1_3gpuE3ELNS1_3repE0EEENS1_60segmented_radix_sort_warp_sort_medium_config_static_selectorELNS0_4arch9wavefront6targetE0EEEvSH_, .Lfunc_end825-_ZN7rocprim17ROCPRIM_400000_NS6detail17trampoline_kernelINS0_14default_configENS1_36segmented_radix_sort_config_selectorIllEEZNS1_25segmented_radix_sort_implIS3_Lb0EPKlPlS8_S9_N2at6native12_GLOBAL__N_18offset_tEEE10hipError_tPvRmT1_PNSt15iterator_traitsISH_E10value_typeET2_T3_PNSI_ISN_E10value_typeET4_jRbjT5_ST_jjP12ihipStream_tbEUlT_E0_NS1_11comp_targetILNS1_3genE9ELNS1_11target_archE1100ELNS1_3gpuE3ELNS1_3repE0EEENS1_60segmented_radix_sort_warp_sort_medium_config_static_selectorELNS0_4arch9wavefront6targetE0EEEvSH_
                                        ; -- End function
	.set _ZN7rocprim17ROCPRIM_400000_NS6detail17trampoline_kernelINS0_14default_configENS1_36segmented_radix_sort_config_selectorIllEEZNS1_25segmented_radix_sort_implIS3_Lb0EPKlPlS8_S9_N2at6native12_GLOBAL__N_18offset_tEEE10hipError_tPvRmT1_PNSt15iterator_traitsISH_E10value_typeET2_T3_PNSI_ISN_E10value_typeET4_jRbjT5_ST_jjP12ihipStream_tbEUlT_E0_NS1_11comp_targetILNS1_3genE9ELNS1_11target_archE1100ELNS1_3gpuE3ELNS1_3repE0EEENS1_60segmented_radix_sort_warp_sort_medium_config_static_selectorELNS0_4arch9wavefront6targetE0EEEvSH_.num_vgpr, 0
	.set _ZN7rocprim17ROCPRIM_400000_NS6detail17trampoline_kernelINS0_14default_configENS1_36segmented_radix_sort_config_selectorIllEEZNS1_25segmented_radix_sort_implIS3_Lb0EPKlPlS8_S9_N2at6native12_GLOBAL__N_18offset_tEEE10hipError_tPvRmT1_PNSt15iterator_traitsISH_E10value_typeET2_T3_PNSI_ISN_E10value_typeET4_jRbjT5_ST_jjP12ihipStream_tbEUlT_E0_NS1_11comp_targetILNS1_3genE9ELNS1_11target_archE1100ELNS1_3gpuE3ELNS1_3repE0EEENS1_60segmented_radix_sort_warp_sort_medium_config_static_selectorELNS0_4arch9wavefront6targetE0EEEvSH_.num_agpr, 0
	.set _ZN7rocprim17ROCPRIM_400000_NS6detail17trampoline_kernelINS0_14default_configENS1_36segmented_radix_sort_config_selectorIllEEZNS1_25segmented_radix_sort_implIS3_Lb0EPKlPlS8_S9_N2at6native12_GLOBAL__N_18offset_tEEE10hipError_tPvRmT1_PNSt15iterator_traitsISH_E10value_typeET2_T3_PNSI_ISN_E10value_typeET4_jRbjT5_ST_jjP12ihipStream_tbEUlT_E0_NS1_11comp_targetILNS1_3genE9ELNS1_11target_archE1100ELNS1_3gpuE3ELNS1_3repE0EEENS1_60segmented_radix_sort_warp_sort_medium_config_static_selectorELNS0_4arch9wavefront6targetE0EEEvSH_.numbered_sgpr, 0
	.set _ZN7rocprim17ROCPRIM_400000_NS6detail17trampoline_kernelINS0_14default_configENS1_36segmented_radix_sort_config_selectorIllEEZNS1_25segmented_radix_sort_implIS3_Lb0EPKlPlS8_S9_N2at6native12_GLOBAL__N_18offset_tEEE10hipError_tPvRmT1_PNSt15iterator_traitsISH_E10value_typeET2_T3_PNSI_ISN_E10value_typeET4_jRbjT5_ST_jjP12ihipStream_tbEUlT_E0_NS1_11comp_targetILNS1_3genE9ELNS1_11target_archE1100ELNS1_3gpuE3ELNS1_3repE0EEENS1_60segmented_radix_sort_warp_sort_medium_config_static_selectorELNS0_4arch9wavefront6targetE0EEEvSH_.num_named_barrier, 0
	.set _ZN7rocprim17ROCPRIM_400000_NS6detail17trampoline_kernelINS0_14default_configENS1_36segmented_radix_sort_config_selectorIllEEZNS1_25segmented_radix_sort_implIS3_Lb0EPKlPlS8_S9_N2at6native12_GLOBAL__N_18offset_tEEE10hipError_tPvRmT1_PNSt15iterator_traitsISH_E10value_typeET2_T3_PNSI_ISN_E10value_typeET4_jRbjT5_ST_jjP12ihipStream_tbEUlT_E0_NS1_11comp_targetILNS1_3genE9ELNS1_11target_archE1100ELNS1_3gpuE3ELNS1_3repE0EEENS1_60segmented_radix_sort_warp_sort_medium_config_static_selectorELNS0_4arch9wavefront6targetE0EEEvSH_.private_seg_size, 0
	.set _ZN7rocprim17ROCPRIM_400000_NS6detail17trampoline_kernelINS0_14default_configENS1_36segmented_radix_sort_config_selectorIllEEZNS1_25segmented_radix_sort_implIS3_Lb0EPKlPlS8_S9_N2at6native12_GLOBAL__N_18offset_tEEE10hipError_tPvRmT1_PNSt15iterator_traitsISH_E10value_typeET2_T3_PNSI_ISN_E10value_typeET4_jRbjT5_ST_jjP12ihipStream_tbEUlT_E0_NS1_11comp_targetILNS1_3genE9ELNS1_11target_archE1100ELNS1_3gpuE3ELNS1_3repE0EEENS1_60segmented_radix_sort_warp_sort_medium_config_static_selectorELNS0_4arch9wavefront6targetE0EEEvSH_.uses_vcc, 0
	.set _ZN7rocprim17ROCPRIM_400000_NS6detail17trampoline_kernelINS0_14default_configENS1_36segmented_radix_sort_config_selectorIllEEZNS1_25segmented_radix_sort_implIS3_Lb0EPKlPlS8_S9_N2at6native12_GLOBAL__N_18offset_tEEE10hipError_tPvRmT1_PNSt15iterator_traitsISH_E10value_typeET2_T3_PNSI_ISN_E10value_typeET4_jRbjT5_ST_jjP12ihipStream_tbEUlT_E0_NS1_11comp_targetILNS1_3genE9ELNS1_11target_archE1100ELNS1_3gpuE3ELNS1_3repE0EEENS1_60segmented_radix_sort_warp_sort_medium_config_static_selectorELNS0_4arch9wavefront6targetE0EEEvSH_.uses_flat_scratch, 0
	.set _ZN7rocprim17ROCPRIM_400000_NS6detail17trampoline_kernelINS0_14default_configENS1_36segmented_radix_sort_config_selectorIllEEZNS1_25segmented_radix_sort_implIS3_Lb0EPKlPlS8_S9_N2at6native12_GLOBAL__N_18offset_tEEE10hipError_tPvRmT1_PNSt15iterator_traitsISH_E10value_typeET2_T3_PNSI_ISN_E10value_typeET4_jRbjT5_ST_jjP12ihipStream_tbEUlT_E0_NS1_11comp_targetILNS1_3genE9ELNS1_11target_archE1100ELNS1_3gpuE3ELNS1_3repE0EEENS1_60segmented_radix_sort_warp_sort_medium_config_static_selectorELNS0_4arch9wavefront6targetE0EEEvSH_.has_dyn_sized_stack, 0
	.set _ZN7rocprim17ROCPRIM_400000_NS6detail17trampoline_kernelINS0_14default_configENS1_36segmented_radix_sort_config_selectorIllEEZNS1_25segmented_radix_sort_implIS3_Lb0EPKlPlS8_S9_N2at6native12_GLOBAL__N_18offset_tEEE10hipError_tPvRmT1_PNSt15iterator_traitsISH_E10value_typeET2_T3_PNSI_ISN_E10value_typeET4_jRbjT5_ST_jjP12ihipStream_tbEUlT_E0_NS1_11comp_targetILNS1_3genE9ELNS1_11target_archE1100ELNS1_3gpuE3ELNS1_3repE0EEENS1_60segmented_radix_sort_warp_sort_medium_config_static_selectorELNS0_4arch9wavefront6targetE0EEEvSH_.has_recursion, 0
	.set _ZN7rocprim17ROCPRIM_400000_NS6detail17trampoline_kernelINS0_14default_configENS1_36segmented_radix_sort_config_selectorIllEEZNS1_25segmented_radix_sort_implIS3_Lb0EPKlPlS8_S9_N2at6native12_GLOBAL__N_18offset_tEEE10hipError_tPvRmT1_PNSt15iterator_traitsISH_E10value_typeET2_T3_PNSI_ISN_E10value_typeET4_jRbjT5_ST_jjP12ihipStream_tbEUlT_E0_NS1_11comp_targetILNS1_3genE9ELNS1_11target_archE1100ELNS1_3gpuE3ELNS1_3repE0EEENS1_60segmented_radix_sort_warp_sort_medium_config_static_selectorELNS0_4arch9wavefront6targetE0EEEvSH_.has_indirect_call, 0
	.section	.AMDGPU.csdata,"",@progbits
; Kernel info:
; codeLenInByte = 0
; TotalNumSgprs: 0
; NumVgprs: 0
; ScratchSize: 0
; MemoryBound: 0
; FloatMode: 240
; IeeeMode: 1
; LDSByteSize: 0 bytes/workgroup (compile time only)
; SGPRBlocks: 0
; VGPRBlocks: 0
; NumSGPRsForWavesPerEU: 1
; NumVGPRsForWavesPerEU: 1
; Occupancy: 16
; WaveLimiterHint : 0
; COMPUTE_PGM_RSRC2:SCRATCH_EN: 0
; COMPUTE_PGM_RSRC2:USER_SGPR: 2
; COMPUTE_PGM_RSRC2:TRAP_HANDLER: 0
; COMPUTE_PGM_RSRC2:TGID_X_EN: 1
; COMPUTE_PGM_RSRC2:TGID_Y_EN: 0
; COMPUTE_PGM_RSRC2:TGID_Z_EN: 0
; COMPUTE_PGM_RSRC2:TIDIG_COMP_CNT: 0
	.section	.text._ZN7rocprim17ROCPRIM_400000_NS6detail17trampoline_kernelINS0_14default_configENS1_36segmented_radix_sort_config_selectorIllEEZNS1_25segmented_radix_sort_implIS3_Lb0EPKlPlS8_S9_N2at6native12_GLOBAL__N_18offset_tEEE10hipError_tPvRmT1_PNSt15iterator_traitsISH_E10value_typeET2_T3_PNSI_ISN_E10value_typeET4_jRbjT5_ST_jjP12ihipStream_tbEUlT_E0_NS1_11comp_targetILNS1_3genE8ELNS1_11target_archE1030ELNS1_3gpuE2ELNS1_3repE0EEENS1_60segmented_radix_sort_warp_sort_medium_config_static_selectorELNS0_4arch9wavefront6targetE0EEEvSH_,"axG",@progbits,_ZN7rocprim17ROCPRIM_400000_NS6detail17trampoline_kernelINS0_14default_configENS1_36segmented_radix_sort_config_selectorIllEEZNS1_25segmented_radix_sort_implIS3_Lb0EPKlPlS8_S9_N2at6native12_GLOBAL__N_18offset_tEEE10hipError_tPvRmT1_PNSt15iterator_traitsISH_E10value_typeET2_T3_PNSI_ISN_E10value_typeET4_jRbjT5_ST_jjP12ihipStream_tbEUlT_E0_NS1_11comp_targetILNS1_3genE8ELNS1_11target_archE1030ELNS1_3gpuE2ELNS1_3repE0EEENS1_60segmented_radix_sort_warp_sort_medium_config_static_selectorELNS0_4arch9wavefront6targetE0EEEvSH_,comdat
	.globl	_ZN7rocprim17ROCPRIM_400000_NS6detail17trampoline_kernelINS0_14default_configENS1_36segmented_radix_sort_config_selectorIllEEZNS1_25segmented_radix_sort_implIS3_Lb0EPKlPlS8_S9_N2at6native12_GLOBAL__N_18offset_tEEE10hipError_tPvRmT1_PNSt15iterator_traitsISH_E10value_typeET2_T3_PNSI_ISN_E10value_typeET4_jRbjT5_ST_jjP12ihipStream_tbEUlT_E0_NS1_11comp_targetILNS1_3genE8ELNS1_11target_archE1030ELNS1_3gpuE2ELNS1_3repE0EEENS1_60segmented_radix_sort_warp_sort_medium_config_static_selectorELNS0_4arch9wavefront6targetE0EEEvSH_ ; -- Begin function _ZN7rocprim17ROCPRIM_400000_NS6detail17trampoline_kernelINS0_14default_configENS1_36segmented_radix_sort_config_selectorIllEEZNS1_25segmented_radix_sort_implIS3_Lb0EPKlPlS8_S9_N2at6native12_GLOBAL__N_18offset_tEEE10hipError_tPvRmT1_PNSt15iterator_traitsISH_E10value_typeET2_T3_PNSI_ISN_E10value_typeET4_jRbjT5_ST_jjP12ihipStream_tbEUlT_E0_NS1_11comp_targetILNS1_3genE8ELNS1_11target_archE1030ELNS1_3gpuE2ELNS1_3repE0EEENS1_60segmented_radix_sort_warp_sort_medium_config_static_selectorELNS0_4arch9wavefront6targetE0EEEvSH_
	.p2align	8
	.type	_ZN7rocprim17ROCPRIM_400000_NS6detail17trampoline_kernelINS0_14default_configENS1_36segmented_radix_sort_config_selectorIllEEZNS1_25segmented_radix_sort_implIS3_Lb0EPKlPlS8_S9_N2at6native12_GLOBAL__N_18offset_tEEE10hipError_tPvRmT1_PNSt15iterator_traitsISH_E10value_typeET2_T3_PNSI_ISN_E10value_typeET4_jRbjT5_ST_jjP12ihipStream_tbEUlT_E0_NS1_11comp_targetILNS1_3genE8ELNS1_11target_archE1030ELNS1_3gpuE2ELNS1_3repE0EEENS1_60segmented_radix_sort_warp_sort_medium_config_static_selectorELNS0_4arch9wavefront6targetE0EEEvSH_,@function
_ZN7rocprim17ROCPRIM_400000_NS6detail17trampoline_kernelINS0_14default_configENS1_36segmented_radix_sort_config_selectorIllEEZNS1_25segmented_radix_sort_implIS3_Lb0EPKlPlS8_S9_N2at6native12_GLOBAL__N_18offset_tEEE10hipError_tPvRmT1_PNSt15iterator_traitsISH_E10value_typeET2_T3_PNSI_ISN_E10value_typeET4_jRbjT5_ST_jjP12ihipStream_tbEUlT_E0_NS1_11comp_targetILNS1_3genE8ELNS1_11target_archE1030ELNS1_3gpuE2ELNS1_3repE0EEENS1_60segmented_radix_sort_warp_sort_medium_config_static_selectorELNS0_4arch9wavefront6targetE0EEEvSH_: ; @_ZN7rocprim17ROCPRIM_400000_NS6detail17trampoline_kernelINS0_14default_configENS1_36segmented_radix_sort_config_selectorIllEEZNS1_25segmented_radix_sort_implIS3_Lb0EPKlPlS8_S9_N2at6native12_GLOBAL__N_18offset_tEEE10hipError_tPvRmT1_PNSt15iterator_traitsISH_E10value_typeET2_T3_PNSI_ISN_E10value_typeET4_jRbjT5_ST_jjP12ihipStream_tbEUlT_E0_NS1_11comp_targetILNS1_3genE8ELNS1_11target_archE1030ELNS1_3gpuE2ELNS1_3repE0EEENS1_60segmented_radix_sort_warp_sort_medium_config_static_selectorELNS0_4arch9wavefront6targetE0EEEvSH_
; %bb.0:
	.section	.rodata,"a",@progbits
	.p2align	6, 0x0
	.amdhsa_kernel _ZN7rocprim17ROCPRIM_400000_NS6detail17trampoline_kernelINS0_14default_configENS1_36segmented_radix_sort_config_selectorIllEEZNS1_25segmented_radix_sort_implIS3_Lb0EPKlPlS8_S9_N2at6native12_GLOBAL__N_18offset_tEEE10hipError_tPvRmT1_PNSt15iterator_traitsISH_E10value_typeET2_T3_PNSI_ISN_E10value_typeET4_jRbjT5_ST_jjP12ihipStream_tbEUlT_E0_NS1_11comp_targetILNS1_3genE8ELNS1_11target_archE1030ELNS1_3gpuE2ELNS1_3repE0EEENS1_60segmented_radix_sort_warp_sort_medium_config_static_selectorELNS0_4arch9wavefront6targetE0EEEvSH_
		.amdhsa_group_segment_fixed_size 0
		.amdhsa_private_segment_fixed_size 0
		.amdhsa_kernarg_size 88
		.amdhsa_user_sgpr_count 2
		.amdhsa_user_sgpr_dispatch_ptr 0
		.amdhsa_user_sgpr_queue_ptr 0
		.amdhsa_user_sgpr_kernarg_segment_ptr 1
		.amdhsa_user_sgpr_dispatch_id 0
		.amdhsa_user_sgpr_private_segment_size 0
		.amdhsa_wavefront_size32 1
		.amdhsa_uses_dynamic_stack 0
		.amdhsa_enable_private_segment 0
		.amdhsa_system_sgpr_workgroup_id_x 1
		.amdhsa_system_sgpr_workgroup_id_y 0
		.amdhsa_system_sgpr_workgroup_id_z 0
		.amdhsa_system_sgpr_workgroup_info 0
		.amdhsa_system_vgpr_workitem_id 0
		.amdhsa_next_free_vgpr 1
		.amdhsa_next_free_sgpr 1
		.amdhsa_reserve_vcc 0
		.amdhsa_float_round_mode_32 0
		.amdhsa_float_round_mode_16_64 0
		.amdhsa_float_denorm_mode_32 3
		.amdhsa_float_denorm_mode_16_64 3
		.amdhsa_fp16_overflow 0
		.amdhsa_workgroup_processor_mode 1
		.amdhsa_memory_ordered 1
		.amdhsa_forward_progress 1
		.amdhsa_inst_pref_size 0
		.amdhsa_round_robin_scheduling 0
		.amdhsa_exception_fp_ieee_invalid_op 0
		.amdhsa_exception_fp_denorm_src 0
		.amdhsa_exception_fp_ieee_div_zero 0
		.amdhsa_exception_fp_ieee_overflow 0
		.amdhsa_exception_fp_ieee_underflow 0
		.amdhsa_exception_fp_ieee_inexact 0
		.amdhsa_exception_int_div_zero 0
	.end_amdhsa_kernel
	.section	.text._ZN7rocprim17ROCPRIM_400000_NS6detail17trampoline_kernelINS0_14default_configENS1_36segmented_radix_sort_config_selectorIllEEZNS1_25segmented_radix_sort_implIS3_Lb0EPKlPlS8_S9_N2at6native12_GLOBAL__N_18offset_tEEE10hipError_tPvRmT1_PNSt15iterator_traitsISH_E10value_typeET2_T3_PNSI_ISN_E10value_typeET4_jRbjT5_ST_jjP12ihipStream_tbEUlT_E0_NS1_11comp_targetILNS1_3genE8ELNS1_11target_archE1030ELNS1_3gpuE2ELNS1_3repE0EEENS1_60segmented_radix_sort_warp_sort_medium_config_static_selectorELNS0_4arch9wavefront6targetE0EEEvSH_,"axG",@progbits,_ZN7rocprim17ROCPRIM_400000_NS6detail17trampoline_kernelINS0_14default_configENS1_36segmented_radix_sort_config_selectorIllEEZNS1_25segmented_radix_sort_implIS3_Lb0EPKlPlS8_S9_N2at6native12_GLOBAL__N_18offset_tEEE10hipError_tPvRmT1_PNSt15iterator_traitsISH_E10value_typeET2_T3_PNSI_ISN_E10value_typeET4_jRbjT5_ST_jjP12ihipStream_tbEUlT_E0_NS1_11comp_targetILNS1_3genE8ELNS1_11target_archE1030ELNS1_3gpuE2ELNS1_3repE0EEENS1_60segmented_radix_sort_warp_sort_medium_config_static_selectorELNS0_4arch9wavefront6targetE0EEEvSH_,comdat
.Lfunc_end826:
	.size	_ZN7rocprim17ROCPRIM_400000_NS6detail17trampoline_kernelINS0_14default_configENS1_36segmented_radix_sort_config_selectorIllEEZNS1_25segmented_radix_sort_implIS3_Lb0EPKlPlS8_S9_N2at6native12_GLOBAL__N_18offset_tEEE10hipError_tPvRmT1_PNSt15iterator_traitsISH_E10value_typeET2_T3_PNSI_ISN_E10value_typeET4_jRbjT5_ST_jjP12ihipStream_tbEUlT_E0_NS1_11comp_targetILNS1_3genE8ELNS1_11target_archE1030ELNS1_3gpuE2ELNS1_3repE0EEENS1_60segmented_radix_sort_warp_sort_medium_config_static_selectorELNS0_4arch9wavefront6targetE0EEEvSH_, .Lfunc_end826-_ZN7rocprim17ROCPRIM_400000_NS6detail17trampoline_kernelINS0_14default_configENS1_36segmented_radix_sort_config_selectorIllEEZNS1_25segmented_radix_sort_implIS3_Lb0EPKlPlS8_S9_N2at6native12_GLOBAL__N_18offset_tEEE10hipError_tPvRmT1_PNSt15iterator_traitsISH_E10value_typeET2_T3_PNSI_ISN_E10value_typeET4_jRbjT5_ST_jjP12ihipStream_tbEUlT_E0_NS1_11comp_targetILNS1_3genE8ELNS1_11target_archE1030ELNS1_3gpuE2ELNS1_3repE0EEENS1_60segmented_radix_sort_warp_sort_medium_config_static_selectorELNS0_4arch9wavefront6targetE0EEEvSH_
                                        ; -- End function
	.set _ZN7rocprim17ROCPRIM_400000_NS6detail17trampoline_kernelINS0_14default_configENS1_36segmented_radix_sort_config_selectorIllEEZNS1_25segmented_radix_sort_implIS3_Lb0EPKlPlS8_S9_N2at6native12_GLOBAL__N_18offset_tEEE10hipError_tPvRmT1_PNSt15iterator_traitsISH_E10value_typeET2_T3_PNSI_ISN_E10value_typeET4_jRbjT5_ST_jjP12ihipStream_tbEUlT_E0_NS1_11comp_targetILNS1_3genE8ELNS1_11target_archE1030ELNS1_3gpuE2ELNS1_3repE0EEENS1_60segmented_radix_sort_warp_sort_medium_config_static_selectorELNS0_4arch9wavefront6targetE0EEEvSH_.num_vgpr, 0
	.set _ZN7rocprim17ROCPRIM_400000_NS6detail17trampoline_kernelINS0_14default_configENS1_36segmented_radix_sort_config_selectorIllEEZNS1_25segmented_radix_sort_implIS3_Lb0EPKlPlS8_S9_N2at6native12_GLOBAL__N_18offset_tEEE10hipError_tPvRmT1_PNSt15iterator_traitsISH_E10value_typeET2_T3_PNSI_ISN_E10value_typeET4_jRbjT5_ST_jjP12ihipStream_tbEUlT_E0_NS1_11comp_targetILNS1_3genE8ELNS1_11target_archE1030ELNS1_3gpuE2ELNS1_3repE0EEENS1_60segmented_radix_sort_warp_sort_medium_config_static_selectorELNS0_4arch9wavefront6targetE0EEEvSH_.num_agpr, 0
	.set _ZN7rocprim17ROCPRIM_400000_NS6detail17trampoline_kernelINS0_14default_configENS1_36segmented_radix_sort_config_selectorIllEEZNS1_25segmented_radix_sort_implIS3_Lb0EPKlPlS8_S9_N2at6native12_GLOBAL__N_18offset_tEEE10hipError_tPvRmT1_PNSt15iterator_traitsISH_E10value_typeET2_T3_PNSI_ISN_E10value_typeET4_jRbjT5_ST_jjP12ihipStream_tbEUlT_E0_NS1_11comp_targetILNS1_3genE8ELNS1_11target_archE1030ELNS1_3gpuE2ELNS1_3repE0EEENS1_60segmented_radix_sort_warp_sort_medium_config_static_selectorELNS0_4arch9wavefront6targetE0EEEvSH_.numbered_sgpr, 0
	.set _ZN7rocprim17ROCPRIM_400000_NS6detail17trampoline_kernelINS0_14default_configENS1_36segmented_radix_sort_config_selectorIllEEZNS1_25segmented_radix_sort_implIS3_Lb0EPKlPlS8_S9_N2at6native12_GLOBAL__N_18offset_tEEE10hipError_tPvRmT1_PNSt15iterator_traitsISH_E10value_typeET2_T3_PNSI_ISN_E10value_typeET4_jRbjT5_ST_jjP12ihipStream_tbEUlT_E0_NS1_11comp_targetILNS1_3genE8ELNS1_11target_archE1030ELNS1_3gpuE2ELNS1_3repE0EEENS1_60segmented_radix_sort_warp_sort_medium_config_static_selectorELNS0_4arch9wavefront6targetE0EEEvSH_.num_named_barrier, 0
	.set _ZN7rocprim17ROCPRIM_400000_NS6detail17trampoline_kernelINS0_14default_configENS1_36segmented_radix_sort_config_selectorIllEEZNS1_25segmented_radix_sort_implIS3_Lb0EPKlPlS8_S9_N2at6native12_GLOBAL__N_18offset_tEEE10hipError_tPvRmT1_PNSt15iterator_traitsISH_E10value_typeET2_T3_PNSI_ISN_E10value_typeET4_jRbjT5_ST_jjP12ihipStream_tbEUlT_E0_NS1_11comp_targetILNS1_3genE8ELNS1_11target_archE1030ELNS1_3gpuE2ELNS1_3repE0EEENS1_60segmented_radix_sort_warp_sort_medium_config_static_selectorELNS0_4arch9wavefront6targetE0EEEvSH_.private_seg_size, 0
	.set _ZN7rocprim17ROCPRIM_400000_NS6detail17trampoline_kernelINS0_14default_configENS1_36segmented_radix_sort_config_selectorIllEEZNS1_25segmented_radix_sort_implIS3_Lb0EPKlPlS8_S9_N2at6native12_GLOBAL__N_18offset_tEEE10hipError_tPvRmT1_PNSt15iterator_traitsISH_E10value_typeET2_T3_PNSI_ISN_E10value_typeET4_jRbjT5_ST_jjP12ihipStream_tbEUlT_E0_NS1_11comp_targetILNS1_3genE8ELNS1_11target_archE1030ELNS1_3gpuE2ELNS1_3repE0EEENS1_60segmented_radix_sort_warp_sort_medium_config_static_selectorELNS0_4arch9wavefront6targetE0EEEvSH_.uses_vcc, 0
	.set _ZN7rocprim17ROCPRIM_400000_NS6detail17trampoline_kernelINS0_14default_configENS1_36segmented_radix_sort_config_selectorIllEEZNS1_25segmented_radix_sort_implIS3_Lb0EPKlPlS8_S9_N2at6native12_GLOBAL__N_18offset_tEEE10hipError_tPvRmT1_PNSt15iterator_traitsISH_E10value_typeET2_T3_PNSI_ISN_E10value_typeET4_jRbjT5_ST_jjP12ihipStream_tbEUlT_E0_NS1_11comp_targetILNS1_3genE8ELNS1_11target_archE1030ELNS1_3gpuE2ELNS1_3repE0EEENS1_60segmented_radix_sort_warp_sort_medium_config_static_selectorELNS0_4arch9wavefront6targetE0EEEvSH_.uses_flat_scratch, 0
	.set _ZN7rocprim17ROCPRIM_400000_NS6detail17trampoline_kernelINS0_14default_configENS1_36segmented_radix_sort_config_selectorIllEEZNS1_25segmented_radix_sort_implIS3_Lb0EPKlPlS8_S9_N2at6native12_GLOBAL__N_18offset_tEEE10hipError_tPvRmT1_PNSt15iterator_traitsISH_E10value_typeET2_T3_PNSI_ISN_E10value_typeET4_jRbjT5_ST_jjP12ihipStream_tbEUlT_E0_NS1_11comp_targetILNS1_3genE8ELNS1_11target_archE1030ELNS1_3gpuE2ELNS1_3repE0EEENS1_60segmented_radix_sort_warp_sort_medium_config_static_selectorELNS0_4arch9wavefront6targetE0EEEvSH_.has_dyn_sized_stack, 0
	.set _ZN7rocprim17ROCPRIM_400000_NS6detail17trampoline_kernelINS0_14default_configENS1_36segmented_radix_sort_config_selectorIllEEZNS1_25segmented_radix_sort_implIS3_Lb0EPKlPlS8_S9_N2at6native12_GLOBAL__N_18offset_tEEE10hipError_tPvRmT1_PNSt15iterator_traitsISH_E10value_typeET2_T3_PNSI_ISN_E10value_typeET4_jRbjT5_ST_jjP12ihipStream_tbEUlT_E0_NS1_11comp_targetILNS1_3genE8ELNS1_11target_archE1030ELNS1_3gpuE2ELNS1_3repE0EEENS1_60segmented_radix_sort_warp_sort_medium_config_static_selectorELNS0_4arch9wavefront6targetE0EEEvSH_.has_recursion, 0
	.set _ZN7rocprim17ROCPRIM_400000_NS6detail17trampoline_kernelINS0_14default_configENS1_36segmented_radix_sort_config_selectorIllEEZNS1_25segmented_radix_sort_implIS3_Lb0EPKlPlS8_S9_N2at6native12_GLOBAL__N_18offset_tEEE10hipError_tPvRmT1_PNSt15iterator_traitsISH_E10value_typeET2_T3_PNSI_ISN_E10value_typeET4_jRbjT5_ST_jjP12ihipStream_tbEUlT_E0_NS1_11comp_targetILNS1_3genE8ELNS1_11target_archE1030ELNS1_3gpuE2ELNS1_3repE0EEENS1_60segmented_radix_sort_warp_sort_medium_config_static_selectorELNS0_4arch9wavefront6targetE0EEEvSH_.has_indirect_call, 0
	.section	.AMDGPU.csdata,"",@progbits
; Kernel info:
; codeLenInByte = 0
; TotalNumSgprs: 0
; NumVgprs: 0
; ScratchSize: 0
; MemoryBound: 0
; FloatMode: 240
; IeeeMode: 1
; LDSByteSize: 0 bytes/workgroup (compile time only)
; SGPRBlocks: 0
; VGPRBlocks: 0
; NumSGPRsForWavesPerEU: 1
; NumVGPRsForWavesPerEU: 1
; Occupancy: 16
; WaveLimiterHint : 0
; COMPUTE_PGM_RSRC2:SCRATCH_EN: 0
; COMPUTE_PGM_RSRC2:USER_SGPR: 2
; COMPUTE_PGM_RSRC2:TRAP_HANDLER: 0
; COMPUTE_PGM_RSRC2:TGID_X_EN: 1
; COMPUTE_PGM_RSRC2:TGID_Y_EN: 0
; COMPUTE_PGM_RSRC2:TGID_Z_EN: 0
; COMPUTE_PGM_RSRC2:TIDIG_COMP_CNT: 0
	.section	.text._ZN7rocprim17ROCPRIM_400000_NS6detail17trampoline_kernelINS0_14default_configENS1_36segmented_radix_sort_config_selectorIllEEZNS1_25segmented_radix_sort_implIS3_Lb0EPKlPlS8_S9_N2at6native12_GLOBAL__N_18offset_tEEE10hipError_tPvRmT1_PNSt15iterator_traitsISH_E10value_typeET2_T3_PNSI_ISN_E10value_typeET4_jRbjT5_ST_jjP12ihipStream_tbEUlT_E1_NS1_11comp_targetILNS1_3genE0ELNS1_11target_archE4294967295ELNS1_3gpuE0ELNS1_3repE0EEENS1_59segmented_radix_sort_warp_sort_small_config_static_selectorELNS0_4arch9wavefront6targetE0EEEvSH_,"axG",@progbits,_ZN7rocprim17ROCPRIM_400000_NS6detail17trampoline_kernelINS0_14default_configENS1_36segmented_radix_sort_config_selectorIllEEZNS1_25segmented_radix_sort_implIS3_Lb0EPKlPlS8_S9_N2at6native12_GLOBAL__N_18offset_tEEE10hipError_tPvRmT1_PNSt15iterator_traitsISH_E10value_typeET2_T3_PNSI_ISN_E10value_typeET4_jRbjT5_ST_jjP12ihipStream_tbEUlT_E1_NS1_11comp_targetILNS1_3genE0ELNS1_11target_archE4294967295ELNS1_3gpuE0ELNS1_3repE0EEENS1_59segmented_radix_sort_warp_sort_small_config_static_selectorELNS0_4arch9wavefront6targetE0EEEvSH_,comdat
	.globl	_ZN7rocprim17ROCPRIM_400000_NS6detail17trampoline_kernelINS0_14default_configENS1_36segmented_radix_sort_config_selectorIllEEZNS1_25segmented_radix_sort_implIS3_Lb0EPKlPlS8_S9_N2at6native12_GLOBAL__N_18offset_tEEE10hipError_tPvRmT1_PNSt15iterator_traitsISH_E10value_typeET2_T3_PNSI_ISN_E10value_typeET4_jRbjT5_ST_jjP12ihipStream_tbEUlT_E1_NS1_11comp_targetILNS1_3genE0ELNS1_11target_archE4294967295ELNS1_3gpuE0ELNS1_3repE0EEENS1_59segmented_radix_sort_warp_sort_small_config_static_selectorELNS0_4arch9wavefront6targetE0EEEvSH_ ; -- Begin function _ZN7rocprim17ROCPRIM_400000_NS6detail17trampoline_kernelINS0_14default_configENS1_36segmented_radix_sort_config_selectorIllEEZNS1_25segmented_radix_sort_implIS3_Lb0EPKlPlS8_S9_N2at6native12_GLOBAL__N_18offset_tEEE10hipError_tPvRmT1_PNSt15iterator_traitsISH_E10value_typeET2_T3_PNSI_ISN_E10value_typeET4_jRbjT5_ST_jjP12ihipStream_tbEUlT_E1_NS1_11comp_targetILNS1_3genE0ELNS1_11target_archE4294967295ELNS1_3gpuE0ELNS1_3repE0EEENS1_59segmented_radix_sort_warp_sort_small_config_static_selectorELNS0_4arch9wavefront6targetE0EEEvSH_
	.p2align	8
	.type	_ZN7rocprim17ROCPRIM_400000_NS6detail17trampoline_kernelINS0_14default_configENS1_36segmented_radix_sort_config_selectorIllEEZNS1_25segmented_radix_sort_implIS3_Lb0EPKlPlS8_S9_N2at6native12_GLOBAL__N_18offset_tEEE10hipError_tPvRmT1_PNSt15iterator_traitsISH_E10value_typeET2_T3_PNSI_ISN_E10value_typeET4_jRbjT5_ST_jjP12ihipStream_tbEUlT_E1_NS1_11comp_targetILNS1_3genE0ELNS1_11target_archE4294967295ELNS1_3gpuE0ELNS1_3repE0EEENS1_59segmented_radix_sort_warp_sort_small_config_static_selectorELNS0_4arch9wavefront6targetE0EEEvSH_,@function
_ZN7rocprim17ROCPRIM_400000_NS6detail17trampoline_kernelINS0_14default_configENS1_36segmented_radix_sort_config_selectorIllEEZNS1_25segmented_radix_sort_implIS3_Lb0EPKlPlS8_S9_N2at6native12_GLOBAL__N_18offset_tEEE10hipError_tPvRmT1_PNSt15iterator_traitsISH_E10value_typeET2_T3_PNSI_ISN_E10value_typeET4_jRbjT5_ST_jjP12ihipStream_tbEUlT_E1_NS1_11comp_targetILNS1_3genE0ELNS1_11target_archE4294967295ELNS1_3gpuE0ELNS1_3repE0EEENS1_59segmented_radix_sort_warp_sort_small_config_static_selectorELNS0_4arch9wavefront6targetE0EEEvSH_: ; @_ZN7rocprim17ROCPRIM_400000_NS6detail17trampoline_kernelINS0_14default_configENS1_36segmented_radix_sort_config_selectorIllEEZNS1_25segmented_radix_sort_implIS3_Lb0EPKlPlS8_S9_N2at6native12_GLOBAL__N_18offset_tEEE10hipError_tPvRmT1_PNSt15iterator_traitsISH_E10value_typeET2_T3_PNSI_ISN_E10value_typeET4_jRbjT5_ST_jjP12ihipStream_tbEUlT_E1_NS1_11comp_targetILNS1_3genE0ELNS1_11target_archE4294967295ELNS1_3gpuE0ELNS1_3repE0EEENS1_59segmented_radix_sort_warp_sort_small_config_static_selectorELNS0_4arch9wavefront6targetE0EEEvSH_
; %bb.0:
	.section	.rodata,"a",@progbits
	.p2align	6, 0x0
	.amdhsa_kernel _ZN7rocprim17ROCPRIM_400000_NS6detail17trampoline_kernelINS0_14default_configENS1_36segmented_radix_sort_config_selectorIllEEZNS1_25segmented_radix_sort_implIS3_Lb0EPKlPlS8_S9_N2at6native12_GLOBAL__N_18offset_tEEE10hipError_tPvRmT1_PNSt15iterator_traitsISH_E10value_typeET2_T3_PNSI_ISN_E10value_typeET4_jRbjT5_ST_jjP12ihipStream_tbEUlT_E1_NS1_11comp_targetILNS1_3genE0ELNS1_11target_archE4294967295ELNS1_3gpuE0ELNS1_3repE0EEENS1_59segmented_radix_sort_warp_sort_small_config_static_selectorELNS0_4arch9wavefront6targetE0EEEvSH_
		.amdhsa_group_segment_fixed_size 0
		.amdhsa_private_segment_fixed_size 0
		.amdhsa_kernarg_size 88
		.amdhsa_user_sgpr_count 2
		.amdhsa_user_sgpr_dispatch_ptr 0
		.amdhsa_user_sgpr_queue_ptr 0
		.amdhsa_user_sgpr_kernarg_segment_ptr 1
		.amdhsa_user_sgpr_dispatch_id 0
		.amdhsa_user_sgpr_private_segment_size 0
		.amdhsa_wavefront_size32 1
		.amdhsa_uses_dynamic_stack 0
		.amdhsa_enable_private_segment 0
		.amdhsa_system_sgpr_workgroup_id_x 1
		.amdhsa_system_sgpr_workgroup_id_y 0
		.amdhsa_system_sgpr_workgroup_id_z 0
		.amdhsa_system_sgpr_workgroup_info 0
		.amdhsa_system_vgpr_workitem_id 0
		.amdhsa_next_free_vgpr 1
		.amdhsa_next_free_sgpr 1
		.amdhsa_reserve_vcc 0
		.amdhsa_float_round_mode_32 0
		.amdhsa_float_round_mode_16_64 0
		.amdhsa_float_denorm_mode_32 3
		.amdhsa_float_denorm_mode_16_64 3
		.amdhsa_fp16_overflow 0
		.amdhsa_workgroup_processor_mode 1
		.amdhsa_memory_ordered 1
		.amdhsa_forward_progress 1
		.amdhsa_inst_pref_size 0
		.amdhsa_round_robin_scheduling 0
		.amdhsa_exception_fp_ieee_invalid_op 0
		.amdhsa_exception_fp_denorm_src 0
		.amdhsa_exception_fp_ieee_div_zero 0
		.amdhsa_exception_fp_ieee_overflow 0
		.amdhsa_exception_fp_ieee_underflow 0
		.amdhsa_exception_fp_ieee_inexact 0
		.amdhsa_exception_int_div_zero 0
	.end_amdhsa_kernel
	.section	.text._ZN7rocprim17ROCPRIM_400000_NS6detail17trampoline_kernelINS0_14default_configENS1_36segmented_radix_sort_config_selectorIllEEZNS1_25segmented_radix_sort_implIS3_Lb0EPKlPlS8_S9_N2at6native12_GLOBAL__N_18offset_tEEE10hipError_tPvRmT1_PNSt15iterator_traitsISH_E10value_typeET2_T3_PNSI_ISN_E10value_typeET4_jRbjT5_ST_jjP12ihipStream_tbEUlT_E1_NS1_11comp_targetILNS1_3genE0ELNS1_11target_archE4294967295ELNS1_3gpuE0ELNS1_3repE0EEENS1_59segmented_radix_sort_warp_sort_small_config_static_selectorELNS0_4arch9wavefront6targetE0EEEvSH_,"axG",@progbits,_ZN7rocprim17ROCPRIM_400000_NS6detail17trampoline_kernelINS0_14default_configENS1_36segmented_radix_sort_config_selectorIllEEZNS1_25segmented_radix_sort_implIS3_Lb0EPKlPlS8_S9_N2at6native12_GLOBAL__N_18offset_tEEE10hipError_tPvRmT1_PNSt15iterator_traitsISH_E10value_typeET2_T3_PNSI_ISN_E10value_typeET4_jRbjT5_ST_jjP12ihipStream_tbEUlT_E1_NS1_11comp_targetILNS1_3genE0ELNS1_11target_archE4294967295ELNS1_3gpuE0ELNS1_3repE0EEENS1_59segmented_radix_sort_warp_sort_small_config_static_selectorELNS0_4arch9wavefront6targetE0EEEvSH_,comdat
.Lfunc_end827:
	.size	_ZN7rocprim17ROCPRIM_400000_NS6detail17trampoline_kernelINS0_14default_configENS1_36segmented_radix_sort_config_selectorIllEEZNS1_25segmented_radix_sort_implIS3_Lb0EPKlPlS8_S9_N2at6native12_GLOBAL__N_18offset_tEEE10hipError_tPvRmT1_PNSt15iterator_traitsISH_E10value_typeET2_T3_PNSI_ISN_E10value_typeET4_jRbjT5_ST_jjP12ihipStream_tbEUlT_E1_NS1_11comp_targetILNS1_3genE0ELNS1_11target_archE4294967295ELNS1_3gpuE0ELNS1_3repE0EEENS1_59segmented_radix_sort_warp_sort_small_config_static_selectorELNS0_4arch9wavefront6targetE0EEEvSH_, .Lfunc_end827-_ZN7rocprim17ROCPRIM_400000_NS6detail17trampoline_kernelINS0_14default_configENS1_36segmented_radix_sort_config_selectorIllEEZNS1_25segmented_radix_sort_implIS3_Lb0EPKlPlS8_S9_N2at6native12_GLOBAL__N_18offset_tEEE10hipError_tPvRmT1_PNSt15iterator_traitsISH_E10value_typeET2_T3_PNSI_ISN_E10value_typeET4_jRbjT5_ST_jjP12ihipStream_tbEUlT_E1_NS1_11comp_targetILNS1_3genE0ELNS1_11target_archE4294967295ELNS1_3gpuE0ELNS1_3repE0EEENS1_59segmented_radix_sort_warp_sort_small_config_static_selectorELNS0_4arch9wavefront6targetE0EEEvSH_
                                        ; -- End function
	.set _ZN7rocprim17ROCPRIM_400000_NS6detail17trampoline_kernelINS0_14default_configENS1_36segmented_radix_sort_config_selectorIllEEZNS1_25segmented_radix_sort_implIS3_Lb0EPKlPlS8_S9_N2at6native12_GLOBAL__N_18offset_tEEE10hipError_tPvRmT1_PNSt15iterator_traitsISH_E10value_typeET2_T3_PNSI_ISN_E10value_typeET4_jRbjT5_ST_jjP12ihipStream_tbEUlT_E1_NS1_11comp_targetILNS1_3genE0ELNS1_11target_archE4294967295ELNS1_3gpuE0ELNS1_3repE0EEENS1_59segmented_radix_sort_warp_sort_small_config_static_selectorELNS0_4arch9wavefront6targetE0EEEvSH_.num_vgpr, 0
	.set _ZN7rocprim17ROCPRIM_400000_NS6detail17trampoline_kernelINS0_14default_configENS1_36segmented_radix_sort_config_selectorIllEEZNS1_25segmented_radix_sort_implIS3_Lb0EPKlPlS8_S9_N2at6native12_GLOBAL__N_18offset_tEEE10hipError_tPvRmT1_PNSt15iterator_traitsISH_E10value_typeET2_T3_PNSI_ISN_E10value_typeET4_jRbjT5_ST_jjP12ihipStream_tbEUlT_E1_NS1_11comp_targetILNS1_3genE0ELNS1_11target_archE4294967295ELNS1_3gpuE0ELNS1_3repE0EEENS1_59segmented_radix_sort_warp_sort_small_config_static_selectorELNS0_4arch9wavefront6targetE0EEEvSH_.num_agpr, 0
	.set _ZN7rocprim17ROCPRIM_400000_NS6detail17trampoline_kernelINS0_14default_configENS1_36segmented_radix_sort_config_selectorIllEEZNS1_25segmented_radix_sort_implIS3_Lb0EPKlPlS8_S9_N2at6native12_GLOBAL__N_18offset_tEEE10hipError_tPvRmT1_PNSt15iterator_traitsISH_E10value_typeET2_T3_PNSI_ISN_E10value_typeET4_jRbjT5_ST_jjP12ihipStream_tbEUlT_E1_NS1_11comp_targetILNS1_3genE0ELNS1_11target_archE4294967295ELNS1_3gpuE0ELNS1_3repE0EEENS1_59segmented_radix_sort_warp_sort_small_config_static_selectorELNS0_4arch9wavefront6targetE0EEEvSH_.numbered_sgpr, 0
	.set _ZN7rocprim17ROCPRIM_400000_NS6detail17trampoline_kernelINS0_14default_configENS1_36segmented_radix_sort_config_selectorIllEEZNS1_25segmented_radix_sort_implIS3_Lb0EPKlPlS8_S9_N2at6native12_GLOBAL__N_18offset_tEEE10hipError_tPvRmT1_PNSt15iterator_traitsISH_E10value_typeET2_T3_PNSI_ISN_E10value_typeET4_jRbjT5_ST_jjP12ihipStream_tbEUlT_E1_NS1_11comp_targetILNS1_3genE0ELNS1_11target_archE4294967295ELNS1_3gpuE0ELNS1_3repE0EEENS1_59segmented_radix_sort_warp_sort_small_config_static_selectorELNS0_4arch9wavefront6targetE0EEEvSH_.num_named_barrier, 0
	.set _ZN7rocprim17ROCPRIM_400000_NS6detail17trampoline_kernelINS0_14default_configENS1_36segmented_radix_sort_config_selectorIllEEZNS1_25segmented_radix_sort_implIS3_Lb0EPKlPlS8_S9_N2at6native12_GLOBAL__N_18offset_tEEE10hipError_tPvRmT1_PNSt15iterator_traitsISH_E10value_typeET2_T3_PNSI_ISN_E10value_typeET4_jRbjT5_ST_jjP12ihipStream_tbEUlT_E1_NS1_11comp_targetILNS1_3genE0ELNS1_11target_archE4294967295ELNS1_3gpuE0ELNS1_3repE0EEENS1_59segmented_radix_sort_warp_sort_small_config_static_selectorELNS0_4arch9wavefront6targetE0EEEvSH_.private_seg_size, 0
	.set _ZN7rocprim17ROCPRIM_400000_NS6detail17trampoline_kernelINS0_14default_configENS1_36segmented_radix_sort_config_selectorIllEEZNS1_25segmented_radix_sort_implIS3_Lb0EPKlPlS8_S9_N2at6native12_GLOBAL__N_18offset_tEEE10hipError_tPvRmT1_PNSt15iterator_traitsISH_E10value_typeET2_T3_PNSI_ISN_E10value_typeET4_jRbjT5_ST_jjP12ihipStream_tbEUlT_E1_NS1_11comp_targetILNS1_3genE0ELNS1_11target_archE4294967295ELNS1_3gpuE0ELNS1_3repE0EEENS1_59segmented_radix_sort_warp_sort_small_config_static_selectorELNS0_4arch9wavefront6targetE0EEEvSH_.uses_vcc, 0
	.set _ZN7rocprim17ROCPRIM_400000_NS6detail17trampoline_kernelINS0_14default_configENS1_36segmented_radix_sort_config_selectorIllEEZNS1_25segmented_radix_sort_implIS3_Lb0EPKlPlS8_S9_N2at6native12_GLOBAL__N_18offset_tEEE10hipError_tPvRmT1_PNSt15iterator_traitsISH_E10value_typeET2_T3_PNSI_ISN_E10value_typeET4_jRbjT5_ST_jjP12ihipStream_tbEUlT_E1_NS1_11comp_targetILNS1_3genE0ELNS1_11target_archE4294967295ELNS1_3gpuE0ELNS1_3repE0EEENS1_59segmented_radix_sort_warp_sort_small_config_static_selectorELNS0_4arch9wavefront6targetE0EEEvSH_.uses_flat_scratch, 0
	.set _ZN7rocprim17ROCPRIM_400000_NS6detail17trampoline_kernelINS0_14default_configENS1_36segmented_radix_sort_config_selectorIllEEZNS1_25segmented_radix_sort_implIS3_Lb0EPKlPlS8_S9_N2at6native12_GLOBAL__N_18offset_tEEE10hipError_tPvRmT1_PNSt15iterator_traitsISH_E10value_typeET2_T3_PNSI_ISN_E10value_typeET4_jRbjT5_ST_jjP12ihipStream_tbEUlT_E1_NS1_11comp_targetILNS1_3genE0ELNS1_11target_archE4294967295ELNS1_3gpuE0ELNS1_3repE0EEENS1_59segmented_radix_sort_warp_sort_small_config_static_selectorELNS0_4arch9wavefront6targetE0EEEvSH_.has_dyn_sized_stack, 0
	.set _ZN7rocprim17ROCPRIM_400000_NS6detail17trampoline_kernelINS0_14default_configENS1_36segmented_radix_sort_config_selectorIllEEZNS1_25segmented_radix_sort_implIS3_Lb0EPKlPlS8_S9_N2at6native12_GLOBAL__N_18offset_tEEE10hipError_tPvRmT1_PNSt15iterator_traitsISH_E10value_typeET2_T3_PNSI_ISN_E10value_typeET4_jRbjT5_ST_jjP12ihipStream_tbEUlT_E1_NS1_11comp_targetILNS1_3genE0ELNS1_11target_archE4294967295ELNS1_3gpuE0ELNS1_3repE0EEENS1_59segmented_radix_sort_warp_sort_small_config_static_selectorELNS0_4arch9wavefront6targetE0EEEvSH_.has_recursion, 0
	.set _ZN7rocprim17ROCPRIM_400000_NS6detail17trampoline_kernelINS0_14default_configENS1_36segmented_radix_sort_config_selectorIllEEZNS1_25segmented_radix_sort_implIS3_Lb0EPKlPlS8_S9_N2at6native12_GLOBAL__N_18offset_tEEE10hipError_tPvRmT1_PNSt15iterator_traitsISH_E10value_typeET2_T3_PNSI_ISN_E10value_typeET4_jRbjT5_ST_jjP12ihipStream_tbEUlT_E1_NS1_11comp_targetILNS1_3genE0ELNS1_11target_archE4294967295ELNS1_3gpuE0ELNS1_3repE0EEENS1_59segmented_radix_sort_warp_sort_small_config_static_selectorELNS0_4arch9wavefront6targetE0EEEvSH_.has_indirect_call, 0
	.section	.AMDGPU.csdata,"",@progbits
; Kernel info:
; codeLenInByte = 0
; TotalNumSgprs: 0
; NumVgprs: 0
; ScratchSize: 0
; MemoryBound: 0
; FloatMode: 240
; IeeeMode: 1
; LDSByteSize: 0 bytes/workgroup (compile time only)
; SGPRBlocks: 0
; VGPRBlocks: 0
; NumSGPRsForWavesPerEU: 1
; NumVGPRsForWavesPerEU: 1
; Occupancy: 16
; WaveLimiterHint : 0
; COMPUTE_PGM_RSRC2:SCRATCH_EN: 0
; COMPUTE_PGM_RSRC2:USER_SGPR: 2
; COMPUTE_PGM_RSRC2:TRAP_HANDLER: 0
; COMPUTE_PGM_RSRC2:TGID_X_EN: 1
; COMPUTE_PGM_RSRC2:TGID_Y_EN: 0
; COMPUTE_PGM_RSRC2:TGID_Z_EN: 0
; COMPUTE_PGM_RSRC2:TIDIG_COMP_CNT: 0
	.section	.text._ZN7rocprim17ROCPRIM_400000_NS6detail17trampoline_kernelINS0_14default_configENS1_36segmented_radix_sort_config_selectorIllEEZNS1_25segmented_radix_sort_implIS3_Lb0EPKlPlS8_S9_N2at6native12_GLOBAL__N_18offset_tEEE10hipError_tPvRmT1_PNSt15iterator_traitsISH_E10value_typeET2_T3_PNSI_ISN_E10value_typeET4_jRbjT5_ST_jjP12ihipStream_tbEUlT_E1_NS1_11comp_targetILNS1_3genE5ELNS1_11target_archE942ELNS1_3gpuE9ELNS1_3repE0EEENS1_59segmented_radix_sort_warp_sort_small_config_static_selectorELNS0_4arch9wavefront6targetE0EEEvSH_,"axG",@progbits,_ZN7rocprim17ROCPRIM_400000_NS6detail17trampoline_kernelINS0_14default_configENS1_36segmented_radix_sort_config_selectorIllEEZNS1_25segmented_radix_sort_implIS3_Lb0EPKlPlS8_S9_N2at6native12_GLOBAL__N_18offset_tEEE10hipError_tPvRmT1_PNSt15iterator_traitsISH_E10value_typeET2_T3_PNSI_ISN_E10value_typeET4_jRbjT5_ST_jjP12ihipStream_tbEUlT_E1_NS1_11comp_targetILNS1_3genE5ELNS1_11target_archE942ELNS1_3gpuE9ELNS1_3repE0EEENS1_59segmented_radix_sort_warp_sort_small_config_static_selectorELNS0_4arch9wavefront6targetE0EEEvSH_,comdat
	.globl	_ZN7rocprim17ROCPRIM_400000_NS6detail17trampoline_kernelINS0_14default_configENS1_36segmented_radix_sort_config_selectorIllEEZNS1_25segmented_radix_sort_implIS3_Lb0EPKlPlS8_S9_N2at6native12_GLOBAL__N_18offset_tEEE10hipError_tPvRmT1_PNSt15iterator_traitsISH_E10value_typeET2_T3_PNSI_ISN_E10value_typeET4_jRbjT5_ST_jjP12ihipStream_tbEUlT_E1_NS1_11comp_targetILNS1_3genE5ELNS1_11target_archE942ELNS1_3gpuE9ELNS1_3repE0EEENS1_59segmented_radix_sort_warp_sort_small_config_static_selectorELNS0_4arch9wavefront6targetE0EEEvSH_ ; -- Begin function _ZN7rocprim17ROCPRIM_400000_NS6detail17trampoline_kernelINS0_14default_configENS1_36segmented_radix_sort_config_selectorIllEEZNS1_25segmented_radix_sort_implIS3_Lb0EPKlPlS8_S9_N2at6native12_GLOBAL__N_18offset_tEEE10hipError_tPvRmT1_PNSt15iterator_traitsISH_E10value_typeET2_T3_PNSI_ISN_E10value_typeET4_jRbjT5_ST_jjP12ihipStream_tbEUlT_E1_NS1_11comp_targetILNS1_3genE5ELNS1_11target_archE942ELNS1_3gpuE9ELNS1_3repE0EEENS1_59segmented_radix_sort_warp_sort_small_config_static_selectorELNS0_4arch9wavefront6targetE0EEEvSH_
	.p2align	8
	.type	_ZN7rocprim17ROCPRIM_400000_NS6detail17trampoline_kernelINS0_14default_configENS1_36segmented_radix_sort_config_selectorIllEEZNS1_25segmented_radix_sort_implIS3_Lb0EPKlPlS8_S9_N2at6native12_GLOBAL__N_18offset_tEEE10hipError_tPvRmT1_PNSt15iterator_traitsISH_E10value_typeET2_T3_PNSI_ISN_E10value_typeET4_jRbjT5_ST_jjP12ihipStream_tbEUlT_E1_NS1_11comp_targetILNS1_3genE5ELNS1_11target_archE942ELNS1_3gpuE9ELNS1_3repE0EEENS1_59segmented_radix_sort_warp_sort_small_config_static_selectorELNS0_4arch9wavefront6targetE0EEEvSH_,@function
_ZN7rocprim17ROCPRIM_400000_NS6detail17trampoline_kernelINS0_14default_configENS1_36segmented_radix_sort_config_selectorIllEEZNS1_25segmented_radix_sort_implIS3_Lb0EPKlPlS8_S9_N2at6native12_GLOBAL__N_18offset_tEEE10hipError_tPvRmT1_PNSt15iterator_traitsISH_E10value_typeET2_T3_PNSI_ISN_E10value_typeET4_jRbjT5_ST_jjP12ihipStream_tbEUlT_E1_NS1_11comp_targetILNS1_3genE5ELNS1_11target_archE942ELNS1_3gpuE9ELNS1_3repE0EEENS1_59segmented_radix_sort_warp_sort_small_config_static_selectorELNS0_4arch9wavefront6targetE0EEEvSH_: ; @_ZN7rocprim17ROCPRIM_400000_NS6detail17trampoline_kernelINS0_14default_configENS1_36segmented_radix_sort_config_selectorIllEEZNS1_25segmented_radix_sort_implIS3_Lb0EPKlPlS8_S9_N2at6native12_GLOBAL__N_18offset_tEEE10hipError_tPvRmT1_PNSt15iterator_traitsISH_E10value_typeET2_T3_PNSI_ISN_E10value_typeET4_jRbjT5_ST_jjP12ihipStream_tbEUlT_E1_NS1_11comp_targetILNS1_3genE5ELNS1_11target_archE942ELNS1_3gpuE9ELNS1_3repE0EEENS1_59segmented_radix_sort_warp_sort_small_config_static_selectorELNS0_4arch9wavefront6targetE0EEEvSH_
; %bb.0:
	.section	.rodata,"a",@progbits
	.p2align	6, 0x0
	.amdhsa_kernel _ZN7rocprim17ROCPRIM_400000_NS6detail17trampoline_kernelINS0_14default_configENS1_36segmented_radix_sort_config_selectorIllEEZNS1_25segmented_radix_sort_implIS3_Lb0EPKlPlS8_S9_N2at6native12_GLOBAL__N_18offset_tEEE10hipError_tPvRmT1_PNSt15iterator_traitsISH_E10value_typeET2_T3_PNSI_ISN_E10value_typeET4_jRbjT5_ST_jjP12ihipStream_tbEUlT_E1_NS1_11comp_targetILNS1_3genE5ELNS1_11target_archE942ELNS1_3gpuE9ELNS1_3repE0EEENS1_59segmented_radix_sort_warp_sort_small_config_static_selectorELNS0_4arch9wavefront6targetE0EEEvSH_
		.amdhsa_group_segment_fixed_size 0
		.amdhsa_private_segment_fixed_size 0
		.amdhsa_kernarg_size 88
		.amdhsa_user_sgpr_count 2
		.amdhsa_user_sgpr_dispatch_ptr 0
		.amdhsa_user_sgpr_queue_ptr 0
		.amdhsa_user_sgpr_kernarg_segment_ptr 1
		.amdhsa_user_sgpr_dispatch_id 0
		.amdhsa_user_sgpr_private_segment_size 0
		.amdhsa_wavefront_size32 1
		.amdhsa_uses_dynamic_stack 0
		.amdhsa_enable_private_segment 0
		.amdhsa_system_sgpr_workgroup_id_x 1
		.amdhsa_system_sgpr_workgroup_id_y 0
		.amdhsa_system_sgpr_workgroup_id_z 0
		.amdhsa_system_sgpr_workgroup_info 0
		.amdhsa_system_vgpr_workitem_id 0
		.amdhsa_next_free_vgpr 1
		.amdhsa_next_free_sgpr 1
		.amdhsa_reserve_vcc 0
		.amdhsa_float_round_mode_32 0
		.amdhsa_float_round_mode_16_64 0
		.amdhsa_float_denorm_mode_32 3
		.amdhsa_float_denorm_mode_16_64 3
		.amdhsa_fp16_overflow 0
		.amdhsa_workgroup_processor_mode 1
		.amdhsa_memory_ordered 1
		.amdhsa_forward_progress 1
		.amdhsa_inst_pref_size 0
		.amdhsa_round_robin_scheduling 0
		.amdhsa_exception_fp_ieee_invalid_op 0
		.amdhsa_exception_fp_denorm_src 0
		.amdhsa_exception_fp_ieee_div_zero 0
		.amdhsa_exception_fp_ieee_overflow 0
		.amdhsa_exception_fp_ieee_underflow 0
		.amdhsa_exception_fp_ieee_inexact 0
		.amdhsa_exception_int_div_zero 0
	.end_amdhsa_kernel
	.section	.text._ZN7rocprim17ROCPRIM_400000_NS6detail17trampoline_kernelINS0_14default_configENS1_36segmented_radix_sort_config_selectorIllEEZNS1_25segmented_radix_sort_implIS3_Lb0EPKlPlS8_S9_N2at6native12_GLOBAL__N_18offset_tEEE10hipError_tPvRmT1_PNSt15iterator_traitsISH_E10value_typeET2_T3_PNSI_ISN_E10value_typeET4_jRbjT5_ST_jjP12ihipStream_tbEUlT_E1_NS1_11comp_targetILNS1_3genE5ELNS1_11target_archE942ELNS1_3gpuE9ELNS1_3repE0EEENS1_59segmented_radix_sort_warp_sort_small_config_static_selectorELNS0_4arch9wavefront6targetE0EEEvSH_,"axG",@progbits,_ZN7rocprim17ROCPRIM_400000_NS6detail17trampoline_kernelINS0_14default_configENS1_36segmented_radix_sort_config_selectorIllEEZNS1_25segmented_radix_sort_implIS3_Lb0EPKlPlS8_S9_N2at6native12_GLOBAL__N_18offset_tEEE10hipError_tPvRmT1_PNSt15iterator_traitsISH_E10value_typeET2_T3_PNSI_ISN_E10value_typeET4_jRbjT5_ST_jjP12ihipStream_tbEUlT_E1_NS1_11comp_targetILNS1_3genE5ELNS1_11target_archE942ELNS1_3gpuE9ELNS1_3repE0EEENS1_59segmented_radix_sort_warp_sort_small_config_static_selectorELNS0_4arch9wavefront6targetE0EEEvSH_,comdat
.Lfunc_end828:
	.size	_ZN7rocprim17ROCPRIM_400000_NS6detail17trampoline_kernelINS0_14default_configENS1_36segmented_radix_sort_config_selectorIllEEZNS1_25segmented_radix_sort_implIS3_Lb0EPKlPlS8_S9_N2at6native12_GLOBAL__N_18offset_tEEE10hipError_tPvRmT1_PNSt15iterator_traitsISH_E10value_typeET2_T3_PNSI_ISN_E10value_typeET4_jRbjT5_ST_jjP12ihipStream_tbEUlT_E1_NS1_11comp_targetILNS1_3genE5ELNS1_11target_archE942ELNS1_3gpuE9ELNS1_3repE0EEENS1_59segmented_radix_sort_warp_sort_small_config_static_selectorELNS0_4arch9wavefront6targetE0EEEvSH_, .Lfunc_end828-_ZN7rocprim17ROCPRIM_400000_NS6detail17trampoline_kernelINS0_14default_configENS1_36segmented_radix_sort_config_selectorIllEEZNS1_25segmented_radix_sort_implIS3_Lb0EPKlPlS8_S9_N2at6native12_GLOBAL__N_18offset_tEEE10hipError_tPvRmT1_PNSt15iterator_traitsISH_E10value_typeET2_T3_PNSI_ISN_E10value_typeET4_jRbjT5_ST_jjP12ihipStream_tbEUlT_E1_NS1_11comp_targetILNS1_3genE5ELNS1_11target_archE942ELNS1_3gpuE9ELNS1_3repE0EEENS1_59segmented_radix_sort_warp_sort_small_config_static_selectorELNS0_4arch9wavefront6targetE0EEEvSH_
                                        ; -- End function
	.set _ZN7rocprim17ROCPRIM_400000_NS6detail17trampoline_kernelINS0_14default_configENS1_36segmented_radix_sort_config_selectorIllEEZNS1_25segmented_radix_sort_implIS3_Lb0EPKlPlS8_S9_N2at6native12_GLOBAL__N_18offset_tEEE10hipError_tPvRmT1_PNSt15iterator_traitsISH_E10value_typeET2_T3_PNSI_ISN_E10value_typeET4_jRbjT5_ST_jjP12ihipStream_tbEUlT_E1_NS1_11comp_targetILNS1_3genE5ELNS1_11target_archE942ELNS1_3gpuE9ELNS1_3repE0EEENS1_59segmented_radix_sort_warp_sort_small_config_static_selectorELNS0_4arch9wavefront6targetE0EEEvSH_.num_vgpr, 0
	.set _ZN7rocprim17ROCPRIM_400000_NS6detail17trampoline_kernelINS0_14default_configENS1_36segmented_radix_sort_config_selectorIllEEZNS1_25segmented_radix_sort_implIS3_Lb0EPKlPlS8_S9_N2at6native12_GLOBAL__N_18offset_tEEE10hipError_tPvRmT1_PNSt15iterator_traitsISH_E10value_typeET2_T3_PNSI_ISN_E10value_typeET4_jRbjT5_ST_jjP12ihipStream_tbEUlT_E1_NS1_11comp_targetILNS1_3genE5ELNS1_11target_archE942ELNS1_3gpuE9ELNS1_3repE0EEENS1_59segmented_radix_sort_warp_sort_small_config_static_selectorELNS0_4arch9wavefront6targetE0EEEvSH_.num_agpr, 0
	.set _ZN7rocprim17ROCPRIM_400000_NS6detail17trampoline_kernelINS0_14default_configENS1_36segmented_radix_sort_config_selectorIllEEZNS1_25segmented_radix_sort_implIS3_Lb0EPKlPlS8_S9_N2at6native12_GLOBAL__N_18offset_tEEE10hipError_tPvRmT1_PNSt15iterator_traitsISH_E10value_typeET2_T3_PNSI_ISN_E10value_typeET4_jRbjT5_ST_jjP12ihipStream_tbEUlT_E1_NS1_11comp_targetILNS1_3genE5ELNS1_11target_archE942ELNS1_3gpuE9ELNS1_3repE0EEENS1_59segmented_radix_sort_warp_sort_small_config_static_selectorELNS0_4arch9wavefront6targetE0EEEvSH_.numbered_sgpr, 0
	.set _ZN7rocprim17ROCPRIM_400000_NS6detail17trampoline_kernelINS0_14default_configENS1_36segmented_radix_sort_config_selectorIllEEZNS1_25segmented_radix_sort_implIS3_Lb0EPKlPlS8_S9_N2at6native12_GLOBAL__N_18offset_tEEE10hipError_tPvRmT1_PNSt15iterator_traitsISH_E10value_typeET2_T3_PNSI_ISN_E10value_typeET4_jRbjT5_ST_jjP12ihipStream_tbEUlT_E1_NS1_11comp_targetILNS1_3genE5ELNS1_11target_archE942ELNS1_3gpuE9ELNS1_3repE0EEENS1_59segmented_radix_sort_warp_sort_small_config_static_selectorELNS0_4arch9wavefront6targetE0EEEvSH_.num_named_barrier, 0
	.set _ZN7rocprim17ROCPRIM_400000_NS6detail17trampoline_kernelINS0_14default_configENS1_36segmented_radix_sort_config_selectorIllEEZNS1_25segmented_radix_sort_implIS3_Lb0EPKlPlS8_S9_N2at6native12_GLOBAL__N_18offset_tEEE10hipError_tPvRmT1_PNSt15iterator_traitsISH_E10value_typeET2_T3_PNSI_ISN_E10value_typeET4_jRbjT5_ST_jjP12ihipStream_tbEUlT_E1_NS1_11comp_targetILNS1_3genE5ELNS1_11target_archE942ELNS1_3gpuE9ELNS1_3repE0EEENS1_59segmented_radix_sort_warp_sort_small_config_static_selectorELNS0_4arch9wavefront6targetE0EEEvSH_.private_seg_size, 0
	.set _ZN7rocprim17ROCPRIM_400000_NS6detail17trampoline_kernelINS0_14default_configENS1_36segmented_radix_sort_config_selectorIllEEZNS1_25segmented_radix_sort_implIS3_Lb0EPKlPlS8_S9_N2at6native12_GLOBAL__N_18offset_tEEE10hipError_tPvRmT1_PNSt15iterator_traitsISH_E10value_typeET2_T3_PNSI_ISN_E10value_typeET4_jRbjT5_ST_jjP12ihipStream_tbEUlT_E1_NS1_11comp_targetILNS1_3genE5ELNS1_11target_archE942ELNS1_3gpuE9ELNS1_3repE0EEENS1_59segmented_radix_sort_warp_sort_small_config_static_selectorELNS0_4arch9wavefront6targetE0EEEvSH_.uses_vcc, 0
	.set _ZN7rocprim17ROCPRIM_400000_NS6detail17trampoline_kernelINS0_14default_configENS1_36segmented_radix_sort_config_selectorIllEEZNS1_25segmented_radix_sort_implIS3_Lb0EPKlPlS8_S9_N2at6native12_GLOBAL__N_18offset_tEEE10hipError_tPvRmT1_PNSt15iterator_traitsISH_E10value_typeET2_T3_PNSI_ISN_E10value_typeET4_jRbjT5_ST_jjP12ihipStream_tbEUlT_E1_NS1_11comp_targetILNS1_3genE5ELNS1_11target_archE942ELNS1_3gpuE9ELNS1_3repE0EEENS1_59segmented_radix_sort_warp_sort_small_config_static_selectorELNS0_4arch9wavefront6targetE0EEEvSH_.uses_flat_scratch, 0
	.set _ZN7rocprim17ROCPRIM_400000_NS6detail17trampoline_kernelINS0_14default_configENS1_36segmented_radix_sort_config_selectorIllEEZNS1_25segmented_radix_sort_implIS3_Lb0EPKlPlS8_S9_N2at6native12_GLOBAL__N_18offset_tEEE10hipError_tPvRmT1_PNSt15iterator_traitsISH_E10value_typeET2_T3_PNSI_ISN_E10value_typeET4_jRbjT5_ST_jjP12ihipStream_tbEUlT_E1_NS1_11comp_targetILNS1_3genE5ELNS1_11target_archE942ELNS1_3gpuE9ELNS1_3repE0EEENS1_59segmented_radix_sort_warp_sort_small_config_static_selectorELNS0_4arch9wavefront6targetE0EEEvSH_.has_dyn_sized_stack, 0
	.set _ZN7rocprim17ROCPRIM_400000_NS6detail17trampoline_kernelINS0_14default_configENS1_36segmented_radix_sort_config_selectorIllEEZNS1_25segmented_radix_sort_implIS3_Lb0EPKlPlS8_S9_N2at6native12_GLOBAL__N_18offset_tEEE10hipError_tPvRmT1_PNSt15iterator_traitsISH_E10value_typeET2_T3_PNSI_ISN_E10value_typeET4_jRbjT5_ST_jjP12ihipStream_tbEUlT_E1_NS1_11comp_targetILNS1_3genE5ELNS1_11target_archE942ELNS1_3gpuE9ELNS1_3repE0EEENS1_59segmented_radix_sort_warp_sort_small_config_static_selectorELNS0_4arch9wavefront6targetE0EEEvSH_.has_recursion, 0
	.set _ZN7rocprim17ROCPRIM_400000_NS6detail17trampoline_kernelINS0_14default_configENS1_36segmented_radix_sort_config_selectorIllEEZNS1_25segmented_radix_sort_implIS3_Lb0EPKlPlS8_S9_N2at6native12_GLOBAL__N_18offset_tEEE10hipError_tPvRmT1_PNSt15iterator_traitsISH_E10value_typeET2_T3_PNSI_ISN_E10value_typeET4_jRbjT5_ST_jjP12ihipStream_tbEUlT_E1_NS1_11comp_targetILNS1_3genE5ELNS1_11target_archE942ELNS1_3gpuE9ELNS1_3repE0EEENS1_59segmented_radix_sort_warp_sort_small_config_static_selectorELNS0_4arch9wavefront6targetE0EEEvSH_.has_indirect_call, 0
	.section	.AMDGPU.csdata,"",@progbits
; Kernel info:
; codeLenInByte = 0
; TotalNumSgprs: 0
; NumVgprs: 0
; ScratchSize: 0
; MemoryBound: 0
; FloatMode: 240
; IeeeMode: 1
; LDSByteSize: 0 bytes/workgroup (compile time only)
; SGPRBlocks: 0
; VGPRBlocks: 0
; NumSGPRsForWavesPerEU: 1
; NumVGPRsForWavesPerEU: 1
; Occupancy: 16
; WaveLimiterHint : 0
; COMPUTE_PGM_RSRC2:SCRATCH_EN: 0
; COMPUTE_PGM_RSRC2:USER_SGPR: 2
; COMPUTE_PGM_RSRC2:TRAP_HANDLER: 0
; COMPUTE_PGM_RSRC2:TGID_X_EN: 1
; COMPUTE_PGM_RSRC2:TGID_Y_EN: 0
; COMPUTE_PGM_RSRC2:TGID_Z_EN: 0
; COMPUTE_PGM_RSRC2:TIDIG_COMP_CNT: 0
	.section	.text._ZN7rocprim17ROCPRIM_400000_NS6detail17trampoline_kernelINS0_14default_configENS1_36segmented_radix_sort_config_selectorIllEEZNS1_25segmented_radix_sort_implIS3_Lb0EPKlPlS8_S9_N2at6native12_GLOBAL__N_18offset_tEEE10hipError_tPvRmT1_PNSt15iterator_traitsISH_E10value_typeET2_T3_PNSI_ISN_E10value_typeET4_jRbjT5_ST_jjP12ihipStream_tbEUlT_E1_NS1_11comp_targetILNS1_3genE4ELNS1_11target_archE910ELNS1_3gpuE8ELNS1_3repE0EEENS1_59segmented_radix_sort_warp_sort_small_config_static_selectorELNS0_4arch9wavefront6targetE0EEEvSH_,"axG",@progbits,_ZN7rocprim17ROCPRIM_400000_NS6detail17trampoline_kernelINS0_14default_configENS1_36segmented_radix_sort_config_selectorIllEEZNS1_25segmented_radix_sort_implIS3_Lb0EPKlPlS8_S9_N2at6native12_GLOBAL__N_18offset_tEEE10hipError_tPvRmT1_PNSt15iterator_traitsISH_E10value_typeET2_T3_PNSI_ISN_E10value_typeET4_jRbjT5_ST_jjP12ihipStream_tbEUlT_E1_NS1_11comp_targetILNS1_3genE4ELNS1_11target_archE910ELNS1_3gpuE8ELNS1_3repE0EEENS1_59segmented_radix_sort_warp_sort_small_config_static_selectorELNS0_4arch9wavefront6targetE0EEEvSH_,comdat
	.globl	_ZN7rocprim17ROCPRIM_400000_NS6detail17trampoline_kernelINS0_14default_configENS1_36segmented_radix_sort_config_selectorIllEEZNS1_25segmented_radix_sort_implIS3_Lb0EPKlPlS8_S9_N2at6native12_GLOBAL__N_18offset_tEEE10hipError_tPvRmT1_PNSt15iterator_traitsISH_E10value_typeET2_T3_PNSI_ISN_E10value_typeET4_jRbjT5_ST_jjP12ihipStream_tbEUlT_E1_NS1_11comp_targetILNS1_3genE4ELNS1_11target_archE910ELNS1_3gpuE8ELNS1_3repE0EEENS1_59segmented_radix_sort_warp_sort_small_config_static_selectorELNS0_4arch9wavefront6targetE0EEEvSH_ ; -- Begin function _ZN7rocprim17ROCPRIM_400000_NS6detail17trampoline_kernelINS0_14default_configENS1_36segmented_radix_sort_config_selectorIllEEZNS1_25segmented_radix_sort_implIS3_Lb0EPKlPlS8_S9_N2at6native12_GLOBAL__N_18offset_tEEE10hipError_tPvRmT1_PNSt15iterator_traitsISH_E10value_typeET2_T3_PNSI_ISN_E10value_typeET4_jRbjT5_ST_jjP12ihipStream_tbEUlT_E1_NS1_11comp_targetILNS1_3genE4ELNS1_11target_archE910ELNS1_3gpuE8ELNS1_3repE0EEENS1_59segmented_radix_sort_warp_sort_small_config_static_selectorELNS0_4arch9wavefront6targetE0EEEvSH_
	.p2align	8
	.type	_ZN7rocprim17ROCPRIM_400000_NS6detail17trampoline_kernelINS0_14default_configENS1_36segmented_radix_sort_config_selectorIllEEZNS1_25segmented_radix_sort_implIS3_Lb0EPKlPlS8_S9_N2at6native12_GLOBAL__N_18offset_tEEE10hipError_tPvRmT1_PNSt15iterator_traitsISH_E10value_typeET2_T3_PNSI_ISN_E10value_typeET4_jRbjT5_ST_jjP12ihipStream_tbEUlT_E1_NS1_11comp_targetILNS1_3genE4ELNS1_11target_archE910ELNS1_3gpuE8ELNS1_3repE0EEENS1_59segmented_radix_sort_warp_sort_small_config_static_selectorELNS0_4arch9wavefront6targetE0EEEvSH_,@function
_ZN7rocprim17ROCPRIM_400000_NS6detail17trampoline_kernelINS0_14default_configENS1_36segmented_radix_sort_config_selectorIllEEZNS1_25segmented_radix_sort_implIS3_Lb0EPKlPlS8_S9_N2at6native12_GLOBAL__N_18offset_tEEE10hipError_tPvRmT1_PNSt15iterator_traitsISH_E10value_typeET2_T3_PNSI_ISN_E10value_typeET4_jRbjT5_ST_jjP12ihipStream_tbEUlT_E1_NS1_11comp_targetILNS1_3genE4ELNS1_11target_archE910ELNS1_3gpuE8ELNS1_3repE0EEENS1_59segmented_radix_sort_warp_sort_small_config_static_selectorELNS0_4arch9wavefront6targetE0EEEvSH_: ; @_ZN7rocprim17ROCPRIM_400000_NS6detail17trampoline_kernelINS0_14default_configENS1_36segmented_radix_sort_config_selectorIllEEZNS1_25segmented_radix_sort_implIS3_Lb0EPKlPlS8_S9_N2at6native12_GLOBAL__N_18offset_tEEE10hipError_tPvRmT1_PNSt15iterator_traitsISH_E10value_typeET2_T3_PNSI_ISN_E10value_typeET4_jRbjT5_ST_jjP12ihipStream_tbEUlT_E1_NS1_11comp_targetILNS1_3genE4ELNS1_11target_archE910ELNS1_3gpuE8ELNS1_3repE0EEENS1_59segmented_radix_sort_warp_sort_small_config_static_selectorELNS0_4arch9wavefront6targetE0EEEvSH_
; %bb.0:
	.section	.rodata,"a",@progbits
	.p2align	6, 0x0
	.amdhsa_kernel _ZN7rocprim17ROCPRIM_400000_NS6detail17trampoline_kernelINS0_14default_configENS1_36segmented_radix_sort_config_selectorIllEEZNS1_25segmented_radix_sort_implIS3_Lb0EPKlPlS8_S9_N2at6native12_GLOBAL__N_18offset_tEEE10hipError_tPvRmT1_PNSt15iterator_traitsISH_E10value_typeET2_T3_PNSI_ISN_E10value_typeET4_jRbjT5_ST_jjP12ihipStream_tbEUlT_E1_NS1_11comp_targetILNS1_3genE4ELNS1_11target_archE910ELNS1_3gpuE8ELNS1_3repE0EEENS1_59segmented_radix_sort_warp_sort_small_config_static_selectorELNS0_4arch9wavefront6targetE0EEEvSH_
		.amdhsa_group_segment_fixed_size 0
		.amdhsa_private_segment_fixed_size 0
		.amdhsa_kernarg_size 88
		.amdhsa_user_sgpr_count 2
		.amdhsa_user_sgpr_dispatch_ptr 0
		.amdhsa_user_sgpr_queue_ptr 0
		.amdhsa_user_sgpr_kernarg_segment_ptr 1
		.amdhsa_user_sgpr_dispatch_id 0
		.amdhsa_user_sgpr_private_segment_size 0
		.amdhsa_wavefront_size32 1
		.amdhsa_uses_dynamic_stack 0
		.amdhsa_enable_private_segment 0
		.amdhsa_system_sgpr_workgroup_id_x 1
		.amdhsa_system_sgpr_workgroup_id_y 0
		.amdhsa_system_sgpr_workgroup_id_z 0
		.amdhsa_system_sgpr_workgroup_info 0
		.amdhsa_system_vgpr_workitem_id 0
		.amdhsa_next_free_vgpr 1
		.amdhsa_next_free_sgpr 1
		.amdhsa_reserve_vcc 0
		.amdhsa_float_round_mode_32 0
		.amdhsa_float_round_mode_16_64 0
		.amdhsa_float_denorm_mode_32 3
		.amdhsa_float_denorm_mode_16_64 3
		.amdhsa_fp16_overflow 0
		.amdhsa_workgroup_processor_mode 1
		.amdhsa_memory_ordered 1
		.amdhsa_forward_progress 1
		.amdhsa_inst_pref_size 0
		.amdhsa_round_robin_scheduling 0
		.amdhsa_exception_fp_ieee_invalid_op 0
		.amdhsa_exception_fp_denorm_src 0
		.amdhsa_exception_fp_ieee_div_zero 0
		.amdhsa_exception_fp_ieee_overflow 0
		.amdhsa_exception_fp_ieee_underflow 0
		.amdhsa_exception_fp_ieee_inexact 0
		.amdhsa_exception_int_div_zero 0
	.end_amdhsa_kernel
	.section	.text._ZN7rocprim17ROCPRIM_400000_NS6detail17trampoline_kernelINS0_14default_configENS1_36segmented_radix_sort_config_selectorIllEEZNS1_25segmented_radix_sort_implIS3_Lb0EPKlPlS8_S9_N2at6native12_GLOBAL__N_18offset_tEEE10hipError_tPvRmT1_PNSt15iterator_traitsISH_E10value_typeET2_T3_PNSI_ISN_E10value_typeET4_jRbjT5_ST_jjP12ihipStream_tbEUlT_E1_NS1_11comp_targetILNS1_3genE4ELNS1_11target_archE910ELNS1_3gpuE8ELNS1_3repE0EEENS1_59segmented_radix_sort_warp_sort_small_config_static_selectorELNS0_4arch9wavefront6targetE0EEEvSH_,"axG",@progbits,_ZN7rocprim17ROCPRIM_400000_NS6detail17trampoline_kernelINS0_14default_configENS1_36segmented_radix_sort_config_selectorIllEEZNS1_25segmented_radix_sort_implIS3_Lb0EPKlPlS8_S9_N2at6native12_GLOBAL__N_18offset_tEEE10hipError_tPvRmT1_PNSt15iterator_traitsISH_E10value_typeET2_T3_PNSI_ISN_E10value_typeET4_jRbjT5_ST_jjP12ihipStream_tbEUlT_E1_NS1_11comp_targetILNS1_3genE4ELNS1_11target_archE910ELNS1_3gpuE8ELNS1_3repE0EEENS1_59segmented_radix_sort_warp_sort_small_config_static_selectorELNS0_4arch9wavefront6targetE0EEEvSH_,comdat
.Lfunc_end829:
	.size	_ZN7rocprim17ROCPRIM_400000_NS6detail17trampoline_kernelINS0_14default_configENS1_36segmented_radix_sort_config_selectorIllEEZNS1_25segmented_radix_sort_implIS3_Lb0EPKlPlS8_S9_N2at6native12_GLOBAL__N_18offset_tEEE10hipError_tPvRmT1_PNSt15iterator_traitsISH_E10value_typeET2_T3_PNSI_ISN_E10value_typeET4_jRbjT5_ST_jjP12ihipStream_tbEUlT_E1_NS1_11comp_targetILNS1_3genE4ELNS1_11target_archE910ELNS1_3gpuE8ELNS1_3repE0EEENS1_59segmented_radix_sort_warp_sort_small_config_static_selectorELNS0_4arch9wavefront6targetE0EEEvSH_, .Lfunc_end829-_ZN7rocprim17ROCPRIM_400000_NS6detail17trampoline_kernelINS0_14default_configENS1_36segmented_radix_sort_config_selectorIllEEZNS1_25segmented_radix_sort_implIS3_Lb0EPKlPlS8_S9_N2at6native12_GLOBAL__N_18offset_tEEE10hipError_tPvRmT1_PNSt15iterator_traitsISH_E10value_typeET2_T3_PNSI_ISN_E10value_typeET4_jRbjT5_ST_jjP12ihipStream_tbEUlT_E1_NS1_11comp_targetILNS1_3genE4ELNS1_11target_archE910ELNS1_3gpuE8ELNS1_3repE0EEENS1_59segmented_radix_sort_warp_sort_small_config_static_selectorELNS0_4arch9wavefront6targetE0EEEvSH_
                                        ; -- End function
	.set _ZN7rocprim17ROCPRIM_400000_NS6detail17trampoline_kernelINS0_14default_configENS1_36segmented_radix_sort_config_selectorIllEEZNS1_25segmented_radix_sort_implIS3_Lb0EPKlPlS8_S9_N2at6native12_GLOBAL__N_18offset_tEEE10hipError_tPvRmT1_PNSt15iterator_traitsISH_E10value_typeET2_T3_PNSI_ISN_E10value_typeET4_jRbjT5_ST_jjP12ihipStream_tbEUlT_E1_NS1_11comp_targetILNS1_3genE4ELNS1_11target_archE910ELNS1_3gpuE8ELNS1_3repE0EEENS1_59segmented_radix_sort_warp_sort_small_config_static_selectorELNS0_4arch9wavefront6targetE0EEEvSH_.num_vgpr, 0
	.set _ZN7rocprim17ROCPRIM_400000_NS6detail17trampoline_kernelINS0_14default_configENS1_36segmented_radix_sort_config_selectorIllEEZNS1_25segmented_radix_sort_implIS3_Lb0EPKlPlS8_S9_N2at6native12_GLOBAL__N_18offset_tEEE10hipError_tPvRmT1_PNSt15iterator_traitsISH_E10value_typeET2_T3_PNSI_ISN_E10value_typeET4_jRbjT5_ST_jjP12ihipStream_tbEUlT_E1_NS1_11comp_targetILNS1_3genE4ELNS1_11target_archE910ELNS1_3gpuE8ELNS1_3repE0EEENS1_59segmented_radix_sort_warp_sort_small_config_static_selectorELNS0_4arch9wavefront6targetE0EEEvSH_.num_agpr, 0
	.set _ZN7rocprim17ROCPRIM_400000_NS6detail17trampoline_kernelINS0_14default_configENS1_36segmented_radix_sort_config_selectorIllEEZNS1_25segmented_radix_sort_implIS3_Lb0EPKlPlS8_S9_N2at6native12_GLOBAL__N_18offset_tEEE10hipError_tPvRmT1_PNSt15iterator_traitsISH_E10value_typeET2_T3_PNSI_ISN_E10value_typeET4_jRbjT5_ST_jjP12ihipStream_tbEUlT_E1_NS1_11comp_targetILNS1_3genE4ELNS1_11target_archE910ELNS1_3gpuE8ELNS1_3repE0EEENS1_59segmented_radix_sort_warp_sort_small_config_static_selectorELNS0_4arch9wavefront6targetE0EEEvSH_.numbered_sgpr, 0
	.set _ZN7rocprim17ROCPRIM_400000_NS6detail17trampoline_kernelINS0_14default_configENS1_36segmented_radix_sort_config_selectorIllEEZNS1_25segmented_radix_sort_implIS3_Lb0EPKlPlS8_S9_N2at6native12_GLOBAL__N_18offset_tEEE10hipError_tPvRmT1_PNSt15iterator_traitsISH_E10value_typeET2_T3_PNSI_ISN_E10value_typeET4_jRbjT5_ST_jjP12ihipStream_tbEUlT_E1_NS1_11comp_targetILNS1_3genE4ELNS1_11target_archE910ELNS1_3gpuE8ELNS1_3repE0EEENS1_59segmented_radix_sort_warp_sort_small_config_static_selectorELNS0_4arch9wavefront6targetE0EEEvSH_.num_named_barrier, 0
	.set _ZN7rocprim17ROCPRIM_400000_NS6detail17trampoline_kernelINS0_14default_configENS1_36segmented_radix_sort_config_selectorIllEEZNS1_25segmented_radix_sort_implIS3_Lb0EPKlPlS8_S9_N2at6native12_GLOBAL__N_18offset_tEEE10hipError_tPvRmT1_PNSt15iterator_traitsISH_E10value_typeET2_T3_PNSI_ISN_E10value_typeET4_jRbjT5_ST_jjP12ihipStream_tbEUlT_E1_NS1_11comp_targetILNS1_3genE4ELNS1_11target_archE910ELNS1_3gpuE8ELNS1_3repE0EEENS1_59segmented_radix_sort_warp_sort_small_config_static_selectorELNS0_4arch9wavefront6targetE0EEEvSH_.private_seg_size, 0
	.set _ZN7rocprim17ROCPRIM_400000_NS6detail17trampoline_kernelINS0_14default_configENS1_36segmented_radix_sort_config_selectorIllEEZNS1_25segmented_radix_sort_implIS3_Lb0EPKlPlS8_S9_N2at6native12_GLOBAL__N_18offset_tEEE10hipError_tPvRmT1_PNSt15iterator_traitsISH_E10value_typeET2_T3_PNSI_ISN_E10value_typeET4_jRbjT5_ST_jjP12ihipStream_tbEUlT_E1_NS1_11comp_targetILNS1_3genE4ELNS1_11target_archE910ELNS1_3gpuE8ELNS1_3repE0EEENS1_59segmented_radix_sort_warp_sort_small_config_static_selectorELNS0_4arch9wavefront6targetE0EEEvSH_.uses_vcc, 0
	.set _ZN7rocprim17ROCPRIM_400000_NS6detail17trampoline_kernelINS0_14default_configENS1_36segmented_radix_sort_config_selectorIllEEZNS1_25segmented_radix_sort_implIS3_Lb0EPKlPlS8_S9_N2at6native12_GLOBAL__N_18offset_tEEE10hipError_tPvRmT1_PNSt15iterator_traitsISH_E10value_typeET2_T3_PNSI_ISN_E10value_typeET4_jRbjT5_ST_jjP12ihipStream_tbEUlT_E1_NS1_11comp_targetILNS1_3genE4ELNS1_11target_archE910ELNS1_3gpuE8ELNS1_3repE0EEENS1_59segmented_radix_sort_warp_sort_small_config_static_selectorELNS0_4arch9wavefront6targetE0EEEvSH_.uses_flat_scratch, 0
	.set _ZN7rocprim17ROCPRIM_400000_NS6detail17trampoline_kernelINS0_14default_configENS1_36segmented_radix_sort_config_selectorIllEEZNS1_25segmented_radix_sort_implIS3_Lb0EPKlPlS8_S9_N2at6native12_GLOBAL__N_18offset_tEEE10hipError_tPvRmT1_PNSt15iterator_traitsISH_E10value_typeET2_T3_PNSI_ISN_E10value_typeET4_jRbjT5_ST_jjP12ihipStream_tbEUlT_E1_NS1_11comp_targetILNS1_3genE4ELNS1_11target_archE910ELNS1_3gpuE8ELNS1_3repE0EEENS1_59segmented_radix_sort_warp_sort_small_config_static_selectorELNS0_4arch9wavefront6targetE0EEEvSH_.has_dyn_sized_stack, 0
	.set _ZN7rocprim17ROCPRIM_400000_NS6detail17trampoline_kernelINS0_14default_configENS1_36segmented_radix_sort_config_selectorIllEEZNS1_25segmented_radix_sort_implIS3_Lb0EPKlPlS8_S9_N2at6native12_GLOBAL__N_18offset_tEEE10hipError_tPvRmT1_PNSt15iterator_traitsISH_E10value_typeET2_T3_PNSI_ISN_E10value_typeET4_jRbjT5_ST_jjP12ihipStream_tbEUlT_E1_NS1_11comp_targetILNS1_3genE4ELNS1_11target_archE910ELNS1_3gpuE8ELNS1_3repE0EEENS1_59segmented_radix_sort_warp_sort_small_config_static_selectorELNS0_4arch9wavefront6targetE0EEEvSH_.has_recursion, 0
	.set _ZN7rocprim17ROCPRIM_400000_NS6detail17trampoline_kernelINS0_14default_configENS1_36segmented_radix_sort_config_selectorIllEEZNS1_25segmented_radix_sort_implIS3_Lb0EPKlPlS8_S9_N2at6native12_GLOBAL__N_18offset_tEEE10hipError_tPvRmT1_PNSt15iterator_traitsISH_E10value_typeET2_T3_PNSI_ISN_E10value_typeET4_jRbjT5_ST_jjP12ihipStream_tbEUlT_E1_NS1_11comp_targetILNS1_3genE4ELNS1_11target_archE910ELNS1_3gpuE8ELNS1_3repE0EEENS1_59segmented_radix_sort_warp_sort_small_config_static_selectorELNS0_4arch9wavefront6targetE0EEEvSH_.has_indirect_call, 0
	.section	.AMDGPU.csdata,"",@progbits
; Kernel info:
; codeLenInByte = 0
; TotalNumSgprs: 0
; NumVgprs: 0
; ScratchSize: 0
; MemoryBound: 0
; FloatMode: 240
; IeeeMode: 1
; LDSByteSize: 0 bytes/workgroup (compile time only)
; SGPRBlocks: 0
; VGPRBlocks: 0
; NumSGPRsForWavesPerEU: 1
; NumVGPRsForWavesPerEU: 1
; Occupancy: 16
; WaveLimiterHint : 0
; COMPUTE_PGM_RSRC2:SCRATCH_EN: 0
; COMPUTE_PGM_RSRC2:USER_SGPR: 2
; COMPUTE_PGM_RSRC2:TRAP_HANDLER: 0
; COMPUTE_PGM_RSRC2:TGID_X_EN: 1
; COMPUTE_PGM_RSRC2:TGID_Y_EN: 0
; COMPUTE_PGM_RSRC2:TGID_Z_EN: 0
; COMPUTE_PGM_RSRC2:TIDIG_COMP_CNT: 0
	.section	.text._ZN7rocprim17ROCPRIM_400000_NS6detail17trampoline_kernelINS0_14default_configENS1_36segmented_radix_sort_config_selectorIllEEZNS1_25segmented_radix_sort_implIS3_Lb0EPKlPlS8_S9_N2at6native12_GLOBAL__N_18offset_tEEE10hipError_tPvRmT1_PNSt15iterator_traitsISH_E10value_typeET2_T3_PNSI_ISN_E10value_typeET4_jRbjT5_ST_jjP12ihipStream_tbEUlT_E1_NS1_11comp_targetILNS1_3genE3ELNS1_11target_archE908ELNS1_3gpuE7ELNS1_3repE0EEENS1_59segmented_radix_sort_warp_sort_small_config_static_selectorELNS0_4arch9wavefront6targetE0EEEvSH_,"axG",@progbits,_ZN7rocprim17ROCPRIM_400000_NS6detail17trampoline_kernelINS0_14default_configENS1_36segmented_radix_sort_config_selectorIllEEZNS1_25segmented_radix_sort_implIS3_Lb0EPKlPlS8_S9_N2at6native12_GLOBAL__N_18offset_tEEE10hipError_tPvRmT1_PNSt15iterator_traitsISH_E10value_typeET2_T3_PNSI_ISN_E10value_typeET4_jRbjT5_ST_jjP12ihipStream_tbEUlT_E1_NS1_11comp_targetILNS1_3genE3ELNS1_11target_archE908ELNS1_3gpuE7ELNS1_3repE0EEENS1_59segmented_radix_sort_warp_sort_small_config_static_selectorELNS0_4arch9wavefront6targetE0EEEvSH_,comdat
	.globl	_ZN7rocprim17ROCPRIM_400000_NS6detail17trampoline_kernelINS0_14default_configENS1_36segmented_radix_sort_config_selectorIllEEZNS1_25segmented_radix_sort_implIS3_Lb0EPKlPlS8_S9_N2at6native12_GLOBAL__N_18offset_tEEE10hipError_tPvRmT1_PNSt15iterator_traitsISH_E10value_typeET2_T3_PNSI_ISN_E10value_typeET4_jRbjT5_ST_jjP12ihipStream_tbEUlT_E1_NS1_11comp_targetILNS1_3genE3ELNS1_11target_archE908ELNS1_3gpuE7ELNS1_3repE0EEENS1_59segmented_radix_sort_warp_sort_small_config_static_selectorELNS0_4arch9wavefront6targetE0EEEvSH_ ; -- Begin function _ZN7rocprim17ROCPRIM_400000_NS6detail17trampoline_kernelINS0_14default_configENS1_36segmented_radix_sort_config_selectorIllEEZNS1_25segmented_radix_sort_implIS3_Lb0EPKlPlS8_S9_N2at6native12_GLOBAL__N_18offset_tEEE10hipError_tPvRmT1_PNSt15iterator_traitsISH_E10value_typeET2_T3_PNSI_ISN_E10value_typeET4_jRbjT5_ST_jjP12ihipStream_tbEUlT_E1_NS1_11comp_targetILNS1_3genE3ELNS1_11target_archE908ELNS1_3gpuE7ELNS1_3repE0EEENS1_59segmented_radix_sort_warp_sort_small_config_static_selectorELNS0_4arch9wavefront6targetE0EEEvSH_
	.p2align	8
	.type	_ZN7rocprim17ROCPRIM_400000_NS6detail17trampoline_kernelINS0_14default_configENS1_36segmented_radix_sort_config_selectorIllEEZNS1_25segmented_radix_sort_implIS3_Lb0EPKlPlS8_S9_N2at6native12_GLOBAL__N_18offset_tEEE10hipError_tPvRmT1_PNSt15iterator_traitsISH_E10value_typeET2_T3_PNSI_ISN_E10value_typeET4_jRbjT5_ST_jjP12ihipStream_tbEUlT_E1_NS1_11comp_targetILNS1_3genE3ELNS1_11target_archE908ELNS1_3gpuE7ELNS1_3repE0EEENS1_59segmented_radix_sort_warp_sort_small_config_static_selectorELNS0_4arch9wavefront6targetE0EEEvSH_,@function
_ZN7rocprim17ROCPRIM_400000_NS6detail17trampoline_kernelINS0_14default_configENS1_36segmented_radix_sort_config_selectorIllEEZNS1_25segmented_radix_sort_implIS3_Lb0EPKlPlS8_S9_N2at6native12_GLOBAL__N_18offset_tEEE10hipError_tPvRmT1_PNSt15iterator_traitsISH_E10value_typeET2_T3_PNSI_ISN_E10value_typeET4_jRbjT5_ST_jjP12ihipStream_tbEUlT_E1_NS1_11comp_targetILNS1_3genE3ELNS1_11target_archE908ELNS1_3gpuE7ELNS1_3repE0EEENS1_59segmented_radix_sort_warp_sort_small_config_static_selectorELNS0_4arch9wavefront6targetE0EEEvSH_: ; @_ZN7rocprim17ROCPRIM_400000_NS6detail17trampoline_kernelINS0_14default_configENS1_36segmented_radix_sort_config_selectorIllEEZNS1_25segmented_radix_sort_implIS3_Lb0EPKlPlS8_S9_N2at6native12_GLOBAL__N_18offset_tEEE10hipError_tPvRmT1_PNSt15iterator_traitsISH_E10value_typeET2_T3_PNSI_ISN_E10value_typeET4_jRbjT5_ST_jjP12ihipStream_tbEUlT_E1_NS1_11comp_targetILNS1_3genE3ELNS1_11target_archE908ELNS1_3gpuE7ELNS1_3repE0EEENS1_59segmented_radix_sort_warp_sort_small_config_static_selectorELNS0_4arch9wavefront6targetE0EEEvSH_
; %bb.0:
	.section	.rodata,"a",@progbits
	.p2align	6, 0x0
	.amdhsa_kernel _ZN7rocprim17ROCPRIM_400000_NS6detail17trampoline_kernelINS0_14default_configENS1_36segmented_radix_sort_config_selectorIllEEZNS1_25segmented_radix_sort_implIS3_Lb0EPKlPlS8_S9_N2at6native12_GLOBAL__N_18offset_tEEE10hipError_tPvRmT1_PNSt15iterator_traitsISH_E10value_typeET2_T3_PNSI_ISN_E10value_typeET4_jRbjT5_ST_jjP12ihipStream_tbEUlT_E1_NS1_11comp_targetILNS1_3genE3ELNS1_11target_archE908ELNS1_3gpuE7ELNS1_3repE0EEENS1_59segmented_radix_sort_warp_sort_small_config_static_selectorELNS0_4arch9wavefront6targetE0EEEvSH_
		.amdhsa_group_segment_fixed_size 0
		.amdhsa_private_segment_fixed_size 0
		.amdhsa_kernarg_size 88
		.amdhsa_user_sgpr_count 2
		.amdhsa_user_sgpr_dispatch_ptr 0
		.amdhsa_user_sgpr_queue_ptr 0
		.amdhsa_user_sgpr_kernarg_segment_ptr 1
		.amdhsa_user_sgpr_dispatch_id 0
		.amdhsa_user_sgpr_private_segment_size 0
		.amdhsa_wavefront_size32 1
		.amdhsa_uses_dynamic_stack 0
		.amdhsa_enable_private_segment 0
		.amdhsa_system_sgpr_workgroup_id_x 1
		.amdhsa_system_sgpr_workgroup_id_y 0
		.amdhsa_system_sgpr_workgroup_id_z 0
		.amdhsa_system_sgpr_workgroup_info 0
		.amdhsa_system_vgpr_workitem_id 0
		.amdhsa_next_free_vgpr 1
		.amdhsa_next_free_sgpr 1
		.amdhsa_reserve_vcc 0
		.amdhsa_float_round_mode_32 0
		.amdhsa_float_round_mode_16_64 0
		.amdhsa_float_denorm_mode_32 3
		.amdhsa_float_denorm_mode_16_64 3
		.amdhsa_fp16_overflow 0
		.amdhsa_workgroup_processor_mode 1
		.amdhsa_memory_ordered 1
		.amdhsa_forward_progress 1
		.amdhsa_inst_pref_size 0
		.amdhsa_round_robin_scheduling 0
		.amdhsa_exception_fp_ieee_invalid_op 0
		.amdhsa_exception_fp_denorm_src 0
		.amdhsa_exception_fp_ieee_div_zero 0
		.amdhsa_exception_fp_ieee_overflow 0
		.amdhsa_exception_fp_ieee_underflow 0
		.amdhsa_exception_fp_ieee_inexact 0
		.amdhsa_exception_int_div_zero 0
	.end_amdhsa_kernel
	.section	.text._ZN7rocprim17ROCPRIM_400000_NS6detail17trampoline_kernelINS0_14default_configENS1_36segmented_radix_sort_config_selectorIllEEZNS1_25segmented_radix_sort_implIS3_Lb0EPKlPlS8_S9_N2at6native12_GLOBAL__N_18offset_tEEE10hipError_tPvRmT1_PNSt15iterator_traitsISH_E10value_typeET2_T3_PNSI_ISN_E10value_typeET4_jRbjT5_ST_jjP12ihipStream_tbEUlT_E1_NS1_11comp_targetILNS1_3genE3ELNS1_11target_archE908ELNS1_3gpuE7ELNS1_3repE0EEENS1_59segmented_radix_sort_warp_sort_small_config_static_selectorELNS0_4arch9wavefront6targetE0EEEvSH_,"axG",@progbits,_ZN7rocprim17ROCPRIM_400000_NS6detail17trampoline_kernelINS0_14default_configENS1_36segmented_radix_sort_config_selectorIllEEZNS1_25segmented_radix_sort_implIS3_Lb0EPKlPlS8_S9_N2at6native12_GLOBAL__N_18offset_tEEE10hipError_tPvRmT1_PNSt15iterator_traitsISH_E10value_typeET2_T3_PNSI_ISN_E10value_typeET4_jRbjT5_ST_jjP12ihipStream_tbEUlT_E1_NS1_11comp_targetILNS1_3genE3ELNS1_11target_archE908ELNS1_3gpuE7ELNS1_3repE0EEENS1_59segmented_radix_sort_warp_sort_small_config_static_selectorELNS0_4arch9wavefront6targetE0EEEvSH_,comdat
.Lfunc_end830:
	.size	_ZN7rocprim17ROCPRIM_400000_NS6detail17trampoline_kernelINS0_14default_configENS1_36segmented_radix_sort_config_selectorIllEEZNS1_25segmented_radix_sort_implIS3_Lb0EPKlPlS8_S9_N2at6native12_GLOBAL__N_18offset_tEEE10hipError_tPvRmT1_PNSt15iterator_traitsISH_E10value_typeET2_T3_PNSI_ISN_E10value_typeET4_jRbjT5_ST_jjP12ihipStream_tbEUlT_E1_NS1_11comp_targetILNS1_3genE3ELNS1_11target_archE908ELNS1_3gpuE7ELNS1_3repE0EEENS1_59segmented_radix_sort_warp_sort_small_config_static_selectorELNS0_4arch9wavefront6targetE0EEEvSH_, .Lfunc_end830-_ZN7rocprim17ROCPRIM_400000_NS6detail17trampoline_kernelINS0_14default_configENS1_36segmented_radix_sort_config_selectorIllEEZNS1_25segmented_radix_sort_implIS3_Lb0EPKlPlS8_S9_N2at6native12_GLOBAL__N_18offset_tEEE10hipError_tPvRmT1_PNSt15iterator_traitsISH_E10value_typeET2_T3_PNSI_ISN_E10value_typeET4_jRbjT5_ST_jjP12ihipStream_tbEUlT_E1_NS1_11comp_targetILNS1_3genE3ELNS1_11target_archE908ELNS1_3gpuE7ELNS1_3repE0EEENS1_59segmented_radix_sort_warp_sort_small_config_static_selectorELNS0_4arch9wavefront6targetE0EEEvSH_
                                        ; -- End function
	.set _ZN7rocprim17ROCPRIM_400000_NS6detail17trampoline_kernelINS0_14default_configENS1_36segmented_radix_sort_config_selectorIllEEZNS1_25segmented_radix_sort_implIS3_Lb0EPKlPlS8_S9_N2at6native12_GLOBAL__N_18offset_tEEE10hipError_tPvRmT1_PNSt15iterator_traitsISH_E10value_typeET2_T3_PNSI_ISN_E10value_typeET4_jRbjT5_ST_jjP12ihipStream_tbEUlT_E1_NS1_11comp_targetILNS1_3genE3ELNS1_11target_archE908ELNS1_3gpuE7ELNS1_3repE0EEENS1_59segmented_radix_sort_warp_sort_small_config_static_selectorELNS0_4arch9wavefront6targetE0EEEvSH_.num_vgpr, 0
	.set _ZN7rocprim17ROCPRIM_400000_NS6detail17trampoline_kernelINS0_14default_configENS1_36segmented_radix_sort_config_selectorIllEEZNS1_25segmented_radix_sort_implIS3_Lb0EPKlPlS8_S9_N2at6native12_GLOBAL__N_18offset_tEEE10hipError_tPvRmT1_PNSt15iterator_traitsISH_E10value_typeET2_T3_PNSI_ISN_E10value_typeET4_jRbjT5_ST_jjP12ihipStream_tbEUlT_E1_NS1_11comp_targetILNS1_3genE3ELNS1_11target_archE908ELNS1_3gpuE7ELNS1_3repE0EEENS1_59segmented_radix_sort_warp_sort_small_config_static_selectorELNS0_4arch9wavefront6targetE0EEEvSH_.num_agpr, 0
	.set _ZN7rocprim17ROCPRIM_400000_NS6detail17trampoline_kernelINS0_14default_configENS1_36segmented_radix_sort_config_selectorIllEEZNS1_25segmented_radix_sort_implIS3_Lb0EPKlPlS8_S9_N2at6native12_GLOBAL__N_18offset_tEEE10hipError_tPvRmT1_PNSt15iterator_traitsISH_E10value_typeET2_T3_PNSI_ISN_E10value_typeET4_jRbjT5_ST_jjP12ihipStream_tbEUlT_E1_NS1_11comp_targetILNS1_3genE3ELNS1_11target_archE908ELNS1_3gpuE7ELNS1_3repE0EEENS1_59segmented_radix_sort_warp_sort_small_config_static_selectorELNS0_4arch9wavefront6targetE0EEEvSH_.numbered_sgpr, 0
	.set _ZN7rocprim17ROCPRIM_400000_NS6detail17trampoline_kernelINS0_14default_configENS1_36segmented_radix_sort_config_selectorIllEEZNS1_25segmented_radix_sort_implIS3_Lb0EPKlPlS8_S9_N2at6native12_GLOBAL__N_18offset_tEEE10hipError_tPvRmT1_PNSt15iterator_traitsISH_E10value_typeET2_T3_PNSI_ISN_E10value_typeET4_jRbjT5_ST_jjP12ihipStream_tbEUlT_E1_NS1_11comp_targetILNS1_3genE3ELNS1_11target_archE908ELNS1_3gpuE7ELNS1_3repE0EEENS1_59segmented_radix_sort_warp_sort_small_config_static_selectorELNS0_4arch9wavefront6targetE0EEEvSH_.num_named_barrier, 0
	.set _ZN7rocprim17ROCPRIM_400000_NS6detail17trampoline_kernelINS0_14default_configENS1_36segmented_radix_sort_config_selectorIllEEZNS1_25segmented_radix_sort_implIS3_Lb0EPKlPlS8_S9_N2at6native12_GLOBAL__N_18offset_tEEE10hipError_tPvRmT1_PNSt15iterator_traitsISH_E10value_typeET2_T3_PNSI_ISN_E10value_typeET4_jRbjT5_ST_jjP12ihipStream_tbEUlT_E1_NS1_11comp_targetILNS1_3genE3ELNS1_11target_archE908ELNS1_3gpuE7ELNS1_3repE0EEENS1_59segmented_radix_sort_warp_sort_small_config_static_selectorELNS0_4arch9wavefront6targetE0EEEvSH_.private_seg_size, 0
	.set _ZN7rocprim17ROCPRIM_400000_NS6detail17trampoline_kernelINS0_14default_configENS1_36segmented_radix_sort_config_selectorIllEEZNS1_25segmented_radix_sort_implIS3_Lb0EPKlPlS8_S9_N2at6native12_GLOBAL__N_18offset_tEEE10hipError_tPvRmT1_PNSt15iterator_traitsISH_E10value_typeET2_T3_PNSI_ISN_E10value_typeET4_jRbjT5_ST_jjP12ihipStream_tbEUlT_E1_NS1_11comp_targetILNS1_3genE3ELNS1_11target_archE908ELNS1_3gpuE7ELNS1_3repE0EEENS1_59segmented_radix_sort_warp_sort_small_config_static_selectorELNS0_4arch9wavefront6targetE0EEEvSH_.uses_vcc, 0
	.set _ZN7rocprim17ROCPRIM_400000_NS6detail17trampoline_kernelINS0_14default_configENS1_36segmented_radix_sort_config_selectorIllEEZNS1_25segmented_radix_sort_implIS3_Lb0EPKlPlS8_S9_N2at6native12_GLOBAL__N_18offset_tEEE10hipError_tPvRmT1_PNSt15iterator_traitsISH_E10value_typeET2_T3_PNSI_ISN_E10value_typeET4_jRbjT5_ST_jjP12ihipStream_tbEUlT_E1_NS1_11comp_targetILNS1_3genE3ELNS1_11target_archE908ELNS1_3gpuE7ELNS1_3repE0EEENS1_59segmented_radix_sort_warp_sort_small_config_static_selectorELNS0_4arch9wavefront6targetE0EEEvSH_.uses_flat_scratch, 0
	.set _ZN7rocprim17ROCPRIM_400000_NS6detail17trampoline_kernelINS0_14default_configENS1_36segmented_radix_sort_config_selectorIllEEZNS1_25segmented_radix_sort_implIS3_Lb0EPKlPlS8_S9_N2at6native12_GLOBAL__N_18offset_tEEE10hipError_tPvRmT1_PNSt15iterator_traitsISH_E10value_typeET2_T3_PNSI_ISN_E10value_typeET4_jRbjT5_ST_jjP12ihipStream_tbEUlT_E1_NS1_11comp_targetILNS1_3genE3ELNS1_11target_archE908ELNS1_3gpuE7ELNS1_3repE0EEENS1_59segmented_radix_sort_warp_sort_small_config_static_selectorELNS0_4arch9wavefront6targetE0EEEvSH_.has_dyn_sized_stack, 0
	.set _ZN7rocprim17ROCPRIM_400000_NS6detail17trampoline_kernelINS0_14default_configENS1_36segmented_radix_sort_config_selectorIllEEZNS1_25segmented_radix_sort_implIS3_Lb0EPKlPlS8_S9_N2at6native12_GLOBAL__N_18offset_tEEE10hipError_tPvRmT1_PNSt15iterator_traitsISH_E10value_typeET2_T3_PNSI_ISN_E10value_typeET4_jRbjT5_ST_jjP12ihipStream_tbEUlT_E1_NS1_11comp_targetILNS1_3genE3ELNS1_11target_archE908ELNS1_3gpuE7ELNS1_3repE0EEENS1_59segmented_radix_sort_warp_sort_small_config_static_selectorELNS0_4arch9wavefront6targetE0EEEvSH_.has_recursion, 0
	.set _ZN7rocprim17ROCPRIM_400000_NS6detail17trampoline_kernelINS0_14default_configENS1_36segmented_radix_sort_config_selectorIllEEZNS1_25segmented_radix_sort_implIS3_Lb0EPKlPlS8_S9_N2at6native12_GLOBAL__N_18offset_tEEE10hipError_tPvRmT1_PNSt15iterator_traitsISH_E10value_typeET2_T3_PNSI_ISN_E10value_typeET4_jRbjT5_ST_jjP12ihipStream_tbEUlT_E1_NS1_11comp_targetILNS1_3genE3ELNS1_11target_archE908ELNS1_3gpuE7ELNS1_3repE0EEENS1_59segmented_radix_sort_warp_sort_small_config_static_selectorELNS0_4arch9wavefront6targetE0EEEvSH_.has_indirect_call, 0
	.section	.AMDGPU.csdata,"",@progbits
; Kernel info:
; codeLenInByte = 0
; TotalNumSgprs: 0
; NumVgprs: 0
; ScratchSize: 0
; MemoryBound: 0
; FloatMode: 240
; IeeeMode: 1
; LDSByteSize: 0 bytes/workgroup (compile time only)
; SGPRBlocks: 0
; VGPRBlocks: 0
; NumSGPRsForWavesPerEU: 1
; NumVGPRsForWavesPerEU: 1
; Occupancy: 16
; WaveLimiterHint : 0
; COMPUTE_PGM_RSRC2:SCRATCH_EN: 0
; COMPUTE_PGM_RSRC2:USER_SGPR: 2
; COMPUTE_PGM_RSRC2:TRAP_HANDLER: 0
; COMPUTE_PGM_RSRC2:TGID_X_EN: 1
; COMPUTE_PGM_RSRC2:TGID_Y_EN: 0
; COMPUTE_PGM_RSRC2:TGID_Z_EN: 0
; COMPUTE_PGM_RSRC2:TIDIG_COMP_CNT: 0
	.section	.text._ZN7rocprim17ROCPRIM_400000_NS6detail17trampoline_kernelINS0_14default_configENS1_36segmented_radix_sort_config_selectorIllEEZNS1_25segmented_radix_sort_implIS3_Lb0EPKlPlS8_S9_N2at6native12_GLOBAL__N_18offset_tEEE10hipError_tPvRmT1_PNSt15iterator_traitsISH_E10value_typeET2_T3_PNSI_ISN_E10value_typeET4_jRbjT5_ST_jjP12ihipStream_tbEUlT_E1_NS1_11comp_targetILNS1_3genE2ELNS1_11target_archE906ELNS1_3gpuE6ELNS1_3repE0EEENS1_59segmented_radix_sort_warp_sort_small_config_static_selectorELNS0_4arch9wavefront6targetE0EEEvSH_,"axG",@progbits,_ZN7rocprim17ROCPRIM_400000_NS6detail17trampoline_kernelINS0_14default_configENS1_36segmented_radix_sort_config_selectorIllEEZNS1_25segmented_radix_sort_implIS3_Lb0EPKlPlS8_S9_N2at6native12_GLOBAL__N_18offset_tEEE10hipError_tPvRmT1_PNSt15iterator_traitsISH_E10value_typeET2_T3_PNSI_ISN_E10value_typeET4_jRbjT5_ST_jjP12ihipStream_tbEUlT_E1_NS1_11comp_targetILNS1_3genE2ELNS1_11target_archE906ELNS1_3gpuE6ELNS1_3repE0EEENS1_59segmented_radix_sort_warp_sort_small_config_static_selectorELNS0_4arch9wavefront6targetE0EEEvSH_,comdat
	.globl	_ZN7rocprim17ROCPRIM_400000_NS6detail17trampoline_kernelINS0_14default_configENS1_36segmented_radix_sort_config_selectorIllEEZNS1_25segmented_radix_sort_implIS3_Lb0EPKlPlS8_S9_N2at6native12_GLOBAL__N_18offset_tEEE10hipError_tPvRmT1_PNSt15iterator_traitsISH_E10value_typeET2_T3_PNSI_ISN_E10value_typeET4_jRbjT5_ST_jjP12ihipStream_tbEUlT_E1_NS1_11comp_targetILNS1_3genE2ELNS1_11target_archE906ELNS1_3gpuE6ELNS1_3repE0EEENS1_59segmented_radix_sort_warp_sort_small_config_static_selectorELNS0_4arch9wavefront6targetE0EEEvSH_ ; -- Begin function _ZN7rocprim17ROCPRIM_400000_NS6detail17trampoline_kernelINS0_14default_configENS1_36segmented_radix_sort_config_selectorIllEEZNS1_25segmented_radix_sort_implIS3_Lb0EPKlPlS8_S9_N2at6native12_GLOBAL__N_18offset_tEEE10hipError_tPvRmT1_PNSt15iterator_traitsISH_E10value_typeET2_T3_PNSI_ISN_E10value_typeET4_jRbjT5_ST_jjP12ihipStream_tbEUlT_E1_NS1_11comp_targetILNS1_3genE2ELNS1_11target_archE906ELNS1_3gpuE6ELNS1_3repE0EEENS1_59segmented_radix_sort_warp_sort_small_config_static_selectorELNS0_4arch9wavefront6targetE0EEEvSH_
	.p2align	8
	.type	_ZN7rocprim17ROCPRIM_400000_NS6detail17trampoline_kernelINS0_14default_configENS1_36segmented_radix_sort_config_selectorIllEEZNS1_25segmented_radix_sort_implIS3_Lb0EPKlPlS8_S9_N2at6native12_GLOBAL__N_18offset_tEEE10hipError_tPvRmT1_PNSt15iterator_traitsISH_E10value_typeET2_T3_PNSI_ISN_E10value_typeET4_jRbjT5_ST_jjP12ihipStream_tbEUlT_E1_NS1_11comp_targetILNS1_3genE2ELNS1_11target_archE906ELNS1_3gpuE6ELNS1_3repE0EEENS1_59segmented_radix_sort_warp_sort_small_config_static_selectorELNS0_4arch9wavefront6targetE0EEEvSH_,@function
_ZN7rocprim17ROCPRIM_400000_NS6detail17trampoline_kernelINS0_14default_configENS1_36segmented_radix_sort_config_selectorIllEEZNS1_25segmented_radix_sort_implIS3_Lb0EPKlPlS8_S9_N2at6native12_GLOBAL__N_18offset_tEEE10hipError_tPvRmT1_PNSt15iterator_traitsISH_E10value_typeET2_T3_PNSI_ISN_E10value_typeET4_jRbjT5_ST_jjP12ihipStream_tbEUlT_E1_NS1_11comp_targetILNS1_3genE2ELNS1_11target_archE906ELNS1_3gpuE6ELNS1_3repE0EEENS1_59segmented_radix_sort_warp_sort_small_config_static_selectorELNS0_4arch9wavefront6targetE0EEEvSH_: ; @_ZN7rocprim17ROCPRIM_400000_NS6detail17trampoline_kernelINS0_14default_configENS1_36segmented_radix_sort_config_selectorIllEEZNS1_25segmented_radix_sort_implIS3_Lb0EPKlPlS8_S9_N2at6native12_GLOBAL__N_18offset_tEEE10hipError_tPvRmT1_PNSt15iterator_traitsISH_E10value_typeET2_T3_PNSI_ISN_E10value_typeET4_jRbjT5_ST_jjP12ihipStream_tbEUlT_E1_NS1_11comp_targetILNS1_3genE2ELNS1_11target_archE906ELNS1_3gpuE6ELNS1_3repE0EEENS1_59segmented_radix_sort_warp_sort_small_config_static_selectorELNS0_4arch9wavefront6targetE0EEEvSH_
; %bb.0:
	.section	.rodata,"a",@progbits
	.p2align	6, 0x0
	.amdhsa_kernel _ZN7rocprim17ROCPRIM_400000_NS6detail17trampoline_kernelINS0_14default_configENS1_36segmented_radix_sort_config_selectorIllEEZNS1_25segmented_radix_sort_implIS3_Lb0EPKlPlS8_S9_N2at6native12_GLOBAL__N_18offset_tEEE10hipError_tPvRmT1_PNSt15iterator_traitsISH_E10value_typeET2_T3_PNSI_ISN_E10value_typeET4_jRbjT5_ST_jjP12ihipStream_tbEUlT_E1_NS1_11comp_targetILNS1_3genE2ELNS1_11target_archE906ELNS1_3gpuE6ELNS1_3repE0EEENS1_59segmented_radix_sort_warp_sort_small_config_static_selectorELNS0_4arch9wavefront6targetE0EEEvSH_
		.amdhsa_group_segment_fixed_size 0
		.amdhsa_private_segment_fixed_size 0
		.amdhsa_kernarg_size 88
		.amdhsa_user_sgpr_count 2
		.amdhsa_user_sgpr_dispatch_ptr 0
		.amdhsa_user_sgpr_queue_ptr 0
		.amdhsa_user_sgpr_kernarg_segment_ptr 1
		.amdhsa_user_sgpr_dispatch_id 0
		.amdhsa_user_sgpr_private_segment_size 0
		.amdhsa_wavefront_size32 1
		.amdhsa_uses_dynamic_stack 0
		.amdhsa_enable_private_segment 0
		.amdhsa_system_sgpr_workgroup_id_x 1
		.amdhsa_system_sgpr_workgroup_id_y 0
		.amdhsa_system_sgpr_workgroup_id_z 0
		.amdhsa_system_sgpr_workgroup_info 0
		.amdhsa_system_vgpr_workitem_id 0
		.amdhsa_next_free_vgpr 1
		.amdhsa_next_free_sgpr 1
		.amdhsa_reserve_vcc 0
		.amdhsa_float_round_mode_32 0
		.amdhsa_float_round_mode_16_64 0
		.amdhsa_float_denorm_mode_32 3
		.amdhsa_float_denorm_mode_16_64 3
		.amdhsa_fp16_overflow 0
		.amdhsa_workgroup_processor_mode 1
		.amdhsa_memory_ordered 1
		.amdhsa_forward_progress 1
		.amdhsa_inst_pref_size 0
		.amdhsa_round_robin_scheduling 0
		.amdhsa_exception_fp_ieee_invalid_op 0
		.amdhsa_exception_fp_denorm_src 0
		.amdhsa_exception_fp_ieee_div_zero 0
		.amdhsa_exception_fp_ieee_overflow 0
		.amdhsa_exception_fp_ieee_underflow 0
		.amdhsa_exception_fp_ieee_inexact 0
		.amdhsa_exception_int_div_zero 0
	.end_amdhsa_kernel
	.section	.text._ZN7rocprim17ROCPRIM_400000_NS6detail17trampoline_kernelINS0_14default_configENS1_36segmented_radix_sort_config_selectorIllEEZNS1_25segmented_radix_sort_implIS3_Lb0EPKlPlS8_S9_N2at6native12_GLOBAL__N_18offset_tEEE10hipError_tPvRmT1_PNSt15iterator_traitsISH_E10value_typeET2_T3_PNSI_ISN_E10value_typeET4_jRbjT5_ST_jjP12ihipStream_tbEUlT_E1_NS1_11comp_targetILNS1_3genE2ELNS1_11target_archE906ELNS1_3gpuE6ELNS1_3repE0EEENS1_59segmented_radix_sort_warp_sort_small_config_static_selectorELNS0_4arch9wavefront6targetE0EEEvSH_,"axG",@progbits,_ZN7rocprim17ROCPRIM_400000_NS6detail17trampoline_kernelINS0_14default_configENS1_36segmented_radix_sort_config_selectorIllEEZNS1_25segmented_radix_sort_implIS3_Lb0EPKlPlS8_S9_N2at6native12_GLOBAL__N_18offset_tEEE10hipError_tPvRmT1_PNSt15iterator_traitsISH_E10value_typeET2_T3_PNSI_ISN_E10value_typeET4_jRbjT5_ST_jjP12ihipStream_tbEUlT_E1_NS1_11comp_targetILNS1_3genE2ELNS1_11target_archE906ELNS1_3gpuE6ELNS1_3repE0EEENS1_59segmented_radix_sort_warp_sort_small_config_static_selectorELNS0_4arch9wavefront6targetE0EEEvSH_,comdat
.Lfunc_end831:
	.size	_ZN7rocprim17ROCPRIM_400000_NS6detail17trampoline_kernelINS0_14default_configENS1_36segmented_radix_sort_config_selectorIllEEZNS1_25segmented_radix_sort_implIS3_Lb0EPKlPlS8_S9_N2at6native12_GLOBAL__N_18offset_tEEE10hipError_tPvRmT1_PNSt15iterator_traitsISH_E10value_typeET2_T3_PNSI_ISN_E10value_typeET4_jRbjT5_ST_jjP12ihipStream_tbEUlT_E1_NS1_11comp_targetILNS1_3genE2ELNS1_11target_archE906ELNS1_3gpuE6ELNS1_3repE0EEENS1_59segmented_radix_sort_warp_sort_small_config_static_selectorELNS0_4arch9wavefront6targetE0EEEvSH_, .Lfunc_end831-_ZN7rocprim17ROCPRIM_400000_NS6detail17trampoline_kernelINS0_14default_configENS1_36segmented_radix_sort_config_selectorIllEEZNS1_25segmented_radix_sort_implIS3_Lb0EPKlPlS8_S9_N2at6native12_GLOBAL__N_18offset_tEEE10hipError_tPvRmT1_PNSt15iterator_traitsISH_E10value_typeET2_T3_PNSI_ISN_E10value_typeET4_jRbjT5_ST_jjP12ihipStream_tbEUlT_E1_NS1_11comp_targetILNS1_3genE2ELNS1_11target_archE906ELNS1_3gpuE6ELNS1_3repE0EEENS1_59segmented_radix_sort_warp_sort_small_config_static_selectorELNS0_4arch9wavefront6targetE0EEEvSH_
                                        ; -- End function
	.set _ZN7rocprim17ROCPRIM_400000_NS6detail17trampoline_kernelINS0_14default_configENS1_36segmented_radix_sort_config_selectorIllEEZNS1_25segmented_radix_sort_implIS3_Lb0EPKlPlS8_S9_N2at6native12_GLOBAL__N_18offset_tEEE10hipError_tPvRmT1_PNSt15iterator_traitsISH_E10value_typeET2_T3_PNSI_ISN_E10value_typeET4_jRbjT5_ST_jjP12ihipStream_tbEUlT_E1_NS1_11comp_targetILNS1_3genE2ELNS1_11target_archE906ELNS1_3gpuE6ELNS1_3repE0EEENS1_59segmented_radix_sort_warp_sort_small_config_static_selectorELNS0_4arch9wavefront6targetE0EEEvSH_.num_vgpr, 0
	.set _ZN7rocprim17ROCPRIM_400000_NS6detail17trampoline_kernelINS0_14default_configENS1_36segmented_radix_sort_config_selectorIllEEZNS1_25segmented_radix_sort_implIS3_Lb0EPKlPlS8_S9_N2at6native12_GLOBAL__N_18offset_tEEE10hipError_tPvRmT1_PNSt15iterator_traitsISH_E10value_typeET2_T3_PNSI_ISN_E10value_typeET4_jRbjT5_ST_jjP12ihipStream_tbEUlT_E1_NS1_11comp_targetILNS1_3genE2ELNS1_11target_archE906ELNS1_3gpuE6ELNS1_3repE0EEENS1_59segmented_radix_sort_warp_sort_small_config_static_selectorELNS0_4arch9wavefront6targetE0EEEvSH_.num_agpr, 0
	.set _ZN7rocprim17ROCPRIM_400000_NS6detail17trampoline_kernelINS0_14default_configENS1_36segmented_radix_sort_config_selectorIllEEZNS1_25segmented_radix_sort_implIS3_Lb0EPKlPlS8_S9_N2at6native12_GLOBAL__N_18offset_tEEE10hipError_tPvRmT1_PNSt15iterator_traitsISH_E10value_typeET2_T3_PNSI_ISN_E10value_typeET4_jRbjT5_ST_jjP12ihipStream_tbEUlT_E1_NS1_11comp_targetILNS1_3genE2ELNS1_11target_archE906ELNS1_3gpuE6ELNS1_3repE0EEENS1_59segmented_radix_sort_warp_sort_small_config_static_selectorELNS0_4arch9wavefront6targetE0EEEvSH_.numbered_sgpr, 0
	.set _ZN7rocprim17ROCPRIM_400000_NS6detail17trampoline_kernelINS0_14default_configENS1_36segmented_radix_sort_config_selectorIllEEZNS1_25segmented_radix_sort_implIS3_Lb0EPKlPlS8_S9_N2at6native12_GLOBAL__N_18offset_tEEE10hipError_tPvRmT1_PNSt15iterator_traitsISH_E10value_typeET2_T3_PNSI_ISN_E10value_typeET4_jRbjT5_ST_jjP12ihipStream_tbEUlT_E1_NS1_11comp_targetILNS1_3genE2ELNS1_11target_archE906ELNS1_3gpuE6ELNS1_3repE0EEENS1_59segmented_radix_sort_warp_sort_small_config_static_selectorELNS0_4arch9wavefront6targetE0EEEvSH_.num_named_barrier, 0
	.set _ZN7rocprim17ROCPRIM_400000_NS6detail17trampoline_kernelINS0_14default_configENS1_36segmented_radix_sort_config_selectorIllEEZNS1_25segmented_radix_sort_implIS3_Lb0EPKlPlS8_S9_N2at6native12_GLOBAL__N_18offset_tEEE10hipError_tPvRmT1_PNSt15iterator_traitsISH_E10value_typeET2_T3_PNSI_ISN_E10value_typeET4_jRbjT5_ST_jjP12ihipStream_tbEUlT_E1_NS1_11comp_targetILNS1_3genE2ELNS1_11target_archE906ELNS1_3gpuE6ELNS1_3repE0EEENS1_59segmented_radix_sort_warp_sort_small_config_static_selectorELNS0_4arch9wavefront6targetE0EEEvSH_.private_seg_size, 0
	.set _ZN7rocprim17ROCPRIM_400000_NS6detail17trampoline_kernelINS0_14default_configENS1_36segmented_radix_sort_config_selectorIllEEZNS1_25segmented_radix_sort_implIS3_Lb0EPKlPlS8_S9_N2at6native12_GLOBAL__N_18offset_tEEE10hipError_tPvRmT1_PNSt15iterator_traitsISH_E10value_typeET2_T3_PNSI_ISN_E10value_typeET4_jRbjT5_ST_jjP12ihipStream_tbEUlT_E1_NS1_11comp_targetILNS1_3genE2ELNS1_11target_archE906ELNS1_3gpuE6ELNS1_3repE0EEENS1_59segmented_radix_sort_warp_sort_small_config_static_selectorELNS0_4arch9wavefront6targetE0EEEvSH_.uses_vcc, 0
	.set _ZN7rocprim17ROCPRIM_400000_NS6detail17trampoline_kernelINS0_14default_configENS1_36segmented_radix_sort_config_selectorIllEEZNS1_25segmented_radix_sort_implIS3_Lb0EPKlPlS8_S9_N2at6native12_GLOBAL__N_18offset_tEEE10hipError_tPvRmT1_PNSt15iterator_traitsISH_E10value_typeET2_T3_PNSI_ISN_E10value_typeET4_jRbjT5_ST_jjP12ihipStream_tbEUlT_E1_NS1_11comp_targetILNS1_3genE2ELNS1_11target_archE906ELNS1_3gpuE6ELNS1_3repE0EEENS1_59segmented_radix_sort_warp_sort_small_config_static_selectorELNS0_4arch9wavefront6targetE0EEEvSH_.uses_flat_scratch, 0
	.set _ZN7rocprim17ROCPRIM_400000_NS6detail17trampoline_kernelINS0_14default_configENS1_36segmented_radix_sort_config_selectorIllEEZNS1_25segmented_radix_sort_implIS3_Lb0EPKlPlS8_S9_N2at6native12_GLOBAL__N_18offset_tEEE10hipError_tPvRmT1_PNSt15iterator_traitsISH_E10value_typeET2_T3_PNSI_ISN_E10value_typeET4_jRbjT5_ST_jjP12ihipStream_tbEUlT_E1_NS1_11comp_targetILNS1_3genE2ELNS1_11target_archE906ELNS1_3gpuE6ELNS1_3repE0EEENS1_59segmented_radix_sort_warp_sort_small_config_static_selectorELNS0_4arch9wavefront6targetE0EEEvSH_.has_dyn_sized_stack, 0
	.set _ZN7rocprim17ROCPRIM_400000_NS6detail17trampoline_kernelINS0_14default_configENS1_36segmented_radix_sort_config_selectorIllEEZNS1_25segmented_radix_sort_implIS3_Lb0EPKlPlS8_S9_N2at6native12_GLOBAL__N_18offset_tEEE10hipError_tPvRmT1_PNSt15iterator_traitsISH_E10value_typeET2_T3_PNSI_ISN_E10value_typeET4_jRbjT5_ST_jjP12ihipStream_tbEUlT_E1_NS1_11comp_targetILNS1_3genE2ELNS1_11target_archE906ELNS1_3gpuE6ELNS1_3repE0EEENS1_59segmented_radix_sort_warp_sort_small_config_static_selectorELNS0_4arch9wavefront6targetE0EEEvSH_.has_recursion, 0
	.set _ZN7rocprim17ROCPRIM_400000_NS6detail17trampoline_kernelINS0_14default_configENS1_36segmented_radix_sort_config_selectorIllEEZNS1_25segmented_radix_sort_implIS3_Lb0EPKlPlS8_S9_N2at6native12_GLOBAL__N_18offset_tEEE10hipError_tPvRmT1_PNSt15iterator_traitsISH_E10value_typeET2_T3_PNSI_ISN_E10value_typeET4_jRbjT5_ST_jjP12ihipStream_tbEUlT_E1_NS1_11comp_targetILNS1_3genE2ELNS1_11target_archE906ELNS1_3gpuE6ELNS1_3repE0EEENS1_59segmented_radix_sort_warp_sort_small_config_static_selectorELNS0_4arch9wavefront6targetE0EEEvSH_.has_indirect_call, 0
	.section	.AMDGPU.csdata,"",@progbits
; Kernel info:
; codeLenInByte = 0
; TotalNumSgprs: 0
; NumVgprs: 0
; ScratchSize: 0
; MemoryBound: 0
; FloatMode: 240
; IeeeMode: 1
; LDSByteSize: 0 bytes/workgroup (compile time only)
; SGPRBlocks: 0
; VGPRBlocks: 0
; NumSGPRsForWavesPerEU: 1
; NumVGPRsForWavesPerEU: 1
; Occupancy: 16
; WaveLimiterHint : 0
; COMPUTE_PGM_RSRC2:SCRATCH_EN: 0
; COMPUTE_PGM_RSRC2:USER_SGPR: 2
; COMPUTE_PGM_RSRC2:TRAP_HANDLER: 0
; COMPUTE_PGM_RSRC2:TGID_X_EN: 1
; COMPUTE_PGM_RSRC2:TGID_Y_EN: 0
; COMPUTE_PGM_RSRC2:TGID_Z_EN: 0
; COMPUTE_PGM_RSRC2:TIDIG_COMP_CNT: 0
	.text
	.p2align	2                               ; -- Begin function _ZN7rocprim17ROCPRIM_400000_NS6detail26segmented_warp_sort_helperINS1_20WarpSortHelperConfigILj8ELj4ELj256EEEllLi256ELb0EvE4sortIPKlPlS8_S9_EEvT_T0_T1_T2_jjjjRNS5_12storage_typeE
	.type	_ZN7rocprim17ROCPRIM_400000_NS6detail26segmented_warp_sort_helperINS1_20WarpSortHelperConfigILj8ELj4ELj256EEEllLi256ELb0EvE4sortIPKlPlS8_S9_EEvT_T0_T1_T2_jjjjRNS5_12storage_typeE,@function
_ZN7rocprim17ROCPRIM_400000_NS6detail26segmented_warp_sort_helperINS1_20WarpSortHelperConfigILj8ELj4ELj256EEEllLi256ELb0EvE4sortIPKlPlS8_S9_EEvT_T0_T1_T2_jjjjRNS5_12storage_typeE: ; @_ZN7rocprim17ROCPRIM_400000_NS6detail26segmented_warp_sort_helperINS1_20WarpSortHelperConfigILj8ELj4ELj256EEEllLi256ELb0EvE4sortIPKlPlS8_S9_EEvT_T0_T1_T2_jjjjRNS5_12storage_typeE
; %bb.0:
	s_wait_loadcnt_dscnt 0x0
	s_wait_expcnt 0x0
	s_wait_samplecnt 0x0
	s_wait_bvhcnt 0x0
	s_wait_kmcnt 0x0
	v_mov_b32_e32 v13, v9
	v_mbcnt_lo_u32_b32 v9, -1, 0
	v_mov_b32_e32 v15, -1
	v_bfrev_b32_e32 v16, -2
	s_mov_b32 s0, -1
	s_brev_b32 s1, -2
	v_lshlrev_b32_e32 v50, 2, v9
	s_delay_alu instid0(VALU_DEP_1) | instskip(NEXT) | instid1(VALU_DEP_1)
	v_and_b32_e32 v49, 28, v50
	v_dual_mov_b32 v9, 0 :: v_dual_lshlrev_b32 v48, 3, v49
	s_delay_alu instid0(VALU_DEP_1) | instskip(SKIP_2) | instid1(VALU_DEP_3)
	v_lshlrev_b64_e32 v[29:30], 3, v[8:9]
	v_sub_nc_u32_e32 v8, v13, v8
	v_dual_mov_b32 v13, v15 :: v_dual_mov_b32 v14, v16
	v_add_co_u32 v0, vcc_lo, v0, v29
	s_wait_alu 0xfffd
	s_delay_alu instid0(VALU_DEP_4) | instskip(NEXT) | instid1(VALU_DEP_2)
	v_add_co_ci_u32_e64 v1, null, v1, v30, vcc_lo
	v_add_co_u32 v0, vcc_lo, v0, v48
	s_wait_alu 0xfffd
	s_delay_alu instid0(VALU_DEP_2)
	v_add_co_ci_u32_e64 v1, null, 0, v1, vcc_lo
	v_cmp_lt_u32_e32 vcc_lo, v49, v8
	s_and_saveexec_b32 s2, vcc_lo
	s_cbranch_execz .LBB832_2
; %bb.1:
	flat_load_b64 v[13:14], v[0:1]
.LBB832_2:
	s_wait_alu 0xfffe
	s_or_b32 exec_lo, exec_lo, s2
	v_or_b32_e32 v9, 1, v49
	v_dual_mov_b32 v17, s0 :: v_dual_mov_b32 v18, s1
	v_dual_mov_b32 v32, s0 :: v_dual_mov_b32 v33, s1
	;; [unrolled: 1-line block ×3, first 2 shown]
	s_delay_alu instid0(VALU_DEP_4)
	v_cmp_lt_u32_e64 s0, v9, v8
	s_and_saveexec_b32 s1, s0
	s_cbranch_execz .LBB832_4
; %bb.3:
	flat_load_b64 v[17:18], v[0:1] offset:8
	s_mov_b32 s2, -1
	s_brev_b32 s3, -2
	s_wait_alu 0xfffe
	v_dual_mov_b32 v32, s2 :: v_dual_mov_b32 v33, s3
	v_dual_mov_b32 v34, s2 :: v_dual_mov_b32 v35, s3
	s_wait_loadcnt_dscnt 0x0
	v_dual_mov_b32 v15, v17 :: v_dual_mov_b32 v16, v18
.LBB832_4:
	s_wait_alu 0xfffe
	s_or_b32 exec_lo, exec_lo, s1
	v_or_b32_e32 v9, 2, v49
	v_mov_b32_e32 v19, -1
	v_bfrev_b32_e32 v20, -2
	s_brev_b32 s3, -2
	s_mov_b32 s4, -1
	v_cmp_lt_u32_e64 s1, v9, v8
	s_delay_alu instid0(VALU_DEP_2)
	v_dual_mov_b32 v22, v20 :: v_dual_mov_b32 v21, v19
	s_and_saveexec_b32 s2, s1
	s_cbranch_execz .LBB832_6
; %bb.5:
	flat_load_b64 v[32:33], v[0:1] offset:16
	s_wait_alu 0xfffe
	v_dual_mov_b32 v34, s4 :: v_dual_mov_b32 v35, s3
	s_wait_loadcnt_dscnt 0x0
	v_dual_mov_b32 v21, v32 :: v_dual_mov_b32 v22, v33
.LBB832_6:
	s_wait_alu 0xfffe
	s_or_b32 exec_lo, exec_lo, s2
	v_or_b32_e32 v9, 3, v49
	s_delay_alu instid0(VALU_DEP_1)
	v_cmp_lt_u32_e64 s2, v9, v8
	s_and_saveexec_b32 s3, s2
	s_cbranch_execz .LBB832_8
; %bb.7:
	flat_load_b64 v[34:35], v[0:1] offset:24
	s_wait_loadcnt_dscnt 0x0
	v_dual_mov_b32 v19, v34 :: v_dual_mov_b32 v20, v35
.LBB832_8:
	s_wait_alu 0xfffe
	s_or_b32 exec_lo, exec_lo, s3
	v_add_co_u32 v0, s3, v4, v29
	s_wait_alu 0xf1ff
	v_add_co_ci_u32_e64 v1, null, v5, v30, s3
	s_delay_alu instid0(VALU_DEP_2) | instskip(SKIP_1) | instid1(VALU_DEP_2)
	v_add_co_u32 v23, s3, v0, v48
	s_wait_alu 0xf1ff
	v_add_co_ci_u32_e64 v24, null, 0, v1, s3
	; wave barrier
                                        ; implicit-def: $vgpr0_vgpr1
	s_and_saveexec_b32 s3, vcc_lo
	s_cbranch_execnz .LBB832_107
; %bb.9:
	s_wait_alu 0xfffe
	s_or_b32 exec_lo, exec_lo, s3
                                        ; implicit-def: $vgpr4_vgpr5
	s_and_saveexec_b32 s3, s0
	s_cbranch_execnz .LBB832_108
.LBB832_10:
	s_wait_alu 0xfffe
	s_or_b32 exec_lo, exec_lo, s3
                                        ; implicit-def: $vgpr27_vgpr28
	s_and_saveexec_b32 s3, s1
	s_cbranch_execnz .LBB832_109
.LBB832_11:
	s_wait_alu 0xfffe
	s_or_b32 exec_lo, exec_lo, s3
                                        ; implicit-def: $vgpr8_vgpr9
	s_and_saveexec_b32 s3, s2
	s_cbranch_execz .LBB832_13
.LBB832_12:
	flat_load_b64 v[8:9], v[23:24] offset:24
.LBB832_13:
	s_wait_alu 0xfffe
	s_or_b32 exec_lo, exec_lo, s3
	v_cmp_ne_u32_e64 s3, 0, v10
	v_cmp_ne_u32_e64 s4, 64, v11
	v_bfe_u32 v24, v31, 10, 10
	v_bfe_u32 v25, v31, 20, 10
	v_and_b32_e32 v23, 0x3ff, v31
	s_mov_b32 s5, 0
	s_or_b32 s3, s3, s4
	; wave barrier
	s_wait_alu 0xfffe
	s_and_saveexec_b32 s4, s3
	s_wait_alu 0xfffe
	s_xor_b32 s11, exec_lo, s4
	s_cbranch_execz .LBB832_55
; %bb.14:
	s_load_b64 s[6:7], s[8:9], 0x0
	s_and_b32 s3, ttmp7, 0xffff
	s_wait_kmcnt 0x0
	s_wait_alu 0xfffe
	s_cmp_lt_u32 s3, s7
	s_cselect_b32 s4, 14, 20
	s_cmp_lt_u32 ttmp9, s6
	s_wait_alu 0xfffe
	s_add_nc_u64 s[12:13], s[8:9], s[4:5]
	s_cselect_b32 s4, 12, 18
	s_load_u16 s3, s[12:13], 0x0
	s_add_nc_u64 s[4:5], s[8:9], s[4:5]
	s_mov_b32 s6, exec_lo
	s_load_u16 s4, s[4:5], 0x0
	s_wait_kmcnt 0x0
	v_mad_u32_u24 v24, v25, s3, v24
	s_delay_alu instid0(VALU_DEP_1) | instskip(SKIP_2) | instid1(VALU_DEP_1)
	v_mul_lo_u32 v26, v24, s4
	v_lshlrev_b64_e64 v[24:25], v11, -1
	v_lshlrev_b64_e64 v[10:11], v10, -1
	v_xor_b32_e32 v52, v25, v11
	s_delay_alu instid0(VALU_DEP_4) | instskip(NEXT) | instid1(VALU_DEP_3)
	v_add_lshl_u32 v53, v26, v23, 2
	v_xor_b32_e32 v51, v24, v10
	s_delay_alu instid0(VALU_DEP_2)
	v_cmpx_gt_u32_e32 0x400, v53
	s_cbranch_execz .LBB832_24
; %bb.15:
	v_and_b32_e32 v11, v16, v52
	s_delay_alu instid0(VALU_DEP_3)
	v_and_b32_e32 v10, v15, v51
	s_wait_loadcnt_dscnt 0x0
	v_dual_mov_b32 v25, v32 :: v_dual_and_b32 v16, v14, v52
	v_and_b32_e32 v15, v13, v51
	v_mov_b32_e32 v26, v33
	v_and_b32_e32 v20, v35, v52
	v_and_b32_e32 v19, v34, v51
	s_mov_b32 s5, exec_lo
	v_cmp_gt_u64_e64 s3, v[15:16], v[10:11]
	v_mov_b32_e32 v10, v27
	v_and_b32_e32 v16, v33, v52
	v_and_b32_e32 v15, v32, v51
	v_mov_b32_e32 v11, v28
	s_wait_alu 0xf1ff
	v_cndmask_b32_e64 v24, v18, v14, s3
	v_cndmask_b32_e64 v23, v17, v13, s3
	;; [unrolled: 1-line block ×4, first 2 shown]
	v_cmpx_gt_u64_e64 v[15:16], v[19:20]
	s_cbranch_execz .LBB832_17
; %bb.16:
	v_dual_mov_b32 v13, v32 :: v_dual_mov_b32 v14, v33
	v_dual_mov_b32 v11, v9 :: v_dual_mov_b32 v10, v8
	;; [unrolled: 1-line block ×7, first 2 shown]
.LBB832_17:
	s_wait_alu 0xfffe
	s_or_b32 exec_lo, exec_lo, s5
	s_delay_alu instid0(VALU_DEP_1) | instskip(NEXT) | instid1(VALU_DEP_2)
	v_dual_mov_b32 v27, v34 :: v_dual_and_b32 v36, v23, v51
	v_dual_mov_b32 v28, v35 :: v_dual_and_b32 v37, v24, v52
	v_cndmask_b32_e64 v39, v5, v1, s3
	v_cndmask_b32_e64 v38, v4, v0, s3
	s_delay_alu instid0(VALU_DEP_3)
	v_cmp_gt_u64_e64 s4, v[36:37], v[15:16]
	v_dual_mov_b32 v13, v21 :: v_dual_mov_b32 v14, v22
	v_dual_mov_b32 v15, v23 :: v_dual_mov_b32 v16, v24
	;; [unrolled: 1-line block ×5, first 2 shown]
	s_and_saveexec_b32 s5, s4
	s_wait_alu 0xfffe
	s_xor_b32 s4, exec_lo, s5
	s_cbranch_execz .LBB832_19
; %bb.18:
	v_dual_mov_b32 v13, v21 :: v_dual_and_b32 v36, v32, v51
	v_dual_mov_b32 v15, v23 :: v_dual_mov_b32 v16, v24
	v_dual_mov_b32 v17, v25 :: v_dual_mov_b32 v18, v26
	v_dual_mov_b32 v19, v27 :: v_dual_mov_b32 v20, v28
	v_dual_mov_b32 v14, v22 :: v_dual_and_b32 v37, v33, v52
	v_dual_mov_b32 v15, v32 :: v_dual_mov_b32 v16, v33
	v_dual_mov_b32 v17, v23 :: v_dual_mov_b32 v18, v24
	;; [unrolled: 1-line block ×6, first 2 shown]
.LBB832_19:
	s_wait_alu 0xfffe
	s_or_b32 exec_lo, exec_lo, s4
	v_and_b32_e32 v22, v22, v52
	v_and_b32_e32 v21, v21, v51
	;; [unrolled: 1-line block ×6, first 2 shown]
	v_cmp_gt_u64_e64 s4, v[21:22], v[36:37]
	v_dual_mov_b32 v22, v18 :: v_dual_mov_b32 v21, v17
	s_mov_b32 s7, exec_lo
	s_wait_alu 0xf1ff
	v_cndmask_b32_e64 v16, v16, v14, s4
	v_cndmask_b32_e64 v15, v15, v13, s4
	;; [unrolled: 1-line block ×4, first 2 shown]
	v_dual_mov_b32 v24, v11 :: v_dual_mov_b32 v23, v10
	v_cmpx_gt_u64_e64 v[27:28], v[31:32]
	s_cbranch_execz .LBB832_21
; %bb.20:
	v_dual_mov_b32 v34, v18 :: v_dual_mov_b32 v33, v17
	v_dual_mov_b32 v24, v9 :: v_dual_mov_b32 v23, v8
	;; [unrolled: 1-line block ×7, first 2 shown]
.LBB832_21:
	s_wait_alu 0xfffe
	s_or_b32 exec_lo, exec_lo, s7
	v_and_b32_e32 v11, v16, v52
	v_and_b32_e32 v10, v15, v51
	v_cndmask_b32_e64 v5, v1, v5, s3
	v_cndmask_b32_e64 v4, v0, v4, s3
	s_delay_alu instid0(VALU_DEP_3) | instskip(NEXT) | instid1(VALU_DEP_3)
	v_cmp_gt_u64_e64 s3, v[10:11], v[27:28]
	v_cndmask_b32_e64 v1, v5, v26, s4
	s_delay_alu instid0(VALU_DEP_3)
	v_cndmask_b32_e64 v0, v4, v25, s4
	v_cndmask_b32_e64 v5, v26, v5, s4
	;; [unrolled: 1-line block ×3, first 2 shown]
	v_dual_mov_b32 v28, v24 :: v_dual_mov_b32 v27, v23
	s_and_saveexec_b32 s4, s3
; %bb.22:
	v_dual_mov_b32 v22, v16 :: v_dual_mov_b32 v21, v15
	v_dual_mov_b32 v15, v17 :: v_dual_mov_b32 v16, v18
	v_dual_mov_b32 v28, v5 :: v_dual_mov_b32 v27, v4
	v_dual_mov_b32 v4, v23 :: v_dual_mov_b32 v5, v24
; %bb.23:
	s_wait_alu 0xfffe
	s_or_b32 exec_lo, exec_lo, s4
.LBB832_24:
	s_delay_alu instid0(SALU_CYCLE_1) | instskip(SKIP_4) | instid1(VALU_DEP_3)
	s_or_b32 exec_lo, exec_lo, s6
	v_dual_mov_b32 v11, 0 :: v_dual_and_b32 v10, 0xffffff80, v53
	v_or_b32_e32 v17, 4, v50
	v_and_b32_e32 v23, 4, v50
	s_mov_b32 s4, exec_lo
	v_sub_nc_u32_e64 v18, 0x400, v10 clamp
	v_lshlrev_b64_e32 v[10:11], 3, v[10:11]
	s_delay_alu instid0(VALU_DEP_2) | instskip(NEXT) | instid1(VALU_DEP_2)
	v_min_u32_e32 v35, v18, v17
	v_add_co_u32 v17, null, v12, v10
	v_and_b32_e32 v10, 0x78, v50
	s_delay_alu instid0(VALU_DEP_3) | instskip(NEXT) | instid1(VALU_DEP_2)
	v_add_nc_u32_e32 v11, 4, v35
	v_sub_nc_u32_e32 v24, v35, v10
	s_delay_alu instid0(VALU_DEP_2) | instskip(SKIP_2) | instid1(VALU_DEP_3)
	v_min_u32_e32 v36, v18, v11
	v_min_u32_e32 v11, v18, v23
	v_lshl_add_u32 v23, v50, 3, v17
	v_sub_nc_u32_e32 v12, v36, v35
	s_delay_alu instid0(VALU_DEP_3) | instskip(NEXT) | instid1(VALU_DEP_3)
	v_min_u32_e32 v24, v11, v24
	v_add_nc_u32_e32 v25, 0x2000, v23
	s_wait_loadcnt_dscnt 0x0
	ds_store_b64 v23, v[0:1] offset:8192
	ds_store_2addr_b64 v23, v[13:14], v[15:16] offset1:1
	ds_store_2addr_b64 v25, v[4:5], v[27:28] offset0:1 offset1:2
	ds_store_2addr_b64 v23, v[21:22], v[19:20] offset0:2 offset1:3
	ds_store_b64 v23, v[8:9] offset:8216
	v_sub_nc_u32_e64 v12, v11, v12 clamp
	; wave barrier
	s_delay_alu instid0(VALU_DEP_1)
	v_cmpx_lt_u32_e64 v12, v24
	s_cbranch_execz .LBB832_28
; %bb.25:
	v_lshlrev_b32_e32 v25, 3, v10
	v_lshlrev_b32_e32 v26, 3, v35
	s_mov_b32 s5, 0
	s_delay_alu instid0(VALU_DEP_2) | instskip(NEXT) | instid1(VALU_DEP_2)
	v_add_co_u32 v25, null, v17, v25
	v_add_co_u32 v26, null, v17, v26
.LBB832_26:                             ; =>This Inner Loop Header: Depth=1
	v_add_nc_u32_e32 v31, v24, v12
	s_delay_alu instid0(VALU_DEP_1) | instskip(NEXT) | instid1(VALU_DEP_1)
	v_lshrrev_b32_e32 v37, 1, v31
	v_xad_u32 v31, v37, -1, v11
	v_lshl_add_u32 v32, v37, 3, v25
	s_delay_alu instid0(VALU_DEP_2)
	v_lshl_add_u32 v33, v31, 3, v26
	ds_load_b64 v[31:32], v32
	ds_load_b64 v[33:34], v33
	s_wait_dscnt 0x1
	v_and_b32_e32 v32, v32, v52
	v_and_b32_e32 v31, v31, v51
	s_wait_dscnt 0x0
	v_and_b32_e32 v34, v34, v52
	v_and_b32_e32 v33, v33, v51
	s_delay_alu instid0(VALU_DEP_1) | instskip(SKIP_2) | instid1(VALU_DEP_2)
	v_cmp_gt_u64_e64 s3, v[31:32], v[33:34]
	v_add_nc_u32_e32 v31, 1, v37
	s_wait_alu 0xf1ff
	v_cndmask_b32_e64 v24, v24, v37, s3
	s_delay_alu instid0(VALU_DEP_2) | instskip(NEXT) | instid1(VALU_DEP_1)
	v_cndmask_b32_e64 v12, v31, v12, s3
	v_cmp_ge_u32_e64 s3, v12, v24
	s_wait_alu 0xfffe
	s_or_b32 s5, s3, s5
	s_wait_alu 0xfffe
	s_and_not1_b32 exec_lo, exec_lo, s5
	s_cbranch_execnz .LBB832_26
; %bb.27:
	s_or_b32 exec_lo, exec_lo, s5
.LBB832_28:
	s_wait_alu 0xfffe
	s_or_b32 exec_lo, exec_lo, s4
	v_add_nc_u32_e32 v11, v35, v11
	v_add_nc_u32_e32 v37, v12, v10
	;; [unrolled: 1-line block ×5, first 2 shown]
	v_sub_nc_u32_e32 v38, v11, v12
	v_cmp_le_u32_e64 s3, v37, v35
	v_add_nc_u32_e32 v32, 16, v23
	v_add_nc_u32_e32 v33, 0x2010, v23
	;; [unrolled: 1-line block ×3, first 2 shown]
	v_cmp_le_u32_e64 s4, v38, v36
	v_add_nc_u32_e32 v25, 0x2018, v23
	s_or_b32 s3, s3, s4
	s_wait_alu 0xfffe
	s_and_saveexec_b32 s12, s3
	s_cbranch_execz .LBB832_34
; %bb.29:
	v_cmp_lt_u32_e64 s3, v37, v35
                                        ; implicit-def: $vgpr10_vgpr11
	s_and_saveexec_b32 s4, s3
; %bb.30:
	v_lshl_add_u32 v0, v37, 3, v17
	ds_load_b64 v[10:11], v0
; %bb.31:
	s_wait_alu 0xfffe
	s_or_b32 exec_lo, exec_lo, s4
	v_cmp_ge_u32_e64 s4, v38, v36
	s_mov_b32 s6, exec_lo
                                        ; implicit-def: $vgpr12_vgpr13
	v_cmpx_lt_u32_e64 v38, v36
; %bb.32:
	v_lshl_add_u32 v0, v38, 3, v17
	ds_load_b64 v[12:13], v0
; %bb.33:
	s_wait_alu 0xfffe
	s_or_b32 exec_lo, exec_lo, s6
	s_wait_dscnt 0x0
	v_and_b32_e32 v1, v13, v52
	v_and_b32_e32 v0, v12, v51
	;; [unrolled: 1-line block ×4, first 2 shown]
	s_delay_alu instid0(VALU_DEP_1)
	v_cmp_le_u64_e64 s5, v[4:5], v[0:1]
	s_and_b32 s3, s3, s5
	s_wait_alu 0xfffe
	s_or_b32 s3, s4, s3
	s_wait_alu 0xfffe
	v_cndmask_b32_e64 v8, v38, v37, s3
	v_cndmask_b32_e64 v0, v36, v35, s3
	s_delay_alu instid0(VALU_DEP_2) | instskip(NEXT) | instid1(VALU_DEP_2)
	v_add_nc_u32_e32 v9, 1, v8
	v_add_nc_u32_e32 v0, -1, v0
	s_delay_alu instid0(VALU_DEP_2) | instskip(NEXT) | instid1(VALU_DEP_2)
	v_cndmask_b32_e64 v14, v37, v9, s3
	v_min_u32_e32 v0, v9, v0
	v_cndmask_b32_e64 v9, v9, v38, s3
	s_delay_alu instid0(VALU_DEP_3) | instskip(NEXT) | instid1(VALU_DEP_3)
	v_cmp_lt_u32_e64 s5, v14, v35
	v_lshl_add_u32 v0, v0, 3, v17
	s_delay_alu instid0(VALU_DEP_3)
	v_cmp_ge_u32_e64 s6, v9, v36
	ds_load_b64 v[0:1], v0
	s_wait_dscnt 0x0
	v_cndmask_b32_e64 v15, v1, v13, s3
	v_cndmask_b32_e64 v19, v0, v12, s3
	;; [unrolled: 1-line block ×4, first 2 shown]
	s_delay_alu instid0(VALU_DEP_4) | instskip(NEXT) | instid1(VALU_DEP_4)
	v_and_b32_e32 v1, v15, v52
	v_and_b32_e32 v0, v19, v51
	s_delay_alu instid0(VALU_DEP_4) | instskip(NEXT) | instid1(VALU_DEP_4)
	v_and_b32_e32 v5, v16, v52
	v_and_b32_e32 v4, v20, v51
	s_delay_alu instid0(VALU_DEP_1)
	v_cmp_le_u64_e64 s4, v[4:5], v[0:1]
	s_and_b32 s4, s5, s4
	s_wait_alu 0xfffe
	s_or_b32 s4, s6, s4
	s_wait_alu 0xfffe
	v_cndmask_b32_e64 v21, v9, v14, s4
	v_cndmask_b32_e64 v0, v36, v35, s4
	s_delay_alu instid0(VALU_DEP_2) | instskip(NEXT) | instid1(VALU_DEP_2)
	v_add_nc_u32_e32 v22, 1, v21
	v_add_nc_u32_e32 v0, -1, v0
	s_delay_alu instid0(VALU_DEP_2) | instskip(NEXT) | instid1(VALU_DEP_2)
	v_cndmask_b32_e64 v14, v14, v22, s4
	v_min_u32_e32 v0, v22, v0
	v_cndmask_b32_e64 v9, v22, v9, s4
	s_delay_alu instid0(VALU_DEP_3) | instskip(NEXT) | instid1(VALU_DEP_3)
	v_cmp_lt_u32_e64 s6, v14, v35
	v_lshl_add_u32 v0, v0, 3, v17
	s_delay_alu instid0(VALU_DEP_3)
	v_cmp_ge_u32_e64 s7, v9, v36
	ds_load_b64 v[0:1], v0
	s_wait_dscnt 0x0
	v_cndmask_b32_e64 v37, v1, v15, s4
	v_cndmask_b32_e64 v38, v0, v19, s4
	;; [unrolled: 1-line block ×5, first 2 shown]
	v_and_b32_e32 v1, v37, v52
	v_and_b32_e32 v0, v38, v51
	;; [unrolled: 1-line block ×4, first 2 shown]
	v_cndmask_b32_e64 v15, v19, v20, s4
	s_delay_alu instid0(VALU_DEP_2)
	v_cmp_le_u64_e64 s5, v[4:5], v[0:1]
	s_and_b32 s5, s6, s5
	s_wait_alu 0xfffe
	s_or_b32 s5, s7, s5
	s_wait_alu 0xfffe
	v_cndmask_b32_e64 v22, v9, v14, s5
	v_cndmask_b32_e64 v0, v36, v35, s5
	s_delay_alu instid0(VALU_DEP_2) | instskip(NEXT) | instid1(VALU_DEP_2)
	v_add_nc_u32_e32 v27, 1, v22
	v_add_nc_u32_e32 v0, -1, v0
	s_delay_alu instid0(VALU_DEP_2) | instskip(NEXT) | instid1(VALU_DEP_2)
	v_cndmask_b32_e64 v14, v14, v27, s5
	v_min_u32_e32 v0, v27, v0
	v_cndmask_b32_e64 v9, v27, v9, s5
	s_delay_alu instid0(VALU_DEP_3) | instskip(NEXT) | instid1(VALU_DEP_3)
	v_cmp_lt_u32_e64 s7, v14, v35
	v_lshl_add_u32 v0, v0, 3, v17
	s_delay_alu instid0(VALU_DEP_3)
	v_cmp_ge_u32_e64 s10, v9, v36
	ds_load_b64 v[0:1], v0
	s_wait_dscnt 0x0
	v_cndmask_b32_e64 v54, v1, v37, s5
	v_cndmask_b32_e64 v55, v0, v38, s5
	;; [unrolled: 1-line block ×4, first 2 shown]
	s_delay_alu instid0(VALU_DEP_4) | instskip(NEXT) | instid1(VALU_DEP_4)
	v_and_b32_e32 v1, v54, v52
	v_and_b32_e32 v0, v55, v51
	s_delay_alu instid0(VALU_DEP_4) | instskip(NEXT) | instid1(VALU_DEP_4)
	v_and_b32_e32 v5, v64, v52
	v_and_b32_e32 v4, v65, v51
	s_delay_alu instid0(VALU_DEP_1)
	v_cmp_le_u64_e64 s6, v[4:5], v[0:1]
	v_lshl_add_u32 v1, v8, 3, v17
	v_lshl_add_u32 v4, v21, 3, v17
	;; [unrolled: 1-line block ×3, first 2 shown]
	v_cndmask_b32_e64 v22, v37, v39, s5
	v_cndmask_b32_e64 v21, v38, v53, s5
	s_and_b32 s6, s7, s6
	s_wait_alu 0xfffe
	s_or_b32 s6, s10, s6
	s_wait_alu 0xfffe
	v_cndmask_b32_e64 v0, v9, v14, s6
	v_cndmask_b32_e64 v14, v13, v11, s3
	;; [unrolled: 1-line block ×5, first 2 shown]
	v_lshl_add_u32 v9, v0, 3, v17
	ds_load_b64 v[0:1], v1 offset:8192
	ds_load_b64 v[4:5], v4 offset:8192
	;; [unrolled: 1-line block ×4, first 2 shown]
.LBB832_34:
	s_wait_alu 0xfffe
	s_or_b32 exec_lo, exec_lo, s12
	v_and_b32_e32 v10, 0x70, v50
	v_and_b32_e32 v12, 12, v50
	s_mov_b32 s4, exec_lo
	; wave barrier
	s_delay_alu instid0(VALU_DEP_2)
	v_or_b32_e32 v11, 8, v10
	ds_store_b64 v23, v[13:14]
	s_wait_dscnt 0x4
	ds_store_b64 v34, v[0:1]
	ds_store_b64 v26, v[15:16]
	s_wait_dscnt 0x5
	ds_store_b64 v31, v[4:5]
	;; [unrolled: 3-line block ×4, first 2 shown]
	; wave barrier
	v_min_u32_e32 v35, v18, v11
	s_delay_alu instid0(VALU_DEP_1) | instskip(SKIP_1) | instid1(VALU_DEP_2)
	v_add_nc_u32_e32 v11, 8, v35
	v_sub_nc_u32_e32 v37, v35, v10
	v_min_u32_e32 v36, v18, v11
	v_min_u32_e32 v11, v18, v12
	s_delay_alu instid0(VALU_DEP_2) | instskip(NEXT) | instid1(VALU_DEP_2)
	v_sub_nc_u32_e32 v12, v36, v35
	v_min_u32_e32 v37, v11, v37
	s_delay_alu instid0(VALU_DEP_2) | instskip(NEXT) | instid1(VALU_DEP_1)
	v_sub_nc_u32_e64 v12, v11, v12 clamp
	v_cmpx_lt_u32_e64 v12, v37
	s_cbranch_execz .LBB832_38
; %bb.35:
	v_lshlrev_b32_e32 v38, 3, v10
	v_lshlrev_b32_e32 v39, 3, v35
	s_mov_b32 s5, 0
	s_delay_alu instid0(VALU_DEP_2) | instskip(NEXT) | instid1(VALU_DEP_2)
	v_add_co_u32 v38, null, v17, v38
	v_add_co_u32 v39, null, v17, v39
.LBB832_36:                             ; =>This Inner Loop Header: Depth=1
	v_add_nc_u32_e32 v53, v37, v12
	s_delay_alu instid0(VALU_DEP_1) | instskip(NEXT) | instid1(VALU_DEP_1)
	v_lshrrev_b32_e32 v55, 1, v53
	v_xad_u32 v53, v55, -1, v11
	v_lshl_add_u32 v54, v55, 3, v38
	s_delay_alu instid0(VALU_DEP_2)
	v_lshl_add_u32 v64, v53, 3, v39
	ds_load_b64 v[53:54], v54
	ds_load_b64 v[64:65], v64
	s_wait_dscnt 0x1
	v_and_b32_e32 v54, v54, v52
	v_and_b32_e32 v53, v53, v51
	s_wait_dscnt 0x0
	v_and_b32_e32 v65, v65, v52
	v_and_b32_e32 v64, v64, v51
	s_delay_alu instid0(VALU_DEP_1) | instskip(SKIP_2) | instid1(VALU_DEP_2)
	v_cmp_gt_u64_e64 s3, v[53:54], v[64:65]
	v_add_nc_u32_e32 v53, 1, v55
	s_wait_alu 0xf1ff
	v_cndmask_b32_e64 v37, v37, v55, s3
	s_delay_alu instid0(VALU_DEP_2) | instskip(NEXT) | instid1(VALU_DEP_1)
	v_cndmask_b32_e64 v12, v53, v12, s3
	v_cmp_ge_u32_e64 s3, v12, v37
	s_wait_alu 0xfffe
	s_or_b32 s5, s3, s5
	s_wait_alu 0xfffe
	s_and_not1_b32 exec_lo, exec_lo, s5
	s_cbranch_execnz .LBB832_36
; %bb.37:
	s_or_b32 exec_lo, exec_lo, s5
.LBB832_38:
	s_wait_alu 0xfffe
	s_or_b32 exec_lo, exec_lo, s4
	v_add_nc_u32_e32 v11, v35, v11
	v_add_nc_u32_e32 v37, v12, v10
	s_delay_alu instid0(VALU_DEP_2) | instskip(NEXT) | instid1(VALU_DEP_2)
	v_sub_nc_u32_e32 v38, v11, v12
	v_cmp_le_u32_e64 s3, v37, v35
	s_delay_alu instid0(VALU_DEP_2)
	v_cmp_le_u32_e64 s4, v38, v36
	s_or_b32 s3, s3, s4
	s_wait_alu 0xfffe
	s_and_saveexec_b32 s12, s3
	s_cbranch_execz .LBB832_44
; %bb.39:
	v_cmp_lt_u32_e64 s3, v37, v35
                                        ; implicit-def: $vgpr10_vgpr11
	s_and_saveexec_b32 s4, s3
; %bb.40:
	v_lshl_add_u32 v0, v37, 3, v17
	ds_load_b64 v[10:11], v0
; %bb.41:
	s_wait_alu 0xfffe
	s_or_b32 exec_lo, exec_lo, s4
	v_cmp_ge_u32_e64 s4, v38, v36
	s_mov_b32 s6, exec_lo
                                        ; implicit-def: $vgpr12_vgpr13
	v_cmpx_lt_u32_e64 v38, v36
; %bb.42:
	v_lshl_add_u32 v0, v38, 3, v17
	ds_load_b64 v[12:13], v0
; %bb.43:
	s_wait_alu 0xfffe
	s_or_b32 exec_lo, exec_lo, s6
	s_wait_dscnt 0x0
	v_and_b32_e32 v1, v13, v52
	v_and_b32_e32 v0, v12, v51
	;; [unrolled: 1-line block ×4, first 2 shown]
	s_delay_alu instid0(VALU_DEP_1)
	v_cmp_le_u64_e64 s5, v[4:5], v[0:1]
	s_and_b32 s3, s3, s5
	s_wait_alu 0xfffe
	s_or_b32 s3, s4, s3
	s_wait_alu 0xfffe
	v_cndmask_b32_e64 v8, v38, v37, s3
	v_cndmask_b32_e64 v0, v36, v35, s3
	s_delay_alu instid0(VALU_DEP_2) | instskip(NEXT) | instid1(VALU_DEP_2)
	v_add_nc_u32_e32 v9, 1, v8
	v_add_nc_u32_e32 v0, -1, v0
	s_delay_alu instid0(VALU_DEP_2) | instskip(NEXT) | instid1(VALU_DEP_2)
	v_cndmask_b32_e64 v14, v37, v9, s3
	v_min_u32_e32 v0, v9, v0
	v_cndmask_b32_e64 v9, v9, v38, s3
	s_delay_alu instid0(VALU_DEP_3) | instskip(NEXT) | instid1(VALU_DEP_3)
	v_cmp_lt_u32_e64 s5, v14, v35
	v_lshl_add_u32 v0, v0, 3, v17
	s_delay_alu instid0(VALU_DEP_3)
	v_cmp_ge_u32_e64 s6, v9, v36
	ds_load_b64 v[0:1], v0
	s_wait_dscnt 0x0
	v_cndmask_b32_e64 v15, v1, v13, s3
	v_cndmask_b32_e64 v19, v0, v12, s3
	;; [unrolled: 1-line block ×4, first 2 shown]
	s_delay_alu instid0(VALU_DEP_4) | instskip(NEXT) | instid1(VALU_DEP_4)
	v_and_b32_e32 v1, v15, v52
	v_and_b32_e32 v0, v19, v51
	s_delay_alu instid0(VALU_DEP_4) | instskip(NEXT) | instid1(VALU_DEP_4)
	v_and_b32_e32 v5, v16, v52
	v_and_b32_e32 v4, v20, v51
	s_delay_alu instid0(VALU_DEP_1)
	v_cmp_le_u64_e64 s4, v[4:5], v[0:1]
	s_and_b32 s4, s5, s4
	s_wait_alu 0xfffe
	s_or_b32 s4, s6, s4
	s_wait_alu 0xfffe
	v_cndmask_b32_e64 v21, v9, v14, s4
	v_cndmask_b32_e64 v0, v36, v35, s4
	s_delay_alu instid0(VALU_DEP_2) | instskip(NEXT) | instid1(VALU_DEP_2)
	v_add_nc_u32_e32 v22, 1, v21
	v_add_nc_u32_e32 v0, -1, v0
	s_delay_alu instid0(VALU_DEP_2) | instskip(NEXT) | instid1(VALU_DEP_2)
	v_cndmask_b32_e64 v14, v14, v22, s4
	v_min_u32_e32 v0, v22, v0
	v_cndmask_b32_e64 v9, v22, v9, s4
	s_delay_alu instid0(VALU_DEP_3) | instskip(NEXT) | instid1(VALU_DEP_3)
	v_cmp_lt_u32_e64 s6, v14, v35
	v_lshl_add_u32 v0, v0, 3, v17
	s_delay_alu instid0(VALU_DEP_3)
	v_cmp_ge_u32_e64 s7, v9, v36
	ds_load_b64 v[0:1], v0
	s_wait_dscnt 0x0
	v_cndmask_b32_e64 v37, v1, v15, s4
	v_cndmask_b32_e64 v38, v0, v19, s4
	;; [unrolled: 1-line block ×5, first 2 shown]
	v_and_b32_e32 v1, v37, v52
	v_and_b32_e32 v0, v38, v51
	;; [unrolled: 1-line block ×4, first 2 shown]
	v_cndmask_b32_e64 v15, v19, v20, s4
	s_delay_alu instid0(VALU_DEP_2)
	v_cmp_le_u64_e64 s5, v[4:5], v[0:1]
	s_and_b32 s5, s6, s5
	s_wait_alu 0xfffe
	s_or_b32 s5, s7, s5
	s_wait_alu 0xfffe
	v_cndmask_b32_e64 v22, v9, v14, s5
	v_cndmask_b32_e64 v0, v36, v35, s5
	s_delay_alu instid0(VALU_DEP_2) | instskip(NEXT) | instid1(VALU_DEP_2)
	v_add_nc_u32_e32 v27, 1, v22
	v_add_nc_u32_e32 v0, -1, v0
	s_delay_alu instid0(VALU_DEP_2) | instskip(NEXT) | instid1(VALU_DEP_2)
	v_cndmask_b32_e64 v14, v14, v27, s5
	v_min_u32_e32 v0, v27, v0
	v_cndmask_b32_e64 v9, v27, v9, s5
	s_delay_alu instid0(VALU_DEP_3) | instskip(NEXT) | instid1(VALU_DEP_3)
	v_cmp_lt_u32_e64 s7, v14, v35
	v_lshl_add_u32 v0, v0, 3, v17
	s_delay_alu instid0(VALU_DEP_3)
	v_cmp_ge_u32_e64 s10, v9, v36
	ds_load_b64 v[0:1], v0
	s_wait_dscnt 0x0
	v_cndmask_b32_e64 v54, v1, v37, s5
	v_cndmask_b32_e64 v55, v0, v38, s5
	;; [unrolled: 1-line block ×4, first 2 shown]
	s_delay_alu instid0(VALU_DEP_4) | instskip(NEXT) | instid1(VALU_DEP_4)
	v_and_b32_e32 v1, v54, v52
	v_and_b32_e32 v0, v55, v51
	s_delay_alu instid0(VALU_DEP_4) | instskip(NEXT) | instid1(VALU_DEP_4)
	v_and_b32_e32 v5, v64, v52
	v_and_b32_e32 v4, v65, v51
	s_delay_alu instid0(VALU_DEP_1)
	v_cmp_le_u64_e64 s6, v[4:5], v[0:1]
	v_lshl_add_u32 v1, v8, 3, v17
	v_lshl_add_u32 v4, v21, 3, v17
	;; [unrolled: 1-line block ×3, first 2 shown]
	v_cndmask_b32_e64 v22, v37, v39, s5
	v_cndmask_b32_e64 v21, v38, v53, s5
	s_and_b32 s6, s7, s6
	s_wait_alu 0xfffe
	s_or_b32 s6, s10, s6
	s_wait_alu 0xfffe
	v_cndmask_b32_e64 v0, v9, v14, s6
	v_cndmask_b32_e64 v14, v13, v11, s3
	v_cndmask_b32_e64 v13, v12, v10, s3
	v_cndmask_b32_e64 v20, v54, v64, s6
	v_cndmask_b32_e64 v19, v55, v65, s6
	v_lshl_add_u32 v9, v0, 3, v17
	ds_load_b64 v[0:1], v1 offset:8192
	ds_load_b64 v[4:5], v4 offset:8192
	;; [unrolled: 1-line block ×4, first 2 shown]
.LBB832_44:
	s_wait_alu 0xfffe
	s_or_b32 exec_lo, exec_lo, s12
	v_and_b32_e32 v10, 0x60, v50
	s_mov_b32 s4, exec_lo
	; wave barrier
	ds_store_b64 v23, v[13:14]
	s_wait_dscnt 0x4
	ds_store_b64 v34, v[0:1]
	v_or_b32_e32 v11, 16, v10
	ds_store_b64 v26, v[15:16]
	s_wait_dscnt 0x5
	ds_store_b64 v31, v[4:5]
	ds_store_b64 v32, v[21:22]
	s_wait_dscnt 0x6
	ds_store_b64 v33, v[27:28]
	;; [unrolled: 3-line block ×3, first 2 shown]
	; wave barrier
	v_min_u32_e32 v35, v18, v11
	s_delay_alu instid0(VALU_DEP_1) | instskip(NEXT) | instid1(VALU_DEP_1)
	v_add_nc_u32_e32 v11, 16, v35
	v_min_u32_e32 v36, v18, v11
	v_min_u32_e32 v11, v18, v49
	v_sub_nc_u32_e32 v18, v35, v10
	s_delay_alu instid0(VALU_DEP_3) | instskip(NEXT) | instid1(VALU_DEP_2)
	v_sub_nc_u32_e32 v12, v36, v35
	v_min_u32_e32 v18, v11, v18
	s_delay_alu instid0(VALU_DEP_2) | instskip(NEXT) | instid1(VALU_DEP_1)
	v_sub_nc_u32_e64 v12, v11, v12 clamp
	v_cmpx_lt_u32_e64 v12, v18
	s_cbranch_execz .LBB832_48
; %bb.45:
	v_lshlrev_b32_e32 v23, 3, v10
	v_lshlrev_b32_e32 v24, 3, v35
	s_mov_b32 s5, 0
	s_delay_alu instid0(VALU_DEP_2) | instskip(NEXT) | instid1(VALU_DEP_2)
	v_add_co_u32 v23, null, v17, v23
	v_add_co_u32 v24, null, v17, v24
.LBB832_46:                             ; =>This Inner Loop Header: Depth=1
	v_add_nc_u32_e32 v25, v18, v12
	s_delay_alu instid0(VALU_DEP_1) | instskip(NEXT) | instid1(VALU_DEP_1)
	v_lshrrev_b32_e32 v33, 1, v25
	v_xad_u32 v25, v33, -1, v11
	v_lshl_add_u32 v26, v33, 3, v23
	s_delay_alu instid0(VALU_DEP_2)
	v_lshl_add_u32 v31, v25, 3, v24
	ds_load_b64 v[25:26], v26
	ds_load_b64 v[31:32], v31
	s_wait_dscnt 0x1
	v_and_b32_e32 v26, v26, v52
	v_and_b32_e32 v25, v25, v51
	s_wait_dscnt 0x0
	v_and_b32_e32 v32, v32, v52
	v_and_b32_e32 v31, v31, v51
	s_delay_alu instid0(VALU_DEP_1) | instskip(SKIP_2) | instid1(VALU_DEP_2)
	v_cmp_gt_u64_e64 s3, v[25:26], v[31:32]
	v_add_nc_u32_e32 v25, 1, v33
	s_wait_alu 0xf1ff
	v_cndmask_b32_e64 v18, v18, v33, s3
	s_delay_alu instid0(VALU_DEP_2) | instskip(NEXT) | instid1(VALU_DEP_1)
	v_cndmask_b32_e64 v12, v25, v12, s3
	v_cmp_ge_u32_e64 s3, v12, v18
	s_wait_alu 0xfffe
	s_or_b32 s5, s3, s5
	s_wait_alu 0xfffe
	s_and_not1_b32 exec_lo, exec_lo, s5
	s_cbranch_execnz .LBB832_46
; %bb.47:
	s_or_b32 exec_lo, exec_lo, s5
.LBB832_48:
	s_wait_alu 0xfffe
	s_or_b32 exec_lo, exec_lo, s4
	v_add_nc_u32_e32 v11, v35, v11
	v_add_nc_u32_e32 v18, v12, v10
	s_delay_alu instid0(VALU_DEP_2) | instskip(NEXT) | instid1(VALU_DEP_2)
	v_sub_nc_u32_e32 v23, v11, v12
	v_cmp_le_u32_e64 s3, v18, v35
	s_delay_alu instid0(VALU_DEP_2)
	v_cmp_le_u32_e64 s4, v23, v36
	s_or_b32 s3, s3, s4
	s_wait_alu 0xfffe
	s_and_saveexec_b32 s12, s3
	s_cbranch_execz .LBB832_54
; %bb.49:
	v_cmp_lt_u32_e64 s3, v18, v35
                                        ; implicit-def: $vgpr10_vgpr11
	s_and_saveexec_b32 s4, s3
; %bb.50:
	v_lshl_add_u32 v0, v18, 3, v17
	ds_load_b64 v[10:11], v0
; %bb.51:
	s_wait_alu 0xfffe
	s_or_b32 exec_lo, exec_lo, s4
	v_cmp_ge_u32_e64 s4, v23, v36
	s_mov_b32 s6, exec_lo
                                        ; implicit-def: $vgpr12_vgpr13
	v_cmpx_lt_u32_e64 v23, v36
; %bb.52:
	v_lshl_add_u32 v0, v23, 3, v17
	ds_load_b64 v[12:13], v0
; %bb.53:
	s_wait_alu 0xfffe
	s_or_b32 exec_lo, exec_lo, s6
	s_wait_dscnt 0x0
	v_and_b32_e32 v1, v13, v52
	v_and_b32_e32 v0, v12, v51
	;; [unrolled: 1-line block ×4, first 2 shown]
	s_delay_alu instid0(VALU_DEP_1)
	v_cmp_le_u64_e64 s5, v[4:5], v[0:1]
	s_and_b32 s3, s3, s5
	s_wait_alu 0xfffe
	s_or_b32 s3, s4, s3
	s_wait_alu 0xfffe
	v_cndmask_b32_e64 v8, v23, v18, s3
	v_cndmask_b32_e64 v0, v36, v35, s3
	s_delay_alu instid0(VALU_DEP_2) | instskip(NEXT) | instid1(VALU_DEP_2)
	v_add_nc_u32_e32 v9, 1, v8
	v_add_nc_u32_e32 v0, -1, v0
	s_delay_alu instid0(VALU_DEP_2) | instskip(NEXT) | instid1(VALU_DEP_2)
	v_cndmask_b32_e64 v14, v18, v9, s3
	v_min_u32_e32 v0, v9, v0
	v_cndmask_b32_e64 v9, v9, v23, s3
	s_delay_alu instid0(VALU_DEP_3) | instskip(NEXT) | instid1(VALU_DEP_3)
	v_cmp_lt_u32_e64 s5, v14, v35
	v_lshl_add_u32 v0, v0, 3, v17
	s_delay_alu instid0(VALU_DEP_3)
	v_cmp_ge_u32_e64 s6, v9, v36
	ds_load_b64 v[0:1], v0
	s_wait_dscnt 0x0
	v_cndmask_b32_e64 v15, v1, v13, s3
	v_cndmask_b32_e64 v19, v0, v12, s3
	;; [unrolled: 1-line block ×4, first 2 shown]
	s_delay_alu instid0(VALU_DEP_4) | instskip(NEXT) | instid1(VALU_DEP_4)
	v_and_b32_e32 v1, v15, v52
	v_and_b32_e32 v0, v19, v51
	s_delay_alu instid0(VALU_DEP_4) | instskip(NEXT) | instid1(VALU_DEP_4)
	v_and_b32_e32 v5, v16, v52
	v_and_b32_e32 v4, v20, v51
	s_delay_alu instid0(VALU_DEP_1)
	v_cmp_le_u64_e64 s4, v[4:5], v[0:1]
	s_and_b32 s4, s5, s4
	s_wait_alu 0xfffe
	s_or_b32 s4, s6, s4
	s_wait_alu 0xfffe
	v_cndmask_b32_e64 v18, v9, v14, s4
	v_cndmask_b32_e64 v0, v36, v35, s4
	s_delay_alu instid0(VALU_DEP_2) | instskip(NEXT) | instid1(VALU_DEP_2)
	v_add_nc_u32_e32 v21, 1, v18
	v_add_nc_u32_e32 v0, -1, v0
	s_delay_alu instid0(VALU_DEP_2) | instskip(NEXT) | instid1(VALU_DEP_2)
	v_cndmask_b32_e64 v14, v14, v21, s4
	v_min_u32_e32 v0, v21, v0
	v_cndmask_b32_e64 v9, v21, v9, s4
	s_delay_alu instid0(VALU_DEP_3) | instskip(NEXT) | instid1(VALU_DEP_3)
	v_cmp_lt_u32_e64 s6, v14, v35
	v_lshl_add_u32 v0, v0, 3, v17
	s_delay_alu instid0(VALU_DEP_3)
	v_cmp_ge_u32_e64 s7, v9, v36
	ds_load_b64 v[0:1], v0
	s_wait_dscnt 0x0
	v_cndmask_b32_e64 v22, v1, v15, s4
	v_cndmask_b32_e64 v23, v0, v19, s4
	;; [unrolled: 1-line block ×5, first 2 shown]
	v_and_b32_e32 v1, v22, v52
	v_and_b32_e32 v0, v23, v51
	v_and_b32_e32 v5, v24, v52
	v_and_b32_e32 v4, v25, v51
	v_cndmask_b32_e64 v15, v19, v20, s4
	s_delay_alu instid0(VALU_DEP_2)
	v_cmp_le_u64_e64 s5, v[4:5], v[0:1]
	s_and_b32 s5, s6, s5
	s_wait_alu 0xfffe
	s_or_b32 s5, s7, s5
	s_wait_alu 0xfffe
	v_cndmask_b32_e64 v21, v9, v14, s5
	v_cndmask_b32_e64 v0, v36, v35, s5
	s_delay_alu instid0(VALU_DEP_2) | instskip(NEXT) | instid1(VALU_DEP_2)
	v_add_nc_u32_e32 v26, 1, v21
	v_add_nc_u32_e32 v0, -1, v0
	s_delay_alu instid0(VALU_DEP_2) | instskip(NEXT) | instid1(VALU_DEP_2)
	v_cndmask_b32_e64 v14, v14, v26, s5
	v_min_u32_e32 v0, v26, v0
	v_cndmask_b32_e64 v9, v26, v9, s5
	s_delay_alu instid0(VALU_DEP_3) | instskip(NEXT) | instid1(VALU_DEP_3)
	v_cmp_lt_u32_e64 s7, v14, v35
	v_lshl_add_u32 v0, v0, 3, v17
	s_delay_alu instid0(VALU_DEP_3)
	v_cmp_ge_u32_e64 s10, v9, v36
	ds_load_b64 v[0:1], v0
	s_wait_dscnt 0x0
	v_cndmask_b32_e64 v31, v1, v22, s5
	v_cndmask_b32_e64 v32, v0, v23, s5
	;; [unrolled: 1-line block ×5, first 2 shown]
	v_and_b32_e32 v1, v31, v52
	v_and_b32_e32 v0, v32, v51
	;; [unrolled: 1-line block ×4, first 2 shown]
	s_delay_alu instid0(VALU_DEP_1)
	v_cmp_le_u64_e64 s6, v[4:5], v[0:1]
	v_lshl_add_u32 v1, v8, 3, v17
	v_lshl_add_u32 v4, v18, 3, v17
	v_lshl_add_u32 v8, v21, 3, v17
	v_cndmask_b32_e64 v21, v23, v25, s5
	s_and_b32 s6, s7, s6
	s_wait_alu 0xfffe
	s_or_b32 s6, s10, s6
	s_wait_alu 0xfffe
	v_cndmask_b32_e64 v0, v9, v14, s6
	v_cndmask_b32_e64 v14, v13, v11, s3
	;; [unrolled: 1-line block ×5, first 2 shown]
	v_lshl_add_u32 v9, v0, 3, v17
	ds_load_b64 v[0:1], v1 offset:8192
	ds_load_b64 v[4:5], v4 offset:8192
	ds_load_b64 v[27:28], v8 offset:8192
	ds_load_b64 v[8:9], v9 offset:8192
.LBB832_54:
	s_wait_alu 0xfffe
	s_or_b32 exec_lo, exec_lo, s12
	; wave barrier
	s_wait_storecnt_dscnt 0x0
	s_barrier_signal -1
	s_barrier_wait -1
                                        ; implicit-def: $vgpr50
                                        ; implicit-def: $vgpr12
                                        ; implicit-def: $vgpr49
                                        ; implicit-def: $vgpr24
                                        ; implicit-def: $vgpr25
                                        ; implicit-def: $vgpr23
                                        ; implicit-def: $vgpr34_vgpr35
                                        ; implicit-def: $vgpr32_vgpr33
                                        ; implicit-def: $vgpr17_vgpr18
.LBB832_55:
	s_wait_alu 0xfffe
	s_and_not1_saveexec_b32 s10, s11
	s_cbranch_execz .LBB832_97
; %bb.56:
	s_load_b64 s[4:5], s[8:9], 0x0
	s_and_b32 s3, ttmp7, 0xffff
	s_mov_b32 s7, 0
	s_wait_kmcnt 0x0
	s_wait_alu 0xfffe
	s_cmp_lt_u32 s3, s5
	s_cselect_b32 s6, 14, 20
	s_cmp_lt_u32 ttmp9, s4
	s_wait_alu 0xfffe
	s_add_nc_u64 s[12:13], s[8:9], s[6:7]
	s_cselect_b32 s6, 12, 18
	s_load_u16 s3, s[12:13], 0x0
	s_add_nc_u64 s[4:5], s[8:9], s[6:7]
	s_mov_b32 s6, exec_lo
	s_load_u16 s4, s[4:5], 0x0
	s_wait_kmcnt 0x0
	v_mad_u32_u24 v10, v25, s3, v24
	s_delay_alu instid0(VALU_DEP_1) | instskip(NEXT) | instid1(VALU_DEP_1)
	v_mul_lo_u32 v10, v10, s4
	v_add_lshl_u32 v38, v10, v23, 2
	s_delay_alu instid0(VALU_DEP_1)
	v_cmpx_gt_u32_e32 0x400, v38
	s_cbranch_execz .LBB832_66
; %bb.57:
	s_wait_loadcnt_dscnt 0x0
	v_cmp_gt_i64_e64 s3, v[13:14], v[15:16]
	v_dual_mov_b32 v10, v27 :: v_dual_mov_b32 v11, v28
	v_dual_mov_b32 v25, v32 :: v_dual_mov_b32 v26, v33
	s_mov_b32 s5, exec_lo
	s_wait_alu 0xf1ff
	v_cndmask_b32_e64 v24, v18, v14, s3
	v_cndmask_b32_e64 v23, v17, v13, s3
	;; [unrolled: 1-line block ×4, first 2 shown]
	v_cmpx_gt_i64_e64 v[32:33], v[34:35]
; %bb.58:
	v_dual_mov_b32 v13, v32 :: v_dual_mov_b32 v14, v33
	v_dual_mov_b32 v11, v9 :: v_dual_mov_b32 v10, v8
	;; [unrolled: 1-line block ×6, first 2 shown]
; %bb.59:
	s_wait_alu 0xfffe
	s_or_b32 exec_lo, exec_lo, s5
	v_cndmask_b32_e64 v37, v5, v1, s3
	s_delay_alu instid0(VALU_DEP_2)
	v_dual_mov_b32 v27, v34 :: v_dual_mov_b32 v28, v35
	v_cndmask_b32_e64 v36, v4, v0, s3
	v_cmp_gt_i64_e64 s4, v[23:24], v[32:33]
	v_dual_mov_b32 v13, v21 :: v_dual_mov_b32 v14, v22
	v_dual_mov_b32 v15, v23 :: v_dual_mov_b32 v16, v24
	;; [unrolled: 1-line block ×5, first 2 shown]
	s_and_saveexec_b32 s5, s4
	s_wait_alu 0xfffe
	s_xor_b32 s4, exec_lo, s5
	s_cbranch_execz .LBB832_61
; %bb.60:
	v_dual_mov_b32 v13, v21 :: v_dual_mov_b32 v14, v22
	v_dual_mov_b32 v15, v23 :: v_dual_mov_b32 v16, v24
	;; [unrolled: 1-line block ×10, first 2 shown]
.LBB832_61:
	s_wait_alu 0xfffe
	s_or_b32 exec_lo, exec_lo, s4
	s_delay_alu instid0(VALU_DEP_1)
	v_cmp_gt_i64_e64 s4, v[21:22], v[23:24]
	v_dual_mov_b32 v32, v11 :: v_dual_mov_b32 v31, v10
	v_dual_mov_b32 v22, v18 :: v_dual_mov_b32 v21, v17
	s_mov_b32 s7, exec_lo
	s_wait_alu 0xf1ff
	v_cndmask_b32_e64 v16, v16, v14, s4
	v_cndmask_b32_e64 v15, v15, v13, s4
	;; [unrolled: 1-line block ×4, first 2 shown]
	v_cmpx_gt_i64_e64 v[17:18], v[19:20]
; %bb.62:
	v_dual_mov_b32 v24, v18 :: v_dual_mov_b32 v23, v17
	v_dual_mov_b32 v32, v9 :: v_dual_mov_b32 v31, v8
	;; [unrolled: 1-line block ×6, first 2 shown]
; %bb.63:
	s_wait_alu 0xfffe
	s_or_b32 exec_lo, exec_lo, s7
	v_cndmask_b32_e64 v5, v1, v5, s3
	v_cndmask_b32_e64 v4, v0, v4, s3
	v_dual_mov_b32 v27, v31 :: v_dual_mov_b32 v28, v32
	s_delay_alu instid0(VALU_DEP_3) | instskip(NEXT) | instid1(VALU_DEP_3)
	v_cndmask_b32_e64 v1, v5, v26, s4
	v_cndmask_b32_e64 v0, v4, v25, s4
	;; [unrolled: 1-line block ×4, first 2 shown]
	s_mov_b32 s4, exec_lo
	v_cmpx_gt_i64_e64 v[15:16], v[17:18]
; %bb.64:
	v_dual_mov_b32 v22, v16 :: v_dual_mov_b32 v21, v15
	v_dual_mov_b32 v15, v17 :: v_dual_mov_b32 v16, v18
	;; [unrolled: 1-line block ×4, first 2 shown]
; %bb.65:
	s_wait_alu 0xfffe
	s_or_b32 exec_lo, exec_lo, s4
.LBB832_66:
	s_delay_alu instid0(SALU_CYCLE_1) | instskip(SKIP_4) | instid1(VALU_DEP_3)
	s_or_b32 exec_lo, exec_lo, s6
	v_dual_mov_b32 v11, 0 :: v_dual_and_b32 v10, 0xffffff80, v38
	v_or_b32_e32 v17, 4, v50
	v_and_b32_e32 v23, 4, v50
	s_mov_b32 s4, exec_lo
	v_sub_nc_u32_e64 v18, 0x400, v10 clamp
	v_lshlrev_b64_e32 v[10:11], 3, v[10:11]
	s_delay_alu instid0(VALU_DEP_2) | instskip(NEXT) | instid1(VALU_DEP_2)
	v_min_u32_e32 v35, v18, v17
	v_add_co_u32 v17, null, v12, v10
	v_and_b32_e32 v10, 0x78, v50
	s_delay_alu instid0(VALU_DEP_3) | instskip(NEXT) | instid1(VALU_DEP_2)
	v_add_nc_u32_e32 v11, 4, v35
	v_sub_nc_u32_e32 v24, v35, v10
	s_delay_alu instid0(VALU_DEP_2) | instskip(SKIP_2) | instid1(VALU_DEP_3)
	v_min_u32_e32 v36, v18, v11
	v_min_u32_e32 v11, v18, v23
	v_lshl_add_u32 v23, v50, 3, v17
	v_sub_nc_u32_e32 v12, v36, v35
	s_delay_alu instid0(VALU_DEP_3) | instskip(NEXT) | instid1(VALU_DEP_3)
	v_min_u32_e32 v24, v11, v24
	v_add_nc_u32_e32 v25, 0x2000, v23
	s_wait_loadcnt_dscnt 0x0
	ds_store_b64 v23, v[0:1] offset:8192
	ds_store_2addr_b64 v23, v[13:14], v[15:16] offset1:1
	ds_store_2addr_b64 v25, v[4:5], v[27:28] offset0:1 offset1:2
	ds_store_2addr_b64 v23, v[21:22], v[19:20] offset0:2 offset1:3
	ds_store_b64 v23, v[8:9] offset:8216
	v_sub_nc_u32_e64 v12, v11, v12 clamp
	; wave barrier
	s_delay_alu instid0(VALU_DEP_1)
	v_cmpx_lt_u32_e64 v12, v24
	s_cbranch_execz .LBB832_70
; %bb.67:
	v_lshlrev_b32_e32 v25, 3, v10
	v_lshlrev_b32_e32 v26, 3, v35
	s_mov_b32 s5, 0
	s_delay_alu instid0(VALU_DEP_2) | instskip(NEXT) | instid1(VALU_DEP_2)
	v_add_co_u32 v25, null, v17, v25
	v_add_co_u32 v26, null, v17, v26
.LBB832_68:                             ; =>This Inner Loop Header: Depth=1
	v_add_nc_u32_e32 v31, v24, v12
	s_delay_alu instid0(VALU_DEP_1) | instskip(NEXT) | instid1(VALU_DEP_1)
	v_lshrrev_b32_e32 v37, 1, v31
	v_xad_u32 v31, v37, -1, v11
	v_lshl_add_u32 v32, v37, 3, v25
	s_delay_alu instid0(VALU_DEP_2)
	v_lshl_add_u32 v33, v31, 3, v26
	ds_load_b64 v[31:32], v32
	ds_load_b64 v[33:34], v33
	s_wait_dscnt 0x0
	v_cmp_gt_i64_e64 s3, v[31:32], v[33:34]
	v_add_nc_u32_e32 v31, 1, v37
	s_wait_alu 0xf1ff
	s_delay_alu instid0(VALU_DEP_2) | instskip(NEXT) | instid1(VALU_DEP_2)
	v_cndmask_b32_e64 v24, v24, v37, s3
	v_cndmask_b32_e64 v12, v31, v12, s3
	s_delay_alu instid0(VALU_DEP_1)
	v_cmp_ge_u32_e64 s3, v12, v24
	s_wait_alu 0xfffe
	s_or_b32 s5, s3, s5
	s_wait_alu 0xfffe
	s_and_not1_b32 exec_lo, exec_lo, s5
	s_cbranch_execnz .LBB832_68
; %bb.69:
	s_or_b32 exec_lo, exec_lo, s5
.LBB832_70:
	s_wait_alu 0xfffe
	s_or_b32 exec_lo, exec_lo, s4
	v_add_nc_u32_e32 v11, v35, v11
	v_add_nc_u32_e32 v37, v12, v10
	;; [unrolled: 1-line block ×5, first 2 shown]
	v_sub_nc_u32_e32 v38, v11, v12
	v_cmp_le_u32_e64 s3, v37, v35
	v_add_nc_u32_e32 v32, 16, v23
	v_add_nc_u32_e32 v33, 0x2010, v23
	;; [unrolled: 1-line block ×3, first 2 shown]
	v_cmp_le_u32_e64 s4, v38, v36
	v_add_nc_u32_e32 v25, 0x2018, v23
	s_or_b32 s3, s3, s4
	s_wait_alu 0xfffe
	s_and_saveexec_b32 s9, s3
	s_cbranch_execz .LBB832_76
; %bb.71:
	v_cmp_lt_u32_e64 s3, v37, v35
                                        ; implicit-def: $vgpr10_vgpr11
	s_and_saveexec_b32 s4, s3
; %bb.72:
	v_lshl_add_u32 v0, v37, 3, v17
	ds_load_b64 v[10:11], v0
; %bb.73:
	s_wait_alu 0xfffe
	s_or_b32 exec_lo, exec_lo, s4
	v_cmp_ge_u32_e64 s4, v38, v36
	s_mov_b32 s6, exec_lo
                                        ; implicit-def: $vgpr12_vgpr13
	v_cmpx_lt_u32_e64 v38, v36
; %bb.74:
	v_lshl_add_u32 v0, v38, 3, v17
	ds_load_b64 v[12:13], v0
; %bb.75:
	s_wait_alu 0xfffe
	s_or_b32 exec_lo, exec_lo, s6
	s_wait_dscnt 0x0
	v_cmp_le_i64_e64 s5, v[10:11], v[12:13]
	s_and_b32 s3, s3, s5
	s_wait_alu 0xfffe
	s_or_b32 s3, s4, s3
	s_wait_alu 0xfffe
	v_cndmask_b32_e64 v4, v38, v37, s3
	v_cndmask_b32_e64 v0, v36, v35, s3
	s_delay_alu instid0(VALU_DEP_2) | instskip(NEXT) | instid1(VALU_DEP_2)
	v_add_nc_u32_e32 v5, 1, v4
	v_add_nc_u32_e32 v0, -1, v0
	s_delay_alu instid0(VALU_DEP_2) | instskip(NEXT) | instid1(VALU_DEP_2)
	v_cndmask_b32_e64 v8, v37, v5, s3
	v_min_u32_e32 v0, v5, v0
	v_cndmask_b32_e64 v5, v5, v38, s3
	s_delay_alu instid0(VALU_DEP_3) | instskip(NEXT) | instid1(VALU_DEP_3)
	v_cmp_lt_u32_e64 s5, v8, v35
	v_lshl_add_u32 v0, v0, 3, v17
	s_delay_alu instid0(VALU_DEP_3)
	v_cmp_ge_u32_e64 s6, v5, v36
	ds_load_b64 v[0:1], v0
	s_wait_dscnt 0x0
	v_cndmask_b32_e64 v16, v1, v13, s3
	v_cndmask_b32_e64 v15, v0, v12, s3
	v_cndmask_b32_e64 v20, v11, v1, s3
	v_cndmask_b32_e64 v19, v10, v0, s3
	s_delay_alu instid0(VALU_DEP_1)
	v_cmp_le_i64_e64 s4, v[19:20], v[15:16]
	s_and_b32 s4, s5, s4
	s_wait_alu 0xfffe
	s_or_b32 s4, s6, s4
	s_wait_alu 0xfffe
	v_cndmask_b32_e64 v9, v5, v8, s4
	v_cndmask_b32_e64 v0, v36, v35, s4
	s_delay_alu instid0(VALU_DEP_2) | instskip(NEXT) | instid1(VALU_DEP_2)
	v_add_nc_u32_e32 v14, 1, v9
	v_add_nc_u32_e32 v0, -1, v0
	s_delay_alu instid0(VALU_DEP_2) | instskip(NEXT) | instid1(VALU_DEP_2)
	v_cndmask_b32_e64 v8, v8, v14, s4
	v_min_u32_e32 v0, v14, v0
	v_cndmask_b32_e64 v5, v14, v5, s4
	s_delay_alu instid0(VALU_DEP_3) | instskip(NEXT) | instid1(VALU_DEP_3)
	v_cmp_lt_u32_e64 s6, v8, v35
	v_lshl_add_u32 v0, v0, 3, v17
	s_delay_alu instid0(VALU_DEP_3)
	v_cmp_ge_u32_e64 s7, v5, v36
	ds_load_b64 v[0:1], v0
	s_wait_dscnt 0x0
	v_cndmask_b32_e64 v22, v1, v16, s4
	v_cndmask_b32_e64 v21, v0, v15, s4
	;; [unrolled: 1-line block ×6, first 2 shown]
	s_delay_alu instid0(VALU_DEP_3)
	v_cmp_le_i64_e64 s5, v[37:38], v[21:22]
	s_and_b32 s5, s6, s5
	s_wait_alu 0xfffe
	s_or_b32 s5, s7, s5
	s_wait_alu 0xfffe
	v_cndmask_b32_e64 v14, v5, v8, s5
	v_cndmask_b32_e64 v0, v36, v35, s5
	s_delay_alu instid0(VALU_DEP_2) | instskip(NEXT) | instid1(VALU_DEP_2)
	v_add_nc_u32_e32 v27, 1, v14
	v_add_nc_u32_e32 v0, -1, v0
	s_delay_alu instid0(VALU_DEP_1) | instskip(NEXT) | instid1(VALU_DEP_1)
	v_min_u32_e32 v0, v27, v0
	v_lshl_add_u32 v0, v0, 3, v17
	ds_load_b64 v[0:1], v0
	s_wait_dscnt 0x0
	v_cndmask_b32_e64 v52, v1, v22, s5
	v_cndmask_b32_e64 v51, v0, v21, s5
	;; [unrolled: 1-line block ×6, first 2 shown]
	v_lshl_add_u32 v8, v14, 3, v17
	v_cndmask_b32_e64 v14, v13, v11, s3
	v_cmp_le_i64_e64 s6, v[53:54], v[51:52]
	v_cmp_lt_u32_e64 s7, v0, v35
	v_cmp_ge_u32_e64 s8, v1, v36
	v_cndmask_b32_e64 v13, v12, v10, s3
	v_cndmask_b32_e64 v22, v22, v38, s5
	v_cndmask_b32_e64 v21, v21, v37, s5
	s_and_b32 s6, s7, s6
	s_wait_alu 0xfffe
	s_or_b32 s6, s8, s6
	s_wait_alu 0xfffe
	v_cndmask_b32_e64 v0, v1, v0, s6
	v_lshl_add_u32 v1, v4, 3, v17
	v_lshl_add_u32 v4, v9, 3, v17
	v_cndmask_b32_e64 v20, v52, v54, s6
	v_cndmask_b32_e64 v19, v51, v53, s6
	v_lshl_add_u32 v9, v0, 3, v17
	ds_load_b64 v[0:1], v1 offset:8192
	ds_load_b64 v[4:5], v4 offset:8192
	;; [unrolled: 1-line block ×4, first 2 shown]
.LBB832_76:
	s_wait_alu 0xfffe
	s_or_b32 exec_lo, exec_lo, s9
	v_and_b32_e32 v10, 0x70, v50
	v_and_b32_e32 v12, 12, v50
	s_mov_b32 s4, exec_lo
	; wave barrier
	s_delay_alu instid0(VALU_DEP_2)
	v_or_b32_e32 v11, 8, v10
	ds_store_b64 v23, v[13:14]
	s_wait_dscnt 0x4
	ds_store_b64 v34, v[0:1]
	ds_store_b64 v26, v[15:16]
	s_wait_dscnt 0x5
	ds_store_b64 v31, v[4:5]
	;; [unrolled: 3-line block ×4, first 2 shown]
	; wave barrier
	v_min_u32_e32 v35, v18, v11
	s_delay_alu instid0(VALU_DEP_1) | instskip(SKIP_1) | instid1(VALU_DEP_2)
	v_add_nc_u32_e32 v11, 8, v35
	v_sub_nc_u32_e32 v37, v35, v10
	v_min_u32_e32 v36, v18, v11
	v_min_u32_e32 v11, v18, v12
	s_delay_alu instid0(VALU_DEP_2) | instskip(NEXT) | instid1(VALU_DEP_2)
	v_sub_nc_u32_e32 v12, v36, v35
	v_min_u32_e32 v37, v11, v37
	s_delay_alu instid0(VALU_DEP_2) | instskip(NEXT) | instid1(VALU_DEP_1)
	v_sub_nc_u32_e64 v12, v11, v12 clamp
	v_cmpx_lt_u32_e64 v12, v37
	s_cbranch_execz .LBB832_80
; %bb.77:
	v_lshlrev_b32_e32 v38, 3, v10
	v_lshlrev_b32_e32 v39, 3, v35
	s_mov_b32 s5, 0
	s_delay_alu instid0(VALU_DEP_2) | instskip(NEXT) | instid1(VALU_DEP_2)
	v_add_co_u32 v38, null, v17, v38
	v_add_co_u32 v39, null, v17, v39
.LBB832_78:                             ; =>This Inner Loop Header: Depth=1
	v_add_nc_u32_e32 v51, v37, v12
	s_delay_alu instid0(VALU_DEP_1) | instskip(NEXT) | instid1(VALU_DEP_1)
	v_lshrrev_b32_e32 v55, 1, v51
	v_xad_u32 v51, v55, -1, v11
	v_lshl_add_u32 v52, v55, 3, v38
	s_delay_alu instid0(VALU_DEP_2)
	v_lshl_add_u32 v53, v51, 3, v39
	ds_load_b64 v[51:52], v52
	ds_load_b64 v[53:54], v53
	s_wait_dscnt 0x0
	v_cmp_gt_i64_e64 s3, v[51:52], v[53:54]
	v_add_nc_u32_e32 v51, 1, v55
	s_wait_alu 0xf1ff
	s_delay_alu instid0(VALU_DEP_2) | instskip(NEXT) | instid1(VALU_DEP_2)
	v_cndmask_b32_e64 v37, v37, v55, s3
	v_cndmask_b32_e64 v12, v51, v12, s3
	s_delay_alu instid0(VALU_DEP_1)
	v_cmp_ge_u32_e64 s3, v12, v37
	s_wait_alu 0xfffe
	s_or_b32 s5, s3, s5
	s_wait_alu 0xfffe
	s_and_not1_b32 exec_lo, exec_lo, s5
	s_cbranch_execnz .LBB832_78
; %bb.79:
	s_or_b32 exec_lo, exec_lo, s5
.LBB832_80:
	s_wait_alu 0xfffe
	s_or_b32 exec_lo, exec_lo, s4
	v_add_nc_u32_e32 v11, v35, v11
	v_add_nc_u32_e32 v37, v12, v10
	s_delay_alu instid0(VALU_DEP_2) | instskip(NEXT) | instid1(VALU_DEP_2)
	v_sub_nc_u32_e32 v38, v11, v12
	v_cmp_le_u32_e64 s3, v37, v35
	s_delay_alu instid0(VALU_DEP_2)
	v_cmp_le_u32_e64 s4, v38, v36
	s_or_b32 s3, s3, s4
	s_wait_alu 0xfffe
	s_and_saveexec_b32 s9, s3
	s_cbranch_execz .LBB832_86
; %bb.81:
	v_cmp_lt_u32_e64 s3, v37, v35
                                        ; implicit-def: $vgpr10_vgpr11
	s_and_saveexec_b32 s4, s3
; %bb.82:
	v_lshl_add_u32 v0, v37, 3, v17
	ds_load_b64 v[10:11], v0
; %bb.83:
	s_wait_alu 0xfffe
	s_or_b32 exec_lo, exec_lo, s4
	v_cmp_ge_u32_e64 s4, v38, v36
	s_mov_b32 s6, exec_lo
                                        ; implicit-def: $vgpr12_vgpr13
	v_cmpx_lt_u32_e64 v38, v36
; %bb.84:
	v_lshl_add_u32 v0, v38, 3, v17
	ds_load_b64 v[12:13], v0
; %bb.85:
	s_wait_alu 0xfffe
	s_or_b32 exec_lo, exec_lo, s6
	s_wait_dscnt 0x0
	v_cmp_le_i64_e64 s5, v[10:11], v[12:13]
	s_and_b32 s3, s3, s5
	s_wait_alu 0xfffe
	s_or_b32 s3, s4, s3
	s_wait_alu 0xfffe
	v_cndmask_b32_e64 v4, v38, v37, s3
	v_cndmask_b32_e64 v0, v36, v35, s3
	s_delay_alu instid0(VALU_DEP_2) | instskip(NEXT) | instid1(VALU_DEP_2)
	v_add_nc_u32_e32 v5, 1, v4
	v_add_nc_u32_e32 v0, -1, v0
	s_delay_alu instid0(VALU_DEP_2) | instskip(NEXT) | instid1(VALU_DEP_2)
	v_cndmask_b32_e64 v8, v37, v5, s3
	v_min_u32_e32 v0, v5, v0
	v_cndmask_b32_e64 v5, v5, v38, s3
	s_delay_alu instid0(VALU_DEP_3) | instskip(NEXT) | instid1(VALU_DEP_3)
	v_cmp_lt_u32_e64 s5, v8, v35
	v_lshl_add_u32 v0, v0, 3, v17
	s_delay_alu instid0(VALU_DEP_3)
	v_cmp_ge_u32_e64 s6, v5, v36
	ds_load_b64 v[0:1], v0
	s_wait_dscnt 0x0
	v_cndmask_b32_e64 v16, v1, v13, s3
	v_cndmask_b32_e64 v15, v0, v12, s3
	;; [unrolled: 1-line block ×4, first 2 shown]
	s_delay_alu instid0(VALU_DEP_1)
	v_cmp_le_i64_e64 s4, v[19:20], v[15:16]
	s_and_b32 s4, s5, s4
	s_wait_alu 0xfffe
	s_or_b32 s4, s6, s4
	s_wait_alu 0xfffe
	v_cndmask_b32_e64 v9, v5, v8, s4
	v_cndmask_b32_e64 v0, v36, v35, s4
	s_delay_alu instid0(VALU_DEP_2) | instskip(NEXT) | instid1(VALU_DEP_2)
	v_add_nc_u32_e32 v14, 1, v9
	v_add_nc_u32_e32 v0, -1, v0
	s_delay_alu instid0(VALU_DEP_2) | instskip(NEXT) | instid1(VALU_DEP_2)
	v_cndmask_b32_e64 v8, v8, v14, s4
	v_min_u32_e32 v0, v14, v0
	v_cndmask_b32_e64 v5, v14, v5, s4
	s_delay_alu instid0(VALU_DEP_3) | instskip(NEXT) | instid1(VALU_DEP_3)
	v_cmp_lt_u32_e64 s6, v8, v35
	v_lshl_add_u32 v0, v0, 3, v17
	s_delay_alu instid0(VALU_DEP_3)
	v_cmp_ge_u32_e64 s7, v5, v36
	ds_load_b64 v[0:1], v0
	s_wait_dscnt 0x0
	v_cndmask_b32_e64 v22, v1, v16, s4
	v_cndmask_b32_e64 v21, v0, v15, s4
	v_cndmask_b32_e64 v38, v20, v1, s4
	v_cndmask_b32_e64 v37, v19, v0, s4
	v_cndmask_b32_e64 v16, v16, v20, s4
	v_cndmask_b32_e64 v15, v15, v19, s4
	s_delay_alu instid0(VALU_DEP_3)
	v_cmp_le_i64_e64 s5, v[37:38], v[21:22]
	s_and_b32 s5, s6, s5
	s_wait_alu 0xfffe
	s_or_b32 s5, s7, s5
	s_wait_alu 0xfffe
	v_cndmask_b32_e64 v14, v5, v8, s5
	v_cndmask_b32_e64 v0, v36, v35, s5
	s_delay_alu instid0(VALU_DEP_2) | instskip(NEXT) | instid1(VALU_DEP_2)
	v_add_nc_u32_e32 v27, 1, v14
	v_add_nc_u32_e32 v0, -1, v0
	s_delay_alu instid0(VALU_DEP_1) | instskip(NEXT) | instid1(VALU_DEP_1)
	v_min_u32_e32 v0, v27, v0
	v_lshl_add_u32 v0, v0, 3, v17
	ds_load_b64 v[0:1], v0
	s_wait_dscnt 0x0
	v_cndmask_b32_e64 v52, v1, v22, s5
	v_cndmask_b32_e64 v51, v0, v21, s5
	;; [unrolled: 1-line block ×6, first 2 shown]
	v_lshl_add_u32 v8, v14, 3, v17
	v_cndmask_b32_e64 v14, v13, v11, s3
	v_cmp_le_i64_e64 s6, v[53:54], v[51:52]
	v_cmp_lt_u32_e64 s7, v0, v35
	v_cmp_ge_u32_e64 s8, v1, v36
	v_cndmask_b32_e64 v13, v12, v10, s3
	v_cndmask_b32_e64 v22, v22, v38, s5
	;; [unrolled: 1-line block ×3, first 2 shown]
	s_and_b32 s6, s7, s6
	s_wait_alu 0xfffe
	s_or_b32 s6, s8, s6
	s_wait_alu 0xfffe
	v_cndmask_b32_e64 v0, v1, v0, s6
	v_lshl_add_u32 v1, v4, 3, v17
	v_lshl_add_u32 v4, v9, 3, v17
	v_cndmask_b32_e64 v20, v52, v54, s6
	v_cndmask_b32_e64 v19, v51, v53, s6
	v_lshl_add_u32 v9, v0, 3, v17
	ds_load_b64 v[0:1], v1 offset:8192
	ds_load_b64 v[4:5], v4 offset:8192
	;; [unrolled: 1-line block ×4, first 2 shown]
.LBB832_86:
	s_wait_alu 0xfffe
	s_or_b32 exec_lo, exec_lo, s9
	v_and_b32_e32 v10, 0x60, v50
	s_mov_b32 s4, exec_lo
	; wave barrier
	ds_store_b64 v23, v[13:14]
	s_wait_dscnt 0x4
	ds_store_b64 v34, v[0:1]
	v_or_b32_e32 v11, 16, v10
	ds_store_b64 v26, v[15:16]
	s_wait_dscnt 0x5
	ds_store_b64 v31, v[4:5]
	ds_store_b64 v32, v[21:22]
	s_wait_dscnt 0x6
	ds_store_b64 v33, v[27:28]
	;; [unrolled: 3-line block ×3, first 2 shown]
	; wave barrier
	v_min_u32_e32 v35, v18, v11
	s_delay_alu instid0(VALU_DEP_1) | instskip(NEXT) | instid1(VALU_DEP_1)
	v_add_nc_u32_e32 v11, 16, v35
	v_min_u32_e32 v36, v18, v11
	v_min_u32_e32 v11, v18, v49
	v_sub_nc_u32_e32 v18, v35, v10
	s_delay_alu instid0(VALU_DEP_3) | instskip(NEXT) | instid1(VALU_DEP_2)
	v_sub_nc_u32_e32 v12, v36, v35
	v_min_u32_e32 v18, v11, v18
	s_delay_alu instid0(VALU_DEP_2) | instskip(NEXT) | instid1(VALU_DEP_1)
	v_sub_nc_u32_e64 v12, v11, v12 clamp
	v_cmpx_lt_u32_e64 v12, v18
	s_cbranch_execz .LBB832_90
; %bb.87:
	v_lshlrev_b32_e32 v23, 3, v10
	v_lshlrev_b32_e32 v24, 3, v35
	s_mov_b32 s5, 0
	s_delay_alu instid0(VALU_DEP_2) | instskip(NEXT) | instid1(VALU_DEP_2)
	v_add_co_u32 v23, null, v17, v23
	v_add_co_u32 v24, null, v17, v24
.LBB832_88:                             ; =>This Inner Loop Header: Depth=1
	v_add_nc_u32_e32 v25, v18, v12
	s_delay_alu instid0(VALU_DEP_1) | instskip(NEXT) | instid1(VALU_DEP_1)
	v_lshrrev_b32_e32 v33, 1, v25
	v_xad_u32 v25, v33, -1, v11
	v_lshl_add_u32 v26, v33, 3, v23
	s_delay_alu instid0(VALU_DEP_2)
	v_lshl_add_u32 v31, v25, 3, v24
	ds_load_b64 v[25:26], v26
	ds_load_b64 v[31:32], v31
	s_wait_dscnt 0x0
	v_cmp_gt_i64_e64 s3, v[25:26], v[31:32]
	v_add_nc_u32_e32 v25, 1, v33
	s_wait_alu 0xf1ff
	s_delay_alu instid0(VALU_DEP_2) | instskip(NEXT) | instid1(VALU_DEP_2)
	v_cndmask_b32_e64 v18, v18, v33, s3
	v_cndmask_b32_e64 v12, v25, v12, s3
	s_delay_alu instid0(VALU_DEP_1)
	v_cmp_ge_u32_e64 s3, v12, v18
	s_wait_alu 0xfffe
	s_or_b32 s5, s3, s5
	s_wait_alu 0xfffe
	s_and_not1_b32 exec_lo, exec_lo, s5
	s_cbranch_execnz .LBB832_88
; %bb.89:
	s_or_b32 exec_lo, exec_lo, s5
.LBB832_90:
	s_wait_alu 0xfffe
	s_or_b32 exec_lo, exec_lo, s4
	v_add_nc_u32_e32 v11, v35, v11
	v_add_nc_u32_e32 v18, v12, v10
	s_delay_alu instid0(VALU_DEP_2) | instskip(NEXT) | instid1(VALU_DEP_2)
	v_sub_nc_u32_e32 v23, v11, v12
	v_cmp_le_u32_e64 s3, v18, v35
	s_delay_alu instid0(VALU_DEP_2)
	v_cmp_le_u32_e64 s4, v23, v36
	s_or_b32 s3, s3, s4
	s_wait_alu 0xfffe
	s_and_saveexec_b32 s9, s3
	s_cbranch_execz .LBB832_96
; %bb.91:
	v_cmp_lt_u32_e64 s3, v18, v35
                                        ; implicit-def: $vgpr10_vgpr11
	s_and_saveexec_b32 s4, s3
; %bb.92:
	v_lshl_add_u32 v0, v18, 3, v17
	ds_load_b64 v[10:11], v0
; %bb.93:
	s_wait_alu 0xfffe
	s_or_b32 exec_lo, exec_lo, s4
	v_cmp_ge_u32_e64 s4, v23, v36
	s_mov_b32 s6, exec_lo
                                        ; implicit-def: $vgpr12_vgpr13
	v_cmpx_lt_u32_e64 v23, v36
; %bb.94:
	v_lshl_add_u32 v0, v23, 3, v17
	ds_load_b64 v[12:13], v0
; %bb.95:
	s_wait_alu 0xfffe
	s_or_b32 exec_lo, exec_lo, s6
	s_wait_dscnt 0x0
	v_cmp_le_i64_e64 s5, v[10:11], v[12:13]
	s_and_b32 s3, s3, s5
	s_wait_alu 0xfffe
	s_or_b32 s3, s4, s3
	s_wait_alu 0xfffe
	v_cndmask_b32_e64 v4, v23, v18, s3
	v_cndmask_b32_e64 v0, v36, v35, s3
	s_delay_alu instid0(VALU_DEP_2) | instskip(NEXT) | instid1(VALU_DEP_2)
	v_add_nc_u32_e32 v5, 1, v4
	v_add_nc_u32_e32 v0, -1, v0
	s_delay_alu instid0(VALU_DEP_2) | instskip(NEXT) | instid1(VALU_DEP_2)
	v_cndmask_b32_e64 v8, v18, v5, s3
	v_min_u32_e32 v0, v5, v0
	v_cndmask_b32_e64 v5, v5, v23, s3
	s_delay_alu instid0(VALU_DEP_3) | instskip(NEXT) | instid1(VALU_DEP_3)
	v_cmp_lt_u32_e64 s5, v8, v35
	v_lshl_add_u32 v0, v0, 3, v17
	s_delay_alu instid0(VALU_DEP_3)
	v_cmp_ge_u32_e64 s6, v5, v36
	ds_load_b64 v[0:1], v0
	s_wait_dscnt 0x0
	v_cndmask_b32_e64 v16, v1, v13, s3
	v_cndmask_b32_e64 v15, v0, v12, s3
	;; [unrolled: 1-line block ×4, first 2 shown]
	s_delay_alu instid0(VALU_DEP_1)
	v_cmp_le_i64_e64 s4, v[19:20], v[15:16]
	s_and_b32 s4, s5, s4
	s_wait_alu 0xfffe
	s_or_b32 s4, s6, s4
	s_wait_alu 0xfffe
	v_cndmask_b32_e64 v9, v5, v8, s4
	v_cndmask_b32_e64 v0, v36, v35, s4
	s_delay_alu instid0(VALU_DEP_2) | instskip(NEXT) | instid1(VALU_DEP_2)
	v_add_nc_u32_e32 v14, 1, v9
	v_add_nc_u32_e32 v0, -1, v0
	s_delay_alu instid0(VALU_DEP_2) | instskip(NEXT) | instid1(VALU_DEP_2)
	v_cndmask_b32_e64 v8, v8, v14, s4
	v_min_u32_e32 v0, v14, v0
	v_cndmask_b32_e64 v5, v14, v5, s4
	s_delay_alu instid0(VALU_DEP_3) | instskip(NEXT) | instid1(VALU_DEP_3)
	v_cmp_lt_u32_e64 s6, v8, v35
	v_lshl_add_u32 v0, v0, 3, v17
	s_delay_alu instid0(VALU_DEP_3)
	v_cmp_ge_u32_e64 s7, v5, v36
	ds_load_b64 v[0:1], v0
	s_wait_dscnt 0x0
	v_cndmask_b32_e64 v22, v1, v16, s4
	v_cndmask_b32_e64 v21, v0, v15, s4
	v_cndmask_b32_e64 v24, v20, v1, s4
	v_cndmask_b32_e64 v23, v19, v0, s4
	v_cndmask_b32_e64 v16, v16, v20, s4
	v_cndmask_b32_e64 v15, v15, v19, s4
	s_delay_alu instid0(VALU_DEP_3)
	v_cmp_le_i64_e64 s5, v[23:24], v[21:22]
	s_and_b32 s5, s6, s5
	s_wait_alu 0xfffe
	s_or_b32 s5, s7, s5
	s_wait_alu 0xfffe
	v_cndmask_b32_e64 v14, v5, v8, s5
	v_cndmask_b32_e64 v0, v36, v35, s5
	s_delay_alu instid0(VALU_DEP_2) | instskip(NEXT) | instid1(VALU_DEP_2)
	v_add_nc_u32_e32 v18, 1, v14
	v_add_nc_u32_e32 v0, -1, v0
	s_delay_alu instid0(VALU_DEP_1) | instskip(NEXT) | instid1(VALU_DEP_1)
	v_min_u32_e32 v0, v18, v0
	v_lshl_add_u32 v0, v0, 3, v17
	ds_load_b64 v[0:1], v0
	s_wait_dscnt 0x0
	v_cndmask_b32_e64 v26, v1, v22, s5
	v_cndmask_b32_e64 v25, v0, v21, s5
	;; [unrolled: 1-line block ×6, first 2 shown]
	v_lshl_add_u32 v8, v14, 3, v17
	v_cndmask_b32_e64 v14, v13, v11, s3
	v_cmp_le_i64_e64 s6, v[31:32], v[25:26]
	v_cmp_lt_u32_e64 s7, v0, v35
	v_cmp_ge_u32_e64 s8, v1, v36
	v_cndmask_b32_e64 v13, v12, v10, s3
	v_cndmask_b32_e64 v22, v22, v24, s5
	;; [unrolled: 1-line block ×3, first 2 shown]
	s_and_b32 s6, s7, s6
	s_wait_alu 0xfffe
	s_or_b32 s6, s8, s6
	s_wait_alu 0xfffe
	v_cndmask_b32_e64 v0, v1, v0, s6
	v_lshl_add_u32 v1, v4, 3, v17
	v_lshl_add_u32 v4, v9, 3, v17
	v_cndmask_b32_e64 v20, v26, v32, s6
	v_cndmask_b32_e64 v19, v25, v31, s6
	v_lshl_add_u32 v9, v0, 3, v17
	ds_load_b64 v[0:1], v1 offset:8192
	ds_load_b64 v[4:5], v4 offset:8192
	;; [unrolled: 1-line block ×4, first 2 shown]
.LBB832_96:
	s_wait_alu 0xfffe
	s_or_b32 exec_lo, exec_lo, s9
	; wave barrier
	s_wait_storecnt_dscnt 0x0
	s_barrier_signal -1
	s_barrier_wait -1
.LBB832_97:
	s_wait_alu 0xfffe
	s_or_b32 exec_lo, exec_lo, s10
	v_add_co_u32 v2, s3, v2, v29
	s_wait_alu 0xf1ff
	v_add_co_ci_u32_e64 v3, null, v3, v30, s3
	s_wait_storecnt 0x0
	s_wait_loadcnt_dscnt 0x0
	global_inv scope:SCOPE_SE
	v_add_co_u32 v2, s3, v2, v48
	s_wait_alu 0xf1ff
	v_add_co_ci_u32_e64 v3, null, 0, v3, s3
	; wave barrier
	s_and_saveexec_b32 s3, vcc_lo
	s_cbranch_execnz .LBB832_110
; %bb.98:
	s_wait_alu 0xfffe
	s_or_b32 exec_lo, exec_lo, s3
	s_and_saveexec_b32 s3, s0
	s_cbranch_execnz .LBB832_111
.LBB832_99:
	s_wait_alu 0xfffe
	s_or_b32 exec_lo, exec_lo, s3
	s_and_saveexec_b32 s3, s1
	s_cbranch_execnz .LBB832_112
.LBB832_100:
	s_wait_alu 0xfffe
	s_or_b32 exec_lo, exec_lo, s3
	s_and_saveexec_b32 s3, s2
	s_cbranch_execz .LBB832_102
.LBB832_101:
	flat_store_b64 v[2:3], v[19:20] offset:24
.LBB832_102:
	s_wait_alu 0xfffe
	s_or_b32 exec_lo, exec_lo, s3
	v_add_co_u32 v2, s3, v6, v29
	s_wait_alu 0xf1ff
	v_add_co_ci_u32_e64 v3, null, v7, v30, s3
	s_delay_alu instid0(VALU_DEP_2) | instskip(SKIP_1) | instid1(VALU_DEP_2)
	v_add_co_u32 v2, s3, v2, v48
	s_wait_alu 0xf1ff
	v_add_co_ci_u32_e64 v3, null, 0, v3, s3
	; wave barrier
	s_and_saveexec_b32 s3, vcc_lo
	s_cbranch_execnz .LBB832_113
; %bb.103:
	s_wait_alu 0xfffe
	s_or_b32 exec_lo, exec_lo, s3
	s_and_saveexec_b32 s3, s0
	s_cbranch_execnz .LBB832_114
.LBB832_104:
	s_wait_alu 0xfffe
	s_or_b32 exec_lo, exec_lo, s3
	s_and_saveexec_b32 s0, s1
	s_cbranch_execnz .LBB832_115
.LBB832_105:
	s_wait_alu 0xfffe
	s_or_b32 exec_lo, exec_lo, s0
	s_and_saveexec_b32 s0, s2
	s_cbranch_execnz .LBB832_116
.LBB832_106:
	s_wait_alu 0xfffe
	s_or_b32 exec_lo, exec_lo, s0
	s_wait_loadcnt_dscnt 0x0
	s_setpc_b64 s[30:31]
.LBB832_107:
	flat_load_b64 v[0:1], v[23:24]
	s_wait_alu 0xfffe
	s_or_b32 exec_lo, exec_lo, s3
                                        ; implicit-def: $vgpr4_vgpr5
	s_and_saveexec_b32 s3, s0
	s_cbranch_execz .LBB832_10
.LBB832_108:
	flat_load_b64 v[4:5], v[23:24] offset:8
	s_wait_alu 0xfffe
	s_or_b32 exec_lo, exec_lo, s3
                                        ; implicit-def: $vgpr27_vgpr28
	s_and_saveexec_b32 s3, s1
	s_cbranch_execz .LBB832_11
.LBB832_109:
	flat_load_b64 v[27:28], v[23:24] offset:16
	s_wait_alu 0xfffe
	s_or_b32 exec_lo, exec_lo, s3
                                        ; implicit-def: $vgpr8_vgpr9
	s_and_saveexec_b32 s3, s2
	s_cbranch_execnz .LBB832_12
	s_branch .LBB832_13
.LBB832_110:
	flat_store_b64 v[2:3], v[13:14]
	s_wait_alu 0xfffe
	s_or_b32 exec_lo, exec_lo, s3
	s_and_saveexec_b32 s3, s0
	s_cbranch_execz .LBB832_99
.LBB832_111:
	flat_store_b64 v[2:3], v[15:16] offset:8
	s_wait_alu 0xfffe
	s_or_b32 exec_lo, exec_lo, s3
	s_and_saveexec_b32 s3, s1
	s_cbranch_execz .LBB832_100
.LBB832_112:
	flat_store_b64 v[2:3], v[21:22] offset:16
	s_wait_alu 0xfffe
	s_or_b32 exec_lo, exec_lo, s3
	s_and_saveexec_b32 s3, s2
	s_cbranch_execnz .LBB832_101
	s_branch .LBB832_102
.LBB832_113:
	flat_store_b64 v[2:3], v[0:1]
	s_wait_alu 0xfffe
	s_or_b32 exec_lo, exec_lo, s3
	s_and_saveexec_b32 s3, s0
	s_cbranch_execz .LBB832_104
.LBB832_114:
	flat_store_b64 v[2:3], v[4:5] offset:8
	s_wait_alu 0xfffe
	s_or_b32 exec_lo, exec_lo, s3
	s_and_saveexec_b32 s0, s1
	s_cbranch_execz .LBB832_105
.LBB832_115:
	flat_store_b64 v[2:3], v[27:28] offset:16
	s_wait_alu 0xfffe
	s_or_b32 exec_lo, exec_lo, s0
	s_and_saveexec_b32 s0, s2
	s_cbranch_execz .LBB832_106
.LBB832_116:
	flat_store_b64 v[2:3], v[8:9] offset:24
	s_wait_alu 0xfffe
	s_or_b32 exec_lo, exec_lo, s0
	s_wait_loadcnt_dscnt 0x0
	s_setpc_b64 s[30:31]
.Lfunc_end832:
	.size	_ZN7rocprim17ROCPRIM_400000_NS6detail26segmented_warp_sort_helperINS1_20WarpSortHelperConfigILj8ELj4ELj256EEEllLi256ELb0EvE4sortIPKlPlS8_S9_EEvT_T0_T1_T2_jjjjRNS5_12storage_typeE, .Lfunc_end832-_ZN7rocprim17ROCPRIM_400000_NS6detail26segmented_warp_sort_helperINS1_20WarpSortHelperConfigILj8ELj4ELj256EEEllLi256ELb0EvE4sortIPKlPlS8_S9_EEvT_T0_T1_T2_jjjjRNS5_12storage_typeE
                                        ; -- End function
	.set .L_ZN7rocprim17ROCPRIM_400000_NS6detail26segmented_warp_sort_helperINS1_20WarpSortHelperConfigILj8ELj4ELj256EEEllLi256ELb0EvE4sortIPKlPlS8_S9_EEvT_T0_T1_T2_jjjjRNS5_12storage_typeE.num_vgpr, 66
	.set .L_ZN7rocprim17ROCPRIM_400000_NS6detail26segmented_warp_sort_helperINS1_20WarpSortHelperConfigILj8ELj4ELj256EEEllLi256ELb0EvE4sortIPKlPlS8_S9_EEvT_T0_T1_T2_jjjjRNS5_12storage_typeE.num_agpr, 0
	.set .L_ZN7rocprim17ROCPRIM_400000_NS6detail26segmented_warp_sort_helperINS1_20WarpSortHelperConfigILj8ELj4ELj256EEEllLi256ELb0EvE4sortIPKlPlS8_S9_EEvT_T0_T1_T2_jjjjRNS5_12storage_typeE.numbered_sgpr, 32
	.set .L_ZN7rocprim17ROCPRIM_400000_NS6detail26segmented_warp_sort_helperINS1_20WarpSortHelperConfigILj8ELj4ELj256EEEllLi256ELb0EvE4sortIPKlPlS8_S9_EEvT_T0_T1_T2_jjjjRNS5_12storage_typeE.num_named_barrier, 0
	.set .L_ZN7rocprim17ROCPRIM_400000_NS6detail26segmented_warp_sort_helperINS1_20WarpSortHelperConfigILj8ELj4ELj256EEEllLi256ELb0EvE4sortIPKlPlS8_S9_EEvT_T0_T1_T2_jjjjRNS5_12storage_typeE.private_seg_size, 0
	.set .L_ZN7rocprim17ROCPRIM_400000_NS6detail26segmented_warp_sort_helperINS1_20WarpSortHelperConfigILj8ELj4ELj256EEEllLi256ELb0EvE4sortIPKlPlS8_S9_EEvT_T0_T1_T2_jjjjRNS5_12storage_typeE.uses_vcc, 1
	.set .L_ZN7rocprim17ROCPRIM_400000_NS6detail26segmented_warp_sort_helperINS1_20WarpSortHelperConfigILj8ELj4ELj256EEEllLi256ELb0EvE4sortIPKlPlS8_S9_EEvT_T0_T1_T2_jjjjRNS5_12storage_typeE.uses_flat_scratch, 0
	.set .L_ZN7rocprim17ROCPRIM_400000_NS6detail26segmented_warp_sort_helperINS1_20WarpSortHelperConfigILj8ELj4ELj256EEEllLi256ELb0EvE4sortIPKlPlS8_S9_EEvT_T0_T1_T2_jjjjRNS5_12storage_typeE.has_dyn_sized_stack, 0
	.set .L_ZN7rocprim17ROCPRIM_400000_NS6detail26segmented_warp_sort_helperINS1_20WarpSortHelperConfigILj8ELj4ELj256EEEllLi256ELb0EvE4sortIPKlPlS8_S9_EEvT_T0_T1_T2_jjjjRNS5_12storage_typeE.has_recursion, 0
	.set .L_ZN7rocprim17ROCPRIM_400000_NS6detail26segmented_warp_sort_helperINS1_20WarpSortHelperConfigILj8ELj4ELj256EEEllLi256ELb0EvE4sortIPKlPlS8_S9_EEvT_T0_T1_T2_jjjjRNS5_12storage_typeE.has_indirect_call, 0
	.section	.AMDGPU.csdata,"",@progbits
; Function info:
; codeLenInByte = 9720
; TotalNumSgprs: 34
; NumVgprs: 66
; ScratchSize: 0
; MemoryBound: 1
	.section	.text._ZN7rocprim17ROCPRIM_400000_NS6detail17trampoline_kernelINS0_14default_configENS1_36segmented_radix_sort_config_selectorIllEEZNS1_25segmented_radix_sort_implIS3_Lb0EPKlPlS8_S9_N2at6native12_GLOBAL__N_18offset_tEEE10hipError_tPvRmT1_PNSt15iterator_traitsISH_E10value_typeET2_T3_PNSI_ISN_E10value_typeET4_jRbjT5_ST_jjP12ihipStream_tbEUlT_E1_NS1_11comp_targetILNS1_3genE10ELNS1_11target_archE1201ELNS1_3gpuE5ELNS1_3repE0EEENS1_59segmented_radix_sort_warp_sort_small_config_static_selectorELNS0_4arch9wavefront6targetE0EEEvSH_,"axG",@progbits,_ZN7rocprim17ROCPRIM_400000_NS6detail17trampoline_kernelINS0_14default_configENS1_36segmented_radix_sort_config_selectorIllEEZNS1_25segmented_radix_sort_implIS3_Lb0EPKlPlS8_S9_N2at6native12_GLOBAL__N_18offset_tEEE10hipError_tPvRmT1_PNSt15iterator_traitsISH_E10value_typeET2_T3_PNSI_ISN_E10value_typeET4_jRbjT5_ST_jjP12ihipStream_tbEUlT_E1_NS1_11comp_targetILNS1_3genE10ELNS1_11target_archE1201ELNS1_3gpuE5ELNS1_3repE0EEENS1_59segmented_radix_sort_warp_sort_small_config_static_selectorELNS0_4arch9wavefront6targetE0EEEvSH_,comdat
	.globl	_ZN7rocprim17ROCPRIM_400000_NS6detail17trampoline_kernelINS0_14default_configENS1_36segmented_radix_sort_config_selectorIllEEZNS1_25segmented_radix_sort_implIS3_Lb0EPKlPlS8_S9_N2at6native12_GLOBAL__N_18offset_tEEE10hipError_tPvRmT1_PNSt15iterator_traitsISH_E10value_typeET2_T3_PNSI_ISN_E10value_typeET4_jRbjT5_ST_jjP12ihipStream_tbEUlT_E1_NS1_11comp_targetILNS1_3genE10ELNS1_11target_archE1201ELNS1_3gpuE5ELNS1_3repE0EEENS1_59segmented_radix_sort_warp_sort_small_config_static_selectorELNS0_4arch9wavefront6targetE0EEEvSH_ ; -- Begin function _ZN7rocprim17ROCPRIM_400000_NS6detail17trampoline_kernelINS0_14default_configENS1_36segmented_radix_sort_config_selectorIllEEZNS1_25segmented_radix_sort_implIS3_Lb0EPKlPlS8_S9_N2at6native12_GLOBAL__N_18offset_tEEE10hipError_tPvRmT1_PNSt15iterator_traitsISH_E10value_typeET2_T3_PNSI_ISN_E10value_typeET4_jRbjT5_ST_jjP12ihipStream_tbEUlT_E1_NS1_11comp_targetILNS1_3genE10ELNS1_11target_archE1201ELNS1_3gpuE5ELNS1_3repE0EEENS1_59segmented_radix_sort_warp_sort_small_config_static_selectorELNS0_4arch9wavefront6targetE0EEEvSH_
	.p2align	8
	.type	_ZN7rocprim17ROCPRIM_400000_NS6detail17trampoline_kernelINS0_14default_configENS1_36segmented_radix_sort_config_selectorIllEEZNS1_25segmented_radix_sort_implIS3_Lb0EPKlPlS8_S9_N2at6native12_GLOBAL__N_18offset_tEEE10hipError_tPvRmT1_PNSt15iterator_traitsISH_E10value_typeET2_T3_PNSI_ISN_E10value_typeET4_jRbjT5_ST_jjP12ihipStream_tbEUlT_E1_NS1_11comp_targetILNS1_3genE10ELNS1_11target_archE1201ELNS1_3gpuE5ELNS1_3repE0EEENS1_59segmented_radix_sort_warp_sort_small_config_static_selectorELNS0_4arch9wavefront6targetE0EEEvSH_,@function
_ZN7rocprim17ROCPRIM_400000_NS6detail17trampoline_kernelINS0_14default_configENS1_36segmented_radix_sort_config_selectorIllEEZNS1_25segmented_radix_sort_implIS3_Lb0EPKlPlS8_S9_N2at6native12_GLOBAL__N_18offset_tEEE10hipError_tPvRmT1_PNSt15iterator_traitsISH_E10value_typeET2_T3_PNSI_ISN_E10value_typeET4_jRbjT5_ST_jjP12ihipStream_tbEUlT_E1_NS1_11comp_targetILNS1_3genE10ELNS1_11target_archE1201ELNS1_3gpuE5ELNS1_3repE0EEENS1_59segmented_radix_sort_warp_sort_small_config_static_selectorELNS0_4arch9wavefront6targetE0EEEvSH_: ; @_ZN7rocprim17ROCPRIM_400000_NS6detail17trampoline_kernelINS0_14default_configENS1_36segmented_radix_sort_config_selectorIllEEZNS1_25segmented_radix_sort_implIS3_Lb0EPKlPlS8_S9_N2at6native12_GLOBAL__N_18offset_tEEE10hipError_tPvRmT1_PNSt15iterator_traitsISH_E10value_typeET2_T3_PNSI_ISN_E10value_typeET4_jRbjT5_ST_jjP12ihipStream_tbEUlT_E1_NS1_11comp_targetILNS1_3genE10ELNS1_11target_archE1201ELNS1_3gpuE5ELNS1_3repE0EEENS1_59segmented_radix_sort_warp_sort_small_config_static_selectorELNS0_4arch9wavefront6targetE0EEEvSH_
; %bb.0:
	s_load_b32 s2, s[0:1], 0x64
	v_bfe_u32 v1, v0, 10, 10
	v_bfe_u32 v2, v0, 20, 10
	s_mov_b32 s32, 0
	s_wait_kmcnt 0x0
	s_lshr_b32 s3, s2, 16
	s_and_b32 s2, s2, 0xffff
	v_mad_u32_u24 v2, v2, s3, v1
	v_and_b32_e32 v1, 0x3ff, v0
	s_load_b32 s3, s[0:1], 0x34
	s_delay_alu instid0(VALU_DEP_1) | instskip(SKIP_2) | instid1(VALU_DEP_1)
	v_mad_co_u64_u32 v[1:2], null, v2, s2, v[1:2]
	s_mov_b32 s2, exec_lo
	v_lshrrev_b32_e32 v1, 3, v1
	v_lshl_add_u32 v1, ttmp9, 5, v1
	s_wait_kmcnt 0x0
	s_delay_alu instid0(VALU_DEP_1)
	v_cmpx_gt_u32_e64 s3, v1
	s_cbranch_execz .LBB833_6
; %bb.1:
	s_clause 0x1
	s_load_b64 s[2:3], s[0:1], 0x38
	s_load_b128 s[4:7], s[0:1], 0x40
	v_mov_b32_e32 v2, 0
	s_delay_alu instid0(VALU_DEP_1) | instskip(SKIP_1) | instid1(VALU_DEP_1)
	v_lshlrev_b64_e32 v[1:2], 2, v[1:2]
	s_wait_kmcnt 0x0
	v_sub_co_u32 v1, vcc_lo, s2, v1
	s_delay_alu instid0(VALU_DEP_1) | instskip(SKIP_4) | instid1(VALU_DEP_2)
	v_sub_co_ci_u32_e64 v2, null, s3, v2, vcc_lo
	global_load_b32 v1, v[1:2], off offset:-4
	s_wait_loadcnt 0x0
	v_add_nc_u32_e32 v2, s5, v1
	v_add_nc_u32_e32 v1, s7, v1
	v_mul_lo_u32 v40, v2, s4
	s_delay_alu instid0(VALU_DEP_2) | instskip(NEXT) | instid1(VALU_DEP_1)
	v_mul_lo_u32 v41, v1, s6
	v_cmp_gt_u32_e32 vcc_lo, v41, v40
	s_and_b32 exec_lo, exec_lo, vcc_lo
	s_cbranch_execz .LBB833_6
; %bb.2:
	s_clause 0x3
	s_load_b32 s2, s[0:1], 0x30
	s_load_b128 s[24:27], s[0:1], 0x20
	s_load_b256 s[16:23], s[0:1], 0x0
	s_load_b64 s[28:29], s[0:1], 0x50
	s_add_nc_u64 s[14:15], s[0:1], 0x58
	s_wait_kmcnt 0x0
	s_bitcmp0_b32 s2, 0
	s_mov_b32 s2, -1
	s_cbranch_scc0 .LBB833_4
; %bb.3:
	s_mov_b64 s[0:1], src_shared_base
	v_dual_mov_b32 v31, v0 :: v_dual_mov_b32 v42, v0
	v_dual_mov_b32 v0, s16 :: v_dual_mov_b32 v1, s17
	;; [unrolled: 1-line block ×7, first 2 shown]
	s_wait_alu 0xfffe
	v_dual_mov_b32 v12, 0 :: v_dual_mov_b32 v13, s1
	s_getpc_b64 s[2:3]
	s_wait_alu 0xfffe
	s_sext_i32_i16 s3, s3
	s_add_co_u32 s2, s2, _ZN7rocprim17ROCPRIM_400000_NS6detail26segmented_warp_sort_helperINS1_20WarpSortHelperConfigILj8ELj4ELj256EEEllLi256ELb0EvE4sortIPKlPlS8_S9_EEvT_T0_T1_T2_jjjjRNS5_12storage_typeE@rel32@lo+12
	s_wait_alu 0xfffe
	s_add_co_ci_u32 s3, s3, _ZN7rocprim17ROCPRIM_400000_NS6detail26segmented_warp_sort_helperINS1_20WarpSortHelperConfigILj8ELj4ELj256EEEllLi256ELb0EvE4sortIPKlPlS8_S9_EEvT_T0_T1_T2_jjjjRNS5_12storage_typeE@rel32@hi+24
	s_mov_b64 s[8:9], s[14:15]
	s_wait_alu 0xfffe
	s_swappc_b64 s[30:31], s[2:3]
	v_mov_b32_e32 v0, v42
	s_mov_b32 s2, 0
.LBB833_4:
	s_wait_alu 0xfffe
	s_and_not1_b32 vcc_lo, exec_lo, s2
	s_wait_alu 0xfffe
	s_cbranch_vccnz .LBB833_6
; %bb.5:
	s_mov_b64 s[0:1], src_shared_base
	v_dual_mov_b32 v31, v0 :: v_dual_mov_b32 v0, s16
	v_dual_mov_b32 v1, s17 :: v_dual_mov_b32 v2, s20
	v_dual_mov_b32 v3, s21 :: v_dual_mov_b32 v4, s22
	v_dual_mov_b32 v5, s23 :: v_dual_mov_b32 v6, s26
	v_dual_mov_b32 v7, s27 :: v_dual_mov_b32 v8, v40
	v_dual_mov_b32 v9, v41 :: v_dual_mov_b32 v10, s28
	v_dual_mov_b32 v11, s29 :: v_dual_mov_b32 v12, 0
	s_wait_alu 0xfffe
	v_mov_b32_e32 v13, s1
	s_getpc_b64 s[2:3]
	s_wait_alu 0xfffe
	s_sext_i32_i16 s3, s3
	s_add_co_u32 s2, s2, _ZN7rocprim17ROCPRIM_400000_NS6detail26segmented_warp_sort_helperINS1_20WarpSortHelperConfigILj8ELj4ELj256EEEllLi256ELb0EvE4sortIPKlPlS8_S9_EEvT_T0_T1_T2_jjjjRNS5_12storage_typeE@rel32@lo+12
	s_wait_alu 0xfffe
	s_add_co_ci_u32 s3, s3, _ZN7rocprim17ROCPRIM_400000_NS6detail26segmented_warp_sort_helperINS1_20WarpSortHelperConfigILj8ELj4ELj256EEEllLi256ELb0EvE4sortIPKlPlS8_S9_EEvT_T0_T1_T2_jjjjRNS5_12storage_typeE@rel32@hi+24
	s_mov_b64 s[8:9], s[14:15]
	s_wait_alu 0xfffe
	s_swappc_b64 s[30:31], s[2:3]
.LBB833_6:
	s_endpgm
	.section	.rodata,"a",@progbits
	.p2align	6, 0x0
	.amdhsa_kernel _ZN7rocprim17ROCPRIM_400000_NS6detail17trampoline_kernelINS0_14default_configENS1_36segmented_radix_sort_config_selectorIllEEZNS1_25segmented_radix_sort_implIS3_Lb0EPKlPlS8_S9_N2at6native12_GLOBAL__N_18offset_tEEE10hipError_tPvRmT1_PNSt15iterator_traitsISH_E10value_typeET2_T3_PNSI_ISN_E10value_typeET4_jRbjT5_ST_jjP12ihipStream_tbEUlT_E1_NS1_11comp_targetILNS1_3genE10ELNS1_11target_archE1201ELNS1_3gpuE5ELNS1_3repE0EEENS1_59segmented_radix_sort_warp_sort_small_config_static_selectorELNS0_4arch9wavefront6targetE0EEEvSH_
		.amdhsa_group_segment_fixed_size 16384
		.amdhsa_private_segment_fixed_size 0
		.amdhsa_kernarg_size 344
		.amdhsa_user_sgpr_count 2
		.amdhsa_user_sgpr_dispatch_ptr 0
		.amdhsa_user_sgpr_queue_ptr 0
		.amdhsa_user_sgpr_kernarg_segment_ptr 1
		.amdhsa_user_sgpr_dispatch_id 0
		.amdhsa_user_sgpr_private_segment_size 0
		.amdhsa_wavefront_size32 1
		.amdhsa_uses_dynamic_stack 0
		.amdhsa_enable_private_segment 0
		.amdhsa_system_sgpr_workgroup_id_x 1
		.amdhsa_system_sgpr_workgroup_id_y 1
		.amdhsa_system_sgpr_workgroup_id_z 0
		.amdhsa_system_sgpr_workgroup_info 0
		.amdhsa_system_vgpr_workitem_id 2
		.amdhsa_next_free_vgpr 66
		.amdhsa_next_free_sgpr 33
		.amdhsa_reserve_vcc 1
		.amdhsa_float_round_mode_32 0
		.amdhsa_float_round_mode_16_64 0
		.amdhsa_float_denorm_mode_32 3
		.amdhsa_float_denorm_mode_16_64 3
		.amdhsa_fp16_overflow 0
		.amdhsa_workgroup_processor_mode 1
		.amdhsa_memory_ordered 1
		.amdhsa_forward_progress 1
		.amdhsa_inst_pref_size 5
		.amdhsa_round_robin_scheduling 0
		.amdhsa_exception_fp_ieee_invalid_op 0
		.amdhsa_exception_fp_denorm_src 0
		.amdhsa_exception_fp_ieee_div_zero 0
		.amdhsa_exception_fp_ieee_overflow 0
		.amdhsa_exception_fp_ieee_underflow 0
		.amdhsa_exception_fp_ieee_inexact 0
		.amdhsa_exception_int_div_zero 0
	.end_amdhsa_kernel
	.section	.text._ZN7rocprim17ROCPRIM_400000_NS6detail17trampoline_kernelINS0_14default_configENS1_36segmented_radix_sort_config_selectorIllEEZNS1_25segmented_radix_sort_implIS3_Lb0EPKlPlS8_S9_N2at6native12_GLOBAL__N_18offset_tEEE10hipError_tPvRmT1_PNSt15iterator_traitsISH_E10value_typeET2_T3_PNSI_ISN_E10value_typeET4_jRbjT5_ST_jjP12ihipStream_tbEUlT_E1_NS1_11comp_targetILNS1_3genE10ELNS1_11target_archE1201ELNS1_3gpuE5ELNS1_3repE0EEENS1_59segmented_radix_sort_warp_sort_small_config_static_selectorELNS0_4arch9wavefront6targetE0EEEvSH_,"axG",@progbits,_ZN7rocprim17ROCPRIM_400000_NS6detail17trampoline_kernelINS0_14default_configENS1_36segmented_radix_sort_config_selectorIllEEZNS1_25segmented_radix_sort_implIS3_Lb0EPKlPlS8_S9_N2at6native12_GLOBAL__N_18offset_tEEE10hipError_tPvRmT1_PNSt15iterator_traitsISH_E10value_typeET2_T3_PNSI_ISN_E10value_typeET4_jRbjT5_ST_jjP12ihipStream_tbEUlT_E1_NS1_11comp_targetILNS1_3genE10ELNS1_11target_archE1201ELNS1_3gpuE5ELNS1_3repE0EEENS1_59segmented_radix_sort_warp_sort_small_config_static_selectorELNS0_4arch9wavefront6targetE0EEEvSH_,comdat
.Lfunc_end833:
	.size	_ZN7rocprim17ROCPRIM_400000_NS6detail17trampoline_kernelINS0_14default_configENS1_36segmented_radix_sort_config_selectorIllEEZNS1_25segmented_radix_sort_implIS3_Lb0EPKlPlS8_S9_N2at6native12_GLOBAL__N_18offset_tEEE10hipError_tPvRmT1_PNSt15iterator_traitsISH_E10value_typeET2_T3_PNSI_ISN_E10value_typeET4_jRbjT5_ST_jjP12ihipStream_tbEUlT_E1_NS1_11comp_targetILNS1_3genE10ELNS1_11target_archE1201ELNS1_3gpuE5ELNS1_3repE0EEENS1_59segmented_radix_sort_warp_sort_small_config_static_selectorELNS0_4arch9wavefront6targetE0EEEvSH_, .Lfunc_end833-_ZN7rocprim17ROCPRIM_400000_NS6detail17trampoline_kernelINS0_14default_configENS1_36segmented_radix_sort_config_selectorIllEEZNS1_25segmented_radix_sort_implIS3_Lb0EPKlPlS8_S9_N2at6native12_GLOBAL__N_18offset_tEEE10hipError_tPvRmT1_PNSt15iterator_traitsISH_E10value_typeET2_T3_PNSI_ISN_E10value_typeET4_jRbjT5_ST_jjP12ihipStream_tbEUlT_E1_NS1_11comp_targetILNS1_3genE10ELNS1_11target_archE1201ELNS1_3gpuE5ELNS1_3repE0EEENS1_59segmented_radix_sort_warp_sort_small_config_static_selectorELNS0_4arch9wavefront6targetE0EEEvSH_
                                        ; -- End function
	.set _ZN7rocprim17ROCPRIM_400000_NS6detail17trampoline_kernelINS0_14default_configENS1_36segmented_radix_sort_config_selectorIllEEZNS1_25segmented_radix_sort_implIS3_Lb0EPKlPlS8_S9_N2at6native12_GLOBAL__N_18offset_tEEE10hipError_tPvRmT1_PNSt15iterator_traitsISH_E10value_typeET2_T3_PNSI_ISN_E10value_typeET4_jRbjT5_ST_jjP12ihipStream_tbEUlT_E1_NS1_11comp_targetILNS1_3genE10ELNS1_11target_archE1201ELNS1_3gpuE5ELNS1_3repE0EEENS1_59segmented_radix_sort_warp_sort_small_config_static_selectorELNS0_4arch9wavefront6targetE0EEEvSH_.num_vgpr, max(43, .L_ZN7rocprim17ROCPRIM_400000_NS6detail26segmented_warp_sort_helperINS1_20WarpSortHelperConfigILj8ELj4ELj256EEEllLi256ELb0EvE4sortIPKlPlS8_S9_EEvT_T0_T1_T2_jjjjRNS5_12storage_typeE.num_vgpr)
	.set _ZN7rocprim17ROCPRIM_400000_NS6detail17trampoline_kernelINS0_14default_configENS1_36segmented_radix_sort_config_selectorIllEEZNS1_25segmented_radix_sort_implIS3_Lb0EPKlPlS8_S9_N2at6native12_GLOBAL__N_18offset_tEEE10hipError_tPvRmT1_PNSt15iterator_traitsISH_E10value_typeET2_T3_PNSI_ISN_E10value_typeET4_jRbjT5_ST_jjP12ihipStream_tbEUlT_E1_NS1_11comp_targetILNS1_3genE10ELNS1_11target_archE1201ELNS1_3gpuE5ELNS1_3repE0EEENS1_59segmented_radix_sort_warp_sort_small_config_static_selectorELNS0_4arch9wavefront6targetE0EEEvSH_.num_agpr, max(0, .L_ZN7rocprim17ROCPRIM_400000_NS6detail26segmented_warp_sort_helperINS1_20WarpSortHelperConfigILj8ELj4ELj256EEEllLi256ELb0EvE4sortIPKlPlS8_S9_EEvT_T0_T1_T2_jjjjRNS5_12storage_typeE.num_agpr)
	.set _ZN7rocprim17ROCPRIM_400000_NS6detail17trampoline_kernelINS0_14default_configENS1_36segmented_radix_sort_config_selectorIllEEZNS1_25segmented_radix_sort_implIS3_Lb0EPKlPlS8_S9_N2at6native12_GLOBAL__N_18offset_tEEE10hipError_tPvRmT1_PNSt15iterator_traitsISH_E10value_typeET2_T3_PNSI_ISN_E10value_typeET4_jRbjT5_ST_jjP12ihipStream_tbEUlT_E1_NS1_11comp_targetILNS1_3genE10ELNS1_11target_archE1201ELNS1_3gpuE5ELNS1_3repE0EEENS1_59segmented_radix_sort_warp_sort_small_config_static_selectorELNS0_4arch9wavefront6targetE0EEEvSH_.numbered_sgpr, max(33, .L_ZN7rocprim17ROCPRIM_400000_NS6detail26segmented_warp_sort_helperINS1_20WarpSortHelperConfigILj8ELj4ELj256EEEllLi256ELb0EvE4sortIPKlPlS8_S9_EEvT_T0_T1_T2_jjjjRNS5_12storage_typeE.numbered_sgpr)
	.set _ZN7rocprim17ROCPRIM_400000_NS6detail17trampoline_kernelINS0_14default_configENS1_36segmented_radix_sort_config_selectorIllEEZNS1_25segmented_radix_sort_implIS3_Lb0EPKlPlS8_S9_N2at6native12_GLOBAL__N_18offset_tEEE10hipError_tPvRmT1_PNSt15iterator_traitsISH_E10value_typeET2_T3_PNSI_ISN_E10value_typeET4_jRbjT5_ST_jjP12ihipStream_tbEUlT_E1_NS1_11comp_targetILNS1_3genE10ELNS1_11target_archE1201ELNS1_3gpuE5ELNS1_3repE0EEENS1_59segmented_radix_sort_warp_sort_small_config_static_selectorELNS0_4arch9wavefront6targetE0EEEvSH_.num_named_barrier, max(0, .L_ZN7rocprim17ROCPRIM_400000_NS6detail26segmented_warp_sort_helperINS1_20WarpSortHelperConfigILj8ELj4ELj256EEEllLi256ELb0EvE4sortIPKlPlS8_S9_EEvT_T0_T1_T2_jjjjRNS5_12storage_typeE.num_named_barrier)
	.set _ZN7rocprim17ROCPRIM_400000_NS6detail17trampoline_kernelINS0_14default_configENS1_36segmented_radix_sort_config_selectorIllEEZNS1_25segmented_radix_sort_implIS3_Lb0EPKlPlS8_S9_N2at6native12_GLOBAL__N_18offset_tEEE10hipError_tPvRmT1_PNSt15iterator_traitsISH_E10value_typeET2_T3_PNSI_ISN_E10value_typeET4_jRbjT5_ST_jjP12ihipStream_tbEUlT_E1_NS1_11comp_targetILNS1_3genE10ELNS1_11target_archE1201ELNS1_3gpuE5ELNS1_3repE0EEENS1_59segmented_radix_sort_warp_sort_small_config_static_selectorELNS0_4arch9wavefront6targetE0EEEvSH_.private_seg_size, 0+max(.L_ZN7rocprim17ROCPRIM_400000_NS6detail26segmented_warp_sort_helperINS1_20WarpSortHelperConfigILj8ELj4ELj256EEEllLi256ELb0EvE4sortIPKlPlS8_S9_EEvT_T0_T1_T2_jjjjRNS5_12storage_typeE.private_seg_size)
	.set _ZN7rocprim17ROCPRIM_400000_NS6detail17trampoline_kernelINS0_14default_configENS1_36segmented_radix_sort_config_selectorIllEEZNS1_25segmented_radix_sort_implIS3_Lb0EPKlPlS8_S9_N2at6native12_GLOBAL__N_18offset_tEEE10hipError_tPvRmT1_PNSt15iterator_traitsISH_E10value_typeET2_T3_PNSI_ISN_E10value_typeET4_jRbjT5_ST_jjP12ihipStream_tbEUlT_E1_NS1_11comp_targetILNS1_3genE10ELNS1_11target_archE1201ELNS1_3gpuE5ELNS1_3repE0EEENS1_59segmented_radix_sort_warp_sort_small_config_static_selectorELNS0_4arch9wavefront6targetE0EEEvSH_.uses_vcc, or(1, .L_ZN7rocprim17ROCPRIM_400000_NS6detail26segmented_warp_sort_helperINS1_20WarpSortHelperConfigILj8ELj4ELj256EEEllLi256ELb0EvE4sortIPKlPlS8_S9_EEvT_T0_T1_T2_jjjjRNS5_12storage_typeE.uses_vcc)
	.set _ZN7rocprim17ROCPRIM_400000_NS6detail17trampoline_kernelINS0_14default_configENS1_36segmented_radix_sort_config_selectorIllEEZNS1_25segmented_radix_sort_implIS3_Lb0EPKlPlS8_S9_N2at6native12_GLOBAL__N_18offset_tEEE10hipError_tPvRmT1_PNSt15iterator_traitsISH_E10value_typeET2_T3_PNSI_ISN_E10value_typeET4_jRbjT5_ST_jjP12ihipStream_tbEUlT_E1_NS1_11comp_targetILNS1_3genE10ELNS1_11target_archE1201ELNS1_3gpuE5ELNS1_3repE0EEENS1_59segmented_radix_sort_warp_sort_small_config_static_selectorELNS0_4arch9wavefront6targetE0EEEvSH_.uses_flat_scratch, or(0, .L_ZN7rocprim17ROCPRIM_400000_NS6detail26segmented_warp_sort_helperINS1_20WarpSortHelperConfigILj8ELj4ELj256EEEllLi256ELb0EvE4sortIPKlPlS8_S9_EEvT_T0_T1_T2_jjjjRNS5_12storage_typeE.uses_flat_scratch)
	.set _ZN7rocprim17ROCPRIM_400000_NS6detail17trampoline_kernelINS0_14default_configENS1_36segmented_radix_sort_config_selectorIllEEZNS1_25segmented_radix_sort_implIS3_Lb0EPKlPlS8_S9_N2at6native12_GLOBAL__N_18offset_tEEE10hipError_tPvRmT1_PNSt15iterator_traitsISH_E10value_typeET2_T3_PNSI_ISN_E10value_typeET4_jRbjT5_ST_jjP12ihipStream_tbEUlT_E1_NS1_11comp_targetILNS1_3genE10ELNS1_11target_archE1201ELNS1_3gpuE5ELNS1_3repE0EEENS1_59segmented_radix_sort_warp_sort_small_config_static_selectorELNS0_4arch9wavefront6targetE0EEEvSH_.has_dyn_sized_stack, or(0, .L_ZN7rocprim17ROCPRIM_400000_NS6detail26segmented_warp_sort_helperINS1_20WarpSortHelperConfigILj8ELj4ELj256EEEllLi256ELb0EvE4sortIPKlPlS8_S9_EEvT_T0_T1_T2_jjjjRNS5_12storage_typeE.has_dyn_sized_stack)
	.set _ZN7rocprim17ROCPRIM_400000_NS6detail17trampoline_kernelINS0_14default_configENS1_36segmented_radix_sort_config_selectorIllEEZNS1_25segmented_radix_sort_implIS3_Lb0EPKlPlS8_S9_N2at6native12_GLOBAL__N_18offset_tEEE10hipError_tPvRmT1_PNSt15iterator_traitsISH_E10value_typeET2_T3_PNSI_ISN_E10value_typeET4_jRbjT5_ST_jjP12ihipStream_tbEUlT_E1_NS1_11comp_targetILNS1_3genE10ELNS1_11target_archE1201ELNS1_3gpuE5ELNS1_3repE0EEENS1_59segmented_radix_sort_warp_sort_small_config_static_selectorELNS0_4arch9wavefront6targetE0EEEvSH_.has_recursion, or(0, .L_ZN7rocprim17ROCPRIM_400000_NS6detail26segmented_warp_sort_helperINS1_20WarpSortHelperConfigILj8ELj4ELj256EEEllLi256ELb0EvE4sortIPKlPlS8_S9_EEvT_T0_T1_T2_jjjjRNS5_12storage_typeE.has_recursion)
	.set _ZN7rocprim17ROCPRIM_400000_NS6detail17trampoline_kernelINS0_14default_configENS1_36segmented_radix_sort_config_selectorIllEEZNS1_25segmented_radix_sort_implIS3_Lb0EPKlPlS8_S9_N2at6native12_GLOBAL__N_18offset_tEEE10hipError_tPvRmT1_PNSt15iterator_traitsISH_E10value_typeET2_T3_PNSI_ISN_E10value_typeET4_jRbjT5_ST_jjP12ihipStream_tbEUlT_E1_NS1_11comp_targetILNS1_3genE10ELNS1_11target_archE1201ELNS1_3gpuE5ELNS1_3repE0EEENS1_59segmented_radix_sort_warp_sort_small_config_static_selectorELNS0_4arch9wavefront6targetE0EEEvSH_.has_indirect_call, or(0, .L_ZN7rocprim17ROCPRIM_400000_NS6detail26segmented_warp_sort_helperINS1_20WarpSortHelperConfigILj8ELj4ELj256EEEllLi256ELb0EvE4sortIPKlPlS8_S9_EEvT_T0_T1_T2_jjjjRNS5_12storage_typeE.has_indirect_call)
	.section	.AMDGPU.csdata,"",@progbits
; Kernel info:
; codeLenInByte = 544
; TotalNumSgprs: 35
; NumVgprs: 66
; ScratchSize: 0
; MemoryBound: 0
; FloatMode: 240
; IeeeMode: 1
; LDSByteSize: 16384 bytes/workgroup (compile time only)
; SGPRBlocks: 0
; VGPRBlocks: 8
; NumSGPRsForWavesPerEU: 35
; NumVGPRsForWavesPerEU: 66
; Occupancy: 16
; WaveLimiterHint : 0
; COMPUTE_PGM_RSRC2:SCRATCH_EN: 0
; COMPUTE_PGM_RSRC2:USER_SGPR: 2
; COMPUTE_PGM_RSRC2:TRAP_HANDLER: 0
; COMPUTE_PGM_RSRC2:TGID_X_EN: 1
; COMPUTE_PGM_RSRC2:TGID_Y_EN: 1
; COMPUTE_PGM_RSRC2:TGID_Z_EN: 0
; COMPUTE_PGM_RSRC2:TIDIG_COMP_CNT: 2
	.section	.text._ZN7rocprim17ROCPRIM_400000_NS6detail17trampoline_kernelINS0_14default_configENS1_36segmented_radix_sort_config_selectorIllEEZNS1_25segmented_radix_sort_implIS3_Lb0EPKlPlS8_S9_N2at6native12_GLOBAL__N_18offset_tEEE10hipError_tPvRmT1_PNSt15iterator_traitsISH_E10value_typeET2_T3_PNSI_ISN_E10value_typeET4_jRbjT5_ST_jjP12ihipStream_tbEUlT_E1_NS1_11comp_targetILNS1_3genE10ELNS1_11target_archE1200ELNS1_3gpuE4ELNS1_3repE0EEENS1_59segmented_radix_sort_warp_sort_small_config_static_selectorELNS0_4arch9wavefront6targetE0EEEvSH_,"axG",@progbits,_ZN7rocprim17ROCPRIM_400000_NS6detail17trampoline_kernelINS0_14default_configENS1_36segmented_radix_sort_config_selectorIllEEZNS1_25segmented_radix_sort_implIS3_Lb0EPKlPlS8_S9_N2at6native12_GLOBAL__N_18offset_tEEE10hipError_tPvRmT1_PNSt15iterator_traitsISH_E10value_typeET2_T3_PNSI_ISN_E10value_typeET4_jRbjT5_ST_jjP12ihipStream_tbEUlT_E1_NS1_11comp_targetILNS1_3genE10ELNS1_11target_archE1200ELNS1_3gpuE4ELNS1_3repE0EEENS1_59segmented_radix_sort_warp_sort_small_config_static_selectorELNS0_4arch9wavefront6targetE0EEEvSH_,comdat
	.globl	_ZN7rocprim17ROCPRIM_400000_NS6detail17trampoline_kernelINS0_14default_configENS1_36segmented_radix_sort_config_selectorIllEEZNS1_25segmented_radix_sort_implIS3_Lb0EPKlPlS8_S9_N2at6native12_GLOBAL__N_18offset_tEEE10hipError_tPvRmT1_PNSt15iterator_traitsISH_E10value_typeET2_T3_PNSI_ISN_E10value_typeET4_jRbjT5_ST_jjP12ihipStream_tbEUlT_E1_NS1_11comp_targetILNS1_3genE10ELNS1_11target_archE1200ELNS1_3gpuE4ELNS1_3repE0EEENS1_59segmented_radix_sort_warp_sort_small_config_static_selectorELNS0_4arch9wavefront6targetE0EEEvSH_ ; -- Begin function _ZN7rocprim17ROCPRIM_400000_NS6detail17trampoline_kernelINS0_14default_configENS1_36segmented_radix_sort_config_selectorIllEEZNS1_25segmented_radix_sort_implIS3_Lb0EPKlPlS8_S9_N2at6native12_GLOBAL__N_18offset_tEEE10hipError_tPvRmT1_PNSt15iterator_traitsISH_E10value_typeET2_T3_PNSI_ISN_E10value_typeET4_jRbjT5_ST_jjP12ihipStream_tbEUlT_E1_NS1_11comp_targetILNS1_3genE10ELNS1_11target_archE1200ELNS1_3gpuE4ELNS1_3repE0EEENS1_59segmented_radix_sort_warp_sort_small_config_static_selectorELNS0_4arch9wavefront6targetE0EEEvSH_
	.p2align	8
	.type	_ZN7rocprim17ROCPRIM_400000_NS6detail17trampoline_kernelINS0_14default_configENS1_36segmented_radix_sort_config_selectorIllEEZNS1_25segmented_radix_sort_implIS3_Lb0EPKlPlS8_S9_N2at6native12_GLOBAL__N_18offset_tEEE10hipError_tPvRmT1_PNSt15iterator_traitsISH_E10value_typeET2_T3_PNSI_ISN_E10value_typeET4_jRbjT5_ST_jjP12ihipStream_tbEUlT_E1_NS1_11comp_targetILNS1_3genE10ELNS1_11target_archE1200ELNS1_3gpuE4ELNS1_3repE0EEENS1_59segmented_radix_sort_warp_sort_small_config_static_selectorELNS0_4arch9wavefront6targetE0EEEvSH_,@function
_ZN7rocprim17ROCPRIM_400000_NS6detail17trampoline_kernelINS0_14default_configENS1_36segmented_radix_sort_config_selectorIllEEZNS1_25segmented_radix_sort_implIS3_Lb0EPKlPlS8_S9_N2at6native12_GLOBAL__N_18offset_tEEE10hipError_tPvRmT1_PNSt15iterator_traitsISH_E10value_typeET2_T3_PNSI_ISN_E10value_typeET4_jRbjT5_ST_jjP12ihipStream_tbEUlT_E1_NS1_11comp_targetILNS1_3genE10ELNS1_11target_archE1200ELNS1_3gpuE4ELNS1_3repE0EEENS1_59segmented_radix_sort_warp_sort_small_config_static_selectorELNS0_4arch9wavefront6targetE0EEEvSH_: ; @_ZN7rocprim17ROCPRIM_400000_NS6detail17trampoline_kernelINS0_14default_configENS1_36segmented_radix_sort_config_selectorIllEEZNS1_25segmented_radix_sort_implIS3_Lb0EPKlPlS8_S9_N2at6native12_GLOBAL__N_18offset_tEEE10hipError_tPvRmT1_PNSt15iterator_traitsISH_E10value_typeET2_T3_PNSI_ISN_E10value_typeET4_jRbjT5_ST_jjP12ihipStream_tbEUlT_E1_NS1_11comp_targetILNS1_3genE10ELNS1_11target_archE1200ELNS1_3gpuE4ELNS1_3repE0EEENS1_59segmented_radix_sort_warp_sort_small_config_static_selectorELNS0_4arch9wavefront6targetE0EEEvSH_
; %bb.0:
	.section	.rodata,"a",@progbits
	.p2align	6, 0x0
	.amdhsa_kernel _ZN7rocprim17ROCPRIM_400000_NS6detail17trampoline_kernelINS0_14default_configENS1_36segmented_radix_sort_config_selectorIllEEZNS1_25segmented_radix_sort_implIS3_Lb0EPKlPlS8_S9_N2at6native12_GLOBAL__N_18offset_tEEE10hipError_tPvRmT1_PNSt15iterator_traitsISH_E10value_typeET2_T3_PNSI_ISN_E10value_typeET4_jRbjT5_ST_jjP12ihipStream_tbEUlT_E1_NS1_11comp_targetILNS1_3genE10ELNS1_11target_archE1200ELNS1_3gpuE4ELNS1_3repE0EEENS1_59segmented_radix_sort_warp_sort_small_config_static_selectorELNS0_4arch9wavefront6targetE0EEEvSH_
		.amdhsa_group_segment_fixed_size 0
		.amdhsa_private_segment_fixed_size 0
		.amdhsa_kernarg_size 88
		.amdhsa_user_sgpr_count 2
		.amdhsa_user_sgpr_dispatch_ptr 0
		.amdhsa_user_sgpr_queue_ptr 0
		.amdhsa_user_sgpr_kernarg_segment_ptr 1
		.amdhsa_user_sgpr_dispatch_id 0
		.amdhsa_user_sgpr_private_segment_size 0
		.amdhsa_wavefront_size32 1
		.amdhsa_uses_dynamic_stack 0
		.amdhsa_enable_private_segment 0
		.amdhsa_system_sgpr_workgroup_id_x 1
		.amdhsa_system_sgpr_workgroup_id_y 0
		.amdhsa_system_sgpr_workgroup_id_z 0
		.amdhsa_system_sgpr_workgroup_info 0
		.amdhsa_system_vgpr_workitem_id 0
		.amdhsa_next_free_vgpr 1
		.amdhsa_next_free_sgpr 1
		.amdhsa_reserve_vcc 0
		.amdhsa_float_round_mode_32 0
		.amdhsa_float_round_mode_16_64 0
		.amdhsa_float_denorm_mode_32 3
		.amdhsa_float_denorm_mode_16_64 3
		.amdhsa_fp16_overflow 0
		.amdhsa_workgroup_processor_mode 1
		.amdhsa_memory_ordered 1
		.amdhsa_forward_progress 1
		.amdhsa_inst_pref_size 0
		.amdhsa_round_robin_scheduling 0
		.amdhsa_exception_fp_ieee_invalid_op 0
		.amdhsa_exception_fp_denorm_src 0
		.amdhsa_exception_fp_ieee_div_zero 0
		.amdhsa_exception_fp_ieee_overflow 0
		.amdhsa_exception_fp_ieee_underflow 0
		.amdhsa_exception_fp_ieee_inexact 0
		.amdhsa_exception_int_div_zero 0
	.end_amdhsa_kernel
	.section	.text._ZN7rocprim17ROCPRIM_400000_NS6detail17trampoline_kernelINS0_14default_configENS1_36segmented_radix_sort_config_selectorIllEEZNS1_25segmented_radix_sort_implIS3_Lb0EPKlPlS8_S9_N2at6native12_GLOBAL__N_18offset_tEEE10hipError_tPvRmT1_PNSt15iterator_traitsISH_E10value_typeET2_T3_PNSI_ISN_E10value_typeET4_jRbjT5_ST_jjP12ihipStream_tbEUlT_E1_NS1_11comp_targetILNS1_3genE10ELNS1_11target_archE1200ELNS1_3gpuE4ELNS1_3repE0EEENS1_59segmented_radix_sort_warp_sort_small_config_static_selectorELNS0_4arch9wavefront6targetE0EEEvSH_,"axG",@progbits,_ZN7rocprim17ROCPRIM_400000_NS6detail17trampoline_kernelINS0_14default_configENS1_36segmented_radix_sort_config_selectorIllEEZNS1_25segmented_radix_sort_implIS3_Lb0EPKlPlS8_S9_N2at6native12_GLOBAL__N_18offset_tEEE10hipError_tPvRmT1_PNSt15iterator_traitsISH_E10value_typeET2_T3_PNSI_ISN_E10value_typeET4_jRbjT5_ST_jjP12ihipStream_tbEUlT_E1_NS1_11comp_targetILNS1_3genE10ELNS1_11target_archE1200ELNS1_3gpuE4ELNS1_3repE0EEENS1_59segmented_radix_sort_warp_sort_small_config_static_selectorELNS0_4arch9wavefront6targetE0EEEvSH_,comdat
.Lfunc_end834:
	.size	_ZN7rocprim17ROCPRIM_400000_NS6detail17trampoline_kernelINS0_14default_configENS1_36segmented_radix_sort_config_selectorIllEEZNS1_25segmented_radix_sort_implIS3_Lb0EPKlPlS8_S9_N2at6native12_GLOBAL__N_18offset_tEEE10hipError_tPvRmT1_PNSt15iterator_traitsISH_E10value_typeET2_T3_PNSI_ISN_E10value_typeET4_jRbjT5_ST_jjP12ihipStream_tbEUlT_E1_NS1_11comp_targetILNS1_3genE10ELNS1_11target_archE1200ELNS1_3gpuE4ELNS1_3repE0EEENS1_59segmented_radix_sort_warp_sort_small_config_static_selectorELNS0_4arch9wavefront6targetE0EEEvSH_, .Lfunc_end834-_ZN7rocprim17ROCPRIM_400000_NS6detail17trampoline_kernelINS0_14default_configENS1_36segmented_radix_sort_config_selectorIllEEZNS1_25segmented_radix_sort_implIS3_Lb0EPKlPlS8_S9_N2at6native12_GLOBAL__N_18offset_tEEE10hipError_tPvRmT1_PNSt15iterator_traitsISH_E10value_typeET2_T3_PNSI_ISN_E10value_typeET4_jRbjT5_ST_jjP12ihipStream_tbEUlT_E1_NS1_11comp_targetILNS1_3genE10ELNS1_11target_archE1200ELNS1_3gpuE4ELNS1_3repE0EEENS1_59segmented_radix_sort_warp_sort_small_config_static_selectorELNS0_4arch9wavefront6targetE0EEEvSH_
                                        ; -- End function
	.set _ZN7rocprim17ROCPRIM_400000_NS6detail17trampoline_kernelINS0_14default_configENS1_36segmented_radix_sort_config_selectorIllEEZNS1_25segmented_radix_sort_implIS3_Lb0EPKlPlS8_S9_N2at6native12_GLOBAL__N_18offset_tEEE10hipError_tPvRmT1_PNSt15iterator_traitsISH_E10value_typeET2_T3_PNSI_ISN_E10value_typeET4_jRbjT5_ST_jjP12ihipStream_tbEUlT_E1_NS1_11comp_targetILNS1_3genE10ELNS1_11target_archE1200ELNS1_3gpuE4ELNS1_3repE0EEENS1_59segmented_radix_sort_warp_sort_small_config_static_selectorELNS0_4arch9wavefront6targetE0EEEvSH_.num_vgpr, 0
	.set _ZN7rocprim17ROCPRIM_400000_NS6detail17trampoline_kernelINS0_14default_configENS1_36segmented_radix_sort_config_selectorIllEEZNS1_25segmented_radix_sort_implIS3_Lb0EPKlPlS8_S9_N2at6native12_GLOBAL__N_18offset_tEEE10hipError_tPvRmT1_PNSt15iterator_traitsISH_E10value_typeET2_T3_PNSI_ISN_E10value_typeET4_jRbjT5_ST_jjP12ihipStream_tbEUlT_E1_NS1_11comp_targetILNS1_3genE10ELNS1_11target_archE1200ELNS1_3gpuE4ELNS1_3repE0EEENS1_59segmented_radix_sort_warp_sort_small_config_static_selectorELNS0_4arch9wavefront6targetE0EEEvSH_.num_agpr, 0
	.set _ZN7rocprim17ROCPRIM_400000_NS6detail17trampoline_kernelINS0_14default_configENS1_36segmented_radix_sort_config_selectorIllEEZNS1_25segmented_radix_sort_implIS3_Lb0EPKlPlS8_S9_N2at6native12_GLOBAL__N_18offset_tEEE10hipError_tPvRmT1_PNSt15iterator_traitsISH_E10value_typeET2_T3_PNSI_ISN_E10value_typeET4_jRbjT5_ST_jjP12ihipStream_tbEUlT_E1_NS1_11comp_targetILNS1_3genE10ELNS1_11target_archE1200ELNS1_3gpuE4ELNS1_3repE0EEENS1_59segmented_radix_sort_warp_sort_small_config_static_selectorELNS0_4arch9wavefront6targetE0EEEvSH_.numbered_sgpr, 0
	.set _ZN7rocprim17ROCPRIM_400000_NS6detail17trampoline_kernelINS0_14default_configENS1_36segmented_radix_sort_config_selectorIllEEZNS1_25segmented_radix_sort_implIS3_Lb0EPKlPlS8_S9_N2at6native12_GLOBAL__N_18offset_tEEE10hipError_tPvRmT1_PNSt15iterator_traitsISH_E10value_typeET2_T3_PNSI_ISN_E10value_typeET4_jRbjT5_ST_jjP12ihipStream_tbEUlT_E1_NS1_11comp_targetILNS1_3genE10ELNS1_11target_archE1200ELNS1_3gpuE4ELNS1_3repE0EEENS1_59segmented_radix_sort_warp_sort_small_config_static_selectorELNS0_4arch9wavefront6targetE0EEEvSH_.num_named_barrier, 0
	.set _ZN7rocprim17ROCPRIM_400000_NS6detail17trampoline_kernelINS0_14default_configENS1_36segmented_radix_sort_config_selectorIllEEZNS1_25segmented_radix_sort_implIS3_Lb0EPKlPlS8_S9_N2at6native12_GLOBAL__N_18offset_tEEE10hipError_tPvRmT1_PNSt15iterator_traitsISH_E10value_typeET2_T3_PNSI_ISN_E10value_typeET4_jRbjT5_ST_jjP12ihipStream_tbEUlT_E1_NS1_11comp_targetILNS1_3genE10ELNS1_11target_archE1200ELNS1_3gpuE4ELNS1_3repE0EEENS1_59segmented_radix_sort_warp_sort_small_config_static_selectorELNS0_4arch9wavefront6targetE0EEEvSH_.private_seg_size, 0
	.set _ZN7rocprim17ROCPRIM_400000_NS6detail17trampoline_kernelINS0_14default_configENS1_36segmented_radix_sort_config_selectorIllEEZNS1_25segmented_radix_sort_implIS3_Lb0EPKlPlS8_S9_N2at6native12_GLOBAL__N_18offset_tEEE10hipError_tPvRmT1_PNSt15iterator_traitsISH_E10value_typeET2_T3_PNSI_ISN_E10value_typeET4_jRbjT5_ST_jjP12ihipStream_tbEUlT_E1_NS1_11comp_targetILNS1_3genE10ELNS1_11target_archE1200ELNS1_3gpuE4ELNS1_3repE0EEENS1_59segmented_radix_sort_warp_sort_small_config_static_selectorELNS0_4arch9wavefront6targetE0EEEvSH_.uses_vcc, 0
	.set _ZN7rocprim17ROCPRIM_400000_NS6detail17trampoline_kernelINS0_14default_configENS1_36segmented_radix_sort_config_selectorIllEEZNS1_25segmented_radix_sort_implIS3_Lb0EPKlPlS8_S9_N2at6native12_GLOBAL__N_18offset_tEEE10hipError_tPvRmT1_PNSt15iterator_traitsISH_E10value_typeET2_T3_PNSI_ISN_E10value_typeET4_jRbjT5_ST_jjP12ihipStream_tbEUlT_E1_NS1_11comp_targetILNS1_3genE10ELNS1_11target_archE1200ELNS1_3gpuE4ELNS1_3repE0EEENS1_59segmented_radix_sort_warp_sort_small_config_static_selectorELNS0_4arch9wavefront6targetE0EEEvSH_.uses_flat_scratch, 0
	.set _ZN7rocprim17ROCPRIM_400000_NS6detail17trampoline_kernelINS0_14default_configENS1_36segmented_radix_sort_config_selectorIllEEZNS1_25segmented_radix_sort_implIS3_Lb0EPKlPlS8_S9_N2at6native12_GLOBAL__N_18offset_tEEE10hipError_tPvRmT1_PNSt15iterator_traitsISH_E10value_typeET2_T3_PNSI_ISN_E10value_typeET4_jRbjT5_ST_jjP12ihipStream_tbEUlT_E1_NS1_11comp_targetILNS1_3genE10ELNS1_11target_archE1200ELNS1_3gpuE4ELNS1_3repE0EEENS1_59segmented_radix_sort_warp_sort_small_config_static_selectorELNS0_4arch9wavefront6targetE0EEEvSH_.has_dyn_sized_stack, 0
	.set _ZN7rocprim17ROCPRIM_400000_NS6detail17trampoline_kernelINS0_14default_configENS1_36segmented_radix_sort_config_selectorIllEEZNS1_25segmented_radix_sort_implIS3_Lb0EPKlPlS8_S9_N2at6native12_GLOBAL__N_18offset_tEEE10hipError_tPvRmT1_PNSt15iterator_traitsISH_E10value_typeET2_T3_PNSI_ISN_E10value_typeET4_jRbjT5_ST_jjP12ihipStream_tbEUlT_E1_NS1_11comp_targetILNS1_3genE10ELNS1_11target_archE1200ELNS1_3gpuE4ELNS1_3repE0EEENS1_59segmented_radix_sort_warp_sort_small_config_static_selectorELNS0_4arch9wavefront6targetE0EEEvSH_.has_recursion, 0
	.set _ZN7rocprim17ROCPRIM_400000_NS6detail17trampoline_kernelINS0_14default_configENS1_36segmented_radix_sort_config_selectorIllEEZNS1_25segmented_radix_sort_implIS3_Lb0EPKlPlS8_S9_N2at6native12_GLOBAL__N_18offset_tEEE10hipError_tPvRmT1_PNSt15iterator_traitsISH_E10value_typeET2_T3_PNSI_ISN_E10value_typeET4_jRbjT5_ST_jjP12ihipStream_tbEUlT_E1_NS1_11comp_targetILNS1_3genE10ELNS1_11target_archE1200ELNS1_3gpuE4ELNS1_3repE0EEENS1_59segmented_radix_sort_warp_sort_small_config_static_selectorELNS0_4arch9wavefront6targetE0EEEvSH_.has_indirect_call, 0
	.section	.AMDGPU.csdata,"",@progbits
; Kernel info:
; codeLenInByte = 0
; TotalNumSgprs: 0
; NumVgprs: 0
; ScratchSize: 0
; MemoryBound: 0
; FloatMode: 240
; IeeeMode: 1
; LDSByteSize: 0 bytes/workgroup (compile time only)
; SGPRBlocks: 0
; VGPRBlocks: 0
; NumSGPRsForWavesPerEU: 1
; NumVGPRsForWavesPerEU: 1
; Occupancy: 16
; WaveLimiterHint : 0
; COMPUTE_PGM_RSRC2:SCRATCH_EN: 0
; COMPUTE_PGM_RSRC2:USER_SGPR: 2
; COMPUTE_PGM_RSRC2:TRAP_HANDLER: 0
; COMPUTE_PGM_RSRC2:TGID_X_EN: 1
; COMPUTE_PGM_RSRC2:TGID_Y_EN: 0
; COMPUTE_PGM_RSRC2:TGID_Z_EN: 0
; COMPUTE_PGM_RSRC2:TIDIG_COMP_CNT: 0
	.section	.text._ZN7rocprim17ROCPRIM_400000_NS6detail17trampoline_kernelINS0_14default_configENS1_36segmented_radix_sort_config_selectorIllEEZNS1_25segmented_radix_sort_implIS3_Lb0EPKlPlS8_S9_N2at6native12_GLOBAL__N_18offset_tEEE10hipError_tPvRmT1_PNSt15iterator_traitsISH_E10value_typeET2_T3_PNSI_ISN_E10value_typeET4_jRbjT5_ST_jjP12ihipStream_tbEUlT_E1_NS1_11comp_targetILNS1_3genE9ELNS1_11target_archE1100ELNS1_3gpuE3ELNS1_3repE0EEENS1_59segmented_radix_sort_warp_sort_small_config_static_selectorELNS0_4arch9wavefront6targetE0EEEvSH_,"axG",@progbits,_ZN7rocprim17ROCPRIM_400000_NS6detail17trampoline_kernelINS0_14default_configENS1_36segmented_radix_sort_config_selectorIllEEZNS1_25segmented_radix_sort_implIS3_Lb0EPKlPlS8_S9_N2at6native12_GLOBAL__N_18offset_tEEE10hipError_tPvRmT1_PNSt15iterator_traitsISH_E10value_typeET2_T3_PNSI_ISN_E10value_typeET4_jRbjT5_ST_jjP12ihipStream_tbEUlT_E1_NS1_11comp_targetILNS1_3genE9ELNS1_11target_archE1100ELNS1_3gpuE3ELNS1_3repE0EEENS1_59segmented_radix_sort_warp_sort_small_config_static_selectorELNS0_4arch9wavefront6targetE0EEEvSH_,comdat
	.globl	_ZN7rocprim17ROCPRIM_400000_NS6detail17trampoline_kernelINS0_14default_configENS1_36segmented_radix_sort_config_selectorIllEEZNS1_25segmented_radix_sort_implIS3_Lb0EPKlPlS8_S9_N2at6native12_GLOBAL__N_18offset_tEEE10hipError_tPvRmT1_PNSt15iterator_traitsISH_E10value_typeET2_T3_PNSI_ISN_E10value_typeET4_jRbjT5_ST_jjP12ihipStream_tbEUlT_E1_NS1_11comp_targetILNS1_3genE9ELNS1_11target_archE1100ELNS1_3gpuE3ELNS1_3repE0EEENS1_59segmented_radix_sort_warp_sort_small_config_static_selectorELNS0_4arch9wavefront6targetE0EEEvSH_ ; -- Begin function _ZN7rocprim17ROCPRIM_400000_NS6detail17trampoline_kernelINS0_14default_configENS1_36segmented_radix_sort_config_selectorIllEEZNS1_25segmented_radix_sort_implIS3_Lb0EPKlPlS8_S9_N2at6native12_GLOBAL__N_18offset_tEEE10hipError_tPvRmT1_PNSt15iterator_traitsISH_E10value_typeET2_T3_PNSI_ISN_E10value_typeET4_jRbjT5_ST_jjP12ihipStream_tbEUlT_E1_NS1_11comp_targetILNS1_3genE9ELNS1_11target_archE1100ELNS1_3gpuE3ELNS1_3repE0EEENS1_59segmented_radix_sort_warp_sort_small_config_static_selectorELNS0_4arch9wavefront6targetE0EEEvSH_
	.p2align	8
	.type	_ZN7rocprim17ROCPRIM_400000_NS6detail17trampoline_kernelINS0_14default_configENS1_36segmented_radix_sort_config_selectorIllEEZNS1_25segmented_radix_sort_implIS3_Lb0EPKlPlS8_S9_N2at6native12_GLOBAL__N_18offset_tEEE10hipError_tPvRmT1_PNSt15iterator_traitsISH_E10value_typeET2_T3_PNSI_ISN_E10value_typeET4_jRbjT5_ST_jjP12ihipStream_tbEUlT_E1_NS1_11comp_targetILNS1_3genE9ELNS1_11target_archE1100ELNS1_3gpuE3ELNS1_3repE0EEENS1_59segmented_radix_sort_warp_sort_small_config_static_selectorELNS0_4arch9wavefront6targetE0EEEvSH_,@function
_ZN7rocprim17ROCPRIM_400000_NS6detail17trampoline_kernelINS0_14default_configENS1_36segmented_radix_sort_config_selectorIllEEZNS1_25segmented_radix_sort_implIS3_Lb0EPKlPlS8_S9_N2at6native12_GLOBAL__N_18offset_tEEE10hipError_tPvRmT1_PNSt15iterator_traitsISH_E10value_typeET2_T3_PNSI_ISN_E10value_typeET4_jRbjT5_ST_jjP12ihipStream_tbEUlT_E1_NS1_11comp_targetILNS1_3genE9ELNS1_11target_archE1100ELNS1_3gpuE3ELNS1_3repE0EEENS1_59segmented_radix_sort_warp_sort_small_config_static_selectorELNS0_4arch9wavefront6targetE0EEEvSH_: ; @_ZN7rocprim17ROCPRIM_400000_NS6detail17trampoline_kernelINS0_14default_configENS1_36segmented_radix_sort_config_selectorIllEEZNS1_25segmented_radix_sort_implIS3_Lb0EPKlPlS8_S9_N2at6native12_GLOBAL__N_18offset_tEEE10hipError_tPvRmT1_PNSt15iterator_traitsISH_E10value_typeET2_T3_PNSI_ISN_E10value_typeET4_jRbjT5_ST_jjP12ihipStream_tbEUlT_E1_NS1_11comp_targetILNS1_3genE9ELNS1_11target_archE1100ELNS1_3gpuE3ELNS1_3repE0EEENS1_59segmented_radix_sort_warp_sort_small_config_static_selectorELNS0_4arch9wavefront6targetE0EEEvSH_
; %bb.0:
	.section	.rodata,"a",@progbits
	.p2align	6, 0x0
	.amdhsa_kernel _ZN7rocprim17ROCPRIM_400000_NS6detail17trampoline_kernelINS0_14default_configENS1_36segmented_radix_sort_config_selectorIllEEZNS1_25segmented_radix_sort_implIS3_Lb0EPKlPlS8_S9_N2at6native12_GLOBAL__N_18offset_tEEE10hipError_tPvRmT1_PNSt15iterator_traitsISH_E10value_typeET2_T3_PNSI_ISN_E10value_typeET4_jRbjT5_ST_jjP12ihipStream_tbEUlT_E1_NS1_11comp_targetILNS1_3genE9ELNS1_11target_archE1100ELNS1_3gpuE3ELNS1_3repE0EEENS1_59segmented_radix_sort_warp_sort_small_config_static_selectorELNS0_4arch9wavefront6targetE0EEEvSH_
		.amdhsa_group_segment_fixed_size 0
		.amdhsa_private_segment_fixed_size 0
		.amdhsa_kernarg_size 88
		.amdhsa_user_sgpr_count 2
		.amdhsa_user_sgpr_dispatch_ptr 0
		.amdhsa_user_sgpr_queue_ptr 0
		.amdhsa_user_sgpr_kernarg_segment_ptr 1
		.amdhsa_user_sgpr_dispatch_id 0
		.amdhsa_user_sgpr_private_segment_size 0
		.amdhsa_wavefront_size32 1
		.amdhsa_uses_dynamic_stack 0
		.amdhsa_enable_private_segment 0
		.amdhsa_system_sgpr_workgroup_id_x 1
		.amdhsa_system_sgpr_workgroup_id_y 0
		.amdhsa_system_sgpr_workgroup_id_z 0
		.amdhsa_system_sgpr_workgroup_info 0
		.amdhsa_system_vgpr_workitem_id 0
		.amdhsa_next_free_vgpr 1
		.amdhsa_next_free_sgpr 1
		.amdhsa_reserve_vcc 0
		.amdhsa_float_round_mode_32 0
		.amdhsa_float_round_mode_16_64 0
		.amdhsa_float_denorm_mode_32 3
		.amdhsa_float_denorm_mode_16_64 3
		.amdhsa_fp16_overflow 0
		.amdhsa_workgroup_processor_mode 1
		.amdhsa_memory_ordered 1
		.amdhsa_forward_progress 1
		.amdhsa_inst_pref_size 0
		.amdhsa_round_robin_scheduling 0
		.amdhsa_exception_fp_ieee_invalid_op 0
		.amdhsa_exception_fp_denorm_src 0
		.amdhsa_exception_fp_ieee_div_zero 0
		.amdhsa_exception_fp_ieee_overflow 0
		.amdhsa_exception_fp_ieee_underflow 0
		.amdhsa_exception_fp_ieee_inexact 0
		.amdhsa_exception_int_div_zero 0
	.end_amdhsa_kernel
	.section	.text._ZN7rocprim17ROCPRIM_400000_NS6detail17trampoline_kernelINS0_14default_configENS1_36segmented_radix_sort_config_selectorIllEEZNS1_25segmented_radix_sort_implIS3_Lb0EPKlPlS8_S9_N2at6native12_GLOBAL__N_18offset_tEEE10hipError_tPvRmT1_PNSt15iterator_traitsISH_E10value_typeET2_T3_PNSI_ISN_E10value_typeET4_jRbjT5_ST_jjP12ihipStream_tbEUlT_E1_NS1_11comp_targetILNS1_3genE9ELNS1_11target_archE1100ELNS1_3gpuE3ELNS1_3repE0EEENS1_59segmented_radix_sort_warp_sort_small_config_static_selectorELNS0_4arch9wavefront6targetE0EEEvSH_,"axG",@progbits,_ZN7rocprim17ROCPRIM_400000_NS6detail17trampoline_kernelINS0_14default_configENS1_36segmented_radix_sort_config_selectorIllEEZNS1_25segmented_radix_sort_implIS3_Lb0EPKlPlS8_S9_N2at6native12_GLOBAL__N_18offset_tEEE10hipError_tPvRmT1_PNSt15iterator_traitsISH_E10value_typeET2_T3_PNSI_ISN_E10value_typeET4_jRbjT5_ST_jjP12ihipStream_tbEUlT_E1_NS1_11comp_targetILNS1_3genE9ELNS1_11target_archE1100ELNS1_3gpuE3ELNS1_3repE0EEENS1_59segmented_radix_sort_warp_sort_small_config_static_selectorELNS0_4arch9wavefront6targetE0EEEvSH_,comdat
.Lfunc_end835:
	.size	_ZN7rocprim17ROCPRIM_400000_NS6detail17trampoline_kernelINS0_14default_configENS1_36segmented_radix_sort_config_selectorIllEEZNS1_25segmented_radix_sort_implIS3_Lb0EPKlPlS8_S9_N2at6native12_GLOBAL__N_18offset_tEEE10hipError_tPvRmT1_PNSt15iterator_traitsISH_E10value_typeET2_T3_PNSI_ISN_E10value_typeET4_jRbjT5_ST_jjP12ihipStream_tbEUlT_E1_NS1_11comp_targetILNS1_3genE9ELNS1_11target_archE1100ELNS1_3gpuE3ELNS1_3repE0EEENS1_59segmented_radix_sort_warp_sort_small_config_static_selectorELNS0_4arch9wavefront6targetE0EEEvSH_, .Lfunc_end835-_ZN7rocprim17ROCPRIM_400000_NS6detail17trampoline_kernelINS0_14default_configENS1_36segmented_radix_sort_config_selectorIllEEZNS1_25segmented_radix_sort_implIS3_Lb0EPKlPlS8_S9_N2at6native12_GLOBAL__N_18offset_tEEE10hipError_tPvRmT1_PNSt15iterator_traitsISH_E10value_typeET2_T3_PNSI_ISN_E10value_typeET4_jRbjT5_ST_jjP12ihipStream_tbEUlT_E1_NS1_11comp_targetILNS1_3genE9ELNS1_11target_archE1100ELNS1_3gpuE3ELNS1_3repE0EEENS1_59segmented_radix_sort_warp_sort_small_config_static_selectorELNS0_4arch9wavefront6targetE0EEEvSH_
                                        ; -- End function
	.set _ZN7rocprim17ROCPRIM_400000_NS6detail17trampoline_kernelINS0_14default_configENS1_36segmented_radix_sort_config_selectorIllEEZNS1_25segmented_radix_sort_implIS3_Lb0EPKlPlS8_S9_N2at6native12_GLOBAL__N_18offset_tEEE10hipError_tPvRmT1_PNSt15iterator_traitsISH_E10value_typeET2_T3_PNSI_ISN_E10value_typeET4_jRbjT5_ST_jjP12ihipStream_tbEUlT_E1_NS1_11comp_targetILNS1_3genE9ELNS1_11target_archE1100ELNS1_3gpuE3ELNS1_3repE0EEENS1_59segmented_radix_sort_warp_sort_small_config_static_selectorELNS0_4arch9wavefront6targetE0EEEvSH_.num_vgpr, 0
	.set _ZN7rocprim17ROCPRIM_400000_NS6detail17trampoline_kernelINS0_14default_configENS1_36segmented_radix_sort_config_selectorIllEEZNS1_25segmented_radix_sort_implIS3_Lb0EPKlPlS8_S9_N2at6native12_GLOBAL__N_18offset_tEEE10hipError_tPvRmT1_PNSt15iterator_traitsISH_E10value_typeET2_T3_PNSI_ISN_E10value_typeET4_jRbjT5_ST_jjP12ihipStream_tbEUlT_E1_NS1_11comp_targetILNS1_3genE9ELNS1_11target_archE1100ELNS1_3gpuE3ELNS1_3repE0EEENS1_59segmented_radix_sort_warp_sort_small_config_static_selectorELNS0_4arch9wavefront6targetE0EEEvSH_.num_agpr, 0
	.set _ZN7rocprim17ROCPRIM_400000_NS6detail17trampoline_kernelINS0_14default_configENS1_36segmented_radix_sort_config_selectorIllEEZNS1_25segmented_radix_sort_implIS3_Lb0EPKlPlS8_S9_N2at6native12_GLOBAL__N_18offset_tEEE10hipError_tPvRmT1_PNSt15iterator_traitsISH_E10value_typeET2_T3_PNSI_ISN_E10value_typeET4_jRbjT5_ST_jjP12ihipStream_tbEUlT_E1_NS1_11comp_targetILNS1_3genE9ELNS1_11target_archE1100ELNS1_3gpuE3ELNS1_3repE0EEENS1_59segmented_radix_sort_warp_sort_small_config_static_selectorELNS0_4arch9wavefront6targetE0EEEvSH_.numbered_sgpr, 0
	.set _ZN7rocprim17ROCPRIM_400000_NS6detail17trampoline_kernelINS0_14default_configENS1_36segmented_radix_sort_config_selectorIllEEZNS1_25segmented_radix_sort_implIS3_Lb0EPKlPlS8_S9_N2at6native12_GLOBAL__N_18offset_tEEE10hipError_tPvRmT1_PNSt15iterator_traitsISH_E10value_typeET2_T3_PNSI_ISN_E10value_typeET4_jRbjT5_ST_jjP12ihipStream_tbEUlT_E1_NS1_11comp_targetILNS1_3genE9ELNS1_11target_archE1100ELNS1_3gpuE3ELNS1_3repE0EEENS1_59segmented_radix_sort_warp_sort_small_config_static_selectorELNS0_4arch9wavefront6targetE0EEEvSH_.num_named_barrier, 0
	.set _ZN7rocprim17ROCPRIM_400000_NS6detail17trampoline_kernelINS0_14default_configENS1_36segmented_radix_sort_config_selectorIllEEZNS1_25segmented_radix_sort_implIS3_Lb0EPKlPlS8_S9_N2at6native12_GLOBAL__N_18offset_tEEE10hipError_tPvRmT1_PNSt15iterator_traitsISH_E10value_typeET2_T3_PNSI_ISN_E10value_typeET4_jRbjT5_ST_jjP12ihipStream_tbEUlT_E1_NS1_11comp_targetILNS1_3genE9ELNS1_11target_archE1100ELNS1_3gpuE3ELNS1_3repE0EEENS1_59segmented_radix_sort_warp_sort_small_config_static_selectorELNS0_4arch9wavefront6targetE0EEEvSH_.private_seg_size, 0
	.set _ZN7rocprim17ROCPRIM_400000_NS6detail17trampoline_kernelINS0_14default_configENS1_36segmented_radix_sort_config_selectorIllEEZNS1_25segmented_radix_sort_implIS3_Lb0EPKlPlS8_S9_N2at6native12_GLOBAL__N_18offset_tEEE10hipError_tPvRmT1_PNSt15iterator_traitsISH_E10value_typeET2_T3_PNSI_ISN_E10value_typeET4_jRbjT5_ST_jjP12ihipStream_tbEUlT_E1_NS1_11comp_targetILNS1_3genE9ELNS1_11target_archE1100ELNS1_3gpuE3ELNS1_3repE0EEENS1_59segmented_radix_sort_warp_sort_small_config_static_selectorELNS0_4arch9wavefront6targetE0EEEvSH_.uses_vcc, 0
	.set _ZN7rocprim17ROCPRIM_400000_NS6detail17trampoline_kernelINS0_14default_configENS1_36segmented_radix_sort_config_selectorIllEEZNS1_25segmented_radix_sort_implIS3_Lb0EPKlPlS8_S9_N2at6native12_GLOBAL__N_18offset_tEEE10hipError_tPvRmT1_PNSt15iterator_traitsISH_E10value_typeET2_T3_PNSI_ISN_E10value_typeET4_jRbjT5_ST_jjP12ihipStream_tbEUlT_E1_NS1_11comp_targetILNS1_3genE9ELNS1_11target_archE1100ELNS1_3gpuE3ELNS1_3repE0EEENS1_59segmented_radix_sort_warp_sort_small_config_static_selectorELNS0_4arch9wavefront6targetE0EEEvSH_.uses_flat_scratch, 0
	.set _ZN7rocprim17ROCPRIM_400000_NS6detail17trampoline_kernelINS0_14default_configENS1_36segmented_radix_sort_config_selectorIllEEZNS1_25segmented_radix_sort_implIS3_Lb0EPKlPlS8_S9_N2at6native12_GLOBAL__N_18offset_tEEE10hipError_tPvRmT1_PNSt15iterator_traitsISH_E10value_typeET2_T3_PNSI_ISN_E10value_typeET4_jRbjT5_ST_jjP12ihipStream_tbEUlT_E1_NS1_11comp_targetILNS1_3genE9ELNS1_11target_archE1100ELNS1_3gpuE3ELNS1_3repE0EEENS1_59segmented_radix_sort_warp_sort_small_config_static_selectorELNS0_4arch9wavefront6targetE0EEEvSH_.has_dyn_sized_stack, 0
	.set _ZN7rocprim17ROCPRIM_400000_NS6detail17trampoline_kernelINS0_14default_configENS1_36segmented_radix_sort_config_selectorIllEEZNS1_25segmented_radix_sort_implIS3_Lb0EPKlPlS8_S9_N2at6native12_GLOBAL__N_18offset_tEEE10hipError_tPvRmT1_PNSt15iterator_traitsISH_E10value_typeET2_T3_PNSI_ISN_E10value_typeET4_jRbjT5_ST_jjP12ihipStream_tbEUlT_E1_NS1_11comp_targetILNS1_3genE9ELNS1_11target_archE1100ELNS1_3gpuE3ELNS1_3repE0EEENS1_59segmented_radix_sort_warp_sort_small_config_static_selectorELNS0_4arch9wavefront6targetE0EEEvSH_.has_recursion, 0
	.set _ZN7rocprim17ROCPRIM_400000_NS6detail17trampoline_kernelINS0_14default_configENS1_36segmented_radix_sort_config_selectorIllEEZNS1_25segmented_radix_sort_implIS3_Lb0EPKlPlS8_S9_N2at6native12_GLOBAL__N_18offset_tEEE10hipError_tPvRmT1_PNSt15iterator_traitsISH_E10value_typeET2_T3_PNSI_ISN_E10value_typeET4_jRbjT5_ST_jjP12ihipStream_tbEUlT_E1_NS1_11comp_targetILNS1_3genE9ELNS1_11target_archE1100ELNS1_3gpuE3ELNS1_3repE0EEENS1_59segmented_radix_sort_warp_sort_small_config_static_selectorELNS0_4arch9wavefront6targetE0EEEvSH_.has_indirect_call, 0
	.section	.AMDGPU.csdata,"",@progbits
; Kernel info:
; codeLenInByte = 0
; TotalNumSgprs: 0
; NumVgprs: 0
; ScratchSize: 0
; MemoryBound: 0
; FloatMode: 240
; IeeeMode: 1
; LDSByteSize: 0 bytes/workgroup (compile time only)
; SGPRBlocks: 0
; VGPRBlocks: 0
; NumSGPRsForWavesPerEU: 1
; NumVGPRsForWavesPerEU: 1
; Occupancy: 16
; WaveLimiterHint : 0
; COMPUTE_PGM_RSRC2:SCRATCH_EN: 0
; COMPUTE_PGM_RSRC2:USER_SGPR: 2
; COMPUTE_PGM_RSRC2:TRAP_HANDLER: 0
; COMPUTE_PGM_RSRC2:TGID_X_EN: 1
; COMPUTE_PGM_RSRC2:TGID_Y_EN: 0
; COMPUTE_PGM_RSRC2:TGID_Z_EN: 0
; COMPUTE_PGM_RSRC2:TIDIG_COMP_CNT: 0
	.section	.text._ZN7rocprim17ROCPRIM_400000_NS6detail17trampoline_kernelINS0_14default_configENS1_36segmented_radix_sort_config_selectorIllEEZNS1_25segmented_radix_sort_implIS3_Lb0EPKlPlS8_S9_N2at6native12_GLOBAL__N_18offset_tEEE10hipError_tPvRmT1_PNSt15iterator_traitsISH_E10value_typeET2_T3_PNSI_ISN_E10value_typeET4_jRbjT5_ST_jjP12ihipStream_tbEUlT_E1_NS1_11comp_targetILNS1_3genE8ELNS1_11target_archE1030ELNS1_3gpuE2ELNS1_3repE0EEENS1_59segmented_radix_sort_warp_sort_small_config_static_selectorELNS0_4arch9wavefront6targetE0EEEvSH_,"axG",@progbits,_ZN7rocprim17ROCPRIM_400000_NS6detail17trampoline_kernelINS0_14default_configENS1_36segmented_radix_sort_config_selectorIllEEZNS1_25segmented_radix_sort_implIS3_Lb0EPKlPlS8_S9_N2at6native12_GLOBAL__N_18offset_tEEE10hipError_tPvRmT1_PNSt15iterator_traitsISH_E10value_typeET2_T3_PNSI_ISN_E10value_typeET4_jRbjT5_ST_jjP12ihipStream_tbEUlT_E1_NS1_11comp_targetILNS1_3genE8ELNS1_11target_archE1030ELNS1_3gpuE2ELNS1_3repE0EEENS1_59segmented_radix_sort_warp_sort_small_config_static_selectorELNS0_4arch9wavefront6targetE0EEEvSH_,comdat
	.globl	_ZN7rocprim17ROCPRIM_400000_NS6detail17trampoline_kernelINS0_14default_configENS1_36segmented_radix_sort_config_selectorIllEEZNS1_25segmented_radix_sort_implIS3_Lb0EPKlPlS8_S9_N2at6native12_GLOBAL__N_18offset_tEEE10hipError_tPvRmT1_PNSt15iterator_traitsISH_E10value_typeET2_T3_PNSI_ISN_E10value_typeET4_jRbjT5_ST_jjP12ihipStream_tbEUlT_E1_NS1_11comp_targetILNS1_3genE8ELNS1_11target_archE1030ELNS1_3gpuE2ELNS1_3repE0EEENS1_59segmented_radix_sort_warp_sort_small_config_static_selectorELNS0_4arch9wavefront6targetE0EEEvSH_ ; -- Begin function _ZN7rocprim17ROCPRIM_400000_NS6detail17trampoline_kernelINS0_14default_configENS1_36segmented_radix_sort_config_selectorIllEEZNS1_25segmented_radix_sort_implIS3_Lb0EPKlPlS8_S9_N2at6native12_GLOBAL__N_18offset_tEEE10hipError_tPvRmT1_PNSt15iterator_traitsISH_E10value_typeET2_T3_PNSI_ISN_E10value_typeET4_jRbjT5_ST_jjP12ihipStream_tbEUlT_E1_NS1_11comp_targetILNS1_3genE8ELNS1_11target_archE1030ELNS1_3gpuE2ELNS1_3repE0EEENS1_59segmented_radix_sort_warp_sort_small_config_static_selectorELNS0_4arch9wavefront6targetE0EEEvSH_
	.p2align	8
	.type	_ZN7rocprim17ROCPRIM_400000_NS6detail17trampoline_kernelINS0_14default_configENS1_36segmented_radix_sort_config_selectorIllEEZNS1_25segmented_radix_sort_implIS3_Lb0EPKlPlS8_S9_N2at6native12_GLOBAL__N_18offset_tEEE10hipError_tPvRmT1_PNSt15iterator_traitsISH_E10value_typeET2_T3_PNSI_ISN_E10value_typeET4_jRbjT5_ST_jjP12ihipStream_tbEUlT_E1_NS1_11comp_targetILNS1_3genE8ELNS1_11target_archE1030ELNS1_3gpuE2ELNS1_3repE0EEENS1_59segmented_radix_sort_warp_sort_small_config_static_selectorELNS0_4arch9wavefront6targetE0EEEvSH_,@function
_ZN7rocprim17ROCPRIM_400000_NS6detail17trampoline_kernelINS0_14default_configENS1_36segmented_radix_sort_config_selectorIllEEZNS1_25segmented_radix_sort_implIS3_Lb0EPKlPlS8_S9_N2at6native12_GLOBAL__N_18offset_tEEE10hipError_tPvRmT1_PNSt15iterator_traitsISH_E10value_typeET2_T3_PNSI_ISN_E10value_typeET4_jRbjT5_ST_jjP12ihipStream_tbEUlT_E1_NS1_11comp_targetILNS1_3genE8ELNS1_11target_archE1030ELNS1_3gpuE2ELNS1_3repE0EEENS1_59segmented_radix_sort_warp_sort_small_config_static_selectorELNS0_4arch9wavefront6targetE0EEEvSH_: ; @_ZN7rocprim17ROCPRIM_400000_NS6detail17trampoline_kernelINS0_14default_configENS1_36segmented_radix_sort_config_selectorIllEEZNS1_25segmented_radix_sort_implIS3_Lb0EPKlPlS8_S9_N2at6native12_GLOBAL__N_18offset_tEEE10hipError_tPvRmT1_PNSt15iterator_traitsISH_E10value_typeET2_T3_PNSI_ISN_E10value_typeET4_jRbjT5_ST_jjP12ihipStream_tbEUlT_E1_NS1_11comp_targetILNS1_3genE8ELNS1_11target_archE1030ELNS1_3gpuE2ELNS1_3repE0EEENS1_59segmented_radix_sort_warp_sort_small_config_static_selectorELNS0_4arch9wavefront6targetE0EEEvSH_
; %bb.0:
	.section	.rodata,"a",@progbits
	.p2align	6, 0x0
	.amdhsa_kernel _ZN7rocprim17ROCPRIM_400000_NS6detail17trampoline_kernelINS0_14default_configENS1_36segmented_radix_sort_config_selectorIllEEZNS1_25segmented_radix_sort_implIS3_Lb0EPKlPlS8_S9_N2at6native12_GLOBAL__N_18offset_tEEE10hipError_tPvRmT1_PNSt15iterator_traitsISH_E10value_typeET2_T3_PNSI_ISN_E10value_typeET4_jRbjT5_ST_jjP12ihipStream_tbEUlT_E1_NS1_11comp_targetILNS1_3genE8ELNS1_11target_archE1030ELNS1_3gpuE2ELNS1_3repE0EEENS1_59segmented_radix_sort_warp_sort_small_config_static_selectorELNS0_4arch9wavefront6targetE0EEEvSH_
		.amdhsa_group_segment_fixed_size 0
		.amdhsa_private_segment_fixed_size 0
		.amdhsa_kernarg_size 88
		.amdhsa_user_sgpr_count 2
		.amdhsa_user_sgpr_dispatch_ptr 0
		.amdhsa_user_sgpr_queue_ptr 0
		.amdhsa_user_sgpr_kernarg_segment_ptr 1
		.amdhsa_user_sgpr_dispatch_id 0
		.amdhsa_user_sgpr_private_segment_size 0
		.amdhsa_wavefront_size32 1
		.amdhsa_uses_dynamic_stack 0
		.amdhsa_enable_private_segment 0
		.amdhsa_system_sgpr_workgroup_id_x 1
		.amdhsa_system_sgpr_workgroup_id_y 0
		.amdhsa_system_sgpr_workgroup_id_z 0
		.amdhsa_system_sgpr_workgroup_info 0
		.amdhsa_system_vgpr_workitem_id 0
		.amdhsa_next_free_vgpr 1
		.amdhsa_next_free_sgpr 1
		.amdhsa_reserve_vcc 0
		.amdhsa_float_round_mode_32 0
		.amdhsa_float_round_mode_16_64 0
		.amdhsa_float_denorm_mode_32 3
		.amdhsa_float_denorm_mode_16_64 3
		.amdhsa_fp16_overflow 0
		.amdhsa_workgroup_processor_mode 1
		.amdhsa_memory_ordered 1
		.amdhsa_forward_progress 1
		.amdhsa_inst_pref_size 0
		.amdhsa_round_robin_scheduling 0
		.amdhsa_exception_fp_ieee_invalid_op 0
		.amdhsa_exception_fp_denorm_src 0
		.amdhsa_exception_fp_ieee_div_zero 0
		.amdhsa_exception_fp_ieee_overflow 0
		.amdhsa_exception_fp_ieee_underflow 0
		.amdhsa_exception_fp_ieee_inexact 0
		.amdhsa_exception_int_div_zero 0
	.end_amdhsa_kernel
	.section	.text._ZN7rocprim17ROCPRIM_400000_NS6detail17trampoline_kernelINS0_14default_configENS1_36segmented_radix_sort_config_selectorIllEEZNS1_25segmented_radix_sort_implIS3_Lb0EPKlPlS8_S9_N2at6native12_GLOBAL__N_18offset_tEEE10hipError_tPvRmT1_PNSt15iterator_traitsISH_E10value_typeET2_T3_PNSI_ISN_E10value_typeET4_jRbjT5_ST_jjP12ihipStream_tbEUlT_E1_NS1_11comp_targetILNS1_3genE8ELNS1_11target_archE1030ELNS1_3gpuE2ELNS1_3repE0EEENS1_59segmented_radix_sort_warp_sort_small_config_static_selectorELNS0_4arch9wavefront6targetE0EEEvSH_,"axG",@progbits,_ZN7rocprim17ROCPRIM_400000_NS6detail17trampoline_kernelINS0_14default_configENS1_36segmented_radix_sort_config_selectorIllEEZNS1_25segmented_radix_sort_implIS3_Lb0EPKlPlS8_S9_N2at6native12_GLOBAL__N_18offset_tEEE10hipError_tPvRmT1_PNSt15iterator_traitsISH_E10value_typeET2_T3_PNSI_ISN_E10value_typeET4_jRbjT5_ST_jjP12ihipStream_tbEUlT_E1_NS1_11comp_targetILNS1_3genE8ELNS1_11target_archE1030ELNS1_3gpuE2ELNS1_3repE0EEENS1_59segmented_radix_sort_warp_sort_small_config_static_selectorELNS0_4arch9wavefront6targetE0EEEvSH_,comdat
.Lfunc_end836:
	.size	_ZN7rocprim17ROCPRIM_400000_NS6detail17trampoline_kernelINS0_14default_configENS1_36segmented_radix_sort_config_selectorIllEEZNS1_25segmented_radix_sort_implIS3_Lb0EPKlPlS8_S9_N2at6native12_GLOBAL__N_18offset_tEEE10hipError_tPvRmT1_PNSt15iterator_traitsISH_E10value_typeET2_T3_PNSI_ISN_E10value_typeET4_jRbjT5_ST_jjP12ihipStream_tbEUlT_E1_NS1_11comp_targetILNS1_3genE8ELNS1_11target_archE1030ELNS1_3gpuE2ELNS1_3repE0EEENS1_59segmented_radix_sort_warp_sort_small_config_static_selectorELNS0_4arch9wavefront6targetE0EEEvSH_, .Lfunc_end836-_ZN7rocprim17ROCPRIM_400000_NS6detail17trampoline_kernelINS0_14default_configENS1_36segmented_radix_sort_config_selectorIllEEZNS1_25segmented_radix_sort_implIS3_Lb0EPKlPlS8_S9_N2at6native12_GLOBAL__N_18offset_tEEE10hipError_tPvRmT1_PNSt15iterator_traitsISH_E10value_typeET2_T3_PNSI_ISN_E10value_typeET4_jRbjT5_ST_jjP12ihipStream_tbEUlT_E1_NS1_11comp_targetILNS1_3genE8ELNS1_11target_archE1030ELNS1_3gpuE2ELNS1_3repE0EEENS1_59segmented_radix_sort_warp_sort_small_config_static_selectorELNS0_4arch9wavefront6targetE0EEEvSH_
                                        ; -- End function
	.set _ZN7rocprim17ROCPRIM_400000_NS6detail17trampoline_kernelINS0_14default_configENS1_36segmented_radix_sort_config_selectorIllEEZNS1_25segmented_radix_sort_implIS3_Lb0EPKlPlS8_S9_N2at6native12_GLOBAL__N_18offset_tEEE10hipError_tPvRmT1_PNSt15iterator_traitsISH_E10value_typeET2_T3_PNSI_ISN_E10value_typeET4_jRbjT5_ST_jjP12ihipStream_tbEUlT_E1_NS1_11comp_targetILNS1_3genE8ELNS1_11target_archE1030ELNS1_3gpuE2ELNS1_3repE0EEENS1_59segmented_radix_sort_warp_sort_small_config_static_selectorELNS0_4arch9wavefront6targetE0EEEvSH_.num_vgpr, 0
	.set _ZN7rocprim17ROCPRIM_400000_NS6detail17trampoline_kernelINS0_14default_configENS1_36segmented_radix_sort_config_selectorIllEEZNS1_25segmented_radix_sort_implIS3_Lb0EPKlPlS8_S9_N2at6native12_GLOBAL__N_18offset_tEEE10hipError_tPvRmT1_PNSt15iterator_traitsISH_E10value_typeET2_T3_PNSI_ISN_E10value_typeET4_jRbjT5_ST_jjP12ihipStream_tbEUlT_E1_NS1_11comp_targetILNS1_3genE8ELNS1_11target_archE1030ELNS1_3gpuE2ELNS1_3repE0EEENS1_59segmented_radix_sort_warp_sort_small_config_static_selectorELNS0_4arch9wavefront6targetE0EEEvSH_.num_agpr, 0
	.set _ZN7rocprim17ROCPRIM_400000_NS6detail17trampoline_kernelINS0_14default_configENS1_36segmented_radix_sort_config_selectorIllEEZNS1_25segmented_radix_sort_implIS3_Lb0EPKlPlS8_S9_N2at6native12_GLOBAL__N_18offset_tEEE10hipError_tPvRmT1_PNSt15iterator_traitsISH_E10value_typeET2_T3_PNSI_ISN_E10value_typeET4_jRbjT5_ST_jjP12ihipStream_tbEUlT_E1_NS1_11comp_targetILNS1_3genE8ELNS1_11target_archE1030ELNS1_3gpuE2ELNS1_3repE0EEENS1_59segmented_radix_sort_warp_sort_small_config_static_selectorELNS0_4arch9wavefront6targetE0EEEvSH_.numbered_sgpr, 0
	.set _ZN7rocprim17ROCPRIM_400000_NS6detail17trampoline_kernelINS0_14default_configENS1_36segmented_radix_sort_config_selectorIllEEZNS1_25segmented_radix_sort_implIS3_Lb0EPKlPlS8_S9_N2at6native12_GLOBAL__N_18offset_tEEE10hipError_tPvRmT1_PNSt15iterator_traitsISH_E10value_typeET2_T3_PNSI_ISN_E10value_typeET4_jRbjT5_ST_jjP12ihipStream_tbEUlT_E1_NS1_11comp_targetILNS1_3genE8ELNS1_11target_archE1030ELNS1_3gpuE2ELNS1_3repE0EEENS1_59segmented_radix_sort_warp_sort_small_config_static_selectorELNS0_4arch9wavefront6targetE0EEEvSH_.num_named_barrier, 0
	.set _ZN7rocprim17ROCPRIM_400000_NS6detail17trampoline_kernelINS0_14default_configENS1_36segmented_radix_sort_config_selectorIllEEZNS1_25segmented_radix_sort_implIS3_Lb0EPKlPlS8_S9_N2at6native12_GLOBAL__N_18offset_tEEE10hipError_tPvRmT1_PNSt15iterator_traitsISH_E10value_typeET2_T3_PNSI_ISN_E10value_typeET4_jRbjT5_ST_jjP12ihipStream_tbEUlT_E1_NS1_11comp_targetILNS1_3genE8ELNS1_11target_archE1030ELNS1_3gpuE2ELNS1_3repE0EEENS1_59segmented_radix_sort_warp_sort_small_config_static_selectorELNS0_4arch9wavefront6targetE0EEEvSH_.private_seg_size, 0
	.set _ZN7rocprim17ROCPRIM_400000_NS6detail17trampoline_kernelINS0_14default_configENS1_36segmented_radix_sort_config_selectorIllEEZNS1_25segmented_radix_sort_implIS3_Lb0EPKlPlS8_S9_N2at6native12_GLOBAL__N_18offset_tEEE10hipError_tPvRmT1_PNSt15iterator_traitsISH_E10value_typeET2_T3_PNSI_ISN_E10value_typeET4_jRbjT5_ST_jjP12ihipStream_tbEUlT_E1_NS1_11comp_targetILNS1_3genE8ELNS1_11target_archE1030ELNS1_3gpuE2ELNS1_3repE0EEENS1_59segmented_radix_sort_warp_sort_small_config_static_selectorELNS0_4arch9wavefront6targetE0EEEvSH_.uses_vcc, 0
	.set _ZN7rocprim17ROCPRIM_400000_NS6detail17trampoline_kernelINS0_14default_configENS1_36segmented_radix_sort_config_selectorIllEEZNS1_25segmented_radix_sort_implIS3_Lb0EPKlPlS8_S9_N2at6native12_GLOBAL__N_18offset_tEEE10hipError_tPvRmT1_PNSt15iterator_traitsISH_E10value_typeET2_T3_PNSI_ISN_E10value_typeET4_jRbjT5_ST_jjP12ihipStream_tbEUlT_E1_NS1_11comp_targetILNS1_3genE8ELNS1_11target_archE1030ELNS1_3gpuE2ELNS1_3repE0EEENS1_59segmented_radix_sort_warp_sort_small_config_static_selectorELNS0_4arch9wavefront6targetE0EEEvSH_.uses_flat_scratch, 0
	.set _ZN7rocprim17ROCPRIM_400000_NS6detail17trampoline_kernelINS0_14default_configENS1_36segmented_radix_sort_config_selectorIllEEZNS1_25segmented_radix_sort_implIS3_Lb0EPKlPlS8_S9_N2at6native12_GLOBAL__N_18offset_tEEE10hipError_tPvRmT1_PNSt15iterator_traitsISH_E10value_typeET2_T3_PNSI_ISN_E10value_typeET4_jRbjT5_ST_jjP12ihipStream_tbEUlT_E1_NS1_11comp_targetILNS1_3genE8ELNS1_11target_archE1030ELNS1_3gpuE2ELNS1_3repE0EEENS1_59segmented_radix_sort_warp_sort_small_config_static_selectorELNS0_4arch9wavefront6targetE0EEEvSH_.has_dyn_sized_stack, 0
	.set _ZN7rocprim17ROCPRIM_400000_NS6detail17trampoline_kernelINS0_14default_configENS1_36segmented_radix_sort_config_selectorIllEEZNS1_25segmented_radix_sort_implIS3_Lb0EPKlPlS8_S9_N2at6native12_GLOBAL__N_18offset_tEEE10hipError_tPvRmT1_PNSt15iterator_traitsISH_E10value_typeET2_T3_PNSI_ISN_E10value_typeET4_jRbjT5_ST_jjP12ihipStream_tbEUlT_E1_NS1_11comp_targetILNS1_3genE8ELNS1_11target_archE1030ELNS1_3gpuE2ELNS1_3repE0EEENS1_59segmented_radix_sort_warp_sort_small_config_static_selectorELNS0_4arch9wavefront6targetE0EEEvSH_.has_recursion, 0
	.set _ZN7rocprim17ROCPRIM_400000_NS6detail17trampoline_kernelINS0_14default_configENS1_36segmented_radix_sort_config_selectorIllEEZNS1_25segmented_radix_sort_implIS3_Lb0EPKlPlS8_S9_N2at6native12_GLOBAL__N_18offset_tEEE10hipError_tPvRmT1_PNSt15iterator_traitsISH_E10value_typeET2_T3_PNSI_ISN_E10value_typeET4_jRbjT5_ST_jjP12ihipStream_tbEUlT_E1_NS1_11comp_targetILNS1_3genE8ELNS1_11target_archE1030ELNS1_3gpuE2ELNS1_3repE0EEENS1_59segmented_radix_sort_warp_sort_small_config_static_selectorELNS0_4arch9wavefront6targetE0EEEvSH_.has_indirect_call, 0
	.section	.AMDGPU.csdata,"",@progbits
; Kernel info:
; codeLenInByte = 0
; TotalNumSgprs: 0
; NumVgprs: 0
; ScratchSize: 0
; MemoryBound: 0
; FloatMode: 240
; IeeeMode: 1
; LDSByteSize: 0 bytes/workgroup (compile time only)
; SGPRBlocks: 0
; VGPRBlocks: 0
; NumSGPRsForWavesPerEU: 1
; NumVGPRsForWavesPerEU: 1
; Occupancy: 16
; WaveLimiterHint : 0
; COMPUTE_PGM_RSRC2:SCRATCH_EN: 0
; COMPUTE_PGM_RSRC2:USER_SGPR: 2
; COMPUTE_PGM_RSRC2:TRAP_HANDLER: 0
; COMPUTE_PGM_RSRC2:TGID_X_EN: 1
; COMPUTE_PGM_RSRC2:TGID_Y_EN: 0
; COMPUTE_PGM_RSRC2:TGID_Z_EN: 0
; COMPUTE_PGM_RSRC2:TIDIG_COMP_CNT: 0
	.section	.text._ZN7rocprim17ROCPRIM_400000_NS6detail17trampoline_kernelINS0_14default_configENS1_36segmented_radix_sort_config_selectorIllEEZNS1_25segmented_radix_sort_implIS3_Lb0EPKlPlS8_S9_N2at6native12_GLOBAL__N_18offset_tEEE10hipError_tPvRmT1_PNSt15iterator_traitsISH_E10value_typeET2_T3_PNSI_ISN_E10value_typeET4_jRbjT5_ST_jjP12ihipStream_tbEUlT_E2_NS1_11comp_targetILNS1_3genE0ELNS1_11target_archE4294967295ELNS1_3gpuE0ELNS1_3repE0EEENS1_30default_config_static_selectorELNS0_4arch9wavefront6targetE0EEEvSH_,"axG",@progbits,_ZN7rocprim17ROCPRIM_400000_NS6detail17trampoline_kernelINS0_14default_configENS1_36segmented_radix_sort_config_selectorIllEEZNS1_25segmented_radix_sort_implIS3_Lb0EPKlPlS8_S9_N2at6native12_GLOBAL__N_18offset_tEEE10hipError_tPvRmT1_PNSt15iterator_traitsISH_E10value_typeET2_T3_PNSI_ISN_E10value_typeET4_jRbjT5_ST_jjP12ihipStream_tbEUlT_E2_NS1_11comp_targetILNS1_3genE0ELNS1_11target_archE4294967295ELNS1_3gpuE0ELNS1_3repE0EEENS1_30default_config_static_selectorELNS0_4arch9wavefront6targetE0EEEvSH_,comdat
	.globl	_ZN7rocprim17ROCPRIM_400000_NS6detail17trampoline_kernelINS0_14default_configENS1_36segmented_radix_sort_config_selectorIllEEZNS1_25segmented_radix_sort_implIS3_Lb0EPKlPlS8_S9_N2at6native12_GLOBAL__N_18offset_tEEE10hipError_tPvRmT1_PNSt15iterator_traitsISH_E10value_typeET2_T3_PNSI_ISN_E10value_typeET4_jRbjT5_ST_jjP12ihipStream_tbEUlT_E2_NS1_11comp_targetILNS1_3genE0ELNS1_11target_archE4294967295ELNS1_3gpuE0ELNS1_3repE0EEENS1_30default_config_static_selectorELNS0_4arch9wavefront6targetE0EEEvSH_ ; -- Begin function _ZN7rocprim17ROCPRIM_400000_NS6detail17trampoline_kernelINS0_14default_configENS1_36segmented_radix_sort_config_selectorIllEEZNS1_25segmented_radix_sort_implIS3_Lb0EPKlPlS8_S9_N2at6native12_GLOBAL__N_18offset_tEEE10hipError_tPvRmT1_PNSt15iterator_traitsISH_E10value_typeET2_T3_PNSI_ISN_E10value_typeET4_jRbjT5_ST_jjP12ihipStream_tbEUlT_E2_NS1_11comp_targetILNS1_3genE0ELNS1_11target_archE4294967295ELNS1_3gpuE0ELNS1_3repE0EEENS1_30default_config_static_selectorELNS0_4arch9wavefront6targetE0EEEvSH_
	.p2align	8
	.type	_ZN7rocprim17ROCPRIM_400000_NS6detail17trampoline_kernelINS0_14default_configENS1_36segmented_radix_sort_config_selectorIllEEZNS1_25segmented_radix_sort_implIS3_Lb0EPKlPlS8_S9_N2at6native12_GLOBAL__N_18offset_tEEE10hipError_tPvRmT1_PNSt15iterator_traitsISH_E10value_typeET2_T3_PNSI_ISN_E10value_typeET4_jRbjT5_ST_jjP12ihipStream_tbEUlT_E2_NS1_11comp_targetILNS1_3genE0ELNS1_11target_archE4294967295ELNS1_3gpuE0ELNS1_3repE0EEENS1_30default_config_static_selectorELNS0_4arch9wavefront6targetE0EEEvSH_,@function
_ZN7rocprim17ROCPRIM_400000_NS6detail17trampoline_kernelINS0_14default_configENS1_36segmented_radix_sort_config_selectorIllEEZNS1_25segmented_radix_sort_implIS3_Lb0EPKlPlS8_S9_N2at6native12_GLOBAL__N_18offset_tEEE10hipError_tPvRmT1_PNSt15iterator_traitsISH_E10value_typeET2_T3_PNSI_ISN_E10value_typeET4_jRbjT5_ST_jjP12ihipStream_tbEUlT_E2_NS1_11comp_targetILNS1_3genE0ELNS1_11target_archE4294967295ELNS1_3gpuE0ELNS1_3repE0EEENS1_30default_config_static_selectorELNS0_4arch9wavefront6targetE0EEEvSH_: ; @_ZN7rocprim17ROCPRIM_400000_NS6detail17trampoline_kernelINS0_14default_configENS1_36segmented_radix_sort_config_selectorIllEEZNS1_25segmented_radix_sort_implIS3_Lb0EPKlPlS8_S9_N2at6native12_GLOBAL__N_18offset_tEEE10hipError_tPvRmT1_PNSt15iterator_traitsISH_E10value_typeET2_T3_PNSI_ISN_E10value_typeET4_jRbjT5_ST_jjP12ihipStream_tbEUlT_E2_NS1_11comp_targetILNS1_3genE0ELNS1_11target_archE4294967295ELNS1_3gpuE0ELNS1_3repE0EEENS1_30default_config_static_selectorELNS0_4arch9wavefront6targetE0EEEvSH_
; %bb.0:
	.section	.rodata,"a",@progbits
	.p2align	6, 0x0
	.amdhsa_kernel _ZN7rocprim17ROCPRIM_400000_NS6detail17trampoline_kernelINS0_14default_configENS1_36segmented_radix_sort_config_selectorIllEEZNS1_25segmented_radix_sort_implIS3_Lb0EPKlPlS8_S9_N2at6native12_GLOBAL__N_18offset_tEEE10hipError_tPvRmT1_PNSt15iterator_traitsISH_E10value_typeET2_T3_PNSI_ISN_E10value_typeET4_jRbjT5_ST_jjP12ihipStream_tbEUlT_E2_NS1_11comp_targetILNS1_3genE0ELNS1_11target_archE4294967295ELNS1_3gpuE0ELNS1_3repE0EEENS1_30default_config_static_selectorELNS0_4arch9wavefront6targetE0EEEvSH_
		.amdhsa_group_segment_fixed_size 0
		.amdhsa_private_segment_fixed_size 0
		.amdhsa_kernarg_size 80
		.amdhsa_user_sgpr_count 2
		.amdhsa_user_sgpr_dispatch_ptr 0
		.amdhsa_user_sgpr_queue_ptr 0
		.amdhsa_user_sgpr_kernarg_segment_ptr 1
		.amdhsa_user_sgpr_dispatch_id 0
		.amdhsa_user_sgpr_private_segment_size 0
		.amdhsa_wavefront_size32 1
		.amdhsa_uses_dynamic_stack 0
		.amdhsa_enable_private_segment 0
		.amdhsa_system_sgpr_workgroup_id_x 1
		.amdhsa_system_sgpr_workgroup_id_y 0
		.amdhsa_system_sgpr_workgroup_id_z 0
		.amdhsa_system_sgpr_workgroup_info 0
		.amdhsa_system_vgpr_workitem_id 0
		.amdhsa_next_free_vgpr 1
		.amdhsa_next_free_sgpr 1
		.amdhsa_reserve_vcc 0
		.amdhsa_float_round_mode_32 0
		.amdhsa_float_round_mode_16_64 0
		.amdhsa_float_denorm_mode_32 3
		.amdhsa_float_denorm_mode_16_64 3
		.amdhsa_fp16_overflow 0
		.amdhsa_workgroup_processor_mode 1
		.amdhsa_memory_ordered 1
		.amdhsa_forward_progress 1
		.amdhsa_inst_pref_size 0
		.amdhsa_round_robin_scheduling 0
		.amdhsa_exception_fp_ieee_invalid_op 0
		.amdhsa_exception_fp_denorm_src 0
		.amdhsa_exception_fp_ieee_div_zero 0
		.amdhsa_exception_fp_ieee_overflow 0
		.amdhsa_exception_fp_ieee_underflow 0
		.amdhsa_exception_fp_ieee_inexact 0
		.amdhsa_exception_int_div_zero 0
	.end_amdhsa_kernel
	.section	.text._ZN7rocprim17ROCPRIM_400000_NS6detail17trampoline_kernelINS0_14default_configENS1_36segmented_radix_sort_config_selectorIllEEZNS1_25segmented_radix_sort_implIS3_Lb0EPKlPlS8_S9_N2at6native12_GLOBAL__N_18offset_tEEE10hipError_tPvRmT1_PNSt15iterator_traitsISH_E10value_typeET2_T3_PNSI_ISN_E10value_typeET4_jRbjT5_ST_jjP12ihipStream_tbEUlT_E2_NS1_11comp_targetILNS1_3genE0ELNS1_11target_archE4294967295ELNS1_3gpuE0ELNS1_3repE0EEENS1_30default_config_static_selectorELNS0_4arch9wavefront6targetE0EEEvSH_,"axG",@progbits,_ZN7rocprim17ROCPRIM_400000_NS6detail17trampoline_kernelINS0_14default_configENS1_36segmented_radix_sort_config_selectorIllEEZNS1_25segmented_radix_sort_implIS3_Lb0EPKlPlS8_S9_N2at6native12_GLOBAL__N_18offset_tEEE10hipError_tPvRmT1_PNSt15iterator_traitsISH_E10value_typeET2_T3_PNSI_ISN_E10value_typeET4_jRbjT5_ST_jjP12ihipStream_tbEUlT_E2_NS1_11comp_targetILNS1_3genE0ELNS1_11target_archE4294967295ELNS1_3gpuE0ELNS1_3repE0EEENS1_30default_config_static_selectorELNS0_4arch9wavefront6targetE0EEEvSH_,comdat
.Lfunc_end837:
	.size	_ZN7rocprim17ROCPRIM_400000_NS6detail17trampoline_kernelINS0_14default_configENS1_36segmented_radix_sort_config_selectorIllEEZNS1_25segmented_radix_sort_implIS3_Lb0EPKlPlS8_S9_N2at6native12_GLOBAL__N_18offset_tEEE10hipError_tPvRmT1_PNSt15iterator_traitsISH_E10value_typeET2_T3_PNSI_ISN_E10value_typeET4_jRbjT5_ST_jjP12ihipStream_tbEUlT_E2_NS1_11comp_targetILNS1_3genE0ELNS1_11target_archE4294967295ELNS1_3gpuE0ELNS1_3repE0EEENS1_30default_config_static_selectorELNS0_4arch9wavefront6targetE0EEEvSH_, .Lfunc_end837-_ZN7rocprim17ROCPRIM_400000_NS6detail17trampoline_kernelINS0_14default_configENS1_36segmented_radix_sort_config_selectorIllEEZNS1_25segmented_radix_sort_implIS3_Lb0EPKlPlS8_S9_N2at6native12_GLOBAL__N_18offset_tEEE10hipError_tPvRmT1_PNSt15iterator_traitsISH_E10value_typeET2_T3_PNSI_ISN_E10value_typeET4_jRbjT5_ST_jjP12ihipStream_tbEUlT_E2_NS1_11comp_targetILNS1_3genE0ELNS1_11target_archE4294967295ELNS1_3gpuE0ELNS1_3repE0EEENS1_30default_config_static_selectorELNS0_4arch9wavefront6targetE0EEEvSH_
                                        ; -- End function
	.set _ZN7rocprim17ROCPRIM_400000_NS6detail17trampoline_kernelINS0_14default_configENS1_36segmented_radix_sort_config_selectorIllEEZNS1_25segmented_radix_sort_implIS3_Lb0EPKlPlS8_S9_N2at6native12_GLOBAL__N_18offset_tEEE10hipError_tPvRmT1_PNSt15iterator_traitsISH_E10value_typeET2_T3_PNSI_ISN_E10value_typeET4_jRbjT5_ST_jjP12ihipStream_tbEUlT_E2_NS1_11comp_targetILNS1_3genE0ELNS1_11target_archE4294967295ELNS1_3gpuE0ELNS1_3repE0EEENS1_30default_config_static_selectorELNS0_4arch9wavefront6targetE0EEEvSH_.num_vgpr, 0
	.set _ZN7rocprim17ROCPRIM_400000_NS6detail17trampoline_kernelINS0_14default_configENS1_36segmented_radix_sort_config_selectorIllEEZNS1_25segmented_radix_sort_implIS3_Lb0EPKlPlS8_S9_N2at6native12_GLOBAL__N_18offset_tEEE10hipError_tPvRmT1_PNSt15iterator_traitsISH_E10value_typeET2_T3_PNSI_ISN_E10value_typeET4_jRbjT5_ST_jjP12ihipStream_tbEUlT_E2_NS1_11comp_targetILNS1_3genE0ELNS1_11target_archE4294967295ELNS1_3gpuE0ELNS1_3repE0EEENS1_30default_config_static_selectorELNS0_4arch9wavefront6targetE0EEEvSH_.num_agpr, 0
	.set _ZN7rocprim17ROCPRIM_400000_NS6detail17trampoline_kernelINS0_14default_configENS1_36segmented_radix_sort_config_selectorIllEEZNS1_25segmented_radix_sort_implIS3_Lb0EPKlPlS8_S9_N2at6native12_GLOBAL__N_18offset_tEEE10hipError_tPvRmT1_PNSt15iterator_traitsISH_E10value_typeET2_T3_PNSI_ISN_E10value_typeET4_jRbjT5_ST_jjP12ihipStream_tbEUlT_E2_NS1_11comp_targetILNS1_3genE0ELNS1_11target_archE4294967295ELNS1_3gpuE0ELNS1_3repE0EEENS1_30default_config_static_selectorELNS0_4arch9wavefront6targetE0EEEvSH_.numbered_sgpr, 0
	.set _ZN7rocprim17ROCPRIM_400000_NS6detail17trampoline_kernelINS0_14default_configENS1_36segmented_radix_sort_config_selectorIllEEZNS1_25segmented_radix_sort_implIS3_Lb0EPKlPlS8_S9_N2at6native12_GLOBAL__N_18offset_tEEE10hipError_tPvRmT1_PNSt15iterator_traitsISH_E10value_typeET2_T3_PNSI_ISN_E10value_typeET4_jRbjT5_ST_jjP12ihipStream_tbEUlT_E2_NS1_11comp_targetILNS1_3genE0ELNS1_11target_archE4294967295ELNS1_3gpuE0ELNS1_3repE0EEENS1_30default_config_static_selectorELNS0_4arch9wavefront6targetE0EEEvSH_.num_named_barrier, 0
	.set _ZN7rocprim17ROCPRIM_400000_NS6detail17trampoline_kernelINS0_14default_configENS1_36segmented_radix_sort_config_selectorIllEEZNS1_25segmented_radix_sort_implIS3_Lb0EPKlPlS8_S9_N2at6native12_GLOBAL__N_18offset_tEEE10hipError_tPvRmT1_PNSt15iterator_traitsISH_E10value_typeET2_T3_PNSI_ISN_E10value_typeET4_jRbjT5_ST_jjP12ihipStream_tbEUlT_E2_NS1_11comp_targetILNS1_3genE0ELNS1_11target_archE4294967295ELNS1_3gpuE0ELNS1_3repE0EEENS1_30default_config_static_selectorELNS0_4arch9wavefront6targetE0EEEvSH_.private_seg_size, 0
	.set _ZN7rocprim17ROCPRIM_400000_NS6detail17trampoline_kernelINS0_14default_configENS1_36segmented_radix_sort_config_selectorIllEEZNS1_25segmented_radix_sort_implIS3_Lb0EPKlPlS8_S9_N2at6native12_GLOBAL__N_18offset_tEEE10hipError_tPvRmT1_PNSt15iterator_traitsISH_E10value_typeET2_T3_PNSI_ISN_E10value_typeET4_jRbjT5_ST_jjP12ihipStream_tbEUlT_E2_NS1_11comp_targetILNS1_3genE0ELNS1_11target_archE4294967295ELNS1_3gpuE0ELNS1_3repE0EEENS1_30default_config_static_selectorELNS0_4arch9wavefront6targetE0EEEvSH_.uses_vcc, 0
	.set _ZN7rocprim17ROCPRIM_400000_NS6detail17trampoline_kernelINS0_14default_configENS1_36segmented_radix_sort_config_selectorIllEEZNS1_25segmented_radix_sort_implIS3_Lb0EPKlPlS8_S9_N2at6native12_GLOBAL__N_18offset_tEEE10hipError_tPvRmT1_PNSt15iterator_traitsISH_E10value_typeET2_T3_PNSI_ISN_E10value_typeET4_jRbjT5_ST_jjP12ihipStream_tbEUlT_E2_NS1_11comp_targetILNS1_3genE0ELNS1_11target_archE4294967295ELNS1_3gpuE0ELNS1_3repE0EEENS1_30default_config_static_selectorELNS0_4arch9wavefront6targetE0EEEvSH_.uses_flat_scratch, 0
	.set _ZN7rocprim17ROCPRIM_400000_NS6detail17trampoline_kernelINS0_14default_configENS1_36segmented_radix_sort_config_selectorIllEEZNS1_25segmented_radix_sort_implIS3_Lb0EPKlPlS8_S9_N2at6native12_GLOBAL__N_18offset_tEEE10hipError_tPvRmT1_PNSt15iterator_traitsISH_E10value_typeET2_T3_PNSI_ISN_E10value_typeET4_jRbjT5_ST_jjP12ihipStream_tbEUlT_E2_NS1_11comp_targetILNS1_3genE0ELNS1_11target_archE4294967295ELNS1_3gpuE0ELNS1_3repE0EEENS1_30default_config_static_selectorELNS0_4arch9wavefront6targetE0EEEvSH_.has_dyn_sized_stack, 0
	.set _ZN7rocprim17ROCPRIM_400000_NS6detail17trampoline_kernelINS0_14default_configENS1_36segmented_radix_sort_config_selectorIllEEZNS1_25segmented_radix_sort_implIS3_Lb0EPKlPlS8_S9_N2at6native12_GLOBAL__N_18offset_tEEE10hipError_tPvRmT1_PNSt15iterator_traitsISH_E10value_typeET2_T3_PNSI_ISN_E10value_typeET4_jRbjT5_ST_jjP12ihipStream_tbEUlT_E2_NS1_11comp_targetILNS1_3genE0ELNS1_11target_archE4294967295ELNS1_3gpuE0ELNS1_3repE0EEENS1_30default_config_static_selectorELNS0_4arch9wavefront6targetE0EEEvSH_.has_recursion, 0
	.set _ZN7rocprim17ROCPRIM_400000_NS6detail17trampoline_kernelINS0_14default_configENS1_36segmented_radix_sort_config_selectorIllEEZNS1_25segmented_radix_sort_implIS3_Lb0EPKlPlS8_S9_N2at6native12_GLOBAL__N_18offset_tEEE10hipError_tPvRmT1_PNSt15iterator_traitsISH_E10value_typeET2_T3_PNSI_ISN_E10value_typeET4_jRbjT5_ST_jjP12ihipStream_tbEUlT_E2_NS1_11comp_targetILNS1_3genE0ELNS1_11target_archE4294967295ELNS1_3gpuE0ELNS1_3repE0EEENS1_30default_config_static_selectorELNS0_4arch9wavefront6targetE0EEEvSH_.has_indirect_call, 0
	.section	.AMDGPU.csdata,"",@progbits
; Kernel info:
; codeLenInByte = 0
; TotalNumSgprs: 0
; NumVgprs: 0
; ScratchSize: 0
; MemoryBound: 0
; FloatMode: 240
; IeeeMode: 1
; LDSByteSize: 0 bytes/workgroup (compile time only)
; SGPRBlocks: 0
; VGPRBlocks: 0
; NumSGPRsForWavesPerEU: 1
; NumVGPRsForWavesPerEU: 1
; Occupancy: 16
; WaveLimiterHint : 0
; COMPUTE_PGM_RSRC2:SCRATCH_EN: 0
; COMPUTE_PGM_RSRC2:USER_SGPR: 2
; COMPUTE_PGM_RSRC2:TRAP_HANDLER: 0
; COMPUTE_PGM_RSRC2:TGID_X_EN: 1
; COMPUTE_PGM_RSRC2:TGID_Y_EN: 0
; COMPUTE_PGM_RSRC2:TGID_Z_EN: 0
; COMPUTE_PGM_RSRC2:TIDIG_COMP_CNT: 0
	.section	.text._ZN7rocprim17ROCPRIM_400000_NS6detail17trampoline_kernelINS0_14default_configENS1_36segmented_radix_sort_config_selectorIllEEZNS1_25segmented_radix_sort_implIS3_Lb0EPKlPlS8_S9_N2at6native12_GLOBAL__N_18offset_tEEE10hipError_tPvRmT1_PNSt15iterator_traitsISH_E10value_typeET2_T3_PNSI_ISN_E10value_typeET4_jRbjT5_ST_jjP12ihipStream_tbEUlT_E2_NS1_11comp_targetILNS1_3genE5ELNS1_11target_archE942ELNS1_3gpuE9ELNS1_3repE0EEENS1_30default_config_static_selectorELNS0_4arch9wavefront6targetE0EEEvSH_,"axG",@progbits,_ZN7rocprim17ROCPRIM_400000_NS6detail17trampoline_kernelINS0_14default_configENS1_36segmented_radix_sort_config_selectorIllEEZNS1_25segmented_radix_sort_implIS3_Lb0EPKlPlS8_S9_N2at6native12_GLOBAL__N_18offset_tEEE10hipError_tPvRmT1_PNSt15iterator_traitsISH_E10value_typeET2_T3_PNSI_ISN_E10value_typeET4_jRbjT5_ST_jjP12ihipStream_tbEUlT_E2_NS1_11comp_targetILNS1_3genE5ELNS1_11target_archE942ELNS1_3gpuE9ELNS1_3repE0EEENS1_30default_config_static_selectorELNS0_4arch9wavefront6targetE0EEEvSH_,comdat
	.globl	_ZN7rocprim17ROCPRIM_400000_NS6detail17trampoline_kernelINS0_14default_configENS1_36segmented_radix_sort_config_selectorIllEEZNS1_25segmented_radix_sort_implIS3_Lb0EPKlPlS8_S9_N2at6native12_GLOBAL__N_18offset_tEEE10hipError_tPvRmT1_PNSt15iterator_traitsISH_E10value_typeET2_T3_PNSI_ISN_E10value_typeET4_jRbjT5_ST_jjP12ihipStream_tbEUlT_E2_NS1_11comp_targetILNS1_3genE5ELNS1_11target_archE942ELNS1_3gpuE9ELNS1_3repE0EEENS1_30default_config_static_selectorELNS0_4arch9wavefront6targetE0EEEvSH_ ; -- Begin function _ZN7rocprim17ROCPRIM_400000_NS6detail17trampoline_kernelINS0_14default_configENS1_36segmented_radix_sort_config_selectorIllEEZNS1_25segmented_radix_sort_implIS3_Lb0EPKlPlS8_S9_N2at6native12_GLOBAL__N_18offset_tEEE10hipError_tPvRmT1_PNSt15iterator_traitsISH_E10value_typeET2_T3_PNSI_ISN_E10value_typeET4_jRbjT5_ST_jjP12ihipStream_tbEUlT_E2_NS1_11comp_targetILNS1_3genE5ELNS1_11target_archE942ELNS1_3gpuE9ELNS1_3repE0EEENS1_30default_config_static_selectorELNS0_4arch9wavefront6targetE0EEEvSH_
	.p2align	8
	.type	_ZN7rocprim17ROCPRIM_400000_NS6detail17trampoline_kernelINS0_14default_configENS1_36segmented_radix_sort_config_selectorIllEEZNS1_25segmented_radix_sort_implIS3_Lb0EPKlPlS8_S9_N2at6native12_GLOBAL__N_18offset_tEEE10hipError_tPvRmT1_PNSt15iterator_traitsISH_E10value_typeET2_T3_PNSI_ISN_E10value_typeET4_jRbjT5_ST_jjP12ihipStream_tbEUlT_E2_NS1_11comp_targetILNS1_3genE5ELNS1_11target_archE942ELNS1_3gpuE9ELNS1_3repE0EEENS1_30default_config_static_selectorELNS0_4arch9wavefront6targetE0EEEvSH_,@function
_ZN7rocprim17ROCPRIM_400000_NS6detail17trampoline_kernelINS0_14default_configENS1_36segmented_radix_sort_config_selectorIllEEZNS1_25segmented_radix_sort_implIS3_Lb0EPKlPlS8_S9_N2at6native12_GLOBAL__N_18offset_tEEE10hipError_tPvRmT1_PNSt15iterator_traitsISH_E10value_typeET2_T3_PNSI_ISN_E10value_typeET4_jRbjT5_ST_jjP12ihipStream_tbEUlT_E2_NS1_11comp_targetILNS1_3genE5ELNS1_11target_archE942ELNS1_3gpuE9ELNS1_3repE0EEENS1_30default_config_static_selectorELNS0_4arch9wavefront6targetE0EEEvSH_: ; @_ZN7rocprim17ROCPRIM_400000_NS6detail17trampoline_kernelINS0_14default_configENS1_36segmented_radix_sort_config_selectorIllEEZNS1_25segmented_radix_sort_implIS3_Lb0EPKlPlS8_S9_N2at6native12_GLOBAL__N_18offset_tEEE10hipError_tPvRmT1_PNSt15iterator_traitsISH_E10value_typeET2_T3_PNSI_ISN_E10value_typeET4_jRbjT5_ST_jjP12ihipStream_tbEUlT_E2_NS1_11comp_targetILNS1_3genE5ELNS1_11target_archE942ELNS1_3gpuE9ELNS1_3repE0EEENS1_30default_config_static_selectorELNS0_4arch9wavefront6targetE0EEEvSH_
; %bb.0:
	.section	.rodata,"a",@progbits
	.p2align	6, 0x0
	.amdhsa_kernel _ZN7rocprim17ROCPRIM_400000_NS6detail17trampoline_kernelINS0_14default_configENS1_36segmented_radix_sort_config_selectorIllEEZNS1_25segmented_radix_sort_implIS3_Lb0EPKlPlS8_S9_N2at6native12_GLOBAL__N_18offset_tEEE10hipError_tPvRmT1_PNSt15iterator_traitsISH_E10value_typeET2_T3_PNSI_ISN_E10value_typeET4_jRbjT5_ST_jjP12ihipStream_tbEUlT_E2_NS1_11comp_targetILNS1_3genE5ELNS1_11target_archE942ELNS1_3gpuE9ELNS1_3repE0EEENS1_30default_config_static_selectorELNS0_4arch9wavefront6targetE0EEEvSH_
		.amdhsa_group_segment_fixed_size 0
		.amdhsa_private_segment_fixed_size 0
		.amdhsa_kernarg_size 80
		.amdhsa_user_sgpr_count 2
		.amdhsa_user_sgpr_dispatch_ptr 0
		.amdhsa_user_sgpr_queue_ptr 0
		.amdhsa_user_sgpr_kernarg_segment_ptr 1
		.amdhsa_user_sgpr_dispatch_id 0
		.amdhsa_user_sgpr_private_segment_size 0
		.amdhsa_wavefront_size32 1
		.amdhsa_uses_dynamic_stack 0
		.amdhsa_enable_private_segment 0
		.amdhsa_system_sgpr_workgroup_id_x 1
		.amdhsa_system_sgpr_workgroup_id_y 0
		.amdhsa_system_sgpr_workgroup_id_z 0
		.amdhsa_system_sgpr_workgroup_info 0
		.amdhsa_system_vgpr_workitem_id 0
		.amdhsa_next_free_vgpr 1
		.amdhsa_next_free_sgpr 1
		.amdhsa_reserve_vcc 0
		.amdhsa_float_round_mode_32 0
		.amdhsa_float_round_mode_16_64 0
		.amdhsa_float_denorm_mode_32 3
		.amdhsa_float_denorm_mode_16_64 3
		.amdhsa_fp16_overflow 0
		.amdhsa_workgroup_processor_mode 1
		.amdhsa_memory_ordered 1
		.amdhsa_forward_progress 1
		.amdhsa_inst_pref_size 0
		.amdhsa_round_robin_scheduling 0
		.amdhsa_exception_fp_ieee_invalid_op 0
		.amdhsa_exception_fp_denorm_src 0
		.amdhsa_exception_fp_ieee_div_zero 0
		.amdhsa_exception_fp_ieee_overflow 0
		.amdhsa_exception_fp_ieee_underflow 0
		.amdhsa_exception_fp_ieee_inexact 0
		.amdhsa_exception_int_div_zero 0
	.end_amdhsa_kernel
	.section	.text._ZN7rocprim17ROCPRIM_400000_NS6detail17trampoline_kernelINS0_14default_configENS1_36segmented_radix_sort_config_selectorIllEEZNS1_25segmented_radix_sort_implIS3_Lb0EPKlPlS8_S9_N2at6native12_GLOBAL__N_18offset_tEEE10hipError_tPvRmT1_PNSt15iterator_traitsISH_E10value_typeET2_T3_PNSI_ISN_E10value_typeET4_jRbjT5_ST_jjP12ihipStream_tbEUlT_E2_NS1_11comp_targetILNS1_3genE5ELNS1_11target_archE942ELNS1_3gpuE9ELNS1_3repE0EEENS1_30default_config_static_selectorELNS0_4arch9wavefront6targetE0EEEvSH_,"axG",@progbits,_ZN7rocprim17ROCPRIM_400000_NS6detail17trampoline_kernelINS0_14default_configENS1_36segmented_radix_sort_config_selectorIllEEZNS1_25segmented_radix_sort_implIS3_Lb0EPKlPlS8_S9_N2at6native12_GLOBAL__N_18offset_tEEE10hipError_tPvRmT1_PNSt15iterator_traitsISH_E10value_typeET2_T3_PNSI_ISN_E10value_typeET4_jRbjT5_ST_jjP12ihipStream_tbEUlT_E2_NS1_11comp_targetILNS1_3genE5ELNS1_11target_archE942ELNS1_3gpuE9ELNS1_3repE0EEENS1_30default_config_static_selectorELNS0_4arch9wavefront6targetE0EEEvSH_,comdat
.Lfunc_end838:
	.size	_ZN7rocprim17ROCPRIM_400000_NS6detail17trampoline_kernelINS0_14default_configENS1_36segmented_radix_sort_config_selectorIllEEZNS1_25segmented_radix_sort_implIS3_Lb0EPKlPlS8_S9_N2at6native12_GLOBAL__N_18offset_tEEE10hipError_tPvRmT1_PNSt15iterator_traitsISH_E10value_typeET2_T3_PNSI_ISN_E10value_typeET4_jRbjT5_ST_jjP12ihipStream_tbEUlT_E2_NS1_11comp_targetILNS1_3genE5ELNS1_11target_archE942ELNS1_3gpuE9ELNS1_3repE0EEENS1_30default_config_static_selectorELNS0_4arch9wavefront6targetE0EEEvSH_, .Lfunc_end838-_ZN7rocprim17ROCPRIM_400000_NS6detail17trampoline_kernelINS0_14default_configENS1_36segmented_radix_sort_config_selectorIllEEZNS1_25segmented_radix_sort_implIS3_Lb0EPKlPlS8_S9_N2at6native12_GLOBAL__N_18offset_tEEE10hipError_tPvRmT1_PNSt15iterator_traitsISH_E10value_typeET2_T3_PNSI_ISN_E10value_typeET4_jRbjT5_ST_jjP12ihipStream_tbEUlT_E2_NS1_11comp_targetILNS1_3genE5ELNS1_11target_archE942ELNS1_3gpuE9ELNS1_3repE0EEENS1_30default_config_static_selectorELNS0_4arch9wavefront6targetE0EEEvSH_
                                        ; -- End function
	.set _ZN7rocprim17ROCPRIM_400000_NS6detail17trampoline_kernelINS0_14default_configENS1_36segmented_radix_sort_config_selectorIllEEZNS1_25segmented_radix_sort_implIS3_Lb0EPKlPlS8_S9_N2at6native12_GLOBAL__N_18offset_tEEE10hipError_tPvRmT1_PNSt15iterator_traitsISH_E10value_typeET2_T3_PNSI_ISN_E10value_typeET4_jRbjT5_ST_jjP12ihipStream_tbEUlT_E2_NS1_11comp_targetILNS1_3genE5ELNS1_11target_archE942ELNS1_3gpuE9ELNS1_3repE0EEENS1_30default_config_static_selectorELNS0_4arch9wavefront6targetE0EEEvSH_.num_vgpr, 0
	.set _ZN7rocprim17ROCPRIM_400000_NS6detail17trampoline_kernelINS0_14default_configENS1_36segmented_radix_sort_config_selectorIllEEZNS1_25segmented_radix_sort_implIS3_Lb0EPKlPlS8_S9_N2at6native12_GLOBAL__N_18offset_tEEE10hipError_tPvRmT1_PNSt15iterator_traitsISH_E10value_typeET2_T3_PNSI_ISN_E10value_typeET4_jRbjT5_ST_jjP12ihipStream_tbEUlT_E2_NS1_11comp_targetILNS1_3genE5ELNS1_11target_archE942ELNS1_3gpuE9ELNS1_3repE0EEENS1_30default_config_static_selectorELNS0_4arch9wavefront6targetE0EEEvSH_.num_agpr, 0
	.set _ZN7rocprim17ROCPRIM_400000_NS6detail17trampoline_kernelINS0_14default_configENS1_36segmented_radix_sort_config_selectorIllEEZNS1_25segmented_radix_sort_implIS3_Lb0EPKlPlS8_S9_N2at6native12_GLOBAL__N_18offset_tEEE10hipError_tPvRmT1_PNSt15iterator_traitsISH_E10value_typeET2_T3_PNSI_ISN_E10value_typeET4_jRbjT5_ST_jjP12ihipStream_tbEUlT_E2_NS1_11comp_targetILNS1_3genE5ELNS1_11target_archE942ELNS1_3gpuE9ELNS1_3repE0EEENS1_30default_config_static_selectorELNS0_4arch9wavefront6targetE0EEEvSH_.numbered_sgpr, 0
	.set _ZN7rocprim17ROCPRIM_400000_NS6detail17trampoline_kernelINS0_14default_configENS1_36segmented_radix_sort_config_selectorIllEEZNS1_25segmented_radix_sort_implIS3_Lb0EPKlPlS8_S9_N2at6native12_GLOBAL__N_18offset_tEEE10hipError_tPvRmT1_PNSt15iterator_traitsISH_E10value_typeET2_T3_PNSI_ISN_E10value_typeET4_jRbjT5_ST_jjP12ihipStream_tbEUlT_E2_NS1_11comp_targetILNS1_3genE5ELNS1_11target_archE942ELNS1_3gpuE9ELNS1_3repE0EEENS1_30default_config_static_selectorELNS0_4arch9wavefront6targetE0EEEvSH_.num_named_barrier, 0
	.set _ZN7rocprim17ROCPRIM_400000_NS6detail17trampoline_kernelINS0_14default_configENS1_36segmented_radix_sort_config_selectorIllEEZNS1_25segmented_radix_sort_implIS3_Lb0EPKlPlS8_S9_N2at6native12_GLOBAL__N_18offset_tEEE10hipError_tPvRmT1_PNSt15iterator_traitsISH_E10value_typeET2_T3_PNSI_ISN_E10value_typeET4_jRbjT5_ST_jjP12ihipStream_tbEUlT_E2_NS1_11comp_targetILNS1_3genE5ELNS1_11target_archE942ELNS1_3gpuE9ELNS1_3repE0EEENS1_30default_config_static_selectorELNS0_4arch9wavefront6targetE0EEEvSH_.private_seg_size, 0
	.set _ZN7rocprim17ROCPRIM_400000_NS6detail17trampoline_kernelINS0_14default_configENS1_36segmented_radix_sort_config_selectorIllEEZNS1_25segmented_radix_sort_implIS3_Lb0EPKlPlS8_S9_N2at6native12_GLOBAL__N_18offset_tEEE10hipError_tPvRmT1_PNSt15iterator_traitsISH_E10value_typeET2_T3_PNSI_ISN_E10value_typeET4_jRbjT5_ST_jjP12ihipStream_tbEUlT_E2_NS1_11comp_targetILNS1_3genE5ELNS1_11target_archE942ELNS1_3gpuE9ELNS1_3repE0EEENS1_30default_config_static_selectorELNS0_4arch9wavefront6targetE0EEEvSH_.uses_vcc, 0
	.set _ZN7rocprim17ROCPRIM_400000_NS6detail17trampoline_kernelINS0_14default_configENS1_36segmented_radix_sort_config_selectorIllEEZNS1_25segmented_radix_sort_implIS3_Lb0EPKlPlS8_S9_N2at6native12_GLOBAL__N_18offset_tEEE10hipError_tPvRmT1_PNSt15iterator_traitsISH_E10value_typeET2_T3_PNSI_ISN_E10value_typeET4_jRbjT5_ST_jjP12ihipStream_tbEUlT_E2_NS1_11comp_targetILNS1_3genE5ELNS1_11target_archE942ELNS1_3gpuE9ELNS1_3repE0EEENS1_30default_config_static_selectorELNS0_4arch9wavefront6targetE0EEEvSH_.uses_flat_scratch, 0
	.set _ZN7rocprim17ROCPRIM_400000_NS6detail17trampoline_kernelINS0_14default_configENS1_36segmented_radix_sort_config_selectorIllEEZNS1_25segmented_radix_sort_implIS3_Lb0EPKlPlS8_S9_N2at6native12_GLOBAL__N_18offset_tEEE10hipError_tPvRmT1_PNSt15iterator_traitsISH_E10value_typeET2_T3_PNSI_ISN_E10value_typeET4_jRbjT5_ST_jjP12ihipStream_tbEUlT_E2_NS1_11comp_targetILNS1_3genE5ELNS1_11target_archE942ELNS1_3gpuE9ELNS1_3repE0EEENS1_30default_config_static_selectorELNS0_4arch9wavefront6targetE0EEEvSH_.has_dyn_sized_stack, 0
	.set _ZN7rocprim17ROCPRIM_400000_NS6detail17trampoline_kernelINS0_14default_configENS1_36segmented_radix_sort_config_selectorIllEEZNS1_25segmented_radix_sort_implIS3_Lb0EPKlPlS8_S9_N2at6native12_GLOBAL__N_18offset_tEEE10hipError_tPvRmT1_PNSt15iterator_traitsISH_E10value_typeET2_T3_PNSI_ISN_E10value_typeET4_jRbjT5_ST_jjP12ihipStream_tbEUlT_E2_NS1_11comp_targetILNS1_3genE5ELNS1_11target_archE942ELNS1_3gpuE9ELNS1_3repE0EEENS1_30default_config_static_selectorELNS0_4arch9wavefront6targetE0EEEvSH_.has_recursion, 0
	.set _ZN7rocprim17ROCPRIM_400000_NS6detail17trampoline_kernelINS0_14default_configENS1_36segmented_radix_sort_config_selectorIllEEZNS1_25segmented_radix_sort_implIS3_Lb0EPKlPlS8_S9_N2at6native12_GLOBAL__N_18offset_tEEE10hipError_tPvRmT1_PNSt15iterator_traitsISH_E10value_typeET2_T3_PNSI_ISN_E10value_typeET4_jRbjT5_ST_jjP12ihipStream_tbEUlT_E2_NS1_11comp_targetILNS1_3genE5ELNS1_11target_archE942ELNS1_3gpuE9ELNS1_3repE0EEENS1_30default_config_static_selectorELNS0_4arch9wavefront6targetE0EEEvSH_.has_indirect_call, 0
	.section	.AMDGPU.csdata,"",@progbits
; Kernel info:
; codeLenInByte = 0
; TotalNumSgprs: 0
; NumVgprs: 0
; ScratchSize: 0
; MemoryBound: 0
; FloatMode: 240
; IeeeMode: 1
; LDSByteSize: 0 bytes/workgroup (compile time only)
; SGPRBlocks: 0
; VGPRBlocks: 0
; NumSGPRsForWavesPerEU: 1
; NumVGPRsForWavesPerEU: 1
; Occupancy: 16
; WaveLimiterHint : 0
; COMPUTE_PGM_RSRC2:SCRATCH_EN: 0
; COMPUTE_PGM_RSRC2:USER_SGPR: 2
; COMPUTE_PGM_RSRC2:TRAP_HANDLER: 0
; COMPUTE_PGM_RSRC2:TGID_X_EN: 1
; COMPUTE_PGM_RSRC2:TGID_Y_EN: 0
; COMPUTE_PGM_RSRC2:TGID_Z_EN: 0
; COMPUTE_PGM_RSRC2:TIDIG_COMP_CNT: 0
	.section	.text._ZN7rocprim17ROCPRIM_400000_NS6detail17trampoline_kernelINS0_14default_configENS1_36segmented_radix_sort_config_selectorIllEEZNS1_25segmented_radix_sort_implIS3_Lb0EPKlPlS8_S9_N2at6native12_GLOBAL__N_18offset_tEEE10hipError_tPvRmT1_PNSt15iterator_traitsISH_E10value_typeET2_T3_PNSI_ISN_E10value_typeET4_jRbjT5_ST_jjP12ihipStream_tbEUlT_E2_NS1_11comp_targetILNS1_3genE4ELNS1_11target_archE910ELNS1_3gpuE8ELNS1_3repE0EEENS1_30default_config_static_selectorELNS0_4arch9wavefront6targetE0EEEvSH_,"axG",@progbits,_ZN7rocprim17ROCPRIM_400000_NS6detail17trampoline_kernelINS0_14default_configENS1_36segmented_radix_sort_config_selectorIllEEZNS1_25segmented_radix_sort_implIS3_Lb0EPKlPlS8_S9_N2at6native12_GLOBAL__N_18offset_tEEE10hipError_tPvRmT1_PNSt15iterator_traitsISH_E10value_typeET2_T3_PNSI_ISN_E10value_typeET4_jRbjT5_ST_jjP12ihipStream_tbEUlT_E2_NS1_11comp_targetILNS1_3genE4ELNS1_11target_archE910ELNS1_3gpuE8ELNS1_3repE0EEENS1_30default_config_static_selectorELNS0_4arch9wavefront6targetE0EEEvSH_,comdat
	.globl	_ZN7rocprim17ROCPRIM_400000_NS6detail17trampoline_kernelINS0_14default_configENS1_36segmented_radix_sort_config_selectorIllEEZNS1_25segmented_radix_sort_implIS3_Lb0EPKlPlS8_S9_N2at6native12_GLOBAL__N_18offset_tEEE10hipError_tPvRmT1_PNSt15iterator_traitsISH_E10value_typeET2_T3_PNSI_ISN_E10value_typeET4_jRbjT5_ST_jjP12ihipStream_tbEUlT_E2_NS1_11comp_targetILNS1_3genE4ELNS1_11target_archE910ELNS1_3gpuE8ELNS1_3repE0EEENS1_30default_config_static_selectorELNS0_4arch9wavefront6targetE0EEEvSH_ ; -- Begin function _ZN7rocprim17ROCPRIM_400000_NS6detail17trampoline_kernelINS0_14default_configENS1_36segmented_radix_sort_config_selectorIllEEZNS1_25segmented_radix_sort_implIS3_Lb0EPKlPlS8_S9_N2at6native12_GLOBAL__N_18offset_tEEE10hipError_tPvRmT1_PNSt15iterator_traitsISH_E10value_typeET2_T3_PNSI_ISN_E10value_typeET4_jRbjT5_ST_jjP12ihipStream_tbEUlT_E2_NS1_11comp_targetILNS1_3genE4ELNS1_11target_archE910ELNS1_3gpuE8ELNS1_3repE0EEENS1_30default_config_static_selectorELNS0_4arch9wavefront6targetE0EEEvSH_
	.p2align	8
	.type	_ZN7rocprim17ROCPRIM_400000_NS6detail17trampoline_kernelINS0_14default_configENS1_36segmented_radix_sort_config_selectorIllEEZNS1_25segmented_radix_sort_implIS3_Lb0EPKlPlS8_S9_N2at6native12_GLOBAL__N_18offset_tEEE10hipError_tPvRmT1_PNSt15iterator_traitsISH_E10value_typeET2_T3_PNSI_ISN_E10value_typeET4_jRbjT5_ST_jjP12ihipStream_tbEUlT_E2_NS1_11comp_targetILNS1_3genE4ELNS1_11target_archE910ELNS1_3gpuE8ELNS1_3repE0EEENS1_30default_config_static_selectorELNS0_4arch9wavefront6targetE0EEEvSH_,@function
_ZN7rocprim17ROCPRIM_400000_NS6detail17trampoline_kernelINS0_14default_configENS1_36segmented_radix_sort_config_selectorIllEEZNS1_25segmented_radix_sort_implIS3_Lb0EPKlPlS8_S9_N2at6native12_GLOBAL__N_18offset_tEEE10hipError_tPvRmT1_PNSt15iterator_traitsISH_E10value_typeET2_T3_PNSI_ISN_E10value_typeET4_jRbjT5_ST_jjP12ihipStream_tbEUlT_E2_NS1_11comp_targetILNS1_3genE4ELNS1_11target_archE910ELNS1_3gpuE8ELNS1_3repE0EEENS1_30default_config_static_selectorELNS0_4arch9wavefront6targetE0EEEvSH_: ; @_ZN7rocprim17ROCPRIM_400000_NS6detail17trampoline_kernelINS0_14default_configENS1_36segmented_radix_sort_config_selectorIllEEZNS1_25segmented_radix_sort_implIS3_Lb0EPKlPlS8_S9_N2at6native12_GLOBAL__N_18offset_tEEE10hipError_tPvRmT1_PNSt15iterator_traitsISH_E10value_typeET2_T3_PNSI_ISN_E10value_typeET4_jRbjT5_ST_jjP12ihipStream_tbEUlT_E2_NS1_11comp_targetILNS1_3genE4ELNS1_11target_archE910ELNS1_3gpuE8ELNS1_3repE0EEENS1_30default_config_static_selectorELNS0_4arch9wavefront6targetE0EEEvSH_
; %bb.0:
	.section	.rodata,"a",@progbits
	.p2align	6, 0x0
	.amdhsa_kernel _ZN7rocprim17ROCPRIM_400000_NS6detail17trampoline_kernelINS0_14default_configENS1_36segmented_radix_sort_config_selectorIllEEZNS1_25segmented_radix_sort_implIS3_Lb0EPKlPlS8_S9_N2at6native12_GLOBAL__N_18offset_tEEE10hipError_tPvRmT1_PNSt15iterator_traitsISH_E10value_typeET2_T3_PNSI_ISN_E10value_typeET4_jRbjT5_ST_jjP12ihipStream_tbEUlT_E2_NS1_11comp_targetILNS1_3genE4ELNS1_11target_archE910ELNS1_3gpuE8ELNS1_3repE0EEENS1_30default_config_static_selectorELNS0_4arch9wavefront6targetE0EEEvSH_
		.amdhsa_group_segment_fixed_size 0
		.amdhsa_private_segment_fixed_size 0
		.amdhsa_kernarg_size 80
		.amdhsa_user_sgpr_count 2
		.amdhsa_user_sgpr_dispatch_ptr 0
		.amdhsa_user_sgpr_queue_ptr 0
		.amdhsa_user_sgpr_kernarg_segment_ptr 1
		.amdhsa_user_sgpr_dispatch_id 0
		.amdhsa_user_sgpr_private_segment_size 0
		.amdhsa_wavefront_size32 1
		.amdhsa_uses_dynamic_stack 0
		.amdhsa_enable_private_segment 0
		.amdhsa_system_sgpr_workgroup_id_x 1
		.amdhsa_system_sgpr_workgroup_id_y 0
		.amdhsa_system_sgpr_workgroup_id_z 0
		.amdhsa_system_sgpr_workgroup_info 0
		.amdhsa_system_vgpr_workitem_id 0
		.amdhsa_next_free_vgpr 1
		.amdhsa_next_free_sgpr 1
		.amdhsa_reserve_vcc 0
		.amdhsa_float_round_mode_32 0
		.amdhsa_float_round_mode_16_64 0
		.amdhsa_float_denorm_mode_32 3
		.amdhsa_float_denorm_mode_16_64 3
		.amdhsa_fp16_overflow 0
		.amdhsa_workgroup_processor_mode 1
		.amdhsa_memory_ordered 1
		.amdhsa_forward_progress 1
		.amdhsa_inst_pref_size 0
		.amdhsa_round_robin_scheduling 0
		.amdhsa_exception_fp_ieee_invalid_op 0
		.amdhsa_exception_fp_denorm_src 0
		.amdhsa_exception_fp_ieee_div_zero 0
		.amdhsa_exception_fp_ieee_overflow 0
		.amdhsa_exception_fp_ieee_underflow 0
		.amdhsa_exception_fp_ieee_inexact 0
		.amdhsa_exception_int_div_zero 0
	.end_amdhsa_kernel
	.section	.text._ZN7rocprim17ROCPRIM_400000_NS6detail17trampoline_kernelINS0_14default_configENS1_36segmented_radix_sort_config_selectorIllEEZNS1_25segmented_radix_sort_implIS3_Lb0EPKlPlS8_S9_N2at6native12_GLOBAL__N_18offset_tEEE10hipError_tPvRmT1_PNSt15iterator_traitsISH_E10value_typeET2_T3_PNSI_ISN_E10value_typeET4_jRbjT5_ST_jjP12ihipStream_tbEUlT_E2_NS1_11comp_targetILNS1_3genE4ELNS1_11target_archE910ELNS1_3gpuE8ELNS1_3repE0EEENS1_30default_config_static_selectorELNS0_4arch9wavefront6targetE0EEEvSH_,"axG",@progbits,_ZN7rocprim17ROCPRIM_400000_NS6detail17trampoline_kernelINS0_14default_configENS1_36segmented_radix_sort_config_selectorIllEEZNS1_25segmented_radix_sort_implIS3_Lb0EPKlPlS8_S9_N2at6native12_GLOBAL__N_18offset_tEEE10hipError_tPvRmT1_PNSt15iterator_traitsISH_E10value_typeET2_T3_PNSI_ISN_E10value_typeET4_jRbjT5_ST_jjP12ihipStream_tbEUlT_E2_NS1_11comp_targetILNS1_3genE4ELNS1_11target_archE910ELNS1_3gpuE8ELNS1_3repE0EEENS1_30default_config_static_selectorELNS0_4arch9wavefront6targetE0EEEvSH_,comdat
.Lfunc_end839:
	.size	_ZN7rocprim17ROCPRIM_400000_NS6detail17trampoline_kernelINS0_14default_configENS1_36segmented_radix_sort_config_selectorIllEEZNS1_25segmented_radix_sort_implIS3_Lb0EPKlPlS8_S9_N2at6native12_GLOBAL__N_18offset_tEEE10hipError_tPvRmT1_PNSt15iterator_traitsISH_E10value_typeET2_T3_PNSI_ISN_E10value_typeET4_jRbjT5_ST_jjP12ihipStream_tbEUlT_E2_NS1_11comp_targetILNS1_3genE4ELNS1_11target_archE910ELNS1_3gpuE8ELNS1_3repE0EEENS1_30default_config_static_selectorELNS0_4arch9wavefront6targetE0EEEvSH_, .Lfunc_end839-_ZN7rocprim17ROCPRIM_400000_NS6detail17trampoline_kernelINS0_14default_configENS1_36segmented_radix_sort_config_selectorIllEEZNS1_25segmented_radix_sort_implIS3_Lb0EPKlPlS8_S9_N2at6native12_GLOBAL__N_18offset_tEEE10hipError_tPvRmT1_PNSt15iterator_traitsISH_E10value_typeET2_T3_PNSI_ISN_E10value_typeET4_jRbjT5_ST_jjP12ihipStream_tbEUlT_E2_NS1_11comp_targetILNS1_3genE4ELNS1_11target_archE910ELNS1_3gpuE8ELNS1_3repE0EEENS1_30default_config_static_selectorELNS0_4arch9wavefront6targetE0EEEvSH_
                                        ; -- End function
	.set _ZN7rocprim17ROCPRIM_400000_NS6detail17trampoline_kernelINS0_14default_configENS1_36segmented_radix_sort_config_selectorIllEEZNS1_25segmented_radix_sort_implIS3_Lb0EPKlPlS8_S9_N2at6native12_GLOBAL__N_18offset_tEEE10hipError_tPvRmT1_PNSt15iterator_traitsISH_E10value_typeET2_T3_PNSI_ISN_E10value_typeET4_jRbjT5_ST_jjP12ihipStream_tbEUlT_E2_NS1_11comp_targetILNS1_3genE4ELNS1_11target_archE910ELNS1_3gpuE8ELNS1_3repE0EEENS1_30default_config_static_selectorELNS0_4arch9wavefront6targetE0EEEvSH_.num_vgpr, 0
	.set _ZN7rocprim17ROCPRIM_400000_NS6detail17trampoline_kernelINS0_14default_configENS1_36segmented_radix_sort_config_selectorIllEEZNS1_25segmented_radix_sort_implIS3_Lb0EPKlPlS8_S9_N2at6native12_GLOBAL__N_18offset_tEEE10hipError_tPvRmT1_PNSt15iterator_traitsISH_E10value_typeET2_T3_PNSI_ISN_E10value_typeET4_jRbjT5_ST_jjP12ihipStream_tbEUlT_E2_NS1_11comp_targetILNS1_3genE4ELNS1_11target_archE910ELNS1_3gpuE8ELNS1_3repE0EEENS1_30default_config_static_selectorELNS0_4arch9wavefront6targetE0EEEvSH_.num_agpr, 0
	.set _ZN7rocprim17ROCPRIM_400000_NS6detail17trampoline_kernelINS0_14default_configENS1_36segmented_radix_sort_config_selectorIllEEZNS1_25segmented_radix_sort_implIS3_Lb0EPKlPlS8_S9_N2at6native12_GLOBAL__N_18offset_tEEE10hipError_tPvRmT1_PNSt15iterator_traitsISH_E10value_typeET2_T3_PNSI_ISN_E10value_typeET4_jRbjT5_ST_jjP12ihipStream_tbEUlT_E2_NS1_11comp_targetILNS1_3genE4ELNS1_11target_archE910ELNS1_3gpuE8ELNS1_3repE0EEENS1_30default_config_static_selectorELNS0_4arch9wavefront6targetE0EEEvSH_.numbered_sgpr, 0
	.set _ZN7rocprim17ROCPRIM_400000_NS6detail17trampoline_kernelINS0_14default_configENS1_36segmented_radix_sort_config_selectorIllEEZNS1_25segmented_radix_sort_implIS3_Lb0EPKlPlS8_S9_N2at6native12_GLOBAL__N_18offset_tEEE10hipError_tPvRmT1_PNSt15iterator_traitsISH_E10value_typeET2_T3_PNSI_ISN_E10value_typeET4_jRbjT5_ST_jjP12ihipStream_tbEUlT_E2_NS1_11comp_targetILNS1_3genE4ELNS1_11target_archE910ELNS1_3gpuE8ELNS1_3repE0EEENS1_30default_config_static_selectorELNS0_4arch9wavefront6targetE0EEEvSH_.num_named_barrier, 0
	.set _ZN7rocprim17ROCPRIM_400000_NS6detail17trampoline_kernelINS0_14default_configENS1_36segmented_radix_sort_config_selectorIllEEZNS1_25segmented_radix_sort_implIS3_Lb0EPKlPlS8_S9_N2at6native12_GLOBAL__N_18offset_tEEE10hipError_tPvRmT1_PNSt15iterator_traitsISH_E10value_typeET2_T3_PNSI_ISN_E10value_typeET4_jRbjT5_ST_jjP12ihipStream_tbEUlT_E2_NS1_11comp_targetILNS1_3genE4ELNS1_11target_archE910ELNS1_3gpuE8ELNS1_3repE0EEENS1_30default_config_static_selectorELNS0_4arch9wavefront6targetE0EEEvSH_.private_seg_size, 0
	.set _ZN7rocprim17ROCPRIM_400000_NS6detail17trampoline_kernelINS0_14default_configENS1_36segmented_radix_sort_config_selectorIllEEZNS1_25segmented_radix_sort_implIS3_Lb0EPKlPlS8_S9_N2at6native12_GLOBAL__N_18offset_tEEE10hipError_tPvRmT1_PNSt15iterator_traitsISH_E10value_typeET2_T3_PNSI_ISN_E10value_typeET4_jRbjT5_ST_jjP12ihipStream_tbEUlT_E2_NS1_11comp_targetILNS1_3genE4ELNS1_11target_archE910ELNS1_3gpuE8ELNS1_3repE0EEENS1_30default_config_static_selectorELNS0_4arch9wavefront6targetE0EEEvSH_.uses_vcc, 0
	.set _ZN7rocprim17ROCPRIM_400000_NS6detail17trampoline_kernelINS0_14default_configENS1_36segmented_radix_sort_config_selectorIllEEZNS1_25segmented_radix_sort_implIS3_Lb0EPKlPlS8_S9_N2at6native12_GLOBAL__N_18offset_tEEE10hipError_tPvRmT1_PNSt15iterator_traitsISH_E10value_typeET2_T3_PNSI_ISN_E10value_typeET4_jRbjT5_ST_jjP12ihipStream_tbEUlT_E2_NS1_11comp_targetILNS1_3genE4ELNS1_11target_archE910ELNS1_3gpuE8ELNS1_3repE0EEENS1_30default_config_static_selectorELNS0_4arch9wavefront6targetE0EEEvSH_.uses_flat_scratch, 0
	.set _ZN7rocprim17ROCPRIM_400000_NS6detail17trampoline_kernelINS0_14default_configENS1_36segmented_radix_sort_config_selectorIllEEZNS1_25segmented_radix_sort_implIS3_Lb0EPKlPlS8_S9_N2at6native12_GLOBAL__N_18offset_tEEE10hipError_tPvRmT1_PNSt15iterator_traitsISH_E10value_typeET2_T3_PNSI_ISN_E10value_typeET4_jRbjT5_ST_jjP12ihipStream_tbEUlT_E2_NS1_11comp_targetILNS1_3genE4ELNS1_11target_archE910ELNS1_3gpuE8ELNS1_3repE0EEENS1_30default_config_static_selectorELNS0_4arch9wavefront6targetE0EEEvSH_.has_dyn_sized_stack, 0
	.set _ZN7rocprim17ROCPRIM_400000_NS6detail17trampoline_kernelINS0_14default_configENS1_36segmented_radix_sort_config_selectorIllEEZNS1_25segmented_radix_sort_implIS3_Lb0EPKlPlS8_S9_N2at6native12_GLOBAL__N_18offset_tEEE10hipError_tPvRmT1_PNSt15iterator_traitsISH_E10value_typeET2_T3_PNSI_ISN_E10value_typeET4_jRbjT5_ST_jjP12ihipStream_tbEUlT_E2_NS1_11comp_targetILNS1_3genE4ELNS1_11target_archE910ELNS1_3gpuE8ELNS1_3repE0EEENS1_30default_config_static_selectorELNS0_4arch9wavefront6targetE0EEEvSH_.has_recursion, 0
	.set _ZN7rocprim17ROCPRIM_400000_NS6detail17trampoline_kernelINS0_14default_configENS1_36segmented_radix_sort_config_selectorIllEEZNS1_25segmented_radix_sort_implIS3_Lb0EPKlPlS8_S9_N2at6native12_GLOBAL__N_18offset_tEEE10hipError_tPvRmT1_PNSt15iterator_traitsISH_E10value_typeET2_T3_PNSI_ISN_E10value_typeET4_jRbjT5_ST_jjP12ihipStream_tbEUlT_E2_NS1_11comp_targetILNS1_3genE4ELNS1_11target_archE910ELNS1_3gpuE8ELNS1_3repE0EEENS1_30default_config_static_selectorELNS0_4arch9wavefront6targetE0EEEvSH_.has_indirect_call, 0
	.section	.AMDGPU.csdata,"",@progbits
; Kernel info:
; codeLenInByte = 0
; TotalNumSgprs: 0
; NumVgprs: 0
; ScratchSize: 0
; MemoryBound: 0
; FloatMode: 240
; IeeeMode: 1
; LDSByteSize: 0 bytes/workgroup (compile time only)
; SGPRBlocks: 0
; VGPRBlocks: 0
; NumSGPRsForWavesPerEU: 1
; NumVGPRsForWavesPerEU: 1
; Occupancy: 16
; WaveLimiterHint : 0
; COMPUTE_PGM_RSRC2:SCRATCH_EN: 0
; COMPUTE_PGM_RSRC2:USER_SGPR: 2
; COMPUTE_PGM_RSRC2:TRAP_HANDLER: 0
; COMPUTE_PGM_RSRC2:TGID_X_EN: 1
; COMPUTE_PGM_RSRC2:TGID_Y_EN: 0
; COMPUTE_PGM_RSRC2:TGID_Z_EN: 0
; COMPUTE_PGM_RSRC2:TIDIG_COMP_CNT: 0
	.section	.text._ZN7rocprim17ROCPRIM_400000_NS6detail17trampoline_kernelINS0_14default_configENS1_36segmented_radix_sort_config_selectorIllEEZNS1_25segmented_radix_sort_implIS3_Lb0EPKlPlS8_S9_N2at6native12_GLOBAL__N_18offset_tEEE10hipError_tPvRmT1_PNSt15iterator_traitsISH_E10value_typeET2_T3_PNSI_ISN_E10value_typeET4_jRbjT5_ST_jjP12ihipStream_tbEUlT_E2_NS1_11comp_targetILNS1_3genE3ELNS1_11target_archE908ELNS1_3gpuE7ELNS1_3repE0EEENS1_30default_config_static_selectorELNS0_4arch9wavefront6targetE0EEEvSH_,"axG",@progbits,_ZN7rocprim17ROCPRIM_400000_NS6detail17trampoline_kernelINS0_14default_configENS1_36segmented_radix_sort_config_selectorIllEEZNS1_25segmented_radix_sort_implIS3_Lb0EPKlPlS8_S9_N2at6native12_GLOBAL__N_18offset_tEEE10hipError_tPvRmT1_PNSt15iterator_traitsISH_E10value_typeET2_T3_PNSI_ISN_E10value_typeET4_jRbjT5_ST_jjP12ihipStream_tbEUlT_E2_NS1_11comp_targetILNS1_3genE3ELNS1_11target_archE908ELNS1_3gpuE7ELNS1_3repE0EEENS1_30default_config_static_selectorELNS0_4arch9wavefront6targetE0EEEvSH_,comdat
	.globl	_ZN7rocprim17ROCPRIM_400000_NS6detail17trampoline_kernelINS0_14default_configENS1_36segmented_radix_sort_config_selectorIllEEZNS1_25segmented_radix_sort_implIS3_Lb0EPKlPlS8_S9_N2at6native12_GLOBAL__N_18offset_tEEE10hipError_tPvRmT1_PNSt15iterator_traitsISH_E10value_typeET2_T3_PNSI_ISN_E10value_typeET4_jRbjT5_ST_jjP12ihipStream_tbEUlT_E2_NS1_11comp_targetILNS1_3genE3ELNS1_11target_archE908ELNS1_3gpuE7ELNS1_3repE0EEENS1_30default_config_static_selectorELNS0_4arch9wavefront6targetE0EEEvSH_ ; -- Begin function _ZN7rocprim17ROCPRIM_400000_NS6detail17trampoline_kernelINS0_14default_configENS1_36segmented_radix_sort_config_selectorIllEEZNS1_25segmented_radix_sort_implIS3_Lb0EPKlPlS8_S9_N2at6native12_GLOBAL__N_18offset_tEEE10hipError_tPvRmT1_PNSt15iterator_traitsISH_E10value_typeET2_T3_PNSI_ISN_E10value_typeET4_jRbjT5_ST_jjP12ihipStream_tbEUlT_E2_NS1_11comp_targetILNS1_3genE3ELNS1_11target_archE908ELNS1_3gpuE7ELNS1_3repE0EEENS1_30default_config_static_selectorELNS0_4arch9wavefront6targetE0EEEvSH_
	.p2align	8
	.type	_ZN7rocprim17ROCPRIM_400000_NS6detail17trampoline_kernelINS0_14default_configENS1_36segmented_radix_sort_config_selectorIllEEZNS1_25segmented_radix_sort_implIS3_Lb0EPKlPlS8_S9_N2at6native12_GLOBAL__N_18offset_tEEE10hipError_tPvRmT1_PNSt15iterator_traitsISH_E10value_typeET2_T3_PNSI_ISN_E10value_typeET4_jRbjT5_ST_jjP12ihipStream_tbEUlT_E2_NS1_11comp_targetILNS1_3genE3ELNS1_11target_archE908ELNS1_3gpuE7ELNS1_3repE0EEENS1_30default_config_static_selectorELNS0_4arch9wavefront6targetE0EEEvSH_,@function
_ZN7rocprim17ROCPRIM_400000_NS6detail17trampoline_kernelINS0_14default_configENS1_36segmented_radix_sort_config_selectorIllEEZNS1_25segmented_radix_sort_implIS3_Lb0EPKlPlS8_S9_N2at6native12_GLOBAL__N_18offset_tEEE10hipError_tPvRmT1_PNSt15iterator_traitsISH_E10value_typeET2_T3_PNSI_ISN_E10value_typeET4_jRbjT5_ST_jjP12ihipStream_tbEUlT_E2_NS1_11comp_targetILNS1_3genE3ELNS1_11target_archE908ELNS1_3gpuE7ELNS1_3repE0EEENS1_30default_config_static_selectorELNS0_4arch9wavefront6targetE0EEEvSH_: ; @_ZN7rocprim17ROCPRIM_400000_NS6detail17trampoline_kernelINS0_14default_configENS1_36segmented_radix_sort_config_selectorIllEEZNS1_25segmented_radix_sort_implIS3_Lb0EPKlPlS8_S9_N2at6native12_GLOBAL__N_18offset_tEEE10hipError_tPvRmT1_PNSt15iterator_traitsISH_E10value_typeET2_T3_PNSI_ISN_E10value_typeET4_jRbjT5_ST_jjP12ihipStream_tbEUlT_E2_NS1_11comp_targetILNS1_3genE3ELNS1_11target_archE908ELNS1_3gpuE7ELNS1_3repE0EEENS1_30default_config_static_selectorELNS0_4arch9wavefront6targetE0EEEvSH_
; %bb.0:
	.section	.rodata,"a",@progbits
	.p2align	6, 0x0
	.amdhsa_kernel _ZN7rocprim17ROCPRIM_400000_NS6detail17trampoline_kernelINS0_14default_configENS1_36segmented_radix_sort_config_selectorIllEEZNS1_25segmented_radix_sort_implIS3_Lb0EPKlPlS8_S9_N2at6native12_GLOBAL__N_18offset_tEEE10hipError_tPvRmT1_PNSt15iterator_traitsISH_E10value_typeET2_T3_PNSI_ISN_E10value_typeET4_jRbjT5_ST_jjP12ihipStream_tbEUlT_E2_NS1_11comp_targetILNS1_3genE3ELNS1_11target_archE908ELNS1_3gpuE7ELNS1_3repE0EEENS1_30default_config_static_selectorELNS0_4arch9wavefront6targetE0EEEvSH_
		.amdhsa_group_segment_fixed_size 0
		.amdhsa_private_segment_fixed_size 0
		.amdhsa_kernarg_size 80
		.amdhsa_user_sgpr_count 2
		.amdhsa_user_sgpr_dispatch_ptr 0
		.amdhsa_user_sgpr_queue_ptr 0
		.amdhsa_user_sgpr_kernarg_segment_ptr 1
		.amdhsa_user_sgpr_dispatch_id 0
		.amdhsa_user_sgpr_private_segment_size 0
		.amdhsa_wavefront_size32 1
		.amdhsa_uses_dynamic_stack 0
		.amdhsa_enable_private_segment 0
		.amdhsa_system_sgpr_workgroup_id_x 1
		.amdhsa_system_sgpr_workgroup_id_y 0
		.amdhsa_system_sgpr_workgroup_id_z 0
		.amdhsa_system_sgpr_workgroup_info 0
		.amdhsa_system_vgpr_workitem_id 0
		.amdhsa_next_free_vgpr 1
		.amdhsa_next_free_sgpr 1
		.amdhsa_reserve_vcc 0
		.amdhsa_float_round_mode_32 0
		.amdhsa_float_round_mode_16_64 0
		.amdhsa_float_denorm_mode_32 3
		.amdhsa_float_denorm_mode_16_64 3
		.amdhsa_fp16_overflow 0
		.amdhsa_workgroup_processor_mode 1
		.amdhsa_memory_ordered 1
		.amdhsa_forward_progress 1
		.amdhsa_inst_pref_size 0
		.amdhsa_round_robin_scheduling 0
		.amdhsa_exception_fp_ieee_invalid_op 0
		.amdhsa_exception_fp_denorm_src 0
		.amdhsa_exception_fp_ieee_div_zero 0
		.amdhsa_exception_fp_ieee_overflow 0
		.amdhsa_exception_fp_ieee_underflow 0
		.amdhsa_exception_fp_ieee_inexact 0
		.amdhsa_exception_int_div_zero 0
	.end_amdhsa_kernel
	.section	.text._ZN7rocprim17ROCPRIM_400000_NS6detail17trampoline_kernelINS0_14default_configENS1_36segmented_radix_sort_config_selectorIllEEZNS1_25segmented_radix_sort_implIS3_Lb0EPKlPlS8_S9_N2at6native12_GLOBAL__N_18offset_tEEE10hipError_tPvRmT1_PNSt15iterator_traitsISH_E10value_typeET2_T3_PNSI_ISN_E10value_typeET4_jRbjT5_ST_jjP12ihipStream_tbEUlT_E2_NS1_11comp_targetILNS1_3genE3ELNS1_11target_archE908ELNS1_3gpuE7ELNS1_3repE0EEENS1_30default_config_static_selectorELNS0_4arch9wavefront6targetE0EEEvSH_,"axG",@progbits,_ZN7rocprim17ROCPRIM_400000_NS6detail17trampoline_kernelINS0_14default_configENS1_36segmented_radix_sort_config_selectorIllEEZNS1_25segmented_radix_sort_implIS3_Lb0EPKlPlS8_S9_N2at6native12_GLOBAL__N_18offset_tEEE10hipError_tPvRmT1_PNSt15iterator_traitsISH_E10value_typeET2_T3_PNSI_ISN_E10value_typeET4_jRbjT5_ST_jjP12ihipStream_tbEUlT_E2_NS1_11comp_targetILNS1_3genE3ELNS1_11target_archE908ELNS1_3gpuE7ELNS1_3repE0EEENS1_30default_config_static_selectorELNS0_4arch9wavefront6targetE0EEEvSH_,comdat
.Lfunc_end840:
	.size	_ZN7rocprim17ROCPRIM_400000_NS6detail17trampoline_kernelINS0_14default_configENS1_36segmented_radix_sort_config_selectorIllEEZNS1_25segmented_radix_sort_implIS3_Lb0EPKlPlS8_S9_N2at6native12_GLOBAL__N_18offset_tEEE10hipError_tPvRmT1_PNSt15iterator_traitsISH_E10value_typeET2_T3_PNSI_ISN_E10value_typeET4_jRbjT5_ST_jjP12ihipStream_tbEUlT_E2_NS1_11comp_targetILNS1_3genE3ELNS1_11target_archE908ELNS1_3gpuE7ELNS1_3repE0EEENS1_30default_config_static_selectorELNS0_4arch9wavefront6targetE0EEEvSH_, .Lfunc_end840-_ZN7rocprim17ROCPRIM_400000_NS6detail17trampoline_kernelINS0_14default_configENS1_36segmented_radix_sort_config_selectorIllEEZNS1_25segmented_radix_sort_implIS3_Lb0EPKlPlS8_S9_N2at6native12_GLOBAL__N_18offset_tEEE10hipError_tPvRmT1_PNSt15iterator_traitsISH_E10value_typeET2_T3_PNSI_ISN_E10value_typeET4_jRbjT5_ST_jjP12ihipStream_tbEUlT_E2_NS1_11comp_targetILNS1_3genE3ELNS1_11target_archE908ELNS1_3gpuE7ELNS1_3repE0EEENS1_30default_config_static_selectorELNS0_4arch9wavefront6targetE0EEEvSH_
                                        ; -- End function
	.set _ZN7rocprim17ROCPRIM_400000_NS6detail17trampoline_kernelINS0_14default_configENS1_36segmented_radix_sort_config_selectorIllEEZNS1_25segmented_radix_sort_implIS3_Lb0EPKlPlS8_S9_N2at6native12_GLOBAL__N_18offset_tEEE10hipError_tPvRmT1_PNSt15iterator_traitsISH_E10value_typeET2_T3_PNSI_ISN_E10value_typeET4_jRbjT5_ST_jjP12ihipStream_tbEUlT_E2_NS1_11comp_targetILNS1_3genE3ELNS1_11target_archE908ELNS1_3gpuE7ELNS1_3repE0EEENS1_30default_config_static_selectorELNS0_4arch9wavefront6targetE0EEEvSH_.num_vgpr, 0
	.set _ZN7rocprim17ROCPRIM_400000_NS6detail17trampoline_kernelINS0_14default_configENS1_36segmented_radix_sort_config_selectorIllEEZNS1_25segmented_radix_sort_implIS3_Lb0EPKlPlS8_S9_N2at6native12_GLOBAL__N_18offset_tEEE10hipError_tPvRmT1_PNSt15iterator_traitsISH_E10value_typeET2_T3_PNSI_ISN_E10value_typeET4_jRbjT5_ST_jjP12ihipStream_tbEUlT_E2_NS1_11comp_targetILNS1_3genE3ELNS1_11target_archE908ELNS1_3gpuE7ELNS1_3repE0EEENS1_30default_config_static_selectorELNS0_4arch9wavefront6targetE0EEEvSH_.num_agpr, 0
	.set _ZN7rocprim17ROCPRIM_400000_NS6detail17trampoline_kernelINS0_14default_configENS1_36segmented_radix_sort_config_selectorIllEEZNS1_25segmented_radix_sort_implIS3_Lb0EPKlPlS8_S9_N2at6native12_GLOBAL__N_18offset_tEEE10hipError_tPvRmT1_PNSt15iterator_traitsISH_E10value_typeET2_T3_PNSI_ISN_E10value_typeET4_jRbjT5_ST_jjP12ihipStream_tbEUlT_E2_NS1_11comp_targetILNS1_3genE3ELNS1_11target_archE908ELNS1_3gpuE7ELNS1_3repE0EEENS1_30default_config_static_selectorELNS0_4arch9wavefront6targetE0EEEvSH_.numbered_sgpr, 0
	.set _ZN7rocprim17ROCPRIM_400000_NS6detail17trampoline_kernelINS0_14default_configENS1_36segmented_radix_sort_config_selectorIllEEZNS1_25segmented_radix_sort_implIS3_Lb0EPKlPlS8_S9_N2at6native12_GLOBAL__N_18offset_tEEE10hipError_tPvRmT1_PNSt15iterator_traitsISH_E10value_typeET2_T3_PNSI_ISN_E10value_typeET4_jRbjT5_ST_jjP12ihipStream_tbEUlT_E2_NS1_11comp_targetILNS1_3genE3ELNS1_11target_archE908ELNS1_3gpuE7ELNS1_3repE0EEENS1_30default_config_static_selectorELNS0_4arch9wavefront6targetE0EEEvSH_.num_named_barrier, 0
	.set _ZN7rocprim17ROCPRIM_400000_NS6detail17trampoline_kernelINS0_14default_configENS1_36segmented_radix_sort_config_selectorIllEEZNS1_25segmented_radix_sort_implIS3_Lb0EPKlPlS8_S9_N2at6native12_GLOBAL__N_18offset_tEEE10hipError_tPvRmT1_PNSt15iterator_traitsISH_E10value_typeET2_T3_PNSI_ISN_E10value_typeET4_jRbjT5_ST_jjP12ihipStream_tbEUlT_E2_NS1_11comp_targetILNS1_3genE3ELNS1_11target_archE908ELNS1_3gpuE7ELNS1_3repE0EEENS1_30default_config_static_selectorELNS0_4arch9wavefront6targetE0EEEvSH_.private_seg_size, 0
	.set _ZN7rocprim17ROCPRIM_400000_NS6detail17trampoline_kernelINS0_14default_configENS1_36segmented_radix_sort_config_selectorIllEEZNS1_25segmented_radix_sort_implIS3_Lb0EPKlPlS8_S9_N2at6native12_GLOBAL__N_18offset_tEEE10hipError_tPvRmT1_PNSt15iterator_traitsISH_E10value_typeET2_T3_PNSI_ISN_E10value_typeET4_jRbjT5_ST_jjP12ihipStream_tbEUlT_E2_NS1_11comp_targetILNS1_3genE3ELNS1_11target_archE908ELNS1_3gpuE7ELNS1_3repE0EEENS1_30default_config_static_selectorELNS0_4arch9wavefront6targetE0EEEvSH_.uses_vcc, 0
	.set _ZN7rocprim17ROCPRIM_400000_NS6detail17trampoline_kernelINS0_14default_configENS1_36segmented_radix_sort_config_selectorIllEEZNS1_25segmented_radix_sort_implIS3_Lb0EPKlPlS8_S9_N2at6native12_GLOBAL__N_18offset_tEEE10hipError_tPvRmT1_PNSt15iterator_traitsISH_E10value_typeET2_T3_PNSI_ISN_E10value_typeET4_jRbjT5_ST_jjP12ihipStream_tbEUlT_E2_NS1_11comp_targetILNS1_3genE3ELNS1_11target_archE908ELNS1_3gpuE7ELNS1_3repE0EEENS1_30default_config_static_selectorELNS0_4arch9wavefront6targetE0EEEvSH_.uses_flat_scratch, 0
	.set _ZN7rocprim17ROCPRIM_400000_NS6detail17trampoline_kernelINS0_14default_configENS1_36segmented_radix_sort_config_selectorIllEEZNS1_25segmented_radix_sort_implIS3_Lb0EPKlPlS8_S9_N2at6native12_GLOBAL__N_18offset_tEEE10hipError_tPvRmT1_PNSt15iterator_traitsISH_E10value_typeET2_T3_PNSI_ISN_E10value_typeET4_jRbjT5_ST_jjP12ihipStream_tbEUlT_E2_NS1_11comp_targetILNS1_3genE3ELNS1_11target_archE908ELNS1_3gpuE7ELNS1_3repE0EEENS1_30default_config_static_selectorELNS0_4arch9wavefront6targetE0EEEvSH_.has_dyn_sized_stack, 0
	.set _ZN7rocprim17ROCPRIM_400000_NS6detail17trampoline_kernelINS0_14default_configENS1_36segmented_radix_sort_config_selectorIllEEZNS1_25segmented_radix_sort_implIS3_Lb0EPKlPlS8_S9_N2at6native12_GLOBAL__N_18offset_tEEE10hipError_tPvRmT1_PNSt15iterator_traitsISH_E10value_typeET2_T3_PNSI_ISN_E10value_typeET4_jRbjT5_ST_jjP12ihipStream_tbEUlT_E2_NS1_11comp_targetILNS1_3genE3ELNS1_11target_archE908ELNS1_3gpuE7ELNS1_3repE0EEENS1_30default_config_static_selectorELNS0_4arch9wavefront6targetE0EEEvSH_.has_recursion, 0
	.set _ZN7rocprim17ROCPRIM_400000_NS6detail17trampoline_kernelINS0_14default_configENS1_36segmented_radix_sort_config_selectorIllEEZNS1_25segmented_radix_sort_implIS3_Lb0EPKlPlS8_S9_N2at6native12_GLOBAL__N_18offset_tEEE10hipError_tPvRmT1_PNSt15iterator_traitsISH_E10value_typeET2_T3_PNSI_ISN_E10value_typeET4_jRbjT5_ST_jjP12ihipStream_tbEUlT_E2_NS1_11comp_targetILNS1_3genE3ELNS1_11target_archE908ELNS1_3gpuE7ELNS1_3repE0EEENS1_30default_config_static_selectorELNS0_4arch9wavefront6targetE0EEEvSH_.has_indirect_call, 0
	.section	.AMDGPU.csdata,"",@progbits
; Kernel info:
; codeLenInByte = 0
; TotalNumSgprs: 0
; NumVgprs: 0
; ScratchSize: 0
; MemoryBound: 0
; FloatMode: 240
; IeeeMode: 1
; LDSByteSize: 0 bytes/workgroup (compile time only)
; SGPRBlocks: 0
; VGPRBlocks: 0
; NumSGPRsForWavesPerEU: 1
; NumVGPRsForWavesPerEU: 1
; Occupancy: 16
; WaveLimiterHint : 0
; COMPUTE_PGM_RSRC2:SCRATCH_EN: 0
; COMPUTE_PGM_RSRC2:USER_SGPR: 2
; COMPUTE_PGM_RSRC2:TRAP_HANDLER: 0
; COMPUTE_PGM_RSRC2:TGID_X_EN: 1
; COMPUTE_PGM_RSRC2:TGID_Y_EN: 0
; COMPUTE_PGM_RSRC2:TGID_Z_EN: 0
; COMPUTE_PGM_RSRC2:TIDIG_COMP_CNT: 0
	.section	.text._ZN7rocprim17ROCPRIM_400000_NS6detail17trampoline_kernelINS0_14default_configENS1_36segmented_radix_sort_config_selectorIllEEZNS1_25segmented_radix_sort_implIS3_Lb0EPKlPlS8_S9_N2at6native12_GLOBAL__N_18offset_tEEE10hipError_tPvRmT1_PNSt15iterator_traitsISH_E10value_typeET2_T3_PNSI_ISN_E10value_typeET4_jRbjT5_ST_jjP12ihipStream_tbEUlT_E2_NS1_11comp_targetILNS1_3genE2ELNS1_11target_archE906ELNS1_3gpuE6ELNS1_3repE0EEENS1_30default_config_static_selectorELNS0_4arch9wavefront6targetE0EEEvSH_,"axG",@progbits,_ZN7rocprim17ROCPRIM_400000_NS6detail17trampoline_kernelINS0_14default_configENS1_36segmented_radix_sort_config_selectorIllEEZNS1_25segmented_radix_sort_implIS3_Lb0EPKlPlS8_S9_N2at6native12_GLOBAL__N_18offset_tEEE10hipError_tPvRmT1_PNSt15iterator_traitsISH_E10value_typeET2_T3_PNSI_ISN_E10value_typeET4_jRbjT5_ST_jjP12ihipStream_tbEUlT_E2_NS1_11comp_targetILNS1_3genE2ELNS1_11target_archE906ELNS1_3gpuE6ELNS1_3repE0EEENS1_30default_config_static_selectorELNS0_4arch9wavefront6targetE0EEEvSH_,comdat
	.globl	_ZN7rocprim17ROCPRIM_400000_NS6detail17trampoline_kernelINS0_14default_configENS1_36segmented_radix_sort_config_selectorIllEEZNS1_25segmented_radix_sort_implIS3_Lb0EPKlPlS8_S9_N2at6native12_GLOBAL__N_18offset_tEEE10hipError_tPvRmT1_PNSt15iterator_traitsISH_E10value_typeET2_T3_PNSI_ISN_E10value_typeET4_jRbjT5_ST_jjP12ihipStream_tbEUlT_E2_NS1_11comp_targetILNS1_3genE2ELNS1_11target_archE906ELNS1_3gpuE6ELNS1_3repE0EEENS1_30default_config_static_selectorELNS0_4arch9wavefront6targetE0EEEvSH_ ; -- Begin function _ZN7rocprim17ROCPRIM_400000_NS6detail17trampoline_kernelINS0_14default_configENS1_36segmented_radix_sort_config_selectorIllEEZNS1_25segmented_radix_sort_implIS3_Lb0EPKlPlS8_S9_N2at6native12_GLOBAL__N_18offset_tEEE10hipError_tPvRmT1_PNSt15iterator_traitsISH_E10value_typeET2_T3_PNSI_ISN_E10value_typeET4_jRbjT5_ST_jjP12ihipStream_tbEUlT_E2_NS1_11comp_targetILNS1_3genE2ELNS1_11target_archE906ELNS1_3gpuE6ELNS1_3repE0EEENS1_30default_config_static_selectorELNS0_4arch9wavefront6targetE0EEEvSH_
	.p2align	8
	.type	_ZN7rocprim17ROCPRIM_400000_NS6detail17trampoline_kernelINS0_14default_configENS1_36segmented_radix_sort_config_selectorIllEEZNS1_25segmented_radix_sort_implIS3_Lb0EPKlPlS8_S9_N2at6native12_GLOBAL__N_18offset_tEEE10hipError_tPvRmT1_PNSt15iterator_traitsISH_E10value_typeET2_T3_PNSI_ISN_E10value_typeET4_jRbjT5_ST_jjP12ihipStream_tbEUlT_E2_NS1_11comp_targetILNS1_3genE2ELNS1_11target_archE906ELNS1_3gpuE6ELNS1_3repE0EEENS1_30default_config_static_selectorELNS0_4arch9wavefront6targetE0EEEvSH_,@function
_ZN7rocprim17ROCPRIM_400000_NS6detail17trampoline_kernelINS0_14default_configENS1_36segmented_radix_sort_config_selectorIllEEZNS1_25segmented_radix_sort_implIS3_Lb0EPKlPlS8_S9_N2at6native12_GLOBAL__N_18offset_tEEE10hipError_tPvRmT1_PNSt15iterator_traitsISH_E10value_typeET2_T3_PNSI_ISN_E10value_typeET4_jRbjT5_ST_jjP12ihipStream_tbEUlT_E2_NS1_11comp_targetILNS1_3genE2ELNS1_11target_archE906ELNS1_3gpuE6ELNS1_3repE0EEENS1_30default_config_static_selectorELNS0_4arch9wavefront6targetE0EEEvSH_: ; @_ZN7rocprim17ROCPRIM_400000_NS6detail17trampoline_kernelINS0_14default_configENS1_36segmented_radix_sort_config_selectorIllEEZNS1_25segmented_radix_sort_implIS3_Lb0EPKlPlS8_S9_N2at6native12_GLOBAL__N_18offset_tEEE10hipError_tPvRmT1_PNSt15iterator_traitsISH_E10value_typeET2_T3_PNSI_ISN_E10value_typeET4_jRbjT5_ST_jjP12ihipStream_tbEUlT_E2_NS1_11comp_targetILNS1_3genE2ELNS1_11target_archE906ELNS1_3gpuE6ELNS1_3repE0EEENS1_30default_config_static_selectorELNS0_4arch9wavefront6targetE0EEEvSH_
; %bb.0:
	.section	.rodata,"a",@progbits
	.p2align	6, 0x0
	.amdhsa_kernel _ZN7rocprim17ROCPRIM_400000_NS6detail17trampoline_kernelINS0_14default_configENS1_36segmented_radix_sort_config_selectorIllEEZNS1_25segmented_radix_sort_implIS3_Lb0EPKlPlS8_S9_N2at6native12_GLOBAL__N_18offset_tEEE10hipError_tPvRmT1_PNSt15iterator_traitsISH_E10value_typeET2_T3_PNSI_ISN_E10value_typeET4_jRbjT5_ST_jjP12ihipStream_tbEUlT_E2_NS1_11comp_targetILNS1_3genE2ELNS1_11target_archE906ELNS1_3gpuE6ELNS1_3repE0EEENS1_30default_config_static_selectorELNS0_4arch9wavefront6targetE0EEEvSH_
		.amdhsa_group_segment_fixed_size 0
		.amdhsa_private_segment_fixed_size 0
		.amdhsa_kernarg_size 80
		.amdhsa_user_sgpr_count 2
		.amdhsa_user_sgpr_dispatch_ptr 0
		.amdhsa_user_sgpr_queue_ptr 0
		.amdhsa_user_sgpr_kernarg_segment_ptr 1
		.amdhsa_user_sgpr_dispatch_id 0
		.amdhsa_user_sgpr_private_segment_size 0
		.amdhsa_wavefront_size32 1
		.amdhsa_uses_dynamic_stack 0
		.amdhsa_enable_private_segment 0
		.amdhsa_system_sgpr_workgroup_id_x 1
		.amdhsa_system_sgpr_workgroup_id_y 0
		.amdhsa_system_sgpr_workgroup_id_z 0
		.amdhsa_system_sgpr_workgroup_info 0
		.amdhsa_system_vgpr_workitem_id 0
		.amdhsa_next_free_vgpr 1
		.amdhsa_next_free_sgpr 1
		.amdhsa_reserve_vcc 0
		.amdhsa_float_round_mode_32 0
		.amdhsa_float_round_mode_16_64 0
		.amdhsa_float_denorm_mode_32 3
		.amdhsa_float_denorm_mode_16_64 3
		.amdhsa_fp16_overflow 0
		.amdhsa_workgroup_processor_mode 1
		.amdhsa_memory_ordered 1
		.amdhsa_forward_progress 1
		.amdhsa_inst_pref_size 0
		.amdhsa_round_robin_scheduling 0
		.amdhsa_exception_fp_ieee_invalid_op 0
		.amdhsa_exception_fp_denorm_src 0
		.amdhsa_exception_fp_ieee_div_zero 0
		.amdhsa_exception_fp_ieee_overflow 0
		.amdhsa_exception_fp_ieee_underflow 0
		.amdhsa_exception_fp_ieee_inexact 0
		.amdhsa_exception_int_div_zero 0
	.end_amdhsa_kernel
	.section	.text._ZN7rocprim17ROCPRIM_400000_NS6detail17trampoline_kernelINS0_14default_configENS1_36segmented_radix_sort_config_selectorIllEEZNS1_25segmented_radix_sort_implIS3_Lb0EPKlPlS8_S9_N2at6native12_GLOBAL__N_18offset_tEEE10hipError_tPvRmT1_PNSt15iterator_traitsISH_E10value_typeET2_T3_PNSI_ISN_E10value_typeET4_jRbjT5_ST_jjP12ihipStream_tbEUlT_E2_NS1_11comp_targetILNS1_3genE2ELNS1_11target_archE906ELNS1_3gpuE6ELNS1_3repE0EEENS1_30default_config_static_selectorELNS0_4arch9wavefront6targetE0EEEvSH_,"axG",@progbits,_ZN7rocprim17ROCPRIM_400000_NS6detail17trampoline_kernelINS0_14default_configENS1_36segmented_radix_sort_config_selectorIllEEZNS1_25segmented_radix_sort_implIS3_Lb0EPKlPlS8_S9_N2at6native12_GLOBAL__N_18offset_tEEE10hipError_tPvRmT1_PNSt15iterator_traitsISH_E10value_typeET2_T3_PNSI_ISN_E10value_typeET4_jRbjT5_ST_jjP12ihipStream_tbEUlT_E2_NS1_11comp_targetILNS1_3genE2ELNS1_11target_archE906ELNS1_3gpuE6ELNS1_3repE0EEENS1_30default_config_static_selectorELNS0_4arch9wavefront6targetE0EEEvSH_,comdat
.Lfunc_end841:
	.size	_ZN7rocprim17ROCPRIM_400000_NS6detail17trampoline_kernelINS0_14default_configENS1_36segmented_radix_sort_config_selectorIllEEZNS1_25segmented_radix_sort_implIS3_Lb0EPKlPlS8_S9_N2at6native12_GLOBAL__N_18offset_tEEE10hipError_tPvRmT1_PNSt15iterator_traitsISH_E10value_typeET2_T3_PNSI_ISN_E10value_typeET4_jRbjT5_ST_jjP12ihipStream_tbEUlT_E2_NS1_11comp_targetILNS1_3genE2ELNS1_11target_archE906ELNS1_3gpuE6ELNS1_3repE0EEENS1_30default_config_static_selectorELNS0_4arch9wavefront6targetE0EEEvSH_, .Lfunc_end841-_ZN7rocprim17ROCPRIM_400000_NS6detail17trampoline_kernelINS0_14default_configENS1_36segmented_radix_sort_config_selectorIllEEZNS1_25segmented_radix_sort_implIS3_Lb0EPKlPlS8_S9_N2at6native12_GLOBAL__N_18offset_tEEE10hipError_tPvRmT1_PNSt15iterator_traitsISH_E10value_typeET2_T3_PNSI_ISN_E10value_typeET4_jRbjT5_ST_jjP12ihipStream_tbEUlT_E2_NS1_11comp_targetILNS1_3genE2ELNS1_11target_archE906ELNS1_3gpuE6ELNS1_3repE0EEENS1_30default_config_static_selectorELNS0_4arch9wavefront6targetE0EEEvSH_
                                        ; -- End function
	.set _ZN7rocprim17ROCPRIM_400000_NS6detail17trampoline_kernelINS0_14default_configENS1_36segmented_radix_sort_config_selectorIllEEZNS1_25segmented_radix_sort_implIS3_Lb0EPKlPlS8_S9_N2at6native12_GLOBAL__N_18offset_tEEE10hipError_tPvRmT1_PNSt15iterator_traitsISH_E10value_typeET2_T3_PNSI_ISN_E10value_typeET4_jRbjT5_ST_jjP12ihipStream_tbEUlT_E2_NS1_11comp_targetILNS1_3genE2ELNS1_11target_archE906ELNS1_3gpuE6ELNS1_3repE0EEENS1_30default_config_static_selectorELNS0_4arch9wavefront6targetE0EEEvSH_.num_vgpr, 0
	.set _ZN7rocprim17ROCPRIM_400000_NS6detail17trampoline_kernelINS0_14default_configENS1_36segmented_radix_sort_config_selectorIllEEZNS1_25segmented_radix_sort_implIS3_Lb0EPKlPlS8_S9_N2at6native12_GLOBAL__N_18offset_tEEE10hipError_tPvRmT1_PNSt15iterator_traitsISH_E10value_typeET2_T3_PNSI_ISN_E10value_typeET4_jRbjT5_ST_jjP12ihipStream_tbEUlT_E2_NS1_11comp_targetILNS1_3genE2ELNS1_11target_archE906ELNS1_3gpuE6ELNS1_3repE0EEENS1_30default_config_static_selectorELNS0_4arch9wavefront6targetE0EEEvSH_.num_agpr, 0
	.set _ZN7rocprim17ROCPRIM_400000_NS6detail17trampoline_kernelINS0_14default_configENS1_36segmented_radix_sort_config_selectorIllEEZNS1_25segmented_radix_sort_implIS3_Lb0EPKlPlS8_S9_N2at6native12_GLOBAL__N_18offset_tEEE10hipError_tPvRmT1_PNSt15iterator_traitsISH_E10value_typeET2_T3_PNSI_ISN_E10value_typeET4_jRbjT5_ST_jjP12ihipStream_tbEUlT_E2_NS1_11comp_targetILNS1_3genE2ELNS1_11target_archE906ELNS1_3gpuE6ELNS1_3repE0EEENS1_30default_config_static_selectorELNS0_4arch9wavefront6targetE0EEEvSH_.numbered_sgpr, 0
	.set _ZN7rocprim17ROCPRIM_400000_NS6detail17trampoline_kernelINS0_14default_configENS1_36segmented_radix_sort_config_selectorIllEEZNS1_25segmented_radix_sort_implIS3_Lb0EPKlPlS8_S9_N2at6native12_GLOBAL__N_18offset_tEEE10hipError_tPvRmT1_PNSt15iterator_traitsISH_E10value_typeET2_T3_PNSI_ISN_E10value_typeET4_jRbjT5_ST_jjP12ihipStream_tbEUlT_E2_NS1_11comp_targetILNS1_3genE2ELNS1_11target_archE906ELNS1_3gpuE6ELNS1_3repE0EEENS1_30default_config_static_selectorELNS0_4arch9wavefront6targetE0EEEvSH_.num_named_barrier, 0
	.set _ZN7rocprim17ROCPRIM_400000_NS6detail17trampoline_kernelINS0_14default_configENS1_36segmented_radix_sort_config_selectorIllEEZNS1_25segmented_radix_sort_implIS3_Lb0EPKlPlS8_S9_N2at6native12_GLOBAL__N_18offset_tEEE10hipError_tPvRmT1_PNSt15iterator_traitsISH_E10value_typeET2_T3_PNSI_ISN_E10value_typeET4_jRbjT5_ST_jjP12ihipStream_tbEUlT_E2_NS1_11comp_targetILNS1_3genE2ELNS1_11target_archE906ELNS1_3gpuE6ELNS1_3repE0EEENS1_30default_config_static_selectorELNS0_4arch9wavefront6targetE0EEEvSH_.private_seg_size, 0
	.set _ZN7rocprim17ROCPRIM_400000_NS6detail17trampoline_kernelINS0_14default_configENS1_36segmented_radix_sort_config_selectorIllEEZNS1_25segmented_radix_sort_implIS3_Lb0EPKlPlS8_S9_N2at6native12_GLOBAL__N_18offset_tEEE10hipError_tPvRmT1_PNSt15iterator_traitsISH_E10value_typeET2_T3_PNSI_ISN_E10value_typeET4_jRbjT5_ST_jjP12ihipStream_tbEUlT_E2_NS1_11comp_targetILNS1_3genE2ELNS1_11target_archE906ELNS1_3gpuE6ELNS1_3repE0EEENS1_30default_config_static_selectorELNS0_4arch9wavefront6targetE0EEEvSH_.uses_vcc, 0
	.set _ZN7rocprim17ROCPRIM_400000_NS6detail17trampoline_kernelINS0_14default_configENS1_36segmented_radix_sort_config_selectorIllEEZNS1_25segmented_radix_sort_implIS3_Lb0EPKlPlS8_S9_N2at6native12_GLOBAL__N_18offset_tEEE10hipError_tPvRmT1_PNSt15iterator_traitsISH_E10value_typeET2_T3_PNSI_ISN_E10value_typeET4_jRbjT5_ST_jjP12ihipStream_tbEUlT_E2_NS1_11comp_targetILNS1_3genE2ELNS1_11target_archE906ELNS1_3gpuE6ELNS1_3repE0EEENS1_30default_config_static_selectorELNS0_4arch9wavefront6targetE0EEEvSH_.uses_flat_scratch, 0
	.set _ZN7rocprim17ROCPRIM_400000_NS6detail17trampoline_kernelINS0_14default_configENS1_36segmented_radix_sort_config_selectorIllEEZNS1_25segmented_radix_sort_implIS3_Lb0EPKlPlS8_S9_N2at6native12_GLOBAL__N_18offset_tEEE10hipError_tPvRmT1_PNSt15iterator_traitsISH_E10value_typeET2_T3_PNSI_ISN_E10value_typeET4_jRbjT5_ST_jjP12ihipStream_tbEUlT_E2_NS1_11comp_targetILNS1_3genE2ELNS1_11target_archE906ELNS1_3gpuE6ELNS1_3repE0EEENS1_30default_config_static_selectorELNS0_4arch9wavefront6targetE0EEEvSH_.has_dyn_sized_stack, 0
	.set _ZN7rocprim17ROCPRIM_400000_NS6detail17trampoline_kernelINS0_14default_configENS1_36segmented_radix_sort_config_selectorIllEEZNS1_25segmented_radix_sort_implIS3_Lb0EPKlPlS8_S9_N2at6native12_GLOBAL__N_18offset_tEEE10hipError_tPvRmT1_PNSt15iterator_traitsISH_E10value_typeET2_T3_PNSI_ISN_E10value_typeET4_jRbjT5_ST_jjP12ihipStream_tbEUlT_E2_NS1_11comp_targetILNS1_3genE2ELNS1_11target_archE906ELNS1_3gpuE6ELNS1_3repE0EEENS1_30default_config_static_selectorELNS0_4arch9wavefront6targetE0EEEvSH_.has_recursion, 0
	.set _ZN7rocprim17ROCPRIM_400000_NS6detail17trampoline_kernelINS0_14default_configENS1_36segmented_radix_sort_config_selectorIllEEZNS1_25segmented_radix_sort_implIS3_Lb0EPKlPlS8_S9_N2at6native12_GLOBAL__N_18offset_tEEE10hipError_tPvRmT1_PNSt15iterator_traitsISH_E10value_typeET2_T3_PNSI_ISN_E10value_typeET4_jRbjT5_ST_jjP12ihipStream_tbEUlT_E2_NS1_11comp_targetILNS1_3genE2ELNS1_11target_archE906ELNS1_3gpuE6ELNS1_3repE0EEENS1_30default_config_static_selectorELNS0_4arch9wavefront6targetE0EEEvSH_.has_indirect_call, 0
	.section	.AMDGPU.csdata,"",@progbits
; Kernel info:
; codeLenInByte = 0
; TotalNumSgprs: 0
; NumVgprs: 0
; ScratchSize: 0
; MemoryBound: 0
; FloatMode: 240
; IeeeMode: 1
; LDSByteSize: 0 bytes/workgroup (compile time only)
; SGPRBlocks: 0
; VGPRBlocks: 0
; NumSGPRsForWavesPerEU: 1
; NumVGPRsForWavesPerEU: 1
; Occupancy: 16
; WaveLimiterHint : 0
; COMPUTE_PGM_RSRC2:SCRATCH_EN: 0
; COMPUTE_PGM_RSRC2:USER_SGPR: 2
; COMPUTE_PGM_RSRC2:TRAP_HANDLER: 0
; COMPUTE_PGM_RSRC2:TGID_X_EN: 1
; COMPUTE_PGM_RSRC2:TGID_Y_EN: 0
; COMPUTE_PGM_RSRC2:TGID_Z_EN: 0
; COMPUTE_PGM_RSRC2:TIDIG_COMP_CNT: 0
	.section	.text._ZN7rocprim17ROCPRIM_400000_NS6detail17trampoline_kernelINS0_14default_configENS1_36segmented_radix_sort_config_selectorIllEEZNS1_25segmented_radix_sort_implIS3_Lb0EPKlPlS8_S9_N2at6native12_GLOBAL__N_18offset_tEEE10hipError_tPvRmT1_PNSt15iterator_traitsISH_E10value_typeET2_T3_PNSI_ISN_E10value_typeET4_jRbjT5_ST_jjP12ihipStream_tbEUlT_E2_NS1_11comp_targetILNS1_3genE10ELNS1_11target_archE1201ELNS1_3gpuE5ELNS1_3repE0EEENS1_30default_config_static_selectorELNS0_4arch9wavefront6targetE0EEEvSH_,"axG",@progbits,_ZN7rocprim17ROCPRIM_400000_NS6detail17trampoline_kernelINS0_14default_configENS1_36segmented_radix_sort_config_selectorIllEEZNS1_25segmented_radix_sort_implIS3_Lb0EPKlPlS8_S9_N2at6native12_GLOBAL__N_18offset_tEEE10hipError_tPvRmT1_PNSt15iterator_traitsISH_E10value_typeET2_T3_PNSI_ISN_E10value_typeET4_jRbjT5_ST_jjP12ihipStream_tbEUlT_E2_NS1_11comp_targetILNS1_3genE10ELNS1_11target_archE1201ELNS1_3gpuE5ELNS1_3repE0EEENS1_30default_config_static_selectorELNS0_4arch9wavefront6targetE0EEEvSH_,comdat
	.globl	_ZN7rocprim17ROCPRIM_400000_NS6detail17trampoline_kernelINS0_14default_configENS1_36segmented_radix_sort_config_selectorIllEEZNS1_25segmented_radix_sort_implIS3_Lb0EPKlPlS8_S9_N2at6native12_GLOBAL__N_18offset_tEEE10hipError_tPvRmT1_PNSt15iterator_traitsISH_E10value_typeET2_T3_PNSI_ISN_E10value_typeET4_jRbjT5_ST_jjP12ihipStream_tbEUlT_E2_NS1_11comp_targetILNS1_3genE10ELNS1_11target_archE1201ELNS1_3gpuE5ELNS1_3repE0EEENS1_30default_config_static_selectorELNS0_4arch9wavefront6targetE0EEEvSH_ ; -- Begin function _ZN7rocprim17ROCPRIM_400000_NS6detail17trampoline_kernelINS0_14default_configENS1_36segmented_radix_sort_config_selectorIllEEZNS1_25segmented_radix_sort_implIS3_Lb0EPKlPlS8_S9_N2at6native12_GLOBAL__N_18offset_tEEE10hipError_tPvRmT1_PNSt15iterator_traitsISH_E10value_typeET2_T3_PNSI_ISN_E10value_typeET4_jRbjT5_ST_jjP12ihipStream_tbEUlT_E2_NS1_11comp_targetILNS1_3genE10ELNS1_11target_archE1201ELNS1_3gpuE5ELNS1_3repE0EEENS1_30default_config_static_selectorELNS0_4arch9wavefront6targetE0EEEvSH_
	.p2align	8
	.type	_ZN7rocprim17ROCPRIM_400000_NS6detail17trampoline_kernelINS0_14default_configENS1_36segmented_radix_sort_config_selectorIllEEZNS1_25segmented_radix_sort_implIS3_Lb0EPKlPlS8_S9_N2at6native12_GLOBAL__N_18offset_tEEE10hipError_tPvRmT1_PNSt15iterator_traitsISH_E10value_typeET2_T3_PNSI_ISN_E10value_typeET4_jRbjT5_ST_jjP12ihipStream_tbEUlT_E2_NS1_11comp_targetILNS1_3genE10ELNS1_11target_archE1201ELNS1_3gpuE5ELNS1_3repE0EEENS1_30default_config_static_selectorELNS0_4arch9wavefront6targetE0EEEvSH_,@function
_ZN7rocprim17ROCPRIM_400000_NS6detail17trampoline_kernelINS0_14default_configENS1_36segmented_radix_sort_config_selectorIllEEZNS1_25segmented_radix_sort_implIS3_Lb0EPKlPlS8_S9_N2at6native12_GLOBAL__N_18offset_tEEE10hipError_tPvRmT1_PNSt15iterator_traitsISH_E10value_typeET2_T3_PNSI_ISN_E10value_typeET4_jRbjT5_ST_jjP12ihipStream_tbEUlT_E2_NS1_11comp_targetILNS1_3genE10ELNS1_11target_archE1201ELNS1_3gpuE5ELNS1_3repE0EEENS1_30default_config_static_selectorELNS0_4arch9wavefront6targetE0EEEvSH_: ; @_ZN7rocprim17ROCPRIM_400000_NS6detail17trampoline_kernelINS0_14default_configENS1_36segmented_radix_sort_config_selectorIllEEZNS1_25segmented_radix_sort_implIS3_Lb0EPKlPlS8_S9_N2at6native12_GLOBAL__N_18offset_tEEE10hipError_tPvRmT1_PNSt15iterator_traitsISH_E10value_typeET2_T3_PNSI_ISN_E10value_typeET4_jRbjT5_ST_jjP12ihipStream_tbEUlT_E2_NS1_11comp_targetILNS1_3genE10ELNS1_11target_archE1201ELNS1_3gpuE5ELNS1_3repE0EEENS1_30default_config_static_selectorELNS0_4arch9wavefront6targetE0EEEvSH_
; %bb.0:
	s_load_b128 s[4:7], s[0:1], 0x34
	s_mov_b32 s32, 0
	s_wait_kmcnt 0x0
	s_add_co_i32 s33, s5, ttmp9
	s_add_co_i32 s51, s7, ttmp9
	s_mul_i32 s33, s33, s4
	s_mul_i32 s51, s51, s6
	s_delay_alu instid0(SALU_CYCLE_1)
	s_cmp_le_u32 s51, s33
	s_cbranch_scc1 .LBB842_1190
; %bb.1:
	s_clause 0x3
	s_load_b32 s2, s[0:1], 0x30
	s_load_b128 s[44:47], s[0:1], 0x20
	s_load_b96 s[48:50], s[0:1], 0x44
	s_load_b256 s[36:43], s[0:1], 0x0
	s_wait_kmcnt 0x0
	s_bitcmp1_b32 s2, 0
	s_mov_b32 s2, -1
	s_cselect_b32 s52, -1, 0
	s_sub_co_i32 s53, s51, s33
	s_delay_alu instid0(SALU_CYCLE_1)
	s_cmp_lt_u32 s53, 0x1001
	s_cbranch_scc0 .LBB842_15
; %bb.2:
	s_cmp_lt_u32 s53, 33
	s_cbranch_scc0 .LBB842_9
; %bb.3:
	s_load_b32 s2, s[0:1], 0x5c
	v_bfe_u32 v1, v0, 10, 10
	v_bfe_u32 v2, v0, 20, 10
	s_mov_b32 s16, exec_lo
	s_wait_kmcnt 0x0
	s_lshr_b32 s3, s2, 16
	s_and_b32 s2, s2, 0xffff
	v_mad_u32_u24 v2, v2, s3, v1
	v_and_b32_e32 v1, 0x3ff, v0
	s_delay_alu instid0(VALU_DEP_1) | instskip(NEXT) | instid1(VALU_DEP_1)
	v_mad_co_u64_u32 v[1:2], null, v2, s2, v[1:2]
	v_cmpx_gt_u32_e32 8, v1
	s_cbranch_execz .LBB842_8
; %bb.4:
	v_cndmask_b32_e64 v1, 0, 1, s52
	s_and_b32 s2, s48, 1
	s_wait_alu 0xfffe
	s_delay_alu instid0(VALU_DEP_1)
	v_cmp_ne_u32_e32 vcc_lo, s2, v1
	s_mov_b32 s2, -1
	s_cbranch_vccnz .LBB842_6
; %bb.5:
	s_mov_b64 s[2:3], src_shared_base
	v_dual_mov_b32 v31, v0 :: v_dual_mov_b32 v40, v0
	v_dual_mov_b32 v0, s36 :: v_dual_mov_b32 v1, s37
	;; [unrolled: 1-line block ×7, first 2 shown]
	s_wait_alu 0xfffe
	v_dual_mov_b32 v12, 0 :: v_dual_mov_b32 v13, s3
	s_add_nc_u64 s[8:9], s[0:1], 0x50
	s_getpc_b64 s[4:5]
	s_sext_i32_i16 s5, s5
	s_add_co_u32 s4, s4, _ZN7rocprim17ROCPRIM_400000_NS6detail26segmented_warp_sort_helperINS1_20WarpSortHelperConfigILj8ELj4ELj256EEEllLi256ELb0EvE4sortIPKlPlS8_S9_EEvT_T0_T1_T2_jjjjRNS5_12storage_typeE@rel32@lo+8
	s_add_co_ci_u32 s5, s5, _ZN7rocprim17ROCPRIM_400000_NS6detail26segmented_warp_sort_helperINS1_20WarpSortHelperConfigILj8ELj4ELj256EEEllLi256ELb0EvE4sortIPKlPlS8_S9_EEvT_T0_T1_T2_jjjjRNS5_12storage_typeE@rel32@hi+16
	s_mov_b64 s[14:15], s[0:1]
	s_swappc_b64 s[30:31], s[4:5]
	v_mov_b32_e32 v0, v40
	s_mov_b64 s[0:1], s[14:15]
	s_mov_b32 s2, 0
.LBB842_6:
	s_wait_alu 0xfffe
	s_and_not1_b32 vcc_lo, exec_lo, s2
	s_wait_alu 0xfffe
	s_cbranch_vccnz .LBB842_8
; %bb.7:
	s_mov_b64 s[2:3], src_shared_base
	v_dual_mov_b32 v31, v0 :: v_dual_mov_b32 v40, v0
	v_dual_mov_b32 v0, s36 :: v_dual_mov_b32 v1, s37
	;; [unrolled: 1-line block ×7, first 2 shown]
	s_wait_alu 0xfffe
	v_dual_mov_b32 v12, 0 :: v_dual_mov_b32 v13, s3
	s_add_nc_u64 s[8:9], s[0:1], 0x50
	s_getpc_b64 s[4:5]
	s_wait_alu 0xfffe
	s_sext_i32_i16 s5, s5
	s_add_co_u32 s4, s4, _ZN7rocprim17ROCPRIM_400000_NS6detail26segmented_warp_sort_helperINS1_20WarpSortHelperConfigILj8ELj4ELj256EEEllLi256ELb0EvE4sortIPKlPlS8_S9_EEvT_T0_T1_T2_jjjjRNS5_12storage_typeE@rel32@lo+12
	s_wait_alu 0xfffe
	s_add_co_ci_u32 s5, s5, _ZN7rocprim17ROCPRIM_400000_NS6detail26segmented_warp_sort_helperINS1_20WarpSortHelperConfigILj8ELj4ELj256EEEllLi256ELb0EvE4sortIPKlPlS8_S9_EEvT_T0_T1_T2_jjjjRNS5_12storage_typeE@rel32@hi+24
	s_mov_b64 s[14:15], s[0:1]
	s_wait_alu 0xfffe
	s_swappc_b64 s[30:31], s[4:5]
	v_mov_b32_e32 v0, v40
	s_mov_b64 s[0:1], s[14:15]
.LBB842_8:
	s_or_b32 exec_lo, exec_lo, s16
	s_mov_b32 s2, 0
.LBB842_9:
	s_wait_alu 0xfffe
	s_and_not1_b32 vcc_lo, exec_lo, s2
	s_wait_alu 0xfffe
	s_cbranch_vccnz .LBB842_14
; %bb.10:
	v_cndmask_b32_e64 v1, 0, 1, s52
	s_and_b32 s2, s48, 1
	s_wait_alu 0xfffe
	s_delay_alu instid0(VALU_DEP_1)
	v_cmp_ne_u32_e32 vcc_lo, s2, v1
	s_mov_b32 s2, -1
	s_cbranch_vccnz .LBB842_12
; %bb.11:
	s_mov_b64 s[2:3], src_shared_base
	v_dual_mov_b32 v31, v0 :: v_dual_mov_b32 v40, v0
	v_dual_mov_b32 v0, s36 :: v_dual_mov_b32 v1, s37
	;; [unrolled: 1-line block ×7, first 2 shown]
	s_wait_alu 0xfffe
	v_dual_mov_b32 v12, 0 :: v_dual_mov_b32 v13, s3
	s_add_nc_u64 s[8:9], s[0:1], 0x50
	s_getpc_b64 s[4:5]
	s_wait_alu 0xfffe
	s_sext_i32_i16 s5, s5
	s_add_co_u32 s4, s4, _ZN7rocprim17ROCPRIM_400000_NS6detail40segmented_radix_sort_single_block_helperIllLj256ELj16ELb0EE4sortIPKlPlS6_S7_EEbT_T0_T1_T2_jjjjRNS3_12storage_typeE@rel32@lo+12
	s_wait_alu 0xfffe
	s_add_co_ci_u32 s5, s5, _ZN7rocprim17ROCPRIM_400000_NS6detail40segmented_radix_sort_single_block_helperIllLj256ELj16ELb0EE4sortIPKlPlS6_S7_EEbT_T0_T1_T2_jjjjRNS3_12storage_typeE@rel32@hi+24
	s_mov_b64 s[22:23], s[0:1]
	s_wait_alu 0xfffe
	s_swappc_b64 s[30:31], s[4:5]
	v_mov_b32_e32 v0, v40
	s_mov_b64 s[0:1], s[22:23]
	s_mov_b32 s2, 0
.LBB842_12:
	s_wait_alu 0xfffe
	s_and_not1_b32 vcc_lo, exec_lo, s2
	s_wait_alu 0xfffe
	s_cbranch_vccnz .LBB842_14
; %bb.13:
	s_mov_b64 s[2:3], src_shared_base
	v_dual_mov_b32 v31, v0 :: v_dual_mov_b32 v40, v0
	v_dual_mov_b32 v0, s36 :: v_dual_mov_b32 v1, s37
	v_dual_mov_b32 v2, s38 :: v_dual_mov_b32 v3, s39
	v_dual_mov_b32 v4, s42 :: v_dual_mov_b32 v5, s43
	v_dual_mov_b32 v6, s44 :: v_dual_mov_b32 v7, s45
	v_dual_mov_b32 v8, s33 :: v_dual_mov_b32 v9, s51
	v_dual_mov_b32 v10, s49 :: v_dual_mov_b32 v11, s50
	s_wait_alu 0xfffe
	v_dual_mov_b32 v12, 0 :: v_dual_mov_b32 v13, s3
	s_add_nc_u64 s[8:9], s[0:1], 0x50
	s_getpc_b64 s[4:5]
	s_wait_alu 0xfffe
	s_sext_i32_i16 s5, s5
	s_add_co_u32 s4, s4, _ZN7rocprim17ROCPRIM_400000_NS6detail40segmented_radix_sort_single_block_helperIllLj256ELj16ELb0EE4sortIPKlPlS6_S7_EEbT_T0_T1_T2_jjjjRNS3_12storage_typeE@rel32@lo+12
	s_wait_alu 0xfffe
	s_add_co_ci_u32 s5, s5, _ZN7rocprim17ROCPRIM_400000_NS6detail40segmented_radix_sort_single_block_helperIllLj256ELj16ELb0EE4sortIPKlPlS6_S7_EEbT_T0_T1_T2_jjjjRNS3_12storage_typeE@rel32@hi+24
	s_mov_b64 s[22:23], s[0:1]
	s_wait_alu 0xfffe
	s_swappc_b64 s[30:31], s[4:5]
	v_mov_b32_e32 v0, v40
	s_mov_b64 s[0:1], s[22:23]
.LBB842_14:
	s_mov_b32 s2, 0
.LBB842_15:
	s_wait_alu 0xfffe
	s_and_not1_b32 vcc_lo, exec_lo, s2
	s_wait_alu 0xfffe
	s_cbranch_vccnz .LBB842_1190
; %bb.16:
	s_cmp_ge_u32 s49, s50
	s_cbranch_scc1 .LBB842_1190
; %bb.17:
	v_and_b32_e32 v1, 0x3ff, v0
	v_lshrrev_b32_e32 v5, 3, v0
	v_dual_mov_b32 v3, 0 :: v_dual_and_b32 v2, 3, v0
	v_bfe_u32 v104, v0, 20, 10
	s_delay_alu instid0(VALU_DEP_4) | instskip(NEXT) | instid1(VALU_DEP_4)
	v_lshlrev_b32_e32 v4, 3, v1
	v_and_b32_e32 v97, 28, v5
	v_lshlrev_b32_e32 v5, 4, v1
	v_lshlrev_b32_e32 v96, 2, v2
	v_bfe_u32 v0, v0, 10, 10
	v_add_co_u32 v82, s2, s40, v4
	s_delay_alu instid0(VALU_DEP_4)
	v_and_b32_e32 v101, 0xe00, v5
	s_wait_alu 0xf1ff
	v_add_co_ci_u32_e64 v83, null, s41, 0, s2
	v_or_b32_e32 v99, 0x8400, v97
	v_add_nc_u32_e32 v103, 0x83fc, v97
	v_lshlrev_b32_e32 v5, 3, v101
	v_mbcnt_lo_u32_b32 v125, -1, 0
	s_mov_b32 s35, 0
	s_mov_b32 s31, s49
	;; [unrolled: 1-line block ×3, first 2 shown]
	v_add_co_u32 v106, s8, s46, v5
	s_wait_alu 0xf1ff
	v_add_co_ci_u32_e64 v107, null, s47, 0, s8
	v_add_co_u32 v108, s8, s40, v5
	s_wait_alu 0xf1ff
	v_add_co_ci_u32_e64 v109, null, s41, 0, s8
	;; [unrolled: 3-line block ×5, first 2 shown]
	v_add_co_u32 v117, s8, s36, v4
	v_mov_b32_e32 v4, -1
	v_dual_mov_b32 v123, 1 :: v_dual_lshlrev_b32 v78, 2, v1
	v_or_b32_e32 v2, 31, v1
	s_wait_alu 0xf1ff
	v_add_co_ci_u32_e64 v118, null, s37, 0, s8
	s_delay_alu instid0(VALU_DEP_3) | instskip(SKIP_3) | instid1(VALU_DEP_4)
	v_mad_u32_u24 v98, v1, 12, v78
	v_add_co_u32 v119, s8, s42, v5
	v_cmp_eq_u32_e64 s3, v1, v2
	v_lshlrev_b32_e32 v2, 5, v1
	v_mad_u32_u24 v102, v1, 20, v98
	s_wait_alu 0xf1ff
	v_add_co_ci_u32_e64 v120, null, s43, 0, s8
	v_add_co_u32 v121, s8, s36, v5
	s_delay_alu instid0(VALU_DEP_3)
	v_sub_nc_u32_e32 v105, v102, v2
	v_or_b32_e32 v79, 0x100, v1
	v_or_b32_e32 v80, 0x200, v1
	;; [unrolled: 1-line block ×15, first 2 shown]
	v_cmp_gt_u32_e64 s2, 0x100, v1
	v_cmp_gt_u32_e64 s4, 8, v1
	v_add_nc_u32_e32 v100, 0x8400, v78
	v_cmp_lt_u32_e64 s5, 31, v1
	v_cmp_eq_u32_e64 s6, 0, v1
	v_cmp_ne_u32_e64 s7, 0xff, v1
	v_add_nc_u32_e32 v110, v105, v78
	s_wait_alu 0xf1ff
	v_add_co_ci_u32_e64 v122, null, s37, 0, s8
	v_lshlrev_b32_e32 v124, 3, v1
	v_bfrev_b32_e32 v5, -2
	s_add_nc_u64 s[42:43], s[0:1], 0x50
	s_branch .LBB842_20
.LBB842_18:                             ;   in Loop: Header=BB842_20 Depth=1
	s_wait_loadcnt_dscnt 0x0
	s_barrier_signal -1
	s_barrier_wait -1
.LBB842_19:                             ;   in Loop: Header=BB842_20 Depth=1
	s_add_co_i32 s48, s48, 8
	global_inv scope:SCOPE_SE
	s_wait_alu 0xfffe
	s_cmp_ge_u32 s48, s50
	s_cbranch_scc1 .LBB842_1190
.LBB842_20:                             ; =>This Loop Header: Depth=1
                                        ;     Child Loop BB842_24 Depth 2
                                        ;     Child Loop BB842_104 Depth 2
	;; [unrolled: 1-line block ×8, first 2 shown]
	s_wait_alu 0xfffe
	s_sub_co_i32 s0, s50, s48
	s_xor_b32 s52, s52, -1
	s_wait_alu 0xfffe
	s_min_u32 s54, s0, 8
	s_cmp_lg_u32 s48, s49
	s_mov_b32 s0, -1
	ds_store_2addr_stride64_b32 v78, v3, v3 offset1:4
	ds_store_2addr_stride64_b32 v78, v3, v3 offset0:8 offset1:12
	s_wait_storecnt_dscnt 0x0
	s_cbranch_scc0 .LBB842_606
; %bb.21:                               ;   in Loop: Header=BB842_20 Depth=1
	s_wait_alu 0xfffe
	s_lshl_b32 s0, -1, s54
	s_and_b32 vcc_lo, exec_lo, s52
	s_wait_alu 0xfffe
	s_not_b32 s55, s0
	s_mov_b32 s0, -1
	s_cbranch_vccz .LBB842_313
; %bb.22:                               ;   in Loop: Header=BB842_20 Depth=1
	s_mov_b32 s8, s53
	s_mov_b32 s34, s33
	s_barrier_signal -1
	s_barrier_wait -1
	global_inv scope:SCOPE_SE
                                        ; implicit-def: $vgpr6_vgpr7
                                        ; implicit-def: $vgpr8_vgpr9
                                        ; implicit-def: $vgpr10_vgpr11
                                        ; implicit-def: $vgpr12_vgpr13
                                        ; implicit-def: $vgpr14_vgpr15
                                        ; implicit-def: $vgpr16_vgpr17
                                        ; implicit-def: $vgpr18_vgpr19
                                        ; implicit-def: $vgpr20_vgpr21
                                        ; implicit-def: $vgpr22_vgpr23
                                        ; implicit-def: $vgpr24_vgpr25
                                        ; implicit-def: $vgpr26_vgpr27
                                        ; implicit-def: $vgpr28_vgpr29
                                        ; implicit-def: $vgpr30_vgpr31
                                        ; implicit-def: $vgpr32_vgpr33
                                        ; implicit-def: $vgpr34_vgpr35
                                        ; implicit-def: $vgpr36_vgpr37
	s_branch .LBB842_24
.LBB842_23:                             ;   in Loop: Header=BB842_24 Depth=2
	s_wait_alu 0xfffe
	s_or_b32 exec_lo, exec_lo, s0
	s_addk_co_i32 s8, 0xf000
	s_cmp_ge_u32 s9, s51
	s_mov_b32 s34, s9
	s_cbranch_scc1 .LBB842_92
.LBB842_24:                             ;   Parent Loop BB842_20 Depth=1
                                        ; =>  This Inner Loop Header: Depth=2
	s_wait_alu 0xfffe
	s_add_co_i32 s9, s34, 0x1000
	s_mov_b32 s0, -1
	s_wait_alu 0xfffe
	s_cmp_gt_u32 s9, s51
                                        ; implicit-def: $vgpr38_vgpr39
                                        ; implicit-def: $vgpr40_vgpr41
                                        ; implicit-def: $vgpr42_vgpr43
                                        ; implicit-def: $vgpr44_vgpr45
                                        ; implicit-def: $vgpr46_vgpr47
                                        ; implicit-def: $vgpr48_vgpr49
                                        ; implicit-def: $vgpr50_vgpr51
                                        ; implicit-def: $vgpr52_vgpr53
                                        ; implicit-def: $vgpr54_vgpr55
                                        ; implicit-def: $vgpr56_vgpr57
                                        ; implicit-def: $vgpr58_vgpr59
                                        ; implicit-def: $vgpr60_vgpr61
                                        ; implicit-def: $vgpr62_vgpr63
                                        ; implicit-def: $vgpr64_vgpr65
                                        ; implicit-def: $vgpr66_vgpr67
                                        ; implicit-def: $vgpr68_vgpr69
	s_cbranch_scc1 .LBB842_26
; %bb.25:                               ;   in Loop: Header=BB842_24 Depth=2
	s_lshl_b64 s[0:1], s[34:35], 3
	s_wait_alu 0xfffe
	v_add_co_u32 v68, vcc_lo, v82, s0
	s_wait_alu 0xfffd
	v_add_co_ci_u32_e64 v69, null, s1, v83, vcc_lo
	s_mov_b32 s0, 0
	s_clause 0xf
	global_load_b64 v[38:39], v[68:69], off
	global_load_b64 v[40:41], v[68:69], off offset:2048
	global_load_b64 v[42:43], v[68:69], off offset:4096
	;; [unrolled: 1-line block ×15, first 2 shown]
.LBB842_26:                             ;   in Loop: Header=BB842_24 Depth=2
	s_wait_alu 0xfffe
	s_and_not1_b32 vcc_lo, exec_lo, s0
	s_movk_i32 s0, 0x1000
	s_wait_alu 0xfffe
	s_cbranch_vccnz .LBB842_45
; %bb.27:                               ;   in Loop: Header=BB842_24 Depth=2
	s_lshl_b64 s[0:1], s[34:35], 3
	s_mov_b32 s10, exec_lo
	s_wait_alu 0xfffe
	s_add_nc_u64 s[0:1], s[40:41], s[0:1]
	v_cmpx_gt_u32_e64 s8, v1
	s_cbranch_execnz .LBB842_77
; %bb.28:                               ;   in Loop: Header=BB842_24 Depth=2
	s_or_b32 exec_lo, exec_lo, s10
	s_delay_alu instid0(SALU_CYCLE_1)
	s_mov_b32 s10, exec_lo
	v_cmpx_gt_u32_e64 s8, v79
	s_cbranch_execnz .LBB842_78
.LBB842_29:                             ;   in Loop: Header=BB842_24 Depth=2
	s_wait_alu 0xfffe
	s_or_b32 exec_lo, exec_lo, s10
	s_delay_alu instid0(SALU_CYCLE_1)
	s_mov_b32 s10, exec_lo
	v_cmpx_gt_u32_e64 s8, v80
	s_cbranch_execnz .LBB842_79
.LBB842_30:                             ;   in Loop: Header=BB842_24 Depth=2
	s_wait_alu 0xfffe
	s_or_b32 exec_lo, exec_lo, s10
	s_delay_alu instid0(SALU_CYCLE_1)
	s_mov_b32 s10, exec_lo
	v_cmpx_gt_u32_e64 s8, v81
	s_cbranch_execnz .LBB842_80
.LBB842_31:                             ;   in Loop: Header=BB842_24 Depth=2
	s_wait_alu 0xfffe
	s_or_b32 exec_lo, exec_lo, s10
	s_delay_alu instid0(SALU_CYCLE_1)
	s_mov_b32 s10, exec_lo
	v_cmpx_gt_u32_e64 s8, v84
	s_cbranch_execnz .LBB842_81
.LBB842_32:                             ;   in Loop: Header=BB842_24 Depth=2
	s_wait_alu 0xfffe
	s_or_b32 exec_lo, exec_lo, s10
	s_delay_alu instid0(SALU_CYCLE_1)
	s_mov_b32 s10, exec_lo
	v_cmpx_gt_u32_e64 s8, v85
	s_cbranch_execnz .LBB842_82
.LBB842_33:                             ;   in Loop: Header=BB842_24 Depth=2
	s_wait_alu 0xfffe
	s_or_b32 exec_lo, exec_lo, s10
	s_delay_alu instid0(SALU_CYCLE_1)
	s_mov_b32 s10, exec_lo
	v_cmpx_gt_u32_e64 s8, v86
	s_cbranch_execnz .LBB842_83
.LBB842_34:                             ;   in Loop: Header=BB842_24 Depth=2
	s_wait_alu 0xfffe
	s_or_b32 exec_lo, exec_lo, s10
	s_delay_alu instid0(SALU_CYCLE_1)
	s_mov_b32 s10, exec_lo
	v_cmpx_gt_u32_e64 s8, v87
	s_cbranch_execnz .LBB842_84
.LBB842_35:                             ;   in Loop: Header=BB842_24 Depth=2
	s_wait_alu 0xfffe
	s_or_b32 exec_lo, exec_lo, s10
	s_delay_alu instid0(SALU_CYCLE_1)
	s_mov_b32 s10, exec_lo
	v_cmpx_gt_u32_e64 s8, v88
	s_cbranch_execnz .LBB842_85
.LBB842_36:                             ;   in Loop: Header=BB842_24 Depth=2
	s_wait_alu 0xfffe
	s_or_b32 exec_lo, exec_lo, s10
	s_delay_alu instid0(SALU_CYCLE_1)
	s_mov_b32 s10, exec_lo
	v_cmpx_gt_u32_e64 s8, v89
	s_cbranch_execnz .LBB842_86
.LBB842_37:                             ;   in Loop: Header=BB842_24 Depth=2
	s_wait_alu 0xfffe
	s_or_b32 exec_lo, exec_lo, s10
	s_delay_alu instid0(SALU_CYCLE_1)
	s_mov_b32 s10, exec_lo
	v_cmpx_gt_u32_e64 s8, v90
	s_cbranch_execnz .LBB842_87
.LBB842_38:                             ;   in Loop: Header=BB842_24 Depth=2
	s_wait_alu 0xfffe
	s_or_b32 exec_lo, exec_lo, s10
	s_delay_alu instid0(SALU_CYCLE_1)
	s_mov_b32 s10, exec_lo
	v_cmpx_gt_u32_e64 s8, v91
	s_cbranch_execnz .LBB842_88
.LBB842_39:                             ;   in Loop: Header=BB842_24 Depth=2
	s_wait_alu 0xfffe
	s_or_b32 exec_lo, exec_lo, s10
	s_delay_alu instid0(SALU_CYCLE_1)
	s_mov_b32 s10, exec_lo
	v_cmpx_gt_u32_e64 s8, v92
	s_cbranch_execnz .LBB842_89
.LBB842_40:                             ;   in Loop: Header=BB842_24 Depth=2
	s_wait_alu 0xfffe
	s_or_b32 exec_lo, exec_lo, s10
	s_delay_alu instid0(SALU_CYCLE_1)
	s_mov_b32 s10, exec_lo
	v_cmpx_gt_u32_e64 s8, v93
	s_cbranch_execnz .LBB842_90
.LBB842_41:                             ;   in Loop: Header=BB842_24 Depth=2
	s_wait_alu 0xfffe
	s_or_b32 exec_lo, exec_lo, s10
	s_delay_alu instid0(SALU_CYCLE_1)
	s_mov_b32 s10, exec_lo
	v_cmpx_gt_u32_e64 s8, v94
	s_cbranch_execnz .LBB842_91
.LBB842_42:                             ;   in Loop: Header=BB842_24 Depth=2
	s_wait_alu 0xfffe
	s_or_b32 exec_lo, exec_lo, s10
	s_delay_alu instid0(SALU_CYCLE_1)
	s_mov_b32 s10, exec_lo
	v_cmpx_gt_u32_e64 s8, v95
	s_cbranch_execz .LBB842_44
.LBB842_43:                             ;   in Loop: Header=BB842_24 Depth=2
	global_load_b64 v[6:7], v124, s[0:1] offset:30720
.LBB842_44:                             ;   in Loop: Header=BB842_24 Depth=2
	s_wait_alu 0xfffe
	s_or_b32 exec_lo, exec_lo, s10
	s_wait_loadcnt 0x0
	v_dual_mov_b32 v39, v37 :: v_dual_mov_b32 v38, v36
	v_dual_mov_b32 v41, v35 :: v_dual_mov_b32 v40, v34
	;; [unrolled: 1-line block ×16, first 2 shown]
	s_mov_b32 s0, s8
.LBB842_45:                             ;   in Loop: Header=BB842_24 Depth=2
	s_wait_loadcnt 0x0
	s_delay_alu instid0(VALU_DEP_1)
	v_dual_mov_b32 v6, v68 :: v_dual_mov_b32 v7, v69
	v_dual_mov_b32 v8, v66 :: v_dual_mov_b32 v9, v67
	;; [unrolled: 1-line block ×16, first 2 shown]
	s_mov_b32 s1, exec_lo
	s_wait_alu 0xfffe
	v_cmpx_gt_u32_e64 s0, v1
	s_cbranch_execnz .LBB842_61
; %bb.46:                               ;   in Loop: Header=BB842_24 Depth=2
	s_or_b32 exec_lo, exec_lo, s1
	s_delay_alu instid0(SALU_CYCLE_1)
	s_mov_b32 s1, exec_lo
	v_cmpx_gt_u32_e64 s0, v79
	s_cbranch_execnz .LBB842_62
.LBB842_47:                             ;   in Loop: Header=BB842_24 Depth=2
	s_wait_alu 0xfffe
	s_or_b32 exec_lo, exec_lo, s1
	s_delay_alu instid0(SALU_CYCLE_1)
	s_mov_b32 s1, exec_lo
	v_cmpx_gt_u32_e64 s0, v80
	s_cbranch_execnz .LBB842_63
.LBB842_48:                             ;   in Loop: Header=BB842_24 Depth=2
	s_wait_alu 0xfffe
	s_or_b32 exec_lo, exec_lo, s1
	s_delay_alu instid0(SALU_CYCLE_1)
	s_mov_b32 s1, exec_lo
	v_cmpx_gt_u32_e64 s0, v81
	s_cbranch_execnz .LBB842_64
.LBB842_49:                             ;   in Loop: Header=BB842_24 Depth=2
	s_wait_alu 0xfffe
	s_or_b32 exec_lo, exec_lo, s1
	s_delay_alu instid0(SALU_CYCLE_1)
	s_mov_b32 s1, exec_lo
	v_cmpx_gt_u32_e64 s0, v84
	s_cbranch_execnz .LBB842_65
.LBB842_50:                             ;   in Loop: Header=BB842_24 Depth=2
	s_wait_alu 0xfffe
	s_or_b32 exec_lo, exec_lo, s1
	s_delay_alu instid0(SALU_CYCLE_1)
	s_mov_b32 s1, exec_lo
	v_cmpx_gt_u32_e64 s0, v85
	s_cbranch_execnz .LBB842_66
.LBB842_51:                             ;   in Loop: Header=BB842_24 Depth=2
	s_wait_alu 0xfffe
	s_or_b32 exec_lo, exec_lo, s1
	s_delay_alu instid0(SALU_CYCLE_1)
	s_mov_b32 s1, exec_lo
	v_cmpx_gt_u32_e64 s0, v86
	s_cbranch_execnz .LBB842_67
.LBB842_52:                             ;   in Loop: Header=BB842_24 Depth=2
	s_wait_alu 0xfffe
	s_or_b32 exec_lo, exec_lo, s1
	s_delay_alu instid0(SALU_CYCLE_1)
	s_mov_b32 s1, exec_lo
	v_cmpx_gt_u32_e64 s0, v87
	s_cbranch_execnz .LBB842_68
.LBB842_53:                             ;   in Loop: Header=BB842_24 Depth=2
	s_wait_alu 0xfffe
	s_or_b32 exec_lo, exec_lo, s1
	s_delay_alu instid0(SALU_CYCLE_1)
	s_mov_b32 s1, exec_lo
	v_cmpx_gt_u32_e64 s0, v88
	s_cbranch_execnz .LBB842_69
.LBB842_54:                             ;   in Loop: Header=BB842_24 Depth=2
	s_wait_alu 0xfffe
	s_or_b32 exec_lo, exec_lo, s1
	s_delay_alu instid0(SALU_CYCLE_1)
	s_mov_b32 s1, exec_lo
	v_cmpx_gt_u32_e64 s0, v89
	s_cbranch_execnz .LBB842_70
.LBB842_55:                             ;   in Loop: Header=BB842_24 Depth=2
	s_wait_alu 0xfffe
	s_or_b32 exec_lo, exec_lo, s1
	s_delay_alu instid0(SALU_CYCLE_1)
	s_mov_b32 s1, exec_lo
	v_cmpx_gt_u32_e64 s0, v90
	s_cbranch_execnz .LBB842_71
.LBB842_56:                             ;   in Loop: Header=BB842_24 Depth=2
	s_wait_alu 0xfffe
	s_or_b32 exec_lo, exec_lo, s1
	s_delay_alu instid0(SALU_CYCLE_1)
	s_mov_b32 s1, exec_lo
	v_cmpx_gt_u32_e64 s0, v91
	s_cbranch_execnz .LBB842_72
.LBB842_57:                             ;   in Loop: Header=BB842_24 Depth=2
	s_wait_alu 0xfffe
	s_or_b32 exec_lo, exec_lo, s1
	s_delay_alu instid0(SALU_CYCLE_1)
	s_mov_b32 s1, exec_lo
	v_cmpx_gt_u32_e64 s0, v92
	s_cbranch_execnz .LBB842_73
.LBB842_58:                             ;   in Loop: Header=BB842_24 Depth=2
	s_wait_alu 0xfffe
	s_or_b32 exec_lo, exec_lo, s1
	s_delay_alu instid0(SALU_CYCLE_1)
	s_mov_b32 s1, exec_lo
	v_cmpx_gt_u32_e64 s0, v93
	s_cbranch_execnz .LBB842_74
.LBB842_59:                             ;   in Loop: Header=BB842_24 Depth=2
	s_wait_alu 0xfffe
	s_or_b32 exec_lo, exec_lo, s1
	s_delay_alu instid0(SALU_CYCLE_1)
	s_mov_b32 s1, exec_lo
	v_cmpx_gt_u32_e64 s0, v94
	s_cbranch_execnz .LBB842_75
.LBB842_60:                             ;   in Loop: Header=BB842_24 Depth=2
	s_wait_alu 0xfffe
	s_or_b32 exec_lo, exec_lo, s1
	v_cmp_gt_u32_e32 vcc_lo, s0, v95
	s_and_saveexec_b32 s0, vcc_lo
	s_cbranch_execz .LBB842_23
	s_branch .LBB842_76
.LBB842_61:                             ;   in Loop: Header=BB842_24 Depth=2
	v_xor_b32_e32 v39, 0x80000000, v37
	v_mov_b32_e32 v38, v36
	s_delay_alu instid0(VALU_DEP_1) | instskip(NEXT) | instid1(VALU_DEP_1)
	v_lshrrev_b64 v[38:39], s48, v[38:39]
	v_and_b32_e32 v2, s55, v38
	s_delay_alu instid0(VALU_DEP_1) | instskip(SKIP_2) | instid1(SALU_CYCLE_1)
	v_lshl_or_b32 v2, v2, 4, v96
	ds_add_u32 v2, v123
	s_or_b32 exec_lo, exec_lo, s1
	s_mov_b32 s1, exec_lo
	v_cmpx_gt_u32_e64 s0, v79
	s_cbranch_execz .LBB842_47
.LBB842_62:                             ;   in Loop: Header=BB842_24 Depth=2
	v_xor_b32_e32 v39, 0x80000000, v35
	v_mov_b32_e32 v38, v34
	s_delay_alu instid0(VALU_DEP_1) | instskip(NEXT) | instid1(VALU_DEP_1)
	v_lshrrev_b64 v[38:39], s48, v[38:39]
	v_and_b32_e32 v2, s55, v38
	s_delay_alu instid0(VALU_DEP_1) | instskip(SKIP_3) | instid1(SALU_CYCLE_1)
	v_lshl_or_b32 v2, v2, 4, v96
	ds_add_u32 v2, v123
	s_wait_alu 0xfffe
	s_or_b32 exec_lo, exec_lo, s1
	s_mov_b32 s1, exec_lo
	v_cmpx_gt_u32_e64 s0, v80
	s_cbranch_execz .LBB842_48
.LBB842_63:                             ;   in Loop: Header=BB842_24 Depth=2
	v_xor_b32_e32 v39, 0x80000000, v33
	v_mov_b32_e32 v38, v32
	s_delay_alu instid0(VALU_DEP_1) | instskip(NEXT) | instid1(VALU_DEP_1)
	v_lshrrev_b64 v[38:39], s48, v[38:39]
	v_and_b32_e32 v2, s55, v38
	s_delay_alu instid0(VALU_DEP_1) | instskip(SKIP_3) | instid1(SALU_CYCLE_1)
	v_lshl_or_b32 v2, v2, 4, v96
	ds_add_u32 v2, v123
	s_wait_alu 0xfffe
	s_or_b32 exec_lo, exec_lo, s1
	s_mov_b32 s1, exec_lo
	v_cmpx_gt_u32_e64 s0, v81
	s_cbranch_execz .LBB842_49
.LBB842_64:                             ;   in Loop: Header=BB842_24 Depth=2
	v_xor_b32_e32 v39, 0x80000000, v31
	v_mov_b32_e32 v38, v30
	s_delay_alu instid0(VALU_DEP_1) | instskip(NEXT) | instid1(VALU_DEP_1)
	v_lshrrev_b64 v[38:39], s48, v[38:39]
	v_and_b32_e32 v2, s55, v38
	s_delay_alu instid0(VALU_DEP_1) | instskip(SKIP_3) | instid1(SALU_CYCLE_1)
	v_lshl_or_b32 v2, v2, 4, v96
	ds_add_u32 v2, v123
	s_wait_alu 0xfffe
	s_or_b32 exec_lo, exec_lo, s1
	s_mov_b32 s1, exec_lo
	v_cmpx_gt_u32_e64 s0, v84
	s_cbranch_execz .LBB842_50
.LBB842_65:                             ;   in Loop: Header=BB842_24 Depth=2
	v_xor_b32_e32 v39, 0x80000000, v29
	v_mov_b32_e32 v38, v28
	s_delay_alu instid0(VALU_DEP_1) | instskip(NEXT) | instid1(VALU_DEP_1)
	v_lshrrev_b64 v[38:39], s48, v[38:39]
	v_and_b32_e32 v2, s55, v38
	s_delay_alu instid0(VALU_DEP_1) | instskip(SKIP_3) | instid1(SALU_CYCLE_1)
	v_lshl_or_b32 v2, v2, 4, v96
	ds_add_u32 v2, v123
	s_wait_alu 0xfffe
	s_or_b32 exec_lo, exec_lo, s1
	s_mov_b32 s1, exec_lo
	v_cmpx_gt_u32_e64 s0, v85
	s_cbranch_execz .LBB842_51
.LBB842_66:                             ;   in Loop: Header=BB842_24 Depth=2
	v_xor_b32_e32 v39, 0x80000000, v27
	v_mov_b32_e32 v38, v26
	s_delay_alu instid0(VALU_DEP_1) | instskip(NEXT) | instid1(VALU_DEP_1)
	v_lshrrev_b64 v[38:39], s48, v[38:39]
	v_and_b32_e32 v2, s55, v38
	s_delay_alu instid0(VALU_DEP_1) | instskip(SKIP_3) | instid1(SALU_CYCLE_1)
	v_lshl_or_b32 v2, v2, 4, v96
	ds_add_u32 v2, v123
	s_wait_alu 0xfffe
	s_or_b32 exec_lo, exec_lo, s1
	s_mov_b32 s1, exec_lo
	v_cmpx_gt_u32_e64 s0, v86
	s_cbranch_execz .LBB842_52
.LBB842_67:                             ;   in Loop: Header=BB842_24 Depth=2
	v_xor_b32_e32 v39, 0x80000000, v25
	v_mov_b32_e32 v38, v24
	s_delay_alu instid0(VALU_DEP_1) | instskip(NEXT) | instid1(VALU_DEP_1)
	v_lshrrev_b64 v[38:39], s48, v[38:39]
	v_and_b32_e32 v2, s55, v38
	s_delay_alu instid0(VALU_DEP_1) | instskip(SKIP_3) | instid1(SALU_CYCLE_1)
	v_lshl_or_b32 v2, v2, 4, v96
	ds_add_u32 v2, v123
	s_wait_alu 0xfffe
	s_or_b32 exec_lo, exec_lo, s1
	s_mov_b32 s1, exec_lo
	v_cmpx_gt_u32_e64 s0, v87
	s_cbranch_execz .LBB842_53
.LBB842_68:                             ;   in Loop: Header=BB842_24 Depth=2
	v_xor_b32_e32 v39, 0x80000000, v23
	v_mov_b32_e32 v38, v22
	s_delay_alu instid0(VALU_DEP_1) | instskip(NEXT) | instid1(VALU_DEP_1)
	v_lshrrev_b64 v[38:39], s48, v[38:39]
	v_and_b32_e32 v2, s55, v38
	s_delay_alu instid0(VALU_DEP_1) | instskip(SKIP_3) | instid1(SALU_CYCLE_1)
	v_lshl_or_b32 v2, v2, 4, v96
	ds_add_u32 v2, v123
	s_wait_alu 0xfffe
	s_or_b32 exec_lo, exec_lo, s1
	s_mov_b32 s1, exec_lo
	v_cmpx_gt_u32_e64 s0, v88
	s_cbranch_execz .LBB842_54
.LBB842_69:                             ;   in Loop: Header=BB842_24 Depth=2
	v_xor_b32_e32 v39, 0x80000000, v21
	v_mov_b32_e32 v38, v20
	s_delay_alu instid0(VALU_DEP_1) | instskip(NEXT) | instid1(VALU_DEP_1)
	v_lshrrev_b64 v[38:39], s48, v[38:39]
	v_and_b32_e32 v2, s55, v38
	s_delay_alu instid0(VALU_DEP_1) | instskip(SKIP_3) | instid1(SALU_CYCLE_1)
	v_lshl_or_b32 v2, v2, 4, v96
	ds_add_u32 v2, v123
	s_wait_alu 0xfffe
	s_or_b32 exec_lo, exec_lo, s1
	s_mov_b32 s1, exec_lo
	v_cmpx_gt_u32_e64 s0, v89
	s_cbranch_execz .LBB842_55
.LBB842_70:                             ;   in Loop: Header=BB842_24 Depth=2
	v_xor_b32_e32 v39, 0x80000000, v19
	v_mov_b32_e32 v38, v18
	s_delay_alu instid0(VALU_DEP_1) | instskip(NEXT) | instid1(VALU_DEP_1)
	v_lshrrev_b64 v[38:39], s48, v[38:39]
	v_and_b32_e32 v2, s55, v38
	s_delay_alu instid0(VALU_DEP_1) | instskip(SKIP_3) | instid1(SALU_CYCLE_1)
	v_lshl_or_b32 v2, v2, 4, v96
	ds_add_u32 v2, v123
	s_wait_alu 0xfffe
	s_or_b32 exec_lo, exec_lo, s1
	s_mov_b32 s1, exec_lo
	v_cmpx_gt_u32_e64 s0, v90
	s_cbranch_execz .LBB842_56
.LBB842_71:                             ;   in Loop: Header=BB842_24 Depth=2
	v_xor_b32_e32 v39, 0x80000000, v17
	v_mov_b32_e32 v38, v16
	s_delay_alu instid0(VALU_DEP_1) | instskip(NEXT) | instid1(VALU_DEP_1)
	v_lshrrev_b64 v[38:39], s48, v[38:39]
	v_and_b32_e32 v2, s55, v38
	s_delay_alu instid0(VALU_DEP_1) | instskip(SKIP_3) | instid1(SALU_CYCLE_1)
	v_lshl_or_b32 v2, v2, 4, v96
	ds_add_u32 v2, v123
	s_wait_alu 0xfffe
	s_or_b32 exec_lo, exec_lo, s1
	s_mov_b32 s1, exec_lo
	v_cmpx_gt_u32_e64 s0, v91
	s_cbranch_execz .LBB842_57
.LBB842_72:                             ;   in Loop: Header=BB842_24 Depth=2
	v_xor_b32_e32 v39, 0x80000000, v15
	v_mov_b32_e32 v38, v14
	s_delay_alu instid0(VALU_DEP_1) | instskip(NEXT) | instid1(VALU_DEP_1)
	v_lshrrev_b64 v[38:39], s48, v[38:39]
	v_and_b32_e32 v2, s55, v38
	s_delay_alu instid0(VALU_DEP_1) | instskip(SKIP_3) | instid1(SALU_CYCLE_1)
	v_lshl_or_b32 v2, v2, 4, v96
	ds_add_u32 v2, v123
	s_wait_alu 0xfffe
	s_or_b32 exec_lo, exec_lo, s1
	s_mov_b32 s1, exec_lo
	v_cmpx_gt_u32_e64 s0, v92
	s_cbranch_execz .LBB842_58
.LBB842_73:                             ;   in Loop: Header=BB842_24 Depth=2
	v_xor_b32_e32 v39, 0x80000000, v13
	v_mov_b32_e32 v38, v12
	s_delay_alu instid0(VALU_DEP_1) | instskip(NEXT) | instid1(VALU_DEP_1)
	v_lshrrev_b64 v[38:39], s48, v[38:39]
	v_and_b32_e32 v2, s55, v38
	s_delay_alu instid0(VALU_DEP_1) | instskip(SKIP_3) | instid1(SALU_CYCLE_1)
	v_lshl_or_b32 v2, v2, 4, v96
	ds_add_u32 v2, v123
	s_wait_alu 0xfffe
	s_or_b32 exec_lo, exec_lo, s1
	s_mov_b32 s1, exec_lo
	v_cmpx_gt_u32_e64 s0, v93
	s_cbranch_execz .LBB842_59
.LBB842_74:                             ;   in Loop: Header=BB842_24 Depth=2
	v_xor_b32_e32 v39, 0x80000000, v11
	v_mov_b32_e32 v38, v10
	s_delay_alu instid0(VALU_DEP_1) | instskip(NEXT) | instid1(VALU_DEP_1)
	v_lshrrev_b64 v[38:39], s48, v[38:39]
	v_and_b32_e32 v2, s55, v38
	s_delay_alu instid0(VALU_DEP_1) | instskip(SKIP_3) | instid1(SALU_CYCLE_1)
	v_lshl_or_b32 v2, v2, 4, v96
	ds_add_u32 v2, v123
	s_wait_alu 0xfffe
	s_or_b32 exec_lo, exec_lo, s1
	s_mov_b32 s1, exec_lo
	v_cmpx_gt_u32_e64 s0, v94
	s_cbranch_execz .LBB842_60
.LBB842_75:                             ;   in Loop: Header=BB842_24 Depth=2
	v_xor_b32_e32 v39, 0x80000000, v9
	v_mov_b32_e32 v38, v8
	s_delay_alu instid0(VALU_DEP_1) | instskip(NEXT) | instid1(VALU_DEP_1)
	v_lshrrev_b64 v[38:39], s48, v[38:39]
	v_and_b32_e32 v2, s55, v38
	s_delay_alu instid0(VALU_DEP_1)
	v_lshl_or_b32 v2, v2, 4, v96
	ds_add_u32 v2, v123
	s_wait_alu 0xfffe
	s_or_b32 exec_lo, exec_lo, s1
	v_cmp_gt_u32_e32 vcc_lo, s0, v95
	s_and_saveexec_b32 s0, vcc_lo
	s_cbranch_execz .LBB842_23
.LBB842_76:                             ;   in Loop: Header=BB842_24 Depth=2
	v_xor_b32_e32 v39, 0x80000000, v7
	v_mov_b32_e32 v38, v6
	s_delay_alu instid0(VALU_DEP_1) | instskip(NEXT) | instid1(VALU_DEP_1)
	v_lshrrev_b64 v[38:39], s48, v[38:39]
	v_and_b32_e32 v2, s55, v38
	s_delay_alu instid0(VALU_DEP_1)
	v_lshl_or_b32 v2, v2, 4, v96
	ds_add_u32 v2, v123
	s_branch .LBB842_23
.LBB842_77:                             ;   in Loop: Header=BB842_24 Depth=2
	global_load_b64 v[36:37], v124, s[0:1]
	s_or_b32 exec_lo, exec_lo, s10
	s_delay_alu instid0(SALU_CYCLE_1)
	s_mov_b32 s10, exec_lo
	v_cmpx_gt_u32_e64 s8, v79
	s_cbranch_execz .LBB842_29
.LBB842_78:                             ;   in Loop: Header=BB842_24 Depth=2
	global_load_b64 v[34:35], v124, s[0:1] offset:2048
	s_wait_alu 0xfffe
	s_or_b32 exec_lo, exec_lo, s10
	s_delay_alu instid0(SALU_CYCLE_1)
	s_mov_b32 s10, exec_lo
	v_cmpx_gt_u32_e64 s8, v80
	s_cbranch_execz .LBB842_30
.LBB842_79:                             ;   in Loop: Header=BB842_24 Depth=2
	global_load_b64 v[32:33], v124, s[0:1] offset:4096
	s_wait_alu 0xfffe
	s_or_b32 exec_lo, exec_lo, s10
	s_delay_alu instid0(SALU_CYCLE_1)
	s_mov_b32 s10, exec_lo
	v_cmpx_gt_u32_e64 s8, v81
	s_cbranch_execz .LBB842_31
.LBB842_80:                             ;   in Loop: Header=BB842_24 Depth=2
	global_load_b64 v[30:31], v124, s[0:1] offset:6144
	s_wait_alu 0xfffe
	s_or_b32 exec_lo, exec_lo, s10
	s_delay_alu instid0(SALU_CYCLE_1)
	s_mov_b32 s10, exec_lo
	v_cmpx_gt_u32_e64 s8, v84
	s_cbranch_execz .LBB842_32
.LBB842_81:                             ;   in Loop: Header=BB842_24 Depth=2
	global_load_b64 v[28:29], v124, s[0:1] offset:8192
	s_wait_alu 0xfffe
	s_or_b32 exec_lo, exec_lo, s10
	s_delay_alu instid0(SALU_CYCLE_1)
	s_mov_b32 s10, exec_lo
	v_cmpx_gt_u32_e64 s8, v85
	s_cbranch_execz .LBB842_33
.LBB842_82:                             ;   in Loop: Header=BB842_24 Depth=2
	global_load_b64 v[26:27], v124, s[0:1] offset:10240
	s_wait_alu 0xfffe
	s_or_b32 exec_lo, exec_lo, s10
	s_delay_alu instid0(SALU_CYCLE_1)
	s_mov_b32 s10, exec_lo
	v_cmpx_gt_u32_e64 s8, v86
	s_cbranch_execz .LBB842_34
.LBB842_83:                             ;   in Loop: Header=BB842_24 Depth=2
	global_load_b64 v[24:25], v124, s[0:1] offset:12288
	s_wait_alu 0xfffe
	s_or_b32 exec_lo, exec_lo, s10
	s_delay_alu instid0(SALU_CYCLE_1)
	s_mov_b32 s10, exec_lo
	v_cmpx_gt_u32_e64 s8, v87
	s_cbranch_execz .LBB842_35
.LBB842_84:                             ;   in Loop: Header=BB842_24 Depth=2
	global_load_b64 v[22:23], v124, s[0:1] offset:14336
	s_wait_alu 0xfffe
	s_or_b32 exec_lo, exec_lo, s10
	s_delay_alu instid0(SALU_CYCLE_1)
	s_mov_b32 s10, exec_lo
	v_cmpx_gt_u32_e64 s8, v88
	s_cbranch_execz .LBB842_36
.LBB842_85:                             ;   in Loop: Header=BB842_24 Depth=2
	global_load_b64 v[20:21], v124, s[0:1] offset:16384
	s_wait_alu 0xfffe
	s_or_b32 exec_lo, exec_lo, s10
	s_delay_alu instid0(SALU_CYCLE_1)
	s_mov_b32 s10, exec_lo
	v_cmpx_gt_u32_e64 s8, v89
	s_cbranch_execz .LBB842_37
.LBB842_86:                             ;   in Loop: Header=BB842_24 Depth=2
	global_load_b64 v[18:19], v124, s[0:1] offset:18432
	s_wait_alu 0xfffe
	s_or_b32 exec_lo, exec_lo, s10
	s_delay_alu instid0(SALU_CYCLE_1)
	s_mov_b32 s10, exec_lo
	v_cmpx_gt_u32_e64 s8, v90
	s_cbranch_execz .LBB842_38
.LBB842_87:                             ;   in Loop: Header=BB842_24 Depth=2
	global_load_b64 v[16:17], v124, s[0:1] offset:20480
	s_wait_alu 0xfffe
	s_or_b32 exec_lo, exec_lo, s10
	s_delay_alu instid0(SALU_CYCLE_1)
	s_mov_b32 s10, exec_lo
	v_cmpx_gt_u32_e64 s8, v91
	s_cbranch_execz .LBB842_39
.LBB842_88:                             ;   in Loop: Header=BB842_24 Depth=2
	global_load_b64 v[14:15], v124, s[0:1] offset:22528
	s_wait_alu 0xfffe
	s_or_b32 exec_lo, exec_lo, s10
	s_delay_alu instid0(SALU_CYCLE_1)
	s_mov_b32 s10, exec_lo
	v_cmpx_gt_u32_e64 s8, v92
	s_cbranch_execz .LBB842_40
.LBB842_89:                             ;   in Loop: Header=BB842_24 Depth=2
	global_load_b64 v[12:13], v124, s[0:1] offset:24576
	s_wait_alu 0xfffe
	s_or_b32 exec_lo, exec_lo, s10
	s_delay_alu instid0(SALU_CYCLE_1)
	s_mov_b32 s10, exec_lo
	v_cmpx_gt_u32_e64 s8, v93
	s_cbranch_execz .LBB842_41
.LBB842_90:                             ;   in Loop: Header=BB842_24 Depth=2
	global_load_b64 v[10:11], v124, s[0:1] offset:26624
	s_wait_alu 0xfffe
	s_or_b32 exec_lo, exec_lo, s10
	s_delay_alu instid0(SALU_CYCLE_1)
	s_mov_b32 s10, exec_lo
	v_cmpx_gt_u32_e64 s8, v94
	s_cbranch_execz .LBB842_42
.LBB842_91:                             ;   in Loop: Header=BB842_24 Depth=2
	global_load_b64 v[8:9], v124, s[0:1] offset:28672
	s_wait_alu 0xfffe
	s_or_b32 exec_lo, exec_lo, s10
	s_delay_alu instid0(SALU_CYCLE_1)
	s_mov_b32 s10, exec_lo
	v_cmpx_gt_u32_e64 s8, v95
	s_cbranch_execnz .LBB842_43
	s_branch .LBB842_44
.LBB842_92:                             ;   in Loop: Header=BB842_20 Depth=1
	v_mov_b32_e32 v2, 0
	s_wait_dscnt 0x0
	s_barrier_signal -1
	s_barrier_wait -1
	global_inv scope:SCOPE_SE
	s_and_saveexec_b32 s0, s2
	s_cbranch_execz .LBB842_94
; %bb.93:                               ;   in Loop: Header=BB842_20 Depth=1
	ds_load_2addr_b64 v[6:9], v98 offset1:1
	s_wait_dscnt 0x0
	v_add_nc_u32_e32 v2, v7, v6
	s_delay_alu instid0(VALU_DEP_1)
	v_add3_u32 v2, v2, v8, v9
.LBB842_94:                             ;   in Loop: Header=BB842_20 Depth=1
	s_wait_alu 0xfffe
	s_or_b32 exec_lo, exec_lo, s0
	v_and_b32_e32 v6, 15, v125
	s_delay_alu instid0(VALU_DEP_2) | instskip(SKIP_1) | instid1(VALU_DEP_3)
	v_mov_b32_dpp v7, v2 row_shr:1 row_mask:0xf bank_mask:0xf
	v_and_b32_e32 v8, 16, v125
	v_cmp_eq_u32_e64 s0, 0, v6
	v_cmp_lt_u32_e64 s1, 1, v6
	v_cmp_lt_u32_e64 s8, 3, v6
	;; [unrolled: 1-line block ×3, first 2 shown]
	v_cmp_eq_u32_e64 s10, 0, v8
	s_wait_alu 0xf1ff
	v_cndmask_b32_e64 v7, v7, 0, s0
	s_delay_alu instid0(VALU_DEP_1) | instskip(NEXT) | instid1(VALU_DEP_1)
	v_add_nc_u32_e32 v2, v7, v2
	v_mov_b32_dpp v7, v2 row_shr:2 row_mask:0xf bank_mask:0xf
	s_delay_alu instid0(VALU_DEP_1) | instskip(NEXT) | instid1(VALU_DEP_1)
	v_cndmask_b32_e64 v7, 0, v7, s1
	v_add_nc_u32_e32 v2, v2, v7
	s_delay_alu instid0(VALU_DEP_1) | instskip(NEXT) | instid1(VALU_DEP_1)
	v_mov_b32_dpp v7, v2 row_shr:4 row_mask:0xf bank_mask:0xf
	v_cndmask_b32_e64 v7, 0, v7, s8
	s_delay_alu instid0(VALU_DEP_1) | instskip(NEXT) | instid1(VALU_DEP_1)
	v_add_nc_u32_e32 v2, v2, v7
	v_mov_b32_dpp v7, v2 row_shr:8 row_mask:0xf bank_mask:0xf
	s_delay_alu instid0(VALU_DEP_1) | instskip(SKIP_1) | instid1(VALU_DEP_2)
	v_cndmask_b32_e64 v6, 0, v7, s9
	v_bfe_i32 v7, v125, 4, 1
	v_add_nc_u32_e32 v2, v2, v6
	ds_swizzle_b32 v6, v2 offset:swizzle(BROADCAST,32,15)
	s_wait_dscnt 0x0
	v_and_b32_e32 v6, v7, v6
	s_delay_alu instid0(VALU_DEP_1)
	v_add_nc_u32_e32 v6, v2, v6
	s_and_saveexec_b32 s11, s3
; %bb.95:                               ;   in Loop: Header=BB842_20 Depth=1
	ds_store_b32 v99, v6
; %bb.96:                               ;   in Loop: Header=BB842_20 Depth=1
	s_wait_alu 0xfffe
	s_or_b32 exec_lo, exec_lo, s11
	v_and_b32_e32 v2, 7, v125
	s_wait_loadcnt_dscnt 0x0
	s_barrier_signal -1
	s_barrier_wait -1
	global_inv scope:SCOPE_SE
	s_and_saveexec_b32 s11, s4
	s_cbranch_execz .LBB842_98
; %bb.97:                               ;   in Loop: Header=BB842_20 Depth=1
	ds_load_b32 v7, v100
	v_cmp_ne_u32_e32 vcc_lo, 0, v2
	s_wait_dscnt 0x0
	v_mov_b32_dpp v8, v7 row_shr:1 row_mask:0xf bank_mask:0xf
	s_wait_alu 0xfffd
	s_delay_alu instid0(VALU_DEP_1) | instskip(SKIP_1) | instid1(VALU_DEP_2)
	v_cndmask_b32_e32 v8, 0, v8, vcc_lo
	v_cmp_lt_u32_e32 vcc_lo, 1, v2
	v_add_nc_u32_e32 v7, v8, v7
	s_delay_alu instid0(VALU_DEP_1) | instskip(SKIP_1) | instid1(VALU_DEP_1)
	v_mov_b32_dpp v8, v7 row_shr:2 row_mask:0xf bank_mask:0xf
	s_wait_alu 0xfffd
	v_cndmask_b32_e32 v8, 0, v8, vcc_lo
	v_cmp_lt_u32_e32 vcc_lo, 3, v2
	s_delay_alu instid0(VALU_DEP_2) | instskip(NEXT) | instid1(VALU_DEP_1)
	v_add_nc_u32_e32 v7, v7, v8
	v_mov_b32_dpp v8, v7 row_shr:4 row_mask:0xf bank_mask:0xf
	s_wait_alu 0xfffd
	s_delay_alu instid0(VALU_DEP_1) | instskip(NEXT) | instid1(VALU_DEP_1)
	v_cndmask_b32_e32 v8, 0, v8, vcc_lo
	v_add_nc_u32_e32 v7, v7, v8
	ds_store_b32 v100, v7
.LBB842_98:                             ;   in Loop: Header=BB842_20 Depth=1
	s_wait_alu 0xfffe
	s_or_b32 exec_lo, exec_lo, s11
	v_mov_b32_e32 v7, 0
	s_wait_loadcnt_dscnt 0x0
	s_barrier_signal -1
	s_barrier_wait -1
	global_inv scope:SCOPE_SE
	s_and_saveexec_b32 s11, s5
; %bb.99:                               ;   in Loop: Header=BB842_20 Depth=1
	ds_load_b32 v7, v103
; %bb.100:                              ;   in Loop: Header=BB842_20 Depth=1
	s_wait_alu 0xfffe
	s_or_b32 exec_lo, exec_lo, s11
	v_sub_co_u32 v8, s11, v125, 1
	s_wait_dscnt 0x0
	v_add_nc_u32_e32 v6, v7, v6
	s_wait_loadcnt 0x0
	s_barrier_signal -1
	v_cmp_gt_i32_e32 vcc_lo, 0, v8
	s_barrier_wait -1
	global_inv scope:SCOPE_SE
	s_wait_alu 0xfffd
	v_cndmask_b32_e32 v8, v8, v125, vcc_lo
	s_delay_alu instid0(VALU_DEP_1)
	v_lshlrev_b32_e32 v126, 2, v8
	ds_bpermute_b32 v6, v126, v6
	s_and_saveexec_b32 s12, s2
	s_cbranch_execz .LBB842_102
; %bb.101:                              ;   in Loop: Header=BB842_20 Depth=1
	s_wait_dscnt 0x0
	v_cndmask_b32_e64 v6, v6, v7, s11
	s_delay_alu instid0(VALU_DEP_1)
	v_add_nc_u32_e32 v6, s33, v6
	ds_store_b32 v78, v6
.LBB842_102:                            ;   in Loop: Header=BB842_20 Depth=1
	s_wait_alu 0xfffe
	s_or_b32 exec_lo, exec_lo, s12
	s_clause 0x1
	s_load_b32 s12, s[42:43], 0x4
	s_load_b32 s15, s[42:43], 0xc
	v_cmp_lt_u32_e64 s14, 3, v2
	v_lshlrev_b32_e32 v8, 3, v125
	v_or_b32_e32 v127, v125, v101
	s_mov_b32 s56, s53
                                        ; implicit-def: $vgpr10_vgpr11
                                        ; implicit-def: $vgpr12_vgpr13
                                        ; implicit-def: $vgpr14_vgpr15
                                        ; implicit-def: $vgpr16_vgpr17
                                        ; implicit-def: $vgpr18_vgpr19
                                        ; implicit-def: $vgpr20_vgpr21
                                        ; implicit-def: $vgpr22_vgpr23
                                        ; implicit-def: $vgpr24_vgpr25
                                        ; implicit-def: $vgpr26_vgpr27
                                        ; implicit-def: $vgpr28_vgpr29
                                        ; implicit-def: $vgpr30_vgpr31
                                        ; implicit-def: $vgpr32_vgpr33
                                        ; implicit-def: $vgpr34_vgpr35
                                        ; implicit-def: $vgpr36_vgpr37
                                        ; implicit-def: $vgpr148
                                        ; implicit-def: $vgpr149
                                        ; implicit-def: $vgpr150
                                        ; implicit-def: $vgpr151
                                        ; implicit-def: $vgpr152
                                        ; implicit-def: $vgpr153
                                        ; implicit-def: $vgpr154
                                        ; implicit-def: $vgpr155
                                        ; implicit-def: $vgpr156
                                        ; implicit-def: $vgpr157
                                        ; implicit-def: $vgpr158
                                        ; implicit-def: $vgpr159
                                        ; implicit-def: $vgpr160
                                        ; implicit-def: $vgpr161
                                        ; implicit-def: $vgpr162
                                        ; implicit-def: $vgpr163
	s_delay_alu instid0(VALU_DEP_2)
	v_add_co_u32 v128, vcc_lo, v106, v8
	s_wait_alu 0xfffd
	v_add_co_ci_u32_e64 v129, null, 0, v107, vcc_lo
	v_add_co_u32 v145, vcc_lo, v108, v8
	v_or_b32_e32 v130, 32, v127
	v_or_b32_e32 v131, 64, v127
	;; [unrolled: 1-line block ×6, first 2 shown]
	s_wait_kmcnt 0x0
	s_cmp_lt_u32 ttmp7, s12
	v_or_b32_e32 v136, 0xe0, v127
	s_cselect_b32 s34, 14, 20
	s_and_b32 s15, s15, 0xffff
	s_wait_alu 0xfffe
	s_add_nc_u64 s[12:13], s[42:43], s[34:35]
	v_or_b32_e32 v137, 0x100, v127
	s_load_u16 s16, s[12:13], 0x0
	v_cmp_eq_u32_e64 s12, 0, v2
	v_cmp_lt_u32_e64 s13, 1, v2
	v_or_b32_e32 v138, 0x120, v127
	v_or_b32_e32 v139, 0x140, v127
	;; [unrolled: 1-line block ×7, first 2 shown]
	v_add_co_ci_u32_e64 v146, null, 0, v109, vcc_lo
	s_mov_b32 s34, s33
                                        ; implicit-def: $vgpr8_vgpr9
	s_wait_kmcnt 0x0
	v_mad_u32_u24 v2, v104, s16, v0
	s_wait_dscnt 0x0
	s_delay_alu instid0(VALU_DEP_1) | instskip(NEXT) | instid1(VALU_DEP_1)
	v_mad_co_u64_u32 v[6:7], null, v2, s15, v[1:2]
	v_lshrrev_b32_e32 v2, 3, v6
                                        ; implicit-def: $vgpr6_vgpr7
	s_delay_alu instid0(VALU_DEP_1)
	v_and_b32_e32 v147, 0x1ffffffc, v2
	s_branch .LBB842_104
.LBB842_103:                            ;   in Loop: Header=BB842_104 Depth=2
	s_wait_alu 0xfffe
	s_or_b32 exec_lo, exec_lo, s15
	s_addk_co_i32 s56, 0xf000
	s_cmp_lt_u32 s57, s51
	s_mov_b32 s34, s57
	s_cbranch_scc0 .LBB842_312
.LBB842_104:                            ;   Parent Loop BB842_20 Depth=1
                                        ; =>  This Inner Loop Header: Depth=2
	s_wait_alu 0xfffe
	s_add_co_i32 s57, s34, 0x1000
	s_wait_alu 0xfffe
	s_cmp_gt_u32 s57, s51
	s_cbranch_scc1 .LBB842_106
; %bb.105:                              ;   in Loop: Header=BB842_104 Depth=2
	s_lshl_b64 s[16:17], s[34:35], 3
	s_mov_b32 s15, -1
	s_wait_alu 0xfffe
	v_add_co_u32 v66, vcc_lo, v145, s16
	s_wait_alu 0xfffd
	v_add_co_ci_u32_e64 v67, null, s17, v146, vcc_lo
	s_clause 0xe
	global_load_b64 v[40:41], v[66:67], off
	global_load_b64 v[38:39], v[66:67], off offset:256
	global_load_b64 v[42:43], v[66:67], off offset:512
	;; [unrolled: 1-line block ×14, first 2 shown]
	s_movk_i32 s16, 0x1000
	s_cbranch_execz .LBB842_107
	s_branch .LBB842_138
.LBB842_106:                            ;   in Loop: Header=BB842_104 Depth=2
	s_mov_b32 s15, 0
                                        ; implicit-def: $vgpr40_vgpr41
                                        ; implicit-def: $vgpr38_vgpr39
                                        ; implicit-def: $vgpr42_vgpr43
                                        ; implicit-def: $vgpr44_vgpr45
                                        ; implicit-def: $vgpr46_vgpr47
                                        ; implicit-def: $vgpr50_vgpr51
                                        ; implicit-def: $vgpr48_vgpr49
                                        ; implicit-def: $vgpr52_vgpr53
                                        ; implicit-def: $vgpr54_vgpr55
                                        ; implicit-def: $vgpr56_vgpr57
                                        ; implicit-def: $vgpr60_vgpr61
                                        ; implicit-def: $vgpr58_vgpr59
                                        ; implicit-def: $vgpr62_vgpr63
                                        ; implicit-def: $vgpr64_vgpr65
                                        ; implicit-def: $vgpr66_vgpr67
	s_movk_i32 s16, 0x1000
.LBB842_107:                            ;   in Loop: Header=BB842_104 Depth=2
	s_wait_loadcnt 0xd
	v_dual_mov_b32 v38, v4 :: v_dual_mov_b32 v39, v5
	s_lshl_b64 s[16:17], s[34:35], 3
	s_mov_b32 s15, exec_lo
	s_wait_alu 0xfffe
	v_add_co_u32 v68, vcc_lo, v145, s16
	s_wait_alu 0xfffd
	v_add_co_ci_u32_e64 v69, null, s17, v146, vcc_lo
	v_dual_mov_b32 v41, v39 :: v_dual_mov_b32 v40, v38
	v_cmpx_gt_u32_e64 s56, v127
	s_cbranch_execz .LBB842_109
; %bb.108:                              ;   in Loop: Header=BB842_104 Depth=2
	global_load_b64 v[40:41], v[68:69], off
.LBB842_109:                            ;   in Loop: Header=BB842_104 Depth=2
	s_or_b32 exec_lo, exec_lo, s15
	s_delay_alu instid0(SALU_CYCLE_1)
	s_mov_b32 s15, exec_lo
	v_cmpx_gt_u32_e64 s56, v130
	s_cbranch_execz .LBB842_111
; %bb.110:                              ;   in Loop: Header=BB842_104 Depth=2
	global_load_b64 v[38:39], v[68:69], off offset:256
.LBB842_111:                            ;   in Loop: Header=BB842_104 Depth=2
	s_wait_alu 0xfffe
	s_or_b32 exec_lo, exec_lo, s15
	s_wait_loadcnt 0xc
	v_dual_mov_b32 v43, v5 :: v_dual_mov_b32 v42, v4
	s_mov_b32 s15, exec_lo
	v_cmpx_gt_u32_e64 s56, v131
	s_cbranch_execz .LBB842_113
; %bb.112:                              ;   in Loop: Header=BB842_104 Depth=2
	global_load_b64 v[42:43], v[68:69], off offset:512
.LBB842_113:                            ;   in Loop: Header=BB842_104 Depth=2
	s_wait_alu 0xfffe
	s_or_b32 exec_lo, exec_lo, s15
	s_wait_loadcnt 0xb
	v_dual_mov_b32 v45, v5 :: v_dual_mov_b32 v44, v4
	;; [unrolled: 10-line block ×13, first 2 shown]
	s_mov_b32 s15, exec_lo
	v_cmpx_gt_u32_e64 s56, v143
	s_cbranch_execz .LBB842_137
; %bb.136:                              ;   in Loop: Header=BB842_104 Depth=2
	global_load_b64 v[66:67], v[68:69], off offset:3584
.LBB842_137:                            ;   in Loop: Header=BB842_104 Depth=2
	s_wait_alu 0xfffe
	s_or_b32 exec_lo, exec_lo, s15
	v_cmp_gt_u32_e64 s15, s56, v144
	s_sub_co_i32 s16, s51, s34
.LBB842_138:                            ;   in Loop: Header=BB842_104 Depth=2
	v_mov_b32_e32 v68, -1
	v_dual_mov_b32 v69, -1 :: v_dual_mov_b32 v164, s56
	s_and_saveexec_b32 s17, s15
	s_cbranch_execz .LBB842_140
; %bb.139:                              ;   in Loop: Header=BB842_104 Depth=2
	s_lshl_b64 s[18:19], s[34:35], 3
	s_wait_alu 0xfffe
	v_mov_b32_e32 v164, s16
	v_add_co_u32 v68, vcc_lo, v145, s18
	s_wait_alu 0xfffd
	v_add_co_ci_u32_e64 v69, null, s19, v146, vcc_lo
	global_load_b64 v[68:69], v[68:69], off offset:3840
	s_wait_loadcnt 0x0
	v_xor_b32_e32 v69, 0x80000000, v69
.LBB842_140:                            ;   in Loop: Header=BB842_104 Depth=2
	s_wait_alu 0xfffe
	s_or_b32 exec_lo, exec_lo, s17
	s_wait_loadcnt 0xe
	v_xor_b32_e32 v41, 0x80000000, v41
	v_add_nc_u32_e32 v166, 0x420, v102
	v_add_nc_u32_e32 v167, 0x428, v102
	;; [unrolled: 1-line block ×3, first 2 shown]
	s_delay_alu instid0(VALU_DEP_4) | instskip(NEXT) | instid1(VALU_DEP_1)
	v_lshrrev_b64 v[70:71], s48, v[40:41]
	v_and_b32_e32 v71, s55, v70
	s_delay_alu instid0(VALU_DEP_1)
	v_and_b32_e32 v2, 1, v71
	v_lshlrev_b32_e32 v70, 30, v71
	v_lshlrev_b32_e32 v72, 29, v71
	;; [unrolled: 1-line block ×4, first 2 shown]
	v_add_co_u32 v2, s15, v2, -1
	s_wait_alu 0xf1ff
	v_cndmask_b32_e64 v74, 0, 1, s15
	v_not_b32_e32 v165, v70
	v_cmp_gt_i32_e64 s15, 0, v70
	v_not_b32_e32 v70, v72
	v_lshlrev_b32_e32 v76, 26, v71
	v_cmp_ne_u32_e32 vcc_lo, 0, v74
	v_ashrrev_i32_e32 v165, 31, v165
	v_lshlrev_b32_e32 v77, 25, v71
	v_ashrrev_i32_e32 v70, 31, v70
	v_lshlrev_b32_e32 v74, 24, v71
	s_wait_alu 0xfffd
	v_xor_b32_e32 v2, vcc_lo, v2
	v_cmp_gt_i32_e32 vcc_lo, 0, v72
	v_not_b32_e32 v72, v73
	s_wait_alu 0xf1ff
	v_xor_b32_e32 v165, s15, v165
	v_cmp_gt_i32_e64 s15, 0, v73
	v_and_b32_e32 v2, exec_lo, v2
	v_not_b32_e32 v73, v75
	v_ashrrev_i32_e32 v72, 31, v72
	s_wait_alu 0xfffd
	v_xor_b32_e32 v70, vcc_lo, v70
	v_cmp_gt_i32_e32 vcc_lo, 0, v75
	v_and_b32_e32 v2, v2, v165
	v_not_b32_e32 v75, v76
	v_ashrrev_i32_e32 v73, 31, v73
	s_wait_alu 0xf1ff
	v_xor_b32_e32 v72, s15, v72
	v_cmp_gt_i32_e64 s15, 0, v76
	v_and_b32_e32 v2, v2, v70
	v_not_b32_e32 v70, v77
	v_ashrrev_i32_e32 v75, 31, v75
	s_wait_alu 0xfffd
	v_xor_b32_e32 v73, vcc_lo, v73
	v_cmp_gt_i32_e32 vcc_lo, 0, v77
	v_and_b32_e32 v2, v2, v72
	v_not_b32_e32 v72, v74
	v_ashrrev_i32_e32 v70, 31, v70
	s_wait_alu 0xf1ff
	v_xor_b32_e32 v75, s15, v75
	v_cmp_gt_i32_e64 s15, 0, v74
	v_and_b32_e32 v2, v2, v73
	v_ashrrev_i32_e32 v72, 31, v72
	s_wait_alu 0xfffd
	v_xor_b32_e32 v70, vcc_lo, v70
	v_mul_u32_u24_e32 v71, 36, v71
	v_add_nc_u32_e32 v165, 0x438, v102
	v_and_b32_e32 v2, v2, v75
	s_wait_alu 0xf1ff
	v_xor_b32_e32 v72, s15, v72
	v_add_nc_u32_e32 v169, v147, v71
	ds_store_2addr_b32 v165, v3, v3 offset1:1
	v_and_b32_e32 v2, v2, v70
	ds_store_2addr_b32 v166, v3, v3 offset1:1
	ds_store_2addr_b32 v167, v3, v3 offset1:1
	ds_store_2addr_b32 v168, v3, v3 offset1:1
	ds_store_b32 v102, v3 offset:1088
	s_wait_loadcnt_dscnt 0x0
	s_barrier_signal -1
	s_barrier_wait -1
	v_and_b32_e32 v70, v2, v72
	global_inv scope:SCOPE_SE
	; wave barrier
	v_mbcnt_lo_u32_b32 v2, v70, 0
	v_cmp_ne_u32_e64 s15, 0, v70
	s_delay_alu instid0(VALU_DEP_2)
	v_cmp_eq_u32_e32 vcc_lo, 0, v2
	s_and_b32 s16, s15, vcc_lo
	s_wait_alu 0xfffe
	s_and_saveexec_b32 s15, s16
; %bb.141:                              ;   in Loop: Header=BB842_104 Depth=2
	v_bcnt_u32_b32 v70, v70, 0
	ds_store_b32 v169, v70 offset:1056
; %bb.142:                              ;   in Loop: Header=BB842_104 Depth=2
	s_wait_alu 0xfffe
	s_or_b32 exec_lo, exec_lo, s15
	v_xor_b32_e32 v39, 0x80000000, v39
	; wave barrier
	s_delay_alu instid0(VALU_DEP_1) | instskip(NEXT) | instid1(VALU_DEP_1)
	v_lshrrev_b64 v[70:71], s48, v[38:39]
	v_and_b32_e32 v71, s55, v70
	s_delay_alu instid0(VALU_DEP_1)
	v_and_b32_e32 v70, 1, v71
	v_lshlrev_b32_e32 v72, 30, v71
	v_lshlrev_b32_e32 v73, 29, v71
	;; [unrolled: 1-line block ×4, first 2 shown]
	v_add_co_u32 v70, s15, v70, -1
	s_wait_alu 0xf1ff
	v_cndmask_b32_e64 v75, 0, 1, s15
	v_not_b32_e32 v171, v72
	v_cmp_gt_i32_e64 s15, 0, v72
	v_not_b32_e32 v72, v73
	v_lshlrev_b32_e32 v77, 26, v71
	v_cmp_ne_u32_e32 vcc_lo, 0, v75
	v_ashrrev_i32_e32 v171, 31, v171
	v_lshlrev_b32_e32 v170, 25, v71
	v_ashrrev_i32_e32 v72, 31, v72
	v_lshlrev_b32_e32 v75, 24, v71
	s_wait_alu 0xfffd
	v_xor_b32_e32 v70, vcc_lo, v70
	v_cmp_gt_i32_e32 vcc_lo, 0, v73
	v_not_b32_e32 v73, v74
	s_wait_alu 0xf1ff
	v_xor_b32_e32 v171, s15, v171
	v_cmp_gt_i32_e64 s15, 0, v74
	v_and_b32_e32 v70, exec_lo, v70
	v_not_b32_e32 v74, v76
	v_ashrrev_i32_e32 v73, 31, v73
	s_wait_alu 0xfffd
	v_xor_b32_e32 v72, vcc_lo, v72
	v_cmp_gt_i32_e32 vcc_lo, 0, v76
	v_and_b32_e32 v70, v70, v171
	v_not_b32_e32 v76, v77
	v_ashrrev_i32_e32 v74, 31, v74
	s_wait_alu 0xf1ff
	v_xor_b32_e32 v73, s15, v73
	v_cmp_gt_i32_e64 s15, 0, v77
	v_and_b32_e32 v70, v70, v72
	v_not_b32_e32 v72, v170
	v_ashrrev_i32_e32 v76, 31, v76
	s_wait_alu 0xfffd
	v_xor_b32_e32 v74, vcc_lo, v74
	v_cmp_gt_i32_e32 vcc_lo, 0, v170
	v_and_b32_e32 v70, v70, v73
	v_not_b32_e32 v73, v75
	v_ashrrev_i32_e32 v72, 31, v72
	s_wait_alu 0xf1ff
	v_xor_b32_e32 v76, s15, v76
	v_cmp_gt_i32_e64 s15, 0, v75
	v_and_b32_e32 v70, v70, v74
	v_ashrrev_i32_e32 v73, 31, v73
	s_wait_alu 0xfffd
	v_xor_b32_e32 v72, vcc_lo, v72
	v_mad_u32_u24 v74, v71, 36, v147
	v_mul_u32_u24_e32 v71, 36, v71
	v_and_b32_e32 v70, v70, v76
	s_wait_alu 0xf1ff
	v_xor_b32_e32 v73, s15, v73
	ds_load_b32 v170, v74 offset:1056
	v_add_nc_u32_e32 v172, v147, v71
	v_and_b32_e32 v70, v70, v72
	; wave barrier
	s_delay_alu instid0(VALU_DEP_1) | instskip(NEXT) | instid1(VALU_DEP_1)
	v_and_b32_e32 v70, v70, v73
	v_mbcnt_lo_u32_b32 v171, v70, 0
	v_cmp_ne_u32_e64 s15, 0, v70
	s_delay_alu instid0(VALU_DEP_2)
	v_cmp_eq_u32_e32 vcc_lo, 0, v171
	s_and_b32 s16, s15, vcc_lo
	s_wait_alu 0xfffe
	s_and_saveexec_b32 s15, s16
	s_cbranch_execz .LBB842_144
; %bb.143:                              ;   in Loop: Header=BB842_104 Depth=2
	s_wait_dscnt 0x0
	v_bcnt_u32_b32 v70, v70, v170
	ds_store_b32 v172, v70 offset:1056
.LBB842_144:                            ;   in Loop: Header=BB842_104 Depth=2
	s_wait_alu 0xfffe
	s_or_b32 exec_lo, exec_lo, s15
	v_xor_b32_e32 v43, 0x80000000, v43
	; wave barrier
	s_delay_alu instid0(VALU_DEP_1) | instskip(NEXT) | instid1(VALU_DEP_1)
	v_lshrrev_b64 v[70:71], s48, v[42:43]
	v_and_b32_e32 v71, s55, v70
	s_delay_alu instid0(VALU_DEP_1)
	v_and_b32_e32 v70, 1, v71
	v_lshlrev_b32_e32 v72, 30, v71
	v_lshlrev_b32_e32 v73, 29, v71
	;; [unrolled: 1-line block ×4, first 2 shown]
	v_add_co_u32 v70, s15, v70, -1
	s_wait_alu 0xf1ff
	v_cndmask_b32_e64 v75, 0, 1, s15
	v_not_b32_e32 v174, v72
	v_cmp_gt_i32_e64 s15, 0, v72
	v_not_b32_e32 v72, v73
	v_lshlrev_b32_e32 v77, 26, v71
	v_cmp_ne_u32_e32 vcc_lo, 0, v75
	v_ashrrev_i32_e32 v174, 31, v174
	v_lshlrev_b32_e32 v173, 25, v71
	v_ashrrev_i32_e32 v72, 31, v72
	v_lshlrev_b32_e32 v75, 24, v71
	s_wait_alu 0xfffd
	v_xor_b32_e32 v70, vcc_lo, v70
	v_cmp_gt_i32_e32 vcc_lo, 0, v73
	v_not_b32_e32 v73, v74
	s_wait_alu 0xf1ff
	v_xor_b32_e32 v174, s15, v174
	v_cmp_gt_i32_e64 s15, 0, v74
	v_and_b32_e32 v70, exec_lo, v70
	v_not_b32_e32 v74, v76
	v_ashrrev_i32_e32 v73, 31, v73
	s_wait_alu 0xfffd
	v_xor_b32_e32 v72, vcc_lo, v72
	v_cmp_gt_i32_e32 vcc_lo, 0, v76
	v_and_b32_e32 v70, v70, v174
	v_not_b32_e32 v76, v77
	v_ashrrev_i32_e32 v74, 31, v74
	s_wait_alu 0xf1ff
	v_xor_b32_e32 v73, s15, v73
	v_cmp_gt_i32_e64 s15, 0, v77
	v_and_b32_e32 v70, v70, v72
	v_not_b32_e32 v72, v173
	v_ashrrev_i32_e32 v76, 31, v76
	s_wait_alu 0xfffd
	v_xor_b32_e32 v74, vcc_lo, v74
	v_cmp_gt_i32_e32 vcc_lo, 0, v173
	v_and_b32_e32 v70, v70, v73
	v_not_b32_e32 v73, v75
	v_ashrrev_i32_e32 v72, 31, v72
	s_wait_alu 0xf1ff
	v_xor_b32_e32 v76, s15, v76
	v_cmp_gt_i32_e64 s15, 0, v75
	v_and_b32_e32 v70, v70, v74
	v_ashrrev_i32_e32 v73, 31, v73
	s_wait_alu 0xfffd
	v_xor_b32_e32 v72, vcc_lo, v72
	v_mad_u32_u24 v74, v71, 36, v147
	v_mul_u32_u24_e32 v71, 36, v71
	v_and_b32_e32 v70, v70, v76
	s_wait_alu 0xf1ff
	v_xor_b32_e32 v73, s15, v73
	ds_load_b32 v173, v74 offset:1056
	v_add_nc_u32_e32 v175, v147, v71
	v_and_b32_e32 v70, v70, v72
	; wave barrier
	s_delay_alu instid0(VALU_DEP_1) | instskip(NEXT) | instid1(VALU_DEP_1)
	v_and_b32_e32 v70, v70, v73
	v_mbcnt_lo_u32_b32 v174, v70, 0
	v_cmp_ne_u32_e64 s15, 0, v70
	s_delay_alu instid0(VALU_DEP_2)
	v_cmp_eq_u32_e32 vcc_lo, 0, v174
	s_and_b32 s16, s15, vcc_lo
	s_wait_alu 0xfffe
	s_and_saveexec_b32 s15, s16
	s_cbranch_execz .LBB842_146
; %bb.145:                              ;   in Loop: Header=BB842_104 Depth=2
	s_wait_dscnt 0x0
	v_bcnt_u32_b32 v70, v70, v173
	ds_store_b32 v175, v70 offset:1056
.LBB842_146:                            ;   in Loop: Header=BB842_104 Depth=2
	s_wait_alu 0xfffe
	s_or_b32 exec_lo, exec_lo, s15
	v_xor_b32_e32 v45, 0x80000000, v45
	; wave barrier
	s_delay_alu instid0(VALU_DEP_1) | instskip(NEXT) | instid1(VALU_DEP_1)
	v_lshrrev_b64 v[70:71], s48, v[44:45]
	v_and_b32_e32 v71, s55, v70
	s_delay_alu instid0(VALU_DEP_1)
	v_and_b32_e32 v70, 1, v71
	v_lshlrev_b32_e32 v72, 30, v71
	v_lshlrev_b32_e32 v73, 29, v71
	;; [unrolled: 1-line block ×4, first 2 shown]
	v_add_co_u32 v70, s15, v70, -1
	s_wait_alu 0xf1ff
	v_cndmask_b32_e64 v75, 0, 1, s15
	v_not_b32_e32 v177, v72
	v_cmp_gt_i32_e64 s15, 0, v72
	v_not_b32_e32 v72, v73
	v_lshlrev_b32_e32 v77, 26, v71
	v_cmp_ne_u32_e32 vcc_lo, 0, v75
	v_ashrrev_i32_e32 v177, 31, v177
	v_lshlrev_b32_e32 v176, 25, v71
	v_ashrrev_i32_e32 v72, 31, v72
	v_lshlrev_b32_e32 v75, 24, v71
	s_wait_alu 0xfffd
	v_xor_b32_e32 v70, vcc_lo, v70
	v_cmp_gt_i32_e32 vcc_lo, 0, v73
	v_not_b32_e32 v73, v74
	s_wait_alu 0xf1ff
	v_xor_b32_e32 v177, s15, v177
	v_cmp_gt_i32_e64 s15, 0, v74
	v_and_b32_e32 v70, exec_lo, v70
	v_not_b32_e32 v74, v76
	v_ashrrev_i32_e32 v73, 31, v73
	s_wait_alu 0xfffd
	v_xor_b32_e32 v72, vcc_lo, v72
	v_cmp_gt_i32_e32 vcc_lo, 0, v76
	v_and_b32_e32 v70, v70, v177
	v_not_b32_e32 v76, v77
	v_ashrrev_i32_e32 v74, 31, v74
	s_wait_alu 0xf1ff
	v_xor_b32_e32 v73, s15, v73
	v_cmp_gt_i32_e64 s15, 0, v77
	v_and_b32_e32 v70, v70, v72
	v_not_b32_e32 v72, v176
	v_ashrrev_i32_e32 v76, 31, v76
	s_wait_alu 0xfffd
	v_xor_b32_e32 v74, vcc_lo, v74
	v_cmp_gt_i32_e32 vcc_lo, 0, v176
	v_and_b32_e32 v70, v70, v73
	v_not_b32_e32 v73, v75
	v_ashrrev_i32_e32 v72, 31, v72
	s_wait_alu 0xf1ff
	v_xor_b32_e32 v76, s15, v76
	v_cmp_gt_i32_e64 s15, 0, v75
	v_and_b32_e32 v70, v70, v74
	v_ashrrev_i32_e32 v73, 31, v73
	s_wait_alu 0xfffd
	v_xor_b32_e32 v72, vcc_lo, v72
	v_mad_u32_u24 v74, v71, 36, v147
	v_mul_u32_u24_e32 v71, 36, v71
	v_and_b32_e32 v70, v70, v76
	s_wait_alu 0xf1ff
	v_xor_b32_e32 v73, s15, v73
	ds_load_b32 v176, v74 offset:1056
	v_add_nc_u32_e32 v178, v147, v71
	v_and_b32_e32 v70, v70, v72
	; wave barrier
	s_delay_alu instid0(VALU_DEP_1) | instskip(NEXT) | instid1(VALU_DEP_1)
	v_and_b32_e32 v70, v70, v73
	v_mbcnt_lo_u32_b32 v177, v70, 0
	v_cmp_ne_u32_e64 s15, 0, v70
	s_delay_alu instid0(VALU_DEP_2)
	v_cmp_eq_u32_e32 vcc_lo, 0, v177
	s_and_b32 s16, s15, vcc_lo
	s_wait_alu 0xfffe
	s_and_saveexec_b32 s15, s16
	s_cbranch_execz .LBB842_148
; %bb.147:                              ;   in Loop: Header=BB842_104 Depth=2
	s_wait_dscnt 0x0
	v_bcnt_u32_b32 v70, v70, v176
	ds_store_b32 v178, v70 offset:1056
.LBB842_148:                            ;   in Loop: Header=BB842_104 Depth=2
	s_wait_alu 0xfffe
	s_or_b32 exec_lo, exec_lo, s15
	v_xor_b32_e32 v47, 0x80000000, v47
	; wave barrier
	s_delay_alu instid0(VALU_DEP_1) | instskip(NEXT) | instid1(VALU_DEP_1)
	v_lshrrev_b64 v[70:71], s48, v[46:47]
	v_and_b32_e32 v71, s55, v70
	s_delay_alu instid0(VALU_DEP_1)
	v_and_b32_e32 v70, 1, v71
	v_lshlrev_b32_e32 v72, 30, v71
	v_lshlrev_b32_e32 v73, 29, v71
	;; [unrolled: 1-line block ×4, first 2 shown]
	v_add_co_u32 v70, s15, v70, -1
	s_wait_alu 0xf1ff
	v_cndmask_b32_e64 v75, 0, 1, s15
	v_not_b32_e32 v180, v72
	v_cmp_gt_i32_e64 s15, 0, v72
	v_not_b32_e32 v72, v73
	v_lshlrev_b32_e32 v77, 26, v71
	v_cmp_ne_u32_e32 vcc_lo, 0, v75
	v_ashrrev_i32_e32 v180, 31, v180
	v_lshlrev_b32_e32 v179, 25, v71
	v_ashrrev_i32_e32 v72, 31, v72
	v_lshlrev_b32_e32 v75, 24, v71
	s_wait_alu 0xfffd
	v_xor_b32_e32 v70, vcc_lo, v70
	v_cmp_gt_i32_e32 vcc_lo, 0, v73
	v_not_b32_e32 v73, v74
	s_wait_alu 0xf1ff
	v_xor_b32_e32 v180, s15, v180
	v_cmp_gt_i32_e64 s15, 0, v74
	v_and_b32_e32 v70, exec_lo, v70
	v_not_b32_e32 v74, v76
	v_ashrrev_i32_e32 v73, 31, v73
	s_wait_alu 0xfffd
	v_xor_b32_e32 v72, vcc_lo, v72
	v_cmp_gt_i32_e32 vcc_lo, 0, v76
	v_and_b32_e32 v70, v70, v180
	v_not_b32_e32 v76, v77
	v_ashrrev_i32_e32 v74, 31, v74
	s_wait_alu 0xf1ff
	v_xor_b32_e32 v73, s15, v73
	v_cmp_gt_i32_e64 s15, 0, v77
	v_and_b32_e32 v70, v70, v72
	v_not_b32_e32 v72, v179
	v_ashrrev_i32_e32 v76, 31, v76
	s_wait_alu 0xfffd
	v_xor_b32_e32 v74, vcc_lo, v74
	v_cmp_gt_i32_e32 vcc_lo, 0, v179
	v_and_b32_e32 v70, v70, v73
	v_not_b32_e32 v73, v75
	v_ashrrev_i32_e32 v72, 31, v72
	s_wait_alu 0xf1ff
	v_xor_b32_e32 v76, s15, v76
	v_cmp_gt_i32_e64 s15, 0, v75
	v_and_b32_e32 v70, v70, v74
	v_ashrrev_i32_e32 v73, 31, v73
	s_wait_alu 0xfffd
	v_xor_b32_e32 v72, vcc_lo, v72
	v_mad_u32_u24 v74, v71, 36, v147
	v_mul_u32_u24_e32 v71, 36, v71
	v_and_b32_e32 v70, v70, v76
	s_wait_alu 0xf1ff
	v_xor_b32_e32 v73, s15, v73
	ds_load_b32 v179, v74 offset:1056
	v_add_nc_u32_e32 v181, v147, v71
	v_and_b32_e32 v70, v70, v72
	; wave barrier
	s_delay_alu instid0(VALU_DEP_1) | instskip(NEXT) | instid1(VALU_DEP_1)
	v_and_b32_e32 v70, v70, v73
	v_mbcnt_lo_u32_b32 v180, v70, 0
	v_cmp_ne_u32_e64 s15, 0, v70
	s_delay_alu instid0(VALU_DEP_2)
	v_cmp_eq_u32_e32 vcc_lo, 0, v180
	s_and_b32 s16, s15, vcc_lo
	s_wait_alu 0xfffe
	s_and_saveexec_b32 s15, s16
	s_cbranch_execz .LBB842_150
; %bb.149:                              ;   in Loop: Header=BB842_104 Depth=2
	s_wait_dscnt 0x0
	v_bcnt_u32_b32 v70, v70, v179
	ds_store_b32 v181, v70 offset:1056
.LBB842_150:                            ;   in Loop: Header=BB842_104 Depth=2
	s_wait_alu 0xfffe
	s_or_b32 exec_lo, exec_lo, s15
	v_xor_b32_e32 v51, 0x80000000, v51
	; wave barrier
	s_delay_alu instid0(VALU_DEP_1) | instskip(NEXT) | instid1(VALU_DEP_1)
	v_lshrrev_b64 v[70:71], s48, v[50:51]
	v_and_b32_e32 v71, s55, v70
	s_delay_alu instid0(VALU_DEP_1)
	v_and_b32_e32 v70, 1, v71
	v_lshlrev_b32_e32 v72, 30, v71
	v_lshlrev_b32_e32 v73, 29, v71
	;; [unrolled: 1-line block ×4, first 2 shown]
	v_add_co_u32 v70, s15, v70, -1
	s_wait_alu 0xf1ff
	v_cndmask_b32_e64 v75, 0, 1, s15
	v_not_b32_e32 v183, v72
	v_cmp_gt_i32_e64 s15, 0, v72
	v_not_b32_e32 v72, v73
	v_lshlrev_b32_e32 v77, 26, v71
	v_cmp_ne_u32_e32 vcc_lo, 0, v75
	v_ashrrev_i32_e32 v183, 31, v183
	v_lshlrev_b32_e32 v182, 25, v71
	v_ashrrev_i32_e32 v72, 31, v72
	v_lshlrev_b32_e32 v75, 24, v71
	s_wait_alu 0xfffd
	v_xor_b32_e32 v70, vcc_lo, v70
	v_cmp_gt_i32_e32 vcc_lo, 0, v73
	v_not_b32_e32 v73, v74
	s_wait_alu 0xf1ff
	v_xor_b32_e32 v183, s15, v183
	v_cmp_gt_i32_e64 s15, 0, v74
	v_and_b32_e32 v70, exec_lo, v70
	v_not_b32_e32 v74, v76
	v_ashrrev_i32_e32 v73, 31, v73
	s_wait_alu 0xfffd
	v_xor_b32_e32 v72, vcc_lo, v72
	v_cmp_gt_i32_e32 vcc_lo, 0, v76
	v_and_b32_e32 v70, v70, v183
	v_not_b32_e32 v76, v77
	v_ashrrev_i32_e32 v74, 31, v74
	s_wait_alu 0xf1ff
	v_xor_b32_e32 v73, s15, v73
	v_cmp_gt_i32_e64 s15, 0, v77
	v_and_b32_e32 v70, v70, v72
	v_not_b32_e32 v72, v182
	v_ashrrev_i32_e32 v76, 31, v76
	s_wait_alu 0xfffd
	v_xor_b32_e32 v74, vcc_lo, v74
	v_cmp_gt_i32_e32 vcc_lo, 0, v182
	v_and_b32_e32 v70, v70, v73
	v_not_b32_e32 v73, v75
	v_ashrrev_i32_e32 v72, 31, v72
	s_wait_alu 0xf1ff
	v_xor_b32_e32 v76, s15, v76
	v_cmp_gt_i32_e64 s15, 0, v75
	v_and_b32_e32 v70, v70, v74
	v_ashrrev_i32_e32 v73, 31, v73
	s_wait_alu 0xfffd
	v_xor_b32_e32 v72, vcc_lo, v72
	v_mad_u32_u24 v74, v71, 36, v147
	v_mul_u32_u24_e32 v71, 36, v71
	v_and_b32_e32 v70, v70, v76
	s_wait_alu 0xf1ff
	v_xor_b32_e32 v73, s15, v73
	ds_load_b32 v182, v74 offset:1056
	v_add_nc_u32_e32 v184, v147, v71
	v_and_b32_e32 v70, v70, v72
	; wave barrier
	s_delay_alu instid0(VALU_DEP_1) | instskip(NEXT) | instid1(VALU_DEP_1)
	v_and_b32_e32 v70, v70, v73
	v_mbcnt_lo_u32_b32 v183, v70, 0
	v_cmp_ne_u32_e64 s15, 0, v70
	s_delay_alu instid0(VALU_DEP_2)
	v_cmp_eq_u32_e32 vcc_lo, 0, v183
	s_and_b32 s16, s15, vcc_lo
	s_wait_alu 0xfffe
	s_and_saveexec_b32 s15, s16
	s_cbranch_execz .LBB842_152
; %bb.151:                              ;   in Loop: Header=BB842_104 Depth=2
	s_wait_dscnt 0x0
	v_bcnt_u32_b32 v70, v70, v182
	ds_store_b32 v184, v70 offset:1056
.LBB842_152:                            ;   in Loop: Header=BB842_104 Depth=2
	s_wait_alu 0xfffe
	s_or_b32 exec_lo, exec_lo, s15
	v_xor_b32_e32 v49, 0x80000000, v49
	; wave barrier
	s_delay_alu instid0(VALU_DEP_1) | instskip(NEXT) | instid1(VALU_DEP_1)
	v_lshrrev_b64 v[70:71], s48, v[48:49]
	v_and_b32_e32 v71, s55, v70
	s_delay_alu instid0(VALU_DEP_1)
	v_and_b32_e32 v70, 1, v71
	v_lshlrev_b32_e32 v72, 30, v71
	v_lshlrev_b32_e32 v73, 29, v71
	;; [unrolled: 1-line block ×4, first 2 shown]
	v_add_co_u32 v70, s15, v70, -1
	s_wait_alu 0xf1ff
	v_cndmask_b32_e64 v75, 0, 1, s15
	v_not_b32_e32 v186, v72
	v_cmp_gt_i32_e64 s15, 0, v72
	v_not_b32_e32 v72, v73
	v_lshlrev_b32_e32 v77, 26, v71
	v_cmp_ne_u32_e32 vcc_lo, 0, v75
	v_ashrrev_i32_e32 v186, 31, v186
	v_lshlrev_b32_e32 v185, 25, v71
	v_ashrrev_i32_e32 v72, 31, v72
	v_lshlrev_b32_e32 v75, 24, v71
	s_wait_alu 0xfffd
	v_xor_b32_e32 v70, vcc_lo, v70
	v_cmp_gt_i32_e32 vcc_lo, 0, v73
	v_not_b32_e32 v73, v74
	s_wait_alu 0xf1ff
	v_xor_b32_e32 v186, s15, v186
	v_cmp_gt_i32_e64 s15, 0, v74
	v_and_b32_e32 v70, exec_lo, v70
	v_not_b32_e32 v74, v76
	v_ashrrev_i32_e32 v73, 31, v73
	s_wait_alu 0xfffd
	v_xor_b32_e32 v72, vcc_lo, v72
	v_cmp_gt_i32_e32 vcc_lo, 0, v76
	v_and_b32_e32 v70, v70, v186
	v_not_b32_e32 v76, v77
	v_ashrrev_i32_e32 v74, 31, v74
	s_wait_alu 0xf1ff
	v_xor_b32_e32 v73, s15, v73
	v_cmp_gt_i32_e64 s15, 0, v77
	v_and_b32_e32 v70, v70, v72
	v_not_b32_e32 v72, v185
	v_ashrrev_i32_e32 v76, 31, v76
	s_wait_alu 0xfffd
	v_xor_b32_e32 v74, vcc_lo, v74
	v_cmp_gt_i32_e32 vcc_lo, 0, v185
	v_and_b32_e32 v70, v70, v73
	v_not_b32_e32 v73, v75
	v_ashrrev_i32_e32 v72, 31, v72
	s_wait_alu 0xf1ff
	v_xor_b32_e32 v76, s15, v76
	v_cmp_gt_i32_e64 s15, 0, v75
	v_and_b32_e32 v70, v70, v74
	v_ashrrev_i32_e32 v73, 31, v73
	s_wait_alu 0xfffd
	v_xor_b32_e32 v72, vcc_lo, v72
	v_mad_u32_u24 v74, v71, 36, v147
	v_mul_u32_u24_e32 v71, 36, v71
	v_and_b32_e32 v70, v70, v76
	s_wait_alu 0xf1ff
	v_xor_b32_e32 v73, s15, v73
	ds_load_b32 v185, v74 offset:1056
	v_add_nc_u32_e32 v187, v147, v71
	v_and_b32_e32 v70, v70, v72
	; wave barrier
	s_delay_alu instid0(VALU_DEP_1) | instskip(NEXT) | instid1(VALU_DEP_1)
	v_and_b32_e32 v70, v70, v73
	v_mbcnt_lo_u32_b32 v186, v70, 0
	v_cmp_ne_u32_e64 s15, 0, v70
	s_delay_alu instid0(VALU_DEP_2)
	v_cmp_eq_u32_e32 vcc_lo, 0, v186
	s_and_b32 s16, s15, vcc_lo
	s_wait_alu 0xfffe
	s_and_saveexec_b32 s15, s16
	s_cbranch_execz .LBB842_154
; %bb.153:                              ;   in Loop: Header=BB842_104 Depth=2
	s_wait_dscnt 0x0
	v_bcnt_u32_b32 v70, v70, v185
	ds_store_b32 v187, v70 offset:1056
.LBB842_154:                            ;   in Loop: Header=BB842_104 Depth=2
	s_wait_alu 0xfffe
	s_or_b32 exec_lo, exec_lo, s15
	v_xor_b32_e32 v53, 0x80000000, v53
	; wave barrier
	s_delay_alu instid0(VALU_DEP_1) | instskip(NEXT) | instid1(VALU_DEP_1)
	v_lshrrev_b64 v[70:71], s48, v[52:53]
	v_and_b32_e32 v71, s55, v70
	s_delay_alu instid0(VALU_DEP_1)
	v_and_b32_e32 v70, 1, v71
	v_lshlrev_b32_e32 v72, 30, v71
	v_lshlrev_b32_e32 v73, 29, v71
	;; [unrolled: 1-line block ×4, first 2 shown]
	v_add_co_u32 v70, s15, v70, -1
	s_wait_alu 0xf1ff
	v_cndmask_b32_e64 v75, 0, 1, s15
	v_not_b32_e32 v189, v72
	v_cmp_gt_i32_e64 s15, 0, v72
	v_not_b32_e32 v72, v73
	v_lshlrev_b32_e32 v77, 26, v71
	v_cmp_ne_u32_e32 vcc_lo, 0, v75
	v_ashrrev_i32_e32 v189, 31, v189
	v_lshlrev_b32_e32 v188, 25, v71
	v_ashrrev_i32_e32 v72, 31, v72
	v_lshlrev_b32_e32 v75, 24, v71
	s_wait_alu 0xfffd
	v_xor_b32_e32 v70, vcc_lo, v70
	v_cmp_gt_i32_e32 vcc_lo, 0, v73
	v_not_b32_e32 v73, v74
	s_wait_alu 0xf1ff
	v_xor_b32_e32 v189, s15, v189
	v_cmp_gt_i32_e64 s15, 0, v74
	v_and_b32_e32 v70, exec_lo, v70
	v_not_b32_e32 v74, v76
	v_ashrrev_i32_e32 v73, 31, v73
	s_wait_alu 0xfffd
	v_xor_b32_e32 v72, vcc_lo, v72
	v_cmp_gt_i32_e32 vcc_lo, 0, v76
	v_and_b32_e32 v70, v70, v189
	v_not_b32_e32 v76, v77
	v_ashrrev_i32_e32 v74, 31, v74
	s_wait_alu 0xf1ff
	v_xor_b32_e32 v73, s15, v73
	v_cmp_gt_i32_e64 s15, 0, v77
	v_and_b32_e32 v70, v70, v72
	v_not_b32_e32 v72, v188
	v_ashrrev_i32_e32 v76, 31, v76
	s_wait_alu 0xfffd
	v_xor_b32_e32 v74, vcc_lo, v74
	v_cmp_gt_i32_e32 vcc_lo, 0, v188
	v_and_b32_e32 v70, v70, v73
	v_not_b32_e32 v73, v75
	v_ashrrev_i32_e32 v72, 31, v72
	s_wait_alu 0xf1ff
	v_xor_b32_e32 v76, s15, v76
	v_cmp_gt_i32_e64 s15, 0, v75
	v_and_b32_e32 v70, v70, v74
	v_ashrrev_i32_e32 v73, 31, v73
	s_wait_alu 0xfffd
	v_xor_b32_e32 v72, vcc_lo, v72
	v_mad_u32_u24 v74, v71, 36, v147
	v_mul_u32_u24_e32 v71, 36, v71
	v_and_b32_e32 v70, v70, v76
	s_wait_alu 0xf1ff
	v_xor_b32_e32 v73, s15, v73
	ds_load_b32 v188, v74 offset:1056
	v_add_nc_u32_e32 v190, v147, v71
	v_and_b32_e32 v70, v70, v72
	; wave barrier
	s_delay_alu instid0(VALU_DEP_1) | instskip(NEXT) | instid1(VALU_DEP_1)
	v_and_b32_e32 v70, v70, v73
	v_mbcnt_lo_u32_b32 v189, v70, 0
	v_cmp_ne_u32_e64 s15, 0, v70
	s_delay_alu instid0(VALU_DEP_2)
	v_cmp_eq_u32_e32 vcc_lo, 0, v189
	s_and_b32 s16, s15, vcc_lo
	s_wait_alu 0xfffe
	s_and_saveexec_b32 s15, s16
	s_cbranch_execz .LBB842_156
; %bb.155:                              ;   in Loop: Header=BB842_104 Depth=2
	s_wait_dscnt 0x0
	v_bcnt_u32_b32 v70, v70, v188
	ds_store_b32 v190, v70 offset:1056
.LBB842_156:                            ;   in Loop: Header=BB842_104 Depth=2
	s_wait_alu 0xfffe
	s_or_b32 exec_lo, exec_lo, s15
	v_xor_b32_e32 v55, 0x80000000, v55
	; wave barrier
	s_delay_alu instid0(VALU_DEP_1) | instskip(NEXT) | instid1(VALU_DEP_1)
	v_lshrrev_b64 v[70:71], s48, v[54:55]
	v_and_b32_e32 v71, s55, v70
	s_delay_alu instid0(VALU_DEP_1)
	v_and_b32_e32 v70, 1, v71
	v_lshlrev_b32_e32 v72, 30, v71
	v_lshlrev_b32_e32 v73, 29, v71
	v_lshlrev_b32_e32 v74, 28, v71
	v_lshlrev_b32_e32 v76, 27, v71
	v_add_co_u32 v70, s15, v70, -1
	s_wait_alu 0xf1ff
	v_cndmask_b32_e64 v75, 0, 1, s15
	v_not_b32_e32 v192, v72
	v_cmp_gt_i32_e64 s15, 0, v72
	v_not_b32_e32 v72, v73
	v_lshlrev_b32_e32 v77, 26, v71
	v_cmp_ne_u32_e32 vcc_lo, 0, v75
	v_ashrrev_i32_e32 v192, 31, v192
	v_lshlrev_b32_e32 v191, 25, v71
	v_ashrrev_i32_e32 v72, 31, v72
	v_lshlrev_b32_e32 v75, 24, v71
	s_wait_alu 0xfffd
	v_xor_b32_e32 v70, vcc_lo, v70
	v_cmp_gt_i32_e32 vcc_lo, 0, v73
	v_not_b32_e32 v73, v74
	s_wait_alu 0xf1ff
	v_xor_b32_e32 v192, s15, v192
	v_cmp_gt_i32_e64 s15, 0, v74
	v_and_b32_e32 v70, exec_lo, v70
	v_not_b32_e32 v74, v76
	v_ashrrev_i32_e32 v73, 31, v73
	s_wait_alu 0xfffd
	v_xor_b32_e32 v72, vcc_lo, v72
	v_cmp_gt_i32_e32 vcc_lo, 0, v76
	v_and_b32_e32 v70, v70, v192
	v_not_b32_e32 v76, v77
	v_ashrrev_i32_e32 v74, 31, v74
	s_wait_alu 0xf1ff
	v_xor_b32_e32 v73, s15, v73
	v_cmp_gt_i32_e64 s15, 0, v77
	v_and_b32_e32 v70, v70, v72
	v_not_b32_e32 v72, v191
	v_ashrrev_i32_e32 v76, 31, v76
	s_wait_alu 0xfffd
	v_xor_b32_e32 v74, vcc_lo, v74
	v_cmp_gt_i32_e32 vcc_lo, 0, v191
	v_and_b32_e32 v70, v70, v73
	v_not_b32_e32 v73, v75
	v_ashrrev_i32_e32 v72, 31, v72
	s_wait_alu 0xf1ff
	v_xor_b32_e32 v76, s15, v76
	v_cmp_gt_i32_e64 s15, 0, v75
	v_and_b32_e32 v70, v70, v74
	v_ashrrev_i32_e32 v73, 31, v73
	s_wait_alu 0xfffd
	v_xor_b32_e32 v72, vcc_lo, v72
	v_mad_u32_u24 v74, v71, 36, v147
	v_mul_u32_u24_e32 v71, 36, v71
	v_and_b32_e32 v70, v70, v76
	s_wait_alu 0xf1ff
	v_xor_b32_e32 v73, s15, v73
	ds_load_b32 v191, v74 offset:1056
	v_add_nc_u32_e32 v193, v147, v71
	v_and_b32_e32 v70, v70, v72
	; wave barrier
	s_delay_alu instid0(VALU_DEP_1) | instskip(NEXT) | instid1(VALU_DEP_1)
	v_and_b32_e32 v70, v70, v73
	v_mbcnt_lo_u32_b32 v192, v70, 0
	v_cmp_ne_u32_e64 s15, 0, v70
	s_delay_alu instid0(VALU_DEP_2)
	v_cmp_eq_u32_e32 vcc_lo, 0, v192
	s_and_b32 s16, s15, vcc_lo
	s_wait_alu 0xfffe
	s_and_saveexec_b32 s15, s16
	s_cbranch_execz .LBB842_158
; %bb.157:                              ;   in Loop: Header=BB842_104 Depth=2
	s_wait_dscnt 0x0
	v_bcnt_u32_b32 v70, v70, v191
	ds_store_b32 v193, v70 offset:1056
.LBB842_158:                            ;   in Loop: Header=BB842_104 Depth=2
	s_wait_alu 0xfffe
	s_or_b32 exec_lo, exec_lo, s15
	v_xor_b32_e32 v57, 0x80000000, v57
	; wave barrier
	s_delay_alu instid0(VALU_DEP_1) | instskip(NEXT) | instid1(VALU_DEP_1)
	v_lshrrev_b64 v[70:71], s48, v[56:57]
	v_and_b32_e32 v71, s55, v70
	s_delay_alu instid0(VALU_DEP_1)
	v_and_b32_e32 v70, 1, v71
	v_lshlrev_b32_e32 v72, 30, v71
	v_lshlrev_b32_e32 v73, 29, v71
	v_lshlrev_b32_e32 v74, 28, v71
	v_lshlrev_b32_e32 v76, 27, v71
	v_add_co_u32 v70, s15, v70, -1
	s_wait_alu 0xf1ff
	v_cndmask_b32_e64 v75, 0, 1, s15
	v_not_b32_e32 v195, v72
	v_cmp_gt_i32_e64 s15, 0, v72
	v_not_b32_e32 v72, v73
	v_lshlrev_b32_e32 v77, 26, v71
	v_cmp_ne_u32_e32 vcc_lo, 0, v75
	v_ashrrev_i32_e32 v195, 31, v195
	v_lshlrev_b32_e32 v194, 25, v71
	v_ashrrev_i32_e32 v72, 31, v72
	v_lshlrev_b32_e32 v75, 24, v71
	s_wait_alu 0xfffd
	v_xor_b32_e32 v70, vcc_lo, v70
	v_cmp_gt_i32_e32 vcc_lo, 0, v73
	v_not_b32_e32 v73, v74
	s_wait_alu 0xf1ff
	v_xor_b32_e32 v195, s15, v195
	v_cmp_gt_i32_e64 s15, 0, v74
	v_and_b32_e32 v70, exec_lo, v70
	v_not_b32_e32 v74, v76
	v_ashrrev_i32_e32 v73, 31, v73
	s_wait_alu 0xfffd
	v_xor_b32_e32 v72, vcc_lo, v72
	v_cmp_gt_i32_e32 vcc_lo, 0, v76
	v_and_b32_e32 v70, v70, v195
	v_not_b32_e32 v76, v77
	v_ashrrev_i32_e32 v74, 31, v74
	s_wait_alu 0xf1ff
	v_xor_b32_e32 v73, s15, v73
	v_cmp_gt_i32_e64 s15, 0, v77
	v_and_b32_e32 v70, v70, v72
	v_not_b32_e32 v72, v194
	v_ashrrev_i32_e32 v76, 31, v76
	s_wait_alu 0xfffd
	v_xor_b32_e32 v74, vcc_lo, v74
	v_cmp_gt_i32_e32 vcc_lo, 0, v194
	v_and_b32_e32 v70, v70, v73
	v_not_b32_e32 v73, v75
	v_ashrrev_i32_e32 v72, 31, v72
	s_wait_alu 0xf1ff
	v_xor_b32_e32 v76, s15, v76
	v_cmp_gt_i32_e64 s15, 0, v75
	v_and_b32_e32 v70, v70, v74
	v_ashrrev_i32_e32 v73, 31, v73
	s_wait_alu 0xfffd
	v_xor_b32_e32 v72, vcc_lo, v72
	v_mad_u32_u24 v74, v71, 36, v147
	v_mul_u32_u24_e32 v71, 36, v71
	v_and_b32_e32 v70, v70, v76
	s_wait_alu 0xf1ff
	v_xor_b32_e32 v73, s15, v73
	ds_load_b32 v194, v74 offset:1056
	v_add_nc_u32_e32 v196, v147, v71
	v_and_b32_e32 v70, v70, v72
	; wave barrier
	s_delay_alu instid0(VALU_DEP_1) | instskip(NEXT) | instid1(VALU_DEP_1)
	v_and_b32_e32 v70, v70, v73
	v_mbcnt_lo_u32_b32 v195, v70, 0
	v_cmp_ne_u32_e64 s15, 0, v70
	s_delay_alu instid0(VALU_DEP_2)
	v_cmp_eq_u32_e32 vcc_lo, 0, v195
	s_and_b32 s16, s15, vcc_lo
	s_wait_alu 0xfffe
	s_and_saveexec_b32 s15, s16
	s_cbranch_execz .LBB842_160
; %bb.159:                              ;   in Loop: Header=BB842_104 Depth=2
	s_wait_dscnt 0x0
	v_bcnt_u32_b32 v70, v70, v194
	ds_store_b32 v196, v70 offset:1056
.LBB842_160:                            ;   in Loop: Header=BB842_104 Depth=2
	s_wait_alu 0xfffe
	s_or_b32 exec_lo, exec_lo, s15
	v_xor_b32_e32 v61, 0x80000000, v61
	; wave barrier
	s_delay_alu instid0(VALU_DEP_1) | instskip(NEXT) | instid1(VALU_DEP_1)
	v_lshrrev_b64 v[70:71], s48, v[60:61]
	v_and_b32_e32 v71, s55, v70
	s_delay_alu instid0(VALU_DEP_1)
	v_and_b32_e32 v70, 1, v71
	v_lshlrev_b32_e32 v72, 30, v71
	v_lshlrev_b32_e32 v73, 29, v71
	;; [unrolled: 1-line block ×4, first 2 shown]
	v_add_co_u32 v70, s15, v70, -1
	s_wait_alu 0xf1ff
	v_cndmask_b32_e64 v75, 0, 1, s15
	v_not_b32_e32 v198, v72
	v_cmp_gt_i32_e64 s15, 0, v72
	v_not_b32_e32 v72, v73
	v_lshlrev_b32_e32 v77, 26, v71
	v_cmp_ne_u32_e32 vcc_lo, 0, v75
	v_ashrrev_i32_e32 v198, 31, v198
	v_lshlrev_b32_e32 v197, 25, v71
	v_ashrrev_i32_e32 v72, 31, v72
	v_lshlrev_b32_e32 v75, 24, v71
	s_wait_alu 0xfffd
	v_xor_b32_e32 v70, vcc_lo, v70
	v_cmp_gt_i32_e32 vcc_lo, 0, v73
	v_not_b32_e32 v73, v74
	s_wait_alu 0xf1ff
	v_xor_b32_e32 v198, s15, v198
	v_cmp_gt_i32_e64 s15, 0, v74
	v_and_b32_e32 v70, exec_lo, v70
	v_not_b32_e32 v74, v76
	v_ashrrev_i32_e32 v73, 31, v73
	s_wait_alu 0xfffd
	v_xor_b32_e32 v72, vcc_lo, v72
	v_cmp_gt_i32_e32 vcc_lo, 0, v76
	v_and_b32_e32 v70, v70, v198
	v_not_b32_e32 v76, v77
	v_ashrrev_i32_e32 v74, 31, v74
	s_wait_alu 0xf1ff
	v_xor_b32_e32 v73, s15, v73
	v_cmp_gt_i32_e64 s15, 0, v77
	v_and_b32_e32 v70, v70, v72
	v_not_b32_e32 v72, v197
	v_ashrrev_i32_e32 v76, 31, v76
	s_wait_alu 0xfffd
	v_xor_b32_e32 v74, vcc_lo, v74
	v_cmp_gt_i32_e32 vcc_lo, 0, v197
	v_and_b32_e32 v70, v70, v73
	v_not_b32_e32 v73, v75
	v_ashrrev_i32_e32 v72, 31, v72
	s_wait_alu 0xf1ff
	v_xor_b32_e32 v76, s15, v76
	v_cmp_gt_i32_e64 s15, 0, v75
	v_and_b32_e32 v70, v70, v74
	v_ashrrev_i32_e32 v73, 31, v73
	s_wait_alu 0xfffd
	v_xor_b32_e32 v72, vcc_lo, v72
	v_mad_u32_u24 v74, v71, 36, v147
	v_mul_u32_u24_e32 v71, 36, v71
	v_and_b32_e32 v70, v70, v76
	s_wait_alu 0xf1ff
	v_xor_b32_e32 v73, s15, v73
	ds_load_b32 v197, v74 offset:1056
	v_add_nc_u32_e32 v199, v147, v71
	v_and_b32_e32 v70, v70, v72
	; wave barrier
	s_delay_alu instid0(VALU_DEP_1) | instskip(NEXT) | instid1(VALU_DEP_1)
	v_and_b32_e32 v70, v70, v73
	v_mbcnt_lo_u32_b32 v198, v70, 0
	v_cmp_ne_u32_e64 s15, 0, v70
	s_delay_alu instid0(VALU_DEP_2)
	v_cmp_eq_u32_e32 vcc_lo, 0, v198
	s_and_b32 s16, s15, vcc_lo
	s_wait_alu 0xfffe
	s_and_saveexec_b32 s15, s16
	s_cbranch_execz .LBB842_162
; %bb.161:                              ;   in Loop: Header=BB842_104 Depth=2
	s_wait_dscnt 0x0
	v_bcnt_u32_b32 v70, v70, v197
	ds_store_b32 v199, v70 offset:1056
.LBB842_162:                            ;   in Loop: Header=BB842_104 Depth=2
	s_wait_alu 0xfffe
	s_or_b32 exec_lo, exec_lo, s15
	v_xor_b32_e32 v59, 0x80000000, v59
	; wave barrier
	s_delay_alu instid0(VALU_DEP_1) | instskip(NEXT) | instid1(VALU_DEP_1)
	v_lshrrev_b64 v[70:71], s48, v[58:59]
	v_and_b32_e32 v71, s55, v70
	s_delay_alu instid0(VALU_DEP_1)
	v_and_b32_e32 v70, 1, v71
	v_lshlrev_b32_e32 v72, 30, v71
	v_lshlrev_b32_e32 v73, 29, v71
	;; [unrolled: 1-line block ×4, first 2 shown]
	v_add_co_u32 v70, s15, v70, -1
	s_wait_alu 0xf1ff
	v_cndmask_b32_e64 v75, 0, 1, s15
	v_not_b32_e32 v201, v72
	v_cmp_gt_i32_e64 s15, 0, v72
	v_not_b32_e32 v72, v73
	v_lshlrev_b32_e32 v77, 26, v71
	v_cmp_ne_u32_e32 vcc_lo, 0, v75
	v_ashrrev_i32_e32 v201, 31, v201
	v_lshlrev_b32_e32 v200, 25, v71
	v_ashrrev_i32_e32 v72, 31, v72
	v_lshlrev_b32_e32 v75, 24, v71
	s_wait_alu 0xfffd
	v_xor_b32_e32 v70, vcc_lo, v70
	v_cmp_gt_i32_e32 vcc_lo, 0, v73
	v_not_b32_e32 v73, v74
	s_wait_alu 0xf1ff
	v_xor_b32_e32 v201, s15, v201
	v_cmp_gt_i32_e64 s15, 0, v74
	v_and_b32_e32 v70, exec_lo, v70
	v_not_b32_e32 v74, v76
	v_ashrrev_i32_e32 v73, 31, v73
	s_wait_alu 0xfffd
	v_xor_b32_e32 v72, vcc_lo, v72
	v_cmp_gt_i32_e32 vcc_lo, 0, v76
	v_and_b32_e32 v70, v70, v201
	v_not_b32_e32 v76, v77
	v_ashrrev_i32_e32 v74, 31, v74
	s_wait_alu 0xf1ff
	v_xor_b32_e32 v73, s15, v73
	v_cmp_gt_i32_e64 s15, 0, v77
	v_and_b32_e32 v70, v70, v72
	v_not_b32_e32 v72, v200
	v_ashrrev_i32_e32 v76, 31, v76
	s_wait_alu 0xfffd
	v_xor_b32_e32 v74, vcc_lo, v74
	v_cmp_gt_i32_e32 vcc_lo, 0, v200
	v_and_b32_e32 v70, v70, v73
	v_not_b32_e32 v73, v75
	v_ashrrev_i32_e32 v72, 31, v72
	s_wait_alu 0xf1ff
	v_xor_b32_e32 v76, s15, v76
	v_cmp_gt_i32_e64 s15, 0, v75
	v_and_b32_e32 v70, v70, v74
	v_ashrrev_i32_e32 v73, 31, v73
	s_wait_alu 0xfffd
	v_xor_b32_e32 v72, vcc_lo, v72
	v_mad_u32_u24 v74, v71, 36, v147
	v_mul_u32_u24_e32 v71, 36, v71
	v_and_b32_e32 v70, v70, v76
	s_wait_alu 0xf1ff
	v_xor_b32_e32 v73, s15, v73
	ds_load_b32 v200, v74 offset:1056
	v_add_nc_u32_e32 v202, v147, v71
	v_and_b32_e32 v70, v70, v72
	; wave barrier
	s_delay_alu instid0(VALU_DEP_1) | instskip(NEXT) | instid1(VALU_DEP_1)
	v_and_b32_e32 v70, v70, v73
	v_mbcnt_lo_u32_b32 v201, v70, 0
	v_cmp_ne_u32_e64 s15, 0, v70
	s_delay_alu instid0(VALU_DEP_2)
	v_cmp_eq_u32_e32 vcc_lo, 0, v201
	s_and_b32 s16, s15, vcc_lo
	s_wait_alu 0xfffe
	s_and_saveexec_b32 s15, s16
	s_cbranch_execz .LBB842_164
; %bb.163:                              ;   in Loop: Header=BB842_104 Depth=2
	s_wait_dscnt 0x0
	v_bcnt_u32_b32 v70, v70, v200
	ds_store_b32 v202, v70 offset:1056
.LBB842_164:                            ;   in Loop: Header=BB842_104 Depth=2
	s_wait_alu 0xfffe
	s_or_b32 exec_lo, exec_lo, s15
	v_xor_b32_e32 v63, 0x80000000, v63
	; wave barrier
	s_delay_alu instid0(VALU_DEP_1) | instskip(NEXT) | instid1(VALU_DEP_1)
	v_lshrrev_b64 v[70:71], s48, v[62:63]
	v_and_b32_e32 v71, s55, v70
	s_delay_alu instid0(VALU_DEP_1)
	v_and_b32_e32 v70, 1, v71
	v_lshlrev_b32_e32 v72, 30, v71
	v_lshlrev_b32_e32 v73, 29, v71
	v_lshlrev_b32_e32 v74, 28, v71
	v_lshlrev_b32_e32 v76, 27, v71
	v_add_co_u32 v70, s15, v70, -1
	s_wait_alu 0xf1ff
	v_cndmask_b32_e64 v75, 0, 1, s15
	v_not_b32_e32 v204, v72
	v_cmp_gt_i32_e64 s15, 0, v72
	v_not_b32_e32 v72, v73
	v_lshlrev_b32_e32 v77, 26, v71
	v_cmp_ne_u32_e32 vcc_lo, 0, v75
	v_ashrrev_i32_e32 v204, 31, v204
	v_lshlrev_b32_e32 v203, 25, v71
	v_ashrrev_i32_e32 v72, 31, v72
	v_lshlrev_b32_e32 v75, 24, v71
	s_wait_alu 0xfffd
	v_xor_b32_e32 v70, vcc_lo, v70
	v_cmp_gt_i32_e32 vcc_lo, 0, v73
	v_not_b32_e32 v73, v74
	s_wait_alu 0xf1ff
	v_xor_b32_e32 v204, s15, v204
	v_cmp_gt_i32_e64 s15, 0, v74
	v_and_b32_e32 v70, exec_lo, v70
	v_not_b32_e32 v74, v76
	v_ashrrev_i32_e32 v73, 31, v73
	s_wait_alu 0xfffd
	v_xor_b32_e32 v72, vcc_lo, v72
	v_cmp_gt_i32_e32 vcc_lo, 0, v76
	v_and_b32_e32 v70, v70, v204
	v_not_b32_e32 v76, v77
	v_ashrrev_i32_e32 v74, 31, v74
	s_wait_alu 0xf1ff
	v_xor_b32_e32 v73, s15, v73
	v_cmp_gt_i32_e64 s15, 0, v77
	v_and_b32_e32 v70, v70, v72
	v_not_b32_e32 v72, v203
	v_ashrrev_i32_e32 v76, 31, v76
	s_wait_alu 0xfffd
	v_xor_b32_e32 v74, vcc_lo, v74
	v_cmp_gt_i32_e32 vcc_lo, 0, v203
	v_and_b32_e32 v70, v70, v73
	v_not_b32_e32 v73, v75
	v_ashrrev_i32_e32 v72, 31, v72
	s_wait_alu 0xf1ff
	v_xor_b32_e32 v76, s15, v76
	v_cmp_gt_i32_e64 s15, 0, v75
	v_and_b32_e32 v70, v70, v74
	v_ashrrev_i32_e32 v73, 31, v73
	s_wait_alu 0xfffd
	v_xor_b32_e32 v72, vcc_lo, v72
	v_mad_u32_u24 v74, v71, 36, v147
	v_mul_u32_u24_e32 v71, 36, v71
	v_and_b32_e32 v70, v70, v76
	s_wait_alu 0xf1ff
	v_xor_b32_e32 v73, s15, v73
	ds_load_b32 v203, v74 offset:1056
	v_add_nc_u32_e32 v206, v147, v71
	v_and_b32_e32 v70, v70, v72
	; wave barrier
	s_delay_alu instid0(VALU_DEP_1) | instskip(NEXT) | instid1(VALU_DEP_1)
	v_and_b32_e32 v70, v70, v73
	v_mbcnt_lo_u32_b32 v204, v70, 0
	v_cmp_ne_u32_e64 s15, 0, v70
	s_delay_alu instid0(VALU_DEP_2)
	v_cmp_eq_u32_e32 vcc_lo, 0, v204
	s_and_b32 s16, s15, vcc_lo
	s_wait_alu 0xfffe
	s_and_saveexec_b32 s15, s16
	s_cbranch_execz .LBB842_166
; %bb.165:                              ;   in Loop: Header=BB842_104 Depth=2
	s_wait_dscnt 0x0
	v_bcnt_u32_b32 v70, v70, v203
	ds_store_b32 v206, v70 offset:1056
.LBB842_166:                            ;   in Loop: Header=BB842_104 Depth=2
	s_wait_alu 0xfffe
	s_or_b32 exec_lo, exec_lo, s15
	v_xor_b32_e32 v65, 0x80000000, v65
	; wave barrier
	s_delay_alu instid0(VALU_DEP_1) | instskip(NEXT) | instid1(VALU_DEP_1)
	v_lshrrev_b64 v[70:71], s48, v[64:65]
	v_and_b32_e32 v71, s55, v70
	s_delay_alu instid0(VALU_DEP_1)
	v_and_b32_e32 v70, 1, v71
	v_lshlrev_b32_e32 v72, 30, v71
	v_lshlrev_b32_e32 v73, 29, v71
	;; [unrolled: 1-line block ×4, first 2 shown]
	v_add_co_u32 v70, s15, v70, -1
	s_wait_alu 0xf1ff
	v_cndmask_b32_e64 v75, 0, 1, s15
	v_not_b32_e32 v207, v72
	v_cmp_gt_i32_e64 s15, 0, v72
	v_not_b32_e32 v72, v73
	v_lshlrev_b32_e32 v77, 26, v71
	v_cmp_ne_u32_e32 vcc_lo, 0, v75
	v_ashrrev_i32_e32 v207, 31, v207
	v_lshlrev_b32_e32 v205, 25, v71
	v_ashrrev_i32_e32 v72, 31, v72
	v_lshlrev_b32_e32 v75, 24, v71
	s_wait_alu 0xfffd
	v_xor_b32_e32 v70, vcc_lo, v70
	v_cmp_gt_i32_e32 vcc_lo, 0, v73
	v_not_b32_e32 v73, v74
	s_wait_alu 0xf1ff
	v_xor_b32_e32 v207, s15, v207
	v_cmp_gt_i32_e64 s15, 0, v74
	v_and_b32_e32 v70, exec_lo, v70
	v_not_b32_e32 v74, v76
	v_ashrrev_i32_e32 v73, 31, v73
	s_wait_alu 0xfffd
	v_xor_b32_e32 v72, vcc_lo, v72
	v_cmp_gt_i32_e32 vcc_lo, 0, v76
	v_and_b32_e32 v70, v70, v207
	v_not_b32_e32 v76, v77
	v_ashrrev_i32_e32 v74, 31, v74
	s_wait_alu 0xf1ff
	v_xor_b32_e32 v73, s15, v73
	v_cmp_gt_i32_e64 s15, 0, v77
	v_and_b32_e32 v70, v70, v72
	v_not_b32_e32 v72, v205
	v_ashrrev_i32_e32 v76, 31, v76
	s_wait_alu 0xfffd
	v_xor_b32_e32 v74, vcc_lo, v74
	v_cmp_gt_i32_e32 vcc_lo, 0, v205
	v_and_b32_e32 v70, v70, v73
	v_not_b32_e32 v73, v75
	v_ashrrev_i32_e32 v72, 31, v72
	s_wait_alu 0xf1ff
	v_xor_b32_e32 v76, s15, v76
	v_cmp_gt_i32_e64 s15, 0, v75
	v_and_b32_e32 v70, v70, v74
	v_ashrrev_i32_e32 v73, 31, v73
	s_wait_alu 0xfffd
	v_xor_b32_e32 v72, vcc_lo, v72
	v_mad_u32_u24 v74, v71, 36, v147
	v_mul_u32_u24_e32 v71, 36, v71
	v_and_b32_e32 v70, v70, v76
	s_wait_alu 0xf1ff
	v_xor_b32_e32 v73, s15, v73
	ds_load_b32 v205, v74 offset:1056
	v_add_nc_u32_e32 v209, v147, v71
	v_and_b32_e32 v70, v70, v72
	; wave barrier
	s_delay_alu instid0(VALU_DEP_1) | instskip(NEXT) | instid1(VALU_DEP_1)
	v_and_b32_e32 v70, v70, v73
	v_mbcnt_lo_u32_b32 v207, v70, 0
	v_cmp_ne_u32_e64 s15, 0, v70
	s_delay_alu instid0(VALU_DEP_2)
	v_cmp_eq_u32_e32 vcc_lo, 0, v207
	s_and_b32 s16, s15, vcc_lo
	s_wait_alu 0xfffe
	s_and_saveexec_b32 s15, s16
	s_cbranch_execz .LBB842_168
; %bb.167:                              ;   in Loop: Header=BB842_104 Depth=2
	s_wait_dscnt 0x0
	v_bcnt_u32_b32 v70, v70, v205
	ds_store_b32 v209, v70 offset:1056
.LBB842_168:                            ;   in Loop: Header=BB842_104 Depth=2
	s_wait_alu 0xfffe
	s_or_b32 exec_lo, exec_lo, s15
	v_xor_b32_e32 v67, 0x80000000, v67
	; wave barrier
	s_delay_alu instid0(VALU_DEP_1) | instskip(NEXT) | instid1(VALU_DEP_1)
	v_lshrrev_b64 v[70:71], s48, v[66:67]
	v_and_b32_e32 v71, s55, v70
	s_delay_alu instid0(VALU_DEP_1)
	v_and_b32_e32 v70, 1, v71
	v_lshlrev_b32_e32 v72, 30, v71
	v_lshlrev_b32_e32 v73, 29, v71
	;; [unrolled: 1-line block ×4, first 2 shown]
	v_add_co_u32 v70, s15, v70, -1
	s_wait_alu 0xf1ff
	v_cndmask_b32_e64 v75, 0, 1, s15
	v_not_b32_e32 v210, v72
	v_cmp_gt_i32_e64 s15, 0, v72
	v_not_b32_e32 v72, v73
	v_lshlrev_b32_e32 v77, 26, v71
	v_cmp_ne_u32_e32 vcc_lo, 0, v75
	v_ashrrev_i32_e32 v210, 31, v210
	v_lshlrev_b32_e32 v208, 25, v71
	v_ashrrev_i32_e32 v72, 31, v72
	v_lshlrev_b32_e32 v75, 24, v71
	s_wait_alu 0xfffd
	v_xor_b32_e32 v70, vcc_lo, v70
	v_cmp_gt_i32_e32 vcc_lo, 0, v73
	v_not_b32_e32 v73, v74
	s_wait_alu 0xf1ff
	v_xor_b32_e32 v210, s15, v210
	v_cmp_gt_i32_e64 s15, 0, v74
	v_and_b32_e32 v70, exec_lo, v70
	v_not_b32_e32 v74, v76
	v_ashrrev_i32_e32 v73, 31, v73
	s_wait_alu 0xfffd
	v_xor_b32_e32 v72, vcc_lo, v72
	v_cmp_gt_i32_e32 vcc_lo, 0, v76
	v_and_b32_e32 v70, v70, v210
	v_not_b32_e32 v76, v77
	v_ashrrev_i32_e32 v74, 31, v74
	s_wait_alu 0xf1ff
	v_xor_b32_e32 v73, s15, v73
	v_cmp_gt_i32_e64 s15, 0, v77
	v_and_b32_e32 v70, v70, v72
	v_not_b32_e32 v72, v208
	v_ashrrev_i32_e32 v76, 31, v76
	s_wait_alu 0xfffd
	v_xor_b32_e32 v74, vcc_lo, v74
	v_cmp_gt_i32_e32 vcc_lo, 0, v208
	v_and_b32_e32 v70, v70, v73
	v_not_b32_e32 v73, v75
	v_ashrrev_i32_e32 v72, 31, v72
	s_wait_alu 0xf1ff
	v_xor_b32_e32 v76, s15, v76
	v_cmp_gt_i32_e64 s15, 0, v75
	v_and_b32_e32 v70, v70, v74
	v_ashrrev_i32_e32 v73, 31, v73
	s_wait_alu 0xfffd
	v_xor_b32_e32 v72, vcc_lo, v72
	v_mad_u32_u24 v74, v71, 36, v147
	v_mul_u32_u24_e32 v71, 36, v71
	v_and_b32_e32 v70, v70, v76
	s_wait_alu 0xf1ff
	v_xor_b32_e32 v73, s15, v73
	ds_load_b32 v208, v74 offset:1056
	v_add_nc_u32_e32 v213, v147, v71
	v_and_b32_e32 v70, v70, v72
	; wave barrier
	s_delay_alu instid0(VALU_DEP_1) | instskip(NEXT) | instid1(VALU_DEP_1)
	v_and_b32_e32 v70, v70, v73
	v_mbcnt_lo_u32_b32 v210, v70, 0
	v_cmp_ne_u32_e64 s15, 0, v70
	s_delay_alu instid0(VALU_DEP_2)
	v_cmp_eq_u32_e32 vcc_lo, 0, v210
	s_and_b32 s16, s15, vcc_lo
	s_wait_alu 0xfffe
	s_and_saveexec_b32 s15, s16
	s_cbranch_execz .LBB842_170
; %bb.169:                              ;   in Loop: Header=BB842_104 Depth=2
	s_wait_dscnt 0x0
	v_bcnt_u32_b32 v70, v70, v208
	ds_store_b32 v213, v70 offset:1056
.LBB842_170:                            ;   in Loop: Header=BB842_104 Depth=2
	s_wait_alu 0xfffe
	s_or_b32 exec_lo, exec_lo, s15
	v_lshrrev_b64 v[70:71], s48, v[68:69]
	; wave barrier
	s_delay_alu instid0(VALU_DEP_1) | instskip(NEXT) | instid1(VALU_DEP_1)
	v_and_b32_e32 v71, s55, v70
	v_and_b32_e32 v70, 1, v71
	v_lshlrev_b32_e32 v72, 30, v71
	v_lshlrev_b32_e32 v73, 29, v71
	v_lshlrev_b32_e32 v74, 28, v71
	v_lshlrev_b32_e32 v76, 27, v71
	v_add_co_u32 v70, s15, v70, -1
	s_wait_alu 0xf1ff
	v_cndmask_b32_e64 v75, 0, 1, s15
	v_not_b32_e32 v212, v72
	v_cmp_gt_i32_e64 s15, 0, v72
	v_not_b32_e32 v72, v73
	v_lshlrev_b32_e32 v77, 26, v71
	v_cmp_ne_u32_e32 vcc_lo, 0, v75
	v_ashrrev_i32_e32 v212, 31, v212
	v_lshlrev_b32_e32 v211, 25, v71
	v_ashrrev_i32_e32 v72, 31, v72
	v_lshlrev_b32_e32 v75, 24, v71
	s_wait_alu 0xfffd
	v_xor_b32_e32 v70, vcc_lo, v70
	v_cmp_gt_i32_e32 vcc_lo, 0, v73
	v_not_b32_e32 v73, v74
	s_wait_alu 0xf1ff
	v_xor_b32_e32 v212, s15, v212
	v_cmp_gt_i32_e64 s15, 0, v74
	v_and_b32_e32 v70, exec_lo, v70
	v_not_b32_e32 v74, v76
	v_ashrrev_i32_e32 v73, 31, v73
	s_wait_alu 0xfffd
	v_xor_b32_e32 v72, vcc_lo, v72
	v_cmp_gt_i32_e32 vcc_lo, 0, v76
	v_and_b32_e32 v70, v70, v212
	v_not_b32_e32 v76, v77
	v_ashrrev_i32_e32 v74, 31, v74
	s_wait_alu 0xf1ff
	v_xor_b32_e32 v73, s15, v73
	v_cmp_gt_i32_e64 s15, 0, v77
	v_and_b32_e32 v70, v70, v72
	v_not_b32_e32 v72, v211
	v_ashrrev_i32_e32 v76, 31, v76
	s_wait_alu 0xfffd
	v_xor_b32_e32 v74, vcc_lo, v74
	v_cmp_gt_i32_e32 vcc_lo, 0, v211
	v_and_b32_e32 v70, v70, v73
	v_not_b32_e32 v73, v75
	v_ashrrev_i32_e32 v72, 31, v72
	s_wait_alu 0xf1ff
	v_xor_b32_e32 v76, s15, v76
	v_cmp_gt_i32_e64 s15, 0, v75
	v_and_b32_e32 v70, v70, v74
	v_ashrrev_i32_e32 v73, 31, v73
	s_wait_alu 0xfffd
	v_xor_b32_e32 v72, vcc_lo, v72
	v_mad_u32_u24 v74, v71, 36, v147
	v_mul_u32_u24_e32 v71, 36, v71
	v_and_b32_e32 v70, v70, v76
	s_wait_alu 0xf1ff
	v_xor_b32_e32 v73, s15, v73
	ds_load_b32 v211, v74 offset:1056
	v_add_nc_u32_e32 v214, v147, v71
	v_and_b32_e32 v70, v70, v72
	; wave barrier
	s_delay_alu instid0(VALU_DEP_1) | instskip(NEXT) | instid1(VALU_DEP_1)
	v_and_b32_e32 v70, v70, v73
	v_mbcnt_lo_u32_b32 v212, v70, 0
	v_cmp_ne_u32_e64 s15, 0, v70
	s_delay_alu instid0(VALU_DEP_2)
	v_cmp_eq_u32_e32 vcc_lo, 0, v212
	s_and_b32 s16, s15, vcc_lo
	s_wait_alu 0xfffe
	s_and_saveexec_b32 s15, s16
	s_cbranch_execz .LBB842_172
; %bb.171:                              ;   in Loop: Header=BB842_104 Depth=2
	s_wait_dscnt 0x0
	v_bcnt_u32_b32 v70, v70, v211
	ds_store_b32 v214, v70 offset:1056
.LBB842_172:                            ;   in Loop: Header=BB842_104 Depth=2
	s_wait_alu 0xfffe
	s_or_b32 exec_lo, exec_lo, s15
	; wave barrier
	s_wait_loadcnt_dscnt 0x0
	s_barrier_signal -1
	s_barrier_wait -1
	global_inv scope:SCOPE_SE
	ds_load_2addr_b32 v[76:77], v166 offset1:1
	ds_load_2addr_b32 v[74:75], v167 offset1:1
	;; [unrolled: 1-line block ×4, first 2 shown]
	ds_load_b32 v215, v102 offset:1088
	s_wait_dscnt 0x3
	v_add3_u32 v216, v77, v76, v74
	s_wait_dscnt 0x2
	s_delay_alu instid0(VALU_DEP_1) | instskip(SKIP_1) | instid1(VALU_DEP_1)
	v_add3_u32 v216, v216, v75, v72
	s_wait_dscnt 0x1
	v_add3_u32 v216, v216, v73, v70
	s_wait_dscnt 0x0
	s_delay_alu instid0(VALU_DEP_1) | instskip(NEXT) | instid1(VALU_DEP_1)
	v_add3_u32 v215, v216, v71, v215
	v_mov_b32_dpp v216, v215 row_shr:1 row_mask:0xf bank_mask:0xf
	s_delay_alu instid0(VALU_DEP_1) | instskip(NEXT) | instid1(VALU_DEP_1)
	v_cndmask_b32_e64 v216, v216, 0, s0
	v_add_nc_u32_e32 v215, v216, v215
	s_delay_alu instid0(VALU_DEP_1) | instskip(NEXT) | instid1(VALU_DEP_1)
	v_mov_b32_dpp v216, v215 row_shr:2 row_mask:0xf bank_mask:0xf
	v_cndmask_b32_e64 v216, 0, v216, s1
	s_delay_alu instid0(VALU_DEP_1) | instskip(NEXT) | instid1(VALU_DEP_1)
	v_add_nc_u32_e32 v215, v215, v216
	v_mov_b32_dpp v216, v215 row_shr:4 row_mask:0xf bank_mask:0xf
	s_delay_alu instid0(VALU_DEP_1) | instskip(NEXT) | instid1(VALU_DEP_1)
	v_cndmask_b32_e64 v216, 0, v216, s8
	v_add_nc_u32_e32 v215, v215, v216
	s_delay_alu instid0(VALU_DEP_1) | instskip(NEXT) | instid1(VALU_DEP_1)
	v_mov_b32_dpp v216, v215 row_shr:8 row_mask:0xf bank_mask:0xf
	v_cndmask_b32_e64 v216, 0, v216, s9
	s_delay_alu instid0(VALU_DEP_1) | instskip(SKIP_3) | instid1(VALU_DEP_1)
	v_add_nc_u32_e32 v215, v215, v216
	ds_swizzle_b32 v216, v215 offset:swizzle(BROADCAST,32,15)
	s_wait_dscnt 0x0
	v_cndmask_b32_e64 v216, v216, 0, s10
	v_add_nc_u32_e32 v215, v215, v216
	s_and_saveexec_b32 s15, s3
; %bb.173:                              ;   in Loop: Header=BB842_104 Depth=2
	ds_store_b32 v97, v215 offset:1024
; %bb.174:                              ;   in Loop: Header=BB842_104 Depth=2
	s_wait_alu 0xfffe
	s_or_b32 exec_lo, exec_lo, s15
	s_wait_loadcnt_dscnt 0x0
	s_barrier_signal -1
	s_barrier_wait -1
	global_inv scope:SCOPE_SE
	s_and_saveexec_b32 s15, s4
	s_cbranch_execz .LBB842_176
; %bb.175:                              ;   in Loop: Header=BB842_104 Depth=2
	ds_load_b32 v216, v105 offset:1024
	s_wait_dscnt 0x0
	v_mov_b32_dpp v217, v216 row_shr:1 row_mask:0xf bank_mask:0xf
	s_delay_alu instid0(VALU_DEP_1) | instskip(NEXT) | instid1(VALU_DEP_1)
	v_cndmask_b32_e64 v217, v217, 0, s12
	v_add_nc_u32_e32 v216, v217, v216
	s_delay_alu instid0(VALU_DEP_1) | instskip(NEXT) | instid1(VALU_DEP_1)
	v_mov_b32_dpp v217, v216 row_shr:2 row_mask:0xf bank_mask:0xf
	v_cndmask_b32_e64 v217, 0, v217, s13
	s_delay_alu instid0(VALU_DEP_1) | instskip(NEXT) | instid1(VALU_DEP_1)
	v_add_nc_u32_e32 v216, v216, v217
	v_mov_b32_dpp v217, v216 row_shr:4 row_mask:0xf bank_mask:0xf
	s_delay_alu instid0(VALU_DEP_1) | instskip(NEXT) | instid1(VALU_DEP_1)
	v_cndmask_b32_e64 v217, 0, v217, s14
	v_add_nc_u32_e32 v216, v216, v217
	ds_store_b32 v105, v216 offset:1024
.LBB842_176:                            ;   in Loop: Header=BB842_104 Depth=2
	s_wait_alu 0xfffe
	s_or_b32 exec_lo, exec_lo, s15
	v_mov_b32_e32 v216, 0
	s_wait_loadcnt_dscnt 0x0
	s_barrier_signal -1
	s_barrier_wait -1
	global_inv scope:SCOPE_SE
	s_and_saveexec_b32 s15, s5
; %bb.177:                              ;   in Loop: Header=BB842_104 Depth=2
	ds_load_b32 v216, v97 offset:1020
; %bb.178:                              ;   in Loop: Header=BB842_104 Depth=2
	s_wait_alu 0xfffe
	s_or_b32 exec_lo, exec_lo, s15
	s_wait_dscnt 0x0
	v_add_nc_u32_e32 v215, v216, v215
	ds_bpermute_b32 v215, v126, v215
	s_wait_dscnt 0x0
	v_cndmask_b32_e64 v215, v215, v216, s11
	s_delay_alu instid0(VALU_DEP_1) | instskip(NEXT) | instid1(VALU_DEP_1)
	v_cndmask_b32_e64 v215, v215, 0, s6
	v_add_nc_u32_e32 v76, v215, v76
	s_delay_alu instid0(VALU_DEP_1) | instskip(NEXT) | instid1(VALU_DEP_1)
	v_add_nc_u32_e32 v77, v76, v77
	v_add_nc_u32_e32 v74, v77, v74
	s_delay_alu instid0(VALU_DEP_1) | instskip(NEXT) | instid1(VALU_DEP_1)
	v_add_nc_u32_e32 v75, v74, v75
	;; [unrolled: 3-line block ×3, first 2 shown]
	v_add_nc_u32_e32 v70, v73, v70
	s_delay_alu instid0(VALU_DEP_1)
	v_add_nc_u32_e32 v71, v70, v71
	ds_store_2addr_b32 v165, v73, v70 offset1:1
	ds_store_2addr_b32 v166, v215, v76 offset1:1
	;; [unrolled: 1-line block ×4, first 2 shown]
	ds_store_b32 v102, v71 offset:1088
	s_wait_loadcnt_dscnt 0x0
	s_barrier_signal -1
	s_barrier_wait -1
	global_inv scope:SCOPE_SE
	ds_load_b32 v71, v169 offset:1056
	ds_load_b32 v216, v172 offset:1056
	;; [unrolled: 1-line block ×17, first 2 shown]
	v_mov_b32_e32 v70, 0x1000
	s_and_saveexec_b32 s15, s7
; %bb.179:                              ;   in Loop: Header=BB842_104 Depth=2
	ds_load_b32 v70, v102 offset:1092
; %bb.180:                              ;   in Loop: Header=BB842_104 Depth=2
	s_wait_alu 0xfffe
	s_or_b32 exec_lo, exec_lo, s15
	s_wait_loadcnt_dscnt 0x0
	s_barrier_signal -1
	s_barrier_wait -1
	global_inv scope:SCOPE_SE
	s_and_saveexec_b32 s15, s2
	s_cbranch_execz .LBB842_182
; %bb.181:                              ;   in Loop: Header=BB842_104 Depth=2
	ds_load_b32 v181, v78
	s_wait_dscnt 0x0
	v_sub_nc_u32_e32 v178, v181, v178
	ds_store_b32 v78, v178
.LBB842_182:                            ;   in Loop: Header=BB842_104 Depth=2
	s_wait_alu 0xfffe
	s_or_b32 exec_lo, exec_lo, s15
	v_lshlrev_b32_e32 v2, 3, v2
	v_lshlrev_b32_e32 v171, 3, v171
	;; [unrolled: 1-line block ×5, first 2 shown]
	v_lshl_add_u32 v71, v71, 3, v2
	v_lshlrev_b32_e32 v2, 3, v173
	v_lshlrev_b32_e32 v173, 3, v215
	;; [unrolled: 1-line block ×11, first 2 shown]
	ds_store_b64 v71, v[40:41] offset:1024
	v_add3_u32 v40, v171, v170, v178
	v_add3_u32 v41, v174, v2, v173
	v_add3_u32 v72, v177, v176, v74
	v_add3_u32 v73, v180, v179, v73
	v_add3_u32 v74, v181, v182, v183
	ds_store_b64 v40, v[38:39] offset:1024
	ds_store_b64 v41, v[42:43] offset:1024
	;; [unrolled: 1-line block ×5, first 2 shown]
	v_lshlrev_b32_e32 v2, 3, v186
	v_lshlrev_b32_e32 v38, 3, v185
	;; [unrolled: 1-line block ×15, first 2 shown]
	v_add3_u32 v42, v2, v38, v39
	v_add3_u32 v43, v43, v44, v45
	;; [unrolled: 1-line block ×5, first 2 shown]
	ds_store_b64 v42, v[48:49] offset:1024
	ds_store_b64 v43, v[52:53] offset:1024
	;; [unrolled: 1-line block ×5, first 2 shown]
	v_lshlrev_b32_e32 v2, 3, v201
	v_lshlrev_b32_e32 v38, 3, v200
	;; [unrolled: 1-line block ×15, first 2 shown]
	v_add3_u32 v47, v2, v38, v39
	v_add3_u32 v48, v48, v49, v50
	;; [unrolled: 1-line block ×5, first 2 shown]
	v_cmp_lt_u32_e32 vcc_lo, v1, v164
	ds_store_b64 v47, v[58:59] offset:1024
	ds_store_b64 v48, v[62:63] offset:1024
	;; [unrolled: 1-line block ×5, first 2 shown]
	s_wait_loadcnt_dscnt 0x0
	s_barrier_signal -1
	s_barrier_wait -1
	global_inv scope:SCOPE_SE
	s_and_saveexec_b32 s16, vcc_lo
	s_cbranch_execnz .LBB842_251
; %bb.183:                              ;   in Loop: Header=BB842_104 Depth=2
	s_wait_alu 0xfffe
	s_or_b32 exec_lo, exec_lo, s16
	v_cmp_lt_u32_e64 s15, v79, v164
	s_and_saveexec_b32 s17, s15
	s_cbranch_execnz .LBB842_252
.LBB842_184:                            ;   in Loop: Header=BB842_104 Depth=2
	s_wait_alu 0xfffe
	s_or_b32 exec_lo, exec_lo, s17
	v_cmp_lt_u32_e64 s16, v80, v164
	s_and_saveexec_b32 s18, s16
	s_cbranch_execnz .LBB842_253
.LBB842_185:                            ;   in Loop: Header=BB842_104 Depth=2
	s_wait_alu 0xfffe
	s_or_b32 exec_lo, exec_lo, s18
	v_cmp_lt_u32_e64 s17, v81, v164
	s_and_saveexec_b32 s19, s17
	s_cbranch_execnz .LBB842_254
.LBB842_186:                            ;   in Loop: Header=BB842_104 Depth=2
	s_wait_alu 0xfffe
	s_or_b32 exec_lo, exec_lo, s19
	v_cmp_lt_u32_e64 s18, v84, v164
	s_and_saveexec_b32 s20, s18
	s_cbranch_execnz .LBB842_255
.LBB842_187:                            ;   in Loop: Header=BB842_104 Depth=2
	s_wait_alu 0xfffe
	s_or_b32 exec_lo, exec_lo, s20
	v_cmp_lt_u32_e64 s19, v85, v164
	s_and_saveexec_b32 s21, s19
	s_cbranch_execnz .LBB842_256
.LBB842_188:                            ;   in Loop: Header=BB842_104 Depth=2
	s_wait_alu 0xfffe
	s_or_b32 exec_lo, exec_lo, s21
	v_cmp_lt_u32_e64 s20, v86, v164
	s_and_saveexec_b32 s22, s20
	s_cbranch_execnz .LBB842_257
.LBB842_189:                            ;   in Loop: Header=BB842_104 Depth=2
	s_wait_alu 0xfffe
	s_or_b32 exec_lo, exec_lo, s22
	v_cmp_lt_u32_e64 s21, v87, v164
	s_and_saveexec_b32 s23, s21
	s_cbranch_execnz .LBB842_258
.LBB842_190:                            ;   in Loop: Header=BB842_104 Depth=2
	s_wait_alu 0xfffe
	s_or_b32 exec_lo, exec_lo, s23
	v_cmp_lt_u32_e64 s22, v88, v164
	s_and_saveexec_b32 s24, s22
	s_cbranch_execnz .LBB842_259
.LBB842_191:                            ;   in Loop: Header=BB842_104 Depth=2
	s_wait_alu 0xfffe
	s_or_b32 exec_lo, exec_lo, s24
	v_cmp_lt_u32_e64 s23, v89, v164
	s_and_saveexec_b32 s25, s23
	s_cbranch_execnz .LBB842_260
.LBB842_192:                            ;   in Loop: Header=BB842_104 Depth=2
	s_wait_alu 0xfffe
	s_or_b32 exec_lo, exec_lo, s25
	v_cmp_lt_u32_e64 s24, v90, v164
	s_and_saveexec_b32 s26, s24
	s_cbranch_execnz .LBB842_261
.LBB842_193:                            ;   in Loop: Header=BB842_104 Depth=2
	s_wait_alu 0xfffe
	s_or_b32 exec_lo, exec_lo, s26
	v_cmp_lt_u32_e64 s25, v91, v164
	s_and_saveexec_b32 s27, s25
	s_cbranch_execnz .LBB842_262
.LBB842_194:                            ;   in Loop: Header=BB842_104 Depth=2
	s_wait_alu 0xfffe
	s_or_b32 exec_lo, exec_lo, s27
	v_cmp_lt_u32_e64 s26, v92, v164
	s_and_saveexec_b32 s28, s26
	s_cbranch_execnz .LBB842_263
.LBB842_195:                            ;   in Loop: Header=BB842_104 Depth=2
	s_wait_alu 0xfffe
	s_or_b32 exec_lo, exec_lo, s28
	v_cmp_lt_u32_e64 s27, v93, v164
	s_and_saveexec_b32 s29, s27
	s_cbranch_execnz .LBB842_264
.LBB842_196:                            ;   in Loop: Header=BB842_104 Depth=2
	s_wait_alu 0xfffe
	s_or_b32 exec_lo, exec_lo, s29
	v_cmp_lt_u32_e64 s28, v94, v164
	s_and_saveexec_b32 s30, s28
	s_cbranch_execnz .LBB842_265
.LBB842_197:                            ;   in Loop: Header=BB842_104 Depth=2
	s_wait_alu 0xfffe
	s_or_b32 exec_lo, exec_lo, s30
	v_cmp_lt_u32_e64 s29, v95, v164
	s_and_saveexec_b32 s58, s29
	s_cbranch_execz .LBB842_199
.LBB842_198:                            ;   in Loop: Header=BB842_104 Depth=2
	ds_load_b64 v[38:39], v110 offset:31744
	s_wait_dscnt 0x0
	v_lshrrev_b64 v[52:53], s48, v[38:39]
	v_xor_b32_e32 v39, 0x80000000, v39
	s_delay_alu instid0(VALU_DEP_2) | instskip(NEXT) | instid1(VALU_DEP_1)
	v_and_b32_e32 v2, s55, v52
	v_lshlrev_b32_e32 v2, 2, v2
	ds_load_b32 v2, v2
	s_wait_dscnt 0x0
	v_add_nc_u32_e32 v2, v2, v95
	s_delay_alu instid0(VALU_DEP_1) | instskip(NEXT) | instid1(VALU_DEP_1)
	v_lshlrev_b64_e32 v[52:53], 3, v[2:3]
	v_add_co_u32 v52, s30, s38, v52
	s_wait_alu 0xf1ff
	s_delay_alu instid0(VALU_DEP_2)
	v_add_co_ci_u32_e64 v53, null, s39, v53, s30
	global_store_b64 v[52:53], v[38:39], off
.LBB842_199:                            ;   in Loop: Header=BB842_104 Depth=2
	s_wait_alu 0xfffe
	s_or_b32 exec_lo, exec_lo, s58
	s_lshl_b64 s[58:59], s[34:35], 3
	s_wait_alu 0xfffe
	v_add_co_u32 v38, s30, v128, s58
	s_wait_alu 0xf1ff
	v_add_co_ci_u32_e64 v39, null, s59, v129, s30
	v_cmp_lt_u32_e64 s30, v127, v164
	s_and_saveexec_b32 s34, s30
	s_wait_alu 0xfffe
	s_xor_b32 s30, exec_lo, s34
	s_cbranch_execnz .LBB842_266
; %bb.200:                              ;   in Loop: Header=BB842_104 Depth=2
	s_wait_alu 0xfffe
	s_or_b32 exec_lo, exec_lo, s30
	s_delay_alu instid0(SALU_CYCLE_1)
	s_mov_b32 s34, exec_lo
	v_cmpx_lt_u32_e64 v130, v164
	s_cbranch_execnz .LBB842_267
.LBB842_201:                            ;   in Loop: Header=BB842_104 Depth=2
	s_wait_alu 0xfffe
	s_or_b32 exec_lo, exec_lo, s34
	s_delay_alu instid0(SALU_CYCLE_1)
	s_mov_b32 s34, exec_lo
	v_cmpx_lt_u32_e64 v131, v164
	s_cbranch_execnz .LBB842_268
.LBB842_202:                            ;   in Loop: Header=BB842_104 Depth=2
	s_wait_alu 0xfffe
	s_or_b32 exec_lo, exec_lo, s34
	s_delay_alu instid0(SALU_CYCLE_1)
	s_mov_b32 s34, exec_lo
	v_cmpx_lt_u32_e64 v132, v164
	s_cbranch_execnz .LBB842_269
.LBB842_203:                            ;   in Loop: Header=BB842_104 Depth=2
	s_wait_alu 0xfffe
	s_or_b32 exec_lo, exec_lo, s34
	s_delay_alu instid0(SALU_CYCLE_1)
	s_mov_b32 s34, exec_lo
	v_cmpx_lt_u32_e64 v133, v164
	s_cbranch_execnz .LBB842_270
.LBB842_204:                            ;   in Loop: Header=BB842_104 Depth=2
	s_wait_alu 0xfffe
	s_or_b32 exec_lo, exec_lo, s34
	s_delay_alu instid0(SALU_CYCLE_1)
	s_mov_b32 s34, exec_lo
	v_cmpx_lt_u32_e64 v134, v164
	s_cbranch_execnz .LBB842_271
.LBB842_205:                            ;   in Loop: Header=BB842_104 Depth=2
	s_wait_alu 0xfffe
	s_or_b32 exec_lo, exec_lo, s34
	s_delay_alu instid0(SALU_CYCLE_1)
	s_mov_b32 s34, exec_lo
	v_cmpx_lt_u32_e64 v135, v164
	s_cbranch_execnz .LBB842_272
.LBB842_206:                            ;   in Loop: Header=BB842_104 Depth=2
	s_wait_alu 0xfffe
	s_or_b32 exec_lo, exec_lo, s34
	s_delay_alu instid0(SALU_CYCLE_1)
	s_mov_b32 s34, exec_lo
	v_cmpx_lt_u32_e64 v136, v164
	s_cbranch_execnz .LBB842_273
.LBB842_207:                            ;   in Loop: Header=BB842_104 Depth=2
	s_wait_alu 0xfffe
	s_or_b32 exec_lo, exec_lo, s34
	s_delay_alu instid0(SALU_CYCLE_1)
	s_mov_b32 s34, exec_lo
	v_cmpx_lt_u32_e64 v137, v164
	s_cbranch_execnz .LBB842_274
.LBB842_208:                            ;   in Loop: Header=BB842_104 Depth=2
	s_wait_alu 0xfffe
	s_or_b32 exec_lo, exec_lo, s34
	s_delay_alu instid0(SALU_CYCLE_1)
	s_mov_b32 s34, exec_lo
	v_cmpx_lt_u32_e64 v138, v164
	s_cbranch_execnz .LBB842_275
.LBB842_209:                            ;   in Loop: Header=BB842_104 Depth=2
	s_wait_alu 0xfffe
	s_or_b32 exec_lo, exec_lo, s34
	s_delay_alu instid0(SALU_CYCLE_1)
	s_mov_b32 s34, exec_lo
	v_cmpx_lt_u32_e64 v139, v164
	s_cbranch_execnz .LBB842_276
.LBB842_210:                            ;   in Loop: Header=BB842_104 Depth=2
	s_wait_alu 0xfffe
	s_or_b32 exec_lo, exec_lo, s34
	s_delay_alu instid0(SALU_CYCLE_1)
	s_mov_b32 s34, exec_lo
	v_cmpx_lt_u32_e64 v140, v164
	s_cbranch_execnz .LBB842_277
.LBB842_211:                            ;   in Loop: Header=BB842_104 Depth=2
	s_wait_alu 0xfffe
	s_or_b32 exec_lo, exec_lo, s34
	s_delay_alu instid0(SALU_CYCLE_1)
	s_mov_b32 s34, exec_lo
	v_cmpx_lt_u32_e64 v141, v164
	s_cbranch_execnz .LBB842_278
.LBB842_212:                            ;   in Loop: Header=BB842_104 Depth=2
	s_wait_alu 0xfffe
	s_or_b32 exec_lo, exec_lo, s34
	s_delay_alu instid0(SALU_CYCLE_1)
	s_mov_b32 s34, exec_lo
	v_cmpx_lt_u32_e64 v142, v164
	s_cbranch_execnz .LBB842_279
.LBB842_213:                            ;   in Loop: Header=BB842_104 Depth=2
	s_wait_alu 0xfffe
	s_or_b32 exec_lo, exec_lo, s34
	s_delay_alu instid0(SALU_CYCLE_1)
	s_mov_b32 s34, exec_lo
	v_cmpx_lt_u32_e64 v143, v164
	s_cbranch_execnz .LBB842_280
.LBB842_214:                            ;   in Loop: Header=BB842_104 Depth=2
	s_wait_alu 0xfffe
	s_or_b32 exec_lo, exec_lo, s34
	s_delay_alu instid0(SALU_CYCLE_1)
	s_mov_b32 s34, exec_lo
	v_cmpx_lt_u32_e64 v144, v164
	s_cbranch_execnz .LBB842_281
.LBB842_215:                            ;   in Loop: Header=BB842_104 Depth=2
	s_wait_alu 0xfffe
	s_or_b32 exec_lo, exec_lo, s34
	s_and_saveexec_b32 s30, vcc_lo
	s_cbranch_execnz .LBB842_282
.LBB842_216:                            ;   in Loop: Header=BB842_104 Depth=2
	s_wait_alu 0xfffe
	s_or_b32 exec_lo, exec_lo, s30
	s_and_saveexec_b32 s30, s15
	s_cbranch_execnz .LBB842_283
.LBB842_217:                            ;   in Loop: Header=BB842_104 Depth=2
	s_wait_alu 0xfffe
	s_or_b32 exec_lo, exec_lo, s30
	s_and_saveexec_b32 s30, s16
	s_cbranch_execnz .LBB842_284
.LBB842_218:                            ;   in Loop: Header=BB842_104 Depth=2
	s_wait_alu 0xfffe
	s_or_b32 exec_lo, exec_lo, s30
	s_and_saveexec_b32 s30, s17
	s_cbranch_execnz .LBB842_285
.LBB842_219:                            ;   in Loop: Header=BB842_104 Depth=2
	s_wait_alu 0xfffe
	s_or_b32 exec_lo, exec_lo, s30
	s_and_saveexec_b32 s30, s18
	s_cbranch_execnz .LBB842_286
.LBB842_220:                            ;   in Loop: Header=BB842_104 Depth=2
	s_wait_alu 0xfffe
	s_or_b32 exec_lo, exec_lo, s30
	s_and_saveexec_b32 s30, s19
	s_cbranch_execnz .LBB842_287
.LBB842_221:                            ;   in Loop: Header=BB842_104 Depth=2
	s_wait_alu 0xfffe
	s_or_b32 exec_lo, exec_lo, s30
	s_and_saveexec_b32 s30, s20
	s_cbranch_execnz .LBB842_288
.LBB842_222:                            ;   in Loop: Header=BB842_104 Depth=2
	s_wait_alu 0xfffe
	s_or_b32 exec_lo, exec_lo, s30
	s_and_saveexec_b32 s30, s21
	s_cbranch_execnz .LBB842_289
.LBB842_223:                            ;   in Loop: Header=BB842_104 Depth=2
	s_wait_alu 0xfffe
	s_or_b32 exec_lo, exec_lo, s30
	s_and_saveexec_b32 s30, s22
	s_cbranch_execnz .LBB842_290
.LBB842_224:                            ;   in Loop: Header=BB842_104 Depth=2
	s_wait_alu 0xfffe
	s_or_b32 exec_lo, exec_lo, s30
	s_and_saveexec_b32 s30, s23
	s_cbranch_execnz .LBB842_291
.LBB842_225:                            ;   in Loop: Header=BB842_104 Depth=2
	s_wait_alu 0xfffe
	s_or_b32 exec_lo, exec_lo, s30
	s_and_saveexec_b32 s30, s24
	s_cbranch_execnz .LBB842_292
.LBB842_226:                            ;   in Loop: Header=BB842_104 Depth=2
	s_wait_alu 0xfffe
	s_or_b32 exec_lo, exec_lo, s30
	s_and_saveexec_b32 s30, s25
	s_cbranch_execnz .LBB842_293
.LBB842_227:                            ;   in Loop: Header=BB842_104 Depth=2
	s_wait_alu 0xfffe
	s_or_b32 exec_lo, exec_lo, s30
	s_and_saveexec_b32 s30, s26
	s_cbranch_execnz .LBB842_294
.LBB842_228:                            ;   in Loop: Header=BB842_104 Depth=2
	s_wait_alu 0xfffe
	s_or_b32 exec_lo, exec_lo, s30
	s_and_saveexec_b32 s30, s27
	s_cbranch_execnz .LBB842_295
.LBB842_229:                            ;   in Loop: Header=BB842_104 Depth=2
	s_wait_alu 0xfffe
	s_or_b32 exec_lo, exec_lo, s30
	s_and_saveexec_b32 s30, s28
	s_cbranch_execnz .LBB842_296
.LBB842_230:                            ;   in Loop: Header=BB842_104 Depth=2
	s_wait_alu 0xfffe
	s_or_b32 exec_lo, exec_lo, s30
	s_and_saveexec_b32 s30, s29
	s_cbranch_execz .LBB842_232
.LBB842_231:                            ;   in Loop: Header=BB842_104 Depth=2
	ds_load_b64 v[38:39], v110 offset:31744
	s_wait_dscnt 0x0
	v_lshrrev_b64 v[38:39], s48, v[38:39]
	s_delay_alu instid0(VALU_DEP_1)
	v_and_b32_e32 v148, s55, v38
.LBB842_232:                            ;   in Loop: Header=BB842_104 Depth=2
	s_wait_alu 0xfffe
	s_or_b32 exec_lo, exec_lo, s30
	s_wait_loadcnt 0x0
	s_wait_storecnt 0x0
	s_barrier_signal -1
	s_barrier_wait -1
	global_inv scope:SCOPE_SE
	ds_store_b64 v71, v[36:37] offset:1024
	ds_store_b64 v40, v[34:35] offset:1024
	;; [unrolled: 1-line block ×16, first 2 shown]
	s_wait_loadcnt_dscnt 0x0
	s_barrier_signal -1
	s_barrier_wait -1
	global_inv scope:SCOPE_SE
	s_and_saveexec_b32 s30, vcc_lo
	s_cbranch_execnz .LBB842_297
; %bb.233:                              ;   in Loop: Header=BB842_104 Depth=2
	s_wait_alu 0xfffe
	s_or_b32 exec_lo, exec_lo, s30
	s_and_saveexec_b32 s30, s15
	s_cbranch_execnz .LBB842_298
.LBB842_234:                            ;   in Loop: Header=BB842_104 Depth=2
	s_wait_alu 0xfffe
	s_or_b32 exec_lo, exec_lo, s30
	s_and_saveexec_b32 s15, s16
	s_cbranch_execnz .LBB842_299
.LBB842_235:                            ;   in Loop: Header=BB842_104 Depth=2
	s_wait_alu 0xfffe
	s_or_b32 exec_lo, exec_lo, s15
	s_and_saveexec_b32 s15, s17
	s_cbranch_execnz .LBB842_300
.LBB842_236:                            ;   in Loop: Header=BB842_104 Depth=2
	s_wait_alu 0xfffe
	s_or_b32 exec_lo, exec_lo, s15
	s_and_saveexec_b32 s15, s18
	s_cbranch_execnz .LBB842_301
.LBB842_237:                            ;   in Loop: Header=BB842_104 Depth=2
	s_wait_alu 0xfffe
	s_or_b32 exec_lo, exec_lo, s15
	s_and_saveexec_b32 s15, s19
	s_cbranch_execnz .LBB842_302
.LBB842_238:                            ;   in Loop: Header=BB842_104 Depth=2
	s_wait_alu 0xfffe
	s_or_b32 exec_lo, exec_lo, s15
	s_and_saveexec_b32 s15, s20
	s_cbranch_execnz .LBB842_303
.LBB842_239:                            ;   in Loop: Header=BB842_104 Depth=2
	s_wait_alu 0xfffe
	s_or_b32 exec_lo, exec_lo, s15
	s_and_saveexec_b32 s15, s21
	s_cbranch_execnz .LBB842_304
.LBB842_240:                            ;   in Loop: Header=BB842_104 Depth=2
	s_wait_alu 0xfffe
	s_or_b32 exec_lo, exec_lo, s15
	s_and_saveexec_b32 s15, s22
	s_cbranch_execnz .LBB842_305
.LBB842_241:                            ;   in Loop: Header=BB842_104 Depth=2
	s_wait_alu 0xfffe
	s_or_b32 exec_lo, exec_lo, s15
	s_and_saveexec_b32 s15, s23
	s_cbranch_execnz .LBB842_306
.LBB842_242:                            ;   in Loop: Header=BB842_104 Depth=2
	s_wait_alu 0xfffe
	s_or_b32 exec_lo, exec_lo, s15
	s_and_saveexec_b32 s15, s24
	s_cbranch_execnz .LBB842_307
.LBB842_243:                            ;   in Loop: Header=BB842_104 Depth=2
	s_wait_alu 0xfffe
	s_or_b32 exec_lo, exec_lo, s15
	s_and_saveexec_b32 s15, s25
	s_cbranch_execnz .LBB842_308
.LBB842_244:                            ;   in Loop: Header=BB842_104 Depth=2
	s_wait_alu 0xfffe
	s_or_b32 exec_lo, exec_lo, s15
	s_and_saveexec_b32 s15, s26
	s_cbranch_execnz .LBB842_309
.LBB842_245:                            ;   in Loop: Header=BB842_104 Depth=2
	s_wait_alu 0xfffe
	s_or_b32 exec_lo, exec_lo, s15
	s_and_saveexec_b32 s15, s27
	s_cbranch_execnz .LBB842_310
.LBB842_246:                            ;   in Loop: Header=BB842_104 Depth=2
	s_wait_alu 0xfffe
	s_or_b32 exec_lo, exec_lo, s15
	s_and_saveexec_b32 s15, s28
	s_cbranch_execnz .LBB842_311
.LBB842_247:                            ;   in Loop: Header=BB842_104 Depth=2
	s_wait_alu 0xfffe
	s_or_b32 exec_lo, exec_lo, s15
	s_and_saveexec_b32 s15, s29
	s_cbranch_execz .LBB842_249
.LBB842_248:                            ;   in Loop: Header=BB842_104 Depth=2
	v_lshlrev_b32_e32 v2, 2, v148
	ds_load_b32 v2, v2
	ds_load_b64 v[38:39], v110 offset:31744
	s_wait_dscnt 0x1
	v_add_nc_u32_e32 v2, v2, v95
	s_delay_alu instid0(VALU_DEP_1) | instskip(NEXT) | instid1(VALU_DEP_1)
	v_lshlrev_b64_e32 v[40:41], 3, v[2:3]
	v_add_co_u32 v40, vcc_lo, s44, v40
	s_wait_alu 0xfffd
	s_delay_alu instid0(VALU_DEP_2)
	v_add_co_ci_u32_e64 v41, null, s45, v41, vcc_lo
	s_wait_dscnt 0x0
	global_store_b64 v[40:41], v[38:39], off
.LBB842_249:                            ;   in Loop: Header=BB842_104 Depth=2
	s_wait_alu 0xfffe
	s_or_b32 exec_lo, exec_lo, s15
	s_wait_loadcnt 0x0
	s_wait_storecnt 0x0
	s_barrier_signal -1
	s_barrier_wait -1
	global_inv scope:SCOPE_SE
	s_and_saveexec_b32 s15, s2
	s_cbranch_execz .LBB842_103
; %bb.250:                              ;   in Loop: Header=BB842_104 Depth=2
	ds_load_b32 v2, v78
	s_wait_dscnt 0x0
	v_add_nc_u32_e32 v2, v2, v70
	ds_store_b32 v78, v2
	s_branch .LBB842_103
.LBB842_251:                            ;   in Loop: Header=BB842_104 Depth=2
	ds_load_b64 v[38:39], v110 offset:1024
	s_wait_dscnt 0x0
	v_lshrrev_b64 v[52:53], s48, v[38:39]
	v_xor_b32_e32 v39, 0x80000000, v39
	s_delay_alu instid0(VALU_DEP_2) | instskip(NEXT) | instid1(VALU_DEP_1)
	v_and_b32_e32 v2, s55, v52
	v_lshlrev_b32_e32 v2, 2, v2
	ds_load_b32 v2, v2
	s_wait_dscnt 0x0
	v_add_nc_u32_e32 v2, v2, v1
	s_delay_alu instid0(VALU_DEP_1) | instskip(NEXT) | instid1(VALU_DEP_1)
	v_lshlrev_b64_e32 v[52:53], 3, v[2:3]
	v_add_co_u32 v52, s15, s38, v52
	s_wait_alu 0xf1ff
	s_delay_alu instid0(VALU_DEP_2)
	v_add_co_ci_u32_e64 v53, null, s39, v53, s15
	global_store_b64 v[52:53], v[38:39], off
	s_wait_alu 0xfffe
	s_or_b32 exec_lo, exec_lo, s16
	v_cmp_lt_u32_e64 s15, v79, v164
	s_and_saveexec_b32 s17, s15
	s_cbranch_execz .LBB842_184
.LBB842_252:                            ;   in Loop: Header=BB842_104 Depth=2
	ds_load_b64 v[38:39], v110 offset:3072
	s_wait_dscnt 0x0
	v_lshrrev_b64 v[52:53], s48, v[38:39]
	v_xor_b32_e32 v39, 0x80000000, v39
	s_delay_alu instid0(VALU_DEP_2) | instskip(NEXT) | instid1(VALU_DEP_1)
	v_and_b32_e32 v2, s55, v52
	v_lshlrev_b32_e32 v2, 2, v2
	ds_load_b32 v2, v2
	s_wait_dscnt 0x0
	v_add_nc_u32_e32 v2, v2, v79
	s_delay_alu instid0(VALU_DEP_1) | instskip(NEXT) | instid1(VALU_DEP_1)
	v_lshlrev_b64_e32 v[52:53], 3, v[2:3]
	v_add_co_u32 v52, s16, s38, v52
	s_wait_alu 0xf1ff
	s_delay_alu instid0(VALU_DEP_2)
	v_add_co_ci_u32_e64 v53, null, s39, v53, s16
	global_store_b64 v[52:53], v[38:39], off
	s_wait_alu 0xfffe
	s_or_b32 exec_lo, exec_lo, s17
	v_cmp_lt_u32_e64 s16, v80, v164
	s_and_saveexec_b32 s18, s16
	s_cbranch_execz .LBB842_185
.LBB842_253:                            ;   in Loop: Header=BB842_104 Depth=2
	ds_load_b64 v[38:39], v110 offset:5120
	s_wait_dscnt 0x0
	v_lshrrev_b64 v[52:53], s48, v[38:39]
	v_xor_b32_e32 v39, 0x80000000, v39
	s_delay_alu instid0(VALU_DEP_2) | instskip(NEXT) | instid1(VALU_DEP_1)
	v_and_b32_e32 v2, s55, v52
	v_lshlrev_b32_e32 v2, 2, v2
	ds_load_b32 v2, v2
	s_wait_dscnt 0x0
	v_add_nc_u32_e32 v2, v2, v80
	s_delay_alu instid0(VALU_DEP_1) | instskip(NEXT) | instid1(VALU_DEP_1)
	v_lshlrev_b64_e32 v[52:53], 3, v[2:3]
	v_add_co_u32 v52, s17, s38, v52
	s_wait_alu 0xf1ff
	s_delay_alu instid0(VALU_DEP_2)
	v_add_co_ci_u32_e64 v53, null, s39, v53, s17
	global_store_b64 v[52:53], v[38:39], off
	s_wait_alu 0xfffe
	s_or_b32 exec_lo, exec_lo, s18
	v_cmp_lt_u32_e64 s17, v81, v164
	s_and_saveexec_b32 s19, s17
	s_cbranch_execz .LBB842_186
.LBB842_254:                            ;   in Loop: Header=BB842_104 Depth=2
	ds_load_b64 v[38:39], v110 offset:7168
	s_wait_dscnt 0x0
	v_lshrrev_b64 v[52:53], s48, v[38:39]
	v_xor_b32_e32 v39, 0x80000000, v39
	s_delay_alu instid0(VALU_DEP_2) | instskip(NEXT) | instid1(VALU_DEP_1)
	v_and_b32_e32 v2, s55, v52
	v_lshlrev_b32_e32 v2, 2, v2
	ds_load_b32 v2, v2
	s_wait_dscnt 0x0
	v_add_nc_u32_e32 v2, v2, v81
	s_delay_alu instid0(VALU_DEP_1) | instskip(NEXT) | instid1(VALU_DEP_1)
	v_lshlrev_b64_e32 v[52:53], 3, v[2:3]
	v_add_co_u32 v52, s18, s38, v52
	s_wait_alu 0xf1ff
	s_delay_alu instid0(VALU_DEP_2)
	v_add_co_ci_u32_e64 v53, null, s39, v53, s18
	global_store_b64 v[52:53], v[38:39], off
	s_wait_alu 0xfffe
	s_or_b32 exec_lo, exec_lo, s19
	v_cmp_lt_u32_e64 s18, v84, v164
	s_and_saveexec_b32 s20, s18
	s_cbranch_execz .LBB842_187
.LBB842_255:                            ;   in Loop: Header=BB842_104 Depth=2
	ds_load_b64 v[38:39], v110 offset:9216
	s_wait_dscnt 0x0
	v_lshrrev_b64 v[52:53], s48, v[38:39]
	v_xor_b32_e32 v39, 0x80000000, v39
	s_delay_alu instid0(VALU_DEP_2) | instskip(NEXT) | instid1(VALU_DEP_1)
	v_and_b32_e32 v2, s55, v52
	v_lshlrev_b32_e32 v2, 2, v2
	ds_load_b32 v2, v2
	s_wait_dscnt 0x0
	v_add_nc_u32_e32 v2, v2, v84
	s_delay_alu instid0(VALU_DEP_1) | instskip(NEXT) | instid1(VALU_DEP_1)
	v_lshlrev_b64_e32 v[52:53], 3, v[2:3]
	v_add_co_u32 v52, s19, s38, v52
	s_wait_alu 0xf1ff
	s_delay_alu instid0(VALU_DEP_2)
	v_add_co_ci_u32_e64 v53, null, s39, v53, s19
	global_store_b64 v[52:53], v[38:39], off
	s_wait_alu 0xfffe
	s_or_b32 exec_lo, exec_lo, s20
	v_cmp_lt_u32_e64 s19, v85, v164
	s_and_saveexec_b32 s21, s19
	s_cbranch_execz .LBB842_188
.LBB842_256:                            ;   in Loop: Header=BB842_104 Depth=2
	ds_load_b64 v[38:39], v110 offset:11264
	s_wait_dscnt 0x0
	v_lshrrev_b64 v[52:53], s48, v[38:39]
	v_xor_b32_e32 v39, 0x80000000, v39
	s_delay_alu instid0(VALU_DEP_2) | instskip(NEXT) | instid1(VALU_DEP_1)
	v_and_b32_e32 v2, s55, v52
	v_lshlrev_b32_e32 v2, 2, v2
	ds_load_b32 v2, v2
	s_wait_dscnt 0x0
	v_add_nc_u32_e32 v2, v2, v85
	s_delay_alu instid0(VALU_DEP_1) | instskip(NEXT) | instid1(VALU_DEP_1)
	v_lshlrev_b64_e32 v[52:53], 3, v[2:3]
	v_add_co_u32 v52, s20, s38, v52
	s_wait_alu 0xf1ff
	s_delay_alu instid0(VALU_DEP_2)
	v_add_co_ci_u32_e64 v53, null, s39, v53, s20
	global_store_b64 v[52:53], v[38:39], off
	s_wait_alu 0xfffe
	s_or_b32 exec_lo, exec_lo, s21
	v_cmp_lt_u32_e64 s20, v86, v164
	s_and_saveexec_b32 s22, s20
	s_cbranch_execz .LBB842_189
.LBB842_257:                            ;   in Loop: Header=BB842_104 Depth=2
	ds_load_b64 v[38:39], v110 offset:13312
	s_wait_dscnt 0x0
	v_lshrrev_b64 v[52:53], s48, v[38:39]
	v_xor_b32_e32 v39, 0x80000000, v39
	s_delay_alu instid0(VALU_DEP_2) | instskip(NEXT) | instid1(VALU_DEP_1)
	v_and_b32_e32 v2, s55, v52
	v_lshlrev_b32_e32 v2, 2, v2
	ds_load_b32 v2, v2
	s_wait_dscnt 0x0
	v_add_nc_u32_e32 v2, v2, v86
	s_delay_alu instid0(VALU_DEP_1) | instskip(NEXT) | instid1(VALU_DEP_1)
	v_lshlrev_b64_e32 v[52:53], 3, v[2:3]
	v_add_co_u32 v52, s21, s38, v52
	s_wait_alu 0xf1ff
	s_delay_alu instid0(VALU_DEP_2)
	v_add_co_ci_u32_e64 v53, null, s39, v53, s21
	global_store_b64 v[52:53], v[38:39], off
	s_wait_alu 0xfffe
	s_or_b32 exec_lo, exec_lo, s22
	v_cmp_lt_u32_e64 s21, v87, v164
	s_and_saveexec_b32 s23, s21
	s_cbranch_execz .LBB842_190
.LBB842_258:                            ;   in Loop: Header=BB842_104 Depth=2
	ds_load_b64 v[38:39], v110 offset:15360
	s_wait_dscnt 0x0
	v_lshrrev_b64 v[52:53], s48, v[38:39]
	v_xor_b32_e32 v39, 0x80000000, v39
	s_delay_alu instid0(VALU_DEP_2) | instskip(NEXT) | instid1(VALU_DEP_1)
	v_and_b32_e32 v2, s55, v52
	v_lshlrev_b32_e32 v2, 2, v2
	ds_load_b32 v2, v2
	s_wait_dscnt 0x0
	v_add_nc_u32_e32 v2, v2, v87
	s_delay_alu instid0(VALU_DEP_1) | instskip(NEXT) | instid1(VALU_DEP_1)
	v_lshlrev_b64_e32 v[52:53], 3, v[2:3]
	v_add_co_u32 v52, s22, s38, v52
	s_wait_alu 0xf1ff
	s_delay_alu instid0(VALU_DEP_2)
	v_add_co_ci_u32_e64 v53, null, s39, v53, s22
	global_store_b64 v[52:53], v[38:39], off
	s_wait_alu 0xfffe
	s_or_b32 exec_lo, exec_lo, s23
	v_cmp_lt_u32_e64 s22, v88, v164
	s_and_saveexec_b32 s24, s22
	s_cbranch_execz .LBB842_191
.LBB842_259:                            ;   in Loop: Header=BB842_104 Depth=2
	ds_load_b64 v[38:39], v110 offset:17408
	s_wait_dscnt 0x0
	v_lshrrev_b64 v[52:53], s48, v[38:39]
	v_xor_b32_e32 v39, 0x80000000, v39
	s_delay_alu instid0(VALU_DEP_2) | instskip(NEXT) | instid1(VALU_DEP_1)
	v_and_b32_e32 v2, s55, v52
	v_lshlrev_b32_e32 v2, 2, v2
	ds_load_b32 v2, v2
	s_wait_dscnt 0x0
	v_add_nc_u32_e32 v2, v2, v88
	s_delay_alu instid0(VALU_DEP_1) | instskip(NEXT) | instid1(VALU_DEP_1)
	v_lshlrev_b64_e32 v[52:53], 3, v[2:3]
	v_add_co_u32 v52, s23, s38, v52
	s_wait_alu 0xf1ff
	s_delay_alu instid0(VALU_DEP_2)
	v_add_co_ci_u32_e64 v53, null, s39, v53, s23
	global_store_b64 v[52:53], v[38:39], off
	s_wait_alu 0xfffe
	s_or_b32 exec_lo, exec_lo, s24
	v_cmp_lt_u32_e64 s23, v89, v164
	s_and_saveexec_b32 s25, s23
	s_cbranch_execz .LBB842_192
.LBB842_260:                            ;   in Loop: Header=BB842_104 Depth=2
	ds_load_b64 v[38:39], v110 offset:19456
	s_wait_dscnt 0x0
	v_lshrrev_b64 v[52:53], s48, v[38:39]
	v_xor_b32_e32 v39, 0x80000000, v39
	s_delay_alu instid0(VALU_DEP_2) | instskip(NEXT) | instid1(VALU_DEP_1)
	v_and_b32_e32 v2, s55, v52
	v_lshlrev_b32_e32 v2, 2, v2
	ds_load_b32 v2, v2
	s_wait_dscnt 0x0
	v_add_nc_u32_e32 v2, v2, v89
	s_delay_alu instid0(VALU_DEP_1) | instskip(NEXT) | instid1(VALU_DEP_1)
	v_lshlrev_b64_e32 v[52:53], 3, v[2:3]
	v_add_co_u32 v52, s24, s38, v52
	s_wait_alu 0xf1ff
	s_delay_alu instid0(VALU_DEP_2)
	v_add_co_ci_u32_e64 v53, null, s39, v53, s24
	global_store_b64 v[52:53], v[38:39], off
	s_wait_alu 0xfffe
	s_or_b32 exec_lo, exec_lo, s25
	v_cmp_lt_u32_e64 s24, v90, v164
	s_and_saveexec_b32 s26, s24
	s_cbranch_execz .LBB842_193
.LBB842_261:                            ;   in Loop: Header=BB842_104 Depth=2
	ds_load_b64 v[38:39], v110 offset:21504
	s_wait_dscnt 0x0
	v_lshrrev_b64 v[52:53], s48, v[38:39]
	v_xor_b32_e32 v39, 0x80000000, v39
	s_delay_alu instid0(VALU_DEP_2) | instskip(NEXT) | instid1(VALU_DEP_1)
	v_and_b32_e32 v2, s55, v52
	v_lshlrev_b32_e32 v2, 2, v2
	ds_load_b32 v2, v2
	s_wait_dscnt 0x0
	v_add_nc_u32_e32 v2, v2, v90
	s_delay_alu instid0(VALU_DEP_1) | instskip(NEXT) | instid1(VALU_DEP_1)
	v_lshlrev_b64_e32 v[52:53], 3, v[2:3]
	v_add_co_u32 v52, s25, s38, v52
	s_wait_alu 0xf1ff
	s_delay_alu instid0(VALU_DEP_2)
	v_add_co_ci_u32_e64 v53, null, s39, v53, s25
	global_store_b64 v[52:53], v[38:39], off
	s_wait_alu 0xfffe
	s_or_b32 exec_lo, exec_lo, s26
	v_cmp_lt_u32_e64 s25, v91, v164
	s_and_saveexec_b32 s27, s25
	s_cbranch_execz .LBB842_194
.LBB842_262:                            ;   in Loop: Header=BB842_104 Depth=2
	ds_load_b64 v[38:39], v110 offset:23552
	s_wait_dscnt 0x0
	v_lshrrev_b64 v[52:53], s48, v[38:39]
	v_xor_b32_e32 v39, 0x80000000, v39
	s_delay_alu instid0(VALU_DEP_2) | instskip(NEXT) | instid1(VALU_DEP_1)
	v_and_b32_e32 v2, s55, v52
	v_lshlrev_b32_e32 v2, 2, v2
	ds_load_b32 v2, v2
	s_wait_dscnt 0x0
	v_add_nc_u32_e32 v2, v2, v91
	s_delay_alu instid0(VALU_DEP_1) | instskip(NEXT) | instid1(VALU_DEP_1)
	v_lshlrev_b64_e32 v[52:53], 3, v[2:3]
	v_add_co_u32 v52, s26, s38, v52
	s_wait_alu 0xf1ff
	s_delay_alu instid0(VALU_DEP_2)
	v_add_co_ci_u32_e64 v53, null, s39, v53, s26
	global_store_b64 v[52:53], v[38:39], off
	s_wait_alu 0xfffe
	s_or_b32 exec_lo, exec_lo, s27
	v_cmp_lt_u32_e64 s26, v92, v164
	s_and_saveexec_b32 s28, s26
	s_cbranch_execz .LBB842_195
.LBB842_263:                            ;   in Loop: Header=BB842_104 Depth=2
	ds_load_b64 v[38:39], v110 offset:25600
	s_wait_dscnt 0x0
	v_lshrrev_b64 v[52:53], s48, v[38:39]
	v_xor_b32_e32 v39, 0x80000000, v39
	s_delay_alu instid0(VALU_DEP_2) | instskip(NEXT) | instid1(VALU_DEP_1)
	v_and_b32_e32 v2, s55, v52
	v_lshlrev_b32_e32 v2, 2, v2
	ds_load_b32 v2, v2
	s_wait_dscnt 0x0
	v_add_nc_u32_e32 v2, v2, v92
	s_delay_alu instid0(VALU_DEP_1) | instskip(NEXT) | instid1(VALU_DEP_1)
	v_lshlrev_b64_e32 v[52:53], 3, v[2:3]
	v_add_co_u32 v52, s27, s38, v52
	s_wait_alu 0xf1ff
	s_delay_alu instid0(VALU_DEP_2)
	v_add_co_ci_u32_e64 v53, null, s39, v53, s27
	global_store_b64 v[52:53], v[38:39], off
	s_wait_alu 0xfffe
	s_or_b32 exec_lo, exec_lo, s28
	v_cmp_lt_u32_e64 s27, v93, v164
	s_and_saveexec_b32 s29, s27
	s_cbranch_execz .LBB842_196
.LBB842_264:                            ;   in Loop: Header=BB842_104 Depth=2
	ds_load_b64 v[38:39], v110 offset:27648
	s_wait_dscnt 0x0
	v_lshrrev_b64 v[52:53], s48, v[38:39]
	v_xor_b32_e32 v39, 0x80000000, v39
	s_delay_alu instid0(VALU_DEP_2) | instskip(NEXT) | instid1(VALU_DEP_1)
	v_and_b32_e32 v2, s55, v52
	v_lshlrev_b32_e32 v2, 2, v2
	ds_load_b32 v2, v2
	s_wait_dscnt 0x0
	v_add_nc_u32_e32 v2, v2, v93
	s_delay_alu instid0(VALU_DEP_1) | instskip(NEXT) | instid1(VALU_DEP_1)
	v_lshlrev_b64_e32 v[52:53], 3, v[2:3]
	v_add_co_u32 v52, s28, s38, v52
	s_wait_alu 0xf1ff
	s_delay_alu instid0(VALU_DEP_2)
	v_add_co_ci_u32_e64 v53, null, s39, v53, s28
	global_store_b64 v[52:53], v[38:39], off
	s_wait_alu 0xfffe
	s_or_b32 exec_lo, exec_lo, s29
	v_cmp_lt_u32_e64 s28, v94, v164
	s_and_saveexec_b32 s30, s28
	s_cbranch_execz .LBB842_197
.LBB842_265:                            ;   in Loop: Header=BB842_104 Depth=2
	ds_load_b64 v[38:39], v110 offset:29696
	s_wait_dscnt 0x0
	v_lshrrev_b64 v[52:53], s48, v[38:39]
	v_xor_b32_e32 v39, 0x80000000, v39
	s_delay_alu instid0(VALU_DEP_2) | instskip(NEXT) | instid1(VALU_DEP_1)
	v_and_b32_e32 v2, s55, v52
	v_lshlrev_b32_e32 v2, 2, v2
	ds_load_b32 v2, v2
	s_wait_dscnt 0x0
	v_add_nc_u32_e32 v2, v2, v94
	s_delay_alu instid0(VALU_DEP_1) | instskip(NEXT) | instid1(VALU_DEP_1)
	v_lshlrev_b64_e32 v[52:53], 3, v[2:3]
	v_add_co_u32 v52, s29, s38, v52
	s_wait_alu 0xf1ff
	s_delay_alu instid0(VALU_DEP_2)
	v_add_co_ci_u32_e64 v53, null, s39, v53, s29
	global_store_b64 v[52:53], v[38:39], off
	s_wait_alu 0xfffe
	s_or_b32 exec_lo, exec_lo, s30
	v_cmp_lt_u32_e64 s29, v95, v164
	s_and_saveexec_b32 s58, s29
	s_cbranch_execnz .LBB842_198
	s_branch .LBB842_199
.LBB842_266:                            ;   in Loop: Header=BB842_104 Depth=2
	global_load_b64 v[36:37], v[38:39], off
	s_wait_alu 0xfffe
	s_or_b32 exec_lo, exec_lo, s30
	s_delay_alu instid0(SALU_CYCLE_1)
	s_mov_b32 s34, exec_lo
	v_cmpx_lt_u32_e64 v130, v164
	s_cbranch_execz .LBB842_201
.LBB842_267:                            ;   in Loop: Header=BB842_104 Depth=2
	global_load_b64 v[34:35], v[38:39], off offset:256
	s_wait_alu 0xfffe
	s_or_b32 exec_lo, exec_lo, s34
	s_delay_alu instid0(SALU_CYCLE_1)
	s_mov_b32 s34, exec_lo
	v_cmpx_lt_u32_e64 v131, v164
	s_cbranch_execz .LBB842_202
.LBB842_268:                            ;   in Loop: Header=BB842_104 Depth=2
	global_load_b64 v[32:33], v[38:39], off offset:512
	s_wait_alu 0xfffe
	s_or_b32 exec_lo, exec_lo, s34
	s_delay_alu instid0(SALU_CYCLE_1)
	s_mov_b32 s34, exec_lo
	v_cmpx_lt_u32_e64 v132, v164
	s_cbranch_execz .LBB842_203
.LBB842_269:                            ;   in Loop: Header=BB842_104 Depth=2
	global_load_b64 v[30:31], v[38:39], off offset:768
	s_wait_alu 0xfffe
	s_or_b32 exec_lo, exec_lo, s34
	s_delay_alu instid0(SALU_CYCLE_1)
	s_mov_b32 s34, exec_lo
	v_cmpx_lt_u32_e64 v133, v164
	s_cbranch_execz .LBB842_204
.LBB842_270:                            ;   in Loop: Header=BB842_104 Depth=2
	global_load_b64 v[28:29], v[38:39], off offset:1024
	s_wait_alu 0xfffe
	s_or_b32 exec_lo, exec_lo, s34
	s_delay_alu instid0(SALU_CYCLE_1)
	s_mov_b32 s34, exec_lo
	v_cmpx_lt_u32_e64 v134, v164
	s_cbranch_execz .LBB842_205
.LBB842_271:                            ;   in Loop: Header=BB842_104 Depth=2
	global_load_b64 v[26:27], v[38:39], off offset:1280
	s_wait_alu 0xfffe
	s_or_b32 exec_lo, exec_lo, s34
	s_delay_alu instid0(SALU_CYCLE_1)
	s_mov_b32 s34, exec_lo
	v_cmpx_lt_u32_e64 v135, v164
	s_cbranch_execz .LBB842_206
.LBB842_272:                            ;   in Loop: Header=BB842_104 Depth=2
	global_load_b64 v[24:25], v[38:39], off offset:1536
	s_wait_alu 0xfffe
	s_or_b32 exec_lo, exec_lo, s34
	s_delay_alu instid0(SALU_CYCLE_1)
	s_mov_b32 s34, exec_lo
	v_cmpx_lt_u32_e64 v136, v164
	s_cbranch_execz .LBB842_207
.LBB842_273:                            ;   in Loop: Header=BB842_104 Depth=2
	global_load_b64 v[22:23], v[38:39], off offset:1792
	s_wait_alu 0xfffe
	s_or_b32 exec_lo, exec_lo, s34
	s_delay_alu instid0(SALU_CYCLE_1)
	s_mov_b32 s34, exec_lo
	v_cmpx_lt_u32_e64 v137, v164
	s_cbranch_execz .LBB842_208
.LBB842_274:                            ;   in Loop: Header=BB842_104 Depth=2
	global_load_b64 v[20:21], v[38:39], off offset:2048
	s_wait_alu 0xfffe
	s_or_b32 exec_lo, exec_lo, s34
	s_delay_alu instid0(SALU_CYCLE_1)
	s_mov_b32 s34, exec_lo
	v_cmpx_lt_u32_e64 v138, v164
	s_cbranch_execz .LBB842_209
.LBB842_275:                            ;   in Loop: Header=BB842_104 Depth=2
	global_load_b64 v[18:19], v[38:39], off offset:2304
	s_wait_alu 0xfffe
	s_or_b32 exec_lo, exec_lo, s34
	s_delay_alu instid0(SALU_CYCLE_1)
	s_mov_b32 s34, exec_lo
	v_cmpx_lt_u32_e64 v139, v164
	s_cbranch_execz .LBB842_210
.LBB842_276:                            ;   in Loop: Header=BB842_104 Depth=2
	global_load_b64 v[16:17], v[38:39], off offset:2560
	s_wait_alu 0xfffe
	s_or_b32 exec_lo, exec_lo, s34
	s_delay_alu instid0(SALU_CYCLE_1)
	s_mov_b32 s34, exec_lo
	v_cmpx_lt_u32_e64 v140, v164
	s_cbranch_execz .LBB842_211
.LBB842_277:                            ;   in Loop: Header=BB842_104 Depth=2
	global_load_b64 v[14:15], v[38:39], off offset:2816
	s_wait_alu 0xfffe
	s_or_b32 exec_lo, exec_lo, s34
	s_delay_alu instid0(SALU_CYCLE_1)
	s_mov_b32 s34, exec_lo
	v_cmpx_lt_u32_e64 v141, v164
	s_cbranch_execz .LBB842_212
.LBB842_278:                            ;   in Loop: Header=BB842_104 Depth=2
	global_load_b64 v[12:13], v[38:39], off offset:3072
	s_wait_alu 0xfffe
	s_or_b32 exec_lo, exec_lo, s34
	s_delay_alu instid0(SALU_CYCLE_1)
	s_mov_b32 s34, exec_lo
	v_cmpx_lt_u32_e64 v142, v164
	s_cbranch_execz .LBB842_213
.LBB842_279:                            ;   in Loop: Header=BB842_104 Depth=2
	global_load_b64 v[10:11], v[38:39], off offset:3328
	s_wait_alu 0xfffe
	s_or_b32 exec_lo, exec_lo, s34
	s_delay_alu instid0(SALU_CYCLE_1)
	s_mov_b32 s34, exec_lo
	v_cmpx_lt_u32_e64 v143, v164
	s_cbranch_execz .LBB842_214
.LBB842_280:                            ;   in Loop: Header=BB842_104 Depth=2
	global_load_b64 v[8:9], v[38:39], off offset:3584
	s_wait_alu 0xfffe
	s_or_b32 exec_lo, exec_lo, s34
	s_delay_alu instid0(SALU_CYCLE_1)
	s_mov_b32 s34, exec_lo
	v_cmpx_lt_u32_e64 v144, v164
	s_cbranch_execz .LBB842_215
.LBB842_281:                            ;   in Loop: Header=BB842_104 Depth=2
	global_load_b64 v[6:7], v[38:39], off offset:3840
	s_wait_alu 0xfffe
	s_or_b32 exec_lo, exec_lo, s34
	s_and_saveexec_b32 s30, vcc_lo
	s_cbranch_execz .LBB842_216
.LBB842_282:                            ;   in Loop: Header=BB842_104 Depth=2
	ds_load_b64 v[38:39], v110 offset:1024
	s_wait_dscnt 0x0
	v_lshrrev_b64 v[38:39], s48, v[38:39]
	s_delay_alu instid0(VALU_DEP_1)
	v_and_b32_e32 v163, s55, v38
	s_wait_alu 0xfffe
	s_or_b32 exec_lo, exec_lo, s30
	s_and_saveexec_b32 s30, s15
	s_cbranch_execz .LBB842_217
.LBB842_283:                            ;   in Loop: Header=BB842_104 Depth=2
	ds_load_b64 v[38:39], v110 offset:3072
	s_wait_dscnt 0x0
	v_lshrrev_b64 v[38:39], s48, v[38:39]
	s_delay_alu instid0(VALU_DEP_1)
	v_and_b32_e32 v162, s55, v38
	s_wait_alu 0xfffe
	s_or_b32 exec_lo, exec_lo, s30
	s_and_saveexec_b32 s30, s16
	s_cbranch_execz .LBB842_218
.LBB842_284:                            ;   in Loop: Header=BB842_104 Depth=2
	ds_load_b64 v[38:39], v110 offset:5120
	s_wait_dscnt 0x0
	v_lshrrev_b64 v[38:39], s48, v[38:39]
	s_delay_alu instid0(VALU_DEP_1)
	v_and_b32_e32 v161, s55, v38
	s_wait_alu 0xfffe
	s_or_b32 exec_lo, exec_lo, s30
	s_and_saveexec_b32 s30, s17
	s_cbranch_execz .LBB842_219
.LBB842_285:                            ;   in Loop: Header=BB842_104 Depth=2
	ds_load_b64 v[38:39], v110 offset:7168
	s_wait_dscnt 0x0
	v_lshrrev_b64 v[38:39], s48, v[38:39]
	s_delay_alu instid0(VALU_DEP_1)
	v_and_b32_e32 v160, s55, v38
	s_wait_alu 0xfffe
	s_or_b32 exec_lo, exec_lo, s30
	s_and_saveexec_b32 s30, s18
	s_cbranch_execz .LBB842_220
.LBB842_286:                            ;   in Loop: Header=BB842_104 Depth=2
	ds_load_b64 v[38:39], v110 offset:9216
	s_wait_dscnt 0x0
	v_lshrrev_b64 v[38:39], s48, v[38:39]
	s_delay_alu instid0(VALU_DEP_1)
	v_and_b32_e32 v159, s55, v38
	s_wait_alu 0xfffe
	s_or_b32 exec_lo, exec_lo, s30
	s_and_saveexec_b32 s30, s19
	s_cbranch_execz .LBB842_221
.LBB842_287:                            ;   in Loop: Header=BB842_104 Depth=2
	ds_load_b64 v[38:39], v110 offset:11264
	s_wait_dscnt 0x0
	v_lshrrev_b64 v[38:39], s48, v[38:39]
	s_delay_alu instid0(VALU_DEP_1)
	v_and_b32_e32 v158, s55, v38
	s_wait_alu 0xfffe
	s_or_b32 exec_lo, exec_lo, s30
	s_and_saveexec_b32 s30, s20
	s_cbranch_execz .LBB842_222
.LBB842_288:                            ;   in Loop: Header=BB842_104 Depth=2
	ds_load_b64 v[38:39], v110 offset:13312
	s_wait_dscnt 0x0
	v_lshrrev_b64 v[38:39], s48, v[38:39]
	s_delay_alu instid0(VALU_DEP_1)
	v_and_b32_e32 v157, s55, v38
	s_wait_alu 0xfffe
	s_or_b32 exec_lo, exec_lo, s30
	s_and_saveexec_b32 s30, s21
	s_cbranch_execz .LBB842_223
.LBB842_289:                            ;   in Loop: Header=BB842_104 Depth=2
	ds_load_b64 v[38:39], v110 offset:15360
	s_wait_dscnt 0x0
	v_lshrrev_b64 v[38:39], s48, v[38:39]
	s_delay_alu instid0(VALU_DEP_1)
	v_and_b32_e32 v156, s55, v38
	s_wait_alu 0xfffe
	s_or_b32 exec_lo, exec_lo, s30
	s_and_saveexec_b32 s30, s22
	s_cbranch_execz .LBB842_224
.LBB842_290:                            ;   in Loop: Header=BB842_104 Depth=2
	ds_load_b64 v[38:39], v110 offset:17408
	s_wait_dscnt 0x0
	v_lshrrev_b64 v[38:39], s48, v[38:39]
	s_delay_alu instid0(VALU_DEP_1)
	v_and_b32_e32 v155, s55, v38
	s_wait_alu 0xfffe
	s_or_b32 exec_lo, exec_lo, s30
	s_and_saveexec_b32 s30, s23
	s_cbranch_execz .LBB842_225
.LBB842_291:                            ;   in Loop: Header=BB842_104 Depth=2
	ds_load_b64 v[38:39], v110 offset:19456
	s_wait_dscnt 0x0
	v_lshrrev_b64 v[38:39], s48, v[38:39]
	s_delay_alu instid0(VALU_DEP_1)
	v_and_b32_e32 v154, s55, v38
	s_wait_alu 0xfffe
	s_or_b32 exec_lo, exec_lo, s30
	s_and_saveexec_b32 s30, s24
	s_cbranch_execz .LBB842_226
.LBB842_292:                            ;   in Loop: Header=BB842_104 Depth=2
	ds_load_b64 v[38:39], v110 offset:21504
	s_wait_dscnt 0x0
	v_lshrrev_b64 v[38:39], s48, v[38:39]
	s_delay_alu instid0(VALU_DEP_1)
	v_and_b32_e32 v153, s55, v38
	s_wait_alu 0xfffe
	s_or_b32 exec_lo, exec_lo, s30
	s_and_saveexec_b32 s30, s25
	s_cbranch_execz .LBB842_227
.LBB842_293:                            ;   in Loop: Header=BB842_104 Depth=2
	ds_load_b64 v[38:39], v110 offset:23552
	s_wait_dscnt 0x0
	v_lshrrev_b64 v[38:39], s48, v[38:39]
	s_delay_alu instid0(VALU_DEP_1)
	v_and_b32_e32 v152, s55, v38
	s_wait_alu 0xfffe
	s_or_b32 exec_lo, exec_lo, s30
	s_and_saveexec_b32 s30, s26
	s_cbranch_execz .LBB842_228
.LBB842_294:                            ;   in Loop: Header=BB842_104 Depth=2
	ds_load_b64 v[38:39], v110 offset:25600
	s_wait_dscnt 0x0
	v_lshrrev_b64 v[38:39], s48, v[38:39]
	s_delay_alu instid0(VALU_DEP_1)
	v_and_b32_e32 v151, s55, v38
	s_wait_alu 0xfffe
	s_or_b32 exec_lo, exec_lo, s30
	s_and_saveexec_b32 s30, s27
	s_cbranch_execz .LBB842_229
.LBB842_295:                            ;   in Loop: Header=BB842_104 Depth=2
	ds_load_b64 v[38:39], v110 offset:27648
	s_wait_dscnt 0x0
	v_lshrrev_b64 v[38:39], s48, v[38:39]
	s_delay_alu instid0(VALU_DEP_1)
	v_and_b32_e32 v150, s55, v38
	s_wait_alu 0xfffe
	s_or_b32 exec_lo, exec_lo, s30
	s_and_saveexec_b32 s30, s28
	s_cbranch_execz .LBB842_230
.LBB842_296:                            ;   in Loop: Header=BB842_104 Depth=2
	ds_load_b64 v[38:39], v110 offset:29696
	s_wait_dscnt 0x0
	v_lshrrev_b64 v[38:39], s48, v[38:39]
	s_delay_alu instid0(VALU_DEP_1)
	v_and_b32_e32 v149, s55, v38
	s_wait_alu 0xfffe
	s_or_b32 exec_lo, exec_lo, s30
	s_and_saveexec_b32 s30, s29
	s_cbranch_execnz .LBB842_231
	s_branch .LBB842_232
.LBB842_297:                            ;   in Loop: Header=BB842_104 Depth=2
	v_lshlrev_b32_e32 v2, 2, v163
	ds_load_b32 v2, v2
	ds_load_b64 v[38:39], v110 offset:1024
	s_wait_dscnt 0x1
	v_add_nc_u32_e32 v2, v2, v1
	s_delay_alu instid0(VALU_DEP_1) | instskip(NEXT) | instid1(VALU_DEP_1)
	v_lshlrev_b64_e32 v[40:41], 3, v[2:3]
	v_add_co_u32 v40, vcc_lo, s44, v40
	s_wait_alu 0xfffd
	s_delay_alu instid0(VALU_DEP_2)
	v_add_co_ci_u32_e64 v41, null, s45, v41, vcc_lo
	s_wait_dscnt 0x0
	global_store_b64 v[40:41], v[38:39], off
	s_wait_alu 0xfffe
	s_or_b32 exec_lo, exec_lo, s30
	s_and_saveexec_b32 s30, s15
	s_cbranch_execz .LBB842_234
.LBB842_298:                            ;   in Loop: Header=BB842_104 Depth=2
	v_lshlrev_b32_e32 v2, 2, v162
	ds_load_b32 v2, v2
	ds_load_b64 v[38:39], v110 offset:3072
	s_wait_dscnt 0x1
	v_add_nc_u32_e32 v2, v2, v79
	s_delay_alu instid0(VALU_DEP_1) | instskip(NEXT) | instid1(VALU_DEP_1)
	v_lshlrev_b64_e32 v[40:41], 3, v[2:3]
	v_add_co_u32 v40, vcc_lo, s44, v40
	s_wait_alu 0xfffd
	s_delay_alu instid0(VALU_DEP_2)
	v_add_co_ci_u32_e64 v41, null, s45, v41, vcc_lo
	s_wait_dscnt 0x0
	global_store_b64 v[40:41], v[38:39], off
	s_wait_alu 0xfffe
	s_or_b32 exec_lo, exec_lo, s30
	s_and_saveexec_b32 s15, s16
	s_cbranch_execz .LBB842_235
.LBB842_299:                            ;   in Loop: Header=BB842_104 Depth=2
	v_lshlrev_b32_e32 v2, 2, v161
	ds_load_b32 v2, v2
	ds_load_b64 v[38:39], v110 offset:5120
	s_wait_dscnt 0x1
	v_add_nc_u32_e32 v2, v2, v80
	s_delay_alu instid0(VALU_DEP_1) | instskip(NEXT) | instid1(VALU_DEP_1)
	v_lshlrev_b64_e32 v[40:41], 3, v[2:3]
	v_add_co_u32 v40, vcc_lo, s44, v40
	s_wait_alu 0xfffd
	s_delay_alu instid0(VALU_DEP_2)
	v_add_co_ci_u32_e64 v41, null, s45, v41, vcc_lo
	s_wait_dscnt 0x0
	global_store_b64 v[40:41], v[38:39], off
	s_wait_alu 0xfffe
	s_or_b32 exec_lo, exec_lo, s15
	s_and_saveexec_b32 s15, s17
	s_cbranch_execz .LBB842_236
.LBB842_300:                            ;   in Loop: Header=BB842_104 Depth=2
	v_lshlrev_b32_e32 v2, 2, v160
	ds_load_b32 v2, v2
	ds_load_b64 v[38:39], v110 offset:7168
	s_wait_dscnt 0x1
	v_add_nc_u32_e32 v2, v2, v81
	s_delay_alu instid0(VALU_DEP_1) | instskip(NEXT) | instid1(VALU_DEP_1)
	v_lshlrev_b64_e32 v[40:41], 3, v[2:3]
	v_add_co_u32 v40, vcc_lo, s44, v40
	s_wait_alu 0xfffd
	s_delay_alu instid0(VALU_DEP_2)
	v_add_co_ci_u32_e64 v41, null, s45, v41, vcc_lo
	s_wait_dscnt 0x0
	global_store_b64 v[40:41], v[38:39], off
	s_wait_alu 0xfffe
	s_or_b32 exec_lo, exec_lo, s15
	s_and_saveexec_b32 s15, s18
	s_cbranch_execz .LBB842_237
.LBB842_301:                            ;   in Loop: Header=BB842_104 Depth=2
	v_lshlrev_b32_e32 v2, 2, v159
	ds_load_b32 v2, v2
	ds_load_b64 v[38:39], v110 offset:9216
	s_wait_dscnt 0x1
	v_add_nc_u32_e32 v2, v2, v84
	s_delay_alu instid0(VALU_DEP_1) | instskip(NEXT) | instid1(VALU_DEP_1)
	v_lshlrev_b64_e32 v[40:41], 3, v[2:3]
	v_add_co_u32 v40, vcc_lo, s44, v40
	s_wait_alu 0xfffd
	s_delay_alu instid0(VALU_DEP_2)
	v_add_co_ci_u32_e64 v41, null, s45, v41, vcc_lo
	s_wait_dscnt 0x0
	global_store_b64 v[40:41], v[38:39], off
	s_wait_alu 0xfffe
	s_or_b32 exec_lo, exec_lo, s15
	s_and_saveexec_b32 s15, s19
	s_cbranch_execz .LBB842_238
.LBB842_302:                            ;   in Loop: Header=BB842_104 Depth=2
	v_lshlrev_b32_e32 v2, 2, v158
	ds_load_b32 v2, v2
	ds_load_b64 v[38:39], v110 offset:11264
	s_wait_dscnt 0x1
	v_add_nc_u32_e32 v2, v2, v85
	s_delay_alu instid0(VALU_DEP_1) | instskip(NEXT) | instid1(VALU_DEP_1)
	v_lshlrev_b64_e32 v[40:41], 3, v[2:3]
	v_add_co_u32 v40, vcc_lo, s44, v40
	s_wait_alu 0xfffd
	s_delay_alu instid0(VALU_DEP_2)
	v_add_co_ci_u32_e64 v41, null, s45, v41, vcc_lo
	s_wait_dscnt 0x0
	global_store_b64 v[40:41], v[38:39], off
	s_wait_alu 0xfffe
	s_or_b32 exec_lo, exec_lo, s15
	s_and_saveexec_b32 s15, s20
	s_cbranch_execz .LBB842_239
.LBB842_303:                            ;   in Loop: Header=BB842_104 Depth=2
	v_lshlrev_b32_e32 v2, 2, v157
	ds_load_b32 v2, v2
	ds_load_b64 v[38:39], v110 offset:13312
	s_wait_dscnt 0x1
	v_add_nc_u32_e32 v2, v2, v86
	s_delay_alu instid0(VALU_DEP_1) | instskip(NEXT) | instid1(VALU_DEP_1)
	v_lshlrev_b64_e32 v[40:41], 3, v[2:3]
	v_add_co_u32 v40, vcc_lo, s44, v40
	s_wait_alu 0xfffd
	s_delay_alu instid0(VALU_DEP_2)
	v_add_co_ci_u32_e64 v41, null, s45, v41, vcc_lo
	s_wait_dscnt 0x0
	global_store_b64 v[40:41], v[38:39], off
	s_wait_alu 0xfffe
	s_or_b32 exec_lo, exec_lo, s15
	s_and_saveexec_b32 s15, s21
	s_cbranch_execz .LBB842_240
.LBB842_304:                            ;   in Loop: Header=BB842_104 Depth=2
	v_lshlrev_b32_e32 v2, 2, v156
	ds_load_b32 v2, v2
	ds_load_b64 v[38:39], v110 offset:15360
	s_wait_dscnt 0x1
	v_add_nc_u32_e32 v2, v2, v87
	s_delay_alu instid0(VALU_DEP_1) | instskip(NEXT) | instid1(VALU_DEP_1)
	v_lshlrev_b64_e32 v[40:41], 3, v[2:3]
	v_add_co_u32 v40, vcc_lo, s44, v40
	s_wait_alu 0xfffd
	s_delay_alu instid0(VALU_DEP_2)
	v_add_co_ci_u32_e64 v41, null, s45, v41, vcc_lo
	s_wait_dscnt 0x0
	global_store_b64 v[40:41], v[38:39], off
	s_wait_alu 0xfffe
	s_or_b32 exec_lo, exec_lo, s15
	s_and_saveexec_b32 s15, s22
	s_cbranch_execz .LBB842_241
.LBB842_305:                            ;   in Loop: Header=BB842_104 Depth=2
	v_lshlrev_b32_e32 v2, 2, v155
	ds_load_b32 v2, v2
	ds_load_b64 v[38:39], v110 offset:17408
	s_wait_dscnt 0x1
	v_add_nc_u32_e32 v2, v2, v88
	s_delay_alu instid0(VALU_DEP_1) | instskip(NEXT) | instid1(VALU_DEP_1)
	v_lshlrev_b64_e32 v[40:41], 3, v[2:3]
	v_add_co_u32 v40, vcc_lo, s44, v40
	s_wait_alu 0xfffd
	s_delay_alu instid0(VALU_DEP_2)
	v_add_co_ci_u32_e64 v41, null, s45, v41, vcc_lo
	s_wait_dscnt 0x0
	global_store_b64 v[40:41], v[38:39], off
	s_wait_alu 0xfffe
	s_or_b32 exec_lo, exec_lo, s15
	s_and_saveexec_b32 s15, s23
	s_cbranch_execz .LBB842_242
.LBB842_306:                            ;   in Loop: Header=BB842_104 Depth=2
	v_lshlrev_b32_e32 v2, 2, v154
	ds_load_b32 v2, v2
	ds_load_b64 v[38:39], v110 offset:19456
	s_wait_dscnt 0x1
	v_add_nc_u32_e32 v2, v2, v89
	s_delay_alu instid0(VALU_DEP_1) | instskip(NEXT) | instid1(VALU_DEP_1)
	v_lshlrev_b64_e32 v[40:41], 3, v[2:3]
	v_add_co_u32 v40, vcc_lo, s44, v40
	s_wait_alu 0xfffd
	s_delay_alu instid0(VALU_DEP_2)
	v_add_co_ci_u32_e64 v41, null, s45, v41, vcc_lo
	s_wait_dscnt 0x0
	global_store_b64 v[40:41], v[38:39], off
	s_wait_alu 0xfffe
	s_or_b32 exec_lo, exec_lo, s15
	s_and_saveexec_b32 s15, s24
	s_cbranch_execz .LBB842_243
.LBB842_307:                            ;   in Loop: Header=BB842_104 Depth=2
	v_lshlrev_b32_e32 v2, 2, v153
	ds_load_b32 v2, v2
	ds_load_b64 v[38:39], v110 offset:21504
	s_wait_dscnt 0x1
	v_add_nc_u32_e32 v2, v2, v90
	s_delay_alu instid0(VALU_DEP_1) | instskip(NEXT) | instid1(VALU_DEP_1)
	v_lshlrev_b64_e32 v[40:41], 3, v[2:3]
	v_add_co_u32 v40, vcc_lo, s44, v40
	s_wait_alu 0xfffd
	s_delay_alu instid0(VALU_DEP_2)
	v_add_co_ci_u32_e64 v41, null, s45, v41, vcc_lo
	s_wait_dscnt 0x0
	global_store_b64 v[40:41], v[38:39], off
	s_wait_alu 0xfffe
	s_or_b32 exec_lo, exec_lo, s15
	s_and_saveexec_b32 s15, s25
	s_cbranch_execz .LBB842_244
.LBB842_308:                            ;   in Loop: Header=BB842_104 Depth=2
	v_lshlrev_b32_e32 v2, 2, v152
	ds_load_b32 v2, v2
	ds_load_b64 v[38:39], v110 offset:23552
	s_wait_dscnt 0x1
	v_add_nc_u32_e32 v2, v2, v91
	s_delay_alu instid0(VALU_DEP_1) | instskip(NEXT) | instid1(VALU_DEP_1)
	v_lshlrev_b64_e32 v[40:41], 3, v[2:3]
	v_add_co_u32 v40, vcc_lo, s44, v40
	s_wait_alu 0xfffd
	s_delay_alu instid0(VALU_DEP_2)
	v_add_co_ci_u32_e64 v41, null, s45, v41, vcc_lo
	s_wait_dscnt 0x0
	global_store_b64 v[40:41], v[38:39], off
	s_wait_alu 0xfffe
	s_or_b32 exec_lo, exec_lo, s15
	s_and_saveexec_b32 s15, s26
	s_cbranch_execz .LBB842_245
.LBB842_309:                            ;   in Loop: Header=BB842_104 Depth=2
	v_lshlrev_b32_e32 v2, 2, v151
	ds_load_b32 v2, v2
	ds_load_b64 v[38:39], v110 offset:25600
	s_wait_dscnt 0x1
	v_add_nc_u32_e32 v2, v2, v92
	s_delay_alu instid0(VALU_DEP_1) | instskip(NEXT) | instid1(VALU_DEP_1)
	v_lshlrev_b64_e32 v[40:41], 3, v[2:3]
	v_add_co_u32 v40, vcc_lo, s44, v40
	s_wait_alu 0xfffd
	s_delay_alu instid0(VALU_DEP_2)
	v_add_co_ci_u32_e64 v41, null, s45, v41, vcc_lo
	s_wait_dscnt 0x0
	global_store_b64 v[40:41], v[38:39], off
	s_wait_alu 0xfffe
	s_or_b32 exec_lo, exec_lo, s15
	s_and_saveexec_b32 s15, s27
	s_cbranch_execz .LBB842_246
.LBB842_310:                            ;   in Loop: Header=BB842_104 Depth=2
	v_lshlrev_b32_e32 v2, 2, v150
	ds_load_b32 v2, v2
	ds_load_b64 v[38:39], v110 offset:27648
	s_wait_dscnt 0x1
	v_add_nc_u32_e32 v2, v2, v93
	s_delay_alu instid0(VALU_DEP_1) | instskip(NEXT) | instid1(VALU_DEP_1)
	v_lshlrev_b64_e32 v[40:41], 3, v[2:3]
	v_add_co_u32 v40, vcc_lo, s44, v40
	s_wait_alu 0xfffd
	s_delay_alu instid0(VALU_DEP_2)
	v_add_co_ci_u32_e64 v41, null, s45, v41, vcc_lo
	s_wait_dscnt 0x0
	global_store_b64 v[40:41], v[38:39], off
	s_wait_alu 0xfffe
	s_or_b32 exec_lo, exec_lo, s15
	s_and_saveexec_b32 s15, s28
	s_cbranch_execz .LBB842_247
.LBB842_311:                            ;   in Loop: Header=BB842_104 Depth=2
	v_lshlrev_b32_e32 v2, 2, v149
	ds_load_b32 v2, v2
	ds_load_b64 v[38:39], v110 offset:29696
	s_wait_dscnt 0x1
	v_add_nc_u32_e32 v2, v2, v94
	s_delay_alu instid0(VALU_DEP_1) | instskip(NEXT) | instid1(VALU_DEP_1)
	v_lshlrev_b64_e32 v[40:41], 3, v[2:3]
	v_add_co_u32 v40, vcc_lo, s44, v40
	s_wait_alu 0xfffd
	s_delay_alu instid0(VALU_DEP_2)
	v_add_co_ci_u32_e64 v41, null, s45, v41, vcc_lo
	s_wait_dscnt 0x0
	global_store_b64 v[40:41], v[38:39], off
	s_wait_alu 0xfffe
	s_or_b32 exec_lo, exec_lo, s15
	s_and_saveexec_b32 s15, s29
	s_cbranch_execnz .LBB842_248
	s_branch .LBB842_249
.LBB842_312:                            ;   in Loop: Header=BB842_20 Depth=1
	s_wait_loadcnt_dscnt 0x0
	s_barrier_signal -1
	s_mov_b32 s0, 0
	s_barrier_wait -1
.LBB842_313:                            ;   in Loop: Header=BB842_20 Depth=1
	s_wait_alu 0xfffe
	s_and_b32 vcc_lo, exec_lo, s0
	s_wait_alu 0xfffe
	s_cbranch_vccz .LBB842_605
; %bb.314:                              ;   in Loop: Header=BB842_20 Depth=1
	s_mov_b32 s8, s53
	s_mov_b32 s34, s33
	s_barrier_signal -1
	s_barrier_wait -1
	global_inv scope:SCOPE_SE
                                        ; implicit-def: $vgpr6_vgpr7
                                        ; implicit-def: $vgpr8_vgpr9
                                        ; implicit-def: $vgpr10_vgpr11
                                        ; implicit-def: $vgpr12_vgpr13
                                        ; implicit-def: $vgpr14_vgpr15
                                        ; implicit-def: $vgpr16_vgpr17
                                        ; implicit-def: $vgpr18_vgpr19
                                        ; implicit-def: $vgpr20_vgpr21
                                        ; implicit-def: $vgpr22_vgpr23
                                        ; implicit-def: $vgpr24_vgpr25
                                        ; implicit-def: $vgpr26_vgpr27
                                        ; implicit-def: $vgpr28_vgpr29
                                        ; implicit-def: $vgpr30_vgpr31
                                        ; implicit-def: $vgpr32_vgpr33
                                        ; implicit-def: $vgpr34_vgpr35
                                        ; implicit-def: $vgpr36_vgpr37
	s_branch .LBB842_316
.LBB842_315:                            ;   in Loop: Header=BB842_316 Depth=2
	s_wait_alu 0xfffe
	s_or_b32 exec_lo, exec_lo, s0
	s_addk_co_i32 s8, 0xf000
	s_cmp_ge_u32 s9, s51
	s_mov_b32 s34, s9
	s_cbranch_scc1 .LBB842_384
.LBB842_316:                            ;   Parent Loop BB842_20 Depth=1
                                        ; =>  This Inner Loop Header: Depth=2
	s_wait_alu 0xfffe
	s_add_co_i32 s9, s34, 0x1000
	s_mov_b32 s0, -1
	s_wait_alu 0xfffe
	s_cmp_gt_u32 s9, s51
                                        ; implicit-def: $vgpr38_vgpr39
                                        ; implicit-def: $vgpr40_vgpr41
                                        ; implicit-def: $vgpr42_vgpr43
                                        ; implicit-def: $vgpr44_vgpr45
                                        ; implicit-def: $vgpr46_vgpr47
                                        ; implicit-def: $vgpr48_vgpr49
                                        ; implicit-def: $vgpr50_vgpr51
                                        ; implicit-def: $vgpr52_vgpr53
                                        ; implicit-def: $vgpr54_vgpr55
                                        ; implicit-def: $vgpr56_vgpr57
                                        ; implicit-def: $vgpr58_vgpr59
                                        ; implicit-def: $vgpr60_vgpr61
                                        ; implicit-def: $vgpr62_vgpr63
                                        ; implicit-def: $vgpr64_vgpr65
                                        ; implicit-def: $vgpr66_vgpr67
                                        ; implicit-def: $vgpr68_vgpr69
	s_cbranch_scc1 .LBB842_318
; %bb.317:                              ;   in Loop: Header=BB842_316 Depth=2
	s_lshl_b64 s[0:1], s[34:35], 3
	s_wait_alu 0xfffe
	v_add_co_u32 v68, vcc_lo, v111, s0
	s_wait_alu 0xfffd
	v_add_co_ci_u32_e64 v69, null, s1, v112, vcc_lo
	s_mov_b32 s0, 0
	s_clause 0xf
	global_load_b64 v[38:39], v[68:69], off
	global_load_b64 v[40:41], v[68:69], off offset:2048
	global_load_b64 v[42:43], v[68:69], off offset:4096
	;; [unrolled: 1-line block ×15, first 2 shown]
.LBB842_318:                            ;   in Loop: Header=BB842_316 Depth=2
	s_wait_alu 0xfffe
	s_and_not1_b32 vcc_lo, exec_lo, s0
	s_movk_i32 s0, 0x1000
	s_wait_alu 0xfffe
	s_cbranch_vccnz .LBB842_337
; %bb.319:                              ;   in Loop: Header=BB842_316 Depth=2
	s_lshl_b64 s[0:1], s[34:35], 3
	s_mov_b32 s10, exec_lo
	s_wait_alu 0xfffe
	s_add_nc_u64 s[0:1], s[38:39], s[0:1]
	v_cmpx_gt_u32_e64 s8, v1
	s_cbranch_execnz .LBB842_369
; %bb.320:                              ;   in Loop: Header=BB842_316 Depth=2
	s_or_b32 exec_lo, exec_lo, s10
	s_delay_alu instid0(SALU_CYCLE_1)
	s_mov_b32 s10, exec_lo
	v_cmpx_gt_u32_e64 s8, v79
	s_cbranch_execnz .LBB842_370
.LBB842_321:                            ;   in Loop: Header=BB842_316 Depth=2
	s_wait_alu 0xfffe
	s_or_b32 exec_lo, exec_lo, s10
	s_delay_alu instid0(SALU_CYCLE_1)
	s_mov_b32 s10, exec_lo
	v_cmpx_gt_u32_e64 s8, v80
	s_cbranch_execnz .LBB842_371
.LBB842_322:                            ;   in Loop: Header=BB842_316 Depth=2
	s_wait_alu 0xfffe
	s_or_b32 exec_lo, exec_lo, s10
	s_delay_alu instid0(SALU_CYCLE_1)
	s_mov_b32 s10, exec_lo
	v_cmpx_gt_u32_e64 s8, v81
	s_cbranch_execnz .LBB842_372
.LBB842_323:                            ;   in Loop: Header=BB842_316 Depth=2
	s_wait_alu 0xfffe
	s_or_b32 exec_lo, exec_lo, s10
	s_delay_alu instid0(SALU_CYCLE_1)
	s_mov_b32 s10, exec_lo
	v_cmpx_gt_u32_e64 s8, v84
	s_cbranch_execnz .LBB842_373
.LBB842_324:                            ;   in Loop: Header=BB842_316 Depth=2
	s_wait_alu 0xfffe
	s_or_b32 exec_lo, exec_lo, s10
	s_delay_alu instid0(SALU_CYCLE_1)
	s_mov_b32 s10, exec_lo
	v_cmpx_gt_u32_e64 s8, v85
	s_cbranch_execnz .LBB842_374
.LBB842_325:                            ;   in Loop: Header=BB842_316 Depth=2
	s_wait_alu 0xfffe
	s_or_b32 exec_lo, exec_lo, s10
	s_delay_alu instid0(SALU_CYCLE_1)
	s_mov_b32 s10, exec_lo
	v_cmpx_gt_u32_e64 s8, v86
	s_cbranch_execnz .LBB842_375
.LBB842_326:                            ;   in Loop: Header=BB842_316 Depth=2
	s_wait_alu 0xfffe
	s_or_b32 exec_lo, exec_lo, s10
	s_delay_alu instid0(SALU_CYCLE_1)
	s_mov_b32 s10, exec_lo
	v_cmpx_gt_u32_e64 s8, v87
	s_cbranch_execnz .LBB842_376
.LBB842_327:                            ;   in Loop: Header=BB842_316 Depth=2
	s_wait_alu 0xfffe
	s_or_b32 exec_lo, exec_lo, s10
	s_delay_alu instid0(SALU_CYCLE_1)
	s_mov_b32 s10, exec_lo
	v_cmpx_gt_u32_e64 s8, v88
	s_cbranch_execnz .LBB842_377
.LBB842_328:                            ;   in Loop: Header=BB842_316 Depth=2
	s_wait_alu 0xfffe
	s_or_b32 exec_lo, exec_lo, s10
	s_delay_alu instid0(SALU_CYCLE_1)
	s_mov_b32 s10, exec_lo
	v_cmpx_gt_u32_e64 s8, v89
	s_cbranch_execnz .LBB842_378
.LBB842_329:                            ;   in Loop: Header=BB842_316 Depth=2
	s_wait_alu 0xfffe
	s_or_b32 exec_lo, exec_lo, s10
	s_delay_alu instid0(SALU_CYCLE_1)
	s_mov_b32 s10, exec_lo
	v_cmpx_gt_u32_e64 s8, v90
	s_cbranch_execnz .LBB842_379
.LBB842_330:                            ;   in Loop: Header=BB842_316 Depth=2
	s_wait_alu 0xfffe
	s_or_b32 exec_lo, exec_lo, s10
	s_delay_alu instid0(SALU_CYCLE_1)
	s_mov_b32 s10, exec_lo
	v_cmpx_gt_u32_e64 s8, v91
	s_cbranch_execnz .LBB842_380
.LBB842_331:                            ;   in Loop: Header=BB842_316 Depth=2
	s_wait_alu 0xfffe
	s_or_b32 exec_lo, exec_lo, s10
	s_delay_alu instid0(SALU_CYCLE_1)
	s_mov_b32 s10, exec_lo
	v_cmpx_gt_u32_e64 s8, v92
	s_cbranch_execnz .LBB842_381
.LBB842_332:                            ;   in Loop: Header=BB842_316 Depth=2
	s_wait_alu 0xfffe
	s_or_b32 exec_lo, exec_lo, s10
	s_delay_alu instid0(SALU_CYCLE_1)
	s_mov_b32 s10, exec_lo
	v_cmpx_gt_u32_e64 s8, v93
	s_cbranch_execnz .LBB842_382
.LBB842_333:                            ;   in Loop: Header=BB842_316 Depth=2
	s_wait_alu 0xfffe
	s_or_b32 exec_lo, exec_lo, s10
	s_delay_alu instid0(SALU_CYCLE_1)
	s_mov_b32 s10, exec_lo
	v_cmpx_gt_u32_e64 s8, v94
	s_cbranch_execnz .LBB842_383
.LBB842_334:                            ;   in Loop: Header=BB842_316 Depth=2
	s_wait_alu 0xfffe
	s_or_b32 exec_lo, exec_lo, s10
	s_delay_alu instid0(SALU_CYCLE_1)
	s_mov_b32 s10, exec_lo
	v_cmpx_gt_u32_e64 s8, v95
	s_cbranch_execz .LBB842_336
.LBB842_335:                            ;   in Loop: Header=BB842_316 Depth=2
	global_load_b64 v[6:7], v124, s[0:1] offset:30720
.LBB842_336:                            ;   in Loop: Header=BB842_316 Depth=2
	s_wait_alu 0xfffe
	s_or_b32 exec_lo, exec_lo, s10
	s_wait_loadcnt 0x0
	v_dual_mov_b32 v39, v37 :: v_dual_mov_b32 v38, v36
	v_dual_mov_b32 v41, v35 :: v_dual_mov_b32 v40, v34
	;; [unrolled: 1-line block ×16, first 2 shown]
	s_mov_b32 s0, s8
.LBB842_337:                            ;   in Loop: Header=BB842_316 Depth=2
	s_wait_loadcnt 0x0
	s_delay_alu instid0(VALU_DEP_1)
	v_dual_mov_b32 v6, v68 :: v_dual_mov_b32 v7, v69
	v_dual_mov_b32 v8, v66 :: v_dual_mov_b32 v9, v67
	;; [unrolled: 1-line block ×16, first 2 shown]
	s_mov_b32 s1, exec_lo
	s_wait_alu 0xfffe
	v_cmpx_gt_u32_e64 s0, v1
	s_cbranch_execnz .LBB842_353
; %bb.338:                              ;   in Loop: Header=BB842_316 Depth=2
	s_or_b32 exec_lo, exec_lo, s1
	s_delay_alu instid0(SALU_CYCLE_1)
	s_mov_b32 s1, exec_lo
	v_cmpx_gt_u32_e64 s0, v79
	s_cbranch_execnz .LBB842_354
.LBB842_339:                            ;   in Loop: Header=BB842_316 Depth=2
	s_wait_alu 0xfffe
	s_or_b32 exec_lo, exec_lo, s1
	s_delay_alu instid0(SALU_CYCLE_1)
	s_mov_b32 s1, exec_lo
	v_cmpx_gt_u32_e64 s0, v80
	s_cbranch_execnz .LBB842_355
.LBB842_340:                            ;   in Loop: Header=BB842_316 Depth=2
	s_wait_alu 0xfffe
	s_or_b32 exec_lo, exec_lo, s1
	s_delay_alu instid0(SALU_CYCLE_1)
	s_mov_b32 s1, exec_lo
	v_cmpx_gt_u32_e64 s0, v81
	s_cbranch_execnz .LBB842_356
.LBB842_341:                            ;   in Loop: Header=BB842_316 Depth=2
	s_wait_alu 0xfffe
	s_or_b32 exec_lo, exec_lo, s1
	s_delay_alu instid0(SALU_CYCLE_1)
	s_mov_b32 s1, exec_lo
	v_cmpx_gt_u32_e64 s0, v84
	s_cbranch_execnz .LBB842_357
.LBB842_342:                            ;   in Loop: Header=BB842_316 Depth=2
	s_wait_alu 0xfffe
	s_or_b32 exec_lo, exec_lo, s1
	s_delay_alu instid0(SALU_CYCLE_1)
	s_mov_b32 s1, exec_lo
	v_cmpx_gt_u32_e64 s0, v85
	s_cbranch_execnz .LBB842_358
.LBB842_343:                            ;   in Loop: Header=BB842_316 Depth=2
	s_wait_alu 0xfffe
	s_or_b32 exec_lo, exec_lo, s1
	s_delay_alu instid0(SALU_CYCLE_1)
	s_mov_b32 s1, exec_lo
	v_cmpx_gt_u32_e64 s0, v86
	s_cbranch_execnz .LBB842_359
.LBB842_344:                            ;   in Loop: Header=BB842_316 Depth=2
	s_wait_alu 0xfffe
	s_or_b32 exec_lo, exec_lo, s1
	s_delay_alu instid0(SALU_CYCLE_1)
	s_mov_b32 s1, exec_lo
	v_cmpx_gt_u32_e64 s0, v87
	s_cbranch_execnz .LBB842_360
.LBB842_345:                            ;   in Loop: Header=BB842_316 Depth=2
	s_wait_alu 0xfffe
	s_or_b32 exec_lo, exec_lo, s1
	s_delay_alu instid0(SALU_CYCLE_1)
	s_mov_b32 s1, exec_lo
	v_cmpx_gt_u32_e64 s0, v88
	s_cbranch_execnz .LBB842_361
.LBB842_346:                            ;   in Loop: Header=BB842_316 Depth=2
	s_wait_alu 0xfffe
	s_or_b32 exec_lo, exec_lo, s1
	s_delay_alu instid0(SALU_CYCLE_1)
	s_mov_b32 s1, exec_lo
	v_cmpx_gt_u32_e64 s0, v89
	s_cbranch_execnz .LBB842_362
.LBB842_347:                            ;   in Loop: Header=BB842_316 Depth=2
	s_wait_alu 0xfffe
	s_or_b32 exec_lo, exec_lo, s1
	s_delay_alu instid0(SALU_CYCLE_1)
	s_mov_b32 s1, exec_lo
	v_cmpx_gt_u32_e64 s0, v90
	s_cbranch_execnz .LBB842_363
.LBB842_348:                            ;   in Loop: Header=BB842_316 Depth=2
	s_wait_alu 0xfffe
	s_or_b32 exec_lo, exec_lo, s1
	s_delay_alu instid0(SALU_CYCLE_1)
	s_mov_b32 s1, exec_lo
	v_cmpx_gt_u32_e64 s0, v91
	s_cbranch_execnz .LBB842_364
.LBB842_349:                            ;   in Loop: Header=BB842_316 Depth=2
	s_wait_alu 0xfffe
	s_or_b32 exec_lo, exec_lo, s1
	s_delay_alu instid0(SALU_CYCLE_1)
	s_mov_b32 s1, exec_lo
	v_cmpx_gt_u32_e64 s0, v92
	s_cbranch_execnz .LBB842_365
.LBB842_350:                            ;   in Loop: Header=BB842_316 Depth=2
	s_wait_alu 0xfffe
	s_or_b32 exec_lo, exec_lo, s1
	s_delay_alu instid0(SALU_CYCLE_1)
	s_mov_b32 s1, exec_lo
	v_cmpx_gt_u32_e64 s0, v93
	s_cbranch_execnz .LBB842_366
.LBB842_351:                            ;   in Loop: Header=BB842_316 Depth=2
	s_wait_alu 0xfffe
	s_or_b32 exec_lo, exec_lo, s1
	s_delay_alu instid0(SALU_CYCLE_1)
	s_mov_b32 s1, exec_lo
	v_cmpx_gt_u32_e64 s0, v94
	s_cbranch_execnz .LBB842_367
.LBB842_352:                            ;   in Loop: Header=BB842_316 Depth=2
	s_wait_alu 0xfffe
	s_or_b32 exec_lo, exec_lo, s1
	v_cmp_gt_u32_e32 vcc_lo, s0, v95
	s_and_saveexec_b32 s0, vcc_lo
	s_cbranch_execz .LBB842_315
	s_branch .LBB842_368
.LBB842_353:                            ;   in Loop: Header=BB842_316 Depth=2
	v_xor_b32_e32 v39, 0x80000000, v37
	v_mov_b32_e32 v38, v36
	s_delay_alu instid0(VALU_DEP_1) | instskip(NEXT) | instid1(VALU_DEP_1)
	v_lshrrev_b64 v[38:39], s48, v[38:39]
	v_and_b32_e32 v2, s55, v38
	s_delay_alu instid0(VALU_DEP_1) | instskip(SKIP_2) | instid1(SALU_CYCLE_1)
	v_lshl_or_b32 v2, v2, 4, v96
	ds_add_u32 v2, v123
	s_or_b32 exec_lo, exec_lo, s1
	s_mov_b32 s1, exec_lo
	v_cmpx_gt_u32_e64 s0, v79
	s_cbranch_execz .LBB842_339
.LBB842_354:                            ;   in Loop: Header=BB842_316 Depth=2
	v_xor_b32_e32 v39, 0x80000000, v35
	v_mov_b32_e32 v38, v34
	s_delay_alu instid0(VALU_DEP_1) | instskip(NEXT) | instid1(VALU_DEP_1)
	v_lshrrev_b64 v[38:39], s48, v[38:39]
	v_and_b32_e32 v2, s55, v38
	s_delay_alu instid0(VALU_DEP_1) | instskip(SKIP_3) | instid1(SALU_CYCLE_1)
	v_lshl_or_b32 v2, v2, 4, v96
	ds_add_u32 v2, v123
	s_wait_alu 0xfffe
	s_or_b32 exec_lo, exec_lo, s1
	s_mov_b32 s1, exec_lo
	v_cmpx_gt_u32_e64 s0, v80
	s_cbranch_execz .LBB842_340
.LBB842_355:                            ;   in Loop: Header=BB842_316 Depth=2
	v_xor_b32_e32 v39, 0x80000000, v33
	v_mov_b32_e32 v38, v32
	s_delay_alu instid0(VALU_DEP_1) | instskip(NEXT) | instid1(VALU_DEP_1)
	v_lshrrev_b64 v[38:39], s48, v[38:39]
	v_and_b32_e32 v2, s55, v38
	s_delay_alu instid0(VALU_DEP_1) | instskip(SKIP_3) | instid1(SALU_CYCLE_1)
	v_lshl_or_b32 v2, v2, 4, v96
	ds_add_u32 v2, v123
	s_wait_alu 0xfffe
	s_or_b32 exec_lo, exec_lo, s1
	s_mov_b32 s1, exec_lo
	v_cmpx_gt_u32_e64 s0, v81
	s_cbranch_execz .LBB842_341
.LBB842_356:                            ;   in Loop: Header=BB842_316 Depth=2
	v_xor_b32_e32 v39, 0x80000000, v31
	v_mov_b32_e32 v38, v30
	s_delay_alu instid0(VALU_DEP_1) | instskip(NEXT) | instid1(VALU_DEP_1)
	v_lshrrev_b64 v[38:39], s48, v[38:39]
	v_and_b32_e32 v2, s55, v38
	s_delay_alu instid0(VALU_DEP_1) | instskip(SKIP_3) | instid1(SALU_CYCLE_1)
	v_lshl_or_b32 v2, v2, 4, v96
	ds_add_u32 v2, v123
	s_wait_alu 0xfffe
	s_or_b32 exec_lo, exec_lo, s1
	s_mov_b32 s1, exec_lo
	v_cmpx_gt_u32_e64 s0, v84
	s_cbranch_execz .LBB842_342
.LBB842_357:                            ;   in Loop: Header=BB842_316 Depth=2
	v_xor_b32_e32 v39, 0x80000000, v29
	v_mov_b32_e32 v38, v28
	s_delay_alu instid0(VALU_DEP_1) | instskip(NEXT) | instid1(VALU_DEP_1)
	v_lshrrev_b64 v[38:39], s48, v[38:39]
	v_and_b32_e32 v2, s55, v38
	s_delay_alu instid0(VALU_DEP_1) | instskip(SKIP_3) | instid1(SALU_CYCLE_1)
	v_lshl_or_b32 v2, v2, 4, v96
	ds_add_u32 v2, v123
	s_wait_alu 0xfffe
	s_or_b32 exec_lo, exec_lo, s1
	s_mov_b32 s1, exec_lo
	v_cmpx_gt_u32_e64 s0, v85
	s_cbranch_execz .LBB842_343
.LBB842_358:                            ;   in Loop: Header=BB842_316 Depth=2
	v_xor_b32_e32 v39, 0x80000000, v27
	v_mov_b32_e32 v38, v26
	s_delay_alu instid0(VALU_DEP_1) | instskip(NEXT) | instid1(VALU_DEP_1)
	v_lshrrev_b64 v[38:39], s48, v[38:39]
	v_and_b32_e32 v2, s55, v38
	s_delay_alu instid0(VALU_DEP_1) | instskip(SKIP_3) | instid1(SALU_CYCLE_1)
	v_lshl_or_b32 v2, v2, 4, v96
	ds_add_u32 v2, v123
	s_wait_alu 0xfffe
	s_or_b32 exec_lo, exec_lo, s1
	s_mov_b32 s1, exec_lo
	v_cmpx_gt_u32_e64 s0, v86
	s_cbranch_execz .LBB842_344
.LBB842_359:                            ;   in Loop: Header=BB842_316 Depth=2
	v_xor_b32_e32 v39, 0x80000000, v25
	v_mov_b32_e32 v38, v24
	s_delay_alu instid0(VALU_DEP_1) | instskip(NEXT) | instid1(VALU_DEP_1)
	v_lshrrev_b64 v[38:39], s48, v[38:39]
	v_and_b32_e32 v2, s55, v38
	s_delay_alu instid0(VALU_DEP_1) | instskip(SKIP_3) | instid1(SALU_CYCLE_1)
	v_lshl_or_b32 v2, v2, 4, v96
	ds_add_u32 v2, v123
	s_wait_alu 0xfffe
	s_or_b32 exec_lo, exec_lo, s1
	s_mov_b32 s1, exec_lo
	v_cmpx_gt_u32_e64 s0, v87
	s_cbranch_execz .LBB842_345
.LBB842_360:                            ;   in Loop: Header=BB842_316 Depth=2
	v_xor_b32_e32 v39, 0x80000000, v23
	v_mov_b32_e32 v38, v22
	s_delay_alu instid0(VALU_DEP_1) | instskip(NEXT) | instid1(VALU_DEP_1)
	v_lshrrev_b64 v[38:39], s48, v[38:39]
	v_and_b32_e32 v2, s55, v38
	s_delay_alu instid0(VALU_DEP_1) | instskip(SKIP_3) | instid1(SALU_CYCLE_1)
	v_lshl_or_b32 v2, v2, 4, v96
	ds_add_u32 v2, v123
	s_wait_alu 0xfffe
	s_or_b32 exec_lo, exec_lo, s1
	s_mov_b32 s1, exec_lo
	v_cmpx_gt_u32_e64 s0, v88
	s_cbranch_execz .LBB842_346
.LBB842_361:                            ;   in Loop: Header=BB842_316 Depth=2
	v_xor_b32_e32 v39, 0x80000000, v21
	v_mov_b32_e32 v38, v20
	s_delay_alu instid0(VALU_DEP_1) | instskip(NEXT) | instid1(VALU_DEP_1)
	v_lshrrev_b64 v[38:39], s48, v[38:39]
	v_and_b32_e32 v2, s55, v38
	s_delay_alu instid0(VALU_DEP_1) | instskip(SKIP_3) | instid1(SALU_CYCLE_1)
	v_lshl_or_b32 v2, v2, 4, v96
	ds_add_u32 v2, v123
	s_wait_alu 0xfffe
	s_or_b32 exec_lo, exec_lo, s1
	s_mov_b32 s1, exec_lo
	v_cmpx_gt_u32_e64 s0, v89
	s_cbranch_execz .LBB842_347
.LBB842_362:                            ;   in Loop: Header=BB842_316 Depth=2
	v_xor_b32_e32 v39, 0x80000000, v19
	v_mov_b32_e32 v38, v18
	s_delay_alu instid0(VALU_DEP_1) | instskip(NEXT) | instid1(VALU_DEP_1)
	v_lshrrev_b64 v[38:39], s48, v[38:39]
	v_and_b32_e32 v2, s55, v38
	s_delay_alu instid0(VALU_DEP_1) | instskip(SKIP_3) | instid1(SALU_CYCLE_1)
	v_lshl_or_b32 v2, v2, 4, v96
	ds_add_u32 v2, v123
	s_wait_alu 0xfffe
	s_or_b32 exec_lo, exec_lo, s1
	s_mov_b32 s1, exec_lo
	v_cmpx_gt_u32_e64 s0, v90
	s_cbranch_execz .LBB842_348
.LBB842_363:                            ;   in Loop: Header=BB842_316 Depth=2
	v_xor_b32_e32 v39, 0x80000000, v17
	v_mov_b32_e32 v38, v16
	s_delay_alu instid0(VALU_DEP_1) | instskip(NEXT) | instid1(VALU_DEP_1)
	v_lshrrev_b64 v[38:39], s48, v[38:39]
	v_and_b32_e32 v2, s55, v38
	s_delay_alu instid0(VALU_DEP_1) | instskip(SKIP_3) | instid1(SALU_CYCLE_1)
	v_lshl_or_b32 v2, v2, 4, v96
	ds_add_u32 v2, v123
	s_wait_alu 0xfffe
	s_or_b32 exec_lo, exec_lo, s1
	s_mov_b32 s1, exec_lo
	v_cmpx_gt_u32_e64 s0, v91
	s_cbranch_execz .LBB842_349
.LBB842_364:                            ;   in Loop: Header=BB842_316 Depth=2
	v_xor_b32_e32 v39, 0x80000000, v15
	v_mov_b32_e32 v38, v14
	s_delay_alu instid0(VALU_DEP_1) | instskip(NEXT) | instid1(VALU_DEP_1)
	v_lshrrev_b64 v[38:39], s48, v[38:39]
	v_and_b32_e32 v2, s55, v38
	s_delay_alu instid0(VALU_DEP_1) | instskip(SKIP_3) | instid1(SALU_CYCLE_1)
	v_lshl_or_b32 v2, v2, 4, v96
	ds_add_u32 v2, v123
	s_wait_alu 0xfffe
	s_or_b32 exec_lo, exec_lo, s1
	s_mov_b32 s1, exec_lo
	v_cmpx_gt_u32_e64 s0, v92
	s_cbranch_execz .LBB842_350
.LBB842_365:                            ;   in Loop: Header=BB842_316 Depth=2
	v_xor_b32_e32 v39, 0x80000000, v13
	v_mov_b32_e32 v38, v12
	s_delay_alu instid0(VALU_DEP_1) | instskip(NEXT) | instid1(VALU_DEP_1)
	v_lshrrev_b64 v[38:39], s48, v[38:39]
	v_and_b32_e32 v2, s55, v38
	s_delay_alu instid0(VALU_DEP_1) | instskip(SKIP_3) | instid1(SALU_CYCLE_1)
	v_lshl_or_b32 v2, v2, 4, v96
	ds_add_u32 v2, v123
	s_wait_alu 0xfffe
	s_or_b32 exec_lo, exec_lo, s1
	s_mov_b32 s1, exec_lo
	v_cmpx_gt_u32_e64 s0, v93
	s_cbranch_execz .LBB842_351
.LBB842_366:                            ;   in Loop: Header=BB842_316 Depth=2
	v_xor_b32_e32 v39, 0x80000000, v11
	v_mov_b32_e32 v38, v10
	s_delay_alu instid0(VALU_DEP_1) | instskip(NEXT) | instid1(VALU_DEP_1)
	v_lshrrev_b64 v[38:39], s48, v[38:39]
	v_and_b32_e32 v2, s55, v38
	s_delay_alu instid0(VALU_DEP_1) | instskip(SKIP_3) | instid1(SALU_CYCLE_1)
	v_lshl_or_b32 v2, v2, 4, v96
	ds_add_u32 v2, v123
	s_wait_alu 0xfffe
	s_or_b32 exec_lo, exec_lo, s1
	s_mov_b32 s1, exec_lo
	v_cmpx_gt_u32_e64 s0, v94
	s_cbranch_execz .LBB842_352
.LBB842_367:                            ;   in Loop: Header=BB842_316 Depth=2
	v_xor_b32_e32 v39, 0x80000000, v9
	v_mov_b32_e32 v38, v8
	s_delay_alu instid0(VALU_DEP_1) | instskip(NEXT) | instid1(VALU_DEP_1)
	v_lshrrev_b64 v[38:39], s48, v[38:39]
	v_and_b32_e32 v2, s55, v38
	s_delay_alu instid0(VALU_DEP_1)
	v_lshl_or_b32 v2, v2, 4, v96
	ds_add_u32 v2, v123
	s_wait_alu 0xfffe
	s_or_b32 exec_lo, exec_lo, s1
	v_cmp_gt_u32_e32 vcc_lo, s0, v95
	s_and_saveexec_b32 s0, vcc_lo
	s_cbranch_execz .LBB842_315
.LBB842_368:                            ;   in Loop: Header=BB842_316 Depth=2
	v_xor_b32_e32 v39, 0x80000000, v7
	v_mov_b32_e32 v38, v6
	s_delay_alu instid0(VALU_DEP_1) | instskip(NEXT) | instid1(VALU_DEP_1)
	v_lshrrev_b64 v[38:39], s48, v[38:39]
	v_and_b32_e32 v2, s55, v38
	s_delay_alu instid0(VALU_DEP_1)
	v_lshl_or_b32 v2, v2, 4, v96
	ds_add_u32 v2, v123
	s_branch .LBB842_315
.LBB842_369:                            ;   in Loop: Header=BB842_316 Depth=2
	global_load_b64 v[36:37], v124, s[0:1]
	s_or_b32 exec_lo, exec_lo, s10
	s_delay_alu instid0(SALU_CYCLE_1)
	s_mov_b32 s10, exec_lo
	v_cmpx_gt_u32_e64 s8, v79
	s_cbranch_execz .LBB842_321
.LBB842_370:                            ;   in Loop: Header=BB842_316 Depth=2
	global_load_b64 v[34:35], v124, s[0:1] offset:2048
	s_wait_alu 0xfffe
	s_or_b32 exec_lo, exec_lo, s10
	s_delay_alu instid0(SALU_CYCLE_1)
	s_mov_b32 s10, exec_lo
	v_cmpx_gt_u32_e64 s8, v80
	s_cbranch_execz .LBB842_322
.LBB842_371:                            ;   in Loop: Header=BB842_316 Depth=2
	global_load_b64 v[32:33], v124, s[0:1] offset:4096
	s_wait_alu 0xfffe
	s_or_b32 exec_lo, exec_lo, s10
	s_delay_alu instid0(SALU_CYCLE_1)
	s_mov_b32 s10, exec_lo
	v_cmpx_gt_u32_e64 s8, v81
	s_cbranch_execz .LBB842_323
.LBB842_372:                            ;   in Loop: Header=BB842_316 Depth=2
	global_load_b64 v[30:31], v124, s[0:1] offset:6144
	s_wait_alu 0xfffe
	s_or_b32 exec_lo, exec_lo, s10
	s_delay_alu instid0(SALU_CYCLE_1)
	s_mov_b32 s10, exec_lo
	v_cmpx_gt_u32_e64 s8, v84
	s_cbranch_execz .LBB842_324
.LBB842_373:                            ;   in Loop: Header=BB842_316 Depth=2
	global_load_b64 v[28:29], v124, s[0:1] offset:8192
	s_wait_alu 0xfffe
	s_or_b32 exec_lo, exec_lo, s10
	s_delay_alu instid0(SALU_CYCLE_1)
	s_mov_b32 s10, exec_lo
	v_cmpx_gt_u32_e64 s8, v85
	s_cbranch_execz .LBB842_325
.LBB842_374:                            ;   in Loop: Header=BB842_316 Depth=2
	global_load_b64 v[26:27], v124, s[0:1] offset:10240
	s_wait_alu 0xfffe
	s_or_b32 exec_lo, exec_lo, s10
	s_delay_alu instid0(SALU_CYCLE_1)
	s_mov_b32 s10, exec_lo
	v_cmpx_gt_u32_e64 s8, v86
	s_cbranch_execz .LBB842_326
.LBB842_375:                            ;   in Loop: Header=BB842_316 Depth=2
	global_load_b64 v[24:25], v124, s[0:1] offset:12288
	s_wait_alu 0xfffe
	s_or_b32 exec_lo, exec_lo, s10
	s_delay_alu instid0(SALU_CYCLE_1)
	s_mov_b32 s10, exec_lo
	v_cmpx_gt_u32_e64 s8, v87
	s_cbranch_execz .LBB842_327
.LBB842_376:                            ;   in Loop: Header=BB842_316 Depth=2
	global_load_b64 v[22:23], v124, s[0:1] offset:14336
	s_wait_alu 0xfffe
	s_or_b32 exec_lo, exec_lo, s10
	s_delay_alu instid0(SALU_CYCLE_1)
	s_mov_b32 s10, exec_lo
	v_cmpx_gt_u32_e64 s8, v88
	s_cbranch_execz .LBB842_328
.LBB842_377:                            ;   in Loop: Header=BB842_316 Depth=2
	global_load_b64 v[20:21], v124, s[0:1] offset:16384
	s_wait_alu 0xfffe
	s_or_b32 exec_lo, exec_lo, s10
	s_delay_alu instid0(SALU_CYCLE_1)
	s_mov_b32 s10, exec_lo
	v_cmpx_gt_u32_e64 s8, v89
	s_cbranch_execz .LBB842_329
.LBB842_378:                            ;   in Loop: Header=BB842_316 Depth=2
	global_load_b64 v[18:19], v124, s[0:1] offset:18432
	s_wait_alu 0xfffe
	s_or_b32 exec_lo, exec_lo, s10
	s_delay_alu instid0(SALU_CYCLE_1)
	s_mov_b32 s10, exec_lo
	v_cmpx_gt_u32_e64 s8, v90
	s_cbranch_execz .LBB842_330
.LBB842_379:                            ;   in Loop: Header=BB842_316 Depth=2
	global_load_b64 v[16:17], v124, s[0:1] offset:20480
	s_wait_alu 0xfffe
	s_or_b32 exec_lo, exec_lo, s10
	s_delay_alu instid0(SALU_CYCLE_1)
	s_mov_b32 s10, exec_lo
	v_cmpx_gt_u32_e64 s8, v91
	s_cbranch_execz .LBB842_331
.LBB842_380:                            ;   in Loop: Header=BB842_316 Depth=2
	global_load_b64 v[14:15], v124, s[0:1] offset:22528
	s_wait_alu 0xfffe
	s_or_b32 exec_lo, exec_lo, s10
	s_delay_alu instid0(SALU_CYCLE_1)
	s_mov_b32 s10, exec_lo
	v_cmpx_gt_u32_e64 s8, v92
	s_cbranch_execz .LBB842_332
.LBB842_381:                            ;   in Loop: Header=BB842_316 Depth=2
	global_load_b64 v[12:13], v124, s[0:1] offset:24576
	s_wait_alu 0xfffe
	s_or_b32 exec_lo, exec_lo, s10
	s_delay_alu instid0(SALU_CYCLE_1)
	s_mov_b32 s10, exec_lo
	v_cmpx_gt_u32_e64 s8, v93
	s_cbranch_execz .LBB842_333
.LBB842_382:                            ;   in Loop: Header=BB842_316 Depth=2
	global_load_b64 v[10:11], v124, s[0:1] offset:26624
	s_wait_alu 0xfffe
	s_or_b32 exec_lo, exec_lo, s10
	s_delay_alu instid0(SALU_CYCLE_1)
	s_mov_b32 s10, exec_lo
	v_cmpx_gt_u32_e64 s8, v94
	s_cbranch_execz .LBB842_334
.LBB842_383:                            ;   in Loop: Header=BB842_316 Depth=2
	global_load_b64 v[8:9], v124, s[0:1] offset:28672
	s_wait_alu 0xfffe
	s_or_b32 exec_lo, exec_lo, s10
	s_delay_alu instid0(SALU_CYCLE_1)
	s_mov_b32 s10, exec_lo
	v_cmpx_gt_u32_e64 s8, v95
	s_cbranch_execnz .LBB842_335
	s_branch .LBB842_336
.LBB842_384:                            ;   in Loop: Header=BB842_20 Depth=1
	v_mov_b32_e32 v2, 0
	s_wait_dscnt 0x0
	s_barrier_signal -1
	s_barrier_wait -1
	global_inv scope:SCOPE_SE
	s_and_saveexec_b32 s0, s2
	s_cbranch_execz .LBB842_386
; %bb.385:                              ;   in Loop: Header=BB842_20 Depth=1
	ds_load_2addr_b64 v[6:9], v98 offset1:1
	s_wait_dscnt 0x0
	v_add_nc_u32_e32 v2, v7, v6
	s_delay_alu instid0(VALU_DEP_1)
	v_add3_u32 v2, v2, v8, v9
.LBB842_386:                            ;   in Loop: Header=BB842_20 Depth=1
	s_wait_alu 0xfffe
	s_or_b32 exec_lo, exec_lo, s0
	v_and_b32_e32 v6, 15, v125
	s_delay_alu instid0(VALU_DEP_2) | instskip(SKIP_1) | instid1(VALU_DEP_3)
	v_mov_b32_dpp v7, v2 row_shr:1 row_mask:0xf bank_mask:0xf
	v_and_b32_e32 v8, 16, v125
	v_cmp_eq_u32_e64 s0, 0, v6
	v_cmp_lt_u32_e64 s1, 1, v6
	v_cmp_lt_u32_e64 s8, 3, v6
	;; [unrolled: 1-line block ×3, first 2 shown]
	v_cmp_eq_u32_e64 s10, 0, v8
	s_wait_alu 0xf1ff
	v_cndmask_b32_e64 v7, v7, 0, s0
	s_delay_alu instid0(VALU_DEP_1) | instskip(NEXT) | instid1(VALU_DEP_1)
	v_add_nc_u32_e32 v2, v7, v2
	v_mov_b32_dpp v7, v2 row_shr:2 row_mask:0xf bank_mask:0xf
	s_delay_alu instid0(VALU_DEP_1) | instskip(NEXT) | instid1(VALU_DEP_1)
	v_cndmask_b32_e64 v7, 0, v7, s1
	v_add_nc_u32_e32 v2, v2, v7
	s_delay_alu instid0(VALU_DEP_1) | instskip(NEXT) | instid1(VALU_DEP_1)
	v_mov_b32_dpp v7, v2 row_shr:4 row_mask:0xf bank_mask:0xf
	v_cndmask_b32_e64 v7, 0, v7, s8
	s_delay_alu instid0(VALU_DEP_1) | instskip(NEXT) | instid1(VALU_DEP_1)
	v_add_nc_u32_e32 v2, v2, v7
	v_mov_b32_dpp v7, v2 row_shr:8 row_mask:0xf bank_mask:0xf
	s_delay_alu instid0(VALU_DEP_1) | instskip(SKIP_1) | instid1(VALU_DEP_2)
	v_cndmask_b32_e64 v6, 0, v7, s9
	v_bfe_i32 v7, v125, 4, 1
	v_add_nc_u32_e32 v2, v2, v6
	ds_swizzle_b32 v6, v2 offset:swizzle(BROADCAST,32,15)
	s_wait_dscnt 0x0
	v_and_b32_e32 v6, v7, v6
	s_delay_alu instid0(VALU_DEP_1)
	v_add_nc_u32_e32 v6, v2, v6
	s_and_saveexec_b32 s11, s3
; %bb.387:                              ;   in Loop: Header=BB842_20 Depth=1
	ds_store_b32 v99, v6
; %bb.388:                              ;   in Loop: Header=BB842_20 Depth=1
	s_wait_alu 0xfffe
	s_or_b32 exec_lo, exec_lo, s11
	v_and_b32_e32 v2, 7, v125
	s_wait_loadcnt_dscnt 0x0
	s_barrier_signal -1
	s_barrier_wait -1
	global_inv scope:SCOPE_SE
	s_and_saveexec_b32 s11, s4
	s_cbranch_execz .LBB842_390
; %bb.389:                              ;   in Loop: Header=BB842_20 Depth=1
	ds_load_b32 v7, v100
	v_cmp_ne_u32_e32 vcc_lo, 0, v2
	s_wait_dscnt 0x0
	v_mov_b32_dpp v8, v7 row_shr:1 row_mask:0xf bank_mask:0xf
	s_wait_alu 0xfffd
	s_delay_alu instid0(VALU_DEP_1) | instskip(SKIP_1) | instid1(VALU_DEP_2)
	v_cndmask_b32_e32 v8, 0, v8, vcc_lo
	v_cmp_lt_u32_e32 vcc_lo, 1, v2
	v_add_nc_u32_e32 v7, v8, v7
	s_delay_alu instid0(VALU_DEP_1) | instskip(SKIP_1) | instid1(VALU_DEP_1)
	v_mov_b32_dpp v8, v7 row_shr:2 row_mask:0xf bank_mask:0xf
	s_wait_alu 0xfffd
	v_cndmask_b32_e32 v8, 0, v8, vcc_lo
	v_cmp_lt_u32_e32 vcc_lo, 3, v2
	s_delay_alu instid0(VALU_DEP_2) | instskip(NEXT) | instid1(VALU_DEP_1)
	v_add_nc_u32_e32 v7, v7, v8
	v_mov_b32_dpp v8, v7 row_shr:4 row_mask:0xf bank_mask:0xf
	s_wait_alu 0xfffd
	s_delay_alu instid0(VALU_DEP_1) | instskip(NEXT) | instid1(VALU_DEP_1)
	v_cndmask_b32_e32 v8, 0, v8, vcc_lo
	v_add_nc_u32_e32 v7, v7, v8
	ds_store_b32 v100, v7
.LBB842_390:                            ;   in Loop: Header=BB842_20 Depth=1
	s_wait_alu 0xfffe
	s_or_b32 exec_lo, exec_lo, s11
	v_mov_b32_e32 v7, 0
	s_wait_loadcnt_dscnt 0x0
	s_barrier_signal -1
	s_barrier_wait -1
	global_inv scope:SCOPE_SE
	s_and_saveexec_b32 s11, s5
; %bb.391:                              ;   in Loop: Header=BB842_20 Depth=1
	ds_load_b32 v7, v103
; %bb.392:                              ;   in Loop: Header=BB842_20 Depth=1
	s_wait_alu 0xfffe
	s_or_b32 exec_lo, exec_lo, s11
	v_sub_co_u32 v8, s11, v125, 1
	s_wait_dscnt 0x0
	v_add_nc_u32_e32 v6, v7, v6
	s_wait_loadcnt 0x0
	s_barrier_signal -1
	v_cmp_gt_i32_e32 vcc_lo, 0, v8
	s_barrier_wait -1
	global_inv scope:SCOPE_SE
	s_wait_alu 0xfffd
	v_cndmask_b32_e32 v8, v8, v125, vcc_lo
	s_delay_alu instid0(VALU_DEP_1)
	v_lshlrev_b32_e32 v126, 2, v8
	ds_bpermute_b32 v6, v126, v6
	s_and_saveexec_b32 s12, s2
	s_cbranch_execz .LBB842_394
; %bb.393:                              ;   in Loop: Header=BB842_20 Depth=1
	s_wait_dscnt 0x0
	v_cndmask_b32_e64 v6, v6, v7, s11
	s_delay_alu instid0(VALU_DEP_1)
	v_add_nc_u32_e32 v6, s33, v6
	ds_store_b32 v78, v6
.LBB842_394:                            ;   in Loop: Header=BB842_20 Depth=1
	s_wait_alu 0xfffe
	s_or_b32 exec_lo, exec_lo, s12
	s_load_b64 s[12:13], s[42:43], 0x0
	v_lshlrev_b32_e32 v8, 3, v125
	v_or_b32_e32 v127, v125, v101
	s_mov_b32 s56, s53
                                        ; implicit-def: $vgpr10_vgpr11
                                        ; implicit-def: $vgpr12_vgpr13
                                        ; implicit-def: $vgpr14_vgpr15
                                        ; implicit-def: $vgpr16_vgpr17
                                        ; implicit-def: $vgpr18_vgpr19
                                        ; implicit-def: $vgpr20_vgpr21
                                        ; implicit-def: $vgpr22_vgpr23
                                        ; implicit-def: $vgpr24_vgpr25
                                        ; implicit-def: $vgpr26_vgpr27
                                        ; implicit-def: $vgpr28_vgpr29
                                        ; implicit-def: $vgpr30_vgpr31
                                        ; implicit-def: $vgpr32_vgpr33
                                        ; implicit-def: $vgpr34_vgpr35
                                        ; implicit-def: $vgpr36_vgpr37
                                        ; implicit-def: $vgpr148
                                        ; implicit-def: $vgpr149
                                        ; implicit-def: $vgpr150
                                        ; implicit-def: $vgpr151
                                        ; implicit-def: $vgpr152
                                        ; implicit-def: $vgpr153
                                        ; implicit-def: $vgpr154
                                        ; implicit-def: $vgpr155
                                        ; implicit-def: $vgpr156
                                        ; implicit-def: $vgpr157
                                        ; implicit-def: $vgpr158
                                        ; implicit-def: $vgpr159
                                        ; implicit-def: $vgpr160
                                        ; implicit-def: $vgpr161
                                        ; implicit-def: $vgpr162
                                        ; implicit-def: $vgpr163
	s_delay_alu instid0(VALU_DEP_2)
	v_add_co_u32 v128, vcc_lo, v113, v8
	s_wait_alu 0xfffd
	v_add_co_ci_u32_e64 v129, null, 0, v114, vcc_lo
	v_add_co_u32 v145, vcc_lo, v115, v8
	v_or_b32_e32 v130, 32, v127
	v_or_b32_e32 v131, 64, v127
	v_or_b32_e32 v132, 0x60, v127
	v_or_b32_e32 v133, 0x80, v127
	v_or_b32_e32 v134, 0xa0, v127
	v_or_b32_e32 v135, 0xc0, v127
	v_or_b32_e32 v136, 0xe0, v127
	v_or_b32_e32 v137, 0x100, v127
	s_wait_kmcnt 0x0
	s_cmp_lt_u32 ttmp7, s13
	v_or_b32_e32 v138, 0x120, v127
	s_cselect_b32 s34, 14, 20
	s_cmp_lt_u32 ttmp9, s12
	s_wait_alu 0xfffe
	s_add_nc_u64 s[14:15], s[42:43], s[34:35]
	s_cselect_b32 s34, 12, 18
	s_load_u16 s15, s[14:15], 0x0
	s_add_nc_u64 s[12:13], s[42:43], s[34:35]
	v_or_b32_e32 v139, 0x140, v127
	s_load_u16 s16, s[12:13], 0x0
	v_cmp_eq_u32_e64 s12, 0, v2
	v_cmp_lt_u32_e64 s13, 1, v2
	v_cmp_lt_u32_e64 s14, 3, v2
	v_or_b32_e32 v140, 0x160, v127
	v_or_b32_e32 v141, 0x180, v127
	;; [unrolled: 1-line block ×5, first 2 shown]
	v_add_co_ci_u32_e64 v146, null, 0, v116, vcc_lo
	s_mov_b32 s34, s33
                                        ; implicit-def: $vgpr8_vgpr9
	s_wait_kmcnt 0x0
	v_mad_u32_u24 v2, v104, s15, v0
	s_wait_dscnt 0x0
	s_delay_alu instid0(VALU_DEP_1) | instskip(NEXT) | instid1(VALU_DEP_1)
	v_mad_co_u64_u32 v[6:7], null, v2, s16, v[1:2]
	v_lshrrev_b32_e32 v2, 3, v6
                                        ; implicit-def: $vgpr6_vgpr7
	s_delay_alu instid0(VALU_DEP_1)
	v_and_b32_e32 v147, 0x1ffffffc, v2
	s_branch .LBB842_396
.LBB842_395:                            ;   in Loop: Header=BB842_396 Depth=2
	s_wait_alu 0xfffe
	s_or_b32 exec_lo, exec_lo, s15
	s_addk_co_i32 s56, 0xf000
	s_cmp_lt_u32 s57, s51
	s_mov_b32 s34, s57
	s_cbranch_scc0 .LBB842_604
.LBB842_396:                            ;   Parent Loop BB842_20 Depth=1
                                        ; =>  This Inner Loop Header: Depth=2
	s_wait_alu 0xfffe
	s_add_co_i32 s57, s34, 0x1000
	s_wait_alu 0xfffe
	s_cmp_gt_u32 s57, s51
	s_cbranch_scc1 .LBB842_398
; %bb.397:                              ;   in Loop: Header=BB842_396 Depth=2
	s_lshl_b64 s[16:17], s[34:35], 3
	s_mov_b32 s15, -1
	s_wait_alu 0xfffe
	v_add_co_u32 v66, vcc_lo, v145, s16
	s_wait_alu 0xfffd
	v_add_co_ci_u32_e64 v67, null, s17, v146, vcc_lo
	s_clause 0xe
	global_load_b64 v[40:41], v[66:67], off
	global_load_b64 v[38:39], v[66:67], off offset:256
	global_load_b64 v[42:43], v[66:67], off offset:512
	;; [unrolled: 1-line block ×14, first 2 shown]
	s_movk_i32 s16, 0x1000
	s_cbranch_execz .LBB842_399
	s_branch .LBB842_430
.LBB842_398:                            ;   in Loop: Header=BB842_396 Depth=2
	s_mov_b32 s15, 0
                                        ; implicit-def: $vgpr40_vgpr41
                                        ; implicit-def: $vgpr38_vgpr39
                                        ; implicit-def: $vgpr42_vgpr43
                                        ; implicit-def: $vgpr44_vgpr45
                                        ; implicit-def: $vgpr46_vgpr47
                                        ; implicit-def: $vgpr50_vgpr51
                                        ; implicit-def: $vgpr48_vgpr49
                                        ; implicit-def: $vgpr52_vgpr53
                                        ; implicit-def: $vgpr54_vgpr55
                                        ; implicit-def: $vgpr56_vgpr57
                                        ; implicit-def: $vgpr60_vgpr61
                                        ; implicit-def: $vgpr58_vgpr59
                                        ; implicit-def: $vgpr62_vgpr63
                                        ; implicit-def: $vgpr64_vgpr65
                                        ; implicit-def: $vgpr66_vgpr67
	s_movk_i32 s16, 0x1000
.LBB842_399:                            ;   in Loop: Header=BB842_396 Depth=2
	s_wait_loadcnt 0xd
	v_dual_mov_b32 v38, v4 :: v_dual_mov_b32 v39, v5
	s_lshl_b64 s[16:17], s[34:35], 3
	s_mov_b32 s15, exec_lo
	s_wait_alu 0xfffe
	v_add_co_u32 v68, vcc_lo, v145, s16
	s_wait_alu 0xfffd
	v_add_co_ci_u32_e64 v69, null, s17, v146, vcc_lo
	v_dual_mov_b32 v41, v39 :: v_dual_mov_b32 v40, v38
	v_cmpx_gt_u32_e64 s56, v127
	s_cbranch_execz .LBB842_401
; %bb.400:                              ;   in Loop: Header=BB842_396 Depth=2
	global_load_b64 v[40:41], v[68:69], off
.LBB842_401:                            ;   in Loop: Header=BB842_396 Depth=2
	s_or_b32 exec_lo, exec_lo, s15
	s_delay_alu instid0(SALU_CYCLE_1)
	s_mov_b32 s15, exec_lo
	v_cmpx_gt_u32_e64 s56, v130
	s_cbranch_execz .LBB842_403
; %bb.402:                              ;   in Loop: Header=BB842_396 Depth=2
	global_load_b64 v[38:39], v[68:69], off offset:256
.LBB842_403:                            ;   in Loop: Header=BB842_396 Depth=2
	s_wait_alu 0xfffe
	s_or_b32 exec_lo, exec_lo, s15
	s_wait_loadcnt 0xc
	v_dual_mov_b32 v43, v5 :: v_dual_mov_b32 v42, v4
	s_mov_b32 s15, exec_lo
	v_cmpx_gt_u32_e64 s56, v131
	s_cbranch_execz .LBB842_405
; %bb.404:                              ;   in Loop: Header=BB842_396 Depth=2
	global_load_b64 v[42:43], v[68:69], off offset:512
.LBB842_405:                            ;   in Loop: Header=BB842_396 Depth=2
	s_wait_alu 0xfffe
	s_or_b32 exec_lo, exec_lo, s15
	s_wait_loadcnt 0xb
	v_dual_mov_b32 v45, v5 :: v_dual_mov_b32 v44, v4
	;; [unrolled: 10-line block ×13, first 2 shown]
	s_mov_b32 s15, exec_lo
	v_cmpx_gt_u32_e64 s56, v143
	s_cbranch_execz .LBB842_429
; %bb.428:                              ;   in Loop: Header=BB842_396 Depth=2
	global_load_b64 v[66:67], v[68:69], off offset:3584
.LBB842_429:                            ;   in Loop: Header=BB842_396 Depth=2
	s_wait_alu 0xfffe
	s_or_b32 exec_lo, exec_lo, s15
	v_cmp_gt_u32_e64 s15, s56, v144
	s_sub_co_i32 s16, s51, s34
.LBB842_430:                            ;   in Loop: Header=BB842_396 Depth=2
	v_mov_b32_e32 v68, -1
	v_dual_mov_b32 v69, -1 :: v_dual_mov_b32 v164, s56
	s_and_saveexec_b32 s17, s15
	s_cbranch_execz .LBB842_432
; %bb.431:                              ;   in Loop: Header=BB842_396 Depth=2
	s_lshl_b64 s[18:19], s[34:35], 3
	s_wait_alu 0xfffe
	v_mov_b32_e32 v164, s16
	v_add_co_u32 v68, vcc_lo, v145, s18
	s_wait_alu 0xfffd
	v_add_co_ci_u32_e64 v69, null, s19, v146, vcc_lo
	global_load_b64 v[68:69], v[68:69], off offset:3840
	s_wait_loadcnt 0x0
	v_xor_b32_e32 v69, 0x80000000, v69
.LBB842_432:                            ;   in Loop: Header=BB842_396 Depth=2
	s_wait_alu 0xfffe
	s_or_b32 exec_lo, exec_lo, s17
	s_wait_loadcnt 0xe
	v_xor_b32_e32 v41, 0x80000000, v41
	v_add_nc_u32_e32 v166, 0x420, v102
	v_add_nc_u32_e32 v167, 0x428, v102
	;; [unrolled: 1-line block ×3, first 2 shown]
	s_delay_alu instid0(VALU_DEP_4) | instskip(NEXT) | instid1(VALU_DEP_1)
	v_lshrrev_b64 v[70:71], s48, v[40:41]
	v_and_b32_e32 v71, s55, v70
	s_delay_alu instid0(VALU_DEP_1)
	v_and_b32_e32 v2, 1, v71
	v_lshlrev_b32_e32 v70, 30, v71
	v_lshlrev_b32_e32 v72, 29, v71
	;; [unrolled: 1-line block ×4, first 2 shown]
	v_add_co_u32 v2, s15, v2, -1
	s_wait_alu 0xf1ff
	v_cndmask_b32_e64 v74, 0, 1, s15
	v_not_b32_e32 v165, v70
	v_cmp_gt_i32_e64 s15, 0, v70
	v_not_b32_e32 v70, v72
	v_lshlrev_b32_e32 v76, 26, v71
	v_cmp_ne_u32_e32 vcc_lo, 0, v74
	v_ashrrev_i32_e32 v165, 31, v165
	v_lshlrev_b32_e32 v77, 25, v71
	v_ashrrev_i32_e32 v70, 31, v70
	v_lshlrev_b32_e32 v74, 24, v71
	s_wait_alu 0xfffd
	v_xor_b32_e32 v2, vcc_lo, v2
	v_cmp_gt_i32_e32 vcc_lo, 0, v72
	v_not_b32_e32 v72, v73
	s_wait_alu 0xf1ff
	v_xor_b32_e32 v165, s15, v165
	v_cmp_gt_i32_e64 s15, 0, v73
	v_and_b32_e32 v2, exec_lo, v2
	v_not_b32_e32 v73, v75
	v_ashrrev_i32_e32 v72, 31, v72
	s_wait_alu 0xfffd
	v_xor_b32_e32 v70, vcc_lo, v70
	v_cmp_gt_i32_e32 vcc_lo, 0, v75
	v_and_b32_e32 v2, v2, v165
	v_not_b32_e32 v75, v76
	v_ashrrev_i32_e32 v73, 31, v73
	s_wait_alu 0xf1ff
	v_xor_b32_e32 v72, s15, v72
	v_cmp_gt_i32_e64 s15, 0, v76
	v_and_b32_e32 v2, v2, v70
	v_not_b32_e32 v70, v77
	v_ashrrev_i32_e32 v75, 31, v75
	s_wait_alu 0xfffd
	v_xor_b32_e32 v73, vcc_lo, v73
	v_cmp_gt_i32_e32 vcc_lo, 0, v77
	v_and_b32_e32 v2, v2, v72
	v_not_b32_e32 v72, v74
	v_ashrrev_i32_e32 v70, 31, v70
	s_wait_alu 0xf1ff
	v_xor_b32_e32 v75, s15, v75
	v_cmp_gt_i32_e64 s15, 0, v74
	v_and_b32_e32 v2, v2, v73
	v_ashrrev_i32_e32 v72, 31, v72
	s_wait_alu 0xfffd
	v_xor_b32_e32 v70, vcc_lo, v70
	v_mul_u32_u24_e32 v71, 36, v71
	v_add_nc_u32_e32 v165, 0x438, v102
	v_and_b32_e32 v2, v2, v75
	s_wait_alu 0xf1ff
	v_xor_b32_e32 v72, s15, v72
	v_add_nc_u32_e32 v169, v147, v71
	ds_store_2addr_b32 v165, v3, v3 offset1:1
	v_and_b32_e32 v2, v2, v70
	ds_store_2addr_b32 v166, v3, v3 offset1:1
	ds_store_2addr_b32 v167, v3, v3 offset1:1
	;; [unrolled: 1-line block ×3, first 2 shown]
	ds_store_b32 v102, v3 offset:1088
	s_wait_loadcnt_dscnt 0x0
	s_barrier_signal -1
	s_barrier_wait -1
	v_and_b32_e32 v70, v2, v72
	global_inv scope:SCOPE_SE
	; wave barrier
	v_mbcnt_lo_u32_b32 v2, v70, 0
	v_cmp_ne_u32_e64 s15, 0, v70
	s_delay_alu instid0(VALU_DEP_2)
	v_cmp_eq_u32_e32 vcc_lo, 0, v2
	s_and_b32 s16, s15, vcc_lo
	s_wait_alu 0xfffe
	s_and_saveexec_b32 s15, s16
; %bb.433:                              ;   in Loop: Header=BB842_396 Depth=2
	v_bcnt_u32_b32 v70, v70, 0
	ds_store_b32 v169, v70 offset:1056
; %bb.434:                              ;   in Loop: Header=BB842_396 Depth=2
	s_wait_alu 0xfffe
	s_or_b32 exec_lo, exec_lo, s15
	v_xor_b32_e32 v39, 0x80000000, v39
	; wave barrier
	s_delay_alu instid0(VALU_DEP_1) | instskip(NEXT) | instid1(VALU_DEP_1)
	v_lshrrev_b64 v[70:71], s48, v[38:39]
	v_and_b32_e32 v71, s55, v70
	s_delay_alu instid0(VALU_DEP_1)
	v_and_b32_e32 v70, 1, v71
	v_lshlrev_b32_e32 v72, 30, v71
	v_lshlrev_b32_e32 v73, 29, v71
	;; [unrolled: 1-line block ×4, first 2 shown]
	v_add_co_u32 v70, s15, v70, -1
	s_wait_alu 0xf1ff
	v_cndmask_b32_e64 v75, 0, 1, s15
	v_not_b32_e32 v171, v72
	v_cmp_gt_i32_e64 s15, 0, v72
	v_not_b32_e32 v72, v73
	v_lshlrev_b32_e32 v77, 26, v71
	v_cmp_ne_u32_e32 vcc_lo, 0, v75
	v_ashrrev_i32_e32 v171, 31, v171
	v_lshlrev_b32_e32 v170, 25, v71
	v_ashrrev_i32_e32 v72, 31, v72
	v_lshlrev_b32_e32 v75, 24, v71
	s_wait_alu 0xfffd
	v_xor_b32_e32 v70, vcc_lo, v70
	v_cmp_gt_i32_e32 vcc_lo, 0, v73
	v_not_b32_e32 v73, v74
	s_wait_alu 0xf1ff
	v_xor_b32_e32 v171, s15, v171
	v_cmp_gt_i32_e64 s15, 0, v74
	v_and_b32_e32 v70, exec_lo, v70
	v_not_b32_e32 v74, v76
	v_ashrrev_i32_e32 v73, 31, v73
	s_wait_alu 0xfffd
	v_xor_b32_e32 v72, vcc_lo, v72
	v_cmp_gt_i32_e32 vcc_lo, 0, v76
	v_and_b32_e32 v70, v70, v171
	v_not_b32_e32 v76, v77
	v_ashrrev_i32_e32 v74, 31, v74
	s_wait_alu 0xf1ff
	v_xor_b32_e32 v73, s15, v73
	v_cmp_gt_i32_e64 s15, 0, v77
	v_and_b32_e32 v70, v70, v72
	v_not_b32_e32 v72, v170
	v_ashrrev_i32_e32 v76, 31, v76
	s_wait_alu 0xfffd
	v_xor_b32_e32 v74, vcc_lo, v74
	v_cmp_gt_i32_e32 vcc_lo, 0, v170
	v_and_b32_e32 v70, v70, v73
	v_not_b32_e32 v73, v75
	v_ashrrev_i32_e32 v72, 31, v72
	s_wait_alu 0xf1ff
	v_xor_b32_e32 v76, s15, v76
	v_cmp_gt_i32_e64 s15, 0, v75
	v_and_b32_e32 v70, v70, v74
	v_ashrrev_i32_e32 v73, 31, v73
	s_wait_alu 0xfffd
	v_xor_b32_e32 v72, vcc_lo, v72
	v_mad_u32_u24 v74, v71, 36, v147
	v_mul_u32_u24_e32 v71, 36, v71
	v_and_b32_e32 v70, v70, v76
	s_wait_alu 0xf1ff
	v_xor_b32_e32 v73, s15, v73
	ds_load_b32 v170, v74 offset:1056
	v_add_nc_u32_e32 v172, v147, v71
	v_and_b32_e32 v70, v70, v72
	; wave barrier
	s_delay_alu instid0(VALU_DEP_1) | instskip(NEXT) | instid1(VALU_DEP_1)
	v_and_b32_e32 v70, v70, v73
	v_mbcnt_lo_u32_b32 v171, v70, 0
	v_cmp_ne_u32_e64 s15, 0, v70
	s_delay_alu instid0(VALU_DEP_2)
	v_cmp_eq_u32_e32 vcc_lo, 0, v171
	s_and_b32 s16, s15, vcc_lo
	s_wait_alu 0xfffe
	s_and_saveexec_b32 s15, s16
	s_cbranch_execz .LBB842_436
; %bb.435:                              ;   in Loop: Header=BB842_396 Depth=2
	s_wait_dscnt 0x0
	v_bcnt_u32_b32 v70, v70, v170
	ds_store_b32 v172, v70 offset:1056
.LBB842_436:                            ;   in Loop: Header=BB842_396 Depth=2
	s_wait_alu 0xfffe
	s_or_b32 exec_lo, exec_lo, s15
	v_xor_b32_e32 v43, 0x80000000, v43
	; wave barrier
	s_delay_alu instid0(VALU_DEP_1) | instskip(NEXT) | instid1(VALU_DEP_1)
	v_lshrrev_b64 v[70:71], s48, v[42:43]
	v_and_b32_e32 v71, s55, v70
	s_delay_alu instid0(VALU_DEP_1)
	v_and_b32_e32 v70, 1, v71
	v_lshlrev_b32_e32 v72, 30, v71
	v_lshlrev_b32_e32 v73, 29, v71
	;; [unrolled: 1-line block ×4, first 2 shown]
	v_add_co_u32 v70, s15, v70, -1
	s_wait_alu 0xf1ff
	v_cndmask_b32_e64 v75, 0, 1, s15
	v_not_b32_e32 v174, v72
	v_cmp_gt_i32_e64 s15, 0, v72
	v_not_b32_e32 v72, v73
	v_lshlrev_b32_e32 v77, 26, v71
	v_cmp_ne_u32_e32 vcc_lo, 0, v75
	v_ashrrev_i32_e32 v174, 31, v174
	v_lshlrev_b32_e32 v173, 25, v71
	v_ashrrev_i32_e32 v72, 31, v72
	v_lshlrev_b32_e32 v75, 24, v71
	s_wait_alu 0xfffd
	v_xor_b32_e32 v70, vcc_lo, v70
	v_cmp_gt_i32_e32 vcc_lo, 0, v73
	v_not_b32_e32 v73, v74
	s_wait_alu 0xf1ff
	v_xor_b32_e32 v174, s15, v174
	v_cmp_gt_i32_e64 s15, 0, v74
	v_and_b32_e32 v70, exec_lo, v70
	v_not_b32_e32 v74, v76
	v_ashrrev_i32_e32 v73, 31, v73
	s_wait_alu 0xfffd
	v_xor_b32_e32 v72, vcc_lo, v72
	v_cmp_gt_i32_e32 vcc_lo, 0, v76
	v_and_b32_e32 v70, v70, v174
	v_not_b32_e32 v76, v77
	v_ashrrev_i32_e32 v74, 31, v74
	s_wait_alu 0xf1ff
	v_xor_b32_e32 v73, s15, v73
	v_cmp_gt_i32_e64 s15, 0, v77
	v_and_b32_e32 v70, v70, v72
	v_not_b32_e32 v72, v173
	v_ashrrev_i32_e32 v76, 31, v76
	s_wait_alu 0xfffd
	v_xor_b32_e32 v74, vcc_lo, v74
	v_cmp_gt_i32_e32 vcc_lo, 0, v173
	v_and_b32_e32 v70, v70, v73
	v_not_b32_e32 v73, v75
	v_ashrrev_i32_e32 v72, 31, v72
	s_wait_alu 0xf1ff
	v_xor_b32_e32 v76, s15, v76
	v_cmp_gt_i32_e64 s15, 0, v75
	v_and_b32_e32 v70, v70, v74
	v_ashrrev_i32_e32 v73, 31, v73
	s_wait_alu 0xfffd
	v_xor_b32_e32 v72, vcc_lo, v72
	v_mad_u32_u24 v74, v71, 36, v147
	v_mul_u32_u24_e32 v71, 36, v71
	v_and_b32_e32 v70, v70, v76
	s_wait_alu 0xf1ff
	v_xor_b32_e32 v73, s15, v73
	ds_load_b32 v173, v74 offset:1056
	v_add_nc_u32_e32 v175, v147, v71
	v_and_b32_e32 v70, v70, v72
	; wave barrier
	s_delay_alu instid0(VALU_DEP_1) | instskip(NEXT) | instid1(VALU_DEP_1)
	v_and_b32_e32 v70, v70, v73
	v_mbcnt_lo_u32_b32 v174, v70, 0
	v_cmp_ne_u32_e64 s15, 0, v70
	s_delay_alu instid0(VALU_DEP_2)
	v_cmp_eq_u32_e32 vcc_lo, 0, v174
	s_and_b32 s16, s15, vcc_lo
	s_wait_alu 0xfffe
	s_and_saveexec_b32 s15, s16
	s_cbranch_execz .LBB842_438
; %bb.437:                              ;   in Loop: Header=BB842_396 Depth=2
	s_wait_dscnt 0x0
	v_bcnt_u32_b32 v70, v70, v173
	ds_store_b32 v175, v70 offset:1056
.LBB842_438:                            ;   in Loop: Header=BB842_396 Depth=2
	s_wait_alu 0xfffe
	s_or_b32 exec_lo, exec_lo, s15
	v_xor_b32_e32 v45, 0x80000000, v45
	; wave barrier
	s_delay_alu instid0(VALU_DEP_1) | instskip(NEXT) | instid1(VALU_DEP_1)
	v_lshrrev_b64 v[70:71], s48, v[44:45]
	v_and_b32_e32 v71, s55, v70
	s_delay_alu instid0(VALU_DEP_1)
	v_and_b32_e32 v70, 1, v71
	v_lshlrev_b32_e32 v72, 30, v71
	v_lshlrev_b32_e32 v73, 29, v71
	;; [unrolled: 1-line block ×4, first 2 shown]
	v_add_co_u32 v70, s15, v70, -1
	s_wait_alu 0xf1ff
	v_cndmask_b32_e64 v75, 0, 1, s15
	v_not_b32_e32 v177, v72
	v_cmp_gt_i32_e64 s15, 0, v72
	v_not_b32_e32 v72, v73
	v_lshlrev_b32_e32 v77, 26, v71
	v_cmp_ne_u32_e32 vcc_lo, 0, v75
	v_ashrrev_i32_e32 v177, 31, v177
	v_lshlrev_b32_e32 v176, 25, v71
	v_ashrrev_i32_e32 v72, 31, v72
	v_lshlrev_b32_e32 v75, 24, v71
	s_wait_alu 0xfffd
	v_xor_b32_e32 v70, vcc_lo, v70
	v_cmp_gt_i32_e32 vcc_lo, 0, v73
	v_not_b32_e32 v73, v74
	s_wait_alu 0xf1ff
	v_xor_b32_e32 v177, s15, v177
	v_cmp_gt_i32_e64 s15, 0, v74
	v_and_b32_e32 v70, exec_lo, v70
	v_not_b32_e32 v74, v76
	v_ashrrev_i32_e32 v73, 31, v73
	s_wait_alu 0xfffd
	v_xor_b32_e32 v72, vcc_lo, v72
	v_cmp_gt_i32_e32 vcc_lo, 0, v76
	v_and_b32_e32 v70, v70, v177
	v_not_b32_e32 v76, v77
	v_ashrrev_i32_e32 v74, 31, v74
	s_wait_alu 0xf1ff
	v_xor_b32_e32 v73, s15, v73
	v_cmp_gt_i32_e64 s15, 0, v77
	v_and_b32_e32 v70, v70, v72
	v_not_b32_e32 v72, v176
	v_ashrrev_i32_e32 v76, 31, v76
	s_wait_alu 0xfffd
	v_xor_b32_e32 v74, vcc_lo, v74
	v_cmp_gt_i32_e32 vcc_lo, 0, v176
	v_and_b32_e32 v70, v70, v73
	v_not_b32_e32 v73, v75
	v_ashrrev_i32_e32 v72, 31, v72
	s_wait_alu 0xf1ff
	v_xor_b32_e32 v76, s15, v76
	v_cmp_gt_i32_e64 s15, 0, v75
	v_and_b32_e32 v70, v70, v74
	v_ashrrev_i32_e32 v73, 31, v73
	s_wait_alu 0xfffd
	v_xor_b32_e32 v72, vcc_lo, v72
	v_mad_u32_u24 v74, v71, 36, v147
	v_mul_u32_u24_e32 v71, 36, v71
	v_and_b32_e32 v70, v70, v76
	s_wait_alu 0xf1ff
	v_xor_b32_e32 v73, s15, v73
	ds_load_b32 v176, v74 offset:1056
	v_add_nc_u32_e32 v178, v147, v71
	v_and_b32_e32 v70, v70, v72
	; wave barrier
	s_delay_alu instid0(VALU_DEP_1) | instskip(NEXT) | instid1(VALU_DEP_1)
	v_and_b32_e32 v70, v70, v73
	v_mbcnt_lo_u32_b32 v177, v70, 0
	v_cmp_ne_u32_e64 s15, 0, v70
	s_delay_alu instid0(VALU_DEP_2)
	v_cmp_eq_u32_e32 vcc_lo, 0, v177
	s_and_b32 s16, s15, vcc_lo
	s_wait_alu 0xfffe
	s_and_saveexec_b32 s15, s16
	s_cbranch_execz .LBB842_440
; %bb.439:                              ;   in Loop: Header=BB842_396 Depth=2
	s_wait_dscnt 0x0
	v_bcnt_u32_b32 v70, v70, v176
	ds_store_b32 v178, v70 offset:1056
.LBB842_440:                            ;   in Loop: Header=BB842_396 Depth=2
	s_wait_alu 0xfffe
	s_or_b32 exec_lo, exec_lo, s15
	v_xor_b32_e32 v47, 0x80000000, v47
	; wave barrier
	s_delay_alu instid0(VALU_DEP_1) | instskip(NEXT) | instid1(VALU_DEP_1)
	v_lshrrev_b64 v[70:71], s48, v[46:47]
	v_and_b32_e32 v71, s55, v70
	s_delay_alu instid0(VALU_DEP_1)
	v_and_b32_e32 v70, 1, v71
	v_lshlrev_b32_e32 v72, 30, v71
	v_lshlrev_b32_e32 v73, 29, v71
	;; [unrolled: 1-line block ×4, first 2 shown]
	v_add_co_u32 v70, s15, v70, -1
	s_wait_alu 0xf1ff
	v_cndmask_b32_e64 v75, 0, 1, s15
	v_not_b32_e32 v180, v72
	v_cmp_gt_i32_e64 s15, 0, v72
	v_not_b32_e32 v72, v73
	v_lshlrev_b32_e32 v77, 26, v71
	v_cmp_ne_u32_e32 vcc_lo, 0, v75
	v_ashrrev_i32_e32 v180, 31, v180
	v_lshlrev_b32_e32 v179, 25, v71
	v_ashrrev_i32_e32 v72, 31, v72
	v_lshlrev_b32_e32 v75, 24, v71
	s_wait_alu 0xfffd
	v_xor_b32_e32 v70, vcc_lo, v70
	v_cmp_gt_i32_e32 vcc_lo, 0, v73
	v_not_b32_e32 v73, v74
	s_wait_alu 0xf1ff
	v_xor_b32_e32 v180, s15, v180
	v_cmp_gt_i32_e64 s15, 0, v74
	v_and_b32_e32 v70, exec_lo, v70
	v_not_b32_e32 v74, v76
	v_ashrrev_i32_e32 v73, 31, v73
	s_wait_alu 0xfffd
	v_xor_b32_e32 v72, vcc_lo, v72
	v_cmp_gt_i32_e32 vcc_lo, 0, v76
	v_and_b32_e32 v70, v70, v180
	v_not_b32_e32 v76, v77
	v_ashrrev_i32_e32 v74, 31, v74
	s_wait_alu 0xf1ff
	v_xor_b32_e32 v73, s15, v73
	v_cmp_gt_i32_e64 s15, 0, v77
	v_and_b32_e32 v70, v70, v72
	v_not_b32_e32 v72, v179
	v_ashrrev_i32_e32 v76, 31, v76
	s_wait_alu 0xfffd
	v_xor_b32_e32 v74, vcc_lo, v74
	v_cmp_gt_i32_e32 vcc_lo, 0, v179
	v_and_b32_e32 v70, v70, v73
	v_not_b32_e32 v73, v75
	v_ashrrev_i32_e32 v72, 31, v72
	s_wait_alu 0xf1ff
	v_xor_b32_e32 v76, s15, v76
	v_cmp_gt_i32_e64 s15, 0, v75
	v_and_b32_e32 v70, v70, v74
	v_ashrrev_i32_e32 v73, 31, v73
	s_wait_alu 0xfffd
	v_xor_b32_e32 v72, vcc_lo, v72
	v_mad_u32_u24 v74, v71, 36, v147
	v_mul_u32_u24_e32 v71, 36, v71
	v_and_b32_e32 v70, v70, v76
	s_wait_alu 0xf1ff
	v_xor_b32_e32 v73, s15, v73
	ds_load_b32 v179, v74 offset:1056
	v_add_nc_u32_e32 v181, v147, v71
	v_and_b32_e32 v70, v70, v72
	; wave barrier
	s_delay_alu instid0(VALU_DEP_1) | instskip(NEXT) | instid1(VALU_DEP_1)
	v_and_b32_e32 v70, v70, v73
	v_mbcnt_lo_u32_b32 v180, v70, 0
	v_cmp_ne_u32_e64 s15, 0, v70
	s_delay_alu instid0(VALU_DEP_2)
	v_cmp_eq_u32_e32 vcc_lo, 0, v180
	s_and_b32 s16, s15, vcc_lo
	s_wait_alu 0xfffe
	s_and_saveexec_b32 s15, s16
	s_cbranch_execz .LBB842_442
; %bb.441:                              ;   in Loop: Header=BB842_396 Depth=2
	s_wait_dscnt 0x0
	v_bcnt_u32_b32 v70, v70, v179
	ds_store_b32 v181, v70 offset:1056
.LBB842_442:                            ;   in Loop: Header=BB842_396 Depth=2
	s_wait_alu 0xfffe
	s_or_b32 exec_lo, exec_lo, s15
	v_xor_b32_e32 v51, 0x80000000, v51
	; wave barrier
	s_delay_alu instid0(VALU_DEP_1) | instskip(NEXT) | instid1(VALU_DEP_1)
	v_lshrrev_b64 v[70:71], s48, v[50:51]
	v_and_b32_e32 v71, s55, v70
	s_delay_alu instid0(VALU_DEP_1)
	v_and_b32_e32 v70, 1, v71
	v_lshlrev_b32_e32 v72, 30, v71
	v_lshlrev_b32_e32 v73, 29, v71
	;; [unrolled: 1-line block ×4, first 2 shown]
	v_add_co_u32 v70, s15, v70, -1
	s_wait_alu 0xf1ff
	v_cndmask_b32_e64 v75, 0, 1, s15
	v_not_b32_e32 v183, v72
	v_cmp_gt_i32_e64 s15, 0, v72
	v_not_b32_e32 v72, v73
	v_lshlrev_b32_e32 v77, 26, v71
	v_cmp_ne_u32_e32 vcc_lo, 0, v75
	v_ashrrev_i32_e32 v183, 31, v183
	v_lshlrev_b32_e32 v182, 25, v71
	v_ashrrev_i32_e32 v72, 31, v72
	v_lshlrev_b32_e32 v75, 24, v71
	s_wait_alu 0xfffd
	v_xor_b32_e32 v70, vcc_lo, v70
	v_cmp_gt_i32_e32 vcc_lo, 0, v73
	v_not_b32_e32 v73, v74
	s_wait_alu 0xf1ff
	v_xor_b32_e32 v183, s15, v183
	v_cmp_gt_i32_e64 s15, 0, v74
	v_and_b32_e32 v70, exec_lo, v70
	v_not_b32_e32 v74, v76
	v_ashrrev_i32_e32 v73, 31, v73
	s_wait_alu 0xfffd
	v_xor_b32_e32 v72, vcc_lo, v72
	v_cmp_gt_i32_e32 vcc_lo, 0, v76
	v_and_b32_e32 v70, v70, v183
	v_not_b32_e32 v76, v77
	v_ashrrev_i32_e32 v74, 31, v74
	s_wait_alu 0xf1ff
	v_xor_b32_e32 v73, s15, v73
	v_cmp_gt_i32_e64 s15, 0, v77
	v_and_b32_e32 v70, v70, v72
	v_not_b32_e32 v72, v182
	v_ashrrev_i32_e32 v76, 31, v76
	s_wait_alu 0xfffd
	v_xor_b32_e32 v74, vcc_lo, v74
	v_cmp_gt_i32_e32 vcc_lo, 0, v182
	v_and_b32_e32 v70, v70, v73
	v_not_b32_e32 v73, v75
	v_ashrrev_i32_e32 v72, 31, v72
	s_wait_alu 0xf1ff
	v_xor_b32_e32 v76, s15, v76
	v_cmp_gt_i32_e64 s15, 0, v75
	v_and_b32_e32 v70, v70, v74
	v_ashrrev_i32_e32 v73, 31, v73
	s_wait_alu 0xfffd
	v_xor_b32_e32 v72, vcc_lo, v72
	v_mad_u32_u24 v74, v71, 36, v147
	v_mul_u32_u24_e32 v71, 36, v71
	v_and_b32_e32 v70, v70, v76
	s_wait_alu 0xf1ff
	v_xor_b32_e32 v73, s15, v73
	ds_load_b32 v182, v74 offset:1056
	v_add_nc_u32_e32 v184, v147, v71
	v_and_b32_e32 v70, v70, v72
	; wave barrier
	s_delay_alu instid0(VALU_DEP_1) | instskip(NEXT) | instid1(VALU_DEP_1)
	v_and_b32_e32 v70, v70, v73
	v_mbcnt_lo_u32_b32 v183, v70, 0
	v_cmp_ne_u32_e64 s15, 0, v70
	s_delay_alu instid0(VALU_DEP_2)
	v_cmp_eq_u32_e32 vcc_lo, 0, v183
	s_and_b32 s16, s15, vcc_lo
	s_wait_alu 0xfffe
	s_and_saveexec_b32 s15, s16
	s_cbranch_execz .LBB842_444
; %bb.443:                              ;   in Loop: Header=BB842_396 Depth=2
	s_wait_dscnt 0x0
	v_bcnt_u32_b32 v70, v70, v182
	ds_store_b32 v184, v70 offset:1056
.LBB842_444:                            ;   in Loop: Header=BB842_396 Depth=2
	s_wait_alu 0xfffe
	s_or_b32 exec_lo, exec_lo, s15
	v_xor_b32_e32 v49, 0x80000000, v49
	; wave barrier
	s_delay_alu instid0(VALU_DEP_1) | instskip(NEXT) | instid1(VALU_DEP_1)
	v_lshrrev_b64 v[70:71], s48, v[48:49]
	v_and_b32_e32 v71, s55, v70
	s_delay_alu instid0(VALU_DEP_1)
	v_and_b32_e32 v70, 1, v71
	v_lshlrev_b32_e32 v72, 30, v71
	v_lshlrev_b32_e32 v73, 29, v71
	;; [unrolled: 1-line block ×4, first 2 shown]
	v_add_co_u32 v70, s15, v70, -1
	s_wait_alu 0xf1ff
	v_cndmask_b32_e64 v75, 0, 1, s15
	v_not_b32_e32 v186, v72
	v_cmp_gt_i32_e64 s15, 0, v72
	v_not_b32_e32 v72, v73
	v_lshlrev_b32_e32 v77, 26, v71
	v_cmp_ne_u32_e32 vcc_lo, 0, v75
	v_ashrrev_i32_e32 v186, 31, v186
	v_lshlrev_b32_e32 v185, 25, v71
	v_ashrrev_i32_e32 v72, 31, v72
	v_lshlrev_b32_e32 v75, 24, v71
	s_wait_alu 0xfffd
	v_xor_b32_e32 v70, vcc_lo, v70
	v_cmp_gt_i32_e32 vcc_lo, 0, v73
	v_not_b32_e32 v73, v74
	s_wait_alu 0xf1ff
	v_xor_b32_e32 v186, s15, v186
	v_cmp_gt_i32_e64 s15, 0, v74
	v_and_b32_e32 v70, exec_lo, v70
	v_not_b32_e32 v74, v76
	v_ashrrev_i32_e32 v73, 31, v73
	s_wait_alu 0xfffd
	v_xor_b32_e32 v72, vcc_lo, v72
	v_cmp_gt_i32_e32 vcc_lo, 0, v76
	v_and_b32_e32 v70, v70, v186
	v_not_b32_e32 v76, v77
	v_ashrrev_i32_e32 v74, 31, v74
	s_wait_alu 0xf1ff
	v_xor_b32_e32 v73, s15, v73
	v_cmp_gt_i32_e64 s15, 0, v77
	v_and_b32_e32 v70, v70, v72
	v_not_b32_e32 v72, v185
	v_ashrrev_i32_e32 v76, 31, v76
	s_wait_alu 0xfffd
	v_xor_b32_e32 v74, vcc_lo, v74
	v_cmp_gt_i32_e32 vcc_lo, 0, v185
	v_and_b32_e32 v70, v70, v73
	v_not_b32_e32 v73, v75
	v_ashrrev_i32_e32 v72, 31, v72
	s_wait_alu 0xf1ff
	v_xor_b32_e32 v76, s15, v76
	v_cmp_gt_i32_e64 s15, 0, v75
	v_and_b32_e32 v70, v70, v74
	v_ashrrev_i32_e32 v73, 31, v73
	s_wait_alu 0xfffd
	v_xor_b32_e32 v72, vcc_lo, v72
	v_mad_u32_u24 v74, v71, 36, v147
	v_mul_u32_u24_e32 v71, 36, v71
	v_and_b32_e32 v70, v70, v76
	s_wait_alu 0xf1ff
	v_xor_b32_e32 v73, s15, v73
	ds_load_b32 v185, v74 offset:1056
	v_add_nc_u32_e32 v187, v147, v71
	v_and_b32_e32 v70, v70, v72
	; wave barrier
	s_delay_alu instid0(VALU_DEP_1) | instskip(NEXT) | instid1(VALU_DEP_1)
	v_and_b32_e32 v70, v70, v73
	v_mbcnt_lo_u32_b32 v186, v70, 0
	v_cmp_ne_u32_e64 s15, 0, v70
	s_delay_alu instid0(VALU_DEP_2)
	v_cmp_eq_u32_e32 vcc_lo, 0, v186
	s_and_b32 s16, s15, vcc_lo
	s_wait_alu 0xfffe
	s_and_saveexec_b32 s15, s16
	s_cbranch_execz .LBB842_446
; %bb.445:                              ;   in Loop: Header=BB842_396 Depth=2
	s_wait_dscnt 0x0
	v_bcnt_u32_b32 v70, v70, v185
	ds_store_b32 v187, v70 offset:1056
.LBB842_446:                            ;   in Loop: Header=BB842_396 Depth=2
	s_wait_alu 0xfffe
	s_or_b32 exec_lo, exec_lo, s15
	v_xor_b32_e32 v53, 0x80000000, v53
	; wave barrier
	s_delay_alu instid0(VALU_DEP_1) | instskip(NEXT) | instid1(VALU_DEP_1)
	v_lshrrev_b64 v[70:71], s48, v[52:53]
	v_and_b32_e32 v71, s55, v70
	s_delay_alu instid0(VALU_DEP_1)
	v_and_b32_e32 v70, 1, v71
	v_lshlrev_b32_e32 v72, 30, v71
	v_lshlrev_b32_e32 v73, 29, v71
	;; [unrolled: 1-line block ×4, first 2 shown]
	v_add_co_u32 v70, s15, v70, -1
	s_wait_alu 0xf1ff
	v_cndmask_b32_e64 v75, 0, 1, s15
	v_not_b32_e32 v189, v72
	v_cmp_gt_i32_e64 s15, 0, v72
	v_not_b32_e32 v72, v73
	v_lshlrev_b32_e32 v77, 26, v71
	v_cmp_ne_u32_e32 vcc_lo, 0, v75
	v_ashrrev_i32_e32 v189, 31, v189
	v_lshlrev_b32_e32 v188, 25, v71
	v_ashrrev_i32_e32 v72, 31, v72
	v_lshlrev_b32_e32 v75, 24, v71
	s_wait_alu 0xfffd
	v_xor_b32_e32 v70, vcc_lo, v70
	v_cmp_gt_i32_e32 vcc_lo, 0, v73
	v_not_b32_e32 v73, v74
	s_wait_alu 0xf1ff
	v_xor_b32_e32 v189, s15, v189
	v_cmp_gt_i32_e64 s15, 0, v74
	v_and_b32_e32 v70, exec_lo, v70
	v_not_b32_e32 v74, v76
	v_ashrrev_i32_e32 v73, 31, v73
	s_wait_alu 0xfffd
	v_xor_b32_e32 v72, vcc_lo, v72
	v_cmp_gt_i32_e32 vcc_lo, 0, v76
	v_and_b32_e32 v70, v70, v189
	v_not_b32_e32 v76, v77
	v_ashrrev_i32_e32 v74, 31, v74
	s_wait_alu 0xf1ff
	v_xor_b32_e32 v73, s15, v73
	v_cmp_gt_i32_e64 s15, 0, v77
	v_and_b32_e32 v70, v70, v72
	v_not_b32_e32 v72, v188
	v_ashrrev_i32_e32 v76, 31, v76
	s_wait_alu 0xfffd
	v_xor_b32_e32 v74, vcc_lo, v74
	v_cmp_gt_i32_e32 vcc_lo, 0, v188
	v_and_b32_e32 v70, v70, v73
	v_not_b32_e32 v73, v75
	v_ashrrev_i32_e32 v72, 31, v72
	s_wait_alu 0xf1ff
	v_xor_b32_e32 v76, s15, v76
	v_cmp_gt_i32_e64 s15, 0, v75
	v_and_b32_e32 v70, v70, v74
	v_ashrrev_i32_e32 v73, 31, v73
	s_wait_alu 0xfffd
	v_xor_b32_e32 v72, vcc_lo, v72
	v_mad_u32_u24 v74, v71, 36, v147
	v_mul_u32_u24_e32 v71, 36, v71
	v_and_b32_e32 v70, v70, v76
	s_wait_alu 0xf1ff
	v_xor_b32_e32 v73, s15, v73
	ds_load_b32 v188, v74 offset:1056
	v_add_nc_u32_e32 v190, v147, v71
	v_and_b32_e32 v70, v70, v72
	; wave barrier
	s_delay_alu instid0(VALU_DEP_1) | instskip(NEXT) | instid1(VALU_DEP_1)
	v_and_b32_e32 v70, v70, v73
	v_mbcnt_lo_u32_b32 v189, v70, 0
	v_cmp_ne_u32_e64 s15, 0, v70
	s_delay_alu instid0(VALU_DEP_2)
	v_cmp_eq_u32_e32 vcc_lo, 0, v189
	s_and_b32 s16, s15, vcc_lo
	s_wait_alu 0xfffe
	s_and_saveexec_b32 s15, s16
	s_cbranch_execz .LBB842_448
; %bb.447:                              ;   in Loop: Header=BB842_396 Depth=2
	s_wait_dscnt 0x0
	v_bcnt_u32_b32 v70, v70, v188
	ds_store_b32 v190, v70 offset:1056
.LBB842_448:                            ;   in Loop: Header=BB842_396 Depth=2
	s_wait_alu 0xfffe
	s_or_b32 exec_lo, exec_lo, s15
	v_xor_b32_e32 v55, 0x80000000, v55
	; wave barrier
	s_delay_alu instid0(VALU_DEP_1) | instskip(NEXT) | instid1(VALU_DEP_1)
	v_lshrrev_b64 v[70:71], s48, v[54:55]
	v_and_b32_e32 v71, s55, v70
	s_delay_alu instid0(VALU_DEP_1)
	v_and_b32_e32 v70, 1, v71
	v_lshlrev_b32_e32 v72, 30, v71
	v_lshlrev_b32_e32 v73, 29, v71
	v_lshlrev_b32_e32 v74, 28, v71
	v_lshlrev_b32_e32 v76, 27, v71
	v_add_co_u32 v70, s15, v70, -1
	s_wait_alu 0xf1ff
	v_cndmask_b32_e64 v75, 0, 1, s15
	v_not_b32_e32 v192, v72
	v_cmp_gt_i32_e64 s15, 0, v72
	v_not_b32_e32 v72, v73
	v_lshlrev_b32_e32 v77, 26, v71
	v_cmp_ne_u32_e32 vcc_lo, 0, v75
	v_ashrrev_i32_e32 v192, 31, v192
	v_lshlrev_b32_e32 v191, 25, v71
	v_ashrrev_i32_e32 v72, 31, v72
	v_lshlrev_b32_e32 v75, 24, v71
	s_wait_alu 0xfffd
	v_xor_b32_e32 v70, vcc_lo, v70
	v_cmp_gt_i32_e32 vcc_lo, 0, v73
	v_not_b32_e32 v73, v74
	s_wait_alu 0xf1ff
	v_xor_b32_e32 v192, s15, v192
	v_cmp_gt_i32_e64 s15, 0, v74
	v_and_b32_e32 v70, exec_lo, v70
	v_not_b32_e32 v74, v76
	v_ashrrev_i32_e32 v73, 31, v73
	s_wait_alu 0xfffd
	v_xor_b32_e32 v72, vcc_lo, v72
	v_cmp_gt_i32_e32 vcc_lo, 0, v76
	v_and_b32_e32 v70, v70, v192
	v_not_b32_e32 v76, v77
	v_ashrrev_i32_e32 v74, 31, v74
	s_wait_alu 0xf1ff
	v_xor_b32_e32 v73, s15, v73
	v_cmp_gt_i32_e64 s15, 0, v77
	v_and_b32_e32 v70, v70, v72
	v_not_b32_e32 v72, v191
	v_ashrrev_i32_e32 v76, 31, v76
	s_wait_alu 0xfffd
	v_xor_b32_e32 v74, vcc_lo, v74
	v_cmp_gt_i32_e32 vcc_lo, 0, v191
	v_and_b32_e32 v70, v70, v73
	v_not_b32_e32 v73, v75
	v_ashrrev_i32_e32 v72, 31, v72
	s_wait_alu 0xf1ff
	v_xor_b32_e32 v76, s15, v76
	v_cmp_gt_i32_e64 s15, 0, v75
	v_and_b32_e32 v70, v70, v74
	v_ashrrev_i32_e32 v73, 31, v73
	s_wait_alu 0xfffd
	v_xor_b32_e32 v72, vcc_lo, v72
	v_mad_u32_u24 v74, v71, 36, v147
	v_mul_u32_u24_e32 v71, 36, v71
	v_and_b32_e32 v70, v70, v76
	s_wait_alu 0xf1ff
	v_xor_b32_e32 v73, s15, v73
	ds_load_b32 v191, v74 offset:1056
	v_add_nc_u32_e32 v193, v147, v71
	v_and_b32_e32 v70, v70, v72
	; wave barrier
	s_delay_alu instid0(VALU_DEP_1) | instskip(NEXT) | instid1(VALU_DEP_1)
	v_and_b32_e32 v70, v70, v73
	v_mbcnt_lo_u32_b32 v192, v70, 0
	v_cmp_ne_u32_e64 s15, 0, v70
	s_delay_alu instid0(VALU_DEP_2)
	v_cmp_eq_u32_e32 vcc_lo, 0, v192
	s_and_b32 s16, s15, vcc_lo
	s_wait_alu 0xfffe
	s_and_saveexec_b32 s15, s16
	s_cbranch_execz .LBB842_450
; %bb.449:                              ;   in Loop: Header=BB842_396 Depth=2
	s_wait_dscnt 0x0
	v_bcnt_u32_b32 v70, v70, v191
	ds_store_b32 v193, v70 offset:1056
.LBB842_450:                            ;   in Loop: Header=BB842_396 Depth=2
	s_wait_alu 0xfffe
	s_or_b32 exec_lo, exec_lo, s15
	v_xor_b32_e32 v57, 0x80000000, v57
	; wave barrier
	s_delay_alu instid0(VALU_DEP_1) | instskip(NEXT) | instid1(VALU_DEP_1)
	v_lshrrev_b64 v[70:71], s48, v[56:57]
	v_and_b32_e32 v71, s55, v70
	s_delay_alu instid0(VALU_DEP_1)
	v_and_b32_e32 v70, 1, v71
	v_lshlrev_b32_e32 v72, 30, v71
	v_lshlrev_b32_e32 v73, 29, v71
	;; [unrolled: 1-line block ×4, first 2 shown]
	v_add_co_u32 v70, s15, v70, -1
	s_wait_alu 0xf1ff
	v_cndmask_b32_e64 v75, 0, 1, s15
	v_not_b32_e32 v195, v72
	v_cmp_gt_i32_e64 s15, 0, v72
	v_not_b32_e32 v72, v73
	v_lshlrev_b32_e32 v77, 26, v71
	v_cmp_ne_u32_e32 vcc_lo, 0, v75
	v_ashrrev_i32_e32 v195, 31, v195
	v_lshlrev_b32_e32 v194, 25, v71
	v_ashrrev_i32_e32 v72, 31, v72
	v_lshlrev_b32_e32 v75, 24, v71
	s_wait_alu 0xfffd
	v_xor_b32_e32 v70, vcc_lo, v70
	v_cmp_gt_i32_e32 vcc_lo, 0, v73
	v_not_b32_e32 v73, v74
	s_wait_alu 0xf1ff
	v_xor_b32_e32 v195, s15, v195
	v_cmp_gt_i32_e64 s15, 0, v74
	v_and_b32_e32 v70, exec_lo, v70
	v_not_b32_e32 v74, v76
	v_ashrrev_i32_e32 v73, 31, v73
	s_wait_alu 0xfffd
	v_xor_b32_e32 v72, vcc_lo, v72
	v_cmp_gt_i32_e32 vcc_lo, 0, v76
	v_and_b32_e32 v70, v70, v195
	v_not_b32_e32 v76, v77
	v_ashrrev_i32_e32 v74, 31, v74
	s_wait_alu 0xf1ff
	v_xor_b32_e32 v73, s15, v73
	v_cmp_gt_i32_e64 s15, 0, v77
	v_and_b32_e32 v70, v70, v72
	v_not_b32_e32 v72, v194
	v_ashrrev_i32_e32 v76, 31, v76
	s_wait_alu 0xfffd
	v_xor_b32_e32 v74, vcc_lo, v74
	v_cmp_gt_i32_e32 vcc_lo, 0, v194
	v_and_b32_e32 v70, v70, v73
	v_not_b32_e32 v73, v75
	v_ashrrev_i32_e32 v72, 31, v72
	s_wait_alu 0xf1ff
	v_xor_b32_e32 v76, s15, v76
	v_cmp_gt_i32_e64 s15, 0, v75
	v_and_b32_e32 v70, v70, v74
	v_ashrrev_i32_e32 v73, 31, v73
	s_wait_alu 0xfffd
	v_xor_b32_e32 v72, vcc_lo, v72
	v_mad_u32_u24 v74, v71, 36, v147
	v_mul_u32_u24_e32 v71, 36, v71
	v_and_b32_e32 v70, v70, v76
	s_wait_alu 0xf1ff
	v_xor_b32_e32 v73, s15, v73
	ds_load_b32 v194, v74 offset:1056
	v_add_nc_u32_e32 v196, v147, v71
	v_and_b32_e32 v70, v70, v72
	; wave barrier
	s_delay_alu instid0(VALU_DEP_1) | instskip(NEXT) | instid1(VALU_DEP_1)
	v_and_b32_e32 v70, v70, v73
	v_mbcnt_lo_u32_b32 v195, v70, 0
	v_cmp_ne_u32_e64 s15, 0, v70
	s_delay_alu instid0(VALU_DEP_2)
	v_cmp_eq_u32_e32 vcc_lo, 0, v195
	s_and_b32 s16, s15, vcc_lo
	s_wait_alu 0xfffe
	s_and_saveexec_b32 s15, s16
	s_cbranch_execz .LBB842_452
; %bb.451:                              ;   in Loop: Header=BB842_396 Depth=2
	s_wait_dscnt 0x0
	v_bcnt_u32_b32 v70, v70, v194
	ds_store_b32 v196, v70 offset:1056
.LBB842_452:                            ;   in Loop: Header=BB842_396 Depth=2
	s_wait_alu 0xfffe
	s_or_b32 exec_lo, exec_lo, s15
	v_xor_b32_e32 v61, 0x80000000, v61
	; wave barrier
	s_delay_alu instid0(VALU_DEP_1) | instskip(NEXT) | instid1(VALU_DEP_1)
	v_lshrrev_b64 v[70:71], s48, v[60:61]
	v_and_b32_e32 v71, s55, v70
	s_delay_alu instid0(VALU_DEP_1)
	v_and_b32_e32 v70, 1, v71
	v_lshlrev_b32_e32 v72, 30, v71
	v_lshlrev_b32_e32 v73, 29, v71
	;; [unrolled: 1-line block ×4, first 2 shown]
	v_add_co_u32 v70, s15, v70, -1
	s_wait_alu 0xf1ff
	v_cndmask_b32_e64 v75, 0, 1, s15
	v_not_b32_e32 v198, v72
	v_cmp_gt_i32_e64 s15, 0, v72
	v_not_b32_e32 v72, v73
	v_lshlrev_b32_e32 v77, 26, v71
	v_cmp_ne_u32_e32 vcc_lo, 0, v75
	v_ashrrev_i32_e32 v198, 31, v198
	v_lshlrev_b32_e32 v197, 25, v71
	v_ashrrev_i32_e32 v72, 31, v72
	v_lshlrev_b32_e32 v75, 24, v71
	s_wait_alu 0xfffd
	v_xor_b32_e32 v70, vcc_lo, v70
	v_cmp_gt_i32_e32 vcc_lo, 0, v73
	v_not_b32_e32 v73, v74
	s_wait_alu 0xf1ff
	v_xor_b32_e32 v198, s15, v198
	v_cmp_gt_i32_e64 s15, 0, v74
	v_and_b32_e32 v70, exec_lo, v70
	v_not_b32_e32 v74, v76
	v_ashrrev_i32_e32 v73, 31, v73
	s_wait_alu 0xfffd
	v_xor_b32_e32 v72, vcc_lo, v72
	v_cmp_gt_i32_e32 vcc_lo, 0, v76
	v_and_b32_e32 v70, v70, v198
	v_not_b32_e32 v76, v77
	v_ashrrev_i32_e32 v74, 31, v74
	s_wait_alu 0xf1ff
	v_xor_b32_e32 v73, s15, v73
	v_cmp_gt_i32_e64 s15, 0, v77
	v_and_b32_e32 v70, v70, v72
	v_not_b32_e32 v72, v197
	v_ashrrev_i32_e32 v76, 31, v76
	s_wait_alu 0xfffd
	v_xor_b32_e32 v74, vcc_lo, v74
	v_cmp_gt_i32_e32 vcc_lo, 0, v197
	v_and_b32_e32 v70, v70, v73
	v_not_b32_e32 v73, v75
	v_ashrrev_i32_e32 v72, 31, v72
	s_wait_alu 0xf1ff
	v_xor_b32_e32 v76, s15, v76
	v_cmp_gt_i32_e64 s15, 0, v75
	v_and_b32_e32 v70, v70, v74
	v_ashrrev_i32_e32 v73, 31, v73
	s_wait_alu 0xfffd
	v_xor_b32_e32 v72, vcc_lo, v72
	v_mad_u32_u24 v74, v71, 36, v147
	v_mul_u32_u24_e32 v71, 36, v71
	v_and_b32_e32 v70, v70, v76
	s_wait_alu 0xf1ff
	v_xor_b32_e32 v73, s15, v73
	ds_load_b32 v197, v74 offset:1056
	v_add_nc_u32_e32 v199, v147, v71
	v_and_b32_e32 v70, v70, v72
	; wave barrier
	s_delay_alu instid0(VALU_DEP_1) | instskip(NEXT) | instid1(VALU_DEP_1)
	v_and_b32_e32 v70, v70, v73
	v_mbcnt_lo_u32_b32 v198, v70, 0
	v_cmp_ne_u32_e64 s15, 0, v70
	s_delay_alu instid0(VALU_DEP_2)
	v_cmp_eq_u32_e32 vcc_lo, 0, v198
	s_and_b32 s16, s15, vcc_lo
	s_wait_alu 0xfffe
	s_and_saveexec_b32 s15, s16
	s_cbranch_execz .LBB842_454
; %bb.453:                              ;   in Loop: Header=BB842_396 Depth=2
	s_wait_dscnt 0x0
	v_bcnt_u32_b32 v70, v70, v197
	ds_store_b32 v199, v70 offset:1056
.LBB842_454:                            ;   in Loop: Header=BB842_396 Depth=2
	s_wait_alu 0xfffe
	s_or_b32 exec_lo, exec_lo, s15
	v_xor_b32_e32 v59, 0x80000000, v59
	; wave barrier
	s_delay_alu instid0(VALU_DEP_1) | instskip(NEXT) | instid1(VALU_DEP_1)
	v_lshrrev_b64 v[70:71], s48, v[58:59]
	v_and_b32_e32 v71, s55, v70
	s_delay_alu instid0(VALU_DEP_1)
	v_and_b32_e32 v70, 1, v71
	v_lshlrev_b32_e32 v72, 30, v71
	v_lshlrev_b32_e32 v73, 29, v71
	;; [unrolled: 1-line block ×4, first 2 shown]
	v_add_co_u32 v70, s15, v70, -1
	s_wait_alu 0xf1ff
	v_cndmask_b32_e64 v75, 0, 1, s15
	v_not_b32_e32 v201, v72
	v_cmp_gt_i32_e64 s15, 0, v72
	v_not_b32_e32 v72, v73
	v_lshlrev_b32_e32 v77, 26, v71
	v_cmp_ne_u32_e32 vcc_lo, 0, v75
	v_ashrrev_i32_e32 v201, 31, v201
	v_lshlrev_b32_e32 v200, 25, v71
	v_ashrrev_i32_e32 v72, 31, v72
	v_lshlrev_b32_e32 v75, 24, v71
	s_wait_alu 0xfffd
	v_xor_b32_e32 v70, vcc_lo, v70
	v_cmp_gt_i32_e32 vcc_lo, 0, v73
	v_not_b32_e32 v73, v74
	s_wait_alu 0xf1ff
	v_xor_b32_e32 v201, s15, v201
	v_cmp_gt_i32_e64 s15, 0, v74
	v_and_b32_e32 v70, exec_lo, v70
	v_not_b32_e32 v74, v76
	v_ashrrev_i32_e32 v73, 31, v73
	s_wait_alu 0xfffd
	v_xor_b32_e32 v72, vcc_lo, v72
	v_cmp_gt_i32_e32 vcc_lo, 0, v76
	v_and_b32_e32 v70, v70, v201
	v_not_b32_e32 v76, v77
	v_ashrrev_i32_e32 v74, 31, v74
	s_wait_alu 0xf1ff
	v_xor_b32_e32 v73, s15, v73
	v_cmp_gt_i32_e64 s15, 0, v77
	v_and_b32_e32 v70, v70, v72
	v_not_b32_e32 v72, v200
	v_ashrrev_i32_e32 v76, 31, v76
	s_wait_alu 0xfffd
	v_xor_b32_e32 v74, vcc_lo, v74
	v_cmp_gt_i32_e32 vcc_lo, 0, v200
	v_and_b32_e32 v70, v70, v73
	v_not_b32_e32 v73, v75
	v_ashrrev_i32_e32 v72, 31, v72
	s_wait_alu 0xf1ff
	v_xor_b32_e32 v76, s15, v76
	v_cmp_gt_i32_e64 s15, 0, v75
	v_and_b32_e32 v70, v70, v74
	v_ashrrev_i32_e32 v73, 31, v73
	s_wait_alu 0xfffd
	v_xor_b32_e32 v72, vcc_lo, v72
	v_mad_u32_u24 v74, v71, 36, v147
	v_mul_u32_u24_e32 v71, 36, v71
	v_and_b32_e32 v70, v70, v76
	s_wait_alu 0xf1ff
	v_xor_b32_e32 v73, s15, v73
	ds_load_b32 v200, v74 offset:1056
	v_add_nc_u32_e32 v202, v147, v71
	v_and_b32_e32 v70, v70, v72
	; wave barrier
	s_delay_alu instid0(VALU_DEP_1) | instskip(NEXT) | instid1(VALU_DEP_1)
	v_and_b32_e32 v70, v70, v73
	v_mbcnt_lo_u32_b32 v201, v70, 0
	v_cmp_ne_u32_e64 s15, 0, v70
	s_delay_alu instid0(VALU_DEP_2)
	v_cmp_eq_u32_e32 vcc_lo, 0, v201
	s_and_b32 s16, s15, vcc_lo
	s_wait_alu 0xfffe
	s_and_saveexec_b32 s15, s16
	s_cbranch_execz .LBB842_456
; %bb.455:                              ;   in Loop: Header=BB842_396 Depth=2
	s_wait_dscnt 0x0
	v_bcnt_u32_b32 v70, v70, v200
	ds_store_b32 v202, v70 offset:1056
.LBB842_456:                            ;   in Loop: Header=BB842_396 Depth=2
	s_wait_alu 0xfffe
	s_or_b32 exec_lo, exec_lo, s15
	v_xor_b32_e32 v63, 0x80000000, v63
	; wave barrier
	s_delay_alu instid0(VALU_DEP_1) | instskip(NEXT) | instid1(VALU_DEP_1)
	v_lshrrev_b64 v[70:71], s48, v[62:63]
	v_and_b32_e32 v71, s55, v70
	s_delay_alu instid0(VALU_DEP_1)
	v_and_b32_e32 v70, 1, v71
	v_lshlrev_b32_e32 v72, 30, v71
	v_lshlrev_b32_e32 v73, 29, v71
	;; [unrolled: 1-line block ×4, first 2 shown]
	v_add_co_u32 v70, s15, v70, -1
	s_wait_alu 0xf1ff
	v_cndmask_b32_e64 v75, 0, 1, s15
	v_not_b32_e32 v204, v72
	v_cmp_gt_i32_e64 s15, 0, v72
	v_not_b32_e32 v72, v73
	v_lshlrev_b32_e32 v77, 26, v71
	v_cmp_ne_u32_e32 vcc_lo, 0, v75
	v_ashrrev_i32_e32 v204, 31, v204
	v_lshlrev_b32_e32 v203, 25, v71
	v_ashrrev_i32_e32 v72, 31, v72
	v_lshlrev_b32_e32 v75, 24, v71
	s_wait_alu 0xfffd
	v_xor_b32_e32 v70, vcc_lo, v70
	v_cmp_gt_i32_e32 vcc_lo, 0, v73
	v_not_b32_e32 v73, v74
	s_wait_alu 0xf1ff
	v_xor_b32_e32 v204, s15, v204
	v_cmp_gt_i32_e64 s15, 0, v74
	v_and_b32_e32 v70, exec_lo, v70
	v_not_b32_e32 v74, v76
	v_ashrrev_i32_e32 v73, 31, v73
	s_wait_alu 0xfffd
	v_xor_b32_e32 v72, vcc_lo, v72
	v_cmp_gt_i32_e32 vcc_lo, 0, v76
	v_and_b32_e32 v70, v70, v204
	v_not_b32_e32 v76, v77
	v_ashrrev_i32_e32 v74, 31, v74
	s_wait_alu 0xf1ff
	v_xor_b32_e32 v73, s15, v73
	v_cmp_gt_i32_e64 s15, 0, v77
	v_and_b32_e32 v70, v70, v72
	v_not_b32_e32 v72, v203
	v_ashrrev_i32_e32 v76, 31, v76
	s_wait_alu 0xfffd
	v_xor_b32_e32 v74, vcc_lo, v74
	v_cmp_gt_i32_e32 vcc_lo, 0, v203
	v_and_b32_e32 v70, v70, v73
	v_not_b32_e32 v73, v75
	v_ashrrev_i32_e32 v72, 31, v72
	s_wait_alu 0xf1ff
	v_xor_b32_e32 v76, s15, v76
	v_cmp_gt_i32_e64 s15, 0, v75
	v_and_b32_e32 v70, v70, v74
	v_ashrrev_i32_e32 v73, 31, v73
	s_wait_alu 0xfffd
	v_xor_b32_e32 v72, vcc_lo, v72
	v_mad_u32_u24 v74, v71, 36, v147
	v_mul_u32_u24_e32 v71, 36, v71
	v_and_b32_e32 v70, v70, v76
	s_wait_alu 0xf1ff
	v_xor_b32_e32 v73, s15, v73
	ds_load_b32 v203, v74 offset:1056
	v_add_nc_u32_e32 v206, v147, v71
	v_and_b32_e32 v70, v70, v72
	; wave barrier
	s_delay_alu instid0(VALU_DEP_1) | instskip(NEXT) | instid1(VALU_DEP_1)
	v_and_b32_e32 v70, v70, v73
	v_mbcnt_lo_u32_b32 v204, v70, 0
	v_cmp_ne_u32_e64 s15, 0, v70
	s_delay_alu instid0(VALU_DEP_2)
	v_cmp_eq_u32_e32 vcc_lo, 0, v204
	s_and_b32 s16, s15, vcc_lo
	s_wait_alu 0xfffe
	s_and_saveexec_b32 s15, s16
	s_cbranch_execz .LBB842_458
; %bb.457:                              ;   in Loop: Header=BB842_396 Depth=2
	s_wait_dscnt 0x0
	v_bcnt_u32_b32 v70, v70, v203
	ds_store_b32 v206, v70 offset:1056
.LBB842_458:                            ;   in Loop: Header=BB842_396 Depth=2
	s_wait_alu 0xfffe
	s_or_b32 exec_lo, exec_lo, s15
	v_xor_b32_e32 v65, 0x80000000, v65
	; wave barrier
	s_delay_alu instid0(VALU_DEP_1) | instskip(NEXT) | instid1(VALU_DEP_1)
	v_lshrrev_b64 v[70:71], s48, v[64:65]
	v_and_b32_e32 v71, s55, v70
	s_delay_alu instid0(VALU_DEP_1)
	v_and_b32_e32 v70, 1, v71
	v_lshlrev_b32_e32 v72, 30, v71
	v_lshlrev_b32_e32 v73, 29, v71
	v_lshlrev_b32_e32 v74, 28, v71
	v_lshlrev_b32_e32 v76, 27, v71
	v_add_co_u32 v70, s15, v70, -1
	s_wait_alu 0xf1ff
	v_cndmask_b32_e64 v75, 0, 1, s15
	v_not_b32_e32 v207, v72
	v_cmp_gt_i32_e64 s15, 0, v72
	v_not_b32_e32 v72, v73
	v_lshlrev_b32_e32 v77, 26, v71
	v_cmp_ne_u32_e32 vcc_lo, 0, v75
	v_ashrrev_i32_e32 v207, 31, v207
	v_lshlrev_b32_e32 v205, 25, v71
	v_ashrrev_i32_e32 v72, 31, v72
	v_lshlrev_b32_e32 v75, 24, v71
	s_wait_alu 0xfffd
	v_xor_b32_e32 v70, vcc_lo, v70
	v_cmp_gt_i32_e32 vcc_lo, 0, v73
	v_not_b32_e32 v73, v74
	s_wait_alu 0xf1ff
	v_xor_b32_e32 v207, s15, v207
	v_cmp_gt_i32_e64 s15, 0, v74
	v_and_b32_e32 v70, exec_lo, v70
	v_not_b32_e32 v74, v76
	v_ashrrev_i32_e32 v73, 31, v73
	s_wait_alu 0xfffd
	v_xor_b32_e32 v72, vcc_lo, v72
	v_cmp_gt_i32_e32 vcc_lo, 0, v76
	v_and_b32_e32 v70, v70, v207
	v_not_b32_e32 v76, v77
	v_ashrrev_i32_e32 v74, 31, v74
	s_wait_alu 0xf1ff
	v_xor_b32_e32 v73, s15, v73
	v_cmp_gt_i32_e64 s15, 0, v77
	v_and_b32_e32 v70, v70, v72
	v_not_b32_e32 v72, v205
	v_ashrrev_i32_e32 v76, 31, v76
	s_wait_alu 0xfffd
	v_xor_b32_e32 v74, vcc_lo, v74
	v_cmp_gt_i32_e32 vcc_lo, 0, v205
	v_and_b32_e32 v70, v70, v73
	v_not_b32_e32 v73, v75
	v_ashrrev_i32_e32 v72, 31, v72
	s_wait_alu 0xf1ff
	v_xor_b32_e32 v76, s15, v76
	v_cmp_gt_i32_e64 s15, 0, v75
	v_and_b32_e32 v70, v70, v74
	v_ashrrev_i32_e32 v73, 31, v73
	s_wait_alu 0xfffd
	v_xor_b32_e32 v72, vcc_lo, v72
	v_mad_u32_u24 v74, v71, 36, v147
	v_mul_u32_u24_e32 v71, 36, v71
	v_and_b32_e32 v70, v70, v76
	s_wait_alu 0xf1ff
	v_xor_b32_e32 v73, s15, v73
	ds_load_b32 v205, v74 offset:1056
	v_add_nc_u32_e32 v209, v147, v71
	v_and_b32_e32 v70, v70, v72
	; wave barrier
	s_delay_alu instid0(VALU_DEP_1) | instskip(NEXT) | instid1(VALU_DEP_1)
	v_and_b32_e32 v70, v70, v73
	v_mbcnt_lo_u32_b32 v207, v70, 0
	v_cmp_ne_u32_e64 s15, 0, v70
	s_delay_alu instid0(VALU_DEP_2)
	v_cmp_eq_u32_e32 vcc_lo, 0, v207
	s_and_b32 s16, s15, vcc_lo
	s_wait_alu 0xfffe
	s_and_saveexec_b32 s15, s16
	s_cbranch_execz .LBB842_460
; %bb.459:                              ;   in Loop: Header=BB842_396 Depth=2
	s_wait_dscnt 0x0
	v_bcnt_u32_b32 v70, v70, v205
	ds_store_b32 v209, v70 offset:1056
.LBB842_460:                            ;   in Loop: Header=BB842_396 Depth=2
	s_wait_alu 0xfffe
	s_or_b32 exec_lo, exec_lo, s15
	v_xor_b32_e32 v67, 0x80000000, v67
	; wave barrier
	s_delay_alu instid0(VALU_DEP_1) | instskip(NEXT) | instid1(VALU_DEP_1)
	v_lshrrev_b64 v[70:71], s48, v[66:67]
	v_and_b32_e32 v71, s55, v70
	s_delay_alu instid0(VALU_DEP_1)
	v_and_b32_e32 v70, 1, v71
	v_lshlrev_b32_e32 v72, 30, v71
	v_lshlrev_b32_e32 v73, 29, v71
	;; [unrolled: 1-line block ×4, first 2 shown]
	v_add_co_u32 v70, s15, v70, -1
	s_wait_alu 0xf1ff
	v_cndmask_b32_e64 v75, 0, 1, s15
	v_not_b32_e32 v210, v72
	v_cmp_gt_i32_e64 s15, 0, v72
	v_not_b32_e32 v72, v73
	v_lshlrev_b32_e32 v77, 26, v71
	v_cmp_ne_u32_e32 vcc_lo, 0, v75
	v_ashrrev_i32_e32 v210, 31, v210
	v_lshlrev_b32_e32 v208, 25, v71
	v_ashrrev_i32_e32 v72, 31, v72
	v_lshlrev_b32_e32 v75, 24, v71
	s_wait_alu 0xfffd
	v_xor_b32_e32 v70, vcc_lo, v70
	v_cmp_gt_i32_e32 vcc_lo, 0, v73
	v_not_b32_e32 v73, v74
	s_wait_alu 0xf1ff
	v_xor_b32_e32 v210, s15, v210
	v_cmp_gt_i32_e64 s15, 0, v74
	v_and_b32_e32 v70, exec_lo, v70
	v_not_b32_e32 v74, v76
	v_ashrrev_i32_e32 v73, 31, v73
	s_wait_alu 0xfffd
	v_xor_b32_e32 v72, vcc_lo, v72
	v_cmp_gt_i32_e32 vcc_lo, 0, v76
	v_and_b32_e32 v70, v70, v210
	v_not_b32_e32 v76, v77
	v_ashrrev_i32_e32 v74, 31, v74
	s_wait_alu 0xf1ff
	v_xor_b32_e32 v73, s15, v73
	v_cmp_gt_i32_e64 s15, 0, v77
	v_and_b32_e32 v70, v70, v72
	v_not_b32_e32 v72, v208
	v_ashrrev_i32_e32 v76, 31, v76
	s_wait_alu 0xfffd
	v_xor_b32_e32 v74, vcc_lo, v74
	v_cmp_gt_i32_e32 vcc_lo, 0, v208
	v_and_b32_e32 v70, v70, v73
	v_not_b32_e32 v73, v75
	v_ashrrev_i32_e32 v72, 31, v72
	s_wait_alu 0xf1ff
	v_xor_b32_e32 v76, s15, v76
	v_cmp_gt_i32_e64 s15, 0, v75
	v_and_b32_e32 v70, v70, v74
	v_ashrrev_i32_e32 v73, 31, v73
	s_wait_alu 0xfffd
	v_xor_b32_e32 v72, vcc_lo, v72
	v_mad_u32_u24 v74, v71, 36, v147
	v_mul_u32_u24_e32 v71, 36, v71
	v_and_b32_e32 v70, v70, v76
	s_wait_alu 0xf1ff
	v_xor_b32_e32 v73, s15, v73
	ds_load_b32 v208, v74 offset:1056
	v_add_nc_u32_e32 v213, v147, v71
	v_and_b32_e32 v70, v70, v72
	; wave barrier
	s_delay_alu instid0(VALU_DEP_1) | instskip(NEXT) | instid1(VALU_DEP_1)
	v_and_b32_e32 v70, v70, v73
	v_mbcnt_lo_u32_b32 v210, v70, 0
	v_cmp_ne_u32_e64 s15, 0, v70
	s_delay_alu instid0(VALU_DEP_2)
	v_cmp_eq_u32_e32 vcc_lo, 0, v210
	s_and_b32 s16, s15, vcc_lo
	s_wait_alu 0xfffe
	s_and_saveexec_b32 s15, s16
	s_cbranch_execz .LBB842_462
; %bb.461:                              ;   in Loop: Header=BB842_396 Depth=2
	s_wait_dscnt 0x0
	v_bcnt_u32_b32 v70, v70, v208
	ds_store_b32 v213, v70 offset:1056
.LBB842_462:                            ;   in Loop: Header=BB842_396 Depth=2
	s_wait_alu 0xfffe
	s_or_b32 exec_lo, exec_lo, s15
	v_lshrrev_b64 v[70:71], s48, v[68:69]
	; wave barrier
	s_delay_alu instid0(VALU_DEP_1) | instskip(NEXT) | instid1(VALU_DEP_1)
	v_and_b32_e32 v71, s55, v70
	v_and_b32_e32 v70, 1, v71
	v_lshlrev_b32_e32 v72, 30, v71
	v_lshlrev_b32_e32 v73, 29, v71
	;; [unrolled: 1-line block ×4, first 2 shown]
	v_add_co_u32 v70, s15, v70, -1
	s_wait_alu 0xf1ff
	v_cndmask_b32_e64 v75, 0, 1, s15
	v_not_b32_e32 v212, v72
	v_cmp_gt_i32_e64 s15, 0, v72
	v_not_b32_e32 v72, v73
	v_lshlrev_b32_e32 v77, 26, v71
	v_cmp_ne_u32_e32 vcc_lo, 0, v75
	v_ashrrev_i32_e32 v212, 31, v212
	v_lshlrev_b32_e32 v211, 25, v71
	v_ashrrev_i32_e32 v72, 31, v72
	v_lshlrev_b32_e32 v75, 24, v71
	s_wait_alu 0xfffd
	v_xor_b32_e32 v70, vcc_lo, v70
	v_cmp_gt_i32_e32 vcc_lo, 0, v73
	v_not_b32_e32 v73, v74
	s_wait_alu 0xf1ff
	v_xor_b32_e32 v212, s15, v212
	v_cmp_gt_i32_e64 s15, 0, v74
	v_and_b32_e32 v70, exec_lo, v70
	v_not_b32_e32 v74, v76
	v_ashrrev_i32_e32 v73, 31, v73
	s_wait_alu 0xfffd
	v_xor_b32_e32 v72, vcc_lo, v72
	v_cmp_gt_i32_e32 vcc_lo, 0, v76
	v_and_b32_e32 v70, v70, v212
	v_not_b32_e32 v76, v77
	v_ashrrev_i32_e32 v74, 31, v74
	s_wait_alu 0xf1ff
	v_xor_b32_e32 v73, s15, v73
	v_cmp_gt_i32_e64 s15, 0, v77
	v_and_b32_e32 v70, v70, v72
	v_not_b32_e32 v72, v211
	v_ashrrev_i32_e32 v76, 31, v76
	s_wait_alu 0xfffd
	v_xor_b32_e32 v74, vcc_lo, v74
	v_cmp_gt_i32_e32 vcc_lo, 0, v211
	v_and_b32_e32 v70, v70, v73
	v_not_b32_e32 v73, v75
	v_ashrrev_i32_e32 v72, 31, v72
	s_wait_alu 0xf1ff
	v_xor_b32_e32 v76, s15, v76
	v_cmp_gt_i32_e64 s15, 0, v75
	v_and_b32_e32 v70, v70, v74
	v_ashrrev_i32_e32 v73, 31, v73
	s_wait_alu 0xfffd
	v_xor_b32_e32 v72, vcc_lo, v72
	v_mad_u32_u24 v74, v71, 36, v147
	v_mul_u32_u24_e32 v71, 36, v71
	v_and_b32_e32 v70, v70, v76
	s_wait_alu 0xf1ff
	v_xor_b32_e32 v73, s15, v73
	ds_load_b32 v211, v74 offset:1056
	v_add_nc_u32_e32 v214, v147, v71
	v_and_b32_e32 v70, v70, v72
	; wave barrier
	s_delay_alu instid0(VALU_DEP_1) | instskip(NEXT) | instid1(VALU_DEP_1)
	v_and_b32_e32 v70, v70, v73
	v_mbcnt_lo_u32_b32 v212, v70, 0
	v_cmp_ne_u32_e64 s15, 0, v70
	s_delay_alu instid0(VALU_DEP_2)
	v_cmp_eq_u32_e32 vcc_lo, 0, v212
	s_and_b32 s16, s15, vcc_lo
	s_wait_alu 0xfffe
	s_and_saveexec_b32 s15, s16
	s_cbranch_execz .LBB842_464
; %bb.463:                              ;   in Loop: Header=BB842_396 Depth=2
	s_wait_dscnt 0x0
	v_bcnt_u32_b32 v70, v70, v211
	ds_store_b32 v214, v70 offset:1056
.LBB842_464:                            ;   in Loop: Header=BB842_396 Depth=2
	s_wait_alu 0xfffe
	s_or_b32 exec_lo, exec_lo, s15
	; wave barrier
	s_wait_loadcnt_dscnt 0x0
	s_barrier_signal -1
	s_barrier_wait -1
	global_inv scope:SCOPE_SE
	ds_load_2addr_b32 v[76:77], v166 offset1:1
	ds_load_2addr_b32 v[74:75], v167 offset1:1
	;; [unrolled: 1-line block ×4, first 2 shown]
	ds_load_b32 v215, v102 offset:1088
	s_wait_dscnt 0x3
	v_add3_u32 v216, v77, v76, v74
	s_wait_dscnt 0x2
	s_delay_alu instid0(VALU_DEP_1) | instskip(SKIP_1) | instid1(VALU_DEP_1)
	v_add3_u32 v216, v216, v75, v72
	s_wait_dscnt 0x1
	v_add3_u32 v216, v216, v73, v70
	s_wait_dscnt 0x0
	s_delay_alu instid0(VALU_DEP_1) | instskip(NEXT) | instid1(VALU_DEP_1)
	v_add3_u32 v215, v216, v71, v215
	v_mov_b32_dpp v216, v215 row_shr:1 row_mask:0xf bank_mask:0xf
	s_delay_alu instid0(VALU_DEP_1) | instskip(NEXT) | instid1(VALU_DEP_1)
	v_cndmask_b32_e64 v216, v216, 0, s0
	v_add_nc_u32_e32 v215, v216, v215
	s_delay_alu instid0(VALU_DEP_1) | instskip(NEXT) | instid1(VALU_DEP_1)
	v_mov_b32_dpp v216, v215 row_shr:2 row_mask:0xf bank_mask:0xf
	v_cndmask_b32_e64 v216, 0, v216, s1
	s_delay_alu instid0(VALU_DEP_1) | instskip(NEXT) | instid1(VALU_DEP_1)
	v_add_nc_u32_e32 v215, v215, v216
	v_mov_b32_dpp v216, v215 row_shr:4 row_mask:0xf bank_mask:0xf
	s_delay_alu instid0(VALU_DEP_1) | instskip(NEXT) | instid1(VALU_DEP_1)
	v_cndmask_b32_e64 v216, 0, v216, s8
	v_add_nc_u32_e32 v215, v215, v216
	s_delay_alu instid0(VALU_DEP_1) | instskip(NEXT) | instid1(VALU_DEP_1)
	v_mov_b32_dpp v216, v215 row_shr:8 row_mask:0xf bank_mask:0xf
	v_cndmask_b32_e64 v216, 0, v216, s9
	s_delay_alu instid0(VALU_DEP_1) | instskip(SKIP_3) | instid1(VALU_DEP_1)
	v_add_nc_u32_e32 v215, v215, v216
	ds_swizzle_b32 v216, v215 offset:swizzle(BROADCAST,32,15)
	s_wait_dscnt 0x0
	v_cndmask_b32_e64 v216, v216, 0, s10
	v_add_nc_u32_e32 v215, v215, v216
	s_and_saveexec_b32 s15, s3
; %bb.465:                              ;   in Loop: Header=BB842_396 Depth=2
	ds_store_b32 v97, v215 offset:1024
; %bb.466:                              ;   in Loop: Header=BB842_396 Depth=2
	s_wait_alu 0xfffe
	s_or_b32 exec_lo, exec_lo, s15
	s_wait_loadcnt_dscnt 0x0
	s_barrier_signal -1
	s_barrier_wait -1
	global_inv scope:SCOPE_SE
	s_and_saveexec_b32 s15, s4
	s_cbranch_execz .LBB842_468
; %bb.467:                              ;   in Loop: Header=BB842_396 Depth=2
	ds_load_b32 v216, v105 offset:1024
	s_wait_dscnt 0x0
	v_mov_b32_dpp v217, v216 row_shr:1 row_mask:0xf bank_mask:0xf
	s_delay_alu instid0(VALU_DEP_1) | instskip(NEXT) | instid1(VALU_DEP_1)
	v_cndmask_b32_e64 v217, v217, 0, s12
	v_add_nc_u32_e32 v216, v217, v216
	s_delay_alu instid0(VALU_DEP_1) | instskip(NEXT) | instid1(VALU_DEP_1)
	v_mov_b32_dpp v217, v216 row_shr:2 row_mask:0xf bank_mask:0xf
	v_cndmask_b32_e64 v217, 0, v217, s13
	s_delay_alu instid0(VALU_DEP_1) | instskip(NEXT) | instid1(VALU_DEP_1)
	v_add_nc_u32_e32 v216, v216, v217
	v_mov_b32_dpp v217, v216 row_shr:4 row_mask:0xf bank_mask:0xf
	s_delay_alu instid0(VALU_DEP_1) | instskip(NEXT) | instid1(VALU_DEP_1)
	v_cndmask_b32_e64 v217, 0, v217, s14
	v_add_nc_u32_e32 v216, v216, v217
	ds_store_b32 v105, v216 offset:1024
.LBB842_468:                            ;   in Loop: Header=BB842_396 Depth=2
	s_wait_alu 0xfffe
	s_or_b32 exec_lo, exec_lo, s15
	v_mov_b32_e32 v216, 0
	s_wait_loadcnt_dscnt 0x0
	s_barrier_signal -1
	s_barrier_wait -1
	global_inv scope:SCOPE_SE
	s_and_saveexec_b32 s15, s5
; %bb.469:                              ;   in Loop: Header=BB842_396 Depth=2
	ds_load_b32 v216, v97 offset:1020
; %bb.470:                              ;   in Loop: Header=BB842_396 Depth=2
	s_wait_alu 0xfffe
	s_or_b32 exec_lo, exec_lo, s15
	s_wait_dscnt 0x0
	v_add_nc_u32_e32 v215, v216, v215
	ds_bpermute_b32 v215, v126, v215
	s_wait_dscnt 0x0
	v_cndmask_b32_e64 v215, v215, v216, s11
	s_delay_alu instid0(VALU_DEP_1) | instskip(NEXT) | instid1(VALU_DEP_1)
	v_cndmask_b32_e64 v215, v215, 0, s6
	v_add_nc_u32_e32 v76, v215, v76
	s_delay_alu instid0(VALU_DEP_1) | instskip(NEXT) | instid1(VALU_DEP_1)
	v_add_nc_u32_e32 v77, v76, v77
	v_add_nc_u32_e32 v74, v77, v74
	s_delay_alu instid0(VALU_DEP_1) | instskip(NEXT) | instid1(VALU_DEP_1)
	v_add_nc_u32_e32 v75, v74, v75
	v_add_nc_u32_e32 v72, v75, v72
	s_delay_alu instid0(VALU_DEP_1) | instskip(NEXT) | instid1(VALU_DEP_1)
	v_add_nc_u32_e32 v73, v72, v73
	v_add_nc_u32_e32 v70, v73, v70
	s_delay_alu instid0(VALU_DEP_1)
	v_add_nc_u32_e32 v71, v70, v71
	ds_store_2addr_b32 v165, v73, v70 offset1:1
	ds_store_2addr_b32 v166, v215, v76 offset1:1
	;; [unrolled: 1-line block ×4, first 2 shown]
	ds_store_b32 v102, v71 offset:1088
	s_wait_loadcnt_dscnt 0x0
	s_barrier_signal -1
	s_barrier_wait -1
	global_inv scope:SCOPE_SE
	ds_load_b32 v71, v169 offset:1056
	ds_load_b32 v216, v172 offset:1056
	;; [unrolled: 1-line block ×17, first 2 shown]
	v_mov_b32_e32 v70, 0x1000
	s_and_saveexec_b32 s15, s7
; %bb.471:                              ;   in Loop: Header=BB842_396 Depth=2
	ds_load_b32 v70, v102 offset:1092
; %bb.472:                              ;   in Loop: Header=BB842_396 Depth=2
	s_wait_alu 0xfffe
	s_or_b32 exec_lo, exec_lo, s15
	s_wait_loadcnt_dscnt 0x0
	s_barrier_signal -1
	s_barrier_wait -1
	global_inv scope:SCOPE_SE
	s_and_saveexec_b32 s15, s2
	s_cbranch_execz .LBB842_474
; %bb.473:                              ;   in Loop: Header=BB842_396 Depth=2
	ds_load_b32 v181, v78
	s_wait_dscnt 0x0
	v_sub_nc_u32_e32 v178, v181, v178
	ds_store_b32 v78, v178
.LBB842_474:                            ;   in Loop: Header=BB842_396 Depth=2
	s_wait_alu 0xfffe
	s_or_b32 exec_lo, exec_lo, s15
	v_lshlrev_b32_e32 v2, 3, v2
	v_lshlrev_b32_e32 v171, 3, v171
	v_lshlrev_b32_e32 v170, 3, v170
	v_lshlrev_b32_e32 v178, 3, v216
	v_lshlrev_b32_e32 v174, 3, v174
	v_lshl_add_u32 v71, v71, 3, v2
	v_lshlrev_b32_e32 v2, 3, v173
	v_lshlrev_b32_e32 v173, 3, v215
	;; [unrolled: 1-line block ×11, first 2 shown]
	ds_store_b64 v71, v[40:41] offset:1024
	v_add3_u32 v40, v171, v170, v178
	v_add3_u32 v41, v174, v2, v173
	;; [unrolled: 1-line block ×5, first 2 shown]
	ds_store_b64 v40, v[38:39] offset:1024
	ds_store_b64 v41, v[42:43] offset:1024
	;; [unrolled: 1-line block ×5, first 2 shown]
	v_lshlrev_b32_e32 v2, 3, v186
	v_lshlrev_b32_e32 v38, 3, v185
	;; [unrolled: 1-line block ×15, first 2 shown]
	v_add3_u32 v42, v2, v38, v39
	v_add3_u32 v43, v43, v44, v45
	;; [unrolled: 1-line block ×5, first 2 shown]
	ds_store_b64 v42, v[48:49] offset:1024
	ds_store_b64 v43, v[52:53] offset:1024
	;; [unrolled: 1-line block ×5, first 2 shown]
	v_lshlrev_b32_e32 v2, 3, v201
	v_lshlrev_b32_e32 v38, 3, v200
	;; [unrolled: 1-line block ×15, first 2 shown]
	v_add3_u32 v47, v2, v38, v39
	v_add3_u32 v48, v48, v49, v50
	;; [unrolled: 1-line block ×5, first 2 shown]
	v_cmp_lt_u32_e32 vcc_lo, v1, v164
	ds_store_b64 v47, v[58:59] offset:1024
	ds_store_b64 v48, v[62:63] offset:1024
	;; [unrolled: 1-line block ×5, first 2 shown]
	s_wait_loadcnt_dscnt 0x0
	s_barrier_signal -1
	s_barrier_wait -1
	global_inv scope:SCOPE_SE
	s_and_saveexec_b32 s16, vcc_lo
	s_cbranch_execnz .LBB842_543
; %bb.475:                              ;   in Loop: Header=BB842_396 Depth=2
	s_wait_alu 0xfffe
	s_or_b32 exec_lo, exec_lo, s16
	v_cmp_lt_u32_e64 s15, v79, v164
	s_and_saveexec_b32 s17, s15
	s_cbranch_execnz .LBB842_544
.LBB842_476:                            ;   in Loop: Header=BB842_396 Depth=2
	s_wait_alu 0xfffe
	s_or_b32 exec_lo, exec_lo, s17
	v_cmp_lt_u32_e64 s16, v80, v164
	s_and_saveexec_b32 s18, s16
	s_cbranch_execnz .LBB842_545
.LBB842_477:                            ;   in Loop: Header=BB842_396 Depth=2
	s_wait_alu 0xfffe
	s_or_b32 exec_lo, exec_lo, s18
	v_cmp_lt_u32_e64 s17, v81, v164
	s_and_saveexec_b32 s19, s17
	s_cbranch_execnz .LBB842_546
.LBB842_478:                            ;   in Loop: Header=BB842_396 Depth=2
	s_wait_alu 0xfffe
	s_or_b32 exec_lo, exec_lo, s19
	v_cmp_lt_u32_e64 s18, v84, v164
	s_and_saveexec_b32 s20, s18
	s_cbranch_execnz .LBB842_547
.LBB842_479:                            ;   in Loop: Header=BB842_396 Depth=2
	s_wait_alu 0xfffe
	s_or_b32 exec_lo, exec_lo, s20
	v_cmp_lt_u32_e64 s19, v85, v164
	s_and_saveexec_b32 s21, s19
	s_cbranch_execnz .LBB842_548
.LBB842_480:                            ;   in Loop: Header=BB842_396 Depth=2
	s_wait_alu 0xfffe
	s_or_b32 exec_lo, exec_lo, s21
	v_cmp_lt_u32_e64 s20, v86, v164
	s_and_saveexec_b32 s22, s20
	s_cbranch_execnz .LBB842_549
.LBB842_481:                            ;   in Loop: Header=BB842_396 Depth=2
	s_wait_alu 0xfffe
	s_or_b32 exec_lo, exec_lo, s22
	v_cmp_lt_u32_e64 s21, v87, v164
	s_and_saveexec_b32 s23, s21
	s_cbranch_execnz .LBB842_550
.LBB842_482:                            ;   in Loop: Header=BB842_396 Depth=2
	s_wait_alu 0xfffe
	s_or_b32 exec_lo, exec_lo, s23
	v_cmp_lt_u32_e64 s22, v88, v164
	s_and_saveexec_b32 s24, s22
	s_cbranch_execnz .LBB842_551
.LBB842_483:                            ;   in Loop: Header=BB842_396 Depth=2
	s_wait_alu 0xfffe
	s_or_b32 exec_lo, exec_lo, s24
	v_cmp_lt_u32_e64 s23, v89, v164
	s_and_saveexec_b32 s25, s23
	s_cbranch_execnz .LBB842_552
.LBB842_484:                            ;   in Loop: Header=BB842_396 Depth=2
	s_wait_alu 0xfffe
	s_or_b32 exec_lo, exec_lo, s25
	v_cmp_lt_u32_e64 s24, v90, v164
	s_and_saveexec_b32 s26, s24
	s_cbranch_execnz .LBB842_553
.LBB842_485:                            ;   in Loop: Header=BB842_396 Depth=2
	s_wait_alu 0xfffe
	s_or_b32 exec_lo, exec_lo, s26
	v_cmp_lt_u32_e64 s25, v91, v164
	s_and_saveexec_b32 s27, s25
	s_cbranch_execnz .LBB842_554
.LBB842_486:                            ;   in Loop: Header=BB842_396 Depth=2
	s_wait_alu 0xfffe
	s_or_b32 exec_lo, exec_lo, s27
	v_cmp_lt_u32_e64 s26, v92, v164
	s_and_saveexec_b32 s28, s26
	s_cbranch_execnz .LBB842_555
.LBB842_487:                            ;   in Loop: Header=BB842_396 Depth=2
	s_wait_alu 0xfffe
	s_or_b32 exec_lo, exec_lo, s28
	v_cmp_lt_u32_e64 s27, v93, v164
	s_and_saveexec_b32 s29, s27
	s_cbranch_execnz .LBB842_556
.LBB842_488:                            ;   in Loop: Header=BB842_396 Depth=2
	s_wait_alu 0xfffe
	s_or_b32 exec_lo, exec_lo, s29
	v_cmp_lt_u32_e64 s28, v94, v164
	s_and_saveexec_b32 s30, s28
	s_cbranch_execnz .LBB842_557
.LBB842_489:                            ;   in Loop: Header=BB842_396 Depth=2
	s_wait_alu 0xfffe
	s_or_b32 exec_lo, exec_lo, s30
	v_cmp_lt_u32_e64 s29, v95, v164
	s_and_saveexec_b32 s58, s29
	s_cbranch_execz .LBB842_491
.LBB842_490:                            ;   in Loop: Header=BB842_396 Depth=2
	ds_load_b64 v[38:39], v110 offset:31744
	s_wait_dscnt 0x0
	v_lshrrev_b64 v[52:53], s48, v[38:39]
	v_xor_b32_e32 v39, 0x80000000, v39
	s_delay_alu instid0(VALU_DEP_2) | instskip(NEXT) | instid1(VALU_DEP_1)
	v_and_b32_e32 v2, s55, v52
	v_lshlrev_b32_e32 v2, 2, v2
	ds_load_b32 v2, v2
	s_wait_dscnt 0x0
	v_add_nc_u32_e32 v2, v2, v95
	s_delay_alu instid0(VALU_DEP_1) | instskip(NEXT) | instid1(VALU_DEP_1)
	v_lshlrev_b64_e32 v[52:53], 3, v[2:3]
	v_add_co_u32 v52, s30, s40, v52
	s_wait_alu 0xf1ff
	s_delay_alu instid0(VALU_DEP_2)
	v_add_co_ci_u32_e64 v53, null, s41, v53, s30
	global_store_b64 v[52:53], v[38:39], off
.LBB842_491:                            ;   in Loop: Header=BB842_396 Depth=2
	s_wait_alu 0xfffe
	s_or_b32 exec_lo, exec_lo, s58
	s_lshl_b64 s[58:59], s[34:35], 3
	s_wait_alu 0xfffe
	v_add_co_u32 v38, s30, v128, s58
	s_wait_alu 0xf1ff
	v_add_co_ci_u32_e64 v39, null, s59, v129, s30
	v_cmp_lt_u32_e64 s30, v127, v164
	s_and_saveexec_b32 s34, s30
	s_wait_alu 0xfffe
	s_xor_b32 s30, exec_lo, s34
	s_cbranch_execnz .LBB842_558
; %bb.492:                              ;   in Loop: Header=BB842_396 Depth=2
	s_wait_alu 0xfffe
	s_or_b32 exec_lo, exec_lo, s30
	s_delay_alu instid0(SALU_CYCLE_1)
	s_mov_b32 s34, exec_lo
	v_cmpx_lt_u32_e64 v130, v164
	s_cbranch_execnz .LBB842_559
.LBB842_493:                            ;   in Loop: Header=BB842_396 Depth=2
	s_wait_alu 0xfffe
	s_or_b32 exec_lo, exec_lo, s34
	s_delay_alu instid0(SALU_CYCLE_1)
	s_mov_b32 s34, exec_lo
	v_cmpx_lt_u32_e64 v131, v164
	s_cbranch_execnz .LBB842_560
.LBB842_494:                            ;   in Loop: Header=BB842_396 Depth=2
	s_wait_alu 0xfffe
	s_or_b32 exec_lo, exec_lo, s34
	s_delay_alu instid0(SALU_CYCLE_1)
	s_mov_b32 s34, exec_lo
	v_cmpx_lt_u32_e64 v132, v164
	s_cbranch_execnz .LBB842_561
.LBB842_495:                            ;   in Loop: Header=BB842_396 Depth=2
	s_wait_alu 0xfffe
	s_or_b32 exec_lo, exec_lo, s34
	s_delay_alu instid0(SALU_CYCLE_1)
	s_mov_b32 s34, exec_lo
	v_cmpx_lt_u32_e64 v133, v164
	s_cbranch_execnz .LBB842_562
.LBB842_496:                            ;   in Loop: Header=BB842_396 Depth=2
	s_wait_alu 0xfffe
	s_or_b32 exec_lo, exec_lo, s34
	s_delay_alu instid0(SALU_CYCLE_1)
	s_mov_b32 s34, exec_lo
	v_cmpx_lt_u32_e64 v134, v164
	s_cbranch_execnz .LBB842_563
.LBB842_497:                            ;   in Loop: Header=BB842_396 Depth=2
	s_wait_alu 0xfffe
	s_or_b32 exec_lo, exec_lo, s34
	s_delay_alu instid0(SALU_CYCLE_1)
	s_mov_b32 s34, exec_lo
	v_cmpx_lt_u32_e64 v135, v164
	s_cbranch_execnz .LBB842_564
.LBB842_498:                            ;   in Loop: Header=BB842_396 Depth=2
	s_wait_alu 0xfffe
	s_or_b32 exec_lo, exec_lo, s34
	s_delay_alu instid0(SALU_CYCLE_1)
	s_mov_b32 s34, exec_lo
	v_cmpx_lt_u32_e64 v136, v164
	s_cbranch_execnz .LBB842_565
.LBB842_499:                            ;   in Loop: Header=BB842_396 Depth=2
	s_wait_alu 0xfffe
	s_or_b32 exec_lo, exec_lo, s34
	s_delay_alu instid0(SALU_CYCLE_1)
	s_mov_b32 s34, exec_lo
	v_cmpx_lt_u32_e64 v137, v164
	s_cbranch_execnz .LBB842_566
.LBB842_500:                            ;   in Loop: Header=BB842_396 Depth=2
	s_wait_alu 0xfffe
	s_or_b32 exec_lo, exec_lo, s34
	s_delay_alu instid0(SALU_CYCLE_1)
	s_mov_b32 s34, exec_lo
	v_cmpx_lt_u32_e64 v138, v164
	s_cbranch_execnz .LBB842_567
.LBB842_501:                            ;   in Loop: Header=BB842_396 Depth=2
	s_wait_alu 0xfffe
	s_or_b32 exec_lo, exec_lo, s34
	s_delay_alu instid0(SALU_CYCLE_1)
	s_mov_b32 s34, exec_lo
	v_cmpx_lt_u32_e64 v139, v164
	s_cbranch_execnz .LBB842_568
.LBB842_502:                            ;   in Loop: Header=BB842_396 Depth=2
	s_wait_alu 0xfffe
	s_or_b32 exec_lo, exec_lo, s34
	s_delay_alu instid0(SALU_CYCLE_1)
	s_mov_b32 s34, exec_lo
	v_cmpx_lt_u32_e64 v140, v164
	s_cbranch_execnz .LBB842_569
.LBB842_503:                            ;   in Loop: Header=BB842_396 Depth=2
	s_wait_alu 0xfffe
	s_or_b32 exec_lo, exec_lo, s34
	s_delay_alu instid0(SALU_CYCLE_1)
	s_mov_b32 s34, exec_lo
	v_cmpx_lt_u32_e64 v141, v164
	s_cbranch_execnz .LBB842_570
.LBB842_504:                            ;   in Loop: Header=BB842_396 Depth=2
	s_wait_alu 0xfffe
	s_or_b32 exec_lo, exec_lo, s34
	s_delay_alu instid0(SALU_CYCLE_1)
	s_mov_b32 s34, exec_lo
	v_cmpx_lt_u32_e64 v142, v164
	s_cbranch_execnz .LBB842_571
.LBB842_505:                            ;   in Loop: Header=BB842_396 Depth=2
	s_wait_alu 0xfffe
	s_or_b32 exec_lo, exec_lo, s34
	s_delay_alu instid0(SALU_CYCLE_1)
	s_mov_b32 s34, exec_lo
	v_cmpx_lt_u32_e64 v143, v164
	s_cbranch_execnz .LBB842_572
.LBB842_506:                            ;   in Loop: Header=BB842_396 Depth=2
	s_wait_alu 0xfffe
	s_or_b32 exec_lo, exec_lo, s34
	s_delay_alu instid0(SALU_CYCLE_1)
	s_mov_b32 s34, exec_lo
	v_cmpx_lt_u32_e64 v144, v164
	s_cbranch_execnz .LBB842_573
.LBB842_507:                            ;   in Loop: Header=BB842_396 Depth=2
	s_wait_alu 0xfffe
	s_or_b32 exec_lo, exec_lo, s34
	s_and_saveexec_b32 s30, vcc_lo
	s_cbranch_execnz .LBB842_574
.LBB842_508:                            ;   in Loop: Header=BB842_396 Depth=2
	s_wait_alu 0xfffe
	s_or_b32 exec_lo, exec_lo, s30
	s_and_saveexec_b32 s30, s15
	s_cbranch_execnz .LBB842_575
.LBB842_509:                            ;   in Loop: Header=BB842_396 Depth=2
	s_wait_alu 0xfffe
	s_or_b32 exec_lo, exec_lo, s30
	s_and_saveexec_b32 s30, s16
	s_cbranch_execnz .LBB842_576
.LBB842_510:                            ;   in Loop: Header=BB842_396 Depth=2
	s_wait_alu 0xfffe
	s_or_b32 exec_lo, exec_lo, s30
	s_and_saveexec_b32 s30, s17
	s_cbranch_execnz .LBB842_577
.LBB842_511:                            ;   in Loop: Header=BB842_396 Depth=2
	s_wait_alu 0xfffe
	s_or_b32 exec_lo, exec_lo, s30
	s_and_saveexec_b32 s30, s18
	s_cbranch_execnz .LBB842_578
.LBB842_512:                            ;   in Loop: Header=BB842_396 Depth=2
	s_wait_alu 0xfffe
	s_or_b32 exec_lo, exec_lo, s30
	s_and_saveexec_b32 s30, s19
	s_cbranch_execnz .LBB842_579
.LBB842_513:                            ;   in Loop: Header=BB842_396 Depth=2
	s_wait_alu 0xfffe
	s_or_b32 exec_lo, exec_lo, s30
	s_and_saveexec_b32 s30, s20
	s_cbranch_execnz .LBB842_580
.LBB842_514:                            ;   in Loop: Header=BB842_396 Depth=2
	s_wait_alu 0xfffe
	s_or_b32 exec_lo, exec_lo, s30
	s_and_saveexec_b32 s30, s21
	s_cbranch_execnz .LBB842_581
.LBB842_515:                            ;   in Loop: Header=BB842_396 Depth=2
	s_wait_alu 0xfffe
	s_or_b32 exec_lo, exec_lo, s30
	s_and_saveexec_b32 s30, s22
	s_cbranch_execnz .LBB842_582
.LBB842_516:                            ;   in Loop: Header=BB842_396 Depth=2
	s_wait_alu 0xfffe
	s_or_b32 exec_lo, exec_lo, s30
	s_and_saveexec_b32 s30, s23
	s_cbranch_execnz .LBB842_583
.LBB842_517:                            ;   in Loop: Header=BB842_396 Depth=2
	s_wait_alu 0xfffe
	s_or_b32 exec_lo, exec_lo, s30
	s_and_saveexec_b32 s30, s24
	s_cbranch_execnz .LBB842_584
.LBB842_518:                            ;   in Loop: Header=BB842_396 Depth=2
	s_wait_alu 0xfffe
	s_or_b32 exec_lo, exec_lo, s30
	s_and_saveexec_b32 s30, s25
	s_cbranch_execnz .LBB842_585
.LBB842_519:                            ;   in Loop: Header=BB842_396 Depth=2
	s_wait_alu 0xfffe
	s_or_b32 exec_lo, exec_lo, s30
	s_and_saveexec_b32 s30, s26
	s_cbranch_execnz .LBB842_586
.LBB842_520:                            ;   in Loop: Header=BB842_396 Depth=2
	s_wait_alu 0xfffe
	s_or_b32 exec_lo, exec_lo, s30
	s_and_saveexec_b32 s30, s27
	s_cbranch_execnz .LBB842_587
.LBB842_521:                            ;   in Loop: Header=BB842_396 Depth=2
	s_wait_alu 0xfffe
	s_or_b32 exec_lo, exec_lo, s30
	s_and_saveexec_b32 s30, s28
	s_cbranch_execnz .LBB842_588
.LBB842_522:                            ;   in Loop: Header=BB842_396 Depth=2
	s_wait_alu 0xfffe
	s_or_b32 exec_lo, exec_lo, s30
	s_and_saveexec_b32 s30, s29
	s_cbranch_execz .LBB842_524
.LBB842_523:                            ;   in Loop: Header=BB842_396 Depth=2
	ds_load_b64 v[38:39], v110 offset:31744
	s_wait_dscnt 0x0
	v_lshrrev_b64 v[38:39], s48, v[38:39]
	s_delay_alu instid0(VALU_DEP_1)
	v_and_b32_e32 v148, s55, v38
.LBB842_524:                            ;   in Loop: Header=BB842_396 Depth=2
	s_wait_alu 0xfffe
	s_or_b32 exec_lo, exec_lo, s30
	s_wait_loadcnt 0x0
	s_wait_storecnt 0x0
	s_barrier_signal -1
	s_barrier_wait -1
	global_inv scope:SCOPE_SE
	ds_store_b64 v71, v[36:37] offset:1024
	ds_store_b64 v40, v[34:35] offset:1024
	;; [unrolled: 1-line block ×16, first 2 shown]
	s_wait_loadcnt_dscnt 0x0
	s_barrier_signal -1
	s_barrier_wait -1
	global_inv scope:SCOPE_SE
	s_and_saveexec_b32 s30, vcc_lo
	s_cbranch_execnz .LBB842_589
; %bb.525:                              ;   in Loop: Header=BB842_396 Depth=2
	s_wait_alu 0xfffe
	s_or_b32 exec_lo, exec_lo, s30
	s_and_saveexec_b32 s30, s15
	s_cbranch_execnz .LBB842_590
.LBB842_526:                            ;   in Loop: Header=BB842_396 Depth=2
	s_wait_alu 0xfffe
	s_or_b32 exec_lo, exec_lo, s30
	s_and_saveexec_b32 s15, s16
	s_cbranch_execnz .LBB842_591
.LBB842_527:                            ;   in Loop: Header=BB842_396 Depth=2
	s_wait_alu 0xfffe
	s_or_b32 exec_lo, exec_lo, s15
	s_and_saveexec_b32 s15, s17
	s_cbranch_execnz .LBB842_592
.LBB842_528:                            ;   in Loop: Header=BB842_396 Depth=2
	s_wait_alu 0xfffe
	s_or_b32 exec_lo, exec_lo, s15
	s_and_saveexec_b32 s15, s18
	s_cbranch_execnz .LBB842_593
.LBB842_529:                            ;   in Loop: Header=BB842_396 Depth=2
	s_wait_alu 0xfffe
	s_or_b32 exec_lo, exec_lo, s15
	s_and_saveexec_b32 s15, s19
	s_cbranch_execnz .LBB842_594
.LBB842_530:                            ;   in Loop: Header=BB842_396 Depth=2
	s_wait_alu 0xfffe
	s_or_b32 exec_lo, exec_lo, s15
	s_and_saveexec_b32 s15, s20
	s_cbranch_execnz .LBB842_595
.LBB842_531:                            ;   in Loop: Header=BB842_396 Depth=2
	s_wait_alu 0xfffe
	s_or_b32 exec_lo, exec_lo, s15
	s_and_saveexec_b32 s15, s21
	s_cbranch_execnz .LBB842_596
.LBB842_532:                            ;   in Loop: Header=BB842_396 Depth=2
	s_wait_alu 0xfffe
	s_or_b32 exec_lo, exec_lo, s15
	s_and_saveexec_b32 s15, s22
	s_cbranch_execnz .LBB842_597
.LBB842_533:                            ;   in Loop: Header=BB842_396 Depth=2
	s_wait_alu 0xfffe
	s_or_b32 exec_lo, exec_lo, s15
	s_and_saveexec_b32 s15, s23
	s_cbranch_execnz .LBB842_598
.LBB842_534:                            ;   in Loop: Header=BB842_396 Depth=2
	s_wait_alu 0xfffe
	s_or_b32 exec_lo, exec_lo, s15
	s_and_saveexec_b32 s15, s24
	s_cbranch_execnz .LBB842_599
.LBB842_535:                            ;   in Loop: Header=BB842_396 Depth=2
	s_wait_alu 0xfffe
	s_or_b32 exec_lo, exec_lo, s15
	s_and_saveexec_b32 s15, s25
	s_cbranch_execnz .LBB842_600
.LBB842_536:                            ;   in Loop: Header=BB842_396 Depth=2
	s_wait_alu 0xfffe
	s_or_b32 exec_lo, exec_lo, s15
	s_and_saveexec_b32 s15, s26
	s_cbranch_execnz .LBB842_601
.LBB842_537:                            ;   in Loop: Header=BB842_396 Depth=2
	s_wait_alu 0xfffe
	s_or_b32 exec_lo, exec_lo, s15
	s_and_saveexec_b32 s15, s27
	s_cbranch_execnz .LBB842_602
.LBB842_538:                            ;   in Loop: Header=BB842_396 Depth=2
	s_wait_alu 0xfffe
	s_or_b32 exec_lo, exec_lo, s15
	s_and_saveexec_b32 s15, s28
	s_cbranch_execnz .LBB842_603
.LBB842_539:                            ;   in Loop: Header=BB842_396 Depth=2
	s_wait_alu 0xfffe
	s_or_b32 exec_lo, exec_lo, s15
	s_and_saveexec_b32 s15, s29
	s_cbranch_execz .LBB842_541
.LBB842_540:                            ;   in Loop: Header=BB842_396 Depth=2
	v_lshlrev_b32_e32 v2, 2, v148
	ds_load_b32 v2, v2
	ds_load_b64 v[38:39], v110 offset:31744
	s_wait_dscnt 0x1
	v_add_nc_u32_e32 v2, v2, v95
	s_delay_alu instid0(VALU_DEP_1) | instskip(NEXT) | instid1(VALU_DEP_1)
	v_lshlrev_b64_e32 v[40:41], 3, v[2:3]
	v_add_co_u32 v40, vcc_lo, s46, v40
	s_wait_alu 0xfffd
	s_delay_alu instid0(VALU_DEP_2)
	v_add_co_ci_u32_e64 v41, null, s47, v41, vcc_lo
	s_wait_dscnt 0x0
	global_store_b64 v[40:41], v[38:39], off
.LBB842_541:                            ;   in Loop: Header=BB842_396 Depth=2
	s_wait_alu 0xfffe
	s_or_b32 exec_lo, exec_lo, s15
	s_wait_loadcnt 0x0
	s_wait_storecnt 0x0
	s_barrier_signal -1
	s_barrier_wait -1
	global_inv scope:SCOPE_SE
	s_and_saveexec_b32 s15, s2
	s_cbranch_execz .LBB842_395
; %bb.542:                              ;   in Loop: Header=BB842_396 Depth=2
	ds_load_b32 v2, v78
	s_wait_dscnt 0x0
	v_add_nc_u32_e32 v2, v2, v70
	ds_store_b32 v78, v2
	s_branch .LBB842_395
.LBB842_543:                            ;   in Loop: Header=BB842_396 Depth=2
	ds_load_b64 v[38:39], v110 offset:1024
	s_wait_dscnt 0x0
	v_lshrrev_b64 v[52:53], s48, v[38:39]
	v_xor_b32_e32 v39, 0x80000000, v39
	s_delay_alu instid0(VALU_DEP_2) | instskip(NEXT) | instid1(VALU_DEP_1)
	v_and_b32_e32 v2, s55, v52
	v_lshlrev_b32_e32 v2, 2, v2
	ds_load_b32 v2, v2
	s_wait_dscnt 0x0
	v_add_nc_u32_e32 v2, v2, v1
	s_delay_alu instid0(VALU_DEP_1) | instskip(NEXT) | instid1(VALU_DEP_1)
	v_lshlrev_b64_e32 v[52:53], 3, v[2:3]
	v_add_co_u32 v52, s15, s40, v52
	s_wait_alu 0xf1ff
	s_delay_alu instid0(VALU_DEP_2)
	v_add_co_ci_u32_e64 v53, null, s41, v53, s15
	global_store_b64 v[52:53], v[38:39], off
	s_wait_alu 0xfffe
	s_or_b32 exec_lo, exec_lo, s16
	v_cmp_lt_u32_e64 s15, v79, v164
	s_and_saveexec_b32 s17, s15
	s_cbranch_execz .LBB842_476
.LBB842_544:                            ;   in Loop: Header=BB842_396 Depth=2
	ds_load_b64 v[38:39], v110 offset:3072
	s_wait_dscnt 0x0
	v_lshrrev_b64 v[52:53], s48, v[38:39]
	v_xor_b32_e32 v39, 0x80000000, v39
	s_delay_alu instid0(VALU_DEP_2) | instskip(NEXT) | instid1(VALU_DEP_1)
	v_and_b32_e32 v2, s55, v52
	v_lshlrev_b32_e32 v2, 2, v2
	ds_load_b32 v2, v2
	s_wait_dscnt 0x0
	v_add_nc_u32_e32 v2, v2, v79
	s_delay_alu instid0(VALU_DEP_1) | instskip(NEXT) | instid1(VALU_DEP_1)
	v_lshlrev_b64_e32 v[52:53], 3, v[2:3]
	v_add_co_u32 v52, s16, s40, v52
	s_wait_alu 0xf1ff
	s_delay_alu instid0(VALU_DEP_2)
	v_add_co_ci_u32_e64 v53, null, s41, v53, s16
	global_store_b64 v[52:53], v[38:39], off
	s_wait_alu 0xfffe
	s_or_b32 exec_lo, exec_lo, s17
	v_cmp_lt_u32_e64 s16, v80, v164
	s_and_saveexec_b32 s18, s16
	s_cbranch_execz .LBB842_477
.LBB842_545:                            ;   in Loop: Header=BB842_396 Depth=2
	ds_load_b64 v[38:39], v110 offset:5120
	s_wait_dscnt 0x0
	v_lshrrev_b64 v[52:53], s48, v[38:39]
	v_xor_b32_e32 v39, 0x80000000, v39
	s_delay_alu instid0(VALU_DEP_2) | instskip(NEXT) | instid1(VALU_DEP_1)
	v_and_b32_e32 v2, s55, v52
	v_lshlrev_b32_e32 v2, 2, v2
	ds_load_b32 v2, v2
	s_wait_dscnt 0x0
	v_add_nc_u32_e32 v2, v2, v80
	s_delay_alu instid0(VALU_DEP_1) | instskip(NEXT) | instid1(VALU_DEP_1)
	v_lshlrev_b64_e32 v[52:53], 3, v[2:3]
	v_add_co_u32 v52, s17, s40, v52
	s_wait_alu 0xf1ff
	s_delay_alu instid0(VALU_DEP_2)
	v_add_co_ci_u32_e64 v53, null, s41, v53, s17
	global_store_b64 v[52:53], v[38:39], off
	s_wait_alu 0xfffe
	s_or_b32 exec_lo, exec_lo, s18
	v_cmp_lt_u32_e64 s17, v81, v164
	s_and_saveexec_b32 s19, s17
	s_cbranch_execz .LBB842_478
.LBB842_546:                            ;   in Loop: Header=BB842_396 Depth=2
	ds_load_b64 v[38:39], v110 offset:7168
	s_wait_dscnt 0x0
	v_lshrrev_b64 v[52:53], s48, v[38:39]
	v_xor_b32_e32 v39, 0x80000000, v39
	s_delay_alu instid0(VALU_DEP_2) | instskip(NEXT) | instid1(VALU_DEP_1)
	v_and_b32_e32 v2, s55, v52
	v_lshlrev_b32_e32 v2, 2, v2
	ds_load_b32 v2, v2
	s_wait_dscnt 0x0
	v_add_nc_u32_e32 v2, v2, v81
	s_delay_alu instid0(VALU_DEP_1) | instskip(NEXT) | instid1(VALU_DEP_1)
	v_lshlrev_b64_e32 v[52:53], 3, v[2:3]
	v_add_co_u32 v52, s18, s40, v52
	s_wait_alu 0xf1ff
	s_delay_alu instid0(VALU_DEP_2)
	v_add_co_ci_u32_e64 v53, null, s41, v53, s18
	global_store_b64 v[52:53], v[38:39], off
	s_wait_alu 0xfffe
	s_or_b32 exec_lo, exec_lo, s19
	v_cmp_lt_u32_e64 s18, v84, v164
	s_and_saveexec_b32 s20, s18
	s_cbranch_execz .LBB842_479
.LBB842_547:                            ;   in Loop: Header=BB842_396 Depth=2
	ds_load_b64 v[38:39], v110 offset:9216
	s_wait_dscnt 0x0
	v_lshrrev_b64 v[52:53], s48, v[38:39]
	v_xor_b32_e32 v39, 0x80000000, v39
	s_delay_alu instid0(VALU_DEP_2) | instskip(NEXT) | instid1(VALU_DEP_1)
	v_and_b32_e32 v2, s55, v52
	v_lshlrev_b32_e32 v2, 2, v2
	ds_load_b32 v2, v2
	s_wait_dscnt 0x0
	v_add_nc_u32_e32 v2, v2, v84
	s_delay_alu instid0(VALU_DEP_1) | instskip(NEXT) | instid1(VALU_DEP_1)
	v_lshlrev_b64_e32 v[52:53], 3, v[2:3]
	v_add_co_u32 v52, s19, s40, v52
	s_wait_alu 0xf1ff
	s_delay_alu instid0(VALU_DEP_2)
	v_add_co_ci_u32_e64 v53, null, s41, v53, s19
	global_store_b64 v[52:53], v[38:39], off
	s_wait_alu 0xfffe
	s_or_b32 exec_lo, exec_lo, s20
	v_cmp_lt_u32_e64 s19, v85, v164
	s_and_saveexec_b32 s21, s19
	s_cbranch_execz .LBB842_480
.LBB842_548:                            ;   in Loop: Header=BB842_396 Depth=2
	ds_load_b64 v[38:39], v110 offset:11264
	s_wait_dscnt 0x0
	v_lshrrev_b64 v[52:53], s48, v[38:39]
	v_xor_b32_e32 v39, 0x80000000, v39
	s_delay_alu instid0(VALU_DEP_2) | instskip(NEXT) | instid1(VALU_DEP_1)
	v_and_b32_e32 v2, s55, v52
	v_lshlrev_b32_e32 v2, 2, v2
	ds_load_b32 v2, v2
	s_wait_dscnt 0x0
	v_add_nc_u32_e32 v2, v2, v85
	s_delay_alu instid0(VALU_DEP_1) | instskip(NEXT) | instid1(VALU_DEP_1)
	v_lshlrev_b64_e32 v[52:53], 3, v[2:3]
	v_add_co_u32 v52, s20, s40, v52
	s_wait_alu 0xf1ff
	s_delay_alu instid0(VALU_DEP_2)
	v_add_co_ci_u32_e64 v53, null, s41, v53, s20
	global_store_b64 v[52:53], v[38:39], off
	s_wait_alu 0xfffe
	s_or_b32 exec_lo, exec_lo, s21
	v_cmp_lt_u32_e64 s20, v86, v164
	s_and_saveexec_b32 s22, s20
	s_cbranch_execz .LBB842_481
.LBB842_549:                            ;   in Loop: Header=BB842_396 Depth=2
	ds_load_b64 v[38:39], v110 offset:13312
	s_wait_dscnt 0x0
	v_lshrrev_b64 v[52:53], s48, v[38:39]
	v_xor_b32_e32 v39, 0x80000000, v39
	s_delay_alu instid0(VALU_DEP_2) | instskip(NEXT) | instid1(VALU_DEP_1)
	v_and_b32_e32 v2, s55, v52
	v_lshlrev_b32_e32 v2, 2, v2
	ds_load_b32 v2, v2
	s_wait_dscnt 0x0
	v_add_nc_u32_e32 v2, v2, v86
	s_delay_alu instid0(VALU_DEP_1) | instskip(NEXT) | instid1(VALU_DEP_1)
	v_lshlrev_b64_e32 v[52:53], 3, v[2:3]
	v_add_co_u32 v52, s21, s40, v52
	s_wait_alu 0xf1ff
	s_delay_alu instid0(VALU_DEP_2)
	v_add_co_ci_u32_e64 v53, null, s41, v53, s21
	global_store_b64 v[52:53], v[38:39], off
	s_wait_alu 0xfffe
	s_or_b32 exec_lo, exec_lo, s22
	v_cmp_lt_u32_e64 s21, v87, v164
	s_and_saveexec_b32 s23, s21
	s_cbranch_execz .LBB842_482
.LBB842_550:                            ;   in Loop: Header=BB842_396 Depth=2
	ds_load_b64 v[38:39], v110 offset:15360
	s_wait_dscnt 0x0
	v_lshrrev_b64 v[52:53], s48, v[38:39]
	v_xor_b32_e32 v39, 0x80000000, v39
	s_delay_alu instid0(VALU_DEP_2) | instskip(NEXT) | instid1(VALU_DEP_1)
	v_and_b32_e32 v2, s55, v52
	v_lshlrev_b32_e32 v2, 2, v2
	ds_load_b32 v2, v2
	s_wait_dscnt 0x0
	v_add_nc_u32_e32 v2, v2, v87
	s_delay_alu instid0(VALU_DEP_1) | instskip(NEXT) | instid1(VALU_DEP_1)
	v_lshlrev_b64_e32 v[52:53], 3, v[2:3]
	v_add_co_u32 v52, s22, s40, v52
	s_wait_alu 0xf1ff
	s_delay_alu instid0(VALU_DEP_2)
	v_add_co_ci_u32_e64 v53, null, s41, v53, s22
	global_store_b64 v[52:53], v[38:39], off
	s_wait_alu 0xfffe
	s_or_b32 exec_lo, exec_lo, s23
	v_cmp_lt_u32_e64 s22, v88, v164
	s_and_saveexec_b32 s24, s22
	s_cbranch_execz .LBB842_483
.LBB842_551:                            ;   in Loop: Header=BB842_396 Depth=2
	ds_load_b64 v[38:39], v110 offset:17408
	s_wait_dscnt 0x0
	v_lshrrev_b64 v[52:53], s48, v[38:39]
	v_xor_b32_e32 v39, 0x80000000, v39
	s_delay_alu instid0(VALU_DEP_2) | instskip(NEXT) | instid1(VALU_DEP_1)
	v_and_b32_e32 v2, s55, v52
	v_lshlrev_b32_e32 v2, 2, v2
	ds_load_b32 v2, v2
	s_wait_dscnt 0x0
	v_add_nc_u32_e32 v2, v2, v88
	s_delay_alu instid0(VALU_DEP_1) | instskip(NEXT) | instid1(VALU_DEP_1)
	v_lshlrev_b64_e32 v[52:53], 3, v[2:3]
	v_add_co_u32 v52, s23, s40, v52
	s_wait_alu 0xf1ff
	s_delay_alu instid0(VALU_DEP_2)
	v_add_co_ci_u32_e64 v53, null, s41, v53, s23
	global_store_b64 v[52:53], v[38:39], off
	s_wait_alu 0xfffe
	s_or_b32 exec_lo, exec_lo, s24
	v_cmp_lt_u32_e64 s23, v89, v164
	s_and_saveexec_b32 s25, s23
	s_cbranch_execz .LBB842_484
.LBB842_552:                            ;   in Loop: Header=BB842_396 Depth=2
	ds_load_b64 v[38:39], v110 offset:19456
	s_wait_dscnt 0x0
	v_lshrrev_b64 v[52:53], s48, v[38:39]
	v_xor_b32_e32 v39, 0x80000000, v39
	s_delay_alu instid0(VALU_DEP_2) | instskip(NEXT) | instid1(VALU_DEP_1)
	v_and_b32_e32 v2, s55, v52
	v_lshlrev_b32_e32 v2, 2, v2
	ds_load_b32 v2, v2
	s_wait_dscnt 0x0
	v_add_nc_u32_e32 v2, v2, v89
	s_delay_alu instid0(VALU_DEP_1) | instskip(NEXT) | instid1(VALU_DEP_1)
	v_lshlrev_b64_e32 v[52:53], 3, v[2:3]
	v_add_co_u32 v52, s24, s40, v52
	s_wait_alu 0xf1ff
	s_delay_alu instid0(VALU_DEP_2)
	v_add_co_ci_u32_e64 v53, null, s41, v53, s24
	global_store_b64 v[52:53], v[38:39], off
	s_wait_alu 0xfffe
	s_or_b32 exec_lo, exec_lo, s25
	v_cmp_lt_u32_e64 s24, v90, v164
	s_and_saveexec_b32 s26, s24
	s_cbranch_execz .LBB842_485
.LBB842_553:                            ;   in Loop: Header=BB842_396 Depth=2
	ds_load_b64 v[38:39], v110 offset:21504
	s_wait_dscnt 0x0
	v_lshrrev_b64 v[52:53], s48, v[38:39]
	v_xor_b32_e32 v39, 0x80000000, v39
	s_delay_alu instid0(VALU_DEP_2) | instskip(NEXT) | instid1(VALU_DEP_1)
	v_and_b32_e32 v2, s55, v52
	v_lshlrev_b32_e32 v2, 2, v2
	ds_load_b32 v2, v2
	s_wait_dscnt 0x0
	v_add_nc_u32_e32 v2, v2, v90
	s_delay_alu instid0(VALU_DEP_1) | instskip(NEXT) | instid1(VALU_DEP_1)
	v_lshlrev_b64_e32 v[52:53], 3, v[2:3]
	v_add_co_u32 v52, s25, s40, v52
	s_wait_alu 0xf1ff
	s_delay_alu instid0(VALU_DEP_2)
	v_add_co_ci_u32_e64 v53, null, s41, v53, s25
	global_store_b64 v[52:53], v[38:39], off
	s_wait_alu 0xfffe
	s_or_b32 exec_lo, exec_lo, s26
	v_cmp_lt_u32_e64 s25, v91, v164
	s_and_saveexec_b32 s27, s25
	s_cbranch_execz .LBB842_486
.LBB842_554:                            ;   in Loop: Header=BB842_396 Depth=2
	ds_load_b64 v[38:39], v110 offset:23552
	s_wait_dscnt 0x0
	v_lshrrev_b64 v[52:53], s48, v[38:39]
	v_xor_b32_e32 v39, 0x80000000, v39
	s_delay_alu instid0(VALU_DEP_2) | instskip(NEXT) | instid1(VALU_DEP_1)
	v_and_b32_e32 v2, s55, v52
	v_lshlrev_b32_e32 v2, 2, v2
	ds_load_b32 v2, v2
	s_wait_dscnt 0x0
	v_add_nc_u32_e32 v2, v2, v91
	s_delay_alu instid0(VALU_DEP_1) | instskip(NEXT) | instid1(VALU_DEP_1)
	v_lshlrev_b64_e32 v[52:53], 3, v[2:3]
	v_add_co_u32 v52, s26, s40, v52
	s_wait_alu 0xf1ff
	s_delay_alu instid0(VALU_DEP_2)
	v_add_co_ci_u32_e64 v53, null, s41, v53, s26
	global_store_b64 v[52:53], v[38:39], off
	s_wait_alu 0xfffe
	s_or_b32 exec_lo, exec_lo, s27
	v_cmp_lt_u32_e64 s26, v92, v164
	s_and_saveexec_b32 s28, s26
	s_cbranch_execz .LBB842_487
.LBB842_555:                            ;   in Loop: Header=BB842_396 Depth=2
	ds_load_b64 v[38:39], v110 offset:25600
	s_wait_dscnt 0x0
	v_lshrrev_b64 v[52:53], s48, v[38:39]
	v_xor_b32_e32 v39, 0x80000000, v39
	s_delay_alu instid0(VALU_DEP_2) | instskip(NEXT) | instid1(VALU_DEP_1)
	v_and_b32_e32 v2, s55, v52
	v_lshlrev_b32_e32 v2, 2, v2
	ds_load_b32 v2, v2
	s_wait_dscnt 0x0
	v_add_nc_u32_e32 v2, v2, v92
	s_delay_alu instid0(VALU_DEP_1) | instskip(NEXT) | instid1(VALU_DEP_1)
	v_lshlrev_b64_e32 v[52:53], 3, v[2:3]
	v_add_co_u32 v52, s27, s40, v52
	s_wait_alu 0xf1ff
	s_delay_alu instid0(VALU_DEP_2)
	v_add_co_ci_u32_e64 v53, null, s41, v53, s27
	global_store_b64 v[52:53], v[38:39], off
	s_wait_alu 0xfffe
	s_or_b32 exec_lo, exec_lo, s28
	v_cmp_lt_u32_e64 s27, v93, v164
	s_and_saveexec_b32 s29, s27
	s_cbranch_execz .LBB842_488
.LBB842_556:                            ;   in Loop: Header=BB842_396 Depth=2
	ds_load_b64 v[38:39], v110 offset:27648
	s_wait_dscnt 0x0
	v_lshrrev_b64 v[52:53], s48, v[38:39]
	v_xor_b32_e32 v39, 0x80000000, v39
	s_delay_alu instid0(VALU_DEP_2) | instskip(NEXT) | instid1(VALU_DEP_1)
	v_and_b32_e32 v2, s55, v52
	v_lshlrev_b32_e32 v2, 2, v2
	ds_load_b32 v2, v2
	s_wait_dscnt 0x0
	v_add_nc_u32_e32 v2, v2, v93
	s_delay_alu instid0(VALU_DEP_1) | instskip(NEXT) | instid1(VALU_DEP_1)
	v_lshlrev_b64_e32 v[52:53], 3, v[2:3]
	v_add_co_u32 v52, s28, s40, v52
	s_wait_alu 0xf1ff
	s_delay_alu instid0(VALU_DEP_2)
	v_add_co_ci_u32_e64 v53, null, s41, v53, s28
	global_store_b64 v[52:53], v[38:39], off
	s_wait_alu 0xfffe
	s_or_b32 exec_lo, exec_lo, s29
	v_cmp_lt_u32_e64 s28, v94, v164
	s_and_saveexec_b32 s30, s28
	s_cbranch_execz .LBB842_489
.LBB842_557:                            ;   in Loop: Header=BB842_396 Depth=2
	ds_load_b64 v[38:39], v110 offset:29696
	s_wait_dscnt 0x0
	v_lshrrev_b64 v[52:53], s48, v[38:39]
	v_xor_b32_e32 v39, 0x80000000, v39
	s_delay_alu instid0(VALU_DEP_2) | instskip(NEXT) | instid1(VALU_DEP_1)
	v_and_b32_e32 v2, s55, v52
	v_lshlrev_b32_e32 v2, 2, v2
	ds_load_b32 v2, v2
	s_wait_dscnt 0x0
	v_add_nc_u32_e32 v2, v2, v94
	s_delay_alu instid0(VALU_DEP_1) | instskip(NEXT) | instid1(VALU_DEP_1)
	v_lshlrev_b64_e32 v[52:53], 3, v[2:3]
	v_add_co_u32 v52, s29, s40, v52
	s_wait_alu 0xf1ff
	s_delay_alu instid0(VALU_DEP_2)
	v_add_co_ci_u32_e64 v53, null, s41, v53, s29
	global_store_b64 v[52:53], v[38:39], off
	s_wait_alu 0xfffe
	s_or_b32 exec_lo, exec_lo, s30
	v_cmp_lt_u32_e64 s29, v95, v164
	s_and_saveexec_b32 s58, s29
	s_cbranch_execnz .LBB842_490
	s_branch .LBB842_491
.LBB842_558:                            ;   in Loop: Header=BB842_396 Depth=2
	global_load_b64 v[36:37], v[38:39], off
	s_wait_alu 0xfffe
	s_or_b32 exec_lo, exec_lo, s30
	s_delay_alu instid0(SALU_CYCLE_1)
	s_mov_b32 s34, exec_lo
	v_cmpx_lt_u32_e64 v130, v164
	s_cbranch_execz .LBB842_493
.LBB842_559:                            ;   in Loop: Header=BB842_396 Depth=2
	global_load_b64 v[34:35], v[38:39], off offset:256
	s_wait_alu 0xfffe
	s_or_b32 exec_lo, exec_lo, s34
	s_delay_alu instid0(SALU_CYCLE_1)
	s_mov_b32 s34, exec_lo
	v_cmpx_lt_u32_e64 v131, v164
	s_cbranch_execz .LBB842_494
.LBB842_560:                            ;   in Loop: Header=BB842_396 Depth=2
	global_load_b64 v[32:33], v[38:39], off offset:512
	s_wait_alu 0xfffe
	s_or_b32 exec_lo, exec_lo, s34
	s_delay_alu instid0(SALU_CYCLE_1)
	s_mov_b32 s34, exec_lo
	v_cmpx_lt_u32_e64 v132, v164
	s_cbranch_execz .LBB842_495
.LBB842_561:                            ;   in Loop: Header=BB842_396 Depth=2
	global_load_b64 v[30:31], v[38:39], off offset:768
	s_wait_alu 0xfffe
	s_or_b32 exec_lo, exec_lo, s34
	s_delay_alu instid0(SALU_CYCLE_1)
	s_mov_b32 s34, exec_lo
	v_cmpx_lt_u32_e64 v133, v164
	s_cbranch_execz .LBB842_496
.LBB842_562:                            ;   in Loop: Header=BB842_396 Depth=2
	global_load_b64 v[28:29], v[38:39], off offset:1024
	s_wait_alu 0xfffe
	s_or_b32 exec_lo, exec_lo, s34
	s_delay_alu instid0(SALU_CYCLE_1)
	s_mov_b32 s34, exec_lo
	v_cmpx_lt_u32_e64 v134, v164
	s_cbranch_execz .LBB842_497
.LBB842_563:                            ;   in Loop: Header=BB842_396 Depth=2
	global_load_b64 v[26:27], v[38:39], off offset:1280
	s_wait_alu 0xfffe
	s_or_b32 exec_lo, exec_lo, s34
	s_delay_alu instid0(SALU_CYCLE_1)
	s_mov_b32 s34, exec_lo
	v_cmpx_lt_u32_e64 v135, v164
	s_cbranch_execz .LBB842_498
.LBB842_564:                            ;   in Loop: Header=BB842_396 Depth=2
	global_load_b64 v[24:25], v[38:39], off offset:1536
	s_wait_alu 0xfffe
	s_or_b32 exec_lo, exec_lo, s34
	s_delay_alu instid0(SALU_CYCLE_1)
	s_mov_b32 s34, exec_lo
	v_cmpx_lt_u32_e64 v136, v164
	s_cbranch_execz .LBB842_499
.LBB842_565:                            ;   in Loop: Header=BB842_396 Depth=2
	global_load_b64 v[22:23], v[38:39], off offset:1792
	s_wait_alu 0xfffe
	s_or_b32 exec_lo, exec_lo, s34
	s_delay_alu instid0(SALU_CYCLE_1)
	s_mov_b32 s34, exec_lo
	v_cmpx_lt_u32_e64 v137, v164
	s_cbranch_execz .LBB842_500
.LBB842_566:                            ;   in Loop: Header=BB842_396 Depth=2
	global_load_b64 v[20:21], v[38:39], off offset:2048
	s_wait_alu 0xfffe
	s_or_b32 exec_lo, exec_lo, s34
	s_delay_alu instid0(SALU_CYCLE_1)
	s_mov_b32 s34, exec_lo
	v_cmpx_lt_u32_e64 v138, v164
	s_cbranch_execz .LBB842_501
.LBB842_567:                            ;   in Loop: Header=BB842_396 Depth=2
	global_load_b64 v[18:19], v[38:39], off offset:2304
	s_wait_alu 0xfffe
	s_or_b32 exec_lo, exec_lo, s34
	s_delay_alu instid0(SALU_CYCLE_1)
	s_mov_b32 s34, exec_lo
	v_cmpx_lt_u32_e64 v139, v164
	s_cbranch_execz .LBB842_502
.LBB842_568:                            ;   in Loop: Header=BB842_396 Depth=2
	global_load_b64 v[16:17], v[38:39], off offset:2560
	s_wait_alu 0xfffe
	s_or_b32 exec_lo, exec_lo, s34
	s_delay_alu instid0(SALU_CYCLE_1)
	s_mov_b32 s34, exec_lo
	v_cmpx_lt_u32_e64 v140, v164
	s_cbranch_execz .LBB842_503
.LBB842_569:                            ;   in Loop: Header=BB842_396 Depth=2
	global_load_b64 v[14:15], v[38:39], off offset:2816
	s_wait_alu 0xfffe
	s_or_b32 exec_lo, exec_lo, s34
	s_delay_alu instid0(SALU_CYCLE_1)
	s_mov_b32 s34, exec_lo
	v_cmpx_lt_u32_e64 v141, v164
	s_cbranch_execz .LBB842_504
.LBB842_570:                            ;   in Loop: Header=BB842_396 Depth=2
	global_load_b64 v[12:13], v[38:39], off offset:3072
	s_wait_alu 0xfffe
	s_or_b32 exec_lo, exec_lo, s34
	s_delay_alu instid0(SALU_CYCLE_1)
	s_mov_b32 s34, exec_lo
	v_cmpx_lt_u32_e64 v142, v164
	s_cbranch_execz .LBB842_505
.LBB842_571:                            ;   in Loop: Header=BB842_396 Depth=2
	global_load_b64 v[10:11], v[38:39], off offset:3328
	s_wait_alu 0xfffe
	s_or_b32 exec_lo, exec_lo, s34
	s_delay_alu instid0(SALU_CYCLE_1)
	s_mov_b32 s34, exec_lo
	v_cmpx_lt_u32_e64 v143, v164
	s_cbranch_execz .LBB842_506
.LBB842_572:                            ;   in Loop: Header=BB842_396 Depth=2
	global_load_b64 v[8:9], v[38:39], off offset:3584
	s_wait_alu 0xfffe
	s_or_b32 exec_lo, exec_lo, s34
	s_delay_alu instid0(SALU_CYCLE_1)
	s_mov_b32 s34, exec_lo
	v_cmpx_lt_u32_e64 v144, v164
	s_cbranch_execz .LBB842_507
.LBB842_573:                            ;   in Loop: Header=BB842_396 Depth=2
	global_load_b64 v[6:7], v[38:39], off offset:3840
	s_wait_alu 0xfffe
	s_or_b32 exec_lo, exec_lo, s34
	s_and_saveexec_b32 s30, vcc_lo
	s_cbranch_execz .LBB842_508
.LBB842_574:                            ;   in Loop: Header=BB842_396 Depth=2
	ds_load_b64 v[38:39], v110 offset:1024
	s_wait_dscnt 0x0
	v_lshrrev_b64 v[38:39], s48, v[38:39]
	s_delay_alu instid0(VALU_DEP_1)
	v_and_b32_e32 v163, s55, v38
	s_wait_alu 0xfffe
	s_or_b32 exec_lo, exec_lo, s30
	s_and_saveexec_b32 s30, s15
	s_cbranch_execz .LBB842_509
.LBB842_575:                            ;   in Loop: Header=BB842_396 Depth=2
	ds_load_b64 v[38:39], v110 offset:3072
	s_wait_dscnt 0x0
	v_lshrrev_b64 v[38:39], s48, v[38:39]
	s_delay_alu instid0(VALU_DEP_1)
	v_and_b32_e32 v162, s55, v38
	s_wait_alu 0xfffe
	s_or_b32 exec_lo, exec_lo, s30
	s_and_saveexec_b32 s30, s16
	s_cbranch_execz .LBB842_510
.LBB842_576:                            ;   in Loop: Header=BB842_396 Depth=2
	ds_load_b64 v[38:39], v110 offset:5120
	s_wait_dscnt 0x0
	v_lshrrev_b64 v[38:39], s48, v[38:39]
	s_delay_alu instid0(VALU_DEP_1)
	v_and_b32_e32 v161, s55, v38
	s_wait_alu 0xfffe
	s_or_b32 exec_lo, exec_lo, s30
	s_and_saveexec_b32 s30, s17
	s_cbranch_execz .LBB842_511
.LBB842_577:                            ;   in Loop: Header=BB842_396 Depth=2
	ds_load_b64 v[38:39], v110 offset:7168
	s_wait_dscnt 0x0
	v_lshrrev_b64 v[38:39], s48, v[38:39]
	s_delay_alu instid0(VALU_DEP_1)
	v_and_b32_e32 v160, s55, v38
	s_wait_alu 0xfffe
	s_or_b32 exec_lo, exec_lo, s30
	s_and_saveexec_b32 s30, s18
	s_cbranch_execz .LBB842_512
.LBB842_578:                            ;   in Loop: Header=BB842_396 Depth=2
	ds_load_b64 v[38:39], v110 offset:9216
	s_wait_dscnt 0x0
	v_lshrrev_b64 v[38:39], s48, v[38:39]
	s_delay_alu instid0(VALU_DEP_1)
	v_and_b32_e32 v159, s55, v38
	s_wait_alu 0xfffe
	s_or_b32 exec_lo, exec_lo, s30
	s_and_saveexec_b32 s30, s19
	s_cbranch_execz .LBB842_513
.LBB842_579:                            ;   in Loop: Header=BB842_396 Depth=2
	ds_load_b64 v[38:39], v110 offset:11264
	s_wait_dscnt 0x0
	v_lshrrev_b64 v[38:39], s48, v[38:39]
	s_delay_alu instid0(VALU_DEP_1)
	v_and_b32_e32 v158, s55, v38
	s_wait_alu 0xfffe
	s_or_b32 exec_lo, exec_lo, s30
	s_and_saveexec_b32 s30, s20
	s_cbranch_execz .LBB842_514
.LBB842_580:                            ;   in Loop: Header=BB842_396 Depth=2
	ds_load_b64 v[38:39], v110 offset:13312
	s_wait_dscnt 0x0
	v_lshrrev_b64 v[38:39], s48, v[38:39]
	s_delay_alu instid0(VALU_DEP_1)
	v_and_b32_e32 v157, s55, v38
	s_wait_alu 0xfffe
	s_or_b32 exec_lo, exec_lo, s30
	s_and_saveexec_b32 s30, s21
	s_cbranch_execz .LBB842_515
.LBB842_581:                            ;   in Loop: Header=BB842_396 Depth=2
	ds_load_b64 v[38:39], v110 offset:15360
	s_wait_dscnt 0x0
	v_lshrrev_b64 v[38:39], s48, v[38:39]
	s_delay_alu instid0(VALU_DEP_1)
	v_and_b32_e32 v156, s55, v38
	s_wait_alu 0xfffe
	s_or_b32 exec_lo, exec_lo, s30
	s_and_saveexec_b32 s30, s22
	s_cbranch_execz .LBB842_516
.LBB842_582:                            ;   in Loop: Header=BB842_396 Depth=2
	ds_load_b64 v[38:39], v110 offset:17408
	s_wait_dscnt 0x0
	v_lshrrev_b64 v[38:39], s48, v[38:39]
	s_delay_alu instid0(VALU_DEP_1)
	v_and_b32_e32 v155, s55, v38
	s_wait_alu 0xfffe
	s_or_b32 exec_lo, exec_lo, s30
	s_and_saveexec_b32 s30, s23
	s_cbranch_execz .LBB842_517
.LBB842_583:                            ;   in Loop: Header=BB842_396 Depth=2
	ds_load_b64 v[38:39], v110 offset:19456
	s_wait_dscnt 0x0
	v_lshrrev_b64 v[38:39], s48, v[38:39]
	s_delay_alu instid0(VALU_DEP_1)
	v_and_b32_e32 v154, s55, v38
	s_wait_alu 0xfffe
	s_or_b32 exec_lo, exec_lo, s30
	s_and_saveexec_b32 s30, s24
	s_cbranch_execz .LBB842_518
.LBB842_584:                            ;   in Loop: Header=BB842_396 Depth=2
	ds_load_b64 v[38:39], v110 offset:21504
	s_wait_dscnt 0x0
	v_lshrrev_b64 v[38:39], s48, v[38:39]
	s_delay_alu instid0(VALU_DEP_1)
	v_and_b32_e32 v153, s55, v38
	s_wait_alu 0xfffe
	s_or_b32 exec_lo, exec_lo, s30
	s_and_saveexec_b32 s30, s25
	s_cbranch_execz .LBB842_519
.LBB842_585:                            ;   in Loop: Header=BB842_396 Depth=2
	ds_load_b64 v[38:39], v110 offset:23552
	s_wait_dscnt 0x0
	v_lshrrev_b64 v[38:39], s48, v[38:39]
	s_delay_alu instid0(VALU_DEP_1)
	v_and_b32_e32 v152, s55, v38
	s_wait_alu 0xfffe
	s_or_b32 exec_lo, exec_lo, s30
	s_and_saveexec_b32 s30, s26
	s_cbranch_execz .LBB842_520
.LBB842_586:                            ;   in Loop: Header=BB842_396 Depth=2
	ds_load_b64 v[38:39], v110 offset:25600
	s_wait_dscnt 0x0
	v_lshrrev_b64 v[38:39], s48, v[38:39]
	s_delay_alu instid0(VALU_DEP_1)
	v_and_b32_e32 v151, s55, v38
	s_wait_alu 0xfffe
	s_or_b32 exec_lo, exec_lo, s30
	s_and_saveexec_b32 s30, s27
	s_cbranch_execz .LBB842_521
.LBB842_587:                            ;   in Loop: Header=BB842_396 Depth=2
	ds_load_b64 v[38:39], v110 offset:27648
	s_wait_dscnt 0x0
	v_lshrrev_b64 v[38:39], s48, v[38:39]
	s_delay_alu instid0(VALU_DEP_1)
	v_and_b32_e32 v150, s55, v38
	s_wait_alu 0xfffe
	s_or_b32 exec_lo, exec_lo, s30
	s_and_saveexec_b32 s30, s28
	s_cbranch_execz .LBB842_522
.LBB842_588:                            ;   in Loop: Header=BB842_396 Depth=2
	ds_load_b64 v[38:39], v110 offset:29696
	s_wait_dscnt 0x0
	v_lshrrev_b64 v[38:39], s48, v[38:39]
	s_delay_alu instid0(VALU_DEP_1)
	v_and_b32_e32 v149, s55, v38
	s_wait_alu 0xfffe
	s_or_b32 exec_lo, exec_lo, s30
	s_and_saveexec_b32 s30, s29
	s_cbranch_execnz .LBB842_523
	s_branch .LBB842_524
.LBB842_589:                            ;   in Loop: Header=BB842_396 Depth=2
	v_lshlrev_b32_e32 v2, 2, v163
	ds_load_b32 v2, v2
	ds_load_b64 v[38:39], v110 offset:1024
	s_wait_dscnt 0x1
	v_add_nc_u32_e32 v2, v2, v1
	s_delay_alu instid0(VALU_DEP_1) | instskip(NEXT) | instid1(VALU_DEP_1)
	v_lshlrev_b64_e32 v[40:41], 3, v[2:3]
	v_add_co_u32 v40, vcc_lo, s46, v40
	s_wait_alu 0xfffd
	s_delay_alu instid0(VALU_DEP_2)
	v_add_co_ci_u32_e64 v41, null, s47, v41, vcc_lo
	s_wait_dscnt 0x0
	global_store_b64 v[40:41], v[38:39], off
	s_wait_alu 0xfffe
	s_or_b32 exec_lo, exec_lo, s30
	s_and_saveexec_b32 s30, s15
	s_cbranch_execz .LBB842_526
.LBB842_590:                            ;   in Loop: Header=BB842_396 Depth=2
	v_lshlrev_b32_e32 v2, 2, v162
	ds_load_b32 v2, v2
	ds_load_b64 v[38:39], v110 offset:3072
	s_wait_dscnt 0x1
	v_add_nc_u32_e32 v2, v2, v79
	s_delay_alu instid0(VALU_DEP_1) | instskip(NEXT) | instid1(VALU_DEP_1)
	v_lshlrev_b64_e32 v[40:41], 3, v[2:3]
	v_add_co_u32 v40, vcc_lo, s46, v40
	s_wait_alu 0xfffd
	s_delay_alu instid0(VALU_DEP_2)
	v_add_co_ci_u32_e64 v41, null, s47, v41, vcc_lo
	s_wait_dscnt 0x0
	global_store_b64 v[40:41], v[38:39], off
	s_wait_alu 0xfffe
	s_or_b32 exec_lo, exec_lo, s30
	s_and_saveexec_b32 s15, s16
	s_cbranch_execz .LBB842_527
.LBB842_591:                            ;   in Loop: Header=BB842_396 Depth=2
	v_lshlrev_b32_e32 v2, 2, v161
	ds_load_b32 v2, v2
	ds_load_b64 v[38:39], v110 offset:5120
	s_wait_dscnt 0x1
	v_add_nc_u32_e32 v2, v2, v80
	s_delay_alu instid0(VALU_DEP_1) | instskip(NEXT) | instid1(VALU_DEP_1)
	v_lshlrev_b64_e32 v[40:41], 3, v[2:3]
	v_add_co_u32 v40, vcc_lo, s46, v40
	s_wait_alu 0xfffd
	s_delay_alu instid0(VALU_DEP_2)
	v_add_co_ci_u32_e64 v41, null, s47, v41, vcc_lo
	s_wait_dscnt 0x0
	global_store_b64 v[40:41], v[38:39], off
	s_wait_alu 0xfffe
	s_or_b32 exec_lo, exec_lo, s15
	s_and_saveexec_b32 s15, s17
	s_cbranch_execz .LBB842_528
.LBB842_592:                            ;   in Loop: Header=BB842_396 Depth=2
	v_lshlrev_b32_e32 v2, 2, v160
	ds_load_b32 v2, v2
	ds_load_b64 v[38:39], v110 offset:7168
	s_wait_dscnt 0x1
	v_add_nc_u32_e32 v2, v2, v81
	s_delay_alu instid0(VALU_DEP_1) | instskip(NEXT) | instid1(VALU_DEP_1)
	v_lshlrev_b64_e32 v[40:41], 3, v[2:3]
	v_add_co_u32 v40, vcc_lo, s46, v40
	s_wait_alu 0xfffd
	s_delay_alu instid0(VALU_DEP_2)
	v_add_co_ci_u32_e64 v41, null, s47, v41, vcc_lo
	s_wait_dscnt 0x0
	global_store_b64 v[40:41], v[38:39], off
	s_wait_alu 0xfffe
	s_or_b32 exec_lo, exec_lo, s15
	s_and_saveexec_b32 s15, s18
	s_cbranch_execz .LBB842_529
.LBB842_593:                            ;   in Loop: Header=BB842_396 Depth=2
	v_lshlrev_b32_e32 v2, 2, v159
	ds_load_b32 v2, v2
	ds_load_b64 v[38:39], v110 offset:9216
	s_wait_dscnt 0x1
	v_add_nc_u32_e32 v2, v2, v84
	s_delay_alu instid0(VALU_DEP_1) | instskip(NEXT) | instid1(VALU_DEP_1)
	v_lshlrev_b64_e32 v[40:41], 3, v[2:3]
	v_add_co_u32 v40, vcc_lo, s46, v40
	s_wait_alu 0xfffd
	s_delay_alu instid0(VALU_DEP_2)
	v_add_co_ci_u32_e64 v41, null, s47, v41, vcc_lo
	s_wait_dscnt 0x0
	global_store_b64 v[40:41], v[38:39], off
	s_wait_alu 0xfffe
	s_or_b32 exec_lo, exec_lo, s15
	s_and_saveexec_b32 s15, s19
	s_cbranch_execz .LBB842_530
.LBB842_594:                            ;   in Loop: Header=BB842_396 Depth=2
	v_lshlrev_b32_e32 v2, 2, v158
	ds_load_b32 v2, v2
	ds_load_b64 v[38:39], v110 offset:11264
	s_wait_dscnt 0x1
	v_add_nc_u32_e32 v2, v2, v85
	s_delay_alu instid0(VALU_DEP_1) | instskip(NEXT) | instid1(VALU_DEP_1)
	v_lshlrev_b64_e32 v[40:41], 3, v[2:3]
	v_add_co_u32 v40, vcc_lo, s46, v40
	s_wait_alu 0xfffd
	s_delay_alu instid0(VALU_DEP_2)
	v_add_co_ci_u32_e64 v41, null, s47, v41, vcc_lo
	s_wait_dscnt 0x0
	global_store_b64 v[40:41], v[38:39], off
	s_wait_alu 0xfffe
	s_or_b32 exec_lo, exec_lo, s15
	s_and_saveexec_b32 s15, s20
	s_cbranch_execz .LBB842_531
.LBB842_595:                            ;   in Loop: Header=BB842_396 Depth=2
	v_lshlrev_b32_e32 v2, 2, v157
	ds_load_b32 v2, v2
	ds_load_b64 v[38:39], v110 offset:13312
	s_wait_dscnt 0x1
	v_add_nc_u32_e32 v2, v2, v86
	s_delay_alu instid0(VALU_DEP_1) | instskip(NEXT) | instid1(VALU_DEP_1)
	v_lshlrev_b64_e32 v[40:41], 3, v[2:3]
	v_add_co_u32 v40, vcc_lo, s46, v40
	s_wait_alu 0xfffd
	s_delay_alu instid0(VALU_DEP_2)
	v_add_co_ci_u32_e64 v41, null, s47, v41, vcc_lo
	s_wait_dscnt 0x0
	global_store_b64 v[40:41], v[38:39], off
	s_wait_alu 0xfffe
	s_or_b32 exec_lo, exec_lo, s15
	s_and_saveexec_b32 s15, s21
	s_cbranch_execz .LBB842_532
.LBB842_596:                            ;   in Loop: Header=BB842_396 Depth=2
	v_lshlrev_b32_e32 v2, 2, v156
	ds_load_b32 v2, v2
	ds_load_b64 v[38:39], v110 offset:15360
	s_wait_dscnt 0x1
	v_add_nc_u32_e32 v2, v2, v87
	s_delay_alu instid0(VALU_DEP_1) | instskip(NEXT) | instid1(VALU_DEP_1)
	v_lshlrev_b64_e32 v[40:41], 3, v[2:3]
	v_add_co_u32 v40, vcc_lo, s46, v40
	s_wait_alu 0xfffd
	s_delay_alu instid0(VALU_DEP_2)
	v_add_co_ci_u32_e64 v41, null, s47, v41, vcc_lo
	s_wait_dscnt 0x0
	global_store_b64 v[40:41], v[38:39], off
	s_wait_alu 0xfffe
	s_or_b32 exec_lo, exec_lo, s15
	s_and_saveexec_b32 s15, s22
	s_cbranch_execz .LBB842_533
.LBB842_597:                            ;   in Loop: Header=BB842_396 Depth=2
	v_lshlrev_b32_e32 v2, 2, v155
	ds_load_b32 v2, v2
	ds_load_b64 v[38:39], v110 offset:17408
	s_wait_dscnt 0x1
	v_add_nc_u32_e32 v2, v2, v88
	s_delay_alu instid0(VALU_DEP_1) | instskip(NEXT) | instid1(VALU_DEP_1)
	v_lshlrev_b64_e32 v[40:41], 3, v[2:3]
	v_add_co_u32 v40, vcc_lo, s46, v40
	s_wait_alu 0xfffd
	s_delay_alu instid0(VALU_DEP_2)
	v_add_co_ci_u32_e64 v41, null, s47, v41, vcc_lo
	s_wait_dscnt 0x0
	global_store_b64 v[40:41], v[38:39], off
	s_wait_alu 0xfffe
	s_or_b32 exec_lo, exec_lo, s15
	s_and_saveexec_b32 s15, s23
	s_cbranch_execz .LBB842_534
.LBB842_598:                            ;   in Loop: Header=BB842_396 Depth=2
	v_lshlrev_b32_e32 v2, 2, v154
	ds_load_b32 v2, v2
	ds_load_b64 v[38:39], v110 offset:19456
	s_wait_dscnt 0x1
	v_add_nc_u32_e32 v2, v2, v89
	s_delay_alu instid0(VALU_DEP_1) | instskip(NEXT) | instid1(VALU_DEP_1)
	v_lshlrev_b64_e32 v[40:41], 3, v[2:3]
	v_add_co_u32 v40, vcc_lo, s46, v40
	s_wait_alu 0xfffd
	s_delay_alu instid0(VALU_DEP_2)
	v_add_co_ci_u32_e64 v41, null, s47, v41, vcc_lo
	s_wait_dscnt 0x0
	global_store_b64 v[40:41], v[38:39], off
	s_wait_alu 0xfffe
	s_or_b32 exec_lo, exec_lo, s15
	s_and_saveexec_b32 s15, s24
	s_cbranch_execz .LBB842_535
.LBB842_599:                            ;   in Loop: Header=BB842_396 Depth=2
	v_lshlrev_b32_e32 v2, 2, v153
	ds_load_b32 v2, v2
	ds_load_b64 v[38:39], v110 offset:21504
	s_wait_dscnt 0x1
	v_add_nc_u32_e32 v2, v2, v90
	s_delay_alu instid0(VALU_DEP_1) | instskip(NEXT) | instid1(VALU_DEP_1)
	v_lshlrev_b64_e32 v[40:41], 3, v[2:3]
	v_add_co_u32 v40, vcc_lo, s46, v40
	s_wait_alu 0xfffd
	s_delay_alu instid0(VALU_DEP_2)
	v_add_co_ci_u32_e64 v41, null, s47, v41, vcc_lo
	s_wait_dscnt 0x0
	global_store_b64 v[40:41], v[38:39], off
	s_wait_alu 0xfffe
	s_or_b32 exec_lo, exec_lo, s15
	s_and_saveexec_b32 s15, s25
	s_cbranch_execz .LBB842_536
.LBB842_600:                            ;   in Loop: Header=BB842_396 Depth=2
	v_lshlrev_b32_e32 v2, 2, v152
	ds_load_b32 v2, v2
	ds_load_b64 v[38:39], v110 offset:23552
	s_wait_dscnt 0x1
	v_add_nc_u32_e32 v2, v2, v91
	s_delay_alu instid0(VALU_DEP_1) | instskip(NEXT) | instid1(VALU_DEP_1)
	v_lshlrev_b64_e32 v[40:41], 3, v[2:3]
	v_add_co_u32 v40, vcc_lo, s46, v40
	s_wait_alu 0xfffd
	s_delay_alu instid0(VALU_DEP_2)
	v_add_co_ci_u32_e64 v41, null, s47, v41, vcc_lo
	s_wait_dscnt 0x0
	global_store_b64 v[40:41], v[38:39], off
	s_wait_alu 0xfffe
	s_or_b32 exec_lo, exec_lo, s15
	s_and_saveexec_b32 s15, s26
	s_cbranch_execz .LBB842_537
.LBB842_601:                            ;   in Loop: Header=BB842_396 Depth=2
	v_lshlrev_b32_e32 v2, 2, v151
	ds_load_b32 v2, v2
	ds_load_b64 v[38:39], v110 offset:25600
	s_wait_dscnt 0x1
	v_add_nc_u32_e32 v2, v2, v92
	s_delay_alu instid0(VALU_DEP_1) | instskip(NEXT) | instid1(VALU_DEP_1)
	v_lshlrev_b64_e32 v[40:41], 3, v[2:3]
	v_add_co_u32 v40, vcc_lo, s46, v40
	s_wait_alu 0xfffd
	s_delay_alu instid0(VALU_DEP_2)
	v_add_co_ci_u32_e64 v41, null, s47, v41, vcc_lo
	s_wait_dscnt 0x0
	global_store_b64 v[40:41], v[38:39], off
	s_wait_alu 0xfffe
	s_or_b32 exec_lo, exec_lo, s15
	s_and_saveexec_b32 s15, s27
	s_cbranch_execz .LBB842_538
.LBB842_602:                            ;   in Loop: Header=BB842_396 Depth=2
	v_lshlrev_b32_e32 v2, 2, v150
	ds_load_b32 v2, v2
	ds_load_b64 v[38:39], v110 offset:27648
	s_wait_dscnt 0x1
	v_add_nc_u32_e32 v2, v2, v93
	s_delay_alu instid0(VALU_DEP_1) | instskip(NEXT) | instid1(VALU_DEP_1)
	v_lshlrev_b64_e32 v[40:41], 3, v[2:3]
	v_add_co_u32 v40, vcc_lo, s46, v40
	s_wait_alu 0xfffd
	s_delay_alu instid0(VALU_DEP_2)
	v_add_co_ci_u32_e64 v41, null, s47, v41, vcc_lo
	s_wait_dscnt 0x0
	global_store_b64 v[40:41], v[38:39], off
	s_wait_alu 0xfffe
	s_or_b32 exec_lo, exec_lo, s15
	s_and_saveexec_b32 s15, s28
	s_cbranch_execz .LBB842_539
.LBB842_603:                            ;   in Loop: Header=BB842_396 Depth=2
	v_lshlrev_b32_e32 v2, 2, v149
	ds_load_b32 v2, v2
	ds_load_b64 v[38:39], v110 offset:29696
	s_wait_dscnt 0x1
	v_add_nc_u32_e32 v2, v2, v94
	s_delay_alu instid0(VALU_DEP_1) | instskip(NEXT) | instid1(VALU_DEP_1)
	v_lshlrev_b64_e32 v[40:41], 3, v[2:3]
	v_add_co_u32 v40, vcc_lo, s46, v40
	s_wait_alu 0xfffd
	s_delay_alu instid0(VALU_DEP_2)
	v_add_co_ci_u32_e64 v41, null, s47, v41, vcc_lo
	s_wait_dscnt 0x0
	global_store_b64 v[40:41], v[38:39], off
	s_wait_alu 0xfffe
	s_or_b32 exec_lo, exec_lo, s15
	s_and_saveexec_b32 s15, s29
	s_cbranch_execnz .LBB842_540
	s_branch .LBB842_541
.LBB842_604:                            ;   in Loop: Header=BB842_20 Depth=1
	s_wait_loadcnt_dscnt 0x0
	s_barrier_signal -1
	s_barrier_wait -1
.LBB842_605:                            ;   in Loop: Header=BB842_20 Depth=1
	s_mov_b32 s0, 0
.LBB842_606:                            ;   in Loop: Header=BB842_20 Depth=1
	s_wait_alu 0xfffe
	s_and_not1_b32 vcc_lo, exec_lo, s0
	s_wait_alu 0xfffe
	s_cbranch_vccnz .LBB842_19
; %bb.607:                              ;   in Loop: Header=BB842_20 Depth=1
	s_lshl_b32 s0, -1, s54
	s_and_b32 vcc_lo, exec_lo, s52
	s_wait_alu 0xfffe
	s_not_b32 s54, s0
	s_mov_b32 s0, -1
	s_cbranch_vccz .LBB842_899
; %bb.608:                              ;   in Loop: Header=BB842_20 Depth=1
	s_mov_b32 s8, s53
	s_mov_b32 s34, s33
	s_barrier_signal -1
	s_barrier_wait -1
	global_inv scope:SCOPE_SE
                                        ; implicit-def: $vgpr6_vgpr7
                                        ; implicit-def: $vgpr8_vgpr9
                                        ; implicit-def: $vgpr10_vgpr11
                                        ; implicit-def: $vgpr12_vgpr13
                                        ; implicit-def: $vgpr14_vgpr15
                                        ; implicit-def: $vgpr16_vgpr17
                                        ; implicit-def: $vgpr18_vgpr19
                                        ; implicit-def: $vgpr20_vgpr21
                                        ; implicit-def: $vgpr22_vgpr23
                                        ; implicit-def: $vgpr24_vgpr25
                                        ; implicit-def: $vgpr26_vgpr27
                                        ; implicit-def: $vgpr28_vgpr29
                                        ; implicit-def: $vgpr30_vgpr31
                                        ; implicit-def: $vgpr32_vgpr33
                                        ; implicit-def: $vgpr34_vgpr35
                                        ; implicit-def: $vgpr36_vgpr37
	s_branch .LBB842_610
.LBB842_609:                            ;   in Loop: Header=BB842_610 Depth=2
	s_wait_alu 0xfffe
	s_or_b32 exec_lo, exec_lo, s0
	s_addk_co_i32 s8, 0xf000
	s_cmp_ge_u32 s9, s51
	s_mov_b32 s34, s9
	s_cbranch_scc1 .LBB842_678
.LBB842_610:                            ;   Parent Loop BB842_20 Depth=1
                                        ; =>  This Inner Loop Header: Depth=2
	s_wait_alu 0xfffe
	s_add_co_i32 s9, s34, 0x1000
	s_mov_b32 s0, -1
	s_wait_alu 0xfffe
	s_cmp_gt_u32 s9, s51
                                        ; implicit-def: $vgpr38_vgpr39
                                        ; implicit-def: $vgpr40_vgpr41
                                        ; implicit-def: $vgpr42_vgpr43
                                        ; implicit-def: $vgpr44_vgpr45
                                        ; implicit-def: $vgpr46_vgpr47
                                        ; implicit-def: $vgpr48_vgpr49
                                        ; implicit-def: $vgpr50_vgpr51
                                        ; implicit-def: $vgpr52_vgpr53
                                        ; implicit-def: $vgpr54_vgpr55
                                        ; implicit-def: $vgpr56_vgpr57
                                        ; implicit-def: $vgpr58_vgpr59
                                        ; implicit-def: $vgpr60_vgpr61
                                        ; implicit-def: $vgpr62_vgpr63
                                        ; implicit-def: $vgpr64_vgpr65
                                        ; implicit-def: $vgpr66_vgpr67
                                        ; implicit-def: $vgpr68_vgpr69
	s_cbranch_scc1 .LBB842_612
; %bb.611:                              ;   in Loop: Header=BB842_610 Depth=2
	s_lshl_b64 s[0:1], s[34:35], 3
	s_wait_alu 0xfffe
	v_add_co_u32 v68, vcc_lo, v117, s0
	s_wait_alu 0xfffd
	v_add_co_ci_u32_e64 v69, null, s1, v118, vcc_lo
	s_mov_b32 s0, 0
	s_clause 0xf
	global_load_b64 v[38:39], v[68:69], off
	global_load_b64 v[40:41], v[68:69], off offset:2048
	global_load_b64 v[42:43], v[68:69], off offset:4096
	;; [unrolled: 1-line block ×15, first 2 shown]
.LBB842_612:                            ;   in Loop: Header=BB842_610 Depth=2
	s_wait_alu 0xfffe
	s_and_not1_b32 vcc_lo, exec_lo, s0
	s_movk_i32 s0, 0x1000
	s_wait_alu 0xfffe
	s_cbranch_vccnz .LBB842_631
; %bb.613:                              ;   in Loop: Header=BB842_610 Depth=2
	s_lshl_b64 s[0:1], s[34:35], 3
	s_mov_b32 s10, exec_lo
	s_wait_alu 0xfffe
	s_add_nc_u64 s[0:1], s[36:37], s[0:1]
	v_cmpx_gt_u32_e64 s8, v1
	s_cbranch_execnz .LBB842_663
; %bb.614:                              ;   in Loop: Header=BB842_610 Depth=2
	s_or_b32 exec_lo, exec_lo, s10
	s_delay_alu instid0(SALU_CYCLE_1)
	s_mov_b32 s10, exec_lo
	v_cmpx_gt_u32_e64 s8, v79
	s_cbranch_execnz .LBB842_664
.LBB842_615:                            ;   in Loop: Header=BB842_610 Depth=2
	s_wait_alu 0xfffe
	s_or_b32 exec_lo, exec_lo, s10
	s_delay_alu instid0(SALU_CYCLE_1)
	s_mov_b32 s10, exec_lo
	v_cmpx_gt_u32_e64 s8, v80
	s_cbranch_execnz .LBB842_665
.LBB842_616:                            ;   in Loop: Header=BB842_610 Depth=2
	s_wait_alu 0xfffe
	s_or_b32 exec_lo, exec_lo, s10
	s_delay_alu instid0(SALU_CYCLE_1)
	s_mov_b32 s10, exec_lo
	v_cmpx_gt_u32_e64 s8, v81
	s_cbranch_execnz .LBB842_666
.LBB842_617:                            ;   in Loop: Header=BB842_610 Depth=2
	s_wait_alu 0xfffe
	s_or_b32 exec_lo, exec_lo, s10
	s_delay_alu instid0(SALU_CYCLE_1)
	s_mov_b32 s10, exec_lo
	v_cmpx_gt_u32_e64 s8, v84
	s_cbranch_execnz .LBB842_667
.LBB842_618:                            ;   in Loop: Header=BB842_610 Depth=2
	s_wait_alu 0xfffe
	s_or_b32 exec_lo, exec_lo, s10
	s_delay_alu instid0(SALU_CYCLE_1)
	s_mov_b32 s10, exec_lo
	v_cmpx_gt_u32_e64 s8, v85
	s_cbranch_execnz .LBB842_668
.LBB842_619:                            ;   in Loop: Header=BB842_610 Depth=2
	s_wait_alu 0xfffe
	s_or_b32 exec_lo, exec_lo, s10
	s_delay_alu instid0(SALU_CYCLE_1)
	s_mov_b32 s10, exec_lo
	v_cmpx_gt_u32_e64 s8, v86
	s_cbranch_execnz .LBB842_669
.LBB842_620:                            ;   in Loop: Header=BB842_610 Depth=2
	s_wait_alu 0xfffe
	s_or_b32 exec_lo, exec_lo, s10
	s_delay_alu instid0(SALU_CYCLE_1)
	s_mov_b32 s10, exec_lo
	v_cmpx_gt_u32_e64 s8, v87
	s_cbranch_execnz .LBB842_670
.LBB842_621:                            ;   in Loop: Header=BB842_610 Depth=2
	s_wait_alu 0xfffe
	s_or_b32 exec_lo, exec_lo, s10
	s_delay_alu instid0(SALU_CYCLE_1)
	s_mov_b32 s10, exec_lo
	v_cmpx_gt_u32_e64 s8, v88
	s_cbranch_execnz .LBB842_671
.LBB842_622:                            ;   in Loop: Header=BB842_610 Depth=2
	s_wait_alu 0xfffe
	s_or_b32 exec_lo, exec_lo, s10
	s_delay_alu instid0(SALU_CYCLE_1)
	s_mov_b32 s10, exec_lo
	v_cmpx_gt_u32_e64 s8, v89
	s_cbranch_execnz .LBB842_672
.LBB842_623:                            ;   in Loop: Header=BB842_610 Depth=2
	s_wait_alu 0xfffe
	s_or_b32 exec_lo, exec_lo, s10
	s_delay_alu instid0(SALU_CYCLE_1)
	s_mov_b32 s10, exec_lo
	v_cmpx_gt_u32_e64 s8, v90
	s_cbranch_execnz .LBB842_673
.LBB842_624:                            ;   in Loop: Header=BB842_610 Depth=2
	s_wait_alu 0xfffe
	s_or_b32 exec_lo, exec_lo, s10
	s_delay_alu instid0(SALU_CYCLE_1)
	s_mov_b32 s10, exec_lo
	v_cmpx_gt_u32_e64 s8, v91
	s_cbranch_execnz .LBB842_674
.LBB842_625:                            ;   in Loop: Header=BB842_610 Depth=2
	s_wait_alu 0xfffe
	s_or_b32 exec_lo, exec_lo, s10
	s_delay_alu instid0(SALU_CYCLE_1)
	s_mov_b32 s10, exec_lo
	v_cmpx_gt_u32_e64 s8, v92
	s_cbranch_execnz .LBB842_675
.LBB842_626:                            ;   in Loop: Header=BB842_610 Depth=2
	s_wait_alu 0xfffe
	s_or_b32 exec_lo, exec_lo, s10
	s_delay_alu instid0(SALU_CYCLE_1)
	s_mov_b32 s10, exec_lo
	v_cmpx_gt_u32_e64 s8, v93
	s_cbranch_execnz .LBB842_676
.LBB842_627:                            ;   in Loop: Header=BB842_610 Depth=2
	s_wait_alu 0xfffe
	s_or_b32 exec_lo, exec_lo, s10
	s_delay_alu instid0(SALU_CYCLE_1)
	s_mov_b32 s10, exec_lo
	v_cmpx_gt_u32_e64 s8, v94
	s_cbranch_execnz .LBB842_677
.LBB842_628:                            ;   in Loop: Header=BB842_610 Depth=2
	s_wait_alu 0xfffe
	s_or_b32 exec_lo, exec_lo, s10
	s_delay_alu instid0(SALU_CYCLE_1)
	s_mov_b32 s10, exec_lo
	v_cmpx_gt_u32_e64 s8, v95
	s_cbranch_execz .LBB842_630
.LBB842_629:                            ;   in Loop: Header=BB842_610 Depth=2
	global_load_b64 v[6:7], v124, s[0:1] offset:30720
.LBB842_630:                            ;   in Loop: Header=BB842_610 Depth=2
	s_wait_alu 0xfffe
	s_or_b32 exec_lo, exec_lo, s10
	s_wait_loadcnt 0x0
	v_dual_mov_b32 v39, v37 :: v_dual_mov_b32 v38, v36
	v_dual_mov_b32 v41, v35 :: v_dual_mov_b32 v40, v34
	;; [unrolled: 1-line block ×16, first 2 shown]
	s_mov_b32 s0, s8
.LBB842_631:                            ;   in Loop: Header=BB842_610 Depth=2
	s_wait_loadcnt 0x0
	s_delay_alu instid0(VALU_DEP_1)
	v_dual_mov_b32 v6, v68 :: v_dual_mov_b32 v7, v69
	v_dual_mov_b32 v8, v66 :: v_dual_mov_b32 v9, v67
	;; [unrolled: 1-line block ×16, first 2 shown]
	s_mov_b32 s1, exec_lo
	s_wait_alu 0xfffe
	v_cmpx_gt_u32_e64 s0, v1
	s_cbranch_execnz .LBB842_647
; %bb.632:                              ;   in Loop: Header=BB842_610 Depth=2
	s_or_b32 exec_lo, exec_lo, s1
	s_delay_alu instid0(SALU_CYCLE_1)
	s_mov_b32 s1, exec_lo
	v_cmpx_gt_u32_e64 s0, v79
	s_cbranch_execnz .LBB842_648
.LBB842_633:                            ;   in Loop: Header=BB842_610 Depth=2
	s_wait_alu 0xfffe
	s_or_b32 exec_lo, exec_lo, s1
	s_delay_alu instid0(SALU_CYCLE_1)
	s_mov_b32 s1, exec_lo
	v_cmpx_gt_u32_e64 s0, v80
	s_cbranch_execnz .LBB842_649
.LBB842_634:                            ;   in Loop: Header=BB842_610 Depth=2
	s_wait_alu 0xfffe
	s_or_b32 exec_lo, exec_lo, s1
	s_delay_alu instid0(SALU_CYCLE_1)
	s_mov_b32 s1, exec_lo
	v_cmpx_gt_u32_e64 s0, v81
	s_cbranch_execnz .LBB842_650
.LBB842_635:                            ;   in Loop: Header=BB842_610 Depth=2
	s_wait_alu 0xfffe
	s_or_b32 exec_lo, exec_lo, s1
	s_delay_alu instid0(SALU_CYCLE_1)
	s_mov_b32 s1, exec_lo
	v_cmpx_gt_u32_e64 s0, v84
	s_cbranch_execnz .LBB842_651
.LBB842_636:                            ;   in Loop: Header=BB842_610 Depth=2
	s_wait_alu 0xfffe
	s_or_b32 exec_lo, exec_lo, s1
	s_delay_alu instid0(SALU_CYCLE_1)
	s_mov_b32 s1, exec_lo
	v_cmpx_gt_u32_e64 s0, v85
	s_cbranch_execnz .LBB842_652
.LBB842_637:                            ;   in Loop: Header=BB842_610 Depth=2
	s_wait_alu 0xfffe
	s_or_b32 exec_lo, exec_lo, s1
	s_delay_alu instid0(SALU_CYCLE_1)
	s_mov_b32 s1, exec_lo
	v_cmpx_gt_u32_e64 s0, v86
	s_cbranch_execnz .LBB842_653
.LBB842_638:                            ;   in Loop: Header=BB842_610 Depth=2
	s_wait_alu 0xfffe
	s_or_b32 exec_lo, exec_lo, s1
	s_delay_alu instid0(SALU_CYCLE_1)
	s_mov_b32 s1, exec_lo
	v_cmpx_gt_u32_e64 s0, v87
	s_cbranch_execnz .LBB842_654
.LBB842_639:                            ;   in Loop: Header=BB842_610 Depth=2
	s_wait_alu 0xfffe
	s_or_b32 exec_lo, exec_lo, s1
	s_delay_alu instid0(SALU_CYCLE_1)
	s_mov_b32 s1, exec_lo
	v_cmpx_gt_u32_e64 s0, v88
	s_cbranch_execnz .LBB842_655
.LBB842_640:                            ;   in Loop: Header=BB842_610 Depth=2
	s_wait_alu 0xfffe
	s_or_b32 exec_lo, exec_lo, s1
	s_delay_alu instid0(SALU_CYCLE_1)
	s_mov_b32 s1, exec_lo
	v_cmpx_gt_u32_e64 s0, v89
	s_cbranch_execnz .LBB842_656
.LBB842_641:                            ;   in Loop: Header=BB842_610 Depth=2
	s_wait_alu 0xfffe
	s_or_b32 exec_lo, exec_lo, s1
	s_delay_alu instid0(SALU_CYCLE_1)
	s_mov_b32 s1, exec_lo
	v_cmpx_gt_u32_e64 s0, v90
	s_cbranch_execnz .LBB842_657
.LBB842_642:                            ;   in Loop: Header=BB842_610 Depth=2
	s_wait_alu 0xfffe
	s_or_b32 exec_lo, exec_lo, s1
	s_delay_alu instid0(SALU_CYCLE_1)
	s_mov_b32 s1, exec_lo
	v_cmpx_gt_u32_e64 s0, v91
	s_cbranch_execnz .LBB842_658
.LBB842_643:                            ;   in Loop: Header=BB842_610 Depth=2
	s_wait_alu 0xfffe
	s_or_b32 exec_lo, exec_lo, s1
	s_delay_alu instid0(SALU_CYCLE_1)
	s_mov_b32 s1, exec_lo
	v_cmpx_gt_u32_e64 s0, v92
	s_cbranch_execnz .LBB842_659
.LBB842_644:                            ;   in Loop: Header=BB842_610 Depth=2
	s_wait_alu 0xfffe
	s_or_b32 exec_lo, exec_lo, s1
	s_delay_alu instid0(SALU_CYCLE_1)
	s_mov_b32 s1, exec_lo
	v_cmpx_gt_u32_e64 s0, v93
	s_cbranch_execnz .LBB842_660
.LBB842_645:                            ;   in Loop: Header=BB842_610 Depth=2
	s_wait_alu 0xfffe
	s_or_b32 exec_lo, exec_lo, s1
	s_delay_alu instid0(SALU_CYCLE_1)
	s_mov_b32 s1, exec_lo
	v_cmpx_gt_u32_e64 s0, v94
	s_cbranch_execnz .LBB842_661
.LBB842_646:                            ;   in Loop: Header=BB842_610 Depth=2
	s_wait_alu 0xfffe
	s_or_b32 exec_lo, exec_lo, s1
	v_cmp_gt_u32_e32 vcc_lo, s0, v95
	s_and_saveexec_b32 s0, vcc_lo
	s_cbranch_execz .LBB842_609
	s_branch .LBB842_662
.LBB842_647:                            ;   in Loop: Header=BB842_610 Depth=2
	v_xor_b32_e32 v39, 0x80000000, v37
	v_mov_b32_e32 v38, v36
	s_delay_alu instid0(VALU_DEP_1) | instskip(NEXT) | instid1(VALU_DEP_1)
	v_lshrrev_b64 v[38:39], s31, v[38:39]
	v_and_b32_e32 v2, s54, v38
	s_delay_alu instid0(VALU_DEP_1) | instskip(SKIP_2) | instid1(SALU_CYCLE_1)
	v_lshl_or_b32 v2, v2, 4, v96
	ds_add_u32 v2, v123
	s_or_b32 exec_lo, exec_lo, s1
	s_mov_b32 s1, exec_lo
	v_cmpx_gt_u32_e64 s0, v79
	s_cbranch_execz .LBB842_633
.LBB842_648:                            ;   in Loop: Header=BB842_610 Depth=2
	v_xor_b32_e32 v39, 0x80000000, v35
	v_mov_b32_e32 v38, v34
	s_delay_alu instid0(VALU_DEP_1) | instskip(NEXT) | instid1(VALU_DEP_1)
	v_lshrrev_b64 v[38:39], s31, v[38:39]
	v_and_b32_e32 v2, s54, v38
	s_delay_alu instid0(VALU_DEP_1) | instskip(SKIP_3) | instid1(SALU_CYCLE_1)
	v_lshl_or_b32 v2, v2, 4, v96
	ds_add_u32 v2, v123
	s_wait_alu 0xfffe
	s_or_b32 exec_lo, exec_lo, s1
	s_mov_b32 s1, exec_lo
	v_cmpx_gt_u32_e64 s0, v80
	s_cbranch_execz .LBB842_634
.LBB842_649:                            ;   in Loop: Header=BB842_610 Depth=2
	v_xor_b32_e32 v39, 0x80000000, v33
	v_mov_b32_e32 v38, v32
	s_delay_alu instid0(VALU_DEP_1) | instskip(NEXT) | instid1(VALU_DEP_1)
	v_lshrrev_b64 v[38:39], s31, v[38:39]
	v_and_b32_e32 v2, s54, v38
	s_delay_alu instid0(VALU_DEP_1) | instskip(SKIP_3) | instid1(SALU_CYCLE_1)
	v_lshl_or_b32 v2, v2, 4, v96
	ds_add_u32 v2, v123
	s_wait_alu 0xfffe
	s_or_b32 exec_lo, exec_lo, s1
	s_mov_b32 s1, exec_lo
	v_cmpx_gt_u32_e64 s0, v81
	s_cbranch_execz .LBB842_635
.LBB842_650:                            ;   in Loop: Header=BB842_610 Depth=2
	v_xor_b32_e32 v39, 0x80000000, v31
	v_mov_b32_e32 v38, v30
	s_delay_alu instid0(VALU_DEP_1) | instskip(NEXT) | instid1(VALU_DEP_1)
	v_lshrrev_b64 v[38:39], s31, v[38:39]
	v_and_b32_e32 v2, s54, v38
	s_delay_alu instid0(VALU_DEP_1) | instskip(SKIP_3) | instid1(SALU_CYCLE_1)
	v_lshl_or_b32 v2, v2, 4, v96
	ds_add_u32 v2, v123
	s_wait_alu 0xfffe
	s_or_b32 exec_lo, exec_lo, s1
	s_mov_b32 s1, exec_lo
	v_cmpx_gt_u32_e64 s0, v84
	s_cbranch_execz .LBB842_636
.LBB842_651:                            ;   in Loop: Header=BB842_610 Depth=2
	v_xor_b32_e32 v39, 0x80000000, v29
	v_mov_b32_e32 v38, v28
	s_delay_alu instid0(VALU_DEP_1) | instskip(NEXT) | instid1(VALU_DEP_1)
	v_lshrrev_b64 v[38:39], s31, v[38:39]
	v_and_b32_e32 v2, s54, v38
	s_delay_alu instid0(VALU_DEP_1) | instskip(SKIP_3) | instid1(SALU_CYCLE_1)
	v_lshl_or_b32 v2, v2, 4, v96
	ds_add_u32 v2, v123
	s_wait_alu 0xfffe
	s_or_b32 exec_lo, exec_lo, s1
	s_mov_b32 s1, exec_lo
	v_cmpx_gt_u32_e64 s0, v85
	s_cbranch_execz .LBB842_637
.LBB842_652:                            ;   in Loop: Header=BB842_610 Depth=2
	v_xor_b32_e32 v39, 0x80000000, v27
	v_mov_b32_e32 v38, v26
	s_delay_alu instid0(VALU_DEP_1) | instskip(NEXT) | instid1(VALU_DEP_1)
	v_lshrrev_b64 v[38:39], s31, v[38:39]
	v_and_b32_e32 v2, s54, v38
	s_delay_alu instid0(VALU_DEP_1) | instskip(SKIP_3) | instid1(SALU_CYCLE_1)
	v_lshl_or_b32 v2, v2, 4, v96
	ds_add_u32 v2, v123
	s_wait_alu 0xfffe
	s_or_b32 exec_lo, exec_lo, s1
	s_mov_b32 s1, exec_lo
	v_cmpx_gt_u32_e64 s0, v86
	s_cbranch_execz .LBB842_638
.LBB842_653:                            ;   in Loop: Header=BB842_610 Depth=2
	v_xor_b32_e32 v39, 0x80000000, v25
	v_mov_b32_e32 v38, v24
	s_delay_alu instid0(VALU_DEP_1) | instskip(NEXT) | instid1(VALU_DEP_1)
	v_lshrrev_b64 v[38:39], s31, v[38:39]
	v_and_b32_e32 v2, s54, v38
	s_delay_alu instid0(VALU_DEP_1) | instskip(SKIP_3) | instid1(SALU_CYCLE_1)
	v_lshl_or_b32 v2, v2, 4, v96
	ds_add_u32 v2, v123
	s_wait_alu 0xfffe
	s_or_b32 exec_lo, exec_lo, s1
	s_mov_b32 s1, exec_lo
	v_cmpx_gt_u32_e64 s0, v87
	s_cbranch_execz .LBB842_639
.LBB842_654:                            ;   in Loop: Header=BB842_610 Depth=2
	v_xor_b32_e32 v39, 0x80000000, v23
	v_mov_b32_e32 v38, v22
	s_delay_alu instid0(VALU_DEP_1) | instskip(NEXT) | instid1(VALU_DEP_1)
	v_lshrrev_b64 v[38:39], s31, v[38:39]
	v_and_b32_e32 v2, s54, v38
	s_delay_alu instid0(VALU_DEP_1) | instskip(SKIP_3) | instid1(SALU_CYCLE_1)
	v_lshl_or_b32 v2, v2, 4, v96
	ds_add_u32 v2, v123
	s_wait_alu 0xfffe
	s_or_b32 exec_lo, exec_lo, s1
	s_mov_b32 s1, exec_lo
	v_cmpx_gt_u32_e64 s0, v88
	s_cbranch_execz .LBB842_640
.LBB842_655:                            ;   in Loop: Header=BB842_610 Depth=2
	v_xor_b32_e32 v39, 0x80000000, v21
	v_mov_b32_e32 v38, v20
	s_delay_alu instid0(VALU_DEP_1) | instskip(NEXT) | instid1(VALU_DEP_1)
	v_lshrrev_b64 v[38:39], s31, v[38:39]
	v_and_b32_e32 v2, s54, v38
	s_delay_alu instid0(VALU_DEP_1) | instskip(SKIP_3) | instid1(SALU_CYCLE_1)
	v_lshl_or_b32 v2, v2, 4, v96
	ds_add_u32 v2, v123
	s_wait_alu 0xfffe
	s_or_b32 exec_lo, exec_lo, s1
	s_mov_b32 s1, exec_lo
	v_cmpx_gt_u32_e64 s0, v89
	s_cbranch_execz .LBB842_641
.LBB842_656:                            ;   in Loop: Header=BB842_610 Depth=2
	v_xor_b32_e32 v39, 0x80000000, v19
	v_mov_b32_e32 v38, v18
	s_delay_alu instid0(VALU_DEP_1) | instskip(NEXT) | instid1(VALU_DEP_1)
	v_lshrrev_b64 v[38:39], s31, v[38:39]
	v_and_b32_e32 v2, s54, v38
	s_delay_alu instid0(VALU_DEP_1) | instskip(SKIP_3) | instid1(SALU_CYCLE_1)
	v_lshl_or_b32 v2, v2, 4, v96
	ds_add_u32 v2, v123
	s_wait_alu 0xfffe
	s_or_b32 exec_lo, exec_lo, s1
	s_mov_b32 s1, exec_lo
	v_cmpx_gt_u32_e64 s0, v90
	s_cbranch_execz .LBB842_642
.LBB842_657:                            ;   in Loop: Header=BB842_610 Depth=2
	v_xor_b32_e32 v39, 0x80000000, v17
	v_mov_b32_e32 v38, v16
	s_delay_alu instid0(VALU_DEP_1) | instskip(NEXT) | instid1(VALU_DEP_1)
	v_lshrrev_b64 v[38:39], s31, v[38:39]
	v_and_b32_e32 v2, s54, v38
	s_delay_alu instid0(VALU_DEP_1) | instskip(SKIP_3) | instid1(SALU_CYCLE_1)
	v_lshl_or_b32 v2, v2, 4, v96
	ds_add_u32 v2, v123
	s_wait_alu 0xfffe
	s_or_b32 exec_lo, exec_lo, s1
	s_mov_b32 s1, exec_lo
	v_cmpx_gt_u32_e64 s0, v91
	s_cbranch_execz .LBB842_643
.LBB842_658:                            ;   in Loop: Header=BB842_610 Depth=2
	v_xor_b32_e32 v39, 0x80000000, v15
	v_mov_b32_e32 v38, v14
	s_delay_alu instid0(VALU_DEP_1) | instskip(NEXT) | instid1(VALU_DEP_1)
	v_lshrrev_b64 v[38:39], s31, v[38:39]
	v_and_b32_e32 v2, s54, v38
	s_delay_alu instid0(VALU_DEP_1) | instskip(SKIP_3) | instid1(SALU_CYCLE_1)
	v_lshl_or_b32 v2, v2, 4, v96
	ds_add_u32 v2, v123
	s_wait_alu 0xfffe
	s_or_b32 exec_lo, exec_lo, s1
	s_mov_b32 s1, exec_lo
	v_cmpx_gt_u32_e64 s0, v92
	s_cbranch_execz .LBB842_644
.LBB842_659:                            ;   in Loop: Header=BB842_610 Depth=2
	v_xor_b32_e32 v39, 0x80000000, v13
	v_mov_b32_e32 v38, v12
	s_delay_alu instid0(VALU_DEP_1) | instskip(NEXT) | instid1(VALU_DEP_1)
	v_lshrrev_b64 v[38:39], s31, v[38:39]
	v_and_b32_e32 v2, s54, v38
	s_delay_alu instid0(VALU_DEP_1) | instskip(SKIP_3) | instid1(SALU_CYCLE_1)
	v_lshl_or_b32 v2, v2, 4, v96
	ds_add_u32 v2, v123
	s_wait_alu 0xfffe
	s_or_b32 exec_lo, exec_lo, s1
	s_mov_b32 s1, exec_lo
	v_cmpx_gt_u32_e64 s0, v93
	s_cbranch_execz .LBB842_645
.LBB842_660:                            ;   in Loop: Header=BB842_610 Depth=2
	v_xor_b32_e32 v39, 0x80000000, v11
	v_mov_b32_e32 v38, v10
	s_delay_alu instid0(VALU_DEP_1) | instskip(NEXT) | instid1(VALU_DEP_1)
	v_lshrrev_b64 v[38:39], s31, v[38:39]
	v_and_b32_e32 v2, s54, v38
	s_delay_alu instid0(VALU_DEP_1) | instskip(SKIP_3) | instid1(SALU_CYCLE_1)
	v_lshl_or_b32 v2, v2, 4, v96
	ds_add_u32 v2, v123
	s_wait_alu 0xfffe
	s_or_b32 exec_lo, exec_lo, s1
	s_mov_b32 s1, exec_lo
	v_cmpx_gt_u32_e64 s0, v94
	s_cbranch_execz .LBB842_646
.LBB842_661:                            ;   in Loop: Header=BB842_610 Depth=2
	v_xor_b32_e32 v39, 0x80000000, v9
	v_mov_b32_e32 v38, v8
	s_delay_alu instid0(VALU_DEP_1) | instskip(NEXT) | instid1(VALU_DEP_1)
	v_lshrrev_b64 v[38:39], s31, v[38:39]
	v_and_b32_e32 v2, s54, v38
	s_delay_alu instid0(VALU_DEP_1)
	v_lshl_or_b32 v2, v2, 4, v96
	ds_add_u32 v2, v123
	s_wait_alu 0xfffe
	s_or_b32 exec_lo, exec_lo, s1
	v_cmp_gt_u32_e32 vcc_lo, s0, v95
	s_and_saveexec_b32 s0, vcc_lo
	s_cbranch_execz .LBB842_609
.LBB842_662:                            ;   in Loop: Header=BB842_610 Depth=2
	v_xor_b32_e32 v39, 0x80000000, v7
	v_mov_b32_e32 v38, v6
	s_delay_alu instid0(VALU_DEP_1) | instskip(NEXT) | instid1(VALU_DEP_1)
	v_lshrrev_b64 v[38:39], s31, v[38:39]
	v_and_b32_e32 v2, s54, v38
	s_delay_alu instid0(VALU_DEP_1)
	v_lshl_or_b32 v2, v2, 4, v96
	ds_add_u32 v2, v123
	s_branch .LBB842_609
.LBB842_663:                            ;   in Loop: Header=BB842_610 Depth=2
	global_load_b64 v[36:37], v124, s[0:1]
	s_or_b32 exec_lo, exec_lo, s10
	s_delay_alu instid0(SALU_CYCLE_1)
	s_mov_b32 s10, exec_lo
	v_cmpx_gt_u32_e64 s8, v79
	s_cbranch_execz .LBB842_615
.LBB842_664:                            ;   in Loop: Header=BB842_610 Depth=2
	global_load_b64 v[34:35], v124, s[0:1] offset:2048
	s_wait_alu 0xfffe
	s_or_b32 exec_lo, exec_lo, s10
	s_delay_alu instid0(SALU_CYCLE_1)
	s_mov_b32 s10, exec_lo
	v_cmpx_gt_u32_e64 s8, v80
	s_cbranch_execz .LBB842_616
.LBB842_665:                            ;   in Loop: Header=BB842_610 Depth=2
	global_load_b64 v[32:33], v124, s[0:1] offset:4096
	s_wait_alu 0xfffe
	s_or_b32 exec_lo, exec_lo, s10
	s_delay_alu instid0(SALU_CYCLE_1)
	s_mov_b32 s10, exec_lo
	v_cmpx_gt_u32_e64 s8, v81
	s_cbranch_execz .LBB842_617
.LBB842_666:                            ;   in Loop: Header=BB842_610 Depth=2
	global_load_b64 v[30:31], v124, s[0:1] offset:6144
	s_wait_alu 0xfffe
	s_or_b32 exec_lo, exec_lo, s10
	s_delay_alu instid0(SALU_CYCLE_1)
	s_mov_b32 s10, exec_lo
	v_cmpx_gt_u32_e64 s8, v84
	s_cbranch_execz .LBB842_618
.LBB842_667:                            ;   in Loop: Header=BB842_610 Depth=2
	global_load_b64 v[28:29], v124, s[0:1] offset:8192
	s_wait_alu 0xfffe
	s_or_b32 exec_lo, exec_lo, s10
	s_delay_alu instid0(SALU_CYCLE_1)
	s_mov_b32 s10, exec_lo
	v_cmpx_gt_u32_e64 s8, v85
	s_cbranch_execz .LBB842_619
.LBB842_668:                            ;   in Loop: Header=BB842_610 Depth=2
	global_load_b64 v[26:27], v124, s[0:1] offset:10240
	s_wait_alu 0xfffe
	s_or_b32 exec_lo, exec_lo, s10
	s_delay_alu instid0(SALU_CYCLE_1)
	s_mov_b32 s10, exec_lo
	v_cmpx_gt_u32_e64 s8, v86
	s_cbranch_execz .LBB842_620
.LBB842_669:                            ;   in Loop: Header=BB842_610 Depth=2
	global_load_b64 v[24:25], v124, s[0:1] offset:12288
	s_wait_alu 0xfffe
	s_or_b32 exec_lo, exec_lo, s10
	s_delay_alu instid0(SALU_CYCLE_1)
	s_mov_b32 s10, exec_lo
	v_cmpx_gt_u32_e64 s8, v87
	s_cbranch_execz .LBB842_621
.LBB842_670:                            ;   in Loop: Header=BB842_610 Depth=2
	global_load_b64 v[22:23], v124, s[0:1] offset:14336
	s_wait_alu 0xfffe
	s_or_b32 exec_lo, exec_lo, s10
	s_delay_alu instid0(SALU_CYCLE_1)
	s_mov_b32 s10, exec_lo
	v_cmpx_gt_u32_e64 s8, v88
	s_cbranch_execz .LBB842_622
.LBB842_671:                            ;   in Loop: Header=BB842_610 Depth=2
	global_load_b64 v[20:21], v124, s[0:1] offset:16384
	s_wait_alu 0xfffe
	s_or_b32 exec_lo, exec_lo, s10
	s_delay_alu instid0(SALU_CYCLE_1)
	s_mov_b32 s10, exec_lo
	v_cmpx_gt_u32_e64 s8, v89
	s_cbranch_execz .LBB842_623
.LBB842_672:                            ;   in Loop: Header=BB842_610 Depth=2
	global_load_b64 v[18:19], v124, s[0:1] offset:18432
	s_wait_alu 0xfffe
	s_or_b32 exec_lo, exec_lo, s10
	s_delay_alu instid0(SALU_CYCLE_1)
	s_mov_b32 s10, exec_lo
	v_cmpx_gt_u32_e64 s8, v90
	s_cbranch_execz .LBB842_624
.LBB842_673:                            ;   in Loop: Header=BB842_610 Depth=2
	global_load_b64 v[16:17], v124, s[0:1] offset:20480
	s_wait_alu 0xfffe
	s_or_b32 exec_lo, exec_lo, s10
	s_delay_alu instid0(SALU_CYCLE_1)
	s_mov_b32 s10, exec_lo
	v_cmpx_gt_u32_e64 s8, v91
	s_cbranch_execz .LBB842_625
.LBB842_674:                            ;   in Loop: Header=BB842_610 Depth=2
	global_load_b64 v[14:15], v124, s[0:1] offset:22528
	s_wait_alu 0xfffe
	s_or_b32 exec_lo, exec_lo, s10
	s_delay_alu instid0(SALU_CYCLE_1)
	s_mov_b32 s10, exec_lo
	v_cmpx_gt_u32_e64 s8, v92
	s_cbranch_execz .LBB842_626
.LBB842_675:                            ;   in Loop: Header=BB842_610 Depth=2
	global_load_b64 v[12:13], v124, s[0:1] offset:24576
	s_wait_alu 0xfffe
	s_or_b32 exec_lo, exec_lo, s10
	s_delay_alu instid0(SALU_CYCLE_1)
	s_mov_b32 s10, exec_lo
	v_cmpx_gt_u32_e64 s8, v93
	s_cbranch_execz .LBB842_627
.LBB842_676:                            ;   in Loop: Header=BB842_610 Depth=2
	global_load_b64 v[10:11], v124, s[0:1] offset:26624
	s_wait_alu 0xfffe
	s_or_b32 exec_lo, exec_lo, s10
	s_delay_alu instid0(SALU_CYCLE_1)
	s_mov_b32 s10, exec_lo
	v_cmpx_gt_u32_e64 s8, v94
	s_cbranch_execz .LBB842_628
.LBB842_677:                            ;   in Loop: Header=BB842_610 Depth=2
	global_load_b64 v[8:9], v124, s[0:1] offset:28672
	s_wait_alu 0xfffe
	s_or_b32 exec_lo, exec_lo, s10
	s_delay_alu instid0(SALU_CYCLE_1)
	s_mov_b32 s10, exec_lo
	v_cmpx_gt_u32_e64 s8, v95
	s_cbranch_execnz .LBB842_629
	s_branch .LBB842_630
.LBB842_678:                            ;   in Loop: Header=BB842_20 Depth=1
	v_mov_b32_e32 v2, 0
	s_wait_dscnt 0x0
	s_barrier_signal -1
	s_barrier_wait -1
	global_inv scope:SCOPE_SE
	s_and_saveexec_b32 s0, s2
	s_cbranch_execz .LBB842_680
; %bb.679:                              ;   in Loop: Header=BB842_20 Depth=1
	ds_load_2addr_b64 v[6:9], v98 offset1:1
	s_wait_dscnt 0x0
	v_add_nc_u32_e32 v2, v7, v6
	s_delay_alu instid0(VALU_DEP_1)
	v_add3_u32 v2, v2, v8, v9
.LBB842_680:                            ;   in Loop: Header=BB842_20 Depth=1
	s_wait_alu 0xfffe
	s_or_b32 exec_lo, exec_lo, s0
	v_and_b32_e32 v6, 15, v125
	s_delay_alu instid0(VALU_DEP_2) | instskip(SKIP_1) | instid1(VALU_DEP_3)
	v_mov_b32_dpp v7, v2 row_shr:1 row_mask:0xf bank_mask:0xf
	v_and_b32_e32 v8, 16, v125
	v_cmp_eq_u32_e64 s0, 0, v6
	v_cmp_lt_u32_e64 s1, 1, v6
	v_cmp_lt_u32_e64 s8, 3, v6
	;; [unrolled: 1-line block ×3, first 2 shown]
	v_cmp_eq_u32_e64 s10, 0, v8
	s_wait_alu 0xf1ff
	v_cndmask_b32_e64 v7, v7, 0, s0
	s_delay_alu instid0(VALU_DEP_1) | instskip(NEXT) | instid1(VALU_DEP_1)
	v_add_nc_u32_e32 v2, v7, v2
	v_mov_b32_dpp v7, v2 row_shr:2 row_mask:0xf bank_mask:0xf
	s_delay_alu instid0(VALU_DEP_1) | instskip(NEXT) | instid1(VALU_DEP_1)
	v_cndmask_b32_e64 v7, 0, v7, s1
	v_add_nc_u32_e32 v2, v2, v7
	s_delay_alu instid0(VALU_DEP_1) | instskip(NEXT) | instid1(VALU_DEP_1)
	v_mov_b32_dpp v7, v2 row_shr:4 row_mask:0xf bank_mask:0xf
	v_cndmask_b32_e64 v7, 0, v7, s8
	s_delay_alu instid0(VALU_DEP_1) | instskip(NEXT) | instid1(VALU_DEP_1)
	v_add_nc_u32_e32 v2, v2, v7
	v_mov_b32_dpp v7, v2 row_shr:8 row_mask:0xf bank_mask:0xf
	s_delay_alu instid0(VALU_DEP_1) | instskip(SKIP_1) | instid1(VALU_DEP_2)
	v_cndmask_b32_e64 v6, 0, v7, s9
	v_bfe_i32 v7, v125, 4, 1
	v_add_nc_u32_e32 v2, v2, v6
	ds_swizzle_b32 v6, v2 offset:swizzle(BROADCAST,32,15)
	s_wait_dscnt 0x0
	v_and_b32_e32 v6, v7, v6
	s_delay_alu instid0(VALU_DEP_1)
	v_add_nc_u32_e32 v6, v2, v6
	s_and_saveexec_b32 s11, s3
; %bb.681:                              ;   in Loop: Header=BB842_20 Depth=1
	ds_store_b32 v99, v6
; %bb.682:                              ;   in Loop: Header=BB842_20 Depth=1
	s_wait_alu 0xfffe
	s_or_b32 exec_lo, exec_lo, s11
	v_and_b32_e32 v2, 7, v125
	s_wait_loadcnt_dscnt 0x0
	s_barrier_signal -1
	s_barrier_wait -1
	global_inv scope:SCOPE_SE
	s_and_saveexec_b32 s11, s4
	s_cbranch_execz .LBB842_684
; %bb.683:                              ;   in Loop: Header=BB842_20 Depth=1
	ds_load_b32 v7, v100
	v_cmp_ne_u32_e32 vcc_lo, 0, v2
	s_wait_dscnt 0x0
	v_mov_b32_dpp v8, v7 row_shr:1 row_mask:0xf bank_mask:0xf
	s_wait_alu 0xfffd
	s_delay_alu instid0(VALU_DEP_1) | instskip(SKIP_1) | instid1(VALU_DEP_2)
	v_cndmask_b32_e32 v8, 0, v8, vcc_lo
	v_cmp_lt_u32_e32 vcc_lo, 1, v2
	v_add_nc_u32_e32 v7, v8, v7
	s_delay_alu instid0(VALU_DEP_1) | instskip(SKIP_1) | instid1(VALU_DEP_1)
	v_mov_b32_dpp v8, v7 row_shr:2 row_mask:0xf bank_mask:0xf
	s_wait_alu 0xfffd
	v_cndmask_b32_e32 v8, 0, v8, vcc_lo
	v_cmp_lt_u32_e32 vcc_lo, 3, v2
	s_delay_alu instid0(VALU_DEP_2) | instskip(NEXT) | instid1(VALU_DEP_1)
	v_add_nc_u32_e32 v7, v7, v8
	v_mov_b32_dpp v8, v7 row_shr:4 row_mask:0xf bank_mask:0xf
	s_wait_alu 0xfffd
	s_delay_alu instid0(VALU_DEP_1) | instskip(NEXT) | instid1(VALU_DEP_1)
	v_cndmask_b32_e32 v8, 0, v8, vcc_lo
	v_add_nc_u32_e32 v7, v7, v8
	ds_store_b32 v100, v7
.LBB842_684:                            ;   in Loop: Header=BB842_20 Depth=1
	s_wait_alu 0xfffe
	s_or_b32 exec_lo, exec_lo, s11
	v_mov_b32_e32 v7, 0
	s_wait_loadcnt_dscnt 0x0
	s_barrier_signal -1
	s_barrier_wait -1
	global_inv scope:SCOPE_SE
	s_and_saveexec_b32 s11, s5
; %bb.685:                              ;   in Loop: Header=BB842_20 Depth=1
	ds_load_b32 v7, v103
; %bb.686:                              ;   in Loop: Header=BB842_20 Depth=1
	s_wait_alu 0xfffe
	s_or_b32 exec_lo, exec_lo, s11
	v_sub_co_u32 v8, s11, v125, 1
	s_wait_dscnt 0x0
	v_add_nc_u32_e32 v6, v7, v6
	s_wait_loadcnt 0x0
	s_barrier_signal -1
	v_cmp_gt_i32_e32 vcc_lo, 0, v8
	s_barrier_wait -1
	global_inv scope:SCOPE_SE
	s_wait_alu 0xfffd
	v_cndmask_b32_e32 v8, v8, v125, vcc_lo
	s_delay_alu instid0(VALU_DEP_1)
	v_lshlrev_b32_e32 v126, 2, v8
	ds_bpermute_b32 v6, v126, v6
	s_and_saveexec_b32 s12, s2
	s_cbranch_execz .LBB842_688
; %bb.687:                              ;   in Loop: Header=BB842_20 Depth=1
	s_wait_dscnt 0x0
	v_cndmask_b32_e64 v6, v6, v7, s11
	s_delay_alu instid0(VALU_DEP_1)
	v_add_nc_u32_e32 v6, s33, v6
	ds_store_b32 v78, v6
.LBB842_688:                            ;   in Loop: Header=BB842_20 Depth=1
	s_wait_alu 0xfffe
	s_or_b32 exec_lo, exec_lo, s12
	s_load_b64 s[12:13], s[42:43], 0x0
	v_lshlrev_b32_e32 v8, 3, v125
	v_or_b32_e32 v127, v125, v101
	s_mov_b32 s55, s53
                                        ; implicit-def: $vgpr10_vgpr11
                                        ; implicit-def: $vgpr12_vgpr13
                                        ; implicit-def: $vgpr14_vgpr15
                                        ; implicit-def: $vgpr16_vgpr17
                                        ; implicit-def: $vgpr18_vgpr19
                                        ; implicit-def: $vgpr20_vgpr21
                                        ; implicit-def: $vgpr22_vgpr23
                                        ; implicit-def: $vgpr24_vgpr25
                                        ; implicit-def: $vgpr26_vgpr27
                                        ; implicit-def: $vgpr28_vgpr29
                                        ; implicit-def: $vgpr30_vgpr31
                                        ; implicit-def: $vgpr32_vgpr33
                                        ; implicit-def: $vgpr34_vgpr35
                                        ; implicit-def: $vgpr36_vgpr37
                                        ; implicit-def: $vgpr148
                                        ; implicit-def: $vgpr149
                                        ; implicit-def: $vgpr150
                                        ; implicit-def: $vgpr151
                                        ; implicit-def: $vgpr152
                                        ; implicit-def: $vgpr153
                                        ; implicit-def: $vgpr154
                                        ; implicit-def: $vgpr155
                                        ; implicit-def: $vgpr156
                                        ; implicit-def: $vgpr157
                                        ; implicit-def: $vgpr158
                                        ; implicit-def: $vgpr159
                                        ; implicit-def: $vgpr160
                                        ; implicit-def: $vgpr161
                                        ; implicit-def: $vgpr162
                                        ; implicit-def: $vgpr163
	s_delay_alu instid0(VALU_DEP_2)
	v_add_co_u32 v128, vcc_lo, v119, v8
	s_wait_alu 0xfffd
	v_add_co_ci_u32_e64 v129, null, 0, v120, vcc_lo
	v_add_co_u32 v145, vcc_lo, v121, v8
	v_or_b32_e32 v130, 32, v127
	v_or_b32_e32 v131, 64, v127
	;; [unrolled: 1-line block ×8, first 2 shown]
	s_wait_kmcnt 0x0
	s_cmp_lt_u32 ttmp7, s13
	v_or_b32_e32 v138, 0x120, v127
	s_cselect_b32 s34, 14, 20
	s_cmp_lt_u32 ttmp9, s12
	s_wait_alu 0xfffe
	s_add_nc_u64 s[14:15], s[42:43], s[34:35]
	s_cselect_b32 s34, 12, 18
	s_load_u16 s15, s[14:15], 0x0
	s_add_nc_u64 s[12:13], s[42:43], s[34:35]
	v_or_b32_e32 v139, 0x140, v127
	s_load_u16 s16, s[12:13], 0x0
	v_cmp_eq_u32_e64 s12, 0, v2
	v_cmp_lt_u32_e64 s13, 1, v2
	v_cmp_lt_u32_e64 s14, 3, v2
	v_or_b32_e32 v140, 0x160, v127
	v_or_b32_e32 v141, 0x180, v127
	;; [unrolled: 1-line block ×5, first 2 shown]
	v_add_co_ci_u32_e64 v146, null, 0, v122, vcc_lo
	s_mov_b32 s34, s33
                                        ; implicit-def: $vgpr8_vgpr9
	s_wait_kmcnt 0x0
	v_mad_u32_u24 v2, v104, s15, v0
	s_wait_dscnt 0x0
	s_delay_alu instid0(VALU_DEP_1) | instskip(NEXT) | instid1(VALU_DEP_1)
	v_mad_co_u64_u32 v[6:7], null, v2, s16, v[1:2]
	v_lshrrev_b32_e32 v2, 3, v6
                                        ; implicit-def: $vgpr6_vgpr7
	s_delay_alu instid0(VALU_DEP_1)
	v_and_b32_e32 v147, 0x1ffffffc, v2
	s_branch .LBB842_690
.LBB842_689:                            ;   in Loop: Header=BB842_690 Depth=2
	s_wait_alu 0xfffe
	s_or_b32 exec_lo, exec_lo, s15
	s_addk_co_i32 s55, 0xf000
	s_cmp_lt_u32 s56, s51
	s_mov_b32 s34, s56
	s_cbranch_scc0 .LBB842_898
.LBB842_690:                            ;   Parent Loop BB842_20 Depth=1
                                        ; =>  This Inner Loop Header: Depth=2
	s_wait_alu 0xfffe
	s_add_co_i32 s56, s34, 0x1000
	s_wait_alu 0xfffe
	s_cmp_gt_u32 s56, s51
	s_cbranch_scc1 .LBB842_692
; %bb.691:                              ;   in Loop: Header=BB842_690 Depth=2
	s_lshl_b64 s[16:17], s[34:35], 3
	s_mov_b32 s15, -1
	s_wait_alu 0xfffe
	v_add_co_u32 v66, vcc_lo, v145, s16
	s_wait_alu 0xfffd
	v_add_co_ci_u32_e64 v67, null, s17, v146, vcc_lo
	s_clause 0xe
	global_load_b64 v[40:41], v[66:67], off
	global_load_b64 v[38:39], v[66:67], off offset:256
	global_load_b64 v[42:43], v[66:67], off offset:512
	;; [unrolled: 1-line block ×14, first 2 shown]
	s_movk_i32 s16, 0x1000
	s_cbranch_execz .LBB842_693
	s_branch .LBB842_724
.LBB842_692:                            ;   in Loop: Header=BB842_690 Depth=2
	s_mov_b32 s15, 0
                                        ; implicit-def: $vgpr40_vgpr41
                                        ; implicit-def: $vgpr38_vgpr39
                                        ; implicit-def: $vgpr42_vgpr43
                                        ; implicit-def: $vgpr44_vgpr45
                                        ; implicit-def: $vgpr46_vgpr47
                                        ; implicit-def: $vgpr50_vgpr51
                                        ; implicit-def: $vgpr48_vgpr49
                                        ; implicit-def: $vgpr52_vgpr53
                                        ; implicit-def: $vgpr54_vgpr55
                                        ; implicit-def: $vgpr56_vgpr57
                                        ; implicit-def: $vgpr60_vgpr61
                                        ; implicit-def: $vgpr58_vgpr59
                                        ; implicit-def: $vgpr62_vgpr63
                                        ; implicit-def: $vgpr64_vgpr65
                                        ; implicit-def: $vgpr66_vgpr67
	s_movk_i32 s16, 0x1000
.LBB842_693:                            ;   in Loop: Header=BB842_690 Depth=2
	s_wait_loadcnt 0xd
	v_dual_mov_b32 v38, v4 :: v_dual_mov_b32 v39, v5
	s_lshl_b64 s[16:17], s[34:35], 3
	s_mov_b32 s15, exec_lo
	s_wait_alu 0xfffe
	v_add_co_u32 v68, vcc_lo, v145, s16
	s_wait_alu 0xfffd
	v_add_co_ci_u32_e64 v69, null, s17, v146, vcc_lo
	v_dual_mov_b32 v41, v39 :: v_dual_mov_b32 v40, v38
	v_cmpx_gt_u32_e64 s55, v127
	s_cbranch_execz .LBB842_695
; %bb.694:                              ;   in Loop: Header=BB842_690 Depth=2
	global_load_b64 v[40:41], v[68:69], off
.LBB842_695:                            ;   in Loop: Header=BB842_690 Depth=2
	s_or_b32 exec_lo, exec_lo, s15
	s_delay_alu instid0(SALU_CYCLE_1)
	s_mov_b32 s15, exec_lo
	v_cmpx_gt_u32_e64 s55, v130
	s_cbranch_execz .LBB842_697
; %bb.696:                              ;   in Loop: Header=BB842_690 Depth=2
	global_load_b64 v[38:39], v[68:69], off offset:256
.LBB842_697:                            ;   in Loop: Header=BB842_690 Depth=2
	s_wait_alu 0xfffe
	s_or_b32 exec_lo, exec_lo, s15
	s_wait_loadcnt 0xc
	v_dual_mov_b32 v43, v5 :: v_dual_mov_b32 v42, v4
	s_mov_b32 s15, exec_lo
	v_cmpx_gt_u32_e64 s55, v131
	s_cbranch_execz .LBB842_699
; %bb.698:                              ;   in Loop: Header=BB842_690 Depth=2
	global_load_b64 v[42:43], v[68:69], off offset:512
.LBB842_699:                            ;   in Loop: Header=BB842_690 Depth=2
	s_wait_alu 0xfffe
	s_or_b32 exec_lo, exec_lo, s15
	s_wait_loadcnt 0xb
	v_dual_mov_b32 v45, v5 :: v_dual_mov_b32 v44, v4
	;; [unrolled: 10-line block ×13, first 2 shown]
	s_mov_b32 s15, exec_lo
	v_cmpx_gt_u32_e64 s55, v143
	s_cbranch_execz .LBB842_723
; %bb.722:                              ;   in Loop: Header=BB842_690 Depth=2
	global_load_b64 v[66:67], v[68:69], off offset:3584
.LBB842_723:                            ;   in Loop: Header=BB842_690 Depth=2
	s_wait_alu 0xfffe
	s_or_b32 exec_lo, exec_lo, s15
	v_cmp_gt_u32_e64 s15, s55, v144
	s_sub_co_i32 s16, s51, s34
.LBB842_724:                            ;   in Loop: Header=BB842_690 Depth=2
	v_mov_b32_e32 v68, -1
	v_dual_mov_b32 v69, -1 :: v_dual_mov_b32 v164, s55
	s_and_saveexec_b32 s17, s15
	s_cbranch_execz .LBB842_726
; %bb.725:                              ;   in Loop: Header=BB842_690 Depth=2
	s_lshl_b64 s[18:19], s[34:35], 3
	s_wait_alu 0xfffe
	v_mov_b32_e32 v164, s16
	v_add_co_u32 v68, vcc_lo, v145, s18
	s_wait_alu 0xfffd
	v_add_co_ci_u32_e64 v69, null, s19, v146, vcc_lo
	global_load_b64 v[68:69], v[68:69], off offset:3840
	s_wait_loadcnt 0x0
	v_xor_b32_e32 v69, 0x80000000, v69
.LBB842_726:                            ;   in Loop: Header=BB842_690 Depth=2
	s_wait_alu 0xfffe
	s_or_b32 exec_lo, exec_lo, s17
	s_wait_loadcnt 0xe
	v_xor_b32_e32 v41, 0x80000000, v41
	v_add_nc_u32_e32 v166, 0x420, v102
	v_add_nc_u32_e32 v167, 0x428, v102
	;; [unrolled: 1-line block ×3, first 2 shown]
	s_delay_alu instid0(VALU_DEP_4) | instskip(NEXT) | instid1(VALU_DEP_1)
	v_lshrrev_b64 v[70:71], s31, v[40:41]
	v_and_b32_e32 v71, s54, v70
	s_delay_alu instid0(VALU_DEP_1)
	v_and_b32_e32 v2, 1, v71
	v_lshlrev_b32_e32 v70, 30, v71
	v_lshlrev_b32_e32 v72, 29, v71
	;; [unrolled: 1-line block ×4, first 2 shown]
	v_add_co_u32 v2, s15, v2, -1
	s_wait_alu 0xf1ff
	v_cndmask_b32_e64 v74, 0, 1, s15
	v_not_b32_e32 v165, v70
	v_cmp_gt_i32_e64 s15, 0, v70
	v_not_b32_e32 v70, v72
	v_lshlrev_b32_e32 v76, 26, v71
	v_cmp_ne_u32_e32 vcc_lo, 0, v74
	v_ashrrev_i32_e32 v165, 31, v165
	v_lshlrev_b32_e32 v77, 25, v71
	v_ashrrev_i32_e32 v70, 31, v70
	v_lshlrev_b32_e32 v74, 24, v71
	s_wait_alu 0xfffd
	v_xor_b32_e32 v2, vcc_lo, v2
	v_cmp_gt_i32_e32 vcc_lo, 0, v72
	v_not_b32_e32 v72, v73
	s_wait_alu 0xf1ff
	v_xor_b32_e32 v165, s15, v165
	v_cmp_gt_i32_e64 s15, 0, v73
	v_and_b32_e32 v2, exec_lo, v2
	v_not_b32_e32 v73, v75
	v_ashrrev_i32_e32 v72, 31, v72
	s_wait_alu 0xfffd
	v_xor_b32_e32 v70, vcc_lo, v70
	v_cmp_gt_i32_e32 vcc_lo, 0, v75
	v_and_b32_e32 v2, v2, v165
	v_not_b32_e32 v75, v76
	v_ashrrev_i32_e32 v73, 31, v73
	s_wait_alu 0xf1ff
	v_xor_b32_e32 v72, s15, v72
	v_cmp_gt_i32_e64 s15, 0, v76
	v_and_b32_e32 v2, v2, v70
	v_not_b32_e32 v70, v77
	v_ashrrev_i32_e32 v75, 31, v75
	s_wait_alu 0xfffd
	v_xor_b32_e32 v73, vcc_lo, v73
	v_cmp_gt_i32_e32 vcc_lo, 0, v77
	v_and_b32_e32 v2, v2, v72
	v_not_b32_e32 v72, v74
	v_ashrrev_i32_e32 v70, 31, v70
	s_wait_alu 0xf1ff
	v_xor_b32_e32 v75, s15, v75
	v_cmp_gt_i32_e64 s15, 0, v74
	v_and_b32_e32 v2, v2, v73
	v_ashrrev_i32_e32 v72, 31, v72
	s_wait_alu 0xfffd
	v_xor_b32_e32 v70, vcc_lo, v70
	v_mul_u32_u24_e32 v71, 36, v71
	v_add_nc_u32_e32 v165, 0x438, v102
	v_and_b32_e32 v2, v2, v75
	s_wait_alu 0xf1ff
	v_xor_b32_e32 v72, s15, v72
	v_add_nc_u32_e32 v169, v147, v71
	ds_store_2addr_b32 v165, v3, v3 offset1:1
	v_and_b32_e32 v2, v2, v70
	ds_store_2addr_b32 v166, v3, v3 offset1:1
	ds_store_2addr_b32 v167, v3, v3 offset1:1
	;; [unrolled: 1-line block ×3, first 2 shown]
	ds_store_b32 v102, v3 offset:1088
	s_wait_loadcnt_dscnt 0x0
	s_barrier_signal -1
	s_barrier_wait -1
	v_and_b32_e32 v70, v2, v72
	global_inv scope:SCOPE_SE
	; wave barrier
	v_mbcnt_lo_u32_b32 v2, v70, 0
	v_cmp_ne_u32_e64 s15, 0, v70
	s_delay_alu instid0(VALU_DEP_2)
	v_cmp_eq_u32_e32 vcc_lo, 0, v2
	s_and_b32 s16, s15, vcc_lo
	s_wait_alu 0xfffe
	s_and_saveexec_b32 s15, s16
; %bb.727:                              ;   in Loop: Header=BB842_690 Depth=2
	v_bcnt_u32_b32 v70, v70, 0
	ds_store_b32 v169, v70 offset:1056
; %bb.728:                              ;   in Loop: Header=BB842_690 Depth=2
	s_wait_alu 0xfffe
	s_or_b32 exec_lo, exec_lo, s15
	v_xor_b32_e32 v39, 0x80000000, v39
	; wave barrier
	s_delay_alu instid0(VALU_DEP_1) | instskip(NEXT) | instid1(VALU_DEP_1)
	v_lshrrev_b64 v[70:71], s31, v[38:39]
	v_and_b32_e32 v71, s54, v70
	s_delay_alu instid0(VALU_DEP_1)
	v_and_b32_e32 v70, 1, v71
	v_lshlrev_b32_e32 v72, 30, v71
	v_lshlrev_b32_e32 v73, 29, v71
	v_lshlrev_b32_e32 v74, 28, v71
	v_lshlrev_b32_e32 v76, 27, v71
	v_add_co_u32 v70, s15, v70, -1
	s_wait_alu 0xf1ff
	v_cndmask_b32_e64 v75, 0, 1, s15
	v_not_b32_e32 v171, v72
	v_cmp_gt_i32_e64 s15, 0, v72
	v_not_b32_e32 v72, v73
	v_lshlrev_b32_e32 v77, 26, v71
	v_cmp_ne_u32_e32 vcc_lo, 0, v75
	v_ashrrev_i32_e32 v171, 31, v171
	v_lshlrev_b32_e32 v170, 25, v71
	v_ashrrev_i32_e32 v72, 31, v72
	v_lshlrev_b32_e32 v75, 24, v71
	s_wait_alu 0xfffd
	v_xor_b32_e32 v70, vcc_lo, v70
	v_cmp_gt_i32_e32 vcc_lo, 0, v73
	v_not_b32_e32 v73, v74
	s_wait_alu 0xf1ff
	v_xor_b32_e32 v171, s15, v171
	v_cmp_gt_i32_e64 s15, 0, v74
	v_and_b32_e32 v70, exec_lo, v70
	v_not_b32_e32 v74, v76
	v_ashrrev_i32_e32 v73, 31, v73
	s_wait_alu 0xfffd
	v_xor_b32_e32 v72, vcc_lo, v72
	v_cmp_gt_i32_e32 vcc_lo, 0, v76
	v_and_b32_e32 v70, v70, v171
	v_not_b32_e32 v76, v77
	v_ashrrev_i32_e32 v74, 31, v74
	s_wait_alu 0xf1ff
	v_xor_b32_e32 v73, s15, v73
	v_cmp_gt_i32_e64 s15, 0, v77
	v_and_b32_e32 v70, v70, v72
	v_not_b32_e32 v72, v170
	v_ashrrev_i32_e32 v76, 31, v76
	s_wait_alu 0xfffd
	v_xor_b32_e32 v74, vcc_lo, v74
	v_cmp_gt_i32_e32 vcc_lo, 0, v170
	v_and_b32_e32 v70, v70, v73
	v_not_b32_e32 v73, v75
	v_ashrrev_i32_e32 v72, 31, v72
	s_wait_alu 0xf1ff
	v_xor_b32_e32 v76, s15, v76
	v_cmp_gt_i32_e64 s15, 0, v75
	v_and_b32_e32 v70, v70, v74
	v_ashrrev_i32_e32 v73, 31, v73
	s_wait_alu 0xfffd
	v_xor_b32_e32 v72, vcc_lo, v72
	v_mad_u32_u24 v74, v71, 36, v147
	v_mul_u32_u24_e32 v71, 36, v71
	v_and_b32_e32 v70, v70, v76
	s_wait_alu 0xf1ff
	v_xor_b32_e32 v73, s15, v73
	ds_load_b32 v170, v74 offset:1056
	v_add_nc_u32_e32 v172, v147, v71
	v_and_b32_e32 v70, v70, v72
	; wave barrier
	s_delay_alu instid0(VALU_DEP_1) | instskip(NEXT) | instid1(VALU_DEP_1)
	v_and_b32_e32 v70, v70, v73
	v_mbcnt_lo_u32_b32 v171, v70, 0
	v_cmp_ne_u32_e64 s15, 0, v70
	s_delay_alu instid0(VALU_DEP_2)
	v_cmp_eq_u32_e32 vcc_lo, 0, v171
	s_and_b32 s16, s15, vcc_lo
	s_wait_alu 0xfffe
	s_and_saveexec_b32 s15, s16
	s_cbranch_execz .LBB842_730
; %bb.729:                              ;   in Loop: Header=BB842_690 Depth=2
	s_wait_dscnt 0x0
	v_bcnt_u32_b32 v70, v70, v170
	ds_store_b32 v172, v70 offset:1056
.LBB842_730:                            ;   in Loop: Header=BB842_690 Depth=2
	s_wait_alu 0xfffe
	s_or_b32 exec_lo, exec_lo, s15
	v_xor_b32_e32 v43, 0x80000000, v43
	; wave barrier
	s_delay_alu instid0(VALU_DEP_1) | instskip(NEXT) | instid1(VALU_DEP_1)
	v_lshrrev_b64 v[70:71], s31, v[42:43]
	v_and_b32_e32 v71, s54, v70
	s_delay_alu instid0(VALU_DEP_1)
	v_and_b32_e32 v70, 1, v71
	v_lshlrev_b32_e32 v72, 30, v71
	v_lshlrev_b32_e32 v73, 29, v71
	;; [unrolled: 1-line block ×4, first 2 shown]
	v_add_co_u32 v70, s15, v70, -1
	s_wait_alu 0xf1ff
	v_cndmask_b32_e64 v75, 0, 1, s15
	v_not_b32_e32 v174, v72
	v_cmp_gt_i32_e64 s15, 0, v72
	v_not_b32_e32 v72, v73
	v_lshlrev_b32_e32 v77, 26, v71
	v_cmp_ne_u32_e32 vcc_lo, 0, v75
	v_ashrrev_i32_e32 v174, 31, v174
	v_lshlrev_b32_e32 v173, 25, v71
	v_ashrrev_i32_e32 v72, 31, v72
	v_lshlrev_b32_e32 v75, 24, v71
	s_wait_alu 0xfffd
	v_xor_b32_e32 v70, vcc_lo, v70
	v_cmp_gt_i32_e32 vcc_lo, 0, v73
	v_not_b32_e32 v73, v74
	s_wait_alu 0xf1ff
	v_xor_b32_e32 v174, s15, v174
	v_cmp_gt_i32_e64 s15, 0, v74
	v_and_b32_e32 v70, exec_lo, v70
	v_not_b32_e32 v74, v76
	v_ashrrev_i32_e32 v73, 31, v73
	s_wait_alu 0xfffd
	v_xor_b32_e32 v72, vcc_lo, v72
	v_cmp_gt_i32_e32 vcc_lo, 0, v76
	v_and_b32_e32 v70, v70, v174
	v_not_b32_e32 v76, v77
	v_ashrrev_i32_e32 v74, 31, v74
	s_wait_alu 0xf1ff
	v_xor_b32_e32 v73, s15, v73
	v_cmp_gt_i32_e64 s15, 0, v77
	v_and_b32_e32 v70, v70, v72
	v_not_b32_e32 v72, v173
	v_ashrrev_i32_e32 v76, 31, v76
	s_wait_alu 0xfffd
	v_xor_b32_e32 v74, vcc_lo, v74
	v_cmp_gt_i32_e32 vcc_lo, 0, v173
	v_and_b32_e32 v70, v70, v73
	v_not_b32_e32 v73, v75
	v_ashrrev_i32_e32 v72, 31, v72
	s_wait_alu 0xf1ff
	v_xor_b32_e32 v76, s15, v76
	v_cmp_gt_i32_e64 s15, 0, v75
	v_and_b32_e32 v70, v70, v74
	v_ashrrev_i32_e32 v73, 31, v73
	s_wait_alu 0xfffd
	v_xor_b32_e32 v72, vcc_lo, v72
	v_mad_u32_u24 v74, v71, 36, v147
	v_mul_u32_u24_e32 v71, 36, v71
	v_and_b32_e32 v70, v70, v76
	s_wait_alu 0xf1ff
	v_xor_b32_e32 v73, s15, v73
	ds_load_b32 v173, v74 offset:1056
	v_add_nc_u32_e32 v175, v147, v71
	v_and_b32_e32 v70, v70, v72
	; wave barrier
	s_delay_alu instid0(VALU_DEP_1) | instskip(NEXT) | instid1(VALU_DEP_1)
	v_and_b32_e32 v70, v70, v73
	v_mbcnt_lo_u32_b32 v174, v70, 0
	v_cmp_ne_u32_e64 s15, 0, v70
	s_delay_alu instid0(VALU_DEP_2)
	v_cmp_eq_u32_e32 vcc_lo, 0, v174
	s_and_b32 s16, s15, vcc_lo
	s_wait_alu 0xfffe
	s_and_saveexec_b32 s15, s16
	s_cbranch_execz .LBB842_732
; %bb.731:                              ;   in Loop: Header=BB842_690 Depth=2
	s_wait_dscnt 0x0
	v_bcnt_u32_b32 v70, v70, v173
	ds_store_b32 v175, v70 offset:1056
.LBB842_732:                            ;   in Loop: Header=BB842_690 Depth=2
	s_wait_alu 0xfffe
	s_or_b32 exec_lo, exec_lo, s15
	v_xor_b32_e32 v45, 0x80000000, v45
	; wave barrier
	s_delay_alu instid0(VALU_DEP_1) | instskip(NEXT) | instid1(VALU_DEP_1)
	v_lshrrev_b64 v[70:71], s31, v[44:45]
	v_and_b32_e32 v71, s54, v70
	s_delay_alu instid0(VALU_DEP_1)
	v_and_b32_e32 v70, 1, v71
	v_lshlrev_b32_e32 v72, 30, v71
	v_lshlrev_b32_e32 v73, 29, v71
	;; [unrolled: 1-line block ×4, first 2 shown]
	v_add_co_u32 v70, s15, v70, -1
	s_wait_alu 0xf1ff
	v_cndmask_b32_e64 v75, 0, 1, s15
	v_not_b32_e32 v177, v72
	v_cmp_gt_i32_e64 s15, 0, v72
	v_not_b32_e32 v72, v73
	v_lshlrev_b32_e32 v77, 26, v71
	v_cmp_ne_u32_e32 vcc_lo, 0, v75
	v_ashrrev_i32_e32 v177, 31, v177
	v_lshlrev_b32_e32 v176, 25, v71
	v_ashrrev_i32_e32 v72, 31, v72
	v_lshlrev_b32_e32 v75, 24, v71
	s_wait_alu 0xfffd
	v_xor_b32_e32 v70, vcc_lo, v70
	v_cmp_gt_i32_e32 vcc_lo, 0, v73
	v_not_b32_e32 v73, v74
	s_wait_alu 0xf1ff
	v_xor_b32_e32 v177, s15, v177
	v_cmp_gt_i32_e64 s15, 0, v74
	v_and_b32_e32 v70, exec_lo, v70
	v_not_b32_e32 v74, v76
	v_ashrrev_i32_e32 v73, 31, v73
	s_wait_alu 0xfffd
	v_xor_b32_e32 v72, vcc_lo, v72
	v_cmp_gt_i32_e32 vcc_lo, 0, v76
	v_and_b32_e32 v70, v70, v177
	v_not_b32_e32 v76, v77
	v_ashrrev_i32_e32 v74, 31, v74
	s_wait_alu 0xf1ff
	v_xor_b32_e32 v73, s15, v73
	v_cmp_gt_i32_e64 s15, 0, v77
	v_and_b32_e32 v70, v70, v72
	v_not_b32_e32 v72, v176
	v_ashrrev_i32_e32 v76, 31, v76
	s_wait_alu 0xfffd
	v_xor_b32_e32 v74, vcc_lo, v74
	v_cmp_gt_i32_e32 vcc_lo, 0, v176
	v_and_b32_e32 v70, v70, v73
	v_not_b32_e32 v73, v75
	v_ashrrev_i32_e32 v72, 31, v72
	s_wait_alu 0xf1ff
	v_xor_b32_e32 v76, s15, v76
	v_cmp_gt_i32_e64 s15, 0, v75
	v_and_b32_e32 v70, v70, v74
	v_ashrrev_i32_e32 v73, 31, v73
	s_wait_alu 0xfffd
	v_xor_b32_e32 v72, vcc_lo, v72
	v_mad_u32_u24 v74, v71, 36, v147
	v_mul_u32_u24_e32 v71, 36, v71
	v_and_b32_e32 v70, v70, v76
	s_wait_alu 0xf1ff
	v_xor_b32_e32 v73, s15, v73
	ds_load_b32 v176, v74 offset:1056
	v_add_nc_u32_e32 v178, v147, v71
	v_and_b32_e32 v70, v70, v72
	; wave barrier
	s_delay_alu instid0(VALU_DEP_1) | instskip(NEXT) | instid1(VALU_DEP_1)
	v_and_b32_e32 v70, v70, v73
	v_mbcnt_lo_u32_b32 v177, v70, 0
	v_cmp_ne_u32_e64 s15, 0, v70
	s_delay_alu instid0(VALU_DEP_2)
	v_cmp_eq_u32_e32 vcc_lo, 0, v177
	s_and_b32 s16, s15, vcc_lo
	s_wait_alu 0xfffe
	s_and_saveexec_b32 s15, s16
	s_cbranch_execz .LBB842_734
; %bb.733:                              ;   in Loop: Header=BB842_690 Depth=2
	s_wait_dscnt 0x0
	v_bcnt_u32_b32 v70, v70, v176
	ds_store_b32 v178, v70 offset:1056
.LBB842_734:                            ;   in Loop: Header=BB842_690 Depth=2
	s_wait_alu 0xfffe
	s_or_b32 exec_lo, exec_lo, s15
	v_xor_b32_e32 v47, 0x80000000, v47
	; wave barrier
	s_delay_alu instid0(VALU_DEP_1) | instskip(NEXT) | instid1(VALU_DEP_1)
	v_lshrrev_b64 v[70:71], s31, v[46:47]
	v_and_b32_e32 v71, s54, v70
	s_delay_alu instid0(VALU_DEP_1)
	v_and_b32_e32 v70, 1, v71
	v_lshlrev_b32_e32 v72, 30, v71
	v_lshlrev_b32_e32 v73, 29, v71
	v_lshlrev_b32_e32 v74, 28, v71
	v_lshlrev_b32_e32 v76, 27, v71
	v_add_co_u32 v70, s15, v70, -1
	s_wait_alu 0xf1ff
	v_cndmask_b32_e64 v75, 0, 1, s15
	v_not_b32_e32 v180, v72
	v_cmp_gt_i32_e64 s15, 0, v72
	v_not_b32_e32 v72, v73
	v_lshlrev_b32_e32 v77, 26, v71
	v_cmp_ne_u32_e32 vcc_lo, 0, v75
	v_ashrrev_i32_e32 v180, 31, v180
	v_lshlrev_b32_e32 v179, 25, v71
	v_ashrrev_i32_e32 v72, 31, v72
	v_lshlrev_b32_e32 v75, 24, v71
	s_wait_alu 0xfffd
	v_xor_b32_e32 v70, vcc_lo, v70
	v_cmp_gt_i32_e32 vcc_lo, 0, v73
	v_not_b32_e32 v73, v74
	s_wait_alu 0xf1ff
	v_xor_b32_e32 v180, s15, v180
	v_cmp_gt_i32_e64 s15, 0, v74
	v_and_b32_e32 v70, exec_lo, v70
	v_not_b32_e32 v74, v76
	v_ashrrev_i32_e32 v73, 31, v73
	s_wait_alu 0xfffd
	v_xor_b32_e32 v72, vcc_lo, v72
	v_cmp_gt_i32_e32 vcc_lo, 0, v76
	v_and_b32_e32 v70, v70, v180
	v_not_b32_e32 v76, v77
	v_ashrrev_i32_e32 v74, 31, v74
	s_wait_alu 0xf1ff
	v_xor_b32_e32 v73, s15, v73
	v_cmp_gt_i32_e64 s15, 0, v77
	v_and_b32_e32 v70, v70, v72
	v_not_b32_e32 v72, v179
	v_ashrrev_i32_e32 v76, 31, v76
	s_wait_alu 0xfffd
	v_xor_b32_e32 v74, vcc_lo, v74
	v_cmp_gt_i32_e32 vcc_lo, 0, v179
	v_and_b32_e32 v70, v70, v73
	v_not_b32_e32 v73, v75
	v_ashrrev_i32_e32 v72, 31, v72
	s_wait_alu 0xf1ff
	v_xor_b32_e32 v76, s15, v76
	v_cmp_gt_i32_e64 s15, 0, v75
	v_and_b32_e32 v70, v70, v74
	v_ashrrev_i32_e32 v73, 31, v73
	s_wait_alu 0xfffd
	v_xor_b32_e32 v72, vcc_lo, v72
	v_mad_u32_u24 v74, v71, 36, v147
	v_mul_u32_u24_e32 v71, 36, v71
	v_and_b32_e32 v70, v70, v76
	s_wait_alu 0xf1ff
	v_xor_b32_e32 v73, s15, v73
	ds_load_b32 v179, v74 offset:1056
	v_add_nc_u32_e32 v181, v147, v71
	v_and_b32_e32 v70, v70, v72
	; wave barrier
	s_delay_alu instid0(VALU_DEP_1) | instskip(NEXT) | instid1(VALU_DEP_1)
	v_and_b32_e32 v70, v70, v73
	v_mbcnt_lo_u32_b32 v180, v70, 0
	v_cmp_ne_u32_e64 s15, 0, v70
	s_delay_alu instid0(VALU_DEP_2)
	v_cmp_eq_u32_e32 vcc_lo, 0, v180
	s_and_b32 s16, s15, vcc_lo
	s_wait_alu 0xfffe
	s_and_saveexec_b32 s15, s16
	s_cbranch_execz .LBB842_736
; %bb.735:                              ;   in Loop: Header=BB842_690 Depth=2
	s_wait_dscnt 0x0
	v_bcnt_u32_b32 v70, v70, v179
	ds_store_b32 v181, v70 offset:1056
.LBB842_736:                            ;   in Loop: Header=BB842_690 Depth=2
	s_wait_alu 0xfffe
	s_or_b32 exec_lo, exec_lo, s15
	v_xor_b32_e32 v51, 0x80000000, v51
	; wave barrier
	s_delay_alu instid0(VALU_DEP_1) | instskip(NEXT) | instid1(VALU_DEP_1)
	v_lshrrev_b64 v[70:71], s31, v[50:51]
	v_and_b32_e32 v71, s54, v70
	s_delay_alu instid0(VALU_DEP_1)
	v_and_b32_e32 v70, 1, v71
	v_lshlrev_b32_e32 v72, 30, v71
	v_lshlrev_b32_e32 v73, 29, v71
	;; [unrolled: 1-line block ×4, first 2 shown]
	v_add_co_u32 v70, s15, v70, -1
	s_wait_alu 0xf1ff
	v_cndmask_b32_e64 v75, 0, 1, s15
	v_not_b32_e32 v183, v72
	v_cmp_gt_i32_e64 s15, 0, v72
	v_not_b32_e32 v72, v73
	v_lshlrev_b32_e32 v77, 26, v71
	v_cmp_ne_u32_e32 vcc_lo, 0, v75
	v_ashrrev_i32_e32 v183, 31, v183
	v_lshlrev_b32_e32 v182, 25, v71
	v_ashrrev_i32_e32 v72, 31, v72
	v_lshlrev_b32_e32 v75, 24, v71
	s_wait_alu 0xfffd
	v_xor_b32_e32 v70, vcc_lo, v70
	v_cmp_gt_i32_e32 vcc_lo, 0, v73
	v_not_b32_e32 v73, v74
	s_wait_alu 0xf1ff
	v_xor_b32_e32 v183, s15, v183
	v_cmp_gt_i32_e64 s15, 0, v74
	v_and_b32_e32 v70, exec_lo, v70
	v_not_b32_e32 v74, v76
	v_ashrrev_i32_e32 v73, 31, v73
	s_wait_alu 0xfffd
	v_xor_b32_e32 v72, vcc_lo, v72
	v_cmp_gt_i32_e32 vcc_lo, 0, v76
	v_and_b32_e32 v70, v70, v183
	v_not_b32_e32 v76, v77
	v_ashrrev_i32_e32 v74, 31, v74
	s_wait_alu 0xf1ff
	v_xor_b32_e32 v73, s15, v73
	v_cmp_gt_i32_e64 s15, 0, v77
	v_and_b32_e32 v70, v70, v72
	v_not_b32_e32 v72, v182
	v_ashrrev_i32_e32 v76, 31, v76
	s_wait_alu 0xfffd
	v_xor_b32_e32 v74, vcc_lo, v74
	v_cmp_gt_i32_e32 vcc_lo, 0, v182
	v_and_b32_e32 v70, v70, v73
	v_not_b32_e32 v73, v75
	v_ashrrev_i32_e32 v72, 31, v72
	s_wait_alu 0xf1ff
	v_xor_b32_e32 v76, s15, v76
	v_cmp_gt_i32_e64 s15, 0, v75
	v_and_b32_e32 v70, v70, v74
	v_ashrrev_i32_e32 v73, 31, v73
	s_wait_alu 0xfffd
	v_xor_b32_e32 v72, vcc_lo, v72
	v_mad_u32_u24 v74, v71, 36, v147
	v_mul_u32_u24_e32 v71, 36, v71
	v_and_b32_e32 v70, v70, v76
	s_wait_alu 0xf1ff
	v_xor_b32_e32 v73, s15, v73
	ds_load_b32 v182, v74 offset:1056
	v_add_nc_u32_e32 v184, v147, v71
	v_and_b32_e32 v70, v70, v72
	; wave barrier
	s_delay_alu instid0(VALU_DEP_1) | instskip(NEXT) | instid1(VALU_DEP_1)
	v_and_b32_e32 v70, v70, v73
	v_mbcnt_lo_u32_b32 v183, v70, 0
	v_cmp_ne_u32_e64 s15, 0, v70
	s_delay_alu instid0(VALU_DEP_2)
	v_cmp_eq_u32_e32 vcc_lo, 0, v183
	s_and_b32 s16, s15, vcc_lo
	s_wait_alu 0xfffe
	s_and_saveexec_b32 s15, s16
	s_cbranch_execz .LBB842_738
; %bb.737:                              ;   in Loop: Header=BB842_690 Depth=2
	s_wait_dscnt 0x0
	v_bcnt_u32_b32 v70, v70, v182
	ds_store_b32 v184, v70 offset:1056
.LBB842_738:                            ;   in Loop: Header=BB842_690 Depth=2
	s_wait_alu 0xfffe
	s_or_b32 exec_lo, exec_lo, s15
	v_xor_b32_e32 v49, 0x80000000, v49
	; wave barrier
	s_delay_alu instid0(VALU_DEP_1) | instskip(NEXT) | instid1(VALU_DEP_1)
	v_lshrrev_b64 v[70:71], s31, v[48:49]
	v_and_b32_e32 v71, s54, v70
	s_delay_alu instid0(VALU_DEP_1)
	v_and_b32_e32 v70, 1, v71
	v_lshlrev_b32_e32 v72, 30, v71
	v_lshlrev_b32_e32 v73, 29, v71
	;; [unrolled: 1-line block ×4, first 2 shown]
	v_add_co_u32 v70, s15, v70, -1
	s_wait_alu 0xf1ff
	v_cndmask_b32_e64 v75, 0, 1, s15
	v_not_b32_e32 v186, v72
	v_cmp_gt_i32_e64 s15, 0, v72
	v_not_b32_e32 v72, v73
	v_lshlrev_b32_e32 v77, 26, v71
	v_cmp_ne_u32_e32 vcc_lo, 0, v75
	v_ashrrev_i32_e32 v186, 31, v186
	v_lshlrev_b32_e32 v185, 25, v71
	v_ashrrev_i32_e32 v72, 31, v72
	v_lshlrev_b32_e32 v75, 24, v71
	s_wait_alu 0xfffd
	v_xor_b32_e32 v70, vcc_lo, v70
	v_cmp_gt_i32_e32 vcc_lo, 0, v73
	v_not_b32_e32 v73, v74
	s_wait_alu 0xf1ff
	v_xor_b32_e32 v186, s15, v186
	v_cmp_gt_i32_e64 s15, 0, v74
	v_and_b32_e32 v70, exec_lo, v70
	v_not_b32_e32 v74, v76
	v_ashrrev_i32_e32 v73, 31, v73
	s_wait_alu 0xfffd
	v_xor_b32_e32 v72, vcc_lo, v72
	v_cmp_gt_i32_e32 vcc_lo, 0, v76
	v_and_b32_e32 v70, v70, v186
	v_not_b32_e32 v76, v77
	v_ashrrev_i32_e32 v74, 31, v74
	s_wait_alu 0xf1ff
	v_xor_b32_e32 v73, s15, v73
	v_cmp_gt_i32_e64 s15, 0, v77
	v_and_b32_e32 v70, v70, v72
	v_not_b32_e32 v72, v185
	v_ashrrev_i32_e32 v76, 31, v76
	s_wait_alu 0xfffd
	v_xor_b32_e32 v74, vcc_lo, v74
	v_cmp_gt_i32_e32 vcc_lo, 0, v185
	v_and_b32_e32 v70, v70, v73
	v_not_b32_e32 v73, v75
	v_ashrrev_i32_e32 v72, 31, v72
	s_wait_alu 0xf1ff
	v_xor_b32_e32 v76, s15, v76
	v_cmp_gt_i32_e64 s15, 0, v75
	v_and_b32_e32 v70, v70, v74
	v_ashrrev_i32_e32 v73, 31, v73
	s_wait_alu 0xfffd
	v_xor_b32_e32 v72, vcc_lo, v72
	v_mad_u32_u24 v74, v71, 36, v147
	v_mul_u32_u24_e32 v71, 36, v71
	v_and_b32_e32 v70, v70, v76
	s_wait_alu 0xf1ff
	v_xor_b32_e32 v73, s15, v73
	ds_load_b32 v185, v74 offset:1056
	v_add_nc_u32_e32 v187, v147, v71
	v_and_b32_e32 v70, v70, v72
	; wave barrier
	s_delay_alu instid0(VALU_DEP_1) | instskip(NEXT) | instid1(VALU_DEP_1)
	v_and_b32_e32 v70, v70, v73
	v_mbcnt_lo_u32_b32 v186, v70, 0
	v_cmp_ne_u32_e64 s15, 0, v70
	s_delay_alu instid0(VALU_DEP_2)
	v_cmp_eq_u32_e32 vcc_lo, 0, v186
	s_and_b32 s16, s15, vcc_lo
	s_wait_alu 0xfffe
	s_and_saveexec_b32 s15, s16
	s_cbranch_execz .LBB842_740
; %bb.739:                              ;   in Loop: Header=BB842_690 Depth=2
	s_wait_dscnt 0x0
	v_bcnt_u32_b32 v70, v70, v185
	ds_store_b32 v187, v70 offset:1056
.LBB842_740:                            ;   in Loop: Header=BB842_690 Depth=2
	s_wait_alu 0xfffe
	s_or_b32 exec_lo, exec_lo, s15
	v_xor_b32_e32 v53, 0x80000000, v53
	; wave barrier
	s_delay_alu instid0(VALU_DEP_1) | instskip(NEXT) | instid1(VALU_DEP_1)
	v_lshrrev_b64 v[70:71], s31, v[52:53]
	v_and_b32_e32 v71, s54, v70
	s_delay_alu instid0(VALU_DEP_1)
	v_and_b32_e32 v70, 1, v71
	v_lshlrev_b32_e32 v72, 30, v71
	v_lshlrev_b32_e32 v73, 29, v71
	;; [unrolled: 1-line block ×4, first 2 shown]
	v_add_co_u32 v70, s15, v70, -1
	s_wait_alu 0xf1ff
	v_cndmask_b32_e64 v75, 0, 1, s15
	v_not_b32_e32 v189, v72
	v_cmp_gt_i32_e64 s15, 0, v72
	v_not_b32_e32 v72, v73
	v_lshlrev_b32_e32 v77, 26, v71
	v_cmp_ne_u32_e32 vcc_lo, 0, v75
	v_ashrrev_i32_e32 v189, 31, v189
	v_lshlrev_b32_e32 v188, 25, v71
	v_ashrrev_i32_e32 v72, 31, v72
	v_lshlrev_b32_e32 v75, 24, v71
	s_wait_alu 0xfffd
	v_xor_b32_e32 v70, vcc_lo, v70
	v_cmp_gt_i32_e32 vcc_lo, 0, v73
	v_not_b32_e32 v73, v74
	s_wait_alu 0xf1ff
	v_xor_b32_e32 v189, s15, v189
	v_cmp_gt_i32_e64 s15, 0, v74
	v_and_b32_e32 v70, exec_lo, v70
	v_not_b32_e32 v74, v76
	v_ashrrev_i32_e32 v73, 31, v73
	s_wait_alu 0xfffd
	v_xor_b32_e32 v72, vcc_lo, v72
	v_cmp_gt_i32_e32 vcc_lo, 0, v76
	v_and_b32_e32 v70, v70, v189
	v_not_b32_e32 v76, v77
	v_ashrrev_i32_e32 v74, 31, v74
	s_wait_alu 0xf1ff
	v_xor_b32_e32 v73, s15, v73
	v_cmp_gt_i32_e64 s15, 0, v77
	v_and_b32_e32 v70, v70, v72
	v_not_b32_e32 v72, v188
	v_ashrrev_i32_e32 v76, 31, v76
	s_wait_alu 0xfffd
	v_xor_b32_e32 v74, vcc_lo, v74
	v_cmp_gt_i32_e32 vcc_lo, 0, v188
	v_and_b32_e32 v70, v70, v73
	v_not_b32_e32 v73, v75
	v_ashrrev_i32_e32 v72, 31, v72
	s_wait_alu 0xf1ff
	v_xor_b32_e32 v76, s15, v76
	v_cmp_gt_i32_e64 s15, 0, v75
	v_and_b32_e32 v70, v70, v74
	v_ashrrev_i32_e32 v73, 31, v73
	s_wait_alu 0xfffd
	v_xor_b32_e32 v72, vcc_lo, v72
	v_mad_u32_u24 v74, v71, 36, v147
	v_mul_u32_u24_e32 v71, 36, v71
	v_and_b32_e32 v70, v70, v76
	s_wait_alu 0xf1ff
	v_xor_b32_e32 v73, s15, v73
	ds_load_b32 v188, v74 offset:1056
	v_add_nc_u32_e32 v190, v147, v71
	v_and_b32_e32 v70, v70, v72
	; wave barrier
	s_delay_alu instid0(VALU_DEP_1) | instskip(NEXT) | instid1(VALU_DEP_1)
	v_and_b32_e32 v70, v70, v73
	v_mbcnt_lo_u32_b32 v189, v70, 0
	v_cmp_ne_u32_e64 s15, 0, v70
	s_delay_alu instid0(VALU_DEP_2)
	v_cmp_eq_u32_e32 vcc_lo, 0, v189
	s_and_b32 s16, s15, vcc_lo
	s_wait_alu 0xfffe
	s_and_saveexec_b32 s15, s16
	s_cbranch_execz .LBB842_742
; %bb.741:                              ;   in Loop: Header=BB842_690 Depth=2
	s_wait_dscnt 0x0
	v_bcnt_u32_b32 v70, v70, v188
	ds_store_b32 v190, v70 offset:1056
.LBB842_742:                            ;   in Loop: Header=BB842_690 Depth=2
	s_wait_alu 0xfffe
	s_or_b32 exec_lo, exec_lo, s15
	v_xor_b32_e32 v55, 0x80000000, v55
	; wave barrier
	s_delay_alu instid0(VALU_DEP_1) | instskip(NEXT) | instid1(VALU_DEP_1)
	v_lshrrev_b64 v[70:71], s31, v[54:55]
	v_and_b32_e32 v71, s54, v70
	s_delay_alu instid0(VALU_DEP_1)
	v_and_b32_e32 v70, 1, v71
	v_lshlrev_b32_e32 v72, 30, v71
	v_lshlrev_b32_e32 v73, 29, v71
	;; [unrolled: 1-line block ×4, first 2 shown]
	v_add_co_u32 v70, s15, v70, -1
	s_wait_alu 0xf1ff
	v_cndmask_b32_e64 v75, 0, 1, s15
	v_not_b32_e32 v192, v72
	v_cmp_gt_i32_e64 s15, 0, v72
	v_not_b32_e32 v72, v73
	v_lshlrev_b32_e32 v77, 26, v71
	v_cmp_ne_u32_e32 vcc_lo, 0, v75
	v_ashrrev_i32_e32 v192, 31, v192
	v_lshlrev_b32_e32 v191, 25, v71
	v_ashrrev_i32_e32 v72, 31, v72
	v_lshlrev_b32_e32 v75, 24, v71
	s_wait_alu 0xfffd
	v_xor_b32_e32 v70, vcc_lo, v70
	v_cmp_gt_i32_e32 vcc_lo, 0, v73
	v_not_b32_e32 v73, v74
	s_wait_alu 0xf1ff
	v_xor_b32_e32 v192, s15, v192
	v_cmp_gt_i32_e64 s15, 0, v74
	v_and_b32_e32 v70, exec_lo, v70
	v_not_b32_e32 v74, v76
	v_ashrrev_i32_e32 v73, 31, v73
	s_wait_alu 0xfffd
	v_xor_b32_e32 v72, vcc_lo, v72
	v_cmp_gt_i32_e32 vcc_lo, 0, v76
	v_and_b32_e32 v70, v70, v192
	v_not_b32_e32 v76, v77
	v_ashrrev_i32_e32 v74, 31, v74
	s_wait_alu 0xf1ff
	v_xor_b32_e32 v73, s15, v73
	v_cmp_gt_i32_e64 s15, 0, v77
	v_and_b32_e32 v70, v70, v72
	v_not_b32_e32 v72, v191
	v_ashrrev_i32_e32 v76, 31, v76
	s_wait_alu 0xfffd
	v_xor_b32_e32 v74, vcc_lo, v74
	v_cmp_gt_i32_e32 vcc_lo, 0, v191
	v_and_b32_e32 v70, v70, v73
	v_not_b32_e32 v73, v75
	v_ashrrev_i32_e32 v72, 31, v72
	s_wait_alu 0xf1ff
	v_xor_b32_e32 v76, s15, v76
	v_cmp_gt_i32_e64 s15, 0, v75
	v_and_b32_e32 v70, v70, v74
	v_ashrrev_i32_e32 v73, 31, v73
	s_wait_alu 0xfffd
	v_xor_b32_e32 v72, vcc_lo, v72
	v_mad_u32_u24 v74, v71, 36, v147
	v_mul_u32_u24_e32 v71, 36, v71
	v_and_b32_e32 v70, v70, v76
	s_wait_alu 0xf1ff
	v_xor_b32_e32 v73, s15, v73
	ds_load_b32 v191, v74 offset:1056
	v_add_nc_u32_e32 v193, v147, v71
	v_and_b32_e32 v70, v70, v72
	; wave barrier
	s_delay_alu instid0(VALU_DEP_1) | instskip(NEXT) | instid1(VALU_DEP_1)
	v_and_b32_e32 v70, v70, v73
	v_mbcnt_lo_u32_b32 v192, v70, 0
	v_cmp_ne_u32_e64 s15, 0, v70
	s_delay_alu instid0(VALU_DEP_2)
	v_cmp_eq_u32_e32 vcc_lo, 0, v192
	s_and_b32 s16, s15, vcc_lo
	s_wait_alu 0xfffe
	s_and_saveexec_b32 s15, s16
	s_cbranch_execz .LBB842_744
; %bb.743:                              ;   in Loop: Header=BB842_690 Depth=2
	s_wait_dscnt 0x0
	v_bcnt_u32_b32 v70, v70, v191
	ds_store_b32 v193, v70 offset:1056
.LBB842_744:                            ;   in Loop: Header=BB842_690 Depth=2
	s_wait_alu 0xfffe
	s_or_b32 exec_lo, exec_lo, s15
	v_xor_b32_e32 v57, 0x80000000, v57
	; wave barrier
	s_delay_alu instid0(VALU_DEP_1) | instskip(NEXT) | instid1(VALU_DEP_1)
	v_lshrrev_b64 v[70:71], s31, v[56:57]
	v_and_b32_e32 v71, s54, v70
	s_delay_alu instid0(VALU_DEP_1)
	v_and_b32_e32 v70, 1, v71
	v_lshlrev_b32_e32 v72, 30, v71
	v_lshlrev_b32_e32 v73, 29, v71
	;; [unrolled: 1-line block ×4, first 2 shown]
	v_add_co_u32 v70, s15, v70, -1
	s_wait_alu 0xf1ff
	v_cndmask_b32_e64 v75, 0, 1, s15
	v_not_b32_e32 v195, v72
	v_cmp_gt_i32_e64 s15, 0, v72
	v_not_b32_e32 v72, v73
	v_lshlrev_b32_e32 v77, 26, v71
	v_cmp_ne_u32_e32 vcc_lo, 0, v75
	v_ashrrev_i32_e32 v195, 31, v195
	v_lshlrev_b32_e32 v194, 25, v71
	v_ashrrev_i32_e32 v72, 31, v72
	v_lshlrev_b32_e32 v75, 24, v71
	s_wait_alu 0xfffd
	v_xor_b32_e32 v70, vcc_lo, v70
	v_cmp_gt_i32_e32 vcc_lo, 0, v73
	v_not_b32_e32 v73, v74
	s_wait_alu 0xf1ff
	v_xor_b32_e32 v195, s15, v195
	v_cmp_gt_i32_e64 s15, 0, v74
	v_and_b32_e32 v70, exec_lo, v70
	v_not_b32_e32 v74, v76
	v_ashrrev_i32_e32 v73, 31, v73
	s_wait_alu 0xfffd
	v_xor_b32_e32 v72, vcc_lo, v72
	v_cmp_gt_i32_e32 vcc_lo, 0, v76
	v_and_b32_e32 v70, v70, v195
	v_not_b32_e32 v76, v77
	v_ashrrev_i32_e32 v74, 31, v74
	s_wait_alu 0xf1ff
	v_xor_b32_e32 v73, s15, v73
	v_cmp_gt_i32_e64 s15, 0, v77
	v_and_b32_e32 v70, v70, v72
	v_not_b32_e32 v72, v194
	v_ashrrev_i32_e32 v76, 31, v76
	s_wait_alu 0xfffd
	v_xor_b32_e32 v74, vcc_lo, v74
	v_cmp_gt_i32_e32 vcc_lo, 0, v194
	v_and_b32_e32 v70, v70, v73
	v_not_b32_e32 v73, v75
	v_ashrrev_i32_e32 v72, 31, v72
	s_wait_alu 0xf1ff
	v_xor_b32_e32 v76, s15, v76
	v_cmp_gt_i32_e64 s15, 0, v75
	v_and_b32_e32 v70, v70, v74
	v_ashrrev_i32_e32 v73, 31, v73
	s_wait_alu 0xfffd
	v_xor_b32_e32 v72, vcc_lo, v72
	v_mad_u32_u24 v74, v71, 36, v147
	v_mul_u32_u24_e32 v71, 36, v71
	v_and_b32_e32 v70, v70, v76
	s_wait_alu 0xf1ff
	v_xor_b32_e32 v73, s15, v73
	ds_load_b32 v194, v74 offset:1056
	v_add_nc_u32_e32 v196, v147, v71
	v_and_b32_e32 v70, v70, v72
	; wave barrier
	s_delay_alu instid0(VALU_DEP_1) | instskip(NEXT) | instid1(VALU_DEP_1)
	v_and_b32_e32 v70, v70, v73
	v_mbcnt_lo_u32_b32 v195, v70, 0
	v_cmp_ne_u32_e64 s15, 0, v70
	s_delay_alu instid0(VALU_DEP_2)
	v_cmp_eq_u32_e32 vcc_lo, 0, v195
	s_and_b32 s16, s15, vcc_lo
	s_wait_alu 0xfffe
	s_and_saveexec_b32 s15, s16
	s_cbranch_execz .LBB842_746
; %bb.745:                              ;   in Loop: Header=BB842_690 Depth=2
	s_wait_dscnt 0x0
	v_bcnt_u32_b32 v70, v70, v194
	ds_store_b32 v196, v70 offset:1056
.LBB842_746:                            ;   in Loop: Header=BB842_690 Depth=2
	s_wait_alu 0xfffe
	s_or_b32 exec_lo, exec_lo, s15
	v_xor_b32_e32 v61, 0x80000000, v61
	; wave barrier
	s_delay_alu instid0(VALU_DEP_1) | instskip(NEXT) | instid1(VALU_DEP_1)
	v_lshrrev_b64 v[70:71], s31, v[60:61]
	v_and_b32_e32 v71, s54, v70
	s_delay_alu instid0(VALU_DEP_1)
	v_and_b32_e32 v70, 1, v71
	v_lshlrev_b32_e32 v72, 30, v71
	v_lshlrev_b32_e32 v73, 29, v71
	;; [unrolled: 1-line block ×4, first 2 shown]
	v_add_co_u32 v70, s15, v70, -1
	s_wait_alu 0xf1ff
	v_cndmask_b32_e64 v75, 0, 1, s15
	v_not_b32_e32 v198, v72
	v_cmp_gt_i32_e64 s15, 0, v72
	v_not_b32_e32 v72, v73
	v_lshlrev_b32_e32 v77, 26, v71
	v_cmp_ne_u32_e32 vcc_lo, 0, v75
	v_ashrrev_i32_e32 v198, 31, v198
	v_lshlrev_b32_e32 v197, 25, v71
	v_ashrrev_i32_e32 v72, 31, v72
	v_lshlrev_b32_e32 v75, 24, v71
	s_wait_alu 0xfffd
	v_xor_b32_e32 v70, vcc_lo, v70
	v_cmp_gt_i32_e32 vcc_lo, 0, v73
	v_not_b32_e32 v73, v74
	s_wait_alu 0xf1ff
	v_xor_b32_e32 v198, s15, v198
	v_cmp_gt_i32_e64 s15, 0, v74
	v_and_b32_e32 v70, exec_lo, v70
	v_not_b32_e32 v74, v76
	v_ashrrev_i32_e32 v73, 31, v73
	s_wait_alu 0xfffd
	v_xor_b32_e32 v72, vcc_lo, v72
	v_cmp_gt_i32_e32 vcc_lo, 0, v76
	v_and_b32_e32 v70, v70, v198
	v_not_b32_e32 v76, v77
	v_ashrrev_i32_e32 v74, 31, v74
	s_wait_alu 0xf1ff
	v_xor_b32_e32 v73, s15, v73
	v_cmp_gt_i32_e64 s15, 0, v77
	v_and_b32_e32 v70, v70, v72
	v_not_b32_e32 v72, v197
	v_ashrrev_i32_e32 v76, 31, v76
	s_wait_alu 0xfffd
	v_xor_b32_e32 v74, vcc_lo, v74
	v_cmp_gt_i32_e32 vcc_lo, 0, v197
	v_and_b32_e32 v70, v70, v73
	v_not_b32_e32 v73, v75
	v_ashrrev_i32_e32 v72, 31, v72
	s_wait_alu 0xf1ff
	v_xor_b32_e32 v76, s15, v76
	v_cmp_gt_i32_e64 s15, 0, v75
	v_and_b32_e32 v70, v70, v74
	v_ashrrev_i32_e32 v73, 31, v73
	s_wait_alu 0xfffd
	v_xor_b32_e32 v72, vcc_lo, v72
	v_mad_u32_u24 v74, v71, 36, v147
	v_mul_u32_u24_e32 v71, 36, v71
	v_and_b32_e32 v70, v70, v76
	s_wait_alu 0xf1ff
	v_xor_b32_e32 v73, s15, v73
	ds_load_b32 v197, v74 offset:1056
	v_add_nc_u32_e32 v199, v147, v71
	v_and_b32_e32 v70, v70, v72
	; wave barrier
	s_delay_alu instid0(VALU_DEP_1) | instskip(NEXT) | instid1(VALU_DEP_1)
	v_and_b32_e32 v70, v70, v73
	v_mbcnt_lo_u32_b32 v198, v70, 0
	v_cmp_ne_u32_e64 s15, 0, v70
	s_delay_alu instid0(VALU_DEP_2)
	v_cmp_eq_u32_e32 vcc_lo, 0, v198
	s_and_b32 s16, s15, vcc_lo
	s_wait_alu 0xfffe
	s_and_saveexec_b32 s15, s16
	s_cbranch_execz .LBB842_748
; %bb.747:                              ;   in Loop: Header=BB842_690 Depth=2
	s_wait_dscnt 0x0
	v_bcnt_u32_b32 v70, v70, v197
	ds_store_b32 v199, v70 offset:1056
.LBB842_748:                            ;   in Loop: Header=BB842_690 Depth=2
	s_wait_alu 0xfffe
	s_or_b32 exec_lo, exec_lo, s15
	v_xor_b32_e32 v59, 0x80000000, v59
	; wave barrier
	s_delay_alu instid0(VALU_DEP_1) | instskip(NEXT) | instid1(VALU_DEP_1)
	v_lshrrev_b64 v[70:71], s31, v[58:59]
	v_and_b32_e32 v71, s54, v70
	s_delay_alu instid0(VALU_DEP_1)
	v_and_b32_e32 v70, 1, v71
	v_lshlrev_b32_e32 v72, 30, v71
	v_lshlrev_b32_e32 v73, 29, v71
	;; [unrolled: 1-line block ×4, first 2 shown]
	v_add_co_u32 v70, s15, v70, -1
	s_wait_alu 0xf1ff
	v_cndmask_b32_e64 v75, 0, 1, s15
	v_not_b32_e32 v201, v72
	v_cmp_gt_i32_e64 s15, 0, v72
	v_not_b32_e32 v72, v73
	v_lshlrev_b32_e32 v77, 26, v71
	v_cmp_ne_u32_e32 vcc_lo, 0, v75
	v_ashrrev_i32_e32 v201, 31, v201
	v_lshlrev_b32_e32 v200, 25, v71
	v_ashrrev_i32_e32 v72, 31, v72
	v_lshlrev_b32_e32 v75, 24, v71
	s_wait_alu 0xfffd
	v_xor_b32_e32 v70, vcc_lo, v70
	v_cmp_gt_i32_e32 vcc_lo, 0, v73
	v_not_b32_e32 v73, v74
	s_wait_alu 0xf1ff
	v_xor_b32_e32 v201, s15, v201
	v_cmp_gt_i32_e64 s15, 0, v74
	v_and_b32_e32 v70, exec_lo, v70
	v_not_b32_e32 v74, v76
	v_ashrrev_i32_e32 v73, 31, v73
	s_wait_alu 0xfffd
	v_xor_b32_e32 v72, vcc_lo, v72
	v_cmp_gt_i32_e32 vcc_lo, 0, v76
	v_and_b32_e32 v70, v70, v201
	v_not_b32_e32 v76, v77
	v_ashrrev_i32_e32 v74, 31, v74
	s_wait_alu 0xf1ff
	v_xor_b32_e32 v73, s15, v73
	v_cmp_gt_i32_e64 s15, 0, v77
	v_and_b32_e32 v70, v70, v72
	v_not_b32_e32 v72, v200
	v_ashrrev_i32_e32 v76, 31, v76
	s_wait_alu 0xfffd
	v_xor_b32_e32 v74, vcc_lo, v74
	v_cmp_gt_i32_e32 vcc_lo, 0, v200
	v_and_b32_e32 v70, v70, v73
	v_not_b32_e32 v73, v75
	v_ashrrev_i32_e32 v72, 31, v72
	s_wait_alu 0xf1ff
	v_xor_b32_e32 v76, s15, v76
	v_cmp_gt_i32_e64 s15, 0, v75
	v_and_b32_e32 v70, v70, v74
	v_ashrrev_i32_e32 v73, 31, v73
	s_wait_alu 0xfffd
	v_xor_b32_e32 v72, vcc_lo, v72
	v_mad_u32_u24 v74, v71, 36, v147
	v_mul_u32_u24_e32 v71, 36, v71
	v_and_b32_e32 v70, v70, v76
	s_wait_alu 0xf1ff
	v_xor_b32_e32 v73, s15, v73
	ds_load_b32 v200, v74 offset:1056
	v_add_nc_u32_e32 v202, v147, v71
	v_and_b32_e32 v70, v70, v72
	; wave barrier
	s_delay_alu instid0(VALU_DEP_1) | instskip(NEXT) | instid1(VALU_DEP_1)
	v_and_b32_e32 v70, v70, v73
	v_mbcnt_lo_u32_b32 v201, v70, 0
	v_cmp_ne_u32_e64 s15, 0, v70
	s_delay_alu instid0(VALU_DEP_2)
	v_cmp_eq_u32_e32 vcc_lo, 0, v201
	s_and_b32 s16, s15, vcc_lo
	s_wait_alu 0xfffe
	s_and_saveexec_b32 s15, s16
	s_cbranch_execz .LBB842_750
; %bb.749:                              ;   in Loop: Header=BB842_690 Depth=2
	s_wait_dscnt 0x0
	v_bcnt_u32_b32 v70, v70, v200
	ds_store_b32 v202, v70 offset:1056
.LBB842_750:                            ;   in Loop: Header=BB842_690 Depth=2
	s_wait_alu 0xfffe
	s_or_b32 exec_lo, exec_lo, s15
	v_xor_b32_e32 v63, 0x80000000, v63
	; wave barrier
	s_delay_alu instid0(VALU_DEP_1) | instskip(NEXT) | instid1(VALU_DEP_1)
	v_lshrrev_b64 v[70:71], s31, v[62:63]
	v_and_b32_e32 v71, s54, v70
	s_delay_alu instid0(VALU_DEP_1)
	v_and_b32_e32 v70, 1, v71
	v_lshlrev_b32_e32 v72, 30, v71
	v_lshlrev_b32_e32 v73, 29, v71
	;; [unrolled: 1-line block ×4, first 2 shown]
	v_add_co_u32 v70, s15, v70, -1
	s_wait_alu 0xf1ff
	v_cndmask_b32_e64 v75, 0, 1, s15
	v_not_b32_e32 v204, v72
	v_cmp_gt_i32_e64 s15, 0, v72
	v_not_b32_e32 v72, v73
	v_lshlrev_b32_e32 v77, 26, v71
	v_cmp_ne_u32_e32 vcc_lo, 0, v75
	v_ashrrev_i32_e32 v204, 31, v204
	v_lshlrev_b32_e32 v203, 25, v71
	v_ashrrev_i32_e32 v72, 31, v72
	v_lshlrev_b32_e32 v75, 24, v71
	s_wait_alu 0xfffd
	v_xor_b32_e32 v70, vcc_lo, v70
	v_cmp_gt_i32_e32 vcc_lo, 0, v73
	v_not_b32_e32 v73, v74
	s_wait_alu 0xf1ff
	v_xor_b32_e32 v204, s15, v204
	v_cmp_gt_i32_e64 s15, 0, v74
	v_and_b32_e32 v70, exec_lo, v70
	v_not_b32_e32 v74, v76
	v_ashrrev_i32_e32 v73, 31, v73
	s_wait_alu 0xfffd
	v_xor_b32_e32 v72, vcc_lo, v72
	v_cmp_gt_i32_e32 vcc_lo, 0, v76
	v_and_b32_e32 v70, v70, v204
	v_not_b32_e32 v76, v77
	v_ashrrev_i32_e32 v74, 31, v74
	s_wait_alu 0xf1ff
	v_xor_b32_e32 v73, s15, v73
	v_cmp_gt_i32_e64 s15, 0, v77
	v_and_b32_e32 v70, v70, v72
	v_not_b32_e32 v72, v203
	v_ashrrev_i32_e32 v76, 31, v76
	s_wait_alu 0xfffd
	v_xor_b32_e32 v74, vcc_lo, v74
	v_cmp_gt_i32_e32 vcc_lo, 0, v203
	v_and_b32_e32 v70, v70, v73
	v_not_b32_e32 v73, v75
	v_ashrrev_i32_e32 v72, 31, v72
	s_wait_alu 0xf1ff
	v_xor_b32_e32 v76, s15, v76
	v_cmp_gt_i32_e64 s15, 0, v75
	v_and_b32_e32 v70, v70, v74
	v_ashrrev_i32_e32 v73, 31, v73
	s_wait_alu 0xfffd
	v_xor_b32_e32 v72, vcc_lo, v72
	v_mad_u32_u24 v74, v71, 36, v147
	v_mul_u32_u24_e32 v71, 36, v71
	v_and_b32_e32 v70, v70, v76
	s_wait_alu 0xf1ff
	v_xor_b32_e32 v73, s15, v73
	ds_load_b32 v203, v74 offset:1056
	v_add_nc_u32_e32 v206, v147, v71
	v_and_b32_e32 v70, v70, v72
	; wave barrier
	s_delay_alu instid0(VALU_DEP_1) | instskip(NEXT) | instid1(VALU_DEP_1)
	v_and_b32_e32 v70, v70, v73
	v_mbcnt_lo_u32_b32 v204, v70, 0
	v_cmp_ne_u32_e64 s15, 0, v70
	s_delay_alu instid0(VALU_DEP_2)
	v_cmp_eq_u32_e32 vcc_lo, 0, v204
	s_and_b32 s16, s15, vcc_lo
	s_wait_alu 0xfffe
	s_and_saveexec_b32 s15, s16
	s_cbranch_execz .LBB842_752
; %bb.751:                              ;   in Loop: Header=BB842_690 Depth=2
	s_wait_dscnt 0x0
	v_bcnt_u32_b32 v70, v70, v203
	ds_store_b32 v206, v70 offset:1056
.LBB842_752:                            ;   in Loop: Header=BB842_690 Depth=2
	s_wait_alu 0xfffe
	s_or_b32 exec_lo, exec_lo, s15
	v_xor_b32_e32 v65, 0x80000000, v65
	; wave barrier
	s_delay_alu instid0(VALU_DEP_1) | instskip(NEXT) | instid1(VALU_DEP_1)
	v_lshrrev_b64 v[70:71], s31, v[64:65]
	v_and_b32_e32 v71, s54, v70
	s_delay_alu instid0(VALU_DEP_1)
	v_and_b32_e32 v70, 1, v71
	v_lshlrev_b32_e32 v72, 30, v71
	v_lshlrev_b32_e32 v73, 29, v71
	;; [unrolled: 1-line block ×4, first 2 shown]
	v_add_co_u32 v70, s15, v70, -1
	s_wait_alu 0xf1ff
	v_cndmask_b32_e64 v75, 0, 1, s15
	v_not_b32_e32 v207, v72
	v_cmp_gt_i32_e64 s15, 0, v72
	v_not_b32_e32 v72, v73
	v_lshlrev_b32_e32 v77, 26, v71
	v_cmp_ne_u32_e32 vcc_lo, 0, v75
	v_ashrrev_i32_e32 v207, 31, v207
	v_lshlrev_b32_e32 v205, 25, v71
	v_ashrrev_i32_e32 v72, 31, v72
	v_lshlrev_b32_e32 v75, 24, v71
	s_wait_alu 0xfffd
	v_xor_b32_e32 v70, vcc_lo, v70
	v_cmp_gt_i32_e32 vcc_lo, 0, v73
	v_not_b32_e32 v73, v74
	s_wait_alu 0xf1ff
	v_xor_b32_e32 v207, s15, v207
	v_cmp_gt_i32_e64 s15, 0, v74
	v_and_b32_e32 v70, exec_lo, v70
	v_not_b32_e32 v74, v76
	v_ashrrev_i32_e32 v73, 31, v73
	s_wait_alu 0xfffd
	v_xor_b32_e32 v72, vcc_lo, v72
	v_cmp_gt_i32_e32 vcc_lo, 0, v76
	v_and_b32_e32 v70, v70, v207
	v_not_b32_e32 v76, v77
	v_ashrrev_i32_e32 v74, 31, v74
	s_wait_alu 0xf1ff
	v_xor_b32_e32 v73, s15, v73
	v_cmp_gt_i32_e64 s15, 0, v77
	v_and_b32_e32 v70, v70, v72
	v_not_b32_e32 v72, v205
	v_ashrrev_i32_e32 v76, 31, v76
	s_wait_alu 0xfffd
	v_xor_b32_e32 v74, vcc_lo, v74
	v_cmp_gt_i32_e32 vcc_lo, 0, v205
	v_and_b32_e32 v70, v70, v73
	v_not_b32_e32 v73, v75
	v_ashrrev_i32_e32 v72, 31, v72
	s_wait_alu 0xf1ff
	v_xor_b32_e32 v76, s15, v76
	v_cmp_gt_i32_e64 s15, 0, v75
	v_and_b32_e32 v70, v70, v74
	v_ashrrev_i32_e32 v73, 31, v73
	s_wait_alu 0xfffd
	v_xor_b32_e32 v72, vcc_lo, v72
	v_mad_u32_u24 v74, v71, 36, v147
	v_mul_u32_u24_e32 v71, 36, v71
	v_and_b32_e32 v70, v70, v76
	s_wait_alu 0xf1ff
	v_xor_b32_e32 v73, s15, v73
	ds_load_b32 v205, v74 offset:1056
	v_add_nc_u32_e32 v209, v147, v71
	v_and_b32_e32 v70, v70, v72
	; wave barrier
	s_delay_alu instid0(VALU_DEP_1) | instskip(NEXT) | instid1(VALU_DEP_1)
	v_and_b32_e32 v70, v70, v73
	v_mbcnt_lo_u32_b32 v207, v70, 0
	v_cmp_ne_u32_e64 s15, 0, v70
	s_delay_alu instid0(VALU_DEP_2)
	v_cmp_eq_u32_e32 vcc_lo, 0, v207
	s_and_b32 s16, s15, vcc_lo
	s_wait_alu 0xfffe
	s_and_saveexec_b32 s15, s16
	s_cbranch_execz .LBB842_754
; %bb.753:                              ;   in Loop: Header=BB842_690 Depth=2
	s_wait_dscnt 0x0
	v_bcnt_u32_b32 v70, v70, v205
	ds_store_b32 v209, v70 offset:1056
.LBB842_754:                            ;   in Loop: Header=BB842_690 Depth=2
	s_wait_alu 0xfffe
	s_or_b32 exec_lo, exec_lo, s15
	v_xor_b32_e32 v67, 0x80000000, v67
	; wave barrier
	s_delay_alu instid0(VALU_DEP_1) | instskip(NEXT) | instid1(VALU_DEP_1)
	v_lshrrev_b64 v[70:71], s31, v[66:67]
	v_and_b32_e32 v71, s54, v70
	s_delay_alu instid0(VALU_DEP_1)
	v_and_b32_e32 v70, 1, v71
	v_lshlrev_b32_e32 v72, 30, v71
	v_lshlrev_b32_e32 v73, 29, v71
	;; [unrolled: 1-line block ×4, first 2 shown]
	v_add_co_u32 v70, s15, v70, -1
	s_wait_alu 0xf1ff
	v_cndmask_b32_e64 v75, 0, 1, s15
	v_not_b32_e32 v210, v72
	v_cmp_gt_i32_e64 s15, 0, v72
	v_not_b32_e32 v72, v73
	v_lshlrev_b32_e32 v77, 26, v71
	v_cmp_ne_u32_e32 vcc_lo, 0, v75
	v_ashrrev_i32_e32 v210, 31, v210
	v_lshlrev_b32_e32 v208, 25, v71
	v_ashrrev_i32_e32 v72, 31, v72
	v_lshlrev_b32_e32 v75, 24, v71
	s_wait_alu 0xfffd
	v_xor_b32_e32 v70, vcc_lo, v70
	v_cmp_gt_i32_e32 vcc_lo, 0, v73
	v_not_b32_e32 v73, v74
	s_wait_alu 0xf1ff
	v_xor_b32_e32 v210, s15, v210
	v_cmp_gt_i32_e64 s15, 0, v74
	v_and_b32_e32 v70, exec_lo, v70
	v_not_b32_e32 v74, v76
	v_ashrrev_i32_e32 v73, 31, v73
	s_wait_alu 0xfffd
	v_xor_b32_e32 v72, vcc_lo, v72
	v_cmp_gt_i32_e32 vcc_lo, 0, v76
	v_and_b32_e32 v70, v70, v210
	v_not_b32_e32 v76, v77
	v_ashrrev_i32_e32 v74, 31, v74
	s_wait_alu 0xf1ff
	v_xor_b32_e32 v73, s15, v73
	v_cmp_gt_i32_e64 s15, 0, v77
	v_and_b32_e32 v70, v70, v72
	v_not_b32_e32 v72, v208
	v_ashrrev_i32_e32 v76, 31, v76
	s_wait_alu 0xfffd
	v_xor_b32_e32 v74, vcc_lo, v74
	v_cmp_gt_i32_e32 vcc_lo, 0, v208
	v_and_b32_e32 v70, v70, v73
	v_not_b32_e32 v73, v75
	v_ashrrev_i32_e32 v72, 31, v72
	s_wait_alu 0xf1ff
	v_xor_b32_e32 v76, s15, v76
	v_cmp_gt_i32_e64 s15, 0, v75
	v_and_b32_e32 v70, v70, v74
	v_ashrrev_i32_e32 v73, 31, v73
	s_wait_alu 0xfffd
	v_xor_b32_e32 v72, vcc_lo, v72
	v_mad_u32_u24 v74, v71, 36, v147
	v_mul_u32_u24_e32 v71, 36, v71
	v_and_b32_e32 v70, v70, v76
	s_wait_alu 0xf1ff
	v_xor_b32_e32 v73, s15, v73
	ds_load_b32 v208, v74 offset:1056
	v_add_nc_u32_e32 v213, v147, v71
	v_and_b32_e32 v70, v70, v72
	; wave barrier
	s_delay_alu instid0(VALU_DEP_1) | instskip(NEXT) | instid1(VALU_DEP_1)
	v_and_b32_e32 v70, v70, v73
	v_mbcnt_lo_u32_b32 v210, v70, 0
	v_cmp_ne_u32_e64 s15, 0, v70
	s_delay_alu instid0(VALU_DEP_2)
	v_cmp_eq_u32_e32 vcc_lo, 0, v210
	s_and_b32 s16, s15, vcc_lo
	s_wait_alu 0xfffe
	s_and_saveexec_b32 s15, s16
	s_cbranch_execz .LBB842_756
; %bb.755:                              ;   in Loop: Header=BB842_690 Depth=2
	s_wait_dscnt 0x0
	v_bcnt_u32_b32 v70, v70, v208
	ds_store_b32 v213, v70 offset:1056
.LBB842_756:                            ;   in Loop: Header=BB842_690 Depth=2
	s_wait_alu 0xfffe
	s_or_b32 exec_lo, exec_lo, s15
	v_lshrrev_b64 v[70:71], s31, v[68:69]
	; wave barrier
	s_delay_alu instid0(VALU_DEP_1) | instskip(NEXT) | instid1(VALU_DEP_1)
	v_and_b32_e32 v71, s54, v70
	v_and_b32_e32 v70, 1, v71
	v_lshlrev_b32_e32 v72, 30, v71
	v_lshlrev_b32_e32 v73, 29, v71
	v_lshlrev_b32_e32 v74, 28, v71
	v_lshlrev_b32_e32 v76, 27, v71
	v_add_co_u32 v70, s15, v70, -1
	s_wait_alu 0xf1ff
	v_cndmask_b32_e64 v75, 0, 1, s15
	v_not_b32_e32 v212, v72
	v_cmp_gt_i32_e64 s15, 0, v72
	v_not_b32_e32 v72, v73
	v_lshlrev_b32_e32 v77, 26, v71
	v_cmp_ne_u32_e32 vcc_lo, 0, v75
	v_ashrrev_i32_e32 v212, 31, v212
	v_lshlrev_b32_e32 v211, 25, v71
	v_ashrrev_i32_e32 v72, 31, v72
	v_lshlrev_b32_e32 v75, 24, v71
	s_wait_alu 0xfffd
	v_xor_b32_e32 v70, vcc_lo, v70
	v_cmp_gt_i32_e32 vcc_lo, 0, v73
	v_not_b32_e32 v73, v74
	s_wait_alu 0xf1ff
	v_xor_b32_e32 v212, s15, v212
	v_cmp_gt_i32_e64 s15, 0, v74
	v_and_b32_e32 v70, exec_lo, v70
	v_not_b32_e32 v74, v76
	v_ashrrev_i32_e32 v73, 31, v73
	s_wait_alu 0xfffd
	v_xor_b32_e32 v72, vcc_lo, v72
	v_cmp_gt_i32_e32 vcc_lo, 0, v76
	v_and_b32_e32 v70, v70, v212
	v_not_b32_e32 v76, v77
	v_ashrrev_i32_e32 v74, 31, v74
	s_wait_alu 0xf1ff
	v_xor_b32_e32 v73, s15, v73
	v_cmp_gt_i32_e64 s15, 0, v77
	v_and_b32_e32 v70, v70, v72
	v_not_b32_e32 v72, v211
	v_ashrrev_i32_e32 v76, 31, v76
	s_wait_alu 0xfffd
	v_xor_b32_e32 v74, vcc_lo, v74
	v_cmp_gt_i32_e32 vcc_lo, 0, v211
	v_and_b32_e32 v70, v70, v73
	v_not_b32_e32 v73, v75
	v_ashrrev_i32_e32 v72, 31, v72
	s_wait_alu 0xf1ff
	v_xor_b32_e32 v76, s15, v76
	v_cmp_gt_i32_e64 s15, 0, v75
	v_and_b32_e32 v70, v70, v74
	v_ashrrev_i32_e32 v73, 31, v73
	s_wait_alu 0xfffd
	v_xor_b32_e32 v72, vcc_lo, v72
	v_mad_u32_u24 v74, v71, 36, v147
	v_mul_u32_u24_e32 v71, 36, v71
	v_and_b32_e32 v70, v70, v76
	s_wait_alu 0xf1ff
	v_xor_b32_e32 v73, s15, v73
	ds_load_b32 v211, v74 offset:1056
	v_add_nc_u32_e32 v214, v147, v71
	v_and_b32_e32 v70, v70, v72
	; wave barrier
	s_delay_alu instid0(VALU_DEP_1) | instskip(NEXT) | instid1(VALU_DEP_1)
	v_and_b32_e32 v70, v70, v73
	v_mbcnt_lo_u32_b32 v212, v70, 0
	v_cmp_ne_u32_e64 s15, 0, v70
	s_delay_alu instid0(VALU_DEP_2)
	v_cmp_eq_u32_e32 vcc_lo, 0, v212
	s_and_b32 s16, s15, vcc_lo
	s_wait_alu 0xfffe
	s_and_saveexec_b32 s15, s16
	s_cbranch_execz .LBB842_758
; %bb.757:                              ;   in Loop: Header=BB842_690 Depth=2
	s_wait_dscnt 0x0
	v_bcnt_u32_b32 v70, v70, v211
	ds_store_b32 v214, v70 offset:1056
.LBB842_758:                            ;   in Loop: Header=BB842_690 Depth=2
	s_wait_alu 0xfffe
	s_or_b32 exec_lo, exec_lo, s15
	; wave barrier
	s_wait_loadcnt_dscnt 0x0
	s_barrier_signal -1
	s_barrier_wait -1
	global_inv scope:SCOPE_SE
	ds_load_2addr_b32 v[76:77], v166 offset1:1
	ds_load_2addr_b32 v[74:75], v167 offset1:1
	ds_load_2addr_b32 v[72:73], v168 offset1:1
	ds_load_2addr_b32 v[70:71], v165 offset1:1
	ds_load_b32 v215, v102 offset:1088
	s_wait_dscnt 0x3
	v_add3_u32 v216, v77, v76, v74
	s_wait_dscnt 0x2
	s_delay_alu instid0(VALU_DEP_1) | instskip(SKIP_1) | instid1(VALU_DEP_1)
	v_add3_u32 v216, v216, v75, v72
	s_wait_dscnt 0x1
	v_add3_u32 v216, v216, v73, v70
	s_wait_dscnt 0x0
	s_delay_alu instid0(VALU_DEP_1) | instskip(NEXT) | instid1(VALU_DEP_1)
	v_add3_u32 v215, v216, v71, v215
	v_mov_b32_dpp v216, v215 row_shr:1 row_mask:0xf bank_mask:0xf
	s_delay_alu instid0(VALU_DEP_1) | instskip(NEXT) | instid1(VALU_DEP_1)
	v_cndmask_b32_e64 v216, v216, 0, s0
	v_add_nc_u32_e32 v215, v216, v215
	s_delay_alu instid0(VALU_DEP_1) | instskip(NEXT) | instid1(VALU_DEP_1)
	v_mov_b32_dpp v216, v215 row_shr:2 row_mask:0xf bank_mask:0xf
	v_cndmask_b32_e64 v216, 0, v216, s1
	s_delay_alu instid0(VALU_DEP_1) | instskip(NEXT) | instid1(VALU_DEP_1)
	v_add_nc_u32_e32 v215, v215, v216
	v_mov_b32_dpp v216, v215 row_shr:4 row_mask:0xf bank_mask:0xf
	s_delay_alu instid0(VALU_DEP_1) | instskip(NEXT) | instid1(VALU_DEP_1)
	v_cndmask_b32_e64 v216, 0, v216, s8
	v_add_nc_u32_e32 v215, v215, v216
	s_delay_alu instid0(VALU_DEP_1) | instskip(NEXT) | instid1(VALU_DEP_1)
	v_mov_b32_dpp v216, v215 row_shr:8 row_mask:0xf bank_mask:0xf
	v_cndmask_b32_e64 v216, 0, v216, s9
	s_delay_alu instid0(VALU_DEP_1) | instskip(SKIP_3) | instid1(VALU_DEP_1)
	v_add_nc_u32_e32 v215, v215, v216
	ds_swizzle_b32 v216, v215 offset:swizzle(BROADCAST,32,15)
	s_wait_dscnt 0x0
	v_cndmask_b32_e64 v216, v216, 0, s10
	v_add_nc_u32_e32 v215, v215, v216
	s_and_saveexec_b32 s15, s3
; %bb.759:                              ;   in Loop: Header=BB842_690 Depth=2
	ds_store_b32 v97, v215 offset:1024
; %bb.760:                              ;   in Loop: Header=BB842_690 Depth=2
	s_wait_alu 0xfffe
	s_or_b32 exec_lo, exec_lo, s15
	s_wait_loadcnt_dscnt 0x0
	s_barrier_signal -1
	s_barrier_wait -1
	global_inv scope:SCOPE_SE
	s_and_saveexec_b32 s15, s4
	s_cbranch_execz .LBB842_762
; %bb.761:                              ;   in Loop: Header=BB842_690 Depth=2
	ds_load_b32 v216, v105 offset:1024
	s_wait_dscnt 0x0
	v_mov_b32_dpp v217, v216 row_shr:1 row_mask:0xf bank_mask:0xf
	s_delay_alu instid0(VALU_DEP_1) | instskip(NEXT) | instid1(VALU_DEP_1)
	v_cndmask_b32_e64 v217, v217, 0, s12
	v_add_nc_u32_e32 v216, v217, v216
	s_delay_alu instid0(VALU_DEP_1) | instskip(NEXT) | instid1(VALU_DEP_1)
	v_mov_b32_dpp v217, v216 row_shr:2 row_mask:0xf bank_mask:0xf
	v_cndmask_b32_e64 v217, 0, v217, s13
	s_delay_alu instid0(VALU_DEP_1) | instskip(NEXT) | instid1(VALU_DEP_1)
	v_add_nc_u32_e32 v216, v216, v217
	v_mov_b32_dpp v217, v216 row_shr:4 row_mask:0xf bank_mask:0xf
	s_delay_alu instid0(VALU_DEP_1) | instskip(NEXT) | instid1(VALU_DEP_1)
	v_cndmask_b32_e64 v217, 0, v217, s14
	v_add_nc_u32_e32 v216, v216, v217
	ds_store_b32 v105, v216 offset:1024
.LBB842_762:                            ;   in Loop: Header=BB842_690 Depth=2
	s_wait_alu 0xfffe
	s_or_b32 exec_lo, exec_lo, s15
	v_mov_b32_e32 v216, 0
	s_wait_loadcnt_dscnt 0x0
	s_barrier_signal -1
	s_barrier_wait -1
	global_inv scope:SCOPE_SE
	s_and_saveexec_b32 s15, s5
; %bb.763:                              ;   in Loop: Header=BB842_690 Depth=2
	ds_load_b32 v216, v97 offset:1020
; %bb.764:                              ;   in Loop: Header=BB842_690 Depth=2
	s_wait_alu 0xfffe
	s_or_b32 exec_lo, exec_lo, s15
	s_wait_dscnt 0x0
	v_add_nc_u32_e32 v215, v216, v215
	ds_bpermute_b32 v215, v126, v215
	s_wait_dscnt 0x0
	v_cndmask_b32_e64 v215, v215, v216, s11
	s_delay_alu instid0(VALU_DEP_1) | instskip(NEXT) | instid1(VALU_DEP_1)
	v_cndmask_b32_e64 v215, v215, 0, s6
	v_add_nc_u32_e32 v76, v215, v76
	s_delay_alu instid0(VALU_DEP_1) | instskip(NEXT) | instid1(VALU_DEP_1)
	v_add_nc_u32_e32 v77, v76, v77
	v_add_nc_u32_e32 v74, v77, v74
	s_delay_alu instid0(VALU_DEP_1) | instskip(NEXT) | instid1(VALU_DEP_1)
	v_add_nc_u32_e32 v75, v74, v75
	;; [unrolled: 3-line block ×3, first 2 shown]
	v_add_nc_u32_e32 v70, v73, v70
	s_delay_alu instid0(VALU_DEP_1)
	v_add_nc_u32_e32 v71, v70, v71
	ds_store_2addr_b32 v165, v73, v70 offset1:1
	ds_store_2addr_b32 v166, v215, v76 offset1:1
	;; [unrolled: 1-line block ×4, first 2 shown]
	ds_store_b32 v102, v71 offset:1088
	s_wait_loadcnt_dscnt 0x0
	s_barrier_signal -1
	s_barrier_wait -1
	global_inv scope:SCOPE_SE
	ds_load_b32 v71, v169 offset:1056
	ds_load_b32 v216, v172 offset:1056
	;; [unrolled: 1-line block ×17, first 2 shown]
	v_mov_b32_e32 v70, 0x1000
	s_and_saveexec_b32 s15, s7
; %bb.765:                              ;   in Loop: Header=BB842_690 Depth=2
	ds_load_b32 v70, v102 offset:1092
; %bb.766:                              ;   in Loop: Header=BB842_690 Depth=2
	s_wait_alu 0xfffe
	s_or_b32 exec_lo, exec_lo, s15
	s_wait_loadcnt_dscnt 0x0
	s_barrier_signal -1
	s_barrier_wait -1
	global_inv scope:SCOPE_SE
	s_and_saveexec_b32 s15, s2
	s_cbranch_execz .LBB842_768
; %bb.767:                              ;   in Loop: Header=BB842_690 Depth=2
	ds_load_b32 v181, v78
	s_wait_dscnt 0x0
	v_sub_nc_u32_e32 v178, v181, v178
	ds_store_b32 v78, v178
.LBB842_768:                            ;   in Loop: Header=BB842_690 Depth=2
	s_wait_alu 0xfffe
	s_or_b32 exec_lo, exec_lo, s15
	v_lshlrev_b32_e32 v2, 3, v2
	v_lshlrev_b32_e32 v171, 3, v171
	v_lshlrev_b32_e32 v170, 3, v170
	v_lshlrev_b32_e32 v178, 3, v216
	v_lshlrev_b32_e32 v174, 3, v174
	v_lshl_add_u32 v71, v71, 3, v2
	v_lshlrev_b32_e32 v2, 3, v173
	v_lshlrev_b32_e32 v173, 3, v215
	;; [unrolled: 1-line block ×11, first 2 shown]
	ds_store_b64 v71, v[40:41] offset:1024
	v_add3_u32 v40, v171, v170, v178
	v_add3_u32 v41, v174, v2, v173
	;; [unrolled: 1-line block ×5, first 2 shown]
	ds_store_b64 v40, v[38:39] offset:1024
	ds_store_b64 v41, v[42:43] offset:1024
	ds_store_b64 v72, v[44:45] offset:1024
	ds_store_b64 v73, v[46:47] offset:1024
	ds_store_b64 v74, v[50:51] offset:1024
	v_lshlrev_b32_e32 v2, 3, v186
	v_lshlrev_b32_e32 v38, 3, v185
	;; [unrolled: 1-line block ×15, first 2 shown]
	v_add3_u32 v42, v2, v38, v39
	v_add3_u32 v43, v43, v44, v45
	;; [unrolled: 1-line block ×5, first 2 shown]
	ds_store_b64 v42, v[48:49] offset:1024
	ds_store_b64 v43, v[52:53] offset:1024
	;; [unrolled: 1-line block ×5, first 2 shown]
	v_lshlrev_b32_e32 v2, 3, v201
	v_lshlrev_b32_e32 v38, 3, v200
	;; [unrolled: 1-line block ×15, first 2 shown]
	v_add3_u32 v47, v2, v38, v39
	v_add3_u32 v48, v48, v49, v50
	;; [unrolled: 1-line block ×5, first 2 shown]
	v_cmp_lt_u32_e32 vcc_lo, v1, v164
	ds_store_b64 v47, v[58:59] offset:1024
	ds_store_b64 v48, v[62:63] offset:1024
	ds_store_b64 v49, v[64:65] offset:1024
	ds_store_b64 v50, v[66:67] offset:1024
	ds_store_b64 v51, v[68:69] offset:1024
	s_wait_loadcnt_dscnt 0x0
	s_barrier_signal -1
	s_barrier_wait -1
	global_inv scope:SCOPE_SE
	s_and_saveexec_b32 s16, vcc_lo
	s_cbranch_execnz .LBB842_837
; %bb.769:                              ;   in Loop: Header=BB842_690 Depth=2
	s_wait_alu 0xfffe
	s_or_b32 exec_lo, exec_lo, s16
	v_cmp_lt_u32_e64 s15, v79, v164
	s_and_saveexec_b32 s17, s15
	s_cbranch_execnz .LBB842_838
.LBB842_770:                            ;   in Loop: Header=BB842_690 Depth=2
	s_wait_alu 0xfffe
	s_or_b32 exec_lo, exec_lo, s17
	v_cmp_lt_u32_e64 s16, v80, v164
	s_and_saveexec_b32 s18, s16
	s_cbranch_execnz .LBB842_839
.LBB842_771:                            ;   in Loop: Header=BB842_690 Depth=2
	s_wait_alu 0xfffe
	s_or_b32 exec_lo, exec_lo, s18
	v_cmp_lt_u32_e64 s17, v81, v164
	s_and_saveexec_b32 s19, s17
	s_cbranch_execnz .LBB842_840
.LBB842_772:                            ;   in Loop: Header=BB842_690 Depth=2
	s_wait_alu 0xfffe
	s_or_b32 exec_lo, exec_lo, s19
	v_cmp_lt_u32_e64 s18, v84, v164
	s_and_saveexec_b32 s20, s18
	s_cbranch_execnz .LBB842_841
.LBB842_773:                            ;   in Loop: Header=BB842_690 Depth=2
	s_wait_alu 0xfffe
	s_or_b32 exec_lo, exec_lo, s20
	v_cmp_lt_u32_e64 s19, v85, v164
	s_and_saveexec_b32 s21, s19
	s_cbranch_execnz .LBB842_842
.LBB842_774:                            ;   in Loop: Header=BB842_690 Depth=2
	s_wait_alu 0xfffe
	s_or_b32 exec_lo, exec_lo, s21
	v_cmp_lt_u32_e64 s20, v86, v164
	s_and_saveexec_b32 s22, s20
	s_cbranch_execnz .LBB842_843
.LBB842_775:                            ;   in Loop: Header=BB842_690 Depth=2
	s_wait_alu 0xfffe
	s_or_b32 exec_lo, exec_lo, s22
	v_cmp_lt_u32_e64 s21, v87, v164
	s_and_saveexec_b32 s23, s21
	s_cbranch_execnz .LBB842_844
.LBB842_776:                            ;   in Loop: Header=BB842_690 Depth=2
	s_wait_alu 0xfffe
	s_or_b32 exec_lo, exec_lo, s23
	v_cmp_lt_u32_e64 s22, v88, v164
	s_and_saveexec_b32 s24, s22
	s_cbranch_execnz .LBB842_845
.LBB842_777:                            ;   in Loop: Header=BB842_690 Depth=2
	s_wait_alu 0xfffe
	s_or_b32 exec_lo, exec_lo, s24
	v_cmp_lt_u32_e64 s23, v89, v164
	s_and_saveexec_b32 s25, s23
	s_cbranch_execnz .LBB842_846
.LBB842_778:                            ;   in Loop: Header=BB842_690 Depth=2
	s_wait_alu 0xfffe
	s_or_b32 exec_lo, exec_lo, s25
	v_cmp_lt_u32_e64 s24, v90, v164
	s_and_saveexec_b32 s26, s24
	s_cbranch_execnz .LBB842_847
.LBB842_779:                            ;   in Loop: Header=BB842_690 Depth=2
	s_wait_alu 0xfffe
	s_or_b32 exec_lo, exec_lo, s26
	v_cmp_lt_u32_e64 s25, v91, v164
	s_and_saveexec_b32 s27, s25
	s_cbranch_execnz .LBB842_848
.LBB842_780:                            ;   in Loop: Header=BB842_690 Depth=2
	s_wait_alu 0xfffe
	s_or_b32 exec_lo, exec_lo, s27
	v_cmp_lt_u32_e64 s26, v92, v164
	s_and_saveexec_b32 s28, s26
	s_cbranch_execnz .LBB842_849
.LBB842_781:                            ;   in Loop: Header=BB842_690 Depth=2
	s_wait_alu 0xfffe
	s_or_b32 exec_lo, exec_lo, s28
	v_cmp_lt_u32_e64 s27, v93, v164
	s_and_saveexec_b32 s29, s27
	s_cbranch_execnz .LBB842_850
.LBB842_782:                            ;   in Loop: Header=BB842_690 Depth=2
	s_wait_alu 0xfffe
	s_or_b32 exec_lo, exec_lo, s29
	v_cmp_lt_u32_e64 s28, v94, v164
	s_and_saveexec_b32 s30, s28
	s_cbranch_execnz .LBB842_851
.LBB842_783:                            ;   in Loop: Header=BB842_690 Depth=2
	s_wait_alu 0xfffe
	s_or_b32 exec_lo, exec_lo, s30
	v_cmp_lt_u32_e64 s29, v95, v164
	s_and_saveexec_b32 s57, s29
	s_cbranch_execz .LBB842_785
.LBB842_784:                            ;   in Loop: Header=BB842_690 Depth=2
	ds_load_b64 v[38:39], v110 offset:31744
	s_wait_dscnt 0x0
	v_lshrrev_b64 v[52:53], s31, v[38:39]
	v_xor_b32_e32 v39, 0x80000000, v39
	s_delay_alu instid0(VALU_DEP_2) | instskip(NEXT) | instid1(VALU_DEP_1)
	v_and_b32_e32 v2, s54, v52
	v_lshlrev_b32_e32 v2, 2, v2
	ds_load_b32 v2, v2
	s_wait_dscnt 0x0
	v_add_nc_u32_e32 v2, v2, v95
	s_delay_alu instid0(VALU_DEP_1) | instskip(NEXT) | instid1(VALU_DEP_1)
	v_lshlrev_b64_e32 v[52:53], 3, v[2:3]
	v_add_co_u32 v52, s30, s38, v52
	s_wait_alu 0xf1ff
	s_delay_alu instid0(VALU_DEP_2)
	v_add_co_ci_u32_e64 v53, null, s39, v53, s30
	global_store_b64 v[52:53], v[38:39], off
.LBB842_785:                            ;   in Loop: Header=BB842_690 Depth=2
	s_wait_alu 0xfffe
	s_or_b32 exec_lo, exec_lo, s57
	s_lshl_b64 s[58:59], s[34:35], 3
	s_wait_alu 0xfffe
	v_add_co_u32 v38, s30, v128, s58
	s_wait_alu 0xf1ff
	v_add_co_ci_u32_e64 v39, null, s59, v129, s30
	v_cmp_lt_u32_e64 s30, v127, v164
	s_and_saveexec_b32 s34, s30
	s_wait_alu 0xfffe
	s_xor_b32 s30, exec_lo, s34
	s_cbranch_execnz .LBB842_852
; %bb.786:                              ;   in Loop: Header=BB842_690 Depth=2
	s_wait_alu 0xfffe
	s_or_b32 exec_lo, exec_lo, s30
	s_delay_alu instid0(SALU_CYCLE_1)
	s_mov_b32 s34, exec_lo
	v_cmpx_lt_u32_e64 v130, v164
	s_cbranch_execnz .LBB842_853
.LBB842_787:                            ;   in Loop: Header=BB842_690 Depth=2
	s_wait_alu 0xfffe
	s_or_b32 exec_lo, exec_lo, s34
	s_delay_alu instid0(SALU_CYCLE_1)
	s_mov_b32 s34, exec_lo
	v_cmpx_lt_u32_e64 v131, v164
	s_cbranch_execnz .LBB842_854
.LBB842_788:                            ;   in Loop: Header=BB842_690 Depth=2
	s_wait_alu 0xfffe
	s_or_b32 exec_lo, exec_lo, s34
	s_delay_alu instid0(SALU_CYCLE_1)
	s_mov_b32 s34, exec_lo
	v_cmpx_lt_u32_e64 v132, v164
	s_cbranch_execnz .LBB842_855
.LBB842_789:                            ;   in Loop: Header=BB842_690 Depth=2
	s_wait_alu 0xfffe
	s_or_b32 exec_lo, exec_lo, s34
	s_delay_alu instid0(SALU_CYCLE_1)
	s_mov_b32 s34, exec_lo
	v_cmpx_lt_u32_e64 v133, v164
	s_cbranch_execnz .LBB842_856
.LBB842_790:                            ;   in Loop: Header=BB842_690 Depth=2
	s_wait_alu 0xfffe
	s_or_b32 exec_lo, exec_lo, s34
	s_delay_alu instid0(SALU_CYCLE_1)
	s_mov_b32 s34, exec_lo
	v_cmpx_lt_u32_e64 v134, v164
	s_cbranch_execnz .LBB842_857
.LBB842_791:                            ;   in Loop: Header=BB842_690 Depth=2
	s_wait_alu 0xfffe
	s_or_b32 exec_lo, exec_lo, s34
	s_delay_alu instid0(SALU_CYCLE_1)
	s_mov_b32 s34, exec_lo
	v_cmpx_lt_u32_e64 v135, v164
	s_cbranch_execnz .LBB842_858
.LBB842_792:                            ;   in Loop: Header=BB842_690 Depth=2
	s_wait_alu 0xfffe
	s_or_b32 exec_lo, exec_lo, s34
	s_delay_alu instid0(SALU_CYCLE_1)
	s_mov_b32 s34, exec_lo
	v_cmpx_lt_u32_e64 v136, v164
	s_cbranch_execnz .LBB842_859
.LBB842_793:                            ;   in Loop: Header=BB842_690 Depth=2
	s_wait_alu 0xfffe
	s_or_b32 exec_lo, exec_lo, s34
	s_delay_alu instid0(SALU_CYCLE_1)
	s_mov_b32 s34, exec_lo
	v_cmpx_lt_u32_e64 v137, v164
	s_cbranch_execnz .LBB842_860
.LBB842_794:                            ;   in Loop: Header=BB842_690 Depth=2
	s_wait_alu 0xfffe
	s_or_b32 exec_lo, exec_lo, s34
	s_delay_alu instid0(SALU_CYCLE_1)
	s_mov_b32 s34, exec_lo
	v_cmpx_lt_u32_e64 v138, v164
	s_cbranch_execnz .LBB842_861
.LBB842_795:                            ;   in Loop: Header=BB842_690 Depth=2
	s_wait_alu 0xfffe
	s_or_b32 exec_lo, exec_lo, s34
	s_delay_alu instid0(SALU_CYCLE_1)
	s_mov_b32 s34, exec_lo
	v_cmpx_lt_u32_e64 v139, v164
	s_cbranch_execnz .LBB842_862
.LBB842_796:                            ;   in Loop: Header=BB842_690 Depth=2
	s_wait_alu 0xfffe
	s_or_b32 exec_lo, exec_lo, s34
	s_delay_alu instid0(SALU_CYCLE_1)
	s_mov_b32 s34, exec_lo
	v_cmpx_lt_u32_e64 v140, v164
	s_cbranch_execnz .LBB842_863
.LBB842_797:                            ;   in Loop: Header=BB842_690 Depth=2
	s_wait_alu 0xfffe
	s_or_b32 exec_lo, exec_lo, s34
	s_delay_alu instid0(SALU_CYCLE_1)
	s_mov_b32 s34, exec_lo
	v_cmpx_lt_u32_e64 v141, v164
	s_cbranch_execnz .LBB842_864
.LBB842_798:                            ;   in Loop: Header=BB842_690 Depth=2
	s_wait_alu 0xfffe
	s_or_b32 exec_lo, exec_lo, s34
	s_delay_alu instid0(SALU_CYCLE_1)
	s_mov_b32 s34, exec_lo
	v_cmpx_lt_u32_e64 v142, v164
	s_cbranch_execnz .LBB842_865
.LBB842_799:                            ;   in Loop: Header=BB842_690 Depth=2
	s_wait_alu 0xfffe
	s_or_b32 exec_lo, exec_lo, s34
	s_delay_alu instid0(SALU_CYCLE_1)
	s_mov_b32 s34, exec_lo
	v_cmpx_lt_u32_e64 v143, v164
	s_cbranch_execnz .LBB842_866
.LBB842_800:                            ;   in Loop: Header=BB842_690 Depth=2
	s_wait_alu 0xfffe
	s_or_b32 exec_lo, exec_lo, s34
	s_delay_alu instid0(SALU_CYCLE_1)
	s_mov_b32 s34, exec_lo
	v_cmpx_lt_u32_e64 v144, v164
	s_cbranch_execnz .LBB842_867
.LBB842_801:                            ;   in Loop: Header=BB842_690 Depth=2
	s_wait_alu 0xfffe
	s_or_b32 exec_lo, exec_lo, s34
	s_and_saveexec_b32 s30, vcc_lo
	s_cbranch_execnz .LBB842_868
.LBB842_802:                            ;   in Loop: Header=BB842_690 Depth=2
	s_wait_alu 0xfffe
	s_or_b32 exec_lo, exec_lo, s30
	s_and_saveexec_b32 s30, s15
	s_cbranch_execnz .LBB842_869
.LBB842_803:                            ;   in Loop: Header=BB842_690 Depth=2
	s_wait_alu 0xfffe
	s_or_b32 exec_lo, exec_lo, s30
	s_and_saveexec_b32 s30, s16
	s_cbranch_execnz .LBB842_870
.LBB842_804:                            ;   in Loop: Header=BB842_690 Depth=2
	s_wait_alu 0xfffe
	s_or_b32 exec_lo, exec_lo, s30
	s_and_saveexec_b32 s30, s17
	s_cbranch_execnz .LBB842_871
.LBB842_805:                            ;   in Loop: Header=BB842_690 Depth=2
	s_wait_alu 0xfffe
	s_or_b32 exec_lo, exec_lo, s30
	s_and_saveexec_b32 s30, s18
	s_cbranch_execnz .LBB842_872
.LBB842_806:                            ;   in Loop: Header=BB842_690 Depth=2
	s_wait_alu 0xfffe
	s_or_b32 exec_lo, exec_lo, s30
	s_and_saveexec_b32 s30, s19
	s_cbranch_execnz .LBB842_873
.LBB842_807:                            ;   in Loop: Header=BB842_690 Depth=2
	s_wait_alu 0xfffe
	s_or_b32 exec_lo, exec_lo, s30
	s_and_saveexec_b32 s30, s20
	s_cbranch_execnz .LBB842_874
.LBB842_808:                            ;   in Loop: Header=BB842_690 Depth=2
	s_wait_alu 0xfffe
	s_or_b32 exec_lo, exec_lo, s30
	s_and_saveexec_b32 s30, s21
	s_cbranch_execnz .LBB842_875
.LBB842_809:                            ;   in Loop: Header=BB842_690 Depth=2
	s_wait_alu 0xfffe
	s_or_b32 exec_lo, exec_lo, s30
	s_and_saveexec_b32 s30, s22
	s_cbranch_execnz .LBB842_876
.LBB842_810:                            ;   in Loop: Header=BB842_690 Depth=2
	s_wait_alu 0xfffe
	s_or_b32 exec_lo, exec_lo, s30
	s_and_saveexec_b32 s30, s23
	s_cbranch_execnz .LBB842_877
.LBB842_811:                            ;   in Loop: Header=BB842_690 Depth=2
	s_wait_alu 0xfffe
	s_or_b32 exec_lo, exec_lo, s30
	s_and_saveexec_b32 s30, s24
	s_cbranch_execnz .LBB842_878
.LBB842_812:                            ;   in Loop: Header=BB842_690 Depth=2
	s_wait_alu 0xfffe
	s_or_b32 exec_lo, exec_lo, s30
	s_and_saveexec_b32 s30, s25
	s_cbranch_execnz .LBB842_879
.LBB842_813:                            ;   in Loop: Header=BB842_690 Depth=2
	s_wait_alu 0xfffe
	s_or_b32 exec_lo, exec_lo, s30
	s_and_saveexec_b32 s30, s26
	s_cbranch_execnz .LBB842_880
.LBB842_814:                            ;   in Loop: Header=BB842_690 Depth=2
	s_wait_alu 0xfffe
	s_or_b32 exec_lo, exec_lo, s30
	s_and_saveexec_b32 s30, s27
	s_cbranch_execnz .LBB842_881
.LBB842_815:                            ;   in Loop: Header=BB842_690 Depth=2
	s_wait_alu 0xfffe
	s_or_b32 exec_lo, exec_lo, s30
	s_and_saveexec_b32 s30, s28
	s_cbranch_execnz .LBB842_882
.LBB842_816:                            ;   in Loop: Header=BB842_690 Depth=2
	s_wait_alu 0xfffe
	s_or_b32 exec_lo, exec_lo, s30
	s_and_saveexec_b32 s30, s29
	s_cbranch_execz .LBB842_818
.LBB842_817:                            ;   in Loop: Header=BB842_690 Depth=2
	ds_load_b64 v[38:39], v110 offset:31744
	s_wait_dscnt 0x0
	v_lshrrev_b64 v[38:39], s31, v[38:39]
	s_delay_alu instid0(VALU_DEP_1)
	v_and_b32_e32 v148, s54, v38
.LBB842_818:                            ;   in Loop: Header=BB842_690 Depth=2
	s_wait_alu 0xfffe
	s_or_b32 exec_lo, exec_lo, s30
	s_wait_loadcnt 0x0
	s_wait_storecnt 0x0
	s_barrier_signal -1
	s_barrier_wait -1
	global_inv scope:SCOPE_SE
	ds_store_b64 v71, v[36:37] offset:1024
	ds_store_b64 v40, v[34:35] offset:1024
	;; [unrolled: 1-line block ×16, first 2 shown]
	s_wait_loadcnt_dscnt 0x0
	s_barrier_signal -1
	s_barrier_wait -1
	global_inv scope:SCOPE_SE
	s_and_saveexec_b32 s30, vcc_lo
	s_cbranch_execnz .LBB842_883
; %bb.819:                              ;   in Loop: Header=BB842_690 Depth=2
	s_wait_alu 0xfffe
	s_or_b32 exec_lo, exec_lo, s30
	s_and_saveexec_b32 s30, s15
	s_cbranch_execnz .LBB842_884
.LBB842_820:                            ;   in Loop: Header=BB842_690 Depth=2
	s_wait_alu 0xfffe
	s_or_b32 exec_lo, exec_lo, s30
	s_and_saveexec_b32 s15, s16
	s_cbranch_execnz .LBB842_885
.LBB842_821:                            ;   in Loop: Header=BB842_690 Depth=2
	s_wait_alu 0xfffe
	s_or_b32 exec_lo, exec_lo, s15
	s_and_saveexec_b32 s15, s17
	s_cbranch_execnz .LBB842_886
.LBB842_822:                            ;   in Loop: Header=BB842_690 Depth=2
	s_wait_alu 0xfffe
	s_or_b32 exec_lo, exec_lo, s15
	s_and_saveexec_b32 s15, s18
	s_cbranch_execnz .LBB842_887
.LBB842_823:                            ;   in Loop: Header=BB842_690 Depth=2
	s_wait_alu 0xfffe
	s_or_b32 exec_lo, exec_lo, s15
	s_and_saveexec_b32 s15, s19
	s_cbranch_execnz .LBB842_888
.LBB842_824:                            ;   in Loop: Header=BB842_690 Depth=2
	s_wait_alu 0xfffe
	s_or_b32 exec_lo, exec_lo, s15
	s_and_saveexec_b32 s15, s20
	s_cbranch_execnz .LBB842_889
.LBB842_825:                            ;   in Loop: Header=BB842_690 Depth=2
	s_wait_alu 0xfffe
	s_or_b32 exec_lo, exec_lo, s15
	s_and_saveexec_b32 s15, s21
	s_cbranch_execnz .LBB842_890
.LBB842_826:                            ;   in Loop: Header=BB842_690 Depth=2
	s_wait_alu 0xfffe
	s_or_b32 exec_lo, exec_lo, s15
	s_and_saveexec_b32 s15, s22
	s_cbranch_execnz .LBB842_891
.LBB842_827:                            ;   in Loop: Header=BB842_690 Depth=2
	s_wait_alu 0xfffe
	s_or_b32 exec_lo, exec_lo, s15
	s_and_saveexec_b32 s15, s23
	s_cbranch_execnz .LBB842_892
.LBB842_828:                            ;   in Loop: Header=BB842_690 Depth=2
	s_wait_alu 0xfffe
	s_or_b32 exec_lo, exec_lo, s15
	s_and_saveexec_b32 s15, s24
	s_cbranch_execnz .LBB842_893
.LBB842_829:                            ;   in Loop: Header=BB842_690 Depth=2
	s_wait_alu 0xfffe
	s_or_b32 exec_lo, exec_lo, s15
	s_and_saveexec_b32 s15, s25
	s_cbranch_execnz .LBB842_894
.LBB842_830:                            ;   in Loop: Header=BB842_690 Depth=2
	s_wait_alu 0xfffe
	s_or_b32 exec_lo, exec_lo, s15
	s_and_saveexec_b32 s15, s26
	s_cbranch_execnz .LBB842_895
.LBB842_831:                            ;   in Loop: Header=BB842_690 Depth=2
	s_wait_alu 0xfffe
	s_or_b32 exec_lo, exec_lo, s15
	s_and_saveexec_b32 s15, s27
	s_cbranch_execnz .LBB842_896
.LBB842_832:                            ;   in Loop: Header=BB842_690 Depth=2
	s_wait_alu 0xfffe
	s_or_b32 exec_lo, exec_lo, s15
	s_and_saveexec_b32 s15, s28
	s_cbranch_execnz .LBB842_897
.LBB842_833:                            ;   in Loop: Header=BB842_690 Depth=2
	s_wait_alu 0xfffe
	s_or_b32 exec_lo, exec_lo, s15
	s_and_saveexec_b32 s15, s29
	s_cbranch_execz .LBB842_835
.LBB842_834:                            ;   in Loop: Header=BB842_690 Depth=2
	v_lshlrev_b32_e32 v2, 2, v148
	ds_load_b32 v2, v2
	ds_load_b64 v[38:39], v110 offset:31744
	s_wait_dscnt 0x1
	v_add_nc_u32_e32 v2, v2, v95
	s_delay_alu instid0(VALU_DEP_1) | instskip(NEXT) | instid1(VALU_DEP_1)
	v_lshlrev_b64_e32 v[40:41], 3, v[2:3]
	v_add_co_u32 v40, vcc_lo, s44, v40
	s_wait_alu 0xfffd
	s_delay_alu instid0(VALU_DEP_2)
	v_add_co_ci_u32_e64 v41, null, s45, v41, vcc_lo
	s_wait_dscnt 0x0
	global_store_b64 v[40:41], v[38:39], off
.LBB842_835:                            ;   in Loop: Header=BB842_690 Depth=2
	s_wait_alu 0xfffe
	s_or_b32 exec_lo, exec_lo, s15
	s_wait_loadcnt 0x0
	s_wait_storecnt 0x0
	s_barrier_signal -1
	s_barrier_wait -1
	global_inv scope:SCOPE_SE
	s_and_saveexec_b32 s15, s2
	s_cbranch_execz .LBB842_689
; %bb.836:                              ;   in Loop: Header=BB842_690 Depth=2
	ds_load_b32 v2, v78
	s_wait_dscnt 0x0
	v_add_nc_u32_e32 v2, v2, v70
	ds_store_b32 v78, v2
	s_branch .LBB842_689
.LBB842_837:                            ;   in Loop: Header=BB842_690 Depth=2
	ds_load_b64 v[38:39], v110 offset:1024
	s_wait_dscnt 0x0
	v_lshrrev_b64 v[52:53], s31, v[38:39]
	v_xor_b32_e32 v39, 0x80000000, v39
	s_delay_alu instid0(VALU_DEP_2) | instskip(NEXT) | instid1(VALU_DEP_1)
	v_and_b32_e32 v2, s54, v52
	v_lshlrev_b32_e32 v2, 2, v2
	ds_load_b32 v2, v2
	s_wait_dscnt 0x0
	v_add_nc_u32_e32 v2, v2, v1
	s_delay_alu instid0(VALU_DEP_1) | instskip(NEXT) | instid1(VALU_DEP_1)
	v_lshlrev_b64_e32 v[52:53], 3, v[2:3]
	v_add_co_u32 v52, s15, s38, v52
	s_wait_alu 0xf1ff
	s_delay_alu instid0(VALU_DEP_2)
	v_add_co_ci_u32_e64 v53, null, s39, v53, s15
	global_store_b64 v[52:53], v[38:39], off
	s_wait_alu 0xfffe
	s_or_b32 exec_lo, exec_lo, s16
	v_cmp_lt_u32_e64 s15, v79, v164
	s_and_saveexec_b32 s17, s15
	s_cbranch_execz .LBB842_770
.LBB842_838:                            ;   in Loop: Header=BB842_690 Depth=2
	ds_load_b64 v[38:39], v110 offset:3072
	s_wait_dscnt 0x0
	v_lshrrev_b64 v[52:53], s31, v[38:39]
	v_xor_b32_e32 v39, 0x80000000, v39
	s_delay_alu instid0(VALU_DEP_2) | instskip(NEXT) | instid1(VALU_DEP_1)
	v_and_b32_e32 v2, s54, v52
	v_lshlrev_b32_e32 v2, 2, v2
	ds_load_b32 v2, v2
	s_wait_dscnt 0x0
	v_add_nc_u32_e32 v2, v2, v79
	s_delay_alu instid0(VALU_DEP_1) | instskip(NEXT) | instid1(VALU_DEP_1)
	v_lshlrev_b64_e32 v[52:53], 3, v[2:3]
	v_add_co_u32 v52, s16, s38, v52
	s_wait_alu 0xf1ff
	s_delay_alu instid0(VALU_DEP_2)
	v_add_co_ci_u32_e64 v53, null, s39, v53, s16
	global_store_b64 v[52:53], v[38:39], off
	s_wait_alu 0xfffe
	s_or_b32 exec_lo, exec_lo, s17
	v_cmp_lt_u32_e64 s16, v80, v164
	s_and_saveexec_b32 s18, s16
	s_cbranch_execz .LBB842_771
.LBB842_839:                            ;   in Loop: Header=BB842_690 Depth=2
	ds_load_b64 v[38:39], v110 offset:5120
	s_wait_dscnt 0x0
	v_lshrrev_b64 v[52:53], s31, v[38:39]
	v_xor_b32_e32 v39, 0x80000000, v39
	s_delay_alu instid0(VALU_DEP_2) | instskip(NEXT) | instid1(VALU_DEP_1)
	v_and_b32_e32 v2, s54, v52
	v_lshlrev_b32_e32 v2, 2, v2
	ds_load_b32 v2, v2
	s_wait_dscnt 0x0
	v_add_nc_u32_e32 v2, v2, v80
	s_delay_alu instid0(VALU_DEP_1) | instskip(NEXT) | instid1(VALU_DEP_1)
	v_lshlrev_b64_e32 v[52:53], 3, v[2:3]
	v_add_co_u32 v52, s17, s38, v52
	s_wait_alu 0xf1ff
	s_delay_alu instid0(VALU_DEP_2)
	v_add_co_ci_u32_e64 v53, null, s39, v53, s17
	global_store_b64 v[52:53], v[38:39], off
	s_wait_alu 0xfffe
	s_or_b32 exec_lo, exec_lo, s18
	v_cmp_lt_u32_e64 s17, v81, v164
	s_and_saveexec_b32 s19, s17
	s_cbranch_execz .LBB842_772
.LBB842_840:                            ;   in Loop: Header=BB842_690 Depth=2
	ds_load_b64 v[38:39], v110 offset:7168
	s_wait_dscnt 0x0
	v_lshrrev_b64 v[52:53], s31, v[38:39]
	v_xor_b32_e32 v39, 0x80000000, v39
	s_delay_alu instid0(VALU_DEP_2) | instskip(NEXT) | instid1(VALU_DEP_1)
	v_and_b32_e32 v2, s54, v52
	v_lshlrev_b32_e32 v2, 2, v2
	ds_load_b32 v2, v2
	s_wait_dscnt 0x0
	v_add_nc_u32_e32 v2, v2, v81
	s_delay_alu instid0(VALU_DEP_1) | instskip(NEXT) | instid1(VALU_DEP_1)
	v_lshlrev_b64_e32 v[52:53], 3, v[2:3]
	v_add_co_u32 v52, s18, s38, v52
	s_wait_alu 0xf1ff
	s_delay_alu instid0(VALU_DEP_2)
	v_add_co_ci_u32_e64 v53, null, s39, v53, s18
	global_store_b64 v[52:53], v[38:39], off
	s_wait_alu 0xfffe
	s_or_b32 exec_lo, exec_lo, s19
	v_cmp_lt_u32_e64 s18, v84, v164
	s_and_saveexec_b32 s20, s18
	s_cbranch_execz .LBB842_773
.LBB842_841:                            ;   in Loop: Header=BB842_690 Depth=2
	ds_load_b64 v[38:39], v110 offset:9216
	s_wait_dscnt 0x0
	v_lshrrev_b64 v[52:53], s31, v[38:39]
	v_xor_b32_e32 v39, 0x80000000, v39
	s_delay_alu instid0(VALU_DEP_2) | instskip(NEXT) | instid1(VALU_DEP_1)
	v_and_b32_e32 v2, s54, v52
	v_lshlrev_b32_e32 v2, 2, v2
	ds_load_b32 v2, v2
	s_wait_dscnt 0x0
	v_add_nc_u32_e32 v2, v2, v84
	s_delay_alu instid0(VALU_DEP_1) | instskip(NEXT) | instid1(VALU_DEP_1)
	v_lshlrev_b64_e32 v[52:53], 3, v[2:3]
	v_add_co_u32 v52, s19, s38, v52
	s_wait_alu 0xf1ff
	s_delay_alu instid0(VALU_DEP_2)
	v_add_co_ci_u32_e64 v53, null, s39, v53, s19
	global_store_b64 v[52:53], v[38:39], off
	s_wait_alu 0xfffe
	s_or_b32 exec_lo, exec_lo, s20
	v_cmp_lt_u32_e64 s19, v85, v164
	s_and_saveexec_b32 s21, s19
	s_cbranch_execz .LBB842_774
.LBB842_842:                            ;   in Loop: Header=BB842_690 Depth=2
	ds_load_b64 v[38:39], v110 offset:11264
	s_wait_dscnt 0x0
	v_lshrrev_b64 v[52:53], s31, v[38:39]
	v_xor_b32_e32 v39, 0x80000000, v39
	s_delay_alu instid0(VALU_DEP_2) | instskip(NEXT) | instid1(VALU_DEP_1)
	v_and_b32_e32 v2, s54, v52
	v_lshlrev_b32_e32 v2, 2, v2
	ds_load_b32 v2, v2
	s_wait_dscnt 0x0
	v_add_nc_u32_e32 v2, v2, v85
	s_delay_alu instid0(VALU_DEP_1) | instskip(NEXT) | instid1(VALU_DEP_1)
	v_lshlrev_b64_e32 v[52:53], 3, v[2:3]
	v_add_co_u32 v52, s20, s38, v52
	s_wait_alu 0xf1ff
	s_delay_alu instid0(VALU_DEP_2)
	v_add_co_ci_u32_e64 v53, null, s39, v53, s20
	global_store_b64 v[52:53], v[38:39], off
	s_wait_alu 0xfffe
	s_or_b32 exec_lo, exec_lo, s21
	v_cmp_lt_u32_e64 s20, v86, v164
	s_and_saveexec_b32 s22, s20
	s_cbranch_execz .LBB842_775
.LBB842_843:                            ;   in Loop: Header=BB842_690 Depth=2
	ds_load_b64 v[38:39], v110 offset:13312
	s_wait_dscnt 0x0
	v_lshrrev_b64 v[52:53], s31, v[38:39]
	v_xor_b32_e32 v39, 0x80000000, v39
	s_delay_alu instid0(VALU_DEP_2) | instskip(NEXT) | instid1(VALU_DEP_1)
	v_and_b32_e32 v2, s54, v52
	v_lshlrev_b32_e32 v2, 2, v2
	ds_load_b32 v2, v2
	s_wait_dscnt 0x0
	v_add_nc_u32_e32 v2, v2, v86
	s_delay_alu instid0(VALU_DEP_1) | instskip(NEXT) | instid1(VALU_DEP_1)
	v_lshlrev_b64_e32 v[52:53], 3, v[2:3]
	v_add_co_u32 v52, s21, s38, v52
	s_wait_alu 0xf1ff
	s_delay_alu instid0(VALU_DEP_2)
	v_add_co_ci_u32_e64 v53, null, s39, v53, s21
	global_store_b64 v[52:53], v[38:39], off
	s_wait_alu 0xfffe
	s_or_b32 exec_lo, exec_lo, s22
	v_cmp_lt_u32_e64 s21, v87, v164
	s_and_saveexec_b32 s23, s21
	s_cbranch_execz .LBB842_776
.LBB842_844:                            ;   in Loop: Header=BB842_690 Depth=2
	ds_load_b64 v[38:39], v110 offset:15360
	s_wait_dscnt 0x0
	v_lshrrev_b64 v[52:53], s31, v[38:39]
	v_xor_b32_e32 v39, 0x80000000, v39
	s_delay_alu instid0(VALU_DEP_2) | instskip(NEXT) | instid1(VALU_DEP_1)
	v_and_b32_e32 v2, s54, v52
	v_lshlrev_b32_e32 v2, 2, v2
	ds_load_b32 v2, v2
	s_wait_dscnt 0x0
	v_add_nc_u32_e32 v2, v2, v87
	s_delay_alu instid0(VALU_DEP_1) | instskip(NEXT) | instid1(VALU_DEP_1)
	v_lshlrev_b64_e32 v[52:53], 3, v[2:3]
	v_add_co_u32 v52, s22, s38, v52
	s_wait_alu 0xf1ff
	s_delay_alu instid0(VALU_DEP_2)
	v_add_co_ci_u32_e64 v53, null, s39, v53, s22
	global_store_b64 v[52:53], v[38:39], off
	s_wait_alu 0xfffe
	s_or_b32 exec_lo, exec_lo, s23
	v_cmp_lt_u32_e64 s22, v88, v164
	s_and_saveexec_b32 s24, s22
	s_cbranch_execz .LBB842_777
.LBB842_845:                            ;   in Loop: Header=BB842_690 Depth=2
	ds_load_b64 v[38:39], v110 offset:17408
	s_wait_dscnt 0x0
	v_lshrrev_b64 v[52:53], s31, v[38:39]
	v_xor_b32_e32 v39, 0x80000000, v39
	s_delay_alu instid0(VALU_DEP_2) | instskip(NEXT) | instid1(VALU_DEP_1)
	v_and_b32_e32 v2, s54, v52
	v_lshlrev_b32_e32 v2, 2, v2
	ds_load_b32 v2, v2
	s_wait_dscnt 0x0
	v_add_nc_u32_e32 v2, v2, v88
	s_delay_alu instid0(VALU_DEP_1) | instskip(NEXT) | instid1(VALU_DEP_1)
	v_lshlrev_b64_e32 v[52:53], 3, v[2:3]
	v_add_co_u32 v52, s23, s38, v52
	s_wait_alu 0xf1ff
	s_delay_alu instid0(VALU_DEP_2)
	v_add_co_ci_u32_e64 v53, null, s39, v53, s23
	global_store_b64 v[52:53], v[38:39], off
	s_wait_alu 0xfffe
	s_or_b32 exec_lo, exec_lo, s24
	v_cmp_lt_u32_e64 s23, v89, v164
	s_and_saveexec_b32 s25, s23
	s_cbranch_execz .LBB842_778
.LBB842_846:                            ;   in Loop: Header=BB842_690 Depth=2
	ds_load_b64 v[38:39], v110 offset:19456
	s_wait_dscnt 0x0
	v_lshrrev_b64 v[52:53], s31, v[38:39]
	v_xor_b32_e32 v39, 0x80000000, v39
	s_delay_alu instid0(VALU_DEP_2) | instskip(NEXT) | instid1(VALU_DEP_1)
	v_and_b32_e32 v2, s54, v52
	v_lshlrev_b32_e32 v2, 2, v2
	ds_load_b32 v2, v2
	s_wait_dscnt 0x0
	v_add_nc_u32_e32 v2, v2, v89
	s_delay_alu instid0(VALU_DEP_1) | instskip(NEXT) | instid1(VALU_DEP_1)
	v_lshlrev_b64_e32 v[52:53], 3, v[2:3]
	v_add_co_u32 v52, s24, s38, v52
	s_wait_alu 0xf1ff
	s_delay_alu instid0(VALU_DEP_2)
	v_add_co_ci_u32_e64 v53, null, s39, v53, s24
	global_store_b64 v[52:53], v[38:39], off
	s_wait_alu 0xfffe
	s_or_b32 exec_lo, exec_lo, s25
	v_cmp_lt_u32_e64 s24, v90, v164
	s_and_saveexec_b32 s26, s24
	s_cbranch_execz .LBB842_779
.LBB842_847:                            ;   in Loop: Header=BB842_690 Depth=2
	ds_load_b64 v[38:39], v110 offset:21504
	s_wait_dscnt 0x0
	v_lshrrev_b64 v[52:53], s31, v[38:39]
	v_xor_b32_e32 v39, 0x80000000, v39
	s_delay_alu instid0(VALU_DEP_2) | instskip(NEXT) | instid1(VALU_DEP_1)
	v_and_b32_e32 v2, s54, v52
	v_lshlrev_b32_e32 v2, 2, v2
	ds_load_b32 v2, v2
	s_wait_dscnt 0x0
	v_add_nc_u32_e32 v2, v2, v90
	s_delay_alu instid0(VALU_DEP_1) | instskip(NEXT) | instid1(VALU_DEP_1)
	v_lshlrev_b64_e32 v[52:53], 3, v[2:3]
	v_add_co_u32 v52, s25, s38, v52
	s_wait_alu 0xf1ff
	s_delay_alu instid0(VALU_DEP_2)
	v_add_co_ci_u32_e64 v53, null, s39, v53, s25
	global_store_b64 v[52:53], v[38:39], off
	s_wait_alu 0xfffe
	s_or_b32 exec_lo, exec_lo, s26
	v_cmp_lt_u32_e64 s25, v91, v164
	s_and_saveexec_b32 s27, s25
	s_cbranch_execz .LBB842_780
.LBB842_848:                            ;   in Loop: Header=BB842_690 Depth=2
	ds_load_b64 v[38:39], v110 offset:23552
	s_wait_dscnt 0x0
	v_lshrrev_b64 v[52:53], s31, v[38:39]
	v_xor_b32_e32 v39, 0x80000000, v39
	s_delay_alu instid0(VALU_DEP_2) | instskip(NEXT) | instid1(VALU_DEP_1)
	v_and_b32_e32 v2, s54, v52
	v_lshlrev_b32_e32 v2, 2, v2
	ds_load_b32 v2, v2
	s_wait_dscnt 0x0
	v_add_nc_u32_e32 v2, v2, v91
	s_delay_alu instid0(VALU_DEP_1) | instskip(NEXT) | instid1(VALU_DEP_1)
	v_lshlrev_b64_e32 v[52:53], 3, v[2:3]
	v_add_co_u32 v52, s26, s38, v52
	s_wait_alu 0xf1ff
	s_delay_alu instid0(VALU_DEP_2)
	v_add_co_ci_u32_e64 v53, null, s39, v53, s26
	global_store_b64 v[52:53], v[38:39], off
	s_wait_alu 0xfffe
	s_or_b32 exec_lo, exec_lo, s27
	v_cmp_lt_u32_e64 s26, v92, v164
	s_and_saveexec_b32 s28, s26
	s_cbranch_execz .LBB842_781
.LBB842_849:                            ;   in Loop: Header=BB842_690 Depth=2
	ds_load_b64 v[38:39], v110 offset:25600
	s_wait_dscnt 0x0
	v_lshrrev_b64 v[52:53], s31, v[38:39]
	v_xor_b32_e32 v39, 0x80000000, v39
	s_delay_alu instid0(VALU_DEP_2) | instskip(NEXT) | instid1(VALU_DEP_1)
	v_and_b32_e32 v2, s54, v52
	v_lshlrev_b32_e32 v2, 2, v2
	ds_load_b32 v2, v2
	s_wait_dscnt 0x0
	v_add_nc_u32_e32 v2, v2, v92
	s_delay_alu instid0(VALU_DEP_1) | instskip(NEXT) | instid1(VALU_DEP_1)
	v_lshlrev_b64_e32 v[52:53], 3, v[2:3]
	v_add_co_u32 v52, s27, s38, v52
	s_wait_alu 0xf1ff
	s_delay_alu instid0(VALU_DEP_2)
	v_add_co_ci_u32_e64 v53, null, s39, v53, s27
	global_store_b64 v[52:53], v[38:39], off
	s_wait_alu 0xfffe
	s_or_b32 exec_lo, exec_lo, s28
	v_cmp_lt_u32_e64 s27, v93, v164
	s_and_saveexec_b32 s29, s27
	s_cbranch_execz .LBB842_782
.LBB842_850:                            ;   in Loop: Header=BB842_690 Depth=2
	ds_load_b64 v[38:39], v110 offset:27648
	s_wait_dscnt 0x0
	v_lshrrev_b64 v[52:53], s31, v[38:39]
	v_xor_b32_e32 v39, 0x80000000, v39
	s_delay_alu instid0(VALU_DEP_2) | instskip(NEXT) | instid1(VALU_DEP_1)
	v_and_b32_e32 v2, s54, v52
	v_lshlrev_b32_e32 v2, 2, v2
	ds_load_b32 v2, v2
	s_wait_dscnt 0x0
	v_add_nc_u32_e32 v2, v2, v93
	s_delay_alu instid0(VALU_DEP_1) | instskip(NEXT) | instid1(VALU_DEP_1)
	v_lshlrev_b64_e32 v[52:53], 3, v[2:3]
	v_add_co_u32 v52, s28, s38, v52
	s_wait_alu 0xf1ff
	s_delay_alu instid0(VALU_DEP_2)
	v_add_co_ci_u32_e64 v53, null, s39, v53, s28
	global_store_b64 v[52:53], v[38:39], off
	s_wait_alu 0xfffe
	s_or_b32 exec_lo, exec_lo, s29
	v_cmp_lt_u32_e64 s28, v94, v164
	s_and_saveexec_b32 s30, s28
	s_cbranch_execz .LBB842_783
.LBB842_851:                            ;   in Loop: Header=BB842_690 Depth=2
	ds_load_b64 v[38:39], v110 offset:29696
	s_wait_dscnt 0x0
	v_lshrrev_b64 v[52:53], s31, v[38:39]
	v_xor_b32_e32 v39, 0x80000000, v39
	s_delay_alu instid0(VALU_DEP_2) | instskip(NEXT) | instid1(VALU_DEP_1)
	v_and_b32_e32 v2, s54, v52
	v_lshlrev_b32_e32 v2, 2, v2
	ds_load_b32 v2, v2
	s_wait_dscnt 0x0
	v_add_nc_u32_e32 v2, v2, v94
	s_delay_alu instid0(VALU_DEP_1) | instskip(NEXT) | instid1(VALU_DEP_1)
	v_lshlrev_b64_e32 v[52:53], 3, v[2:3]
	v_add_co_u32 v52, s29, s38, v52
	s_wait_alu 0xf1ff
	s_delay_alu instid0(VALU_DEP_2)
	v_add_co_ci_u32_e64 v53, null, s39, v53, s29
	global_store_b64 v[52:53], v[38:39], off
	s_wait_alu 0xfffe
	s_or_b32 exec_lo, exec_lo, s30
	v_cmp_lt_u32_e64 s29, v95, v164
	s_and_saveexec_b32 s57, s29
	s_cbranch_execnz .LBB842_784
	s_branch .LBB842_785
.LBB842_852:                            ;   in Loop: Header=BB842_690 Depth=2
	global_load_b64 v[36:37], v[38:39], off
	s_wait_alu 0xfffe
	s_or_b32 exec_lo, exec_lo, s30
	s_delay_alu instid0(SALU_CYCLE_1)
	s_mov_b32 s34, exec_lo
	v_cmpx_lt_u32_e64 v130, v164
	s_cbranch_execz .LBB842_787
.LBB842_853:                            ;   in Loop: Header=BB842_690 Depth=2
	global_load_b64 v[34:35], v[38:39], off offset:256
	s_wait_alu 0xfffe
	s_or_b32 exec_lo, exec_lo, s34
	s_delay_alu instid0(SALU_CYCLE_1)
	s_mov_b32 s34, exec_lo
	v_cmpx_lt_u32_e64 v131, v164
	s_cbranch_execz .LBB842_788
.LBB842_854:                            ;   in Loop: Header=BB842_690 Depth=2
	global_load_b64 v[32:33], v[38:39], off offset:512
	s_wait_alu 0xfffe
	s_or_b32 exec_lo, exec_lo, s34
	s_delay_alu instid0(SALU_CYCLE_1)
	s_mov_b32 s34, exec_lo
	v_cmpx_lt_u32_e64 v132, v164
	s_cbranch_execz .LBB842_789
.LBB842_855:                            ;   in Loop: Header=BB842_690 Depth=2
	global_load_b64 v[30:31], v[38:39], off offset:768
	s_wait_alu 0xfffe
	s_or_b32 exec_lo, exec_lo, s34
	s_delay_alu instid0(SALU_CYCLE_1)
	s_mov_b32 s34, exec_lo
	v_cmpx_lt_u32_e64 v133, v164
	s_cbranch_execz .LBB842_790
.LBB842_856:                            ;   in Loop: Header=BB842_690 Depth=2
	global_load_b64 v[28:29], v[38:39], off offset:1024
	s_wait_alu 0xfffe
	s_or_b32 exec_lo, exec_lo, s34
	s_delay_alu instid0(SALU_CYCLE_1)
	s_mov_b32 s34, exec_lo
	v_cmpx_lt_u32_e64 v134, v164
	s_cbranch_execz .LBB842_791
.LBB842_857:                            ;   in Loop: Header=BB842_690 Depth=2
	global_load_b64 v[26:27], v[38:39], off offset:1280
	s_wait_alu 0xfffe
	s_or_b32 exec_lo, exec_lo, s34
	s_delay_alu instid0(SALU_CYCLE_1)
	s_mov_b32 s34, exec_lo
	v_cmpx_lt_u32_e64 v135, v164
	s_cbranch_execz .LBB842_792
.LBB842_858:                            ;   in Loop: Header=BB842_690 Depth=2
	global_load_b64 v[24:25], v[38:39], off offset:1536
	s_wait_alu 0xfffe
	s_or_b32 exec_lo, exec_lo, s34
	s_delay_alu instid0(SALU_CYCLE_1)
	s_mov_b32 s34, exec_lo
	v_cmpx_lt_u32_e64 v136, v164
	s_cbranch_execz .LBB842_793
.LBB842_859:                            ;   in Loop: Header=BB842_690 Depth=2
	global_load_b64 v[22:23], v[38:39], off offset:1792
	s_wait_alu 0xfffe
	s_or_b32 exec_lo, exec_lo, s34
	s_delay_alu instid0(SALU_CYCLE_1)
	s_mov_b32 s34, exec_lo
	v_cmpx_lt_u32_e64 v137, v164
	s_cbranch_execz .LBB842_794
.LBB842_860:                            ;   in Loop: Header=BB842_690 Depth=2
	global_load_b64 v[20:21], v[38:39], off offset:2048
	s_wait_alu 0xfffe
	s_or_b32 exec_lo, exec_lo, s34
	s_delay_alu instid0(SALU_CYCLE_1)
	s_mov_b32 s34, exec_lo
	v_cmpx_lt_u32_e64 v138, v164
	s_cbranch_execz .LBB842_795
.LBB842_861:                            ;   in Loop: Header=BB842_690 Depth=2
	global_load_b64 v[18:19], v[38:39], off offset:2304
	s_wait_alu 0xfffe
	s_or_b32 exec_lo, exec_lo, s34
	s_delay_alu instid0(SALU_CYCLE_1)
	s_mov_b32 s34, exec_lo
	v_cmpx_lt_u32_e64 v139, v164
	s_cbranch_execz .LBB842_796
.LBB842_862:                            ;   in Loop: Header=BB842_690 Depth=2
	global_load_b64 v[16:17], v[38:39], off offset:2560
	s_wait_alu 0xfffe
	s_or_b32 exec_lo, exec_lo, s34
	s_delay_alu instid0(SALU_CYCLE_1)
	s_mov_b32 s34, exec_lo
	v_cmpx_lt_u32_e64 v140, v164
	s_cbranch_execz .LBB842_797
.LBB842_863:                            ;   in Loop: Header=BB842_690 Depth=2
	global_load_b64 v[14:15], v[38:39], off offset:2816
	s_wait_alu 0xfffe
	s_or_b32 exec_lo, exec_lo, s34
	s_delay_alu instid0(SALU_CYCLE_1)
	s_mov_b32 s34, exec_lo
	v_cmpx_lt_u32_e64 v141, v164
	s_cbranch_execz .LBB842_798
.LBB842_864:                            ;   in Loop: Header=BB842_690 Depth=2
	global_load_b64 v[12:13], v[38:39], off offset:3072
	s_wait_alu 0xfffe
	s_or_b32 exec_lo, exec_lo, s34
	s_delay_alu instid0(SALU_CYCLE_1)
	s_mov_b32 s34, exec_lo
	v_cmpx_lt_u32_e64 v142, v164
	s_cbranch_execz .LBB842_799
.LBB842_865:                            ;   in Loop: Header=BB842_690 Depth=2
	global_load_b64 v[10:11], v[38:39], off offset:3328
	s_wait_alu 0xfffe
	s_or_b32 exec_lo, exec_lo, s34
	s_delay_alu instid0(SALU_CYCLE_1)
	s_mov_b32 s34, exec_lo
	v_cmpx_lt_u32_e64 v143, v164
	s_cbranch_execz .LBB842_800
.LBB842_866:                            ;   in Loop: Header=BB842_690 Depth=2
	global_load_b64 v[8:9], v[38:39], off offset:3584
	s_wait_alu 0xfffe
	s_or_b32 exec_lo, exec_lo, s34
	s_delay_alu instid0(SALU_CYCLE_1)
	s_mov_b32 s34, exec_lo
	v_cmpx_lt_u32_e64 v144, v164
	s_cbranch_execz .LBB842_801
.LBB842_867:                            ;   in Loop: Header=BB842_690 Depth=2
	global_load_b64 v[6:7], v[38:39], off offset:3840
	s_wait_alu 0xfffe
	s_or_b32 exec_lo, exec_lo, s34
	s_and_saveexec_b32 s30, vcc_lo
	s_cbranch_execz .LBB842_802
.LBB842_868:                            ;   in Loop: Header=BB842_690 Depth=2
	ds_load_b64 v[38:39], v110 offset:1024
	s_wait_dscnt 0x0
	v_lshrrev_b64 v[38:39], s31, v[38:39]
	s_delay_alu instid0(VALU_DEP_1)
	v_and_b32_e32 v163, s54, v38
	s_wait_alu 0xfffe
	s_or_b32 exec_lo, exec_lo, s30
	s_and_saveexec_b32 s30, s15
	s_cbranch_execz .LBB842_803
.LBB842_869:                            ;   in Loop: Header=BB842_690 Depth=2
	ds_load_b64 v[38:39], v110 offset:3072
	s_wait_dscnt 0x0
	v_lshrrev_b64 v[38:39], s31, v[38:39]
	s_delay_alu instid0(VALU_DEP_1)
	v_and_b32_e32 v162, s54, v38
	s_wait_alu 0xfffe
	s_or_b32 exec_lo, exec_lo, s30
	s_and_saveexec_b32 s30, s16
	s_cbranch_execz .LBB842_804
.LBB842_870:                            ;   in Loop: Header=BB842_690 Depth=2
	ds_load_b64 v[38:39], v110 offset:5120
	s_wait_dscnt 0x0
	v_lshrrev_b64 v[38:39], s31, v[38:39]
	s_delay_alu instid0(VALU_DEP_1)
	v_and_b32_e32 v161, s54, v38
	s_wait_alu 0xfffe
	s_or_b32 exec_lo, exec_lo, s30
	s_and_saveexec_b32 s30, s17
	s_cbranch_execz .LBB842_805
.LBB842_871:                            ;   in Loop: Header=BB842_690 Depth=2
	ds_load_b64 v[38:39], v110 offset:7168
	s_wait_dscnt 0x0
	v_lshrrev_b64 v[38:39], s31, v[38:39]
	s_delay_alu instid0(VALU_DEP_1)
	v_and_b32_e32 v160, s54, v38
	s_wait_alu 0xfffe
	s_or_b32 exec_lo, exec_lo, s30
	s_and_saveexec_b32 s30, s18
	s_cbranch_execz .LBB842_806
.LBB842_872:                            ;   in Loop: Header=BB842_690 Depth=2
	ds_load_b64 v[38:39], v110 offset:9216
	s_wait_dscnt 0x0
	v_lshrrev_b64 v[38:39], s31, v[38:39]
	s_delay_alu instid0(VALU_DEP_1)
	v_and_b32_e32 v159, s54, v38
	s_wait_alu 0xfffe
	s_or_b32 exec_lo, exec_lo, s30
	s_and_saveexec_b32 s30, s19
	s_cbranch_execz .LBB842_807
.LBB842_873:                            ;   in Loop: Header=BB842_690 Depth=2
	ds_load_b64 v[38:39], v110 offset:11264
	s_wait_dscnt 0x0
	v_lshrrev_b64 v[38:39], s31, v[38:39]
	s_delay_alu instid0(VALU_DEP_1)
	v_and_b32_e32 v158, s54, v38
	s_wait_alu 0xfffe
	s_or_b32 exec_lo, exec_lo, s30
	s_and_saveexec_b32 s30, s20
	s_cbranch_execz .LBB842_808
.LBB842_874:                            ;   in Loop: Header=BB842_690 Depth=2
	ds_load_b64 v[38:39], v110 offset:13312
	s_wait_dscnt 0x0
	v_lshrrev_b64 v[38:39], s31, v[38:39]
	s_delay_alu instid0(VALU_DEP_1)
	v_and_b32_e32 v157, s54, v38
	s_wait_alu 0xfffe
	s_or_b32 exec_lo, exec_lo, s30
	s_and_saveexec_b32 s30, s21
	s_cbranch_execz .LBB842_809
.LBB842_875:                            ;   in Loop: Header=BB842_690 Depth=2
	ds_load_b64 v[38:39], v110 offset:15360
	s_wait_dscnt 0x0
	v_lshrrev_b64 v[38:39], s31, v[38:39]
	s_delay_alu instid0(VALU_DEP_1)
	v_and_b32_e32 v156, s54, v38
	s_wait_alu 0xfffe
	s_or_b32 exec_lo, exec_lo, s30
	s_and_saveexec_b32 s30, s22
	s_cbranch_execz .LBB842_810
.LBB842_876:                            ;   in Loop: Header=BB842_690 Depth=2
	ds_load_b64 v[38:39], v110 offset:17408
	s_wait_dscnt 0x0
	v_lshrrev_b64 v[38:39], s31, v[38:39]
	s_delay_alu instid0(VALU_DEP_1)
	v_and_b32_e32 v155, s54, v38
	s_wait_alu 0xfffe
	s_or_b32 exec_lo, exec_lo, s30
	s_and_saveexec_b32 s30, s23
	s_cbranch_execz .LBB842_811
.LBB842_877:                            ;   in Loop: Header=BB842_690 Depth=2
	ds_load_b64 v[38:39], v110 offset:19456
	s_wait_dscnt 0x0
	v_lshrrev_b64 v[38:39], s31, v[38:39]
	s_delay_alu instid0(VALU_DEP_1)
	v_and_b32_e32 v154, s54, v38
	s_wait_alu 0xfffe
	s_or_b32 exec_lo, exec_lo, s30
	s_and_saveexec_b32 s30, s24
	s_cbranch_execz .LBB842_812
.LBB842_878:                            ;   in Loop: Header=BB842_690 Depth=2
	ds_load_b64 v[38:39], v110 offset:21504
	s_wait_dscnt 0x0
	v_lshrrev_b64 v[38:39], s31, v[38:39]
	s_delay_alu instid0(VALU_DEP_1)
	v_and_b32_e32 v153, s54, v38
	s_wait_alu 0xfffe
	s_or_b32 exec_lo, exec_lo, s30
	s_and_saveexec_b32 s30, s25
	s_cbranch_execz .LBB842_813
.LBB842_879:                            ;   in Loop: Header=BB842_690 Depth=2
	ds_load_b64 v[38:39], v110 offset:23552
	s_wait_dscnt 0x0
	v_lshrrev_b64 v[38:39], s31, v[38:39]
	s_delay_alu instid0(VALU_DEP_1)
	v_and_b32_e32 v152, s54, v38
	s_wait_alu 0xfffe
	s_or_b32 exec_lo, exec_lo, s30
	s_and_saveexec_b32 s30, s26
	s_cbranch_execz .LBB842_814
.LBB842_880:                            ;   in Loop: Header=BB842_690 Depth=2
	ds_load_b64 v[38:39], v110 offset:25600
	s_wait_dscnt 0x0
	v_lshrrev_b64 v[38:39], s31, v[38:39]
	s_delay_alu instid0(VALU_DEP_1)
	v_and_b32_e32 v151, s54, v38
	s_wait_alu 0xfffe
	s_or_b32 exec_lo, exec_lo, s30
	s_and_saveexec_b32 s30, s27
	s_cbranch_execz .LBB842_815
.LBB842_881:                            ;   in Loop: Header=BB842_690 Depth=2
	ds_load_b64 v[38:39], v110 offset:27648
	s_wait_dscnt 0x0
	v_lshrrev_b64 v[38:39], s31, v[38:39]
	s_delay_alu instid0(VALU_DEP_1)
	v_and_b32_e32 v150, s54, v38
	s_wait_alu 0xfffe
	s_or_b32 exec_lo, exec_lo, s30
	s_and_saveexec_b32 s30, s28
	s_cbranch_execz .LBB842_816
.LBB842_882:                            ;   in Loop: Header=BB842_690 Depth=2
	ds_load_b64 v[38:39], v110 offset:29696
	s_wait_dscnt 0x0
	v_lshrrev_b64 v[38:39], s31, v[38:39]
	s_delay_alu instid0(VALU_DEP_1)
	v_and_b32_e32 v149, s54, v38
	s_wait_alu 0xfffe
	s_or_b32 exec_lo, exec_lo, s30
	s_and_saveexec_b32 s30, s29
	s_cbranch_execnz .LBB842_817
	s_branch .LBB842_818
.LBB842_883:                            ;   in Loop: Header=BB842_690 Depth=2
	v_lshlrev_b32_e32 v2, 2, v163
	ds_load_b32 v2, v2
	ds_load_b64 v[38:39], v110 offset:1024
	s_wait_dscnt 0x1
	v_add_nc_u32_e32 v2, v2, v1
	s_delay_alu instid0(VALU_DEP_1) | instskip(NEXT) | instid1(VALU_DEP_1)
	v_lshlrev_b64_e32 v[40:41], 3, v[2:3]
	v_add_co_u32 v40, vcc_lo, s44, v40
	s_wait_alu 0xfffd
	s_delay_alu instid0(VALU_DEP_2)
	v_add_co_ci_u32_e64 v41, null, s45, v41, vcc_lo
	s_wait_dscnt 0x0
	global_store_b64 v[40:41], v[38:39], off
	s_wait_alu 0xfffe
	s_or_b32 exec_lo, exec_lo, s30
	s_and_saveexec_b32 s30, s15
	s_cbranch_execz .LBB842_820
.LBB842_884:                            ;   in Loop: Header=BB842_690 Depth=2
	v_lshlrev_b32_e32 v2, 2, v162
	ds_load_b32 v2, v2
	ds_load_b64 v[38:39], v110 offset:3072
	s_wait_dscnt 0x1
	v_add_nc_u32_e32 v2, v2, v79
	s_delay_alu instid0(VALU_DEP_1) | instskip(NEXT) | instid1(VALU_DEP_1)
	v_lshlrev_b64_e32 v[40:41], 3, v[2:3]
	v_add_co_u32 v40, vcc_lo, s44, v40
	s_wait_alu 0xfffd
	s_delay_alu instid0(VALU_DEP_2)
	v_add_co_ci_u32_e64 v41, null, s45, v41, vcc_lo
	s_wait_dscnt 0x0
	global_store_b64 v[40:41], v[38:39], off
	s_wait_alu 0xfffe
	s_or_b32 exec_lo, exec_lo, s30
	s_and_saveexec_b32 s15, s16
	s_cbranch_execz .LBB842_821
.LBB842_885:                            ;   in Loop: Header=BB842_690 Depth=2
	v_lshlrev_b32_e32 v2, 2, v161
	ds_load_b32 v2, v2
	ds_load_b64 v[38:39], v110 offset:5120
	s_wait_dscnt 0x1
	v_add_nc_u32_e32 v2, v2, v80
	s_delay_alu instid0(VALU_DEP_1) | instskip(NEXT) | instid1(VALU_DEP_1)
	v_lshlrev_b64_e32 v[40:41], 3, v[2:3]
	v_add_co_u32 v40, vcc_lo, s44, v40
	s_wait_alu 0xfffd
	s_delay_alu instid0(VALU_DEP_2)
	v_add_co_ci_u32_e64 v41, null, s45, v41, vcc_lo
	s_wait_dscnt 0x0
	global_store_b64 v[40:41], v[38:39], off
	s_wait_alu 0xfffe
	s_or_b32 exec_lo, exec_lo, s15
	s_and_saveexec_b32 s15, s17
	s_cbranch_execz .LBB842_822
.LBB842_886:                            ;   in Loop: Header=BB842_690 Depth=2
	v_lshlrev_b32_e32 v2, 2, v160
	ds_load_b32 v2, v2
	ds_load_b64 v[38:39], v110 offset:7168
	s_wait_dscnt 0x1
	v_add_nc_u32_e32 v2, v2, v81
	s_delay_alu instid0(VALU_DEP_1) | instskip(NEXT) | instid1(VALU_DEP_1)
	v_lshlrev_b64_e32 v[40:41], 3, v[2:3]
	v_add_co_u32 v40, vcc_lo, s44, v40
	s_wait_alu 0xfffd
	s_delay_alu instid0(VALU_DEP_2)
	v_add_co_ci_u32_e64 v41, null, s45, v41, vcc_lo
	s_wait_dscnt 0x0
	global_store_b64 v[40:41], v[38:39], off
	s_wait_alu 0xfffe
	s_or_b32 exec_lo, exec_lo, s15
	s_and_saveexec_b32 s15, s18
	s_cbranch_execz .LBB842_823
.LBB842_887:                            ;   in Loop: Header=BB842_690 Depth=2
	v_lshlrev_b32_e32 v2, 2, v159
	ds_load_b32 v2, v2
	ds_load_b64 v[38:39], v110 offset:9216
	s_wait_dscnt 0x1
	v_add_nc_u32_e32 v2, v2, v84
	s_delay_alu instid0(VALU_DEP_1) | instskip(NEXT) | instid1(VALU_DEP_1)
	v_lshlrev_b64_e32 v[40:41], 3, v[2:3]
	v_add_co_u32 v40, vcc_lo, s44, v40
	s_wait_alu 0xfffd
	s_delay_alu instid0(VALU_DEP_2)
	v_add_co_ci_u32_e64 v41, null, s45, v41, vcc_lo
	s_wait_dscnt 0x0
	global_store_b64 v[40:41], v[38:39], off
	s_wait_alu 0xfffe
	s_or_b32 exec_lo, exec_lo, s15
	s_and_saveexec_b32 s15, s19
	s_cbranch_execz .LBB842_824
.LBB842_888:                            ;   in Loop: Header=BB842_690 Depth=2
	v_lshlrev_b32_e32 v2, 2, v158
	ds_load_b32 v2, v2
	ds_load_b64 v[38:39], v110 offset:11264
	s_wait_dscnt 0x1
	v_add_nc_u32_e32 v2, v2, v85
	s_delay_alu instid0(VALU_DEP_1) | instskip(NEXT) | instid1(VALU_DEP_1)
	v_lshlrev_b64_e32 v[40:41], 3, v[2:3]
	v_add_co_u32 v40, vcc_lo, s44, v40
	s_wait_alu 0xfffd
	s_delay_alu instid0(VALU_DEP_2)
	v_add_co_ci_u32_e64 v41, null, s45, v41, vcc_lo
	s_wait_dscnt 0x0
	global_store_b64 v[40:41], v[38:39], off
	s_wait_alu 0xfffe
	s_or_b32 exec_lo, exec_lo, s15
	s_and_saveexec_b32 s15, s20
	s_cbranch_execz .LBB842_825
.LBB842_889:                            ;   in Loop: Header=BB842_690 Depth=2
	v_lshlrev_b32_e32 v2, 2, v157
	ds_load_b32 v2, v2
	ds_load_b64 v[38:39], v110 offset:13312
	s_wait_dscnt 0x1
	v_add_nc_u32_e32 v2, v2, v86
	s_delay_alu instid0(VALU_DEP_1) | instskip(NEXT) | instid1(VALU_DEP_1)
	v_lshlrev_b64_e32 v[40:41], 3, v[2:3]
	v_add_co_u32 v40, vcc_lo, s44, v40
	s_wait_alu 0xfffd
	s_delay_alu instid0(VALU_DEP_2)
	v_add_co_ci_u32_e64 v41, null, s45, v41, vcc_lo
	s_wait_dscnt 0x0
	global_store_b64 v[40:41], v[38:39], off
	s_wait_alu 0xfffe
	s_or_b32 exec_lo, exec_lo, s15
	s_and_saveexec_b32 s15, s21
	s_cbranch_execz .LBB842_826
.LBB842_890:                            ;   in Loop: Header=BB842_690 Depth=2
	v_lshlrev_b32_e32 v2, 2, v156
	ds_load_b32 v2, v2
	ds_load_b64 v[38:39], v110 offset:15360
	s_wait_dscnt 0x1
	v_add_nc_u32_e32 v2, v2, v87
	s_delay_alu instid0(VALU_DEP_1) | instskip(NEXT) | instid1(VALU_DEP_1)
	v_lshlrev_b64_e32 v[40:41], 3, v[2:3]
	v_add_co_u32 v40, vcc_lo, s44, v40
	s_wait_alu 0xfffd
	s_delay_alu instid0(VALU_DEP_2)
	v_add_co_ci_u32_e64 v41, null, s45, v41, vcc_lo
	s_wait_dscnt 0x0
	global_store_b64 v[40:41], v[38:39], off
	s_wait_alu 0xfffe
	s_or_b32 exec_lo, exec_lo, s15
	s_and_saveexec_b32 s15, s22
	s_cbranch_execz .LBB842_827
.LBB842_891:                            ;   in Loop: Header=BB842_690 Depth=2
	v_lshlrev_b32_e32 v2, 2, v155
	ds_load_b32 v2, v2
	ds_load_b64 v[38:39], v110 offset:17408
	s_wait_dscnt 0x1
	v_add_nc_u32_e32 v2, v2, v88
	s_delay_alu instid0(VALU_DEP_1) | instskip(NEXT) | instid1(VALU_DEP_1)
	v_lshlrev_b64_e32 v[40:41], 3, v[2:3]
	v_add_co_u32 v40, vcc_lo, s44, v40
	s_wait_alu 0xfffd
	s_delay_alu instid0(VALU_DEP_2)
	v_add_co_ci_u32_e64 v41, null, s45, v41, vcc_lo
	s_wait_dscnt 0x0
	global_store_b64 v[40:41], v[38:39], off
	s_wait_alu 0xfffe
	s_or_b32 exec_lo, exec_lo, s15
	s_and_saveexec_b32 s15, s23
	s_cbranch_execz .LBB842_828
.LBB842_892:                            ;   in Loop: Header=BB842_690 Depth=2
	v_lshlrev_b32_e32 v2, 2, v154
	ds_load_b32 v2, v2
	ds_load_b64 v[38:39], v110 offset:19456
	s_wait_dscnt 0x1
	v_add_nc_u32_e32 v2, v2, v89
	s_delay_alu instid0(VALU_DEP_1) | instskip(NEXT) | instid1(VALU_DEP_1)
	v_lshlrev_b64_e32 v[40:41], 3, v[2:3]
	v_add_co_u32 v40, vcc_lo, s44, v40
	s_wait_alu 0xfffd
	s_delay_alu instid0(VALU_DEP_2)
	v_add_co_ci_u32_e64 v41, null, s45, v41, vcc_lo
	s_wait_dscnt 0x0
	global_store_b64 v[40:41], v[38:39], off
	s_wait_alu 0xfffe
	s_or_b32 exec_lo, exec_lo, s15
	s_and_saveexec_b32 s15, s24
	s_cbranch_execz .LBB842_829
.LBB842_893:                            ;   in Loop: Header=BB842_690 Depth=2
	v_lshlrev_b32_e32 v2, 2, v153
	ds_load_b32 v2, v2
	ds_load_b64 v[38:39], v110 offset:21504
	s_wait_dscnt 0x1
	v_add_nc_u32_e32 v2, v2, v90
	s_delay_alu instid0(VALU_DEP_1) | instskip(NEXT) | instid1(VALU_DEP_1)
	v_lshlrev_b64_e32 v[40:41], 3, v[2:3]
	v_add_co_u32 v40, vcc_lo, s44, v40
	s_wait_alu 0xfffd
	s_delay_alu instid0(VALU_DEP_2)
	v_add_co_ci_u32_e64 v41, null, s45, v41, vcc_lo
	s_wait_dscnt 0x0
	global_store_b64 v[40:41], v[38:39], off
	s_wait_alu 0xfffe
	s_or_b32 exec_lo, exec_lo, s15
	s_and_saveexec_b32 s15, s25
	s_cbranch_execz .LBB842_830
.LBB842_894:                            ;   in Loop: Header=BB842_690 Depth=2
	v_lshlrev_b32_e32 v2, 2, v152
	ds_load_b32 v2, v2
	ds_load_b64 v[38:39], v110 offset:23552
	s_wait_dscnt 0x1
	v_add_nc_u32_e32 v2, v2, v91
	s_delay_alu instid0(VALU_DEP_1) | instskip(NEXT) | instid1(VALU_DEP_1)
	v_lshlrev_b64_e32 v[40:41], 3, v[2:3]
	v_add_co_u32 v40, vcc_lo, s44, v40
	s_wait_alu 0xfffd
	s_delay_alu instid0(VALU_DEP_2)
	v_add_co_ci_u32_e64 v41, null, s45, v41, vcc_lo
	s_wait_dscnt 0x0
	global_store_b64 v[40:41], v[38:39], off
	s_wait_alu 0xfffe
	s_or_b32 exec_lo, exec_lo, s15
	s_and_saveexec_b32 s15, s26
	s_cbranch_execz .LBB842_831
.LBB842_895:                            ;   in Loop: Header=BB842_690 Depth=2
	v_lshlrev_b32_e32 v2, 2, v151
	ds_load_b32 v2, v2
	ds_load_b64 v[38:39], v110 offset:25600
	s_wait_dscnt 0x1
	v_add_nc_u32_e32 v2, v2, v92
	s_delay_alu instid0(VALU_DEP_1) | instskip(NEXT) | instid1(VALU_DEP_1)
	v_lshlrev_b64_e32 v[40:41], 3, v[2:3]
	v_add_co_u32 v40, vcc_lo, s44, v40
	s_wait_alu 0xfffd
	s_delay_alu instid0(VALU_DEP_2)
	v_add_co_ci_u32_e64 v41, null, s45, v41, vcc_lo
	s_wait_dscnt 0x0
	global_store_b64 v[40:41], v[38:39], off
	s_wait_alu 0xfffe
	s_or_b32 exec_lo, exec_lo, s15
	s_and_saveexec_b32 s15, s27
	s_cbranch_execz .LBB842_832
.LBB842_896:                            ;   in Loop: Header=BB842_690 Depth=2
	v_lshlrev_b32_e32 v2, 2, v150
	ds_load_b32 v2, v2
	ds_load_b64 v[38:39], v110 offset:27648
	s_wait_dscnt 0x1
	v_add_nc_u32_e32 v2, v2, v93
	s_delay_alu instid0(VALU_DEP_1) | instskip(NEXT) | instid1(VALU_DEP_1)
	v_lshlrev_b64_e32 v[40:41], 3, v[2:3]
	v_add_co_u32 v40, vcc_lo, s44, v40
	s_wait_alu 0xfffd
	s_delay_alu instid0(VALU_DEP_2)
	v_add_co_ci_u32_e64 v41, null, s45, v41, vcc_lo
	s_wait_dscnt 0x0
	global_store_b64 v[40:41], v[38:39], off
	s_wait_alu 0xfffe
	s_or_b32 exec_lo, exec_lo, s15
	s_and_saveexec_b32 s15, s28
	s_cbranch_execz .LBB842_833
.LBB842_897:                            ;   in Loop: Header=BB842_690 Depth=2
	v_lshlrev_b32_e32 v2, 2, v149
	ds_load_b32 v2, v2
	ds_load_b64 v[38:39], v110 offset:29696
	s_wait_dscnt 0x1
	v_add_nc_u32_e32 v2, v2, v94
	s_delay_alu instid0(VALU_DEP_1) | instskip(NEXT) | instid1(VALU_DEP_1)
	v_lshlrev_b64_e32 v[40:41], 3, v[2:3]
	v_add_co_u32 v40, vcc_lo, s44, v40
	s_wait_alu 0xfffd
	s_delay_alu instid0(VALU_DEP_2)
	v_add_co_ci_u32_e64 v41, null, s45, v41, vcc_lo
	s_wait_dscnt 0x0
	global_store_b64 v[40:41], v[38:39], off
	s_wait_alu 0xfffe
	s_or_b32 exec_lo, exec_lo, s15
	s_and_saveexec_b32 s15, s29
	s_cbranch_execnz .LBB842_834
	s_branch .LBB842_835
.LBB842_898:                            ;   in Loop: Header=BB842_20 Depth=1
	s_wait_loadcnt_dscnt 0x0
	s_barrier_signal -1
	s_mov_b32 s0, 0
	s_barrier_wait -1
.LBB842_899:                            ;   in Loop: Header=BB842_20 Depth=1
	s_wait_alu 0xfffe
	s_and_b32 vcc_lo, exec_lo, s0
	s_wait_alu 0xfffe
	s_cbranch_vccz .LBB842_19
; %bb.900:                              ;   in Loop: Header=BB842_20 Depth=1
	s_mov_b32 s8, s53
	s_mov_b32 s34, s33
	s_barrier_signal -1
	s_barrier_wait -1
	global_inv scope:SCOPE_SE
                                        ; implicit-def: $vgpr6_vgpr7
                                        ; implicit-def: $vgpr8_vgpr9
                                        ; implicit-def: $vgpr10_vgpr11
                                        ; implicit-def: $vgpr12_vgpr13
                                        ; implicit-def: $vgpr14_vgpr15
                                        ; implicit-def: $vgpr16_vgpr17
                                        ; implicit-def: $vgpr18_vgpr19
                                        ; implicit-def: $vgpr20_vgpr21
                                        ; implicit-def: $vgpr22_vgpr23
                                        ; implicit-def: $vgpr24_vgpr25
                                        ; implicit-def: $vgpr26_vgpr27
                                        ; implicit-def: $vgpr28_vgpr29
                                        ; implicit-def: $vgpr30_vgpr31
                                        ; implicit-def: $vgpr32_vgpr33
                                        ; implicit-def: $vgpr34_vgpr35
                                        ; implicit-def: $vgpr36_vgpr37
	s_branch .LBB842_902
.LBB842_901:                            ;   in Loop: Header=BB842_902 Depth=2
	s_wait_alu 0xfffe
	s_or_b32 exec_lo, exec_lo, s0
	s_addk_co_i32 s8, 0xf000
	s_cmp_ge_u32 s9, s51
	s_mov_b32 s34, s9
	s_cbranch_scc1 .LBB842_970
.LBB842_902:                            ;   Parent Loop BB842_20 Depth=1
                                        ; =>  This Inner Loop Header: Depth=2
	s_wait_alu 0xfffe
	s_add_co_i32 s9, s34, 0x1000
	s_mov_b32 s0, -1
	s_wait_alu 0xfffe
	s_cmp_gt_u32 s9, s51
                                        ; implicit-def: $vgpr38_vgpr39
                                        ; implicit-def: $vgpr40_vgpr41
                                        ; implicit-def: $vgpr42_vgpr43
                                        ; implicit-def: $vgpr44_vgpr45
                                        ; implicit-def: $vgpr46_vgpr47
                                        ; implicit-def: $vgpr48_vgpr49
                                        ; implicit-def: $vgpr50_vgpr51
                                        ; implicit-def: $vgpr52_vgpr53
                                        ; implicit-def: $vgpr54_vgpr55
                                        ; implicit-def: $vgpr56_vgpr57
                                        ; implicit-def: $vgpr58_vgpr59
                                        ; implicit-def: $vgpr60_vgpr61
                                        ; implicit-def: $vgpr62_vgpr63
                                        ; implicit-def: $vgpr64_vgpr65
                                        ; implicit-def: $vgpr66_vgpr67
                                        ; implicit-def: $vgpr68_vgpr69
	s_cbranch_scc1 .LBB842_904
; %bb.903:                              ;   in Loop: Header=BB842_902 Depth=2
	s_lshl_b64 s[0:1], s[34:35], 3
	s_wait_alu 0xfffe
	v_add_co_u32 v68, vcc_lo, v117, s0
	s_wait_alu 0xfffd
	v_add_co_ci_u32_e64 v69, null, s1, v118, vcc_lo
	s_mov_b32 s0, 0
	s_clause 0xf
	global_load_b64 v[38:39], v[68:69], off
	global_load_b64 v[40:41], v[68:69], off offset:2048
	global_load_b64 v[42:43], v[68:69], off offset:4096
	;; [unrolled: 1-line block ×15, first 2 shown]
.LBB842_904:                            ;   in Loop: Header=BB842_902 Depth=2
	s_wait_alu 0xfffe
	s_and_not1_b32 vcc_lo, exec_lo, s0
	s_movk_i32 s0, 0x1000
	s_wait_alu 0xfffe
	s_cbranch_vccnz .LBB842_923
; %bb.905:                              ;   in Loop: Header=BB842_902 Depth=2
	s_lshl_b64 s[0:1], s[34:35], 3
	s_mov_b32 s10, exec_lo
	s_wait_alu 0xfffe
	s_add_nc_u64 s[0:1], s[36:37], s[0:1]
	v_cmpx_gt_u32_e64 s8, v1
	s_cbranch_execnz .LBB842_955
; %bb.906:                              ;   in Loop: Header=BB842_902 Depth=2
	s_or_b32 exec_lo, exec_lo, s10
	s_delay_alu instid0(SALU_CYCLE_1)
	s_mov_b32 s10, exec_lo
	v_cmpx_gt_u32_e64 s8, v79
	s_cbranch_execnz .LBB842_956
.LBB842_907:                            ;   in Loop: Header=BB842_902 Depth=2
	s_wait_alu 0xfffe
	s_or_b32 exec_lo, exec_lo, s10
	s_delay_alu instid0(SALU_CYCLE_1)
	s_mov_b32 s10, exec_lo
	v_cmpx_gt_u32_e64 s8, v80
	s_cbranch_execnz .LBB842_957
.LBB842_908:                            ;   in Loop: Header=BB842_902 Depth=2
	s_wait_alu 0xfffe
	s_or_b32 exec_lo, exec_lo, s10
	s_delay_alu instid0(SALU_CYCLE_1)
	s_mov_b32 s10, exec_lo
	v_cmpx_gt_u32_e64 s8, v81
	s_cbranch_execnz .LBB842_958
.LBB842_909:                            ;   in Loop: Header=BB842_902 Depth=2
	s_wait_alu 0xfffe
	s_or_b32 exec_lo, exec_lo, s10
	s_delay_alu instid0(SALU_CYCLE_1)
	s_mov_b32 s10, exec_lo
	v_cmpx_gt_u32_e64 s8, v84
	s_cbranch_execnz .LBB842_959
.LBB842_910:                            ;   in Loop: Header=BB842_902 Depth=2
	s_wait_alu 0xfffe
	s_or_b32 exec_lo, exec_lo, s10
	s_delay_alu instid0(SALU_CYCLE_1)
	s_mov_b32 s10, exec_lo
	v_cmpx_gt_u32_e64 s8, v85
	s_cbranch_execnz .LBB842_960
.LBB842_911:                            ;   in Loop: Header=BB842_902 Depth=2
	s_wait_alu 0xfffe
	s_or_b32 exec_lo, exec_lo, s10
	s_delay_alu instid0(SALU_CYCLE_1)
	s_mov_b32 s10, exec_lo
	v_cmpx_gt_u32_e64 s8, v86
	s_cbranch_execnz .LBB842_961
.LBB842_912:                            ;   in Loop: Header=BB842_902 Depth=2
	s_wait_alu 0xfffe
	s_or_b32 exec_lo, exec_lo, s10
	s_delay_alu instid0(SALU_CYCLE_1)
	s_mov_b32 s10, exec_lo
	v_cmpx_gt_u32_e64 s8, v87
	s_cbranch_execnz .LBB842_962
.LBB842_913:                            ;   in Loop: Header=BB842_902 Depth=2
	s_wait_alu 0xfffe
	s_or_b32 exec_lo, exec_lo, s10
	s_delay_alu instid0(SALU_CYCLE_1)
	s_mov_b32 s10, exec_lo
	v_cmpx_gt_u32_e64 s8, v88
	s_cbranch_execnz .LBB842_963
.LBB842_914:                            ;   in Loop: Header=BB842_902 Depth=2
	s_wait_alu 0xfffe
	s_or_b32 exec_lo, exec_lo, s10
	s_delay_alu instid0(SALU_CYCLE_1)
	s_mov_b32 s10, exec_lo
	v_cmpx_gt_u32_e64 s8, v89
	s_cbranch_execnz .LBB842_964
.LBB842_915:                            ;   in Loop: Header=BB842_902 Depth=2
	s_wait_alu 0xfffe
	s_or_b32 exec_lo, exec_lo, s10
	s_delay_alu instid0(SALU_CYCLE_1)
	s_mov_b32 s10, exec_lo
	v_cmpx_gt_u32_e64 s8, v90
	s_cbranch_execnz .LBB842_965
.LBB842_916:                            ;   in Loop: Header=BB842_902 Depth=2
	s_wait_alu 0xfffe
	s_or_b32 exec_lo, exec_lo, s10
	s_delay_alu instid0(SALU_CYCLE_1)
	s_mov_b32 s10, exec_lo
	v_cmpx_gt_u32_e64 s8, v91
	s_cbranch_execnz .LBB842_966
.LBB842_917:                            ;   in Loop: Header=BB842_902 Depth=2
	s_wait_alu 0xfffe
	s_or_b32 exec_lo, exec_lo, s10
	s_delay_alu instid0(SALU_CYCLE_1)
	s_mov_b32 s10, exec_lo
	v_cmpx_gt_u32_e64 s8, v92
	s_cbranch_execnz .LBB842_967
.LBB842_918:                            ;   in Loop: Header=BB842_902 Depth=2
	s_wait_alu 0xfffe
	s_or_b32 exec_lo, exec_lo, s10
	s_delay_alu instid0(SALU_CYCLE_1)
	s_mov_b32 s10, exec_lo
	v_cmpx_gt_u32_e64 s8, v93
	s_cbranch_execnz .LBB842_968
.LBB842_919:                            ;   in Loop: Header=BB842_902 Depth=2
	s_wait_alu 0xfffe
	s_or_b32 exec_lo, exec_lo, s10
	s_delay_alu instid0(SALU_CYCLE_1)
	s_mov_b32 s10, exec_lo
	v_cmpx_gt_u32_e64 s8, v94
	s_cbranch_execnz .LBB842_969
.LBB842_920:                            ;   in Loop: Header=BB842_902 Depth=2
	s_wait_alu 0xfffe
	s_or_b32 exec_lo, exec_lo, s10
	s_delay_alu instid0(SALU_CYCLE_1)
	s_mov_b32 s10, exec_lo
	v_cmpx_gt_u32_e64 s8, v95
	s_cbranch_execz .LBB842_922
.LBB842_921:                            ;   in Loop: Header=BB842_902 Depth=2
	global_load_b64 v[6:7], v124, s[0:1] offset:30720
.LBB842_922:                            ;   in Loop: Header=BB842_902 Depth=2
	s_wait_alu 0xfffe
	s_or_b32 exec_lo, exec_lo, s10
	s_wait_loadcnt 0x0
	v_dual_mov_b32 v39, v37 :: v_dual_mov_b32 v38, v36
	v_dual_mov_b32 v41, v35 :: v_dual_mov_b32 v40, v34
	;; [unrolled: 1-line block ×16, first 2 shown]
	s_mov_b32 s0, s8
.LBB842_923:                            ;   in Loop: Header=BB842_902 Depth=2
	s_wait_loadcnt 0x0
	s_delay_alu instid0(VALU_DEP_1)
	v_dual_mov_b32 v6, v68 :: v_dual_mov_b32 v7, v69
	v_dual_mov_b32 v8, v66 :: v_dual_mov_b32 v9, v67
	;; [unrolled: 1-line block ×16, first 2 shown]
	s_mov_b32 s1, exec_lo
	s_wait_alu 0xfffe
	v_cmpx_gt_u32_e64 s0, v1
	s_cbranch_execnz .LBB842_939
; %bb.924:                              ;   in Loop: Header=BB842_902 Depth=2
	s_or_b32 exec_lo, exec_lo, s1
	s_delay_alu instid0(SALU_CYCLE_1)
	s_mov_b32 s1, exec_lo
	v_cmpx_gt_u32_e64 s0, v79
	s_cbranch_execnz .LBB842_940
.LBB842_925:                            ;   in Loop: Header=BB842_902 Depth=2
	s_wait_alu 0xfffe
	s_or_b32 exec_lo, exec_lo, s1
	s_delay_alu instid0(SALU_CYCLE_1)
	s_mov_b32 s1, exec_lo
	v_cmpx_gt_u32_e64 s0, v80
	s_cbranch_execnz .LBB842_941
.LBB842_926:                            ;   in Loop: Header=BB842_902 Depth=2
	s_wait_alu 0xfffe
	s_or_b32 exec_lo, exec_lo, s1
	s_delay_alu instid0(SALU_CYCLE_1)
	s_mov_b32 s1, exec_lo
	v_cmpx_gt_u32_e64 s0, v81
	s_cbranch_execnz .LBB842_942
.LBB842_927:                            ;   in Loop: Header=BB842_902 Depth=2
	s_wait_alu 0xfffe
	s_or_b32 exec_lo, exec_lo, s1
	s_delay_alu instid0(SALU_CYCLE_1)
	s_mov_b32 s1, exec_lo
	v_cmpx_gt_u32_e64 s0, v84
	s_cbranch_execnz .LBB842_943
.LBB842_928:                            ;   in Loop: Header=BB842_902 Depth=2
	s_wait_alu 0xfffe
	s_or_b32 exec_lo, exec_lo, s1
	s_delay_alu instid0(SALU_CYCLE_1)
	s_mov_b32 s1, exec_lo
	v_cmpx_gt_u32_e64 s0, v85
	s_cbranch_execnz .LBB842_944
.LBB842_929:                            ;   in Loop: Header=BB842_902 Depth=2
	s_wait_alu 0xfffe
	s_or_b32 exec_lo, exec_lo, s1
	s_delay_alu instid0(SALU_CYCLE_1)
	s_mov_b32 s1, exec_lo
	v_cmpx_gt_u32_e64 s0, v86
	s_cbranch_execnz .LBB842_945
.LBB842_930:                            ;   in Loop: Header=BB842_902 Depth=2
	s_wait_alu 0xfffe
	s_or_b32 exec_lo, exec_lo, s1
	s_delay_alu instid0(SALU_CYCLE_1)
	s_mov_b32 s1, exec_lo
	v_cmpx_gt_u32_e64 s0, v87
	s_cbranch_execnz .LBB842_946
.LBB842_931:                            ;   in Loop: Header=BB842_902 Depth=2
	s_wait_alu 0xfffe
	s_or_b32 exec_lo, exec_lo, s1
	s_delay_alu instid0(SALU_CYCLE_1)
	s_mov_b32 s1, exec_lo
	v_cmpx_gt_u32_e64 s0, v88
	s_cbranch_execnz .LBB842_947
.LBB842_932:                            ;   in Loop: Header=BB842_902 Depth=2
	s_wait_alu 0xfffe
	s_or_b32 exec_lo, exec_lo, s1
	s_delay_alu instid0(SALU_CYCLE_1)
	s_mov_b32 s1, exec_lo
	v_cmpx_gt_u32_e64 s0, v89
	s_cbranch_execnz .LBB842_948
.LBB842_933:                            ;   in Loop: Header=BB842_902 Depth=2
	s_wait_alu 0xfffe
	s_or_b32 exec_lo, exec_lo, s1
	s_delay_alu instid0(SALU_CYCLE_1)
	s_mov_b32 s1, exec_lo
	v_cmpx_gt_u32_e64 s0, v90
	s_cbranch_execnz .LBB842_949
.LBB842_934:                            ;   in Loop: Header=BB842_902 Depth=2
	s_wait_alu 0xfffe
	s_or_b32 exec_lo, exec_lo, s1
	s_delay_alu instid0(SALU_CYCLE_1)
	s_mov_b32 s1, exec_lo
	v_cmpx_gt_u32_e64 s0, v91
	s_cbranch_execnz .LBB842_950
.LBB842_935:                            ;   in Loop: Header=BB842_902 Depth=2
	s_wait_alu 0xfffe
	s_or_b32 exec_lo, exec_lo, s1
	s_delay_alu instid0(SALU_CYCLE_1)
	s_mov_b32 s1, exec_lo
	v_cmpx_gt_u32_e64 s0, v92
	s_cbranch_execnz .LBB842_951
.LBB842_936:                            ;   in Loop: Header=BB842_902 Depth=2
	s_wait_alu 0xfffe
	s_or_b32 exec_lo, exec_lo, s1
	s_delay_alu instid0(SALU_CYCLE_1)
	s_mov_b32 s1, exec_lo
	v_cmpx_gt_u32_e64 s0, v93
	s_cbranch_execnz .LBB842_952
.LBB842_937:                            ;   in Loop: Header=BB842_902 Depth=2
	s_wait_alu 0xfffe
	s_or_b32 exec_lo, exec_lo, s1
	s_delay_alu instid0(SALU_CYCLE_1)
	s_mov_b32 s1, exec_lo
	v_cmpx_gt_u32_e64 s0, v94
	s_cbranch_execnz .LBB842_953
.LBB842_938:                            ;   in Loop: Header=BB842_902 Depth=2
	s_wait_alu 0xfffe
	s_or_b32 exec_lo, exec_lo, s1
	v_cmp_gt_u32_e32 vcc_lo, s0, v95
	s_and_saveexec_b32 s0, vcc_lo
	s_cbranch_execz .LBB842_901
	s_branch .LBB842_954
.LBB842_939:                            ;   in Loop: Header=BB842_902 Depth=2
	v_xor_b32_e32 v39, 0x80000000, v37
	v_mov_b32_e32 v38, v36
	s_delay_alu instid0(VALU_DEP_1) | instskip(NEXT) | instid1(VALU_DEP_1)
	v_lshrrev_b64 v[38:39], s31, v[38:39]
	v_and_b32_e32 v2, s54, v38
	s_delay_alu instid0(VALU_DEP_1) | instskip(SKIP_2) | instid1(SALU_CYCLE_1)
	v_lshl_or_b32 v2, v2, 4, v96
	ds_add_u32 v2, v123
	s_or_b32 exec_lo, exec_lo, s1
	s_mov_b32 s1, exec_lo
	v_cmpx_gt_u32_e64 s0, v79
	s_cbranch_execz .LBB842_925
.LBB842_940:                            ;   in Loop: Header=BB842_902 Depth=2
	v_xor_b32_e32 v39, 0x80000000, v35
	v_mov_b32_e32 v38, v34
	s_delay_alu instid0(VALU_DEP_1) | instskip(NEXT) | instid1(VALU_DEP_1)
	v_lshrrev_b64 v[38:39], s31, v[38:39]
	v_and_b32_e32 v2, s54, v38
	s_delay_alu instid0(VALU_DEP_1) | instskip(SKIP_3) | instid1(SALU_CYCLE_1)
	v_lshl_or_b32 v2, v2, 4, v96
	ds_add_u32 v2, v123
	s_wait_alu 0xfffe
	s_or_b32 exec_lo, exec_lo, s1
	s_mov_b32 s1, exec_lo
	v_cmpx_gt_u32_e64 s0, v80
	s_cbranch_execz .LBB842_926
.LBB842_941:                            ;   in Loop: Header=BB842_902 Depth=2
	v_xor_b32_e32 v39, 0x80000000, v33
	v_mov_b32_e32 v38, v32
	s_delay_alu instid0(VALU_DEP_1) | instskip(NEXT) | instid1(VALU_DEP_1)
	v_lshrrev_b64 v[38:39], s31, v[38:39]
	v_and_b32_e32 v2, s54, v38
	s_delay_alu instid0(VALU_DEP_1) | instskip(SKIP_3) | instid1(SALU_CYCLE_1)
	v_lshl_or_b32 v2, v2, 4, v96
	ds_add_u32 v2, v123
	s_wait_alu 0xfffe
	s_or_b32 exec_lo, exec_lo, s1
	s_mov_b32 s1, exec_lo
	v_cmpx_gt_u32_e64 s0, v81
	s_cbranch_execz .LBB842_927
.LBB842_942:                            ;   in Loop: Header=BB842_902 Depth=2
	v_xor_b32_e32 v39, 0x80000000, v31
	v_mov_b32_e32 v38, v30
	s_delay_alu instid0(VALU_DEP_1) | instskip(NEXT) | instid1(VALU_DEP_1)
	v_lshrrev_b64 v[38:39], s31, v[38:39]
	v_and_b32_e32 v2, s54, v38
	s_delay_alu instid0(VALU_DEP_1) | instskip(SKIP_3) | instid1(SALU_CYCLE_1)
	v_lshl_or_b32 v2, v2, 4, v96
	ds_add_u32 v2, v123
	s_wait_alu 0xfffe
	s_or_b32 exec_lo, exec_lo, s1
	s_mov_b32 s1, exec_lo
	v_cmpx_gt_u32_e64 s0, v84
	s_cbranch_execz .LBB842_928
.LBB842_943:                            ;   in Loop: Header=BB842_902 Depth=2
	v_xor_b32_e32 v39, 0x80000000, v29
	v_mov_b32_e32 v38, v28
	s_delay_alu instid0(VALU_DEP_1) | instskip(NEXT) | instid1(VALU_DEP_1)
	v_lshrrev_b64 v[38:39], s31, v[38:39]
	v_and_b32_e32 v2, s54, v38
	s_delay_alu instid0(VALU_DEP_1) | instskip(SKIP_3) | instid1(SALU_CYCLE_1)
	v_lshl_or_b32 v2, v2, 4, v96
	ds_add_u32 v2, v123
	s_wait_alu 0xfffe
	s_or_b32 exec_lo, exec_lo, s1
	s_mov_b32 s1, exec_lo
	v_cmpx_gt_u32_e64 s0, v85
	s_cbranch_execz .LBB842_929
.LBB842_944:                            ;   in Loop: Header=BB842_902 Depth=2
	v_xor_b32_e32 v39, 0x80000000, v27
	v_mov_b32_e32 v38, v26
	s_delay_alu instid0(VALU_DEP_1) | instskip(NEXT) | instid1(VALU_DEP_1)
	v_lshrrev_b64 v[38:39], s31, v[38:39]
	v_and_b32_e32 v2, s54, v38
	s_delay_alu instid0(VALU_DEP_1) | instskip(SKIP_3) | instid1(SALU_CYCLE_1)
	v_lshl_or_b32 v2, v2, 4, v96
	ds_add_u32 v2, v123
	s_wait_alu 0xfffe
	s_or_b32 exec_lo, exec_lo, s1
	s_mov_b32 s1, exec_lo
	v_cmpx_gt_u32_e64 s0, v86
	s_cbranch_execz .LBB842_930
.LBB842_945:                            ;   in Loop: Header=BB842_902 Depth=2
	v_xor_b32_e32 v39, 0x80000000, v25
	v_mov_b32_e32 v38, v24
	s_delay_alu instid0(VALU_DEP_1) | instskip(NEXT) | instid1(VALU_DEP_1)
	v_lshrrev_b64 v[38:39], s31, v[38:39]
	v_and_b32_e32 v2, s54, v38
	s_delay_alu instid0(VALU_DEP_1) | instskip(SKIP_3) | instid1(SALU_CYCLE_1)
	v_lshl_or_b32 v2, v2, 4, v96
	ds_add_u32 v2, v123
	s_wait_alu 0xfffe
	s_or_b32 exec_lo, exec_lo, s1
	s_mov_b32 s1, exec_lo
	v_cmpx_gt_u32_e64 s0, v87
	s_cbranch_execz .LBB842_931
.LBB842_946:                            ;   in Loop: Header=BB842_902 Depth=2
	v_xor_b32_e32 v39, 0x80000000, v23
	v_mov_b32_e32 v38, v22
	s_delay_alu instid0(VALU_DEP_1) | instskip(NEXT) | instid1(VALU_DEP_1)
	v_lshrrev_b64 v[38:39], s31, v[38:39]
	v_and_b32_e32 v2, s54, v38
	s_delay_alu instid0(VALU_DEP_1) | instskip(SKIP_3) | instid1(SALU_CYCLE_1)
	v_lshl_or_b32 v2, v2, 4, v96
	ds_add_u32 v2, v123
	s_wait_alu 0xfffe
	s_or_b32 exec_lo, exec_lo, s1
	s_mov_b32 s1, exec_lo
	v_cmpx_gt_u32_e64 s0, v88
	s_cbranch_execz .LBB842_932
.LBB842_947:                            ;   in Loop: Header=BB842_902 Depth=2
	v_xor_b32_e32 v39, 0x80000000, v21
	v_mov_b32_e32 v38, v20
	s_delay_alu instid0(VALU_DEP_1) | instskip(NEXT) | instid1(VALU_DEP_1)
	v_lshrrev_b64 v[38:39], s31, v[38:39]
	v_and_b32_e32 v2, s54, v38
	s_delay_alu instid0(VALU_DEP_1) | instskip(SKIP_3) | instid1(SALU_CYCLE_1)
	v_lshl_or_b32 v2, v2, 4, v96
	ds_add_u32 v2, v123
	s_wait_alu 0xfffe
	s_or_b32 exec_lo, exec_lo, s1
	s_mov_b32 s1, exec_lo
	v_cmpx_gt_u32_e64 s0, v89
	s_cbranch_execz .LBB842_933
.LBB842_948:                            ;   in Loop: Header=BB842_902 Depth=2
	v_xor_b32_e32 v39, 0x80000000, v19
	v_mov_b32_e32 v38, v18
	s_delay_alu instid0(VALU_DEP_1) | instskip(NEXT) | instid1(VALU_DEP_1)
	v_lshrrev_b64 v[38:39], s31, v[38:39]
	v_and_b32_e32 v2, s54, v38
	s_delay_alu instid0(VALU_DEP_1) | instskip(SKIP_3) | instid1(SALU_CYCLE_1)
	v_lshl_or_b32 v2, v2, 4, v96
	ds_add_u32 v2, v123
	s_wait_alu 0xfffe
	s_or_b32 exec_lo, exec_lo, s1
	s_mov_b32 s1, exec_lo
	v_cmpx_gt_u32_e64 s0, v90
	s_cbranch_execz .LBB842_934
.LBB842_949:                            ;   in Loop: Header=BB842_902 Depth=2
	v_xor_b32_e32 v39, 0x80000000, v17
	v_mov_b32_e32 v38, v16
	s_delay_alu instid0(VALU_DEP_1) | instskip(NEXT) | instid1(VALU_DEP_1)
	v_lshrrev_b64 v[38:39], s31, v[38:39]
	v_and_b32_e32 v2, s54, v38
	s_delay_alu instid0(VALU_DEP_1) | instskip(SKIP_3) | instid1(SALU_CYCLE_1)
	v_lshl_or_b32 v2, v2, 4, v96
	ds_add_u32 v2, v123
	s_wait_alu 0xfffe
	s_or_b32 exec_lo, exec_lo, s1
	s_mov_b32 s1, exec_lo
	v_cmpx_gt_u32_e64 s0, v91
	s_cbranch_execz .LBB842_935
.LBB842_950:                            ;   in Loop: Header=BB842_902 Depth=2
	v_xor_b32_e32 v39, 0x80000000, v15
	v_mov_b32_e32 v38, v14
	s_delay_alu instid0(VALU_DEP_1) | instskip(NEXT) | instid1(VALU_DEP_1)
	v_lshrrev_b64 v[38:39], s31, v[38:39]
	v_and_b32_e32 v2, s54, v38
	s_delay_alu instid0(VALU_DEP_1) | instskip(SKIP_3) | instid1(SALU_CYCLE_1)
	v_lshl_or_b32 v2, v2, 4, v96
	ds_add_u32 v2, v123
	s_wait_alu 0xfffe
	s_or_b32 exec_lo, exec_lo, s1
	s_mov_b32 s1, exec_lo
	v_cmpx_gt_u32_e64 s0, v92
	s_cbranch_execz .LBB842_936
.LBB842_951:                            ;   in Loop: Header=BB842_902 Depth=2
	v_xor_b32_e32 v39, 0x80000000, v13
	v_mov_b32_e32 v38, v12
	s_delay_alu instid0(VALU_DEP_1) | instskip(NEXT) | instid1(VALU_DEP_1)
	v_lshrrev_b64 v[38:39], s31, v[38:39]
	v_and_b32_e32 v2, s54, v38
	s_delay_alu instid0(VALU_DEP_1) | instskip(SKIP_3) | instid1(SALU_CYCLE_1)
	v_lshl_or_b32 v2, v2, 4, v96
	ds_add_u32 v2, v123
	s_wait_alu 0xfffe
	s_or_b32 exec_lo, exec_lo, s1
	s_mov_b32 s1, exec_lo
	v_cmpx_gt_u32_e64 s0, v93
	s_cbranch_execz .LBB842_937
.LBB842_952:                            ;   in Loop: Header=BB842_902 Depth=2
	v_xor_b32_e32 v39, 0x80000000, v11
	v_mov_b32_e32 v38, v10
	s_delay_alu instid0(VALU_DEP_1) | instskip(NEXT) | instid1(VALU_DEP_1)
	v_lshrrev_b64 v[38:39], s31, v[38:39]
	v_and_b32_e32 v2, s54, v38
	s_delay_alu instid0(VALU_DEP_1) | instskip(SKIP_3) | instid1(SALU_CYCLE_1)
	v_lshl_or_b32 v2, v2, 4, v96
	ds_add_u32 v2, v123
	s_wait_alu 0xfffe
	s_or_b32 exec_lo, exec_lo, s1
	s_mov_b32 s1, exec_lo
	v_cmpx_gt_u32_e64 s0, v94
	s_cbranch_execz .LBB842_938
.LBB842_953:                            ;   in Loop: Header=BB842_902 Depth=2
	v_xor_b32_e32 v39, 0x80000000, v9
	v_mov_b32_e32 v38, v8
	s_delay_alu instid0(VALU_DEP_1) | instskip(NEXT) | instid1(VALU_DEP_1)
	v_lshrrev_b64 v[38:39], s31, v[38:39]
	v_and_b32_e32 v2, s54, v38
	s_delay_alu instid0(VALU_DEP_1)
	v_lshl_or_b32 v2, v2, 4, v96
	ds_add_u32 v2, v123
	s_wait_alu 0xfffe
	s_or_b32 exec_lo, exec_lo, s1
	v_cmp_gt_u32_e32 vcc_lo, s0, v95
	s_and_saveexec_b32 s0, vcc_lo
	s_cbranch_execz .LBB842_901
.LBB842_954:                            ;   in Loop: Header=BB842_902 Depth=2
	v_xor_b32_e32 v39, 0x80000000, v7
	v_mov_b32_e32 v38, v6
	s_delay_alu instid0(VALU_DEP_1) | instskip(NEXT) | instid1(VALU_DEP_1)
	v_lshrrev_b64 v[38:39], s31, v[38:39]
	v_and_b32_e32 v2, s54, v38
	s_delay_alu instid0(VALU_DEP_1)
	v_lshl_or_b32 v2, v2, 4, v96
	ds_add_u32 v2, v123
	s_branch .LBB842_901
.LBB842_955:                            ;   in Loop: Header=BB842_902 Depth=2
	global_load_b64 v[36:37], v124, s[0:1]
	s_or_b32 exec_lo, exec_lo, s10
	s_delay_alu instid0(SALU_CYCLE_1)
	s_mov_b32 s10, exec_lo
	v_cmpx_gt_u32_e64 s8, v79
	s_cbranch_execz .LBB842_907
.LBB842_956:                            ;   in Loop: Header=BB842_902 Depth=2
	global_load_b64 v[34:35], v124, s[0:1] offset:2048
	s_wait_alu 0xfffe
	s_or_b32 exec_lo, exec_lo, s10
	s_delay_alu instid0(SALU_CYCLE_1)
	s_mov_b32 s10, exec_lo
	v_cmpx_gt_u32_e64 s8, v80
	s_cbranch_execz .LBB842_908
.LBB842_957:                            ;   in Loop: Header=BB842_902 Depth=2
	global_load_b64 v[32:33], v124, s[0:1] offset:4096
	s_wait_alu 0xfffe
	s_or_b32 exec_lo, exec_lo, s10
	s_delay_alu instid0(SALU_CYCLE_1)
	s_mov_b32 s10, exec_lo
	v_cmpx_gt_u32_e64 s8, v81
	s_cbranch_execz .LBB842_909
.LBB842_958:                            ;   in Loop: Header=BB842_902 Depth=2
	global_load_b64 v[30:31], v124, s[0:1] offset:6144
	s_wait_alu 0xfffe
	s_or_b32 exec_lo, exec_lo, s10
	s_delay_alu instid0(SALU_CYCLE_1)
	s_mov_b32 s10, exec_lo
	v_cmpx_gt_u32_e64 s8, v84
	s_cbranch_execz .LBB842_910
.LBB842_959:                            ;   in Loop: Header=BB842_902 Depth=2
	global_load_b64 v[28:29], v124, s[0:1] offset:8192
	s_wait_alu 0xfffe
	s_or_b32 exec_lo, exec_lo, s10
	s_delay_alu instid0(SALU_CYCLE_1)
	s_mov_b32 s10, exec_lo
	v_cmpx_gt_u32_e64 s8, v85
	s_cbranch_execz .LBB842_911
.LBB842_960:                            ;   in Loop: Header=BB842_902 Depth=2
	global_load_b64 v[26:27], v124, s[0:1] offset:10240
	s_wait_alu 0xfffe
	s_or_b32 exec_lo, exec_lo, s10
	s_delay_alu instid0(SALU_CYCLE_1)
	s_mov_b32 s10, exec_lo
	v_cmpx_gt_u32_e64 s8, v86
	s_cbranch_execz .LBB842_912
.LBB842_961:                            ;   in Loop: Header=BB842_902 Depth=2
	global_load_b64 v[24:25], v124, s[0:1] offset:12288
	s_wait_alu 0xfffe
	s_or_b32 exec_lo, exec_lo, s10
	s_delay_alu instid0(SALU_CYCLE_1)
	s_mov_b32 s10, exec_lo
	v_cmpx_gt_u32_e64 s8, v87
	s_cbranch_execz .LBB842_913
.LBB842_962:                            ;   in Loop: Header=BB842_902 Depth=2
	global_load_b64 v[22:23], v124, s[0:1] offset:14336
	s_wait_alu 0xfffe
	s_or_b32 exec_lo, exec_lo, s10
	s_delay_alu instid0(SALU_CYCLE_1)
	s_mov_b32 s10, exec_lo
	v_cmpx_gt_u32_e64 s8, v88
	s_cbranch_execz .LBB842_914
.LBB842_963:                            ;   in Loop: Header=BB842_902 Depth=2
	global_load_b64 v[20:21], v124, s[0:1] offset:16384
	s_wait_alu 0xfffe
	s_or_b32 exec_lo, exec_lo, s10
	s_delay_alu instid0(SALU_CYCLE_1)
	s_mov_b32 s10, exec_lo
	v_cmpx_gt_u32_e64 s8, v89
	s_cbranch_execz .LBB842_915
.LBB842_964:                            ;   in Loop: Header=BB842_902 Depth=2
	global_load_b64 v[18:19], v124, s[0:1] offset:18432
	s_wait_alu 0xfffe
	s_or_b32 exec_lo, exec_lo, s10
	s_delay_alu instid0(SALU_CYCLE_1)
	s_mov_b32 s10, exec_lo
	v_cmpx_gt_u32_e64 s8, v90
	s_cbranch_execz .LBB842_916
.LBB842_965:                            ;   in Loop: Header=BB842_902 Depth=2
	global_load_b64 v[16:17], v124, s[0:1] offset:20480
	s_wait_alu 0xfffe
	s_or_b32 exec_lo, exec_lo, s10
	s_delay_alu instid0(SALU_CYCLE_1)
	s_mov_b32 s10, exec_lo
	v_cmpx_gt_u32_e64 s8, v91
	s_cbranch_execz .LBB842_917
.LBB842_966:                            ;   in Loop: Header=BB842_902 Depth=2
	global_load_b64 v[14:15], v124, s[0:1] offset:22528
	s_wait_alu 0xfffe
	s_or_b32 exec_lo, exec_lo, s10
	s_delay_alu instid0(SALU_CYCLE_1)
	s_mov_b32 s10, exec_lo
	v_cmpx_gt_u32_e64 s8, v92
	s_cbranch_execz .LBB842_918
.LBB842_967:                            ;   in Loop: Header=BB842_902 Depth=2
	global_load_b64 v[12:13], v124, s[0:1] offset:24576
	s_wait_alu 0xfffe
	s_or_b32 exec_lo, exec_lo, s10
	s_delay_alu instid0(SALU_CYCLE_1)
	s_mov_b32 s10, exec_lo
	v_cmpx_gt_u32_e64 s8, v93
	s_cbranch_execz .LBB842_919
.LBB842_968:                            ;   in Loop: Header=BB842_902 Depth=2
	global_load_b64 v[10:11], v124, s[0:1] offset:26624
	s_wait_alu 0xfffe
	s_or_b32 exec_lo, exec_lo, s10
	s_delay_alu instid0(SALU_CYCLE_1)
	s_mov_b32 s10, exec_lo
	v_cmpx_gt_u32_e64 s8, v94
	s_cbranch_execz .LBB842_920
.LBB842_969:                            ;   in Loop: Header=BB842_902 Depth=2
	global_load_b64 v[8:9], v124, s[0:1] offset:28672
	s_wait_alu 0xfffe
	s_or_b32 exec_lo, exec_lo, s10
	s_delay_alu instid0(SALU_CYCLE_1)
	s_mov_b32 s10, exec_lo
	v_cmpx_gt_u32_e64 s8, v95
	s_cbranch_execnz .LBB842_921
	s_branch .LBB842_922
.LBB842_970:                            ;   in Loop: Header=BB842_20 Depth=1
	v_mov_b32_e32 v2, 0
	s_wait_dscnt 0x0
	s_barrier_signal -1
	s_barrier_wait -1
	global_inv scope:SCOPE_SE
	s_and_saveexec_b32 s0, s2
	s_cbranch_execz .LBB842_972
; %bb.971:                              ;   in Loop: Header=BB842_20 Depth=1
	ds_load_2addr_b64 v[6:9], v98 offset1:1
	s_wait_dscnt 0x0
	v_add_nc_u32_e32 v2, v7, v6
	s_delay_alu instid0(VALU_DEP_1)
	v_add3_u32 v2, v2, v8, v9
.LBB842_972:                            ;   in Loop: Header=BB842_20 Depth=1
	s_wait_alu 0xfffe
	s_or_b32 exec_lo, exec_lo, s0
	v_and_b32_e32 v6, 15, v125
	s_delay_alu instid0(VALU_DEP_2) | instskip(SKIP_1) | instid1(VALU_DEP_3)
	v_mov_b32_dpp v7, v2 row_shr:1 row_mask:0xf bank_mask:0xf
	v_and_b32_e32 v8, 16, v125
	v_cmp_eq_u32_e64 s0, 0, v6
	v_cmp_lt_u32_e64 s1, 1, v6
	v_cmp_lt_u32_e64 s8, 3, v6
	;; [unrolled: 1-line block ×3, first 2 shown]
	v_cmp_eq_u32_e64 s10, 0, v8
	s_wait_alu 0xf1ff
	v_cndmask_b32_e64 v7, v7, 0, s0
	s_delay_alu instid0(VALU_DEP_1) | instskip(NEXT) | instid1(VALU_DEP_1)
	v_add_nc_u32_e32 v2, v7, v2
	v_mov_b32_dpp v7, v2 row_shr:2 row_mask:0xf bank_mask:0xf
	s_delay_alu instid0(VALU_DEP_1) | instskip(NEXT) | instid1(VALU_DEP_1)
	v_cndmask_b32_e64 v7, 0, v7, s1
	v_add_nc_u32_e32 v2, v2, v7
	s_delay_alu instid0(VALU_DEP_1) | instskip(NEXT) | instid1(VALU_DEP_1)
	v_mov_b32_dpp v7, v2 row_shr:4 row_mask:0xf bank_mask:0xf
	v_cndmask_b32_e64 v7, 0, v7, s8
	s_delay_alu instid0(VALU_DEP_1) | instskip(NEXT) | instid1(VALU_DEP_1)
	v_add_nc_u32_e32 v2, v2, v7
	v_mov_b32_dpp v7, v2 row_shr:8 row_mask:0xf bank_mask:0xf
	s_delay_alu instid0(VALU_DEP_1) | instskip(SKIP_1) | instid1(VALU_DEP_2)
	v_cndmask_b32_e64 v6, 0, v7, s9
	v_bfe_i32 v7, v125, 4, 1
	v_add_nc_u32_e32 v2, v2, v6
	ds_swizzle_b32 v6, v2 offset:swizzle(BROADCAST,32,15)
	s_wait_dscnt 0x0
	v_and_b32_e32 v6, v7, v6
	s_delay_alu instid0(VALU_DEP_1)
	v_add_nc_u32_e32 v6, v2, v6
	s_and_saveexec_b32 s11, s3
; %bb.973:                              ;   in Loop: Header=BB842_20 Depth=1
	ds_store_b32 v99, v6
; %bb.974:                              ;   in Loop: Header=BB842_20 Depth=1
	s_wait_alu 0xfffe
	s_or_b32 exec_lo, exec_lo, s11
	v_and_b32_e32 v2, 7, v125
	s_wait_loadcnt_dscnt 0x0
	s_barrier_signal -1
	s_barrier_wait -1
	global_inv scope:SCOPE_SE
	s_and_saveexec_b32 s11, s4
	s_cbranch_execz .LBB842_976
; %bb.975:                              ;   in Loop: Header=BB842_20 Depth=1
	ds_load_b32 v7, v100
	v_cmp_ne_u32_e32 vcc_lo, 0, v2
	s_wait_dscnt 0x0
	v_mov_b32_dpp v8, v7 row_shr:1 row_mask:0xf bank_mask:0xf
	s_wait_alu 0xfffd
	s_delay_alu instid0(VALU_DEP_1) | instskip(SKIP_1) | instid1(VALU_DEP_2)
	v_cndmask_b32_e32 v8, 0, v8, vcc_lo
	v_cmp_lt_u32_e32 vcc_lo, 1, v2
	v_add_nc_u32_e32 v7, v8, v7
	s_delay_alu instid0(VALU_DEP_1) | instskip(SKIP_1) | instid1(VALU_DEP_1)
	v_mov_b32_dpp v8, v7 row_shr:2 row_mask:0xf bank_mask:0xf
	s_wait_alu 0xfffd
	v_cndmask_b32_e32 v8, 0, v8, vcc_lo
	v_cmp_lt_u32_e32 vcc_lo, 3, v2
	s_delay_alu instid0(VALU_DEP_2) | instskip(NEXT) | instid1(VALU_DEP_1)
	v_add_nc_u32_e32 v7, v7, v8
	v_mov_b32_dpp v8, v7 row_shr:4 row_mask:0xf bank_mask:0xf
	s_wait_alu 0xfffd
	s_delay_alu instid0(VALU_DEP_1) | instskip(NEXT) | instid1(VALU_DEP_1)
	v_cndmask_b32_e32 v8, 0, v8, vcc_lo
	v_add_nc_u32_e32 v7, v7, v8
	ds_store_b32 v100, v7
.LBB842_976:                            ;   in Loop: Header=BB842_20 Depth=1
	s_wait_alu 0xfffe
	s_or_b32 exec_lo, exec_lo, s11
	v_mov_b32_e32 v7, 0
	s_wait_loadcnt_dscnt 0x0
	s_barrier_signal -1
	s_barrier_wait -1
	global_inv scope:SCOPE_SE
	s_and_saveexec_b32 s11, s5
; %bb.977:                              ;   in Loop: Header=BB842_20 Depth=1
	ds_load_b32 v7, v103
; %bb.978:                              ;   in Loop: Header=BB842_20 Depth=1
	s_wait_alu 0xfffe
	s_or_b32 exec_lo, exec_lo, s11
	v_sub_co_u32 v8, s11, v125, 1
	s_wait_dscnt 0x0
	v_add_nc_u32_e32 v6, v7, v6
	s_wait_loadcnt 0x0
	s_barrier_signal -1
	v_cmp_gt_i32_e32 vcc_lo, 0, v8
	s_barrier_wait -1
	global_inv scope:SCOPE_SE
	s_wait_alu 0xfffd
	v_cndmask_b32_e32 v8, v8, v125, vcc_lo
	s_delay_alu instid0(VALU_DEP_1)
	v_lshlrev_b32_e32 v126, 2, v8
	ds_bpermute_b32 v6, v126, v6
	s_and_saveexec_b32 s12, s2
	s_cbranch_execz .LBB842_980
; %bb.979:                              ;   in Loop: Header=BB842_20 Depth=1
	s_wait_dscnt 0x0
	v_cndmask_b32_e64 v6, v6, v7, s11
	s_delay_alu instid0(VALU_DEP_1)
	v_add_nc_u32_e32 v6, s33, v6
	ds_store_b32 v78, v6
.LBB842_980:                            ;   in Loop: Header=BB842_20 Depth=1
	s_wait_alu 0xfffe
	s_or_b32 exec_lo, exec_lo, s12
	s_load_b64 s[12:13], s[42:43], 0x0
	v_lshlrev_b32_e32 v8, 3, v125
	v_or_b32_e32 v127, v125, v101
	s_mov_b32 s55, s53
                                        ; implicit-def: $vgpr10_vgpr11
                                        ; implicit-def: $vgpr12_vgpr13
                                        ; implicit-def: $vgpr14_vgpr15
                                        ; implicit-def: $vgpr16_vgpr17
                                        ; implicit-def: $vgpr18_vgpr19
                                        ; implicit-def: $vgpr20_vgpr21
                                        ; implicit-def: $vgpr22_vgpr23
                                        ; implicit-def: $vgpr24_vgpr25
                                        ; implicit-def: $vgpr26_vgpr27
                                        ; implicit-def: $vgpr28_vgpr29
                                        ; implicit-def: $vgpr30_vgpr31
                                        ; implicit-def: $vgpr32_vgpr33
                                        ; implicit-def: $vgpr34_vgpr35
                                        ; implicit-def: $vgpr36_vgpr37
                                        ; implicit-def: $vgpr148
                                        ; implicit-def: $vgpr149
                                        ; implicit-def: $vgpr150
                                        ; implicit-def: $vgpr151
                                        ; implicit-def: $vgpr152
                                        ; implicit-def: $vgpr153
                                        ; implicit-def: $vgpr154
                                        ; implicit-def: $vgpr155
                                        ; implicit-def: $vgpr156
                                        ; implicit-def: $vgpr157
                                        ; implicit-def: $vgpr158
                                        ; implicit-def: $vgpr159
                                        ; implicit-def: $vgpr160
                                        ; implicit-def: $vgpr161
                                        ; implicit-def: $vgpr162
                                        ; implicit-def: $vgpr163
	s_delay_alu instid0(VALU_DEP_2)
	v_add_co_u32 v128, vcc_lo, v119, v8
	s_wait_alu 0xfffd
	v_add_co_ci_u32_e64 v129, null, 0, v120, vcc_lo
	v_add_co_u32 v145, vcc_lo, v121, v8
	v_or_b32_e32 v130, 32, v127
	v_or_b32_e32 v131, 64, v127
	;; [unrolled: 1-line block ×8, first 2 shown]
	s_wait_kmcnt 0x0
	s_cmp_lt_u32 ttmp7, s13
	v_or_b32_e32 v138, 0x120, v127
	s_cselect_b32 s34, 14, 20
	s_cmp_lt_u32 ttmp9, s12
	s_wait_alu 0xfffe
	s_add_nc_u64 s[14:15], s[42:43], s[34:35]
	s_cselect_b32 s34, 12, 18
	s_load_u16 s15, s[14:15], 0x0
	s_add_nc_u64 s[12:13], s[42:43], s[34:35]
	v_or_b32_e32 v139, 0x140, v127
	s_load_u16 s16, s[12:13], 0x0
	v_cmp_eq_u32_e64 s12, 0, v2
	v_cmp_lt_u32_e64 s13, 1, v2
	v_cmp_lt_u32_e64 s14, 3, v2
	v_or_b32_e32 v140, 0x160, v127
	v_or_b32_e32 v141, 0x180, v127
	;; [unrolled: 1-line block ×5, first 2 shown]
	v_add_co_ci_u32_e64 v146, null, 0, v122, vcc_lo
	s_mov_b32 s34, s33
                                        ; implicit-def: $vgpr8_vgpr9
	s_wait_kmcnt 0x0
	v_mad_u32_u24 v2, v104, s15, v0
	s_wait_dscnt 0x0
	s_delay_alu instid0(VALU_DEP_1) | instskip(NEXT) | instid1(VALU_DEP_1)
	v_mad_co_u64_u32 v[6:7], null, v2, s16, v[1:2]
	v_lshrrev_b32_e32 v2, 3, v6
                                        ; implicit-def: $vgpr6_vgpr7
	s_delay_alu instid0(VALU_DEP_1)
	v_and_b32_e32 v147, 0x1ffffffc, v2
	s_branch .LBB842_982
.LBB842_981:                            ;   in Loop: Header=BB842_982 Depth=2
	s_wait_alu 0xfffe
	s_or_b32 exec_lo, exec_lo, s15
	s_addk_co_i32 s55, 0xf000
	s_cmp_lt_u32 s56, s51
	s_mov_b32 s34, s56
	s_cbranch_scc0 .LBB842_18
.LBB842_982:                            ;   Parent Loop BB842_20 Depth=1
                                        ; =>  This Inner Loop Header: Depth=2
	s_wait_alu 0xfffe
	s_add_co_i32 s56, s34, 0x1000
	s_wait_alu 0xfffe
	s_cmp_gt_u32 s56, s51
	s_cbranch_scc1 .LBB842_984
; %bb.983:                              ;   in Loop: Header=BB842_982 Depth=2
	s_lshl_b64 s[16:17], s[34:35], 3
	s_mov_b32 s15, -1
	s_wait_alu 0xfffe
	v_add_co_u32 v66, vcc_lo, v145, s16
	s_wait_alu 0xfffd
	v_add_co_ci_u32_e64 v67, null, s17, v146, vcc_lo
	s_clause 0xe
	global_load_b64 v[40:41], v[66:67], off
	global_load_b64 v[38:39], v[66:67], off offset:256
	global_load_b64 v[42:43], v[66:67], off offset:512
	;; [unrolled: 1-line block ×14, first 2 shown]
	s_movk_i32 s16, 0x1000
	s_cbranch_execz .LBB842_985
	s_branch .LBB842_1016
.LBB842_984:                            ;   in Loop: Header=BB842_982 Depth=2
	s_mov_b32 s15, 0
                                        ; implicit-def: $vgpr40_vgpr41
                                        ; implicit-def: $vgpr38_vgpr39
                                        ; implicit-def: $vgpr42_vgpr43
                                        ; implicit-def: $vgpr44_vgpr45
                                        ; implicit-def: $vgpr46_vgpr47
                                        ; implicit-def: $vgpr50_vgpr51
                                        ; implicit-def: $vgpr48_vgpr49
                                        ; implicit-def: $vgpr52_vgpr53
                                        ; implicit-def: $vgpr54_vgpr55
                                        ; implicit-def: $vgpr56_vgpr57
                                        ; implicit-def: $vgpr60_vgpr61
                                        ; implicit-def: $vgpr58_vgpr59
                                        ; implicit-def: $vgpr62_vgpr63
                                        ; implicit-def: $vgpr64_vgpr65
                                        ; implicit-def: $vgpr66_vgpr67
	s_movk_i32 s16, 0x1000
.LBB842_985:                            ;   in Loop: Header=BB842_982 Depth=2
	s_wait_loadcnt 0xd
	v_dual_mov_b32 v38, v4 :: v_dual_mov_b32 v39, v5
	s_lshl_b64 s[16:17], s[34:35], 3
	s_mov_b32 s15, exec_lo
	s_wait_alu 0xfffe
	v_add_co_u32 v68, vcc_lo, v145, s16
	s_wait_alu 0xfffd
	v_add_co_ci_u32_e64 v69, null, s17, v146, vcc_lo
	v_dual_mov_b32 v41, v39 :: v_dual_mov_b32 v40, v38
	v_cmpx_gt_u32_e64 s55, v127
	s_cbranch_execz .LBB842_987
; %bb.986:                              ;   in Loop: Header=BB842_982 Depth=2
	global_load_b64 v[40:41], v[68:69], off
.LBB842_987:                            ;   in Loop: Header=BB842_982 Depth=2
	s_or_b32 exec_lo, exec_lo, s15
	s_delay_alu instid0(SALU_CYCLE_1)
	s_mov_b32 s15, exec_lo
	v_cmpx_gt_u32_e64 s55, v130
	s_cbranch_execz .LBB842_989
; %bb.988:                              ;   in Loop: Header=BB842_982 Depth=2
	global_load_b64 v[38:39], v[68:69], off offset:256
.LBB842_989:                            ;   in Loop: Header=BB842_982 Depth=2
	s_wait_alu 0xfffe
	s_or_b32 exec_lo, exec_lo, s15
	s_wait_loadcnt 0xc
	v_dual_mov_b32 v43, v5 :: v_dual_mov_b32 v42, v4
	s_mov_b32 s15, exec_lo
	v_cmpx_gt_u32_e64 s55, v131
	s_cbranch_execz .LBB842_991
; %bb.990:                              ;   in Loop: Header=BB842_982 Depth=2
	global_load_b64 v[42:43], v[68:69], off offset:512
.LBB842_991:                            ;   in Loop: Header=BB842_982 Depth=2
	s_wait_alu 0xfffe
	s_or_b32 exec_lo, exec_lo, s15
	s_wait_loadcnt 0xb
	v_dual_mov_b32 v45, v5 :: v_dual_mov_b32 v44, v4
	;; [unrolled: 10-line block ×6, first 2 shown]
	s_mov_b32 s15, exec_lo
	v_cmpx_gt_u32_e64 s55, v136
	s_cbranch_execz .LBB842_1001
; %bb.1000:                             ;   in Loop: Header=BB842_982 Depth=2
	global_load_b64 v[52:53], v[68:69], off offset:1792
.LBB842_1001:                           ;   in Loop: Header=BB842_982 Depth=2
	s_wait_alu 0xfffe
	s_or_b32 exec_lo, exec_lo, s15
	s_wait_loadcnt 0x6
	v_dual_mov_b32 v55, v5 :: v_dual_mov_b32 v54, v4
	s_mov_b32 s15, exec_lo
	v_cmpx_gt_u32_e64 s55, v137
	s_cbranch_execz .LBB842_1003
; %bb.1002:                             ;   in Loop: Header=BB842_982 Depth=2
	global_load_b64 v[54:55], v[68:69], off offset:2048
.LBB842_1003:                           ;   in Loop: Header=BB842_982 Depth=2
	s_wait_alu 0xfffe
	s_or_b32 exec_lo, exec_lo, s15
	s_wait_loadcnt 0x5
	v_dual_mov_b32 v57, v5 :: v_dual_mov_b32 v56, v4
	;; [unrolled: 10-line block ×7, first 2 shown]
	s_mov_b32 s15, exec_lo
	v_cmpx_gt_u32_e64 s55, v143
	s_cbranch_execz .LBB842_1015
; %bb.1014:                             ;   in Loop: Header=BB842_982 Depth=2
	global_load_b64 v[66:67], v[68:69], off offset:3584
.LBB842_1015:                           ;   in Loop: Header=BB842_982 Depth=2
	s_wait_alu 0xfffe
	s_or_b32 exec_lo, exec_lo, s15
	v_cmp_gt_u32_e64 s15, s55, v144
	s_sub_co_i32 s16, s51, s34
.LBB842_1016:                           ;   in Loop: Header=BB842_982 Depth=2
	v_mov_b32_e32 v68, -1
	v_dual_mov_b32 v69, -1 :: v_dual_mov_b32 v164, s55
	s_and_saveexec_b32 s17, s15
	s_cbranch_execz .LBB842_1018
; %bb.1017:                             ;   in Loop: Header=BB842_982 Depth=2
	s_lshl_b64 s[18:19], s[34:35], 3
	s_wait_alu 0xfffe
	v_mov_b32_e32 v164, s16
	v_add_co_u32 v68, vcc_lo, v145, s18
	s_wait_alu 0xfffd
	v_add_co_ci_u32_e64 v69, null, s19, v146, vcc_lo
	global_load_b64 v[68:69], v[68:69], off offset:3840
	s_wait_loadcnt 0x0
	v_xor_b32_e32 v69, 0x80000000, v69
.LBB842_1018:                           ;   in Loop: Header=BB842_982 Depth=2
	s_wait_alu 0xfffe
	s_or_b32 exec_lo, exec_lo, s17
	s_wait_loadcnt 0xe
	v_xor_b32_e32 v41, 0x80000000, v41
	v_add_nc_u32_e32 v166, 0x420, v102
	v_add_nc_u32_e32 v167, 0x428, v102
	;; [unrolled: 1-line block ×3, first 2 shown]
	s_delay_alu instid0(VALU_DEP_4) | instskip(NEXT) | instid1(VALU_DEP_1)
	v_lshrrev_b64 v[70:71], s31, v[40:41]
	v_and_b32_e32 v71, s54, v70
	s_delay_alu instid0(VALU_DEP_1)
	v_and_b32_e32 v2, 1, v71
	v_lshlrev_b32_e32 v70, 30, v71
	v_lshlrev_b32_e32 v72, 29, v71
	;; [unrolled: 1-line block ×4, first 2 shown]
	v_add_co_u32 v2, s15, v2, -1
	s_wait_alu 0xf1ff
	v_cndmask_b32_e64 v74, 0, 1, s15
	v_not_b32_e32 v165, v70
	v_cmp_gt_i32_e64 s15, 0, v70
	v_not_b32_e32 v70, v72
	v_lshlrev_b32_e32 v76, 26, v71
	v_cmp_ne_u32_e32 vcc_lo, 0, v74
	v_ashrrev_i32_e32 v165, 31, v165
	v_lshlrev_b32_e32 v77, 25, v71
	v_ashrrev_i32_e32 v70, 31, v70
	v_lshlrev_b32_e32 v74, 24, v71
	s_wait_alu 0xfffd
	v_xor_b32_e32 v2, vcc_lo, v2
	v_cmp_gt_i32_e32 vcc_lo, 0, v72
	v_not_b32_e32 v72, v73
	s_wait_alu 0xf1ff
	v_xor_b32_e32 v165, s15, v165
	v_cmp_gt_i32_e64 s15, 0, v73
	v_and_b32_e32 v2, exec_lo, v2
	v_not_b32_e32 v73, v75
	v_ashrrev_i32_e32 v72, 31, v72
	s_wait_alu 0xfffd
	v_xor_b32_e32 v70, vcc_lo, v70
	v_cmp_gt_i32_e32 vcc_lo, 0, v75
	v_and_b32_e32 v2, v2, v165
	v_not_b32_e32 v75, v76
	v_ashrrev_i32_e32 v73, 31, v73
	s_wait_alu 0xf1ff
	v_xor_b32_e32 v72, s15, v72
	v_cmp_gt_i32_e64 s15, 0, v76
	v_and_b32_e32 v2, v2, v70
	v_not_b32_e32 v70, v77
	v_ashrrev_i32_e32 v75, 31, v75
	s_wait_alu 0xfffd
	v_xor_b32_e32 v73, vcc_lo, v73
	v_cmp_gt_i32_e32 vcc_lo, 0, v77
	v_and_b32_e32 v2, v2, v72
	v_not_b32_e32 v72, v74
	v_ashrrev_i32_e32 v70, 31, v70
	s_wait_alu 0xf1ff
	v_xor_b32_e32 v75, s15, v75
	v_cmp_gt_i32_e64 s15, 0, v74
	v_and_b32_e32 v2, v2, v73
	v_ashrrev_i32_e32 v72, 31, v72
	s_wait_alu 0xfffd
	v_xor_b32_e32 v70, vcc_lo, v70
	v_mul_u32_u24_e32 v71, 36, v71
	v_add_nc_u32_e32 v165, 0x438, v102
	v_and_b32_e32 v2, v2, v75
	s_wait_alu 0xf1ff
	v_xor_b32_e32 v72, s15, v72
	v_add_nc_u32_e32 v169, v147, v71
	ds_store_2addr_b32 v165, v3, v3 offset1:1
	v_and_b32_e32 v2, v2, v70
	ds_store_2addr_b32 v166, v3, v3 offset1:1
	ds_store_2addr_b32 v167, v3, v3 offset1:1
	;; [unrolled: 1-line block ×3, first 2 shown]
	ds_store_b32 v102, v3 offset:1088
	s_wait_loadcnt_dscnt 0x0
	s_barrier_signal -1
	s_barrier_wait -1
	v_and_b32_e32 v70, v2, v72
	global_inv scope:SCOPE_SE
	; wave barrier
	v_mbcnt_lo_u32_b32 v2, v70, 0
	v_cmp_ne_u32_e64 s15, 0, v70
	s_delay_alu instid0(VALU_DEP_2)
	v_cmp_eq_u32_e32 vcc_lo, 0, v2
	s_and_b32 s16, s15, vcc_lo
	s_wait_alu 0xfffe
	s_and_saveexec_b32 s15, s16
; %bb.1019:                             ;   in Loop: Header=BB842_982 Depth=2
	v_bcnt_u32_b32 v70, v70, 0
	ds_store_b32 v169, v70 offset:1056
; %bb.1020:                             ;   in Loop: Header=BB842_982 Depth=2
	s_wait_alu 0xfffe
	s_or_b32 exec_lo, exec_lo, s15
	v_xor_b32_e32 v39, 0x80000000, v39
	; wave barrier
	s_delay_alu instid0(VALU_DEP_1) | instskip(NEXT) | instid1(VALU_DEP_1)
	v_lshrrev_b64 v[70:71], s31, v[38:39]
	v_and_b32_e32 v71, s54, v70
	s_delay_alu instid0(VALU_DEP_1)
	v_and_b32_e32 v70, 1, v71
	v_lshlrev_b32_e32 v72, 30, v71
	v_lshlrev_b32_e32 v73, 29, v71
	;; [unrolled: 1-line block ×4, first 2 shown]
	v_add_co_u32 v70, s15, v70, -1
	s_wait_alu 0xf1ff
	v_cndmask_b32_e64 v75, 0, 1, s15
	v_not_b32_e32 v171, v72
	v_cmp_gt_i32_e64 s15, 0, v72
	v_not_b32_e32 v72, v73
	v_lshlrev_b32_e32 v77, 26, v71
	v_cmp_ne_u32_e32 vcc_lo, 0, v75
	v_ashrrev_i32_e32 v171, 31, v171
	v_lshlrev_b32_e32 v170, 25, v71
	v_ashrrev_i32_e32 v72, 31, v72
	v_lshlrev_b32_e32 v75, 24, v71
	s_wait_alu 0xfffd
	v_xor_b32_e32 v70, vcc_lo, v70
	v_cmp_gt_i32_e32 vcc_lo, 0, v73
	v_not_b32_e32 v73, v74
	s_wait_alu 0xf1ff
	v_xor_b32_e32 v171, s15, v171
	v_cmp_gt_i32_e64 s15, 0, v74
	v_and_b32_e32 v70, exec_lo, v70
	v_not_b32_e32 v74, v76
	v_ashrrev_i32_e32 v73, 31, v73
	s_wait_alu 0xfffd
	v_xor_b32_e32 v72, vcc_lo, v72
	v_cmp_gt_i32_e32 vcc_lo, 0, v76
	v_and_b32_e32 v70, v70, v171
	v_not_b32_e32 v76, v77
	v_ashrrev_i32_e32 v74, 31, v74
	s_wait_alu 0xf1ff
	v_xor_b32_e32 v73, s15, v73
	v_cmp_gt_i32_e64 s15, 0, v77
	v_and_b32_e32 v70, v70, v72
	v_not_b32_e32 v72, v170
	v_ashrrev_i32_e32 v76, 31, v76
	s_wait_alu 0xfffd
	v_xor_b32_e32 v74, vcc_lo, v74
	v_cmp_gt_i32_e32 vcc_lo, 0, v170
	v_and_b32_e32 v70, v70, v73
	v_not_b32_e32 v73, v75
	v_ashrrev_i32_e32 v72, 31, v72
	s_wait_alu 0xf1ff
	v_xor_b32_e32 v76, s15, v76
	v_cmp_gt_i32_e64 s15, 0, v75
	v_and_b32_e32 v70, v70, v74
	v_ashrrev_i32_e32 v73, 31, v73
	s_wait_alu 0xfffd
	v_xor_b32_e32 v72, vcc_lo, v72
	v_mad_u32_u24 v74, v71, 36, v147
	v_mul_u32_u24_e32 v71, 36, v71
	v_and_b32_e32 v70, v70, v76
	s_wait_alu 0xf1ff
	v_xor_b32_e32 v73, s15, v73
	ds_load_b32 v170, v74 offset:1056
	v_add_nc_u32_e32 v172, v147, v71
	v_and_b32_e32 v70, v70, v72
	; wave barrier
	s_delay_alu instid0(VALU_DEP_1) | instskip(NEXT) | instid1(VALU_DEP_1)
	v_and_b32_e32 v70, v70, v73
	v_mbcnt_lo_u32_b32 v171, v70, 0
	v_cmp_ne_u32_e64 s15, 0, v70
	s_delay_alu instid0(VALU_DEP_2)
	v_cmp_eq_u32_e32 vcc_lo, 0, v171
	s_and_b32 s16, s15, vcc_lo
	s_wait_alu 0xfffe
	s_and_saveexec_b32 s15, s16
	s_cbranch_execz .LBB842_1022
; %bb.1021:                             ;   in Loop: Header=BB842_982 Depth=2
	s_wait_dscnt 0x0
	v_bcnt_u32_b32 v70, v70, v170
	ds_store_b32 v172, v70 offset:1056
.LBB842_1022:                           ;   in Loop: Header=BB842_982 Depth=2
	s_wait_alu 0xfffe
	s_or_b32 exec_lo, exec_lo, s15
	v_xor_b32_e32 v43, 0x80000000, v43
	; wave barrier
	s_delay_alu instid0(VALU_DEP_1) | instskip(NEXT) | instid1(VALU_DEP_1)
	v_lshrrev_b64 v[70:71], s31, v[42:43]
	v_and_b32_e32 v71, s54, v70
	s_delay_alu instid0(VALU_DEP_1)
	v_and_b32_e32 v70, 1, v71
	v_lshlrev_b32_e32 v72, 30, v71
	v_lshlrev_b32_e32 v73, 29, v71
	;; [unrolled: 1-line block ×4, first 2 shown]
	v_add_co_u32 v70, s15, v70, -1
	s_wait_alu 0xf1ff
	v_cndmask_b32_e64 v75, 0, 1, s15
	v_not_b32_e32 v174, v72
	v_cmp_gt_i32_e64 s15, 0, v72
	v_not_b32_e32 v72, v73
	v_lshlrev_b32_e32 v77, 26, v71
	v_cmp_ne_u32_e32 vcc_lo, 0, v75
	v_ashrrev_i32_e32 v174, 31, v174
	v_lshlrev_b32_e32 v173, 25, v71
	v_ashrrev_i32_e32 v72, 31, v72
	v_lshlrev_b32_e32 v75, 24, v71
	s_wait_alu 0xfffd
	v_xor_b32_e32 v70, vcc_lo, v70
	v_cmp_gt_i32_e32 vcc_lo, 0, v73
	v_not_b32_e32 v73, v74
	s_wait_alu 0xf1ff
	v_xor_b32_e32 v174, s15, v174
	v_cmp_gt_i32_e64 s15, 0, v74
	v_and_b32_e32 v70, exec_lo, v70
	v_not_b32_e32 v74, v76
	v_ashrrev_i32_e32 v73, 31, v73
	s_wait_alu 0xfffd
	v_xor_b32_e32 v72, vcc_lo, v72
	v_cmp_gt_i32_e32 vcc_lo, 0, v76
	v_and_b32_e32 v70, v70, v174
	v_not_b32_e32 v76, v77
	v_ashrrev_i32_e32 v74, 31, v74
	s_wait_alu 0xf1ff
	v_xor_b32_e32 v73, s15, v73
	v_cmp_gt_i32_e64 s15, 0, v77
	v_and_b32_e32 v70, v70, v72
	v_not_b32_e32 v72, v173
	v_ashrrev_i32_e32 v76, 31, v76
	s_wait_alu 0xfffd
	v_xor_b32_e32 v74, vcc_lo, v74
	v_cmp_gt_i32_e32 vcc_lo, 0, v173
	v_and_b32_e32 v70, v70, v73
	v_not_b32_e32 v73, v75
	v_ashrrev_i32_e32 v72, 31, v72
	s_wait_alu 0xf1ff
	v_xor_b32_e32 v76, s15, v76
	v_cmp_gt_i32_e64 s15, 0, v75
	v_and_b32_e32 v70, v70, v74
	v_ashrrev_i32_e32 v73, 31, v73
	s_wait_alu 0xfffd
	v_xor_b32_e32 v72, vcc_lo, v72
	v_mad_u32_u24 v74, v71, 36, v147
	v_mul_u32_u24_e32 v71, 36, v71
	v_and_b32_e32 v70, v70, v76
	s_wait_alu 0xf1ff
	v_xor_b32_e32 v73, s15, v73
	ds_load_b32 v173, v74 offset:1056
	v_add_nc_u32_e32 v175, v147, v71
	v_and_b32_e32 v70, v70, v72
	; wave barrier
	s_delay_alu instid0(VALU_DEP_1) | instskip(NEXT) | instid1(VALU_DEP_1)
	v_and_b32_e32 v70, v70, v73
	v_mbcnt_lo_u32_b32 v174, v70, 0
	v_cmp_ne_u32_e64 s15, 0, v70
	s_delay_alu instid0(VALU_DEP_2)
	v_cmp_eq_u32_e32 vcc_lo, 0, v174
	s_and_b32 s16, s15, vcc_lo
	s_wait_alu 0xfffe
	s_and_saveexec_b32 s15, s16
	s_cbranch_execz .LBB842_1024
; %bb.1023:                             ;   in Loop: Header=BB842_982 Depth=2
	s_wait_dscnt 0x0
	v_bcnt_u32_b32 v70, v70, v173
	ds_store_b32 v175, v70 offset:1056
.LBB842_1024:                           ;   in Loop: Header=BB842_982 Depth=2
	s_wait_alu 0xfffe
	s_or_b32 exec_lo, exec_lo, s15
	v_xor_b32_e32 v45, 0x80000000, v45
	; wave barrier
	s_delay_alu instid0(VALU_DEP_1) | instskip(NEXT) | instid1(VALU_DEP_1)
	v_lshrrev_b64 v[70:71], s31, v[44:45]
	v_and_b32_e32 v71, s54, v70
	s_delay_alu instid0(VALU_DEP_1)
	v_and_b32_e32 v70, 1, v71
	v_lshlrev_b32_e32 v72, 30, v71
	v_lshlrev_b32_e32 v73, 29, v71
	;; [unrolled: 1-line block ×4, first 2 shown]
	v_add_co_u32 v70, s15, v70, -1
	s_wait_alu 0xf1ff
	v_cndmask_b32_e64 v75, 0, 1, s15
	v_not_b32_e32 v177, v72
	v_cmp_gt_i32_e64 s15, 0, v72
	v_not_b32_e32 v72, v73
	v_lshlrev_b32_e32 v77, 26, v71
	v_cmp_ne_u32_e32 vcc_lo, 0, v75
	v_ashrrev_i32_e32 v177, 31, v177
	v_lshlrev_b32_e32 v176, 25, v71
	v_ashrrev_i32_e32 v72, 31, v72
	v_lshlrev_b32_e32 v75, 24, v71
	s_wait_alu 0xfffd
	v_xor_b32_e32 v70, vcc_lo, v70
	v_cmp_gt_i32_e32 vcc_lo, 0, v73
	v_not_b32_e32 v73, v74
	s_wait_alu 0xf1ff
	v_xor_b32_e32 v177, s15, v177
	v_cmp_gt_i32_e64 s15, 0, v74
	v_and_b32_e32 v70, exec_lo, v70
	v_not_b32_e32 v74, v76
	v_ashrrev_i32_e32 v73, 31, v73
	s_wait_alu 0xfffd
	v_xor_b32_e32 v72, vcc_lo, v72
	v_cmp_gt_i32_e32 vcc_lo, 0, v76
	v_and_b32_e32 v70, v70, v177
	v_not_b32_e32 v76, v77
	v_ashrrev_i32_e32 v74, 31, v74
	s_wait_alu 0xf1ff
	v_xor_b32_e32 v73, s15, v73
	v_cmp_gt_i32_e64 s15, 0, v77
	v_and_b32_e32 v70, v70, v72
	v_not_b32_e32 v72, v176
	v_ashrrev_i32_e32 v76, 31, v76
	s_wait_alu 0xfffd
	v_xor_b32_e32 v74, vcc_lo, v74
	v_cmp_gt_i32_e32 vcc_lo, 0, v176
	v_and_b32_e32 v70, v70, v73
	v_not_b32_e32 v73, v75
	v_ashrrev_i32_e32 v72, 31, v72
	s_wait_alu 0xf1ff
	v_xor_b32_e32 v76, s15, v76
	v_cmp_gt_i32_e64 s15, 0, v75
	v_and_b32_e32 v70, v70, v74
	v_ashrrev_i32_e32 v73, 31, v73
	s_wait_alu 0xfffd
	v_xor_b32_e32 v72, vcc_lo, v72
	v_mad_u32_u24 v74, v71, 36, v147
	v_mul_u32_u24_e32 v71, 36, v71
	v_and_b32_e32 v70, v70, v76
	s_wait_alu 0xf1ff
	v_xor_b32_e32 v73, s15, v73
	ds_load_b32 v176, v74 offset:1056
	v_add_nc_u32_e32 v178, v147, v71
	v_and_b32_e32 v70, v70, v72
	; wave barrier
	s_delay_alu instid0(VALU_DEP_1) | instskip(NEXT) | instid1(VALU_DEP_1)
	v_and_b32_e32 v70, v70, v73
	v_mbcnt_lo_u32_b32 v177, v70, 0
	v_cmp_ne_u32_e64 s15, 0, v70
	s_delay_alu instid0(VALU_DEP_2)
	v_cmp_eq_u32_e32 vcc_lo, 0, v177
	s_and_b32 s16, s15, vcc_lo
	s_wait_alu 0xfffe
	s_and_saveexec_b32 s15, s16
	s_cbranch_execz .LBB842_1026
; %bb.1025:                             ;   in Loop: Header=BB842_982 Depth=2
	s_wait_dscnt 0x0
	v_bcnt_u32_b32 v70, v70, v176
	ds_store_b32 v178, v70 offset:1056
.LBB842_1026:                           ;   in Loop: Header=BB842_982 Depth=2
	s_wait_alu 0xfffe
	s_or_b32 exec_lo, exec_lo, s15
	v_xor_b32_e32 v47, 0x80000000, v47
	; wave barrier
	s_delay_alu instid0(VALU_DEP_1) | instskip(NEXT) | instid1(VALU_DEP_1)
	v_lshrrev_b64 v[70:71], s31, v[46:47]
	v_and_b32_e32 v71, s54, v70
	s_delay_alu instid0(VALU_DEP_1)
	v_and_b32_e32 v70, 1, v71
	v_lshlrev_b32_e32 v72, 30, v71
	v_lshlrev_b32_e32 v73, 29, v71
	;; [unrolled: 1-line block ×4, first 2 shown]
	v_add_co_u32 v70, s15, v70, -1
	s_wait_alu 0xf1ff
	v_cndmask_b32_e64 v75, 0, 1, s15
	v_not_b32_e32 v180, v72
	v_cmp_gt_i32_e64 s15, 0, v72
	v_not_b32_e32 v72, v73
	v_lshlrev_b32_e32 v77, 26, v71
	v_cmp_ne_u32_e32 vcc_lo, 0, v75
	v_ashrrev_i32_e32 v180, 31, v180
	v_lshlrev_b32_e32 v179, 25, v71
	v_ashrrev_i32_e32 v72, 31, v72
	v_lshlrev_b32_e32 v75, 24, v71
	s_wait_alu 0xfffd
	v_xor_b32_e32 v70, vcc_lo, v70
	v_cmp_gt_i32_e32 vcc_lo, 0, v73
	v_not_b32_e32 v73, v74
	s_wait_alu 0xf1ff
	v_xor_b32_e32 v180, s15, v180
	v_cmp_gt_i32_e64 s15, 0, v74
	v_and_b32_e32 v70, exec_lo, v70
	v_not_b32_e32 v74, v76
	v_ashrrev_i32_e32 v73, 31, v73
	s_wait_alu 0xfffd
	v_xor_b32_e32 v72, vcc_lo, v72
	v_cmp_gt_i32_e32 vcc_lo, 0, v76
	v_and_b32_e32 v70, v70, v180
	v_not_b32_e32 v76, v77
	v_ashrrev_i32_e32 v74, 31, v74
	s_wait_alu 0xf1ff
	v_xor_b32_e32 v73, s15, v73
	v_cmp_gt_i32_e64 s15, 0, v77
	v_and_b32_e32 v70, v70, v72
	v_not_b32_e32 v72, v179
	v_ashrrev_i32_e32 v76, 31, v76
	s_wait_alu 0xfffd
	v_xor_b32_e32 v74, vcc_lo, v74
	v_cmp_gt_i32_e32 vcc_lo, 0, v179
	v_and_b32_e32 v70, v70, v73
	v_not_b32_e32 v73, v75
	v_ashrrev_i32_e32 v72, 31, v72
	s_wait_alu 0xf1ff
	v_xor_b32_e32 v76, s15, v76
	v_cmp_gt_i32_e64 s15, 0, v75
	v_and_b32_e32 v70, v70, v74
	v_ashrrev_i32_e32 v73, 31, v73
	s_wait_alu 0xfffd
	v_xor_b32_e32 v72, vcc_lo, v72
	v_mad_u32_u24 v74, v71, 36, v147
	v_mul_u32_u24_e32 v71, 36, v71
	v_and_b32_e32 v70, v70, v76
	s_wait_alu 0xf1ff
	v_xor_b32_e32 v73, s15, v73
	ds_load_b32 v179, v74 offset:1056
	v_add_nc_u32_e32 v181, v147, v71
	v_and_b32_e32 v70, v70, v72
	; wave barrier
	s_delay_alu instid0(VALU_DEP_1) | instskip(NEXT) | instid1(VALU_DEP_1)
	v_and_b32_e32 v70, v70, v73
	v_mbcnt_lo_u32_b32 v180, v70, 0
	v_cmp_ne_u32_e64 s15, 0, v70
	s_delay_alu instid0(VALU_DEP_2)
	v_cmp_eq_u32_e32 vcc_lo, 0, v180
	s_and_b32 s16, s15, vcc_lo
	s_wait_alu 0xfffe
	s_and_saveexec_b32 s15, s16
	s_cbranch_execz .LBB842_1028
; %bb.1027:                             ;   in Loop: Header=BB842_982 Depth=2
	s_wait_dscnt 0x0
	v_bcnt_u32_b32 v70, v70, v179
	ds_store_b32 v181, v70 offset:1056
.LBB842_1028:                           ;   in Loop: Header=BB842_982 Depth=2
	s_wait_alu 0xfffe
	s_or_b32 exec_lo, exec_lo, s15
	v_xor_b32_e32 v51, 0x80000000, v51
	; wave barrier
	s_delay_alu instid0(VALU_DEP_1) | instskip(NEXT) | instid1(VALU_DEP_1)
	v_lshrrev_b64 v[70:71], s31, v[50:51]
	v_and_b32_e32 v71, s54, v70
	s_delay_alu instid0(VALU_DEP_1)
	v_and_b32_e32 v70, 1, v71
	v_lshlrev_b32_e32 v72, 30, v71
	v_lshlrev_b32_e32 v73, 29, v71
	v_lshlrev_b32_e32 v74, 28, v71
	v_lshlrev_b32_e32 v76, 27, v71
	v_add_co_u32 v70, s15, v70, -1
	s_wait_alu 0xf1ff
	v_cndmask_b32_e64 v75, 0, 1, s15
	v_not_b32_e32 v183, v72
	v_cmp_gt_i32_e64 s15, 0, v72
	v_not_b32_e32 v72, v73
	v_lshlrev_b32_e32 v77, 26, v71
	v_cmp_ne_u32_e32 vcc_lo, 0, v75
	v_ashrrev_i32_e32 v183, 31, v183
	v_lshlrev_b32_e32 v182, 25, v71
	v_ashrrev_i32_e32 v72, 31, v72
	v_lshlrev_b32_e32 v75, 24, v71
	s_wait_alu 0xfffd
	v_xor_b32_e32 v70, vcc_lo, v70
	v_cmp_gt_i32_e32 vcc_lo, 0, v73
	v_not_b32_e32 v73, v74
	s_wait_alu 0xf1ff
	v_xor_b32_e32 v183, s15, v183
	v_cmp_gt_i32_e64 s15, 0, v74
	v_and_b32_e32 v70, exec_lo, v70
	v_not_b32_e32 v74, v76
	v_ashrrev_i32_e32 v73, 31, v73
	s_wait_alu 0xfffd
	v_xor_b32_e32 v72, vcc_lo, v72
	v_cmp_gt_i32_e32 vcc_lo, 0, v76
	v_and_b32_e32 v70, v70, v183
	v_not_b32_e32 v76, v77
	v_ashrrev_i32_e32 v74, 31, v74
	s_wait_alu 0xf1ff
	v_xor_b32_e32 v73, s15, v73
	v_cmp_gt_i32_e64 s15, 0, v77
	v_and_b32_e32 v70, v70, v72
	v_not_b32_e32 v72, v182
	v_ashrrev_i32_e32 v76, 31, v76
	s_wait_alu 0xfffd
	v_xor_b32_e32 v74, vcc_lo, v74
	v_cmp_gt_i32_e32 vcc_lo, 0, v182
	v_and_b32_e32 v70, v70, v73
	v_not_b32_e32 v73, v75
	v_ashrrev_i32_e32 v72, 31, v72
	s_wait_alu 0xf1ff
	v_xor_b32_e32 v76, s15, v76
	v_cmp_gt_i32_e64 s15, 0, v75
	v_and_b32_e32 v70, v70, v74
	v_ashrrev_i32_e32 v73, 31, v73
	s_wait_alu 0xfffd
	v_xor_b32_e32 v72, vcc_lo, v72
	v_mad_u32_u24 v74, v71, 36, v147
	v_mul_u32_u24_e32 v71, 36, v71
	v_and_b32_e32 v70, v70, v76
	s_wait_alu 0xf1ff
	v_xor_b32_e32 v73, s15, v73
	ds_load_b32 v182, v74 offset:1056
	v_add_nc_u32_e32 v184, v147, v71
	v_and_b32_e32 v70, v70, v72
	; wave barrier
	s_delay_alu instid0(VALU_DEP_1) | instskip(NEXT) | instid1(VALU_DEP_1)
	v_and_b32_e32 v70, v70, v73
	v_mbcnt_lo_u32_b32 v183, v70, 0
	v_cmp_ne_u32_e64 s15, 0, v70
	s_delay_alu instid0(VALU_DEP_2)
	v_cmp_eq_u32_e32 vcc_lo, 0, v183
	s_and_b32 s16, s15, vcc_lo
	s_wait_alu 0xfffe
	s_and_saveexec_b32 s15, s16
	s_cbranch_execz .LBB842_1030
; %bb.1029:                             ;   in Loop: Header=BB842_982 Depth=2
	s_wait_dscnt 0x0
	v_bcnt_u32_b32 v70, v70, v182
	ds_store_b32 v184, v70 offset:1056
.LBB842_1030:                           ;   in Loop: Header=BB842_982 Depth=2
	s_wait_alu 0xfffe
	s_or_b32 exec_lo, exec_lo, s15
	v_xor_b32_e32 v49, 0x80000000, v49
	; wave barrier
	s_delay_alu instid0(VALU_DEP_1) | instskip(NEXT) | instid1(VALU_DEP_1)
	v_lshrrev_b64 v[70:71], s31, v[48:49]
	v_and_b32_e32 v71, s54, v70
	s_delay_alu instid0(VALU_DEP_1)
	v_and_b32_e32 v70, 1, v71
	v_lshlrev_b32_e32 v72, 30, v71
	v_lshlrev_b32_e32 v73, 29, v71
	;; [unrolled: 1-line block ×4, first 2 shown]
	v_add_co_u32 v70, s15, v70, -1
	s_wait_alu 0xf1ff
	v_cndmask_b32_e64 v75, 0, 1, s15
	v_not_b32_e32 v186, v72
	v_cmp_gt_i32_e64 s15, 0, v72
	v_not_b32_e32 v72, v73
	v_lshlrev_b32_e32 v77, 26, v71
	v_cmp_ne_u32_e32 vcc_lo, 0, v75
	v_ashrrev_i32_e32 v186, 31, v186
	v_lshlrev_b32_e32 v185, 25, v71
	v_ashrrev_i32_e32 v72, 31, v72
	v_lshlrev_b32_e32 v75, 24, v71
	s_wait_alu 0xfffd
	v_xor_b32_e32 v70, vcc_lo, v70
	v_cmp_gt_i32_e32 vcc_lo, 0, v73
	v_not_b32_e32 v73, v74
	s_wait_alu 0xf1ff
	v_xor_b32_e32 v186, s15, v186
	v_cmp_gt_i32_e64 s15, 0, v74
	v_and_b32_e32 v70, exec_lo, v70
	v_not_b32_e32 v74, v76
	v_ashrrev_i32_e32 v73, 31, v73
	s_wait_alu 0xfffd
	v_xor_b32_e32 v72, vcc_lo, v72
	v_cmp_gt_i32_e32 vcc_lo, 0, v76
	v_and_b32_e32 v70, v70, v186
	v_not_b32_e32 v76, v77
	v_ashrrev_i32_e32 v74, 31, v74
	s_wait_alu 0xf1ff
	v_xor_b32_e32 v73, s15, v73
	v_cmp_gt_i32_e64 s15, 0, v77
	v_and_b32_e32 v70, v70, v72
	v_not_b32_e32 v72, v185
	v_ashrrev_i32_e32 v76, 31, v76
	s_wait_alu 0xfffd
	v_xor_b32_e32 v74, vcc_lo, v74
	v_cmp_gt_i32_e32 vcc_lo, 0, v185
	v_and_b32_e32 v70, v70, v73
	v_not_b32_e32 v73, v75
	v_ashrrev_i32_e32 v72, 31, v72
	s_wait_alu 0xf1ff
	v_xor_b32_e32 v76, s15, v76
	v_cmp_gt_i32_e64 s15, 0, v75
	v_and_b32_e32 v70, v70, v74
	v_ashrrev_i32_e32 v73, 31, v73
	s_wait_alu 0xfffd
	v_xor_b32_e32 v72, vcc_lo, v72
	v_mad_u32_u24 v74, v71, 36, v147
	v_mul_u32_u24_e32 v71, 36, v71
	v_and_b32_e32 v70, v70, v76
	s_wait_alu 0xf1ff
	v_xor_b32_e32 v73, s15, v73
	ds_load_b32 v185, v74 offset:1056
	v_add_nc_u32_e32 v187, v147, v71
	v_and_b32_e32 v70, v70, v72
	; wave barrier
	s_delay_alu instid0(VALU_DEP_1) | instskip(NEXT) | instid1(VALU_DEP_1)
	v_and_b32_e32 v70, v70, v73
	v_mbcnt_lo_u32_b32 v186, v70, 0
	v_cmp_ne_u32_e64 s15, 0, v70
	s_delay_alu instid0(VALU_DEP_2)
	v_cmp_eq_u32_e32 vcc_lo, 0, v186
	s_and_b32 s16, s15, vcc_lo
	s_wait_alu 0xfffe
	s_and_saveexec_b32 s15, s16
	s_cbranch_execz .LBB842_1032
; %bb.1031:                             ;   in Loop: Header=BB842_982 Depth=2
	s_wait_dscnt 0x0
	v_bcnt_u32_b32 v70, v70, v185
	ds_store_b32 v187, v70 offset:1056
.LBB842_1032:                           ;   in Loop: Header=BB842_982 Depth=2
	s_wait_alu 0xfffe
	s_or_b32 exec_lo, exec_lo, s15
	v_xor_b32_e32 v53, 0x80000000, v53
	; wave barrier
	s_delay_alu instid0(VALU_DEP_1) | instskip(NEXT) | instid1(VALU_DEP_1)
	v_lshrrev_b64 v[70:71], s31, v[52:53]
	v_and_b32_e32 v71, s54, v70
	s_delay_alu instid0(VALU_DEP_1)
	v_and_b32_e32 v70, 1, v71
	v_lshlrev_b32_e32 v72, 30, v71
	v_lshlrev_b32_e32 v73, 29, v71
	;; [unrolled: 1-line block ×4, first 2 shown]
	v_add_co_u32 v70, s15, v70, -1
	s_wait_alu 0xf1ff
	v_cndmask_b32_e64 v75, 0, 1, s15
	v_not_b32_e32 v189, v72
	v_cmp_gt_i32_e64 s15, 0, v72
	v_not_b32_e32 v72, v73
	v_lshlrev_b32_e32 v77, 26, v71
	v_cmp_ne_u32_e32 vcc_lo, 0, v75
	v_ashrrev_i32_e32 v189, 31, v189
	v_lshlrev_b32_e32 v188, 25, v71
	v_ashrrev_i32_e32 v72, 31, v72
	v_lshlrev_b32_e32 v75, 24, v71
	s_wait_alu 0xfffd
	v_xor_b32_e32 v70, vcc_lo, v70
	v_cmp_gt_i32_e32 vcc_lo, 0, v73
	v_not_b32_e32 v73, v74
	s_wait_alu 0xf1ff
	v_xor_b32_e32 v189, s15, v189
	v_cmp_gt_i32_e64 s15, 0, v74
	v_and_b32_e32 v70, exec_lo, v70
	v_not_b32_e32 v74, v76
	v_ashrrev_i32_e32 v73, 31, v73
	s_wait_alu 0xfffd
	v_xor_b32_e32 v72, vcc_lo, v72
	v_cmp_gt_i32_e32 vcc_lo, 0, v76
	v_and_b32_e32 v70, v70, v189
	v_not_b32_e32 v76, v77
	v_ashrrev_i32_e32 v74, 31, v74
	s_wait_alu 0xf1ff
	v_xor_b32_e32 v73, s15, v73
	v_cmp_gt_i32_e64 s15, 0, v77
	v_and_b32_e32 v70, v70, v72
	v_not_b32_e32 v72, v188
	v_ashrrev_i32_e32 v76, 31, v76
	s_wait_alu 0xfffd
	v_xor_b32_e32 v74, vcc_lo, v74
	v_cmp_gt_i32_e32 vcc_lo, 0, v188
	v_and_b32_e32 v70, v70, v73
	v_not_b32_e32 v73, v75
	v_ashrrev_i32_e32 v72, 31, v72
	s_wait_alu 0xf1ff
	v_xor_b32_e32 v76, s15, v76
	v_cmp_gt_i32_e64 s15, 0, v75
	v_and_b32_e32 v70, v70, v74
	v_ashrrev_i32_e32 v73, 31, v73
	s_wait_alu 0xfffd
	v_xor_b32_e32 v72, vcc_lo, v72
	v_mad_u32_u24 v74, v71, 36, v147
	v_mul_u32_u24_e32 v71, 36, v71
	v_and_b32_e32 v70, v70, v76
	s_wait_alu 0xf1ff
	v_xor_b32_e32 v73, s15, v73
	ds_load_b32 v188, v74 offset:1056
	v_add_nc_u32_e32 v190, v147, v71
	v_and_b32_e32 v70, v70, v72
	; wave barrier
	s_delay_alu instid0(VALU_DEP_1) | instskip(NEXT) | instid1(VALU_DEP_1)
	v_and_b32_e32 v70, v70, v73
	v_mbcnt_lo_u32_b32 v189, v70, 0
	v_cmp_ne_u32_e64 s15, 0, v70
	s_delay_alu instid0(VALU_DEP_2)
	v_cmp_eq_u32_e32 vcc_lo, 0, v189
	s_and_b32 s16, s15, vcc_lo
	s_wait_alu 0xfffe
	s_and_saveexec_b32 s15, s16
	s_cbranch_execz .LBB842_1034
; %bb.1033:                             ;   in Loop: Header=BB842_982 Depth=2
	s_wait_dscnt 0x0
	v_bcnt_u32_b32 v70, v70, v188
	ds_store_b32 v190, v70 offset:1056
.LBB842_1034:                           ;   in Loop: Header=BB842_982 Depth=2
	s_wait_alu 0xfffe
	s_or_b32 exec_lo, exec_lo, s15
	v_xor_b32_e32 v55, 0x80000000, v55
	; wave barrier
	s_delay_alu instid0(VALU_DEP_1) | instskip(NEXT) | instid1(VALU_DEP_1)
	v_lshrrev_b64 v[70:71], s31, v[54:55]
	v_and_b32_e32 v71, s54, v70
	s_delay_alu instid0(VALU_DEP_1)
	v_and_b32_e32 v70, 1, v71
	v_lshlrev_b32_e32 v72, 30, v71
	v_lshlrev_b32_e32 v73, 29, v71
	;; [unrolled: 1-line block ×4, first 2 shown]
	v_add_co_u32 v70, s15, v70, -1
	s_wait_alu 0xf1ff
	v_cndmask_b32_e64 v75, 0, 1, s15
	v_not_b32_e32 v192, v72
	v_cmp_gt_i32_e64 s15, 0, v72
	v_not_b32_e32 v72, v73
	v_lshlrev_b32_e32 v77, 26, v71
	v_cmp_ne_u32_e32 vcc_lo, 0, v75
	v_ashrrev_i32_e32 v192, 31, v192
	v_lshlrev_b32_e32 v191, 25, v71
	v_ashrrev_i32_e32 v72, 31, v72
	v_lshlrev_b32_e32 v75, 24, v71
	s_wait_alu 0xfffd
	v_xor_b32_e32 v70, vcc_lo, v70
	v_cmp_gt_i32_e32 vcc_lo, 0, v73
	v_not_b32_e32 v73, v74
	s_wait_alu 0xf1ff
	v_xor_b32_e32 v192, s15, v192
	v_cmp_gt_i32_e64 s15, 0, v74
	v_and_b32_e32 v70, exec_lo, v70
	v_not_b32_e32 v74, v76
	v_ashrrev_i32_e32 v73, 31, v73
	s_wait_alu 0xfffd
	v_xor_b32_e32 v72, vcc_lo, v72
	v_cmp_gt_i32_e32 vcc_lo, 0, v76
	v_and_b32_e32 v70, v70, v192
	v_not_b32_e32 v76, v77
	v_ashrrev_i32_e32 v74, 31, v74
	s_wait_alu 0xf1ff
	v_xor_b32_e32 v73, s15, v73
	v_cmp_gt_i32_e64 s15, 0, v77
	v_and_b32_e32 v70, v70, v72
	v_not_b32_e32 v72, v191
	v_ashrrev_i32_e32 v76, 31, v76
	s_wait_alu 0xfffd
	v_xor_b32_e32 v74, vcc_lo, v74
	v_cmp_gt_i32_e32 vcc_lo, 0, v191
	v_and_b32_e32 v70, v70, v73
	v_not_b32_e32 v73, v75
	v_ashrrev_i32_e32 v72, 31, v72
	s_wait_alu 0xf1ff
	v_xor_b32_e32 v76, s15, v76
	v_cmp_gt_i32_e64 s15, 0, v75
	v_and_b32_e32 v70, v70, v74
	v_ashrrev_i32_e32 v73, 31, v73
	s_wait_alu 0xfffd
	v_xor_b32_e32 v72, vcc_lo, v72
	v_mad_u32_u24 v74, v71, 36, v147
	v_mul_u32_u24_e32 v71, 36, v71
	v_and_b32_e32 v70, v70, v76
	s_wait_alu 0xf1ff
	v_xor_b32_e32 v73, s15, v73
	ds_load_b32 v191, v74 offset:1056
	v_add_nc_u32_e32 v193, v147, v71
	v_and_b32_e32 v70, v70, v72
	; wave barrier
	s_delay_alu instid0(VALU_DEP_1) | instskip(NEXT) | instid1(VALU_DEP_1)
	v_and_b32_e32 v70, v70, v73
	v_mbcnt_lo_u32_b32 v192, v70, 0
	v_cmp_ne_u32_e64 s15, 0, v70
	s_delay_alu instid0(VALU_DEP_2)
	v_cmp_eq_u32_e32 vcc_lo, 0, v192
	s_and_b32 s16, s15, vcc_lo
	s_wait_alu 0xfffe
	s_and_saveexec_b32 s15, s16
	s_cbranch_execz .LBB842_1036
; %bb.1035:                             ;   in Loop: Header=BB842_982 Depth=2
	s_wait_dscnt 0x0
	v_bcnt_u32_b32 v70, v70, v191
	ds_store_b32 v193, v70 offset:1056
.LBB842_1036:                           ;   in Loop: Header=BB842_982 Depth=2
	s_wait_alu 0xfffe
	s_or_b32 exec_lo, exec_lo, s15
	v_xor_b32_e32 v57, 0x80000000, v57
	; wave barrier
	s_delay_alu instid0(VALU_DEP_1) | instskip(NEXT) | instid1(VALU_DEP_1)
	v_lshrrev_b64 v[70:71], s31, v[56:57]
	v_and_b32_e32 v71, s54, v70
	s_delay_alu instid0(VALU_DEP_1)
	v_and_b32_e32 v70, 1, v71
	v_lshlrev_b32_e32 v72, 30, v71
	v_lshlrev_b32_e32 v73, 29, v71
	;; [unrolled: 1-line block ×4, first 2 shown]
	v_add_co_u32 v70, s15, v70, -1
	s_wait_alu 0xf1ff
	v_cndmask_b32_e64 v75, 0, 1, s15
	v_not_b32_e32 v195, v72
	v_cmp_gt_i32_e64 s15, 0, v72
	v_not_b32_e32 v72, v73
	v_lshlrev_b32_e32 v77, 26, v71
	v_cmp_ne_u32_e32 vcc_lo, 0, v75
	v_ashrrev_i32_e32 v195, 31, v195
	v_lshlrev_b32_e32 v194, 25, v71
	v_ashrrev_i32_e32 v72, 31, v72
	v_lshlrev_b32_e32 v75, 24, v71
	s_wait_alu 0xfffd
	v_xor_b32_e32 v70, vcc_lo, v70
	v_cmp_gt_i32_e32 vcc_lo, 0, v73
	v_not_b32_e32 v73, v74
	s_wait_alu 0xf1ff
	v_xor_b32_e32 v195, s15, v195
	v_cmp_gt_i32_e64 s15, 0, v74
	v_and_b32_e32 v70, exec_lo, v70
	v_not_b32_e32 v74, v76
	v_ashrrev_i32_e32 v73, 31, v73
	s_wait_alu 0xfffd
	v_xor_b32_e32 v72, vcc_lo, v72
	v_cmp_gt_i32_e32 vcc_lo, 0, v76
	v_and_b32_e32 v70, v70, v195
	v_not_b32_e32 v76, v77
	v_ashrrev_i32_e32 v74, 31, v74
	s_wait_alu 0xf1ff
	v_xor_b32_e32 v73, s15, v73
	v_cmp_gt_i32_e64 s15, 0, v77
	v_and_b32_e32 v70, v70, v72
	v_not_b32_e32 v72, v194
	v_ashrrev_i32_e32 v76, 31, v76
	s_wait_alu 0xfffd
	v_xor_b32_e32 v74, vcc_lo, v74
	v_cmp_gt_i32_e32 vcc_lo, 0, v194
	v_and_b32_e32 v70, v70, v73
	v_not_b32_e32 v73, v75
	v_ashrrev_i32_e32 v72, 31, v72
	s_wait_alu 0xf1ff
	v_xor_b32_e32 v76, s15, v76
	v_cmp_gt_i32_e64 s15, 0, v75
	v_and_b32_e32 v70, v70, v74
	v_ashrrev_i32_e32 v73, 31, v73
	s_wait_alu 0xfffd
	v_xor_b32_e32 v72, vcc_lo, v72
	v_mad_u32_u24 v74, v71, 36, v147
	v_mul_u32_u24_e32 v71, 36, v71
	v_and_b32_e32 v70, v70, v76
	s_wait_alu 0xf1ff
	v_xor_b32_e32 v73, s15, v73
	ds_load_b32 v194, v74 offset:1056
	v_add_nc_u32_e32 v196, v147, v71
	v_and_b32_e32 v70, v70, v72
	; wave barrier
	s_delay_alu instid0(VALU_DEP_1) | instskip(NEXT) | instid1(VALU_DEP_1)
	v_and_b32_e32 v70, v70, v73
	v_mbcnt_lo_u32_b32 v195, v70, 0
	v_cmp_ne_u32_e64 s15, 0, v70
	s_delay_alu instid0(VALU_DEP_2)
	v_cmp_eq_u32_e32 vcc_lo, 0, v195
	s_and_b32 s16, s15, vcc_lo
	s_wait_alu 0xfffe
	s_and_saveexec_b32 s15, s16
	s_cbranch_execz .LBB842_1038
; %bb.1037:                             ;   in Loop: Header=BB842_982 Depth=2
	s_wait_dscnt 0x0
	v_bcnt_u32_b32 v70, v70, v194
	ds_store_b32 v196, v70 offset:1056
.LBB842_1038:                           ;   in Loop: Header=BB842_982 Depth=2
	s_wait_alu 0xfffe
	s_or_b32 exec_lo, exec_lo, s15
	v_xor_b32_e32 v61, 0x80000000, v61
	; wave barrier
	s_delay_alu instid0(VALU_DEP_1) | instskip(NEXT) | instid1(VALU_DEP_1)
	v_lshrrev_b64 v[70:71], s31, v[60:61]
	v_and_b32_e32 v71, s54, v70
	s_delay_alu instid0(VALU_DEP_1)
	v_and_b32_e32 v70, 1, v71
	v_lshlrev_b32_e32 v72, 30, v71
	v_lshlrev_b32_e32 v73, 29, v71
	;; [unrolled: 1-line block ×4, first 2 shown]
	v_add_co_u32 v70, s15, v70, -1
	s_wait_alu 0xf1ff
	v_cndmask_b32_e64 v75, 0, 1, s15
	v_not_b32_e32 v198, v72
	v_cmp_gt_i32_e64 s15, 0, v72
	v_not_b32_e32 v72, v73
	v_lshlrev_b32_e32 v77, 26, v71
	v_cmp_ne_u32_e32 vcc_lo, 0, v75
	v_ashrrev_i32_e32 v198, 31, v198
	v_lshlrev_b32_e32 v197, 25, v71
	v_ashrrev_i32_e32 v72, 31, v72
	v_lshlrev_b32_e32 v75, 24, v71
	s_wait_alu 0xfffd
	v_xor_b32_e32 v70, vcc_lo, v70
	v_cmp_gt_i32_e32 vcc_lo, 0, v73
	v_not_b32_e32 v73, v74
	s_wait_alu 0xf1ff
	v_xor_b32_e32 v198, s15, v198
	v_cmp_gt_i32_e64 s15, 0, v74
	v_and_b32_e32 v70, exec_lo, v70
	v_not_b32_e32 v74, v76
	v_ashrrev_i32_e32 v73, 31, v73
	s_wait_alu 0xfffd
	v_xor_b32_e32 v72, vcc_lo, v72
	v_cmp_gt_i32_e32 vcc_lo, 0, v76
	v_and_b32_e32 v70, v70, v198
	v_not_b32_e32 v76, v77
	v_ashrrev_i32_e32 v74, 31, v74
	s_wait_alu 0xf1ff
	v_xor_b32_e32 v73, s15, v73
	v_cmp_gt_i32_e64 s15, 0, v77
	v_and_b32_e32 v70, v70, v72
	v_not_b32_e32 v72, v197
	v_ashrrev_i32_e32 v76, 31, v76
	s_wait_alu 0xfffd
	v_xor_b32_e32 v74, vcc_lo, v74
	v_cmp_gt_i32_e32 vcc_lo, 0, v197
	v_and_b32_e32 v70, v70, v73
	v_not_b32_e32 v73, v75
	v_ashrrev_i32_e32 v72, 31, v72
	s_wait_alu 0xf1ff
	v_xor_b32_e32 v76, s15, v76
	v_cmp_gt_i32_e64 s15, 0, v75
	v_and_b32_e32 v70, v70, v74
	v_ashrrev_i32_e32 v73, 31, v73
	s_wait_alu 0xfffd
	v_xor_b32_e32 v72, vcc_lo, v72
	v_mad_u32_u24 v74, v71, 36, v147
	v_mul_u32_u24_e32 v71, 36, v71
	v_and_b32_e32 v70, v70, v76
	s_wait_alu 0xf1ff
	v_xor_b32_e32 v73, s15, v73
	ds_load_b32 v197, v74 offset:1056
	v_add_nc_u32_e32 v199, v147, v71
	v_and_b32_e32 v70, v70, v72
	; wave barrier
	s_delay_alu instid0(VALU_DEP_1) | instskip(NEXT) | instid1(VALU_DEP_1)
	v_and_b32_e32 v70, v70, v73
	v_mbcnt_lo_u32_b32 v198, v70, 0
	v_cmp_ne_u32_e64 s15, 0, v70
	s_delay_alu instid0(VALU_DEP_2)
	v_cmp_eq_u32_e32 vcc_lo, 0, v198
	s_and_b32 s16, s15, vcc_lo
	s_wait_alu 0xfffe
	s_and_saveexec_b32 s15, s16
	s_cbranch_execz .LBB842_1040
; %bb.1039:                             ;   in Loop: Header=BB842_982 Depth=2
	s_wait_dscnt 0x0
	v_bcnt_u32_b32 v70, v70, v197
	ds_store_b32 v199, v70 offset:1056
.LBB842_1040:                           ;   in Loop: Header=BB842_982 Depth=2
	s_wait_alu 0xfffe
	s_or_b32 exec_lo, exec_lo, s15
	v_xor_b32_e32 v59, 0x80000000, v59
	; wave barrier
	s_delay_alu instid0(VALU_DEP_1) | instskip(NEXT) | instid1(VALU_DEP_1)
	v_lshrrev_b64 v[70:71], s31, v[58:59]
	v_and_b32_e32 v71, s54, v70
	s_delay_alu instid0(VALU_DEP_1)
	v_and_b32_e32 v70, 1, v71
	v_lshlrev_b32_e32 v72, 30, v71
	v_lshlrev_b32_e32 v73, 29, v71
	;; [unrolled: 1-line block ×4, first 2 shown]
	v_add_co_u32 v70, s15, v70, -1
	s_wait_alu 0xf1ff
	v_cndmask_b32_e64 v75, 0, 1, s15
	v_not_b32_e32 v201, v72
	v_cmp_gt_i32_e64 s15, 0, v72
	v_not_b32_e32 v72, v73
	v_lshlrev_b32_e32 v77, 26, v71
	v_cmp_ne_u32_e32 vcc_lo, 0, v75
	v_ashrrev_i32_e32 v201, 31, v201
	v_lshlrev_b32_e32 v200, 25, v71
	v_ashrrev_i32_e32 v72, 31, v72
	v_lshlrev_b32_e32 v75, 24, v71
	s_wait_alu 0xfffd
	v_xor_b32_e32 v70, vcc_lo, v70
	v_cmp_gt_i32_e32 vcc_lo, 0, v73
	v_not_b32_e32 v73, v74
	s_wait_alu 0xf1ff
	v_xor_b32_e32 v201, s15, v201
	v_cmp_gt_i32_e64 s15, 0, v74
	v_and_b32_e32 v70, exec_lo, v70
	v_not_b32_e32 v74, v76
	v_ashrrev_i32_e32 v73, 31, v73
	s_wait_alu 0xfffd
	v_xor_b32_e32 v72, vcc_lo, v72
	v_cmp_gt_i32_e32 vcc_lo, 0, v76
	v_and_b32_e32 v70, v70, v201
	v_not_b32_e32 v76, v77
	v_ashrrev_i32_e32 v74, 31, v74
	s_wait_alu 0xf1ff
	v_xor_b32_e32 v73, s15, v73
	v_cmp_gt_i32_e64 s15, 0, v77
	v_and_b32_e32 v70, v70, v72
	v_not_b32_e32 v72, v200
	v_ashrrev_i32_e32 v76, 31, v76
	s_wait_alu 0xfffd
	v_xor_b32_e32 v74, vcc_lo, v74
	v_cmp_gt_i32_e32 vcc_lo, 0, v200
	v_and_b32_e32 v70, v70, v73
	v_not_b32_e32 v73, v75
	v_ashrrev_i32_e32 v72, 31, v72
	s_wait_alu 0xf1ff
	v_xor_b32_e32 v76, s15, v76
	v_cmp_gt_i32_e64 s15, 0, v75
	v_and_b32_e32 v70, v70, v74
	v_ashrrev_i32_e32 v73, 31, v73
	s_wait_alu 0xfffd
	v_xor_b32_e32 v72, vcc_lo, v72
	v_mad_u32_u24 v74, v71, 36, v147
	v_mul_u32_u24_e32 v71, 36, v71
	v_and_b32_e32 v70, v70, v76
	s_wait_alu 0xf1ff
	v_xor_b32_e32 v73, s15, v73
	ds_load_b32 v200, v74 offset:1056
	v_add_nc_u32_e32 v202, v147, v71
	v_and_b32_e32 v70, v70, v72
	; wave barrier
	s_delay_alu instid0(VALU_DEP_1) | instskip(NEXT) | instid1(VALU_DEP_1)
	v_and_b32_e32 v70, v70, v73
	v_mbcnt_lo_u32_b32 v201, v70, 0
	v_cmp_ne_u32_e64 s15, 0, v70
	s_delay_alu instid0(VALU_DEP_2)
	v_cmp_eq_u32_e32 vcc_lo, 0, v201
	s_and_b32 s16, s15, vcc_lo
	s_wait_alu 0xfffe
	s_and_saveexec_b32 s15, s16
	s_cbranch_execz .LBB842_1042
; %bb.1041:                             ;   in Loop: Header=BB842_982 Depth=2
	s_wait_dscnt 0x0
	v_bcnt_u32_b32 v70, v70, v200
	ds_store_b32 v202, v70 offset:1056
.LBB842_1042:                           ;   in Loop: Header=BB842_982 Depth=2
	s_wait_alu 0xfffe
	s_or_b32 exec_lo, exec_lo, s15
	v_xor_b32_e32 v63, 0x80000000, v63
	; wave barrier
	s_delay_alu instid0(VALU_DEP_1) | instskip(NEXT) | instid1(VALU_DEP_1)
	v_lshrrev_b64 v[70:71], s31, v[62:63]
	v_and_b32_e32 v71, s54, v70
	s_delay_alu instid0(VALU_DEP_1)
	v_and_b32_e32 v70, 1, v71
	v_lshlrev_b32_e32 v72, 30, v71
	v_lshlrev_b32_e32 v73, 29, v71
	;; [unrolled: 1-line block ×4, first 2 shown]
	v_add_co_u32 v70, s15, v70, -1
	s_wait_alu 0xf1ff
	v_cndmask_b32_e64 v75, 0, 1, s15
	v_not_b32_e32 v204, v72
	v_cmp_gt_i32_e64 s15, 0, v72
	v_not_b32_e32 v72, v73
	v_lshlrev_b32_e32 v77, 26, v71
	v_cmp_ne_u32_e32 vcc_lo, 0, v75
	v_ashrrev_i32_e32 v204, 31, v204
	v_lshlrev_b32_e32 v203, 25, v71
	v_ashrrev_i32_e32 v72, 31, v72
	v_lshlrev_b32_e32 v75, 24, v71
	s_wait_alu 0xfffd
	v_xor_b32_e32 v70, vcc_lo, v70
	v_cmp_gt_i32_e32 vcc_lo, 0, v73
	v_not_b32_e32 v73, v74
	s_wait_alu 0xf1ff
	v_xor_b32_e32 v204, s15, v204
	v_cmp_gt_i32_e64 s15, 0, v74
	v_and_b32_e32 v70, exec_lo, v70
	v_not_b32_e32 v74, v76
	v_ashrrev_i32_e32 v73, 31, v73
	s_wait_alu 0xfffd
	v_xor_b32_e32 v72, vcc_lo, v72
	v_cmp_gt_i32_e32 vcc_lo, 0, v76
	v_and_b32_e32 v70, v70, v204
	v_not_b32_e32 v76, v77
	v_ashrrev_i32_e32 v74, 31, v74
	s_wait_alu 0xf1ff
	v_xor_b32_e32 v73, s15, v73
	v_cmp_gt_i32_e64 s15, 0, v77
	v_and_b32_e32 v70, v70, v72
	v_not_b32_e32 v72, v203
	v_ashrrev_i32_e32 v76, 31, v76
	s_wait_alu 0xfffd
	v_xor_b32_e32 v74, vcc_lo, v74
	v_cmp_gt_i32_e32 vcc_lo, 0, v203
	v_and_b32_e32 v70, v70, v73
	v_not_b32_e32 v73, v75
	v_ashrrev_i32_e32 v72, 31, v72
	s_wait_alu 0xf1ff
	v_xor_b32_e32 v76, s15, v76
	v_cmp_gt_i32_e64 s15, 0, v75
	v_and_b32_e32 v70, v70, v74
	v_ashrrev_i32_e32 v73, 31, v73
	s_wait_alu 0xfffd
	v_xor_b32_e32 v72, vcc_lo, v72
	v_mad_u32_u24 v74, v71, 36, v147
	v_mul_u32_u24_e32 v71, 36, v71
	v_and_b32_e32 v70, v70, v76
	s_wait_alu 0xf1ff
	v_xor_b32_e32 v73, s15, v73
	ds_load_b32 v203, v74 offset:1056
	v_add_nc_u32_e32 v206, v147, v71
	v_and_b32_e32 v70, v70, v72
	; wave barrier
	s_delay_alu instid0(VALU_DEP_1) | instskip(NEXT) | instid1(VALU_DEP_1)
	v_and_b32_e32 v70, v70, v73
	v_mbcnt_lo_u32_b32 v204, v70, 0
	v_cmp_ne_u32_e64 s15, 0, v70
	s_delay_alu instid0(VALU_DEP_2)
	v_cmp_eq_u32_e32 vcc_lo, 0, v204
	s_and_b32 s16, s15, vcc_lo
	s_wait_alu 0xfffe
	s_and_saveexec_b32 s15, s16
	s_cbranch_execz .LBB842_1044
; %bb.1043:                             ;   in Loop: Header=BB842_982 Depth=2
	s_wait_dscnt 0x0
	v_bcnt_u32_b32 v70, v70, v203
	ds_store_b32 v206, v70 offset:1056
.LBB842_1044:                           ;   in Loop: Header=BB842_982 Depth=2
	s_wait_alu 0xfffe
	s_or_b32 exec_lo, exec_lo, s15
	v_xor_b32_e32 v65, 0x80000000, v65
	; wave barrier
	s_delay_alu instid0(VALU_DEP_1) | instskip(NEXT) | instid1(VALU_DEP_1)
	v_lshrrev_b64 v[70:71], s31, v[64:65]
	v_and_b32_e32 v71, s54, v70
	s_delay_alu instid0(VALU_DEP_1)
	v_and_b32_e32 v70, 1, v71
	v_lshlrev_b32_e32 v72, 30, v71
	v_lshlrev_b32_e32 v73, 29, v71
	;; [unrolled: 1-line block ×4, first 2 shown]
	v_add_co_u32 v70, s15, v70, -1
	s_wait_alu 0xf1ff
	v_cndmask_b32_e64 v75, 0, 1, s15
	v_not_b32_e32 v207, v72
	v_cmp_gt_i32_e64 s15, 0, v72
	v_not_b32_e32 v72, v73
	v_lshlrev_b32_e32 v77, 26, v71
	v_cmp_ne_u32_e32 vcc_lo, 0, v75
	v_ashrrev_i32_e32 v207, 31, v207
	v_lshlrev_b32_e32 v205, 25, v71
	v_ashrrev_i32_e32 v72, 31, v72
	v_lshlrev_b32_e32 v75, 24, v71
	s_wait_alu 0xfffd
	v_xor_b32_e32 v70, vcc_lo, v70
	v_cmp_gt_i32_e32 vcc_lo, 0, v73
	v_not_b32_e32 v73, v74
	s_wait_alu 0xf1ff
	v_xor_b32_e32 v207, s15, v207
	v_cmp_gt_i32_e64 s15, 0, v74
	v_and_b32_e32 v70, exec_lo, v70
	v_not_b32_e32 v74, v76
	v_ashrrev_i32_e32 v73, 31, v73
	s_wait_alu 0xfffd
	v_xor_b32_e32 v72, vcc_lo, v72
	v_cmp_gt_i32_e32 vcc_lo, 0, v76
	v_and_b32_e32 v70, v70, v207
	v_not_b32_e32 v76, v77
	v_ashrrev_i32_e32 v74, 31, v74
	s_wait_alu 0xf1ff
	v_xor_b32_e32 v73, s15, v73
	v_cmp_gt_i32_e64 s15, 0, v77
	v_and_b32_e32 v70, v70, v72
	v_not_b32_e32 v72, v205
	v_ashrrev_i32_e32 v76, 31, v76
	s_wait_alu 0xfffd
	v_xor_b32_e32 v74, vcc_lo, v74
	v_cmp_gt_i32_e32 vcc_lo, 0, v205
	v_and_b32_e32 v70, v70, v73
	v_not_b32_e32 v73, v75
	v_ashrrev_i32_e32 v72, 31, v72
	s_wait_alu 0xf1ff
	v_xor_b32_e32 v76, s15, v76
	v_cmp_gt_i32_e64 s15, 0, v75
	v_and_b32_e32 v70, v70, v74
	v_ashrrev_i32_e32 v73, 31, v73
	s_wait_alu 0xfffd
	v_xor_b32_e32 v72, vcc_lo, v72
	v_mad_u32_u24 v74, v71, 36, v147
	v_mul_u32_u24_e32 v71, 36, v71
	v_and_b32_e32 v70, v70, v76
	s_wait_alu 0xf1ff
	v_xor_b32_e32 v73, s15, v73
	ds_load_b32 v205, v74 offset:1056
	v_add_nc_u32_e32 v209, v147, v71
	v_and_b32_e32 v70, v70, v72
	; wave barrier
	s_delay_alu instid0(VALU_DEP_1) | instskip(NEXT) | instid1(VALU_DEP_1)
	v_and_b32_e32 v70, v70, v73
	v_mbcnt_lo_u32_b32 v207, v70, 0
	v_cmp_ne_u32_e64 s15, 0, v70
	s_delay_alu instid0(VALU_DEP_2)
	v_cmp_eq_u32_e32 vcc_lo, 0, v207
	s_and_b32 s16, s15, vcc_lo
	s_wait_alu 0xfffe
	s_and_saveexec_b32 s15, s16
	s_cbranch_execz .LBB842_1046
; %bb.1045:                             ;   in Loop: Header=BB842_982 Depth=2
	s_wait_dscnt 0x0
	v_bcnt_u32_b32 v70, v70, v205
	ds_store_b32 v209, v70 offset:1056
.LBB842_1046:                           ;   in Loop: Header=BB842_982 Depth=2
	s_wait_alu 0xfffe
	s_or_b32 exec_lo, exec_lo, s15
	v_xor_b32_e32 v67, 0x80000000, v67
	; wave barrier
	s_delay_alu instid0(VALU_DEP_1) | instskip(NEXT) | instid1(VALU_DEP_1)
	v_lshrrev_b64 v[70:71], s31, v[66:67]
	v_and_b32_e32 v71, s54, v70
	s_delay_alu instid0(VALU_DEP_1)
	v_and_b32_e32 v70, 1, v71
	v_lshlrev_b32_e32 v72, 30, v71
	v_lshlrev_b32_e32 v73, 29, v71
	;; [unrolled: 1-line block ×4, first 2 shown]
	v_add_co_u32 v70, s15, v70, -1
	s_wait_alu 0xf1ff
	v_cndmask_b32_e64 v75, 0, 1, s15
	v_not_b32_e32 v210, v72
	v_cmp_gt_i32_e64 s15, 0, v72
	v_not_b32_e32 v72, v73
	v_lshlrev_b32_e32 v77, 26, v71
	v_cmp_ne_u32_e32 vcc_lo, 0, v75
	v_ashrrev_i32_e32 v210, 31, v210
	v_lshlrev_b32_e32 v208, 25, v71
	v_ashrrev_i32_e32 v72, 31, v72
	v_lshlrev_b32_e32 v75, 24, v71
	s_wait_alu 0xfffd
	v_xor_b32_e32 v70, vcc_lo, v70
	v_cmp_gt_i32_e32 vcc_lo, 0, v73
	v_not_b32_e32 v73, v74
	s_wait_alu 0xf1ff
	v_xor_b32_e32 v210, s15, v210
	v_cmp_gt_i32_e64 s15, 0, v74
	v_and_b32_e32 v70, exec_lo, v70
	v_not_b32_e32 v74, v76
	v_ashrrev_i32_e32 v73, 31, v73
	s_wait_alu 0xfffd
	v_xor_b32_e32 v72, vcc_lo, v72
	v_cmp_gt_i32_e32 vcc_lo, 0, v76
	v_and_b32_e32 v70, v70, v210
	v_not_b32_e32 v76, v77
	v_ashrrev_i32_e32 v74, 31, v74
	s_wait_alu 0xf1ff
	v_xor_b32_e32 v73, s15, v73
	v_cmp_gt_i32_e64 s15, 0, v77
	v_and_b32_e32 v70, v70, v72
	v_not_b32_e32 v72, v208
	v_ashrrev_i32_e32 v76, 31, v76
	s_wait_alu 0xfffd
	v_xor_b32_e32 v74, vcc_lo, v74
	v_cmp_gt_i32_e32 vcc_lo, 0, v208
	v_and_b32_e32 v70, v70, v73
	v_not_b32_e32 v73, v75
	v_ashrrev_i32_e32 v72, 31, v72
	s_wait_alu 0xf1ff
	v_xor_b32_e32 v76, s15, v76
	v_cmp_gt_i32_e64 s15, 0, v75
	v_and_b32_e32 v70, v70, v74
	v_ashrrev_i32_e32 v73, 31, v73
	s_wait_alu 0xfffd
	v_xor_b32_e32 v72, vcc_lo, v72
	v_mad_u32_u24 v74, v71, 36, v147
	v_mul_u32_u24_e32 v71, 36, v71
	v_and_b32_e32 v70, v70, v76
	s_wait_alu 0xf1ff
	v_xor_b32_e32 v73, s15, v73
	ds_load_b32 v208, v74 offset:1056
	v_add_nc_u32_e32 v213, v147, v71
	v_and_b32_e32 v70, v70, v72
	; wave barrier
	s_delay_alu instid0(VALU_DEP_1) | instskip(NEXT) | instid1(VALU_DEP_1)
	v_and_b32_e32 v70, v70, v73
	v_mbcnt_lo_u32_b32 v210, v70, 0
	v_cmp_ne_u32_e64 s15, 0, v70
	s_delay_alu instid0(VALU_DEP_2)
	v_cmp_eq_u32_e32 vcc_lo, 0, v210
	s_and_b32 s16, s15, vcc_lo
	s_wait_alu 0xfffe
	s_and_saveexec_b32 s15, s16
	s_cbranch_execz .LBB842_1048
; %bb.1047:                             ;   in Loop: Header=BB842_982 Depth=2
	s_wait_dscnt 0x0
	v_bcnt_u32_b32 v70, v70, v208
	ds_store_b32 v213, v70 offset:1056
.LBB842_1048:                           ;   in Loop: Header=BB842_982 Depth=2
	s_wait_alu 0xfffe
	s_or_b32 exec_lo, exec_lo, s15
	v_lshrrev_b64 v[70:71], s31, v[68:69]
	; wave barrier
	s_delay_alu instid0(VALU_DEP_1) | instskip(NEXT) | instid1(VALU_DEP_1)
	v_and_b32_e32 v71, s54, v70
	v_and_b32_e32 v70, 1, v71
	v_lshlrev_b32_e32 v72, 30, v71
	v_lshlrev_b32_e32 v73, 29, v71
	;; [unrolled: 1-line block ×4, first 2 shown]
	v_add_co_u32 v70, s15, v70, -1
	s_wait_alu 0xf1ff
	v_cndmask_b32_e64 v75, 0, 1, s15
	v_not_b32_e32 v212, v72
	v_cmp_gt_i32_e64 s15, 0, v72
	v_not_b32_e32 v72, v73
	v_lshlrev_b32_e32 v77, 26, v71
	v_cmp_ne_u32_e32 vcc_lo, 0, v75
	v_ashrrev_i32_e32 v212, 31, v212
	v_lshlrev_b32_e32 v211, 25, v71
	v_ashrrev_i32_e32 v72, 31, v72
	v_lshlrev_b32_e32 v75, 24, v71
	s_wait_alu 0xfffd
	v_xor_b32_e32 v70, vcc_lo, v70
	v_cmp_gt_i32_e32 vcc_lo, 0, v73
	v_not_b32_e32 v73, v74
	s_wait_alu 0xf1ff
	v_xor_b32_e32 v212, s15, v212
	v_cmp_gt_i32_e64 s15, 0, v74
	v_and_b32_e32 v70, exec_lo, v70
	v_not_b32_e32 v74, v76
	v_ashrrev_i32_e32 v73, 31, v73
	s_wait_alu 0xfffd
	v_xor_b32_e32 v72, vcc_lo, v72
	v_cmp_gt_i32_e32 vcc_lo, 0, v76
	v_and_b32_e32 v70, v70, v212
	v_not_b32_e32 v76, v77
	v_ashrrev_i32_e32 v74, 31, v74
	s_wait_alu 0xf1ff
	v_xor_b32_e32 v73, s15, v73
	v_cmp_gt_i32_e64 s15, 0, v77
	v_and_b32_e32 v70, v70, v72
	v_not_b32_e32 v72, v211
	v_ashrrev_i32_e32 v76, 31, v76
	s_wait_alu 0xfffd
	v_xor_b32_e32 v74, vcc_lo, v74
	v_cmp_gt_i32_e32 vcc_lo, 0, v211
	v_and_b32_e32 v70, v70, v73
	v_not_b32_e32 v73, v75
	v_ashrrev_i32_e32 v72, 31, v72
	s_wait_alu 0xf1ff
	v_xor_b32_e32 v76, s15, v76
	v_cmp_gt_i32_e64 s15, 0, v75
	v_and_b32_e32 v70, v70, v74
	v_ashrrev_i32_e32 v73, 31, v73
	s_wait_alu 0xfffd
	v_xor_b32_e32 v72, vcc_lo, v72
	v_mad_u32_u24 v74, v71, 36, v147
	v_mul_u32_u24_e32 v71, 36, v71
	v_and_b32_e32 v70, v70, v76
	s_wait_alu 0xf1ff
	v_xor_b32_e32 v73, s15, v73
	ds_load_b32 v211, v74 offset:1056
	v_add_nc_u32_e32 v214, v147, v71
	v_and_b32_e32 v70, v70, v72
	; wave barrier
	s_delay_alu instid0(VALU_DEP_1) | instskip(NEXT) | instid1(VALU_DEP_1)
	v_and_b32_e32 v70, v70, v73
	v_mbcnt_lo_u32_b32 v212, v70, 0
	v_cmp_ne_u32_e64 s15, 0, v70
	s_delay_alu instid0(VALU_DEP_2)
	v_cmp_eq_u32_e32 vcc_lo, 0, v212
	s_and_b32 s16, s15, vcc_lo
	s_wait_alu 0xfffe
	s_and_saveexec_b32 s15, s16
	s_cbranch_execz .LBB842_1050
; %bb.1049:                             ;   in Loop: Header=BB842_982 Depth=2
	s_wait_dscnt 0x0
	v_bcnt_u32_b32 v70, v70, v211
	ds_store_b32 v214, v70 offset:1056
.LBB842_1050:                           ;   in Loop: Header=BB842_982 Depth=2
	s_wait_alu 0xfffe
	s_or_b32 exec_lo, exec_lo, s15
	; wave barrier
	s_wait_loadcnt_dscnt 0x0
	s_barrier_signal -1
	s_barrier_wait -1
	global_inv scope:SCOPE_SE
	ds_load_2addr_b32 v[76:77], v166 offset1:1
	ds_load_2addr_b32 v[74:75], v167 offset1:1
	;; [unrolled: 1-line block ×4, first 2 shown]
	ds_load_b32 v215, v102 offset:1088
	s_wait_dscnt 0x3
	v_add3_u32 v216, v77, v76, v74
	s_wait_dscnt 0x2
	s_delay_alu instid0(VALU_DEP_1) | instskip(SKIP_1) | instid1(VALU_DEP_1)
	v_add3_u32 v216, v216, v75, v72
	s_wait_dscnt 0x1
	v_add3_u32 v216, v216, v73, v70
	s_wait_dscnt 0x0
	s_delay_alu instid0(VALU_DEP_1) | instskip(NEXT) | instid1(VALU_DEP_1)
	v_add3_u32 v215, v216, v71, v215
	v_mov_b32_dpp v216, v215 row_shr:1 row_mask:0xf bank_mask:0xf
	s_delay_alu instid0(VALU_DEP_1) | instskip(NEXT) | instid1(VALU_DEP_1)
	v_cndmask_b32_e64 v216, v216, 0, s0
	v_add_nc_u32_e32 v215, v216, v215
	s_delay_alu instid0(VALU_DEP_1) | instskip(NEXT) | instid1(VALU_DEP_1)
	v_mov_b32_dpp v216, v215 row_shr:2 row_mask:0xf bank_mask:0xf
	v_cndmask_b32_e64 v216, 0, v216, s1
	s_delay_alu instid0(VALU_DEP_1) | instskip(NEXT) | instid1(VALU_DEP_1)
	v_add_nc_u32_e32 v215, v215, v216
	v_mov_b32_dpp v216, v215 row_shr:4 row_mask:0xf bank_mask:0xf
	s_delay_alu instid0(VALU_DEP_1) | instskip(NEXT) | instid1(VALU_DEP_1)
	v_cndmask_b32_e64 v216, 0, v216, s8
	v_add_nc_u32_e32 v215, v215, v216
	s_delay_alu instid0(VALU_DEP_1) | instskip(NEXT) | instid1(VALU_DEP_1)
	v_mov_b32_dpp v216, v215 row_shr:8 row_mask:0xf bank_mask:0xf
	v_cndmask_b32_e64 v216, 0, v216, s9
	s_delay_alu instid0(VALU_DEP_1) | instskip(SKIP_3) | instid1(VALU_DEP_1)
	v_add_nc_u32_e32 v215, v215, v216
	ds_swizzle_b32 v216, v215 offset:swizzle(BROADCAST,32,15)
	s_wait_dscnt 0x0
	v_cndmask_b32_e64 v216, v216, 0, s10
	v_add_nc_u32_e32 v215, v215, v216
	s_and_saveexec_b32 s15, s3
; %bb.1051:                             ;   in Loop: Header=BB842_982 Depth=2
	ds_store_b32 v97, v215 offset:1024
; %bb.1052:                             ;   in Loop: Header=BB842_982 Depth=2
	s_wait_alu 0xfffe
	s_or_b32 exec_lo, exec_lo, s15
	s_wait_loadcnt_dscnt 0x0
	s_barrier_signal -1
	s_barrier_wait -1
	global_inv scope:SCOPE_SE
	s_and_saveexec_b32 s15, s4
	s_cbranch_execz .LBB842_1054
; %bb.1053:                             ;   in Loop: Header=BB842_982 Depth=2
	ds_load_b32 v216, v105 offset:1024
	s_wait_dscnt 0x0
	v_mov_b32_dpp v217, v216 row_shr:1 row_mask:0xf bank_mask:0xf
	s_delay_alu instid0(VALU_DEP_1) | instskip(NEXT) | instid1(VALU_DEP_1)
	v_cndmask_b32_e64 v217, v217, 0, s12
	v_add_nc_u32_e32 v216, v217, v216
	s_delay_alu instid0(VALU_DEP_1) | instskip(NEXT) | instid1(VALU_DEP_1)
	v_mov_b32_dpp v217, v216 row_shr:2 row_mask:0xf bank_mask:0xf
	v_cndmask_b32_e64 v217, 0, v217, s13
	s_delay_alu instid0(VALU_DEP_1) | instskip(NEXT) | instid1(VALU_DEP_1)
	v_add_nc_u32_e32 v216, v216, v217
	v_mov_b32_dpp v217, v216 row_shr:4 row_mask:0xf bank_mask:0xf
	s_delay_alu instid0(VALU_DEP_1) | instskip(NEXT) | instid1(VALU_DEP_1)
	v_cndmask_b32_e64 v217, 0, v217, s14
	v_add_nc_u32_e32 v216, v216, v217
	ds_store_b32 v105, v216 offset:1024
.LBB842_1054:                           ;   in Loop: Header=BB842_982 Depth=2
	s_wait_alu 0xfffe
	s_or_b32 exec_lo, exec_lo, s15
	v_mov_b32_e32 v216, 0
	s_wait_loadcnt_dscnt 0x0
	s_barrier_signal -1
	s_barrier_wait -1
	global_inv scope:SCOPE_SE
	s_and_saveexec_b32 s15, s5
; %bb.1055:                             ;   in Loop: Header=BB842_982 Depth=2
	ds_load_b32 v216, v97 offset:1020
; %bb.1056:                             ;   in Loop: Header=BB842_982 Depth=2
	s_wait_alu 0xfffe
	s_or_b32 exec_lo, exec_lo, s15
	s_wait_dscnt 0x0
	v_add_nc_u32_e32 v215, v216, v215
	ds_bpermute_b32 v215, v126, v215
	s_wait_dscnt 0x0
	v_cndmask_b32_e64 v215, v215, v216, s11
	s_delay_alu instid0(VALU_DEP_1) | instskip(NEXT) | instid1(VALU_DEP_1)
	v_cndmask_b32_e64 v215, v215, 0, s6
	v_add_nc_u32_e32 v76, v215, v76
	s_delay_alu instid0(VALU_DEP_1) | instskip(NEXT) | instid1(VALU_DEP_1)
	v_add_nc_u32_e32 v77, v76, v77
	v_add_nc_u32_e32 v74, v77, v74
	s_delay_alu instid0(VALU_DEP_1) | instskip(NEXT) | instid1(VALU_DEP_1)
	v_add_nc_u32_e32 v75, v74, v75
	;; [unrolled: 3-line block ×3, first 2 shown]
	v_add_nc_u32_e32 v70, v73, v70
	s_delay_alu instid0(VALU_DEP_1)
	v_add_nc_u32_e32 v71, v70, v71
	ds_store_2addr_b32 v165, v73, v70 offset1:1
	ds_store_2addr_b32 v166, v215, v76 offset1:1
	;; [unrolled: 1-line block ×4, first 2 shown]
	ds_store_b32 v102, v71 offset:1088
	s_wait_loadcnt_dscnt 0x0
	s_barrier_signal -1
	s_barrier_wait -1
	global_inv scope:SCOPE_SE
	ds_load_b32 v71, v169 offset:1056
	ds_load_b32 v216, v172 offset:1056
	;; [unrolled: 1-line block ×17, first 2 shown]
	v_mov_b32_e32 v70, 0x1000
	s_and_saveexec_b32 s15, s7
; %bb.1057:                             ;   in Loop: Header=BB842_982 Depth=2
	ds_load_b32 v70, v102 offset:1092
; %bb.1058:                             ;   in Loop: Header=BB842_982 Depth=2
	s_wait_alu 0xfffe
	s_or_b32 exec_lo, exec_lo, s15
	s_wait_loadcnt_dscnt 0x0
	s_barrier_signal -1
	s_barrier_wait -1
	global_inv scope:SCOPE_SE
	s_and_saveexec_b32 s15, s2
	s_cbranch_execz .LBB842_1060
; %bb.1059:                             ;   in Loop: Header=BB842_982 Depth=2
	ds_load_b32 v181, v78
	s_wait_dscnt 0x0
	v_sub_nc_u32_e32 v178, v181, v178
	ds_store_b32 v78, v178
.LBB842_1060:                           ;   in Loop: Header=BB842_982 Depth=2
	s_wait_alu 0xfffe
	s_or_b32 exec_lo, exec_lo, s15
	v_lshlrev_b32_e32 v2, 3, v2
	v_lshlrev_b32_e32 v171, 3, v171
	;; [unrolled: 1-line block ×5, first 2 shown]
	v_lshl_add_u32 v71, v71, 3, v2
	v_lshlrev_b32_e32 v2, 3, v173
	v_lshlrev_b32_e32 v173, 3, v215
	;; [unrolled: 1-line block ×11, first 2 shown]
	ds_store_b64 v71, v[40:41] offset:1024
	v_add3_u32 v40, v171, v170, v178
	v_add3_u32 v41, v174, v2, v173
	v_add3_u32 v72, v177, v176, v74
	v_add3_u32 v73, v180, v179, v73
	v_add3_u32 v74, v181, v182, v183
	ds_store_b64 v40, v[38:39] offset:1024
	ds_store_b64 v41, v[42:43] offset:1024
	;; [unrolled: 1-line block ×5, first 2 shown]
	v_lshlrev_b32_e32 v2, 3, v186
	v_lshlrev_b32_e32 v38, 3, v185
	;; [unrolled: 1-line block ×15, first 2 shown]
	v_add3_u32 v42, v2, v38, v39
	v_add3_u32 v43, v43, v44, v45
	;; [unrolled: 1-line block ×5, first 2 shown]
	ds_store_b64 v42, v[48:49] offset:1024
	ds_store_b64 v43, v[52:53] offset:1024
	;; [unrolled: 1-line block ×5, first 2 shown]
	v_lshlrev_b32_e32 v2, 3, v201
	v_lshlrev_b32_e32 v38, 3, v200
	;; [unrolled: 1-line block ×15, first 2 shown]
	v_add3_u32 v47, v2, v38, v39
	v_add3_u32 v48, v48, v49, v50
	;; [unrolled: 1-line block ×5, first 2 shown]
	v_cmp_lt_u32_e32 vcc_lo, v1, v164
	ds_store_b64 v47, v[58:59] offset:1024
	ds_store_b64 v48, v[62:63] offset:1024
	;; [unrolled: 1-line block ×5, first 2 shown]
	s_wait_loadcnt_dscnt 0x0
	s_barrier_signal -1
	s_barrier_wait -1
	global_inv scope:SCOPE_SE
	s_and_saveexec_b32 s16, vcc_lo
	s_cbranch_execnz .LBB842_1129
; %bb.1061:                             ;   in Loop: Header=BB842_982 Depth=2
	s_wait_alu 0xfffe
	s_or_b32 exec_lo, exec_lo, s16
	v_cmp_lt_u32_e64 s15, v79, v164
	s_and_saveexec_b32 s17, s15
	s_cbranch_execnz .LBB842_1130
.LBB842_1062:                           ;   in Loop: Header=BB842_982 Depth=2
	s_wait_alu 0xfffe
	s_or_b32 exec_lo, exec_lo, s17
	v_cmp_lt_u32_e64 s16, v80, v164
	s_and_saveexec_b32 s18, s16
	s_cbranch_execnz .LBB842_1131
.LBB842_1063:                           ;   in Loop: Header=BB842_982 Depth=2
	s_wait_alu 0xfffe
	s_or_b32 exec_lo, exec_lo, s18
	v_cmp_lt_u32_e64 s17, v81, v164
	s_and_saveexec_b32 s19, s17
	s_cbranch_execnz .LBB842_1132
.LBB842_1064:                           ;   in Loop: Header=BB842_982 Depth=2
	s_wait_alu 0xfffe
	s_or_b32 exec_lo, exec_lo, s19
	v_cmp_lt_u32_e64 s18, v84, v164
	s_and_saveexec_b32 s20, s18
	s_cbranch_execnz .LBB842_1133
.LBB842_1065:                           ;   in Loop: Header=BB842_982 Depth=2
	s_wait_alu 0xfffe
	s_or_b32 exec_lo, exec_lo, s20
	v_cmp_lt_u32_e64 s19, v85, v164
	s_and_saveexec_b32 s21, s19
	s_cbranch_execnz .LBB842_1134
.LBB842_1066:                           ;   in Loop: Header=BB842_982 Depth=2
	s_wait_alu 0xfffe
	s_or_b32 exec_lo, exec_lo, s21
	v_cmp_lt_u32_e64 s20, v86, v164
	s_and_saveexec_b32 s22, s20
	s_cbranch_execnz .LBB842_1135
.LBB842_1067:                           ;   in Loop: Header=BB842_982 Depth=2
	s_wait_alu 0xfffe
	s_or_b32 exec_lo, exec_lo, s22
	v_cmp_lt_u32_e64 s21, v87, v164
	s_and_saveexec_b32 s23, s21
	s_cbranch_execnz .LBB842_1136
.LBB842_1068:                           ;   in Loop: Header=BB842_982 Depth=2
	s_wait_alu 0xfffe
	s_or_b32 exec_lo, exec_lo, s23
	v_cmp_lt_u32_e64 s22, v88, v164
	s_and_saveexec_b32 s24, s22
	s_cbranch_execnz .LBB842_1137
.LBB842_1069:                           ;   in Loop: Header=BB842_982 Depth=2
	s_wait_alu 0xfffe
	s_or_b32 exec_lo, exec_lo, s24
	v_cmp_lt_u32_e64 s23, v89, v164
	s_and_saveexec_b32 s25, s23
	s_cbranch_execnz .LBB842_1138
.LBB842_1070:                           ;   in Loop: Header=BB842_982 Depth=2
	s_wait_alu 0xfffe
	s_or_b32 exec_lo, exec_lo, s25
	v_cmp_lt_u32_e64 s24, v90, v164
	s_and_saveexec_b32 s26, s24
	s_cbranch_execnz .LBB842_1139
.LBB842_1071:                           ;   in Loop: Header=BB842_982 Depth=2
	s_wait_alu 0xfffe
	s_or_b32 exec_lo, exec_lo, s26
	v_cmp_lt_u32_e64 s25, v91, v164
	s_and_saveexec_b32 s27, s25
	s_cbranch_execnz .LBB842_1140
.LBB842_1072:                           ;   in Loop: Header=BB842_982 Depth=2
	s_wait_alu 0xfffe
	s_or_b32 exec_lo, exec_lo, s27
	v_cmp_lt_u32_e64 s26, v92, v164
	s_and_saveexec_b32 s28, s26
	s_cbranch_execnz .LBB842_1141
.LBB842_1073:                           ;   in Loop: Header=BB842_982 Depth=2
	s_wait_alu 0xfffe
	s_or_b32 exec_lo, exec_lo, s28
	v_cmp_lt_u32_e64 s27, v93, v164
	s_and_saveexec_b32 s29, s27
	s_cbranch_execnz .LBB842_1142
.LBB842_1074:                           ;   in Loop: Header=BB842_982 Depth=2
	s_wait_alu 0xfffe
	s_or_b32 exec_lo, exec_lo, s29
	v_cmp_lt_u32_e64 s28, v94, v164
	s_and_saveexec_b32 s30, s28
	s_cbranch_execnz .LBB842_1143
.LBB842_1075:                           ;   in Loop: Header=BB842_982 Depth=2
	s_wait_alu 0xfffe
	s_or_b32 exec_lo, exec_lo, s30
	v_cmp_lt_u32_e64 s29, v95, v164
	s_and_saveexec_b32 s57, s29
	s_cbranch_execz .LBB842_1077
.LBB842_1076:                           ;   in Loop: Header=BB842_982 Depth=2
	ds_load_b64 v[38:39], v110 offset:31744
	s_wait_dscnt 0x0
	v_lshrrev_b64 v[52:53], s31, v[38:39]
	v_xor_b32_e32 v39, 0x80000000, v39
	s_delay_alu instid0(VALU_DEP_2) | instskip(NEXT) | instid1(VALU_DEP_1)
	v_and_b32_e32 v2, s54, v52
	v_lshlrev_b32_e32 v2, 2, v2
	ds_load_b32 v2, v2
	s_wait_dscnt 0x0
	v_add_nc_u32_e32 v2, v2, v95
	s_delay_alu instid0(VALU_DEP_1) | instskip(NEXT) | instid1(VALU_DEP_1)
	v_lshlrev_b64_e32 v[52:53], 3, v[2:3]
	v_add_co_u32 v52, s30, s40, v52
	s_wait_alu 0xf1ff
	s_delay_alu instid0(VALU_DEP_2)
	v_add_co_ci_u32_e64 v53, null, s41, v53, s30
	global_store_b64 v[52:53], v[38:39], off
.LBB842_1077:                           ;   in Loop: Header=BB842_982 Depth=2
	s_wait_alu 0xfffe
	s_or_b32 exec_lo, exec_lo, s57
	s_lshl_b64 s[58:59], s[34:35], 3
	s_wait_alu 0xfffe
	v_add_co_u32 v38, s30, v128, s58
	s_wait_alu 0xf1ff
	v_add_co_ci_u32_e64 v39, null, s59, v129, s30
	v_cmp_lt_u32_e64 s30, v127, v164
	s_and_saveexec_b32 s34, s30
	s_wait_alu 0xfffe
	s_xor_b32 s30, exec_lo, s34
	s_cbranch_execnz .LBB842_1144
; %bb.1078:                             ;   in Loop: Header=BB842_982 Depth=2
	s_wait_alu 0xfffe
	s_or_b32 exec_lo, exec_lo, s30
	s_delay_alu instid0(SALU_CYCLE_1)
	s_mov_b32 s34, exec_lo
	v_cmpx_lt_u32_e64 v130, v164
	s_cbranch_execnz .LBB842_1145
.LBB842_1079:                           ;   in Loop: Header=BB842_982 Depth=2
	s_wait_alu 0xfffe
	s_or_b32 exec_lo, exec_lo, s34
	s_delay_alu instid0(SALU_CYCLE_1)
	s_mov_b32 s34, exec_lo
	v_cmpx_lt_u32_e64 v131, v164
	s_cbranch_execnz .LBB842_1146
.LBB842_1080:                           ;   in Loop: Header=BB842_982 Depth=2
	s_wait_alu 0xfffe
	s_or_b32 exec_lo, exec_lo, s34
	s_delay_alu instid0(SALU_CYCLE_1)
	s_mov_b32 s34, exec_lo
	v_cmpx_lt_u32_e64 v132, v164
	s_cbranch_execnz .LBB842_1147
.LBB842_1081:                           ;   in Loop: Header=BB842_982 Depth=2
	s_wait_alu 0xfffe
	s_or_b32 exec_lo, exec_lo, s34
	s_delay_alu instid0(SALU_CYCLE_1)
	s_mov_b32 s34, exec_lo
	v_cmpx_lt_u32_e64 v133, v164
	s_cbranch_execnz .LBB842_1148
.LBB842_1082:                           ;   in Loop: Header=BB842_982 Depth=2
	s_wait_alu 0xfffe
	s_or_b32 exec_lo, exec_lo, s34
	s_delay_alu instid0(SALU_CYCLE_1)
	s_mov_b32 s34, exec_lo
	v_cmpx_lt_u32_e64 v134, v164
	s_cbranch_execnz .LBB842_1149
.LBB842_1083:                           ;   in Loop: Header=BB842_982 Depth=2
	s_wait_alu 0xfffe
	s_or_b32 exec_lo, exec_lo, s34
	s_delay_alu instid0(SALU_CYCLE_1)
	s_mov_b32 s34, exec_lo
	v_cmpx_lt_u32_e64 v135, v164
	s_cbranch_execnz .LBB842_1150
.LBB842_1084:                           ;   in Loop: Header=BB842_982 Depth=2
	s_wait_alu 0xfffe
	s_or_b32 exec_lo, exec_lo, s34
	s_delay_alu instid0(SALU_CYCLE_1)
	s_mov_b32 s34, exec_lo
	v_cmpx_lt_u32_e64 v136, v164
	s_cbranch_execnz .LBB842_1151
.LBB842_1085:                           ;   in Loop: Header=BB842_982 Depth=2
	s_wait_alu 0xfffe
	s_or_b32 exec_lo, exec_lo, s34
	s_delay_alu instid0(SALU_CYCLE_1)
	s_mov_b32 s34, exec_lo
	v_cmpx_lt_u32_e64 v137, v164
	s_cbranch_execnz .LBB842_1152
.LBB842_1086:                           ;   in Loop: Header=BB842_982 Depth=2
	s_wait_alu 0xfffe
	s_or_b32 exec_lo, exec_lo, s34
	s_delay_alu instid0(SALU_CYCLE_1)
	s_mov_b32 s34, exec_lo
	v_cmpx_lt_u32_e64 v138, v164
	s_cbranch_execnz .LBB842_1153
.LBB842_1087:                           ;   in Loop: Header=BB842_982 Depth=2
	s_wait_alu 0xfffe
	s_or_b32 exec_lo, exec_lo, s34
	s_delay_alu instid0(SALU_CYCLE_1)
	s_mov_b32 s34, exec_lo
	v_cmpx_lt_u32_e64 v139, v164
	s_cbranch_execnz .LBB842_1154
.LBB842_1088:                           ;   in Loop: Header=BB842_982 Depth=2
	s_wait_alu 0xfffe
	s_or_b32 exec_lo, exec_lo, s34
	s_delay_alu instid0(SALU_CYCLE_1)
	s_mov_b32 s34, exec_lo
	v_cmpx_lt_u32_e64 v140, v164
	s_cbranch_execnz .LBB842_1155
.LBB842_1089:                           ;   in Loop: Header=BB842_982 Depth=2
	s_wait_alu 0xfffe
	s_or_b32 exec_lo, exec_lo, s34
	s_delay_alu instid0(SALU_CYCLE_1)
	s_mov_b32 s34, exec_lo
	v_cmpx_lt_u32_e64 v141, v164
	s_cbranch_execnz .LBB842_1156
.LBB842_1090:                           ;   in Loop: Header=BB842_982 Depth=2
	s_wait_alu 0xfffe
	s_or_b32 exec_lo, exec_lo, s34
	s_delay_alu instid0(SALU_CYCLE_1)
	s_mov_b32 s34, exec_lo
	v_cmpx_lt_u32_e64 v142, v164
	s_cbranch_execnz .LBB842_1157
.LBB842_1091:                           ;   in Loop: Header=BB842_982 Depth=2
	s_wait_alu 0xfffe
	s_or_b32 exec_lo, exec_lo, s34
	s_delay_alu instid0(SALU_CYCLE_1)
	s_mov_b32 s34, exec_lo
	v_cmpx_lt_u32_e64 v143, v164
	s_cbranch_execnz .LBB842_1158
.LBB842_1092:                           ;   in Loop: Header=BB842_982 Depth=2
	s_wait_alu 0xfffe
	s_or_b32 exec_lo, exec_lo, s34
	s_delay_alu instid0(SALU_CYCLE_1)
	s_mov_b32 s34, exec_lo
	v_cmpx_lt_u32_e64 v144, v164
	s_cbranch_execnz .LBB842_1159
.LBB842_1093:                           ;   in Loop: Header=BB842_982 Depth=2
	s_wait_alu 0xfffe
	s_or_b32 exec_lo, exec_lo, s34
	s_and_saveexec_b32 s30, vcc_lo
	s_cbranch_execnz .LBB842_1160
.LBB842_1094:                           ;   in Loop: Header=BB842_982 Depth=2
	s_wait_alu 0xfffe
	s_or_b32 exec_lo, exec_lo, s30
	s_and_saveexec_b32 s30, s15
	s_cbranch_execnz .LBB842_1161
.LBB842_1095:                           ;   in Loop: Header=BB842_982 Depth=2
	s_wait_alu 0xfffe
	s_or_b32 exec_lo, exec_lo, s30
	s_and_saveexec_b32 s30, s16
	s_cbranch_execnz .LBB842_1162
.LBB842_1096:                           ;   in Loop: Header=BB842_982 Depth=2
	s_wait_alu 0xfffe
	s_or_b32 exec_lo, exec_lo, s30
	s_and_saveexec_b32 s30, s17
	s_cbranch_execnz .LBB842_1163
.LBB842_1097:                           ;   in Loop: Header=BB842_982 Depth=2
	s_wait_alu 0xfffe
	s_or_b32 exec_lo, exec_lo, s30
	s_and_saveexec_b32 s30, s18
	s_cbranch_execnz .LBB842_1164
.LBB842_1098:                           ;   in Loop: Header=BB842_982 Depth=2
	s_wait_alu 0xfffe
	s_or_b32 exec_lo, exec_lo, s30
	s_and_saveexec_b32 s30, s19
	s_cbranch_execnz .LBB842_1165
.LBB842_1099:                           ;   in Loop: Header=BB842_982 Depth=2
	s_wait_alu 0xfffe
	s_or_b32 exec_lo, exec_lo, s30
	s_and_saveexec_b32 s30, s20
	s_cbranch_execnz .LBB842_1166
.LBB842_1100:                           ;   in Loop: Header=BB842_982 Depth=2
	s_wait_alu 0xfffe
	s_or_b32 exec_lo, exec_lo, s30
	s_and_saveexec_b32 s30, s21
	s_cbranch_execnz .LBB842_1167
.LBB842_1101:                           ;   in Loop: Header=BB842_982 Depth=2
	s_wait_alu 0xfffe
	s_or_b32 exec_lo, exec_lo, s30
	s_and_saveexec_b32 s30, s22
	s_cbranch_execnz .LBB842_1168
.LBB842_1102:                           ;   in Loop: Header=BB842_982 Depth=2
	s_wait_alu 0xfffe
	s_or_b32 exec_lo, exec_lo, s30
	s_and_saveexec_b32 s30, s23
	s_cbranch_execnz .LBB842_1169
.LBB842_1103:                           ;   in Loop: Header=BB842_982 Depth=2
	s_wait_alu 0xfffe
	s_or_b32 exec_lo, exec_lo, s30
	s_and_saveexec_b32 s30, s24
	s_cbranch_execnz .LBB842_1170
.LBB842_1104:                           ;   in Loop: Header=BB842_982 Depth=2
	s_wait_alu 0xfffe
	s_or_b32 exec_lo, exec_lo, s30
	s_and_saveexec_b32 s30, s25
	s_cbranch_execnz .LBB842_1171
.LBB842_1105:                           ;   in Loop: Header=BB842_982 Depth=2
	s_wait_alu 0xfffe
	s_or_b32 exec_lo, exec_lo, s30
	s_and_saveexec_b32 s30, s26
	s_cbranch_execnz .LBB842_1172
.LBB842_1106:                           ;   in Loop: Header=BB842_982 Depth=2
	s_wait_alu 0xfffe
	s_or_b32 exec_lo, exec_lo, s30
	s_and_saveexec_b32 s30, s27
	s_cbranch_execnz .LBB842_1173
.LBB842_1107:                           ;   in Loop: Header=BB842_982 Depth=2
	s_wait_alu 0xfffe
	s_or_b32 exec_lo, exec_lo, s30
	s_and_saveexec_b32 s30, s28
	s_cbranch_execnz .LBB842_1174
.LBB842_1108:                           ;   in Loop: Header=BB842_982 Depth=2
	s_wait_alu 0xfffe
	s_or_b32 exec_lo, exec_lo, s30
	s_and_saveexec_b32 s30, s29
	s_cbranch_execz .LBB842_1110
.LBB842_1109:                           ;   in Loop: Header=BB842_982 Depth=2
	ds_load_b64 v[38:39], v110 offset:31744
	s_wait_dscnt 0x0
	v_lshrrev_b64 v[38:39], s31, v[38:39]
	s_delay_alu instid0(VALU_DEP_1)
	v_and_b32_e32 v148, s54, v38
.LBB842_1110:                           ;   in Loop: Header=BB842_982 Depth=2
	s_wait_alu 0xfffe
	s_or_b32 exec_lo, exec_lo, s30
	s_wait_loadcnt 0x0
	s_wait_storecnt 0x0
	s_barrier_signal -1
	s_barrier_wait -1
	global_inv scope:SCOPE_SE
	ds_store_b64 v71, v[36:37] offset:1024
	ds_store_b64 v40, v[34:35] offset:1024
	;; [unrolled: 1-line block ×16, first 2 shown]
	s_wait_loadcnt_dscnt 0x0
	s_barrier_signal -1
	s_barrier_wait -1
	global_inv scope:SCOPE_SE
	s_and_saveexec_b32 s30, vcc_lo
	s_cbranch_execnz .LBB842_1175
; %bb.1111:                             ;   in Loop: Header=BB842_982 Depth=2
	s_wait_alu 0xfffe
	s_or_b32 exec_lo, exec_lo, s30
	s_and_saveexec_b32 s30, s15
	s_cbranch_execnz .LBB842_1176
.LBB842_1112:                           ;   in Loop: Header=BB842_982 Depth=2
	s_wait_alu 0xfffe
	s_or_b32 exec_lo, exec_lo, s30
	s_and_saveexec_b32 s15, s16
	s_cbranch_execnz .LBB842_1177
.LBB842_1113:                           ;   in Loop: Header=BB842_982 Depth=2
	s_wait_alu 0xfffe
	s_or_b32 exec_lo, exec_lo, s15
	s_and_saveexec_b32 s15, s17
	s_cbranch_execnz .LBB842_1178
.LBB842_1114:                           ;   in Loop: Header=BB842_982 Depth=2
	s_wait_alu 0xfffe
	s_or_b32 exec_lo, exec_lo, s15
	s_and_saveexec_b32 s15, s18
	s_cbranch_execnz .LBB842_1179
.LBB842_1115:                           ;   in Loop: Header=BB842_982 Depth=2
	s_wait_alu 0xfffe
	s_or_b32 exec_lo, exec_lo, s15
	s_and_saveexec_b32 s15, s19
	s_cbranch_execnz .LBB842_1180
.LBB842_1116:                           ;   in Loop: Header=BB842_982 Depth=2
	s_wait_alu 0xfffe
	s_or_b32 exec_lo, exec_lo, s15
	s_and_saveexec_b32 s15, s20
	s_cbranch_execnz .LBB842_1181
.LBB842_1117:                           ;   in Loop: Header=BB842_982 Depth=2
	s_wait_alu 0xfffe
	s_or_b32 exec_lo, exec_lo, s15
	s_and_saveexec_b32 s15, s21
	s_cbranch_execnz .LBB842_1182
.LBB842_1118:                           ;   in Loop: Header=BB842_982 Depth=2
	s_wait_alu 0xfffe
	s_or_b32 exec_lo, exec_lo, s15
	s_and_saveexec_b32 s15, s22
	s_cbranch_execnz .LBB842_1183
.LBB842_1119:                           ;   in Loop: Header=BB842_982 Depth=2
	s_wait_alu 0xfffe
	s_or_b32 exec_lo, exec_lo, s15
	s_and_saveexec_b32 s15, s23
	s_cbranch_execnz .LBB842_1184
.LBB842_1120:                           ;   in Loop: Header=BB842_982 Depth=2
	s_wait_alu 0xfffe
	s_or_b32 exec_lo, exec_lo, s15
	s_and_saveexec_b32 s15, s24
	s_cbranch_execnz .LBB842_1185
.LBB842_1121:                           ;   in Loop: Header=BB842_982 Depth=2
	s_wait_alu 0xfffe
	s_or_b32 exec_lo, exec_lo, s15
	s_and_saveexec_b32 s15, s25
	s_cbranch_execnz .LBB842_1186
.LBB842_1122:                           ;   in Loop: Header=BB842_982 Depth=2
	s_wait_alu 0xfffe
	s_or_b32 exec_lo, exec_lo, s15
	s_and_saveexec_b32 s15, s26
	s_cbranch_execnz .LBB842_1187
.LBB842_1123:                           ;   in Loop: Header=BB842_982 Depth=2
	s_wait_alu 0xfffe
	s_or_b32 exec_lo, exec_lo, s15
	s_and_saveexec_b32 s15, s27
	s_cbranch_execnz .LBB842_1188
.LBB842_1124:                           ;   in Loop: Header=BB842_982 Depth=2
	s_wait_alu 0xfffe
	s_or_b32 exec_lo, exec_lo, s15
	s_and_saveexec_b32 s15, s28
	s_cbranch_execnz .LBB842_1189
.LBB842_1125:                           ;   in Loop: Header=BB842_982 Depth=2
	s_wait_alu 0xfffe
	s_or_b32 exec_lo, exec_lo, s15
	s_and_saveexec_b32 s15, s29
	s_cbranch_execz .LBB842_1127
.LBB842_1126:                           ;   in Loop: Header=BB842_982 Depth=2
	v_lshlrev_b32_e32 v2, 2, v148
	ds_load_b32 v2, v2
	ds_load_b64 v[38:39], v110 offset:31744
	s_wait_dscnt 0x1
	v_add_nc_u32_e32 v2, v2, v95
	s_delay_alu instid0(VALU_DEP_1) | instskip(NEXT) | instid1(VALU_DEP_1)
	v_lshlrev_b64_e32 v[40:41], 3, v[2:3]
	v_add_co_u32 v40, vcc_lo, s46, v40
	s_wait_alu 0xfffd
	s_delay_alu instid0(VALU_DEP_2)
	v_add_co_ci_u32_e64 v41, null, s47, v41, vcc_lo
	s_wait_dscnt 0x0
	global_store_b64 v[40:41], v[38:39], off
.LBB842_1127:                           ;   in Loop: Header=BB842_982 Depth=2
	s_wait_alu 0xfffe
	s_or_b32 exec_lo, exec_lo, s15
	s_wait_loadcnt 0x0
	s_wait_storecnt 0x0
	s_barrier_signal -1
	s_barrier_wait -1
	global_inv scope:SCOPE_SE
	s_and_saveexec_b32 s15, s2
	s_cbranch_execz .LBB842_981
; %bb.1128:                             ;   in Loop: Header=BB842_982 Depth=2
	ds_load_b32 v2, v78
	s_wait_dscnt 0x0
	v_add_nc_u32_e32 v2, v2, v70
	ds_store_b32 v78, v2
	s_branch .LBB842_981
.LBB842_1129:                           ;   in Loop: Header=BB842_982 Depth=2
	ds_load_b64 v[38:39], v110 offset:1024
	s_wait_dscnt 0x0
	v_lshrrev_b64 v[52:53], s31, v[38:39]
	v_xor_b32_e32 v39, 0x80000000, v39
	s_delay_alu instid0(VALU_DEP_2) | instskip(NEXT) | instid1(VALU_DEP_1)
	v_and_b32_e32 v2, s54, v52
	v_lshlrev_b32_e32 v2, 2, v2
	ds_load_b32 v2, v2
	s_wait_dscnt 0x0
	v_add_nc_u32_e32 v2, v2, v1
	s_delay_alu instid0(VALU_DEP_1) | instskip(NEXT) | instid1(VALU_DEP_1)
	v_lshlrev_b64_e32 v[52:53], 3, v[2:3]
	v_add_co_u32 v52, s15, s40, v52
	s_wait_alu 0xf1ff
	s_delay_alu instid0(VALU_DEP_2)
	v_add_co_ci_u32_e64 v53, null, s41, v53, s15
	global_store_b64 v[52:53], v[38:39], off
	s_wait_alu 0xfffe
	s_or_b32 exec_lo, exec_lo, s16
	v_cmp_lt_u32_e64 s15, v79, v164
	s_and_saveexec_b32 s17, s15
	s_cbranch_execz .LBB842_1062
.LBB842_1130:                           ;   in Loop: Header=BB842_982 Depth=2
	ds_load_b64 v[38:39], v110 offset:3072
	s_wait_dscnt 0x0
	v_lshrrev_b64 v[52:53], s31, v[38:39]
	v_xor_b32_e32 v39, 0x80000000, v39
	s_delay_alu instid0(VALU_DEP_2) | instskip(NEXT) | instid1(VALU_DEP_1)
	v_and_b32_e32 v2, s54, v52
	v_lshlrev_b32_e32 v2, 2, v2
	ds_load_b32 v2, v2
	s_wait_dscnt 0x0
	v_add_nc_u32_e32 v2, v2, v79
	s_delay_alu instid0(VALU_DEP_1) | instskip(NEXT) | instid1(VALU_DEP_1)
	v_lshlrev_b64_e32 v[52:53], 3, v[2:3]
	v_add_co_u32 v52, s16, s40, v52
	s_wait_alu 0xf1ff
	s_delay_alu instid0(VALU_DEP_2)
	v_add_co_ci_u32_e64 v53, null, s41, v53, s16
	global_store_b64 v[52:53], v[38:39], off
	s_wait_alu 0xfffe
	s_or_b32 exec_lo, exec_lo, s17
	v_cmp_lt_u32_e64 s16, v80, v164
	s_and_saveexec_b32 s18, s16
	s_cbranch_execz .LBB842_1063
.LBB842_1131:                           ;   in Loop: Header=BB842_982 Depth=2
	ds_load_b64 v[38:39], v110 offset:5120
	s_wait_dscnt 0x0
	v_lshrrev_b64 v[52:53], s31, v[38:39]
	v_xor_b32_e32 v39, 0x80000000, v39
	s_delay_alu instid0(VALU_DEP_2) | instskip(NEXT) | instid1(VALU_DEP_1)
	v_and_b32_e32 v2, s54, v52
	v_lshlrev_b32_e32 v2, 2, v2
	ds_load_b32 v2, v2
	s_wait_dscnt 0x0
	v_add_nc_u32_e32 v2, v2, v80
	s_delay_alu instid0(VALU_DEP_1) | instskip(NEXT) | instid1(VALU_DEP_1)
	v_lshlrev_b64_e32 v[52:53], 3, v[2:3]
	v_add_co_u32 v52, s17, s40, v52
	s_wait_alu 0xf1ff
	s_delay_alu instid0(VALU_DEP_2)
	v_add_co_ci_u32_e64 v53, null, s41, v53, s17
	global_store_b64 v[52:53], v[38:39], off
	s_wait_alu 0xfffe
	s_or_b32 exec_lo, exec_lo, s18
	v_cmp_lt_u32_e64 s17, v81, v164
	s_and_saveexec_b32 s19, s17
	s_cbranch_execz .LBB842_1064
.LBB842_1132:                           ;   in Loop: Header=BB842_982 Depth=2
	ds_load_b64 v[38:39], v110 offset:7168
	s_wait_dscnt 0x0
	v_lshrrev_b64 v[52:53], s31, v[38:39]
	v_xor_b32_e32 v39, 0x80000000, v39
	s_delay_alu instid0(VALU_DEP_2) | instskip(NEXT) | instid1(VALU_DEP_1)
	v_and_b32_e32 v2, s54, v52
	v_lshlrev_b32_e32 v2, 2, v2
	ds_load_b32 v2, v2
	s_wait_dscnt 0x0
	v_add_nc_u32_e32 v2, v2, v81
	s_delay_alu instid0(VALU_DEP_1) | instskip(NEXT) | instid1(VALU_DEP_1)
	v_lshlrev_b64_e32 v[52:53], 3, v[2:3]
	v_add_co_u32 v52, s18, s40, v52
	s_wait_alu 0xf1ff
	s_delay_alu instid0(VALU_DEP_2)
	v_add_co_ci_u32_e64 v53, null, s41, v53, s18
	global_store_b64 v[52:53], v[38:39], off
	s_wait_alu 0xfffe
	s_or_b32 exec_lo, exec_lo, s19
	v_cmp_lt_u32_e64 s18, v84, v164
	s_and_saveexec_b32 s20, s18
	s_cbranch_execz .LBB842_1065
.LBB842_1133:                           ;   in Loop: Header=BB842_982 Depth=2
	ds_load_b64 v[38:39], v110 offset:9216
	s_wait_dscnt 0x0
	v_lshrrev_b64 v[52:53], s31, v[38:39]
	v_xor_b32_e32 v39, 0x80000000, v39
	s_delay_alu instid0(VALU_DEP_2) | instskip(NEXT) | instid1(VALU_DEP_1)
	v_and_b32_e32 v2, s54, v52
	v_lshlrev_b32_e32 v2, 2, v2
	ds_load_b32 v2, v2
	s_wait_dscnt 0x0
	v_add_nc_u32_e32 v2, v2, v84
	s_delay_alu instid0(VALU_DEP_1) | instskip(NEXT) | instid1(VALU_DEP_1)
	v_lshlrev_b64_e32 v[52:53], 3, v[2:3]
	v_add_co_u32 v52, s19, s40, v52
	s_wait_alu 0xf1ff
	s_delay_alu instid0(VALU_DEP_2)
	v_add_co_ci_u32_e64 v53, null, s41, v53, s19
	global_store_b64 v[52:53], v[38:39], off
	s_wait_alu 0xfffe
	s_or_b32 exec_lo, exec_lo, s20
	v_cmp_lt_u32_e64 s19, v85, v164
	s_and_saveexec_b32 s21, s19
	s_cbranch_execz .LBB842_1066
.LBB842_1134:                           ;   in Loop: Header=BB842_982 Depth=2
	ds_load_b64 v[38:39], v110 offset:11264
	s_wait_dscnt 0x0
	v_lshrrev_b64 v[52:53], s31, v[38:39]
	v_xor_b32_e32 v39, 0x80000000, v39
	s_delay_alu instid0(VALU_DEP_2) | instskip(NEXT) | instid1(VALU_DEP_1)
	v_and_b32_e32 v2, s54, v52
	v_lshlrev_b32_e32 v2, 2, v2
	ds_load_b32 v2, v2
	s_wait_dscnt 0x0
	v_add_nc_u32_e32 v2, v2, v85
	s_delay_alu instid0(VALU_DEP_1) | instskip(NEXT) | instid1(VALU_DEP_1)
	v_lshlrev_b64_e32 v[52:53], 3, v[2:3]
	v_add_co_u32 v52, s20, s40, v52
	s_wait_alu 0xf1ff
	s_delay_alu instid0(VALU_DEP_2)
	v_add_co_ci_u32_e64 v53, null, s41, v53, s20
	global_store_b64 v[52:53], v[38:39], off
	s_wait_alu 0xfffe
	s_or_b32 exec_lo, exec_lo, s21
	v_cmp_lt_u32_e64 s20, v86, v164
	s_and_saveexec_b32 s22, s20
	s_cbranch_execz .LBB842_1067
.LBB842_1135:                           ;   in Loop: Header=BB842_982 Depth=2
	ds_load_b64 v[38:39], v110 offset:13312
	s_wait_dscnt 0x0
	v_lshrrev_b64 v[52:53], s31, v[38:39]
	v_xor_b32_e32 v39, 0x80000000, v39
	s_delay_alu instid0(VALU_DEP_2) | instskip(NEXT) | instid1(VALU_DEP_1)
	v_and_b32_e32 v2, s54, v52
	v_lshlrev_b32_e32 v2, 2, v2
	ds_load_b32 v2, v2
	s_wait_dscnt 0x0
	v_add_nc_u32_e32 v2, v2, v86
	s_delay_alu instid0(VALU_DEP_1) | instskip(NEXT) | instid1(VALU_DEP_1)
	v_lshlrev_b64_e32 v[52:53], 3, v[2:3]
	v_add_co_u32 v52, s21, s40, v52
	s_wait_alu 0xf1ff
	s_delay_alu instid0(VALU_DEP_2)
	v_add_co_ci_u32_e64 v53, null, s41, v53, s21
	global_store_b64 v[52:53], v[38:39], off
	s_wait_alu 0xfffe
	s_or_b32 exec_lo, exec_lo, s22
	v_cmp_lt_u32_e64 s21, v87, v164
	s_and_saveexec_b32 s23, s21
	s_cbranch_execz .LBB842_1068
.LBB842_1136:                           ;   in Loop: Header=BB842_982 Depth=2
	ds_load_b64 v[38:39], v110 offset:15360
	s_wait_dscnt 0x0
	v_lshrrev_b64 v[52:53], s31, v[38:39]
	v_xor_b32_e32 v39, 0x80000000, v39
	s_delay_alu instid0(VALU_DEP_2) | instskip(NEXT) | instid1(VALU_DEP_1)
	v_and_b32_e32 v2, s54, v52
	v_lshlrev_b32_e32 v2, 2, v2
	ds_load_b32 v2, v2
	s_wait_dscnt 0x0
	v_add_nc_u32_e32 v2, v2, v87
	s_delay_alu instid0(VALU_DEP_1) | instskip(NEXT) | instid1(VALU_DEP_1)
	v_lshlrev_b64_e32 v[52:53], 3, v[2:3]
	v_add_co_u32 v52, s22, s40, v52
	s_wait_alu 0xf1ff
	s_delay_alu instid0(VALU_DEP_2)
	v_add_co_ci_u32_e64 v53, null, s41, v53, s22
	global_store_b64 v[52:53], v[38:39], off
	s_wait_alu 0xfffe
	s_or_b32 exec_lo, exec_lo, s23
	v_cmp_lt_u32_e64 s22, v88, v164
	s_and_saveexec_b32 s24, s22
	s_cbranch_execz .LBB842_1069
.LBB842_1137:                           ;   in Loop: Header=BB842_982 Depth=2
	ds_load_b64 v[38:39], v110 offset:17408
	s_wait_dscnt 0x0
	v_lshrrev_b64 v[52:53], s31, v[38:39]
	v_xor_b32_e32 v39, 0x80000000, v39
	s_delay_alu instid0(VALU_DEP_2) | instskip(NEXT) | instid1(VALU_DEP_1)
	v_and_b32_e32 v2, s54, v52
	v_lshlrev_b32_e32 v2, 2, v2
	ds_load_b32 v2, v2
	s_wait_dscnt 0x0
	v_add_nc_u32_e32 v2, v2, v88
	s_delay_alu instid0(VALU_DEP_1) | instskip(NEXT) | instid1(VALU_DEP_1)
	v_lshlrev_b64_e32 v[52:53], 3, v[2:3]
	v_add_co_u32 v52, s23, s40, v52
	s_wait_alu 0xf1ff
	s_delay_alu instid0(VALU_DEP_2)
	v_add_co_ci_u32_e64 v53, null, s41, v53, s23
	global_store_b64 v[52:53], v[38:39], off
	s_wait_alu 0xfffe
	s_or_b32 exec_lo, exec_lo, s24
	v_cmp_lt_u32_e64 s23, v89, v164
	s_and_saveexec_b32 s25, s23
	s_cbranch_execz .LBB842_1070
.LBB842_1138:                           ;   in Loop: Header=BB842_982 Depth=2
	ds_load_b64 v[38:39], v110 offset:19456
	s_wait_dscnt 0x0
	v_lshrrev_b64 v[52:53], s31, v[38:39]
	v_xor_b32_e32 v39, 0x80000000, v39
	s_delay_alu instid0(VALU_DEP_2) | instskip(NEXT) | instid1(VALU_DEP_1)
	v_and_b32_e32 v2, s54, v52
	v_lshlrev_b32_e32 v2, 2, v2
	ds_load_b32 v2, v2
	s_wait_dscnt 0x0
	v_add_nc_u32_e32 v2, v2, v89
	s_delay_alu instid0(VALU_DEP_1) | instskip(NEXT) | instid1(VALU_DEP_1)
	v_lshlrev_b64_e32 v[52:53], 3, v[2:3]
	v_add_co_u32 v52, s24, s40, v52
	s_wait_alu 0xf1ff
	s_delay_alu instid0(VALU_DEP_2)
	v_add_co_ci_u32_e64 v53, null, s41, v53, s24
	global_store_b64 v[52:53], v[38:39], off
	s_wait_alu 0xfffe
	s_or_b32 exec_lo, exec_lo, s25
	v_cmp_lt_u32_e64 s24, v90, v164
	s_and_saveexec_b32 s26, s24
	s_cbranch_execz .LBB842_1071
.LBB842_1139:                           ;   in Loop: Header=BB842_982 Depth=2
	ds_load_b64 v[38:39], v110 offset:21504
	s_wait_dscnt 0x0
	v_lshrrev_b64 v[52:53], s31, v[38:39]
	v_xor_b32_e32 v39, 0x80000000, v39
	s_delay_alu instid0(VALU_DEP_2) | instskip(NEXT) | instid1(VALU_DEP_1)
	v_and_b32_e32 v2, s54, v52
	v_lshlrev_b32_e32 v2, 2, v2
	ds_load_b32 v2, v2
	s_wait_dscnt 0x0
	v_add_nc_u32_e32 v2, v2, v90
	s_delay_alu instid0(VALU_DEP_1) | instskip(NEXT) | instid1(VALU_DEP_1)
	v_lshlrev_b64_e32 v[52:53], 3, v[2:3]
	v_add_co_u32 v52, s25, s40, v52
	s_wait_alu 0xf1ff
	s_delay_alu instid0(VALU_DEP_2)
	v_add_co_ci_u32_e64 v53, null, s41, v53, s25
	global_store_b64 v[52:53], v[38:39], off
	s_wait_alu 0xfffe
	s_or_b32 exec_lo, exec_lo, s26
	v_cmp_lt_u32_e64 s25, v91, v164
	s_and_saveexec_b32 s27, s25
	s_cbranch_execz .LBB842_1072
.LBB842_1140:                           ;   in Loop: Header=BB842_982 Depth=2
	ds_load_b64 v[38:39], v110 offset:23552
	s_wait_dscnt 0x0
	v_lshrrev_b64 v[52:53], s31, v[38:39]
	v_xor_b32_e32 v39, 0x80000000, v39
	s_delay_alu instid0(VALU_DEP_2) | instskip(NEXT) | instid1(VALU_DEP_1)
	v_and_b32_e32 v2, s54, v52
	v_lshlrev_b32_e32 v2, 2, v2
	ds_load_b32 v2, v2
	s_wait_dscnt 0x0
	v_add_nc_u32_e32 v2, v2, v91
	s_delay_alu instid0(VALU_DEP_1) | instskip(NEXT) | instid1(VALU_DEP_1)
	v_lshlrev_b64_e32 v[52:53], 3, v[2:3]
	v_add_co_u32 v52, s26, s40, v52
	s_wait_alu 0xf1ff
	s_delay_alu instid0(VALU_DEP_2)
	v_add_co_ci_u32_e64 v53, null, s41, v53, s26
	global_store_b64 v[52:53], v[38:39], off
	s_wait_alu 0xfffe
	s_or_b32 exec_lo, exec_lo, s27
	v_cmp_lt_u32_e64 s26, v92, v164
	s_and_saveexec_b32 s28, s26
	s_cbranch_execz .LBB842_1073
.LBB842_1141:                           ;   in Loop: Header=BB842_982 Depth=2
	ds_load_b64 v[38:39], v110 offset:25600
	s_wait_dscnt 0x0
	v_lshrrev_b64 v[52:53], s31, v[38:39]
	v_xor_b32_e32 v39, 0x80000000, v39
	s_delay_alu instid0(VALU_DEP_2) | instskip(NEXT) | instid1(VALU_DEP_1)
	v_and_b32_e32 v2, s54, v52
	v_lshlrev_b32_e32 v2, 2, v2
	ds_load_b32 v2, v2
	s_wait_dscnt 0x0
	v_add_nc_u32_e32 v2, v2, v92
	s_delay_alu instid0(VALU_DEP_1) | instskip(NEXT) | instid1(VALU_DEP_1)
	v_lshlrev_b64_e32 v[52:53], 3, v[2:3]
	v_add_co_u32 v52, s27, s40, v52
	s_wait_alu 0xf1ff
	s_delay_alu instid0(VALU_DEP_2)
	v_add_co_ci_u32_e64 v53, null, s41, v53, s27
	global_store_b64 v[52:53], v[38:39], off
	s_wait_alu 0xfffe
	s_or_b32 exec_lo, exec_lo, s28
	v_cmp_lt_u32_e64 s27, v93, v164
	s_and_saveexec_b32 s29, s27
	s_cbranch_execz .LBB842_1074
.LBB842_1142:                           ;   in Loop: Header=BB842_982 Depth=2
	ds_load_b64 v[38:39], v110 offset:27648
	s_wait_dscnt 0x0
	v_lshrrev_b64 v[52:53], s31, v[38:39]
	v_xor_b32_e32 v39, 0x80000000, v39
	s_delay_alu instid0(VALU_DEP_2) | instskip(NEXT) | instid1(VALU_DEP_1)
	v_and_b32_e32 v2, s54, v52
	v_lshlrev_b32_e32 v2, 2, v2
	ds_load_b32 v2, v2
	s_wait_dscnt 0x0
	v_add_nc_u32_e32 v2, v2, v93
	s_delay_alu instid0(VALU_DEP_1) | instskip(NEXT) | instid1(VALU_DEP_1)
	v_lshlrev_b64_e32 v[52:53], 3, v[2:3]
	v_add_co_u32 v52, s28, s40, v52
	s_wait_alu 0xf1ff
	s_delay_alu instid0(VALU_DEP_2)
	v_add_co_ci_u32_e64 v53, null, s41, v53, s28
	global_store_b64 v[52:53], v[38:39], off
	s_wait_alu 0xfffe
	s_or_b32 exec_lo, exec_lo, s29
	v_cmp_lt_u32_e64 s28, v94, v164
	s_and_saveexec_b32 s30, s28
	s_cbranch_execz .LBB842_1075
.LBB842_1143:                           ;   in Loop: Header=BB842_982 Depth=2
	ds_load_b64 v[38:39], v110 offset:29696
	s_wait_dscnt 0x0
	v_lshrrev_b64 v[52:53], s31, v[38:39]
	v_xor_b32_e32 v39, 0x80000000, v39
	s_delay_alu instid0(VALU_DEP_2) | instskip(NEXT) | instid1(VALU_DEP_1)
	v_and_b32_e32 v2, s54, v52
	v_lshlrev_b32_e32 v2, 2, v2
	ds_load_b32 v2, v2
	s_wait_dscnt 0x0
	v_add_nc_u32_e32 v2, v2, v94
	s_delay_alu instid0(VALU_DEP_1) | instskip(NEXT) | instid1(VALU_DEP_1)
	v_lshlrev_b64_e32 v[52:53], 3, v[2:3]
	v_add_co_u32 v52, s29, s40, v52
	s_wait_alu 0xf1ff
	s_delay_alu instid0(VALU_DEP_2)
	v_add_co_ci_u32_e64 v53, null, s41, v53, s29
	global_store_b64 v[52:53], v[38:39], off
	s_wait_alu 0xfffe
	s_or_b32 exec_lo, exec_lo, s30
	v_cmp_lt_u32_e64 s29, v95, v164
	s_and_saveexec_b32 s57, s29
	s_cbranch_execnz .LBB842_1076
	s_branch .LBB842_1077
.LBB842_1144:                           ;   in Loop: Header=BB842_982 Depth=2
	global_load_b64 v[36:37], v[38:39], off
	s_wait_alu 0xfffe
	s_or_b32 exec_lo, exec_lo, s30
	s_delay_alu instid0(SALU_CYCLE_1)
	s_mov_b32 s34, exec_lo
	v_cmpx_lt_u32_e64 v130, v164
	s_cbranch_execz .LBB842_1079
.LBB842_1145:                           ;   in Loop: Header=BB842_982 Depth=2
	global_load_b64 v[34:35], v[38:39], off offset:256
	s_wait_alu 0xfffe
	s_or_b32 exec_lo, exec_lo, s34
	s_delay_alu instid0(SALU_CYCLE_1)
	s_mov_b32 s34, exec_lo
	v_cmpx_lt_u32_e64 v131, v164
	s_cbranch_execz .LBB842_1080
.LBB842_1146:                           ;   in Loop: Header=BB842_982 Depth=2
	global_load_b64 v[32:33], v[38:39], off offset:512
	s_wait_alu 0xfffe
	s_or_b32 exec_lo, exec_lo, s34
	s_delay_alu instid0(SALU_CYCLE_1)
	s_mov_b32 s34, exec_lo
	v_cmpx_lt_u32_e64 v132, v164
	s_cbranch_execz .LBB842_1081
.LBB842_1147:                           ;   in Loop: Header=BB842_982 Depth=2
	global_load_b64 v[30:31], v[38:39], off offset:768
	s_wait_alu 0xfffe
	s_or_b32 exec_lo, exec_lo, s34
	s_delay_alu instid0(SALU_CYCLE_1)
	s_mov_b32 s34, exec_lo
	v_cmpx_lt_u32_e64 v133, v164
	s_cbranch_execz .LBB842_1082
.LBB842_1148:                           ;   in Loop: Header=BB842_982 Depth=2
	global_load_b64 v[28:29], v[38:39], off offset:1024
	s_wait_alu 0xfffe
	s_or_b32 exec_lo, exec_lo, s34
	s_delay_alu instid0(SALU_CYCLE_1)
	s_mov_b32 s34, exec_lo
	v_cmpx_lt_u32_e64 v134, v164
	s_cbranch_execz .LBB842_1083
.LBB842_1149:                           ;   in Loop: Header=BB842_982 Depth=2
	global_load_b64 v[26:27], v[38:39], off offset:1280
	s_wait_alu 0xfffe
	s_or_b32 exec_lo, exec_lo, s34
	s_delay_alu instid0(SALU_CYCLE_1)
	s_mov_b32 s34, exec_lo
	v_cmpx_lt_u32_e64 v135, v164
	s_cbranch_execz .LBB842_1084
.LBB842_1150:                           ;   in Loop: Header=BB842_982 Depth=2
	global_load_b64 v[24:25], v[38:39], off offset:1536
	s_wait_alu 0xfffe
	s_or_b32 exec_lo, exec_lo, s34
	s_delay_alu instid0(SALU_CYCLE_1)
	s_mov_b32 s34, exec_lo
	v_cmpx_lt_u32_e64 v136, v164
	s_cbranch_execz .LBB842_1085
.LBB842_1151:                           ;   in Loop: Header=BB842_982 Depth=2
	global_load_b64 v[22:23], v[38:39], off offset:1792
	s_wait_alu 0xfffe
	s_or_b32 exec_lo, exec_lo, s34
	s_delay_alu instid0(SALU_CYCLE_1)
	s_mov_b32 s34, exec_lo
	v_cmpx_lt_u32_e64 v137, v164
	s_cbranch_execz .LBB842_1086
.LBB842_1152:                           ;   in Loop: Header=BB842_982 Depth=2
	global_load_b64 v[20:21], v[38:39], off offset:2048
	s_wait_alu 0xfffe
	s_or_b32 exec_lo, exec_lo, s34
	s_delay_alu instid0(SALU_CYCLE_1)
	s_mov_b32 s34, exec_lo
	v_cmpx_lt_u32_e64 v138, v164
	s_cbranch_execz .LBB842_1087
.LBB842_1153:                           ;   in Loop: Header=BB842_982 Depth=2
	global_load_b64 v[18:19], v[38:39], off offset:2304
	s_wait_alu 0xfffe
	s_or_b32 exec_lo, exec_lo, s34
	s_delay_alu instid0(SALU_CYCLE_1)
	s_mov_b32 s34, exec_lo
	v_cmpx_lt_u32_e64 v139, v164
	s_cbranch_execz .LBB842_1088
.LBB842_1154:                           ;   in Loop: Header=BB842_982 Depth=2
	global_load_b64 v[16:17], v[38:39], off offset:2560
	s_wait_alu 0xfffe
	s_or_b32 exec_lo, exec_lo, s34
	s_delay_alu instid0(SALU_CYCLE_1)
	s_mov_b32 s34, exec_lo
	v_cmpx_lt_u32_e64 v140, v164
	s_cbranch_execz .LBB842_1089
.LBB842_1155:                           ;   in Loop: Header=BB842_982 Depth=2
	global_load_b64 v[14:15], v[38:39], off offset:2816
	s_wait_alu 0xfffe
	s_or_b32 exec_lo, exec_lo, s34
	s_delay_alu instid0(SALU_CYCLE_1)
	s_mov_b32 s34, exec_lo
	v_cmpx_lt_u32_e64 v141, v164
	s_cbranch_execz .LBB842_1090
.LBB842_1156:                           ;   in Loop: Header=BB842_982 Depth=2
	global_load_b64 v[12:13], v[38:39], off offset:3072
	s_wait_alu 0xfffe
	s_or_b32 exec_lo, exec_lo, s34
	s_delay_alu instid0(SALU_CYCLE_1)
	s_mov_b32 s34, exec_lo
	v_cmpx_lt_u32_e64 v142, v164
	s_cbranch_execz .LBB842_1091
.LBB842_1157:                           ;   in Loop: Header=BB842_982 Depth=2
	global_load_b64 v[10:11], v[38:39], off offset:3328
	s_wait_alu 0xfffe
	s_or_b32 exec_lo, exec_lo, s34
	s_delay_alu instid0(SALU_CYCLE_1)
	s_mov_b32 s34, exec_lo
	v_cmpx_lt_u32_e64 v143, v164
	s_cbranch_execz .LBB842_1092
.LBB842_1158:                           ;   in Loop: Header=BB842_982 Depth=2
	global_load_b64 v[8:9], v[38:39], off offset:3584
	s_wait_alu 0xfffe
	s_or_b32 exec_lo, exec_lo, s34
	s_delay_alu instid0(SALU_CYCLE_1)
	s_mov_b32 s34, exec_lo
	v_cmpx_lt_u32_e64 v144, v164
	s_cbranch_execz .LBB842_1093
.LBB842_1159:                           ;   in Loop: Header=BB842_982 Depth=2
	global_load_b64 v[6:7], v[38:39], off offset:3840
	s_wait_alu 0xfffe
	s_or_b32 exec_lo, exec_lo, s34
	s_and_saveexec_b32 s30, vcc_lo
	s_cbranch_execz .LBB842_1094
.LBB842_1160:                           ;   in Loop: Header=BB842_982 Depth=2
	ds_load_b64 v[38:39], v110 offset:1024
	s_wait_dscnt 0x0
	v_lshrrev_b64 v[38:39], s31, v[38:39]
	s_delay_alu instid0(VALU_DEP_1)
	v_and_b32_e32 v163, s54, v38
	s_wait_alu 0xfffe
	s_or_b32 exec_lo, exec_lo, s30
	s_and_saveexec_b32 s30, s15
	s_cbranch_execz .LBB842_1095
.LBB842_1161:                           ;   in Loop: Header=BB842_982 Depth=2
	ds_load_b64 v[38:39], v110 offset:3072
	s_wait_dscnt 0x0
	v_lshrrev_b64 v[38:39], s31, v[38:39]
	s_delay_alu instid0(VALU_DEP_1)
	v_and_b32_e32 v162, s54, v38
	s_wait_alu 0xfffe
	s_or_b32 exec_lo, exec_lo, s30
	s_and_saveexec_b32 s30, s16
	s_cbranch_execz .LBB842_1096
.LBB842_1162:                           ;   in Loop: Header=BB842_982 Depth=2
	ds_load_b64 v[38:39], v110 offset:5120
	s_wait_dscnt 0x0
	v_lshrrev_b64 v[38:39], s31, v[38:39]
	s_delay_alu instid0(VALU_DEP_1)
	v_and_b32_e32 v161, s54, v38
	s_wait_alu 0xfffe
	s_or_b32 exec_lo, exec_lo, s30
	s_and_saveexec_b32 s30, s17
	s_cbranch_execz .LBB842_1097
.LBB842_1163:                           ;   in Loop: Header=BB842_982 Depth=2
	ds_load_b64 v[38:39], v110 offset:7168
	s_wait_dscnt 0x0
	v_lshrrev_b64 v[38:39], s31, v[38:39]
	s_delay_alu instid0(VALU_DEP_1)
	v_and_b32_e32 v160, s54, v38
	s_wait_alu 0xfffe
	s_or_b32 exec_lo, exec_lo, s30
	s_and_saveexec_b32 s30, s18
	s_cbranch_execz .LBB842_1098
.LBB842_1164:                           ;   in Loop: Header=BB842_982 Depth=2
	ds_load_b64 v[38:39], v110 offset:9216
	s_wait_dscnt 0x0
	v_lshrrev_b64 v[38:39], s31, v[38:39]
	s_delay_alu instid0(VALU_DEP_1)
	v_and_b32_e32 v159, s54, v38
	s_wait_alu 0xfffe
	s_or_b32 exec_lo, exec_lo, s30
	s_and_saveexec_b32 s30, s19
	s_cbranch_execz .LBB842_1099
.LBB842_1165:                           ;   in Loop: Header=BB842_982 Depth=2
	ds_load_b64 v[38:39], v110 offset:11264
	s_wait_dscnt 0x0
	v_lshrrev_b64 v[38:39], s31, v[38:39]
	s_delay_alu instid0(VALU_DEP_1)
	v_and_b32_e32 v158, s54, v38
	s_wait_alu 0xfffe
	s_or_b32 exec_lo, exec_lo, s30
	s_and_saveexec_b32 s30, s20
	s_cbranch_execz .LBB842_1100
.LBB842_1166:                           ;   in Loop: Header=BB842_982 Depth=2
	ds_load_b64 v[38:39], v110 offset:13312
	s_wait_dscnt 0x0
	v_lshrrev_b64 v[38:39], s31, v[38:39]
	s_delay_alu instid0(VALU_DEP_1)
	v_and_b32_e32 v157, s54, v38
	s_wait_alu 0xfffe
	s_or_b32 exec_lo, exec_lo, s30
	s_and_saveexec_b32 s30, s21
	s_cbranch_execz .LBB842_1101
.LBB842_1167:                           ;   in Loop: Header=BB842_982 Depth=2
	ds_load_b64 v[38:39], v110 offset:15360
	s_wait_dscnt 0x0
	v_lshrrev_b64 v[38:39], s31, v[38:39]
	s_delay_alu instid0(VALU_DEP_1)
	v_and_b32_e32 v156, s54, v38
	s_wait_alu 0xfffe
	s_or_b32 exec_lo, exec_lo, s30
	s_and_saveexec_b32 s30, s22
	s_cbranch_execz .LBB842_1102
.LBB842_1168:                           ;   in Loop: Header=BB842_982 Depth=2
	ds_load_b64 v[38:39], v110 offset:17408
	s_wait_dscnt 0x0
	v_lshrrev_b64 v[38:39], s31, v[38:39]
	s_delay_alu instid0(VALU_DEP_1)
	v_and_b32_e32 v155, s54, v38
	s_wait_alu 0xfffe
	s_or_b32 exec_lo, exec_lo, s30
	s_and_saveexec_b32 s30, s23
	s_cbranch_execz .LBB842_1103
.LBB842_1169:                           ;   in Loop: Header=BB842_982 Depth=2
	ds_load_b64 v[38:39], v110 offset:19456
	s_wait_dscnt 0x0
	v_lshrrev_b64 v[38:39], s31, v[38:39]
	s_delay_alu instid0(VALU_DEP_1)
	v_and_b32_e32 v154, s54, v38
	s_wait_alu 0xfffe
	s_or_b32 exec_lo, exec_lo, s30
	s_and_saveexec_b32 s30, s24
	s_cbranch_execz .LBB842_1104
.LBB842_1170:                           ;   in Loop: Header=BB842_982 Depth=2
	ds_load_b64 v[38:39], v110 offset:21504
	s_wait_dscnt 0x0
	v_lshrrev_b64 v[38:39], s31, v[38:39]
	s_delay_alu instid0(VALU_DEP_1)
	v_and_b32_e32 v153, s54, v38
	s_wait_alu 0xfffe
	s_or_b32 exec_lo, exec_lo, s30
	s_and_saveexec_b32 s30, s25
	s_cbranch_execz .LBB842_1105
.LBB842_1171:                           ;   in Loop: Header=BB842_982 Depth=2
	ds_load_b64 v[38:39], v110 offset:23552
	s_wait_dscnt 0x0
	v_lshrrev_b64 v[38:39], s31, v[38:39]
	s_delay_alu instid0(VALU_DEP_1)
	v_and_b32_e32 v152, s54, v38
	s_wait_alu 0xfffe
	s_or_b32 exec_lo, exec_lo, s30
	s_and_saveexec_b32 s30, s26
	s_cbranch_execz .LBB842_1106
.LBB842_1172:                           ;   in Loop: Header=BB842_982 Depth=2
	ds_load_b64 v[38:39], v110 offset:25600
	s_wait_dscnt 0x0
	v_lshrrev_b64 v[38:39], s31, v[38:39]
	s_delay_alu instid0(VALU_DEP_1)
	v_and_b32_e32 v151, s54, v38
	s_wait_alu 0xfffe
	s_or_b32 exec_lo, exec_lo, s30
	s_and_saveexec_b32 s30, s27
	s_cbranch_execz .LBB842_1107
.LBB842_1173:                           ;   in Loop: Header=BB842_982 Depth=2
	ds_load_b64 v[38:39], v110 offset:27648
	s_wait_dscnt 0x0
	v_lshrrev_b64 v[38:39], s31, v[38:39]
	s_delay_alu instid0(VALU_DEP_1)
	v_and_b32_e32 v150, s54, v38
	s_wait_alu 0xfffe
	s_or_b32 exec_lo, exec_lo, s30
	s_and_saveexec_b32 s30, s28
	s_cbranch_execz .LBB842_1108
.LBB842_1174:                           ;   in Loop: Header=BB842_982 Depth=2
	ds_load_b64 v[38:39], v110 offset:29696
	s_wait_dscnt 0x0
	v_lshrrev_b64 v[38:39], s31, v[38:39]
	s_delay_alu instid0(VALU_DEP_1)
	v_and_b32_e32 v149, s54, v38
	s_wait_alu 0xfffe
	s_or_b32 exec_lo, exec_lo, s30
	s_and_saveexec_b32 s30, s29
	s_cbranch_execnz .LBB842_1109
	s_branch .LBB842_1110
.LBB842_1175:                           ;   in Loop: Header=BB842_982 Depth=2
	v_lshlrev_b32_e32 v2, 2, v163
	ds_load_b32 v2, v2
	ds_load_b64 v[38:39], v110 offset:1024
	s_wait_dscnt 0x1
	v_add_nc_u32_e32 v2, v2, v1
	s_delay_alu instid0(VALU_DEP_1) | instskip(NEXT) | instid1(VALU_DEP_1)
	v_lshlrev_b64_e32 v[40:41], 3, v[2:3]
	v_add_co_u32 v40, vcc_lo, s46, v40
	s_wait_alu 0xfffd
	s_delay_alu instid0(VALU_DEP_2)
	v_add_co_ci_u32_e64 v41, null, s47, v41, vcc_lo
	s_wait_dscnt 0x0
	global_store_b64 v[40:41], v[38:39], off
	s_wait_alu 0xfffe
	s_or_b32 exec_lo, exec_lo, s30
	s_and_saveexec_b32 s30, s15
	s_cbranch_execz .LBB842_1112
.LBB842_1176:                           ;   in Loop: Header=BB842_982 Depth=2
	v_lshlrev_b32_e32 v2, 2, v162
	ds_load_b32 v2, v2
	ds_load_b64 v[38:39], v110 offset:3072
	s_wait_dscnt 0x1
	v_add_nc_u32_e32 v2, v2, v79
	s_delay_alu instid0(VALU_DEP_1) | instskip(NEXT) | instid1(VALU_DEP_1)
	v_lshlrev_b64_e32 v[40:41], 3, v[2:3]
	v_add_co_u32 v40, vcc_lo, s46, v40
	s_wait_alu 0xfffd
	s_delay_alu instid0(VALU_DEP_2)
	v_add_co_ci_u32_e64 v41, null, s47, v41, vcc_lo
	s_wait_dscnt 0x0
	global_store_b64 v[40:41], v[38:39], off
	s_wait_alu 0xfffe
	s_or_b32 exec_lo, exec_lo, s30
	s_and_saveexec_b32 s15, s16
	s_cbranch_execz .LBB842_1113
.LBB842_1177:                           ;   in Loop: Header=BB842_982 Depth=2
	v_lshlrev_b32_e32 v2, 2, v161
	ds_load_b32 v2, v2
	ds_load_b64 v[38:39], v110 offset:5120
	s_wait_dscnt 0x1
	v_add_nc_u32_e32 v2, v2, v80
	s_delay_alu instid0(VALU_DEP_1) | instskip(NEXT) | instid1(VALU_DEP_1)
	v_lshlrev_b64_e32 v[40:41], 3, v[2:3]
	v_add_co_u32 v40, vcc_lo, s46, v40
	s_wait_alu 0xfffd
	s_delay_alu instid0(VALU_DEP_2)
	v_add_co_ci_u32_e64 v41, null, s47, v41, vcc_lo
	s_wait_dscnt 0x0
	global_store_b64 v[40:41], v[38:39], off
	s_wait_alu 0xfffe
	s_or_b32 exec_lo, exec_lo, s15
	s_and_saveexec_b32 s15, s17
	s_cbranch_execz .LBB842_1114
.LBB842_1178:                           ;   in Loop: Header=BB842_982 Depth=2
	v_lshlrev_b32_e32 v2, 2, v160
	ds_load_b32 v2, v2
	ds_load_b64 v[38:39], v110 offset:7168
	s_wait_dscnt 0x1
	v_add_nc_u32_e32 v2, v2, v81
	s_delay_alu instid0(VALU_DEP_1) | instskip(NEXT) | instid1(VALU_DEP_1)
	v_lshlrev_b64_e32 v[40:41], 3, v[2:3]
	v_add_co_u32 v40, vcc_lo, s46, v40
	s_wait_alu 0xfffd
	s_delay_alu instid0(VALU_DEP_2)
	v_add_co_ci_u32_e64 v41, null, s47, v41, vcc_lo
	s_wait_dscnt 0x0
	global_store_b64 v[40:41], v[38:39], off
	s_wait_alu 0xfffe
	s_or_b32 exec_lo, exec_lo, s15
	s_and_saveexec_b32 s15, s18
	s_cbranch_execz .LBB842_1115
.LBB842_1179:                           ;   in Loop: Header=BB842_982 Depth=2
	v_lshlrev_b32_e32 v2, 2, v159
	ds_load_b32 v2, v2
	ds_load_b64 v[38:39], v110 offset:9216
	s_wait_dscnt 0x1
	v_add_nc_u32_e32 v2, v2, v84
	s_delay_alu instid0(VALU_DEP_1) | instskip(NEXT) | instid1(VALU_DEP_1)
	v_lshlrev_b64_e32 v[40:41], 3, v[2:3]
	v_add_co_u32 v40, vcc_lo, s46, v40
	s_wait_alu 0xfffd
	s_delay_alu instid0(VALU_DEP_2)
	v_add_co_ci_u32_e64 v41, null, s47, v41, vcc_lo
	s_wait_dscnt 0x0
	global_store_b64 v[40:41], v[38:39], off
	s_wait_alu 0xfffe
	s_or_b32 exec_lo, exec_lo, s15
	s_and_saveexec_b32 s15, s19
	s_cbranch_execz .LBB842_1116
.LBB842_1180:                           ;   in Loop: Header=BB842_982 Depth=2
	v_lshlrev_b32_e32 v2, 2, v158
	ds_load_b32 v2, v2
	ds_load_b64 v[38:39], v110 offset:11264
	s_wait_dscnt 0x1
	v_add_nc_u32_e32 v2, v2, v85
	s_delay_alu instid0(VALU_DEP_1) | instskip(NEXT) | instid1(VALU_DEP_1)
	v_lshlrev_b64_e32 v[40:41], 3, v[2:3]
	v_add_co_u32 v40, vcc_lo, s46, v40
	s_wait_alu 0xfffd
	s_delay_alu instid0(VALU_DEP_2)
	v_add_co_ci_u32_e64 v41, null, s47, v41, vcc_lo
	s_wait_dscnt 0x0
	global_store_b64 v[40:41], v[38:39], off
	s_wait_alu 0xfffe
	s_or_b32 exec_lo, exec_lo, s15
	s_and_saveexec_b32 s15, s20
	s_cbranch_execz .LBB842_1117
.LBB842_1181:                           ;   in Loop: Header=BB842_982 Depth=2
	v_lshlrev_b32_e32 v2, 2, v157
	ds_load_b32 v2, v2
	ds_load_b64 v[38:39], v110 offset:13312
	s_wait_dscnt 0x1
	v_add_nc_u32_e32 v2, v2, v86
	s_delay_alu instid0(VALU_DEP_1) | instskip(NEXT) | instid1(VALU_DEP_1)
	v_lshlrev_b64_e32 v[40:41], 3, v[2:3]
	v_add_co_u32 v40, vcc_lo, s46, v40
	s_wait_alu 0xfffd
	s_delay_alu instid0(VALU_DEP_2)
	v_add_co_ci_u32_e64 v41, null, s47, v41, vcc_lo
	s_wait_dscnt 0x0
	global_store_b64 v[40:41], v[38:39], off
	s_wait_alu 0xfffe
	s_or_b32 exec_lo, exec_lo, s15
	s_and_saveexec_b32 s15, s21
	s_cbranch_execz .LBB842_1118
.LBB842_1182:                           ;   in Loop: Header=BB842_982 Depth=2
	v_lshlrev_b32_e32 v2, 2, v156
	ds_load_b32 v2, v2
	ds_load_b64 v[38:39], v110 offset:15360
	s_wait_dscnt 0x1
	v_add_nc_u32_e32 v2, v2, v87
	s_delay_alu instid0(VALU_DEP_1) | instskip(NEXT) | instid1(VALU_DEP_1)
	v_lshlrev_b64_e32 v[40:41], 3, v[2:3]
	v_add_co_u32 v40, vcc_lo, s46, v40
	s_wait_alu 0xfffd
	s_delay_alu instid0(VALU_DEP_2)
	v_add_co_ci_u32_e64 v41, null, s47, v41, vcc_lo
	s_wait_dscnt 0x0
	global_store_b64 v[40:41], v[38:39], off
	s_wait_alu 0xfffe
	s_or_b32 exec_lo, exec_lo, s15
	s_and_saveexec_b32 s15, s22
	s_cbranch_execz .LBB842_1119
.LBB842_1183:                           ;   in Loop: Header=BB842_982 Depth=2
	v_lshlrev_b32_e32 v2, 2, v155
	ds_load_b32 v2, v2
	ds_load_b64 v[38:39], v110 offset:17408
	s_wait_dscnt 0x1
	v_add_nc_u32_e32 v2, v2, v88
	s_delay_alu instid0(VALU_DEP_1) | instskip(NEXT) | instid1(VALU_DEP_1)
	v_lshlrev_b64_e32 v[40:41], 3, v[2:3]
	v_add_co_u32 v40, vcc_lo, s46, v40
	s_wait_alu 0xfffd
	s_delay_alu instid0(VALU_DEP_2)
	v_add_co_ci_u32_e64 v41, null, s47, v41, vcc_lo
	s_wait_dscnt 0x0
	global_store_b64 v[40:41], v[38:39], off
	s_wait_alu 0xfffe
	s_or_b32 exec_lo, exec_lo, s15
	s_and_saveexec_b32 s15, s23
	s_cbranch_execz .LBB842_1120
.LBB842_1184:                           ;   in Loop: Header=BB842_982 Depth=2
	v_lshlrev_b32_e32 v2, 2, v154
	ds_load_b32 v2, v2
	ds_load_b64 v[38:39], v110 offset:19456
	s_wait_dscnt 0x1
	v_add_nc_u32_e32 v2, v2, v89
	s_delay_alu instid0(VALU_DEP_1) | instskip(NEXT) | instid1(VALU_DEP_1)
	v_lshlrev_b64_e32 v[40:41], 3, v[2:3]
	v_add_co_u32 v40, vcc_lo, s46, v40
	s_wait_alu 0xfffd
	s_delay_alu instid0(VALU_DEP_2)
	v_add_co_ci_u32_e64 v41, null, s47, v41, vcc_lo
	s_wait_dscnt 0x0
	global_store_b64 v[40:41], v[38:39], off
	s_wait_alu 0xfffe
	s_or_b32 exec_lo, exec_lo, s15
	s_and_saveexec_b32 s15, s24
	s_cbranch_execz .LBB842_1121
.LBB842_1185:                           ;   in Loop: Header=BB842_982 Depth=2
	v_lshlrev_b32_e32 v2, 2, v153
	ds_load_b32 v2, v2
	ds_load_b64 v[38:39], v110 offset:21504
	s_wait_dscnt 0x1
	v_add_nc_u32_e32 v2, v2, v90
	s_delay_alu instid0(VALU_DEP_1) | instskip(NEXT) | instid1(VALU_DEP_1)
	v_lshlrev_b64_e32 v[40:41], 3, v[2:3]
	v_add_co_u32 v40, vcc_lo, s46, v40
	s_wait_alu 0xfffd
	s_delay_alu instid0(VALU_DEP_2)
	v_add_co_ci_u32_e64 v41, null, s47, v41, vcc_lo
	s_wait_dscnt 0x0
	global_store_b64 v[40:41], v[38:39], off
	s_wait_alu 0xfffe
	s_or_b32 exec_lo, exec_lo, s15
	s_and_saveexec_b32 s15, s25
	s_cbranch_execz .LBB842_1122
.LBB842_1186:                           ;   in Loop: Header=BB842_982 Depth=2
	v_lshlrev_b32_e32 v2, 2, v152
	ds_load_b32 v2, v2
	ds_load_b64 v[38:39], v110 offset:23552
	s_wait_dscnt 0x1
	v_add_nc_u32_e32 v2, v2, v91
	s_delay_alu instid0(VALU_DEP_1) | instskip(NEXT) | instid1(VALU_DEP_1)
	v_lshlrev_b64_e32 v[40:41], 3, v[2:3]
	v_add_co_u32 v40, vcc_lo, s46, v40
	s_wait_alu 0xfffd
	s_delay_alu instid0(VALU_DEP_2)
	v_add_co_ci_u32_e64 v41, null, s47, v41, vcc_lo
	s_wait_dscnt 0x0
	global_store_b64 v[40:41], v[38:39], off
	s_wait_alu 0xfffe
	s_or_b32 exec_lo, exec_lo, s15
	s_and_saveexec_b32 s15, s26
	s_cbranch_execz .LBB842_1123
.LBB842_1187:                           ;   in Loop: Header=BB842_982 Depth=2
	v_lshlrev_b32_e32 v2, 2, v151
	ds_load_b32 v2, v2
	ds_load_b64 v[38:39], v110 offset:25600
	s_wait_dscnt 0x1
	v_add_nc_u32_e32 v2, v2, v92
	s_delay_alu instid0(VALU_DEP_1) | instskip(NEXT) | instid1(VALU_DEP_1)
	v_lshlrev_b64_e32 v[40:41], 3, v[2:3]
	v_add_co_u32 v40, vcc_lo, s46, v40
	s_wait_alu 0xfffd
	s_delay_alu instid0(VALU_DEP_2)
	v_add_co_ci_u32_e64 v41, null, s47, v41, vcc_lo
	s_wait_dscnt 0x0
	global_store_b64 v[40:41], v[38:39], off
	s_wait_alu 0xfffe
	s_or_b32 exec_lo, exec_lo, s15
	s_and_saveexec_b32 s15, s27
	s_cbranch_execz .LBB842_1124
.LBB842_1188:                           ;   in Loop: Header=BB842_982 Depth=2
	v_lshlrev_b32_e32 v2, 2, v150
	ds_load_b32 v2, v2
	ds_load_b64 v[38:39], v110 offset:27648
	s_wait_dscnt 0x1
	v_add_nc_u32_e32 v2, v2, v93
	s_delay_alu instid0(VALU_DEP_1) | instskip(NEXT) | instid1(VALU_DEP_1)
	v_lshlrev_b64_e32 v[40:41], 3, v[2:3]
	v_add_co_u32 v40, vcc_lo, s46, v40
	s_wait_alu 0xfffd
	s_delay_alu instid0(VALU_DEP_2)
	v_add_co_ci_u32_e64 v41, null, s47, v41, vcc_lo
	s_wait_dscnt 0x0
	global_store_b64 v[40:41], v[38:39], off
	s_wait_alu 0xfffe
	s_or_b32 exec_lo, exec_lo, s15
	s_and_saveexec_b32 s15, s28
	s_cbranch_execz .LBB842_1125
.LBB842_1189:                           ;   in Loop: Header=BB842_982 Depth=2
	v_lshlrev_b32_e32 v2, 2, v149
	ds_load_b32 v2, v2
	ds_load_b64 v[38:39], v110 offset:29696
	s_wait_dscnt 0x1
	v_add_nc_u32_e32 v2, v2, v94
	s_delay_alu instid0(VALU_DEP_1) | instskip(NEXT) | instid1(VALU_DEP_1)
	v_lshlrev_b64_e32 v[40:41], 3, v[2:3]
	v_add_co_u32 v40, vcc_lo, s46, v40
	s_wait_alu 0xfffd
	s_delay_alu instid0(VALU_DEP_2)
	v_add_co_ci_u32_e64 v41, null, s47, v41, vcc_lo
	s_wait_dscnt 0x0
	global_store_b64 v[40:41], v[38:39], off
	s_wait_alu 0xfffe
	s_or_b32 exec_lo, exec_lo, s15
	s_and_saveexec_b32 s15, s29
	s_cbranch_execnz .LBB842_1126
	s_branch .LBB842_1127
.LBB842_1190:
	s_endpgm
	.section	.rodata,"a",@progbits
	.p2align	6, 0x0
	.amdhsa_kernel _ZN7rocprim17ROCPRIM_400000_NS6detail17trampoline_kernelINS0_14default_configENS1_36segmented_radix_sort_config_selectorIllEEZNS1_25segmented_radix_sort_implIS3_Lb0EPKlPlS8_S9_N2at6native12_GLOBAL__N_18offset_tEEE10hipError_tPvRmT1_PNSt15iterator_traitsISH_E10value_typeET2_T3_PNSI_ISN_E10value_typeET4_jRbjT5_ST_jjP12ihipStream_tbEUlT_E2_NS1_11comp_targetILNS1_3genE10ELNS1_11target_archE1201ELNS1_3gpuE5ELNS1_3repE0EEENS1_30default_config_static_selectorELNS0_4arch9wavefront6targetE0EEEvSH_
		.amdhsa_group_segment_fixed_size 33824
		.amdhsa_private_segment_fixed_size 176
		.amdhsa_kernarg_size 336
		.amdhsa_user_sgpr_count 2
		.amdhsa_user_sgpr_dispatch_ptr 0
		.amdhsa_user_sgpr_queue_ptr 0
		.amdhsa_user_sgpr_kernarg_segment_ptr 1
		.amdhsa_user_sgpr_dispatch_id 0
		.amdhsa_user_sgpr_private_segment_size 0
		.amdhsa_wavefront_size32 1
		.amdhsa_uses_dynamic_stack 0
		.amdhsa_enable_private_segment 1
		.amdhsa_system_sgpr_workgroup_id_x 1
		.amdhsa_system_sgpr_workgroup_id_y 1
		.amdhsa_system_sgpr_workgroup_id_z 0
		.amdhsa_system_sgpr_workgroup_info 0
		.amdhsa_system_vgpr_workitem_id 2
		.amdhsa_next_free_vgpr 248
		.amdhsa_next_free_sgpr 60
		.amdhsa_reserve_vcc 1
		.amdhsa_float_round_mode_32 0
		.amdhsa_float_round_mode_16_64 0
		.amdhsa_float_denorm_mode_32 3
		.amdhsa_float_denorm_mode_16_64 3
		.amdhsa_fp16_overflow 0
		.amdhsa_workgroup_processor_mode 1
		.amdhsa_memory_ordered 1
		.amdhsa_forward_progress 1
		.amdhsa_inst_pref_size 255
		.amdhsa_round_robin_scheduling 0
		.amdhsa_exception_fp_ieee_invalid_op 0
		.amdhsa_exception_fp_denorm_src 0
		.amdhsa_exception_fp_ieee_div_zero 0
		.amdhsa_exception_fp_ieee_overflow 0
		.amdhsa_exception_fp_ieee_underflow 0
		.amdhsa_exception_fp_ieee_inexact 0
		.amdhsa_exception_int_div_zero 0
	.end_amdhsa_kernel
	.section	.text._ZN7rocprim17ROCPRIM_400000_NS6detail17trampoline_kernelINS0_14default_configENS1_36segmented_radix_sort_config_selectorIllEEZNS1_25segmented_radix_sort_implIS3_Lb0EPKlPlS8_S9_N2at6native12_GLOBAL__N_18offset_tEEE10hipError_tPvRmT1_PNSt15iterator_traitsISH_E10value_typeET2_T3_PNSI_ISN_E10value_typeET4_jRbjT5_ST_jjP12ihipStream_tbEUlT_E2_NS1_11comp_targetILNS1_3genE10ELNS1_11target_archE1201ELNS1_3gpuE5ELNS1_3repE0EEENS1_30default_config_static_selectorELNS0_4arch9wavefront6targetE0EEEvSH_,"axG",@progbits,_ZN7rocprim17ROCPRIM_400000_NS6detail17trampoline_kernelINS0_14default_configENS1_36segmented_radix_sort_config_selectorIllEEZNS1_25segmented_radix_sort_implIS3_Lb0EPKlPlS8_S9_N2at6native12_GLOBAL__N_18offset_tEEE10hipError_tPvRmT1_PNSt15iterator_traitsISH_E10value_typeET2_T3_PNSI_ISN_E10value_typeET4_jRbjT5_ST_jjP12ihipStream_tbEUlT_E2_NS1_11comp_targetILNS1_3genE10ELNS1_11target_archE1201ELNS1_3gpuE5ELNS1_3repE0EEENS1_30default_config_static_selectorELNS0_4arch9wavefront6targetE0EEEvSH_,comdat
.Lfunc_end842:
	.size	_ZN7rocprim17ROCPRIM_400000_NS6detail17trampoline_kernelINS0_14default_configENS1_36segmented_radix_sort_config_selectorIllEEZNS1_25segmented_radix_sort_implIS3_Lb0EPKlPlS8_S9_N2at6native12_GLOBAL__N_18offset_tEEE10hipError_tPvRmT1_PNSt15iterator_traitsISH_E10value_typeET2_T3_PNSI_ISN_E10value_typeET4_jRbjT5_ST_jjP12ihipStream_tbEUlT_E2_NS1_11comp_targetILNS1_3genE10ELNS1_11target_archE1201ELNS1_3gpuE5ELNS1_3repE0EEENS1_30default_config_static_selectorELNS0_4arch9wavefront6targetE0EEEvSH_, .Lfunc_end842-_ZN7rocprim17ROCPRIM_400000_NS6detail17trampoline_kernelINS0_14default_configENS1_36segmented_radix_sort_config_selectorIllEEZNS1_25segmented_radix_sort_implIS3_Lb0EPKlPlS8_S9_N2at6native12_GLOBAL__N_18offset_tEEE10hipError_tPvRmT1_PNSt15iterator_traitsISH_E10value_typeET2_T3_PNSI_ISN_E10value_typeET4_jRbjT5_ST_jjP12ihipStream_tbEUlT_E2_NS1_11comp_targetILNS1_3genE10ELNS1_11target_archE1201ELNS1_3gpuE5ELNS1_3repE0EEENS1_30default_config_static_selectorELNS0_4arch9wavefront6targetE0EEEvSH_
                                        ; -- End function
	.set _ZN7rocprim17ROCPRIM_400000_NS6detail17trampoline_kernelINS0_14default_configENS1_36segmented_radix_sort_config_selectorIllEEZNS1_25segmented_radix_sort_implIS3_Lb0EPKlPlS8_S9_N2at6native12_GLOBAL__N_18offset_tEEE10hipError_tPvRmT1_PNSt15iterator_traitsISH_E10value_typeET2_T3_PNSI_ISN_E10value_typeET4_jRbjT5_ST_jjP12ihipStream_tbEUlT_E2_NS1_11comp_targetILNS1_3genE10ELNS1_11target_archE1201ELNS1_3gpuE5ELNS1_3repE0EEENS1_30default_config_static_selectorELNS0_4arch9wavefront6targetE0EEEvSH_.num_vgpr, max(218, .L_ZN7rocprim17ROCPRIM_400000_NS6detail26segmented_warp_sort_helperINS1_20WarpSortHelperConfigILj8ELj4ELj256EEEllLi256ELb0EvE4sortIPKlPlS8_S9_EEvT_T0_T1_T2_jjjjRNS5_12storage_typeE.num_vgpr, .L_ZN7rocprim17ROCPRIM_400000_NS6detail40segmented_radix_sort_single_block_helperIllLj256ELj16ELb0EE4sortIPKlPlS6_S7_EEbT_T0_T1_T2_jjjjRNS3_12storage_typeE.num_vgpr)
	.set _ZN7rocprim17ROCPRIM_400000_NS6detail17trampoline_kernelINS0_14default_configENS1_36segmented_radix_sort_config_selectorIllEEZNS1_25segmented_radix_sort_implIS3_Lb0EPKlPlS8_S9_N2at6native12_GLOBAL__N_18offset_tEEE10hipError_tPvRmT1_PNSt15iterator_traitsISH_E10value_typeET2_T3_PNSI_ISN_E10value_typeET4_jRbjT5_ST_jjP12ihipStream_tbEUlT_E2_NS1_11comp_targetILNS1_3genE10ELNS1_11target_archE1201ELNS1_3gpuE5ELNS1_3repE0EEENS1_30default_config_static_selectorELNS0_4arch9wavefront6targetE0EEEvSH_.num_agpr, max(0, .L_ZN7rocprim17ROCPRIM_400000_NS6detail26segmented_warp_sort_helperINS1_20WarpSortHelperConfigILj8ELj4ELj256EEEllLi256ELb0EvE4sortIPKlPlS8_S9_EEvT_T0_T1_T2_jjjjRNS5_12storage_typeE.num_agpr, .L_ZN7rocprim17ROCPRIM_400000_NS6detail40segmented_radix_sort_single_block_helperIllLj256ELj16ELb0EE4sortIPKlPlS6_S7_EEbT_T0_T1_T2_jjjjRNS3_12storage_typeE.num_agpr)
	.set _ZN7rocprim17ROCPRIM_400000_NS6detail17trampoline_kernelINS0_14default_configENS1_36segmented_radix_sort_config_selectorIllEEZNS1_25segmented_radix_sort_implIS3_Lb0EPKlPlS8_S9_N2at6native12_GLOBAL__N_18offset_tEEE10hipError_tPvRmT1_PNSt15iterator_traitsISH_E10value_typeET2_T3_PNSI_ISN_E10value_typeET4_jRbjT5_ST_jjP12ihipStream_tbEUlT_E2_NS1_11comp_targetILNS1_3genE10ELNS1_11target_archE1201ELNS1_3gpuE5ELNS1_3repE0EEENS1_30default_config_static_selectorELNS0_4arch9wavefront6targetE0EEEvSH_.numbered_sgpr, max(60, .L_ZN7rocprim17ROCPRIM_400000_NS6detail26segmented_warp_sort_helperINS1_20WarpSortHelperConfigILj8ELj4ELj256EEEllLi256ELb0EvE4sortIPKlPlS8_S9_EEvT_T0_T1_T2_jjjjRNS5_12storage_typeE.numbered_sgpr, .L_ZN7rocprim17ROCPRIM_400000_NS6detail40segmented_radix_sort_single_block_helperIllLj256ELj16ELb0EE4sortIPKlPlS6_S7_EEbT_T0_T1_T2_jjjjRNS3_12storage_typeE.numbered_sgpr)
	.set _ZN7rocprim17ROCPRIM_400000_NS6detail17trampoline_kernelINS0_14default_configENS1_36segmented_radix_sort_config_selectorIllEEZNS1_25segmented_radix_sort_implIS3_Lb0EPKlPlS8_S9_N2at6native12_GLOBAL__N_18offset_tEEE10hipError_tPvRmT1_PNSt15iterator_traitsISH_E10value_typeET2_T3_PNSI_ISN_E10value_typeET4_jRbjT5_ST_jjP12ihipStream_tbEUlT_E2_NS1_11comp_targetILNS1_3genE10ELNS1_11target_archE1201ELNS1_3gpuE5ELNS1_3repE0EEENS1_30default_config_static_selectorELNS0_4arch9wavefront6targetE0EEEvSH_.num_named_barrier, max(0, .L_ZN7rocprim17ROCPRIM_400000_NS6detail26segmented_warp_sort_helperINS1_20WarpSortHelperConfigILj8ELj4ELj256EEEllLi256ELb0EvE4sortIPKlPlS8_S9_EEvT_T0_T1_T2_jjjjRNS5_12storage_typeE.num_named_barrier, .L_ZN7rocprim17ROCPRIM_400000_NS6detail40segmented_radix_sort_single_block_helperIllLj256ELj16ELb0EE4sortIPKlPlS6_S7_EEbT_T0_T1_T2_jjjjRNS3_12storage_typeE.num_named_barrier)
	.set _ZN7rocprim17ROCPRIM_400000_NS6detail17trampoline_kernelINS0_14default_configENS1_36segmented_radix_sort_config_selectorIllEEZNS1_25segmented_radix_sort_implIS3_Lb0EPKlPlS8_S9_N2at6native12_GLOBAL__N_18offset_tEEE10hipError_tPvRmT1_PNSt15iterator_traitsISH_E10value_typeET2_T3_PNSI_ISN_E10value_typeET4_jRbjT5_ST_jjP12ihipStream_tbEUlT_E2_NS1_11comp_targetILNS1_3genE10ELNS1_11target_archE1201ELNS1_3gpuE5ELNS1_3repE0EEENS1_30default_config_static_selectorELNS0_4arch9wavefront6targetE0EEEvSH_.private_seg_size, 0+max(.L_ZN7rocprim17ROCPRIM_400000_NS6detail26segmented_warp_sort_helperINS1_20WarpSortHelperConfigILj8ELj4ELj256EEEllLi256ELb0EvE4sortIPKlPlS8_S9_EEvT_T0_T1_T2_jjjjRNS5_12storage_typeE.private_seg_size, .L_ZN7rocprim17ROCPRIM_400000_NS6detail40segmented_radix_sort_single_block_helperIllLj256ELj16ELb0EE4sortIPKlPlS6_S7_EEbT_T0_T1_T2_jjjjRNS3_12storage_typeE.private_seg_size)
	.set _ZN7rocprim17ROCPRIM_400000_NS6detail17trampoline_kernelINS0_14default_configENS1_36segmented_radix_sort_config_selectorIllEEZNS1_25segmented_radix_sort_implIS3_Lb0EPKlPlS8_S9_N2at6native12_GLOBAL__N_18offset_tEEE10hipError_tPvRmT1_PNSt15iterator_traitsISH_E10value_typeET2_T3_PNSI_ISN_E10value_typeET4_jRbjT5_ST_jjP12ihipStream_tbEUlT_E2_NS1_11comp_targetILNS1_3genE10ELNS1_11target_archE1201ELNS1_3gpuE5ELNS1_3repE0EEENS1_30default_config_static_selectorELNS0_4arch9wavefront6targetE0EEEvSH_.uses_vcc, or(1, .L_ZN7rocprim17ROCPRIM_400000_NS6detail26segmented_warp_sort_helperINS1_20WarpSortHelperConfigILj8ELj4ELj256EEEllLi256ELb0EvE4sortIPKlPlS8_S9_EEvT_T0_T1_T2_jjjjRNS5_12storage_typeE.uses_vcc, .L_ZN7rocprim17ROCPRIM_400000_NS6detail40segmented_radix_sort_single_block_helperIllLj256ELj16ELb0EE4sortIPKlPlS6_S7_EEbT_T0_T1_T2_jjjjRNS3_12storage_typeE.uses_vcc)
	.set _ZN7rocprim17ROCPRIM_400000_NS6detail17trampoline_kernelINS0_14default_configENS1_36segmented_radix_sort_config_selectorIllEEZNS1_25segmented_radix_sort_implIS3_Lb0EPKlPlS8_S9_N2at6native12_GLOBAL__N_18offset_tEEE10hipError_tPvRmT1_PNSt15iterator_traitsISH_E10value_typeET2_T3_PNSI_ISN_E10value_typeET4_jRbjT5_ST_jjP12ihipStream_tbEUlT_E2_NS1_11comp_targetILNS1_3genE10ELNS1_11target_archE1201ELNS1_3gpuE5ELNS1_3repE0EEENS1_30default_config_static_selectorELNS0_4arch9wavefront6targetE0EEEvSH_.uses_flat_scratch, or(0, .L_ZN7rocprim17ROCPRIM_400000_NS6detail26segmented_warp_sort_helperINS1_20WarpSortHelperConfigILj8ELj4ELj256EEEllLi256ELb0EvE4sortIPKlPlS8_S9_EEvT_T0_T1_T2_jjjjRNS5_12storage_typeE.uses_flat_scratch, .L_ZN7rocprim17ROCPRIM_400000_NS6detail40segmented_radix_sort_single_block_helperIllLj256ELj16ELb0EE4sortIPKlPlS6_S7_EEbT_T0_T1_T2_jjjjRNS3_12storage_typeE.uses_flat_scratch)
	.set _ZN7rocprim17ROCPRIM_400000_NS6detail17trampoline_kernelINS0_14default_configENS1_36segmented_radix_sort_config_selectorIllEEZNS1_25segmented_radix_sort_implIS3_Lb0EPKlPlS8_S9_N2at6native12_GLOBAL__N_18offset_tEEE10hipError_tPvRmT1_PNSt15iterator_traitsISH_E10value_typeET2_T3_PNSI_ISN_E10value_typeET4_jRbjT5_ST_jjP12ihipStream_tbEUlT_E2_NS1_11comp_targetILNS1_3genE10ELNS1_11target_archE1201ELNS1_3gpuE5ELNS1_3repE0EEENS1_30default_config_static_selectorELNS0_4arch9wavefront6targetE0EEEvSH_.has_dyn_sized_stack, or(0, .L_ZN7rocprim17ROCPRIM_400000_NS6detail26segmented_warp_sort_helperINS1_20WarpSortHelperConfigILj8ELj4ELj256EEEllLi256ELb0EvE4sortIPKlPlS8_S9_EEvT_T0_T1_T2_jjjjRNS5_12storage_typeE.has_dyn_sized_stack, .L_ZN7rocprim17ROCPRIM_400000_NS6detail40segmented_radix_sort_single_block_helperIllLj256ELj16ELb0EE4sortIPKlPlS6_S7_EEbT_T0_T1_T2_jjjjRNS3_12storage_typeE.has_dyn_sized_stack)
	.set _ZN7rocprim17ROCPRIM_400000_NS6detail17trampoline_kernelINS0_14default_configENS1_36segmented_radix_sort_config_selectorIllEEZNS1_25segmented_radix_sort_implIS3_Lb0EPKlPlS8_S9_N2at6native12_GLOBAL__N_18offset_tEEE10hipError_tPvRmT1_PNSt15iterator_traitsISH_E10value_typeET2_T3_PNSI_ISN_E10value_typeET4_jRbjT5_ST_jjP12ihipStream_tbEUlT_E2_NS1_11comp_targetILNS1_3genE10ELNS1_11target_archE1201ELNS1_3gpuE5ELNS1_3repE0EEENS1_30default_config_static_selectorELNS0_4arch9wavefront6targetE0EEEvSH_.has_recursion, or(0, .L_ZN7rocprim17ROCPRIM_400000_NS6detail26segmented_warp_sort_helperINS1_20WarpSortHelperConfigILj8ELj4ELj256EEEllLi256ELb0EvE4sortIPKlPlS8_S9_EEvT_T0_T1_T2_jjjjRNS5_12storage_typeE.has_recursion, .L_ZN7rocprim17ROCPRIM_400000_NS6detail40segmented_radix_sort_single_block_helperIllLj256ELj16ELb0EE4sortIPKlPlS6_S7_EEbT_T0_T1_T2_jjjjRNS3_12storage_typeE.has_recursion)
	.set _ZN7rocprim17ROCPRIM_400000_NS6detail17trampoline_kernelINS0_14default_configENS1_36segmented_radix_sort_config_selectorIllEEZNS1_25segmented_radix_sort_implIS3_Lb0EPKlPlS8_S9_N2at6native12_GLOBAL__N_18offset_tEEE10hipError_tPvRmT1_PNSt15iterator_traitsISH_E10value_typeET2_T3_PNSI_ISN_E10value_typeET4_jRbjT5_ST_jjP12ihipStream_tbEUlT_E2_NS1_11comp_targetILNS1_3genE10ELNS1_11target_archE1201ELNS1_3gpuE5ELNS1_3repE0EEENS1_30default_config_static_selectorELNS0_4arch9wavefront6targetE0EEEvSH_.has_indirect_call, or(0, .L_ZN7rocprim17ROCPRIM_400000_NS6detail26segmented_warp_sort_helperINS1_20WarpSortHelperConfigILj8ELj4ELj256EEEllLi256ELb0EvE4sortIPKlPlS8_S9_EEvT_T0_T1_T2_jjjjRNS5_12storage_typeE.has_indirect_call, .L_ZN7rocprim17ROCPRIM_400000_NS6detail40segmented_radix_sort_single_block_helperIllLj256ELj16ELb0EE4sortIPKlPlS6_S7_EEbT_T0_T1_T2_jjjjRNS3_12storage_typeE.has_indirect_call)
	.section	.AMDGPU.csdata,"",@progbits
; Kernel info:
; codeLenInByte = 77536
; TotalNumSgprs: 62
; NumVgprs: 248
; ScratchSize: 176
; MemoryBound: 0
; FloatMode: 240
; IeeeMode: 1
; LDSByteSize: 33824 bytes/workgroup (compile time only)
; SGPRBlocks: 0
; VGPRBlocks: 30
; NumSGPRsForWavesPerEU: 62
; NumVGPRsForWavesPerEU: 248
; Occupancy: 5
; WaveLimiterHint : 1
; COMPUTE_PGM_RSRC2:SCRATCH_EN: 1
; COMPUTE_PGM_RSRC2:USER_SGPR: 2
; COMPUTE_PGM_RSRC2:TRAP_HANDLER: 0
; COMPUTE_PGM_RSRC2:TGID_X_EN: 1
; COMPUTE_PGM_RSRC2:TGID_Y_EN: 1
; COMPUTE_PGM_RSRC2:TGID_Z_EN: 0
; COMPUTE_PGM_RSRC2:TIDIG_COMP_CNT: 2
	.section	.text._ZN7rocprim17ROCPRIM_400000_NS6detail17trampoline_kernelINS0_14default_configENS1_36segmented_radix_sort_config_selectorIllEEZNS1_25segmented_radix_sort_implIS3_Lb0EPKlPlS8_S9_N2at6native12_GLOBAL__N_18offset_tEEE10hipError_tPvRmT1_PNSt15iterator_traitsISH_E10value_typeET2_T3_PNSI_ISN_E10value_typeET4_jRbjT5_ST_jjP12ihipStream_tbEUlT_E2_NS1_11comp_targetILNS1_3genE10ELNS1_11target_archE1200ELNS1_3gpuE4ELNS1_3repE0EEENS1_30default_config_static_selectorELNS0_4arch9wavefront6targetE0EEEvSH_,"axG",@progbits,_ZN7rocprim17ROCPRIM_400000_NS6detail17trampoline_kernelINS0_14default_configENS1_36segmented_radix_sort_config_selectorIllEEZNS1_25segmented_radix_sort_implIS3_Lb0EPKlPlS8_S9_N2at6native12_GLOBAL__N_18offset_tEEE10hipError_tPvRmT1_PNSt15iterator_traitsISH_E10value_typeET2_T3_PNSI_ISN_E10value_typeET4_jRbjT5_ST_jjP12ihipStream_tbEUlT_E2_NS1_11comp_targetILNS1_3genE10ELNS1_11target_archE1200ELNS1_3gpuE4ELNS1_3repE0EEENS1_30default_config_static_selectorELNS0_4arch9wavefront6targetE0EEEvSH_,comdat
	.globl	_ZN7rocprim17ROCPRIM_400000_NS6detail17trampoline_kernelINS0_14default_configENS1_36segmented_radix_sort_config_selectorIllEEZNS1_25segmented_radix_sort_implIS3_Lb0EPKlPlS8_S9_N2at6native12_GLOBAL__N_18offset_tEEE10hipError_tPvRmT1_PNSt15iterator_traitsISH_E10value_typeET2_T3_PNSI_ISN_E10value_typeET4_jRbjT5_ST_jjP12ihipStream_tbEUlT_E2_NS1_11comp_targetILNS1_3genE10ELNS1_11target_archE1200ELNS1_3gpuE4ELNS1_3repE0EEENS1_30default_config_static_selectorELNS0_4arch9wavefront6targetE0EEEvSH_ ; -- Begin function _ZN7rocprim17ROCPRIM_400000_NS6detail17trampoline_kernelINS0_14default_configENS1_36segmented_radix_sort_config_selectorIllEEZNS1_25segmented_radix_sort_implIS3_Lb0EPKlPlS8_S9_N2at6native12_GLOBAL__N_18offset_tEEE10hipError_tPvRmT1_PNSt15iterator_traitsISH_E10value_typeET2_T3_PNSI_ISN_E10value_typeET4_jRbjT5_ST_jjP12ihipStream_tbEUlT_E2_NS1_11comp_targetILNS1_3genE10ELNS1_11target_archE1200ELNS1_3gpuE4ELNS1_3repE0EEENS1_30default_config_static_selectorELNS0_4arch9wavefront6targetE0EEEvSH_
	.p2align	8
	.type	_ZN7rocprim17ROCPRIM_400000_NS6detail17trampoline_kernelINS0_14default_configENS1_36segmented_radix_sort_config_selectorIllEEZNS1_25segmented_radix_sort_implIS3_Lb0EPKlPlS8_S9_N2at6native12_GLOBAL__N_18offset_tEEE10hipError_tPvRmT1_PNSt15iterator_traitsISH_E10value_typeET2_T3_PNSI_ISN_E10value_typeET4_jRbjT5_ST_jjP12ihipStream_tbEUlT_E2_NS1_11comp_targetILNS1_3genE10ELNS1_11target_archE1200ELNS1_3gpuE4ELNS1_3repE0EEENS1_30default_config_static_selectorELNS0_4arch9wavefront6targetE0EEEvSH_,@function
_ZN7rocprim17ROCPRIM_400000_NS6detail17trampoline_kernelINS0_14default_configENS1_36segmented_radix_sort_config_selectorIllEEZNS1_25segmented_radix_sort_implIS3_Lb0EPKlPlS8_S9_N2at6native12_GLOBAL__N_18offset_tEEE10hipError_tPvRmT1_PNSt15iterator_traitsISH_E10value_typeET2_T3_PNSI_ISN_E10value_typeET4_jRbjT5_ST_jjP12ihipStream_tbEUlT_E2_NS1_11comp_targetILNS1_3genE10ELNS1_11target_archE1200ELNS1_3gpuE4ELNS1_3repE0EEENS1_30default_config_static_selectorELNS0_4arch9wavefront6targetE0EEEvSH_: ; @_ZN7rocprim17ROCPRIM_400000_NS6detail17trampoline_kernelINS0_14default_configENS1_36segmented_radix_sort_config_selectorIllEEZNS1_25segmented_radix_sort_implIS3_Lb0EPKlPlS8_S9_N2at6native12_GLOBAL__N_18offset_tEEE10hipError_tPvRmT1_PNSt15iterator_traitsISH_E10value_typeET2_T3_PNSI_ISN_E10value_typeET4_jRbjT5_ST_jjP12ihipStream_tbEUlT_E2_NS1_11comp_targetILNS1_3genE10ELNS1_11target_archE1200ELNS1_3gpuE4ELNS1_3repE0EEENS1_30default_config_static_selectorELNS0_4arch9wavefront6targetE0EEEvSH_
; %bb.0:
	.section	.rodata,"a",@progbits
	.p2align	6, 0x0
	.amdhsa_kernel _ZN7rocprim17ROCPRIM_400000_NS6detail17trampoline_kernelINS0_14default_configENS1_36segmented_radix_sort_config_selectorIllEEZNS1_25segmented_radix_sort_implIS3_Lb0EPKlPlS8_S9_N2at6native12_GLOBAL__N_18offset_tEEE10hipError_tPvRmT1_PNSt15iterator_traitsISH_E10value_typeET2_T3_PNSI_ISN_E10value_typeET4_jRbjT5_ST_jjP12ihipStream_tbEUlT_E2_NS1_11comp_targetILNS1_3genE10ELNS1_11target_archE1200ELNS1_3gpuE4ELNS1_3repE0EEENS1_30default_config_static_selectorELNS0_4arch9wavefront6targetE0EEEvSH_
		.amdhsa_group_segment_fixed_size 0
		.amdhsa_private_segment_fixed_size 0
		.amdhsa_kernarg_size 80
		.amdhsa_user_sgpr_count 2
		.amdhsa_user_sgpr_dispatch_ptr 0
		.amdhsa_user_sgpr_queue_ptr 0
		.amdhsa_user_sgpr_kernarg_segment_ptr 1
		.amdhsa_user_sgpr_dispatch_id 0
		.amdhsa_user_sgpr_private_segment_size 0
		.amdhsa_wavefront_size32 1
		.amdhsa_uses_dynamic_stack 0
		.amdhsa_enable_private_segment 0
		.amdhsa_system_sgpr_workgroup_id_x 1
		.amdhsa_system_sgpr_workgroup_id_y 0
		.amdhsa_system_sgpr_workgroup_id_z 0
		.amdhsa_system_sgpr_workgroup_info 0
		.amdhsa_system_vgpr_workitem_id 0
		.amdhsa_next_free_vgpr 1
		.amdhsa_next_free_sgpr 1
		.amdhsa_reserve_vcc 0
		.amdhsa_float_round_mode_32 0
		.amdhsa_float_round_mode_16_64 0
		.amdhsa_float_denorm_mode_32 3
		.amdhsa_float_denorm_mode_16_64 3
		.amdhsa_fp16_overflow 0
		.amdhsa_workgroup_processor_mode 1
		.amdhsa_memory_ordered 1
		.amdhsa_forward_progress 1
		.amdhsa_inst_pref_size 0
		.amdhsa_round_robin_scheduling 0
		.amdhsa_exception_fp_ieee_invalid_op 0
		.amdhsa_exception_fp_denorm_src 0
		.amdhsa_exception_fp_ieee_div_zero 0
		.amdhsa_exception_fp_ieee_overflow 0
		.amdhsa_exception_fp_ieee_underflow 0
		.amdhsa_exception_fp_ieee_inexact 0
		.amdhsa_exception_int_div_zero 0
	.end_amdhsa_kernel
	.section	.text._ZN7rocprim17ROCPRIM_400000_NS6detail17trampoline_kernelINS0_14default_configENS1_36segmented_radix_sort_config_selectorIllEEZNS1_25segmented_radix_sort_implIS3_Lb0EPKlPlS8_S9_N2at6native12_GLOBAL__N_18offset_tEEE10hipError_tPvRmT1_PNSt15iterator_traitsISH_E10value_typeET2_T3_PNSI_ISN_E10value_typeET4_jRbjT5_ST_jjP12ihipStream_tbEUlT_E2_NS1_11comp_targetILNS1_3genE10ELNS1_11target_archE1200ELNS1_3gpuE4ELNS1_3repE0EEENS1_30default_config_static_selectorELNS0_4arch9wavefront6targetE0EEEvSH_,"axG",@progbits,_ZN7rocprim17ROCPRIM_400000_NS6detail17trampoline_kernelINS0_14default_configENS1_36segmented_radix_sort_config_selectorIllEEZNS1_25segmented_radix_sort_implIS3_Lb0EPKlPlS8_S9_N2at6native12_GLOBAL__N_18offset_tEEE10hipError_tPvRmT1_PNSt15iterator_traitsISH_E10value_typeET2_T3_PNSI_ISN_E10value_typeET4_jRbjT5_ST_jjP12ihipStream_tbEUlT_E2_NS1_11comp_targetILNS1_3genE10ELNS1_11target_archE1200ELNS1_3gpuE4ELNS1_3repE0EEENS1_30default_config_static_selectorELNS0_4arch9wavefront6targetE0EEEvSH_,comdat
.Lfunc_end843:
	.size	_ZN7rocprim17ROCPRIM_400000_NS6detail17trampoline_kernelINS0_14default_configENS1_36segmented_radix_sort_config_selectorIllEEZNS1_25segmented_radix_sort_implIS3_Lb0EPKlPlS8_S9_N2at6native12_GLOBAL__N_18offset_tEEE10hipError_tPvRmT1_PNSt15iterator_traitsISH_E10value_typeET2_T3_PNSI_ISN_E10value_typeET4_jRbjT5_ST_jjP12ihipStream_tbEUlT_E2_NS1_11comp_targetILNS1_3genE10ELNS1_11target_archE1200ELNS1_3gpuE4ELNS1_3repE0EEENS1_30default_config_static_selectorELNS0_4arch9wavefront6targetE0EEEvSH_, .Lfunc_end843-_ZN7rocprim17ROCPRIM_400000_NS6detail17trampoline_kernelINS0_14default_configENS1_36segmented_radix_sort_config_selectorIllEEZNS1_25segmented_radix_sort_implIS3_Lb0EPKlPlS8_S9_N2at6native12_GLOBAL__N_18offset_tEEE10hipError_tPvRmT1_PNSt15iterator_traitsISH_E10value_typeET2_T3_PNSI_ISN_E10value_typeET4_jRbjT5_ST_jjP12ihipStream_tbEUlT_E2_NS1_11comp_targetILNS1_3genE10ELNS1_11target_archE1200ELNS1_3gpuE4ELNS1_3repE0EEENS1_30default_config_static_selectorELNS0_4arch9wavefront6targetE0EEEvSH_
                                        ; -- End function
	.set _ZN7rocprim17ROCPRIM_400000_NS6detail17trampoline_kernelINS0_14default_configENS1_36segmented_radix_sort_config_selectorIllEEZNS1_25segmented_radix_sort_implIS3_Lb0EPKlPlS8_S9_N2at6native12_GLOBAL__N_18offset_tEEE10hipError_tPvRmT1_PNSt15iterator_traitsISH_E10value_typeET2_T3_PNSI_ISN_E10value_typeET4_jRbjT5_ST_jjP12ihipStream_tbEUlT_E2_NS1_11comp_targetILNS1_3genE10ELNS1_11target_archE1200ELNS1_3gpuE4ELNS1_3repE0EEENS1_30default_config_static_selectorELNS0_4arch9wavefront6targetE0EEEvSH_.num_vgpr, 0
	.set _ZN7rocprim17ROCPRIM_400000_NS6detail17trampoline_kernelINS0_14default_configENS1_36segmented_radix_sort_config_selectorIllEEZNS1_25segmented_radix_sort_implIS3_Lb0EPKlPlS8_S9_N2at6native12_GLOBAL__N_18offset_tEEE10hipError_tPvRmT1_PNSt15iterator_traitsISH_E10value_typeET2_T3_PNSI_ISN_E10value_typeET4_jRbjT5_ST_jjP12ihipStream_tbEUlT_E2_NS1_11comp_targetILNS1_3genE10ELNS1_11target_archE1200ELNS1_3gpuE4ELNS1_3repE0EEENS1_30default_config_static_selectorELNS0_4arch9wavefront6targetE0EEEvSH_.num_agpr, 0
	.set _ZN7rocprim17ROCPRIM_400000_NS6detail17trampoline_kernelINS0_14default_configENS1_36segmented_radix_sort_config_selectorIllEEZNS1_25segmented_radix_sort_implIS3_Lb0EPKlPlS8_S9_N2at6native12_GLOBAL__N_18offset_tEEE10hipError_tPvRmT1_PNSt15iterator_traitsISH_E10value_typeET2_T3_PNSI_ISN_E10value_typeET4_jRbjT5_ST_jjP12ihipStream_tbEUlT_E2_NS1_11comp_targetILNS1_3genE10ELNS1_11target_archE1200ELNS1_3gpuE4ELNS1_3repE0EEENS1_30default_config_static_selectorELNS0_4arch9wavefront6targetE0EEEvSH_.numbered_sgpr, 0
	.set _ZN7rocprim17ROCPRIM_400000_NS6detail17trampoline_kernelINS0_14default_configENS1_36segmented_radix_sort_config_selectorIllEEZNS1_25segmented_radix_sort_implIS3_Lb0EPKlPlS8_S9_N2at6native12_GLOBAL__N_18offset_tEEE10hipError_tPvRmT1_PNSt15iterator_traitsISH_E10value_typeET2_T3_PNSI_ISN_E10value_typeET4_jRbjT5_ST_jjP12ihipStream_tbEUlT_E2_NS1_11comp_targetILNS1_3genE10ELNS1_11target_archE1200ELNS1_3gpuE4ELNS1_3repE0EEENS1_30default_config_static_selectorELNS0_4arch9wavefront6targetE0EEEvSH_.num_named_barrier, 0
	.set _ZN7rocprim17ROCPRIM_400000_NS6detail17trampoline_kernelINS0_14default_configENS1_36segmented_radix_sort_config_selectorIllEEZNS1_25segmented_radix_sort_implIS3_Lb0EPKlPlS8_S9_N2at6native12_GLOBAL__N_18offset_tEEE10hipError_tPvRmT1_PNSt15iterator_traitsISH_E10value_typeET2_T3_PNSI_ISN_E10value_typeET4_jRbjT5_ST_jjP12ihipStream_tbEUlT_E2_NS1_11comp_targetILNS1_3genE10ELNS1_11target_archE1200ELNS1_3gpuE4ELNS1_3repE0EEENS1_30default_config_static_selectorELNS0_4arch9wavefront6targetE0EEEvSH_.private_seg_size, 0
	.set _ZN7rocprim17ROCPRIM_400000_NS6detail17trampoline_kernelINS0_14default_configENS1_36segmented_radix_sort_config_selectorIllEEZNS1_25segmented_radix_sort_implIS3_Lb0EPKlPlS8_S9_N2at6native12_GLOBAL__N_18offset_tEEE10hipError_tPvRmT1_PNSt15iterator_traitsISH_E10value_typeET2_T3_PNSI_ISN_E10value_typeET4_jRbjT5_ST_jjP12ihipStream_tbEUlT_E2_NS1_11comp_targetILNS1_3genE10ELNS1_11target_archE1200ELNS1_3gpuE4ELNS1_3repE0EEENS1_30default_config_static_selectorELNS0_4arch9wavefront6targetE0EEEvSH_.uses_vcc, 0
	.set _ZN7rocprim17ROCPRIM_400000_NS6detail17trampoline_kernelINS0_14default_configENS1_36segmented_radix_sort_config_selectorIllEEZNS1_25segmented_radix_sort_implIS3_Lb0EPKlPlS8_S9_N2at6native12_GLOBAL__N_18offset_tEEE10hipError_tPvRmT1_PNSt15iterator_traitsISH_E10value_typeET2_T3_PNSI_ISN_E10value_typeET4_jRbjT5_ST_jjP12ihipStream_tbEUlT_E2_NS1_11comp_targetILNS1_3genE10ELNS1_11target_archE1200ELNS1_3gpuE4ELNS1_3repE0EEENS1_30default_config_static_selectorELNS0_4arch9wavefront6targetE0EEEvSH_.uses_flat_scratch, 0
	.set _ZN7rocprim17ROCPRIM_400000_NS6detail17trampoline_kernelINS0_14default_configENS1_36segmented_radix_sort_config_selectorIllEEZNS1_25segmented_radix_sort_implIS3_Lb0EPKlPlS8_S9_N2at6native12_GLOBAL__N_18offset_tEEE10hipError_tPvRmT1_PNSt15iterator_traitsISH_E10value_typeET2_T3_PNSI_ISN_E10value_typeET4_jRbjT5_ST_jjP12ihipStream_tbEUlT_E2_NS1_11comp_targetILNS1_3genE10ELNS1_11target_archE1200ELNS1_3gpuE4ELNS1_3repE0EEENS1_30default_config_static_selectorELNS0_4arch9wavefront6targetE0EEEvSH_.has_dyn_sized_stack, 0
	.set _ZN7rocprim17ROCPRIM_400000_NS6detail17trampoline_kernelINS0_14default_configENS1_36segmented_radix_sort_config_selectorIllEEZNS1_25segmented_radix_sort_implIS3_Lb0EPKlPlS8_S9_N2at6native12_GLOBAL__N_18offset_tEEE10hipError_tPvRmT1_PNSt15iterator_traitsISH_E10value_typeET2_T3_PNSI_ISN_E10value_typeET4_jRbjT5_ST_jjP12ihipStream_tbEUlT_E2_NS1_11comp_targetILNS1_3genE10ELNS1_11target_archE1200ELNS1_3gpuE4ELNS1_3repE0EEENS1_30default_config_static_selectorELNS0_4arch9wavefront6targetE0EEEvSH_.has_recursion, 0
	.set _ZN7rocprim17ROCPRIM_400000_NS6detail17trampoline_kernelINS0_14default_configENS1_36segmented_radix_sort_config_selectorIllEEZNS1_25segmented_radix_sort_implIS3_Lb0EPKlPlS8_S9_N2at6native12_GLOBAL__N_18offset_tEEE10hipError_tPvRmT1_PNSt15iterator_traitsISH_E10value_typeET2_T3_PNSI_ISN_E10value_typeET4_jRbjT5_ST_jjP12ihipStream_tbEUlT_E2_NS1_11comp_targetILNS1_3genE10ELNS1_11target_archE1200ELNS1_3gpuE4ELNS1_3repE0EEENS1_30default_config_static_selectorELNS0_4arch9wavefront6targetE0EEEvSH_.has_indirect_call, 0
	.section	.AMDGPU.csdata,"",@progbits
; Kernel info:
; codeLenInByte = 0
; TotalNumSgprs: 0
; NumVgprs: 0
; ScratchSize: 0
; MemoryBound: 0
; FloatMode: 240
; IeeeMode: 1
; LDSByteSize: 0 bytes/workgroup (compile time only)
; SGPRBlocks: 0
; VGPRBlocks: 0
; NumSGPRsForWavesPerEU: 1
; NumVGPRsForWavesPerEU: 1
; Occupancy: 16
; WaveLimiterHint : 0
; COMPUTE_PGM_RSRC2:SCRATCH_EN: 0
; COMPUTE_PGM_RSRC2:USER_SGPR: 2
; COMPUTE_PGM_RSRC2:TRAP_HANDLER: 0
; COMPUTE_PGM_RSRC2:TGID_X_EN: 1
; COMPUTE_PGM_RSRC2:TGID_Y_EN: 0
; COMPUTE_PGM_RSRC2:TGID_Z_EN: 0
; COMPUTE_PGM_RSRC2:TIDIG_COMP_CNT: 0
	.section	.text._ZN7rocprim17ROCPRIM_400000_NS6detail17trampoline_kernelINS0_14default_configENS1_36segmented_radix_sort_config_selectorIllEEZNS1_25segmented_radix_sort_implIS3_Lb0EPKlPlS8_S9_N2at6native12_GLOBAL__N_18offset_tEEE10hipError_tPvRmT1_PNSt15iterator_traitsISH_E10value_typeET2_T3_PNSI_ISN_E10value_typeET4_jRbjT5_ST_jjP12ihipStream_tbEUlT_E2_NS1_11comp_targetILNS1_3genE9ELNS1_11target_archE1100ELNS1_3gpuE3ELNS1_3repE0EEENS1_30default_config_static_selectorELNS0_4arch9wavefront6targetE0EEEvSH_,"axG",@progbits,_ZN7rocprim17ROCPRIM_400000_NS6detail17trampoline_kernelINS0_14default_configENS1_36segmented_radix_sort_config_selectorIllEEZNS1_25segmented_radix_sort_implIS3_Lb0EPKlPlS8_S9_N2at6native12_GLOBAL__N_18offset_tEEE10hipError_tPvRmT1_PNSt15iterator_traitsISH_E10value_typeET2_T3_PNSI_ISN_E10value_typeET4_jRbjT5_ST_jjP12ihipStream_tbEUlT_E2_NS1_11comp_targetILNS1_3genE9ELNS1_11target_archE1100ELNS1_3gpuE3ELNS1_3repE0EEENS1_30default_config_static_selectorELNS0_4arch9wavefront6targetE0EEEvSH_,comdat
	.globl	_ZN7rocprim17ROCPRIM_400000_NS6detail17trampoline_kernelINS0_14default_configENS1_36segmented_radix_sort_config_selectorIllEEZNS1_25segmented_radix_sort_implIS3_Lb0EPKlPlS8_S9_N2at6native12_GLOBAL__N_18offset_tEEE10hipError_tPvRmT1_PNSt15iterator_traitsISH_E10value_typeET2_T3_PNSI_ISN_E10value_typeET4_jRbjT5_ST_jjP12ihipStream_tbEUlT_E2_NS1_11comp_targetILNS1_3genE9ELNS1_11target_archE1100ELNS1_3gpuE3ELNS1_3repE0EEENS1_30default_config_static_selectorELNS0_4arch9wavefront6targetE0EEEvSH_ ; -- Begin function _ZN7rocprim17ROCPRIM_400000_NS6detail17trampoline_kernelINS0_14default_configENS1_36segmented_radix_sort_config_selectorIllEEZNS1_25segmented_radix_sort_implIS3_Lb0EPKlPlS8_S9_N2at6native12_GLOBAL__N_18offset_tEEE10hipError_tPvRmT1_PNSt15iterator_traitsISH_E10value_typeET2_T3_PNSI_ISN_E10value_typeET4_jRbjT5_ST_jjP12ihipStream_tbEUlT_E2_NS1_11comp_targetILNS1_3genE9ELNS1_11target_archE1100ELNS1_3gpuE3ELNS1_3repE0EEENS1_30default_config_static_selectorELNS0_4arch9wavefront6targetE0EEEvSH_
	.p2align	8
	.type	_ZN7rocprim17ROCPRIM_400000_NS6detail17trampoline_kernelINS0_14default_configENS1_36segmented_radix_sort_config_selectorIllEEZNS1_25segmented_radix_sort_implIS3_Lb0EPKlPlS8_S9_N2at6native12_GLOBAL__N_18offset_tEEE10hipError_tPvRmT1_PNSt15iterator_traitsISH_E10value_typeET2_T3_PNSI_ISN_E10value_typeET4_jRbjT5_ST_jjP12ihipStream_tbEUlT_E2_NS1_11comp_targetILNS1_3genE9ELNS1_11target_archE1100ELNS1_3gpuE3ELNS1_3repE0EEENS1_30default_config_static_selectorELNS0_4arch9wavefront6targetE0EEEvSH_,@function
_ZN7rocprim17ROCPRIM_400000_NS6detail17trampoline_kernelINS0_14default_configENS1_36segmented_radix_sort_config_selectorIllEEZNS1_25segmented_radix_sort_implIS3_Lb0EPKlPlS8_S9_N2at6native12_GLOBAL__N_18offset_tEEE10hipError_tPvRmT1_PNSt15iterator_traitsISH_E10value_typeET2_T3_PNSI_ISN_E10value_typeET4_jRbjT5_ST_jjP12ihipStream_tbEUlT_E2_NS1_11comp_targetILNS1_3genE9ELNS1_11target_archE1100ELNS1_3gpuE3ELNS1_3repE0EEENS1_30default_config_static_selectorELNS0_4arch9wavefront6targetE0EEEvSH_: ; @_ZN7rocprim17ROCPRIM_400000_NS6detail17trampoline_kernelINS0_14default_configENS1_36segmented_radix_sort_config_selectorIllEEZNS1_25segmented_radix_sort_implIS3_Lb0EPKlPlS8_S9_N2at6native12_GLOBAL__N_18offset_tEEE10hipError_tPvRmT1_PNSt15iterator_traitsISH_E10value_typeET2_T3_PNSI_ISN_E10value_typeET4_jRbjT5_ST_jjP12ihipStream_tbEUlT_E2_NS1_11comp_targetILNS1_3genE9ELNS1_11target_archE1100ELNS1_3gpuE3ELNS1_3repE0EEENS1_30default_config_static_selectorELNS0_4arch9wavefront6targetE0EEEvSH_
; %bb.0:
	.section	.rodata,"a",@progbits
	.p2align	6, 0x0
	.amdhsa_kernel _ZN7rocprim17ROCPRIM_400000_NS6detail17trampoline_kernelINS0_14default_configENS1_36segmented_radix_sort_config_selectorIllEEZNS1_25segmented_radix_sort_implIS3_Lb0EPKlPlS8_S9_N2at6native12_GLOBAL__N_18offset_tEEE10hipError_tPvRmT1_PNSt15iterator_traitsISH_E10value_typeET2_T3_PNSI_ISN_E10value_typeET4_jRbjT5_ST_jjP12ihipStream_tbEUlT_E2_NS1_11comp_targetILNS1_3genE9ELNS1_11target_archE1100ELNS1_3gpuE3ELNS1_3repE0EEENS1_30default_config_static_selectorELNS0_4arch9wavefront6targetE0EEEvSH_
		.amdhsa_group_segment_fixed_size 0
		.amdhsa_private_segment_fixed_size 0
		.amdhsa_kernarg_size 80
		.amdhsa_user_sgpr_count 2
		.amdhsa_user_sgpr_dispatch_ptr 0
		.amdhsa_user_sgpr_queue_ptr 0
		.amdhsa_user_sgpr_kernarg_segment_ptr 1
		.amdhsa_user_sgpr_dispatch_id 0
		.amdhsa_user_sgpr_private_segment_size 0
		.amdhsa_wavefront_size32 1
		.amdhsa_uses_dynamic_stack 0
		.amdhsa_enable_private_segment 0
		.amdhsa_system_sgpr_workgroup_id_x 1
		.amdhsa_system_sgpr_workgroup_id_y 0
		.amdhsa_system_sgpr_workgroup_id_z 0
		.amdhsa_system_sgpr_workgroup_info 0
		.amdhsa_system_vgpr_workitem_id 0
		.amdhsa_next_free_vgpr 1
		.amdhsa_next_free_sgpr 1
		.amdhsa_reserve_vcc 0
		.amdhsa_float_round_mode_32 0
		.amdhsa_float_round_mode_16_64 0
		.amdhsa_float_denorm_mode_32 3
		.amdhsa_float_denorm_mode_16_64 3
		.amdhsa_fp16_overflow 0
		.amdhsa_workgroup_processor_mode 1
		.amdhsa_memory_ordered 1
		.amdhsa_forward_progress 1
		.amdhsa_inst_pref_size 0
		.amdhsa_round_robin_scheduling 0
		.amdhsa_exception_fp_ieee_invalid_op 0
		.amdhsa_exception_fp_denorm_src 0
		.amdhsa_exception_fp_ieee_div_zero 0
		.amdhsa_exception_fp_ieee_overflow 0
		.amdhsa_exception_fp_ieee_underflow 0
		.amdhsa_exception_fp_ieee_inexact 0
		.amdhsa_exception_int_div_zero 0
	.end_amdhsa_kernel
	.section	.text._ZN7rocprim17ROCPRIM_400000_NS6detail17trampoline_kernelINS0_14default_configENS1_36segmented_radix_sort_config_selectorIllEEZNS1_25segmented_radix_sort_implIS3_Lb0EPKlPlS8_S9_N2at6native12_GLOBAL__N_18offset_tEEE10hipError_tPvRmT1_PNSt15iterator_traitsISH_E10value_typeET2_T3_PNSI_ISN_E10value_typeET4_jRbjT5_ST_jjP12ihipStream_tbEUlT_E2_NS1_11comp_targetILNS1_3genE9ELNS1_11target_archE1100ELNS1_3gpuE3ELNS1_3repE0EEENS1_30default_config_static_selectorELNS0_4arch9wavefront6targetE0EEEvSH_,"axG",@progbits,_ZN7rocprim17ROCPRIM_400000_NS6detail17trampoline_kernelINS0_14default_configENS1_36segmented_radix_sort_config_selectorIllEEZNS1_25segmented_radix_sort_implIS3_Lb0EPKlPlS8_S9_N2at6native12_GLOBAL__N_18offset_tEEE10hipError_tPvRmT1_PNSt15iterator_traitsISH_E10value_typeET2_T3_PNSI_ISN_E10value_typeET4_jRbjT5_ST_jjP12ihipStream_tbEUlT_E2_NS1_11comp_targetILNS1_3genE9ELNS1_11target_archE1100ELNS1_3gpuE3ELNS1_3repE0EEENS1_30default_config_static_selectorELNS0_4arch9wavefront6targetE0EEEvSH_,comdat
.Lfunc_end844:
	.size	_ZN7rocprim17ROCPRIM_400000_NS6detail17trampoline_kernelINS0_14default_configENS1_36segmented_radix_sort_config_selectorIllEEZNS1_25segmented_radix_sort_implIS3_Lb0EPKlPlS8_S9_N2at6native12_GLOBAL__N_18offset_tEEE10hipError_tPvRmT1_PNSt15iterator_traitsISH_E10value_typeET2_T3_PNSI_ISN_E10value_typeET4_jRbjT5_ST_jjP12ihipStream_tbEUlT_E2_NS1_11comp_targetILNS1_3genE9ELNS1_11target_archE1100ELNS1_3gpuE3ELNS1_3repE0EEENS1_30default_config_static_selectorELNS0_4arch9wavefront6targetE0EEEvSH_, .Lfunc_end844-_ZN7rocprim17ROCPRIM_400000_NS6detail17trampoline_kernelINS0_14default_configENS1_36segmented_radix_sort_config_selectorIllEEZNS1_25segmented_radix_sort_implIS3_Lb0EPKlPlS8_S9_N2at6native12_GLOBAL__N_18offset_tEEE10hipError_tPvRmT1_PNSt15iterator_traitsISH_E10value_typeET2_T3_PNSI_ISN_E10value_typeET4_jRbjT5_ST_jjP12ihipStream_tbEUlT_E2_NS1_11comp_targetILNS1_3genE9ELNS1_11target_archE1100ELNS1_3gpuE3ELNS1_3repE0EEENS1_30default_config_static_selectorELNS0_4arch9wavefront6targetE0EEEvSH_
                                        ; -- End function
	.set _ZN7rocprim17ROCPRIM_400000_NS6detail17trampoline_kernelINS0_14default_configENS1_36segmented_radix_sort_config_selectorIllEEZNS1_25segmented_radix_sort_implIS3_Lb0EPKlPlS8_S9_N2at6native12_GLOBAL__N_18offset_tEEE10hipError_tPvRmT1_PNSt15iterator_traitsISH_E10value_typeET2_T3_PNSI_ISN_E10value_typeET4_jRbjT5_ST_jjP12ihipStream_tbEUlT_E2_NS1_11comp_targetILNS1_3genE9ELNS1_11target_archE1100ELNS1_3gpuE3ELNS1_3repE0EEENS1_30default_config_static_selectorELNS0_4arch9wavefront6targetE0EEEvSH_.num_vgpr, 0
	.set _ZN7rocprim17ROCPRIM_400000_NS6detail17trampoline_kernelINS0_14default_configENS1_36segmented_radix_sort_config_selectorIllEEZNS1_25segmented_radix_sort_implIS3_Lb0EPKlPlS8_S9_N2at6native12_GLOBAL__N_18offset_tEEE10hipError_tPvRmT1_PNSt15iterator_traitsISH_E10value_typeET2_T3_PNSI_ISN_E10value_typeET4_jRbjT5_ST_jjP12ihipStream_tbEUlT_E2_NS1_11comp_targetILNS1_3genE9ELNS1_11target_archE1100ELNS1_3gpuE3ELNS1_3repE0EEENS1_30default_config_static_selectorELNS0_4arch9wavefront6targetE0EEEvSH_.num_agpr, 0
	.set _ZN7rocprim17ROCPRIM_400000_NS6detail17trampoline_kernelINS0_14default_configENS1_36segmented_radix_sort_config_selectorIllEEZNS1_25segmented_radix_sort_implIS3_Lb0EPKlPlS8_S9_N2at6native12_GLOBAL__N_18offset_tEEE10hipError_tPvRmT1_PNSt15iterator_traitsISH_E10value_typeET2_T3_PNSI_ISN_E10value_typeET4_jRbjT5_ST_jjP12ihipStream_tbEUlT_E2_NS1_11comp_targetILNS1_3genE9ELNS1_11target_archE1100ELNS1_3gpuE3ELNS1_3repE0EEENS1_30default_config_static_selectorELNS0_4arch9wavefront6targetE0EEEvSH_.numbered_sgpr, 0
	.set _ZN7rocprim17ROCPRIM_400000_NS6detail17trampoline_kernelINS0_14default_configENS1_36segmented_radix_sort_config_selectorIllEEZNS1_25segmented_radix_sort_implIS3_Lb0EPKlPlS8_S9_N2at6native12_GLOBAL__N_18offset_tEEE10hipError_tPvRmT1_PNSt15iterator_traitsISH_E10value_typeET2_T3_PNSI_ISN_E10value_typeET4_jRbjT5_ST_jjP12ihipStream_tbEUlT_E2_NS1_11comp_targetILNS1_3genE9ELNS1_11target_archE1100ELNS1_3gpuE3ELNS1_3repE0EEENS1_30default_config_static_selectorELNS0_4arch9wavefront6targetE0EEEvSH_.num_named_barrier, 0
	.set _ZN7rocprim17ROCPRIM_400000_NS6detail17trampoline_kernelINS0_14default_configENS1_36segmented_radix_sort_config_selectorIllEEZNS1_25segmented_radix_sort_implIS3_Lb0EPKlPlS8_S9_N2at6native12_GLOBAL__N_18offset_tEEE10hipError_tPvRmT1_PNSt15iterator_traitsISH_E10value_typeET2_T3_PNSI_ISN_E10value_typeET4_jRbjT5_ST_jjP12ihipStream_tbEUlT_E2_NS1_11comp_targetILNS1_3genE9ELNS1_11target_archE1100ELNS1_3gpuE3ELNS1_3repE0EEENS1_30default_config_static_selectorELNS0_4arch9wavefront6targetE0EEEvSH_.private_seg_size, 0
	.set _ZN7rocprim17ROCPRIM_400000_NS6detail17trampoline_kernelINS0_14default_configENS1_36segmented_radix_sort_config_selectorIllEEZNS1_25segmented_radix_sort_implIS3_Lb0EPKlPlS8_S9_N2at6native12_GLOBAL__N_18offset_tEEE10hipError_tPvRmT1_PNSt15iterator_traitsISH_E10value_typeET2_T3_PNSI_ISN_E10value_typeET4_jRbjT5_ST_jjP12ihipStream_tbEUlT_E2_NS1_11comp_targetILNS1_3genE9ELNS1_11target_archE1100ELNS1_3gpuE3ELNS1_3repE0EEENS1_30default_config_static_selectorELNS0_4arch9wavefront6targetE0EEEvSH_.uses_vcc, 0
	.set _ZN7rocprim17ROCPRIM_400000_NS6detail17trampoline_kernelINS0_14default_configENS1_36segmented_radix_sort_config_selectorIllEEZNS1_25segmented_radix_sort_implIS3_Lb0EPKlPlS8_S9_N2at6native12_GLOBAL__N_18offset_tEEE10hipError_tPvRmT1_PNSt15iterator_traitsISH_E10value_typeET2_T3_PNSI_ISN_E10value_typeET4_jRbjT5_ST_jjP12ihipStream_tbEUlT_E2_NS1_11comp_targetILNS1_3genE9ELNS1_11target_archE1100ELNS1_3gpuE3ELNS1_3repE0EEENS1_30default_config_static_selectorELNS0_4arch9wavefront6targetE0EEEvSH_.uses_flat_scratch, 0
	.set _ZN7rocprim17ROCPRIM_400000_NS6detail17trampoline_kernelINS0_14default_configENS1_36segmented_radix_sort_config_selectorIllEEZNS1_25segmented_radix_sort_implIS3_Lb0EPKlPlS8_S9_N2at6native12_GLOBAL__N_18offset_tEEE10hipError_tPvRmT1_PNSt15iterator_traitsISH_E10value_typeET2_T3_PNSI_ISN_E10value_typeET4_jRbjT5_ST_jjP12ihipStream_tbEUlT_E2_NS1_11comp_targetILNS1_3genE9ELNS1_11target_archE1100ELNS1_3gpuE3ELNS1_3repE0EEENS1_30default_config_static_selectorELNS0_4arch9wavefront6targetE0EEEvSH_.has_dyn_sized_stack, 0
	.set _ZN7rocprim17ROCPRIM_400000_NS6detail17trampoline_kernelINS0_14default_configENS1_36segmented_radix_sort_config_selectorIllEEZNS1_25segmented_radix_sort_implIS3_Lb0EPKlPlS8_S9_N2at6native12_GLOBAL__N_18offset_tEEE10hipError_tPvRmT1_PNSt15iterator_traitsISH_E10value_typeET2_T3_PNSI_ISN_E10value_typeET4_jRbjT5_ST_jjP12ihipStream_tbEUlT_E2_NS1_11comp_targetILNS1_3genE9ELNS1_11target_archE1100ELNS1_3gpuE3ELNS1_3repE0EEENS1_30default_config_static_selectorELNS0_4arch9wavefront6targetE0EEEvSH_.has_recursion, 0
	.set _ZN7rocprim17ROCPRIM_400000_NS6detail17trampoline_kernelINS0_14default_configENS1_36segmented_radix_sort_config_selectorIllEEZNS1_25segmented_radix_sort_implIS3_Lb0EPKlPlS8_S9_N2at6native12_GLOBAL__N_18offset_tEEE10hipError_tPvRmT1_PNSt15iterator_traitsISH_E10value_typeET2_T3_PNSI_ISN_E10value_typeET4_jRbjT5_ST_jjP12ihipStream_tbEUlT_E2_NS1_11comp_targetILNS1_3genE9ELNS1_11target_archE1100ELNS1_3gpuE3ELNS1_3repE0EEENS1_30default_config_static_selectorELNS0_4arch9wavefront6targetE0EEEvSH_.has_indirect_call, 0
	.section	.AMDGPU.csdata,"",@progbits
; Kernel info:
; codeLenInByte = 0
; TotalNumSgprs: 0
; NumVgprs: 0
; ScratchSize: 0
; MemoryBound: 0
; FloatMode: 240
; IeeeMode: 1
; LDSByteSize: 0 bytes/workgroup (compile time only)
; SGPRBlocks: 0
; VGPRBlocks: 0
; NumSGPRsForWavesPerEU: 1
; NumVGPRsForWavesPerEU: 1
; Occupancy: 16
; WaveLimiterHint : 0
; COMPUTE_PGM_RSRC2:SCRATCH_EN: 0
; COMPUTE_PGM_RSRC2:USER_SGPR: 2
; COMPUTE_PGM_RSRC2:TRAP_HANDLER: 0
; COMPUTE_PGM_RSRC2:TGID_X_EN: 1
; COMPUTE_PGM_RSRC2:TGID_Y_EN: 0
; COMPUTE_PGM_RSRC2:TGID_Z_EN: 0
; COMPUTE_PGM_RSRC2:TIDIG_COMP_CNT: 0
	.section	.text._ZN7rocprim17ROCPRIM_400000_NS6detail17trampoline_kernelINS0_14default_configENS1_36segmented_radix_sort_config_selectorIllEEZNS1_25segmented_radix_sort_implIS3_Lb0EPKlPlS8_S9_N2at6native12_GLOBAL__N_18offset_tEEE10hipError_tPvRmT1_PNSt15iterator_traitsISH_E10value_typeET2_T3_PNSI_ISN_E10value_typeET4_jRbjT5_ST_jjP12ihipStream_tbEUlT_E2_NS1_11comp_targetILNS1_3genE8ELNS1_11target_archE1030ELNS1_3gpuE2ELNS1_3repE0EEENS1_30default_config_static_selectorELNS0_4arch9wavefront6targetE0EEEvSH_,"axG",@progbits,_ZN7rocprim17ROCPRIM_400000_NS6detail17trampoline_kernelINS0_14default_configENS1_36segmented_radix_sort_config_selectorIllEEZNS1_25segmented_radix_sort_implIS3_Lb0EPKlPlS8_S9_N2at6native12_GLOBAL__N_18offset_tEEE10hipError_tPvRmT1_PNSt15iterator_traitsISH_E10value_typeET2_T3_PNSI_ISN_E10value_typeET4_jRbjT5_ST_jjP12ihipStream_tbEUlT_E2_NS1_11comp_targetILNS1_3genE8ELNS1_11target_archE1030ELNS1_3gpuE2ELNS1_3repE0EEENS1_30default_config_static_selectorELNS0_4arch9wavefront6targetE0EEEvSH_,comdat
	.globl	_ZN7rocprim17ROCPRIM_400000_NS6detail17trampoline_kernelINS0_14default_configENS1_36segmented_radix_sort_config_selectorIllEEZNS1_25segmented_radix_sort_implIS3_Lb0EPKlPlS8_S9_N2at6native12_GLOBAL__N_18offset_tEEE10hipError_tPvRmT1_PNSt15iterator_traitsISH_E10value_typeET2_T3_PNSI_ISN_E10value_typeET4_jRbjT5_ST_jjP12ihipStream_tbEUlT_E2_NS1_11comp_targetILNS1_3genE8ELNS1_11target_archE1030ELNS1_3gpuE2ELNS1_3repE0EEENS1_30default_config_static_selectorELNS0_4arch9wavefront6targetE0EEEvSH_ ; -- Begin function _ZN7rocprim17ROCPRIM_400000_NS6detail17trampoline_kernelINS0_14default_configENS1_36segmented_radix_sort_config_selectorIllEEZNS1_25segmented_radix_sort_implIS3_Lb0EPKlPlS8_S9_N2at6native12_GLOBAL__N_18offset_tEEE10hipError_tPvRmT1_PNSt15iterator_traitsISH_E10value_typeET2_T3_PNSI_ISN_E10value_typeET4_jRbjT5_ST_jjP12ihipStream_tbEUlT_E2_NS1_11comp_targetILNS1_3genE8ELNS1_11target_archE1030ELNS1_3gpuE2ELNS1_3repE0EEENS1_30default_config_static_selectorELNS0_4arch9wavefront6targetE0EEEvSH_
	.p2align	8
	.type	_ZN7rocprim17ROCPRIM_400000_NS6detail17trampoline_kernelINS0_14default_configENS1_36segmented_radix_sort_config_selectorIllEEZNS1_25segmented_radix_sort_implIS3_Lb0EPKlPlS8_S9_N2at6native12_GLOBAL__N_18offset_tEEE10hipError_tPvRmT1_PNSt15iterator_traitsISH_E10value_typeET2_T3_PNSI_ISN_E10value_typeET4_jRbjT5_ST_jjP12ihipStream_tbEUlT_E2_NS1_11comp_targetILNS1_3genE8ELNS1_11target_archE1030ELNS1_3gpuE2ELNS1_3repE0EEENS1_30default_config_static_selectorELNS0_4arch9wavefront6targetE0EEEvSH_,@function
_ZN7rocprim17ROCPRIM_400000_NS6detail17trampoline_kernelINS0_14default_configENS1_36segmented_radix_sort_config_selectorIllEEZNS1_25segmented_radix_sort_implIS3_Lb0EPKlPlS8_S9_N2at6native12_GLOBAL__N_18offset_tEEE10hipError_tPvRmT1_PNSt15iterator_traitsISH_E10value_typeET2_T3_PNSI_ISN_E10value_typeET4_jRbjT5_ST_jjP12ihipStream_tbEUlT_E2_NS1_11comp_targetILNS1_3genE8ELNS1_11target_archE1030ELNS1_3gpuE2ELNS1_3repE0EEENS1_30default_config_static_selectorELNS0_4arch9wavefront6targetE0EEEvSH_: ; @_ZN7rocprim17ROCPRIM_400000_NS6detail17trampoline_kernelINS0_14default_configENS1_36segmented_radix_sort_config_selectorIllEEZNS1_25segmented_radix_sort_implIS3_Lb0EPKlPlS8_S9_N2at6native12_GLOBAL__N_18offset_tEEE10hipError_tPvRmT1_PNSt15iterator_traitsISH_E10value_typeET2_T3_PNSI_ISN_E10value_typeET4_jRbjT5_ST_jjP12ihipStream_tbEUlT_E2_NS1_11comp_targetILNS1_3genE8ELNS1_11target_archE1030ELNS1_3gpuE2ELNS1_3repE0EEENS1_30default_config_static_selectorELNS0_4arch9wavefront6targetE0EEEvSH_
; %bb.0:
	.section	.rodata,"a",@progbits
	.p2align	6, 0x0
	.amdhsa_kernel _ZN7rocprim17ROCPRIM_400000_NS6detail17trampoline_kernelINS0_14default_configENS1_36segmented_radix_sort_config_selectorIllEEZNS1_25segmented_radix_sort_implIS3_Lb0EPKlPlS8_S9_N2at6native12_GLOBAL__N_18offset_tEEE10hipError_tPvRmT1_PNSt15iterator_traitsISH_E10value_typeET2_T3_PNSI_ISN_E10value_typeET4_jRbjT5_ST_jjP12ihipStream_tbEUlT_E2_NS1_11comp_targetILNS1_3genE8ELNS1_11target_archE1030ELNS1_3gpuE2ELNS1_3repE0EEENS1_30default_config_static_selectorELNS0_4arch9wavefront6targetE0EEEvSH_
		.amdhsa_group_segment_fixed_size 0
		.amdhsa_private_segment_fixed_size 0
		.amdhsa_kernarg_size 80
		.amdhsa_user_sgpr_count 2
		.amdhsa_user_sgpr_dispatch_ptr 0
		.amdhsa_user_sgpr_queue_ptr 0
		.amdhsa_user_sgpr_kernarg_segment_ptr 1
		.amdhsa_user_sgpr_dispatch_id 0
		.amdhsa_user_sgpr_private_segment_size 0
		.amdhsa_wavefront_size32 1
		.amdhsa_uses_dynamic_stack 0
		.amdhsa_enable_private_segment 0
		.amdhsa_system_sgpr_workgroup_id_x 1
		.amdhsa_system_sgpr_workgroup_id_y 0
		.amdhsa_system_sgpr_workgroup_id_z 0
		.amdhsa_system_sgpr_workgroup_info 0
		.amdhsa_system_vgpr_workitem_id 0
		.amdhsa_next_free_vgpr 1
		.amdhsa_next_free_sgpr 1
		.amdhsa_reserve_vcc 0
		.amdhsa_float_round_mode_32 0
		.amdhsa_float_round_mode_16_64 0
		.amdhsa_float_denorm_mode_32 3
		.amdhsa_float_denorm_mode_16_64 3
		.amdhsa_fp16_overflow 0
		.amdhsa_workgroup_processor_mode 1
		.amdhsa_memory_ordered 1
		.amdhsa_forward_progress 1
		.amdhsa_inst_pref_size 0
		.amdhsa_round_robin_scheduling 0
		.amdhsa_exception_fp_ieee_invalid_op 0
		.amdhsa_exception_fp_denorm_src 0
		.amdhsa_exception_fp_ieee_div_zero 0
		.amdhsa_exception_fp_ieee_overflow 0
		.amdhsa_exception_fp_ieee_underflow 0
		.amdhsa_exception_fp_ieee_inexact 0
		.amdhsa_exception_int_div_zero 0
	.end_amdhsa_kernel
	.section	.text._ZN7rocprim17ROCPRIM_400000_NS6detail17trampoline_kernelINS0_14default_configENS1_36segmented_radix_sort_config_selectorIllEEZNS1_25segmented_radix_sort_implIS3_Lb0EPKlPlS8_S9_N2at6native12_GLOBAL__N_18offset_tEEE10hipError_tPvRmT1_PNSt15iterator_traitsISH_E10value_typeET2_T3_PNSI_ISN_E10value_typeET4_jRbjT5_ST_jjP12ihipStream_tbEUlT_E2_NS1_11comp_targetILNS1_3genE8ELNS1_11target_archE1030ELNS1_3gpuE2ELNS1_3repE0EEENS1_30default_config_static_selectorELNS0_4arch9wavefront6targetE0EEEvSH_,"axG",@progbits,_ZN7rocprim17ROCPRIM_400000_NS6detail17trampoline_kernelINS0_14default_configENS1_36segmented_radix_sort_config_selectorIllEEZNS1_25segmented_radix_sort_implIS3_Lb0EPKlPlS8_S9_N2at6native12_GLOBAL__N_18offset_tEEE10hipError_tPvRmT1_PNSt15iterator_traitsISH_E10value_typeET2_T3_PNSI_ISN_E10value_typeET4_jRbjT5_ST_jjP12ihipStream_tbEUlT_E2_NS1_11comp_targetILNS1_3genE8ELNS1_11target_archE1030ELNS1_3gpuE2ELNS1_3repE0EEENS1_30default_config_static_selectorELNS0_4arch9wavefront6targetE0EEEvSH_,comdat
.Lfunc_end845:
	.size	_ZN7rocprim17ROCPRIM_400000_NS6detail17trampoline_kernelINS0_14default_configENS1_36segmented_radix_sort_config_selectorIllEEZNS1_25segmented_radix_sort_implIS3_Lb0EPKlPlS8_S9_N2at6native12_GLOBAL__N_18offset_tEEE10hipError_tPvRmT1_PNSt15iterator_traitsISH_E10value_typeET2_T3_PNSI_ISN_E10value_typeET4_jRbjT5_ST_jjP12ihipStream_tbEUlT_E2_NS1_11comp_targetILNS1_3genE8ELNS1_11target_archE1030ELNS1_3gpuE2ELNS1_3repE0EEENS1_30default_config_static_selectorELNS0_4arch9wavefront6targetE0EEEvSH_, .Lfunc_end845-_ZN7rocprim17ROCPRIM_400000_NS6detail17trampoline_kernelINS0_14default_configENS1_36segmented_radix_sort_config_selectorIllEEZNS1_25segmented_radix_sort_implIS3_Lb0EPKlPlS8_S9_N2at6native12_GLOBAL__N_18offset_tEEE10hipError_tPvRmT1_PNSt15iterator_traitsISH_E10value_typeET2_T3_PNSI_ISN_E10value_typeET4_jRbjT5_ST_jjP12ihipStream_tbEUlT_E2_NS1_11comp_targetILNS1_3genE8ELNS1_11target_archE1030ELNS1_3gpuE2ELNS1_3repE0EEENS1_30default_config_static_selectorELNS0_4arch9wavefront6targetE0EEEvSH_
                                        ; -- End function
	.set _ZN7rocprim17ROCPRIM_400000_NS6detail17trampoline_kernelINS0_14default_configENS1_36segmented_radix_sort_config_selectorIllEEZNS1_25segmented_radix_sort_implIS3_Lb0EPKlPlS8_S9_N2at6native12_GLOBAL__N_18offset_tEEE10hipError_tPvRmT1_PNSt15iterator_traitsISH_E10value_typeET2_T3_PNSI_ISN_E10value_typeET4_jRbjT5_ST_jjP12ihipStream_tbEUlT_E2_NS1_11comp_targetILNS1_3genE8ELNS1_11target_archE1030ELNS1_3gpuE2ELNS1_3repE0EEENS1_30default_config_static_selectorELNS0_4arch9wavefront6targetE0EEEvSH_.num_vgpr, 0
	.set _ZN7rocprim17ROCPRIM_400000_NS6detail17trampoline_kernelINS0_14default_configENS1_36segmented_radix_sort_config_selectorIllEEZNS1_25segmented_radix_sort_implIS3_Lb0EPKlPlS8_S9_N2at6native12_GLOBAL__N_18offset_tEEE10hipError_tPvRmT1_PNSt15iterator_traitsISH_E10value_typeET2_T3_PNSI_ISN_E10value_typeET4_jRbjT5_ST_jjP12ihipStream_tbEUlT_E2_NS1_11comp_targetILNS1_3genE8ELNS1_11target_archE1030ELNS1_3gpuE2ELNS1_3repE0EEENS1_30default_config_static_selectorELNS0_4arch9wavefront6targetE0EEEvSH_.num_agpr, 0
	.set _ZN7rocprim17ROCPRIM_400000_NS6detail17trampoline_kernelINS0_14default_configENS1_36segmented_radix_sort_config_selectorIllEEZNS1_25segmented_radix_sort_implIS3_Lb0EPKlPlS8_S9_N2at6native12_GLOBAL__N_18offset_tEEE10hipError_tPvRmT1_PNSt15iterator_traitsISH_E10value_typeET2_T3_PNSI_ISN_E10value_typeET4_jRbjT5_ST_jjP12ihipStream_tbEUlT_E2_NS1_11comp_targetILNS1_3genE8ELNS1_11target_archE1030ELNS1_3gpuE2ELNS1_3repE0EEENS1_30default_config_static_selectorELNS0_4arch9wavefront6targetE0EEEvSH_.numbered_sgpr, 0
	.set _ZN7rocprim17ROCPRIM_400000_NS6detail17trampoline_kernelINS0_14default_configENS1_36segmented_radix_sort_config_selectorIllEEZNS1_25segmented_radix_sort_implIS3_Lb0EPKlPlS8_S9_N2at6native12_GLOBAL__N_18offset_tEEE10hipError_tPvRmT1_PNSt15iterator_traitsISH_E10value_typeET2_T3_PNSI_ISN_E10value_typeET4_jRbjT5_ST_jjP12ihipStream_tbEUlT_E2_NS1_11comp_targetILNS1_3genE8ELNS1_11target_archE1030ELNS1_3gpuE2ELNS1_3repE0EEENS1_30default_config_static_selectorELNS0_4arch9wavefront6targetE0EEEvSH_.num_named_barrier, 0
	.set _ZN7rocprim17ROCPRIM_400000_NS6detail17trampoline_kernelINS0_14default_configENS1_36segmented_radix_sort_config_selectorIllEEZNS1_25segmented_radix_sort_implIS3_Lb0EPKlPlS8_S9_N2at6native12_GLOBAL__N_18offset_tEEE10hipError_tPvRmT1_PNSt15iterator_traitsISH_E10value_typeET2_T3_PNSI_ISN_E10value_typeET4_jRbjT5_ST_jjP12ihipStream_tbEUlT_E2_NS1_11comp_targetILNS1_3genE8ELNS1_11target_archE1030ELNS1_3gpuE2ELNS1_3repE0EEENS1_30default_config_static_selectorELNS0_4arch9wavefront6targetE0EEEvSH_.private_seg_size, 0
	.set _ZN7rocprim17ROCPRIM_400000_NS6detail17trampoline_kernelINS0_14default_configENS1_36segmented_radix_sort_config_selectorIllEEZNS1_25segmented_radix_sort_implIS3_Lb0EPKlPlS8_S9_N2at6native12_GLOBAL__N_18offset_tEEE10hipError_tPvRmT1_PNSt15iterator_traitsISH_E10value_typeET2_T3_PNSI_ISN_E10value_typeET4_jRbjT5_ST_jjP12ihipStream_tbEUlT_E2_NS1_11comp_targetILNS1_3genE8ELNS1_11target_archE1030ELNS1_3gpuE2ELNS1_3repE0EEENS1_30default_config_static_selectorELNS0_4arch9wavefront6targetE0EEEvSH_.uses_vcc, 0
	.set _ZN7rocprim17ROCPRIM_400000_NS6detail17trampoline_kernelINS0_14default_configENS1_36segmented_radix_sort_config_selectorIllEEZNS1_25segmented_radix_sort_implIS3_Lb0EPKlPlS8_S9_N2at6native12_GLOBAL__N_18offset_tEEE10hipError_tPvRmT1_PNSt15iterator_traitsISH_E10value_typeET2_T3_PNSI_ISN_E10value_typeET4_jRbjT5_ST_jjP12ihipStream_tbEUlT_E2_NS1_11comp_targetILNS1_3genE8ELNS1_11target_archE1030ELNS1_3gpuE2ELNS1_3repE0EEENS1_30default_config_static_selectorELNS0_4arch9wavefront6targetE0EEEvSH_.uses_flat_scratch, 0
	.set _ZN7rocprim17ROCPRIM_400000_NS6detail17trampoline_kernelINS0_14default_configENS1_36segmented_radix_sort_config_selectorIllEEZNS1_25segmented_radix_sort_implIS3_Lb0EPKlPlS8_S9_N2at6native12_GLOBAL__N_18offset_tEEE10hipError_tPvRmT1_PNSt15iterator_traitsISH_E10value_typeET2_T3_PNSI_ISN_E10value_typeET4_jRbjT5_ST_jjP12ihipStream_tbEUlT_E2_NS1_11comp_targetILNS1_3genE8ELNS1_11target_archE1030ELNS1_3gpuE2ELNS1_3repE0EEENS1_30default_config_static_selectorELNS0_4arch9wavefront6targetE0EEEvSH_.has_dyn_sized_stack, 0
	.set _ZN7rocprim17ROCPRIM_400000_NS6detail17trampoline_kernelINS0_14default_configENS1_36segmented_radix_sort_config_selectorIllEEZNS1_25segmented_radix_sort_implIS3_Lb0EPKlPlS8_S9_N2at6native12_GLOBAL__N_18offset_tEEE10hipError_tPvRmT1_PNSt15iterator_traitsISH_E10value_typeET2_T3_PNSI_ISN_E10value_typeET4_jRbjT5_ST_jjP12ihipStream_tbEUlT_E2_NS1_11comp_targetILNS1_3genE8ELNS1_11target_archE1030ELNS1_3gpuE2ELNS1_3repE0EEENS1_30default_config_static_selectorELNS0_4arch9wavefront6targetE0EEEvSH_.has_recursion, 0
	.set _ZN7rocprim17ROCPRIM_400000_NS6detail17trampoline_kernelINS0_14default_configENS1_36segmented_radix_sort_config_selectorIllEEZNS1_25segmented_radix_sort_implIS3_Lb0EPKlPlS8_S9_N2at6native12_GLOBAL__N_18offset_tEEE10hipError_tPvRmT1_PNSt15iterator_traitsISH_E10value_typeET2_T3_PNSI_ISN_E10value_typeET4_jRbjT5_ST_jjP12ihipStream_tbEUlT_E2_NS1_11comp_targetILNS1_3genE8ELNS1_11target_archE1030ELNS1_3gpuE2ELNS1_3repE0EEENS1_30default_config_static_selectorELNS0_4arch9wavefront6targetE0EEEvSH_.has_indirect_call, 0
	.section	.AMDGPU.csdata,"",@progbits
; Kernel info:
; codeLenInByte = 0
; TotalNumSgprs: 0
; NumVgprs: 0
; ScratchSize: 0
; MemoryBound: 0
; FloatMode: 240
; IeeeMode: 1
; LDSByteSize: 0 bytes/workgroup (compile time only)
; SGPRBlocks: 0
; VGPRBlocks: 0
; NumSGPRsForWavesPerEU: 1
; NumVGPRsForWavesPerEU: 1
; Occupancy: 16
; WaveLimiterHint : 0
; COMPUTE_PGM_RSRC2:SCRATCH_EN: 0
; COMPUTE_PGM_RSRC2:USER_SGPR: 2
; COMPUTE_PGM_RSRC2:TRAP_HANDLER: 0
; COMPUTE_PGM_RSRC2:TGID_X_EN: 1
; COMPUTE_PGM_RSRC2:TGID_Y_EN: 0
; COMPUTE_PGM_RSRC2:TGID_Z_EN: 0
; COMPUTE_PGM_RSRC2:TIDIG_COMP_CNT: 0
	.section	.text._ZN2at6native12_GLOBAL__N_123sort_postprocess_kernelIsEEvPKT_PS3_PlPK15HIP_vector_typeIiLj2EEii,"axG",@progbits,_ZN2at6native12_GLOBAL__N_123sort_postprocess_kernelIsEEvPKT_PS3_PlPK15HIP_vector_typeIiLj2EEii,comdat
	.globl	_ZN2at6native12_GLOBAL__N_123sort_postprocess_kernelIsEEvPKT_PS3_PlPK15HIP_vector_typeIiLj2EEii ; -- Begin function _ZN2at6native12_GLOBAL__N_123sort_postprocess_kernelIsEEvPKT_PS3_PlPK15HIP_vector_typeIiLj2EEii
	.p2align	8
	.type	_ZN2at6native12_GLOBAL__N_123sort_postprocess_kernelIsEEvPKT_PS3_PlPK15HIP_vector_typeIiLj2EEii,@function
_ZN2at6native12_GLOBAL__N_123sort_postprocess_kernelIsEEvPKT_PS3_PlPK15HIP_vector_typeIiLj2EEii: ; @_ZN2at6native12_GLOBAL__N_123sort_postprocess_kernelIsEEvPKT_PS3_PlPK15HIP_vector_typeIiLj2EEii
; %bb.0:
	s_clause 0x1
	s_load_b32 s6, s[0:1], 0x34
	s_load_b64 s[4:5], s[0:1], 0x20
	s_mov_b32 s3, 0
	s_mov_b32 s2, ttmp9
	s_mov_b32 s17, s3
	s_wait_kmcnt 0x0
	s_and_b32 s16, s6, 0xffff
	s_mul_i32 s14, s5, s4
	s_mul_u64 s[12:13], s[16:17], s[2:3]
	s_ashr_i32 s15, s14, 31
	v_add_co_u32 v1, s2, s12, v0
	s_delay_alu instid0(VALU_DEP_1) | instskip(NEXT) | instid1(VALU_DEP_1)
	v_add_co_ci_u32_e64 v2, null, s13, 0, s2
	v_cmp_gt_i64_e32 vcc_lo, s[14:15], v[1:2]
	v_mov_b32_e32 v1, 0
	s_and_saveexec_b32 s2, vcc_lo
	s_cbranch_execz .LBB846_3
; %bb.1:
	s_abs_i32 s2, s5
	s_wait_alu 0xfffe
	s_cvt_f32_u32 s4, s2
	s_delay_alu instid0(SALU_CYCLE_3) | instskip(SKIP_4) | instid1(TRANS32_DEP_1)
	v_rcp_iflag_f32_e32 v2, s4
	s_add_nc_u64 s[4:5], s[0:1], 40
	s_load_b32 s17, s[4:5], 0x0
	s_load_b256 s[4:11], s[0:1], 0x0
	s_sub_co_i32 s1, 0, s2
	v_readfirstlane_b32 s0, v2
	s_mul_f32 s0, s0, 0x4f7ffffe
	s_delay_alu instid0(SALU_CYCLE_3) | instskip(NEXT) | instid1(SALU_CYCLE_3)
	s_cvt_u32_f32 s0, s0
	s_mul_i32 s1, s1, s0
	s_delay_alu instid0(SALU_CYCLE_1)
	s_mul_hi_u32 s18, s0, s1
	s_wait_kmcnt 0x0
	s_mul_i32 s1, s17, s16
	s_add_co_i32 s17, s0, s18
	s_mul_i32 s16, ttmp9, s16
.LBB846_2:                              ; =>This Inner Loop Header: Depth=1
	s_delay_alu instid0(SALU_CYCLE_1) | instskip(NEXT) | instid1(VALU_DEP_1)
	v_add_nc_u32_e32 v2, s16, v0
	v_sub_nc_u32_e32 v3, 0, v2
	v_ashrrev_i32_e32 v5, 31, v2
	s_delay_alu instid0(VALU_DEP_2) | instskip(NEXT) | instid1(VALU_DEP_1)
	v_max_i32_e32 v3, v2, v3
	v_mul_hi_u32 v4, v3, s17
	s_delay_alu instid0(VALU_DEP_1) | instskip(NEXT) | instid1(VALU_DEP_1)
	v_mul_lo_u32 v4, v4, s2
	v_sub_nc_u32_e32 v3, v3, v4
	s_delay_alu instid0(VALU_DEP_1) | instskip(SKIP_2) | instid1(VALU_DEP_2)
	v_subrev_nc_u32_e32 v4, s2, v3
	v_cmp_le_u32_e32 vcc_lo, s2, v3
	s_wait_alu 0xfffd
	v_dual_cndmask_b32 v3, v3, v4 :: v_dual_add_nc_u32 v2, v2, v5
	s_delay_alu instid0(VALU_DEP_1) | instskip(SKIP_2) | instid1(VALU_DEP_2)
	v_subrev_nc_u32_e32 v4, s2, v3
	v_cmp_le_u32_e32 vcc_lo, s2, v3
	s_wait_alu 0xfffd
	v_cndmask_b32_e32 v3, v3, v4, vcc_lo
	s_delay_alu instid0(VALU_DEP_1) | instskip(NEXT) | instid1(VALU_DEP_1)
	v_xor_b32_e32 v3, v3, v5
	v_sub_nc_u32_e32 v2, v2, v3
	v_sub_nc_u32_e32 v4, v3, v5
	s_delay_alu instid0(VALU_DEP_2) | instskip(NEXT) | instid1(VALU_DEP_2)
	v_ashrrev_i32_e32 v3, 31, v2
	v_ashrrev_i32_e32 v5, 31, v4
	s_delay_alu instid0(VALU_DEP_2) | instskip(NEXT) | instid1(VALU_DEP_2)
	v_lshlrev_b64_e32 v[6:7], 3, v[2:3]
	v_lshlrev_b64_e32 v[8:9], 3, v[4:5]
	;; [unrolled: 1-line block ×4, first 2 shown]
	s_delay_alu instid0(VALU_DEP_4) | instskip(SKIP_3) | instid1(VALU_DEP_3)
	v_add_co_u32 v10, vcc_lo, s10, v6
	s_wait_alu 0xfffd
	v_add_co_ci_u32_e64 v11, null, s11, v7, vcc_lo
	v_add_co_u32 v6, s0, s8, v6
	v_add_co_u32 v10, vcc_lo, v10, v8
	s_wait_alu 0xfffd
	s_delay_alu instid0(VALU_DEP_3)
	v_add_co_ci_u32_e64 v11, null, v11, v9, vcc_lo
	v_add_co_u32 v14, vcc_lo, s4, v2
	s_wait_alu 0xfffd
	v_add_co_ci_u32_e64 v15, null, s5, v3, vcc_lo
	global_load_b32 v10, v[10:11], off offset:4
	s_wait_alu 0xf1ff
	v_add_co_ci_u32_e64 v7, null, s9, v7, s0
	s_wait_loadcnt 0x0
	v_ashrrev_i32_e32 v11, 31, v10
	s_delay_alu instid0(VALU_DEP_1) | instskip(NEXT) | instid1(VALU_DEP_1)
	v_lshlrev_b64_e32 v[12:13], 1, v[10:11]
	v_add_co_u32 v12, vcc_lo, v14, v12
	s_wait_alu 0xfffd
	s_delay_alu instid0(VALU_DEP_2)
	v_add_co_ci_u32_e64 v13, null, v15, v13, vcc_lo
	v_add_co_u32 v0, vcc_lo, v0, s1
	s_wait_alu 0xfffd
	v_add_co_ci_u32_e64 v1, null, 0, v1, vcc_lo
	global_load_u16 v14, v[12:13], off
	v_add_co_u32 v12, vcc_lo, s12, v0
	s_wait_alu 0xfffd
	v_add_co_ci_u32_e64 v13, null, s13, v1, vcc_lo
	s_delay_alu instid0(VALU_DEP_1)
	v_cmp_le_i64_e32 vcc_lo, s[14:15], v[12:13]
	v_add_co_u32 v12, s0, s6, v2
	s_wait_alu 0xf1ff
	v_add_co_ci_u32_e64 v13, null, s7, v3, s0
	v_add_co_u32 v2, s0, v6, v8
	s_wait_alu 0xf1ff
	v_add_co_ci_u32_e64 v3, null, v7, v9, s0
	v_add_co_u32 v4, s0, v12, v4
	s_wait_alu 0xf1ff
	v_add_co_ci_u32_e64 v5, null, v13, v5, s0
	s_or_b32 s3, vcc_lo, s3
	global_store_b64 v[2:3], v[10:11], off
	s_wait_loadcnt 0x0
	global_store_b16 v[4:5], v14, off
	s_wait_alu 0xfffe
	s_and_not1_b32 exec_lo, exec_lo, s3
	s_cbranch_execnz .LBB846_2
.LBB846_3:
	s_endpgm
	.section	.rodata,"a",@progbits
	.p2align	6, 0x0
	.amdhsa_kernel _ZN2at6native12_GLOBAL__N_123sort_postprocess_kernelIsEEvPKT_PS3_PlPK15HIP_vector_typeIiLj2EEii
		.amdhsa_group_segment_fixed_size 0
		.amdhsa_private_segment_fixed_size 0
		.amdhsa_kernarg_size 296
		.amdhsa_user_sgpr_count 2
		.amdhsa_user_sgpr_dispatch_ptr 0
		.amdhsa_user_sgpr_queue_ptr 0
		.amdhsa_user_sgpr_kernarg_segment_ptr 1
		.amdhsa_user_sgpr_dispatch_id 0
		.amdhsa_user_sgpr_private_segment_size 0
		.amdhsa_wavefront_size32 1
		.amdhsa_uses_dynamic_stack 0
		.amdhsa_enable_private_segment 0
		.amdhsa_system_sgpr_workgroup_id_x 1
		.amdhsa_system_sgpr_workgroup_id_y 0
		.amdhsa_system_sgpr_workgroup_id_z 0
		.amdhsa_system_sgpr_workgroup_info 0
		.amdhsa_system_vgpr_workitem_id 0
		.amdhsa_next_free_vgpr 16
		.amdhsa_next_free_sgpr 19
		.amdhsa_reserve_vcc 1
		.amdhsa_float_round_mode_32 0
		.amdhsa_float_round_mode_16_64 0
		.amdhsa_float_denorm_mode_32 3
		.amdhsa_float_denorm_mode_16_64 3
		.amdhsa_fp16_overflow 0
		.amdhsa_workgroup_processor_mode 1
		.amdhsa_memory_ordered 1
		.amdhsa_forward_progress 1
		.amdhsa_inst_pref_size 5
		.amdhsa_round_robin_scheduling 0
		.amdhsa_exception_fp_ieee_invalid_op 0
		.amdhsa_exception_fp_denorm_src 0
		.amdhsa_exception_fp_ieee_div_zero 0
		.amdhsa_exception_fp_ieee_overflow 0
		.amdhsa_exception_fp_ieee_underflow 0
		.amdhsa_exception_fp_ieee_inexact 0
		.amdhsa_exception_int_div_zero 0
	.end_amdhsa_kernel
	.section	.text._ZN2at6native12_GLOBAL__N_123sort_postprocess_kernelIsEEvPKT_PS3_PlPK15HIP_vector_typeIiLj2EEii,"axG",@progbits,_ZN2at6native12_GLOBAL__N_123sort_postprocess_kernelIsEEvPKT_PS3_PlPK15HIP_vector_typeIiLj2EEii,comdat
.Lfunc_end846:
	.size	_ZN2at6native12_GLOBAL__N_123sort_postprocess_kernelIsEEvPKT_PS3_PlPK15HIP_vector_typeIiLj2EEii, .Lfunc_end846-_ZN2at6native12_GLOBAL__N_123sort_postprocess_kernelIsEEvPKT_PS3_PlPK15HIP_vector_typeIiLj2EEii
                                        ; -- End function
	.set _ZN2at6native12_GLOBAL__N_123sort_postprocess_kernelIsEEvPKT_PS3_PlPK15HIP_vector_typeIiLj2EEii.num_vgpr, 16
	.set _ZN2at6native12_GLOBAL__N_123sort_postprocess_kernelIsEEvPKT_PS3_PlPK15HIP_vector_typeIiLj2EEii.num_agpr, 0
	.set _ZN2at6native12_GLOBAL__N_123sort_postprocess_kernelIsEEvPKT_PS3_PlPK15HIP_vector_typeIiLj2EEii.numbered_sgpr, 19
	.set _ZN2at6native12_GLOBAL__N_123sort_postprocess_kernelIsEEvPKT_PS3_PlPK15HIP_vector_typeIiLj2EEii.num_named_barrier, 0
	.set _ZN2at6native12_GLOBAL__N_123sort_postprocess_kernelIsEEvPKT_PS3_PlPK15HIP_vector_typeIiLj2EEii.private_seg_size, 0
	.set _ZN2at6native12_GLOBAL__N_123sort_postprocess_kernelIsEEvPKT_PS3_PlPK15HIP_vector_typeIiLj2EEii.uses_vcc, 1
	.set _ZN2at6native12_GLOBAL__N_123sort_postprocess_kernelIsEEvPKT_PS3_PlPK15HIP_vector_typeIiLj2EEii.uses_flat_scratch, 0
	.set _ZN2at6native12_GLOBAL__N_123sort_postprocess_kernelIsEEvPKT_PS3_PlPK15HIP_vector_typeIiLj2EEii.has_dyn_sized_stack, 0
	.set _ZN2at6native12_GLOBAL__N_123sort_postprocess_kernelIsEEvPKT_PS3_PlPK15HIP_vector_typeIiLj2EEii.has_recursion, 0
	.set _ZN2at6native12_GLOBAL__N_123sort_postprocess_kernelIsEEvPKT_PS3_PlPK15HIP_vector_typeIiLj2EEii.has_indirect_call, 0
	.section	.AMDGPU.csdata,"",@progbits
; Kernel info:
; codeLenInByte = 632
; TotalNumSgprs: 21
; NumVgprs: 16
; ScratchSize: 0
; MemoryBound: 0
; FloatMode: 240
; IeeeMode: 1
; LDSByteSize: 0 bytes/workgroup (compile time only)
; SGPRBlocks: 0
; VGPRBlocks: 1
; NumSGPRsForWavesPerEU: 21
; NumVGPRsForWavesPerEU: 16
; Occupancy: 16
; WaveLimiterHint : 1
; COMPUTE_PGM_RSRC2:SCRATCH_EN: 0
; COMPUTE_PGM_RSRC2:USER_SGPR: 2
; COMPUTE_PGM_RSRC2:TRAP_HANDLER: 0
; COMPUTE_PGM_RSRC2:TGID_X_EN: 1
; COMPUTE_PGM_RSRC2:TGID_Y_EN: 0
; COMPUTE_PGM_RSRC2:TGID_Z_EN: 0
; COMPUTE_PGM_RSRC2:TIDIG_COMP_CNT: 0
	.section	.text._ZN7rocprim17ROCPRIM_400000_NS6detail17trampoline_kernelINS0_13select_configILj256ELj13ELNS0_17block_load_methodE3ELS4_3ELS4_3ELNS0_20block_scan_algorithmE0ELj4294967295EEENS1_25partition_config_selectorILNS1_17partition_subalgoE4EjNS0_10empty_typeEbEEZZNS1_14partition_implILS8_4ELb0ES6_15HIP_vector_typeIjLj2EENS0_17counting_iteratorIjlEEPS9_SG_NS0_5tupleIJPjSI_NS0_16reverse_iteratorISI_EEEEENSH_IJSG_SG_SG_EEES9_SI_JZNS1_25segmented_radix_sort_implINS0_14default_configELb1EPKsPsPKlPlN2at6native12_GLOBAL__N_18offset_tEEE10hipError_tPvRmT1_PNSt15iterator_traitsIS12_E10value_typeET2_T3_PNS13_IS18_E10value_typeET4_jRbjT5_S1E_jjP12ihipStream_tbEUljE_ZNSN_ISO_Lb1ESQ_SR_ST_SU_SY_EESZ_S10_S11_S12_S16_S17_S18_S1B_S1C_jS1D_jS1E_S1E_jjS1G_bEUljE0_EEESZ_S10_S11_S18_S1C_S1E_T6_T7_T9_mT8_S1G_bDpT10_ENKUlT_T0_E_clISt17integral_constantIbLb0EES1U_EEDaS1P_S1Q_EUlS1P_E_NS1_11comp_targetILNS1_3genE0ELNS1_11target_archE4294967295ELNS1_3gpuE0ELNS1_3repE0EEENS1_30default_config_static_selectorELNS0_4arch9wavefront6targetE0EEEvS12_,"axG",@progbits,_ZN7rocprim17ROCPRIM_400000_NS6detail17trampoline_kernelINS0_13select_configILj256ELj13ELNS0_17block_load_methodE3ELS4_3ELS4_3ELNS0_20block_scan_algorithmE0ELj4294967295EEENS1_25partition_config_selectorILNS1_17partition_subalgoE4EjNS0_10empty_typeEbEEZZNS1_14partition_implILS8_4ELb0ES6_15HIP_vector_typeIjLj2EENS0_17counting_iteratorIjlEEPS9_SG_NS0_5tupleIJPjSI_NS0_16reverse_iteratorISI_EEEEENSH_IJSG_SG_SG_EEES9_SI_JZNS1_25segmented_radix_sort_implINS0_14default_configELb1EPKsPsPKlPlN2at6native12_GLOBAL__N_18offset_tEEE10hipError_tPvRmT1_PNSt15iterator_traitsIS12_E10value_typeET2_T3_PNS13_IS18_E10value_typeET4_jRbjT5_S1E_jjP12ihipStream_tbEUljE_ZNSN_ISO_Lb1ESQ_SR_ST_SU_SY_EESZ_S10_S11_S12_S16_S17_S18_S1B_S1C_jS1D_jS1E_S1E_jjS1G_bEUljE0_EEESZ_S10_S11_S18_S1C_S1E_T6_T7_T9_mT8_S1G_bDpT10_ENKUlT_T0_E_clISt17integral_constantIbLb0EES1U_EEDaS1P_S1Q_EUlS1P_E_NS1_11comp_targetILNS1_3genE0ELNS1_11target_archE4294967295ELNS1_3gpuE0ELNS1_3repE0EEENS1_30default_config_static_selectorELNS0_4arch9wavefront6targetE0EEEvS12_,comdat
	.globl	_ZN7rocprim17ROCPRIM_400000_NS6detail17trampoline_kernelINS0_13select_configILj256ELj13ELNS0_17block_load_methodE3ELS4_3ELS4_3ELNS0_20block_scan_algorithmE0ELj4294967295EEENS1_25partition_config_selectorILNS1_17partition_subalgoE4EjNS0_10empty_typeEbEEZZNS1_14partition_implILS8_4ELb0ES6_15HIP_vector_typeIjLj2EENS0_17counting_iteratorIjlEEPS9_SG_NS0_5tupleIJPjSI_NS0_16reverse_iteratorISI_EEEEENSH_IJSG_SG_SG_EEES9_SI_JZNS1_25segmented_radix_sort_implINS0_14default_configELb1EPKsPsPKlPlN2at6native12_GLOBAL__N_18offset_tEEE10hipError_tPvRmT1_PNSt15iterator_traitsIS12_E10value_typeET2_T3_PNS13_IS18_E10value_typeET4_jRbjT5_S1E_jjP12ihipStream_tbEUljE_ZNSN_ISO_Lb1ESQ_SR_ST_SU_SY_EESZ_S10_S11_S12_S16_S17_S18_S1B_S1C_jS1D_jS1E_S1E_jjS1G_bEUljE0_EEESZ_S10_S11_S18_S1C_S1E_T6_T7_T9_mT8_S1G_bDpT10_ENKUlT_T0_E_clISt17integral_constantIbLb0EES1U_EEDaS1P_S1Q_EUlS1P_E_NS1_11comp_targetILNS1_3genE0ELNS1_11target_archE4294967295ELNS1_3gpuE0ELNS1_3repE0EEENS1_30default_config_static_selectorELNS0_4arch9wavefront6targetE0EEEvS12_ ; -- Begin function _ZN7rocprim17ROCPRIM_400000_NS6detail17trampoline_kernelINS0_13select_configILj256ELj13ELNS0_17block_load_methodE3ELS4_3ELS4_3ELNS0_20block_scan_algorithmE0ELj4294967295EEENS1_25partition_config_selectorILNS1_17partition_subalgoE4EjNS0_10empty_typeEbEEZZNS1_14partition_implILS8_4ELb0ES6_15HIP_vector_typeIjLj2EENS0_17counting_iteratorIjlEEPS9_SG_NS0_5tupleIJPjSI_NS0_16reverse_iteratorISI_EEEEENSH_IJSG_SG_SG_EEES9_SI_JZNS1_25segmented_radix_sort_implINS0_14default_configELb1EPKsPsPKlPlN2at6native12_GLOBAL__N_18offset_tEEE10hipError_tPvRmT1_PNSt15iterator_traitsIS12_E10value_typeET2_T3_PNS13_IS18_E10value_typeET4_jRbjT5_S1E_jjP12ihipStream_tbEUljE_ZNSN_ISO_Lb1ESQ_SR_ST_SU_SY_EESZ_S10_S11_S12_S16_S17_S18_S1B_S1C_jS1D_jS1E_S1E_jjS1G_bEUljE0_EEESZ_S10_S11_S18_S1C_S1E_T6_T7_T9_mT8_S1G_bDpT10_ENKUlT_T0_E_clISt17integral_constantIbLb0EES1U_EEDaS1P_S1Q_EUlS1P_E_NS1_11comp_targetILNS1_3genE0ELNS1_11target_archE4294967295ELNS1_3gpuE0ELNS1_3repE0EEENS1_30default_config_static_selectorELNS0_4arch9wavefront6targetE0EEEvS12_
	.p2align	8
	.type	_ZN7rocprim17ROCPRIM_400000_NS6detail17trampoline_kernelINS0_13select_configILj256ELj13ELNS0_17block_load_methodE3ELS4_3ELS4_3ELNS0_20block_scan_algorithmE0ELj4294967295EEENS1_25partition_config_selectorILNS1_17partition_subalgoE4EjNS0_10empty_typeEbEEZZNS1_14partition_implILS8_4ELb0ES6_15HIP_vector_typeIjLj2EENS0_17counting_iteratorIjlEEPS9_SG_NS0_5tupleIJPjSI_NS0_16reverse_iteratorISI_EEEEENSH_IJSG_SG_SG_EEES9_SI_JZNS1_25segmented_radix_sort_implINS0_14default_configELb1EPKsPsPKlPlN2at6native12_GLOBAL__N_18offset_tEEE10hipError_tPvRmT1_PNSt15iterator_traitsIS12_E10value_typeET2_T3_PNS13_IS18_E10value_typeET4_jRbjT5_S1E_jjP12ihipStream_tbEUljE_ZNSN_ISO_Lb1ESQ_SR_ST_SU_SY_EESZ_S10_S11_S12_S16_S17_S18_S1B_S1C_jS1D_jS1E_S1E_jjS1G_bEUljE0_EEESZ_S10_S11_S18_S1C_S1E_T6_T7_T9_mT8_S1G_bDpT10_ENKUlT_T0_E_clISt17integral_constantIbLb0EES1U_EEDaS1P_S1Q_EUlS1P_E_NS1_11comp_targetILNS1_3genE0ELNS1_11target_archE4294967295ELNS1_3gpuE0ELNS1_3repE0EEENS1_30default_config_static_selectorELNS0_4arch9wavefront6targetE0EEEvS12_,@function
_ZN7rocprim17ROCPRIM_400000_NS6detail17trampoline_kernelINS0_13select_configILj256ELj13ELNS0_17block_load_methodE3ELS4_3ELS4_3ELNS0_20block_scan_algorithmE0ELj4294967295EEENS1_25partition_config_selectorILNS1_17partition_subalgoE4EjNS0_10empty_typeEbEEZZNS1_14partition_implILS8_4ELb0ES6_15HIP_vector_typeIjLj2EENS0_17counting_iteratorIjlEEPS9_SG_NS0_5tupleIJPjSI_NS0_16reverse_iteratorISI_EEEEENSH_IJSG_SG_SG_EEES9_SI_JZNS1_25segmented_radix_sort_implINS0_14default_configELb1EPKsPsPKlPlN2at6native12_GLOBAL__N_18offset_tEEE10hipError_tPvRmT1_PNSt15iterator_traitsIS12_E10value_typeET2_T3_PNS13_IS18_E10value_typeET4_jRbjT5_S1E_jjP12ihipStream_tbEUljE_ZNSN_ISO_Lb1ESQ_SR_ST_SU_SY_EESZ_S10_S11_S12_S16_S17_S18_S1B_S1C_jS1D_jS1E_S1E_jjS1G_bEUljE0_EEESZ_S10_S11_S18_S1C_S1E_T6_T7_T9_mT8_S1G_bDpT10_ENKUlT_T0_E_clISt17integral_constantIbLb0EES1U_EEDaS1P_S1Q_EUlS1P_E_NS1_11comp_targetILNS1_3genE0ELNS1_11target_archE4294967295ELNS1_3gpuE0ELNS1_3repE0EEENS1_30default_config_static_selectorELNS0_4arch9wavefront6targetE0EEEvS12_: ; @_ZN7rocprim17ROCPRIM_400000_NS6detail17trampoline_kernelINS0_13select_configILj256ELj13ELNS0_17block_load_methodE3ELS4_3ELS4_3ELNS0_20block_scan_algorithmE0ELj4294967295EEENS1_25partition_config_selectorILNS1_17partition_subalgoE4EjNS0_10empty_typeEbEEZZNS1_14partition_implILS8_4ELb0ES6_15HIP_vector_typeIjLj2EENS0_17counting_iteratorIjlEEPS9_SG_NS0_5tupleIJPjSI_NS0_16reverse_iteratorISI_EEEEENSH_IJSG_SG_SG_EEES9_SI_JZNS1_25segmented_radix_sort_implINS0_14default_configELb1EPKsPsPKlPlN2at6native12_GLOBAL__N_18offset_tEEE10hipError_tPvRmT1_PNSt15iterator_traitsIS12_E10value_typeET2_T3_PNS13_IS18_E10value_typeET4_jRbjT5_S1E_jjP12ihipStream_tbEUljE_ZNSN_ISO_Lb1ESQ_SR_ST_SU_SY_EESZ_S10_S11_S12_S16_S17_S18_S1B_S1C_jS1D_jS1E_S1E_jjS1G_bEUljE0_EEESZ_S10_S11_S18_S1C_S1E_T6_T7_T9_mT8_S1G_bDpT10_ENKUlT_T0_E_clISt17integral_constantIbLb0EES1U_EEDaS1P_S1Q_EUlS1P_E_NS1_11comp_targetILNS1_3genE0ELNS1_11target_archE4294967295ELNS1_3gpuE0ELNS1_3repE0EEENS1_30default_config_static_selectorELNS0_4arch9wavefront6targetE0EEEvS12_
; %bb.0:
	.section	.rodata,"a",@progbits
	.p2align	6, 0x0
	.amdhsa_kernel _ZN7rocprim17ROCPRIM_400000_NS6detail17trampoline_kernelINS0_13select_configILj256ELj13ELNS0_17block_load_methodE3ELS4_3ELS4_3ELNS0_20block_scan_algorithmE0ELj4294967295EEENS1_25partition_config_selectorILNS1_17partition_subalgoE4EjNS0_10empty_typeEbEEZZNS1_14partition_implILS8_4ELb0ES6_15HIP_vector_typeIjLj2EENS0_17counting_iteratorIjlEEPS9_SG_NS0_5tupleIJPjSI_NS0_16reverse_iteratorISI_EEEEENSH_IJSG_SG_SG_EEES9_SI_JZNS1_25segmented_radix_sort_implINS0_14default_configELb1EPKsPsPKlPlN2at6native12_GLOBAL__N_18offset_tEEE10hipError_tPvRmT1_PNSt15iterator_traitsIS12_E10value_typeET2_T3_PNS13_IS18_E10value_typeET4_jRbjT5_S1E_jjP12ihipStream_tbEUljE_ZNSN_ISO_Lb1ESQ_SR_ST_SU_SY_EESZ_S10_S11_S12_S16_S17_S18_S1B_S1C_jS1D_jS1E_S1E_jjS1G_bEUljE0_EEESZ_S10_S11_S18_S1C_S1E_T6_T7_T9_mT8_S1G_bDpT10_ENKUlT_T0_E_clISt17integral_constantIbLb0EES1U_EEDaS1P_S1Q_EUlS1P_E_NS1_11comp_targetILNS1_3genE0ELNS1_11target_archE4294967295ELNS1_3gpuE0ELNS1_3repE0EEENS1_30default_config_static_selectorELNS0_4arch9wavefront6targetE0EEEvS12_
		.amdhsa_group_segment_fixed_size 0
		.amdhsa_private_segment_fixed_size 0
		.amdhsa_kernarg_size 176
		.amdhsa_user_sgpr_count 2
		.amdhsa_user_sgpr_dispatch_ptr 0
		.amdhsa_user_sgpr_queue_ptr 0
		.amdhsa_user_sgpr_kernarg_segment_ptr 1
		.amdhsa_user_sgpr_dispatch_id 0
		.amdhsa_user_sgpr_private_segment_size 0
		.amdhsa_wavefront_size32 1
		.amdhsa_uses_dynamic_stack 0
		.amdhsa_enable_private_segment 0
		.amdhsa_system_sgpr_workgroup_id_x 1
		.amdhsa_system_sgpr_workgroup_id_y 0
		.amdhsa_system_sgpr_workgroup_id_z 0
		.amdhsa_system_sgpr_workgroup_info 0
		.amdhsa_system_vgpr_workitem_id 0
		.amdhsa_next_free_vgpr 1
		.amdhsa_next_free_sgpr 1
		.amdhsa_reserve_vcc 0
		.amdhsa_float_round_mode_32 0
		.amdhsa_float_round_mode_16_64 0
		.amdhsa_float_denorm_mode_32 3
		.amdhsa_float_denorm_mode_16_64 3
		.amdhsa_fp16_overflow 0
		.amdhsa_workgroup_processor_mode 1
		.amdhsa_memory_ordered 1
		.amdhsa_forward_progress 1
		.amdhsa_inst_pref_size 0
		.amdhsa_round_robin_scheduling 0
		.amdhsa_exception_fp_ieee_invalid_op 0
		.amdhsa_exception_fp_denorm_src 0
		.amdhsa_exception_fp_ieee_div_zero 0
		.amdhsa_exception_fp_ieee_overflow 0
		.amdhsa_exception_fp_ieee_underflow 0
		.amdhsa_exception_fp_ieee_inexact 0
		.amdhsa_exception_int_div_zero 0
	.end_amdhsa_kernel
	.section	.text._ZN7rocprim17ROCPRIM_400000_NS6detail17trampoline_kernelINS0_13select_configILj256ELj13ELNS0_17block_load_methodE3ELS4_3ELS4_3ELNS0_20block_scan_algorithmE0ELj4294967295EEENS1_25partition_config_selectorILNS1_17partition_subalgoE4EjNS0_10empty_typeEbEEZZNS1_14partition_implILS8_4ELb0ES6_15HIP_vector_typeIjLj2EENS0_17counting_iteratorIjlEEPS9_SG_NS0_5tupleIJPjSI_NS0_16reverse_iteratorISI_EEEEENSH_IJSG_SG_SG_EEES9_SI_JZNS1_25segmented_radix_sort_implINS0_14default_configELb1EPKsPsPKlPlN2at6native12_GLOBAL__N_18offset_tEEE10hipError_tPvRmT1_PNSt15iterator_traitsIS12_E10value_typeET2_T3_PNS13_IS18_E10value_typeET4_jRbjT5_S1E_jjP12ihipStream_tbEUljE_ZNSN_ISO_Lb1ESQ_SR_ST_SU_SY_EESZ_S10_S11_S12_S16_S17_S18_S1B_S1C_jS1D_jS1E_S1E_jjS1G_bEUljE0_EEESZ_S10_S11_S18_S1C_S1E_T6_T7_T9_mT8_S1G_bDpT10_ENKUlT_T0_E_clISt17integral_constantIbLb0EES1U_EEDaS1P_S1Q_EUlS1P_E_NS1_11comp_targetILNS1_3genE0ELNS1_11target_archE4294967295ELNS1_3gpuE0ELNS1_3repE0EEENS1_30default_config_static_selectorELNS0_4arch9wavefront6targetE0EEEvS12_,"axG",@progbits,_ZN7rocprim17ROCPRIM_400000_NS6detail17trampoline_kernelINS0_13select_configILj256ELj13ELNS0_17block_load_methodE3ELS4_3ELS4_3ELNS0_20block_scan_algorithmE0ELj4294967295EEENS1_25partition_config_selectorILNS1_17partition_subalgoE4EjNS0_10empty_typeEbEEZZNS1_14partition_implILS8_4ELb0ES6_15HIP_vector_typeIjLj2EENS0_17counting_iteratorIjlEEPS9_SG_NS0_5tupleIJPjSI_NS0_16reverse_iteratorISI_EEEEENSH_IJSG_SG_SG_EEES9_SI_JZNS1_25segmented_radix_sort_implINS0_14default_configELb1EPKsPsPKlPlN2at6native12_GLOBAL__N_18offset_tEEE10hipError_tPvRmT1_PNSt15iterator_traitsIS12_E10value_typeET2_T3_PNS13_IS18_E10value_typeET4_jRbjT5_S1E_jjP12ihipStream_tbEUljE_ZNSN_ISO_Lb1ESQ_SR_ST_SU_SY_EESZ_S10_S11_S12_S16_S17_S18_S1B_S1C_jS1D_jS1E_S1E_jjS1G_bEUljE0_EEESZ_S10_S11_S18_S1C_S1E_T6_T7_T9_mT8_S1G_bDpT10_ENKUlT_T0_E_clISt17integral_constantIbLb0EES1U_EEDaS1P_S1Q_EUlS1P_E_NS1_11comp_targetILNS1_3genE0ELNS1_11target_archE4294967295ELNS1_3gpuE0ELNS1_3repE0EEENS1_30default_config_static_selectorELNS0_4arch9wavefront6targetE0EEEvS12_,comdat
.Lfunc_end847:
	.size	_ZN7rocprim17ROCPRIM_400000_NS6detail17trampoline_kernelINS0_13select_configILj256ELj13ELNS0_17block_load_methodE3ELS4_3ELS4_3ELNS0_20block_scan_algorithmE0ELj4294967295EEENS1_25partition_config_selectorILNS1_17partition_subalgoE4EjNS0_10empty_typeEbEEZZNS1_14partition_implILS8_4ELb0ES6_15HIP_vector_typeIjLj2EENS0_17counting_iteratorIjlEEPS9_SG_NS0_5tupleIJPjSI_NS0_16reverse_iteratorISI_EEEEENSH_IJSG_SG_SG_EEES9_SI_JZNS1_25segmented_radix_sort_implINS0_14default_configELb1EPKsPsPKlPlN2at6native12_GLOBAL__N_18offset_tEEE10hipError_tPvRmT1_PNSt15iterator_traitsIS12_E10value_typeET2_T3_PNS13_IS18_E10value_typeET4_jRbjT5_S1E_jjP12ihipStream_tbEUljE_ZNSN_ISO_Lb1ESQ_SR_ST_SU_SY_EESZ_S10_S11_S12_S16_S17_S18_S1B_S1C_jS1D_jS1E_S1E_jjS1G_bEUljE0_EEESZ_S10_S11_S18_S1C_S1E_T6_T7_T9_mT8_S1G_bDpT10_ENKUlT_T0_E_clISt17integral_constantIbLb0EES1U_EEDaS1P_S1Q_EUlS1P_E_NS1_11comp_targetILNS1_3genE0ELNS1_11target_archE4294967295ELNS1_3gpuE0ELNS1_3repE0EEENS1_30default_config_static_selectorELNS0_4arch9wavefront6targetE0EEEvS12_, .Lfunc_end847-_ZN7rocprim17ROCPRIM_400000_NS6detail17trampoline_kernelINS0_13select_configILj256ELj13ELNS0_17block_load_methodE3ELS4_3ELS4_3ELNS0_20block_scan_algorithmE0ELj4294967295EEENS1_25partition_config_selectorILNS1_17partition_subalgoE4EjNS0_10empty_typeEbEEZZNS1_14partition_implILS8_4ELb0ES6_15HIP_vector_typeIjLj2EENS0_17counting_iteratorIjlEEPS9_SG_NS0_5tupleIJPjSI_NS0_16reverse_iteratorISI_EEEEENSH_IJSG_SG_SG_EEES9_SI_JZNS1_25segmented_radix_sort_implINS0_14default_configELb1EPKsPsPKlPlN2at6native12_GLOBAL__N_18offset_tEEE10hipError_tPvRmT1_PNSt15iterator_traitsIS12_E10value_typeET2_T3_PNS13_IS18_E10value_typeET4_jRbjT5_S1E_jjP12ihipStream_tbEUljE_ZNSN_ISO_Lb1ESQ_SR_ST_SU_SY_EESZ_S10_S11_S12_S16_S17_S18_S1B_S1C_jS1D_jS1E_S1E_jjS1G_bEUljE0_EEESZ_S10_S11_S18_S1C_S1E_T6_T7_T9_mT8_S1G_bDpT10_ENKUlT_T0_E_clISt17integral_constantIbLb0EES1U_EEDaS1P_S1Q_EUlS1P_E_NS1_11comp_targetILNS1_3genE0ELNS1_11target_archE4294967295ELNS1_3gpuE0ELNS1_3repE0EEENS1_30default_config_static_selectorELNS0_4arch9wavefront6targetE0EEEvS12_
                                        ; -- End function
	.set _ZN7rocprim17ROCPRIM_400000_NS6detail17trampoline_kernelINS0_13select_configILj256ELj13ELNS0_17block_load_methodE3ELS4_3ELS4_3ELNS0_20block_scan_algorithmE0ELj4294967295EEENS1_25partition_config_selectorILNS1_17partition_subalgoE4EjNS0_10empty_typeEbEEZZNS1_14partition_implILS8_4ELb0ES6_15HIP_vector_typeIjLj2EENS0_17counting_iteratorIjlEEPS9_SG_NS0_5tupleIJPjSI_NS0_16reverse_iteratorISI_EEEEENSH_IJSG_SG_SG_EEES9_SI_JZNS1_25segmented_radix_sort_implINS0_14default_configELb1EPKsPsPKlPlN2at6native12_GLOBAL__N_18offset_tEEE10hipError_tPvRmT1_PNSt15iterator_traitsIS12_E10value_typeET2_T3_PNS13_IS18_E10value_typeET4_jRbjT5_S1E_jjP12ihipStream_tbEUljE_ZNSN_ISO_Lb1ESQ_SR_ST_SU_SY_EESZ_S10_S11_S12_S16_S17_S18_S1B_S1C_jS1D_jS1E_S1E_jjS1G_bEUljE0_EEESZ_S10_S11_S18_S1C_S1E_T6_T7_T9_mT8_S1G_bDpT10_ENKUlT_T0_E_clISt17integral_constantIbLb0EES1U_EEDaS1P_S1Q_EUlS1P_E_NS1_11comp_targetILNS1_3genE0ELNS1_11target_archE4294967295ELNS1_3gpuE0ELNS1_3repE0EEENS1_30default_config_static_selectorELNS0_4arch9wavefront6targetE0EEEvS12_.num_vgpr, 0
	.set _ZN7rocprim17ROCPRIM_400000_NS6detail17trampoline_kernelINS0_13select_configILj256ELj13ELNS0_17block_load_methodE3ELS4_3ELS4_3ELNS0_20block_scan_algorithmE0ELj4294967295EEENS1_25partition_config_selectorILNS1_17partition_subalgoE4EjNS0_10empty_typeEbEEZZNS1_14partition_implILS8_4ELb0ES6_15HIP_vector_typeIjLj2EENS0_17counting_iteratorIjlEEPS9_SG_NS0_5tupleIJPjSI_NS0_16reverse_iteratorISI_EEEEENSH_IJSG_SG_SG_EEES9_SI_JZNS1_25segmented_radix_sort_implINS0_14default_configELb1EPKsPsPKlPlN2at6native12_GLOBAL__N_18offset_tEEE10hipError_tPvRmT1_PNSt15iterator_traitsIS12_E10value_typeET2_T3_PNS13_IS18_E10value_typeET4_jRbjT5_S1E_jjP12ihipStream_tbEUljE_ZNSN_ISO_Lb1ESQ_SR_ST_SU_SY_EESZ_S10_S11_S12_S16_S17_S18_S1B_S1C_jS1D_jS1E_S1E_jjS1G_bEUljE0_EEESZ_S10_S11_S18_S1C_S1E_T6_T7_T9_mT8_S1G_bDpT10_ENKUlT_T0_E_clISt17integral_constantIbLb0EES1U_EEDaS1P_S1Q_EUlS1P_E_NS1_11comp_targetILNS1_3genE0ELNS1_11target_archE4294967295ELNS1_3gpuE0ELNS1_3repE0EEENS1_30default_config_static_selectorELNS0_4arch9wavefront6targetE0EEEvS12_.num_agpr, 0
	.set _ZN7rocprim17ROCPRIM_400000_NS6detail17trampoline_kernelINS0_13select_configILj256ELj13ELNS0_17block_load_methodE3ELS4_3ELS4_3ELNS0_20block_scan_algorithmE0ELj4294967295EEENS1_25partition_config_selectorILNS1_17partition_subalgoE4EjNS0_10empty_typeEbEEZZNS1_14partition_implILS8_4ELb0ES6_15HIP_vector_typeIjLj2EENS0_17counting_iteratorIjlEEPS9_SG_NS0_5tupleIJPjSI_NS0_16reverse_iteratorISI_EEEEENSH_IJSG_SG_SG_EEES9_SI_JZNS1_25segmented_radix_sort_implINS0_14default_configELb1EPKsPsPKlPlN2at6native12_GLOBAL__N_18offset_tEEE10hipError_tPvRmT1_PNSt15iterator_traitsIS12_E10value_typeET2_T3_PNS13_IS18_E10value_typeET4_jRbjT5_S1E_jjP12ihipStream_tbEUljE_ZNSN_ISO_Lb1ESQ_SR_ST_SU_SY_EESZ_S10_S11_S12_S16_S17_S18_S1B_S1C_jS1D_jS1E_S1E_jjS1G_bEUljE0_EEESZ_S10_S11_S18_S1C_S1E_T6_T7_T9_mT8_S1G_bDpT10_ENKUlT_T0_E_clISt17integral_constantIbLb0EES1U_EEDaS1P_S1Q_EUlS1P_E_NS1_11comp_targetILNS1_3genE0ELNS1_11target_archE4294967295ELNS1_3gpuE0ELNS1_3repE0EEENS1_30default_config_static_selectorELNS0_4arch9wavefront6targetE0EEEvS12_.numbered_sgpr, 0
	.set _ZN7rocprim17ROCPRIM_400000_NS6detail17trampoline_kernelINS0_13select_configILj256ELj13ELNS0_17block_load_methodE3ELS4_3ELS4_3ELNS0_20block_scan_algorithmE0ELj4294967295EEENS1_25partition_config_selectorILNS1_17partition_subalgoE4EjNS0_10empty_typeEbEEZZNS1_14partition_implILS8_4ELb0ES6_15HIP_vector_typeIjLj2EENS0_17counting_iteratorIjlEEPS9_SG_NS0_5tupleIJPjSI_NS0_16reverse_iteratorISI_EEEEENSH_IJSG_SG_SG_EEES9_SI_JZNS1_25segmented_radix_sort_implINS0_14default_configELb1EPKsPsPKlPlN2at6native12_GLOBAL__N_18offset_tEEE10hipError_tPvRmT1_PNSt15iterator_traitsIS12_E10value_typeET2_T3_PNS13_IS18_E10value_typeET4_jRbjT5_S1E_jjP12ihipStream_tbEUljE_ZNSN_ISO_Lb1ESQ_SR_ST_SU_SY_EESZ_S10_S11_S12_S16_S17_S18_S1B_S1C_jS1D_jS1E_S1E_jjS1G_bEUljE0_EEESZ_S10_S11_S18_S1C_S1E_T6_T7_T9_mT8_S1G_bDpT10_ENKUlT_T0_E_clISt17integral_constantIbLb0EES1U_EEDaS1P_S1Q_EUlS1P_E_NS1_11comp_targetILNS1_3genE0ELNS1_11target_archE4294967295ELNS1_3gpuE0ELNS1_3repE0EEENS1_30default_config_static_selectorELNS0_4arch9wavefront6targetE0EEEvS12_.num_named_barrier, 0
	.set _ZN7rocprim17ROCPRIM_400000_NS6detail17trampoline_kernelINS0_13select_configILj256ELj13ELNS0_17block_load_methodE3ELS4_3ELS4_3ELNS0_20block_scan_algorithmE0ELj4294967295EEENS1_25partition_config_selectorILNS1_17partition_subalgoE4EjNS0_10empty_typeEbEEZZNS1_14partition_implILS8_4ELb0ES6_15HIP_vector_typeIjLj2EENS0_17counting_iteratorIjlEEPS9_SG_NS0_5tupleIJPjSI_NS0_16reverse_iteratorISI_EEEEENSH_IJSG_SG_SG_EEES9_SI_JZNS1_25segmented_radix_sort_implINS0_14default_configELb1EPKsPsPKlPlN2at6native12_GLOBAL__N_18offset_tEEE10hipError_tPvRmT1_PNSt15iterator_traitsIS12_E10value_typeET2_T3_PNS13_IS18_E10value_typeET4_jRbjT5_S1E_jjP12ihipStream_tbEUljE_ZNSN_ISO_Lb1ESQ_SR_ST_SU_SY_EESZ_S10_S11_S12_S16_S17_S18_S1B_S1C_jS1D_jS1E_S1E_jjS1G_bEUljE0_EEESZ_S10_S11_S18_S1C_S1E_T6_T7_T9_mT8_S1G_bDpT10_ENKUlT_T0_E_clISt17integral_constantIbLb0EES1U_EEDaS1P_S1Q_EUlS1P_E_NS1_11comp_targetILNS1_3genE0ELNS1_11target_archE4294967295ELNS1_3gpuE0ELNS1_3repE0EEENS1_30default_config_static_selectorELNS0_4arch9wavefront6targetE0EEEvS12_.private_seg_size, 0
	.set _ZN7rocprim17ROCPRIM_400000_NS6detail17trampoline_kernelINS0_13select_configILj256ELj13ELNS0_17block_load_methodE3ELS4_3ELS4_3ELNS0_20block_scan_algorithmE0ELj4294967295EEENS1_25partition_config_selectorILNS1_17partition_subalgoE4EjNS0_10empty_typeEbEEZZNS1_14partition_implILS8_4ELb0ES6_15HIP_vector_typeIjLj2EENS0_17counting_iteratorIjlEEPS9_SG_NS0_5tupleIJPjSI_NS0_16reverse_iteratorISI_EEEEENSH_IJSG_SG_SG_EEES9_SI_JZNS1_25segmented_radix_sort_implINS0_14default_configELb1EPKsPsPKlPlN2at6native12_GLOBAL__N_18offset_tEEE10hipError_tPvRmT1_PNSt15iterator_traitsIS12_E10value_typeET2_T3_PNS13_IS18_E10value_typeET4_jRbjT5_S1E_jjP12ihipStream_tbEUljE_ZNSN_ISO_Lb1ESQ_SR_ST_SU_SY_EESZ_S10_S11_S12_S16_S17_S18_S1B_S1C_jS1D_jS1E_S1E_jjS1G_bEUljE0_EEESZ_S10_S11_S18_S1C_S1E_T6_T7_T9_mT8_S1G_bDpT10_ENKUlT_T0_E_clISt17integral_constantIbLb0EES1U_EEDaS1P_S1Q_EUlS1P_E_NS1_11comp_targetILNS1_3genE0ELNS1_11target_archE4294967295ELNS1_3gpuE0ELNS1_3repE0EEENS1_30default_config_static_selectorELNS0_4arch9wavefront6targetE0EEEvS12_.uses_vcc, 0
	.set _ZN7rocprim17ROCPRIM_400000_NS6detail17trampoline_kernelINS0_13select_configILj256ELj13ELNS0_17block_load_methodE3ELS4_3ELS4_3ELNS0_20block_scan_algorithmE0ELj4294967295EEENS1_25partition_config_selectorILNS1_17partition_subalgoE4EjNS0_10empty_typeEbEEZZNS1_14partition_implILS8_4ELb0ES6_15HIP_vector_typeIjLj2EENS0_17counting_iteratorIjlEEPS9_SG_NS0_5tupleIJPjSI_NS0_16reverse_iteratorISI_EEEEENSH_IJSG_SG_SG_EEES9_SI_JZNS1_25segmented_radix_sort_implINS0_14default_configELb1EPKsPsPKlPlN2at6native12_GLOBAL__N_18offset_tEEE10hipError_tPvRmT1_PNSt15iterator_traitsIS12_E10value_typeET2_T3_PNS13_IS18_E10value_typeET4_jRbjT5_S1E_jjP12ihipStream_tbEUljE_ZNSN_ISO_Lb1ESQ_SR_ST_SU_SY_EESZ_S10_S11_S12_S16_S17_S18_S1B_S1C_jS1D_jS1E_S1E_jjS1G_bEUljE0_EEESZ_S10_S11_S18_S1C_S1E_T6_T7_T9_mT8_S1G_bDpT10_ENKUlT_T0_E_clISt17integral_constantIbLb0EES1U_EEDaS1P_S1Q_EUlS1P_E_NS1_11comp_targetILNS1_3genE0ELNS1_11target_archE4294967295ELNS1_3gpuE0ELNS1_3repE0EEENS1_30default_config_static_selectorELNS0_4arch9wavefront6targetE0EEEvS12_.uses_flat_scratch, 0
	.set _ZN7rocprim17ROCPRIM_400000_NS6detail17trampoline_kernelINS0_13select_configILj256ELj13ELNS0_17block_load_methodE3ELS4_3ELS4_3ELNS0_20block_scan_algorithmE0ELj4294967295EEENS1_25partition_config_selectorILNS1_17partition_subalgoE4EjNS0_10empty_typeEbEEZZNS1_14partition_implILS8_4ELb0ES6_15HIP_vector_typeIjLj2EENS0_17counting_iteratorIjlEEPS9_SG_NS0_5tupleIJPjSI_NS0_16reverse_iteratorISI_EEEEENSH_IJSG_SG_SG_EEES9_SI_JZNS1_25segmented_radix_sort_implINS0_14default_configELb1EPKsPsPKlPlN2at6native12_GLOBAL__N_18offset_tEEE10hipError_tPvRmT1_PNSt15iterator_traitsIS12_E10value_typeET2_T3_PNS13_IS18_E10value_typeET4_jRbjT5_S1E_jjP12ihipStream_tbEUljE_ZNSN_ISO_Lb1ESQ_SR_ST_SU_SY_EESZ_S10_S11_S12_S16_S17_S18_S1B_S1C_jS1D_jS1E_S1E_jjS1G_bEUljE0_EEESZ_S10_S11_S18_S1C_S1E_T6_T7_T9_mT8_S1G_bDpT10_ENKUlT_T0_E_clISt17integral_constantIbLb0EES1U_EEDaS1P_S1Q_EUlS1P_E_NS1_11comp_targetILNS1_3genE0ELNS1_11target_archE4294967295ELNS1_3gpuE0ELNS1_3repE0EEENS1_30default_config_static_selectorELNS0_4arch9wavefront6targetE0EEEvS12_.has_dyn_sized_stack, 0
	.set _ZN7rocprim17ROCPRIM_400000_NS6detail17trampoline_kernelINS0_13select_configILj256ELj13ELNS0_17block_load_methodE3ELS4_3ELS4_3ELNS0_20block_scan_algorithmE0ELj4294967295EEENS1_25partition_config_selectorILNS1_17partition_subalgoE4EjNS0_10empty_typeEbEEZZNS1_14partition_implILS8_4ELb0ES6_15HIP_vector_typeIjLj2EENS0_17counting_iteratorIjlEEPS9_SG_NS0_5tupleIJPjSI_NS0_16reverse_iteratorISI_EEEEENSH_IJSG_SG_SG_EEES9_SI_JZNS1_25segmented_radix_sort_implINS0_14default_configELb1EPKsPsPKlPlN2at6native12_GLOBAL__N_18offset_tEEE10hipError_tPvRmT1_PNSt15iterator_traitsIS12_E10value_typeET2_T3_PNS13_IS18_E10value_typeET4_jRbjT5_S1E_jjP12ihipStream_tbEUljE_ZNSN_ISO_Lb1ESQ_SR_ST_SU_SY_EESZ_S10_S11_S12_S16_S17_S18_S1B_S1C_jS1D_jS1E_S1E_jjS1G_bEUljE0_EEESZ_S10_S11_S18_S1C_S1E_T6_T7_T9_mT8_S1G_bDpT10_ENKUlT_T0_E_clISt17integral_constantIbLb0EES1U_EEDaS1P_S1Q_EUlS1P_E_NS1_11comp_targetILNS1_3genE0ELNS1_11target_archE4294967295ELNS1_3gpuE0ELNS1_3repE0EEENS1_30default_config_static_selectorELNS0_4arch9wavefront6targetE0EEEvS12_.has_recursion, 0
	.set _ZN7rocprim17ROCPRIM_400000_NS6detail17trampoline_kernelINS0_13select_configILj256ELj13ELNS0_17block_load_methodE3ELS4_3ELS4_3ELNS0_20block_scan_algorithmE0ELj4294967295EEENS1_25partition_config_selectorILNS1_17partition_subalgoE4EjNS0_10empty_typeEbEEZZNS1_14partition_implILS8_4ELb0ES6_15HIP_vector_typeIjLj2EENS0_17counting_iteratorIjlEEPS9_SG_NS0_5tupleIJPjSI_NS0_16reverse_iteratorISI_EEEEENSH_IJSG_SG_SG_EEES9_SI_JZNS1_25segmented_radix_sort_implINS0_14default_configELb1EPKsPsPKlPlN2at6native12_GLOBAL__N_18offset_tEEE10hipError_tPvRmT1_PNSt15iterator_traitsIS12_E10value_typeET2_T3_PNS13_IS18_E10value_typeET4_jRbjT5_S1E_jjP12ihipStream_tbEUljE_ZNSN_ISO_Lb1ESQ_SR_ST_SU_SY_EESZ_S10_S11_S12_S16_S17_S18_S1B_S1C_jS1D_jS1E_S1E_jjS1G_bEUljE0_EEESZ_S10_S11_S18_S1C_S1E_T6_T7_T9_mT8_S1G_bDpT10_ENKUlT_T0_E_clISt17integral_constantIbLb0EES1U_EEDaS1P_S1Q_EUlS1P_E_NS1_11comp_targetILNS1_3genE0ELNS1_11target_archE4294967295ELNS1_3gpuE0ELNS1_3repE0EEENS1_30default_config_static_selectorELNS0_4arch9wavefront6targetE0EEEvS12_.has_indirect_call, 0
	.section	.AMDGPU.csdata,"",@progbits
; Kernel info:
; codeLenInByte = 0
; TotalNumSgprs: 0
; NumVgprs: 0
; ScratchSize: 0
; MemoryBound: 0
; FloatMode: 240
; IeeeMode: 1
; LDSByteSize: 0 bytes/workgroup (compile time only)
; SGPRBlocks: 0
; VGPRBlocks: 0
; NumSGPRsForWavesPerEU: 1
; NumVGPRsForWavesPerEU: 1
; Occupancy: 16
; WaveLimiterHint : 0
; COMPUTE_PGM_RSRC2:SCRATCH_EN: 0
; COMPUTE_PGM_RSRC2:USER_SGPR: 2
; COMPUTE_PGM_RSRC2:TRAP_HANDLER: 0
; COMPUTE_PGM_RSRC2:TGID_X_EN: 1
; COMPUTE_PGM_RSRC2:TGID_Y_EN: 0
; COMPUTE_PGM_RSRC2:TGID_Z_EN: 0
; COMPUTE_PGM_RSRC2:TIDIG_COMP_CNT: 0
	.section	.text._ZN7rocprim17ROCPRIM_400000_NS6detail17trampoline_kernelINS0_13select_configILj256ELj13ELNS0_17block_load_methodE3ELS4_3ELS4_3ELNS0_20block_scan_algorithmE0ELj4294967295EEENS1_25partition_config_selectorILNS1_17partition_subalgoE4EjNS0_10empty_typeEbEEZZNS1_14partition_implILS8_4ELb0ES6_15HIP_vector_typeIjLj2EENS0_17counting_iteratorIjlEEPS9_SG_NS0_5tupleIJPjSI_NS0_16reverse_iteratorISI_EEEEENSH_IJSG_SG_SG_EEES9_SI_JZNS1_25segmented_radix_sort_implINS0_14default_configELb1EPKsPsPKlPlN2at6native12_GLOBAL__N_18offset_tEEE10hipError_tPvRmT1_PNSt15iterator_traitsIS12_E10value_typeET2_T3_PNS13_IS18_E10value_typeET4_jRbjT5_S1E_jjP12ihipStream_tbEUljE_ZNSN_ISO_Lb1ESQ_SR_ST_SU_SY_EESZ_S10_S11_S12_S16_S17_S18_S1B_S1C_jS1D_jS1E_S1E_jjS1G_bEUljE0_EEESZ_S10_S11_S18_S1C_S1E_T6_T7_T9_mT8_S1G_bDpT10_ENKUlT_T0_E_clISt17integral_constantIbLb0EES1U_EEDaS1P_S1Q_EUlS1P_E_NS1_11comp_targetILNS1_3genE5ELNS1_11target_archE942ELNS1_3gpuE9ELNS1_3repE0EEENS1_30default_config_static_selectorELNS0_4arch9wavefront6targetE0EEEvS12_,"axG",@progbits,_ZN7rocprim17ROCPRIM_400000_NS6detail17trampoline_kernelINS0_13select_configILj256ELj13ELNS0_17block_load_methodE3ELS4_3ELS4_3ELNS0_20block_scan_algorithmE0ELj4294967295EEENS1_25partition_config_selectorILNS1_17partition_subalgoE4EjNS0_10empty_typeEbEEZZNS1_14partition_implILS8_4ELb0ES6_15HIP_vector_typeIjLj2EENS0_17counting_iteratorIjlEEPS9_SG_NS0_5tupleIJPjSI_NS0_16reverse_iteratorISI_EEEEENSH_IJSG_SG_SG_EEES9_SI_JZNS1_25segmented_radix_sort_implINS0_14default_configELb1EPKsPsPKlPlN2at6native12_GLOBAL__N_18offset_tEEE10hipError_tPvRmT1_PNSt15iterator_traitsIS12_E10value_typeET2_T3_PNS13_IS18_E10value_typeET4_jRbjT5_S1E_jjP12ihipStream_tbEUljE_ZNSN_ISO_Lb1ESQ_SR_ST_SU_SY_EESZ_S10_S11_S12_S16_S17_S18_S1B_S1C_jS1D_jS1E_S1E_jjS1G_bEUljE0_EEESZ_S10_S11_S18_S1C_S1E_T6_T7_T9_mT8_S1G_bDpT10_ENKUlT_T0_E_clISt17integral_constantIbLb0EES1U_EEDaS1P_S1Q_EUlS1P_E_NS1_11comp_targetILNS1_3genE5ELNS1_11target_archE942ELNS1_3gpuE9ELNS1_3repE0EEENS1_30default_config_static_selectorELNS0_4arch9wavefront6targetE0EEEvS12_,comdat
	.globl	_ZN7rocprim17ROCPRIM_400000_NS6detail17trampoline_kernelINS0_13select_configILj256ELj13ELNS0_17block_load_methodE3ELS4_3ELS4_3ELNS0_20block_scan_algorithmE0ELj4294967295EEENS1_25partition_config_selectorILNS1_17partition_subalgoE4EjNS0_10empty_typeEbEEZZNS1_14partition_implILS8_4ELb0ES6_15HIP_vector_typeIjLj2EENS0_17counting_iteratorIjlEEPS9_SG_NS0_5tupleIJPjSI_NS0_16reverse_iteratorISI_EEEEENSH_IJSG_SG_SG_EEES9_SI_JZNS1_25segmented_radix_sort_implINS0_14default_configELb1EPKsPsPKlPlN2at6native12_GLOBAL__N_18offset_tEEE10hipError_tPvRmT1_PNSt15iterator_traitsIS12_E10value_typeET2_T3_PNS13_IS18_E10value_typeET4_jRbjT5_S1E_jjP12ihipStream_tbEUljE_ZNSN_ISO_Lb1ESQ_SR_ST_SU_SY_EESZ_S10_S11_S12_S16_S17_S18_S1B_S1C_jS1D_jS1E_S1E_jjS1G_bEUljE0_EEESZ_S10_S11_S18_S1C_S1E_T6_T7_T9_mT8_S1G_bDpT10_ENKUlT_T0_E_clISt17integral_constantIbLb0EES1U_EEDaS1P_S1Q_EUlS1P_E_NS1_11comp_targetILNS1_3genE5ELNS1_11target_archE942ELNS1_3gpuE9ELNS1_3repE0EEENS1_30default_config_static_selectorELNS0_4arch9wavefront6targetE0EEEvS12_ ; -- Begin function _ZN7rocprim17ROCPRIM_400000_NS6detail17trampoline_kernelINS0_13select_configILj256ELj13ELNS0_17block_load_methodE3ELS4_3ELS4_3ELNS0_20block_scan_algorithmE0ELj4294967295EEENS1_25partition_config_selectorILNS1_17partition_subalgoE4EjNS0_10empty_typeEbEEZZNS1_14partition_implILS8_4ELb0ES6_15HIP_vector_typeIjLj2EENS0_17counting_iteratorIjlEEPS9_SG_NS0_5tupleIJPjSI_NS0_16reverse_iteratorISI_EEEEENSH_IJSG_SG_SG_EEES9_SI_JZNS1_25segmented_radix_sort_implINS0_14default_configELb1EPKsPsPKlPlN2at6native12_GLOBAL__N_18offset_tEEE10hipError_tPvRmT1_PNSt15iterator_traitsIS12_E10value_typeET2_T3_PNS13_IS18_E10value_typeET4_jRbjT5_S1E_jjP12ihipStream_tbEUljE_ZNSN_ISO_Lb1ESQ_SR_ST_SU_SY_EESZ_S10_S11_S12_S16_S17_S18_S1B_S1C_jS1D_jS1E_S1E_jjS1G_bEUljE0_EEESZ_S10_S11_S18_S1C_S1E_T6_T7_T9_mT8_S1G_bDpT10_ENKUlT_T0_E_clISt17integral_constantIbLb0EES1U_EEDaS1P_S1Q_EUlS1P_E_NS1_11comp_targetILNS1_3genE5ELNS1_11target_archE942ELNS1_3gpuE9ELNS1_3repE0EEENS1_30default_config_static_selectorELNS0_4arch9wavefront6targetE0EEEvS12_
	.p2align	8
	.type	_ZN7rocprim17ROCPRIM_400000_NS6detail17trampoline_kernelINS0_13select_configILj256ELj13ELNS0_17block_load_methodE3ELS4_3ELS4_3ELNS0_20block_scan_algorithmE0ELj4294967295EEENS1_25partition_config_selectorILNS1_17partition_subalgoE4EjNS0_10empty_typeEbEEZZNS1_14partition_implILS8_4ELb0ES6_15HIP_vector_typeIjLj2EENS0_17counting_iteratorIjlEEPS9_SG_NS0_5tupleIJPjSI_NS0_16reverse_iteratorISI_EEEEENSH_IJSG_SG_SG_EEES9_SI_JZNS1_25segmented_radix_sort_implINS0_14default_configELb1EPKsPsPKlPlN2at6native12_GLOBAL__N_18offset_tEEE10hipError_tPvRmT1_PNSt15iterator_traitsIS12_E10value_typeET2_T3_PNS13_IS18_E10value_typeET4_jRbjT5_S1E_jjP12ihipStream_tbEUljE_ZNSN_ISO_Lb1ESQ_SR_ST_SU_SY_EESZ_S10_S11_S12_S16_S17_S18_S1B_S1C_jS1D_jS1E_S1E_jjS1G_bEUljE0_EEESZ_S10_S11_S18_S1C_S1E_T6_T7_T9_mT8_S1G_bDpT10_ENKUlT_T0_E_clISt17integral_constantIbLb0EES1U_EEDaS1P_S1Q_EUlS1P_E_NS1_11comp_targetILNS1_3genE5ELNS1_11target_archE942ELNS1_3gpuE9ELNS1_3repE0EEENS1_30default_config_static_selectorELNS0_4arch9wavefront6targetE0EEEvS12_,@function
_ZN7rocprim17ROCPRIM_400000_NS6detail17trampoline_kernelINS0_13select_configILj256ELj13ELNS0_17block_load_methodE3ELS4_3ELS4_3ELNS0_20block_scan_algorithmE0ELj4294967295EEENS1_25partition_config_selectorILNS1_17partition_subalgoE4EjNS0_10empty_typeEbEEZZNS1_14partition_implILS8_4ELb0ES6_15HIP_vector_typeIjLj2EENS0_17counting_iteratorIjlEEPS9_SG_NS0_5tupleIJPjSI_NS0_16reverse_iteratorISI_EEEEENSH_IJSG_SG_SG_EEES9_SI_JZNS1_25segmented_radix_sort_implINS0_14default_configELb1EPKsPsPKlPlN2at6native12_GLOBAL__N_18offset_tEEE10hipError_tPvRmT1_PNSt15iterator_traitsIS12_E10value_typeET2_T3_PNS13_IS18_E10value_typeET4_jRbjT5_S1E_jjP12ihipStream_tbEUljE_ZNSN_ISO_Lb1ESQ_SR_ST_SU_SY_EESZ_S10_S11_S12_S16_S17_S18_S1B_S1C_jS1D_jS1E_S1E_jjS1G_bEUljE0_EEESZ_S10_S11_S18_S1C_S1E_T6_T7_T9_mT8_S1G_bDpT10_ENKUlT_T0_E_clISt17integral_constantIbLb0EES1U_EEDaS1P_S1Q_EUlS1P_E_NS1_11comp_targetILNS1_3genE5ELNS1_11target_archE942ELNS1_3gpuE9ELNS1_3repE0EEENS1_30default_config_static_selectorELNS0_4arch9wavefront6targetE0EEEvS12_: ; @_ZN7rocprim17ROCPRIM_400000_NS6detail17trampoline_kernelINS0_13select_configILj256ELj13ELNS0_17block_load_methodE3ELS4_3ELS4_3ELNS0_20block_scan_algorithmE0ELj4294967295EEENS1_25partition_config_selectorILNS1_17partition_subalgoE4EjNS0_10empty_typeEbEEZZNS1_14partition_implILS8_4ELb0ES6_15HIP_vector_typeIjLj2EENS0_17counting_iteratorIjlEEPS9_SG_NS0_5tupleIJPjSI_NS0_16reverse_iteratorISI_EEEEENSH_IJSG_SG_SG_EEES9_SI_JZNS1_25segmented_radix_sort_implINS0_14default_configELb1EPKsPsPKlPlN2at6native12_GLOBAL__N_18offset_tEEE10hipError_tPvRmT1_PNSt15iterator_traitsIS12_E10value_typeET2_T3_PNS13_IS18_E10value_typeET4_jRbjT5_S1E_jjP12ihipStream_tbEUljE_ZNSN_ISO_Lb1ESQ_SR_ST_SU_SY_EESZ_S10_S11_S12_S16_S17_S18_S1B_S1C_jS1D_jS1E_S1E_jjS1G_bEUljE0_EEESZ_S10_S11_S18_S1C_S1E_T6_T7_T9_mT8_S1G_bDpT10_ENKUlT_T0_E_clISt17integral_constantIbLb0EES1U_EEDaS1P_S1Q_EUlS1P_E_NS1_11comp_targetILNS1_3genE5ELNS1_11target_archE942ELNS1_3gpuE9ELNS1_3repE0EEENS1_30default_config_static_selectorELNS0_4arch9wavefront6targetE0EEEvS12_
; %bb.0:
	.section	.rodata,"a",@progbits
	.p2align	6, 0x0
	.amdhsa_kernel _ZN7rocprim17ROCPRIM_400000_NS6detail17trampoline_kernelINS0_13select_configILj256ELj13ELNS0_17block_load_methodE3ELS4_3ELS4_3ELNS0_20block_scan_algorithmE0ELj4294967295EEENS1_25partition_config_selectorILNS1_17partition_subalgoE4EjNS0_10empty_typeEbEEZZNS1_14partition_implILS8_4ELb0ES6_15HIP_vector_typeIjLj2EENS0_17counting_iteratorIjlEEPS9_SG_NS0_5tupleIJPjSI_NS0_16reverse_iteratorISI_EEEEENSH_IJSG_SG_SG_EEES9_SI_JZNS1_25segmented_radix_sort_implINS0_14default_configELb1EPKsPsPKlPlN2at6native12_GLOBAL__N_18offset_tEEE10hipError_tPvRmT1_PNSt15iterator_traitsIS12_E10value_typeET2_T3_PNS13_IS18_E10value_typeET4_jRbjT5_S1E_jjP12ihipStream_tbEUljE_ZNSN_ISO_Lb1ESQ_SR_ST_SU_SY_EESZ_S10_S11_S12_S16_S17_S18_S1B_S1C_jS1D_jS1E_S1E_jjS1G_bEUljE0_EEESZ_S10_S11_S18_S1C_S1E_T6_T7_T9_mT8_S1G_bDpT10_ENKUlT_T0_E_clISt17integral_constantIbLb0EES1U_EEDaS1P_S1Q_EUlS1P_E_NS1_11comp_targetILNS1_3genE5ELNS1_11target_archE942ELNS1_3gpuE9ELNS1_3repE0EEENS1_30default_config_static_selectorELNS0_4arch9wavefront6targetE0EEEvS12_
		.amdhsa_group_segment_fixed_size 0
		.amdhsa_private_segment_fixed_size 0
		.amdhsa_kernarg_size 176
		.amdhsa_user_sgpr_count 2
		.amdhsa_user_sgpr_dispatch_ptr 0
		.amdhsa_user_sgpr_queue_ptr 0
		.amdhsa_user_sgpr_kernarg_segment_ptr 1
		.amdhsa_user_sgpr_dispatch_id 0
		.amdhsa_user_sgpr_private_segment_size 0
		.amdhsa_wavefront_size32 1
		.amdhsa_uses_dynamic_stack 0
		.amdhsa_enable_private_segment 0
		.amdhsa_system_sgpr_workgroup_id_x 1
		.amdhsa_system_sgpr_workgroup_id_y 0
		.amdhsa_system_sgpr_workgroup_id_z 0
		.amdhsa_system_sgpr_workgroup_info 0
		.amdhsa_system_vgpr_workitem_id 0
		.amdhsa_next_free_vgpr 1
		.amdhsa_next_free_sgpr 1
		.amdhsa_reserve_vcc 0
		.amdhsa_float_round_mode_32 0
		.amdhsa_float_round_mode_16_64 0
		.amdhsa_float_denorm_mode_32 3
		.amdhsa_float_denorm_mode_16_64 3
		.amdhsa_fp16_overflow 0
		.amdhsa_workgroup_processor_mode 1
		.amdhsa_memory_ordered 1
		.amdhsa_forward_progress 1
		.amdhsa_inst_pref_size 0
		.amdhsa_round_robin_scheduling 0
		.amdhsa_exception_fp_ieee_invalid_op 0
		.amdhsa_exception_fp_denorm_src 0
		.amdhsa_exception_fp_ieee_div_zero 0
		.amdhsa_exception_fp_ieee_overflow 0
		.amdhsa_exception_fp_ieee_underflow 0
		.amdhsa_exception_fp_ieee_inexact 0
		.amdhsa_exception_int_div_zero 0
	.end_amdhsa_kernel
	.section	.text._ZN7rocprim17ROCPRIM_400000_NS6detail17trampoline_kernelINS0_13select_configILj256ELj13ELNS0_17block_load_methodE3ELS4_3ELS4_3ELNS0_20block_scan_algorithmE0ELj4294967295EEENS1_25partition_config_selectorILNS1_17partition_subalgoE4EjNS0_10empty_typeEbEEZZNS1_14partition_implILS8_4ELb0ES6_15HIP_vector_typeIjLj2EENS0_17counting_iteratorIjlEEPS9_SG_NS0_5tupleIJPjSI_NS0_16reverse_iteratorISI_EEEEENSH_IJSG_SG_SG_EEES9_SI_JZNS1_25segmented_radix_sort_implINS0_14default_configELb1EPKsPsPKlPlN2at6native12_GLOBAL__N_18offset_tEEE10hipError_tPvRmT1_PNSt15iterator_traitsIS12_E10value_typeET2_T3_PNS13_IS18_E10value_typeET4_jRbjT5_S1E_jjP12ihipStream_tbEUljE_ZNSN_ISO_Lb1ESQ_SR_ST_SU_SY_EESZ_S10_S11_S12_S16_S17_S18_S1B_S1C_jS1D_jS1E_S1E_jjS1G_bEUljE0_EEESZ_S10_S11_S18_S1C_S1E_T6_T7_T9_mT8_S1G_bDpT10_ENKUlT_T0_E_clISt17integral_constantIbLb0EES1U_EEDaS1P_S1Q_EUlS1P_E_NS1_11comp_targetILNS1_3genE5ELNS1_11target_archE942ELNS1_3gpuE9ELNS1_3repE0EEENS1_30default_config_static_selectorELNS0_4arch9wavefront6targetE0EEEvS12_,"axG",@progbits,_ZN7rocprim17ROCPRIM_400000_NS6detail17trampoline_kernelINS0_13select_configILj256ELj13ELNS0_17block_load_methodE3ELS4_3ELS4_3ELNS0_20block_scan_algorithmE0ELj4294967295EEENS1_25partition_config_selectorILNS1_17partition_subalgoE4EjNS0_10empty_typeEbEEZZNS1_14partition_implILS8_4ELb0ES6_15HIP_vector_typeIjLj2EENS0_17counting_iteratorIjlEEPS9_SG_NS0_5tupleIJPjSI_NS0_16reverse_iteratorISI_EEEEENSH_IJSG_SG_SG_EEES9_SI_JZNS1_25segmented_radix_sort_implINS0_14default_configELb1EPKsPsPKlPlN2at6native12_GLOBAL__N_18offset_tEEE10hipError_tPvRmT1_PNSt15iterator_traitsIS12_E10value_typeET2_T3_PNS13_IS18_E10value_typeET4_jRbjT5_S1E_jjP12ihipStream_tbEUljE_ZNSN_ISO_Lb1ESQ_SR_ST_SU_SY_EESZ_S10_S11_S12_S16_S17_S18_S1B_S1C_jS1D_jS1E_S1E_jjS1G_bEUljE0_EEESZ_S10_S11_S18_S1C_S1E_T6_T7_T9_mT8_S1G_bDpT10_ENKUlT_T0_E_clISt17integral_constantIbLb0EES1U_EEDaS1P_S1Q_EUlS1P_E_NS1_11comp_targetILNS1_3genE5ELNS1_11target_archE942ELNS1_3gpuE9ELNS1_3repE0EEENS1_30default_config_static_selectorELNS0_4arch9wavefront6targetE0EEEvS12_,comdat
.Lfunc_end848:
	.size	_ZN7rocprim17ROCPRIM_400000_NS6detail17trampoline_kernelINS0_13select_configILj256ELj13ELNS0_17block_load_methodE3ELS4_3ELS4_3ELNS0_20block_scan_algorithmE0ELj4294967295EEENS1_25partition_config_selectorILNS1_17partition_subalgoE4EjNS0_10empty_typeEbEEZZNS1_14partition_implILS8_4ELb0ES6_15HIP_vector_typeIjLj2EENS0_17counting_iteratorIjlEEPS9_SG_NS0_5tupleIJPjSI_NS0_16reverse_iteratorISI_EEEEENSH_IJSG_SG_SG_EEES9_SI_JZNS1_25segmented_radix_sort_implINS0_14default_configELb1EPKsPsPKlPlN2at6native12_GLOBAL__N_18offset_tEEE10hipError_tPvRmT1_PNSt15iterator_traitsIS12_E10value_typeET2_T3_PNS13_IS18_E10value_typeET4_jRbjT5_S1E_jjP12ihipStream_tbEUljE_ZNSN_ISO_Lb1ESQ_SR_ST_SU_SY_EESZ_S10_S11_S12_S16_S17_S18_S1B_S1C_jS1D_jS1E_S1E_jjS1G_bEUljE0_EEESZ_S10_S11_S18_S1C_S1E_T6_T7_T9_mT8_S1G_bDpT10_ENKUlT_T0_E_clISt17integral_constantIbLb0EES1U_EEDaS1P_S1Q_EUlS1P_E_NS1_11comp_targetILNS1_3genE5ELNS1_11target_archE942ELNS1_3gpuE9ELNS1_3repE0EEENS1_30default_config_static_selectorELNS0_4arch9wavefront6targetE0EEEvS12_, .Lfunc_end848-_ZN7rocprim17ROCPRIM_400000_NS6detail17trampoline_kernelINS0_13select_configILj256ELj13ELNS0_17block_load_methodE3ELS4_3ELS4_3ELNS0_20block_scan_algorithmE0ELj4294967295EEENS1_25partition_config_selectorILNS1_17partition_subalgoE4EjNS0_10empty_typeEbEEZZNS1_14partition_implILS8_4ELb0ES6_15HIP_vector_typeIjLj2EENS0_17counting_iteratorIjlEEPS9_SG_NS0_5tupleIJPjSI_NS0_16reverse_iteratorISI_EEEEENSH_IJSG_SG_SG_EEES9_SI_JZNS1_25segmented_radix_sort_implINS0_14default_configELb1EPKsPsPKlPlN2at6native12_GLOBAL__N_18offset_tEEE10hipError_tPvRmT1_PNSt15iterator_traitsIS12_E10value_typeET2_T3_PNS13_IS18_E10value_typeET4_jRbjT5_S1E_jjP12ihipStream_tbEUljE_ZNSN_ISO_Lb1ESQ_SR_ST_SU_SY_EESZ_S10_S11_S12_S16_S17_S18_S1B_S1C_jS1D_jS1E_S1E_jjS1G_bEUljE0_EEESZ_S10_S11_S18_S1C_S1E_T6_T7_T9_mT8_S1G_bDpT10_ENKUlT_T0_E_clISt17integral_constantIbLb0EES1U_EEDaS1P_S1Q_EUlS1P_E_NS1_11comp_targetILNS1_3genE5ELNS1_11target_archE942ELNS1_3gpuE9ELNS1_3repE0EEENS1_30default_config_static_selectorELNS0_4arch9wavefront6targetE0EEEvS12_
                                        ; -- End function
	.set _ZN7rocprim17ROCPRIM_400000_NS6detail17trampoline_kernelINS0_13select_configILj256ELj13ELNS0_17block_load_methodE3ELS4_3ELS4_3ELNS0_20block_scan_algorithmE0ELj4294967295EEENS1_25partition_config_selectorILNS1_17partition_subalgoE4EjNS0_10empty_typeEbEEZZNS1_14partition_implILS8_4ELb0ES6_15HIP_vector_typeIjLj2EENS0_17counting_iteratorIjlEEPS9_SG_NS0_5tupleIJPjSI_NS0_16reverse_iteratorISI_EEEEENSH_IJSG_SG_SG_EEES9_SI_JZNS1_25segmented_radix_sort_implINS0_14default_configELb1EPKsPsPKlPlN2at6native12_GLOBAL__N_18offset_tEEE10hipError_tPvRmT1_PNSt15iterator_traitsIS12_E10value_typeET2_T3_PNS13_IS18_E10value_typeET4_jRbjT5_S1E_jjP12ihipStream_tbEUljE_ZNSN_ISO_Lb1ESQ_SR_ST_SU_SY_EESZ_S10_S11_S12_S16_S17_S18_S1B_S1C_jS1D_jS1E_S1E_jjS1G_bEUljE0_EEESZ_S10_S11_S18_S1C_S1E_T6_T7_T9_mT8_S1G_bDpT10_ENKUlT_T0_E_clISt17integral_constantIbLb0EES1U_EEDaS1P_S1Q_EUlS1P_E_NS1_11comp_targetILNS1_3genE5ELNS1_11target_archE942ELNS1_3gpuE9ELNS1_3repE0EEENS1_30default_config_static_selectorELNS0_4arch9wavefront6targetE0EEEvS12_.num_vgpr, 0
	.set _ZN7rocprim17ROCPRIM_400000_NS6detail17trampoline_kernelINS0_13select_configILj256ELj13ELNS0_17block_load_methodE3ELS4_3ELS4_3ELNS0_20block_scan_algorithmE0ELj4294967295EEENS1_25partition_config_selectorILNS1_17partition_subalgoE4EjNS0_10empty_typeEbEEZZNS1_14partition_implILS8_4ELb0ES6_15HIP_vector_typeIjLj2EENS0_17counting_iteratorIjlEEPS9_SG_NS0_5tupleIJPjSI_NS0_16reverse_iteratorISI_EEEEENSH_IJSG_SG_SG_EEES9_SI_JZNS1_25segmented_radix_sort_implINS0_14default_configELb1EPKsPsPKlPlN2at6native12_GLOBAL__N_18offset_tEEE10hipError_tPvRmT1_PNSt15iterator_traitsIS12_E10value_typeET2_T3_PNS13_IS18_E10value_typeET4_jRbjT5_S1E_jjP12ihipStream_tbEUljE_ZNSN_ISO_Lb1ESQ_SR_ST_SU_SY_EESZ_S10_S11_S12_S16_S17_S18_S1B_S1C_jS1D_jS1E_S1E_jjS1G_bEUljE0_EEESZ_S10_S11_S18_S1C_S1E_T6_T7_T9_mT8_S1G_bDpT10_ENKUlT_T0_E_clISt17integral_constantIbLb0EES1U_EEDaS1P_S1Q_EUlS1P_E_NS1_11comp_targetILNS1_3genE5ELNS1_11target_archE942ELNS1_3gpuE9ELNS1_3repE0EEENS1_30default_config_static_selectorELNS0_4arch9wavefront6targetE0EEEvS12_.num_agpr, 0
	.set _ZN7rocprim17ROCPRIM_400000_NS6detail17trampoline_kernelINS0_13select_configILj256ELj13ELNS0_17block_load_methodE3ELS4_3ELS4_3ELNS0_20block_scan_algorithmE0ELj4294967295EEENS1_25partition_config_selectorILNS1_17partition_subalgoE4EjNS0_10empty_typeEbEEZZNS1_14partition_implILS8_4ELb0ES6_15HIP_vector_typeIjLj2EENS0_17counting_iteratorIjlEEPS9_SG_NS0_5tupleIJPjSI_NS0_16reverse_iteratorISI_EEEEENSH_IJSG_SG_SG_EEES9_SI_JZNS1_25segmented_radix_sort_implINS0_14default_configELb1EPKsPsPKlPlN2at6native12_GLOBAL__N_18offset_tEEE10hipError_tPvRmT1_PNSt15iterator_traitsIS12_E10value_typeET2_T3_PNS13_IS18_E10value_typeET4_jRbjT5_S1E_jjP12ihipStream_tbEUljE_ZNSN_ISO_Lb1ESQ_SR_ST_SU_SY_EESZ_S10_S11_S12_S16_S17_S18_S1B_S1C_jS1D_jS1E_S1E_jjS1G_bEUljE0_EEESZ_S10_S11_S18_S1C_S1E_T6_T7_T9_mT8_S1G_bDpT10_ENKUlT_T0_E_clISt17integral_constantIbLb0EES1U_EEDaS1P_S1Q_EUlS1P_E_NS1_11comp_targetILNS1_3genE5ELNS1_11target_archE942ELNS1_3gpuE9ELNS1_3repE0EEENS1_30default_config_static_selectorELNS0_4arch9wavefront6targetE0EEEvS12_.numbered_sgpr, 0
	.set _ZN7rocprim17ROCPRIM_400000_NS6detail17trampoline_kernelINS0_13select_configILj256ELj13ELNS0_17block_load_methodE3ELS4_3ELS4_3ELNS0_20block_scan_algorithmE0ELj4294967295EEENS1_25partition_config_selectorILNS1_17partition_subalgoE4EjNS0_10empty_typeEbEEZZNS1_14partition_implILS8_4ELb0ES6_15HIP_vector_typeIjLj2EENS0_17counting_iteratorIjlEEPS9_SG_NS0_5tupleIJPjSI_NS0_16reverse_iteratorISI_EEEEENSH_IJSG_SG_SG_EEES9_SI_JZNS1_25segmented_radix_sort_implINS0_14default_configELb1EPKsPsPKlPlN2at6native12_GLOBAL__N_18offset_tEEE10hipError_tPvRmT1_PNSt15iterator_traitsIS12_E10value_typeET2_T3_PNS13_IS18_E10value_typeET4_jRbjT5_S1E_jjP12ihipStream_tbEUljE_ZNSN_ISO_Lb1ESQ_SR_ST_SU_SY_EESZ_S10_S11_S12_S16_S17_S18_S1B_S1C_jS1D_jS1E_S1E_jjS1G_bEUljE0_EEESZ_S10_S11_S18_S1C_S1E_T6_T7_T9_mT8_S1G_bDpT10_ENKUlT_T0_E_clISt17integral_constantIbLb0EES1U_EEDaS1P_S1Q_EUlS1P_E_NS1_11comp_targetILNS1_3genE5ELNS1_11target_archE942ELNS1_3gpuE9ELNS1_3repE0EEENS1_30default_config_static_selectorELNS0_4arch9wavefront6targetE0EEEvS12_.num_named_barrier, 0
	.set _ZN7rocprim17ROCPRIM_400000_NS6detail17trampoline_kernelINS0_13select_configILj256ELj13ELNS0_17block_load_methodE3ELS4_3ELS4_3ELNS0_20block_scan_algorithmE0ELj4294967295EEENS1_25partition_config_selectorILNS1_17partition_subalgoE4EjNS0_10empty_typeEbEEZZNS1_14partition_implILS8_4ELb0ES6_15HIP_vector_typeIjLj2EENS0_17counting_iteratorIjlEEPS9_SG_NS0_5tupleIJPjSI_NS0_16reverse_iteratorISI_EEEEENSH_IJSG_SG_SG_EEES9_SI_JZNS1_25segmented_radix_sort_implINS0_14default_configELb1EPKsPsPKlPlN2at6native12_GLOBAL__N_18offset_tEEE10hipError_tPvRmT1_PNSt15iterator_traitsIS12_E10value_typeET2_T3_PNS13_IS18_E10value_typeET4_jRbjT5_S1E_jjP12ihipStream_tbEUljE_ZNSN_ISO_Lb1ESQ_SR_ST_SU_SY_EESZ_S10_S11_S12_S16_S17_S18_S1B_S1C_jS1D_jS1E_S1E_jjS1G_bEUljE0_EEESZ_S10_S11_S18_S1C_S1E_T6_T7_T9_mT8_S1G_bDpT10_ENKUlT_T0_E_clISt17integral_constantIbLb0EES1U_EEDaS1P_S1Q_EUlS1P_E_NS1_11comp_targetILNS1_3genE5ELNS1_11target_archE942ELNS1_3gpuE9ELNS1_3repE0EEENS1_30default_config_static_selectorELNS0_4arch9wavefront6targetE0EEEvS12_.private_seg_size, 0
	.set _ZN7rocprim17ROCPRIM_400000_NS6detail17trampoline_kernelINS0_13select_configILj256ELj13ELNS0_17block_load_methodE3ELS4_3ELS4_3ELNS0_20block_scan_algorithmE0ELj4294967295EEENS1_25partition_config_selectorILNS1_17partition_subalgoE4EjNS0_10empty_typeEbEEZZNS1_14partition_implILS8_4ELb0ES6_15HIP_vector_typeIjLj2EENS0_17counting_iteratorIjlEEPS9_SG_NS0_5tupleIJPjSI_NS0_16reverse_iteratorISI_EEEEENSH_IJSG_SG_SG_EEES9_SI_JZNS1_25segmented_radix_sort_implINS0_14default_configELb1EPKsPsPKlPlN2at6native12_GLOBAL__N_18offset_tEEE10hipError_tPvRmT1_PNSt15iterator_traitsIS12_E10value_typeET2_T3_PNS13_IS18_E10value_typeET4_jRbjT5_S1E_jjP12ihipStream_tbEUljE_ZNSN_ISO_Lb1ESQ_SR_ST_SU_SY_EESZ_S10_S11_S12_S16_S17_S18_S1B_S1C_jS1D_jS1E_S1E_jjS1G_bEUljE0_EEESZ_S10_S11_S18_S1C_S1E_T6_T7_T9_mT8_S1G_bDpT10_ENKUlT_T0_E_clISt17integral_constantIbLb0EES1U_EEDaS1P_S1Q_EUlS1P_E_NS1_11comp_targetILNS1_3genE5ELNS1_11target_archE942ELNS1_3gpuE9ELNS1_3repE0EEENS1_30default_config_static_selectorELNS0_4arch9wavefront6targetE0EEEvS12_.uses_vcc, 0
	.set _ZN7rocprim17ROCPRIM_400000_NS6detail17trampoline_kernelINS0_13select_configILj256ELj13ELNS0_17block_load_methodE3ELS4_3ELS4_3ELNS0_20block_scan_algorithmE0ELj4294967295EEENS1_25partition_config_selectorILNS1_17partition_subalgoE4EjNS0_10empty_typeEbEEZZNS1_14partition_implILS8_4ELb0ES6_15HIP_vector_typeIjLj2EENS0_17counting_iteratorIjlEEPS9_SG_NS0_5tupleIJPjSI_NS0_16reverse_iteratorISI_EEEEENSH_IJSG_SG_SG_EEES9_SI_JZNS1_25segmented_radix_sort_implINS0_14default_configELb1EPKsPsPKlPlN2at6native12_GLOBAL__N_18offset_tEEE10hipError_tPvRmT1_PNSt15iterator_traitsIS12_E10value_typeET2_T3_PNS13_IS18_E10value_typeET4_jRbjT5_S1E_jjP12ihipStream_tbEUljE_ZNSN_ISO_Lb1ESQ_SR_ST_SU_SY_EESZ_S10_S11_S12_S16_S17_S18_S1B_S1C_jS1D_jS1E_S1E_jjS1G_bEUljE0_EEESZ_S10_S11_S18_S1C_S1E_T6_T7_T9_mT8_S1G_bDpT10_ENKUlT_T0_E_clISt17integral_constantIbLb0EES1U_EEDaS1P_S1Q_EUlS1P_E_NS1_11comp_targetILNS1_3genE5ELNS1_11target_archE942ELNS1_3gpuE9ELNS1_3repE0EEENS1_30default_config_static_selectorELNS0_4arch9wavefront6targetE0EEEvS12_.uses_flat_scratch, 0
	.set _ZN7rocprim17ROCPRIM_400000_NS6detail17trampoline_kernelINS0_13select_configILj256ELj13ELNS0_17block_load_methodE3ELS4_3ELS4_3ELNS0_20block_scan_algorithmE0ELj4294967295EEENS1_25partition_config_selectorILNS1_17partition_subalgoE4EjNS0_10empty_typeEbEEZZNS1_14partition_implILS8_4ELb0ES6_15HIP_vector_typeIjLj2EENS0_17counting_iteratorIjlEEPS9_SG_NS0_5tupleIJPjSI_NS0_16reverse_iteratorISI_EEEEENSH_IJSG_SG_SG_EEES9_SI_JZNS1_25segmented_radix_sort_implINS0_14default_configELb1EPKsPsPKlPlN2at6native12_GLOBAL__N_18offset_tEEE10hipError_tPvRmT1_PNSt15iterator_traitsIS12_E10value_typeET2_T3_PNS13_IS18_E10value_typeET4_jRbjT5_S1E_jjP12ihipStream_tbEUljE_ZNSN_ISO_Lb1ESQ_SR_ST_SU_SY_EESZ_S10_S11_S12_S16_S17_S18_S1B_S1C_jS1D_jS1E_S1E_jjS1G_bEUljE0_EEESZ_S10_S11_S18_S1C_S1E_T6_T7_T9_mT8_S1G_bDpT10_ENKUlT_T0_E_clISt17integral_constantIbLb0EES1U_EEDaS1P_S1Q_EUlS1P_E_NS1_11comp_targetILNS1_3genE5ELNS1_11target_archE942ELNS1_3gpuE9ELNS1_3repE0EEENS1_30default_config_static_selectorELNS0_4arch9wavefront6targetE0EEEvS12_.has_dyn_sized_stack, 0
	.set _ZN7rocprim17ROCPRIM_400000_NS6detail17trampoline_kernelINS0_13select_configILj256ELj13ELNS0_17block_load_methodE3ELS4_3ELS4_3ELNS0_20block_scan_algorithmE0ELj4294967295EEENS1_25partition_config_selectorILNS1_17partition_subalgoE4EjNS0_10empty_typeEbEEZZNS1_14partition_implILS8_4ELb0ES6_15HIP_vector_typeIjLj2EENS0_17counting_iteratorIjlEEPS9_SG_NS0_5tupleIJPjSI_NS0_16reverse_iteratorISI_EEEEENSH_IJSG_SG_SG_EEES9_SI_JZNS1_25segmented_radix_sort_implINS0_14default_configELb1EPKsPsPKlPlN2at6native12_GLOBAL__N_18offset_tEEE10hipError_tPvRmT1_PNSt15iterator_traitsIS12_E10value_typeET2_T3_PNS13_IS18_E10value_typeET4_jRbjT5_S1E_jjP12ihipStream_tbEUljE_ZNSN_ISO_Lb1ESQ_SR_ST_SU_SY_EESZ_S10_S11_S12_S16_S17_S18_S1B_S1C_jS1D_jS1E_S1E_jjS1G_bEUljE0_EEESZ_S10_S11_S18_S1C_S1E_T6_T7_T9_mT8_S1G_bDpT10_ENKUlT_T0_E_clISt17integral_constantIbLb0EES1U_EEDaS1P_S1Q_EUlS1P_E_NS1_11comp_targetILNS1_3genE5ELNS1_11target_archE942ELNS1_3gpuE9ELNS1_3repE0EEENS1_30default_config_static_selectorELNS0_4arch9wavefront6targetE0EEEvS12_.has_recursion, 0
	.set _ZN7rocprim17ROCPRIM_400000_NS6detail17trampoline_kernelINS0_13select_configILj256ELj13ELNS0_17block_load_methodE3ELS4_3ELS4_3ELNS0_20block_scan_algorithmE0ELj4294967295EEENS1_25partition_config_selectorILNS1_17partition_subalgoE4EjNS0_10empty_typeEbEEZZNS1_14partition_implILS8_4ELb0ES6_15HIP_vector_typeIjLj2EENS0_17counting_iteratorIjlEEPS9_SG_NS0_5tupleIJPjSI_NS0_16reverse_iteratorISI_EEEEENSH_IJSG_SG_SG_EEES9_SI_JZNS1_25segmented_radix_sort_implINS0_14default_configELb1EPKsPsPKlPlN2at6native12_GLOBAL__N_18offset_tEEE10hipError_tPvRmT1_PNSt15iterator_traitsIS12_E10value_typeET2_T3_PNS13_IS18_E10value_typeET4_jRbjT5_S1E_jjP12ihipStream_tbEUljE_ZNSN_ISO_Lb1ESQ_SR_ST_SU_SY_EESZ_S10_S11_S12_S16_S17_S18_S1B_S1C_jS1D_jS1E_S1E_jjS1G_bEUljE0_EEESZ_S10_S11_S18_S1C_S1E_T6_T7_T9_mT8_S1G_bDpT10_ENKUlT_T0_E_clISt17integral_constantIbLb0EES1U_EEDaS1P_S1Q_EUlS1P_E_NS1_11comp_targetILNS1_3genE5ELNS1_11target_archE942ELNS1_3gpuE9ELNS1_3repE0EEENS1_30default_config_static_selectorELNS0_4arch9wavefront6targetE0EEEvS12_.has_indirect_call, 0
	.section	.AMDGPU.csdata,"",@progbits
; Kernel info:
; codeLenInByte = 0
; TotalNumSgprs: 0
; NumVgprs: 0
; ScratchSize: 0
; MemoryBound: 0
; FloatMode: 240
; IeeeMode: 1
; LDSByteSize: 0 bytes/workgroup (compile time only)
; SGPRBlocks: 0
; VGPRBlocks: 0
; NumSGPRsForWavesPerEU: 1
; NumVGPRsForWavesPerEU: 1
; Occupancy: 16
; WaveLimiterHint : 0
; COMPUTE_PGM_RSRC2:SCRATCH_EN: 0
; COMPUTE_PGM_RSRC2:USER_SGPR: 2
; COMPUTE_PGM_RSRC2:TRAP_HANDLER: 0
; COMPUTE_PGM_RSRC2:TGID_X_EN: 1
; COMPUTE_PGM_RSRC2:TGID_Y_EN: 0
; COMPUTE_PGM_RSRC2:TGID_Z_EN: 0
; COMPUTE_PGM_RSRC2:TIDIG_COMP_CNT: 0
	.section	.text._ZN7rocprim17ROCPRIM_400000_NS6detail17trampoline_kernelINS0_13select_configILj256ELj13ELNS0_17block_load_methodE3ELS4_3ELS4_3ELNS0_20block_scan_algorithmE0ELj4294967295EEENS1_25partition_config_selectorILNS1_17partition_subalgoE4EjNS0_10empty_typeEbEEZZNS1_14partition_implILS8_4ELb0ES6_15HIP_vector_typeIjLj2EENS0_17counting_iteratorIjlEEPS9_SG_NS0_5tupleIJPjSI_NS0_16reverse_iteratorISI_EEEEENSH_IJSG_SG_SG_EEES9_SI_JZNS1_25segmented_radix_sort_implINS0_14default_configELb1EPKsPsPKlPlN2at6native12_GLOBAL__N_18offset_tEEE10hipError_tPvRmT1_PNSt15iterator_traitsIS12_E10value_typeET2_T3_PNS13_IS18_E10value_typeET4_jRbjT5_S1E_jjP12ihipStream_tbEUljE_ZNSN_ISO_Lb1ESQ_SR_ST_SU_SY_EESZ_S10_S11_S12_S16_S17_S18_S1B_S1C_jS1D_jS1E_S1E_jjS1G_bEUljE0_EEESZ_S10_S11_S18_S1C_S1E_T6_T7_T9_mT8_S1G_bDpT10_ENKUlT_T0_E_clISt17integral_constantIbLb0EES1U_EEDaS1P_S1Q_EUlS1P_E_NS1_11comp_targetILNS1_3genE4ELNS1_11target_archE910ELNS1_3gpuE8ELNS1_3repE0EEENS1_30default_config_static_selectorELNS0_4arch9wavefront6targetE0EEEvS12_,"axG",@progbits,_ZN7rocprim17ROCPRIM_400000_NS6detail17trampoline_kernelINS0_13select_configILj256ELj13ELNS0_17block_load_methodE3ELS4_3ELS4_3ELNS0_20block_scan_algorithmE0ELj4294967295EEENS1_25partition_config_selectorILNS1_17partition_subalgoE4EjNS0_10empty_typeEbEEZZNS1_14partition_implILS8_4ELb0ES6_15HIP_vector_typeIjLj2EENS0_17counting_iteratorIjlEEPS9_SG_NS0_5tupleIJPjSI_NS0_16reverse_iteratorISI_EEEEENSH_IJSG_SG_SG_EEES9_SI_JZNS1_25segmented_radix_sort_implINS0_14default_configELb1EPKsPsPKlPlN2at6native12_GLOBAL__N_18offset_tEEE10hipError_tPvRmT1_PNSt15iterator_traitsIS12_E10value_typeET2_T3_PNS13_IS18_E10value_typeET4_jRbjT5_S1E_jjP12ihipStream_tbEUljE_ZNSN_ISO_Lb1ESQ_SR_ST_SU_SY_EESZ_S10_S11_S12_S16_S17_S18_S1B_S1C_jS1D_jS1E_S1E_jjS1G_bEUljE0_EEESZ_S10_S11_S18_S1C_S1E_T6_T7_T9_mT8_S1G_bDpT10_ENKUlT_T0_E_clISt17integral_constantIbLb0EES1U_EEDaS1P_S1Q_EUlS1P_E_NS1_11comp_targetILNS1_3genE4ELNS1_11target_archE910ELNS1_3gpuE8ELNS1_3repE0EEENS1_30default_config_static_selectorELNS0_4arch9wavefront6targetE0EEEvS12_,comdat
	.globl	_ZN7rocprim17ROCPRIM_400000_NS6detail17trampoline_kernelINS0_13select_configILj256ELj13ELNS0_17block_load_methodE3ELS4_3ELS4_3ELNS0_20block_scan_algorithmE0ELj4294967295EEENS1_25partition_config_selectorILNS1_17partition_subalgoE4EjNS0_10empty_typeEbEEZZNS1_14partition_implILS8_4ELb0ES6_15HIP_vector_typeIjLj2EENS0_17counting_iteratorIjlEEPS9_SG_NS0_5tupleIJPjSI_NS0_16reverse_iteratorISI_EEEEENSH_IJSG_SG_SG_EEES9_SI_JZNS1_25segmented_radix_sort_implINS0_14default_configELb1EPKsPsPKlPlN2at6native12_GLOBAL__N_18offset_tEEE10hipError_tPvRmT1_PNSt15iterator_traitsIS12_E10value_typeET2_T3_PNS13_IS18_E10value_typeET4_jRbjT5_S1E_jjP12ihipStream_tbEUljE_ZNSN_ISO_Lb1ESQ_SR_ST_SU_SY_EESZ_S10_S11_S12_S16_S17_S18_S1B_S1C_jS1D_jS1E_S1E_jjS1G_bEUljE0_EEESZ_S10_S11_S18_S1C_S1E_T6_T7_T9_mT8_S1G_bDpT10_ENKUlT_T0_E_clISt17integral_constantIbLb0EES1U_EEDaS1P_S1Q_EUlS1P_E_NS1_11comp_targetILNS1_3genE4ELNS1_11target_archE910ELNS1_3gpuE8ELNS1_3repE0EEENS1_30default_config_static_selectorELNS0_4arch9wavefront6targetE0EEEvS12_ ; -- Begin function _ZN7rocprim17ROCPRIM_400000_NS6detail17trampoline_kernelINS0_13select_configILj256ELj13ELNS0_17block_load_methodE3ELS4_3ELS4_3ELNS0_20block_scan_algorithmE0ELj4294967295EEENS1_25partition_config_selectorILNS1_17partition_subalgoE4EjNS0_10empty_typeEbEEZZNS1_14partition_implILS8_4ELb0ES6_15HIP_vector_typeIjLj2EENS0_17counting_iteratorIjlEEPS9_SG_NS0_5tupleIJPjSI_NS0_16reverse_iteratorISI_EEEEENSH_IJSG_SG_SG_EEES9_SI_JZNS1_25segmented_radix_sort_implINS0_14default_configELb1EPKsPsPKlPlN2at6native12_GLOBAL__N_18offset_tEEE10hipError_tPvRmT1_PNSt15iterator_traitsIS12_E10value_typeET2_T3_PNS13_IS18_E10value_typeET4_jRbjT5_S1E_jjP12ihipStream_tbEUljE_ZNSN_ISO_Lb1ESQ_SR_ST_SU_SY_EESZ_S10_S11_S12_S16_S17_S18_S1B_S1C_jS1D_jS1E_S1E_jjS1G_bEUljE0_EEESZ_S10_S11_S18_S1C_S1E_T6_T7_T9_mT8_S1G_bDpT10_ENKUlT_T0_E_clISt17integral_constantIbLb0EES1U_EEDaS1P_S1Q_EUlS1P_E_NS1_11comp_targetILNS1_3genE4ELNS1_11target_archE910ELNS1_3gpuE8ELNS1_3repE0EEENS1_30default_config_static_selectorELNS0_4arch9wavefront6targetE0EEEvS12_
	.p2align	8
	.type	_ZN7rocprim17ROCPRIM_400000_NS6detail17trampoline_kernelINS0_13select_configILj256ELj13ELNS0_17block_load_methodE3ELS4_3ELS4_3ELNS0_20block_scan_algorithmE0ELj4294967295EEENS1_25partition_config_selectorILNS1_17partition_subalgoE4EjNS0_10empty_typeEbEEZZNS1_14partition_implILS8_4ELb0ES6_15HIP_vector_typeIjLj2EENS0_17counting_iteratorIjlEEPS9_SG_NS0_5tupleIJPjSI_NS0_16reverse_iteratorISI_EEEEENSH_IJSG_SG_SG_EEES9_SI_JZNS1_25segmented_radix_sort_implINS0_14default_configELb1EPKsPsPKlPlN2at6native12_GLOBAL__N_18offset_tEEE10hipError_tPvRmT1_PNSt15iterator_traitsIS12_E10value_typeET2_T3_PNS13_IS18_E10value_typeET4_jRbjT5_S1E_jjP12ihipStream_tbEUljE_ZNSN_ISO_Lb1ESQ_SR_ST_SU_SY_EESZ_S10_S11_S12_S16_S17_S18_S1B_S1C_jS1D_jS1E_S1E_jjS1G_bEUljE0_EEESZ_S10_S11_S18_S1C_S1E_T6_T7_T9_mT8_S1G_bDpT10_ENKUlT_T0_E_clISt17integral_constantIbLb0EES1U_EEDaS1P_S1Q_EUlS1P_E_NS1_11comp_targetILNS1_3genE4ELNS1_11target_archE910ELNS1_3gpuE8ELNS1_3repE0EEENS1_30default_config_static_selectorELNS0_4arch9wavefront6targetE0EEEvS12_,@function
_ZN7rocprim17ROCPRIM_400000_NS6detail17trampoline_kernelINS0_13select_configILj256ELj13ELNS0_17block_load_methodE3ELS4_3ELS4_3ELNS0_20block_scan_algorithmE0ELj4294967295EEENS1_25partition_config_selectorILNS1_17partition_subalgoE4EjNS0_10empty_typeEbEEZZNS1_14partition_implILS8_4ELb0ES6_15HIP_vector_typeIjLj2EENS0_17counting_iteratorIjlEEPS9_SG_NS0_5tupleIJPjSI_NS0_16reverse_iteratorISI_EEEEENSH_IJSG_SG_SG_EEES9_SI_JZNS1_25segmented_radix_sort_implINS0_14default_configELb1EPKsPsPKlPlN2at6native12_GLOBAL__N_18offset_tEEE10hipError_tPvRmT1_PNSt15iterator_traitsIS12_E10value_typeET2_T3_PNS13_IS18_E10value_typeET4_jRbjT5_S1E_jjP12ihipStream_tbEUljE_ZNSN_ISO_Lb1ESQ_SR_ST_SU_SY_EESZ_S10_S11_S12_S16_S17_S18_S1B_S1C_jS1D_jS1E_S1E_jjS1G_bEUljE0_EEESZ_S10_S11_S18_S1C_S1E_T6_T7_T9_mT8_S1G_bDpT10_ENKUlT_T0_E_clISt17integral_constantIbLb0EES1U_EEDaS1P_S1Q_EUlS1P_E_NS1_11comp_targetILNS1_3genE4ELNS1_11target_archE910ELNS1_3gpuE8ELNS1_3repE0EEENS1_30default_config_static_selectorELNS0_4arch9wavefront6targetE0EEEvS12_: ; @_ZN7rocprim17ROCPRIM_400000_NS6detail17trampoline_kernelINS0_13select_configILj256ELj13ELNS0_17block_load_methodE3ELS4_3ELS4_3ELNS0_20block_scan_algorithmE0ELj4294967295EEENS1_25partition_config_selectorILNS1_17partition_subalgoE4EjNS0_10empty_typeEbEEZZNS1_14partition_implILS8_4ELb0ES6_15HIP_vector_typeIjLj2EENS0_17counting_iteratorIjlEEPS9_SG_NS0_5tupleIJPjSI_NS0_16reverse_iteratorISI_EEEEENSH_IJSG_SG_SG_EEES9_SI_JZNS1_25segmented_radix_sort_implINS0_14default_configELb1EPKsPsPKlPlN2at6native12_GLOBAL__N_18offset_tEEE10hipError_tPvRmT1_PNSt15iterator_traitsIS12_E10value_typeET2_T3_PNS13_IS18_E10value_typeET4_jRbjT5_S1E_jjP12ihipStream_tbEUljE_ZNSN_ISO_Lb1ESQ_SR_ST_SU_SY_EESZ_S10_S11_S12_S16_S17_S18_S1B_S1C_jS1D_jS1E_S1E_jjS1G_bEUljE0_EEESZ_S10_S11_S18_S1C_S1E_T6_T7_T9_mT8_S1G_bDpT10_ENKUlT_T0_E_clISt17integral_constantIbLb0EES1U_EEDaS1P_S1Q_EUlS1P_E_NS1_11comp_targetILNS1_3genE4ELNS1_11target_archE910ELNS1_3gpuE8ELNS1_3repE0EEENS1_30default_config_static_selectorELNS0_4arch9wavefront6targetE0EEEvS12_
; %bb.0:
	.section	.rodata,"a",@progbits
	.p2align	6, 0x0
	.amdhsa_kernel _ZN7rocprim17ROCPRIM_400000_NS6detail17trampoline_kernelINS0_13select_configILj256ELj13ELNS0_17block_load_methodE3ELS4_3ELS4_3ELNS0_20block_scan_algorithmE0ELj4294967295EEENS1_25partition_config_selectorILNS1_17partition_subalgoE4EjNS0_10empty_typeEbEEZZNS1_14partition_implILS8_4ELb0ES6_15HIP_vector_typeIjLj2EENS0_17counting_iteratorIjlEEPS9_SG_NS0_5tupleIJPjSI_NS0_16reverse_iteratorISI_EEEEENSH_IJSG_SG_SG_EEES9_SI_JZNS1_25segmented_radix_sort_implINS0_14default_configELb1EPKsPsPKlPlN2at6native12_GLOBAL__N_18offset_tEEE10hipError_tPvRmT1_PNSt15iterator_traitsIS12_E10value_typeET2_T3_PNS13_IS18_E10value_typeET4_jRbjT5_S1E_jjP12ihipStream_tbEUljE_ZNSN_ISO_Lb1ESQ_SR_ST_SU_SY_EESZ_S10_S11_S12_S16_S17_S18_S1B_S1C_jS1D_jS1E_S1E_jjS1G_bEUljE0_EEESZ_S10_S11_S18_S1C_S1E_T6_T7_T9_mT8_S1G_bDpT10_ENKUlT_T0_E_clISt17integral_constantIbLb0EES1U_EEDaS1P_S1Q_EUlS1P_E_NS1_11comp_targetILNS1_3genE4ELNS1_11target_archE910ELNS1_3gpuE8ELNS1_3repE0EEENS1_30default_config_static_selectorELNS0_4arch9wavefront6targetE0EEEvS12_
		.amdhsa_group_segment_fixed_size 0
		.amdhsa_private_segment_fixed_size 0
		.amdhsa_kernarg_size 176
		.amdhsa_user_sgpr_count 2
		.amdhsa_user_sgpr_dispatch_ptr 0
		.amdhsa_user_sgpr_queue_ptr 0
		.amdhsa_user_sgpr_kernarg_segment_ptr 1
		.amdhsa_user_sgpr_dispatch_id 0
		.amdhsa_user_sgpr_private_segment_size 0
		.amdhsa_wavefront_size32 1
		.amdhsa_uses_dynamic_stack 0
		.amdhsa_enable_private_segment 0
		.amdhsa_system_sgpr_workgroup_id_x 1
		.amdhsa_system_sgpr_workgroup_id_y 0
		.amdhsa_system_sgpr_workgroup_id_z 0
		.amdhsa_system_sgpr_workgroup_info 0
		.amdhsa_system_vgpr_workitem_id 0
		.amdhsa_next_free_vgpr 1
		.amdhsa_next_free_sgpr 1
		.amdhsa_reserve_vcc 0
		.amdhsa_float_round_mode_32 0
		.amdhsa_float_round_mode_16_64 0
		.amdhsa_float_denorm_mode_32 3
		.amdhsa_float_denorm_mode_16_64 3
		.amdhsa_fp16_overflow 0
		.amdhsa_workgroup_processor_mode 1
		.amdhsa_memory_ordered 1
		.amdhsa_forward_progress 1
		.amdhsa_inst_pref_size 0
		.amdhsa_round_robin_scheduling 0
		.amdhsa_exception_fp_ieee_invalid_op 0
		.amdhsa_exception_fp_denorm_src 0
		.amdhsa_exception_fp_ieee_div_zero 0
		.amdhsa_exception_fp_ieee_overflow 0
		.amdhsa_exception_fp_ieee_underflow 0
		.amdhsa_exception_fp_ieee_inexact 0
		.amdhsa_exception_int_div_zero 0
	.end_amdhsa_kernel
	.section	.text._ZN7rocprim17ROCPRIM_400000_NS6detail17trampoline_kernelINS0_13select_configILj256ELj13ELNS0_17block_load_methodE3ELS4_3ELS4_3ELNS0_20block_scan_algorithmE0ELj4294967295EEENS1_25partition_config_selectorILNS1_17partition_subalgoE4EjNS0_10empty_typeEbEEZZNS1_14partition_implILS8_4ELb0ES6_15HIP_vector_typeIjLj2EENS0_17counting_iteratorIjlEEPS9_SG_NS0_5tupleIJPjSI_NS0_16reverse_iteratorISI_EEEEENSH_IJSG_SG_SG_EEES9_SI_JZNS1_25segmented_radix_sort_implINS0_14default_configELb1EPKsPsPKlPlN2at6native12_GLOBAL__N_18offset_tEEE10hipError_tPvRmT1_PNSt15iterator_traitsIS12_E10value_typeET2_T3_PNS13_IS18_E10value_typeET4_jRbjT5_S1E_jjP12ihipStream_tbEUljE_ZNSN_ISO_Lb1ESQ_SR_ST_SU_SY_EESZ_S10_S11_S12_S16_S17_S18_S1B_S1C_jS1D_jS1E_S1E_jjS1G_bEUljE0_EEESZ_S10_S11_S18_S1C_S1E_T6_T7_T9_mT8_S1G_bDpT10_ENKUlT_T0_E_clISt17integral_constantIbLb0EES1U_EEDaS1P_S1Q_EUlS1P_E_NS1_11comp_targetILNS1_3genE4ELNS1_11target_archE910ELNS1_3gpuE8ELNS1_3repE0EEENS1_30default_config_static_selectorELNS0_4arch9wavefront6targetE0EEEvS12_,"axG",@progbits,_ZN7rocprim17ROCPRIM_400000_NS6detail17trampoline_kernelINS0_13select_configILj256ELj13ELNS0_17block_load_methodE3ELS4_3ELS4_3ELNS0_20block_scan_algorithmE0ELj4294967295EEENS1_25partition_config_selectorILNS1_17partition_subalgoE4EjNS0_10empty_typeEbEEZZNS1_14partition_implILS8_4ELb0ES6_15HIP_vector_typeIjLj2EENS0_17counting_iteratorIjlEEPS9_SG_NS0_5tupleIJPjSI_NS0_16reverse_iteratorISI_EEEEENSH_IJSG_SG_SG_EEES9_SI_JZNS1_25segmented_radix_sort_implINS0_14default_configELb1EPKsPsPKlPlN2at6native12_GLOBAL__N_18offset_tEEE10hipError_tPvRmT1_PNSt15iterator_traitsIS12_E10value_typeET2_T3_PNS13_IS18_E10value_typeET4_jRbjT5_S1E_jjP12ihipStream_tbEUljE_ZNSN_ISO_Lb1ESQ_SR_ST_SU_SY_EESZ_S10_S11_S12_S16_S17_S18_S1B_S1C_jS1D_jS1E_S1E_jjS1G_bEUljE0_EEESZ_S10_S11_S18_S1C_S1E_T6_T7_T9_mT8_S1G_bDpT10_ENKUlT_T0_E_clISt17integral_constantIbLb0EES1U_EEDaS1P_S1Q_EUlS1P_E_NS1_11comp_targetILNS1_3genE4ELNS1_11target_archE910ELNS1_3gpuE8ELNS1_3repE0EEENS1_30default_config_static_selectorELNS0_4arch9wavefront6targetE0EEEvS12_,comdat
.Lfunc_end849:
	.size	_ZN7rocprim17ROCPRIM_400000_NS6detail17trampoline_kernelINS0_13select_configILj256ELj13ELNS0_17block_load_methodE3ELS4_3ELS4_3ELNS0_20block_scan_algorithmE0ELj4294967295EEENS1_25partition_config_selectorILNS1_17partition_subalgoE4EjNS0_10empty_typeEbEEZZNS1_14partition_implILS8_4ELb0ES6_15HIP_vector_typeIjLj2EENS0_17counting_iteratorIjlEEPS9_SG_NS0_5tupleIJPjSI_NS0_16reverse_iteratorISI_EEEEENSH_IJSG_SG_SG_EEES9_SI_JZNS1_25segmented_radix_sort_implINS0_14default_configELb1EPKsPsPKlPlN2at6native12_GLOBAL__N_18offset_tEEE10hipError_tPvRmT1_PNSt15iterator_traitsIS12_E10value_typeET2_T3_PNS13_IS18_E10value_typeET4_jRbjT5_S1E_jjP12ihipStream_tbEUljE_ZNSN_ISO_Lb1ESQ_SR_ST_SU_SY_EESZ_S10_S11_S12_S16_S17_S18_S1B_S1C_jS1D_jS1E_S1E_jjS1G_bEUljE0_EEESZ_S10_S11_S18_S1C_S1E_T6_T7_T9_mT8_S1G_bDpT10_ENKUlT_T0_E_clISt17integral_constantIbLb0EES1U_EEDaS1P_S1Q_EUlS1P_E_NS1_11comp_targetILNS1_3genE4ELNS1_11target_archE910ELNS1_3gpuE8ELNS1_3repE0EEENS1_30default_config_static_selectorELNS0_4arch9wavefront6targetE0EEEvS12_, .Lfunc_end849-_ZN7rocprim17ROCPRIM_400000_NS6detail17trampoline_kernelINS0_13select_configILj256ELj13ELNS0_17block_load_methodE3ELS4_3ELS4_3ELNS0_20block_scan_algorithmE0ELj4294967295EEENS1_25partition_config_selectorILNS1_17partition_subalgoE4EjNS0_10empty_typeEbEEZZNS1_14partition_implILS8_4ELb0ES6_15HIP_vector_typeIjLj2EENS0_17counting_iteratorIjlEEPS9_SG_NS0_5tupleIJPjSI_NS0_16reverse_iteratorISI_EEEEENSH_IJSG_SG_SG_EEES9_SI_JZNS1_25segmented_radix_sort_implINS0_14default_configELb1EPKsPsPKlPlN2at6native12_GLOBAL__N_18offset_tEEE10hipError_tPvRmT1_PNSt15iterator_traitsIS12_E10value_typeET2_T3_PNS13_IS18_E10value_typeET4_jRbjT5_S1E_jjP12ihipStream_tbEUljE_ZNSN_ISO_Lb1ESQ_SR_ST_SU_SY_EESZ_S10_S11_S12_S16_S17_S18_S1B_S1C_jS1D_jS1E_S1E_jjS1G_bEUljE0_EEESZ_S10_S11_S18_S1C_S1E_T6_T7_T9_mT8_S1G_bDpT10_ENKUlT_T0_E_clISt17integral_constantIbLb0EES1U_EEDaS1P_S1Q_EUlS1P_E_NS1_11comp_targetILNS1_3genE4ELNS1_11target_archE910ELNS1_3gpuE8ELNS1_3repE0EEENS1_30default_config_static_selectorELNS0_4arch9wavefront6targetE0EEEvS12_
                                        ; -- End function
	.set _ZN7rocprim17ROCPRIM_400000_NS6detail17trampoline_kernelINS0_13select_configILj256ELj13ELNS0_17block_load_methodE3ELS4_3ELS4_3ELNS0_20block_scan_algorithmE0ELj4294967295EEENS1_25partition_config_selectorILNS1_17partition_subalgoE4EjNS0_10empty_typeEbEEZZNS1_14partition_implILS8_4ELb0ES6_15HIP_vector_typeIjLj2EENS0_17counting_iteratorIjlEEPS9_SG_NS0_5tupleIJPjSI_NS0_16reverse_iteratorISI_EEEEENSH_IJSG_SG_SG_EEES9_SI_JZNS1_25segmented_radix_sort_implINS0_14default_configELb1EPKsPsPKlPlN2at6native12_GLOBAL__N_18offset_tEEE10hipError_tPvRmT1_PNSt15iterator_traitsIS12_E10value_typeET2_T3_PNS13_IS18_E10value_typeET4_jRbjT5_S1E_jjP12ihipStream_tbEUljE_ZNSN_ISO_Lb1ESQ_SR_ST_SU_SY_EESZ_S10_S11_S12_S16_S17_S18_S1B_S1C_jS1D_jS1E_S1E_jjS1G_bEUljE0_EEESZ_S10_S11_S18_S1C_S1E_T6_T7_T9_mT8_S1G_bDpT10_ENKUlT_T0_E_clISt17integral_constantIbLb0EES1U_EEDaS1P_S1Q_EUlS1P_E_NS1_11comp_targetILNS1_3genE4ELNS1_11target_archE910ELNS1_3gpuE8ELNS1_3repE0EEENS1_30default_config_static_selectorELNS0_4arch9wavefront6targetE0EEEvS12_.num_vgpr, 0
	.set _ZN7rocprim17ROCPRIM_400000_NS6detail17trampoline_kernelINS0_13select_configILj256ELj13ELNS0_17block_load_methodE3ELS4_3ELS4_3ELNS0_20block_scan_algorithmE0ELj4294967295EEENS1_25partition_config_selectorILNS1_17partition_subalgoE4EjNS0_10empty_typeEbEEZZNS1_14partition_implILS8_4ELb0ES6_15HIP_vector_typeIjLj2EENS0_17counting_iteratorIjlEEPS9_SG_NS0_5tupleIJPjSI_NS0_16reverse_iteratorISI_EEEEENSH_IJSG_SG_SG_EEES9_SI_JZNS1_25segmented_radix_sort_implINS0_14default_configELb1EPKsPsPKlPlN2at6native12_GLOBAL__N_18offset_tEEE10hipError_tPvRmT1_PNSt15iterator_traitsIS12_E10value_typeET2_T3_PNS13_IS18_E10value_typeET4_jRbjT5_S1E_jjP12ihipStream_tbEUljE_ZNSN_ISO_Lb1ESQ_SR_ST_SU_SY_EESZ_S10_S11_S12_S16_S17_S18_S1B_S1C_jS1D_jS1E_S1E_jjS1G_bEUljE0_EEESZ_S10_S11_S18_S1C_S1E_T6_T7_T9_mT8_S1G_bDpT10_ENKUlT_T0_E_clISt17integral_constantIbLb0EES1U_EEDaS1P_S1Q_EUlS1P_E_NS1_11comp_targetILNS1_3genE4ELNS1_11target_archE910ELNS1_3gpuE8ELNS1_3repE0EEENS1_30default_config_static_selectorELNS0_4arch9wavefront6targetE0EEEvS12_.num_agpr, 0
	.set _ZN7rocprim17ROCPRIM_400000_NS6detail17trampoline_kernelINS0_13select_configILj256ELj13ELNS0_17block_load_methodE3ELS4_3ELS4_3ELNS0_20block_scan_algorithmE0ELj4294967295EEENS1_25partition_config_selectorILNS1_17partition_subalgoE4EjNS0_10empty_typeEbEEZZNS1_14partition_implILS8_4ELb0ES6_15HIP_vector_typeIjLj2EENS0_17counting_iteratorIjlEEPS9_SG_NS0_5tupleIJPjSI_NS0_16reverse_iteratorISI_EEEEENSH_IJSG_SG_SG_EEES9_SI_JZNS1_25segmented_radix_sort_implINS0_14default_configELb1EPKsPsPKlPlN2at6native12_GLOBAL__N_18offset_tEEE10hipError_tPvRmT1_PNSt15iterator_traitsIS12_E10value_typeET2_T3_PNS13_IS18_E10value_typeET4_jRbjT5_S1E_jjP12ihipStream_tbEUljE_ZNSN_ISO_Lb1ESQ_SR_ST_SU_SY_EESZ_S10_S11_S12_S16_S17_S18_S1B_S1C_jS1D_jS1E_S1E_jjS1G_bEUljE0_EEESZ_S10_S11_S18_S1C_S1E_T6_T7_T9_mT8_S1G_bDpT10_ENKUlT_T0_E_clISt17integral_constantIbLb0EES1U_EEDaS1P_S1Q_EUlS1P_E_NS1_11comp_targetILNS1_3genE4ELNS1_11target_archE910ELNS1_3gpuE8ELNS1_3repE0EEENS1_30default_config_static_selectorELNS0_4arch9wavefront6targetE0EEEvS12_.numbered_sgpr, 0
	.set _ZN7rocprim17ROCPRIM_400000_NS6detail17trampoline_kernelINS0_13select_configILj256ELj13ELNS0_17block_load_methodE3ELS4_3ELS4_3ELNS0_20block_scan_algorithmE0ELj4294967295EEENS1_25partition_config_selectorILNS1_17partition_subalgoE4EjNS0_10empty_typeEbEEZZNS1_14partition_implILS8_4ELb0ES6_15HIP_vector_typeIjLj2EENS0_17counting_iteratorIjlEEPS9_SG_NS0_5tupleIJPjSI_NS0_16reverse_iteratorISI_EEEEENSH_IJSG_SG_SG_EEES9_SI_JZNS1_25segmented_radix_sort_implINS0_14default_configELb1EPKsPsPKlPlN2at6native12_GLOBAL__N_18offset_tEEE10hipError_tPvRmT1_PNSt15iterator_traitsIS12_E10value_typeET2_T3_PNS13_IS18_E10value_typeET4_jRbjT5_S1E_jjP12ihipStream_tbEUljE_ZNSN_ISO_Lb1ESQ_SR_ST_SU_SY_EESZ_S10_S11_S12_S16_S17_S18_S1B_S1C_jS1D_jS1E_S1E_jjS1G_bEUljE0_EEESZ_S10_S11_S18_S1C_S1E_T6_T7_T9_mT8_S1G_bDpT10_ENKUlT_T0_E_clISt17integral_constantIbLb0EES1U_EEDaS1P_S1Q_EUlS1P_E_NS1_11comp_targetILNS1_3genE4ELNS1_11target_archE910ELNS1_3gpuE8ELNS1_3repE0EEENS1_30default_config_static_selectorELNS0_4arch9wavefront6targetE0EEEvS12_.num_named_barrier, 0
	.set _ZN7rocprim17ROCPRIM_400000_NS6detail17trampoline_kernelINS0_13select_configILj256ELj13ELNS0_17block_load_methodE3ELS4_3ELS4_3ELNS0_20block_scan_algorithmE0ELj4294967295EEENS1_25partition_config_selectorILNS1_17partition_subalgoE4EjNS0_10empty_typeEbEEZZNS1_14partition_implILS8_4ELb0ES6_15HIP_vector_typeIjLj2EENS0_17counting_iteratorIjlEEPS9_SG_NS0_5tupleIJPjSI_NS0_16reverse_iteratorISI_EEEEENSH_IJSG_SG_SG_EEES9_SI_JZNS1_25segmented_radix_sort_implINS0_14default_configELb1EPKsPsPKlPlN2at6native12_GLOBAL__N_18offset_tEEE10hipError_tPvRmT1_PNSt15iterator_traitsIS12_E10value_typeET2_T3_PNS13_IS18_E10value_typeET4_jRbjT5_S1E_jjP12ihipStream_tbEUljE_ZNSN_ISO_Lb1ESQ_SR_ST_SU_SY_EESZ_S10_S11_S12_S16_S17_S18_S1B_S1C_jS1D_jS1E_S1E_jjS1G_bEUljE0_EEESZ_S10_S11_S18_S1C_S1E_T6_T7_T9_mT8_S1G_bDpT10_ENKUlT_T0_E_clISt17integral_constantIbLb0EES1U_EEDaS1P_S1Q_EUlS1P_E_NS1_11comp_targetILNS1_3genE4ELNS1_11target_archE910ELNS1_3gpuE8ELNS1_3repE0EEENS1_30default_config_static_selectorELNS0_4arch9wavefront6targetE0EEEvS12_.private_seg_size, 0
	.set _ZN7rocprim17ROCPRIM_400000_NS6detail17trampoline_kernelINS0_13select_configILj256ELj13ELNS0_17block_load_methodE3ELS4_3ELS4_3ELNS0_20block_scan_algorithmE0ELj4294967295EEENS1_25partition_config_selectorILNS1_17partition_subalgoE4EjNS0_10empty_typeEbEEZZNS1_14partition_implILS8_4ELb0ES6_15HIP_vector_typeIjLj2EENS0_17counting_iteratorIjlEEPS9_SG_NS0_5tupleIJPjSI_NS0_16reverse_iteratorISI_EEEEENSH_IJSG_SG_SG_EEES9_SI_JZNS1_25segmented_radix_sort_implINS0_14default_configELb1EPKsPsPKlPlN2at6native12_GLOBAL__N_18offset_tEEE10hipError_tPvRmT1_PNSt15iterator_traitsIS12_E10value_typeET2_T3_PNS13_IS18_E10value_typeET4_jRbjT5_S1E_jjP12ihipStream_tbEUljE_ZNSN_ISO_Lb1ESQ_SR_ST_SU_SY_EESZ_S10_S11_S12_S16_S17_S18_S1B_S1C_jS1D_jS1E_S1E_jjS1G_bEUljE0_EEESZ_S10_S11_S18_S1C_S1E_T6_T7_T9_mT8_S1G_bDpT10_ENKUlT_T0_E_clISt17integral_constantIbLb0EES1U_EEDaS1P_S1Q_EUlS1P_E_NS1_11comp_targetILNS1_3genE4ELNS1_11target_archE910ELNS1_3gpuE8ELNS1_3repE0EEENS1_30default_config_static_selectorELNS0_4arch9wavefront6targetE0EEEvS12_.uses_vcc, 0
	.set _ZN7rocprim17ROCPRIM_400000_NS6detail17trampoline_kernelINS0_13select_configILj256ELj13ELNS0_17block_load_methodE3ELS4_3ELS4_3ELNS0_20block_scan_algorithmE0ELj4294967295EEENS1_25partition_config_selectorILNS1_17partition_subalgoE4EjNS0_10empty_typeEbEEZZNS1_14partition_implILS8_4ELb0ES6_15HIP_vector_typeIjLj2EENS0_17counting_iteratorIjlEEPS9_SG_NS0_5tupleIJPjSI_NS0_16reverse_iteratorISI_EEEEENSH_IJSG_SG_SG_EEES9_SI_JZNS1_25segmented_radix_sort_implINS0_14default_configELb1EPKsPsPKlPlN2at6native12_GLOBAL__N_18offset_tEEE10hipError_tPvRmT1_PNSt15iterator_traitsIS12_E10value_typeET2_T3_PNS13_IS18_E10value_typeET4_jRbjT5_S1E_jjP12ihipStream_tbEUljE_ZNSN_ISO_Lb1ESQ_SR_ST_SU_SY_EESZ_S10_S11_S12_S16_S17_S18_S1B_S1C_jS1D_jS1E_S1E_jjS1G_bEUljE0_EEESZ_S10_S11_S18_S1C_S1E_T6_T7_T9_mT8_S1G_bDpT10_ENKUlT_T0_E_clISt17integral_constantIbLb0EES1U_EEDaS1P_S1Q_EUlS1P_E_NS1_11comp_targetILNS1_3genE4ELNS1_11target_archE910ELNS1_3gpuE8ELNS1_3repE0EEENS1_30default_config_static_selectorELNS0_4arch9wavefront6targetE0EEEvS12_.uses_flat_scratch, 0
	.set _ZN7rocprim17ROCPRIM_400000_NS6detail17trampoline_kernelINS0_13select_configILj256ELj13ELNS0_17block_load_methodE3ELS4_3ELS4_3ELNS0_20block_scan_algorithmE0ELj4294967295EEENS1_25partition_config_selectorILNS1_17partition_subalgoE4EjNS0_10empty_typeEbEEZZNS1_14partition_implILS8_4ELb0ES6_15HIP_vector_typeIjLj2EENS0_17counting_iteratorIjlEEPS9_SG_NS0_5tupleIJPjSI_NS0_16reverse_iteratorISI_EEEEENSH_IJSG_SG_SG_EEES9_SI_JZNS1_25segmented_radix_sort_implINS0_14default_configELb1EPKsPsPKlPlN2at6native12_GLOBAL__N_18offset_tEEE10hipError_tPvRmT1_PNSt15iterator_traitsIS12_E10value_typeET2_T3_PNS13_IS18_E10value_typeET4_jRbjT5_S1E_jjP12ihipStream_tbEUljE_ZNSN_ISO_Lb1ESQ_SR_ST_SU_SY_EESZ_S10_S11_S12_S16_S17_S18_S1B_S1C_jS1D_jS1E_S1E_jjS1G_bEUljE0_EEESZ_S10_S11_S18_S1C_S1E_T6_T7_T9_mT8_S1G_bDpT10_ENKUlT_T0_E_clISt17integral_constantIbLb0EES1U_EEDaS1P_S1Q_EUlS1P_E_NS1_11comp_targetILNS1_3genE4ELNS1_11target_archE910ELNS1_3gpuE8ELNS1_3repE0EEENS1_30default_config_static_selectorELNS0_4arch9wavefront6targetE0EEEvS12_.has_dyn_sized_stack, 0
	.set _ZN7rocprim17ROCPRIM_400000_NS6detail17trampoline_kernelINS0_13select_configILj256ELj13ELNS0_17block_load_methodE3ELS4_3ELS4_3ELNS0_20block_scan_algorithmE0ELj4294967295EEENS1_25partition_config_selectorILNS1_17partition_subalgoE4EjNS0_10empty_typeEbEEZZNS1_14partition_implILS8_4ELb0ES6_15HIP_vector_typeIjLj2EENS0_17counting_iteratorIjlEEPS9_SG_NS0_5tupleIJPjSI_NS0_16reverse_iteratorISI_EEEEENSH_IJSG_SG_SG_EEES9_SI_JZNS1_25segmented_radix_sort_implINS0_14default_configELb1EPKsPsPKlPlN2at6native12_GLOBAL__N_18offset_tEEE10hipError_tPvRmT1_PNSt15iterator_traitsIS12_E10value_typeET2_T3_PNS13_IS18_E10value_typeET4_jRbjT5_S1E_jjP12ihipStream_tbEUljE_ZNSN_ISO_Lb1ESQ_SR_ST_SU_SY_EESZ_S10_S11_S12_S16_S17_S18_S1B_S1C_jS1D_jS1E_S1E_jjS1G_bEUljE0_EEESZ_S10_S11_S18_S1C_S1E_T6_T7_T9_mT8_S1G_bDpT10_ENKUlT_T0_E_clISt17integral_constantIbLb0EES1U_EEDaS1P_S1Q_EUlS1P_E_NS1_11comp_targetILNS1_3genE4ELNS1_11target_archE910ELNS1_3gpuE8ELNS1_3repE0EEENS1_30default_config_static_selectorELNS0_4arch9wavefront6targetE0EEEvS12_.has_recursion, 0
	.set _ZN7rocprim17ROCPRIM_400000_NS6detail17trampoline_kernelINS0_13select_configILj256ELj13ELNS0_17block_load_methodE3ELS4_3ELS4_3ELNS0_20block_scan_algorithmE0ELj4294967295EEENS1_25partition_config_selectorILNS1_17partition_subalgoE4EjNS0_10empty_typeEbEEZZNS1_14partition_implILS8_4ELb0ES6_15HIP_vector_typeIjLj2EENS0_17counting_iteratorIjlEEPS9_SG_NS0_5tupleIJPjSI_NS0_16reverse_iteratorISI_EEEEENSH_IJSG_SG_SG_EEES9_SI_JZNS1_25segmented_radix_sort_implINS0_14default_configELb1EPKsPsPKlPlN2at6native12_GLOBAL__N_18offset_tEEE10hipError_tPvRmT1_PNSt15iterator_traitsIS12_E10value_typeET2_T3_PNS13_IS18_E10value_typeET4_jRbjT5_S1E_jjP12ihipStream_tbEUljE_ZNSN_ISO_Lb1ESQ_SR_ST_SU_SY_EESZ_S10_S11_S12_S16_S17_S18_S1B_S1C_jS1D_jS1E_S1E_jjS1G_bEUljE0_EEESZ_S10_S11_S18_S1C_S1E_T6_T7_T9_mT8_S1G_bDpT10_ENKUlT_T0_E_clISt17integral_constantIbLb0EES1U_EEDaS1P_S1Q_EUlS1P_E_NS1_11comp_targetILNS1_3genE4ELNS1_11target_archE910ELNS1_3gpuE8ELNS1_3repE0EEENS1_30default_config_static_selectorELNS0_4arch9wavefront6targetE0EEEvS12_.has_indirect_call, 0
	.section	.AMDGPU.csdata,"",@progbits
; Kernel info:
; codeLenInByte = 0
; TotalNumSgprs: 0
; NumVgprs: 0
; ScratchSize: 0
; MemoryBound: 0
; FloatMode: 240
; IeeeMode: 1
; LDSByteSize: 0 bytes/workgroup (compile time only)
; SGPRBlocks: 0
; VGPRBlocks: 0
; NumSGPRsForWavesPerEU: 1
; NumVGPRsForWavesPerEU: 1
; Occupancy: 16
; WaveLimiterHint : 0
; COMPUTE_PGM_RSRC2:SCRATCH_EN: 0
; COMPUTE_PGM_RSRC2:USER_SGPR: 2
; COMPUTE_PGM_RSRC2:TRAP_HANDLER: 0
; COMPUTE_PGM_RSRC2:TGID_X_EN: 1
; COMPUTE_PGM_RSRC2:TGID_Y_EN: 0
; COMPUTE_PGM_RSRC2:TGID_Z_EN: 0
; COMPUTE_PGM_RSRC2:TIDIG_COMP_CNT: 0
	.section	.text._ZN7rocprim17ROCPRIM_400000_NS6detail17trampoline_kernelINS0_13select_configILj256ELj13ELNS0_17block_load_methodE3ELS4_3ELS4_3ELNS0_20block_scan_algorithmE0ELj4294967295EEENS1_25partition_config_selectorILNS1_17partition_subalgoE4EjNS0_10empty_typeEbEEZZNS1_14partition_implILS8_4ELb0ES6_15HIP_vector_typeIjLj2EENS0_17counting_iteratorIjlEEPS9_SG_NS0_5tupleIJPjSI_NS0_16reverse_iteratorISI_EEEEENSH_IJSG_SG_SG_EEES9_SI_JZNS1_25segmented_radix_sort_implINS0_14default_configELb1EPKsPsPKlPlN2at6native12_GLOBAL__N_18offset_tEEE10hipError_tPvRmT1_PNSt15iterator_traitsIS12_E10value_typeET2_T3_PNS13_IS18_E10value_typeET4_jRbjT5_S1E_jjP12ihipStream_tbEUljE_ZNSN_ISO_Lb1ESQ_SR_ST_SU_SY_EESZ_S10_S11_S12_S16_S17_S18_S1B_S1C_jS1D_jS1E_S1E_jjS1G_bEUljE0_EEESZ_S10_S11_S18_S1C_S1E_T6_T7_T9_mT8_S1G_bDpT10_ENKUlT_T0_E_clISt17integral_constantIbLb0EES1U_EEDaS1P_S1Q_EUlS1P_E_NS1_11comp_targetILNS1_3genE3ELNS1_11target_archE908ELNS1_3gpuE7ELNS1_3repE0EEENS1_30default_config_static_selectorELNS0_4arch9wavefront6targetE0EEEvS12_,"axG",@progbits,_ZN7rocprim17ROCPRIM_400000_NS6detail17trampoline_kernelINS0_13select_configILj256ELj13ELNS0_17block_load_methodE3ELS4_3ELS4_3ELNS0_20block_scan_algorithmE0ELj4294967295EEENS1_25partition_config_selectorILNS1_17partition_subalgoE4EjNS0_10empty_typeEbEEZZNS1_14partition_implILS8_4ELb0ES6_15HIP_vector_typeIjLj2EENS0_17counting_iteratorIjlEEPS9_SG_NS0_5tupleIJPjSI_NS0_16reverse_iteratorISI_EEEEENSH_IJSG_SG_SG_EEES9_SI_JZNS1_25segmented_radix_sort_implINS0_14default_configELb1EPKsPsPKlPlN2at6native12_GLOBAL__N_18offset_tEEE10hipError_tPvRmT1_PNSt15iterator_traitsIS12_E10value_typeET2_T3_PNS13_IS18_E10value_typeET4_jRbjT5_S1E_jjP12ihipStream_tbEUljE_ZNSN_ISO_Lb1ESQ_SR_ST_SU_SY_EESZ_S10_S11_S12_S16_S17_S18_S1B_S1C_jS1D_jS1E_S1E_jjS1G_bEUljE0_EEESZ_S10_S11_S18_S1C_S1E_T6_T7_T9_mT8_S1G_bDpT10_ENKUlT_T0_E_clISt17integral_constantIbLb0EES1U_EEDaS1P_S1Q_EUlS1P_E_NS1_11comp_targetILNS1_3genE3ELNS1_11target_archE908ELNS1_3gpuE7ELNS1_3repE0EEENS1_30default_config_static_selectorELNS0_4arch9wavefront6targetE0EEEvS12_,comdat
	.globl	_ZN7rocprim17ROCPRIM_400000_NS6detail17trampoline_kernelINS0_13select_configILj256ELj13ELNS0_17block_load_methodE3ELS4_3ELS4_3ELNS0_20block_scan_algorithmE0ELj4294967295EEENS1_25partition_config_selectorILNS1_17partition_subalgoE4EjNS0_10empty_typeEbEEZZNS1_14partition_implILS8_4ELb0ES6_15HIP_vector_typeIjLj2EENS0_17counting_iteratorIjlEEPS9_SG_NS0_5tupleIJPjSI_NS0_16reverse_iteratorISI_EEEEENSH_IJSG_SG_SG_EEES9_SI_JZNS1_25segmented_radix_sort_implINS0_14default_configELb1EPKsPsPKlPlN2at6native12_GLOBAL__N_18offset_tEEE10hipError_tPvRmT1_PNSt15iterator_traitsIS12_E10value_typeET2_T3_PNS13_IS18_E10value_typeET4_jRbjT5_S1E_jjP12ihipStream_tbEUljE_ZNSN_ISO_Lb1ESQ_SR_ST_SU_SY_EESZ_S10_S11_S12_S16_S17_S18_S1B_S1C_jS1D_jS1E_S1E_jjS1G_bEUljE0_EEESZ_S10_S11_S18_S1C_S1E_T6_T7_T9_mT8_S1G_bDpT10_ENKUlT_T0_E_clISt17integral_constantIbLb0EES1U_EEDaS1P_S1Q_EUlS1P_E_NS1_11comp_targetILNS1_3genE3ELNS1_11target_archE908ELNS1_3gpuE7ELNS1_3repE0EEENS1_30default_config_static_selectorELNS0_4arch9wavefront6targetE0EEEvS12_ ; -- Begin function _ZN7rocprim17ROCPRIM_400000_NS6detail17trampoline_kernelINS0_13select_configILj256ELj13ELNS0_17block_load_methodE3ELS4_3ELS4_3ELNS0_20block_scan_algorithmE0ELj4294967295EEENS1_25partition_config_selectorILNS1_17partition_subalgoE4EjNS0_10empty_typeEbEEZZNS1_14partition_implILS8_4ELb0ES6_15HIP_vector_typeIjLj2EENS0_17counting_iteratorIjlEEPS9_SG_NS0_5tupleIJPjSI_NS0_16reverse_iteratorISI_EEEEENSH_IJSG_SG_SG_EEES9_SI_JZNS1_25segmented_radix_sort_implINS0_14default_configELb1EPKsPsPKlPlN2at6native12_GLOBAL__N_18offset_tEEE10hipError_tPvRmT1_PNSt15iterator_traitsIS12_E10value_typeET2_T3_PNS13_IS18_E10value_typeET4_jRbjT5_S1E_jjP12ihipStream_tbEUljE_ZNSN_ISO_Lb1ESQ_SR_ST_SU_SY_EESZ_S10_S11_S12_S16_S17_S18_S1B_S1C_jS1D_jS1E_S1E_jjS1G_bEUljE0_EEESZ_S10_S11_S18_S1C_S1E_T6_T7_T9_mT8_S1G_bDpT10_ENKUlT_T0_E_clISt17integral_constantIbLb0EES1U_EEDaS1P_S1Q_EUlS1P_E_NS1_11comp_targetILNS1_3genE3ELNS1_11target_archE908ELNS1_3gpuE7ELNS1_3repE0EEENS1_30default_config_static_selectorELNS0_4arch9wavefront6targetE0EEEvS12_
	.p2align	8
	.type	_ZN7rocprim17ROCPRIM_400000_NS6detail17trampoline_kernelINS0_13select_configILj256ELj13ELNS0_17block_load_methodE3ELS4_3ELS4_3ELNS0_20block_scan_algorithmE0ELj4294967295EEENS1_25partition_config_selectorILNS1_17partition_subalgoE4EjNS0_10empty_typeEbEEZZNS1_14partition_implILS8_4ELb0ES6_15HIP_vector_typeIjLj2EENS0_17counting_iteratorIjlEEPS9_SG_NS0_5tupleIJPjSI_NS0_16reverse_iteratorISI_EEEEENSH_IJSG_SG_SG_EEES9_SI_JZNS1_25segmented_radix_sort_implINS0_14default_configELb1EPKsPsPKlPlN2at6native12_GLOBAL__N_18offset_tEEE10hipError_tPvRmT1_PNSt15iterator_traitsIS12_E10value_typeET2_T3_PNS13_IS18_E10value_typeET4_jRbjT5_S1E_jjP12ihipStream_tbEUljE_ZNSN_ISO_Lb1ESQ_SR_ST_SU_SY_EESZ_S10_S11_S12_S16_S17_S18_S1B_S1C_jS1D_jS1E_S1E_jjS1G_bEUljE0_EEESZ_S10_S11_S18_S1C_S1E_T6_T7_T9_mT8_S1G_bDpT10_ENKUlT_T0_E_clISt17integral_constantIbLb0EES1U_EEDaS1P_S1Q_EUlS1P_E_NS1_11comp_targetILNS1_3genE3ELNS1_11target_archE908ELNS1_3gpuE7ELNS1_3repE0EEENS1_30default_config_static_selectorELNS0_4arch9wavefront6targetE0EEEvS12_,@function
_ZN7rocprim17ROCPRIM_400000_NS6detail17trampoline_kernelINS0_13select_configILj256ELj13ELNS0_17block_load_methodE3ELS4_3ELS4_3ELNS0_20block_scan_algorithmE0ELj4294967295EEENS1_25partition_config_selectorILNS1_17partition_subalgoE4EjNS0_10empty_typeEbEEZZNS1_14partition_implILS8_4ELb0ES6_15HIP_vector_typeIjLj2EENS0_17counting_iteratorIjlEEPS9_SG_NS0_5tupleIJPjSI_NS0_16reverse_iteratorISI_EEEEENSH_IJSG_SG_SG_EEES9_SI_JZNS1_25segmented_radix_sort_implINS0_14default_configELb1EPKsPsPKlPlN2at6native12_GLOBAL__N_18offset_tEEE10hipError_tPvRmT1_PNSt15iterator_traitsIS12_E10value_typeET2_T3_PNS13_IS18_E10value_typeET4_jRbjT5_S1E_jjP12ihipStream_tbEUljE_ZNSN_ISO_Lb1ESQ_SR_ST_SU_SY_EESZ_S10_S11_S12_S16_S17_S18_S1B_S1C_jS1D_jS1E_S1E_jjS1G_bEUljE0_EEESZ_S10_S11_S18_S1C_S1E_T6_T7_T9_mT8_S1G_bDpT10_ENKUlT_T0_E_clISt17integral_constantIbLb0EES1U_EEDaS1P_S1Q_EUlS1P_E_NS1_11comp_targetILNS1_3genE3ELNS1_11target_archE908ELNS1_3gpuE7ELNS1_3repE0EEENS1_30default_config_static_selectorELNS0_4arch9wavefront6targetE0EEEvS12_: ; @_ZN7rocprim17ROCPRIM_400000_NS6detail17trampoline_kernelINS0_13select_configILj256ELj13ELNS0_17block_load_methodE3ELS4_3ELS4_3ELNS0_20block_scan_algorithmE0ELj4294967295EEENS1_25partition_config_selectorILNS1_17partition_subalgoE4EjNS0_10empty_typeEbEEZZNS1_14partition_implILS8_4ELb0ES6_15HIP_vector_typeIjLj2EENS0_17counting_iteratorIjlEEPS9_SG_NS0_5tupleIJPjSI_NS0_16reverse_iteratorISI_EEEEENSH_IJSG_SG_SG_EEES9_SI_JZNS1_25segmented_radix_sort_implINS0_14default_configELb1EPKsPsPKlPlN2at6native12_GLOBAL__N_18offset_tEEE10hipError_tPvRmT1_PNSt15iterator_traitsIS12_E10value_typeET2_T3_PNS13_IS18_E10value_typeET4_jRbjT5_S1E_jjP12ihipStream_tbEUljE_ZNSN_ISO_Lb1ESQ_SR_ST_SU_SY_EESZ_S10_S11_S12_S16_S17_S18_S1B_S1C_jS1D_jS1E_S1E_jjS1G_bEUljE0_EEESZ_S10_S11_S18_S1C_S1E_T6_T7_T9_mT8_S1G_bDpT10_ENKUlT_T0_E_clISt17integral_constantIbLb0EES1U_EEDaS1P_S1Q_EUlS1P_E_NS1_11comp_targetILNS1_3genE3ELNS1_11target_archE908ELNS1_3gpuE7ELNS1_3repE0EEENS1_30default_config_static_selectorELNS0_4arch9wavefront6targetE0EEEvS12_
; %bb.0:
	.section	.rodata,"a",@progbits
	.p2align	6, 0x0
	.amdhsa_kernel _ZN7rocprim17ROCPRIM_400000_NS6detail17trampoline_kernelINS0_13select_configILj256ELj13ELNS0_17block_load_methodE3ELS4_3ELS4_3ELNS0_20block_scan_algorithmE0ELj4294967295EEENS1_25partition_config_selectorILNS1_17partition_subalgoE4EjNS0_10empty_typeEbEEZZNS1_14partition_implILS8_4ELb0ES6_15HIP_vector_typeIjLj2EENS0_17counting_iteratorIjlEEPS9_SG_NS0_5tupleIJPjSI_NS0_16reverse_iteratorISI_EEEEENSH_IJSG_SG_SG_EEES9_SI_JZNS1_25segmented_radix_sort_implINS0_14default_configELb1EPKsPsPKlPlN2at6native12_GLOBAL__N_18offset_tEEE10hipError_tPvRmT1_PNSt15iterator_traitsIS12_E10value_typeET2_T3_PNS13_IS18_E10value_typeET4_jRbjT5_S1E_jjP12ihipStream_tbEUljE_ZNSN_ISO_Lb1ESQ_SR_ST_SU_SY_EESZ_S10_S11_S12_S16_S17_S18_S1B_S1C_jS1D_jS1E_S1E_jjS1G_bEUljE0_EEESZ_S10_S11_S18_S1C_S1E_T6_T7_T9_mT8_S1G_bDpT10_ENKUlT_T0_E_clISt17integral_constantIbLb0EES1U_EEDaS1P_S1Q_EUlS1P_E_NS1_11comp_targetILNS1_3genE3ELNS1_11target_archE908ELNS1_3gpuE7ELNS1_3repE0EEENS1_30default_config_static_selectorELNS0_4arch9wavefront6targetE0EEEvS12_
		.amdhsa_group_segment_fixed_size 0
		.amdhsa_private_segment_fixed_size 0
		.amdhsa_kernarg_size 176
		.amdhsa_user_sgpr_count 2
		.amdhsa_user_sgpr_dispatch_ptr 0
		.amdhsa_user_sgpr_queue_ptr 0
		.amdhsa_user_sgpr_kernarg_segment_ptr 1
		.amdhsa_user_sgpr_dispatch_id 0
		.amdhsa_user_sgpr_private_segment_size 0
		.amdhsa_wavefront_size32 1
		.amdhsa_uses_dynamic_stack 0
		.amdhsa_enable_private_segment 0
		.amdhsa_system_sgpr_workgroup_id_x 1
		.amdhsa_system_sgpr_workgroup_id_y 0
		.amdhsa_system_sgpr_workgroup_id_z 0
		.amdhsa_system_sgpr_workgroup_info 0
		.amdhsa_system_vgpr_workitem_id 0
		.amdhsa_next_free_vgpr 1
		.amdhsa_next_free_sgpr 1
		.amdhsa_reserve_vcc 0
		.amdhsa_float_round_mode_32 0
		.amdhsa_float_round_mode_16_64 0
		.amdhsa_float_denorm_mode_32 3
		.amdhsa_float_denorm_mode_16_64 3
		.amdhsa_fp16_overflow 0
		.amdhsa_workgroup_processor_mode 1
		.amdhsa_memory_ordered 1
		.amdhsa_forward_progress 1
		.amdhsa_inst_pref_size 0
		.amdhsa_round_robin_scheduling 0
		.amdhsa_exception_fp_ieee_invalid_op 0
		.amdhsa_exception_fp_denorm_src 0
		.amdhsa_exception_fp_ieee_div_zero 0
		.amdhsa_exception_fp_ieee_overflow 0
		.amdhsa_exception_fp_ieee_underflow 0
		.amdhsa_exception_fp_ieee_inexact 0
		.amdhsa_exception_int_div_zero 0
	.end_amdhsa_kernel
	.section	.text._ZN7rocprim17ROCPRIM_400000_NS6detail17trampoline_kernelINS0_13select_configILj256ELj13ELNS0_17block_load_methodE3ELS4_3ELS4_3ELNS0_20block_scan_algorithmE0ELj4294967295EEENS1_25partition_config_selectorILNS1_17partition_subalgoE4EjNS0_10empty_typeEbEEZZNS1_14partition_implILS8_4ELb0ES6_15HIP_vector_typeIjLj2EENS0_17counting_iteratorIjlEEPS9_SG_NS0_5tupleIJPjSI_NS0_16reverse_iteratorISI_EEEEENSH_IJSG_SG_SG_EEES9_SI_JZNS1_25segmented_radix_sort_implINS0_14default_configELb1EPKsPsPKlPlN2at6native12_GLOBAL__N_18offset_tEEE10hipError_tPvRmT1_PNSt15iterator_traitsIS12_E10value_typeET2_T3_PNS13_IS18_E10value_typeET4_jRbjT5_S1E_jjP12ihipStream_tbEUljE_ZNSN_ISO_Lb1ESQ_SR_ST_SU_SY_EESZ_S10_S11_S12_S16_S17_S18_S1B_S1C_jS1D_jS1E_S1E_jjS1G_bEUljE0_EEESZ_S10_S11_S18_S1C_S1E_T6_T7_T9_mT8_S1G_bDpT10_ENKUlT_T0_E_clISt17integral_constantIbLb0EES1U_EEDaS1P_S1Q_EUlS1P_E_NS1_11comp_targetILNS1_3genE3ELNS1_11target_archE908ELNS1_3gpuE7ELNS1_3repE0EEENS1_30default_config_static_selectorELNS0_4arch9wavefront6targetE0EEEvS12_,"axG",@progbits,_ZN7rocprim17ROCPRIM_400000_NS6detail17trampoline_kernelINS0_13select_configILj256ELj13ELNS0_17block_load_methodE3ELS4_3ELS4_3ELNS0_20block_scan_algorithmE0ELj4294967295EEENS1_25partition_config_selectorILNS1_17partition_subalgoE4EjNS0_10empty_typeEbEEZZNS1_14partition_implILS8_4ELb0ES6_15HIP_vector_typeIjLj2EENS0_17counting_iteratorIjlEEPS9_SG_NS0_5tupleIJPjSI_NS0_16reverse_iteratorISI_EEEEENSH_IJSG_SG_SG_EEES9_SI_JZNS1_25segmented_radix_sort_implINS0_14default_configELb1EPKsPsPKlPlN2at6native12_GLOBAL__N_18offset_tEEE10hipError_tPvRmT1_PNSt15iterator_traitsIS12_E10value_typeET2_T3_PNS13_IS18_E10value_typeET4_jRbjT5_S1E_jjP12ihipStream_tbEUljE_ZNSN_ISO_Lb1ESQ_SR_ST_SU_SY_EESZ_S10_S11_S12_S16_S17_S18_S1B_S1C_jS1D_jS1E_S1E_jjS1G_bEUljE0_EEESZ_S10_S11_S18_S1C_S1E_T6_T7_T9_mT8_S1G_bDpT10_ENKUlT_T0_E_clISt17integral_constantIbLb0EES1U_EEDaS1P_S1Q_EUlS1P_E_NS1_11comp_targetILNS1_3genE3ELNS1_11target_archE908ELNS1_3gpuE7ELNS1_3repE0EEENS1_30default_config_static_selectorELNS0_4arch9wavefront6targetE0EEEvS12_,comdat
.Lfunc_end850:
	.size	_ZN7rocprim17ROCPRIM_400000_NS6detail17trampoline_kernelINS0_13select_configILj256ELj13ELNS0_17block_load_methodE3ELS4_3ELS4_3ELNS0_20block_scan_algorithmE0ELj4294967295EEENS1_25partition_config_selectorILNS1_17partition_subalgoE4EjNS0_10empty_typeEbEEZZNS1_14partition_implILS8_4ELb0ES6_15HIP_vector_typeIjLj2EENS0_17counting_iteratorIjlEEPS9_SG_NS0_5tupleIJPjSI_NS0_16reverse_iteratorISI_EEEEENSH_IJSG_SG_SG_EEES9_SI_JZNS1_25segmented_radix_sort_implINS0_14default_configELb1EPKsPsPKlPlN2at6native12_GLOBAL__N_18offset_tEEE10hipError_tPvRmT1_PNSt15iterator_traitsIS12_E10value_typeET2_T3_PNS13_IS18_E10value_typeET4_jRbjT5_S1E_jjP12ihipStream_tbEUljE_ZNSN_ISO_Lb1ESQ_SR_ST_SU_SY_EESZ_S10_S11_S12_S16_S17_S18_S1B_S1C_jS1D_jS1E_S1E_jjS1G_bEUljE0_EEESZ_S10_S11_S18_S1C_S1E_T6_T7_T9_mT8_S1G_bDpT10_ENKUlT_T0_E_clISt17integral_constantIbLb0EES1U_EEDaS1P_S1Q_EUlS1P_E_NS1_11comp_targetILNS1_3genE3ELNS1_11target_archE908ELNS1_3gpuE7ELNS1_3repE0EEENS1_30default_config_static_selectorELNS0_4arch9wavefront6targetE0EEEvS12_, .Lfunc_end850-_ZN7rocprim17ROCPRIM_400000_NS6detail17trampoline_kernelINS0_13select_configILj256ELj13ELNS0_17block_load_methodE3ELS4_3ELS4_3ELNS0_20block_scan_algorithmE0ELj4294967295EEENS1_25partition_config_selectorILNS1_17partition_subalgoE4EjNS0_10empty_typeEbEEZZNS1_14partition_implILS8_4ELb0ES6_15HIP_vector_typeIjLj2EENS0_17counting_iteratorIjlEEPS9_SG_NS0_5tupleIJPjSI_NS0_16reverse_iteratorISI_EEEEENSH_IJSG_SG_SG_EEES9_SI_JZNS1_25segmented_radix_sort_implINS0_14default_configELb1EPKsPsPKlPlN2at6native12_GLOBAL__N_18offset_tEEE10hipError_tPvRmT1_PNSt15iterator_traitsIS12_E10value_typeET2_T3_PNS13_IS18_E10value_typeET4_jRbjT5_S1E_jjP12ihipStream_tbEUljE_ZNSN_ISO_Lb1ESQ_SR_ST_SU_SY_EESZ_S10_S11_S12_S16_S17_S18_S1B_S1C_jS1D_jS1E_S1E_jjS1G_bEUljE0_EEESZ_S10_S11_S18_S1C_S1E_T6_T7_T9_mT8_S1G_bDpT10_ENKUlT_T0_E_clISt17integral_constantIbLb0EES1U_EEDaS1P_S1Q_EUlS1P_E_NS1_11comp_targetILNS1_3genE3ELNS1_11target_archE908ELNS1_3gpuE7ELNS1_3repE0EEENS1_30default_config_static_selectorELNS0_4arch9wavefront6targetE0EEEvS12_
                                        ; -- End function
	.set _ZN7rocprim17ROCPRIM_400000_NS6detail17trampoline_kernelINS0_13select_configILj256ELj13ELNS0_17block_load_methodE3ELS4_3ELS4_3ELNS0_20block_scan_algorithmE0ELj4294967295EEENS1_25partition_config_selectorILNS1_17partition_subalgoE4EjNS0_10empty_typeEbEEZZNS1_14partition_implILS8_4ELb0ES6_15HIP_vector_typeIjLj2EENS0_17counting_iteratorIjlEEPS9_SG_NS0_5tupleIJPjSI_NS0_16reverse_iteratorISI_EEEEENSH_IJSG_SG_SG_EEES9_SI_JZNS1_25segmented_radix_sort_implINS0_14default_configELb1EPKsPsPKlPlN2at6native12_GLOBAL__N_18offset_tEEE10hipError_tPvRmT1_PNSt15iterator_traitsIS12_E10value_typeET2_T3_PNS13_IS18_E10value_typeET4_jRbjT5_S1E_jjP12ihipStream_tbEUljE_ZNSN_ISO_Lb1ESQ_SR_ST_SU_SY_EESZ_S10_S11_S12_S16_S17_S18_S1B_S1C_jS1D_jS1E_S1E_jjS1G_bEUljE0_EEESZ_S10_S11_S18_S1C_S1E_T6_T7_T9_mT8_S1G_bDpT10_ENKUlT_T0_E_clISt17integral_constantIbLb0EES1U_EEDaS1P_S1Q_EUlS1P_E_NS1_11comp_targetILNS1_3genE3ELNS1_11target_archE908ELNS1_3gpuE7ELNS1_3repE0EEENS1_30default_config_static_selectorELNS0_4arch9wavefront6targetE0EEEvS12_.num_vgpr, 0
	.set _ZN7rocprim17ROCPRIM_400000_NS6detail17trampoline_kernelINS0_13select_configILj256ELj13ELNS0_17block_load_methodE3ELS4_3ELS4_3ELNS0_20block_scan_algorithmE0ELj4294967295EEENS1_25partition_config_selectorILNS1_17partition_subalgoE4EjNS0_10empty_typeEbEEZZNS1_14partition_implILS8_4ELb0ES6_15HIP_vector_typeIjLj2EENS0_17counting_iteratorIjlEEPS9_SG_NS0_5tupleIJPjSI_NS0_16reverse_iteratorISI_EEEEENSH_IJSG_SG_SG_EEES9_SI_JZNS1_25segmented_radix_sort_implINS0_14default_configELb1EPKsPsPKlPlN2at6native12_GLOBAL__N_18offset_tEEE10hipError_tPvRmT1_PNSt15iterator_traitsIS12_E10value_typeET2_T3_PNS13_IS18_E10value_typeET4_jRbjT5_S1E_jjP12ihipStream_tbEUljE_ZNSN_ISO_Lb1ESQ_SR_ST_SU_SY_EESZ_S10_S11_S12_S16_S17_S18_S1B_S1C_jS1D_jS1E_S1E_jjS1G_bEUljE0_EEESZ_S10_S11_S18_S1C_S1E_T6_T7_T9_mT8_S1G_bDpT10_ENKUlT_T0_E_clISt17integral_constantIbLb0EES1U_EEDaS1P_S1Q_EUlS1P_E_NS1_11comp_targetILNS1_3genE3ELNS1_11target_archE908ELNS1_3gpuE7ELNS1_3repE0EEENS1_30default_config_static_selectorELNS0_4arch9wavefront6targetE0EEEvS12_.num_agpr, 0
	.set _ZN7rocprim17ROCPRIM_400000_NS6detail17trampoline_kernelINS0_13select_configILj256ELj13ELNS0_17block_load_methodE3ELS4_3ELS4_3ELNS0_20block_scan_algorithmE0ELj4294967295EEENS1_25partition_config_selectorILNS1_17partition_subalgoE4EjNS0_10empty_typeEbEEZZNS1_14partition_implILS8_4ELb0ES6_15HIP_vector_typeIjLj2EENS0_17counting_iteratorIjlEEPS9_SG_NS0_5tupleIJPjSI_NS0_16reverse_iteratorISI_EEEEENSH_IJSG_SG_SG_EEES9_SI_JZNS1_25segmented_radix_sort_implINS0_14default_configELb1EPKsPsPKlPlN2at6native12_GLOBAL__N_18offset_tEEE10hipError_tPvRmT1_PNSt15iterator_traitsIS12_E10value_typeET2_T3_PNS13_IS18_E10value_typeET4_jRbjT5_S1E_jjP12ihipStream_tbEUljE_ZNSN_ISO_Lb1ESQ_SR_ST_SU_SY_EESZ_S10_S11_S12_S16_S17_S18_S1B_S1C_jS1D_jS1E_S1E_jjS1G_bEUljE0_EEESZ_S10_S11_S18_S1C_S1E_T6_T7_T9_mT8_S1G_bDpT10_ENKUlT_T0_E_clISt17integral_constantIbLb0EES1U_EEDaS1P_S1Q_EUlS1P_E_NS1_11comp_targetILNS1_3genE3ELNS1_11target_archE908ELNS1_3gpuE7ELNS1_3repE0EEENS1_30default_config_static_selectorELNS0_4arch9wavefront6targetE0EEEvS12_.numbered_sgpr, 0
	.set _ZN7rocprim17ROCPRIM_400000_NS6detail17trampoline_kernelINS0_13select_configILj256ELj13ELNS0_17block_load_methodE3ELS4_3ELS4_3ELNS0_20block_scan_algorithmE0ELj4294967295EEENS1_25partition_config_selectorILNS1_17partition_subalgoE4EjNS0_10empty_typeEbEEZZNS1_14partition_implILS8_4ELb0ES6_15HIP_vector_typeIjLj2EENS0_17counting_iteratorIjlEEPS9_SG_NS0_5tupleIJPjSI_NS0_16reverse_iteratorISI_EEEEENSH_IJSG_SG_SG_EEES9_SI_JZNS1_25segmented_radix_sort_implINS0_14default_configELb1EPKsPsPKlPlN2at6native12_GLOBAL__N_18offset_tEEE10hipError_tPvRmT1_PNSt15iterator_traitsIS12_E10value_typeET2_T3_PNS13_IS18_E10value_typeET4_jRbjT5_S1E_jjP12ihipStream_tbEUljE_ZNSN_ISO_Lb1ESQ_SR_ST_SU_SY_EESZ_S10_S11_S12_S16_S17_S18_S1B_S1C_jS1D_jS1E_S1E_jjS1G_bEUljE0_EEESZ_S10_S11_S18_S1C_S1E_T6_T7_T9_mT8_S1G_bDpT10_ENKUlT_T0_E_clISt17integral_constantIbLb0EES1U_EEDaS1P_S1Q_EUlS1P_E_NS1_11comp_targetILNS1_3genE3ELNS1_11target_archE908ELNS1_3gpuE7ELNS1_3repE0EEENS1_30default_config_static_selectorELNS0_4arch9wavefront6targetE0EEEvS12_.num_named_barrier, 0
	.set _ZN7rocprim17ROCPRIM_400000_NS6detail17trampoline_kernelINS0_13select_configILj256ELj13ELNS0_17block_load_methodE3ELS4_3ELS4_3ELNS0_20block_scan_algorithmE0ELj4294967295EEENS1_25partition_config_selectorILNS1_17partition_subalgoE4EjNS0_10empty_typeEbEEZZNS1_14partition_implILS8_4ELb0ES6_15HIP_vector_typeIjLj2EENS0_17counting_iteratorIjlEEPS9_SG_NS0_5tupleIJPjSI_NS0_16reverse_iteratorISI_EEEEENSH_IJSG_SG_SG_EEES9_SI_JZNS1_25segmented_radix_sort_implINS0_14default_configELb1EPKsPsPKlPlN2at6native12_GLOBAL__N_18offset_tEEE10hipError_tPvRmT1_PNSt15iterator_traitsIS12_E10value_typeET2_T3_PNS13_IS18_E10value_typeET4_jRbjT5_S1E_jjP12ihipStream_tbEUljE_ZNSN_ISO_Lb1ESQ_SR_ST_SU_SY_EESZ_S10_S11_S12_S16_S17_S18_S1B_S1C_jS1D_jS1E_S1E_jjS1G_bEUljE0_EEESZ_S10_S11_S18_S1C_S1E_T6_T7_T9_mT8_S1G_bDpT10_ENKUlT_T0_E_clISt17integral_constantIbLb0EES1U_EEDaS1P_S1Q_EUlS1P_E_NS1_11comp_targetILNS1_3genE3ELNS1_11target_archE908ELNS1_3gpuE7ELNS1_3repE0EEENS1_30default_config_static_selectorELNS0_4arch9wavefront6targetE0EEEvS12_.private_seg_size, 0
	.set _ZN7rocprim17ROCPRIM_400000_NS6detail17trampoline_kernelINS0_13select_configILj256ELj13ELNS0_17block_load_methodE3ELS4_3ELS4_3ELNS0_20block_scan_algorithmE0ELj4294967295EEENS1_25partition_config_selectorILNS1_17partition_subalgoE4EjNS0_10empty_typeEbEEZZNS1_14partition_implILS8_4ELb0ES6_15HIP_vector_typeIjLj2EENS0_17counting_iteratorIjlEEPS9_SG_NS0_5tupleIJPjSI_NS0_16reverse_iteratorISI_EEEEENSH_IJSG_SG_SG_EEES9_SI_JZNS1_25segmented_radix_sort_implINS0_14default_configELb1EPKsPsPKlPlN2at6native12_GLOBAL__N_18offset_tEEE10hipError_tPvRmT1_PNSt15iterator_traitsIS12_E10value_typeET2_T3_PNS13_IS18_E10value_typeET4_jRbjT5_S1E_jjP12ihipStream_tbEUljE_ZNSN_ISO_Lb1ESQ_SR_ST_SU_SY_EESZ_S10_S11_S12_S16_S17_S18_S1B_S1C_jS1D_jS1E_S1E_jjS1G_bEUljE0_EEESZ_S10_S11_S18_S1C_S1E_T6_T7_T9_mT8_S1G_bDpT10_ENKUlT_T0_E_clISt17integral_constantIbLb0EES1U_EEDaS1P_S1Q_EUlS1P_E_NS1_11comp_targetILNS1_3genE3ELNS1_11target_archE908ELNS1_3gpuE7ELNS1_3repE0EEENS1_30default_config_static_selectorELNS0_4arch9wavefront6targetE0EEEvS12_.uses_vcc, 0
	.set _ZN7rocprim17ROCPRIM_400000_NS6detail17trampoline_kernelINS0_13select_configILj256ELj13ELNS0_17block_load_methodE3ELS4_3ELS4_3ELNS0_20block_scan_algorithmE0ELj4294967295EEENS1_25partition_config_selectorILNS1_17partition_subalgoE4EjNS0_10empty_typeEbEEZZNS1_14partition_implILS8_4ELb0ES6_15HIP_vector_typeIjLj2EENS0_17counting_iteratorIjlEEPS9_SG_NS0_5tupleIJPjSI_NS0_16reverse_iteratorISI_EEEEENSH_IJSG_SG_SG_EEES9_SI_JZNS1_25segmented_radix_sort_implINS0_14default_configELb1EPKsPsPKlPlN2at6native12_GLOBAL__N_18offset_tEEE10hipError_tPvRmT1_PNSt15iterator_traitsIS12_E10value_typeET2_T3_PNS13_IS18_E10value_typeET4_jRbjT5_S1E_jjP12ihipStream_tbEUljE_ZNSN_ISO_Lb1ESQ_SR_ST_SU_SY_EESZ_S10_S11_S12_S16_S17_S18_S1B_S1C_jS1D_jS1E_S1E_jjS1G_bEUljE0_EEESZ_S10_S11_S18_S1C_S1E_T6_T7_T9_mT8_S1G_bDpT10_ENKUlT_T0_E_clISt17integral_constantIbLb0EES1U_EEDaS1P_S1Q_EUlS1P_E_NS1_11comp_targetILNS1_3genE3ELNS1_11target_archE908ELNS1_3gpuE7ELNS1_3repE0EEENS1_30default_config_static_selectorELNS0_4arch9wavefront6targetE0EEEvS12_.uses_flat_scratch, 0
	.set _ZN7rocprim17ROCPRIM_400000_NS6detail17trampoline_kernelINS0_13select_configILj256ELj13ELNS0_17block_load_methodE3ELS4_3ELS4_3ELNS0_20block_scan_algorithmE0ELj4294967295EEENS1_25partition_config_selectorILNS1_17partition_subalgoE4EjNS0_10empty_typeEbEEZZNS1_14partition_implILS8_4ELb0ES6_15HIP_vector_typeIjLj2EENS0_17counting_iteratorIjlEEPS9_SG_NS0_5tupleIJPjSI_NS0_16reverse_iteratorISI_EEEEENSH_IJSG_SG_SG_EEES9_SI_JZNS1_25segmented_radix_sort_implINS0_14default_configELb1EPKsPsPKlPlN2at6native12_GLOBAL__N_18offset_tEEE10hipError_tPvRmT1_PNSt15iterator_traitsIS12_E10value_typeET2_T3_PNS13_IS18_E10value_typeET4_jRbjT5_S1E_jjP12ihipStream_tbEUljE_ZNSN_ISO_Lb1ESQ_SR_ST_SU_SY_EESZ_S10_S11_S12_S16_S17_S18_S1B_S1C_jS1D_jS1E_S1E_jjS1G_bEUljE0_EEESZ_S10_S11_S18_S1C_S1E_T6_T7_T9_mT8_S1G_bDpT10_ENKUlT_T0_E_clISt17integral_constantIbLb0EES1U_EEDaS1P_S1Q_EUlS1P_E_NS1_11comp_targetILNS1_3genE3ELNS1_11target_archE908ELNS1_3gpuE7ELNS1_3repE0EEENS1_30default_config_static_selectorELNS0_4arch9wavefront6targetE0EEEvS12_.has_dyn_sized_stack, 0
	.set _ZN7rocprim17ROCPRIM_400000_NS6detail17trampoline_kernelINS0_13select_configILj256ELj13ELNS0_17block_load_methodE3ELS4_3ELS4_3ELNS0_20block_scan_algorithmE0ELj4294967295EEENS1_25partition_config_selectorILNS1_17partition_subalgoE4EjNS0_10empty_typeEbEEZZNS1_14partition_implILS8_4ELb0ES6_15HIP_vector_typeIjLj2EENS0_17counting_iteratorIjlEEPS9_SG_NS0_5tupleIJPjSI_NS0_16reverse_iteratorISI_EEEEENSH_IJSG_SG_SG_EEES9_SI_JZNS1_25segmented_radix_sort_implINS0_14default_configELb1EPKsPsPKlPlN2at6native12_GLOBAL__N_18offset_tEEE10hipError_tPvRmT1_PNSt15iterator_traitsIS12_E10value_typeET2_T3_PNS13_IS18_E10value_typeET4_jRbjT5_S1E_jjP12ihipStream_tbEUljE_ZNSN_ISO_Lb1ESQ_SR_ST_SU_SY_EESZ_S10_S11_S12_S16_S17_S18_S1B_S1C_jS1D_jS1E_S1E_jjS1G_bEUljE0_EEESZ_S10_S11_S18_S1C_S1E_T6_T7_T9_mT8_S1G_bDpT10_ENKUlT_T0_E_clISt17integral_constantIbLb0EES1U_EEDaS1P_S1Q_EUlS1P_E_NS1_11comp_targetILNS1_3genE3ELNS1_11target_archE908ELNS1_3gpuE7ELNS1_3repE0EEENS1_30default_config_static_selectorELNS0_4arch9wavefront6targetE0EEEvS12_.has_recursion, 0
	.set _ZN7rocprim17ROCPRIM_400000_NS6detail17trampoline_kernelINS0_13select_configILj256ELj13ELNS0_17block_load_methodE3ELS4_3ELS4_3ELNS0_20block_scan_algorithmE0ELj4294967295EEENS1_25partition_config_selectorILNS1_17partition_subalgoE4EjNS0_10empty_typeEbEEZZNS1_14partition_implILS8_4ELb0ES6_15HIP_vector_typeIjLj2EENS0_17counting_iteratorIjlEEPS9_SG_NS0_5tupleIJPjSI_NS0_16reverse_iteratorISI_EEEEENSH_IJSG_SG_SG_EEES9_SI_JZNS1_25segmented_radix_sort_implINS0_14default_configELb1EPKsPsPKlPlN2at6native12_GLOBAL__N_18offset_tEEE10hipError_tPvRmT1_PNSt15iterator_traitsIS12_E10value_typeET2_T3_PNS13_IS18_E10value_typeET4_jRbjT5_S1E_jjP12ihipStream_tbEUljE_ZNSN_ISO_Lb1ESQ_SR_ST_SU_SY_EESZ_S10_S11_S12_S16_S17_S18_S1B_S1C_jS1D_jS1E_S1E_jjS1G_bEUljE0_EEESZ_S10_S11_S18_S1C_S1E_T6_T7_T9_mT8_S1G_bDpT10_ENKUlT_T0_E_clISt17integral_constantIbLb0EES1U_EEDaS1P_S1Q_EUlS1P_E_NS1_11comp_targetILNS1_3genE3ELNS1_11target_archE908ELNS1_3gpuE7ELNS1_3repE0EEENS1_30default_config_static_selectorELNS0_4arch9wavefront6targetE0EEEvS12_.has_indirect_call, 0
	.section	.AMDGPU.csdata,"",@progbits
; Kernel info:
; codeLenInByte = 0
; TotalNumSgprs: 0
; NumVgprs: 0
; ScratchSize: 0
; MemoryBound: 0
; FloatMode: 240
; IeeeMode: 1
; LDSByteSize: 0 bytes/workgroup (compile time only)
; SGPRBlocks: 0
; VGPRBlocks: 0
; NumSGPRsForWavesPerEU: 1
; NumVGPRsForWavesPerEU: 1
; Occupancy: 16
; WaveLimiterHint : 0
; COMPUTE_PGM_RSRC2:SCRATCH_EN: 0
; COMPUTE_PGM_RSRC2:USER_SGPR: 2
; COMPUTE_PGM_RSRC2:TRAP_HANDLER: 0
; COMPUTE_PGM_RSRC2:TGID_X_EN: 1
; COMPUTE_PGM_RSRC2:TGID_Y_EN: 0
; COMPUTE_PGM_RSRC2:TGID_Z_EN: 0
; COMPUTE_PGM_RSRC2:TIDIG_COMP_CNT: 0
	.section	.text._ZN7rocprim17ROCPRIM_400000_NS6detail17trampoline_kernelINS0_13select_configILj256ELj13ELNS0_17block_load_methodE3ELS4_3ELS4_3ELNS0_20block_scan_algorithmE0ELj4294967295EEENS1_25partition_config_selectorILNS1_17partition_subalgoE4EjNS0_10empty_typeEbEEZZNS1_14partition_implILS8_4ELb0ES6_15HIP_vector_typeIjLj2EENS0_17counting_iteratorIjlEEPS9_SG_NS0_5tupleIJPjSI_NS0_16reverse_iteratorISI_EEEEENSH_IJSG_SG_SG_EEES9_SI_JZNS1_25segmented_radix_sort_implINS0_14default_configELb1EPKsPsPKlPlN2at6native12_GLOBAL__N_18offset_tEEE10hipError_tPvRmT1_PNSt15iterator_traitsIS12_E10value_typeET2_T3_PNS13_IS18_E10value_typeET4_jRbjT5_S1E_jjP12ihipStream_tbEUljE_ZNSN_ISO_Lb1ESQ_SR_ST_SU_SY_EESZ_S10_S11_S12_S16_S17_S18_S1B_S1C_jS1D_jS1E_S1E_jjS1G_bEUljE0_EEESZ_S10_S11_S18_S1C_S1E_T6_T7_T9_mT8_S1G_bDpT10_ENKUlT_T0_E_clISt17integral_constantIbLb0EES1U_EEDaS1P_S1Q_EUlS1P_E_NS1_11comp_targetILNS1_3genE2ELNS1_11target_archE906ELNS1_3gpuE6ELNS1_3repE0EEENS1_30default_config_static_selectorELNS0_4arch9wavefront6targetE0EEEvS12_,"axG",@progbits,_ZN7rocprim17ROCPRIM_400000_NS6detail17trampoline_kernelINS0_13select_configILj256ELj13ELNS0_17block_load_methodE3ELS4_3ELS4_3ELNS0_20block_scan_algorithmE0ELj4294967295EEENS1_25partition_config_selectorILNS1_17partition_subalgoE4EjNS0_10empty_typeEbEEZZNS1_14partition_implILS8_4ELb0ES6_15HIP_vector_typeIjLj2EENS0_17counting_iteratorIjlEEPS9_SG_NS0_5tupleIJPjSI_NS0_16reverse_iteratorISI_EEEEENSH_IJSG_SG_SG_EEES9_SI_JZNS1_25segmented_radix_sort_implINS0_14default_configELb1EPKsPsPKlPlN2at6native12_GLOBAL__N_18offset_tEEE10hipError_tPvRmT1_PNSt15iterator_traitsIS12_E10value_typeET2_T3_PNS13_IS18_E10value_typeET4_jRbjT5_S1E_jjP12ihipStream_tbEUljE_ZNSN_ISO_Lb1ESQ_SR_ST_SU_SY_EESZ_S10_S11_S12_S16_S17_S18_S1B_S1C_jS1D_jS1E_S1E_jjS1G_bEUljE0_EEESZ_S10_S11_S18_S1C_S1E_T6_T7_T9_mT8_S1G_bDpT10_ENKUlT_T0_E_clISt17integral_constantIbLb0EES1U_EEDaS1P_S1Q_EUlS1P_E_NS1_11comp_targetILNS1_3genE2ELNS1_11target_archE906ELNS1_3gpuE6ELNS1_3repE0EEENS1_30default_config_static_selectorELNS0_4arch9wavefront6targetE0EEEvS12_,comdat
	.globl	_ZN7rocprim17ROCPRIM_400000_NS6detail17trampoline_kernelINS0_13select_configILj256ELj13ELNS0_17block_load_methodE3ELS4_3ELS4_3ELNS0_20block_scan_algorithmE0ELj4294967295EEENS1_25partition_config_selectorILNS1_17partition_subalgoE4EjNS0_10empty_typeEbEEZZNS1_14partition_implILS8_4ELb0ES6_15HIP_vector_typeIjLj2EENS0_17counting_iteratorIjlEEPS9_SG_NS0_5tupleIJPjSI_NS0_16reverse_iteratorISI_EEEEENSH_IJSG_SG_SG_EEES9_SI_JZNS1_25segmented_radix_sort_implINS0_14default_configELb1EPKsPsPKlPlN2at6native12_GLOBAL__N_18offset_tEEE10hipError_tPvRmT1_PNSt15iterator_traitsIS12_E10value_typeET2_T3_PNS13_IS18_E10value_typeET4_jRbjT5_S1E_jjP12ihipStream_tbEUljE_ZNSN_ISO_Lb1ESQ_SR_ST_SU_SY_EESZ_S10_S11_S12_S16_S17_S18_S1B_S1C_jS1D_jS1E_S1E_jjS1G_bEUljE0_EEESZ_S10_S11_S18_S1C_S1E_T6_T7_T9_mT8_S1G_bDpT10_ENKUlT_T0_E_clISt17integral_constantIbLb0EES1U_EEDaS1P_S1Q_EUlS1P_E_NS1_11comp_targetILNS1_3genE2ELNS1_11target_archE906ELNS1_3gpuE6ELNS1_3repE0EEENS1_30default_config_static_selectorELNS0_4arch9wavefront6targetE0EEEvS12_ ; -- Begin function _ZN7rocprim17ROCPRIM_400000_NS6detail17trampoline_kernelINS0_13select_configILj256ELj13ELNS0_17block_load_methodE3ELS4_3ELS4_3ELNS0_20block_scan_algorithmE0ELj4294967295EEENS1_25partition_config_selectorILNS1_17partition_subalgoE4EjNS0_10empty_typeEbEEZZNS1_14partition_implILS8_4ELb0ES6_15HIP_vector_typeIjLj2EENS0_17counting_iteratorIjlEEPS9_SG_NS0_5tupleIJPjSI_NS0_16reverse_iteratorISI_EEEEENSH_IJSG_SG_SG_EEES9_SI_JZNS1_25segmented_radix_sort_implINS0_14default_configELb1EPKsPsPKlPlN2at6native12_GLOBAL__N_18offset_tEEE10hipError_tPvRmT1_PNSt15iterator_traitsIS12_E10value_typeET2_T3_PNS13_IS18_E10value_typeET4_jRbjT5_S1E_jjP12ihipStream_tbEUljE_ZNSN_ISO_Lb1ESQ_SR_ST_SU_SY_EESZ_S10_S11_S12_S16_S17_S18_S1B_S1C_jS1D_jS1E_S1E_jjS1G_bEUljE0_EEESZ_S10_S11_S18_S1C_S1E_T6_T7_T9_mT8_S1G_bDpT10_ENKUlT_T0_E_clISt17integral_constantIbLb0EES1U_EEDaS1P_S1Q_EUlS1P_E_NS1_11comp_targetILNS1_3genE2ELNS1_11target_archE906ELNS1_3gpuE6ELNS1_3repE0EEENS1_30default_config_static_selectorELNS0_4arch9wavefront6targetE0EEEvS12_
	.p2align	8
	.type	_ZN7rocprim17ROCPRIM_400000_NS6detail17trampoline_kernelINS0_13select_configILj256ELj13ELNS0_17block_load_methodE3ELS4_3ELS4_3ELNS0_20block_scan_algorithmE0ELj4294967295EEENS1_25partition_config_selectorILNS1_17partition_subalgoE4EjNS0_10empty_typeEbEEZZNS1_14partition_implILS8_4ELb0ES6_15HIP_vector_typeIjLj2EENS0_17counting_iteratorIjlEEPS9_SG_NS0_5tupleIJPjSI_NS0_16reverse_iteratorISI_EEEEENSH_IJSG_SG_SG_EEES9_SI_JZNS1_25segmented_radix_sort_implINS0_14default_configELb1EPKsPsPKlPlN2at6native12_GLOBAL__N_18offset_tEEE10hipError_tPvRmT1_PNSt15iterator_traitsIS12_E10value_typeET2_T3_PNS13_IS18_E10value_typeET4_jRbjT5_S1E_jjP12ihipStream_tbEUljE_ZNSN_ISO_Lb1ESQ_SR_ST_SU_SY_EESZ_S10_S11_S12_S16_S17_S18_S1B_S1C_jS1D_jS1E_S1E_jjS1G_bEUljE0_EEESZ_S10_S11_S18_S1C_S1E_T6_T7_T9_mT8_S1G_bDpT10_ENKUlT_T0_E_clISt17integral_constantIbLb0EES1U_EEDaS1P_S1Q_EUlS1P_E_NS1_11comp_targetILNS1_3genE2ELNS1_11target_archE906ELNS1_3gpuE6ELNS1_3repE0EEENS1_30default_config_static_selectorELNS0_4arch9wavefront6targetE0EEEvS12_,@function
_ZN7rocprim17ROCPRIM_400000_NS6detail17trampoline_kernelINS0_13select_configILj256ELj13ELNS0_17block_load_methodE3ELS4_3ELS4_3ELNS0_20block_scan_algorithmE0ELj4294967295EEENS1_25partition_config_selectorILNS1_17partition_subalgoE4EjNS0_10empty_typeEbEEZZNS1_14partition_implILS8_4ELb0ES6_15HIP_vector_typeIjLj2EENS0_17counting_iteratorIjlEEPS9_SG_NS0_5tupleIJPjSI_NS0_16reverse_iteratorISI_EEEEENSH_IJSG_SG_SG_EEES9_SI_JZNS1_25segmented_radix_sort_implINS0_14default_configELb1EPKsPsPKlPlN2at6native12_GLOBAL__N_18offset_tEEE10hipError_tPvRmT1_PNSt15iterator_traitsIS12_E10value_typeET2_T3_PNS13_IS18_E10value_typeET4_jRbjT5_S1E_jjP12ihipStream_tbEUljE_ZNSN_ISO_Lb1ESQ_SR_ST_SU_SY_EESZ_S10_S11_S12_S16_S17_S18_S1B_S1C_jS1D_jS1E_S1E_jjS1G_bEUljE0_EEESZ_S10_S11_S18_S1C_S1E_T6_T7_T9_mT8_S1G_bDpT10_ENKUlT_T0_E_clISt17integral_constantIbLb0EES1U_EEDaS1P_S1Q_EUlS1P_E_NS1_11comp_targetILNS1_3genE2ELNS1_11target_archE906ELNS1_3gpuE6ELNS1_3repE0EEENS1_30default_config_static_selectorELNS0_4arch9wavefront6targetE0EEEvS12_: ; @_ZN7rocprim17ROCPRIM_400000_NS6detail17trampoline_kernelINS0_13select_configILj256ELj13ELNS0_17block_load_methodE3ELS4_3ELS4_3ELNS0_20block_scan_algorithmE0ELj4294967295EEENS1_25partition_config_selectorILNS1_17partition_subalgoE4EjNS0_10empty_typeEbEEZZNS1_14partition_implILS8_4ELb0ES6_15HIP_vector_typeIjLj2EENS0_17counting_iteratorIjlEEPS9_SG_NS0_5tupleIJPjSI_NS0_16reverse_iteratorISI_EEEEENSH_IJSG_SG_SG_EEES9_SI_JZNS1_25segmented_radix_sort_implINS0_14default_configELb1EPKsPsPKlPlN2at6native12_GLOBAL__N_18offset_tEEE10hipError_tPvRmT1_PNSt15iterator_traitsIS12_E10value_typeET2_T3_PNS13_IS18_E10value_typeET4_jRbjT5_S1E_jjP12ihipStream_tbEUljE_ZNSN_ISO_Lb1ESQ_SR_ST_SU_SY_EESZ_S10_S11_S12_S16_S17_S18_S1B_S1C_jS1D_jS1E_S1E_jjS1G_bEUljE0_EEESZ_S10_S11_S18_S1C_S1E_T6_T7_T9_mT8_S1G_bDpT10_ENKUlT_T0_E_clISt17integral_constantIbLb0EES1U_EEDaS1P_S1Q_EUlS1P_E_NS1_11comp_targetILNS1_3genE2ELNS1_11target_archE906ELNS1_3gpuE6ELNS1_3repE0EEENS1_30default_config_static_selectorELNS0_4arch9wavefront6targetE0EEEvS12_
; %bb.0:
	.section	.rodata,"a",@progbits
	.p2align	6, 0x0
	.amdhsa_kernel _ZN7rocprim17ROCPRIM_400000_NS6detail17trampoline_kernelINS0_13select_configILj256ELj13ELNS0_17block_load_methodE3ELS4_3ELS4_3ELNS0_20block_scan_algorithmE0ELj4294967295EEENS1_25partition_config_selectorILNS1_17partition_subalgoE4EjNS0_10empty_typeEbEEZZNS1_14partition_implILS8_4ELb0ES6_15HIP_vector_typeIjLj2EENS0_17counting_iteratorIjlEEPS9_SG_NS0_5tupleIJPjSI_NS0_16reverse_iteratorISI_EEEEENSH_IJSG_SG_SG_EEES9_SI_JZNS1_25segmented_radix_sort_implINS0_14default_configELb1EPKsPsPKlPlN2at6native12_GLOBAL__N_18offset_tEEE10hipError_tPvRmT1_PNSt15iterator_traitsIS12_E10value_typeET2_T3_PNS13_IS18_E10value_typeET4_jRbjT5_S1E_jjP12ihipStream_tbEUljE_ZNSN_ISO_Lb1ESQ_SR_ST_SU_SY_EESZ_S10_S11_S12_S16_S17_S18_S1B_S1C_jS1D_jS1E_S1E_jjS1G_bEUljE0_EEESZ_S10_S11_S18_S1C_S1E_T6_T7_T9_mT8_S1G_bDpT10_ENKUlT_T0_E_clISt17integral_constantIbLb0EES1U_EEDaS1P_S1Q_EUlS1P_E_NS1_11comp_targetILNS1_3genE2ELNS1_11target_archE906ELNS1_3gpuE6ELNS1_3repE0EEENS1_30default_config_static_selectorELNS0_4arch9wavefront6targetE0EEEvS12_
		.amdhsa_group_segment_fixed_size 0
		.amdhsa_private_segment_fixed_size 0
		.amdhsa_kernarg_size 176
		.amdhsa_user_sgpr_count 2
		.amdhsa_user_sgpr_dispatch_ptr 0
		.amdhsa_user_sgpr_queue_ptr 0
		.amdhsa_user_sgpr_kernarg_segment_ptr 1
		.amdhsa_user_sgpr_dispatch_id 0
		.amdhsa_user_sgpr_private_segment_size 0
		.amdhsa_wavefront_size32 1
		.amdhsa_uses_dynamic_stack 0
		.amdhsa_enable_private_segment 0
		.amdhsa_system_sgpr_workgroup_id_x 1
		.amdhsa_system_sgpr_workgroup_id_y 0
		.amdhsa_system_sgpr_workgroup_id_z 0
		.amdhsa_system_sgpr_workgroup_info 0
		.amdhsa_system_vgpr_workitem_id 0
		.amdhsa_next_free_vgpr 1
		.amdhsa_next_free_sgpr 1
		.amdhsa_reserve_vcc 0
		.amdhsa_float_round_mode_32 0
		.amdhsa_float_round_mode_16_64 0
		.amdhsa_float_denorm_mode_32 3
		.amdhsa_float_denorm_mode_16_64 3
		.amdhsa_fp16_overflow 0
		.amdhsa_workgroup_processor_mode 1
		.amdhsa_memory_ordered 1
		.amdhsa_forward_progress 1
		.amdhsa_inst_pref_size 0
		.amdhsa_round_robin_scheduling 0
		.amdhsa_exception_fp_ieee_invalid_op 0
		.amdhsa_exception_fp_denorm_src 0
		.amdhsa_exception_fp_ieee_div_zero 0
		.amdhsa_exception_fp_ieee_overflow 0
		.amdhsa_exception_fp_ieee_underflow 0
		.amdhsa_exception_fp_ieee_inexact 0
		.amdhsa_exception_int_div_zero 0
	.end_amdhsa_kernel
	.section	.text._ZN7rocprim17ROCPRIM_400000_NS6detail17trampoline_kernelINS0_13select_configILj256ELj13ELNS0_17block_load_methodE3ELS4_3ELS4_3ELNS0_20block_scan_algorithmE0ELj4294967295EEENS1_25partition_config_selectorILNS1_17partition_subalgoE4EjNS0_10empty_typeEbEEZZNS1_14partition_implILS8_4ELb0ES6_15HIP_vector_typeIjLj2EENS0_17counting_iteratorIjlEEPS9_SG_NS0_5tupleIJPjSI_NS0_16reverse_iteratorISI_EEEEENSH_IJSG_SG_SG_EEES9_SI_JZNS1_25segmented_radix_sort_implINS0_14default_configELb1EPKsPsPKlPlN2at6native12_GLOBAL__N_18offset_tEEE10hipError_tPvRmT1_PNSt15iterator_traitsIS12_E10value_typeET2_T3_PNS13_IS18_E10value_typeET4_jRbjT5_S1E_jjP12ihipStream_tbEUljE_ZNSN_ISO_Lb1ESQ_SR_ST_SU_SY_EESZ_S10_S11_S12_S16_S17_S18_S1B_S1C_jS1D_jS1E_S1E_jjS1G_bEUljE0_EEESZ_S10_S11_S18_S1C_S1E_T6_T7_T9_mT8_S1G_bDpT10_ENKUlT_T0_E_clISt17integral_constantIbLb0EES1U_EEDaS1P_S1Q_EUlS1P_E_NS1_11comp_targetILNS1_3genE2ELNS1_11target_archE906ELNS1_3gpuE6ELNS1_3repE0EEENS1_30default_config_static_selectorELNS0_4arch9wavefront6targetE0EEEvS12_,"axG",@progbits,_ZN7rocprim17ROCPRIM_400000_NS6detail17trampoline_kernelINS0_13select_configILj256ELj13ELNS0_17block_load_methodE3ELS4_3ELS4_3ELNS0_20block_scan_algorithmE0ELj4294967295EEENS1_25partition_config_selectorILNS1_17partition_subalgoE4EjNS0_10empty_typeEbEEZZNS1_14partition_implILS8_4ELb0ES6_15HIP_vector_typeIjLj2EENS0_17counting_iteratorIjlEEPS9_SG_NS0_5tupleIJPjSI_NS0_16reverse_iteratorISI_EEEEENSH_IJSG_SG_SG_EEES9_SI_JZNS1_25segmented_radix_sort_implINS0_14default_configELb1EPKsPsPKlPlN2at6native12_GLOBAL__N_18offset_tEEE10hipError_tPvRmT1_PNSt15iterator_traitsIS12_E10value_typeET2_T3_PNS13_IS18_E10value_typeET4_jRbjT5_S1E_jjP12ihipStream_tbEUljE_ZNSN_ISO_Lb1ESQ_SR_ST_SU_SY_EESZ_S10_S11_S12_S16_S17_S18_S1B_S1C_jS1D_jS1E_S1E_jjS1G_bEUljE0_EEESZ_S10_S11_S18_S1C_S1E_T6_T7_T9_mT8_S1G_bDpT10_ENKUlT_T0_E_clISt17integral_constantIbLb0EES1U_EEDaS1P_S1Q_EUlS1P_E_NS1_11comp_targetILNS1_3genE2ELNS1_11target_archE906ELNS1_3gpuE6ELNS1_3repE0EEENS1_30default_config_static_selectorELNS0_4arch9wavefront6targetE0EEEvS12_,comdat
.Lfunc_end851:
	.size	_ZN7rocprim17ROCPRIM_400000_NS6detail17trampoline_kernelINS0_13select_configILj256ELj13ELNS0_17block_load_methodE3ELS4_3ELS4_3ELNS0_20block_scan_algorithmE0ELj4294967295EEENS1_25partition_config_selectorILNS1_17partition_subalgoE4EjNS0_10empty_typeEbEEZZNS1_14partition_implILS8_4ELb0ES6_15HIP_vector_typeIjLj2EENS0_17counting_iteratorIjlEEPS9_SG_NS0_5tupleIJPjSI_NS0_16reverse_iteratorISI_EEEEENSH_IJSG_SG_SG_EEES9_SI_JZNS1_25segmented_radix_sort_implINS0_14default_configELb1EPKsPsPKlPlN2at6native12_GLOBAL__N_18offset_tEEE10hipError_tPvRmT1_PNSt15iterator_traitsIS12_E10value_typeET2_T3_PNS13_IS18_E10value_typeET4_jRbjT5_S1E_jjP12ihipStream_tbEUljE_ZNSN_ISO_Lb1ESQ_SR_ST_SU_SY_EESZ_S10_S11_S12_S16_S17_S18_S1B_S1C_jS1D_jS1E_S1E_jjS1G_bEUljE0_EEESZ_S10_S11_S18_S1C_S1E_T6_T7_T9_mT8_S1G_bDpT10_ENKUlT_T0_E_clISt17integral_constantIbLb0EES1U_EEDaS1P_S1Q_EUlS1P_E_NS1_11comp_targetILNS1_3genE2ELNS1_11target_archE906ELNS1_3gpuE6ELNS1_3repE0EEENS1_30default_config_static_selectorELNS0_4arch9wavefront6targetE0EEEvS12_, .Lfunc_end851-_ZN7rocprim17ROCPRIM_400000_NS6detail17trampoline_kernelINS0_13select_configILj256ELj13ELNS0_17block_load_methodE3ELS4_3ELS4_3ELNS0_20block_scan_algorithmE0ELj4294967295EEENS1_25partition_config_selectorILNS1_17partition_subalgoE4EjNS0_10empty_typeEbEEZZNS1_14partition_implILS8_4ELb0ES6_15HIP_vector_typeIjLj2EENS0_17counting_iteratorIjlEEPS9_SG_NS0_5tupleIJPjSI_NS0_16reverse_iteratorISI_EEEEENSH_IJSG_SG_SG_EEES9_SI_JZNS1_25segmented_radix_sort_implINS0_14default_configELb1EPKsPsPKlPlN2at6native12_GLOBAL__N_18offset_tEEE10hipError_tPvRmT1_PNSt15iterator_traitsIS12_E10value_typeET2_T3_PNS13_IS18_E10value_typeET4_jRbjT5_S1E_jjP12ihipStream_tbEUljE_ZNSN_ISO_Lb1ESQ_SR_ST_SU_SY_EESZ_S10_S11_S12_S16_S17_S18_S1B_S1C_jS1D_jS1E_S1E_jjS1G_bEUljE0_EEESZ_S10_S11_S18_S1C_S1E_T6_T7_T9_mT8_S1G_bDpT10_ENKUlT_T0_E_clISt17integral_constantIbLb0EES1U_EEDaS1P_S1Q_EUlS1P_E_NS1_11comp_targetILNS1_3genE2ELNS1_11target_archE906ELNS1_3gpuE6ELNS1_3repE0EEENS1_30default_config_static_selectorELNS0_4arch9wavefront6targetE0EEEvS12_
                                        ; -- End function
	.set _ZN7rocprim17ROCPRIM_400000_NS6detail17trampoline_kernelINS0_13select_configILj256ELj13ELNS0_17block_load_methodE3ELS4_3ELS4_3ELNS0_20block_scan_algorithmE0ELj4294967295EEENS1_25partition_config_selectorILNS1_17partition_subalgoE4EjNS0_10empty_typeEbEEZZNS1_14partition_implILS8_4ELb0ES6_15HIP_vector_typeIjLj2EENS0_17counting_iteratorIjlEEPS9_SG_NS0_5tupleIJPjSI_NS0_16reverse_iteratorISI_EEEEENSH_IJSG_SG_SG_EEES9_SI_JZNS1_25segmented_radix_sort_implINS0_14default_configELb1EPKsPsPKlPlN2at6native12_GLOBAL__N_18offset_tEEE10hipError_tPvRmT1_PNSt15iterator_traitsIS12_E10value_typeET2_T3_PNS13_IS18_E10value_typeET4_jRbjT5_S1E_jjP12ihipStream_tbEUljE_ZNSN_ISO_Lb1ESQ_SR_ST_SU_SY_EESZ_S10_S11_S12_S16_S17_S18_S1B_S1C_jS1D_jS1E_S1E_jjS1G_bEUljE0_EEESZ_S10_S11_S18_S1C_S1E_T6_T7_T9_mT8_S1G_bDpT10_ENKUlT_T0_E_clISt17integral_constantIbLb0EES1U_EEDaS1P_S1Q_EUlS1P_E_NS1_11comp_targetILNS1_3genE2ELNS1_11target_archE906ELNS1_3gpuE6ELNS1_3repE0EEENS1_30default_config_static_selectorELNS0_4arch9wavefront6targetE0EEEvS12_.num_vgpr, 0
	.set _ZN7rocprim17ROCPRIM_400000_NS6detail17trampoline_kernelINS0_13select_configILj256ELj13ELNS0_17block_load_methodE3ELS4_3ELS4_3ELNS0_20block_scan_algorithmE0ELj4294967295EEENS1_25partition_config_selectorILNS1_17partition_subalgoE4EjNS0_10empty_typeEbEEZZNS1_14partition_implILS8_4ELb0ES6_15HIP_vector_typeIjLj2EENS0_17counting_iteratorIjlEEPS9_SG_NS0_5tupleIJPjSI_NS0_16reverse_iteratorISI_EEEEENSH_IJSG_SG_SG_EEES9_SI_JZNS1_25segmented_radix_sort_implINS0_14default_configELb1EPKsPsPKlPlN2at6native12_GLOBAL__N_18offset_tEEE10hipError_tPvRmT1_PNSt15iterator_traitsIS12_E10value_typeET2_T3_PNS13_IS18_E10value_typeET4_jRbjT5_S1E_jjP12ihipStream_tbEUljE_ZNSN_ISO_Lb1ESQ_SR_ST_SU_SY_EESZ_S10_S11_S12_S16_S17_S18_S1B_S1C_jS1D_jS1E_S1E_jjS1G_bEUljE0_EEESZ_S10_S11_S18_S1C_S1E_T6_T7_T9_mT8_S1G_bDpT10_ENKUlT_T0_E_clISt17integral_constantIbLb0EES1U_EEDaS1P_S1Q_EUlS1P_E_NS1_11comp_targetILNS1_3genE2ELNS1_11target_archE906ELNS1_3gpuE6ELNS1_3repE0EEENS1_30default_config_static_selectorELNS0_4arch9wavefront6targetE0EEEvS12_.num_agpr, 0
	.set _ZN7rocprim17ROCPRIM_400000_NS6detail17trampoline_kernelINS0_13select_configILj256ELj13ELNS0_17block_load_methodE3ELS4_3ELS4_3ELNS0_20block_scan_algorithmE0ELj4294967295EEENS1_25partition_config_selectorILNS1_17partition_subalgoE4EjNS0_10empty_typeEbEEZZNS1_14partition_implILS8_4ELb0ES6_15HIP_vector_typeIjLj2EENS0_17counting_iteratorIjlEEPS9_SG_NS0_5tupleIJPjSI_NS0_16reverse_iteratorISI_EEEEENSH_IJSG_SG_SG_EEES9_SI_JZNS1_25segmented_radix_sort_implINS0_14default_configELb1EPKsPsPKlPlN2at6native12_GLOBAL__N_18offset_tEEE10hipError_tPvRmT1_PNSt15iterator_traitsIS12_E10value_typeET2_T3_PNS13_IS18_E10value_typeET4_jRbjT5_S1E_jjP12ihipStream_tbEUljE_ZNSN_ISO_Lb1ESQ_SR_ST_SU_SY_EESZ_S10_S11_S12_S16_S17_S18_S1B_S1C_jS1D_jS1E_S1E_jjS1G_bEUljE0_EEESZ_S10_S11_S18_S1C_S1E_T6_T7_T9_mT8_S1G_bDpT10_ENKUlT_T0_E_clISt17integral_constantIbLb0EES1U_EEDaS1P_S1Q_EUlS1P_E_NS1_11comp_targetILNS1_3genE2ELNS1_11target_archE906ELNS1_3gpuE6ELNS1_3repE0EEENS1_30default_config_static_selectorELNS0_4arch9wavefront6targetE0EEEvS12_.numbered_sgpr, 0
	.set _ZN7rocprim17ROCPRIM_400000_NS6detail17trampoline_kernelINS0_13select_configILj256ELj13ELNS0_17block_load_methodE3ELS4_3ELS4_3ELNS0_20block_scan_algorithmE0ELj4294967295EEENS1_25partition_config_selectorILNS1_17partition_subalgoE4EjNS0_10empty_typeEbEEZZNS1_14partition_implILS8_4ELb0ES6_15HIP_vector_typeIjLj2EENS0_17counting_iteratorIjlEEPS9_SG_NS0_5tupleIJPjSI_NS0_16reverse_iteratorISI_EEEEENSH_IJSG_SG_SG_EEES9_SI_JZNS1_25segmented_radix_sort_implINS0_14default_configELb1EPKsPsPKlPlN2at6native12_GLOBAL__N_18offset_tEEE10hipError_tPvRmT1_PNSt15iterator_traitsIS12_E10value_typeET2_T3_PNS13_IS18_E10value_typeET4_jRbjT5_S1E_jjP12ihipStream_tbEUljE_ZNSN_ISO_Lb1ESQ_SR_ST_SU_SY_EESZ_S10_S11_S12_S16_S17_S18_S1B_S1C_jS1D_jS1E_S1E_jjS1G_bEUljE0_EEESZ_S10_S11_S18_S1C_S1E_T6_T7_T9_mT8_S1G_bDpT10_ENKUlT_T0_E_clISt17integral_constantIbLb0EES1U_EEDaS1P_S1Q_EUlS1P_E_NS1_11comp_targetILNS1_3genE2ELNS1_11target_archE906ELNS1_3gpuE6ELNS1_3repE0EEENS1_30default_config_static_selectorELNS0_4arch9wavefront6targetE0EEEvS12_.num_named_barrier, 0
	.set _ZN7rocprim17ROCPRIM_400000_NS6detail17trampoline_kernelINS0_13select_configILj256ELj13ELNS0_17block_load_methodE3ELS4_3ELS4_3ELNS0_20block_scan_algorithmE0ELj4294967295EEENS1_25partition_config_selectorILNS1_17partition_subalgoE4EjNS0_10empty_typeEbEEZZNS1_14partition_implILS8_4ELb0ES6_15HIP_vector_typeIjLj2EENS0_17counting_iteratorIjlEEPS9_SG_NS0_5tupleIJPjSI_NS0_16reverse_iteratorISI_EEEEENSH_IJSG_SG_SG_EEES9_SI_JZNS1_25segmented_radix_sort_implINS0_14default_configELb1EPKsPsPKlPlN2at6native12_GLOBAL__N_18offset_tEEE10hipError_tPvRmT1_PNSt15iterator_traitsIS12_E10value_typeET2_T3_PNS13_IS18_E10value_typeET4_jRbjT5_S1E_jjP12ihipStream_tbEUljE_ZNSN_ISO_Lb1ESQ_SR_ST_SU_SY_EESZ_S10_S11_S12_S16_S17_S18_S1B_S1C_jS1D_jS1E_S1E_jjS1G_bEUljE0_EEESZ_S10_S11_S18_S1C_S1E_T6_T7_T9_mT8_S1G_bDpT10_ENKUlT_T0_E_clISt17integral_constantIbLb0EES1U_EEDaS1P_S1Q_EUlS1P_E_NS1_11comp_targetILNS1_3genE2ELNS1_11target_archE906ELNS1_3gpuE6ELNS1_3repE0EEENS1_30default_config_static_selectorELNS0_4arch9wavefront6targetE0EEEvS12_.private_seg_size, 0
	.set _ZN7rocprim17ROCPRIM_400000_NS6detail17trampoline_kernelINS0_13select_configILj256ELj13ELNS0_17block_load_methodE3ELS4_3ELS4_3ELNS0_20block_scan_algorithmE0ELj4294967295EEENS1_25partition_config_selectorILNS1_17partition_subalgoE4EjNS0_10empty_typeEbEEZZNS1_14partition_implILS8_4ELb0ES6_15HIP_vector_typeIjLj2EENS0_17counting_iteratorIjlEEPS9_SG_NS0_5tupleIJPjSI_NS0_16reverse_iteratorISI_EEEEENSH_IJSG_SG_SG_EEES9_SI_JZNS1_25segmented_radix_sort_implINS0_14default_configELb1EPKsPsPKlPlN2at6native12_GLOBAL__N_18offset_tEEE10hipError_tPvRmT1_PNSt15iterator_traitsIS12_E10value_typeET2_T3_PNS13_IS18_E10value_typeET4_jRbjT5_S1E_jjP12ihipStream_tbEUljE_ZNSN_ISO_Lb1ESQ_SR_ST_SU_SY_EESZ_S10_S11_S12_S16_S17_S18_S1B_S1C_jS1D_jS1E_S1E_jjS1G_bEUljE0_EEESZ_S10_S11_S18_S1C_S1E_T6_T7_T9_mT8_S1G_bDpT10_ENKUlT_T0_E_clISt17integral_constantIbLb0EES1U_EEDaS1P_S1Q_EUlS1P_E_NS1_11comp_targetILNS1_3genE2ELNS1_11target_archE906ELNS1_3gpuE6ELNS1_3repE0EEENS1_30default_config_static_selectorELNS0_4arch9wavefront6targetE0EEEvS12_.uses_vcc, 0
	.set _ZN7rocprim17ROCPRIM_400000_NS6detail17trampoline_kernelINS0_13select_configILj256ELj13ELNS0_17block_load_methodE3ELS4_3ELS4_3ELNS0_20block_scan_algorithmE0ELj4294967295EEENS1_25partition_config_selectorILNS1_17partition_subalgoE4EjNS0_10empty_typeEbEEZZNS1_14partition_implILS8_4ELb0ES6_15HIP_vector_typeIjLj2EENS0_17counting_iteratorIjlEEPS9_SG_NS0_5tupleIJPjSI_NS0_16reverse_iteratorISI_EEEEENSH_IJSG_SG_SG_EEES9_SI_JZNS1_25segmented_radix_sort_implINS0_14default_configELb1EPKsPsPKlPlN2at6native12_GLOBAL__N_18offset_tEEE10hipError_tPvRmT1_PNSt15iterator_traitsIS12_E10value_typeET2_T3_PNS13_IS18_E10value_typeET4_jRbjT5_S1E_jjP12ihipStream_tbEUljE_ZNSN_ISO_Lb1ESQ_SR_ST_SU_SY_EESZ_S10_S11_S12_S16_S17_S18_S1B_S1C_jS1D_jS1E_S1E_jjS1G_bEUljE0_EEESZ_S10_S11_S18_S1C_S1E_T6_T7_T9_mT8_S1G_bDpT10_ENKUlT_T0_E_clISt17integral_constantIbLb0EES1U_EEDaS1P_S1Q_EUlS1P_E_NS1_11comp_targetILNS1_3genE2ELNS1_11target_archE906ELNS1_3gpuE6ELNS1_3repE0EEENS1_30default_config_static_selectorELNS0_4arch9wavefront6targetE0EEEvS12_.uses_flat_scratch, 0
	.set _ZN7rocprim17ROCPRIM_400000_NS6detail17trampoline_kernelINS0_13select_configILj256ELj13ELNS0_17block_load_methodE3ELS4_3ELS4_3ELNS0_20block_scan_algorithmE0ELj4294967295EEENS1_25partition_config_selectorILNS1_17partition_subalgoE4EjNS0_10empty_typeEbEEZZNS1_14partition_implILS8_4ELb0ES6_15HIP_vector_typeIjLj2EENS0_17counting_iteratorIjlEEPS9_SG_NS0_5tupleIJPjSI_NS0_16reverse_iteratorISI_EEEEENSH_IJSG_SG_SG_EEES9_SI_JZNS1_25segmented_radix_sort_implINS0_14default_configELb1EPKsPsPKlPlN2at6native12_GLOBAL__N_18offset_tEEE10hipError_tPvRmT1_PNSt15iterator_traitsIS12_E10value_typeET2_T3_PNS13_IS18_E10value_typeET4_jRbjT5_S1E_jjP12ihipStream_tbEUljE_ZNSN_ISO_Lb1ESQ_SR_ST_SU_SY_EESZ_S10_S11_S12_S16_S17_S18_S1B_S1C_jS1D_jS1E_S1E_jjS1G_bEUljE0_EEESZ_S10_S11_S18_S1C_S1E_T6_T7_T9_mT8_S1G_bDpT10_ENKUlT_T0_E_clISt17integral_constantIbLb0EES1U_EEDaS1P_S1Q_EUlS1P_E_NS1_11comp_targetILNS1_3genE2ELNS1_11target_archE906ELNS1_3gpuE6ELNS1_3repE0EEENS1_30default_config_static_selectorELNS0_4arch9wavefront6targetE0EEEvS12_.has_dyn_sized_stack, 0
	.set _ZN7rocprim17ROCPRIM_400000_NS6detail17trampoline_kernelINS0_13select_configILj256ELj13ELNS0_17block_load_methodE3ELS4_3ELS4_3ELNS0_20block_scan_algorithmE0ELj4294967295EEENS1_25partition_config_selectorILNS1_17partition_subalgoE4EjNS0_10empty_typeEbEEZZNS1_14partition_implILS8_4ELb0ES6_15HIP_vector_typeIjLj2EENS0_17counting_iteratorIjlEEPS9_SG_NS0_5tupleIJPjSI_NS0_16reverse_iteratorISI_EEEEENSH_IJSG_SG_SG_EEES9_SI_JZNS1_25segmented_radix_sort_implINS0_14default_configELb1EPKsPsPKlPlN2at6native12_GLOBAL__N_18offset_tEEE10hipError_tPvRmT1_PNSt15iterator_traitsIS12_E10value_typeET2_T3_PNS13_IS18_E10value_typeET4_jRbjT5_S1E_jjP12ihipStream_tbEUljE_ZNSN_ISO_Lb1ESQ_SR_ST_SU_SY_EESZ_S10_S11_S12_S16_S17_S18_S1B_S1C_jS1D_jS1E_S1E_jjS1G_bEUljE0_EEESZ_S10_S11_S18_S1C_S1E_T6_T7_T9_mT8_S1G_bDpT10_ENKUlT_T0_E_clISt17integral_constantIbLb0EES1U_EEDaS1P_S1Q_EUlS1P_E_NS1_11comp_targetILNS1_3genE2ELNS1_11target_archE906ELNS1_3gpuE6ELNS1_3repE0EEENS1_30default_config_static_selectorELNS0_4arch9wavefront6targetE0EEEvS12_.has_recursion, 0
	.set _ZN7rocprim17ROCPRIM_400000_NS6detail17trampoline_kernelINS0_13select_configILj256ELj13ELNS0_17block_load_methodE3ELS4_3ELS4_3ELNS0_20block_scan_algorithmE0ELj4294967295EEENS1_25partition_config_selectorILNS1_17partition_subalgoE4EjNS0_10empty_typeEbEEZZNS1_14partition_implILS8_4ELb0ES6_15HIP_vector_typeIjLj2EENS0_17counting_iteratorIjlEEPS9_SG_NS0_5tupleIJPjSI_NS0_16reverse_iteratorISI_EEEEENSH_IJSG_SG_SG_EEES9_SI_JZNS1_25segmented_radix_sort_implINS0_14default_configELb1EPKsPsPKlPlN2at6native12_GLOBAL__N_18offset_tEEE10hipError_tPvRmT1_PNSt15iterator_traitsIS12_E10value_typeET2_T3_PNS13_IS18_E10value_typeET4_jRbjT5_S1E_jjP12ihipStream_tbEUljE_ZNSN_ISO_Lb1ESQ_SR_ST_SU_SY_EESZ_S10_S11_S12_S16_S17_S18_S1B_S1C_jS1D_jS1E_S1E_jjS1G_bEUljE0_EEESZ_S10_S11_S18_S1C_S1E_T6_T7_T9_mT8_S1G_bDpT10_ENKUlT_T0_E_clISt17integral_constantIbLb0EES1U_EEDaS1P_S1Q_EUlS1P_E_NS1_11comp_targetILNS1_3genE2ELNS1_11target_archE906ELNS1_3gpuE6ELNS1_3repE0EEENS1_30default_config_static_selectorELNS0_4arch9wavefront6targetE0EEEvS12_.has_indirect_call, 0
	.section	.AMDGPU.csdata,"",@progbits
; Kernel info:
; codeLenInByte = 0
; TotalNumSgprs: 0
; NumVgprs: 0
; ScratchSize: 0
; MemoryBound: 0
; FloatMode: 240
; IeeeMode: 1
; LDSByteSize: 0 bytes/workgroup (compile time only)
; SGPRBlocks: 0
; VGPRBlocks: 0
; NumSGPRsForWavesPerEU: 1
; NumVGPRsForWavesPerEU: 1
; Occupancy: 16
; WaveLimiterHint : 0
; COMPUTE_PGM_RSRC2:SCRATCH_EN: 0
; COMPUTE_PGM_RSRC2:USER_SGPR: 2
; COMPUTE_PGM_RSRC2:TRAP_HANDLER: 0
; COMPUTE_PGM_RSRC2:TGID_X_EN: 1
; COMPUTE_PGM_RSRC2:TGID_Y_EN: 0
; COMPUTE_PGM_RSRC2:TGID_Z_EN: 0
; COMPUTE_PGM_RSRC2:TIDIG_COMP_CNT: 0
	.section	.text._ZN7rocprim17ROCPRIM_400000_NS6detail17trampoline_kernelINS0_13select_configILj256ELj13ELNS0_17block_load_methodE3ELS4_3ELS4_3ELNS0_20block_scan_algorithmE0ELj4294967295EEENS1_25partition_config_selectorILNS1_17partition_subalgoE4EjNS0_10empty_typeEbEEZZNS1_14partition_implILS8_4ELb0ES6_15HIP_vector_typeIjLj2EENS0_17counting_iteratorIjlEEPS9_SG_NS0_5tupleIJPjSI_NS0_16reverse_iteratorISI_EEEEENSH_IJSG_SG_SG_EEES9_SI_JZNS1_25segmented_radix_sort_implINS0_14default_configELb1EPKsPsPKlPlN2at6native12_GLOBAL__N_18offset_tEEE10hipError_tPvRmT1_PNSt15iterator_traitsIS12_E10value_typeET2_T3_PNS13_IS18_E10value_typeET4_jRbjT5_S1E_jjP12ihipStream_tbEUljE_ZNSN_ISO_Lb1ESQ_SR_ST_SU_SY_EESZ_S10_S11_S12_S16_S17_S18_S1B_S1C_jS1D_jS1E_S1E_jjS1G_bEUljE0_EEESZ_S10_S11_S18_S1C_S1E_T6_T7_T9_mT8_S1G_bDpT10_ENKUlT_T0_E_clISt17integral_constantIbLb0EES1U_EEDaS1P_S1Q_EUlS1P_E_NS1_11comp_targetILNS1_3genE10ELNS1_11target_archE1200ELNS1_3gpuE4ELNS1_3repE0EEENS1_30default_config_static_selectorELNS0_4arch9wavefront6targetE0EEEvS12_,"axG",@progbits,_ZN7rocprim17ROCPRIM_400000_NS6detail17trampoline_kernelINS0_13select_configILj256ELj13ELNS0_17block_load_methodE3ELS4_3ELS4_3ELNS0_20block_scan_algorithmE0ELj4294967295EEENS1_25partition_config_selectorILNS1_17partition_subalgoE4EjNS0_10empty_typeEbEEZZNS1_14partition_implILS8_4ELb0ES6_15HIP_vector_typeIjLj2EENS0_17counting_iteratorIjlEEPS9_SG_NS0_5tupleIJPjSI_NS0_16reverse_iteratorISI_EEEEENSH_IJSG_SG_SG_EEES9_SI_JZNS1_25segmented_radix_sort_implINS0_14default_configELb1EPKsPsPKlPlN2at6native12_GLOBAL__N_18offset_tEEE10hipError_tPvRmT1_PNSt15iterator_traitsIS12_E10value_typeET2_T3_PNS13_IS18_E10value_typeET4_jRbjT5_S1E_jjP12ihipStream_tbEUljE_ZNSN_ISO_Lb1ESQ_SR_ST_SU_SY_EESZ_S10_S11_S12_S16_S17_S18_S1B_S1C_jS1D_jS1E_S1E_jjS1G_bEUljE0_EEESZ_S10_S11_S18_S1C_S1E_T6_T7_T9_mT8_S1G_bDpT10_ENKUlT_T0_E_clISt17integral_constantIbLb0EES1U_EEDaS1P_S1Q_EUlS1P_E_NS1_11comp_targetILNS1_3genE10ELNS1_11target_archE1200ELNS1_3gpuE4ELNS1_3repE0EEENS1_30default_config_static_selectorELNS0_4arch9wavefront6targetE0EEEvS12_,comdat
	.globl	_ZN7rocprim17ROCPRIM_400000_NS6detail17trampoline_kernelINS0_13select_configILj256ELj13ELNS0_17block_load_methodE3ELS4_3ELS4_3ELNS0_20block_scan_algorithmE0ELj4294967295EEENS1_25partition_config_selectorILNS1_17partition_subalgoE4EjNS0_10empty_typeEbEEZZNS1_14partition_implILS8_4ELb0ES6_15HIP_vector_typeIjLj2EENS0_17counting_iteratorIjlEEPS9_SG_NS0_5tupleIJPjSI_NS0_16reverse_iteratorISI_EEEEENSH_IJSG_SG_SG_EEES9_SI_JZNS1_25segmented_radix_sort_implINS0_14default_configELb1EPKsPsPKlPlN2at6native12_GLOBAL__N_18offset_tEEE10hipError_tPvRmT1_PNSt15iterator_traitsIS12_E10value_typeET2_T3_PNS13_IS18_E10value_typeET4_jRbjT5_S1E_jjP12ihipStream_tbEUljE_ZNSN_ISO_Lb1ESQ_SR_ST_SU_SY_EESZ_S10_S11_S12_S16_S17_S18_S1B_S1C_jS1D_jS1E_S1E_jjS1G_bEUljE0_EEESZ_S10_S11_S18_S1C_S1E_T6_T7_T9_mT8_S1G_bDpT10_ENKUlT_T0_E_clISt17integral_constantIbLb0EES1U_EEDaS1P_S1Q_EUlS1P_E_NS1_11comp_targetILNS1_3genE10ELNS1_11target_archE1200ELNS1_3gpuE4ELNS1_3repE0EEENS1_30default_config_static_selectorELNS0_4arch9wavefront6targetE0EEEvS12_ ; -- Begin function _ZN7rocprim17ROCPRIM_400000_NS6detail17trampoline_kernelINS0_13select_configILj256ELj13ELNS0_17block_load_methodE3ELS4_3ELS4_3ELNS0_20block_scan_algorithmE0ELj4294967295EEENS1_25partition_config_selectorILNS1_17partition_subalgoE4EjNS0_10empty_typeEbEEZZNS1_14partition_implILS8_4ELb0ES6_15HIP_vector_typeIjLj2EENS0_17counting_iteratorIjlEEPS9_SG_NS0_5tupleIJPjSI_NS0_16reverse_iteratorISI_EEEEENSH_IJSG_SG_SG_EEES9_SI_JZNS1_25segmented_radix_sort_implINS0_14default_configELb1EPKsPsPKlPlN2at6native12_GLOBAL__N_18offset_tEEE10hipError_tPvRmT1_PNSt15iterator_traitsIS12_E10value_typeET2_T3_PNS13_IS18_E10value_typeET4_jRbjT5_S1E_jjP12ihipStream_tbEUljE_ZNSN_ISO_Lb1ESQ_SR_ST_SU_SY_EESZ_S10_S11_S12_S16_S17_S18_S1B_S1C_jS1D_jS1E_S1E_jjS1G_bEUljE0_EEESZ_S10_S11_S18_S1C_S1E_T6_T7_T9_mT8_S1G_bDpT10_ENKUlT_T0_E_clISt17integral_constantIbLb0EES1U_EEDaS1P_S1Q_EUlS1P_E_NS1_11comp_targetILNS1_3genE10ELNS1_11target_archE1200ELNS1_3gpuE4ELNS1_3repE0EEENS1_30default_config_static_selectorELNS0_4arch9wavefront6targetE0EEEvS12_
	.p2align	8
	.type	_ZN7rocprim17ROCPRIM_400000_NS6detail17trampoline_kernelINS0_13select_configILj256ELj13ELNS0_17block_load_methodE3ELS4_3ELS4_3ELNS0_20block_scan_algorithmE0ELj4294967295EEENS1_25partition_config_selectorILNS1_17partition_subalgoE4EjNS0_10empty_typeEbEEZZNS1_14partition_implILS8_4ELb0ES6_15HIP_vector_typeIjLj2EENS0_17counting_iteratorIjlEEPS9_SG_NS0_5tupleIJPjSI_NS0_16reverse_iteratorISI_EEEEENSH_IJSG_SG_SG_EEES9_SI_JZNS1_25segmented_radix_sort_implINS0_14default_configELb1EPKsPsPKlPlN2at6native12_GLOBAL__N_18offset_tEEE10hipError_tPvRmT1_PNSt15iterator_traitsIS12_E10value_typeET2_T3_PNS13_IS18_E10value_typeET4_jRbjT5_S1E_jjP12ihipStream_tbEUljE_ZNSN_ISO_Lb1ESQ_SR_ST_SU_SY_EESZ_S10_S11_S12_S16_S17_S18_S1B_S1C_jS1D_jS1E_S1E_jjS1G_bEUljE0_EEESZ_S10_S11_S18_S1C_S1E_T6_T7_T9_mT8_S1G_bDpT10_ENKUlT_T0_E_clISt17integral_constantIbLb0EES1U_EEDaS1P_S1Q_EUlS1P_E_NS1_11comp_targetILNS1_3genE10ELNS1_11target_archE1200ELNS1_3gpuE4ELNS1_3repE0EEENS1_30default_config_static_selectorELNS0_4arch9wavefront6targetE0EEEvS12_,@function
_ZN7rocprim17ROCPRIM_400000_NS6detail17trampoline_kernelINS0_13select_configILj256ELj13ELNS0_17block_load_methodE3ELS4_3ELS4_3ELNS0_20block_scan_algorithmE0ELj4294967295EEENS1_25partition_config_selectorILNS1_17partition_subalgoE4EjNS0_10empty_typeEbEEZZNS1_14partition_implILS8_4ELb0ES6_15HIP_vector_typeIjLj2EENS0_17counting_iteratorIjlEEPS9_SG_NS0_5tupleIJPjSI_NS0_16reverse_iteratorISI_EEEEENSH_IJSG_SG_SG_EEES9_SI_JZNS1_25segmented_radix_sort_implINS0_14default_configELb1EPKsPsPKlPlN2at6native12_GLOBAL__N_18offset_tEEE10hipError_tPvRmT1_PNSt15iterator_traitsIS12_E10value_typeET2_T3_PNS13_IS18_E10value_typeET4_jRbjT5_S1E_jjP12ihipStream_tbEUljE_ZNSN_ISO_Lb1ESQ_SR_ST_SU_SY_EESZ_S10_S11_S12_S16_S17_S18_S1B_S1C_jS1D_jS1E_S1E_jjS1G_bEUljE0_EEESZ_S10_S11_S18_S1C_S1E_T6_T7_T9_mT8_S1G_bDpT10_ENKUlT_T0_E_clISt17integral_constantIbLb0EES1U_EEDaS1P_S1Q_EUlS1P_E_NS1_11comp_targetILNS1_3genE10ELNS1_11target_archE1200ELNS1_3gpuE4ELNS1_3repE0EEENS1_30default_config_static_selectorELNS0_4arch9wavefront6targetE0EEEvS12_: ; @_ZN7rocprim17ROCPRIM_400000_NS6detail17trampoline_kernelINS0_13select_configILj256ELj13ELNS0_17block_load_methodE3ELS4_3ELS4_3ELNS0_20block_scan_algorithmE0ELj4294967295EEENS1_25partition_config_selectorILNS1_17partition_subalgoE4EjNS0_10empty_typeEbEEZZNS1_14partition_implILS8_4ELb0ES6_15HIP_vector_typeIjLj2EENS0_17counting_iteratorIjlEEPS9_SG_NS0_5tupleIJPjSI_NS0_16reverse_iteratorISI_EEEEENSH_IJSG_SG_SG_EEES9_SI_JZNS1_25segmented_radix_sort_implINS0_14default_configELb1EPKsPsPKlPlN2at6native12_GLOBAL__N_18offset_tEEE10hipError_tPvRmT1_PNSt15iterator_traitsIS12_E10value_typeET2_T3_PNS13_IS18_E10value_typeET4_jRbjT5_S1E_jjP12ihipStream_tbEUljE_ZNSN_ISO_Lb1ESQ_SR_ST_SU_SY_EESZ_S10_S11_S12_S16_S17_S18_S1B_S1C_jS1D_jS1E_S1E_jjS1G_bEUljE0_EEESZ_S10_S11_S18_S1C_S1E_T6_T7_T9_mT8_S1G_bDpT10_ENKUlT_T0_E_clISt17integral_constantIbLb0EES1U_EEDaS1P_S1Q_EUlS1P_E_NS1_11comp_targetILNS1_3genE10ELNS1_11target_archE1200ELNS1_3gpuE4ELNS1_3repE0EEENS1_30default_config_static_selectorELNS0_4arch9wavefront6targetE0EEEvS12_
; %bb.0:
	s_clause 0x6
	s_load_b32 s6, s[0:1], 0x80
	s_load_b128 s[24:27], s[0:1], 0x58
	s_load_b64 s[34:35], s[0:1], 0x10
	s_load_b64 s[2:3], s[0:1], 0x68
	s_load_b32 s7, s[0:1], 0x8
	s_load_b64 s[42:43], s[0:1], 0xa8
	s_load_b256 s[16:23], s[0:1], 0x88
	s_mov_b32 s5, 0
	s_mul_i32 s40, ttmp9, 0xd00
	s_wait_kmcnt 0x0
	s_mul_i32 s4, s6, 0xd00
	s_load_b128 s[28:31], s[26:27], 0x0
	s_add_co_i32 s8, s4, s34
	s_add_co_i32 s6, s6, -1
	s_sub_co_i32 s33, s2, s8
	s_add_nc_u64 s[4:5], s[34:35], s[4:5]
	s_addk_co_i32 s33, 0xd00
	s_cmp_eq_u32 ttmp9, s6
	v_cmp_gt_u64_e64 s2, s[2:3], s[4:5]
	s_cselect_b32 s15, -1, 0
	s_cmp_lg_u32 ttmp9, s6
	s_mov_b32 s5, -1
	s_cselect_b32 s3, -1, 0
	s_add_co_i32 s4, s7, s40
	s_wait_alu 0xfffe
	s_or_b32 s3, s3, s2
	s_add_co_i32 s4, s4, s34
	s_wait_alu 0xfffe
	s_and_b32 vcc_lo, exec_lo, s3
	v_add_nc_u32_e32 v1, s4, v0
	s_cbranch_vccz .LBB852_2
; %bb.1:
	s_delay_alu instid0(VALU_DEP_1)
	v_add_nc_u32_e32 v2, 0x100, v1
	v_lshlrev_b32_e32 v10, 2, v0
	v_add_nc_u32_e32 v3, 0x200, v1
	v_add_nc_u32_e32 v4, 0x300, v1
	;; [unrolled: 1-line block ×11, first 2 shown]
	ds_store_2addr_stride64_b32 v10, v1, v2 offset1:4
	ds_store_2addr_stride64_b32 v10, v3, v4 offset0:8 offset1:12
	ds_store_2addr_stride64_b32 v10, v5, v6 offset0:16 offset1:20
	;; [unrolled: 1-line block ×5, first 2 shown]
	ds_store_b32 v10, v14 offset:12288
	s_wait_dscnt 0x0
	s_barrier_signal -1
	s_mov_b32 s5, 0
	s_barrier_wait -1
.LBB852_2:
	v_cmp_gt_u32_e64 s2, s33, v0
	v_or_b32_e32 v38, 0x100, v0
	v_or_b32_e32 v37, 0x200, v0
	;; [unrolled: 1-line block ×12, first 2 shown]
	s_wait_alu 0xfffe
	s_and_not1_b32 vcc_lo, exec_lo, s5
	s_cbranch_vccnz .LBB852_4
; %bb.3:
	v_cmp_gt_u32_e32 vcc_lo, s33, v38
	v_add_nc_u32_e32 v3, s4, v37
	v_add_nc_u32_e32 v2, s4, v38
	v_cndmask_b32_e64 v1, 0, v1, s2
	v_lshlrev_b32_e32 v14, 2, v0
	s_delay_alu instid0(VALU_DEP_3)
	v_cndmask_b32_e32 v2, 0, v2, vcc_lo
	v_cmp_gt_u32_e32 vcc_lo, s33, v37
	s_wait_alu 0xfffd
	v_cndmask_b32_e32 v3, 0, v3, vcc_lo
	v_cmp_gt_u32_e32 vcc_lo, s33, v36
	v_add_nc_u32_e32 v5, s4, v35
	v_add_nc_u32_e32 v4, s4, v36
	s_wait_alu 0xfffd
	s_delay_alu instid0(VALU_DEP_1)
	v_cndmask_b32_e32 v4, 0, v4, vcc_lo
	v_cmp_gt_u32_e32 vcc_lo, s33, v35
	s_wait_alu 0xfffd
	v_cndmask_b32_e32 v5, 0, v5, vcc_lo
	v_cmp_gt_u32_e32 vcc_lo, s33, v34
	v_add_nc_u32_e32 v7, s4, v33
	v_add_nc_u32_e32 v6, s4, v34
	s_wait_alu 0xfffd
	s_delay_alu instid0(VALU_DEP_1)
	;; [unrolled: 9-line block ×5, first 2 shown]
	v_cndmask_b32_e32 v12, 0, v12, vcc_lo
	v_cmp_gt_u32_e32 vcc_lo, s33, v27
	s_wait_alu 0xfffd
	v_cndmask_b32_e32 v13, 0, v13, vcc_lo
	ds_store_2addr_stride64_b32 v14, v1, v2 offset1:4
	ds_store_2addr_stride64_b32 v14, v3, v4 offset0:8 offset1:12
	ds_store_2addr_stride64_b32 v14, v5, v6 offset0:16 offset1:20
	;; [unrolled: 1-line block ×5, first 2 shown]
	ds_store_b32 v14, v13 offset:12288
	s_wait_dscnt 0x0
	s_barrier_signal -1
	s_barrier_wait -1
.LBB852_4:
	v_mul_u32_u24_e32 v41, 13, v0
	s_clause 0x1
	s_load_b128 s[36:39], s[0:1], 0x28
	s_load_b64 s[26:27], s[0:1], 0x38
	global_inv scope:SCOPE_SE
	v_cndmask_b32_e64 v39, 0, 1, s3
	s_and_not1_b32 vcc_lo, exec_lo, s3
	v_lshlrev_b32_e32 v1, 2, v41
	ds_load_2addr_b32 v[19:20], v1 offset1:1
	ds_load_2addr_b32 v[17:18], v1 offset0:2 offset1:3
	ds_load_2addr_b32 v[15:16], v1 offset0:4 offset1:5
	;; [unrolled: 1-line block ×5, first 2 shown]
	ds_load_b32 v40, v1 offset:48
	s_wait_loadcnt_dscnt 0x0
	s_barrier_signal -1
	s_barrier_wait -1
	global_inv scope:SCOPE_SE
	s_wait_alu 0xfffe
	s_cbranch_vccnz .LBB852_32
; %bb.5:
	v_add_nc_u32_e32 v1, s17, v19
	v_add_nc_u32_e32 v2, s19, v19
	s_mov_b32 s44, 0
	s_mov_b32 s41, 0
	s_mov_b32 s3, exec_lo
	v_mul_lo_u32 v1, v1, s16
	v_mul_lo_u32 v2, v2, s18
	s_delay_alu instid0(VALU_DEP_1) | instskip(NEXT) | instid1(VALU_DEP_1)
	v_sub_nc_u32_e32 v1, v1, v2
	v_cmp_lt_u32_e32 vcc_lo, s20, v1
	v_cmpx_ge_u32_e64 s20, v1
	s_cbranch_execz .LBB852_7
; %bb.6:
	v_add_nc_u32_e32 v1, s22, v19
	v_add_nc_u32_e32 v2, s42, v19
	s_delay_alu instid0(VALU_DEP_2) | instskip(NEXT) | instid1(VALU_DEP_2)
	v_mul_lo_u32 v1, v1, s21
	v_mul_lo_u32 v2, v2, s23
	s_delay_alu instid0(VALU_DEP_1) | instskip(NEXT) | instid1(VALU_DEP_1)
	v_sub_nc_u32_e32 v1, v1, v2
	v_cmp_lt_u32_e64 s2, s43, v1
	s_and_b32 s41, s2, exec_lo
.LBB852_7:
	s_wait_alu 0xfffe
	s_or_b32 exec_lo, exec_lo, s3
	v_add_nc_u32_e32 v1, s17, v20
	v_add_nc_u32_e32 v2, s19, v20
	s_mov_b32 s4, exec_lo
	s_delay_alu instid0(VALU_DEP_2) | instskip(NEXT) | instid1(VALU_DEP_2)
	v_mul_lo_u32 v1, v1, s16
	v_mul_lo_u32 v2, v2, s18
	s_delay_alu instid0(VALU_DEP_1) | instskip(NEXT) | instid1(VALU_DEP_1)
	v_sub_nc_u32_e32 v1, v1, v2
	v_cmp_lt_u32_e64 s2, s20, v1
	v_cmpx_ge_u32_e64 s20, v1
	s_cbranch_execz .LBB852_9
; %bb.8:
	v_add_nc_u32_e32 v1, s22, v20
	v_add_nc_u32_e32 v2, s42, v20
	s_delay_alu instid0(VALU_DEP_2) | instskip(NEXT) | instid1(VALU_DEP_2)
	v_mul_lo_u32 v1, v1, s21
	v_mul_lo_u32 v2, v2, s23
	s_delay_alu instid0(VALU_DEP_1) | instskip(NEXT) | instid1(VALU_DEP_1)
	v_sub_nc_u32_e32 v1, v1, v2
	v_cmp_lt_u32_e64 s3, s43, v1
	s_and_b32 s44, s3, exec_lo
.LBB852_9:
	s_wait_alu 0xfffe
	s_or_b32 exec_lo, exec_lo, s4
	v_add_nc_u32_e32 v1, s17, v17
	v_add_nc_u32_e32 v2, s19, v17
	s_mov_b32 s46, 0
	s_mov_b32 s45, 0
	s_mov_b32 s5, exec_lo
	v_mul_lo_u32 v1, v1, s16
	v_mul_lo_u32 v2, v2, s18
	s_delay_alu instid0(VALU_DEP_1) | instskip(NEXT) | instid1(VALU_DEP_1)
	v_sub_nc_u32_e32 v1, v1, v2
	v_cmp_lt_u32_e64 s3, s20, v1
	v_cmpx_ge_u32_e64 s20, v1
	s_cbranch_execz .LBB852_11
; %bb.10:
	v_add_nc_u32_e32 v1, s22, v17
	v_add_nc_u32_e32 v2, s42, v17
	s_delay_alu instid0(VALU_DEP_2) | instskip(NEXT) | instid1(VALU_DEP_2)
	v_mul_lo_u32 v1, v1, s21
	v_mul_lo_u32 v2, v2, s23
	s_delay_alu instid0(VALU_DEP_1) | instskip(NEXT) | instid1(VALU_DEP_1)
	v_sub_nc_u32_e32 v1, v1, v2
	v_cmp_lt_u32_e64 s4, s43, v1
	s_and_b32 s45, s4, exec_lo
.LBB852_11:
	s_wait_alu 0xfffe
	s_or_b32 exec_lo, exec_lo, s5
	v_add_nc_u32_e32 v1, s17, v18
	v_add_nc_u32_e32 v2, s19, v18
	s_mov_b32 s6, exec_lo
	s_delay_alu instid0(VALU_DEP_2) | instskip(NEXT) | instid1(VALU_DEP_2)
	v_mul_lo_u32 v1, v1, s16
	v_mul_lo_u32 v2, v2, s18
	s_delay_alu instid0(VALU_DEP_1) | instskip(NEXT) | instid1(VALU_DEP_1)
	v_sub_nc_u32_e32 v1, v1, v2
	v_cmp_lt_u32_e64 s4, s20, v1
	v_cmpx_ge_u32_e64 s20, v1
	s_cbranch_execz .LBB852_13
; %bb.12:
	v_add_nc_u32_e32 v1, s22, v18
	v_add_nc_u32_e32 v2, s42, v18
	s_delay_alu instid0(VALU_DEP_2) | instskip(NEXT) | instid1(VALU_DEP_2)
	v_mul_lo_u32 v1, v1, s21
	v_mul_lo_u32 v2, v2, s23
	s_delay_alu instid0(VALU_DEP_1) | instskip(NEXT) | instid1(VALU_DEP_1)
	v_sub_nc_u32_e32 v1, v1, v2
	v_cmp_lt_u32_e64 s5, s43, v1
	s_and_b32 s46, s5, exec_lo
.LBB852_13:
	s_or_b32 exec_lo, exec_lo, s6
	v_add_nc_u32_e32 v1, s17, v15
	v_add_nc_u32_e32 v2, s19, v15
	s_mov_b32 s48, 0
	s_mov_b32 s47, 0
	s_mov_b32 s7, exec_lo
	v_mul_lo_u32 v1, v1, s16
	v_mul_lo_u32 v2, v2, s18
	s_delay_alu instid0(VALU_DEP_1) | instskip(NEXT) | instid1(VALU_DEP_1)
	v_sub_nc_u32_e32 v1, v1, v2
	v_cmp_lt_u32_e64 s5, s20, v1
	v_cmpx_ge_u32_e64 s20, v1
	s_cbranch_execz .LBB852_15
; %bb.14:
	v_add_nc_u32_e32 v1, s22, v15
	v_add_nc_u32_e32 v2, s42, v15
	s_delay_alu instid0(VALU_DEP_2) | instskip(NEXT) | instid1(VALU_DEP_2)
	v_mul_lo_u32 v1, v1, s21
	v_mul_lo_u32 v2, v2, s23
	s_delay_alu instid0(VALU_DEP_1) | instskip(NEXT) | instid1(VALU_DEP_1)
	v_sub_nc_u32_e32 v1, v1, v2
	v_cmp_lt_u32_e64 s6, s43, v1
	s_and_b32 s47, s6, exec_lo
.LBB852_15:
	s_or_b32 exec_lo, exec_lo, s7
	v_add_nc_u32_e32 v1, s17, v16
	v_add_nc_u32_e32 v2, s19, v16
	s_mov_b32 s8, exec_lo
	s_delay_alu instid0(VALU_DEP_2) | instskip(NEXT) | instid1(VALU_DEP_2)
	v_mul_lo_u32 v1, v1, s16
	v_mul_lo_u32 v2, v2, s18
	s_delay_alu instid0(VALU_DEP_1) | instskip(NEXT) | instid1(VALU_DEP_1)
	v_sub_nc_u32_e32 v1, v1, v2
	v_cmp_lt_u32_e64 s6, s20, v1
	v_cmpx_ge_u32_e64 s20, v1
	s_cbranch_execz .LBB852_17
; %bb.16:
	v_add_nc_u32_e32 v1, s22, v16
	v_add_nc_u32_e32 v2, s42, v16
	s_delay_alu instid0(VALU_DEP_2) | instskip(NEXT) | instid1(VALU_DEP_2)
	v_mul_lo_u32 v1, v1, s21
	v_mul_lo_u32 v2, v2, s23
	s_delay_alu instid0(VALU_DEP_1) | instskip(NEXT) | instid1(VALU_DEP_1)
	v_sub_nc_u32_e32 v1, v1, v2
	v_cmp_lt_u32_e64 s7, s43, v1
	s_and_b32 s48, s7, exec_lo
.LBB852_17:
	s_or_b32 exec_lo, exec_lo, s8
	v_add_nc_u32_e32 v1, s17, v13
	v_add_nc_u32_e32 v2, s19, v13
	s_mov_b32 s50, 0
	s_mov_b32 s49, 0
	s_mov_b32 s9, exec_lo
	v_mul_lo_u32 v1, v1, s16
	v_mul_lo_u32 v2, v2, s18
	s_delay_alu instid0(VALU_DEP_1) | instskip(NEXT) | instid1(VALU_DEP_1)
	v_sub_nc_u32_e32 v1, v1, v2
	v_cmp_lt_u32_e64 s7, s20, v1
	v_cmpx_ge_u32_e64 s20, v1
	s_cbranch_execz .LBB852_19
; %bb.18:
	v_add_nc_u32_e32 v1, s22, v13
	v_add_nc_u32_e32 v2, s42, v13
	s_delay_alu instid0(VALU_DEP_2) | instskip(NEXT) | instid1(VALU_DEP_2)
	v_mul_lo_u32 v1, v1, s21
	v_mul_lo_u32 v2, v2, s23
	s_delay_alu instid0(VALU_DEP_1) | instskip(NEXT) | instid1(VALU_DEP_1)
	v_sub_nc_u32_e32 v1, v1, v2
	v_cmp_lt_u32_e64 s8, s43, v1
	s_and_b32 s49, s8, exec_lo
.LBB852_19:
	;; [unrolled: 47-line block ×5, first 2 shown]
	s_or_b32 exec_lo, exec_lo, s57
	v_cndmask_b32_e64 v2, 0, 1, s2
	s_wait_alu 0xf1ff
	v_cndmask_b32_e64 v4, 0, 1, s4
	s_wait_alu 0xfffd
	v_cndmask_b32_e64 v1, 0, 1, vcc_lo
	v_cndmask_b32_e64 v3, 0, 1, s3
	v_cndmask_b32_e64 v6, 0, 1, s6
	v_lshlrev_b16 v2, 8, v2
	v_lshlrev_b16 v4, 8, v4
	v_cndmask_b32_e64 v8, 0, 1, s8
	v_cndmask_b32_e64 v22, 0, 1, s10
	;; [unrolled: 1-line block ×3, first 2 shown]
	v_or_b32_e32 v1, v1, v2
	v_or_b32_e32 v2, v3, v4
	v_cndmask_b32_e64 v51, 0, 1, s41
	v_cndmask_b32_e64 v5, 0, 1, s5
	;; [unrolled: 1-line block ×3, first 2 shown]
	v_and_b32_e32 v1, 0xffff, v1
	v_lshlrev_b32_e32 v2, 16, v2
	v_cndmask_b32_e64 v21, 0, 1, s9
	v_cndmask_b32_e64 v23, 0, 1, s11
	;; [unrolled: 1-line block ×8, first 2 shown]
	v_or_b32_e32 v42, v1, v2
	v_lshlrev_b16 v1, 8, v6
	v_lshlrev_b16 v2, 8, v8
	;; [unrolled: 1-line block ×5, first 2 shown]
	v_cndmask_b32_e64 v26, 0, 1, s53
	v_cndmask_b32_e64 v44, 0, 1, s50
	;; [unrolled: 1-line block ×5, first 2 shown]
	v_or_b32_e32 v1, v5, v1
	v_or_b32_e32 v2, v7, v2
	;; [unrolled: 1-line block ×5, first 2 shown]
	v_lshlrev_b16 v4, 8, v4
	v_lshlrev_b16 v8, 8, v49
	;; [unrolled: 1-line block ×5, first 2 shown]
	v_or_b32_e32 v4, v50, v4
	v_or_b32_e32 v3, v3, v8
	v_or_b32_e32 v8, v47, v21
	v_or_b32_e32 v21, v44, v22
	v_or_b32_e32 v22, v26, v23
	v_and_b32_e32 v1, 0xffff, v1
	v_lshlrev_b32_e32 v2, 16, v2
	v_and_b32_e32 v5, 0xffff, v5
	v_lshlrev_b32_e32 v6, 16, v6
	;; [unrolled: 2-line block ×5, first 2 shown]
	v_cndmask_b32_e64 v45, 0, 1, s54
	v_cndmask_b32_e64 v48, 0, 1, s56
	v_or_b32_e32 v44, v1, v2
	v_or_b32_e32 v47, v5, v6
	;; [unrolled: 1-line block ×5, first 2 shown]
	s_load_b64 s[4:5], s[0:1], 0x78
	s_and_b32 vcc_lo, exec_lo, s51
	s_wait_alu 0xfffe
	s_cbranch_vccnz .LBB852_33
	s_branch .LBB852_110
.LBB852_32:
                                        ; implicit-def: $vgpr48
                                        ; implicit-def: $vgpr45
                                        ; implicit-def: $vgpr46
                                        ; implicit-def: $vgpr43
                                        ; implicit-def: $vgpr49
                                        ; implicit-def: $vgpr47
                                        ; implicit-def: $vgpr44
                                        ; implicit-def: $vgpr42
	s_load_b64 s[4:5], s[0:1], 0x78
	s_cbranch_execz .LBB852_110
.LBB852_33:
	v_dual_mov_b32 v2, 0 :: v_dual_mov_b32 v1, 0
	s_mov_b32 s1, exec_lo
	v_cmpx_gt_u32_e64 s33, v41
	s_cbranch_execz .LBB852_37
; %bb.34:
	v_add_nc_u32_e32 v1, s17, v19
	v_add_nc_u32_e32 v2, s19, v19
	s_mov_b32 s3, 0
	s_mov_b32 s2, exec_lo
	s_delay_alu instid0(VALU_DEP_2) | instskip(NEXT) | instid1(VALU_DEP_2)
	v_mul_lo_u32 v1, v1, s16
	v_mul_lo_u32 v2, v2, s18
	s_delay_alu instid0(VALU_DEP_1) | instskip(NEXT) | instid1(VALU_DEP_1)
	v_sub_nc_u32_e32 v1, v1, v2
	v_cmp_lt_u32_e32 vcc_lo, s20, v1
	v_cmpx_ge_u32_e64 s20, v1
	s_cbranch_execz .LBB852_36
; %bb.35:
	v_add_nc_u32_e32 v1, s22, v19
	v_add_nc_u32_e32 v2, s42, v19
	s_delay_alu instid0(VALU_DEP_2) | instskip(NEXT) | instid1(VALU_DEP_2)
	v_mul_lo_u32 v1, v1, s21
	v_mul_lo_u32 v2, v2, s23
	s_delay_alu instid0(VALU_DEP_1) | instskip(NEXT) | instid1(VALU_DEP_1)
	v_sub_nc_u32_e32 v1, v1, v2
	v_cmp_lt_u32_e64 s0, s43, v1
	s_and_b32 s3, s0, exec_lo
.LBB852_36:
	s_wait_alu 0xfffe
	s_or_b32 exec_lo, exec_lo, s2
	v_cndmask_b32_e64 v2, 0, 1, s3
	s_wait_alu 0xfffd
	v_cndmask_b32_e64 v1, 0, 1, vcc_lo
.LBB852_37:
	s_or_b32 exec_lo, exec_lo, s1
	s_delay_alu instid0(VALU_DEP_2) | instskip(SKIP_1) | instid1(VALU_DEP_3)
	v_lshlrev_b16 v2, 8, v2
	v_add_nc_u32_e32 v3, 1, v41
	v_and_b32_e32 v6, 0xff, v1
	v_lshlrev_b16 v1, 8, 0
                                        ; implicit-def: $vgpr5
                                        ; implicit-def: $vgpr8
                                        ; implicit-def: $vgpr4
	s_delay_alu instid0(VALU_DEP_4) | instskip(NEXT) | instid1(VALU_DEP_4)
	v_and_b32_e32 v2, 0xffff, v2
	v_cmp_le_u32_e32 vcc_lo, s33, v3
                                        ; implicit-def: $vgpr3
	s_delay_alu instid0(VALU_DEP_2) | instskip(SKIP_2) | instid1(SALU_CYCLE_1)
	v_lshrrev_b32_e32 v21, 8, v2
	v_and_b32_e32 v7, 0xff, v2
                                        ; implicit-def: $vgpr2
	s_and_saveexec_b32 s0, vcc_lo
	s_xor_b32 s0, exec_lo, s0
	s_cbranch_execz .LBB852_39
; %bb.38:
	v_lshlrev_b16 v2, 8, v21
	v_and_b32_e32 v4, 0xffff, v1
                                        ; implicit-def: $vgpr21
	v_mov_b32_e32 v5, 0
	s_delay_alu instid0(VALU_DEP_3) | instskip(SKIP_1) | instid1(VALU_DEP_2)
	v_or_b32_e32 v3, v7, v2
	v_mov_b32_e32 v2, 0
                                        ; implicit-def: $vgpr7
	v_and_b32_e32 v8, 0xffff, v3
	v_and_b32_e32 v3, 0xffff, v1
                                        ; implicit-def: $vgpr1
.LBB852_39:
	s_and_not1_saveexec_b32 s1, s0
	s_cbranch_execz .LBB852_43
; %bb.40:
	v_add_nc_u32_e32 v2, s17, v20
	v_add_nc_u32_e32 v3, s19, v20
	s_mov_b32 s2, 0
	s_mov_b32 s3, exec_lo
	s_delay_alu instid0(VALU_DEP_2) | instskip(NEXT) | instid1(VALU_DEP_2)
	v_mul_lo_u32 v2, v2, s16
	v_mul_lo_u32 v3, v3, s18
	s_delay_alu instid0(VALU_DEP_1) | instskip(NEXT) | instid1(VALU_DEP_1)
	v_sub_nc_u32_e32 v2, v2, v3
	v_cmp_lt_u32_e32 vcc_lo, s20, v2
	v_cmpx_ge_u32_e64 s20, v2
	s_cbranch_execz .LBB852_42
; %bb.41:
	v_add_nc_u32_e32 v2, s22, v20
	v_add_nc_u32_e32 v3, s42, v20
	s_delay_alu instid0(VALU_DEP_2) | instskip(NEXT) | instid1(VALU_DEP_2)
	v_mul_lo_u32 v2, v2, s21
	v_mul_lo_u32 v3, v3, s23
	s_delay_alu instid0(VALU_DEP_1) | instskip(NEXT) | instid1(VALU_DEP_1)
	v_sub_nc_u32_e32 v2, v2, v3
	v_cmp_lt_u32_e64 s0, s43, v2
	s_and_b32 s2, s0, exec_lo
.LBB852_42:
	s_wait_alu 0xfffe
	s_or_b32 exec_lo, exec_lo, s3
	s_wait_alu 0xfffd
	v_cndmask_b32_e64 v2, 0, 1, vcc_lo
	v_lshlrev_b16 v3, 8, v21
	v_dual_mov_b32 v5, 0 :: v_dual_and_b32 v4, 0xffff, v1
	s_delay_alu instid0(VALU_DEP_3) | instskip(NEXT) | instid1(VALU_DEP_3)
	v_lshlrev_b16 v2, 8, v2
	v_or_b32_e32 v3, v7, v3
	v_cndmask_b32_e64 v7, 0, 1, s2
	s_delay_alu instid0(VALU_DEP_3) | instskip(NEXT) | instid1(VALU_DEP_3)
	v_or_b32_e32 v6, v6, v2
	v_dual_mov_b32 v2, 0 :: v_dual_and_b32 v3, 0xffff, v3
	s_delay_alu instid0(VALU_DEP_2) | instskip(NEXT) | instid1(VALU_DEP_2)
	v_and_b32_e32 v6, 0xffff, v6
	v_lshl_or_b32 v8, v7, 16, v3
	v_and_b32_e32 v3, 0xffff, v1
.LBB852_43:
	s_or_b32 exec_lo, exec_lo, s1
	v_add_nc_u32_e32 v1, 2, v41
	v_and_b32_e32 v21, 0xff, v6
	v_lshrrev_b32_e32 v22, 8, v6
                                        ; implicit-def: $vgpr7
	s_delay_alu instid0(VALU_DEP_3) | instskip(SKIP_1) | instid1(SALU_CYCLE_1)
	v_cmp_le_u32_e32 vcc_lo, s33, v1
                                        ; implicit-def: $vgpr1
	s_and_saveexec_b32 s0, vcc_lo
	s_xor_b32 s0, exec_lo, s0
	s_cbranch_execz .LBB852_45
; %bb.44:
	v_lshlrev_b16 v1, 8, v22
	v_perm_b32 v4, v4, v4, 0x3060504
                                        ; implicit-def: $vgpr22
	s_delay_alu instid0(VALU_DEP_2) | instskip(SKIP_1) | instid1(VALU_DEP_2)
	v_or_b32_e32 v1, v21, v1
	v_and_b32_e32 v21, 0xff0000, v8
	v_and_b32_e32 v1, 0xffff, v1
	s_delay_alu instid0(VALU_DEP_1) | instskip(NEXT) | instid1(VALU_DEP_3)
	v_and_or_b32 v7, 0xff000000, v6, v1
	v_perm_b32 v1, v8, v21, 0x3020504
                                        ; implicit-def: $vgpr21
                                        ; implicit-def: $vgpr6
                                        ; implicit-def: $vgpr8
.LBB852_45:
	s_and_not1_saveexec_b32 s1, s0
	s_cbranch_execz .LBB852_49
; %bb.46:
	v_add_nc_u32_e32 v1, s17, v17
	v_add_nc_u32_e32 v7, s19, v17
	s_mov_b32 s2, 0
	s_mov_b32 s3, exec_lo
	s_delay_alu instid0(VALU_DEP_2) | instskip(NEXT) | instid1(VALU_DEP_2)
	v_mul_lo_u32 v1, v1, s16
	v_mul_lo_u32 v7, v7, s18
	s_delay_alu instid0(VALU_DEP_1) | instskip(NEXT) | instid1(VALU_DEP_1)
	v_sub_nc_u32_e32 v1, v1, v7
	v_cmp_lt_u32_e32 vcc_lo, s20, v1
	v_cmpx_ge_u32_e64 s20, v1
	s_cbranch_execz .LBB852_48
; %bb.47:
	v_add_nc_u32_e32 v1, s22, v17
	v_add_nc_u32_e32 v7, s42, v17
	s_delay_alu instid0(VALU_DEP_2) | instskip(NEXT) | instid1(VALU_DEP_2)
	v_mul_lo_u32 v1, v1, s21
	v_mul_lo_u32 v7, v7, s23
	s_delay_alu instid0(VALU_DEP_1) | instskip(NEXT) | instid1(VALU_DEP_1)
	v_sub_nc_u32_e32 v1, v1, v7
	v_cmp_lt_u32_e64 s0, s43, v1
	s_and_b32 s2, s0, exec_lo
.LBB852_48:
	s_wait_alu 0xfffe
	s_or_b32 exec_lo, exec_lo, s3
	v_lshrrev_b32_e32 v6, 24, v6
	v_cndmask_b32_e64 v7, 0, 1, s2
	v_lshrrev_b32_e32 v23, 8, v8
	v_lshrrev_b32_e32 v24, 16, v8
	s_wait_alu 0xfffd
	v_cndmask_b32_e64 v1, 0, 1, vcc_lo
	v_lshlrev_b16 v22, 8, v22
	v_lshlrev_b16 v6, 8, v6
	v_and_b32_e32 v8, 0xff, v8
	v_lshlrev_b16 v23, 8, v23
	v_lshlrev_b16 v7, 8, v7
	v_and_b32_e32 v24, 0xff, v24
	v_or_b32_e32 v21, v21, v22
	v_or_b32_e32 v1, v1, v6
	;; [unrolled: 1-line block ×3, first 2 shown]
	s_delay_alu instid0(VALU_DEP_4) | instskip(NEXT) | instid1(VALU_DEP_4)
	v_or_b32_e32 v7, v24, v7
	v_and_b32_e32 v8, 0xffff, v21
	s_delay_alu instid0(VALU_DEP_4) | instskip(NEXT) | instid1(VALU_DEP_4)
	v_lshlrev_b32_e32 v1, 16, v1
	v_and_b32_e32 v6, 0xffff, v6
	s_delay_alu instid0(VALU_DEP_4) | instskip(NEXT) | instid1(VALU_DEP_3)
	v_lshlrev_b32_e32 v21, 16, v7
	v_or_b32_e32 v7, v8, v1
	s_delay_alu instid0(VALU_DEP_2)
	v_or_b32_e32 v1, v6, v21
.LBB852_49:
	s_or_b32 exec_lo, exec_lo, s1
	v_add_nc_u32_e32 v6, 3, v41
	v_lshrrev_b32_e32 v8, 24, v5
	v_lshrrev_b32_e32 v21, 16, v5
	;; [unrolled: 1-line block ×3, first 2 shown]
                                        ; implicit-def: $vgpr42
	s_delay_alu instid0(VALU_DEP_4) | instskip(SKIP_1) | instid1(SALU_CYCLE_1)
	v_cmp_le_u32_e32 vcc_lo, s33, v6
                                        ; implicit-def: $vgpr6
	s_and_saveexec_b32 s0, vcc_lo
	s_xor_b32 s0, exec_lo, s0
	s_cbranch_execz .LBB852_51
; %bb.50:
	v_lshlrev_b16 v6, 8, v8
	v_and_b32_e32 v8, 0xff, v21
	v_lshlrev_b16 v5, 8, v5
	v_perm_b32 v4, v4, v4, 0x3060504
	v_perm_b32 v3, v3, v3, 0x3060504
                                        ; implicit-def: $vgpr21
	s_delay_alu instid0(VALU_DEP_4) | instskip(SKIP_2) | instid1(VALU_DEP_3)
	v_or_b32_e32 v6, v8, v6
	v_and_b32_e32 v8, 0xff0000, v7
	v_and_b32_e32 v5, 0xffff, v5
	v_lshlrev_b32_e32 v6, 16, v6
	s_delay_alu instid0(VALU_DEP_3) | instskip(NEXT) | instid1(VALU_DEP_2)
	v_perm_b32 v42, v7, v8, 0x3020504
                                        ; implicit-def: $vgpr7
                                        ; implicit-def: $vgpr8
	v_or_b32_e32 v6, v5, v6
                                        ; implicit-def: $vgpr5
.LBB852_51:
	s_and_not1_saveexec_b32 s1, s0
	s_cbranch_execz .LBB852_55
; %bb.52:
	v_add_nc_u32_e32 v6, s17, v18
	v_add_nc_u32_e32 v22, s19, v18
	s_mov_b32 s2, 0
	s_mov_b32 s3, exec_lo
	s_delay_alu instid0(VALU_DEP_2) | instskip(NEXT) | instid1(VALU_DEP_2)
	v_mul_lo_u32 v6, v6, s16
	v_mul_lo_u32 v22, v22, s18
	s_delay_alu instid0(VALU_DEP_1) | instskip(NEXT) | instid1(VALU_DEP_1)
	v_sub_nc_u32_e32 v6, v6, v22
	v_cmp_lt_u32_e32 vcc_lo, s20, v6
	v_cmpx_ge_u32_e64 s20, v6
	s_cbranch_execz .LBB852_54
; %bb.53:
	v_add_nc_u32_e32 v6, s22, v18
	v_add_nc_u32_e32 v22, s42, v18
	s_delay_alu instid0(VALU_DEP_2) | instskip(NEXT) | instid1(VALU_DEP_2)
	v_mul_lo_u32 v6, v6, s21
	v_mul_lo_u32 v22, v22, s23
	s_delay_alu instid0(VALU_DEP_1) | instskip(NEXT) | instid1(VALU_DEP_1)
	v_sub_nc_u32_e32 v6, v6, v22
	v_cmp_lt_u32_e64 s0, s43, v6
	s_and_b32 s2, s0, exec_lo
.LBB852_54:
	s_wait_alu 0xfffe
	s_or_b32 exec_lo, exec_lo, s3
	v_lshrrev_b32_e32 v6, 8, v7
	s_wait_alu 0xfffd
	v_cndmask_b32_e64 v22, 0, 1, vcc_lo
	v_lshrrev_b32_e32 v23, 16, v7
	v_cndmask_b32_e64 v24, 0, 1, s2
	v_and_b32_e32 v7, 0xff, v7
	v_lshlrev_b16 v6, 8, v6
	v_lshlrev_b16 v22, 8, v22
	v_and_b32_e32 v23, 0xff, v23
	v_lshlrev_b16 v8, 8, v8
	v_and_b32_e32 v21, 0xff, v21
	v_lshlrev_b16 v5, 8, v5
	v_or_b32_e32 v6, v7, v6
	v_or_b32_e32 v7, v23, v22
	s_delay_alu instid0(VALU_DEP_4) | instskip(NEXT) | instid1(VALU_DEP_4)
	v_or_b32_e32 v8, v21, v8
	v_or_b32_e32 v5, v24, v5
	s_delay_alu instid0(VALU_DEP_4) | instskip(NEXT) | instid1(VALU_DEP_4)
	v_and_b32_e32 v6, 0xffff, v6
	v_lshlrev_b32_e32 v7, 16, v7
	s_delay_alu instid0(VALU_DEP_4) | instskip(NEXT) | instid1(VALU_DEP_4)
	v_lshlrev_b32_e32 v8, 16, v8
	v_and_b32_e32 v5, 0xffff, v5
	s_delay_alu instid0(VALU_DEP_3) | instskip(NEXT) | instid1(VALU_DEP_2)
	v_or_b32_e32 v42, v6, v7
	v_or_b32_e32 v6, v5, v8
.LBB852_55:
	s_or_b32 exec_lo, exec_lo, s1
	v_add_nc_u32_e32 v5, 4, v41
	v_lshrrev_b32_e32 v21, 8, v4
	v_lshrrev_b32_e32 v22, 16, v4
	;; [unrolled: 1-line block ×4, first 2 shown]
	v_cmp_le_u32_e32 vcc_lo, s33, v5
	v_lshrrev_b32_e32 v8, 16, v6
                                        ; implicit-def: $vgpr4
                                        ; implicit-def: $vgpr5
	s_and_saveexec_b32 s0, vcc_lo
	s_delay_alu instid0(SALU_CYCLE_1)
	s_xor_b32 s0, exec_lo, s0
	s_cbranch_execz .LBB852_57
; %bb.56:
	v_lshlrev_b16 v4, 8, v23
	v_and_b32_e32 v5, 0xff, v22
	v_lshlrev_b16 v21, 8, v21
	v_lshlrev_b16 v7, 8, v7
	v_and_b32_e32 v8, 0xff, v8
	v_perm_b32 v3, v3, v3, 0x3060504
	v_or_b32_e32 v4, v5, v4
	v_and_b32_e32 v5, 0xffff, v21
                                        ; implicit-def: $vgpr21
                                        ; implicit-def: $vgpr22
                                        ; implicit-def: $vgpr23
	s_delay_alu instid0(VALU_DEP_4) | instskip(NEXT) | instid1(VALU_DEP_3)
	v_or_b32_e32 v7, v8, v7
	v_lshlrev_b32_e32 v8, 16, v4
	s_delay_alu instid0(VALU_DEP_2) | instskip(NEXT) | instid1(VALU_DEP_2)
	v_perm_b32 v4, v7, v6, 0x5040c00
                                        ; implicit-def: $vgpr6
                                        ; implicit-def: $vgpr7
	v_or_b32_e32 v5, v5, v8
                                        ; implicit-def: $vgpr8
.LBB852_57:
	s_and_not1_saveexec_b32 s1, s0
	s_cbranch_execz .LBB852_61
; %bb.58:
	v_add_nc_u32_e32 v4, s17, v15
	v_add_nc_u32_e32 v5, s19, v15
	s_mov_b32 s2, 0
	s_mov_b32 s3, exec_lo
	s_delay_alu instid0(VALU_DEP_2) | instskip(NEXT) | instid1(VALU_DEP_2)
	v_mul_lo_u32 v4, v4, s16
	v_mul_lo_u32 v5, v5, s18
	s_delay_alu instid0(VALU_DEP_1) | instskip(NEXT) | instid1(VALU_DEP_1)
	v_sub_nc_u32_e32 v4, v4, v5
	v_cmp_lt_u32_e32 vcc_lo, s20, v4
	v_cmpx_ge_u32_e64 s20, v4
	s_cbranch_execz .LBB852_60
; %bb.59:
	v_add_nc_u32_e32 v4, s22, v15
	v_add_nc_u32_e32 v5, s42, v15
	s_delay_alu instid0(VALU_DEP_2) | instskip(NEXT) | instid1(VALU_DEP_2)
	v_mul_lo_u32 v4, v4, s21
	v_mul_lo_u32 v5, v5, s23
	s_delay_alu instid0(VALU_DEP_1) | instskip(NEXT) | instid1(VALU_DEP_1)
	v_sub_nc_u32_e32 v4, v4, v5
	v_cmp_lt_u32_e64 s0, s43, v4
	s_and_b32 s2, s0, exec_lo
.LBB852_60:
	s_wait_alu 0xfffe
	s_or_b32 exec_lo, exec_lo, s3
	v_cndmask_b32_e64 v4, 0, 1, s2
	s_wait_alu 0xfffd
	v_cndmask_b32_e64 v5, 0, 1, vcc_lo
	v_lshlrev_b16 v23, 8, v23
	v_and_b32_e32 v22, 0xff, v22
	v_lshlrev_b16 v21, 8, v21
	v_lshlrev_b16 v4, 8, v4
	v_and_b32_e32 v6, 0xff, v6
	v_lshlrev_b16 v7, 8, v7
	v_and_b32_e32 v8, 0xff, v8
	v_or_b32_e32 v22, v22, v23
	v_or_b32_e32 v5, v5, v21
	;; [unrolled: 1-line block ×3, first 2 shown]
	s_delay_alu instid0(VALU_DEP_4) | instskip(NEXT) | instid1(VALU_DEP_4)
	v_or_b32_e32 v6, v8, v7
	v_lshlrev_b32_e32 v7, 16, v22
	s_delay_alu instid0(VALU_DEP_4) | instskip(NEXT) | instid1(VALU_DEP_4)
	v_and_b32_e32 v5, 0xffff, v5
	v_and_b32_e32 v4, 0xffff, v4
	s_delay_alu instid0(VALU_DEP_4) | instskip(NEXT) | instid1(VALU_DEP_3)
	v_lshlrev_b32_e32 v6, 16, v6
	v_or_b32_e32 v5, v5, v7
	s_delay_alu instid0(VALU_DEP_2)
	v_or_b32_e32 v4, v4, v6
.LBB852_61:
	s_or_b32 exec_lo, exec_lo, s1
	v_add_nc_u32_e32 v6, 5, v41
	s_delay_alu instid0(VALU_DEP_2)
	v_lshrrev_b32_e32 v21, 16, v5
	v_lshrrev_b32_e32 v23, 24, v5
	v_and_b32_e32 v8, 0xff, v4
	v_lshrrev_b32_e32 v22, 8, v4
	v_cmp_le_u32_e32 vcc_lo, s33, v6
                                        ; implicit-def: $vgpr6
                                        ; implicit-def: $vgpr7
	s_and_saveexec_b32 s0, vcc_lo
	s_delay_alu instid0(SALU_CYCLE_1)
	s_xor_b32 s0, exec_lo, s0
	s_cbranch_execz .LBB852_63
; %bb.62:
	v_lshlrev_b16 v6, 8, v22
	v_lshlrev_b16 v7, 8, v23
	v_and_b32_e32 v21, 0xff, v21
	v_perm_b32 v3, v3, v3, 0x3060504
                                        ; implicit-def: $vgpr23
                                        ; implicit-def: $vgpr22
	s_delay_alu instid0(VALU_DEP_4) | instskip(NEXT) | instid1(VALU_DEP_3)
	v_or_b32_e32 v6, v8, v6
                                        ; implicit-def: $vgpr8
	v_or_b32_e32 v7, v21, v7
                                        ; implicit-def: $vgpr21
	s_delay_alu instid0(VALU_DEP_2) | instskip(NEXT) | instid1(VALU_DEP_2)
	v_and_b32_e32 v6, 0xffff, v6
	v_perm_b32 v7, v7, v5, 0x5040c00
                                        ; implicit-def: $vgpr5
	s_delay_alu instid0(VALU_DEP_2)
	v_and_or_b32 v6, 0xff000000, v4, v6
                                        ; implicit-def: $vgpr4
.LBB852_63:
	s_and_not1_saveexec_b32 s1, s0
	s_cbranch_execz .LBB852_67
; %bb.64:
	v_add_nc_u32_e32 v6, s17, v16
	v_add_nc_u32_e32 v7, s19, v16
	s_mov_b32 s2, 0
	s_mov_b32 s3, exec_lo
	s_delay_alu instid0(VALU_DEP_2) | instskip(NEXT) | instid1(VALU_DEP_2)
	v_mul_lo_u32 v6, v6, s16
	v_mul_lo_u32 v7, v7, s18
	s_delay_alu instid0(VALU_DEP_1) | instskip(NEXT) | instid1(VALU_DEP_1)
	v_sub_nc_u32_e32 v6, v6, v7
	v_cmp_lt_u32_e32 vcc_lo, s20, v6
	v_cmpx_ge_u32_e64 s20, v6
	s_cbranch_execz .LBB852_66
; %bb.65:
	v_add_nc_u32_e32 v6, s22, v16
	v_add_nc_u32_e32 v7, s42, v16
	s_delay_alu instid0(VALU_DEP_2) | instskip(NEXT) | instid1(VALU_DEP_2)
	v_mul_lo_u32 v6, v6, s21
	v_mul_lo_u32 v7, v7, s23
	s_delay_alu instid0(VALU_DEP_1) | instskip(NEXT) | instid1(VALU_DEP_1)
	v_sub_nc_u32_e32 v6, v6, v7
	v_cmp_lt_u32_e64 s0, s43, v6
	s_and_b32 s2, s0, exec_lo
.LBB852_66:
	s_wait_alu 0xfffe
	s_or_b32 exec_lo, exec_lo, s3
	s_wait_alu 0xfffd
	v_cndmask_b32_e64 v6, 0, 1, vcc_lo
	v_lshrrev_b32_e32 v4, 24, v4
	v_cndmask_b32_e64 v7, 0, 1, s2
	v_lshlrev_b16 v23, 8, v23
	v_and_b32_e32 v21, 0xff, v21
	v_lshlrev_b16 v6, 8, v6
	v_lshlrev_b16 v22, 8, v22
	v_and_b32_e32 v5, 0xff, v5
	v_lshlrev_b16 v4, 8, v4
	v_or_b32_e32 v21, v21, v23
	s_delay_alu instid0(VALU_DEP_4) | instskip(NEXT) | instid1(VALU_DEP_4)
	v_or_b32_e32 v8, v8, v22
	v_or_b32_e32 v5, v5, v6
	s_delay_alu instid0(VALU_DEP_4) | instskip(NEXT) | instid1(VALU_DEP_4)
	v_or_b32_e32 v4, v7, v4
	v_lshlrev_b32_e32 v6, 16, v21
	s_delay_alu instid0(VALU_DEP_4) | instskip(NEXT) | instid1(VALU_DEP_4)
	v_and_b32_e32 v8, 0xffff, v8
	v_and_b32_e32 v5, 0xffff, v5
	s_delay_alu instid0(VALU_DEP_4) | instskip(NEXT) | instid1(VALU_DEP_2)
	v_lshlrev_b32_e32 v4, 16, v4
	v_or_b32_e32 v7, v5, v6
	s_delay_alu instid0(VALU_DEP_2)
	v_or_b32_e32 v6, v8, v4
.LBB852_67:
	s_or_b32 exec_lo, exec_lo, s1
	v_add_nc_u32_e32 v4, 6, v41
	s_delay_alu instid0(VALU_DEP_3) | instskip(NEXT) | instid1(VALU_DEP_2)
	v_lshrrev_b32_e32 v8, 8, v7
                                        ; implicit-def: $vgpr43
                                        ; implicit-def: $vgpr5
	v_cmp_le_u32_e32 vcc_lo, s33, v4
	v_and_b32_e32 v4, 0xff, v7
	s_and_saveexec_b32 s0, vcc_lo
	s_delay_alu instid0(SALU_CYCLE_1)
	s_xor_b32 s0, exec_lo, s0
	s_cbranch_execz .LBB852_69
; %bb.68:
	v_lshlrev_b16 v5, 8, v8
	v_perm_b32 v3, v3, v3, 0x3060504
                                        ; implicit-def: $vgpr8
	s_delay_alu instid0(VALU_DEP_2) | instskip(SKIP_1) | instid1(VALU_DEP_2)
	v_or_b32_e32 v4, v4, v5
	v_and_b32_e32 v5, 0xff0000, v6
	v_and_b32_e32 v4, 0xffff, v4
	s_delay_alu instid0(VALU_DEP_2) | instskip(NEXT) | instid1(VALU_DEP_2)
	v_perm_b32 v43, v6, v5, 0x3020504
                                        ; implicit-def: $vgpr6
	v_and_or_b32 v5, 0xff000000, v7, v4
                                        ; implicit-def: $vgpr4
                                        ; implicit-def: $vgpr7
.LBB852_69:
	s_and_not1_saveexec_b32 s1, s0
	s_cbranch_execz .LBB852_73
; %bb.70:
	v_add_nc_u32_e32 v5, s17, v13
	v_add_nc_u32_e32 v21, s19, v13
	s_mov_b32 s2, 0
	s_mov_b32 s3, exec_lo
	s_delay_alu instid0(VALU_DEP_2) | instskip(NEXT) | instid1(VALU_DEP_2)
	v_mul_lo_u32 v5, v5, s16
	v_mul_lo_u32 v21, v21, s18
	s_delay_alu instid0(VALU_DEP_1) | instskip(NEXT) | instid1(VALU_DEP_1)
	v_sub_nc_u32_e32 v5, v5, v21
	v_cmp_lt_u32_e32 vcc_lo, s20, v5
	v_cmpx_ge_u32_e64 s20, v5
	s_cbranch_execz .LBB852_72
; %bb.71:
	v_add_nc_u32_e32 v5, s22, v13
	v_add_nc_u32_e32 v21, s42, v13
	s_delay_alu instid0(VALU_DEP_2) | instskip(NEXT) | instid1(VALU_DEP_2)
	v_mul_lo_u32 v5, v5, s21
	v_mul_lo_u32 v21, v21, s23
	s_delay_alu instid0(VALU_DEP_1) | instskip(NEXT) | instid1(VALU_DEP_1)
	v_sub_nc_u32_e32 v5, v5, v21
	v_cmp_lt_u32_e64 s0, s43, v5
	s_and_b32 s2, s0, exec_lo
.LBB852_72:
	s_wait_alu 0xfffe
	s_or_b32 exec_lo, exec_lo, s3
	v_lshrrev_b32_e32 v7, 24, v7
	v_cndmask_b32_e64 v21, 0, 1, s2
	v_lshrrev_b32_e32 v22, 8, v6
	v_lshrrev_b32_e32 v23, 16, v6
	s_wait_alu 0xfffd
	v_cndmask_b32_e64 v5, 0, 1, vcc_lo
	v_lshlrev_b16 v8, 8, v8
	v_lshlrev_b16 v7, 8, v7
	v_and_b32_e32 v6, 0xff, v6
	v_lshlrev_b16 v22, 8, v22
	v_lshlrev_b16 v21, 8, v21
	v_and_b32_e32 v23, 0xff, v23
	v_or_b32_e32 v4, v4, v8
	v_or_b32_e32 v5, v5, v7
	;; [unrolled: 1-line block ×3, first 2 shown]
	s_delay_alu instid0(VALU_DEP_4) | instskip(NEXT) | instid1(VALU_DEP_4)
	v_or_b32_e32 v7, v23, v21
	v_and_b32_e32 v4, 0xffff, v4
	s_delay_alu instid0(VALU_DEP_4) | instskip(NEXT) | instid1(VALU_DEP_4)
	v_lshlrev_b32_e32 v5, 16, v5
	v_and_b32_e32 v6, 0xffff, v6
	s_delay_alu instid0(VALU_DEP_4) | instskip(NEXT) | instid1(VALU_DEP_3)
	v_lshlrev_b32_e32 v7, 16, v7
	v_or_b32_e32 v5, v4, v5
	s_delay_alu instid0(VALU_DEP_2)
	v_or_b32_e32 v43, v6, v7
.LBB852_73:
	s_or_b32 exec_lo, exec_lo, s1
	v_add_nc_u32_e32 v4, 7, v41
	v_lshrrev_b32_e32 v6, 8, v3
	v_lshrrev_b32_e32 v7, 16, v3
	;; [unrolled: 1-line block ×3, first 2 shown]
                                        ; implicit-def: $vgpr44
	s_delay_alu instid0(VALU_DEP_4) | instskip(SKIP_1) | instid1(SALU_CYCLE_1)
	v_cmp_le_u32_e32 vcc_lo, s33, v4
                                        ; implicit-def: $vgpr4
	s_and_saveexec_b32 s0, vcc_lo
	s_xor_b32 s0, exec_lo, s0
	s_cbranch_execz .LBB852_75
; %bb.74:
	v_lshlrev_b16 v3, 8, v3
	v_and_b32_e32 v4, 0xff, v7
                                        ; implicit-def: $vgpr7
	s_delay_alu instid0(VALU_DEP_1) | instskip(SKIP_2) | instid1(VALU_DEP_3)
	v_or_b32_e32 v3, v4, v3
	v_lshlrev_b16 v4, 8, v6
	v_and_b32_e32 v6, 0xff0000, v5
	v_lshlrev_b32_e32 v3, 16, v3
	s_delay_alu instid0(VALU_DEP_3) | instskip(NEXT) | instid1(VALU_DEP_3)
	v_and_b32_e32 v4, 0xffff, v4
	v_perm_b32 v44, v5, v6, 0x3020504
                                        ; implicit-def: $vgpr5
                                        ; implicit-def: $vgpr6
	s_delay_alu instid0(VALU_DEP_2)
	v_or_b32_e32 v4, v4, v3
                                        ; implicit-def: $vgpr3
.LBB852_75:
	s_and_not1_saveexec_b32 s1, s0
	s_cbranch_execz .LBB852_79
; %bb.76:
	v_add_nc_u32_e32 v4, s17, v14
	v_add_nc_u32_e32 v8, s19, v14
	s_mov_b32 s2, 0
	s_mov_b32 s3, exec_lo
	s_delay_alu instid0(VALU_DEP_2) | instskip(NEXT) | instid1(VALU_DEP_2)
	v_mul_lo_u32 v4, v4, s16
	v_mul_lo_u32 v8, v8, s18
	s_delay_alu instid0(VALU_DEP_1) | instskip(NEXT) | instid1(VALU_DEP_1)
	v_sub_nc_u32_e32 v4, v4, v8
	v_cmp_lt_u32_e32 vcc_lo, s20, v4
	v_cmpx_ge_u32_e64 s20, v4
	s_cbranch_execz .LBB852_78
; %bb.77:
	v_add_nc_u32_e32 v4, s22, v14
	v_add_nc_u32_e32 v8, s42, v14
	s_delay_alu instid0(VALU_DEP_2) | instskip(NEXT) | instid1(VALU_DEP_2)
	v_mul_lo_u32 v4, v4, s21
	v_mul_lo_u32 v8, v8, s23
	s_delay_alu instid0(VALU_DEP_1) | instskip(NEXT) | instid1(VALU_DEP_1)
	v_sub_nc_u32_e32 v4, v4, v8
	v_cmp_lt_u32_e64 s0, s43, v4
	s_and_b32 s2, s0, exec_lo
.LBB852_78:
	s_wait_alu 0xfffe
	s_or_b32 exec_lo, exec_lo, s3
	v_lshrrev_b32_e32 v4, 8, v5
	s_wait_alu 0xfffd
	v_cndmask_b32_e64 v8, 0, 1, vcc_lo
	v_lshrrev_b32_e32 v21, 16, v5
	v_cndmask_b32_e64 v22, 0, 1, s2
	v_and_b32_e32 v5, 0xff, v5
	v_lshlrev_b16 v4, 8, v4
	v_lshlrev_b16 v8, 8, v8
	v_and_b32_e32 v21, 0xff, v21
	v_lshlrev_b16 v3, 8, v3
	v_and_b32_e32 v7, 0xff, v7
	v_lshlrev_b16 v6, 8, v6
	v_or_b32_e32 v4, v5, v4
	v_or_b32_e32 v5, v21, v8
	s_delay_alu instid0(VALU_DEP_4) | instskip(NEXT) | instid1(VALU_DEP_4)
	v_or_b32_e32 v3, v7, v3
	v_or_b32_e32 v6, v22, v6
	s_delay_alu instid0(VALU_DEP_4) | instskip(NEXT) | instid1(VALU_DEP_4)
	v_and_b32_e32 v4, 0xffff, v4
	v_lshlrev_b32_e32 v5, 16, v5
	s_delay_alu instid0(VALU_DEP_4) | instskip(NEXT) | instid1(VALU_DEP_4)
	v_lshlrev_b32_e32 v3, 16, v3
	v_and_b32_e32 v6, 0xffff, v6
	s_delay_alu instid0(VALU_DEP_3) | instskip(NEXT) | instid1(VALU_DEP_2)
	v_or_b32_e32 v44, v4, v5
	v_or_b32_e32 v4, v6, v3
.LBB852_79:
	s_or_b32 exec_lo, exec_lo, s1
	v_add_nc_u32_e32 v3, 8, v41
	s_delay_alu instid0(VALU_DEP_2)
	v_lshrrev_b32_e32 v5, 16, v4
	v_lshrrev_b32_e32 v6, 24, v4
	;; [unrolled: 1-line block ×4, first 2 shown]
	v_cmp_le_u32_e32 vcc_lo, s33, v3
	v_lshrrev_b32_e32 v7, 8, v2
                                        ; implicit-def: $vgpr2
                                        ; implicit-def: $vgpr3
	s_and_saveexec_b32 s0, vcc_lo
	s_delay_alu instid0(SALU_CYCLE_1)
	s_xor_b32 s0, exec_lo, s0
	s_cbranch_execz .LBB852_81
; %bb.80:
	v_lshlrev_b16 v2, 8, v8
	v_and_b32_e32 v3, 0xff, v21
	v_lshlrev_b16 v7, 8, v7
	v_lshlrev_b16 v6, 8, v6
	v_perm_b32 v1, v1, v1, 0x3060504
                                        ; implicit-def: $vgpr8
                                        ; implicit-def: $vgpr21
	s_delay_alu instid0(VALU_DEP_4) | instskip(SKIP_2) | instid1(VALU_DEP_3)
	v_or_b32_e32 v2, v3, v2
	v_and_b32_e32 v3, 0xff, v5
	v_and_b32_e32 v5, 0xffff, v7
                                        ; implicit-def: $vgpr7
	v_lshlrev_b32_e32 v2, 16, v2
	s_delay_alu instid0(VALU_DEP_3) | instskip(NEXT) | instid1(VALU_DEP_2)
	v_or_b32_e32 v6, v3, v6
	v_or_b32_e32 v3, v5, v2
	s_delay_alu instid0(VALU_DEP_2)
	v_perm_b32 v2, v6, v4, 0x5040c00
                                        ; implicit-def: $vgpr4
                                        ; implicit-def: $vgpr5
                                        ; implicit-def: $vgpr6
.LBB852_81:
	s_and_not1_saveexec_b32 s1, s0
	s_cbranch_execz .LBB852_85
; %bb.82:
	v_add_nc_u32_e32 v2, s17, v11
	v_add_nc_u32_e32 v3, s19, v11
	s_mov_b32 s2, 0
	s_mov_b32 s3, exec_lo
	s_delay_alu instid0(VALU_DEP_2) | instskip(NEXT) | instid1(VALU_DEP_2)
	v_mul_lo_u32 v2, v2, s16
	v_mul_lo_u32 v3, v3, s18
	s_delay_alu instid0(VALU_DEP_1) | instskip(NEXT) | instid1(VALU_DEP_1)
	v_sub_nc_u32_e32 v2, v2, v3
	v_cmp_lt_u32_e32 vcc_lo, s20, v2
	v_cmpx_ge_u32_e64 s20, v2
	s_cbranch_execz .LBB852_84
; %bb.83:
	v_add_nc_u32_e32 v2, s22, v11
	v_add_nc_u32_e32 v3, s42, v11
	s_delay_alu instid0(VALU_DEP_2) | instskip(NEXT) | instid1(VALU_DEP_2)
	v_mul_lo_u32 v2, v2, s21
	v_mul_lo_u32 v3, v3, s23
	s_delay_alu instid0(VALU_DEP_1) | instskip(NEXT) | instid1(VALU_DEP_1)
	v_sub_nc_u32_e32 v2, v2, v3
	v_cmp_lt_u32_e64 s0, s43, v2
	s_and_b32 s2, s0, exec_lo
.LBB852_84:
	s_wait_alu 0xfffe
	s_or_b32 exec_lo, exec_lo, s3
	v_cndmask_b32_e64 v2, 0, 1, s2
	s_wait_alu 0xfffd
	v_cndmask_b32_e64 v3, 0, 1, vcc_lo
	v_lshlrev_b16 v8, 8, v8
	v_and_b32_e32 v21, 0xff, v21
	v_lshlrev_b16 v7, 8, v7
	v_lshlrev_b16 v2, 8, v2
	v_and_b32_e32 v4, 0xff, v4
	v_lshlrev_b16 v6, 8, v6
	v_and_b32_e32 v5, 0xff, v5
	v_or_b32_e32 v8, v21, v8
	v_or_b32_e32 v3, v3, v7
	;; [unrolled: 1-line block ×3, first 2 shown]
	s_delay_alu instid0(VALU_DEP_4) | instskip(NEXT) | instid1(VALU_DEP_4)
	v_or_b32_e32 v4, v5, v6
	v_lshlrev_b32_e32 v5, 16, v8
	s_delay_alu instid0(VALU_DEP_4) | instskip(NEXT) | instid1(VALU_DEP_4)
	v_and_b32_e32 v3, 0xffff, v3
	v_and_b32_e32 v2, 0xffff, v2
	s_delay_alu instid0(VALU_DEP_4) | instskip(NEXT) | instid1(VALU_DEP_3)
	v_lshlrev_b32_e32 v4, 16, v4
	v_or_b32_e32 v3, v3, v5
	s_delay_alu instid0(VALU_DEP_2)
	v_or_b32_e32 v2, v2, v4
.LBB852_85:
	s_or_b32 exec_lo, exec_lo, s1
	v_add_nc_u32_e32 v4, 9, v41
	s_delay_alu instid0(VALU_DEP_2)
	v_lshrrev_b32_e32 v6, 8, v2
	v_lshrrev_b32_e32 v21, 24, v3
	;; [unrolled: 1-line block ×3, first 2 shown]
	v_and_b32_e32 v7, 0xff, v2
	v_cmp_le_u32_e32 vcc_lo, s33, v4
                                        ; implicit-def: $vgpr4
                                        ; implicit-def: $vgpr5
	s_and_saveexec_b32 s0, vcc_lo
	s_delay_alu instid0(SALU_CYCLE_1)
	s_xor_b32 s0, exec_lo, s0
	s_cbranch_execz .LBB852_87
; %bb.86:
	v_lshlrev_b16 v4, 8, v6
	v_lshlrev_b16 v5, 8, v21
	v_and_b32_e32 v6, 0xff, v8
	v_perm_b32 v1, v1, v1, 0x3060504
                                        ; implicit-def: $vgpr21
                                        ; implicit-def: $vgpr8
	s_delay_alu instid0(VALU_DEP_4) | instskip(NEXT) | instid1(VALU_DEP_3)
	v_or_b32_e32 v4, v7, v4
                                        ; implicit-def: $vgpr7
	v_or_b32_e32 v5, v6, v5
                                        ; implicit-def: $vgpr6
	s_delay_alu instid0(VALU_DEP_2) | instskip(NEXT) | instid1(VALU_DEP_2)
	v_and_b32_e32 v4, 0xffff, v4
	v_perm_b32 v5, v5, v3, 0x5040c00
                                        ; implicit-def: $vgpr3
	s_delay_alu instid0(VALU_DEP_2)
	v_and_or_b32 v4, 0xff000000, v2, v4
                                        ; implicit-def: $vgpr2
.LBB852_87:
	s_and_not1_saveexec_b32 s1, s0
	s_cbranch_execz .LBB852_91
; %bb.88:
	v_add_nc_u32_e32 v4, s17, v12
	v_add_nc_u32_e32 v5, s19, v12
	s_mov_b32 s2, 0
	s_mov_b32 s3, exec_lo
	s_delay_alu instid0(VALU_DEP_2) | instskip(NEXT) | instid1(VALU_DEP_2)
	v_mul_lo_u32 v4, v4, s16
	v_mul_lo_u32 v5, v5, s18
	s_delay_alu instid0(VALU_DEP_1) | instskip(NEXT) | instid1(VALU_DEP_1)
	v_sub_nc_u32_e32 v4, v4, v5
	v_cmp_lt_u32_e32 vcc_lo, s20, v4
	v_cmpx_ge_u32_e64 s20, v4
	s_cbranch_execz .LBB852_90
; %bb.89:
	v_add_nc_u32_e32 v4, s22, v12
	v_add_nc_u32_e32 v5, s42, v12
	s_delay_alu instid0(VALU_DEP_2) | instskip(NEXT) | instid1(VALU_DEP_2)
	v_mul_lo_u32 v4, v4, s21
	v_mul_lo_u32 v5, v5, s23
	s_delay_alu instid0(VALU_DEP_1) | instskip(NEXT) | instid1(VALU_DEP_1)
	v_sub_nc_u32_e32 v4, v4, v5
	v_cmp_lt_u32_e64 s0, s43, v4
	s_and_b32 s2, s0, exec_lo
.LBB852_90:
	s_wait_alu 0xfffe
	s_or_b32 exec_lo, exec_lo, s3
	s_wait_alu 0xfffd
	v_cndmask_b32_e64 v4, 0, 1, vcc_lo
	v_lshrrev_b32_e32 v2, 24, v2
	v_cndmask_b32_e64 v5, 0, 1, s2
	v_lshlrev_b16 v21, 8, v21
	v_and_b32_e32 v8, 0xff, v8
	v_lshlrev_b16 v4, 8, v4
	v_lshlrev_b16 v6, 8, v6
	v_and_b32_e32 v3, 0xff, v3
	v_lshlrev_b16 v2, 8, v2
	v_or_b32_e32 v8, v8, v21
	s_delay_alu instid0(VALU_DEP_4) | instskip(NEXT) | instid1(VALU_DEP_4)
	v_or_b32_e32 v6, v7, v6
	v_or_b32_e32 v3, v3, v4
	s_delay_alu instid0(VALU_DEP_4) | instskip(NEXT) | instid1(VALU_DEP_4)
	v_or_b32_e32 v2, v5, v2
	v_lshlrev_b32_e32 v4, 16, v8
	s_delay_alu instid0(VALU_DEP_4) | instskip(NEXT) | instid1(VALU_DEP_4)
	v_and_b32_e32 v6, 0xffff, v6
	v_and_b32_e32 v3, 0xffff, v3
	s_delay_alu instid0(VALU_DEP_4) | instskip(NEXT) | instid1(VALU_DEP_2)
	v_lshlrev_b32_e32 v2, 16, v2
	v_or_b32_e32 v5, v3, v4
	s_delay_alu instid0(VALU_DEP_2)
	v_or_b32_e32 v4, v6, v2
.LBB852_91:
	s_or_b32 exec_lo, exec_lo, s1
	v_add_nc_u32_e32 v2, 10, v41
	s_delay_alu instid0(VALU_DEP_3) | instskip(SKIP_1) | instid1(VALU_DEP_3)
	v_and_b32_e32 v3, 0xff, v5
	v_lshrrev_b32_e32 v6, 8, v5
                                        ; implicit-def: $vgpr46
	v_cmp_le_u32_e32 vcc_lo, s33, v2
                                        ; implicit-def: $vgpr2
	s_and_saveexec_b32 s0, vcc_lo
	s_delay_alu instid0(SALU_CYCLE_1)
	s_xor_b32 s0, exec_lo, s0
	s_cbranch_execz .LBB852_93
; %bb.92:
	v_lshlrev_b16 v2, 8, v6
	v_perm_b32 v1, v1, v1, 0x3060504
                                        ; implicit-def: $vgpr6
	s_delay_alu instid0(VALU_DEP_2) | instskip(SKIP_1) | instid1(VALU_DEP_2)
	v_or_b32_e32 v2, v3, v2
	v_and_b32_e32 v3, 0xff0000, v4
	v_and_b32_e32 v2, 0xffff, v2
	s_delay_alu instid0(VALU_DEP_2) | instskip(NEXT) | instid1(VALU_DEP_2)
	v_perm_b32 v46, v4, v3, 0x3020504
                                        ; implicit-def: $vgpr3
                                        ; implicit-def: $vgpr4
	v_and_or_b32 v2, 0xff000000, v5, v2
                                        ; implicit-def: $vgpr5
.LBB852_93:
	s_and_not1_saveexec_b32 s1, s0
	s_cbranch_execz .LBB852_97
; %bb.94:
	v_add_nc_u32_e32 v2, s17, v9
	v_add_nc_u32_e32 v7, s19, v9
	s_mov_b32 s2, 0
	s_mov_b32 s3, exec_lo
	s_delay_alu instid0(VALU_DEP_2) | instskip(NEXT) | instid1(VALU_DEP_2)
	v_mul_lo_u32 v2, v2, s16
	v_mul_lo_u32 v7, v7, s18
	s_delay_alu instid0(VALU_DEP_1) | instskip(NEXT) | instid1(VALU_DEP_1)
	v_sub_nc_u32_e32 v2, v2, v7
	v_cmp_lt_u32_e32 vcc_lo, s20, v2
	v_cmpx_ge_u32_e64 s20, v2
	s_cbranch_execz .LBB852_96
; %bb.95:
	v_add_nc_u32_e32 v2, s22, v9
	v_add_nc_u32_e32 v7, s42, v9
	s_delay_alu instid0(VALU_DEP_2) | instskip(NEXT) | instid1(VALU_DEP_2)
	v_mul_lo_u32 v2, v2, s21
	v_mul_lo_u32 v7, v7, s23
	s_delay_alu instid0(VALU_DEP_1) | instskip(NEXT) | instid1(VALU_DEP_1)
	v_sub_nc_u32_e32 v2, v2, v7
	v_cmp_lt_u32_e64 s0, s43, v2
	s_and_b32 s2, s0, exec_lo
.LBB852_96:
	s_wait_alu 0xfffe
	s_or_b32 exec_lo, exec_lo, s3
	v_lshrrev_b32_e32 v5, 24, v5
	v_cndmask_b32_e64 v7, 0, 1, s2
	v_lshrrev_b32_e32 v8, 8, v4
	v_lshrrev_b32_e32 v21, 16, v4
	s_wait_alu 0xfffd
	v_cndmask_b32_e64 v2, 0, 1, vcc_lo
	v_lshlrev_b16 v6, 8, v6
	v_lshlrev_b16 v5, 8, v5
	v_and_b32_e32 v4, 0xff, v4
	v_lshlrev_b16 v8, 8, v8
	v_lshlrev_b16 v7, 8, v7
	v_and_b32_e32 v21, 0xff, v21
	v_or_b32_e32 v3, v3, v6
	v_or_b32_e32 v2, v2, v5
	;; [unrolled: 1-line block ×3, first 2 shown]
	s_delay_alu instid0(VALU_DEP_4) | instskip(NEXT) | instid1(VALU_DEP_4)
	v_or_b32_e32 v5, v21, v7
	v_and_b32_e32 v3, 0xffff, v3
	s_delay_alu instid0(VALU_DEP_4) | instskip(NEXT) | instid1(VALU_DEP_4)
	v_lshlrev_b32_e32 v2, 16, v2
	v_and_b32_e32 v4, 0xffff, v4
	s_delay_alu instid0(VALU_DEP_4) | instskip(NEXT) | instid1(VALU_DEP_3)
	v_lshlrev_b32_e32 v5, 16, v5
	v_or_b32_e32 v2, v3, v2
	s_delay_alu instid0(VALU_DEP_2)
	v_or_b32_e32 v46, v4, v5
.LBB852_97:
	s_or_b32 exec_lo, exec_lo, s1
	v_add_nc_u32_e32 v3, 11, v41
	v_mov_b32_e32 v45, 0
	s_mov_b32 s0, exec_lo
                                        ; implicit-def: $vgpr47
	s_delay_alu instid0(VALU_DEP_2)
	v_cmpx_le_u32_e64 s33, v3
	s_xor_b32 s0, exec_lo, s0
; %bb.98:
	v_and_b32_e32 v3, 0xff0000, v2
	v_perm_b32 v1, v1, v1, 0x3060504
	s_delay_alu instid0(VALU_DEP_2)
	v_perm_b32 v47, v2, v3, 0x3020504
                                        ; implicit-def: $vgpr2
; %bb.99:
	s_and_not1_saveexec_b32 s1, s0
	s_cbranch_execz .LBB852_103
; %bb.100:
	v_add_nc_u32_e32 v3, s17, v10
	v_add_nc_u32_e32 v4, s19, v10
	s_mov_b32 s2, 0
	s_mov_b32 s3, exec_lo
	s_delay_alu instid0(VALU_DEP_2) | instskip(NEXT) | instid1(VALU_DEP_2)
	v_mul_lo_u32 v3, v3, s16
	v_mul_lo_u32 v4, v4, s18
	s_delay_alu instid0(VALU_DEP_1) | instskip(NEXT) | instid1(VALU_DEP_1)
	v_sub_nc_u32_e32 v3, v3, v4
	v_cmp_lt_u32_e32 vcc_lo, s20, v3
	v_cmpx_ge_u32_e64 s20, v3
	s_cbranch_execz .LBB852_102
; %bb.101:
	v_add_nc_u32_e32 v3, s22, v10
	v_add_nc_u32_e32 v4, s42, v10
	s_delay_alu instid0(VALU_DEP_2) | instskip(NEXT) | instid1(VALU_DEP_2)
	v_mul_lo_u32 v3, v3, s21
	v_mul_lo_u32 v4, v4, s23
	s_delay_alu instid0(VALU_DEP_1) | instskip(NEXT) | instid1(VALU_DEP_1)
	v_sub_nc_u32_e32 v3, v3, v4
	v_cmp_lt_u32_e64 s0, s43, v3
	s_and_b32 s2, s0, exec_lo
.LBB852_102:
	s_wait_alu 0xfffe
	s_or_b32 exec_lo, exec_lo, s3
	v_lshrrev_b32_e32 v3, 8, v2
	s_wait_alu 0xfffd
	v_cndmask_b32_e64 v4, 0, 1, vcc_lo
	v_lshrrev_b32_e32 v5, 16, v2
	v_and_b32_e32 v2, 0xff, v2
	v_cndmask_b32_e64 v45, 0, 1, s2
	v_lshlrev_b16 v3, 8, v3
	v_lshlrev_b16 v4, 8, v4
	v_and_b32_e32 v5, 0xff, v5
	s_delay_alu instid0(VALU_DEP_3) | instskip(NEXT) | instid1(VALU_DEP_2)
	v_or_b32_e32 v2, v2, v3
	v_or_b32_e32 v3, v5, v4
	s_delay_alu instid0(VALU_DEP_2) | instskip(NEXT) | instid1(VALU_DEP_2)
	v_and_b32_e32 v2, 0xffff, v2
	v_lshlrev_b32_e32 v3, 16, v3
	s_delay_alu instid0(VALU_DEP_1)
	v_or_b32_e32 v47, v2, v3
.LBB852_103:
	s_or_b32 exec_lo, exec_lo, s1
	v_add_nc_u32_e32 v4, 12, v41
	v_lshrrev_b32_e32 v2, 8, v1
	v_lshrrev_b32_e32 v3, 16, v1
	;; [unrolled: 1-line block ×3, first 2 shown]
	s_mov_b32 s0, exec_lo
                                        ; implicit-def: $vgpr49
	v_cmpx_le_u32_e64 s33, v4
	s_xor_b32 s0, exec_lo, s0
	s_cbranch_execz .LBB852_105
; %bb.104:
	v_lshlrev_b16 v1, 8, v1
	v_and_b32_e32 v3, 0xff, v3
	v_lshlrev_b16 v2, 8, v2
	s_delay_alu instid0(VALU_DEP_2) | instskip(NEXT) | instid1(VALU_DEP_2)
	v_or_b32_e32 v1, v3, v1
	v_and_b32_e32 v2, 0xffff, v2
                                        ; implicit-def: $vgpr3
	s_delay_alu instid0(VALU_DEP_2) | instskip(NEXT) | instid1(VALU_DEP_1)
	v_lshlrev_b32_e32 v1, 16, v1
	v_or_b32_e32 v49, v2, v1
                                        ; implicit-def: $vgpr1
                                        ; implicit-def: $vgpr2
.LBB852_105:
	s_or_saveexec_b32 s1, s0
	v_mov_b32_e32 v48, 0
	s_xor_b32 exec_lo, exec_lo, s1
	s_cbranch_execz .LBB852_109
; %bb.106:
	v_add_nc_u32_e32 v4, s17, v40
	v_add_nc_u32_e32 v5, s19, v40
	s_mov_b32 s2, 0
	s_mov_b32 s3, exec_lo
	s_delay_alu instid0(VALU_DEP_2) | instskip(NEXT) | instid1(VALU_DEP_2)
	v_mul_lo_u32 v4, v4, s16
	v_mul_lo_u32 v5, v5, s18
	s_delay_alu instid0(VALU_DEP_1) | instskip(NEXT) | instid1(VALU_DEP_1)
	v_sub_nc_u32_e32 v4, v4, v5
	v_cmp_lt_u32_e32 vcc_lo, s20, v4
	v_cmpx_ge_u32_e64 s20, v4
	s_cbranch_execz .LBB852_108
; %bb.107:
	v_add_nc_u32_e32 v4, s22, v40
	v_add_nc_u32_e32 v5, s42, v40
	s_delay_alu instid0(VALU_DEP_2) | instskip(NEXT) | instid1(VALU_DEP_2)
	v_mul_lo_u32 v4, v4, s21
	v_mul_lo_u32 v5, v5, s23
	s_delay_alu instid0(VALU_DEP_1) | instskip(NEXT) | instid1(VALU_DEP_1)
	v_sub_nc_u32_e32 v4, v4, v5
	v_cmp_lt_u32_e64 s0, s43, v4
	s_and_b32 s2, s0, exec_lo
.LBB852_108:
	s_wait_alu 0xfffe
	s_or_b32 exec_lo, exec_lo, s3
	s_wait_alu 0xfffd
	v_cndmask_b32_e64 v4, 0, 1, vcc_lo
	v_lshlrev_b16 v1, 8, v1
	v_and_b32_e32 v3, 0xff, v3
	v_lshlrev_b16 v2, 8, v2
	v_cndmask_b32_e64 v48, 0, 1, s2
	s_delay_alu instid0(VALU_DEP_3) | instskip(NEXT) | instid1(VALU_DEP_3)
	v_or_b32_e32 v1, v3, v1
	v_or_b32_e32 v2, v4, v2
	s_delay_alu instid0(VALU_DEP_2) | instskip(NEXT) | instid1(VALU_DEP_2)
	v_lshlrev_b32_e32 v1, 16, v1
	v_and_b32_e32 v2, 0xffff, v2
	s_delay_alu instid0(VALU_DEP_1)
	v_or_b32_e32 v49, v2, v1
.LBB852_109:
	s_or_b32 exec_lo, exec_lo, s1
.LBB852_110:
	v_and_b32_e32 v72, 0xff, v42
	s_delay_alu instid0(VALU_DEP_2)
	v_bfe_u32 v73, v49, 8, 8
	v_bfe_u32 v70, v42, 8, 8
	;; [unrolled: 1-line block ×4, first 2 shown]
	v_lshrrev_b32_e32 v55, 24, v49
	v_lshrrev_b32_e32 v54, 24, v42
	v_and_b32_e32 v68, 0xff, v43
	v_and_b32_e32 v66, 0xff, v44
	v_bfe_u32 v67, v43, 8, 8
	v_add3_u32 v1, v70, v72, v69
	v_add3_u32 v2, v71, v73, v55
	v_bfe_u32 v64, v44, 8, 8
	v_bfe_u32 v65, v43, 16, 8
	;; [unrolled: 1-line block ×3, first 2 shown]
	v_lshrrev_b32_e32 v53, 24, v43
	v_add3_u32 v1, v1, v54, v66
	v_add3_u32 v2, v2, v68, v67
	v_lshrrev_b32_e32 v52, 24, v44
	v_and_b32_e32 v63, 0xff, v46
	v_and_b32_e32 v61, 0xff, v47
	v_bfe_u32 v62, v46, 8, 8
	v_add3_u32 v1, v1, v64, v59
	v_add3_u32 v2, v2, v65, v53
	v_bfe_u32 v58, v47, 8, 8
	v_bfe_u32 v60, v46, 16, 8
	;; [unrolled: 1-line block ×3, first 2 shown]
	v_lshrrev_b32_e32 v51, 24, v46
	v_add3_u32 v1, v1, v52, v61
	v_add3_u32 v2, v2, v63, v62
	v_mbcnt_lo_u32_b32 v74, -1, 0
	v_lshrrev_b32_e32 v50, 24, v47
	v_and_b32_e32 v57, 0xff, v45
	v_and_b32_e32 v3, 0xff, v49
	;; [unrolled: 1-line block ×3, first 2 shown]
	v_add3_u32 v1, v1, v58, v56
	v_add3_u32 v2, v2, v60, v51
	v_and_b32_e32 v76, 15, v74
	v_and_b32_e32 v78, 16, v74
	v_lshrrev_b32_e32 v75, 5, v0
	v_add3_u32 v79, v1, v50, v3
	v_add3_u32 v80, v2, v57, v4
	v_cmp_eq_u32_e64 s1, 0, v76
	v_cmp_lt_u32_e64 s0, 1, v76
	v_cmp_lt_u32_e64 s2, 3, v76
	v_or_b32_e32 v77, 31, v0
	s_cmp_lg_u32 ttmp9, 0
	s_mov_b32 s3, -1
	v_cmp_lt_u32_e32 vcc_lo, 7, v76
	s_cbranch_scc0 .LBB852_131
; %bb.111:
	v_mov_b32_dpp v2, v79 row_shr:1 row_mask:0xf bank_mask:0xf
	v_mov_b32_dpp v1, v80 row_shr:1 row_mask:0xf bank_mask:0xf
	s_mov_b32 s3, exec_lo
	s_delay_alu instid0(VALU_DEP_2) | instskip(NEXT) | instid1(VALU_DEP_2)
	v_add_nc_u32_e32 v2, v2, v79
	v_add_nc_u32_e32 v1, v1, v80
	s_delay_alu instid0(VALU_DEP_2) | instskip(NEXT) | instid1(VALU_DEP_2)
	v_cndmask_b32_e64 v2, v2, v79, s1
	v_cndmask_b32_e64 v1, v1, v80, s1
	s_delay_alu instid0(VALU_DEP_2) | instskip(NEXT) | instid1(VALU_DEP_2)
	v_mov_b32_dpp v4, v2 row_shr:2 row_mask:0xf bank_mask:0xf
	v_mov_b32_dpp v3, v1 row_shr:2 row_mask:0xf bank_mask:0xf
	s_delay_alu instid0(VALU_DEP_2) | instskip(NEXT) | instid1(VALU_DEP_1)
	v_add_nc_u32_e32 v4, v2, v4
	v_cndmask_b32_e64 v2, v2, v4, s0
	s_delay_alu instid0(VALU_DEP_1) | instskip(NEXT) | instid1(VALU_DEP_1)
	v_mov_b32_dpp v4, v2 row_shr:4 row_mask:0xf bank_mask:0xf
	v_add_nc_u32_e32 v4, v2, v4
	s_wait_alu 0xf1ff
	s_delay_alu instid0(VALU_DEP_1) | instskip(NEXT) | instid1(VALU_DEP_1)
	v_cndmask_b32_e64 v2, v2, v4, s2
	v_mov_b32_dpp v4, v2 row_shr:8 row_mask:0xf bank_mask:0xf
	s_delay_alu instid0(VALU_DEP_1) | instskip(SKIP_1) | instid1(VALU_DEP_1)
	v_add_nc_u32_e32 v4, v2, v4
	s_wait_alu 0xfffd
	v_dual_cndmask_b32 v2, v2, v4 :: v_dual_add_nc_u32 v3, v1, v3
	s_delay_alu instid0(VALU_DEP_1) | instskip(SKIP_2) | instid1(VALU_DEP_1)
	v_cndmask_b32_e64 v1, v1, v3, s0
	ds_swizzle_b32 v4, v2 offset:swizzle(BROADCAST,32,15)
	v_mov_b32_dpp v3, v1 row_shr:4 row_mask:0xf bank_mask:0xf
	v_add_nc_u32_e32 v3, v1, v3
	s_delay_alu instid0(VALU_DEP_1) | instskip(NEXT) | instid1(VALU_DEP_1)
	v_cndmask_b32_e64 v1, v1, v3, s2
	v_mov_b32_dpp v3, v1 row_shr:8 row_mask:0xf bank_mask:0xf
	s_wait_dscnt 0x0
	v_add_nc_u32_e32 v4, v2, v4
	s_delay_alu instid0(VALU_DEP_2) | instskip(NEXT) | instid1(VALU_DEP_1)
	v_add_nc_u32_e32 v3, v1, v3
	v_cndmask_b32_e32 v1, v1, v3, vcc_lo
	v_cmp_eq_u32_e32 vcc_lo, 0, v78
	ds_swizzle_b32 v3, v1 offset:swizzle(BROADCAST,32,15)
	s_wait_dscnt 0x0
	v_add_nc_u32_e32 v3, v1, v3
	v_cmpx_eq_u32_e64 v0, v77
; %bb.112:
	s_wait_alu 0xfffd
	s_delay_alu instid0(VALU_DEP_2)
	v_dual_cndmask_b32 v6, v3, v1 :: v_dual_lshlrev_b32 v7, 3, v75
	v_cndmask_b32_e32 v5, v4, v2, vcc_lo
	ds_store_b64 v7, v[5:6]
; %bb.113:
	s_wait_alu 0xfffe
	s_or_b32 exec_lo, exec_lo, s3
	s_delay_alu instid0(SALU_CYCLE_1)
	s_mov_b32 s3, exec_lo
	s_wait_loadcnt_dscnt 0x0
	s_barrier_signal -1
	s_barrier_wait -1
	global_inv scope:SCOPE_SE
	v_cmpx_gt_u32_e32 8, v0
	s_cbranch_execz .LBB852_115
; %bb.114:
	v_lshlrev_b32_e32 v7, 3, v0
	v_and_b32_e32 v22, 7, v74
	ds_load_b64 v[5:6], v7
	v_cmp_eq_u32_e64 s2, 0, v22
	s_wait_dscnt 0x0
	v_mov_b32_dpp v8, v5 row_shr:1 row_mask:0xf bank_mask:0xf
	v_mov_b32_dpp v21, v6 row_shr:1 row_mask:0xf bank_mask:0xf
	s_delay_alu instid0(VALU_DEP_2) | instskip(NEXT) | instid1(VALU_DEP_2)
	v_add_nc_u32_e32 v8, v8, v5
	v_add_nc_u32_e32 v21, v21, v6
	s_wait_alu 0xf1ff
	s_delay_alu instid0(VALU_DEP_2) | instskip(NEXT) | instid1(VALU_DEP_2)
	v_cndmask_b32_e64 v5, v8, v5, s2
	v_cndmask_b32_e64 v6, v21, v6, s2
	v_cmp_lt_u32_e64 s2, 1, v22
	s_delay_alu instid0(VALU_DEP_3) | instskip(NEXT) | instid1(VALU_DEP_3)
	v_mov_b32_dpp v8, v5 row_shr:2 row_mask:0xf bank_mask:0xf
	v_mov_b32_dpp v21, v6 row_shr:2 row_mask:0xf bank_mask:0xf
	s_delay_alu instid0(VALU_DEP_2) | instskip(NEXT) | instid1(VALU_DEP_2)
	v_add_nc_u32_e32 v8, v5, v8
	v_add_nc_u32_e32 v21, v6, v21
	s_wait_alu 0xf1ff
	s_delay_alu instid0(VALU_DEP_2) | instskip(NEXT) | instid1(VALU_DEP_2)
	v_cndmask_b32_e64 v5, v5, v8, s2
	v_cndmask_b32_e64 v6, v6, v21, s2
	v_cmp_lt_u32_e64 s2, 3, v22
	s_delay_alu instid0(VALU_DEP_3) | instskip(NEXT) | instid1(VALU_DEP_3)
	v_mov_b32_dpp v8, v5 row_shr:4 row_mask:0xf bank_mask:0xf
	v_mov_b32_dpp v21, v6 row_shr:4 row_mask:0xf bank_mask:0xf
	s_wait_alu 0xf1ff
	s_delay_alu instid0(VALU_DEP_2) | instskip(NEXT) | instid1(VALU_DEP_2)
	v_cndmask_b32_e64 v8, 0, v8, s2
	v_cndmask_b32_e64 v21, 0, v21, s2
	s_delay_alu instid0(VALU_DEP_2) | instskip(NEXT) | instid1(VALU_DEP_2)
	v_add_nc_u32_e32 v5, v8, v5
	v_add_nc_u32_e32 v6, v21, v6
	ds_store_b64 v7, v[5:6]
.LBB852_115:
	s_wait_alu 0xfffe
	s_or_b32 exec_lo, exec_lo, s3
	v_dual_cndmask_b32 v1, v3, v1 :: v_dual_cndmask_b32 v2, v4, v2
	s_mov_b32 s3, exec_lo
	v_cmp_gt_u32_e32 vcc_lo, 32, v0
	s_wait_loadcnt_dscnt 0x0
	s_barrier_signal -1
	s_barrier_wait -1
	global_inv scope:SCOPE_SE
                                        ; implicit-def: $vgpr21
	v_cmpx_lt_u32_e32 31, v0
	s_cbranch_execz .LBB852_117
; %bb.116:
	v_lshl_add_u32 v3, v75, 3, -8
	ds_load_b64 v[21:22], v3
	s_wait_dscnt 0x0
	v_add_nc_u32_e32 v1, v22, v1
	v_add_nc_u32_e32 v2, v21, v2
.LBB852_117:
	s_wait_alu 0xfffe
	s_or_b32 exec_lo, exec_lo, s3
	v_sub_co_u32 v3, s2, v74, 1
	s_delay_alu instid0(VALU_DEP_1) | instskip(SKIP_1) | instid1(VALU_DEP_1)
	v_cmp_gt_i32_e64 s3, 0, v3
	s_wait_alu 0xf1ff
	v_cndmask_b32_e64 v3, v3, v74, s3
	s_delay_alu instid0(VALU_DEP_1)
	v_lshlrev_b32_e32 v3, 2, v3
	ds_bpermute_b32 v81, v3, v2
	ds_bpermute_b32 v82, v3, v1
	s_and_saveexec_b32 s3, vcc_lo
	s_cbranch_execz .LBB852_136
; %bb.118:
	v_mov_b32_e32 v4, 0
	ds_load_b64 v[1:2], v4 offset:56
	s_and_saveexec_b32 s6, s2
	s_cbranch_execz .LBB852_120
; %bb.119:
	s_add_co_i32 s8, ttmp9, 32
	s_mov_b32 s9, 0
	s_wait_alu 0xfffe
	s_lshl_b64 s[8:9], s[8:9], 4
	s_wait_kmcnt 0x0
	s_wait_alu 0xfffe
	s_add_nc_u64 s[8:9], s[4:5], s[8:9]
	v_mov_b32_e32 v3, 1
	s_wait_alu 0xfffe
	v_dual_mov_b32 v5, s8 :: v_dual_mov_b32 v6, s9
	s_wait_dscnt 0x0
	;;#ASMSTART
	global_store_b128 v[5:6], v[1:4] off scope:SCOPE_DEV	
s_wait_storecnt 0x0
	;;#ASMEND
.LBB852_120:
	s_wait_alu 0xfffe
	s_or_b32 exec_lo, exec_lo, s6
	v_xad_u32 v23, v74, -1, ttmp9
	s_mov_b32 s7, 0
	s_mov_b32 s6, exec_lo
	s_delay_alu instid0(VALU_DEP_1) | instskip(NEXT) | instid1(VALU_DEP_1)
	v_add_nc_u32_e32 v3, 32, v23
	v_lshlrev_b64_e32 v[3:4], 4, v[3:4]
	s_wait_kmcnt 0x0
	s_delay_alu instid0(VALU_DEP_1) | instskip(SKIP_1) | instid1(VALU_DEP_2)
	v_add_co_u32 v3, vcc_lo, s4, v3
	s_wait_alu 0xfffd
	v_add_co_ci_u32_e64 v4, null, s5, v4, vcc_lo
	;;#ASMSTART
	global_load_b128 v[5:8], v[3:4] off scope:SCOPE_DEV	
s_wait_loadcnt 0x0
	;;#ASMEND
	v_and_b32_e32 v8, 0xff, v7
	s_delay_alu instid0(VALU_DEP_1)
	v_cmpx_eq_u16_e32 0, v8
	s_cbranch_execz .LBB852_123
.LBB852_121:                            ; =>This Inner Loop Header: Depth=1
	;;#ASMSTART
	global_load_b128 v[5:8], v[3:4] off scope:SCOPE_DEV	
s_wait_loadcnt 0x0
	;;#ASMEND
	v_and_b32_e32 v8, 0xff, v7
	s_delay_alu instid0(VALU_DEP_1)
	v_cmp_ne_u16_e32 vcc_lo, 0, v8
	s_wait_alu 0xfffe
	s_or_b32 s7, vcc_lo, s7
	s_wait_alu 0xfffe
	s_and_not1_b32 exec_lo, exec_lo, s7
	s_cbranch_execnz .LBB852_121
; %bb.122:
	s_or_b32 exec_lo, exec_lo, s7
.LBB852_123:
	s_wait_alu 0xfffe
	s_or_b32 exec_lo, exec_lo, s6
	v_cmp_ne_u32_e32 vcc_lo, 31, v74
	v_lshlrev_b32_e64 v84, v74, -1
	v_add_nc_u32_e32 v86, 2, v74
	v_add_nc_u32_e32 v88, 4, v74
	;; [unrolled: 1-line block ×3, first 2 shown]
	s_wait_alu 0xfffd
	v_add_co_ci_u32_e64 v3, null, 0, v74, vcc_lo
	v_lshl_or_b32 v91, v74, 2, 64
	v_add_nc_u32_e32 v92, 16, v74
	s_delay_alu instid0(VALU_DEP_3)
	v_lshlrev_b32_e32 v83, 2, v3
	v_and_b32_e32 v3, 0xff, v7
	ds_bpermute_b32 v4, v83, v6
	v_cmp_eq_u16_e32 vcc_lo, 2, v3
	s_wait_alu 0xfffd
	v_and_b32_e32 v8, vcc_lo, v84
	v_cmp_gt_u32_e32 vcc_lo, 30, v74
	s_delay_alu instid0(VALU_DEP_2) | instskip(SKIP_2) | instid1(VALU_DEP_2)
	v_or_b32_e32 v8, 0x80000000, v8
	s_wait_alu 0xfffd
	v_cndmask_b32_e64 v24, 0, 2, vcc_lo
	v_ctz_i32_b32_e32 v8, v8
	s_delay_alu instid0(VALU_DEP_2) | instskip(SKIP_2) | instid1(VALU_DEP_3)
	v_add_lshl_u32 v85, v24, v74, 2
	s_wait_dscnt 0x0
	v_add_nc_u32_e32 v4, v4, v6
	v_cmp_lt_u32_e32 vcc_lo, v74, v8
	s_wait_alu 0xfffd
	s_delay_alu instid0(VALU_DEP_2) | instskip(SKIP_3) | instid1(VALU_DEP_1)
	v_cndmask_b32_e32 v4, v6, v4, vcc_lo
	ds_bpermute_b32 v3, v83, v5
	s_wait_dscnt 0x0
	v_add_nc_u32_e32 v3, v3, v5
	v_cndmask_b32_e32 v3, v5, v3, vcc_lo
	ds_bpermute_b32 v5, v85, v4
	v_cmp_gt_u32_e32 vcc_lo, 28, v74
	ds_bpermute_b32 v6, v85, v3
	s_wait_alu 0xfffd
	v_cndmask_b32_e64 v24, 0, 4, vcc_lo
	v_cmp_gt_u32_e32 vcc_lo, v86, v8
	s_delay_alu instid0(VALU_DEP_2)
	v_add_lshl_u32 v87, v24, v74, 2
	s_wait_dscnt 0x1
	v_add_nc_u32_e32 v5, v4, v5
	s_wait_dscnt 0x0
	v_add_nc_u32_e32 v6, v3, v6
	s_wait_alu 0xfffd
	s_delay_alu instid0(VALU_DEP_1)
	v_dual_cndmask_b32 v4, v5, v4 :: v_dual_cndmask_b32 v3, v6, v3
	ds_bpermute_b32 v5, v87, v4
	v_cmp_gt_u32_e32 vcc_lo, 24, v74
	ds_bpermute_b32 v6, v87, v3
	s_wait_alu 0xfffd
	v_cndmask_b32_e64 v24, 0, 8, vcc_lo
	v_cmp_gt_u32_e32 vcc_lo, v88, v8
	s_delay_alu instid0(VALU_DEP_2)
	v_add_lshl_u32 v89, v24, v74, 2
	s_wait_dscnt 0x1
	v_dual_mov_b32 v24, 0 :: v_dual_add_nc_u32 v5, v4, v5
	s_wait_dscnt 0x0
	v_add_nc_u32_e32 v6, v3, v6
	s_wait_alu 0xfffd
	s_delay_alu instid0(VALU_DEP_1)
	v_dual_cndmask_b32 v4, v5, v4 :: v_dual_cndmask_b32 v3, v6, v3
	ds_bpermute_b32 v5, v89, v4
	v_cmp_gt_u32_e32 vcc_lo, v90, v8
	ds_bpermute_b32 v6, v89, v3
	s_wait_dscnt 0x1
	v_add_nc_u32_e32 v5, v4, v5
	s_wait_dscnt 0x0
	v_add_nc_u32_e32 v6, v3, v6
	s_wait_alu 0xfffd
	s_delay_alu instid0(VALU_DEP_1)
	v_dual_cndmask_b32 v4, v5, v4 :: v_dual_cndmask_b32 v3, v6, v3
	ds_bpermute_b32 v6, v91, v4
	v_cmp_le_u32_e32 vcc_lo, v92, v8
	ds_bpermute_b32 v5, v91, v3
	s_wait_dscnt 0x0
	s_wait_alu 0xfffd
	v_dual_cndmask_b32 v6, 0, v6 :: v_dual_cndmask_b32 v5, 0, v5
	s_delay_alu instid0(VALU_DEP_1) | instskip(NEXT) | instid1(VALU_DEP_2)
	v_add_nc_u32_e32 v6, v6, v4
	v_add_nc_u32_e32 v5, v5, v3
	s_branch .LBB852_127
.LBB852_124:                            ;   in Loop: Header=BB852_127 Depth=1
	s_or_b32 exec_lo, exec_lo, s7
.LBB852_125:                            ;   in Loop: Header=BB852_127 Depth=1
	s_wait_alu 0xfffe
	s_or_b32 exec_lo, exec_lo, s6
	ds_bpermute_b32 v8, v83, v5
	ds_bpermute_b32 v25, v83, v6
	v_subrev_nc_u32_e32 v23, 32, v23
	s_mov_b32 s6, 0
	s_wait_dscnt 0x1
	v_add_nc_u32_e32 v8, v8, v5
	v_and_b32_e32 v26, 0xff, v7
	s_wait_dscnt 0x0
	v_add_nc_u32_e32 v25, v25, v6
	s_delay_alu instid0(VALU_DEP_2) | instskip(SKIP_2) | instid1(VALU_DEP_1)
	v_cmp_eq_u16_e32 vcc_lo, 2, v26
	s_wait_alu 0xfffd
	v_and_or_b32 v26, vcc_lo, v84, 0x80000000
	v_ctz_i32_b32_e32 v26, v26
	s_delay_alu instid0(VALU_DEP_1)
	v_cmp_lt_u32_e32 vcc_lo, v74, v26
	s_wait_alu 0xfffd
	v_dual_cndmask_b32 v6, v6, v25 :: v_dual_cndmask_b32 v5, v5, v8
	v_cmp_gt_u32_e32 vcc_lo, v86, v26
	ds_bpermute_b32 v25, v85, v6
	ds_bpermute_b32 v8, v85, v5
	s_wait_dscnt 0x1
	v_add_nc_u32_e32 v25, v6, v25
	s_wait_dscnt 0x0
	v_add_nc_u32_e32 v8, v5, v8
	s_wait_alu 0xfffd
	s_delay_alu instid0(VALU_DEP_1)
	v_dual_cndmask_b32 v6, v25, v6 :: v_dual_cndmask_b32 v5, v8, v5
	v_cmp_gt_u32_e32 vcc_lo, v88, v26
	ds_bpermute_b32 v25, v87, v6
	ds_bpermute_b32 v8, v87, v5
	s_wait_dscnt 0x1
	v_add_nc_u32_e32 v25, v6, v25
	s_wait_dscnt 0x0
	v_add_nc_u32_e32 v8, v5, v8
	s_wait_alu 0xfffd
	s_delay_alu instid0(VALU_DEP_1)
	;; [unrolled: 10-line block ×3, first 2 shown]
	v_dual_cndmask_b32 v6, v25, v6 :: v_dual_cndmask_b32 v5, v8, v5
	v_cmp_le_u32_e32 vcc_lo, v92, v26
	ds_bpermute_b32 v25, v91, v6
	ds_bpermute_b32 v8, v91, v5
	s_wait_dscnt 0x0
	s_wait_alu 0xfffd
	v_dual_cndmask_b32 v25, 0, v25 :: v_dual_cndmask_b32 v8, 0, v8
	s_delay_alu instid0(VALU_DEP_1) | instskip(NEXT) | instid1(VALU_DEP_2)
	v_add3_u32 v6, v6, v4, v25
	v_add3_u32 v5, v5, v3, v8
.LBB852_126:                            ;   in Loop: Header=BB852_127 Depth=1
	s_wait_alu 0xfffe
	s_and_b32 vcc_lo, exec_lo, s6
	s_wait_alu 0xfffe
	s_cbranch_vccnz .LBB852_132
.LBB852_127:                            ; =>This Loop Header: Depth=1
                                        ;     Child Loop BB852_130 Depth 2
	v_and_b32_e32 v3, 0xff, v7
	s_mov_b32 s6, -1
                                        ; implicit-def: $vgpr7
	s_delay_alu instid0(VALU_DEP_1)
	v_cmp_ne_u16_e32 vcc_lo, 2, v3
	v_dual_mov_b32 v3, v5 :: v_dual_mov_b32 v4, v6
                                        ; implicit-def: $vgpr5_vgpr6
	s_cmp_lg_u32 vcc_lo, exec_lo
	s_cbranch_scc1 .LBB852_126
; %bb.128:                              ;   in Loop: Header=BB852_127 Depth=1
	v_lshlrev_b64_e32 v[5:6], 4, v[23:24]
	s_mov_b32 s6, exec_lo
	s_delay_alu instid0(VALU_DEP_1) | instskip(SKIP_1) | instid1(VALU_DEP_2)
	v_add_co_u32 v25, vcc_lo, s4, v5
	s_wait_alu 0xfffd
	v_add_co_ci_u32_e64 v26, null, s5, v6, vcc_lo
	;;#ASMSTART
	global_load_b128 v[5:8], v[25:26] off scope:SCOPE_DEV	
s_wait_loadcnt 0x0
	;;#ASMEND
	v_and_b32_e32 v8, 0xff, v7
	s_delay_alu instid0(VALU_DEP_1)
	v_cmpx_eq_u16_e32 0, v8
	s_cbranch_execz .LBB852_125
; %bb.129:                              ;   in Loop: Header=BB852_127 Depth=1
	s_mov_b32 s7, 0
.LBB852_130:                            ;   Parent Loop BB852_127 Depth=1
                                        ; =>  This Inner Loop Header: Depth=2
	;;#ASMSTART
	global_load_b128 v[5:8], v[25:26] off scope:SCOPE_DEV	
s_wait_loadcnt 0x0
	;;#ASMEND
	v_and_b32_e32 v8, 0xff, v7
	s_delay_alu instid0(VALU_DEP_1)
	v_cmp_ne_u16_e32 vcc_lo, 0, v8
	s_wait_alu 0xfffe
	s_or_b32 s7, vcc_lo, s7
	s_wait_alu 0xfffe
	s_and_not1_b32 exec_lo, exec_lo, s7
	s_cbranch_execnz .LBB852_130
	s_branch .LBB852_124
.LBB852_131:
                                        ; implicit-def: $vgpr81
                                        ; implicit-def: $vgpr3
                                        ; implicit-def: $vgpr82
	s_wait_alu 0xfffe
	s_and_b32 vcc_lo, exec_lo, s3
	s_wait_alu 0xfffe
	s_cbranch_vccnz .LBB852_137
	s_branch .LBB852_146
.LBB852_132:
	s_and_saveexec_b32 s6, s2
	s_cbranch_execnz .LBB852_374
; %bb.133:
	s_wait_alu 0xfffe
	s_or_b32 exec_lo, exec_lo, s6
	s_and_saveexec_b32 s6, s2
	s_cbranch_execnz .LBB852_375
.LBB852_134:
	s_wait_alu 0xfffe
	s_or_b32 exec_lo, exec_lo, s6
	v_cmp_eq_u32_e32 vcc_lo, 0, v0
	s_and_b32 exec_lo, exec_lo, vcc_lo
.LBB852_135:
	v_mov_b32_e32 v1, 0
	ds_store_b64 v1, v[3:4] offset:56
.LBB852_136:
	s_wait_alu 0xfffe
	s_or_b32 exec_lo, exec_lo, s3
	s_wait_dscnt 0x0
	v_cndmask_b32_e64 v8, v82, v22, s2
	v_mov_b32_e32 v1, 0
	s_wait_loadcnt 0x0
	s_barrier_signal -1
	s_barrier_wait -1
	global_inv scope:SCOPE_SE
	ds_load_b64 v[5:6], v1 offset:56
	s_wait_loadcnt_dscnt 0x0
	s_barrier_signal -1
	s_barrier_wait -1
	global_inv scope:SCOPE_SE
	v_cndmask_b32_e64 v7, v81, v21, s2
	v_cmp_eq_u32_e32 vcc_lo, 0, v0
	v_add_nc_u32_e32 v8, v6, v8
	ds_load_b128 v[1:4], v1 offset:13312
	v_add_nc_u32_e32 v7, v5, v7
	s_wait_alu 0xfffd
	s_delay_alu instid0(VALU_DEP_1)
	v_dual_cndmask_b32 v81, v8, v6 :: v_dual_cndmask_b32 v82, v7, v5
	s_branch .LBB852_146
.LBB852_137:
	s_wait_dscnt 0x0
	v_mov_b32_dpp v2, v80 row_shr:1 row_mask:0xf bank_mask:0xf
	v_cmp_lt_u32_e32 vcc_lo, 3, v76
	v_mov_b32_dpp v1, v79 row_shr:1 row_mask:0xf bank_mask:0xf
	s_delay_alu instid0(VALU_DEP_3) | instskip(NEXT) | instid1(VALU_DEP_1)
	v_add_nc_u32_e32 v2, v2, v80
	v_cndmask_b32_e64 v2, v2, v80, s1
	s_delay_alu instid0(VALU_DEP_1) | instskip(NEXT) | instid1(VALU_DEP_1)
	v_mov_b32_dpp v4, v2 row_shr:2 row_mask:0xf bank_mask:0xf
	v_add_nc_u32_e32 v4, v2, v4
	s_delay_alu instid0(VALU_DEP_1) | instskip(NEXT) | instid1(VALU_DEP_1)
	v_cndmask_b32_e64 v2, v2, v4, s0
	v_mov_b32_dpp v4, v2 row_shr:4 row_mask:0xf bank_mask:0xf
	s_delay_alu instid0(VALU_DEP_1) | instskip(SKIP_1) | instid1(VALU_DEP_1)
	v_add_nc_u32_e32 v4, v2, v4
	s_wait_alu 0xfffd
	v_dual_cndmask_b32 v2, v2, v4 :: v_dual_add_nc_u32 v1, v1, v79
	s_delay_alu instid0(VALU_DEP_1) | instskip(SKIP_1) | instid1(VALU_DEP_2)
	v_cndmask_b32_e64 v1, v1, v79, s1
	s_mov_b32 s1, exec_lo
	v_mov_b32_dpp v4, v2 row_shr:8 row_mask:0xf bank_mask:0xf
	s_delay_alu instid0(VALU_DEP_2) | instskip(NEXT) | instid1(VALU_DEP_1)
	v_mov_b32_dpp v3, v1 row_shr:2 row_mask:0xf bank_mask:0xf
	v_add_nc_u32_e32 v3, v1, v3
	s_delay_alu instid0(VALU_DEP_1) | instskip(NEXT) | instid1(VALU_DEP_1)
	v_cndmask_b32_e64 v1, v1, v3, s0
	v_mov_b32_dpp v3, v1 row_shr:4 row_mask:0xf bank_mask:0xf
	s_delay_alu instid0(VALU_DEP_1) | instskip(NEXT) | instid1(VALU_DEP_1)
	v_add_nc_u32_e32 v3, v1, v3
	v_cndmask_b32_e32 v3, v1, v3, vcc_lo
	v_cmp_lt_u32_e32 vcc_lo, 7, v76
	s_delay_alu instid0(VALU_DEP_2) | instskip(NEXT) | instid1(VALU_DEP_1)
	v_mov_b32_dpp v1, v3 row_shr:8 row_mask:0xf bank_mask:0xf
	v_add_nc_u32_e32 v5, v3, v1
	v_add_nc_u32_e32 v1, v2, v4
	s_wait_alu 0xfffd
	s_delay_alu instid0(VALU_DEP_1) | instskip(NEXT) | instid1(VALU_DEP_3)
	v_cndmask_b32_e32 v1, v2, v1, vcc_lo
	v_cndmask_b32_e32 v2, v3, v5, vcc_lo
	v_cmp_eq_u32_e32 vcc_lo, 0, v78
	ds_swizzle_b32 v3, v1 offset:swizzle(BROADCAST,32,15)
	ds_swizzle_b32 v4, v2 offset:swizzle(BROADCAST,32,15)
	s_wait_dscnt 0x1
	v_add_nc_u32_e32 v3, v1, v3
	s_wait_dscnt 0x0
	v_add_nc_u32_e32 v4, v2, v4
	v_cmpx_eq_u32_e64 v0, v77
; %bb.138:
	s_wait_alu 0xfffd
	s_delay_alu instid0(VALU_DEP_2)
	v_dual_cndmask_b32 v5, v4, v2 :: v_dual_cndmask_b32 v6, v3, v1
	v_lshlrev_b32_e32 v7, 3, v75
	ds_store_b64 v7, v[5:6]
; %bb.139:
	s_wait_alu 0xfffe
	s_or_b32 exec_lo, exec_lo, s1
	s_delay_alu instid0(SALU_CYCLE_1)
	s_mov_b32 s1, exec_lo
	s_wait_loadcnt_dscnt 0x0
	s_barrier_signal -1
	s_barrier_wait -1
	global_inv scope:SCOPE_SE
	v_cmpx_gt_u32_e32 8, v0
	s_cbranch_execz .LBB852_141
; %bb.140:
	v_lshlrev_b32_e32 v7, 3, v0
	v_and_b32_e32 v22, 7, v74
	ds_load_b64 v[5:6], v7
	v_cmp_eq_u32_e64 s0, 0, v22
	s_wait_dscnt 0x0
	v_mov_b32_dpp v8, v5 row_shr:1 row_mask:0xf bank_mask:0xf
	v_mov_b32_dpp v21, v6 row_shr:1 row_mask:0xf bank_mask:0xf
	s_delay_alu instid0(VALU_DEP_2) | instskip(NEXT) | instid1(VALU_DEP_2)
	v_add_nc_u32_e32 v8, v8, v5
	v_add_nc_u32_e32 v21, v21, v6
	s_wait_alu 0xf1ff
	s_delay_alu instid0(VALU_DEP_2) | instskip(NEXT) | instid1(VALU_DEP_2)
	v_cndmask_b32_e64 v5, v8, v5, s0
	v_cndmask_b32_e64 v6, v21, v6, s0
	v_cmp_lt_u32_e64 s0, 1, v22
	s_delay_alu instid0(VALU_DEP_3) | instskip(NEXT) | instid1(VALU_DEP_3)
	v_mov_b32_dpp v8, v5 row_shr:2 row_mask:0xf bank_mask:0xf
	v_mov_b32_dpp v21, v6 row_shr:2 row_mask:0xf bank_mask:0xf
	s_delay_alu instid0(VALU_DEP_2) | instskip(NEXT) | instid1(VALU_DEP_2)
	v_add_nc_u32_e32 v8, v5, v8
	v_add_nc_u32_e32 v21, v6, v21
	s_wait_alu 0xf1ff
	s_delay_alu instid0(VALU_DEP_2) | instskip(NEXT) | instid1(VALU_DEP_2)
	v_cndmask_b32_e64 v5, v5, v8, s0
	v_cndmask_b32_e64 v6, v6, v21, s0
	v_cmp_lt_u32_e64 s0, 3, v22
	s_delay_alu instid0(VALU_DEP_3) | instskip(NEXT) | instid1(VALU_DEP_3)
	v_mov_b32_dpp v8, v5 row_shr:4 row_mask:0xf bank_mask:0xf
	v_mov_b32_dpp v21, v6 row_shr:4 row_mask:0xf bank_mask:0xf
	s_wait_alu 0xf1ff
	s_delay_alu instid0(VALU_DEP_2) | instskip(NEXT) | instid1(VALU_DEP_2)
	v_cndmask_b32_e64 v8, 0, v8, s0
	v_cndmask_b32_e64 v21, 0, v21, s0
	s_delay_alu instid0(VALU_DEP_2) | instskip(NEXT) | instid1(VALU_DEP_2)
	v_add_nc_u32_e32 v5, v8, v5
	v_add_nc_u32_e32 v6, v21, v6
	ds_store_b64 v7, v[5:6]
.LBB852_141:
	s_wait_alu 0xfffe
	s_or_b32 exec_lo, exec_lo, s1
	v_dual_mov_b32 v7, 0 :: v_dual_mov_b32 v6, 0
	v_mov_b32_e32 v5, 0
	s_mov_b32 s1, exec_lo
	s_wait_loadcnt_dscnt 0x0
	s_barrier_signal -1
	s_barrier_wait -1
	global_inv scope:SCOPE_SE
	v_cmpx_lt_u32_e32 31, v0
; %bb.142:
	v_lshl_add_u32 v5, v75, 3, -8
	ds_load_b64 v[5:6], v5
; %bb.143:
	s_wait_alu 0xfffe
	s_or_b32 exec_lo, exec_lo, s1
	v_sub_co_u32 v8, s0, v74, 1
	v_dual_cndmask_b32 v2, v4, v2 :: v_dual_cndmask_b32 v1, v3, v1
	v_cmp_eq_u32_e32 vcc_lo, 0, v0
	s_delay_alu instid0(VALU_DEP_3) | instskip(SKIP_1) | instid1(VALU_DEP_3)
	v_cmp_gt_i32_e64 s1, 0, v8
	s_wait_dscnt 0x0
	v_add_nc_u32_e32 v2, v5, v2
	v_add_nc_u32_e32 v1, v6, v1
	s_wait_alu 0xf1ff
	v_cndmask_b32_e64 v4, v8, v74, s1
	s_delay_alu instid0(VALU_DEP_1)
	v_lshlrev_b32_e32 v3, 2, v4
	ds_bpermute_b32 v8, v3, v2
	ds_bpermute_b32 v21, v3, v1
	ds_load_b64 v[1:2], v7 offset:56
	s_and_saveexec_b32 s1, vcc_lo
	s_cbranch_execz .LBB852_145
; %bb.144:
	s_wait_kmcnt 0x0
	s_add_nc_u64 s[2:3], s[4:5], 0x200
	v_dual_mov_b32 v3, 2 :: v_dual_mov_b32 v4, 0
	s_wait_alu 0xfffe
	v_dual_mov_b32 v23, s3 :: v_dual_mov_b32 v22, s2
	s_wait_dscnt 0x0
	;;#ASMSTART
	global_store_b128 v[22:23], v[1:4] off scope:SCOPE_DEV	
s_wait_storecnt 0x0
	;;#ASMEND
.LBB852_145:
	s_wait_alu 0xfffe
	s_or_b32 exec_lo, exec_lo, s1
	s_wait_dscnt 0x1
	v_cndmask_b32_e64 v3, v21, v6, s0
	v_cndmask_b32_e64 v5, v8, v5, s0
	v_mov_b32_e32 v4, 0
	s_wait_loadcnt_dscnt 0x0
	s_barrier_signal -1
	v_cndmask_b32_e64 v81, v3, 0, vcc_lo
	v_cndmask_b32_e64 v82, v5, 0, vcc_lo
	v_mov_b32_e32 v3, 0
	s_barrier_wait -1
	global_inv scope:SCOPE_SE
.LBB852_146:
	v_lshrrev_b32_e32 v77, 8, v49
	s_delay_alu instid0(VALU_DEP_2)
	v_add_nc_u32_e32 v73, v81, v73
	s_wait_dscnt 0x0
	v_sub_nc_u32_e32 v81, v81, v4
	v_lshlrev_b32_e32 v84, 1, v1
	v_lshrrev_b32_e32 v75, 16, v49
	v_and_b32_e32 v77, 1, v77
	v_add_nc_u32_e32 v71, v73, v71
	v_add_nc_u32_e32 v81, v81, v1
	v_add3_u32 v87, v84, v2, v41
	v_and_b32_e32 v75, 1, v75
	v_cmp_eq_u32_e32 vcc_lo, 1, v77
	v_add_nc_u32_e32 v72, v82, v72
	v_sub_nc_u32_e32 v82, v82, v3
	v_sub_nc_u32_e32 v73, v73, v4
	v_lshrrev_b32_e32 v76, 8, v42
	v_lshrrev_b32_e32 v74, 16, v42
	v_and_b32_e32 v42, 1, v42
	v_add_nc_u32_e32 v41, v82, v81
	v_add_nc_u32_e32 v73, v73, v1
	v_and_b32_e32 v76, 1, v76
	s_wait_kmcnt 0x0
	v_add_co_u32 v5, s0, s28, v3
	v_sub_nc_u32_e32 v41, v87, v41
	s_wait_alu 0xf1ff
	v_add_co_ci_u32_e64 v6, null, s29, 0, s0
	v_sub_co_u32 v80, s0, s30, v1
	s_wait_alu 0xfffd
	v_cndmask_b32_e32 v41, v41, v81, vcc_lo
	v_cmp_eq_u32_e32 vcc_lo, 1, v75
	v_add_nc_u32_e32 v78, v71, v55
	v_sub_nc_u32_e32 v71, v71, v4
	s_wait_alu 0xf1ff
	v_sub_co_ci_u32_e64 v83, null, s31, 0, s0
	v_and_b32_e32 v55, 1, v55
	v_and_b32_e32 v74, 1, v74
	v_add_nc_u32_e32 v71, v71, v1
	v_add_nc_u32_e32 v70, v72, v70
	v_sub_nc_u32_e32 v72, v72, v3
	v_lshrrev_b32_e32 v26, 8, v43
	v_lshrrev_b32_e32 v25, 16, v43
	v_and_b32_e32 v43, 1, v43
	v_lshrrev_b32_e32 v23, 16, v44
	v_add_nc_u32_e32 v88, v73, v72
	v_and_b32_e32 v26, 1, v26
	v_lshrrev_b32_e32 v24, 8, v44
	v_and_b32_e32 v44, 1, v44
	v_lshrrev_b32_e32 v8, 16, v46
	v_sub_nc_u32_e32 v88, v87, v88
	v_lshrrev_b32_e32 v22, 8, v46
	v_and_b32_e32 v24, 1, v24
	v_lshrrev_b32_e32 v21, 8, v47
	v_and_b32_e32 v8, 1, v8
	v_add_nc_u32_e32 v88, 1, v88
	v_and_b32_e32 v22, 1, v22
	v_lshrrev_b32_e32 v7, 16, v47
	s_mov_b32 s41, 0
	s_wait_alu 0xfffd
	v_cndmask_b32_e32 v73, v88, v73, vcc_lo
	v_cmp_eq_u32_e32 vcc_lo, 1, v42
	v_add_nc_u32_e32 v68, v78, v68
	v_and_b32_e32 v7, 1, v7
	s_wait_alu 0xfffd
	v_cndmask_b32_e32 v81, v41, v82, vcc_lo
	v_cmp_eq_u32_e32 vcc_lo, 1, v76
	v_add_nc_u32_e32 v69, v70, v69
	v_sub_nc_u32_e32 v70, v70, v3
	v_sub_nc_u32_e32 v76, v78, v4
	s_wait_alu 0xfffd
	v_dual_cndmask_b32 v72, v73, v72 :: v_dual_add_nc_u32 v67, v68, v67
	v_add_co_u32 v41, vcc_lo, v80, v4
	v_add_nc_u32_e32 v75, v71, v70
	s_wait_alu 0xfffd
	v_add_co_ci_u32_e64 v42, null, 0, v83, vcc_lo
	v_cmp_eq_u32_e32 vcc_lo, 1, v55
	v_add_nc_u32_e32 v79, v69, v54
	v_sub_nc_u32_e32 v73, v87, v75
	v_sub_nc_u32_e32 v69, v69, v3
	;; [unrolled: 1-line block ×3, first 2 shown]
	v_lshlrev_b32_e32 v75, 2, v81
	v_lshlrev_b32_e32 v72, 2, v72
	v_add_nc_u32_e32 v73, 2, v73
	ds_store_b32 v75, v19
	ds_store_b32 v72, v20
	s_wait_alu 0xfffd
	v_dual_cndmask_b32 v55, v73, v71 :: v_dual_add_nc_u32 v68, v68, v1
	v_add_nc_u32_e32 v71, v76, v1
	v_cmp_eq_u32_e32 vcc_lo, 1, v74
	v_and_b32_e32 v54, 1, v54
	s_delay_alu instid0(VALU_DEP_3) | instskip(SKIP_4) | instid1(VALU_DEP_3)
	v_add_nc_u32_e32 v73, v69, v71
	s_wait_alu 0xfffd
	v_cndmask_b32_e32 v55, v55, v70, vcc_lo
	v_sub_nc_u32_e32 v70, v79, v3
	v_cmp_eq_u32_e32 vcc_lo, 1, v43
	v_lshlrev_b32_e32 v19, 2, v55
	s_delay_alu instid0(VALU_DEP_3)
	v_add_nc_u32_e32 v20, v70, v68
	v_sub_nc_u32_e32 v55, v87, v73
	ds_store_b32 v19, v17
	v_sub_nc_u32_e32 v20, v87, v20
	v_add_nc_u32_e32 v55, 3, v55
	v_and_b32_e32 v19, 1, v25
	s_wait_alu 0xfffd
	s_delay_alu instid0(VALU_DEP_2) | instskip(SKIP_2) | instid1(VALU_DEP_2)
	v_dual_cndmask_b32 v43, v55, v71 :: v_dual_add_nc_u32 v20, 4, v20
	v_cmp_eq_u32_e32 vcc_lo, 1, v26
	s_wait_alu 0xfffd
	v_cndmask_b32_e32 v20, v20, v68, vcc_lo
	v_cmp_eq_u32_e32 vcc_lo, 1, v54
	s_wait_alu 0xfffd
	v_cndmask_b32_e32 v26, v43, v69, vcc_lo
	v_cmp_eq_u32_e32 vcc_lo, 1, v44
	v_add_nc_u32_e32 v65, v67, v65
	v_sub_nc_u32_e32 v67, v67, v4
	s_delay_alu instid0(VALU_DEP_4)
	v_lshlrev_b32_e32 v17, 2, v26
	s_wait_alu 0xfffd
	v_cndmask_b32_e32 v20, v20, v70, vcc_lo
	v_cmp_eq_u32_e32 vcc_lo, 1, v19
	v_add_nc_u32_e32 v67, v67, v1
	v_add_nc_u32_e32 v66, v79, v66
	;; [unrolled: 1-line block ×3, first 2 shown]
	v_sub_nc_u32_e32 v26, v65, v4
	v_lshlrev_b32_e32 v20, 2, v20
	ds_store_b32 v17, v18
	ds_store_b32 v20, v15
	v_add_nc_u32_e32 v64, v66, v64
	v_sub_nc_u32_e32 v66, v66, v3
	v_add_nc_u32_e32 v26, v26, v1
	v_add_nc_u32_e32 v63, v85, v63
	v_and_b32_e32 v20, 1, v53
	s_delay_alu instid0(VALU_DEP_4) | instskip(NEXT) | instid1(VALU_DEP_1)
	v_add_nc_u32_e32 v55, v66, v67
	v_sub_nc_u32_e32 v43, v87, v55
	s_delay_alu instid0(VALU_DEP_1) | instskip(SKIP_2) | instid1(VALU_DEP_2)
	v_add_nc_u32_e32 v25, 5, v43
	v_sub_nc_u32_e32 v43, v85, v4
	s_wait_alu 0xfffd
	v_cndmask_b32_e32 v19, v25, v67, vcc_lo
	v_cmp_eq_u32_e32 vcc_lo, 1, v24
	s_delay_alu instid0(VALU_DEP_3) | instskip(SKIP_1) | instid1(VALU_DEP_3)
	v_add_nc_u32_e32 v43, v43, v1
	s_wait_alu 0xfffd
	v_cndmask_b32_e32 v19, v19, v66, vcc_lo
	v_add_nc_u32_e32 v59, v64, v59
	v_sub_nc_u32_e32 v25, v64, v3
	v_cmp_eq_u32_e32 vcc_lo, 1, v20
	v_and_b32_e32 v20, 1, v52
	v_lshlrev_b32_e32 v15, 2, v19
	v_sub_nc_u32_e32 v24, v59, v3
	v_add_nc_u32_e32 v44, v25, v26
	v_add_nc_u32_e32 v86, v59, v52
	v_and_b32_e32 v19, 1, v23
	v_sub_nc_u32_e32 v23, v63, v4
	v_add_nc_u32_e32 v17, v24, v43
	v_sub_nc_u32_e32 v18, v87, v44
	v_and_b32_e32 v44, 1, v46
	v_sub_nc_u32_e32 v46, v86, v3
	v_add_nc_u32_e32 v23, v23, v1
	v_sub_nc_u32_e32 v17, v87, v17
	v_add_nc_u32_e32 v18, 6, v18
	v_add_nc_u32_e32 v61, v86, v61
	s_wait_alu 0xfffd
	s_delay_alu instid0(VALU_DEP_2)
	v_dual_cndmask_b32 v18, v18, v26 :: v_dual_add_nc_u32 v17, 7, v17
	v_cmp_eq_u32_e32 vcc_lo, 1, v44
	v_add_nc_u32_e32 v26, v46, v23
	v_add_nc_u32_e32 v58, v61, v58
	s_wait_alu 0xfffd
	v_cndmask_b32_e32 v17, v17, v43, vcc_lo
	v_cmp_eq_u32_e32 vcc_lo, 1, v19
	v_sub_nc_u32_e32 v19, v87, v26
	s_wait_alu 0xfffd
	v_cndmask_b32_e32 v18, v18, v25, vcc_lo
	v_cmp_eq_u32_e32 vcc_lo, 1, v20
	v_add_nc_u32_e32 v62, v63, v62
	v_add_nc_u32_e32 v19, 8, v19
	v_sub_nc_u32_e32 v25, v61, v3
	s_wait_alu 0xfffd
	v_dual_cndmask_b32 v17, v17, v24 :: v_dual_lshlrev_b32 v18, 2, v18
	v_sub_nc_u32_e32 v20, v62, v4
	v_and_b32_e32 v24, 1, v47
	v_cmp_eq_u32_e32 vcc_lo, 1, v22
	s_delay_alu instid0(VALU_DEP_4) | instskip(NEXT) | instid1(VALU_DEP_4)
	v_lshlrev_b32_e32 v17, 2, v17
	v_add_nc_u32_e32 v20, v20, v1
	ds_store_b32 v15, v16
	ds_store_b32 v18, v13
	;; [unrolled: 1-line block ×3, first 2 shown]
	s_wait_alu 0xfffd
	v_cndmask_b32_e32 v19, v19, v23, vcc_lo
	v_cmp_eq_u32_e32 vcc_lo, 1, v24
	v_add_nc_u32_e32 v60, v62, v60
	v_add_nc_u32_e32 v22, v25, v20
	v_sub_nc_u32_e32 v17, v58, v3
	v_and_b32_e32 v15, 1, v21
	s_wait_alu 0xfffd
	v_cndmask_b32_e32 v19, v19, v46, vcc_lo
	v_sub_nc_u32_e32 v16, v60, v4
	v_sub_nc_u32_e32 v13, v87, v22
	v_cmp_eq_u32_e32 vcc_lo, 1, v8
	v_add_nc_u32_e32 v89, v60, v51
	v_lshlrev_b32_e32 v14, 2, v19
	v_add_nc_u32_e32 v16, v16, v1
	v_add_nc_u32_e32 v13, 9, v13
	s_delay_alu instid0(VALU_DEP_4)
	v_sub_nc_u32_e32 v18, v89, v4
	ds_store_b32 v14, v11
	v_add_nc_u32_e32 v19, v17, v16
	s_wait_alu 0xfffd
	v_cndmask_b32_e32 v8, v13, v20, vcc_lo
	v_cmp_eq_u32_e32 vcc_lo, 1, v15
	v_and_b32_e32 v15, 1, v51
	v_and_b32_e32 v20, 1, v45
	v_sub_nc_u32_e32 v14, v87, v19
	v_add_nc_u32_e32 v18, v18, v1
	s_wait_alu 0xfffd
	v_cndmask_b32_e32 v8, v8, v25, vcc_lo
	v_cmp_eq_u32_e32 vcc_lo, 1, v15
	v_add_nc_u32_e32 v57, v89, v57
	v_add_nc_u32_e32 v14, 10, v14
	v_and_b32_e32 v15, 1, v50
	v_lshlrev_b32_e32 v8, 2, v8
	s_delay_alu instid0(VALU_DEP_4)
	v_sub_nc_u32_e32 v19, v57, v4
	s_wait_alu 0xfffd
	v_cndmask_b32_e32 v14, v14, v16, vcc_lo
	v_cmp_eq_u32_e32 vcc_lo, 1, v20
	v_add_nc_u32_e32 v56, v58, v56
	v_add_nc_u32_e32 v19, v19, v1
	s_delay_alu instid0(VALU_DEP_2) | instskip(NEXT) | instid1(VALU_DEP_1)
	v_sub_nc_u32_e32 v13, v56, v3
	v_add_nc_u32_e32 v11, v13, v18
	s_delay_alu instid0(VALU_DEP_1) | instskip(NEXT) | instid1(VALU_DEP_1)
	v_sub_nc_u32_e32 v11, v87, v11
	v_add_nc_u32_e32 v11, 11, v11
	s_wait_alu 0xfffd
	s_delay_alu instid0(VALU_DEP_1) | instskip(SKIP_2) | instid1(VALU_DEP_2)
	v_cndmask_b32_e32 v11, v11, v18, vcc_lo
	v_add_nc_u32_e32 v77, v56, v50
	v_cmp_eq_u32_e32 vcc_lo, 1, v7
	v_sub_nc_u32_e32 v3, v77, v3
	s_wait_alu 0xfffd
	v_cndmask_b32_e32 v7, v14, v17, vcc_lo
	v_cmp_eq_u32_e32 vcc_lo, 1, v15
	v_and_b32_e32 v15, 1, v49
	v_add_nc_u32_e32 v16, v3, v19
	s_delay_alu instid0(VALU_DEP_4) | instskip(SKIP_4) | instid1(VALU_DEP_3)
	v_lshlrev_b32_e32 v7, 2, v7
	s_wait_alu 0xfffd
	v_cndmask_b32_e32 v11, v11, v13, vcc_lo
	v_and_b32_e32 v13, 1, v48
	v_sub_nc_u32_e32 v14, v87, v16
	v_lshlrev_b32_e32 v11, 2, v11
	s_delay_alu instid0(VALU_DEP_3)
	v_cmp_eq_u32_e32 vcc_lo, 1, v13
	ds_store_b32 v8, v12
	ds_store_b32 v7, v9
	;; [unrolled: 1-line block ×3, first 2 shown]
	v_add_nc_u32_e32 v14, 12, v14
	v_add_co_u32 v7, s0, v2, v84
	s_wait_alu 0xf1ff
	v_add_co_ci_u32_e64 v8, null, 0, 0, s0
	s_wait_alu 0xfffd
	v_cndmask_b32_e32 v13, v14, v19, vcc_lo
	v_cmp_eq_u32_e32 vcc_lo, 1, v15
	s_wait_alu 0xfffe
	s_add_nc_u64 s[0:1], s[34:35], s[40:41]
	v_lshlrev_b64_e32 v[9:10], 2, v[5:6]
	v_add_nc_u32_e32 v12, v1, v2
	s_wait_alu 0xfffd
	v_cndmask_b32_e32 v3, v13, v3, vcc_lo
	v_add_co_u32 v7, vcc_lo, v7, v41
	s_wait_alu 0xfffd
	v_add_co_ci_u32_e64 v8, null, v8, v42, vcc_lo
	s_delay_alu instid0(VALU_DEP_3)
	v_lshlrev_b32_e32 v3, 2, v3
	ds_store_b32 v3, v40
	v_add_co_u32 v3, vcc_lo, v7, v5
	s_wait_alu 0xfffd
	v_add_co_ci_u32_e64 v7, null, v8, v6, vcc_lo
	s_wait_loadcnt_dscnt 0x0
	s_wait_alu 0xfffe
	v_sub_co_u32 v3, vcc_lo, s0, v3
	s_wait_alu 0xfffd
	v_sub_co_ci_u32_e64 v11, null, s1, v7, vcc_lo
	v_lshlrev_b64_e32 v[7:8], 2, v[41:42]
	v_add_co_u32 v9, s0, s36, v9
	s_wait_alu 0xf1ff
	v_add_co_ci_u32_e64 v10, null, s37, v10, s0
	s_mov_b32 s0, -1
	v_add_co_u32 v7, vcc_lo, s38, v7
	s_wait_alu 0xfffd
	v_add_co_ci_u32_e64 v8, null, s39, v8, vcc_lo
	v_cmp_ne_u32_e32 vcc_lo, 1, v39
	s_barrier_signal -1
	s_barrier_wait -1
	global_inv scope:SCOPE_SE
	s_cbranch_vccz .LBB852_150
; %bb.147:
	s_wait_alu 0xfffe
	s_and_b32 vcc_lo, exec_lo, s0
	s_wait_alu 0xfffe
	s_cbranch_vccnz .LBB852_255
.LBB852_148:
	v_cmp_eq_u32_e32 vcc_lo, 0, v0
	s_and_b32 s0, vcc_lo, s15
	s_wait_alu 0xfffe
	s_and_saveexec_b32 s1, s0
	s_cbranch_execnz .LBB852_373
.LBB852_149:
	s_endpgm
.LBB852_150:
	s_mov_b32 s0, exec_lo
	v_cmpx_ge_u32_e64 v0, v1
	s_wait_alu 0xfffe
	s_xor_b32 s0, exec_lo, s0
	s_cbranch_execz .LBB852_156
; %bb.151:
	s_mov_b32 s1, exec_lo
	v_cmpx_ge_u32_e64 v0, v12
	s_wait_alu 0xfffe
	s_xor_b32 s1, exec_lo, s1
	s_cbranch_execz .LBB852_153
; %bb.152:
	v_lshlrev_b32_e32 v13, 2, v0
	ds_load_b32 v15, v13
	v_add_co_u32 v13, vcc_lo, v3, v0
	s_wait_alu 0xfffd
	v_add_co_ci_u32_e64 v14, null, 0, v11, vcc_lo
	s_delay_alu instid0(VALU_DEP_1) | instskip(NEXT) | instid1(VALU_DEP_1)
	v_lshlrev_b64_e32 v[13:14], 2, v[13:14]
	v_sub_co_u32 v13, vcc_lo, s26, v13
	s_wait_alu 0xfffd
	s_delay_alu instid0(VALU_DEP_2)
	v_sub_co_ci_u32_e64 v14, null, s27, v14, vcc_lo
	s_wait_dscnt 0x0
	global_store_b32 v[13:14], v15, off offset:-4
.LBB852_153:
	s_wait_alu 0xfffe
	s_and_not1_saveexec_b32 s1, s1
	s_cbranch_execz .LBB852_155
; %bb.154:
	v_lshlrev_b32_e32 v13, 2, v0
	v_readfirstlane_b32 s2, v7
	v_readfirstlane_b32 s3, v8
	ds_load_b32 v14, v13
	s_wait_dscnt 0x0
	global_store_b32 v13, v14, s[2:3]
.LBB852_155:
	s_wait_alu 0xfffe
	s_or_b32 exec_lo, exec_lo, s1
.LBB852_156:
	s_wait_alu 0xfffe
	s_and_not1_saveexec_b32 s0, s0
	s_cbranch_execz .LBB852_158
; %bb.157:
	v_lshlrev_b32_e32 v13, 2, v0
	v_readfirstlane_b32 s2, v9
	v_readfirstlane_b32 s3, v10
	ds_load_b32 v14, v13
	s_wait_dscnt 0x0
	global_store_b32 v13, v14, s[2:3]
.LBB852_158:
	s_wait_alu 0xfffe
	s_or_b32 exec_lo, exec_lo, s0
	s_delay_alu instid0(SALU_CYCLE_1)
	s_mov_b32 s0, exec_lo
	v_cmpx_ge_u32_e64 v38, v1
	s_wait_alu 0xfffe
	s_xor_b32 s0, exec_lo, s0
	s_cbranch_execz .LBB852_164
; %bb.159:
	s_mov_b32 s1, exec_lo
	v_cmpx_ge_u32_e64 v38, v12
	s_wait_alu 0xfffe
	s_xor_b32 s1, exec_lo, s1
	s_cbranch_execz .LBB852_161
; %bb.160:
	v_lshlrev_b32_e32 v13, 2, v0
	ds_load_b32 v15, v13 offset:1024
	v_add_co_u32 v13, vcc_lo, v3, v0
	s_wait_alu 0xfffd
	v_add_co_ci_u32_e64 v14, null, 0, v11, vcc_lo
	s_delay_alu instid0(VALU_DEP_1) | instskip(NEXT) | instid1(VALU_DEP_1)
	v_lshlrev_b64_e32 v[13:14], 2, v[13:14]
	v_sub_co_u32 v13, vcc_lo, s26, v13
	s_wait_alu 0xfffd
	s_delay_alu instid0(VALU_DEP_2)
	v_sub_co_ci_u32_e64 v14, null, s27, v14, vcc_lo
	s_wait_dscnt 0x0
	global_store_b32 v[13:14], v15, off offset:-1028
.LBB852_161:
	s_wait_alu 0xfffe
	s_and_not1_saveexec_b32 s1, s1
	s_cbranch_execz .LBB852_163
; %bb.162:
	v_lshlrev_b32_e32 v13, 2, v0
	v_readfirstlane_b32 s2, v7
	v_readfirstlane_b32 s3, v8
	ds_load_b32 v14, v13 offset:1024
	s_wait_dscnt 0x0
	global_store_b32 v13, v14, s[2:3] offset:1024
.LBB852_163:
	s_wait_alu 0xfffe
	s_or_b32 exec_lo, exec_lo, s1
.LBB852_164:
	s_wait_alu 0xfffe
	s_and_not1_saveexec_b32 s0, s0
	s_cbranch_execz .LBB852_166
; %bb.165:
	v_lshlrev_b32_e32 v13, 2, v0
	v_readfirstlane_b32 s2, v9
	v_readfirstlane_b32 s3, v10
	ds_load_b32 v14, v13 offset:1024
	s_wait_dscnt 0x0
	global_store_b32 v13, v14, s[2:3] offset:1024
.LBB852_166:
	s_wait_alu 0xfffe
	s_or_b32 exec_lo, exec_lo, s0
	s_delay_alu instid0(SALU_CYCLE_1)
	s_mov_b32 s0, exec_lo
	v_cmpx_ge_u32_e64 v37, v1
	s_wait_alu 0xfffe
	s_xor_b32 s0, exec_lo, s0
	s_cbranch_execz .LBB852_172
; %bb.167:
	s_mov_b32 s1, exec_lo
	v_cmpx_ge_u32_e64 v37, v12
	s_wait_alu 0xfffe
	s_xor_b32 s1, exec_lo, s1
	s_cbranch_execz .LBB852_169
; %bb.168:
	v_lshlrev_b32_e32 v13, 2, v0
	ds_load_b32 v15, v13 offset:2048
	v_add_co_u32 v13, vcc_lo, v3, v0
	s_wait_alu 0xfffd
	v_add_co_ci_u32_e64 v14, null, 0, v11, vcc_lo
	s_delay_alu instid0(VALU_DEP_1) | instskip(NEXT) | instid1(VALU_DEP_1)
	v_lshlrev_b64_e32 v[13:14], 2, v[13:14]
	v_sub_co_u32 v13, vcc_lo, s26, v13
	s_wait_alu 0xfffd
	s_delay_alu instid0(VALU_DEP_2)
	v_sub_co_ci_u32_e64 v14, null, s27, v14, vcc_lo
	s_wait_dscnt 0x0
	global_store_b32 v[13:14], v15, off offset:-2052
.LBB852_169:
	s_wait_alu 0xfffe
	s_and_not1_saveexec_b32 s1, s1
	s_cbranch_execz .LBB852_171
; %bb.170:
	v_lshlrev_b32_e32 v13, 2, v0
	v_readfirstlane_b32 s2, v7
	v_readfirstlane_b32 s3, v8
	ds_load_b32 v14, v13 offset:2048
	s_wait_dscnt 0x0
	global_store_b32 v13, v14, s[2:3] offset:2048
.LBB852_171:
	s_wait_alu 0xfffe
	s_or_b32 exec_lo, exec_lo, s1
.LBB852_172:
	s_wait_alu 0xfffe
	s_and_not1_saveexec_b32 s0, s0
	s_cbranch_execz .LBB852_174
; %bb.173:
	v_lshlrev_b32_e32 v13, 2, v0
	v_readfirstlane_b32 s2, v9
	v_readfirstlane_b32 s3, v10
	ds_load_b32 v14, v13 offset:2048
	s_wait_dscnt 0x0
	global_store_b32 v13, v14, s[2:3] offset:2048
.LBB852_174:
	;; [unrolled: 54-line block ×12, first 2 shown]
	s_wait_alu 0xfffe
	s_or_b32 exec_lo, exec_lo, s0
	s_branch .LBB852_148
.LBB852_255:
	s_mov_b32 s0, exec_lo
	v_cmpx_gt_u32_e64 s33, v0
	s_cbranch_execz .LBB852_264
; %bb.256:
	s_mov_b32 s1, exec_lo
	v_cmpx_ge_u32_e64 v0, v1
	s_wait_alu 0xfffe
	s_xor_b32 s1, exec_lo, s1
	s_cbranch_execz .LBB852_262
; %bb.257:
	s_mov_b32 s2, exec_lo
	v_cmpx_ge_u32_e64 v0, v12
	s_wait_alu 0xfffe
	s_xor_b32 s2, exec_lo, s2
	s_cbranch_execz .LBB852_259
; %bb.258:
	v_lshlrev_b32_e32 v13, 2, v0
	ds_load_b32 v15, v13
	v_add_co_u32 v13, vcc_lo, v3, v0
	s_wait_alu 0xfffd
	v_add_co_ci_u32_e64 v14, null, 0, v11, vcc_lo
	s_delay_alu instid0(VALU_DEP_1) | instskip(NEXT) | instid1(VALU_DEP_1)
	v_lshlrev_b64_e32 v[13:14], 2, v[13:14]
	v_sub_co_u32 v13, vcc_lo, s26, v13
	s_wait_alu 0xfffd
	s_delay_alu instid0(VALU_DEP_2)
	v_sub_co_ci_u32_e64 v14, null, s27, v14, vcc_lo
	s_wait_dscnt 0x0
	global_store_b32 v[13:14], v15, off offset:-4
.LBB852_259:
	s_wait_alu 0xfffe
	s_and_not1_saveexec_b32 s2, s2
	s_cbranch_execz .LBB852_261
; %bb.260:
	v_lshlrev_b32_e32 v13, 2, v0
	v_readfirstlane_b32 s4, v7
	v_readfirstlane_b32 s5, v8
	ds_load_b32 v14, v13
	s_wait_dscnt 0x0
	global_store_b32 v13, v14, s[4:5]
.LBB852_261:
	s_wait_alu 0xfffe
	s_or_b32 exec_lo, exec_lo, s2
.LBB852_262:
	s_wait_alu 0xfffe
	s_and_not1_saveexec_b32 s1, s1
	s_cbranch_execz .LBB852_264
; %bb.263:
	v_lshlrev_b32_e32 v13, 2, v0
	v_readfirstlane_b32 s2, v9
	v_readfirstlane_b32 s3, v10
	ds_load_b32 v14, v13
	s_wait_dscnt 0x0
	global_store_b32 v13, v14, s[2:3]
.LBB852_264:
	s_wait_alu 0xfffe
	s_or_b32 exec_lo, exec_lo, s0
	s_delay_alu instid0(SALU_CYCLE_1)
	s_mov_b32 s0, exec_lo
	v_cmpx_gt_u32_e64 s33, v38
	s_cbranch_execz .LBB852_273
; %bb.265:
	s_mov_b32 s1, exec_lo
	v_cmpx_ge_u32_e64 v38, v1
	s_wait_alu 0xfffe
	s_xor_b32 s1, exec_lo, s1
	s_cbranch_execz .LBB852_271
; %bb.266:
	s_mov_b32 s2, exec_lo
	v_cmpx_ge_u32_e64 v38, v12
	s_wait_alu 0xfffe
	s_xor_b32 s2, exec_lo, s2
	s_cbranch_execz .LBB852_268
; %bb.267:
	v_lshlrev_b32_e32 v13, 2, v0
	ds_load_b32 v15, v13 offset:1024
	v_add_co_u32 v13, vcc_lo, v3, v0
	s_wait_alu 0xfffd
	v_add_co_ci_u32_e64 v14, null, 0, v11, vcc_lo
	s_delay_alu instid0(VALU_DEP_1) | instskip(NEXT) | instid1(VALU_DEP_1)
	v_lshlrev_b64_e32 v[13:14], 2, v[13:14]
	v_sub_co_u32 v13, vcc_lo, s26, v13
	s_wait_alu 0xfffd
	s_delay_alu instid0(VALU_DEP_2)
	v_sub_co_ci_u32_e64 v14, null, s27, v14, vcc_lo
	s_wait_dscnt 0x0
	global_store_b32 v[13:14], v15, off offset:-1028
.LBB852_268:
	s_wait_alu 0xfffe
	s_and_not1_saveexec_b32 s2, s2
	s_cbranch_execz .LBB852_270
; %bb.269:
	v_lshlrev_b32_e32 v13, 2, v0
	v_readfirstlane_b32 s4, v7
	v_readfirstlane_b32 s5, v8
	ds_load_b32 v14, v13 offset:1024
	s_wait_dscnt 0x0
	global_store_b32 v13, v14, s[4:5] offset:1024
.LBB852_270:
	s_wait_alu 0xfffe
	s_or_b32 exec_lo, exec_lo, s2
.LBB852_271:
	s_wait_alu 0xfffe
	s_and_not1_saveexec_b32 s1, s1
	s_cbranch_execz .LBB852_273
; %bb.272:
	v_lshlrev_b32_e32 v13, 2, v0
	v_readfirstlane_b32 s2, v9
	v_readfirstlane_b32 s3, v10
	ds_load_b32 v14, v13 offset:1024
	s_wait_dscnt 0x0
	global_store_b32 v13, v14, s[2:3] offset:1024
.LBB852_273:
	s_wait_alu 0xfffe
	s_or_b32 exec_lo, exec_lo, s0
	s_delay_alu instid0(SALU_CYCLE_1)
	s_mov_b32 s0, exec_lo
	v_cmpx_gt_u32_e64 s33, v37
	s_cbranch_execz .LBB852_282
; %bb.274:
	s_mov_b32 s1, exec_lo
	v_cmpx_ge_u32_e64 v37, v1
	s_wait_alu 0xfffe
	s_xor_b32 s1, exec_lo, s1
	s_cbranch_execz .LBB852_280
; %bb.275:
	s_mov_b32 s2, exec_lo
	v_cmpx_ge_u32_e64 v37, v12
	s_wait_alu 0xfffe
	s_xor_b32 s2, exec_lo, s2
	s_cbranch_execz .LBB852_277
; %bb.276:
	v_lshlrev_b32_e32 v13, 2, v0
	ds_load_b32 v15, v13 offset:2048
	v_add_co_u32 v13, vcc_lo, v3, v0
	s_wait_alu 0xfffd
	v_add_co_ci_u32_e64 v14, null, 0, v11, vcc_lo
	s_delay_alu instid0(VALU_DEP_1) | instskip(NEXT) | instid1(VALU_DEP_1)
	v_lshlrev_b64_e32 v[13:14], 2, v[13:14]
	v_sub_co_u32 v13, vcc_lo, s26, v13
	s_wait_alu 0xfffd
	s_delay_alu instid0(VALU_DEP_2)
	v_sub_co_ci_u32_e64 v14, null, s27, v14, vcc_lo
	s_wait_dscnt 0x0
	global_store_b32 v[13:14], v15, off offset:-2052
.LBB852_277:
	s_wait_alu 0xfffe
	s_and_not1_saveexec_b32 s2, s2
	s_cbranch_execz .LBB852_279
; %bb.278:
	v_lshlrev_b32_e32 v13, 2, v0
	v_readfirstlane_b32 s4, v7
	v_readfirstlane_b32 s5, v8
	ds_load_b32 v14, v13 offset:2048
	s_wait_dscnt 0x0
	global_store_b32 v13, v14, s[4:5] offset:2048
.LBB852_279:
	s_wait_alu 0xfffe
	s_or_b32 exec_lo, exec_lo, s2
.LBB852_280:
	s_wait_alu 0xfffe
	s_and_not1_saveexec_b32 s1, s1
	s_cbranch_execz .LBB852_282
; %bb.281:
	v_lshlrev_b32_e32 v13, 2, v0
	v_readfirstlane_b32 s2, v9
	v_readfirstlane_b32 s3, v10
	ds_load_b32 v14, v13 offset:2048
	s_wait_dscnt 0x0
	global_store_b32 v13, v14, s[2:3] offset:2048
.LBB852_282:
	;; [unrolled: 58-line block ×11, first 2 shown]
	s_wait_alu 0xfffe
	s_or_b32 exec_lo, exec_lo, s0
	s_delay_alu instid0(SALU_CYCLE_1)
	s_mov_b32 s0, exec_lo
	v_cmpx_gt_u32_e64 s33, v27
	s_cbranch_execz .LBB852_372
; %bb.364:
	s_mov_b32 s1, exec_lo
	v_cmpx_ge_u32_e64 v27, v1
	s_wait_alu 0xfffe
	s_xor_b32 s1, exec_lo, s1
	s_cbranch_execz .LBB852_370
; %bb.365:
	s_mov_b32 s2, exec_lo
	v_cmpx_ge_u32_e64 v27, v12
	s_wait_alu 0xfffe
	s_xor_b32 s2, exec_lo, s2
	s_cbranch_execz .LBB852_367
; %bb.366:
	v_lshlrev_b32_e32 v7, 2, v0
	ds_load_b32 v9, v7 offset:12288
	v_add_co_u32 v7, vcc_lo, v3, v0
	s_wait_alu 0xfffd
	v_add_co_ci_u32_e64 v8, null, 0, v11, vcc_lo
	s_delay_alu instid0(VALU_DEP_1) | instskip(NEXT) | instid1(VALU_DEP_1)
	v_lshlrev_b64_e32 v[7:8], 2, v[7:8]
	v_sub_co_u32 v7, vcc_lo, s26, v7
	s_wait_alu 0xfffd
	s_delay_alu instid0(VALU_DEP_2)
	v_sub_co_ci_u32_e64 v8, null, s27, v8, vcc_lo
	s_wait_dscnt 0x0
	global_store_b32 v[7:8], v9, off offset:-12292
                                        ; implicit-def: $vgpr7_vgpr8
.LBB852_367:
	s_wait_alu 0xfffe
	s_and_not1_saveexec_b32 s2, s2
	s_cbranch_execz .LBB852_369
; %bb.368:
	v_lshlrev_b32_e32 v3, 2, v0
	v_readfirstlane_b32 s4, v7
	v_readfirstlane_b32 s5, v8
	ds_load_b32 v9, v3 offset:12288
	s_wait_dscnt 0x0
	global_store_b32 v3, v9, s[4:5] offset:12288
.LBB852_369:
	s_wait_alu 0xfffe
	s_or_b32 exec_lo, exec_lo, s2
                                        ; implicit-def: $vgpr9_vgpr10
.LBB852_370:
	s_wait_alu 0xfffe
	s_and_not1_saveexec_b32 s1, s1
	s_cbranch_execz .LBB852_372
; %bb.371:
	v_lshlrev_b32_e32 v3, 2, v0
	v_readfirstlane_b32 s2, v9
	v_readfirstlane_b32 s3, v10
	ds_load_b32 v7, v3 offset:12288
	s_wait_dscnt 0x0
	global_store_b32 v3, v7, s[2:3] offset:12288
.LBB852_372:
	s_wait_alu 0xfffe
	s_or_b32 exec_lo, exec_lo, s0
	v_cmp_eq_u32_e32 vcc_lo, 0, v0
	s_and_b32 s0, vcc_lo, s15
	s_wait_alu 0xfffe
	s_and_saveexec_b32 s1, s0
	s_cbranch_execz .LBB852_149
.LBB852_373:
	v_add_co_u32 v0, s0, s30, v2
	s_wait_alu 0xf1ff
	v_add_co_ci_u32_e64 v3, null, s31, 0, s0
	v_mov_b32_e32 v7, 0
	s_delay_alu instid0(VALU_DEP_3) | instskip(SKIP_1) | instid1(VALU_DEP_3)
	v_add_co_u32 v2, vcc_lo, v0, v4
	s_wait_alu 0xfffd
	v_add_co_ci_u32_e64 v3, null, 0, v3, vcc_lo
	v_add_co_u32 v0, vcc_lo, v5, v1
	s_wait_alu 0xfffd
	v_add_co_ci_u32_e64 v1, null, 0, v6, vcc_lo
	global_store_b128 v7, v[0:3], s[24:25]
	s_endpgm
.LBB852_374:
	s_add_co_i32 s8, ttmp9, 32
	s_mov_b32 s9, 0
	v_dual_mov_b32 v7, 2 :: v_dual_add_nc_u32 v6, v4, v2
	s_wait_alu 0xfffe
	s_lshl_b64 s[8:9], s[8:9], 4
	v_dual_mov_b32 v8, 0 :: v_dual_add_nc_u32 v5, v3, v1
	s_wait_alu 0xfffe
	s_add_nc_u64 s[8:9], s[4:5], s[8:9]
	s_wait_alu 0xfffe
	v_dual_mov_b32 v24, s9 :: v_dual_mov_b32 v23, s8
	;;#ASMSTART
	global_store_b128 v[23:24], v[5:8] off scope:SCOPE_DEV	
s_wait_storecnt 0x0
	;;#ASMEND
	s_or_b32 exec_lo, exec_lo, s6
	s_and_saveexec_b32 s6, s2
	s_cbranch_execz .LBB852_134
.LBB852_375:
	v_mov_b32_e32 v5, 0
	ds_store_b128 v5, v[1:4] offset:13312
	s_wait_alu 0xfffe
	s_or_b32 exec_lo, exec_lo, s6
	v_cmp_eq_u32_e32 vcc_lo, 0, v0
	s_and_b32 exec_lo, exec_lo, vcc_lo
	s_cbranch_execnz .LBB852_135
	s_branch .LBB852_136
	.section	.rodata,"a",@progbits
	.p2align	6, 0x0
	.amdhsa_kernel _ZN7rocprim17ROCPRIM_400000_NS6detail17trampoline_kernelINS0_13select_configILj256ELj13ELNS0_17block_load_methodE3ELS4_3ELS4_3ELNS0_20block_scan_algorithmE0ELj4294967295EEENS1_25partition_config_selectorILNS1_17partition_subalgoE4EjNS0_10empty_typeEbEEZZNS1_14partition_implILS8_4ELb0ES6_15HIP_vector_typeIjLj2EENS0_17counting_iteratorIjlEEPS9_SG_NS0_5tupleIJPjSI_NS0_16reverse_iteratorISI_EEEEENSH_IJSG_SG_SG_EEES9_SI_JZNS1_25segmented_radix_sort_implINS0_14default_configELb1EPKsPsPKlPlN2at6native12_GLOBAL__N_18offset_tEEE10hipError_tPvRmT1_PNSt15iterator_traitsIS12_E10value_typeET2_T3_PNS13_IS18_E10value_typeET4_jRbjT5_S1E_jjP12ihipStream_tbEUljE_ZNSN_ISO_Lb1ESQ_SR_ST_SU_SY_EESZ_S10_S11_S12_S16_S17_S18_S1B_S1C_jS1D_jS1E_S1E_jjS1G_bEUljE0_EEESZ_S10_S11_S18_S1C_S1E_T6_T7_T9_mT8_S1G_bDpT10_ENKUlT_T0_E_clISt17integral_constantIbLb0EES1U_EEDaS1P_S1Q_EUlS1P_E_NS1_11comp_targetILNS1_3genE10ELNS1_11target_archE1200ELNS1_3gpuE4ELNS1_3repE0EEENS1_30default_config_static_selectorELNS0_4arch9wavefront6targetE0EEEvS12_
		.amdhsa_group_segment_fixed_size 13328
		.amdhsa_private_segment_fixed_size 0
		.amdhsa_kernarg_size 176
		.amdhsa_user_sgpr_count 2
		.amdhsa_user_sgpr_dispatch_ptr 0
		.amdhsa_user_sgpr_queue_ptr 0
		.amdhsa_user_sgpr_kernarg_segment_ptr 1
		.amdhsa_user_sgpr_dispatch_id 0
		.amdhsa_user_sgpr_private_segment_size 0
		.amdhsa_wavefront_size32 1
		.amdhsa_uses_dynamic_stack 0
		.amdhsa_enable_private_segment 0
		.amdhsa_system_sgpr_workgroup_id_x 1
		.amdhsa_system_sgpr_workgroup_id_y 0
		.amdhsa_system_sgpr_workgroup_id_z 0
		.amdhsa_system_sgpr_workgroup_info 0
		.amdhsa_system_vgpr_workitem_id 0
		.amdhsa_next_free_vgpr 93
		.amdhsa_next_free_sgpr 58
		.amdhsa_reserve_vcc 1
		.amdhsa_float_round_mode_32 0
		.amdhsa_float_round_mode_16_64 0
		.amdhsa_float_denorm_mode_32 3
		.amdhsa_float_denorm_mode_16_64 3
		.amdhsa_fp16_overflow 0
		.amdhsa_workgroup_processor_mode 1
		.amdhsa_memory_ordered 1
		.amdhsa_forward_progress 1
		.amdhsa_inst_pref_size 148
		.amdhsa_round_robin_scheduling 0
		.amdhsa_exception_fp_ieee_invalid_op 0
		.amdhsa_exception_fp_denorm_src 0
		.amdhsa_exception_fp_ieee_div_zero 0
		.amdhsa_exception_fp_ieee_overflow 0
		.amdhsa_exception_fp_ieee_underflow 0
		.amdhsa_exception_fp_ieee_inexact 0
		.amdhsa_exception_int_div_zero 0
	.end_amdhsa_kernel
	.section	.text._ZN7rocprim17ROCPRIM_400000_NS6detail17trampoline_kernelINS0_13select_configILj256ELj13ELNS0_17block_load_methodE3ELS4_3ELS4_3ELNS0_20block_scan_algorithmE0ELj4294967295EEENS1_25partition_config_selectorILNS1_17partition_subalgoE4EjNS0_10empty_typeEbEEZZNS1_14partition_implILS8_4ELb0ES6_15HIP_vector_typeIjLj2EENS0_17counting_iteratorIjlEEPS9_SG_NS0_5tupleIJPjSI_NS0_16reverse_iteratorISI_EEEEENSH_IJSG_SG_SG_EEES9_SI_JZNS1_25segmented_radix_sort_implINS0_14default_configELb1EPKsPsPKlPlN2at6native12_GLOBAL__N_18offset_tEEE10hipError_tPvRmT1_PNSt15iterator_traitsIS12_E10value_typeET2_T3_PNS13_IS18_E10value_typeET4_jRbjT5_S1E_jjP12ihipStream_tbEUljE_ZNSN_ISO_Lb1ESQ_SR_ST_SU_SY_EESZ_S10_S11_S12_S16_S17_S18_S1B_S1C_jS1D_jS1E_S1E_jjS1G_bEUljE0_EEESZ_S10_S11_S18_S1C_S1E_T6_T7_T9_mT8_S1G_bDpT10_ENKUlT_T0_E_clISt17integral_constantIbLb0EES1U_EEDaS1P_S1Q_EUlS1P_E_NS1_11comp_targetILNS1_3genE10ELNS1_11target_archE1200ELNS1_3gpuE4ELNS1_3repE0EEENS1_30default_config_static_selectorELNS0_4arch9wavefront6targetE0EEEvS12_,"axG",@progbits,_ZN7rocprim17ROCPRIM_400000_NS6detail17trampoline_kernelINS0_13select_configILj256ELj13ELNS0_17block_load_methodE3ELS4_3ELS4_3ELNS0_20block_scan_algorithmE0ELj4294967295EEENS1_25partition_config_selectorILNS1_17partition_subalgoE4EjNS0_10empty_typeEbEEZZNS1_14partition_implILS8_4ELb0ES6_15HIP_vector_typeIjLj2EENS0_17counting_iteratorIjlEEPS9_SG_NS0_5tupleIJPjSI_NS0_16reverse_iteratorISI_EEEEENSH_IJSG_SG_SG_EEES9_SI_JZNS1_25segmented_radix_sort_implINS0_14default_configELb1EPKsPsPKlPlN2at6native12_GLOBAL__N_18offset_tEEE10hipError_tPvRmT1_PNSt15iterator_traitsIS12_E10value_typeET2_T3_PNS13_IS18_E10value_typeET4_jRbjT5_S1E_jjP12ihipStream_tbEUljE_ZNSN_ISO_Lb1ESQ_SR_ST_SU_SY_EESZ_S10_S11_S12_S16_S17_S18_S1B_S1C_jS1D_jS1E_S1E_jjS1G_bEUljE0_EEESZ_S10_S11_S18_S1C_S1E_T6_T7_T9_mT8_S1G_bDpT10_ENKUlT_T0_E_clISt17integral_constantIbLb0EES1U_EEDaS1P_S1Q_EUlS1P_E_NS1_11comp_targetILNS1_3genE10ELNS1_11target_archE1200ELNS1_3gpuE4ELNS1_3repE0EEENS1_30default_config_static_selectorELNS0_4arch9wavefront6targetE0EEEvS12_,comdat
.Lfunc_end852:
	.size	_ZN7rocprim17ROCPRIM_400000_NS6detail17trampoline_kernelINS0_13select_configILj256ELj13ELNS0_17block_load_methodE3ELS4_3ELS4_3ELNS0_20block_scan_algorithmE0ELj4294967295EEENS1_25partition_config_selectorILNS1_17partition_subalgoE4EjNS0_10empty_typeEbEEZZNS1_14partition_implILS8_4ELb0ES6_15HIP_vector_typeIjLj2EENS0_17counting_iteratorIjlEEPS9_SG_NS0_5tupleIJPjSI_NS0_16reverse_iteratorISI_EEEEENSH_IJSG_SG_SG_EEES9_SI_JZNS1_25segmented_radix_sort_implINS0_14default_configELb1EPKsPsPKlPlN2at6native12_GLOBAL__N_18offset_tEEE10hipError_tPvRmT1_PNSt15iterator_traitsIS12_E10value_typeET2_T3_PNS13_IS18_E10value_typeET4_jRbjT5_S1E_jjP12ihipStream_tbEUljE_ZNSN_ISO_Lb1ESQ_SR_ST_SU_SY_EESZ_S10_S11_S12_S16_S17_S18_S1B_S1C_jS1D_jS1E_S1E_jjS1G_bEUljE0_EEESZ_S10_S11_S18_S1C_S1E_T6_T7_T9_mT8_S1G_bDpT10_ENKUlT_T0_E_clISt17integral_constantIbLb0EES1U_EEDaS1P_S1Q_EUlS1P_E_NS1_11comp_targetILNS1_3genE10ELNS1_11target_archE1200ELNS1_3gpuE4ELNS1_3repE0EEENS1_30default_config_static_selectorELNS0_4arch9wavefront6targetE0EEEvS12_, .Lfunc_end852-_ZN7rocprim17ROCPRIM_400000_NS6detail17trampoline_kernelINS0_13select_configILj256ELj13ELNS0_17block_load_methodE3ELS4_3ELS4_3ELNS0_20block_scan_algorithmE0ELj4294967295EEENS1_25partition_config_selectorILNS1_17partition_subalgoE4EjNS0_10empty_typeEbEEZZNS1_14partition_implILS8_4ELb0ES6_15HIP_vector_typeIjLj2EENS0_17counting_iteratorIjlEEPS9_SG_NS0_5tupleIJPjSI_NS0_16reverse_iteratorISI_EEEEENSH_IJSG_SG_SG_EEES9_SI_JZNS1_25segmented_radix_sort_implINS0_14default_configELb1EPKsPsPKlPlN2at6native12_GLOBAL__N_18offset_tEEE10hipError_tPvRmT1_PNSt15iterator_traitsIS12_E10value_typeET2_T3_PNS13_IS18_E10value_typeET4_jRbjT5_S1E_jjP12ihipStream_tbEUljE_ZNSN_ISO_Lb1ESQ_SR_ST_SU_SY_EESZ_S10_S11_S12_S16_S17_S18_S1B_S1C_jS1D_jS1E_S1E_jjS1G_bEUljE0_EEESZ_S10_S11_S18_S1C_S1E_T6_T7_T9_mT8_S1G_bDpT10_ENKUlT_T0_E_clISt17integral_constantIbLb0EES1U_EEDaS1P_S1Q_EUlS1P_E_NS1_11comp_targetILNS1_3genE10ELNS1_11target_archE1200ELNS1_3gpuE4ELNS1_3repE0EEENS1_30default_config_static_selectorELNS0_4arch9wavefront6targetE0EEEvS12_
                                        ; -- End function
	.set _ZN7rocprim17ROCPRIM_400000_NS6detail17trampoline_kernelINS0_13select_configILj256ELj13ELNS0_17block_load_methodE3ELS4_3ELS4_3ELNS0_20block_scan_algorithmE0ELj4294967295EEENS1_25partition_config_selectorILNS1_17partition_subalgoE4EjNS0_10empty_typeEbEEZZNS1_14partition_implILS8_4ELb0ES6_15HIP_vector_typeIjLj2EENS0_17counting_iteratorIjlEEPS9_SG_NS0_5tupleIJPjSI_NS0_16reverse_iteratorISI_EEEEENSH_IJSG_SG_SG_EEES9_SI_JZNS1_25segmented_radix_sort_implINS0_14default_configELb1EPKsPsPKlPlN2at6native12_GLOBAL__N_18offset_tEEE10hipError_tPvRmT1_PNSt15iterator_traitsIS12_E10value_typeET2_T3_PNS13_IS18_E10value_typeET4_jRbjT5_S1E_jjP12ihipStream_tbEUljE_ZNSN_ISO_Lb1ESQ_SR_ST_SU_SY_EESZ_S10_S11_S12_S16_S17_S18_S1B_S1C_jS1D_jS1E_S1E_jjS1G_bEUljE0_EEESZ_S10_S11_S18_S1C_S1E_T6_T7_T9_mT8_S1G_bDpT10_ENKUlT_T0_E_clISt17integral_constantIbLb0EES1U_EEDaS1P_S1Q_EUlS1P_E_NS1_11comp_targetILNS1_3genE10ELNS1_11target_archE1200ELNS1_3gpuE4ELNS1_3repE0EEENS1_30default_config_static_selectorELNS0_4arch9wavefront6targetE0EEEvS12_.num_vgpr, 93
	.set _ZN7rocprim17ROCPRIM_400000_NS6detail17trampoline_kernelINS0_13select_configILj256ELj13ELNS0_17block_load_methodE3ELS4_3ELS4_3ELNS0_20block_scan_algorithmE0ELj4294967295EEENS1_25partition_config_selectorILNS1_17partition_subalgoE4EjNS0_10empty_typeEbEEZZNS1_14partition_implILS8_4ELb0ES6_15HIP_vector_typeIjLj2EENS0_17counting_iteratorIjlEEPS9_SG_NS0_5tupleIJPjSI_NS0_16reverse_iteratorISI_EEEEENSH_IJSG_SG_SG_EEES9_SI_JZNS1_25segmented_radix_sort_implINS0_14default_configELb1EPKsPsPKlPlN2at6native12_GLOBAL__N_18offset_tEEE10hipError_tPvRmT1_PNSt15iterator_traitsIS12_E10value_typeET2_T3_PNS13_IS18_E10value_typeET4_jRbjT5_S1E_jjP12ihipStream_tbEUljE_ZNSN_ISO_Lb1ESQ_SR_ST_SU_SY_EESZ_S10_S11_S12_S16_S17_S18_S1B_S1C_jS1D_jS1E_S1E_jjS1G_bEUljE0_EEESZ_S10_S11_S18_S1C_S1E_T6_T7_T9_mT8_S1G_bDpT10_ENKUlT_T0_E_clISt17integral_constantIbLb0EES1U_EEDaS1P_S1Q_EUlS1P_E_NS1_11comp_targetILNS1_3genE10ELNS1_11target_archE1200ELNS1_3gpuE4ELNS1_3repE0EEENS1_30default_config_static_selectorELNS0_4arch9wavefront6targetE0EEEvS12_.num_agpr, 0
	.set _ZN7rocprim17ROCPRIM_400000_NS6detail17trampoline_kernelINS0_13select_configILj256ELj13ELNS0_17block_load_methodE3ELS4_3ELS4_3ELNS0_20block_scan_algorithmE0ELj4294967295EEENS1_25partition_config_selectorILNS1_17partition_subalgoE4EjNS0_10empty_typeEbEEZZNS1_14partition_implILS8_4ELb0ES6_15HIP_vector_typeIjLj2EENS0_17counting_iteratorIjlEEPS9_SG_NS0_5tupleIJPjSI_NS0_16reverse_iteratorISI_EEEEENSH_IJSG_SG_SG_EEES9_SI_JZNS1_25segmented_radix_sort_implINS0_14default_configELb1EPKsPsPKlPlN2at6native12_GLOBAL__N_18offset_tEEE10hipError_tPvRmT1_PNSt15iterator_traitsIS12_E10value_typeET2_T3_PNS13_IS18_E10value_typeET4_jRbjT5_S1E_jjP12ihipStream_tbEUljE_ZNSN_ISO_Lb1ESQ_SR_ST_SU_SY_EESZ_S10_S11_S12_S16_S17_S18_S1B_S1C_jS1D_jS1E_S1E_jjS1G_bEUljE0_EEESZ_S10_S11_S18_S1C_S1E_T6_T7_T9_mT8_S1G_bDpT10_ENKUlT_T0_E_clISt17integral_constantIbLb0EES1U_EEDaS1P_S1Q_EUlS1P_E_NS1_11comp_targetILNS1_3genE10ELNS1_11target_archE1200ELNS1_3gpuE4ELNS1_3repE0EEENS1_30default_config_static_selectorELNS0_4arch9wavefront6targetE0EEEvS12_.numbered_sgpr, 58
	.set _ZN7rocprim17ROCPRIM_400000_NS6detail17trampoline_kernelINS0_13select_configILj256ELj13ELNS0_17block_load_methodE3ELS4_3ELS4_3ELNS0_20block_scan_algorithmE0ELj4294967295EEENS1_25partition_config_selectorILNS1_17partition_subalgoE4EjNS0_10empty_typeEbEEZZNS1_14partition_implILS8_4ELb0ES6_15HIP_vector_typeIjLj2EENS0_17counting_iteratorIjlEEPS9_SG_NS0_5tupleIJPjSI_NS0_16reverse_iteratorISI_EEEEENSH_IJSG_SG_SG_EEES9_SI_JZNS1_25segmented_radix_sort_implINS0_14default_configELb1EPKsPsPKlPlN2at6native12_GLOBAL__N_18offset_tEEE10hipError_tPvRmT1_PNSt15iterator_traitsIS12_E10value_typeET2_T3_PNS13_IS18_E10value_typeET4_jRbjT5_S1E_jjP12ihipStream_tbEUljE_ZNSN_ISO_Lb1ESQ_SR_ST_SU_SY_EESZ_S10_S11_S12_S16_S17_S18_S1B_S1C_jS1D_jS1E_S1E_jjS1G_bEUljE0_EEESZ_S10_S11_S18_S1C_S1E_T6_T7_T9_mT8_S1G_bDpT10_ENKUlT_T0_E_clISt17integral_constantIbLb0EES1U_EEDaS1P_S1Q_EUlS1P_E_NS1_11comp_targetILNS1_3genE10ELNS1_11target_archE1200ELNS1_3gpuE4ELNS1_3repE0EEENS1_30default_config_static_selectorELNS0_4arch9wavefront6targetE0EEEvS12_.num_named_barrier, 0
	.set _ZN7rocprim17ROCPRIM_400000_NS6detail17trampoline_kernelINS0_13select_configILj256ELj13ELNS0_17block_load_methodE3ELS4_3ELS4_3ELNS0_20block_scan_algorithmE0ELj4294967295EEENS1_25partition_config_selectorILNS1_17partition_subalgoE4EjNS0_10empty_typeEbEEZZNS1_14partition_implILS8_4ELb0ES6_15HIP_vector_typeIjLj2EENS0_17counting_iteratorIjlEEPS9_SG_NS0_5tupleIJPjSI_NS0_16reverse_iteratorISI_EEEEENSH_IJSG_SG_SG_EEES9_SI_JZNS1_25segmented_radix_sort_implINS0_14default_configELb1EPKsPsPKlPlN2at6native12_GLOBAL__N_18offset_tEEE10hipError_tPvRmT1_PNSt15iterator_traitsIS12_E10value_typeET2_T3_PNS13_IS18_E10value_typeET4_jRbjT5_S1E_jjP12ihipStream_tbEUljE_ZNSN_ISO_Lb1ESQ_SR_ST_SU_SY_EESZ_S10_S11_S12_S16_S17_S18_S1B_S1C_jS1D_jS1E_S1E_jjS1G_bEUljE0_EEESZ_S10_S11_S18_S1C_S1E_T6_T7_T9_mT8_S1G_bDpT10_ENKUlT_T0_E_clISt17integral_constantIbLb0EES1U_EEDaS1P_S1Q_EUlS1P_E_NS1_11comp_targetILNS1_3genE10ELNS1_11target_archE1200ELNS1_3gpuE4ELNS1_3repE0EEENS1_30default_config_static_selectorELNS0_4arch9wavefront6targetE0EEEvS12_.private_seg_size, 0
	.set _ZN7rocprim17ROCPRIM_400000_NS6detail17trampoline_kernelINS0_13select_configILj256ELj13ELNS0_17block_load_methodE3ELS4_3ELS4_3ELNS0_20block_scan_algorithmE0ELj4294967295EEENS1_25partition_config_selectorILNS1_17partition_subalgoE4EjNS0_10empty_typeEbEEZZNS1_14partition_implILS8_4ELb0ES6_15HIP_vector_typeIjLj2EENS0_17counting_iteratorIjlEEPS9_SG_NS0_5tupleIJPjSI_NS0_16reverse_iteratorISI_EEEEENSH_IJSG_SG_SG_EEES9_SI_JZNS1_25segmented_radix_sort_implINS0_14default_configELb1EPKsPsPKlPlN2at6native12_GLOBAL__N_18offset_tEEE10hipError_tPvRmT1_PNSt15iterator_traitsIS12_E10value_typeET2_T3_PNS13_IS18_E10value_typeET4_jRbjT5_S1E_jjP12ihipStream_tbEUljE_ZNSN_ISO_Lb1ESQ_SR_ST_SU_SY_EESZ_S10_S11_S12_S16_S17_S18_S1B_S1C_jS1D_jS1E_S1E_jjS1G_bEUljE0_EEESZ_S10_S11_S18_S1C_S1E_T6_T7_T9_mT8_S1G_bDpT10_ENKUlT_T0_E_clISt17integral_constantIbLb0EES1U_EEDaS1P_S1Q_EUlS1P_E_NS1_11comp_targetILNS1_3genE10ELNS1_11target_archE1200ELNS1_3gpuE4ELNS1_3repE0EEENS1_30default_config_static_selectorELNS0_4arch9wavefront6targetE0EEEvS12_.uses_vcc, 1
	.set _ZN7rocprim17ROCPRIM_400000_NS6detail17trampoline_kernelINS0_13select_configILj256ELj13ELNS0_17block_load_methodE3ELS4_3ELS4_3ELNS0_20block_scan_algorithmE0ELj4294967295EEENS1_25partition_config_selectorILNS1_17partition_subalgoE4EjNS0_10empty_typeEbEEZZNS1_14partition_implILS8_4ELb0ES6_15HIP_vector_typeIjLj2EENS0_17counting_iteratorIjlEEPS9_SG_NS0_5tupleIJPjSI_NS0_16reverse_iteratorISI_EEEEENSH_IJSG_SG_SG_EEES9_SI_JZNS1_25segmented_radix_sort_implINS0_14default_configELb1EPKsPsPKlPlN2at6native12_GLOBAL__N_18offset_tEEE10hipError_tPvRmT1_PNSt15iterator_traitsIS12_E10value_typeET2_T3_PNS13_IS18_E10value_typeET4_jRbjT5_S1E_jjP12ihipStream_tbEUljE_ZNSN_ISO_Lb1ESQ_SR_ST_SU_SY_EESZ_S10_S11_S12_S16_S17_S18_S1B_S1C_jS1D_jS1E_S1E_jjS1G_bEUljE0_EEESZ_S10_S11_S18_S1C_S1E_T6_T7_T9_mT8_S1G_bDpT10_ENKUlT_T0_E_clISt17integral_constantIbLb0EES1U_EEDaS1P_S1Q_EUlS1P_E_NS1_11comp_targetILNS1_3genE10ELNS1_11target_archE1200ELNS1_3gpuE4ELNS1_3repE0EEENS1_30default_config_static_selectorELNS0_4arch9wavefront6targetE0EEEvS12_.uses_flat_scratch, 0
	.set _ZN7rocprim17ROCPRIM_400000_NS6detail17trampoline_kernelINS0_13select_configILj256ELj13ELNS0_17block_load_methodE3ELS4_3ELS4_3ELNS0_20block_scan_algorithmE0ELj4294967295EEENS1_25partition_config_selectorILNS1_17partition_subalgoE4EjNS0_10empty_typeEbEEZZNS1_14partition_implILS8_4ELb0ES6_15HIP_vector_typeIjLj2EENS0_17counting_iteratorIjlEEPS9_SG_NS0_5tupleIJPjSI_NS0_16reverse_iteratorISI_EEEEENSH_IJSG_SG_SG_EEES9_SI_JZNS1_25segmented_radix_sort_implINS0_14default_configELb1EPKsPsPKlPlN2at6native12_GLOBAL__N_18offset_tEEE10hipError_tPvRmT1_PNSt15iterator_traitsIS12_E10value_typeET2_T3_PNS13_IS18_E10value_typeET4_jRbjT5_S1E_jjP12ihipStream_tbEUljE_ZNSN_ISO_Lb1ESQ_SR_ST_SU_SY_EESZ_S10_S11_S12_S16_S17_S18_S1B_S1C_jS1D_jS1E_S1E_jjS1G_bEUljE0_EEESZ_S10_S11_S18_S1C_S1E_T6_T7_T9_mT8_S1G_bDpT10_ENKUlT_T0_E_clISt17integral_constantIbLb0EES1U_EEDaS1P_S1Q_EUlS1P_E_NS1_11comp_targetILNS1_3genE10ELNS1_11target_archE1200ELNS1_3gpuE4ELNS1_3repE0EEENS1_30default_config_static_selectorELNS0_4arch9wavefront6targetE0EEEvS12_.has_dyn_sized_stack, 0
	.set _ZN7rocprim17ROCPRIM_400000_NS6detail17trampoline_kernelINS0_13select_configILj256ELj13ELNS0_17block_load_methodE3ELS4_3ELS4_3ELNS0_20block_scan_algorithmE0ELj4294967295EEENS1_25partition_config_selectorILNS1_17partition_subalgoE4EjNS0_10empty_typeEbEEZZNS1_14partition_implILS8_4ELb0ES6_15HIP_vector_typeIjLj2EENS0_17counting_iteratorIjlEEPS9_SG_NS0_5tupleIJPjSI_NS0_16reverse_iteratorISI_EEEEENSH_IJSG_SG_SG_EEES9_SI_JZNS1_25segmented_radix_sort_implINS0_14default_configELb1EPKsPsPKlPlN2at6native12_GLOBAL__N_18offset_tEEE10hipError_tPvRmT1_PNSt15iterator_traitsIS12_E10value_typeET2_T3_PNS13_IS18_E10value_typeET4_jRbjT5_S1E_jjP12ihipStream_tbEUljE_ZNSN_ISO_Lb1ESQ_SR_ST_SU_SY_EESZ_S10_S11_S12_S16_S17_S18_S1B_S1C_jS1D_jS1E_S1E_jjS1G_bEUljE0_EEESZ_S10_S11_S18_S1C_S1E_T6_T7_T9_mT8_S1G_bDpT10_ENKUlT_T0_E_clISt17integral_constantIbLb0EES1U_EEDaS1P_S1Q_EUlS1P_E_NS1_11comp_targetILNS1_3genE10ELNS1_11target_archE1200ELNS1_3gpuE4ELNS1_3repE0EEENS1_30default_config_static_selectorELNS0_4arch9wavefront6targetE0EEEvS12_.has_recursion, 0
	.set _ZN7rocprim17ROCPRIM_400000_NS6detail17trampoline_kernelINS0_13select_configILj256ELj13ELNS0_17block_load_methodE3ELS4_3ELS4_3ELNS0_20block_scan_algorithmE0ELj4294967295EEENS1_25partition_config_selectorILNS1_17partition_subalgoE4EjNS0_10empty_typeEbEEZZNS1_14partition_implILS8_4ELb0ES6_15HIP_vector_typeIjLj2EENS0_17counting_iteratorIjlEEPS9_SG_NS0_5tupleIJPjSI_NS0_16reverse_iteratorISI_EEEEENSH_IJSG_SG_SG_EEES9_SI_JZNS1_25segmented_radix_sort_implINS0_14default_configELb1EPKsPsPKlPlN2at6native12_GLOBAL__N_18offset_tEEE10hipError_tPvRmT1_PNSt15iterator_traitsIS12_E10value_typeET2_T3_PNS13_IS18_E10value_typeET4_jRbjT5_S1E_jjP12ihipStream_tbEUljE_ZNSN_ISO_Lb1ESQ_SR_ST_SU_SY_EESZ_S10_S11_S12_S16_S17_S18_S1B_S1C_jS1D_jS1E_S1E_jjS1G_bEUljE0_EEESZ_S10_S11_S18_S1C_S1E_T6_T7_T9_mT8_S1G_bDpT10_ENKUlT_T0_E_clISt17integral_constantIbLb0EES1U_EEDaS1P_S1Q_EUlS1P_E_NS1_11comp_targetILNS1_3genE10ELNS1_11target_archE1200ELNS1_3gpuE4ELNS1_3repE0EEENS1_30default_config_static_selectorELNS0_4arch9wavefront6targetE0EEEvS12_.has_indirect_call, 0
	.section	.AMDGPU.csdata,"",@progbits
; Kernel info:
; codeLenInByte = 18900
; TotalNumSgprs: 60
; NumVgprs: 93
; ScratchSize: 0
; MemoryBound: 0
; FloatMode: 240
; IeeeMode: 1
; LDSByteSize: 13328 bytes/workgroup (compile time only)
; SGPRBlocks: 0
; VGPRBlocks: 11
; NumSGPRsForWavesPerEU: 60
; NumVGPRsForWavesPerEU: 93
; Occupancy: 16
; WaveLimiterHint : 1
; COMPUTE_PGM_RSRC2:SCRATCH_EN: 0
; COMPUTE_PGM_RSRC2:USER_SGPR: 2
; COMPUTE_PGM_RSRC2:TRAP_HANDLER: 0
; COMPUTE_PGM_RSRC2:TGID_X_EN: 1
; COMPUTE_PGM_RSRC2:TGID_Y_EN: 0
; COMPUTE_PGM_RSRC2:TGID_Z_EN: 0
; COMPUTE_PGM_RSRC2:TIDIG_COMP_CNT: 0
	.section	.text._ZN7rocprim17ROCPRIM_400000_NS6detail17trampoline_kernelINS0_13select_configILj256ELj13ELNS0_17block_load_methodE3ELS4_3ELS4_3ELNS0_20block_scan_algorithmE0ELj4294967295EEENS1_25partition_config_selectorILNS1_17partition_subalgoE4EjNS0_10empty_typeEbEEZZNS1_14partition_implILS8_4ELb0ES6_15HIP_vector_typeIjLj2EENS0_17counting_iteratorIjlEEPS9_SG_NS0_5tupleIJPjSI_NS0_16reverse_iteratorISI_EEEEENSH_IJSG_SG_SG_EEES9_SI_JZNS1_25segmented_radix_sort_implINS0_14default_configELb1EPKsPsPKlPlN2at6native12_GLOBAL__N_18offset_tEEE10hipError_tPvRmT1_PNSt15iterator_traitsIS12_E10value_typeET2_T3_PNS13_IS18_E10value_typeET4_jRbjT5_S1E_jjP12ihipStream_tbEUljE_ZNSN_ISO_Lb1ESQ_SR_ST_SU_SY_EESZ_S10_S11_S12_S16_S17_S18_S1B_S1C_jS1D_jS1E_S1E_jjS1G_bEUljE0_EEESZ_S10_S11_S18_S1C_S1E_T6_T7_T9_mT8_S1G_bDpT10_ENKUlT_T0_E_clISt17integral_constantIbLb0EES1U_EEDaS1P_S1Q_EUlS1P_E_NS1_11comp_targetILNS1_3genE9ELNS1_11target_archE1100ELNS1_3gpuE3ELNS1_3repE0EEENS1_30default_config_static_selectorELNS0_4arch9wavefront6targetE0EEEvS12_,"axG",@progbits,_ZN7rocprim17ROCPRIM_400000_NS6detail17trampoline_kernelINS0_13select_configILj256ELj13ELNS0_17block_load_methodE3ELS4_3ELS4_3ELNS0_20block_scan_algorithmE0ELj4294967295EEENS1_25partition_config_selectorILNS1_17partition_subalgoE4EjNS0_10empty_typeEbEEZZNS1_14partition_implILS8_4ELb0ES6_15HIP_vector_typeIjLj2EENS0_17counting_iteratorIjlEEPS9_SG_NS0_5tupleIJPjSI_NS0_16reverse_iteratorISI_EEEEENSH_IJSG_SG_SG_EEES9_SI_JZNS1_25segmented_radix_sort_implINS0_14default_configELb1EPKsPsPKlPlN2at6native12_GLOBAL__N_18offset_tEEE10hipError_tPvRmT1_PNSt15iterator_traitsIS12_E10value_typeET2_T3_PNS13_IS18_E10value_typeET4_jRbjT5_S1E_jjP12ihipStream_tbEUljE_ZNSN_ISO_Lb1ESQ_SR_ST_SU_SY_EESZ_S10_S11_S12_S16_S17_S18_S1B_S1C_jS1D_jS1E_S1E_jjS1G_bEUljE0_EEESZ_S10_S11_S18_S1C_S1E_T6_T7_T9_mT8_S1G_bDpT10_ENKUlT_T0_E_clISt17integral_constantIbLb0EES1U_EEDaS1P_S1Q_EUlS1P_E_NS1_11comp_targetILNS1_3genE9ELNS1_11target_archE1100ELNS1_3gpuE3ELNS1_3repE0EEENS1_30default_config_static_selectorELNS0_4arch9wavefront6targetE0EEEvS12_,comdat
	.globl	_ZN7rocprim17ROCPRIM_400000_NS6detail17trampoline_kernelINS0_13select_configILj256ELj13ELNS0_17block_load_methodE3ELS4_3ELS4_3ELNS0_20block_scan_algorithmE0ELj4294967295EEENS1_25partition_config_selectorILNS1_17partition_subalgoE4EjNS0_10empty_typeEbEEZZNS1_14partition_implILS8_4ELb0ES6_15HIP_vector_typeIjLj2EENS0_17counting_iteratorIjlEEPS9_SG_NS0_5tupleIJPjSI_NS0_16reverse_iteratorISI_EEEEENSH_IJSG_SG_SG_EEES9_SI_JZNS1_25segmented_radix_sort_implINS0_14default_configELb1EPKsPsPKlPlN2at6native12_GLOBAL__N_18offset_tEEE10hipError_tPvRmT1_PNSt15iterator_traitsIS12_E10value_typeET2_T3_PNS13_IS18_E10value_typeET4_jRbjT5_S1E_jjP12ihipStream_tbEUljE_ZNSN_ISO_Lb1ESQ_SR_ST_SU_SY_EESZ_S10_S11_S12_S16_S17_S18_S1B_S1C_jS1D_jS1E_S1E_jjS1G_bEUljE0_EEESZ_S10_S11_S18_S1C_S1E_T6_T7_T9_mT8_S1G_bDpT10_ENKUlT_T0_E_clISt17integral_constantIbLb0EES1U_EEDaS1P_S1Q_EUlS1P_E_NS1_11comp_targetILNS1_3genE9ELNS1_11target_archE1100ELNS1_3gpuE3ELNS1_3repE0EEENS1_30default_config_static_selectorELNS0_4arch9wavefront6targetE0EEEvS12_ ; -- Begin function _ZN7rocprim17ROCPRIM_400000_NS6detail17trampoline_kernelINS0_13select_configILj256ELj13ELNS0_17block_load_methodE3ELS4_3ELS4_3ELNS0_20block_scan_algorithmE0ELj4294967295EEENS1_25partition_config_selectorILNS1_17partition_subalgoE4EjNS0_10empty_typeEbEEZZNS1_14partition_implILS8_4ELb0ES6_15HIP_vector_typeIjLj2EENS0_17counting_iteratorIjlEEPS9_SG_NS0_5tupleIJPjSI_NS0_16reverse_iteratorISI_EEEEENSH_IJSG_SG_SG_EEES9_SI_JZNS1_25segmented_radix_sort_implINS0_14default_configELb1EPKsPsPKlPlN2at6native12_GLOBAL__N_18offset_tEEE10hipError_tPvRmT1_PNSt15iterator_traitsIS12_E10value_typeET2_T3_PNS13_IS18_E10value_typeET4_jRbjT5_S1E_jjP12ihipStream_tbEUljE_ZNSN_ISO_Lb1ESQ_SR_ST_SU_SY_EESZ_S10_S11_S12_S16_S17_S18_S1B_S1C_jS1D_jS1E_S1E_jjS1G_bEUljE0_EEESZ_S10_S11_S18_S1C_S1E_T6_T7_T9_mT8_S1G_bDpT10_ENKUlT_T0_E_clISt17integral_constantIbLb0EES1U_EEDaS1P_S1Q_EUlS1P_E_NS1_11comp_targetILNS1_3genE9ELNS1_11target_archE1100ELNS1_3gpuE3ELNS1_3repE0EEENS1_30default_config_static_selectorELNS0_4arch9wavefront6targetE0EEEvS12_
	.p2align	8
	.type	_ZN7rocprim17ROCPRIM_400000_NS6detail17trampoline_kernelINS0_13select_configILj256ELj13ELNS0_17block_load_methodE3ELS4_3ELS4_3ELNS0_20block_scan_algorithmE0ELj4294967295EEENS1_25partition_config_selectorILNS1_17partition_subalgoE4EjNS0_10empty_typeEbEEZZNS1_14partition_implILS8_4ELb0ES6_15HIP_vector_typeIjLj2EENS0_17counting_iteratorIjlEEPS9_SG_NS0_5tupleIJPjSI_NS0_16reverse_iteratorISI_EEEEENSH_IJSG_SG_SG_EEES9_SI_JZNS1_25segmented_radix_sort_implINS0_14default_configELb1EPKsPsPKlPlN2at6native12_GLOBAL__N_18offset_tEEE10hipError_tPvRmT1_PNSt15iterator_traitsIS12_E10value_typeET2_T3_PNS13_IS18_E10value_typeET4_jRbjT5_S1E_jjP12ihipStream_tbEUljE_ZNSN_ISO_Lb1ESQ_SR_ST_SU_SY_EESZ_S10_S11_S12_S16_S17_S18_S1B_S1C_jS1D_jS1E_S1E_jjS1G_bEUljE0_EEESZ_S10_S11_S18_S1C_S1E_T6_T7_T9_mT8_S1G_bDpT10_ENKUlT_T0_E_clISt17integral_constantIbLb0EES1U_EEDaS1P_S1Q_EUlS1P_E_NS1_11comp_targetILNS1_3genE9ELNS1_11target_archE1100ELNS1_3gpuE3ELNS1_3repE0EEENS1_30default_config_static_selectorELNS0_4arch9wavefront6targetE0EEEvS12_,@function
_ZN7rocprim17ROCPRIM_400000_NS6detail17trampoline_kernelINS0_13select_configILj256ELj13ELNS0_17block_load_methodE3ELS4_3ELS4_3ELNS0_20block_scan_algorithmE0ELj4294967295EEENS1_25partition_config_selectorILNS1_17partition_subalgoE4EjNS0_10empty_typeEbEEZZNS1_14partition_implILS8_4ELb0ES6_15HIP_vector_typeIjLj2EENS0_17counting_iteratorIjlEEPS9_SG_NS0_5tupleIJPjSI_NS0_16reverse_iteratorISI_EEEEENSH_IJSG_SG_SG_EEES9_SI_JZNS1_25segmented_radix_sort_implINS0_14default_configELb1EPKsPsPKlPlN2at6native12_GLOBAL__N_18offset_tEEE10hipError_tPvRmT1_PNSt15iterator_traitsIS12_E10value_typeET2_T3_PNS13_IS18_E10value_typeET4_jRbjT5_S1E_jjP12ihipStream_tbEUljE_ZNSN_ISO_Lb1ESQ_SR_ST_SU_SY_EESZ_S10_S11_S12_S16_S17_S18_S1B_S1C_jS1D_jS1E_S1E_jjS1G_bEUljE0_EEESZ_S10_S11_S18_S1C_S1E_T6_T7_T9_mT8_S1G_bDpT10_ENKUlT_T0_E_clISt17integral_constantIbLb0EES1U_EEDaS1P_S1Q_EUlS1P_E_NS1_11comp_targetILNS1_3genE9ELNS1_11target_archE1100ELNS1_3gpuE3ELNS1_3repE0EEENS1_30default_config_static_selectorELNS0_4arch9wavefront6targetE0EEEvS12_: ; @_ZN7rocprim17ROCPRIM_400000_NS6detail17trampoline_kernelINS0_13select_configILj256ELj13ELNS0_17block_load_methodE3ELS4_3ELS4_3ELNS0_20block_scan_algorithmE0ELj4294967295EEENS1_25partition_config_selectorILNS1_17partition_subalgoE4EjNS0_10empty_typeEbEEZZNS1_14partition_implILS8_4ELb0ES6_15HIP_vector_typeIjLj2EENS0_17counting_iteratorIjlEEPS9_SG_NS0_5tupleIJPjSI_NS0_16reverse_iteratorISI_EEEEENSH_IJSG_SG_SG_EEES9_SI_JZNS1_25segmented_radix_sort_implINS0_14default_configELb1EPKsPsPKlPlN2at6native12_GLOBAL__N_18offset_tEEE10hipError_tPvRmT1_PNSt15iterator_traitsIS12_E10value_typeET2_T3_PNS13_IS18_E10value_typeET4_jRbjT5_S1E_jjP12ihipStream_tbEUljE_ZNSN_ISO_Lb1ESQ_SR_ST_SU_SY_EESZ_S10_S11_S12_S16_S17_S18_S1B_S1C_jS1D_jS1E_S1E_jjS1G_bEUljE0_EEESZ_S10_S11_S18_S1C_S1E_T6_T7_T9_mT8_S1G_bDpT10_ENKUlT_T0_E_clISt17integral_constantIbLb0EES1U_EEDaS1P_S1Q_EUlS1P_E_NS1_11comp_targetILNS1_3genE9ELNS1_11target_archE1100ELNS1_3gpuE3ELNS1_3repE0EEENS1_30default_config_static_selectorELNS0_4arch9wavefront6targetE0EEEvS12_
; %bb.0:
	.section	.rodata,"a",@progbits
	.p2align	6, 0x0
	.amdhsa_kernel _ZN7rocprim17ROCPRIM_400000_NS6detail17trampoline_kernelINS0_13select_configILj256ELj13ELNS0_17block_load_methodE3ELS4_3ELS4_3ELNS0_20block_scan_algorithmE0ELj4294967295EEENS1_25partition_config_selectorILNS1_17partition_subalgoE4EjNS0_10empty_typeEbEEZZNS1_14partition_implILS8_4ELb0ES6_15HIP_vector_typeIjLj2EENS0_17counting_iteratorIjlEEPS9_SG_NS0_5tupleIJPjSI_NS0_16reverse_iteratorISI_EEEEENSH_IJSG_SG_SG_EEES9_SI_JZNS1_25segmented_radix_sort_implINS0_14default_configELb1EPKsPsPKlPlN2at6native12_GLOBAL__N_18offset_tEEE10hipError_tPvRmT1_PNSt15iterator_traitsIS12_E10value_typeET2_T3_PNS13_IS18_E10value_typeET4_jRbjT5_S1E_jjP12ihipStream_tbEUljE_ZNSN_ISO_Lb1ESQ_SR_ST_SU_SY_EESZ_S10_S11_S12_S16_S17_S18_S1B_S1C_jS1D_jS1E_S1E_jjS1G_bEUljE0_EEESZ_S10_S11_S18_S1C_S1E_T6_T7_T9_mT8_S1G_bDpT10_ENKUlT_T0_E_clISt17integral_constantIbLb0EES1U_EEDaS1P_S1Q_EUlS1P_E_NS1_11comp_targetILNS1_3genE9ELNS1_11target_archE1100ELNS1_3gpuE3ELNS1_3repE0EEENS1_30default_config_static_selectorELNS0_4arch9wavefront6targetE0EEEvS12_
		.amdhsa_group_segment_fixed_size 0
		.amdhsa_private_segment_fixed_size 0
		.amdhsa_kernarg_size 176
		.amdhsa_user_sgpr_count 2
		.amdhsa_user_sgpr_dispatch_ptr 0
		.amdhsa_user_sgpr_queue_ptr 0
		.amdhsa_user_sgpr_kernarg_segment_ptr 1
		.amdhsa_user_sgpr_dispatch_id 0
		.amdhsa_user_sgpr_private_segment_size 0
		.amdhsa_wavefront_size32 1
		.amdhsa_uses_dynamic_stack 0
		.amdhsa_enable_private_segment 0
		.amdhsa_system_sgpr_workgroup_id_x 1
		.amdhsa_system_sgpr_workgroup_id_y 0
		.amdhsa_system_sgpr_workgroup_id_z 0
		.amdhsa_system_sgpr_workgroup_info 0
		.amdhsa_system_vgpr_workitem_id 0
		.amdhsa_next_free_vgpr 1
		.amdhsa_next_free_sgpr 1
		.amdhsa_reserve_vcc 0
		.amdhsa_float_round_mode_32 0
		.amdhsa_float_round_mode_16_64 0
		.amdhsa_float_denorm_mode_32 3
		.amdhsa_float_denorm_mode_16_64 3
		.amdhsa_fp16_overflow 0
		.amdhsa_workgroup_processor_mode 1
		.amdhsa_memory_ordered 1
		.amdhsa_forward_progress 1
		.amdhsa_inst_pref_size 0
		.amdhsa_round_robin_scheduling 0
		.amdhsa_exception_fp_ieee_invalid_op 0
		.amdhsa_exception_fp_denorm_src 0
		.amdhsa_exception_fp_ieee_div_zero 0
		.amdhsa_exception_fp_ieee_overflow 0
		.amdhsa_exception_fp_ieee_underflow 0
		.amdhsa_exception_fp_ieee_inexact 0
		.amdhsa_exception_int_div_zero 0
	.end_amdhsa_kernel
	.section	.text._ZN7rocprim17ROCPRIM_400000_NS6detail17trampoline_kernelINS0_13select_configILj256ELj13ELNS0_17block_load_methodE3ELS4_3ELS4_3ELNS0_20block_scan_algorithmE0ELj4294967295EEENS1_25partition_config_selectorILNS1_17partition_subalgoE4EjNS0_10empty_typeEbEEZZNS1_14partition_implILS8_4ELb0ES6_15HIP_vector_typeIjLj2EENS0_17counting_iteratorIjlEEPS9_SG_NS0_5tupleIJPjSI_NS0_16reverse_iteratorISI_EEEEENSH_IJSG_SG_SG_EEES9_SI_JZNS1_25segmented_radix_sort_implINS0_14default_configELb1EPKsPsPKlPlN2at6native12_GLOBAL__N_18offset_tEEE10hipError_tPvRmT1_PNSt15iterator_traitsIS12_E10value_typeET2_T3_PNS13_IS18_E10value_typeET4_jRbjT5_S1E_jjP12ihipStream_tbEUljE_ZNSN_ISO_Lb1ESQ_SR_ST_SU_SY_EESZ_S10_S11_S12_S16_S17_S18_S1B_S1C_jS1D_jS1E_S1E_jjS1G_bEUljE0_EEESZ_S10_S11_S18_S1C_S1E_T6_T7_T9_mT8_S1G_bDpT10_ENKUlT_T0_E_clISt17integral_constantIbLb0EES1U_EEDaS1P_S1Q_EUlS1P_E_NS1_11comp_targetILNS1_3genE9ELNS1_11target_archE1100ELNS1_3gpuE3ELNS1_3repE0EEENS1_30default_config_static_selectorELNS0_4arch9wavefront6targetE0EEEvS12_,"axG",@progbits,_ZN7rocprim17ROCPRIM_400000_NS6detail17trampoline_kernelINS0_13select_configILj256ELj13ELNS0_17block_load_methodE3ELS4_3ELS4_3ELNS0_20block_scan_algorithmE0ELj4294967295EEENS1_25partition_config_selectorILNS1_17partition_subalgoE4EjNS0_10empty_typeEbEEZZNS1_14partition_implILS8_4ELb0ES6_15HIP_vector_typeIjLj2EENS0_17counting_iteratorIjlEEPS9_SG_NS0_5tupleIJPjSI_NS0_16reverse_iteratorISI_EEEEENSH_IJSG_SG_SG_EEES9_SI_JZNS1_25segmented_radix_sort_implINS0_14default_configELb1EPKsPsPKlPlN2at6native12_GLOBAL__N_18offset_tEEE10hipError_tPvRmT1_PNSt15iterator_traitsIS12_E10value_typeET2_T3_PNS13_IS18_E10value_typeET4_jRbjT5_S1E_jjP12ihipStream_tbEUljE_ZNSN_ISO_Lb1ESQ_SR_ST_SU_SY_EESZ_S10_S11_S12_S16_S17_S18_S1B_S1C_jS1D_jS1E_S1E_jjS1G_bEUljE0_EEESZ_S10_S11_S18_S1C_S1E_T6_T7_T9_mT8_S1G_bDpT10_ENKUlT_T0_E_clISt17integral_constantIbLb0EES1U_EEDaS1P_S1Q_EUlS1P_E_NS1_11comp_targetILNS1_3genE9ELNS1_11target_archE1100ELNS1_3gpuE3ELNS1_3repE0EEENS1_30default_config_static_selectorELNS0_4arch9wavefront6targetE0EEEvS12_,comdat
.Lfunc_end853:
	.size	_ZN7rocprim17ROCPRIM_400000_NS6detail17trampoline_kernelINS0_13select_configILj256ELj13ELNS0_17block_load_methodE3ELS4_3ELS4_3ELNS0_20block_scan_algorithmE0ELj4294967295EEENS1_25partition_config_selectorILNS1_17partition_subalgoE4EjNS0_10empty_typeEbEEZZNS1_14partition_implILS8_4ELb0ES6_15HIP_vector_typeIjLj2EENS0_17counting_iteratorIjlEEPS9_SG_NS0_5tupleIJPjSI_NS0_16reverse_iteratorISI_EEEEENSH_IJSG_SG_SG_EEES9_SI_JZNS1_25segmented_radix_sort_implINS0_14default_configELb1EPKsPsPKlPlN2at6native12_GLOBAL__N_18offset_tEEE10hipError_tPvRmT1_PNSt15iterator_traitsIS12_E10value_typeET2_T3_PNS13_IS18_E10value_typeET4_jRbjT5_S1E_jjP12ihipStream_tbEUljE_ZNSN_ISO_Lb1ESQ_SR_ST_SU_SY_EESZ_S10_S11_S12_S16_S17_S18_S1B_S1C_jS1D_jS1E_S1E_jjS1G_bEUljE0_EEESZ_S10_S11_S18_S1C_S1E_T6_T7_T9_mT8_S1G_bDpT10_ENKUlT_T0_E_clISt17integral_constantIbLb0EES1U_EEDaS1P_S1Q_EUlS1P_E_NS1_11comp_targetILNS1_3genE9ELNS1_11target_archE1100ELNS1_3gpuE3ELNS1_3repE0EEENS1_30default_config_static_selectorELNS0_4arch9wavefront6targetE0EEEvS12_, .Lfunc_end853-_ZN7rocprim17ROCPRIM_400000_NS6detail17trampoline_kernelINS0_13select_configILj256ELj13ELNS0_17block_load_methodE3ELS4_3ELS4_3ELNS0_20block_scan_algorithmE0ELj4294967295EEENS1_25partition_config_selectorILNS1_17partition_subalgoE4EjNS0_10empty_typeEbEEZZNS1_14partition_implILS8_4ELb0ES6_15HIP_vector_typeIjLj2EENS0_17counting_iteratorIjlEEPS9_SG_NS0_5tupleIJPjSI_NS0_16reverse_iteratorISI_EEEEENSH_IJSG_SG_SG_EEES9_SI_JZNS1_25segmented_radix_sort_implINS0_14default_configELb1EPKsPsPKlPlN2at6native12_GLOBAL__N_18offset_tEEE10hipError_tPvRmT1_PNSt15iterator_traitsIS12_E10value_typeET2_T3_PNS13_IS18_E10value_typeET4_jRbjT5_S1E_jjP12ihipStream_tbEUljE_ZNSN_ISO_Lb1ESQ_SR_ST_SU_SY_EESZ_S10_S11_S12_S16_S17_S18_S1B_S1C_jS1D_jS1E_S1E_jjS1G_bEUljE0_EEESZ_S10_S11_S18_S1C_S1E_T6_T7_T9_mT8_S1G_bDpT10_ENKUlT_T0_E_clISt17integral_constantIbLb0EES1U_EEDaS1P_S1Q_EUlS1P_E_NS1_11comp_targetILNS1_3genE9ELNS1_11target_archE1100ELNS1_3gpuE3ELNS1_3repE0EEENS1_30default_config_static_selectorELNS0_4arch9wavefront6targetE0EEEvS12_
                                        ; -- End function
	.set _ZN7rocprim17ROCPRIM_400000_NS6detail17trampoline_kernelINS0_13select_configILj256ELj13ELNS0_17block_load_methodE3ELS4_3ELS4_3ELNS0_20block_scan_algorithmE0ELj4294967295EEENS1_25partition_config_selectorILNS1_17partition_subalgoE4EjNS0_10empty_typeEbEEZZNS1_14partition_implILS8_4ELb0ES6_15HIP_vector_typeIjLj2EENS0_17counting_iteratorIjlEEPS9_SG_NS0_5tupleIJPjSI_NS0_16reverse_iteratorISI_EEEEENSH_IJSG_SG_SG_EEES9_SI_JZNS1_25segmented_radix_sort_implINS0_14default_configELb1EPKsPsPKlPlN2at6native12_GLOBAL__N_18offset_tEEE10hipError_tPvRmT1_PNSt15iterator_traitsIS12_E10value_typeET2_T3_PNS13_IS18_E10value_typeET4_jRbjT5_S1E_jjP12ihipStream_tbEUljE_ZNSN_ISO_Lb1ESQ_SR_ST_SU_SY_EESZ_S10_S11_S12_S16_S17_S18_S1B_S1C_jS1D_jS1E_S1E_jjS1G_bEUljE0_EEESZ_S10_S11_S18_S1C_S1E_T6_T7_T9_mT8_S1G_bDpT10_ENKUlT_T0_E_clISt17integral_constantIbLb0EES1U_EEDaS1P_S1Q_EUlS1P_E_NS1_11comp_targetILNS1_3genE9ELNS1_11target_archE1100ELNS1_3gpuE3ELNS1_3repE0EEENS1_30default_config_static_selectorELNS0_4arch9wavefront6targetE0EEEvS12_.num_vgpr, 0
	.set _ZN7rocprim17ROCPRIM_400000_NS6detail17trampoline_kernelINS0_13select_configILj256ELj13ELNS0_17block_load_methodE3ELS4_3ELS4_3ELNS0_20block_scan_algorithmE0ELj4294967295EEENS1_25partition_config_selectorILNS1_17partition_subalgoE4EjNS0_10empty_typeEbEEZZNS1_14partition_implILS8_4ELb0ES6_15HIP_vector_typeIjLj2EENS0_17counting_iteratorIjlEEPS9_SG_NS0_5tupleIJPjSI_NS0_16reverse_iteratorISI_EEEEENSH_IJSG_SG_SG_EEES9_SI_JZNS1_25segmented_radix_sort_implINS0_14default_configELb1EPKsPsPKlPlN2at6native12_GLOBAL__N_18offset_tEEE10hipError_tPvRmT1_PNSt15iterator_traitsIS12_E10value_typeET2_T3_PNS13_IS18_E10value_typeET4_jRbjT5_S1E_jjP12ihipStream_tbEUljE_ZNSN_ISO_Lb1ESQ_SR_ST_SU_SY_EESZ_S10_S11_S12_S16_S17_S18_S1B_S1C_jS1D_jS1E_S1E_jjS1G_bEUljE0_EEESZ_S10_S11_S18_S1C_S1E_T6_T7_T9_mT8_S1G_bDpT10_ENKUlT_T0_E_clISt17integral_constantIbLb0EES1U_EEDaS1P_S1Q_EUlS1P_E_NS1_11comp_targetILNS1_3genE9ELNS1_11target_archE1100ELNS1_3gpuE3ELNS1_3repE0EEENS1_30default_config_static_selectorELNS0_4arch9wavefront6targetE0EEEvS12_.num_agpr, 0
	.set _ZN7rocprim17ROCPRIM_400000_NS6detail17trampoline_kernelINS0_13select_configILj256ELj13ELNS0_17block_load_methodE3ELS4_3ELS4_3ELNS0_20block_scan_algorithmE0ELj4294967295EEENS1_25partition_config_selectorILNS1_17partition_subalgoE4EjNS0_10empty_typeEbEEZZNS1_14partition_implILS8_4ELb0ES6_15HIP_vector_typeIjLj2EENS0_17counting_iteratorIjlEEPS9_SG_NS0_5tupleIJPjSI_NS0_16reverse_iteratorISI_EEEEENSH_IJSG_SG_SG_EEES9_SI_JZNS1_25segmented_radix_sort_implINS0_14default_configELb1EPKsPsPKlPlN2at6native12_GLOBAL__N_18offset_tEEE10hipError_tPvRmT1_PNSt15iterator_traitsIS12_E10value_typeET2_T3_PNS13_IS18_E10value_typeET4_jRbjT5_S1E_jjP12ihipStream_tbEUljE_ZNSN_ISO_Lb1ESQ_SR_ST_SU_SY_EESZ_S10_S11_S12_S16_S17_S18_S1B_S1C_jS1D_jS1E_S1E_jjS1G_bEUljE0_EEESZ_S10_S11_S18_S1C_S1E_T6_T7_T9_mT8_S1G_bDpT10_ENKUlT_T0_E_clISt17integral_constantIbLb0EES1U_EEDaS1P_S1Q_EUlS1P_E_NS1_11comp_targetILNS1_3genE9ELNS1_11target_archE1100ELNS1_3gpuE3ELNS1_3repE0EEENS1_30default_config_static_selectorELNS0_4arch9wavefront6targetE0EEEvS12_.numbered_sgpr, 0
	.set _ZN7rocprim17ROCPRIM_400000_NS6detail17trampoline_kernelINS0_13select_configILj256ELj13ELNS0_17block_load_methodE3ELS4_3ELS4_3ELNS0_20block_scan_algorithmE0ELj4294967295EEENS1_25partition_config_selectorILNS1_17partition_subalgoE4EjNS0_10empty_typeEbEEZZNS1_14partition_implILS8_4ELb0ES6_15HIP_vector_typeIjLj2EENS0_17counting_iteratorIjlEEPS9_SG_NS0_5tupleIJPjSI_NS0_16reverse_iteratorISI_EEEEENSH_IJSG_SG_SG_EEES9_SI_JZNS1_25segmented_radix_sort_implINS0_14default_configELb1EPKsPsPKlPlN2at6native12_GLOBAL__N_18offset_tEEE10hipError_tPvRmT1_PNSt15iterator_traitsIS12_E10value_typeET2_T3_PNS13_IS18_E10value_typeET4_jRbjT5_S1E_jjP12ihipStream_tbEUljE_ZNSN_ISO_Lb1ESQ_SR_ST_SU_SY_EESZ_S10_S11_S12_S16_S17_S18_S1B_S1C_jS1D_jS1E_S1E_jjS1G_bEUljE0_EEESZ_S10_S11_S18_S1C_S1E_T6_T7_T9_mT8_S1G_bDpT10_ENKUlT_T0_E_clISt17integral_constantIbLb0EES1U_EEDaS1P_S1Q_EUlS1P_E_NS1_11comp_targetILNS1_3genE9ELNS1_11target_archE1100ELNS1_3gpuE3ELNS1_3repE0EEENS1_30default_config_static_selectorELNS0_4arch9wavefront6targetE0EEEvS12_.num_named_barrier, 0
	.set _ZN7rocprim17ROCPRIM_400000_NS6detail17trampoline_kernelINS0_13select_configILj256ELj13ELNS0_17block_load_methodE3ELS4_3ELS4_3ELNS0_20block_scan_algorithmE0ELj4294967295EEENS1_25partition_config_selectorILNS1_17partition_subalgoE4EjNS0_10empty_typeEbEEZZNS1_14partition_implILS8_4ELb0ES6_15HIP_vector_typeIjLj2EENS0_17counting_iteratorIjlEEPS9_SG_NS0_5tupleIJPjSI_NS0_16reverse_iteratorISI_EEEEENSH_IJSG_SG_SG_EEES9_SI_JZNS1_25segmented_radix_sort_implINS0_14default_configELb1EPKsPsPKlPlN2at6native12_GLOBAL__N_18offset_tEEE10hipError_tPvRmT1_PNSt15iterator_traitsIS12_E10value_typeET2_T3_PNS13_IS18_E10value_typeET4_jRbjT5_S1E_jjP12ihipStream_tbEUljE_ZNSN_ISO_Lb1ESQ_SR_ST_SU_SY_EESZ_S10_S11_S12_S16_S17_S18_S1B_S1C_jS1D_jS1E_S1E_jjS1G_bEUljE0_EEESZ_S10_S11_S18_S1C_S1E_T6_T7_T9_mT8_S1G_bDpT10_ENKUlT_T0_E_clISt17integral_constantIbLb0EES1U_EEDaS1P_S1Q_EUlS1P_E_NS1_11comp_targetILNS1_3genE9ELNS1_11target_archE1100ELNS1_3gpuE3ELNS1_3repE0EEENS1_30default_config_static_selectorELNS0_4arch9wavefront6targetE0EEEvS12_.private_seg_size, 0
	.set _ZN7rocprim17ROCPRIM_400000_NS6detail17trampoline_kernelINS0_13select_configILj256ELj13ELNS0_17block_load_methodE3ELS4_3ELS4_3ELNS0_20block_scan_algorithmE0ELj4294967295EEENS1_25partition_config_selectorILNS1_17partition_subalgoE4EjNS0_10empty_typeEbEEZZNS1_14partition_implILS8_4ELb0ES6_15HIP_vector_typeIjLj2EENS0_17counting_iteratorIjlEEPS9_SG_NS0_5tupleIJPjSI_NS0_16reverse_iteratorISI_EEEEENSH_IJSG_SG_SG_EEES9_SI_JZNS1_25segmented_radix_sort_implINS0_14default_configELb1EPKsPsPKlPlN2at6native12_GLOBAL__N_18offset_tEEE10hipError_tPvRmT1_PNSt15iterator_traitsIS12_E10value_typeET2_T3_PNS13_IS18_E10value_typeET4_jRbjT5_S1E_jjP12ihipStream_tbEUljE_ZNSN_ISO_Lb1ESQ_SR_ST_SU_SY_EESZ_S10_S11_S12_S16_S17_S18_S1B_S1C_jS1D_jS1E_S1E_jjS1G_bEUljE0_EEESZ_S10_S11_S18_S1C_S1E_T6_T7_T9_mT8_S1G_bDpT10_ENKUlT_T0_E_clISt17integral_constantIbLb0EES1U_EEDaS1P_S1Q_EUlS1P_E_NS1_11comp_targetILNS1_3genE9ELNS1_11target_archE1100ELNS1_3gpuE3ELNS1_3repE0EEENS1_30default_config_static_selectorELNS0_4arch9wavefront6targetE0EEEvS12_.uses_vcc, 0
	.set _ZN7rocprim17ROCPRIM_400000_NS6detail17trampoline_kernelINS0_13select_configILj256ELj13ELNS0_17block_load_methodE3ELS4_3ELS4_3ELNS0_20block_scan_algorithmE0ELj4294967295EEENS1_25partition_config_selectorILNS1_17partition_subalgoE4EjNS0_10empty_typeEbEEZZNS1_14partition_implILS8_4ELb0ES6_15HIP_vector_typeIjLj2EENS0_17counting_iteratorIjlEEPS9_SG_NS0_5tupleIJPjSI_NS0_16reverse_iteratorISI_EEEEENSH_IJSG_SG_SG_EEES9_SI_JZNS1_25segmented_radix_sort_implINS0_14default_configELb1EPKsPsPKlPlN2at6native12_GLOBAL__N_18offset_tEEE10hipError_tPvRmT1_PNSt15iterator_traitsIS12_E10value_typeET2_T3_PNS13_IS18_E10value_typeET4_jRbjT5_S1E_jjP12ihipStream_tbEUljE_ZNSN_ISO_Lb1ESQ_SR_ST_SU_SY_EESZ_S10_S11_S12_S16_S17_S18_S1B_S1C_jS1D_jS1E_S1E_jjS1G_bEUljE0_EEESZ_S10_S11_S18_S1C_S1E_T6_T7_T9_mT8_S1G_bDpT10_ENKUlT_T0_E_clISt17integral_constantIbLb0EES1U_EEDaS1P_S1Q_EUlS1P_E_NS1_11comp_targetILNS1_3genE9ELNS1_11target_archE1100ELNS1_3gpuE3ELNS1_3repE0EEENS1_30default_config_static_selectorELNS0_4arch9wavefront6targetE0EEEvS12_.uses_flat_scratch, 0
	.set _ZN7rocprim17ROCPRIM_400000_NS6detail17trampoline_kernelINS0_13select_configILj256ELj13ELNS0_17block_load_methodE3ELS4_3ELS4_3ELNS0_20block_scan_algorithmE0ELj4294967295EEENS1_25partition_config_selectorILNS1_17partition_subalgoE4EjNS0_10empty_typeEbEEZZNS1_14partition_implILS8_4ELb0ES6_15HIP_vector_typeIjLj2EENS0_17counting_iteratorIjlEEPS9_SG_NS0_5tupleIJPjSI_NS0_16reverse_iteratorISI_EEEEENSH_IJSG_SG_SG_EEES9_SI_JZNS1_25segmented_radix_sort_implINS0_14default_configELb1EPKsPsPKlPlN2at6native12_GLOBAL__N_18offset_tEEE10hipError_tPvRmT1_PNSt15iterator_traitsIS12_E10value_typeET2_T3_PNS13_IS18_E10value_typeET4_jRbjT5_S1E_jjP12ihipStream_tbEUljE_ZNSN_ISO_Lb1ESQ_SR_ST_SU_SY_EESZ_S10_S11_S12_S16_S17_S18_S1B_S1C_jS1D_jS1E_S1E_jjS1G_bEUljE0_EEESZ_S10_S11_S18_S1C_S1E_T6_T7_T9_mT8_S1G_bDpT10_ENKUlT_T0_E_clISt17integral_constantIbLb0EES1U_EEDaS1P_S1Q_EUlS1P_E_NS1_11comp_targetILNS1_3genE9ELNS1_11target_archE1100ELNS1_3gpuE3ELNS1_3repE0EEENS1_30default_config_static_selectorELNS0_4arch9wavefront6targetE0EEEvS12_.has_dyn_sized_stack, 0
	.set _ZN7rocprim17ROCPRIM_400000_NS6detail17trampoline_kernelINS0_13select_configILj256ELj13ELNS0_17block_load_methodE3ELS4_3ELS4_3ELNS0_20block_scan_algorithmE0ELj4294967295EEENS1_25partition_config_selectorILNS1_17partition_subalgoE4EjNS0_10empty_typeEbEEZZNS1_14partition_implILS8_4ELb0ES6_15HIP_vector_typeIjLj2EENS0_17counting_iteratorIjlEEPS9_SG_NS0_5tupleIJPjSI_NS0_16reverse_iteratorISI_EEEEENSH_IJSG_SG_SG_EEES9_SI_JZNS1_25segmented_radix_sort_implINS0_14default_configELb1EPKsPsPKlPlN2at6native12_GLOBAL__N_18offset_tEEE10hipError_tPvRmT1_PNSt15iterator_traitsIS12_E10value_typeET2_T3_PNS13_IS18_E10value_typeET4_jRbjT5_S1E_jjP12ihipStream_tbEUljE_ZNSN_ISO_Lb1ESQ_SR_ST_SU_SY_EESZ_S10_S11_S12_S16_S17_S18_S1B_S1C_jS1D_jS1E_S1E_jjS1G_bEUljE0_EEESZ_S10_S11_S18_S1C_S1E_T6_T7_T9_mT8_S1G_bDpT10_ENKUlT_T0_E_clISt17integral_constantIbLb0EES1U_EEDaS1P_S1Q_EUlS1P_E_NS1_11comp_targetILNS1_3genE9ELNS1_11target_archE1100ELNS1_3gpuE3ELNS1_3repE0EEENS1_30default_config_static_selectorELNS0_4arch9wavefront6targetE0EEEvS12_.has_recursion, 0
	.set _ZN7rocprim17ROCPRIM_400000_NS6detail17trampoline_kernelINS0_13select_configILj256ELj13ELNS0_17block_load_methodE3ELS4_3ELS4_3ELNS0_20block_scan_algorithmE0ELj4294967295EEENS1_25partition_config_selectorILNS1_17partition_subalgoE4EjNS0_10empty_typeEbEEZZNS1_14partition_implILS8_4ELb0ES6_15HIP_vector_typeIjLj2EENS0_17counting_iteratorIjlEEPS9_SG_NS0_5tupleIJPjSI_NS0_16reverse_iteratorISI_EEEEENSH_IJSG_SG_SG_EEES9_SI_JZNS1_25segmented_radix_sort_implINS0_14default_configELb1EPKsPsPKlPlN2at6native12_GLOBAL__N_18offset_tEEE10hipError_tPvRmT1_PNSt15iterator_traitsIS12_E10value_typeET2_T3_PNS13_IS18_E10value_typeET4_jRbjT5_S1E_jjP12ihipStream_tbEUljE_ZNSN_ISO_Lb1ESQ_SR_ST_SU_SY_EESZ_S10_S11_S12_S16_S17_S18_S1B_S1C_jS1D_jS1E_S1E_jjS1G_bEUljE0_EEESZ_S10_S11_S18_S1C_S1E_T6_T7_T9_mT8_S1G_bDpT10_ENKUlT_T0_E_clISt17integral_constantIbLb0EES1U_EEDaS1P_S1Q_EUlS1P_E_NS1_11comp_targetILNS1_3genE9ELNS1_11target_archE1100ELNS1_3gpuE3ELNS1_3repE0EEENS1_30default_config_static_selectorELNS0_4arch9wavefront6targetE0EEEvS12_.has_indirect_call, 0
	.section	.AMDGPU.csdata,"",@progbits
; Kernel info:
; codeLenInByte = 0
; TotalNumSgprs: 0
; NumVgprs: 0
; ScratchSize: 0
; MemoryBound: 0
; FloatMode: 240
; IeeeMode: 1
; LDSByteSize: 0 bytes/workgroup (compile time only)
; SGPRBlocks: 0
; VGPRBlocks: 0
; NumSGPRsForWavesPerEU: 1
; NumVGPRsForWavesPerEU: 1
; Occupancy: 16
; WaveLimiterHint : 0
; COMPUTE_PGM_RSRC2:SCRATCH_EN: 0
; COMPUTE_PGM_RSRC2:USER_SGPR: 2
; COMPUTE_PGM_RSRC2:TRAP_HANDLER: 0
; COMPUTE_PGM_RSRC2:TGID_X_EN: 1
; COMPUTE_PGM_RSRC2:TGID_Y_EN: 0
; COMPUTE_PGM_RSRC2:TGID_Z_EN: 0
; COMPUTE_PGM_RSRC2:TIDIG_COMP_CNT: 0
	.section	.text._ZN7rocprim17ROCPRIM_400000_NS6detail17trampoline_kernelINS0_13select_configILj256ELj13ELNS0_17block_load_methodE3ELS4_3ELS4_3ELNS0_20block_scan_algorithmE0ELj4294967295EEENS1_25partition_config_selectorILNS1_17partition_subalgoE4EjNS0_10empty_typeEbEEZZNS1_14partition_implILS8_4ELb0ES6_15HIP_vector_typeIjLj2EENS0_17counting_iteratorIjlEEPS9_SG_NS0_5tupleIJPjSI_NS0_16reverse_iteratorISI_EEEEENSH_IJSG_SG_SG_EEES9_SI_JZNS1_25segmented_radix_sort_implINS0_14default_configELb1EPKsPsPKlPlN2at6native12_GLOBAL__N_18offset_tEEE10hipError_tPvRmT1_PNSt15iterator_traitsIS12_E10value_typeET2_T3_PNS13_IS18_E10value_typeET4_jRbjT5_S1E_jjP12ihipStream_tbEUljE_ZNSN_ISO_Lb1ESQ_SR_ST_SU_SY_EESZ_S10_S11_S12_S16_S17_S18_S1B_S1C_jS1D_jS1E_S1E_jjS1G_bEUljE0_EEESZ_S10_S11_S18_S1C_S1E_T6_T7_T9_mT8_S1G_bDpT10_ENKUlT_T0_E_clISt17integral_constantIbLb0EES1U_EEDaS1P_S1Q_EUlS1P_E_NS1_11comp_targetILNS1_3genE8ELNS1_11target_archE1030ELNS1_3gpuE2ELNS1_3repE0EEENS1_30default_config_static_selectorELNS0_4arch9wavefront6targetE0EEEvS12_,"axG",@progbits,_ZN7rocprim17ROCPRIM_400000_NS6detail17trampoline_kernelINS0_13select_configILj256ELj13ELNS0_17block_load_methodE3ELS4_3ELS4_3ELNS0_20block_scan_algorithmE0ELj4294967295EEENS1_25partition_config_selectorILNS1_17partition_subalgoE4EjNS0_10empty_typeEbEEZZNS1_14partition_implILS8_4ELb0ES6_15HIP_vector_typeIjLj2EENS0_17counting_iteratorIjlEEPS9_SG_NS0_5tupleIJPjSI_NS0_16reverse_iteratorISI_EEEEENSH_IJSG_SG_SG_EEES9_SI_JZNS1_25segmented_radix_sort_implINS0_14default_configELb1EPKsPsPKlPlN2at6native12_GLOBAL__N_18offset_tEEE10hipError_tPvRmT1_PNSt15iterator_traitsIS12_E10value_typeET2_T3_PNS13_IS18_E10value_typeET4_jRbjT5_S1E_jjP12ihipStream_tbEUljE_ZNSN_ISO_Lb1ESQ_SR_ST_SU_SY_EESZ_S10_S11_S12_S16_S17_S18_S1B_S1C_jS1D_jS1E_S1E_jjS1G_bEUljE0_EEESZ_S10_S11_S18_S1C_S1E_T6_T7_T9_mT8_S1G_bDpT10_ENKUlT_T0_E_clISt17integral_constantIbLb0EES1U_EEDaS1P_S1Q_EUlS1P_E_NS1_11comp_targetILNS1_3genE8ELNS1_11target_archE1030ELNS1_3gpuE2ELNS1_3repE0EEENS1_30default_config_static_selectorELNS0_4arch9wavefront6targetE0EEEvS12_,comdat
	.globl	_ZN7rocprim17ROCPRIM_400000_NS6detail17trampoline_kernelINS0_13select_configILj256ELj13ELNS0_17block_load_methodE3ELS4_3ELS4_3ELNS0_20block_scan_algorithmE0ELj4294967295EEENS1_25partition_config_selectorILNS1_17partition_subalgoE4EjNS0_10empty_typeEbEEZZNS1_14partition_implILS8_4ELb0ES6_15HIP_vector_typeIjLj2EENS0_17counting_iteratorIjlEEPS9_SG_NS0_5tupleIJPjSI_NS0_16reverse_iteratorISI_EEEEENSH_IJSG_SG_SG_EEES9_SI_JZNS1_25segmented_radix_sort_implINS0_14default_configELb1EPKsPsPKlPlN2at6native12_GLOBAL__N_18offset_tEEE10hipError_tPvRmT1_PNSt15iterator_traitsIS12_E10value_typeET2_T3_PNS13_IS18_E10value_typeET4_jRbjT5_S1E_jjP12ihipStream_tbEUljE_ZNSN_ISO_Lb1ESQ_SR_ST_SU_SY_EESZ_S10_S11_S12_S16_S17_S18_S1B_S1C_jS1D_jS1E_S1E_jjS1G_bEUljE0_EEESZ_S10_S11_S18_S1C_S1E_T6_T7_T9_mT8_S1G_bDpT10_ENKUlT_T0_E_clISt17integral_constantIbLb0EES1U_EEDaS1P_S1Q_EUlS1P_E_NS1_11comp_targetILNS1_3genE8ELNS1_11target_archE1030ELNS1_3gpuE2ELNS1_3repE0EEENS1_30default_config_static_selectorELNS0_4arch9wavefront6targetE0EEEvS12_ ; -- Begin function _ZN7rocprim17ROCPRIM_400000_NS6detail17trampoline_kernelINS0_13select_configILj256ELj13ELNS0_17block_load_methodE3ELS4_3ELS4_3ELNS0_20block_scan_algorithmE0ELj4294967295EEENS1_25partition_config_selectorILNS1_17partition_subalgoE4EjNS0_10empty_typeEbEEZZNS1_14partition_implILS8_4ELb0ES6_15HIP_vector_typeIjLj2EENS0_17counting_iteratorIjlEEPS9_SG_NS0_5tupleIJPjSI_NS0_16reverse_iteratorISI_EEEEENSH_IJSG_SG_SG_EEES9_SI_JZNS1_25segmented_radix_sort_implINS0_14default_configELb1EPKsPsPKlPlN2at6native12_GLOBAL__N_18offset_tEEE10hipError_tPvRmT1_PNSt15iterator_traitsIS12_E10value_typeET2_T3_PNS13_IS18_E10value_typeET4_jRbjT5_S1E_jjP12ihipStream_tbEUljE_ZNSN_ISO_Lb1ESQ_SR_ST_SU_SY_EESZ_S10_S11_S12_S16_S17_S18_S1B_S1C_jS1D_jS1E_S1E_jjS1G_bEUljE0_EEESZ_S10_S11_S18_S1C_S1E_T6_T7_T9_mT8_S1G_bDpT10_ENKUlT_T0_E_clISt17integral_constantIbLb0EES1U_EEDaS1P_S1Q_EUlS1P_E_NS1_11comp_targetILNS1_3genE8ELNS1_11target_archE1030ELNS1_3gpuE2ELNS1_3repE0EEENS1_30default_config_static_selectorELNS0_4arch9wavefront6targetE0EEEvS12_
	.p2align	8
	.type	_ZN7rocprim17ROCPRIM_400000_NS6detail17trampoline_kernelINS0_13select_configILj256ELj13ELNS0_17block_load_methodE3ELS4_3ELS4_3ELNS0_20block_scan_algorithmE0ELj4294967295EEENS1_25partition_config_selectorILNS1_17partition_subalgoE4EjNS0_10empty_typeEbEEZZNS1_14partition_implILS8_4ELb0ES6_15HIP_vector_typeIjLj2EENS0_17counting_iteratorIjlEEPS9_SG_NS0_5tupleIJPjSI_NS0_16reverse_iteratorISI_EEEEENSH_IJSG_SG_SG_EEES9_SI_JZNS1_25segmented_radix_sort_implINS0_14default_configELb1EPKsPsPKlPlN2at6native12_GLOBAL__N_18offset_tEEE10hipError_tPvRmT1_PNSt15iterator_traitsIS12_E10value_typeET2_T3_PNS13_IS18_E10value_typeET4_jRbjT5_S1E_jjP12ihipStream_tbEUljE_ZNSN_ISO_Lb1ESQ_SR_ST_SU_SY_EESZ_S10_S11_S12_S16_S17_S18_S1B_S1C_jS1D_jS1E_S1E_jjS1G_bEUljE0_EEESZ_S10_S11_S18_S1C_S1E_T6_T7_T9_mT8_S1G_bDpT10_ENKUlT_T0_E_clISt17integral_constantIbLb0EES1U_EEDaS1P_S1Q_EUlS1P_E_NS1_11comp_targetILNS1_3genE8ELNS1_11target_archE1030ELNS1_3gpuE2ELNS1_3repE0EEENS1_30default_config_static_selectorELNS0_4arch9wavefront6targetE0EEEvS12_,@function
_ZN7rocprim17ROCPRIM_400000_NS6detail17trampoline_kernelINS0_13select_configILj256ELj13ELNS0_17block_load_methodE3ELS4_3ELS4_3ELNS0_20block_scan_algorithmE0ELj4294967295EEENS1_25partition_config_selectorILNS1_17partition_subalgoE4EjNS0_10empty_typeEbEEZZNS1_14partition_implILS8_4ELb0ES6_15HIP_vector_typeIjLj2EENS0_17counting_iteratorIjlEEPS9_SG_NS0_5tupleIJPjSI_NS0_16reverse_iteratorISI_EEEEENSH_IJSG_SG_SG_EEES9_SI_JZNS1_25segmented_radix_sort_implINS0_14default_configELb1EPKsPsPKlPlN2at6native12_GLOBAL__N_18offset_tEEE10hipError_tPvRmT1_PNSt15iterator_traitsIS12_E10value_typeET2_T3_PNS13_IS18_E10value_typeET4_jRbjT5_S1E_jjP12ihipStream_tbEUljE_ZNSN_ISO_Lb1ESQ_SR_ST_SU_SY_EESZ_S10_S11_S12_S16_S17_S18_S1B_S1C_jS1D_jS1E_S1E_jjS1G_bEUljE0_EEESZ_S10_S11_S18_S1C_S1E_T6_T7_T9_mT8_S1G_bDpT10_ENKUlT_T0_E_clISt17integral_constantIbLb0EES1U_EEDaS1P_S1Q_EUlS1P_E_NS1_11comp_targetILNS1_3genE8ELNS1_11target_archE1030ELNS1_3gpuE2ELNS1_3repE0EEENS1_30default_config_static_selectorELNS0_4arch9wavefront6targetE0EEEvS12_: ; @_ZN7rocprim17ROCPRIM_400000_NS6detail17trampoline_kernelINS0_13select_configILj256ELj13ELNS0_17block_load_methodE3ELS4_3ELS4_3ELNS0_20block_scan_algorithmE0ELj4294967295EEENS1_25partition_config_selectorILNS1_17partition_subalgoE4EjNS0_10empty_typeEbEEZZNS1_14partition_implILS8_4ELb0ES6_15HIP_vector_typeIjLj2EENS0_17counting_iteratorIjlEEPS9_SG_NS0_5tupleIJPjSI_NS0_16reverse_iteratorISI_EEEEENSH_IJSG_SG_SG_EEES9_SI_JZNS1_25segmented_radix_sort_implINS0_14default_configELb1EPKsPsPKlPlN2at6native12_GLOBAL__N_18offset_tEEE10hipError_tPvRmT1_PNSt15iterator_traitsIS12_E10value_typeET2_T3_PNS13_IS18_E10value_typeET4_jRbjT5_S1E_jjP12ihipStream_tbEUljE_ZNSN_ISO_Lb1ESQ_SR_ST_SU_SY_EESZ_S10_S11_S12_S16_S17_S18_S1B_S1C_jS1D_jS1E_S1E_jjS1G_bEUljE0_EEESZ_S10_S11_S18_S1C_S1E_T6_T7_T9_mT8_S1G_bDpT10_ENKUlT_T0_E_clISt17integral_constantIbLb0EES1U_EEDaS1P_S1Q_EUlS1P_E_NS1_11comp_targetILNS1_3genE8ELNS1_11target_archE1030ELNS1_3gpuE2ELNS1_3repE0EEENS1_30default_config_static_selectorELNS0_4arch9wavefront6targetE0EEEvS12_
; %bb.0:
	.section	.rodata,"a",@progbits
	.p2align	6, 0x0
	.amdhsa_kernel _ZN7rocprim17ROCPRIM_400000_NS6detail17trampoline_kernelINS0_13select_configILj256ELj13ELNS0_17block_load_methodE3ELS4_3ELS4_3ELNS0_20block_scan_algorithmE0ELj4294967295EEENS1_25partition_config_selectorILNS1_17partition_subalgoE4EjNS0_10empty_typeEbEEZZNS1_14partition_implILS8_4ELb0ES6_15HIP_vector_typeIjLj2EENS0_17counting_iteratorIjlEEPS9_SG_NS0_5tupleIJPjSI_NS0_16reverse_iteratorISI_EEEEENSH_IJSG_SG_SG_EEES9_SI_JZNS1_25segmented_radix_sort_implINS0_14default_configELb1EPKsPsPKlPlN2at6native12_GLOBAL__N_18offset_tEEE10hipError_tPvRmT1_PNSt15iterator_traitsIS12_E10value_typeET2_T3_PNS13_IS18_E10value_typeET4_jRbjT5_S1E_jjP12ihipStream_tbEUljE_ZNSN_ISO_Lb1ESQ_SR_ST_SU_SY_EESZ_S10_S11_S12_S16_S17_S18_S1B_S1C_jS1D_jS1E_S1E_jjS1G_bEUljE0_EEESZ_S10_S11_S18_S1C_S1E_T6_T7_T9_mT8_S1G_bDpT10_ENKUlT_T0_E_clISt17integral_constantIbLb0EES1U_EEDaS1P_S1Q_EUlS1P_E_NS1_11comp_targetILNS1_3genE8ELNS1_11target_archE1030ELNS1_3gpuE2ELNS1_3repE0EEENS1_30default_config_static_selectorELNS0_4arch9wavefront6targetE0EEEvS12_
		.amdhsa_group_segment_fixed_size 0
		.amdhsa_private_segment_fixed_size 0
		.amdhsa_kernarg_size 176
		.amdhsa_user_sgpr_count 2
		.amdhsa_user_sgpr_dispatch_ptr 0
		.amdhsa_user_sgpr_queue_ptr 0
		.amdhsa_user_sgpr_kernarg_segment_ptr 1
		.amdhsa_user_sgpr_dispatch_id 0
		.amdhsa_user_sgpr_private_segment_size 0
		.amdhsa_wavefront_size32 1
		.amdhsa_uses_dynamic_stack 0
		.amdhsa_enable_private_segment 0
		.amdhsa_system_sgpr_workgroup_id_x 1
		.amdhsa_system_sgpr_workgroup_id_y 0
		.amdhsa_system_sgpr_workgroup_id_z 0
		.amdhsa_system_sgpr_workgroup_info 0
		.amdhsa_system_vgpr_workitem_id 0
		.amdhsa_next_free_vgpr 1
		.amdhsa_next_free_sgpr 1
		.amdhsa_reserve_vcc 0
		.amdhsa_float_round_mode_32 0
		.amdhsa_float_round_mode_16_64 0
		.amdhsa_float_denorm_mode_32 3
		.amdhsa_float_denorm_mode_16_64 3
		.amdhsa_fp16_overflow 0
		.amdhsa_workgroup_processor_mode 1
		.amdhsa_memory_ordered 1
		.amdhsa_forward_progress 1
		.amdhsa_inst_pref_size 0
		.amdhsa_round_robin_scheduling 0
		.amdhsa_exception_fp_ieee_invalid_op 0
		.amdhsa_exception_fp_denorm_src 0
		.amdhsa_exception_fp_ieee_div_zero 0
		.amdhsa_exception_fp_ieee_overflow 0
		.amdhsa_exception_fp_ieee_underflow 0
		.amdhsa_exception_fp_ieee_inexact 0
		.amdhsa_exception_int_div_zero 0
	.end_amdhsa_kernel
	.section	.text._ZN7rocprim17ROCPRIM_400000_NS6detail17trampoline_kernelINS0_13select_configILj256ELj13ELNS0_17block_load_methodE3ELS4_3ELS4_3ELNS0_20block_scan_algorithmE0ELj4294967295EEENS1_25partition_config_selectorILNS1_17partition_subalgoE4EjNS0_10empty_typeEbEEZZNS1_14partition_implILS8_4ELb0ES6_15HIP_vector_typeIjLj2EENS0_17counting_iteratorIjlEEPS9_SG_NS0_5tupleIJPjSI_NS0_16reverse_iteratorISI_EEEEENSH_IJSG_SG_SG_EEES9_SI_JZNS1_25segmented_radix_sort_implINS0_14default_configELb1EPKsPsPKlPlN2at6native12_GLOBAL__N_18offset_tEEE10hipError_tPvRmT1_PNSt15iterator_traitsIS12_E10value_typeET2_T3_PNS13_IS18_E10value_typeET4_jRbjT5_S1E_jjP12ihipStream_tbEUljE_ZNSN_ISO_Lb1ESQ_SR_ST_SU_SY_EESZ_S10_S11_S12_S16_S17_S18_S1B_S1C_jS1D_jS1E_S1E_jjS1G_bEUljE0_EEESZ_S10_S11_S18_S1C_S1E_T6_T7_T9_mT8_S1G_bDpT10_ENKUlT_T0_E_clISt17integral_constantIbLb0EES1U_EEDaS1P_S1Q_EUlS1P_E_NS1_11comp_targetILNS1_3genE8ELNS1_11target_archE1030ELNS1_3gpuE2ELNS1_3repE0EEENS1_30default_config_static_selectorELNS0_4arch9wavefront6targetE0EEEvS12_,"axG",@progbits,_ZN7rocprim17ROCPRIM_400000_NS6detail17trampoline_kernelINS0_13select_configILj256ELj13ELNS0_17block_load_methodE3ELS4_3ELS4_3ELNS0_20block_scan_algorithmE0ELj4294967295EEENS1_25partition_config_selectorILNS1_17partition_subalgoE4EjNS0_10empty_typeEbEEZZNS1_14partition_implILS8_4ELb0ES6_15HIP_vector_typeIjLj2EENS0_17counting_iteratorIjlEEPS9_SG_NS0_5tupleIJPjSI_NS0_16reverse_iteratorISI_EEEEENSH_IJSG_SG_SG_EEES9_SI_JZNS1_25segmented_radix_sort_implINS0_14default_configELb1EPKsPsPKlPlN2at6native12_GLOBAL__N_18offset_tEEE10hipError_tPvRmT1_PNSt15iterator_traitsIS12_E10value_typeET2_T3_PNS13_IS18_E10value_typeET4_jRbjT5_S1E_jjP12ihipStream_tbEUljE_ZNSN_ISO_Lb1ESQ_SR_ST_SU_SY_EESZ_S10_S11_S12_S16_S17_S18_S1B_S1C_jS1D_jS1E_S1E_jjS1G_bEUljE0_EEESZ_S10_S11_S18_S1C_S1E_T6_T7_T9_mT8_S1G_bDpT10_ENKUlT_T0_E_clISt17integral_constantIbLb0EES1U_EEDaS1P_S1Q_EUlS1P_E_NS1_11comp_targetILNS1_3genE8ELNS1_11target_archE1030ELNS1_3gpuE2ELNS1_3repE0EEENS1_30default_config_static_selectorELNS0_4arch9wavefront6targetE0EEEvS12_,comdat
.Lfunc_end854:
	.size	_ZN7rocprim17ROCPRIM_400000_NS6detail17trampoline_kernelINS0_13select_configILj256ELj13ELNS0_17block_load_methodE3ELS4_3ELS4_3ELNS0_20block_scan_algorithmE0ELj4294967295EEENS1_25partition_config_selectorILNS1_17partition_subalgoE4EjNS0_10empty_typeEbEEZZNS1_14partition_implILS8_4ELb0ES6_15HIP_vector_typeIjLj2EENS0_17counting_iteratorIjlEEPS9_SG_NS0_5tupleIJPjSI_NS0_16reverse_iteratorISI_EEEEENSH_IJSG_SG_SG_EEES9_SI_JZNS1_25segmented_radix_sort_implINS0_14default_configELb1EPKsPsPKlPlN2at6native12_GLOBAL__N_18offset_tEEE10hipError_tPvRmT1_PNSt15iterator_traitsIS12_E10value_typeET2_T3_PNS13_IS18_E10value_typeET4_jRbjT5_S1E_jjP12ihipStream_tbEUljE_ZNSN_ISO_Lb1ESQ_SR_ST_SU_SY_EESZ_S10_S11_S12_S16_S17_S18_S1B_S1C_jS1D_jS1E_S1E_jjS1G_bEUljE0_EEESZ_S10_S11_S18_S1C_S1E_T6_T7_T9_mT8_S1G_bDpT10_ENKUlT_T0_E_clISt17integral_constantIbLb0EES1U_EEDaS1P_S1Q_EUlS1P_E_NS1_11comp_targetILNS1_3genE8ELNS1_11target_archE1030ELNS1_3gpuE2ELNS1_3repE0EEENS1_30default_config_static_selectorELNS0_4arch9wavefront6targetE0EEEvS12_, .Lfunc_end854-_ZN7rocprim17ROCPRIM_400000_NS6detail17trampoline_kernelINS0_13select_configILj256ELj13ELNS0_17block_load_methodE3ELS4_3ELS4_3ELNS0_20block_scan_algorithmE0ELj4294967295EEENS1_25partition_config_selectorILNS1_17partition_subalgoE4EjNS0_10empty_typeEbEEZZNS1_14partition_implILS8_4ELb0ES6_15HIP_vector_typeIjLj2EENS0_17counting_iteratorIjlEEPS9_SG_NS0_5tupleIJPjSI_NS0_16reverse_iteratorISI_EEEEENSH_IJSG_SG_SG_EEES9_SI_JZNS1_25segmented_radix_sort_implINS0_14default_configELb1EPKsPsPKlPlN2at6native12_GLOBAL__N_18offset_tEEE10hipError_tPvRmT1_PNSt15iterator_traitsIS12_E10value_typeET2_T3_PNS13_IS18_E10value_typeET4_jRbjT5_S1E_jjP12ihipStream_tbEUljE_ZNSN_ISO_Lb1ESQ_SR_ST_SU_SY_EESZ_S10_S11_S12_S16_S17_S18_S1B_S1C_jS1D_jS1E_S1E_jjS1G_bEUljE0_EEESZ_S10_S11_S18_S1C_S1E_T6_T7_T9_mT8_S1G_bDpT10_ENKUlT_T0_E_clISt17integral_constantIbLb0EES1U_EEDaS1P_S1Q_EUlS1P_E_NS1_11comp_targetILNS1_3genE8ELNS1_11target_archE1030ELNS1_3gpuE2ELNS1_3repE0EEENS1_30default_config_static_selectorELNS0_4arch9wavefront6targetE0EEEvS12_
                                        ; -- End function
	.set _ZN7rocprim17ROCPRIM_400000_NS6detail17trampoline_kernelINS0_13select_configILj256ELj13ELNS0_17block_load_methodE3ELS4_3ELS4_3ELNS0_20block_scan_algorithmE0ELj4294967295EEENS1_25partition_config_selectorILNS1_17partition_subalgoE4EjNS0_10empty_typeEbEEZZNS1_14partition_implILS8_4ELb0ES6_15HIP_vector_typeIjLj2EENS0_17counting_iteratorIjlEEPS9_SG_NS0_5tupleIJPjSI_NS0_16reverse_iteratorISI_EEEEENSH_IJSG_SG_SG_EEES9_SI_JZNS1_25segmented_radix_sort_implINS0_14default_configELb1EPKsPsPKlPlN2at6native12_GLOBAL__N_18offset_tEEE10hipError_tPvRmT1_PNSt15iterator_traitsIS12_E10value_typeET2_T3_PNS13_IS18_E10value_typeET4_jRbjT5_S1E_jjP12ihipStream_tbEUljE_ZNSN_ISO_Lb1ESQ_SR_ST_SU_SY_EESZ_S10_S11_S12_S16_S17_S18_S1B_S1C_jS1D_jS1E_S1E_jjS1G_bEUljE0_EEESZ_S10_S11_S18_S1C_S1E_T6_T7_T9_mT8_S1G_bDpT10_ENKUlT_T0_E_clISt17integral_constantIbLb0EES1U_EEDaS1P_S1Q_EUlS1P_E_NS1_11comp_targetILNS1_3genE8ELNS1_11target_archE1030ELNS1_3gpuE2ELNS1_3repE0EEENS1_30default_config_static_selectorELNS0_4arch9wavefront6targetE0EEEvS12_.num_vgpr, 0
	.set _ZN7rocprim17ROCPRIM_400000_NS6detail17trampoline_kernelINS0_13select_configILj256ELj13ELNS0_17block_load_methodE3ELS4_3ELS4_3ELNS0_20block_scan_algorithmE0ELj4294967295EEENS1_25partition_config_selectorILNS1_17partition_subalgoE4EjNS0_10empty_typeEbEEZZNS1_14partition_implILS8_4ELb0ES6_15HIP_vector_typeIjLj2EENS0_17counting_iteratorIjlEEPS9_SG_NS0_5tupleIJPjSI_NS0_16reverse_iteratorISI_EEEEENSH_IJSG_SG_SG_EEES9_SI_JZNS1_25segmented_radix_sort_implINS0_14default_configELb1EPKsPsPKlPlN2at6native12_GLOBAL__N_18offset_tEEE10hipError_tPvRmT1_PNSt15iterator_traitsIS12_E10value_typeET2_T3_PNS13_IS18_E10value_typeET4_jRbjT5_S1E_jjP12ihipStream_tbEUljE_ZNSN_ISO_Lb1ESQ_SR_ST_SU_SY_EESZ_S10_S11_S12_S16_S17_S18_S1B_S1C_jS1D_jS1E_S1E_jjS1G_bEUljE0_EEESZ_S10_S11_S18_S1C_S1E_T6_T7_T9_mT8_S1G_bDpT10_ENKUlT_T0_E_clISt17integral_constantIbLb0EES1U_EEDaS1P_S1Q_EUlS1P_E_NS1_11comp_targetILNS1_3genE8ELNS1_11target_archE1030ELNS1_3gpuE2ELNS1_3repE0EEENS1_30default_config_static_selectorELNS0_4arch9wavefront6targetE0EEEvS12_.num_agpr, 0
	.set _ZN7rocprim17ROCPRIM_400000_NS6detail17trampoline_kernelINS0_13select_configILj256ELj13ELNS0_17block_load_methodE3ELS4_3ELS4_3ELNS0_20block_scan_algorithmE0ELj4294967295EEENS1_25partition_config_selectorILNS1_17partition_subalgoE4EjNS0_10empty_typeEbEEZZNS1_14partition_implILS8_4ELb0ES6_15HIP_vector_typeIjLj2EENS0_17counting_iteratorIjlEEPS9_SG_NS0_5tupleIJPjSI_NS0_16reverse_iteratorISI_EEEEENSH_IJSG_SG_SG_EEES9_SI_JZNS1_25segmented_radix_sort_implINS0_14default_configELb1EPKsPsPKlPlN2at6native12_GLOBAL__N_18offset_tEEE10hipError_tPvRmT1_PNSt15iterator_traitsIS12_E10value_typeET2_T3_PNS13_IS18_E10value_typeET4_jRbjT5_S1E_jjP12ihipStream_tbEUljE_ZNSN_ISO_Lb1ESQ_SR_ST_SU_SY_EESZ_S10_S11_S12_S16_S17_S18_S1B_S1C_jS1D_jS1E_S1E_jjS1G_bEUljE0_EEESZ_S10_S11_S18_S1C_S1E_T6_T7_T9_mT8_S1G_bDpT10_ENKUlT_T0_E_clISt17integral_constantIbLb0EES1U_EEDaS1P_S1Q_EUlS1P_E_NS1_11comp_targetILNS1_3genE8ELNS1_11target_archE1030ELNS1_3gpuE2ELNS1_3repE0EEENS1_30default_config_static_selectorELNS0_4arch9wavefront6targetE0EEEvS12_.numbered_sgpr, 0
	.set _ZN7rocprim17ROCPRIM_400000_NS6detail17trampoline_kernelINS0_13select_configILj256ELj13ELNS0_17block_load_methodE3ELS4_3ELS4_3ELNS0_20block_scan_algorithmE0ELj4294967295EEENS1_25partition_config_selectorILNS1_17partition_subalgoE4EjNS0_10empty_typeEbEEZZNS1_14partition_implILS8_4ELb0ES6_15HIP_vector_typeIjLj2EENS0_17counting_iteratorIjlEEPS9_SG_NS0_5tupleIJPjSI_NS0_16reverse_iteratorISI_EEEEENSH_IJSG_SG_SG_EEES9_SI_JZNS1_25segmented_radix_sort_implINS0_14default_configELb1EPKsPsPKlPlN2at6native12_GLOBAL__N_18offset_tEEE10hipError_tPvRmT1_PNSt15iterator_traitsIS12_E10value_typeET2_T3_PNS13_IS18_E10value_typeET4_jRbjT5_S1E_jjP12ihipStream_tbEUljE_ZNSN_ISO_Lb1ESQ_SR_ST_SU_SY_EESZ_S10_S11_S12_S16_S17_S18_S1B_S1C_jS1D_jS1E_S1E_jjS1G_bEUljE0_EEESZ_S10_S11_S18_S1C_S1E_T6_T7_T9_mT8_S1G_bDpT10_ENKUlT_T0_E_clISt17integral_constantIbLb0EES1U_EEDaS1P_S1Q_EUlS1P_E_NS1_11comp_targetILNS1_3genE8ELNS1_11target_archE1030ELNS1_3gpuE2ELNS1_3repE0EEENS1_30default_config_static_selectorELNS0_4arch9wavefront6targetE0EEEvS12_.num_named_barrier, 0
	.set _ZN7rocprim17ROCPRIM_400000_NS6detail17trampoline_kernelINS0_13select_configILj256ELj13ELNS0_17block_load_methodE3ELS4_3ELS4_3ELNS0_20block_scan_algorithmE0ELj4294967295EEENS1_25partition_config_selectorILNS1_17partition_subalgoE4EjNS0_10empty_typeEbEEZZNS1_14partition_implILS8_4ELb0ES6_15HIP_vector_typeIjLj2EENS0_17counting_iteratorIjlEEPS9_SG_NS0_5tupleIJPjSI_NS0_16reverse_iteratorISI_EEEEENSH_IJSG_SG_SG_EEES9_SI_JZNS1_25segmented_radix_sort_implINS0_14default_configELb1EPKsPsPKlPlN2at6native12_GLOBAL__N_18offset_tEEE10hipError_tPvRmT1_PNSt15iterator_traitsIS12_E10value_typeET2_T3_PNS13_IS18_E10value_typeET4_jRbjT5_S1E_jjP12ihipStream_tbEUljE_ZNSN_ISO_Lb1ESQ_SR_ST_SU_SY_EESZ_S10_S11_S12_S16_S17_S18_S1B_S1C_jS1D_jS1E_S1E_jjS1G_bEUljE0_EEESZ_S10_S11_S18_S1C_S1E_T6_T7_T9_mT8_S1G_bDpT10_ENKUlT_T0_E_clISt17integral_constantIbLb0EES1U_EEDaS1P_S1Q_EUlS1P_E_NS1_11comp_targetILNS1_3genE8ELNS1_11target_archE1030ELNS1_3gpuE2ELNS1_3repE0EEENS1_30default_config_static_selectorELNS0_4arch9wavefront6targetE0EEEvS12_.private_seg_size, 0
	.set _ZN7rocprim17ROCPRIM_400000_NS6detail17trampoline_kernelINS0_13select_configILj256ELj13ELNS0_17block_load_methodE3ELS4_3ELS4_3ELNS0_20block_scan_algorithmE0ELj4294967295EEENS1_25partition_config_selectorILNS1_17partition_subalgoE4EjNS0_10empty_typeEbEEZZNS1_14partition_implILS8_4ELb0ES6_15HIP_vector_typeIjLj2EENS0_17counting_iteratorIjlEEPS9_SG_NS0_5tupleIJPjSI_NS0_16reverse_iteratorISI_EEEEENSH_IJSG_SG_SG_EEES9_SI_JZNS1_25segmented_radix_sort_implINS0_14default_configELb1EPKsPsPKlPlN2at6native12_GLOBAL__N_18offset_tEEE10hipError_tPvRmT1_PNSt15iterator_traitsIS12_E10value_typeET2_T3_PNS13_IS18_E10value_typeET4_jRbjT5_S1E_jjP12ihipStream_tbEUljE_ZNSN_ISO_Lb1ESQ_SR_ST_SU_SY_EESZ_S10_S11_S12_S16_S17_S18_S1B_S1C_jS1D_jS1E_S1E_jjS1G_bEUljE0_EEESZ_S10_S11_S18_S1C_S1E_T6_T7_T9_mT8_S1G_bDpT10_ENKUlT_T0_E_clISt17integral_constantIbLb0EES1U_EEDaS1P_S1Q_EUlS1P_E_NS1_11comp_targetILNS1_3genE8ELNS1_11target_archE1030ELNS1_3gpuE2ELNS1_3repE0EEENS1_30default_config_static_selectorELNS0_4arch9wavefront6targetE0EEEvS12_.uses_vcc, 0
	.set _ZN7rocprim17ROCPRIM_400000_NS6detail17trampoline_kernelINS0_13select_configILj256ELj13ELNS0_17block_load_methodE3ELS4_3ELS4_3ELNS0_20block_scan_algorithmE0ELj4294967295EEENS1_25partition_config_selectorILNS1_17partition_subalgoE4EjNS0_10empty_typeEbEEZZNS1_14partition_implILS8_4ELb0ES6_15HIP_vector_typeIjLj2EENS0_17counting_iteratorIjlEEPS9_SG_NS0_5tupleIJPjSI_NS0_16reverse_iteratorISI_EEEEENSH_IJSG_SG_SG_EEES9_SI_JZNS1_25segmented_radix_sort_implINS0_14default_configELb1EPKsPsPKlPlN2at6native12_GLOBAL__N_18offset_tEEE10hipError_tPvRmT1_PNSt15iterator_traitsIS12_E10value_typeET2_T3_PNS13_IS18_E10value_typeET4_jRbjT5_S1E_jjP12ihipStream_tbEUljE_ZNSN_ISO_Lb1ESQ_SR_ST_SU_SY_EESZ_S10_S11_S12_S16_S17_S18_S1B_S1C_jS1D_jS1E_S1E_jjS1G_bEUljE0_EEESZ_S10_S11_S18_S1C_S1E_T6_T7_T9_mT8_S1G_bDpT10_ENKUlT_T0_E_clISt17integral_constantIbLb0EES1U_EEDaS1P_S1Q_EUlS1P_E_NS1_11comp_targetILNS1_3genE8ELNS1_11target_archE1030ELNS1_3gpuE2ELNS1_3repE0EEENS1_30default_config_static_selectorELNS0_4arch9wavefront6targetE0EEEvS12_.uses_flat_scratch, 0
	.set _ZN7rocprim17ROCPRIM_400000_NS6detail17trampoline_kernelINS0_13select_configILj256ELj13ELNS0_17block_load_methodE3ELS4_3ELS4_3ELNS0_20block_scan_algorithmE0ELj4294967295EEENS1_25partition_config_selectorILNS1_17partition_subalgoE4EjNS0_10empty_typeEbEEZZNS1_14partition_implILS8_4ELb0ES6_15HIP_vector_typeIjLj2EENS0_17counting_iteratorIjlEEPS9_SG_NS0_5tupleIJPjSI_NS0_16reverse_iteratorISI_EEEEENSH_IJSG_SG_SG_EEES9_SI_JZNS1_25segmented_radix_sort_implINS0_14default_configELb1EPKsPsPKlPlN2at6native12_GLOBAL__N_18offset_tEEE10hipError_tPvRmT1_PNSt15iterator_traitsIS12_E10value_typeET2_T3_PNS13_IS18_E10value_typeET4_jRbjT5_S1E_jjP12ihipStream_tbEUljE_ZNSN_ISO_Lb1ESQ_SR_ST_SU_SY_EESZ_S10_S11_S12_S16_S17_S18_S1B_S1C_jS1D_jS1E_S1E_jjS1G_bEUljE0_EEESZ_S10_S11_S18_S1C_S1E_T6_T7_T9_mT8_S1G_bDpT10_ENKUlT_T0_E_clISt17integral_constantIbLb0EES1U_EEDaS1P_S1Q_EUlS1P_E_NS1_11comp_targetILNS1_3genE8ELNS1_11target_archE1030ELNS1_3gpuE2ELNS1_3repE0EEENS1_30default_config_static_selectorELNS0_4arch9wavefront6targetE0EEEvS12_.has_dyn_sized_stack, 0
	.set _ZN7rocprim17ROCPRIM_400000_NS6detail17trampoline_kernelINS0_13select_configILj256ELj13ELNS0_17block_load_methodE3ELS4_3ELS4_3ELNS0_20block_scan_algorithmE0ELj4294967295EEENS1_25partition_config_selectorILNS1_17partition_subalgoE4EjNS0_10empty_typeEbEEZZNS1_14partition_implILS8_4ELb0ES6_15HIP_vector_typeIjLj2EENS0_17counting_iteratorIjlEEPS9_SG_NS0_5tupleIJPjSI_NS0_16reverse_iteratorISI_EEEEENSH_IJSG_SG_SG_EEES9_SI_JZNS1_25segmented_radix_sort_implINS0_14default_configELb1EPKsPsPKlPlN2at6native12_GLOBAL__N_18offset_tEEE10hipError_tPvRmT1_PNSt15iterator_traitsIS12_E10value_typeET2_T3_PNS13_IS18_E10value_typeET4_jRbjT5_S1E_jjP12ihipStream_tbEUljE_ZNSN_ISO_Lb1ESQ_SR_ST_SU_SY_EESZ_S10_S11_S12_S16_S17_S18_S1B_S1C_jS1D_jS1E_S1E_jjS1G_bEUljE0_EEESZ_S10_S11_S18_S1C_S1E_T6_T7_T9_mT8_S1G_bDpT10_ENKUlT_T0_E_clISt17integral_constantIbLb0EES1U_EEDaS1P_S1Q_EUlS1P_E_NS1_11comp_targetILNS1_3genE8ELNS1_11target_archE1030ELNS1_3gpuE2ELNS1_3repE0EEENS1_30default_config_static_selectorELNS0_4arch9wavefront6targetE0EEEvS12_.has_recursion, 0
	.set _ZN7rocprim17ROCPRIM_400000_NS6detail17trampoline_kernelINS0_13select_configILj256ELj13ELNS0_17block_load_methodE3ELS4_3ELS4_3ELNS0_20block_scan_algorithmE0ELj4294967295EEENS1_25partition_config_selectorILNS1_17partition_subalgoE4EjNS0_10empty_typeEbEEZZNS1_14partition_implILS8_4ELb0ES6_15HIP_vector_typeIjLj2EENS0_17counting_iteratorIjlEEPS9_SG_NS0_5tupleIJPjSI_NS0_16reverse_iteratorISI_EEEEENSH_IJSG_SG_SG_EEES9_SI_JZNS1_25segmented_radix_sort_implINS0_14default_configELb1EPKsPsPKlPlN2at6native12_GLOBAL__N_18offset_tEEE10hipError_tPvRmT1_PNSt15iterator_traitsIS12_E10value_typeET2_T3_PNS13_IS18_E10value_typeET4_jRbjT5_S1E_jjP12ihipStream_tbEUljE_ZNSN_ISO_Lb1ESQ_SR_ST_SU_SY_EESZ_S10_S11_S12_S16_S17_S18_S1B_S1C_jS1D_jS1E_S1E_jjS1G_bEUljE0_EEESZ_S10_S11_S18_S1C_S1E_T6_T7_T9_mT8_S1G_bDpT10_ENKUlT_T0_E_clISt17integral_constantIbLb0EES1U_EEDaS1P_S1Q_EUlS1P_E_NS1_11comp_targetILNS1_3genE8ELNS1_11target_archE1030ELNS1_3gpuE2ELNS1_3repE0EEENS1_30default_config_static_selectorELNS0_4arch9wavefront6targetE0EEEvS12_.has_indirect_call, 0
	.section	.AMDGPU.csdata,"",@progbits
; Kernel info:
; codeLenInByte = 0
; TotalNumSgprs: 0
; NumVgprs: 0
; ScratchSize: 0
; MemoryBound: 0
; FloatMode: 240
; IeeeMode: 1
; LDSByteSize: 0 bytes/workgroup (compile time only)
; SGPRBlocks: 0
; VGPRBlocks: 0
; NumSGPRsForWavesPerEU: 1
; NumVGPRsForWavesPerEU: 1
; Occupancy: 16
; WaveLimiterHint : 0
; COMPUTE_PGM_RSRC2:SCRATCH_EN: 0
; COMPUTE_PGM_RSRC2:USER_SGPR: 2
; COMPUTE_PGM_RSRC2:TRAP_HANDLER: 0
; COMPUTE_PGM_RSRC2:TGID_X_EN: 1
; COMPUTE_PGM_RSRC2:TGID_Y_EN: 0
; COMPUTE_PGM_RSRC2:TGID_Z_EN: 0
; COMPUTE_PGM_RSRC2:TIDIG_COMP_CNT: 0
	.section	.text._ZN7rocprim17ROCPRIM_400000_NS6detail17trampoline_kernelINS0_13select_configILj256ELj13ELNS0_17block_load_methodE3ELS4_3ELS4_3ELNS0_20block_scan_algorithmE0ELj4294967295EEENS1_25partition_config_selectorILNS1_17partition_subalgoE4EjNS0_10empty_typeEbEEZZNS1_14partition_implILS8_4ELb0ES6_15HIP_vector_typeIjLj2EENS0_17counting_iteratorIjlEEPS9_SG_NS0_5tupleIJPjSI_NS0_16reverse_iteratorISI_EEEEENSH_IJSG_SG_SG_EEES9_SI_JZNS1_25segmented_radix_sort_implINS0_14default_configELb1EPKsPsPKlPlN2at6native12_GLOBAL__N_18offset_tEEE10hipError_tPvRmT1_PNSt15iterator_traitsIS12_E10value_typeET2_T3_PNS13_IS18_E10value_typeET4_jRbjT5_S1E_jjP12ihipStream_tbEUljE_ZNSN_ISO_Lb1ESQ_SR_ST_SU_SY_EESZ_S10_S11_S12_S16_S17_S18_S1B_S1C_jS1D_jS1E_S1E_jjS1G_bEUljE0_EEESZ_S10_S11_S18_S1C_S1E_T6_T7_T9_mT8_S1G_bDpT10_ENKUlT_T0_E_clISt17integral_constantIbLb1EES1U_EEDaS1P_S1Q_EUlS1P_E_NS1_11comp_targetILNS1_3genE0ELNS1_11target_archE4294967295ELNS1_3gpuE0ELNS1_3repE0EEENS1_30default_config_static_selectorELNS0_4arch9wavefront6targetE0EEEvS12_,"axG",@progbits,_ZN7rocprim17ROCPRIM_400000_NS6detail17trampoline_kernelINS0_13select_configILj256ELj13ELNS0_17block_load_methodE3ELS4_3ELS4_3ELNS0_20block_scan_algorithmE0ELj4294967295EEENS1_25partition_config_selectorILNS1_17partition_subalgoE4EjNS0_10empty_typeEbEEZZNS1_14partition_implILS8_4ELb0ES6_15HIP_vector_typeIjLj2EENS0_17counting_iteratorIjlEEPS9_SG_NS0_5tupleIJPjSI_NS0_16reverse_iteratorISI_EEEEENSH_IJSG_SG_SG_EEES9_SI_JZNS1_25segmented_radix_sort_implINS0_14default_configELb1EPKsPsPKlPlN2at6native12_GLOBAL__N_18offset_tEEE10hipError_tPvRmT1_PNSt15iterator_traitsIS12_E10value_typeET2_T3_PNS13_IS18_E10value_typeET4_jRbjT5_S1E_jjP12ihipStream_tbEUljE_ZNSN_ISO_Lb1ESQ_SR_ST_SU_SY_EESZ_S10_S11_S12_S16_S17_S18_S1B_S1C_jS1D_jS1E_S1E_jjS1G_bEUljE0_EEESZ_S10_S11_S18_S1C_S1E_T6_T7_T9_mT8_S1G_bDpT10_ENKUlT_T0_E_clISt17integral_constantIbLb1EES1U_EEDaS1P_S1Q_EUlS1P_E_NS1_11comp_targetILNS1_3genE0ELNS1_11target_archE4294967295ELNS1_3gpuE0ELNS1_3repE0EEENS1_30default_config_static_selectorELNS0_4arch9wavefront6targetE0EEEvS12_,comdat
	.globl	_ZN7rocprim17ROCPRIM_400000_NS6detail17trampoline_kernelINS0_13select_configILj256ELj13ELNS0_17block_load_methodE3ELS4_3ELS4_3ELNS0_20block_scan_algorithmE0ELj4294967295EEENS1_25partition_config_selectorILNS1_17partition_subalgoE4EjNS0_10empty_typeEbEEZZNS1_14partition_implILS8_4ELb0ES6_15HIP_vector_typeIjLj2EENS0_17counting_iteratorIjlEEPS9_SG_NS0_5tupleIJPjSI_NS0_16reverse_iteratorISI_EEEEENSH_IJSG_SG_SG_EEES9_SI_JZNS1_25segmented_radix_sort_implINS0_14default_configELb1EPKsPsPKlPlN2at6native12_GLOBAL__N_18offset_tEEE10hipError_tPvRmT1_PNSt15iterator_traitsIS12_E10value_typeET2_T3_PNS13_IS18_E10value_typeET4_jRbjT5_S1E_jjP12ihipStream_tbEUljE_ZNSN_ISO_Lb1ESQ_SR_ST_SU_SY_EESZ_S10_S11_S12_S16_S17_S18_S1B_S1C_jS1D_jS1E_S1E_jjS1G_bEUljE0_EEESZ_S10_S11_S18_S1C_S1E_T6_T7_T9_mT8_S1G_bDpT10_ENKUlT_T0_E_clISt17integral_constantIbLb1EES1U_EEDaS1P_S1Q_EUlS1P_E_NS1_11comp_targetILNS1_3genE0ELNS1_11target_archE4294967295ELNS1_3gpuE0ELNS1_3repE0EEENS1_30default_config_static_selectorELNS0_4arch9wavefront6targetE0EEEvS12_ ; -- Begin function _ZN7rocprim17ROCPRIM_400000_NS6detail17trampoline_kernelINS0_13select_configILj256ELj13ELNS0_17block_load_methodE3ELS4_3ELS4_3ELNS0_20block_scan_algorithmE0ELj4294967295EEENS1_25partition_config_selectorILNS1_17partition_subalgoE4EjNS0_10empty_typeEbEEZZNS1_14partition_implILS8_4ELb0ES6_15HIP_vector_typeIjLj2EENS0_17counting_iteratorIjlEEPS9_SG_NS0_5tupleIJPjSI_NS0_16reverse_iteratorISI_EEEEENSH_IJSG_SG_SG_EEES9_SI_JZNS1_25segmented_radix_sort_implINS0_14default_configELb1EPKsPsPKlPlN2at6native12_GLOBAL__N_18offset_tEEE10hipError_tPvRmT1_PNSt15iterator_traitsIS12_E10value_typeET2_T3_PNS13_IS18_E10value_typeET4_jRbjT5_S1E_jjP12ihipStream_tbEUljE_ZNSN_ISO_Lb1ESQ_SR_ST_SU_SY_EESZ_S10_S11_S12_S16_S17_S18_S1B_S1C_jS1D_jS1E_S1E_jjS1G_bEUljE0_EEESZ_S10_S11_S18_S1C_S1E_T6_T7_T9_mT8_S1G_bDpT10_ENKUlT_T0_E_clISt17integral_constantIbLb1EES1U_EEDaS1P_S1Q_EUlS1P_E_NS1_11comp_targetILNS1_3genE0ELNS1_11target_archE4294967295ELNS1_3gpuE0ELNS1_3repE0EEENS1_30default_config_static_selectorELNS0_4arch9wavefront6targetE0EEEvS12_
	.p2align	8
	.type	_ZN7rocprim17ROCPRIM_400000_NS6detail17trampoline_kernelINS0_13select_configILj256ELj13ELNS0_17block_load_methodE3ELS4_3ELS4_3ELNS0_20block_scan_algorithmE0ELj4294967295EEENS1_25partition_config_selectorILNS1_17partition_subalgoE4EjNS0_10empty_typeEbEEZZNS1_14partition_implILS8_4ELb0ES6_15HIP_vector_typeIjLj2EENS0_17counting_iteratorIjlEEPS9_SG_NS0_5tupleIJPjSI_NS0_16reverse_iteratorISI_EEEEENSH_IJSG_SG_SG_EEES9_SI_JZNS1_25segmented_radix_sort_implINS0_14default_configELb1EPKsPsPKlPlN2at6native12_GLOBAL__N_18offset_tEEE10hipError_tPvRmT1_PNSt15iterator_traitsIS12_E10value_typeET2_T3_PNS13_IS18_E10value_typeET4_jRbjT5_S1E_jjP12ihipStream_tbEUljE_ZNSN_ISO_Lb1ESQ_SR_ST_SU_SY_EESZ_S10_S11_S12_S16_S17_S18_S1B_S1C_jS1D_jS1E_S1E_jjS1G_bEUljE0_EEESZ_S10_S11_S18_S1C_S1E_T6_T7_T9_mT8_S1G_bDpT10_ENKUlT_T0_E_clISt17integral_constantIbLb1EES1U_EEDaS1P_S1Q_EUlS1P_E_NS1_11comp_targetILNS1_3genE0ELNS1_11target_archE4294967295ELNS1_3gpuE0ELNS1_3repE0EEENS1_30default_config_static_selectorELNS0_4arch9wavefront6targetE0EEEvS12_,@function
_ZN7rocprim17ROCPRIM_400000_NS6detail17trampoline_kernelINS0_13select_configILj256ELj13ELNS0_17block_load_methodE3ELS4_3ELS4_3ELNS0_20block_scan_algorithmE0ELj4294967295EEENS1_25partition_config_selectorILNS1_17partition_subalgoE4EjNS0_10empty_typeEbEEZZNS1_14partition_implILS8_4ELb0ES6_15HIP_vector_typeIjLj2EENS0_17counting_iteratorIjlEEPS9_SG_NS0_5tupleIJPjSI_NS0_16reverse_iteratorISI_EEEEENSH_IJSG_SG_SG_EEES9_SI_JZNS1_25segmented_radix_sort_implINS0_14default_configELb1EPKsPsPKlPlN2at6native12_GLOBAL__N_18offset_tEEE10hipError_tPvRmT1_PNSt15iterator_traitsIS12_E10value_typeET2_T3_PNS13_IS18_E10value_typeET4_jRbjT5_S1E_jjP12ihipStream_tbEUljE_ZNSN_ISO_Lb1ESQ_SR_ST_SU_SY_EESZ_S10_S11_S12_S16_S17_S18_S1B_S1C_jS1D_jS1E_S1E_jjS1G_bEUljE0_EEESZ_S10_S11_S18_S1C_S1E_T6_T7_T9_mT8_S1G_bDpT10_ENKUlT_T0_E_clISt17integral_constantIbLb1EES1U_EEDaS1P_S1Q_EUlS1P_E_NS1_11comp_targetILNS1_3genE0ELNS1_11target_archE4294967295ELNS1_3gpuE0ELNS1_3repE0EEENS1_30default_config_static_selectorELNS0_4arch9wavefront6targetE0EEEvS12_: ; @_ZN7rocprim17ROCPRIM_400000_NS6detail17trampoline_kernelINS0_13select_configILj256ELj13ELNS0_17block_load_methodE3ELS4_3ELS4_3ELNS0_20block_scan_algorithmE0ELj4294967295EEENS1_25partition_config_selectorILNS1_17partition_subalgoE4EjNS0_10empty_typeEbEEZZNS1_14partition_implILS8_4ELb0ES6_15HIP_vector_typeIjLj2EENS0_17counting_iteratorIjlEEPS9_SG_NS0_5tupleIJPjSI_NS0_16reverse_iteratorISI_EEEEENSH_IJSG_SG_SG_EEES9_SI_JZNS1_25segmented_radix_sort_implINS0_14default_configELb1EPKsPsPKlPlN2at6native12_GLOBAL__N_18offset_tEEE10hipError_tPvRmT1_PNSt15iterator_traitsIS12_E10value_typeET2_T3_PNS13_IS18_E10value_typeET4_jRbjT5_S1E_jjP12ihipStream_tbEUljE_ZNSN_ISO_Lb1ESQ_SR_ST_SU_SY_EESZ_S10_S11_S12_S16_S17_S18_S1B_S1C_jS1D_jS1E_S1E_jjS1G_bEUljE0_EEESZ_S10_S11_S18_S1C_S1E_T6_T7_T9_mT8_S1G_bDpT10_ENKUlT_T0_E_clISt17integral_constantIbLb1EES1U_EEDaS1P_S1Q_EUlS1P_E_NS1_11comp_targetILNS1_3genE0ELNS1_11target_archE4294967295ELNS1_3gpuE0ELNS1_3repE0EEENS1_30default_config_static_selectorELNS0_4arch9wavefront6targetE0EEEvS12_
; %bb.0:
	.section	.rodata,"a",@progbits
	.p2align	6, 0x0
	.amdhsa_kernel _ZN7rocprim17ROCPRIM_400000_NS6detail17trampoline_kernelINS0_13select_configILj256ELj13ELNS0_17block_load_methodE3ELS4_3ELS4_3ELNS0_20block_scan_algorithmE0ELj4294967295EEENS1_25partition_config_selectorILNS1_17partition_subalgoE4EjNS0_10empty_typeEbEEZZNS1_14partition_implILS8_4ELb0ES6_15HIP_vector_typeIjLj2EENS0_17counting_iteratorIjlEEPS9_SG_NS0_5tupleIJPjSI_NS0_16reverse_iteratorISI_EEEEENSH_IJSG_SG_SG_EEES9_SI_JZNS1_25segmented_radix_sort_implINS0_14default_configELb1EPKsPsPKlPlN2at6native12_GLOBAL__N_18offset_tEEE10hipError_tPvRmT1_PNSt15iterator_traitsIS12_E10value_typeET2_T3_PNS13_IS18_E10value_typeET4_jRbjT5_S1E_jjP12ihipStream_tbEUljE_ZNSN_ISO_Lb1ESQ_SR_ST_SU_SY_EESZ_S10_S11_S12_S16_S17_S18_S1B_S1C_jS1D_jS1E_S1E_jjS1G_bEUljE0_EEESZ_S10_S11_S18_S1C_S1E_T6_T7_T9_mT8_S1G_bDpT10_ENKUlT_T0_E_clISt17integral_constantIbLb1EES1U_EEDaS1P_S1Q_EUlS1P_E_NS1_11comp_targetILNS1_3genE0ELNS1_11target_archE4294967295ELNS1_3gpuE0ELNS1_3repE0EEENS1_30default_config_static_selectorELNS0_4arch9wavefront6targetE0EEEvS12_
		.amdhsa_group_segment_fixed_size 0
		.amdhsa_private_segment_fixed_size 0
		.amdhsa_kernarg_size 184
		.amdhsa_user_sgpr_count 2
		.amdhsa_user_sgpr_dispatch_ptr 0
		.amdhsa_user_sgpr_queue_ptr 0
		.amdhsa_user_sgpr_kernarg_segment_ptr 1
		.amdhsa_user_sgpr_dispatch_id 0
		.amdhsa_user_sgpr_private_segment_size 0
		.amdhsa_wavefront_size32 1
		.amdhsa_uses_dynamic_stack 0
		.amdhsa_enable_private_segment 0
		.amdhsa_system_sgpr_workgroup_id_x 1
		.amdhsa_system_sgpr_workgroup_id_y 0
		.amdhsa_system_sgpr_workgroup_id_z 0
		.amdhsa_system_sgpr_workgroup_info 0
		.amdhsa_system_vgpr_workitem_id 0
		.amdhsa_next_free_vgpr 1
		.amdhsa_next_free_sgpr 1
		.amdhsa_reserve_vcc 0
		.amdhsa_float_round_mode_32 0
		.amdhsa_float_round_mode_16_64 0
		.amdhsa_float_denorm_mode_32 3
		.amdhsa_float_denorm_mode_16_64 3
		.amdhsa_fp16_overflow 0
		.amdhsa_workgroup_processor_mode 1
		.amdhsa_memory_ordered 1
		.amdhsa_forward_progress 1
		.amdhsa_inst_pref_size 0
		.amdhsa_round_robin_scheduling 0
		.amdhsa_exception_fp_ieee_invalid_op 0
		.amdhsa_exception_fp_denorm_src 0
		.amdhsa_exception_fp_ieee_div_zero 0
		.amdhsa_exception_fp_ieee_overflow 0
		.amdhsa_exception_fp_ieee_underflow 0
		.amdhsa_exception_fp_ieee_inexact 0
		.amdhsa_exception_int_div_zero 0
	.end_amdhsa_kernel
	.section	.text._ZN7rocprim17ROCPRIM_400000_NS6detail17trampoline_kernelINS0_13select_configILj256ELj13ELNS0_17block_load_methodE3ELS4_3ELS4_3ELNS0_20block_scan_algorithmE0ELj4294967295EEENS1_25partition_config_selectorILNS1_17partition_subalgoE4EjNS0_10empty_typeEbEEZZNS1_14partition_implILS8_4ELb0ES6_15HIP_vector_typeIjLj2EENS0_17counting_iteratorIjlEEPS9_SG_NS0_5tupleIJPjSI_NS0_16reverse_iteratorISI_EEEEENSH_IJSG_SG_SG_EEES9_SI_JZNS1_25segmented_radix_sort_implINS0_14default_configELb1EPKsPsPKlPlN2at6native12_GLOBAL__N_18offset_tEEE10hipError_tPvRmT1_PNSt15iterator_traitsIS12_E10value_typeET2_T3_PNS13_IS18_E10value_typeET4_jRbjT5_S1E_jjP12ihipStream_tbEUljE_ZNSN_ISO_Lb1ESQ_SR_ST_SU_SY_EESZ_S10_S11_S12_S16_S17_S18_S1B_S1C_jS1D_jS1E_S1E_jjS1G_bEUljE0_EEESZ_S10_S11_S18_S1C_S1E_T6_T7_T9_mT8_S1G_bDpT10_ENKUlT_T0_E_clISt17integral_constantIbLb1EES1U_EEDaS1P_S1Q_EUlS1P_E_NS1_11comp_targetILNS1_3genE0ELNS1_11target_archE4294967295ELNS1_3gpuE0ELNS1_3repE0EEENS1_30default_config_static_selectorELNS0_4arch9wavefront6targetE0EEEvS12_,"axG",@progbits,_ZN7rocprim17ROCPRIM_400000_NS6detail17trampoline_kernelINS0_13select_configILj256ELj13ELNS0_17block_load_methodE3ELS4_3ELS4_3ELNS0_20block_scan_algorithmE0ELj4294967295EEENS1_25partition_config_selectorILNS1_17partition_subalgoE4EjNS0_10empty_typeEbEEZZNS1_14partition_implILS8_4ELb0ES6_15HIP_vector_typeIjLj2EENS0_17counting_iteratorIjlEEPS9_SG_NS0_5tupleIJPjSI_NS0_16reverse_iteratorISI_EEEEENSH_IJSG_SG_SG_EEES9_SI_JZNS1_25segmented_radix_sort_implINS0_14default_configELb1EPKsPsPKlPlN2at6native12_GLOBAL__N_18offset_tEEE10hipError_tPvRmT1_PNSt15iterator_traitsIS12_E10value_typeET2_T3_PNS13_IS18_E10value_typeET4_jRbjT5_S1E_jjP12ihipStream_tbEUljE_ZNSN_ISO_Lb1ESQ_SR_ST_SU_SY_EESZ_S10_S11_S12_S16_S17_S18_S1B_S1C_jS1D_jS1E_S1E_jjS1G_bEUljE0_EEESZ_S10_S11_S18_S1C_S1E_T6_T7_T9_mT8_S1G_bDpT10_ENKUlT_T0_E_clISt17integral_constantIbLb1EES1U_EEDaS1P_S1Q_EUlS1P_E_NS1_11comp_targetILNS1_3genE0ELNS1_11target_archE4294967295ELNS1_3gpuE0ELNS1_3repE0EEENS1_30default_config_static_selectorELNS0_4arch9wavefront6targetE0EEEvS12_,comdat
.Lfunc_end855:
	.size	_ZN7rocprim17ROCPRIM_400000_NS6detail17trampoline_kernelINS0_13select_configILj256ELj13ELNS0_17block_load_methodE3ELS4_3ELS4_3ELNS0_20block_scan_algorithmE0ELj4294967295EEENS1_25partition_config_selectorILNS1_17partition_subalgoE4EjNS0_10empty_typeEbEEZZNS1_14partition_implILS8_4ELb0ES6_15HIP_vector_typeIjLj2EENS0_17counting_iteratorIjlEEPS9_SG_NS0_5tupleIJPjSI_NS0_16reverse_iteratorISI_EEEEENSH_IJSG_SG_SG_EEES9_SI_JZNS1_25segmented_radix_sort_implINS0_14default_configELb1EPKsPsPKlPlN2at6native12_GLOBAL__N_18offset_tEEE10hipError_tPvRmT1_PNSt15iterator_traitsIS12_E10value_typeET2_T3_PNS13_IS18_E10value_typeET4_jRbjT5_S1E_jjP12ihipStream_tbEUljE_ZNSN_ISO_Lb1ESQ_SR_ST_SU_SY_EESZ_S10_S11_S12_S16_S17_S18_S1B_S1C_jS1D_jS1E_S1E_jjS1G_bEUljE0_EEESZ_S10_S11_S18_S1C_S1E_T6_T7_T9_mT8_S1G_bDpT10_ENKUlT_T0_E_clISt17integral_constantIbLb1EES1U_EEDaS1P_S1Q_EUlS1P_E_NS1_11comp_targetILNS1_3genE0ELNS1_11target_archE4294967295ELNS1_3gpuE0ELNS1_3repE0EEENS1_30default_config_static_selectorELNS0_4arch9wavefront6targetE0EEEvS12_, .Lfunc_end855-_ZN7rocprim17ROCPRIM_400000_NS6detail17trampoline_kernelINS0_13select_configILj256ELj13ELNS0_17block_load_methodE3ELS4_3ELS4_3ELNS0_20block_scan_algorithmE0ELj4294967295EEENS1_25partition_config_selectorILNS1_17partition_subalgoE4EjNS0_10empty_typeEbEEZZNS1_14partition_implILS8_4ELb0ES6_15HIP_vector_typeIjLj2EENS0_17counting_iteratorIjlEEPS9_SG_NS0_5tupleIJPjSI_NS0_16reverse_iteratorISI_EEEEENSH_IJSG_SG_SG_EEES9_SI_JZNS1_25segmented_radix_sort_implINS0_14default_configELb1EPKsPsPKlPlN2at6native12_GLOBAL__N_18offset_tEEE10hipError_tPvRmT1_PNSt15iterator_traitsIS12_E10value_typeET2_T3_PNS13_IS18_E10value_typeET4_jRbjT5_S1E_jjP12ihipStream_tbEUljE_ZNSN_ISO_Lb1ESQ_SR_ST_SU_SY_EESZ_S10_S11_S12_S16_S17_S18_S1B_S1C_jS1D_jS1E_S1E_jjS1G_bEUljE0_EEESZ_S10_S11_S18_S1C_S1E_T6_T7_T9_mT8_S1G_bDpT10_ENKUlT_T0_E_clISt17integral_constantIbLb1EES1U_EEDaS1P_S1Q_EUlS1P_E_NS1_11comp_targetILNS1_3genE0ELNS1_11target_archE4294967295ELNS1_3gpuE0ELNS1_3repE0EEENS1_30default_config_static_selectorELNS0_4arch9wavefront6targetE0EEEvS12_
                                        ; -- End function
	.set _ZN7rocprim17ROCPRIM_400000_NS6detail17trampoline_kernelINS0_13select_configILj256ELj13ELNS0_17block_load_methodE3ELS4_3ELS4_3ELNS0_20block_scan_algorithmE0ELj4294967295EEENS1_25partition_config_selectorILNS1_17partition_subalgoE4EjNS0_10empty_typeEbEEZZNS1_14partition_implILS8_4ELb0ES6_15HIP_vector_typeIjLj2EENS0_17counting_iteratorIjlEEPS9_SG_NS0_5tupleIJPjSI_NS0_16reverse_iteratorISI_EEEEENSH_IJSG_SG_SG_EEES9_SI_JZNS1_25segmented_radix_sort_implINS0_14default_configELb1EPKsPsPKlPlN2at6native12_GLOBAL__N_18offset_tEEE10hipError_tPvRmT1_PNSt15iterator_traitsIS12_E10value_typeET2_T3_PNS13_IS18_E10value_typeET4_jRbjT5_S1E_jjP12ihipStream_tbEUljE_ZNSN_ISO_Lb1ESQ_SR_ST_SU_SY_EESZ_S10_S11_S12_S16_S17_S18_S1B_S1C_jS1D_jS1E_S1E_jjS1G_bEUljE0_EEESZ_S10_S11_S18_S1C_S1E_T6_T7_T9_mT8_S1G_bDpT10_ENKUlT_T0_E_clISt17integral_constantIbLb1EES1U_EEDaS1P_S1Q_EUlS1P_E_NS1_11comp_targetILNS1_3genE0ELNS1_11target_archE4294967295ELNS1_3gpuE0ELNS1_3repE0EEENS1_30default_config_static_selectorELNS0_4arch9wavefront6targetE0EEEvS12_.num_vgpr, 0
	.set _ZN7rocprim17ROCPRIM_400000_NS6detail17trampoline_kernelINS0_13select_configILj256ELj13ELNS0_17block_load_methodE3ELS4_3ELS4_3ELNS0_20block_scan_algorithmE0ELj4294967295EEENS1_25partition_config_selectorILNS1_17partition_subalgoE4EjNS0_10empty_typeEbEEZZNS1_14partition_implILS8_4ELb0ES6_15HIP_vector_typeIjLj2EENS0_17counting_iteratorIjlEEPS9_SG_NS0_5tupleIJPjSI_NS0_16reverse_iteratorISI_EEEEENSH_IJSG_SG_SG_EEES9_SI_JZNS1_25segmented_radix_sort_implINS0_14default_configELb1EPKsPsPKlPlN2at6native12_GLOBAL__N_18offset_tEEE10hipError_tPvRmT1_PNSt15iterator_traitsIS12_E10value_typeET2_T3_PNS13_IS18_E10value_typeET4_jRbjT5_S1E_jjP12ihipStream_tbEUljE_ZNSN_ISO_Lb1ESQ_SR_ST_SU_SY_EESZ_S10_S11_S12_S16_S17_S18_S1B_S1C_jS1D_jS1E_S1E_jjS1G_bEUljE0_EEESZ_S10_S11_S18_S1C_S1E_T6_T7_T9_mT8_S1G_bDpT10_ENKUlT_T0_E_clISt17integral_constantIbLb1EES1U_EEDaS1P_S1Q_EUlS1P_E_NS1_11comp_targetILNS1_3genE0ELNS1_11target_archE4294967295ELNS1_3gpuE0ELNS1_3repE0EEENS1_30default_config_static_selectorELNS0_4arch9wavefront6targetE0EEEvS12_.num_agpr, 0
	.set _ZN7rocprim17ROCPRIM_400000_NS6detail17trampoline_kernelINS0_13select_configILj256ELj13ELNS0_17block_load_methodE3ELS4_3ELS4_3ELNS0_20block_scan_algorithmE0ELj4294967295EEENS1_25partition_config_selectorILNS1_17partition_subalgoE4EjNS0_10empty_typeEbEEZZNS1_14partition_implILS8_4ELb0ES6_15HIP_vector_typeIjLj2EENS0_17counting_iteratorIjlEEPS9_SG_NS0_5tupleIJPjSI_NS0_16reverse_iteratorISI_EEEEENSH_IJSG_SG_SG_EEES9_SI_JZNS1_25segmented_radix_sort_implINS0_14default_configELb1EPKsPsPKlPlN2at6native12_GLOBAL__N_18offset_tEEE10hipError_tPvRmT1_PNSt15iterator_traitsIS12_E10value_typeET2_T3_PNS13_IS18_E10value_typeET4_jRbjT5_S1E_jjP12ihipStream_tbEUljE_ZNSN_ISO_Lb1ESQ_SR_ST_SU_SY_EESZ_S10_S11_S12_S16_S17_S18_S1B_S1C_jS1D_jS1E_S1E_jjS1G_bEUljE0_EEESZ_S10_S11_S18_S1C_S1E_T6_T7_T9_mT8_S1G_bDpT10_ENKUlT_T0_E_clISt17integral_constantIbLb1EES1U_EEDaS1P_S1Q_EUlS1P_E_NS1_11comp_targetILNS1_3genE0ELNS1_11target_archE4294967295ELNS1_3gpuE0ELNS1_3repE0EEENS1_30default_config_static_selectorELNS0_4arch9wavefront6targetE0EEEvS12_.numbered_sgpr, 0
	.set _ZN7rocprim17ROCPRIM_400000_NS6detail17trampoline_kernelINS0_13select_configILj256ELj13ELNS0_17block_load_methodE3ELS4_3ELS4_3ELNS0_20block_scan_algorithmE0ELj4294967295EEENS1_25partition_config_selectorILNS1_17partition_subalgoE4EjNS0_10empty_typeEbEEZZNS1_14partition_implILS8_4ELb0ES6_15HIP_vector_typeIjLj2EENS0_17counting_iteratorIjlEEPS9_SG_NS0_5tupleIJPjSI_NS0_16reverse_iteratorISI_EEEEENSH_IJSG_SG_SG_EEES9_SI_JZNS1_25segmented_radix_sort_implINS0_14default_configELb1EPKsPsPKlPlN2at6native12_GLOBAL__N_18offset_tEEE10hipError_tPvRmT1_PNSt15iterator_traitsIS12_E10value_typeET2_T3_PNS13_IS18_E10value_typeET4_jRbjT5_S1E_jjP12ihipStream_tbEUljE_ZNSN_ISO_Lb1ESQ_SR_ST_SU_SY_EESZ_S10_S11_S12_S16_S17_S18_S1B_S1C_jS1D_jS1E_S1E_jjS1G_bEUljE0_EEESZ_S10_S11_S18_S1C_S1E_T6_T7_T9_mT8_S1G_bDpT10_ENKUlT_T0_E_clISt17integral_constantIbLb1EES1U_EEDaS1P_S1Q_EUlS1P_E_NS1_11comp_targetILNS1_3genE0ELNS1_11target_archE4294967295ELNS1_3gpuE0ELNS1_3repE0EEENS1_30default_config_static_selectorELNS0_4arch9wavefront6targetE0EEEvS12_.num_named_barrier, 0
	.set _ZN7rocprim17ROCPRIM_400000_NS6detail17trampoline_kernelINS0_13select_configILj256ELj13ELNS0_17block_load_methodE3ELS4_3ELS4_3ELNS0_20block_scan_algorithmE0ELj4294967295EEENS1_25partition_config_selectorILNS1_17partition_subalgoE4EjNS0_10empty_typeEbEEZZNS1_14partition_implILS8_4ELb0ES6_15HIP_vector_typeIjLj2EENS0_17counting_iteratorIjlEEPS9_SG_NS0_5tupleIJPjSI_NS0_16reverse_iteratorISI_EEEEENSH_IJSG_SG_SG_EEES9_SI_JZNS1_25segmented_radix_sort_implINS0_14default_configELb1EPKsPsPKlPlN2at6native12_GLOBAL__N_18offset_tEEE10hipError_tPvRmT1_PNSt15iterator_traitsIS12_E10value_typeET2_T3_PNS13_IS18_E10value_typeET4_jRbjT5_S1E_jjP12ihipStream_tbEUljE_ZNSN_ISO_Lb1ESQ_SR_ST_SU_SY_EESZ_S10_S11_S12_S16_S17_S18_S1B_S1C_jS1D_jS1E_S1E_jjS1G_bEUljE0_EEESZ_S10_S11_S18_S1C_S1E_T6_T7_T9_mT8_S1G_bDpT10_ENKUlT_T0_E_clISt17integral_constantIbLb1EES1U_EEDaS1P_S1Q_EUlS1P_E_NS1_11comp_targetILNS1_3genE0ELNS1_11target_archE4294967295ELNS1_3gpuE0ELNS1_3repE0EEENS1_30default_config_static_selectorELNS0_4arch9wavefront6targetE0EEEvS12_.private_seg_size, 0
	.set _ZN7rocprim17ROCPRIM_400000_NS6detail17trampoline_kernelINS0_13select_configILj256ELj13ELNS0_17block_load_methodE3ELS4_3ELS4_3ELNS0_20block_scan_algorithmE0ELj4294967295EEENS1_25partition_config_selectorILNS1_17partition_subalgoE4EjNS0_10empty_typeEbEEZZNS1_14partition_implILS8_4ELb0ES6_15HIP_vector_typeIjLj2EENS0_17counting_iteratorIjlEEPS9_SG_NS0_5tupleIJPjSI_NS0_16reverse_iteratorISI_EEEEENSH_IJSG_SG_SG_EEES9_SI_JZNS1_25segmented_radix_sort_implINS0_14default_configELb1EPKsPsPKlPlN2at6native12_GLOBAL__N_18offset_tEEE10hipError_tPvRmT1_PNSt15iterator_traitsIS12_E10value_typeET2_T3_PNS13_IS18_E10value_typeET4_jRbjT5_S1E_jjP12ihipStream_tbEUljE_ZNSN_ISO_Lb1ESQ_SR_ST_SU_SY_EESZ_S10_S11_S12_S16_S17_S18_S1B_S1C_jS1D_jS1E_S1E_jjS1G_bEUljE0_EEESZ_S10_S11_S18_S1C_S1E_T6_T7_T9_mT8_S1G_bDpT10_ENKUlT_T0_E_clISt17integral_constantIbLb1EES1U_EEDaS1P_S1Q_EUlS1P_E_NS1_11comp_targetILNS1_3genE0ELNS1_11target_archE4294967295ELNS1_3gpuE0ELNS1_3repE0EEENS1_30default_config_static_selectorELNS0_4arch9wavefront6targetE0EEEvS12_.uses_vcc, 0
	.set _ZN7rocprim17ROCPRIM_400000_NS6detail17trampoline_kernelINS0_13select_configILj256ELj13ELNS0_17block_load_methodE3ELS4_3ELS4_3ELNS0_20block_scan_algorithmE0ELj4294967295EEENS1_25partition_config_selectorILNS1_17partition_subalgoE4EjNS0_10empty_typeEbEEZZNS1_14partition_implILS8_4ELb0ES6_15HIP_vector_typeIjLj2EENS0_17counting_iteratorIjlEEPS9_SG_NS0_5tupleIJPjSI_NS0_16reverse_iteratorISI_EEEEENSH_IJSG_SG_SG_EEES9_SI_JZNS1_25segmented_radix_sort_implINS0_14default_configELb1EPKsPsPKlPlN2at6native12_GLOBAL__N_18offset_tEEE10hipError_tPvRmT1_PNSt15iterator_traitsIS12_E10value_typeET2_T3_PNS13_IS18_E10value_typeET4_jRbjT5_S1E_jjP12ihipStream_tbEUljE_ZNSN_ISO_Lb1ESQ_SR_ST_SU_SY_EESZ_S10_S11_S12_S16_S17_S18_S1B_S1C_jS1D_jS1E_S1E_jjS1G_bEUljE0_EEESZ_S10_S11_S18_S1C_S1E_T6_T7_T9_mT8_S1G_bDpT10_ENKUlT_T0_E_clISt17integral_constantIbLb1EES1U_EEDaS1P_S1Q_EUlS1P_E_NS1_11comp_targetILNS1_3genE0ELNS1_11target_archE4294967295ELNS1_3gpuE0ELNS1_3repE0EEENS1_30default_config_static_selectorELNS0_4arch9wavefront6targetE0EEEvS12_.uses_flat_scratch, 0
	.set _ZN7rocprim17ROCPRIM_400000_NS6detail17trampoline_kernelINS0_13select_configILj256ELj13ELNS0_17block_load_methodE3ELS4_3ELS4_3ELNS0_20block_scan_algorithmE0ELj4294967295EEENS1_25partition_config_selectorILNS1_17partition_subalgoE4EjNS0_10empty_typeEbEEZZNS1_14partition_implILS8_4ELb0ES6_15HIP_vector_typeIjLj2EENS0_17counting_iteratorIjlEEPS9_SG_NS0_5tupleIJPjSI_NS0_16reverse_iteratorISI_EEEEENSH_IJSG_SG_SG_EEES9_SI_JZNS1_25segmented_radix_sort_implINS0_14default_configELb1EPKsPsPKlPlN2at6native12_GLOBAL__N_18offset_tEEE10hipError_tPvRmT1_PNSt15iterator_traitsIS12_E10value_typeET2_T3_PNS13_IS18_E10value_typeET4_jRbjT5_S1E_jjP12ihipStream_tbEUljE_ZNSN_ISO_Lb1ESQ_SR_ST_SU_SY_EESZ_S10_S11_S12_S16_S17_S18_S1B_S1C_jS1D_jS1E_S1E_jjS1G_bEUljE0_EEESZ_S10_S11_S18_S1C_S1E_T6_T7_T9_mT8_S1G_bDpT10_ENKUlT_T0_E_clISt17integral_constantIbLb1EES1U_EEDaS1P_S1Q_EUlS1P_E_NS1_11comp_targetILNS1_3genE0ELNS1_11target_archE4294967295ELNS1_3gpuE0ELNS1_3repE0EEENS1_30default_config_static_selectorELNS0_4arch9wavefront6targetE0EEEvS12_.has_dyn_sized_stack, 0
	.set _ZN7rocprim17ROCPRIM_400000_NS6detail17trampoline_kernelINS0_13select_configILj256ELj13ELNS0_17block_load_methodE3ELS4_3ELS4_3ELNS0_20block_scan_algorithmE0ELj4294967295EEENS1_25partition_config_selectorILNS1_17partition_subalgoE4EjNS0_10empty_typeEbEEZZNS1_14partition_implILS8_4ELb0ES6_15HIP_vector_typeIjLj2EENS0_17counting_iteratorIjlEEPS9_SG_NS0_5tupleIJPjSI_NS0_16reverse_iteratorISI_EEEEENSH_IJSG_SG_SG_EEES9_SI_JZNS1_25segmented_radix_sort_implINS0_14default_configELb1EPKsPsPKlPlN2at6native12_GLOBAL__N_18offset_tEEE10hipError_tPvRmT1_PNSt15iterator_traitsIS12_E10value_typeET2_T3_PNS13_IS18_E10value_typeET4_jRbjT5_S1E_jjP12ihipStream_tbEUljE_ZNSN_ISO_Lb1ESQ_SR_ST_SU_SY_EESZ_S10_S11_S12_S16_S17_S18_S1B_S1C_jS1D_jS1E_S1E_jjS1G_bEUljE0_EEESZ_S10_S11_S18_S1C_S1E_T6_T7_T9_mT8_S1G_bDpT10_ENKUlT_T0_E_clISt17integral_constantIbLb1EES1U_EEDaS1P_S1Q_EUlS1P_E_NS1_11comp_targetILNS1_3genE0ELNS1_11target_archE4294967295ELNS1_3gpuE0ELNS1_3repE0EEENS1_30default_config_static_selectorELNS0_4arch9wavefront6targetE0EEEvS12_.has_recursion, 0
	.set _ZN7rocprim17ROCPRIM_400000_NS6detail17trampoline_kernelINS0_13select_configILj256ELj13ELNS0_17block_load_methodE3ELS4_3ELS4_3ELNS0_20block_scan_algorithmE0ELj4294967295EEENS1_25partition_config_selectorILNS1_17partition_subalgoE4EjNS0_10empty_typeEbEEZZNS1_14partition_implILS8_4ELb0ES6_15HIP_vector_typeIjLj2EENS0_17counting_iteratorIjlEEPS9_SG_NS0_5tupleIJPjSI_NS0_16reverse_iteratorISI_EEEEENSH_IJSG_SG_SG_EEES9_SI_JZNS1_25segmented_radix_sort_implINS0_14default_configELb1EPKsPsPKlPlN2at6native12_GLOBAL__N_18offset_tEEE10hipError_tPvRmT1_PNSt15iterator_traitsIS12_E10value_typeET2_T3_PNS13_IS18_E10value_typeET4_jRbjT5_S1E_jjP12ihipStream_tbEUljE_ZNSN_ISO_Lb1ESQ_SR_ST_SU_SY_EESZ_S10_S11_S12_S16_S17_S18_S1B_S1C_jS1D_jS1E_S1E_jjS1G_bEUljE0_EEESZ_S10_S11_S18_S1C_S1E_T6_T7_T9_mT8_S1G_bDpT10_ENKUlT_T0_E_clISt17integral_constantIbLb1EES1U_EEDaS1P_S1Q_EUlS1P_E_NS1_11comp_targetILNS1_3genE0ELNS1_11target_archE4294967295ELNS1_3gpuE0ELNS1_3repE0EEENS1_30default_config_static_selectorELNS0_4arch9wavefront6targetE0EEEvS12_.has_indirect_call, 0
	.section	.AMDGPU.csdata,"",@progbits
; Kernel info:
; codeLenInByte = 0
; TotalNumSgprs: 0
; NumVgprs: 0
; ScratchSize: 0
; MemoryBound: 0
; FloatMode: 240
; IeeeMode: 1
; LDSByteSize: 0 bytes/workgroup (compile time only)
; SGPRBlocks: 0
; VGPRBlocks: 0
; NumSGPRsForWavesPerEU: 1
; NumVGPRsForWavesPerEU: 1
; Occupancy: 16
; WaveLimiterHint : 0
; COMPUTE_PGM_RSRC2:SCRATCH_EN: 0
; COMPUTE_PGM_RSRC2:USER_SGPR: 2
; COMPUTE_PGM_RSRC2:TRAP_HANDLER: 0
; COMPUTE_PGM_RSRC2:TGID_X_EN: 1
; COMPUTE_PGM_RSRC2:TGID_Y_EN: 0
; COMPUTE_PGM_RSRC2:TGID_Z_EN: 0
; COMPUTE_PGM_RSRC2:TIDIG_COMP_CNT: 0
	.section	.text._ZN7rocprim17ROCPRIM_400000_NS6detail17trampoline_kernelINS0_13select_configILj256ELj13ELNS0_17block_load_methodE3ELS4_3ELS4_3ELNS0_20block_scan_algorithmE0ELj4294967295EEENS1_25partition_config_selectorILNS1_17partition_subalgoE4EjNS0_10empty_typeEbEEZZNS1_14partition_implILS8_4ELb0ES6_15HIP_vector_typeIjLj2EENS0_17counting_iteratorIjlEEPS9_SG_NS0_5tupleIJPjSI_NS0_16reverse_iteratorISI_EEEEENSH_IJSG_SG_SG_EEES9_SI_JZNS1_25segmented_radix_sort_implINS0_14default_configELb1EPKsPsPKlPlN2at6native12_GLOBAL__N_18offset_tEEE10hipError_tPvRmT1_PNSt15iterator_traitsIS12_E10value_typeET2_T3_PNS13_IS18_E10value_typeET4_jRbjT5_S1E_jjP12ihipStream_tbEUljE_ZNSN_ISO_Lb1ESQ_SR_ST_SU_SY_EESZ_S10_S11_S12_S16_S17_S18_S1B_S1C_jS1D_jS1E_S1E_jjS1G_bEUljE0_EEESZ_S10_S11_S18_S1C_S1E_T6_T7_T9_mT8_S1G_bDpT10_ENKUlT_T0_E_clISt17integral_constantIbLb1EES1U_EEDaS1P_S1Q_EUlS1P_E_NS1_11comp_targetILNS1_3genE5ELNS1_11target_archE942ELNS1_3gpuE9ELNS1_3repE0EEENS1_30default_config_static_selectorELNS0_4arch9wavefront6targetE0EEEvS12_,"axG",@progbits,_ZN7rocprim17ROCPRIM_400000_NS6detail17trampoline_kernelINS0_13select_configILj256ELj13ELNS0_17block_load_methodE3ELS4_3ELS4_3ELNS0_20block_scan_algorithmE0ELj4294967295EEENS1_25partition_config_selectorILNS1_17partition_subalgoE4EjNS0_10empty_typeEbEEZZNS1_14partition_implILS8_4ELb0ES6_15HIP_vector_typeIjLj2EENS0_17counting_iteratorIjlEEPS9_SG_NS0_5tupleIJPjSI_NS0_16reverse_iteratorISI_EEEEENSH_IJSG_SG_SG_EEES9_SI_JZNS1_25segmented_radix_sort_implINS0_14default_configELb1EPKsPsPKlPlN2at6native12_GLOBAL__N_18offset_tEEE10hipError_tPvRmT1_PNSt15iterator_traitsIS12_E10value_typeET2_T3_PNS13_IS18_E10value_typeET4_jRbjT5_S1E_jjP12ihipStream_tbEUljE_ZNSN_ISO_Lb1ESQ_SR_ST_SU_SY_EESZ_S10_S11_S12_S16_S17_S18_S1B_S1C_jS1D_jS1E_S1E_jjS1G_bEUljE0_EEESZ_S10_S11_S18_S1C_S1E_T6_T7_T9_mT8_S1G_bDpT10_ENKUlT_T0_E_clISt17integral_constantIbLb1EES1U_EEDaS1P_S1Q_EUlS1P_E_NS1_11comp_targetILNS1_3genE5ELNS1_11target_archE942ELNS1_3gpuE9ELNS1_3repE0EEENS1_30default_config_static_selectorELNS0_4arch9wavefront6targetE0EEEvS12_,comdat
	.globl	_ZN7rocprim17ROCPRIM_400000_NS6detail17trampoline_kernelINS0_13select_configILj256ELj13ELNS0_17block_load_methodE3ELS4_3ELS4_3ELNS0_20block_scan_algorithmE0ELj4294967295EEENS1_25partition_config_selectorILNS1_17partition_subalgoE4EjNS0_10empty_typeEbEEZZNS1_14partition_implILS8_4ELb0ES6_15HIP_vector_typeIjLj2EENS0_17counting_iteratorIjlEEPS9_SG_NS0_5tupleIJPjSI_NS0_16reverse_iteratorISI_EEEEENSH_IJSG_SG_SG_EEES9_SI_JZNS1_25segmented_radix_sort_implINS0_14default_configELb1EPKsPsPKlPlN2at6native12_GLOBAL__N_18offset_tEEE10hipError_tPvRmT1_PNSt15iterator_traitsIS12_E10value_typeET2_T3_PNS13_IS18_E10value_typeET4_jRbjT5_S1E_jjP12ihipStream_tbEUljE_ZNSN_ISO_Lb1ESQ_SR_ST_SU_SY_EESZ_S10_S11_S12_S16_S17_S18_S1B_S1C_jS1D_jS1E_S1E_jjS1G_bEUljE0_EEESZ_S10_S11_S18_S1C_S1E_T6_T7_T9_mT8_S1G_bDpT10_ENKUlT_T0_E_clISt17integral_constantIbLb1EES1U_EEDaS1P_S1Q_EUlS1P_E_NS1_11comp_targetILNS1_3genE5ELNS1_11target_archE942ELNS1_3gpuE9ELNS1_3repE0EEENS1_30default_config_static_selectorELNS0_4arch9wavefront6targetE0EEEvS12_ ; -- Begin function _ZN7rocprim17ROCPRIM_400000_NS6detail17trampoline_kernelINS0_13select_configILj256ELj13ELNS0_17block_load_methodE3ELS4_3ELS4_3ELNS0_20block_scan_algorithmE0ELj4294967295EEENS1_25partition_config_selectorILNS1_17partition_subalgoE4EjNS0_10empty_typeEbEEZZNS1_14partition_implILS8_4ELb0ES6_15HIP_vector_typeIjLj2EENS0_17counting_iteratorIjlEEPS9_SG_NS0_5tupleIJPjSI_NS0_16reverse_iteratorISI_EEEEENSH_IJSG_SG_SG_EEES9_SI_JZNS1_25segmented_radix_sort_implINS0_14default_configELb1EPKsPsPKlPlN2at6native12_GLOBAL__N_18offset_tEEE10hipError_tPvRmT1_PNSt15iterator_traitsIS12_E10value_typeET2_T3_PNS13_IS18_E10value_typeET4_jRbjT5_S1E_jjP12ihipStream_tbEUljE_ZNSN_ISO_Lb1ESQ_SR_ST_SU_SY_EESZ_S10_S11_S12_S16_S17_S18_S1B_S1C_jS1D_jS1E_S1E_jjS1G_bEUljE0_EEESZ_S10_S11_S18_S1C_S1E_T6_T7_T9_mT8_S1G_bDpT10_ENKUlT_T0_E_clISt17integral_constantIbLb1EES1U_EEDaS1P_S1Q_EUlS1P_E_NS1_11comp_targetILNS1_3genE5ELNS1_11target_archE942ELNS1_3gpuE9ELNS1_3repE0EEENS1_30default_config_static_selectorELNS0_4arch9wavefront6targetE0EEEvS12_
	.p2align	8
	.type	_ZN7rocprim17ROCPRIM_400000_NS6detail17trampoline_kernelINS0_13select_configILj256ELj13ELNS0_17block_load_methodE3ELS4_3ELS4_3ELNS0_20block_scan_algorithmE0ELj4294967295EEENS1_25partition_config_selectorILNS1_17partition_subalgoE4EjNS0_10empty_typeEbEEZZNS1_14partition_implILS8_4ELb0ES6_15HIP_vector_typeIjLj2EENS0_17counting_iteratorIjlEEPS9_SG_NS0_5tupleIJPjSI_NS0_16reverse_iteratorISI_EEEEENSH_IJSG_SG_SG_EEES9_SI_JZNS1_25segmented_radix_sort_implINS0_14default_configELb1EPKsPsPKlPlN2at6native12_GLOBAL__N_18offset_tEEE10hipError_tPvRmT1_PNSt15iterator_traitsIS12_E10value_typeET2_T3_PNS13_IS18_E10value_typeET4_jRbjT5_S1E_jjP12ihipStream_tbEUljE_ZNSN_ISO_Lb1ESQ_SR_ST_SU_SY_EESZ_S10_S11_S12_S16_S17_S18_S1B_S1C_jS1D_jS1E_S1E_jjS1G_bEUljE0_EEESZ_S10_S11_S18_S1C_S1E_T6_T7_T9_mT8_S1G_bDpT10_ENKUlT_T0_E_clISt17integral_constantIbLb1EES1U_EEDaS1P_S1Q_EUlS1P_E_NS1_11comp_targetILNS1_3genE5ELNS1_11target_archE942ELNS1_3gpuE9ELNS1_3repE0EEENS1_30default_config_static_selectorELNS0_4arch9wavefront6targetE0EEEvS12_,@function
_ZN7rocprim17ROCPRIM_400000_NS6detail17trampoline_kernelINS0_13select_configILj256ELj13ELNS0_17block_load_methodE3ELS4_3ELS4_3ELNS0_20block_scan_algorithmE0ELj4294967295EEENS1_25partition_config_selectorILNS1_17partition_subalgoE4EjNS0_10empty_typeEbEEZZNS1_14partition_implILS8_4ELb0ES6_15HIP_vector_typeIjLj2EENS0_17counting_iteratorIjlEEPS9_SG_NS0_5tupleIJPjSI_NS0_16reverse_iteratorISI_EEEEENSH_IJSG_SG_SG_EEES9_SI_JZNS1_25segmented_radix_sort_implINS0_14default_configELb1EPKsPsPKlPlN2at6native12_GLOBAL__N_18offset_tEEE10hipError_tPvRmT1_PNSt15iterator_traitsIS12_E10value_typeET2_T3_PNS13_IS18_E10value_typeET4_jRbjT5_S1E_jjP12ihipStream_tbEUljE_ZNSN_ISO_Lb1ESQ_SR_ST_SU_SY_EESZ_S10_S11_S12_S16_S17_S18_S1B_S1C_jS1D_jS1E_S1E_jjS1G_bEUljE0_EEESZ_S10_S11_S18_S1C_S1E_T6_T7_T9_mT8_S1G_bDpT10_ENKUlT_T0_E_clISt17integral_constantIbLb1EES1U_EEDaS1P_S1Q_EUlS1P_E_NS1_11comp_targetILNS1_3genE5ELNS1_11target_archE942ELNS1_3gpuE9ELNS1_3repE0EEENS1_30default_config_static_selectorELNS0_4arch9wavefront6targetE0EEEvS12_: ; @_ZN7rocprim17ROCPRIM_400000_NS6detail17trampoline_kernelINS0_13select_configILj256ELj13ELNS0_17block_load_methodE3ELS4_3ELS4_3ELNS0_20block_scan_algorithmE0ELj4294967295EEENS1_25partition_config_selectorILNS1_17partition_subalgoE4EjNS0_10empty_typeEbEEZZNS1_14partition_implILS8_4ELb0ES6_15HIP_vector_typeIjLj2EENS0_17counting_iteratorIjlEEPS9_SG_NS0_5tupleIJPjSI_NS0_16reverse_iteratorISI_EEEEENSH_IJSG_SG_SG_EEES9_SI_JZNS1_25segmented_radix_sort_implINS0_14default_configELb1EPKsPsPKlPlN2at6native12_GLOBAL__N_18offset_tEEE10hipError_tPvRmT1_PNSt15iterator_traitsIS12_E10value_typeET2_T3_PNS13_IS18_E10value_typeET4_jRbjT5_S1E_jjP12ihipStream_tbEUljE_ZNSN_ISO_Lb1ESQ_SR_ST_SU_SY_EESZ_S10_S11_S12_S16_S17_S18_S1B_S1C_jS1D_jS1E_S1E_jjS1G_bEUljE0_EEESZ_S10_S11_S18_S1C_S1E_T6_T7_T9_mT8_S1G_bDpT10_ENKUlT_T0_E_clISt17integral_constantIbLb1EES1U_EEDaS1P_S1Q_EUlS1P_E_NS1_11comp_targetILNS1_3genE5ELNS1_11target_archE942ELNS1_3gpuE9ELNS1_3repE0EEENS1_30default_config_static_selectorELNS0_4arch9wavefront6targetE0EEEvS12_
; %bb.0:
	.section	.rodata,"a",@progbits
	.p2align	6, 0x0
	.amdhsa_kernel _ZN7rocprim17ROCPRIM_400000_NS6detail17trampoline_kernelINS0_13select_configILj256ELj13ELNS0_17block_load_methodE3ELS4_3ELS4_3ELNS0_20block_scan_algorithmE0ELj4294967295EEENS1_25partition_config_selectorILNS1_17partition_subalgoE4EjNS0_10empty_typeEbEEZZNS1_14partition_implILS8_4ELb0ES6_15HIP_vector_typeIjLj2EENS0_17counting_iteratorIjlEEPS9_SG_NS0_5tupleIJPjSI_NS0_16reverse_iteratorISI_EEEEENSH_IJSG_SG_SG_EEES9_SI_JZNS1_25segmented_radix_sort_implINS0_14default_configELb1EPKsPsPKlPlN2at6native12_GLOBAL__N_18offset_tEEE10hipError_tPvRmT1_PNSt15iterator_traitsIS12_E10value_typeET2_T3_PNS13_IS18_E10value_typeET4_jRbjT5_S1E_jjP12ihipStream_tbEUljE_ZNSN_ISO_Lb1ESQ_SR_ST_SU_SY_EESZ_S10_S11_S12_S16_S17_S18_S1B_S1C_jS1D_jS1E_S1E_jjS1G_bEUljE0_EEESZ_S10_S11_S18_S1C_S1E_T6_T7_T9_mT8_S1G_bDpT10_ENKUlT_T0_E_clISt17integral_constantIbLb1EES1U_EEDaS1P_S1Q_EUlS1P_E_NS1_11comp_targetILNS1_3genE5ELNS1_11target_archE942ELNS1_3gpuE9ELNS1_3repE0EEENS1_30default_config_static_selectorELNS0_4arch9wavefront6targetE0EEEvS12_
		.amdhsa_group_segment_fixed_size 0
		.amdhsa_private_segment_fixed_size 0
		.amdhsa_kernarg_size 184
		.amdhsa_user_sgpr_count 2
		.amdhsa_user_sgpr_dispatch_ptr 0
		.amdhsa_user_sgpr_queue_ptr 0
		.amdhsa_user_sgpr_kernarg_segment_ptr 1
		.amdhsa_user_sgpr_dispatch_id 0
		.amdhsa_user_sgpr_private_segment_size 0
		.amdhsa_wavefront_size32 1
		.amdhsa_uses_dynamic_stack 0
		.amdhsa_enable_private_segment 0
		.amdhsa_system_sgpr_workgroup_id_x 1
		.amdhsa_system_sgpr_workgroup_id_y 0
		.amdhsa_system_sgpr_workgroup_id_z 0
		.amdhsa_system_sgpr_workgroup_info 0
		.amdhsa_system_vgpr_workitem_id 0
		.amdhsa_next_free_vgpr 1
		.amdhsa_next_free_sgpr 1
		.amdhsa_reserve_vcc 0
		.amdhsa_float_round_mode_32 0
		.amdhsa_float_round_mode_16_64 0
		.amdhsa_float_denorm_mode_32 3
		.amdhsa_float_denorm_mode_16_64 3
		.amdhsa_fp16_overflow 0
		.amdhsa_workgroup_processor_mode 1
		.amdhsa_memory_ordered 1
		.amdhsa_forward_progress 1
		.amdhsa_inst_pref_size 0
		.amdhsa_round_robin_scheduling 0
		.amdhsa_exception_fp_ieee_invalid_op 0
		.amdhsa_exception_fp_denorm_src 0
		.amdhsa_exception_fp_ieee_div_zero 0
		.amdhsa_exception_fp_ieee_overflow 0
		.amdhsa_exception_fp_ieee_underflow 0
		.amdhsa_exception_fp_ieee_inexact 0
		.amdhsa_exception_int_div_zero 0
	.end_amdhsa_kernel
	.section	.text._ZN7rocprim17ROCPRIM_400000_NS6detail17trampoline_kernelINS0_13select_configILj256ELj13ELNS0_17block_load_methodE3ELS4_3ELS4_3ELNS0_20block_scan_algorithmE0ELj4294967295EEENS1_25partition_config_selectorILNS1_17partition_subalgoE4EjNS0_10empty_typeEbEEZZNS1_14partition_implILS8_4ELb0ES6_15HIP_vector_typeIjLj2EENS0_17counting_iteratorIjlEEPS9_SG_NS0_5tupleIJPjSI_NS0_16reverse_iteratorISI_EEEEENSH_IJSG_SG_SG_EEES9_SI_JZNS1_25segmented_radix_sort_implINS0_14default_configELb1EPKsPsPKlPlN2at6native12_GLOBAL__N_18offset_tEEE10hipError_tPvRmT1_PNSt15iterator_traitsIS12_E10value_typeET2_T3_PNS13_IS18_E10value_typeET4_jRbjT5_S1E_jjP12ihipStream_tbEUljE_ZNSN_ISO_Lb1ESQ_SR_ST_SU_SY_EESZ_S10_S11_S12_S16_S17_S18_S1B_S1C_jS1D_jS1E_S1E_jjS1G_bEUljE0_EEESZ_S10_S11_S18_S1C_S1E_T6_T7_T9_mT8_S1G_bDpT10_ENKUlT_T0_E_clISt17integral_constantIbLb1EES1U_EEDaS1P_S1Q_EUlS1P_E_NS1_11comp_targetILNS1_3genE5ELNS1_11target_archE942ELNS1_3gpuE9ELNS1_3repE0EEENS1_30default_config_static_selectorELNS0_4arch9wavefront6targetE0EEEvS12_,"axG",@progbits,_ZN7rocprim17ROCPRIM_400000_NS6detail17trampoline_kernelINS0_13select_configILj256ELj13ELNS0_17block_load_methodE3ELS4_3ELS4_3ELNS0_20block_scan_algorithmE0ELj4294967295EEENS1_25partition_config_selectorILNS1_17partition_subalgoE4EjNS0_10empty_typeEbEEZZNS1_14partition_implILS8_4ELb0ES6_15HIP_vector_typeIjLj2EENS0_17counting_iteratorIjlEEPS9_SG_NS0_5tupleIJPjSI_NS0_16reverse_iteratorISI_EEEEENSH_IJSG_SG_SG_EEES9_SI_JZNS1_25segmented_radix_sort_implINS0_14default_configELb1EPKsPsPKlPlN2at6native12_GLOBAL__N_18offset_tEEE10hipError_tPvRmT1_PNSt15iterator_traitsIS12_E10value_typeET2_T3_PNS13_IS18_E10value_typeET4_jRbjT5_S1E_jjP12ihipStream_tbEUljE_ZNSN_ISO_Lb1ESQ_SR_ST_SU_SY_EESZ_S10_S11_S12_S16_S17_S18_S1B_S1C_jS1D_jS1E_S1E_jjS1G_bEUljE0_EEESZ_S10_S11_S18_S1C_S1E_T6_T7_T9_mT8_S1G_bDpT10_ENKUlT_T0_E_clISt17integral_constantIbLb1EES1U_EEDaS1P_S1Q_EUlS1P_E_NS1_11comp_targetILNS1_3genE5ELNS1_11target_archE942ELNS1_3gpuE9ELNS1_3repE0EEENS1_30default_config_static_selectorELNS0_4arch9wavefront6targetE0EEEvS12_,comdat
.Lfunc_end856:
	.size	_ZN7rocprim17ROCPRIM_400000_NS6detail17trampoline_kernelINS0_13select_configILj256ELj13ELNS0_17block_load_methodE3ELS4_3ELS4_3ELNS0_20block_scan_algorithmE0ELj4294967295EEENS1_25partition_config_selectorILNS1_17partition_subalgoE4EjNS0_10empty_typeEbEEZZNS1_14partition_implILS8_4ELb0ES6_15HIP_vector_typeIjLj2EENS0_17counting_iteratorIjlEEPS9_SG_NS0_5tupleIJPjSI_NS0_16reverse_iteratorISI_EEEEENSH_IJSG_SG_SG_EEES9_SI_JZNS1_25segmented_radix_sort_implINS0_14default_configELb1EPKsPsPKlPlN2at6native12_GLOBAL__N_18offset_tEEE10hipError_tPvRmT1_PNSt15iterator_traitsIS12_E10value_typeET2_T3_PNS13_IS18_E10value_typeET4_jRbjT5_S1E_jjP12ihipStream_tbEUljE_ZNSN_ISO_Lb1ESQ_SR_ST_SU_SY_EESZ_S10_S11_S12_S16_S17_S18_S1B_S1C_jS1D_jS1E_S1E_jjS1G_bEUljE0_EEESZ_S10_S11_S18_S1C_S1E_T6_T7_T9_mT8_S1G_bDpT10_ENKUlT_T0_E_clISt17integral_constantIbLb1EES1U_EEDaS1P_S1Q_EUlS1P_E_NS1_11comp_targetILNS1_3genE5ELNS1_11target_archE942ELNS1_3gpuE9ELNS1_3repE0EEENS1_30default_config_static_selectorELNS0_4arch9wavefront6targetE0EEEvS12_, .Lfunc_end856-_ZN7rocprim17ROCPRIM_400000_NS6detail17trampoline_kernelINS0_13select_configILj256ELj13ELNS0_17block_load_methodE3ELS4_3ELS4_3ELNS0_20block_scan_algorithmE0ELj4294967295EEENS1_25partition_config_selectorILNS1_17partition_subalgoE4EjNS0_10empty_typeEbEEZZNS1_14partition_implILS8_4ELb0ES6_15HIP_vector_typeIjLj2EENS0_17counting_iteratorIjlEEPS9_SG_NS0_5tupleIJPjSI_NS0_16reverse_iteratorISI_EEEEENSH_IJSG_SG_SG_EEES9_SI_JZNS1_25segmented_radix_sort_implINS0_14default_configELb1EPKsPsPKlPlN2at6native12_GLOBAL__N_18offset_tEEE10hipError_tPvRmT1_PNSt15iterator_traitsIS12_E10value_typeET2_T3_PNS13_IS18_E10value_typeET4_jRbjT5_S1E_jjP12ihipStream_tbEUljE_ZNSN_ISO_Lb1ESQ_SR_ST_SU_SY_EESZ_S10_S11_S12_S16_S17_S18_S1B_S1C_jS1D_jS1E_S1E_jjS1G_bEUljE0_EEESZ_S10_S11_S18_S1C_S1E_T6_T7_T9_mT8_S1G_bDpT10_ENKUlT_T0_E_clISt17integral_constantIbLb1EES1U_EEDaS1P_S1Q_EUlS1P_E_NS1_11comp_targetILNS1_3genE5ELNS1_11target_archE942ELNS1_3gpuE9ELNS1_3repE0EEENS1_30default_config_static_selectorELNS0_4arch9wavefront6targetE0EEEvS12_
                                        ; -- End function
	.set _ZN7rocprim17ROCPRIM_400000_NS6detail17trampoline_kernelINS0_13select_configILj256ELj13ELNS0_17block_load_methodE3ELS4_3ELS4_3ELNS0_20block_scan_algorithmE0ELj4294967295EEENS1_25partition_config_selectorILNS1_17partition_subalgoE4EjNS0_10empty_typeEbEEZZNS1_14partition_implILS8_4ELb0ES6_15HIP_vector_typeIjLj2EENS0_17counting_iteratorIjlEEPS9_SG_NS0_5tupleIJPjSI_NS0_16reverse_iteratorISI_EEEEENSH_IJSG_SG_SG_EEES9_SI_JZNS1_25segmented_radix_sort_implINS0_14default_configELb1EPKsPsPKlPlN2at6native12_GLOBAL__N_18offset_tEEE10hipError_tPvRmT1_PNSt15iterator_traitsIS12_E10value_typeET2_T3_PNS13_IS18_E10value_typeET4_jRbjT5_S1E_jjP12ihipStream_tbEUljE_ZNSN_ISO_Lb1ESQ_SR_ST_SU_SY_EESZ_S10_S11_S12_S16_S17_S18_S1B_S1C_jS1D_jS1E_S1E_jjS1G_bEUljE0_EEESZ_S10_S11_S18_S1C_S1E_T6_T7_T9_mT8_S1G_bDpT10_ENKUlT_T0_E_clISt17integral_constantIbLb1EES1U_EEDaS1P_S1Q_EUlS1P_E_NS1_11comp_targetILNS1_3genE5ELNS1_11target_archE942ELNS1_3gpuE9ELNS1_3repE0EEENS1_30default_config_static_selectorELNS0_4arch9wavefront6targetE0EEEvS12_.num_vgpr, 0
	.set _ZN7rocprim17ROCPRIM_400000_NS6detail17trampoline_kernelINS0_13select_configILj256ELj13ELNS0_17block_load_methodE3ELS4_3ELS4_3ELNS0_20block_scan_algorithmE0ELj4294967295EEENS1_25partition_config_selectorILNS1_17partition_subalgoE4EjNS0_10empty_typeEbEEZZNS1_14partition_implILS8_4ELb0ES6_15HIP_vector_typeIjLj2EENS0_17counting_iteratorIjlEEPS9_SG_NS0_5tupleIJPjSI_NS0_16reverse_iteratorISI_EEEEENSH_IJSG_SG_SG_EEES9_SI_JZNS1_25segmented_radix_sort_implINS0_14default_configELb1EPKsPsPKlPlN2at6native12_GLOBAL__N_18offset_tEEE10hipError_tPvRmT1_PNSt15iterator_traitsIS12_E10value_typeET2_T3_PNS13_IS18_E10value_typeET4_jRbjT5_S1E_jjP12ihipStream_tbEUljE_ZNSN_ISO_Lb1ESQ_SR_ST_SU_SY_EESZ_S10_S11_S12_S16_S17_S18_S1B_S1C_jS1D_jS1E_S1E_jjS1G_bEUljE0_EEESZ_S10_S11_S18_S1C_S1E_T6_T7_T9_mT8_S1G_bDpT10_ENKUlT_T0_E_clISt17integral_constantIbLb1EES1U_EEDaS1P_S1Q_EUlS1P_E_NS1_11comp_targetILNS1_3genE5ELNS1_11target_archE942ELNS1_3gpuE9ELNS1_3repE0EEENS1_30default_config_static_selectorELNS0_4arch9wavefront6targetE0EEEvS12_.num_agpr, 0
	.set _ZN7rocprim17ROCPRIM_400000_NS6detail17trampoline_kernelINS0_13select_configILj256ELj13ELNS0_17block_load_methodE3ELS4_3ELS4_3ELNS0_20block_scan_algorithmE0ELj4294967295EEENS1_25partition_config_selectorILNS1_17partition_subalgoE4EjNS0_10empty_typeEbEEZZNS1_14partition_implILS8_4ELb0ES6_15HIP_vector_typeIjLj2EENS0_17counting_iteratorIjlEEPS9_SG_NS0_5tupleIJPjSI_NS0_16reverse_iteratorISI_EEEEENSH_IJSG_SG_SG_EEES9_SI_JZNS1_25segmented_radix_sort_implINS0_14default_configELb1EPKsPsPKlPlN2at6native12_GLOBAL__N_18offset_tEEE10hipError_tPvRmT1_PNSt15iterator_traitsIS12_E10value_typeET2_T3_PNS13_IS18_E10value_typeET4_jRbjT5_S1E_jjP12ihipStream_tbEUljE_ZNSN_ISO_Lb1ESQ_SR_ST_SU_SY_EESZ_S10_S11_S12_S16_S17_S18_S1B_S1C_jS1D_jS1E_S1E_jjS1G_bEUljE0_EEESZ_S10_S11_S18_S1C_S1E_T6_T7_T9_mT8_S1G_bDpT10_ENKUlT_T0_E_clISt17integral_constantIbLb1EES1U_EEDaS1P_S1Q_EUlS1P_E_NS1_11comp_targetILNS1_3genE5ELNS1_11target_archE942ELNS1_3gpuE9ELNS1_3repE0EEENS1_30default_config_static_selectorELNS0_4arch9wavefront6targetE0EEEvS12_.numbered_sgpr, 0
	.set _ZN7rocprim17ROCPRIM_400000_NS6detail17trampoline_kernelINS0_13select_configILj256ELj13ELNS0_17block_load_methodE3ELS4_3ELS4_3ELNS0_20block_scan_algorithmE0ELj4294967295EEENS1_25partition_config_selectorILNS1_17partition_subalgoE4EjNS0_10empty_typeEbEEZZNS1_14partition_implILS8_4ELb0ES6_15HIP_vector_typeIjLj2EENS0_17counting_iteratorIjlEEPS9_SG_NS0_5tupleIJPjSI_NS0_16reverse_iteratorISI_EEEEENSH_IJSG_SG_SG_EEES9_SI_JZNS1_25segmented_radix_sort_implINS0_14default_configELb1EPKsPsPKlPlN2at6native12_GLOBAL__N_18offset_tEEE10hipError_tPvRmT1_PNSt15iterator_traitsIS12_E10value_typeET2_T3_PNS13_IS18_E10value_typeET4_jRbjT5_S1E_jjP12ihipStream_tbEUljE_ZNSN_ISO_Lb1ESQ_SR_ST_SU_SY_EESZ_S10_S11_S12_S16_S17_S18_S1B_S1C_jS1D_jS1E_S1E_jjS1G_bEUljE0_EEESZ_S10_S11_S18_S1C_S1E_T6_T7_T9_mT8_S1G_bDpT10_ENKUlT_T0_E_clISt17integral_constantIbLb1EES1U_EEDaS1P_S1Q_EUlS1P_E_NS1_11comp_targetILNS1_3genE5ELNS1_11target_archE942ELNS1_3gpuE9ELNS1_3repE0EEENS1_30default_config_static_selectorELNS0_4arch9wavefront6targetE0EEEvS12_.num_named_barrier, 0
	.set _ZN7rocprim17ROCPRIM_400000_NS6detail17trampoline_kernelINS0_13select_configILj256ELj13ELNS0_17block_load_methodE3ELS4_3ELS4_3ELNS0_20block_scan_algorithmE0ELj4294967295EEENS1_25partition_config_selectorILNS1_17partition_subalgoE4EjNS0_10empty_typeEbEEZZNS1_14partition_implILS8_4ELb0ES6_15HIP_vector_typeIjLj2EENS0_17counting_iteratorIjlEEPS9_SG_NS0_5tupleIJPjSI_NS0_16reverse_iteratorISI_EEEEENSH_IJSG_SG_SG_EEES9_SI_JZNS1_25segmented_radix_sort_implINS0_14default_configELb1EPKsPsPKlPlN2at6native12_GLOBAL__N_18offset_tEEE10hipError_tPvRmT1_PNSt15iterator_traitsIS12_E10value_typeET2_T3_PNS13_IS18_E10value_typeET4_jRbjT5_S1E_jjP12ihipStream_tbEUljE_ZNSN_ISO_Lb1ESQ_SR_ST_SU_SY_EESZ_S10_S11_S12_S16_S17_S18_S1B_S1C_jS1D_jS1E_S1E_jjS1G_bEUljE0_EEESZ_S10_S11_S18_S1C_S1E_T6_T7_T9_mT8_S1G_bDpT10_ENKUlT_T0_E_clISt17integral_constantIbLb1EES1U_EEDaS1P_S1Q_EUlS1P_E_NS1_11comp_targetILNS1_3genE5ELNS1_11target_archE942ELNS1_3gpuE9ELNS1_3repE0EEENS1_30default_config_static_selectorELNS0_4arch9wavefront6targetE0EEEvS12_.private_seg_size, 0
	.set _ZN7rocprim17ROCPRIM_400000_NS6detail17trampoline_kernelINS0_13select_configILj256ELj13ELNS0_17block_load_methodE3ELS4_3ELS4_3ELNS0_20block_scan_algorithmE0ELj4294967295EEENS1_25partition_config_selectorILNS1_17partition_subalgoE4EjNS0_10empty_typeEbEEZZNS1_14partition_implILS8_4ELb0ES6_15HIP_vector_typeIjLj2EENS0_17counting_iteratorIjlEEPS9_SG_NS0_5tupleIJPjSI_NS0_16reverse_iteratorISI_EEEEENSH_IJSG_SG_SG_EEES9_SI_JZNS1_25segmented_radix_sort_implINS0_14default_configELb1EPKsPsPKlPlN2at6native12_GLOBAL__N_18offset_tEEE10hipError_tPvRmT1_PNSt15iterator_traitsIS12_E10value_typeET2_T3_PNS13_IS18_E10value_typeET4_jRbjT5_S1E_jjP12ihipStream_tbEUljE_ZNSN_ISO_Lb1ESQ_SR_ST_SU_SY_EESZ_S10_S11_S12_S16_S17_S18_S1B_S1C_jS1D_jS1E_S1E_jjS1G_bEUljE0_EEESZ_S10_S11_S18_S1C_S1E_T6_T7_T9_mT8_S1G_bDpT10_ENKUlT_T0_E_clISt17integral_constantIbLb1EES1U_EEDaS1P_S1Q_EUlS1P_E_NS1_11comp_targetILNS1_3genE5ELNS1_11target_archE942ELNS1_3gpuE9ELNS1_3repE0EEENS1_30default_config_static_selectorELNS0_4arch9wavefront6targetE0EEEvS12_.uses_vcc, 0
	.set _ZN7rocprim17ROCPRIM_400000_NS6detail17trampoline_kernelINS0_13select_configILj256ELj13ELNS0_17block_load_methodE3ELS4_3ELS4_3ELNS0_20block_scan_algorithmE0ELj4294967295EEENS1_25partition_config_selectorILNS1_17partition_subalgoE4EjNS0_10empty_typeEbEEZZNS1_14partition_implILS8_4ELb0ES6_15HIP_vector_typeIjLj2EENS0_17counting_iteratorIjlEEPS9_SG_NS0_5tupleIJPjSI_NS0_16reverse_iteratorISI_EEEEENSH_IJSG_SG_SG_EEES9_SI_JZNS1_25segmented_radix_sort_implINS0_14default_configELb1EPKsPsPKlPlN2at6native12_GLOBAL__N_18offset_tEEE10hipError_tPvRmT1_PNSt15iterator_traitsIS12_E10value_typeET2_T3_PNS13_IS18_E10value_typeET4_jRbjT5_S1E_jjP12ihipStream_tbEUljE_ZNSN_ISO_Lb1ESQ_SR_ST_SU_SY_EESZ_S10_S11_S12_S16_S17_S18_S1B_S1C_jS1D_jS1E_S1E_jjS1G_bEUljE0_EEESZ_S10_S11_S18_S1C_S1E_T6_T7_T9_mT8_S1G_bDpT10_ENKUlT_T0_E_clISt17integral_constantIbLb1EES1U_EEDaS1P_S1Q_EUlS1P_E_NS1_11comp_targetILNS1_3genE5ELNS1_11target_archE942ELNS1_3gpuE9ELNS1_3repE0EEENS1_30default_config_static_selectorELNS0_4arch9wavefront6targetE0EEEvS12_.uses_flat_scratch, 0
	.set _ZN7rocprim17ROCPRIM_400000_NS6detail17trampoline_kernelINS0_13select_configILj256ELj13ELNS0_17block_load_methodE3ELS4_3ELS4_3ELNS0_20block_scan_algorithmE0ELj4294967295EEENS1_25partition_config_selectorILNS1_17partition_subalgoE4EjNS0_10empty_typeEbEEZZNS1_14partition_implILS8_4ELb0ES6_15HIP_vector_typeIjLj2EENS0_17counting_iteratorIjlEEPS9_SG_NS0_5tupleIJPjSI_NS0_16reverse_iteratorISI_EEEEENSH_IJSG_SG_SG_EEES9_SI_JZNS1_25segmented_radix_sort_implINS0_14default_configELb1EPKsPsPKlPlN2at6native12_GLOBAL__N_18offset_tEEE10hipError_tPvRmT1_PNSt15iterator_traitsIS12_E10value_typeET2_T3_PNS13_IS18_E10value_typeET4_jRbjT5_S1E_jjP12ihipStream_tbEUljE_ZNSN_ISO_Lb1ESQ_SR_ST_SU_SY_EESZ_S10_S11_S12_S16_S17_S18_S1B_S1C_jS1D_jS1E_S1E_jjS1G_bEUljE0_EEESZ_S10_S11_S18_S1C_S1E_T6_T7_T9_mT8_S1G_bDpT10_ENKUlT_T0_E_clISt17integral_constantIbLb1EES1U_EEDaS1P_S1Q_EUlS1P_E_NS1_11comp_targetILNS1_3genE5ELNS1_11target_archE942ELNS1_3gpuE9ELNS1_3repE0EEENS1_30default_config_static_selectorELNS0_4arch9wavefront6targetE0EEEvS12_.has_dyn_sized_stack, 0
	.set _ZN7rocprim17ROCPRIM_400000_NS6detail17trampoline_kernelINS0_13select_configILj256ELj13ELNS0_17block_load_methodE3ELS4_3ELS4_3ELNS0_20block_scan_algorithmE0ELj4294967295EEENS1_25partition_config_selectorILNS1_17partition_subalgoE4EjNS0_10empty_typeEbEEZZNS1_14partition_implILS8_4ELb0ES6_15HIP_vector_typeIjLj2EENS0_17counting_iteratorIjlEEPS9_SG_NS0_5tupleIJPjSI_NS0_16reverse_iteratorISI_EEEEENSH_IJSG_SG_SG_EEES9_SI_JZNS1_25segmented_radix_sort_implINS0_14default_configELb1EPKsPsPKlPlN2at6native12_GLOBAL__N_18offset_tEEE10hipError_tPvRmT1_PNSt15iterator_traitsIS12_E10value_typeET2_T3_PNS13_IS18_E10value_typeET4_jRbjT5_S1E_jjP12ihipStream_tbEUljE_ZNSN_ISO_Lb1ESQ_SR_ST_SU_SY_EESZ_S10_S11_S12_S16_S17_S18_S1B_S1C_jS1D_jS1E_S1E_jjS1G_bEUljE0_EEESZ_S10_S11_S18_S1C_S1E_T6_T7_T9_mT8_S1G_bDpT10_ENKUlT_T0_E_clISt17integral_constantIbLb1EES1U_EEDaS1P_S1Q_EUlS1P_E_NS1_11comp_targetILNS1_3genE5ELNS1_11target_archE942ELNS1_3gpuE9ELNS1_3repE0EEENS1_30default_config_static_selectorELNS0_4arch9wavefront6targetE0EEEvS12_.has_recursion, 0
	.set _ZN7rocprim17ROCPRIM_400000_NS6detail17trampoline_kernelINS0_13select_configILj256ELj13ELNS0_17block_load_methodE3ELS4_3ELS4_3ELNS0_20block_scan_algorithmE0ELj4294967295EEENS1_25partition_config_selectorILNS1_17partition_subalgoE4EjNS0_10empty_typeEbEEZZNS1_14partition_implILS8_4ELb0ES6_15HIP_vector_typeIjLj2EENS0_17counting_iteratorIjlEEPS9_SG_NS0_5tupleIJPjSI_NS0_16reverse_iteratorISI_EEEEENSH_IJSG_SG_SG_EEES9_SI_JZNS1_25segmented_radix_sort_implINS0_14default_configELb1EPKsPsPKlPlN2at6native12_GLOBAL__N_18offset_tEEE10hipError_tPvRmT1_PNSt15iterator_traitsIS12_E10value_typeET2_T3_PNS13_IS18_E10value_typeET4_jRbjT5_S1E_jjP12ihipStream_tbEUljE_ZNSN_ISO_Lb1ESQ_SR_ST_SU_SY_EESZ_S10_S11_S12_S16_S17_S18_S1B_S1C_jS1D_jS1E_S1E_jjS1G_bEUljE0_EEESZ_S10_S11_S18_S1C_S1E_T6_T7_T9_mT8_S1G_bDpT10_ENKUlT_T0_E_clISt17integral_constantIbLb1EES1U_EEDaS1P_S1Q_EUlS1P_E_NS1_11comp_targetILNS1_3genE5ELNS1_11target_archE942ELNS1_3gpuE9ELNS1_3repE0EEENS1_30default_config_static_selectorELNS0_4arch9wavefront6targetE0EEEvS12_.has_indirect_call, 0
	.section	.AMDGPU.csdata,"",@progbits
; Kernel info:
; codeLenInByte = 0
; TotalNumSgprs: 0
; NumVgprs: 0
; ScratchSize: 0
; MemoryBound: 0
; FloatMode: 240
; IeeeMode: 1
; LDSByteSize: 0 bytes/workgroup (compile time only)
; SGPRBlocks: 0
; VGPRBlocks: 0
; NumSGPRsForWavesPerEU: 1
; NumVGPRsForWavesPerEU: 1
; Occupancy: 16
; WaveLimiterHint : 0
; COMPUTE_PGM_RSRC2:SCRATCH_EN: 0
; COMPUTE_PGM_RSRC2:USER_SGPR: 2
; COMPUTE_PGM_RSRC2:TRAP_HANDLER: 0
; COMPUTE_PGM_RSRC2:TGID_X_EN: 1
; COMPUTE_PGM_RSRC2:TGID_Y_EN: 0
; COMPUTE_PGM_RSRC2:TGID_Z_EN: 0
; COMPUTE_PGM_RSRC2:TIDIG_COMP_CNT: 0
	.section	.text._ZN7rocprim17ROCPRIM_400000_NS6detail17trampoline_kernelINS0_13select_configILj256ELj13ELNS0_17block_load_methodE3ELS4_3ELS4_3ELNS0_20block_scan_algorithmE0ELj4294967295EEENS1_25partition_config_selectorILNS1_17partition_subalgoE4EjNS0_10empty_typeEbEEZZNS1_14partition_implILS8_4ELb0ES6_15HIP_vector_typeIjLj2EENS0_17counting_iteratorIjlEEPS9_SG_NS0_5tupleIJPjSI_NS0_16reverse_iteratorISI_EEEEENSH_IJSG_SG_SG_EEES9_SI_JZNS1_25segmented_radix_sort_implINS0_14default_configELb1EPKsPsPKlPlN2at6native12_GLOBAL__N_18offset_tEEE10hipError_tPvRmT1_PNSt15iterator_traitsIS12_E10value_typeET2_T3_PNS13_IS18_E10value_typeET4_jRbjT5_S1E_jjP12ihipStream_tbEUljE_ZNSN_ISO_Lb1ESQ_SR_ST_SU_SY_EESZ_S10_S11_S12_S16_S17_S18_S1B_S1C_jS1D_jS1E_S1E_jjS1G_bEUljE0_EEESZ_S10_S11_S18_S1C_S1E_T6_T7_T9_mT8_S1G_bDpT10_ENKUlT_T0_E_clISt17integral_constantIbLb1EES1U_EEDaS1P_S1Q_EUlS1P_E_NS1_11comp_targetILNS1_3genE4ELNS1_11target_archE910ELNS1_3gpuE8ELNS1_3repE0EEENS1_30default_config_static_selectorELNS0_4arch9wavefront6targetE0EEEvS12_,"axG",@progbits,_ZN7rocprim17ROCPRIM_400000_NS6detail17trampoline_kernelINS0_13select_configILj256ELj13ELNS0_17block_load_methodE3ELS4_3ELS4_3ELNS0_20block_scan_algorithmE0ELj4294967295EEENS1_25partition_config_selectorILNS1_17partition_subalgoE4EjNS0_10empty_typeEbEEZZNS1_14partition_implILS8_4ELb0ES6_15HIP_vector_typeIjLj2EENS0_17counting_iteratorIjlEEPS9_SG_NS0_5tupleIJPjSI_NS0_16reverse_iteratorISI_EEEEENSH_IJSG_SG_SG_EEES9_SI_JZNS1_25segmented_radix_sort_implINS0_14default_configELb1EPKsPsPKlPlN2at6native12_GLOBAL__N_18offset_tEEE10hipError_tPvRmT1_PNSt15iterator_traitsIS12_E10value_typeET2_T3_PNS13_IS18_E10value_typeET4_jRbjT5_S1E_jjP12ihipStream_tbEUljE_ZNSN_ISO_Lb1ESQ_SR_ST_SU_SY_EESZ_S10_S11_S12_S16_S17_S18_S1B_S1C_jS1D_jS1E_S1E_jjS1G_bEUljE0_EEESZ_S10_S11_S18_S1C_S1E_T6_T7_T9_mT8_S1G_bDpT10_ENKUlT_T0_E_clISt17integral_constantIbLb1EES1U_EEDaS1P_S1Q_EUlS1P_E_NS1_11comp_targetILNS1_3genE4ELNS1_11target_archE910ELNS1_3gpuE8ELNS1_3repE0EEENS1_30default_config_static_selectorELNS0_4arch9wavefront6targetE0EEEvS12_,comdat
	.globl	_ZN7rocprim17ROCPRIM_400000_NS6detail17trampoline_kernelINS0_13select_configILj256ELj13ELNS0_17block_load_methodE3ELS4_3ELS4_3ELNS0_20block_scan_algorithmE0ELj4294967295EEENS1_25partition_config_selectorILNS1_17partition_subalgoE4EjNS0_10empty_typeEbEEZZNS1_14partition_implILS8_4ELb0ES6_15HIP_vector_typeIjLj2EENS0_17counting_iteratorIjlEEPS9_SG_NS0_5tupleIJPjSI_NS0_16reverse_iteratorISI_EEEEENSH_IJSG_SG_SG_EEES9_SI_JZNS1_25segmented_radix_sort_implINS0_14default_configELb1EPKsPsPKlPlN2at6native12_GLOBAL__N_18offset_tEEE10hipError_tPvRmT1_PNSt15iterator_traitsIS12_E10value_typeET2_T3_PNS13_IS18_E10value_typeET4_jRbjT5_S1E_jjP12ihipStream_tbEUljE_ZNSN_ISO_Lb1ESQ_SR_ST_SU_SY_EESZ_S10_S11_S12_S16_S17_S18_S1B_S1C_jS1D_jS1E_S1E_jjS1G_bEUljE0_EEESZ_S10_S11_S18_S1C_S1E_T6_T7_T9_mT8_S1G_bDpT10_ENKUlT_T0_E_clISt17integral_constantIbLb1EES1U_EEDaS1P_S1Q_EUlS1P_E_NS1_11comp_targetILNS1_3genE4ELNS1_11target_archE910ELNS1_3gpuE8ELNS1_3repE0EEENS1_30default_config_static_selectorELNS0_4arch9wavefront6targetE0EEEvS12_ ; -- Begin function _ZN7rocprim17ROCPRIM_400000_NS6detail17trampoline_kernelINS0_13select_configILj256ELj13ELNS0_17block_load_methodE3ELS4_3ELS4_3ELNS0_20block_scan_algorithmE0ELj4294967295EEENS1_25partition_config_selectorILNS1_17partition_subalgoE4EjNS0_10empty_typeEbEEZZNS1_14partition_implILS8_4ELb0ES6_15HIP_vector_typeIjLj2EENS0_17counting_iteratorIjlEEPS9_SG_NS0_5tupleIJPjSI_NS0_16reverse_iteratorISI_EEEEENSH_IJSG_SG_SG_EEES9_SI_JZNS1_25segmented_radix_sort_implINS0_14default_configELb1EPKsPsPKlPlN2at6native12_GLOBAL__N_18offset_tEEE10hipError_tPvRmT1_PNSt15iterator_traitsIS12_E10value_typeET2_T3_PNS13_IS18_E10value_typeET4_jRbjT5_S1E_jjP12ihipStream_tbEUljE_ZNSN_ISO_Lb1ESQ_SR_ST_SU_SY_EESZ_S10_S11_S12_S16_S17_S18_S1B_S1C_jS1D_jS1E_S1E_jjS1G_bEUljE0_EEESZ_S10_S11_S18_S1C_S1E_T6_T7_T9_mT8_S1G_bDpT10_ENKUlT_T0_E_clISt17integral_constantIbLb1EES1U_EEDaS1P_S1Q_EUlS1P_E_NS1_11comp_targetILNS1_3genE4ELNS1_11target_archE910ELNS1_3gpuE8ELNS1_3repE0EEENS1_30default_config_static_selectorELNS0_4arch9wavefront6targetE0EEEvS12_
	.p2align	8
	.type	_ZN7rocprim17ROCPRIM_400000_NS6detail17trampoline_kernelINS0_13select_configILj256ELj13ELNS0_17block_load_methodE3ELS4_3ELS4_3ELNS0_20block_scan_algorithmE0ELj4294967295EEENS1_25partition_config_selectorILNS1_17partition_subalgoE4EjNS0_10empty_typeEbEEZZNS1_14partition_implILS8_4ELb0ES6_15HIP_vector_typeIjLj2EENS0_17counting_iteratorIjlEEPS9_SG_NS0_5tupleIJPjSI_NS0_16reverse_iteratorISI_EEEEENSH_IJSG_SG_SG_EEES9_SI_JZNS1_25segmented_radix_sort_implINS0_14default_configELb1EPKsPsPKlPlN2at6native12_GLOBAL__N_18offset_tEEE10hipError_tPvRmT1_PNSt15iterator_traitsIS12_E10value_typeET2_T3_PNS13_IS18_E10value_typeET4_jRbjT5_S1E_jjP12ihipStream_tbEUljE_ZNSN_ISO_Lb1ESQ_SR_ST_SU_SY_EESZ_S10_S11_S12_S16_S17_S18_S1B_S1C_jS1D_jS1E_S1E_jjS1G_bEUljE0_EEESZ_S10_S11_S18_S1C_S1E_T6_T7_T9_mT8_S1G_bDpT10_ENKUlT_T0_E_clISt17integral_constantIbLb1EES1U_EEDaS1P_S1Q_EUlS1P_E_NS1_11comp_targetILNS1_3genE4ELNS1_11target_archE910ELNS1_3gpuE8ELNS1_3repE0EEENS1_30default_config_static_selectorELNS0_4arch9wavefront6targetE0EEEvS12_,@function
_ZN7rocprim17ROCPRIM_400000_NS6detail17trampoline_kernelINS0_13select_configILj256ELj13ELNS0_17block_load_methodE3ELS4_3ELS4_3ELNS0_20block_scan_algorithmE0ELj4294967295EEENS1_25partition_config_selectorILNS1_17partition_subalgoE4EjNS0_10empty_typeEbEEZZNS1_14partition_implILS8_4ELb0ES6_15HIP_vector_typeIjLj2EENS0_17counting_iteratorIjlEEPS9_SG_NS0_5tupleIJPjSI_NS0_16reverse_iteratorISI_EEEEENSH_IJSG_SG_SG_EEES9_SI_JZNS1_25segmented_radix_sort_implINS0_14default_configELb1EPKsPsPKlPlN2at6native12_GLOBAL__N_18offset_tEEE10hipError_tPvRmT1_PNSt15iterator_traitsIS12_E10value_typeET2_T3_PNS13_IS18_E10value_typeET4_jRbjT5_S1E_jjP12ihipStream_tbEUljE_ZNSN_ISO_Lb1ESQ_SR_ST_SU_SY_EESZ_S10_S11_S12_S16_S17_S18_S1B_S1C_jS1D_jS1E_S1E_jjS1G_bEUljE0_EEESZ_S10_S11_S18_S1C_S1E_T6_T7_T9_mT8_S1G_bDpT10_ENKUlT_T0_E_clISt17integral_constantIbLb1EES1U_EEDaS1P_S1Q_EUlS1P_E_NS1_11comp_targetILNS1_3genE4ELNS1_11target_archE910ELNS1_3gpuE8ELNS1_3repE0EEENS1_30default_config_static_selectorELNS0_4arch9wavefront6targetE0EEEvS12_: ; @_ZN7rocprim17ROCPRIM_400000_NS6detail17trampoline_kernelINS0_13select_configILj256ELj13ELNS0_17block_load_methodE3ELS4_3ELS4_3ELNS0_20block_scan_algorithmE0ELj4294967295EEENS1_25partition_config_selectorILNS1_17partition_subalgoE4EjNS0_10empty_typeEbEEZZNS1_14partition_implILS8_4ELb0ES6_15HIP_vector_typeIjLj2EENS0_17counting_iteratorIjlEEPS9_SG_NS0_5tupleIJPjSI_NS0_16reverse_iteratorISI_EEEEENSH_IJSG_SG_SG_EEES9_SI_JZNS1_25segmented_radix_sort_implINS0_14default_configELb1EPKsPsPKlPlN2at6native12_GLOBAL__N_18offset_tEEE10hipError_tPvRmT1_PNSt15iterator_traitsIS12_E10value_typeET2_T3_PNS13_IS18_E10value_typeET4_jRbjT5_S1E_jjP12ihipStream_tbEUljE_ZNSN_ISO_Lb1ESQ_SR_ST_SU_SY_EESZ_S10_S11_S12_S16_S17_S18_S1B_S1C_jS1D_jS1E_S1E_jjS1G_bEUljE0_EEESZ_S10_S11_S18_S1C_S1E_T6_T7_T9_mT8_S1G_bDpT10_ENKUlT_T0_E_clISt17integral_constantIbLb1EES1U_EEDaS1P_S1Q_EUlS1P_E_NS1_11comp_targetILNS1_3genE4ELNS1_11target_archE910ELNS1_3gpuE8ELNS1_3repE0EEENS1_30default_config_static_selectorELNS0_4arch9wavefront6targetE0EEEvS12_
; %bb.0:
	.section	.rodata,"a",@progbits
	.p2align	6, 0x0
	.amdhsa_kernel _ZN7rocprim17ROCPRIM_400000_NS6detail17trampoline_kernelINS0_13select_configILj256ELj13ELNS0_17block_load_methodE3ELS4_3ELS4_3ELNS0_20block_scan_algorithmE0ELj4294967295EEENS1_25partition_config_selectorILNS1_17partition_subalgoE4EjNS0_10empty_typeEbEEZZNS1_14partition_implILS8_4ELb0ES6_15HIP_vector_typeIjLj2EENS0_17counting_iteratorIjlEEPS9_SG_NS0_5tupleIJPjSI_NS0_16reverse_iteratorISI_EEEEENSH_IJSG_SG_SG_EEES9_SI_JZNS1_25segmented_radix_sort_implINS0_14default_configELb1EPKsPsPKlPlN2at6native12_GLOBAL__N_18offset_tEEE10hipError_tPvRmT1_PNSt15iterator_traitsIS12_E10value_typeET2_T3_PNS13_IS18_E10value_typeET4_jRbjT5_S1E_jjP12ihipStream_tbEUljE_ZNSN_ISO_Lb1ESQ_SR_ST_SU_SY_EESZ_S10_S11_S12_S16_S17_S18_S1B_S1C_jS1D_jS1E_S1E_jjS1G_bEUljE0_EEESZ_S10_S11_S18_S1C_S1E_T6_T7_T9_mT8_S1G_bDpT10_ENKUlT_T0_E_clISt17integral_constantIbLb1EES1U_EEDaS1P_S1Q_EUlS1P_E_NS1_11comp_targetILNS1_3genE4ELNS1_11target_archE910ELNS1_3gpuE8ELNS1_3repE0EEENS1_30default_config_static_selectorELNS0_4arch9wavefront6targetE0EEEvS12_
		.amdhsa_group_segment_fixed_size 0
		.amdhsa_private_segment_fixed_size 0
		.amdhsa_kernarg_size 184
		.amdhsa_user_sgpr_count 2
		.amdhsa_user_sgpr_dispatch_ptr 0
		.amdhsa_user_sgpr_queue_ptr 0
		.amdhsa_user_sgpr_kernarg_segment_ptr 1
		.amdhsa_user_sgpr_dispatch_id 0
		.amdhsa_user_sgpr_private_segment_size 0
		.amdhsa_wavefront_size32 1
		.amdhsa_uses_dynamic_stack 0
		.amdhsa_enable_private_segment 0
		.amdhsa_system_sgpr_workgroup_id_x 1
		.amdhsa_system_sgpr_workgroup_id_y 0
		.amdhsa_system_sgpr_workgroup_id_z 0
		.amdhsa_system_sgpr_workgroup_info 0
		.amdhsa_system_vgpr_workitem_id 0
		.amdhsa_next_free_vgpr 1
		.amdhsa_next_free_sgpr 1
		.amdhsa_reserve_vcc 0
		.amdhsa_float_round_mode_32 0
		.amdhsa_float_round_mode_16_64 0
		.amdhsa_float_denorm_mode_32 3
		.amdhsa_float_denorm_mode_16_64 3
		.amdhsa_fp16_overflow 0
		.amdhsa_workgroup_processor_mode 1
		.amdhsa_memory_ordered 1
		.amdhsa_forward_progress 1
		.amdhsa_inst_pref_size 0
		.amdhsa_round_robin_scheduling 0
		.amdhsa_exception_fp_ieee_invalid_op 0
		.amdhsa_exception_fp_denorm_src 0
		.amdhsa_exception_fp_ieee_div_zero 0
		.amdhsa_exception_fp_ieee_overflow 0
		.amdhsa_exception_fp_ieee_underflow 0
		.amdhsa_exception_fp_ieee_inexact 0
		.amdhsa_exception_int_div_zero 0
	.end_amdhsa_kernel
	.section	.text._ZN7rocprim17ROCPRIM_400000_NS6detail17trampoline_kernelINS0_13select_configILj256ELj13ELNS0_17block_load_methodE3ELS4_3ELS4_3ELNS0_20block_scan_algorithmE0ELj4294967295EEENS1_25partition_config_selectorILNS1_17partition_subalgoE4EjNS0_10empty_typeEbEEZZNS1_14partition_implILS8_4ELb0ES6_15HIP_vector_typeIjLj2EENS0_17counting_iteratorIjlEEPS9_SG_NS0_5tupleIJPjSI_NS0_16reverse_iteratorISI_EEEEENSH_IJSG_SG_SG_EEES9_SI_JZNS1_25segmented_radix_sort_implINS0_14default_configELb1EPKsPsPKlPlN2at6native12_GLOBAL__N_18offset_tEEE10hipError_tPvRmT1_PNSt15iterator_traitsIS12_E10value_typeET2_T3_PNS13_IS18_E10value_typeET4_jRbjT5_S1E_jjP12ihipStream_tbEUljE_ZNSN_ISO_Lb1ESQ_SR_ST_SU_SY_EESZ_S10_S11_S12_S16_S17_S18_S1B_S1C_jS1D_jS1E_S1E_jjS1G_bEUljE0_EEESZ_S10_S11_S18_S1C_S1E_T6_T7_T9_mT8_S1G_bDpT10_ENKUlT_T0_E_clISt17integral_constantIbLb1EES1U_EEDaS1P_S1Q_EUlS1P_E_NS1_11comp_targetILNS1_3genE4ELNS1_11target_archE910ELNS1_3gpuE8ELNS1_3repE0EEENS1_30default_config_static_selectorELNS0_4arch9wavefront6targetE0EEEvS12_,"axG",@progbits,_ZN7rocprim17ROCPRIM_400000_NS6detail17trampoline_kernelINS0_13select_configILj256ELj13ELNS0_17block_load_methodE3ELS4_3ELS4_3ELNS0_20block_scan_algorithmE0ELj4294967295EEENS1_25partition_config_selectorILNS1_17partition_subalgoE4EjNS0_10empty_typeEbEEZZNS1_14partition_implILS8_4ELb0ES6_15HIP_vector_typeIjLj2EENS0_17counting_iteratorIjlEEPS9_SG_NS0_5tupleIJPjSI_NS0_16reverse_iteratorISI_EEEEENSH_IJSG_SG_SG_EEES9_SI_JZNS1_25segmented_radix_sort_implINS0_14default_configELb1EPKsPsPKlPlN2at6native12_GLOBAL__N_18offset_tEEE10hipError_tPvRmT1_PNSt15iterator_traitsIS12_E10value_typeET2_T3_PNS13_IS18_E10value_typeET4_jRbjT5_S1E_jjP12ihipStream_tbEUljE_ZNSN_ISO_Lb1ESQ_SR_ST_SU_SY_EESZ_S10_S11_S12_S16_S17_S18_S1B_S1C_jS1D_jS1E_S1E_jjS1G_bEUljE0_EEESZ_S10_S11_S18_S1C_S1E_T6_T7_T9_mT8_S1G_bDpT10_ENKUlT_T0_E_clISt17integral_constantIbLb1EES1U_EEDaS1P_S1Q_EUlS1P_E_NS1_11comp_targetILNS1_3genE4ELNS1_11target_archE910ELNS1_3gpuE8ELNS1_3repE0EEENS1_30default_config_static_selectorELNS0_4arch9wavefront6targetE0EEEvS12_,comdat
.Lfunc_end857:
	.size	_ZN7rocprim17ROCPRIM_400000_NS6detail17trampoline_kernelINS0_13select_configILj256ELj13ELNS0_17block_load_methodE3ELS4_3ELS4_3ELNS0_20block_scan_algorithmE0ELj4294967295EEENS1_25partition_config_selectorILNS1_17partition_subalgoE4EjNS0_10empty_typeEbEEZZNS1_14partition_implILS8_4ELb0ES6_15HIP_vector_typeIjLj2EENS0_17counting_iteratorIjlEEPS9_SG_NS0_5tupleIJPjSI_NS0_16reverse_iteratorISI_EEEEENSH_IJSG_SG_SG_EEES9_SI_JZNS1_25segmented_radix_sort_implINS0_14default_configELb1EPKsPsPKlPlN2at6native12_GLOBAL__N_18offset_tEEE10hipError_tPvRmT1_PNSt15iterator_traitsIS12_E10value_typeET2_T3_PNS13_IS18_E10value_typeET4_jRbjT5_S1E_jjP12ihipStream_tbEUljE_ZNSN_ISO_Lb1ESQ_SR_ST_SU_SY_EESZ_S10_S11_S12_S16_S17_S18_S1B_S1C_jS1D_jS1E_S1E_jjS1G_bEUljE0_EEESZ_S10_S11_S18_S1C_S1E_T6_T7_T9_mT8_S1G_bDpT10_ENKUlT_T0_E_clISt17integral_constantIbLb1EES1U_EEDaS1P_S1Q_EUlS1P_E_NS1_11comp_targetILNS1_3genE4ELNS1_11target_archE910ELNS1_3gpuE8ELNS1_3repE0EEENS1_30default_config_static_selectorELNS0_4arch9wavefront6targetE0EEEvS12_, .Lfunc_end857-_ZN7rocprim17ROCPRIM_400000_NS6detail17trampoline_kernelINS0_13select_configILj256ELj13ELNS0_17block_load_methodE3ELS4_3ELS4_3ELNS0_20block_scan_algorithmE0ELj4294967295EEENS1_25partition_config_selectorILNS1_17partition_subalgoE4EjNS0_10empty_typeEbEEZZNS1_14partition_implILS8_4ELb0ES6_15HIP_vector_typeIjLj2EENS0_17counting_iteratorIjlEEPS9_SG_NS0_5tupleIJPjSI_NS0_16reverse_iteratorISI_EEEEENSH_IJSG_SG_SG_EEES9_SI_JZNS1_25segmented_radix_sort_implINS0_14default_configELb1EPKsPsPKlPlN2at6native12_GLOBAL__N_18offset_tEEE10hipError_tPvRmT1_PNSt15iterator_traitsIS12_E10value_typeET2_T3_PNS13_IS18_E10value_typeET4_jRbjT5_S1E_jjP12ihipStream_tbEUljE_ZNSN_ISO_Lb1ESQ_SR_ST_SU_SY_EESZ_S10_S11_S12_S16_S17_S18_S1B_S1C_jS1D_jS1E_S1E_jjS1G_bEUljE0_EEESZ_S10_S11_S18_S1C_S1E_T6_T7_T9_mT8_S1G_bDpT10_ENKUlT_T0_E_clISt17integral_constantIbLb1EES1U_EEDaS1P_S1Q_EUlS1P_E_NS1_11comp_targetILNS1_3genE4ELNS1_11target_archE910ELNS1_3gpuE8ELNS1_3repE0EEENS1_30default_config_static_selectorELNS0_4arch9wavefront6targetE0EEEvS12_
                                        ; -- End function
	.set _ZN7rocprim17ROCPRIM_400000_NS6detail17trampoline_kernelINS0_13select_configILj256ELj13ELNS0_17block_load_methodE3ELS4_3ELS4_3ELNS0_20block_scan_algorithmE0ELj4294967295EEENS1_25partition_config_selectorILNS1_17partition_subalgoE4EjNS0_10empty_typeEbEEZZNS1_14partition_implILS8_4ELb0ES6_15HIP_vector_typeIjLj2EENS0_17counting_iteratorIjlEEPS9_SG_NS0_5tupleIJPjSI_NS0_16reverse_iteratorISI_EEEEENSH_IJSG_SG_SG_EEES9_SI_JZNS1_25segmented_radix_sort_implINS0_14default_configELb1EPKsPsPKlPlN2at6native12_GLOBAL__N_18offset_tEEE10hipError_tPvRmT1_PNSt15iterator_traitsIS12_E10value_typeET2_T3_PNS13_IS18_E10value_typeET4_jRbjT5_S1E_jjP12ihipStream_tbEUljE_ZNSN_ISO_Lb1ESQ_SR_ST_SU_SY_EESZ_S10_S11_S12_S16_S17_S18_S1B_S1C_jS1D_jS1E_S1E_jjS1G_bEUljE0_EEESZ_S10_S11_S18_S1C_S1E_T6_T7_T9_mT8_S1G_bDpT10_ENKUlT_T0_E_clISt17integral_constantIbLb1EES1U_EEDaS1P_S1Q_EUlS1P_E_NS1_11comp_targetILNS1_3genE4ELNS1_11target_archE910ELNS1_3gpuE8ELNS1_3repE0EEENS1_30default_config_static_selectorELNS0_4arch9wavefront6targetE0EEEvS12_.num_vgpr, 0
	.set _ZN7rocprim17ROCPRIM_400000_NS6detail17trampoline_kernelINS0_13select_configILj256ELj13ELNS0_17block_load_methodE3ELS4_3ELS4_3ELNS0_20block_scan_algorithmE0ELj4294967295EEENS1_25partition_config_selectorILNS1_17partition_subalgoE4EjNS0_10empty_typeEbEEZZNS1_14partition_implILS8_4ELb0ES6_15HIP_vector_typeIjLj2EENS0_17counting_iteratorIjlEEPS9_SG_NS0_5tupleIJPjSI_NS0_16reverse_iteratorISI_EEEEENSH_IJSG_SG_SG_EEES9_SI_JZNS1_25segmented_radix_sort_implINS0_14default_configELb1EPKsPsPKlPlN2at6native12_GLOBAL__N_18offset_tEEE10hipError_tPvRmT1_PNSt15iterator_traitsIS12_E10value_typeET2_T3_PNS13_IS18_E10value_typeET4_jRbjT5_S1E_jjP12ihipStream_tbEUljE_ZNSN_ISO_Lb1ESQ_SR_ST_SU_SY_EESZ_S10_S11_S12_S16_S17_S18_S1B_S1C_jS1D_jS1E_S1E_jjS1G_bEUljE0_EEESZ_S10_S11_S18_S1C_S1E_T6_T7_T9_mT8_S1G_bDpT10_ENKUlT_T0_E_clISt17integral_constantIbLb1EES1U_EEDaS1P_S1Q_EUlS1P_E_NS1_11comp_targetILNS1_3genE4ELNS1_11target_archE910ELNS1_3gpuE8ELNS1_3repE0EEENS1_30default_config_static_selectorELNS0_4arch9wavefront6targetE0EEEvS12_.num_agpr, 0
	.set _ZN7rocprim17ROCPRIM_400000_NS6detail17trampoline_kernelINS0_13select_configILj256ELj13ELNS0_17block_load_methodE3ELS4_3ELS4_3ELNS0_20block_scan_algorithmE0ELj4294967295EEENS1_25partition_config_selectorILNS1_17partition_subalgoE4EjNS0_10empty_typeEbEEZZNS1_14partition_implILS8_4ELb0ES6_15HIP_vector_typeIjLj2EENS0_17counting_iteratorIjlEEPS9_SG_NS0_5tupleIJPjSI_NS0_16reverse_iteratorISI_EEEEENSH_IJSG_SG_SG_EEES9_SI_JZNS1_25segmented_radix_sort_implINS0_14default_configELb1EPKsPsPKlPlN2at6native12_GLOBAL__N_18offset_tEEE10hipError_tPvRmT1_PNSt15iterator_traitsIS12_E10value_typeET2_T3_PNS13_IS18_E10value_typeET4_jRbjT5_S1E_jjP12ihipStream_tbEUljE_ZNSN_ISO_Lb1ESQ_SR_ST_SU_SY_EESZ_S10_S11_S12_S16_S17_S18_S1B_S1C_jS1D_jS1E_S1E_jjS1G_bEUljE0_EEESZ_S10_S11_S18_S1C_S1E_T6_T7_T9_mT8_S1G_bDpT10_ENKUlT_T0_E_clISt17integral_constantIbLb1EES1U_EEDaS1P_S1Q_EUlS1P_E_NS1_11comp_targetILNS1_3genE4ELNS1_11target_archE910ELNS1_3gpuE8ELNS1_3repE0EEENS1_30default_config_static_selectorELNS0_4arch9wavefront6targetE0EEEvS12_.numbered_sgpr, 0
	.set _ZN7rocprim17ROCPRIM_400000_NS6detail17trampoline_kernelINS0_13select_configILj256ELj13ELNS0_17block_load_methodE3ELS4_3ELS4_3ELNS0_20block_scan_algorithmE0ELj4294967295EEENS1_25partition_config_selectorILNS1_17partition_subalgoE4EjNS0_10empty_typeEbEEZZNS1_14partition_implILS8_4ELb0ES6_15HIP_vector_typeIjLj2EENS0_17counting_iteratorIjlEEPS9_SG_NS0_5tupleIJPjSI_NS0_16reverse_iteratorISI_EEEEENSH_IJSG_SG_SG_EEES9_SI_JZNS1_25segmented_radix_sort_implINS0_14default_configELb1EPKsPsPKlPlN2at6native12_GLOBAL__N_18offset_tEEE10hipError_tPvRmT1_PNSt15iterator_traitsIS12_E10value_typeET2_T3_PNS13_IS18_E10value_typeET4_jRbjT5_S1E_jjP12ihipStream_tbEUljE_ZNSN_ISO_Lb1ESQ_SR_ST_SU_SY_EESZ_S10_S11_S12_S16_S17_S18_S1B_S1C_jS1D_jS1E_S1E_jjS1G_bEUljE0_EEESZ_S10_S11_S18_S1C_S1E_T6_T7_T9_mT8_S1G_bDpT10_ENKUlT_T0_E_clISt17integral_constantIbLb1EES1U_EEDaS1P_S1Q_EUlS1P_E_NS1_11comp_targetILNS1_3genE4ELNS1_11target_archE910ELNS1_3gpuE8ELNS1_3repE0EEENS1_30default_config_static_selectorELNS0_4arch9wavefront6targetE0EEEvS12_.num_named_barrier, 0
	.set _ZN7rocprim17ROCPRIM_400000_NS6detail17trampoline_kernelINS0_13select_configILj256ELj13ELNS0_17block_load_methodE3ELS4_3ELS4_3ELNS0_20block_scan_algorithmE0ELj4294967295EEENS1_25partition_config_selectorILNS1_17partition_subalgoE4EjNS0_10empty_typeEbEEZZNS1_14partition_implILS8_4ELb0ES6_15HIP_vector_typeIjLj2EENS0_17counting_iteratorIjlEEPS9_SG_NS0_5tupleIJPjSI_NS0_16reverse_iteratorISI_EEEEENSH_IJSG_SG_SG_EEES9_SI_JZNS1_25segmented_radix_sort_implINS0_14default_configELb1EPKsPsPKlPlN2at6native12_GLOBAL__N_18offset_tEEE10hipError_tPvRmT1_PNSt15iterator_traitsIS12_E10value_typeET2_T3_PNS13_IS18_E10value_typeET4_jRbjT5_S1E_jjP12ihipStream_tbEUljE_ZNSN_ISO_Lb1ESQ_SR_ST_SU_SY_EESZ_S10_S11_S12_S16_S17_S18_S1B_S1C_jS1D_jS1E_S1E_jjS1G_bEUljE0_EEESZ_S10_S11_S18_S1C_S1E_T6_T7_T9_mT8_S1G_bDpT10_ENKUlT_T0_E_clISt17integral_constantIbLb1EES1U_EEDaS1P_S1Q_EUlS1P_E_NS1_11comp_targetILNS1_3genE4ELNS1_11target_archE910ELNS1_3gpuE8ELNS1_3repE0EEENS1_30default_config_static_selectorELNS0_4arch9wavefront6targetE0EEEvS12_.private_seg_size, 0
	.set _ZN7rocprim17ROCPRIM_400000_NS6detail17trampoline_kernelINS0_13select_configILj256ELj13ELNS0_17block_load_methodE3ELS4_3ELS4_3ELNS0_20block_scan_algorithmE0ELj4294967295EEENS1_25partition_config_selectorILNS1_17partition_subalgoE4EjNS0_10empty_typeEbEEZZNS1_14partition_implILS8_4ELb0ES6_15HIP_vector_typeIjLj2EENS0_17counting_iteratorIjlEEPS9_SG_NS0_5tupleIJPjSI_NS0_16reverse_iteratorISI_EEEEENSH_IJSG_SG_SG_EEES9_SI_JZNS1_25segmented_radix_sort_implINS0_14default_configELb1EPKsPsPKlPlN2at6native12_GLOBAL__N_18offset_tEEE10hipError_tPvRmT1_PNSt15iterator_traitsIS12_E10value_typeET2_T3_PNS13_IS18_E10value_typeET4_jRbjT5_S1E_jjP12ihipStream_tbEUljE_ZNSN_ISO_Lb1ESQ_SR_ST_SU_SY_EESZ_S10_S11_S12_S16_S17_S18_S1B_S1C_jS1D_jS1E_S1E_jjS1G_bEUljE0_EEESZ_S10_S11_S18_S1C_S1E_T6_T7_T9_mT8_S1G_bDpT10_ENKUlT_T0_E_clISt17integral_constantIbLb1EES1U_EEDaS1P_S1Q_EUlS1P_E_NS1_11comp_targetILNS1_3genE4ELNS1_11target_archE910ELNS1_3gpuE8ELNS1_3repE0EEENS1_30default_config_static_selectorELNS0_4arch9wavefront6targetE0EEEvS12_.uses_vcc, 0
	.set _ZN7rocprim17ROCPRIM_400000_NS6detail17trampoline_kernelINS0_13select_configILj256ELj13ELNS0_17block_load_methodE3ELS4_3ELS4_3ELNS0_20block_scan_algorithmE0ELj4294967295EEENS1_25partition_config_selectorILNS1_17partition_subalgoE4EjNS0_10empty_typeEbEEZZNS1_14partition_implILS8_4ELb0ES6_15HIP_vector_typeIjLj2EENS0_17counting_iteratorIjlEEPS9_SG_NS0_5tupleIJPjSI_NS0_16reverse_iteratorISI_EEEEENSH_IJSG_SG_SG_EEES9_SI_JZNS1_25segmented_radix_sort_implINS0_14default_configELb1EPKsPsPKlPlN2at6native12_GLOBAL__N_18offset_tEEE10hipError_tPvRmT1_PNSt15iterator_traitsIS12_E10value_typeET2_T3_PNS13_IS18_E10value_typeET4_jRbjT5_S1E_jjP12ihipStream_tbEUljE_ZNSN_ISO_Lb1ESQ_SR_ST_SU_SY_EESZ_S10_S11_S12_S16_S17_S18_S1B_S1C_jS1D_jS1E_S1E_jjS1G_bEUljE0_EEESZ_S10_S11_S18_S1C_S1E_T6_T7_T9_mT8_S1G_bDpT10_ENKUlT_T0_E_clISt17integral_constantIbLb1EES1U_EEDaS1P_S1Q_EUlS1P_E_NS1_11comp_targetILNS1_3genE4ELNS1_11target_archE910ELNS1_3gpuE8ELNS1_3repE0EEENS1_30default_config_static_selectorELNS0_4arch9wavefront6targetE0EEEvS12_.uses_flat_scratch, 0
	.set _ZN7rocprim17ROCPRIM_400000_NS6detail17trampoline_kernelINS0_13select_configILj256ELj13ELNS0_17block_load_methodE3ELS4_3ELS4_3ELNS0_20block_scan_algorithmE0ELj4294967295EEENS1_25partition_config_selectorILNS1_17partition_subalgoE4EjNS0_10empty_typeEbEEZZNS1_14partition_implILS8_4ELb0ES6_15HIP_vector_typeIjLj2EENS0_17counting_iteratorIjlEEPS9_SG_NS0_5tupleIJPjSI_NS0_16reverse_iteratorISI_EEEEENSH_IJSG_SG_SG_EEES9_SI_JZNS1_25segmented_radix_sort_implINS0_14default_configELb1EPKsPsPKlPlN2at6native12_GLOBAL__N_18offset_tEEE10hipError_tPvRmT1_PNSt15iterator_traitsIS12_E10value_typeET2_T3_PNS13_IS18_E10value_typeET4_jRbjT5_S1E_jjP12ihipStream_tbEUljE_ZNSN_ISO_Lb1ESQ_SR_ST_SU_SY_EESZ_S10_S11_S12_S16_S17_S18_S1B_S1C_jS1D_jS1E_S1E_jjS1G_bEUljE0_EEESZ_S10_S11_S18_S1C_S1E_T6_T7_T9_mT8_S1G_bDpT10_ENKUlT_T0_E_clISt17integral_constantIbLb1EES1U_EEDaS1P_S1Q_EUlS1P_E_NS1_11comp_targetILNS1_3genE4ELNS1_11target_archE910ELNS1_3gpuE8ELNS1_3repE0EEENS1_30default_config_static_selectorELNS0_4arch9wavefront6targetE0EEEvS12_.has_dyn_sized_stack, 0
	.set _ZN7rocprim17ROCPRIM_400000_NS6detail17trampoline_kernelINS0_13select_configILj256ELj13ELNS0_17block_load_methodE3ELS4_3ELS4_3ELNS0_20block_scan_algorithmE0ELj4294967295EEENS1_25partition_config_selectorILNS1_17partition_subalgoE4EjNS0_10empty_typeEbEEZZNS1_14partition_implILS8_4ELb0ES6_15HIP_vector_typeIjLj2EENS0_17counting_iteratorIjlEEPS9_SG_NS0_5tupleIJPjSI_NS0_16reverse_iteratorISI_EEEEENSH_IJSG_SG_SG_EEES9_SI_JZNS1_25segmented_radix_sort_implINS0_14default_configELb1EPKsPsPKlPlN2at6native12_GLOBAL__N_18offset_tEEE10hipError_tPvRmT1_PNSt15iterator_traitsIS12_E10value_typeET2_T3_PNS13_IS18_E10value_typeET4_jRbjT5_S1E_jjP12ihipStream_tbEUljE_ZNSN_ISO_Lb1ESQ_SR_ST_SU_SY_EESZ_S10_S11_S12_S16_S17_S18_S1B_S1C_jS1D_jS1E_S1E_jjS1G_bEUljE0_EEESZ_S10_S11_S18_S1C_S1E_T6_T7_T9_mT8_S1G_bDpT10_ENKUlT_T0_E_clISt17integral_constantIbLb1EES1U_EEDaS1P_S1Q_EUlS1P_E_NS1_11comp_targetILNS1_3genE4ELNS1_11target_archE910ELNS1_3gpuE8ELNS1_3repE0EEENS1_30default_config_static_selectorELNS0_4arch9wavefront6targetE0EEEvS12_.has_recursion, 0
	.set _ZN7rocprim17ROCPRIM_400000_NS6detail17trampoline_kernelINS0_13select_configILj256ELj13ELNS0_17block_load_methodE3ELS4_3ELS4_3ELNS0_20block_scan_algorithmE0ELj4294967295EEENS1_25partition_config_selectorILNS1_17partition_subalgoE4EjNS0_10empty_typeEbEEZZNS1_14partition_implILS8_4ELb0ES6_15HIP_vector_typeIjLj2EENS0_17counting_iteratorIjlEEPS9_SG_NS0_5tupleIJPjSI_NS0_16reverse_iteratorISI_EEEEENSH_IJSG_SG_SG_EEES9_SI_JZNS1_25segmented_radix_sort_implINS0_14default_configELb1EPKsPsPKlPlN2at6native12_GLOBAL__N_18offset_tEEE10hipError_tPvRmT1_PNSt15iterator_traitsIS12_E10value_typeET2_T3_PNS13_IS18_E10value_typeET4_jRbjT5_S1E_jjP12ihipStream_tbEUljE_ZNSN_ISO_Lb1ESQ_SR_ST_SU_SY_EESZ_S10_S11_S12_S16_S17_S18_S1B_S1C_jS1D_jS1E_S1E_jjS1G_bEUljE0_EEESZ_S10_S11_S18_S1C_S1E_T6_T7_T9_mT8_S1G_bDpT10_ENKUlT_T0_E_clISt17integral_constantIbLb1EES1U_EEDaS1P_S1Q_EUlS1P_E_NS1_11comp_targetILNS1_3genE4ELNS1_11target_archE910ELNS1_3gpuE8ELNS1_3repE0EEENS1_30default_config_static_selectorELNS0_4arch9wavefront6targetE0EEEvS12_.has_indirect_call, 0
	.section	.AMDGPU.csdata,"",@progbits
; Kernel info:
; codeLenInByte = 0
; TotalNumSgprs: 0
; NumVgprs: 0
; ScratchSize: 0
; MemoryBound: 0
; FloatMode: 240
; IeeeMode: 1
; LDSByteSize: 0 bytes/workgroup (compile time only)
; SGPRBlocks: 0
; VGPRBlocks: 0
; NumSGPRsForWavesPerEU: 1
; NumVGPRsForWavesPerEU: 1
; Occupancy: 16
; WaveLimiterHint : 0
; COMPUTE_PGM_RSRC2:SCRATCH_EN: 0
; COMPUTE_PGM_RSRC2:USER_SGPR: 2
; COMPUTE_PGM_RSRC2:TRAP_HANDLER: 0
; COMPUTE_PGM_RSRC2:TGID_X_EN: 1
; COMPUTE_PGM_RSRC2:TGID_Y_EN: 0
; COMPUTE_PGM_RSRC2:TGID_Z_EN: 0
; COMPUTE_PGM_RSRC2:TIDIG_COMP_CNT: 0
	.section	.text._ZN7rocprim17ROCPRIM_400000_NS6detail17trampoline_kernelINS0_13select_configILj256ELj13ELNS0_17block_load_methodE3ELS4_3ELS4_3ELNS0_20block_scan_algorithmE0ELj4294967295EEENS1_25partition_config_selectorILNS1_17partition_subalgoE4EjNS0_10empty_typeEbEEZZNS1_14partition_implILS8_4ELb0ES6_15HIP_vector_typeIjLj2EENS0_17counting_iteratorIjlEEPS9_SG_NS0_5tupleIJPjSI_NS0_16reverse_iteratorISI_EEEEENSH_IJSG_SG_SG_EEES9_SI_JZNS1_25segmented_radix_sort_implINS0_14default_configELb1EPKsPsPKlPlN2at6native12_GLOBAL__N_18offset_tEEE10hipError_tPvRmT1_PNSt15iterator_traitsIS12_E10value_typeET2_T3_PNS13_IS18_E10value_typeET4_jRbjT5_S1E_jjP12ihipStream_tbEUljE_ZNSN_ISO_Lb1ESQ_SR_ST_SU_SY_EESZ_S10_S11_S12_S16_S17_S18_S1B_S1C_jS1D_jS1E_S1E_jjS1G_bEUljE0_EEESZ_S10_S11_S18_S1C_S1E_T6_T7_T9_mT8_S1G_bDpT10_ENKUlT_T0_E_clISt17integral_constantIbLb1EES1U_EEDaS1P_S1Q_EUlS1P_E_NS1_11comp_targetILNS1_3genE3ELNS1_11target_archE908ELNS1_3gpuE7ELNS1_3repE0EEENS1_30default_config_static_selectorELNS0_4arch9wavefront6targetE0EEEvS12_,"axG",@progbits,_ZN7rocprim17ROCPRIM_400000_NS6detail17trampoline_kernelINS0_13select_configILj256ELj13ELNS0_17block_load_methodE3ELS4_3ELS4_3ELNS0_20block_scan_algorithmE0ELj4294967295EEENS1_25partition_config_selectorILNS1_17partition_subalgoE4EjNS0_10empty_typeEbEEZZNS1_14partition_implILS8_4ELb0ES6_15HIP_vector_typeIjLj2EENS0_17counting_iteratorIjlEEPS9_SG_NS0_5tupleIJPjSI_NS0_16reverse_iteratorISI_EEEEENSH_IJSG_SG_SG_EEES9_SI_JZNS1_25segmented_radix_sort_implINS0_14default_configELb1EPKsPsPKlPlN2at6native12_GLOBAL__N_18offset_tEEE10hipError_tPvRmT1_PNSt15iterator_traitsIS12_E10value_typeET2_T3_PNS13_IS18_E10value_typeET4_jRbjT5_S1E_jjP12ihipStream_tbEUljE_ZNSN_ISO_Lb1ESQ_SR_ST_SU_SY_EESZ_S10_S11_S12_S16_S17_S18_S1B_S1C_jS1D_jS1E_S1E_jjS1G_bEUljE0_EEESZ_S10_S11_S18_S1C_S1E_T6_T7_T9_mT8_S1G_bDpT10_ENKUlT_T0_E_clISt17integral_constantIbLb1EES1U_EEDaS1P_S1Q_EUlS1P_E_NS1_11comp_targetILNS1_3genE3ELNS1_11target_archE908ELNS1_3gpuE7ELNS1_3repE0EEENS1_30default_config_static_selectorELNS0_4arch9wavefront6targetE0EEEvS12_,comdat
	.globl	_ZN7rocprim17ROCPRIM_400000_NS6detail17trampoline_kernelINS0_13select_configILj256ELj13ELNS0_17block_load_methodE3ELS4_3ELS4_3ELNS0_20block_scan_algorithmE0ELj4294967295EEENS1_25partition_config_selectorILNS1_17partition_subalgoE4EjNS0_10empty_typeEbEEZZNS1_14partition_implILS8_4ELb0ES6_15HIP_vector_typeIjLj2EENS0_17counting_iteratorIjlEEPS9_SG_NS0_5tupleIJPjSI_NS0_16reverse_iteratorISI_EEEEENSH_IJSG_SG_SG_EEES9_SI_JZNS1_25segmented_radix_sort_implINS0_14default_configELb1EPKsPsPKlPlN2at6native12_GLOBAL__N_18offset_tEEE10hipError_tPvRmT1_PNSt15iterator_traitsIS12_E10value_typeET2_T3_PNS13_IS18_E10value_typeET4_jRbjT5_S1E_jjP12ihipStream_tbEUljE_ZNSN_ISO_Lb1ESQ_SR_ST_SU_SY_EESZ_S10_S11_S12_S16_S17_S18_S1B_S1C_jS1D_jS1E_S1E_jjS1G_bEUljE0_EEESZ_S10_S11_S18_S1C_S1E_T6_T7_T9_mT8_S1G_bDpT10_ENKUlT_T0_E_clISt17integral_constantIbLb1EES1U_EEDaS1P_S1Q_EUlS1P_E_NS1_11comp_targetILNS1_3genE3ELNS1_11target_archE908ELNS1_3gpuE7ELNS1_3repE0EEENS1_30default_config_static_selectorELNS0_4arch9wavefront6targetE0EEEvS12_ ; -- Begin function _ZN7rocprim17ROCPRIM_400000_NS6detail17trampoline_kernelINS0_13select_configILj256ELj13ELNS0_17block_load_methodE3ELS4_3ELS4_3ELNS0_20block_scan_algorithmE0ELj4294967295EEENS1_25partition_config_selectorILNS1_17partition_subalgoE4EjNS0_10empty_typeEbEEZZNS1_14partition_implILS8_4ELb0ES6_15HIP_vector_typeIjLj2EENS0_17counting_iteratorIjlEEPS9_SG_NS0_5tupleIJPjSI_NS0_16reverse_iteratorISI_EEEEENSH_IJSG_SG_SG_EEES9_SI_JZNS1_25segmented_radix_sort_implINS0_14default_configELb1EPKsPsPKlPlN2at6native12_GLOBAL__N_18offset_tEEE10hipError_tPvRmT1_PNSt15iterator_traitsIS12_E10value_typeET2_T3_PNS13_IS18_E10value_typeET4_jRbjT5_S1E_jjP12ihipStream_tbEUljE_ZNSN_ISO_Lb1ESQ_SR_ST_SU_SY_EESZ_S10_S11_S12_S16_S17_S18_S1B_S1C_jS1D_jS1E_S1E_jjS1G_bEUljE0_EEESZ_S10_S11_S18_S1C_S1E_T6_T7_T9_mT8_S1G_bDpT10_ENKUlT_T0_E_clISt17integral_constantIbLb1EES1U_EEDaS1P_S1Q_EUlS1P_E_NS1_11comp_targetILNS1_3genE3ELNS1_11target_archE908ELNS1_3gpuE7ELNS1_3repE0EEENS1_30default_config_static_selectorELNS0_4arch9wavefront6targetE0EEEvS12_
	.p2align	8
	.type	_ZN7rocprim17ROCPRIM_400000_NS6detail17trampoline_kernelINS0_13select_configILj256ELj13ELNS0_17block_load_methodE3ELS4_3ELS4_3ELNS0_20block_scan_algorithmE0ELj4294967295EEENS1_25partition_config_selectorILNS1_17partition_subalgoE4EjNS0_10empty_typeEbEEZZNS1_14partition_implILS8_4ELb0ES6_15HIP_vector_typeIjLj2EENS0_17counting_iteratorIjlEEPS9_SG_NS0_5tupleIJPjSI_NS0_16reverse_iteratorISI_EEEEENSH_IJSG_SG_SG_EEES9_SI_JZNS1_25segmented_radix_sort_implINS0_14default_configELb1EPKsPsPKlPlN2at6native12_GLOBAL__N_18offset_tEEE10hipError_tPvRmT1_PNSt15iterator_traitsIS12_E10value_typeET2_T3_PNS13_IS18_E10value_typeET4_jRbjT5_S1E_jjP12ihipStream_tbEUljE_ZNSN_ISO_Lb1ESQ_SR_ST_SU_SY_EESZ_S10_S11_S12_S16_S17_S18_S1B_S1C_jS1D_jS1E_S1E_jjS1G_bEUljE0_EEESZ_S10_S11_S18_S1C_S1E_T6_T7_T9_mT8_S1G_bDpT10_ENKUlT_T0_E_clISt17integral_constantIbLb1EES1U_EEDaS1P_S1Q_EUlS1P_E_NS1_11comp_targetILNS1_3genE3ELNS1_11target_archE908ELNS1_3gpuE7ELNS1_3repE0EEENS1_30default_config_static_selectorELNS0_4arch9wavefront6targetE0EEEvS12_,@function
_ZN7rocprim17ROCPRIM_400000_NS6detail17trampoline_kernelINS0_13select_configILj256ELj13ELNS0_17block_load_methodE3ELS4_3ELS4_3ELNS0_20block_scan_algorithmE0ELj4294967295EEENS1_25partition_config_selectorILNS1_17partition_subalgoE4EjNS0_10empty_typeEbEEZZNS1_14partition_implILS8_4ELb0ES6_15HIP_vector_typeIjLj2EENS0_17counting_iteratorIjlEEPS9_SG_NS0_5tupleIJPjSI_NS0_16reverse_iteratorISI_EEEEENSH_IJSG_SG_SG_EEES9_SI_JZNS1_25segmented_radix_sort_implINS0_14default_configELb1EPKsPsPKlPlN2at6native12_GLOBAL__N_18offset_tEEE10hipError_tPvRmT1_PNSt15iterator_traitsIS12_E10value_typeET2_T3_PNS13_IS18_E10value_typeET4_jRbjT5_S1E_jjP12ihipStream_tbEUljE_ZNSN_ISO_Lb1ESQ_SR_ST_SU_SY_EESZ_S10_S11_S12_S16_S17_S18_S1B_S1C_jS1D_jS1E_S1E_jjS1G_bEUljE0_EEESZ_S10_S11_S18_S1C_S1E_T6_T7_T9_mT8_S1G_bDpT10_ENKUlT_T0_E_clISt17integral_constantIbLb1EES1U_EEDaS1P_S1Q_EUlS1P_E_NS1_11comp_targetILNS1_3genE3ELNS1_11target_archE908ELNS1_3gpuE7ELNS1_3repE0EEENS1_30default_config_static_selectorELNS0_4arch9wavefront6targetE0EEEvS12_: ; @_ZN7rocprim17ROCPRIM_400000_NS6detail17trampoline_kernelINS0_13select_configILj256ELj13ELNS0_17block_load_methodE3ELS4_3ELS4_3ELNS0_20block_scan_algorithmE0ELj4294967295EEENS1_25partition_config_selectorILNS1_17partition_subalgoE4EjNS0_10empty_typeEbEEZZNS1_14partition_implILS8_4ELb0ES6_15HIP_vector_typeIjLj2EENS0_17counting_iteratorIjlEEPS9_SG_NS0_5tupleIJPjSI_NS0_16reverse_iteratorISI_EEEEENSH_IJSG_SG_SG_EEES9_SI_JZNS1_25segmented_radix_sort_implINS0_14default_configELb1EPKsPsPKlPlN2at6native12_GLOBAL__N_18offset_tEEE10hipError_tPvRmT1_PNSt15iterator_traitsIS12_E10value_typeET2_T3_PNS13_IS18_E10value_typeET4_jRbjT5_S1E_jjP12ihipStream_tbEUljE_ZNSN_ISO_Lb1ESQ_SR_ST_SU_SY_EESZ_S10_S11_S12_S16_S17_S18_S1B_S1C_jS1D_jS1E_S1E_jjS1G_bEUljE0_EEESZ_S10_S11_S18_S1C_S1E_T6_T7_T9_mT8_S1G_bDpT10_ENKUlT_T0_E_clISt17integral_constantIbLb1EES1U_EEDaS1P_S1Q_EUlS1P_E_NS1_11comp_targetILNS1_3genE3ELNS1_11target_archE908ELNS1_3gpuE7ELNS1_3repE0EEENS1_30default_config_static_selectorELNS0_4arch9wavefront6targetE0EEEvS12_
; %bb.0:
	.section	.rodata,"a",@progbits
	.p2align	6, 0x0
	.amdhsa_kernel _ZN7rocprim17ROCPRIM_400000_NS6detail17trampoline_kernelINS0_13select_configILj256ELj13ELNS0_17block_load_methodE3ELS4_3ELS4_3ELNS0_20block_scan_algorithmE0ELj4294967295EEENS1_25partition_config_selectorILNS1_17partition_subalgoE4EjNS0_10empty_typeEbEEZZNS1_14partition_implILS8_4ELb0ES6_15HIP_vector_typeIjLj2EENS0_17counting_iteratorIjlEEPS9_SG_NS0_5tupleIJPjSI_NS0_16reverse_iteratorISI_EEEEENSH_IJSG_SG_SG_EEES9_SI_JZNS1_25segmented_radix_sort_implINS0_14default_configELb1EPKsPsPKlPlN2at6native12_GLOBAL__N_18offset_tEEE10hipError_tPvRmT1_PNSt15iterator_traitsIS12_E10value_typeET2_T3_PNS13_IS18_E10value_typeET4_jRbjT5_S1E_jjP12ihipStream_tbEUljE_ZNSN_ISO_Lb1ESQ_SR_ST_SU_SY_EESZ_S10_S11_S12_S16_S17_S18_S1B_S1C_jS1D_jS1E_S1E_jjS1G_bEUljE0_EEESZ_S10_S11_S18_S1C_S1E_T6_T7_T9_mT8_S1G_bDpT10_ENKUlT_T0_E_clISt17integral_constantIbLb1EES1U_EEDaS1P_S1Q_EUlS1P_E_NS1_11comp_targetILNS1_3genE3ELNS1_11target_archE908ELNS1_3gpuE7ELNS1_3repE0EEENS1_30default_config_static_selectorELNS0_4arch9wavefront6targetE0EEEvS12_
		.amdhsa_group_segment_fixed_size 0
		.amdhsa_private_segment_fixed_size 0
		.amdhsa_kernarg_size 184
		.amdhsa_user_sgpr_count 2
		.amdhsa_user_sgpr_dispatch_ptr 0
		.amdhsa_user_sgpr_queue_ptr 0
		.amdhsa_user_sgpr_kernarg_segment_ptr 1
		.amdhsa_user_sgpr_dispatch_id 0
		.amdhsa_user_sgpr_private_segment_size 0
		.amdhsa_wavefront_size32 1
		.amdhsa_uses_dynamic_stack 0
		.amdhsa_enable_private_segment 0
		.amdhsa_system_sgpr_workgroup_id_x 1
		.amdhsa_system_sgpr_workgroup_id_y 0
		.amdhsa_system_sgpr_workgroup_id_z 0
		.amdhsa_system_sgpr_workgroup_info 0
		.amdhsa_system_vgpr_workitem_id 0
		.amdhsa_next_free_vgpr 1
		.amdhsa_next_free_sgpr 1
		.amdhsa_reserve_vcc 0
		.amdhsa_float_round_mode_32 0
		.amdhsa_float_round_mode_16_64 0
		.amdhsa_float_denorm_mode_32 3
		.amdhsa_float_denorm_mode_16_64 3
		.amdhsa_fp16_overflow 0
		.amdhsa_workgroup_processor_mode 1
		.amdhsa_memory_ordered 1
		.amdhsa_forward_progress 1
		.amdhsa_inst_pref_size 0
		.amdhsa_round_robin_scheduling 0
		.amdhsa_exception_fp_ieee_invalid_op 0
		.amdhsa_exception_fp_denorm_src 0
		.amdhsa_exception_fp_ieee_div_zero 0
		.amdhsa_exception_fp_ieee_overflow 0
		.amdhsa_exception_fp_ieee_underflow 0
		.amdhsa_exception_fp_ieee_inexact 0
		.amdhsa_exception_int_div_zero 0
	.end_amdhsa_kernel
	.section	.text._ZN7rocprim17ROCPRIM_400000_NS6detail17trampoline_kernelINS0_13select_configILj256ELj13ELNS0_17block_load_methodE3ELS4_3ELS4_3ELNS0_20block_scan_algorithmE0ELj4294967295EEENS1_25partition_config_selectorILNS1_17partition_subalgoE4EjNS0_10empty_typeEbEEZZNS1_14partition_implILS8_4ELb0ES6_15HIP_vector_typeIjLj2EENS0_17counting_iteratorIjlEEPS9_SG_NS0_5tupleIJPjSI_NS0_16reverse_iteratorISI_EEEEENSH_IJSG_SG_SG_EEES9_SI_JZNS1_25segmented_radix_sort_implINS0_14default_configELb1EPKsPsPKlPlN2at6native12_GLOBAL__N_18offset_tEEE10hipError_tPvRmT1_PNSt15iterator_traitsIS12_E10value_typeET2_T3_PNS13_IS18_E10value_typeET4_jRbjT5_S1E_jjP12ihipStream_tbEUljE_ZNSN_ISO_Lb1ESQ_SR_ST_SU_SY_EESZ_S10_S11_S12_S16_S17_S18_S1B_S1C_jS1D_jS1E_S1E_jjS1G_bEUljE0_EEESZ_S10_S11_S18_S1C_S1E_T6_T7_T9_mT8_S1G_bDpT10_ENKUlT_T0_E_clISt17integral_constantIbLb1EES1U_EEDaS1P_S1Q_EUlS1P_E_NS1_11comp_targetILNS1_3genE3ELNS1_11target_archE908ELNS1_3gpuE7ELNS1_3repE0EEENS1_30default_config_static_selectorELNS0_4arch9wavefront6targetE0EEEvS12_,"axG",@progbits,_ZN7rocprim17ROCPRIM_400000_NS6detail17trampoline_kernelINS0_13select_configILj256ELj13ELNS0_17block_load_methodE3ELS4_3ELS4_3ELNS0_20block_scan_algorithmE0ELj4294967295EEENS1_25partition_config_selectorILNS1_17partition_subalgoE4EjNS0_10empty_typeEbEEZZNS1_14partition_implILS8_4ELb0ES6_15HIP_vector_typeIjLj2EENS0_17counting_iteratorIjlEEPS9_SG_NS0_5tupleIJPjSI_NS0_16reverse_iteratorISI_EEEEENSH_IJSG_SG_SG_EEES9_SI_JZNS1_25segmented_radix_sort_implINS0_14default_configELb1EPKsPsPKlPlN2at6native12_GLOBAL__N_18offset_tEEE10hipError_tPvRmT1_PNSt15iterator_traitsIS12_E10value_typeET2_T3_PNS13_IS18_E10value_typeET4_jRbjT5_S1E_jjP12ihipStream_tbEUljE_ZNSN_ISO_Lb1ESQ_SR_ST_SU_SY_EESZ_S10_S11_S12_S16_S17_S18_S1B_S1C_jS1D_jS1E_S1E_jjS1G_bEUljE0_EEESZ_S10_S11_S18_S1C_S1E_T6_T7_T9_mT8_S1G_bDpT10_ENKUlT_T0_E_clISt17integral_constantIbLb1EES1U_EEDaS1P_S1Q_EUlS1P_E_NS1_11comp_targetILNS1_3genE3ELNS1_11target_archE908ELNS1_3gpuE7ELNS1_3repE0EEENS1_30default_config_static_selectorELNS0_4arch9wavefront6targetE0EEEvS12_,comdat
.Lfunc_end858:
	.size	_ZN7rocprim17ROCPRIM_400000_NS6detail17trampoline_kernelINS0_13select_configILj256ELj13ELNS0_17block_load_methodE3ELS4_3ELS4_3ELNS0_20block_scan_algorithmE0ELj4294967295EEENS1_25partition_config_selectorILNS1_17partition_subalgoE4EjNS0_10empty_typeEbEEZZNS1_14partition_implILS8_4ELb0ES6_15HIP_vector_typeIjLj2EENS0_17counting_iteratorIjlEEPS9_SG_NS0_5tupleIJPjSI_NS0_16reverse_iteratorISI_EEEEENSH_IJSG_SG_SG_EEES9_SI_JZNS1_25segmented_radix_sort_implINS0_14default_configELb1EPKsPsPKlPlN2at6native12_GLOBAL__N_18offset_tEEE10hipError_tPvRmT1_PNSt15iterator_traitsIS12_E10value_typeET2_T3_PNS13_IS18_E10value_typeET4_jRbjT5_S1E_jjP12ihipStream_tbEUljE_ZNSN_ISO_Lb1ESQ_SR_ST_SU_SY_EESZ_S10_S11_S12_S16_S17_S18_S1B_S1C_jS1D_jS1E_S1E_jjS1G_bEUljE0_EEESZ_S10_S11_S18_S1C_S1E_T6_T7_T9_mT8_S1G_bDpT10_ENKUlT_T0_E_clISt17integral_constantIbLb1EES1U_EEDaS1P_S1Q_EUlS1P_E_NS1_11comp_targetILNS1_3genE3ELNS1_11target_archE908ELNS1_3gpuE7ELNS1_3repE0EEENS1_30default_config_static_selectorELNS0_4arch9wavefront6targetE0EEEvS12_, .Lfunc_end858-_ZN7rocprim17ROCPRIM_400000_NS6detail17trampoline_kernelINS0_13select_configILj256ELj13ELNS0_17block_load_methodE3ELS4_3ELS4_3ELNS0_20block_scan_algorithmE0ELj4294967295EEENS1_25partition_config_selectorILNS1_17partition_subalgoE4EjNS0_10empty_typeEbEEZZNS1_14partition_implILS8_4ELb0ES6_15HIP_vector_typeIjLj2EENS0_17counting_iteratorIjlEEPS9_SG_NS0_5tupleIJPjSI_NS0_16reverse_iteratorISI_EEEEENSH_IJSG_SG_SG_EEES9_SI_JZNS1_25segmented_radix_sort_implINS0_14default_configELb1EPKsPsPKlPlN2at6native12_GLOBAL__N_18offset_tEEE10hipError_tPvRmT1_PNSt15iterator_traitsIS12_E10value_typeET2_T3_PNS13_IS18_E10value_typeET4_jRbjT5_S1E_jjP12ihipStream_tbEUljE_ZNSN_ISO_Lb1ESQ_SR_ST_SU_SY_EESZ_S10_S11_S12_S16_S17_S18_S1B_S1C_jS1D_jS1E_S1E_jjS1G_bEUljE0_EEESZ_S10_S11_S18_S1C_S1E_T6_T7_T9_mT8_S1G_bDpT10_ENKUlT_T0_E_clISt17integral_constantIbLb1EES1U_EEDaS1P_S1Q_EUlS1P_E_NS1_11comp_targetILNS1_3genE3ELNS1_11target_archE908ELNS1_3gpuE7ELNS1_3repE0EEENS1_30default_config_static_selectorELNS0_4arch9wavefront6targetE0EEEvS12_
                                        ; -- End function
	.set _ZN7rocprim17ROCPRIM_400000_NS6detail17trampoline_kernelINS0_13select_configILj256ELj13ELNS0_17block_load_methodE3ELS4_3ELS4_3ELNS0_20block_scan_algorithmE0ELj4294967295EEENS1_25partition_config_selectorILNS1_17partition_subalgoE4EjNS0_10empty_typeEbEEZZNS1_14partition_implILS8_4ELb0ES6_15HIP_vector_typeIjLj2EENS0_17counting_iteratorIjlEEPS9_SG_NS0_5tupleIJPjSI_NS0_16reverse_iteratorISI_EEEEENSH_IJSG_SG_SG_EEES9_SI_JZNS1_25segmented_radix_sort_implINS0_14default_configELb1EPKsPsPKlPlN2at6native12_GLOBAL__N_18offset_tEEE10hipError_tPvRmT1_PNSt15iterator_traitsIS12_E10value_typeET2_T3_PNS13_IS18_E10value_typeET4_jRbjT5_S1E_jjP12ihipStream_tbEUljE_ZNSN_ISO_Lb1ESQ_SR_ST_SU_SY_EESZ_S10_S11_S12_S16_S17_S18_S1B_S1C_jS1D_jS1E_S1E_jjS1G_bEUljE0_EEESZ_S10_S11_S18_S1C_S1E_T6_T7_T9_mT8_S1G_bDpT10_ENKUlT_T0_E_clISt17integral_constantIbLb1EES1U_EEDaS1P_S1Q_EUlS1P_E_NS1_11comp_targetILNS1_3genE3ELNS1_11target_archE908ELNS1_3gpuE7ELNS1_3repE0EEENS1_30default_config_static_selectorELNS0_4arch9wavefront6targetE0EEEvS12_.num_vgpr, 0
	.set _ZN7rocprim17ROCPRIM_400000_NS6detail17trampoline_kernelINS0_13select_configILj256ELj13ELNS0_17block_load_methodE3ELS4_3ELS4_3ELNS0_20block_scan_algorithmE0ELj4294967295EEENS1_25partition_config_selectorILNS1_17partition_subalgoE4EjNS0_10empty_typeEbEEZZNS1_14partition_implILS8_4ELb0ES6_15HIP_vector_typeIjLj2EENS0_17counting_iteratorIjlEEPS9_SG_NS0_5tupleIJPjSI_NS0_16reverse_iteratorISI_EEEEENSH_IJSG_SG_SG_EEES9_SI_JZNS1_25segmented_radix_sort_implINS0_14default_configELb1EPKsPsPKlPlN2at6native12_GLOBAL__N_18offset_tEEE10hipError_tPvRmT1_PNSt15iterator_traitsIS12_E10value_typeET2_T3_PNS13_IS18_E10value_typeET4_jRbjT5_S1E_jjP12ihipStream_tbEUljE_ZNSN_ISO_Lb1ESQ_SR_ST_SU_SY_EESZ_S10_S11_S12_S16_S17_S18_S1B_S1C_jS1D_jS1E_S1E_jjS1G_bEUljE0_EEESZ_S10_S11_S18_S1C_S1E_T6_T7_T9_mT8_S1G_bDpT10_ENKUlT_T0_E_clISt17integral_constantIbLb1EES1U_EEDaS1P_S1Q_EUlS1P_E_NS1_11comp_targetILNS1_3genE3ELNS1_11target_archE908ELNS1_3gpuE7ELNS1_3repE0EEENS1_30default_config_static_selectorELNS0_4arch9wavefront6targetE0EEEvS12_.num_agpr, 0
	.set _ZN7rocprim17ROCPRIM_400000_NS6detail17trampoline_kernelINS0_13select_configILj256ELj13ELNS0_17block_load_methodE3ELS4_3ELS4_3ELNS0_20block_scan_algorithmE0ELj4294967295EEENS1_25partition_config_selectorILNS1_17partition_subalgoE4EjNS0_10empty_typeEbEEZZNS1_14partition_implILS8_4ELb0ES6_15HIP_vector_typeIjLj2EENS0_17counting_iteratorIjlEEPS9_SG_NS0_5tupleIJPjSI_NS0_16reverse_iteratorISI_EEEEENSH_IJSG_SG_SG_EEES9_SI_JZNS1_25segmented_radix_sort_implINS0_14default_configELb1EPKsPsPKlPlN2at6native12_GLOBAL__N_18offset_tEEE10hipError_tPvRmT1_PNSt15iterator_traitsIS12_E10value_typeET2_T3_PNS13_IS18_E10value_typeET4_jRbjT5_S1E_jjP12ihipStream_tbEUljE_ZNSN_ISO_Lb1ESQ_SR_ST_SU_SY_EESZ_S10_S11_S12_S16_S17_S18_S1B_S1C_jS1D_jS1E_S1E_jjS1G_bEUljE0_EEESZ_S10_S11_S18_S1C_S1E_T6_T7_T9_mT8_S1G_bDpT10_ENKUlT_T0_E_clISt17integral_constantIbLb1EES1U_EEDaS1P_S1Q_EUlS1P_E_NS1_11comp_targetILNS1_3genE3ELNS1_11target_archE908ELNS1_3gpuE7ELNS1_3repE0EEENS1_30default_config_static_selectorELNS0_4arch9wavefront6targetE0EEEvS12_.numbered_sgpr, 0
	.set _ZN7rocprim17ROCPRIM_400000_NS6detail17trampoline_kernelINS0_13select_configILj256ELj13ELNS0_17block_load_methodE3ELS4_3ELS4_3ELNS0_20block_scan_algorithmE0ELj4294967295EEENS1_25partition_config_selectorILNS1_17partition_subalgoE4EjNS0_10empty_typeEbEEZZNS1_14partition_implILS8_4ELb0ES6_15HIP_vector_typeIjLj2EENS0_17counting_iteratorIjlEEPS9_SG_NS0_5tupleIJPjSI_NS0_16reverse_iteratorISI_EEEEENSH_IJSG_SG_SG_EEES9_SI_JZNS1_25segmented_radix_sort_implINS0_14default_configELb1EPKsPsPKlPlN2at6native12_GLOBAL__N_18offset_tEEE10hipError_tPvRmT1_PNSt15iterator_traitsIS12_E10value_typeET2_T3_PNS13_IS18_E10value_typeET4_jRbjT5_S1E_jjP12ihipStream_tbEUljE_ZNSN_ISO_Lb1ESQ_SR_ST_SU_SY_EESZ_S10_S11_S12_S16_S17_S18_S1B_S1C_jS1D_jS1E_S1E_jjS1G_bEUljE0_EEESZ_S10_S11_S18_S1C_S1E_T6_T7_T9_mT8_S1G_bDpT10_ENKUlT_T0_E_clISt17integral_constantIbLb1EES1U_EEDaS1P_S1Q_EUlS1P_E_NS1_11comp_targetILNS1_3genE3ELNS1_11target_archE908ELNS1_3gpuE7ELNS1_3repE0EEENS1_30default_config_static_selectorELNS0_4arch9wavefront6targetE0EEEvS12_.num_named_barrier, 0
	.set _ZN7rocprim17ROCPRIM_400000_NS6detail17trampoline_kernelINS0_13select_configILj256ELj13ELNS0_17block_load_methodE3ELS4_3ELS4_3ELNS0_20block_scan_algorithmE0ELj4294967295EEENS1_25partition_config_selectorILNS1_17partition_subalgoE4EjNS0_10empty_typeEbEEZZNS1_14partition_implILS8_4ELb0ES6_15HIP_vector_typeIjLj2EENS0_17counting_iteratorIjlEEPS9_SG_NS0_5tupleIJPjSI_NS0_16reverse_iteratorISI_EEEEENSH_IJSG_SG_SG_EEES9_SI_JZNS1_25segmented_radix_sort_implINS0_14default_configELb1EPKsPsPKlPlN2at6native12_GLOBAL__N_18offset_tEEE10hipError_tPvRmT1_PNSt15iterator_traitsIS12_E10value_typeET2_T3_PNS13_IS18_E10value_typeET4_jRbjT5_S1E_jjP12ihipStream_tbEUljE_ZNSN_ISO_Lb1ESQ_SR_ST_SU_SY_EESZ_S10_S11_S12_S16_S17_S18_S1B_S1C_jS1D_jS1E_S1E_jjS1G_bEUljE0_EEESZ_S10_S11_S18_S1C_S1E_T6_T7_T9_mT8_S1G_bDpT10_ENKUlT_T0_E_clISt17integral_constantIbLb1EES1U_EEDaS1P_S1Q_EUlS1P_E_NS1_11comp_targetILNS1_3genE3ELNS1_11target_archE908ELNS1_3gpuE7ELNS1_3repE0EEENS1_30default_config_static_selectorELNS0_4arch9wavefront6targetE0EEEvS12_.private_seg_size, 0
	.set _ZN7rocprim17ROCPRIM_400000_NS6detail17trampoline_kernelINS0_13select_configILj256ELj13ELNS0_17block_load_methodE3ELS4_3ELS4_3ELNS0_20block_scan_algorithmE0ELj4294967295EEENS1_25partition_config_selectorILNS1_17partition_subalgoE4EjNS0_10empty_typeEbEEZZNS1_14partition_implILS8_4ELb0ES6_15HIP_vector_typeIjLj2EENS0_17counting_iteratorIjlEEPS9_SG_NS0_5tupleIJPjSI_NS0_16reverse_iteratorISI_EEEEENSH_IJSG_SG_SG_EEES9_SI_JZNS1_25segmented_radix_sort_implINS0_14default_configELb1EPKsPsPKlPlN2at6native12_GLOBAL__N_18offset_tEEE10hipError_tPvRmT1_PNSt15iterator_traitsIS12_E10value_typeET2_T3_PNS13_IS18_E10value_typeET4_jRbjT5_S1E_jjP12ihipStream_tbEUljE_ZNSN_ISO_Lb1ESQ_SR_ST_SU_SY_EESZ_S10_S11_S12_S16_S17_S18_S1B_S1C_jS1D_jS1E_S1E_jjS1G_bEUljE0_EEESZ_S10_S11_S18_S1C_S1E_T6_T7_T9_mT8_S1G_bDpT10_ENKUlT_T0_E_clISt17integral_constantIbLb1EES1U_EEDaS1P_S1Q_EUlS1P_E_NS1_11comp_targetILNS1_3genE3ELNS1_11target_archE908ELNS1_3gpuE7ELNS1_3repE0EEENS1_30default_config_static_selectorELNS0_4arch9wavefront6targetE0EEEvS12_.uses_vcc, 0
	.set _ZN7rocprim17ROCPRIM_400000_NS6detail17trampoline_kernelINS0_13select_configILj256ELj13ELNS0_17block_load_methodE3ELS4_3ELS4_3ELNS0_20block_scan_algorithmE0ELj4294967295EEENS1_25partition_config_selectorILNS1_17partition_subalgoE4EjNS0_10empty_typeEbEEZZNS1_14partition_implILS8_4ELb0ES6_15HIP_vector_typeIjLj2EENS0_17counting_iteratorIjlEEPS9_SG_NS0_5tupleIJPjSI_NS0_16reverse_iteratorISI_EEEEENSH_IJSG_SG_SG_EEES9_SI_JZNS1_25segmented_radix_sort_implINS0_14default_configELb1EPKsPsPKlPlN2at6native12_GLOBAL__N_18offset_tEEE10hipError_tPvRmT1_PNSt15iterator_traitsIS12_E10value_typeET2_T3_PNS13_IS18_E10value_typeET4_jRbjT5_S1E_jjP12ihipStream_tbEUljE_ZNSN_ISO_Lb1ESQ_SR_ST_SU_SY_EESZ_S10_S11_S12_S16_S17_S18_S1B_S1C_jS1D_jS1E_S1E_jjS1G_bEUljE0_EEESZ_S10_S11_S18_S1C_S1E_T6_T7_T9_mT8_S1G_bDpT10_ENKUlT_T0_E_clISt17integral_constantIbLb1EES1U_EEDaS1P_S1Q_EUlS1P_E_NS1_11comp_targetILNS1_3genE3ELNS1_11target_archE908ELNS1_3gpuE7ELNS1_3repE0EEENS1_30default_config_static_selectorELNS0_4arch9wavefront6targetE0EEEvS12_.uses_flat_scratch, 0
	.set _ZN7rocprim17ROCPRIM_400000_NS6detail17trampoline_kernelINS0_13select_configILj256ELj13ELNS0_17block_load_methodE3ELS4_3ELS4_3ELNS0_20block_scan_algorithmE0ELj4294967295EEENS1_25partition_config_selectorILNS1_17partition_subalgoE4EjNS0_10empty_typeEbEEZZNS1_14partition_implILS8_4ELb0ES6_15HIP_vector_typeIjLj2EENS0_17counting_iteratorIjlEEPS9_SG_NS0_5tupleIJPjSI_NS0_16reverse_iteratorISI_EEEEENSH_IJSG_SG_SG_EEES9_SI_JZNS1_25segmented_radix_sort_implINS0_14default_configELb1EPKsPsPKlPlN2at6native12_GLOBAL__N_18offset_tEEE10hipError_tPvRmT1_PNSt15iterator_traitsIS12_E10value_typeET2_T3_PNS13_IS18_E10value_typeET4_jRbjT5_S1E_jjP12ihipStream_tbEUljE_ZNSN_ISO_Lb1ESQ_SR_ST_SU_SY_EESZ_S10_S11_S12_S16_S17_S18_S1B_S1C_jS1D_jS1E_S1E_jjS1G_bEUljE0_EEESZ_S10_S11_S18_S1C_S1E_T6_T7_T9_mT8_S1G_bDpT10_ENKUlT_T0_E_clISt17integral_constantIbLb1EES1U_EEDaS1P_S1Q_EUlS1P_E_NS1_11comp_targetILNS1_3genE3ELNS1_11target_archE908ELNS1_3gpuE7ELNS1_3repE0EEENS1_30default_config_static_selectorELNS0_4arch9wavefront6targetE0EEEvS12_.has_dyn_sized_stack, 0
	.set _ZN7rocprim17ROCPRIM_400000_NS6detail17trampoline_kernelINS0_13select_configILj256ELj13ELNS0_17block_load_methodE3ELS4_3ELS4_3ELNS0_20block_scan_algorithmE0ELj4294967295EEENS1_25partition_config_selectorILNS1_17partition_subalgoE4EjNS0_10empty_typeEbEEZZNS1_14partition_implILS8_4ELb0ES6_15HIP_vector_typeIjLj2EENS0_17counting_iteratorIjlEEPS9_SG_NS0_5tupleIJPjSI_NS0_16reverse_iteratorISI_EEEEENSH_IJSG_SG_SG_EEES9_SI_JZNS1_25segmented_radix_sort_implINS0_14default_configELb1EPKsPsPKlPlN2at6native12_GLOBAL__N_18offset_tEEE10hipError_tPvRmT1_PNSt15iterator_traitsIS12_E10value_typeET2_T3_PNS13_IS18_E10value_typeET4_jRbjT5_S1E_jjP12ihipStream_tbEUljE_ZNSN_ISO_Lb1ESQ_SR_ST_SU_SY_EESZ_S10_S11_S12_S16_S17_S18_S1B_S1C_jS1D_jS1E_S1E_jjS1G_bEUljE0_EEESZ_S10_S11_S18_S1C_S1E_T6_T7_T9_mT8_S1G_bDpT10_ENKUlT_T0_E_clISt17integral_constantIbLb1EES1U_EEDaS1P_S1Q_EUlS1P_E_NS1_11comp_targetILNS1_3genE3ELNS1_11target_archE908ELNS1_3gpuE7ELNS1_3repE0EEENS1_30default_config_static_selectorELNS0_4arch9wavefront6targetE0EEEvS12_.has_recursion, 0
	.set _ZN7rocprim17ROCPRIM_400000_NS6detail17trampoline_kernelINS0_13select_configILj256ELj13ELNS0_17block_load_methodE3ELS4_3ELS4_3ELNS0_20block_scan_algorithmE0ELj4294967295EEENS1_25partition_config_selectorILNS1_17partition_subalgoE4EjNS0_10empty_typeEbEEZZNS1_14partition_implILS8_4ELb0ES6_15HIP_vector_typeIjLj2EENS0_17counting_iteratorIjlEEPS9_SG_NS0_5tupleIJPjSI_NS0_16reverse_iteratorISI_EEEEENSH_IJSG_SG_SG_EEES9_SI_JZNS1_25segmented_radix_sort_implINS0_14default_configELb1EPKsPsPKlPlN2at6native12_GLOBAL__N_18offset_tEEE10hipError_tPvRmT1_PNSt15iterator_traitsIS12_E10value_typeET2_T3_PNS13_IS18_E10value_typeET4_jRbjT5_S1E_jjP12ihipStream_tbEUljE_ZNSN_ISO_Lb1ESQ_SR_ST_SU_SY_EESZ_S10_S11_S12_S16_S17_S18_S1B_S1C_jS1D_jS1E_S1E_jjS1G_bEUljE0_EEESZ_S10_S11_S18_S1C_S1E_T6_T7_T9_mT8_S1G_bDpT10_ENKUlT_T0_E_clISt17integral_constantIbLb1EES1U_EEDaS1P_S1Q_EUlS1P_E_NS1_11comp_targetILNS1_3genE3ELNS1_11target_archE908ELNS1_3gpuE7ELNS1_3repE0EEENS1_30default_config_static_selectorELNS0_4arch9wavefront6targetE0EEEvS12_.has_indirect_call, 0
	.section	.AMDGPU.csdata,"",@progbits
; Kernel info:
; codeLenInByte = 0
; TotalNumSgprs: 0
; NumVgprs: 0
; ScratchSize: 0
; MemoryBound: 0
; FloatMode: 240
; IeeeMode: 1
; LDSByteSize: 0 bytes/workgroup (compile time only)
; SGPRBlocks: 0
; VGPRBlocks: 0
; NumSGPRsForWavesPerEU: 1
; NumVGPRsForWavesPerEU: 1
; Occupancy: 16
; WaveLimiterHint : 0
; COMPUTE_PGM_RSRC2:SCRATCH_EN: 0
; COMPUTE_PGM_RSRC2:USER_SGPR: 2
; COMPUTE_PGM_RSRC2:TRAP_HANDLER: 0
; COMPUTE_PGM_RSRC2:TGID_X_EN: 1
; COMPUTE_PGM_RSRC2:TGID_Y_EN: 0
; COMPUTE_PGM_RSRC2:TGID_Z_EN: 0
; COMPUTE_PGM_RSRC2:TIDIG_COMP_CNT: 0
	.section	.text._ZN7rocprim17ROCPRIM_400000_NS6detail17trampoline_kernelINS0_13select_configILj256ELj13ELNS0_17block_load_methodE3ELS4_3ELS4_3ELNS0_20block_scan_algorithmE0ELj4294967295EEENS1_25partition_config_selectorILNS1_17partition_subalgoE4EjNS0_10empty_typeEbEEZZNS1_14partition_implILS8_4ELb0ES6_15HIP_vector_typeIjLj2EENS0_17counting_iteratorIjlEEPS9_SG_NS0_5tupleIJPjSI_NS0_16reverse_iteratorISI_EEEEENSH_IJSG_SG_SG_EEES9_SI_JZNS1_25segmented_radix_sort_implINS0_14default_configELb1EPKsPsPKlPlN2at6native12_GLOBAL__N_18offset_tEEE10hipError_tPvRmT1_PNSt15iterator_traitsIS12_E10value_typeET2_T3_PNS13_IS18_E10value_typeET4_jRbjT5_S1E_jjP12ihipStream_tbEUljE_ZNSN_ISO_Lb1ESQ_SR_ST_SU_SY_EESZ_S10_S11_S12_S16_S17_S18_S1B_S1C_jS1D_jS1E_S1E_jjS1G_bEUljE0_EEESZ_S10_S11_S18_S1C_S1E_T6_T7_T9_mT8_S1G_bDpT10_ENKUlT_T0_E_clISt17integral_constantIbLb1EES1U_EEDaS1P_S1Q_EUlS1P_E_NS1_11comp_targetILNS1_3genE2ELNS1_11target_archE906ELNS1_3gpuE6ELNS1_3repE0EEENS1_30default_config_static_selectorELNS0_4arch9wavefront6targetE0EEEvS12_,"axG",@progbits,_ZN7rocprim17ROCPRIM_400000_NS6detail17trampoline_kernelINS0_13select_configILj256ELj13ELNS0_17block_load_methodE3ELS4_3ELS4_3ELNS0_20block_scan_algorithmE0ELj4294967295EEENS1_25partition_config_selectorILNS1_17partition_subalgoE4EjNS0_10empty_typeEbEEZZNS1_14partition_implILS8_4ELb0ES6_15HIP_vector_typeIjLj2EENS0_17counting_iteratorIjlEEPS9_SG_NS0_5tupleIJPjSI_NS0_16reverse_iteratorISI_EEEEENSH_IJSG_SG_SG_EEES9_SI_JZNS1_25segmented_radix_sort_implINS0_14default_configELb1EPKsPsPKlPlN2at6native12_GLOBAL__N_18offset_tEEE10hipError_tPvRmT1_PNSt15iterator_traitsIS12_E10value_typeET2_T3_PNS13_IS18_E10value_typeET4_jRbjT5_S1E_jjP12ihipStream_tbEUljE_ZNSN_ISO_Lb1ESQ_SR_ST_SU_SY_EESZ_S10_S11_S12_S16_S17_S18_S1B_S1C_jS1D_jS1E_S1E_jjS1G_bEUljE0_EEESZ_S10_S11_S18_S1C_S1E_T6_T7_T9_mT8_S1G_bDpT10_ENKUlT_T0_E_clISt17integral_constantIbLb1EES1U_EEDaS1P_S1Q_EUlS1P_E_NS1_11comp_targetILNS1_3genE2ELNS1_11target_archE906ELNS1_3gpuE6ELNS1_3repE0EEENS1_30default_config_static_selectorELNS0_4arch9wavefront6targetE0EEEvS12_,comdat
	.globl	_ZN7rocprim17ROCPRIM_400000_NS6detail17trampoline_kernelINS0_13select_configILj256ELj13ELNS0_17block_load_methodE3ELS4_3ELS4_3ELNS0_20block_scan_algorithmE0ELj4294967295EEENS1_25partition_config_selectorILNS1_17partition_subalgoE4EjNS0_10empty_typeEbEEZZNS1_14partition_implILS8_4ELb0ES6_15HIP_vector_typeIjLj2EENS0_17counting_iteratorIjlEEPS9_SG_NS0_5tupleIJPjSI_NS0_16reverse_iteratorISI_EEEEENSH_IJSG_SG_SG_EEES9_SI_JZNS1_25segmented_radix_sort_implINS0_14default_configELb1EPKsPsPKlPlN2at6native12_GLOBAL__N_18offset_tEEE10hipError_tPvRmT1_PNSt15iterator_traitsIS12_E10value_typeET2_T3_PNS13_IS18_E10value_typeET4_jRbjT5_S1E_jjP12ihipStream_tbEUljE_ZNSN_ISO_Lb1ESQ_SR_ST_SU_SY_EESZ_S10_S11_S12_S16_S17_S18_S1B_S1C_jS1D_jS1E_S1E_jjS1G_bEUljE0_EEESZ_S10_S11_S18_S1C_S1E_T6_T7_T9_mT8_S1G_bDpT10_ENKUlT_T0_E_clISt17integral_constantIbLb1EES1U_EEDaS1P_S1Q_EUlS1P_E_NS1_11comp_targetILNS1_3genE2ELNS1_11target_archE906ELNS1_3gpuE6ELNS1_3repE0EEENS1_30default_config_static_selectorELNS0_4arch9wavefront6targetE0EEEvS12_ ; -- Begin function _ZN7rocprim17ROCPRIM_400000_NS6detail17trampoline_kernelINS0_13select_configILj256ELj13ELNS0_17block_load_methodE3ELS4_3ELS4_3ELNS0_20block_scan_algorithmE0ELj4294967295EEENS1_25partition_config_selectorILNS1_17partition_subalgoE4EjNS0_10empty_typeEbEEZZNS1_14partition_implILS8_4ELb0ES6_15HIP_vector_typeIjLj2EENS0_17counting_iteratorIjlEEPS9_SG_NS0_5tupleIJPjSI_NS0_16reverse_iteratorISI_EEEEENSH_IJSG_SG_SG_EEES9_SI_JZNS1_25segmented_radix_sort_implINS0_14default_configELb1EPKsPsPKlPlN2at6native12_GLOBAL__N_18offset_tEEE10hipError_tPvRmT1_PNSt15iterator_traitsIS12_E10value_typeET2_T3_PNS13_IS18_E10value_typeET4_jRbjT5_S1E_jjP12ihipStream_tbEUljE_ZNSN_ISO_Lb1ESQ_SR_ST_SU_SY_EESZ_S10_S11_S12_S16_S17_S18_S1B_S1C_jS1D_jS1E_S1E_jjS1G_bEUljE0_EEESZ_S10_S11_S18_S1C_S1E_T6_T7_T9_mT8_S1G_bDpT10_ENKUlT_T0_E_clISt17integral_constantIbLb1EES1U_EEDaS1P_S1Q_EUlS1P_E_NS1_11comp_targetILNS1_3genE2ELNS1_11target_archE906ELNS1_3gpuE6ELNS1_3repE0EEENS1_30default_config_static_selectorELNS0_4arch9wavefront6targetE0EEEvS12_
	.p2align	8
	.type	_ZN7rocprim17ROCPRIM_400000_NS6detail17trampoline_kernelINS0_13select_configILj256ELj13ELNS0_17block_load_methodE3ELS4_3ELS4_3ELNS0_20block_scan_algorithmE0ELj4294967295EEENS1_25partition_config_selectorILNS1_17partition_subalgoE4EjNS0_10empty_typeEbEEZZNS1_14partition_implILS8_4ELb0ES6_15HIP_vector_typeIjLj2EENS0_17counting_iteratorIjlEEPS9_SG_NS0_5tupleIJPjSI_NS0_16reverse_iteratorISI_EEEEENSH_IJSG_SG_SG_EEES9_SI_JZNS1_25segmented_radix_sort_implINS0_14default_configELb1EPKsPsPKlPlN2at6native12_GLOBAL__N_18offset_tEEE10hipError_tPvRmT1_PNSt15iterator_traitsIS12_E10value_typeET2_T3_PNS13_IS18_E10value_typeET4_jRbjT5_S1E_jjP12ihipStream_tbEUljE_ZNSN_ISO_Lb1ESQ_SR_ST_SU_SY_EESZ_S10_S11_S12_S16_S17_S18_S1B_S1C_jS1D_jS1E_S1E_jjS1G_bEUljE0_EEESZ_S10_S11_S18_S1C_S1E_T6_T7_T9_mT8_S1G_bDpT10_ENKUlT_T0_E_clISt17integral_constantIbLb1EES1U_EEDaS1P_S1Q_EUlS1P_E_NS1_11comp_targetILNS1_3genE2ELNS1_11target_archE906ELNS1_3gpuE6ELNS1_3repE0EEENS1_30default_config_static_selectorELNS0_4arch9wavefront6targetE0EEEvS12_,@function
_ZN7rocprim17ROCPRIM_400000_NS6detail17trampoline_kernelINS0_13select_configILj256ELj13ELNS0_17block_load_methodE3ELS4_3ELS4_3ELNS0_20block_scan_algorithmE0ELj4294967295EEENS1_25partition_config_selectorILNS1_17partition_subalgoE4EjNS0_10empty_typeEbEEZZNS1_14partition_implILS8_4ELb0ES6_15HIP_vector_typeIjLj2EENS0_17counting_iteratorIjlEEPS9_SG_NS0_5tupleIJPjSI_NS0_16reverse_iteratorISI_EEEEENSH_IJSG_SG_SG_EEES9_SI_JZNS1_25segmented_radix_sort_implINS0_14default_configELb1EPKsPsPKlPlN2at6native12_GLOBAL__N_18offset_tEEE10hipError_tPvRmT1_PNSt15iterator_traitsIS12_E10value_typeET2_T3_PNS13_IS18_E10value_typeET4_jRbjT5_S1E_jjP12ihipStream_tbEUljE_ZNSN_ISO_Lb1ESQ_SR_ST_SU_SY_EESZ_S10_S11_S12_S16_S17_S18_S1B_S1C_jS1D_jS1E_S1E_jjS1G_bEUljE0_EEESZ_S10_S11_S18_S1C_S1E_T6_T7_T9_mT8_S1G_bDpT10_ENKUlT_T0_E_clISt17integral_constantIbLb1EES1U_EEDaS1P_S1Q_EUlS1P_E_NS1_11comp_targetILNS1_3genE2ELNS1_11target_archE906ELNS1_3gpuE6ELNS1_3repE0EEENS1_30default_config_static_selectorELNS0_4arch9wavefront6targetE0EEEvS12_: ; @_ZN7rocprim17ROCPRIM_400000_NS6detail17trampoline_kernelINS0_13select_configILj256ELj13ELNS0_17block_load_methodE3ELS4_3ELS4_3ELNS0_20block_scan_algorithmE0ELj4294967295EEENS1_25partition_config_selectorILNS1_17partition_subalgoE4EjNS0_10empty_typeEbEEZZNS1_14partition_implILS8_4ELb0ES6_15HIP_vector_typeIjLj2EENS0_17counting_iteratorIjlEEPS9_SG_NS0_5tupleIJPjSI_NS0_16reverse_iteratorISI_EEEEENSH_IJSG_SG_SG_EEES9_SI_JZNS1_25segmented_radix_sort_implINS0_14default_configELb1EPKsPsPKlPlN2at6native12_GLOBAL__N_18offset_tEEE10hipError_tPvRmT1_PNSt15iterator_traitsIS12_E10value_typeET2_T3_PNS13_IS18_E10value_typeET4_jRbjT5_S1E_jjP12ihipStream_tbEUljE_ZNSN_ISO_Lb1ESQ_SR_ST_SU_SY_EESZ_S10_S11_S12_S16_S17_S18_S1B_S1C_jS1D_jS1E_S1E_jjS1G_bEUljE0_EEESZ_S10_S11_S18_S1C_S1E_T6_T7_T9_mT8_S1G_bDpT10_ENKUlT_T0_E_clISt17integral_constantIbLb1EES1U_EEDaS1P_S1Q_EUlS1P_E_NS1_11comp_targetILNS1_3genE2ELNS1_11target_archE906ELNS1_3gpuE6ELNS1_3repE0EEENS1_30default_config_static_selectorELNS0_4arch9wavefront6targetE0EEEvS12_
; %bb.0:
	.section	.rodata,"a",@progbits
	.p2align	6, 0x0
	.amdhsa_kernel _ZN7rocprim17ROCPRIM_400000_NS6detail17trampoline_kernelINS0_13select_configILj256ELj13ELNS0_17block_load_methodE3ELS4_3ELS4_3ELNS0_20block_scan_algorithmE0ELj4294967295EEENS1_25partition_config_selectorILNS1_17partition_subalgoE4EjNS0_10empty_typeEbEEZZNS1_14partition_implILS8_4ELb0ES6_15HIP_vector_typeIjLj2EENS0_17counting_iteratorIjlEEPS9_SG_NS0_5tupleIJPjSI_NS0_16reverse_iteratorISI_EEEEENSH_IJSG_SG_SG_EEES9_SI_JZNS1_25segmented_radix_sort_implINS0_14default_configELb1EPKsPsPKlPlN2at6native12_GLOBAL__N_18offset_tEEE10hipError_tPvRmT1_PNSt15iterator_traitsIS12_E10value_typeET2_T3_PNS13_IS18_E10value_typeET4_jRbjT5_S1E_jjP12ihipStream_tbEUljE_ZNSN_ISO_Lb1ESQ_SR_ST_SU_SY_EESZ_S10_S11_S12_S16_S17_S18_S1B_S1C_jS1D_jS1E_S1E_jjS1G_bEUljE0_EEESZ_S10_S11_S18_S1C_S1E_T6_T7_T9_mT8_S1G_bDpT10_ENKUlT_T0_E_clISt17integral_constantIbLb1EES1U_EEDaS1P_S1Q_EUlS1P_E_NS1_11comp_targetILNS1_3genE2ELNS1_11target_archE906ELNS1_3gpuE6ELNS1_3repE0EEENS1_30default_config_static_selectorELNS0_4arch9wavefront6targetE0EEEvS12_
		.amdhsa_group_segment_fixed_size 0
		.amdhsa_private_segment_fixed_size 0
		.amdhsa_kernarg_size 184
		.amdhsa_user_sgpr_count 2
		.amdhsa_user_sgpr_dispatch_ptr 0
		.amdhsa_user_sgpr_queue_ptr 0
		.amdhsa_user_sgpr_kernarg_segment_ptr 1
		.amdhsa_user_sgpr_dispatch_id 0
		.amdhsa_user_sgpr_private_segment_size 0
		.amdhsa_wavefront_size32 1
		.amdhsa_uses_dynamic_stack 0
		.amdhsa_enable_private_segment 0
		.amdhsa_system_sgpr_workgroup_id_x 1
		.amdhsa_system_sgpr_workgroup_id_y 0
		.amdhsa_system_sgpr_workgroup_id_z 0
		.amdhsa_system_sgpr_workgroup_info 0
		.amdhsa_system_vgpr_workitem_id 0
		.amdhsa_next_free_vgpr 1
		.amdhsa_next_free_sgpr 1
		.amdhsa_reserve_vcc 0
		.amdhsa_float_round_mode_32 0
		.amdhsa_float_round_mode_16_64 0
		.amdhsa_float_denorm_mode_32 3
		.amdhsa_float_denorm_mode_16_64 3
		.amdhsa_fp16_overflow 0
		.amdhsa_workgroup_processor_mode 1
		.amdhsa_memory_ordered 1
		.amdhsa_forward_progress 1
		.amdhsa_inst_pref_size 0
		.amdhsa_round_robin_scheduling 0
		.amdhsa_exception_fp_ieee_invalid_op 0
		.amdhsa_exception_fp_denorm_src 0
		.amdhsa_exception_fp_ieee_div_zero 0
		.amdhsa_exception_fp_ieee_overflow 0
		.amdhsa_exception_fp_ieee_underflow 0
		.amdhsa_exception_fp_ieee_inexact 0
		.amdhsa_exception_int_div_zero 0
	.end_amdhsa_kernel
	.section	.text._ZN7rocprim17ROCPRIM_400000_NS6detail17trampoline_kernelINS0_13select_configILj256ELj13ELNS0_17block_load_methodE3ELS4_3ELS4_3ELNS0_20block_scan_algorithmE0ELj4294967295EEENS1_25partition_config_selectorILNS1_17partition_subalgoE4EjNS0_10empty_typeEbEEZZNS1_14partition_implILS8_4ELb0ES6_15HIP_vector_typeIjLj2EENS0_17counting_iteratorIjlEEPS9_SG_NS0_5tupleIJPjSI_NS0_16reverse_iteratorISI_EEEEENSH_IJSG_SG_SG_EEES9_SI_JZNS1_25segmented_radix_sort_implINS0_14default_configELb1EPKsPsPKlPlN2at6native12_GLOBAL__N_18offset_tEEE10hipError_tPvRmT1_PNSt15iterator_traitsIS12_E10value_typeET2_T3_PNS13_IS18_E10value_typeET4_jRbjT5_S1E_jjP12ihipStream_tbEUljE_ZNSN_ISO_Lb1ESQ_SR_ST_SU_SY_EESZ_S10_S11_S12_S16_S17_S18_S1B_S1C_jS1D_jS1E_S1E_jjS1G_bEUljE0_EEESZ_S10_S11_S18_S1C_S1E_T6_T7_T9_mT8_S1G_bDpT10_ENKUlT_T0_E_clISt17integral_constantIbLb1EES1U_EEDaS1P_S1Q_EUlS1P_E_NS1_11comp_targetILNS1_3genE2ELNS1_11target_archE906ELNS1_3gpuE6ELNS1_3repE0EEENS1_30default_config_static_selectorELNS0_4arch9wavefront6targetE0EEEvS12_,"axG",@progbits,_ZN7rocprim17ROCPRIM_400000_NS6detail17trampoline_kernelINS0_13select_configILj256ELj13ELNS0_17block_load_methodE3ELS4_3ELS4_3ELNS0_20block_scan_algorithmE0ELj4294967295EEENS1_25partition_config_selectorILNS1_17partition_subalgoE4EjNS0_10empty_typeEbEEZZNS1_14partition_implILS8_4ELb0ES6_15HIP_vector_typeIjLj2EENS0_17counting_iteratorIjlEEPS9_SG_NS0_5tupleIJPjSI_NS0_16reverse_iteratorISI_EEEEENSH_IJSG_SG_SG_EEES9_SI_JZNS1_25segmented_radix_sort_implINS0_14default_configELb1EPKsPsPKlPlN2at6native12_GLOBAL__N_18offset_tEEE10hipError_tPvRmT1_PNSt15iterator_traitsIS12_E10value_typeET2_T3_PNS13_IS18_E10value_typeET4_jRbjT5_S1E_jjP12ihipStream_tbEUljE_ZNSN_ISO_Lb1ESQ_SR_ST_SU_SY_EESZ_S10_S11_S12_S16_S17_S18_S1B_S1C_jS1D_jS1E_S1E_jjS1G_bEUljE0_EEESZ_S10_S11_S18_S1C_S1E_T6_T7_T9_mT8_S1G_bDpT10_ENKUlT_T0_E_clISt17integral_constantIbLb1EES1U_EEDaS1P_S1Q_EUlS1P_E_NS1_11comp_targetILNS1_3genE2ELNS1_11target_archE906ELNS1_3gpuE6ELNS1_3repE0EEENS1_30default_config_static_selectorELNS0_4arch9wavefront6targetE0EEEvS12_,comdat
.Lfunc_end859:
	.size	_ZN7rocprim17ROCPRIM_400000_NS6detail17trampoline_kernelINS0_13select_configILj256ELj13ELNS0_17block_load_methodE3ELS4_3ELS4_3ELNS0_20block_scan_algorithmE0ELj4294967295EEENS1_25partition_config_selectorILNS1_17partition_subalgoE4EjNS0_10empty_typeEbEEZZNS1_14partition_implILS8_4ELb0ES6_15HIP_vector_typeIjLj2EENS0_17counting_iteratorIjlEEPS9_SG_NS0_5tupleIJPjSI_NS0_16reverse_iteratorISI_EEEEENSH_IJSG_SG_SG_EEES9_SI_JZNS1_25segmented_radix_sort_implINS0_14default_configELb1EPKsPsPKlPlN2at6native12_GLOBAL__N_18offset_tEEE10hipError_tPvRmT1_PNSt15iterator_traitsIS12_E10value_typeET2_T3_PNS13_IS18_E10value_typeET4_jRbjT5_S1E_jjP12ihipStream_tbEUljE_ZNSN_ISO_Lb1ESQ_SR_ST_SU_SY_EESZ_S10_S11_S12_S16_S17_S18_S1B_S1C_jS1D_jS1E_S1E_jjS1G_bEUljE0_EEESZ_S10_S11_S18_S1C_S1E_T6_T7_T9_mT8_S1G_bDpT10_ENKUlT_T0_E_clISt17integral_constantIbLb1EES1U_EEDaS1P_S1Q_EUlS1P_E_NS1_11comp_targetILNS1_3genE2ELNS1_11target_archE906ELNS1_3gpuE6ELNS1_3repE0EEENS1_30default_config_static_selectorELNS0_4arch9wavefront6targetE0EEEvS12_, .Lfunc_end859-_ZN7rocprim17ROCPRIM_400000_NS6detail17trampoline_kernelINS0_13select_configILj256ELj13ELNS0_17block_load_methodE3ELS4_3ELS4_3ELNS0_20block_scan_algorithmE0ELj4294967295EEENS1_25partition_config_selectorILNS1_17partition_subalgoE4EjNS0_10empty_typeEbEEZZNS1_14partition_implILS8_4ELb0ES6_15HIP_vector_typeIjLj2EENS0_17counting_iteratorIjlEEPS9_SG_NS0_5tupleIJPjSI_NS0_16reverse_iteratorISI_EEEEENSH_IJSG_SG_SG_EEES9_SI_JZNS1_25segmented_radix_sort_implINS0_14default_configELb1EPKsPsPKlPlN2at6native12_GLOBAL__N_18offset_tEEE10hipError_tPvRmT1_PNSt15iterator_traitsIS12_E10value_typeET2_T3_PNS13_IS18_E10value_typeET4_jRbjT5_S1E_jjP12ihipStream_tbEUljE_ZNSN_ISO_Lb1ESQ_SR_ST_SU_SY_EESZ_S10_S11_S12_S16_S17_S18_S1B_S1C_jS1D_jS1E_S1E_jjS1G_bEUljE0_EEESZ_S10_S11_S18_S1C_S1E_T6_T7_T9_mT8_S1G_bDpT10_ENKUlT_T0_E_clISt17integral_constantIbLb1EES1U_EEDaS1P_S1Q_EUlS1P_E_NS1_11comp_targetILNS1_3genE2ELNS1_11target_archE906ELNS1_3gpuE6ELNS1_3repE0EEENS1_30default_config_static_selectorELNS0_4arch9wavefront6targetE0EEEvS12_
                                        ; -- End function
	.set _ZN7rocprim17ROCPRIM_400000_NS6detail17trampoline_kernelINS0_13select_configILj256ELj13ELNS0_17block_load_methodE3ELS4_3ELS4_3ELNS0_20block_scan_algorithmE0ELj4294967295EEENS1_25partition_config_selectorILNS1_17partition_subalgoE4EjNS0_10empty_typeEbEEZZNS1_14partition_implILS8_4ELb0ES6_15HIP_vector_typeIjLj2EENS0_17counting_iteratorIjlEEPS9_SG_NS0_5tupleIJPjSI_NS0_16reverse_iteratorISI_EEEEENSH_IJSG_SG_SG_EEES9_SI_JZNS1_25segmented_radix_sort_implINS0_14default_configELb1EPKsPsPKlPlN2at6native12_GLOBAL__N_18offset_tEEE10hipError_tPvRmT1_PNSt15iterator_traitsIS12_E10value_typeET2_T3_PNS13_IS18_E10value_typeET4_jRbjT5_S1E_jjP12ihipStream_tbEUljE_ZNSN_ISO_Lb1ESQ_SR_ST_SU_SY_EESZ_S10_S11_S12_S16_S17_S18_S1B_S1C_jS1D_jS1E_S1E_jjS1G_bEUljE0_EEESZ_S10_S11_S18_S1C_S1E_T6_T7_T9_mT8_S1G_bDpT10_ENKUlT_T0_E_clISt17integral_constantIbLb1EES1U_EEDaS1P_S1Q_EUlS1P_E_NS1_11comp_targetILNS1_3genE2ELNS1_11target_archE906ELNS1_3gpuE6ELNS1_3repE0EEENS1_30default_config_static_selectorELNS0_4arch9wavefront6targetE0EEEvS12_.num_vgpr, 0
	.set _ZN7rocprim17ROCPRIM_400000_NS6detail17trampoline_kernelINS0_13select_configILj256ELj13ELNS0_17block_load_methodE3ELS4_3ELS4_3ELNS0_20block_scan_algorithmE0ELj4294967295EEENS1_25partition_config_selectorILNS1_17partition_subalgoE4EjNS0_10empty_typeEbEEZZNS1_14partition_implILS8_4ELb0ES6_15HIP_vector_typeIjLj2EENS0_17counting_iteratorIjlEEPS9_SG_NS0_5tupleIJPjSI_NS0_16reverse_iteratorISI_EEEEENSH_IJSG_SG_SG_EEES9_SI_JZNS1_25segmented_radix_sort_implINS0_14default_configELb1EPKsPsPKlPlN2at6native12_GLOBAL__N_18offset_tEEE10hipError_tPvRmT1_PNSt15iterator_traitsIS12_E10value_typeET2_T3_PNS13_IS18_E10value_typeET4_jRbjT5_S1E_jjP12ihipStream_tbEUljE_ZNSN_ISO_Lb1ESQ_SR_ST_SU_SY_EESZ_S10_S11_S12_S16_S17_S18_S1B_S1C_jS1D_jS1E_S1E_jjS1G_bEUljE0_EEESZ_S10_S11_S18_S1C_S1E_T6_T7_T9_mT8_S1G_bDpT10_ENKUlT_T0_E_clISt17integral_constantIbLb1EES1U_EEDaS1P_S1Q_EUlS1P_E_NS1_11comp_targetILNS1_3genE2ELNS1_11target_archE906ELNS1_3gpuE6ELNS1_3repE0EEENS1_30default_config_static_selectorELNS0_4arch9wavefront6targetE0EEEvS12_.num_agpr, 0
	.set _ZN7rocprim17ROCPRIM_400000_NS6detail17trampoline_kernelINS0_13select_configILj256ELj13ELNS0_17block_load_methodE3ELS4_3ELS4_3ELNS0_20block_scan_algorithmE0ELj4294967295EEENS1_25partition_config_selectorILNS1_17partition_subalgoE4EjNS0_10empty_typeEbEEZZNS1_14partition_implILS8_4ELb0ES6_15HIP_vector_typeIjLj2EENS0_17counting_iteratorIjlEEPS9_SG_NS0_5tupleIJPjSI_NS0_16reverse_iteratorISI_EEEEENSH_IJSG_SG_SG_EEES9_SI_JZNS1_25segmented_radix_sort_implINS0_14default_configELb1EPKsPsPKlPlN2at6native12_GLOBAL__N_18offset_tEEE10hipError_tPvRmT1_PNSt15iterator_traitsIS12_E10value_typeET2_T3_PNS13_IS18_E10value_typeET4_jRbjT5_S1E_jjP12ihipStream_tbEUljE_ZNSN_ISO_Lb1ESQ_SR_ST_SU_SY_EESZ_S10_S11_S12_S16_S17_S18_S1B_S1C_jS1D_jS1E_S1E_jjS1G_bEUljE0_EEESZ_S10_S11_S18_S1C_S1E_T6_T7_T9_mT8_S1G_bDpT10_ENKUlT_T0_E_clISt17integral_constantIbLb1EES1U_EEDaS1P_S1Q_EUlS1P_E_NS1_11comp_targetILNS1_3genE2ELNS1_11target_archE906ELNS1_3gpuE6ELNS1_3repE0EEENS1_30default_config_static_selectorELNS0_4arch9wavefront6targetE0EEEvS12_.numbered_sgpr, 0
	.set _ZN7rocprim17ROCPRIM_400000_NS6detail17trampoline_kernelINS0_13select_configILj256ELj13ELNS0_17block_load_methodE3ELS4_3ELS4_3ELNS0_20block_scan_algorithmE0ELj4294967295EEENS1_25partition_config_selectorILNS1_17partition_subalgoE4EjNS0_10empty_typeEbEEZZNS1_14partition_implILS8_4ELb0ES6_15HIP_vector_typeIjLj2EENS0_17counting_iteratorIjlEEPS9_SG_NS0_5tupleIJPjSI_NS0_16reverse_iteratorISI_EEEEENSH_IJSG_SG_SG_EEES9_SI_JZNS1_25segmented_radix_sort_implINS0_14default_configELb1EPKsPsPKlPlN2at6native12_GLOBAL__N_18offset_tEEE10hipError_tPvRmT1_PNSt15iterator_traitsIS12_E10value_typeET2_T3_PNS13_IS18_E10value_typeET4_jRbjT5_S1E_jjP12ihipStream_tbEUljE_ZNSN_ISO_Lb1ESQ_SR_ST_SU_SY_EESZ_S10_S11_S12_S16_S17_S18_S1B_S1C_jS1D_jS1E_S1E_jjS1G_bEUljE0_EEESZ_S10_S11_S18_S1C_S1E_T6_T7_T9_mT8_S1G_bDpT10_ENKUlT_T0_E_clISt17integral_constantIbLb1EES1U_EEDaS1P_S1Q_EUlS1P_E_NS1_11comp_targetILNS1_3genE2ELNS1_11target_archE906ELNS1_3gpuE6ELNS1_3repE0EEENS1_30default_config_static_selectorELNS0_4arch9wavefront6targetE0EEEvS12_.num_named_barrier, 0
	.set _ZN7rocprim17ROCPRIM_400000_NS6detail17trampoline_kernelINS0_13select_configILj256ELj13ELNS0_17block_load_methodE3ELS4_3ELS4_3ELNS0_20block_scan_algorithmE0ELj4294967295EEENS1_25partition_config_selectorILNS1_17partition_subalgoE4EjNS0_10empty_typeEbEEZZNS1_14partition_implILS8_4ELb0ES6_15HIP_vector_typeIjLj2EENS0_17counting_iteratorIjlEEPS9_SG_NS0_5tupleIJPjSI_NS0_16reverse_iteratorISI_EEEEENSH_IJSG_SG_SG_EEES9_SI_JZNS1_25segmented_radix_sort_implINS0_14default_configELb1EPKsPsPKlPlN2at6native12_GLOBAL__N_18offset_tEEE10hipError_tPvRmT1_PNSt15iterator_traitsIS12_E10value_typeET2_T3_PNS13_IS18_E10value_typeET4_jRbjT5_S1E_jjP12ihipStream_tbEUljE_ZNSN_ISO_Lb1ESQ_SR_ST_SU_SY_EESZ_S10_S11_S12_S16_S17_S18_S1B_S1C_jS1D_jS1E_S1E_jjS1G_bEUljE0_EEESZ_S10_S11_S18_S1C_S1E_T6_T7_T9_mT8_S1G_bDpT10_ENKUlT_T0_E_clISt17integral_constantIbLb1EES1U_EEDaS1P_S1Q_EUlS1P_E_NS1_11comp_targetILNS1_3genE2ELNS1_11target_archE906ELNS1_3gpuE6ELNS1_3repE0EEENS1_30default_config_static_selectorELNS0_4arch9wavefront6targetE0EEEvS12_.private_seg_size, 0
	.set _ZN7rocprim17ROCPRIM_400000_NS6detail17trampoline_kernelINS0_13select_configILj256ELj13ELNS0_17block_load_methodE3ELS4_3ELS4_3ELNS0_20block_scan_algorithmE0ELj4294967295EEENS1_25partition_config_selectorILNS1_17partition_subalgoE4EjNS0_10empty_typeEbEEZZNS1_14partition_implILS8_4ELb0ES6_15HIP_vector_typeIjLj2EENS0_17counting_iteratorIjlEEPS9_SG_NS0_5tupleIJPjSI_NS0_16reverse_iteratorISI_EEEEENSH_IJSG_SG_SG_EEES9_SI_JZNS1_25segmented_radix_sort_implINS0_14default_configELb1EPKsPsPKlPlN2at6native12_GLOBAL__N_18offset_tEEE10hipError_tPvRmT1_PNSt15iterator_traitsIS12_E10value_typeET2_T3_PNS13_IS18_E10value_typeET4_jRbjT5_S1E_jjP12ihipStream_tbEUljE_ZNSN_ISO_Lb1ESQ_SR_ST_SU_SY_EESZ_S10_S11_S12_S16_S17_S18_S1B_S1C_jS1D_jS1E_S1E_jjS1G_bEUljE0_EEESZ_S10_S11_S18_S1C_S1E_T6_T7_T9_mT8_S1G_bDpT10_ENKUlT_T0_E_clISt17integral_constantIbLb1EES1U_EEDaS1P_S1Q_EUlS1P_E_NS1_11comp_targetILNS1_3genE2ELNS1_11target_archE906ELNS1_3gpuE6ELNS1_3repE0EEENS1_30default_config_static_selectorELNS0_4arch9wavefront6targetE0EEEvS12_.uses_vcc, 0
	.set _ZN7rocprim17ROCPRIM_400000_NS6detail17trampoline_kernelINS0_13select_configILj256ELj13ELNS0_17block_load_methodE3ELS4_3ELS4_3ELNS0_20block_scan_algorithmE0ELj4294967295EEENS1_25partition_config_selectorILNS1_17partition_subalgoE4EjNS0_10empty_typeEbEEZZNS1_14partition_implILS8_4ELb0ES6_15HIP_vector_typeIjLj2EENS0_17counting_iteratorIjlEEPS9_SG_NS0_5tupleIJPjSI_NS0_16reverse_iteratorISI_EEEEENSH_IJSG_SG_SG_EEES9_SI_JZNS1_25segmented_radix_sort_implINS0_14default_configELb1EPKsPsPKlPlN2at6native12_GLOBAL__N_18offset_tEEE10hipError_tPvRmT1_PNSt15iterator_traitsIS12_E10value_typeET2_T3_PNS13_IS18_E10value_typeET4_jRbjT5_S1E_jjP12ihipStream_tbEUljE_ZNSN_ISO_Lb1ESQ_SR_ST_SU_SY_EESZ_S10_S11_S12_S16_S17_S18_S1B_S1C_jS1D_jS1E_S1E_jjS1G_bEUljE0_EEESZ_S10_S11_S18_S1C_S1E_T6_T7_T9_mT8_S1G_bDpT10_ENKUlT_T0_E_clISt17integral_constantIbLb1EES1U_EEDaS1P_S1Q_EUlS1P_E_NS1_11comp_targetILNS1_3genE2ELNS1_11target_archE906ELNS1_3gpuE6ELNS1_3repE0EEENS1_30default_config_static_selectorELNS0_4arch9wavefront6targetE0EEEvS12_.uses_flat_scratch, 0
	.set _ZN7rocprim17ROCPRIM_400000_NS6detail17trampoline_kernelINS0_13select_configILj256ELj13ELNS0_17block_load_methodE3ELS4_3ELS4_3ELNS0_20block_scan_algorithmE0ELj4294967295EEENS1_25partition_config_selectorILNS1_17partition_subalgoE4EjNS0_10empty_typeEbEEZZNS1_14partition_implILS8_4ELb0ES6_15HIP_vector_typeIjLj2EENS0_17counting_iteratorIjlEEPS9_SG_NS0_5tupleIJPjSI_NS0_16reverse_iteratorISI_EEEEENSH_IJSG_SG_SG_EEES9_SI_JZNS1_25segmented_radix_sort_implINS0_14default_configELb1EPKsPsPKlPlN2at6native12_GLOBAL__N_18offset_tEEE10hipError_tPvRmT1_PNSt15iterator_traitsIS12_E10value_typeET2_T3_PNS13_IS18_E10value_typeET4_jRbjT5_S1E_jjP12ihipStream_tbEUljE_ZNSN_ISO_Lb1ESQ_SR_ST_SU_SY_EESZ_S10_S11_S12_S16_S17_S18_S1B_S1C_jS1D_jS1E_S1E_jjS1G_bEUljE0_EEESZ_S10_S11_S18_S1C_S1E_T6_T7_T9_mT8_S1G_bDpT10_ENKUlT_T0_E_clISt17integral_constantIbLb1EES1U_EEDaS1P_S1Q_EUlS1P_E_NS1_11comp_targetILNS1_3genE2ELNS1_11target_archE906ELNS1_3gpuE6ELNS1_3repE0EEENS1_30default_config_static_selectorELNS0_4arch9wavefront6targetE0EEEvS12_.has_dyn_sized_stack, 0
	.set _ZN7rocprim17ROCPRIM_400000_NS6detail17trampoline_kernelINS0_13select_configILj256ELj13ELNS0_17block_load_methodE3ELS4_3ELS4_3ELNS0_20block_scan_algorithmE0ELj4294967295EEENS1_25partition_config_selectorILNS1_17partition_subalgoE4EjNS0_10empty_typeEbEEZZNS1_14partition_implILS8_4ELb0ES6_15HIP_vector_typeIjLj2EENS0_17counting_iteratorIjlEEPS9_SG_NS0_5tupleIJPjSI_NS0_16reverse_iteratorISI_EEEEENSH_IJSG_SG_SG_EEES9_SI_JZNS1_25segmented_radix_sort_implINS0_14default_configELb1EPKsPsPKlPlN2at6native12_GLOBAL__N_18offset_tEEE10hipError_tPvRmT1_PNSt15iterator_traitsIS12_E10value_typeET2_T3_PNS13_IS18_E10value_typeET4_jRbjT5_S1E_jjP12ihipStream_tbEUljE_ZNSN_ISO_Lb1ESQ_SR_ST_SU_SY_EESZ_S10_S11_S12_S16_S17_S18_S1B_S1C_jS1D_jS1E_S1E_jjS1G_bEUljE0_EEESZ_S10_S11_S18_S1C_S1E_T6_T7_T9_mT8_S1G_bDpT10_ENKUlT_T0_E_clISt17integral_constantIbLb1EES1U_EEDaS1P_S1Q_EUlS1P_E_NS1_11comp_targetILNS1_3genE2ELNS1_11target_archE906ELNS1_3gpuE6ELNS1_3repE0EEENS1_30default_config_static_selectorELNS0_4arch9wavefront6targetE0EEEvS12_.has_recursion, 0
	.set _ZN7rocprim17ROCPRIM_400000_NS6detail17trampoline_kernelINS0_13select_configILj256ELj13ELNS0_17block_load_methodE3ELS4_3ELS4_3ELNS0_20block_scan_algorithmE0ELj4294967295EEENS1_25partition_config_selectorILNS1_17partition_subalgoE4EjNS0_10empty_typeEbEEZZNS1_14partition_implILS8_4ELb0ES6_15HIP_vector_typeIjLj2EENS0_17counting_iteratorIjlEEPS9_SG_NS0_5tupleIJPjSI_NS0_16reverse_iteratorISI_EEEEENSH_IJSG_SG_SG_EEES9_SI_JZNS1_25segmented_radix_sort_implINS0_14default_configELb1EPKsPsPKlPlN2at6native12_GLOBAL__N_18offset_tEEE10hipError_tPvRmT1_PNSt15iterator_traitsIS12_E10value_typeET2_T3_PNS13_IS18_E10value_typeET4_jRbjT5_S1E_jjP12ihipStream_tbEUljE_ZNSN_ISO_Lb1ESQ_SR_ST_SU_SY_EESZ_S10_S11_S12_S16_S17_S18_S1B_S1C_jS1D_jS1E_S1E_jjS1G_bEUljE0_EEESZ_S10_S11_S18_S1C_S1E_T6_T7_T9_mT8_S1G_bDpT10_ENKUlT_T0_E_clISt17integral_constantIbLb1EES1U_EEDaS1P_S1Q_EUlS1P_E_NS1_11comp_targetILNS1_3genE2ELNS1_11target_archE906ELNS1_3gpuE6ELNS1_3repE0EEENS1_30default_config_static_selectorELNS0_4arch9wavefront6targetE0EEEvS12_.has_indirect_call, 0
	.section	.AMDGPU.csdata,"",@progbits
; Kernel info:
; codeLenInByte = 0
; TotalNumSgprs: 0
; NumVgprs: 0
; ScratchSize: 0
; MemoryBound: 0
; FloatMode: 240
; IeeeMode: 1
; LDSByteSize: 0 bytes/workgroup (compile time only)
; SGPRBlocks: 0
; VGPRBlocks: 0
; NumSGPRsForWavesPerEU: 1
; NumVGPRsForWavesPerEU: 1
; Occupancy: 16
; WaveLimiterHint : 0
; COMPUTE_PGM_RSRC2:SCRATCH_EN: 0
; COMPUTE_PGM_RSRC2:USER_SGPR: 2
; COMPUTE_PGM_RSRC2:TRAP_HANDLER: 0
; COMPUTE_PGM_RSRC2:TGID_X_EN: 1
; COMPUTE_PGM_RSRC2:TGID_Y_EN: 0
; COMPUTE_PGM_RSRC2:TGID_Z_EN: 0
; COMPUTE_PGM_RSRC2:TIDIG_COMP_CNT: 0
	.section	.text._ZN7rocprim17ROCPRIM_400000_NS6detail17trampoline_kernelINS0_13select_configILj256ELj13ELNS0_17block_load_methodE3ELS4_3ELS4_3ELNS0_20block_scan_algorithmE0ELj4294967295EEENS1_25partition_config_selectorILNS1_17partition_subalgoE4EjNS0_10empty_typeEbEEZZNS1_14partition_implILS8_4ELb0ES6_15HIP_vector_typeIjLj2EENS0_17counting_iteratorIjlEEPS9_SG_NS0_5tupleIJPjSI_NS0_16reverse_iteratorISI_EEEEENSH_IJSG_SG_SG_EEES9_SI_JZNS1_25segmented_radix_sort_implINS0_14default_configELb1EPKsPsPKlPlN2at6native12_GLOBAL__N_18offset_tEEE10hipError_tPvRmT1_PNSt15iterator_traitsIS12_E10value_typeET2_T3_PNS13_IS18_E10value_typeET4_jRbjT5_S1E_jjP12ihipStream_tbEUljE_ZNSN_ISO_Lb1ESQ_SR_ST_SU_SY_EESZ_S10_S11_S12_S16_S17_S18_S1B_S1C_jS1D_jS1E_S1E_jjS1G_bEUljE0_EEESZ_S10_S11_S18_S1C_S1E_T6_T7_T9_mT8_S1G_bDpT10_ENKUlT_T0_E_clISt17integral_constantIbLb1EES1U_EEDaS1P_S1Q_EUlS1P_E_NS1_11comp_targetILNS1_3genE10ELNS1_11target_archE1200ELNS1_3gpuE4ELNS1_3repE0EEENS1_30default_config_static_selectorELNS0_4arch9wavefront6targetE0EEEvS12_,"axG",@progbits,_ZN7rocprim17ROCPRIM_400000_NS6detail17trampoline_kernelINS0_13select_configILj256ELj13ELNS0_17block_load_methodE3ELS4_3ELS4_3ELNS0_20block_scan_algorithmE0ELj4294967295EEENS1_25partition_config_selectorILNS1_17partition_subalgoE4EjNS0_10empty_typeEbEEZZNS1_14partition_implILS8_4ELb0ES6_15HIP_vector_typeIjLj2EENS0_17counting_iteratorIjlEEPS9_SG_NS0_5tupleIJPjSI_NS0_16reverse_iteratorISI_EEEEENSH_IJSG_SG_SG_EEES9_SI_JZNS1_25segmented_radix_sort_implINS0_14default_configELb1EPKsPsPKlPlN2at6native12_GLOBAL__N_18offset_tEEE10hipError_tPvRmT1_PNSt15iterator_traitsIS12_E10value_typeET2_T3_PNS13_IS18_E10value_typeET4_jRbjT5_S1E_jjP12ihipStream_tbEUljE_ZNSN_ISO_Lb1ESQ_SR_ST_SU_SY_EESZ_S10_S11_S12_S16_S17_S18_S1B_S1C_jS1D_jS1E_S1E_jjS1G_bEUljE0_EEESZ_S10_S11_S18_S1C_S1E_T6_T7_T9_mT8_S1G_bDpT10_ENKUlT_T0_E_clISt17integral_constantIbLb1EES1U_EEDaS1P_S1Q_EUlS1P_E_NS1_11comp_targetILNS1_3genE10ELNS1_11target_archE1200ELNS1_3gpuE4ELNS1_3repE0EEENS1_30default_config_static_selectorELNS0_4arch9wavefront6targetE0EEEvS12_,comdat
	.globl	_ZN7rocprim17ROCPRIM_400000_NS6detail17trampoline_kernelINS0_13select_configILj256ELj13ELNS0_17block_load_methodE3ELS4_3ELS4_3ELNS0_20block_scan_algorithmE0ELj4294967295EEENS1_25partition_config_selectorILNS1_17partition_subalgoE4EjNS0_10empty_typeEbEEZZNS1_14partition_implILS8_4ELb0ES6_15HIP_vector_typeIjLj2EENS0_17counting_iteratorIjlEEPS9_SG_NS0_5tupleIJPjSI_NS0_16reverse_iteratorISI_EEEEENSH_IJSG_SG_SG_EEES9_SI_JZNS1_25segmented_radix_sort_implINS0_14default_configELb1EPKsPsPKlPlN2at6native12_GLOBAL__N_18offset_tEEE10hipError_tPvRmT1_PNSt15iterator_traitsIS12_E10value_typeET2_T3_PNS13_IS18_E10value_typeET4_jRbjT5_S1E_jjP12ihipStream_tbEUljE_ZNSN_ISO_Lb1ESQ_SR_ST_SU_SY_EESZ_S10_S11_S12_S16_S17_S18_S1B_S1C_jS1D_jS1E_S1E_jjS1G_bEUljE0_EEESZ_S10_S11_S18_S1C_S1E_T6_T7_T9_mT8_S1G_bDpT10_ENKUlT_T0_E_clISt17integral_constantIbLb1EES1U_EEDaS1P_S1Q_EUlS1P_E_NS1_11comp_targetILNS1_3genE10ELNS1_11target_archE1200ELNS1_3gpuE4ELNS1_3repE0EEENS1_30default_config_static_selectorELNS0_4arch9wavefront6targetE0EEEvS12_ ; -- Begin function _ZN7rocprim17ROCPRIM_400000_NS6detail17trampoline_kernelINS0_13select_configILj256ELj13ELNS0_17block_load_methodE3ELS4_3ELS4_3ELNS0_20block_scan_algorithmE0ELj4294967295EEENS1_25partition_config_selectorILNS1_17partition_subalgoE4EjNS0_10empty_typeEbEEZZNS1_14partition_implILS8_4ELb0ES6_15HIP_vector_typeIjLj2EENS0_17counting_iteratorIjlEEPS9_SG_NS0_5tupleIJPjSI_NS0_16reverse_iteratorISI_EEEEENSH_IJSG_SG_SG_EEES9_SI_JZNS1_25segmented_radix_sort_implINS0_14default_configELb1EPKsPsPKlPlN2at6native12_GLOBAL__N_18offset_tEEE10hipError_tPvRmT1_PNSt15iterator_traitsIS12_E10value_typeET2_T3_PNS13_IS18_E10value_typeET4_jRbjT5_S1E_jjP12ihipStream_tbEUljE_ZNSN_ISO_Lb1ESQ_SR_ST_SU_SY_EESZ_S10_S11_S12_S16_S17_S18_S1B_S1C_jS1D_jS1E_S1E_jjS1G_bEUljE0_EEESZ_S10_S11_S18_S1C_S1E_T6_T7_T9_mT8_S1G_bDpT10_ENKUlT_T0_E_clISt17integral_constantIbLb1EES1U_EEDaS1P_S1Q_EUlS1P_E_NS1_11comp_targetILNS1_3genE10ELNS1_11target_archE1200ELNS1_3gpuE4ELNS1_3repE0EEENS1_30default_config_static_selectorELNS0_4arch9wavefront6targetE0EEEvS12_
	.p2align	8
	.type	_ZN7rocprim17ROCPRIM_400000_NS6detail17trampoline_kernelINS0_13select_configILj256ELj13ELNS0_17block_load_methodE3ELS4_3ELS4_3ELNS0_20block_scan_algorithmE0ELj4294967295EEENS1_25partition_config_selectorILNS1_17partition_subalgoE4EjNS0_10empty_typeEbEEZZNS1_14partition_implILS8_4ELb0ES6_15HIP_vector_typeIjLj2EENS0_17counting_iteratorIjlEEPS9_SG_NS0_5tupleIJPjSI_NS0_16reverse_iteratorISI_EEEEENSH_IJSG_SG_SG_EEES9_SI_JZNS1_25segmented_radix_sort_implINS0_14default_configELb1EPKsPsPKlPlN2at6native12_GLOBAL__N_18offset_tEEE10hipError_tPvRmT1_PNSt15iterator_traitsIS12_E10value_typeET2_T3_PNS13_IS18_E10value_typeET4_jRbjT5_S1E_jjP12ihipStream_tbEUljE_ZNSN_ISO_Lb1ESQ_SR_ST_SU_SY_EESZ_S10_S11_S12_S16_S17_S18_S1B_S1C_jS1D_jS1E_S1E_jjS1G_bEUljE0_EEESZ_S10_S11_S18_S1C_S1E_T6_T7_T9_mT8_S1G_bDpT10_ENKUlT_T0_E_clISt17integral_constantIbLb1EES1U_EEDaS1P_S1Q_EUlS1P_E_NS1_11comp_targetILNS1_3genE10ELNS1_11target_archE1200ELNS1_3gpuE4ELNS1_3repE0EEENS1_30default_config_static_selectorELNS0_4arch9wavefront6targetE0EEEvS12_,@function
_ZN7rocprim17ROCPRIM_400000_NS6detail17trampoline_kernelINS0_13select_configILj256ELj13ELNS0_17block_load_methodE3ELS4_3ELS4_3ELNS0_20block_scan_algorithmE0ELj4294967295EEENS1_25partition_config_selectorILNS1_17partition_subalgoE4EjNS0_10empty_typeEbEEZZNS1_14partition_implILS8_4ELb0ES6_15HIP_vector_typeIjLj2EENS0_17counting_iteratorIjlEEPS9_SG_NS0_5tupleIJPjSI_NS0_16reverse_iteratorISI_EEEEENSH_IJSG_SG_SG_EEES9_SI_JZNS1_25segmented_radix_sort_implINS0_14default_configELb1EPKsPsPKlPlN2at6native12_GLOBAL__N_18offset_tEEE10hipError_tPvRmT1_PNSt15iterator_traitsIS12_E10value_typeET2_T3_PNS13_IS18_E10value_typeET4_jRbjT5_S1E_jjP12ihipStream_tbEUljE_ZNSN_ISO_Lb1ESQ_SR_ST_SU_SY_EESZ_S10_S11_S12_S16_S17_S18_S1B_S1C_jS1D_jS1E_S1E_jjS1G_bEUljE0_EEESZ_S10_S11_S18_S1C_S1E_T6_T7_T9_mT8_S1G_bDpT10_ENKUlT_T0_E_clISt17integral_constantIbLb1EES1U_EEDaS1P_S1Q_EUlS1P_E_NS1_11comp_targetILNS1_3genE10ELNS1_11target_archE1200ELNS1_3gpuE4ELNS1_3repE0EEENS1_30default_config_static_selectorELNS0_4arch9wavefront6targetE0EEEvS12_: ; @_ZN7rocprim17ROCPRIM_400000_NS6detail17trampoline_kernelINS0_13select_configILj256ELj13ELNS0_17block_load_methodE3ELS4_3ELS4_3ELNS0_20block_scan_algorithmE0ELj4294967295EEENS1_25partition_config_selectorILNS1_17partition_subalgoE4EjNS0_10empty_typeEbEEZZNS1_14partition_implILS8_4ELb0ES6_15HIP_vector_typeIjLj2EENS0_17counting_iteratorIjlEEPS9_SG_NS0_5tupleIJPjSI_NS0_16reverse_iteratorISI_EEEEENSH_IJSG_SG_SG_EEES9_SI_JZNS1_25segmented_radix_sort_implINS0_14default_configELb1EPKsPsPKlPlN2at6native12_GLOBAL__N_18offset_tEEE10hipError_tPvRmT1_PNSt15iterator_traitsIS12_E10value_typeET2_T3_PNS13_IS18_E10value_typeET4_jRbjT5_S1E_jjP12ihipStream_tbEUljE_ZNSN_ISO_Lb1ESQ_SR_ST_SU_SY_EESZ_S10_S11_S12_S16_S17_S18_S1B_S1C_jS1D_jS1E_S1E_jjS1G_bEUljE0_EEESZ_S10_S11_S18_S1C_S1E_T6_T7_T9_mT8_S1G_bDpT10_ENKUlT_T0_E_clISt17integral_constantIbLb1EES1U_EEDaS1P_S1Q_EUlS1P_E_NS1_11comp_targetILNS1_3genE10ELNS1_11target_archE1200ELNS1_3gpuE4ELNS1_3repE0EEENS1_30default_config_static_selectorELNS0_4arch9wavefront6targetE0EEEvS12_
; %bb.0:
	s_endpgm
	.section	.rodata,"a",@progbits
	.p2align	6, 0x0
	.amdhsa_kernel _ZN7rocprim17ROCPRIM_400000_NS6detail17trampoline_kernelINS0_13select_configILj256ELj13ELNS0_17block_load_methodE3ELS4_3ELS4_3ELNS0_20block_scan_algorithmE0ELj4294967295EEENS1_25partition_config_selectorILNS1_17partition_subalgoE4EjNS0_10empty_typeEbEEZZNS1_14partition_implILS8_4ELb0ES6_15HIP_vector_typeIjLj2EENS0_17counting_iteratorIjlEEPS9_SG_NS0_5tupleIJPjSI_NS0_16reverse_iteratorISI_EEEEENSH_IJSG_SG_SG_EEES9_SI_JZNS1_25segmented_radix_sort_implINS0_14default_configELb1EPKsPsPKlPlN2at6native12_GLOBAL__N_18offset_tEEE10hipError_tPvRmT1_PNSt15iterator_traitsIS12_E10value_typeET2_T3_PNS13_IS18_E10value_typeET4_jRbjT5_S1E_jjP12ihipStream_tbEUljE_ZNSN_ISO_Lb1ESQ_SR_ST_SU_SY_EESZ_S10_S11_S12_S16_S17_S18_S1B_S1C_jS1D_jS1E_S1E_jjS1G_bEUljE0_EEESZ_S10_S11_S18_S1C_S1E_T6_T7_T9_mT8_S1G_bDpT10_ENKUlT_T0_E_clISt17integral_constantIbLb1EES1U_EEDaS1P_S1Q_EUlS1P_E_NS1_11comp_targetILNS1_3genE10ELNS1_11target_archE1200ELNS1_3gpuE4ELNS1_3repE0EEENS1_30default_config_static_selectorELNS0_4arch9wavefront6targetE0EEEvS12_
		.amdhsa_group_segment_fixed_size 0
		.amdhsa_private_segment_fixed_size 0
		.amdhsa_kernarg_size 184
		.amdhsa_user_sgpr_count 2
		.amdhsa_user_sgpr_dispatch_ptr 0
		.amdhsa_user_sgpr_queue_ptr 0
		.amdhsa_user_sgpr_kernarg_segment_ptr 1
		.amdhsa_user_sgpr_dispatch_id 0
		.amdhsa_user_sgpr_private_segment_size 0
		.amdhsa_wavefront_size32 1
		.amdhsa_uses_dynamic_stack 0
		.amdhsa_enable_private_segment 0
		.amdhsa_system_sgpr_workgroup_id_x 1
		.amdhsa_system_sgpr_workgroup_id_y 0
		.amdhsa_system_sgpr_workgroup_id_z 0
		.amdhsa_system_sgpr_workgroup_info 0
		.amdhsa_system_vgpr_workitem_id 0
		.amdhsa_next_free_vgpr 1
		.amdhsa_next_free_sgpr 1
		.amdhsa_reserve_vcc 0
		.amdhsa_float_round_mode_32 0
		.amdhsa_float_round_mode_16_64 0
		.amdhsa_float_denorm_mode_32 3
		.amdhsa_float_denorm_mode_16_64 3
		.amdhsa_fp16_overflow 0
		.amdhsa_workgroup_processor_mode 1
		.amdhsa_memory_ordered 1
		.amdhsa_forward_progress 1
		.amdhsa_inst_pref_size 1
		.amdhsa_round_robin_scheduling 0
		.amdhsa_exception_fp_ieee_invalid_op 0
		.amdhsa_exception_fp_denorm_src 0
		.amdhsa_exception_fp_ieee_div_zero 0
		.amdhsa_exception_fp_ieee_overflow 0
		.amdhsa_exception_fp_ieee_underflow 0
		.amdhsa_exception_fp_ieee_inexact 0
		.amdhsa_exception_int_div_zero 0
	.end_amdhsa_kernel
	.section	.text._ZN7rocprim17ROCPRIM_400000_NS6detail17trampoline_kernelINS0_13select_configILj256ELj13ELNS0_17block_load_methodE3ELS4_3ELS4_3ELNS0_20block_scan_algorithmE0ELj4294967295EEENS1_25partition_config_selectorILNS1_17partition_subalgoE4EjNS0_10empty_typeEbEEZZNS1_14partition_implILS8_4ELb0ES6_15HIP_vector_typeIjLj2EENS0_17counting_iteratorIjlEEPS9_SG_NS0_5tupleIJPjSI_NS0_16reverse_iteratorISI_EEEEENSH_IJSG_SG_SG_EEES9_SI_JZNS1_25segmented_radix_sort_implINS0_14default_configELb1EPKsPsPKlPlN2at6native12_GLOBAL__N_18offset_tEEE10hipError_tPvRmT1_PNSt15iterator_traitsIS12_E10value_typeET2_T3_PNS13_IS18_E10value_typeET4_jRbjT5_S1E_jjP12ihipStream_tbEUljE_ZNSN_ISO_Lb1ESQ_SR_ST_SU_SY_EESZ_S10_S11_S12_S16_S17_S18_S1B_S1C_jS1D_jS1E_S1E_jjS1G_bEUljE0_EEESZ_S10_S11_S18_S1C_S1E_T6_T7_T9_mT8_S1G_bDpT10_ENKUlT_T0_E_clISt17integral_constantIbLb1EES1U_EEDaS1P_S1Q_EUlS1P_E_NS1_11comp_targetILNS1_3genE10ELNS1_11target_archE1200ELNS1_3gpuE4ELNS1_3repE0EEENS1_30default_config_static_selectorELNS0_4arch9wavefront6targetE0EEEvS12_,"axG",@progbits,_ZN7rocprim17ROCPRIM_400000_NS6detail17trampoline_kernelINS0_13select_configILj256ELj13ELNS0_17block_load_methodE3ELS4_3ELS4_3ELNS0_20block_scan_algorithmE0ELj4294967295EEENS1_25partition_config_selectorILNS1_17partition_subalgoE4EjNS0_10empty_typeEbEEZZNS1_14partition_implILS8_4ELb0ES6_15HIP_vector_typeIjLj2EENS0_17counting_iteratorIjlEEPS9_SG_NS0_5tupleIJPjSI_NS0_16reverse_iteratorISI_EEEEENSH_IJSG_SG_SG_EEES9_SI_JZNS1_25segmented_radix_sort_implINS0_14default_configELb1EPKsPsPKlPlN2at6native12_GLOBAL__N_18offset_tEEE10hipError_tPvRmT1_PNSt15iterator_traitsIS12_E10value_typeET2_T3_PNS13_IS18_E10value_typeET4_jRbjT5_S1E_jjP12ihipStream_tbEUljE_ZNSN_ISO_Lb1ESQ_SR_ST_SU_SY_EESZ_S10_S11_S12_S16_S17_S18_S1B_S1C_jS1D_jS1E_S1E_jjS1G_bEUljE0_EEESZ_S10_S11_S18_S1C_S1E_T6_T7_T9_mT8_S1G_bDpT10_ENKUlT_T0_E_clISt17integral_constantIbLb1EES1U_EEDaS1P_S1Q_EUlS1P_E_NS1_11comp_targetILNS1_3genE10ELNS1_11target_archE1200ELNS1_3gpuE4ELNS1_3repE0EEENS1_30default_config_static_selectorELNS0_4arch9wavefront6targetE0EEEvS12_,comdat
.Lfunc_end860:
	.size	_ZN7rocprim17ROCPRIM_400000_NS6detail17trampoline_kernelINS0_13select_configILj256ELj13ELNS0_17block_load_methodE3ELS4_3ELS4_3ELNS0_20block_scan_algorithmE0ELj4294967295EEENS1_25partition_config_selectorILNS1_17partition_subalgoE4EjNS0_10empty_typeEbEEZZNS1_14partition_implILS8_4ELb0ES6_15HIP_vector_typeIjLj2EENS0_17counting_iteratorIjlEEPS9_SG_NS0_5tupleIJPjSI_NS0_16reverse_iteratorISI_EEEEENSH_IJSG_SG_SG_EEES9_SI_JZNS1_25segmented_radix_sort_implINS0_14default_configELb1EPKsPsPKlPlN2at6native12_GLOBAL__N_18offset_tEEE10hipError_tPvRmT1_PNSt15iterator_traitsIS12_E10value_typeET2_T3_PNS13_IS18_E10value_typeET4_jRbjT5_S1E_jjP12ihipStream_tbEUljE_ZNSN_ISO_Lb1ESQ_SR_ST_SU_SY_EESZ_S10_S11_S12_S16_S17_S18_S1B_S1C_jS1D_jS1E_S1E_jjS1G_bEUljE0_EEESZ_S10_S11_S18_S1C_S1E_T6_T7_T9_mT8_S1G_bDpT10_ENKUlT_T0_E_clISt17integral_constantIbLb1EES1U_EEDaS1P_S1Q_EUlS1P_E_NS1_11comp_targetILNS1_3genE10ELNS1_11target_archE1200ELNS1_3gpuE4ELNS1_3repE0EEENS1_30default_config_static_selectorELNS0_4arch9wavefront6targetE0EEEvS12_, .Lfunc_end860-_ZN7rocprim17ROCPRIM_400000_NS6detail17trampoline_kernelINS0_13select_configILj256ELj13ELNS0_17block_load_methodE3ELS4_3ELS4_3ELNS0_20block_scan_algorithmE0ELj4294967295EEENS1_25partition_config_selectorILNS1_17partition_subalgoE4EjNS0_10empty_typeEbEEZZNS1_14partition_implILS8_4ELb0ES6_15HIP_vector_typeIjLj2EENS0_17counting_iteratorIjlEEPS9_SG_NS0_5tupleIJPjSI_NS0_16reverse_iteratorISI_EEEEENSH_IJSG_SG_SG_EEES9_SI_JZNS1_25segmented_radix_sort_implINS0_14default_configELb1EPKsPsPKlPlN2at6native12_GLOBAL__N_18offset_tEEE10hipError_tPvRmT1_PNSt15iterator_traitsIS12_E10value_typeET2_T3_PNS13_IS18_E10value_typeET4_jRbjT5_S1E_jjP12ihipStream_tbEUljE_ZNSN_ISO_Lb1ESQ_SR_ST_SU_SY_EESZ_S10_S11_S12_S16_S17_S18_S1B_S1C_jS1D_jS1E_S1E_jjS1G_bEUljE0_EEESZ_S10_S11_S18_S1C_S1E_T6_T7_T9_mT8_S1G_bDpT10_ENKUlT_T0_E_clISt17integral_constantIbLb1EES1U_EEDaS1P_S1Q_EUlS1P_E_NS1_11comp_targetILNS1_3genE10ELNS1_11target_archE1200ELNS1_3gpuE4ELNS1_3repE0EEENS1_30default_config_static_selectorELNS0_4arch9wavefront6targetE0EEEvS12_
                                        ; -- End function
	.set _ZN7rocprim17ROCPRIM_400000_NS6detail17trampoline_kernelINS0_13select_configILj256ELj13ELNS0_17block_load_methodE3ELS4_3ELS4_3ELNS0_20block_scan_algorithmE0ELj4294967295EEENS1_25partition_config_selectorILNS1_17partition_subalgoE4EjNS0_10empty_typeEbEEZZNS1_14partition_implILS8_4ELb0ES6_15HIP_vector_typeIjLj2EENS0_17counting_iteratorIjlEEPS9_SG_NS0_5tupleIJPjSI_NS0_16reverse_iteratorISI_EEEEENSH_IJSG_SG_SG_EEES9_SI_JZNS1_25segmented_radix_sort_implINS0_14default_configELb1EPKsPsPKlPlN2at6native12_GLOBAL__N_18offset_tEEE10hipError_tPvRmT1_PNSt15iterator_traitsIS12_E10value_typeET2_T3_PNS13_IS18_E10value_typeET4_jRbjT5_S1E_jjP12ihipStream_tbEUljE_ZNSN_ISO_Lb1ESQ_SR_ST_SU_SY_EESZ_S10_S11_S12_S16_S17_S18_S1B_S1C_jS1D_jS1E_S1E_jjS1G_bEUljE0_EEESZ_S10_S11_S18_S1C_S1E_T6_T7_T9_mT8_S1G_bDpT10_ENKUlT_T0_E_clISt17integral_constantIbLb1EES1U_EEDaS1P_S1Q_EUlS1P_E_NS1_11comp_targetILNS1_3genE10ELNS1_11target_archE1200ELNS1_3gpuE4ELNS1_3repE0EEENS1_30default_config_static_selectorELNS0_4arch9wavefront6targetE0EEEvS12_.num_vgpr, 0
	.set _ZN7rocprim17ROCPRIM_400000_NS6detail17trampoline_kernelINS0_13select_configILj256ELj13ELNS0_17block_load_methodE3ELS4_3ELS4_3ELNS0_20block_scan_algorithmE0ELj4294967295EEENS1_25partition_config_selectorILNS1_17partition_subalgoE4EjNS0_10empty_typeEbEEZZNS1_14partition_implILS8_4ELb0ES6_15HIP_vector_typeIjLj2EENS0_17counting_iteratorIjlEEPS9_SG_NS0_5tupleIJPjSI_NS0_16reverse_iteratorISI_EEEEENSH_IJSG_SG_SG_EEES9_SI_JZNS1_25segmented_radix_sort_implINS0_14default_configELb1EPKsPsPKlPlN2at6native12_GLOBAL__N_18offset_tEEE10hipError_tPvRmT1_PNSt15iterator_traitsIS12_E10value_typeET2_T3_PNS13_IS18_E10value_typeET4_jRbjT5_S1E_jjP12ihipStream_tbEUljE_ZNSN_ISO_Lb1ESQ_SR_ST_SU_SY_EESZ_S10_S11_S12_S16_S17_S18_S1B_S1C_jS1D_jS1E_S1E_jjS1G_bEUljE0_EEESZ_S10_S11_S18_S1C_S1E_T6_T7_T9_mT8_S1G_bDpT10_ENKUlT_T0_E_clISt17integral_constantIbLb1EES1U_EEDaS1P_S1Q_EUlS1P_E_NS1_11comp_targetILNS1_3genE10ELNS1_11target_archE1200ELNS1_3gpuE4ELNS1_3repE0EEENS1_30default_config_static_selectorELNS0_4arch9wavefront6targetE0EEEvS12_.num_agpr, 0
	.set _ZN7rocprim17ROCPRIM_400000_NS6detail17trampoline_kernelINS0_13select_configILj256ELj13ELNS0_17block_load_methodE3ELS4_3ELS4_3ELNS0_20block_scan_algorithmE0ELj4294967295EEENS1_25partition_config_selectorILNS1_17partition_subalgoE4EjNS0_10empty_typeEbEEZZNS1_14partition_implILS8_4ELb0ES6_15HIP_vector_typeIjLj2EENS0_17counting_iteratorIjlEEPS9_SG_NS0_5tupleIJPjSI_NS0_16reverse_iteratorISI_EEEEENSH_IJSG_SG_SG_EEES9_SI_JZNS1_25segmented_radix_sort_implINS0_14default_configELb1EPKsPsPKlPlN2at6native12_GLOBAL__N_18offset_tEEE10hipError_tPvRmT1_PNSt15iterator_traitsIS12_E10value_typeET2_T3_PNS13_IS18_E10value_typeET4_jRbjT5_S1E_jjP12ihipStream_tbEUljE_ZNSN_ISO_Lb1ESQ_SR_ST_SU_SY_EESZ_S10_S11_S12_S16_S17_S18_S1B_S1C_jS1D_jS1E_S1E_jjS1G_bEUljE0_EEESZ_S10_S11_S18_S1C_S1E_T6_T7_T9_mT8_S1G_bDpT10_ENKUlT_T0_E_clISt17integral_constantIbLb1EES1U_EEDaS1P_S1Q_EUlS1P_E_NS1_11comp_targetILNS1_3genE10ELNS1_11target_archE1200ELNS1_3gpuE4ELNS1_3repE0EEENS1_30default_config_static_selectorELNS0_4arch9wavefront6targetE0EEEvS12_.numbered_sgpr, 0
	.set _ZN7rocprim17ROCPRIM_400000_NS6detail17trampoline_kernelINS0_13select_configILj256ELj13ELNS0_17block_load_methodE3ELS4_3ELS4_3ELNS0_20block_scan_algorithmE0ELj4294967295EEENS1_25partition_config_selectorILNS1_17partition_subalgoE4EjNS0_10empty_typeEbEEZZNS1_14partition_implILS8_4ELb0ES6_15HIP_vector_typeIjLj2EENS0_17counting_iteratorIjlEEPS9_SG_NS0_5tupleIJPjSI_NS0_16reverse_iteratorISI_EEEEENSH_IJSG_SG_SG_EEES9_SI_JZNS1_25segmented_radix_sort_implINS0_14default_configELb1EPKsPsPKlPlN2at6native12_GLOBAL__N_18offset_tEEE10hipError_tPvRmT1_PNSt15iterator_traitsIS12_E10value_typeET2_T3_PNS13_IS18_E10value_typeET4_jRbjT5_S1E_jjP12ihipStream_tbEUljE_ZNSN_ISO_Lb1ESQ_SR_ST_SU_SY_EESZ_S10_S11_S12_S16_S17_S18_S1B_S1C_jS1D_jS1E_S1E_jjS1G_bEUljE0_EEESZ_S10_S11_S18_S1C_S1E_T6_T7_T9_mT8_S1G_bDpT10_ENKUlT_T0_E_clISt17integral_constantIbLb1EES1U_EEDaS1P_S1Q_EUlS1P_E_NS1_11comp_targetILNS1_3genE10ELNS1_11target_archE1200ELNS1_3gpuE4ELNS1_3repE0EEENS1_30default_config_static_selectorELNS0_4arch9wavefront6targetE0EEEvS12_.num_named_barrier, 0
	.set _ZN7rocprim17ROCPRIM_400000_NS6detail17trampoline_kernelINS0_13select_configILj256ELj13ELNS0_17block_load_methodE3ELS4_3ELS4_3ELNS0_20block_scan_algorithmE0ELj4294967295EEENS1_25partition_config_selectorILNS1_17partition_subalgoE4EjNS0_10empty_typeEbEEZZNS1_14partition_implILS8_4ELb0ES6_15HIP_vector_typeIjLj2EENS0_17counting_iteratorIjlEEPS9_SG_NS0_5tupleIJPjSI_NS0_16reverse_iteratorISI_EEEEENSH_IJSG_SG_SG_EEES9_SI_JZNS1_25segmented_radix_sort_implINS0_14default_configELb1EPKsPsPKlPlN2at6native12_GLOBAL__N_18offset_tEEE10hipError_tPvRmT1_PNSt15iterator_traitsIS12_E10value_typeET2_T3_PNS13_IS18_E10value_typeET4_jRbjT5_S1E_jjP12ihipStream_tbEUljE_ZNSN_ISO_Lb1ESQ_SR_ST_SU_SY_EESZ_S10_S11_S12_S16_S17_S18_S1B_S1C_jS1D_jS1E_S1E_jjS1G_bEUljE0_EEESZ_S10_S11_S18_S1C_S1E_T6_T7_T9_mT8_S1G_bDpT10_ENKUlT_T0_E_clISt17integral_constantIbLb1EES1U_EEDaS1P_S1Q_EUlS1P_E_NS1_11comp_targetILNS1_3genE10ELNS1_11target_archE1200ELNS1_3gpuE4ELNS1_3repE0EEENS1_30default_config_static_selectorELNS0_4arch9wavefront6targetE0EEEvS12_.private_seg_size, 0
	.set _ZN7rocprim17ROCPRIM_400000_NS6detail17trampoline_kernelINS0_13select_configILj256ELj13ELNS0_17block_load_methodE3ELS4_3ELS4_3ELNS0_20block_scan_algorithmE0ELj4294967295EEENS1_25partition_config_selectorILNS1_17partition_subalgoE4EjNS0_10empty_typeEbEEZZNS1_14partition_implILS8_4ELb0ES6_15HIP_vector_typeIjLj2EENS0_17counting_iteratorIjlEEPS9_SG_NS0_5tupleIJPjSI_NS0_16reverse_iteratorISI_EEEEENSH_IJSG_SG_SG_EEES9_SI_JZNS1_25segmented_radix_sort_implINS0_14default_configELb1EPKsPsPKlPlN2at6native12_GLOBAL__N_18offset_tEEE10hipError_tPvRmT1_PNSt15iterator_traitsIS12_E10value_typeET2_T3_PNS13_IS18_E10value_typeET4_jRbjT5_S1E_jjP12ihipStream_tbEUljE_ZNSN_ISO_Lb1ESQ_SR_ST_SU_SY_EESZ_S10_S11_S12_S16_S17_S18_S1B_S1C_jS1D_jS1E_S1E_jjS1G_bEUljE0_EEESZ_S10_S11_S18_S1C_S1E_T6_T7_T9_mT8_S1G_bDpT10_ENKUlT_T0_E_clISt17integral_constantIbLb1EES1U_EEDaS1P_S1Q_EUlS1P_E_NS1_11comp_targetILNS1_3genE10ELNS1_11target_archE1200ELNS1_3gpuE4ELNS1_3repE0EEENS1_30default_config_static_selectorELNS0_4arch9wavefront6targetE0EEEvS12_.uses_vcc, 0
	.set _ZN7rocprim17ROCPRIM_400000_NS6detail17trampoline_kernelINS0_13select_configILj256ELj13ELNS0_17block_load_methodE3ELS4_3ELS4_3ELNS0_20block_scan_algorithmE0ELj4294967295EEENS1_25partition_config_selectorILNS1_17partition_subalgoE4EjNS0_10empty_typeEbEEZZNS1_14partition_implILS8_4ELb0ES6_15HIP_vector_typeIjLj2EENS0_17counting_iteratorIjlEEPS9_SG_NS0_5tupleIJPjSI_NS0_16reverse_iteratorISI_EEEEENSH_IJSG_SG_SG_EEES9_SI_JZNS1_25segmented_radix_sort_implINS0_14default_configELb1EPKsPsPKlPlN2at6native12_GLOBAL__N_18offset_tEEE10hipError_tPvRmT1_PNSt15iterator_traitsIS12_E10value_typeET2_T3_PNS13_IS18_E10value_typeET4_jRbjT5_S1E_jjP12ihipStream_tbEUljE_ZNSN_ISO_Lb1ESQ_SR_ST_SU_SY_EESZ_S10_S11_S12_S16_S17_S18_S1B_S1C_jS1D_jS1E_S1E_jjS1G_bEUljE0_EEESZ_S10_S11_S18_S1C_S1E_T6_T7_T9_mT8_S1G_bDpT10_ENKUlT_T0_E_clISt17integral_constantIbLb1EES1U_EEDaS1P_S1Q_EUlS1P_E_NS1_11comp_targetILNS1_3genE10ELNS1_11target_archE1200ELNS1_3gpuE4ELNS1_3repE0EEENS1_30default_config_static_selectorELNS0_4arch9wavefront6targetE0EEEvS12_.uses_flat_scratch, 0
	.set _ZN7rocprim17ROCPRIM_400000_NS6detail17trampoline_kernelINS0_13select_configILj256ELj13ELNS0_17block_load_methodE3ELS4_3ELS4_3ELNS0_20block_scan_algorithmE0ELj4294967295EEENS1_25partition_config_selectorILNS1_17partition_subalgoE4EjNS0_10empty_typeEbEEZZNS1_14partition_implILS8_4ELb0ES6_15HIP_vector_typeIjLj2EENS0_17counting_iteratorIjlEEPS9_SG_NS0_5tupleIJPjSI_NS0_16reverse_iteratorISI_EEEEENSH_IJSG_SG_SG_EEES9_SI_JZNS1_25segmented_radix_sort_implINS0_14default_configELb1EPKsPsPKlPlN2at6native12_GLOBAL__N_18offset_tEEE10hipError_tPvRmT1_PNSt15iterator_traitsIS12_E10value_typeET2_T3_PNS13_IS18_E10value_typeET4_jRbjT5_S1E_jjP12ihipStream_tbEUljE_ZNSN_ISO_Lb1ESQ_SR_ST_SU_SY_EESZ_S10_S11_S12_S16_S17_S18_S1B_S1C_jS1D_jS1E_S1E_jjS1G_bEUljE0_EEESZ_S10_S11_S18_S1C_S1E_T6_T7_T9_mT8_S1G_bDpT10_ENKUlT_T0_E_clISt17integral_constantIbLb1EES1U_EEDaS1P_S1Q_EUlS1P_E_NS1_11comp_targetILNS1_3genE10ELNS1_11target_archE1200ELNS1_3gpuE4ELNS1_3repE0EEENS1_30default_config_static_selectorELNS0_4arch9wavefront6targetE0EEEvS12_.has_dyn_sized_stack, 0
	.set _ZN7rocprim17ROCPRIM_400000_NS6detail17trampoline_kernelINS0_13select_configILj256ELj13ELNS0_17block_load_methodE3ELS4_3ELS4_3ELNS0_20block_scan_algorithmE0ELj4294967295EEENS1_25partition_config_selectorILNS1_17partition_subalgoE4EjNS0_10empty_typeEbEEZZNS1_14partition_implILS8_4ELb0ES6_15HIP_vector_typeIjLj2EENS0_17counting_iteratorIjlEEPS9_SG_NS0_5tupleIJPjSI_NS0_16reverse_iteratorISI_EEEEENSH_IJSG_SG_SG_EEES9_SI_JZNS1_25segmented_radix_sort_implINS0_14default_configELb1EPKsPsPKlPlN2at6native12_GLOBAL__N_18offset_tEEE10hipError_tPvRmT1_PNSt15iterator_traitsIS12_E10value_typeET2_T3_PNS13_IS18_E10value_typeET4_jRbjT5_S1E_jjP12ihipStream_tbEUljE_ZNSN_ISO_Lb1ESQ_SR_ST_SU_SY_EESZ_S10_S11_S12_S16_S17_S18_S1B_S1C_jS1D_jS1E_S1E_jjS1G_bEUljE0_EEESZ_S10_S11_S18_S1C_S1E_T6_T7_T9_mT8_S1G_bDpT10_ENKUlT_T0_E_clISt17integral_constantIbLb1EES1U_EEDaS1P_S1Q_EUlS1P_E_NS1_11comp_targetILNS1_3genE10ELNS1_11target_archE1200ELNS1_3gpuE4ELNS1_3repE0EEENS1_30default_config_static_selectorELNS0_4arch9wavefront6targetE0EEEvS12_.has_recursion, 0
	.set _ZN7rocprim17ROCPRIM_400000_NS6detail17trampoline_kernelINS0_13select_configILj256ELj13ELNS0_17block_load_methodE3ELS4_3ELS4_3ELNS0_20block_scan_algorithmE0ELj4294967295EEENS1_25partition_config_selectorILNS1_17partition_subalgoE4EjNS0_10empty_typeEbEEZZNS1_14partition_implILS8_4ELb0ES6_15HIP_vector_typeIjLj2EENS0_17counting_iteratorIjlEEPS9_SG_NS0_5tupleIJPjSI_NS0_16reverse_iteratorISI_EEEEENSH_IJSG_SG_SG_EEES9_SI_JZNS1_25segmented_radix_sort_implINS0_14default_configELb1EPKsPsPKlPlN2at6native12_GLOBAL__N_18offset_tEEE10hipError_tPvRmT1_PNSt15iterator_traitsIS12_E10value_typeET2_T3_PNS13_IS18_E10value_typeET4_jRbjT5_S1E_jjP12ihipStream_tbEUljE_ZNSN_ISO_Lb1ESQ_SR_ST_SU_SY_EESZ_S10_S11_S12_S16_S17_S18_S1B_S1C_jS1D_jS1E_S1E_jjS1G_bEUljE0_EEESZ_S10_S11_S18_S1C_S1E_T6_T7_T9_mT8_S1G_bDpT10_ENKUlT_T0_E_clISt17integral_constantIbLb1EES1U_EEDaS1P_S1Q_EUlS1P_E_NS1_11comp_targetILNS1_3genE10ELNS1_11target_archE1200ELNS1_3gpuE4ELNS1_3repE0EEENS1_30default_config_static_selectorELNS0_4arch9wavefront6targetE0EEEvS12_.has_indirect_call, 0
	.section	.AMDGPU.csdata,"",@progbits
; Kernel info:
; codeLenInByte = 4
; TotalNumSgprs: 0
; NumVgprs: 0
; ScratchSize: 0
; MemoryBound: 0
; FloatMode: 240
; IeeeMode: 1
; LDSByteSize: 0 bytes/workgroup (compile time only)
; SGPRBlocks: 0
; VGPRBlocks: 0
; NumSGPRsForWavesPerEU: 1
; NumVGPRsForWavesPerEU: 1
; Occupancy: 16
; WaveLimiterHint : 0
; COMPUTE_PGM_RSRC2:SCRATCH_EN: 0
; COMPUTE_PGM_RSRC2:USER_SGPR: 2
; COMPUTE_PGM_RSRC2:TRAP_HANDLER: 0
; COMPUTE_PGM_RSRC2:TGID_X_EN: 1
; COMPUTE_PGM_RSRC2:TGID_Y_EN: 0
; COMPUTE_PGM_RSRC2:TGID_Z_EN: 0
; COMPUTE_PGM_RSRC2:TIDIG_COMP_CNT: 0
	.section	.text._ZN7rocprim17ROCPRIM_400000_NS6detail17trampoline_kernelINS0_13select_configILj256ELj13ELNS0_17block_load_methodE3ELS4_3ELS4_3ELNS0_20block_scan_algorithmE0ELj4294967295EEENS1_25partition_config_selectorILNS1_17partition_subalgoE4EjNS0_10empty_typeEbEEZZNS1_14partition_implILS8_4ELb0ES6_15HIP_vector_typeIjLj2EENS0_17counting_iteratorIjlEEPS9_SG_NS0_5tupleIJPjSI_NS0_16reverse_iteratorISI_EEEEENSH_IJSG_SG_SG_EEES9_SI_JZNS1_25segmented_radix_sort_implINS0_14default_configELb1EPKsPsPKlPlN2at6native12_GLOBAL__N_18offset_tEEE10hipError_tPvRmT1_PNSt15iterator_traitsIS12_E10value_typeET2_T3_PNS13_IS18_E10value_typeET4_jRbjT5_S1E_jjP12ihipStream_tbEUljE_ZNSN_ISO_Lb1ESQ_SR_ST_SU_SY_EESZ_S10_S11_S12_S16_S17_S18_S1B_S1C_jS1D_jS1E_S1E_jjS1G_bEUljE0_EEESZ_S10_S11_S18_S1C_S1E_T6_T7_T9_mT8_S1G_bDpT10_ENKUlT_T0_E_clISt17integral_constantIbLb1EES1U_EEDaS1P_S1Q_EUlS1P_E_NS1_11comp_targetILNS1_3genE9ELNS1_11target_archE1100ELNS1_3gpuE3ELNS1_3repE0EEENS1_30default_config_static_selectorELNS0_4arch9wavefront6targetE0EEEvS12_,"axG",@progbits,_ZN7rocprim17ROCPRIM_400000_NS6detail17trampoline_kernelINS0_13select_configILj256ELj13ELNS0_17block_load_methodE3ELS4_3ELS4_3ELNS0_20block_scan_algorithmE0ELj4294967295EEENS1_25partition_config_selectorILNS1_17partition_subalgoE4EjNS0_10empty_typeEbEEZZNS1_14partition_implILS8_4ELb0ES6_15HIP_vector_typeIjLj2EENS0_17counting_iteratorIjlEEPS9_SG_NS0_5tupleIJPjSI_NS0_16reverse_iteratorISI_EEEEENSH_IJSG_SG_SG_EEES9_SI_JZNS1_25segmented_radix_sort_implINS0_14default_configELb1EPKsPsPKlPlN2at6native12_GLOBAL__N_18offset_tEEE10hipError_tPvRmT1_PNSt15iterator_traitsIS12_E10value_typeET2_T3_PNS13_IS18_E10value_typeET4_jRbjT5_S1E_jjP12ihipStream_tbEUljE_ZNSN_ISO_Lb1ESQ_SR_ST_SU_SY_EESZ_S10_S11_S12_S16_S17_S18_S1B_S1C_jS1D_jS1E_S1E_jjS1G_bEUljE0_EEESZ_S10_S11_S18_S1C_S1E_T6_T7_T9_mT8_S1G_bDpT10_ENKUlT_T0_E_clISt17integral_constantIbLb1EES1U_EEDaS1P_S1Q_EUlS1P_E_NS1_11comp_targetILNS1_3genE9ELNS1_11target_archE1100ELNS1_3gpuE3ELNS1_3repE0EEENS1_30default_config_static_selectorELNS0_4arch9wavefront6targetE0EEEvS12_,comdat
	.globl	_ZN7rocprim17ROCPRIM_400000_NS6detail17trampoline_kernelINS0_13select_configILj256ELj13ELNS0_17block_load_methodE3ELS4_3ELS4_3ELNS0_20block_scan_algorithmE0ELj4294967295EEENS1_25partition_config_selectorILNS1_17partition_subalgoE4EjNS0_10empty_typeEbEEZZNS1_14partition_implILS8_4ELb0ES6_15HIP_vector_typeIjLj2EENS0_17counting_iteratorIjlEEPS9_SG_NS0_5tupleIJPjSI_NS0_16reverse_iteratorISI_EEEEENSH_IJSG_SG_SG_EEES9_SI_JZNS1_25segmented_radix_sort_implINS0_14default_configELb1EPKsPsPKlPlN2at6native12_GLOBAL__N_18offset_tEEE10hipError_tPvRmT1_PNSt15iterator_traitsIS12_E10value_typeET2_T3_PNS13_IS18_E10value_typeET4_jRbjT5_S1E_jjP12ihipStream_tbEUljE_ZNSN_ISO_Lb1ESQ_SR_ST_SU_SY_EESZ_S10_S11_S12_S16_S17_S18_S1B_S1C_jS1D_jS1E_S1E_jjS1G_bEUljE0_EEESZ_S10_S11_S18_S1C_S1E_T6_T7_T9_mT8_S1G_bDpT10_ENKUlT_T0_E_clISt17integral_constantIbLb1EES1U_EEDaS1P_S1Q_EUlS1P_E_NS1_11comp_targetILNS1_3genE9ELNS1_11target_archE1100ELNS1_3gpuE3ELNS1_3repE0EEENS1_30default_config_static_selectorELNS0_4arch9wavefront6targetE0EEEvS12_ ; -- Begin function _ZN7rocprim17ROCPRIM_400000_NS6detail17trampoline_kernelINS0_13select_configILj256ELj13ELNS0_17block_load_methodE3ELS4_3ELS4_3ELNS0_20block_scan_algorithmE0ELj4294967295EEENS1_25partition_config_selectorILNS1_17partition_subalgoE4EjNS0_10empty_typeEbEEZZNS1_14partition_implILS8_4ELb0ES6_15HIP_vector_typeIjLj2EENS0_17counting_iteratorIjlEEPS9_SG_NS0_5tupleIJPjSI_NS0_16reverse_iteratorISI_EEEEENSH_IJSG_SG_SG_EEES9_SI_JZNS1_25segmented_radix_sort_implINS0_14default_configELb1EPKsPsPKlPlN2at6native12_GLOBAL__N_18offset_tEEE10hipError_tPvRmT1_PNSt15iterator_traitsIS12_E10value_typeET2_T3_PNS13_IS18_E10value_typeET4_jRbjT5_S1E_jjP12ihipStream_tbEUljE_ZNSN_ISO_Lb1ESQ_SR_ST_SU_SY_EESZ_S10_S11_S12_S16_S17_S18_S1B_S1C_jS1D_jS1E_S1E_jjS1G_bEUljE0_EEESZ_S10_S11_S18_S1C_S1E_T6_T7_T9_mT8_S1G_bDpT10_ENKUlT_T0_E_clISt17integral_constantIbLb1EES1U_EEDaS1P_S1Q_EUlS1P_E_NS1_11comp_targetILNS1_3genE9ELNS1_11target_archE1100ELNS1_3gpuE3ELNS1_3repE0EEENS1_30default_config_static_selectorELNS0_4arch9wavefront6targetE0EEEvS12_
	.p2align	8
	.type	_ZN7rocprim17ROCPRIM_400000_NS6detail17trampoline_kernelINS0_13select_configILj256ELj13ELNS0_17block_load_methodE3ELS4_3ELS4_3ELNS0_20block_scan_algorithmE0ELj4294967295EEENS1_25partition_config_selectorILNS1_17partition_subalgoE4EjNS0_10empty_typeEbEEZZNS1_14partition_implILS8_4ELb0ES6_15HIP_vector_typeIjLj2EENS0_17counting_iteratorIjlEEPS9_SG_NS0_5tupleIJPjSI_NS0_16reverse_iteratorISI_EEEEENSH_IJSG_SG_SG_EEES9_SI_JZNS1_25segmented_radix_sort_implINS0_14default_configELb1EPKsPsPKlPlN2at6native12_GLOBAL__N_18offset_tEEE10hipError_tPvRmT1_PNSt15iterator_traitsIS12_E10value_typeET2_T3_PNS13_IS18_E10value_typeET4_jRbjT5_S1E_jjP12ihipStream_tbEUljE_ZNSN_ISO_Lb1ESQ_SR_ST_SU_SY_EESZ_S10_S11_S12_S16_S17_S18_S1B_S1C_jS1D_jS1E_S1E_jjS1G_bEUljE0_EEESZ_S10_S11_S18_S1C_S1E_T6_T7_T9_mT8_S1G_bDpT10_ENKUlT_T0_E_clISt17integral_constantIbLb1EES1U_EEDaS1P_S1Q_EUlS1P_E_NS1_11comp_targetILNS1_3genE9ELNS1_11target_archE1100ELNS1_3gpuE3ELNS1_3repE0EEENS1_30default_config_static_selectorELNS0_4arch9wavefront6targetE0EEEvS12_,@function
_ZN7rocprim17ROCPRIM_400000_NS6detail17trampoline_kernelINS0_13select_configILj256ELj13ELNS0_17block_load_methodE3ELS4_3ELS4_3ELNS0_20block_scan_algorithmE0ELj4294967295EEENS1_25partition_config_selectorILNS1_17partition_subalgoE4EjNS0_10empty_typeEbEEZZNS1_14partition_implILS8_4ELb0ES6_15HIP_vector_typeIjLj2EENS0_17counting_iteratorIjlEEPS9_SG_NS0_5tupleIJPjSI_NS0_16reverse_iteratorISI_EEEEENSH_IJSG_SG_SG_EEES9_SI_JZNS1_25segmented_radix_sort_implINS0_14default_configELb1EPKsPsPKlPlN2at6native12_GLOBAL__N_18offset_tEEE10hipError_tPvRmT1_PNSt15iterator_traitsIS12_E10value_typeET2_T3_PNS13_IS18_E10value_typeET4_jRbjT5_S1E_jjP12ihipStream_tbEUljE_ZNSN_ISO_Lb1ESQ_SR_ST_SU_SY_EESZ_S10_S11_S12_S16_S17_S18_S1B_S1C_jS1D_jS1E_S1E_jjS1G_bEUljE0_EEESZ_S10_S11_S18_S1C_S1E_T6_T7_T9_mT8_S1G_bDpT10_ENKUlT_T0_E_clISt17integral_constantIbLb1EES1U_EEDaS1P_S1Q_EUlS1P_E_NS1_11comp_targetILNS1_3genE9ELNS1_11target_archE1100ELNS1_3gpuE3ELNS1_3repE0EEENS1_30default_config_static_selectorELNS0_4arch9wavefront6targetE0EEEvS12_: ; @_ZN7rocprim17ROCPRIM_400000_NS6detail17trampoline_kernelINS0_13select_configILj256ELj13ELNS0_17block_load_methodE3ELS4_3ELS4_3ELNS0_20block_scan_algorithmE0ELj4294967295EEENS1_25partition_config_selectorILNS1_17partition_subalgoE4EjNS0_10empty_typeEbEEZZNS1_14partition_implILS8_4ELb0ES6_15HIP_vector_typeIjLj2EENS0_17counting_iteratorIjlEEPS9_SG_NS0_5tupleIJPjSI_NS0_16reverse_iteratorISI_EEEEENSH_IJSG_SG_SG_EEES9_SI_JZNS1_25segmented_radix_sort_implINS0_14default_configELb1EPKsPsPKlPlN2at6native12_GLOBAL__N_18offset_tEEE10hipError_tPvRmT1_PNSt15iterator_traitsIS12_E10value_typeET2_T3_PNS13_IS18_E10value_typeET4_jRbjT5_S1E_jjP12ihipStream_tbEUljE_ZNSN_ISO_Lb1ESQ_SR_ST_SU_SY_EESZ_S10_S11_S12_S16_S17_S18_S1B_S1C_jS1D_jS1E_S1E_jjS1G_bEUljE0_EEESZ_S10_S11_S18_S1C_S1E_T6_T7_T9_mT8_S1G_bDpT10_ENKUlT_T0_E_clISt17integral_constantIbLb1EES1U_EEDaS1P_S1Q_EUlS1P_E_NS1_11comp_targetILNS1_3genE9ELNS1_11target_archE1100ELNS1_3gpuE3ELNS1_3repE0EEENS1_30default_config_static_selectorELNS0_4arch9wavefront6targetE0EEEvS12_
; %bb.0:
	.section	.rodata,"a",@progbits
	.p2align	6, 0x0
	.amdhsa_kernel _ZN7rocprim17ROCPRIM_400000_NS6detail17trampoline_kernelINS0_13select_configILj256ELj13ELNS0_17block_load_methodE3ELS4_3ELS4_3ELNS0_20block_scan_algorithmE0ELj4294967295EEENS1_25partition_config_selectorILNS1_17partition_subalgoE4EjNS0_10empty_typeEbEEZZNS1_14partition_implILS8_4ELb0ES6_15HIP_vector_typeIjLj2EENS0_17counting_iteratorIjlEEPS9_SG_NS0_5tupleIJPjSI_NS0_16reverse_iteratorISI_EEEEENSH_IJSG_SG_SG_EEES9_SI_JZNS1_25segmented_radix_sort_implINS0_14default_configELb1EPKsPsPKlPlN2at6native12_GLOBAL__N_18offset_tEEE10hipError_tPvRmT1_PNSt15iterator_traitsIS12_E10value_typeET2_T3_PNS13_IS18_E10value_typeET4_jRbjT5_S1E_jjP12ihipStream_tbEUljE_ZNSN_ISO_Lb1ESQ_SR_ST_SU_SY_EESZ_S10_S11_S12_S16_S17_S18_S1B_S1C_jS1D_jS1E_S1E_jjS1G_bEUljE0_EEESZ_S10_S11_S18_S1C_S1E_T6_T7_T9_mT8_S1G_bDpT10_ENKUlT_T0_E_clISt17integral_constantIbLb1EES1U_EEDaS1P_S1Q_EUlS1P_E_NS1_11comp_targetILNS1_3genE9ELNS1_11target_archE1100ELNS1_3gpuE3ELNS1_3repE0EEENS1_30default_config_static_selectorELNS0_4arch9wavefront6targetE0EEEvS12_
		.amdhsa_group_segment_fixed_size 0
		.amdhsa_private_segment_fixed_size 0
		.amdhsa_kernarg_size 184
		.amdhsa_user_sgpr_count 2
		.amdhsa_user_sgpr_dispatch_ptr 0
		.amdhsa_user_sgpr_queue_ptr 0
		.amdhsa_user_sgpr_kernarg_segment_ptr 1
		.amdhsa_user_sgpr_dispatch_id 0
		.amdhsa_user_sgpr_private_segment_size 0
		.amdhsa_wavefront_size32 1
		.amdhsa_uses_dynamic_stack 0
		.amdhsa_enable_private_segment 0
		.amdhsa_system_sgpr_workgroup_id_x 1
		.amdhsa_system_sgpr_workgroup_id_y 0
		.amdhsa_system_sgpr_workgroup_id_z 0
		.amdhsa_system_sgpr_workgroup_info 0
		.amdhsa_system_vgpr_workitem_id 0
		.amdhsa_next_free_vgpr 1
		.amdhsa_next_free_sgpr 1
		.amdhsa_reserve_vcc 0
		.amdhsa_float_round_mode_32 0
		.amdhsa_float_round_mode_16_64 0
		.amdhsa_float_denorm_mode_32 3
		.amdhsa_float_denorm_mode_16_64 3
		.amdhsa_fp16_overflow 0
		.amdhsa_workgroup_processor_mode 1
		.amdhsa_memory_ordered 1
		.amdhsa_forward_progress 1
		.amdhsa_inst_pref_size 0
		.amdhsa_round_robin_scheduling 0
		.amdhsa_exception_fp_ieee_invalid_op 0
		.amdhsa_exception_fp_denorm_src 0
		.amdhsa_exception_fp_ieee_div_zero 0
		.amdhsa_exception_fp_ieee_overflow 0
		.amdhsa_exception_fp_ieee_underflow 0
		.amdhsa_exception_fp_ieee_inexact 0
		.amdhsa_exception_int_div_zero 0
	.end_amdhsa_kernel
	.section	.text._ZN7rocprim17ROCPRIM_400000_NS6detail17trampoline_kernelINS0_13select_configILj256ELj13ELNS0_17block_load_methodE3ELS4_3ELS4_3ELNS0_20block_scan_algorithmE0ELj4294967295EEENS1_25partition_config_selectorILNS1_17partition_subalgoE4EjNS0_10empty_typeEbEEZZNS1_14partition_implILS8_4ELb0ES6_15HIP_vector_typeIjLj2EENS0_17counting_iteratorIjlEEPS9_SG_NS0_5tupleIJPjSI_NS0_16reverse_iteratorISI_EEEEENSH_IJSG_SG_SG_EEES9_SI_JZNS1_25segmented_radix_sort_implINS0_14default_configELb1EPKsPsPKlPlN2at6native12_GLOBAL__N_18offset_tEEE10hipError_tPvRmT1_PNSt15iterator_traitsIS12_E10value_typeET2_T3_PNS13_IS18_E10value_typeET4_jRbjT5_S1E_jjP12ihipStream_tbEUljE_ZNSN_ISO_Lb1ESQ_SR_ST_SU_SY_EESZ_S10_S11_S12_S16_S17_S18_S1B_S1C_jS1D_jS1E_S1E_jjS1G_bEUljE0_EEESZ_S10_S11_S18_S1C_S1E_T6_T7_T9_mT8_S1G_bDpT10_ENKUlT_T0_E_clISt17integral_constantIbLb1EES1U_EEDaS1P_S1Q_EUlS1P_E_NS1_11comp_targetILNS1_3genE9ELNS1_11target_archE1100ELNS1_3gpuE3ELNS1_3repE0EEENS1_30default_config_static_selectorELNS0_4arch9wavefront6targetE0EEEvS12_,"axG",@progbits,_ZN7rocprim17ROCPRIM_400000_NS6detail17trampoline_kernelINS0_13select_configILj256ELj13ELNS0_17block_load_methodE3ELS4_3ELS4_3ELNS0_20block_scan_algorithmE0ELj4294967295EEENS1_25partition_config_selectorILNS1_17partition_subalgoE4EjNS0_10empty_typeEbEEZZNS1_14partition_implILS8_4ELb0ES6_15HIP_vector_typeIjLj2EENS0_17counting_iteratorIjlEEPS9_SG_NS0_5tupleIJPjSI_NS0_16reverse_iteratorISI_EEEEENSH_IJSG_SG_SG_EEES9_SI_JZNS1_25segmented_radix_sort_implINS0_14default_configELb1EPKsPsPKlPlN2at6native12_GLOBAL__N_18offset_tEEE10hipError_tPvRmT1_PNSt15iterator_traitsIS12_E10value_typeET2_T3_PNS13_IS18_E10value_typeET4_jRbjT5_S1E_jjP12ihipStream_tbEUljE_ZNSN_ISO_Lb1ESQ_SR_ST_SU_SY_EESZ_S10_S11_S12_S16_S17_S18_S1B_S1C_jS1D_jS1E_S1E_jjS1G_bEUljE0_EEESZ_S10_S11_S18_S1C_S1E_T6_T7_T9_mT8_S1G_bDpT10_ENKUlT_T0_E_clISt17integral_constantIbLb1EES1U_EEDaS1P_S1Q_EUlS1P_E_NS1_11comp_targetILNS1_3genE9ELNS1_11target_archE1100ELNS1_3gpuE3ELNS1_3repE0EEENS1_30default_config_static_selectorELNS0_4arch9wavefront6targetE0EEEvS12_,comdat
.Lfunc_end861:
	.size	_ZN7rocprim17ROCPRIM_400000_NS6detail17trampoline_kernelINS0_13select_configILj256ELj13ELNS0_17block_load_methodE3ELS4_3ELS4_3ELNS0_20block_scan_algorithmE0ELj4294967295EEENS1_25partition_config_selectorILNS1_17partition_subalgoE4EjNS0_10empty_typeEbEEZZNS1_14partition_implILS8_4ELb0ES6_15HIP_vector_typeIjLj2EENS0_17counting_iteratorIjlEEPS9_SG_NS0_5tupleIJPjSI_NS0_16reverse_iteratorISI_EEEEENSH_IJSG_SG_SG_EEES9_SI_JZNS1_25segmented_radix_sort_implINS0_14default_configELb1EPKsPsPKlPlN2at6native12_GLOBAL__N_18offset_tEEE10hipError_tPvRmT1_PNSt15iterator_traitsIS12_E10value_typeET2_T3_PNS13_IS18_E10value_typeET4_jRbjT5_S1E_jjP12ihipStream_tbEUljE_ZNSN_ISO_Lb1ESQ_SR_ST_SU_SY_EESZ_S10_S11_S12_S16_S17_S18_S1B_S1C_jS1D_jS1E_S1E_jjS1G_bEUljE0_EEESZ_S10_S11_S18_S1C_S1E_T6_T7_T9_mT8_S1G_bDpT10_ENKUlT_T0_E_clISt17integral_constantIbLb1EES1U_EEDaS1P_S1Q_EUlS1P_E_NS1_11comp_targetILNS1_3genE9ELNS1_11target_archE1100ELNS1_3gpuE3ELNS1_3repE0EEENS1_30default_config_static_selectorELNS0_4arch9wavefront6targetE0EEEvS12_, .Lfunc_end861-_ZN7rocprim17ROCPRIM_400000_NS6detail17trampoline_kernelINS0_13select_configILj256ELj13ELNS0_17block_load_methodE3ELS4_3ELS4_3ELNS0_20block_scan_algorithmE0ELj4294967295EEENS1_25partition_config_selectorILNS1_17partition_subalgoE4EjNS0_10empty_typeEbEEZZNS1_14partition_implILS8_4ELb0ES6_15HIP_vector_typeIjLj2EENS0_17counting_iteratorIjlEEPS9_SG_NS0_5tupleIJPjSI_NS0_16reverse_iteratorISI_EEEEENSH_IJSG_SG_SG_EEES9_SI_JZNS1_25segmented_radix_sort_implINS0_14default_configELb1EPKsPsPKlPlN2at6native12_GLOBAL__N_18offset_tEEE10hipError_tPvRmT1_PNSt15iterator_traitsIS12_E10value_typeET2_T3_PNS13_IS18_E10value_typeET4_jRbjT5_S1E_jjP12ihipStream_tbEUljE_ZNSN_ISO_Lb1ESQ_SR_ST_SU_SY_EESZ_S10_S11_S12_S16_S17_S18_S1B_S1C_jS1D_jS1E_S1E_jjS1G_bEUljE0_EEESZ_S10_S11_S18_S1C_S1E_T6_T7_T9_mT8_S1G_bDpT10_ENKUlT_T0_E_clISt17integral_constantIbLb1EES1U_EEDaS1P_S1Q_EUlS1P_E_NS1_11comp_targetILNS1_3genE9ELNS1_11target_archE1100ELNS1_3gpuE3ELNS1_3repE0EEENS1_30default_config_static_selectorELNS0_4arch9wavefront6targetE0EEEvS12_
                                        ; -- End function
	.set _ZN7rocprim17ROCPRIM_400000_NS6detail17trampoline_kernelINS0_13select_configILj256ELj13ELNS0_17block_load_methodE3ELS4_3ELS4_3ELNS0_20block_scan_algorithmE0ELj4294967295EEENS1_25partition_config_selectorILNS1_17partition_subalgoE4EjNS0_10empty_typeEbEEZZNS1_14partition_implILS8_4ELb0ES6_15HIP_vector_typeIjLj2EENS0_17counting_iteratorIjlEEPS9_SG_NS0_5tupleIJPjSI_NS0_16reverse_iteratorISI_EEEEENSH_IJSG_SG_SG_EEES9_SI_JZNS1_25segmented_radix_sort_implINS0_14default_configELb1EPKsPsPKlPlN2at6native12_GLOBAL__N_18offset_tEEE10hipError_tPvRmT1_PNSt15iterator_traitsIS12_E10value_typeET2_T3_PNS13_IS18_E10value_typeET4_jRbjT5_S1E_jjP12ihipStream_tbEUljE_ZNSN_ISO_Lb1ESQ_SR_ST_SU_SY_EESZ_S10_S11_S12_S16_S17_S18_S1B_S1C_jS1D_jS1E_S1E_jjS1G_bEUljE0_EEESZ_S10_S11_S18_S1C_S1E_T6_T7_T9_mT8_S1G_bDpT10_ENKUlT_T0_E_clISt17integral_constantIbLb1EES1U_EEDaS1P_S1Q_EUlS1P_E_NS1_11comp_targetILNS1_3genE9ELNS1_11target_archE1100ELNS1_3gpuE3ELNS1_3repE0EEENS1_30default_config_static_selectorELNS0_4arch9wavefront6targetE0EEEvS12_.num_vgpr, 0
	.set _ZN7rocprim17ROCPRIM_400000_NS6detail17trampoline_kernelINS0_13select_configILj256ELj13ELNS0_17block_load_methodE3ELS4_3ELS4_3ELNS0_20block_scan_algorithmE0ELj4294967295EEENS1_25partition_config_selectorILNS1_17partition_subalgoE4EjNS0_10empty_typeEbEEZZNS1_14partition_implILS8_4ELb0ES6_15HIP_vector_typeIjLj2EENS0_17counting_iteratorIjlEEPS9_SG_NS0_5tupleIJPjSI_NS0_16reverse_iteratorISI_EEEEENSH_IJSG_SG_SG_EEES9_SI_JZNS1_25segmented_radix_sort_implINS0_14default_configELb1EPKsPsPKlPlN2at6native12_GLOBAL__N_18offset_tEEE10hipError_tPvRmT1_PNSt15iterator_traitsIS12_E10value_typeET2_T3_PNS13_IS18_E10value_typeET4_jRbjT5_S1E_jjP12ihipStream_tbEUljE_ZNSN_ISO_Lb1ESQ_SR_ST_SU_SY_EESZ_S10_S11_S12_S16_S17_S18_S1B_S1C_jS1D_jS1E_S1E_jjS1G_bEUljE0_EEESZ_S10_S11_S18_S1C_S1E_T6_T7_T9_mT8_S1G_bDpT10_ENKUlT_T0_E_clISt17integral_constantIbLb1EES1U_EEDaS1P_S1Q_EUlS1P_E_NS1_11comp_targetILNS1_3genE9ELNS1_11target_archE1100ELNS1_3gpuE3ELNS1_3repE0EEENS1_30default_config_static_selectorELNS0_4arch9wavefront6targetE0EEEvS12_.num_agpr, 0
	.set _ZN7rocprim17ROCPRIM_400000_NS6detail17trampoline_kernelINS0_13select_configILj256ELj13ELNS0_17block_load_methodE3ELS4_3ELS4_3ELNS0_20block_scan_algorithmE0ELj4294967295EEENS1_25partition_config_selectorILNS1_17partition_subalgoE4EjNS0_10empty_typeEbEEZZNS1_14partition_implILS8_4ELb0ES6_15HIP_vector_typeIjLj2EENS0_17counting_iteratorIjlEEPS9_SG_NS0_5tupleIJPjSI_NS0_16reverse_iteratorISI_EEEEENSH_IJSG_SG_SG_EEES9_SI_JZNS1_25segmented_radix_sort_implINS0_14default_configELb1EPKsPsPKlPlN2at6native12_GLOBAL__N_18offset_tEEE10hipError_tPvRmT1_PNSt15iterator_traitsIS12_E10value_typeET2_T3_PNS13_IS18_E10value_typeET4_jRbjT5_S1E_jjP12ihipStream_tbEUljE_ZNSN_ISO_Lb1ESQ_SR_ST_SU_SY_EESZ_S10_S11_S12_S16_S17_S18_S1B_S1C_jS1D_jS1E_S1E_jjS1G_bEUljE0_EEESZ_S10_S11_S18_S1C_S1E_T6_T7_T9_mT8_S1G_bDpT10_ENKUlT_T0_E_clISt17integral_constantIbLb1EES1U_EEDaS1P_S1Q_EUlS1P_E_NS1_11comp_targetILNS1_3genE9ELNS1_11target_archE1100ELNS1_3gpuE3ELNS1_3repE0EEENS1_30default_config_static_selectorELNS0_4arch9wavefront6targetE0EEEvS12_.numbered_sgpr, 0
	.set _ZN7rocprim17ROCPRIM_400000_NS6detail17trampoline_kernelINS0_13select_configILj256ELj13ELNS0_17block_load_methodE3ELS4_3ELS4_3ELNS0_20block_scan_algorithmE0ELj4294967295EEENS1_25partition_config_selectorILNS1_17partition_subalgoE4EjNS0_10empty_typeEbEEZZNS1_14partition_implILS8_4ELb0ES6_15HIP_vector_typeIjLj2EENS0_17counting_iteratorIjlEEPS9_SG_NS0_5tupleIJPjSI_NS0_16reverse_iteratorISI_EEEEENSH_IJSG_SG_SG_EEES9_SI_JZNS1_25segmented_radix_sort_implINS0_14default_configELb1EPKsPsPKlPlN2at6native12_GLOBAL__N_18offset_tEEE10hipError_tPvRmT1_PNSt15iterator_traitsIS12_E10value_typeET2_T3_PNS13_IS18_E10value_typeET4_jRbjT5_S1E_jjP12ihipStream_tbEUljE_ZNSN_ISO_Lb1ESQ_SR_ST_SU_SY_EESZ_S10_S11_S12_S16_S17_S18_S1B_S1C_jS1D_jS1E_S1E_jjS1G_bEUljE0_EEESZ_S10_S11_S18_S1C_S1E_T6_T7_T9_mT8_S1G_bDpT10_ENKUlT_T0_E_clISt17integral_constantIbLb1EES1U_EEDaS1P_S1Q_EUlS1P_E_NS1_11comp_targetILNS1_3genE9ELNS1_11target_archE1100ELNS1_3gpuE3ELNS1_3repE0EEENS1_30default_config_static_selectorELNS0_4arch9wavefront6targetE0EEEvS12_.num_named_barrier, 0
	.set _ZN7rocprim17ROCPRIM_400000_NS6detail17trampoline_kernelINS0_13select_configILj256ELj13ELNS0_17block_load_methodE3ELS4_3ELS4_3ELNS0_20block_scan_algorithmE0ELj4294967295EEENS1_25partition_config_selectorILNS1_17partition_subalgoE4EjNS0_10empty_typeEbEEZZNS1_14partition_implILS8_4ELb0ES6_15HIP_vector_typeIjLj2EENS0_17counting_iteratorIjlEEPS9_SG_NS0_5tupleIJPjSI_NS0_16reverse_iteratorISI_EEEEENSH_IJSG_SG_SG_EEES9_SI_JZNS1_25segmented_radix_sort_implINS0_14default_configELb1EPKsPsPKlPlN2at6native12_GLOBAL__N_18offset_tEEE10hipError_tPvRmT1_PNSt15iterator_traitsIS12_E10value_typeET2_T3_PNS13_IS18_E10value_typeET4_jRbjT5_S1E_jjP12ihipStream_tbEUljE_ZNSN_ISO_Lb1ESQ_SR_ST_SU_SY_EESZ_S10_S11_S12_S16_S17_S18_S1B_S1C_jS1D_jS1E_S1E_jjS1G_bEUljE0_EEESZ_S10_S11_S18_S1C_S1E_T6_T7_T9_mT8_S1G_bDpT10_ENKUlT_T0_E_clISt17integral_constantIbLb1EES1U_EEDaS1P_S1Q_EUlS1P_E_NS1_11comp_targetILNS1_3genE9ELNS1_11target_archE1100ELNS1_3gpuE3ELNS1_3repE0EEENS1_30default_config_static_selectorELNS0_4arch9wavefront6targetE0EEEvS12_.private_seg_size, 0
	.set _ZN7rocprim17ROCPRIM_400000_NS6detail17trampoline_kernelINS0_13select_configILj256ELj13ELNS0_17block_load_methodE3ELS4_3ELS4_3ELNS0_20block_scan_algorithmE0ELj4294967295EEENS1_25partition_config_selectorILNS1_17partition_subalgoE4EjNS0_10empty_typeEbEEZZNS1_14partition_implILS8_4ELb0ES6_15HIP_vector_typeIjLj2EENS0_17counting_iteratorIjlEEPS9_SG_NS0_5tupleIJPjSI_NS0_16reverse_iteratorISI_EEEEENSH_IJSG_SG_SG_EEES9_SI_JZNS1_25segmented_radix_sort_implINS0_14default_configELb1EPKsPsPKlPlN2at6native12_GLOBAL__N_18offset_tEEE10hipError_tPvRmT1_PNSt15iterator_traitsIS12_E10value_typeET2_T3_PNS13_IS18_E10value_typeET4_jRbjT5_S1E_jjP12ihipStream_tbEUljE_ZNSN_ISO_Lb1ESQ_SR_ST_SU_SY_EESZ_S10_S11_S12_S16_S17_S18_S1B_S1C_jS1D_jS1E_S1E_jjS1G_bEUljE0_EEESZ_S10_S11_S18_S1C_S1E_T6_T7_T9_mT8_S1G_bDpT10_ENKUlT_T0_E_clISt17integral_constantIbLb1EES1U_EEDaS1P_S1Q_EUlS1P_E_NS1_11comp_targetILNS1_3genE9ELNS1_11target_archE1100ELNS1_3gpuE3ELNS1_3repE0EEENS1_30default_config_static_selectorELNS0_4arch9wavefront6targetE0EEEvS12_.uses_vcc, 0
	.set _ZN7rocprim17ROCPRIM_400000_NS6detail17trampoline_kernelINS0_13select_configILj256ELj13ELNS0_17block_load_methodE3ELS4_3ELS4_3ELNS0_20block_scan_algorithmE0ELj4294967295EEENS1_25partition_config_selectorILNS1_17partition_subalgoE4EjNS0_10empty_typeEbEEZZNS1_14partition_implILS8_4ELb0ES6_15HIP_vector_typeIjLj2EENS0_17counting_iteratorIjlEEPS9_SG_NS0_5tupleIJPjSI_NS0_16reverse_iteratorISI_EEEEENSH_IJSG_SG_SG_EEES9_SI_JZNS1_25segmented_radix_sort_implINS0_14default_configELb1EPKsPsPKlPlN2at6native12_GLOBAL__N_18offset_tEEE10hipError_tPvRmT1_PNSt15iterator_traitsIS12_E10value_typeET2_T3_PNS13_IS18_E10value_typeET4_jRbjT5_S1E_jjP12ihipStream_tbEUljE_ZNSN_ISO_Lb1ESQ_SR_ST_SU_SY_EESZ_S10_S11_S12_S16_S17_S18_S1B_S1C_jS1D_jS1E_S1E_jjS1G_bEUljE0_EEESZ_S10_S11_S18_S1C_S1E_T6_T7_T9_mT8_S1G_bDpT10_ENKUlT_T0_E_clISt17integral_constantIbLb1EES1U_EEDaS1P_S1Q_EUlS1P_E_NS1_11comp_targetILNS1_3genE9ELNS1_11target_archE1100ELNS1_3gpuE3ELNS1_3repE0EEENS1_30default_config_static_selectorELNS0_4arch9wavefront6targetE0EEEvS12_.uses_flat_scratch, 0
	.set _ZN7rocprim17ROCPRIM_400000_NS6detail17trampoline_kernelINS0_13select_configILj256ELj13ELNS0_17block_load_methodE3ELS4_3ELS4_3ELNS0_20block_scan_algorithmE0ELj4294967295EEENS1_25partition_config_selectorILNS1_17partition_subalgoE4EjNS0_10empty_typeEbEEZZNS1_14partition_implILS8_4ELb0ES6_15HIP_vector_typeIjLj2EENS0_17counting_iteratorIjlEEPS9_SG_NS0_5tupleIJPjSI_NS0_16reverse_iteratorISI_EEEEENSH_IJSG_SG_SG_EEES9_SI_JZNS1_25segmented_radix_sort_implINS0_14default_configELb1EPKsPsPKlPlN2at6native12_GLOBAL__N_18offset_tEEE10hipError_tPvRmT1_PNSt15iterator_traitsIS12_E10value_typeET2_T3_PNS13_IS18_E10value_typeET4_jRbjT5_S1E_jjP12ihipStream_tbEUljE_ZNSN_ISO_Lb1ESQ_SR_ST_SU_SY_EESZ_S10_S11_S12_S16_S17_S18_S1B_S1C_jS1D_jS1E_S1E_jjS1G_bEUljE0_EEESZ_S10_S11_S18_S1C_S1E_T6_T7_T9_mT8_S1G_bDpT10_ENKUlT_T0_E_clISt17integral_constantIbLb1EES1U_EEDaS1P_S1Q_EUlS1P_E_NS1_11comp_targetILNS1_3genE9ELNS1_11target_archE1100ELNS1_3gpuE3ELNS1_3repE0EEENS1_30default_config_static_selectorELNS0_4arch9wavefront6targetE0EEEvS12_.has_dyn_sized_stack, 0
	.set _ZN7rocprim17ROCPRIM_400000_NS6detail17trampoline_kernelINS0_13select_configILj256ELj13ELNS0_17block_load_methodE3ELS4_3ELS4_3ELNS0_20block_scan_algorithmE0ELj4294967295EEENS1_25partition_config_selectorILNS1_17partition_subalgoE4EjNS0_10empty_typeEbEEZZNS1_14partition_implILS8_4ELb0ES6_15HIP_vector_typeIjLj2EENS0_17counting_iteratorIjlEEPS9_SG_NS0_5tupleIJPjSI_NS0_16reverse_iteratorISI_EEEEENSH_IJSG_SG_SG_EEES9_SI_JZNS1_25segmented_radix_sort_implINS0_14default_configELb1EPKsPsPKlPlN2at6native12_GLOBAL__N_18offset_tEEE10hipError_tPvRmT1_PNSt15iterator_traitsIS12_E10value_typeET2_T3_PNS13_IS18_E10value_typeET4_jRbjT5_S1E_jjP12ihipStream_tbEUljE_ZNSN_ISO_Lb1ESQ_SR_ST_SU_SY_EESZ_S10_S11_S12_S16_S17_S18_S1B_S1C_jS1D_jS1E_S1E_jjS1G_bEUljE0_EEESZ_S10_S11_S18_S1C_S1E_T6_T7_T9_mT8_S1G_bDpT10_ENKUlT_T0_E_clISt17integral_constantIbLb1EES1U_EEDaS1P_S1Q_EUlS1P_E_NS1_11comp_targetILNS1_3genE9ELNS1_11target_archE1100ELNS1_3gpuE3ELNS1_3repE0EEENS1_30default_config_static_selectorELNS0_4arch9wavefront6targetE0EEEvS12_.has_recursion, 0
	.set _ZN7rocprim17ROCPRIM_400000_NS6detail17trampoline_kernelINS0_13select_configILj256ELj13ELNS0_17block_load_methodE3ELS4_3ELS4_3ELNS0_20block_scan_algorithmE0ELj4294967295EEENS1_25partition_config_selectorILNS1_17partition_subalgoE4EjNS0_10empty_typeEbEEZZNS1_14partition_implILS8_4ELb0ES6_15HIP_vector_typeIjLj2EENS0_17counting_iteratorIjlEEPS9_SG_NS0_5tupleIJPjSI_NS0_16reverse_iteratorISI_EEEEENSH_IJSG_SG_SG_EEES9_SI_JZNS1_25segmented_radix_sort_implINS0_14default_configELb1EPKsPsPKlPlN2at6native12_GLOBAL__N_18offset_tEEE10hipError_tPvRmT1_PNSt15iterator_traitsIS12_E10value_typeET2_T3_PNS13_IS18_E10value_typeET4_jRbjT5_S1E_jjP12ihipStream_tbEUljE_ZNSN_ISO_Lb1ESQ_SR_ST_SU_SY_EESZ_S10_S11_S12_S16_S17_S18_S1B_S1C_jS1D_jS1E_S1E_jjS1G_bEUljE0_EEESZ_S10_S11_S18_S1C_S1E_T6_T7_T9_mT8_S1G_bDpT10_ENKUlT_T0_E_clISt17integral_constantIbLb1EES1U_EEDaS1P_S1Q_EUlS1P_E_NS1_11comp_targetILNS1_3genE9ELNS1_11target_archE1100ELNS1_3gpuE3ELNS1_3repE0EEENS1_30default_config_static_selectorELNS0_4arch9wavefront6targetE0EEEvS12_.has_indirect_call, 0
	.section	.AMDGPU.csdata,"",@progbits
; Kernel info:
; codeLenInByte = 0
; TotalNumSgprs: 0
; NumVgprs: 0
; ScratchSize: 0
; MemoryBound: 0
; FloatMode: 240
; IeeeMode: 1
; LDSByteSize: 0 bytes/workgroup (compile time only)
; SGPRBlocks: 0
; VGPRBlocks: 0
; NumSGPRsForWavesPerEU: 1
; NumVGPRsForWavesPerEU: 1
; Occupancy: 16
; WaveLimiterHint : 0
; COMPUTE_PGM_RSRC2:SCRATCH_EN: 0
; COMPUTE_PGM_RSRC2:USER_SGPR: 2
; COMPUTE_PGM_RSRC2:TRAP_HANDLER: 0
; COMPUTE_PGM_RSRC2:TGID_X_EN: 1
; COMPUTE_PGM_RSRC2:TGID_Y_EN: 0
; COMPUTE_PGM_RSRC2:TGID_Z_EN: 0
; COMPUTE_PGM_RSRC2:TIDIG_COMP_CNT: 0
	.section	.text._ZN7rocprim17ROCPRIM_400000_NS6detail17trampoline_kernelINS0_13select_configILj256ELj13ELNS0_17block_load_methodE3ELS4_3ELS4_3ELNS0_20block_scan_algorithmE0ELj4294967295EEENS1_25partition_config_selectorILNS1_17partition_subalgoE4EjNS0_10empty_typeEbEEZZNS1_14partition_implILS8_4ELb0ES6_15HIP_vector_typeIjLj2EENS0_17counting_iteratorIjlEEPS9_SG_NS0_5tupleIJPjSI_NS0_16reverse_iteratorISI_EEEEENSH_IJSG_SG_SG_EEES9_SI_JZNS1_25segmented_radix_sort_implINS0_14default_configELb1EPKsPsPKlPlN2at6native12_GLOBAL__N_18offset_tEEE10hipError_tPvRmT1_PNSt15iterator_traitsIS12_E10value_typeET2_T3_PNS13_IS18_E10value_typeET4_jRbjT5_S1E_jjP12ihipStream_tbEUljE_ZNSN_ISO_Lb1ESQ_SR_ST_SU_SY_EESZ_S10_S11_S12_S16_S17_S18_S1B_S1C_jS1D_jS1E_S1E_jjS1G_bEUljE0_EEESZ_S10_S11_S18_S1C_S1E_T6_T7_T9_mT8_S1G_bDpT10_ENKUlT_T0_E_clISt17integral_constantIbLb1EES1U_EEDaS1P_S1Q_EUlS1P_E_NS1_11comp_targetILNS1_3genE8ELNS1_11target_archE1030ELNS1_3gpuE2ELNS1_3repE0EEENS1_30default_config_static_selectorELNS0_4arch9wavefront6targetE0EEEvS12_,"axG",@progbits,_ZN7rocprim17ROCPRIM_400000_NS6detail17trampoline_kernelINS0_13select_configILj256ELj13ELNS0_17block_load_methodE3ELS4_3ELS4_3ELNS0_20block_scan_algorithmE0ELj4294967295EEENS1_25partition_config_selectorILNS1_17partition_subalgoE4EjNS0_10empty_typeEbEEZZNS1_14partition_implILS8_4ELb0ES6_15HIP_vector_typeIjLj2EENS0_17counting_iteratorIjlEEPS9_SG_NS0_5tupleIJPjSI_NS0_16reverse_iteratorISI_EEEEENSH_IJSG_SG_SG_EEES9_SI_JZNS1_25segmented_radix_sort_implINS0_14default_configELb1EPKsPsPKlPlN2at6native12_GLOBAL__N_18offset_tEEE10hipError_tPvRmT1_PNSt15iterator_traitsIS12_E10value_typeET2_T3_PNS13_IS18_E10value_typeET4_jRbjT5_S1E_jjP12ihipStream_tbEUljE_ZNSN_ISO_Lb1ESQ_SR_ST_SU_SY_EESZ_S10_S11_S12_S16_S17_S18_S1B_S1C_jS1D_jS1E_S1E_jjS1G_bEUljE0_EEESZ_S10_S11_S18_S1C_S1E_T6_T7_T9_mT8_S1G_bDpT10_ENKUlT_T0_E_clISt17integral_constantIbLb1EES1U_EEDaS1P_S1Q_EUlS1P_E_NS1_11comp_targetILNS1_3genE8ELNS1_11target_archE1030ELNS1_3gpuE2ELNS1_3repE0EEENS1_30default_config_static_selectorELNS0_4arch9wavefront6targetE0EEEvS12_,comdat
	.globl	_ZN7rocprim17ROCPRIM_400000_NS6detail17trampoline_kernelINS0_13select_configILj256ELj13ELNS0_17block_load_methodE3ELS4_3ELS4_3ELNS0_20block_scan_algorithmE0ELj4294967295EEENS1_25partition_config_selectorILNS1_17partition_subalgoE4EjNS0_10empty_typeEbEEZZNS1_14partition_implILS8_4ELb0ES6_15HIP_vector_typeIjLj2EENS0_17counting_iteratorIjlEEPS9_SG_NS0_5tupleIJPjSI_NS0_16reverse_iteratorISI_EEEEENSH_IJSG_SG_SG_EEES9_SI_JZNS1_25segmented_radix_sort_implINS0_14default_configELb1EPKsPsPKlPlN2at6native12_GLOBAL__N_18offset_tEEE10hipError_tPvRmT1_PNSt15iterator_traitsIS12_E10value_typeET2_T3_PNS13_IS18_E10value_typeET4_jRbjT5_S1E_jjP12ihipStream_tbEUljE_ZNSN_ISO_Lb1ESQ_SR_ST_SU_SY_EESZ_S10_S11_S12_S16_S17_S18_S1B_S1C_jS1D_jS1E_S1E_jjS1G_bEUljE0_EEESZ_S10_S11_S18_S1C_S1E_T6_T7_T9_mT8_S1G_bDpT10_ENKUlT_T0_E_clISt17integral_constantIbLb1EES1U_EEDaS1P_S1Q_EUlS1P_E_NS1_11comp_targetILNS1_3genE8ELNS1_11target_archE1030ELNS1_3gpuE2ELNS1_3repE0EEENS1_30default_config_static_selectorELNS0_4arch9wavefront6targetE0EEEvS12_ ; -- Begin function _ZN7rocprim17ROCPRIM_400000_NS6detail17trampoline_kernelINS0_13select_configILj256ELj13ELNS0_17block_load_methodE3ELS4_3ELS4_3ELNS0_20block_scan_algorithmE0ELj4294967295EEENS1_25partition_config_selectorILNS1_17partition_subalgoE4EjNS0_10empty_typeEbEEZZNS1_14partition_implILS8_4ELb0ES6_15HIP_vector_typeIjLj2EENS0_17counting_iteratorIjlEEPS9_SG_NS0_5tupleIJPjSI_NS0_16reverse_iteratorISI_EEEEENSH_IJSG_SG_SG_EEES9_SI_JZNS1_25segmented_radix_sort_implINS0_14default_configELb1EPKsPsPKlPlN2at6native12_GLOBAL__N_18offset_tEEE10hipError_tPvRmT1_PNSt15iterator_traitsIS12_E10value_typeET2_T3_PNS13_IS18_E10value_typeET4_jRbjT5_S1E_jjP12ihipStream_tbEUljE_ZNSN_ISO_Lb1ESQ_SR_ST_SU_SY_EESZ_S10_S11_S12_S16_S17_S18_S1B_S1C_jS1D_jS1E_S1E_jjS1G_bEUljE0_EEESZ_S10_S11_S18_S1C_S1E_T6_T7_T9_mT8_S1G_bDpT10_ENKUlT_T0_E_clISt17integral_constantIbLb1EES1U_EEDaS1P_S1Q_EUlS1P_E_NS1_11comp_targetILNS1_3genE8ELNS1_11target_archE1030ELNS1_3gpuE2ELNS1_3repE0EEENS1_30default_config_static_selectorELNS0_4arch9wavefront6targetE0EEEvS12_
	.p2align	8
	.type	_ZN7rocprim17ROCPRIM_400000_NS6detail17trampoline_kernelINS0_13select_configILj256ELj13ELNS0_17block_load_methodE3ELS4_3ELS4_3ELNS0_20block_scan_algorithmE0ELj4294967295EEENS1_25partition_config_selectorILNS1_17partition_subalgoE4EjNS0_10empty_typeEbEEZZNS1_14partition_implILS8_4ELb0ES6_15HIP_vector_typeIjLj2EENS0_17counting_iteratorIjlEEPS9_SG_NS0_5tupleIJPjSI_NS0_16reverse_iteratorISI_EEEEENSH_IJSG_SG_SG_EEES9_SI_JZNS1_25segmented_radix_sort_implINS0_14default_configELb1EPKsPsPKlPlN2at6native12_GLOBAL__N_18offset_tEEE10hipError_tPvRmT1_PNSt15iterator_traitsIS12_E10value_typeET2_T3_PNS13_IS18_E10value_typeET4_jRbjT5_S1E_jjP12ihipStream_tbEUljE_ZNSN_ISO_Lb1ESQ_SR_ST_SU_SY_EESZ_S10_S11_S12_S16_S17_S18_S1B_S1C_jS1D_jS1E_S1E_jjS1G_bEUljE0_EEESZ_S10_S11_S18_S1C_S1E_T6_T7_T9_mT8_S1G_bDpT10_ENKUlT_T0_E_clISt17integral_constantIbLb1EES1U_EEDaS1P_S1Q_EUlS1P_E_NS1_11comp_targetILNS1_3genE8ELNS1_11target_archE1030ELNS1_3gpuE2ELNS1_3repE0EEENS1_30default_config_static_selectorELNS0_4arch9wavefront6targetE0EEEvS12_,@function
_ZN7rocprim17ROCPRIM_400000_NS6detail17trampoline_kernelINS0_13select_configILj256ELj13ELNS0_17block_load_methodE3ELS4_3ELS4_3ELNS0_20block_scan_algorithmE0ELj4294967295EEENS1_25partition_config_selectorILNS1_17partition_subalgoE4EjNS0_10empty_typeEbEEZZNS1_14partition_implILS8_4ELb0ES6_15HIP_vector_typeIjLj2EENS0_17counting_iteratorIjlEEPS9_SG_NS0_5tupleIJPjSI_NS0_16reverse_iteratorISI_EEEEENSH_IJSG_SG_SG_EEES9_SI_JZNS1_25segmented_radix_sort_implINS0_14default_configELb1EPKsPsPKlPlN2at6native12_GLOBAL__N_18offset_tEEE10hipError_tPvRmT1_PNSt15iterator_traitsIS12_E10value_typeET2_T3_PNS13_IS18_E10value_typeET4_jRbjT5_S1E_jjP12ihipStream_tbEUljE_ZNSN_ISO_Lb1ESQ_SR_ST_SU_SY_EESZ_S10_S11_S12_S16_S17_S18_S1B_S1C_jS1D_jS1E_S1E_jjS1G_bEUljE0_EEESZ_S10_S11_S18_S1C_S1E_T6_T7_T9_mT8_S1G_bDpT10_ENKUlT_T0_E_clISt17integral_constantIbLb1EES1U_EEDaS1P_S1Q_EUlS1P_E_NS1_11comp_targetILNS1_3genE8ELNS1_11target_archE1030ELNS1_3gpuE2ELNS1_3repE0EEENS1_30default_config_static_selectorELNS0_4arch9wavefront6targetE0EEEvS12_: ; @_ZN7rocprim17ROCPRIM_400000_NS6detail17trampoline_kernelINS0_13select_configILj256ELj13ELNS0_17block_load_methodE3ELS4_3ELS4_3ELNS0_20block_scan_algorithmE0ELj4294967295EEENS1_25partition_config_selectorILNS1_17partition_subalgoE4EjNS0_10empty_typeEbEEZZNS1_14partition_implILS8_4ELb0ES6_15HIP_vector_typeIjLj2EENS0_17counting_iteratorIjlEEPS9_SG_NS0_5tupleIJPjSI_NS0_16reverse_iteratorISI_EEEEENSH_IJSG_SG_SG_EEES9_SI_JZNS1_25segmented_radix_sort_implINS0_14default_configELb1EPKsPsPKlPlN2at6native12_GLOBAL__N_18offset_tEEE10hipError_tPvRmT1_PNSt15iterator_traitsIS12_E10value_typeET2_T3_PNS13_IS18_E10value_typeET4_jRbjT5_S1E_jjP12ihipStream_tbEUljE_ZNSN_ISO_Lb1ESQ_SR_ST_SU_SY_EESZ_S10_S11_S12_S16_S17_S18_S1B_S1C_jS1D_jS1E_S1E_jjS1G_bEUljE0_EEESZ_S10_S11_S18_S1C_S1E_T6_T7_T9_mT8_S1G_bDpT10_ENKUlT_T0_E_clISt17integral_constantIbLb1EES1U_EEDaS1P_S1Q_EUlS1P_E_NS1_11comp_targetILNS1_3genE8ELNS1_11target_archE1030ELNS1_3gpuE2ELNS1_3repE0EEENS1_30default_config_static_selectorELNS0_4arch9wavefront6targetE0EEEvS12_
; %bb.0:
	.section	.rodata,"a",@progbits
	.p2align	6, 0x0
	.amdhsa_kernel _ZN7rocprim17ROCPRIM_400000_NS6detail17trampoline_kernelINS0_13select_configILj256ELj13ELNS0_17block_load_methodE3ELS4_3ELS4_3ELNS0_20block_scan_algorithmE0ELj4294967295EEENS1_25partition_config_selectorILNS1_17partition_subalgoE4EjNS0_10empty_typeEbEEZZNS1_14partition_implILS8_4ELb0ES6_15HIP_vector_typeIjLj2EENS0_17counting_iteratorIjlEEPS9_SG_NS0_5tupleIJPjSI_NS0_16reverse_iteratorISI_EEEEENSH_IJSG_SG_SG_EEES9_SI_JZNS1_25segmented_radix_sort_implINS0_14default_configELb1EPKsPsPKlPlN2at6native12_GLOBAL__N_18offset_tEEE10hipError_tPvRmT1_PNSt15iterator_traitsIS12_E10value_typeET2_T3_PNS13_IS18_E10value_typeET4_jRbjT5_S1E_jjP12ihipStream_tbEUljE_ZNSN_ISO_Lb1ESQ_SR_ST_SU_SY_EESZ_S10_S11_S12_S16_S17_S18_S1B_S1C_jS1D_jS1E_S1E_jjS1G_bEUljE0_EEESZ_S10_S11_S18_S1C_S1E_T6_T7_T9_mT8_S1G_bDpT10_ENKUlT_T0_E_clISt17integral_constantIbLb1EES1U_EEDaS1P_S1Q_EUlS1P_E_NS1_11comp_targetILNS1_3genE8ELNS1_11target_archE1030ELNS1_3gpuE2ELNS1_3repE0EEENS1_30default_config_static_selectorELNS0_4arch9wavefront6targetE0EEEvS12_
		.amdhsa_group_segment_fixed_size 0
		.amdhsa_private_segment_fixed_size 0
		.amdhsa_kernarg_size 184
		.amdhsa_user_sgpr_count 2
		.amdhsa_user_sgpr_dispatch_ptr 0
		.amdhsa_user_sgpr_queue_ptr 0
		.amdhsa_user_sgpr_kernarg_segment_ptr 1
		.amdhsa_user_sgpr_dispatch_id 0
		.amdhsa_user_sgpr_private_segment_size 0
		.amdhsa_wavefront_size32 1
		.amdhsa_uses_dynamic_stack 0
		.amdhsa_enable_private_segment 0
		.amdhsa_system_sgpr_workgroup_id_x 1
		.amdhsa_system_sgpr_workgroup_id_y 0
		.amdhsa_system_sgpr_workgroup_id_z 0
		.amdhsa_system_sgpr_workgroup_info 0
		.amdhsa_system_vgpr_workitem_id 0
		.amdhsa_next_free_vgpr 1
		.amdhsa_next_free_sgpr 1
		.amdhsa_reserve_vcc 0
		.amdhsa_float_round_mode_32 0
		.amdhsa_float_round_mode_16_64 0
		.amdhsa_float_denorm_mode_32 3
		.amdhsa_float_denorm_mode_16_64 3
		.amdhsa_fp16_overflow 0
		.amdhsa_workgroup_processor_mode 1
		.amdhsa_memory_ordered 1
		.amdhsa_forward_progress 1
		.amdhsa_inst_pref_size 0
		.amdhsa_round_robin_scheduling 0
		.amdhsa_exception_fp_ieee_invalid_op 0
		.amdhsa_exception_fp_denorm_src 0
		.amdhsa_exception_fp_ieee_div_zero 0
		.amdhsa_exception_fp_ieee_overflow 0
		.amdhsa_exception_fp_ieee_underflow 0
		.amdhsa_exception_fp_ieee_inexact 0
		.amdhsa_exception_int_div_zero 0
	.end_amdhsa_kernel
	.section	.text._ZN7rocprim17ROCPRIM_400000_NS6detail17trampoline_kernelINS0_13select_configILj256ELj13ELNS0_17block_load_methodE3ELS4_3ELS4_3ELNS0_20block_scan_algorithmE0ELj4294967295EEENS1_25partition_config_selectorILNS1_17partition_subalgoE4EjNS0_10empty_typeEbEEZZNS1_14partition_implILS8_4ELb0ES6_15HIP_vector_typeIjLj2EENS0_17counting_iteratorIjlEEPS9_SG_NS0_5tupleIJPjSI_NS0_16reverse_iteratorISI_EEEEENSH_IJSG_SG_SG_EEES9_SI_JZNS1_25segmented_radix_sort_implINS0_14default_configELb1EPKsPsPKlPlN2at6native12_GLOBAL__N_18offset_tEEE10hipError_tPvRmT1_PNSt15iterator_traitsIS12_E10value_typeET2_T3_PNS13_IS18_E10value_typeET4_jRbjT5_S1E_jjP12ihipStream_tbEUljE_ZNSN_ISO_Lb1ESQ_SR_ST_SU_SY_EESZ_S10_S11_S12_S16_S17_S18_S1B_S1C_jS1D_jS1E_S1E_jjS1G_bEUljE0_EEESZ_S10_S11_S18_S1C_S1E_T6_T7_T9_mT8_S1G_bDpT10_ENKUlT_T0_E_clISt17integral_constantIbLb1EES1U_EEDaS1P_S1Q_EUlS1P_E_NS1_11comp_targetILNS1_3genE8ELNS1_11target_archE1030ELNS1_3gpuE2ELNS1_3repE0EEENS1_30default_config_static_selectorELNS0_4arch9wavefront6targetE0EEEvS12_,"axG",@progbits,_ZN7rocprim17ROCPRIM_400000_NS6detail17trampoline_kernelINS0_13select_configILj256ELj13ELNS0_17block_load_methodE3ELS4_3ELS4_3ELNS0_20block_scan_algorithmE0ELj4294967295EEENS1_25partition_config_selectorILNS1_17partition_subalgoE4EjNS0_10empty_typeEbEEZZNS1_14partition_implILS8_4ELb0ES6_15HIP_vector_typeIjLj2EENS0_17counting_iteratorIjlEEPS9_SG_NS0_5tupleIJPjSI_NS0_16reverse_iteratorISI_EEEEENSH_IJSG_SG_SG_EEES9_SI_JZNS1_25segmented_radix_sort_implINS0_14default_configELb1EPKsPsPKlPlN2at6native12_GLOBAL__N_18offset_tEEE10hipError_tPvRmT1_PNSt15iterator_traitsIS12_E10value_typeET2_T3_PNS13_IS18_E10value_typeET4_jRbjT5_S1E_jjP12ihipStream_tbEUljE_ZNSN_ISO_Lb1ESQ_SR_ST_SU_SY_EESZ_S10_S11_S12_S16_S17_S18_S1B_S1C_jS1D_jS1E_S1E_jjS1G_bEUljE0_EEESZ_S10_S11_S18_S1C_S1E_T6_T7_T9_mT8_S1G_bDpT10_ENKUlT_T0_E_clISt17integral_constantIbLb1EES1U_EEDaS1P_S1Q_EUlS1P_E_NS1_11comp_targetILNS1_3genE8ELNS1_11target_archE1030ELNS1_3gpuE2ELNS1_3repE0EEENS1_30default_config_static_selectorELNS0_4arch9wavefront6targetE0EEEvS12_,comdat
.Lfunc_end862:
	.size	_ZN7rocprim17ROCPRIM_400000_NS6detail17trampoline_kernelINS0_13select_configILj256ELj13ELNS0_17block_load_methodE3ELS4_3ELS4_3ELNS0_20block_scan_algorithmE0ELj4294967295EEENS1_25partition_config_selectorILNS1_17partition_subalgoE4EjNS0_10empty_typeEbEEZZNS1_14partition_implILS8_4ELb0ES6_15HIP_vector_typeIjLj2EENS0_17counting_iteratorIjlEEPS9_SG_NS0_5tupleIJPjSI_NS0_16reverse_iteratorISI_EEEEENSH_IJSG_SG_SG_EEES9_SI_JZNS1_25segmented_radix_sort_implINS0_14default_configELb1EPKsPsPKlPlN2at6native12_GLOBAL__N_18offset_tEEE10hipError_tPvRmT1_PNSt15iterator_traitsIS12_E10value_typeET2_T3_PNS13_IS18_E10value_typeET4_jRbjT5_S1E_jjP12ihipStream_tbEUljE_ZNSN_ISO_Lb1ESQ_SR_ST_SU_SY_EESZ_S10_S11_S12_S16_S17_S18_S1B_S1C_jS1D_jS1E_S1E_jjS1G_bEUljE0_EEESZ_S10_S11_S18_S1C_S1E_T6_T7_T9_mT8_S1G_bDpT10_ENKUlT_T0_E_clISt17integral_constantIbLb1EES1U_EEDaS1P_S1Q_EUlS1P_E_NS1_11comp_targetILNS1_3genE8ELNS1_11target_archE1030ELNS1_3gpuE2ELNS1_3repE0EEENS1_30default_config_static_selectorELNS0_4arch9wavefront6targetE0EEEvS12_, .Lfunc_end862-_ZN7rocprim17ROCPRIM_400000_NS6detail17trampoline_kernelINS0_13select_configILj256ELj13ELNS0_17block_load_methodE3ELS4_3ELS4_3ELNS0_20block_scan_algorithmE0ELj4294967295EEENS1_25partition_config_selectorILNS1_17partition_subalgoE4EjNS0_10empty_typeEbEEZZNS1_14partition_implILS8_4ELb0ES6_15HIP_vector_typeIjLj2EENS0_17counting_iteratorIjlEEPS9_SG_NS0_5tupleIJPjSI_NS0_16reverse_iteratorISI_EEEEENSH_IJSG_SG_SG_EEES9_SI_JZNS1_25segmented_radix_sort_implINS0_14default_configELb1EPKsPsPKlPlN2at6native12_GLOBAL__N_18offset_tEEE10hipError_tPvRmT1_PNSt15iterator_traitsIS12_E10value_typeET2_T3_PNS13_IS18_E10value_typeET4_jRbjT5_S1E_jjP12ihipStream_tbEUljE_ZNSN_ISO_Lb1ESQ_SR_ST_SU_SY_EESZ_S10_S11_S12_S16_S17_S18_S1B_S1C_jS1D_jS1E_S1E_jjS1G_bEUljE0_EEESZ_S10_S11_S18_S1C_S1E_T6_T7_T9_mT8_S1G_bDpT10_ENKUlT_T0_E_clISt17integral_constantIbLb1EES1U_EEDaS1P_S1Q_EUlS1P_E_NS1_11comp_targetILNS1_3genE8ELNS1_11target_archE1030ELNS1_3gpuE2ELNS1_3repE0EEENS1_30default_config_static_selectorELNS0_4arch9wavefront6targetE0EEEvS12_
                                        ; -- End function
	.set _ZN7rocprim17ROCPRIM_400000_NS6detail17trampoline_kernelINS0_13select_configILj256ELj13ELNS0_17block_load_methodE3ELS4_3ELS4_3ELNS0_20block_scan_algorithmE0ELj4294967295EEENS1_25partition_config_selectorILNS1_17partition_subalgoE4EjNS0_10empty_typeEbEEZZNS1_14partition_implILS8_4ELb0ES6_15HIP_vector_typeIjLj2EENS0_17counting_iteratorIjlEEPS9_SG_NS0_5tupleIJPjSI_NS0_16reverse_iteratorISI_EEEEENSH_IJSG_SG_SG_EEES9_SI_JZNS1_25segmented_radix_sort_implINS0_14default_configELb1EPKsPsPKlPlN2at6native12_GLOBAL__N_18offset_tEEE10hipError_tPvRmT1_PNSt15iterator_traitsIS12_E10value_typeET2_T3_PNS13_IS18_E10value_typeET4_jRbjT5_S1E_jjP12ihipStream_tbEUljE_ZNSN_ISO_Lb1ESQ_SR_ST_SU_SY_EESZ_S10_S11_S12_S16_S17_S18_S1B_S1C_jS1D_jS1E_S1E_jjS1G_bEUljE0_EEESZ_S10_S11_S18_S1C_S1E_T6_T7_T9_mT8_S1G_bDpT10_ENKUlT_T0_E_clISt17integral_constantIbLb1EES1U_EEDaS1P_S1Q_EUlS1P_E_NS1_11comp_targetILNS1_3genE8ELNS1_11target_archE1030ELNS1_3gpuE2ELNS1_3repE0EEENS1_30default_config_static_selectorELNS0_4arch9wavefront6targetE0EEEvS12_.num_vgpr, 0
	.set _ZN7rocprim17ROCPRIM_400000_NS6detail17trampoline_kernelINS0_13select_configILj256ELj13ELNS0_17block_load_methodE3ELS4_3ELS4_3ELNS0_20block_scan_algorithmE0ELj4294967295EEENS1_25partition_config_selectorILNS1_17partition_subalgoE4EjNS0_10empty_typeEbEEZZNS1_14partition_implILS8_4ELb0ES6_15HIP_vector_typeIjLj2EENS0_17counting_iteratorIjlEEPS9_SG_NS0_5tupleIJPjSI_NS0_16reverse_iteratorISI_EEEEENSH_IJSG_SG_SG_EEES9_SI_JZNS1_25segmented_radix_sort_implINS0_14default_configELb1EPKsPsPKlPlN2at6native12_GLOBAL__N_18offset_tEEE10hipError_tPvRmT1_PNSt15iterator_traitsIS12_E10value_typeET2_T3_PNS13_IS18_E10value_typeET4_jRbjT5_S1E_jjP12ihipStream_tbEUljE_ZNSN_ISO_Lb1ESQ_SR_ST_SU_SY_EESZ_S10_S11_S12_S16_S17_S18_S1B_S1C_jS1D_jS1E_S1E_jjS1G_bEUljE0_EEESZ_S10_S11_S18_S1C_S1E_T6_T7_T9_mT8_S1G_bDpT10_ENKUlT_T0_E_clISt17integral_constantIbLb1EES1U_EEDaS1P_S1Q_EUlS1P_E_NS1_11comp_targetILNS1_3genE8ELNS1_11target_archE1030ELNS1_3gpuE2ELNS1_3repE0EEENS1_30default_config_static_selectorELNS0_4arch9wavefront6targetE0EEEvS12_.num_agpr, 0
	.set _ZN7rocprim17ROCPRIM_400000_NS6detail17trampoline_kernelINS0_13select_configILj256ELj13ELNS0_17block_load_methodE3ELS4_3ELS4_3ELNS0_20block_scan_algorithmE0ELj4294967295EEENS1_25partition_config_selectorILNS1_17partition_subalgoE4EjNS0_10empty_typeEbEEZZNS1_14partition_implILS8_4ELb0ES6_15HIP_vector_typeIjLj2EENS0_17counting_iteratorIjlEEPS9_SG_NS0_5tupleIJPjSI_NS0_16reverse_iteratorISI_EEEEENSH_IJSG_SG_SG_EEES9_SI_JZNS1_25segmented_radix_sort_implINS0_14default_configELb1EPKsPsPKlPlN2at6native12_GLOBAL__N_18offset_tEEE10hipError_tPvRmT1_PNSt15iterator_traitsIS12_E10value_typeET2_T3_PNS13_IS18_E10value_typeET4_jRbjT5_S1E_jjP12ihipStream_tbEUljE_ZNSN_ISO_Lb1ESQ_SR_ST_SU_SY_EESZ_S10_S11_S12_S16_S17_S18_S1B_S1C_jS1D_jS1E_S1E_jjS1G_bEUljE0_EEESZ_S10_S11_S18_S1C_S1E_T6_T7_T9_mT8_S1G_bDpT10_ENKUlT_T0_E_clISt17integral_constantIbLb1EES1U_EEDaS1P_S1Q_EUlS1P_E_NS1_11comp_targetILNS1_3genE8ELNS1_11target_archE1030ELNS1_3gpuE2ELNS1_3repE0EEENS1_30default_config_static_selectorELNS0_4arch9wavefront6targetE0EEEvS12_.numbered_sgpr, 0
	.set _ZN7rocprim17ROCPRIM_400000_NS6detail17trampoline_kernelINS0_13select_configILj256ELj13ELNS0_17block_load_methodE3ELS4_3ELS4_3ELNS0_20block_scan_algorithmE0ELj4294967295EEENS1_25partition_config_selectorILNS1_17partition_subalgoE4EjNS0_10empty_typeEbEEZZNS1_14partition_implILS8_4ELb0ES6_15HIP_vector_typeIjLj2EENS0_17counting_iteratorIjlEEPS9_SG_NS0_5tupleIJPjSI_NS0_16reverse_iteratorISI_EEEEENSH_IJSG_SG_SG_EEES9_SI_JZNS1_25segmented_radix_sort_implINS0_14default_configELb1EPKsPsPKlPlN2at6native12_GLOBAL__N_18offset_tEEE10hipError_tPvRmT1_PNSt15iterator_traitsIS12_E10value_typeET2_T3_PNS13_IS18_E10value_typeET4_jRbjT5_S1E_jjP12ihipStream_tbEUljE_ZNSN_ISO_Lb1ESQ_SR_ST_SU_SY_EESZ_S10_S11_S12_S16_S17_S18_S1B_S1C_jS1D_jS1E_S1E_jjS1G_bEUljE0_EEESZ_S10_S11_S18_S1C_S1E_T6_T7_T9_mT8_S1G_bDpT10_ENKUlT_T0_E_clISt17integral_constantIbLb1EES1U_EEDaS1P_S1Q_EUlS1P_E_NS1_11comp_targetILNS1_3genE8ELNS1_11target_archE1030ELNS1_3gpuE2ELNS1_3repE0EEENS1_30default_config_static_selectorELNS0_4arch9wavefront6targetE0EEEvS12_.num_named_barrier, 0
	.set _ZN7rocprim17ROCPRIM_400000_NS6detail17trampoline_kernelINS0_13select_configILj256ELj13ELNS0_17block_load_methodE3ELS4_3ELS4_3ELNS0_20block_scan_algorithmE0ELj4294967295EEENS1_25partition_config_selectorILNS1_17partition_subalgoE4EjNS0_10empty_typeEbEEZZNS1_14partition_implILS8_4ELb0ES6_15HIP_vector_typeIjLj2EENS0_17counting_iteratorIjlEEPS9_SG_NS0_5tupleIJPjSI_NS0_16reverse_iteratorISI_EEEEENSH_IJSG_SG_SG_EEES9_SI_JZNS1_25segmented_radix_sort_implINS0_14default_configELb1EPKsPsPKlPlN2at6native12_GLOBAL__N_18offset_tEEE10hipError_tPvRmT1_PNSt15iterator_traitsIS12_E10value_typeET2_T3_PNS13_IS18_E10value_typeET4_jRbjT5_S1E_jjP12ihipStream_tbEUljE_ZNSN_ISO_Lb1ESQ_SR_ST_SU_SY_EESZ_S10_S11_S12_S16_S17_S18_S1B_S1C_jS1D_jS1E_S1E_jjS1G_bEUljE0_EEESZ_S10_S11_S18_S1C_S1E_T6_T7_T9_mT8_S1G_bDpT10_ENKUlT_T0_E_clISt17integral_constantIbLb1EES1U_EEDaS1P_S1Q_EUlS1P_E_NS1_11comp_targetILNS1_3genE8ELNS1_11target_archE1030ELNS1_3gpuE2ELNS1_3repE0EEENS1_30default_config_static_selectorELNS0_4arch9wavefront6targetE0EEEvS12_.private_seg_size, 0
	.set _ZN7rocprim17ROCPRIM_400000_NS6detail17trampoline_kernelINS0_13select_configILj256ELj13ELNS0_17block_load_methodE3ELS4_3ELS4_3ELNS0_20block_scan_algorithmE0ELj4294967295EEENS1_25partition_config_selectorILNS1_17partition_subalgoE4EjNS0_10empty_typeEbEEZZNS1_14partition_implILS8_4ELb0ES6_15HIP_vector_typeIjLj2EENS0_17counting_iteratorIjlEEPS9_SG_NS0_5tupleIJPjSI_NS0_16reverse_iteratorISI_EEEEENSH_IJSG_SG_SG_EEES9_SI_JZNS1_25segmented_radix_sort_implINS0_14default_configELb1EPKsPsPKlPlN2at6native12_GLOBAL__N_18offset_tEEE10hipError_tPvRmT1_PNSt15iterator_traitsIS12_E10value_typeET2_T3_PNS13_IS18_E10value_typeET4_jRbjT5_S1E_jjP12ihipStream_tbEUljE_ZNSN_ISO_Lb1ESQ_SR_ST_SU_SY_EESZ_S10_S11_S12_S16_S17_S18_S1B_S1C_jS1D_jS1E_S1E_jjS1G_bEUljE0_EEESZ_S10_S11_S18_S1C_S1E_T6_T7_T9_mT8_S1G_bDpT10_ENKUlT_T0_E_clISt17integral_constantIbLb1EES1U_EEDaS1P_S1Q_EUlS1P_E_NS1_11comp_targetILNS1_3genE8ELNS1_11target_archE1030ELNS1_3gpuE2ELNS1_3repE0EEENS1_30default_config_static_selectorELNS0_4arch9wavefront6targetE0EEEvS12_.uses_vcc, 0
	.set _ZN7rocprim17ROCPRIM_400000_NS6detail17trampoline_kernelINS0_13select_configILj256ELj13ELNS0_17block_load_methodE3ELS4_3ELS4_3ELNS0_20block_scan_algorithmE0ELj4294967295EEENS1_25partition_config_selectorILNS1_17partition_subalgoE4EjNS0_10empty_typeEbEEZZNS1_14partition_implILS8_4ELb0ES6_15HIP_vector_typeIjLj2EENS0_17counting_iteratorIjlEEPS9_SG_NS0_5tupleIJPjSI_NS0_16reverse_iteratorISI_EEEEENSH_IJSG_SG_SG_EEES9_SI_JZNS1_25segmented_radix_sort_implINS0_14default_configELb1EPKsPsPKlPlN2at6native12_GLOBAL__N_18offset_tEEE10hipError_tPvRmT1_PNSt15iterator_traitsIS12_E10value_typeET2_T3_PNS13_IS18_E10value_typeET4_jRbjT5_S1E_jjP12ihipStream_tbEUljE_ZNSN_ISO_Lb1ESQ_SR_ST_SU_SY_EESZ_S10_S11_S12_S16_S17_S18_S1B_S1C_jS1D_jS1E_S1E_jjS1G_bEUljE0_EEESZ_S10_S11_S18_S1C_S1E_T6_T7_T9_mT8_S1G_bDpT10_ENKUlT_T0_E_clISt17integral_constantIbLb1EES1U_EEDaS1P_S1Q_EUlS1P_E_NS1_11comp_targetILNS1_3genE8ELNS1_11target_archE1030ELNS1_3gpuE2ELNS1_3repE0EEENS1_30default_config_static_selectorELNS0_4arch9wavefront6targetE0EEEvS12_.uses_flat_scratch, 0
	.set _ZN7rocprim17ROCPRIM_400000_NS6detail17trampoline_kernelINS0_13select_configILj256ELj13ELNS0_17block_load_methodE3ELS4_3ELS4_3ELNS0_20block_scan_algorithmE0ELj4294967295EEENS1_25partition_config_selectorILNS1_17partition_subalgoE4EjNS0_10empty_typeEbEEZZNS1_14partition_implILS8_4ELb0ES6_15HIP_vector_typeIjLj2EENS0_17counting_iteratorIjlEEPS9_SG_NS0_5tupleIJPjSI_NS0_16reverse_iteratorISI_EEEEENSH_IJSG_SG_SG_EEES9_SI_JZNS1_25segmented_radix_sort_implINS0_14default_configELb1EPKsPsPKlPlN2at6native12_GLOBAL__N_18offset_tEEE10hipError_tPvRmT1_PNSt15iterator_traitsIS12_E10value_typeET2_T3_PNS13_IS18_E10value_typeET4_jRbjT5_S1E_jjP12ihipStream_tbEUljE_ZNSN_ISO_Lb1ESQ_SR_ST_SU_SY_EESZ_S10_S11_S12_S16_S17_S18_S1B_S1C_jS1D_jS1E_S1E_jjS1G_bEUljE0_EEESZ_S10_S11_S18_S1C_S1E_T6_T7_T9_mT8_S1G_bDpT10_ENKUlT_T0_E_clISt17integral_constantIbLb1EES1U_EEDaS1P_S1Q_EUlS1P_E_NS1_11comp_targetILNS1_3genE8ELNS1_11target_archE1030ELNS1_3gpuE2ELNS1_3repE0EEENS1_30default_config_static_selectorELNS0_4arch9wavefront6targetE0EEEvS12_.has_dyn_sized_stack, 0
	.set _ZN7rocprim17ROCPRIM_400000_NS6detail17trampoline_kernelINS0_13select_configILj256ELj13ELNS0_17block_load_methodE3ELS4_3ELS4_3ELNS0_20block_scan_algorithmE0ELj4294967295EEENS1_25partition_config_selectorILNS1_17partition_subalgoE4EjNS0_10empty_typeEbEEZZNS1_14partition_implILS8_4ELb0ES6_15HIP_vector_typeIjLj2EENS0_17counting_iteratorIjlEEPS9_SG_NS0_5tupleIJPjSI_NS0_16reverse_iteratorISI_EEEEENSH_IJSG_SG_SG_EEES9_SI_JZNS1_25segmented_radix_sort_implINS0_14default_configELb1EPKsPsPKlPlN2at6native12_GLOBAL__N_18offset_tEEE10hipError_tPvRmT1_PNSt15iterator_traitsIS12_E10value_typeET2_T3_PNS13_IS18_E10value_typeET4_jRbjT5_S1E_jjP12ihipStream_tbEUljE_ZNSN_ISO_Lb1ESQ_SR_ST_SU_SY_EESZ_S10_S11_S12_S16_S17_S18_S1B_S1C_jS1D_jS1E_S1E_jjS1G_bEUljE0_EEESZ_S10_S11_S18_S1C_S1E_T6_T7_T9_mT8_S1G_bDpT10_ENKUlT_T0_E_clISt17integral_constantIbLb1EES1U_EEDaS1P_S1Q_EUlS1P_E_NS1_11comp_targetILNS1_3genE8ELNS1_11target_archE1030ELNS1_3gpuE2ELNS1_3repE0EEENS1_30default_config_static_selectorELNS0_4arch9wavefront6targetE0EEEvS12_.has_recursion, 0
	.set _ZN7rocprim17ROCPRIM_400000_NS6detail17trampoline_kernelINS0_13select_configILj256ELj13ELNS0_17block_load_methodE3ELS4_3ELS4_3ELNS0_20block_scan_algorithmE0ELj4294967295EEENS1_25partition_config_selectorILNS1_17partition_subalgoE4EjNS0_10empty_typeEbEEZZNS1_14partition_implILS8_4ELb0ES6_15HIP_vector_typeIjLj2EENS0_17counting_iteratorIjlEEPS9_SG_NS0_5tupleIJPjSI_NS0_16reverse_iteratorISI_EEEEENSH_IJSG_SG_SG_EEES9_SI_JZNS1_25segmented_radix_sort_implINS0_14default_configELb1EPKsPsPKlPlN2at6native12_GLOBAL__N_18offset_tEEE10hipError_tPvRmT1_PNSt15iterator_traitsIS12_E10value_typeET2_T3_PNS13_IS18_E10value_typeET4_jRbjT5_S1E_jjP12ihipStream_tbEUljE_ZNSN_ISO_Lb1ESQ_SR_ST_SU_SY_EESZ_S10_S11_S12_S16_S17_S18_S1B_S1C_jS1D_jS1E_S1E_jjS1G_bEUljE0_EEESZ_S10_S11_S18_S1C_S1E_T6_T7_T9_mT8_S1G_bDpT10_ENKUlT_T0_E_clISt17integral_constantIbLb1EES1U_EEDaS1P_S1Q_EUlS1P_E_NS1_11comp_targetILNS1_3genE8ELNS1_11target_archE1030ELNS1_3gpuE2ELNS1_3repE0EEENS1_30default_config_static_selectorELNS0_4arch9wavefront6targetE0EEEvS12_.has_indirect_call, 0
	.section	.AMDGPU.csdata,"",@progbits
; Kernel info:
; codeLenInByte = 0
; TotalNumSgprs: 0
; NumVgprs: 0
; ScratchSize: 0
; MemoryBound: 0
; FloatMode: 240
; IeeeMode: 1
; LDSByteSize: 0 bytes/workgroup (compile time only)
; SGPRBlocks: 0
; VGPRBlocks: 0
; NumSGPRsForWavesPerEU: 1
; NumVGPRsForWavesPerEU: 1
; Occupancy: 16
; WaveLimiterHint : 0
; COMPUTE_PGM_RSRC2:SCRATCH_EN: 0
; COMPUTE_PGM_RSRC2:USER_SGPR: 2
; COMPUTE_PGM_RSRC2:TRAP_HANDLER: 0
; COMPUTE_PGM_RSRC2:TGID_X_EN: 1
; COMPUTE_PGM_RSRC2:TGID_Y_EN: 0
; COMPUTE_PGM_RSRC2:TGID_Z_EN: 0
; COMPUTE_PGM_RSRC2:TIDIG_COMP_CNT: 0
	.section	.text._ZN7rocprim17ROCPRIM_400000_NS6detail17trampoline_kernelINS0_13select_configILj256ELj13ELNS0_17block_load_methodE3ELS4_3ELS4_3ELNS0_20block_scan_algorithmE0ELj4294967295EEENS1_25partition_config_selectorILNS1_17partition_subalgoE4EjNS0_10empty_typeEbEEZZNS1_14partition_implILS8_4ELb0ES6_15HIP_vector_typeIjLj2EENS0_17counting_iteratorIjlEEPS9_SG_NS0_5tupleIJPjSI_NS0_16reverse_iteratorISI_EEEEENSH_IJSG_SG_SG_EEES9_SI_JZNS1_25segmented_radix_sort_implINS0_14default_configELb1EPKsPsPKlPlN2at6native12_GLOBAL__N_18offset_tEEE10hipError_tPvRmT1_PNSt15iterator_traitsIS12_E10value_typeET2_T3_PNS13_IS18_E10value_typeET4_jRbjT5_S1E_jjP12ihipStream_tbEUljE_ZNSN_ISO_Lb1ESQ_SR_ST_SU_SY_EESZ_S10_S11_S12_S16_S17_S18_S1B_S1C_jS1D_jS1E_S1E_jjS1G_bEUljE0_EEESZ_S10_S11_S18_S1C_S1E_T6_T7_T9_mT8_S1G_bDpT10_ENKUlT_T0_E_clISt17integral_constantIbLb1EES1T_IbLb0EEEEDaS1P_S1Q_EUlS1P_E_NS1_11comp_targetILNS1_3genE0ELNS1_11target_archE4294967295ELNS1_3gpuE0ELNS1_3repE0EEENS1_30default_config_static_selectorELNS0_4arch9wavefront6targetE0EEEvS12_,"axG",@progbits,_ZN7rocprim17ROCPRIM_400000_NS6detail17trampoline_kernelINS0_13select_configILj256ELj13ELNS0_17block_load_methodE3ELS4_3ELS4_3ELNS0_20block_scan_algorithmE0ELj4294967295EEENS1_25partition_config_selectorILNS1_17partition_subalgoE4EjNS0_10empty_typeEbEEZZNS1_14partition_implILS8_4ELb0ES6_15HIP_vector_typeIjLj2EENS0_17counting_iteratorIjlEEPS9_SG_NS0_5tupleIJPjSI_NS0_16reverse_iteratorISI_EEEEENSH_IJSG_SG_SG_EEES9_SI_JZNS1_25segmented_radix_sort_implINS0_14default_configELb1EPKsPsPKlPlN2at6native12_GLOBAL__N_18offset_tEEE10hipError_tPvRmT1_PNSt15iterator_traitsIS12_E10value_typeET2_T3_PNS13_IS18_E10value_typeET4_jRbjT5_S1E_jjP12ihipStream_tbEUljE_ZNSN_ISO_Lb1ESQ_SR_ST_SU_SY_EESZ_S10_S11_S12_S16_S17_S18_S1B_S1C_jS1D_jS1E_S1E_jjS1G_bEUljE0_EEESZ_S10_S11_S18_S1C_S1E_T6_T7_T9_mT8_S1G_bDpT10_ENKUlT_T0_E_clISt17integral_constantIbLb1EES1T_IbLb0EEEEDaS1P_S1Q_EUlS1P_E_NS1_11comp_targetILNS1_3genE0ELNS1_11target_archE4294967295ELNS1_3gpuE0ELNS1_3repE0EEENS1_30default_config_static_selectorELNS0_4arch9wavefront6targetE0EEEvS12_,comdat
	.globl	_ZN7rocprim17ROCPRIM_400000_NS6detail17trampoline_kernelINS0_13select_configILj256ELj13ELNS0_17block_load_methodE3ELS4_3ELS4_3ELNS0_20block_scan_algorithmE0ELj4294967295EEENS1_25partition_config_selectorILNS1_17partition_subalgoE4EjNS0_10empty_typeEbEEZZNS1_14partition_implILS8_4ELb0ES6_15HIP_vector_typeIjLj2EENS0_17counting_iteratorIjlEEPS9_SG_NS0_5tupleIJPjSI_NS0_16reverse_iteratorISI_EEEEENSH_IJSG_SG_SG_EEES9_SI_JZNS1_25segmented_radix_sort_implINS0_14default_configELb1EPKsPsPKlPlN2at6native12_GLOBAL__N_18offset_tEEE10hipError_tPvRmT1_PNSt15iterator_traitsIS12_E10value_typeET2_T3_PNS13_IS18_E10value_typeET4_jRbjT5_S1E_jjP12ihipStream_tbEUljE_ZNSN_ISO_Lb1ESQ_SR_ST_SU_SY_EESZ_S10_S11_S12_S16_S17_S18_S1B_S1C_jS1D_jS1E_S1E_jjS1G_bEUljE0_EEESZ_S10_S11_S18_S1C_S1E_T6_T7_T9_mT8_S1G_bDpT10_ENKUlT_T0_E_clISt17integral_constantIbLb1EES1T_IbLb0EEEEDaS1P_S1Q_EUlS1P_E_NS1_11comp_targetILNS1_3genE0ELNS1_11target_archE4294967295ELNS1_3gpuE0ELNS1_3repE0EEENS1_30default_config_static_selectorELNS0_4arch9wavefront6targetE0EEEvS12_ ; -- Begin function _ZN7rocprim17ROCPRIM_400000_NS6detail17trampoline_kernelINS0_13select_configILj256ELj13ELNS0_17block_load_methodE3ELS4_3ELS4_3ELNS0_20block_scan_algorithmE0ELj4294967295EEENS1_25partition_config_selectorILNS1_17partition_subalgoE4EjNS0_10empty_typeEbEEZZNS1_14partition_implILS8_4ELb0ES6_15HIP_vector_typeIjLj2EENS0_17counting_iteratorIjlEEPS9_SG_NS0_5tupleIJPjSI_NS0_16reverse_iteratorISI_EEEEENSH_IJSG_SG_SG_EEES9_SI_JZNS1_25segmented_radix_sort_implINS0_14default_configELb1EPKsPsPKlPlN2at6native12_GLOBAL__N_18offset_tEEE10hipError_tPvRmT1_PNSt15iterator_traitsIS12_E10value_typeET2_T3_PNS13_IS18_E10value_typeET4_jRbjT5_S1E_jjP12ihipStream_tbEUljE_ZNSN_ISO_Lb1ESQ_SR_ST_SU_SY_EESZ_S10_S11_S12_S16_S17_S18_S1B_S1C_jS1D_jS1E_S1E_jjS1G_bEUljE0_EEESZ_S10_S11_S18_S1C_S1E_T6_T7_T9_mT8_S1G_bDpT10_ENKUlT_T0_E_clISt17integral_constantIbLb1EES1T_IbLb0EEEEDaS1P_S1Q_EUlS1P_E_NS1_11comp_targetILNS1_3genE0ELNS1_11target_archE4294967295ELNS1_3gpuE0ELNS1_3repE0EEENS1_30default_config_static_selectorELNS0_4arch9wavefront6targetE0EEEvS12_
	.p2align	8
	.type	_ZN7rocprim17ROCPRIM_400000_NS6detail17trampoline_kernelINS0_13select_configILj256ELj13ELNS0_17block_load_methodE3ELS4_3ELS4_3ELNS0_20block_scan_algorithmE0ELj4294967295EEENS1_25partition_config_selectorILNS1_17partition_subalgoE4EjNS0_10empty_typeEbEEZZNS1_14partition_implILS8_4ELb0ES6_15HIP_vector_typeIjLj2EENS0_17counting_iteratorIjlEEPS9_SG_NS0_5tupleIJPjSI_NS0_16reverse_iteratorISI_EEEEENSH_IJSG_SG_SG_EEES9_SI_JZNS1_25segmented_radix_sort_implINS0_14default_configELb1EPKsPsPKlPlN2at6native12_GLOBAL__N_18offset_tEEE10hipError_tPvRmT1_PNSt15iterator_traitsIS12_E10value_typeET2_T3_PNS13_IS18_E10value_typeET4_jRbjT5_S1E_jjP12ihipStream_tbEUljE_ZNSN_ISO_Lb1ESQ_SR_ST_SU_SY_EESZ_S10_S11_S12_S16_S17_S18_S1B_S1C_jS1D_jS1E_S1E_jjS1G_bEUljE0_EEESZ_S10_S11_S18_S1C_S1E_T6_T7_T9_mT8_S1G_bDpT10_ENKUlT_T0_E_clISt17integral_constantIbLb1EES1T_IbLb0EEEEDaS1P_S1Q_EUlS1P_E_NS1_11comp_targetILNS1_3genE0ELNS1_11target_archE4294967295ELNS1_3gpuE0ELNS1_3repE0EEENS1_30default_config_static_selectorELNS0_4arch9wavefront6targetE0EEEvS12_,@function
_ZN7rocprim17ROCPRIM_400000_NS6detail17trampoline_kernelINS0_13select_configILj256ELj13ELNS0_17block_load_methodE3ELS4_3ELS4_3ELNS0_20block_scan_algorithmE0ELj4294967295EEENS1_25partition_config_selectorILNS1_17partition_subalgoE4EjNS0_10empty_typeEbEEZZNS1_14partition_implILS8_4ELb0ES6_15HIP_vector_typeIjLj2EENS0_17counting_iteratorIjlEEPS9_SG_NS0_5tupleIJPjSI_NS0_16reverse_iteratorISI_EEEEENSH_IJSG_SG_SG_EEES9_SI_JZNS1_25segmented_radix_sort_implINS0_14default_configELb1EPKsPsPKlPlN2at6native12_GLOBAL__N_18offset_tEEE10hipError_tPvRmT1_PNSt15iterator_traitsIS12_E10value_typeET2_T3_PNS13_IS18_E10value_typeET4_jRbjT5_S1E_jjP12ihipStream_tbEUljE_ZNSN_ISO_Lb1ESQ_SR_ST_SU_SY_EESZ_S10_S11_S12_S16_S17_S18_S1B_S1C_jS1D_jS1E_S1E_jjS1G_bEUljE0_EEESZ_S10_S11_S18_S1C_S1E_T6_T7_T9_mT8_S1G_bDpT10_ENKUlT_T0_E_clISt17integral_constantIbLb1EES1T_IbLb0EEEEDaS1P_S1Q_EUlS1P_E_NS1_11comp_targetILNS1_3genE0ELNS1_11target_archE4294967295ELNS1_3gpuE0ELNS1_3repE0EEENS1_30default_config_static_selectorELNS0_4arch9wavefront6targetE0EEEvS12_: ; @_ZN7rocprim17ROCPRIM_400000_NS6detail17trampoline_kernelINS0_13select_configILj256ELj13ELNS0_17block_load_methodE3ELS4_3ELS4_3ELNS0_20block_scan_algorithmE0ELj4294967295EEENS1_25partition_config_selectorILNS1_17partition_subalgoE4EjNS0_10empty_typeEbEEZZNS1_14partition_implILS8_4ELb0ES6_15HIP_vector_typeIjLj2EENS0_17counting_iteratorIjlEEPS9_SG_NS0_5tupleIJPjSI_NS0_16reverse_iteratorISI_EEEEENSH_IJSG_SG_SG_EEES9_SI_JZNS1_25segmented_radix_sort_implINS0_14default_configELb1EPKsPsPKlPlN2at6native12_GLOBAL__N_18offset_tEEE10hipError_tPvRmT1_PNSt15iterator_traitsIS12_E10value_typeET2_T3_PNS13_IS18_E10value_typeET4_jRbjT5_S1E_jjP12ihipStream_tbEUljE_ZNSN_ISO_Lb1ESQ_SR_ST_SU_SY_EESZ_S10_S11_S12_S16_S17_S18_S1B_S1C_jS1D_jS1E_S1E_jjS1G_bEUljE0_EEESZ_S10_S11_S18_S1C_S1E_T6_T7_T9_mT8_S1G_bDpT10_ENKUlT_T0_E_clISt17integral_constantIbLb1EES1T_IbLb0EEEEDaS1P_S1Q_EUlS1P_E_NS1_11comp_targetILNS1_3genE0ELNS1_11target_archE4294967295ELNS1_3gpuE0ELNS1_3repE0EEENS1_30default_config_static_selectorELNS0_4arch9wavefront6targetE0EEEvS12_
; %bb.0:
	.section	.rodata,"a",@progbits
	.p2align	6, 0x0
	.amdhsa_kernel _ZN7rocprim17ROCPRIM_400000_NS6detail17trampoline_kernelINS0_13select_configILj256ELj13ELNS0_17block_load_methodE3ELS4_3ELS4_3ELNS0_20block_scan_algorithmE0ELj4294967295EEENS1_25partition_config_selectorILNS1_17partition_subalgoE4EjNS0_10empty_typeEbEEZZNS1_14partition_implILS8_4ELb0ES6_15HIP_vector_typeIjLj2EENS0_17counting_iteratorIjlEEPS9_SG_NS0_5tupleIJPjSI_NS0_16reverse_iteratorISI_EEEEENSH_IJSG_SG_SG_EEES9_SI_JZNS1_25segmented_radix_sort_implINS0_14default_configELb1EPKsPsPKlPlN2at6native12_GLOBAL__N_18offset_tEEE10hipError_tPvRmT1_PNSt15iterator_traitsIS12_E10value_typeET2_T3_PNS13_IS18_E10value_typeET4_jRbjT5_S1E_jjP12ihipStream_tbEUljE_ZNSN_ISO_Lb1ESQ_SR_ST_SU_SY_EESZ_S10_S11_S12_S16_S17_S18_S1B_S1C_jS1D_jS1E_S1E_jjS1G_bEUljE0_EEESZ_S10_S11_S18_S1C_S1E_T6_T7_T9_mT8_S1G_bDpT10_ENKUlT_T0_E_clISt17integral_constantIbLb1EES1T_IbLb0EEEEDaS1P_S1Q_EUlS1P_E_NS1_11comp_targetILNS1_3genE0ELNS1_11target_archE4294967295ELNS1_3gpuE0ELNS1_3repE0EEENS1_30default_config_static_selectorELNS0_4arch9wavefront6targetE0EEEvS12_
		.amdhsa_group_segment_fixed_size 0
		.amdhsa_private_segment_fixed_size 0
		.amdhsa_kernarg_size 176
		.amdhsa_user_sgpr_count 2
		.amdhsa_user_sgpr_dispatch_ptr 0
		.amdhsa_user_sgpr_queue_ptr 0
		.amdhsa_user_sgpr_kernarg_segment_ptr 1
		.amdhsa_user_sgpr_dispatch_id 0
		.amdhsa_user_sgpr_private_segment_size 0
		.amdhsa_wavefront_size32 1
		.amdhsa_uses_dynamic_stack 0
		.amdhsa_enable_private_segment 0
		.amdhsa_system_sgpr_workgroup_id_x 1
		.amdhsa_system_sgpr_workgroup_id_y 0
		.amdhsa_system_sgpr_workgroup_id_z 0
		.amdhsa_system_sgpr_workgroup_info 0
		.amdhsa_system_vgpr_workitem_id 0
		.amdhsa_next_free_vgpr 1
		.amdhsa_next_free_sgpr 1
		.amdhsa_reserve_vcc 0
		.amdhsa_float_round_mode_32 0
		.amdhsa_float_round_mode_16_64 0
		.amdhsa_float_denorm_mode_32 3
		.amdhsa_float_denorm_mode_16_64 3
		.amdhsa_fp16_overflow 0
		.amdhsa_workgroup_processor_mode 1
		.amdhsa_memory_ordered 1
		.amdhsa_forward_progress 1
		.amdhsa_inst_pref_size 0
		.amdhsa_round_robin_scheduling 0
		.amdhsa_exception_fp_ieee_invalid_op 0
		.amdhsa_exception_fp_denorm_src 0
		.amdhsa_exception_fp_ieee_div_zero 0
		.amdhsa_exception_fp_ieee_overflow 0
		.amdhsa_exception_fp_ieee_underflow 0
		.amdhsa_exception_fp_ieee_inexact 0
		.amdhsa_exception_int_div_zero 0
	.end_amdhsa_kernel
	.section	.text._ZN7rocprim17ROCPRIM_400000_NS6detail17trampoline_kernelINS0_13select_configILj256ELj13ELNS0_17block_load_methodE3ELS4_3ELS4_3ELNS0_20block_scan_algorithmE0ELj4294967295EEENS1_25partition_config_selectorILNS1_17partition_subalgoE4EjNS0_10empty_typeEbEEZZNS1_14partition_implILS8_4ELb0ES6_15HIP_vector_typeIjLj2EENS0_17counting_iteratorIjlEEPS9_SG_NS0_5tupleIJPjSI_NS0_16reverse_iteratorISI_EEEEENSH_IJSG_SG_SG_EEES9_SI_JZNS1_25segmented_radix_sort_implINS0_14default_configELb1EPKsPsPKlPlN2at6native12_GLOBAL__N_18offset_tEEE10hipError_tPvRmT1_PNSt15iterator_traitsIS12_E10value_typeET2_T3_PNS13_IS18_E10value_typeET4_jRbjT5_S1E_jjP12ihipStream_tbEUljE_ZNSN_ISO_Lb1ESQ_SR_ST_SU_SY_EESZ_S10_S11_S12_S16_S17_S18_S1B_S1C_jS1D_jS1E_S1E_jjS1G_bEUljE0_EEESZ_S10_S11_S18_S1C_S1E_T6_T7_T9_mT8_S1G_bDpT10_ENKUlT_T0_E_clISt17integral_constantIbLb1EES1T_IbLb0EEEEDaS1P_S1Q_EUlS1P_E_NS1_11comp_targetILNS1_3genE0ELNS1_11target_archE4294967295ELNS1_3gpuE0ELNS1_3repE0EEENS1_30default_config_static_selectorELNS0_4arch9wavefront6targetE0EEEvS12_,"axG",@progbits,_ZN7rocprim17ROCPRIM_400000_NS6detail17trampoline_kernelINS0_13select_configILj256ELj13ELNS0_17block_load_methodE3ELS4_3ELS4_3ELNS0_20block_scan_algorithmE0ELj4294967295EEENS1_25partition_config_selectorILNS1_17partition_subalgoE4EjNS0_10empty_typeEbEEZZNS1_14partition_implILS8_4ELb0ES6_15HIP_vector_typeIjLj2EENS0_17counting_iteratorIjlEEPS9_SG_NS0_5tupleIJPjSI_NS0_16reverse_iteratorISI_EEEEENSH_IJSG_SG_SG_EEES9_SI_JZNS1_25segmented_radix_sort_implINS0_14default_configELb1EPKsPsPKlPlN2at6native12_GLOBAL__N_18offset_tEEE10hipError_tPvRmT1_PNSt15iterator_traitsIS12_E10value_typeET2_T3_PNS13_IS18_E10value_typeET4_jRbjT5_S1E_jjP12ihipStream_tbEUljE_ZNSN_ISO_Lb1ESQ_SR_ST_SU_SY_EESZ_S10_S11_S12_S16_S17_S18_S1B_S1C_jS1D_jS1E_S1E_jjS1G_bEUljE0_EEESZ_S10_S11_S18_S1C_S1E_T6_T7_T9_mT8_S1G_bDpT10_ENKUlT_T0_E_clISt17integral_constantIbLb1EES1T_IbLb0EEEEDaS1P_S1Q_EUlS1P_E_NS1_11comp_targetILNS1_3genE0ELNS1_11target_archE4294967295ELNS1_3gpuE0ELNS1_3repE0EEENS1_30default_config_static_selectorELNS0_4arch9wavefront6targetE0EEEvS12_,comdat
.Lfunc_end863:
	.size	_ZN7rocprim17ROCPRIM_400000_NS6detail17trampoline_kernelINS0_13select_configILj256ELj13ELNS0_17block_load_methodE3ELS4_3ELS4_3ELNS0_20block_scan_algorithmE0ELj4294967295EEENS1_25partition_config_selectorILNS1_17partition_subalgoE4EjNS0_10empty_typeEbEEZZNS1_14partition_implILS8_4ELb0ES6_15HIP_vector_typeIjLj2EENS0_17counting_iteratorIjlEEPS9_SG_NS0_5tupleIJPjSI_NS0_16reverse_iteratorISI_EEEEENSH_IJSG_SG_SG_EEES9_SI_JZNS1_25segmented_radix_sort_implINS0_14default_configELb1EPKsPsPKlPlN2at6native12_GLOBAL__N_18offset_tEEE10hipError_tPvRmT1_PNSt15iterator_traitsIS12_E10value_typeET2_T3_PNS13_IS18_E10value_typeET4_jRbjT5_S1E_jjP12ihipStream_tbEUljE_ZNSN_ISO_Lb1ESQ_SR_ST_SU_SY_EESZ_S10_S11_S12_S16_S17_S18_S1B_S1C_jS1D_jS1E_S1E_jjS1G_bEUljE0_EEESZ_S10_S11_S18_S1C_S1E_T6_T7_T9_mT8_S1G_bDpT10_ENKUlT_T0_E_clISt17integral_constantIbLb1EES1T_IbLb0EEEEDaS1P_S1Q_EUlS1P_E_NS1_11comp_targetILNS1_3genE0ELNS1_11target_archE4294967295ELNS1_3gpuE0ELNS1_3repE0EEENS1_30default_config_static_selectorELNS0_4arch9wavefront6targetE0EEEvS12_, .Lfunc_end863-_ZN7rocprim17ROCPRIM_400000_NS6detail17trampoline_kernelINS0_13select_configILj256ELj13ELNS0_17block_load_methodE3ELS4_3ELS4_3ELNS0_20block_scan_algorithmE0ELj4294967295EEENS1_25partition_config_selectorILNS1_17partition_subalgoE4EjNS0_10empty_typeEbEEZZNS1_14partition_implILS8_4ELb0ES6_15HIP_vector_typeIjLj2EENS0_17counting_iteratorIjlEEPS9_SG_NS0_5tupleIJPjSI_NS0_16reverse_iteratorISI_EEEEENSH_IJSG_SG_SG_EEES9_SI_JZNS1_25segmented_radix_sort_implINS0_14default_configELb1EPKsPsPKlPlN2at6native12_GLOBAL__N_18offset_tEEE10hipError_tPvRmT1_PNSt15iterator_traitsIS12_E10value_typeET2_T3_PNS13_IS18_E10value_typeET4_jRbjT5_S1E_jjP12ihipStream_tbEUljE_ZNSN_ISO_Lb1ESQ_SR_ST_SU_SY_EESZ_S10_S11_S12_S16_S17_S18_S1B_S1C_jS1D_jS1E_S1E_jjS1G_bEUljE0_EEESZ_S10_S11_S18_S1C_S1E_T6_T7_T9_mT8_S1G_bDpT10_ENKUlT_T0_E_clISt17integral_constantIbLb1EES1T_IbLb0EEEEDaS1P_S1Q_EUlS1P_E_NS1_11comp_targetILNS1_3genE0ELNS1_11target_archE4294967295ELNS1_3gpuE0ELNS1_3repE0EEENS1_30default_config_static_selectorELNS0_4arch9wavefront6targetE0EEEvS12_
                                        ; -- End function
	.set _ZN7rocprim17ROCPRIM_400000_NS6detail17trampoline_kernelINS0_13select_configILj256ELj13ELNS0_17block_load_methodE3ELS4_3ELS4_3ELNS0_20block_scan_algorithmE0ELj4294967295EEENS1_25partition_config_selectorILNS1_17partition_subalgoE4EjNS0_10empty_typeEbEEZZNS1_14partition_implILS8_4ELb0ES6_15HIP_vector_typeIjLj2EENS0_17counting_iteratorIjlEEPS9_SG_NS0_5tupleIJPjSI_NS0_16reverse_iteratorISI_EEEEENSH_IJSG_SG_SG_EEES9_SI_JZNS1_25segmented_radix_sort_implINS0_14default_configELb1EPKsPsPKlPlN2at6native12_GLOBAL__N_18offset_tEEE10hipError_tPvRmT1_PNSt15iterator_traitsIS12_E10value_typeET2_T3_PNS13_IS18_E10value_typeET4_jRbjT5_S1E_jjP12ihipStream_tbEUljE_ZNSN_ISO_Lb1ESQ_SR_ST_SU_SY_EESZ_S10_S11_S12_S16_S17_S18_S1B_S1C_jS1D_jS1E_S1E_jjS1G_bEUljE0_EEESZ_S10_S11_S18_S1C_S1E_T6_T7_T9_mT8_S1G_bDpT10_ENKUlT_T0_E_clISt17integral_constantIbLb1EES1T_IbLb0EEEEDaS1P_S1Q_EUlS1P_E_NS1_11comp_targetILNS1_3genE0ELNS1_11target_archE4294967295ELNS1_3gpuE0ELNS1_3repE0EEENS1_30default_config_static_selectorELNS0_4arch9wavefront6targetE0EEEvS12_.num_vgpr, 0
	.set _ZN7rocprim17ROCPRIM_400000_NS6detail17trampoline_kernelINS0_13select_configILj256ELj13ELNS0_17block_load_methodE3ELS4_3ELS4_3ELNS0_20block_scan_algorithmE0ELj4294967295EEENS1_25partition_config_selectorILNS1_17partition_subalgoE4EjNS0_10empty_typeEbEEZZNS1_14partition_implILS8_4ELb0ES6_15HIP_vector_typeIjLj2EENS0_17counting_iteratorIjlEEPS9_SG_NS0_5tupleIJPjSI_NS0_16reverse_iteratorISI_EEEEENSH_IJSG_SG_SG_EEES9_SI_JZNS1_25segmented_radix_sort_implINS0_14default_configELb1EPKsPsPKlPlN2at6native12_GLOBAL__N_18offset_tEEE10hipError_tPvRmT1_PNSt15iterator_traitsIS12_E10value_typeET2_T3_PNS13_IS18_E10value_typeET4_jRbjT5_S1E_jjP12ihipStream_tbEUljE_ZNSN_ISO_Lb1ESQ_SR_ST_SU_SY_EESZ_S10_S11_S12_S16_S17_S18_S1B_S1C_jS1D_jS1E_S1E_jjS1G_bEUljE0_EEESZ_S10_S11_S18_S1C_S1E_T6_T7_T9_mT8_S1G_bDpT10_ENKUlT_T0_E_clISt17integral_constantIbLb1EES1T_IbLb0EEEEDaS1P_S1Q_EUlS1P_E_NS1_11comp_targetILNS1_3genE0ELNS1_11target_archE4294967295ELNS1_3gpuE0ELNS1_3repE0EEENS1_30default_config_static_selectorELNS0_4arch9wavefront6targetE0EEEvS12_.num_agpr, 0
	.set _ZN7rocprim17ROCPRIM_400000_NS6detail17trampoline_kernelINS0_13select_configILj256ELj13ELNS0_17block_load_methodE3ELS4_3ELS4_3ELNS0_20block_scan_algorithmE0ELj4294967295EEENS1_25partition_config_selectorILNS1_17partition_subalgoE4EjNS0_10empty_typeEbEEZZNS1_14partition_implILS8_4ELb0ES6_15HIP_vector_typeIjLj2EENS0_17counting_iteratorIjlEEPS9_SG_NS0_5tupleIJPjSI_NS0_16reverse_iteratorISI_EEEEENSH_IJSG_SG_SG_EEES9_SI_JZNS1_25segmented_radix_sort_implINS0_14default_configELb1EPKsPsPKlPlN2at6native12_GLOBAL__N_18offset_tEEE10hipError_tPvRmT1_PNSt15iterator_traitsIS12_E10value_typeET2_T3_PNS13_IS18_E10value_typeET4_jRbjT5_S1E_jjP12ihipStream_tbEUljE_ZNSN_ISO_Lb1ESQ_SR_ST_SU_SY_EESZ_S10_S11_S12_S16_S17_S18_S1B_S1C_jS1D_jS1E_S1E_jjS1G_bEUljE0_EEESZ_S10_S11_S18_S1C_S1E_T6_T7_T9_mT8_S1G_bDpT10_ENKUlT_T0_E_clISt17integral_constantIbLb1EES1T_IbLb0EEEEDaS1P_S1Q_EUlS1P_E_NS1_11comp_targetILNS1_3genE0ELNS1_11target_archE4294967295ELNS1_3gpuE0ELNS1_3repE0EEENS1_30default_config_static_selectorELNS0_4arch9wavefront6targetE0EEEvS12_.numbered_sgpr, 0
	.set _ZN7rocprim17ROCPRIM_400000_NS6detail17trampoline_kernelINS0_13select_configILj256ELj13ELNS0_17block_load_methodE3ELS4_3ELS4_3ELNS0_20block_scan_algorithmE0ELj4294967295EEENS1_25partition_config_selectorILNS1_17partition_subalgoE4EjNS0_10empty_typeEbEEZZNS1_14partition_implILS8_4ELb0ES6_15HIP_vector_typeIjLj2EENS0_17counting_iteratorIjlEEPS9_SG_NS0_5tupleIJPjSI_NS0_16reverse_iteratorISI_EEEEENSH_IJSG_SG_SG_EEES9_SI_JZNS1_25segmented_radix_sort_implINS0_14default_configELb1EPKsPsPKlPlN2at6native12_GLOBAL__N_18offset_tEEE10hipError_tPvRmT1_PNSt15iterator_traitsIS12_E10value_typeET2_T3_PNS13_IS18_E10value_typeET4_jRbjT5_S1E_jjP12ihipStream_tbEUljE_ZNSN_ISO_Lb1ESQ_SR_ST_SU_SY_EESZ_S10_S11_S12_S16_S17_S18_S1B_S1C_jS1D_jS1E_S1E_jjS1G_bEUljE0_EEESZ_S10_S11_S18_S1C_S1E_T6_T7_T9_mT8_S1G_bDpT10_ENKUlT_T0_E_clISt17integral_constantIbLb1EES1T_IbLb0EEEEDaS1P_S1Q_EUlS1P_E_NS1_11comp_targetILNS1_3genE0ELNS1_11target_archE4294967295ELNS1_3gpuE0ELNS1_3repE0EEENS1_30default_config_static_selectorELNS0_4arch9wavefront6targetE0EEEvS12_.num_named_barrier, 0
	.set _ZN7rocprim17ROCPRIM_400000_NS6detail17trampoline_kernelINS0_13select_configILj256ELj13ELNS0_17block_load_methodE3ELS4_3ELS4_3ELNS0_20block_scan_algorithmE0ELj4294967295EEENS1_25partition_config_selectorILNS1_17partition_subalgoE4EjNS0_10empty_typeEbEEZZNS1_14partition_implILS8_4ELb0ES6_15HIP_vector_typeIjLj2EENS0_17counting_iteratorIjlEEPS9_SG_NS0_5tupleIJPjSI_NS0_16reverse_iteratorISI_EEEEENSH_IJSG_SG_SG_EEES9_SI_JZNS1_25segmented_radix_sort_implINS0_14default_configELb1EPKsPsPKlPlN2at6native12_GLOBAL__N_18offset_tEEE10hipError_tPvRmT1_PNSt15iterator_traitsIS12_E10value_typeET2_T3_PNS13_IS18_E10value_typeET4_jRbjT5_S1E_jjP12ihipStream_tbEUljE_ZNSN_ISO_Lb1ESQ_SR_ST_SU_SY_EESZ_S10_S11_S12_S16_S17_S18_S1B_S1C_jS1D_jS1E_S1E_jjS1G_bEUljE0_EEESZ_S10_S11_S18_S1C_S1E_T6_T7_T9_mT8_S1G_bDpT10_ENKUlT_T0_E_clISt17integral_constantIbLb1EES1T_IbLb0EEEEDaS1P_S1Q_EUlS1P_E_NS1_11comp_targetILNS1_3genE0ELNS1_11target_archE4294967295ELNS1_3gpuE0ELNS1_3repE0EEENS1_30default_config_static_selectorELNS0_4arch9wavefront6targetE0EEEvS12_.private_seg_size, 0
	.set _ZN7rocprim17ROCPRIM_400000_NS6detail17trampoline_kernelINS0_13select_configILj256ELj13ELNS0_17block_load_methodE3ELS4_3ELS4_3ELNS0_20block_scan_algorithmE0ELj4294967295EEENS1_25partition_config_selectorILNS1_17partition_subalgoE4EjNS0_10empty_typeEbEEZZNS1_14partition_implILS8_4ELb0ES6_15HIP_vector_typeIjLj2EENS0_17counting_iteratorIjlEEPS9_SG_NS0_5tupleIJPjSI_NS0_16reverse_iteratorISI_EEEEENSH_IJSG_SG_SG_EEES9_SI_JZNS1_25segmented_radix_sort_implINS0_14default_configELb1EPKsPsPKlPlN2at6native12_GLOBAL__N_18offset_tEEE10hipError_tPvRmT1_PNSt15iterator_traitsIS12_E10value_typeET2_T3_PNS13_IS18_E10value_typeET4_jRbjT5_S1E_jjP12ihipStream_tbEUljE_ZNSN_ISO_Lb1ESQ_SR_ST_SU_SY_EESZ_S10_S11_S12_S16_S17_S18_S1B_S1C_jS1D_jS1E_S1E_jjS1G_bEUljE0_EEESZ_S10_S11_S18_S1C_S1E_T6_T7_T9_mT8_S1G_bDpT10_ENKUlT_T0_E_clISt17integral_constantIbLb1EES1T_IbLb0EEEEDaS1P_S1Q_EUlS1P_E_NS1_11comp_targetILNS1_3genE0ELNS1_11target_archE4294967295ELNS1_3gpuE0ELNS1_3repE0EEENS1_30default_config_static_selectorELNS0_4arch9wavefront6targetE0EEEvS12_.uses_vcc, 0
	.set _ZN7rocprim17ROCPRIM_400000_NS6detail17trampoline_kernelINS0_13select_configILj256ELj13ELNS0_17block_load_methodE3ELS4_3ELS4_3ELNS0_20block_scan_algorithmE0ELj4294967295EEENS1_25partition_config_selectorILNS1_17partition_subalgoE4EjNS0_10empty_typeEbEEZZNS1_14partition_implILS8_4ELb0ES6_15HIP_vector_typeIjLj2EENS0_17counting_iteratorIjlEEPS9_SG_NS0_5tupleIJPjSI_NS0_16reverse_iteratorISI_EEEEENSH_IJSG_SG_SG_EEES9_SI_JZNS1_25segmented_radix_sort_implINS0_14default_configELb1EPKsPsPKlPlN2at6native12_GLOBAL__N_18offset_tEEE10hipError_tPvRmT1_PNSt15iterator_traitsIS12_E10value_typeET2_T3_PNS13_IS18_E10value_typeET4_jRbjT5_S1E_jjP12ihipStream_tbEUljE_ZNSN_ISO_Lb1ESQ_SR_ST_SU_SY_EESZ_S10_S11_S12_S16_S17_S18_S1B_S1C_jS1D_jS1E_S1E_jjS1G_bEUljE0_EEESZ_S10_S11_S18_S1C_S1E_T6_T7_T9_mT8_S1G_bDpT10_ENKUlT_T0_E_clISt17integral_constantIbLb1EES1T_IbLb0EEEEDaS1P_S1Q_EUlS1P_E_NS1_11comp_targetILNS1_3genE0ELNS1_11target_archE4294967295ELNS1_3gpuE0ELNS1_3repE0EEENS1_30default_config_static_selectorELNS0_4arch9wavefront6targetE0EEEvS12_.uses_flat_scratch, 0
	.set _ZN7rocprim17ROCPRIM_400000_NS6detail17trampoline_kernelINS0_13select_configILj256ELj13ELNS0_17block_load_methodE3ELS4_3ELS4_3ELNS0_20block_scan_algorithmE0ELj4294967295EEENS1_25partition_config_selectorILNS1_17partition_subalgoE4EjNS0_10empty_typeEbEEZZNS1_14partition_implILS8_4ELb0ES6_15HIP_vector_typeIjLj2EENS0_17counting_iteratorIjlEEPS9_SG_NS0_5tupleIJPjSI_NS0_16reverse_iteratorISI_EEEEENSH_IJSG_SG_SG_EEES9_SI_JZNS1_25segmented_radix_sort_implINS0_14default_configELb1EPKsPsPKlPlN2at6native12_GLOBAL__N_18offset_tEEE10hipError_tPvRmT1_PNSt15iterator_traitsIS12_E10value_typeET2_T3_PNS13_IS18_E10value_typeET4_jRbjT5_S1E_jjP12ihipStream_tbEUljE_ZNSN_ISO_Lb1ESQ_SR_ST_SU_SY_EESZ_S10_S11_S12_S16_S17_S18_S1B_S1C_jS1D_jS1E_S1E_jjS1G_bEUljE0_EEESZ_S10_S11_S18_S1C_S1E_T6_T7_T9_mT8_S1G_bDpT10_ENKUlT_T0_E_clISt17integral_constantIbLb1EES1T_IbLb0EEEEDaS1P_S1Q_EUlS1P_E_NS1_11comp_targetILNS1_3genE0ELNS1_11target_archE4294967295ELNS1_3gpuE0ELNS1_3repE0EEENS1_30default_config_static_selectorELNS0_4arch9wavefront6targetE0EEEvS12_.has_dyn_sized_stack, 0
	.set _ZN7rocprim17ROCPRIM_400000_NS6detail17trampoline_kernelINS0_13select_configILj256ELj13ELNS0_17block_load_methodE3ELS4_3ELS4_3ELNS0_20block_scan_algorithmE0ELj4294967295EEENS1_25partition_config_selectorILNS1_17partition_subalgoE4EjNS0_10empty_typeEbEEZZNS1_14partition_implILS8_4ELb0ES6_15HIP_vector_typeIjLj2EENS0_17counting_iteratorIjlEEPS9_SG_NS0_5tupleIJPjSI_NS0_16reverse_iteratorISI_EEEEENSH_IJSG_SG_SG_EEES9_SI_JZNS1_25segmented_radix_sort_implINS0_14default_configELb1EPKsPsPKlPlN2at6native12_GLOBAL__N_18offset_tEEE10hipError_tPvRmT1_PNSt15iterator_traitsIS12_E10value_typeET2_T3_PNS13_IS18_E10value_typeET4_jRbjT5_S1E_jjP12ihipStream_tbEUljE_ZNSN_ISO_Lb1ESQ_SR_ST_SU_SY_EESZ_S10_S11_S12_S16_S17_S18_S1B_S1C_jS1D_jS1E_S1E_jjS1G_bEUljE0_EEESZ_S10_S11_S18_S1C_S1E_T6_T7_T9_mT8_S1G_bDpT10_ENKUlT_T0_E_clISt17integral_constantIbLb1EES1T_IbLb0EEEEDaS1P_S1Q_EUlS1P_E_NS1_11comp_targetILNS1_3genE0ELNS1_11target_archE4294967295ELNS1_3gpuE0ELNS1_3repE0EEENS1_30default_config_static_selectorELNS0_4arch9wavefront6targetE0EEEvS12_.has_recursion, 0
	.set _ZN7rocprim17ROCPRIM_400000_NS6detail17trampoline_kernelINS0_13select_configILj256ELj13ELNS0_17block_load_methodE3ELS4_3ELS4_3ELNS0_20block_scan_algorithmE0ELj4294967295EEENS1_25partition_config_selectorILNS1_17partition_subalgoE4EjNS0_10empty_typeEbEEZZNS1_14partition_implILS8_4ELb0ES6_15HIP_vector_typeIjLj2EENS0_17counting_iteratorIjlEEPS9_SG_NS0_5tupleIJPjSI_NS0_16reverse_iteratorISI_EEEEENSH_IJSG_SG_SG_EEES9_SI_JZNS1_25segmented_radix_sort_implINS0_14default_configELb1EPKsPsPKlPlN2at6native12_GLOBAL__N_18offset_tEEE10hipError_tPvRmT1_PNSt15iterator_traitsIS12_E10value_typeET2_T3_PNS13_IS18_E10value_typeET4_jRbjT5_S1E_jjP12ihipStream_tbEUljE_ZNSN_ISO_Lb1ESQ_SR_ST_SU_SY_EESZ_S10_S11_S12_S16_S17_S18_S1B_S1C_jS1D_jS1E_S1E_jjS1G_bEUljE0_EEESZ_S10_S11_S18_S1C_S1E_T6_T7_T9_mT8_S1G_bDpT10_ENKUlT_T0_E_clISt17integral_constantIbLb1EES1T_IbLb0EEEEDaS1P_S1Q_EUlS1P_E_NS1_11comp_targetILNS1_3genE0ELNS1_11target_archE4294967295ELNS1_3gpuE0ELNS1_3repE0EEENS1_30default_config_static_selectorELNS0_4arch9wavefront6targetE0EEEvS12_.has_indirect_call, 0
	.section	.AMDGPU.csdata,"",@progbits
; Kernel info:
; codeLenInByte = 0
; TotalNumSgprs: 0
; NumVgprs: 0
; ScratchSize: 0
; MemoryBound: 0
; FloatMode: 240
; IeeeMode: 1
; LDSByteSize: 0 bytes/workgroup (compile time only)
; SGPRBlocks: 0
; VGPRBlocks: 0
; NumSGPRsForWavesPerEU: 1
; NumVGPRsForWavesPerEU: 1
; Occupancy: 16
; WaveLimiterHint : 0
; COMPUTE_PGM_RSRC2:SCRATCH_EN: 0
; COMPUTE_PGM_RSRC2:USER_SGPR: 2
; COMPUTE_PGM_RSRC2:TRAP_HANDLER: 0
; COMPUTE_PGM_RSRC2:TGID_X_EN: 1
; COMPUTE_PGM_RSRC2:TGID_Y_EN: 0
; COMPUTE_PGM_RSRC2:TGID_Z_EN: 0
; COMPUTE_PGM_RSRC2:TIDIG_COMP_CNT: 0
	.section	.text._ZN7rocprim17ROCPRIM_400000_NS6detail17trampoline_kernelINS0_13select_configILj256ELj13ELNS0_17block_load_methodE3ELS4_3ELS4_3ELNS0_20block_scan_algorithmE0ELj4294967295EEENS1_25partition_config_selectorILNS1_17partition_subalgoE4EjNS0_10empty_typeEbEEZZNS1_14partition_implILS8_4ELb0ES6_15HIP_vector_typeIjLj2EENS0_17counting_iteratorIjlEEPS9_SG_NS0_5tupleIJPjSI_NS0_16reverse_iteratorISI_EEEEENSH_IJSG_SG_SG_EEES9_SI_JZNS1_25segmented_radix_sort_implINS0_14default_configELb1EPKsPsPKlPlN2at6native12_GLOBAL__N_18offset_tEEE10hipError_tPvRmT1_PNSt15iterator_traitsIS12_E10value_typeET2_T3_PNS13_IS18_E10value_typeET4_jRbjT5_S1E_jjP12ihipStream_tbEUljE_ZNSN_ISO_Lb1ESQ_SR_ST_SU_SY_EESZ_S10_S11_S12_S16_S17_S18_S1B_S1C_jS1D_jS1E_S1E_jjS1G_bEUljE0_EEESZ_S10_S11_S18_S1C_S1E_T6_T7_T9_mT8_S1G_bDpT10_ENKUlT_T0_E_clISt17integral_constantIbLb1EES1T_IbLb0EEEEDaS1P_S1Q_EUlS1P_E_NS1_11comp_targetILNS1_3genE5ELNS1_11target_archE942ELNS1_3gpuE9ELNS1_3repE0EEENS1_30default_config_static_selectorELNS0_4arch9wavefront6targetE0EEEvS12_,"axG",@progbits,_ZN7rocprim17ROCPRIM_400000_NS6detail17trampoline_kernelINS0_13select_configILj256ELj13ELNS0_17block_load_methodE3ELS4_3ELS4_3ELNS0_20block_scan_algorithmE0ELj4294967295EEENS1_25partition_config_selectorILNS1_17partition_subalgoE4EjNS0_10empty_typeEbEEZZNS1_14partition_implILS8_4ELb0ES6_15HIP_vector_typeIjLj2EENS0_17counting_iteratorIjlEEPS9_SG_NS0_5tupleIJPjSI_NS0_16reverse_iteratorISI_EEEEENSH_IJSG_SG_SG_EEES9_SI_JZNS1_25segmented_radix_sort_implINS0_14default_configELb1EPKsPsPKlPlN2at6native12_GLOBAL__N_18offset_tEEE10hipError_tPvRmT1_PNSt15iterator_traitsIS12_E10value_typeET2_T3_PNS13_IS18_E10value_typeET4_jRbjT5_S1E_jjP12ihipStream_tbEUljE_ZNSN_ISO_Lb1ESQ_SR_ST_SU_SY_EESZ_S10_S11_S12_S16_S17_S18_S1B_S1C_jS1D_jS1E_S1E_jjS1G_bEUljE0_EEESZ_S10_S11_S18_S1C_S1E_T6_T7_T9_mT8_S1G_bDpT10_ENKUlT_T0_E_clISt17integral_constantIbLb1EES1T_IbLb0EEEEDaS1P_S1Q_EUlS1P_E_NS1_11comp_targetILNS1_3genE5ELNS1_11target_archE942ELNS1_3gpuE9ELNS1_3repE0EEENS1_30default_config_static_selectorELNS0_4arch9wavefront6targetE0EEEvS12_,comdat
	.globl	_ZN7rocprim17ROCPRIM_400000_NS6detail17trampoline_kernelINS0_13select_configILj256ELj13ELNS0_17block_load_methodE3ELS4_3ELS4_3ELNS0_20block_scan_algorithmE0ELj4294967295EEENS1_25partition_config_selectorILNS1_17partition_subalgoE4EjNS0_10empty_typeEbEEZZNS1_14partition_implILS8_4ELb0ES6_15HIP_vector_typeIjLj2EENS0_17counting_iteratorIjlEEPS9_SG_NS0_5tupleIJPjSI_NS0_16reverse_iteratorISI_EEEEENSH_IJSG_SG_SG_EEES9_SI_JZNS1_25segmented_radix_sort_implINS0_14default_configELb1EPKsPsPKlPlN2at6native12_GLOBAL__N_18offset_tEEE10hipError_tPvRmT1_PNSt15iterator_traitsIS12_E10value_typeET2_T3_PNS13_IS18_E10value_typeET4_jRbjT5_S1E_jjP12ihipStream_tbEUljE_ZNSN_ISO_Lb1ESQ_SR_ST_SU_SY_EESZ_S10_S11_S12_S16_S17_S18_S1B_S1C_jS1D_jS1E_S1E_jjS1G_bEUljE0_EEESZ_S10_S11_S18_S1C_S1E_T6_T7_T9_mT8_S1G_bDpT10_ENKUlT_T0_E_clISt17integral_constantIbLb1EES1T_IbLb0EEEEDaS1P_S1Q_EUlS1P_E_NS1_11comp_targetILNS1_3genE5ELNS1_11target_archE942ELNS1_3gpuE9ELNS1_3repE0EEENS1_30default_config_static_selectorELNS0_4arch9wavefront6targetE0EEEvS12_ ; -- Begin function _ZN7rocprim17ROCPRIM_400000_NS6detail17trampoline_kernelINS0_13select_configILj256ELj13ELNS0_17block_load_methodE3ELS4_3ELS4_3ELNS0_20block_scan_algorithmE0ELj4294967295EEENS1_25partition_config_selectorILNS1_17partition_subalgoE4EjNS0_10empty_typeEbEEZZNS1_14partition_implILS8_4ELb0ES6_15HIP_vector_typeIjLj2EENS0_17counting_iteratorIjlEEPS9_SG_NS0_5tupleIJPjSI_NS0_16reverse_iteratorISI_EEEEENSH_IJSG_SG_SG_EEES9_SI_JZNS1_25segmented_radix_sort_implINS0_14default_configELb1EPKsPsPKlPlN2at6native12_GLOBAL__N_18offset_tEEE10hipError_tPvRmT1_PNSt15iterator_traitsIS12_E10value_typeET2_T3_PNS13_IS18_E10value_typeET4_jRbjT5_S1E_jjP12ihipStream_tbEUljE_ZNSN_ISO_Lb1ESQ_SR_ST_SU_SY_EESZ_S10_S11_S12_S16_S17_S18_S1B_S1C_jS1D_jS1E_S1E_jjS1G_bEUljE0_EEESZ_S10_S11_S18_S1C_S1E_T6_T7_T9_mT8_S1G_bDpT10_ENKUlT_T0_E_clISt17integral_constantIbLb1EES1T_IbLb0EEEEDaS1P_S1Q_EUlS1P_E_NS1_11comp_targetILNS1_3genE5ELNS1_11target_archE942ELNS1_3gpuE9ELNS1_3repE0EEENS1_30default_config_static_selectorELNS0_4arch9wavefront6targetE0EEEvS12_
	.p2align	8
	.type	_ZN7rocprim17ROCPRIM_400000_NS6detail17trampoline_kernelINS0_13select_configILj256ELj13ELNS0_17block_load_methodE3ELS4_3ELS4_3ELNS0_20block_scan_algorithmE0ELj4294967295EEENS1_25partition_config_selectorILNS1_17partition_subalgoE4EjNS0_10empty_typeEbEEZZNS1_14partition_implILS8_4ELb0ES6_15HIP_vector_typeIjLj2EENS0_17counting_iteratorIjlEEPS9_SG_NS0_5tupleIJPjSI_NS0_16reverse_iteratorISI_EEEEENSH_IJSG_SG_SG_EEES9_SI_JZNS1_25segmented_radix_sort_implINS0_14default_configELb1EPKsPsPKlPlN2at6native12_GLOBAL__N_18offset_tEEE10hipError_tPvRmT1_PNSt15iterator_traitsIS12_E10value_typeET2_T3_PNS13_IS18_E10value_typeET4_jRbjT5_S1E_jjP12ihipStream_tbEUljE_ZNSN_ISO_Lb1ESQ_SR_ST_SU_SY_EESZ_S10_S11_S12_S16_S17_S18_S1B_S1C_jS1D_jS1E_S1E_jjS1G_bEUljE0_EEESZ_S10_S11_S18_S1C_S1E_T6_T7_T9_mT8_S1G_bDpT10_ENKUlT_T0_E_clISt17integral_constantIbLb1EES1T_IbLb0EEEEDaS1P_S1Q_EUlS1P_E_NS1_11comp_targetILNS1_3genE5ELNS1_11target_archE942ELNS1_3gpuE9ELNS1_3repE0EEENS1_30default_config_static_selectorELNS0_4arch9wavefront6targetE0EEEvS12_,@function
_ZN7rocprim17ROCPRIM_400000_NS6detail17trampoline_kernelINS0_13select_configILj256ELj13ELNS0_17block_load_methodE3ELS4_3ELS4_3ELNS0_20block_scan_algorithmE0ELj4294967295EEENS1_25partition_config_selectorILNS1_17partition_subalgoE4EjNS0_10empty_typeEbEEZZNS1_14partition_implILS8_4ELb0ES6_15HIP_vector_typeIjLj2EENS0_17counting_iteratorIjlEEPS9_SG_NS0_5tupleIJPjSI_NS0_16reverse_iteratorISI_EEEEENSH_IJSG_SG_SG_EEES9_SI_JZNS1_25segmented_radix_sort_implINS0_14default_configELb1EPKsPsPKlPlN2at6native12_GLOBAL__N_18offset_tEEE10hipError_tPvRmT1_PNSt15iterator_traitsIS12_E10value_typeET2_T3_PNS13_IS18_E10value_typeET4_jRbjT5_S1E_jjP12ihipStream_tbEUljE_ZNSN_ISO_Lb1ESQ_SR_ST_SU_SY_EESZ_S10_S11_S12_S16_S17_S18_S1B_S1C_jS1D_jS1E_S1E_jjS1G_bEUljE0_EEESZ_S10_S11_S18_S1C_S1E_T6_T7_T9_mT8_S1G_bDpT10_ENKUlT_T0_E_clISt17integral_constantIbLb1EES1T_IbLb0EEEEDaS1P_S1Q_EUlS1P_E_NS1_11comp_targetILNS1_3genE5ELNS1_11target_archE942ELNS1_3gpuE9ELNS1_3repE0EEENS1_30default_config_static_selectorELNS0_4arch9wavefront6targetE0EEEvS12_: ; @_ZN7rocprim17ROCPRIM_400000_NS6detail17trampoline_kernelINS0_13select_configILj256ELj13ELNS0_17block_load_methodE3ELS4_3ELS4_3ELNS0_20block_scan_algorithmE0ELj4294967295EEENS1_25partition_config_selectorILNS1_17partition_subalgoE4EjNS0_10empty_typeEbEEZZNS1_14partition_implILS8_4ELb0ES6_15HIP_vector_typeIjLj2EENS0_17counting_iteratorIjlEEPS9_SG_NS0_5tupleIJPjSI_NS0_16reverse_iteratorISI_EEEEENSH_IJSG_SG_SG_EEES9_SI_JZNS1_25segmented_radix_sort_implINS0_14default_configELb1EPKsPsPKlPlN2at6native12_GLOBAL__N_18offset_tEEE10hipError_tPvRmT1_PNSt15iterator_traitsIS12_E10value_typeET2_T3_PNS13_IS18_E10value_typeET4_jRbjT5_S1E_jjP12ihipStream_tbEUljE_ZNSN_ISO_Lb1ESQ_SR_ST_SU_SY_EESZ_S10_S11_S12_S16_S17_S18_S1B_S1C_jS1D_jS1E_S1E_jjS1G_bEUljE0_EEESZ_S10_S11_S18_S1C_S1E_T6_T7_T9_mT8_S1G_bDpT10_ENKUlT_T0_E_clISt17integral_constantIbLb1EES1T_IbLb0EEEEDaS1P_S1Q_EUlS1P_E_NS1_11comp_targetILNS1_3genE5ELNS1_11target_archE942ELNS1_3gpuE9ELNS1_3repE0EEENS1_30default_config_static_selectorELNS0_4arch9wavefront6targetE0EEEvS12_
; %bb.0:
	.section	.rodata,"a",@progbits
	.p2align	6, 0x0
	.amdhsa_kernel _ZN7rocprim17ROCPRIM_400000_NS6detail17trampoline_kernelINS0_13select_configILj256ELj13ELNS0_17block_load_methodE3ELS4_3ELS4_3ELNS0_20block_scan_algorithmE0ELj4294967295EEENS1_25partition_config_selectorILNS1_17partition_subalgoE4EjNS0_10empty_typeEbEEZZNS1_14partition_implILS8_4ELb0ES6_15HIP_vector_typeIjLj2EENS0_17counting_iteratorIjlEEPS9_SG_NS0_5tupleIJPjSI_NS0_16reverse_iteratorISI_EEEEENSH_IJSG_SG_SG_EEES9_SI_JZNS1_25segmented_radix_sort_implINS0_14default_configELb1EPKsPsPKlPlN2at6native12_GLOBAL__N_18offset_tEEE10hipError_tPvRmT1_PNSt15iterator_traitsIS12_E10value_typeET2_T3_PNS13_IS18_E10value_typeET4_jRbjT5_S1E_jjP12ihipStream_tbEUljE_ZNSN_ISO_Lb1ESQ_SR_ST_SU_SY_EESZ_S10_S11_S12_S16_S17_S18_S1B_S1C_jS1D_jS1E_S1E_jjS1G_bEUljE0_EEESZ_S10_S11_S18_S1C_S1E_T6_T7_T9_mT8_S1G_bDpT10_ENKUlT_T0_E_clISt17integral_constantIbLb1EES1T_IbLb0EEEEDaS1P_S1Q_EUlS1P_E_NS1_11comp_targetILNS1_3genE5ELNS1_11target_archE942ELNS1_3gpuE9ELNS1_3repE0EEENS1_30default_config_static_selectorELNS0_4arch9wavefront6targetE0EEEvS12_
		.amdhsa_group_segment_fixed_size 0
		.amdhsa_private_segment_fixed_size 0
		.amdhsa_kernarg_size 176
		.amdhsa_user_sgpr_count 2
		.amdhsa_user_sgpr_dispatch_ptr 0
		.amdhsa_user_sgpr_queue_ptr 0
		.amdhsa_user_sgpr_kernarg_segment_ptr 1
		.amdhsa_user_sgpr_dispatch_id 0
		.amdhsa_user_sgpr_private_segment_size 0
		.amdhsa_wavefront_size32 1
		.amdhsa_uses_dynamic_stack 0
		.amdhsa_enable_private_segment 0
		.amdhsa_system_sgpr_workgroup_id_x 1
		.amdhsa_system_sgpr_workgroup_id_y 0
		.amdhsa_system_sgpr_workgroup_id_z 0
		.amdhsa_system_sgpr_workgroup_info 0
		.amdhsa_system_vgpr_workitem_id 0
		.amdhsa_next_free_vgpr 1
		.amdhsa_next_free_sgpr 1
		.amdhsa_reserve_vcc 0
		.amdhsa_float_round_mode_32 0
		.amdhsa_float_round_mode_16_64 0
		.amdhsa_float_denorm_mode_32 3
		.amdhsa_float_denorm_mode_16_64 3
		.amdhsa_fp16_overflow 0
		.amdhsa_workgroup_processor_mode 1
		.amdhsa_memory_ordered 1
		.amdhsa_forward_progress 1
		.amdhsa_inst_pref_size 0
		.amdhsa_round_robin_scheduling 0
		.amdhsa_exception_fp_ieee_invalid_op 0
		.amdhsa_exception_fp_denorm_src 0
		.amdhsa_exception_fp_ieee_div_zero 0
		.amdhsa_exception_fp_ieee_overflow 0
		.amdhsa_exception_fp_ieee_underflow 0
		.amdhsa_exception_fp_ieee_inexact 0
		.amdhsa_exception_int_div_zero 0
	.end_amdhsa_kernel
	.section	.text._ZN7rocprim17ROCPRIM_400000_NS6detail17trampoline_kernelINS0_13select_configILj256ELj13ELNS0_17block_load_methodE3ELS4_3ELS4_3ELNS0_20block_scan_algorithmE0ELj4294967295EEENS1_25partition_config_selectorILNS1_17partition_subalgoE4EjNS0_10empty_typeEbEEZZNS1_14partition_implILS8_4ELb0ES6_15HIP_vector_typeIjLj2EENS0_17counting_iteratorIjlEEPS9_SG_NS0_5tupleIJPjSI_NS0_16reverse_iteratorISI_EEEEENSH_IJSG_SG_SG_EEES9_SI_JZNS1_25segmented_radix_sort_implINS0_14default_configELb1EPKsPsPKlPlN2at6native12_GLOBAL__N_18offset_tEEE10hipError_tPvRmT1_PNSt15iterator_traitsIS12_E10value_typeET2_T3_PNS13_IS18_E10value_typeET4_jRbjT5_S1E_jjP12ihipStream_tbEUljE_ZNSN_ISO_Lb1ESQ_SR_ST_SU_SY_EESZ_S10_S11_S12_S16_S17_S18_S1B_S1C_jS1D_jS1E_S1E_jjS1G_bEUljE0_EEESZ_S10_S11_S18_S1C_S1E_T6_T7_T9_mT8_S1G_bDpT10_ENKUlT_T0_E_clISt17integral_constantIbLb1EES1T_IbLb0EEEEDaS1P_S1Q_EUlS1P_E_NS1_11comp_targetILNS1_3genE5ELNS1_11target_archE942ELNS1_3gpuE9ELNS1_3repE0EEENS1_30default_config_static_selectorELNS0_4arch9wavefront6targetE0EEEvS12_,"axG",@progbits,_ZN7rocprim17ROCPRIM_400000_NS6detail17trampoline_kernelINS0_13select_configILj256ELj13ELNS0_17block_load_methodE3ELS4_3ELS4_3ELNS0_20block_scan_algorithmE0ELj4294967295EEENS1_25partition_config_selectorILNS1_17partition_subalgoE4EjNS0_10empty_typeEbEEZZNS1_14partition_implILS8_4ELb0ES6_15HIP_vector_typeIjLj2EENS0_17counting_iteratorIjlEEPS9_SG_NS0_5tupleIJPjSI_NS0_16reverse_iteratorISI_EEEEENSH_IJSG_SG_SG_EEES9_SI_JZNS1_25segmented_radix_sort_implINS0_14default_configELb1EPKsPsPKlPlN2at6native12_GLOBAL__N_18offset_tEEE10hipError_tPvRmT1_PNSt15iterator_traitsIS12_E10value_typeET2_T3_PNS13_IS18_E10value_typeET4_jRbjT5_S1E_jjP12ihipStream_tbEUljE_ZNSN_ISO_Lb1ESQ_SR_ST_SU_SY_EESZ_S10_S11_S12_S16_S17_S18_S1B_S1C_jS1D_jS1E_S1E_jjS1G_bEUljE0_EEESZ_S10_S11_S18_S1C_S1E_T6_T7_T9_mT8_S1G_bDpT10_ENKUlT_T0_E_clISt17integral_constantIbLb1EES1T_IbLb0EEEEDaS1P_S1Q_EUlS1P_E_NS1_11comp_targetILNS1_3genE5ELNS1_11target_archE942ELNS1_3gpuE9ELNS1_3repE0EEENS1_30default_config_static_selectorELNS0_4arch9wavefront6targetE0EEEvS12_,comdat
.Lfunc_end864:
	.size	_ZN7rocprim17ROCPRIM_400000_NS6detail17trampoline_kernelINS0_13select_configILj256ELj13ELNS0_17block_load_methodE3ELS4_3ELS4_3ELNS0_20block_scan_algorithmE0ELj4294967295EEENS1_25partition_config_selectorILNS1_17partition_subalgoE4EjNS0_10empty_typeEbEEZZNS1_14partition_implILS8_4ELb0ES6_15HIP_vector_typeIjLj2EENS0_17counting_iteratorIjlEEPS9_SG_NS0_5tupleIJPjSI_NS0_16reverse_iteratorISI_EEEEENSH_IJSG_SG_SG_EEES9_SI_JZNS1_25segmented_radix_sort_implINS0_14default_configELb1EPKsPsPKlPlN2at6native12_GLOBAL__N_18offset_tEEE10hipError_tPvRmT1_PNSt15iterator_traitsIS12_E10value_typeET2_T3_PNS13_IS18_E10value_typeET4_jRbjT5_S1E_jjP12ihipStream_tbEUljE_ZNSN_ISO_Lb1ESQ_SR_ST_SU_SY_EESZ_S10_S11_S12_S16_S17_S18_S1B_S1C_jS1D_jS1E_S1E_jjS1G_bEUljE0_EEESZ_S10_S11_S18_S1C_S1E_T6_T7_T9_mT8_S1G_bDpT10_ENKUlT_T0_E_clISt17integral_constantIbLb1EES1T_IbLb0EEEEDaS1P_S1Q_EUlS1P_E_NS1_11comp_targetILNS1_3genE5ELNS1_11target_archE942ELNS1_3gpuE9ELNS1_3repE0EEENS1_30default_config_static_selectorELNS0_4arch9wavefront6targetE0EEEvS12_, .Lfunc_end864-_ZN7rocprim17ROCPRIM_400000_NS6detail17trampoline_kernelINS0_13select_configILj256ELj13ELNS0_17block_load_methodE3ELS4_3ELS4_3ELNS0_20block_scan_algorithmE0ELj4294967295EEENS1_25partition_config_selectorILNS1_17partition_subalgoE4EjNS0_10empty_typeEbEEZZNS1_14partition_implILS8_4ELb0ES6_15HIP_vector_typeIjLj2EENS0_17counting_iteratorIjlEEPS9_SG_NS0_5tupleIJPjSI_NS0_16reverse_iteratorISI_EEEEENSH_IJSG_SG_SG_EEES9_SI_JZNS1_25segmented_radix_sort_implINS0_14default_configELb1EPKsPsPKlPlN2at6native12_GLOBAL__N_18offset_tEEE10hipError_tPvRmT1_PNSt15iterator_traitsIS12_E10value_typeET2_T3_PNS13_IS18_E10value_typeET4_jRbjT5_S1E_jjP12ihipStream_tbEUljE_ZNSN_ISO_Lb1ESQ_SR_ST_SU_SY_EESZ_S10_S11_S12_S16_S17_S18_S1B_S1C_jS1D_jS1E_S1E_jjS1G_bEUljE0_EEESZ_S10_S11_S18_S1C_S1E_T6_T7_T9_mT8_S1G_bDpT10_ENKUlT_T0_E_clISt17integral_constantIbLb1EES1T_IbLb0EEEEDaS1P_S1Q_EUlS1P_E_NS1_11comp_targetILNS1_3genE5ELNS1_11target_archE942ELNS1_3gpuE9ELNS1_3repE0EEENS1_30default_config_static_selectorELNS0_4arch9wavefront6targetE0EEEvS12_
                                        ; -- End function
	.set _ZN7rocprim17ROCPRIM_400000_NS6detail17trampoline_kernelINS0_13select_configILj256ELj13ELNS0_17block_load_methodE3ELS4_3ELS4_3ELNS0_20block_scan_algorithmE0ELj4294967295EEENS1_25partition_config_selectorILNS1_17partition_subalgoE4EjNS0_10empty_typeEbEEZZNS1_14partition_implILS8_4ELb0ES6_15HIP_vector_typeIjLj2EENS0_17counting_iteratorIjlEEPS9_SG_NS0_5tupleIJPjSI_NS0_16reverse_iteratorISI_EEEEENSH_IJSG_SG_SG_EEES9_SI_JZNS1_25segmented_radix_sort_implINS0_14default_configELb1EPKsPsPKlPlN2at6native12_GLOBAL__N_18offset_tEEE10hipError_tPvRmT1_PNSt15iterator_traitsIS12_E10value_typeET2_T3_PNS13_IS18_E10value_typeET4_jRbjT5_S1E_jjP12ihipStream_tbEUljE_ZNSN_ISO_Lb1ESQ_SR_ST_SU_SY_EESZ_S10_S11_S12_S16_S17_S18_S1B_S1C_jS1D_jS1E_S1E_jjS1G_bEUljE0_EEESZ_S10_S11_S18_S1C_S1E_T6_T7_T9_mT8_S1G_bDpT10_ENKUlT_T0_E_clISt17integral_constantIbLb1EES1T_IbLb0EEEEDaS1P_S1Q_EUlS1P_E_NS1_11comp_targetILNS1_3genE5ELNS1_11target_archE942ELNS1_3gpuE9ELNS1_3repE0EEENS1_30default_config_static_selectorELNS0_4arch9wavefront6targetE0EEEvS12_.num_vgpr, 0
	.set _ZN7rocprim17ROCPRIM_400000_NS6detail17trampoline_kernelINS0_13select_configILj256ELj13ELNS0_17block_load_methodE3ELS4_3ELS4_3ELNS0_20block_scan_algorithmE0ELj4294967295EEENS1_25partition_config_selectorILNS1_17partition_subalgoE4EjNS0_10empty_typeEbEEZZNS1_14partition_implILS8_4ELb0ES6_15HIP_vector_typeIjLj2EENS0_17counting_iteratorIjlEEPS9_SG_NS0_5tupleIJPjSI_NS0_16reverse_iteratorISI_EEEEENSH_IJSG_SG_SG_EEES9_SI_JZNS1_25segmented_radix_sort_implINS0_14default_configELb1EPKsPsPKlPlN2at6native12_GLOBAL__N_18offset_tEEE10hipError_tPvRmT1_PNSt15iterator_traitsIS12_E10value_typeET2_T3_PNS13_IS18_E10value_typeET4_jRbjT5_S1E_jjP12ihipStream_tbEUljE_ZNSN_ISO_Lb1ESQ_SR_ST_SU_SY_EESZ_S10_S11_S12_S16_S17_S18_S1B_S1C_jS1D_jS1E_S1E_jjS1G_bEUljE0_EEESZ_S10_S11_S18_S1C_S1E_T6_T7_T9_mT8_S1G_bDpT10_ENKUlT_T0_E_clISt17integral_constantIbLb1EES1T_IbLb0EEEEDaS1P_S1Q_EUlS1P_E_NS1_11comp_targetILNS1_3genE5ELNS1_11target_archE942ELNS1_3gpuE9ELNS1_3repE0EEENS1_30default_config_static_selectorELNS0_4arch9wavefront6targetE0EEEvS12_.num_agpr, 0
	.set _ZN7rocprim17ROCPRIM_400000_NS6detail17trampoline_kernelINS0_13select_configILj256ELj13ELNS0_17block_load_methodE3ELS4_3ELS4_3ELNS0_20block_scan_algorithmE0ELj4294967295EEENS1_25partition_config_selectorILNS1_17partition_subalgoE4EjNS0_10empty_typeEbEEZZNS1_14partition_implILS8_4ELb0ES6_15HIP_vector_typeIjLj2EENS0_17counting_iteratorIjlEEPS9_SG_NS0_5tupleIJPjSI_NS0_16reverse_iteratorISI_EEEEENSH_IJSG_SG_SG_EEES9_SI_JZNS1_25segmented_radix_sort_implINS0_14default_configELb1EPKsPsPKlPlN2at6native12_GLOBAL__N_18offset_tEEE10hipError_tPvRmT1_PNSt15iterator_traitsIS12_E10value_typeET2_T3_PNS13_IS18_E10value_typeET4_jRbjT5_S1E_jjP12ihipStream_tbEUljE_ZNSN_ISO_Lb1ESQ_SR_ST_SU_SY_EESZ_S10_S11_S12_S16_S17_S18_S1B_S1C_jS1D_jS1E_S1E_jjS1G_bEUljE0_EEESZ_S10_S11_S18_S1C_S1E_T6_T7_T9_mT8_S1G_bDpT10_ENKUlT_T0_E_clISt17integral_constantIbLb1EES1T_IbLb0EEEEDaS1P_S1Q_EUlS1P_E_NS1_11comp_targetILNS1_3genE5ELNS1_11target_archE942ELNS1_3gpuE9ELNS1_3repE0EEENS1_30default_config_static_selectorELNS0_4arch9wavefront6targetE0EEEvS12_.numbered_sgpr, 0
	.set _ZN7rocprim17ROCPRIM_400000_NS6detail17trampoline_kernelINS0_13select_configILj256ELj13ELNS0_17block_load_methodE3ELS4_3ELS4_3ELNS0_20block_scan_algorithmE0ELj4294967295EEENS1_25partition_config_selectorILNS1_17partition_subalgoE4EjNS0_10empty_typeEbEEZZNS1_14partition_implILS8_4ELb0ES6_15HIP_vector_typeIjLj2EENS0_17counting_iteratorIjlEEPS9_SG_NS0_5tupleIJPjSI_NS0_16reverse_iteratorISI_EEEEENSH_IJSG_SG_SG_EEES9_SI_JZNS1_25segmented_radix_sort_implINS0_14default_configELb1EPKsPsPKlPlN2at6native12_GLOBAL__N_18offset_tEEE10hipError_tPvRmT1_PNSt15iterator_traitsIS12_E10value_typeET2_T3_PNS13_IS18_E10value_typeET4_jRbjT5_S1E_jjP12ihipStream_tbEUljE_ZNSN_ISO_Lb1ESQ_SR_ST_SU_SY_EESZ_S10_S11_S12_S16_S17_S18_S1B_S1C_jS1D_jS1E_S1E_jjS1G_bEUljE0_EEESZ_S10_S11_S18_S1C_S1E_T6_T7_T9_mT8_S1G_bDpT10_ENKUlT_T0_E_clISt17integral_constantIbLb1EES1T_IbLb0EEEEDaS1P_S1Q_EUlS1P_E_NS1_11comp_targetILNS1_3genE5ELNS1_11target_archE942ELNS1_3gpuE9ELNS1_3repE0EEENS1_30default_config_static_selectorELNS0_4arch9wavefront6targetE0EEEvS12_.num_named_barrier, 0
	.set _ZN7rocprim17ROCPRIM_400000_NS6detail17trampoline_kernelINS0_13select_configILj256ELj13ELNS0_17block_load_methodE3ELS4_3ELS4_3ELNS0_20block_scan_algorithmE0ELj4294967295EEENS1_25partition_config_selectorILNS1_17partition_subalgoE4EjNS0_10empty_typeEbEEZZNS1_14partition_implILS8_4ELb0ES6_15HIP_vector_typeIjLj2EENS0_17counting_iteratorIjlEEPS9_SG_NS0_5tupleIJPjSI_NS0_16reverse_iteratorISI_EEEEENSH_IJSG_SG_SG_EEES9_SI_JZNS1_25segmented_radix_sort_implINS0_14default_configELb1EPKsPsPKlPlN2at6native12_GLOBAL__N_18offset_tEEE10hipError_tPvRmT1_PNSt15iterator_traitsIS12_E10value_typeET2_T3_PNS13_IS18_E10value_typeET4_jRbjT5_S1E_jjP12ihipStream_tbEUljE_ZNSN_ISO_Lb1ESQ_SR_ST_SU_SY_EESZ_S10_S11_S12_S16_S17_S18_S1B_S1C_jS1D_jS1E_S1E_jjS1G_bEUljE0_EEESZ_S10_S11_S18_S1C_S1E_T6_T7_T9_mT8_S1G_bDpT10_ENKUlT_T0_E_clISt17integral_constantIbLb1EES1T_IbLb0EEEEDaS1P_S1Q_EUlS1P_E_NS1_11comp_targetILNS1_3genE5ELNS1_11target_archE942ELNS1_3gpuE9ELNS1_3repE0EEENS1_30default_config_static_selectorELNS0_4arch9wavefront6targetE0EEEvS12_.private_seg_size, 0
	.set _ZN7rocprim17ROCPRIM_400000_NS6detail17trampoline_kernelINS0_13select_configILj256ELj13ELNS0_17block_load_methodE3ELS4_3ELS4_3ELNS0_20block_scan_algorithmE0ELj4294967295EEENS1_25partition_config_selectorILNS1_17partition_subalgoE4EjNS0_10empty_typeEbEEZZNS1_14partition_implILS8_4ELb0ES6_15HIP_vector_typeIjLj2EENS0_17counting_iteratorIjlEEPS9_SG_NS0_5tupleIJPjSI_NS0_16reverse_iteratorISI_EEEEENSH_IJSG_SG_SG_EEES9_SI_JZNS1_25segmented_radix_sort_implINS0_14default_configELb1EPKsPsPKlPlN2at6native12_GLOBAL__N_18offset_tEEE10hipError_tPvRmT1_PNSt15iterator_traitsIS12_E10value_typeET2_T3_PNS13_IS18_E10value_typeET4_jRbjT5_S1E_jjP12ihipStream_tbEUljE_ZNSN_ISO_Lb1ESQ_SR_ST_SU_SY_EESZ_S10_S11_S12_S16_S17_S18_S1B_S1C_jS1D_jS1E_S1E_jjS1G_bEUljE0_EEESZ_S10_S11_S18_S1C_S1E_T6_T7_T9_mT8_S1G_bDpT10_ENKUlT_T0_E_clISt17integral_constantIbLb1EES1T_IbLb0EEEEDaS1P_S1Q_EUlS1P_E_NS1_11comp_targetILNS1_3genE5ELNS1_11target_archE942ELNS1_3gpuE9ELNS1_3repE0EEENS1_30default_config_static_selectorELNS0_4arch9wavefront6targetE0EEEvS12_.uses_vcc, 0
	.set _ZN7rocprim17ROCPRIM_400000_NS6detail17trampoline_kernelINS0_13select_configILj256ELj13ELNS0_17block_load_methodE3ELS4_3ELS4_3ELNS0_20block_scan_algorithmE0ELj4294967295EEENS1_25partition_config_selectorILNS1_17partition_subalgoE4EjNS0_10empty_typeEbEEZZNS1_14partition_implILS8_4ELb0ES6_15HIP_vector_typeIjLj2EENS0_17counting_iteratorIjlEEPS9_SG_NS0_5tupleIJPjSI_NS0_16reverse_iteratorISI_EEEEENSH_IJSG_SG_SG_EEES9_SI_JZNS1_25segmented_radix_sort_implINS0_14default_configELb1EPKsPsPKlPlN2at6native12_GLOBAL__N_18offset_tEEE10hipError_tPvRmT1_PNSt15iterator_traitsIS12_E10value_typeET2_T3_PNS13_IS18_E10value_typeET4_jRbjT5_S1E_jjP12ihipStream_tbEUljE_ZNSN_ISO_Lb1ESQ_SR_ST_SU_SY_EESZ_S10_S11_S12_S16_S17_S18_S1B_S1C_jS1D_jS1E_S1E_jjS1G_bEUljE0_EEESZ_S10_S11_S18_S1C_S1E_T6_T7_T9_mT8_S1G_bDpT10_ENKUlT_T0_E_clISt17integral_constantIbLb1EES1T_IbLb0EEEEDaS1P_S1Q_EUlS1P_E_NS1_11comp_targetILNS1_3genE5ELNS1_11target_archE942ELNS1_3gpuE9ELNS1_3repE0EEENS1_30default_config_static_selectorELNS0_4arch9wavefront6targetE0EEEvS12_.uses_flat_scratch, 0
	.set _ZN7rocprim17ROCPRIM_400000_NS6detail17trampoline_kernelINS0_13select_configILj256ELj13ELNS0_17block_load_methodE3ELS4_3ELS4_3ELNS0_20block_scan_algorithmE0ELj4294967295EEENS1_25partition_config_selectorILNS1_17partition_subalgoE4EjNS0_10empty_typeEbEEZZNS1_14partition_implILS8_4ELb0ES6_15HIP_vector_typeIjLj2EENS0_17counting_iteratorIjlEEPS9_SG_NS0_5tupleIJPjSI_NS0_16reverse_iteratorISI_EEEEENSH_IJSG_SG_SG_EEES9_SI_JZNS1_25segmented_radix_sort_implINS0_14default_configELb1EPKsPsPKlPlN2at6native12_GLOBAL__N_18offset_tEEE10hipError_tPvRmT1_PNSt15iterator_traitsIS12_E10value_typeET2_T3_PNS13_IS18_E10value_typeET4_jRbjT5_S1E_jjP12ihipStream_tbEUljE_ZNSN_ISO_Lb1ESQ_SR_ST_SU_SY_EESZ_S10_S11_S12_S16_S17_S18_S1B_S1C_jS1D_jS1E_S1E_jjS1G_bEUljE0_EEESZ_S10_S11_S18_S1C_S1E_T6_T7_T9_mT8_S1G_bDpT10_ENKUlT_T0_E_clISt17integral_constantIbLb1EES1T_IbLb0EEEEDaS1P_S1Q_EUlS1P_E_NS1_11comp_targetILNS1_3genE5ELNS1_11target_archE942ELNS1_3gpuE9ELNS1_3repE0EEENS1_30default_config_static_selectorELNS0_4arch9wavefront6targetE0EEEvS12_.has_dyn_sized_stack, 0
	.set _ZN7rocprim17ROCPRIM_400000_NS6detail17trampoline_kernelINS0_13select_configILj256ELj13ELNS0_17block_load_methodE3ELS4_3ELS4_3ELNS0_20block_scan_algorithmE0ELj4294967295EEENS1_25partition_config_selectorILNS1_17partition_subalgoE4EjNS0_10empty_typeEbEEZZNS1_14partition_implILS8_4ELb0ES6_15HIP_vector_typeIjLj2EENS0_17counting_iteratorIjlEEPS9_SG_NS0_5tupleIJPjSI_NS0_16reverse_iteratorISI_EEEEENSH_IJSG_SG_SG_EEES9_SI_JZNS1_25segmented_radix_sort_implINS0_14default_configELb1EPKsPsPKlPlN2at6native12_GLOBAL__N_18offset_tEEE10hipError_tPvRmT1_PNSt15iterator_traitsIS12_E10value_typeET2_T3_PNS13_IS18_E10value_typeET4_jRbjT5_S1E_jjP12ihipStream_tbEUljE_ZNSN_ISO_Lb1ESQ_SR_ST_SU_SY_EESZ_S10_S11_S12_S16_S17_S18_S1B_S1C_jS1D_jS1E_S1E_jjS1G_bEUljE0_EEESZ_S10_S11_S18_S1C_S1E_T6_T7_T9_mT8_S1G_bDpT10_ENKUlT_T0_E_clISt17integral_constantIbLb1EES1T_IbLb0EEEEDaS1P_S1Q_EUlS1P_E_NS1_11comp_targetILNS1_3genE5ELNS1_11target_archE942ELNS1_3gpuE9ELNS1_3repE0EEENS1_30default_config_static_selectorELNS0_4arch9wavefront6targetE0EEEvS12_.has_recursion, 0
	.set _ZN7rocprim17ROCPRIM_400000_NS6detail17trampoline_kernelINS0_13select_configILj256ELj13ELNS0_17block_load_methodE3ELS4_3ELS4_3ELNS0_20block_scan_algorithmE0ELj4294967295EEENS1_25partition_config_selectorILNS1_17partition_subalgoE4EjNS0_10empty_typeEbEEZZNS1_14partition_implILS8_4ELb0ES6_15HIP_vector_typeIjLj2EENS0_17counting_iteratorIjlEEPS9_SG_NS0_5tupleIJPjSI_NS0_16reverse_iteratorISI_EEEEENSH_IJSG_SG_SG_EEES9_SI_JZNS1_25segmented_radix_sort_implINS0_14default_configELb1EPKsPsPKlPlN2at6native12_GLOBAL__N_18offset_tEEE10hipError_tPvRmT1_PNSt15iterator_traitsIS12_E10value_typeET2_T3_PNS13_IS18_E10value_typeET4_jRbjT5_S1E_jjP12ihipStream_tbEUljE_ZNSN_ISO_Lb1ESQ_SR_ST_SU_SY_EESZ_S10_S11_S12_S16_S17_S18_S1B_S1C_jS1D_jS1E_S1E_jjS1G_bEUljE0_EEESZ_S10_S11_S18_S1C_S1E_T6_T7_T9_mT8_S1G_bDpT10_ENKUlT_T0_E_clISt17integral_constantIbLb1EES1T_IbLb0EEEEDaS1P_S1Q_EUlS1P_E_NS1_11comp_targetILNS1_3genE5ELNS1_11target_archE942ELNS1_3gpuE9ELNS1_3repE0EEENS1_30default_config_static_selectorELNS0_4arch9wavefront6targetE0EEEvS12_.has_indirect_call, 0
	.section	.AMDGPU.csdata,"",@progbits
; Kernel info:
; codeLenInByte = 0
; TotalNumSgprs: 0
; NumVgprs: 0
; ScratchSize: 0
; MemoryBound: 0
; FloatMode: 240
; IeeeMode: 1
; LDSByteSize: 0 bytes/workgroup (compile time only)
; SGPRBlocks: 0
; VGPRBlocks: 0
; NumSGPRsForWavesPerEU: 1
; NumVGPRsForWavesPerEU: 1
; Occupancy: 16
; WaveLimiterHint : 0
; COMPUTE_PGM_RSRC2:SCRATCH_EN: 0
; COMPUTE_PGM_RSRC2:USER_SGPR: 2
; COMPUTE_PGM_RSRC2:TRAP_HANDLER: 0
; COMPUTE_PGM_RSRC2:TGID_X_EN: 1
; COMPUTE_PGM_RSRC2:TGID_Y_EN: 0
; COMPUTE_PGM_RSRC2:TGID_Z_EN: 0
; COMPUTE_PGM_RSRC2:TIDIG_COMP_CNT: 0
	.section	.text._ZN7rocprim17ROCPRIM_400000_NS6detail17trampoline_kernelINS0_13select_configILj256ELj13ELNS0_17block_load_methodE3ELS4_3ELS4_3ELNS0_20block_scan_algorithmE0ELj4294967295EEENS1_25partition_config_selectorILNS1_17partition_subalgoE4EjNS0_10empty_typeEbEEZZNS1_14partition_implILS8_4ELb0ES6_15HIP_vector_typeIjLj2EENS0_17counting_iteratorIjlEEPS9_SG_NS0_5tupleIJPjSI_NS0_16reverse_iteratorISI_EEEEENSH_IJSG_SG_SG_EEES9_SI_JZNS1_25segmented_radix_sort_implINS0_14default_configELb1EPKsPsPKlPlN2at6native12_GLOBAL__N_18offset_tEEE10hipError_tPvRmT1_PNSt15iterator_traitsIS12_E10value_typeET2_T3_PNS13_IS18_E10value_typeET4_jRbjT5_S1E_jjP12ihipStream_tbEUljE_ZNSN_ISO_Lb1ESQ_SR_ST_SU_SY_EESZ_S10_S11_S12_S16_S17_S18_S1B_S1C_jS1D_jS1E_S1E_jjS1G_bEUljE0_EEESZ_S10_S11_S18_S1C_S1E_T6_T7_T9_mT8_S1G_bDpT10_ENKUlT_T0_E_clISt17integral_constantIbLb1EES1T_IbLb0EEEEDaS1P_S1Q_EUlS1P_E_NS1_11comp_targetILNS1_3genE4ELNS1_11target_archE910ELNS1_3gpuE8ELNS1_3repE0EEENS1_30default_config_static_selectorELNS0_4arch9wavefront6targetE0EEEvS12_,"axG",@progbits,_ZN7rocprim17ROCPRIM_400000_NS6detail17trampoline_kernelINS0_13select_configILj256ELj13ELNS0_17block_load_methodE3ELS4_3ELS4_3ELNS0_20block_scan_algorithmE0ELj4294967295EEENS1_25partition_config_selectorILNS1_17partition_subalgoE4EjNS0_10empty_typeEbEEZZNS1_14partition_implILS8_4ELb0ES6_15HIP_vector_typeIjLj2EENS0_17counting_iteratorIjlEEPS9_SG_NS0_5tupleIJPjSI_NS0_16reverse_iteratorISI_EEEEENSH_IJSG_SG_SG_EEES9_SI_JZNS1_25segmented_radix_sort_implINS0_14default_configELb1EPKsPsPKlPlN2at6native12_GLOBAL__N_18offset_tEEE10hipError_tPvRmT1_PNSt15iterator_traitsIS12_E10value_typeET2_T3_PNS13_IS18_E10value_typeET4_jRbjT5_S1E_jjP12ihipStream_tbEUljE_ZNSN_ISO_Lb1ESQ_SR_ST_SU_SY_EESZ_S10_S11_S12_S16_S17_S18_S1B_S1C_jS1D_jS1E_S1E_jjS1G_bEUljE0_EEESZ_S10_S11_S18_S1C_S1E_T6_T7_T9_mT8_S1G_bDpT10_ENKUlT_T0_E_clISt17integral_constantIbLb1EES1T_IbLb0EEEEDaS1P_S1Q_EUlS1P_E_NS1_11comp_targetILNS1_3genE4ELNS1_11target_archE910ELNS1_3gpuE8ELNS1_3repE0EEENS1_30default_config_static_selectorELNS0_4arch9wavefront6targetE0EEEvS12_,comdat
	.globl	_ZN7rocprim17ROCPRIM_400000_NS6detail17trampoline_kernelINS0_13select_configILj256ELj13ELNS0_17block_load_methodE3ELS4_3ELS4_3ELNS0_20block_scan_algorithmE0ELj4294967295EEENS1_25partition_config_selectorILNS1_17partition_subalgoE4EjNS0_10empty_typeEbEEZZNS1_14partition_implILS8_4ELb0ES6_15HIP_vector_typeIjLj2EENS0_17counting_iteratorIjlEEPS9_SG_NS0_5tupleIJPjSI_NS0_16reverse_iteratorISI_EEEEENSH_IJSG_SG_SG_EEES9_SI_JZNS1_25segmented_radix_sort_implINS0_14default_configELb1EPKsPsPKlPlN2at6native12_GLOBAL__N_18offset_tEEE10hipError_tPvRmT1_PNSt15iterator_traitsIS12_E10value_typeET2_T3_PNS13_IS18_E10value_typeET4_jRbjT5_S1E_jjP12ihipStream_tbEUljE_ZNSN_ISO_Lb1ESQ_SR_ST_SU_SY_EESZ_S10_S11_S12_S16_S17_S18_S1B_S1C_jS1D_jS1E_S1E_jjS1G_bEUljE0_EEESZ_S10_S11_S18_S1C_S1E_T6_T7_T9_mT8_S1G_bDpT10_ENKUlT_T0_E_clISt17integral_constantIbLb1EES1T_IbLb0EEEEDaS1P_S1Q_EUlS1P_E_NS1_11comp_targetILNS1_3genE4ELNS1_11target_archE910ELNS1_3gpuE8ELNS1_3repE0EEENS1_30default_config_static_selectorELNS0_4arch9wavefront6targetE0EEEvS12_ ; -- Begin function _ZN7rocprim17ROCPRIM_400000_NS6detail17trampoline_kernelINS0_13select_configILj256ELj13ELNS0_17block_load_methodE3ELS4_3ELS4_3ELNS0_20block_scan_algorithmE0ELj4294967295EEENS1_25partition_config_selectorILNS1_17partition_subalgoE4EjNS0_10empty_typeEbEEZZNS1_14partition_implILS8_4ELb0ES6_15HIP_vector_typeIjLj2EENS0_17counting_iteratorIjlEEPS9_SG_NS0_5tupleIJPjSI_NS0_16reverse_iteratorISI_EEEEENSH_IJSG_SG_SG_EEES9_SI_JZNS1_25segmented_radix_sort_implINS0_14default_configELb1EPKsPsPKlPlN2at6native12_GLOBAL__N_18offset_tEEE10hipError_tPvRmT1_PNSt15iterator_traitsIS12_E10value_typeET2_T3_PNS13_IS18_E10value_typeET4_jRbjT5_S1E_jjP12ihipStream_tbEUljE_ZNSN_ISO_Lb1ESQ_SR_ST_SU_SY_EESZ_S10_S11_S12_S16_S17_S18_S1B_S1C_jS1D_jS1E_S1E_jjS1G_bEUljE0_EEESZ_S10_S11_S18_S1C_S1E_T6_T7_T9_mT8_S1G_bDpT10_ENKUlT_T0_E_clISt17integral_constantIbLb1EES1T_IbLb0EEEEDaS1P_S1Q_EUlS1P_E_NS1_11comp_targetILNS1_3genE4ELNS1_11target_archE910ELNS1_3gpuE8ELNS1_3repE0EEENS1_30default_config_static_selectorELNS0_4arch9wavefront6targetE0EEEvS12_
	.p2align	8
	.type	_ZN7rocprim17ROCPRIM_400000_NS6detail17trampoline_kernelINS0_13select_configILj256ELj13ELNS0_17block_load_methodE3ELS4_3ELS4_3ELNS0_20block_scan_algorithmE0ELj4294967295EEENS1_25partition_config_selectorILNS1_17partition_subalgoE4EjNS0_10empty_typeEbEEZZNS1_14partition_implILS8_4ELb0ES6_15HIP_vector_typeIjLj2EENS0_17counting_iteratorIjlEEPS9_SG_NS0_5tupleIJPjSI_NS0_16reverse_iteratorISI_EEEEENSH_IJSG_SG_SG_EEES9_SI_JZNS1_25segmented_radix_sort_implINS0_14default_configELb1EPKsPsPKlPlN2at6native12_GLOBAL__N_18offset_tEEE10hipError_tPvRmT1_PNSt15iterator_traitsIS12_E10value_typeET2_T3_PNS13_IS18_E10value_typeET4_jRbjT5_S1E_jjP12ihipStream_tbEUljE_ZNSN_ISO_Lb1ESQ_SR_ST_SU_SY_EESZ_S10_S11_S12_S16_S17_S18_S1B_S1C_jS1D_jS1E_S1E_jjS1G_bEUljE0_EEESZ_S10_S11_S18_S1C_S1E_T6_T7_T9_mT8_S1G_bDpT10_ENKUlT_T0_E_clISt17integral_constantIbLb1EES1T_IbLb0EEEEDaS1P_S1Q_EUlS1P_E_NS1_11comp_targetILNS1_3genE4ELNS1_11target_archE910ELNS1_3gpuE8ELNS1_3repE0EEENS1_30default_config_static_selectorELNS0_4arch9wavefront6targetE0EEEvS12_,@function
_ZN7rocprim17ROCPRIM_400000_NS6detail17trampoline_kernelINS0_13select_configILj256ELj13ELNS0_17block_load_methodE3ELS4_3ELS4_3ELNS0_20block_scan_algorithmE0ELj4294967295EEENS1_25partition_config_selectorILNS1_17partition_subalgoE4EjNS0_10empty_typeEbEEZZNS1_14partition_implILS8_4ELb0ES6_15HIP_vector_typeIjLj2EENS0_17counting_iteratorIjlEEPS9_SG_NS0_5tupleIJPjSI_NS0_16reverse_iteratorISI_EEEEENSH_IJSG_SG_SG_EEES9_SI_JZNS1_25segmented_radix_sort_implINS0_14default_configELb1EPKsPsPKlPlN2at6native12_GLOBAL__N_18offset_tEEE10hipError_tPvRmT1_PNSt15iterator_traitsIS12_E10value_typeET2_T3_PNS13_IS18_E10value_typeET4_jRbjT5_S1E_jjP12ihipStream_tbEUljE_ZNSN_ISO_Lb1ESQ_SR_ST_SU_SY_EESZ_S10_S11_S12_S16_S17_S18_S1B_S1C_jS1D_jS1E_S1E_jjS1G_bEUljE0_EEESZ_S10_S11_S18_S1C_S1E_T6_T7_T9_mT8_S1G_bDpT10_ENKUlT_T0_E_clISt17integral_constantIbLb1EES1T_IbLb0EEEEDaS1P_S1Q_EUlS1P_E_NS1_11comp_targetILNS1_3genE4ELNS1_11target_archE910ELNS1_3gpuE8ELNS1_3repE0EEENS1_30default_config_static_selectorELNS0_4arch9wavefront6targetE0EEEvS12_: ; @_ZN7rocprim17ROCPRIM_400000_NS6detail17trampoline_kernelINS0_13select_configILj256ELj13ELNS0_17block_load_methodE3ELS4_3ELS4_3ELNS0_20block_scan_algorithmE0ELj4294967295EEENS1_25partition_config_selectorILNS1_17partition_subalgoE4EjNS0_10empty_typeEbEEZZNS1_14partition_implILS8_4ELb0ES6_15HIP_vector_typeIjLj2EENS0_17counting_iteratorIjlEEPS9_SG_NS0_5tupleIJPjSI_NS0_16reverse_iteratorISI_EEEEENSH_IJSG_SG_SG_EEES9_SI_JZNS1_25segmented_radix_sort_implINS0_14default_configELb1EPKsPsPKlPlN2at6native12_GLOBAL__N_18offset_tEEE10hipError_tPvRmT1_PNSt15iterator_traitsIS12_E10value_typeET2_T3_PNS13_IS18_E10value_typeET4_jRbjT5_S1E_jjP12ihipStream_tbEUljE_ZNSN_ISO_Lb1ESQ_SR_ST_SU_SY_EESZ_S10_S11_S12_S16_S17_S18_S1B_S1C_jS1D_jS1E_S1E_jjS1G_bEUljE0_EEESZ_S10_S11_S18_S1C_S1E_T6_T7_T9_mT8_S1G_bDpT10_ENKUlT_T0_E_clISt17integral_constantIbLb1EES1T_IbLb0EEEEDaS1P_S1Q_EUlS1P_E_NS1_11comp_targetILNS1_3genE4ELNS1_11target_archE910ELNS1_3gpuE8ELNS1_3repE0EEENS1_30default_config_static_selectorELNS0_4arch9wavefront6targetE0EEEvS12_
; %bb.0:
	.section	.rodata,"a",@progbits
	.p2align	6, 0x0
	.amdhsa_kernel _ZN7rocprim17ROCPRIM_400000_NS6detail17trampoline_kernelINS0_13select_configILj256ELj13ELNS0_17block_load_methodE3ELS4_3ELS4_3ELNS0_20block_scan_algorithmE0ELj4294967295EEENS1_25partition_config_selectorILNS1_17partition_subalgoE4EjNS0_10empty_typeEbEEZZNS1_14partition_implILS8_4ELb0ES6_15HIP_vector_typeIjLj2EENS0_17counting_iteratorIjlEEPS9_SG_NS0_5tupleIJPjSI_NS0_16reverse_iteratorISI_EEEEENSH_IJSG_SG_SG_EEES9_SI_JZNS1_25segmented_radix_sort_implINS0_14default_configELb1EPKsPsPKlPlN2at6native12_GLOBAL__N_18offset_tEEE10hipError_tPvRmT1_PNSt15iterator_traitsIS12_E10value_typeET2_T3_PNS13_IS18_E10value_typeET4_jRbjT5_S1E_jjP12ihipStream_tbEUljE_ZNSN_ISO_Lb1ESQ_SR_ST_SU_SY_EESZ_S10_S11_S12_S16_S17_S18_S1B_S1C_jS1D_jS1E_S1E_jjS1G_bEUljE0_EEESZ_S10_S11_S18_S1C_S1E_T6_T7_T9_mT8_S1G_bDpT10_ENKUlT_T0_E_clISt17integral_constantIbLb1EES1T_IbLb0EEEEDaS1P_S1Q_EUlS1P_E_NS1_11comp_targetILNS1_3genE4ELNS1_11target_archE910ELNS1_3gpuE8ELNS1_3repE0EEENS1_30default_config_static_selectorELNS0_4arch9wavefront6targetE0EEEvS12_
		.amdhsa_group_segment_fixed_size 0
		.amdhsa_private_segment_fixed_size 0
		.amdhsa_kernarg_size 176
		.amdhsa_user_sgpr_count 2
		.amdhsa_user_sgpr_dispatch_ptr 0
		.amdhsa_user_sgpr_queue_ptr 0
		.amdhsa_user_sgpr_kernarg_segment_ptr 1
		.amdhsa_user_sgpr_dispatch_id 0
		.amdhsa_user_sgpr_private_segment_size 0
		.amdhsa_wavefront_size32 1
		.amdhsa_uses_dynamic_stack 0
		.amdhsa_enable_private_segment 0
		.amdhsa_system_sgpr_workgroup_id_x 1
		.amdhsa_system_sgpr_workgroup_id_y 0
		.amdhsa_system_sgpr_workgroup_id_z 0
		.amdhsa_system_sgpr_workgroup_info 0
		.amdhsa_system_vgpr_workitem_id 0
		.amdhsa_next_free_vgpr 1
		.amdhsa_next_free_sgpr 1
		.amdhsa_reserve_vcc 0
		.amdhsa_float_round_mode_32 0
		.amdhsa_float_round_mode_16_64 0
		.amdhsa_float_denorm_mode_32 3
		.amdhsa_float_denorm_mode_16_64 3
		.amdhsa_fp16_overflow 0
		.amdhsa_workgroup_processor_mode 1
		.amdhsa_memory_ordered 1
		.amdhsa_forward_progress 1
		.amdhsa_inst_pref_size 0
		.amdhsa_round_robin_scheduling 0
		.amdhsa_exception_fp_ieee_invalid_op 0
		.amdhsa_exception_fp_denorm_src 0
		.amdhsa_exception_fp_ieee_div_zero 0
		.amdhsa_exception_fp_ieee_overflow 0
		.amdhsa_exception_fp_ieee_underflow 0
		.amdhsa_exception_fp_ieee_inexact 0
		.amdhsa_exception_int_div_zero 0
	.end_amdhsa_kernel
	.section	.text._ZN7rocprim17ROCPRIM_400000_NS6detail17trampoline_kernelINS0_13select_configILj256ELj13ELNS0_17block_load_methodE3ELS4_3ELS4_3ELNS0_20block_scan_algorithmE0ELj4294967295EEENS1_25partition_config_selectorILNS1_17partition_subalgoE4EjNS0_10empty_typeEbEEZZNS1_14partition_implILS8_4ELb0ES6_15HIP_vector_typeIjLj2EENS0_17counting_iteratorIjlEEPS9_SG_NS0_5tupleIJPjSI_NS0_16reverse_iteratorISI_EEEEENSH_IJSG_SG_SG_EEES9_SI_JZNS1_25segmented_radix_sort_implINS0_14default_configELb1EPKsPsPKlPlN2at6native12_GLOBAL__N_18offset_tEEE10hipError_tPvRmT1_PNSt15iterator_traitsIS12_E10value_typeET2_T3_PNS13_IS18_E10value_typeET4_jRbjT5_S1E_jjP12ihipStream_tbEUljE_ZNSN_ISO_Lb1ESQ_SR_ST_SU_SY_EESZ_S10_S11_S12_S16_S17_S18_S1B_S1C_jS1D_jS1E_S1E_jjS1G_bEUljE0_EEESZ_S10_S11_S18_S1C_S1E_T6_T7_T9_mT8_S1G_bDpT10_ENKUlT_T0_E_clISt17integral_constantIbLb1EES1T_IbLb0EEEEDaS1P_S1Q_EUlS1P_E_NS1_11comp_targetILNS1_3genE4ELNS1_11target_archE910ELNS1_3gpuE8ELNS1_3repE0EEENS1_30default_config_static_selectorELNS0_4arch9wavefront6targetE0EEEvS12_,"axG",@progbits,_ZN7rocprim17ROCPRIM_400000_NS6detail17trampoline_kernelINS0_13select_configILj256ELj13ELNS0_17block_load_methodE3ELS4_3ELS4_3ELNS0_20block_scan_algorithmE0ELj4294967295EEENS1_25partition_config_selectorILNS1_17partition_subalgoE4EjNS0_10empty_typeEbEEZZNS1_14partition_implILS8_4ELb0ES6_15HIP_vector_typeIjLj2EENS0_17counting_iteratorIjlEEPS9_SG_NS0_5tupleIJPjSI_NS0_16reverse_iteratorISI_EEEEENSH_IJSG_SG_SG_EEES9_SI_JZNS1_25segmented_radix_sort_implINS0_14default_configELb1EPKsPsPKlPlN2at6native12_GLOBAL__N_18offset_tEEE10hipError_tPvRmT1_PNSt15iterator_traitsIS12_E10value_typeET2_T3_PNS13_IS18_E10value_typeET4_jRbjT5_S1E_jjP12ihipStream_tbEUljE_ZNSN_ISO_Lb1ESQ_SR_ST_SU_SY_EESZ_S10_S11_S12_S16_S17_S18_S1B_S1C_jS1D_jS1E_S1E_jjS1G_bEUljE0_EEESZ_S10_S11_S18_S1C_S1E_T6_T7_T9_mT8_S1G_bDpT10_ENKUlT_T0_E_clISt17integral_constantIbLb1EES1T_IbLb0EEEEDaS1P_S1Q_EUlS1P_E_NS1_11comp_targetILNS1_3genE4ELNS1_11target_archE910ELNS1_3gpuE8ELNS1_3repE0EEENS1_30default_config_static_selectorELNS0_4arch9wavefront6targetE0EEEvS12_,comdat
.Lfunc_end865:
	.size	_ZN7rocprim17ROCPRIM_400000_NS6detail17trampoline_kernelINS0_13select_configILj256ELj13ELNS0_17block_load_methodE3ELS4_3ELS4_3ELNS0_20block_scan_algorithmE0ELj4294967295EEENS1_25partition_config_selectorILNS1_17partition_subalgoE4EjNS0_10empty_typeEbEEZZNS1_14partition_implILS8_4ELb0ES6_15HIP_vector_typeIjLj2EENS0_17counting_iteratorIjlEEPS9_SG_NS0_5tupleIJPjSI_NS0_16reverse_iteratorISI_EEEEENSH_IJSG_SG_SG_EEES9_SI_JZNS1_25segmented_radix_sort_implINS0_14default_configELb1EPKsPsPKlPlN2at6native12_GLOBAL__N_18offset_tEEE10hipError_tPvRmT1_PNSt15iterator_traitsIS12_E10value_typeET2_T3_PNS13_IS18_E10value_typeET4_jRbjT5_S1E_jjP12ihipStream_tbEUljE_ZNSN_ISO_Lb1ESQ_SR_ST_SU_SY_EESZ_S10_S11_S12_S16_S17_S18_S1B_S1C_jS1D_jS1E_S1E_jjS1G_bEUljE0_EEESZ_S10_S11_S18_S1C_S1E_T6_T7_T9_mT8_S1G_bDpT10_ENKUlT_T0_E_clISt17integral_constantIbLb1EES1T_IbLb0EEEEDaS1P_S1Q_EUlS1P_E_NS1_11comp_targetILNS1_3genE4ELNS1_11target_archE910ELNS1_3gpuE8ELNS1_3repE0EEENS1_30default_config_static_selectorELNS0_4arch9wavefront6targetE0EEEvS12_, .Lfunc_end865-_ZN7rocprim17ROCPRIM_400000_NS6detail17trampoline_kernelINS0_13select_configILj256ELj13ELNS0_17block_load_methodE3ELS4_3ELS4_3ELNS0_20block_scan_algorithmE0ELj4294967295EEENS1_25partition_config_selectorILNS1_17partition_subalgoE4EjNS0_10empty_typeEbEEZZNS1_14partition_implILS8_4ELb0ES6_15HIP_vector_typeIjLj2EENS0_17counting_iteratorIjlEEPS9_SG_NS0_5tupleIJPjSI_NS0_16reverse_iteratorISI_EEEEENSH_IJSG_SG_SG_EEES9_SI_JZNS1_25segmented_radix_sort_implINS0_14default_configELb1EPKsPsPKlPlN2at6native12_GLOBAL__N_18offset_tEEE10hipError_tPvRmT1_PNSt15iterator_traitsIS12_E10value_typeET2_T3_PNS13_IS18_E10value_typeET4_jRbjT5_S1E_jjP12ihipStream_tbEUljE_ZNSN_ISO_Lb1ESQ_SR_ST_SU_SY_EESZ_S10_S11_S12_S16_S17_S18_S1B_S1C_jS1D_jS1E_S1E_jjS1G_bEUljE0_EEESZ_S10_S11_S18_S1C_S1E_T6_T7_T9_mT8_S1G_bDpT10_ENKUlT_T0_E_clISt17integral_constantIbLb1EES1T_IbLb0EEEEDaS1P_S1Q_EUlS1P_E_NS1_11comp_targetILNS1_3genE4ELNS1_11target_archE910ELNS1_3gpuE8ELNS1_3repE0EEENS1_30default_config_static_selectorELNS0_4arch9wavefront6targetE0EEEvS12_
                                        ; -- End function
	.set _ZN7rocprim17ROCPRIM_400000_NS6detail17trampoline_kernelINS0_13select_configILj256ELj13ELNS0_17block_load_methodE3ELS4_3ELS4_3ELNS0_20block_scan_algorithmE0ELj4294967295EEENS1_25partition_config_selectorILNS1_17partition_subalgoE4EjNS0_10empty_typeEbEEZZNS1_14partition_implILS8_4ELb0ES6_15HIP_vector_typeIjLj2EENS0_17counting_iteratorIjlEEPS9_SG_NS0_5tupleIJPjSI_NS0_16reverse_iteratorISI_EEEEENSH_IJSG_SG_SG_EEES9_SI_JZNS1_25segmented_radix_sort_implINS0_14default_configELb1EPKsPsPKlPlN2at6native12_GLOBAL__N_18offset_tEEE10hipError_tPvRmT1_PNSt15iterator_traitsIS12_E10value_typeET2_T3_PNS13_IS18_E10value_typeET4_jRbjT5_S1E_jjP12ihipStream_tbEUljE_ZNSN_ISO_Lb1ESQ_SR_ST_SU_SY_EESZ_S10_S11_S12_S16_S17_S18_S1B_S1C_jS1D_jS1E_S1E_jjS1G_bEUljE0_EEESZ_S10_S11_S18_S1C_S1E_T6_T7_T9_mT8_S1G_bDpT10_ENKUlT_T0_E_clISt17integral_constantIbLb1EES1T_IbLb0EEEEDaS1P_S1Q_EUlS1P_E_NS1_11comp_targetILNS1_3genE4ELNS1_11target_archE910ELNS1_3gpuE8ELNS1_3repE0EEENS1_30default_config_static_selectorELNS0_4arch9wavefront6targetE0EEEvS12_.num_vgpr, 0
	.set _ZN7rocprim17ROCPRIM_400000_NS6detail17trampoline_kernelINS0_13select_configILj256ELj13ELNS0_17block_load_methodE3ELS4_3ELS4_3ELNS0_20block_scan_algorithmE0ELj4294967295EEENS1_25partition_config_selectorILNS1_17partition_subalgoE4EjNS0_10empty_typeEbEEZZNS1_14partition_implILS8_4ELb0ES6_15HIP_vector_typeIjLj2EENS0_17counting_iteratorIjlEEPS9_SG_NS0_5tupleIJPjSI_NS0_16reverse_iteratorISI_EEEEENSH_IJSG_SG_SG_EEES9_SI_JZNS1_25segmented_radix_sort_implINS0_14default_configELb1EPKsPsPKlPlN2at6native12_GLOBAL__N_18offset_tEEE10hipError_tPvRmT1_PNSt15iterator_traitsIS12_E10value_typeET2_T3_PNS13_IS18_E10value_typeET4_jRbjT5_S1E_jjP12ihipStream_tbEUljE_ZNSN_ISO_Lb1ESQ_SR_ST_SU_SY_EESZ_S10_S11_S12_S16_S17_S18_S1B_S1C_jS1D_jS1E_S1E_jjS1G_bEUljE0_EEESZ_S10_S11_S18_S1C_S1E_T6_T7_T9_mT8_S1G_bDpT10_ENKUlT_T0_E_clISt17integral_constantIbLb1EES1T_IbLb0EEEEDaS1P_S1Q_EUlS1P_E_NS1_11comp_targetILNS1_3genE4ELNS1_11target_archE910ELNS1_3gpuE8ELNS1_3repE0EEENS1_30default_config_static_selectorELNS0_4arch9wavefront6targetE0EEEvS12_.num_agpr, 0
	.set _ZN7rocprim17ROCPRIM_400000_NS6detail17trampoline_kernelINS0_13select_configILj256ELj13ELNS0_17block_load_methodE3ELS4_3ELS4_3ELNS0_20block_scan_algorithmE0ELj4294967295EEENS1_25partition_config_selectorILNS1_17partition_subalgoE4EjNS0_10empty_typeEbEEZZNS1_14partition_implILS8_4ELb0ES6_15HIP_vector_typeIjLj2EENS0_17counting_iteratorIjlEEPS9_SG_NS0_5tupleIJPjSI_NS0_16reverse_iteratorISI_EEEEENSH_IJSG_SG_SG_EEES9_SI_JZNS1_25segmented_radix_sort_implINS0_14default_configELb1EPKsPsPKlPlN2at6native12_GLOBAL__N_18offset_tEEE10hipError_tPvRmT1_PNSt15iterator_traitsIS12_E10value_typeET2_T3_PNS13_IS18_E10value_typeET4_jRbjT5_S1E_jjP12ihipStream_tbEUljE_ZNSN_ISO_Lb1ESQ_SR_ST_SU_SY_EESZ_S10_S11_S12_S16_S17_S18_S1B_S1C_jS1D_jS1E_S1E_jjS1G_bEUljE0_EEESZ_S10_S11_S18_S1C_S1E_T6_T7_T9_mT8_S1G_bDpT10_ENKUlT_T0_E_clISt17integral_constantIbLb1EES1T_IbLb0EEEEDaS1P_S1Q_EUlS1P_E_NS1_11comp_targetILNS1_3genE4ELNS1_11target_archE910ELNS1_3gpuE8ELNS1_3repE0EEENS1_30default_config_static_selectorELNS0_4arch9wavefront6targetE0EEEvS12_.numbered_sgpr, 0
	.set _ZN7rocprim17ROCPRIM_400000_NS6detail17trampoline_kernelINS0_13select_configILj256ELj13ELNS0_17block_load_methodE3ELS4_3ELS4_3ELNS0_20block_scan_algorithmE0ELj4294967295EEENS1_25partition_config_selectorILNS1_17partition_subalgoE4EjNS0_10empty_typeEbEEZZNS1_14partition_implILS8_4ELb0ES6_15HIP_vector_typeIjLj2EENS0_17counting_iteratorIjlEEPS9_SG_NS0_5tupleIJPjSI_NS0_16reverse_iteratorISI_EEEEENSH_IJSG_SG_SG_EEES9_SI_JZNS1_25segmented_radix_sort_implINS0_14default_configELb1EPKsPsPKlPlN2at6native12_GLOBAL__N_18offset_tEEE10hipError_tPvRmT1_PNSt15iterator_traitsIS12_E10value_typeET2_T3_PNS13_IS18_E10value_typeET4_jRbjT5_S1E_jjP12ihipStream_tbEUljE_ZNSN_ISO_Lb1ESQ_SR_ST_SU_SY_EESZ_S10_S11_S12_S16_S17_S18_S1B_S1C_jS1D_jS1E_S1E_jjS1G_bEUljE0_EEESZ_S10_S11_S18_S1C_S1E_T6_T7_T9_mT8_S1G_bDpT10_ENKUlT_T0_E_clISt17integral_constantIbLb1EES1T_IbLb0EEEEDaS1P_S1Q_EUlS1P_E_NS1_11comp_targetILNS1_3genE4ELNS1_11target_archE910ELNS1_3gpuE8ELNS1_3repE0EEENS1_30default_config_static_selectorELNS0_4arch9wavefront6targetE0EEEvS12_.num_named_barrier, 0
	.set _ZN7rocprim17ROCPRIM_400000_NS6detail17trampoline_kernelINS0_13select_configILj256ELj13ELNS0_17block_load_methodE3ELS4_3ELS4_3ELNS0_20block_scan_algorithmE0ELj4294967295EEENS1_25partition_config_selectorILNS1_17partition_subalgoE4EjNS0_10empty_typeEbEEZZNS1_14partition_implILS8_4ELb0ES6_15HIP_vector_typeIjLj2EENS0_17counting_iteratorIjlEEPS9_SG_NS0_5tupleIJPjSI_NS0_16reverse_iteratorISI_EEEEENSH_IJSG_SG_SG_EEES9_SI_JZNS1_25segmented_radix_sort_implINS0_14default_configELb1EPKsPsPKlPlN2at6native12_GLOBAL__N_18offset_tEEE10hipError_tPvRmT1_PNSt15iterator_traitsIS12_E10value_typeET2_T3_PNS13_IS18_E10value_typeET4_jRbjT5_S1E_jjP12ihipStream_tbEUljE_ZNSN_ISO_Lb1ESQ_SR_ST_SU_SY_EESZ_S10_S11_S12_S16_S17_S18_S1B_S1C_jS1D_jS1E_S1E_jjS1G_bEUljE0_EEESZ_S10_S11_S18_S1C_S1E_T6_T7_T9_mT8_S1G_bDpT10_ENKUlT_T0_E_clISt17integral_constantIbLb1EES1T_IbLb0EEEEDaS1P_S1Q_EUlS1P_E_NS1_11comp_targetILNS1_3genE4ELNS1_11target_archE910ELNS1_3gpuE8ELNS1_3repE0EEENS1_30default_config_static_selectorELNS0_4arch9wavefront6targetE0EEEvS12_.private_seg_size, 0
	.set _ZN7rocprim17ROCPRIM_400000_NS6detail17trampoline_kernelINS0_13select_configILj256ELj13ELNS0_17block_load_methodE3ELS4_3ELS4_3ELNS0_20block_scan_algorithmE0ELj4294967295EEENS1_25partition_config_selectorILNS1_17partition_subalgoE4EjNS0_10empty_typeEbEEZZNS1_14partition_implILS8_4ELb0ES6_15HIP_vector_typeIjLj2EENS0_17counting_iteratorIjlEEPS9_SG_NS0_5tupleIJPjSI_NS0_16reverse_iteratorISI_EEEEENSH_IJSG_SG_SG_EEES9_SI_JZNS1_25segmented_radix_sort_implINS0_14default_configELb1EPKsPsPKlPlN2at6native12_GLOBAL__N_18offset_tEEE10hipError_tPvRmT1_PNSt15iterator_traitsIS12_E10value_typeET2_T3_PNS13_IS18_E10value_typeET4_jRbjT5_S1E_jjP12ihipStream_tbEUljE_ZNSN_ISO_Lb1ESQ_SR_ST_SU_SY_EESZ_S10_S11_S12_S16_S17_S18_S1B_S1C_jS1D_jS1E_S1E_jjS1G_bEUljE0_EEESZ_S10_S11_S18_S1C_S1E_T6_T7_T9_mT8_S1G_bDpT10_ENKUlT_T0_E_clISt17integral_constantIbLb1EES1T_IbLb0EEEEDaS1P_S1Q_EUlS1P_E_NS1_11comp_targetILNS1_3genE4ELNS1_11target_archE910ELNS1_3gpuE8ELNS1_3repE0EEENS1_30default_config_static_selectorELNS0_4arch9wavefront6targetE0EEEvS12_.uses_vcc, 0
	.set _ZN7rocprim17ROCPRIM_400000_NS6detail17trampoline_kernelINS0_13select_configILj256ELj13ELNS0_17block_load_methodE3ELS4_3ELS4_3ELNS0_20block_scan_algorithmE0ELj4294967295EEENS1_25partition_config_selectorILNS1_17partition_subalgoE4EjNS0_10empty_typeEbEEZZNS1_14partition_implILS8_4ELb0ES6_15HIP_vector_typeIjLj2EENS0_17counting_iteratorIjlEEPS9_SG_NS0_5tupleIJPjSI_NS0_16reverse_iteratorISI_EEEEENSH_IJSG_SG_SG_EEES9_SI_JZNS1_25segmented_radix_sort_implINS0_14default_configELb1EPKsPsPKlPlN2at6native12_GLOBAL__N_18offset_tEEE10hipError_tPvRmT1_PNSt15iterator_traitsIS12_E10value_typeET2_T3_PNS13_IS18_E10value_typeET4_jRbjT5_S1E_jjP12ihipStream_tbEUljE_ZNSN_ISO_Lb1ESQ_SR_ST_SU_SY_EESZ_S10_S11_S12_S16_S17_S18_S1B_S1C_jS1D_jS1E_S1E_jjS1G_bEUljE0_EEESZ_S10_S11_S18_S1C_S1E_T6_T7_T9_mT8_S1G_bDpT10_ENKUlT_T0_E_clISt17integral_constantIbLb1EES1T_IbLb0EEEEDaS1P_S1Q_EUlS1P_E_NS1_11comp_targetILNS1_3genE4ELNS1_11target_archE910ELNS1_3gpuE8ELNS1_3repE0EEENS1_30default_config_static_selectorELNS0_4arch9wavefront6targetE0EEEvS12_.uses_flat_scratch, 0
	.set _ZN7rocprim17ROCPRIM_400000_NS6detail17trampoline_kernelINS0_13select_configILj256ELj13ELNS0_17block_load_methodE3ELS4_3ELS4_3ELNS0_20block_scan_algorithmE0ELj4294967295EEENS1_25partition_config_selectorILNS1_17partition_subalgoE4EjNS0_10empty_typeEbEEZZNS1_14partition_implILS8_4ELb0ES6_15HIP_vector_typeIjLj2EENS0_17counting_iteratorIjlEEPS9_SG_NS0_5tupleIJPjSI_NS0_16reverse_iteratorISI_EEEEENSH_IJSG_SG_SG_EEES9_SI_JZNS1_25segmented_radix_sort_implINS0_14default_configELb1EPKsPsPKlPlN2at6native12_GLOBAL__N_18offset_tEEE10hipError_tPvRmT1_PNSt15iterator_traitsIS12_E10value_typeET2_T3_PNS13_IS18_E10value_typeET4_jRbjT5_S1E_jjP12ihipStream_tbEUljE_ZNSN_ISO_Lb1ESQ_SR_ST_SU_SY_EESZ_S10_S11_S12_S16_S17_S18_S1B_S1C_jS1D_jS1E_S1E_jjS1G_bEUljE0_EEESZ_S10_S11_S18_S1C_S1E_T6_T7_T9_mT8_S1G_bDpT10_ENKUlT_T0_E_clISt17integral_constantIbLb1EES1T_IbLb0EEEEDaS1P_S1Q_EUlS1P_E_NS1_11comp_targetILNS1_3genE4ELNS1_11target_archE910ELNS1_3gpuE8ELNS1_3repE0EEENS1_30default_config_static_selectorELNS0_4arch9wavefront6targetE0EEEvS12_.has_dyn_sized_stack, 0
	.set _ZN7rocprim17ROCPRIM_400000_NS6detail17trampoline_kernelINS0_13select_configILj256ELj13ELNS0_17block_load_methodE3ELS4_3ELS4_3ELNS0_20block_scan_algorithmE0ELj4294967295EEENS1_25partition_config_selectorILNS1_17partition_subalgoE4EjNS0_10empty_typeEbEEZZNS1_14partition_implILS8_4ELb0ES6_15HIP_vector_typeIjLj2EENS0_17counting_iteratorIjlEEPS9_SG_NS0_5tupleIJPjSI_NS0_16reverse_iteratorISI_EEEEENSH_IJSG_SG_SG_EEES9_SI_JZNS1_25segmented_radix_sort_implINS0_14default_configELb1EPKsPsPKlPlN2at6native12_GLOBAL__N_18offset_tEEE10hipError_tPvRmT1_PNSt15iterator_traitsIS12_E10value_typeET2_T3_PNS13_IS18_E10value_typeET4_jRbjT5_S1E_jjP12ihipStream_tbEUljE_ZNSN_ISO_Lb1ESQ_SR_ST_SU_SY_EESZ_S10_S11_S12_S16_S17_S18_S1B_S1C_jS1D_jS1E_S1E_jjS1G_bEUljE0_EEESZ_S10_S11_S18_S1C_S1E_T6_T7_T9_mT8_S1G_bDpT10_ENKUlT_T0_E_clISt17integral_constantIbLb1EES1T_IbLb0EEEEDaS1P_S1Q_EUlS1P_E_NS1_11comp_targetILNS1_3genE4ELNS1_11target_archE910ELNS1_3gpuE8ELNS1_3repE0EEENS1_30default_config_static_selectorELNS0_4arch9wavefront6targetE0EEEvS12_.has_recursion, 0
	.set _ZN7rocprim17ROCPRIM_400000_NS6detail17trampoline_kernelINS0_13select_configILj256ELj13ELNS0_17block_load_methodE3ELS4_3ELS4_3ELNS0_20block_scan_algorithmE0ELj4294967295EEENS1_25partition_config_selectorILNS1_17partition_subalgoE4EjNS0_10empty_typeEbEEZZNS1_14partition_implILS8_4ELb0ES6_15HIP_vector_typeIjLj2EENS0_17counting_iteratorIjlEEPS9_SG_NS0_5tupleIJPjSI_NS0_16reverse_iteratorISI_EEEEENSH_IJSG_SG_SG_EEES9_SI_JZNS1_25segmented_radix_sort_implINS0_14default_configELb1EPKsPsPKlPlN2at6native12_GLOBAL__N_18offset_tEEE10hipError_tPvRmT1_PNSt15iterator_traitsIS12_E10value_typeET2_T3_PNS13_IS18_E10value_typeET4_jRbjT5_S1E_jjP12ihipStream_tbEUljE_ZNSN_ISO_Lb1ESQ_SR_ST_SU_SY_EESZ_S10_S11_S12_S16_S17_S18_S1B_S1C_jS1D_jS1E_S1E_jjS1G_bEUljE0_EEESZ_S10_S11_S18_S1C_S1E_T6_T7_T9_mT8_S1G_bDpT10_ENKUlT_T0_E_clISt17integral_constantIbLb1EES1T_IbLb0EEEEDaS1P_S1Q_EUlS1P_E_NS1_11comp_targetILNS1_3genE4ELNS1_11target_archE910ELNS1_3gpuE8ELNS1_3repE0EEENS1_30default_config_static_selectorELNS0_4arch9wavefront6targetE0EEEvS12_.has_indirect_call, 0
	.section	.AMDGPU.csdata,"",@progbits
; Kernel info:
; codeLenInByte = 0
; TotalNumSgprs: 0
; NumVgprs: 0
; ScratchSize: 0
; MemoryBound: 0
; FloatMode: 240
; IeeeMode: 1
; LDSByteSize: 0 bytes/workgroup (compile time only)
; SGPRBlocks: 0
; VGPRBlocks: 0
; NumSGPRsForWavesPerEU: 1
; NumVGPRsForWavesPerEU: 1
; Occupancy: 16
; WaveLimiterHint : 0
; COMPUTE_PGM_RSRC2:SCRATCH_EN: 0
; COMPUTE_PGM_RSRC2:USER_SGPR: 2
; COMPUTE_PGM_RSRC2:TRAP_HANDLER: 0
; COMPUTE_PGM_RSRC2:TGID_X_EN: 1
; COMPUTE_PGM_RSRC2:TGID_Y_EN: 0
; COMPUTE_PGM_RSRC2:TGID_Z_EN: 0
; COMPUTE_PGM_RSRC2:TIDIG_COMP_CNT: 0
	.section	.text._ZN7rocprim17ROCPRIM_400000_NS6detail17trampoline_kernelINS0_13select_configILj256ELj13ELNS0_17block_load_methodE3ELS4_3ELS4_3ELNS0_20block_scan_algorithmE0ELj4294967295EEENS1_25partition_config_selectorILNS1_17partition_subalgoE4EjNS0_10empty_typeEbEEZZNS1_14partition_implILS8_4ELb0ES6_15HIP_vector_typeIjLj2EENS0_17counting_iteratorIjlEEPS9_SG_NS0_5tupleIJPjSI_NS0_16reverse_iteratorISI_EEEEENSH_IJSG_SG_SG_EEES9_SI_JZNS1_25segmented_radix_sort_implINS0_14default_configELb1EPKsPsPKlPlN2at6native12_GLOBAL__N_18offset_tEEE10hipError_tPvRmT1_PNSt15iterator_traitsIS12_E10value_typeET2_T3_PNS13_IS18_E10value_typeET4_jRbjT5_S1E_jjP12ihipStream_tbEUljE_ZNSN_ISO_Lb1ESQ_SR_ST_SU_SY_EESZ_S10_S11_S12_S16_S17_S18_S1B_S1C_jS1D_jS1E_S1E_jjS1G_bEUljE0_EEESZ_S10_S11_S18_S1C_S1E_T6_T7_T9_mT8_S1G_bDpT10_ENKUlT_T0_E_clISt17integral_constantIbLb1EES1T_IbLb0EEEEDaS1P_S1Q_EUlS1P_E_NS1_11comp_targetILNS1_3genE3ELNS1_11target_archE908ELNS1_3gpuE7ELNS1_3repE0EEENS1_30default_config_static_selectorELNS0_4arch9wavefront6targetE0EEEvS12_,"axG",@progbits,_ZN7rocprim17ROCPRIM_400000_NS6detail17trampoline_kernelINS0_13select_configILj256ELj13ELNS0_17block_load_methodE3ELS4_3ELS4_3ELNS0_20block_scan_algorithmE0ELj4294967295EEENS1_25partition_config_selectorILNS1_17partition_subalgoE4EjNS0_10empty_typeEbEEZZNS1_14partition_implILS8_4ELb0ES6_15HIP_vector_typeIjLj2EENS0_17counting_iteratorIjlEEPS9_SG_NS0_5tupleIJPjSI_NS0_16reverse_iteratorISI_EEEEENSH_IJSG_SG_SG_EEES9_SI_JZNS1_25segmented_radix_sort_implINS0_14default_configELb1EPKsPsPKlPlN2at6native12_GLOBAL__N_18offset_tEEE10hipError_tPvRmT1_PNSt15iterator_traitsIS12_E10value_typeET2_T3_PNS13_IS18_E10value_typeET4_jRbjT5_S1E_jjP12ihipStream_tbEUljE_ZNSN_ISO_Lb1ESQ_SR_ST_SU_SY_EESZ_S10_S11_S12_S16_S17_S18_S1B_S1C_jS1D_jS1E_S1E_jjS1G_bEUljE0_EEESZ_S10_S11_S18_S1C_S1E_T6_T7_T9_mT8_S1G_bDpT10_ENKUlT_T0_E_clISt17integral_constantIbLb1EES1T_IbLb0EEEEDaS1P_S1Q_EUlS1P_E_NS1_11comp_targetILNS1_3genE3ELNS1_11target_archE908ELNS1_3gpuE7ELNS1_3repE0EEENS1_30default_config_static_selectorELNS0_4arch9wavefront6targetE0EEEvS12_,comdat
	.globl	_ZN7rocprim17ROCPRIM_400000_NS6detail17trampoline_kernelINS0_13select_configILj256ELj13ELNS0_17block_load_methodE3ELS4_3ELS4_3ELNS0_20block_scan_algorithmE0ELj4294967295EEENS1_25partition_config_selectorILNS1_17partition_subalgoE4EjNS0_10empty_typeEbEEZZNS1_14partition_implILS8_4ELb0ES6_15HIP_vector_typeIjLj2EENS0_17counting_iteratorIjlEEPS9_SG_NS0_5tupleIJPjSI_NS0_16reverse_iteratorISI_EEEEENSH_IJSG_SG_SG_EEES9_SI_JZNS1_25segmented_radix_sort_implINS0_14default_configELb1EPKsPsPKlPlN2at6native12_GLOBAL__N_18offset_tEEE10hipError_tPvRmT1_PNSt15iterator_traitsIS12_E10value_typeET2_T3_PNS13_IS18_E10value_typeET4_jRbjT5_S1E_jjP12ihipStream_tbEUljE_ZNSN_ISO_Lb1ESQ_SR_ST_SU_SY_EESZ_S10_S11_S12_S16_S17_S18_S1B_S1C_jS1D_jS1E_S1E_jjS1G_bEUljE0_EEESZ_S10_S11_S18_S1C_S1E_T6_T7_T9_mT8_S1G_bDpT10_ENKUlT_T0_E_clISt17integral_constantIbLb1EES1T_IbLb0EEEEDaS1P_S1Q_EUlS1P_E_NS1_11comp_targetILNS1_3genE3ELNS1_11target_archE908ELNS1_3gpuE7ELNS1_3repE0EEENS1_30default_config_static_selectorELNS0_4arch9wavefront6targetE0EEEvS12_ ; -- Begin function _ZN7rocprim17ROCPRIM_400000_NS6detail17trampoline_kernelINS0_13select_configILj256ELj13ELNS0_17block_load_methodE3ELS4_3ELS4_3ELNS0_20block_scan_algorithmE0ELj4294967295EEENS1_25partition_config_selectorILNS1_17partition_subalgoE4EjNS0_10empty_typeEbEEZZNS1_14partition_implILS8_4ELb0ES6_15HIP_vector_typeIjLj2EENS0_17counting_iteratorIjlEEPS9_SG_NS0_5tupleIJPjSI_NS0_16reverse_iteratorISI_EEEEENSH_IJSG_SG_SG_EEES9_SI_JZNS1_25segmented_radix_sort_implINS0_14default_configELb1EPKsPsPKlPlN2at6native12_GLOBAL__N_18offset_tEEE10hipError_tPvRmT1_PNSt15iterator_traitsIS12_E10value_typeET2_T3_PNS13_IS18_E10value_typeET4_jRbjT5_S1E_jjP12ihipStream_tbEUljE_ZNSN_ISO_Lb1ESQ_SR_ST_SU_SY_EESZ_S10_S11_S12_S16_S17_S18_S1B_S1C_jS1D_jS1E_S1E_jjS1G_bEUljE0_EEESZ_S10_S11_S18_S1C_S1E_T6_T7_T9_mT8_S1G_bDpT10_ENKUlT_T0_E_clISt17integral_constantIbLb1EES1T_IbLb0EEEEDaS1P_S1Q_EUlS1P_E_NS1_11comp_targetILNS1_3genE3ELNS1_11target_archE908ELNS1_3gpuE7ELNS1_3repE0EEENS1_30default_config_static_selectorELNS0_4arch9wavefront6targetE0EEEvS12_
	.p2align	8
	.type	_ZN7rocprim17ROCPRIM_400000_NS6detail17trampoline_kernelINS0_13select_configILj256ELj13ELNS0_17block_load_methodE3ELS4_3ELS4_3ELNS0_20block_scan_algorithmE0ELj4294967295EEENS1_25partition_config_selectorILNS1_17partition_subalgoE4EjNS0_10empty_typeEbEEZZNS1_14partition_implILS8_4ELb0ES6_15HIP_vector_typeIjLj2EENS0_17counting_iteratorIjlEEPS9_SG_NS0_5tupleIJPjSI_NS0_16reverse_iteratorISI_EEEEENSH_IJSG_SG_SG_EEES9_SI_JZNS1_25segmented_radix_sort_implINS0_14default_configELb1EPKsPsPKlPlN2at6native12_GLOBAL__N_18offset_tEEE10hipError_tPvRmT1_PNSt15iterator_traitsIS12_E10value_typeET2_T3_PNS13_IS18_E10value_typeET4_jRbjT5_S1E_jjP12ihipStream_tbEUljE_ZNSN_ISO_Lb1ESQ_SR_ST_SU_SY_EESZ_S10_S11_S12_S16_S17_S18_S1B_S1C_jS1D_jS1E_S1E_jjS1G_bEUljE0_EEESZ_S10_S11_S18_S1C_S1E_T6_T7_T9_mT8_S1G_bDpT10_ENKUlT_T0_E_clISt17integral_constantIbLb1EES1T_IbLb0EEEEDaS1P_S1Q_EUlS1P_E_NS1_11comp_targetILNS1_3genE3ELNS1_11target_archE908ELNS1_3gpuE7ELNS1_3repE0EEENS1_30default_config_static_selectorELNS0_4arch9wavefront6targetE0EEEvS12_,@function
_ZN7rocprim17ROCPRIM_400000_NS6detail17trampoline_kernelINS0_13select_configILj256ELj13ELNS0_17block_load_methodE3ELS4_3ELS4_3ELNS0_20block_scan_algorithmE0ELj4294967295EEENS1_25partition_config_selectorILNS1_17partition_subalgoE4EjNS0_10empty_typeEbEEZZNS1_14partition_implILS8_4ELb0ES6_15HIP_vector_typeIjLj2EENS0_17counting_iteratorIjlEEPS9_SG_NS0_5tupleIJPjSI_NS0_16reverse_iteratorISI_EEEEENSH_IJSG_SG_SG_EEES9_SI_JZNS1_25segmented_radix_sort_implINS0_14default_configELb1EPKsPsPKlPlN2at6native12_GLOBAL__N_18offset_tEEE10hipError_tPvRmT1_PNSt15iterator_traitsIS12_E10value_typeET2_T3_PNS13_IS18_E10value_typeET4_jRbjT5_S1E_jjP12ihipStream_tbEUljE_ZNSN_ISO_Lb1ESQ_SR_ST_SU_SY_EESZ_S10_S11_S12_S16_S17_S18_S1B_S1C_jS1D_jS1E_S1E_jjS1G_bEUljE0_EEESZ_S10_S11_S18_S1C_S1E_T6_T7_T9_mT8_S1G_bDpT10_ENKUlT_T0_E_clISt17integral_constantIbLb1EES1T_IbLb0EEEEDaS1P_S1Q_EUlS1P_E_NS1_11comp_targetILNS1_3genE3ELNS1_11target_archE908ELNS1_3gpuE7ELNS1_3repE0EEENS1_30default_config_static_selectorELNS0_4arch9wavefront6targetE0EEEvS12_: ; @_ZN7rocprim17ROCPRIM_400000_NS6detail17trampoline_kernelINS0_13select_configILj256ELj13ELNS0_17block_load_methodE3ELS4_3ELS4_3ELNS0_20block_scan_algorithmE0ELj4294967295EEENS1_25partition_config_selectorILNS1_17partition_subalgoE4EjNS0_10empty_typeEbEEZZNS1_14partition_implILS8_4ELb0ES6_15HIP_vector_typeIjLj2EENS0_17counting_iteratorIjlEEPS9_SG_NS0_5tupleIJPjSI_NS0_16reverse_iteratorISI_EEEEENSH_IJSG_SG_SG_EEES9_SI_JZNS1_25segmented_radix_sort_implINS0_14default_configELb1EPKsPsPKlPlN2at6native12_GLOBAL__N_18offset_tEEE10hipError_tPvRmT1_PNSt15iterator_traitsIS12_E10value_typeET2_T3_PNS13_IS18_E10value_typeET4_jRbjT5_S1E_jjP12ihipStream_tbEUljE_ZNSN_ISO_Lb1ESQ_SR_ST_SU_SY_EESZ_S10_S11_S12_S16_S17_S18_S1B_S1C_jS1D_jS1E_S1E_jjS1G_bEUljE0_EEESZ_S10_S11_S18_S1C_S1E_T6_T7_T9_mT8_S1G_bDpT10_ENKUlT_T0_E_clISt17integral_constantIbLb1EES1T_IbLb0EEEEDaS1P_S1Q_EUlS1P_E_NS1_11comp_targetILNS1_3genE3ELNS1_11target_archE908ELNS1_3gpuE7ELNS1_3repE0EEENS1_30default_config_static_selectorELNS0_4arch9wavefront6targetE0EEEvS12_
; %bb.0:
	.section	.rodata,"a",@progbits
	.p2align	6, 0x0
	.amdhsa_kernel _ZN7rocprim17ROCPRIM_400000_NS6detail17trampoline_kernelINS0_13select_configILj256ELj13ELNS0_17block_load_methodE3ELS4_3ELS4_3ELNS0_20block_scan_algorithmE0ELj4294967295EEENS1_25partition_config_selectorILNS1_17partition_subalgoE4EjNS0_10empty_typeEbEEZZNS1_14partition_implILS8_4ELb0ES6_15HIP_vector_typeIjLj2EENS0_17counting_iteratorIjlEEPS9_SG_NS0_5tupleIJPjSI_NS0_16reverse_iteratorISI_EEEEENSH_IJSG_SG_SG_EEES9_SI_JZNS1_25segmented_radix_sort_implINS0_14default_configELb1EPKsPsPKlPlN2at6native12_GLOBAL__N_18offset_tEEE10hipError_tPvRmT1_PNSt15iterator_traitsIS12_E10value_typeET2_T3_PNS13_IS18_E10value_typeET4_jRbjT5_S1E_jjP12ihipStream_tbEUljE_ZNSN_ISO_Lb1ESQ_SR_ST_SU_SY_EESZ_S10_S11_S12_S16_S17_S18_S1B_S1C_jS1D_jS1E_S1E_jjS1G_bEUljE0_EEESZ_S10_S11_S18_S1C_S1E_T6_T7_T9_mT8_S1G_bDpT10_ENKUlT_T0_E_clISt17integral_constantIbLb1EES1T_IbLb0EEEEDaS1P_S1Q_EUlS1P_E_NS1_11comp_targetILNS1_3genE3ELNS1_11target_archE908ELNS1_3gpuE7ELNS1_3repE0EEENS1_30default_config_static_selectorELNS0_4arch9wavefront6targetE0EEEvS12_
		.amdhsa_group_segment_fixed_size 0
		.amdhsa_private_segment_fixed_size 0
		.amdhsa_kernarg_size 176
		.amdhsa_user_sgpr_count 2
		.amdhsa_user_sgpr_dispatch_ptr 0
		.amdhsa_user_sgpr_queue_ptr 0
		.amdhsa_user_sgpr_kernarg_segment_ptr 1
		.amdhsa_user_sgpr_dispatch_id 0
		.amdhsa_user_sgpr_private_segment_size 0
		.amdhsa_wavefront_size32 1
		.amdhsa_uses_dynamic_stack 0
		.amdhsa_enable_private_segment 0
		.amdhsa_system_sgpr_workgroup_id_x 1
		.amdhsa_system_sgpr_workgroup_id_y 0
		.amdhsa_system_sgpr_workgroup_id_z 0
		.amdhsa_system_sgpr_workgroup_info 0
		.amdhsa_system_vgpr_workitem_id 0
		.amdhsa_next_free_vgpr 1
		.amdhsa_next_free_sgpr 1
		.amdhsa_reserve_vcc 0
		.amdhsa_float_round_mode_32 0
		.amdhsa_float_round_mode_16_64 0
		.amdhsa_float_denorm_mode_32 3
		.amdhsa_float_denorm_mode_16_64 3
		.amdhsa_fp16_overflow 0
		.amdhsa_workgroup_processor_mode 1
		.amdhsa_memory_ordered 1
		.amdhsa_forward_progress 1
		.amdhsa_inst_pref_size 0
		.amdhsa_round_robin_scheduling 0
		.amdhsa_exception_fp_ieee_invalid_op 0
		.amdhsa_exception_fp_denorm_src 0
		.amdhsa_exception_fp_ieee_div_zero 0
		.amdhsa_exception_fp_ieee_overflow 0
		.amdhsa_exception_fp_ieee_underflow 0
		.amdhsa_exception_fp_ieee_inexact 0
		.amdhsa_exception_int_div_zero 0
	.end_amdhsa_kernel
	.section	.text._ZN7rocprim17ROCPRIM_400000_NS6detail17trampoline_kernelINS0_13select_configILj256ELj13ELNS0_17block_load_methodE3ELS4_3ELS4_3ELNS0_20block_scan_algorithmE0ELj4294967295EEENS1_25partition_config_selectorILNS1_17partition_subalgoE4EjNS0_10empty_typeEbEEZZNS1_14partition_implILS8_4ELb0ES6_15HIP_vector_typeIjLj2EENS0_17counting_iteratorIjlEEPS9_SG_NS0_5tupleIJPjSI_NS0_16reverse_iteratorISI_EEEEENSH_IJSG_SG_SG_EEES9_SI_JZNS1_25segmented_radix_sort_implINS0_14default_configELb1EPKsPsPKlPlN2at6native12_GLOBAL__N_18offset_tEEE10hipError_tPvRmT1_PNSt15iterator_traitsIS12_E10value_typeET2_T3_PNS13_IS18_E10value_typeET4_jRbjT5_S1E_jjP12ihipStream_tbEUljE_ZNSN_ISO_Lb1ESQ_SR_ST_SU_SY_EESZ_S10_S11_S12_S16_S17_S18_S1B_S1C_jS1D_jS1E_S1E_jjS1G_bEUljE0_EEESZ_S10_S11_S18_S1C_S1E_T6_T7_T9_mT8_S1G_bDpT10_ENKUlT_T0_E_clISt17integral_constantIbLb1EES1T_IbLb0EEEEDaS1P_S1Q_EUlS1P_E_NS1_11comp_targetILNS1_3genE3ELNS1_11target_archE908ELNS1_3gpuE7ELNS1_3repE0EEENS1_30default_config_static_selectorELNS0_4arch9wavefront6targetE0EEEvS12_,"axG",@progbits,_ZN7rocprim17ROCPRIM_400000_NS6detail17trampoline_kernelINS0_13select_configILj256ELj13ELNS0_17block_load_methodE3ELS4_3ELS4_3ELNS0_20block_scan_algorithmE0ELj4294967295EEENS1_25partition_config_selectorILNS1_17partition_subalgoE4EjNS0_10empty_typeEbEEZZNS1_14partition_implILS8_4ELb0ES6_15HIP_vector_typeIjLj2EENS0_17counting_iteratorIjlEEPS9_SG_NS0_5tupleIJPjSI_NS0_16reverse_iteratorISI_EEEEENSH_IJSG_SG_SG_EEES9_SI_JZNS1_25segmented_radix_sort_implINS0_14default_configELb1EPKsPsPKlPlN2at6native12_GLOBAL__N_18offset_tEEE10hipError_tPvRmT1_PNSt15iterator_traitsIS12_E10value_typeET2_T3_PNS13_IS18_E10value_typeET4_jRbjT5_S1E_jjP12ihipStream_tbEUljE_ZNSN_ISO_Lb1ESQ_SR_ST_SU_SY_EESZ_S10_S11_S12_S16_S17_S18_S1B_S1C_jS1D_jS1E_S1E_jjS1G_bEUljE0_EEESZ_S10_S11_S18_S1C_S1E_T6_T7_T9_mT8_S1G_bDpT10_ENKUlT_T0_E_clISt17integral_constantIbLb1EES1T_IbLb0EEEEDaS1P_S1Q_EUlS1P_E_NS1_11comp_targetILNS1_3genE3ELNS1_11target_archE908ELNS1_3gpuE7ELNS1_3repE0EEENS1_30default_config_static_selectorELNS0_4arch9wavefront6targetE0EEEvS12_,comdat
.Lfunc_end866:
	.size	_ZN7rocprim17ROCPRIM_400000_NS6detail17trampoline_kernelINS0_13select_configILj256ELj13ELNS0_17block_load_methodE3ELS4_3ELS4_3ELNS0_20block_scan_algorithmE0ELj4294967295EEENS1_25partition_config_selectorILNS1_17partition_subalgoE4EjNS0_10empty_typeEbEEZZNS1_14partition_implILS8_4ELb0ES6_15HIP_vector_typeIjLj2EENS0_17counting_iteratorIjlEEPS9_SG_NS0_5tupleIJPjSI_NS0_16reverse_iteratorISI_EEEEENSH_IJSG_SG_SG_EEES9_SI_JZNS1_25segmented_radix_sort_implINS0_14default_configELb1EPKsPsPKlPlN2at6native12_GLOBAL__N_18offset_tEEE10hipError_tPvRmT1_PNSt15iterator_traitsIS12_E10value_typeET2_T3_PNS13_IS18_E10value_typeET4_jRbjT5_S1E_jjP12ihipStream_tbEUljE_ZNSN_ISO_Lb1ESQ_SR_ST_SU_SY_EESZ_S10_S11_S12_S16_S17_S18_S1B_S1C_jS1D_jS1E_S1E_jjS1G_bEUljE0_EEESZ_S10_S11_S18_S1C_S1E_T6_T7_T9_mT8_S1G_bDpT10_ENKUlT_T0_E_clISt17integral_constantIbLb1EES1T_IbLb0EEEEDaS1P_S1Q_EUlS1P_E_NS1_11comp_targetILNS1_3genE3ELNS1_11target_archE908ELNS1_3gpuE7ELNS1_3repE0EEENS1_30default_config_static_selectorELNS0_4arch9wavefront6targetE0EEEvS12_, .Lfunc_end866-_ZN7rocprim17ROCPRIM_400000_NS6detail17trampoline_kernelINS0_13select_configILj256ELj13ELNS0_17block_load_methodE3ELS4_3ELS4_3ELNS0_20block_scan_algorithmE0ELj4294967295EEENS1_25partition_config_selectorILNS1_17partition_subalgoE4EjNS0_10empty_typeEbEEZZNS1_14partition_implILS8_4ELb0ES6_15HIP_vector_typeIjLj2EENS0_17counting_iteratorIjlEEPS9_SG_NS0_5tupleIJPjSI_NS0_16reverse_iteratorISI_EEEEENSH_IJSG_SG_SG_EEES9_SI_JZNS1_25segmented_radix_sort_implINS0_14default_configELb1EPKsPsPKlPlN2at6native12_GLOBAL__N_18offset_tEEE10hipError_tPvRmT1_PNSt15iterator_traitsIS12_E10value_typeET2_T3_PNS13_IS18_E10value_typeET4_jRbjT5_S1E_jjP12ihipStream_tbEUljE_ZNSN_ISO_Lb1ESQ_SR_ST_SU_SY_EESZ_S10_S11_S12_S16_S17_S18_S1B_S1C_jS1D_jS1E_S1E_jjS1G_bEUljE0_EEESZ_S10_S11_S18_S1C_S1E_T6_T7_T9_mT8_S1G_bDpT10_ENKUlT_T0_E_clISt17integral_constantIbLb1EES1T_IbLb0EEEEDaS1P_S1Q_EUlS1P_E_NS1_11comp_targetILNS1_3genE3ELNS1_11target_archE908ELNS1_3gpuE7ELNS1_3repE0EEENS1_30default_config_static_selectorELNS0_4arch9wavefront6targetE0EEEvS12_
                                        ; -- End function
	.set _ZN7rocprim17ROCPRIM_400000_NS6detail17trampoline_kernelINS0_13select_configILj256ELj13ELNS0_17block_load_methodE3ELS4_3ELS4_3ELNS0_20block_scan_algorithmE0ELj4294967295EEENS1_25partition_config_selectorILNS1_17partition_subalgoE4EjNS0_10empty_typeEbEEZZNS1_14partition_implILS8_4ELb0ES6_15HIP_vector_typeIjLj2EENS0_17counting_iteratorIjlEEPS9_SG_NS0_5tupleIJPjSI_NS0_16reverse_iteratorISI_EEEEENSH_IJSG_SG_SG_EEES9_SI_JZNS1_25segmented_radix_sort_implINS0_14default_configELb1EPKsPsPKlPlN2at6native12_GLOBAL__N_18offset_tEEE10hipError_tPvRmT1_PNSt15iterator_traitsIS12_E10value_typeET2_T3_PNS13_IS18_E10value_typeET4_jRbjT5_S1E_jjP12ihipStream_tbEUljE_ZNSN_ISO_Lb1ESQ_SR_ST_SU_SY_EESZ_S10_S11_S12_S16_S17_S18_S1B_S1C_jS1D_jS1E_S1E_jjS1G_bEUljE0_EEESZ_S10_S11_S18_S1C_S1E_T6_T7_T9_mT8_S1G_bDpT10_ENKUlT_T0_E_clISt17integral_constantIbLb1EES1T_IbLb0EEEEDaS1P_S1Q_EUlS1P_E_NS1_11comp_targetILNS1_3genE3ELNS1_11target_archE908ELNS1_3gpuE7ELNS1_3repE0EEENS1_30default_config_static_selectorELNS0_4arch9wavefront6targetE0EEEvS12_.num_vgpr, 0
	.set _ZN7rocprim17ROCPRIM_400000_NS6detail17trampoline_kernelINS0_13select_configILj256ELj13ELNS0_17block_load_methodE3ELS4_3ELS4_3ELNS0_20block_scan_algorithmE0ELj4294967295EEENS1_25partition_config_selectorILNS1_17partition_subalgoE4EjNS0_10empty_typeEbEEZZNS1_14partition_implILS8_4ELb0ES6_15HIP_vector_typeIjLj2EENS0_17counting_iteratorIjlEEPS9_SG_NS0_5tupleIJPjSI_NS0_16reverse_iteratorISI_EEEEENSH_IJSG_SG_SG_EEES9_SI_JZNS1_25segmented_radix_sort_implINS0_14default_configELb1EPKsPsPKlPlN2at6native12_GLOBAL__N_18offset_tEEE10hipError_tPvRmT1_PNSt15iterator_traitsIS12_E10value_typeET2_T3_PNS13_IS18_E10value_typeET4_jRbjT5_S1E_jjP12ihipStream_tbEUljE_ZNSN_ISO_Lb1ESQ_SR_ST_SU_SY_EESZ_S10_S11_S12_S16_S17_S18_S1B_S1C_jS1D_jS1E_S1E_jjS1G_bEUljE0_EEESZ_S10_S11_S18_S1C_S1E_T6_T7_T9_mT8_S1G_bDpT10_ENKUlT_T0_E_clISt17integral_constantIbLb1EES1T_IbLb0EEEEDaS1P_S1Q_EUlS1P_E_NS1_11comp_targetILNS1_3genE3ELNS1_11target_archE908ELNS1_3gpuE7ELNS1_3repE0EEENS1_30default_config_static_selectorELNS0_4arch9wavefront6targetE0EEEvS12_.num_agpr, 0
	.set _ZN7rocprim17ROCPRIM_400000_NS6detail17trampoline_kernelINS0_13select_configILj256ELj13ELNS0_17block_load_methodE3ELS4_3ELS4_3ELNS0_20block_scan_algorithmE0ELj4294967295EEENS1_25partition_config_selectorILNS1_17partition_subalgoE4EjNS0_10empty_typeEbEEZZNS1_14partition_implILS8_4ELb0ES6_15HIP_vector_typeIjLj2EENS0_17counting_iteratorIjlEEPS9_SG_NS0_5tupleIJPjSI_NS0_16reverse_iteratorISI_EEEEENSH_IJSG_SG_SG_EEES9_SI_JZNS1_25segmented_radix_sort_implINS0_14default_configELb1EPKsPsPKlPlN2at6native12_GLOBAL__N_18offset_tEEE10hipError_tPvRmT1_PNSt15iterator_traitsIS12_E10value_typeET2_T3_PNS13_IS18_E10value_typeET4_jRbjT5_S1E_jjP12ihipStream_tbEUljE_ZNSN_ISO_Lb1ESQ_SR_ST_SU_SY_EESZ_S10_S11_S12_S16_S17_S18_S1B_S1C_jS1D_jS1E_S1E_jjS1G_bEUljE0_EEESZ_S10_S11_S18_S1C_S1E_T6_T7_T9_mT8_S1G_bDpT10_ENKUlT_T0_E_clISt17integral_constantIbLb1EES1T_IbLb0EEEEDaS1P_S1Q_EUlS1P_E_NS1_11comp_targetILNS1_3genE3ELNS1_11target_archE908ELNS1_3gpuE7ELNS1_3repE0EEENS1_30default_config_static_selectorELNS0_4arch9wavefront6targetE0EEEvS12_.numbered_sgpr, 0
	.set _ZN7rocprim17ROCPRIM_400000_NS6detail17trampoline_kernelINS0_13select_configILj256ELj13ELNS0_17block_load_methodE3ELS4_3ELS4_3ELNS0_20block_scan_algorithmE0ELj4294967295EEENS1_25partition_config_selectorILNS1_17partition_subalgoE4EjNS0_10empty_typeEbEEZZNS1_14partition_implILS8_4ELb0ES6_15HIP_vector_typeIjLj2EENS0_17counting_iteratorIjlEEPS9_SG_NS0_5tupleIJPjSI_NS0_16reverse_iteratorISI_EEEEENSH_IJSG_SG_SG_EEES9_SI_JZNS1_25segmented_radix_sort_implINS0_14default_configELb1EPKsPsPKlPlN2at6native12_GLOBAL__N_18offset_tEEE10hipError_tPvRmT1_PNSt15iterator_traitsIS12_E10value_typeET2_T3_PNS13_IS18_E10value_typeET4_jRbjT5_S1E_jjP12ihipStream_tbEUljE_ZNSN_ISO_Lb1ESQ_SR_ST_SU_SY_EESZ_S10_S11_S12_S16_S17_S18_S1B_S1C_jS1D_jS1E_S1E_jjS1G_bEUljE0_EEESZ_S10_S11_S18_S1C_S1E_T6_T7_T9_mT8_S1G_bDpT10_ENKUlT_T0_E_clISt17integral_constantIbLb1EES1T_IbLb0EEEEDaS1P_S1Q_EUlS1P_E_NS1_11comp_targetILNS1_3genE3ELNS1_11target_archE908ELNS1_3gpuE7ELNS1_3repE0EEENS1_30default_config_static_selectorELNS0_4arch9wavefront6targetE0EEEvS12_.num_named_barrier, 0
	.set _ZN7rocprim17ROCPRIM_400000_NS6detail17trampoline_kernelINS0_13select_configILj256ELj13ELNS0_17block_load_methodE3ELS4_3ELS4_3ELNS0_20block_scan_algorithmE0ELj4294967295EEENS1_25partition_config_selectorILNS1_17partition_subalgoE4EjNS0_10empty_typeEbEEZZNS1_14partition_implILS8_4ELb0ES6_15HIP_vector_typeIjLj2EENS0_17counting_iteratorIjlEEPS9_SG_NS0_5tupleIJPjSI_NS0_16reverse_iteratorISI_EEEEENSH_IJSG_SG_SG_EEES9_SI_JZNS1_25segmented_radix_sort_implINS0_14default_configELb1EPKsPsPKlPlN2at6native12_GLOBAL__N_18offset_tEEE10hipError_tPvRmT1_PNSt15iterator_traitsIS12_E10value_typeET2_T3_PNS13_IS18_E10value_typeET4_jRbjT5_S1E_jjP12ihipStream_tbEUljE_ZNSN_ISO_Lb1ESQ_SR_ST_SU_SY_EESZ_S10_S11_S12_S16_S17_S18_S1B_S1C_jS1D_jS1E_S1E_jjS1G_bEUljE0_EEESZ_S10_S11_S18_S1C_S1E_T6_T7_T9_mT8_S1G_bDpT10_ENKUlT_T0_E_clISt17integral_constantIbLb1EES1T_IbLb0EEEEDaS1P_S1Q_EUlS1P_E_NS1_11comp_targetILNS1_3genE3ELNS1_11target_archE908ELNS1_3gpuE7ELNS1_3repE0EEENS1_30default_config_static_selectorELNS0_4arch9wavefront6targetE0EEEvS12_.private_seg_size, 0
	.set _ZN7rocprim17ROCPRIM_400000_NS6detail17trampoline_kernelINS0_13select_configILj256ELj13ELNS0_17block_load_methodE3ELS4_3ELS4_3ELNS0_20block_scan_algorithmE0ELj4294967295EEENS1_25partition_config_selectorILNS1_17partition_subalgoE4EjNS0_10empty_typeEbEEZZNS1_14partition_implILS8_4ELb0ES6_15HIP_vector_typeIjLj2EENS0_17counting_iteratorIjlEEPS9_SG_NS0_5tupleIJPjSI_NS0_16reverse_iteratorISI_EEEEENSH_IJSG_SG_SG_EEES9_SI_JZNS1_25segmented_radix_sort_implINS0_14default_configELb1EPKsPsPKlPlN2at6native12_GLOBAL__N_18offset_tEEE10hipError_tPvRmT1_PNSt15iterator_traitsIS12_E10value_typeET2_T3_PNS13_IS18_E10value_typeET4_jRbjT5_S1E_jjP12ihipStream_tbEUljE_ZNSN_ISO_Lb1ESQ_SR_ST_SU_SY_EESZ_S10_S11_S12_S16_S17_S18_S1B_S1C_jS1D_jS1E_S1E_jjS1G_bEUljE0_EEESZ_S10_S11_S18_S1C_S1E_T6_T7_T9_mT8_S1G_bDpT10_ENKUlT_T0_E_clISt17integral_constantIbLb1EES1T_IbLb0EEEEDaS1P_S1Q_EUlS1P_E_NS1_11comp_targetILNS1_3genE3ELNS1_11target_archE908ELNS1_3gpuE7ELNS1_3repE0EEENS1_30default_config_static_selectorELNS0_4arch9wavefront6targetE0EEEvS12_.uses_vcc, 0
	.set _ZN7rocprim17ROCPRIM_400000_NS6detail17trampoline_kernelINS0_13select_configILj256ELj13ELNS0_17block_load_methodE3ELS4_3ELS4_3ELNS0_20block_scan_algorithmE0ELj4294967295EEENS1_25partition_config_selectorILNS1_17partition_subalgoE4EjNS0_10empty_typeEbEEZZNS1_14partition_implILS8_4ELb0ES6_15HIP_vector_typeIjLj2EENS0_17counting_iteratorIjlEEPS9_SG_NS0_5tupleIJPjSI_NS0_16reverse_iteratorISI_EEEEENSH_IJSG_SG_SG_EEES9_SI_JZNS1_25segmented_radix_sort_implINS0_14default_configELb1EPKsPsPKlPlN2at6native12_GLOBAL__N_18offset_tEEE10hipError_tPvRmT1_PNSt15iterator_traitsIS12_E10value_typeET2_T3_PNS13_IS18_E10value_typeET4_jRbjT5_S1E_jjP12ihipStream_tbEUljE_ZNSN_ISO_Lb1ESQ_SR_ST_SU_SY_EESZ_S10_S11_S12_S16_S17_S18_S1B_S1C_jS1D_jS1E_S1E_jjS1G_bEUljE0_EEESZ_S10_S11_S18_S1C_S1E_T6_T7_T9_mT8_S1G_bDpT10_ENKUlT_T0_E_clISt17integral_constantIbLb1EES1T_IbLb0EEEEDaS1P_S1Q_EUlS1P_E_NS1_11comp_targetILNS1_3genE3ELNS1_11target_archE908ELNS1_3gpuE7ELNS1_3repE0EEENS1_30default_config_static_selectorELNS0_4arch9wavefront6targetE0EEEvS12_.uses_flat_scratch, 0
	.set _ZN7rocprim17ROCPRIM_400000_NS6detail17trampoline_kernelINS0_13select_configILj256ELj13ELNS0_17block_load_methodE3ELS4_3ELS4_3ELNS0_20block_scan_algorithmE0ELj4294967295EEENS1_25partition_config_selectorILNS1_17partition_subalgoE4EjNS0_10empty_typeEbEEZZNS1_14partition_implILS8_4ELb0ES6_15HIP_vector_typeIjLj2EENS0_17counting_iteratorIjlEEPS9_SG_NS0_5tupleIJPjSI_NS0_16reverse_iteratorISI_EEEEENSH_IJSG_SG_SG_EEES9_SI_JZNS1_25segmented_radix_sort_implINS0_14default_configELb1EPKsPsPKlPlN2at6native12_GLOBAL__N_18offset_tEEE10hipError_tPvRmT1_PNSt15iterator_traitsIS12_E10value_typeET2_T3_PNS13_IS18_E10value_typeET4_jRbjT5_S1E_jjP12ihipStream_tbEUljE_ZNSN_ISO_Lb1ESQ_SR_ST_SU_SY_EESZ_S10_S11_S12_S16_S17_S18_S1B_S1C_jS1D_jS1E_S1E_jjS1G_bEUljE0_EEESZ_S10_S11_S18_S1C_S1E_T6_T7_T9_mT8_S1G_bDpT10_ENKUlT_T0_E_clISt17integral_constantIbLb1EES1T_IbLb0EEEEDaS1P_S1Q_EUlS1P_E_NS1_11comp_targetILNS1_3genE3ELNS1_11target_archE908ELNS1_3gpuE7ELNS1_3repE0EEENS1_30default_config_static_selectorELNS0_4arch9wavefront6targetE0EEEvS12_.has_dyn_sized_stack, 0
	.set _ZN7rocprim17ROCPRIM_400000_NS6detail17trampoline_kernelINS0_13select_configILj256ELj13ELNS0_17block_load_methodE3ELS4_3ELS4_3ELNS0_20block_scan_algorithmE0ELj4294967295EEENS1_25partition_config_selectorILNS1_17partition_subalgoE4EjNS0_10empty_typeEbEEZZNS1_14partition_implILS8_4ELb0ES6_15HIP_vector_typeIjLj2EENS0_17counting_iteratorIjlEEPS9_SG_NS0_5tupleIJPjSI_NS0_16reverse_iteratorISI_EEEEENSH_IJSG_SG_SG_EEES9_SI_JZNS1_25segmented_radix_sort_implINS0_14default_configELb1EPKsPsPKlPlN2at6native12_GLOBAL__N_18offset_tEEE10hipError_tPvRmT1_PNSt15iterator_traitsIS12_E10value_typeET2_T3_PNS13_IS18_E10value_typeET4_jRbjT5_S1E_jjP12ihipStream_tbEUljE_ZNSN_ISO_Lb1ESQ_SR_ST_SU_SY_EESZ_S10_S11_S12_S16_S17_S18_S1B_S1C_jS1D_jS1E_S1E_jjS1G_bEUljE0_EEESZ_S10_S11_S18_S1C_S1E_T6_T7_T9_mT8_S1G_bDpT10_ENKUlT_T0_E_clISt17integral_constantIbLb1EES1T_IbLb0EEEEDaS1P_S1Q_EUlS1P_E_NS1_11comp_targetILNS1_3genE3ELNS1_11target_archE908ELNS1_3gpuE7ELNS1_3repE0EEENS1_30default_config_static_selectorELNS0_4arch9wavefront6targetE0EEEvS12_.has_recursion, 0
	.set _ZN7rocprim17ROCPRIM_400000_NS6detail17trampoline_kernelINS0_13select_configILj256ELj13ELNS0_17block_load_methodE3ELS4_3ELS4_3ELNS0_20block_scan_algorithmE0ELj4294967295EEENS1_25partition_config_selectorILNS1_17partition_subalgoE4EjNS0_10empty_typeEbEEZZNS1_14partition_implILS8_4ELb0ES6_15HIP_vector_typeIjLj2EENS0_17counting_iteratorIjlEEPS9_SG_NS0_5tupleIJPjSI_NS0_16reverse_iteratorISI_EEEEENSH_IJSG_SG_SG_EEES9_SI_JZNS1_25segmented_radix_sort_implINS0_14default_configELb1EPKsPsPKlPlN2at6native12_GLOBAL__N_18offset_tEEE10hipError_tPvRmT1_PNSt15iterator_traitsIS12_E10value_typeET2_T3_PNS13_IS18_E10value_typeET4_jRbjT5_S1E_jjP12ihipStream_tbEUljE_ZNSN_ISO_Lb1ESQ_SR_ST_SU_SY_EESZ_S10_S11_S12_S16_S17_S18_S1B_S1C_jS1D_jS1E_S1E_jjS1G_bEUljE0_EEESZ_S10_S11_S18_S1C_S1E_T6_T7_T9_mT8_S1G_bDpT10_ENKUlT_T0_E_clISt17integral_constantIbLb1EES1T_IbLb0EEEEDaS1P_S1Q_EUlS1P_E_NS1_11comp_targetILNS1_3genE3ELNS1_11target_archE908ELNS1_3gpuE7ELNS1_3repE0EEENS1_30default_config_static_selectorELNS0_4arch9wavefront6targetE0EEEvS12_.has_indirect_call, 0
	.section	.AMDGPU.csdata,"",@progbits
; Kernel info:
; codeLenInByte = 0
; TotalNumSgprs: 0
; NumVgprs: 0
; ScratchSize: 0
; MemoryBound: 0
; FloatMode: 240
; IeeeMode: 1
; LDSByteSize: 0 bytes/workgroup (compile time only)
; SGPRBlocks: 0
; VGPRBlocks: 0
; NumSGPRsForWavesPerEU: 1
; NumVGPRsForWavesPerEU: 1
; Occupancy: 16
; WaveLimiterHint : 0
; COMPUTE_PGM_RSRC2:SCRATCH_EN: 0
; COMPUTE_PGM_RSRC2:USER_SGPR: 2
; COMPUTE_PGM_RSRC2:TRAP_HANDLER: 0
; COMPUTE_PGM_RSRC2:TGID_X_EN: 1
; COMPUTE_PGM_RSRC2:TGID_Y_EN: 0
; COMPUTE_PGM_RSRC2:TGID_Z_EN: 0
; COMPUTE_PGM_RSRC2:TIDIG_COMP_CNT: 0
	.section	.text._ZN7rocprim17ROCPRIM_400000_NS6detail17trampoline_kernelINS0_13select_configILj256ELj13ELNS0_17block_load_methodE3ELS4_3ELS4_3ELNS0_20block_scan_algorithmE0ELj4294967295EEENS1_25partition_config_selectorILNS1_17partition_subalgoE4EjNS0_10empty_typeEbEEZZNS1_14partition_implILS8_4ELb0ES6_15HIP_vector_typeIjLj2EENS0_17counting_iteratorIjlEEPS9_SG_NS0_5tupleIJPjSI_NS0_16reverse_iteratorISI_EEEEENSH_IJSG_SG_SG_EEES9_SI_JZNS1_25segmented_radix_sort_implINS0_14default_configELb1EPKsPsPKlPlN2at6native12_GLOBAL__N_18offset_tEEE10hipError_tPvRmT1_PNSt15iterator_traitsIS12_E10value_typeET2_T3_PNS13_IS18_E10value_typeET4_jRbjT5_S1E_jjP12ihipStream_tbEUljE_ZNSN_ISO_Lb1ESQ_SR_ST_SU_SY_EESZ_S10_S11_S12_S16_S17_S18_S1B_S1C_jS1D_jS1E_S1E_jjS1G_bEUljE0_EEESZ_S10_S11_S18_S1C_S1E_T6_T7_T9_mT8_S1G_bDpT10_ENKUlT_T0_E_clISt17integral_constantIbLb1EES1T_IbLb0EEEEDaS1P_S1Q_EUlS1P_E_NS1_11comp_targetILNS1_3genE2ELNS1_11target_archE906ELNS1_3gpuE6ELNS1_3repE0EEENS1_30default_config_static_selectorELNS0_4arch9wavefront6targetE0EEEvS12_,"axG",@progbits,_ZN7rocprim17ROCPRIM_400000_NS6detail17trampoline_kernelINS0_13select_configILj256ELj13ELNS0_17block_load_methodE3ELS4_3ELS4_3ELNS0_20block_scan_algorithmE0ELj4294967295EEENS1_25partition_config_selectorILNS1_17partition_subalgoE4EjNS0_10empty_typeEbEEZZNS1_14partition_implILS8_4ELb0ES6_15HIP_vector_typeIjLj2EENS0_17counting_iteratorIjlEEPS9_SG_NS0_5tupleIJPjSI_NS0_16reverse_iteratorISI_EEEEENSH_IJSG_SG_SG_EEES9_SI_JZNS1_25segmented_radix_sort_implINS0_14default_configELb1EPKsPsPKlPlN2at6native12_GLOBAL__N_18offset_tEEE10hipError_tPvRmT1_PNSt15iterator_traitsIS12_E10value_typeET2_T3_PNS13_IS18_E10value_typeET4_jRbjT5_S1E_jjP12ihipStream_tbEUljE_ZNSN_ISO_Lb1ESQ_SR_ST_SU_SY_EESZ_S10_S11_S12_S16_S17_S18_S1B_S1C_jS1D_jS1E_S1E_jjS1G_bEUljE0_EEESZ_S10_S11_S18_S1C_S1E_T6_T7_T9_mT8_S1G_bDpT10_ENKUlT_T0_E_clISt17integral_constantIbLb1EES1T_IbLb0EEEEDaS1P_S1Q_EUlS1P_E_NS1_11comp_targetILNS1_3genE2ELNS1_11target_archE906ELNS1_3gpuE6ELNS1_3repE0EEENS1_30default_config_static_selectorELNS0_4arch9wavefront6targetE0EEEvS12_,comdat
	.globl	_ZN7rocprim17ROCPRIM_400000_NS6detail17trampoline_kernelINS0_13select_configILj256ELj13ELNS0_17block_load_methodE3ELS4_3ELS4_3ELNS0_20block_scan_algorithmE0ELj4294967295EEENS1_25partition_config_selectorILNS1_17partition_subalgoE4EjNS0_10empty_typeEbEEZZNS1_14partition_implILS8_4ELb0ES6_15HIP_vector_typeIjLj2EENS0_17counting_iteratorIjlEEPS9_SG_NS0_5tupleIJPjSI_NS0_16reverse_iteratorISI_EEEEENSH_IJSG_SG_SG_EEES9_SI_JZNS1_25segmented_radix_sort_implINS0_14default_configELb1EPKsPsPKlPlN2at6native12_GLOBAL__N_18offset_tEEE10hipError_tPvRmT1_PNSt15iterator_traitsIS12_E10value_typeET2_T3_PNS13_IS18_E10value_typeET4_jRbjT5_S1E_jjP12ihipStream_tbEUljE_ZNSN_ISO_Lb1ESQ_SR_ST_SU_SY_EESZ_S10_S11_S12_S16_S17_S18_S1B_S1C_jS1D_jS1E_S1E_jjS1G_bEUljE0_EEESZ_S10_S11_S18_S1C_S1E_T6_T7_T9_mT8_S1G_bDpT10_ENKUlT_T0_E_clISt17integral_constantIbLb1EES1T_IbLb0EEEEDaS1P_S1Q_EUlS1P_E_NS1_11comp_targetILNS1_3genE2ELNS1_11target_archE906ELNS1_3gpuE6ELNS1_3repE0EEENS1_30default_config_static_selectorELNS0_4arch9wavefront6targetE0EEEvS12_ ; -- Begin function _ZN7rocprim17ROCPRIM_400000_NS6detail17trampoline_kernelINS0_13select_configILj256ELj13ELNS0_17block_load_methodE3ELS4_3ELS4_3ELNS0_20block_scan_algorithmE0ELj4294967295EEENS1_25partition_config_selectorILNS1_17partition_subalgoE4EjNS0_10empty_typeEbEEZZNS1_14partition_implILS8_4ELb0ES6_15HIP_vector_typeIjLj2EENS0_17counting_iteratorIjlEEPS9_SG_NS0_5tupleIJPjSI_NS0_16reverse_iteratorISI_EEEEENSH_IJSG_SG_SG_EEES9_SI_JZNS1_25segmented_radix_sort_implINS0_14default_configELb1EPKsPsPKlPlN2at6native12_GLOBAL__N_18offset_tEEE10hipError_tPvRmT1_PNSt15iterator_traitsIS12_E10value_typeET2_T3_PNS13_IS18_E10value_typeET4_jRbjT5_S1E_jjP12ihipStream_tbEUljE_ZNSN_ISO_Lb1ESQ_SR_ST_SU_SY_EESZ_S10_S11_S12_S16_S17_S18_S1B_S1C_jS1D_jS1E_S1E_jjS1G_bEUljE0_EEESZ_S10_S11_S18_S1C_S1E_T6_T7_T9_mT8_S1G_bDpT10_ENKUlT_T0_E_clISt17integral_constantIbLb1EES1T_IbLb0EEEEDaS1P_S1Q_EUlS1P_E_NS1_11comp_targetILNS1_3genE2ELNS1_11target_archE906ELNS1_3gpuE6ELNS1_3repE0EEENS1_30default_config_static_selectorELNS0_4arch9wavefront6targetE0EEEvS12_
	.p2align	8
	.type	_ZN7rocprim17ROCPRIM_400000_NS6detail17trampoline_kernelINS0_13select_configILj256ELj13ELNS0_17block_load_methodE3ELS4_3ELS4_3ELNS0_20block_scan_algorithmE0ELj4294967295EEENS1_25partition_config_selectorILNS1_17partition_subalgoE4EjNS0_10empty_typeEbEEZZNS1_14partition_implILS8_4ELb0ES6_15HIP_vector_typeIjLj2EENS0_17counting_iteratorIjlEEPS9_SG_NS0_5tupleIJPjSI_NS0_16reverse_iteratorISI_EEEEENSH_IJSG_SG_SG_EEES9_SI_JZNS1_25segmented_radix_sort_implINS0_14default_configELb1EPKsPsPKlPlN2at6native12_GLOBAL__N_18offset_tEEE10hipError_tPvRmT1_PNSt15iterator_traitsIS12_E10value_typeET2_T3_PNS13_IS18_E10value_typeET4_jRbjT5_S1E_jjP12ihipStream_tbEUljE_ZNSN_ISO_Lb1ESQ_SR_ST_SU_SY_EESZ_S10_S11_S12_S16_S17_S18_S1B_S1C_jS1D_jS1E_S1E_jjS1G_bEUljE0_EEESZ_S10_S11_S18_S1C_S1E_T6_T7_T9_mT8_S1G_bDpT10_ENKUlT_T0_E_clISt17integral_constantIbLb1EES1T_IbLb0EEEEDaS1P_S1Q_EUlS1P_E_NS1_11comp_targetILNS1_3genE2ELNS1_11target_archE906ELNS1_3gpuE6ELNS1_3repE0EEENS1_30default_config_static_selectorELNS0_4arch9wavefront6targetE0EEEvS12_,@function
_ZN7rocprim17ROCPRIM_400000_NS6detail17trampoline_kernelINS0_13select_configILj256ELj13ELNS0_17block_load_methodE3ELS4_3ELS4_3ELNS0_20block_scan_algorithmE0ELj4294967295EEENS1_25partition_config_selectorILNS1_17partition_subalgoE4EjNS0_10empty_typeEbEEZZNS1_14partition_implILS8_4ELb0ES6_15HIP_vector_typeIjLj2EENS0_17counting_iteratorIjlEEPS9_SG_NS0_5tupleIJPjSI_NS0_16reverse_iteratorISI_EEEEENSH_IJSG_SG_SG_EEES9_SI_JZNS1_25segmented_radix_sort_implINS0_14default_configELb1EPKsPsPKlPlN2at6native12_GLOBAL__N_18offset_tEEE10hipError_tPvRmT1_PNSt15iterator_traitsIS12_E10value_typeET2_T3_PNS13_IS18_E10value_typeET4_jRbjT5_S1E_jjP12ihipStream_tbEUljE_ZNSN_ISO_Lb1ESQ_SR_ST_SU_SY_EESZ_S10_S11_S12_S16_S17_S18_S1B_S1C_jS1D_jS1E_S1E_jjS1G_bEUljE0_EEESZ_S10_S11_S18_S1C_S1E_T6_T7_T9_mT8_S1G_bDpT10_ENKUlT_T0_E_clISt17integral_constantIbLb1EES1T_IbLb0EEEEDaS1P_S1Q_EUlS1P_E_NS1_11comp_targetILNS1_3genE2ELNS1_11target_archE906ELNS1_3gpuE6ELNS1_3repE0EEENS1_30default_config_static_selectorELNS0_4arch9wavefront6targetE0EEEvS12_: ; @_ZN7rocprim17ROCPRIM_400000_NS6detail17trampoline_kernelINS0_13select_configILj256ELj13ELNS0_17block_load_methodE3ELS4_3ELS4_3ELNS0_20block_scan_algorithmE0ELj4294967295EEENS1_25partition_config_selectorILNS1_17partition_subalgoE4EjNS0_10empty_typeEbEEZZNS1_14partition_implILS8_4ELb0ES6_15HIP_vector_typeIjLj2EENS0_17counting_iteratorIjlEEPS9_SG_NS0_5tupleIJPjSI_NS0_16reverse_iteratorISI_EEEEENSH_IJSG_SG_SG_EEES9_SI_JZNS1_25segmented_radix_sort_implINS0_14default_configELb1EPKsPsPKlPlN2at6native12_GLOBAL__N_18offset_tEEE10hipError_tPvRmT1_PNSt15iterator_traitsIS12_E10value_typeET2_T3_PNS13_IS18_E10value_typeET4_jRbjT5_S1E_jjP12ihipStream_tbEUljE_ZNSN_ISO_Lb1ESQ_SR_ST_SU_SY_EESZ_S10_S11_S12_S16_S17_S18_S1B_S1C_jS1D_jS1E_S1E_jjS1G_bEUljE0_EEESZ_S10_S11_S18_S1C_S1E_T6_T7_T9_mT8_S1G_bDpT10_ENKUlT_T0_E_clISt17integral_constantIbLb1EES1T_IbLb0EEEEDaS1P_S1Q_EUlS1P_E_NS1_11comp_targetILNS1_3genE2ELNS1_11target_archE906ELNS1_3gpuE6ELNS1_3repE0EEENS1_30default_config_static_selectorELNS0_4arch9wavefront6targetE0EEEvS12_
; %bb.0:
	.section	.rodata,"a",@progbits
	.p2align	6, 0x0
	.amdhsa_kernel _ZN7rocprim17ROCPRIM_400000_NS6detail17trampoline_kernelINS0_13select_configILj256ELj13ELNS0_17block_load_methodE3ELS4_3ELS4_3ELNS0_20block_scan_algorithmE0ELj4294967295EEENS1_25partition_config_selectorILNS1_17partition_subalgoE4EjNS0_10empty_typeEbEEZZNS1_14partition_implILS8_4ELb0ES6_15HIP_vector_typeIjLj2EENS0_17counting_iteratorIjlEEPS9_SG_NS0_5tupleIJPjSI_NS0_16reverse_iteratorISI_EEEEENSH_IJSG_SG_SG_EEES9_SI_JZNS1_25segmented_radix_sort_implINS0_14default_configELb1EPKsPsPKlPlN2at6native12_GLOBAL__N_18offset_tEEE10hipError_tPvRmT1_PNSt15iterator_traitsIS12_E10value_typeET2_T3_PNS13_IS18_E10value_typeET4_jRbjT5_S1E_jjP12ihipStream_tbEUljE_ZNSN_ISO_Lb1ESQ_SR_ST_SU_SY_EESZ_S10_S11_S12_S16_S17_S18_S1B_S1C_jS1D_jS1E_S1E_jjS1G_bEUljE0_EEESZ_S10_S11_S18_S1C_S1E_T6_T7_T9_mT8_S1G_bDpT10_ENKUlT_T0_E_clISt17integral_constantIbLb1EES1T_IbLb0EEEEDaS1P_S1Q_EUlS1P_E_NS1_11comp_targetILNS1_3genE2ELNS1_11target_archE906ELNS1_3gpuE6ELNS1_3repE0EEENS1_30default_config_static_selectorELNS0_4arch9wavefront6targetE0EEEvS12_
		.amdhsa_group_segment_fixed_size 0
		.amdhsa_private_segment_fixed_size 0
		.amdhsa_kernarg_size 176
		.amdhsa_user_sgpr_count 2
		.amdhsa_user_sgpr_dispatch_ptr 0
		.amdhsa_user_sgpr_queue_ptr 0
		.amdhsa_user_sgpr_kernarg_segment_ptr 1
		.amdhsa_user_sgpr_dispatch_id 0
		.amdhsa_user_sgpr_private_segment_size 0
		.amdhsa_wavefront_size32 1
		.amdhsa_uses_dynamic_stack 0
		.amdhsa_enable_private_segment 0
		.amdhsa_system_sgpr_workgroup_id_x 1
		.amdhsa_system_sgpr_workgroup_id_y 0
		.amdhsa_system_sgpr_workgroup_id_z 0
		.amdhsa_system_sgpr_workgroup_info 0
		.amdhsa_system_vgpr_workitem_id 0
		.amdhsa_next_free_vgpr 1
		.amdhsa_next_free_sgpr 1
		.amdhsa_reserve_vcc 0
		.amdhsa_float_round_mode_32 0
		.amdhsa_float_round_mode_16_64 0
		.amdhsa_float_denorm_mode_32 3
		.amdhsa_float_denorm_mode_16_64 3
		.amdhsa_fp16_overflow 0
		.amdhsa_workgroup_processor_mode 1
		.amdhsa_memory_ordered 1
		.amdhsa_forward_progress 1
		.amdhsa_inst_pref_size 0
		.amdhsa_round_robin_scheduling 0
		.amdhsa_exception_fp_ieee_invalid_op 0
		.amdhsa_exception_fp_denorm_src 0
		.amdhsa_exception_fp_ieee_div_zero 0
		.amdhsa_exception_fp_ieee_overflow 0
		.amdhsa_exception_fp_ieee_underflow 0
		.amdhsa_exception_fp_ieee_inexact 0
		.amdhsa_exception_int_div_zero 0
	.end_amdhsa_kernel
	.section	.text._ZN7rocprim17ROCPRIM_400000_NS6detail17trampoline_kernelINS0_13select_configILj256ELj13ELNS0_17block_load_methodE3ELS4_3ELS4_3ELNS0_20block_scan_algorithmE0ELj4294967295EEENS1_25partition_config_selectorILNS1_17partition_subalgoE4EjNS0_10empty_typeEbEEZZNS1_14partition_implILS8_4ELb0ES6_15HIP_vector_typeIjLj2EENS0_17counting_iteratorIjlEEPS9_SG_NS0_5tupleIJPjSI_NS0_16reverse_iteratorISI_EEEEENSH_IJSG_SG_SG_EEES9_SI_JZNS1_25segmented_radix_sort_implINS0_14default_configELb1EPKsPsPKlPlN2at6native12_GLOBAL__N_18offset_tEEE10hipError_tPvRmT1_PNSt15iterator_traitsIS12_E10value_typeET2_T3_PNS13_IS18_E10value_typeET4_jRbjT5_S1E_jjP12ihipStream_tbEUljE_ZNSN_ISO_Lb1ESQ_SR_ST_SU_SY_EESZ_S10_S11_S12_S16_S17_S18_S1B_S1C_jS1D_jS1E_S1E_jjS1G_bEUljE0_EEESZ_S10_S11_S18_S1C_S1E_T6_T7_T9_mT8_S1G_bDpT10_ENKUlT_T0_E_clISt17integral_constantIbLb1EES1T_IbLb0EEEEDaS1P_S1Q_EUlS1P_E_NS1_11comp_targetILNS1_3genE2ELNS1_11target_archE906ELNS1_3gpuE6ELNS1_3repE0EEENS1_30default_config_static_selectorELNS0_4arch9wavefront6targetE0EEEvS12_,"axG",@progbits,_ZN7rocprim17ROCPRIM_400000_NS6detail17trampoline_kernelINS0_13select_configILj256ELj13ELNS0_17block_load_methodE3ELS4_3ELS4_3ELNS0_20block_scan_algorithmE0ELj4294967295EEENS1_25partition_config_selectorILNS1_17partition_subalgoE4EjNS0_10empty_typeEbEEZZNS1_14partition_implILS8_4ELb0ES6_15HIP_vector_typeIjLj2EENS0_17counting_iteratorIjlEEPS9_SG_NS0_5tupleIJPjSI_NS0_16reverse_iteratorISI_EEEEENSH_IJSG_SG_SG_EEES9_SI_JZNS1_25segmented_radix_sort_implINS0_14default_configELb1EPKsPsPKlPlN2at6native12_GLOBAL__N_18offset_tEEE10hipError_tPvRmT1_PNSt15iterator_traitsIS12_E10value_typeET2_T3_PNS13_IS18_E10value_typeET4_jRbjT5_S1E_jjP12ihipStream_tbEUljE_ZNSN_ISO_Lb1ESQ_SR_ST_SU_SY_EESZ_S10_S11_S12_S16_S17_S18_S1B_S1C_jS1D_jS1E_S1E_jjS1G_bEUljE0_EEESZ_S10_S11_S18_S1C_S1E_T6_T7_T9_mT8_S1G_bDpT10_ENKUlT_T0_E_clISt17integral_constantIbLb1EES1T_IbLb0EEEEDaS1P_S1Q_EUlS1P_E_NS1_11comp_targetILNS1_3genE2ELNS1_11target_archE906ELNS1_3gpuE6ELNS1_3repE0EEENS1_30default_config_static_selectorELNS0_4arch9wavefront6targetE0EEEvS12_,comdat
.Lfunc_end867:
	.size	_ZN7rocprim17ROCPRIM_400000_NS6detail17trampoline_kernelINS0_13select_configILj256ELj13ELNS0_17block_load_methodE3ELS4_3ELS4_3ELNS0_20block_scan_algorithmE0ELj4294967295EEENS1_25partition_config_selectorILNS1_17partition_subalgoE4EjNS0_10empty_typeEbEEZZNS1_14partition_implILS8_4ELb0ES6_15HIP_vector_typeIjLj2EENS0_17counting_iteratorIjlEEPS9_SG_NS0_5tupleIJPjSI_NS0_16reverse_iteratorISI_EEEEENSH_IJSG_SG_SG_EEES9_SI_JZNS1_25segmented_radix_sort_implINS0_14default_configELb1EPKsPsPKlPlN2at6native12_GLOBAL__N_18offset_tEEE10hipError_tPvRmT1_PNSt15iterator_traitsIS12_E10value_typeET2_T3_PNS13_IS18_E10value_typeET4_jRbjT5_S1E_jjP12ihipStream_tbEUljE_ZNSN_ISO_Lb1ESQ_SR_ST_SU_SY_EESZ_S10_S11_S12_S16_S17_S18_S1B_S1C_jS1D_jS1E_S1E_jjS1G_bEUljE0_EEESZ_S10_S11_S18_S1C_S1E_T6_T7_T9_mT8_S1G_bDpT10_ENKUlT_T0_E_clISt17integral_constantIbLb1EES1T_IbLb0EEEEDaS1P_S1Q_EUlS1P_E_NS1_11comp_targetILNS1_3genE2ELNS1_11target_archE906ELNS1_3gpuE6ELNS1_3repE0EEENS1_30default_config_static_selectorELNS0_4arch9wavefront6targetE0EEEvS12_, .Lfunc_end867-_ZN7rocprim17ROCPRIM_400000_NS6detail17trampoline_kernelINS0_13select_configILj256ELj13ELNS0_17block_load_methodE3ELS4_3ELS4_3ELNS0_20block_scan_algorithmE0ELj4294967295EEENS1_25partition_config_selectorILNS1_17partition_subalgoE4EjNS0_10empty_typeEbEEZZNS1_14partition_implILS8_4ELb0ES6_15HIP_vector_typeIjLj2EENS0_17counting_iteratorIjlEEPS9_SG_NS0_5tupleIJPjSI_NS0_16reverse_iteratorISI_EEEEENSH_IJSG_SG_SG_EEES9_SI_JZNS1_25segmented_radix_sort_implINS0_14default_configELb1EPKsPsPKlPlN2at6native12_GLOBAL__N_18offset_tEEE10hipError_tPvRmT1_PNSt15iterator_traitsIS12_E10value_typeET2_T3_PNS13_IS18_E10value_typeET4_jRbjT5_S1E_jjP12ihipStream_tbEUljE_ZNSN_ISO_Lb1ESQ_SR_ST_SU_SY_EESZ_S10_S11_S12_S16_S17_S18_S1B_S1C_jS1D_jS1E_S1E_jjS1G_bEUljE0_EEESZ_S10_S11_S18_S1C_S1E_T6_T7_T9_mT8_S1G_bDpT10_ENKUlT_T0_E_clISt17integral_constantIbLb1EES1T_IbLb0EEEEDaS1P_S1Q_EUlS1P_E_NS1_11comp_targetILNS1_3genE2ELNS1_11target_archE906ELNS1_3gpuE6ELNS1_3repE0EEENS1_30default_config_static_selectorELNS0_4arch9wavefront6targetE0EEEvS12_
                                        ; -- End function
	.set _ZN7rocprim17ROCPRIM_400000_NS6detail17trampoline_kernelINS0_13select_configILj256ELj13ELNS0_17block_load_methodE3ELS4_3ELS4_3ELNS0_20block_scan_algorithmE0ELj4294967295EEENS1_25partition_config_selectorILNS1_17partition_subalgoE4EjNS0_10empty_typeEbEEZZNS1_14partition_implILS8_4ELb0ES6_15HIP_vector_typeIjLj2EENS0_17counting_iteratorIjlEEPS9_SG_NS0_5tupleIJPjSI_NS0_16reverse_iteratorISI_EEEEENSH_IJSG_SG_SG_EEES9_SI_JZNS1_25segmented_radix_sort_implINS0_14default_configELb1EPKsPsPKlPlN2at6native12_GLOBAL__N_18offset_tEEE10hipError_tPvRmT1_PNSt15iterator_traitsIS12_E10value_typeET2_T3_PNS13_IS18_E10value_typeET4_jRbjT5_S1E_jjP12ihipStream_tbEUljE_ZNSN_ISO_Lb1ESQ_SR_ST_SU_SY_EESZ_S10_S11_S12_S16_S17_S18_S1B_S1C_jS1D_jS1E_S1E_jjS1G_bEUljE0_EEESZ_S10_S11_S18_S1C_S1E_T6_T7_T9_mT8_S1G_bDpT10_ENKUlT_T0_E_clISt17integral_constantIbLb1EES1T_IbLb0EEEEDaS1P_S1Q_EUlS1P_E_NS1_11comp_targetILNS1_3genE2ELNS1_11target_archE906ELNS1_3gpuE6ELNS1_3repE0EEENS1_30default_config_static_selectorELNS0_4arch9wavefront6targetE0EEEvS12_.num_vgpr, 0
	.set _ZN7rocprim17ROCPRIM_400000_NS6detail17trampoline_kernelINS0_13select_configILj256ELj13ELNS0_17block_load_methodE3ELS4_3ELS4_3ELNS0_20block_scan_algorithmE0ELj4294967295EEENS1_25partition_config_selectorILNS1_17partition_subalgoE4EjNS0_10empty_typeEbEEZZNS1_14partition_implILS8_4ELb0ES6_15HIP_vector_typeIjLj2EENS0_17counting_iteratorIjlEEPS9_SG_NS0_5tupleIJPjSI_NS0_16reverse_iteratorISI_EEEEENSH_IJSG_SG_SG_EEES9_SI_JZNS1_25segmented_radix_sort_implINS0_14default_configELb1EPKsPsPKlPlN2at6native12_GLOBAL__N_18offset_tEEE10hipError_tPvRmT1_PNSt15iterator_traitsIS12_E10value_typeET2_T3_PNS13_IS18_E10value_typeET4_jRbjT5_S1E_jjP12ihipStream_tbEUljE_ZNSN_ISO_Lb1ESQ_SR_ST_SU_SY_EESZ_S10_S11_S12_S16_S17_S18_S1B_S1C_jS1D_jS1E_S1E_jjS1G_bEUljE0_EEESZ_S10_S11_S18_S1C_S1E_T6_T7_T9_mT8_S1G_bDpT10_ENKUlT_T0_E_clISt17integral_constantIbLb1EES1T_IbLb0EEEEDaS1P_S1Q_EUlS1P_E_NS1_11comp_targetILNS1_3genE2ELNS1_11target_archE906ELNS1_3gpuE6ELNS1_3repE0EEENS1_30default_config_static_selectorELNS0_4arch9wavefront6targetE0EEEvS12_.num_agpr, 0
	.set _ZN7rocprim17ROCPRIM_400000_NS6detail17trampoline_kernelINS0_13select_configILj256ELj13ELNS0_17block_load_methodE3ELS4_3ELS4_3ELNS0_20block_scan_algorithmE0ELj4294967295EEENS1_25partition_config_selectorILNS1_17partition_subalgoE4EjNS0_10empty_typeEbEEZZNS1_14partition_implILS8_4ELb0ES6_15HIP_vector_typeIjLj2EENS0_17counting_iteratorIjlEEPS9_SG_NS0_5tupleIJPjSI_NS0_16reverse_iteratorISI_EEEEENSH_IJSG_SG_SG_EEES9_SI_JZNS1_25segmented_radix_sort_implINS0_14default_configELb1EPKsPsPKlPlN2at6native12_GLOBAL__N_18offset_tEEE10hipError_tPvRmT1_PNSt15iterator_traitsIS12_E10value_typeET2_T3_PNS13_IS18_E10value_typeET4_jRbjT5_S1E_jjP12ihipStream_tbEUljE_ZNSN_ISO_Lb1ESQ_SR_ST_SU_SY_EESZ_S10_S11_S12_S16_S17_S18_S1B_S1C_jS1D_jS1E_S1E_jjS1G_bEUljE0_EEESZ_S10_S11_S18_S1C_S1E_T6_T7_T9_mT8_S1G_bDpT10_ENKUlT_T0_E_clISt17integral_constantIbLb1EES1T_IbLb0EEEEDaS1P_S1Q_EUlS1P_E_NS1_11comp_targetILNS1_3genE2ELNS1_11target_archE906ELNS1_3gpuE6ELNS1_3repE0EEENS1_30default_config_static_selectorELNS0_4arch9wavefront6targetE0EEEvS12_.numbered_sgpr, 0
	.set _ZN7rocprim17ROCPRIM_400000_NS6detail17trampoline_kernelINS0_13select_configILj256ELj13ELNS0_17block_load_methodE3ELS4_3ELS4_3ELNS0_20block_scan_algorithmE0ELj4294967295EEENS1_25partition_config_selectorILNS1_17partition_subalgoE4EjNS0_10empty_typeEbEEZZNS1_14partition_implILS8_4ELb0ES6_15HIP_vector_typeIjLj2EENS0_17counting_iteratorIjlEEPS9_SG_NS0_5tupleIJPjSI_NS0_16reverse_iteratorISI_EEEEENSH_IJSG_SG_SG_EEES9_SI_JZNS1_25segmented_radix_sort_implINS0_14default_configELb1EPKsPsPKlPlN2at6native12_GLOBAL__N_18offset_tEEE10hipError_tPvRmT1_PNSt15iterator_traitsIS12_E10value_typeET2_T3_PNS13_IS18_E10value_typeET4_jRbjT5_S1E_jjP12ihipStream_tbEUljE_ZNSN_ISO_Lb1ESQ_SR_ST_SU_SY_EESZ_S10_S11_S12_S16_S17_S18_S1B_S1C_jS1D_jS1E_S1E_jjS1G_bEUljE0_EEESZ_S10_S11_S18_S1C_S1E_T6_T7_T9_mT8_S1G_bDpT10_ENKUlT_T0_E_clISt17integral_constantIbLb1EES1T_IbLb0EEEEDaS1P_S1Q_EUlS1P_E_NS1_11comp_targetILNS1_3genE2ELNS1_11target_archE906ELNS1_3gpuE6ELNS1_3repE0EEENS1_30default_config_static_selectorELNS0_4arch9wavefront6targetE0EEEvS12_.num_named_barrier, 0
	.set _ZN7rocprim17ROCPRIM_400000_NS6detail17trampoline_kernelINS0_13select_configILj256ELj13ELNS0_17block_load_methodE3ELS4_3ELS4_3ELNS0_20block_scan_algorithmE0ELj4294967295EEENS1_25partition_config_selectorILNS1_17partition_subalgoE4EjNS0_10empty_typeEbEEZZNS1_14partition_implILS8_4ELb0ES6_15HIP_vector_typeIjLj2EENS0_17counting_iteratorIjlEEPS9_SG_NS0_5tupleIJPjSI_NS0_16reverse_iteratorISI_EEEEENSH_IJSG_SG_SG_EEES9_SI_JZNS1_25segmented_radix_sort_implINS0_14default_configELb1EPKsPsPKlPlN2at6native12_GLOBAL__N_18offset_tEEE10hipError_tPvRmT1_PNSt15iterator_traitsIS12_E10value_typeET2_T3_PNS13_IS18_E10value_typeET4_jRbjT5_S1E_jjP12ihipStream_tbEUljE_ZNSN_ISO_Lb1ESQ_SR_ST_SU_SY_EESZ_S10_S11_S12_S16_S17_S18_S1B_S1C_jS1D_jS1E_S1E_jjS1G_bEUljE0_EEESZ_S10_S11_S18_S1C_S1E_T6_T7_T9_mT8_S1G_bDpT10_ENKUlT_T0_E_clISt17integral_constantIbLb1EES1T_IbLb0EEEEDaS1P_S1Q_EUlS1P_E_NS1_11comp_targetILNS1_3genE2ELNS1_11target_archE906ELNS1_3gpuE6ELNS1_3repE0EEENS1_30default_config_static_selectorELNS0_4arch9wavefront6targetE0EEEvS12_.private_seg_size, 0
	.set _ZN7rocprim17ROCPRIM_400000_NS6detail17trampoline_kernelINS0_13select_configILj256ELj13ELNS0_17block_load_methodE3ELS4_3ELS4_3ELNS0_20block_scan_algorithmE0ELj4294967295EEENS1_25partition_config_selectorILNS1_17partition_subalgoE4EjNS0_10empty_typeEbEEZZNS1_14partition_implILS8_4ELb0ES6_15HIP_vector_typeIjLj2EENS0_17counting_iteratorIjlEEPS9_SG_NS0_5tupleIJPjSI_NS0_16reverse_iteratorISI_EEEEENSH_IJSG_SG_SG_EEES9_SI_JZNS1_25segmented_radix_sort_implINS0_14default_configELb1EPKsPsPKlPlN2at6native12_GLOBAL__N_18offset_tEEE10hipError_tPvRmT1_PNSt15iterator_traitsIS12_E10value_typeET2_T3_PNS13_IS18_E10value_typeET4_jRbjT5_S1E_jjP12ihipStream_tbEUljE_ZNSN_ISO_Lb1ESQ_SR_ST_SU_SY_EESZ_S10_S11_S12_S16_S17_S18_S1B_S1C_jS1D_jS1E_S1E_jjS1G_bEUljE0_EEESZ_S10_S11_S18_S1C_S1E_T6_T7_T9_mT8_S1G_bDpT10_ENKUlT_T0_E_clISt17integral_constantIbLb1EES1T_IbLb0EEEEDaS1P_S1Q_EUlS1P_E_NS1_11comp_targetILNS1_3genE2ELNS1_11target_archE906ELNS1_3gpuE6ELNS1_3repE0EEENS1_30default_config_static_selectorELNS0_4arch9wavefront6targetE0EEEvS12_.uses_vcc, 0
	.set _ZN7rocprim17ROCPRIM_400000_NS6detail17trampoline_kernelINS0_13select_configILj256ELj13ELNS0_17block_load_methodE3ELS4_3ELS4_3ELNS0_20block_scan_algorithmE0ELj4294967295EEENS1_25partition_config_selectorILNS1_17partition_subalgoE4EjNS0_10empty_typeEbEEZZNS1_14partition_implILS8_4ELb0ES6_15HIP_vector_typeIjLj2EENS0_17counting_iteratorIjlEEPS9_SG_NS0_5tupleIJPjSI_NS0_16reverse_iteratorISI_EEEEENSH_IJSG_SG_SG_EEES9_SI_JZNS1_25segmented_radix_sort_implINS0_14default_configELb1EPKsPsPKlPlN2at6native12_GLOBAL__N_18offset_tEEE10hipError_tPvRmT1_PNSt15iterator_traitsIS12_E10value_typeET2_T3_PNS13_IS18_E10value_typeET4_jRbjT5_S1E_jjP12ihipStream_tbEUljE_ZNSN_ISO_Lb1ESQ_SR_ST_SU_SY_EESZ_S10_S11_S12_S16_S17_S18_S1B_S1C_jS1D_jS1E_S1E_jjS1G_bEUljE0_EEESZ_S10_S11_S18_S1C_S1E_T6_T7_T9_mT8_S1G_bDpT10_ENKUlT_T0_E_clISt17integral_constantIbLb1EES1T_IbLb0EEEEDaS1P_S1Q_EUlS1P_E_NS1_11comp_targetILNS1_3genE2ELNS1_11target_archE906ELNS1_3gpuE6ELNS1_3repE0EEENS1_30default_config_static_selectorELNS0_4arch9wavefront6targetE0EEEvS12_.uses_flat_scratch, 0
	.set _ZN7rocprim17ROCPRIM_400000_NS6detail17trampoline_kernelINS0_13select_configILj256ELj13ELNS0_17block_load_methodE3ELS4_3ELS4_3ELNS0_20block_scan_algorithmE0ELj4294967295EEENS1_25partition_config_selectorILNS1_17partition_subalgoE4EjNS0_10empty_typeEbEEZZNS1_14partition_implILS8_4ELb0ES6_15HIP_vector_typeIjLj2EENS0_17counting_iteratorIjlEEPS9_SG_NS0_5tupleIJPjSI_NS0_16reverse_iteratorISI_EEEEENSH_IJSG_SG_SG_EEES9_SI_JZNS1_25segmented_radix_sort_implINS0_14default_configELb1EPKsPsPKlPlN2at6native12_GLOBAL__N_18offset_tEEE10hipError_tPvRmT1_PNSt15iterator_traitsIS12_E10value_typeET2_T3_PNS13_IS18_E10value_typeET4_jRbjT5_S1E_jjP12ihipStream_tbEUljE_ZNSN_ISO_Lb1ESQ_SR_ST_SU_SY_EESZ_S10_S11_S12_S16_S17_S18_S1B_S1C_jS1D_jS1E_S1E_jjS1G_bEUljE0_EEESZ_S10_S11_S18_S1C_S1E_T6_T7_T9_mT8_S1G_bDpT10_ENKUlT_T0_E_clISt17integral_constantIbLb1EES1T_IbLb0EEEEDaS1P_S1Q_EUlS1P_E_NS1_11comp_targetILNS1_3genE2ELNS1_11target_archE906ELNS1_3gpuE6ELNS1_3repE0EEENS1_30default_config_static_selectorELNS0_4arch9wavefront6targetE0EEEvS12_.has_dyn_sized_stack, 0
	.set _ZN7rocprim17ROCPRIM_400000_NS6detail17trampoline_kernelINS0_13select_configILj256ELj13ELNS0_17block_load_methodE3ELS4_3ELS4_3ELNS0_20block_scan_algorithmE0ELj4294967295EEENS1_25partition_config_selectorILNS1_17partition_subalgoE4EjNS0_10empty_typeEbEEZZNS1_14partition_implILS8_4ELb0ES6_15HIP_vector_typeIjLj2EENS0_17counting_iteratorIjlEEPS9_SG_NS0_5tupleIJPjSI_NS0_16reverse_iteratorISI_EEEEENSH_IJSG_SG_SG_EEES9_SI_JZNS1_25segmented_radix_sort_implINS0_14default_configELb1EPKsPsPKlPlN2at6native12_GLOBAL__N_18offset_tEEE10hipError_tPvRmT1_PNSt15iterator_traitsIS12_E10value_typeET2_T3_PNS13_IS18_E10value_typeET4_jRbjT5_S1E_jjP12ihipStream_tbEUljE_ZNSN_ISO_Lb1ESQ_SR_ST_SU_SY_EESZ_S10_S11_S12_S16_S17_S18_S1B_S1C_jS1D_jS1E_S1E_jjS1G_bEUljE0_EEESZ_S10_S11_S18_S1C_S1E_T6_T7_T9_mT8_S1G_bDpT10_ENKUlT_T0_E_clISt17integral_constantIbLb1EES1T_IbLb0EEEEDaS1P_S1Q_EUlS1P_E_NS1_11comp_targetILNS1_3genE2ELNS1_11target_archE906ELNS1_3gpuE6ELNS1_3repE0EEENS1_30default_config_static_selectorELNS0_4arch9wavefront6targetE0EEEvS12_.has_recursion, 0
	.set _ZN7rocprim17ROCPRIM_400000_NS6detail17trampoline_kernelINS0_13select_configILj256ELj13ELNS0_17block_load_methodE3ELS4_3ELS4_3ELNS0_20block_scan_algorithmE0ELj4294967295EEENS1_25partition_config_selectorILNS1_17partition_subalgoE4EjNS0_10empty_typeEbEEZZNS1_14partition_implILS8_4ELb0ES6_15HIP_vector_typeIjLj2EENS0_17counting_iteratorIjlEEPS9_SG_NS0_5tupleIJPjSI_NS0_16reverse_iteratorISI_EEEEENSH_IJSG_SG_SG_EEES9_SI_JZNS1_25segmented_radix_sort_implINS0_14default_configELb1EPKsPsPKlPlN2at6native12_GLOBAL__N_18offset_tEEE10hipError_tPvRmT1_PNSt15iterator_traitsIS12_E10value_typeET2_T3_PNS13_IS18_E10value_typeET4_jRbjT5_S1E_jjP12ihipStream_tbEUljE_ZNSN_ISO_Lb1ESQ_SR_ST_SU_SY_EESZ_S10_S11_S12_S16_S17_S18_S1B_S1C_jS1D_jS1E_S1E_jjS1G_bEUljE0_EEESZ_S10_S11_S18_S1C_S1E_T6_T7_T9_mT8_S1G_bDpT10_ENKUlT_T0_E_clISt17integral_constantIbLb1EES1T_IbLb0EEEEDaS1P_S1Q_EUlS1P_E_NS1_11comp_targetILNS1_3genE2ELNS1_11target_archE906ELNS1_3gpuE6ELNS1_3repE0EEENS1_30default_config_static_selectorELNS0_4arch9wavefront6targetE0EEEvS12_.has_indirect_call, 0
	.section	.AMDGPU.csdata,"",@progbits
; Kernel info:
; codeLenInByte = 0
; TotalNumSgprs: 0
; NumVgprs: 0
; ScratchSize: 0
; MemoryBound: 0
; FloatMode: 240
; IeeeMode: 1
; LDSByteSize: 0 bytes/workgroup (compile time only)
; SGPRBlocks: 0
; VGPRBlocks: 0
; NumSGPRsForWavesPerEU: 1
; NumVGPRsForWavesPerEU: 1
; Occupancy: 16
; WaveLimiterHint : 0
; COMPUTE_PGM_RSRC2:SCRATCH_EN: 0
; COMPUTE_PGM_RSRC2:USER_SGPR: 2
; COMPUTE_PGM_RSRC2:TRAP_HANDLER: 0
; COMPUTE_PGM_RSRC2:TGID_X_EN: 1
; COMPUTE_PGM_RSRC2:TGID_Y_EN: 0
; COMPUTE_PGM_RSRC2:TGID_Z_EN: 0
; COMPUTE_PGM_RSRC2:TIDIG_COMP_CNT: 0
	.section	.text._ZN7rocprim17ROCPRIM_400000_NS6detail17trampoline_kernelINS0_13select_configILj256ELj13ELNS0_17block_load_methodE3ELS4_3ELS4_3ELNS0_20block_scan_algorithmE0ELj4294967295EEENS1_25partition_config_selectorILNS1_17partition_subalgoE4EjNS0_10empty_typeEbEEZZNS1_14partition_implILS8_4ELb0ES6_15HIP_vector_typeIjLj2EENS0_17counting_iteratorIjlEEPS9_SG_NS0_5tupleIJPjSI_NS0_16reverse_iteratorISI_EEEEENSH_IJSG_SG_SG_EEES9_SI_JZNS1_25segmented_radix_sort_implINS0_14default_configELb1EPKsPsPKlPlN2at6native12_GLOBAL__N_18offset_tEEE10hipError_tPvRmT1_PNSt15iterator_traitsIS12_E10value_typeET2_T3_PNS13_IS18_E10value_typeET4_jRbjT5_S1E_jjP12ihipStream_tbEUljE_ZNSN_ISO_Lb1ESQ_SR_ST_SU_SY_EESZ_S10_S11_S12_S16_S17_S18_S1B_S1C_jS1D_jS1E_S1E_jjS1G_bEUljE0_EEESZ_S10_S11_S18_S1C_S1E_T6_T7_T9_mT8_S1G_bDpT10_ENKUlT_T0_E_clISt17integral_constantIbLb1EES1T_IbLb0EEEEDaS1P_S1Q_EUlS1P_E_NS1_11comp_targetILNS1_3genE10ELNS1_11target_archE1200ELNS1_3gpuE4ELNS1_3repE0EEENS1_30default_config_static_selectorELNS0_4arch9wavefront6targetE0EEEvS12_,"axG",@progbits,_ZN7rocprim17ROCPRIM_400000_NS6detail17trampoline_kernelINS0_13select_configILj256ELj13ELNS0_17block_load_methodE3ELS4_3ELS4_3ELNS0_20block_scan_algorithmE0ELj4294967295EEENS1_25partition_config_selectorILNS1_17partition_subalgoE4EjNS0_10empty_typeEbEEZZNS1_14partition_implILS8_4ELb0ES6_15HIP_vector_typeIjLj2EENS0_17counting_iteratorIjlEEPS9_SG_NS0_5tupleIJPjSI_NS0_16reverse_iteratorISI_EEEEENSH_IJSG_SG_SG_EEES9_SI_JZNS1_25segmented_radix_sort_implINS0_14default_configELb1EPKsPsPKlPlN2at6native12_GLOBAL__N_18offset_tEEE10hipError_tPvRmT1_PNSt15iterator_traitsIS12_E10value_typeET2_T3_PNS13_IS18_E10value_typeET4_jRbjT5_S1E_jjP12ihipStream_tbEUljE_ZNSN_ISO_Lb1ESQ_SR_ST_SU_SY_EESZ_S10_S11_S12_S16_S17_S18_S1B_S1C_jS1D_jS1E_S1E_jjS1G_bEUljE0_EEESZ_S10_S11_S18_S1C_S1E_T6_T7_T9_mT8_S1G_bDpT10_ENKUlT_T0_E_clISt17integral_constantIbLb1EES1T_IbLb0EEEEDaS1P_S1Q_EUlS1P_E_NS1_11comp_targetILNS1_3genE10ELNS1_11target_archE1200ELNS1_3gpuE4ELNS1_3repE0EEENS1_30default_config_static_selectorELNS0_4arch9wavefront6targetE0EEEvS12_,comdat
	.globl	_ZN7rocprim17ROCPRIM_400000_NS6detail17trampoline_kernelINS0_13select_configILj256ELj13ELNS0_17block_load_methodE3ELS4_3ELS4_3ELNS0_20block_scan_algorithmE0ELj4294967295EEENS1_25partition_config_selectorILNS1_17partition_subalgoE4EjNS0_10empty_typeEbEEZZNS1_14partition_implILS8_4ELb0ES6_15HIP_vector_typeIjLj2EENS0_17counting_iteratorIjlEEPS9_SG_NS0_5tupleIJPjSI_NS0_16reverse_iteratorISI_EEEEENSH_IJSG_SG_SG_EEES9_SI_JZNS1_25segmented_radix_sort_implINS0_14default_configELb1EPKsPsPKlPlN2at6native12_GLOBAL__N_18offset_tEEE10hipError_tPvRmT1_PNSt15iterator_traitsIS12_E10value_typeET2_T3_PNS13_IS18_E10value_typeET4_jRbjT5_S1E_jjP12ihipStream_tbEUljE_ZNSN_ISO_Lb1ESQ_SR_ST_SU_SY_EESZ_S10_S11_S12_S16_S17_S18_S1B_S1C_jS1D_jS1E_S1E_jjS1G_bEUljE0_EEESZ_S10_S11_S18_S1C_S1E_T6_T7_T9_mT8_S1G_bDpT10_ENKUlT_T0_E_clISt17integral_constantIbLb1EES1T_IbLb0EEEEDaS1P_S1Q_EUlS1P_E_NS1_11comp_targetILNS1_3genE10ELNS1_11target_archE1200ELNS1_3gpuE4ELNS1_3repE0EEENS1_30default_config_static_selectorELNS0_4arch9wavefront6targetE0EEEvS12_ ; -- Begin function _ZN7rocprim17ROCPRIM_400000_NS6detail17trampoline_kernelINS0_13select_configILj256ELj13ELNS0_17block_load_methodE3ELS4_3ELS4_3ELNS0_20block_scan_algorithmE0ELj4294967295EEENS1_25partition_config_selectorILNS1_17partition_subalgoE4EjNS0_10empty_typeEbEEZZNS1_14partition_implILS8_4ELb0ES6_15HIP_vector_typeIjLj2EENS0_17counting_iteratorIjlEEPS9_SG_NS0_5tupleIJPjSI_NS0_16reverse_iteratorISI_EEEEENSH_IJSG_SG_SG_EEES9_SI_JZNS1_25segmented_radix_sort_implINS0_14default_configELb1EPKsPsPKlPlN2at6native12_GLOBAL__N_18offset_tEEE10hipError_tPvRmT1_PNSt15iterator_traitsIS12_E10value_typeET2_T3_PNS13_IS18_E10value_typeET4_jRbjT5_S1E_jjP12ihipStream_tbEUljE_ZNSN_ISO_Lb1ESQ_SR_ST_SU_SY_EESZ_S10_S11_S12_S16_S17_S18_S1B_S1C_jS1D_jS1E_S1E_jjS1G_bEUljE0_EEESZ_S10_S11_S18_S1C_S1E_T6_T7_T9_mT8_S1G_bDpT10_ENKUlT_T0_E_clISt17integral_constantIbLb1EES1T_IbLb0EEEEDaS1P_S1Q_EUlS1P_E_NS1_11comp_targetILNS1_3genE10ELNS1_11target_archE1200ELNS1_3gpuE4ELNS1_3repE0EEENS1_30default_config_static_selectorELNS0_4arch9wavefront6targetE0EEEvS12_
	.p2align	8
	.type	_ZN7rocprim17ROCPRIM_400000_NS6detail17trampoline_kernelINS0_13select_configILj256ELj13ELNS0_17block_load_methodE3ELS4_3ELS4_3ELNS0_20block_scan_algorithmE0ELj4294967295EEENS1_25partition_config_selectorILNS1_17partition_subalgoE4EjNS0_10empty_typeEbEEZZNS1_14partition_implILS8_4ELb0ES6_15HIP_vector_typeIjLj2EENS0_17counting_iteratorIjlEEPS9_SG_NS0_5tupleIJPjSI_NS0_16reverse_iteratorISI_EEEEENSH_IJSG_SG_SG_EEES9_SI_JZNS1_25segmented_radix_sort_implINS0_14default_configELb1EPKsPsPKlPlN2at6native12_GLOBAL__N_18offset_tEEE10hipError_tPvRmT1_PNSt15iterator_traitsIS12_E10value_typeET2_T3_PNS13_IS18_E10value_typeET4_jRbjT5_S1E_jjP12ihipStream_tbEUljE_ZNSN_ISO_Lb1ESQ_SR_ST_SU_SY_EESZ_S10_S11_S12_S16_S17_S18_S1B_S1C_jS1D_jS1E_S1E_jjS1G_bEUljE0_EEESZ_S10_S11_S18_S1C_S1E_T6_T7_T9_mT8_S1G_bDpT10_ENKUlT_T0_E_clISt17integral_constantIbLb1EES1T_IbLb0EEEEDaS1P_S1Q_EUlS1P_E_NS1_11comp_targetILNS1_3genE10ELNS1_11target_archE1200ELNS1_3gpuE4ELNS1_3repE0EEENS1_30default_config_static_selectorELNS0_4arch9wavefront6targetE0EEEvS12_,@function
_ZN7rocprim17ROCPRIM_400000_NS6detail17trampoline_kernelINS0_13select_configILj256ELj13ELNS0_17block_load_methodE3ELS4_3ELS4_3ELNS0_20block_scan_algorithmE0ELj4294967295EEENS1_25partition_config_selectorILNS1_17partition_subalgoE4EjNS0_10empty_typeEbEEZZNS1_14partition_implILS8_4ELb0ES6_15HIP_vector_typeIjLj2EENS0_17counting_iteratorIjlEEPS9_SG_NS0_5tupleIJPjSI_NS0_16reverse_iteratorISI_EEEEENSH_IJSG_SG_SG_EEES9_SI_JZNS1_25segmented_radix_sort_implINS0_14default_configELb1EPKsPsPKlPlN2at6native12_GLOBAL__N_18offset_tEEE10hipError_tPvRmT1_PNSt15iterator_traitsIS12_E10value_typeET2_T3_PNS13_IS18_E10value_typeET4_jRbjT5_S1E_jjP12ihipStream_tbEUljE_ZNSN_ISO_Lb1ESQ_SR_ST_SU_SY_EESZ_S10_S11_S12_S16_S17_S18_S1B_S1C_jS1D_jS1E_S1E_jjS1G_bEUljE0_EEESZ_S10_S11_S18_S1C_S1E_T6_T7_T9_mT8_S1G_bDpT10_ENKUlT_T0_E_clISt17integral_constantIbLb1EES1T_IbLb0EEEEDaS1P_S1Q_EUlS1P_E_NS1_11comp_targetILNS1_3genE10ELNS1_11target_archE1200ELNS1_3gpuE4ELNS1_3repE0EEENS1_30default_config_static_selectorELNS0_4arch9wavefront6targetE0EEEvS12_: ; @_ZN7rocprim17ROCPRIM_400000_NS6detail17trampoline_kernelINS0_13select_configILj256ELj13ELNS0_17block_load_methodE3ELS4_3ELS4_3ELNS0_20block_scan_algorithmE0ELj4294967295EEENS1_25partition_config_selectorILNS1_17partition_subalgoE4EjNS0_10empty_typeEbEEZZNS1_14partition_implILS8_4ELb0ES6_15HIP_vector_typeIjLj2EENS0_17counting_iteratorIjlEEPS9_SG_NS0_5tupleIJPjSI_NS0_16reverse_iteratorISI_EEEEENSH_IJSG_SG_SG_EEES9_SI_JZNS1_25segmented_radix_sort_implINS0_14default_configELb1EPKsPsPKlPlN2at6native12_GLOBAL__N_18offset_tEEE10hipError_tPvRmT1_PNSt15iterator_traitsIS12_E10value_typeET2_T3_PNS13_IS18_E10value_typeET4_jRbjT5_S1E_jjP12ihipStream_tbEUljE_ZNSN_ISO_Lb1ESQ_SR_ST_SU_SY_EESZ_S10_S11_S12_S16_S17_S18_S1B_S1C_jS1D_jS1E_S1E_jjS1G_bEUljE0_EEESZ_S10_S11_S18_S1C_S1E_T6_T7_T9_mT8_S1G_bDpT10_ENKUlT_T0_E_clISt17integral_constantIbLb1EES1T_IbLb0EEEEDaS1P_S1Q_EUlS1P_E_NS1_11comp_targetILNS1_3genE10ELNS1_11target_archE1200ELNS1_3gpuE4ELNS1_3repE0EEENS1_30default_config_static_selectorELNS0_4arch9wavefront6targetE0EEEvS12_
; %bb.0:
	s_endpgm
	.section	.rodata,"a",@progbits
	.p2align	6, 0x0
	.amdhsa_kernel _ZN7rocprim17ROCPRIM_400000_NS6detail17trampoline_kernelINS0_13select_configILj256ELj13ELNS0_17block_load_methodE3ELS4_3ELS4_3ELNS0_20block_scan_algorithmE0ELj4294967295EEENS1_25partition_config_selectorILNS1_17partition_subalgoE4EjNS0_10empty_typeEbEEZZNS1_14partition_implILS8_4ELb0ES6_15HIP_vector_typeIjLj2EENS0_17counting_iteratorIjlEEPS9_SG_NS0_5tupleIJPjSI_NS0_16reverse_iteratorISI_EEEEENSH_IJSG_SG_SG_EEES9_SI_JZNS1_25segmented_radix_sort_implINS0_14default_configELb1EPKsPsPKlPlN2at6native12_GLOBAL__N_18offset_tEEE10hipError_tPvRmT1_PNSt15iterator_traitsIS12_E10value_typeET2_T3_PNS13_IS18_E10value_typeET4_jRbjT5_S1E_jjP12ihipStream_tbEUljE_ZNSN_ISO_Lb1ESQ_SR_ST_SU_SY_EESZ_S10_S11_S12_S16_S17_S18_S1B_S1C_jS1D_jS1E_S1E_jjS1G_bEUljE0_EEESZ_S10_S11_S18_S1C_S1E_T6_T7_T9_mT8_S1G_bDpT10_ENKUlT_T0_E_clISt17integral_constantIbLb1EES1T_IbLb0EEEEDaS1P_S1Q_EUlS1P_E_NS1_11comp_targetILNS1_3genE10ELNS1_11target_archE1200ELNS1_3gpuE4ELNS1_3repE0EEENS1_30default_config_static_selectorELNS0_4arch9wavefront6targetE0EEEvS12_
		.amdhsa_group_segment_fixed_size 0
		.amdhsa_private_segment_fixed_size 0
		.amdhsa_kernarg_size 176
		.amdhsa_user_sgpr_count 2
		.amdhsa_user_sgpr_dispatch_ptr 0
		.amdhsa_user_sgpr_queue_ptr 0
		.amdhsa_user_sgpr_kernarg_segment_ptr 1
		.amdhsa_user_sgpr_dispatch_id 0
		.amdhsa_user_sgpr_private_segment_size 0
		.amdhsa_wavefront_size32 1
		.amdhsa_uses_dynamic_stack 0
		.amdhsa_enable_private_segment 0
		.amdhsa_system_sgpr_workgroup_id_x 1
		.amdhsa_system_sgpr_workgroup_id_y 0
		.amdhsa_system_sgpr_workgroup_id_z 0
		.amdhsa_system_sgpr_workgroup_info 0
		.amdhsa_system_vgpr_workitem_id 0
		.amdhsa_next_free_vgpr 1
		.amdhsa_next_free_sgpr 1
		.amdhsa_reserve_vcc 0
		.amdhsa_float_round_mode_32 0
		.amdhsa_float_round_mode_16_64 0
		.amdhsa_float_denorm_mode_32 3
		.amdhsa_float_denorm_mode_16_64 3
		.amdhsa_fp16_overflow 0
		.amdhsa_workgroup_processor_mode 1
		.amdhsa_memory_ordered 1
		.amdhsa_forward_progress 1
		.amdhsa_inst_pref_size 1
		.amdhsa_round_robin_scheduling 0
		.amdhsa_exception_fp_ieee_invalid_op 0
		.amdhsa_exception_fp_denorm_src 0
		.amdhsa_exception_fp_ieee_div_zero 0
		.amdhsa_exception_fp_ieee_overflow 0
		.amdhsa_exception_fp_ieee_underflow 0
		.amdhsa_exception_fp_ieee_inexact 0
		.amdhsa_exception_int_div_zero 0
	.end_amdhsa_kernel
	.section	.text._ZN7rocprim17ROCPRIM_400000_NS6detail17trampoline_kernelINS0_13select_configILj256ELj13ELNS0_17block_load_methodE3ELS4_3ELS4_3ELNS0_20block_scan_algorithmE0ELj4294967295EEENS1_25partition_config_selectorILNS1_17partition_subalgoE4EjNS0_10empty_typeEbEEZZNS1_14partition_implILS8_4ELb0ES6_15HIP_vector_typeIjLj2EENS0_17counting_iteratorIjlEEPS9_SG_NS0_5tupleIJPjSI_NS0_16reverse_iteratorISI_EEEEENSH_IJSG_SG_SG_EEES9_SI_JZNS1_25segmented_radix_sort_implINS0_14default_configELb1EPKsPsPKlPlN2at6native12_GLOBAL__N_18offset_tEEE10hipError_tPvRmT1_PNSt15iterator_traitsIS12_E10value_typeET2_T3_PNS13_IS18_E10value_typeET4_jRbjT5_S1E_jjP12ihipStream_tbEUljE_ZNSN_ISO_Lb1ESQ_SR_ST_SU_SY_EESZ_S10_S11_S12_S16_S17_S18_S1B_S1C_jS1D_jS1E_S1E_jjS1G_bEUljE0_EEESZ_S10_S11_S18_S1C_S1E_T6_T7_T9_mT8_S1G_bDpT10_ENKUlT_T0_E_clISt17integral_constantIbLb1EES1T_IbLb0EEEEDaS1P_S1Q_EUlS1P_E_NS1_11comp_targetILNS1_3genE10ELNS1_11target_archE1200ELNS1_3gpuE4ELNS1_3repE0EEENS1_30default_config_static_selectorELNS0_4arch9wavefront6targetE0EEEvS12_,"axG",@progbits,_ZN7rocprim17ROCPRIM_400000_NS6detail17trampoline_kernelINS0_13select_configILj256ELj13ELNS0_17block_load_methodE3ELS4_3ELS4_3ELNS0_20block_scan_algorithmE0ELj4294967295EEENS1_25partition_config_selectorILNS1_17partition_subalgoE4EjNS0_10empty_typeEbEEZZNS1_14partition_implILS8_4ELb0ES6_15HIP_vector_typeIjLj2EENS0_17counting_iteratorIjlEEPS9_SG_NS0_5tupleIJPjSI_NS0_16reverse_iteratorISI_EEEEENSH_IJSG_SG_SG_EEES9_SI_JZNS1_25segmented_radix_sort_implINS0_14default_configELb1EPKsPsPKlPlN2at6native12_GLOBAL__N_18offset_tEEE10hipError_tPvRmT1_PNSt15iterator_traitsIS12_E10value_typeET2_T3_PNS13_IS18_E10value_typeET4_jRbjT5_S1E_jjP12ihipStream_tbEUljE_ZNSN_ISO_Lb1ESQ_SR_ST_SU_SY_EESZ_S10_S11_S12_S16_S17_S18_S1B_S1C_jS1D_jS1E_S1E_jjS1G_bEUljE0_EEESZ_S10_S11_S18_S1C_S1E_T6_T7_T9_mT8_S1G_bDpT10_ENKUlT_T0_E_clISt17integral_constantIbLb1EES1T_IbLb0EEEEDaS1P_S1Q_EUlS1P_E_NS1_11comp_targetILNS1_3genE10ELNS1_11target_archE1200ELNS1_3gpuE4ELNS1_3repE0EEENS1_30default_config_static_selectorELNS0_4arch9wavefront6targetE0EEEvS12_,comdat
.Lfunc_end868:
	.size	_ZN7rocprim17ROCPRIM_400000_NS6detail17trampoline_kernelINS0_13select_configILj256ELj13ELNS0_17block_load_methodE3ELS4_3ELS4_3ELNS0_20block_scan_algorithmE0ELj4294967295EEENS1_25partition_config_selectorILNS1_17partition_subalgoE4EjNS0_10empty_typeEbEEZZNS1_14partition_implILS8_4ELb0ES6_15HIP_vector_typeIjLj2EENS0_17counting_iteratorIjlEEPS9_SG_NS0_5tupleIJPjSI_NS0_16reverse_iteratorISI_EEEEENSH_IJSG_SG_SG_EEES9_SI_JZNS1_25segmented_radix_sort_implINS0_14default_configELb1EPKsPsPKlPlN2at6native12_GLOBAL__N_18offset_tEEE10hipError_tPvRmT1_PNSt15iterator_traitsIS12_E10value_typeET2_T3_PNS13_IS18_E10value_typeET4_jRbjT5_S1E_jjP12ihipStream_tbEUljE_ZNSN_ISO_Lb1ESQ_SR_ST_SU_SY_EESZ_S10_S11_S12_S16_S17_S18_S1B_S1C_jS1D_jS1E_S1E_jjS1G_bEUljE0_EEESZ_S10_S11_S18_S1C_S1E_T6_T7_T9_mT8_S1G_bDpT10_ENKUlT_T0_E_clISt17integral_constantIbLb1EES1T_IbLb0EEEEDaS1P_S1Q_EUlS1P_E_NS1_11comp_targetILNS1_3genE10ELNS1_11target_archE1200ELNS1_3gpuE4ELNS1_3repE0EEENS1_30default_config_static_selectorELNS0_4arch9wavefront6targetE0EEEvS12_, .Lfunc_end868-_ZN7rocprim17ROCPRIM_400000_NS6detail17trampoline_kernelINS0_13select_configILj256ELj13ELNS0_17block_load_methodE3ELS4_3ELS4_3ELNS0_20block_scan_algorithmE0ELj4294967295EEENS1_25partition_config_selectorILNS1_17partition_subalgoE4EjNS0_10empty_typeEbEEZZNS1_14partition_implILS8_4ELb0ES6_15HIP_vector_typeIjLj2EENS0_17counting_iteratorIjlEEPS9_SG_NS0_5tupleIJPjSI_NS0_16reverse_iteratorISI_EEEEENSH_IJSG_SG_SG_EEES9_SI_JZNS1_25segmented_radix_sort_implINS0_14default_configELb1EPKsPsPKlPlN2at6native12_GLOBAL__N_18offset_tEEE10hipError_tPvRmT1_PNSt15iterator_traitsIS12_E10value_typeET2_T3_PNS13_IS18_E10value_typeET4_jRbjT5_S1E_jjP12ihipStream_tbEUljE_ZNSN_ISO_Lb1ESQ_SR_ST_SU_SY_EESZ_S10_S11_S12_S16_S17_S18_S1B_S1C_jS1D_jS1E_S1E_jjS1G_bEUljE0_EEESZ_S10_S11_S18_S1C_S1E_T6_T7_T9_mT8_S1G_bDpT10_ENKUlT_T0_E_clISt17integral_constantIbLb1EES1T_IbLb0EEEEDaS1P_S1Q_EUlS1P_E_NS1_11comp_targetILNS1_3genE10ELNS1_11target_archE1200ELNS1_3gpuE4ELNS1_3repE0EEENS1_30default_config_static_selectorELNS0_4arch9wavefront6targetE0EEEvS12_
                                        ; -- End function
	.set _ZN7rocprim17ROCPRIM_400000_NS6detail17trampoline_kernelINS0_13select_configILj256ELj13ELNS0_17block_load_methodE3ELS4_3ELS4_3ELNS0_20block_scan_algorithmE0ELj4294967295EEENS1_25partition_config_selectorILNS1_17partition_subalgoE4EjNS0_10empty_typeEbEEZZNS1_14partition_implILS8_4ELb0ES6_15HIP_vector_typeIjLj2EENS0_17counting_iteratorIjlEEPS9_SG_NS0_5tupleIJPjSI_NS0_16reverse_iteratorISI_EEEEENSH_IJSG_SG_SG_EEES9_SI_JZNS1_25segmented_radix_sort_implINS0_14default_configELb1EPKsPsPKlPlN2at6native12_GLOBAL__N_18offset_tEEE10hipError_tPvRmT1_PNSt15iterator_traitsIS12_E10value_typeET2_T3_PNS13_IS18_E10value_typeET4_jRbjT5_S1E_jjP12ihipStream_tbEUljE_ZNSN_ISO_Lb1ESQ_SR_ST_SU_SY_EESZ_S10_S11_S12_S16_S17_S18_S1B_S1C_jS1D_jS1E_S1E_jjS1G_bEUljE0_EEESZ_S10_S11_S18_S1C_S1E_T6_T7_T9_mT8_S1G_bDpT10_ENKUlT_T0_E_clISt17integral_constantIbLb1EES1T_IbLb0EEEEDaS1P_S1Q_EUlS1P_E_NS1_11comp_targetILNS1_3genE10ELNS1_11target_archE1200ELNS1_3gpuE4ELNS1_3repE0EEENS1_30default_config_static_selectorELNS0_4arch9wavefront6targetE0EEEvS12_.num_vgpr, 0
	.set _ZN7rocprim17ROCPRIM_400000_NS6detail17trampoline_kernelINS0_13select_configILj256ELj13ELNS0_17block_load_methodE3ELS4_3ELS4_3ELNS0_20block_scan_algorithmE0ELj4294967295EEENS1_25partition_config_selectorILNS1_17partition_subalgoE4EjNS0_10empty_typeEbEEZZNS1_14partition_implILS8_4ELb0ES6_15HIP_vector_typeIjLj2EENS0_17counting_iteratorIjlEEPS9_SG_NS0_5tupleIJPjSI_NS0_16reverse_iteratorISI_EEEEENSH_IJSG_SG_SG_EEES9_SI_JZNS1_25segmented_radix_sort_implINS0_14default_configELb1EPKsPsPKlPlN2at6native12_GLOBAL__N_18offset_tEEE10hipError_tPvRmT1_PNSt15iterator_traitsIS12_E10value_typeET2_T3_PNS13_IS18_E10value_typeET4_jRbjT5_S1E_jjP12ihipStream_tbEUljE_ZNSN_ISO_Lb1ESQ_SR_ST_SU_SY_EESZ_S10_S11_S12_S16_S17_S18_S1B_S1C_jS1D_jS1E_S1E_jjS1G_bEUljE0_EEESZ_S10_S11_S18_S1C_S1E_T6_T7_T9_mT8_S1G_bDpT10_ENKUlT_T0_E_clISt17integral_constantIbLb1EES1T_IbLb0EEEEDaS1P_S1Q_EUlS1P_E_NS1_11comp_targetILNS1_3genE10ELNS1_11target_archE1200ELNS1_3gpuE4ELNS1_3repE0EEENS1_30default_config_static_selectorELNS0_4arch9wavefront6targetE0EEEvS12_.num_agpr, 0
	.set _ZN7rocprim17ROCPRIM_400000_NS6detail17trampoline_kernelINS0_13select_configILj256ELj13ELNS0_17block_load_methodE3ELS4_3ELS4_3ELNS0_20block_scan_algorithmE0ELj4294967295EEENS1_25partition_config_selectorILNS1_17partition_subalgoE4EjNS0_10empty_typeEbEEZZNS1_14partition_implILS8_4ELb0ES6_15HIP_vector_typeIjLj2EENS0_17counting_iteratorIjlEEPS9_SG_NS0_5tupleIJPjSI_NS0_16reverse_iteratorISI_EEEEENSH_IJSG_SG_SG_EEES9_SI_JZNS1_25segmented_radix_sort_implINS0_14default_configELb1EPKsPsPKlPlN2at6native12_GLOBAL__N_18offset_tEEE10hipError_tPvRmT1_PNSt15iterator_traitsIS12_E10value_typeET2_T3_PNS13_IS18_E10value_typeET4_jRbjT5_S1E_jjP12ihipStream_tbEUljE_ZNSN_ISO_Lb1ESQ_SR_ST_SU_SY_EESZ_S10_S11_S12_S16_S17_S18_S1B_S1C_jS1D_jS1E_S1E_jjS1G_bEUljE0_EEESZ_S10_S11_S18_S1C_S1E_T6_T7_T9_mT8_S1G_bDpT10_ENKUlT_T0_E_clISt17integral_constantIbLb1EES1T_IbLb0EEEEDaS1P_S1Q_EUlS1P_E_NS1_11comp_targetILNS1_3genE10ELNS1_11target_archE1200ELNS1_3gpuE4ELNS1_3repE0EEENS1_30default_config_static_selectorELNS0_4arch9wavefront6targetE0EEEvS12_.numbered_sgpr, 0
	.set _ZN7rocprim17ROCPRIM_400000_NS6detail17trampoline_kernelINS0_13select_configILj256ELj13ELNS0_17block_load_methodE3ELS4_3ELS4_3ELNS0_20block_scan_algorithmE0ELj4294967295EEENS1_25partition_config_selectorILNS1_17partition_subalgoE4EjNS0_10empty_typeEbEEZZNS1_14partition_implILS8_4ELb0ES6_15HIP_vector_typeIjLj2EENS0_17counting_iteratorIjlEEPS9_SG_NS0_5tupleIJPjSI_NS0_16reverse_iteratorISI_EEEEENSH_IJSG_SG_SG_EEES9_SI_JZNS1_25segmented_radix_sort_implINS0_14default_configELb1EPKsPsPKlPlN2at6native12_GLOBAL__N_18offset_tEEE10hipError_tPvRmT1_PNSt15iterator_traitsIS12_E10value_typeET2_T3_PNS13_IS18_E10value_typeET4_jRbjT5_S1E_jjP12ihipStream_tbEUljE_ZNSN_ISO_Lb1ESQ_SR_ST_SU_SY_EESZ_S10_S11_S12_S16_S17_S18_S1B_S1C_jS1D_jS1E_S1E_jjS1G_bEUljE0_EEESZ_S10_S11_S18_S1C_S1E_T6_T7_T9_mT8_S1G_bDpT10_ENKUlT_T0_E_clISt17integral_constantIbLb1EES1T_IbLb0EEEEDaS1P_S1Q_EUlS1P_E_NS1_11comp_targetILNS1_3genE10ELNS1_11target_archE1200ELNS1_3gpuE4ELNS1_3repE0EEENS1_30default_config_static_selectorELNS0_4arch9wavefront6targetE0EEEvS12_.num_named_barrier, 0
	.set _ZN7rocprim17ROCPRIM_400000_NS6detail17trampoline_kernelINS0_13select_configILj256ELj13ELNS0_17block_load_methodE3ELS4_3ELS4_3ELNS0_20block_scan_algorithmE0ELj4294967295EEENS1_25partition_config_selectorILNS1_17partition_subalgoE4EjNS0_10empty_typeEbEEZZNS1_14partition_implILS8_4ELb0ES6_15HIP_vector_typeIjLj2EENS0_17counting_iteratorIjlEEPS9_SG_NS0_5tupleIJPjSI_NS0_16reverse_iteratorISI_EEEEENSH_IJSG_SG_SG_EEES9_SI_JZNS1_25segmented_radix_sort_implINS0_14default_configELb1EPKsPsPKlPlN2at6native12_GLOBAL__N_18offset_tEEE10hipError_tPvRmT1_PNSt15iterator_traitsIS12_E10value_typeET2_T3_PNS13_IS18_E10value_typeET4_jRbjT5_S1E_jjP12ihipStream_tbEUljE_ZNSN_ISO_Lb1ESQ_SR_ST_SU_SY_EESZ_S10_S11_S12_S16_S17_S18_S1B_S1C_jS1D_jS1E_S1E_jjS1G_bEUljE0_EEESZ_S10_S11_S18_S1C_S1E_T6_T7_T9_mT8_S1G_bDpT10_ENKUlT_T0_E_clISt17integral_constantIbLb1EES1T_IbLb0EEEEDaS1P_S1Q_EUlS1P_E_NS1_11comp_targetILNS1_3genE10ELNS1_11target_archE1200ELNS1_3gpuE4ELNS1_3repE0EEENS1_30default_config_static_selectorELNS0_4arch9wavefront6targetE0EEEvS12_.private_seg_size, 0
	.set _ZN7rocprim17ROCPRIM_400000_NS6detail17trampoline_kernelINS0_13select_configILj256ELj13ELNS0_17block_load_methodE3ELS4_3ELS4_3ELNS0_20block_scan_algorithmE0ELj4294967295EEENS1_25partition_config_selectorILNS1_17partition_subalgoE4EjNS0_10empty_typeEbEEZZNS1_14partition_implILS8_4ELb0ES6_15HIP_vector_typeIjLj2EENS0_17counting_iteratorIjlEEPS9_SG_NS0_5tupleIJPjSI_NS0_16reverse_iteratorISI_EEEEENSH_IJSG_SG_SG_EEES9_SI_JZNS1_25segmented_radix_sort_implINS0_14default_configELb1EPKsPsPKlPlN2at6native12_GLOBAL__N_18offset_tEEE10hipError_tPvRmT1_PNSt15iterator_traitsIS12_E10value_typeET2_T3_PNS13_IS18_E10value_typeET4_jRbjT5_S1E_jjP12ihipStream_tbEUljE_ZNSN_ISO_Lb1ESQ_SR_ST_SU_SY_EESZ_S10_S11_S12_S16_S17_S18_S1B_S1C_jS1D_jS1E_S1E_jjS1G_bEUljE0_EEESZ_S10_S11_S18_S1C_S1E_T6_T7_T9_mT8_S1G_bDpT10_ENKUlT_T0_E_clISt17integral_constantIbLb1EES1T_IbLb0EEEEDaS1P_S1Q_EUlS1P_E_NS1_11comp_targetILNS1_3genE10ELNS1_11target_archE1200ELNS1_3gpuE4ELNS1_3repE0EEENS1_30default_config_static_selectorELNS0_4arch9wavefront6targetE0EEEvS12_.uses_vcc, 0
	.set _ZN7rocprim17ROCPRIM_400000_NS6detail17trampoline_kernelINS0_13select_configILj256ELj13ELNS0_17block_load_methodE3ELS4_3ELS4_3ELNS0_20block_scan_algorithmE0ELj4294967295EEENS1_25partition_config_selectorILNS1_17partition_subalgoE4EjNS0_10empty_typeEbEEZZNS1_14partition_implILS8_4ELb0ES6_15HIP_vector_typeIjLj2EENS0_17counting_iteratorIjlEEPS9_SG_NS0_5tupleIJPjSI_NS0_16reverse_iteratorISI_EEEEENSH_IJSG_SG_SG_EEES9_SI_JZNS1_25segmented_radix_sort_implINS0_14default_configELb1EPKsPsPKlPlN2at6native12_GLOBAL__N_18offset_tEEE10hipError_tPvRmT1_PNSt15iterator_traitsIS12_E10value_typeET2_T3_PNS13_IS18_E10value_typeET4_jRbjT5_S1E_jjP12ihipStream_tbEUljE_ZNSN_ISO_Lb1ESQ_SR_ST_SU_SY_EESZ_S10_S11_S12_S16_S17_S18_S1B_S1C_jS1D_jS1E_S1E_jjS1G_bEUljE0_EEESZ_S10_S11_S18_S1C_S1E_T6_T7_T9_mT8_S1G_bDpT10_ENKUlT_T0_E_clISt17integral_constantIbLb1EES1T_IbLb0EEEEDaS1P_S1Q_EUlS1P_E_NS1_11comp_targetILNS1_3genE10ELNS1_11target_archE1200ELNS1_3gpuE4ELNS1_3repE0EEENS1_30default_config_static_selectorELNS0_4arch9wavefront6targetE0EEEvS12_.uses_flat_scratch, 0
	.set _ZN7rocprim17ROCPRIM_400000_NS6detail17trampoline_kernelINS0_13select_configILj256ELj13ELNS0_17block_load_methodE3ELS4_3ELS4_3ELNS0_20block_scan_algorithmE0ELj4294967295EEENS1_25partition_config_selectorILNS1_17partition_subalgoE4EjNS0_10empty_typeEbEEZZNS1_14partition_implILS8_4ELb0ES6_15HIP_vector_typeIjLj2EENS0_17counting_iteratorIjlEEPS9_SG_NS0_5tupleIJPjSI_NS0_16reverse_iteratorISI_EEEEENSH_IJSG_SG_SG_EEES9_SI_JZNS1_25segmented_radix_sort_implINS0_14default_configELb1EPKsPsPKlPlN2at6native12_GLOBAL__N_18offset_tEEE10hipError_tPvRmT1_PNSt15iterator_traitsIS12_E10value_typeET2_T3_PNS13_IS18_E10value_typeET4_jRbjT5_S1E_jjP12ihipStream_tbEUljE_ZNSN_ISO_Lb1ESQ_SR_ST_SU_SY_EESZ_S10_S11_S12_S16_S17_S18_S1B_S1C_jS1D_jS1E_S1E_jjS1G_bEUljE0_EEESZ_S10_S11_S18_S1C_S1E_T6_T7_T9_mT8_S1G_bDpT10_ENKUlT_T0_E_clISt17integral_constantIbLb1EES1T_IbLb0EEEEDaS1P_S1Q_EUlS1P_E_NS1_11comp_targetILNS1_3genE10ELNS1_11target_archE1200ELNS1_3gpuE4ELNS1_3repE0EEENS1_30default_config_static_selectorELNS0_4arch9wavefront6targetE0EEEvS12_.has_dyn_sized_stack, 0
	.set _ZN7rocprim17ROCPRIM_400000_NS6detail17trampoline_kernelINS0_13select_configILj256ELj13ELNS0_17block_load_methodE3ELS4_3ELS4_3ELNS0_20block_scan_algorithmE0ELj4294967295EEENS1_25partition_config_selectorILNS1_17partition_subalgoE4EjNS0_10empty_typeEbEEZZNS1_14partition_implILS8_4ELb0ES6_15HIP_vector_typeIjLj2EENS0_17counting_iteratorIjlEEPS9_SG_NS0_5tupleIJPjSI_NS0_16reverse_iteratorISI_EEEEENSH_IJSG_SG_SG_EEES9_SI_JZNS1_25segmented_radix_sort_implINS0_14default_configELb1EPKsPsPKlPlN2at6native12_GLOBAL__N_18offset_tEEE10hipError_tPvRmT1_PNSt15iterator_traitsIS12_E10value_typeET2_T3_PNS13_IS18_E10value_typeET4_jRbjT5_S1E_jjP12ihipStream_tbEUljE_ZNSN_ISO_Lb1ESQ_SR_ST_SU_SY_EESZ_S10_S11_S12_S16_S17_S18_S1B_S1C_jS1D_jS1E_S1E_jjS1G_bEUljE0_EEESZ_S10_S11_S18_S1C_S1E_T6_T7_T9_mT8_S1G_bDpT10_ENKUlT_T0_E_clISt17integral_constantIbLb1EES1T_IbLb0EEEEDaS1P_S1Q_EUlS1P_E_NS1_11comp_targetILNS1_3genE10ELNS1_11target_archE1200ELNS1_3gpuE4ELNS1_3repE0EEENS1_30default_config_static_selectorELNS0_4arch9wavefront6targetE0EEEvS12_.has_recursion, 0
	.set _ZN7rocprim17ROCPRIM_400000_NS6detail17trampoline_kernelINS0_13select_configILj256ELj13ELNS0_17block_load_methodE3ELS4_3ELS4_3ELNS0_20block_scan_algorithmE0ELj4294967295EEENS1_25partition_config_selectorILNS1_17partition_subalgoE4EjNS0_10empty_typeEbEEZZNS1_14partition_implILS8_4ELb0ES6_15HIP_vector_typeIjLj2EENS0_17counting_iteratorIjlEEPS9_SG_NS0_5tupleIJPjSI_NS0_16reverse_iteratorISI_EEEEENSH_IJSG_SG_SG_EEES9_SI_JZNS1_25segmented_radix_sort_implINS0_14default_configELb1EPKsPsPKlPlN2at6native12_GLOBAL__N_18offset_tEEE10hipError_tPvRmT1_PNSt15iterator_traitsIS12_E10value_typeET2_T3_PNS13_IS18_E10value_typeET4_jRbjT5_S1E_jjP12ihipStream_tbEUljE_ZNSN_ISO_Lb1ESQ_SR_ST_SU_SY_EESZ_S10_S11_S12_S16_S17_S18_S1B_S1C_jS1D_jS1E_S1E_jjS1G_bEUljE0_EEESZ_S10_S11_S18_S1C_S1E_T6_T7_T9_mT8_S1G_bDpT10_ENKUlT_T0_E_clISt17integral_constantIbLb1EES1T_IbLb0EEEEDaS1P_S1Q_EUlS1P_E_NS1_11comp_targetILNS1_3genE10ELNS1_11target_archE1200ELNS1_3gpuE4ELNS1_3repE0EEENS1_30default_config_static_selectorELNS0_4arch9wavefront6targetE0EEEvS12_.has_indirect_call, 0
	.section	.AMDGPU.csdata,"",@progbits
; Kernel info:
; codeLenInByte = 4
; TotalNumSgprs: 0
; NumVgprs: 0
; ScratchSize: 0
; MemoryBound: 0
; FloatMode: 240
; IeeeMode: 1
; LDSByteSize: 0 bytes/workgroup (compile time only)
; SGPRBlocks: 0
; VGPRBlocks: 0
; NumSGPRsForWavesPerEU: 1
; NumVGPRsForWavesPerEU: 1
; Occupancy: 16
; WaveLimiterHint : 0
; COMPUTE_PGM_RSRC2:SCRATCH_EN: 0
; COMPUTE_PGM_RSRC2:USER_SGPR: 2
; COMPUTE_PGM_RSRC2:TRAP_HANDLER: 0
; COMPUTE_PGM_RSRC2:TGID_X_EN: 1
; COMPUTE_PGM_RSRC2:TGID_Y_EN: 0
; COMPUTE_PGM_RSRC2:TGID_Z_EN: 0
; COMPUTE_PGM_RSRC2:TIDIG_COMP_CNT: 0
	.section	.text._ZN7rocprim17ROCPRIM_400000_NS6detail17trampoline_kernelINS0_13select_configILj256ELj13ELNS0_17block_load_methodE3ELS4_3ELS4_3ELNS0_20block_scan_algorithmE0ELj4294967295EEENS1_25partition_config_selectorILNS1_17partition_subalgoE4EjNS0_10empty_typeEbEEZZNS1_14partition_implILS8_4ELb0ES6_15HIP_vector_typeIjLj2EENS0_17counting_iteratorIjlEEPS9_SG_NS0_5tupleIJPjSI_NS0_16reverse_iteratorISI_EEEEENSH_IJSG_SG_SG_EEES9_SI_JZNS1_25segmented_radix_sort_implINS0_14default_configELb1EPKsPsPKlPlN2at6native12_GLOBAL__N_18offset_tEEE10hipError_tPvRmT1_PNSt15iterator_traitsIS12_E10value_typeET2_T3_PNS13_IS18_E10value_typeET4_jRbjT5_S1E_jjP12ihipStream_tbEUljE_ZNSN_ISO_Lb1ESQ_SR_ST_SU_SY_EESZ_S10_S11_S12_S16_S17_S18_S1B_S1C_jS1D_jS1E_S1E_jjS1G_bEUljE0_EEESZ_S10_S11_S18_S1C_S1E_T6_T7_T9_mT8_S1G_bDpT10_ENKUlT_T0_E_clISt17integral_constantIbLb1EES1T_IbLb0EEEEDaS1P_S1Q_EUlS1P_E_NS1_11comp_targetILNS1_3genE9ELNS1_11target_archE1100ELNS1_3gpuE3ELNS1_3repE0EEENS1_30default_config_static_selectorELNS0_4arch9wavefront6targetE0EEEvS12_,"axG",@progbits,_ZN7rocprim17ROCPRIM_400000_NS6detail17trampoline_kernelINS0_13select_configILj256ELj13ELNS0_17block_load_methodE3ELS4_3ELS4_3ELNS0_20block_scan_algorithmE0ELj4294967295EEENS1_25partition_config_selectorILNS1_17partition_subalgoE4EjNS0_10empty_typeEbEEZZNS1_14partition_implILS8_4ELb0ES6_15HIP_vector_typeIjLj2EENS0_17counting_iteratorIjlEEPS9_SG_NS0_5tupleIJPjSI_NS0_16reverse_iteratorISI_EEEEENSH_IJSG_SG_SG_EEES9_SI_JZNS1_25segmented_radix_sort_implINS0_14default_configELb1EPKsPsPKlPlN2at6native12_GLOBAL__N_18offset_tEEE10hipError_tPvRmT1_PNSt15iterator_traitsIS12_E10value_typeET2_T3_PNS13_IS18_E10value_typeET4_jRbjT5_S1E_jjP12ihipStream_tbEUljE_ZNSN_ISO_Lb1ESQ_SR_ST_SU_SY_EESZ_S10_S11_S12_S16_S17_S18_S1B_S1C_jS1D_jS1E_S1E_jjS1G_bEUljE0_EEESZ_S10_S11_S18_S1C_S1E_T6_T7_T9_mT8_S1G_bDpT10_ENKUlT_T0_E_clISt17integral_constantIbLb1EES1T_IbLb0EEEEDaS1P_S1Q_EUlS1P_E_NS1_11comp_targetILNS1_3genE9ELNS1_11target_archE1100ELNS1_3gpuE3ELNS1_3repE0EEENS1_30default_config_static_selectorELNS0_4arch9wavefront6targetE0EEEvS12_,comdat
	.globl	_ZN7rocprim17ROCPRIM_400000_NS6detail17trampoline_kernelINS0_13select_configILj256ELj13ELNS0_17block_load_methodE3ELS4_3ELS4_3ELNS0_20block_scan_algorithmE0ELj4294967295EEENS1_25partition_config_selectorILNS1_17partition_subalgoE4EjNS0_10empty_typeEbEEZZNS1_14partition_implILS8_4ELb0ES6_15HIP_vector_typeIjLj2EENS0_17counting_iteratorIjlEEPS9_SG_NS0_5tupleIJPjSI_NS0_16reverse_iteratorISI_EEEEENSH_IJSG_SG_SG_EEES9_SI_JZNS1_25segmented_radix_sort_implINS0_14default_configELb1EPKsPsPKlPlN2at6native12_GLOBAL__N_18offset_tEEE10hipError_tPvRmT1_PNSt15iterator_traitsIS12_E10value_typeET2_T3_PNS13_IS18_E10value_typeET4_jRbjT5_S1E_jjP12ihipStream_tbEUljE_ZNSN_ISO_Lb1ESQ_SR_ST_SU_SY_EESZ_S10_S11_S12_S16_S17_S18_S1B_S1C_jS1D_jS1E_S1E_jjS1G_bEUljE0_EEESZ_S10_S11_S18_S1C_S1E_T6_T7_T9_mT8_S1G_bDpT10_ENKUlT_T0_E_clISt17integral_constantIbLb1EES1T_IbLb0EEEEDaS1P_S1Q_EUlS1P_E_NS1_11comp_targetILNS1_3genE9ELNS1_11target_archE1100ELNS1_3gpuE3ELNS1_3repE0EEENS1_30default_config_static_selectorELNS0_4arch9wavefront6targetE0EEEvS12_ ; -- Begin function _ZN7rocprim17ROCPRIM_400000_NS6detail17trampoline_kernelINS0_13select_configILj256ELj13ELNS0_17block_load_methodE3ELS4_3ELS4_3ELNS0_20block_scan_algorithmE0ELj4294967295EEENS1_25partition_config_selectorILNS1_17partition_subalgoE4EjNS0_10empty_typeEbEEZZNS1_14partition_implILS8_4ELb0ES6_15HIP_vector_typeIjLj2EENS0_17counting_iteratorIjlEEPS9_SG_NS0_5tupleIJPjSI_NS0_16reverse_iteratorISI_EEEEENSH_IJSG_SG_SG_EEES9_SI_JZNS1_25segmented_radix_sort_implINS0_14default_configELb1EPKsPsPKlPlN2at6native12_GLOBAL__N_18offset_tEEE10hipError_tPvRmT1_PNSt15iterator_traitsIS12_E10value_typeET2_T3_PNS13_IS18_E10value_typeET4_jRbjT5_S1E_jjP12ihipStream_tbEUljE_ZNSN_ISO_Lb1ESQ_SR_ST_SU_SY_EESZ_S10_S11_S12_S16_S17_S18_S1B_S1C_jS1D_jS1E_S1E_jjS1G_bEUljE0_EEESZ_S10_S11_S18_S1C_S1E_T6_T7_T9_mT8_S1G_bDpT10_ENKUlT_T0_E_clISt17integral_constantIbLb1EES1T_IbLb0EEEEDaS1P_S1Q_EUlS1P_E_NS1_11comp_targetILNS1_3genE9ELNS1_11target_archE1100ELNS1_3gpuE3ELNS1_3repE0EEENS1_30default_config_static_selectorELNS0_4arch9wavefront6targetE0EEEvS12_
	.p2align	8
	.type	_ZN7rocprim17ROCPRIM_400000_NS6detail17trampoline_kernelINS0_13select_configILj256ELj13ELNS0_17block_load_methodE3ELS4_3ELS4_3ELNS0_20block_scan_algorithmE0ELj4294967295EEENS1_25partition_config_selectorILNS1_17partition_subalgoE4EjNS0_10empty_typeEbEEZZNS1_14partition_implILS8_4ELb0ES6_15HIP_vector_typeIjLj2EENS0_17counting_iteratorIjlEEPS9_SG_NS0_5tupleIJPjSI_NS0_16reverse_iteratorISI_EEEEENSH_IJSG_SG_SG_EEES9_SI_JZNS1_25segmented_radix_sort_implINS0_14default_configELb1EPKsPsPKlPlN2at6native12_GLOBAL__N_18offset_tEEE10hipError_tPvRmT1_PNSt15iterator_traitsIS12_E10value_typeET2_T3_PNS13_IS18_E10value_typeET4_jRbjT5_S1E_jjP12ihipStream_tbEUljE_ZNSN_ISO_Lb1ESQ_SR_ST_SU_SY_EESZ_S10_S11_S12_S16_S17_S18_S1B_S1C_jS1D_jS1E_S1E_jjS1G_bEUljE0_EEESZ_S10_S11_S18_S1C_S1E_T6_T7_T9_mT8_S1G_bDpT10_ENKUlT_T0_E_clISt17integral_constantIbLb1EES1T_IbLb0EEEEDaS1P_S1Q_EUlS1P_E_NS1_11comp_targetILNS1_3genE9ELNS1_11target_archE1100ELNS1_3gpuE3ELNS1_3repE0EEENS1_30default_config_static_selectorELNS0_4arch9wavefront6targetE0EEEvS12_,@function
_ZN7rocprim17ROCPRIM_400000_NS6detail17trampoline_kernelINS0_13select_configILj256ELj13ELNS0_17block_load_methodE3ELS4_3ELS4_3ELNS0_20block_scan_algorithmE0ELj4294967295EEENS1_25partition_config_selectorILNS1_17partition_subalgoE4EjNS0_10empty_typeEbEEZZNS1_14partition_implILS8_4ELb0ES6_15HIP_vector_typeIjLj2EENS0_17counting_iteratorIjlEEPS9_SG_NS0_5tupleIJPjSI_NS0_16reverse_iteratorISI_EEEEENSH_IJSG_SG_SG_EEES9_SI_JZNS1_25segmented_radix_sort_implINS0_14default_configELb1EPKsPsPKlPlN2at6native12_GLOBAL__N_18offset_tEEE10hipError_tPvRmT1_PNSt15iterator_traitsIS12_E10value_typeET2_T3_PNS13_IS18_E10value_typeET4_jRbjT5_S1E_jjP12ihipStream_tbEUljE_ZNSN_ISO_Lb1ESQ_SR_ST_SU_SY_EESZ_S10_S11_S12_S16_S17_S18_S1B_S1C_jS1D_jS1E_S1E_jjS1G_bEUljE0_EEESZ_S10_S11_S18_S1C_S1E_T6_T7_T9_mT8_S1G_bDpT10_ENKUlT_T0_E_clISt17integral_constantIbLb1EES1T_IbLb0EEEEDaS1P_S1Q_EUlS1P_E_NS1_11comp_targetILNS1_3genE9ELNS1_11target_archE1100ELNS1_3gpuE3ELNS1_3repE0EEENS1_30default_config_static_selectorELNS0_4arch9wavefront6targetE0EEEvS12_: ; @_ZN7rocprim17ROCPRIM_400000_NS6detail17trampoline_kernelINS0_13select_configILj256ELj13ELNS0_17block_load_methodE3ELS4_3ELS4_3ELNS0_20block_scan_algorithmE0ELj4294967295EEENS1_25partition_config_selectorILNS1_17partition_subalgoE4EjNS0_10empty_typeEbEEZZNS1_14partition_implILS8_4ELb0ES6_15HIP_vector_typeIjLj2EENS0_17counting_iteratorIjlEEPS9_SG_NS0_5tupleIJPjSI_NS0_16reverse_iteratorISI_EEEEENSH_IJSG_SG_SG_EEES9_SI_JZNS1_25segmented_radix_sort_implINS0_14default_configELb1EPKsPsPKlPlN2at6native12_GLOBAL__N_18offset_tEEE10hipError_tPvRmT1_PNSt15iterator_traitsIS12_E10value_typeET2_T3_PNS13_IS18_E10value_typeET4_jRbjT5_S1E_jjP12ihipStream_tbEUljE_ZNSN_ISO_Lb1ESQ_SR_ST_SU_SY_EESZ_S10_S11_S12_S16_S17_S18_S1B_S1C_jS1D_jS1E_S1E_jjS1G_bEUljE0_EEESZ_S10_S11_S18_S1C_S1E_T6_T7_T9_mT8_S1G_bDpT10_ENKUlT_T0_E_clISt17integral_constantIbLb1EES1T_IbLb0EEEEDaS1P_S1Q_EUlS1P_E_NS1_11comp_targetILNS1_3genE9ELNS1_11target_archE1100ELNS1_3gpuE3ELNS1_3repE0EEENS1_30default_config_static_selectorELNS0_4arch9wavefront6targetE0EEEvS12_
; %bb.0:
	.section	.rodata,"a",@progbits
	.p2align	6, 0x0
	.amdhsa_kernel _ZN7rocprim17ROCPRIM_400000_NS6detail17trampoline_kernelINS0_13select_configILj256ELj13ELNS0_17block_load_methodE3ELS4_3ELS4_3ELNS0_20block_scan_algorithmE0ELj4294967295EEENS1_25partition_config_selectorILNS1_17partition_subalgoE4EjNS0_10empty_typeEbEEZZNS1_14partition_implILS8_4ELb0ES6_15HIP_vector_typeIjLj2EENS0_17counting_iteratorIjlEEPS9_SG_NS0_5tupleIJPjSI_NS0_16reverse_iteratorISI_EEEEENSH_IJSG_SG_SG_EEES9_SI_JZNS1_25segmented_radix_sort_implINS0_14default_configELb1EPKsPsPKlPlN2at6native12_GLOBAL__N_18offset_tEEE10hipError_tPvRmT1_PNSt15iterator_traitsIS12_E10value_typeET2_T3_PNS13_IS18_E10value_typeET4_jRbjT5_S1E_jjP12ihipStream_tbEUljE_ZNSN_ISO_Lb1ESQ_SR_ST_SU_SY_EESZ_S10_S11_S12_S16_S17_S18_S1B_S1C_jS1D_jS1E_S1E_jjS1G_bEUljE0_EEESZ_S10_S11_S18_S1C_S1E_T6_T7_T9_mT8_S1G_bDpT10_ENKUlT_T0_E_clISt17integral_constantIbLb1EES1T_IbLb0EEEEDaS1P_S1Q_EUlS1P_E_NS1_11comp_targetILNS1_3genE9ELNS1_11target_archE1100ELNS1_3gpuE3ELNS1_3repE0EEENS1_30default_config_static_selectorELNS0_4arch9wavefront6targetE0EEEvS12_
		.amdhsa_group_segment_fixed_size 0
		.amdhsa_private_segment_fixed_size 0
		.amdhsa_kernarg_size 176
		.amdhsa_user_sgpr_count 2
		.amdhsa_user_sgpr_dispatch_ptr 0
		.amdhsa_user_sgpr_queue_ptr 0
		.amdhsa_user_sgpr_kernarg_segment_ptr 1
		.amdhsa_user_sgpr_dispatch_id 0
		.amdhsa_user_sgpr_private_segment_size 0
		.amdhsa_wavefront_size32 1
		.amdhsa_uses_dynamic_stack 0
		.amdhsa_enable_private_segment 0
		.amdhsa_system_sgpr_workgroup_id_x 1
		.amdhsa_system_sgpr_workgroup_id_y 0
		.amdhsa_system_sgpr_workgroup_id_z 0
		.amdhsa_system_sgpr_workgroup_info 0
		.amdhsa_system_vgpr_workitem_id 0
		.amdhsa_next_free_vgpr 1
		.amdhsa_next_free_sgpr 1
		.amdhsa_reserve_vcc 0
		.amdhsa_float_round_mode_32 0
		.amdhsa_float_round_mode_16_64 0
		.amdhsa_float_denorm_mode_32 3
		.amdhsa_float_denorm_mode_16_64 3
		.amdhsa_fp16_overflow 0
		.amdhsa_workgroup_processor_mode 1
		.amdhsa_memory_ordered 1
		.amdhsa_forward_progress 1
		.amdhsa_inst_pref_size 0
		.amdhsa_round_robin_scheduling 0
		.amdhsa_exception_fp_ieee_invalid_op 0
		.amdhsa_exception_fp_denorm_src 0
		.amdhsa_exception_fp_ieee_div_zero 0
		.amdhsa_exception_fp_ieee_overflow 0
		.amdhsa_exception_fp_ieee_underflow 0
		.amdhsa_exception_fp_ieee_inexact 0
		.amdhsa_exception_int_div_zero 0
	.end_amdhsa_kernel
	.section	.text._ZN7rocprim17ROCPRIM_400000_NS6detail17trampoline_kernelINS0_13select_configILj256ELj13ELNS0_17block_load_methodE3ELS4_3ELS4_3ELNS0_20block_scan_algorithmE0ELj4294967295EEENS1_25partition_config_selectorILNS1_17partition_subalgoE4EjNS0_10empty_typeEbEEZZNS1_14partition_implILS8_4ELb0ES6_15HIP_vector_typeIjLj2EENS0_17counting_iteratorIjlEEPS9_SG_NS0_5tupleIJPjSI_NS0_16reverse_iteratorISI_EEEEENSH_IJSG_SG_SG_EEES9_SI_JZNS1_25segmented_radix_sort_implINS0_14default_configELb1EPKsPsPKlPlN2at6native12_GLOBAL__N_18offset_tEEE10hipError_tPvRmT1_PNSt15iterator_traitsIS12_E10value_typeET2_T3_PNS13_IS18_E10value_typeET4_jRbjT5_S1E_jjP12ihipStream_tbEUljE_ZNSN_ISO_Lb1ESQ_SR_ST_SU_SY_EESZ_S10_S11_S12_S16_S17_S18_S1B_S1C_jS1D_jS1E_S1E_jjS1G_bEUljE0_EEESZ_S10_S11_S18_S1C_S1E_T6_T7_T9_mT8_S1G_bDpT10_ENKUlT_T0_E_clISt17integral_constantIbLb1EES1T_IbLb0EEEEDaS1P_S1Q_EUlS1P_E_NS1_11comp_targetILNS1_3genE9ELNS1_11target_archE1100ELNS1_3gpuE3ELNS1_3repE0EEENS1_30default_config_static_selectorELNS0_4arch9wavefront6targetE0EEEvS12_,"axG",@progbits,_ZN7rocprim17ROCPRIM_400000_NS6detail17trampoline_kernelINS0_13select_configILj256ELj13ELNS0_17block_load_methodE3ELS4_3ELS4_3ELNS0_20block_scan_algorithmE0ELj4294967295EEENS1_25partition_config_selectorILNS1_17partition_subalgoE4EjNS0_10empty_typeEbEEZZNS1_14partition_implILS8_4ELb0ES6_15HIP_vector_typeIjLj2EENS0_17counting_iteratorIjlEEPS9_SG_NS0_5tupleIJPjSI_NS0_16reverse_iteratorISI_EEEEENSH_IJSG_SG_SG_EEES9_SI_JZNS1_25segmented_radix_sort_implINS0_14default_configELb1EPKsPsPKlPlN2at6native12_GLOBAL__N_18offset_tEEE10hipError_tPvRmT1_PNSt15iterator_traitsIS12_E10value_typeET2_T3_PNS13_IS18_E10value_typeET4_jRbjT5_S1E_jjP12ihipStream_tbEUljE_ZNSN_ISO_Lb1ESQ_SR_ST_SU_SY_EESZ_S10_S11_S12_S16_S17_S18_S1B_S1C_jS1D_jS1E_S1E_jjS1G_bEUljE0_EEESZ_S10_S11_S18_S1C_S1E_T6_T7_T9_mT8_S1G_bDpT10_ENKUlT_T0_E_clISt17integral_constantIbLb1EES1T_IbLb0EEEEDaS1P_S1Q_EUlS1P_E_NS1_11comp_targetILNS1_3genE9ELNS1_11target_archE1100ELNS1_3gpuE3ELNS1_3repE0EEENS1_30default_config_static_selectorELNS0_4arch9wavefront6targetE0EEEvS12_,comdat
.Lfunc_end869:
	.size	_ZN7rocprim17ROCPRIM_400000_NS6detail17trampoline_kernelINS0_13select_configILj256ELj13ELNS0_17block_load_methodE3ELS4_3ELS4_3ELNS0_20block_scan_algorithmE0ELj4294967295EEENS1_25partition_config_selectorILNS1_17partition_subalgoE4EjNS0_10empty_typeEbEEZZNS1_14partition_implILS8_4ELb0ES6_15HIP_vector_typeIjLj2EENS0_17counting_iteratorIjlEEPS9_SG_NS0_5tupleIJPjSI_NS0_16reverse_iteratorISI_EEEEENSH_IJSG_SG_SG_EEES9_SI_JZNS1_25segmented_radix_sort_implINS0_14default_configELb1EPKsPsPKlPlN2at6native12_GLOBAL__N_18offset_tEEE10hipError_tPvRmT1_PNSt15iterator_traitsIS12_E10value_typeET2_T3_PNS13_IS18_E10value_typeET4_jRbjT5_S1E_jjP12ihipStream_tbEUljE_ZNSN_ISO_Lb1ESQ_SR_ST_SU_SY_EESZ_S10_S11_S12_S16_S17_S18_S1B_S1C_jS1D_jS1E_S1E_jjS1G_bEUljE0_EEESZ_S10_S11_S18_S1C_S1E_T6_T7_T9_mT8_S1G_bDpT10_ENKUlT_T0_E_clISt17integral_constantIbLb1EES1T_IbLb0EEEEDaS1P_S1Q_EUlS1P_E_NS1_11comp_targetILNS1_3genE9ELNS1_11target_archE1100ELNS1_3gpuE3ELNS1_3repE0EEENS1_30default_config_static_selectorELNS0_4arch9wavefront6targetE0EEEvS12_, .Lfunc_end869-_ZN7rocprim17ROCPRIM_400000_NS6detail17trampoline_kernelINS0_13select_configILj256ELj13ELNS0_17block_load_methodE3ELS4_3ELS4_3ELNS0_20block_scan_algorithmE0ELj4294967295EEENS1_25partition_config_selectorILNS1_17partition_subalgoE4EjNS0_10empty_typeEbEEZZNS1_14partition_implILS8_4ELb0ES6_15HIP_vector_typeIjLj2EENS0_17counting_iteratorIjlEEPS9_SG_NS0_5tupleIJPjSI_NS0_16reverse_iteratorISI_EEEEENSH_IJSG_SG_SG_EEES9_SI_JZNS1_25segmented_radix_sort_implINS0_14default_configELb1EPKsPsPKlPlN2at6native12_GLOBAL__N_18offset_tEEE10hipError_tPvRmT1_PNSt15iterator_traitsIS12_E10value_typeET2_T3_PNS13_IS18_E10value_typeET4_jRbjT5_S1E_jjP12ihipStream_tbEUljE_ZNSN_ISO_Lb1ESQ_SR_ST_SU_SY_EESZ_S10_S11_S12_S16_S17_S18_S1B_S1C_jS1D_jS1E_S1E_jjS1G_bEUljE0_EEESZ_S10_S11_S18_S1C_S1E_T6_T7_T9_mT8_S1G_bDpT10_ENKUlT_T0_E_clISt17integral_constantIbLb1EES1T_IbLb0EEEEDaS1P_S1Q_EUlS1P_E_NS1_11comp_targetILNS1_3genE9ELNS1_11target_archE1100ELNS1_3gpuE3ELNS1_3repE0EEENS1_30default_config_static_selectorELNS0_4arch9wavefront6targetE0EEEvS12_
                                        ; -- End function
	.set _ZN7rocprim17ROCPRIM_400000_NS6detail17trampoline_kernelINS0_13select_configILj256ELj13ELNS0_17block_load_methodE3ELS4_3ELS4_3ELNS0_20block_scan_algorithmE0ELj4294967295EEENS1_25partition_config_selectorILNS1_17partition_subalgoE4EjNS0_10empty_typeEbEEZZNS1_14partition_implILS8_4ELb0ES6_15HIP_vector_typeIjLj2EENS0_17counting_iteratorIjlEEPS9_SG_NS0_5tupleIJPjSI_NS0_16reverse_iteratorISI_EEEEENSH_IJSG_SG_SG_EEES9_SI_JZNS1_25segmented_radix_sort_implINS0_14default_configELb1EPKsPsPKlPlN2at6native12_GLOBAL__N_18offset_tEEE10hipError_tPvRmT1_PNSt15iterator_traitsIS12_E10value_typeET2_T3_PNS13_IS18_E10value_typeET4_jRbjT5_S1E_jjP12ihipStream_tbEUljE_ZNSN_ISO_Lb1ESQ_SR_ST_SU_SY_EESZ_S10_S11_S12_S16_S17_S18_S1B_S1C_jS1D_jS1E_S1E_jjS1G_bEUljE0_EEESZ_S10_S11_S18_S1C_S1E_T6_T7_T9_mT8_S1G_bDpT10_ENKUlT_T0_E_clISt17integral_constantIbLb1EES1T_IbLb0EEEEDaS1P_S1Q_EUlS1P_E_NS1_11comp_targetILNS1_3genE9ELNS1_11target_archE1100ELNS1_3gpuE3ELNS1_3repE0EEENS1_30default_config_static_selectorELNS0_4arch9wavefront6targetE0EEEvS12_.num_vgpr, 0
	.set _ZN7rocprim17ROCPRIM_400000_NS6detail17trampoline_kernelINS0_13select_configILj256ELj13ELNS0_17block_load_methodE3ELS4_3ELS4_3ELNS0_20block_scan_algorithmE0ELj4294967295EEENS1_25partition_config_selectorILNS1_17partition_subalgoE4EjNS0_10empty_typeEbEEZZNS1_14partition_implILS8_4ELb0ES6_15HIP_vector_typeIjLj2EENS0_17counting_iteratorIjlEEPS9_SG_NS0_5tupleIJPjSI_NS0_16reverse_iteratorISI_EEEEENSH_IJSG_SG_SG_EEES9_SI_JZNS1_25segmented_radix_sort_implINS0_14default_configELb1EPKsPsPKlPlN2at6native12_GLOBAL__N_18offset_tEEE10hipError_tPvRmT1_PNSt15iterator_traitsIS12_E10value_typeET2_T3_PNS13_IS18_E10value_typeET4_jRbjT5_S1E_jjP12ihipStream_tbEUljE_ZNSN_ISO_Lb1ESQ_SR_ST_SU_SY_EESZ_S10_S11_S12_S16_S17_S18_S1B_S1C_jS1D_jS1E_S1E_jjS1G_bEUljE0_EEESZ_S10_S11_S18_S1C_S1E_T6_T7_T9_mT8_S1G_bDpT10_ENKUlT_T0_E_clISt17integral_constantIbLb1EES1T_IbLb0EEEEDaS1P_S1Q_EUlS1P_E_NS1_11comp_targetILNS1_3genE9ELNS1_11target_archE1100ELNS1_3gpuE3ELNS1_3repE0EEENS1_30default_config_static_selectorELNS0_4arch9wavefront6targetE0EEEvS12_.num_agpr, 0
	.set _ZN7rocprim17ROCPRIM_400000_NS6detail17trampoline_kernelINS0_13select_configILj256ELj13ELNS0_17block_load_methodE3ELS4_3ELS4_3ELNS0_20block_scan_algorithmE0ELj4294967295EEENS1_25partition_config_selectorILNS1_17partition_subalgoE4EjNS0_10empty_typeEbEEZZNS1_14partition_implILS8_4ELb0ES6_15HIP_vector_typeIjLj2EENS0_17counting_iteratorIjlEEPS9_SG_NS0_5tupleIJPjSI_NS0_16reverse_iteratorISI_EEEEENSH_IJSG_SG_SG_EEES9_SI_JZNS1_25segmented_radix_sort_implINS0_14default_configELb1EPKsPsPKlPlN2at6native12_GLOBAL__N_18offset_tEEE10hipError_tPvRmT1_PNSt15iterator_traitsIS12_E10value_typeET2_T3_PNS13_IS18_E10value_typeET4_jRbjT5_S1E_jjP12ihipStream_tbEUljE_ZNSN_ISO_Lb1ESQ_SR_ST_SU_SY_EESZ_S10_S11_S12_S16_S17_S18_S1B_S1C_jS1D_jS1E_S1E_jjS1G_bEUljE0_EEESZ_S10_S11_S18_S1C_S1E_T6_T7_T9_mT8_S1G_bDpT10_ENKUlT_T0_E_clISt17integral_constantIbLb1EES1T_IbLb0EEEEDaS1P_S1Q_EUlS1P_E_NS1_11comp_targetILNS1_3genE9ELNS1_11target_archE1100ELNS1_3gpuE3ELNS1_3repE0EEENS1_30default_config_static_selectorELNS0_4arch9wavefront6targetE0EEEvS12_.numbered_sgpr, 0
	.set _ZN7rocprim17ROCPRIM_400000_NS6detail17trampoline_kernelINS0_13select_configILj256ELj13ELNS0_17block_load_methodE3ELS4_3ELS4_3ELNS0_20block_scan_algorithmE0ELj4294967295EEENS1_25partition_config_selectorILNS1_17partition_subalgoE4EjNS0_10empty_typeEbEEZZNS1_14partition_implILS8_4ELb0ES6_15HIP_vector_typeIjLj2EENS0_17counting_iteratorIjlEEPS9_SG_NS0_5tupleIJPjSI_NS0_16reverse_iteratorISI_EEEEENSH_IJSG_SG_SG_EEES9_SI_JZNS1_25segmented_radix_sort_implINS0_14default_configELb1EPKsPsPKlPlN2at6native12_GLOBAL__N_18offset_tEEE10hipError_tPvRmT1_PNSt15iterator_traitsIS12_E10value_typeET2_T3_PNS13_IS18_E10value_typeET4_jRbjT5_S1E_jjP12ihipStream_tbEUljE_ZNSN_ISO_Lb1ESQ_SR_ST_SU_SY_EESZ_S10_S11_S12_S16_S17_S18_S1B_S1C_jS1D_jS1E_S1E_jjS1G_bEUljE0_EEESZ_S10_S11_S18_S1C_S1E_T6_T7_T9_mT8_S1G_bDpT10_ENKUlT_T0_E_clISt17integral_constantIbLb1EES1T_IbLb0EEEEDaS1P_S1Q_EUlS1P_E_NS1_11comp_targetILNS1_3genE9ELNS1_11target_archE1100ELNS1_3gpuE3ELNS1_3repE0EEENS1_30default_config_static_selectorELNS0_4arch9wavefront6targetE0EEEvS12_.num_named_barrier, 0
	.set _ZN7rocprim17ROCPRIM_400000_NS6detail17trampoline_kernelINS0_13select_configILj256ELj13ELNS0_17block_load_methodE3ELS4_3ELS4_3ELNS0_20block_scan_algorithmE0ELj4294967295EEENS1_25partition_config_selectorILNS1_17partition_subalgoE4EjNS0_10empty_typeEbEEZZNS1_14partition_implILS8_4ELb0ES6_15HIP_vector_typeIjLj2EENS0_17counting_iteratorIjlEEPS9_SG_NS0_5tupleIJPjSI_NS0_16reverse_iteratorISI_EEEEENSH_IJSG_SG_SG_EEES9_SI_JZNS1_25segmented_radix_sort_implINS0_14default_configELb1EPKsPsPKlPlN2at6native12_GLOBAL__N_18offset_tEEE10hipError_tPvRmT1_PNSt15iterator_traitsIS12_E10value_typeET2_T3_PNS13_IS18_E10value_typeET4_jRbjT5_S1E_jjP12ihipStream_tbEUljE_ZNSN_ISO_Lb1ESQ_SR_ST_SU_SY_EESZ_S10_S11_S12_S16_S17_S18_S1B_S1C_jS1D_jS1E_S1E_jjS1G_bEUljE0_EEESZ_S10_S11_S18_S1C_S1E_T6_T7_T9_mT8_S1G_bDpT10_ENKUlT_T0_E_clISt17integral_constantIbLb1EES1T_IbLb0EEEEDaS1P_S1Q_EUlS1P_E_NS1_11comp_targetILNS1_3genE9ELNS1_11target_archE1100ELNS1_3gpuE3ELNS1_3repE0EEENS1_30default_config_static_selectorELNS0_4arch9wavefront6targetE0EEEvS12_.private_seg_size, 0
	.set _ZN7rocprim17ROCPRIM_400000_NS6detail17trampoline_kernelINS0_13select_configILj256ELj13ELNS0_17block_load_methodE3ELS4_3ELS4_3ELNS0_20block_scan_algorithmE0ELj4294967295EEENS1_25partition_config_selectorILNS1_17partition_subalgoE4EjNS0_10empty_typeEbEEZZNS1_14partition_implILS8_4ELb0ES6_15HIP_vector_typeIjLj2EENS0_17counting_iteratorIjlEEPS9_SG_NS0_5tupleIJPjSI_NS0_16reverse_iteratorISI_EEEEENSH_IJSG_SG_SG_EEES9_SI_JZNS1_25segmented_radix_sort_implINS0_14default_configELb1EPKsPsPKlPlN2at6native12_GLOBAL__N_18offset_tEEE10hipError_tPvRmT1_PNSt15iterator_traitsIS12_E10value_typeET2_T3_PNS13_IS18_E10value_typeET4_jRbjT5_S1E_jjP12ihipStream_tbEUljE_ZNSN_ISO_Lb1ESQ_SR_ST_SU_SY_EESZ_S10_S11_S12_S16_S17_S18_S1B_S1C_jS1D_jS1E_S1E_jjS1G_bEUljE0_EEESZ_S10_S11_S18_S1C_S1E_T6_T7_T9_mT8_S1G_bDpT10_ENKUlT_T0_E_clISt17integral_constantIbLb1EES1T_IbLb0EEEEDaS1P_S1Q_EUlS1P_E_NS1_11comp_targetILNS1_3genE9ELNS1_11target_archE1100ELNS1_3gpuE3ELNS1_3repE0EEENS1_30default_config_static_selectorELNS0_4arch9wavefront6targetE0EEEvS12_.uses_vcc, 0
	.set _ZN7rocprim17ROCPRIM_400000_NS6detail17trampoline_kernelINS0_13select_configILj256ELj13ELNS0_17block_load_methodE3ELS4_3ELS4_3ELNS0_20block_scan_algorithmE0ELj4294967295EEENS1_25partition_config_selectorILNS1_17partition_subalgoE4EjNS0_10empty_typeEbEEZZNS1_14partition_implILS8_4ELb0ES6_15HIP_vector_typeIjLj2EENS0_17counting_iteratorIjlEEPS9_SG_NS0_5tupleIJPjSI_NS0_16reverse_iteratorISI_EEEEENSH_IJSG_SG_SG_EEES9_SI_JZNS1_25segmented_radix_sort_implINS0_14default_configELb1EPKsPsPKlPlN2at6native12_GLOBAL__N_18offset_tEEE10hipError_tPvRmT1_PNSt15iterator_traitsIS12_E10value_typeET2_T3_PNS13_IS18_E10value_typeET4_jRbjT5_S1E_jjP12ihipStream_tbEUljE_ZNSN_ISO_Lb1ESQ_SR_ST_SU_SY_EESZ_S10_S11_S12_S16_S17_S18_S1B_S1C_jS1D_jS1E_S1E_jjS1G_bEUljE0_EEESZ_S10_S11_S18_S1C_S1E_T6_T7_T9_mT8_S1G_bDpT10_ENKUlT_T0_E_clISt17integral_constantIbLb1EES1T_IbLb0EEEEDaS1P_S1Q_EUlS1P_E_NS1_11comp_targetILNS1_3genE9ELNS1_11target_archE1100ELNS1_3gpuE3ELNS1_3repE0EEENS1_30default_config_static_selectorELNS0_4arch9wavefront6targetE0EEEvS12_.uses_flat_scratch, 0
	.set _ZN7rocprim17ROCPRIM_400000_NS6detail17trampoline_kernelINS0_13select_configILj256ELj13ELNS0_17block_load_methodE3ELS4_3ELS4_3ELNS0_20block_scan_algorithmE0ELj4294967295EEENS1_25partition_config_selectorILNS1_17partition_subalgoE4EjNS0_10empty_typeEbEEZZNS1_14partition_implILS8_4ELb0ES6_15HIP_vector_typeIjLj2EENS0_17counting_iteratorIjlEEPS9_SG_NS0_5tupleIJPjSI_NS0_16reverse_iteratorISI_EEEEENSH_IJSG_SG_SG_EEES9_SI_JZNS1_25segmented_radix_sort_implINS0_14default_configELb1EPKsPsPKlPlN2at6native12_GLOBAL__N_18offset_tEEE10hipError_tPvRmT1_PNSt15iterator_traitsIS12_E10value_typeET2_T3_PNS13_IS18_E10value_typeET4_jRbjT5_S1E_jjP12ihipStream_tbEUljE_ZNSN_ISO_Lb1ESQ_SR_ST_SU_SY_EESZ_S10_S11_S12_S16_S17_S18_S1B_S1C_jS1D_jS1E_S1E_jjS1G_bEUljE0_EEESZ_S10_S11_S18_S1C_S1E_T6_T7_T9_mT8_S1G_bDpT10_ENKUlT_T0_E_clISt17integral_constantIbLb1EES1T_IbLb0EEEEDaS1P_S1Q_EUlS1P_E_NS1_11comp_targetILNS1_3genE9ELNS1_11target_archE1100ELNS1_3gpuE3ELNS1_3repE0EEENS1_30default_config_static_selectorELNS0_4arch9wavefront6targetE0EEEvS12_.has_dyn_sized_stack, 0
	.set _ZN7rocprim17ROCPRIM_400000_NS6detail17trampoline_kernelINS0_13select_configILj256ELj13ELNS0_17block_load_methodE3ELS4_3ELS4_3ELNS0_20block_scan_algorithmE0ELj4294967295EEENS1_25partition_config_selectorILNS1_17partition_subalgoE4EjNS0_10empty_typeEbEEZZNS1_14partition_implILS8_4ELb0ES6_15HIP_vector_typeIjLj2EENS0_17counting_iteratorIjlEEPS9_SG_NS0_5tupleIJPjSI_NS0_16reverse_iteratorISI_EEEEENSH_IJSG_SG_SG_EEES9_SI_JZNS1_25segmented_radix_sort_implINS0_14default_configELb1EPKsPsPKlPlN2at6native12_GLOBAL__N_18offset_tEEE10hipError_tPvRmT1_PNSt15iterator_traitsIS12_E10value_typeET2_T3_PNS13_IS18_E10value_typeET4_jRbjT5_S1E_jjP12ihipStream_tbEUljE_ZNSN_ISO_Lb1ESQ_SR_ST_SU_SY_EESZ_S10_S11_S12_S16_S17_S18_S1B_S1C_jS1D_jS1E_S1E_jjS1G_bEUljE0_EEESZ_S10_S11_S18_S1C_S1E_T6_T7_T9_mT8_S1G_bDpT10_ENKUlT_T0_E_clISt17integral_constantIbLb1EES1T_IbLb0EEEEDaS1P_S1Q_EUlS1P_E_NS1_11comp_targetILNS1_3genE9ELNS1_11target_archE1100ELNS1_3gpuE3ELNS1_3repE0EEENS1_30default_config_static_selectorELNS0_4arch9wavefront6targetE0EEEvS12_.has_recursion, 0
	.set _ZN7rocprim17ROCPRIM_400000_NS6detail17trampoline_kernelINS0_13select_configILj256ELj13ELNS0_17block_load_methodE3ELS4_3ELS4_3ELNS0_20block_scan_algorithmE0ELj4294967295EEENS1_25partition_config_selectorILNS1_17partition_subalgoE4EjNS0_10empty_typeEbEEZZNS1_14partition_implILS8_4ELb0ES6_15HIP_vector_typeIjLj2EENS0_17counting_iteratorIjlEEPS9_SG_NS0_5tupleIJPjSI_NS0_16reverse_iteratorISI_EEEEENSH_IJSG_SG_SG_EEES9_SI_JZNS1_25segmented_radix_sort_implINS0_14default_configELb1EPKsPsPKlPlN2at6native12_GLOBAL__N_18offset_tEEE10hipError_tPvRmT1_PNSt15iterator_traitsIS12_E10value_typeET2_T3_PNS13_IS18_E10value_typeET4_jRbjT5_S1E_jjP12ihipStream_tbEUljE_ZNSN_ISO_Lb1ESQ_SR_ST_SU_SY_EESZ_S10_S11_S12_S16_S17_S18_S1B_S1C_jS1D_jS1E_S1E_jjS1G_bEUljE0_EEESZ_S10_S11_S18_S1C_S1E_T6_T7_T9_mT8_S1G_bDpT10_ENKUlT_T0_E_clISt17integral_constantIbLb1EES1T_IbLb0EEEEDaS1P_S1Q_EUlS1P_E_NS1_11comp_targetILNS1_3genE9ELNS1_11target_archE1100ELNS1_3gpuE3ELNS1_3repE0EEENS1_30default_config_static_selectorELNS0_4arch9wavefront6targetE0EEEvS12_.has_indirect_call, 0
	.section	.AMDGPU.csdata,"",@progbits
; Kernel info:
; codeLenInByte = 0
; TotalNumSgprs: 0
; NumVgprs: 0
; ScratchSize: 0
; MemoryBound: 0
; FloatMode: 240
; IeeeMode: 1
; LDSByteSize: 0 bytes/workgroup (compile time only)
; SGPRBlocks: 0
; VGPRBlocks: 0
; NumSGPRsForWavesPerEU: 1
; NumVGPRsForWavesPerEU: 1
; Occupancy: 16
; WaveLimiterHint : 0
; COMPUTE_PGM_RSRC2:SCRATCH_EN: 0
; COMPUTE_PGM_RSRC2:USER_SGPR: 2
; COMPUTE_PGM_RSRC2:TRAP_HANDLER: 0
; COMPUTE_PGM_RSRC2:TGID_X_EN: 1
; COMPUTE_PGM_RSRC2:TGID_Y_EN: 0
; COMPUTE_PGM_RSRC2:TGID_Z_EN: 0
; COMPUTE_PGM_RSRC2:TIDIG_COMP_CNT: 0
	.section	.text._ZN7rocprim17ROCPRIM_400000_NS6detail17trampoline_kernelINS0_13select_configILj256ELj13ELNS0_17block_load_methodE3ELS4_3ELS4_3ELNS0_20block_scan_algorithmE0ELj4294967295EEENS1_25partition_config_selectorILNS1_17partition_subalgoE4EjNS0_10empty_typeEbEEZZNS1_14partition_implILS8_4ELb0ES6_15HIP_vector_typeIjLj2EENS0_17counting_iteratorIjlEEPS9_SG_NS0_5tupleIJPjSI_NS0_16reverse_iteratorISI_EEEEENSH_IJSG_SG_SG_EEES9_SI_JZNS1_25segmented_radix_sort_implINS0_14default_configELb1EPKsPsPKlPlN2at6native12_GLOBAL__N_18offset_tEEE10hipError_tPvRmT1_PNSt15iterator_traitsIS12_E10value_typeET2_T3_PNS13_IS18_E10value_typeET4_jRbjT5_S1E_jjP12ihipStream_tbEUljE_ZNSN_ISO_Lb1ESQ_SR_ST_SU_SY_EESZ_S10_S11_S12_S16_S17_S18_S1B_S1C_jS1D_jS1E_S1E_jjS1G_bEUljE0_EEESZ_S10_S11_S18_S1C_S1E_T6_T7_T9_mT8_S1G_bDpT10_ENKUlT_T0_E_clISt17integral_constantIbLb1EES1T_IbLb0EEEEDaS1P_S1Q_EUlS1P_E_NS1_11comp_targetILNS1_3genE8ELNS1_11target_archE1030ELNS1_3gpuE2ELNS1_3repE0EEENS1_30default_config_static_selectorELNS0_4arch9wavefront6targetE0EEEvS12_,"axG",@progbits,_ZN7rocprim17ROCPRIM_400000_NS6detail17trampoline_kernelINS0_13select_configILj256ELj13ELNS0_17block_load_methodE3ELS4_3ELS4_3ELNS0_20block_scan_algorithmE0ELj4294967295EEENS1_25partition_config_selectorILNS1_17partition_subalgoE4EjNS0_10empty_typeEbEEZZNS1_14partition_implILS8_4ELb0ES6_15HIP_vector_typeIjLj2EENS0_17counting_iteratorIjlEEPS9_SG_NS0_5tupleIJPjSI_NS0_16reverse_iteratorISI_EEEEENSH_IJSG_SG_SG_EEES9_SI_JZNS1_25segmented_radix_sort_implINS0_14default_configELb1EPKsPsPKlPlN2at6native12_GLOBAL__N_18offset_tEEE10hipError_tPvRmT1_PNSt15iterator_traitsIS12_E10value_typeET2_T3_PNS13_IS18_E10value_typeET4_jRbjT5_S1E_jjP12ihipStream_tbEUljE_ZNSN_ISO_Lb1ESQ_SR_ST_SU_SY_EESZ_S10_S11_S12_S16_S17_S18_S1B_S1C_jS1D_jS1E_S1E_jjS1G_bEUljE0_EEESZ_S10_S11_S18_S1C_S1E_T6_T7_T9_mT8_S1G_bDpT10_ENKUlT_T0_E_clISt17integral_constantIbLb1EES1T_IbLb0EEEEDaS1P_S1Q_EUlS1P_E_NS1_11comp_targetILNS1_3genE8ELNS1_11target_archE1030ELNS1_3gpuE2ELNS1_3repE0EEENS1_30default_config_static_selectorELNS0_4arch9wavefront6targetE0EEEvS12_,comdat
	.globl	_ZN7rocprim17ROCPRIM_400000_NS6detail17trampoline_kernelINS0_13select_configILj256ELj13ELNS0_17block_load_methodE3ELS4_3ELS4_3ELNS0_20block_scan_algorithmE0ELj4294967295EEENS1_25partition_config_selectorILNS1_17partition_subalgoE4EjNS0_10empty_typeEbEEZZNS1_14partition_implILS8_4ELb0ES6_15HIP_vector_typeIjLj2EENS0_17counting_iteratorIjlEEPS9_SG_NS0_5tupleIJPjSI_NS0_16reverse_iteratorISI_EEEEENSH_IJSG_SG_SG_EEES9_SI_JZNS1_25segmented_radix_sort_implINS0_14default_configELb1EPKsPsPKlPlN2at6native12_GLOBAL__N_18offset_tEEE10hipError_tPvRmT1_PNSt15iterator_traitsIS12_E10value_typeET2_T3_PNS13_IS18_E10value_typeET4_jRbjT5_S1E_jjP12ihipStream_tbEUljE_ZNSN_ISO_Lb1ESQ_SR_ST_SU_SY_EESZ_S10_S11_S12_S16_S17_S18_S1B_S1C_jS1D_jS1E_S1E_jjS1G_bEUljE0_EEESZ_S10_S11_S18_S1C_S1E_T6_T7_T9_mT8_S1G_bDpT10_ENKUlT_T0_E_clISt17integral_constantIbLb1EES1T_IbLb0EEEEDaS1P_S1Q_EUlS1P_E_NS1_11comp_targetILNS1_3genE8ELNS1_11target_archE1030ELNS1_3gpuE2ELNS1_3repE0EEENS1_30default_config_static_selectorELNS0_4arch9wavefront6targetE0EEEvS12_ ; -- Begin function _ZN7rocprim17ROCPRIM_400000_NS6detail17trampoline_kernelINS0_13select_configILj256ELj13ELNS0_17block_load_methodE3ELS4_3ELS4_3ELNS0_20block_scan_algorithmE0ELj4294967295EEENS1_25partition_config_selectorILNS1_17partition_subalgoE4EjNS0_10empty_typeEbEEZZNS1_14partition_implILS8_4ELb0ES6_15HIP_vector_typeIjLj2EENS0_17counting_iteratorIjlEEPS9_SG_NS0_5tupleIJPjSI_NS0_16reverse_iteratorISI_EEEEENSH_IJSG_SG_SG_EEES9_SI_JZNS1_25segmented_radix_sort_implINS0_14default_configELb1EPKsPsPKlPlN2at6native12_GLOBAL__N_18offset_tEEE10hipError_tPvRmT1_PNSt15iterator_traitsIS12_E10value_typeET2_T3_PNS13_IS18_E10value_typeET4_jRbjT5_S1E_jjP12ihipStream_tbEUljE_ZNSN_ISO_Lb1ESQ_SR_ST_SU_SY_EESZ_S10_S11_S12_S16_S17_S18_S1B_S1C_jS1D_jS1E_S1E_jjS1G_bEUljE0_EEESZ_S10_S11_S18_S1C_S1E_T6_T7_T9_mT8_S1G_bDpT10_ENKUlT_T0_E_clISt17integral_constantIbLb1EES1T_IbLb0EEEEDaS1P_S1Q_EUlS1P_E_NS1_11comp_targetILNS1_3genE8ELNS1_11target_archE1030ELNS1_3gpuE2ELNS1_3repE0EEENS1_30default_config_static_selectorELNS0_4arch9wavefront6targetE0EEEvS12_
	.p2align	8
	.type	_ZN7rocprim17ROCPRIM_400000_NS6detail17trampoline_kernelINS0_13select_configILj256ELj13ELNS0_17block_load_methodE3ELS4_3ELS4_3ELNS0_20block_scan_algorithmE0ELj4294967295EEENS1_25partition_config_selectorILNS1_17partition_subalgoE4EjNS0_10empty_typeEbEEZZNS1_14partition_implILS8_4ELb0ES6_15HIP_vector_typeIjLj2EENS0_17counting_iteratorIjlEEPS9_SG_NS0_5tupleIJPjSI_NS0_16reverse_iteratorISI_EEEEENSH_IJSG_SG_SG_EEES9_SI_JZNS1_25segmented_radix_sort_implINS0_14default_configELb1EPKsPsPKlPlN2at6native12_GLOBAL__N_18offset_tEEE10hipError_tPvRmT1_PNSt15iterator_traitsIS12_E10value_typeET2_T3_PNS13_IS18_E10value_typeET4_jRbjT5_S1E_jjP12ihipStream_tbEUljE_ZNSN_ISO_Lb1ESQ_SR_ST_SU_SY_EESZ_S10_S11_S12_S16_S17_S18_S1B_S1C_jS1D_jS1E_S1E_jjS1G_bEUljE0_EEESZ_S10_S11_S18_S1C_S1E_T6_T7_T9_mT8_S1G_bDpT10_ENKUlT_T0_E_clISt17integral_constantIbLb1EES1T_IbLb0EEEEDaS1P_S1Q_EUlS1P_E_NS1_11comp_targetILNS1_3genE8ELNS1_11target_archE1030ELNS1_3gpuE2ELNS1_3repE0EEENS1_30default_config_static_selectorELNS0_4arch9wavefront6targetE0EEEvS12_,@function
_ZN7rocprim17ROCPRIM_400000_NS6detail17trampoline_kernelINS0_13select_configILj256ELj13ELNS0_17block_load_methodE3ELS4_3ELS4_3ELNS0_20block_scan_algorithmE0ELj4294967295EEENS1_25partition_config_selectorILNS1_17partition_subalgoE4EjNS0_10empty_typeEbEEZZNS1_14partition_implILS8_4ELb0ES6_15HIP_vector_typeIjLj2EENS0_17counting_iteratorIjlEEPS9_SG_NS0_5tupleIJPjSI_NS0_16reverse_iteratorISI_EEEEENSH_IJSG_SG_SG_EEES9_SI_JZNS1_25segmented_radix_sort_implINS0_14default_configELb1EPKsPsPKlPlN2at6native12_GLOBAL__N_18offset_tEEE10hipError_tPvRmT1_PNSt15iterator_traitsIS12_E10value_typeET2_T3_PNS13_IS18_E10value_typeET4_jRbjT5_S1E_jjP12ihipStream_tbEUljE_ZNSN_ISO_Lb1ESQ_SR_ST_SU_SY_EESZ_S10_S11_S12_S16_S17_S18_S1B_S1C_jS1D_jS1E_S1E_jjS1G_bEUljE0_EEESZ_S10_S11_S18_S1C_S1E_T6_T7_T9_mT8_S1G_bDpT10_ENKUlT_T0_E_clISt17integral_constantIbLb1EES1T_IbLb0EEEEDaS1P_S1Q_EUlS1P_E_NS1_11comp_targetILNS1_3genE8ELNS1_11target_archE1030ELNS1_3gpuE2ELNS1_3repE0EEENS1_30default_config_static_selectorELNS0_4arch9wavefront6targetE0EEEvS12_: ; @_ZN7rocprim17ROCPRIM_400000_NS6detail17trampoline_kernelINS0_13select_configILj256ELj13ELNS0_17block_load_methodE3ELS4_3ELS4_3ELNS0_20block_scan_algorithmE0ELj4294967295EEENS1_25partition_config_selectorILNS1_17partition_subalgoE4EjNS0_10empty_typeEbEEZZNS1_14partition_implILS8_4ELb0ES6_15HIP_vector_typeIjLj2EENS0_17counting_iteratorIjlEEPS9_SG_NS0_5tupleIJPjSI_NS0_16reverse_iteratorISI_EEEEENSH_IJSG_SG_SG_EEES9_SI_JZNS1_25segmented_radix_sort_implINS0_14default_configELb1EPKsPsPKlPlN2at6native12_GLOBAL__N_18offset_tEEE10hipError_tPvRmT1_PNSt15iterator_traitsIS12_E10value_typeET2_T3_PNS13_IS18_E10value_typeET4_jRbjT5_S1E_jjP12ihipStream_tbEUljE_ZNSN_ISO_Lb1ESQ_SR_ST_SU_SY_EESZ_S10_S11_S12_S16_S17_S18_S1B_S1C_jS1D_jS1E_S1E_jjS1G_bEUljE0_EEESZ_S10_S11_S18_S1C_S1E_T6_T7_T9_mT8_S1G_bDpT10_ENKUlT_T0_E_clISt17integral_constantIbLb1EES1T_IbLb0EEEEDaS1P_S1Q_EUlS1P_E_NS1_11comp_targetILNS1_3genE8ELNS1_11target_archE1030ELNS1_3gpuE2ELNS1_3repE0EEENS1_30default_config_static_selectorELNS0_4arch9wavefront6targetE0EEEvS12_
; %bb.0:
	.section	.rodata,"a",@progbits
	.p2align	6, 0x0
	.amdhsa_kernel _ZN7rocprim17ROCPRIM_400000_NS6detail17trampoline_kernelINS0_13select_configILj256ELj13ELNS0_17block_load_methodE3ELS4_3ELS4_3ELNS0_20block_scan_algorithmE0ELj4294967295EEENS1_25partition_config_selectorILNS1_17partition_subalgoE4EjNS0_10empty_typeEbEEZZNS1_14partition_implILS8_4ELb0ES6_15HIP_vector_typeIjLj2EENS0_17counting_iteratorIjlEEPS9_SG_NS0_5tupleIJPjSI_NS0_16reverse_iteratorISI_EEEEENSH_IJSG_SG_SG_EEES9_SI_JZNS1_25segmented_radix_sort_implINS0_14default_configELb1EPKsPsPKlPlN2at6native12_GLOBAL__N_18offset_tEEE10hipError_tPvRmT1_PNSt15iterator_traitsIS12_E10value_typeET2_T3_PNS13_IS18_E10value_typeET4_jRbjT5_S1E_jjP12ihipStream_tbEUljE_ZNSN_ISO_Lb1ESQ_SR_ST_SU_SY_EESZ_S10_S11_S12_S16_S17_S18_S1B_S1C_jS1D_jS1E_S1E_jjS1G_bEUljE0_EEESZ_S10_S11_S18_S1C_S1E_T6_T7_T9_mT8_S1G_bDpT10_ENKUlT_T0_E_clISt17integral_constantIbLb1EES1T_IbLb0EEEEDaS1P_S1Q_EUlS1P_E_NS1_11comp_targetILNS1_3genE8ELNS1_11target_archE1030ELNS1_3gpuE2ELNS1_3repE0EEENS1_30default_config_static_selectorELNS0_4arch9wavefront6targetE0EEEvS12_
		.amdhsa_group_segment_fixed_size 0
		.amdhsa_private_segment_fixed_size 0
		.amdhsa_kernarg_size 176
		.amdhsa_user_sgpr_count 2
		.amdhsa_user_sgpr_dispatch_ptr 0
		.amdhsa_user_sgpr_queue_ptr 0
		.amdhsa_user_sgpr_kernarg_segment_ptr 1
		.amdhsa_user_sgpr_dispatch_id 0
		.amdhsa_user_sgpr_private_segment_size 0
		.amdhsa_wavefront_size32 1
		.amdhsa_uses_dynamic_stack 0
		.amdhsa_enable_private_segment 0
		.amdhsa_system_sgpr_workgroup_id_x 1
		.amdhsa_system_sgpr_workgroup_id_y 0
		.amdhsa_system_sgpr_workgroup_id_z 0
		.amdhsa_system_sgpr_workgroup_info 0
		.amdhsa_system_vgpr_workitem_id 0
		.amdhsa_next_free_vgpr 1
		.amdhsa_next_free_sgpr 1
		.amdhsa_reserve_vcc 0
		.amdhsa_float_round_mode_32 0
		.amdhsa_float_round_mode_16_64 0
		.amdhsa_float_denorm_mode_32 3
		.amdhsa_float_denorm_mode_16_64 3
		.amdhsa_fp16_overflow 0
		.amdhsa_workgroup_processor_mode 1
		.amdhsa_memory_ordered 1
		.amdhsa_forward_progress 1
		.amdhsa_inst_pref_size 0
		.amdhsa_round_robin_scheduling 0
		.amdhsa_exception_fp_ieee_invalid_op 0
		.amdhsa_exception_fp_denorm_src 0
		.amdhsa_exception_fp_ieee_div_zero 0
		.amdhsa_exception_fp_ieee_overflow 0
		.amdhsa_exception_fp_ieee_underflow 0
		.amdhsa_exception_fp_ieee_inexact 0
		.amdhsa_exception_int_div_zero 0
	.end_amdhsa_kernel
	.section	.text._ZN7rocprim17ROCPRIM_400000_NS6detail17trampoline_kernelINS0_13select_configILj256ELj13ELNS0_17block_load_methodE3ELS4_3ELS4_3ELNS0_20block_scan_algorithmE0ELj4294967295EEENS1_25partition_config_selectorILNS1_17partition_subalgoE4EjNS0_10empty_typeEbEEZZNS1_14partition_implILS8_4ELb0ES6_15HIP_vector_typeIjLj2EENS0_17counting_iteratorIjlEEPS9_SG_NS0_5tupleIJPjSI_NS0_16reverse_iteratorISI_EEEEENSH_IJSG_SG_SG_EEES9_SI_JZNS1_25segmented_radix_sort_implINS0_14default_configELb1EPKsPsPKlPlN2at6native12_GLOBAL__N_18offset_tEEE10hipError_tPvRmT1_PNSt15iterator_traitsIS12_E10value_typeET2_T3_PNS13_IS18_E10value_typeET4_jRbjT5_S1E_jjP12ihipStream_tbEUljE_ZNSN_ISO_Lb1ESQ_SR_ST_SU_SY_EESZ_S10_S11_S12_S16_S17_S18_S1B_S1C_jS1D_jS1E_S1E_jjS1G_bEUljE0_EEESZ_S10_S11_S18_S1C_S1E_T6_T7_T9_mT8_S1G_bDpT10_ENKUlT_T0_E_clISt17integral_constantIbLb1EES1T_IbLb0EEEEDaS1P_S1Q_EUlS1P_E_NS1_11comp_targetILNS1_3genE8ELNS1_11target_archE1030ELNS1_3gpuE2ELNS1_3repE0EEENS1_30default_config_static_selectorELNS0_4arch9wavefront6targetE0EEEvS12_,"axG",@progbits,_ZN7rocprim17ROCPRIM_400000_NS6detail17trampoline_kernelINS0_13select_configILj256ELj13ELNS0_17block_load_methodE3ELS4_3ELS4_3ELNS0_20block_scan_algorithmE0ELj4294967295EEENS1_25partition_config_selectorILNS1_17partition_subalgoE4EjNS0_10empty_typeEbEEZZNS1_14partition_implILS8_4ELb0ES6_15HIP_vector_typeIjLj2EENS0_17counting_iteratorIjlEEPS9_SG_NS0_5tupleIJPjSI_NS0_16reverse_iteratorISI_EEEEENSH_IJSG_SG_SG_EEES9_SI_JZNS1_25segmented_radix_sort_implINS0_14default_configELb1EPKsPsPKlPlN2at6native12_GLOBAL__N_18offset_tEEE10hipError_tPvRmT1_PNSt15iterator_traitsIS12_E10value_typeET2_T3_PNS13_IS18_E10value_typeET4_jRbjT5_S1E_jjP12ihipStream_tbEUljE_ZNSN_ISO_Lb1ESQ_SR_ST_SU_SY_EESZ_S10_S11_S12_S16_S17_S18_S1B_S1C_jS1D_jS1E_S1E_jjS1G_bEUljE0_EEESZ_S10_S11_S18_S1C_S1E_T6_T7_T9_mT8_S1G_bDpT10_ENKUlT_T0_E_clISt17integral_constantIbLb1EES1T_IbLb0EEEEDaS1P_S1Q_EUlS1P_E_NS1_11comp_targetILNS1_3genE8ELNS1_11target_archE1030ELNS1_3gpuE2ELNS1_3repE0EEENS1_30default_config_static_selectorELNS0_4arch9wavefront6targetE0EEEvS12_,comdat
.Lfunc_end870:
	.size	_ZN7rocprim17ROCPRIM_400000_NS6detail17trampoline_kernelINS0_13select_configILj256ELj13ELNS0_17block_load_methodE3ELS4_3ELS4_3ELNS0_20block_scan_algorithmE0ELj4294967295EEENS1_25partition_config_selectorILNS1_17partition_subalgoE4EjNS0_10empty_typeEbEEZZNS1_14partition_implILS8_4ELb0ES6_15HIP_vector_typeIjLj2EENS0_17counting_iteratorIjlEEPS9_SG_NS0_5tupleIJPjSI_NS0_16reverse_iteratorISI_EEEEENSH_IJSG_SG_SG_EEES9_SI_JZNS1_25segmented_radix_sort_implINS0_14default_configELb1EPKsPsPKlPlN2at6native12_GLOBAL__N_18offset_tEEE10hipError_tPvRmT1_PNSt15iterator_traitsIS12_E10value_typeET2_T3_PNS13_IS18_E10value_typeET4_jRbjT5_S1E_jjP12ihipStream_tbEUljE_ZNSN_ISO_Lb1ESQ_SR_ST_SU_SY_EESZ_S10_S11_S12_S16_S17_S18_S1B_S1C_jS1D_jS1E_S1E_jjS1G_bEUljE0_EEESZ_S10_S11_S18_S1C_S1E_T6_T7_T9_mT8_S1G_bDpT10_ENKUlT_T0_E_clISt17integral_constantIbLb1EES1T_IbLb0EEEEDaS1P_S1Q_EUlS1P_E_NS1_11comp_targetILNS1_3genE8ELNS1_11target_archE1030ELNS1_3gpuE2ELNS1_3repE0EEENS1_30default_config_static_selectorELNS0_4arch9wavefront6targetE0EEEvS12_, .Lfunc_end870-_ZN7rocprim17ROCPRIM_400000_NS6detail17trampoline_kernelINS0_13select_configILj256ELj13ELNS0_17block_load_methodE3ELS4_3ELS4_3ELNS0_20block_scan_algorithmE0ELj4294967295EEENS1_25partition_config_selectorILNS1_17partition_subalgoE4EjNS0_10empty_typeEbEEZZNS1_14partition_implILS8_4ELb0ES6_15HIP_vector_typeIjLj2EENS0_17counting_iteratorIjlEEPS9_SG_NS0_5tupleIJPjSI_NS0_16reverse_iteratorISI_EEEEENSH_IJSG_SG_SG_EEES9_SI_JZNS1_25segmented_radix_sort_implINS0_14default_configELb1EPKsPsPKlPlN2at6native12_GLOBAL__N_18offset_tEEE10hipError_tPvRmT1_PNSt15iterator_traitsIS12_E10value_typeET2_T3_PNS13_IS18_E10value_typeET4_jRbjT5_S1E_jjP12ihipStream_tbEUljE_ZNSN_ISO_Lb1ESQ_SR_ST_SU_SY_EESZ_S10_S11_S12_S16_S17_S18_S1B_S1C_jS1D_jS1E_S1E_jjS1G_bEUljE0_EEESZ_S10_S11_S18_S1C_S1E_T6_T7_T9_mT8_S1G_bDpT10_ENKUlT_T0_E_clISt17integral_constantIbLb1EES1T_IbLb0EEEEDaS1P_S1Q_EUlS1P_E_NS1_11comp_targetILNS1_3genE8ELNS1_11target_archE1030ELNS1_3gpuE2ELNS1_3repE0EEENS1_30default_config_static_selectorELNS0_4arch9wavefront6targetE0EEEvS12_
                                        ; -- End function
	.set _ZN7rocprim17ROCPRIM_400000_NS6detail17trampoline_kernelINS0_13select_configILj256ELj13ELNS0_17block_load_methodE3ELS4_3ELS4_3ELNS0_20block_scan_algorithmE0ELj4294967295EEENS1_25partition_config_selectorILNS1_17partition_subalgoE4EjNS0_10empty_typeEbEEZZNS1_14partition_implILS8_4ELb0ES6_15HIP_vector_typeIjLj2EENS0_17counting_iteratorIjlEEPS9_SG_NS0_5tupleIJPjSI_NS0_16reverse_iteratorISI_EEEEENSH_IJSG_SG_SG_EEES9_SI_JZNS1_25segmented_radix_sort_implINS0_14default_configELb1EPKsPsPKlPlN2at6native12_GLOBAL__N_18offset_tEEE10hipError_tPvRmT1_PNSt15iterator_traitsIS12_E10value_typeET2_T3_PNS13_IS18_E10value_typeET4_jRbjT5_S1E_jjP12ihipStream_tbEUljE_ZNSN_ISO_Lb1ESQ_SR_ST_SU_SY_EESZ_S10_S11_S12_S16_S17_S18_S1B_S1C_jS1D_jS1E_S1E_jjS1G_bEUljE0_EEESZ_S10_S11_S18_S1C_S1E_T6_T7_T9_mT8_S1G_bDpT10_ENKUlT_T0_E_clISt17integral_constantIbLb1EES1T_IbLb0EEEEDaS1P_S1Q_EUlS1P_E_NS1_11comp_targetILNS1_3genE8ELNS1_11target_archE1030ELNS1_3gpuE2ELNS1_3repE0EEENS1_30default_config_static_selectorELNS0_4arch9wavefront6targetE0EEEvS12_.num_vgpr, 0
	.set _ZN7rocprim17ROCPRIM_400000_NS6detail17trampoline_kernelINS0_13select_configILj256ELj13ELNS0_17block_load_methodE3ELS4_3ELS4_3ELNS0_20block_scan_algorithmE0ELj4294967295EEENS1_25partition_config_selectorILNS1_17partition_subalgoE4EjNS0_10empty_typeEbEEZZNS1_14partition_implILS8_4ELb0ES6_15HIP_vector_typeIjLj2EENS0_17counting_iteratorIjlEEPS9_SG_NS0_5tupleIJPjSI_NS0_16reverse_iteratorISI_EEEEENSH_IJSG_SG_SG_EEES9_SI_JZNS1_25segmented_radix_sort_implINS0_14default_configELb1EPKsPsPKlPlN2at6native12_GLOBAL__N_18offset_tEEE10hipError_tPvRmT1_PNSt15iterator_traitsIS12_E10value_typeET2_T3_PNS13_IS18_E10value_typeET4_jRbjT5_S1E_jjP12ihipStream_tbEUljE_ZNSN_ISO_Lb1ESQ_SR_ST_SU_SY_EESZ_S10_S11_S12_S16_S17_S18_S1B_S1C_jS1D_jS1E_S1E_jjS1G_bEUljE0_EEESZ_S10_S11_S18_S1C_S1E_T6_T7_T9_mT8_S1G_bDpT10_ENKUlT_T0_E_clISt17integral_constantIbLb1EES1T_IbLb0EEEEDaS1P_S1Q_EUlS1P_E_NS1_11comp_targetILNS1_3genE8ELNS1_11target_archE1030ELNS1_3gpuE2ELNS1_3repE0EEENS1_30default_config_static_selectorELNS0_4arch9wavefront6targetE0EEEvS12_.num_agpr, 0
	.set _ZN7rocprim17ROCPRIM_400000_NS6detail17trampoline_kernelINS0_13select_configILj256ELj13ELNS0_17block_load_methodE3ELS4_3ELS4_3ELNS0_20block_scan_algorithmE0ELj4294967295EEENS1_25partition_config_selectorILNS1_17partition_subalgoE4EjNS0_10empty_typeEbEEZZNS1_14partition_implILS8_4ELb0ES6_15HIP_vector_typeIjLj2EENS0_17counting_iteratorIjlEEPS9_SG_NS0_5tupleIJPjSI_NS0_16reverse_iteratorISI_EEEEENSH_IJSG_SG_SG_EEES9_SI_JZNS1_25segmented_radix_sort_implINS0_14default_configELb1EPKsPsPKlPlN2at6native12_GLOBAL__N_18offset_tEEE10hipError_tPvRmT1_PNSt15iterator_traitsIS12_E10value_typeET2_T3_PNS13_IS18_E10value_typeET4_jRbjT5_S1E_jjP12ihipStream_tbEUljE_ZNSN_ISO_Lb1ESQ_SR_ST_SU_SY_EESZ_S10_S11_S12_S16_S17_S18_S1B_S1C_jS1D_jS1E_S1E_jjS1G_bEUljE0_EEESZ_S10_S11_S18_S1C_S1E_T6_T7_T9_mT8_S1G_bDpT10_ENKUlT_T0_E_clISt17integral_constantIbLb1EES1T_IbLb0EEEEDaS1P_S1Q_EUlS1P_E_NS1_11comp_targetILNS1_3genE8ELNS1_11target_archE1030ELNS1_3gpuE2ELNS1_3repE0EEENS1_30default_config_static_selectorELNS0_4arch9wavefront6targetE0EEEvS12_.numbered_sgpr, 0
	.set _ZN7rocprim17ROCPRIM_400000_NS6detail17trampoline_kernelINS0_13select_configILj256ELj13ELNS0_17block_load_methodE3ELS4_3ELS4_3ELNS0_20block_scan_algorithmE0ELj4294967295EEENS1_25partition_config_selectorILNS1_17partition_subalgoE4EjNS0_10empty_typeEbEEZZNS1_14partition_implILS8_4ELb0ES6_15HIP_vector_typeIjLj2EENS0_17counting_iteratorIjlEEPS9_SG_NS0_5tupleIJPjSI_NS0_16reverse_iteratorISI_EEEEENSH_IJSG_SG_SG_EEES9_SI_JZNS1_25segmented_radix_sort_implINS0_14default_configELb1EPKsPsPKlPlN2at6native12_GLOBAL__N_18offset_tEEE10hipError_tPvRmT1_PNSt15iterator_traitsIS12_E10value_typeET2_T3_PNS13_IS18_E10value_typeET4_jRbjT5_S1E_jjP12ihipStream_tbEUljE_ZNSN_ISO_Lb1ESQ_SR_ST_SU_SY_EESZ_S10_S11_S12_S16_S17_S18_S1B_S1C_jS1D_jS1E_S1E_jjS1G_bEUljE0_EEESZ_S10_S11_S18_S1C_S1E_T6_T7_T9_mT8_S1G_bDpT10_ENKUlT_T0_E_clISt17integral_constantIbLb1EES1T_IbLb0EEEEDaS1P_S1Q_EUlS1P_E_NS1_11comp_targetILNS1_3genE8ELNS1_11target_archE1030ELNS1_3gpuE2ELNS1_3repE0EEENS1_30default_config_static_selectorELNS0_4arch9wavefront6targetE0EEEvS12_.num_named_barrier, 0
	.set _ZN7rocprim17ROCPRIM_400000_NS6detail17trampoline_kernelINS0_13select_configILj256ELj13ELNS0_17block_load_methodE3ELS4_3ELS4_3ELNS0_20block_scan_algorithmE0ELj4294967295EEENS1_25partition_config_selectorILNS1_17partition_subalgoE4EjNS0_10empty_typeEbEEZZNS1_14partition_implILS8_4ELb0ES6_15HIP_vector_typeIjLj2EENS0_17counting_iteratorIjlEEPS9_SG_NS0_5tupleIJPjSI_NS0_16reverse_iteratorISI_EEEEENSH_IJSG_SG_SG_EEES9_SI_JZNS1_25segmented_radix_sort_implINS0_14default_configELb1EPKsPsPKlPlN2at6native12_GLOBAL__N_18offset_tEEE10hipError_tPvRmT1_PNSt15iterator_traitsIS12_E10value_typeET2_T3_PNS13_IS18_E10value_typeET4_jRbjT5_S1E_jjP12ihipStream_tbEUljE_ZNSN_ISO_Lb1ESQ_SR_ST_SU_SY_EESZ_S10_S11_S12_S16_S17_S18_S1B_S1C_jS1D_jS1E_S1E_jjS1G_bEUljE0_EEESZ_S10_S11_S18_S1C_S1E_T6_T7_T9_mT8_S1G_bDpT10_ENKUlT_T0_E_clISt17integral_constantIbLb1EES1T_IbLb0EEEEDaS1P_S1Q_EUlS1P_E_NS1_11comp_targetILNS1_3genE8ELNS1_11target_archE1030ELNS1_3gpuE2ELNS1_3repE0EEENS1_30default_config_static_selectorELNS0_4arch9wavefront6targetE0EEEvS12_.private_seg_size, 0
	.set _ZN7rocprim17ROCPRIM_400000_NS6detail17trampoline_kernelINS0_13select_configILj256ELj13ELNS0_17block_load_methodE3ELS4_3ELS4_3ELNS0_20block_scan_algorithmE0ELj4294967295EEENS1_25partition_config_selectorILNS1_17partition_subalgoE4EjNS0_10empty_typeEbEEZZNS1_14partition_implILS8_4ELb0ES6_15HIP_vector_typeIjLj2EENS0_17counting_iteratorIjlEEPS9_SG_NS0_5tupleIJPjSI_NS0_16reverse_iteratorISI_EEEEENSH_IJSG_SG_SG_EEES9_SI_JZNS1_25segmented_radix_sort_implINS0_14default_configELb1EPKsPsPKlPlN2at6native12_GLOBAL__N_18offset_tEEE10hipError_tPvRmT1_PNSt15iterator_traitsIS12_E10value_typeET2_T3_PNS13_IS18_E10value_typeET4_jRbjT5_S1E_jjP12ihipStream_tbEUljE_ZNSN_ISO_Lb1ESQ_SR_ST_SU_SY_EESZ_S10_S11_S12_S16_S17_S18_S1B_S1C_jS1D_jS1E_S1E_jjS1G_bEUljE0_EEESZ_S10_S11_S18_S1C_S1E_T6_T7_T9_mT8_S1G_bDpT10_ENKUlT_T0_E_clISt17integral_constantIbLb1EES1T_IbLb0EEEEDaS1P_S1Q_EUlS1P_E_NS1_11comp_targetILNS1_3genE8ELNS1_11target_archE1030ELNS1_3gpuE2ELNS1_3repE0EEENS1_30default_config_static_selectorELNS0_4arch9wavefront6targetE0EEEvS12_.uses_vcc, 0
	.set _ZN7rocprim17ROCPRIM_400000_NS6detail17trampoline_kernelINS0_13select_configILj256ELj13ELNS0_17block_load_methodE3ELS4_3ELS4_3ELNS0_20block_scan_algorithmE0ELj4294967295EEENS1_25partition_config_selectorILNS1_17partition_subalgoE4EjNS0_10empty_typeEbEEZZNS1_14partition_implILS8_4ELb0ES6_15HIP_vector_typeIjLj2EENS0_17counting_iteratorIjlEEPS9_SG_NS0_5tupleIJPjSI_NS0_16reverse_iteratorISI_EEEEENSH_IJSG_SG_SG_EEES9_SI_JZNS1_25segmented_radix_sort_implINS0_14default_configELb1EPKsPsPKlPlN2at6native12_GLOBAL__N_18offset_tEEE10hipError_tPvRmT1_PNSt15iterator_traitsIS12_E10value_typeET2_T3_PNS13_IS18_E10value_typeET4_jRbjT5_S1E_jjP12ihipStream_tbEUljE_ZNSN_ISO_Lb1ESQ_SR_ST_SU_SY_EESZ_S10_S11_S12_S16_S17_S18_S1B_S1C_jS1D_jS1E_S1E_jjS1G_bEUljE0_EEESZ_S10_S11_S18_S1C_S1E_T6_T7_T9_mT8_S1G_bDpT10_ENKUlT_T0_E_clISt17integral_constantIbLb1EES1T_IbLb0EEEEDaS1P_S1Q_EUlS1P_E_NS1_11comp_targetILNS1_3genE8ELNS1_11target_archE1030ELNS1_3gpuE2ELNS1_3repE0EEENS1_30default_config_static_selectorELNS0_4arch9wavefront6targetE0EEEvS12_.uses_flat_scratch, 0
	.set _ZN7rocprim17ROCPRIM_400000_NS6detail17trampoline_kernelINS0_13select_configILj256ELj13ELNS0_17block_load_methodE3ELS4_3ELS4_3ELNS0_20block_scan_algorithmE0ELj4294967295EEENS1_25partition_config_selectorILNS1_17partition_subalgoE4EjNS0_10empty_typeEbEEZZNS1_14partition_implILS8_4ELb0ES6_15HIP_vector_typeIjLj2EENS0_17counting_iteratorIjlEEPS9_SG_NS0_5tupleIJPjSI_NS0_16reverse_iteratorISI_EEEEENSH_IJSG_SG_SG_EEES9_SI_JZNS1_25segmented_radix_sort_implINS0_14default_configELb1EPKsPsPKlPlN2at6native12_GLOBAL__N_18offset_tEEE10hipError_tPvRmT1_PNSt15iterator_traitsIS12_E10value_typeET2_T3_PNS13_IS18_E10value_typeET4_jRbjT5_S1E_jjP12ihipStream_tbEUljE_ZNSN_ISO_Lb1ESQ_SR_ST_SU_SY_EESZ_S10_S11_S12_S16_S17_S18_S1B_S1C_jS1D_jS1E_S1E_jjS1G_bEUljE0_EEESZ_S10_S11_S18_S1C_S1E_T6_T7_T9_mT8_S1G_bDpT10_ENKUlT_T0_E_clISt17integral_constantIbLb1EES1T_IbLb0EEEEDaS1P_S1Q_EUlS1P_E_NS1_11comp_targetILNS1_3genE8ELNS1_11target_archE1030ELNS1_3gpuE2ELNS1_3repE0EEENS1_30default_config_static_selectorELNS0_4arch9wavefront6targetE0EEEvS12_.has_dyn_sized_stack, 0
	.set _ZN7rocprim17ROCPRIM_400000_NS6detail17trampoline_kernelINS0_13select_configILj256ELj13ELNS0_17block_load_methodE3ELS4_3ELS4_3ELNS0_20block_scan_algorithmE0ELj4294967295EEENS1_25partition_config_selectorILNS1_17partition_subalgoE4EjNS0_10empty_typeEbEEZZNS1_14partition_implILS8_4ELb0ES6_15HIP_vector_typeIjLj2EENS0_17counting_iteratorIjlEEPS9_SG_NS0_5tupleIJPjSI_NS0_16reverse_iteratorISI_EEEEENSH_IJSG_SG_SG_EEES9_SI_JZNS1_25segmented_radix_sort_implINS0_14default_configELb1EPKsPsPKlPlN2at6native12_GLOBAL__N_18offset_tEEE10hipError_tPvRmT1_PNSt15iterator_traitsIS12_E10value_typeET2_T3_PNS13_IS18_E10value_typeET4_jRbjT5_S1E_jjP12ihipStream_tbEUljE_ZNSN_ISO_Lb1ESQ_SR_ST_SU_SY_EESZ_S10_S11_S12_S16_S17_S18_S1B_S1C_jS1D_jS1E_S1E_jjS1G_bEUljE0_EEESZ_S10_S11_S18_S1C_S1E_T6_T7_T9_mT8_S1G_bDpT10_ENKUlT_T0_E_clISt17integral_constantIbLb1EES1T_IbLb0EEEEDaS1P_S1Q_EUlS1P_E_NS1_11comp_targetILNS1_3genE8ELNS1_11target_archE1030ELNS1_3gpuE2ELNS1_3repE0EEENS1_30default_config_static_selectorELNS0_4arch9wavefront6targetE0EEEvS12_.has_recursion, 0
	.set _ZN7rocprim17ROCPRIM_400000_NS6detail17trampoline_kernelINS0_13select_configILj256ELj13ELNS0_17block_load_methodE3ELS4_3ELS4_3ELNS0_20block_scan_algorithmE0ELj4294967295EEENS1_25partition_config_selectorILNS1_17partition_subalgoE4EjNS0_10empty_typeEbEEZZNS1_14partition_implILS8_4ELb0ES6_15HIP_vector_typeIjLj2EENS0_17counting_iteratorIjlEEPS9_SG_NS0_5tupleIJPjSI_NS0_16reverse_iteratorISI_EEEEENSH_IJSG_SG_SG_EEES9_SI_JZNS1_25segmented_radix_sort_implINS0_14default_configELb1EPKsPsPKlPlN2at6native12_GLOBAL__N_18offset_tEEE10hipError_tPvRmT1_PNSt15iterator_traitsIS12_E10value_typeET2_T3_PNS13_IS18_E10value_typeET4_jRbjT5_S1E_jjP12ihipStream_tbEUljE_ZNSN_ISO_Lb1ESQ_SR_ST_SU_SY_EESZ_S10_S11_S12_S16_S17_S18_S1B_S1C_jS1D_jS1E_S1E_jjS1G_bEUljE0_EEESZ_S10_S11_S18_S1C_S1E_T6_T7_T9_mT8_S1G_bDpT10_ENKUlT_T0_E_clISt17integral_constantIbLb1EES1T_IbLb0EEEEDaS1P_S1Q_EUlS1P_E_NS1_11comp_targetILNS1_3genE8ELNS1_11target_archE1030ELNS1_3gpuE2ELNS1_3repE0EEENS1_30default_config_static_selectorELNS0_4arch9wavefront6targetE0EEEvS12_.has_indirect_call, 0
	.section	.AMDGPU.csdata,"",@progbits
; Kernel info:
; codeLenInByte = 0
; TotalNumSgprs: 0
; NumVgprs: 0
; ScratchSize: 0
; MemoryBound: 0
; FloatMode: 240
; IeeeMode: 1
; LDSByteSize: 0 bytes/workgroup (compile time only)
; SGPRBlocks: 0
; VGPRBlocks: 0
; NumSGPRsForWavesPerEU: 1
; NumVGPRsForWavesPerEU: 1
; Occupancy: 16
; WaveLimiterHint : 0
; COMPUTE_PGM_RSRC2:SCRATCH_EN: 0
; COMPUTE_PGM_RSRC2:USER_SGPR: 2
; COMPUTE_PGM_RSRC2:TRAP_HANDLER: 0
; COMPUTE_PGM_RSRC2:TGID_X_EN: 1
; COMPUTE_PGM_RSRC2:TGID_Y_EN: 0
; COMPUTE_PGM_RSRC2:TGID_Z_EN: 0
; COMPUTE_PGM_RSRC2:TIDIG_COMP_CNT: 0
	.section	.text._ZN7rocprim17ROCPRIM_400000_NS6detail17trampoline_kernelINS0_13select_configILj256ELj13ELNS0_17block_load_methodE3ELS4_3ELS4_3ELNS0_20block_scan_algorithmE0ELj4294967295EEENS1_25partition_config_selectorILNS1_17partition_subalgoE4EjNS0_10empty_typeEbEEZZNS1_14partition_implILS8_4ELb0ES6_15HIP_vector_typeIjLj2EENS0_17counting_iteratorIjlEEPS9_SG_NS0_5tupleIJPjSI_NS0_16reverse_iteratorISI_EEEEENSH_IJSG_SG_SG_EEES9_SI_JZNS1_25segmented_radix_sort_implINS0_14default_configELb1EPKsPsPKlPlN2at6native12_GLOBAL__N_18offset_tEEE10hipError_tPvRmT1_PNSt15iterator_traitsIS12_E10value_typeET2_T3_PNS13_IS18_E10value_typeET4_jRbjT5_S1E_jjP12ihipStream_tbEUljE_ZNSN_ISO_Lb1ESQ_SR_ST_SU_SY_EESZ_S10_S11_S12_S16_S17_S18_S1B_S1C_jS1D_jS1E_S1E_jjS1G_bEUljE0_EEESZ_S10_S11_S18_S1C_S1E_T6_T7_T9_mT8_S1G_bDpT10_ENKUlT_T0_E_clISt17integral_constantIbLb0EES1T_IbLb1EEEEDaS1P_S1Q_EUlS1P_E_NS1_11comp_targetILNS1_3genE0ELNS1_11target_archE4294967295ELNS1_3gpuE0ELNS1_3repE0EEENS1_30default_config_static_selectorELNS0_4arch9wavefront6targetE0EEEvS12_,"axG",@progbits,_ZN7rocprim17ROCPRIM_400000_NS6detail17trampoline_kernelINS0_13select_configILj256ELj13ELNS0_17block_load_methodE3ELS4_3ELS4_3ELNS0_20block_scan_algorithmE0ELj4294967295EEENS1_25partition_config_selectorILNS1_17partition_subalgoE4EjNS0_10empty_typeEbEEZZNS1_14partition_implILS8_4ELb0ES6_15HIP_vector_typeIjLj2EENS0_17counting_iteratorIjlEEPS9_SG_NS0_5tupleIJPjSI_NS0_16reverse_iteratorISI_EEEEENSH_IJSG_SG_SG_EEES9_SI_JZNS1_25segmented_radix_sort_implINS0_14default_configELb1EPKsPsPKlPlN2at6native12_GLOBAL__N_18offset_tEEE10hipError_tPvRmT1_PNSt15iterator_traitsIS12_E10value_typeET2_T3_PNS13_IS18_E10value_typeET4_jRbjT5_S1E_jjP12ihipStream_tbEUljE_ZNSN_ISO_Lb1ESQ_SR_ST_SU_SY_EESZ_S10_S11_S12_S16_S17_S18_S1B_S1C_jS1D_jS1E_S1E_jjS1G_bEUljE0_EEESZ_S10_S11_S18_S1C_S1E_T6_T7_T9_mT8_S1G_bDpT10_ENKUlT_T0_E_clISt17integral_constantIbLb0EES1T_IbLb1EEEEDaS1P_S1Q_EUlS1P_E_NS1_11comp_targetILNS1_3genE0ELNS1_11target_archE4294967295ELNS1_3gpuE0ELNS1_3repE0EEENS1_30default_config_static_selectorELNS0_4arch9wavefront6targetE0EEEvS12_,comdat
	.globl	_ZN7rocprim17ROCPRIM_400000_NS6detail17trampoline_kernelINS0_13select_configILj256ELj13ELNS0_17block_load_methodE3ELS4_3ELS4_3ELNS0_20block_scan_algorithmE0ELj4294967295EEENS1_25partition_config_selectorILNS1_17partition_subalgoE4EjNS0_10empty_typeEbEEZZNS1_14partition_implILS8_4ELb0ES6_15HIP_vector_typeIjLj2EENS0_17counting_iteratorIjlEEPS9_SG_NS0_5tupleIJPjSI_NS0_16reverse_iteratorISI_EEEEENSH_IJSG_SG_SG_EEES9_SI_JZNS1_25segmented_radix_sort_implINS0_14default_configELb1EPKsPsPKlPlN2at6native12_GLOBAL__N_18offset_tEEE10hipError_tPvRmT1_PNSt15iterator_traitsIS12_E10value_typeET2_T3_PNS13_IS18_E10value_typeET4_jRbjT5_S1E_jjP12ihipStream_tbEUljE_ZNSN_ISO_Lb1ESQ_SR_ST_SU_SY_EESZ_S10_S11_S12_S16_S17_S18_S1B_S1C_jS1D_jS1E_S1E_jjS1G_bEUljE0_EEESZ_S10_S11_S18_S1C_S1E_T6_T7_T9_mT8_S1G_bDpT10_ENKUlT_T0_E_clISt17integral_constantIbLb0EES1T_IbLb1EEEEDaS1P_S1Q_EUlS1P_E_NS1_11comp_targetILNS1_3genE0ELNS1_11target_archE4294967295ELNS1_3gpuE0ELNS1_3repE0EEENS1_30default_config_static_selectorELNS0_4arch9wavefront6targetE0EEEvS12_ ; -- Begin function _ZN7rocprim17ROCPRIM_400000_NS6detail17trampoline_kernelINS0_13select_configILj256ELj13ELNS0_17block_load_methodE3ELS4_3ELS4_3ELNS0_20block_scan_algorithmE0ELj4294967295EEENS1_25partition_config_selectorILNS1_17partition_subalgoE4EjNS0_10empty_typeEbEEZZNS1_14partition_implILS8_4ELb0ES6_15HIP_vector_typeIjLj2EENS0_17counting_iteratorIjlEEPS9_SG_NS0_5tupleIJPjSI_NS0_16reverse_iteratorISI_EEEEENSH_IJSG_SG_SG_EEES9_SI_JZNS1_25segmented_radix_sort_implINS0_14default_configELb1EPKsPsPKlPlN2at6native12_GLOBAL__N_18offset_tEEE10hipError_tPvRmT1_PNSt15iterator_traitsIS12_E10value_typeET2_T3_PNS13_IS18_E10value_typeET4_jRbjT5_S1E_jjP12ihipStream_tbEUljE_ZNSN_ISO_Lb1ESQ_SR_ST_SU_SY_EESZ_S10_S11_S12_S16_S17_S18_S1B_S1C_jS1D_jS1E_S1E_jjS1G_bEUljE0_EEESZ_S10_S11_S18_S1C_S1E_T6_T7_T9_mT8_S1G_bDpT10_ENKUlT_T0_E_clISt17integral_constantIbLb0EES1T_IbLb1EEEEDaS1P_S1Q_EUlS1P_E_NS1_11comp_targetILNS1_3genE0ELNS1_11target_archE4294967295ELNS1_3gpuE0ELNS1_3repE0EEENS1_30default_config_static_selectorELNS0_4arch9wavefront6targetE0EEEvS12_
	.p2align	8
	.type	_ZN7rocprim17ROCPRIM_400000_NS6detail17trampoline_kernelINS0_13select_configILj256ELj13ELNS0_17block_load_methodE3ELS4_3ELS4_3ELNS0_20block_scan_algorithmE0ELj4294967295EEENS1_25partition_config_selectorILNS1_17partition_subalgoE4EjNS0_10empty_typeEbEEZZNS1_14partition_implILS8_4ELb0ES6_15HIP_vector_typeIjLj2EENS0_17counting_iteratorIjlEEPS9_SG_NS0_5tupleIJPjSI_NS0_16reverse_iteratorISI_EEEEENSH_IJSG_SG_SG_EEES9_SI_JZNS1_25segmented_radix_sort_implINS0_14default_configELb1EPKsPsPKlPlN2at6native12_GLOBAL__N_18offset_tEEE10hipError_tPvRmT1_PNSt15iterator_traitsIS12_E10value_typeET2_T3_PNS13_IS18_E10value_typeET4_jRbjT5_S1E_jjP12ihipStream_tbEUljE_ZNSN_ISO_Lb1ESQ_SR_ST_SU_SY_EESZ_S10_S11_S12_S16_S17_S18_S1B_S1C_jS1D_jS1E_S1E_jjS1G_bEUljE0_EEESZ_S10_S11_S18_S1C_S1E_T6_T7_T9_mT8_S1G_bDpT10_ENKUlT_T0_E_clISt17integral_constantIbLb0EES1T_IbLb1EEEEDaS1P_S1Q_EUlS1P_E_NS1_11comp_targetILNS1_3genE0ELNS1_11target_archE4294967295ELNS1_3gpuE0ELNS1_3repE0EEENS1_30default_config_static_selectorELNS0_4arch9wavefront6targetE0EEEvS12_,@function
_ZN7rocprim17ROCPRIM_400000_NS6detail17trampoline_kernelINS0_13select_configILj256ELj13ELNS0_17block_load_methodE3ELS4_3ELS4_3ELNS0_20block_scan_algorithmE0ELj4294967295EEENS1_25partition_config_selectorILNS1_17partition_subalgoE4EjNS0_10empty_typeEbEEZZNS1_14partition_implILS8_4ELb0ES6_15HIP_vector_typeIjLj2EENS0_17counting_iteratorIjlEEPS9_SG_NS0_5tupleIJPjSI_NS0_16reverse_iteratorISI_EEEEENSH_IJSG_SG_SG_EEES9_SI_JZNS1_25segmented_radix_sort_implINS0_14default_configELb1EPKsPsPKlPlN2at6native12_GLOBAL__N_18offset_tEEE10hipError_tPvRmT1_PNSt15iterator_traitsIS12_E10value_typeET2_T3_PNS13_IS18_E10value_typeET4_jRbjT5_S1E_jjP12ihipStream_tbEUljE_ZNSN_ISO_Lb1ESQ_SR_ST_SU_SY_EESZ_S10_S11_S12_S16_S17_S18_S1B_S1C_jS1D_jS1E_S1E_jjS1G_bEUljE0_EEESZ_S10_S11_S18_S1C_S1E_T6_T7_T9_mT8_S1G_bDpT10_ENKUlT_T0_E_clISt17integral_constantIbLb0EES1T_IbLb1EEEEDaS1P_S1Q_EUlS1P_E_NS1_11comp_targetILNS1_3genE0ELNS1_11target_archE4294967295ELNS1_3gpuE0ELNS1_3repE0EEENS1_30default_config_static_selectorELNS0_4arch9wavefront6targetE0EEEvS12_: ; @_ZN7rocprim17ROCPRIM_400000_NS6detail17trampoline_kernelINS0_13select_configILj256ELj13ELNS0_17block_load_methodE3ELS4_3ELS4_3ELNS0_20block_scan_algorithmE0ELj4294967295EEENS1_25partition_config_selectorILNS1_17partition_subalgoE4EjNS0_10empty_typeEbEEZZNS1_14partition_implILS8_4ELb0ES6_15HIP_vector_typeIjLj2EENS0_17counting_iteratorIjlEEPS9_SG_NS0_5tupleIJPjSI_NS0_16reverse_iteratorISI_EEEEENSH_IJSG_SG_SG_EEES9_SI_JZNS1_25segmented_radix_sort_implINS0_14default_configELb1EPKsPsPKlPlN2at6native12_GLOBAL__N_18offset_tEEE10hipError_tPvRmT1_PNSt15iterator_traitsIS12_E10value_typeET2_T3_PNS13_IS18_E10value_typeET4_jRbjT5_S1E_jjP12ihipStream_tbEUljE_ZNSN_ISO_Lb1ESQ_SR_ST_SU_SY_EESZ_S10_S11_S12_S16_S17_S18_S1B_S1C_jS1D_jS1E_S1E_jjS1G_bEUljE0_EEESZ_S10_S11_S18_S1C_S1E_T6_T7_T9_mT8_S1G_bDpT10_ENKUlT_T0_E_clISt17integral_constantIbLb0EES1T_IbLb1EEEEDaS1P_S1Q_EUlS1P_E_NS1_11comp_targetILNS1_3genE0ELNS1_11target_archE4294967295ELNS1_3gpuE0ELNS1_3repE0EEENS1_30default_config_static_selectorELNS0_4arch9wavefront6targetE0EEEvS12_
; %bb.0:
	.section	.rodata,"a",@progbits
	.p2align	6, 0x0
	.amdhsa_kernel _ZN7rocprim17ROCPRIM_400000_NS6detail17trampoline_kernelINS0_13select_configILj256ELj13ELNS0_17block_load_methodE3ELS4_3ELS4_3ELNS0_20block_scan_algorithmE0ELj4294967295EEENS1_25partition_config_selectorILNS1_17partition_subalgoE4EjNS0_10empty_typeEbEEZZNS1_14partition_implILS8_4ELb0ES6_15HIP_vector_typeIjLj2EENS0_17counting_iteratorIjlEEPS9_SG_NS0_5tupleIJPjSI_NS0_16reverse_iteratorISI_EEEEENSH_IJSG_SG_SG_EEES9_SI_JZNS1_25segmented_radix_sort_implINS0_14default_configELb1EPKsPsPKlPlN2at6native12_GLOBAL__N_18offset_tEEE10hipError_tPvRmT1_PNSt15iterator_traitsIS12_E10value_typeET2_T3_PNS13_IS18_E10value_typeET4_jRbjT5_S1E_jjP12ihipStream_tbEUljE_ZNSN_ISO_Lb1ESQ_SR_ST_SU_SY_EESZ_S10_S11_S12_S16_S17_S18_S1B_S1C_jS1D_jS1E_S1E_jjS1G_bEUljE0_EEESZ_S10_S11_S18_S1C_S1E_T6_T7_T9_mT8_S1G_bDpT10_ENKUlT_T0_E_clISt17integral_constantIbLb0EES1T_IbLb1EEEEDaS1P_S1Q_EUlS1P_E_NS1_11comp_targetILNS1_3genE0ELNS1_11target_archE4294967295ELNS1_3gpuE0ELNS1_3repE0EEENS1_30default_config_static_selectorELNS0_4arch9wavefront6targetE0EEEvS12_
		.amdhsa_group_segment_fixed_size 0
		.amdhsa_private_segment_fixed_size 0
		.amdhsa_kernarg_size 184
		.amdhsa_user_sgpr_count 2
		.amdhsa_user_sgpr_dispatch_ptr 0
		.amdhsa_user_sgpr_queue_ptr 0
		.amdhsa_user_sgpr_kernarg_segment_ptr 1
		.amdhsa_user_sgpr_dispatch_id 0
		.amdhsa_user_sgpr_private_segment_size 0
		.amdhsa_wavefront_size32 1
		.amdhsa_uses_dynamic_stack 0
		.amdhsa_enable_private_segment 0
		.amdhsa_system_sgpr_workgroup_id_x 1
		.amdhsa_system_sgpr_workgroup_id_y 0
		.amdhsa_system_sgpr_workgroup_id_z 0
		.amdhsa_system_sgpr_workgroup_info 0
		.amdhsa_system_vgpr_workitem_id 0
		.amdhsa_next_free_vgpr 1
		.amdhsa_next_free_sgpr 1
		.amdhsa_reserve_vcc 0
		.amdhsa_float_round_mode_32 0
		.amdhsa_float_round_mode_16_64 0
		.amdhsa_float_denorm_mode_32 3
		.amdhsa_float_denorm_mode_16_64 3
		.amdhsa_fp16_overflow 0
		.amdhsa_workgroup_processor_mode 1
		.amdhsa_memory_ordered 1
		.amdhsa_forward_progress 1
		.amdhsa_inst_pref_size 0
		.amdhsa_round_robin_scheduling 0
		.amdhsa_exception_fp_ieee_invalid_op 0
		.amdhsa_exception_fp_denorm_src 0
		.amdhsa_exception_fp_ieee_div_zero 0
		.amdhsa_exception_fp_ieee_overflow 0
		.amdhsa_exception_fp_ieee_underflow 0
		.amdhsa_exception_fp_ieee_inexact 0
		.amdhsa_exception_int_div_zero 0
	.end_amdhsa_kernel
	.section	.text._ZN7rocprim17ROCPRIM_400000_NS6detail17trampoline_kernelINS0_13select_configILj256ELj13ELNS0_17block_load_methodE3ELS4_3ELS4_3ELNS0_20block_scan_algorithmE0ELj4294967295EEENS1_25partition_config_selectorILNS1_17partition_subalgoE4EjNS0_10empty_typeEbEEZZNS1_14partition_implILS8_4ELb0ES6_15HIP_vector_typeIjLj2EENS0_17counting_iteratorIjlEEPS9_SG_NS0_5tupleIJPjSI_NS0_16reverse_iteratorISI_EEEEENSH_IJSG_SG_SG_EEES9_SI_JZNS1_25segmented_radix_sort_implINS0_14default_configELb1EPKsPsPKlPlN2at6native12_GLOBAL__N_18offset_tEEE10hipError_tPvRmT1_PNSt15iterator_traitsIS12_E10value_typeET2_T3_PNS13_IS18_E10value_typeET4_jRbjT5_S1E_jjP12ihipStream_tbEUljE_ZNSN_ISO_Lb1ESQ_SR_ST_SU_SY_EESZ_S10_S11_S12_S16_S17_S18_S1B_S1C_jS1D_jS1E_S1E_jjS1G_bEUljE0_EEESZ_S10_S11_S18_S1C_S1E_T6_T7_T9_mT8_S1G_bDpT10_ENKUlT_T0_E_clISt17integral_constantIbLb0EES1T_IbLb1EEEEDaS1P_S1Q_EUlS1P_E_NS1_11comp_targetILNS1_3genE0ELNS1_11target_archE4294967295ELNS1_3gpuE0ELNS1_3repE0EEENS1_30default_config_static_selectorELNS0_4arch9wavefront6targetE0EEEvS12_,"axG",@progbits,_ZN7rocprim17ROCPRIM_400000_NS6detail17trampoline_kernelINS0_13select_configILj256ELj13ELNS0_17block_load_methodE3ELS4_3ELS4_3ELNS0_20block_scan_algorithmE0ELj4294967295EEENS1_25partition_config_selectorILNS1_17partition_subalgoE4EjNS0_10empty_typeEbEEZZNS1_14partition_implILS8_4ELb0ES6_15HIP_vector_typeIjLj2EENS0_17counting_iteratorIjlEEPS9_SG_NS0_5tupleIJPjSI_NS0_16reverse_iteratorISI_EEEEENSH_IJSG_SG_SG_EEES9_SI_JZNS1_25segmented_radix_sort_implINS0_14default_configELb1EPKsPsPKlPlN2at6native12_GLOBAL__N_18offset_tEEE10hipError_tPvRmT1_PNSt15iterator_traitsIS12_E10value_typeET2_T3_PNS13_IS18_E10value_typeET4_jRbjT5_S1E_jjP12ihipStream_tbEUljE_ZNSN_ISO_Lb1ESQ_SR_ST_SU_SY_EESZ_S10_S11_S12_S16_S17_S18_S1B_S1C_jS1D_jS1E_S1E_jjS1G_bEUljE0_EEESZ_S10_S11_S18_S1C_S1E_T6_T7_T9_mT8_S1G_bDpT10_ENKUlT_T0_E_clISt17integral_constantIbLb0EES1T_IbLb1EEEEDaS1P_S1Q_EUlS1P_E_NS1_11comp_targetILNS1_3genE0ELNS1_11target_archE4294967295ELNS1_3gpuE0ELNS1_3repE0EEENS1_30default_config_static_selectorELNS0_4arch9wavefront6targetE0EEEvS12_,comdat
.Lfunc_end871:
	.size	_ZN7rocprim17ROCPRIM_400000_NS6detail17trampoline_kernelINS0_13select_configILj256ELj13ELNS0_17block_load_methodE3ELS4_3ELS4_3ELNS0_20block_scan_algorithmE0ELj4294967295EEENS1_25partition_config_selectorILNS1_17partition_subalgoE4EjNS0_10empty_typeEbEEZZNS1_14partition_implILS8_4ELb0ES6_15HIP_vector_typeIjLj2EENS0_17counting_iteratorIjlEEPS9_SG_NS0_5tupleIJPjSI_NS0_16reverse_iteratorISI_EEEEENSH_IJSG_SG_SG_EEES9_SI_JZNS1_25segmented_radix_sort_implINS0_14default_configELb1EPKsPsPKlPlN2at6native12_GLOBAL__N_18offset_tEEE10hipError_tPvRmT1_PNSt15iterator_traitsIS12_E10value_typeET2_T3_PNS13_IS18_E10value_typeET4_jRbjT5_S1E_jjP12ihipStream_tbEUljE_ZNSN_ISO_Lb1ESQ_SR_ST_SU_SY_EESZ_S10_S11_S12_S16_S17_S18_S1B_S1C_jS1D_jS1E_S1E_jjS1G_bEUljE0_EEESZ_S10_S11_S18_S1C_S1E_T6_T7_T9_mT8_S1G_bDpT10_ENKUlT_T0_E_clISt17integral_constantIbLb0EES1T_IbLb1EEEEDaS1P_S1Q_EUlS1P_E_NS1_11comp_targetILNS1_3genE0ELNS1_11target_archE4294967295ELNS1_3gpuE0ELNS1_3repE0EEENS1_30default_config_static_selectorELNS0_4arch9wavefront6targetE0EEEvS12_, .Lfunc_end871-_ZN7rocprim17ROCPRIM_400000_NS6detail17trampoline_kernelINS0_13select_configILj256ELj13ELNS0_17block_load_methodE3ELS4_3ELS4_3ELNS0_20block_scan_algorithmE0ELj4294967295EEENS1_25partition_config_selectorILNS1_17partition_subalgoE4EjNS0_10empty_typeEbEEZZNS1_14partition_implILS8_4ELb0ES6_15HIP_vector_typeIjLj2EENS0_17counting_iteratorIjlEEPS9_SG_NS0_5tupleIJPjSI_NS0_16reverse_iteratorISI_EEEEENSH_IJSG_SG_SG_EEES9_SI_JZNS1_25segmented_radix_sort_implINS0_14default_configELb1EPKsPsPKlPlN2at6native12_GLOBAL__N_18offset_tEEE10hipError_tPvRmT1_PNSt15iterator_traitsIS12_E10value_typeET2_T3_PNS13_IS18_E10value_typeET4_jRbjT5_S1E_jjP12ihipStream_tbEUljE_ZNSN_ISO_Lb1ESQ_SR_ST_SU_SY_EESZ_S10_S11_S12_S16_S17_S18_S1B_S1C_jS1D_jS1E_S1E_jjS1G_bEUljE0_EEESZ_S10_S11_S18_S1C_S1E_T6_T7_T9_mT8_S1G_bDpT10_ENKUlT_T0_E_clISt17integral_constantIbLb0EES1T_IbLb1EEEEDaS1P_S1Q_EUlS1P_E_NS1_11comp_targetILNS1_3genE0ELNS1_11target_archE4294967295ELNS1_3gpuE0ELNS1_3repE0EEENS1_30default_config_static_selectorELNS0_4arch9wavefront6targetE0EEEvS12_
                                        ; -- End function
	.set _ZN7rocprim17ROCPRIM_400000_NS6detail17trampoline_kernelINS0_13select_configILj256ELj13ELNS0_17block_load_methodE3ELS4_3ELS4_3ELNS0_20block_scan_algorithmE0ELj4294967295EEENS1_25partition_config_selectorILNS1_17partition_subalgoE4EjNS0_10empty_typeEbEEZZNS1_14partition_implILS8_4ELb0ES6_15HIP_vector_typeIjLj2EENS0_17counting_iteratorIjlEEPS9_SG_NS0_5tupleIJPjSI_NS0_16reverse_iteratorISI_EEEEENSH_IJSG_SG_SG_EEES9_SI_JZNS1_25segmented_radix_sort_implINS0_14default_configELb1EPKsPsPKlPlN2at6native12_GLOBAL__N_18offset_tEEE10hipError_tPvRmT1_PNSt15iterator_traitsIS12_E10value_typeET2_T3_PNS13_IS18_E10value_typeET4_jRbjT5_S1E_jjP12ihipStream_tbEUljE_ZNSN_ISO_Lb1ESQ_SR_ST_SU_SY_EESZ_S10_S11_S12_S16_S17_S18_S1B_S1C_jS1D_jS1E_S1E_jjS1G_bEUljE0_EEESZ_S10_S11_S18_S1C_S1E_T6_T7_T9_mT8_S1G_bDpT10_ENKUlT_T0_E_clISt17integral_constantIbLb0EES1T_IbLb1EEEEDaS1P_S1Q_EUlS1P_E_NS1_11comp_targetILNS1_3genE0ELNS1_11target_archE4294967295ELNS1_3gpuE0ELNS1_3repE0EEENS1_30default_config_static_selectorELNS0_4arch9wavefront6targetE0EEEvS12_.num_vgpr, 0
	.set _ZN7rocprim17ROCPRIM_400000_NS6detail17trampoline_kernelINS0_13select_configILj256ELj13ELNS0_17block_load_methodE3ELS4_3ELS4_3ELNS0_20block_scan_algorithmE0ELj4294967295EEENS1_25partition_config_selectorILNS1_17partition_subalgoE4EjNS0_10empty_typeEbEEZZNS1_14partition_implILS8_4ELb0ES6_15HIP_vector_typeIjLj2EENS0_17counting_iteratorIjlEEPS9_SG_NS0_5tupleIJPjSI_NS0_16reverse_iteratorISI_EEEEENSH_IJSG_SG_SG_EEES9_SI_JZNS1_25segmented_radix_sort_implINS0_14default_configELb1EPKsPsPKlPlN2at6native12_GLOBAL__N_18offset_tEEE10hipError_tPvRmT1_PNSt15iterator_traitsIS12_E10value_typeET2_T3_PNS13_IS18_E10value_typeET4_jRbjT5_S1E_jjP12ihipStream_tbEUljE_ZNSN_ISO_Lb1ESQ_SR_ST_SU_SY_EESZ_S10_S11_S12_S16_S17_S18_S1B_S1C_jS1D_jS1E_S1E_jjS1G_bEUljE0_EEESZ_S10_S11_S18_S1C_S1E_T6_T7_T9_mT8_S1G_bDpT10_ENKUlT_T0_E_clISt17integral_constantIbLb0EES1T_IbLb1EEEEDaS1P_S1Q_EUlS1P_E_NS1_11comp_targetILNS1_3genE0ELNS1_11target_archE4294967295ELNS1_3gpuE0ELNS1_3repE0EEENS1_30default_config_static_selectorELNS0_4arch9wavefront6targetE0EEEvS12_.num_agpr, 0
	.set _ZN7rocprim17ROCPRIM_400000_NS6detail17trampoline_kernelINS0_13select_configILj256ELj13ELNS0_17block_load_methodE3ELS4_3ELS4_3ELNS0_20block_scan_algorithmE0ELj4294967295EEENS1_25partition_config_selectorILNS1_17partition_subalgoE4EjNS0_10empty_typeEbEEZZNS1_14partition_implILS8_4ELb0ES6_15HIP_vector_typeIjLj2EENS0_17counting_iteratorIjlEEPS9_SG_NS0_5tupleIJPjSI_NS0_16reverse_iteratorISI_EEEEENSH_IJSG_SG_SG_EEES9_SI_JZNS1_25segmented_radix_sort_implINS0_14default_configELb1EPKsPsPKlPlN2at6native12_GLOBAL__N_18offset_tEEE10hipError_tPvRmT1_PNSt15iterator_traitsIS12_E10value_typeET2_T3_PNS13_IS18_E10value_typeET4_jRbjT5_S1E_jjP12ihipStream_tbEUljE_ZNSN_ISO_Lb1ESQ_SR_ST_SU_SY_EESZ_S10_S11_S12_S16_S17_S18_S1B_S1C_jS1D_jS1E_S1E_jjS1G_bEUljE0_EEESZ_S10_S11_S18_S1C_S1E_T6_T7_T9_mT8_S1G_bDpT10_ENKUlT_T0_E_clISt17integral_constantIbLb0EES1T_IbLb1EEEEDaS1P_S1Q_EUlS1P_E_NS1_11comp_targetILNS1_3genE0ELNS1_11target_archE4294967295ELNS1_3gpuE0ELNS1_3repE0EEENS1_30default_config_static_selectorELNS0_4arch9wavefront6targetE0EEEvS12_.numbered_sgpr, 0
	.set _ZN7rocprim17ROCPRIM_400000_NS6detail17trampoline_kernelINS0_13select_configILj256ELj13ELNS0_17block_load_methodE3ELS4_3ELS4_3ELNS0_20block_scan_algorithmE0ELj4294967295EEENS1_25partition_config_selectorILNS1_17partition_subalgoE4EjNS0_10empty_typeEbEEZZNS1_14partition_implILS8_4ELb0ES6_15HIP_vector_typeIjLj2EENS0_17counting_iteratorIjlEEPS9_SG_NS0_5tupleIJPjSI_NS0_16reverse_iteratorISI_EEEEENSH_IJSG_SG_SG_EEES9_SI_JZNS1_25segmented_radix_sort_implINS0_14default_configELb1EPKsPsPKlPlN2at6native12_GLOBAL__N_18offset_tEEE10hipError_tPvRmT1_PNSt15iterator_traitsIS12_E10value_typeET2_T3_PNS13_IS18_E10value_typeET4_jRbjT5_S1E_jjP12ihipStream_tbEUljE_ZNSN_ISO_Lb1ESQ_SR_ST_SU_SY_EESZ_S10_S11_S12_S16_S17_S18_S1B_S1C_jS1D_jS1E_S1E_jjS1G_bEUljE0_EEESZ_S10_S11_S18_S1C_S1E_T6_T7_T9_mT8_S1G_bDpT10_ENKUlT_T0_E_clISt17integral_constantIbLb0EES1T_IbLb1EEEEDaS1P_S1Q_EUlS1P_E_NS1_11comp_targetILNS1_3genE0ELNS1_11target_archE4294967295ELNS1_3gpuE0ELNS1_3repE0EEENS1_30default_config_static_selectorELNS0_4arch9wavefront6targetE0EEEvS12_.num_named_barrier, 0
	.set _ZN7rocprim17ROCPRIM_400000_NS6detail17trampoline_kernelINS0_13select_configILj256ELj13ELNS0_17block_load_methodE3ELS4_3ELS4_3ELNS0_20block_scan_algorithmE0ELj4294967295EEENS1_25partition_config_selectorILNS1_17partition_subalgoE4EjNS0_10empty_typeEbEEZZNS1_14partition_implILS8_4ELb0ES6_15HIP_vector_typeIjLj2EENS0_17counting_iteratorIjlEEPS9_SG_NS0_5tupleIJPjSI_NS0_16reverse_iteratorISI_EEEEENSH_IJSG_SG_SG_EEES9_SI_JZNS1_25segmented_radix_sort_implINS0_14default_configELb1EPKsPsPKlPlN2at6native12_GLOBAL__N_18offset_tEEE10hipError_tPvRmT1_PNSt15iterator_traitsIS12_E10value_typeET2_T3_PNS13_IS18_E10value_typeET4_jRbjT5_S1E_jjP12ihipStream_tbEUljE_ZNSN_ISO_Lb1ESQ_SR_ST_SU_SY_EESZ_S10_S11_S12_S16_S17_S18_S1B_S1C_jS1D_jS1E_S1E_jjS1G_bEUljE0_EEESZ_S10_S11_S18_S1C_S1E_T6_T7_T9_mT8_S1G_bDpT10_ENKUlT_T0_E_clISt17integral_constantIbLb0EES1T_IbLb1EEEEDaS1P_S1Q_EUlS1P_E_NS1_11comp_targetILNS1_3genE0ELNS1_11target_archE4294967295ELNS1_3gpuE0ELNS1_3repE0EEENS1_30default_config_static_selectorELNS0_4arch9wavefront6targetE0EEEvS12_.private_seg_size, 0
	.set _ZN7rocprim17ROCPRIM_400000_NS6detail17trampoline_kernelINS0_13select_configILj256ELj13ELNS0_17block_load_methodE3ELS4_3ELS4_3ELNS0_20block_scan_algorithmE0ELj4294967295EEENS1_25partition_config_selectorILNS1_17partition_subalgoE4EjNS0_10empty_typeEbEEZZNS1_14partition_implILS8_4ELb0ES6_15HIP_vector_typeIjLj2EENS0_17counting_iteratorIjlEEPS9_SG_NS0_5tupleIJPjSI_NS0_16reverse_iteratorISI_EEEEENSH_IJSG_SG_SG_EEES9_SI_JZNS1_25segmented_radix_sort_implINS0_14default_configELb1EPKsPsPKlPlN2at6native12_GLOBAL__N_18offset_tEEE10hipError_tPvRmT1_PNSt15iterator_traitsIS12_E10value_typeET2_T3_PNS13_IS18_E10value_typeET4_jRbjT5_S1E_jjP12ihipStream_tbEUljE_ZNSN_ISO_Lb1ESQ_SR_ST_SU_SY_EESZ_S10_S11_S12_S16_S17_S18_S1B_S1C_jS1D_jS1E_S1E_jjS1G_bEUljE0_EEESZ_S10_S11_S18_S1C_S1E_T6_T7_T9_mT8_S1G_bDpT10_ENKUlT_T0_E_clISt17integral_constantIbLb0EES1T_IbLb1EEEEDaS1P_S1Q_EUlS1P_E_NS1_11comp_targetILNS1_3genE0ELNS1_11target_archE4294967295ELNS1_3gpuE0ELNS1_3repE0EEENS1_30default_config_static_selectorELNS0_4arch9wavefront6targetE0EEEvS12_.uses_vcc, 0
	.set _ZN7rocprim17ROCPRIM_400000_NS6detail17trampoline_kernelINS0_13select_configILj256ELj13ELNS0_17block_load_methodE3ELS4_3ELS4_3ELNS0_20block_scan_algorithmE0ELj4294967295EEENS1_25partition_config_selectorILNS1_17partition_subalgoE4EjNS0_10empty_typeEbEEZZNS1_14partition_implILS8_4ELb0ES6_15HIP_vector_typeIjLj2EENS0_17counting_iteratorIjlEEPS9_SG_NS0_5tupleIJPjSI_NS0_16reverse_iteratorISI_EEEEENSH_IJSG_SG_SG_EEES9_SI_JZNS1_25segmented_radix_sort_implINS0_14default_configELb1EPKsPsPKlPlN2at6native12_GLOBAL__N_18offset_tEEE10hipError_tPvRmT1_PNSt15iterator_traitsIS12_E10value_typeET2_T3_PNS13_IS18_E10value_typeET4_jRbjT5_S1E_jjP12ihipStream_tbEUljE_ZNSN_ISO_Lb1ESQ_SR_ST_SU_SY_EESZ_S10_S11_S12_S16_S17_S18_S1B_S1C_jS1D_jS1E_S1E_jjS1G_bEUljE0_EEESZ_S10_S11_S18_S1C_S1E_T6_T7_T9_mT8_S1G_bDpT10_ENKUlT_T0_E_clISt17integral_constantIbLb0EES1T_IbLb1EEEEDaS1P_S1Q_EUlS1P_E_NS1_11comp_targetILNS1_3genE0ELNS1_11target_archE4294967295ELNS1_3gpuE0ELNS1_3repE0EEENS1_30default_config_static_selectorELNS0_4arch9wavefront6targetE0EEEvS12_.uses_flat_scratch, 0
	.set _ZN7rocprim17ROCPRIM_400000_NS6detail17trampoline_kernelINS0_13select_configILj256ELj13ELNS0_17block_load_methodE3ELS4_3ELS4_3ELNS0_20block_scan_algorithmE0ELj4294967295EEENS1_25partition_config_selectorILNS1_17partition_subalgoE4EjNS0_10empty_typeEbEEZZNS1_14partition_implILS8_4ELb0ES6_15HIP_vector_typeIjLj2EENS0_17counting_iteratorIjlEEPS9_SG_NS0_5tupleIJPjSI_NS0_16reverse_iteratorISI_EEEEENSH_IJSG_SG_SG_EEES9_SI_JZNS1_25segmented_radix_sort_implINS0_14default_configELb1EPKsPsPKlPlN2at6native12_GLOBAL__N_18offset_tEEE10hipError_tPvRmT1_PNSt15iterator_traitsIS12_E10value_typeET2_T3_PNS13_IS18_E10value_typeET4_jRbjT5_S1E_jjP12ihipStream_tbEUljE_ZNSN_ISO_Lb1ESQ_SR_ST_SU_SY_EESZ_S10_S11_S12_S16_S17_S18_S1B_S1C_jS1D_jS1E_S1E_jjS1G_bEUljE0_EEESZ_S10_S11_S18_S1C_S1E_T6_T7_T9_mT8_S1G_bDpT10_ENKUlT_T0_E_clISt17integral_constantIbLb0EES1T_IbLb1EEEEDaS1P_S1Q_EUlS1P_E_NS1_11comp_targetILNS1_3genE0ELNS1_11target_archE4294967295ELNS1_3gpuE0ELNS1_3repE0EEENS1_30default_config_static_selectorELNS0_4arch9wavefront6targetE0EEEvS12_.has_dyn_sized_stack, 0
	.set _ZN7rocprim17ROCPRIM_400000_NS6detail17trampoline_kernelINS0_13select_configILj256ELj13ELNS0_17block_load_methodE3ELS4_3ELS4_3ELNS0_20block_scan_algorithmE0ELj4294967295EEENS1_25partition_config_selectorILNS1_17partition_subalgoE4EjNS0_10empty_typeEbEEZZNS1_14partition_implILS8_4ELb0ES6_15HIP_vector_typeIjLj2EENS0_17counting_iteratorIjlEEPS9_SG_NS0_5tupleIJPjSI_NS0_16reverse_iteratorISI_EEEEENSH_IJSG_SG_SG_EEES9_SI_JZNS1_25segmented_radix_sort_implINS0_14default_configELb1EPKsPsPKlPlN2at6native12_GLOBAL__N_18offset_tEEE10hipError_tPvRmT1_PNSt15iterator_traitsIS12_E10value_typeET2_T3_PNS13_IS18_E10value_typeET4_jRbjT5_S1E_jjP12ihipStream_tbEUljE_ZNSN_ISO_Lb1ESQ_SR_ST_SU_SY_EESZ_S10_S11_S12_S16_S17_S18_S1B_S1C_jS1D_jS1E_S1E_jjS1G_bEUljE0_EEESZ_S10_S11_S18_S1C_S1E_T6_T7_T9_mT8_S1G_bDpT10_ENKUlT_T0_E_clISt17integral_constantIbLb0EES1T_IbLb1EEEEDaS1P_S1Q_EUlS1P_E_NS1_11comp_targetILNS1_3genE0ELNS1_11target_archE4294967295ELNS1_3gpuE0ELNS1_3repE0EEENS1_30default_config_static_selectorELNS0_4arch9wavefront6targetE0EEEvS12_.has_recursion, 0
	.set _ZN7rocprim17ROCPRIM_400000_NS6detail17trampoline_kernelINS0_13select_configILj256ELj13ELNS0_17block_load_methodE3ELS4_3ELS4_3ELNS0_20block_scan_algorithmE0ELj4294967295EEENS1_25partition_config_selectorILNS1_17partition_subalgoE4EjNS0_10empty_typeEbEEZZNS1_14partition_implILS8_4ELb0ES6_15HIP_vector_typeIjLj2EENS0_17counting_iteratorIjlEEPS9_SG_NS0_5tupleIJPjSI_NS0_16reverse_iteratorISI_EEEEENSH_IJSG_SG_SG_EEES9_SI_JZNS1_25segmented_radix_sort_implINS0_14default_configELb1EPKsPsPKlPlN2at6native12_GLOBAL__N_18offset_tEEE10hipError_tPvRmT1_PNSt15iterator_traitsIS12_E10value_typeET2_T3_PNS13_IS18_E10value_typeET4_jRbjT5_S1E_jjP12ihipStream_tbEUljE_ZNSN_ISO_Lb1ESQ_SR_ST_SU_SY_EESZ_S10_S11_S12_S16_S17_S18_S1B_S1C_jS1D_jS1E_S1E_jjS1G_bEUljE0_EEESZ_S10_S11_S18_S1C_S1E_T6_T7_T9_mT8_S1G_bDpT10_ENKUlT_T0_E_clISt17integral_constantIbLb0EES1T_IbLb1EEEEDaS1P_S1Q_EUlS1P_E_NS1_11comp_targetILNS1_3genE0ELNS1_11target_archE4294967295ELNS1_3gpuE0ELNS1_3repE0EEENS1_30default_config_static_selectorELNS0_4arch9wavefront6targetE0EEEvS12_.has_indirect_call, 0
	.section	.AMDGPU.csdata,"",@progbits
; Kernel info:
; codeLenInByte = 0
; TotalNumSgprs: 0
; NumVgprs: 0
; ScratchSize: 0
; MemoryBound: 0
; FloatMode: 240
; IeeeMode: 1
; LDSByteSize: 0 bytes/workgroup (compile time only)
; SGPRBlocks: 0
; VGPRBlocks: 0
; NumSGPRsForWavesPerEU: 1
; NumVGPRsForWavesPerEU: 1
; Occupancy: 16
; WaveLimiterHint : 0
; COMPUTE_PGM_RSRC2:SCRATCH_EN: 0
; COMPUTE_PGM_RSRC2:USER_SGPR: 2
; COMPUTE_PGM_RSRC2:TRAP_HANDLER: 0
; COMPUTE_PGM_RSRC2:TGID_X_EN: 1
; COMPUTE_PGM_RSRC2:TGID_Y_EN: 0
; COMPUTE_PGM_RSRC2:TGID_Z_EN: 0
; COMPUTE_PGM_RSRC2:TIDIG_COMP_CNT: 0
	.section	.text._ZN7rocprim17ROCPRIM_400000_NS6detail17trampoline_kernelINS0_13select_configILj256ELj13ELNS0_17block_load_methodE3ELS4_3ELS4_3ELNS0_20block_scan_algorithmE0ELj4294967295EEENS1_25partition_config_selectorILNS1_17partition_subalgoE4EjNS0_10empty_typeEbEEZZNS1_14partition_implILS8_4ELb0ES6_15HIP_vector_typeIjLj2EENS0_17counting_iteratorIjlEEPS9_SG_NS0_5tupleIJPjSI_NS0_16reverse_iteratorISI_EEEEENSH_IJSG_SG_SG_EEES9_SI_JZNS1_25segmented_radix_sort_implINS0_14default_configELb1EPKsPsPKlPlN2at6native12_GLOBAL__N_18offset_tEEE10hipError_tPvRmT1_PNSt15iterator_traitsIS12_E10value_typeET2_T3_PNS13_IS18_E10value_typeET4_jRbjT5_S1E_jjP12ihipStream_tbEUljE_ZNSN_ISO_Lb1ESQ_SR_ST_SU_SY_EESZ_S10_S11_S12_S16_S17_S18_S1B_S1C_jS1D_jS1E_S1E_jjS1G_bEUljE0_EEESZ_S10_S11_S18_S1C_S1E_T6_T7_T9_mT8_S1G_bDpT10_ENKUlT_T0_E_clISt17integral_constantIbLb0EES1T_IbLb1EEEEDaS1P_S1Q_EUlS1P_E_NS1_11comp_targetILNS1_3genE5ELNS1_11target_archE942ELNS1_3gpuE9ELNS1_3repE0EEENS1_30default_config_static_selectorELNS0_4arch9wavefront6targetE0EEEvS12_,"axG",@progbits,_ZN7rocprim17ROCPRIM_400000_NS6detail17trampoline_kernelINS0_13select_configILj256ELj13ELNS0_17block_load_methodE3ELS4_3ELS4_3ELNS0_20block_scan_algorithmE0ELj4294967295EEENS1_25partition_config_selectorILNS1_17partition_subalgoE4EjNS0_10empty_typeEbEEZZNS1_14partition_implILS8_4ELb0ES6_15HIP_vector_typeIjLj2EENS0_17counting_iteratorIjlEEPS9_SG_NS0_5tupleIJPjSI_NS0_16reverse_iteratorISI_EEEEENSH_IJSG_SG_SG_EEES9_SI_JZNS1_25segmented_radix_sort_implINS0_14default_configELb1EPKsPsPKlPlN2at6native12_GLOBAL__N_18offset_tEEE10hipError_tPvRmT1_PNSt15iterator_traitsIS12_E10value_typeET2_T3_PNS13_IS18_E10value_typeET4_jRbjT5_S1E_jjP12ihipStream_tbEUljE_ZNSN_ISO_Lb1ESQ_SR_ST_SU_SY_EESZ_S10_S11_S12_S16_S17_S18_S1B_S1C_jS1D_jS1E_S1E_jjS1G_bEUljE0_EEESZ_S10_S11_S18_S1C_S1E_T6_T7_T9_mT8_S1G_bDpT10_ENKUlT_T0_E_clISt17integral_constantIbLb0EES1T_IbLb1EEEEDaS1P_S1Q_EUlS1P_E_NS1_11comp_targetILNS1_3genE5ELNS1_11target_archE942ELNS1_3gpuE9ELNS1_3repE0EEENS1_30default_config_static_selectorELNS0_4arch9wavefront6targetE0EEEvS12_,comdat
	.globl	_ZN7rocprim17ROCPRIM_400000_NS6detail17trampoline_kernelINS0_13select_configILj256ELj13ELNS0_17block_load_methodE3ELS4_3ELS4_3ELNS0_20block_scan_algorithmE0ELj4294967295EEENS1_25partition_config_selectorILNS1_17partition_subalgoE4EjNS0_10empty_typeEbEEZZNS1_14partition_implILS8_4ELb0ES6_15HIP_vector_typeIjLj2EENS0_17counting_iteratorIjlEEPS9_SG_NS0_5tupleIJPjSI_NS0_16reverse_iteratorISI_EEEEENSH_IJSG_SG_SG_EEES9_SI_JZNS1_25segmented_radix_sort_implINS0_14default_configELb1EPKsPsPKlPlN2at6native12_GLOBAL__N_18offset_tEEE10hipError_tPvRmT1_PNSt15iterator_traitsIS12_E10value_typeET2_T3_PNS13_IS18_E10value_typeET4_jRbjT5_S1E_jjP12ihipStream_tbEUljE_ZNSN_ISO_Lb1ESQ_SR_ST_SU_SY_EESZ_S10_S11_S12_S16_S17_S18_S1B_S1C_jS1D_jS1E_S1E_jjS1G_bEUljE0_EEESZ_S10_S11_S18_S1C_S1E_T6_T7_T9_mT8_S1G_bDpT10_ENKUlT_T0_E_clISt17integral_constantIbLb0EES1T_IbLb1EEEEDaS1P_S1Q_EUlS1P_E_NS1_11comp_targetILNS1_3genE5ELNS1_11target_archE942ELNS1_3gpuE9ELNS1_3repE0EEENS1_30default_config_static_selectorELNS0_4arch9wavefront6targetE0EEEvS12_ ; -- Begin function _ZN7rocprim17ROCPRIM_400000_NS6detail17trampoline_kernelINS0_13select_configILj256ELj13ELNS0_17block_load_methodE3ELS4_3ELS4_3ELNS0_20block_scan_algorithmE0ELj4294967295EEENS1_25partition_config_selectorILNS1_17partition_subalgoE4EjNS0_10empty_typeEbEEZZNS1_14partition_implILS8_4ELb0ES6_15HIP_vector_typeIjLj2EENS0_17counting_iteratorIjlEEPS9_SG_NS0_5tupleIJPjSI_NS0_16reverse_iteratorISI_EEEEENSH_IJSG_SG_SG_EEES9_SI_JZNS1_25segmented_radix_sort_implINS0_14default_configELb1EPKsPsPKlPlN2at6native12_GLOBAL__N_18offset_tEEE10hipError_tPvRmT1_PNSt15iterator_traitsIS12_E10value_typeET2_T3_PNS13_IS18_E10value_typeET4_jRbjT5_S1E_jjP12ihipStream_tbEUljE_ZNSN_ISO_Lb1ESQ_SR_ST_SU_SY_EESZ_S10_S11_S12_S16_S17_S18_S1B_S1C_jS1D_jS1E_S1E_jjS1G_bEUljE0_EEESZ_S10_S11_S18_S1C_S1E_T6_T7_T9_mT8_S1G_bDpT10_ENKUlT_T0_E_clISt17integral_constantIbLb0EES1T_IbLb1EEEEDaS1P_S1Q_EUlS1P_E_NS1_11comp_targetILNS1_3genE5ELNS1_11target_archE942ELNS1_3gpuE9ELNS1_3repE0EEENS1_30default_config_static_selectorELNS0_4arch9wavefront6targetE0EEEvS12_
	.p2align	8
	.type	_ZN7rocprim17ROCPRIM_400000_NS6detail17trampoline_kernelINS0_13select_configILj256ELj13ELNS0_17block_load_methodE3ELS4_3ELS4_3ELNS0_20block_scan_algorithmE0ELj4294967295EEENS1_25partition_config_selectorILNS1_17partition_subalgoE4EjNS0_10empty_typeEbEEZZNS1_14partition_implILS8_4ELb0ES6_15HIP_vector_typeIjLj2EENS0_17counting_iteratorIjlEEPS9_SG_NS0_5tupleIJPjSI_NS0_16reverse_iteratorISI_EEEEENSH_IJSG_SG_SG_EEES9_SI_JZNS1_25segmented_radix_sort_implINS0_14default_configELb1EPKsPsPKlPlN2at6native12_GLOBAL__N_18offset_tEEE10hipError_tPvRmT1_PNSt15iterator_traitsIS12_E10value_typeET2_T3_PNS13_IS18_E10value_typeET4_jRbjT5_S1E_jjP12ihipStream_tbEUljE_ZNSN_ISO_Lb1ESQ_SR_ST_SU_SY_EESZ_S10_S11_S12_S16_S17_S18_S1B_S1C_jS1D_jS1E_S1E_jjS1G_bEUljE0_EEESZ_S10_S11_S18_S1C_S1E_T6_T7_T9_mT8_S1G_bDpT10_ENKUlT_T0_E_clISt17integral_constantIbLb0EES1T_IbLb1EEEEDaS1P_S1Q_EUlS1P_E_NS1_11comp_targetILNS1_3genE5ELNS1_11target_archE942ELNS1_3gpuE9ELNS1_3repE0EEENS1_30default_config_static_selectorELNS0_4arch9wavefront6targetE0EEEvS12_,@function
_ZN7rocprim17ROCPRIM_400000_NS6detail17trampoline_kernelINS0_13select_configILj256ELj13ELNS0_17block_load_methodE3ELS4_3ELS4_3ELNS0_20block_scan_algorithmE0ELj4294967295EEENS1_25partition_config_selectorILNS1_17partition_subalgoE4EjNS0_10empty_typeEbEEZZNS1_14partition_implILS8_4ELb0ES6_15HIP_vector_typeIjLj2EENS0_17counting_iteratorIjlEEPS9_SG_NS0_5tupleIJPjSI_NS0_16reverse_iteratorISI_EEEEENSH_IJSG_SG_SG_EEES9_SI_JZNS1_25segmented_radix_sort_implINS0_14default_configELb1EPKsPsPKlPlN2at6native12_GLOBAL__N_18offset_tEEE10hipError_tPvRmT1_PNSt15iterator_traitsIS12_E10value_typeET2_T3_PNS13_IS18_E10value_typeET4_jRbjT5_S1E_jjP12ihipStream_tbEUljE_ZNSN_ISO_Lb1ESQ_SR_ST_SU_SY_EESZ_S10_S11_S12_S16_S17_S18_S1B_S1C_jS1D_jS1E_S1E_jjS1G_bEUljE0_EEESZ_S10_S11_S18_S1C_S1E_T6_T7_T9_mT8_S1G_bDpT10_ENKUlT_T0_E_clISt17integral_constantIbLb0EES1T_IbLb1EEEEDaS1P_S1Q_EUlS1P_E_NS1_11comp_targetILNS1_3genE5ELNS1_11target_archE942ELNS1_3gpuE9ELNS1_3repE0EEENS1_30default_config_static_selectorELNS0_4arch9wavefront6targetE0EEEvS12_: ; @_ZN7rocprim17ROCPRIM_400000_NS6detail17trampoline_kernelINS0_13select_configILj256ELj13ELNS0_17block_load_methodE3ELS4_3ELS4_3ELNS0_20block_scan_algorithmE0ELj4294967295EEENS1_25partition_config_selectorILNS1_17partition_subalgoE4EjNS0_10empty_typeEbEEZZNS1_14partition_implILS8_4ELb0ES6_15HIP_vector_typeIjLj2EENS0_17counting_iteratorIjlEEPS9_SG_NS0_5tupleIJPjSI_NS0_16reverse_iteratorISI_EEEEENSH_IJSG_SG_SG_EEES9_SI_JZNS1_25segmented_radix_sort_implINS0_14default_configELb1EPKsPsPKlPlN2at6native12_GLOBAL__N_18offset_tEEE10hipError_tPvRmT1_PNSt15iterator_traitsIS12_E10value_typeET2_T3_PNS13_IS18_E10value_typeET4_jRbjT5_S1E_jjP12ihipStream_tbEUljE_ZNSN_ISO_Lb1ESQ_SR_ST_SU_SY_EESZ_S10_S11_S12_S16_S17_S18_S1B_S1C_jS1D_jS1E_S1E_jjS1G_bEUljE0_EEESZ_S10_S11_S18_S1C_S1E_T6_T7_T9_mT8_S1G_bDpT10_ENKUlT_T0_E_clISt17integral_constantIbLb0EES1T_IbLb1EEEEDaS1P_S1Q_EUlS1P_E_NS1_11comp_targetILNS1_3genE5ELNS1_11target_archE942ELNS1_3gpuE9ELNS1_3repE0EEENS1_30default_config_static_selectorELNS0_4arch9wavefront6targetE0EEEvS12_
; %bb.0:
	.section	.rodata,"a",@progbits
	.p2align	6, 0x0
	.amdhsa_kernel _ZN7rocprim17ROCPRIM_400000_NS6detail17trampoline_kernelINS0_13select_configILj256ELj13ELNS0_17block_load_methodE3ELS4_3ELS4_3ELNS0_20block_scan_algorithmE0ELj4294967295EEENS1_25partition_config_selectorILNS1_17partition_subalgoE4EjNS0_10empty_typeEbEEZZNS1_14partition_implILS8_4ELb0ES6_15HIP_vector_typeIjLj2EENS0_17counting_iteratorIjlEEPS9_SG_NS0_5tupleIJPjSI_NS0_16reverse_iteratorISI_EEEEENSH_IJSG_SG_SG_EEES9_SI_JZNS1_25segmented_radix_sort_implINS0_14default_configELb1EPKsPsPKlPlN2at6native12_GLOBAL__N_18offset_tEEE10hipError_tPvRmT1_PNSt15iterator_traitsIS12_E10value_typeET2_T3_PNS13_IS18_E10value_typeET4_jRbjT5_S1E_jjP12ihipStream_tbEUljE_ZNSN_ISO_Lb1ESQ_SR_ST_SU_SY_EESZ_S10_S11_S12_S16_S17_S18_S1B_S1C_jS1D_jS1E_S1E_jjS1G_bEUljE0_EEESZ_S10_S11_S18_S1C_S1E_T6_T7_T9_mT8_S1G_bDpT10_ENKUlT_T0_E_clISt17integral_constantIbLb0EES1T_IbLb1EEEEDaS1P_S1Q_EUlS1P_E_NS1_11comp_targetILNS1_3genE5ELNS1_11target_archE942ELNS1_3gpuE9ELNS1_3repE0EEENS1_30default_config_static_selectorELNS0_4arch9wavefront6targetE0EEEvS12_
		.amdhsa_group_segment_fixed_size 0
		.amdhsa_private_segment_fixed_size 0
		.amdhsa_kernarg_size 184
		.amdhsa_user_sgpr_count 2
		.amdhsa_user_sgpr_dispatch_ptr 0
		.amdhsa_user_sgpr_queue_ptr 0
		.amdhsa_user_sgpr_kernarg_segment_ptr 1
		.amdhsa_user_sgpr_dispatch_id 0
		.amdhsa_user_sgpr_private_segment_size 0
		.amdhsa_wavefront_size32 1
		.amdhsa_uses_dynamic_stack 0
		.amdhsa_enable_private_segment 0
		.amdhsa_system_sgpr_workgroup_id_x 1
		.amdhsa_system_sgpr_workgroup_id_y 0
		.amdhsa_system_sgpr_workgroup_id_z 0
		.amdhsa_system_sgpr_workgroup_info 0
		.amdhsa_system_vgpr_workitem_id 0
		.amdhsa_next_free_vgpr 1
		.amdhsa_next_free_sgpr 1
		.amdhsa_reserve_vcc 0
		.amdhsa_float_round_mode_32 0
		.amdhsa_float_round_mode_16_64 0
		.amdhsa_float_denorm_mode_32 3
		.amdhsa_float_denorm_mode_16_64 3
		.amdhsa_fp16_overflow 0
		.amdhsa_workgroup_processor_mode 1
		.amdhsa_memory_ordered 1
		.amdhsa_forward_progress 1
		.amdhsa_inst_pref_size 0
		.amdhsa_round_robin_scheduling 0
		.amdhsa_exception_fp_ieee_invalid_op 0
		.amdhsa_exception_fp_denorm_src 0
		.amdhsa_exception_fp_ieee_div_zero 0
		.amdhsa_exception_fp_ieee_overflow 0
		.amdhsa_exception_fp_ieee_underflow 0
		.amdhsa_exception_fp_ieee_inexact 0
		.amdhsa_exception_int_div_zero 0
	.end_amdhsa_kernel
	.section	.text._ZN7rocprim17ROCPRIM_400000_NS6detail17trampoline_kernelINS0_13select_configILj256ELj13ELNS0_17block_load_methodE3ELS4_3ELS4_3ELNS0_20block_scan_algorithmE0ELj4294967295EEENS1_25partition_config_selectorILNS1_17partition_subalgoE4EjNS0_10empty_typeEbEEZZNS1_14partition_implILS8_4ELb0ES6_15HIP_vector_typeIjLj2EENS0_17counting_iteratorIjlEEPS9_SG_NS0_5tupleIJPjSI_NS0_16reverse_iteratorISI_EEEEENSH_IJSG_SG_SG_EEES9_SI_JZNS1_25segmented_radix_sort_implINS0_14default_configELb1EPKsPsPKlPlN2at6native12_GLOBAL__N_18offset_tEEE10hipError_tPvRmT1_PNSt15iterator_traitsIS12_E10value_typeET2_T3_PNS13_IS18_E10value_typeET4_jRbjT5_S1E_jjP12ihipStream_tbEUljE_ZNSN_ISO_Lb1ESQ_SR_ST_SU_SY_EESZ_S10_S11_S12_S16_S17_S18_S1B_S1C_jS1D_jS1E_S1E_jjS1G_bEUljE0_EEESZ_S10_S11_S18_S1C_S1E_T6_T7_T9_mT8_S1G_bDpT10_ENKUlT_T0_E_clISt17integral_constantIbLb0EES1T_IbLb1EEEEDaS1P_S1Q_EUlS1P_E_NS1_11comp_targetILNS1_3genE5ELNS1_11target_archE942ELNS1_3gpuE9ELNS1_3repE0EEENS1_30default_config_static_selectorELNS0_4arch9wavefront6targetE0EEEvS12_,"axG",@progbits,_ZN7rocprim17ROCPRIM_400000_NS6detail17trampoline_kernelINS0_13select_configILj256ELj13ELNS0_17block_load_methodE3ELS4_3ELS4_3ELNS0_20block_scan_algorithmE0ELj4294967295EEENS1_25partition_config_selectorILNS1_17partition_subalgoE4EjNS0_10empty_typeEbEEZZNS1_14partition_implILS8_4ELb0ES6_15HIP_vector_typeIjLj2EENS0_17counting_iteratorIjlEEPS9_SG_NS0_5tupleIJPjSI_NS0_16reverse_iteratorISI_EEEEENSH_IJSG_SG_SG_EEES9_SI_JZNS1_25segmented_radix_sort_implINS0_14default_configELb1EPKsPsPKlPlN2at6native12_GLOBAL__N_18offset_tEEE10hipError_tPvRmT1_PNSt15iterator_traitsIS12_E10value_typeET2_T3_PNS13_IS18_E10value_typeET4_jRbjT5_S1E_jjP12ihipStream_tbEUljE_ZNSN_ISO_Lb1ESQ_SR_ST_SU_SY_EESZ_S10_S11_S12_S16_S17_S18_S1B_S1C_jS1D_jS1E_S1E_jjS1G_bEUljE0_EEESZ_S10_S11_S18_S1C_S1E_T6_T7_T9_mT8_S1G_bDpT10_ENKUlT_T0_E_clISt17integral_constantIbLb0EES1T_IbLb1EEEEDaS1P_S1Q_EUlS1P_E_NS1_11comp_targetILNS1_3genE5ELNS1_11target_archE942ELNS1_3gpuE9ELNS1_3repE0EEENS1_30default_config_static_selectorELNS0_4arch9wavefront6targetE0EEEvS12_,comdat
.Lfunc_end872:
	.size	_ZN7rocprim17ROCPRIM_400000_NS6detail17trampoline_kernelINS0_13select_configILj256ELj13ELNS0_17block_load_methodE3ELS4_3ELS4_3ELNS0_20block_scan_algorithmE0ELj4294967295EEENS1_25partition_config_selectorILNS1_17partition_subalgoE4EjNS0_10empty_typeEbEEZZNS1_14partition_implILS8_4ELb0ES6_15HIP_vector_typeIjLj2EENS0_17counting_iteratorIjlEEPS9_SG_NS0_5tupleIJPjSI_NS0_16reverse_iteratorISI_EEEEENSH_IJSG_SG_SG_EEES9_SI_JZNS1_25segmented_radix_sort_implINS0_14default_configELb1EPKsPsPKlPlN2at6native12_GLOBAL__N_18offset_tEEE10hipError_tPvRmT1_PNSt15iterator_traitsIS12_E10value_typeET2_T3_PNS13_IS18_E10value_typeET4_jRbjT5_S1E_jjP12ihipStream_tbEUljE_ZNSN_ISO_Lb1ESQ_SR_ST_SU_SY_EESZ_S10_S11_S12_S16_S17_S18_S1B_S1C_jS1D_jS1E_S1E_jjS1G_bEUljE0_EEESZ_S10_S11_S18_S1C_S1E_T6_T7_T9_mT8_S1G_bDpT10_ENKUlT_T0_E_clISt17integral_constantIbLb0EES1T_IbLb1EEEEDaS1P_S1Q_EUlS1P_E_NS1_11comp_targetILNS1_3genE5ELNS1_11target_archE942ELNS1_3gpuE9ELNS1_3repE0EEENS1_30default_config_static_selectorELNS0_4arch9wavefront6targetE0EEEvS12_, .Lfunc_end872-_ZN7rocprim17ROCPRIM_400000_NS6detail17trampoline_kernelINS0_13select_configILj256ELj13ELNS0_17block_load_methodE3ELS4_3ELS4_3ELNS0_20block_scan_algorithmE0ELj4294967295EEENS1_25partition_config_selectorILNS1_17partition_subalgoE4EjNS0_10empty_typeEbEEZZNS1_14partition_implILS8_4ELb0ES6_15HIP_vector_typeIjLj2EENS0_17counting_iteratorIjlEEPS9_SG_NS0_5tupleIJPjSI_NS0_16reverse_iteratorISI_EEEEENSH_IJSG_SG_SG_EEES9_SI_JZNS1_25segmented_radix_sort_implINS0_14default_configELb1EPKsPsPKlPlN2at6native12_GLOBAL__N_18offset_tEEE10hipError_tPvRmT1_PNSt15iterator_traitsIS12_E10value_typeET2_T3_PNS13_IS18_E10value_typeET4_jRbjT5_S1E_jjP12ihipStream_tbEUljE_ZNSN_ISO_Lb1ESQ_SR_ST_SU_SY_EESZ_S10_S11_S12_S16_S17_S18_S1B_S1C_jS1D_jS1E_S1E_jjS1G_bEUljE0_EEESZ_S10_S11_S18_S1C_S1E_T6_T7_T9_mT8_S1G_bDpT10_ENKUlT_T0_E_clISt17integral_constantIbLb0EES1T_IbLb1EEEEDaS1P_S1Q_EUlS1P_E_NS1_11comp_targetILNS1_3genE5ELNS1_11target_archE942ELNS1_3gpuE9ELNS1_3repE0EEENS1_30default_config_static_selectorELNS0_4arch9wavefront6targetE0EEEvS12_
                                        ; -- End function
	.set _ZN7rocprim17ROCPRIM_400000_NS6detail17trampoline_kernelINS0_13select_configILj256ELj13ELNS0_17block_load_methodE3ELS4_3ELS4_3ELNS0_20block_scan_algorithmE0ELj4294967295EEENS1_25partition_config_selectorILNS1_17partition_subalgoE4EjNS0_10empty_typeEbEEZZNS1_14partition_implILS8_4ELb0ES6_15HIP_vector_typeIjLj2EENS0_17counting_iteratorIjlEEPS9_SG_NS0_5tupleIJPjSI_NS0_16reverse_iteratorISI_EEEEENSH_IJSG_SG_SG_EEES9_SI_JZNS1_25segmented_radix_sort_implINS0_14default_configELb1EPKsPsPKlPlN2at6native12_GLOBAL__N_18offset_tEEE10hipError_tPvRmT1_PNSt15iterator_traitsIS12_E10value_typeET2_T3_PNS13_IS18_E10value_typeET4_jRbjT5_S1E_jjP12ihipStream_tbEUljE_ZNSN_ISO_Lb1ESQ_SR_ST_SU_SY_EESZ_S10_S11_S12_S16_S17_S18_S1B_S1C_jS1D_jS1E_S1E_jjS1G_bEUljE0_EEESZ_S10_S11_S18_S1C_S1E_T6_T7_T9_mT8_S1G_bDpT10_ENKUlT_T0_E_clISt17integral_constantIbLb0EES1T_IbLb1EEEEDaS1P_S1Q_EUlS1P_E_NS1_11comp_targetILNS1_3genE5ELNS1_11target_archE942ELNS1_3gpuE9ELNS1_3repE0EEENS1_30default_config_static_selectorELNS0_4arch9wavefront6targetE0EEEvS12_.num_vgpr, 0
	.set _ZN7rocprim17ROCPRIM_400000_NS6detail17trampoline_kernelINS0_13select_configILj256ELj13ELNS0_17block_load_methodE3ELS4_3ELS4_3ELNS0_20block_scan_algorithmE0ELj4294967295EEENS1_25partition_config_selectorILNS1_17partition_subalgoE4EjNS0_10empty_typeEbEEZZNS1_14partition_implILS8_4ELb0ES6_15HIP_vector_typeIjLj2EENS0_17counting_iteratorIjlEEPS9_SG_NS0_5tupleIJPjSI_NS0_16reverse_iteratorISI_EEEEENSH_IJSG_SG_SG_EEES9_SI_JZNS1_25segmented_radix_sort_implINS0_14default_configELb1EPKsPsPKlPlN2at6native12_GLOBAL__N_18offset_tEEE10hipError_tPvRmT1_PNSt15iterator_traitsIS12_E10value_typeET2_T3_PNS13_IS18_E10value_typeET4_jRbjT5_S1E_jjP12ihipStream_tbEUljE_ZNSN_ISO_Lb1ESQ_SR_ST_SU_SY_EESZ_S10_S11_S12_S16_S17_S18_S1B_S1C_jS1D_jS1E_S1E_jjS1G_bEUljE0_EEESZ_S10_S11_S18_S1C_S1E_T6_T7_T9_mT8_S1G_bDpT10_ENKUlT_T0_E_clISt17integral_constantIbLb0EES1T_IbLb1EEEEDaS1P_S1Q_EUlS1P_E_NS1_11comp_targetILNS1_3genE5ELNS1_11target_archE942ELNS1_3gpuE9ELNS1_3repE0EEENS1_30default_config_static_selectorELNS0_4arch9wavefront6targetE0EEEvS12_.num_agpr, 0
	.set _ZN7rocprim17ROCPRIM_400000_NS6detail17trampoline_kernelINS0_13select_configILj256ELj13ELNS0_17block_load_methodE3ELS4_3ELS4_3ELNS0_20block_scan_algorithmE0ELj4294967295EEENS1_25partition_config_selectorILNS1_17partition_subalgoE4EjNS0_10empty_typeEbEEZZNS1_14partition_implILS8_4ELb0ES6_15HIP_vector_typeIjLj2EENS0_17counting_iteratorIjlEEPS9_SG_NS0_5tupleIJPjSI_NS0_16reverse_iteratorISI_EEEEENSH_IJSG_SG_SG_EEES9_SI_JZNS1_25segmented_radix_sort_implINS0_14default_configELb1EPKsPsPKlPlN2at6native12_GLOBAL__N_18offset_tEEE10hipError_tPvRmT1_PNSt15iterator_traitsIS12_E10value_typeET2_T3_PNS13_IS18_E10value_typeET4_jRbjT5_S1E_jjP12ihipStream_tbEUljE_ZNSN_ISO_Lb1ESQ_SR_ST_SU_SY_EESZ_S10_S11_S12_S16_S17_S18_S1B_S1C_jS1D_jS1E_S1E_jjS1G_bEUljE0_EEESZ_S10_S11_S18_S1C_S1E_T6_T7_T9_mT8_S1G_bDpT10_ENKUlT_T0_E_clISt17integral_constantIbLb0EES1T_IbLb1EEEEDaS1P_S1Q_EUlS1P_E_NS1_11comp_targetILNS1_3genE5ELNS1_11target_archE942ELNS1_3gpuE9ELNS1_3repE0EEENS1_30default_config_static_selectorELNS0_4arch9wavefront6targetE0EEEvS12_.numbered_sgpr, 0
	.set _ZN7rocprim17ROCPRIM_400000_NS6detail17trampoline_kernelINS0_13select_configILj256ELj13ELNS0_17block_load_methodE3ELS4_3ELS4_3ELNS0_20block_scan_algorithmE0ELj4294967295EEENS1_25partition_config_selectorILNS1_17partition_subalgoE4EjNS0_10empty_typeEbEEZZNS1_14partition_implILS8_4ELb0ES6_15HIP_vector_typeIjLj2EENS0_17counting_iteratorIjlEEPS9_SG_NS0_5tupleIJPjSI_NS0_16reverse_iteratorISI_EEEEENSH_IJSG_SG_SG_EEES9_SI_JZNS1_25segmented_radix_sort_implINS0_14default_configELb1EPKsPsPKlPlN2at6native12_GLOBAL__N_18offset_tEEE10hipError_tPvRmT1_PNSt15iterator_traitsIS12_E10value_typeET2_T3_PNS13_IS18_E10value_typeET4_jRbjT5_S1E_jjP12ihipStream_tbEUljE_ZNSN_ISO_Lb1ESQ_SR_ST_SU_SY_EESZ_S10_S11_S12_S16_S17_S18_S1B_S1C_jS1D_jS1E_S1E_jjS1G_bEUljE0_EEESZ_S10_S11_S18_S1C_S1E_T6_T7_T9_mT8_S1G_bDpT10_ENKUlT_T0_E_clISt17integral_constantIbLb0EES1T_IbLb1EEEEDaS1P_S1Q_EUlS1P_E_NS1_11comp_targetILNS1_3genE5ELNS1_11target_archE942ELNS1_3gpuE9ELNS1_3repE0EEENS1_30default_config_static_selectorELNS0_4arch9wavefront6targetE0EEEvS12_.num_named_barrier, 0
	.set _ZN7rocprim17ROCPRIM_400000_NS6detail17trampoline_kernelINS0_13select_configILj256ELj13ELNS0_17block_load_methodE3ELS4_3ELS4_3ELNS0_20block_scan_algorithmE0ELj4294967295EEENS1_25partition_config_selectorILNS1_17partition_subalgoE4EjNS0_10empty_typeEbEEZZNS1_14partition_implILS8_4ELb0ES6_15HIP_vector_typeIjLj2EENS0_17counting_iteratorIjlEEPS9_SG_NS0_5tupleIJPjSI_NS0_16reverse_iteratorISI_EEEEENSH_IJSG_SG_SG_EEES9_SI_JZNS1_25segmented_radix_sort_implINS0_14default_configELb1EPKsPsPKlPlN2at6native12_GLOBAL__N_18offset_tEEE10hipError_tPvRmT1_PNSt15iterator_traitsIS12_E10value_typeET2_T3_PNS13_IS18_E10value_typeET4_jRbjT5_S1E_jjP12ihipStream_tbEUljE_ZNSN_ISO_Lb1ESQ_SR_ST_SU_SY_EESZ_S10_S11_S12_S16_S17_S18_S1B_S1C_jS1D_jS1E_S1E_jjS1G_bEUljE0_EEESZ_S10_S11_S18_S1C_S1E_T6_T7_T9_mT8_S1G_bDpT10_ENKUlT_T0_E_clISt17integral_constantIbLb0EES1T_IbLb1EEEEDaS1P_S1Q_EUlS1P_E_NS1_11comp_targetILNS1_3genE5ELNS1_11target_archE942ELNS1_3gpuE9ELNS1_3repE0EEENS1_30default_config_static_selectorELNS0_4arch9wavefront6targetE0EEEvS12_.private_seg_size, 0
	.set _ZN7rocprim17ROCPRIM_400000_NS6detail17trampoline_kernelINS0_13select_configILj256ELj13ELNS0_17block_load_methodE3ELS4_3ELS4_3ELNS0_20block_scan_algorithmE0ELj4294967295EEENS1_25partition_config_selectorILNS1_17partition_subalgoE4EjNS0_10empty_typeEbEEZZNS1_14partition_implILS8_4ELb0ES6_15HIP_vector_typeIjLj2EENS0_17counting_iteratorIjlEEPS9_SG_NS0_5tupleIJPjSI_NS0_16reverse_iteratorISI_EEEEENSH_IJSG_SG_SG_EEES9_SI_JZNS1_25segmented_radix_sort_implINS0_14default_configELb1EPKsPsPKlPlN2at6native12_GLOBAL__N_18offset_tEEE10hipError_tPvRmT1_PNSt15iterator_traitsIS12_E10value_typeET2_T3_PNS13_IS18_E10value_typeET4_jRbjT5_S1E_jjP12ihipStream_tbEUljE_ZNSN_ISO_Lb1ESQ_SR_ST_SU_SY_EESZ_S10_S11_S12_S16_S17_S18_S1B_S1C_jS1D_jS1E_S1E_jjS1G_bEUljE0_EEESZ_S10_S11_S18_S1C_S1E_T6_T7_T9_mT8_S1G_bDpT10_ENKUlT_T0_E_clISt17integral_constantIbLb0EES1T_IbLb1EEEEDaS1P_S1Q_EUlS1P_E_NS1_11comp_targetILNS1_3genE5ELNS1_11target_archE942ELNS1_3gpuE9ELNS1_3repE0EEENS1_30default_config_static_selectorELNS0_4arch9wavefront6targetE0EEEvS12_.uses_vcc, 0
	.set _ZN7rocprim17ROCPRIM_400000_NS6detail17trampoline_kernelINS0_13select_configILj256ELj13ELNS0_17block_load_methodE3ELS4_3ELS4_3ELNS0_20block_scan_algorithmE0ELj4294967295EEENS1_25partition_config_selectorILNS1_17partition_subalgoE4EjNS0_10empty_typeEbEEZZNS1_14partition_implILS8_4ELb0ES6_15HIP_vector_typeIjLj2EENS0_17counting_iteratorIjlEEPS9_SG_NS0_5tupleIJPjSI_NS0_16reverse_iteratorISI_EEEEENSH_IJSG_SG_SG_EEES9_SI_JZNS1_25segmented_radix_sort_implINS0_14default_configELb1EPKsPsPKlPlN2at6native12_GLOBAL__N_18offset_tEEE10hipError_tPvRmT1_PNSt15iterator_traitsIS12_E10value_typeET2_T3_PNS13_IS18_E10value_typeET4_jRbjT5_S1E_jjP12ihipStream_tbEUljE_ZNSN_ISO_Lb1ESQ_SR_ST_SU_SY_EESZ_S10_S11_S12_S16_S17_S18_S1B_S1C_jS1D_jS1E_S1E_jjS1G_bEUljE0_EEESZ_S10_S11_S18_S1C_S1E_T6_T7_T9_mT8_S1G_bDpT10_ENKUlT_T0_E_clISt17integral_constantIbLb0EES1T_IbLb1EEEEDaS1P_S1Q_EUlS1P_E_NS1_11comp_targetILNS1_3genE5ELNS1_11target_archE942ELNS1_3gpuE9ELNS1_3repE0EEENS1_30default_config_static_selectorELNS0_4arch9wavefront6targetE0EEEvS12_.uses_flat_scratch, 0
	.set _ZN7rocprim17ROCPRIM_400000_NS6detail17trampoline_kernelINS0_13select_configILj256ELj13ELNS0_17block_load_methodE3ELS4_3ELS4_3ELNS0_20block_scan_algorithmE0ELj4294967295EEENS1_25partition_config_selectorILNS1_17partition_subalgoE4EjNS0_10empty_typeEbEEZZNS1_14partition_implILS8_4ELb0ES6_15HIP_vector_typeIjLj2EENS0_17counting_iteratorIjlEEPS9_SG_NS0_5tupleIJPjSI_NS0_16reverse_iteratorISI_EEEEENSH_IJSG_SG_SG_EEES9_SI_JZNS1_25segmented_radix_sort_implINS0_14default_configELb1EPKsPsPKlPlN2at6native12_GLOBAL__N_18offset_tEEE10hipError_tPvRmT1_PNSt15iterator_traitsIS12_E10value_typeET2_T3_PNS13_IS18_E10value_typeET4_jRbjT5_S1E_jjP12ihipStream_tbEUljE_ZNSN_ISO_Lb1ESQ_SR_ST_SU_SY_EESZ_S10_S11_S12_S16_S17_S18_S1B_S1C_jS1D_jS1E_S1E_jjS1G_bEUljE0_EEESZ_S10_S11_S18_S1C_S1E_T6_T7_T9_mT8_S1G_bDpT10_ENKUlT_T0_E_clISt17integral_constantIbLb0EES1T_IbLb1EEEEDaS1P_S1Q_EUlS1P_E_NS1_11comp_targetILNS1_3genE5ELNS1_11target_archE942ELNS1_3gpuE9ELNS1_3repE0EEENS1_30default_config_static_selectorELNS0_4arch9wavefront6targetE0EEEvS12_.has_dyn_sized_stack, 0
	.set _ZN7rocprim17ROCPRIM_400000_NS6detail17trampoline_kernelINS0_13select_configILj256ELj13ELNS0_17block_load_methodE3ELS4_3ELS4_3ELNS0_20block_scan_algorithmE0ELj4294967295EEENS1_25partition_config_selectorILNS1_17partition_subalgoE4EjNS0_10empty_typeEbEEZZNS1_14partition_implILS8_4ELb0ES6_15HIP_vector_typeIjLj2EENS0_17counting_iteratorIjlEEPS9_SG_NS0_5tupleIJPjSI_NS0_16reverse_iteratorISI_EEEEENSH_IJSG_SG_SG_EEES9_SI_JZNS1_25segmented_radix_sort_implINS0_14default_configELb1EPKsPsPKlPlN2at6native12_GLOBAL__N_18offset_tEEE10hipError_tPvRmT1_PNSt15iterator_traitsIS12_E10value_typeET2_T3_PNS13_IS18_E10value_typeET4_jRbjT5_S1E_jjP12ihipStream_tbEUljE_ZNSN_ISO_Lb1ESQ_SR_ST_SU_SY_EESZ_S10_S11_S12_S16_S17_S18_S1B_S1C_jS1D_jS1E_S1E_jjS1G_bEUljE0_EEESZ_S10_S11_S18_S1C_S1E_T6_T7_T9_mT8_S1G_bDpT10_ENKUlT_T0_E_clISt17integral_constantIbLb0EES1T_IbLb1EEEEDaS1P_S1Q_EUlS1P_E_NS1_11comp_targetILNS1_3genE5ELNS1_11target_archE942ELNS1_3gpuE9ELNS1_3repE0EEENS1_30default_config_static_selectorELNS0_4arch9wavefront6targetE0EEEvS12_.has_recursion, 0
	.set _ZN7rocprim17ROCPRIM_400000_NS6detail17trampoline_kernelINS0_13select_configILj256ELj13ELNS0_17block_load_methodE3ELS4_3ELS4_3ELNS0_20block_scan_algorithmE0ELj4294967295EEENS1_25partition_config_selectorILNS1_17partition_subalgoE4EjNS0_10empty_typeEbEEZZNS1_14partition_implILS8_4ELb0ES6_15HIP_vector_typeIjLj2EENS0_17counting_iteratorIjlEEPS9_SG_NS0_5tupleIJPjSI_NS0_16reverse_iteratorISI_EEEEENSH_IJSG_SG_SG_EEES9_SI_JZNS1_25segmented_radix_sort_implINS0_14default_configELb1EPKsPsPKlPlN2at6native12_GLOBAL__N_18offset_tEEE10hipError_tPvRmT1_PNSt15iterator_traitsIS12_E10value_typeET2_T3_PNS13_IS18_E10value_typeET4_jRbjT5_S1E_jjP12ihipStream_tbEUljE_ZNSN_ISO_Lb1ESQ_SR_ST_SU_SY_EESZ_S10_S11_S12_S16_S17_S18_S1B_S1C_jS1D_jS1E_S1E_jjS1G_bEUljE0_EEESZ_S10_S11_S18_S1C_S1E_T6_T7_T9_mT8_S1G_bDpT10_ENKUlT_T0_E_clISt17integral_constantIbLb0EES1T_IbLb1EEEEDaS1P_S1Q_EUlS1P_E_NS1_11comp_targetILNS1_3genE5ELNS1_11target_archE942ELNS1_3gpuE9ELNS1_3repE0EEENS1_30default_config_static_selectorELNS0_4arch9wavefront6targetE0EEEvS12_.has_indirect_call, 0
	.section	.AMDGPU.csdata,"",@progbits
; Kernel info:
; codeLenInByte = 0
; TotalNumSgprs: 0
; NumVgprs: 0
; ScratchSize: 0
; MemoryBound: 0
; FloatMode: 240
; IeeeMode: 1
; LDSByteSize: 0 bytes/workgroup (compile time only)
; SGPRBlocks: 0
; VGPRBlocks: 0
; NumSGPRsForWavesPerEU: 1
; NumVGPRsForWavesPerEU: 1
; Occupancy: 16
; WaveLimiterHint : 0
; COMPUTE_PGM_RSRC2:SCRATCH_EN: 0
; COMPUTE_PGM_RSRC2:USER_SGPR: 2
; COMPUTE_PGM_RSRC2:TRAP_HANDLER: 0
; COMPUTE_PGM_RSRC2:TGID_X_EN: 1
; COMPUTE_PGM_RSRC2:TGID_Y_EN: 0
; COMPUTE_PGM_RSRC2:TGID_Z_EN: 0
; COMPUTE_PGM_RSRC2:TIDIG_COMP_CNT: 0
	.section	.text._ZN7rocprim17ROCPRIM_400000_NS6detail17trampoline_kernelINS0_13select_configILj256ELj13ELNS0_17block_load_methodE3ELS4_3ELS4_3ELNS0_20block_scan_algorithmE0ELj4294967295EEENS1_25partition_config_selectorILNS1_17partition_subalgoE4EjNS0_10empty_typeEbEEZZNS1_14partition_implILS8_4ELb0ES6_15HIP_vector_typeIjLj2EENS0_17counting_iteratorIjlEEPS9_SG_NS0_5tupleIJPjSI_NS0_16reverse_iteratorISI_EEEEENSH_IJSG_SG_SG_EEES9_SI_JZNS1_25segmented_radix_sort_implINS0_14default_configELb1EPKsPsPKlPlN2at6native12_GLOBAL__N_18offset_tEEE10hipError_tPvRmT1_PNSt15iterator_traitsIS12_E10value_typeET2_T3_PNS13_IS18_E10value_typeET4_jRbjT5_S1E_jjP12ihipStream_tbEUljE_ZNSN_ISO_Lb1ESQ_SR_ST_SU_SY_EESZ_S10_S11_S12_S16_S17_S18_S1B_S1C_jS1D_jS1E_S1E_jjS1G_bEUljE0_EEESZ_S10_S11_S18_S1C_S1E_T6_T7_T9_mT8_S1G_bDpT10_ENKUlT_T0_E_clISt17integral_constantIbLb0EES1T_IbLb1EEEEDaS1P_S1Q_EUlS1P_E_NS1_11comp_targetILNS1_3genE4ELNS1_11target_archE910ELNS1_3gpuE8ELNS1_3repE0EEENS1_30default_config_static_selectorELNS0_4arch9wavefront6targetE0EEEvS12_,"axG",@progbits,_ZN7rocprim17ROCPRIM_400000_NS6detail17trampoline_kernelINS0_13select_configILj256ELj13ELNS0_17block_load_methodE3ELS4_3ELS4_3ELNS0_20block_scan_algorithmE0ELj4294967295EEENS1_25partition_config_selectorILNS1_17partition_subalgoE4EjNS0_10empty_typeEbEEZZNS1_14partition_implILS8_4ELb0ES6_15HIP_vector_typeIjLj2EENS0_17counting_iteratorIjlEEPS9_SG_NS0_5tupleIJPjSI_NS0_16reverse_iteratorISI_EEEEENSH_IJSG_SG_SG_EEES9_SI_JZNS1_25segmented_radix_sort_implINS0_14default_configELb1EPKsPsPKlPlN2at6native12_GLOBAL__N_18offset_tEEE10hipError_tPvRmT1_PNSt15iterator_traitsIS12_E10value_typeET2_T3_PNS13_IS18_E10value_typeET4_jRbjT5_S1E_jjP12ihipStream_tbEUljE_ZNSN_ISO_Lb1ESQ_SR_ST_SU_SY_EESZ_S10_S11_S12_S16_S17_S18_S1B_S1C_jS1D_jS1E_S1E_jjS1G_bEUljE0_EEESZ_S10_S11_S18_S1C_S1E_T6_T7_T9_mT8_S1G_bDpT10_ENKUlT_T0_E_clISt17integral_constantIbLb0EES1T_IbLb1EEEEDaS1P_S1Q_EUlS1P_E_NS1_11comp_targetILNS1_3genE4ELNS1_11target_archE910ELNS1_3gpuE8ELNS1_3repE0EEENS1_30default_config_static_selectorELNS0_4arch9wavefront6targetE0EEEvS12_,comdat
	.globl	_ZN7rocprim17ROCPRIM_400000_NS6detail17trampoline_kernelINS0_13select_configILj256ELj13ELNS0_17block_load_methodE3ELS4_3ELS4_3ELNS0_20block_scan_algorithmE0ELj4294967295EEENS1_25partition_config_selectorILNS1_17partition_subalgoE4EjNS0_10empty_typeEbEEZZNS1_14partition_implILS8_4ELb0ES6_15HIP_vector_typeIjLj2EENS0_17counting_iteratorIjlEEPS9_SG_NS0_5tupleIJPjSI_NS0_16reverse_iteratorISI_EEEEENSH_IJSG_SG_SG_EEES9_SI_JZNS1_25segmented_radix_sort_implINS0_14default_configELb1EPKsPsPKlPlN2at6native12_GLOBAL__N_18offset_tEEE10hipError_tPvRmT1_PNSt15iterator_traitsIS12_E10value_typeET2_T3_PNS13_IS18_E10value_typeET4_jRbjT5_S1E_jjP12ihipStream_tbEUljE_ZNSN_ISO_Lb1ESQ_SR_ST_SU_SY_EESZ_S10_S11_S12_S16_S17_S18_S1B_S1C_jS1D_jS1E_S1E_jjS1G_bEUljE0_EEESZ_S10_S11_S18_S1C_S1E_T6_T7_T9_mT8_S1G_bDpT10_ENKUlT_T0_E_clISt17integral_constantIbLb0EES1T_IbLb1EEEEDaS1P_S1Q_EUlS1P_E_NS1_11comp_targetILNS1_3genE4ELNS1_11target_archE910ELNS1_3gpuE8ELNS1_3repE0EEENS1_30default_config_static_selectorELNS0_4arch9wavefront6targetE0EEEvS12_ ; -- Begin function _ZN7rocprim17ROCPRIM_400000_NS6detail17trampoline_kernelINS0_13select_configILj256ELj13ELNS0_17block_load_methodE3ELS4_3ELS4_3ELNS0_20block_scan_algorithmE0ELj4294967295EEENS1_25partition_config_selectorILNS1_17partition_subalgoE4EjNS0_10empty_typeEbEEZZNS1_14partition_implILS8_4ELb0ES6_15HIP_vector_typeIjLj2EENS0_17counting_iteratorIjlEEPS9_SG_NS0_5tupleIJPjSI_NS0_16reverse_iteratorISI_EEEEENSH_IJSG_SG_SG_EEES9_SI_JZNS1_25segmented_radix_sort_implINS0_14default_configELb1EPKsPsPKlPlN2at6native12_GLOBAL__N_18offset_tEEE10hipError_tPvRmT1_PNSt15iterator_traitsIS12_E10value_typeET2_T3_PNS13_IS18_E10value_typeET4_jRbjT5_S1E_jjP12ihipStream_tbEUljE_ZNSN_ISO_Lb1ESQ_SR_ST_SU_SY_EESZ_S10_S11_S12_S16_S17_S18_S1B_S1C_jS1D_jS1E_S1E_jjS1G_bEUljE0_EEESZ_S10_S11_S18_S1C_S1E_T6_T7_T9_mT8_S1G_bDpT10_ENKUlT_T0_E_clISt17integral_constantIbLb0EES1T_IbLb1EEEEDaS1P_S1Q_EUlS1P_E_NS1_11comp_targetILNS1_3genE4ELNS1_11target_archE910ELNS1_3gpuE8ELNS1_3repE0EEENS1_30default_config_static_selectorELNS0_4arch9wavefront6targetE0EEEvS12_
	.p2align	8
	.type	_ZN7rocprim17ROCPRIM_400000_NS6detail17trampoline_kernelINS0_13select_configILj256ELj13ELNS0_17block_load_methodE3ELS4_3ELS4_3ELNS0_20block_scan_algorithmE0ELj4294967295EEENS1_25partition_config_selectorILNS1_17partition_subalgoE4EjNS0_10empty_typeEbEEZZNS1_14partition_implILS8_4ELb0ES6_15HIP_vector_typeIjLj2EENS0_17counting_iteratorIjlEEPS9_SG_NS0_5tupleIJPjSI_NS0_16reverse_iteratorISI_EEEEENSH_IJSG_SG_SG_EEES9_SI_JZNS1_25segmented_radix_sort_implINS0_14default_configELb1EPKsPsPKlPlN2at6native12_GLOBAL__N_18offset_tEEE10hipError_tPvRmT1_PNSt15iterator_traitsIS12_E10value_typeET2_T3_PNS13_IS18_E10value_typeET4_jRbjT5_S1E_jjP12ihipStream_tbEUljE_ZNSN_ISO_Lb1ESQ_SR_ST_SU_SY_EESZ_S10_S11_S12_S16_S17_S18_S1B_S1C_jS1D_jS1E_S1E_jjS1G_bEUljE0_EEESZ_S10_S11_S18_S1C_S1E_T6_T7_T9_mT8_S1G_bDpT10_ENKUlT_T0_E_clISt17integral_constantIbLb0EES1T_IbLb1EEEEDaS1P_S1Q_EUlS1P_E_NS1_11comp_targetILNS1_3genE4ELNS1_11target_archE910ELNS1_3gpuE8ELNS1_3repE0EEENS1_30default_config_static_selectorELNS0_4arch9wavefront6targetE0EEEvS12_,@function
_ZN7rocprim17ROCPRIM_400000_NS6detail17trampoline_kernelINS0_13select_configILj256ELj13ELNS0_17block_load_methodE3ELS4_3ELS4_3ELNS0_20block_scan_algorithmE0ELj4294967295EEENS1_25partition_config_selectorILNS1_17partition_subalgoE4EjNS0_10empty_typeEbEEZZNS1_14partition_implILS8_4ELb0ES6_15HIP_vector_typeIjLj2EENS0_17counting_iteratorIjlEEPS9_SG_NS0_5tupleIJPjSI_NS0_16reverse_iteratorISI_EEEEENSH_IJSG_SG_SG_EEES9_SI_JZNS1_25segmented_radix_sort_implINS0_14default_configELb1EPKsPsPKlPlN2at6native12_GLOBAL__N_18offset_tEEE10hipError_tPvRmT1_PNSt15iterator_traitsIS12_E10value_typeET2_T3_PNS13_IS18_E10value_typeET4_jRbjT5_S1E_jjP12ihipStream_tbEUljE_ZNSN_ISO_Lb1ESQ_SR_ST_SU_SY_EESZ_S10_S11_S12_S16_S17_S18_S1B_S1C_jS1D_jS1E_S1E_jjS1G_bEUljE0_EEESZ_S10_S11_S18_S1C_S1E_T6_T7_T9_mT8_S1G_bDpT10_ENKUlT_T0_E_clISt17integral_constantIbLb0EES1T_IbLb1EEEEDaS1P_S1Q_EUlS1P_E_NS1_11comp_targetILNS1_3genE4ELNS1_11target_archE910ELNS1_3gpuE8ELNS1_3repE0EEENS1_30default_config_static_selectorELNS0_4arch9wavefront6targetE0EEEvS12_: ; @_ZN7rocprim17ROCPRIM_400000_NS6detail17trampoline_kernelINS0_13select_configILj256ELj13ELNS0_17block_load_methodE3ELS4_3ELS4_3ELNS0_20block_scan_algorithmE0ELj4294967295EEENS1_25partition_config_selectorILNS1_17partition_subalgoE4EjNS0_10empty_typeEbEEZZNS1_14partition_implILS8_4ELb0ES6_15HIP_vector_typeIjLj2EENS0_17counting_iteratorIjlEEPS9_SG_NS0_5tupleIJPjSI_NS0_16reverse_iteratorISI_EEEEENSH_IJSG_SG_SG_EEES9_SI_JZNS1_25segmented_radix_sort_implINS0_14default_configELb1EPKsPsPKlPlN2at6native12_GLOBAL__N_18offset_tEEE10hipError_tPvRmT1_PNSt15iterator_traitsIS12_E10value_typeET2_T3_PNS13_IS18_E10value_typeET4_jRbjT5_S1E_jjP12ihipStream_tbEUljE_ZNSN_ISO_Lb1ESQ_SR_ST_SU_SY_EESZ_S10_S11_S12_S16_S17_S18_S1B_S1C_jS1D_jS1E_S1E_jjS1G_bEUljE0_EEESZ_S10_S11_S18_S1C_S1E_T6_T7_T9_mT8_S1G_bDpT10_ENKUlT_T0_E_clISt17integral_constantIbLb0EES1T_IbLb1EEEEDaS1P_S1Q_EUlS1P_E_NS1_11comp_targetILNS1_3genE4ELNS1_11target_archE910ELNS1_3gpuE8ELNS1_3repE0EEENS1_30default_config_static_selectorELNS0_4arch9wavefront6targetE0EEEvS12_
; %bb.0:
	.section	.rodata,"a",@progbits
	.p2align	6, 0x0
	.amdhsa_kernel _ZN7rocprim17ROCPRIM_400000_NS6detail17trampoline_kernelINS0_13select_configILj256ELj13ELNS0_17block_load_methodE3ELS4_3ELS4_3ELNS0_20block_scan_algorithmE0ELj4294967295EEENS1_25partition_config_selectorILNS1_17partition_subalgoE4EjNS0_10empty_typeEbEEZZNS1_14partition_implILS8_4ELb0ES6_15HIP_vector_typeIjLj2EENS0_17counting_iteratorIjlEEPS9_SG_NS0_5tupleIJPjSI_NS0_16reverse_iteratorISI_EEEEENSH_IJSG_SG_SG_EEES9_SI_JZNS1_25segmented_radix_sort_implINS0_14default_configELb1EPKsPsPKlPlN2at6native12_GLOBAL__N_18offset_tEEE10hipError_tPvRmT1_PNSt15iterator_traitsIS12_E10value_typeET2_T3_PNS13_IS18_E10value_typeET4_jRbjT5_S1E_jjP12ihipStream_tbEUljE_ZNSN_ISO_Lb1ESQ_SR_ST_SU_SY_EESZ_S10_S11_S12_S16_S17_S18_S1B_S1C_jS1D_jS1E_S1E_jjS1G_bEUljE0_EEESZ_S10_S11_S18_S1C_S1E_T6_T7_T9_mT8_S1G_bDpT10_ENKUlT_T0_E_clISt17integral_constantIbLb0EES1T_IbLb1EEEEDaS1P_S1Q_EUlS1P_E_NS1_11comp_targetILNS1_3genE4ELNS1_11target_archE910ELNS1_3gpuE8ELNS1_3repE0EEENS1_30default_config_static_selectorELNS0_4arch9wavefront6targetE0EEEvS12_
		.amdhsa_group_segment_fixed_size 0
		.amdhsa_private_segment_fixed_size 0
		.amdhsa_kernarg_size 184
		.amdhsa_user_sgpr_count 2
		.amdhsa_user_sgpr_dispatch_ptr 0
		.amdhsa_user_sgpr_queue_ptr 0
		.amdhsa_user_sgpr_kernarg_segment_ptr 1
		.amdhsa_user_sgpr_dispatch_id 0
		.amdhsa_user_sgpr_private_segment_size 0
		.amdhsa_wavefront_size32 1
		.amdhsa_uses_dynamic_stack 0
		.amdhsa_enable_private_segment 0
		.amdhsa_system_sgpr_workgroup_id_x 1
		.amdhsa_system_sgpr_workgroup_id_y 0
		.amdhsa_system_sgpr_workgroup_id_z 0
		.amdhsa_system_sgpr_workgroup_info 0
		.amdhsa_system_vgpr_workitem_id 0
		.amdhsa_next_free_vgpr 1
		.amdhsa_next_free_sgpr 1
		.amdhsa_reserve_vcc 0
		.amdhsa_float_round_mode_32 0
		.amdhsa_float_round_mode_16_64 0
		.amdhsa_float_denorm_mode_32 3
		.amdhsa_float_denorm_mode_16_64 3
		.amdhsa_fp16_overflow 0
		.amdhsa_workgroup_processor_mode 1
		.amdhsa_memory_ordered 1
		.amdhsa_forward_progress 1
		.amdhsa_inst_pref_size 0
		.amdhsa_round_robin_scheduling 0
		.amdhsa_exception_fp_ieee_invalid_op 0
		.amdhsa_exception_fp_denorm_src 0
		.amdhsa_exception_fp_ieee_div_zero 0
		.amdhsa_exception_fp_ieee_overflow 0
		.amdhsa_exception_fp_ieee_underflow 0
		.amdhsa_exception_fp_ieee_inexact 0
		.amdhsa_exception_int_div_zero 0
	.end_amdhsa_kernel
	.section	.text._ZN7rocprim17ROCPRIM_400000_NS6detail17trampoline_kernelINS0_13select_configILj256ELj13ELNS0_17block_load_methodE3ELS4_3ELS4_3ELNS0_20block_scan_algorithmE0ELj4294967295EEENS1_25partition_config_selectorILNS1_17partition_subalgoE4EjNS0_10empty_typeEbEEZZNS1_14partition_implILS8_4ELb0ES6_15HIP_vector_typeIjLj2EENS0_17counting_iteratorIjlEEPS9_SG_NS0_5tupleIJPjSI_NS0_16reverse_iteratorISI_EEEEENSH_IJSG_SG_SG_EEES9_SI_JZNS1_25segmented_radix_sort_implINS0_14default_configELb1EPKsPsPKlPlN2at6native12_GLOBAL__N_18offset_tEEE10hipError_tPvRmT1_PNSt15iterator_traitsIS12_E10value_typeET2_T3_PNS13_IS18_E10value_typeET4_jRbjT5_S1E_jjP12ihipStream_tbEUljE_ZNSN_ISO_Lb1ESQ_SR_ST_SU_SY_EESZ_S10_S11_S12_S16_S17_S18_S1B_S1C_jS1D_jS1E_S1E_jjS1G_bEUljE0_EEESZ_S10_S11_S18_S1C_S1E_T6_T7_T9_mT8_S1G_bDpT10_ENKUlT_T0_E_clISt17integral_constantIbLb0EES1T_IbLb1EEEEDaS1P_S1Q_EUlS1P_E_NS1_11comp_targetILNS1_3genE4ELNS1_11target_archE910ELNS1_3gpuE8ELNS1_3repE0EEENS1_30default_config_static_selectorELNS0_4arch9wavefront6targetE0EEEvS12_,"axG",@progbits,_ZN7rocprim17ROCPRIM_400000_NS6detail17trampoline_kernelINS0_13select_configILj256ELj13ELNS0_17block_load_methodE3ELS4_3ELS4_3ELNS0_20block_scan_algorithmE0ELj4294967295EEENS1_25partition_config_selectorILNS1_17partition_subalgoE4EjNS0_10empty_typeEbEEZZNS1_14partition_implILS8_4ELb0ES6_15HIP_vector_typeIjLj2EENS0_17counting_iteratorIjlEEPS9_SG_NS0_5tupleIJPjSI_NS0_16reverse_iteratorISI_EEEEENSH_IJSG_SG_SG_EEES9_SI_JZNS1_25segmented_radix_sort_implINS0_14default_configELb1EPKsPsPKlPlN2at6native12_GLOBAL__N_18offset_tEEE10hipError_tPvRmT1_PNSt15iterator_traitsIS12_E10value_typeET2_T3_PNS13_IS18_E10value_typeET4_jRbjT5_S1E_jjP12ihipStream_tbEUljE_ZNSN_ISO_Lb1ESQ_SR_ST_SU_SY_EESZ_S10_S11_S12_S16_S17_S18_S1B_S1C_jS1D_jS1E_S1E_jjS1G_bEUljE0_EEESZ_S10_S11_S18_S1C_S1E_T6_T7_T9_mT8_S1G_bDpT10_ENKUlT_T0_E_clISt17integral_constantIbLb0EES1T_IbLb1EEEEDaS1P_S1Q_EUlS1P_E_NS1_11comp_targetILNS1_3genE4ELNS1_11target_archE910ELNS1_3gpuE8ELNS1_3repE0EEENS1_30default_config_static_selectorELNS0_4arch9wavefront6targetE0EEEvS12_,comdat
.Lfunc_end873:
	.size	_ZN7rocprim17ROCPRIM_400000_NS6detail17trampoline_kernelINS0_13select_configILj256ELj13ELNS0_17block_load_methodE3ELS4_3ELS4_3ELNS0_20block_scan_algorithmE0ELj4294967295EEENS1_25partition_config_selectorILNS1_17partition_subalgoE4EjNS0_10empty_typeEbEEZZNS1_14partition_implILS8_4ELb0ES6_15HIP_vector_typeIjLj2EENS0_17counting_iteratorIjlEEPS9_SG_NS0_5tupleIJPjSI_NS0_16reverse_iteratorISI_EEEEENSH_IJSG_SG_SG_EEES9_SI_JZNS1_25segmented_radix_sort_implINS0_14default_configELb1EPKsPsPKlPlN2at6native12_GLOBAL__N_18offset_tEEE10hipError_tPvRmT1_PNSt15iterator_traitsIS12_E10value_typeET2_T3_PNS13_IS18_E10value_typeET4_jRbjT5_S1E_jjP12ihipStream_tbEUljE_ZNSN_ISO_Lb1ESQ_SR_ST_SU_SY_EESZ_S10_S11_S12_S16_S17_S18_S1B_S1C_jS1D_jS1E_S1E_jjS1G_bEUljE0_EEESZ_S10_S11_S18_S1C_S1E_T6_T7_T9_mT8_S1G_bDpT10_ENKUlT_T0_E_clISt17integral_constantIbLb0EES1T_IbLb1EEEEDaS1P_S1Q_EUlS1P_E_NS1_11comp_targetILNS1_3genE4ELNS1_11target_archE910ELNS1_3gpuE8ELNS1_3repE0EEENS1_30default_config_static_selectorELNS0_4arch9wavefront6targetE0EEEvS12_, .Lfunc_end873-_ZN7rocprim17ROCPRIM_400000_NS6detail17trampoline_kernelINS0_13select_configILj256ELj13ELNS0_17block_load_methodE3ELS4_3ELS4_3ELNS0_20block_scan_algorithmE0ELj4294967295EEENS1_25partition_config_selectorILNS1_17partition_subalgoE4EjNS0_10empty_typeEbEEZZNS1_14partition_implILS8_4ELb0ES6_15HIP_vector_typeIjLj2EENS0_17counting_iteratorIjlEEPS9_SG_NS0_5tupleIJPjSI_NS0_16reverse_iteratorISI_EEEEENSH_IJSG_SG_SG_EEES9_SI_JZNS1_25segmented_radix_sort_implINS0_14default_configELb1EPKsPsPKlPlN2at6native12_GLOBAL__N_18offset_tEEE10hipError_tPvRmT1_PNSt15iterator_traitsIS12_E10value_typeET2_T3_PNS13_IS18_E10value_typeET4_jRbjT5_S1E_jjP12ihipStream_tbEUljE_ZNSN_ISO_Lb1ESQ_SR_ST_SU_SY_EESZ_S10_S11_S12_S16_S17_S18_S1B_S1C_jS1D_jS1E_S1E_jjS1G_bEUljE0_EEESZ_S10_S11_S18_S1C_S1E_T6_T7_T9_mT8_S1G_bDpT10_ENKUlT_T0_E_clISt17integral_constantIbLb0EES1T_IbLb1EEEEDaS1P_S1Q_EUlS1P_E_NS1_11comp_targetILNS1_3genE4ELNS1_11target_archE910ELNS1_3gpuE8ELNS1_3repE0EEENS1_30default_config_static_selectorELNS0_4arch9wavefront6targetE0EEEvS12_
                                        ; -- End function
	.set _ZN7rocprim17ROCPRIM_400000_NS6detail17trampoline_kernelINS0_13select_configILj256ELj13ELNS0_17block_load_methodE3ELS4_3ELS4_3ELNS0_20block_scan_algorithmE0ELj4294967295EEENS1_25partition_config_selectorILNS1_17partition_subalgoE4EjNS0_10empty_typeEbEEZZNS1_14partition_implILS8_4ELb0ES6_15HIP_vector_typeIjLj2EENS0_17counting_iteratorIjlEEPS9_SG_NS0_5tupleIJPjSI_NS0_16reverse_iteratorISI_EEEEENSH_IJSG_SG_SG_EEES9_SI_JZNS1_25segmented_radix_sort_implINS0_14default_configELb1EPKsPsPKlPlN2at6native12_GLOBAL__N_18offset_tEEE10hipError_tPvRmT1_PNSt15iterator_traitsIS12_E10value_typeET2_T3_PNS13_IS18_E10value_typeET4_jRbjT5_S1E_jjP12ihipStream_tbEUljE_ZNSN_ISO_Lb1ESQ_SR_ST_SU_SY_EESZ_S10_S11_S12_S16_S17_S18_S1B_S1C_jS1D_jS1E_S1E_jjS1G_bEUljE0_EEESZ_S10_S11_S18_S1C_S1E_T6_T7_T9_mT8_S1G_bDpT10_ENKUlT_T0_E_clISt17integral_constantIbLb0EES1T_IbLb1EEEEDaS1P_S1Q_EUlS1P_E_NS1_11comp_targetILNS1_3genE4ELNS1_11target_archE910ELNS1_3gpuE8ELNS1_3repE0EEENS1_30default_config_static_selectorELNS0_4arch9wavefront6targetE0EEEvS12_.num_vgpr, 0
	.set _ZN7rocprim17ROCPRIM_400000_NS6detail17trampoline_kernelINS0_13select_configILj256ELj13ELNS0_17block_load_methodE3ELS4_3ELS4_3ELNS0_20block_scan_algorithmE0ELj4294967295EEENS1_25partition_config_selectorILNS1_17partition_subalgoE4EjNS0_10empty_typeEbEEZZNS1_14partition_implILS8_4ELb0ES6_15HIP_vector_typeIjLj2EENS0_17counting_iteratorIjlEEPS9_SG_NS0_5tupleIJPjSI_NS0_16reverse_iteratorISI_EEEEENSH_IJSG_SG_SG_EEES9_SI_JZNS1_25segmented_radix_sort_implINS0_14default_configELb1EPKsPsPKlPlN2at6native12_GLOBAL__N_18offset_tEEE10hipError_tPvRmT1_PNSt15iterator_traitsIS12_E10value_typeET2_T3_PNS13_IS18_E10value_typeET4_jRbjT5_S1E_jjP12ihipStream_tbEUljE_ZNSN_ISO_Lb1ESQ_SR_ST_SU_SY_EESZ_S10_S11_S12_S16_S17_S18_S1B_S1C_jS1D_jS1E_S1E_jjS1G_bEUljE0_EEESZ_S10_S11_S18_S1C_S1E_T6_T7_T9_mT8_S1G_bDpT10_ENKUlT_T0_E_clISt17integral_constantIbLb0EES1T_IbLb1EEEEDaS1P_S1Q_EUlS1P_E_NS1_11comp_targetILNS1_3genE4ELNS1_11target_archE910ELNS1_3gpuE8ELNS1_3repE0EEENS1_30default_config_static_selectorELNS0_4arch9wavefront6targetE0EEEvS12_.num_agpr, 0
	.set _ZN7rocprim17ROCPRIM_400000_NS6detail17trampoline_kernelINS0_13select_configILj256ELj13ELNS0_17block_load_methodE3ELS4_3ELS4_3ELNS0_20block_scan_algorithmE0ELj4294967295EEENS1_25partition_config_selectorILNS1_17partition_subalgoE4EjNS0_10empty_typeEbEEZZNS1_14partition_implILS8_4ELb0ES6_15HIP_vector_typeIjLj2EENS0_17counting_iteratorIjlEEPS9_SG_NS0_5tupleIJPjSI_NS0_16reverse_iteratorISI_EEEEENSH_IJSG_SG_SG_EEES9_SI_JZNS1_25segmented_radix_sort_implINS0_14default_configELb1EPKsPsPKlPlN2at6native12_GLOBAL__N_18offset_tEEE10hipError_tPvRmT1_PNSt15iterator_traitsIS12_E10value_typeET2_T3_PNS13_IS18_E10value_typeET4_jRbjT5_S1E_jjP12ihipStream_tbEUljE_ZNSN_ISO_Lb1ESQ_SR_ST_SU_SY_EESZ_S10_S11_S12_S16_S17_S18_S1B_S1C_jS1D_jS1E_S1E_jjS1G_bEUljE0_EEESZ_S10_S11_S18_S1C_S1E_T6_T7_T9_mT8_S1G_bDpT10_ENKUlT_T0_E_clISt17integral_constantIbLb0EES1T_IbLb1EEEEDaS1P_S1Q_EUlS1P_E_NS1_11comp_targetILNS1_3genE4ELNS1_11target_archE910ELNS1_3gpuE8ELNS1_3repE0EEENS1_30default_config_static_selectorELNS0_4arch9wavefront6targetE0EEEvS12_.numbered_sgpr, 0
	.set _ZN7rocprim17ROCPRIM_400000_NS6detail17trampoline_kernelINS0_13select_configILj256ELj13ELNS0_17block_load_methodE3ELS4_3ELS4_3ELNS0_20block_scan_algorithmE0ELj4294967295EEENS1_25partition_config_selectorILNS1_17partition_subalgoE4EjNS0_10empty_typeEbEEZZNS1_14partition_implILS8_4ELb0ES6_15HIP_vector_typeIjLj2EENS0_17counting_iteratorIjlEEPS9_SG_NS0_5tupleIJPjSI_NS0_16reverse_iteratorISI_EEEEENSH_IJSG_SG_SG_EEES9_SI_JZNS1_25segmented_radix_sort_implINS0_14default_configELb1EPKsPsPKlPlN2at6native12_GLOBAL__N_18offset_tEEE10hipError_tPvRmT1_PNSt15iterator_traitsIS12_E10value_typeET2_T3_PNS13_IS18_E10value_typeET4_jRbjT5_S1E_jjP12ihipStream_tbEUljE_ZNSN_ISO_Lb1ESQ_SR_ST_SU_SY_EESZ_S10_S11_S12_S16_S17_S18_S1B_S1C_jS1D_jS1E_S1E_jjS1G_bEUljE0_EEESZ_S10_S11_S18_S1C_S1E_T6_T7_T9_mT8_S1G_bDpT10_ENKUlT_T0_E_clISt17integral_constantIbLb0EES1T_IbLb1EEEEDaS1P_S1Q_EUlS1P_E_NS1_11comp_targetILNS1_3genE4ELNS1_11target_archE910ELNS1_3gpuE8ELNS1_3repE0EEENS1_30default_config_static_selectorELNS0_4arch9wavefront6targetE0EEEvS12_.num_named_barrier, 0
	.set _ZN7rocprim17ROCPRIM_400000_NS6detail17trampoline_kernelINS0_13select_configILj256ELj13ELNS0_17block_load_methodE3ELS4_3ELS4_3ELNS0_20block_scan_algorithmE0ELj4294967295EEENS1_25partition_config_selectorILNS1_17partition_subalgoE4EjNS0_10empty_typeEbEEZZNS1_14partition_implILS8_4ELb0ES6_15HIP_vector_typeIjLj2EENS0_17counting_iteratorIjlEEPS9_SG_NS0_5tupleIJPjSI_NS0_16reverse_iteratorISI_EEEEENSH_IJSG_SG_SG_EEES9_SI_JZNS1_25segmented_radix_sort_implINS0_14default_configELb1EPKsPsPKlPlN2at6native12_GLOBAL__N_18offset_tEEE10hipError_tPvRmT1_PNSt15iterator_traitsIS12_E10value_typeET2_T3_PNS13_IS18_E10value_typeET4_jRbjT5_S1E_jjP12ihipStream_tbEUljE_ZNSN_ISO_Lb1ESQ_SR_ST_SU_SY_EESZ_S10_S11_S12_S16_S17_S18_S1B_S1C_jS1D_jS1E_S1E_jjS1G_bEUljE0_EEESZ_S10_S11_S18_S1C_S1E_T6_T7_T9_mT8_S1G_bDpT10_ENKUlT_T0_E_clISt17integral_constantIbLb0EES1T_IbLb1EEEEDaS1P_S1Q_EUlS1P_E_NS1_11comp_targetILNS1_3genE4ELNS1_11target_archE910ELNS1_3gpuE8ELNS1_3repE0EEENS1_30default_config_static_selectorELNS0_4arch9wavefront6targetE0EEEvS12_.private_seg_size, 0
	.set _ZN7rocprim17ROCPRIM_400000_NS6detail17trampoline_kernelINS0_13select_configILj256ELj13ELNS0_17block_load_methodE3ELS4_3ELS4_3ELNS0_20block_scan_algorithmE0ELj4294967295EEENS1_25partition_config_selectorILNS1_17partition_subalgoE4EjNS0_10empty_typeEbEEZZNS1_14partition_implILS8_4ELb0ES6_15HIP_vector_typeIjLj2EENS0_17counting_iteratorIjlEEPS9_SG_NS0_5tupleIJPjSI_NS0_16reverse_iteratorISI_EEEEENSH_IJSG_SG_SG_EEES9_SI_JZNS1_25segmented_radix_sort_implINS0_14default_configELb1EPKsPsPKlPlN2at6native12_GLOBAL__N_18offset_tEEE10hipError_tPvRmT1_PNSt15iterator_traitsIS12_E10value_typeET2_T3_PNS13_IS18_E10value_typeET4_jRbjT5_S1E_jjP12ihipStream_tbEUljE_ZNSN_ISO_Lb1ESQ_SR_ST_SU_SY_EESZ_S10_S11_S12_S16_S17_S18_S1B_S1C_jS1D_jS1E_S1E_jjS1G_bEUljE0_EEESZ_S10_S11_S18_S1C_S1E_T6_T7_T9_mT8_S1G_bDpT10_ENKUlT_T0_E_clISt17integral_constantIbLb0EES1T_IbLb1EEEEDaS1P_S1Q_EUlS1P_E_NS1_11comp_targetILNS1_3genE4ELNS1_11target_archE910ELNS1_3gpuE8ELNS1_3repE0EEENS1_30default_config_static_selectorELNS0_4arch9wavefront6targetE0EEEvS12_.uses_vcc, 0
	.set _ZN7rocprim17ROCPRIM_400000_NS6detail17trampoline_kernelINS0_13select_configILj256ELj13ELNS0_17block_load_methodE3ELS4_3ELS4_3ELNS0_20block_scan_algorithmE0ELj4294967295EEENS1_25partition_config_selectorILNS1_17partition_subalgoE4EjNS0_10empty_typeEbEEZZNS1_14partition_implILS8_4ELb0ES6_15HIP_vector_typeIjLj2EENS0_17counting_iteratorIjlEEPS9_SG_NS0_5tupleIJPjSI_NS0_16reverse_iteratorISI_EEEEENSH_IJSG_SG_SG_EEES9_SI_JZNS1_25segmented_radix_sort_implINS0_14default_configELb1EPKsPsPKlPlN2at6native12_GLOBAL__N_18offset_tEEE10hipError_tPvRmT1_PNSt15iterator_traitsIS12_E10value_typeET2_T3_PNS13_IS18_E10value_typeET4_jRbjT5_S1E_jjP12ihipStream_tbEUljE_ZNSN_ISO_Lb1ESQ_SR_ST_SU_SY_EESZ_S10_S11_S12_S16_S17_S18_S1B_S1C_jS1D_jS1E_S1E_jjS1G_bEUljE0_EEESZ_S10_S11_S18_S1C_S1E_T6_T7_T9_mT8_S1G_bDpT10_ENKUlT_T0_E_clISt17integral_constantIbLb0EES1T_IbLb1EEEEDaS1P_S1Q_EUlS1P_E_NS1_11comp_targetILNS1_3genE4ELNS1_11target_archE910ELNS1_3gpuE8ELNS1_3repE0EEENS1_30default_config_static_selectorELNS0_4arch9wavefront6targetE0EEEvS12_.uses_flat_scratch, 0
	.set _ZN7rocprim17ROCPRIM_400000_NS6detail17trampoline_kernelINS0_13select_configILj256ELj13ELNS0_17block_load_methodE3ELS4_3ELS4_3ELNS0_20block_scan_algorithmE0ELj4294967295EEENS1_25partition_config_selectorILNS1_17partition_subalgoE4EjNS0_10empty_typeEbEEZZNS1_14partition_implILS8_4ELb0ES6_15HIP_vector_typeIjLj2EENS0_17counting_iteratorIjlEEPS9_SG_NS0_5tupleIJPjSI_NS0_16reverse_iteratorISI_EEEEENSH_IJSG_SG_SG_EEES9_SI_JZNS1_25segmented_radix_sort_implINS0_14default_configELb1EPKsPsPKlPlN2at6native12_GLOBAL__N_18offset_tEEE10hipError_tPvRmT1_PNSt15iterator_traitsIS12_E10value_typeET2_T3_PNS13_IS18_E10value_typeET4_jRbjT5_S1E_jjP12ihipStream_tbEUljE_ZNSN_ISO_Lb1ESQ_SR_ST_SU_SY_EESZ_S10_S11_S12_S16_S17_S18_S1B_S1C_jS1D_jS1E_S1E_jjS1G_bEUljE0_EEESZ_S10_S11_S18_S1C_S1E_T6_T7_T9_mT8_S1G_bDpT10_ENKUlT_T0_E_clISt17integral_constantIbLb0EES1T_IbLb1EEEEDaS1P_S1Q_EUlS1P_E_NS1_11comp_targetILNS1_3genE4ELNS1_11target_archE910ELNS1_3gpuE8ELNS1_3repE0EEENS1_30default_config_static_selectorELNS0_4arch9wavefront6targetE0EEEvS12_.has_dyn_sized_stack, 0
	.set _ZN7rocprim17ROCPRIM_400000_NS6detail17trampoline_kernelINS0_13select_configILj256ELj13ELNS0_17block_load_methodE3ELS4_3ELS4_3ELNS0_20block_scan_algorithmE0ELj4294967295EEENS1_25partition_config_selectorILNS1_17partition_subalgoE4EjNS0_10empty_typeEbEEZZNS1_14partition_implILS8_4ELb0ES6_15HIP_vector_typeIjLj2EENS0_17counting_iteratorIjlEEPS9_SG_NS0_5tupleIJPjSI_NS0_16reverse_iteratorISI_EEEEENSH_IJSG_SG_SG_EEES9_SI_JZNS1_25segmented_radix_sort_implINS0_14default_configELb1EPKsPsPKlPlN2at6native12_GLOBAL__N_18offset_tEEE10hipError_tPvRmT1_PNSt15iterator_traitsIS12_E10value_typeET2_T3_PNS13_IS18_E10value_typeET4_jRbjT5_S1E_jjP12ihipStream_tbEUljE_ZNSN_ISO_Lb1ESQ_SR_ST_SU_SY_EESZ_S10_S11_S12_S16_S17_S18_S1B_S1C_jS1D_jS1E_S1E_jjS1G_bEUljE0_EEESZ_S10_S11_S18_S1C_S1E_T6_T7_T9_mT8_S1G_bDpT10_ENKUlT_T0_E_clISt17integral_constantIbLb0EES1T_IbLb1EEEEDaS1P_S1Q_EUlS1P_E_NS1_11comp_targetILNS1_3genE4ELNS1_11target_archE910ELNS1_3gpuE8ELNS1_3repE0EEENS1_30default_config_static_selectorELNS0_4arch9wavefront6targetE0EEEvS12_.has_recursion, 0
	.set _ZN7rocprim17ROCPRIM_400000_NS6detail17trampoline_kernelINS0_13select_configILj256ELj13ELNS0_17block_load_methodE3ELS4_3ELS4_3ELNS0_20block_scan_algorithmE0ELj4294967295EEENS1_25partition_config_selectorILNS1_17partition_subalgoE4EjNS0_10empty_typeEbEEZZNS1_14partition_implILS8_4ELb0ES6_15HIP_vector_typeIjLj2EENS0_17counting_iteratorIjlEEPS9_SG_NS0_5tupleIJPjSI_NS0_16reverse_iteratorISI_EEEEENSH_IJSG_SG_SG_EEES9_SI_JZNS1_25segmented_radix_sort_implINS0_14default_configELb1EPKsPsPKlPlN2at6native12_GLOBAL__N_18offset_tEEE10hipError_tPvRmT1_PNSt15iterator_traitsIS12_E10value_typeET2_T3_PNS13_IS18_E10value_typeET4_jRbjT5_S1E_jjP12ihipStream_tbEUljE_ZNSN_ISO_Lb1ESQ_SR_ST_SU_SY_EESZ_S10_S11_S12_S16_S17_S18_S1B_S1C_jS1D_jS1E_S1E_jjS1G_bEUljE0_EEESZ_S10_S11_S18_S1C_S1E_T6_T7_T9_mT8_S1G_bDpT10_ENKUlT_T0_E_clISt17integral_constantIbLb0EES1T_IbLb1EEEEDaS1P_S1Q_EUlS1P_E_NS1_11comp_targetILNS1_3genE4ELNS1_11target_archE910ELNS1_3gpuE8ELNS1_3repE0EEENS1_30default_config_static_selectorELNS0_4arch9wavefront6targetE0EEEvS12_.has_indirect_call, 0
	.section	.AMDGPU.csdata,"",@progbits
; Kernel info:
; codeLenInByte = 0
; TotalNumSgprs: 0
; NumVgprs: 0
; ScratchSize: 0
; MemoryBound: 0
; FloatMode: 240
; IeeeMode: 1
; LDSByteSize: 0 bytes/workgroup (compile time only)
; SGPRBlocks: 0
; VGPRBlocks: 0
; NumSGPRsForWavesPerEU: 1
; NumVGPRsForWavesPerEU: 1
; Occupancy: 16
; WaveLimiterHint : 0
; COMPUTE_PGM_RSRC2:SCRATCH_EN: 0
; COMPUTE_PGM_RSRC2:USER_SGPR: 2
; COMPUTE_PGM_RSRC2:TRAP_HANDLER: 0
; COMPUTE_PGM_RSRC2:TGID_X_EN: 1
; COMPUTE_PGM_RSRC2:TGID_Y_EN: 0
; COMPUTE_PGM_RSRC2:TGID_Z_EN: 0
; COMPUTE_PGM_RSRC2:TIDIG_COMP_CNT: 0
	.section	.text._ZN7rocprim17ROCPRIM_400000_NS6detail17trampoline_kernelINS0_13select_configILj256ELj13ELNS0_17block_load_methodE3ELS4_3ELS4_3ELNS0_20block_scan_algorithmE0ELj4294967295EEENS1_25partition_config_selectorILNS1_17partition_subalgoE4EjNS0_10empty_typeEbEEZZNS1_14partition_implILS8_4ELb0ES6_15HIP_vector_typeIjLj2EENS0_17counting_iteratorIjlEEPS9_SG_NS0_5tupleIJPjSI_NS0_16reverse_iteratorISI_EEEEENSH_IJSG_SG_SG_EEES9_SI_JZNS1_25segmented_radix_sort_implINS0_14default_configELb1EPKsPsPKlPlN2at6native12_GLOBAL__N_18offset_tEEE10hipError_tPvRmT1_PNSt15iterator_traitsIS12_E10value_typeET2_T3_PNS13_IS18_E10value_typeET4_jRbjT5_S1E_jjP12ihipStream_tbEUljE_ZNSN_ISO_Lb1ESQ_SR_ST_SU_SY_EESZ_S10_S11_S12_S16_S17_S18_S1B_S1C_jS1D_jS1E_S1E_jjS1G_bEUljE0_EEESZ_S10_S11_S18_S1C_S1E_T6_T7_T9_mT8_S1G_bDpT10_ENKUlT_T0_E_clISt17integral_constantIbLb0EES1T_IbLb1EEEEDaS1P_S1Q_EUlS1P_E_NS1_11comp_targetILNS1_3genE3ELNS1_11target_archE908ELNS1_3gpuE7ELNS1_3repE0EEENS1_30default_config_static_selectorELNS0_4arch9wavefront6targetE0EEEvS12_,"axG",@progbits,_ZN7rocprim17ROCPRIM_400000_NS6detail17trampoline_kernelINS0_13select_configILj256ELj13ELNS0_17block_load_methodE3ELS4_3ELS4_3ELNS0_20block_scan_algorithmE0ELj4294967295EEENS1_25partition_config_selectorILNS1_17partition_subalgoE4EjNS0_10empty_typeEbEEZZNS1_14partition_implILS8_4ELb0ES6_15HIP_vector_typeIjLj2EENS0_17counting_iteratorIjlEEPS9_SG_NS0_5tupleIJPjSI_NS0_16reverse_iteratorISI_EEEEENSH_IJSG_SG_SG_EEES9_SI_JZNS1_25segmented_radix_sort_implINS0_14default_configELb1EPKsPsPKlPlN2at6native12_GLOBAL__N_18offset_tEEE10hipError_tPvRmT1_PNSt15iterator_traitsIS12_E10value_typeET2_T3_PNS13_IS18_E10value_typeET4_jRbjT5_S1E_jjP12ihipStream_tbEUljE_ZNSN_ISO_Lb1ESQ_SR_ST_SU_SY_EESZ_S10_S11_S12_S16_S17_S18_S1B_S1C_jS1D_jS1E_S1E_jjS1G_bEUljE0_EEESZ_S10_S11_S18_S1C_S1E_T6_T7_T9_mT8_S1G_bDpT10_ENKUlT_T0_E_clISt17integral_constantIbLb0EES1T_IbLb1EEEEDaS1P_S1Q_EUlS1P_E_NS1_11comp_targetILNS1_3genE3ELNS1_11target_archE908ELNS1_3gpuE7ELNS1_3repE0EEENS1_30default_config_static_selectorELNS0_4arch9wavefront6targetE0EEEvS12_,comdat
	.globl	_ZN7rocprim17ROCPRIM_400000_NS6detail17trampoline_kernelINS0_13select_configILj256ELj13ELNS0_17block_load_methodE3ELS4_3ELS4_3ELNS0_20block_scan_algorithmE0ELj4294967295EEENS1_25partition_config_selectorILNS1_17partition_subalgoE4EjNS0_10empty_typeEbEEZZNS1_14partition_implILS8_4ELb0ES6_15HIP_vector_typeIjLj2EENS0_17counting_iteratorIjlEEPS9_SG_NS0_5tupleIJPjSI_NS0_16reverse_iteratorISI_EEEEENSH_IJSG_SG_SG_EEES9_SI_JZNS1_25segmented_radix_sort_implINS0_14default_configELb1EPKsPsPKlPlN2at6native12_GLOBAL__N_18offset_tEEE10hipError_tPvRmT1_PNSt15iterator_traitsIS12_E10value_typeET2_T3_PNS13_IS18_E10value_typeET4_jRbjT5_S1E_jjP12ihipStream_tbEUljE_ZNSN_ISO_Lb1ESQ_SR_ST_SU_SY_EESZ_S10_S11_S12_S16_S17_S18_S1B_S1C_jS1D_jS1E_S1E_jjS1G_bEUljE0_EEESZ_S10_S11_S18_S1C_S1E_T6_T7_T9_mT8_S1G_bDpT10_ENKUlT_T0_E_clISt17integral_constantIbLb0EES1T_IbLb1EEEEDaS1P_S1Q_EUlS1P_E_NS1_11comp_targetILNS1_3genE3ELNS1_11target_archE908ELNS1_3gpuE7ELNS1_3repE0EEENS1_30default_config_static_selectorELNS0_4arch9wavefront6targetE0EEEvS12_ ; -- Begin function _ZN7rocprim17ROCPRIM_400000_NS6detail17trampoline_kernelINS0_13select_configILj256ELj13ELNS0_17block_load_methodE3ELS4_3ELS4_3ELNS0_20block_scan_algorithmE0ELj4294967295EEENS1_25partition_config_selectorILNS1_17partition_subalgoE4EjNS0_10empty_typeEbEEZZNS1_14partition_implILS8_4ELb0ES6_15HIP_vector_typeIjLj2EENS0_17counting_iteratorIjlEEPS9_SG_NS0_5tupleIJPjSI_NS0_16reverse_iteratorISI_EEEEENSH_IJSG_SG_SG_EEES9_SI_JZNS1_25segmented_radix_sort_implINS0_14default_configELb1EPKsPsPKlPlN2at6native12_GLOBAL__N_18offset_tEEE10hipError_tPvRmT1_PNSt15iterator_traitsIS12_E10value_typeET2_T3_PNS13_IS18_E10value_typeET4_jRbjT5_S1E_jjP12ihipStream_tbEUljE_ZNSN_ISO_Lb1ESQ_SR_ST_SU_SY_EESZ_S10_S11_S12_S16_S17_S18_S1B_S1C_jS1D_jS1E_S1E_jjS1G_bEUljE0_EEESZ_S10_S11_S18_S1C_S1E_T6_T7_T9_mT8_S1G_bDpT10_ENKUlT_T0_E_clISt17integral_constantIbLb0EES1T_IbLb1EEEEDaS1P_S1Q_EUlS1P_E_NS1_11comp_targetILNS1_3genE3ELNS1_11target_archE908ELNS1_3gpuE7ELNS1_3repE0EEENS1_30default_config_static_selectorELNS0_4arch9wavefront6targetE0EEEvS12_
	.p2align	8
	.type	_ZN7rocprim17ROCPRIM_400000_NS6detail17trampoline_kernelINS0_13select_configILj256ELj13ELNS0_17block_load_methodE3ELS4_3ELS4_3ELNS0_20block_scan_algorithmE0ELj4294967295EEENS1_25partition_config_selectorILNS1_17partition_subalgoE4EjNS0_10empty_typeEbEEZZNS1_14partition_implILS8_4ELb0ES6_15HIP_vector_typeIjLj2EENS0_17counting_iteratorIjlEEPS9_SG_NS0_5tupleIJPjSI_NS0_16reverse_iteratorISI_EEEEENSH_IJSG_SG_SG_EEES9_SI_JZNS1_25segmented_radix_sort_implINS0_14default_configELb1EPKsPsPKlPlN2at6native12_GLOBAL__N_18offset_tEEE10hipError_tPvRmT1_PNSt15iterator_traitsIS12_E10value_typeET2_T3_PNS13_IS18_E10value_typeET4_jRbjT5_S1E_jjP12ihipStream_tbEUljE_ZNSN_ISO_Lb1ESQ_SR_ST_SU_SY_EESZ_S10_S11_S12_S16_S17_S18_S1B_S1C_jS1D_jS1E_S1E_jjS1G_bEUljE0_EEESZ_S10_S11_S18_S1C_S1E_T6_T7_T9_mT8_S1G_bDpT10_ENKUlT_T0_E_clISt17integral_constantIbLb0EES1T_IbLb1EEEEDaS1P_S1Q_EUlS1P_E_NS1_11comp_targetILNS1_3genE3ELNS1_11target_archE908ELNS1_3gpuE7ELNS1_3repE0EEENS1_30default_config_static_selectorELNS0_4arch9wavefront6targetE0EEEvS12_,@function
_ZN7rocprim17ROCPRIM_400000_NS6detail17trampoline_kernelINS0_13select_configILj256ELj13ELNS0_17block_load_methodE3ELS4_3ELS4_3ELNS0_20block_scan_algorithmE0ELj4294967295EEENS1_25partition_config_selectorILNS1_17partition_subalgoE4EjNS0_10empty_typeEbEEZZNS1_14partition_implILS8_4ELb0ES6_15HIP_vector_typeIjLj2EENS0_17counting_iteratorIjlEEPS9_SG_NS0_5tupleIJPjSI_NS0_16reverse_iteratorISI_EEEEENSH_IJSG_SG_SG_EEES9_SI_JZNS1_25segmented_radix_sort_implINS0_14default_configELb1EPKsPsPKlPlN2at6native12_GLOBAL__N_18offset_tEEE10hipError_tPvRmT1_PNSt15iterator_traitsIS12_E10value_typeET2_T3_PNS13_IS18_E10value_typeET4_jRbjT5_S1E_jjP12ihipStream_tbEUljE_ZNSN_ISO_Lb1ESQ_SR_ST_SU_SY_EESZ_S10_S11_S12_S16_S17_S18_S1B_S1C_jS1D_jS1E_S1E_jjS1G_bEUljE0_EEESZ_S10_S11_S18_S1C_S1E_T6_T7_T9_mT8_S1G_bDpT10_ENKUlT_T0_E_clISt17integral_constantIbLb0EES1T_IbLb1EEEEDaS1P_S1Q_EUlS1P_E_NS1_11comp_targetILNS1_3genE3ELNS1_11target_archE908ELNS1_3gpuE7ELNS1_3repE0EEENS1_30default_config_static_selectorELNS0_4arch9wavefront6targetE0EEEvS12_: ; @_ZN7rocprim17ROCPRIM_400000_NS6detail17trampoline_kernelINS0_13select_configILj256ELj13ELNS0_17block_load_methodE3ELS4_3ELS4_3ELNS0_20block_scan_algorithmE0ELj4294967295EEENS1_25partition_config_selectorILNS1_17partition_subalgoE4EjNS0_10empty_typeEbEEZZNS1_14partition_implILS8_4ELb0ES6_15HIP_vector_typeIjLj2EENS0_17counting_iteratorIjlEEPS9_SG_NS0_5tupleIJPjSI_NS0_16reverse_iteratorISI_EEEEENSH_IJSG_SG_SG_EEES9_SI_JZNS1_25segmented_radix_sort_implINS0_14default_configELb1EPKsPsPKlPlN2at6native12_GLOBAL__N_18offset_tEEE10hipError_tPvRmT1_PNSt15iterator_traitsIS12_E10value_typeET2_T3_PNS13_IS18_E10value_typeET4_jRbjT5_S1E_jjP12ihipStream_tbEUljE_ZNSN_ISO_Lb1ESQ_SR_ST_SU_SY_EESZ_S10_S11_S12_S16_S17_S18_S1B_S1C_jS1D_jS1E_S1E_jjS1G_bEUljE0_EEESZ_S10_S11_S18_S1C_S1E_T6_T7_T9_mT8_S1G_bDpT10_ENKUlT_T0_E_clISt17integral_constantIbLb0EES1T_IbLb1EEEEDaS1P_S1Q_EUlS1P_E_NS1_11comp_targetILNS1_3genE3ELNS1_11target_archE908ELNS1_3gpuE7ELNS1_3repE0EEENS1_30default_config_static_selectorELNS0_4arch9wavefront6targetE0EEEvS12_
; %bb.0:
	.section	.rodata,"a",@progbits
	.p2align	6, 0x0
	.amdhsa_kernel _ZN7rocprim17ROCPRIM_400000_NS6detail17trampoline_kernelINS0_13select_configILj256ELj13ELNS0_17block_load_methodE3ELS4_3ELS4_3ELNS0_20block_scan_algorithmE0ELj4294967295EEENS1_25partition_config_selectorILNS1_17partition_subalgoE4EjNS0_10empty_typeEbEEZZNS1_14partition_implILS8_4ELb0ES6_15HIP_vector_typeIjLj2EENS0_17counting_iteratorIjlEEPS9_SG_NS0_5tupleIJPjSI_NS0_16reverse_iteratorISI_EEEEENSH_IJSG_SG_SG_EEES9_SI_JZNS1_25segmented_radix_sort_implINS0_14default_configELb1EPKsPsPKlPlN2at6native12_GLOBAL__N_18offset_tEEE10hipError_tPvRmT1_PNSt15iterator_traitsIS12_E10value_typeET2_T3_PNS13_IS18_E10value_typeET4_jRbjT5_S1E_jjP12ihipStream_tbEUljE_ZNSN_ISO_Lb1ESQ_SR_ST_SU_SY_EESZ_S10_S11_S12_S16_S17_S18_S1B_S1C_jS1D_jS1E_S1E_jjS1G_bEUljE0_EEESZ_S10_S11_S18_S1C_S1E_T6_T7_T9_mT8_S1G_bDpT10_ENKUlT_T0_E_clISt17integral_constantIbLb0EES1T_IbLb1EEEEDaS1P_S1Q_EUlS1P_E_NS1_11comp_targetILNS1_3genE3ELNS1_11target_archE908ELNS1_3gpuE7ELNS1_3repE0EEENS1_30default_config_static_selectorELNS0_4arch9wavefront6targetE0EEEvS12_
		.amdhsa_group_segment_fixed_size 0
		.amdhsa_private_segment_fixed_size 0
		.amdhsa_kernarg_size 184
		.amdhsa_user_sgpr_count 2
		.amdhsa_user_sgpr_dispatch_ptr 0
		.amdhsa_user_sgpr_queue_ptr 0
		.amdhsa_user_sgpr_kernarg_segment_ptr 1
		.amdhsa_user_sgpr_dispatch_id 0
		.amdhsa_user_sgpr_private_segment_size 0
		.amdhsa_wavefront_size32 1
		.amdhsa_uses_dynamic_stack 0
		.amdhsa_enable_private_segment 0
		.amdhsa_system_sgpr_workgroup_id_x 1
		.amdhsa_system_sgpr_workgroup_id_y 0
		.amdhsa_system_sgpr_workgroup_id_z 0
		.amdhsa_system_sgpr_workgroup_info 0
		.amdhsa_system_vgpr_workitem_id 0
		.amdhsa_next_free_vgpr 1
		.amdhsa_next_free_sgpr 1
		.amdhsa_reserve_vcc 0
		.amdhsa_float_round_mode_32 0
		.amdhsa_float_round_mode_16_64 0
		.amdhsa_float_denorm_mode_32 3
		.amdhsa_float_denorm_mode_16_64 3
		.amdhsa_fp16_overflow 0
		.amdhsa_workgroup_processor_mode 1
		.amdhsa_memory_ordered 1
		.amdhsa_forward_progress 1
		.amdhsa_inst_pref_size 0
		.amdhsa_round_robin_scheduling 0
		.amdhsa_exception_fp_ieee_invalid_op 0
		.amdhsa_exception_fp_denorm_src 0
		.amdhsa_exception_fp_ieee_div_zero 0
		.amdhsa_exception_fp_ieee_overflow 0
		.amdhsa_exception_fp_ieee_underflow 0
		.amdhsa_exception_fp_ieee_inexact 0
		.amdhsa_exception_int_div_zero 0
	.end_amdhsa_kernel
	.section	.text._ZN7rocprim17ROCPRIM_400000_NS6detail17trampoline_kernelINS0_13select_configILj256ELj13ELNS0_17block_load_methodE3ELS4_3ELS4_3ELNS0_20block_scan_algorithmE0ELj4294967295EEENS1_25partition_config_selectorILNS1_17partition_subalgoE4EjNS0_10empty_typeEbEEZZNS1_14partition_implILS8_4ELb0ES6_15HIP_vector_typeIjLj2EENS0_17counting_iteratorIjlEEPS9_SG_NS0_5tupleIJPjSI_NS0_16reverse_iteratorISI_EEEEENSH_IJSG_SG_SG_EEES9_SI_JZNS1_25segmented_radix_sort_implINS0_14default_configELb1EPKsPsPKlPlN2at6native12_GLOBAL__N_18offset_tEEE10hipError_tPvRmT1_PNSt15iterator_traitsIS12_E10value_typeET2_T3_PNS13_IS18_E10value_typeET4_jRbjT5_S1E_jjP12ihipStream_tbEUljE_ZNSN_ISO_Lb1ESQ_SR_ST_SU_SY_EESZ_S10_S11_S12_S16_S17_S18_S1B_S1C_jS1D_jS1E_S1E_jjS1G_bEUljE0_EEESZ_S10_S11_S18_S1C_S1E_T6_T7_T9_mT8_S1G_bDpT10_ENKUlT_T0_E_clISt17integral_constantIbLb0EES1T_IbLb1EEEEDaS1P_S1Q_EUlS1P_E_NS1_11comp_targetILNS1_3genE3ELNS1_11target_archE908ELNS1_3gpuE7ELNS1_3repE0EEENS1_30default_config_static_selectorELNS0_4arch9wavefront6targetE0EEEvS12_,"axG",@progbits,_ZN7rocprim17ROCPRIM_400000_NS6detail17trampoline_kernelINS0_13select_configILj256ELj13ELNS0_17block_load_methodE3ELS4_3ELS4_3ELNS0_20block_scan_algorithmE0ELj4294967295EEENS1_25partition_config_selectorILNS1_17partition_subalgoE4EjNS0_10empty_typeEbEEZZNS1_14partition_implILS8_4ELb0ES6_15HIP_vector_typeIjLj2EENS0_17counting_iteratorIjlEEPS9_SG_NS0_5tupleIJPjSI_NS0_16reverse_iteratorISI_EEEEENSH_IJSG_SG_SG_EEES9_SI_JZNS1_25segmented_radix_sort_implINS0_14default_configELb1EPKsPsPKlPlN2at6native12_GLOBAL__N_18offset_tEEE10hipError_tPvRmT1_PNSt15iterator_traitsIS12_E10value_typeET2_T3_PNS13_IS18_E10value_typeET4_jRbjT5_S1E_jjP12ihipStream_tbEUljE_ZNSN_ISO_Lb1ESQ_SR_ST_SU_SY_EESZ_S10_S11_S12_S16_S17_S18_S1B_S1C_jS1D_jS1E_S1E_jjS1G_bEUljE0_EEESZ_S10_S11_S18_S1C_S1E_T6_T7_T9_mT8_S1G_bDpT10_ENKUlT_T0_E_clISt17integral_constantIbLb0EES1T_IbLb1EEEEDaS1P_S1Q_EUlS1P_E_NS1_11comp_targetILNS1_3genE3ELNS1_11target_archE908ELNS1_3gpuE7ELNS1_3repE0EEENS1_30default_config_static_selectorELNS0_4arch9wavefront6targetE0EEEvS12_,comdat
.Lfunc_end874:
	.size	_ZN7rocprim17ROCPRIM_400000_NS6detail17trampoline_kernelINS0_13select_configILj256ELj13ELNS0_17block_load_methodE3ELS4_3ELS4_3ELNS0_20block_scan_algorithmE0ELj4294967295EEENS1_25partition_config_selectorILNS1_17partition_subalgoE4EjNS0_10empty_typeEbEEZZNS1_14partition_implILS8_4ELb0ES6_15HIP_vector_typeIjLj2EENS0_17counting_iteratorIjlEEPS9_SG_NS0_5tupleIJPjSI_NS0_16reverse_iteratorISI_EEEEENSH_IJSG_SG_SG_EEES9_SI_JZNS1_25segmented_radix_sort_implINS0_14default_configELb1EPKsPsPKlPlN2at6native12_GLOBAL__N_18offset_tEEE10hipError_tPvRmT1_PNSt15iterator_traitsIS12_E10value_typeET2_T3_PNS13_IS18_E10value_typeET4_jRbjT5_S1E_jjP12ihipStream_tbEUljE_ZNSN_ISO_Lb1ESQ_SR_ST_SU_SY_EESZ_S10_S11_S12_S16_S17_S18_S1B_S1C_jS1D_jS1E_S1E_jjS1G_bEUljE0_EEESZ_S10_S11_S18_S1C_S1E_T6_T7_T9_mT8_S1G_bDpT10_ENKUlT_T0_E_clISt17integral_constantIbLb0EES1T_IbLb1EEEEDaS1P_S1Q_EUlS1P_E_NS1_11comp_targetILNS1_3genE3ELNS1_11target_archE908ELNS1_3gpuE7ELNS1_3repE0EEENS1_30default_config_static_selectorELNS0_4arch9wavefront6targetE0EEEvS12_, .Lfunc_end874-_ZN7rocprim17ROCPRIM_400000_NS6detail17trampoline_kernelINS0_13select_configILj256ELj13ELNS0_17block_load_methodE3ELS4_3ELS4_3ELNS0_20block_scan_algorithmE0ELj4294967295EEENS1_25partition_config_selectorILNS1_17partition_subalgoE4EjNS0_10empty_typeEbEEZZNS1_14partition_implILS8_4ELb0ES6_15HIP_vector_typeIjLj2EENS0_17counting_iteratorIjlEEPS9_SG_NS0_5tupleIJPjSI_NS0_16reverse_iteratorISI_EEEEENSH_IJSG_SG_SG_EEES9_SI_JZNS1_25segmented_radix_sort_implINS0_14default_configELb1EPKsPsPKlPlN2at6native12_GLOBAL__N_18offset_tEEE10hipError_tPvRmT1_PNSt15iterator_traitsIS12_E10value_typeET2_T3_PNS13_IS18_E10value_typeET4_jRbjT5_S1E_jjP12ihipStream_tbEUljE_ZNSN_ISO_Lb1ESQ_SR_ST_SU_SY_EESZ_S10_S11_S12_S16_S17_S18_S1B_S1C_jS1D_jS1E_S1E_jjS1G_bEUljE0_EEESZ_S10_S11_S18_S1C_S1E_T6_T7_T9_mT8_S1G_bDpT10_ENKUlT_T0_E_clISt17integral_constantIbLb0EES1T_IbLb1EEEEDaS1P_S1Q_EUlS1P_E_NS1_11comp_targetILNS1_3genE3ELNS1_11target_archE908ELNS1_3gpuE7ELNS1_3repE0EEENS1_30default_config_static_selectorELNS0_4arch9wavefront6targetE0EEEvS12_
                                        ; -- End function
	.set _ZN7rocprim17ROCPRIM_400000_NS6detail17trampoline_kernelINS0_13select_configILj256ELj13ELNS0_17block_load_methodE3ELS4_3ELS4_3ELNS0_20block_scan_algorithmE0ELj4294967295EEENS1_25partition_config_selectorILNS1_17partition_subalgoE4EjNS0_10empty_typeEbEEZZNS1_14partition_implILS8_4ELb0ES6_15HIP_vector_typeIjLj2EENS0_17counting_iteratorIjlEEPS9_SG_NS0_5tupleIJPjSI_NS0_16reverse_iteratorISI_EEEEENSH_IJSG_SG_SG_EEES9_SI_JZNS1_25segmented_radix_sort_implINS0_14default_configELb1EPKsPsPKlPlN2at6native12_GLOBAL__N_18offset_tEEE10hipError_tPvRmT1_PNSt15iterator_traitsIS12_E10value_typeET2_T3_PNS13_IS18_E10value_typeET4_jRbjT5_S1E_jjP12ihipStream_tbEUljE_ZNSN_ISO_Lb1ESQ_SR_ST_SU_SY_EESZ_S10_S11_S12_S16_S17_S18_S1B_S1C_jS1D_jS1E_S1E_jjS1G_bEUljE0_EEESZ_S10_S11_S18_S1C_S1E_T6_T7_T9_mT8_S1G_bDpT10_ENKUlT_T0_E_clISt17integral_constantIbLb0EES1T_IbLb1EEEEDaS1P_S1Q_EUlS1P_E_NS1_11comp_targetILNS1_3genE3ELNS1_11target_archE908ELNS1_3gpuE7ELNS1_3repE0EEENS1_30default_config_static_selectorELNS0_4arch9wavefront6targetE0EEEvS12_.num_vgpr, 0
	.set _ZN7rocprim17ROCPRIM_400000_NS6detail17trampoline_kernelINS0_13select_configILj256ELj13ELNS0_17block_load_methodE3ELS4_3ELS4_3ELNS0_20block_scan_algorithmE0ELj4294967295EEENS1_25partition_config_selectorILNS1_17partition_subalgoE4EjNS0_10empty_typeEbEEZZNS1_14partition_implILS8_4ELb0ES6_15HIP_vector_typeIjLj2EENS0_17counting_iteratorIjlEEPS9_SG_NS0_5tupleIJPjSI_NS0_16reverse_iteratorISI_EEEEENSH_IJSG_SG_SG_EEES9_SI_JZNS1_25segmented_radix_sort_implINS0_14default_configELb1EPKsPsPKlPlN2at6native12_GLOBAL__N_18offset_tEEE10hipError_tPvRmT1_PNSt15iterator_traitsIS12_E10value_typeET2_T3_PNS13_IS18_E10value_typeET4_jRbjT5_S1E_jjP12ihipStream_tbEUljE_ZNSN_ISO_Lb1ESQ_SR_ST_SU_SY_EESZ_S10_S11_S12_S16_S17_S18_S1B_S1C_jS1D_jS1E_S1E_jjS1G_bEUljE0_EEESZ_S10_S11_S18_S1C_S1E_T6_T7_T9_mT8_S1G_bDpT10_ENKUlT_T0_E_clISt17integral_constantIbLb0EES1T_IbLb1EEEEDaS1P_S1Q_EUlS1P_E_NS1_11comp_targetILNS1_3genE3ELNS1_11target_archE908ELNS1_3gpuE7ELNS1_3repE0EEENS1_30default_config_static_selectorELNS0_4arch9wavefront6targetE0EEEvS12_.num_agpr, 0
	.set _ZN7rocprim17ROCPRIM_400000_NS6detail17trampoline_kernelINS0_13select_configILj256ELj13ELNS0_17block_load_methodE3ELS4_3ELS4_3ELNS0_20block_scan_algorithmE0ELj4294967295EEENS1_25partition_config_selectorILNS1_17partition_subalgoE4EjNS0_10empty_typeEbEEZZNS1_14partition_implILS8_4ELb0ES6_15HIP_vector_typeIjLj2EENS0_17counting_iteratorIjlEEPS9_SG_NS0_5tupleIJPjSI_NS0_16reverse_iteratorISI_EEEEENSH_IJSG_SG_SG_EEES9_SI_JZNS1_25segmented_radix_sort_implINS0_14default_configELb1EPKsPsPKlPlN2at6native12_GLOBAL__N_18offset_tEEE10hipError_tPvRmT1_PNSt15iterator_traitsIS12_E10value_typeET2_T3_PNS13_IS18_E10value_typeET4_jRbjT5_S1E_jjP12ihipStream_tbEUljE_ZNSN_ISO_Lb1ESQ_SR_ST_SU_SY_EESZ_S10_S11_S12_S16_S17_S18_S1B_S1C_jS1D_jS1E_S1E_jjS1G_bEUljE0_EEESZ_S10_S11_S18_S1C_S1E_T6_T7_T9_mT8_S1G_bDpT10_ENKUlT_T0_E_clISt17integral_constantIbLb0EES1T_IbLb1EEEEDaS1P_S1Q_EUlS1P_E_NS1_11comp_targetILNS1_3genE3ELNS1_11target_archE908ELNS1_3gpuE7ELNS1_3repE0EEENS1_30default_config_static_selectorELNS0_4arch9wavefront6targetE0EEEvS12_.numbered_sgpr, 0
	.set _ZN7rocprim17ROCPRIM_400000_NS6detail17trampoline_kernelINS0_13select_configILj256ELj13ELNS0_17block_load_methodE3ELS4_3ELS4_3ELNS0_20block_scan_algorithmE0ELj4294967295EEENS1_25partition_config_selectorILNS1_17partition_subalgoE4EjNS0_10empty_typeEbEEZZNS1_14partition_implILS8_4ELb0ES6_15HIP_vector_typeIjLj2EENS0_17counting_iteratorIjlEEPS9_SG_NS0_5tupleIJPjSI_NS0_16reverse_iteratorISI_EEEEENSH_IJSG_SG_SG_EEES9_SI_JZNS1_25segmented_radix_sort_implINS0_14default_configELb1EPKsPsPKlPlN2at6native12_GLOBAL__N_18offset_tEEE10hipError_tPvRmT1_PNSt15iterator_traitsIS12_E10value_typeET2_T3_PNS13_IS18_E10value_typeET4_jRbjT5_S1E_jjP12ihipStream_tbEUljE_ZNSN_ISO_Lb1ESQ_SR_ST_SU_SY_EESZ_S10_S11_S12_S16_S17_S18_S1B_S1C_jS1D_jS1E_S1E_jjS1G_bEUljE0_EEESZ_S10_S11_S18_S1C_S1E_T6_T7_T9_mT8_S1G_bDpT10_ENKUlT_T0_E_clISt17integral_constantIbLb0EES1T_IbLb1EEEEDaS1P_S1Q_EUlS1P_E_NS1_11comp_targetILNS1_3genE3ELNS1_11target_archE908ELNS1_3gpuE7ELNS1_3repE0EEENS1_30default_config_static_selectorELNS0_4arch9wavefront6targetE0EEEvS12_.num_named_barrier, 0
	.set _ZN7rocprim17ROCPRIM_400000_NS6detail17trampoline_kernelINS0_13select_configILj256ELj13ELNS0_17block_load_methodE3ELS4_3ELS4_3ELNS0_20block_scan_algorithmE0ELj4294967295EEENS1_25partition_config_selectorILNS1_17partition_subalgoE4EjNS0_10empty_typeEbEEZZNS1_14partition_implILS8_4ELb0ES6_15HIP_vector_typeIjLj2EENS0_17counting_iteratorIjlEEPS9_SG_NS0_5tupleIJPjSI_NS0_16reverse_iteratorISI_EEEEENSH_IJSG_SG_SG_EEES9_SI_JZNS1_25segmented_radix_sort_implINS0_14default_configELb1EPKsPsPKlPlN2at6native12_GLOBAL__N_18offset_tEEE10hipError_tPvRmT1_PNSt15iterator_traitsIS12_E10value_typeET2_T3_PNS13_IS18_E10value_typeET4_jRbjT5_S1E_jjP12ihipStream_tbEUljE_ZNSN_ISO_Lb1ESQ_SR_ST_SU_SY_EESZ_S10_S11_S12_S16_S17_S18_S1B_S1C_jS1D_jS1E_S1E_jjS1G_bEUljE0_EEESZ_S10_S11_S18_S1C_S1E_T6_T7_T9_mT8_S1G_bDpT10_ENKUlT_T0_E_clISt17integral_constantIbLb0EES1T_IbLb1EEEEDaS1P_S1Q_EUlS1P_E_NS1_11comp_targetILNS1_3genE3ELNS1_11target_archE908ELNS1_3gpuE7ELNS1_3repE0EEENS1_30default_config_static_selectorELNS0_4arch9wavefront6targetE0EEEvS12_.private_seg_size, 0
	.set _ZN7rocprim17ROCPRIM_400000_NS6detail17trampoline_kernelINS0_13select_configILj256ELj13ELNS0_17block_load_methodE3ELS4_3ELS4_3ELNS0_20block_scan_algorithmE0ELj4294967295EEENS1_25partition_config_selectorILNS1_17partition_subalgoE4EjNS0_10empty_typeEbEEZZNS1_14partition_implILS8_4ELb0ES6_15HIP_vector_typeIjLj2EENS0_17counting_iteratorIjlEEPS9_SG_NS0_5tupleIJPjSI_NS0_16reverse_iteratorISI_EEEEENSH_IJSG_SG_SG_EEES9_SI_JZNS1_25segmented_radix_sort_implINS0_14default_configELb1EPKsPsPKlPlN2at6native12_GLOBAL__N_18offset_tEEE10hipError_tPvRmT1_PNSt15iterator_traitsIS12_E10value_typeET2_T3_PNS13_IS18_E10value_typeET4_jRbjT5_S1E_jjP12ihipStream_tbEUljE_ZNSN_ISO_Lb1ESQ_SR_ST_SU_SY_EESZ_S10_S11_S12_S16_S17_S18_S1B_S1C_jS1D_jS1E_S1E_jjS1G_bEUljE0_EEESZ_S10_S11_S18_S1C_S1E_T6_T7_T9_mT8_S1G_bDpT10_ENKUlT_T0_E_clISt17integral_constantIbLb0EES1T_IbLb1EEEEDaS1P_S1Q_EUlS1P_E_NS1_11comp_targetILNS1_3genE3ELNS1_11target_archE908ELNS1_3gpuE7ELNS1_3repE0EEENS1_30default_config_static_selectorELNS0_4arch9wavefront6targetE0EEEvS12_.uses_vcc, 0
	.set _ZN7rocprim17ROCPRIM_400000_NS6detail17trampoline_kernelINS0_13select_configILj256ELj13ELNS0_17block_load_methodE3ELS4_3ELS4_3ELNS0_20block_scan_algorithmE0ELj4294967295EEENS1_25partition_config_selectorILNS1_17partition_subalgoE4EjNS0_10empty_typeEbEEZZNS1_14partition_implILS8_4ELb0ES6_15HIP_vector_typeIjLj2EENS0_17counting_iteratorIjlEEPS9_SG_NS0_5tupleIJPjSI_NS0_16reverse_iteratorISI_EEEEENSH_IJSG_SG_SG_EEES9_SI_JZNS1_25segmented_radix_sort_implINS0_14default_configELb1EPKsPsPKlPlN2at6native12_GLOBAL__N_18offset_tEEE10hipError_tPvRmT1_PNSt15iterator_traitsIS12_E10value_typeET2_T3_PNS13_IS18_E10value_typeET4_jRbjT5_S1E_jjP12ihipStream_tbEUljE_ZNSN_ISO_Lb1ESQ_SR_ST_SU_SY_EESZ_S10_S11_S12_S16_S17_S18_S1B_S1C_jS1D_jS1E_S1E_jjS1G_bEUljE0_EEESZ_S10_S11_S18_S1C_S1E_T6_T7_T9_mT8_S1G_bDpT10_ENKUlT_T0_E_clISt17integral_constantIbLb0EES1T_IbLb1EEEEDaS1P_S1Q_EUlS1P_E_NS1_11comp_targetILNS1_3genE3ELNS1_11target_archE908ELNS1_3gpuE7ELNS1_3repE0EEENS1_30default_config_static_selectorELNS0_4arch9wavefront6targetE0EEEvS12_.uses_flat_scratch, 0
	.set _ZN7rocprim17ROCPRIM_400000_NS6detail17trampoline_kernelINS0_13select_configILj256ELj13ELNS0_17block_load_methodE3ELS4_3ELS4_3ELNS0_20block_scan_algorithmE0ELj4294967295EEENS1_25partition_config_selectorILNS1_17partition_subalgoE4EjNS0_10empty_typeEbEEZZNS1_14partition_implILS8_4ELb0ES6_15HIP_vector_typeIjLj2EENS0_17counting_iteratorIjlEEPS9_SG_NS0_5tupleIJPjSI_NS0_16reverse_iteratorISI_EEEEENSH_IJSG_SG_SG_EEES9_SI_JZNS1_25segmented_radix_sort_implINS0_14default_configELb1EPKsPsPKlPlN2at6native12_GLOBAL__N_18offset_tEEE10hipError_tPvRmT1_PNSt15iterator_traitsIS12_E10value_typeET2_T3_PNS13_IS18_E10value_typeET4_jRbjT5_S1E_jjP12ihipStream_tbEUljE_ZNSN_ISO_Lb1ESQ_SR_ST_SU_SY_EESZ_S10_S11_S12_S16_S17_S18_S1B_S1C_jS1D_jS1E_S1E_jjS1G_bEUljE0_EEESZ_S10_S11_S18_S1C_S1E_T6_T7_T9_mT8_S1G_bDpT10_ENKUlT_T0_E_clISt17integral_constantIbLb0EES1T_IbLb1EEEEDaS1P_S1Q_EUlS1P_E_NS1_11comp_targetILNS1_3genE3ELNS1_11target_archE908ELNS1_3gpuE7ELNS1_3repE0EEENS1_30default_config_static_selectorELNS0_4arch9wavefront6targetE0EEEvS12_.has_dyn_sized_stack, 0
	.set _ZN7rocprim17ROCPRIM_400000_NS6detail17trampoline_kernelINS0_13select_configILj256ELj13ELNS0_17block_load_methodE3ELS4_3ELS4_3ELNS0_20block_scan_algorithmE0ELj4294967295EEENS1_25partition_config_selectorILNS1_17partition_subalgoE4EjNS0_10empty_typeEbEEZZNS1_14partition_implILS8_4ELb0ES6_15HIP_vector_typeIjLj2EENS0_17counting_iteratorIjlEEPS9_SG_NS0_5tupleIJPjSI_NS0_16reverse_iteratorISI_EEEEENSH_IJSG_SG_SG_EEES9_SI_JZNS1_25segmented_radix_sort_implINS0_14default_configELb1EPKsPsPKlPlN2at6native12_GLOBAL__N_18offset_tEEE10hipError_tPvRmT1_PNSt15iterator_traitsIS12_E10value_typeET2_T3_PNS13_IS18_E10value_typeET4_jRbjT5_S1E_jjP12ihipStream_tbEUljE_ZNSN_ISO_Lb1ESQ_SR_ST_SU_SY_EESZ_S10_S11_S12_S16_S17_S18_S1B_S1C_jS1D_jS1E_S1E_jjS1G_bEUljE0_EEESZ_S10_S11_S18_S1C_S1E_T6_T7_T9_mT8_S1G_bDpT10_ENKUlT_T0_E_clISt17integral_constantIbLb0EES1T_IbLb1EEEEDaS1P_S1Q_EUlS1P_E_NS1_11comp_targetILNS1_3genE3ELNS1_11target_archE908ELNS1_3gpuE7ELNS1_3repE0EEENS1_30default_config_static_selectorELNS0_4arch9wavefront6targetE0EEEvS12_.has_recursion, 0
	.set _ZN7rocprim17ROCPRIM_400000_NS6detail17trampoline_kernelINS0_13select_configILj256ELj13ELNS0_17block_load_methodE3ELS4_3ELS4_3ELNS0_20block_scan_algorithmE0ELj4294967295EEENS1_25partition_config_selectorILNS1_17partition_subalgoE4EjNS0_10empty_typeEbEEZZNS1_14partition_implILS8_4ELb0ES6_15HIP_vector_typeIjLj2EENS0_17counting_iteratorIjlEEPS9_SG_NS0_5tupleIJPjSI_NS0_16reverse_iteratorISI_EEEEENSH_IJSG_SG_SG_EEES9_SI_JZNS1_25segmented_radix_sort_implINS0_14default_configELb1EPKsPsPKlPlN2at6native12_GLOBAL__N_18offset_tEEE10hipError_tPvRmT1_PNSt15iterator_traitsIS12_E10value_typeET2_T3_PNS13_IS18_E10value_typeET4_jRbjT5_S1E_jjP12ihipStream_tbEUljE_ZNSN_ISO_Lb1ESQ_SR_ST_SU_SY_EESZ_S10_S11_S12_S16_S17_S18_S1B_S1C_jS1D_jS1E_S1E_jjS1G_bEUljE0_EEESZ_S10_S11_S18_S1C_S1E_T6_T7_T9_mT8_S1G_bDpT10_ENKUlT_T0_E_clISt17integral_constantIbLb0EES1T_IbLb1EEEEDaS1P_S1Q_EUlS1P_E_NS1_11comp_targetILNS1_3genE3ELNS1_11target_archE908ELNS1_3gpuE7ELNS1_3repE0EEENS1_30default_config_static_selectorELNS0_4arch9wavefront6targetE0EEEvS12_.has_indirect_call, 0
	.section	.AMDGPU.csdata,"",@progbits
; Kernel info:
; codeLenInByte = 0
; TotalNumSgprs: 0
; NumVgprs: 0
; ScratchSize: 0
; MemoryBound: 0
; FloatMode: 240
; IeeeMode: 1
; LDSByteSize: 0 bytes/workgroup (compile time only)
; SGPRBlocks: 0
; VGPRBlocks: 0
; NumSGPRsForWavesPerEU: 1
; NumVGPRsForWavesPerEU: 1
; Occupancy: 16
; WaveLimiterHint : 0
; COMPUTE_PGM_RSRC2:SCRATCH_EN: 0
; COMPUTE_PGM_RSRC2:USER_SGPR: 2
; COMPUTE_PGM_RSRC2:TRAP_HANDLER: 0
; COMPUTE_PGM_RSRC2:TGID_X_EN: 1
; COMPUTE_PGM_RSRC2:TGID_Y_EN: 0
; COMPUTE_PGM_RSRC2:TGID_Z_EN: 0
; COMPUTE_PGM_RSRC2:TIDIG_COMP_CNT: 0
	.section	.text._ZN7rocprim17ROCPRIM_400000_NS6detail17trampoline_kernelINS0_13select_configILj256ELj13ELNS0_17block_load_methodE3ELS4_3ELS4_3ELNS0_20block_scan_algorithmE0ELj4294967295EEENS1_25partition_config_selectorILNS1_17partition_subalgoE4EjNS0_10empty_typeEbEEZZNS1_14partition_implILS8_4ELb0ES6_15HIP_vector_typeIjLj2EENS0_17counting_iteratorIjlEEPS9_SG_NS0_5tupleIJPjSI_NS0_16reverse_iteratorISI_EEEEENSH_IJSG_SG_SG_EEES9_SI_JZNS1_25segmented_radix_sort_implINS0_14default_configELb1EPKsPsPKlPlN2at6native12_GLOBAL__N_18offset_tEEE10hipError_tPvRmT1_PNSt15iterator_traitsIS12_E10value_typeET2_T3_PNS13_IS18_E10value_typeET4_jRbjT5_S1E_jjP12ihipStream_tbEUljE_ZNSN_ISO_Lb1ESQ_SR_ST_SU_SY_EESZ_S10_S11_S12_S16_S17_S18_S1B_S1C_jS1D_jS1E_S1E_jjS1G_bEUljE0_EEESZ_S10_S11_S18_S1C_S1E_T6_T7_T9_mT8_S1G_bDpT10_ENKUlT_T0_E_clISt17integral_constantIbLb0EES1T_IbLb1EEEEDaS1P_S1Q_EUlS1P_E_NS1_11comp_targetILNS1_3genE2ELNS1_11target_archE906ELNS1_3gpuE6ELNS1_3repE0EEENS1_30default_config_static_selectorELNS0_4arch9wavefront6targetE0EEEvS12_,"axG",@progbits,_ZN7rocprim17ROCPRIM_400000_NS6detail17trampoline_kernelINS0_13select_configILj256ELj13ELNS0_17block_load_methodE3ELS4_3ELS4_3ELNS0_20block_scan_algorithmE0ELj4294967295EEENS1_25partition_config_selectorILNS1_17partition_subalgoE4EjNS0_10empty_typeEbEEZZNS1_14partition_implILS8_4ELb0ES6_15HIP_vector_typeIjLj2EENS0_17counting_iteratorIjlEEPS9_SG_NS0_5tupleIJPjSI_NS0_16reverse_iteratorISI_EEEEENSH_IJSG_SG_SG_EEES9_SI_JZNS1_25segmented_radix_sort_implINS0_14default_configELb1EPKsPsPKlPlN2at6native12_GLOBAL__N_18offset_tEEE10hipError_tPvRmT1_PNSt15iterator_traitsIS12_E10value_typeET2_T3_PNS13_IS18_E10value_typeET4_jRbjT5_S1E_jjP12ihipStream_tbEUljE_ZNSN_ISO_Lb1ESQ_SR_ST_SU_SY_EESZ_S10_S11_S12_S16_S17_S18_S1B_S1C_jS1D_jS1E_S1E_jjS1G_bEUljE0_EEESZ_S10_S11_S18_S1C_S1E_T6_T7_T9_mT8_S1G_bDpT10_ENKUlT_T0_E_clISt17integral_constantIbLb0EES1T_IbLb1EEEEDaS1P_S1Q_EUlS1P_E_NS1_11comp_targetILNS1_3genE2ELNS1_11target_archE906ELNS1_3gpuE6ELNS1_3repE0EEENS1_30default_config_static_selectorELNS0_4arch9wavefront6targetE0EEEvS12_,comdat
	.globl	_ZN7rocprim17ROCPRIM_400000_NS6detail17trampoline_kernelINS0_13select_configILj256ELj13ELNS0_17block_load_methodE3ELS4_3ELS4_3ELNS0_20block_scan_algorithmE0ELj4294967295EEENS1_25partition_config_selectorILNS1_17partition_subalgoE4EjNS0_10empty_typeEbEEZZNS1_14partition_implILS8_4ELb0ES6_15HIP_vector_typeIjLj2EENS0_17counting_iteratorIjlEEPS9_SG_NS0_5tupleIJPjSI_NS0_16reverse_iteratorISI_EEEEENSH_IJSG_SG_SG_EEES9_SI_JZNS1_25segmented_radix_sort_implINS0_14default_configELb1EPKsPsPKlPlN2at6native12_GLOBAL__N_18offset_tEEE10hipError_tPvRmT1_PNSt15iterator_traitsIS12_E10value_typeET2_T3_PNS13_IS18_E10value_typeET4_jRbjT5_S1E_jjP12ihipStream_tbEUljE_ZNSN_ISO_Lb1ESQ_SR_ST_SU_SY_EESZ_S10_S11_S12_S16_S17_S18_S1B_S1C_jS1D_jS1E_S1E_jjS1G_bEUljE0_EEESZ_S10_S11_S18_S1C_S1E_T6_T7_T9_mT8_S1G_bDpT10_ENKUlT_T0_E_clISt17integral_constantIbLb0EES1T_IbLb1EEEEDaS1P_S1Q_EUlS1P_E_NS1_11comp_targetILNS1_3genE2ELNS1_11target_archE906ELNS1_3gpuE6ELNS1_3repE0EEENS1_30default_config_static_selectorELNS0_4arch9wavefront6targetE0EEEvS12_ ; -- Begin function _ZN7rocprim17ROCPRIM_400000_NS6detail17trampoline_kernelINS0_13select_configILj256ELj13ELNS0_17block_load_methodE3ELS4_3ELS4_3ELNS0_20block_scan_algorithmE0ELj4294967295EEENS1_25partition_config_selectorILNS1_17partition_subalgoE4EjNS0_10empty_typeEbEEZZNS1_14partition_implILS8_4ELb0ES6_15HIP_vector_typeIjLj2EENS0_17counting_iteratorIjlEEPS9_SG_NS0_5tupleIJPjSI_NS0_16reverse_iteratorISI_EEEEENSH_IJSG_SG_SG_EEES9_SI_JZNS1_25segmented_radix_sort_implINS0_14default_configELb1EPKsPsPKlPlN2at6native12_GLOBAL__N_18offset_tEEE10hipError_tPvRmT1_PNSt15iterator_traitsIS12_E10value_typeET2_T3_PNS13_IS18_E10value_typeET4_jRbjT5_S1E_jjP12ihipStream_tbEUljE_ZNSN_ISO_Lb1ESQ_SR_ST_SU_SY_EESZ_S10_S11_S12_S16_S17_S18_S1B_S1C_jS1D_jS1E_S1E_jjS1G_bEUljE0_EEESZ_S10_S11_S18_S1C_S1E_T6_T7_T9_mT8_S1G_bDpT10_ENKUlT_T0_E_clISt17integral_constantIbLb0EES1T_IbLb1EEEEDaS1P_S1Q_EUlS1P_E_NS1_11comp_targetILNS1_3genE2ELNS1_11target_archE906ELNS1_3gpuE6ELNS1_3repE0EEENS1_30default_config_static_selectorELNS0_4arch9wavefront6targetE0EEEvS12_
	.p2align	8
	.type	_ZN7rocprim17ROCPRIM_400000_NS6detail17trampoline_kernelINS0_13select_configILj256ELj13ELNS0_17block_load_methodE3ELS4_3ELS4_3ELNS0_20block_scan_algorithmE0ELj4294967295EEENS1_25partition_config_selectorILNS1_17partition_subalgoE4EjNS0_10empty_typeEbEEZZNS1_14partition_implILS8_4ELb0ES6_15HIP_vector_typeIjLj2EENS0_17counting_iteratorIjlEEPS9_SG_NS0_5tupleIJPjSI_NS0_16reverse_iteratorISI_EEEEENSH_IJSG_SG_SG_EEES9_SI_JZNS1_25segmented_radix_sort_implINS0_14default_configELb1EPKsPsPKlPlN2at6native12_GLOBAL__N_18offset_tEEE10hipError_tPvRmT1_PNSt15iterator_traitsIS12_E10value_typeET2_T3_PNS13_IS18_E10value_typeET4_jRbjT5_S1E_jjP12ihipStream_tbEUljE_ZNSN_ISO_Lb1ESQ_SR_ST_SU_SY_EESZ_S10_S11_S12_S16_S17_S18_S1B_S1C_jS1D_jS1E_S1E_jjS1G_bEUljE0_EEESZ_S10_S11_S18_S1C_S1E_T6_T7_T9_mT8_S1G_bDpT10_ENKUlT_T0_E_clISt17integral_constantIbLb0EES1T_IbLb1EEEEDaS1P_S1Q_EUlS1P_E_NS1_11comp_targetILNS1_3genE2ELNS1_11target_archE906ELNS1_3gpuE6ELNS1_3repE0EEENS1_30default_config_static_selectorELNS0_4arch9wavefront6targetE0EEEvS12_,@function
_ZN7rocprim17ROCPRIM_400000_NS6detail17trampoline_kernelINS0_13select_configILj256ELj13ELNS0_17block_load_methodE3ELS4_3ELS4_3ELNS0_20block_scan_algorithmE0ELj4294967295EEENS1_25partition_config_selectorILNS1_17partition_subalgoE4EjNS0_10empty_typeEbEEZZNS1_14partition_implILS8_4ELb0ES6_15HIP_vector_typeIjLj2EENS0_17counting_iteratorIjlEEPS9_SG_NS0_5tupleIJPjSI_NS0_16reverse_iteratorISI_EEEEENSH_IJSG_SG_SG_EEES9_SI_JZNS1_25segmented_radix_sort_implINS0_14default_configELb1EPKsPsPKlPlN2at6native12_GLOBAL__N_18offset_tEEE10hipError_tPvRmT1_PNSt15iterator_traitsIS12_E10value_typeET2_T3_PNS13_IS18_E10value_typeET4_jRbjT5_S1E_jjP12ihipStream_tbEUljE_ZNSN_ISO_Lb1ESQ_SR_ST_SU_SY_EESZ_S10_S11_S12_S16_S17_S18_S1B_S1C_jS1D_jS1E_S1E_jjS1G_bEUljE0_EEESZ_S10_S11_S18_S1C_S1E_T6_T7_T9_mT8_S1G_bDpT10_ENKUlT_T0_E_clISt17integral_constantIbLb0EES1T_IbLb1EEEEDaS1P_S1Q_EUlS1P_E_NS1_11comp_targetILNS1_3genE2ELNS1_11target_archE906ELNS1_3gpuE6ELNS1_3repE0EEENS1_30default_config_static_selectorELNS0_4arch9wavefront6targetE0EEEvS12_: ; @_ZN7rocprim17ROCPRIM_400000_NS6detail17trampoline_kernelINS0_13select_configILj256ELj13ELNS0_17block_load_methodE3ELS4_3ELS4_3ELNS0_20block_scan_algorithmE0ELj4294967295EEENS1_25partition_config_selectorILNS1_17partition_subalgoE4EjNS0_10empty_typeEbEEZZNS1_14partition_implILS8_4ELb0ES6_15HIP_vector_typeIjLj2EENS0_17counting_iteratorIjlEEPS9_SG_NS0_5tupleIJPjSI_NS0_16reverse_iteratorISI_EEEEENSH_IJSG_SG_SG_EEES9_SI_JZNS1_25segmented_radix_sort_implINS0_14default_configELb1EPKsPsPKlPlN2at6native12_GLOBAL__N_18offset_tEEE10hipError_tPvRmT1_PNSt15iterator_traitsIS12_E10value_typeET2_T3_PNS13_IS18_E10value_typeET4_jRbjT5_S1E_jjP12ihipStream_tbEUljE_ZNSN_ISO_Lb1ESQ_SR_ST_SU_SY_EESZ_S10_S11_S12_S16_S17_S18_S1B_S1C_jS1D_jS1E_S1E_jjS1G_bEUljE0_EEESZ_S10_S11_S18_S1C_S1E_T6_T7_T9_mT8_S1G_bDpT10_ENKUlT_T0_E_clISt17integral_constantIbLb0EES1T_IbLb1EEEEDaS1P_S1Q_EUlS1P_E_NS1_11comp_targetILNS1_3genE2ELNS1_11target_archE906ELNS1_3gpuE6ELNS1_3repE0EEENS1_30default_config_static_selectorELNS0_4arch9wavefront6targetE0EEEvS12_
; %bb.0:
	.section	.rodata,"a",@progbits
	.p2align	6, 0x0
	.amdhsa_kernel _ZN7rocprim17ROCPRIM_400000_NS6detail17trampoline_kernelINS0_13select_configILj256ELj13ELNS0_17block_load_methodE3ELS4_3ELS4_3ELNS0_20block_scan_algorithmE0ELj4294967295EEENS1_25partition_config_selectorILNS1_17partition_subalgoE4EjNS0_10empty_typeEbEEZZNS1_14partition_implILS8_4ELb0ES6_15HIP_vector_typeIjLj2EENS0_17counting_iteratorIjlEEPS9_SG_NS0_5tupleIJPjSI_NS0_16reverse_iteratorISI_EEEEENSH_IJSG_SG_SG_EEES9_SI_JZNS1_25segmented_radix_sort_implINS0_14default_configELb1EPKsPsPKlPlN2at6native12_GLOBAL__N_18offset_tEEE10hipError_tPvRmT1_PNSt15iterator_traitsIS12_E10value_typeET2_T3_PNS13_IS18_E10value_typeET4_jRbjT5_S1E_jjP12ihipStream_tbEUljE_ZNSN_ISO_Lb1ESQ_SR_ST_SU_SY_EESZ_S10_S11_S12_S16_S17_S18_S1B_S1C_jS1D_jS1E_S1E_jjS1G_bEUljE0_EEESZ_S10_S11_S18_S1C_S1E_T6_T7_T9_mT8_S1G_bDpT10_ENKUlT_T0_E_clISt17integral_constantIbLb0EES1T_IbLb1EEEEDaS1P_S1Q_EUlS1P_E_NS1_11comp_targetILNS1_3genE2ELNS1_11target_archE906ELNS1_3gpuE6ELNS1_3repE0EEENS1_30default_config_static_selectorELNS0_4arch9wavefront6targetE0EEEvS12_
		.amdhsa_group_segment_fixed_size 0
		.amdhsa_private_segment_fixed_size 0
		.amdhsa_kernarg_size 184
		.amdhsa_user_sgpr_count 2
		.amdhsa_user_sgpr_dispatch_ptr 0
		.amdhsa_user_sgpr_queue_ptr 0
		.amdhsa_user_sgpr_kernarg_segment_ptr 1
		.amdhsa_user_sgpr_dispatch_id 0
		.amdhsa_user_sgpr_private_segment_size 0
		.amdhsa_wavefront_size32 1
		.amdhsa_uses_dynamic_stack 0
		.amdhsa_enable_private_segment 0
		.amdhsa_system_sgpr_workgroup_id_x 1
		.amdhsa_system_sgpr_workgroup_id_y 0
		.amdhsa_system_sgpr_workgroup_id_z 0
		.amdhsa_system_sgpr_workgroup_info 0
		.amdhsa_system_vgpr_workitem_id 0
		.amdhsa_next_free_vgpr 1
		.amdhsa_next_free_sgpr 1
		.amdhsa_reserve_vcc 0
		.amdhsa_float_round_mode_32 0
		.amdhsa_float_round_mode_16_64 0
		.amdhsa_float_denorm_mode_32 3
		.amdhsa_float_denorm_mode_16_64 3
		.amdhsa_fp16_overflow 0
		.amdhsa_workgroup_processor_mode 1
		.amdhsa_memory_ordered 1
		.amdhsa_forward_progress 1
		.amdhsa_inst_pref_size 0
		.amdhsa_round_robin_scheduling 0
		.amdhsa_exception_fp_ieee_invalid_op 0
		.amdhsa_exception_fp_denorm_src 0
		.amdhsa_exception_fp_ieee_div_zero 0
		.amdhsa_exception_fp_ieee_overflow 0
		.amdhsa_exception_fp_ieee_underflow 0
		.amdhsa_exception_fp_ieee_inexact 0
		.amdhsa_exception_int_div_zero 0
	.end_amdhsa_kernel
	.section	.text._ZN7rocprim17ROCPRIM_400000_NS6detail17trampoline_kernelINS0_13select_configILj256ELj13ELNS0_17block_load_methodE3ELS4_3ELS4_3ELNS0_20block_scan_algorithmE0ELj4294967295EEENS1_25partition_config_selectorILNS1_17partition_subalgoE4EjNS0_10empty_typeEbEEZZNS1_14partition_implILS8_4ELb0ES6_15HIP_vector_typeIjLj2EENS0_17counting_iteratorIjlEEPS9_SG_NS0_5tupleIJPjSI_NS0_16reverse_iteratorISI_EEEEENSH_IJSG_SG_SG_EEES9_SI_JZNS1_25segmented_radix_sort_implINS0_14default_configELb1EPKsPsPKlPlN2at6native12_GLOBAL__N_18offset_tEEE10hipError_tPvRmT1_PNSt15iterator_traitsIS12_E10value_typeET2_T3_PNS13_IS18_E10value_typeET4_jRbjT5_S1E_jjP12ihipStream_tbEUljE_ZNSN_ISO_Lb1ESQ_SR_ST_SU_SY_EESZ_S10_S11_S12_S16_S17_S18_S1B_S1C_jS1D_jS1E_S1E_jjS1G_bEUljE0_EEESZ_S10_S11_S18_S1C_S1E_T6_T7_T9_mT8_S1G_bDpT10_ENKUlT_T0_E_clISt17integral_constantIbLb0EES1T_IbLb1EEEEDaS1P_S1Q_EUlS1P_E_NS1_11comp_targetILNS1_3genE2ELNS1_11target_archE906ELNS1_3gpuE6ELNS1_3repE0EEENS1_30default_config_static_selectorELNS0_4arch9wavefront6targetE0EEEvS12_,"axG",@progbits,_ZN7rocprim17ROCPRIM_400000_NS6detail17trampoline_kernelINS0_13select_configILj256ELj13ELNS0_17block_load_methodE3ELS4_3ELS4_3ELNS0_20block_scan_algorithmE0ELj4294967295EEENS1_25partition_config_selectorILNS1_17partition_subalgoE4EjNS0_10empty_typeEbEEZZNS1_14partition_implILS8_4ELb0ES6_15HIP_vector_typeIjLj2EENS0_17counting_iteratorIjlEEPS9_SG_NS0_5tupleIJPjSI_NS0_16reverse_iteratorISI_EEEEENSH_IJSG_SG_SG_EEES9_SI_JZNS1_25segmented_radix_sort_implINS0_14default_configELb1EPKsPsPKlPlN2at6native12_GLOBAL__N_18offset_tEEE10hipError_tPvRmT1_PNSt15iterator_traitsIS12_E10value_typeET2_T3_PNS13_IS18_E10value_typeET4_jRbjT5_S1E_jjP12ihipStream_tbEUljE_ZNSN_ISO_Lb1ESQ_SR_ST_SU_SY_EESZ_S10_S11_S12_S16_S17_S18_S1B_S1C_jS1D_jS1E_S1E_jjS1G_bEUljE0_EEESZ_S10_S11_S18_S1C_S1E_T6_T7_T9_mT8_S1G_bDpT10_ENKUlT_T0_E_clISt17integral_constantIbLb0EES1T_IbLb1EEEEDaS1P_S1Q_EUlS1P_E_NS1_11comp_targetILNS1_3genE2ELNS1_11target_archE906ELNS1_3gpuE6ELNS1_3repE0EEENS1_30default_config_static_selectorELNS0_4arch9wavefront6targetE0EEEvS12_,comdat
.Lfunc_end875:
	.size	_ZN7rocprim17ROCPRIM_400000_NS6detail17trampoline_kernelINS0_13select_configILj256ELj13ELNS0_17block_load_methodE3ELS4_3ELS4_3ELNS0_20block_scan_algorithmE0ELj4294967295EEENS1_25partition_config_selectorILNS1_17partition_subalgoE4EjNS0_10empty_typeEbEEZZNS1_14partition_implILS8_4ELb0ES6_15HIP_vector_typeIjLj2EENS0_17counting_iteratorIjlEEPS9_SG_NS0_5tupleIJPjSI_NS0_16reverse_iteratorISI_EEEEENSH_IJSG_SG_SG_EEES9_SI_JZNS1_25segmented_radix_sort_implINS0_14default_configELb1EPKsPsPKlPlN2at6native12_GLOBAL__N_18offset_tEEE10hipError_tPvRmT1_PNSt15iterator_traitsIS12_E10value_typeET2_T3_PNS13_IS18_E10value_typeET4_jRbjT5_S1E_jjP12ihipStream_tbEUljE_ZNSN_ISO_Lb1ESQ_SR_ST_SU_SY_EESZ_S10_S11_S12_S16_S17_S18_S1B_S1C_jS1D_jS1E_S1E_jjS1G_bEUljE0_EEESZ_S10_S11_S18_S1C_S1E_T6_T7_T9_mT8_S1G_bDpT10_ENKUlT_T0_E_clISt17integral_constantIbLb0EES1T_IbLb1EEEEDaS1P_S1Q_EUlS1P_E_NS1_11comp_targetILNS1_3genE2ELNS1_11target_archE906ELNS1_3gpuE6ELNS1_3repE0EEENS1_30default_config_static_selectorELNS0_4arch9wavefront6targetE0EEEvS12_, .Lfunc_end875-_ZN7rocprim17ROCPRIM_400000_NS6detail17trampoline_kernelINS0_13select_configILj256ELj13ELNS0_17block_load_methodE3ELS4_3ELS4_3ELNS0_20block_scan_algorithmE0ELj4294967295EEENS1_25partition_config_selectorILNS1_17partition_subalgoE4EjNS0_10empty_typeEbEEZZNS1_14partition_implILS8_4ELb0ES6_15HIP_vector_typeIjLj2EENS0_17counting_iteratorIjlEEPS9_SG_NS0_5tupleIJPjSI_NS0_16reverse_iteratorISI_EEEEENSH_IJSG_SG_SG_EEES9_SI_JZNS1_25segmented_radix_sort_implINS0_14default_configELb1EPKsPsPKlPlN2at6native12_GLOBAL__N_18offset_tEEE10hipError_tPvRmT1_PNSt15iterator_traitsIS12_E10value_typeET2_T3_PNS13_IS18_E10value_typeET4_jRbjT5_S1E_jjP12ihipStream_tbEUljE_ZNSN_ISO_Lb1ESQ_SR_ST_SU_SY_EESZ_S10_S11_S12_S16_S17_S18_S1B_S1C_jS1D_jS1E_S1E_jjS1G_bEUljE0_EEESZ_S10_S11_S18_S1C_S1E_T6_T7_T9_mT8_S1G_bDpT10_ENKUlT_T0_E_clISt17integral_constantIbLb0EES1T_IbLb1EEEEDaS1P_S1Q_EUlS1P_E_NS1_11comp_targetILNS1_3genE2ELNS1_11target_archE906ELNS1_3gpuE6ELNS1_3repE0EEENS1_30default_config_static_selectorELNS0_4arch9wavefront6targetE0EEEvS12_
                                        ; -- End function
	.set _ZN7rocprim17ROCPRIM_400000_NS6detail17trampoline_kernelINS0_13select_configILj256ELj13ELNS0_17block_load_methodE3ELS4_3ELS4_3ELNS0_20block_scan_algorithmE0ELj4294967295EEENS1_25partition_config_selectorILNS1_17partition_subalgoE4EjNS0_10empty_typeEbEEZZNS1_14partition_implILS8_4ELb0ES6_15HIP_vector_typeIjLj2EENS0_17counting_iteratorIjlEEPS9_SG_NS0_5tupleIJPjSI_NS0_16reverse_iteratorISI_EEEEENSH_IJSG_SG_SG_EEES9_SI_JZNS1_25segmented_radix_sort_implINS0_14default_configELb1EPKsPsPKlPlN2at6native12_GLOBAL__N_18offset_tEEE10hipError_tPvRmT1_PNSt15iterator_traitsIS12_E10value_typeET2_T3_PNS13_IS18_E10value_typeET4_jRbjT5_S1E_jjP12ihipStream_tbEUljE_ZNSN_ISO_Lb1ESQ_SR_ST_SU_SY_EESZ_S10_S11_S12_S16_S17_S18_S1B_S1C_jS1D_jS1E_S1E_jjS1G_bEUljE0_EEESZ_S10_S11_S18_S1C_S1E_T6_T7_T9_mT8_S1G_bDpT10_ENKUlT_T0_E_clISt17integral_constantIbLb0EES1T_IbLb1EEEEDaS1P_S1Q_EUlS1P_E_NS1_11comp_targetILNS1_3genE2ELNS1_11target_archE906ELNS1_3gpuE6ELNS1_3repE0EEENS1_30default_config_static_selectorELNS0_4arch9wavefront6targetE0EEEvS12_.num_vgpr, 0
	.set _ZN7rocprim17ROCPRIM_400000_NS6detail17trampoline_kernelINS0_13select_configILj256ELj13ELNS0_17block_load_methodE3ELS4_3ELS4_3ELNS0_20block_scan_algorithmE0ELj4294967295EEENS1_25partition_config_selectorILNS1_17partition_subalgoE4EjNS0_10empty_typeEbEEZZNS1_14partition_implILS8_4ELb0ES6_15HIP_vector_typeIjLj2EENS0_17counting_iteratorIjlEEPS9_SG_NS0_5tupleIJPjSI_NS0_16reverse_iteratorISI_EEEEENSH_IJSG_SG_SG_EEES9_SI_JZNS1_25segmented_radix_sort_implINS0_14default_configELb1EPKsPsPKlPlN2at6native12_GLOBAL__N_18offset_tEEE10hipError_tPvRmT1_PNSt15iterator_traitsIS12_E10value_typeET2_T3_PNS13_IS18_E10value_typeET4_jRbjT5_S1E_jjP12ihipStream_tbEUljE_ZNSN_ISO_Lb1ESQ_SR_ST_SU_SY_EESZ_S10_S11_S12_S16_S17_S18_S1B_S1C_jS1D_jS1E_S1E_jjS1G_bEUljE0_EEESZ_S10_S11_S18_S1C_S1E_T6_T7_T9_mT8_S1G_bDpT10_ENKUlT_T0_E_clISt17integral_constantIbLb0EES1T_IbLb1EEEEDaS1P_S1Q_EUlS1P_E_NS1_11comp_targetILNS1_3genE2ELNS1_11target_archE906ELNS1_3gpuE6ELNS1_3repE0EEENS1_30default_config_static_selectorELNS0_4arch9wavefront6targetE0EEEvS12_.num_agpr, 0
	.set _ZN7rocprim17ROCPRIM_400000_NS6detail17trampoline_kernelINS0_13select_configILj256ELj13ELNS0_17block_load_methodE3ELS4_3ELS4_3ELNS0_20block_scan_algorithmE0ELj4294967295EEENS1_25partition_config_selectorILNS1_17partition_subalgoE4EjNS0_10empty_typeEbEEZZNS1_14partition_implILS8_4ELb0ES6_15HIP_vector_typeIjLj2EENS0_17counting_iteratorIjlEEPS9_SG_NS0_5tupleIJPjSI_NS0_16reverse_iteratorISI_EEEEENSH_IJSG_SG_SG_EEES9_SI_JZNS1_25segmented_radix_sort_implINS0_14default_configELb1EPKsPsPKlPlN2at6native12_GLOBAL__N_18offset_tEEE10hipError_tPvRmT1_PNSt15iterator_traitsIS12_E10value_typeET2_T3_PNS13_IS18_E10value_typeET4_jRbjT5_S1E_jjP12ihipStream_tbEUljE_ZNSN_ISO_Lb1ESQ_SR_ST_SU_SY_EESZ_S10_S11_S12_S16_S17_S18_S1B_S1C_jS1D_jS1E_S1E_jjS1G_bEUljE0_EEESZ_S10_S11_S18_S1C_S1E_T6_T7_T9_mT8_S1G_bDpT10_ENKUlT_T0_E_clISt17integral_constantIbLb0EES1T_IbLb1EEEEDaS1P_S1Q_EUlS1P_E_NS1_11comp_targetILNS1_3genE2ELNS1_11target_archE906ELNS1_3gpuE6ELNS1_3repE0EEENS1_30default_config_static_selectorELNS0_4arch9wavefront6targetE0EEEvS12_.numbered_sgpr, 0
	.set _ZN7rocprim17ROCPRIM_400000_NS6detail17trampoline_kernelINS0_13select_configILj256ELj13ELNS0_17block_load_methodE3ELS4_3ELS4_3ELNS0_20block_scan_algorithmE0ELj4294967295EEENS1_25partition_config_selectorILNS1_17partition_subalgoE4EjNS0_10empty_typeEbEEZZNS1_14partition_implILS8_4ELb0ES6_15HIP_vector_typeIjLj2EENS0_17counting_iteratorIjlEEPS9_SG_NS0_5tupleIJPjSI_NS0_16reverse_iteratorISI_EEEEENSH_IJSG_SG_SG_EEES9_SI_JZNS1_25segmented_radix_sort_implINS0_14default_configELb1EPKsPsPKlPlN2at6native12_GLOBAL__N_18offset_tEEE10hipError_tPvRmT1_PNSt15iterator_traitsIS12_E10value_typeET2_T3_PNS13_IS18_E10value_typeET4_jRbjT5_S1E_jjP12ihipStream_tbEUljE_ZNSN_ISO_Lb1ESQ_SR_ST_SU_SY_EESZ_S10_S11_S12_S16_S17_S18_S1B_S1C_jS1D_jS1E_S1E_jjS1G_bEUljE0_EEESZ_S10_S11_S18_S1C_S1E_T6_T7_T9_mT8_S1G_bDpT10_ENKUlT_T0_E_clISt17integral_constantIbLb0EES1T_IbLb1EEEEDaS1P_S1Q_EUlS1P_E_NS1_11comp_targetILNS1_3genE2ELNS1_11target_archE906ELNS1_3gpuE6ELNS1_3repE0EEENS1_30default_config_static_selectorELNS0_4arch9wavefront6targetE0EEEvS12_.num_named_barrier, 0
	.set _ZN7rocprim17ROCPRIM_400000_NS6detail17trampoline_kernelINS0_13select_configILj256ELj13ELNS0_17block_load_methodE3ELS4_3ELS4_3ELNS0_20block_scan_algorithmE0ELj4294967295EEENS1_25partition_config_selectorILNS1_17partition_subalgoE4EjNS0_10empty_typeEbEEZZNS1_14partition_implILS8_4ELb0ES6_15HIP_vector_typeIjLj2EENS0_17counting_iteratorIjlEEPS9_SG_NS0_5tupleIJPjSI_NS0_16reverse_iteratorISI_EEEEENSH_IJSG_SG_SG_EEES9_SI_JZNS1_25segmented_radix_sort_implINS0_14default_configELb1EPKsPsPKlPlN2at6native12_GLOBAL__N_18offset_tEEE10hipError_tPvRmT1_PNSt15iterator_traitsIS12_E10value_typeET2_T3_PNS13_IS18_E10value_typeET4_jRbjT5_S1E_jjP12ihipStream_tbEUljE_ZNSN_ISO_Lb1ESQ_SR_ST_SU_SY_EESZ_S10_S11_S12_S16_S17_S18_S1B_S1C_jS1D_jS1E_S1E_jjS1G_bEUljE0_EEESZ_S10_S11_S18_S1C_S1E_T6_T7_T9_mT8_S1G_bDpT10_ENKUlT_T0_E_clISt17integral_constantIbLb0EES1T_IbLb1EEEEDaS1P_S1Q_EUlS1P_E_NS1_11comp_targetILNS1_3genE2ELNS1_11target_archE906ELNS1_3gpuE6ELNS1_3repE0EEENS1_30default_config_static_selectorELNS0_4arch9wavefront6targetE0EEEvS12_.private_seg_size, 0
	.set _ZN7rocprim17ROCPRIM_400000_NS6detail17trampoline_kernelINS0_13select_configILj256ELj13ELNS0_17block_load_methodE3ELS4_3ELS4_3ELNS0_20block_scan_algorithmE0ELj4294967295EEENS1_25partition_config_selectorILNS1_17partition_subalgoE4EjNS0_10empty_typeEbEEZZNS1_14partition_implILS8_4ELb0ES6_15HIP_vector_typeIjLj2EENS0_17counting_iteratorIjlEEPS9_SG_NS0_5tupleIJPjSI_NS0_16reverse_iteratorISI_EEEEENSH_IJSG_SG_SG_EEES9_SI_JZNS1_25segmented_radix_sort_implINS0_14default_configELb1EPKsPsPKlPlN2at6native12_GLOBAL__N_18offset_tEEE10hipError_tPvRmT1_PNSt15iterator_traitsIS12_E10value_typeET2_T3_PNS13_IS18_E10value_typeET4_jRbjT5_S1E_jjP12ihipStream_tbEUljE_ZNSN_ISO_Lb1ESQ_SR_ST_SU_SY_EESZ_S10_S11_S12_S16_S17_S18_S1B_S1C_jS1D_jS1E_S1E_jjS1G_bEUljE0_EEESZ_S10_S11_S18_S1C_S1E_T6_T7_T9_mT8_S1G_bDpT10_ENKUlT_T0_E_clISt17integral_constantIbLb0EES1T_IbLb1EEEEDaS1P_S1Q_EUlS1P_E_NS1_11comp_targetILNS1_3genE2ELNS1_11target_archE906ELNS1_3gpuE6ELNS1_3repE0EEENS1_30default_config_static_selectorELNS0_4arch9wavefront6targetE0EEEvS12_.uses_vcc, 0
	.set _ZN7rocprim17ROCPRIM_400000_NS6detail17trampoline_kernelINS0_13select_configILj256ELj13ELNS0_17block_load_methodE3ELS4_3ELS4_3ELNS0_20block_scan_algorithmE0ELj4294967295EEENS1_25partition_config_selectorILNS1_17partition_subalgoE4EjNS0_10empty_typeEbEEZZNS1_14partition_implILS8_4ELb0ES6_15HIP_vector_typeIjLj2EENS0_17counting_iteratorIjlEEPS9_SG_NS0_5tupleIJPjSI_NS0_16reverse_iteratorISI_EEEEENSH_IJSG_SG_SG_EEES9_SI_JZNS1_25segmented_radix_sort_implINS0_14default_configELb1EPKsPsPKlPlN2at6native12_GLOBAL__N_18offset_tEEE10hipError_tPvRmT1_PNSt15iterator_traitsIS12_E10value_typeET2_T3_PNS13_IS18_E10value_typeET4_jRbjT5_S1E_jjP12ihipStream_tbEUljE_ZNSN_ISO_Lb1ESQ_SR_ST_SU_SY_EESZ_S10_S11_S12_S16_S17_S18_S1B_S1C_jS1D_jS1E_S1E_jjS1G_bEUljE0_EEESZ_S10_S11_S18_S1C_S1E_T6_T7_T9_mT8_S1G_bDpT10_ENKUlT_T0_E_clISt17integral_constantIbLb0EES1T_IbLb1EEEEDaS1P_S1Q_EUlS1P_E_NS1_11comp_targetILNS1_3genE2ELNS1_11target_archE906ELNS1_3gpuE6ELNS1_3repE0EEENS1_30default_config_static_selectorELNS0_4arch9wavefront6targetE0EEEvS12_.uses_flat_scratch, 0
	.set _ZN7rocprim17ROCPRIM_400000_NS6detail17trampoline_kernelINS0_13select_configILj256ELj13ELNS0_17block_load_methodE3ELS4_3ELS4_3ELNS0_20block_scan_algorithmE0ELj4294967295EEENS1_25partition_config_selectorILNS1_17partition_subalgoE4EjNS0_10empty_typeEbEEZZNS1_14partition_implILS8_4ELb0ES6_15HIP_vector_typeIjLj2EENS0_17counting_iteratorIjlEEPS9_SG_NS0_5tupleIJPjSI_NS0_16reverse_iteratorISI_EEEEENSH_IJSG_SG_SG_EEES9_SI_JZNS1_25segmented_radix_sort_implINS0_14default_configELb1EPKsPsPKlPlN2at6native12_GLOBAL__N_18offset_tEEE10hipError_tPvRmT1_PNSt15iterator_traitsIS12_E10value_typeET2_T3_PNS13_IS18_E10value_typeET4_jRbjT5_S1E_jjP12ihipStream_tbEUljE_ZNSN_ISO_Lb1ESQ_SR_ST_SU_SY_EESZ_S10_S11_S12_S16_S17_S18_S1B_S1C_jS1D_jS1E_S1E_jjS1G_bEUljE0_EEESZ_S10_S11_S18_S1C_S1E_T6_T7_T9_mT8_S1G_bDpT10_ENKUlT_T0_E_clISt17integral_constantIbLb0EES1T_IbLb1EEEEDaS1P_S1Q_EUlS1P_E_NS1_11comp_targetILNS1_3genE2ELNS1_11target_archE906ELNS1_3gpuE6ELNS1_3repE0EEENS1_30default_config_static_selectorELNS0_4arch9wavefront6targetE0EEEvS12_.has_dyn_sized_stack, 0
	.set _ZN7rocprim17ROCPRIM_400000_NS6detail17trampoline_kernelINS0_13select_configILj256ELj13ELNS0_17block_load_methodE3ELS4_3ELS4_3ELNS0_20block_scan_algorithmE0ELj4294967295EEENS1_25partition_config_selectorILNS1_17partition_subalgoE4EjNS0_10empty_typeEbEEZZNS1_14partition_implILS8_4ELb0ES6_15HIP_vector_typeIjLj2EENS0_17counting_iteratorIjlEEPS9_SG_NS0_5tupleIJPjSI_NS0_16reverse_iteratorISI_EEEEENSH_IJSG_SG_SG_EEES9_SI_JZNS1_25segmented_radix_sort_implINS0_14default_configELb1EPKsPsPKlPlN2at6native12_GLOBAL__N_18offset_tEEE10hipError_tPvRmT1_PNSt15iterator_traitsIS12_E10value_typeET2_T3_PNS13_IS18_E10value_typeET4_jRbjT5_S1E_jjP12ihipStream_tbEUljE_ZNSN_ISO_Lb1ESQ_SR_ST_SU_SY_EESZ_S10_S11_S12_S16_S17_S18_S1B_S1C_jS1D_jS1E_S1E_jjS1G_bEUljE0_EEESZ_S10_S11_S18_S1C_S1E_T6_T7_T9_mT8_S1G_bDpT10_ENKUlT_T0_E_clISt17integral_constantIbLb0EES1T_IbLb1EEEEDaS1P_S1Q_EUlS1P_E_NS1_11comp_targetILNS1_3genE2ELNS1_11target_archE906ELNS1_3gpuE6ELNS1_3repE0EEENS1_30default_config_static_selectorELNS0_4arch9wavefront6targetE0EEEvS12_.has_recursion, 0
	.set _ZN7rocprim17ROCPRIM_400000_NS6detail17trampoline_kernelINS0_13select_configILj256ELj13ELNS0_17block_load_methodE3ELS4_3ELS4_3ELNS0_20block_scan_algorithmE0ELj4294967295EEENS1_25partition_config_selectorILNS1_17partition_subalgoE4EjNS0_10empty_typeEbEEZZNS1_14partition_implILS8_4ELb0ES6_15HIP_vector_typeIjLj2EENS0_17counting_iteratorIjlEEPS9_SG_NS0_5tupleIJPjSI_NS0_16reverse_iteratorISI_EEEEENSH_IJSG_SG_SG_EEES9_SI_JZNS1_25segmented_radix_sort_implINS0_14default_configELb1EPKsPsPKlPlN2at6native12_GLOBAL__N_18offset_tEEE10hipError_tPvRmT1_PNSt15iterator_traitsIS12_E10value_typeET2_T3_PNS13_IS18_E10value_typeET4_jRbjT5_S1E_jjP12ihipStream_tbEUljE_ZNSN_ISO_Lb1ESQ_SR_ST_SU_SY_EESZ_S10_S11_S12_S16_S17_S18_S1B_S1C_jS1D_jS1E_S1E_jjS1G_bEUljE0_EEESZ_S10_S11_S18_S1C_S1E_T6_T7_T9_mT8_S1G_bDpT10_ENKUlT_T0_E_clISt17integral_constantIbLb0EES1T_IbLb1EEEEDaS1P_S1Q_EUlS1P_E_NS1_11comp_targetILNS1_3genE2ELNS1_11target_archE906ELNS1_3gpuE6ELNS1_3repE0EEENS1_30default_config_static_selectorELNS0_4arch9wavefront6targetE0EEEvS12_.has_indirect_call, 0
	.section	.AMDGPU.csdata,"",@progbits
; Kernel info:
; codeLenInByte = 0
; TotalNumSgprs: 0
; NumVgprs: 0
; ScratchSize: 0
; MemoryBound: 0
; FloatMode: 240
; IeeeMode: 1
; LDSByteSize: 0 bytes/workgroup (compile time only)
; SGPRBlocks: 0
; VGPRBlocks: 0
; NumSGPRsForWavesPerEU: 1
; NumVGPRsForWavesPerEU: 1
; Occupancy: 16
; WaveLimiterHint : 0
; COMPUTE_PGM_RSRC2:SCRATCH_EN: 0
; COMPUTE_PGM_RSRC2:USER_SGPR: 2
; COMPUTE_PGM_RSRC2:TRAP_HANDLER: 0
; COMPUTE_PGM_RSRC2:TGID_X_EN: 1
; COMPUTE_PGM_RSRC2:TGID_Y_EN: 0
; COMPUTE_PGM_RSRC2:TGID_Z_EN: 0
; COMPUTE_PGM_RSRC2:TIDIG_COMP_CNT: 0
	.section	.text._ZN7rocprim17ROCPRIM_400000_NS6detail17trampoline_kernelINS0_13select_configILj256ELj13ELNS0_17block_load_methodE3ELS4_3ELS4_3ELNS0_20block_scan_algorithmE0ELj4294967295EEENS1_25partition_config_selectorILNS1_17partition_subalgoE4EjNS0_10empty_typeEbEEZZNS1_14partition_implILS8_4ELb0ES6_15HIP_vector_typeIjLj2EENS0_17counting_iteratorIjlEEPS9_SG_NS0_5tupleIJPjSI_NS0_16reverse_iteratorISI_EEEEENSH_IJSG_SG_SG_EEES9_SI_JZNS1_25segmented_radix_sort_implINS0_14default_configELb1EPKsPsPKlPlN2at6native12_GLOBAL__N_18offset_tEEE10hipError_tPvRmT1_PNSt15iterator_traitsIS12_E10value_typeET2_T3_PNS13_IS18_E10value_typeET4_jRbjT5_S1E_jjP12ihipStream_tbEUljE_ZNSN_ISO_Lb1ESQ_SR_ST_SU_SY_EESZ_S10_S11_S12_S16_S17_S18_S1B_S1C_jS1D_jS1E_S1E_jjS1G_bEUljE0_EEESZ_S10_S11_S18_S1C_S1E_T6_T7_T9_mT8_S1G_bDpT10_ENKUlT_T0_E_clISt17integral_constantIbLb0EES1T_IbLb1EEEEDaS1P_S1Q_EUlS1P_E_NS1_11comp_targetILNS1_3genE10ELNS1_11target_archE1200ELNS1_3gpuE4ELNS1_3repE0EEENS1_30default_config_static_selectorELNS0_4arch9wavefront6targetE0EEEvS12_,"axG",@progbits,_ZN7rocprim17ROCPRIM_400000_NS6detail17trampoline_kernelINS0_13select_configILj256ELj13ELNS0_17block_load_methodE3ELS4_3ELS4_3ELNS0_20block_scan_algorithmE0ELj4294967295EEENS1_25partition_config_selectorILNS1_17partition_subalgoE4EjNS0_10empty_typeEbEEZZNS1_14partition_implILS8_4ELb0ES6_15HIP_vector_typeIjLj2EENS0_17counting_iteratorIjlEEPS9_SG_NS0_5tupleIJPjSI_NS0_16reverse_iteratorISI_EEEEENSH_IJSG_SG_SG_EEES9_SI_JZNS1_25segmented_radix_sort_implINS0_14default_configELb1EPKsPsPKlPlN2at6native12_GLOBAL__N_18offset_tEEE10hipError_tPvRmT1_PNSt15iterator_traitsIS12_E10value_typeET2_T3_PNS13_IS18_E10value_typeET4_jRbjT5_S1E_jjP12ihipStream_tbEUljE_ZNSN_ISO_Lb1ESQ_SR_ST_SU_SY_EESZ_S10_S11_S12_S16_S17_S18_S1B_S1C_jS1D_jS1E_S1E_jjS1G_bEUljE0_EEESZ_S10_S11_S18_S1C_S1E_T6_T7_T9_mT8_S1G_bDpT10_ENKUlT_T0_E_clISt17integral_constantIbLb0EES1T_IbLb1EEEEDaS1P_S1Q_EUlS1P_E_NS1_11comp_targetILNS1_3genE10ELNS1_11target_archE1200ELNS1_3gpuE4ELNS1_3repE0EEENS1_30default_config_static_selectorELNS0_4arch9wavefront6targetE0EEEvS12_,comdat
	.globl	_ZN7rocprim17ROCPRIM_400000_NS6detail17trampoline_kernelINS0_13select_configILj256ELj13ELNS0_17block_load_methodE3ELS4_3ELS4_3ELNS0_20block_scan_algorithmE0ELj4294967295EEENS1_25partition_config_selectorILNS1_17partition_subalgoE4EjNS0_10empty_typeEbEEZZNS1_14partition_implILS8_4ELb0ES6_15HIP_vector_typeIjLj2EENS0_17counting_iteratorIjlEEPS9_SG_NS0_5tupleIJPjSI_NS0_16reverse_iteratorISI_EEEEENSH_IJSG_SG_SG_EEES9_SI_JZNS1_25segmented_radix_sort_implINS0_14default_configELb1EPKsPsPKlPlN2at6native12_GLOBAL__N_18offset_tEEE10hipError_tPvRmT1_PNSt15iterator_traitsIS12_E10value_typeET2_T3_PNS13_IS18_E10value_typeET4_jRbjT5_S1E_jjP12ihipStream_tbEUljE_ZNSN_ISO_Lb1ESQ_SR_ST_SU_SY_EESZ_S10_S11_S12_S16_S17_S18_S1B_S1C_jS1D_jS1E_S1E_jjS1G_bEUljE0_EEESZ_S10_S11_S18_S1C_S1E_T6_T7_T9_mT8_S1G_bDpT10_ENKUlT_T0_E_clISt17integral_constantIbLb0EES1T_IbLb1EEEEDaS1P_S1Q_EUlS1P_E_NS1_11comp_targetILNS1_3genE10ELNS1_11target_archE1200ELNS1_3gpuE4ELNS1_3repE0EEENS1_30default_config_static_selectorELNS0_4arch9wavefront6targetE0EEEvS12_ ; -- Begin function _ZN7rocprim17ROCPRIM_400000_NS6detail17trampoline_kernelINS0_13select_configILj256ELj13ELNS0_17block_load_methodE3ELS4_3ELS4_3ELNS0_20block_scan_algorithmE0ELj4294967295EEENS1_25partition_config_selectorILNS1_17partition_subalgoE4EjNS0_10empty_typeEbEEZZNS1_14partition_implILS8_4ELb0ES6_15HIP_vector_typeIjLj2EENS0_17counting_iteratorIjlEEPS9_SG_NS0_5tupleIJPjSI_NS0_16reverse_iteratorISI_EEEEENSH_IJSG_SG_SG_EEES9_SI_JZNS1_25segmented_radix_sort_implINS0_14default_configELb1EPKsPsPKlPlN2at6native12_GLOBAL__N_18offset_tEEE10hipError_tPvRmT1_PNSt15iterator_traitsIS12_E10value_typeET2_T3_PNS13_IS18_E10value_typeET4_jRbjT5_S1E_jjP12ihipStream_tbEUljE_ZNSN_ISO_Lb1ESQ_SR_ST_SU_SY_EESZ_S10_S11_S12_S16_S17_S18_S1B_S1C_jS1D_jS1E_S1E_jjS1G_bEUljE0_EEESZ_S10_S11_S18_S1C_S1E_T6_T7_T9_mT8_S1G_bDpT10_ENKUlT_T0_E_clISt17integral_constantIbLb0EES1T_IbLb1EEEEDaS1P_S1Q_EUlS1P_E_NS1_11comp_targetILNS1_3genE10ELNS1_11target_archE1200ELNS1_3gpuE4ELNS1_3repE0EEENS1_30default_config_static_selectorELNS0_4arch9wavefront6targetE0EEEvS12_
	.p2align	8
	.type	_ZN7rocprim17ROCPRIM_400000_NS6detail17trampoline_kernelINS0_13select_configILj256ELj13ELNS0_17block_load_methodE3ELS4_3ELS4_3ELNS0_20block_scan_algorithmE0ELj4294967295EEENS1_25partition_config_selectorILNS1_17partition_subalgoE4EjNS0_10empty_typeEbEEZZNS1_14partition_implILS8_4ELb0ES6_15HIP_vector_typeIjLj2EENS0_17counting_iteratorIjlEEPS9_SG_NS0_5tupleIJPjSI_NS0_16reverse_iteratorISI_EEEEENSH_IJSG_SG_SG_EEES9_SI_JZNS1_25segmented_radix_sort_implINS0_14default_configELb1EPKsPsPKlPlN2at6native12_GLOBAL__N_18offset_tEEE10hipError_tPvRmT1_PNSt15iterator_traitsIS12_E10value_typeET2_T3_PNS13_IS18_E10value_typeET4_jRbjT5_S1E_jjP12ihipStream_tbEUljE_ZNSN_ISO_Lb1ESQ_SR_ST_SU_SY_EESZ_S10_S11_S12_S16_S17_S18_S1B_S1C_jS1D_jS1E_S1E_jjS1G_bEUljE0_EEESZ_S10_S11_S18_S1C_S1E_T6_T7_T9_mT8_S1G_bDpT10_ENKUlT_T0_E_clISt17integral_constantIbLb0EES1T_IbLb1EEEEDaS1P_S1Q_EUlS1P_E_NS1_11comp_targetILNS1_3genE10ELNS1_11target_archE1200ELNS1_3gpuE4ELNS1_3repE0EEENS1_30default_config_static_selectorELNS0_4arch9wavefront6targetE0EEEvS12_,@function
_ZN7rocprim17ROCPRIM_400000_NS6detail17trampoline_kernelINS0_13select_configILj256ELj13ELNS0_17block_load_methodE3ELS4_3ELS4_3ELNS0_20block_scan_algorithmE0ELj4294967295EEENS1_25partition_config_selectorILNS1_17partition_subalgoE4EjNS0_10empty_typeEbEEZZNS1_14partition_implILS8_4ELb0ES6_15HIP_vector_typeIjLj2EENS0_17counting_iteratorIjlEEPS9_SG_NS0_5tupleIJPjSI_NS0_16reverse_iteratorISI_EEEEENSH_IJSG_SG_SG_EEES9_SI_JZNS1_25segmented_radix_sort_implINS0_14default_configELb1EPKsPsPKlPlN2at6native12_GLOBAL__N_18offset_tEEE10hipError_tPvRmT1_PNSt15iterator_traitsIS12_E10value_typeET2_T3_PNS13_IS18_E10value_typeET4_jRbjT5_S1E_jjP12ihipStream_tbEUljE_ZNSN_ISO_Lb1ESQ_SR_ST_SU_SY_EESZ_S10_S11_S12_S16_S17_S18_S1B_S1C_jS1D_jS1E_S1E_jjS1G_bEUljE0_EEESZ_S10_S11_S18_S1C_S1E_T6_T7_T9_mT8_S1G_bDpT10_ENKUlT_T0_E_clISt17integral_constantIbLb0EES1T_IbLb1EEEEDaS1P_S1Q_EUlS1P_E_NS1_11comp_targetILNS1_3genE10ELNS1_11target_archE1200ELNS1_3gpuE4ELNS1_3repE0EEENS1_30default_config_static_selectorELNS0_4arch9wavefront6targetE0EEEvS12_: ; @_ZN7rocprim17ROCPRIM_400000_NS6detail17trampoline_kernelINS0_13select_configILj256ELj13ELNS0_17block_load_methodE3ELS4_3ELS4_3ELNS0_20block_scan_algorithmE0ELj4294967295EEENS1_25partition_config_selectorILNS1_17partition_subalgoE4EjNS0_10empty_typeEbEEZZNS1_14partition_implILS8_4ELb0ES6_15HIP_vector_typeIjLj2EENS0_17counting_iteratorIjlEEPS9_SG_NS0_5tupleIJPjSI_NS0_16reverse_iteratorISI_EEEEENSH_IJSG_SG_SG_EEES9_SI_JZNS1_25segmented_radix_sort_implINS0_14default_configELb1EPKsPsPKlPlN2at6native12_GLOBAL__N_18offset_tEEE10hipError_tPvRmT1_PNSt15iterator_traitsIS12_E10value_typeET2_T3_PNS13_IS18_E10value_typeET4_jRbjT5_S1E_jjP12ihipStream_tbEUljE_ZNSN_ISO_Lb1ESQ_SR_ST_SU_SY_EESZ_S10_S11_S12_S16_S17_S18_S1B_S1C_jS1D_jS1E_S1E_jjS1G_bEUljE0_EEESZ_S10_S11_S18_S1C_S1E_T6_T7_T9_mT8_S1G_bDpT10_ENKUlT_T0_E_clISt17integral_constantIbLb0EES1T_IbLb1EEEEDaS1P_S1Q_EUlS1P_E_NS1_11comp_targetILNS1_3genE10ELNS1_11target_archE1200ELNS1_3gpuE4ELNS1_3repE0EEENS1_30default_config_static_selectorELNS0_4arch9wavefront6targetE0EEEvS12_
; %bb.0:
	s_clause 0x7
	s_load_b64 s[34:35], s[0:1], 0x10
	s_load_b128 s[28:31], s[0:1], 0x28
	s_load_b64 s[14:15], s[0:1], 0x38
	s_load_b128 s[24:27], s[0:1], 0x58
	s_load_b64 s[4:5], s[0:1], 0x68
	s_load_b64 s[36:37], s[0:1], 0x78
	;; [unrolled: 1-line block ×3, first 2 shown]
	s_load_b256 s[16:23], s[0:1], 0x90
	v_cmp_eq_u32_e64 s2, 0, v0
	s_and_saveexec_b32 s3, s2
	s_cbranch_execz .LBB876_4
; %bb.1:
	s_mov_b32 s7, exec_lo
	s_mov_b32 s6, exec_lo
	v_mbcnt_lo_u32_b32 v1, s7, 0
                                        ; implicit-def: $vgpr2
	s_delay_alu instid0(VALU_DEP_1)
	v_cmpx_eq_u32_e32 0, v1
	s_cbranch_execz .LBB876_3
; %bb.2:
	s_load_b64 s[8:9], s[0:1], 0x88
	s_bcnt1_i32_b32 s7, s7
	s_wait_alu 0xfffe
	v_dual_mov_b32 v2, 0 :: v_dual_mov_b32 v3, s7
	s_wait_kmcnt 0x0
	global_atomic_add_u32 v2, v2, v3, s[8:9] th:TH_ATOMIC_RETURN scope:SCOPE_DEV
.LBB876_3:
	s_or_b32 exec_lo, exec_lo, s6
	s_wait_loadcnt 0x0
	v_readfirstlane_b32 s6, v2
	s_wait_alu 0xf1ff
	s_delay_alu instid0(VALU_DEP_1)
	v_dual_mov_b32 v2, 0 :: v_dual_add_nc_u32 v1, s6, v1
	ds_store_b32 v2, v1
.LBB876_4:
	s_or_b32 exec_lo, exec_lo, s3
	v_mov_b32_e32 v1, 0
	s_clause 0x1
	s_load_b32 s3, s[0:1], 0x8
	s_load_b32 s0, s[0:1], 0x80
	s_wait_dscnt 0x0
	s_barrier_signal -1
	s_barrier_wait -1
	global_inv scope:SCOPE_SE
	ds_load_b32 v5, v1
	s_wait_loadcnt_dscnt 0x0
	s_barrier_signal -1
	s_barrier_wait -1
	global_inv scope:SCOPE_SE
	s_wait_kmcnt 0x0
	global_load_b128 v[1:4], v1, s[26:27]
	s_mov_b32 s1, 0
	s_add_co_i32 s3, s3, s34
	s_add_co_i32 s6, s0, -1
	s_mulk_i32 s0, 0xd00
	s_delay_alu instid0(SALU_CYCLE_1)
	s_add_co_i32 s7, s0, s34
	s_add_nc_u64 s[0:1], s[34:35], s[0:1]
	v_readfirstlane_b32 s33, v5
	v_cmp_gt_u64_e64 s0, s[4:5], s[0:1]
	s_wait_alu 0xfffe
	s_sub_co_i32 s27, s4, s7
	v_cmp_ne_u32_e32 vcc_lo, s6, v5
	v_mul_lo_u32 v43, 0xd00, v5
	s_addk_co_i32 s27, 0xd00
	s_cmp_eq_u32 s33, s6
	s_mov_b32 s4, -1
	s_cselect_b32 s26, -1, 0
	s_or_b32 s1, s0, vcc_lo
	s_wait_alu 0xfffe
	s_and_b32 vcc_lo, exec_lo, s1
	s_cbranch_vccz .LBB876_6
; %bb.5:
	v_add3_u32 v5, v43, s3, v0
	v_lshlrev_b32_e32 v14, 2, v0
	s_mov_b32 s4, 0
	s_delay_alu instid0(VALU_DEP_2)
	v_add_nc_u32_e32 v6, 0x100, v5
	v_add_nc_u32_e32 v7, 0x200, v5
	;; [unrolled: 1-line block ×12, first 2 shown]
	ds_store_2addr_stride64_b32 v14, v5, v6 offset1:4
	ds_store_2addr_stride64_b32 v14, v7, v8 offset0:8 offset1:12
	ds_store_2addr_stride64_b32 v14, v9, v10 offset0:16 offset1:20
	ds_store_2addr_stride64_b32 v14, v11, v12 offset0:24 offset1:28
	ds_store_2addr_stride64_b32 v14, v13, v15 offset0:32 offset1:36
	ds_store_2addr_stride64_b32 v14, v16, v17 offset0:40 offset1:44
	ds_store_b32 v14, v18 offset:12288
	s_wait_loadcnt_dscnt 0x0
	s_barrier_signal -1
	s_barrier_wait -1
.LBB876_6:
	v_cmp_gt_u32_e64 s0, s27, v0
	v_or_b32_e32 v42, 0x100, v0
	v_or_b32_e32 v41, 0x200, v0
	;; [unrolled: 1-line block ×12, first 2 shown]
	s_wait_alu 0xfffe
	s_and_not1_b32 vcc_lo, exec_lo, s4
	s_cbranch_vccnz .LBB876_8
; %bb.7:
	v_add_nc_u32_e32 v5, s3, v43
	v_cmp_gt_u32_e32 vcc_lo, s27, v42
	s_delay_alu instid0(VALU_DEP_2) | instskip(NEXT) | instid1(VALU_DEP_1)
	v_add_nc_u32_e32 v7, v5, v42
	v_dual_cndmask_b32 v7, 0, v7 :: v_dual_add_nc_u32 v8, v5, v41
	v_cmp_gt_u32_e32 vcc_lo, s27, v41
	s_wait_alu 0xfffd
	s_delay_alu instid0(VALU_DEP_2)
	v_cndmask_b32_e32 v8, 0, v8, vcc_lo
	v_cmp_gt_u32_e32 vcc_lo, s27, v40
	v_add_nc_u32_e32 v17, v5, v32
	v_add_nc_u32_e32 v14, v5, v35
	;; [unrolled: 1-line block ×9, first 2 shown]
	s_wait_alu 0xfffd
	v_cndmask_b32_e32 v9, 0, v9, vcc_lo
	v_cmp_gt_u32_e32 vcc_lo, s27, v39
	v_cndmask_b32_e64 v6, 0, v6, s0
	s_wait_alu 0xfffd
	v_cndmask_b32_e32 v10, 0, v10, vcc_lo
	v_cmp_gt_u32_e32 vcc_lo, s27, v38
	v_add_nc_u32_e32 v12, v5, v37
	v_add_nc_u32_e32 v5, v5, v31
	s_wait_alu 0xfffd
	v_cndmask_b32_e32 v11, 0, v11, vcc_lo
	v_cmp_gt_u32_e32 vcc_lo, s27, v37
	s_wait_alu 0xfffd
	v_cndmask_b32_e32 v12, 0, v12, vcc_lo
	v_cmp_gt_u32_e32 vcc_lo, s27, v36
	;; [unrolled: 3-line block ×7, first 2 shown]
	s_wait_alu 0xfffd
	v_dual_cndmask_b32 v5, 0, v5 :: v_dual_lshlrev_b32 v18, 2, v0
	ds_store_2addr_stride64_b32 v18, v6, v7 offset1:4
	ds_store_2addr_stride64_b32 v18, v8, v9 offset0:8 offset1:12
	ds_store_2addr_stride64_b32 v18, v10, v11 offset0:16 offset1:20
	ds_store_2addr_stride64_b32 v18, v12, v13 offset0:24 offset1:28
	ds_store_2addr_stride64_b32 v18, v14, v15 offset0:32 offset1:36
	ds_store_2addr_stride64_b32 v18, v16, v17 offset0:40 offset1:44
	ds_store_b32 v18, v5 offset:12288
	s_wait_loadcnt_dscnt 0x0
	s_barrier_signal -1
	s_barrier_wait -1
.LBB876_8:
	v_mul_u32_u24_e32 v46, 13, v0
	s_wait_loadcnt 0x0
	global_inv scope:SCOPE_SE
	v_cndmask_b32_e64 v44, 0, 1, s1
	s_and_not1_b32 vcc_lo, exec_lo, s1
	v_lshlrev_b32_e32 v5, 2, v46
	ds_load_2addr_b32 v[23:24], v5 offset1:1
	ds_load_2addr_b32 v[21:22], v5 offset0:2 offset1:3
	ds_load_2addr_b32 v[19:20], v5 offset0:4 offset1:5
	;; [unrolled: 1-line block ×5, first 2 shown]
	ds_load_b32 v45, v5 offset:48
	s_wait_loadcnt_dscnt 0x0
	s_barrier_signal -1
	s_barrier_wait -1
	global_inv scope:SCOPE_SE
	s_wait_alu 0xfffe
	s_cbranch_vccnz .LBB876_36
; %bb.9:
	v_add_nc_u32_e32 v5, s17, v23
	v_add_nc_u32_e32 v6, s19, v23
	s_mov_b32 s41, 0
	s_mov_b32 s40, 0
	s_mov_b32 s1, exec_lo
	v_mul_lo_u32 v5, v5, s16
	v_mul_lo_u32 v6, v6, s18
	s_delay_alu instid0(VALU_DEP_1) | instskip(NEXT) | instid1(VALU_DEP_1)
	v_sub_nc_u32_e32 v5, v5, v6
	v_cmp_lt_u32_e32 vcc_lo, s20, v5
	v_cmpx_ge_u32_e64 s20, v5
	s_cbranch_execz .LBB876_11
; %bb.10:
	v_add_nc_u32_e32 v5, s22, v23
	v_add_nc_u32_e32 v6, s38, v23
	s_delay_alu instid0(VALU_DEP_2) | instskip(NEXT) | instid1(VALU_DEP_2)
	v_mul_lo_u32 v5, v5, s21
	v_mul_lo_u32 v6, v6, s23
	s_delay_alu instid0(VALU_DEP_1) | instskip(NEXT) | instid1(VALU_DEP_1)
	v_sub_nc_u32_e32 v5, v5, v6
	v_cmp_lt_u32_e64 s0, s39, v5
	s_and_b32 s40, s0, exec_lo
.LBB876_11:
	s_wait_alu 0xfffe
	s_or_b32 exec_lo, exec_lo, s1
	v_add_nc_u32_e32 v5, s17, v24
	v_add_nc_u32_e32 v6, s19, v24
	s_mov_b32 s3, exec_lo
	s_delay_alu instid0(VALU_DEP_2) | instskip(NEXT) | instid1(VALU_DEP_2)
	v_mul_lo_u32 v5, v5, s16
	v_mul_lo_u32 v6, v6, s18
	s_delay_alu instid0(VALU_DEP_1) | instskip(NEXT) | instid1(VALU_DEP_1)
	v_sub_nc_u32_e32 v5, v5, v6
	v_cmp_lt_u32_e64 s0, s20, v5
	v_cmpx_ge_u32_e64 s20, v5
	s_cbranch_execz .LBB876_13
; %bb.12:
	v_add_nc_u32_e32 v5, s22, v24
	v_add_nc_u32_e32 v6, s38, v24
	s_delay_alu instid0(VALU_DEP_2) | instskip(NEXT) | instid1(VALU_DEP_2)
	v_mul_lo_u32 v5, v5, s21
	v_mul_lo_u32 v6, v6, s23
	s_delay_alu instid0(VALU_DEP_1) | instskip(NEXT) | instid1(VALU_DEP_1)
	v_sub_nc_u32_e32 v5, v5, v6
	v_cmp_lt_u32_e64 s1, s39, v5
	s_and_b32 s41, s1, exec_lo
.LBB876_13:
	s_wait_alu 0xfffe
	s_or_b32 exec_lo, exec_lo, s3
	v_add_nc_u32_e32 v5, s17, v21
	v_add_nc_u32_e32 v6, s19, v21
	s_mov_b32 s43, 0
	s_mov_b32 s42, 0
	s_mov_b32 s4, exec_lo
	v_mul_lo_u32 v5, v5, s16
	v_mul_lo_u32 v6, v6, s18
	s_delay_alu instid0(VALU_DEP_1) | instskip(NEXT) | instid1(VALU_DEP_1)
	v_sub_nc_u32_e32 v5, v5, v6
	v_cmp_lt_u32_e64 s1, s20, v5
	v_cmpx_ge_u32_e64 s20, v5
	s_cbranch_execz .LBB876_15
; %bb.14:
	v_add_nc_u32_e32 v5, s22, v21
	v_add_nc_u32_e32 v6, s38, v21
	s_delay_alu instid0(VALU_DEP_2) | instskip(NEXT) | instid1(VALU_DEP_2)
	v_mul_lo_u32 v5, v5, s21
	v_mul_lo_u32 v6, v6, s23
	s_delay_alu instid0(VALU_DEP_1) | instskip(NEXT) | instid1(VALU_DEP_1)
	v_sub_nc_u32_e32 v5, v5, v6
	v_cmp_lt_u32_e64 s3, s39, v5
	s_and_b32 s42, s3, exec_lo
.LBB876_15:
	s_wait_alu 0xfffe
	s_or_b32 exec_lo, exec_lo, s4
	v_add_nc_u32_e32 v5, s17, v22
	v_add_nc_u32_e32 v6, s19, v22
	s_mov_b32 s5, exec_lo
	s_delay_alu instid0(VALU_DEP_2) | instskip(NEXT) | instid1(VALU_DEP_2)
	v_mul_lo_u32 v5, v5, s16
	v_mul_lo_u32 v6, v6, s18
	s_delay_alu instid0(VALU_DEP_1) | instskip(NEXT) | instid1(VALU_DEP_1)
	v_sub_nc_u32_e32 v5, v5, v6
	v_cmp_lt_u32_e64 s3, s20, v5
	v_cmpx_ge_u32_e64 s20, v5
	s_cbranch_execz .LBB876_17
; %bb.16:
	v_add_nc_u32_e32 v5, s22, v22
	v_add_nc_u32_e32 v6, s38, v22
	s_delay_alu instid0(VALU_DEP_2) | instskip(NEXT) | instid1(VALU_DEP_2)
	v_mul_lo_u32 v5, v5, s21
	v_mul_lo_u32 v6, v6, s23
	s_delay_alu instid0(VALU_DEP_1) | instskip(NEXT) | instid1(VALU_DEP_1)
	v_sub_nc_u32_e32 v5, v5, v6
	v_cmp_lt_u32_e64 s4, s39, v5
	s_and_b32 s43, s4, exec_lo
.LBB876_17:
	s_wait_alu 0xfffe
	s_or_b32 exec_lo, exec_lo, s5
	v_add_nc_u32_e32 v5, s17, v19
	v_add_nc_u32_e32 v6, s19, v19
	s_mov_b32 s45, 0
	s_mov_b32 s44, 0
	s_mov_b32 s6, exec_lo
	v_mul_lo_u32 v5, v5, s16
	v_mul_lo_u32 v6, v6, s18
	s_delay_alu instid0(VALU_DEP_1) | instskip(NEXT) | instid1(VALU_DEP_1)
	v_sub_nc_u32_e32 v5, v5, v6
	v_cmp_lt_u32_e64 s4, s20, v5
	;; [unrolled: 49-line block ×3, first 2 shown]
	v_cmpx_ge_u32_e64 s20, v5
	s_cbranch_execz .LBB876_23
; %bb.22:
	v_add_nc_u32_e32 v5, s22, v17
	v_add_nc_u32_e32 v6, s38, v17
	s_delay_alu instid0(VALU_DEP_2) | instskip(NEXT) | instid1(VALU_DEP_2)
	v_mul_lo_u32 v5, v5, s21
	v_mul_lo_u32 v6, v6, s23
	s_delay_alu instid0(VALU_DEP_1) | instskip(NEXT) | instid1(VALU_DEP_1)
	v_sub_nc_u32_e32 v5, v5, v6
	v_cmp_lt_u32_e64 s7, s39, v5
	s_and_b32 s46, s7, exec_lo
.LBB876_23:
	s_or_b32 exec_lo, exec_lo, s8
	v_add_nc_u32_e32 v5, s17, v18
	v_add_nc_u32_e32 v6, s19, v18
	s_mov_b32 s9, exec_lo
	s_delay_alu instid0(VALU_DEP_2) | instskip(NEXT) | instid1(VALU_DEP_2)
	v_mul_lo_u32 v5, v5, s16
	v_mul_lo_u32 v6, v6, s18
	s_delay_alu instid0(VALU_DEP_1) | instskip(NEXT) | instid1(VALU_DEP_1)
	v_sub_nc_u32_e32 v5, v5, v6
	v_cmp_lt_u32_e64 s7, s20, v5
	v_cmpx_ge_u32_e64 s20, v5
	s_cbranch_execz .LBB876_25
; %bb.24:
	v_add_nc_u32_e32 v5, s22, v18
	v_add_nc_u32_e32 v6, s38, v18
	s_delay_alu instid0(VALU_DEP_2) | instskip(NEXT) | instid1(VALU_DEP_2)
	v_mul_lo_u32 v5, v5, s21
	v_mul_lo_u32 v6, v6, s23
	s_delay_alu instid0(VALU_DEP_1) | instskip(NEXT) | instid1(VALU_DEP_1)
	v_sub_nc_u32_e32 v5, v5, v6
	v_cmp_lt_u32_e64 s8, s39, v5
	s_and_b32 s47, s8, exec_lo
.LBB876_25:
	s_or_b32 exec_lo, exec_lo, s9
	v_add_nc_u32_e32 v5, s17, v15
	v_add_nc_u32_e32 v6, s19, v15
	s_mov_b32 s50, 0
	s_mov_b32 s49, 0
	s_mov_b32 s10, exec_lo
	v_mul_lo_u32 v5, v5, s16
	v_mul_lo_u32 v6, v6, s18
	s_delay_alu instid0(VALU_DEP_1) | instskip(NEXT) | instid1(VALU_DEP_1)
	v_sub_nc_u32_e32 v5, v5, v6
	v_cmp_lt_u32_e64 s8, s20, v5
	v_cmpx_ge_u32_e64 s20, v5
	s_cbranch_execz .LBB876_27
; %bb.26:
	v_add_nc_u32_e32 v5, s22, v15
	v_add_nc_u32_e32 v6, s38, v15
	s_delay_alu instid0(VALU_DEP_2) | instskip(NEXT) | instid1(VALU_DEP_2)
	v_mul_lo_u32 v5, v5, s21
	v_mul_lo_u32 v6, v6, s23
	s_delay_alu instid0(VALU_DEP_1) | instskip(NEXT) | instid1(VALU_DEP_1)
	v_sub_nc_u32_e32 v5, v5, v6
	v_cmp_lt_u32_e64 s9, s39, v5
	s_and_b32 s49, s9, exec_lo
.LBB876_27:
	s_or_b32 exec_lo, exec_lo, s10
	v_add_nc_u32_e32 v5, s17, v16
	v_add_nc_u32_e32 v6, s19, v16
	s_mov_b32 s11, exec_lo
	s_delay_alu instid0(VALU_DEP_2) | instskip(NEXT) | instid1(VALU_DEP_2)
	v_mul_lo_u32 v5, v5, s16
	v_mul_lo_u32 v6, v6, s18
	s_delay_alu instid0(VALU_DEP_1) | instskip(NEXT) | instid1(VALU_DEP_1)
	v_sub_nc_u32_e32 v5, v5, v6
	v_cmp_lt_u32_e64 s9, s20, v5
	v_cmpx_ge_u32_e64 s20, v5
	s_cbranch_execz .LBB876_29
; %bb.28:
	v_add_nc_u32_e32 v5, s22, v16
	v_add_nc_u32_e32 v6, s38, v16
	s_delay_alu instid0(VALU_DEP_2) | instskip(NEXT) | instid1(VALU_DEP_2)
	v_mul_lo_u32 v5, v5, s21
	v_mul_lo_u32 v6, v6, s23
	s_delay_alu instid0(VALU_DEP_1) | instskip(NEXT) | instid1(VALU_DEP_1)
	v_sub_nc_u32_e32 v5, v5, v6
	v_cmp_lt_u32_e64 s10, s39, v5
	s_and_b32 s50, s10, exec_lo
.LBB876_29:
	s_or_b32 exec_lo, exec_lo, s11
	v_add_nc_u32_e32 v5, s17, v13
	v_add_nc_u32_e32 v6, s19, v13
	s_mov_b32 s51, 0
	s_mov_b32 s52, 0
	s_mov_b32 s12, exec_lo
	v_mul_lo_u32 v5, v5, s16
	v_mul_lo_u32 v6, v6, s18
	s_delay_alu instid0(VALU_DEP_1) | instskip(NEXT) | instid1(VALU_DEP_1)
	v_sub_nc_u32_e32 v5, v5, v6
	v_cmp_lt_u32_e64 s10, s20, v5
	;; [unrolled: 47-line block ×3, first 2 shown]
	v_cmpx_ge_u32_e64 s20, v5
	s_cbranch_execz .LBB876_35
; %bb.34:
	v_add_nc_u32_e32 v5, s22, v45
	v_add_nc_u32_e32 v6, s38, v45
	s_delay_alu instid0(VALU_DEP_2) | instskip(NEXT) | instid1(VALU_DEP_2)
	v_mul_lo_u32 v5, v5, s21
	v_mul_lo_u32 v6, v6, s23
	s_delay_alu instid0(VALU_DEP_1) | instskip(NEXT) | instid1(VALU_DEP_1)
	v_sub_nc_u32_e32 v5, v5, v6
	v_cmp_lt_u32_e64 s13, s39, v5
	s_and_b32 s53, s13, exec_lo
.LBB876_35:
	s_or_b32 exec_lo, exec_lo, s54
	v_cndmask_b32_e64 v6, 0, 1, s0
	v_cndmask_b32_e64 v8, 0, 1, s3
	s_wait_alu 0xfffd
	v_cndmask_b32_e64 v5, 0, 1, vcc_lo
	v_cndmask_b32_e64 v7, 0, 1, s1
	v_cndmask_b32_e64 v10, 0, 1, s5
	v_lshlrev_b16 v6, 8, v6
	v_lshlrev_b16 v8, 8, v8
	s_wait_alu 0xf1ff
	v_cndmask_b32_e64 v12, 0, 1, s7
	v_cndmask_b32_e64 v26, 0, 1, s9
	;; [unrolled: 1-line block ×3, first 2 shown]
	v_or_b32_e32 v5, v5, v6
	v_or_b32_e32 v6, v7, v8
	v_cndmask_b32_e64 v56, 0, 1, s40
	v_cndmask_b32_e64 v9, 0, 1, s4
	;; [unrolled: 1-line block ×3, first 2 shown]
	v_and_b32_e32 v5, 0xffff, v5
	v_lshlrev_b32_e32 v6, 16, v6
	v_cndmask_b32_e64 v25, 0, 1, s8
	v_cndmask_b32_e64 v27, 0, 1, s10
	;; [unrolled: 1-line block ×8, first 2 shown]
	v_or_b32_e32 v47, v5, v6
	v_lshlrev_b16 v5, 8, v10
	v_lshlrev_b16 v6, 8, v12
	;; [unrolled: 1-line block ×5, first 2 shown]
	v_cndmask_b32_e64 v30, 0, 1, s50
	v_cndmask_b32_e64 v49, 0, 1, s47
	;; [unrolled: 1-line block ×5, first 2 shown]
	v_or_b32_e32 v5, v9, v5
	v_or_b32_e32 v6, v11, v6
	;; [unrolled: 1-line block ×5, first 2 shown]
	v_lshlrev_b16 v8, 8, v8
	v_lshlrev_b16 v12, 8, v54
	;; [unrolled: 1-line block ×5, first 2 shown]
	v_or_b32_e32 v8, v55, v8
	v_or_b32_e32 v7, v7, v12
	;; [unrolled: 1-line block ×5, first 2 shown]
	v_and_b32_e32 v5, 0xffff, v5
	v_lshlrev_b32_e32 v6, 16, v6
	v_and_b32_e32 v9, 0xffff, v9
	v_lshlrev_b32_e32 v10, 16, v10
	;; [unrolled: 2-line block ×5, first 2 shown]
	v_cndmask_b32_e64 v50, 0, 1, s51
	v_cndmask_b32_e64 v53, 0, 1, s53
	v_or_b32_e32 v49, v5, v6
	v_or_b32_e32 v52, v9, v10
	v_or_b32_e32 v54, v11, v8
	v_or_b32_e32 v48, v7, v12
	v_or_b32_e32 v51, v25, v26
	s_and_b32 vcc_lo, exec_lo, s48
	s_wait_alu 0xfffe
	s_cbranch_vccnz .LBB876_37
	s_branch .LBB876_114
.LBB876_36:
                                        ; implicit-def: $vgpr53
                                        ; implicit-def: $vgpr50
                                        ; implicit-def: $vgpr51
                                        ; implicit-def: $vgpr48
                                        ; implicit-def: $vgpr54
                                        ; implicit-def: $vgpr52
                                        ; implicit-def: $vgpr49
                                        ; implicit-def: $vgpr47
	s_cbranch_execz .LBB876_114
.LBB876_37:
	v_dual_mov_b32 v6, 0 :: v_dual_mov_b32 v5, 0
	s_mov_b32 s1, exec_lo
	v_cmpx_gt_u32_e64 s27, v46
	s_cbranch_execz .LBB876_41
; %bb.38:
	v_add_nc_u32_e32 v5, s17, v23
	v_add_nc_u32_e32 v6, s19, v23
	s_mov_b32 s4, 0
	s_mov_b32 s3, exec_lo
	s_delay_alu instid0(VALU_DEP_2) | instskip(NEXT) | instid1(VALU_DEP_2)
	v_mul_lo_u32 v5, v5, s16
	v_mul_lo_u32 v6, v6, s18
	s_delay_alu instid0(VALU_DEP_1) | instskip(NEXT) | instid1(VALU_DEP_1)
	v_sub_nc_u32_e32 v5, v5, v6
	v_cmp_lt_u32_e32 vcc_lo, s20, v5
	v_cmpx_ge_u32_e64 s20, v5
	s_cbranch_execz .LBB876_40
; %bb.39:
	v_add_nc_u32_e32 v5, s22, v23
	v_add_nc_u32_e32 v6, s38, v23
	s_delay_alu instid0(VALU_DEP_2) | instskip(NEXT) | instid1(VALU_DEP_2)
	v_mul_lo_u32 v5, v5, s21
	v_mul_lo_u32 v6, v6, s23
	s_delay_alu instid0(VALU_DEP_1) | instskip(NEXT) | instid1(VALU_DEP_1)
	v_sub_nc_u32_e32 v5, v5, v6
	v_cmp_lt_u32_e64 s0, s39, v5
	s_and_b32 s4, s0, exec_lo
.LBB876_40:
	s_wait_alu 0xfffe
	s_or_b32 exec_lo, exec_lo, s3
	v_cndmask_b32_e64 v6, 0, 1, s4
	s_wait_alu 0xfffd
	v_cndmask_b32_e64 v5, 0, 1, vcc_lo
.LBB876_41:
	s_wait_alu 0xfffe
	s_or_b32 exec_lo, exec_lo, s1
	v_lshlrev_b16 v6, 8, v6
	v_add_nc_u32_e32 v7, 1, v46
	v_and_b32_e32 v10, 0xff, v5
	v_lshlrev_b16 v5, 8, 0
                                        ; implicit-def: $vgpr9
                                        ; implicit-def: $vgpr12
                                        ; implicit-def: $vgpr8
	s_delay_alu instid0(VALU_DEP_4) | instskip(NEXT) | instid1(VALU_DEP_4)
	v_and_b32_e32 v6, 0xffff, v6
	v_cmp_le_u32_e32 vcc_lo, s27, v7
                                        ; implicit-def: $vgpr7
	s_delay_alu instid0(VALU_DEP_2)
	v_lshrrev_b32_e32 v25, 8, v6
	v_and_b32_e32 v11, 0xff, v6
                                        ; implicit-def: $vgpr6
	s_and_saveexec_b32 s0, vcc_lo
	s_wait_alu 0xfffe
	s_xor_b32 s0, exec_lo, s0
	s_cbranch_execz .LBB876_43
; %bb.42:
	v_lshlrev_b16 v6, 8, v25
	v_and_b32_e32 v8, 0xffff, v5
                                        ; implicit-def: $vgpr25
	v_mov_b32_e32 v9, 0
	s_delay_alu instid0(VALU_DEP_3) | instskip(SKIP_1) | instid1(VALU_DEP_2)
	v_or_b32_e32 v7, v11, v6
	v_mov_b32_e32 v6, 0
                                        ; implicit-def: $vgpr11
	v_and_b32_e32 v12, 0xffff, v7
	v_and_b32_e32 v7, 0xffff, v5
                                        ; implicit-def: $vgpr5
.LBB876_43:
	s_wait_alu 0xfffe
	s_and_not1_saveexec_b32 s1, s0
	s_cbranch_execz .LBB876_47
; %bb.44:
	v_add_nc_u32_e32 v6, s17, v24
	v_add_nc_u32_e32 v7, s19, v24
	s_mov_b32 s3, 0
	s_mov_b32 s4, exec_lo
	s_delay_alu instid0(VALU_DEP_2) | instskip(NEXT) | instid1(VALU_DEP_2)
	v_mul_lo_u32 v6, v6, s16
	v_mul_lo_u32 v7, v7, s18
	s_delay_alu instid0(VALU_DEP_1) | instskip(NEXT) | instid1(VALU_DEP_1)
	v_sub_nc_u32_e32 v6, v6, v7
	v_cmp_lt_u32_e32 vcc_lo, s20, v6
	v_cmpx_ge_u32_e64 s20, v6
	s_cbranch_execz .LBB876_46
; %bb.45:
	v_add_nc_u32_e32 v6, s22, v24
	v_add_nc_u32_e32 v7, s38, v24
	s_delay_alu instid0(VALU_DEP_2) | instskip(NEXT) | instid1(VALU_DEP_2)
	v_mul_lo_u32 v6, v6, s21
	v_mul_lo_u32 v7, v7, s23
	s_delay_alu instid0(VALU_DEP_1) | instskip(NEXT) | instid1(VALU_DEP_1)
	v_sub_nc_u32_e32 v6, v6, v7
	v_cmp_lt_u32_e64 s0, s39, v6
	s_and_b32 s3, s0, exec_lo
.LBB876_46:
	s_wait_alu 0xfffe
	s_or_b32 exec_lo, exec_lo, s4
	s_wait_alu 0xfffd
	v_cndmask_b32_e64 v6, 0, 1, vcc_lo
	v_lshlrev_b16 v7, 8, v25
	v_dual_mov_b32 v9, 0 :: v_dual_and_b32 v8, 0xffff, v5
	s_delay_alu instid0(VALU_DEP_3) | instskip(NEXT) | instid1(VALU_DEP_3)
	v_lshlrev_b16 v6, 8, v6
	v_or_b32_e32 v7, v11, v7
	v_cndmask_b32_e64 v11, 0, 1, s3
	s_delay_alu instid0(VALU_DEP_3) | instskip(NEXT) | instid1(VALU_DEP_3)
	v_or_b32_e32 v10, v10, v6
	v_dual_mov_b32 v6, 0 :: v_dual_and_b32 v7, 0xffff, v7
	s_delay_alu instid0(VALU_DEP_2) | instskip(NEXT) | instid1(VALU_DEP_2)
	v_and_b32_e32 v10, 0xffff, v10
	v_lshl_or_b32 v12, v11, 16, v7
	v_and_b32_e32 v7, 0xffff, v5
.LBB876_47:
	s_wait_alu 0xfffe
	s_or_b32 exec_lo, exec_lo, s1
	v_add_nc_u32_e32 v5, 2, v46
	v_and_b32_e32 v25, 0xff, v10
	v_lshrrev_b32_e32 v26, 8, v10
                                        ; implicit-def: $vgpr11
	s_delay_alu instid0(VALU_DEP_3)
	v_cmp_le_u32_e32 vcc_lo, s27, v5
                                        ; implicit-def: $vgpr5
	s_and_saveexec_b32 s0, vcc_lo
	s_wait_alu 0xfffe
	s_xor_b32 s0, exec_lo, s0
	s_cbranch_execz .LBB876_49
; %bb.48:
	v_lshlrev_b16 v5, 8, v26
	v_perm_b32 v8, v8, v8, 0x3060504
                                        ; implicit-def: $vgpr26
	s_delay_alu instid0(VALU_DEP_2) | instskip(SKIP_1) | instid1(VALU_DEP_2)
	v_or_b32_e32 v5, v25, v5
	v_and_b32_e32 v25, 0xff0000, v12
	v_and_b32_e32 v5, 0xffff, v5
	s_delay_alu instid0(VALU_DEP_1) | instskip(NEXT) | instid1(VALU_DEP_3)
	v_and_or_b32 v11, 0xff000000, v10, v5
	v_perm_b32 v5, v12, v25, 0x3020504
                                        ; implicit-def: $vgpr25
                                        ; implicit-def: $vgpr10
                                        ; implicit-def: $vgpr12
.LBB876_49:
	s_wait_alu 0xfffe
	s_and_not1_saveexec_b32 s1, s0
	s_cbranch_execz .LBB876_53
; %bb.50:
	v_add_nc_u32_e32 v5, s17, v21
	v_add_nc_u32_e32 v11, s19, v21
	s_mov_b32 s3, 0
	s_mov_b32 s4, exec_lo
	s_delay_alu instid0(VALU_DEP_2) | instskip(NEXT) | instid1(VALU_DEP_2)
	v_mul_lo_u32 v5, v5, s16
	v_mul_lo_u32 v11, v11, s18
	s_delay_alu instid0(VALU_DEP_1) | instskip(NEXT) | instid1(VALU_DEP_1)
	v_sub_nc_u32_e32 v5, v5, v11
	v_cmp_lt_u32_e32 vcc_lo, s20, v5
	v_cmpx_ge_u32_e64 s20, v5
	s_cbranch_execz .LBB876_52
; %bb.51:
	v_add_nc_u32_e32 v5, s22, v21
	v_add_nc_u32_e32 v11, s38, v21
	s_delay_alu instid0(VALU_DEP_2) | instskip(NEXT) | instid1(VALU_DEP_2)
	v_mul_lo_u32 v5, v5, s21
	v_mul_lo_u32 v11, v11, s23
	s_delay_alu instid0(VALU_DEP_1) | instskip(NEXT) | instid1(VALU_DEP_1)
	v_sub_nc_u32_e32 v5, v5, v11
	v_cmp_lt_u32_e64 s0, s39, v5
	s_and_b32 s3, s0, exec_lo
.LBB876_52:
	s_wait_alu 0xfffe
	s_or_b32 exec_lo, exec_lo, s4
	v_lshrrev_b32_e32 v10, 24, v10
	v_cndmask_b32_e64 v11, 0, 1, s3
	v_lshrrev_b32_e32 v27, 8, v12
	v_lshrrev_b32_e32 v28, 16, v12
	s_wait_alu 0xfffd
	v_cndmask_b32_e64 v5, 0, 1, vcc_lo
	v_lshlrev_b16 v26, 8, v26
	v_lshlrev_b16 v10, 8, v10
	v_and_b32_e32 v12, 0xff, v12
	v_lshlrev_b16 v27, 8, v27
	v_lshlrev_b16 v11, 8, v11
	v_and_b32_e32 v28, 0xff, v28
	v_or_b32_e32 v25, v25, v26
	v_or_b32_e32 v5, v5, v10
	;; [unrolled: 1-line block ×3, first 2 shown]
	s_delay_alu instid0(VALU_DEP_4) | instskip(NEXT) | instid1(VALU_DEP_4)
	v_or_b32_e32 v11, v28, v11
	v_and_b32_e32 v12, 0xffff, v25
	s_delay_alu instid0(VALU_DEP_4) | instskip(NEXT) | instid1(VALU_DEP_4)
	v_lshlrev_b32_e32 v5, 16, v5
	v_and_b32_e32 v10, 0xffff, v10
	s_delay_alu instid0(VALU_DEP_4) | instskip(NEXT) | instid1(VALU_DEP_3)
	v_lshlrev_b32_e32 v25, 16, v11
	v_or_b32_e32 v11, v12, v5
	s_delay_alu instid0(VALU_DEP_2)
	v_or_b32_e32 v5, v10, v25
.LBB876_53:
	s_wait_alu 0xfffe
	s_or_b32 exec_lo, exec_lo, s1
	v_add_nc_u32_e32 v10, 3, v46
	v_lshrrev_b32_e32 v12, 24, v9
	v_lshrrev_b32_e32 v25, 16, v9
	;; [unrolled: 1-line block ×3, first 2 shown]
                                        ; implicit-def: $vgpr47
	s_delay_alu instid0(VALU_DEP_4)
	v_cmp_le_u32_e32 vcc_lo, s27, v10
                                        ; implicit-def: $vgpr10
	s_and_saveexec_b32 s0, vcc_lo
	s_wait_alu 0xfffe
	s_xor_b32 s0, exec_lo, s0
	s_cbranch_execz .LBB876_55
; %bb.54:
	v_lshlrev_b16 v10, 8, v12
	v_and_b32_e32 v12, 0xff, v25
	v_lshlrev_b16 v9, 8, v9
	v_perm_b32 v8, v8, v8, 0x3060504
	v_perm_b32 v7, v7, v7, 0x3060504
                                        ; implicit-def: $vgpr25
	s_delay_alu instid0(VALU_DEP_4) | instskip(SKIP_2) | instid1(VALU_DEP_3)
	v_or_b32_e32 v10, v12, v10
	v_and_b32_e32 v12, 0xff0000, v11
	v_and_b32_e32 v9, 0xffff, v9
	v_lshlrev_b32_e32 v10, 16, v10
	s_delay_alu instid0(VALU_DEP_3) | instskip(NEXT) | instid1(VALU_DEP_2)
	v_perm_b32 v47, v11, v12, 0x3020504
                                        ; implicit-def: $vgpr11
                                        ; implicit-def: $vgpr12
	v_or_b32_e32 v10, v9, v10
                                        ; implicit-def: $vgpr9
.LBB876_55:
	s_wait_alu 0xfffe
	s_and_not1_saveexec_b32 s1, s0
	s_cbranch_execz .LBB876_59
; %bb.56:
	v_add_nc_u32_e32 v10, s17, v22
	v_add_nc_u32_e32 v26, s19, v22
	s_mov_b32 s3, 0
	s_mov_b32 s4, exec_lo
	s_delay_alu instid0(VALU_DEP_2) | instskip(NEXT) | instid1(VALU_DEP_2)
	v_mul_lo_u32 v10, v10, s16
	v_mul_lo_u32 v26, v26, s18
	s_delay_alu instid0(VALU_DEP_1) | instskip(NEXT) | instid1(VALU_DEP_1)
	v_sub_nc_u32_e32 v10, v10, v26
	v_cmp_lt_u32_e32 vcc_lo, s20, v10
	v_cmpx_ge_u32_e64 s20, v10
	s_cbranch_execz .LBB876_58
; %bb.57:
	v_add_nc_u32_e32 v10, s22, v22
	v_add_nc_u32_e32 v26, s38, v22
	s_delay_alu instid0(VALU_DEP_2) | instskip(NEXT) | instid1(VALU_DEP_2)
	v_mul_lo_u32 v10, v10, s21
	v_mul_lo_u32 v26, v26, s23
	s_delay_alu instid0(VALU_DEP_1) | instskip(NEXT) | instid1(VALU_DEP_1)
	v_sub_nc_u32_e32 v10, v10, v26
	v_cmp_lt_u32_e64 s0, s39, v10
	s_and_b32 s3, s0, exec_lo
.LBB876_58:
	s_wait_alu 0xfffe
	s_or_b32 exec_lo, exec_lo, s4
	v_lshrrev_b32_e32 v10, 8, v11
	s_wait_alu 0xfffd
	v_cndmask_b32_e64 v26, 0, 1, vcc_lo
	v_lshrrev_b32_e32 v27, 16, v11
	v_cndmask_b32_e64 v28, 0, 1, s3
	v_and_b32_e32 v11, 0xff, v11
	v_lshlrev_b16 v10, 8, v10
	v_lshlrev_b16 v26, 8, v26
	v_and_b32_e32 v27, 0xff, v27
	v_lshlrev_b16 v12, 8, v12
	v_and_b32_e32 v25, 0xff, v25
	v_lshlrev_b16 v9, 8, v9
	v_or_b32_e32 v10, v11, v10
	v_or_b32_e32 v11, v27, v26
	s_delay_alu instid0(VALU_DEP_4) | instskip(NEXT) | instid1(VALU_DEP_4)
	v_or_b32_e32 v12, v25, v12
	v_or_b32_e32 v9, v28, v9
	s_delay_alu instid0(VALU_DEP_4) | instskip(NEXT) | instid1(VALU_DEP_4)
	v_and_b32_e32 v10, 0xffff, v10
	v_lshlrev_b32_e32 v11, 16, v11
	s_delay_alu instid0(VALU_DEP_4) | instskip(NEXT) | instid1(VALU_DEP_4)
	v_lshlrev_b32_e32 v12, 16, v12
	v_and_b32_e32 v9, 0xffff, v9
	s_delay_alu instid0(VALU_DEP_3) | instskip(NEXT) | instid1(VALU_DEP_2)
	v_or_b32_e32 v47, v10, v11
	v_or_b32_e32 v10, v9, v12
.LBB876_59:
	s_wait_alu 0xfffe
	s_or_b32 exec_lo, exec_lo, s1
	v_add_nc_u32_e32 v9, 4, v46
	v_lshrrev_b32_e32 v25, 8, v8
	v_lshrrev_b32_e32 v26, 16, v8
	;; [unrolled: 1-line block ×4, first 2 shown]
	v_cmp_le_u32_e32 vcc_lo, s27, v9
	v_lshrrev_b32_e32 v12, 16, v10
                                        ; implicit-def: $vgpr8
                                        ; implicit-def: $vgpr9
	s_and_saveexec_b32 s0, vcc_lo
	s_wait_alu 0xfffe
	s_xor_b32 s0, exec_lo, s0
	s_cbranch_execz .LBB876_61
; %bb.60:
	v_lshlrev_b16 v8, 8, v27
	v_and_b32_e32 v9, 0xff, v26
	v_lshlrev_b16 v25, 8, v25
	v_lshlrev_b16 v11, 8, v11
	v_and_b32_e32 v12, 0xff, v12
	v_perm_b32 v7, v7, v7, 0x3060504
	v_or_b32_e32 v8, v9, v8
	v_and_b32_e32 v9, 0xffff, v25
                                        ; implicit-def: $vgpr25
                                        ; implicit-def: $vgpr26
                                        ; implicit-def: $vgpr27
	s_delay_alu instid0(VALU_DEP_4) | instskip(NEXT) | instid1(VALU_DEP_3)
	v_or_b32_e32 v11, v12, v11
	v_lshlrev_b32_e32 v12, 16, v8
	s_delay_alu instid0(VALU_DEP_2) | instskip(NEXT) | instid1(VALU_DEP_2)
	v_perm_b32 v8, v11, v10, 0x5040c00
                                        ; implicit-def: $vgpr10
                                        ; implicit-def: $vgpr11
	v_or_b32_e32 v9, v9, v12
                                        ; implicit-def: $vgpr12
.LBB876_61:
	s_wait_alu 0xfffe
	s_and_not1_saveexec_b32 s1, s0
	s_cbranch_execz .LBB876_65
; %bb.62:
	v_add_nc_u32_e32 v8, s17, v19
	v_add_nc_u32_e32 v9, s19, v19
	s_mov_b32 s3, 0
	s_mov_b32 s4, exec_lo
	s_delay_alu instid0(VALU_DEP_2) | instskip(NEXT) | instid1(VALU_DEP_2)
	v_mul_lo_u32 v8, v8, s16
	v_mul_lo_u32 v9, v9, s18
	s_delay_alu instid0(VALU_DEP_1) | instskip(NEXT) | instid1(VALU_DEP_1)
	v_sub_nc_u32_e32 v8, v8, v9
	v_cmp_lt_u32_e32 vcc_lo, s20, v8
	v_cmpx_ge_u32_e64 s20, v8
	s_cbranch_execz .LBB876_64
; %bb.63:
	v_add_nc_u32_e32 v8, s22, v19
	v_add_nc_u32_e32 v9, s38, v19
	s_delay_alu instid0(VALU_DEP_2) | instskip(NEXT) | instid1(VALU_DEP_2)
	v_mul_lo_u32 v8, v8, s21
	v_mul_lo_u32 v9, v9, s23
	s_delay_alu instid0(VALU_DEP_1) | instskip(NEXT) | instid1(VALU_DEP_1)
	v_sub_nc_u32_e32 v8, v8, v9
	v_cmp_lt_u32_e64 s0, s39, v8
	s_and_b32 s3, s0, exec_lo
.LBB876_64:
	s_wait_alu 0xfffe
	s_or_b32 exec_lo, exec_lo, s4
	v_cndmask_b32_e64 v8, 0, 1, s3
	s_wait_alu 0xfffd
	v_cndmask_b32_e64 v9, 0, 1, vcc_lo
	v_lshlrev_b16 v27, 8, v27
	v_and_b32_e32 v26, 0xff, v26
	v_lshlrev_b16 v25, 8, v25
	v_lshlrev_b16 v8, 8, v8
	v_and_b32_e32 v10, 0xff, v10
	v_lshlrev_b16 v11, 8, v11
	v_and_b32_e32 v12, 0xff, v12
	v_or_b32_e32 v26, v26, v27
	v_or_b32_e32 v9, v9, v25
	;; [unrolled: 1-line block ×3, first 2 shown]
	s_delay_alu instid0(VALU_DEP_4) | instskip(NEXT) | instid1(VALU_DEP_4)
	v_or_b32_e32 v10, v12, v11
	v_lshlrev_b32_e32 v11, 16, v26
	s_delay_alu instid0(VALU_DEP_4) | instskip(NEXT) | instid1(VALU_DEP_4)
	v_and_b32_e32 v9, 0xffff, v9
	v_and_b32_e32 v8, 0xffff, v8
	s_delay_alu instid0(VALU_DEP_4) | instskip(NEXT) | instid1(VALU_DEP_3)
	v_lshlrev_b32_e32 v10, 16, v10
	v_or_b32_e32 v9, v9, v11
	s_delay_alu instid0(VALU_DEP_2)
	v_or_b32_e32 v8, v8, v10
.LBB876_65:
	s_wait_alu 0xfffe
	s_or_b32 exec_lo, exec_lo, s1
	v_add_nc_u32_e32 v10, 5, v46
	v_lshrrev_b32_e32 v25, 16, v9
	v_lshrrev_b32_e32 v27, 24, v9
	v_and_b32_e32 v12, 0xff, v8
	v_lshrrev_b32_e32 v26, 8, v8
	v_cmp_le_u32_e32 vcc_lo, s27, v10
                                        ; implicit-def: $vgpr10
                                        ; implicit-def: $vgpr11
	s_and_saveexec_b32 s0, vcc_lo
	s_wait_alu 0xfffe
	s_xor_b32 s0, exec_lo, s0
	s_cbranch_execz .LBB876_67
; %bb.66:
	v_lshlrev_b16 v10, 8, v26
	v_lshlrev_b16 v11, 8, v27
	v_and_b32_e32 v25, 0xff, v25
	v_perm_b32 v7, v7, v7, 0x3060504
                                        ; implicit-def: $vgpr27
                                        ; implicit-def: $vgpr26
	s_delay_alu instid0(VALU_DEP_4) | instskip(NEXT) | instid1(VALU_DEP_3)
	v_or_b32_e32 v10, v12, v10
                                        ; implicit-def: $vgpr12
	v_or_b32_e32 v11, v25, v11
                                        ; implicit-def: $vgpr25
	s_delay_alu instid0(VALU_DEP_2) | instskip(NEXT) | instid1(VALU_DEP_2)
	v_and_b32_e32 v10, 0xffff, v10
	v_perm_b32 v11, v11, v9, 0x5040c00
                                        ; implicit-def: $vgpr9
	s_delay_alu instid0(VALU_DEP_2)
	v_and_or_b32 v10, 0xff000000, v8, v10
                                        ; implicit-def: $vgpr8
.LBB876_67:
	s_wait_alu 0xfffe
	s_and_not1_saveexec_b32 s1, s0
	s_cbranch_execz .LBB876_71
; %bb.68:
	v_add_nc_u32_e32 v10, s17, v20
	v_add_nc_u32_e32 v11, s19, v20
	s_mov_b32 s3, 0
	s_mov_b32 s4, exec_lo
	s_delay_alu instid0(VALU_DEP_2) | instskip(NEXT) | instid1(VALU_DEP_2)
	v_mul_lo_u32 v10, v10, s16
	v_mul_lo_u32 v11, v11, s18
	s_delay_alu instid0(VALU_DEP_1) | instskip(NEXT) | instid1(VALU_DEP_1)
	v_sub_nc_u32_e32 v10, v10, v11
	v_cmp_lt_u32_e32 vcc_lo, s20, v10
	v_cmpx_ge_u32_e64 s20, v10
	s_cbranch_execz .LBB876_70
; %bb.69:
	v_add_nc_u32_e32 v10, s22, v20
	v_add_nc_u32_e32 v11, s38, v20
	s_delay_alu instid0(VALU_DEP_2) | instskip(NEXT) | instid1(VALU_DEP_2)
	v_mul_lo_u32 v10, v10, s21
	v_mul_lo_u32 v11, v11, s23
	s_delay_alu instid0(VALU_DEP_1) | instskip(NEXT) | instid1(VALU_DEP_1)
	v_sub_nc_u32_e32 v10, v10, v11
	v_cmp_lt_u32_e64 s0, s39, v10
	s_and_b32 s3, s0, exec_lo
.LBB876_70:
	s_wait_alu 0xfffe
	s_or_b32 exec_lo, exec_lo, s4
	s_wait_alu 0xfffd
	v_cndmask_b32_e64 v10, 0, 1, vcc_lo
	v_lshrrev_b32_e32 v8, 24, v8
	v_cndmask_b32_e64 v11, 0, 1, s3
	v_lshlrev_b16 v27, 8, v27
	v_and_b32_e32 v25, 0xff, v25
	v_lshlrev_b16 v10, 8, v10
	v_lshlrev_b16 v26, 8, v26
	v_and_b32_e32 v9, 0xff, v9
	v_lshlrev_b16 v8, 8, v8
	v_or_b32_e32 v25, v25, v27
	s_delay_alu instid0(VALU_DEP_4) | instskip(NEXT) | instid1(VALU_DEP_4)
	v_or_b32_e32 v12, v12, v26
	v_or_b32_e32 v9, v9, v10
	s_delay_alu instid0(VALU_DEP_4) | instskip(NEXT) | instid1(VALU_DEP_4)
	v_or_b32_e32 v8, v11, v8
	v_lshlrev_b32_e32 v10, 16, v25
	s_delay_alu instid0(VALU_DEP_4) | instskip(NEXT) | instid1(VALU_DEP_4)
	v_and_b32_e32 v12, 0xffff, v12
	v_and_b32_e32 v9, 0xffff, v9
	s_delay_alu instid0(VALU_DEP_4) | instskip(NEXT) | instid1(VALU_DEP_2)
	v_lshlrev_b32_e32 v8, 16, v8
	v_or_b32_e32 v11, v9, v10
	s_delay_alu instid0(VALU_DEP_2)
	v_or_b32_e32 v10, v12, v8
.LBB876_71:
	s_wait_alu 0xfffe
	s_or_b32 exec_lo, exec_lo, s1
	v_add_nc_u32_e32 v8, 6, v46
	v_lshrrev_b32_e32 v12, 8, v11
                                        ; implicit-def: $vgpr48
                                        ; implicit-def: $vgpr9
	s_delay_alu instid0(VALU_DEP_2)
	v_cmp_le_u32_e32 vcc_lo, s27, v8
	v_and_b32_e32 v8, 0xff, v11
	s_and_saveexec_b32 s0, vcc_lo
	s_wait_alu 0xfffe
	s_xor_b32 s0, exec_lo, s0
	s_cbranch_execz .LBB876_73
; %bb.72:
	v_lshlrev_b16 v9, 8, v12
	v_perm_b32 v7, v7, v7, 0x3060504
                                        ; implicit-def: $vgpr12
	s_delay_alu instid0(VALU_DEP_2) | instskip(SKIP_1) | instid1(VALU_DEP_2)
	v_or_b32_e32 v8, v8, v9
	v_and_b32_e32 v9, 0xff0000, v10
	v_and_b32_e32 v8, 0xffff, v8
	s_delay_alu instid0(VALU_DEP_2) | instskip(NEXT) | instid1(VALU_DEP_2)
	v_perm_b32 v48, v10, v9, 0x3020504
                                        ; implicit-def: $vgpr10
	v_and_or_b32 v9, 0xff000000, v11, v8
                                        ; implicit-def: $vgpr8
                                        ; implicit-def: $vgpr11
.LBB876_73:
	s_wait_alu 0xfffe
	s_and_not1_saveexec_b32 s1, s0
	s_cbranch_execz .LBB876_77
; %bb.74:
	v_add_nc_u32_e32 v9, s17, v17
	v_add_nc_u32_e32 v25, s19, v17
	s_mov_b32 s3, 0
	s_mov_b32 s4, exec_lo
	s_delay_alu instid0(VALU_DEP_2) | instskip(NEXT) | instid1(VALU_DEP_2)
	v_mul_lo_u32 v9, v9, s16
	v_mul_lo_u32 v25, v25, s18
	s_delay_alu instid0(VALU_DEP_1) | instskip(NEXT) | instid1(VALU_DEP_1)
	v_sub_nc_u32_e32 v9, v9, v25
	v_cmp_lt_u32_e32 vcc_lo, s20, v9
	v_cmpx_ge_u32_e64 s20, v9
	s_cbranch_execz .LBB876_76
; %bb.75:
	v_add_nc_u32_e32 v9, s22, v17
	v_add_nc_u32_e32 v25, s38, v17
	s_delay_alu instid0(VALU_DEP_2) | instskip(NEXT) | instid1(VALU_DEP_2)
	v_mul_lo_u32 v9, v9, s21
	v_mul_lo_u32 v25, v25, s23
	s_delay_alu instid0(VALU_DEP_1) | instskip(NEXT) | instid1(VALU_DEP_1)
	v_sub_nc_u32_e32 v9, v9, v25
	v_cmp_lt_u32_e64 s0, s39, v9
	s_and_b32 s3, s0, exec_lo
.LBB876_76:
	s_wait_alu 0xfffe
	s_or_b32 exec_lo, exec_lo, s4
	v_lshrrev_b32_e32 v11, 24, v11
	v_cndmask_b32_e64 v25, 0, 1, s3
	v_lshrrev_b32_e32 v26, 8, v10
	v_lshrrev_b32_e32 v27, 16, v10
	s_wait_alu 0xfffd
	v_cndmask_b32_e64 v9, 0, 1, vcc_lo
	v_lshlrev_b16 v12, 8, v12
	v_lshlrev_b16 v11, 8, v11
	v_and_b32_e32 v10, 0xff, v10
	v_lshlrev_b16 v26, 8, v26
	v_lshlrev_b16 v25, 8, v25
	v_and_b32_e32 v27, 0xff, v27
	v_or_b32_e32 v8, v8, v12
	v_or_b32_e32 v9, v9, v11
	;; [unrolled: 1-line block ×3, first 2 shown]
	s_delay_alu instid0(VALU_DEP_4) | instskip(NEXT) | instid1(VALU_DEP_4)
	v_or_b32_e32 v11, v27, v25
	v_and_b32_e32 v8, 0xffff, v8
	s_delay_alu instid0(VALU_DEP_4) | instskip(NEXT) | instid1(VALU_DEP_4)
	v_lshlrev_b32_e32 v9, 16, v9
	v_and_b32_e32 v10, 0xffff, v10
	s_delay_alu instid0(VALU_DEP_4) | instskip(NEXT) | instid1(VALU_DEP_3)
	v_lshlrev_b32_e32 v11, 16, v11
	v_or_b32_e32 v9, v8, v9
	s_delay_alu instid0(VALU_DEP_2)
	v_or_b32_e32 v48, v10, v11
.LBB876_77:
	s_wait_alu 0xfffe
	s_or_b32 exec_lo, exec_lo, s1
	v_add_nc_u32_e32 v8, 7, v46
	v_lshrrev_b32_e32 v10, 8, v7
	v_lshrrev_b32_e32 v11, 16, v7
	;; [unrolled: 1-line block ×3, first 2 shown]
                                        ; implicit-def: $vgpr49
	s_delay_alu instid0(VALU_DEP_4)
	v_cmp_le_u32_e32 vcc_lo, s27, v8
                                        ; implicit-def: $vgpr8
	s_and_saveexec_b32 s0, vcc_lo
	s_wait_alu 0xfffe
	s_xor_b32 s0, exec_lo, s0
	s_cbranch_execz .LBB876_79
; %bb.78:
	v_lshlrev_b16 v7, 8, v7
	v_and_b32_e32 v8, 0xff, v11
                                        ; implicit-def: $vgpr11
	s_delay_alu instid0(VALU_DEP_1) | instskip(SKIP_2) | instid1(VALU_DEP_3)
	v_or_b32_e32 v7, v8, v7
	v_lshlrev_b16 v8, 8, v10
	v_and_b32_e32 v10, 0xff0000, v9
	v_lshlrev_b32_e32 v7, 16, v7
	s_delay_alu instid0(VALU_DEP_3) | instskip(NEXT) | instid1(VALU_DEP_3)
	v_and_b32_e32 v8, 0xffff, v8
	v_perm_b32 v49, v9, v10, 0x3020504
                                        ; implicit-def: $vgpr9
                                        ; implicit-def: $vgpr10
	s_delay_alu instid0(VALU_DEP_2)
	v_or_b32_e32 v8, v8, v7
                                        ; implicit-def: $vgpr7
.LBB876_79:
	s_wait_alu 0xfffe
	s_and_not1_saveexec_b32 s1, s0
	s_cbranch_execz .LBB876_83
; %bb.80:
	v_add_nc_u32_e32 v8, s17, v18
	v_add_nc_u32_e32 v12, s19, v18
	s_mov_b32 s3, 0
	s_mov_b32 s4, exec_lo
	s_delay_alu instid0(VALU_DEP_2) | instskip(NEXT) | instid1(VALU_DEP_2)
	v_mul_lo_u32 v8, v8, s16
	v_mul_lo_u32 v12, v12, s18
	s_delay_alu instid0(VALU_DEP_1) | instskip(NEXT) | instid1(VALU_DEP_1)
	v_sub_nc_u32_e32 v8, v8, v12
	v_cmp_lt_u32_e32 vcc_lo, s20, v8
	v_cmpx_ge_u32_e64 s20, v8
	s_cbranch_execz .LBB876_82
; %bb.81:
	v_add_nc_u32_e32 v8, s22, v18
	v_add_nc_u32_e32 v12, s38, v18
	s_delay_alu instid0(VALU_DEP_2) | instskip(NEXT) | instid1(VALU_DEP_2)
	v_mul_lo_u32 v8, v8, s21
	v_mul_lo_u32 v12, v12, s23
	s_delay_alu instid0(VALU_DEP_1) | instskip(NEXT) | instid1(VALU_DEP_1)
	v_sub_nc_u32_e32 v8, v8, v12
	v_cmp_lt_u32_e64 s0, s39, v8
	s_and_b32 s3, s0, exec_lo
.LBB876_82:
	s_wait_alu 0xfffe
	s_or_b32 exec_lo, exec_lo, s4
	v_lshrrev_b32_e32 v8, 8, v9
	s_wait_alu 0xfffd
	v_cndmask_b32_e64 v12, 0, 1, vcc_lo
	v_lshrrev_b32_e32 v25, 16, v9
	v_cndmask_b32_e64 v26, 0, 1, s3
	v_and_b32_e32 v9, 0xff, v9
	v_lshlrev_b16 v8, 8, v8
	v_lshlrev_b16 v12, 8, v12
	v_and_b32_e32 v25, 0xff, v25
	v_lshlrev_b16 v7, 8, v7
	v_and_b32_e32 v11, 0xff, v11
	v_lshlrev_b16 v10, 8, v10
	v_or_b32_e32 v8, v9, v8
	v_or_b32_e32 v9, v25, v12
	s_delay_alu instid0(VALU_DEP_4) | instskip(NEXT) | instid1(VALU_DEP_4)
	v_or_b32_e32 v7, v11, v7
	v_or_b32_e32 v10, v26, v10
	s_delay_alu instid0(VALU_DEP_4) | instskip(NEXT) | instid1(VALU_DEP_4)
	v_and_b32_e32 v8, 0xffff, v8
	v_lshlrev_b32_e32 v9, 16, v9
	s_delay_alu instid0(VALU_DEP_4) | instskip(NEXT) | instid1(VALU_DEP_4)
	v_lshlrev_b32_e32 v7, 16, v7
	v_and_b32_e32 v10, 0xffff, v10
	s_delay_alu instid0(VALU_DEP_3) | instskip(NEXT) | instid1(VALU_DEP_2)
	v_or_b32_e32 v49, v8, v9
	v_or_b32_e32 v8, v10, v7
.LBB876_83:
	s_wait_alu 0xfffe
	s_or_b32 exec_lo, exec_lo, s1
	v_add_nc_u32_e32 v7, 8, v46
	s_delay_alu instid0(VALU_DEP_2)
	v_lshrrev_b32_e32 v9, 16, v8
	v_lshrrev_b32_e32 v10, 24, v8
	;; [unrolled: 1-line block ×4, first 2 shown]
	v_cmp_le_u32_e32 vcc_lo, s27, v7
	v_lshrrev_b32_e32 v11, 8, v6
                                        ; implicit-def: $vgpr6
                                        ; implicit-def: $vgpr7
	s_and_saveexec_b32 s0, vcc_lo
	s_wait_alu 0xfffe
	s_xor_b32 s0, exec_lo, s0
	s_cbranch_execz .LBB876_85
; %bb.84:
	v_lshlrev_b16 v6, 8, v12
	v_and_b32_e32 v7, 0xff, v25
	v_lshlrev_b16 v11, 8, v11
	v_lshlrev_b16 v10, 8, v10
	v_perm_b32 v5, v5, v5, 0x3060504
                                        ; implicit-def: $vgpr12
                                        ; implicit-def: $vgpr25
	s_delay_alu instid0(VALU_DEP_4) | instskip(SKIP_2) | instid1(VALU_DEP_3)
	v_or_b32_e32 v6, v7, v6
	v_and_b32_e32 v7, 0xff, v9
	v_and_b32_e32 v9, 0xffff, v11
                                        ; implicit-def: $vgpr11
	v_lshlrev_b32_e32 v6, 16, v6
	s_delay_alu instid0(VALU_DEP_3) | instskip(NEXT) | instid1(VALU_DEP_2)
	v_or_b32_e32 v10, v7, v10
	v_or_b32_e32 v7, v9, v6
	s_delay_alu instid0(VALU_DEP_2)
	v_perm_b32 v6, v10, v8, 0x5040c00
                                        ; implicit-def: $vgpr8
                                        ; implicit-def: $vgpr9
                                        ; implicit-def: $vgpr10
.LBB876_85:
	s_wait_alu 0xfffe
	s_and_not1_saveexec_b32 s1, s0
	s_cbranch_execz .LBB876_89
; %bb.86:
	v_add_nc_u32_e32 v6, s17, v15
	v_add_nc_u32_e32 v7, s19, v15
	s_mov_b32 s3, 0
	s_mov_b32 s4, exec_lo
	s_delay_alu instid0(VALU_DEP_2) | instskip(NEXT) | instid1(VALU_DEP_2)
	v_mul_lo_u32 v6, v6, s16
	v_mul_lo_u32 v7, v7, s18
	s_delay_alu instid0(VALU_DEP_1) | instskip(NEXT) | instid1(VALU_DEP_1)
	v_sub_nc_u32_e32 v6, v6, v7
	v_cmp_lt_u32_e32 vcc_lo, s20, v6
	v_cmpx_ge_u32_e64 s20, v6
	s_cbranch_execz .LBB876_88
; %bb.87:
	v_add_nc_u32_e32 v6, s22, v15
	v_add_nc_u32_e32 v7, s38, v15
	s_delay_alu instid0(VALU_DEP_2) | instskip(NEXT) | instid1(VALU_DEP_2)
	v_mul_lo_u32 v6, v6, s21
	v_mul_lo_u32 v7, v7, s23
	s_delay_alu instid0(VALU_DEP_1) | instskip(NEXT) | instid1(VALU_DEP_1)
	v_sub_nc_u32_e32 v6, v6, v7
	v_cmp_lt_u32_e64 s0, s39, v6
	s_and_b32 s3, s0, exec_lo
.LBB876_88:
	s_wait_alu 0xfffe
	s_or_b32 exec_lo, exec_lo, s4
	v_cndmask_b32_e64 v6, 0, 1, s3
	s_wait_alu 0xfffd
	v_cndmask_b32_e64 v7, 0, 1, vcc_lo
	v_lshlrev_b16 v12, 8, v12
	v_and_b32_e32 v25, 0xff, v25
	v_lshlrev_b16 v11, 8, v11
	v_lshlrev_b16 v6, 8, v6
	v_and_b32_e32 v8, 0xff, v8
	v_lshlrev_b16 v10, 8, v10
	v_and_b32_e32 v9, 0xff, v9
	v_or_b32_e32 v12, v25, v12
	v_or_b32_e32 v7, v7, v11
	;; [unrolled: 1-line block ×3, first 2 shown]
	s_delay_alu instid0(VALU_DEP_4) | instskip(NEXT) | instid1(VALU_DEP_4)
	v_or_b32_e32 v8, v9, v10
	v_lshlrev_b32_e32 v9, 16, v12
	s_delay_alu instid0(VALU_DEP_4) | instskip(NEXT) | instid1(VALU_DEP_4)
	v_and_b32_e32 v7, 0xffff, v7
	v_and_b32_e32 v6, 0xffff, v6
	s_delay_alu instid0(VALU_DEP_4) | instskip(NEXT) | instid1(VALU_DEP_3)
	v_lshlrev_b32_e32 v8, 16, v8
	v_or_b32_e32 v7, v7, v9
	s_delay_alu instid0(VALU_DEP_2)
	v_or_b32_e32 v6, v6, v8
.LBB876_89:
	s_wait_alu 0xfffe
	s_or_b32 exec_lo, exec_lo, s1
	v_add_nc_u32_e32 v8, 9, v46
	s_delay_alu instid0(VALU_DEP_2)
	v_lshrrev_b32_e32 v10, 8, v6
	v_lshrrev_b32_e32 v25, 24, v7
	v_lshrrev_b32_e32 v12, 16, v7
	v_and_b32_e32 v11, 0xff, v6
	v_cmp_le_u32_e32 vcc_lo, s27, v8
                                        ; implicit-def: $vgpr8
                                        ; implicit-def: $vgpr9
	s_and_saveexec_b32 s0, vcc_lo
	s_wait_alu 0xfffe
	s_xor_b32 s0, exec_lo, s0
	s_cbranch_execz .LBB876_91
; %bb.90:
	v_lshlrev_b16 v8, 8, v10
	v_lshlrev_b16 v9, 8, v25
	v_and_b32_e32 v10, 0xff, v12
	v_perm_b32 v5, v5, v5, 0x3060504
                                        ; implicit-def: $vgpr25
                                        ; implicit-def: $vgpr12
	s_delay_alu instid0(VALU_DEP_4) | instskip(NEXT) | instid1(VALU_DEP_3)
	v_or_b32_e32 v8, v11, v8
                                        ; implicit-def: $vgpr11
	v_or_b32_e32 v9, v10, v9
                                        ; implicit-def: $vgpr10
	s_delay_alu instid0(VALU_DEP_2) | instskip(NEXT) | instid1(VALU_DEP_2)
	v_and_b32_e32 v8, 0xffff, v8
	v_perm_b32 v9, v9, v7, 0x5040c00
                                        ; implicit-def: $vgpr7
	s_delay_alu instid0(VALU_DEP_2)
	v_and_or_b32 v8, 0xff000000, v6, v8
                                        ; implicit-def: $vgpr6
.LBB876_91:
	s_wait_alu 0xfffe
	s_and_not1_saveexec_b32 s1, s0
	s_cbranch_execz .LBB876_95
; %bb.92:
	v_add_nc_u32_e32 v8, s17, v16
	v_add_nc_u32_e32 v9, s19, v16
	s_mov_b32 s3, 0
	s_mov_b32 s4, exec_lo
	s_delay_alu instid0(VALU_DEP_2) | instskip(NEXT) | instid1(VALU_DEP_2)
	v_mul_lo_u32 v8, v8, s16
	v_mul_lo_u32 v9, v9, s18
	s_delay_alu instid0(VALU_DEP_1) | instskip(NEXT) | instid1(VALU_DEP_1)
	v_sub_nc_u32_e32 v8, v8, v9
	v_cmp_lt_u32_e32 vcc_lo, s20, v8
	v_cmpx_ge_u32_e64 s20, v8
	s_cbranch_execz .LBB876_94
; %bb.93:
	v_add_nc_u32_e32 v8, s22, v16
	v_add_nc_u32_e32 v9, s38, v16
	s_delay_alu instid0(VALU_DEP_2) | instskip(NEXT) | instid1(VALU_DEP_2)
	v_mul_lo_u32 v8, v8, s21
	v_mul_lo_u32 v9, v9, s23
	s_delay_alu instid0(VALU_DEP_1) | instskip(NEXT) | instid1(VALU_DEP_1)
	v_sub_nc_u32_e32 v8, v8, v9
	v_cmp_lt_u32_e64 s0, s39, v8
	s_and_b32 s3, s0, exec_lo
.LBB876_94:
	s_wait_alu 0xfffe
	s_or_b32 exec_lo, exec_lo, s4
	s_wait_alu 0xfffd
	v_cndmask_b32_e64 v8, 0, 1, vcc_lo
	v_lshrrev_b32_e32 v6, 24, v6
	v_cndmask_b32_e64 v9, 0, 1, s3
	v_lshlrev_b16 v25, 8, v25
	v_and_b32_e32 v12, 0xff, v12
	v_lshlrev_b16 v8, 8, v8
	v_lshlrev_b16 v10, 8, v10
	v_and_b32_e32 v7, 0xff, v7
	v_lshlrev_b16 v6, 8, v6
	v_or_b32_e32 v12, v12, v25
	s_delay_alu instid0(VALU_DEP_4) | instskip(NEXT) | instid1(VALU_DEP_4)
	v_or_b32_e32 v10, v11, v10
	v_or_b32_e32 v7, v7, v8
	s_delay_alu instid0(VALU_DEP_4) | instskip(NEXT) | instid1(VALU_DEP_4)
	v_or_b32_e32 v6, v9, v6
	v_lshlrev_b32_e32 v8, 16, v12
	s_delay_alu instid0(VALU_DEP_4) | instskip(NEXT) | instid1(VALU_DEP_4)
	v_and_b32_e32 v10, 0xffff, v10
	v_and_b32_e32 v7, 0xffff, v7
	s_delay_alu instid0(VALU_DEP_4) | instskip(NEXT) | instid1(VALU_DEP_2)
	v_lshlrev_b32_e32 v6, 16, v6
	v_or_b32_e32 v9, v7, v8
	s_delay_alu instid0(VALU_DEP_2)
	v_or_b32_e32 v8, v10, v6
.LBB876_95:
	s_wait_alu 0xfffe
	s_or_b32 exec_lo, exec_lo, s1
	v_add_nc_u32_e32 v6, 10, v46
	v_and_b32_e32 v7, 0xff, v9
	v_lshrrev_b32_e32 v10, 8, v9
                                        ; implicit-def: $vgpr51
	s_delay_alu instid0(VALU_DEP_3)
	v_cmp_le_u32_e32 vcc_lo, s27, v6
                                        ; implicit-def: $vgpr6
	s_and_saveexec_b32 s0, vcc_lo
	s_wait_alu 0xfffe
	s_xor_b32 s0, exec_lo, s0
	s_cbranch_execz .LBB876_97
; %bb.96:
	v_lshlrev_b16 v6, 8, v10
	v_perm_b32 v5, v5, v5, 0x3060504
                                        ; implicit-def: $vgpr10
	s_delay_alu instid0(VALU_DEP_2) | instskip(SKIP_1) | instid1(VALU_DEP_2)
	v_or_b32_e32 v6, v7, v6
	v_and_b32_e32 v7, 0xff0000, v8
	v_and_b32_e32 v6, 0xffff, v6
	s_delay_alu instid0(VALU_DEP_2) | instskip(NEXT) | instid1(VALU_DEP_2)
	v_perm_b32 v51, v8, v7, 0x3020504
                                        ; implicit-def: $vgpr7
                                        ; implicit-def: $vgpr8
	v_and_or_b32 v6, 0xff000000, v9, v6
                                        ; implicit-def: $vgpr9
.LBB876_97:
	s_wait_alu 0xfffe
	s_and_not1_saveexec_b32 s1, s0
	s_cbranch_execz .LBB876_101
; %bb.98:
	v_add_nc_u32_e32 v6, s17, v13
	v_add_nc_u32_e32 v11, s19, v13
	s_mov_b32 s3, 0
	s_mov_b32 s4, exec_lo
	s_delay_alu instid0(VALU_DEP_2) | instskip(NEXT) | instid1(VALU_DEP_2)
	v_mul_lo_u32 v6, v6, s16
	v_mul_lo_u32 v11, v11, s18
	s_delay_alu instid0(VALU_DEP_1) | instskip(NEXT) | instid1(VALU_DEP_1)
	v_sub_nc_u32_e32 v6, v6, v11
	v_cmp_lt_u32_e32 vcc_lo, s20, v6
	v_cmpx_ge_u32_e64 s20, v6
	s_cbranch_execz .LBB876_100
; %bb.99:
	v_add_nc_u32_e32 v6, s22, v13
	v_add_nc_u32_e32 v11, s38, v13
	s_delay_alu instid0(VALU_DEP_2) | instskip(NEXT) | instid1(VALU_DEP_2)
	v_mul_lo_u32 v6, v6, s21
	v_mul_lo_u32 v11, v11, s23
	s_delay_alu instid0(VALU_DEP_1) | instskip(NEXT) | instid1(VALU_DEP_1)
	v_sub_nc_u32_e32 v6, v6, v11
	v_cmp_lt_u32_e64 s0, s39, v6
	s_and_b32 s3, s0, exec_lo
.LBB876_100:
	s_wait_alu 0xfffe
	s_or_b32 exec_lo, exec_lo, s4
	v_lshrrev_b32_e32 v9, 24, v9
	v_cndmask_b32_e64 v11, 0, 1, s3
	v_lshrrev_b32_e32 v12, 8, v8
	v_lshrrev_b32_e32 v25, 16, v8
	s_wait_alu 0xfffd
	v_cndmask_b32_e64 v6, 0, 1, vcc_lo
	v_lshlrev_b16 v10, 8, v10
	v_lshlrev_b16 v9, 8, v9
	v_and_b32_e32 v8, 0xff, v8
	v_lshlrev_b16 v12, 8, v12
	v_lshlrev_b16 v11, 8, v11
	v_and_b32_e32 v25, 0xff, v25
	v_or_b32_e32 v7, v7, v10
	v_or_b32_e32 v6, v6, v9
	;; [unrolled: 1-line block ×3, first 2 shown]
	s_delay_alu instid0(VALU_DEP_4) | instskip(NEXT) | instid1(VALU_DEP_4)
	v_or_b32_e32 v9, v25, v11
	v_and_b32_e32 v7, 0xffff, v7
	s_delay_alu instid0(VALU_DEP_4) | instskip(NEXT) | instid1(VALU_DEP_4)
	v_lshlrev_b32_e32 v6, 16, v6
	v_and_b32_e32 v8, 0xffff, v8
	s_delay_alu instid0(VALU_DEP_4) | instskip(NEXT) | instid1(VALU_DEP_3)
	v_lshlrev_b32_e32 v9, 16, v9
	v_or_b32_e32 v6, v7, v6
	s_delay_alu instid0(VALU_DEP_2)
	v_or_b32_e32 v51, v8, v9
.LBB876_101:
	s_wait_alu 0xfffe
	s_or_b32 exec_lo, exec_lo, s1
	v_dual_mov_b32 v50, 0 :: v_dual_add_nc_u32 v7, 11, v46
	s_mov_b32 s0, exec_lo
                                        ; implicit-def: $vgpr52
	s_delay_alu instid0(VALU_DEP_1)
	v_cmpx_le_u32_e64 s27, v7
	s_wait_alu 0xfffe
	s_xor_b32 s0, exec_lo, s0
; %bb.102:
	v_and_b32_e32 v7, 0xff0000, v6
	v_perm_b32 v5, v5, v5, 0x3060504
	s_delay_alu instid0(VALU_DEP_2)
	v_perm_b32 v52, v6, v7, 0x3020504
                                        ; implicit-def: $vgpr6
; %bb.103:
	s_wait_alu 0xfffe
	s_and_not1_saveexec_b32 s1, s0
	s_cbranch_execz .LBB876_107
; %bb.104:
	v_add_nc_u32_e32 v7, s17, v14
	v_add_nc_u32_e32 v8, s19, v14
	s_mov_b32 s3, 0
	s_mov_b32 s4, exec_lo
	s_delay_alu instid0(VALU_DEP_2) | instskip(NEXT) | instid1(VALU_DEP_2)
	v_mul_lo_u32 v7, v7, s16
	v_mul_lo_u32 v8, v8, s18
	s_delay_alu instid0(VALU_DEP_1) | instskip(NEXT) | instid1(VALU_DEP_1)
	v_sub_nc_u32_e32 v7, v7, v8
	v_cmp_lt_u32_e32 vcc_lo, s20, v7
	v_cmpx_ge_u32_e64 s20, v7
	s_cbranch_execz .LBB876_106
; %bb.105:
	v_add_nc_u32_e32 v7, s22, v14
	v_add_nc_u32_e32 v8, s38, v14
	s_delay_alu instid0(VALU_DEP_2) | instskip(NEXT) | instid1(VALU_DEP_2)
	v_mul_lo_u32 v7, v7, s21
	v_mul_lo_u32 v8, v8, s23
	s_delay_alu instid0(VALU_DEP_1) | instskip(NEXT) | instid1(VALU_DEP_1)
	v_sub_nc_u32_e32 v7, v7, v8
	v_cmp_lt_u32_e64 s0, s39, v7
	s_and_b32 s3, s0, exec_lo
.LBB876_106:
	s_wait_alu 0xfffe
	s_or_b32 exec_lo, exec_lo, s4
	v_lshrrev_b32_e32 v7, 8, v6
	s_wait_alu 0xfffd
	v_cndmask_b32_e64 v8, 0, 1, vcc_lo
	v_lshrrev_b32_e32 v9, 16, v6
	v_and_b32_e32 v6, 0xff, v6
	v_cndmask_b32_e64 v50, 0, 1, s3
	v_lshlrev_b16 v7, 8, v7
	v_lshlrev_b16 v8, 8, v8
	v_and_b32_e32 v9, 0xff, v9
	s_delay_alu instid0(VALU_DEP_3) | instskip(NEXT) | instid1(VALU_DEP_2)
	v_or_b32_e32 v6, v6, v7
	v_or_b32_e32 v7, v9, v8
	s_delay_alu instid0(VALU_DEP_2) | instskip(NEXT) | instid1(VALU_DEP_2)
	v_and_b32_e32 v6, 0xffff, v6
	v_lshlrev_b32_e32 v7, 16, v7
	s_delay_alu instid0(VALU_DEP_1)
	v_or_b32_e32 v52, v6, v7
.LBB876_107:
	s_wait_alu 0xfffe
	s_or_b32 exec_lo, exec_lo, s1
	v_add_nc_u32_e32 v8, 12, v46
	v_lshrrev_b32_e32 v6, 8, v5
	v_lshrrev_b32_e32 v7, 16, v5
	;; [unrolled: 1-line block ×3, first 2 shown]
	s_mov_b32 s0, exec_lo
                                        ; implicit-def: $vgpr54
	v_cmpx_le_u32_e64 s27, v8
	s_wait_alu 0xfffe
	s_xor_b32 s0, exec_lo, s0
	s_cbranch_execz .LBB876_109
; %bb.108:
	v_lshlrev_b16 v5, 8, v5
	v_and_b32_e32 v7, 0xff, v7
	v_lshlrev_b16 v6, 8, v6
	s_delay_alu instid0(VALU_DEP_2) | instskip(NEXT) | instid1(VALU_DEP_2)
	v_or_b32_e32 v5, v7, v5
	v_and_b32_e32 v6, 0xffff, v6
                                        ; implicit-def: $vgpr7
	s_delay_alu instid0(VALU_DEP_2) | instskip(NEXT) | instid1(VALU_DEP_1)
	v_lshlrev_b32_e32 v5, 16, v5
	v_or_b32_e32 v54, v6, v5
                                        ; implicit-def: $vgpr5
                                        ; implicit-def: $vgpr6
.LBB876_109:
	s_wait_alu 0xfffe
	s_or_saveexec_b32 s1, s0
	v_mov_b32_e32 v53, 0
	s_wait_alu 0xfffe
	s_xor_b32 exec_lo, exec_lo, s1
	s_cbranch_execz .LBB876_113
; %bb.110:
	v_add_nc_u32_e32 v8, s17, v45
	v_add_nc_u32_e32 v9, s19, v45
	s_mov_b32 s3, 0
	s_mov_b32 s4, exec_lo
	s_delay_alu instid0(VALU_DEP_2) | instskip(NEXT) | instid1(VALU_DEP_2)
	v_mul_lo_u32 v8, v8, s16
	v_mul_lo_u32 v9, v9, s18
	s_delay_alu instid0(VALU_DEP_1) | instskip(NEXT) | instid1(VALU_DEP_1)
	v_sub_nc_u32_e32 v8, v8, v9
	v_cmp_lt_u32_e32 vcc_lo, s20, v8
	v_cmpx_ge_u32_e64 s20, v8
	s_cbranch_execz .LBB876_112
; %bb.111:
	v_add_nc_u32_e32 v8, s22, v45
	v_add_nc_u32_e32 v9, s38, v45
	s_delay_alu instid0(VALU_DEP_2) | instskip(NEXT) | instid1(VALU_DEP_2)
	v_mul_lo_u32 v8, v8, s21
	v_mul_lo_u32 v9, v9, s23
	s_delay_alu instid0(VALU_DEP_1) | instskip(NEXT) | instid1(VALU_DEP_1)
	v_sub_nc_u32_e32 v8, v8, v9
	v_cmp_lt_u32_e64 s0, s39, v8
	s_and_b32 s3, s0, exec_lo
.LBB876_112:
	s_wait_alu 0xfffe
	s_or_b32 exec_lo, exec_lo, s4
	s_wait_alu 0xfffd
	v_cndmask_b32_e64 v8, 0, 1, vcc_lo
	v_lshlrev_b16 v5, 8, v5
	v_and_b32_e32 v7, 0xff, v7
	v_lshlrev_b16 v6, 8, v6
	v_cndmask_b32_e64 v53, 0, 1, s3
	s_delay_alu instid0(VALU_DEP_3) | instskip(NEXT) | instid1(VALU_DEP_3)
	v_or_b32_e32 v5, v7, v5
	v_or_b32_e32 v6, v8, v6
	s_delay_alu instid0(VALU_DEP_2) | instskip(NEXT) | instid1(VALU_DEP_2)
	v_lshlrev_b32_e32 v5, 16, v5
	v_and_b32_e32 v6, 0xffff, v6
	s_delay_alu instid0(VALU_DEP_1)
	v_or_b32_e32 v54, v6, v5
.LBB876_113:
	s_or_b32 exec_lo, exec_lo, s1
.LBB876_114:
	v_and_b32_e32 v77, 0xff, v47
	s_delay_alu instid0(VALU_DEP_2)
	v_bfe_u32 v78, v54, 8, 8
	v_bfe_u32 v74, v47, 8, 8
	;; [unrolled: 1-line block ×4, first 2 shown]
	v_lshrrev_b32_e32 v60, 24, v54
	v_lshrrev_b32_e32 v59, 24, v47
	v_and_b32_e32 v73, 0xff, v48
	v_and_b32_e32 v71, 0xff, v49
	v_bfe_u32 v72, v48, 8, 8
	v_add3_u32 v5, v74, v77, v76
	v_add3_u32 v6, v75, v78, v60
	v_bfe_u32 v69, v49, 8, 8
	v_bfe_u32 v70, v48, 16, 8
	;; [unrolled: 1-line block ×3, first 2 shown]
	v_lshrrev_b32_e32 v58, 24, v48
	v_add3_u32 v5, v5, v59, v71
	v_add3_u32 v6, v6, v73, v72
	v_lshrrev_b32_e32 v57, 24, v49
	v_and_b32_e32 v68, 0xff, v51
	v_and_b32_e32 v66, 0xff, v52
	v_bfe_u32 v67, v51, 8, 8
	v_add3_u32 v5, v5, v69, v65
	v_add3_u32 v6, v6, v70, v58
	v_bfe_u32 v63, v52, 8, 8
	v_bfe_u32 v64, v51, 16, 8
	;; [unrolled: 1-line block ×3, first 2 shown]
	v_lshrrev_b32_e32 v56, 24, v51
	v_add3_u32 v5, v5, v57, v66
	v_add3_u32 v6, v6, v68, v67
	v_mbcnt_lo_u32_b32 v79, -1, 0
	v_lshrrev_b32_e32 v55, 24, v52
	v_and_b32_e32 v61, 0xff, v50
	v_and_b32_e32 v7, 0xff, v54
	;; [unrolled: 1-line block ×3, first 2 shown]
	v_add3_u32 v5, v5, v63, v62
	v_add3_u32 v6, v6, v64, v56
	v_and_b32_e32 v81, 15, v79
	v_and_b32_e32 v83, 16, v79
	v_lshrrev_b32_e32 v80, 5, v0
	v_add3_u32 v84, v5, v55, v7
	v_add3_u32 v85, v6, v61, v8
	v_cmp_eq_u32_e64 s1, 0, v81
	v_cmp_lt_u32_e64 s0, 1, v81
	v_cmp_lt_u32_e64 s3, 3, v81
	v_or_b32_e32 v82, 31, v0
	s_cmp_lg_u32 s33, 0
	s_mov_b32 s4, -1
	v_cmp_lt_u32_e32 vcc_lo, 7, v81
	s_cbranch_scc0 .LBB876_135
; %bb.115:
	v_mov_b32_dpp v6, v84 row_shr:1 row_mask:0xf bank_mask:0xf
	v_mov_b32_dpp v5, v85 row_shr:1 row_mask:0xf bank_mask:0xf
	s_mov_b32 s4, exec_lo
	s_delay_alu instid0(VALU_DEP_2) | instskip(SKIP_1) | instid1(VALU_DEP_1)
	v_add_nc_u32_e32 v6, v6, v84
	s_wait_alu 0xf1ff
	v_cndmask_b32_e64 v6, v6, v84, s1
	s_delay_alu instid0(VALU_DEP_1) | instskip(NEXT) | instid1(VALU_DEP_1)
	v_mov_b32_dpp v8, v6 row_shr:2 row_mask:0xf bank_mask:0xf
	v_add_nc_u32_e32 v8, v6, v8
	s_delay_alu instid0(VALU_DEP_1) | instskip(NEXT) | instid1(VALU_DEP_1)
	v_cndmask_b32_e64 v6, v6, v8, s0
	v_mov_b32_dpp v8, v6 row_shr:4 row_mask:0xf bank_mask:0xf
	s_delay_alu instid0(VALU_DEP_1) | instskip(NEXT) | instid1(VALU_DEP_1)
	v_add_nc_u32_e32 v8, v6, v8
	v_cndmask_b32_e64 v6, v6, v8, s3
	s_delay_alu instid0(VALU_DEP_1) | instskip(NEXT) | instid1(VALU_DEP_1)
	v_mov_b32_dpp v8, v6 row_shr:8 row_mask:0xf bank_mask:0xf
	v_add_nc_u32_e32 v8, v6, v8
	s_wait_alu 0xfffd
	s_delay_alu instid0(VALU_DEP_1) | instskip(NEXT) | instid1(VALU_DEP_1)
	v_dual_cndmask_b32 v6, v6, v8 :: v_dual_add_nc_u32 v5, v5, v85
	v_cndmask_b32_e64 v5, v5, v85, s1
	ds_swizzle_b32 v8, v6 offset:swizzle(BROADCAST,32,15)
	v_mov_b32_dpp v7, v5 row_shr:2 row_mask:0xf bank_mask:0xf
	s_delay_alu instid0(VALU_DEP_1) | instskip(NEXT) | instid1(VALU_DEP_1)
	v_add_nc_u32_e32 v7, v5, v7
	v_cndmask_b32_e64 v5, v5, v7, s0
	s_delay_alu instid0(VALU_DEP_1) | instskip(SKIP_2) | instid1(VALU_DEP_2)
	v_mov_b32_dpp v7, v5 row_shr:4 row_mask:0xf bank_mask:0xf
	s_wait_dscnt 0x0
	v_add_nc_u32_e32 v8, v6, v8
	v_add_nc_u32_e32 v7, v5, v7
	s_delay_alu instid0(VALU_DEP_1) | instskip(NEXT) | instid1(VALU_DEP_1)
	v_cndmask_b32_e64 v5, v5, v7, s3
	v_mov_b32_dpp v7, v5 row_shr:8 row_mask:0xf bank_mask:0xf
	s_delay_alu instid0(VALU_DEP_1) | instskip(NEXT) | instid1(VALU_DEP_1)
	v_add_nc_u32_e32 v7, v5, v7
	v_cndmask_b32_e32 v5, v5, v7, vcc_lo
	v_cmp_eq_u32_e32 vcc_lo, 0, v83
	ds_swizzle_b32 v7, v5 offset:swizzle(BROADCAST,32,15)
	s_wait_dscnt 0x0
	v_add_nc_u32_e32 v7, v5, v7
	v_cmpx_eq_u32_e64 v0, v82
; %bb.116:
	s_wait_alu 0xfffd
	s_delay_alu instid0(VALU_DEP_2)
	v_dual_cndmask_b32 v10, v7, v5 :: v_dual_lshlrev_b32 v11, 3, v80
	v_cndmask_b32_e32 v9, v8, v6, vcc_lo
	ds_store_b64 v11, v[9:10]
; %bb.117:
	s_wait_alu 0xfffe
	s_or_b32 exec_lo, exec_lo, s4
	s_delay_alu instid0(SALU_CYCLE_1)
	s_mov_b32 s4, exec_lo
	s_wait_loadcnt_dscnt 0x0
	s_barrier_signal -1
	s_barrier_wait -1
	global_inv scope:SCOPE_SE
	v_cmpx_gt_u32_e32 8, v0
	s_cbranch_execz .LBB876_119
; %bb.118:
	v_lshlrev_b32_e32 v11, 3, v0
	v_and_b32_e32 v26, 7, v79
	ds_load_b64 v[9:10], v11
	v_cmp_eq_u32_e64 s3, 0, v26
	s_wait_dscnt 0x0
	v_mov_b32_dpp v12, v9 row_shr:1 row_mask:0xf bank_mask:0xf
	v_mov_b32_dpp v25, v10 row_shr:1 row_mask:0xf bank_mask:0xf
	s_delay_alu instid0(VALU_DEP_2) | instskip(NEXT) | instid1(VALU_DEP_2)
	v_add_nc_u32_e32 v12, v12, v9
	v_add_nc_u32_e32 v25, v25, v10
	s_wait_alu 0xf1ff
	s_delay_alu instid0(VALU_DEP_2) | instskip(NEXT) | instid1(VALU_DEP_2)
	v_cndmask_b32_e64 v9, v12, v9, s3
	v_cndmask_b32_e64 v10, v25, v10, s3
	v_cmp_lt_u32_e64 s3, 1, v26
	s_delay_alu instid0(VALU_DEP_3) | instskip(NEXT) | instid1(VALU_DEP_3)
	v_mov_b32_dpp v12, v9 row_shr:2 row_mask:0xf bank_mask:0xf
	v_mov_b32_dpp v25, v10 row_shr:2 row_mask:0xf bank_mask:0xf
	s_delay_alu instid0(VALU_DEP_2) | instskip(NEXT) | instid1(VALU_DEP_2)
	v_add_nc_u32_e32 v12, v9, v12
	v_add_nc_u32_e32 v25, v10, v25
	s_wait_alu 0xf1ff
	s_delay_alu instid0(VALU_DEP_2) | instskip(NEXT) | instid1(VALU_DEP_2)
	v_cndmask_b32_e64 v9, v9, v12, s3
	v_cndmask_b32_e64 v10, v10, v25, s3
	v_cmp_lt_u32_e64 s3, 3, v26
	s_delay_alu instid0(VALU_DEP_3) | instskip(NEXT) | instid1(VALU_DEP_3)
	v_mov_b32_dpp v12, v9 row_shr:4 row_mask:0xf bank_mask:0xf
	v_mov_b32_dpp v25, v10 row_shr:4 row_mask:0xf bank_mask:0xf
	s_wait_alu 0xf1ff
	s_delay_alu instid0(VALU_DEP_2) | instskip(NEXT) | instid1(VALU_DEP_2)
	v_cndmask_b32_e64 v12, 0, v12, s3
	v_cndmask_b32_e64 v25, 0, v25, s3
	s_delay_alu instid0(VALU_DEP_2) | instskip(NEXT) | instid1(VALU_DEP_2)
	v_add_nc_u32_e32 v9, v12, v9
	v_add_nc_u32_e32 v10, v25, v10
	ds_store_b64 v11, v[9:10]
.LBB876_119:
	s_wait_alu 0xfffe
	s_or_b32 exec_lo, exec_lo, s4
	v_dual_cndmask_b32 v5, v7, v5 :: v_dual_cndmask_b32 v6, v8, v6
	s_mov_b32 s4, exec_lo
	v_cmp_gt_u32_e32 vcc_lo, 32, v0
	s_wait_loadcnt_dscnt 0x0
	s_barrier_signal -1
	s_barrier_wait -1
	global_inv scope:SCOPE_SE
                                        ; implicit-def: $vgpr25
	v_cmpx_lt_u32_e32 31, v0
	s_cbranch_execz .LBB876_121
; %bb.120:
	v_lshl_add_u32 v7, v80, 3, -8
	ds_load_b64 v[25:26], v7
	s_wait_dscnt 0x0
	v_add_nc_u32_e32 v5, v26, v5
	v_add_nc_u32_e32 v6, v25, v6
.LBB876_121:
	s_wait_alu 0xfffe
	s_or_b32 exec_lo, exec_lo, s4
	v_sub_co_u32 v7, s3, v79, 1
	s_delay_alu instid0(VALU_DEP_1) | instskip(SKIP_1) | instid1(VALU_DEP_1)
	v_cmp_gt_i32_e64 s4, 0, v7
	s_wait_alu 0xf1ff
	v_cndmask_b32_e64 v7, v7, v79, s4
	s_delay_alu instid0(VALU_DEP_1)
	v_lshlrev_b32_e32 v7, 2, v7
	ds_bpermute_b32 v86, v7, v6
	ds_bpermute_b32 v87, v7, v5
	s_and_saveexec_b32 s4, vcc_lo
	s_cbranch_execz .LBB876_140
; %bb.122:
	v_mov_b32_e32 v8, 0
	ds_load_b64 v[5:6], v8 offset:56
	s_and_saveexec_b32 s5, s3
	s_cbranch_execz .LBB876_124
; %bb.123:
	s_add_co_i32 s6, s33, 32
	s_mov_b32 s7, 0
	s_wait_alu 0xfffe
	s_lshl_b64 s[6:7], s[6:7], 4
	s_wait_alu 0xfffe
	s_add_nc_u64 s[6:7], s[36:37], s[6:7]
	s_wait_alu 0xfffe
	v_dual_mov_b32 v7, 1 :: v_dual_mov_b32 v10, s7
	v_mov_b32_e32 v9, s6
	s_wait_dscnt 0x0
	;;#ASMSTART
	global_store_b128 v[9:10], v[5:8] off scope:SCOPE_DEV	
s_wait_storecnt 0x0
	;;#ASMEND
.LBB876_124:
	s_wait_alu 0xfffe
	s_or_b32 exec_lo, exec_lo, s5
	v_xad_u32 v27, v79, -1, s33
	s_mov_b32 s6, 0
	s_mov_b32 s5, exec_lo
	s_delay_alu instid0(VALU_DEP_1) | instskip(NEXT) | instid1(VALU_DEP_1)
	v_add_nc_u32_e32 v7, 32, v27
	v_lshlrev_b64_e32 v[7:8], 4, v[7:8]
	s_delay_alu instid0(VALU_DEP_1) | instskip(SKIP_1) | instid1(VALU_DEP_2)
	v_add_co_u32 v7, vcc_lo, s36, v7
	s_wait_alu 0xfffd
	v_add_co_ci_u32_e64 v8, null, s37, v8, vcc_lo
	;;#ASMSTART
	global_load_b128 v[9:12], v[7:8] off scope:SCOPE_DEV	
s_wait_loadcnt 0x0
	;;#ASMEND
	v_and_b32_e32 v12, 0xff, v11
	s_delay_alu instid0(VALU_DEP_1)
	v_cmpx_eq_u16_e32 0, v12
	s_cbranch_execz .LBB876_127
.LBB876_125:                            ; =>This Inner Loop Header: Depth=1
	;;#ASMSTART
	global_load_b128 v[9:12], v[7:8] off scope:SCOPE_DEV	
s_wait_loadcnt 0x0
	;;#ASMEND
	v_and_b32_e32 v12, 0xff, v11
	s_delay_alu instid0(VALU_DEP_1)
	v_cmp_ne_u16_e32 vcc_lo, 0, v12
	s_wait_alu 0xfffe
	s_or_b32 s6, vcc_lo, s6
	s_wait_alu 0xfffe
	s_and_not1_b32 exec_lo, exec_lo, s6
	s_cbranch_execnz .LBB876_125
; %bb.126:
	s_or_b32 exec_lo, exec_lo, s6
.LBB876_127:
	s_wait_alu 0xfffe
	s_or_b32 exec_lo, exec_lo, s5
	v_cmp_ne_u32_e32 vcc_lo, 31, v79
	v_lshlrev_b32_e64 v89, v79, -1
	v_add_nc_u32_e32 v91, 2, v79
	v_add_nc_u32_e32 v93, 4, v79
	;; [unrolled: 1-line block ×3, first 2 shown]
	s_wait_alu 0xfffd
	v_add_co_ci_u32_e64 v7, null, 0, v79, vcc_lo
	v_lshl_or_b32 v96, v79, 2, 64
	v_add_nc_u32_e32 v97, 16, v79
	s_delay_alu instid0(VALU_DEP_3) | instskip(SKIP_4) | instid1(VALU_DEP_1)
	v_lshlrev_b32_e32 v88, 2, v7
	ds_bpermute_b32 v8, v88, v10
	s_wait_dscnt 0x0
	v_add_nc_u32_e32 v8, v8, v10
	v_and_b32_e32 v7, 0xff, v11
	v_cmp_eq_u16_e32 vcc_lo, 2, v7
	ds_bpermute_b32 v7, v88, v9
	s_wait_dscnt 0x0
	v_add_nc_u32_e32 v7, v7, v9
	s_wait_alu 0xfffd
	v_and_b32_e32 v12, vcc_lo, v89
	v_cmp_gt_u32_e32 vcc_lo, 30, v79
	s_delay_alu instid0(VALU_DEP_2) | instskip(SKIP_2) | instid1(VALU_DEP_2)
	v_or_b32_e32 v12, 0x80000000, v12
	s_wait_alu 0xfffd
	v_cndmask_b32_e64 v28, 0, 2, vcc_lo
	v_ctz_i32_b32_e32 v12, v12
	s_delay_alu instid0(VALU_DEP_2) | instskip(NEXT) | instid1(VALU_DEP_2)
	v_add_lshl_u32 v90, v28, v79, 2
	v_cmp_lt_u32_e32 vcc_lo, v79, v12
	s_wait_alu 0xfffd
	v_dual_cndmask_b32 v8, v10, v8 :: v_dual_cndmask_b32 v7, v9, v7
	v_cmp_gt_u32_e32 vcc_lo, 28, v79
	ds_bpermute_b32 v9, v90, v8
	ds_bpermute_b32 v10, v90, v7
	s_wait_alu 0xfffd
	v_cndmask_b32_e64 v28, 0, 4, vcc_lo
	v_cmp_gt_u32_e32 vcc_lo, v91, v12
	s_delay_alu instid0(VALU_DEP_2)
	v_add_lshl_u32 v92, v28, v79, 2
	s_wait_dscnt 0x1
	v_add_nc_u32_e32 v9, v8, v9
	s_wait_dscnt 0x0
	v_add_nc_u32_e32 v10, v7, v10
	s_wait_alu 0xfffd
	s_delay_alu instid0(VALU_DEP_1)
	v_dual_cndmask_b32 v8, v9, v8 :: v_dual_cndmask_b32 v7, v10, v7
	v_cmp_gt_u32_e32 vcc_lo, 24, v79
	ds_bpermute_b32 v9, v92, v8
	ds_bpermute_b32 v10, v92, v7
	s_wait_alu 0xfffd
	v_cndmask_b32_e64 v28, 0, 8, vcc_lo
	v_cmp_gt_u32_e32 vcc_lo, v93, v12
	s_delay_alu instid0(VALU_DEP_2)
	v_add_lshl_u32 v94, v28, v79, 2
	s_wait_dscnt 0x1
	v_dual_mov_b32 v28, 0 :: v_dual_add_nc_u32 v9, v8, v9
	s_wait_dscnt 0x0
	v_add_nc_u32_e32 v10, v7, v10
	s_wait_alu 0xfffd
	s_delay_alu instid0(VALU_DEP_1)
	v_dual_cndmask_b32 v8, v9, v8 :: v_dual_cndmask_b32 v7, v10, v7
	v_cmp_gt_u32_e32 vcc_lo, v95, v12
	ds_bpermute_b32 v9, v94, v8
	ds_bpermute_b32 v10, v94, v7
	s_wait_dscnt 0x1
	v_add_nc_u32_e32 v9, v8, v9
	s_wait_dscnt 0x0
	v_add_nc_u32_e32 v10, v7, v10
	s_wait_alu 0xfffd
	s_delay_alu instid0(VALU_DEP_1)
	v_dual_cndmask_b32 v8, v9, v8 :: v_dual_cndmask_b32 v7, v10, v7
	v_cmp_le_u32_e32 vcc_lo, v97, v12
	ds_bpermute_b32 v10, v96, v8
	ds_bpermute_b32 v9, v96, v7
	s_wait_dscnt 0x0
	s_wait_alu 0xfffd
	v_dual_cndmask_b32 v10, 0, v10 :: v_dual_cndmask_b32 v9, 0, v9
	s_delay_alu instid0(VALU_DEP_1) | instskip(NEXT) | instid1(VALU_DEP_2)
	v_add_nc_u32_e32 v10, v10, v8
	v_add_nc_u32_e32 v9, v9, v7
	s_branch .LBB876_131
.LBB876_128:                            ;   in Loop: Header=BB876_131 Depth=1
	s_or_b32 exec_lo, exec_lo, s6
.LBB876_129:                            ;   in Loop: Header=BB876_131 Depth=1
	s_wait_alu 0xfffe
	s_or_b32 exec_lo, exec_lo, s5
	ds_bpermute_b32 v12, v88, v9
	ds_bpermute_b32 v29, v88, v10
	v_subrev_nc_u32_e32 v27, 32, v27
	s_mov_b32 s5, 0
	s_wait_dscnt 0x1
	v_add_nc_u32_e32 v12, v12, v9
	v_and_b32_e32 v30, 0xff, v11
	s_wait_dscnt 0x0
	v_add_nc_u32_e32 v29, v29, v10
	s_delay_alu instid0(VALU_DEP_2) | instskip(SKIP_2) | instid1(VALU_DEP_1)
	v_cmp_eq_u16_e32 vcc_lo, 2, v30
	s_wait_alu 0xfffd
	v_and_or_b32 v30, vcc_lo, v89, 0x80000000
	v_ctz_i32_b32_e32 v30, v30
	s_delay_alu instid0(VALU_DEP_1)
	v_cmp_lt_u32_e32 vcc_lo, v79, v30
	s_wait_alu 0xfffd
	v_dual_cndmask_b32 v10, v10, v29 :: v_dual_cndmask_b32 v9, v9, v12
	v_cmp_gt_u32_e32 vcc_lo, v91, v30
	ds_bpermute_b32 v29, v90, v10
	ds_bpermute_b32 v12, v90, v9
	s_wait_dscnt 0x1
	v_add_nc_u32_e32 v29, v10, v29
	s_wait_dscnt 0x0
	v_add_nc_u32_e32 v12, v9, v12
	s_wait_alu 0xfffd
	s_delay_alu instid0(VALU_DEP_1)
	v_dual_cndmask_b32 v10, v29, v10 :: v_dual_cndmask_b32 v9, v12, v9
	v_cmp_gt_u32_e32 vcc_lo, v93, v30
	ds_bpermute_b32 v29, v92, v10
	ds_bpermute_b32 v12, v92, v9
	s_wait_dscnt 0x1
	v_add_nc_u32_e32 v29, v10, v29
	s_wait_dscnt 0x0
	v_add_nc_u32_e32 v12, v9, v12
	s_wait_alu 0xfffd
	s_delay_alu instid0(VALU_DEP_1)
	;; [unrolled: 10-line block ×3, first 2 shown]
	v_dual_cndmask_b32 v10, v29, v10 :: v_dual_cndmask_b32 v9, v12, v9
	v_cmp_le_u32_e32 vcc_lo, v97, v30
	ds_bpermute_b32 v29, v96, v10
	ds_bpermute_b32 v12, v96, v9
	s_wait_dscnt 0x0
	s_wait_alu 0xfffd
	v_dual_cndmask_b32 v29, 0, v29 :: v_dual_cndmask_b32 v12, 0, v12
	s_delay_alu instid0(VALU_DEP_1) | instskip(NEXT) | instid1(VALU_DEP_2)
	v_add3_u32 v10, v10, v8, v29
	v_add3_u32 v9, v9, v7, v12
.LBB876_130:                            ;   in Loop: Header=BB876_131 Depth=1
	s_wait_alu 0xfffe
	s_and_b32 vcc_lo, exec_lo, s5
	s_wait_alu 0xfffe
	s_cbranch_vccnz .LBB876_136
.LBB876_131:                            ; =>This Loop Header: Depth=1
                                        ;     Child Loop BB876_134 Depth 2
	v_and_b32_e32 v7, 0xff, v11
	s_mov_b32 s5, -1
                                        ; implicit-def: $vgpr11
	s_delay_alu instid0(VALU_DEP_1)
	v_cmp_ne_u16_e32 vcc_lo, 2, v7
	v_dual_mov_b32 v7, v9 :: v_dual_mov_b32 v8, v10
                                        ; implicit-def: $vgpr9_vgpr10
	s_cmp_lg_u32 vcc_lo, exec_lo
	s_cbranch_scc1 .LBB876_130
; %bb.132:                              ;   in Loop: Header=BB876_131 Depth=1
	v_lshlrev_b64_e32 v[9:10], 4, v[27:28]
	s_mov_b32 s5, exec_lo
	s_delay_alu instid0(VALU_DEP_1) | instskip(SKIP_1) | instid1(VALU_DEP_2)
	v_add_co_u32 v29, vcc_lo, s36, v9
	s_wait_alu 0xfffd
	v_add_co_ci_u32_e64 v30, null, s37, v10, vcc_lo
	;;#ASMSTART
	global_load_b128 v[9:12], v[29:30] off scope:SCOPE_DEV	
s_wait_loadcnt 0x0
	;;#ASMEND
	v_and_b32_e32 v12, 0xff, v11
	s_delay_alu instid0(VALU_DEP_1)
	v_cmpx_eq_u16_e32 0, v12
	s_cbranch_execz .LBB876_129
; %bb.133:                              ;   in Loop: Header=BB876_131 Depth=1
	s_mov_b32 s6, 0
.LBB876_134:                            ;   Parent Loop BB876_131 Depth=1
                                        ; =>  This Inner Loop Header: Depth=2
	;;#ASMSTART
	global_load_b128 v[9:12], v[29:30] off scope:SCOPE_DEV	
s_wait_loadcnt 0x0
	;;#ASMEND
	v_and_b32_e32 v12, 0xff, v11
	s_delay_alu instid0(VALU_DEP_1)
	v_cmp_ne_u16_e32 vcc_lo, 0, v12
	s_wait_alu 0xfffe
	s_or_b32 s6, vcc_lo, s6
	s_wait_alu 0xfffe
	s_and_not1_b32 exec_lo, exec_lo, s6
	s_cbranch_execnz .LBB876_134
	s_branch .LBB876_128
.LBB876_135:
                                        ; implicit-def: $vgpr29
                                        ; implicit-def: $vgpr7
                                        ; implicit-def: $vgpr86
	s_wait_alu 0xfffe
	s_and_b32 vcc_lo, exec_lo, s4
	s_wait_alu 0xfffe
	s_cbranch_vccnz .LBB876_141
	s_branch .LBB876_150
.LBB876_136:
	s_and_saveexec_b32 s5, s3
	s_cbranch_execnz .LBB876_378
; %bb.137:
	s_wait_alu 0xfffe
	s_or_b32 exec_lo, exec_lo, s5
	s_and_saveexec_b32 s5, s3
	s_cbranch_execnz .LBB876_379
.LBB876_138:
	s_wait_alu 0xfffe
	s_or_b32 exec_lo, exec_lo, s5
	s_delay_alu instid0(SALU_CYCLE_1)
	s_and_b32 exec_lo, exec_lo, s2
.LBB876_139:
	v_mov_b32_e32 v5, 0
	ds_store_b64 v5, v[7:8] offset:56
.LBB876_140:
	s_wait_alu 0xfffe
	s_or_b32 exec_lo, exec_lo, s4
	s_wait_dscnt 0x1
	v_cndmask_b32_e64 v12, v86, v25, s3
	v_mov_b32_e32 v5, 0
	s_wait_loadcnt_dscnt 0x0
	s_barrier_signal -1
	s_barrier_wait -1
	global_inv scope:SCOPE_SE
	ds_load_b64 v[9:10], v5 offset:56
	s_wait_loadcnt_dscnt 0x0
	s_barrier_signal -1
	s_barrier_wait -1
	global_inv scope:SCOPE_SE
	v_cndmask_b32_e64 v11, v87, v26, s3
	v_add_nc_u32_e32 v12, v9, v12
	ds_load_b128 v[5:8], v5 offset:13312
	v_add_nc_u32_e32 v11, v10, v11
	v_cndmask_b32_e64 v86, v12, v9, s2
	s_delay_alu instid0(VALU_DEP_2)
	v_cndmask_b32_e64 v29, v11, v10, s2
	s_branch .LBB876_150
.LBB876_141:
	s_wait_dscnt 0x0
	v_mov_b32_dpp v5, v84 row_shr:1 row_mask:0xf bank_mask:0xf
	v_cmp_lt_u32_e32 vcc_lo, 3, v81
	v_mov_b32_dpp v6, v85 row_shr:1 row_mask:0xf bank_mask:0xf
	s_delay_alu instid0(VALU_DEP_3) | instskip(NEXT) | instid1(VALU_DEP_1)
	v_add_nc_u32_e32 v5, v5, v84
	v_cndmask_b32_e64 v5, v5, v84, s1
	s_delay_alu instid0(VALU_DEP_1) | instskip(NEXT) | instid1(VALU_DEP_1)
	v_mov_b32_dpp v7, v5 row_shr:2 row_mask:0xf bank_mask:0xf
	v_add_nc_u32_e32 v7, v5, v7
	s_delay_alu instid0(VALU_DEP_1) | instskip(NEXT) | instid1(VALU_DEP_1)
	v_cndmask_b32_e64 v5, v5, v7, s0
	v_mov_b32_dpp v7, v5 row_shr:4 row_mask:0xf bank_mask:0xf
	s_delay_alu instid0(VALU_DEP_1) | instskip(SKIP_1) | instid1(VALU_DEP_1)
	v_add_nc_u32_e32 v7, v5, v7
	s_wait_alu 0xfffd
	v_dual_cndmask_b32 v7, v5, v7 :: v_dual_add_nc_u32 v6, v6, v85
	s_delay_alu instid0(VALU_DEP_1) | instskip(SKIP_1) | instid1(VALU_DEP_2)
	v_cndmask_b32_e64 v6, v6, v85, s1
	s_mov_b32 s1, exec_lo
	v_mov_b32_dpp v5, v7 row_shr:8 row_mask:0xf bank_mask:0xf
	s_delay_alu instid0(VALU_DEP_2) | instskip(NEXT) | instid1(VALU_DEP_2)
	v_mov_b32_dpp v8, v6 row_shr:2 row_mask:0xf bank_mask:0xf
	v_add_nc_u32_e32 v9, v7, v5
	s_delay_alu instid0(VALU_DEP_2) | instskip(NEXT) | instid1(VALU_DEP_1)
	v_add_nc_u32_e32 v8, v6, v8
	v_cndmask_b32_e64 v6, v6, v8, s0
	s_delay_alu instid0(VALU_DEP_1) | instskip(NEXT) | instid1(VALU_DEP_1)
	v_mov_b32_dpp v8, v6 row_shr:4 row_mask:0xf bank_mask:0xf
	v_add_nc_u32_e32 v8, v6, v8
	s_delay_alu instid0(VALU_DEP_1) | instskip(SKIP_1) | instid1(VALU_DEP_2)
	v_cndmask_b32_e32 v6, v6, v8, vcc_lo
	v_cmp_lt_u32_e32 vcc_lo, 7, v81
	v_mov_b32_dpp v8, v6 row_shr:8 row_mask:0xf bank_mask:0xf
	s_delay_alu instid0(VALU_DEP_1) | instskip(SKIP_1) | instid1(VALU_DEP_1)
	v_add_nc_u32_e32 v5, v6, v8
	s_wait_alu 0xfffd
	v_cndmask_b32_e32 v5, v6, v5, vcc_lo
	v_cndmask_b32_e32 v6, v7, v9, vcc_lo
	v_cmp_eq_u32_e32 vcc_lo, 0, v83
	ds_swizzle_b32 v7, v5 offset:swizzle(BROADCAST,32,15)
	ds_swizzle_b32 v8, v6 offset:swizzle(BROADCAST,32,15)
	s_wait_dscnt 0x1
	v_add_nc_u32_e32 v7, v5, v7
	s_wait_dscnt 0x0
	v_add_nc_u32_e32 v8, v6, v8
	v_cmpx_eq_u32_e64 v0, v82
; %bb.142:
	s_wait_alu 0xfffd
	s_delay_alu instid0(VALU_DEP_2)
	v_dual_cndmask_b32 v9, v8, v6 :: v_dual_cndmask_b32 v10, v7, v5
	v_lshlrev_b32_e32 v11, 3, v80
	ds_store_b64 v11, v[9:10]
; %bb.143:
	s_wait_alu 0xfffe
	s_or_b32 exec_lo, exec_lo, s1
	s_delay_alu instid0(SALU_CYCLE_1)
	s_mov_b32 s1, exec_lo
	s_wait_loadcnt_dscnt 0x0
	s_barrier_signal -1
	s_barrier_wait -1
	global_inv scope:SCOPE_SE
	v_cmpx_gt_u32_e32 8, v0
	s_cbranch_execz .LBB876_145
; %bb.144:
	v_lshlrev_b32_e32 v11, 3, v0
	v_and_b32_e32 v26, 7, v79
	ds_load_b64 v[9:10], v11
	v_cmp_eq_u32_e64 s0, 0, v26
	s_wait_dscnt 0x0
	v_mov_b32_dpp v12, v9 row_shr:1 row_mask:0xf bank_mask:0xf
	v_mov_b32_dpp v25, v10 row_shr:1 row_mask:0xf bank_mask:0xf
	s_delay_alu instid0(VALU_DEP_2) | instskip(NEXT) | instid1(VALU_DEP_2)
	v_add_nc_u32_e32 v12, v12, v9
	v_add_nc_u32_e32 v25, v25, v10
	s_wait_alu 0xf1ff
	s_delay_alu instid0(VALU_DEP_2) | instskip(NEXT) | instid1(VALU_DEP_2)
	v_cndmask_b32_e64 v9, v12, v9, s0
	v_cndmask_b32_e64 v10, v25, v10, s0
	v_cmp_lt_u32_e64 s0, 1, v26
	s_delay_alu instid0(VALU_DEP_3) | instskip(NEXT) | instid1(VALU_DEP_3)
	v_mov_b32_dpp v12, v9 row_shr:2 row_mask:0xf bank_mask:0xf
	v_mov_b32_dpp v25, v10 row_shr:2 row_mask:0xf bank_mask:0xf
	s_delay_alu instid0(VALU_DEP_2) | instskip(NEXT) | instid1(VALU_DEP_2)
	v_add_nc_u32_e32 v12, v9, v12
	v_add_nc_u32_e32 v25, v10, v25
	s_wait_alu 0xf1ff
	s_delay_alu instid0(VALU_DEP_2) | instskip(NEXT) | instid1(VALU_DEP_2)
	v_cndmask_b32_e64 v9, v9, v12, s0
	v_cndmask_b32_e64 v10, v10, v25, s0
	v_cmp_lt_u32_e64 s0, 3, v26
	s_delay_alu instid0(VALU_DEP_3) | instskip(NEXT) | instid1(VALU_DEP_3)
	v_mov_b32_dpp v12, v9 row_shr:4 row_mask:0xf bank_mask:0xf
	v_mov_b32_dpp v25, v10 row_shr:4 row_mask:0xf bank_mask:0xf
	s_wait_alu 0xf1ff
	s_delay_alu instid0(VALU_DEP_2) | instskip(NEXT) | instid1(VALU_DEP_2)
	v_cndmask_b32_e64 v12, 0, v12, s0
	v_cndmask_b32_e64 v25, 0, v25, s0
	s_delay_alu instid0(VALU_DEP_2) | instskip(NEXT) | instid1(VALU_DEP_2)
	v_add_nc_u32_e32 v9, v12, v9
	v_add_nc_u32_e32 v10, v25, v10
	ds_store_b64 v11, v[9:10]
.LBB876_145:
	s_wait_alu 0xfffe
	s_or_b32 exec_lo, exec_lo, s1
	v_dual_mov_b32 v11, 0 :: v_dual_mov_b32 v10, 0
	v_mov_b32_e32 v9, 0
	s_mov_b32 s1, exec_lo
	s_wait_loadcnt_dscnt 0x0
	s_barrier_signal -1
	s_barrier_wait -1
	global_inv scope:SCOPE_SE
	v_cmpx_lt_u32_e32 31, v0
; %bb.146:
	v_lshl_add_u32 v9, v80, 3, -8
	ds_load_b64 v[9:10], v9
; %bb.147:
	s_wait_alu 0xfffe
	s_or_b32 exec_lo, exec_lo, s1
	v_sub_co_u32 v12, s0, v79, 1
	v_dual_cndmask_b32 v6, v8, v6 :: v_dual_cndmask_b32 v5, v7, v5
	s_delay_alu instid0(VALU_DEP_2) | instskip(SKIP_1) | instid1(VALU_DEP_2)
	v_cmp_gt_i32_e64 s1, 0, v12
	s_wait_dscnt 0x0
	v_add_nc_u32_e32 v6, v9, v6
	s_delay_alu instid0(VALU_DEP_3) | instskip(SKIP_2) | instid1(VALU_DEP_1)
	v_add_nc_u32_e32 v5, v10, v5
	s_wait_alu 0xf1ff
	v_cndmask_b32_e64 v8, v12, v79, s1
	v_lshlrev_b32_e32 v7, 2, v8
	ds_bpermute_b32 v12, v7, v6
	ds_bpermute_b32 v25, v7, v5
	ds_load_b64 v[5:6], v11 offset:56
	s_and_saveexec_b32 s1, s2
	s_cbranch_execz .LBB876_149
; %bb.148:
	s_add_nc_u64 s[4:5], s[36:37], 0x200
	v_dual_mov_b32 v7, 2 :: v_dual_mov_b32 v8, 0
	s_wait_alu 0xfffe
	v_dual_mov_b32 v27, s5 :: v_dual_mov_b32 v26, s4
	s_wait_dscnt 0x0
	;;#ASMSTART
	global_store_b128 v[26:27], v[5:8] off scope:SCOPE_DEV	
s_wait_storecnt 0x0
	;;#ASMEND
.LBB876_149:
	s_wait_alu 0xfffe
	s_or_b32 exec_lo, exec_lo, s1
	s_wait_dscnt 0x1
	v_cndmask_b32_e64 v7, v25, v10, s0
	v_cndmask_b32_e64 v9, v12, v9, s0
	v_mov_b32_e32 v8, 0
	s_wait_loadcnt_dscnt 0x0
	s_barrier_signal -1
	v_cndmask_b32_e64 v29, v7, 0, s2
	v_cndmask_b32_e64 v86, v9, 0, s2
	v_mov_b32_e32 v7, 0
	s_barrier_wait -1
	global_inv scope:SCOPE_SE
.LBB876_150:
	v_lshrrev_b32_e32 v81, 8, v54
	s_wait_dscnt 0x0
	v_add_co_u32 v1, vcc_lo, v1, v7
	s_wait_alu 0xfffd
	v_add_co_ci_u32_e64 v2, null, 0, v2, vcc_lo
	v_and_b32_e32 v81, 1, v81
	v_sub_co_u32 v84, vcc_lo, v3, v5
	s_wait_alu 0xfffd
	v_subrev_co_ci_u32_e64 v85, null, 0, v4, vcc_lo
	s_delay_alu instid0(VALU_DEP_3)
	v_cmp_eq_u32_e32 vcc_lo, 1, v81
	v_add_nc_u32_e32 v78, v29, v78
	v_sub_nc_u32_e32 v29, v29, v8
	v_lshlrev_b32_e32 v87, 1, v5
	v_lshrrev_b32_e32 v79, 16, v54
	v_lshrrev_b32_e32 v80, 8, v47
	v_add_nc_u32_e32 v75, v78, v75
	v_sub_nc_u32_e32 v78, v78, v8
	v_add_nc_u32_e32 v29, v29, v5
	v_add3_u32 v90, v87, v6, v46
	v_and_b32_e32 v79, 1, v79
	v_lshrrev_b32_e32 v30, 16, v47
	v_add_nc_u32_e32 v78, v78, v5
	v_add_nc_u32_e32 v77, v86, v77
	v_sub_nc_u32_e32 v86, v86, v7
	v_and_b32_e32 v47, 1, v47
	v_and_b32_e32 v80, 1, v80
	v_and_b32_e32 v30, 1, v30
	v_add_nc_u32_e32 v74, v77, v74
	v_sub_nc_u32_e32 v77, v77, v7
	v_add_nc_u32_e32 v46, v86, v29
	v_lshrrev_b32_e32 v28, 8, v48
	v_lshrrev_b32_e32 v27, 16, v48
	v_and_b32_e32 v48, 1, v48
	v_add_nc_u32_e32 v91, v78, v77
	v_sub_nc_u32_e32 v46, v90, v46
	v_and_b32_e32 v28, 1, v28
	v_lshrrev_b32_e32 v25, 16, v49
	v_lshrrev_b32_e32 v26, 8, v49
	v_sub_nc_u32_e32 v91, v90, v91
	s_wait_alu 0xfffd
	v_cndmask_b32_e32 v29, v46, v29, vcc_lo
	v_cmp_eq_u32_e32 vcc_lo, 1, v79
	v_lshrrev_b32_e32 v12, 8, v51
	v_and_b32_e32 v26, 1, v26
	v_add_nc_u32_e32 v91, 1, v91
	v_lshrrev_b32_e32 v10, 16, v51
	v_lshrrev_b32_e32 v11, 8, v52
	v_and_b32_e32 v12, 1, v12
	v_lshrrev_b32_e32 v9, 16, v52
	s_wait_alu 0xfffd
	v_cndmask_b32_e32 v46, v91, v78, vcc_lo
	v_cmp_eq_u32_e32 vcc_lo, 1, v47
	v_add_nc_u32_e32 v82, v75, v60
	v_sub_nc_u32_e32 v75, v75, v8
	v_and_b32_e32 v60, 1, v60
	v_and_b32_e32 v10, 1, v10
	s_wait_alu 0xfffd
	v_cndmask_b32_e32 v29, v29, v86, vcc_lo
	v_cmp_eq_u32_e32 vcc_lo, 1, v80
	v_add_nc_u32_e32 v75, v75, v5
	v_sub_nc_u32_e32 v80, v82, v8
	v_and_b32_e32 v11, 1, v11
	v_lshlrev_b32_e32 v29, 2, v29
	s_wait_alu 0xfffd
	v_cndmask_b32_e32 v77, v46, v77, vcc_lo
	v_add_nc_u32_e32 v76, v74, v76
	v_sub_nc_u32_e32 v74, v74, v7
	v_add_co_u32 v46, vcc_lo, v84, v8
	s_wait_alu 0xfffd
	v_add_co_ci_u32_e64 v47, null, 0, v85, vcc_lo
	s_delay_alu instid0(VALU_DEP_3)
	v_add_nc_u32_e32 v79, v75, v74
	v_cmp_eq_u32_e32 vcc_lo, 1, v60
	v_add_nc_u32_e32 v83, v76, v59
	v_lshlrev_b32_e32 v77, 2, v77
	ds_store_b32 v29, v23
	ds_store_b32 v77, v24
	v_sub_nc_u32_e32 v79, v90, v79
	v_and_b32_e32 v9, 1, v9
	s_delay_alu instid0(VALU_DEP_2) | instskip(SKIP_1) | instid1(VALU_DEP_1)
	v_add_nc_u32_e32 v79, 2, v79
	s_wait_alu 0xfffd
	v_dual_cndmask_b32 v60, v79, v75 :: v_dual_add_nc_u32 v73, v82, v73
	s_delay_alu instid0(VALU_DEP_1)
	v_add_nc_u32_e32 v72, v73, v72
	v_sub_nc_u32_e32 v75, v76, v7
	v_sub_nc_u32_e32 v73, v73, v8
	v_add_nc_u32_e32 v76, v80, v5
	v_cmp_eq_u32_e32 vcc_lo, 1, v30
	s_wait_alu 0xfffd
	s_delay_alu instid0(VALU_DEP_3)
	v_dual_cndmask_b32 v30, v60, v74 :: v_dual_add_nc_u32 v73, v73, v5
	v_sub_nc_u32_e32 v60, v83, v7
	v_add_nc_u32_e32 v74, v75, v76
	v_cmp_eq_u32_e32 vcc_lo, 1, v48
	v_and_b32_e32 v48, 1, v49
	v_lshlrev_b32_e32 v23, 2, v30
	v_add_nc_u32_e32 v24, v60, v73
	v_sub_nc_u32_e32 v29, v90, v74
	v_and_b32_e32 v30, 1, v59
	v_sub_nc_u32_e32 v59, v72, v8
	ds_store_b32 v23, v21
	v_sub_nc_u32_e32 v24, v90, v24
	v_add_nc_u32_e32 v29, 3, v29
	v_and_b32_e32 v23, 1, v27
	v_add_nc_u32_e32 v59, v59, v5
	s_delay_alu instid0(VALU_DEP_4)
	v_add_nc_u32_e32 v24, 4, v24
	s_wait_alu 0xfffd
	v_cndmask_b32_e32 v29, v29, v76, vcc_lo
	v_cmp_eq_u32_e32 vcc_lo, 1, v28
	s_wait_alu 0xfffd
	v_dual_cndmask_b32 v24, v24, v73 :: v_dual_add_nc_u32 v71, v83, v71
	s_delay_alu instid0(VALU_DEP_1) | instskip(SKIP_2) | instid1(VALU_DEP_3)
	v_add_nc_u32_e32 v69, v71, v69
	v_sub_nc_u32_e32 v71, v71, v7
	v_cmp_eq_u32_e32 vcc_lo, 1, v30
	v_add_nc_u32_e32 v65, v69, v65
	s_delay_alu instid0(VALU_DEP_3)
	v_add_nc_u32_e32 v49, v71, v59
	s_wait_alu 0xfffd
	v_cndmask_b32_e32 v28, v29, v75, vcc_lo
	v_cmp_eq_u32_e32 vcc_lo, 1, v48
	v_add_nc_u32_e32 v89, v65, v57
	v_sub_nc_u32_e32 v29, v90, v49
	s_delay_alu instid0(VALU_DEP_4)
	v_lshlrev_b32_e32 v21, 2, v28
	s_wait_alu 0xfffd
	v_cndmask_b32_e32 v24, v24, v60, vcc_lo
	v_cmp_eq_u32_e32 vcc_lo, 1, v23
	v_sub_nc_u32_e32 v48, v89, v7
	v_add_nc_u32_e32 v27, 5, v29
	v_add_nc_u32_e32 v66, v89, v66
	v_lshlrev_b32_e32 v24, 2, v24
	ds_store_b32 v21, v22
	ds_store_b32 v24, v19
	s_wait_alu 0xfffd
	v_cndmask_b32_e32 v23, v27, v59, vcc_lo
	v_cmp_eq_u32_e32 vcc_lo, 1, v26
	v_sub_nc_u32_e32 v27, v69, v7
	v_sub_nc_u32_e32 v26, v65, v7
	v_and_b32_e32 v24, 1, v58
	v_add_nc_u32_e32 v63, v66, v63
	s_wait_alu 0xfffd
	v_dual_cndmask_b32 v23, v23, v71 :: v_dual_add_nc_u32 v70, v72, v70
	s_delay_alu instid0(VALU_DEP_3) | instskip(SKIP_1) | instid1(VALU_DEP_3)
	v_cmp_eq_u32_e32 vcc_lo, 1, v24
	v_and_b32_e32 v24, 1, v57
	v_lshlrev_b32_e32 v19, 2, v23
	s_delay_alu instid0(VALU_DEP_4) | instskip(SKIP_3) | instid1(VALU_DEP_4)
	v_add_nc_u32_e32 v88, v70, v58
	v_sub_nc_u32_e32 v28, v70, v8
	v_and_b32_e32 v23, 1, v25
	v_add_nc_u32_e32 v62, v63, v62
	v_sub_nc_u32_e32 v29, v88, v8
	s_delay_alu instid0(VALU_DEP_4) | instskip(SKIP_1) | instid1(VALU_DEP_4)
	v_add_nc_u32_e32 v28, v28, v5
	v_add_nc_u32_e32 v68, v88, v68
	;; [unrolled: 1-line block ×3, first 2 shown]
	s_delay_alu instid0(VALU_DEP_4) | instskip(NEXT) | instid1(VALU_DEP_4)
	v_add_nc_u32_e32 v29, v29, v5
	v_add_nc_u32_e32 v30, v27, v28
	s_delay_alu instid0(VALU_DEP_4) | instskip(SKIP_1) | instid1(VALU_DEP_4)
	v_sub_nc_u32_e32 v25, v68, v8
	v_add_nc_u32_e32 v67, v68, v67
	v_add_nc_u32_e32 v21, v26, v29
	s_delay_alu instid0(VALU_DEP_4)
	v_sub_nc_u32_e32 v22, v90, v30
	v_and_b32_e32 v30, 1, v51
	v_add_nc_u32_e32 v25, v25, v5
	v_add_nc_u32_e32 v64, v67, v64
	v_sub_nc_u32_e32 v21, v90, v21
	v_add_nc_u32_e32 v22, 6, v22
	s_delay_alu instid0(VALU_DEP_3) | instskip(SKIP_1) | instid1(VALU_DEP_2)
	v_add_nc_u32_e32 v92, v64, v56
	s_wait_alu 0xfffd
	v_dual_cndmask_b32 v22, v22, v28 :: v_dual_add_nc_u32 v21, 7, v21
	v_cmp_eq_u32_e32 vcc_lo, 1, v30
	v_add_nc_u32_e32 v28, v48, v25
	v_add_nc_u32_e32 v61, v92, v61
	s_wait_alu 0xfffd
	v_cndmask_b32_e32 v21, v21, v29, vcc_lo
	v_cmp_eq_u32_e32 vcc_lo, 1, v23
	v_sub_nc_u32_e32 v23, v90, v28
	s_wait_alu 0xfffd
	v_cndmask_b32_e32 v22, v22, v27, vcc_lo
	v_cmp_eq_u32_e32 vcc_lo, 1, v24
	v_sub_nc_u32_e32 v24, v67, v8
	v_add_nc_u32_e32 v23, 8, v23
	v_sub_nc_u32_e32 v27, v66, v7
	v_lshlrev_b32_e32 v22, 2, v22
	s_wait_alu 0xfffd
	v_dual_cndmask_b32 v21, v21, v26 :: v_dual_add_nc_u32 v24, v24, v5
	v_cmp_eq_u32_e32 vcc_lo, 1, v12
	v_and_b32_e32 v26, 1, v52
	s_delay_alu instid0(VALU_DEP_3)
	v_lshlrev_b32_e32 v21, 2, v21
	ds_store_b32 v19, v20
	ds_store_b32 v22, v17
	;; [unrolled: 1-line block ×3, first 2 shown]
	s_wait_alu 0xfffd
	v_cndmask_b32_e32 v12, v23, v25, vcc_lo
	v_add_nc_u32_e32 v23, v27, v24
	v_cmp_eq_u32_e32 vcc_lo, 1, v26
	v_sub_nc_u32_e32 v18, v64, v8
	v_sub_nc_u32_e32 v19, v63, v7
	;; [unrolled: 1-line block ×4, first 2 shown]
	s_wait_alu 0xfffd
	v_cndmask_b32_e32 v12, v12, v48, vcc_lo
	v_add_nc_u32_e32 v18, v18, v5
	v_cmp_eq_u32_e32 vcc_lo, 1, v10
	v_add_nc_u32_e32 v20, v20, v5
	v_add_nc_u32_e32 v17, 9, v17
	v_lshlrev_b32_e32 v12, 2, v12
	v_add_nc_u32_e32 v21, v19, v18
	v_and_b32_e32 v22, 1, v50
	s_wait_alu 0xfffd
	v_cndmask_b32_e32 v10, v17, v24, vcc_lo
	v_sub_nc_u32_e32 v17, v62, v7
	ds_store_b32 v12, v15
	v_cmp_eq_u32_e32 vcc_lo, 1, v11
	v_sub_nc_u32_e32 v12, v90, v21
	v_and_b32_e32 v15, 1, v56
	v_add_nc_u32_e32 v11, v17, v20
	v_sub_nc_u32_e32 v21, v61, v8
	s_wait_alu 0xfffd
	v_cndmask_b32_e32 v10, v10, v27, vcc_lo
	v_add_nc_u32_e32 v12, 10, v12
	v_cmp_eq_u32_e32 vcc_lo, 1, v15
	v_sub_nc_u32_e32 v11, v90, v11
	v_sub_nc_u32_e32 v7, v78, v7
	v_add_nc_u32_e32 v21, v21, v5
	s_wait_alu 0xfffd
	v_dual_cndmask_b32 v12, v12, v18 :: v_dual_and_b32 v15, 1, v55
	v_add_nc_u32_e32 v11, 11, v11
	v_cmp_eq_u32_e32 vcc_lo, 1, v22
	v_add_nc_u32_e32 v18, v7, v21
	s_wait_alu 0xfffd
	s_delay_alu instid0(VALU_DEP_3)
	v_dual_cndmask_b32 v11, v11, v20 :: v_dual_lshlrev_b32 v10, 2, v10
	v_cmp_eq_u32_e32 vcc_lo, 1, v9
	s_wait_alu 0xfffd
	v_cndmask_b32_e32 v9, v12, v19, vcc_lo
	v_cmp_eq_u32_e32 vcc_lo, 1, v15
	v_sub_nc_u32_e32 v12, v90, v18
	v_and_b32_e32 v15, 1, v53
	s_delay_alu instid0(VALU_DEP_4) | instskip(SKIP_1) | instid1(VALU_DEP_3)
	v_lshlrev_b32_e32 v9, 2, v9
	s_wait_alu 0xfffd
	v_dual_cndmask_b32 v11, v11, v17 :: v_dual_add_nc_u32 v12, 12, v12
	v_and_b32_e32 v17, 1, v54
	v_cmp_eq_u32_e32 vcc_lo, 1, v15
	s_delay_alu instid0(VALU_DEP_3)
	v_lshlrev_b32_e32 v11, 2, v11
	ds_store_b32 v10, v16
	ds_store_b32 v9, v13
	;; [unrolled: 1-line block ×3, first 2 shown]
	s_wait_alu 0xfffd
	v_cndmask_b32_e32 v12, v12, v21, vcc_lo
	v_cmp_eq_u32_e32 vcc_lo, 1, v17
	v_add_co_u32 v9, s0, v6, v87
	s_wait_alu 0xf1ff
	v_add_co_ci_u32_e64 v10, null, 0, 0, s0
	s_wait_alu 0xfffd
	v_cndmask_b32_e32 v7, v12, v7, vcc_lo
	v_add_co_u32 v9, vcc_lo, v9, v46
	s_wait_alu 0xfffd
	v_add_co_ci_u32_e64 v10, null, v10, v47, vcc_lo
	s_delay_alu instid0(VALU_DEP_3)
	v_lshlrev_b32_e32 v7, 2, v7
	v_add_co_u32 v11, s0, s34, v43
	v_add_co_u32 v9, vcc_lo, v9, v1
	s_wait_alu 0xf1ff
	v_add_co_ci_u32_e64 v12, null, s35, 0, s0
	s_wait_alu 0xfffd
	v_add_co_ci_u32_e64 v10, null, v10, v2, vcc_lo
	ds_store_b32 v7, v45
	v_sub_co_u32 v7, vcc_lo, v11, v9
	s_wait_alu 0xfffd
	v_sub_co_ci_u32_e64 v13, null, v12, v10, vcc_lo
	v_lshlrev_b64_e32 v[9:10], 2, v[46:47]
	v_lshlrev_b64_e32 v[11:12], 2, v[1:2]
	v_add_nc_u32_e32 v14, v5, v6
	s_wait_loadcnt_dscnt 0x0
	s_barrier_signal -1
	s_barrier_wait -1
	v_add_co_u32 v9, vcc_lo, s30, v9
	s_wait_alu 0xfffd
	v_add_co_ci_u32_e64 v10, null, s31, v10, vcc_lo
	v_cmp_ne_u32_e32 vcc_lo, 1, v44
	v_add_co_u32 v11, s0, s28, v11
	s_wait_alu 0xf1ff
	v_add_co_ci_u32_e64 v12, null, s29, v12, s0
	s_mov_b32 s0, -1
	global_inv scope:SCOPE_SE
	s_cbranch_vccz .LBB876_154
; %bb.151:
	s_wait_alu 0xfffe
	s_and_b32 vcc_lo, exec_lo, s0
	s_wait_alu 0xfffe
	s_cbranch_vccnz .LBB876_259
.LBB876_152:
	s_and_b32 s0, s2, s26
	s_wait_alu 0xfffe
	s_and_saveexec_b32 s1, s0
	s_cbranch_execnz .LBB876_377
.LBB876_153:
	s_nop 0
	s_sendmsg sendmsg(MSG_DEALLOC_VGPRS)
	s_endpgm
.LBB876_154:
	s_mov_b32 s0, exec_lo
	v_cmpx_ge_u32_e64 v0, v5
	s_wait_alu 0xfffe
	s_xor_b32 s0, exec_lo, s0
	s_cbranch_execz .LBB876_160
; %bb.155:
	s_mov_b32 s1, exec_lo
	v_cmpx_ge_u32_e64 v0, v14
	s_wait_alu 0xfffe
	s_xor_b32 s1, exec_lo, s1
	s_cbranch_execz .LBB876_157
; %bb.156:
	v_lshlrev_b32_e32 v15, 2, v0
	ds_load_b32 v17, v15
	v_add_co_u32 v15, vcc_lo, v7, v0
	s_wait_alu 0xfffd
	v_add_co_ci_u32_e64 v16, null, 0, v13, vcc_lo
	s_delay_alu instid0(VALU_DEP_1) | instskip(NEXT) | instid1(VALU_DEP_1)
	v_lshlrev_b64_e32 v[15:16], 2, v[15:16]
	v_sub_co_u32 v15, vcc_lo, s14, v15
	s_wait_alu 0xfffd
	s_delay_alu instid0(VALU_DEP_2)
	v_sub_co_ci_u32_e64 v16, null, s15, v16, vcc_lo
	s_wait_dscnt 0x0
	global_store_b32 v[15:16], v17, off offset:-4
.LBB876_157:
	s_wait_alu 0xfffe
	s_and_not1_saveexec_b32 s1, s1
	s_cbranch_execz .LBB876_159
; %bb.158:
	v_lshlrev_b32_e32 v15, 2, v0
	v_readfirstlane_b32 s4, v9
	v_readfirstlane_b32 s5, v10
	ds_load_b32 v16, v15
	s_wait_dscnt 0x0
	global_store_b32 v15, v16, s[4:5]
.LBB876_159:
	s_wait_alu 0xfffe
	s_or_b32 exec_lo, exec_lo, s1
.LBB876_160:
	s_wait_alu 0xfffe
	s_and_not1_saveexec_b32 s0, s0
	s_cbranch_execz .LBB876_162
; %bb.161:
	v_lshlrev_b32_e32 v15, 2, v0
	v_readfirstlane_b32 s4, v11
	v_readfirstlane_b32 s5, v12
	ds_load_b32 v16, v15
	s_wait_dscnt 0x0
	global_store_b32 v15, v16, s[4:5]
.LBB876_162:
	s_wait_alu 0xfffe
	s_or_b32 exec_lo, exec_lo, s0
	s_delay_alu instid0(SALU_CYCLE_1)
	s_mov_b32 s0, exec_lo
	v_cmpx_ge_u32_e64 v42, v5
	s_wait_alu 0xfffe
	s_xor_b32 s0, exec_lo, s0
	s_cbranch_execz .LBB876_168
; %bb.163:
	s_mov_b32 s1, exec_lo
	v_cmpx_ge_u32_e64 v42, v14
	s_wait_alu 0xfffe
	s_xor_b32 s1, exec_lo, s1
	s_cbranch_execz .LBB876_165
; %bb.164:
	v_lshlrev_b32_e32 v15, 2, v0
	ds_load_b32 v17, v15 offset:1024
	v_add_co_u32 v15, vcc_lo, v7, v0
	s_wait_alu 0xfffd
	v_add_co_ci_u32_e64 v16, null, 0, v13, vcc_lo
	s_delay_alu instid0(VALU_DEP_1) | instskip(NEXT) | instid1(VALU_DEP_1)
	v_lshlrev_b64_e32 v[15:16], 2, v[15:16]
	v_sub_co_u32 v15, vcc_lo, s14, v15
	s_wait_alu 0xfffd
	s_delay_alu instid0(VALU_DEP_2)
	v_sub_co_ci_u32_e64 v16, null, s15, v16, vcc_lo
	s_wait_dscnt 0x0
	global_store_b32 v[15:16], v17, off offset:-1028
.LBB876_165:
	s_wait_alu 0xfffe
	s_and_not1_saveexec_b32 s1, s1
	s_cbranch_execz .LBB876_167
; %bb.166:
	v_lshlrev_b32_e32 v15, 2, v0
	v_readfirstlane_b32 s4, v9
	v_readfirstlane_b32 s5, v10
	ds_load_b32 v16, v15 offset:1024
	s_wait_dscnt 0x0
	global_store_b32 v15, v16, s[4:5] offset:1024
.LBB876_167:
	s_wait_alu 0xfffe
	s_or_b32 exec_lo, exec_lo, s1
.LBB876_168:
	s_wait_alu 0xfffe
	s_and_not1_saveexec_b32 s0, s0
	s_cbranch_execz .LBB876_170
; %bb.169:
	v_lshlrev_b32_e32 v15, 2, v0
	v_readfirstlane_b32 s4, v11
	v_readfirstlane_b32 s5, v12
	ds_load_b32 v16, v15 offset:1024
	s_wait_dscnt 0x0
	global_store_b32 v15, v16, s[4:5] offset:1024
.LBB876_170:
	s_wait_alu 0xfffe
	s_or_b32 exec_lo, exec_lo, s0
	s_delay_alu instid0(SALU_CYCLE_1)
	s_mov_b32 s0, exec_lo
	v_cmpx_ge_u32_e64 v41, v5
	s_wait_alu 0xfffe
	s_xor_b32 s0, exec_lo, s0
	s_cbranch_execz .LBB876_176
; %bb.171:
	s_mov_b32 s1, exec_lo
	v_cmpx_ge_u32_e64 v41, v14
	s_wait_alu 0xfffe
	s_xor_b32 s1, exec_lo, s1
	s_cbranch_execz .LBB876_173
; %bb.172:
	v_lshlrev_b32_e32 v15, 2, v0
	ds_load_b32 v17, v15 offset:2048
	v_add_co_u32 v15, vcc_lo, v7, v0
	s_wait_alu 0xfffd
	v_add_co_ci_u32_e64 v16, null, 0, v13, vcc_lo
	s_delay_alu instid0(VALU_DEP_1) | instskip(NEXT) | instid1(VALU_DEP_1)
	v_lshlrev_b64_e32 v[15:16], 2, v[15:16]
	v_sub_co_u32 v15, vcc_lo, s14, v15
	s_wait_alu 0xfffd
	s_delay_alu instid0(VALU_DEP_2)
	v_sub_co_ci_u32_e64 v16, null, s15, v16, vcc_lo
	s_wait_dscnt 0x0
	global_store_b32 v[15:16], v17, off offset:-2052
.LBB876_173:
	s_wait_alu 0xfffe
	s_and_not1_saveexec_b32 s1, s1
	s_cbranch_execz .LBB876_175
; %bb.174:
	v_lshlrev_b32_e32 v15, 2, v0
	v_readfirstlane_b32 s4, v9
	v_readfirstlane_b32 s5, v10
	ds_load_b32 v16, v15 offset:2048
	s_wait_dscnt 0x0
	global_store_b32 v15, v16, s[4:5] offset:2048
.LBB876_175:
	s_wait_alu 0xfffe
	s_or_b32 exec_lo, exec_lo, s1
.LBB876_176:
	s_wait_alu 0xfffe
	s_and_not1_saveexec_b32 s0, s0
	s_cbranch_execz .LBB876_178
; %bb.177:
	v_lshlrev_b32_e32 v15, 2, v0
	v_readfirstlane_b32 s4, v11
	v_readfirstlane_b32 s5, v12
	ds_load_b32 v16, v15 offset:2048
	s_wait_dscnt 0x0
	global_store_b32 v15, v16, s[4:5] offset:2048
.LBB876_178:
	;; [unrolled: 54-line block ×12, first 2 shown]
	s_wait_alu 0xfffe
	s_or_b32 exec_lo, exec_lo, s0
	s_branch .LBB876_152
.LBB876_259:
	s_mov_b32 s0, exec_lo
	v_cmpx_gt_u32_e64 s27, v0
	s_cbranch_execz .LBB876_268
; %bb.260:
	s_mov_b32 s1, exec_lo
	v_cmpx_ge_u32_e64 v0, v5
	s_wait_alu 0xfffe
	s_xor_b32 s1, exec_lo, s1
	s_cbranch_execz .LBB876_266
; %bb.261:
	s_mov_b32 s3, exec_lo
	v_cmpx_ge_u32_e64 v0, v14
	s_wait_alu 0xfffe
	s_xor_b32 s3, exec_lo, s3
	s_cbranch_execz .LBB876_263
; %bb.262:
	v_lshlrev_b32_e32 v15, 2, v0
	ds_load_b32 v17, v15
	v_add_co_u32 v15, vcc_lo, v7, v0
	s_wait_alu 0xfffd
	v_add_co_ci_u32_e64 v16, null, 0, v13, vcc_lo
	s_delay_alu instid0(VALU_DEP_1) | instskip(NEXT) | instid1(VALU_DEP_1)
	v_lshlrev_b64_e32 v[15:16], 2, v[15:16]
	v_sub_co_u32 v15, vcc_lo, s14, v15
	s_wait_alu 0xfffd
	s_delay_alu instid0(VALU_DEP_2)
	v_sub_co_ci_u32_e64 v16, null, s15, v16, vcc_lo
	s_wait_dscnt 0x0
	global_store_b32 v[15:16], v17, off offset:-4
.LBB876_263:
	s_wait_alu 0xfffe
	s_and_not1_saveexec_b32 s3, s3
	s_cbranch_execz .LBB876_265
; %bb.264:
	v_lshlrev_b32_e32 v15, 2, v0
	v_readfirstlane_b32 s4, v9
	v_readfirstlane_b32 s5, v10
	ds_load_b32 v16, v15
	s_wait_dscnt 0x0
	global_store_b32 v15, v16, s[4:5]
.LBB876_265:
	s_wait_alu 0xfffe
	s_or_b32 exec_lo, exec_lo, s3
.LBB876_266:
	s_wait_alu 0xfffe
	s_and_not1_saveexec_b32 s1, s1
	s_cbranch_execz .LBB876_268
; %bb.267:
	v_lshlrev_b32_e32 v15, 2, v0
	v_readfirstlane_b32 s4, v11
	v_readfirstlane_b32 s5, v12
	ds_load_b32 v16, v15
	s_wait_dscnt 0x0
	global_store_b32 v15, v16, s[4:5]
.LBB876_268:
	s_wait_alu 0xfffe
	s_or_b32 exec_lo, exec_lo, s0
	s_delay_alu instid0(SALU_CYCLE_1)
	s_mov_b32 s0, exec_lo
	v_cmpx_gt_u32_e64 s27, v42
	s_cbranch_execz .LBB876_277
; %bb.269:
	s_mov_b32 s1, exec_lo
	v_cmpx_ge_u32_e64 v42, v5
	s_wait_alu 0xfffe
	s_xor_b32 s1, exec_lo, s1
	s_cbranch_execz .LBB876_275
; %bb.270:
	s_mov_b32 s3, exec_lo
	v_cmpx_ge_u32_e64 v42, v14
	s_wait_alu 0xfffe
	s_xor_b32 s3, exec_lo, s3
	s_cbranch_execz .LBB876_272
; %bb.271:
	v_lshlrev_b32_e32 v15, 2, v0
	ds_load_b32 v17, v15 offset:1024
	v_add_co_u32 v15, vcc_lo, v7, v0
	s_wait_alu 0xfffd
	v_add_co_ci_u32_e64 v16, null, 0, v13, vcc_lo
	s_delay_alu instid0(VALU_DEP_1) | instskip(NEXT) | instid1(VALU_DEP_1)
	v_lshlrev_b64_e32 v[15:16], 2, v[15:16]
	v_sub_co_u32 v15, vcc_lo, s14, v15
	s_wait_alu 0xfffd
	s_delay_alu instid0(VALU_DEP_2)
	v_sub_co_ci_u32_e64 v16, null, s15, v16, vcc_lo
	s_wait_dscnt 0x0
	global_store_b32 v[15:16], v17, off offset:-1028
.LBB876_272:
	s_wait_alu 0xfffe
	s_and_not1_saveexec_b32 s3, s3
	s_cbranch_execz .LBB876_274
; %bb.273:
	v_lshlrev_b32_e32 v15, 2, v0
	v_readfirstlane_b32 s4, v9
	v_readfirstlane_b32 s5, v10
	ds_load_b32 v16, v15 offset:1024
	s_wait_dscnt 0x0
	global_store_b32 v15, v16, s[4:5] offset:1024
.LBB876_274:
	s_wait_alu 0xfffe
	s_or_b32 exec_lo, exec_lo, s3
.LBB876_275:
	s_wait_alu 0xfffe
	s_and_not1_saveexec_b32 s1, s1
	s_cbranch_execz .LBB876_277
; %bb.276:
	v_lshlrev_b32_e32 v15, 2, v0
	v_readfirstlane_b32 s4, v11
	v_readfirstlane_b32 s5, v12
	ds_load_b32 v16, v15 offset:1024
	s_wait_dscnt 0x0
	global_store_b32 v15, v16, s[4:5] offset:1024
.LBB876_277:
	s_wait_alu 0xfffe
	s_or_b32 exec_lo, exec_lo, s0
	s_delay_alu instid0(SALU_CYCLE_1)
	s_mov_b32 s0, exec_lo
	v_cmpx_gt_u32_e64 s27, v41
	s_cbranch_execz .LBB876_286
; %bb.278:
	s_mov_b32 s1, exec_lo
	v_cmpx_ge_u32_e64 v41, v5
	s_wait_alu 0xfffe
	s_xor_b32 s1, exec_lo, s1
	s_cbranch_execz .LBB876_284
; %bb.279:
	s_mov_b32 s3, exec_lo
	v_cmpx_ge_u32_e64 v41, v14
	s_wait_alu 0xfffe
	s_xor_b32 s3, exec_lo, s3
	s_cbranch_execz .LBB876_281
; %bb.280:
	v_lshlrev_b32_e32 v15, 2, v0
	ds_load_b32 v17, v15 offset:2048
	v_add_co_u32 v15, vcc_lo, v7, v0
	s_wait_alu 0xfffd
	v_add_co_ci_u32_e64 v16, null, 0, v13, vcc_lo
	s_delay_alu instid0(VALU_DEP_1) | instskip(NEXT) | instid1(VALU_DEP_1)
	v_lshlrev_b64_e32 v[15:16], 2, v[15:16]
	v_sub_co_u32 v15, vcc_lo, s14, v15
	s_wait_alu 0xfffd
	s_delay_alu instid0(VALU_DEP_2)
	v_sub_co_ci_u32_e64 v16, null, s15, v16, vcc_lo
	s_wait_dscnt 0x0
	global_store_b32 v[15:16], v17, off offset:-2052
.LBB876_281:
	s_wait_alu 0xfffe
	s_and_not1_saveexec_b32 s3, s3
	s_cbranch_execz .LBB876_283
; %bb.282:
	v_lshlrev_b32_e32 v15, 2, v0
	v_readfirstlane_b32 s4, v9
	v_readfirstlane_b32 s5, v10
	ds_load_b32 v16, v15 offset:2048
	s_wait_dscnt 0x0
	global_store_b32 v15, v16, s[4:5] offset:2048
.LBB876_283:
	s_wait_alu 0xfffe
	s_or_b32 exec_lo, exec_lo, s3
.LBB876_284:
	s_wait_alu 0xfffe
	s_and_not1_saveexec_b32 s1, s1
	s_cbranch_execz .LBB876_286
; %bb.285:
	v_lshlrev_b32_e32 v15, 2, v0
	v_readfirstlane_b32 s4, v11
	v_readfirstlane_b32 s5, v12
	ds_load_b32 v16, v15 offset:2048
	s_wait_dscnt 0x0
	global_store_b32 v15, v16, s[4:5] offset:2048
.LBB876_286:
	;; [unrolled: 58-line block ×11, first 2 shown]
	s_wait_alu 0xfffe
	s_or_b32 exec_lo, exec_lo, s0
	s_delay_alu instid0(SALU_CYCLE_1)
	s_mov_b32 s0, exec_lo
	v_cmpx_gt_u32_e64 s27, v31
	s_cbranch_execz .LBB876_376
; %bb.368:
	s_mov_b32 s1, exec_lo
	v_cmpx_ge_u32_e64 v31, v5
	s_wait_alu 0xfffe
	s_xor_b32 s1, exec_lo, s1
	s_cbranch_execz .LBB876_374
; %bb.369:
	s_mov_b32 s3, exec_lo
	v_cmpx_ge_u32_e64 v31, v14
	s_wait_alu 0xfffe
	s_xor_b32 s3, exec_lo, s3
	s_cbranch_execz .LBB876_371
; %bb.370:
	v_lshlrev_b32_e32 v9, 2, v0
	ds_load_b32 v11, v9 offset:12288
	v_add_co_u32 v9, vcc_lo, v7, v0
	s_wait_alu 0xfffd
	v_add_co_ci_u32_e64 v10, null, 0, v13, vcc_lo
                                        ; implicit-def: $vgpr0
	s_delay_alu instid0(VALU_DEP_1) | instskip(NEXT) | instid1(VALU_DEP_1)
	v_lshlrev_b64_e32 v[9:10], 2, v[9:10]
	v_sub_co_u32 v9, vcc_lo, s14, v9
	s_wait_alu 0xfffd
	s_delay_alu instid0(VALU_DEP_2)
	v_sub_co_ci_u32_e64 v10, null, s15, v10, vcc_lo
	s_wait_dscnt 0x0
	global_store_b32 v[9:10], v11, off offset:-12292
                                        ; implicit-def: $vgpr9_vgpr10
.LBB876_371:
	s_wait_alu 0xfffe
	s_and_not1_saveexec_b32 s3, s3
	s_cbranch_execz .LBB876_373
; %bb.372:
	v_lshlrev_b32_e32 v0, 2, v0
	v_readfirstlane_b32 s4, v9
	v_readfirstlane_b32 s5, v10
	ds_load_b32 v7, v0 offset:12288
	s_wait_dscnt 0x0
	global_store_b32 v0, v7, s[4:5] offset:12288
.LBB876_373:
	s_wait_alu 0xfffe
	s_or_b32 exec_lo, exec_lo, s3
                                        ; implicit-def: $vgpr0
                                        ; implicit-def: $vgpr11_vgpr12
.LBB876_374:
	s_wait_alu 0xfffe
	s_and_not1_saveexec_b32 s1, s1
	s_cbranch_execz .LBB876_376
; %bb.375:
	v_lshlrev_b32_e32 v0, 2, v0
	v_readfirstlane_b32 s4, v11
	v_readfirstlane_b32 s5, v12
	ds_load_b32 v7, v0 offset:12288
	s_wait_dscnt 0x0
	global_store_b32 v0, v7, s[4:5] offset:12288
.LBB876_376:
	s_wait_alu 0xfffe
	s_or_b32 exec_lo, exec_lo, s0
	s_and_b32 s0, s2, s26
	s_wait_alu 0xfffe
	s_and_saveexec_b32 s1, s0
	s_cbranch_execz .LBB876_153
.LBB876_377:
	v_add_co_u32 v0, vcc_lo, v3, v6
	s_wait_alu 0xfffd
	v_add_co_ci_u32_e64 v4, null, 0, v4, vcc_lo
	v_mov_b32_e32 v6, 0
	s_delay_alu instid0(VALU_DEP_3) | instskip(SKIP_1) | instid1(VALU_DEP_3)
	v_add_co_u32 v3, vcc_lo, v0, v8
	s_wait_alu 0xfffd
	v_add_co_ci_u32_e64 v4, null, 0, v4, vcc_lo
	v_add_co_u32 v1, vcc_lo, v1, v5
	s_wait_alu 0xfffd
	v_add_co_ci_u32_e64 v2, null, 0, v2, vcc_lo
	global_store_b128 v6, v[1:4], s[24:25]
	s_nop 0
	s_sendmsg sendmsg(MSG_DEALLOC_VGPRS)
	s_endpgm
.LBB876_378:
	s_add_co_i32 s6, s33, 32
	s_mov_b32 s7, 0
	v_dual_mov_b32 v11, 2 :: v_dual_add_nc_u32 v10, v8, v6
	s_wait_alu 0xfffe
	s_lshl_b64 s[6:7], s[6:7], 4
	v_dual_mov_b32 v12, 0 :: v_dual_add_nc_u32 v9, v7, v5
	s_wait_alu 0xfffe
	s_add_nc_u64 s[6:7], s[36:37], s[6:7]
	s_wait_alu 0xfffe
	v_dual_mov_b32 v28, s7 :: v_dual_mov_b32 v27, s6
	;;#ASMSTART
	global_store_b128 v[27:28], v[9:12] off scope:SCOPE_DEV	
s_wait_storecnt 0x0
	;;#ASMEND
	s_or_b32 exec_lo, exec_lo, s5
	s_and_saveexec_b32 s5, s3
	s_cbranch_execz .LBB876_138
.LBB876_379:
	v_mov_b32_e32 v9, 0
	ds_store_b128 v9, v[5:8] offset:13312
	s_wait_alu 0xfffe
	s_or_b32 exec_lo, exec_lo, s5
	s_delay_alu instid0(SALU_CYCLE_1)
	s_and_b32 exec_lo, exec_lo, s2
	s_cbranch_execnz .LBB876_139
	s_branch .LBB876_140
	.section	.rodata,"a",@progbits
	.p2align	6, 0x0
	.amdhsa_kernel _ZN7rocprim17ROCPRIM_400000_NS6detail17trampoline_kernelINS0_13select_configILj256ELj13ELNS0_17block_load_methodE3ELS4_3ELS4_3ELNS0_20block_scan_algorithmE0ELj4294967295EEENS1_25partition_config_selectorILNS1_17partition_subalgoE4EjNS0_10empty_typeEbEEZZNS1_14partition_implILS8_4ELb0ES6_15HIP_vector_typeIjLj2EENS0_17counting_iteratorIjlEEPS9_SG_NS0_5tupleIJPjSI_NS0_16reverse_iteratorISI_EEEEENSH_IJSG_SG_SG_EEES9_SI_JZNS1_25segmented_radix_sort_implINS0_14default_configELb1EPKsPsPKlPlN2at6native12_GLOBAL__N_18offset_tEEE10hipError_tPvRmT1_PNSt15iterator_traitsIS12_E10value_typeET2_T3_PNS13_IS18_E10value_typeET4_jRbjT5_S1E_jjP12ihipStream_tbEUljE_ZNSN_ISO_Lb1ESQ_SR_ST_SU_SY_EESZ_S10_S11_S12_S16_S17_S18_S1B_S1C_jS1D_jS1E_S1E_jjS1G_bEUljE0_EEESZ_S10_S11_S18_S1C_S1E_T6_T7_T9_mT8_S1G_bDpT10_ENKUlT_T0_E_clISt17integral_constantIbLb0EES1T_IbLb1EEEEDaS1P_S1Q_EUlS1P_E_NS1_11comp_targetILNS1_3genE10ELNS1_11target_archE1200ELNS1_3gpuE4ELNS1_3repE0EEENS1_30default_config_static_selectorELNS0_4arch9wavefront6targetE0EEEvS12_
		.amdhsa_group_segment_fixed_size 13328
		.amdhsa_private_segment_fixed_size 0
		.amdhsa_kernarg_size 184
		.amdhsa_user_sgpr_count 2
		.amdhsa_user_sgpr_dispatch_ptr 0
		.amdhsa_user_sgpr_queue_ptr 0
		.amdhsa_user_sgpr_kernarg_segment_ptr 1
		.amdhsa_user_sgpr_dispatch_id 0
		.amdhsa_user_sgpr_private_segment_size 0
		.amdhsa_wavefront_size32 1
		.amdhsa_uses_dynamic_stack 0
		.amdhsa_enable_private_segment 0
		.amdhsa_system_sgpr_workgroup_id_x 1
		.amdhsa_system_sgpr_workgroup_id_y 0
		.amdhsa_system_sgpr_workgroup_id_z 0
		.amdhsa_system_sgpr_workgroup_info 0
		.amdhsa_system_vgpr_workitem_id 0
		.amdhsa_next_free_vgpr 98
		.amdhsa_next_free_sgpr 55
		.amdhsa_reserve_vcc 1
		.amdhsa_float_round_mode_32 0
		.amdhsa_float_round_mode_16_64 0
		.amdhsa_float_denorm_mode_32 3
		.amdhsa_float_denorm_mode_16_64 3
		.amdhsa_fp16_overflow 0
		.amdhsa_workgroup_processor_mode 1
		.amdhsa_memory_ordered 1
		.amdhsa_forward_progress 1
		.amdhsa_inst_pref_size 151
		.amdhsa_round_robin_scheduling 0
		.amdhsa_exception_fp_ieee_invalid_op 0
		.amdhsa_exception_fp_denorm_src 0
		.amdhsa_exception_fp_ieee_div_zero 0
		.amdhsa_exception_fp_ieee_overflow 0
		.amdhsa_exception_fp_ieee_underflow 0
		.amdhsa_exception_fp_ieee_inexact 0
		.amdhsa_exception_int_div_zero 0
	.end_amdhsa_kernel
	.section	.text._ZN7rocprim17ROCPRIM_400000_NS6detail17trampoline_kernelINS0_13select_configILj256ELj13ELNS0_17block_load_methodE3ELS4_3ELS4_3ELNS0_20block_scan_algorithmE0ELj4294967295EEENS1_25partition_config_selectorILNS1_17partition_subalgoE4EjNS0_10empty_typeEbEEZZNS1_14partition_implILS8_4ELb0ES6_15HIP_vector_typeIjLj2EENS0_17counting_iteratorIjlEEPS9_SG_NS0_5tupleIJPjSI_NS0_16reverse_iteratorISI_EEEEENSH_IJSG_SG_SG_EEES9_SI_JZNS1_25segmented_radix_sort_implINS0_14default_configELb1EPKsPsPKlPlN2at6native12_GLOBAL__N_18offset_tEEE10hipError_tPvRmT1_PNSt15iterator_traitsIS12_E10value_typeET2_T3_PNS13_IS18_E10value_typeET4_jRbjT5_S1E_jjP12ihipStream_tbEUljE_ZNSN_ISO_Lb1ESQ_SR_ST_SU_SY_EESZ_S10_S11_S12_S16_S17_S18_S1B_S1C_jS1D_jS1E_S1E_jjS1G_bEUljE0_EEESZ_S10_S11_S18_S1C_S1E_T6_T7_T9_mT8_S1G_bDpT10_ENKUlT_T0_E_clISt17integral_constantIbLb0EES1T_IbLb1EEEEDaS1P_S1Q_EUlS1P_E_NS1_11comp_targetILNS1_3genE10ELNS1_11target_archE1200ELNS1_3gpuE4ELNS1_3repE0EEENS1_30default_config_static_selectorELNS0_4arch9wavefront6targetE0EEEvS12_,"axG",@progbits,_ZN7rocprim17ROCPRIM_400000_NS6detail17trampoline_kernelINS0_13select_configILj256ELj13ELNS0_17block_load_methodE3ELS4_3ELS4_3ELNS0_20block_scan_algorithmE0ELj4294967295EEENS1_25partition_config_selectorILNS1_17partition_subalgoE4EjNS0_10empty_typeEbEEZZNS1_14partition_implILS8_4ELb0ES6_15HIP_vector_typeIjLj2EENS0_17counting_iteratorIjlEEPS9_SG_NS0_5tupleIJPjSI_NS0_16reverse_iteratorISI_EEEEENSH_IJSG_SG_SG_EEES9_SI_JZNS1_25segmented_radix_sort_implINS0_14default_configELb1EPKsPsPKlPlN2at6native12_GLOBAL__N_18offset_tEEE10hipError_tPvRmT1_PNSt15iterator_traitsIS12_E10value_typeET2_T3_PNS13_IS18_E10value_typeET4_jRbjT5_S1E_jjP12ihipStream_tbEUljE_ZNSN_ISO_Lb1ESQ_SR_ST_SU_SY_EESZ_S10_S11_S12_S16_S17_S18_S1B_S1C_jS1D_jS1E_S1E_jjS1G_bEUljE0_EEESZ_S10_S11_S18_S1C_S1E_T6_T7_T9_mT8_S1G_bDpT10_ENKUlT_T0_E_clISt17integral_constantIbLb0EES1T_IbLb1EEEEDaS1P_S1Q_EUlS1P_E_NS1_11comp_targetILNS1_3genE10ELNS1_11target_archE1200ELNS1_3gpuE4ELNS1_3repE0EEENS1_30default_config_static_selectorELNS0_4arch9wavefront6targetE0EEEvS12_,comdat
.Lfunc_end876:
	.size	_ZN7rocprim17ROCPRIM_400000_NS6detail17trampoline_kernelINS0_13select_configILj256ELj13ELNS0_17block_load_methodE3ELS4_3ELS4_3ELNS0_20block_scan_algorithmE0ELj4294967295EEENS1_25partition_config_selectorILNS1_17partition_subalgoE4EjNS0_10empty_typeEbEEZZNS1_14partition_implILS8_4ELb0ES6_15HIP_vector_typeIjLj2EENS0_17counting_iteratorIjlEEPS9_SG_NS0_5tupleIJPjSI_NS0_16reverse_iteratorISI_EEEEENSH_IJSG_SG_SG_EEES9_SI_JZNS1_25segmented_radix_sort_implINS0_14default_configELb1EPKsPsPKlPlN2at6native12_GLOBAL__N_18offset_tEEE10hipError_tPvRmT1_PNSt15iterator_traitsIS12_E10value_typeET2_T3_PNS13_IS18_E10value_typeET4_jRbjT5_S1E_jjP12ihipStream_tbEUljE_ZNSN_ISO_Lb1ESQ_SR_ST_SU_SY_EESZ_S10_S11_S12_S16_S17_S18_S1B_S1C_jS1D_jS1E_S1E_jjS1G_bEUljE0_EEESZ_S10_S11_S18_S1C_S1E_T6_T7_T9_mT8_S1G_bDpT10_ENKUlT_T0_E_clISt17integral_constantIbLb0EES1T_IbLb1EEEEDaS1P_S1Q_EUlS1P_E_NS1_11comp_targetILNS1_3genE10ELNS1_11target_archE1200ELNS1_3gpuE4ELNS1_3repE0EEENS1_30default_config_static_selectorELNS0_4arch9wavefront6targetE0EEEvS12_, .Lfunc_end876-_ZN7rocprim17ROCPRIM_400000_NS6detail17trampoline_kernelINS0_13select_configILj256ELj13ELNS0_17block_load_methodE3ELS4_3ELS4_3ELNS0_20block_scan_algorithmE0ELj4294967295EEENS1_25partition_config_selectorILNS1_17partition_subalgoE4EjNS0_10empty_typeEbEEZZNS1_14partition_implILS8_4ELb0ES6_15HIP_vector_typeIjLj2EENS0_17counting_iteratorIjlEEPS9_SG_NS0_5tupleIJPjSI_NS0_16reverse_iteratorISI_EEEEENSH_IJSG_SG_SG_EEES9_SI_JZNS1_25segmented_radix_sort_implINS0_14default_configELb1EPKsPsPKlPlN2at6native12_GLOBAL__N_18offset_tEEE10hipError_tPvRmT1_PNSt15iterator_traitsIS12_E10value_typeET2_T3_PNS13_IS18_E10value_typeET4_jRbjT5_S1E_jjP12ihipStream_tbEUljE_ZNSN_ISO_Lb1ESQ_SR_ST_SU_SY_EESZ_S10_S11_S12_S16_S17_S18_S1B_S1C_jS1D_jS1E_S1E_jjS1G_bEUljE0_EEESZ_S10_S11_S18_S1C_S1E_T6_T7_T9_mT8_S1G_bDpT10_ENKUlT_T0_E_clISt17integral_constantIbLb0EES1T_IbLb1EEEEDaS1P_S1Q_EUlS1P_E_NS1_11comp_targetILNS1_3genE10ELNS1_11target_archE1200ELNS1_3gpuE4ELNS1_3repE0EEENS1_30default_config_static_selectorELNS0_4arch9wavefront6targetE0EEEvS12_
                                        ; -- End function
	.set _ZN7rocprim17ROCPRIM_400000_NS6detail17trampoline_kernelINS0_13select_configILj256ELj13ELNS0_17block_load_methodE3ELS4_3ELS4_3ELNS0_20block_scan_algorithmE0ELj4294967295EEENS1_25partition_config_selectorILNS1_17partition_subalgoE4EjNS0_10empty_typeEbEEZZNS1_14partition_implILS8_4ELb0ES6_15HIP_vector_typeIjLj2EENS0_17counting_iteratorIjlEEPS9_SG_NS0_5tupleIJPjSI_NS0_16reverse_iteratorISI_EEEEENSH_IJSG_SG_SG_EEES9_SI_JZNS1_25segmented_radix_sort_implINS0_14default_configELb1EPKsPsPKlPlN2at6native12_GLOBAL__N_18offset_tEEE10hipError_tPvRmT1_PNSt15iterator_traitsIS12_E10value_typeET2_T3_PNS13_IS18_E10value_typeET4_jRbjT5_S1E_jjP12ihipStream_tbEUljE_ZNSN_ISO_Lb1ESQ_SR_ST_SU_SY_EESZ_S10_S11_S12_S16_S17_S18_S1B_S1C_jS1D_jS1E_S1E_jjS1G_bEUljE0_EEESZ_S10_S11_S18_S1C_S1E_T6_T7_T9_mT8_S1G_bDpT10_ENKUlT_T0_E_clISt17integral_constantIbLb0EES1T_IbLb1EEEEDaS1P_S1Q_EUlS1P_E_NS1_11comp_targetILNS1_3genE10ELNS1_11target_archE1200ELNS1_3gpuE4ELNS1_3repE0EEENS1_30default_config_static_selectorELNS0_4arch9wavefront6targetE0EEEvS12_.num_vgpr, 98
	.set _ZN7rocprim17ROCPRIM_400000_NS6detail17trampoline_kernelINS0_13select_configILj256ELj13ELNS0_17block_load_methodE3ELS4_3ELS4_3ELNS0_20block_scan_algorithmE0ELj4294967295EEENS1_25partition_config_selectorILNS1_17partition_subalgoE4EjNS0_10empty_typeEbEEZZNS1_14partition_implILS8_4ELb0ES6_15HIP_vector_typeIjLj2EENS0_17counting_iteratorIjlEEPS9_SG_NS0_5tupleIJPjSI_NS0_16reverse_iteratorISI_EEEEENSH_IJSG_SG_SG_EEES9_SI_JZNS1_25segmented_radix_sort_implINS0_14default_configELb1EPKsPsPKlPlN2at6native12_GLOBAL__N_18offset_tEEE10hipError_tPvRmT1_PNSt15iterator_traitsIS12_E10value_typeET2_T3_PNS13_IS18_E10value_typeET4_jRbjT5_S1E_jjP12ihipStream_tbEUljE_ZNSN_ISO_Lb1ESQ_SR_ST_SU_SY_EESZ_S10_S11_S12_S16_S17_S18_S1B_S1C_jS1D_jS1E_S1E_jjS1G_bEUljE0_EEESZ_S10_S11_S18_S1C_S1E_T6_T7_T9_mT8_S1G_bDpT10_ENKUlT_T0_E_clISt17integral_constantIbLb0EES1T_IbLb1EEEEDaS1P_S1Q_EUlS1P_E_NS1_11comp_targetILNS1_3genE10ELNS1_11target_archE1200ELNS1_3gpuE4ELNS1_3repE0EEENS1_30default_config_static_selectorELNS0_4arch9wavefront6targetE0EEEvS12_.num_agpr, 0
	.set _ZN7rocprim17ROCPRIM_400000_NS6detail17trampoline_kernelINS0_13select_configILj256ELj13ELNS0_17block_load_methodE3ELS4_3ELS4_3ELNS0_20block_scan_algorithmE0ELj4294967295EEENS1_25partition_config_selectorILNS1_17partition_subalgoE4EjNS0_10empty_typeEbEEZZNS1_14partition_implILS8_4ELb0ES6_15HIP_vector_typeIjLj2EENS0_17counting_iteratorIjlEEPS9_SG_NS0_5tupleIJPjSI_NS0_16reverse_iteratorISI_EEEEENSH_IJSG_SG_SG_EEES9_SI_JZNS1_25segmented_radix_sort_implINS0_14default_configELb1EPKsPsPKlPlN2at6native12_GLOBAL__N_18offset_tEEE10hipError_tPvRmT1_PNSt15iterator_traitsIS12_E10value_typeET2_T3_PNS13_IS18_E10value_typeET4_jRbjT5_S1E_jjP12ihipStream_tbEUljE_ZNSN_ISO_Lb1ESQ_SR_ST_SU_SY_EESZ_S10_S11_S12_S16_S17_S18_S1B_S1C_jS1D_jS1E_S1E_jjS1G_bEUljE0_EEESZ_S10_S11_S18_S1C_S1E_T6_T7_T9_mT8_S1G_bDpT10_ENKUlT_T0_E_clISt17integral_constantIbLb0EES1T_IbLb1EEEEDaS1P_S1Q_EUlS1P_E_NS1_11comp_targetILNS1_3genE10ELNS1_11target_archE1200ELNS1_3gpuE4ELNS1_3repE0EEENS1_30default_config_static_selectorELNS0_4arch9wavefront6targetE0EEEvS12_.numbered_sgpr, 55
	.set _ZN7rocprim17ROCPRIM_400000_NS6detail17trampoline_kernelINS0_13select_configILj256ELj13ELNS0_17block_load_methodE3ELS4_3ELS4_3ELNS0_20block_scan_algorithmE0ELj4294967295EEENS1_25partition_config_selectorILNS1_17partition_subalgoE4EjNS0_10empty_typeEbEEZZNS1_14partition_implILS8_4ELb0ES6_15HIP_vector_typeIjLj2EENS0_17counting_iteratorIjlEEPS9_SG_NS0_5tupleIJPjSI_NS0_16reverse_iteratorISI_EEEEENSH_IJSG_SG_SG_EEES9_SI_JZNS1_25segmented_radix_sort_implINS0_14default_configELb1EPKsPsPKlPlN2at6native12_GLOBAL__N_18offset_tEEE10hipError_tPvRmT1_PNSt15iterator_traitsIS12_E10value_typeET2_T3_PNS13_IS18_E10value_typeET4_jRbjT5_S1E_jjP12ihipStream_tbEUljE_ZNSN_ISO_Lb1ESQ_SR_ST_SU_SY_EESZ_S10_S11_S12_S16_S17_S18_S1B_S1C_jS1D_jS1E_S1E_jjS1G_bEUljE0_EEESZ_S10_S11_S18_S1C_S1E_T6_T7_T9_mT8_S1G_bDpT10_ENKUlT_T0_E_clISt17integral_constantIbLb0EES1T_IbLb1EEEEDaS1P_S1Q_EUlS1P_E_NS1_11comp_targetILNS1_3genE10ELNS1_11target_archE1200ELNS1_3gpuE4ELNS1_3repE0EEENS1_30default_config_static_selectorELNS0_4arch9wavefront6targetE0EEEvS12_.num_named_barrier, 0
	.set _ZN7rocprim17ROCPRIM_400000_NS6detail17trampoline_kernelINS0_13select_configILj256ELj13ELNS0_17block_load_methodE3ELS4_3ELS4_3ELNS0_20block_scan_algorithmE0ELj4294967295EEENS1_25partition_config_selectorILNS1_17partition_subalgoE4EjNS0_10empty_typeEbEEZZNS1_14partition_implILS8_4ELb0ES6_15HIP_vector_typeIjLj2EENS0_17counting_iteratorIjlEEPS9_SG_NS0_5tupleIJPjSI_NS0_16reverse_iteratorISI_EEEEENSH_IJSG_SG_SG_EEES9_SI_JZNS1_25segmented_radix_sort_implINS0_14default_configELb1EPKsPsPKlPlN2at6native12_GLOBAL__N_18offset_tEEE10hipError_tPvRmT1_PNSt15iterator_traitsIS12_E10value_typeET2_T3_PNS13_IS18_E10value_typeET4_jRbjT5_S1E_jjP12ihipStream_tbEUljE_ZNSN_ISO_Lb1ESQ_SR_ST_SU_SY_EESZ_S10_S11_S12_S16_S17_S18_S1B_S1C_jS1D_jS1E_S1E_jjS1G_bEUljE0_EEESZ_S10_S11_S18_S1C_S1E_T6_T7_T9_mT8_S1G_bDpT10_ENKUlT_T0_E_clISt17integral_constantIbLb0EES1T_IbLb1EEEEDaS1P_S1Q_EUlS1P_E_NS1_11comp_targetILNS1_3genE10ELNS1_11target_archE1200ELNS1_3gpuE4ELNS1_3repE0EEENS1_30default_config_static_selectorELNS0_4arch9wavefront6targetE0EEEvS12_.private_seg_size, 0
	.set _ZN7rocprim17ROCPRIM_400000_NS6detail17trampoline_kernelINS0_13select_configILj256ELj13ELNS0_17block_load_methodE3ELS4_3ELS4_3ELNS0_20block_scan_algorithmE0ELj4294967295EEENS1_25partition_config_selectorILNS1_17partition_subalgoE4EjNS0_10empty_typeEbEEZZNS1_14partition_implILS8_4ELb0ES6_15HIP_vector_typeIjLj2EENS0_17counting_iteratorIjlEEPS9_SG_NS0_5tupleIJPjSI_NS0_16reverse_iteratorISI_EEEEENSH_IJSG_SG_SG_EEES9_SI_JZNS1_25segmented_radix_sort_implINS0_14default_configELb1EPKsPsPKlPlN2at6native12_GLOBAL__N_18offset_tEEE10hipError_tPvRmT1_PNSt15iterator_traitsIS12_E10value_typeET2_T3_PNS13_IS18_E10value_typeET4_jRbjT5_S1E_jjP12ihipStream_tbEUljE_ZNSN_ISO_Lb1ESQ_SR_ST_SU_SY_EESZ_S10_S11_S12_S16_S17_S18_S1B_S1C_jS1D_jS1E_S1E_jjS1G_bEUljE0_EEESZ_S10_S11_S18_S1C_S1E_T6_T7_T9_mT8_S1G_bDpT10_ENKUlT_T0_E_clISt17integral_constantIbLb0EES1T_IbLb1EEEEDaS1P_S1Q_EUlS1P_E_NS1_11comp_targetILNS1_3genE10ELNS1_11target_archE1200ELNS1_3gpuE4ELNS1_3repE0EEENS1_30default_config_static_selectorELNS0_4arch9wavefront6targetE0EEEvS12_.uses_vcc, 1
	.set _ZN7rocprim17ROCPRIM_400000_NS6detail17trampoline_kernelINS0_13select_configILj256ELj13ELNS0_17block_load_methodE3ELS4_3ELS4_3ELNS0_20block_scan_algorithmE0ELj4294967295EEENS1_25partition_config_selectorILNS1_17partition_subalgoE4EjNS0_10empty_typeEbEEZZNS1_14partition_implILS8_4ELb0ES6_15HIP_vector_typeIjLj2EENS0_17counting_iteratorIjlEEPS9_SG_NS0_5tupleIJPjSI_NS0_16reverse_iteratorISI_EEEEENSH_IJSG_SG_SG_EEES9_SI_JZNS1_25segmented_radix_sort_implINS0_14default_configELb1EPKsPsPKlPlN2at6native12_GLOBAL__N_18offset_tEEE10hipError_tPvRmT1_PNSt15iterator_traitsIS12_E10value_typeET2_T3_PNS13_IS18_E10value_typeET4_jRbjT5_S1E_jjP12ihipStream_tbEUljE_ZNSN_ISO_Lb1ESQ_SR_ST_SU_SY_EESZ_S10_S11_S12_S16_S17_S18_S1B_S1C_jS1D_jS1E_S1E_jjS1G_bEUljE0_EEESZ_S10_S11_S18_S1C_S1E_T6_T7_T9_mT8_S1G_bDpT10_ENKUlT_T0_E_clISt17integral_constantIbLb0EES1T_IbLb1EEEEDaS1P_S1Q_EUlS1P_E_NS1_11comp_targetILNS1_3genE10ELNS1_11target_archE1200ELNS1_3gpuE4ELNS1_3repE0EEENS1_30default_config_static_selectorELNS0_4arch9wavefront6targetE0EEEvS12_.uses_flat_scratch, 0
	.set _ZN7rocprim17ROCPRIM_400000_NS6detail17trampoline_kernelINS0_13select_configILj256ELj13ELNS0_17block_load_methodE3ELS4_3ELS4_3ELNS0_20block_scan_algorithmE0ELj4294967295EEENS1_25partition_config_selectorILNS1_17partition_subalgoE4EjNS0_10empty_typeEbEEZZNS1_14partition_implILS8_4ELb0ES6_15HIP_vector_typeIjLj2EENS0_17counting_iteratorIjlEEPS9_SG_NS0_5tupleIJPjSI_NS0_16reverse_iteratorISI_EEEEENSH_IJSG_SG_SG_EEES9_SI_JZNS1_25segmented_radix_sort_implINS0_14default_configELb1EPKsPsPKlPlN2at6native12_GLOBAL__N_18offset_tEEE10hipError_tPvRmT1_PNSt15iterator_traitsIS12_E10value_typeET2_T3_PNS13_IS18_E10value_typeET4_jRbjT5_S1E_jjP12ihipStream_tbEUljE_ZNSN_ISO_Lb1ESQ_SR_ST_SU_SY_EESZ_S10_S11_S12_S16_S17_S18_S1B_S1C_jS1D_jS1E_S1E_jjS1G_bEUljE0_EEESZ_S10_S11_S18_S1C_S1E_T6_T7_T9_mT8_S1G_bDpT10_ENKUlT_T0_E_clISt17integral_constantIbLb0EES1T_IbLb1EEEEDaS1P_S1Q_EUlS1P_E_NS1_11comp_targetILNS1_3genE10ELNS1_11target_archE1200ELNS1_3gpuE4ELNS1_3repE0EEENS1_30default_config_static_selectorELNS0_4arch9wavefront6targetE0EEEvS12_.has_dyn_sized_stack, 0
	.set _ZN7rocprim17ROCPRIM_400000_NS6detail17trampoline_kernelINS0_13select_configILj256ELj13ELNS0_17block_load_methodE3ELS4_3ELS4_3ELNS0_20block_scan_algorithmE0ELj4294967295EEENS1_25partition_config_selectorILNS1_17partition_subalgoE4EjNS0_10empty_typeEbEEZZNS1_14partition_implILS8_4ELb0ES6_15HIP_vector_typeIjLj2EENS0_17counting_iteratorIjlEEPS9_SG_NS0_5tupleIJPjSI_NS0_16reverse_iteratorISI_EEEEENSH_IJSG_SG_SG_EEES9_SI_JZNS1_25segmented_radix_sort_implINS0_14default_configELb1EPKsPsPKlPlN2at6native12_GLOBAL__N_18offset_tEEE10hipError_tPvRmT1_PNSt15iterator_traitsIS12_E10value_typeET2_T3_PNS13_IS18_E10value_typeET4_jRbjT5_S1E_jjP12ihipStream_tbEUljE_ZNSN_ISO_Lb1ESQ_SR_ST_SU_SY_EESZ_S10_S11_S12_S16_S17_S18_S1B_S1C_jS1D_jS1E_S1E_jjS1G_bEUljE0_EEESZ_S10_S11_S18_S1C_S1E_T6_T7_T9_mT8_S1G_bDpT10_ENKUlT_T0_E_clISt17integral_constantIbLb0EES1T_IbLb1EEEEDaS1P_S1Q_EUlS1P_E_NS1_11comp_targetILNS1_3genE10ELNS1_11target_archE1200ELNS1_3gpuE4ELNS1_3repE0EEENS1_30default_config_static_selectorELNS0_4arch9wavefront6targetE0EEEvS12_.has_recursion, 0
	.set _ZN7rocprim17ROCPRIM_400000_NS6detail17trampoline_kernelINS0_13select_configILj256ELj13ELNS0_17block_load_methodE3ELS4_3ELS4_3ELNS0_20block_scan_algorithmE0ELj4294967295EEENS1_25partition_config_selectorILNS1_17partition_subalgoE4EjNS0_10empty_typeEbEEZZNS1_14partition_implILS8_4ELb0ES6_15HIP_vector_typeIjLj2EENS0_17counting_iteratorIjlEEPS9_SG_NS0_5tupleIJPjSI_NS0_16reverse_iteratorISI_EEEEENSH_IJSG_SG_SG_EEES9_SI_JZNS1_25segmented_radix_sort_implINS0_14default_configELb1EPKsPsPKlPlN2at6native12_GLOBAL__N_18offset_tEEE10hipError_tPvRmT1_PNSt15iterator_traitsIS12_E10value_typeET2_T3_PNS13_IS18_E10value_typeET4_jRbjT5_S1E_jjP12ihipStream_tbEUljE_ZNSN_ISO_Lb1ESQ_SR_ST_SU_SY_EESZ_S10_S11_S12_S16_S17_S18_S1B_S1C_jS1D_jS1E_S1E_jjS1G_bEUljE0_EEESZ_S10_S11_S18_S1C_S1E_T6_T7_T9_mT8_S1G_bDpT10_ENKUlT_T0_E_clISt17integral_constantIbLb0EES1T_IbLb1EEEEDaS1P_S1Q_EUlS1P_E_NS1_11comp_targetILNS1_3genE10ELNS1_11target_archE1200ELNS1_3gpuE4ELNS1_3repE0EEENS1_30default_config_static_selectorELNS0_4arch9wavefront6targetE0EEEvS12_.has_indirect_call, 0
	.section	.AMDGPU.csdata,"",@progbits
; Kernel info:
; codeLenInByte = 19208
; TotalNumSgprs: 57
; NumVgprs: 98
; ScratchSize: 0
; MemoryBound: 0
; FloatMode: 240
; IeeeMode: 1
; LDSByteSize: 13328 bytes/workgroup (compile time only)
; SGPRBlocks: 0
; VGPRBlocks: 12
; NumSGPRsForWavesPerEU: 57
; NumVGPRsForWavesPerEU: 98
; Occupancy: 12
; WaveLimiterHint : 1
; COMPUTE_PGM_RSRC2:SCRATCH_EN: 0
; COMPUTE_PGM_RSRC2:USER_SGPR: 2
; COMPUTE_PGM_RSRC2:TRAP_HANDLER: 0
; COMPUTE_PGM_RSRC2:TGID_X_EN: 1
; COMPUTE_PGM_RSRC2:TGID_Y_EN: 0
; COMPUTE_PGM_RSRC2:TGID_Z_EN: 0
; COMPUTE_PGM_RSRC2:TIDIG_COMP_CNT: 0
	.section	.text._ZN7rocprim17ROCPRIM_400000_NS6detail17trampoline_kernelINS0_13select_configILj256ELj13ELNS0_17block_load_methodE3ELS4_3ELS4_3ELNS0_20block_scan_algorithmE0ELj4294967295EEENS1_25partition_config_selectorILNS1_17partition_subalgoE4EjNS0_10empty_typeEbEEZZNS1_14partition_implILS8_4ELb0ES6_15HIP_vector_typeIjLj2EENS0_17counting_iteratorIjlEEPS9_SG_NS0_5tupleIJPjSI_NS0_16reverse_iteratorISI_EEEEENSH_IJSG_SG_SG_EEES9_SI_JZNS1_25segmented_radix_sort_implINS0_14default_configELb1EPKsPsPKlPlN2at6native12_GLOBAL__N_18offset_tEEE10hipError_tPvRmT1_PNSt15iterator_traitsIS12_E10value_typeET2_T3_PNS13_IS18_E10value_typeET4_jRbjT5_S1E_jjP12ihipStream_tbEUljE_ZNSN_ISO_Lb1ESQ_SR_ST_SU_SY_EESZ_S10_S11_S12_S16_S17_S18_S1B_S1C_jS1D_jS1E_S1E_jjS1G_bEUljE0_EEESZ_S10_S11_S18_S1C_S1E_T6_T7_T9_mT8_S1G_bDpT10_ENKUlT_T0_E_clISt17integral_constantIbLb0EES1T_IbLb1EEEEDaS1P_S1Q_EUlS1P_E_NS1_11comp_targetILNS1_3genE9ELNS1_11target_archE1100ELNS1_3gpuE3ELNS1_3repE0EEENS1_30default_config_static_selectorELNS0_4arch9wavefront6targetE0EEEvS12_,"axG",@progbits,_ZN7rocprim17ROCPRIM_400000_NS6detail17trampoline_kernelINS0_13select_configILj256ELj13ELNS0_17block_load_methodE3ELS4_3ELS4_3ELNS0_20block_scan_algorithmE0ELj4294967295EEENS1_25partition_config_selectorILNS1_17partition_subalgoE4EjNS0_10empty_typeEbEEZZNS1_14partition_implILS8_4ELb0ES6_15HIP_vector_typeIjLj2EENS0_17counting_iteratorIjlEEPS9_SG_NS0_5tupleIJPjSI_NS0_16reverse_iteratorISI_EEEEENSH_IJSG_SG_SG_EEES9_SI_JZNS1_25segmented_radix_sort_implINS0_14default_configELb1EPKsPsPKlPlN2at6native12_GLOBAL__N_18offset_tEEE10hipError_tPvRmT1_PNSt15iterator_traitsIS12_E10value_typeET2_T3_PNS13_IS18_E10value_typeET4_jRbjT5_S1E_jjP12ihipStream_tbEUljE_ZNSN_ISO_Lb1ESQ_SR_ST_SU_SY_EESZ_S10_S11_S12_S16_S17_S18_S1B_S1C_jS1D_jS1E_S1E_jjS1G_bEUljE0_EEESZ_S10_S11_S18_S1C_S1E_T6_T7_T9_mT8_S1G_bDpT10_ENKUlT_T0_E_clISt17integral_constantIbLb0EES1T_IbLb1EEEEDaS1P_S1Q_EUlS1P_E_NS1_11comp_targetILNS1_3genE9ELNS1_11target_archE1100ELNS1_3gpuE3ELNS1_3repE0EEENS1_30default_config_static_selectorELNS0_4arch9wavefront6targetE0EEEvS12_,comdat
	.globl	_ZN7rocprim17ROCPRIM_400000_NS6detail17trampoline_kernelINS0_13select_configILj256ELj13ELNS0_17block_load_methodE3ELS4_3ELS4_3ELNS0_20block_scan_algorithmE0ELj4294967295EEENS1_25partition_config_selectorILNS1_17partition_subalgoE4EjNS0_10empty_typeEbEEZZNS1_14partition_implILS8_4ELb0ES6_15HIP_vector_typeIjLj2EENS0_17counting_iteratorIjlEEPS9_SG_NS0_5tupleIJPjSI_NS0_16reverse_iteratorISI_EEEEENSH_IJSG_SG_SG_EEES9_SI_JZNS1_25segmented_radix_sort_implINS0_14default_configELb1EPKsPsPKlPlN2at6native12_GLOBAL__N_18offset_tEEE10hipError_tPvRmT1_PNSt15iterator_traitsIS12_E10value_typeET2_T3_PNS13_IS18_E10value_typeET4_jRbjT5_S1E_jjP12ihipStream_tbEUljE_ZNSN_ISO_Lb1ESQ_SR_ST_SU_SY_EESZ_S10_S11_S12_S16_S17_S18_S1B_S1C_jS1D_jS1E_S1E_jjS1G_bEUljE0_EEESZ_S10_S11_S18_S1C_S1E_T6_T7_T9_mT8_S1G_bDpT10_ENKUlT_T0_E_clISt17integral_constantIbLb0EES1T_IbLb1EEEEDaS1P_S1Q_EUlS1P_E_NS1_11comp_targetILNS1_3genE9ELNS1_11target_archE1100ELNS1_3gpuE3ELNS1_3repE0EEENS1_30default_config_static_selectorELNS0_4arch9wavefront6targetE0EEEvS12_ ; -- Begin function _ZN7rocprim17ROCPRIM_400000_NS6detail17trampoline_kernelINS0_13select_configILj256ELj13ELNS0_17block_load_methodE3ELS4_3ELS4_3ELNS0_20block_scan_algorithmE0ELj4294967295EEENS1_25partition_config_selectorILNS1_17partition_subalgoE4EjNS0_10empty_typeEbEEZZNS1_14partition_implILS8_4ELb0ES6_15HIP_vector_typeIjLj2EENS0_17counting_iteratorIjlEEPS9_SG_NS0_5tupleIJPjSI_NS0_16reverse_iteratorISI_EEEEENSH_IJSG_SG_SG_EEES9_SI_JZNS1_25segmented_radix_sort_implINS0_14default_configELb1EPKsPsPKlPlN2at6native12_GLOBAL__N_18offset_tEEE10hipError_tPvRmT1_PNSt15iterator_traitsIS12_E10value_typeET2_T3_PNS13_IS18_E10value_typeET4_jRbjT5_S1E_jjP12ihipStream_tbEUljE_ZNSN_ISO_Lb1ESQ_SR_ST_SU_SY_EESZ_S10_S11_S12_S16_S17_S18_S1B_S1C_jS1D_jS1E_S1E_jjS1G_bEUljE0_EEESZ_S10_S11_S18_S1C_S1E_T6_T7_T9_mT8_S1G_bDpT10_ENKUlT_T0_E_clISt17integral_constantIbLb0EES1T_IbLb1EEEEDaS1P_S1Q_EUlS1P_E_NS1_11comp_targetILNS1_3genE9ELNS1_11target_archE1100ELNS1_3gpuE3ELNS1_3repE0EEENS1_30default_config_static_selectorELNS0_4arch9wavefront6targetE0EEEvS12_
	.p2align	8
	.type	_ZN7rocprim17ROCPRIM_400000_NS6detail17trampoline_kernelINS0_13select_configILj256ELj13ELNS0_17block_load_methodE3ELS4_3ELS4_3ELNS0_20block_scan_algorithmE0ELj4294967295EEENS1_25partition_config_selectorILNS1_17partition_subalgoE4EjNS0_10empty_typeEbEEZZNS1_14partition_implILS8_4ELb0ES6_15HIP_vector_typeIjLj2EENS0_17counting_iteratorIjlEEPS9_SG_NS0_5tupleIJPjSI_NS0_16reverse_iteratorISI_EEEEENSH_IJSG_SG_SG_EEES9_SI_JZNS1_25segmented_radix_sort_implINS0_14default_configELb1EPKsPsPKlPlN2at6native12_GLOBAL__N_18offset_tEEE10hipError_tPvRmT1_PNSt15iterator_traitsIS12_E10value_typeET2_T3_PNS13_IS18_E10value_typeET4_jRbjT5_S1E_jjP12ihipStream_tbEUljE_ZNSN_ISO_Lb1ESQ_SR_ST_SU_SY_EESZ_S10_S11_S12_S16_S17_S18_S1B_S1C_jS1D_jS1E_S1E_jjS1G_bEUljE0_EEESZ_S10_S11_S18_S1C_S1E_T6_T7_T9_mT8_S1G_bDpT10_ENKUlT_T0_E_clISt17integral_constantIbLb0EES1T_IbLb1EEEEDaS1P_S1Q_EUlS1P_E_NS1_11comp_targetILNS1_3genE9ELNS1_11target_archE1100ELNS1_3gpuE3ELNS1_3repE0EEENS1_30default_config_static_selectorELNS0_4arch9wavefront6targetE0EEEvS12_,@function
_ZN7rocprim17ROCPRIM_400000_NS6detail17trampoline_kernelINS0_13select_configILj256ELj13ELNS0_17block_load_methodE3ELS4_3ELS4_3ELNS0_20block_scan_algorithmE0ELj4294967295EEENS1_25partition_config_selectorILNS1_17partition_subalgoE4EjNS0_10empty_typeEbEEZZNS1_14partition_implILS8_4ELb0ES6_15HIP_vector_typeIjLj2EENS0_17counting_iteratorIjlEEPS9_SG_NS0_5tupleIJPjSI_NS0_16reverse_iteratorISI_EEEEENSH_IJSG_SG_SG_EEES9_SI_JZNS1_25segmented_radix_sort_implINS0_14default_configELb1EPKsPsPKlPlN2at6native12_GLOBAL__N_18offset_tEEE10hipError_tPvRmT1_PNSt15iterator_traitsIS12_E10value_typeET2_T3_PNS13_IS18_E10value_typeET4_jRbjT5_S1E_jjP12ihipStream_tbEUljE_ZNSN_ISO_Lb1ESQ_SR_ST_SU_SY_EESZ_S10_S11_S12_S16_S17_S18_S1B_S1C_jS1D_jS1E_S1E_jjS1G_bEUljE0_EEESZ_S10_S11_S18_S1C_S1E_T6_T7_T9_mT8_S1G_bDpT10_ENKUlT_T0_E_clISt17integral_constantIbLb0EES1T_IbLb1EEEEDaS1P_S1Q_EUlS1P_E_NS1_11comp_targetILNS1_3genE9ELNS1_11target_archE1100ELNS1_3gpuE3ELNS1_3repE0EEENS1_30default_config_static_selectorELNS0_4arch9wavefront6targetE0EEEvS12_: ; @_ZN7rocprim17ROCPRIM_400000_NS6detail17trampoline_kernelINS0_13select_configILj256ELj13ELNS0_17block_load_methodE3ELS4_3ELS4_3ELNS0_20block_scan_algorithmE0ELj4294967295EEENS1_25partition_config_selectorILNS1_17partition_subalgoE4EjNS0_10empty_typeEbEEZZNS1_14partition_implILS8_4ELb0ES6_15HIP_vector_typeIjLj2EENS0_17counting_iteratorIjlEEPS9_SG_NS0_5tupleIJPjSI_NS0_16reverse_iteratorISI_EEEEENSH_IJSG_SG_SG_EEES9_SI_JZNS1_25segmented_radix_sort_implINS0_14default_configELb1EPKsPsPKlPlN2at6native12_GLOBAL__N_18offset_tEEE10hipError_tPvRmT1_PNSt15iterator_traitsIS12_E10value_typeET2_T3_PNS13_IS18_E10value_typeET4_jRbjT5_S1E_jjP12ihipStream_tbEUljE_ZNSN_ISO_Lb1ESQ_SR_ST_SU_SY_EESZ_S10_S11_S12_S16_S17_S18_S1B_S1C_jS1D_jS1E_S1E_jjS1G_bEUljE0_EEESZ_S10_S11_S18_S1C_S1E_T6_T7_T9_mT8_S1G_bDpT10_ENKUlT_T0_E_clISt17integral_constantIbLb0EES1T_IbLb1EEEEDaS1P_S1Q_EUlS1P_E_NS1_11comp_targetILNS1_3genE9ELNS1_11target_archE1100ELNS1_3gpuE3ELNS1_3repE0EEENS1_30default_config_static_selectorELNS0_4arch9wavefront6targetE0EEEvS12_
; %bb.0:
	.section	.rodata,"a",@progbits
	.p2align	6, 0x0
	.amdhsa_kernel _ZN7rocprim17ROCPRIM_400000_NS6detail17trampoline_kernelINS0_13select_configILj256ELj13ELNS0_17block_load_methodE3ELS4_3ELS4_3ELNS0_20block_scan_algorithmE0ELj4294967295EEENS1_25partition_config_selectorILNS1_17partition_subalgoE4EjNS0_10empty_typeEbEEZZNS1_14partition_implILS8_4ELb0ES6_15HIP_vector_typeIjLj2EENS0_17counting_iteratorIjlEEPS9_SG_NS0_5tupleIJPjSI_NS0_16reverse_iteratorISI_EEEEENSH_IJSG_SG_SG_EEES9_SI_JZNS1_25segmented_radix_sort_implINS0_14default_configELb1EPKsPsPKlPlN2at6native12_GLOBAL__N_18offset_tEEE10hipError_tPvRmT1_PNSt15iterator_traitsIS12_E10value_typeET2_T3_PNS13_IS18_E10value_typeET4_jRbjT5_S1E_jjP12ihipStream_tbEUljE_ZNSN_ISO_Lb1ESQ_SR_ST_SU_SY_EESZ_S10_S11_S12_S16_S17_S18_S1B_S1C_jS1D_jS1E_S1E_jjS1G_bEUljE0_EEESZ_S10_S11_S18_S1C_S1E_T6_T7_T9_mT8_S1G_bDpT10_ENKUlT_T0_E_clISt17integral_constantIbLb0EES1T_IbLb1EEEEDaS1P_S1Q_EUlS1P_E_NS1_11comp_targetILNS1_3genE9ELNS1_11target_archE1100ELNS1_3gpuE3ELNS1_3repE0EEENS1_30default_config_static_selectorELNS0_4arch9wavefront6targetE0EEEvS12_
		.amdhsa_group_segment_fixed_size 0
		.amdhsa_private_segment_fixed_size 0
		.amdhsa_kernarg_size 184
		.amdhsa_user_sgpr_count 2
		.amdhsa_user_sgpr_dispatch_ptr 0
		.amdhsa_user_sgpr_queue_ptr 0
		.amdhsa_user_sgpr_kernarg_segment_ptr 1
		.amdhsa_user_sgpr_dispatch_id 0
		.amdhsa_user_sgpr_private_segment_size 0
		.amdhsa_wavefront_size32 1
		.amdhsa_uses_dynamic_stack 0
		.amdhsa_enable_private_segment 0
		.amdhsa_system_sgpr_workgroup_id_x 1
		.amdhsa_system_sgpr_workgroup_id_y 0
		.amdhsa_system_sgpr_workgroup_id_z 0
		.amdhsa_system_sgpr_workgroup_info 0
		.amdhsa_system_vgpr_workitem_id 0
		.amdhsa_next_free_vgpr 1
		.amdhsa_next_free_sgpr 1
		.amdhsa_reserve_vcc 0
		.amdhsa_float_round_mode_32 0
		.amdhsa_float_round_mode_16_64 0
		.amdhsa_float_denorm_mode_32 3
		.amdhsa_float_denorm_mode_16_64 3
		.amdhsa_fp16_overflow 0
		.amdhsa_workgroup_processor_mode 1
		.amdhsa_memory_ordered 1
		.amdhsa_forward_progress 1
		.amdhsa_inst_pref_size 0
		.amdhsa_round_robin_scheduling 0
		.amdhsa_exception_fp_ieee_invalid_op 0
		.amdhsa_exception_fp_denorm_src 0
		.amdhsa_exception_fp_ieee_div_zero 0
		.amdhsa_exception_fp_ieee_overflow 0
		.amdhsa_exception_fp_ieee_underflow 0
		.amdhsa_exception_fp_ieee_inexact 0
		.amdhsa_exception_int_div_zero 0
	.end_amdhsa_kernel
	.section	.text._ZN7rocprim17ROCPRIM_400000_NS6detail17trampoline_kernelINS0_13select_configILj256ELj13ELNS0_17block_load_methodE3ELS4_3ELS4_3ELNS0_20block_scan_algorithmE0ELj4294967295EEENS1_25partition_config_selectorILNS1_17partition_subalgoE4EjNS0_10empty_typeEbEEZZNS1_14partition_implILS8_4ELb0ES6_15HIP_vector_typeIjLj2EENS0_17counting_iteratorIjlEEPS9_SG_NS0_5tupleIJPjSI_NS0_16reverse_iteratorISI_EEEEENSH_IJSG_SG_SG_EEES9_SI_JZNS1_25segmented_radix_sort_implINS0_14default_configELb1EPKsPsPKlPlN2at6native12_GLOBAL__N_18offset_tEEE10hipError_tPvRmT1_PNSt15iterator_traitsIS12_E10value_typeET2_T3_PNS13_IS18_E10value_typeET4_jRbjT5_S1E_jjP12ihipStream_tbEUljE_ZNSN_ISO_Lb1ESQ_SR_ST_SU_SY_EESZ_S10_S11_S12_S16_S17_S18_S1B_S1C_jS1D_jS1E_S1E_jjS1G_bEUljE0_EEESZ_S10_S11_S18_S1C_S1E_T6_T7_T9_mT8_S1G_bDpT10_ENKUlT_T0_E_clISt17integral_constantIbLb0EES1T_IbLb1EEEEDaS1P_S1Q_EUlS1P_E_NS1_11comp_targetILNS1_3genE9ELNS1_11target_archE1100ELNS1_3gpuE3ELNS1_3repE0EEENS1_30default_config_static_selectorELNS0_4arch9wavefront6targetE0EEEvS12_,"axG",@progbits,_ZN7rocprim17ROCPRIM_400000_NS6detail17trampoline_kernelINS0_13select_configILj256ELj13ELNS0_17block_load_methodE3ELS4_3ELS4_3ELNS0_20block_scan_algorithmE0ELj4294967295EEENS1_25partition_config_selectorILNS1_17partition_subalgoE4EjNS0_10empty_typeEbEEZZNS1_14partition_implILS8_4ELb0ES6_15HIP_vector_typeIjLj2EENS0_17counting_iteratorIjlEEPS9_SG_NS0_5tupleIJPjSI_NS0_16reverse_iteratorISI_EEEEENSH_IJSG_SG_SG_EEES9_SI_JZNS1_25segmented_radix_sort_implINS0_14default_configELb1EPKsPsPKlPlN2at6native12_GLOBAL__N_18offset_tEEE10hipError_tPvRmT1_PNSt15iterator_traitsIS12_E10value_typeET2_T3_PNS13_IS18_E10value_typeET4_jRbjT5_S1E_jjP12ihipStream_tbEUljE_ZNSN_ISO_Lb1ESQ_SR_ST_SU_SY_EESZ_S10_S11_S12_S16_S17_S18_S1B_S1C_jS1D_jS1E_S1E_jjS1G_bEUljE0_EEESZ_S10_S11_S18_S1C_S1E_T6_T7_T9_mT8_S1G_bDpT10_ENKUlT_T0_E_clISt17integral_constantIbLb0EES1T_IbLb1EEEEDaS1P_S1Q_EUlS1P_E_NS1_11comp_targetILNS1_3genE9ELNS1_11target_archE1100ELNS1_3gpuE3ELNS1_3repE0EEENS1_30default_config_static_selectorELNS0_4arch9wavefront6targetE0EEEvS12_,comdat
.Lfunc_end877:
	.size	_ZN7rocprim17ROCPRIM_400000_NS6detail17trampoline_kernelINS0_13select_configILj256ELj13ELNS0_17block_load_methodE3ELS4_3ELS4_3ELNS0_20block_scan_algorithmE0ELj4294967295EEENS1_25partition_config_selectorILNS1_17partition_subalgoE4EjNS0_10empty_typeEbEEZZNS1_14partition_implILS8_4ELb0ES6_15HIP_vector_typeIjLj2EENS0_17counting_iteratorIjlEEPS9_SG_NS0_5tupleIJPjSI_NS0_16reverse_iteratorISI_EEEEENSH_IJSG_SG_SG_EEES9_SI_JZNS1_25segmented_radix_sort_implINS0_14default_configELb1EPKsPsPKlPlN2at6native12_GLOBAL__N_18offset_tEEE10hipError_tPvRmT1_PNSt15iterator_traitsIS12_E10value_typeET2_T3_PNS13_IS18_E10value_typeET4_jRbjT5_S1E_jjP12ihipStream_tbEUljE_ZNSN_ISO_Lb1ESQ_SR_ST_SU_SY_EESZ_S10_S11_S12_S16_S17_S18_S1B_S1C_jS1D_jS1E_S1E_jjS1G_bEUljE0_EEESZ_S10_S11_S18_S1C_S1E_T6_T7_T9_mT8_S1G_bDpT10_ENKUlT_T0_E_clISt17integral_constantIbLb0EES1T_IbLb1EEEEDaS1P_S1Q_EUlS1P_E_NS1_11comp_targetILNS1_3genE9ELNS1_11target_archE1100ELNS1_3gpuE3ELNS1_3repE0EEENS1_30default_config_static_selectorELNS0_4arch9wavefront6targetE0EEEvS12_, .Lfunc_end877-_ZN7rocprim17ROCPRIM_400000_NS6detail17trampoline_kernelINS0_13select_configILj256ELj13ELNS0_17block_load_methodE3ELS4_3ELS4_3ELNS0_20block_scan_algorithmE0ELj4294967295EEENS1_25partition_config_selectorILNS1_17partition_subalgoE4EjNS0_10empty_typeEbEEZZNS1_14partition_implILS8_4ELb0ES6_15HIP_vector_typeIjLj2EENS0_17counting_iteratorIjlEEPS9_SG_NS0_5tupleIJPjSI_NS0_16reverse_iteratorISI_EEEEENSH_IJSG_SG_SG_EEES9_SI_JZNS1_25segmented_radix_sort_implINS0_14default_configELb1EPKsPsPKlPlN2at6native12_GLOBAL__N_18offset_tEEE10hipError_tPvRmT1_PNSt15iterator_traitsIS12_E10value_typeET2_T3_PNS13_IS18_E10value_typeET4_jRbjT5_S1E_jjP12ihipStream_tbEUljE_ZNSN_ISO_Lb1ESQ_SR_ST_SU_SY_EESZ_S10_S11_S12_S16_S17_S18_S1B_S1C_jS1D_jS1E_S1E_jjS1G_bEUljE0_EEESZ_S10_S11_S18_S1C_S1E_T6_T7_T9_mT8_S1G_bDpT10_ENKUlT_T0_E_clISt17integral_constantIbLb0EES1T_IbLb1EEEEDaS1P_S1Q_EUlS1P_E_NS1_11comp_targetILNS1_3genE9ELNS1_11target_archE1100ELNS1_3gpuE3ELNS1_3repE0EEENS1_30default_config_static_selectorELNS0_4arch9wavefront6targetE0EEEvS12_
                                        ; -- End function
	.set _ZN7rocprim17ROCPRIM_400000_NS6detail17trampoline_kernelINS0_13select_configILj256ELj13ELNS0_17block_load_methodE3ELS4_3ELS4_3ELNS0_20block_scan_algorithmE0ELj4294967295EEENS1_25partition_config_selectorILNS1_17partition_subalgoE4EjNS0_10empty_typeEbEEZZNS1_14partition_implILS8_4ELb0ES6_15HIP_vector_typeIjLj2EENS0_17counting_iteratorIjlEEPS9_SG_NS0_5tupleIJPjSI_NS0_16reverse_iteratorISI_EEEEENSH_IJSG_SG_SG_EEES9_SI_JZNS1_25segmented_radix_sort_implINS0_14default_configELb1EPKsPsPKlPlN2at6native12_GLOBAL__N_18offset_tEEE10hipError_tPvRmT1_PNSt15iterator_traitsIS12_E10value_typeET2_T3_PNS13_IS18_E10value_typeET4_jRbjT5_S1E_jjP12ihipStream_tbEUljE_ZNSN_ISO_Lb1ESQ_SR_ST_SU_SY_EESZ_S10_S11_S12_S16_S17_S18_S1B_S1C_jS1D_jS1E_S1E_jjS1G_bEUljE0_EEESZ_S10_S11_S18_S1C_S1E_T6_T7_T9_mT8_S1G_bDpT10_ENKUlT_T0_E_clISt17integral_constantIbLb0EES1T_IbLb1EEEEDaS1P_S1Q_EUlS1P_E_NS1_11comp_targetILNS1_3genE9ELNS1_11target_archE1100ELNS1_3gpuE3ELNS1_3repE0EEENS1_30default_config_static_selectorELNS0_4arch9wavefront6targetE0EEEvS12_.num_vgpr, 0
	.set _ZN7rocprim17ROCPRIM_400000_NS6detail17trampoline_kernelINS0_13select_configILj256ELj13ELNS0_17block_load_methodE3ELS4_3ELS4_3ELNS0_20block_scan_algorithmE0ELj4294967295EEENS1_25partition_config_selectorILNS1_17partition_subalgoE4EjNS0_10empty_typeEbEEZZNS1_14partition_implILS8_4ELb0ES6_15HIP_vector_typeIjLj2EENS0_17counting_iteratorIjlEEPS9_SG_NS0_5tupleIJPjSI_NS0_16reverse_iteratorISI_EEEEENSH_IJSG_SG_SG_EEES9_SI_JZNS1_25segmented_radix_sort_implINS0_14default_configELb1EPKsPsPKlPlN2at6native12_GLOBAL__N_18offset_tEEE10hipError_tPvRmT1_PNSt15iterator_traitsIS12_E10value_typeET2_T3_PNS13_IS18_E10value_typeET4_jRbjT5_S1E_jjP12ihipStream_tbEUljE_ZNSN_ISO_Lb1ESQ_SR_ST_SU_SY_EESZ_S10_S11_S12_S16_S17_S18_S1B_S1C_jS1D_jS1E_S1E_jjS1G_bEUljE0_EEESZ_S10_S11_S18_S1C_S1E_T6_T7_T9_mT8_S1G_bDpT10_ENKUlT_T0_E_clISt17integral_constantIbLb0EES1T_IbLb1EEEEDaS1P_S1Q_EUlS1P_E_NS1_11comp_targetILNS1_3genE9ELNS1_11target_archE1100ELNS1_3gpuE3ELNS1_3repE0EEENS1_30default_config_static_selectorELNS0_4arch9wavefront6targetE0EEEvS12_.num_agpr, 0
	.set _ZN7rocprim17ROCPRIM_400000_NS6detail17trampoline_kernelINS0_13select_configILj256ELj13ELNS0_17block_load_methodE3ELS4_3ELS4_3ELNS0_20block_scan_algorithmE0ELj4294967295EEENS1_25partition_config_selectorILNS1_17partition_subalgoE4EjNS0_10empty_typeEbEEZZNS1_14partition_implILS8_4ELb0ES6_15HIP_vector_typeIjLj2EENS0_17counting_iteratorIjlEEPS9_SG_NS0_5tupleIJPjSI_NS0_16reverse_iteratorISI_EEEEENSH_IJSG_SG_SG_EEES9_SI_JZNS1_25segmented_radix_sort_implINS0_14default_configELb1EPKsPsPKlPlN2at6native12_GLOBAL__N_18offset_tEEE10hipError_tPvRmT1_PNSt15iterator_traitsIS12_E10value_typeET2_T3_PNS13_IS18_E10value_typeET4_jRbjT5_S1E_jjP12ihipStream_tbEUljE_ZNSN_ISO_Lb1ESQ_SR_ST_SU_SY_EESZ_S10_S11_S12_S16_S17_S18_S1B_S1C_jS1D_jS1E_S1E_jjS1G_bEUljE0_EEESZ_S10_S11_S18_S1C_S1E_T6_T7_T9_mT8_S1G_bDpT10_ENKUlT_T0_E_clISt17integral_constantIbLb0EES1T_IbLb1EEEEDaS1P_S1Q_EUlS1P_E_NS1_11comp_targetILNS1_3genE9ELNS1_11target_archE1100ELNS1_3gpuE3ELNS1_3repE0EEENS1_30default_config_static_selectorELNS0_4arch9wavefront6targetE0EEEvS12_.numbered_sgpr, 0
	.set _ZN7rocprim17ROCPRIM_400000_NS6detail17trampoline_kernelINS0_13select_configILj256ELj13ELNS0_17block_load_methodE3ELS4_3ELS4_3ELNS0_20block_scan_algorithmE0ELj4294967295EEENS1_25partition_config_selectorILNS1_17partition_subalgoE4EjNS0_10empty_typeEbEEZZNS1_14partition_implILS8_4ELb0ES6_15HIP_vector_typeIjLj2EENS0_17counting_iteratorIjlEEPS9_SG_NS0_5tupleIJPjSI_NS0_16reverse_iteratorISI_EEEEENSH_IJSG_SG_SG_EEES9_SI_JZNS1_25segmented_radix_sort_implINS0_14default_configELb1EPKsPsPKlPlN2at6native12_GLOBAL__N_18offset_tEEE10hipError_tPvRmT1_PNSt15iterator_traitsIS12_E10value_typeET2_T3_PNS13_IS18_E10value_typeET4_jRbjT5_S1E_jjP12ihipStream_tbEUljE_ZNSN_ISO_Lb1ESQ_SR_ST_SU_SY_EESZ_S10_S11_S12_S16_S17_S18_S1B_S1C_jS1D_jS1E_S1E_jjS1G_bEUljE0_EEESZ_S10_S11_S18_S1C_S1E_T6_T7_T9_mT8_S1G_bDpT10_ENKUlT_T0_E_clISt17integral_constantIbLb0EES1T_IbLb1EEEEDaS1P_S1Q_EUlS1P_E_NS1_11comp_targetILNS1_3genE9ELNS1_11target_archE1100ELNS1_3gpuE3ELNS1_3repE0EEENS1_30default_config_static_selectorELNS0_4arch9wavefront6targetE0EEEvS12_.num_named_barrier, 0
	.set _ZN7rocprim17ROCPRIM_400000_NS6detail17trampoline_kernelINS0_13select_configILj256ELj13ELNS0_17block_load_methodE3ELS4_3ELS4_3ELNS0_20block_scan_algorithmE0ELj4294967295EEENS1_25partition_config_selectorILNS1_17partition_subalgoE4EjNS0_10empty_typeEbEEZZNS1_14partition_implILS8_4ELb0ES6_15HIP_vector_typeIjLj2EENS0_17counting_iteratorIjlEEPS9_SG_NS0_5tupleIJPjSI_NS0_16reverse_iteratorISI_EEEEENSH_IJSG_SG_SG_EEES9_SI_JZNS1_25segmented_radix_sort_implINS0_14default_configELb1EPKsPsPKlPlN2at6native12_GLOBAL__N_18offset_tEEE10hipError_tPvRmT1_PNSt15iterator_traitsIS12_E10value_typeET2_T3_PNS13_IS18_E10value_typeET4_jRbjT5_S1E_jjP12ihipStream_tbEUljE_ZNSN_ISO_Lb1ESQ_SR_ST_SU_SY_EESZ_S10_S11_S12_S16_S17_S18_S1B_S1C_jS1D_jS1E_S1E_jjS1G_bEUljE0_EEESZ_S10_S11_S18_S1C_S1E_T6_T7_T9_mT8_S1G_bDpT10_ENKUlT_T0_E_clISt17integral_constantIbLb0EES1T_IbLb1EEEEDaS1P_S1Q_EUlS1P_E_NS1_11comp_targetILNS1_3genE9ELNS1_11target_archE1100ELNS1_3gpuE3ELNS1_3repE0EEENS1_30default_config_static_selectorELNS0_4arch9wavefront6targetE0EEEvS12_.private_seg_size, 0
	.set _ZN7rocprim17ROCPRIM_400000_NS6detail17trampoline_kernelINS0_13select_configILj256ELj13ELNS0_17block_load_methodE3ELS4_3ELS4_3ELNS0_20block_scan_algorithmE0ELj4294967295EEENS1_25partition_config_selectorILNS1_17partition_subalgoE4EjNS0_10empty_typeEbEEZZNS1_14partition_implILS8_4ELb0ES6_15HIP_vector_typeIjLj2EENS0_17counting_iteratorIjlEEPS9_SG_NS0_5tupleIJPjSI_NS0_16reverse_iteratorISI_EEEEENSH_IJSG_SG_SG_EEES9_SI_JZNS1_25segmented_radix_sort_implINS0_14default_configELb1EPKsPsPKlPlN2at6native12_GLOBAL__N_18offset_tEEE10hipError_tPvRmT1_PNSt15iterator_traitsIS12_E10value_typeET2_T3_PNS13_IS18_E10value_typeET4_jRbjT5_S1E_jjP12ihipStream_tbEUljE_ZNSN_ISO_Lb1ESQ_SR_ST_SU_SY_EESZ_S10_S11_S12_S16_S17_S18_S1B_S1C_jS1D_jS1E_S1E_jjS1G_bEUljE0_EEESZ_S10_S11_S18_S1C_S1E_T6_T7_T9_mT8_S1G_bDpT10_ENKUlT_T0_E_clISt17integral_constantIbLb0EES1T_IbLb1EEEEDaS1P_S1Q_EUlS1P_E_NS1_11comp_targetILNS1_3genE9ELNS1_11target_archE1100ELNS1_3gpuE3ELNS1_3repE0EEENS1_30default_config_static_selectorELNS0_4arch9wavefront6targetE0EEEvS12_.uses_vcc, 0
	.set _ZN7rocprim17ROCPRIM_400000_NS6detail17trampoline_kernelINS0_13select_configILj256ELj13ELNS0_17block_load_methodE3ELS4_3ELS4_3ELNS0_20block_scan_algorithmE0ELj4294967295EEENS1_25partition_config_selectorILNS1_17partition_subalgoE4EjNS0_10empty_typeEbEEZZNS1_14partition_implILS8_4ELb0ES6_15HIP_vector_typeIjLj2EENS0_17counting_iteratorIjlEEPS9_SG_NS0_5tupleIJPjSI_NS0_16reverse_iteratorISI_EEEEENSH_IJSG_SG_SG_EEES9_SI_JZNS1_25segmented_radix_sort_implINS0_14default_configELb1EPKsPsPKlPlN2at6native12_GLOBAL__N_18offset_tEEE10hipError_tPvRmT1_PNSt15iterator_traitsIS12_E10value_typeET2_T3_PNS13_IS18_E10value_typeET4_jRbjT5_S1E_jjP12ihipStream_tbEUljE_ZNSN_ISO_Lb1ESQ_SR_ST_SU_SY_EESZ_S10_S11_S12_S16_S17_S18_S1B_S1C_jS1D_jS1E_S1E_jjS1G_bEUljE0_EEESZ_S10_S11_S18_S1C_S1E_T6_T7_T9_mT8_S1G_bDpT10_ENKUlT_T0_E_clISt17integral_constantIbLb0EES1T_IbLb1EEEEDaS1P_S1Q_EUlS1P_E_NS1_11comp_targetILNS1_3genE9ELNS1_11target_archE1100ELNS1_3gpuE3ELNS1_3repE0EEENS1_30default_config_static_selectorELNS0_4arch9wavefront6targetE0EEEvS12_.uses_flat_scratch, 0
	.set _ZN7rocprim17ROCPRIM_400000_NS6detail17trampoline_kernelINS0_13select_configILj256ELj13ELNS0_17block_load_methodE3ELS4_3ELS4_3ELNS0_20block_scan_algorithmE0ELj4294967295EEENS1_25partition_config_selectorILNS1_17partition_subalgoE4EjNS0_10empty_typeEbEEZZNS1_14partition_implILS8_4ELb0ES6_15HIP_vector_typeIjLj2EENS0_17counting_iteratorIjlEEPS9_SG_NS0_5tupleIJPjSI_NS0_16reverse_iteratorISI_EEEEENSH_IJSG_SG_SG_EEES9_SI_JZNS1_25segmented_radix_sort_implINS0_14default_configELb1EPKsPsPKlPlN2at6native12_GLOBAL__N_18offset_tEEE10hipError_tPvRmT1_PNSt15iterator_traitsIS12_E10value_typeET2_T3_PNS13_IS18_E10value_typeET4_jRbjT5_S1E_jjP12ihipStream_tbEUljE_ZNSN_ISO_Lb1ESQ_SR_ST_SU_SY_EESZ_S10_S11_S12_S16_S17_S18_S1B_S1C_jS1D_jS1E_S1E_jjS1G_bEUljE0_EEESZ_S10_S11_S18_S1C_S1E_T6_T7_T9_mT8_S1G_bDpT10_ENKUlT_T0_E_clISt17integral_constantIbLb0EES1T_IbLb1EEEEDaS1P_S1Q_EUlS1P_E_NS1_11comp_targetILNS1_3genE9ELNS1_11target_archE1100ELNS1_3gpuE3ELNS1_3repE0EEENS1_30default_config_static_selectorELNS0_4arch9wavefront6targetE0EEEvS12_.has_dyn_sized_stack, 0
	.set _ZN7rocprim17ROCPRIM_400000_NS6detail17trampoline_kernelINS0_13select_configILj256ELj13ELNS0_17block_load_methodE3ELS4_3ELS4_3ELNS0_20block_scan_algorithmE0ELj4294967295EEENS1_25partition_config_selectorILNS1_17partition_subalgoE4EjNS0_10empty_typeEbEEZZNS1_14partition_implILS8_4ELb0ES6_15HIP_vector_typeIjLj2EENS0_17counting_iteratorIjlEEPS9_SG_NS0_5tupleIJPjSI_NS0_16reverse_iteratorISI_EEEEENSH_IJSG_SG_SG_EEES9_SI_JZNS1_25segmented_radix_sort_implINS0_14default_configELb1EPKsPsPKlPlN2at6native12_GLOBAL__N_18offset_tEEE10hipError_tPvRmT1_PNSt15iterator_traitsIS12_E10value_typeET2_T3_PNS13_IS18_E10value_typeET4_jRbjT5_S1E_jjP12ihipStream_tbEUljE_ZNSN_ISO_Lb1ESQ_SR_ST_SU_SY_EESZ_S10_S11_S12_S16_S17_S18_S1B_S1C_jS1D_jS1E_S1E_jjS1G_bEUljE0_EEESZ_S10_S11_S18_S1C_S1E_T6_T7_T9_mT8_S1G_bDpT10_ENKUlT_T0_E_clISt17integral_constantIbLb0EES1T_IbLb1EEEEDaS1P_S1Q_EUlS1P_E_NS1_11comp_targetILNS1_3genE9ELNS1_11target_archE1100ELNS1_3gpuE3ELNS1_3repE0EEENS1_30default_config_static_selectorELNS0_4arch9wavefront6targetE0EEEvS12_.has_recursion, 0
	.set _ZN7rocprim17ROCPRIM_400000_NS6detail17trampoline_kernelINS0_13select_configILj256ELj13ELNS0_17block_load_methodE3ELS4_3ELS4_3ELNS0_20block_scan_algorithmE0ELj4294967295EEENS1_25partition_config_selectorILNS1_17partition_subalgoE4EjNS0_10empty_typeEbEEZZNS1_14partition_implILS8_4ELb0ES6_15HIP_vector_typeIjLj2EENS0_17counting_iteratorIjlEEPS9_SG_NS0_5tupleIJPjSI_NS0_16reverse_iteratorISI_EEEEENSH_IJSG_SG_SG_EEES9_SI_JZNS1_25segmented_radix_sort_implINS0_14default_configELb1EPKsPsPKlPlN2at6native12_GLOBAL__N_18offset_tEEE10hipError_tPvRmT1_PNSt15iterator_traitsIS12_E10value_typeET2_T3_PNS13_IS18_E10value_typeET4_jRbjT5_S1E_jjP12ihipStream_tbEUljE_ZNSN_ISO_Lb1ESQ_SR_ST_SU_SY_EESZ_S10_S11_S12_S16_S17_S18_S1B_S1C_jS1D_jS1E_S1E_jjS1G_bEUljE0_EEESZ_S10_S11_S18_S1C_S1E_T6_T7_T9_mT8_S1G_bDpT10_ENKUlT_T0_E_clISt17integral_constantIbLb0EES1T_IbLb1EEEEDaS1P_S1Q_EUlS1P_E_NS1_11comp_targetILNS1_3genE9ELNS1_11target_archE1100ELNS1_3gpuE3ELNS1_3repE0EEENS1_30default_config_static_selectorELNS0_4arch9wavefront6targetE0EEEvS12_.has_indirect_call, 0
	.section	.AMDGPU.csdata,"",@progbits
; Kernel info:
; codeLenInByte = 0
; TotalNumSgprs: 0
; NumVgprs: 0
; ScratchSize: 0
; MemoryBound: 0
; FloatMode: 240
; IeeeMode: 1
; LDSByteSize: 0 bytes/workgroup (compile time only)
; SGPRBlocks: 0
; VGPRBlocks: 0
; NumSGPRsForWavesPerEU: 1
; NumVGPRsForWavesPerEU: 1
; Occupancy: 16
; WaveLimiterHint : 0
; COMPUTE_PGM_RSRC2:SCRATCH_EN: 0
; COMPUTE_PGM_RSRC2:USER_SGPR: 2
; COMPUTE_PGM_RSRC2:TRAP_HANDLER: 0
; COMPUTE_PGM_RSRC2:TGID_X_EN: 1
; COMPUTE_PGM_RSRC2:TGID_Y_EN: 0
; COMPUTE_PGM_RSRC2:TGID_Z_EN: 0
; COMPUTE_PGM_RSRC2:TIDIG_COMP_CNT: 0
	.section	.text._ZN7rocprim17ROCPRIM_400000_NS6detail17trampoline_kernelINS0_13select_configILj256ELj13ELNS0_17block_load_methodE3ELS4_3ELS4_3ELNS0_20block_scan_algorithmE0ELj4294967295EEENS1_25partition_config_selectorILNS1_17partition_subalgoE4EjNS0_10empty_typeEbEEZZNS1_14partition_implILS8_4ELb0ES6_15HIP_vector_typeIjLj2EENS0_17counting_iteratorIjlEEPS9_SG_NS0_5tupleIJPjSI_NS0_16reverse_iteratorISI_EEEEENSH_IJSG_SG_SG_EEES9_SI_JZNS1_25segmented_radix_sort_implINS0_14default_configELb1EPKsPsPKlPlN2at6native12_GLOBAL__N_18offset_tEEE10hipError_tPvRmT1_PNSt15iterator_traitsIS12_E10value_typeET2_T3_PNS13_IS18_E10value_typeET4_jRbjT5_S1E_jjP12ihipStream_tbEUljE_ZNSN_ISO_Lb1ESQ_SR_ST_SU_SY_EESZ_S10_S11_S12_S16_S17_S18_S1B_S1C_jS1D_jS1E_S1E_jjS1G_bEUljE0_EEESZ_S10_S11_S18_S1C_S1E_T6_T7_T9_mT8_S1G_bDpT10_ENKUlT_T0_E_clISt17integral_constantIbLb0EES1T_IbLb1EEEEDaS1P_S1Q_EUlS1P_E_NS1_11comp_targetILNS1_3genE8ELNS1_11target_archE1030ELNS1_3gpuE2ELNS1_3repE0EEENS1_30default_config_static_selectorELNS0_4arch9wavefront6targetE0EEEvS12_,"axG",@progbits,_ZN7rocprim17ROCPRIM_400000_NS6detail17trampoline_kernelINS0_13select_configILj256ELj13ELNS0_17block_load_methodE3ELS4_3ELS4_3ELNS0_20block_scan_algorithmE0ELj4294967295EEENS1_25partition_config_selectorILNS1_17partition_subalgoE4EjNS0_10empty_typeEbEEZZNS1_14partition_implILS8_4ELb0ES6_15HIP_vector_typeIjLj2EENS0_17counting_iteratorIjlEEPS9_SG_NS0_5tupleIJPjSI_NS0_16reverse_iteratorISI_EEEEENSH_IJSG_SG_SG_EEES9_SI_JZNS1_25segmented_radix_sort_implINS0_14default_configELb1EPKsPsPKlPlN2at6native12_GLOBAL__N_18offset_tEEE10hipError_tPvRmT1_PNSt15iterator_traitsIS12_E10value_typeET2_T3_PNS13_IS18_E10value_typeET4_jRbjT5_S1E_jjP12ihipStream_tbEUljE_ZNSN_ISO_Lb1ESQ_SR_ST_SU_SY_EESZ_S10_S11_S12_S16_S17_S18_S1B_S1C_jS1D_jS1E_S1E_jjS1G_bEUljE0_EEESZ_S10_S11_S18_S1C_S1E_T6_T7_T9_mT8_S1G_bDpT10_ENKUlT_T0_E_clISt17integral_constantIbLb0EES1T_IbLb1EEEEDaS1P_S1Q_EUlS1P_E_NS1_11comp_targetILNS1_3genE8ELNS1_11target_archE1030ELNS1_3gpuE2ELNS1_3repE0EEENS1_30default_config_static_selectorELNS0_4arch9wavefront6targetE0EEEvS12_,comdat
	.globl	_ZN7rocprim17ROCPRIM_400000_NS6detail17trampoline_kernelINS0_13select_configILj256ELj13ELNS0_17block_load_methodE3ELS4_3ELS4_3ELNS0_20block_scan_algorithmE0ELj4294967295EEENS1_25partition_config_selectorILNS1_17partition_subalgoE4EjNS0_10empty_typeEbEEZZNS1_14partition_implILS8_4ELb0ES6_15HIP_vector_typeIjLj2EENS0_17counting_iteratorIjlEEPS9_SG_NS0_5tupleIJPjSI_NS0_16reverse_iteratorISI_EEEEENSH_IJSG_SG_SG_EEES9_SI_JZNS1_25segmented_radix_sort_implINS0_14default_configELb1EPKsPsPKlPlN2at6native12_GLOBAL__N_18offset_tEEE10hipError_tPvRmT1_PNSt15iterator_traitsIS12_E10value_typeET2_T3_PNS13_IS18_E10value_typeET4_jRbjT5_S1E_jjP12ihipStream_tbEUljE_ZNSN_ISO_Lb1ESQ_SR_ST_SU_SY_EESZ_S10_S11_S12_S16_S17_S18_S1B_S1C_jS1D_jS1E_S1E_jjS1G_bEUljE0_EEESZ_S10_S11_S18_S1C_S1E_T6_T7_T9_mT8_S1G_bDpT10_ENKUlT_T0_E_clISt17integral_constantIbLb0EES1T_IbLb1EEEEDaS1P_S1Q_EUlS1P_E_NS1_11comp_targetILNS1_3genE8ELNS1_11target_archE1030ELNS1_3gpuE2ELNS1_3repE0EEENS1_30default_config_static_selectorELNS0_4arch9wavefront6targetE0EEEvS12_ ; -- Begin function _ZN7rocprim17ROCPRIM_400000_NS6detail17trampoline_kernelINS0_13select_configILj256ELj13ELNS0_17block_load_methodE3ELS4_3ELS4_3ELNS0_20block_scan_algorithmE0ELj4294967295EEENS1_25partition_config_selectorILNS1_17partition_subalgoE4EjNS0_10empty_typeEbEEZZNS1_14partition_implILS8_4ELb0ES6_15HIP_vector_typeIjLj2EENS0_17counting_iteratorIjlEEPS9_SG_NS0_5tupleIJPjSI_NS0_16reverse_iteratorISI_EEEEENSH_IJSG_SG_SG_EEES9_SI_JZNS1_25segmented_radix_sort_implINS0_14default_configELb1EPKsPsPKlPlN2at6native12_GLOBAL__N_18offset_tEEE10hipError_tPvRmT1_PNSt15iterator_traitsIS12_E10value_typeET2_T3_PNS13_IS18_E10value_typeET4_jRbjT5_S1E_jjP12ihipStream_tbEUljE_ZNSN_ISO_Lb1ESQ_SR_ST_SU_SY_EESZ_S10_S11_S12_S16_S17_S18_S1B_S1C_jS1D_jS1E_S1E_jjS1G_bEUljE0_EEESZ_S10_S11_S18_S1C_S1E_T6_T7_T9_mT8_S1G_bDpT10_ENKUlT_T0_E_clISt17integral_constantIbLb0EES1T_IbLb1EEEEDaS1P_S1Q_EUlS1P_E_NS1_11comp_targetILNS1_3genE8ELNS1_11target_archE1030ELNS1_3gpuE2ELNS1_3repE0EEENS1_30default_config_static_selectorELNS0_4arch9wavefront6targetE0EEEvS12_
	.p2align	8
	.type	_ZN7rocprim17ROCPRIM_400000_NS6detail17trampoline_kernelINS0_13select_configILj256ELj13ELNS0_17block_load_methodE3ELS4_3ELS4_3ELNS0_20block_scan_algorithmE0ELj4294967295EEENS1_25partition_config_selectorILNS1_17partition_subalgoE4EjNS0_10empty_typeEbEEZZNS1_14partition_implILS8_4ELb0ES6_15HIP_vector_typeIjLj2EENS0_17counting_iteratorIjlEEPS9_SG_NS0_5tupleIJPjSI_NS0_16reverse_iteratorISI_EEEEENSH_IJSG_SG_SG_EEES9_SI_JZNS1_25segmented_radix_sort_implINS0_14default_configELb1EPKsPsPKlPlN2at6native12_GLOBAL__N_18offset_tEEE10hipError_tPvRmT1_PNSt15iterator_traitsIS12_E10value_typeET2_T3_PNS13_IS18_E10value_typeET4_jRbjT5_S1E_jjP12ihipStream_tbEUljE_ZNSN_ISO_Lb1ESQ_SR_ST_SU_SY_EESZ_S10_S11_S12_S16_S17_S18_S1B_S1C_jS1D_jS1E_S1E_jjS1G_bEUljE0_EEESZ_S10_S11_S18_S1C_S1E_T6_T7_T9_mT8_S1G_bDpT10_ENKUlT_T0_E_clISt17integral_constantIbLb0EES1T_IbLb1EEEEDaS1P_S1Q_EUlS1P_E_NS1_11comp_targetILNS1_3genE8ELNS1_11target_archE1030ELNS1_3gpuE2ELNS1_3repE0EEENS1_30default_config_static_selectorELNS0_4arch9wavefront6targetE0EEEvS12_,@function
_ZN7rocprim17ROCPRIM_400000_NS6detail17trampoline_kernelINS0_13select_configILj256ELj13ELNS0_17block_load_methodE3ELS4_3ELS4_3ELNS0_20block_scan_algorithmE0ELj4294967295EEENS1_25partition_config_selectorILNS1_17partition_subalgoE4EjNS0_10empty_typeEbEEZZNS1_14partition_implILS8_4ELb0ES6_15HIP_vector_typeIjLj2EENS0_17counting_iteratorIjlEEPS9_SG_NS0_5tupleIJPjSI_NS0_16reverse_iteratorISI_EEEEENSH_IJSG_SG_SG_EEES9_SI_JZNS1_25segmented_radix_sort_implINS0_14default_configELb1EPKsPsPKlPlN2at6native12_GLOBAL__N_18offset_tEEE10hipError_tPvRmT1_PNSt15iterator_traitsIS12_E10value_typeET2_T3_PNS13_IS18_E10value_typeET4_jRbjT5_S1E_jjP12ihipStream_tbEUljE_ZNSN_ISO_Lb1ESQ_SR_ST_SU_SY_EESZ_S10_S11_S12_S16_S17_S18_S1B_S1C_jS1D_jS1E_S1E_jjS1G_bEUljE0_EEESZ_S10_S11_S18_S1C_S1E_T6_T7_T9_mT8_S1G_bDpT10_ENKUlT_T0_E_clISt17integral_constantIbLb0EES1T_IbLb1EEEEDaS1P_S1Q_EUlS1P_E_NS1_11comp_targetILNS1_3genE8ELNS1_11target_archE1030ELNS1_3gpuE2ELNS1_3repE0EEENS1_30default_config_static_selectorELNS0_4arch9wavefront6targetE0EEEvS12_: ; @_ZN7rocprim17ROCPRIM_400000_NS6detail17trampoline_kernelINS0_13select_configILj256ELj13ELNS0_17block_load_methodE3ELS4_3ELS4_3ELNS0_20block_scan_algorithmE0ELj4294967295EEENS1_25partition_config_selectorILNS1_17partition_subalgoE4EjNS0_10empty_typeEbEEZZNS1_14partition_implILS8_4ELb0ES6_15HIP_vector_typeIjLj2EENS0_17counting_iteratorIjlEEPS9_SG_NS0_5tupleIJPjSI_NS0_16reverse_iteratorISI_EEEEENSH_IJSG_SG_SG_EEES9_SI_JZNS1_25segmented_radix_sort_implINS0_14default_configELb1EPKsPsPKlPlN2at6native12_GLOBAL__N_18offset_tEEE10hipError_tPvRmT1_PNSt15iterator_traitsIS12_E10value_typeET2_T3_PNS13_IS18_E10value_typeET4_jRbjT5_S1E_jjP12ihipStream_tbEUljE_ZNSN_ISO_Lb1ESQ_SR_ST_SU_SY_EESZ_S10_S11_S12_S16_S17_S18_S1B_S1C_jS1D_jS1E_S1E_jjS1G_bEUljE0_EEESZ_S10_S11_S18_S1C_S1E_T6_T7_T9_mT8_S1G_bDpT10_ENKUlT_T0_E_clISt17integral_constantIbLb0EES1T_IbLb1EEEEDaS1P_S1Q_EUlS1P_E_NS1_11comp_targetILNS1_3genE8ELNS1_11target_archE1030ELNS1_3gpuE2ELNS1_3repE0EEENS1_30default_config_static_selectorELNS0_4arch9wavefront6targetE0EEEvS12_
; %bb.0:
	.section	.rodata,"a",@progbits
	.p2align	6, 0x0
	.amdhsa_kernel _ZN7rocprim17ROCPRIM_400000_NS6detail17trampoline_kernelINS0_13select_configILj256ELj13ELNS0_17block_load_methodE3ELS4_3ELS4_3ELNS0_20block_scan_algorithmE0ELj4294967295EEENS1_25partition_config_selectorILNS1_17partition_subalgoE4EjNS0_10empty_typeEbEEZZNS1_14partition_implILS8_4ELb0ES6_15HIP_vector_typeIjLj2EENS0_17counting_iteratorIjlEEPS9_SG_NS0_5tupleIJPjSI_NS0_16reverse_iteratorISI_EEEEENSH_IJSG_SG_SG_EEES9_SI_JZNS1_25segmented_radix_sort_implINS0_14default_configELb1EPKsPsPKlPlN2at6native12_GLOBAL__N_18offset_tEEE10hipError_tPvRmT1_PNSt15iterator_traitsIS12_E10value_typeET2_T3_PNS13_IS18_E10value_typeET4_jRbjT5_S1E_jjP12ihipStream_tbEUljE_ZNSN_ISO_Lb1ESQ_SR_ST_SU_SY_EESZ_S10_S11_S12_S16_S17_S18_S1B_S1C_jS1D_jS1E_S1E_jjS1G_bEUljE0_EEESZ_S10_S11_S18_S1C_S1E_T6_T7_T9_mT8_S1G_bDpT10_ENKUlT_T0_E_clISt17integral_constantIbLb0EES1T_IbLb1EEEEDaS1P_S1Q_EUlS1P_E_NS1_11comp_targetILNS1_3genE8ELNS1_11target_archE1030ELNS1_3gpuE2ELNS1_3repE0EEENS1_30default_config_static_selectorELNS0_4arch9wavefront6targetE0EEEvS12_
		.amdhsa_group_segment_fixed_size 0
		.amdhsa_private_segment_fixed_size 0
		.amdhsa_kernarg_size 184
		.amdhsa_user_sgpr_count 2
		.amdhsa_user_sgpr_dispatch_ptr 0
		.amdhsa_user_sgpr_queue_ptr 0
		.amdhsa_user_sgpr_kernarg_segment_ptr 1
		.amdhsa_user_sgpr_dispatch_id 0
		.amdhsa_user_sgpr_private_segment_size 0
		.amdhsa_wavefront_size32 1
		.amdhsa_uses_dynamic_stack 0
		.amdhsa_enable_private_segment 0
		.amdhsa_system_sgpr_workgroup_id_x 1
		.amdhsa_system_sgpr_workgroup_id_y 0
		.amdhsa_system_sgpr_workgroup_id_z 0
		.amdhsa_system_sgpr_workgroup_info 0
		.amdhsa_system_vgpr_workitem_id 0
		.amdhsa_next_free_vgpr 1
		.amdhsa_next_free_sgpr 1
		.amdhsa_reserve_vcc 0
		.amdhsa_float_round_mode_32 0
		.amdhsa_float_round_mode_16_64 0
		.amdhsa_float_denorm_mode_32 3
		.amdhsa_float_denorm_mode_16_64 3
		.amdhsa_fp16_overflow 0
		.amdhsa_workgroup_processor_mode 1
		.amdhsa_memory_ordered 1
		.amdhsa_forward_progress 1
		.amdhsa_inst_pref_size 0
		.amdhsa_round_robin_scheduling 0
		.amdhsa_exception_fp_ieee_invalid_op 0
		.amdhsa_exception_fp_denorm_src 0
		.amdhsa_exception_fp_ieee_div_zero 0
		.amdhsa_exception_fp_ieee_overflow 0
		.amdhsa_exception_fp_ieee_underflow 0
		.amdhsa_exception_fp_ieee_inexact 0
		.amdhsa_exception_int_div_zero 0
	.end_amdhsa_kernel
	.section	.text._ZN7rocprim17ROCPRIM_400000_NS6detail17trampoline_kernelINS0_13select_configILj256ELj13ELNS0_17block_load_methodE3ELS4_3ELS4_3ELNS0_20block_scan_algorithmE0ELj4294967295EEENS1_25partition_config_selectorILNS1_17partition_subalgoE4EjNS0_10empty_typeEbEEZZNS1_14partition_implILS8_4ELb0ES6_15HIP_vector_typeIjLj2EENS0_17counting_iteratorIjlEEPS9_SG_NS0_5tupleIJPjSI_NS0_16reverse_iteratorISI_EEEEENSH_IJSG_SG_SG_EEES9_SI_JZNS1_25segmented_radix_sort_implINS0_14default_configELb1EPKsPsPKlPlN2at6native12_GLOBAL__N_18offset_tEEE10hipError_tPvRmT1_PNSt15iterator_traitsIS12_E10value_typeET2_T3_PNS13_IS18_E10value_typeET4_jRbjT5_S1E_jjP12ihipStream_tbEUljE_ZNSN_ISO_Lb1ESQ_SR_ST_SU_SY_EESZ_S10_S11_S12_S16_S17_S18_S1B_S1C_jS1D_jS1E_S1E_jjS1G_bEUljE0_EEESZ_S10_S11_S18_S1C_S1E_T6_T7_T9_mT8_S1G_bDpT10_ENKUlT_T0_E_clISt17integral_constantIbLb0EES1T_IbLb1EEEEDaS1P_S1Q_EUlS1P_E_NS1_11comp_targetILNS1_3genE8ELNS1_11target_archE1030ELNS1_3gpuE2ELNS1_3repE0EEENS1_30default_config_static_selectorELNS0_4arch9wavefront6targetE0EEEvS12_,"axG",@progbits,_ZN7rocprim17ROCPRIM_400000_NS6detail17trampoline_kernelINS0_13select_configILj256ELj13ELNS0_17block_load_methodE3ELS4_3ELS4_3ELNS0_20block_scan_algorithmE0ELj4294967295EEENS1_25partition_config_selectorILNS1_17partition_subalgoE4EjNS0_10empty_typeEbEEZZNS1_14partition_implILS8_4ELb0ES6_15HIP_vector_typeIjLj2EENS0_17counting_iteratorIjlEEPS9_SG_NS0_5tupleIJPjSI_NS0_16reverse_iteratorISI_EEEEENSH_IJSG_SG_SG_EEES9_SI_JZNS1_25segmented_radix_sort_implINS0_14default_configELb1EPKsPsPKlPlN2at6native12_GLOBAL__N_18offset_tEEE10hipError_tPvRmT1_PNSt15iterator_traitsIS12_E10value_typeET2_T3_PNS13_IS18_E10value_typeET4_jRbjT5_S1E_jjP12ihipStream_tbEUljE_ZNSN_ISO_Lb1ESQ_SR_ST_SU_SY_EESZ_S10_S11_S12_S16_S17_S18_S1B_S1C_jS1D_jS1E_S1E_jjS1G_bEUljE0_EEESZ_S10_S11_S18_S1C_S1E_T6_T7_T9_mT8_S1G_bDpT10_ENKUlT_T0_E_clISt17integral_constantIbLb0EES1T_IbLb1EEEEDaS1P_S1Q_EUlS1P_E_NS1_11comp_targetILNS1_3genE8ELNS1_11target_archE1030ELNS1_3gpuE2ELNS1_3repE0EEENS1_30default_config_static_selectorELNS0_4arch9wavefront6targetE0EEEvS12_,comdat
.Lfunc_end878:
	.size	_ZN7rocprim17ROCPRIM_400000_NS6detail17trampoline_kernelINS0_13select_configILj256ELj13ELNS0_17block_load_methodE3ELS4_3ELS4_3ELNS0_20block_scan_algorithmE0ELj4294967295EEENS1_25partition_config_selectorILNS1_17partition_subalgoE4EjNS0_10empty_typeEbEEZZNS1_14partition_implILS8_4ELb0ES6_15HIP_vector_typeIjLj2EENS0_17counting_iteratorIjlEEPS9_SG_NS0_5tupleIJPjSI_NS0_16reverse_iteratorISI_EEEEENSH_IJSG_SG_SG_EEES9_SI_JZNS1_25segmented_radix_sort_implINS0_14default_configELb1EPKsPsPKlPlN2at6native12_GLOBAL__N_18offset_tEEE10hipError_tPvRmT1_PNSt15iterator_traitsIS12_E10value_typeET2_T3_PNS13_IS18_E10value_typeET4_jRbjT5_S1E_jjP12ihipStream_tbEUljE_ZNSN_ISO_Lb1ESQ_SR_ST_SU_SY_EESZ_S10_S11_S12_S16_S17_S18_S1B_S1C_jS1D_jS1E_S1E_jjS1G_bEUljE0_EEESZ_S10_S11_S18_S1C_S1E_T6_T7_T9_mT8_S1G_bDpT10_ENKUlT_T0_E_clISt17integral_constantIbLb0EES1T_IbLb1EEEEDaS1P_S1Q_EUlS1P_E_NS1_11comp_targetILNS1_3genE8ELNS1_11target_archE1030ELNS1_3gpuE2ELNS1_3repE0EEENS1_30default_config_static_selectorELNS0_4arch9wavefront6targetE0EEEvS12_, .Lfunc_end878-_ZN7rocprim17ROCPRIM_400000_NS6detail17trampoline_kernelINS0_13select_configILj256ELj13ELNS0_17block_load_methodE3ELS4_3ELS4_3ELNS0_20block_scan_algorithmE0ELj4294967295EEENS1_25partition_config_selectorILNS1_17partition_subalgoE4EjNS0_10empty_typeEbEEZZNS1_14partition_implILS8_4ELb0ES6_15HIP_vector_typeIjLj2EENS0_17counting_iteratorIjlEEPS9_SG_NS0_5tupleIJPjSI_NS0_16reverse_iteratorISI_EEEEENSH_IJSG_SG_SG_EEES9_SI_JZNS1_25segmented_radix_sort_implINS0_14default_configELb1EPKsPsPKlPlN2at6native12_GLOBAL__N_18offset_tEEE10hipError_tPvRmT1_PNSt15iterator_traitsIS12_E10value_typeET2_T3_PNS13_IS18_E10value_typeET4_jRbjT5_S1E_jjP12ihipStream_tbEUljE_ZNSN_ISO_Lb1ESQ_SR_ST_SU_SY_EESZ_S10_S11_S12_S16_S17_S18_S1B_S1C_jS1D_jS1E_S1E_jjS1G_bEUljE0_EEESZ_S10_S11_S18_S1C_S1E_T6_T7_T9_mT8_S1G_bDpT10_ENKUlT_T0_E_clISt17integral_constantIbLb0EES1T_IbLb1EEEEDaS1P_S1Q_EUlS1P_E_NS1_11comp_targetILNS1_3genE8ELNS1_11target_archE1030ELNS1_3gpuE2ELNS1_3repE0EEENS1_30default_config_static_selectorELNS0_4arch9wavefront6targetE0EEEvS12_
                                        ; -- End function
	.set _ZN7rocprim17ROCPRIM_400000_NS6detail17trampoline_kernelINS0_13select_configILj256ELj13ELNS0_17block_load_methodE3ELS4_3ELS4_3ELNS0_20block_scan_algorithmE0ELj4294967295EEENS1_25partition_config_selectorILNS1_17partition_subalgoE4EjNS0_10empty_typeEbEEZZNS1_14partition_implILS8_4ELb0ES6_15HIP_vector_typeIjLj2EENS0_17counting_iteratorIjlEEPS9_SG_NS0_5tupleIJPjSI_NS0_16reverse_iteratorISI_EEEEENSH_IJSG_SG_SG_EEES9_SI_JZNS1_25segmented_radix_sort_implINS0_14default_configELb1EPKsPsPKlPlN2at6native12_GLOBAL__N_18offset_tEEE10hipError_tPvRmT1_PNSt15iterator_traitsIS12_E10value_typeET2_T3_PNS13_IS18_E10value_typeET4_jRbjT5_S1E_jjP12ihipStream_tbEUljE_ZNSN_ISO_Lb1ESQ_SR_ST_SU_SY_EESZ_S10_S11_S12_S16_S17_S18_S1B_S1C_jS1D_jS1E_S1E_jjS1G_bEUljE0_EEESZ_S10_S11_S18_S1C_S1E_T6_T7_T9_mT8_S1G_bDpT10_ENKUlT_T0_E_clISt17integral_constantIbLb0EES1T_IbLb1EEEEDaS1P_S1Q_EUlS1P_E_NS1_11comp_targetILNS1_3genE8ELNS1_11target_archE1030ELNS1_3gpuE2ELNS1_3repE0EEENS1_30default_config_static_selectorELNS0_4arch9wavefront6targetE0EEEvS12_.num_vgpr, 0
	.set _ZN7rocprim17ROCPRIM_400000_NS6detail17trampoline_kernelINS0_13select_configILj256ELj13ELNS0_17block_load_methodE3ELS4_3ELS4_3ELNS0_20block_scan_algorithmE0ELj4294967295EEENS1_25partition_config_selectorILNS1_17partition_subalgoE4EjNS0_10empty_typeEbEEZZNS1_14partition_implILS8_4ELb0ES6_15HIP_vector_typeIjLj2EENS0_17counting_iteratorIjlEEPS9_SG_NS0_5tupleIJPjSI_NS0_16reverse_iteratorISI_EEEEENSH_IJSG_SG_SG_EEES9_SI_JZNS1_25segmented_radix_sort_implINS0_14default_configELb1EPKsPsPKlPlN2at6native12_GLOBAL__N_18offset_tEEE10hipError_tPvRmT1_PNSt15iterator_traitsIS12_E10value_typeET2_T3_PNS13_IS18_E10value_typeET4_jRbjT5_S1E_jjP12ihipStream_tbEUljE_ZNSN_ISO_Lb1ESQ_SR_ST_SU_SY_EESZ_S10_S11_S12_S16_S17_S18_S1B_S1C_jS1D_jS1E_S1E_jjS1G_bEUljE0_EEESZ_S10_S11_S18_S1C_S1E_T6_T7_T9_mT8_S1G_bDpT10_ENKUlT_T0_E_clISt17integral_constantIbLb0EES1T_IbLb1EEEEDaS1P_S1Q_EUlS1P_E_NS1_11comp_targetILNS1_3genE8ELNS1_11target_archE1030ELNS1_3gpuE2ELNS1_3repE0EEENS1_30default_config_static_selectorELNS0_4arch9wavefront6targetE0EEEvS12_.num_agpr, 0
	.set _ZN7rocprim17ROCPRIM_400000_NS6detail17trampoline_kernelINS0_13select_configILj256ELj13ELNS0_17block_load_methodE3ELS4_3ELS4_3ELNS0_20block_scan_algorithmE0ELj4294967295EEENS1_25partition_config_selectorILNS1_17partition_subalgoE4EjNS0_10empty_typeEbEEZZNS1_14partition_implILS8_4ELb0ES6_15HIP_vector_typeIjLj2EENS0_17counting_iteratorIjlEEPS9_SG_NS0_5tupleIJPjSI_NS0_16reverse_iteratorISI_EEEEENSH_IJSG_SG_SG_EEES9_SI_JZNS1_25segmented_radix_sort_implINS0_14default_configELb1EPKsPsPKlPlN2at6native12_GLOBAL__N_18offset_tEEE10hipError_tPvRmT1_PNSt15iterator_traitsIS12_E10value_typeET2_T3_PNS13_IS18_E10value_typeET4_jRbjT5_S1E_jjP12ihipStream_tbEUljE_ZNSN_ISO_Lb1ESQ_SR_ST_SU_SY_EESZ_S10_S11_S12_S16_S17_S18_S1B_S1C_jS1D_jS1E_S1E_jjS1G_bEUljE0_EEESZ_S10_S11_S18_S1C_S1E_T6_T7_T9_mT8_S1G_bDpT10_ENKUlT_T0_E_clISt17integral_constantIbLb0EES1T_IbLb1EEEEDaS1P_S1Q_EUlS1P_E_NS1_11comp_targetILNS1_3genE8ELNS1_11target_archE1030ELNS1_3gpuE2ELNS1_3repE0EEENS1_30default_config_static_selectorELNS0_4arch9wavefront6targetE0EEEvS12_.numbered_sgpr, 0
	.set _ZN7rocprim17ROCPRIM_400000_NS6detail17trampoline_kernelINS0_13select_configILj256ELj13ELNS0_17block_load_methodE3ELS4_3ELS4_3ELNS0_20block_scan_algorithmE0ELj4294967295EEENS1_25partition_config_selectorILNS1_17partition_subalgoE4EjNS0_10empty_typeEbEEZZNS1_14partition_implILS8_4ELb0ES6_15HIP_vector_typeIjLj2EENS0_17counting_iteratorIjlEEPS9_SG_NS0_5tupleIJPjSI_NS0_16reverse_iteratorISI_EEEEENSH_IJSG_SG_SG_EEES9_SI_JZNS1_25segmented_radix_sort_implINS0_14default_configELb1EPKsPsPKlPlN2at6native12_GLOBAL__N_18offset_tEEE10hipError_tPvRmT1_PNSt15iterator_traitsIS12_E10value_typeET2_T3_PNS13_IS18_E10value_typeET4_jRbjT5_S1E_jjP12ihipStream_tbEUljE_ZNSN_ISO_Lb1ESQ_SR_ST_SU_SY_EESZ_S10_S11_S12_S16_S17_S18_S1B_S1C_jS1D_jS1E_S1E_jjS1G_bEUljE0_EEESZ_S10_S11_S18_S1C_S1E_T6_T7_T9_mT8_S1G_bDpT10_ENKUlT_T0_E_clISt17integral_constantIbLb0EES1T_IbLb1EEEEDaS1P_S1Q_EUlS1P_E_NS1_11comp_targetILNS1_3genE8ELNS1_11target_archE1030ELNS1_3gpuE2ELNS1_3repE0EEENS1_30default_config_static_selectorELNS0_4arch9wavefront6targetE0EEEvS12_.num_named_barrier, 0
	.set _ZN7rocprim17ROCPRIM_400000_NS6detail17trampoline_kernelINS0_13select_configILj256ELj13ELNS0_17block_load_methodE3ELS4_3ELS4_3ELNS0_20block_scan_algorithmE0ELj4294967295EEENS1_25partition_config_selectorILNS1_17partition_subalgoE4EjNS0_10empty_typeEbEEZZNS1_14partition_implILS8_4ELb0ES6_15HIP_vector_typeIjLj2EENS0_17counting_iteratorIjlEEPS9_SG_NS0_5tupleIJPjSI_NS0_16reverse_iteratorISI_EEEEENSH_IJSG_SG_SG_EEES9_SI_JZNS1_25segmented_radix_sort_implINS0_14default_configELb1EPKsPsPKlPlN2at6native12_GLOBAL__N_18offset_tEEE10hipError_tPvRmT1_PNSt15iterator_traitsIS12_E10value_typeET2_T3_PNS13_IS18_E10value_typeET4_jRbjT5_S1E_jjP12ihipStream_tbEUljE_ZNSN_ISO_Lb1ESQ_SR_ST_SU_SY_EESZ_S10_S11_S12_S16_S17_S18_S1B_S1C_jS1D_jS1E_S1E_jjS1G_bEUljE0_EEESZ_S10_S11_S18_S1C_S1E_T6_T7_T9_mT8_S1G_bDpT10_ENKUlT_T0_E_clISt17integral_constantIbLb0EES1T_IbLb1EEEEDaS1P_S1Q_EUlS1P_E_NS1_11comp_targetILNS1_3genE8ELNS1_11target_archE1030ELNS1_3gpuE2ELNS1_3repE0EEENS1_30default_config_static_selectorELNS0_4arch9wavefront6targetE0EEEvS12_.private_seg_size, 0
	.set _ZN7rocprim17ROCPRIM_400000_NS6detail17trampoline_kernelINS0_13select_configILj256ELj13ELNS0_17block_load_methodE3ELS4_3ELS4_3ELNS0_20block_scan_algorithmE0ELj4294967295EEENS1_25partition_config_selectorILNS1_17partition_subalgoE4EjNS0_10empty_typeEbEEZZNS1_14partition_implILS8_4ELb0ES6_15HIP_vector_typeIjLj2EENS0_17counting_iteratorIjlEEPS9_SG_NS0_5tupleIJPjSI_NS0_16reverse_iteratorISI_EEEEENSH_IJSG_SG_SG_EEES9_SI_JZNS1_25segmented_radix_sort_implINS0_14default_configELb1EPKsPsPKlPlN2at6native12_GLOBAL__N_18offset_tEEE10hipError_tPvRmT1_PNSt15iterator_traitsIS12_E10value_typeET2_T3_PNS13_IS18_E10value_typeET4_jRbjT5_S1E_jjP12ihipStream_tbEUljE_ZNSN_ISO_Lb1ESQ_SR_ST_SU_SY_EESZ_S10_S11_S12_S16_S17_S18_S1B_S1C_jS1D_jS1E_S1E_jjS1G_bEUljE0_EEESZ_S10_S11_S18_S1C_S1E_T6_T7_T9_mT8_S1G_bDpT10_ENKUlT_T0_E_clISt17integral_constantIbLb0EES1T_IbLb1EEEEDaS1P_S1Q_EUlS1P_E_NS1_11comp_targetILNS1_3genE8ELNS1_11target_archE1030ELNS1_3gpuE2ELNS1_3repE0EEENS1_30default_config_static_selectorELNS0_4arch9wavefront6targetE0EEEvS12_.uses_vcc, 0
	.set _ZN7rocprim17ROCPRIM_400000_NS6detail17trampoline_kernelINS0_13select_configILj256ELj13ELNS0_17block_load_methodE3ELS4_3ELS4_3ELNS0_20block_scan_algorithmE0ELj4294967295EEENS1_25partition_config_selectorILNS1_17partition_subalgoE4EjNS0_10empty_typeEbEEZZNS1_14partition_implILS8_4ELb0ES6_15HIP_vector_typeIjLj2EENS0_17counting_iteratorIjlEEPS9_SG_NS0_5tupleIJPjSI_NS0_16reverse_iteratorISI_EEEEENSH_IJSG_SG_SG_EEES9_SI_JZNS1_25segmented_radix_sort_implINS0_14default_configELb1EPKsPsPKlPlN2at6native12_GLOBAL__N_18offset_tEEE10hipError_tPvRmT1_PNSt15iterator_traitsIS12_E10value_typeET2_T3_PNS13_IS18_E10value_typeET4_jRbjT5_S1E_jjP12ihipStream_tbEUljE_ZNSN_ISO_Lb1ESQ_SR_ST_SU_SY_EESZ_S10_S11_S12_S16_S17_S18_S1B_S1C_jS1D_jS1E_S1E_jjS1G_bEUljE0_EEESZ_S10_S11_S18_S1C_S1E_T6_T7_T9_mT8_S1G_bDpT10_ENKUlT_T0_E_clISt17integral_constantIbLb0EES1T_IbLb1EEEEDaS1P_S1Q_EUlS1P_E_NS1_11comp_targetILNS1_3genE8ELNS1_11target_archE1030ELNS1_3gpuE2ELNS1_3repE0EEENS1_30default_config_static_selectorELNS0_4arch9wavefront6targetE0EEEvS12_.uses_flat_scratch, 0
	.set _ZN7rocprim17ROCPRIM_400000_NS6detail17trampoline_kernelINS0_13select_configILj256ELj13ELNS0_17block_load_methodE3ELS4_3ELS4_3ELNS0_20block_scan_algorithmE0ELj4294967295EEENS1_25partition_config_selectorILNS1_17partition_subalgoE4EjNS0_10empty_typeEbEEZZNS1_14partition_implILS8_4ELb0ES6_15HIP_vector_typeIjLj2EENS0_17counting_iteratorIjlEEPS9_SG_NS0_5tupleIJPjSI_NS0_16reverse_iteratorISI_EEEEENSH_IJSG_SG_SG_EEES9_SI_JZNS1_25segmented_radix_sort_implINS0_14default_configELb1EPKsPsPKlPlN2at6native12_GLOBAL__N_18offset_tEEE10hipError_tPvRmT1_PNSt15iterator_traitsIS12_E10value_typeET2_T3_PNS13_IS18_E10value_typeET4_jRbjT5_S1E_jjP12ihipStream_tbEUljE_ZNSN_ISO_Lb1ESQ_SR_ST_SU_SY_EESZ_S10_S11_S12_S16_S17_S18_S1B_S1C_jS1D_jS1E_S1E_jjS1G_bEUljE0_EEESZ_S10_S11_S18_S1C_S1E_T6_T7_T9_mT8_S1G_bDpT10_ENKUlT_T0_E_clISt17integral_constantIbLb0EES1T_IbLb1EEEEDaS1P_S1Q_EUlS1P_E_NS1_11comp_targetILNS1_3genE8ELNS1_11target_archE1030ELNS1_3gpuE2ELNS1_3repE0EEENS1_30default_config_static_selectorELNS0_4arch9wavefront6targetE0EEEvS12_.has_dyn_sized_stack, 0
	.set _ZN7rocprim17ROCPRIM_400000_NS6detail17trampoline_kernelINS0_13select_configILj256ELj13ELNS0_17block_load_methodE3ELS4_3ELS4_3ELNS0_20block_scan_algorithmE0ELj4294967295EEENS1_25partition_config_selectorILNS1_17partition_subalgoE4EjNS0_10empty_typeEbEEZZNS1_14partition_implILS8_4ELb0ES6_15HIP_vector_typeIjLj2EENS0_17counting_iteratorIjlEEPS9_SG_NS0_5tupleIJPjSI_NS0_16reverse_iteratorISI_EEEEENSH_IJSG_SG_SG_EEES9_SI_JZNS1_25segmented_radix_sort_implINS0_14default_configELb1EPKsPsPKlPlN2at6native12_GLOBAL__N_18offset_tEEE10hipError_tPvRmT1_PNSt15iterator_traitsIS12_E10value_typeET2_T3_PNS13_IS18_E10value_typeET4_jRbjT5_S1E_jjP12ihipStream_tbEUljE_ZNSN_ISO_Lb1ESQ_SR_ST_SU_SY_EESZ_S10_S11_S12_S16_S17_S18_S1B_S1C_jS1D_jS1E_S1E_jjS1G_bEUljE0_EEESZ_S10_S11_S18_S1C_S1E_T6_T7_T9_mT8_S1G_bDpT10_ENKUlT_T0_E_clISt17integral_constantIbLb0EES1T_IbLb1EEEEDaS1P_S1Q_EUlS1P_E_NS1_11comp_targetILNS1_3genE8ELNS1_11target_archE1030ELNS1_3gpuE2ELNS1_3repE0EEENS1_30default_config_static_selectorELNS0_4arch9wavefront6targetE0EEEvS12_.has_recursion, 0
	.set _ZN7rocprim17ROCPRIM_400000_NS6detail17trampoline_kernelINS0_13select_configILj256ELj13ELNS0_17block_load_methodE3ELS4_3ELS4_3ELNS0_20block_scan_algorithmE0ELj4294967295EEENS1_25partition_config_selectorILNS1_17partition_subalgoE4EjNS0_10empty_typeEbEEZZNS1_14partition_implILS8_4ELb0ES6_15HIP_vector_typeIjLj2EENS0_17counting_iteratorIjlEEPS9_SG_NS0_5tupleIJPjSI_NS0_16reverse_iteratorISI_EEEEENSH_IJSG_SG_SG_EEES9_SI_JZNS1_25segmented_radix_sort_implINS0_14default_configELb1EPKsPsPKlPlN2at6native12_GLOBAL__N_18offset_tEEE10hipError_tPvRmT1_PNSt15iterator_traitsIS12_E10value_typeET2_T3_PNS13_IS18_E10value_typeET4_jRbjT5_S1E_jjP12ihipStream_tbEUljE_ZNSN_ISO_Lb1ESQ_SR_ST_SU_SY_EESZ_S10_S11_S12_S16_S17_S18_S1B_S1C_jS1D_jS1E_S1E_jjS1G_bEUljE0_EEESZ_S10_S11_S18_S1C_S1E_T6_T7_T9_mT8_S1G_bDpT10_ENKUlT_T0_E_clISt17integral_constantIbLb0EES1T_IbLb1EEEEDaS1P_S1Q_EUlS1P_E_NS1_11comp_targetILNS1_3genE8ELNS1_11target_archE1030ELNS1_3gpuE2ELNS1_3repE0EEENS1_30default_config_static_selectorELNS0_4arch9wavefront6targetE0EEEvS12_.has_indirect_call, 0
	.section	.AMDGPU.csdata,"",@progbits
; Kernel info:
; codeLenInByte = 0
; TotalNumSgprs: 0
; NumVgprs: 0
; ScratchSize: 0
; MemoryBound: 0
; FloatMode: 240
; IeeeMode: 1
; LDSByteSize: 0 bytes/workgroup (compile time only)
; SGPRBlocks: 0
; VGPRBlocks: 0
; NumSGPRsForWavesPerEU: 1
; NumVGPRsForWavesPerEU: 1
; Occupancy: 16
; WaveLimiterHint : 0
; COMPUTE_PGM_RSRC2:SCRATCH_EN: 0
; COMPUTE_PGM_RSRC2:USER_SGPR: 2
; COMPUTE_PGM_RSRC2:TRAP_HANDLER: 0
; COMPUTE_PGM_RSRC2:TGID_X_EN: 1
; COMPUTE_PGM_RSRC2:TGID_Y_EN: 0
; COMPUTE_PGM_RSRC2:TGID_Z_EN: 0
; COMPUTE_PGM_RSRC2:TIDIG_COMP_CNT: 0
	.section	.text._ZN7rocprim17ROCPRIM_400000_NS6detail17trampoline_kernelINS0_13select_configILj256ELj13ELNS0_17block_load_methodE3ELS4_3ELS4_3ELNS0_20block_scan_algorithmE0ELj4294967295EEENS1_25partition_config_selectorILNS1_17partition_subalgoE3EjNS0_10empty_typeEbEEZZNS1_14partition_implILS8_3ELb0ES6_jNS0_17counting_iteratorIjlEEPS9_SE_NS0_5tupleIJPjSE_EEENSF_IJSE_SE_EEES9_SG_JZNS1_25segmented_radix_sort_implINS0_14default_configELb1EPKsPsPKlPlN2at6native12_GLOBAL__N_18offset_tEEE10hipError_tPvRmT1_PNSt15iterator_traitsISY_E10value_typeET2_T3_PNSZ_IS14_E10value_typeET4_jRbjT5_S1A_jjP12ihipStream_tbEUljE_EEESV_SW_SX_S14_S18_S1A_T6_T7_T9_mT8_S1C_bDpT10_ENKUlT_T0_E_clISt17integral_constantIbLb0EES1P_EEDaS1K_S1L_EUlS1K_E_NS1_11comp_targetILNS1_3genE0ELNS1_11target_archE4294967295ELNS1_3gpuE0ELNS1_3repE0EEENS1_30default_config_static_selectorELNS0_4arch9wavefront6targetE0EEEvSY_,"axG",@progbits,_ZN7rocprim17ROCPRIM_400000_NS6detail17trampoline_kernelINS0_13select_configILj256ELj13ELNS0_17block_load_methodE3ELS4_3ELS4_3ELNS0_20block_scan_algorithmE0ELj4294967295EEENS1_25partition_config_selectorILNS1_17partition_subalgoE3EjNS0_10empty_typeEbEEZZNS1_14partition_implILS8_3ELb0ES6_jNS0_17counting_iteratorIjlEEPS9_SE_NS0_5tupleIJPjSE_EEENSF_IJSE_SE_EEES9_SG_JZNS1_25segmented_radix_sort_implINS0_14default_configELb1EPKsPsPKlPlN2at6native12_GLOBAL__N_18offset_tEEE10hipError_tPvRmT1_PNSt15iterator_traitsISY_E10value_typeET2_T3_PNSZ_IS14_E10value_typeET4_jRbjT5_S1A_jjP12ihipStream_tbEUljE_EEESV_SW_SX_S14_S18_S1A_T6_T7_T9_mT8_S1C_bDpT10_ENKUlT_T0_E_clISt17integral_constantIbLb0EES1P_EEDaS1K_S1L_EUlS1K_E_NS1_11comp_targetILNS1_3genE0ELNS1_11target_archE4294967295ELNS1_3gpuE0ELNS1_3repE0EEENS1_30default_config_static_selectorELNS0_4arch9wavefront6targetE0EEEvSY_,comdat
	.globl	_ZN7rocprim17ROCPRIM_400000_NS6detail17trampoline_kernelINS0_13select_configILj256ELj13ELNS0_17block_load_methodE3ELS4_3ELS4_3ELNS0_20block_scan_algorithmE0ELj4294967295EEENS1_25partition_config_selectorILNS1_17partition_subalgoE3EjNS0_10empty_typeEbEEZZNS1_14partition_implILS8_3ELb0ES6_jNS0_17counting_iteratorIjlEEPS9_SE_NS0_5tupleIJPjSE_EEENSF_IJSE_SE_EEES9_SG_JZNS1_25segmented_radix_sort_implINS0_14default_configELb1EPKsPsPKlPlN2at6native12_GLOBAL__N_18offset_tEEE10hipError_tPvRmT1_PNSt15iterator_traitsISY_E10value_typeET2_T3_PNSZ_IS14_E10value_typeET4_jRbjT5_S1A_jjP12ihipStream_tbEUljE_EEESV_SW_SX_S14_S18_S1A_T6_T7_T9_mT8_S1C_bDpT10_ENKUlT_T0_E_clISt17integral_constantIbLb0EES1P_EEDaS1K_S1L_EUlS1K_E_NS1_11comp_targetILNS1_3genE0ELNS1_11target_archE4294967295ELNS1_3gpuE0ELNS1_3repE0EEENS1_30default_config_static_selectorELNS0_4arch9wavefront6targetE0EEEvSY_ ; -- Begin function _ZN7rocprim17ROCPRIM_400000_NS6detail17trampoline_kernelINS0_13select_configILj256ELj13ELNS0_17block_load_methodE3ELS4_3ELS4_3ELNS0_20block_scan_algorithmE0ELj4294967295EEENS1_25partition_config_selectorILNS1_17partition_subalgoE3EjNS0_10empty_typeEbEEZZNS1_14partition_implILS8_3ELb0ES6_jNS0_17counting_iteratorIjlEEPS9_SE_NS0_5tupleIJPjSE_EEENSF_IJSE_SE_EEES9_SG_JZNS1_25segmented_radix_sort_implINS0_14default_configELb1EPKsPsPKlPlN2at6native12_GLOBAL__N_18offset_tEEE10hipError_tPvRmT1_PNSt15iterator_traitsISY_E10value_typeET2_T3_PNSZ_IS14_E10value_typeET4_jRbjT5_S1A_jjP12ihipStream_tbEUljE_EEESV_SW_SX_S14_S18_S1A_T6_T7_T9_mT8_S1C_bDpT10_ENKUlT_T0_E_clISt17integral_constantIbLb0EES1P_EEDaS1K_S1L_EUlS1K_E_NS1_11comp_targetILNS1_3genE0ELNS1_11target_archE4294967295ELNS1_3gpuE0ELNS1_3repE0EEENS1_30default_config_static_selectorELNS0_4arch9wavefront6targetE0EEEvSY_
	.p2align	8
	.type	_ZN7rocprim17ROCPRIM_400000_NS6detail17trampoline_kernelINS0_13select_configILj256ELj13ELNS0_17block_load_methodE3ELS4_3ELS4_3ELNS0_20block_scan_algorithmE0ELj4294967295EEENS1_25partition_config_selectorILNS1_17partition_subalgoE3EjNS0_10empty_typeEbEEZZNS1_14partition_implILS8_3ELb0ES6_jNS0_17counting_iteratorIjlEEPS9_SE_NS0_5tupleIJPjSE_EEENSF_IJSE_SE_EEES9_SG_JZNS1_25segmented_radix_sort_implINS0_14default_configELb1EPKsPsPKlPlN2at6native12_GLOBAL__N_18offset_tEEE10hipError_tPvRmT1_PNSt15iterator_traitsISY_E10value_typeET2_T3_PNSZ_IS14_E10value_typeET4_jRbjT5_S1A_jjP12ihipStream_tbEUljE_EEESV_SW_SX_S14_S18_S1A_T6_T7_T9_mT8_S1C_bDpT10_ENKUlT_T0_E_clISt17integral_constantIbLb0EES1P_EEDaS1K_S1L_EUlS1K_E_NS1_11comp_targetILNS1_3genE0ELNS1_11target_archE4294967295ELNS1_3gpuE0ELNS1_3repE0EEENS1_30default_config_static_selectorELNS0_4arch9wavefront6targetE0EEEvSY_,@function
_ZN7rocprim17ROCPRIM_400000_NS6detail17trampoline_kernelINS0_13select_configILj256ELj13ELNS0_17block_load_methodE3ELS4_3ELS4_3ELNS0_20block_scan_algorithmE0ELj4294967295EEENS1_25partition_config_selectorILNS1_17partition_subalgoE3EjNS0_10empty_typeEbEEZZNS1_14partition_implILS8_3ELb0ES6_jNS0_17counting_iteratorIjlEEPS9_SE_NS0_5tupleIJPjSE_EEENSF_IJSE_SE_EEES9_SG_JZNS1_25segmented_radix_sort_implINS0_14default_configELb1EPKsPsPKlPlN2at6native12_GLOBAL__N_18offset_tEEE10hipError_tPvRmT1_PNSt15iterator_traitsISY_E10value_typeET2_T3_PNSZ_IS14_E10value_typeET4_jRbjT5_S1A_jjP12ihipStream_tbEUljE_EEESV_SW_SX_S14_S18_S1A_T6_T7_T9_mT8_S1C_bDpT10_ENKUlT_T0_E_clISt17integral_constantIbLb0EES1P_EEDaS1K_S1L_EUlS1K_E_NS1_11comp_targetILNS1_3genE0ELNS1_11target_archE4294967295ELNS1_3gpuE0ELNS1_3repE0EEENS1_30default_config_static_selectorELNS0_4arch9wavefront6targetE0EEEvSY_: ; @_ZN7rocprim17ROCPRIM_400000_NS6detail17trampoline_kernelINS0_13select_configILj256ELj13ELNS0_17block_load_methodE3ELS4_3ELS4_3ELNS0_20block_scan_algorithmE0ELj4294967295EEENS1_25partition_config_selectorILNS1_17partition_subalgoE3EjNS0_10empty_typeEbEEZZNS1_14partition_implILS8_3ELb0ES6_jNS0_17counting_iteratorIjlEEPS9_SE_NS0_5tupleIJPjSE_EEENSF_IJSE_SE_EEES9_SG_JZNS1_25segmented_radix_sort_implINS0_14default_configELb1EPKsPsPKlPlN2at6native12_GLOBAL__N_18offset_tEEE10hipError_tPvRmT1_PNSt15iterator_traitsISY_E10value_typeET2_T3_PNSZ_IS14_E10value_typeET4_jRbjT5_S1A_jjP12ihipStream_tbEUljE_EEESV_SW_SX_S14_S18_S1A_T6_T7_T9_mT8_S1C_bDpT10_ENKUlT_T0_E_clISt17integral_constantIbLb0EES1P_EEDaS1K_S1L_EUlS1K_E_NS1_11comp_targetILNS1_3genE0ELNS1_11target_archE4294967295ELNS1_3gpuE0ELNS1_3repE0EEENS1_30default_config_static_selectorELNS0_4arch9wavefront6targetE0EEEvSY_
; %bb.0:
	.section	.rodata,"a",@progbits
	.p2align	6, 0x0
	.amdhsa_kernel _ZN7rocprim17ROCPRIM_400000_NS6detail17trampoline_kernelINS0_13select_configILj256ELj13ELNS0_17block_load_methodE3ELS4_3ELS4_3ELNS0_20block_scan_algorithmE0ELj4294967295EEENS1_25partition_config_selectorILNS1_17partition_subalgoE3EjNS0_10empty_typeEbEEZZNS1_14partition_implILS8_3ELb0ES6_jNS0_17counting_iteratorIjlEEPS9_SE_NS0_5tupleIJPjSE_EEENSF_IJSE_SE_EEES9_SG_JZNS1_25segmented_radix_sort_implINS0_14default_configELb1EPKsPsPKlPlN2at6native12_GLOBAL__N_18offset_tEEE10hipError_tPvRmT1_PNSt15iterator_traitsISY_E10value_typeET2_T3_PNSZ_IS14_E10value_typeET4_jRbjT5_S1A_jjP12ihipStream_tbEUljE_EEESV_SW_SX_S14_S18_S1A_T6_T7_T9_mT8_S1C_bDpT10_ENKUlT_T0_E_clISt17integral_constantIbLb0EES1P_EEDaS1K_S1L_EUlS1K_E_NS1_11comp_targetILNS1_3genE0ELNS1_11target_archE4294967295ELNS1_3gpuE0ELNS1_3repE0EEENS1_30default_config_static_selectorELNS0_4arch9wavefront6targetE0EEEvSY_
		.amdhsa_group_segment_fixed_size 0
		.amdhsa_private_segment_fixed_size 0
		.amdhsa_kernarg_size 144
		.amdhsa_user_sgpr_count 2
		.amdhsa_user_sgpr_dispatch_ptr 0
		.amdhsa_user_sgpr_queue_ptr 0
		.amdhsa_user_sgpr_kernarg_segment_ptr 1
		.amdhsa_user_sgpr_dispatch_id 0
		.amdhsa_user_sgpr_private_segment_size 0
		.amdhsa_wavefront_size32 1
		.amdhsa_uses_dynamic_stack 0
		.amdhsa_enable_private_segment 0
		.amdhsa_system_sgpr_workgroup_id_x 1
		.amdhsa_system_sgpr_workgroup_id_y 0
		.amdhsa_system_sgpr_workgroup_id_z 0
		.amdhsa_system_sgpr_workgroup_info 0
		.amdhsa_system_vgpr_workitem_id 0
		.amdhsa_next_free_vgpr 1
		.amdhsa_next_free_sgpr 1
		.amdhsa_reserve_vcc 0
		.amdhsa_float_round_mode_32 0
		.amdhsa_float_round_mode_16_64 0
		.amdhsa_float_denorm_mode_32 3
		.amdhsa_float_denorm_mode_16_64 3
		.amdhsa_fp16_overflow 0
		.amdhsa_workgroup_processor_mode 1
		.amdhsa_memory_ordered 1
		.amdhsa_forward_progress 1
		.amdhsa_inst_pref_size 0
		.amdhsa_round_robin_scheduling 0
		.amdhsa_exception_fp_ieee_invalid_op 0
		.amdhsa_exception_fp_denorm_src 0
		.amdhsa_exception_fp_ieee_div_zero 0
		.amdhsa_exception_fp_ieee_overflow 0
		.amdhsa_exception_fp_ieee_underflow 0
		.amdhsa_exception_fp_ieee_inexact 0
		.amdhsa_exception_int_div_zero 0
	.end_amdhsa_kernel
	.section	.text._ZN7rocprim17ROCPRIM_400000_NS6detail17trampoline_kernelINS0_13select_configILj256ELj13ELNS0_17block_load_methodE3ELS4_3ELS4_3ELNS0_20block_scan_algorithmE0ELj4294967295EEENS1_25partition_config_selectorILNS1_17partition_subalgoE3EjNS0_10empty_typeEbEEZZNS1_14partition_implILS8_3ELb0ES6_jNS0_17counting_iteratorIjlEEPS9_SE_NS0_5tupleIJPjSE_EEENSF_IJSE_SE_EEES9_SG_JZNS1_25segmented_radix_sort_implINS0_14default_configELb1EPKsPsPKlPlN2at6native12_GLOBAL__N_18offset_tEEE10hipError_tPvRmT1_PNSt15iterator_traitsISY_E10value_typeET2_T3_PNSZ_IS14_E10value_typeET4_jRbjT5_S1A_jjP12ihipStream_tbEUljE_EEESV_SW_SX_S14_S18_S1A_T6_T7_T9_mT8_S1C_bDpT10_ENKUlT_T0_E_clISt17integral_constantIbLb0EES1P_EEDaS1K_S1L_EUlS1K_E_NS1_11comp_targetILNS1_3genE0ELNS1_11target_archE4294967295ELNS1_3gpuE0ELNS1_3repE0EEENS1_30default_config_static_selectorELNS0_4arch9wavefront6targetE0EEEvSY_,"axG",@progbits,_ZN7rocprim17ROCPRIM_400000_NS6detail17trampoline_kernelINS0_13select_configILj256ELj13ELNS0_17block_load_methodE3ELS4_3ELS4_3ELNS0_20block_scan_algorithmE0ELj4294967295EEENS1_25partition_config_selectorILNS1_17partition_subalgoE3EjNS0_10empty_typeEbEEZZNS1_14partition_implILS8_3ELb0ES6_jNS0_17counting_iteratorIjlEEPS9_SE_NS0_5tupleIJPjSE_EEENSF_IJSE_SE_EEES9_SG_JZNS1_25segmented_radix_sort_implINS0_14default_configELb1EPKsPsPKlPlN2at6native12_GLOBAL__N_18offset_tEEE10hipError_tPvRmT1_PNSt15iterator_traitsISY_E10value_typeET2_T3_PNSZ_IS14_E10value_typeET4_jRbjT5_S1A_jjP12ihipStream_tbEUljE_EEESV_SW_SX_S14_S18_S1A_T6_T7_T9_mT8_S1C_bDpT10_ENKUlT_T0_E_clISt17integral_constantIbLb0EES1P_EEDaS1K_S1L_EUlS1K_E_NS1_11comp_targetILNS1_3genE0ELNS1_11target_archE4294967295ELNS1_3gpuE0ELNS1_3repE0EEENS1_30default_config_static_selectorELNS0_4arch9wavefront6targetE0EEEvSY_,comdat
.Lfunc_end879:
	.size	_ZN7rocprim17ROCPRIM_400000_NS6detail17trampoline_kernelINS0_13select_configILj256ELj13ELNS0_17block_load_methodE3ELS4_3ELS4_3ELNS0_20block_scan_algorithmE0ELj4294967295EEENS1_25partition_config_selectorILNS1_17partition_subalgoE3EjNS0_10empty_typeEbEEZZNS1_14partition_implILS8_3ELb0ES6_jNS0_17counting_iteratorIjlEEPS9_SE_NS0_5tupleIJPjSE_EEENSF_IJSE_SE_EEES9_SG_JZNS1_25segmented_radix_sort_implINS0_14default_configELb1EPKsPsPKlPlN2at6native12_GLOBAL__N_18offset_tEEE10hipError_tPvRmT1_PNSt15iterator_traitsISY_E10value_typeET2_T3_PNSZ_IS14_E10value_typeET4_jRbjT5_S1A_jjP12ihipStream_tbEUljE_EEESV_SW_SX_S14_S18_S1A_T6_T7_T9_mT8_S1C_bDpT10_ENKUlT_T0_E_clISt17integral_constantIbLb0EES1P_EEDaS1K_S1L_EUlS1K_E_NS1_11comp_targetILNS1_3genE0ELNS1_11target_archE4294967295ELNS1_3gpuE0ELNS1_3repE0EEENS1_30default_config_static_selectorELNS0_4arch9wavefront6targetE0EEEvSY_, .Lfunc_end879-_ZN7rocprim17ROCPRIM_400000_NS6detail17trampoline_kernelINS0_13select_configILj256ELj13ELNS0_17block_load_methodE3ELS4_3ELS4_3ELNS0_20block_scan_algorithmE0ELj4294967295EEENS1_25partition_config_selectorILNS1_17partition_subalgoE3EjNS0_10empty_typeEbEEZZNS1_14partition_implILS8_3ELb0ES6_jNS0_17counting_iteratorIjlEEPS9_SE_NS0_5tupleIJPjSE_EEENSF_IJSE_SE_EEES9_SG_JZNS1_25segmented_radix_sort_implINS0_14default_configELb1EPKsPsPKlPlN2at6native12_GLOBAL__N_18offset_tEEE10hipError_tPvRmT1_PNSt15iterator_traitsISY_E10value_typeET2_T3_PNSZ_IS14_E10value_typeET4_jRbjT5_S1A_jjP12ihipStream_tbEUljE_EEESV_SW_SX_S14_S18_S1A_T6_T7_T9_mT8_S1C_bDpT10_ENKUlT_T0_E_clISt17integral_constantIbLb0EES1P_EEDaS1K_S1L_EUlS1K_E_NS1_11comp_targetILNS1_3genE0ELNS1_11target_archE4294967295ELNS1_3gpuE0ELNS1_3repE0EEENS1_30default_config_static_selectorELNS0_4arch9wavefront6targetE0EEEvSY_
                                        ; -- End function
	.set _ZN7rocprim17ROCPRIM_400000_NS6detail17trampoline_kernelINS0_13select_configILj256ELj13ELNS0_17block_load_methodE3ELS4_3ELS4_3ELNS0_20block_scan_algorithmE0ELj4294967295EEENS1_25partition_config_selectorILNS1_17partition_subalgoE3EjNS0_10empty_typeEbEEZZNS1_14partition_implILS8_3ELb0ES6_jNS0_17counting_iteratorIjlEEPS9_SE_NS0_5tupleIJPjSE_EEENSF_IJSE_SE_EEES9_SG_JZNS1_25segmented_radix_sort_implINS0_14default_configELb1EPKsPsPKlPlN2at6native12_GLOBAL__N_18offset_tEEE10hipError_tPvRmT1_PNSt15iterator_traitsISY_E10value_typeET2_T3_PNSZ_IS14_E10value_typeET4_jRbjT5_S1A_jjP12ihipStream_tbEUljE_EEESV_SW_SX_S14_S18_S1A_T6_T7_T9_mT8_S1C_bDpT10_ENKUlT_T0_E_clISt17integral_constantIbLb0EES1P_EEDaS1K_S1L_EUlS1K_E_NS1_11comp_targetILNS1_3genE0ELNS1_11target_archE4294967295ELNS1_3gpuE0ELNS1_3repE0EEENS1_30default_config_static_selectorELNS0_4arch9wavefront6targetE0EEEvSY_.num_vgpr, 0
	.set _ZN7rocprim17ROCPRIM_400000_NS6detail17trampoline_kernelINS0_13select_configILj256ELj13ELNS0_17block_load_methodE3ELS4_3ELS4_3ELNS0_20block_scan_algorithmE0ELj4294967295EEENS1_25partition_config_selectorILNS1_17partition_subalgoE3EjNS0_10empty_typeEbEEZZNS1_14partition_implILS8_3ELb0ES6_jNS0_17counting_iteratorIjlEEPS9_SE_NS0_5tupleIJPjSE_EEENSF_IJSE_SE_EEES9_SG_JZNS1_25segmented_radix_sort_implINS0_14default_configELb1EPKsPsPKlPlN2at6native12_GLOBAL__N_18offset_tEEE10hipError_tPvRmT1_PNSt15iterator_traitsISY_E10value_typeET2_T3_PNSZ_IS14_E10value_typeET4_jRbjT5_S1A_jjP12ihipStream_tbEUljE_EEESV_SW_SX_S14_S18_S1A_T6_T7_T9_mT8_S1C_bDpT10_ENKUlT_T0_E_clISt17integral_constantIbLb0EES1P_EEDaS1K_S1L_EUlS1K_E_NS1_11comp_targetILNS1_3genE0ELNS1_11target_archE4294967295ELNS1_3gpuE0ELNS1_3repE0EEENS1_30default_config_static_selectorELNS0_4arch9wavefront6targetE0EEEvSY_.num_agpr, 0
	.set _ZN7rocprim17ROCPRIM_400000_NS6detail17trampoline_kernelINS0_13select_configILj256ELj13ELNS0_17block_load_methodE3ELS4_3ELS4_3ELNS0_20block_scan_algorithmE0ELj4294967295EEENS1_25partition_config_selectorILNS1_17partition_subalgoE3EjNS0_10empty_typeEbEEZZNS1_14partition_implILS8_3ELb0ES6_jNS0_17counting_iteratorIjlEEPS9_SE_NS0_5tupleIJPjSE_EEENSF_IJSE_SE_EEES9_SG_JZNS1_25segmented_radix_sort_implINS0_14default_configELb1EPKsPsPKlPlN2at6native12_GLOBAL__N_18offset_tEEE10hipError_tPvRmT1_PNSt15iterator_traitsISY_E10value_typeET2_T3_PNSZ_IS14_E10value_typeET4_jRbjT5_S1A_jjP12ihipStream_tbEUljE_EEESV_SW_SX_S14_S18_S1A_T6_T7_T9_mT8_S1C_bDpT10_ENKUlT_T0_E_clISt17integral_constantIbLb0EES1P_EEDaS1K_S1L_EUlS1K_E_NS1_11comp_targetILNS1_3genE0ELNS1_11target_archE4294967295ELNS1_3gpuE0ELNS1_3repE0EEENS1_30default_config_static_selectorELNS0_4arch9wavefront6targetE0EEEvSY_.numbered_sgpr, 0
	.set _ZN7rocprim17ROCPRIM_400000_NS6detail17trampoline_kernelINS0_13select_configILj256ELj13ELNS0_17block_load_methodE3ELS4_3ELS4_3ELNS0_20block_scan_algorithmE0ELj4294967295EEENS1_25partition_config_selectorILNS1_17partition_subalgoE3EjNS0_10empty_typeEbEEZZNS1_14partition_implILS8_3ELb0ES6_jNS0_17counting_iteratorIjlEEPS9_SE_NS0_5tupleIJPjSE_EEENSF_IJSE_SE_EEES9_SG_JZNS1_25segmented_radix_sort_implINS0_14default_configELb1EPKsPsPKlPlN2at6native12_GLOBAL__N_18offset_tEEE10hipError_tPvRmT1_PNSt15iterator_traitsISY_E10value_typeET2_T3_PNSZ_IS14_E10value_typeET4_jRbjT5_S1A_jjP12ihipStream_tbEUljE_EEESV_SW_SX_S14_S18_S1A_T6_T7_T9_mT8_S1C_bDpT10_ENKUlT_T0_E_clISt17integral_constantIbLb0EES1P_EEDaS1K_S1L_EUlS1K_E_NS1_11comp_targetILNS1_3genE0ELNS1_11target_archE4294967295ELNS1_3gpuE0ELNS1_3repE0EEENS1_30default_config_static_selectorELNS0_4arch9wavefront6targetE0EEEvSY_.num_named_barrier, 0
	.set _ZN7rocprim17ROCPRIM_400000_NS6detail17trampoline_kernelINS0_13select_configILj256ELj13ELNS0_17block_load_methodE3ELS4_3ELS4_3ELNS0_20block_scan_algorithmE0ELj4294967295EEENS1_25partition_config_selectorILNS1_17partition_subalgoE3EjNS0_10empty_typeEbEEZZNS1_14partition_implILS8_3ELb0ES6_jNS0_17counting_iteratorIjlEEPS9_SE_NS0_5tupleIJPjSE_EEENSF_IJSE_SE_EEES9_SG_JZNS1_25segmented_radix_sort_implINS0_14default_configELb1EPKsPsPKlPlN2at6native12_GLOBAL__N_18offset_tEEE10hipError_tPvRmT1_PNSt15iterator_traitsISY_E10value_typeET2_T3_PNSZ_IS14_E10value_typeET4_jRbjT5_S1A_jjP12ihipStream_tbEUljE_EEESV_SW_SX_S14_S18_S1A_T6_T7_T9_mT8_S1C_bDpT10_ENKUlT_T0_E_clISt17integral_constantIbLb0EES1P_EEDaS1K_S1L_EUlS1K_E_NS1_11comp_targetILNS1_3genE0ELNS1_11target_archE4294967295ELNS1_3gpuE0ELNS1_3repE0EEENS1_30default_config_static_selectorELNS0_4arch9wavefront6targetE0EEEvSY_.private_seg_size, 0
	.set _ZN7rocprim17ROCPRIM_400000_NS6detail17trampoline_kernelINS0_13select_configILj256ELj13ELNS0_17block_load_methodE3ELS4_3ELS4_3ELNS0_20block_scan_algorithmE0ELj4294967295EEENS1_25partition_config_selectorILNS1_17partition_subalgoE3EjNS0_10empty_typeEbEEZZNS1_14partition_implILS8_3ELb0ES6_jNS0_17counting_iteratorIjlEEPS9_SE_NS0_5tupleIJPjSE_EEENSF_IJSE_SE_EEES9_SG_JZNS1_25segmented_radix_sort_implINS0_14default_configELb1EPKsPsPKlPlN2at6native12_GLOBAL__N_18offset_tEEE10hipError_tPvRmT1_PNSt15iterator_traitsISY_E10value_typeET2_T3_PNSZ_IS14_E10value_typeET4_jRbjT5_S1A_jjP12ihipStream_tbEUljE_EEESV_SW_SX_S14_S18_S1A_T6_T7_T9_mT8_S1C_bDpT10_ENKUlT_T0_E_clISt17integral_constantIbLb0EES1P_EEDaS1K_S1L_EUlS1K_E_NS1_11comp_targetILNS1_3genE0ELNS1_11target_archE4294967295ELNS1_3gpuE0ELNS1_3repE0EEENS1_30default_config_static_selectorELNS0_4arch9wavefront6targetE0EEEvSY_.uses_vcc, 0
	.set _ZN7rocprim17ROCPRIM_400000_NS6detail17trampoline_kernelINS0_13select_configILj256ELj13ELNS0_17block_load_methodE3ELS4_3ELS4_3ELNS0_20block_scan_algorithmE0ELj4294967295EEENS1_25partition_config_selectorILNS1_17partition_subalgoE3EjNS0_10empty_typeEbEEZZNS1_14partition_implILS8_3ELb0ES6_jNS0_17counting_iteratorIjlEEPS9_SE_NS0_5tupleIJPjSE_EEENSF_IJSE_SE_EEES9_SG_JZNS1_25segmented_radix_sort_implINS0_14default_configELb1EPKsPsPKlPlN2at6native12_GLOBAL__N_18offset_tEEE10hipError_tPvRmT1_PNSt15iterator_traitsISY_E10value_typeET2_T3_PNSZ_IS14_E10value_typeET4_jRbjT5_S1A_jjP12ihipStream_tbEUljE_EEESV_SW_SX_S14_S18_S1A_T6_T7_T9_mT8_S1C_bDpT10_ENKUlT_T0_E_clISt17integral_constantIbLb0EES1P_EEDaS1K_S1L_EUlS1K_E_NS1_11comp_targetILNS1_3genE0ELNS1_11target_archE4294967295ELNS1_3gpuE0ELNS1_3repE0EEENS1_30default_config_static_selectorELNS0_4arch9wavefront6targetE0EEEvSY_.uses_flat_scratch, 0
	.set _ZN7rocprim17ROCPRIM_400000_NS6detail17trampoline_kernelINS0_13select_configILj256ELj13ELNS0_17block_load_methodE3ELS4_3ELS4_3ELNS0_20block_scan_algorithmE0ELj4294967295EEENS1_25partition_config_selectorILNS1_17partition_subalgoE3EjNS0_10empty_typeEbEEZZNS1_14partition_implILS8_3ELb0ES6_jNS0_17counting_iteratorIjlEEPS9_SE_NS0_5tupleIJPjSE_EEENSF_IJSE_SE_EEES9_SG_JZNS1_25segmented_radix_sort_implINS0_14default_configELb1EPKsPsPKlPlN2at6native12_GLOBAL__N_18offset_tEEE10hipError_tPvRmT1_PNSt15iterator_traitsISY_E10value_typeET2_T3_PNSZ_IS14_E10value_typeET4_jRbjT5_S1A_jjP12ihipStream_tbEUljE_EEESV_SW_SX_S14_S18_S1A_T6_T7_T9_mT8_S1C_bDpT10_ENKUlT_T0_E_clISt17integral_constantIbLb0EES1P_EEDaS1K_S1L_EUlS1K_E_NS1_11comp_targetILNS1_3genE0ELNS1_11target_archE4294967295ELNS1_3gpuE0ELNS1_3repE0EEENS1_30default_config_static_selectorELNS0_4arch9wavefront6targetE0EEEvSY_.has_dyn_sized_stack, 0
	.set _ZN7rocprim17ROCPRIM_400000_NS6detail17trampoline_kernelINS0_13select_configILj256ELj13ELNS0_17block_load_methodE3ELS4_3ELS4_3ELNS0_20block_scan_algorithmE0ELj4294967295EEENS1_25partition_config_selectorILNS1_17partition_subalgoE3EjNS0_10empty_typeEbEEZZNS1_14partition_implILS8_3ELb0ES6_jNS0_17counting_iteratorIjlEEPS9_SE_NS0_5tupleIJPjSE_EEENSF_IJSE_SE_EEES9_SG_JZNS1_25segmented_radix_sort_implINS0_14default_configELb1EPKsPsPKlPlN2at6native12_GLOBAL__N_18offset_tEEE10hipError_tPvRmT1_PNSt15iterator_traitsISY_E10value_typeET2_T3_PNSZ_IS14_E10value_typeET4_jRbjT5_S1A_jjP12ihipStream_tbEUljE_EEESV_SW_SX_S14_S18_S1A_T6_T7_T9_mT8_S1C_bDpT10_ENKUlT_T0_E_clISt17integral_constantIbLb0EES1P_EEDaS1K_S1L_EUlS1K_E_NS1_11comp_targetILNS1_3genE0ELNS1_11target_archE4294967295ELNS1_3gpuE0ELNS1_3repE0EEENS1_30default_config_static_selectorELNS0_4arch9wavefront6targetE0EEEvSY_.has_recursion, 0
	.set _ZN7rocprim17ROCPRIM_400000_NS6detail17trampoline_kernelINS0_13select_configILj256ELj13ELNS0_17block_load_methodE3ELS4_3ELS4_3ELNS0_20block_scan_algorithmE0ELj4294967295EEENS1_25partition_config_selectorILNS1_17partition_subalgoE3EjNS0_10empty_typeEbEEZZNS1_14partition_implILS8_3ELb0ES6_jNS0_17counting_iteratorIjlEEPS9_SE_NS0_5tupleIJPjSE_EEENSF_IJSE_SE_EEES9_SG_JZNS1_25segmented_radix_sort_implINS0_14default_configELb1EPKsPsPKlPlN2at6native12_GLOBAL__N_18offset_tEEE10hipError_tPvRmT1_PNSt15iterator_traitsISY_E10value_typeET2_T3_PNSZ_IS14_E10value_typeET4_jRbjT5_S1A_jjP12ihipStream_tbEUljE_EEESV_SW_SX_S14_S18_S1A_T6_T7_T9_mT8_S1C_bDpT10_ENKUlT_T0_E_clISt17integral_constantIbLb0EES1P_EEDaS1K_S1L_EUlS1K_E_NS1_11comp_targetILNS1_3genE0ELNS1_11target_archE4294967295ELNS1_3gpuE0ELNS1_3repE0EEENS1_30default_config_static_selectorELNS0_4arch9wavefront6targetE0EEEvSY_.has_indirect_call, 0
	.section	.AMDGPU.csdata,"",@progbits
; Kernel info:
; codeLenInByte = 0
; TotalNumSgprs: 0
; NumVgprs: 0
; ScratchSize: 0
; MemoryBound: 0
; FloatMode: 240
; IeeeMode: 1
; LDSByteSize: 0 bytes/workgroup (compile time only)
; SGPRBlocks: 0
; VGPRBlocks: 0
; NumSGPRsForWavesPerEU: 1
; NumVGPRsForWavesPerEU: 1
; Occupancy: 16
; WaveLimiterHint : 0
; COMPUTE_PGM_RSRC2:SCRATCH_EN: 0
; COMPUTE_PGM_RSRC2:USER_SGPR: 2
; COMPUTE_PGM_RSRC2:TRAP_HANDLER: 0
; COMPUTE_PGM_RSRC2:TGID_X_EN: 1
; COMPUTE_PGM_RSRC2:TGID_Y_EN: 0
; COMPUTE_PGM_RSRC2:TGID_Z_EN: 0
; COMPUTE_PGM_RSRC2:TIDIG_COMP_CNT: 0
	.section	.text._ZN7rocprim17ROCPRIM_400000_NS6detail17trampoline_kernelINS0_13select_configILj256ELj13ELNS0_17block_load_methodE3ELS4_3ELS4_3ELNS0_20block_scan_algorithmE0ELj4294967295EEENS1_25partition_config_selectorILNS1_17partition_subalgoE3EjNS0_10empty_typeEbEEZZNS1_14partition_implILS8_3ELb0ES6_jNS0_17counting_iteratorIjlEEPS9_SE_NS0_5tupleIJPjSE_EEENSF_IJSE_SE_EEES9_SG_JZNS1_25segmented_radix_sort_implINS0_14default_configELb1EPKsPsPKlPlN2at6native12_GLOBAL__N_18offset_tEEE10hipError_tPvRmT1_PNSt15iterator_traitsISY_E10value_typeET2_T3_PNSZ_IS14_E10value_typeET4_jRbjT5_S1A_jjP12ihipStream_tbEUljE_EEESV_SW_SX_S14_S18_S1A_T6_T7_T9_mT8_S1C_bDpT10_ENKUlT_T0_E_clISt17integral_constantIbLb0EES1P_EEDaS1K_S1L_EUlS1K_E_NS1_11comp_targetILNS1_3genE5ELNS1_11target_archE942ELNS1_3gpuE9ELNS1_3repE0EEENS1_30default_config_static_selectorELNS0_4arch9wavefront6targetE0EEEvSY_,"axG",@progbits,_ZN7rocprim17ROCPRIM_400000_NS6detail17trampoline_kernelINS0_13select_configILj256ELj13ELNS0_17block_load_methodE3ELS4_3ELS4_3ELNS0_20block_scan_algorithmE0ELj4294967295EEENS1_25partition_config_selectorILNS1_17partition_subalgoE3EjNS0_10empty_typeEbEEZZNS1_14partition_implILS8_3ELb0ES6_jNS0_17counting_iteratorIjlEEPS9_SE_NS0_5tupleIJPjSE_EEENSF_IJSE_SE_EEES9_SG_JZNS1_25segmented_radix_sort_implINS0_14default_configELb1EPKsPsPKlPlN2at6native12_GLOBAL__N_18offset_tEEE10hipError_tPvRmT1_PNSt15iterator_traitsISY_E10value_typeET2_T3_PNSZ_IS14_E10value_typeET4_jRbjT5_S1A_jjP12ihipStream_tbEUljE_EEESV_SW_SX_S14_S18_S1A_T6_T7_T9_mT8_S1C_bDpT10_ENKUlT_T0_E_clISt17integral_constantIbLb0EES1P_EEDaS1K_S1L_EUlS1K_E_NS1_11comp_targetILNS1_3genE5ELNS1_11target_archE942ELNS1_3gpuE9ELNS1_3repE0EEENS1_30default_config_static_selectorELNS0_4arch9wavefront6targetE0EEEvSY_,comdat
	.globl	_ZN7rocprim17ROCPRIM_400000_NS6detail17trampoline_kernelINS0_13select_configILj256ELj13ELNS0_17block_load_methodE3ELS4_3ELS4_3ELNS0_20block_scan_algorithmE0ELj4294967295EEENS1_25partition_config_selectorILNS1_17partition_subalgoE3EjNS0_10empty_typeEbEEZZNS1_14partition_implILS8_3ELb0ES6_jNS0_17counting_iteratorIjlEEPS9_SE_NS0_5tupleIJPjSE_EEENSF_IJSE_SE_EEES9_SG_JZNS1_25segmented_radix_sort_implINS0_14default_configELb1EPKsPsPKlPlN2at6native12_GLOBAL__N_18offset_tEEE10hipError_tPvRmT1_PNSt15iterator_traitsISY_E10value_typeET2_T3_PNSZ_IS14_E10value_typeET4_jRbjT5_S1A_jjP12ihipStream_tbEUljE_EEESV_SW_SX_S14_S18_S1A_T6_T7_T9_mT8_S1C_bDpT10_ENKUlT_T0_E_clISt17integral_constantIbLb0EES1P_EEDaS1K_S1L_EUlS1K_E_NS1_11comp_targetILNS1_3genE5ELNS1_11target_archE942ELNS1_3gpuE9ELNS1_3repE0EEENS1_30default_config_static_selectorELNS0_4arch9wavefront6targetE0EEEvSY_ ; -- Begin function _ZN7rocprim17ROCPRIM_400000_NS6detail17trampoline_kernelINS0_13select_configILj256ELj13ELNS0_17block_load_methodE3ELS4_3ELS4_3ELNS0_20block_scan_algorithmE0ELj4294967295EEENS1_25partition_config_selectorILNS1_17partition_subalgoE3EjNS0_10empty_typeEbEEZZNS1_14partition_implILS8_3ELb0ES6_jNS0_17counting_iteratorIjlEEPS9_SE_NS0_5tupleIJPjSE_EEENSF_IJSE_SE_EEES9_SG_JZNS1_25segmented_radix_sort_implINS0_14default_configELb1EPKsPsPKlPlN2at6native12_GLOBAL__N_18offset_tEEE10hipError_tPvRmT1_PNSt15iterator_traitsISY_E10value_typeET2_T3_PNSZ_IS14_E10value_typeET4_jRbjT5_S1A_jjP12ihipStream_tbEUljE_EEESV_SW_SX_S14_S18_S1A_T6_T7_T9_mT8_S1C_bDpT10_ENKUlT_T0_E_clISt17integral_constantIbLb0EES1P_EEDaS1K_S1L_EUlS1K_E_NS1_11comp_targetILNS1_3genE5ELNS1_11target_archE942ELNS1_3gpuE9ELNS1_3repE0EEENS1_30default_config_static_selectorELNS0_4arch9wavefront6targetE0EEEvSY_
	.p2align	8
	.type	_ZN7rocprim17ROCPRIM_400000_NS6detail17trampoline_kernelINS0_13select_configILj256ELj13ELNS0_17block_load_methodE3ELS4_3ELS4_3ELNS0_20block_scan_algorithmE0ELj4294967295EEENS1_25partition_config_selectorILNS1_17partition_subalgoE3EjNS0_10empty_typeEbEEZZNS1_14partition_implILS8_3ELb0ES6_jNS0_17counting_iteratorIjlEEPS9_SE_NS0_5tupleIJPjSE_EEENSF_IJSE_SE_EEES9_SG_JZNS1_25segmented_radix_sort_implINS0_14default_configELb1EPKsPsPKlPlN2at6native12_GLOBAL__N_18offset_tEEE10hipError_tPvRmT1_PNSt15iterator_traitsISY_E10value_typeET2_T3_PNSZ_IS14_E10value_typeET4_jRbjT5_S1A_jjP12ihipStream_tbEUljE_EEESV_SW_SX_S14_S18_S1A_T6_T7_T9_mT8_S1C_bDpT10_ENKUlT_T0_E_clISt17integral_constantIbLb0EES1P_EEDaS1K_S1L_EUlS1K_E_NS1_11comp_targetILNS1_3genE5ELNS1_11target_archE942ELNS1_3gpuE9ELNS1_3repE0EEENS1_30default_config_static_selectorELNS0_4arch9wavefront6targetE0EEEvSY_,@function
_ZN7rocprim17ROCPRIM_400000_NS6detail17trampoline_kernelINS0_13select_configILj256ELj13ELNS0_17block_load_methodE3ELS4_3ELS4_3ELNS0_20block_scan_algorithmE0ELj4294967295EEENS1_25partition_config_selectorILNS1_17partition_subalgoE3EjNS0_10empty_typeEbEEZZNS1_14partition_implILS8_3ELb0ES6_jNS0_17counting_iteratorIjlEEPS9_SE_NS0_5tupleIJPjSE_EEENSF_IJSE_SE_EEES9_SG_JZNS1_25segmented_radix_sort_implINS0_14default_configELb1EPKsPsPKlPlN2at6native12_GLOBAL__N_18offset_tEEE10hipError_tPvRmT1_PNSt15iterator_traitsISY_E10value_typeET2_T3_PNSZ_IS14_E10value_typeET4_jRbjT5_S1A_jjP12ihipStream_tbEUljE_EEESV_SW_SX_S14_S18_S1A_T6_T7_T9_mT8_S1C_bDpT10_ENKUlT_T0_E_clISt17integral_constantIbLb0EES1P_EEDaS1K_S1L_EUlS1K_E_NS1_11comp_targetILNS1_3genE5ELNS1_11target_archE942ELNS1_3gpuE9ELNS1_3repE0EEENS1_30default_config_static_selectorELNS0_4arch9wavefront6targetE0EEEvSY_: ; @_ZN7rocprim17ROCPRIM_400000_NS6detail17trampoline_kernelINS0_13select_configILj256ELj13ELNS0_17block_load_methodE3ELS4_3ELS4_3ELNS0_20block_scan_algorithmE0ELj4294967295EEENS1_25partition_config_selectorILNS1_17partition_subalgoE3EjNS0_10empty_typeEbEEZZNS1_14partition_implILS8_3ELb0ES6_jNS0_17counting_iteratorIjlEEPS9_SE_NS0_5tupleIJPjSE_EEENSF_IJSE_SE_EEES9_SG_JZNS1_25segmented_radix_sort_implINS0_14default_configELb1EPKsPsPKlPlN2at6native12_GLOBAL__N_18offset_tEEE10hipError_tPvRmT1_PNSt15iterator_traitsISY_E10value_typeET2_T3_PNSZ_IS14_E10value_typeET4_jRbjT5_S1A_jjP12ihipStream_tbEUljE_EEESV_SW_SX_S14_S18_S1A_T6_T7_T9_mT8_S1C_bDpT10_ENKUlT_T0_E_clISt17integral_constantIbLb0EES1P_EEDaS1K_S1L_EUlS1K_E_NS1_11comp_targetILNS1_3genE5ELNS1_11target_archE942ELNS1_3gpuE9ELNS1_3repE0EEENS1_30default_config_static_selectorELNS0_4arch9wavefront6targetE0EEEvSY_
; %bb.0:
	.section	.rodata,"a",@progbits
	.p2align	6, 0x0
	.amdhsa_kernel _ZN7rocprim17ROCPRIM_400000_NS6detail17trampoline_kernelINS0_13select_configILj256ELj13ELNS0_17block_load_methodE3ELS4_3ELS4_3ELNS0_20block_scan_algorithmE0ELj4294967295EEENS1_25partition_config_selectorILNS1_17partition_subalgoE3EjNS0_10empty_typeEbEEZZNS1_14partition_implILS8_3ELb0ES6_jNS0_17counting_iteratorIjlEEPS9_SE_NS0_5tupleIJPjSE_EEENSF_IJSE_SE_EEES9_SG_JZNS1_25segmented_radix_sort_implINS0_14default_configELb1EPKsPsPKlPlN2at6native12_GLOBAL__N_18offset_tEEE10hipError_tPvRmT1_PNSt15iterator_traitsISY_E10value_typeET2_T3_PNSZ_IS14_E10value_typeET4_jRbjT5_S1A_jjP12ihipStream_tbEUljE_EEESV_SW_SX_S14_S18_S1A_T6_T7_T9_mT8_S1C_bDpT10_ENKUlT_T0_E_clISt17integral_constantIbLb0EES1P_EEDaS1K_S1L_EUlS1K_E_NS1_11comp_targetILNS1_3genE5ELNS1_11target_archE942ELNS1_3gpuE9ELNS1_3repE0EEENS1_30default_config_static_selectorELNS0_4arch9wavefront6targetE0EEEvSY_
		.amdhsa_group_segment_fixed_size 0
		.amdhsa_private_segment_fixed_size 0
		.amdhsa_kernarg_size 144
		.amdhsa_user_sgpr_count 2
		.amdhsa_user_sgpr_dispatch_ptr 0
		.amdhsa_user_sgpr_queue_ptr 0
		.amdhsa_user_sgpr_kernarg_segment_ptr 1
		.amdhsa_user_sgpr_dispatch_id 0
		.amdhsa_user_sgpr_private_segment_size 0
		.amdhsa_wavefront_size32 1
		.amdhsa_uses_dynamic_stack 0
		.amdhsa_enable_private_segment 0
		.amdhsa_system_sgpr_workgroup_id_x 1
		.amdhsa_system_sgpr_workgroup_id_y 0
		.amdhsa_system_sgpr_workgroup_id_z 0
		.amdhsa_system_sgpr_workgroup_info 0
		.amdhsa_system_vgpr_workitem_id 0
		.amdhsa_next_free_vgpr 1
		.amdhsa_next_free_sgpr 1
		.amdhsa_reserve_vcc 0
		.amdhsa_float_round_mode_32 0
		.amdhsa_float_round_mode_16_64 0
		.amdhsa_float_denorm_mode_32 3
		.amdhsa_float_denorm_mode_16_64 3
		.amdhsa_fp16_overflow 0
		.amdhsa_workgroup_processor_mode 1
		.amdhsa_memory_ordered 1
		.amdhsa_forward_progress 1
		.amdhsa_inst_pref_size 0
		.amdhsa_round_robin_scheduling 0
		.amdhsa_exception_fp_ieee_invalid_op 0
		.amdhsa_exception_fp_denorm_src 0
		.amdhsa_exception_fp_ieee_div_zero 0
		.amdhsa_exception_fp_ieee_overflow 0
		.amdhsa_exception_fp_ieee_underflow 0
		.amdhsa_exception_fp_ieee_inexact 0
		.amdhsa_exception_int_div_zero 0
	.end_amdhsa_kernel
	.section	.text._ZN7rocprim17ROCPRIM_400000_NS6detail17trampoline_kernelINS0_13select_configILj256ELj13ELNS0_17block_load_methodE3ELS4_3ELS4_3ELNS0_20block_scan_algorithmE0ELj4294967295EEENS1_25partition_config_selectorILNS1_17partition_subalgoE3EjNS0_10empty_typeEbEEZZNS1_14partition_implILS8_3ELb0ES6_jNS0_17counting_iteratorIjlEEPS9_SE_NS0_5tupleIJPjSE_EEENSF_IJSE_SE_EEES9_SG_JZNS1_25segmented_radix_sort_implINS0_14default_configELb1EPKsPsPKlPlN2at6native12_GLOBAL__N_18offset_tEEE10hipError_tPvRmT1_PNSt15iterator_traitsISY_E10value_typeET2_T3_PNSZ_IS14_E10value_typeET4_jRbjT5_S1A_jjP12ihipStream_tbEUljE_EEESV_SW_SX_S14_S18_S1A_T6_T7_T9_mT8_S1C_bDpT10_ENKUlT_T0_E_clISt17integral_constantIbLb0EES1P_EEDaS1K_S1L_EUlS1K_E_NS1_11comp_targetILNS1_3genE5ELNS1_11target_archE942ELNS1_3gpuE9ELNS1_3repE0EEENS1_30default_config_static_selectorELNS0_4arch9wavefront6targetE0EEEvSY_,"axG",@progbits,_ZN7rocprim17ROCPRIM_400000_NS6detail17trampoline_kernelINS0_13select_configILj256ELj13ELNS0_17block_load_methodE3ELS4_3ELS4_3ELNS0_20block_scan_algorithmE0ELj4294967295EEENS1_25partition_config_selectorILNS1_17partition_subalgoE3EjNS0_10empty_typeEbEEZZNS1_14partition_implILS8_3ELb0ES6_jNS0_17counting_iteratorIjlEEPS9_SE_NS0_5tupleIJPjSE_EEENSF_IJSE_SE_EEES9_SG_JZNS1_25segmented_radix_sort_implINS0_14default_configELb1EPKsPsPKlPlN2at6native12_GLOBAL__N_18offset_tEEE10hipError_tPvRmT1_PNSt15iterator_traitsISY_E10value_typeET2_T3_PNSZ_IS14_E10value_typeET4_jRbjT5_S1A_jjP12ihipStream_tbEUljE_EEESV_SW_SX_S14_S18_S1A_T6_T7_T9_mT8_S1C_bDpT10_ENKUlT_T0_E_clISt17integral_constantIbLb0EES1P_EEDaS1K_S1L_EUlS1K_E_NS1_11comp_targetILNS1_3genE5ELNS1_11target_archE942ELNS1_3gpuE9ELNS1_3repE0EEENS1_30default_config_static_selectorELNS0_4arch9wavefront6targetE0EEEvSY_,comdat
.Lfunc_end880:
	.size	_ZN7rocprim17ROCPRIM_400000_NS6detail17trampoline_kernelINS0_13select_configILj256ELj13ELNS0_17block_load_methodE3ELS4_3ELS4_3ELNS0_20block_scan_algorithmE0ELj4294967295EEENS1_25partition_config_selectorILNS1_17partition_subalgoE3EjNS0_10empty_typeEbEEZZNS1_14partition_implILS8_3ELb0ES6_jNS0_17counting_iteratorIjlEEPS9_SE_NS0_5tupleIJPjSE_EEENSF_IJSE_SE_EEES9_SG_JZNS1_25segmented_radix_sort_implINS0_14default_configELb1EPKsPsPKlPlN2at6native12_GLOBAL__N_18offset_tEEE10hipError_tPvRmT1_PNSt15iterator_traitsISY_E10value_typeET2_T3_PNSZ_IS14_E10value_typeET4_jRbjT5_S1A_jjP12ihipStream_tbEUljE_EEESV_SW_SX_S14_S18_S1A_T6_T7_T9_mT8_S1C_bDpT10_ENKUlT_T0_E_clISt17integral_constantIbLb0EES1P_EEDaS1K_S1L_EUlS1K_E_NS1_11comp_targetILNS1_3genE5ELNS1_11target_archE942ELNS1_3gpuE9ELNS1_3repE0EEENS1_30default_config_static_selectorELNS0_4arch9wavefront6targetE0EEEvSY_, .Lfunc_end880-_ZN7rocprim17ROCPRIM_400000_NS6detail17trampoline_kernelINS0_13select_configILj256ELj13ELNS0_17block_load_methodE3ELS4_3ELS4_3ELNS0_20block_scan_algorithmE0ELj4294967295EEENS1_25partition_config_selectorILNS1_17partition_subalgoE3EjNS0_10empty_typeEbEEZZNS1_14partition_implILS8_3ELb0ES6_jNS0_17counting_iteratorIjlEEPS9_SE_NS0_5tupleIJPjSE_EEENSF_IJSE_SE_EEES9_SG_JZNS1_25segmented_radix_sort_implINS0_14default_configELb1EPKsPsPKlPlN2at6native12_GLOBAL__N_18offset_tEEE10hipError_tPvRmT1_PNSt15iterator_traitsISY_E10value_typeET2_T3_PNSZ_IS14_E10value_typeET4_jRbjT5_S1A_jjP12ihipStream_tbEUljE_EEESV_SW_SX_S14_S18_S1A_T6_T7_T9_mT8_S1C_bDpT10_ENKUlT_T0_E_clISt17integral_constantIbLb0EES1P_EEDaS1K_S1L_EUlS1K_E_NS1_11comp_targetILNS1_3genE5ELNS1_11target_archE942ELNS1_3gpuE9ELNS1_3repE0EEENS1_30default_config_static_selectorELNS0_4arch9wavefront6targetE0EEEvSY_
                                        ; -- End function
	.set _ZN7rocprim17ROCPRIM_400000_NS6detail17trampoline_kernelINS0_13select_configILj256ELj13ELNS0_17block_load_methodE3ELS4_3ELS4_3ELNS0_20block_scan_algorithmE0ELj4294967295EEENS1_25partition_config_selectorILNS1_17partition_subalgoE3EjNS0_10empty_typeEbEEZZNS1_14partition_implILS8_3ELb0ES6_jNS0_17counting_iteratorIjlEEPS9_SE_NS0_5tupleIJPjSE_EEENSF_IJSE_SE_EEES9_SG_JZNS1_25segmented_radix_sort_implINS0_14default_configELb1EPKsPsPKlPlN2at6native12_GLOBAL__N_18offset_tEEE10hipError_tPvRmT1_PNSt15iterator_traitsISY_E10value_typeET2_T3_PNSZ_IS14_E10value_typeET4_jRbjT5_S1A_jjP12ihipStream_tbEUljE_EEESV_SW_SX_S14_S18_S1A_T6_T7_T9_mT8_S1C_bDpT10_ENKUlT_T0_E_clISt17integral_constantIbLb0EES1P_EEDaS1K_S1L_EUlS1K_E_NS1_11comp_targetILNS1_3genE5ELNS1_11target_archE942ELNS1_3gpuE9ELNS1_3repE0EEENS1_30default_config_static_selectorELNS0_4arch9wavefront6targetE0EEEvSY_.num_vgpr, 0
	.set _ZN7rocprim17ROCPRIM_400000_NS6detail17trampoline_kernelINS0_13select_configILj256ELj13ELNS0_17block_load_methodE3ELS4_3ELS4_3ELNS0_20block_scan_algorithmE0ELj4294967295EEENS1_25partition_config_selectorILNS1_17partition_subalgoE3EjNS0_10empty_typeEbEEZZNS1_14partition_implILS8_3ELb0ES6_jNS0_17counting_iteratorIjlEEPS9_SE_NS0_5tupleIJPjSE_EEENSF_IJSE_SE_EEES9_SG_JZNS1_25segmented_radix_sort_implINS0_14default_configELb1EPKsPsPKlPlN2at6native12_GLOBAL__N_18offset_tEEE10hipError_tPvRmT1_PNSt15iterator_traitsISY_E10value_typeET2_T3_PNSZ_IS14_E10value_typeET4_jRbjT5_S1A_jjP12ihipStream_tbEUljE_EEESV_SW_SX_S14_S18_S1A_T6_T7_T9_mT8_S1C_bDpT10_ENKUlT_T0_E_clISt17integral_constantIbLb0EES1P_EEDaS1K_S1L_EUlS1K_E_NS1_11comp_targetILNS1_3genE5ELNS1_11target_archE942ELNS1_3gpuE9ELNS1_3repE0EEENS1_30default_config_static_selectorELNS0_4arch9wavefront6targetE0EEEvSY_.num_agpr, 0
	.set _ZN7rocprim17ROCPRIM_400000_NS6detail17trampoline_kernelINS0_13select_configILj256ELj13ELNS0_17block_load_methodE3ELS4_3ELS4_3ELNS0_20block_scan_algorithmE0ELj4294967295EEENS1_25partition_config_selectorILNS1_17partition_subalgoE3EjNS0_10empty_typeEbEEZZNS1_14partition_implILS8_3ELb0ES6_jNS0_17counting_iteratorIjlEEPS9_SE_NS0_5tupleIJPjSE_EEENSF_IJSE_SE_EEES9_SG_JZNS1_25segmented_radix_sort_implINS0_14default_configELb1EPKsPsPKlPlN2at6native12_GLOBAL__N_18offset_tEEE10hipError_tPvRmT1_PNSt15iterator_traitsISY_E10value_typeET2_T3_PNSZ_IS14_E10value_typeET4_jRbjT5_S1A_jjP12ihipStream_tbEUljE_EEESV_SW_SX_S14_S18_S1A_T6_T7_T9_mT8_S1C_bDpT10_ENKUlT_T0_E_clISt17integral_constantIbLb0EES1P_EEDaS1K_S1L_EUlS1K_E_NS1_11comp_targetILNS1_3genE5ELNS1_11target_archE942ELNS1_3gpuE9ELNS1_3repE0EEENS1_30default_config_static_selectorELNS0_4arch9wavefront6targetE0EEEvSY_.numbered_sgpr, 0
	.set _ZN7rocprim17ROCPRIM_400000_NS6detail17trampoline_kernelINS0_13select_configILj256ELj13ELNS0_17block_load_methodE3ELS4_3ELS4_3ELNS0_20block_scan_algorithmE0ELj4294967295EEENS1_25partition_config_selectorILNS1_17partition_subalgoE3EjNS0_10empty_typeEbEEZZNS1_14partition_implILS8_3ELb0ES6_jNS0_17counting_iteratorIjlEEPS9_SE_NS0_5tupleIJPjSE_EEENSF_IJSE_SE_EEES9_SG_JZNS1_25segmented_radix_sort_implINS0_14default_configELb1EPKsPsPKlPlN2at6native12_GLOBAL__N_18offset_tEEE10hipError_tPvRmT1_PNSt15iterator_traitsISY_E10value_typeET2_T3_PNSZ_IS14_E10value_typeET4_jRbjT5_S1A_jjP12ihipStream_tbEUljE_EEESV_SW_SX_S14_S18_S1A_T6_T7_T9_mT8_S1C_bDpT10_ENKUlT_T0_E_clISt17integral_constantIbLb0EES1P_EEDaS1K_S1L_EUlS1K_E_NS1_11comp_targetILNS1_3genE5ELNS1_11target_archE942ELNS1_3gpuE9ELNS1_3repE0EEENS1_30default_config_static_selectorELNS0_4arch9wavefront6targetE0EEEvSY_.num_named_barrier, 0
	.set _ZN7rocprim17ROCPRIM_400000_NS6detail17trampoline_kernelINS0_13select_configILj256ELj13ELNS0_17block_load_methodE3ELS4_3ELS4_3ELNS0_20block_scan_algorithmE0ELj4294967295EEENS1_25partition_config_selectorILNS1_17partition_subalgoE3EjNS0_10empty_typeEbEEZZNS1_14partition_implILS8_3ELb0ES6_jNS0_17counting_iteratorIjlEEPS9_SE_NS0_5tupleIJPjSE_EEENSF_IJSE_SE_EEES9_SG_JZNS1_25segmented_radix_sort_implINS0_14default_configELb1EPKsPsPKlPlN2at6native12_GLOBAL__N_18offset_tEEE10hipError_tPvRmT1_PNSt15iterator_traitsISY_E10value_typeET2_T3_PNSZ_IS14_E10value_typeET4_jRbjT5_S1A_jjP12ihipStream_tbEUljE_EEESV_SW_SX_S14_S18_S1A_T6_T7_T9_mT8_S1C_bDpT10_ENKUlT_T0_E_clISt17integral_constantIbLb0EES1P_EEDaS1K_S1L_EUlS1K_E_NS1_11comp_targetILNS1_3genE5ELNS1_11target_archE942ELNS1_3gpuE9ELNS1_3repE0EEENS1_30default_config_static_selectorELNS0_4arch9wavefront6targetE0EEEvSY_.private_seg_size, 0
	.set _ZN7rocprim17ROCPRIM_400000_NS6detail17trampoline_kernelINS0_13select_configILj256ELj13ELNS0_17block_load_methodE3ELS4_3ELS4_3ELNS0_20block_scan_algorithmE0ELj4294967295EEENS1_25partition_config_selectorILNS1_17partition_subalgoE3EjNS0_10empty_typeEbEEZZNS1_14partition_implILS8_3ELb0ES6_jNS0_17counting_iteratorIjlEEPS9_SE_NS0_5tupleIJPjSE_EEENSF_IJSE_SE_EEES9_SG_JZNS1_25segmented_radix_sort_implINS0_14default_configELb1EPKsPsPKlPlN2at6native12_GLOBAL__N_18offset_tEEE10hipError_tPvRmT1_PNSt15iterator_traitsISY_E10value_typeET2_T3_PNSZ_IS14_E10value_typeET4_jRbjT5_S1A_jjP12ihipStream_tbEUljE_EEESV_SW_SX_S14_S18_S1A_T6_T7_T9_mT8_S1C_bDpT10_ENKUlT_T0_E_clISt17integral_constantIbLb0EES1P_EEDaS1K_S1L_EUlS1K_E_NS1_11comp_targetILNS1_3genE5ELNS1_11target_archE942ELNS1_3gpuE9ELNS1_3repE0EEENS1_30default_config_static_selectorELNS0_4arch9wavefront6targetE0EEEvSY_.uses_vcc, 0
	.set _ZN7rocprim17ROCPRIM_400000_NS6detail17trampoline_kernelINS0_13select_configILj256ELj13ELNS0_17block_load_methodE3ELS4_3ELS4_3ELNS0_20block_scan_algorithmE0ELj4294967295EEENS1_25partition_config_selectorILNS1_17partition_subalgoE3EjNS0_10empty_typeEbEEZZNS1_14partition_implILS8_3ELb0ES6_jNS0_17counting_iteratorIjlEEPS9_SE_NS0_5tupleIJPjSE_EEENSF_IJSE_SE_EEES9_SG_JZNS1_25segmented_radix_sort_implINS0_14default_configELb1EPKsPsPKlPlN2at6native12_GLOBAL__N_18offset_tEEE10hipError_tPvRmT1_PNSt15iterator_traitsISY_E10value_typeET2_T3_PNSZ_IS14_E10value_typeET4_jRbjT5_S1A_jjP12ihipStream_tbEUljE_EEESV_SW_SX_S14_S18_S1A_T6_T7_T9_mT8_S1C_bDpT10_ENKUlT_T0_E_clISt17integral_constantIbLb0EES1P_EEDaS1K_S1L_EUlS1K_E_NS1_11comp_targetILNS1_3genE5ELNS1_11target_archE942ELNS1_3gpuE9ELNS1_3repE0EEENS1_30default_config_static_selectorELNS0_4arch9wavefront6targetE0EEEvSY_.uses_flat_scratch, 0
	.set _ZN7rocprim17ROCPRIM_400000_NS6detail17trampoline_kernelINS0_13select_configILj256ELj13ELNS0_17block_load_methodE3ELS4_3ELS4_3ELNS0_20block_scan_algorithmE0ELj4294967295EEENS1_25partition_config_selectorILNS1_17partition_subalgoE3EjNS0_10empty_typeEbEEZZNS1_14partition_implILS8_3ELb0ES6_jNS0_17counting_iteratorIjlEEPS9_SE_NS0_5tupleIJPjSE_EEENSF_IJSE_SE_EEES9_SG_JZNS1_25segmented_radix_sort_implINS0_14default_configELb1EPKsPsPKlPlN2at6native12_GLOBAL__N_18offset_tEEE10hipError_tPvRmT1_PNSt15iterator_traitsISY_E10value_typeET2_T3_PNSZ_IS14_E10value_typeET4_jRbjT5_S1A_jjP12ihipStream_tbEUljE_EEESV_SW_SX_S14_S18_S1A_T6_T7_T9_mT8_S1C_bDpT10_ENKUlT_T0_E_clISt17integral_constantIbLb0EES1P_EEDaS1K_S1L_EUlS1K_E_NS1_11comp_targetILNS1_3genE5ELNS1_11target_archE942ELNS1_3gpuE9ELNS1_3repE0EEENS1_30default_config_static_selectorELNS0_4arch9wavefront6targetE0EEEvSY_.has_dyn_sized_stack, 0
	.set _ZN7rocprim17ROCPRIM_400000_NS6detail17trampoline_kernelINS0_13select_configILj256ELj13ELNS0_17block_load_methodE3ELS4_3ELS4_3ELNS0_20block_scan_algorithmE0ELj4294967295EEENS1_25partition_config_selectorILNS1_17partition_subalgoE3EjNS0_10empty_typeEbEEZZNS1_14partition_implILS8_3ELb0ES6_jNS0_17counting_iteratorIjlEEPS9_SE_NS0_5tupleIJPjSE_EEENSF_IJSE_SE_EEES9_SG_JZNS1_25segmented_radix_sort_implINS0_14default_configELb1EPKsPsPKlPlN2at6native12_GLOBAL__N_18offset_tEEE10hipError_tPvRmT1_PNSt15iterator_traitsISY_E10value_typeET2_T3_PNSZ_IS14_E10value_typeET4_jRbjT5_S1A_jjP12ihipStream_tbEUljE_EEESV_SW_SX_S14_S18_S1A_T6_T7_T9_mT8_S1C_bDpT10_ENKUlT_T0_E_clISt17integral_constantIbLb0EES1P_EEDaS1K_S1L_EUlS1K_E_NS1_11comp_targetILNS1_3genE5ELNS1_11target_archE942ELNS1_3gpuE9ELNS1_3repE0EEENS1_30default_config_static_selectorELNS0_4arch9wavefront6targetE0EEEvSY_.has_recursion, 0
	.set _ZN7rocprim17ROCPRIM_400000_NS6detail17trampoline_kernelINS0_13select_configILj256ELj13ELNS0_17block_load_methodE3ELS4_3ELS4_3ELNS0_20block_scan_algorithmE0ELj4294967295EEENS1_25partition_config_selectorILNS1_17partition_subalgoE3EjNS0_10empty_typeEbEEZZNS1_14partition_implILS8_3ELb0ES6_jNS0_17counting_iteratorIjlEEPS9_SE_NS0_5tupleIJPjSE_EEENSF_IJSE_SE_EEES9_SG_JZNS1_25segmented_radix_sort_implINS0_14default_configELb1EPKsPsPKlPlN2at6native12_GLOBAL__N_18offset_tEEE10hipError_tPvRmT1_PNSt15iterator_traitsISY_E10value_typeET2_T3_PNSZ_IS14_E10value_typeET4_jRbjT5_S1A_jjP12ihipStream_tbEUljE_EEESV_SW_SX_S14_S18_S1A_T6_T7_T9_mT8_S1C_bDpT10_ENKUlT_T0_E_clISt17integral_constantIbLb0EES1P_EEDaS1K_S1L_EUlS1K_E_NS1_11comp_targetILNS1_3genE5ELNS1_11target_archE942ELNS1_3gpuE9ELNS1_3repE0EEENS1_30default_config_static_selectorELNS0_4arch9wavefront6targetE0EEEvSY_.has_indirect_call, 0
	.section	.AMDGPU.csdata,"",@progbits
; Kernel info:
; codeLenInByte = 0
; TotalNumSgprs: 0
; NumVgprs: 0
; ScratchSize: 0
; MemoryBound: 0
; FloatMode: 240
; IeeeMode: 1
; LDSByteSize: 0 bytes/workgroup (compile time only)
; SGPRBlocks: 0
; VGPRBlocks: 0
; NumSGPRsForWavesPerEU: 1
; NumVGPRsForWavesPerEU: 1
; Occupancy: 16
; WaveLimiterHint : 0
; COMPUTE_PGM_RSRC2:SCRATCH_EN: 0
; COMPUTE_PGM_RSRC2:USER_SGPR: 2
; COMPUTE_PGM_RSRC2:TRAP_HANDLER: 0
; COMPUTE_PGM_RSRC2:TGID_X_EN: 1
; COMPUTE_PGM_RSRC2:TGID_Y_EN: 0
; COMPUTE_PGM_RSRC2:TGID_Z_EN: 0
; COMPUTE_PGM_RSRC2:TIDIG_COMP_CNT: 0
	.section	.text._ZN7rocprim17ROCPRIM_400000_NS6detail17trampoline_kernelINS0_13select_configILj256ELj13ELNS0_17block_load_methodE3ELS4_3ELS4_3ELNS0_20block_scan_algorithmE0ELj4294967295EEENS1_25partition_config_selectorILNS1_17partition_subalgoE3EjNS0_10empty_typeEbEEZZNS1_14partition_implILS8_3ELb0ES6_jNS0_17counting_iteratorIjlEEPS9_SE_NS0_5tupleIJPjSE_EEENSF_IJSE_SE_EEES9_SG_JZNS1_25segmented_radix_sort_implINS0_14default_configELb1EPKsPsPKlPlN2at6native12_GLOBAL__N_18offset_tEEE10hipError_tPvRmT1_PNSt15iterator_traitsISY_E10value_typeET2_T3_PNSZ_IS14_E10value_typeET4_jRbjT5_S1A_jjP12ihipStream_tbEUljE_EEESV_SW_SX_S14_S18_S1A_T6_T7_T9_mT8_S1C_bDpT10_ENKUlT_T0_E_clISt17integral_constantIbLb0EES1P_EEDaS1K_S1L_EUlS1K_E_NS1_11comp_targetILNS1_3genE4ELNS1_11target_archE910ELNS1_3gpuE8ELNS1_3repE0EEENS1_30default_config_static_selectorELNS0_4arch9wavefront6targetE0EEEvSY_,"axG",@progbits,_ZN7rocprim17ROCPRIM_400000_NS6detail17trampoline_kernelINS0_13select_configILj256ELj13ELNS0_17block_load_methodE3ELS4_3ELS4_3ELNS0_20block_scan_algorithmE0ELj4294967295EEENS1_25partition_config_selectorILNS1_17partition_subalgoE3EjNS0_10empty_typeEbEEZZNS1_14partition_implILS8_3ELb0ES6_jNS0_17counting_iteratorIjlEEPS9_SE_NS0_5tupleIJPjSE_EEENSF_IJSE_SE_EEES9_SG_JZNS1_25segmented_radix_sort_implINS0_14default_configELb1EPKsPsPKlPlN2at6native12_GLOBAL__N_18offset_tEEE10hipError_tPvRmT1_PNSt15iterator_traitsISY_E10value_typeET2_T3_PNSZ_IS14_E10value_typeET4_jRbjT5_S1A_jjP12ihipStream_tbEUljE_EEESV_SW_SX_S14_S18_S1A_T6_T7_T9_mT8_S1C_bDpT10_ENKUlT_T0_E_clISt17integral_constantIbLb0EES1P_EEDaS1K_S1L_EUlS1K_E_NS1_11comp_targetILNS1_3genE4ELNS1_11target_archE910ELNS1_3gpuE8ELNS1_3repE0EEENS1_30default_config_static_selectorELNS0_4arch9wavefront6targetE0EEEvSY_,comdat
	.globl	_ZN7rocprim17ROCPRIM_400000_NS6detail17trampoline_kernelINS0_13select_configILj256ELj13ELNS0_17block_load_methodE3ELS4_3ELS4_3ELNS0_20block_scan_algorithmE0ELj4294967295EEENS1_25partition_config_selectorILNS1_17partition_subalgoE3EjNS0_10empty_typeEbEEZZNS1_14partition_implILS8_3ELb0ES6_jNS0_17counting_iteratorIjlEEPS9_SE_NS0_5tupleIJPjSE_EEENSF_IJSE_SE_EEES9_SG_JZNS1_25segmented_radix_sort_implINS0_14default_configELb1EPKsPsPKlPlN2at6native12_GLOBAL__N_18offset_tEEE10hipError_tPvRmT1_PNSt15iterator_traitsISY_E10value_typeET2_T3_PNSZ_IS14_E10value_typeET4_jRbjT5_S1A_jjP12ihipStream_tbEUljE_EEESV_SW_SX_S14_S18_S1A_T6_T7_T9_mT8_S1C_bDpT10_ENKUlT_T0_E_clISt17integral_constantIbLb0EES1P_EEDaS1K_S1L_EUlS1K_E_NS1_11comp_targetILNS1_3genE4ELNS1_11target_archE910ELNS1_3gpuE8ELNS1_3repE0EEENS1_30default_config_static_selectorELNS0_4arch9wavefront6targetE0EEEvSY_ ; -- Begin function _ZN7rocprim17ROCPRIM_400000_NS6detail17trampoline_kernelINS0_13select_configILj256ELj13ELNS0_17block_load_methodE3ELS4_3ELS4_3ELNS0_20block_scan_algorithmE0ELj4294967295EEENS1_25partition_config_selectorILNS1_17partition_subalgoE3EjNS0_10empty_typeEbEEZZNS1_14partition_implILS8_3ELb0ES6_jNS0_17counting_iteratorIjlEEPS9_SE_NS0_5tupleIJPjSE_EEENSF_IJSE_SE_EEES9_SG_JZNS1_25segmented_radix_sort_implINS0_14default_configELb1EPKsPsPKlPlN2at6native12_GLOBAL__N_18offset_tEEE10hipError_tPvRmT1_PNSt15iterator_traitsISY_E10value_typeET2_T3_PNSZ_IS14_E10value_typeET4_jRbjT5_S1A_jjP12ihipStream_tbEUljE_EEESV_SW_SX_S14_S18_S1A_T6_T7_T9_mT8_S1C_bDpT10_ENKUlT_T0_E_clISt17integral_constantIbLb0EES1P_EEDaS1K_S1L_EUlS1K_E_NS1_11comp_targetILNS1_3genE4ELNS1_11target_archE910ELNS1_3gpuE8ELNS1_3repE0EEENS1_30default_config_static_selectorELNS0_4arch9wavefront6targetE0EEEvSY_
	.p2align	8
	.type	_ZN7rocprim17ROCPRIM_400000_NS6detail17trampoline_kernelINS0_13select_configILj256ELj13ELNS0_17block_load_methodE3ELS4_3ELS4_3ELNS0_20block_scan_algorithmE0ELj4294967295EEENS1_25partition_config_selectorILNS1_17partition_subalgoE3EjNS0_10empty_typeEbEEZZNS1_14partition_implILS8_3ELb0ES6_jNS0_17counting_iteratorIjlEEPS9_SE_NS0_5tupleIJPjSE_EEENSF_IJSE_SE_EEES9_SG_JZNS1_25segmented_radix_sort_implINS0_14default_configELb1EPKsPsPKlPlN2at6native12_GLOBAL__N_18offset_tEEE10hipError_tPvRmT1_PNSt15iterator_traitsISY_E10value_typeET2_T3_PNSZ_IS14_E10value_typeET4_jRbjT5_S1A_jjP12ihipStream_tbEUljE_EEESV_SW_SX_S14_S18_S1A_T6_T7_T9_mT8_S1C_bDpT10_ENKUlT_T0_E_clISt17integral_constantIbLb0EES1P_EEDaS1K_S1L_EUlS1K_E_NS1_11comp_targetILNS1_3genE4ELNS1_11target_archE910ELNS1_3gpuE8ELNS1_3repE0EEENS1_30default_config_static_selectorELNS0_4arch9wavefront6targetE0EEEvSY_,@function
_ZN7rocprim17ROCPRIM_400000_NS6detail17trampoline_kernelINS0_13select_configILj256ELj13ELNS0_17block_load_methodE3ELS4_3ELS4_3ELNS0_20block_scan_algorithmE0ELj4294967295EEENS1_25partition_config_selectorILNS1_17partition_subalgoE3EjNS0_10empty_typeEbEEZZNS1_14partition_implILS8_3ELb0ES6_jNS0_17counting_iteratorIjlEEPS9_SE_NS0_5tupleIJPjSE_EEENSF_IJSE_SE_EEES9_SG_JZNS1_25segmented_radix_sort_implINS0_14default_configELb1EPKsPsPKlPlN2at6native12_GLOBAL__N_18offset_tEEE10hipError_tPvRmT1_PNSt15iterator_traitsISY_E10value_typeET2_T3_PNSZ_IS14_E10value_typeET4_jRbjT5_S1A_jjP12ihipStream_tbEUljE_EEESV_SW_SX_S14_S18_S1A_T6_T7_T9_mT8_S1C_bDpT10_ENKUlT_T0_E_clISt17integral_constantIbLb0EES1P_EEDaS1K_S1L_EUlS1K_E_NS1_11comp_targetILNS1_3genE4ELNS1_11target_archE910ELNS1_3gpuE8ELNS1_3repE0EEENS1_30default_config_static_selectorELNS0_4arch9wavefront6targetE0EEEvSY_: ; @_ZN7rocprim17ROCPRIM_400000_NS6detail17trampoline_kernelINS0_13select_configILj256ELj13ELNS0_17block_load_methodE3ELS4_3ELS4_3ELNS0_20block_scan_algorithmE0ELj4294967295EEENS1_25partition_config_selectorILNS1_17partition_subalgoE3EjNS0_10empty_typeEbEEZZNS1_14partition_implILS8_3ELb0ES6_jNS0_17counting_iteratorIjlEEPS9_SE_NS0_5tupleIJPjSE_EEENSF_IJSE_SE_EEES9_SG_JZNS1_25segmented_radix_sort_implINS0_14default_configELb1EPKsPsPKlPlN2at6native12_GLOBAL__N_18offset_tEEE10hipError_tPvRmT1_PNSt15iterator_traitsISY_E10value_typeET2_T3_PNSZ_IS14_E10value_typeET4_jRbjT5_S1A_jjP12ihipStream_tbEUljE_EEESV_SW_SX_S14_S18_S1A_T6_T7_T9_mT8_S1C_bDpT10_ENKUlT_T0_E_clISt17integral_constantIbLb0EES1P_EEDaS1K_S1L_EUlS1K_E_NS1_11comp_targetILNS1_3genE4ELNS1_11target_archE910ELNS1_3gpuE8ELNS1_3repE0EEENS1_30default_config_static_selectorELNS0_4arch9wavefront6targetE0EEEvSY_
; %bb.0:
	.section	.rodata,"a",@progbits
	.p2align	6, 0x0
	.amdhsa_kernel _ZN7rocprim17ROCPRIM_400000_NS6detail17trampoline_kernelINS0_13select_configILj256ELj13ELNS0_17block_load_methodE3ELS4_3ELS4_3ELNS0_20block_scan_algorithmE0ELj4294967295EEENS1_25partition_config_selectorILNS1_17partition_subalgoE3EjNS0_10empty_typeEbEEZZNS1_14partition_implILS8_3ELb0ES6_jNS0_17counting_iteratorIjlEEPS9_SE_NS0_5tupleIJPjSE_EEENSF_IJSE_SE_EEES9_SG_JZNS1_25segmented_radix_sort_implINS0_14default_configELb1EPKsPsPKlPlN2at6native12_GLOBAL__N_18offset_tEEE10hipError_tPvRmT1_PNSt15iterator_traitsISY_E10value_typeET2_T3_PNSZ_IS14_E10value_typeET4_jRbjT5_S1A_jjP12ihipStream_tbEUljE_EEESV_SW_SX_S14_S18_S1A_T6_T7_T9_mT8_S1C_bDpT10_ENKUlT_T0_E_clISt17integral_constantIbLb0EES1P_EEDaS1K_S1L_EUlS1K_E_NS1_11comp_targetILNS1_3genE4ELNS1_11target_archE910ELNS1_3gpuE8ELNS1_3repE0EEENS1_30default_config_static_selectorELNS0_4arch9wavefront6targetE0EEEvSY_
		.amdhsa_group_segment_fixed_size 0
		.amdhsa_private_segment_fixed_size 0
		.amdhsa_kernarg_size 144
		.amdhsa_user_sgpr_count 2
		.amdhsa_user_sgpr_dispatch_ptr 0
		.amdhsa_user_sgpr_queue_ptr 0
		.amdhsa_user_sgpr_kernarg_segment_ptr 1
		.amdhsa_user_sgpr_dispatch_id 0
		.amdhsa_user_sgpr_private_segment_size 0
		.amdhsa_wavefront_size32 1
		.amdhsa_uses_dynamic_stack 0
		.amdhsa_enable_private_segment 0
		.amdhsa_system_sgpr_workgroup_id_x 1
		.amdhsa_system_sgpr_workgroup_id_y 0
		.amdhsa_system_sgpr_workgroup_id_z 0
		.amdhsa_system_sgpr_workgroup_info 0
		.amdhsa_system_vgpr_workitem_id 0
		.amdhsa_next_free_vgpr 1
		.amdhsa_next_free_sgpr 1
		.amdhsa_reserve_vcc 0
		.amdhsa_float_round_mode_32 0
		.amdhsa_float_round_mode_16_64 0
		.amdhsa_float_denorm_mode_32 3
		.amdhsa_float_denorm_mode_16_64 3
		.amdhsa_fp16_overflow 0
		.amdhsa_workgroup_processor_mode 1
		.amdhsa_memory_ordered 1
		.amdhsa_forward_progress 1
		.amdhsa_inst_pref_size 0
		.amdhsa_round_robin_scheduling 0
		.amdhsa_exception_fp_ieee_invalid_op 0
		.amdhsa_exception_fp_denorm_src 0
		.amdhsa_exception_fp_ieee_div_zero 0
		.amdhsa_exception_fp_ieee_overflow 0
		.amdhsa_exception_fp_ieee_underflow 0
		.amdhsa_exception_fp_ieee_inexact 0
		.amdhsa_exception_int_div_zero 0
	.end_amdhsa_kernel
	.section	.text._ZN7rocprim17ROCPRIM_400000_NS6detail17trampoline_kernelINS0_13select_configILj256ELj13ELNS0_17block_load_methodE3ELS4_3ELS4_3ELNS0_20block_scan_algorithmE0ELj4294967295EEENS1_25partition_config_selectorILNS1_17partition_subalgoE3EjNS0_10empty_typeEbEEZZNS1_14partition_implILS8_3ELb0ES6_jNS0_17counting_iteratorIjlEEPS9_SE_NS0_5tupleIJPjSE_EEENSF_IJSE_SE_EEES9_SG_JZNS1_25segmented_radix_sort_implINS0_14default_configELb1EPKsPsPKlPlN2at6native12_GLOBAL__N_18offset_tEEE10hipError_tPvRmT1_PNSt15iterator_traitsISY_E10value_typeET2_T3_PNSZ_IS14_E10value_typeET4_jRbjT5_S1A_jjP12ihipStream_tbEUljE_EEESV_SW_SX_S14_S18_S1A_T6_T7_T9_mT8_S1C_bDpT10_ENKUlT_T0_E_clISt17integral_constantIbLb0EES1P_EEDaS1K_S1L_EUlS1K_E_NS1_11comp_targetILNS1_3genE4ELNS1_11target_archE910ELNS1_3gpuE8ELNS1_3repE0EEENS1_30default_config_static_selectorELNS0_4arch9wavefront6targetE0EEEvSY_,"axG",@progbits,_ZN7rocprim17ROCPRIM_400000_NS6detail17trampoline_kernelINS0_13select_configILj256ELj13ELNS0_17block_load_methodE3ELS4_3ELS4_3ELNS0_20block_scan_algorithmE0ELj4294967295EEENS1_25partition_config_selectorILNS1_17partition_subalgoE3EjNS0_10empty_typeEbEEZZNS1_14partition_implILS8_3ELb0ES6_jNS0_17counting_iteratorIjlEEPS9_SE_NS0_5tupleIJPjSE_EEENSF_IJSE_SE_EEES9_SG_JZNS1_25segmented_radix_sort_implINS0_14default_configELb1EPKsPsPKlPlN2at6native12_GLOBAL__N_18offset_tEEE10hipError_tPvRmT1_PNSt15iterator_traitsISY_E10value_typeET2_T3_PNSZ_IS14_E10value_typeET4_jRbjT5_S1A_jjP12ihipStream_tbEUljE_EEESV_SW_SX_S14_S18_S1A_T6_T7_T9_mT8_S1C_bDpT10_ENKUlT_T0_E_clISt17integral_constantIbLb0EES1P_EEDaS1K_S1L_EUlS1K_E_NS1_11comp_targetILNS1_3genE4ELNS1_11target_archE910ELNS1_3gpuE8ELNS1_3repE0EEENS1_30default_config_static_selectorELNS0_4arch9wavefront6targetE0EEEvSY_,comdat
.Lfunc_end881:
	.size	_ZN7rocprim17ROCPRIM_400000_NS6detail17trampoline_kernelINS0_13select_configILj256ELj13ELNS0_17block_load_methodE3ELS4_3ELS4_3ELNS0_20block_scan_algorithmE0ELj4294967295EEENS1_25partition_config_selectorILNS1_17partition_subalgoE3EjNS0_10empty_typeEbEEZZNS1_14partition_implILS8_3ELb0ES6_jNS0_17counting_iteratorIjlEEPS9_SE_NS0_5tupleIJPjSE_EEENSF_IJSE_SE_EEES9_SG_JZNS1_25segmented_radix_sort_implINS0_14default_configELb1EPKsPsPKlPlN2at6native12_GLOBAL__N_18offset_tEEE10hipError_tPvRmT1_PNSt15iterator_traitsISY_E10value_typeET2_T3_PNSZ_IS14_E10value_typeET4_jRbjT5_S1A_jjP12ihipStream_tbEUljE_EEESV_SW_SX_S14_S18_S1A_T6_T7_T9_mT8_S1C_bDpT10_ENKUlT_T0_E_clISt17integral_constantIbLb0EES1P_EEDaS1K_S1L_EUlS1K_E_NS1_11comp_targetILNS1_3genE4ELNS1_11target_archE910ELNS1_3gpuE8ELNS1_3repE0EEENS1_30default_config_static_selectorELNS0_4arch9wavefront6targetE0EEEvSY_, .Lfunc_end881-_ZN7rocprim17ROCPRIM_400000_NS6detail17trampoline_kernelINS0_13select_configILj256ELj13ELNS0_17block_load_methodE3ELS4_3ELS4_3ELNS0_20block_scan_algorithmE0ELj4294967295EEENS1_25partition_config_selectorILNS1_17partition_subalgoE3EjNS0_10empty_typeEbEEZZNS1_14partition_implILS8_3ELb0ES6_jNS0_17counting_iteratorIjlEEPS9_SE_NS0_5tupleIJPjSE_EEENSF_IJSE_SE_EEES9_SG_JZNS1_25segmented_radix_sort_implINS0_14default_configELb1EPKsPsPKlPlN2at6native12_GLOBAL__N_18offset_tEEE10hipError_tPvRmT1_PNSt15iterator_traitsISY_E10value_typeET2_T3_PNSZ_IS14_E10value_typeET4_jRbjT5_S1A_jjP12ihipStream_tbEUljE_EEESV_SW_SX_S14_S18_S1A_T6_T7_T9_mT8_S1C_bDpT10_ENKUlT_T0_E_clISt17integral_constantIbLb0EES1P_EEDaS1K_S1L_EUlS1K_E_NS1_11comp_targetILNS1_3genE4ELNS1_11target_archE910ELNS1_3gpuE8ELNS1_3repE0EEENS1_30default_config_static_selectorELNS0_4arch9wavefront6targetE0EEEvSY_
                                        ; -- End function
	.set _ZN7rocprim17ROCPRIM_400000_NS6detail17trampoline_kernelINS0_13select_configILj256ELj13ELNS0_17block_load_methodE3ELS4_3ELS4_3ELNS0_20block_scan_algorithmE0ELj4294967295EEENS1_25partition_config_selectorILNS1_17partition_subalgoE3EjNS0_10empty_typeEbEEZZNS1_14partition_implILS8_3ELb0ES6_jNS0_17counting_iteratorIjlEEPS9_SE_NS0_5tupleIJPjSE_EEENSF_IJSE_SE_EEES9_SG_JZNS1_25segmented_radix_sort_implINS0_14default_configELb1EPKsPsPKlPlN2at6native12_GLOBAL__N_18offset_tEEE10hipError_tPvRmT1_PNSt15iterator_traitsISY_E10value_typeET2_T3_PNSZ_IS14_E10value_typeET4_jRbjT5_S1A_jjP12ihipStream_tbEUljE_EEESV_SW_SX_S14_S18_S1A_T6_T7_T9_mT8_S1C_bDpT10_ENKUlT_T0_E_clISt17integral_constantIbLb0EES1P_EEDaS1K_S1L_EUlS1K_E_NS1_11comp_targetILNS1_3genE4ELNS1_11target_archE910ELNS1_3gpuE8ELNS1_3repE0EEENS1_30default_config_static_selectorELNS0_4arch9wavefront6targetE0EEEvSY_.num_vgpr, 0
	.set _ZN7rocprim17ROCPRIM_400000_NS6detail17trampoline_kernelINS0_13select_configILj256ELj13ELNS0_17block_load_methodE3ELS4_3ELS4_3ELNS0_20block_scan_algorithmE0ELj4294967295EEENS1_25partition_config_selectorILNS1_17partition_subalgoE3EjNS0_10empty_typeEbEEZZNS1_14partition_implILS8_3ELb0ES6_jNS0_17counting_iteratorIjlEEPS9_SE_NS0_5tupleIJPjSE_EEENSF_IJSE_SE_EEES9_SG_JZNS1_25segmented_radix_sort_implINS0_14default_configELb1EPKsPsPKlPlN2at6native12_GLOBAL__N_18offset_tEEE10hipError_tPvRmT1_PNSt15iterator_traitsISY_E10value_typeET2_T3_PNSZ_IS14_E10value_typeET4_jRbjT5_S1A_jjP12ihipStream_tbEUljE_EEESV_SW_SX_S14_S18_S1A_T6_T7_T9_mT8_S1C_bDpT10_ENKUlT_T0_E_clISt17integral_constantIbLb0EES1P_EEDaS1K_S1L_EUlS1K_E_NS1_11comp_targetILNS1_3genE4ELNS1_11target_archE910ELNS1_3gpuE8ELNS1_3repE0EEENS1_30default_config_static_selectorELNS0_4arch9wavefront6targetE0EEEvSY_.num_agpr, 0
	.set _ZN7rocprim17ROCPRIM_400000_NS6detail17trampoline_kernelINS0_13select_configILj256ELj13ELNS0_17block_load_methodE3ELS4_3ELS4_3ELNS0_20block_scan_algorithmE0ELj4294967295EEENS1_25partition_config_selectorILNS1_17partition_subalgoE3EjNS0_10empty_typeEbEEZZNS1_14partition_implILS8_3ELb0ES6_jNS0_17counting_iteratorIjlEEPS9_SE_NS0_5tupleIJPjSE_EEENSF_IJSE_SE_EEES9_SG_JZNS1_25segmented_radix_sort_implINS0_14default_configELb1EPKsPsPKlPlN2at6native12_GLOBAL__N_18offset_tEEE10hipError_tPvRmT1_PNSt15iterator_traitsISY_E10value_typeET2_T3_PNSZ_IS14_E10value_typeET4_jRbjT5_S1A_jjP12ihipStream_tbEUljE_EEESV_SW_SX_S14_S18_S1A_T6_T7_T9_mT8_S1C_bDpT10_ENKUlT_T0_E_clISt17integral_constantIbLb0EES1P_EEDaS1K_S1L_EUlS1K_E_NS1_11comp_targetILNS1_3genE4ELNS1_11target_archE910ELNS1_3gpuE8ELNS1_3repE0EEENS1_30default_config_static_selectorELNS0_4arch9wavefront6targetE0EEEvSY_.numbered_sgpr, 0
	.set _ZN7rocprim17ROCPRIM_400000_NS6detail17trampoline_kernelINS0_13select_configILj256ELj13ELNS0_17block_load_methodE3ELS4_3ELS4_3ELNS0_20block_scan_algorithmE0ELj4294967295EEENS1_25partition_config_selectorILNS1_17partition_subalgoE3EjNS0_10empty_typeEbEEZZNS1_14partition_implILS8_3ELb0ES6_jNS0_17counting_iteratorIjlEEPS9_SE_NS0_5tupleIJPjSE_EEENSF_IJSE_SE_EEES9_SG_JZNS1_25segmented_radix_sort_implINS0_14default_configELb1EPKsPsPKlPlN2at6native12_GLOBAL__N_18offset_tEEE10hipError_tPvRmT1_PNSt15iterator_traitsISY_E10value_typeET2_T3_PNSZ_IS14_E10value_typeET4_jRbjT5_S1A_jjP12ihipStream_tbEUljE_EEESV_SW_SX_S14_S18_S1A_T6_T7_T9_mT8_S1C_bDpT10_ENKUlT_T0_E_clISt17integral_constantIbLb0EES1P_EEDaS1K_S1L_EUlS1K_E_NS1_11comp_targetILNS1_3genE4ELNS1_11target_archE910ELNS1_3gpuE8ELNS1_3repE0EEENS1_30default_config_static_selectorELNS0_4arch9wavefront6targetE0EEEvSY_.num_named_barrier, 0
	.set _ZN7rocprim17ROCPRIM_400000_NS6detail17trampoline_kernelINS0_13select_configILj256ELj13ELNS0_17block_load_methodE3ELS4_3ELS4_3ELNS0_20block_scan_algorithmE0ELj4294967295EEENS1_25partition_config_selectorILNS1_17partition_subalgoE3EjNS0_10empty_typeEbEEZZNS1_14partition_implILS8_3ELb0ES6_jNS0_17counting_iteratorIjlEEPS9_SE_NS0_5tupleIJPjSE_EEENSF_IJSE_SE_EEES9_SG_JZNS1_25segmented_radix_sort_implINS0_14default_configELb1EPKsPsPKlPlN2at6native12_GLOBAL__N_18offset_tEEE10hipError_tPvRmT1_PNSt15iterator_traitsISY_E10value_typeET2_T3_PNSZ_IS14_E10value_typeET4_jRbjT5_S1A_jjP12ihipStream_tbEUljE_EEESV_SW_SX_S14_S18_S1A_T6_T7_T9_mT8_S1C_bDpT10_ENKUlT_T0_E_clISt17integral_constantIbLb0EES1P_EEDaS1K_S1L_EUlS1K_E_NS1_11comp_targetILNS1_3genE4ELNS1_11target_archE910ELNS1_3gpuE8ELNS1_3repE0EEENS1_30default_config_static_selectorELNS0_4arch9wavefront6targetE0EEEvSY_.private_seg_size, 0
	.set _ZN7rocprim17ROCPRIM_400000_NS6detail17trampoline_kernelINS0_13select_configILj256ELj13ELNS0_17block_load_methodE3ELS4_3ELS4_3ELNS0_20block_scan_algorithmE0ELj4294967295EEENS1_25partition_config_selectorILNS1_17partition_subalgoE3EjNS0_10empty_typeEbEEZZNS1_14partition_implILS8_3ELb0ES6_jNS0_17counting_iteratorIjlEEPS9_SE_NS0_5tupleIJPjSE_EEENSF_IJSE_SE_EEES9_SG_JZNS1_25segmented_radix_sort_implINS0_14default_configELb1EPKsPsPKlPlN2at6native12_GLOBAL__N_18offset_tEEE10hipError_tPvRmT1_PNSt15iterator_traitsISY_E10value_typeET2_T3_PNSZ_IS14_E10value_typeET4_jRbjT5_S1A_jjP12ihipStream_tbEUljE_EEESV_SW_SX_S14_S18_S1A_T6_T7_T9_mT8_S1C_bDpT10_ENKUlT_T0_E_clISt17integral_constantIbLb0EES1P_EEDaS1K_S1L_EUlS1K_E_NS1_11comp_targetILNS1_3genE4ELNS1_11target_archE910ELNS1_3gpuE8ELNS1_3repE0EEENS1_30default_config_static_selectorELNS0_4arch9wavefront6targetE0EEEvSY_.uses_vcc, 0
	.set _ZN7rocprim17ROCPRIM_400000_NS6detail17trampoline_kernelINS0_13select_configILj256ELj13ELNS0_17block_load_methodE3ELS4_3ELS4_3ELNS0_20block_scan_algorithmE0ELj4294967295EEENS1_25partition_config_selectorILNS1_17partition_subalgoE3EjNS0_10empty_typeEbEEZZNS1_14partition_implILS8_3ELb0ES6_jNS0_17counting_iteratorIjlEEPS9_SE_NS0_5tupleIJPjSE_EEENSF_IJSE_SE_EEES9_SG_JZNS1_25segmented_radix_sort_implINS0_14default_configELb1EPKsPsPKlPlN2at6native12_GLOBAL__N_18offset_tEEE10hipError_tPvRmT1_PNSt15iterator_traitsISY_E10value_typeET2_T3_PNSZ_IS14_E10value_typeET4_jRbjT5_S1A_jjP12ihipStream_tbEUljE_EEESV_SW_SX_S14_S18_S1A_T6_T7_T9_mT8_S1C_bDpT10_ENKUlT_T0_E_clISt17integral_constantIbLb0EES1P_EEDaS1K_S1L_EUlS1K_E_NS1_11comp_targetILNS1_3genE4ELNS1_11target_archE910ELNS1_3gpuE8ELNS1_3repE0EEENS1_30default_config_static_selectorELNS0_4arch9wavefront6targetE0EEEvSY_.uses_flat_scratch, 0
	.set _ZN7rocprim17ROCPRIM_400000_NS6detail17trampoline_kernelINS0_13select_configILj256ELj13ELNS0_17block_load_methodE3ELS4_3ELS4_3ELNS0_20block_scan_algorithmE0ELj4294967295EEENS1_25partition_config_selectorILNS1_17partition_subalgoE3EjNS0_10empty_typeEbEEZZNS1_14partition_implILS8_3ELb0ES6_jNS0_17counting_iteratorIjlEEPS9_SE_NS0_5tupleIJPjSE_EEENSF_IJSE_SE_EEES9_SG_JZNS1_25segmented_radix_sort_implINS0_14default_configELb1EPKsPsPKlPlN2at6native12_GLOBAL__N_18offset_tEEE10hipError_tPvRmT1_PNSt15iterator_traitsISY_E10value_typeET2_T3_PNSZ_IS14_E10value_typeET4_jRbjT5_S1A_jjP12ihipStream_tbEUljE_EEESV_SW_SX_S14_S18_S1A_T6_T7_T9_mT8_S1C_bDpT10_ENKUlT_T0_E_clISt17integral_constantIbLb0EES1P_EEDaS1K_S1L_EUlS1K_E_NS1_11comp_targetILNS1_3genE4ELNS1_11target_archE910ELNS1_3gpuE8ELNS1_3repE0EEENS1_30default_config_static_selectorELNS0_4arch9wavefront6targetE0EEEvSY_.has_dyn_sized_stack, 0
	.set _ZN7rocprim17ROCPRIM_400000_NS6detail17trampoline_kernelINS0_13select_configILj256ELj13ELNS0_17block_load_methodE3ELS4_3ELS4_3ELNS0_20block_scan_algorithmE0ELj4294967295EEENS1_25partition_config_selectorILNS1_17partition_subalgoE3EjNS0_10empty_typeEbEEZZNS1_14partition_implILS8_3ELb0ES6_jNS0_17counting_iteratorIjlEEPS9_SE_NS0_5tupleIJPjSE_EEENSF_IJSE_SE_EEES9_SG_JZNS1_25segmented_radix_sort_implINS0_14default_configELb1EPKsPsPKlPlN2at6native12_GLOBAL__N_18offset_tEEE10hipError_tPvRmT1_PNSt15iterator_traitsISY_E10value_typeET2_T3_PNSZ_IS14_E10value_typeET4_jRbjT5_S1A_jjP12ihipStream_tbEUljE_EEESV_SW_SX_S14_S18_S1A_T6_T7_T9_mT8_S1C_bDpT10_ENKUlT_T0_E_clISt17integral_constantIbLb0EES1P_EEDaS1K_S1L_EUlS1K_E_NS1_11comp_targetILNS1_3genE4ELNS1_11target_archE910ELNS1_3gpuE8ELNS1_3repE0EEENS1_30default_config_static_selectorELNS0_4arch9wavefront6targetE0EEEvSY_.has_recursion, 0
	.set _ZN7rocprim17ROCPRIM_400000_NS6detail17trampoline_kernelINS0_13select_configILj256ELj13ELNS0_17block_load_methodE3ELS4_3ELS4_3ELNS0_20block_scan_algorithmE0ELj4294967295EEENS1_25partition_config_selectorILNS1_17partition_subalgoE3EjNS0_10empty_typeEbEEZZNS1_14partition_implILS8_3ELb0ES6_jNS0_17counting_iteratorIjlEEPS9_SE_NS0_5tupleIJPjSE_EEENSF_IJSE_SE_EEES9_SG_JZNS1_25segmented_radix_sort_implINS0_14default_configELb1EPKsPsPKlPlN2at6native12_GLOBAL__N_18offset_tEEE10hipError_tPvRmT1_PNSt15iterator_traitsISY_E10value_typeET2_T3_PNSZ_IS14_E10value_typeET4_jRbjT5_S1A_jjP12ihipStream_tbEUljE_EEESV_SW_SX_S14_S18_S1A_T6_T7_T9_mT8_S1C_bDpT10_ENKUlT_T0_E_clISt17integral_constantIbLb0EES1P_EEDaS1K_S1L_EUlS1K_E_NS1_11comp_targetILNS1_3genE4ELNS1_11target_archE910ELNS1_3gpuE8ELNS1_3repE0EEENS1_30default_config_static_selectorELNS0_4arch9wavefront6targetE0EEEvSY_.has_indirect_call, 0
	.section	.AMDGPU.csdata,"",@progbits
; Kernel info:
; codeLenInByte = 0
; TotalNumSgprs: 0
; NumVgprs: 0
; ScratchSize: 0
; MemoryBound: 0
; FloatMode: 240
; IeeeMode: 1
; LDSByteSize: 0 bytes/workgroup (compile time only)
; SGPRBlocks: 0
; VGPRBlocks: 0
; NumSGPRsForWavesPerEU: 1
; NumVGPRsForWavesPerEU: 1
; Occupancy: 16
; WaveLimiterHint : 0
; COMPUTE_PGM_RSRC2:SCRATCH_EN: 0
; COMPUTE_PGM_RSRC2:USER_SGPR: 2
; COMPUTE_PGM_RSRC2:TRAP_HANDLER: 0
; COMPUTE_PGM_RSRC2:TGID_X_EN: 1
; COMPUTE_PGM_RSRC2:TGID_Y_EN: 0
; COMPUTE_PGM_RSRC2:TGID_Z_EN: 0
; COMPUTE_PGM_RSRC2:TIDIG_COMP_CNT: 0
	.section	.text._ZN7rocprim17ROCPRIM_400000_NS6detail17trampoline_kernelINS0_13select_configILj256ELj13ELNS0_17block_load_methodE3ELS4_3ELS4_3ELNS0_20block_scan_algorithmE0ELj4294967295EEENS1_25partition_config_selectorILNS1_17partition_subalgoE3EjNS0_10empty_typeEbEEZZNS1_14partition_implILS8_3ELb0ES6_jNS0_17counting_iteratorIjlEEPS9_SE_NS0_5tupleIJPjSE_EEENSF_IJSE_SE_EEES9_SG_JZNS1_25segmented_radix_sort_implINS0_14default_configELb1EPKsPsPKlPlN2at6native12_GLOBAL__N_18offset_tEEE10hipError_tPvRmT1_PNSt15iterator_traitsISY_E10value_typeET2_T3_PNSZ_IS14_E10value_typeET4_jRbjT5_S1A_jjP12ihipStream_tbEUljE_EEESV_SW_SX_S14_S18_S1A_T6_T7_T9_mT8_S1C_bDpT10_ENKUlT_T0_E_clISt17integral_constantIbLb0EES1P_EEDaS1K_S1L_EUlS1K_E_NS1_11comp_targetILNS1_3genE3ELNS1_11target_archE908ELNS1_3gpuE7ELNS1_3repE0EEENS1_30default_config_static_selectorELNS0_4arch9wavefront6targetE0EEEvSY_,"axG",@progbits,_ZN7rocprim17ROCPRIM_400000_NS6detail17trampoline_kernelINS0_13select_configILj256ELj13ELNS0_17block_load_methodE3ELS4_3ELS4_3ELNS0_20block_scan_algorithmE0ELj4294967295EEENS1_25partition_config_selectorILNS1_17partition_subalgoE3EjNS0_10empty_typeEbEEZZNS1_14partition_implILS8_3ELb0ES6_jNS0_17counting_iteratorIjlEEPS9_SE_NS0_5tupleIJPjSE_EEENSF_IJSE_SE_EEES9_SG_JZNS1_25segmented_radix_sort_implINS0_14default_configELb1EPKsPsPKlPlN2at6native12_GLOBAL__N_18offset_tEEE10hipError_tPvRmT1_PNSt15iterator_traitsISY_E10value_typeET2_T3_PNSZ_IS14_E10value_typeET4_jRbjT5_S1A_jjP12ihipStream_tbEUljE_EEESV_SW_SX_S14_S18_S1A_T6_T7_T9_mT8_S1C_bDpT10_ENKUlT_T0_E_clISt17integral_constantIbLb0EES1P_EEDaS1K_S1L_EUlS1K_E_NS1_11comp_targetILNS1_3genE3ELNS1_11target_archE908ELNS1_3gpuE7ELNS1_3repE0EEENS1_30default_config_static_selectorELNS0_4arch9wavefront6targetE0EEEvSY_,comdat
	.globl	_ZN7rocprim17ROCPRIM_400000_NS6detail17trampoline_kernelINS0_13select_configILj256ELj13ELNS0_17block_load_methodE3ELS4_3ELS4_3ELNS0_20block_scan_algorithmE0ELj4294967295EEENS1_25partition_config_selectorILNS1_17partition_subalgoE3EjNS0_10empty_typeEbEEZZNS1_14partition_implILS8_3ELb0ES6_jNS0_17counting_iteratorIjlEEPS9_SE_NS0_5tupleIJPjSE_EEENSF_IJSE_SE_EEES9_SG_JZNS1_25segmented_radix_sort_implINS0_14default_configELb1EPKsPsPKlPlN2at6native12_GLOBAL__N_18offset_tEEE10hipError_tPvRmT1_PNSt15iterator_traitsISY_E10value_typeET2_T3_PNSZ_IS14_E10value_typeET4_jRbjT5_S1A_jjP12ihipStream_tbEUljE_EEESV_SW_SX_S14_S18_S1A_T6_T7_T9_mT8_S1C_bDpT10_ENKUlT_T0_E_clISt17integral_constantIbLb0EES1P_EEDaS1K_S1L_EUlS1K_E_NS1_11comp_targetILNS1_3genE3ELNS1_11target_archE908ELNS1_3gpuE7ELNS1_3repE0EEENS1_30default_config_static_selectorELNS0_4arch9wavefront6targetE0EEEvSY_ ; -- Begin function _ZN7rocprim17ROCPRIM_400000_NS6detail17trampoline_kernelINS0_13select_configILj256ELj13ELNS0_17block_load_methodE3ELS4_3ELS4_3ELNS0_20block_scan_algorithmE0ELj4294967295EEENS1_25partition_config_selectorILNS1_17partition_subalgoE3EjNS0_10empty_typeEbEEZZNS1_14partition_implILS8_3ELb0ES6_jNS0_17counting_iteratorIjlEEPS9_SE_NS0_5tupleIJPjSE_EEENSF_IJSE_SE_EEES9_SG_JZNS1_25segmented_radix_sort_implINS0_14default_configELb1EPKsPsPKlPlN2at6native12_GLOBAL__N_18offset_tEEE10hipError_tPvRmT1_PNSt15iterator_traitsISY_E10value_typeET2_T3_PNSZ_IS14_E10value_typeET4_jRbjT5_S1A_jjP12ihipStream_tbEUljE_EEESV_SW_SX_S14_S18_S1A_T6_T7_T9_mT8_S1C_bDpT10_ENKUlT_T0_E_clISt17integral_constantIbLb0EES1P_EEDaS1K_S1L_EUlS1K_E_NS1_11comp_targetILNS1_3genE3ELNS1_11target_archE908ELNS1_3gpuE7ELNS1_3repE0EEENS1_30default_config_static_selectorELNS0_4arch9wavefront6targetE0EEEvSY_
	.p2align	8
	.type	_ZN7rocprim17ROCPRIM_400000_NS6detail17trampoline_kernelINS0_13select_configILj256ELj13ELNS0_17block_load_methodE3ELS4_3ELS4_3ELNS0_20block_scan_algorithmE0ELj4294967295EEENS1_25partition_config_selectorILNS1_17partition_subalgoE3EjNS0_10empty_typeEbEEZZNS1_14partition_implILS8_3ELb0ES6_jNS0_17counting_iteratorIjlEEPS9_SE_NS0_5tupleIJPjSE_EEENSF_IJSE_SE_EEES9_SG_JZNS1_25segmented_radix_sort_implINS0_14default_configELb1EPKsPsPKlPlN2at6native12_GLOBAL__N_18offset_tEEE10hipError_tPvRmT1_PNSt15iterator_traitsISY_E10value_typeET2_T3_PNSZ_IS14_E10value_typeET4_jRbjT5_S1A_jjP12ihipStream_tbEUljE_EEESV_SW_SX_S14_S18_S1A_T6_T7_T9_mT8_S1C_bDpT10_ENKUlT_T0_E_clISt17integral_constantIbLb0EES1P_EEDaS1K_S1L_EUlS1K_E_NS1_11comp_targetILNS1_3genE3ELNS1_11target_archE908ELNS1_3gpuE7ELNS1_3repE0EEENS1_30default_config_static_selectorELNS0_4arch9wavefront6targetE0EEEvSY_,@function
_ZN7rocprim17ROCPRIM_400000_NS6detail17trampoline_kernelINS0_13select_configILj256ELj13ELNS0_17block_load_methodE3ELS4_3ELS4_3ELNS0_20block_scan_algorithmE0ELj4294967295EEENS1_25partition_config_selectorILNS1_17partition_subalgoE3EjNS0_10empty_typeEbEEZZNS1_14partition_implILS8_3ELb0ES6_jNS0_17counting_iteratorIjlEEPS9_SE_NS0_5tupleIJPjSE_EEENSF_IJSE_SE_EEES9_SG_JZNS1_25segmented_radix_sort_implINS0_14default_configELb1EPKsPsPKlPlN2at6native12_GLOBAL__N_18offset_tEEE10hipError_tPvRmT1_PNSt15iterator_traitsISY_E10value_typeET2_T3_PNSZ_IS14_E10value_typeET4_jRbjT5_S1A_jjP12ihipStream_tbEUljE_EEESV_SW_SX_S14_S18_S1A_T6_T7_T9_mT8_S1C_bDpT10_ENKUlT_T0_E_clISt17integral_constantIbLb0EES1P_EEDaS1K_S1L_EUlS1K_E_NS1_11comp_targetILNS1_3genE3ELNS1_11target_archE908ELNS1_3gpuE7ELNS1_3repE0EEENS1_30default_config_static_selectorELNS0_4arch9wavefront6targetE0EEEvSY_: ; @_ZN7rocprim17ROCPRIM_400000_NS6detail17trampoline_kernelINS0_13select_configILj256ELj13ELNS0_17block_load_methodE3ELS4_3ELS4_3ELNS0_20block_scan_algorithmE0ELj4294967295EEENS1_25partition_config_selectorILNS1_17partition_subalgoE3EjNS0_10empty_typeEbEEZZNS1_14partition_implILS8_3ELb0ES6_jNS0_17counting_iteratorIjlEEPS9_SE_NS0_5tupleIJPjSE_EEENSF_IJSE_SE_EEES9_SG_JZNS1_25segmented_radix_sort_implINS0_14default_configELb1EPKsPsPKlPlN2at6native12_GLOBAL__N_18offset_tEEE10hipError_tPvRmT1_PNSt15iterator_traitsISY_E10value_typeET2_T3_PNSZ_IS14_E10value_typeET4_jRbjT5_S1A_jjP12ihipStream_tbEUljE_EEESV_SW_SX_S14_S18_S1A_T6_T7_T9_mT8_S1C_bDpT10_ENKUlT_T0_E_clISt17integral_constantIbLb0EES1P_EEDaS1K_S1L_EUlS1K_E_NS1_11comp_targetILNS1_3genE3ELNS1_11target_archE908ELNS1_3gpuE7ELNS1_3repE0EEENS1_30default_config_static_selectorELNS0_4arch9wavefront6targetE0EEEvSY_
; %bb.0:
	.section	.rodata,"a",@progbits
	.p2align	6, 0x0
	.amdhsa_kernel _ZN7rocprim17ROCPRIM_400000_NS6detail17trampoline_kernelINS0_13select_configILj256ELj13ELNS0_17block_load_methodE3ELS4_3ELS4_3ELNS0_20block_scan_algorithmE0ELj4294967295EEENS1_25partition_config_selectorILNS1_17partition_subalgoE3EjNS0_10empty_typeEbEEZZNS1_14partition_implILS8_3ELb0ES6_jNS0_17counting_iteratorIjlEEPS9_SE_NS0_5tupleIJPjSE_EEENSF_IJSE_SE_EEES9_SG_JZNS1_25segmented_radix_sort_implINS0_14default_configELb1EPKsPsPKlPlN2at6native12_GLOBAL__N_18offset_tEEE10hipError_tPvRmT1_PNSt15iterator_traitsISY_E10value_typeET2_T3_PNSZ_IS14_E10value_typeET4_jRbjT5_S1A_jjP12ihipStream_tbEUljE_EEESV_SW_SX_S14_S18_S1A_T6_T7_T9_mT8_S1C_bDpT10_ENKUlT_T0_E_clISt17integral_constantIbLb0EES1P_EEDaS1K_S1L_EUlS1K_E_NS1_11comp_targetILNS1_3genE3ELNS1_11target_archE908ELNS1_3gpuE7ELNS1_3repE0EEENS1_30default_config_static_selectorELNS0_4arch9wavefront6targetE0EEEvSY_
		.amdhsa_group_segment_fixed_size 0
		.amdhsa_private_segment_fixed_size 0
		.amdhsa_kernarg_size 144
		.amdhsa_user_sgpr_count 2
		.amdhsa_user_sgpr_dispatch_ptr 0
		.amdhsa_user_sgpr_queue_ptr 0
		.amdhsa_user_sgpr_kernarg_segment_ptr 1
		.amdhsa_user_sgpr_dispatch_id 0
		.amdhsa_user_sgpr_private_segment_size 0
		.amdhsa_wavefront_size32 1
		.amdhsa_uses_dynamic_stack 0
		.amdhsa_enable_private_segment 0
		.amdhsa_system_sgpr_workgroup_id_x 1
		.amdhsa_system_sgpr_workgroup_id_y 0
		.amdhsa_system_sgpr_workgroup_id_z 0
		.amdhsa_system_sgpr_workgroup_info 0
		.amdhsa_system_vgpr_workitem_id 0
		.amdhsa_next_free_vgpr 1
		.amdhsa_next_free_sgpr 1
		.amdhsa_reserve_vcc 0
		.amdhsa_float_round_mode_32 0
		.amdhsa_float_round_mode_16_64 0
		.amdhsa_float_denorm_mode_32 3
		.amdhsa_float_denorm_mode_16_64 3
		.amdhsa_fp16_overflow 0
		.amdhsa_workgroup_processor_mode 1
		.amdhsa_memory_ordered 1
		.amdhsa_forward_progress 1
		.amdhsa_inst_pref_size 0
		.amdhsa_round_robin_scheduling 0
		.amdhsa_exception_fp_ieee_invalid_op 0
		.amdhsa_exception_fp_denorm_src 0
		.amdhsa_exception_fp_ieee_div_zero 0
		.amdhsa_exception_fp_ieee_overflow 0
		.amdhsa_exception_fp_ieee_underflow 0
		.amdhsa_exception_fp_ieee_inexact 0
		.amdhsa_exception_int_div_zero 0
	.end_amdhsa_kernel
	.section	.text._ZN7rocprim17ROCPRIM_400000_NS6detail17trampoline_kernelINS0_13select_configILj256ELj13ELNS0_17block_load_methodE3ELS4_3ELS4_3ELNS0_20block_scan_algorithmE0ELj4294967295EEENS1_25partition_config_selectorILNS1_17partition_subalgoE3EjNS0_10empty_typeEbEEZZNS1_14partition_implILS8_3ELb0ES6_jNS0_17counting_iteratorIjlEEPS9_SE_NS0_5tupleIJPjSE_EEENSF_IJSE_SE_EEES9_SG_JZNS1_25segmented_radix_sort_implINS0_14default_configELb1EPKsPsPKlPlN2at6native12_GLOBAL__N_18offset_tEEE10hipError_tPvRmT1_PNSt15iterator_traitsISY_E10value_typeET2_T3_PNSZ_IS14_E10value_typeET4_jRbjT5_S1A_jjP12ihipStream_tbEUljE_EEESV_SW_SX_S14_S18_S1A_T6_T7_T9_mT8_S1C_bDpT10_ENKUlT_T0_E_clISt17integral_constantIbLb0EES1P_EEDaS1K_S1L_EUlS1K_E_NS1_11comp_targetILNS1_3genE3ELNS1_11target_archE908ELNS1_3gpuE7ELNS1_3repE0EEENS1_30default_config_static_selectorELNS0_4arch9wavefront6targetE0EEEvSY_,"axG",@progbits,_ZN7rocprim17ROCPRIM_400000_NS6detail17trampoline_kernelINS0_13select_configILj256ELj13ELNS0_17block_load_methodE3ELS4_3ELS4_3ELNS0_20block_scan_algorithmE0ELj4294967295EEENS1_25partition_config_selectorILNS1_17partition_subalgoE3EjNS0_10empty_typeEbEEZZNS1_14partition_implILS8_3ELb0ES6_jNS0_17counting_iteratorIjlEEPS9_SE_NS0_5tupleIJPjSE_EEENSF_IJSE_SE_EEES9_SG_JZNS1_25segmented_radix_sort_implINS0_14default_configELb1EPKsPsPKlPlN2at6native12_GLOBAL__N_18offset_tEEE10hipError_tPvRmT1_PNSt15iterator_traitsISY_E10value_typeET2_T3_PNSZ_IS14_E10value_typeET4_jRbjT5_S1A_jjP12ihipStream_tbEUljE_EEESV_SW_SX_S14_S18_S1A_T6_T7_T9_mT8_S1C_bDpT10_ENKUlT_T0_E_clISt17integral_constantIbLb0EES1P_EEDaS1K_S1L_EUlS1K_E_NS1_11comp_targetILNS1_3genE3ELNS1_11target_archE908ELNS1_3gpuE7ELNS1_3repE0EEENS1_30default_config_static_selectorELNS0_4arch9wavefront6targetE0EEEvSY_,comdat
.Lfunc_end882:
	.size	_ZN7rocprim17ROCPRIM_400000_NS6detail17trampoline_kernelINS0_13select_configILj256ELj13ELNS0_17block_load_methodE3ELS4_3ELS4_3ELNS0_20block_scan_algorithmE0ELj4294967295EEENS1_25partition_config_selectorILNS1_17partition_subalgoE3EjNS0_10empty_typeEbEEZZNS1_14partition_implILS8_3ELb0ES6_jNS0_17counting_iteratorIjlEEPS9_SE_NS0_5tupleIJPjSE_EEENSF_IJSE_SE_EEES9_SG_JZNS1_25segmented_radix_sort_implINS0_14default_configELb1EPKsPsPKlPlN2at6native12_GLOBAL__N_18offset_tEEE10hipError_tPvRmT1_PNSt15iterator_traitsISY_E10value_typeET2_T3_PNSZ_IS14_E10value_typeET4_jRbjT5_S1A_jjP12ihipStream_tbEUljE_EEESV_SW_SX_S14_S18_S1A_T6_T7_T9_mT8_S1C_bDpT10_ENKUlT_T0_E_clISt17integral_constantIbLb0EES1P_EEDaS1K_S1L_EUlS1K_E_NS1_11comp_targetILNS1_3genE3ELNS1_11target_archE908ELNS1_3gpuE7ELNS1_3repE0EEENS1_30default_config_static_selectorELNS0_4arch9wavefront6targetE0EEEvSY_, .Lfunc_end882-_ZN7rocprim17ROCPRIM_400000_NS6detail17trampoline_kernelINS0_13select_configILj256ELj13ELNS0_17block_load_methodE3ELS4_3ELS4_3ELNS0_20block_scan_algorithmE0ELj4294967295EEENS1_25partition_config_selectorILNS1_17partition_subalgoE3EjNS0_10empty_typeEbEEZZNS1_14partition_implILS8_3ELb0ES6_jNS0_17counting_iteratorIjlEEPS9_SE_NS0_5tupleIJPjSE_EEENSF_IJSE_SE_EEES9_SG_JZNS1_25segmented_radix_sort_implINS0_14default_configELb1EPKsPsPKlPlN2at6native12_GLOBAL__N_18offset_tEEE10hipError_tPvRmT1_PNSt15iterator_traitsISY_E10value_typeET2_T3_PNSZ_IS14_E10value_typeET4_jRbjT5_S1A_jjP12ihipStream_tbEUljE_EEESV_SW_SX_S14_S18_S1A_T6_T7_T9_mT8_S1C_bDpT10_ENKUlT_T0_E_clISt17integral_constantIbLb0EES1P_EEDaS1K_S1L_EUlS1K_E_NS1_11comp_targetILNS1_3genE3ELNS1_11target_archE908ELNS1_3gpuE7ELNS1_3repE0EEENS1_30default_config_static_selectorELNS0_4arch9wavefront6targetE0EEEvSY_
                                        ; -- End function
	.set _ZN7rocprim17ROCPRIM_400000_NS6detail17trampoline_kernelINS0_13select_configILj256ELj13ELNS0_17block_load_methodE3ELS4_3ELS4_3ELNS0_20block_scan_algorithmE0ELj4294967295EEENS1_25partition_config_selectorILNS1_17partition_subalgoE3EjNS0_10empty_typeEbEEZZNS1_14partition_implILS8_3ELb0ES6_jNS0_17counting_iteratorIjlEEPS9_SE_NS0_5tupleIJPjSE_EEENSF_IJSE_SE_EEES9_SG_JZNS1_25segmented_radix_sort_implINS0_14default_configELb1EPKsPsPKlPlN2at6native12_GLOBAL__N_18offset_tEEE10hipError_tPvRmT1_PNSt15iterator_traitsISY_E10value_typeET2_T3_PNSZ_IS14_E10value_typeET4_jRbjT5_S1A_jjP12ihipStream_tbEUljE_EEESV_SW_SX_S14_S18_S1A_T6_T7_T9_mT8_S1C_bDpT10_ENKUlT_T0_E_clISt17integral_constantIbLb0EES1P_EEDaS1K_S1L_EUlS1K_E_NS1_11comp_targetILNS1_3genE3ELNS1_11target_archE908ELNS1_3gpuE7ELNS1_3repE0EEENS1_30default_config_static_selectorELNS0_4arch9wavefront6targetE0EEEvSY_.num_vgpr, 0
	.set _ZN7rocprim17ROCPRIM_400000_NS6detail17trampoline_kernelINS0_13select_configILj256ELj13ELNS0_17block_load_methodE3ELS4_3ELS4_3ELNS0_20block_scan_algorithmE0ELj4294967295EEENS1_25partition_config_selectorILNS1_17partition_subalgoE3EjNS0_10empty_typeEbEEZZNS1_14partition_implILS8_3ELb0ES6_jNS0_17counting_iteratorIjlEEPS9_SE_NS0_5tupleIJPjSE_EEENSF_IJSE_SE_EEES9_SG_JZNS1_25segmented_radix_sort_implINS0_14default_configELb1EPKsPsPKlPlN2at6native12_GLOBAL__N_18offset_tEEE10hipError_tPvRmT1_PNSt15iterator_traitsISY_E10value_typeET2_T3_PNSZ_IS14_E10value_typeET4_jRbjT5_S1A_jjP12ihipStream_tbEUljE_EEESV_SW_SX_S14_S18_S1A_T6_T7_T9_mT8_S1C_bDpT10_ENKUlT_T0_E_clISt17integral_constantIbLb0EES1P_EEDaS1K_S1L_EUlS1K_E_NS1_11comp_targetILNS1_3genE3ELNS1_11target_archE908ELNS1_3gpuE7ELNS1_3repE0EEENS1_30default_config_static_selectorELNS0_4arch9wavefront6targetE0EEEvSY_.num_agpr, 0
	.set _ZN7rocprim17ROCPRIM_400000_NS6detail17trampoline_kernelINS0_13select_configILj256ELj13ELNS0_17block_load_methodE3ELS4_3ELS4_3ELNS0_20block_scan_algorithmE0ELj4294967295EEENS1_25partition_config_selectorILNS1_17partition_subalgoE3EjNS0_10empty_typeEbEEZZNS1_14partition_implILS8_3ELb0ES6_jNS0_17counting_iteratorIjlEEPS9_SE_NS0_5tupleIJPjSE_EEENSF_IJSE_SE_EEES9_SG_JZNS1_25segmented_radix_sort_implINS0_14default_configELb1EPKsPsPKlPlN2at6native12_GLOBAL__N_18offset_tEEE10hipError_tPvRmT1_PNSt15iterator_traitsISY_E10value_typeET2_T3_PNSZ_IS14_E10value_typeET4_jRbjT5_S1A_jjP12ihipStream_tbEUljE_EEESV_SW_SX_S14_S18_S1A_T6_T7_T9_mT8_S1C_bDpT10_ENKUlT_T0_E_clISt17integral_constantIbLb0EES1P_EEDaS1K_S1L_EUlS1K_E_NS1_11comp_targetILNS1_3genE3ELNS1_11target_archE908ELNS1_3gpuE7ELNS1_3repE0EEENS1_30default_config_static_selectorELNS0_4arch9wavefront6targetE0EEEvSY_.numbered_sgpr, 0
	.set _ZN7rocprim17ROCPRIM_400000_NS6detail17trampoline_kernelINS0_13select_configILj256ELj13ELNS0_17block_load_methodE3ELS4_3ELS4_3ELNS0_20block_scan_algorithmE0ELj4294967295EEENS1_25partition_config_selectorILNS1_17partition_subalgoE3EjNS0_10empty_typeEbEEZZNS1_14partition_implILS8_3ELb0ES6_jNS0_17counting_iteratorIjlEEPS9_SE_NS0_5tupleIJPjSE_EEENSF_IJSE_SE_EEES9_SG_JZNS1_25segmented_radix_sort_implINS0_14default_configELb1EPKsPsPKlPlN2at6native12_GLOBAL__N_18offset_tEEE10hipError_tPvRmT1_PNSt15iterator_traitsISY_E10value_typeET2_T3_PNSZ_IS14_E10value_typeET4_jRbjT5_S1A_jjP12ihipStream_tbEUljE_EEESV_SW_SX_S14_S18_S1A_T6_T7_T9_mT8_S1C_bDpT10_ENKUlT_T0_E_clISt17integral_constantIbLb0EES1P_EEDaS1K_S1L_EUlS1K_E_NS1_11comp_targetILNS1_3genE3ELNS1_11target_archE908ELNS1_3gpuE7ELNS1_3repE0EEENS1_30default_config_static_selectorELNS0_4arch9wavefront6targetE0EEEvSY_.num_named_barrier, 0
	.set _ZN7rocprim17ROCPRIM_400000_NS6detail17trampoline_kernelINS0_13select_configILj256ELj13ELNS0_17block_load_methodE3ELS4_3ELS4_3ELNS0_20block_scan_algorithmE0ELj4294967295EEENS1_25partition_config_selectorILNS1_17partition_subalgoE3EjNS0_10empty_typeEbEEZZNS1_14partition_implILS8_3ELb0ES6_jNS0_17counting_iteratorIjlEEPS9_SE_NS0_5tupleIJPjSE_EEENSF_IJSE_SE_EEES9_SG_JZNS1_25segmented_radix_sort_implINS0_14default_configELb1EPKsPsPKlPlN2at6native12_GLOBAL__N_18offset_tEEE10hipError_tPvRmT1_PNSt15iterator_traitsISY_E10value_typeET2_T3_PNSZ_IS14_E10value_typeET4_jRbjT5_S1A_jjP12ihipStream_tbEUljE_EEESV_SW_SX_S14_S18_S1A_T6_T7_T9_mT8_S1C_bDpT10_ENKUlT_T0_E_clISt17integral_constantIbLb0EES1P_EEDaS1K_S1L_EUlS1K_E_NS1_11comp_targetILNS1_3genE3ELNS1_11target_archE908ELNS1_3gpuE7ELNS1_3repE0EEENS1_30default_config_static_selectorELNS0_4arch9wavefront6targetE0EEEvSY_.private_seg_size, 0
	.set _ZN7rocprim17ROCPRIM_400000_NS6detail17trampoline_kernelINS0_13select_configILj256ELj13ELNS0_17block_load_methodE3ELS4_3ELS4_3ELNS0_20block_scan_algorithmE0ELj4294967295EEENS1_25partition_config_selectorILNS1_17partition_subalgoE3EjNS0_10empty_typeEbEEZZNS1_14partition_implILS8_3ELb0ES6_jNS0_17counting_iteratorIjlEEPS9_SE_NS0_5tupleIJPjSE_EEENSF_IJSE_SE_EEES9_SG_JZNS1_25segmented_radix_sort_implINS0_14default_configELb1EPKsPsPKlPlN2at6native12_GLOBAL__N_18offset_tEEE10hipError_tPvRmT1_PNSt15iterator_traitsISY_E10value_typeET2_T3_PNSZ_IS14_E10value_typeET4_jRbjT5_S1A_jjP12ihipStream_tbEUljE_EEESV_SW_SX_S14_S18_S1A_T6_T7_T9_mT8_S1C_bDpT10_ENKUlT_T0_E_clISt17integral_constantIbLb0EES1P_EEDaS1K_S1L_EUlS1K_E_NS1_11comp_targetILNS1_3genE3ELNS1_11target_archE908ELNS1_3gpuE7ELNS1_3repE0EEENS1_30default_config_static_selectorELNS0_4arch9wavefront6targetE0EEEvSY_.uses_vcc, 0
	.set _ZN7rocprim17ROCPRIM_400000_NS6detail17trampoline_kernelINS0_13select_configILj256ELj13ELNS0_17block_load_methodE3ELS4_3ELS4_3ELNS0_20block_scan_algorithmE0ELj4294967295EEENS1_25partition_config_selectorILNS1_17partition_subalgoE3EjNS0_10empty_typeEbEEZZNS1_14partition_implILS8_3ELb0ES6_jNS0_17counting_iteratorIjlEEPS9_SE_NS0_5tupleIJPjSE_EEENSF_IJSE_SE_EEES9_SG_JZNS1_25segmented_radix_sort_implINS0_14default_configELb1EPKsPsPKlPlN2at6native12_GLOBAL__N_18offset_tEEE10hipError_tPvRmT1_PNSt15iterator_traitsISY_E10value_typeET2_T3_PNSZ_IS14_E10value_typeET4_jRbjT5_S1A_jjP12ihipStream_tbEUljE_EEESV_SW_SX_S14_S18_S1A_T6_T7_T9_mT8_S1C_bDpT10_ENKUlT_T0_E_clISt17integral_constantIbLb0EES1P_EEDaS1K_S1L_EUlS1K_E_NS1_11comp_targetILNS1_3genE3ELNS1_11target_archE908ELNS1_3gpuE7ELNS1_3repE0EEENS1_30default_config_static_selectorELNS0_4arch9wavefront6targetE0EEEvSY_.uses_flat_scratch, 0
	.set _ZN7rocprim17ROCPRIM_400000_NS6detail17trampoline_kernelINS0_13select_configILj256ELj13ELNS0_17block_load_methodE3ELS4_3ELS4_3ELNS0_20block_scan_algorithmE0ELj4294967295EEENS1_25partition_config_selectorILNS1_17partition_subalgoE3EjNS0_10empty_typeEbEEZZNS1_14partition_implILS8_3ELb0ES6_jNS0_17counting_iteratorIjlEEPS9_SE_NS0_5tupleIJPjSE_EEENSF_IJSE_SE_EEES9_SG_JZNS1_25segmented_radix_sort_implINS0_14default_configELb1EPKsPsPKlPlN2at6native12_GLOBAL__N_18offset_tEEE10hipError_tPvRmT1_PNSt15iterator_traitsISY_E10value_typeET2_T3_PNSZ_IS14_E10value_typeET4_jRbjT5_S1A_jjP12ihipStream_tbEUljE_EEESV_SW_SX_S14_S18_S1A_T6_T7_T9_mT8_S1C_bDpT10_ENKUlT_T0_E_clISt17integral_constantIbLb0EES1P_EEDaS1K_S1L_EUlS1K_E_NS1_11comp_targetILNS1_3genE3ELNS1_11target_archE908ELNS1_3gpuE7ELNS1_3repE0EEENS1_30default_config_static_selectorELNS0_4arch9wavefront6targetE0EEEvSY_.has_dyn_sized_stack, 0
	.set _ZN7rocprim17ROCPRIM_400000_NS6detail17trampoline_kernelINS0_13select_configILj256ELj13ELNS0_17block_load_methodE3ELS4_3ELS4_3ELNS0_20block_scan_algorithmE0ELj4294967295EEENS1_25partition_config_selectorILNS1_17partition_subalgoE3EjNS0_10empty_typeEbEEZZNS1_14partition_implILS8_3ELb0ES6_jNS0_17counting_iteratorIjlEEPS9_SE_NS0_5tupleIJPjSE_EEENSF_IJSE_SE_EEES9_SG_JZNS1_25segmented_radix_sort_implINS0_14default_configELb1EPKsPsPKlPlN2at6native12_GLOBAL__N_18offset_tEEE10hipError_tPvRmT1_PNSt15iterator_traitsISY_E10value_typeET2_T3_PNSZ_IS14_E10value_typeET4_jRbjT5_S1A_jjP12ihipStream_tbEUljE_EEESV_SW_SX_S14_S18_S1A_T6_T7_T9_mT8_S1C_bDpT10_ENKUlT_T0_E_clISt17integral_constantIbLb0EES1P_EEDaS1K_S1L_EUlS1K_E_NS1_11comp_targetILNS1_3genE3ELNS1_11target_archE908ELNS1_3gpuE7ELNS1_3repE0EEENS1_30default_config_static_selectorELNS0_4arch9wavefront6targetE0EEEvSY_.has_recursion, 0
	.set _ZN7rocprim17ROCPRIM_400000_NS6detail17trampoline_kernelINS0_13select_configILj256ELj13ELNS0_17block_load_methodE3ELS4_3ELS4_3ELNS0_20block_scan_algorithmE0ELj4294967295EEENS1_25partition_config_selectorILNS1_17partition_subalgoE3EjNS0_10empty_typeEbEEZZNS1_14partition_implILS8_3ELb0ES6_jNS0_17counting_iteratorIjlEEPS9_SE_NS0_5tupleIJPjSE_EEENSF_IJSE_SE_EEES9_SG_JZNS1_25segmented_radix_sort_implINS0_14default_configELb1EPKsPsPKlPlN2at6native12_GLOBAL__N_18offset_tEEE10hipError_tPvRmT1_PNSt15iterator_traitsISY_E10value_typeET2_T3_PNSZ_IS14_E10value_typeET4_jRbjT5_S1A_jjP12ihipStream_tbEUljE_EEESV_SW_SX_S14_S18_S1A_T6_T7_T9_mT8_S1C_bDpT10_ENKUlT_T0_E_clISt17integral_constantIbLb0EES1P_EEDaS1K_S1L_EUlS1K_E_NS1_11comp_targetILNS1_3genE3ELNS1_11target_archE908ELNS1_3gpuE7ELNS1_3repE0EEENS1_30default_config_static_selectorELNS0_4arch9wavefront6targetE0EEEvSY_.has_indirect_call, 0
	.section	.AMDGPU.csdata,"",@progbits
; Kernel info:
; codeLenInByte = 0
; TotalNumSgprs: 0
; NumVgprs: 0
; ScratchSize: 0
; MemoryBound: 0
; FloatMode: 240
; IeeeMode: 1
; LDSByteSize: 0 bytes/workgroup (compile time only)
; SGPRBlocks: 0
; VGPRBlocks: 0
; NumSGPRsForWavesPerEU: 1
; NumVGPRsForWavesPerEU: 1
; Occupancy: 16
; WaveLimiterHint : 0
; COMPUTE_PGM_RSRC2:SCRATCH_EN: 0
; COMPUTE_PGM_RSRC2:USER_SGPR: 2
; COMPUTE_PGM_RSRC2:TRAP_HANDLER: 0
; COMPUTE_PGM_RSRC2:TGID_X_EN: 1
; COMPUTE_PGM_RSRC2:TGID_Y_EN: 0
; COMPUTE_PGM_RSRC2:TGID_Z_EN: 0
; COMPUTE_PGM_RSRC2:TIDIG_COMP_CNT: 0
	.section	.text._ZN7rocprim17ROCPRIM_400000_NS6detail17trampoline_kernelINS0_13select_configILj256ELj13ELNS0_17block_load_methodE3ELS4_3ELS4_3ELNS0_20block_scan_algorithmE0ELj4294967295EEENS1_25partition_config_selectorILNS1_17partition_subalgoE3EjNS0_10empty_typeEbEEZZNS1_14partition_implILS8_3ELb0ES6_jNS0_17counting_iteratorIjlEEPS9_SE_NS0_5tupleIJPjSE_EEENSF_IJSE_SE_EEES9_SG_JZNS1_25segmented_radix_sort_implINS0_14default_configELb1EPKsPsPKlPlN2at6native12_GLOBAL__N_18offset_tEEE10hipError_tPvRmT1_PNSt15iterator_traitsISY_E10value_typeET2_T3_PNSZ_IS14_E10value_typeET4_jRbjT5_S1A_jjP12ihipStream_tbEUljE_EEESV_SW_SX_S14_S18_S1A_T6_T7_T9_mT8_S1C_bDpT10_ENKUlT_T0_E_clISt17integral_constantIbLb0EES1P_EEDaS1K_S1L_EUlS1K_E_NS1_11comp_targetILNS1_3genE2ELNS1_11target_archE906ELNS1_3gpuE6ELNS1_3repE0EEENS1_30default_config_static_selectorELNS0_4arch9wavefront6targetE0EEEvSY_,"axG",@progbits,_ZN7rocprim17ROCPRIM_400000_NS6detail17trampoline_kernelINS0_13select_configILj256ELj13ELNS0_17block_load_methodE3ELS4_3ELS4_3ELNS0_20block_scan_algorithmE0ELj4294967295EEENS1_25partition_config_selectorILNS1_17partition_subalgoE3EjNS0_10empty_typeEbEEZZNS1_14partition_implILS8_3ELb0ES6_jNS0_17counting_iteratorIjlEEPS9_SE_NS0_5tupleIJPjSE_EEENSF_IJSE_SE_EEES9_SG_JZNS1_25segmented_radix_sort_implINS0_14default_configELb1EPKsPsPKlPlN2at6native12_GLOBAL__N_18offset_tEEE10hipError_tPvRmT1_PNSt15iterator_traitsISY_E10value_typeET2_T3_PNSZ_IS14_E10value_typeET4_jRbjT5_S1A_jjP12ihipStream_tbEUljE_EEESV_SW_SX_S14_S18_S1A_T6_T7_T9_mT8_S1C_bDpT10_ENKUlT_T0_E_clISt17integral_constantIbLb0EES1P_EEDaS1K_S1L_EUlS1K_E_NS1_11comp_targetILNS1_3genE2ELNS1_11target_archE906ELNS1_3gpuE6ELNS1_3repE0EEENS1_30default_config_static_selectorELNS0_4arch9wavefront6targetE0EEEvSY_,comdat
	.globl	_ZN7rocprim17ROCPRIM_400000_NS6detail17trampoline_kernelINS0_13select_configILj256ELj13ELNS0_17block_load_methodE3ELS4_3ELS4_3ELNS0_20block_scan_algorithmE0ELj4294967295EEENS1_25partition_config_selectorILNS1_17partition_subalgoE3EjNS0_10empty_typeEbEEZZNS1_14partition_implILS8_3ELb0ES6_jNS0_17counting_iteratorIjlEEPS9_SE_NS0_5tupleIJPjSE_EEENSF_IJSE_SE_EEES9_SG_JZNS1_25segmented_radix_sort_implINS0_14default_configELb1EPKsPsPKlPlN2at6native12_GLOBAL__N_18offset_tEEE10hipError_tPvRmT1_PNSt15iterator_traitsISY_E10value_typeET2_T3_PNSZ_IS14_E10value_typeET4_jRbjT5_S1A_jjP12ihipStream_tbEUljE_EEESV_SW_SX_S14_S18_S1A_T6_T7_T9_mT8_S1C_bDpT10_ENKUlT_T0_E_clISt17integral_constantIbLb0EES1P_EEDaS1K_S1L_EUlS1K_E_NS1_11comp_targetILNS1_3genE2ELNS1_11target_archE906ELNS1_3gpuE6ELNS1_3repE0EEENS1_30default_config_static_selectorELNS0_4arch9wavefront6targetE0EEEvSY_ ; -- Begin function _ZN7rocprim17ROCPRIM_400000_NS6detail17trampoline_kernelINS0_13select_configILj256ELj13ELNS0_17block_load_methodE3ELS4_3ELS4_3ELNS0_20block_scan_algorithmE0ELj4294967295EEENS1_25partition_config_selectorILNS1_17partition_subalgoE3EjNS0_10empty_typeEbEEZZNS1_14partition_implILS8_3ELb0ES6_jNS0_17counting_iteratorIjlEEPS9_SE_NS0_5tupleIJPjSE_EEENSF_IJSE_SE_EEES9_SG_JZNS1_25segmented_radix_sort_implINS0_14default_configELb1EPKsPsPKlPlN2at6native12_GLOBAL__N_18offset_tEEE10hipError_tPvRmT1_PNSt15iterator_traitsISY_E10value_typeET2_T3_PNSZ_IS14_E10value_typeET4_jRbjT5_S1A_jjP12ihipStream_tbEUljE_EEESV_SW_SX_S14_S18_S1A_T6_T7_T9_mT8_S1C_bDpT10_ENKUlT_T0_E_clISt17integral_constantIbLb0EES1P_EEDaS1K_S1L_EUlS1K_E_NS1_11comp_targetILNS1_3genE2ELNS1_11target_archE906ELNS1_3gpuE6ELNS1_3repE0EEENS1_30default_config_static_selectorELNS0_4arch9wavefront6targetE0EEEvSY_
	.p2align	8
	.type	_ZN7rocprim17ROCPRIM_400000_NS6detail17trampoline_kernelINS0_13select_configILj256ELj13ELNS0_17block_load_methodE3ELS4_3ELS4_3ELNS0_20block_scan_algorithmE0ELj4294967295EEENS1_25partition_config_selectorILNS1_17partition_subalgoE3EjNS0_10empty_typeEbEEZZNS1_14partition_implILS8_3ELb0ES6_jNS0_17counting_iteratorIjlEEPS9_SE_NS0_5tupleIJPjSE_EEENSF_IJSE_SE_EEES9_SG_JZNS1_25segmented_radix_sort_implINS0_14default_configELb1EPKsPsPKlPlN2at6native12_GLOBAL__N_18offset_tEEE10hipError_tPvRmT1_PNSt15iterator_traitsISY_E10value_typeET2_T3_PNSZ_IS14_E10value_typeET4_jRbjT5_S1A_jjP12ihipStream_tbEUljE_EEESV_SW_SX_S14_S18_S1A_T6_T7_T9_mT8_S1C_bDpT10_ENKUlT_T0_E_clISt17integral_constantIbLb0EES1P_EEDaS1K_S1L_EUlS1K_E_NS1_11comp_targetILNS1_3genE2ELNS1_11target_archE906ELNS1_3gpuE6ELNS1_3repE0EEENS1_30default_config_static_selectorELNS0_4arch9wavefront6targetE0EEEvSY_,@function
_ZN7rocprim17ROCPRIM_400000_NS6detail17trampoline_kernelINS0_13select_configILj256ELj13ELNS0_17block_load_methodE3ELS4_3ELS4_3ELNS0_20block_scan_algorithmE0ELj4294967295EEENS1_25partition_config_selectorILNS1_17partition_subalgoE3EjNS0_10empty_typeEbEEZZNS1_14partition_implILS8_3ELb0ES6_jNS0_17counting_iteratorIjlEEPS9_SE_NS0_5tupleIJPjSE_EEENSF_IJSE_SE_EEES9_SG_JZNS1_25segmented_radix_sort_implINS0_14default_configELb1EPKsPsPKlPlN2at6native12_GLOBAL__N_18offset_tEEE10hipError_tPvRmT1_PNSt15iterator_traitsISY_E10value_typeET2_T3_PNSZ_IS14_E10value_typeET4_jRbjT5_S1A_jjP12ihipStream_tbEUljE_EEESV_SW_SX_S14_S18_S1A_T6_T7_T9_mT8_S1C_bDpT10_ENKUlT_T0_E_clISt17integral_constantIbLb0EES1P_EEDaS1K_S1L_EUlS1K_E_NS1_11comp_targetILNS1_3genE2ELNS1_11target_archE906ELNS1_3gpuE6ELNS1_3repE0EEENS1_30default_config_static_selectorELNS0_4arch9wavefront6targetE0EEEvSY_: ; @_ZN7rocprim17ROCPRIM_400000_NS6detail17trampoline_kernelINS0_13select_configILj256ELj13ELNS0_17block_load_methodE3ELS4_3ELS4_3ELNS0_20block_scan_algorithmE0ELj4294967295EEENS1_25partition_config_selectorILNS1_17partition_subalgoE3EjNS0_10empty_typeEbEEZZNS1_14partition_implILS8_3ELb0ES6_jNS0_17counting_iteratorIjlEEPS9_SE_NS0_5tupleIJPjSE_EEENSF_IJSE_SE_EEES9_SG_JZNS1_25segmented_radix_sort_implINS0_14default_configELb1EPKsPsPKlPlN2at6native12_GLOBAL__N_18offset_tEEE10hipError_tPvRmT1_PNSt15iterator_traitsISY_E10value_typeET2_T3_PNSZ_IS14_E10value_typeET4_jRbjT5_S1A_jjP12ihipStream_tbEUljE_EEESV_SW_SX_S14_S18_S1A_T6_T7_T9_mT8_S1C_bDpT10_ENKUlT_T0_E_clISt17integral_constantIbLb0EES1P_EEDaS1K_S1L_EUlS1K_E_NS1_11comp_targetILNS1_3genE2ELNS1_11target_archE906ELNS1_3gpuE6ELNS1_3repE0EEENS1_30default_config_static_selectorELNS0_4arch9wavefront6targetE0EEEvSY_
; %bb.0:
	.section	.rodata,"a",@progbits
	.p2align	6, 0x0
	.amdhsa_kernel _ZN7rocprim17ROCPRIM_400000_NS6detail17trampoline_kernelINS0_13select_configILj256ELj13ELNS0_17block_load_methodE3ELS4_3ELS4_3ELNS0_20block_scan_algorithmE0ELj4294967295EEENS1_25partition_config_selectorILNS1_17partition_subalgoE3EjNS0_10empty_typeEbEEZZNS1_14partition_implILS8_3ELb0ES6_jNS0_17counting_iteratorIjlEEPS9_SE_NS0_5tupleIJPjSE_EEENSF_IJSE_SE_EEES9_SG_JZNS1_25segmented_radix_sort_implINS0_14default_configELb1EPKsPsPKlPlN2at6native12_GLOBAL__N_18offset_tEEE10hipError_tPvRmT1_PNSt15iterator_traitsISY_E10value_typeET2_T3_PNSZ_IS14_E10value_typeET4_jRbjT5_S1A_jjP12ihipStream_tbEUljE_EEESV_SW_SX_S14_S18_S1A_T6_T7_T9_mT8_S1C_bDpT10_ENKUlT_T0_E_clISt17integral_constantIbLb0EES1P_EEDaS1K_S1L_EUlS1K_E_NS1_11comp_targetILNS1_3genE2ELNS1_11target_archE906ELNS1_3gpuE6ELNS1_3repE0EEENS1_30default_config_static_selectorELNS0_4arch9wavefront6targetE0EEEvSY_
		.amdhsa_group_segment_fixed_size 0
		.amdhsa_private_segment_fixed_size 0
		.amdhsa_kernarg_size 144
		.amdhsa_user_sgpr_count 2
		.amdhsa_user_sgpr_dispatch_ptr 0
		.amdhsa_user_sgpr_queue_ptr 0
		.amdhsa_user_sgpr_kernarg_segment_ptr 1
		.amdhsa_user_sgpr_dispatch_id 0
		.amdhsa_user_sgpr_private_segment_size 0
		.amdhsa_wavefront_size32 1
		.amdhsa_uses_dynamic_stack 0
		.amdhsa_enable_private_segment 0
		.amdhsa_system_sgpr_workgroup_id_x 1
		.amdhsa_system_sgpr_workgroup_id_y 0
		.amdhsa_system_sgpr_workgroup_id_z 0
		.amdhsa_system_sgpr_workgroup_info 0
		.amdhsa_system_vgpr_workitem_id 0
		.amdhsa_next_free_vgpr 1
		.amdhsa_next_free_sgpr 1
		.amdhsa_reserve_vcc 0
		.amdhsa_float_round_mode_32 0
		.amdhsa_float_round_mode_16_64 0
		.amdhsa_float_denorm_mode_32 3
		.amdhsa_float_denorm_mode_16_64 3
		.amdhsa_fp16_overflow 0
		.amdhsa_workgroup_processor_mode 1
		.amdhsa_memory_ordered 1
		.amdhsa_forward_progress 1
		.amdhsa_inst_pref_size 0
		.amdhsa_round_robin_scheduling 0
		.amdhsa_exception_fp_ieee_invalid_op 0
		.amdhsa_exception_fp_denorm_src 0
		.amdhsa_exception_fp_ieee_div_zero 0
		.amdhsa_exception_fp_ieee_overflow 0
		.amdhsa_exception_fp_ieee_underflow 0
		.amdhsa_exception_fp_ieee_inexact 0
		.amdhsa_exception_int_div_zero 0
	.end_amdhsa_kernel
	.section	.text._ZN7rocprim17ROCPRIM_400000_NS6detail17trampoline_kernelINS0_13select_configILj256ELj13ELNS0_17block_load_methodE3ELS4_3ELS4_3ELNS0_20block_scan_algorithmE0ELj4294967295EEENS1_25partition_config_selectorILNS1_17partition_subalgoE3EjNS0_10empty_typeEbEEZZNS1_14partition_implILS8_3ELb0ES6_jNS0_17counting_iteratorIjlEEPS9_SE_NS0_5tupleIJPjSE_EEENSF_IJSE_SE_EEES9_SG_JZNS1_25segmented_radix_sort_implINS0_14default_configELb1EPKsPsPKlPlN2at6native12_GLOBAL__N_18offset_tEEE10hipError_tPvRmT1_PNSt15iterator_traitsISY_E10value_typeET2_T3_PNSZ_IS14_E10value_typeET4_jRbjT5_S1A_jjP12ihipStream_tbEUljE_EEESV_SW_SX_S14_S18_S1A_T6_T7_T9_mT8_S1C_bDpT10_ENKUlT_T0_E_clISt17integral_constantIbLb0EES1P_EEDaS1K_S1L_EUlS1K_E_NS1_11comp_targetILNS1_3genE2ELNS1_11target_archE906ELNS1_3gpuE6ELNS1_3repE0EEENS1_30default_config_static_selectorELNS0_4arch9wavefront6targetE0EEEvSY_,"axG",@progbits,_ZN7rocprim17ROCPRIM_400000_NS6detail17trampoline_kernelINS0_13select_configILj256ELj13ELNS0_17block_load_methodE3ELS4_3ELS4_3ELNS0_20block_scan_algorithmE0ELj4294967295EEENS1_25partition_config_selectorILNS1_17partition_subalgoE3EjNS0_10empty_typeEbEEZZNS1_14partition_implILS8_3ELb0ES6_jNS0_17counting_iteratorIjlEEPS9_SE_NS0_5tupleIJPjSE_EEENSF_IJSE_SE_EEES9_SG_JZNS1_25segmented_radix_sort_implINS0_14default_configELb1EPKsPsPKlPlN2at6native12_GLOBAL__N_18offset_tEEE10hipError_tPvRmT1_PNSt15iterator_traitsISY_E10value_typeET2_T3_PNSZ_IS14_E10value_typeET4_jRbjT5_S1A_jjP12ihipStream_tbEUljE_EEESV_SW_SX_S14_S18_S1A_T6_T7_T9_mT8_S1C_bDpT10_ENKUlT_T0_E_clISt17integral_constantIbLb0EES1P_EEDaS1K_S1L_EUlS1K_E_NS1_11comp_targetILNS1_3genE2ELNS1_11target_archE906ELNS1_3gpuE6ELNS1_3repE0EEENS1_30default_config_static_selectorELNS0_4arch9wavefront6targetE0EEEvSY_,comdat
.Lfunc_end883:
	.size	_ZN7rocprim17ROCPRIM_400000_NS6detail17trampoline_kernelINS0_13select_configILj256ELj13ELNS0_17block_load_methodE3ELS4_3ELS4_3ELNS0_20block_scan_algorithmE0ELj4294967295EEENS1_25partition_config_selectorILNS1_17partition_subalgoE3EjNS0_10empty_typeEbEEZZNS1_14partition_implILS8_3ELb0ES6_jNS0_17counting_iteratorIjlEEPS9_SE_NS0_5tupleIJPjSE_EEENSF_IJSE_SE_EEES9_SG_JZNS1_25segmented_radix_sort_implINS0_14default_configELb1EPKsPsPKlPlN2at6native12_GLOBAL__N_18offset_tEEE10hipError_tPvRmT1_PNSt15iterator_traitsISY_E10value_typeET2_T3_PNSZ_IS14_E10value_typeET4_jRbjT5_S1A_jjP12ihipStream_tbEUljE_EEESV_SW_SX_S14_S18_S1A_T6_T7_T9_mT8_S1C_bDpT10_ENKUlT_T0_E_clISt17integral_constantIbLb0EES1P_EEDaS1K_S1L_EUlS1K_E_NS1_11comp_targetILNS1_3genE2ELNS1_11target_archE906ELNS1_3gpuE6ELNS1_3repE0EEENS1_30default_config_static_selectorELNS0_4arch9wavefront6targetE0EEEvSY_, .Lfunc_end883-_ZN7rocprim17ROCPRIM_400000_NS6detail17trampoline_kernelINS0_13select_configILj256ELj13ELNS0_17block_load_methodE3ELS4_3ELS4_3ELNS0_20block_scan_algorithmE0ELj4294967295EEENS1_25partition_config_selectorILNS1_17partition_subalgoE3EjNS0_10empty_typeEbEEZZNS1_14partition_implILS8_3ELb0ES6_jNS0_17counting_iteratorIjlEEPS9_SE_NS0_5tupleIJPjSE_EEENSF_IJSE_SE_EEES9_SG_JZNS1_25segmented_radix_sort_implINS0_14default_configELb1EPKsPsPKlPlN2at6native12_GLOBAL__N_18offset_tEEE10hipError_tPvRmT1_PNSt15iterator_traitsISY_E10value_typeET2_T3_PNSZ_IS14_E10value_typeET4_jRbjT5_S1A_jjP12ihipStream_tbEUljE_EEESV_SW_SX_S14_S18_S1A_T6_T7_T9_mT8_S1C_bDpT10_ENKUlT_T0_E_clISt17integral_constantIbLb0EES1P_EEDaS1K_S1L_EUlS1K_E_NS1_11comp_targetILNS1_3genE2ELNS1_11target_archE906ELNS1_3gpuE6ELNS1_3repE0EEENS1_30default_config_static_selectorELNS0_4arch9wavefront6targetE0EEEvSY_
                                        ; -- End function
	.set _ZN7rocprim17ROCPRIM_400000_NS6detail17trampoline_kernelINS0_13select_configILj256ELj13ELNS0_17block_load_methodE3ELS4_3ELS4_3ELNS0_20block_scan_algorithmE0ELj4294967295EEENS1_25partition_config_selectorILNS1_17partition_subalgoE3EjNS0_10empty_typeEbEEZZNS1_14partition_implILS8_3ELb0ES6_jNS0_17counting_iteratorIjlEEPS9_SE_NS0_5tupleIJPjSE_EEENSF_IJSE_SE_EEES9_SG_JZNS1_25segmented_radix_sort_implINS0_14default_configELb1EPKsPsPKlPlN2at6native12_GLOBAL__N_18offset_tEEE10hipError_tPvRmT1_PNSt15iterator_traitsISY_E10value_typeET2_T3_PNSZ_IS14_E10value_typeET4_jRbjT5_S1A_jjP12ihipStream_tbEUljE_EEESV_SW_SX_S14_S18_S1A_T6_T7_T9_mT8_S1C_bDpT10_ENKUlT_T0_E_clISt17integral_constantIbLb0EES1P_EEDaS1K_S1L_EUlS1K_E_NS1_11comp_targetILNS1_3genE2ELNS1_11target_archE906ELNS1_3gpuE6ELNS1_3repE0EEENS1_30default_config_static_selectorELNS0_4arch9wavefront6targetE0EEEvSY_.num_vgpr, 0
	.set _ZN7rocprim17ROCPRIM_400000_NS6detail17trampoline_kernelINS0_13select_configILj256ELj13ELNS0_17block_load_methodE3ELS4_3ELS4_3ELNS0_20block_scan_algorithmE0ELj4294967295EEENS1_25partition_config_selectorILNS1_17partition_subalgoE3EjNS0_10empty_typeEbEEZZNS1_14partition_implILS8_3ELb0ES6_jNS0_17counting_iteratorIjlEEPS9_SE_NS0_5tupleIJPjSE_EEENSF_IJSE_SE_EEES9_SG_JZNS1_25segmented_radix_sort_implINS0_14default_configELb1EPKsPsPKlPlN2at6native12_GLOBAL__N_18offset_tEEE10hipError_tPvRmT1_PNSt15iterator_traitsISY_E10value_typeET2_T3_PNSZ_IS14_E10value_typeET4_jRbjT5_S1A_jjP12ihipStream_tbEUljE_EEESV_SW_SX_S14_S18_S1A_T6_T7_T9_mT8_S1C_bDpT10_ENKUlT_T0_E_clISt17integral_constantIbLb0EES1P_EEDaS1K_S1L_EUlS1K_E_NS1_11comp_targetILNS1_3genE2ELNS1_11target_archE906ELNS1_3gpuE6ELNS1_3repE0EEENS1_30default_config_static_selectorELNS0_4arch9wavefront6targetE0EEEvSY_.num_agpr, 0
	.set _ZN7rocprim17ROCPRIM_400000_NS6detail17trampoline_kernelINS0_13select_configILj256ELj13ELNS0_17block_load_methodE3ELS4_3ELS4_3ELNS0_20block_scan_algorithmE0ELj4294967295EEENS1_25partition_config_selectorILNS1_17partition_subalgoE3EjNS0_10empty_typeEbEEZZNS1_14partition_implILS8_3ELb0ES6_jNS0_17counting_iteratorIjlEEPS9_SE_NS0_5tupleIJPjSE_EEENSF_IJSE_SE_EEES9_SG_JZNS1_25segmented_radix_sort_implINS0_14default_configELb1EPKsPsPKlPlN2at6native12_GLOBAL__N_18offset_tEEE10hipError_tPvRmT1_PNSt15iterator_traitsISY_E10value_typeET2_T3_PNSZ_IS14_E10value_typeET4_jRbjT5_S1A_jjP12ihipStream_tbEUljE_EEESV_SW_SX_S14_S18_S1A_T6_T7_T9_mT8_S1C_bDpT10_ENKUlT_T0_E_clISt17integral_constantIbLb0EES1P_EEDaS1K_S1L_EUlS1K_E_NS1_11comp_targetILNS1_3genE2ELNS1_11target_archE906ELNS1_3gpuE6ELNS1_3repE0EEENS1_30default_config_static_selectorELNS0_4arch9wavefront6targetE0EEEvSY_.numbered_sgpr, 0
	.set _ZN7rocprim17ROCPRIM_400000_NS6detail17trampoline_kernelINS0_13select_configILj256ELj13ELNS0_17block_load_methodE3ELS4_3ELS4_3ELNS0_20block_scan_algorithmE0ELj4294967295EEENS1_25partition_config_selectorILNS1_17partition_subalgoE3EjNS0_10empty_typeEbEEZZNS1_14partition_implILS8_3ELb0ES6_jNS0_17counting_iteratorIjlEEPS9_SE_NS0_5tupleIJPjSE_EEENSF_IJSE_SE_EEES9_SG_JZNS1_25segmented_radix_sort_implINS0_14default_configELb1EPKsPsPKlPlN2at6native12_GLOBAL__N_18offset_tEEE10hipError_tPvRmT1_PNSt15iterator_traitsISY_E10value_typeET2_T3_PNSZ_IS14_E10value_typeET4_jRbjT5_S1A_jjP12ihipStream_tbEUljE_EEESV_SW_SX_S14_S18_S1A_T6_T7_T9_mT8_S1C_bDpT10_ENKUlT_T0_E_clISt17integral_constantIbLb0EES1P_EEDaS1K_S1L_EUlS1K_E_NS1_11comp_targetILNS1_3genE2ELNS1_11target_archE906ELNS1_3gpuE6ELNS1_3repE0EEENS1_30default_config_static_selectorELNS0_4arch9wavefront6targetE0EEEvSY_.num_named_barrier, 0
	.set _ZN7rocprim17ROCPRIM_400000_NS6detail17trampoline_kernelINS0_13select_configILj256ELj13ELNS0_17block_load_methodE3ELS4_3ELS4_3ELNS0_20block_scan_algorithmE0ELj4294967295EEENS1_25partition_config_selectorILNS1_17partition_subalgoE3EjNS0_10empty_typeEbEEZZNS1_14partition_implILS8_3ELb0ES6_jNS0_17counting_iteratorIjlEEPS9_SE_NS0_5tupleIJPjSE_EEENSF_IJSE_SE_EEES9_SG_JZNS1_25segmented_radix_sort_implINS0_14default_configELb1EPKsPsPKlPlN2at6native12_GLOBAL__N_18offset_tEEE10hipError_tPvRmT1_PNSt15iterator_traitsISY_E10value_typeET2_T3_PNSZ_IS14_E10value_typeET4_jRbjT5_S1A_jjP12ihipStream_tbEUljE_EEESV_SW_SX_S14_S18_S1A_T6_T7_T9_mT8_S1C_bDpT10_ENKUlT_T0_E_clISt17integral_constantIbLb0EES1P_EEDaS1K_S1L_EUlS1K_E_NS1_11comp_targetILNS1_3genE2ELNS1_11target_archE906ELNS1_3gpuE6ELNS1_3repE0EEENS1_30default_config_static_selectorELNS0_4arch9wavefront6targetE0EEEvSY_.private_seg_size, 0
	.set _ZN7rocprim17ROCPRIM_400000_NS6detail17trampoline_kernelINS0_13select_configILj256ELj13ELNS0_17block_load_methodE3ELS4_3ELS4_3ELNS0_20block_scan_algorithmE0ELj4294967295EEENS1_25partition_config_selectorILNS1_17partition_subalgoE3EjNS0_10empty_typeEbEEZZNS1_14partition_implILS8_3ELb0ES6_jNS0_17counting_iteratorIjlEEPS9_SE_NS0_5tupleIJPjSE_EEENSF_IJSE_SE_EEES9_SG_JZNS1_25segmented_radix_sort_implINS0_14default_configELb1EPKsPsPKlPlN2at6native12_GLOBAL__N_18offset_tEEE10hipError_tPvRmT1_PNSt15iterator_traitsISY_E10value_typeET2_T3_PNSZ_IS14_E10value_typeET4_jRbjT5_S1A_jjP12ihipStream_tbEUljE_EEESV_SW_SX_S14_S18_S1A_T6_T7_T9_mT8_S1C_bDpT10_ENKUlT_T0_E_clISt17integral_constantIbLb0EES1P_EEDaS1K_S1L_EUlS1K_E_NS1_11comp_targetILNS1_3genE2ELNS1_11target_archE906ELNS1_3gpuE6ELNS1_3repE0EEENS1_30default_config_static_selectorELNS0_4arch9wavefront6targetE0EEEvSY_.uses_vcc, 0
	.set _ZN7rocprim17ROCPRIM_400000_NS6detail17trampoline_kernelINS0_13select_configILj256ELj13ELNS0_17block_load_methodE3ELS4_3ELS4_3ELNS0_20block_scan_algorithmE0ELj4294967295EEENS1_25partition_config_selectorILNS1_17partition_subalgoE3EjNS0_10empty_typeEbEEZZNS1_14partition_implILS8_3ELb0ES6_jNS0_17counting_iteratorIjlEEPS9_SE_NS0_5tupleIJPjSE_EEENSF_IJSE_SE_EEES9_SG_JZNS1_25segmented_radix_sort_implINS0_14default_configELb1EPKsPsPKlPlN2at6native12_GLOBAL__N_18offset_tEEE10hipError_tPvRmT1_PNSt15iterator_traitsISY_E10value_typeET2_T3_PNSZ_IS14_E10value_typeET4_jRbjT5_S1A_jjP12ihipStream_tbEUljE_EEESV_SW_SX_S14_S18_S1A_T6_T7_T9_mT8_S1C_bDpT10_ENKUlT_T0_E_clISt17integral_constantIbLb0EES1P_EEDaS1K_S1L_EUlS1K_E_NS1_11comp_targetILNS1_3genE2ELNS1_11target_archE906ELNS1_3gpuE6ELNS1_3repE0EEENS1_30default_config_static_selectorELNS0_4arch9wavefront6targetE0EEEvSY_.uses_flat_scratch, 0
	.set _ZN7rocprim17ROCPRIM_400000_NS6detail17trampoline_kernelINS0_13select_configILj256ELj13ELNS0_17block_load_methodE3ELS4_3ELS4_3ELNS0_20block_scan_algorithmE0ELj4294967295EEENS1_25partition_config_selectorILNS1_17partition_subalgoE3EjNS0_10empty_typeEbEEZZNS1_14partition_implILS8_3ELb0ES6_jNS0_17counting_iteratorIjlEEPS9_SE_NS0_5tupleIJPjSE_EEENSF_IJSE_SE_EEES9_SG_JZNS1_25segmented_radix_sort_implINS0_14default_configELb1EPKsPsPKlPlN2at6native12_GLOBAL__N_18offset_tEEE10hipError_tPvRmT1_PNSt15iterator_traitsISY_E10value_typeET2_T3_PNSZ_IS14_E10value_typeET4_jRbjT5_S1A_jjP12ihipStream_tbEUljE_EEESV_SW_SX_S14_S18_S1A_T6_T7_T9_mT8_S1C_bDpT10_ENKUlT_T0_E_clISt17integral_constantIbLb0EES1P_EEDaS1K_S1L_EUlS1K_E_NS1_11comp_targetILNS1_3genE2ELNS1_11target_archE906ELNS1_3gpuE6ELNS1_3repE0EEENS1_30default_config_static_selectorELNS0_4arch9wavefront6targetE0EEEvSY_.has_dyn_sized_stack, 0
	.set _ZN7rocprim17ROCPRIM_400000_NS6detail17trampoline_kernelINS0_13select_configILj256ELj13ELNS0_17block_load_methodE3ELS4_3ELS4_3ELNS0_20block_scan_algorithmE0ELj4294967295EEENS1_25partition_config_selectorILNS1_17partition_subalgoE3EjNS0_10empty_typeEbEEZZNS1_14partition_implILS8_3ELb0ES6_jNS0_17counting_iteratorIjlEEPS9_SE_NS0_5tupleIJPjSE_EEENSF_IJSE_SE_EEES9_SG_JZNS1_25segmented_radix_sort_implINS0_14default_configELb1EPKsPsPKlPlN2at6native12_GLOBAL__N_18offset_tEEE10hipError_tPvRmT1_PNSt15iterator_traitsISY_E10value_typeET2_T3_PNSZ_IS14_E10value_typeET4_jRbjT5_S1A_jjP12ihipStream_tbEUljE_EEESV_SW_SX_S14_S18_S1A_T6_T7_T9_mT8_S1C_bDpT10_ENKUlT_T0_E_clISt17integral_constantIbLb0EES1P_EEDaS1K_S1L_EUlS1K_E_NS1_11comp_targetILNS1_3genE2ELNS1_11target_archE906ELNS1_3gpuE6ELNS1_3repE0EEENS1_30default_config_static_selectorELNS0_4arch9wavefront6targetE0EEEvSY_.has_recursion, 0
	.set _ZN7rocprim17ROCPRIM_400000_NS6detail17trampoline_kernelINS0_13select_configILj256ELj13ELNS0_17block_load_methodE3ELS4_3ELS4_3ELNS0_20block_scan_algorithmE0ELj4294967295EEENS1_25partition_config_selectorILNS1_17partition_subalgoE3EjNS0_10empty_typeEbEEZZNS1_14partition_implILS8_3ELb0ES6_jNS0_17counting_iteratorIjlEEPS9_SE_NS0_5tupleIJPjSE_EEENSF_IJSE_SE_EEES9_SG_JZNS1_25segmented_radix_sort_implINS0_14default_configELb1EPKsPsPKlPlN2at6native12_GLOBAL__N_18offset_tEEE10hipError_tPvRmT1_PNSt15iterator_traitsISY_E10value_typeET2_T3_PNSZ_IS14_E10value_typeET4_jRbjT5_S1A_jjP12ihipStream_tbEUljE_EEESV_SW_SX_S14_S18_S1A_T6_T7_T9_mT8_S1C_bDpT10_ENKUlT_T0_E_clISt17integral_constantIbLb0EES1P_EEDaS1K_S1L_EUlS1K_E_NS1_11comp_targetILNS1_3genE2ELNS1_11target_archE906ELNS1_3gpuE6ELNS1_3repE0EEENS1_30default_config_static_selectorELNS0_4arch9wavefront6targetE0EEEvSY_.has_indirect_call, 0
	.section	.AMDGPU.csdata,"",@progbits
; Kernel info:
; codeLenInByte = 0
; TotalNumSgprs: 0
; NumVgprs: 0
; ScratchSize: 0
; MemoryBound: 0
; FloatMode: 240
; IeeeMode: 1
; LDSByteSize: 0 bytes/workgroup (compile time only)
; SGPRBlocks: 0
; VGPRBlocks: 0
; NumSGPRsForWavesPerEU: 1
; NumVGPRsForWavesPerEU: 1
; Occupancy: 16
; WaveLimiterHint : 0
; COMPUTE_PGM_RSRC2:SCRATCH_EN: 0
; COMPUTE_PGM_RSRC2:USER_SGPR: 2
; COMPUTE_PGM_RSRC2:TRAP_HANDLER: 0
; COMPUTE_PGM_RSRC2:TGID_X_EN: 1
; COMPUTE_PGM_RSRC2:TGID_Y_EN: 0
; COMPUTE_PGM_RSRC2:TGID_Z_EN: 0
; COMPUTE_PGM_RSRC2:TIDIG_COMP_CNT: 0
	.section	.text._ZN7rocprim17ROCPRIM_400000_NS6detail17trampoline_kernelINS0_13select_configILj256ELj13ELNS0_17block_load_methodE3ELS4_3ELS4_3ELNS0_20block_scan_algorithmE0ELj4294967295EEENS1_25partition_config_selectorILNS1_17partition_subalgoE3EjNS0_10empty_typeEbEEZZNS1_14partition_implILS8_3ELb0ES6_jNS0_17counting_iteratorIjlEEPS9_SE_NS0_5tupleIJPjSE_EEENSF_IJSE_SE_EEES9_SG_JZNS1_25segmented_radix_sort_implINS0_14default_configELb1EPKsPsPKlPlN2at6native12_GLOBAL__N_18offset_tEEE10hipError_tPvRmT1_PNSt15iterator_traitsISY_E10value_typeET2_T3_PNSZ_IS14_E10value_typeET4_jRbjT5_S1A_jjP12ihipStream_tbEUljE_EEESV_SW_SX_S14_S18_S1A_T6_T7_T9_mT8_S1C_bDpT10_ENKUlT_T0_E_clISt17integral_constantIbLb0EES1P_EEDaS1K_S1L_EUlS1K_E_NS1_11comp_targetILNS1_3genE10ELNS1_11target_archE1200ELNS1_3gpuE4ELNS1_3repE0EEENS1_30default_config_static_selectorELNS0_4arch9wavefront6targetE0EEEvSY_,"axG",@progbits,_ZN7rocprim17ROCPRIM_400000_NS6detail17trampoline_kernelINS0_13select_configILj256ELj13ELNS0_17block_load_methodE3ELS4_3ELS4_3ELNS0_20block_scan_algorithmE0ELj4294967295EEENS1_25partition_config_selectorILNS1_17partition_subalgoE3EjNS0_10empty_typeEbEEZZNS1_14partition_implILS8_3ELb0ES6_jNS0_17counting_iteratorIjlEEPS9_SE_NS0_5tupleIJPjSE_EEENSF_IJSE_SE_EEES9_SG_JZNS1_25segmented_radix_sort_implINS0_14default_configELb1EPKsPsPKlPlN2at6native12_GLOBAL__N_18offset_tEEE10hipError_tPvRmT1_PNSt15iterator_traitsISY_E10value_typeET2_T3_PNSZ_IS14_E10value_typeET4_jRbjT5_S1A_jjP12ihipStream_tbEUljE_EEESV_SW_SX_S14_S18_S1A_T6_T7_T9_mT8_S1C_bDpT10_ENKUlT_T0_E_clISt17integral_constantIbLb0EES1P_EEDaS1K_S1L_EUlS1K_E_NS1_11comp_targetILNS1_3genE10ELNS1_11target_archE1200ELNS1_3gpuE4ELNS1_3repE0EEENS1_30default_config_static_selectorELNS0_4arch9wavefront6targetE0EEEvSY_,comdat
	.globl	_ZN7rocprim17ROCPRIM_400000_NS6detail17trampoline_kernelINS0_13select_configILj256ELj13ELNS0_17block_load_methodE3ELS4_3ELS4_3ELNS0_20block_scan_algorithmE0ELj4294967295EEENS1_25partition_config_selectorILNS1_17partition_subalgoE3EjNS0_10empty_typeEbEEZZNS1_14partition_implILS8_3ELb0ES6_jNS0_17counting_iteratorIjlEEPS9_SE_NS0_5tupleIJPjSE_EEENSF_IJSE_SE_EEES9_SG_JZNS1_25segmented_radix_sort_implINS0_14default_configELb1EPKsPsPKlPlN2at6native12_GLOBAL__N_18offset_tEEE10hipError_tPvRmT1_PNSt15iterator_traitsISY_E10value_typeET2_T3_PNSZ_IS14_E10value_typeET4_jRbjT5_S1A_jjP12ihipStream_tbEUljE_EEESV_SW_SX_S14_S18_S1A_T6_T7_T9_mT8_S1C_bDpT10_ENKUlT_T0_E_clISt17integral_constantIbLb0EES1P_EEDaS1K_S1L_EUlS1K_E_NS1_11comp_targetILNS1_3genE10ELNS1_11target_archE1200ELNS1_3gpuE4ELNS1_3repE0EEENS1_30default_config_static_selectorELNS0_4arch9wavefront6targetE0EEEvSY_ ; -- Begin function _ZN7rocprim17ROCPRIM_400000_NS6detail17trampoline_kernelINS0_13select_configILj256ELj13ELNS0_17block_load_methodE3ELS4_3ELS4_3ELNS0_20block_scan_algorithmE0ELj4294967295EEENS1_25partition_config_selectorILNS1_17partition_subalgoE3EjNS0_10empty_typeEbEEZZNS1_14partition_implILS8_3ELb0ES6_jNS0_17counting_iteratorIjlEEPS9_SE_NS0_5tupleIJPjSE_EEENSF_IJSE_SE_EEES9_SG_JZNS1_25segmented_radix_sort_implINS0_14default_configELb1EPKsPsPKlPlN2at6native12_GLOBAL__N_18offset_tEEE10hipError_tPvRmT1_PNSt15iterator_traitsISY_E10value_typeET2_T3_PNSZ_IS14_E10value_typeET4_jRbjT5_S1A_jjP12ihipStream_tbEUljE_EEESV_SW_SX_S14_S18_S1A_T6_T7_T9_mT8_S1C_bDpT10_ENKUlT_T0_E_clISt17integral_constantIbLb0EES1P_EEDaS1K_S1L_EUlS1K_E_NS1_11comp_targetILNS1_3genE10ELNS1_11target_archE1200ELNS1_3gpuE4ELNS1_3repE0EEENS1_30default_config_static_selectorELNS0_4arch9wavefront6targetE0EEEvSY_
	.p2align	8
	.type	_ZN7rocprim17ROCPRIM_400000_NS6detail17trampoline_kernelINS0_13select_configILj256ELj13ELNS0_17block_load_methodE3ELS4_3ELS4_3ELNS0_20block_scan_algorithmE0ELj4294967295EEENS1_25partition_config_selectorILNS1_17partition_subalgoE3EjNS0_10empty_typeEbEEZZNS1_14partition_implILS8_3ELb0ES6_jNS0_17counting_iteratorIjlEEPS9_SE_NS0_5tupleIJPjSE_EEENSF_IJSE_SE_EEES9_SG_JZNS1_25segmented_radix_sort_implINS0_14default_configELb1EPKsPsPKlPlN2at6native12_GLOBAL__N_18offset_tEEE10hipError_tPvRmT1_PNSt15iterator_traitsISY_E10value_typeET2_T3_PNSZ_IS14_E10value_typeET4_jRbjT5_S1A_jjP12ihipStream_tbEUljE_EEESV_SW_SX_S14_S18_S1A_T6_T7_T9_mT8_S1C_bDpT10_ENKUlT_T0_E_clISt17integral_constantIbLb0EES1P_EEDaS1K_S1L_EUlS1K_E_NS1_11comp_targetILNS1_3genE10ELNS1_11target_archE1200ELNS1_3gpuE4ELNS1_3repE0EEENS1_30default_config_static_selectorELNS0_4arch9wavefront6targetE0EEEvSY_,@function
_ZN7rocprim17ROCPRIM_400000_NS6detail17trampoline_kernelINS0_13select_configILj256ELj13ELNS0_17block_load_methodE3ELS4_3ELS4_3ELNS0_20block_scan_algorithmE0ELj4294967295EEENS1_25partition_config_selectorILNS1_17partition_subalgoE3EjNS0_10empty_typeEbEEZZNS1_14partition_implILS8_3ELb0ES6_jNS0_17counting_iteratorIjlEEPS9_SE_NS0_5tupleIJPjSE_EEENSF_IJSE_SE_EEES9_SG_JZNS1_25segmented_radix_sort_implINS0_14default_configELb1EPKsPsPKlPlN2at6native12_GLOBAL__N_18offset_tEEE10hipError_tPvRmT1_PNSt15iterator_traitsISY_E10value_typeET2_T3_PNSZ_IS14_E10value_typeET4_jRbjT5_S1A_jjP12ihipStream_tbEUljE_EEESV_SW_SX_S14_S18_S1A_T6_T7_T9_mT8_S1C_bDpT10_ENKUlT_T0_E_clISt17integral_constantIbLb0EES1P_EEDaS1K_S1L_EUlS1K_E_NS1_11comp_targetILNS1_3genE10ELNS1_11target_archE1200ELNS1_3gpuE4ELNS1_3repE0EEENS1_30default_config_static_selectorELNS0_4arch9wavefront6targetE0EEEvSY_: ; @_ZN7rocprim17ROCPRIM_400000_NS6detail17trampoline_kernelINS0_13select_configILj256ELj13ELNS0_17block_load_methodE3ELS4_3ELS4_3ELNS0_20block_scan_algorithmE0ELj4294967295EEENS1_25partition_config_selectorILNS1_17partition_subalgoE3EjNS0_10empty_typeEbEEZZNS1_14partition_implILS8_3ELb0ES6_jNS0_17counting_iteratorIjlEEPS9_SE_NS0_5tupleIJPjSE_EEENSF_IJSE_SE_EEES9_SG_JZNS1_25segmented_radix_sort_implINS0_14default_configELb1EPKsPsPKlPlN2at6native12_GLOBAL__N_18offset_tEEE10hipError_tPvRmT1_PNSt15iterator_traitsISY_E10value_typeET2_T3_PNSZ_IS14_E10value_typeET4_jRbjT5_S1A_jjP12ihipStream_tbEUljE_EEESV_SW_SX_S14_S18_S1A_T6_T7_T9_mT8_S1C_bDpT10_ENKUlT_T0_E_clISt17integral_constantIbLb0EES1P_EEDaS1K_S1L_EUlS1K_E_NS1_11comp_targetILNS1_3genE10ELNS1_11target_archE1200ELNS1_3gpuE4ELNS1_3repE0EEENS1_30default_config_static_selectorELNS0_4arch9wavefront6targetE0EEEvSY_
; %bb.0:
	s_clause 0x6
	s_load_b32 s2, s[0:1], 0x70
	s_load_b128 s[8:11], s[0:1], 0x48
	s_load_b64 s[12:13], s[0:1], 0x10
	s_load_b64 s[14:15], s[0:1], 0x58
	s_load_b32 s20, s[0:1], 0x8
	s_load_b32 s3, s[0:1], 0x88
	s_load_b128 s[4:7], s[0:1], 0x78
	s_mov_b32 s17, 0
	v_lshlrev_b32_e32 v42, 2, v0
	s_wait_kmcnt 0x0
	s_mul_i32 s16, s2, 0xd00
	s_load_b64 s[18:19], s[10:11], 0x0
	s_add_co_i32 s10, s16, s12
	s_add_co_i32 s2, s2, -1
	s_sub_co_i32 s23, s14, s10
	s_add_nc_u64 s[10:11], s[12:13], s[16:17]
	s_addk_co_i32 s23, 0xd00
	s_cmp_eq_u32 ttmp9, s2
	s_mul_i32 s16, ttmp9, 0xd00
	s_cselect_b32 s22, -1, 0
	s_cmp_lg_u32 ttmp9, s2
	v_cmp_gt_u64_e64 s10, s[14:15], s[10:11]
	s_cselect_b32 s2, -1, 0
	s_add_co_i32 s11, s20, s16
	s_mov_b32 s17, -1
	s_wait_alu 0xfffe
	s_add_co_i32 s11, s11, s12
	s_wait_alu 0xfffe
	v_add_nc_u32_e32 v1, s11, v0
	s_or_b32 s10, s2, s10
	s_wait_alu 0xfffe
	s_and_b32 vcc_lo, exec_lo, s10
	s_cbranch_vccz .LBB884_2
; %bb.1:
	v_add_nc_u32_e32 v2, 0x100, v1
	v_add_nc_u32_e32 v3, 0x200, v1
	;; [unrolled: 1-line block ×12, first 2 shown]
	ds_store_2addr_stride64_b32 v42, v1, v2 offset1:4
	ds_store_2addr_stride64_b32 v42, v3, v4 offset0:8 offset1:12
	ds_store_2addr_stride64_b32 v42, v5, v6 offset0:16 offset1:20
	;; [unrolled: 1-line block ×5, first 2 shown]
	ds_store_b32 v42, v13 offset:12288
	s_wait_dscnt 0x0
	s_barrier_signal -1
	s_mov_b32 s17, 0
	s_barrier_wait -1
.LBB884_2:
	v_cmp_gt_u32_e64 s2, s23, v0
	v_or_b32_e32 v41, 0x100, v0
	v_or_b32_e32 v40, 0x200, v0
	;; [unrolled: 1-line block ×12, first 2 shown]
	s_and_not1_b32 vcc_lo, exec_lo, s17
	s_cbranch_vccnz .LBB884_4
; %bb.3:
	v_cmp_gt_u32_e32 vcc_lo, s23, v41
	v_add_nc_u32_e32 v3, s11, v40
	v_add_nc_u32_e32 v2, s11, v41
	v_cndmask_b32_e64 v1, 0, v1, s2
	s_delay_alu instid0(VALU_DEP_2)
	v_cndmask_b32_e32 v2, 0, v2, vcc_lo
	v_cmp_gt_u32_e32 vcc_lo, s23, v40
	s_wait_alu 0xfffd
	v_cndmask_b32_e32 v3, 0, v3, vcc_lo
	v_cmp_gt_u32_e32 vcc_lo, s23, v39
	v_add_nc_u32_e32 v5, s11, v38
	v_add_nc_u32_e32 v4, s11, v39
	s_wait_alu 0xfffd
	s_delay_alu instid0(VALU_DEP_1)
	v_cndmask_b32_e32 v4, 0, v4, vcc_lo
	v_cmp_gt_u32_e32 vcc_lo, s23, v38
	s_wait_alu 0xfffd
	v_cndmask_b32_e32 v5, 0, v5, vcc_lo
	v_cmp_gt_u32_e32 vcc_lo, s23, v37
	v_add_nc_u32_e32 v7, s11, v36
	v_add_nc_u32_e32 v6, s11, v37
	s_wait_alu 0xfffd
	s_delay_alu instid0(VALU_DEP_1)
	;; [unrolled: 9-line block ×5, first 2 shown]
	v_cndmask_b32_e32 v12, 0, v12, vcc_lo
	v_cmp_gt_u32_e32 vcc_lo, s23, v30
	s_wait_alu 0xfffd
	v_cndmask_b32_e32 v13, 0, v13, vcc_lo
	ds_store_2addr_stride64_b32 v42, v1, v2 offset1:4
	ds_store_2addr_stride64_b32 v42, v3, v4 offset0:8 offset1:12
	ds_store_2addr_stride64_b32 v42, v5, v6 offset0:16 offset1:20
	;; [unrolled: 1-line block ×5, first 2 shown]
	ds_store_b32 v42, v13 offset:12288
	s_wait_dscnt 0x0
	s_barrier_signal -1
	s_barrier_wait -1
.LBB884_4:
	v_mul_u32_u24_e32 v45, 13, v0
	global_inv scope:SCOPE_SE
	v_cndmask_b32_e64 v43, 0, 1, s10
	s_and_not1_b32 vcc_lo, exec_lo, s10
	v_lshlrev_b32_e32 v1, 2, v45
	ds_load_2addr_b32 v[26:27], v1 offset0:2 offset1:3
	ds_load_2addr_b32 v[22:23], v1 offset0:6 offset1:7
	;; [unrolled: 1-line block ×3, first 2 shown]
	ds_load_2addr_b32 v[28:29], v1 offset1:1
	ds_load_2addr_b32 v[18:19], v1 offset0:10 offset1:11
	ds_load_b32 v44, v1 offset:48
	ds_load_2addr_b32 v[20:21], v1 offset0:8 offset1:9
	s_wait_loadcnt_dscnt 0x0
	s_barrier_signal -1
	s_barrier_wait -1
	global_inv scope:SCOPE_SE
	s_wait_alu 0xfffe
	s_cbranch_vccnz .LBB884_6
; %bb.5:
	v_add_nc_u32_e32 v1, s5, v27
	v_add_nc_u32_e32 v2, s7, v27
	v_add_nc_u32_e32 v4, s5, v28
	v_add_nc_u32_e32 v5, s5, v26
	v_add_nc_u32_e32 v7, s7, v28
	v_mul_lo_u32 v1, v1, s4
	v_mul_lo_u32 v2, v2, s6
	v_add_nc_u32_e32 v8, s7, v26
	v_add_nc_u32_e32 v3, s5, v29
	;; [unrolled: 1-line block ×3, first 2 shown]
	v_mul_lo_u32 v5, v5, s4
	v_mul_lo_u32 v4, v4, s4
	v_add_nc_u32_e32 v9, s5, v24
	v_mul_lo_u32 v3, v3, s4
	v_sub_nc_u32_e32 v1, v1, v2
	v_mul_lo_u32 v2, v7, s6
	v_mul_lo_u32 v7, v8, s6
	;; [unrolled: 1-line block ×3, first 2 shown]
	v_add_nc_u32_e32 v8, s5, v25
	v_add_nc_u32_e32 v10, s7, v24
	v_mul_lo_u32 v9, v9, s4
	v_cmp_lt_u32_e32 vcc_lo, s3, v1
	v_add_nc_u32_e32 v14, s7, v19
	v_sub_nc_u32_e32 v2, v4, v2
	v_sub_nc_u32_e32 v4, v5, v7
	v_add_nc_u32_e32 v5, s7, v25
	v_sub_nc_u32_e32 v3, v3, v6
	v_add_nc_u32_e32 v6, s5, v23
	v_add_nc_u32_e32 v7, s7, v23
	v_mul_lo_u32 v8, v8, s4
	v_mul_lo_u32 v5, v5, s6
	v_mul_lo_u32 v10, v10, s6
	v_mul_lo_u32 v6, v6, s4
	v_mul_lo_u32 v7, v7, s6
	s_wait_alu 0xfffd
	v_cndmask_b32_e64 v1, 0, 1, vcc_lo
	v_cmp_lt_u32_e32 vcc_lo, s3, v3
	v_mul_lo_u32 v14, v14, s6
	v_add_nc_u32_e32 v15, s7, v21
	v_sub_nc_u32_e32 v5, v8, v5
	v_add_nc_u32_e32 v8, s7, v22
	s_wait_alu 0xfffd
	v_cndmask_b32_e64 v3, 0, 1, vcc_lo
	v_sub_nc_u32_e32 v6, v6, v7
	v_mul_lo_u32 v15, v15, s6
	v_cmp_lt_u32_e32 vcc_lo, s3, v5
	v_mul_lo_u32 v7, v8, s6
	v_sub_nc_u32_e32 v8, v9, v10
	v_add_nc_u32_e32 v9, s5, v19
	v_add_nc_u32_e32 v10, s5, v21
	s_wait_alu 0xfffd
	v_cndmask_b32_e64 v5, 0, 1, vcc_lo
	v_cmp_lt_u32_e32 vcc_lo, s3, v6
	v_add_nc_u32_e32 v11, s5, v22
	v_mul_lo_u32 v9, v9, s4
	v_mul_lo_u32 v10, v10, s4
	v_add_nc_u32_e32 v12, s5, v20
	s_wait_alu 0xfffd
	v_cndmask_b32_e64 v6, 0, 1, vcc_lo
	v_mul_lo_u32 v11, v11, s4
	v_add_nc_u32_e32 v16, s7, v20
	v_lshlrev_b16 v3, 8, v3
	v_add_nc_u32_e32 v13, s5, v18
	v_sub_nc_u32_e32 v9, v9, v14
	v_sub_nc_u32_e32 v10, v10, v15
	v_add_nc_u32_e32 v17, s7, v18
	v_mul_lo_u32 v12, v12, s4
	v_mul_lo_u32 v16, v16, s6
	v_cmp_lt_u32_e32 vcc_lo, s3, v9
	v_sub_nc_u32_e32 v7, v11, v7
	v_lshrrev_b32_e32 v3, 8, v3
	v_mul_lo_u32 v11, v13, s4
	v_mul_lo_u32 v13, v17, s6
	s_wait_alu 0xfffd
	v_cndmask_b32_e64 v9, 0, 1, vcc_lo
	v_cmp_lt_u32_e32 vcc_lo, s3, v2
	v_sub_nc_u32_e32 v12, v12, v16
	v_lshlrev_b16 v3, 8, v3
	v_lshlrev_b16 v1, 8, v1
	;; [unrolled: 1-line block ×3, first 2 shown]
	s_wait_alu 0xfffd
	v_cndmask_b32_e64 v2, 0, 1, vcc_lo
	v_cmp_lt_u32_e32 vcc_lo, s3, v10
	v_sub_nc_u32_e32 v11, v11, v13
	v_add_nc_u32_e32 v14, s5, v44
	v_add_nc_u32_e32 v15, s7, v44
	v_or_b32_e32 v2, v2, v3
	s_wait_alu 0xfffd
	v_cndmask_b32_e64 v10, 0, 1, vcc_lo
	v_cmp_lt_u32_e32 vcc_lo, s3, v4
	v_lshlrev_b16 v3, 8, v9
	v_lshrrev_b32_e32 v5, 8, v5
	v_lshrrev_b32_e32 v1, 8, v1
	v_lshlrev_b16 v9, 8, v10
	s_wait_alu 0xfffd
	v_cndmask_b32_e64 v4, 0, 1, vcc_lo
	v_cmp_lt_u32_e32 vcc_lo, s3, v8
	v_lshrrev_b32_e32 v3, 8, v3
	v_mul_lo_u32 v14, v14, s4
	v_lshrrev_b32_e32 v9, 8, v9
	v_mul_lo_u32 v15, v15, s6
	s_wait_alu 0xfffd
	v_cndmask_b32_e64 v8, 0, 1, vcc_lo
	v_cmp_lt_u32_e32 vcc_lo, s3, v7
	v_lshlrev_b16 v6, 8, v6
	v_lshlrev_b16 v1, 8, v1
	;; [unrolled: 1-line block ×4, first 2 shown]
	s_wait_alu 0xfffd
	v_cndmask_b32_e64 v7, 0, 1, vcc_lo
	v_cmp_lt_u32_e32 vcc_lo, s3, v12
	v_lshlrev_b16 v3, 8, v3
	v_sub_nc_u32_e32 v10, v14, v15
	v_or_b32_e32 v1, v4, v1
	v_or_b32_e32 v4, v8, v5
	s_wait_alu 0xfffd
	v_cndmask_b32_e64 v12, 0, 1, vcc_lo
	v_cmp_lt_u32_e32 vcc_lo, s3, v11
	v_or_b32_e32 v5, v7, v6
	v_and_b32_e32 v2, 0xffff, v2
	v_lshlrev_b32_e32 v1, 16, v1
	v_or_b32_e32 v6, v12, v9
	s_wait_alu 0xfffd
	v_cndmask_b32_e64 v11, 0, 1, vcc_lo
	v_and_b32_e32 v4, 0xffff, v4
	v_lshlrev_b32_e32 v5, 16, v5
	v_cmp_lt_u32_e32 vcc_lo, s3, v10
	v_and_b32_e32 v6, 0xffff, v6
	v_or_b32_e32 v3, v11, v3
	v_or_b32_e32 v51, v2, v1
	;; [unrolled: 1-line block ×3, first 2 shown]
	s_wait_alu 0xfffd
	v_cndmask_b32_e64 v46, 0, 1, vcc_lo
	v_lshlrev_b32_e32 v3, 16, v3
	s_delay_alu instid0(VALU_DEP_1)
	v_or_b32_e32 v47, v6, v3
	s_clause 0x1
	s_load_b64 s[10:11], s[0:1], 0x28
	s_load_b64 s[20:21], s[0:1], 0x68
	s_cbranch_execz .LBB884_7
	s_branch .LBB884_34
.LBB884_6:
                                        ; implicit-def: $vgpr46
                                        ; implicit-def: $vgpr47
                                        ; implicit-def: $vgpr49
                                        ; implicit-def: $vgpr51
	s_clause 0x1
	s_load_b64 s[10:11], s[0:1], 0x28
	s_load_b64 s[20:21], s[0:1], 0x68
.LBB884_7:
	v_dual_mov_b32 v2, 0 :: v_dual_mov_b32 v1, 0
	s_mov_b32 s0, exec_lo
	v_cmpx_gt_u32_e64 s23, v45
	s_cbranch_execz .LBB884_9
; %bb.8:
	v_add_nc_u32_e32 v1, s5, v28
	v_add_nc_u32_e32 v3, s7, v28
	s_delay_alu instid0(VALU_DEP_2) | instskip(NEXT) | instid1(VALU_DEP_2)
	v_mul_lo_u32 v1, v1, s4
	v_mul_lo_u32 v3, v3, s6
	s_delay_alu instid0(VALU_DEP_1) | instskip(NEXT) | instid1(VALU_DEP_1)
	v_sub_nc_u32_e32 v1, v1, v3
	v_cmp_lt_u32_e32 vcc_lo, s3, v1
	s_wait_alu 0xfffd
	v_cndmask_b32_e64 v1, 0, 1, vcc_lo
.LBB884_9:
	s_or_b32 exec_lo, exec_lo, s0
	v_add_nc_u32_e32 v3, 1, v45
	s_mov_b32 s0, exec_lo
	s_delay_alu instid0(VALU_DEP_1)
	v_cmpx_gt_u32_e64 s23, v3
	s_cbranch_execz .LBB884_11
; %bb.10:
	v_add_nc_u32_e32 v2, s5, v29
	v_add_nc_u32_e32 v3, s7, v29
	s_delay_alu instid0(VALU_DEP_2) | instskip(NEXT) | instid1(VALU_DEP_2)
	v_mul_lo_u32 v2, v2, s4
	v_mul_lo_u32 v3, v3, s6
	s_delay_alu instid0(VALU_DEP_1) | instskip(NEXT) | instid1(VALU_DEP_1)
	v_sub_nc_u32_e32 v2, v2, v3
	v_cmp_lt_u32_e32 vcc_lo, s3, v2
	s_wait_alu 0xfffd
	v_cndmask_b32_e64 v2, 0, 1, vcc_lo
.LBB884_11:
	s_or_b32 exec_lo, exec_lo, s0
	v_dual_mov_b32 v4, 0 :: v_dual_add_nc_u32 v3, 2, v45
	s_delay_alu instid0(VALU_DEP_1)
	v_cmp_gt_u32_e32 vcc_lo, s23, v3
	v_mov_b32_e32 v3, 0
	s_and_saveexec_b32 s0, vcc_lo
	s_cbranch_execz .LBB884_13
; %bb.12:
	v_add_nc_u32_e32 v3, s5, v26
	v_add_nc_u32_e32 v5, s7, v26
	s_delay_alu instid0(VALU_DEP_2) | instskip(NEXT) | instid1(VALU_DEP_2)
	v_mul_lo_u32 v3, v3, s4
	v_mul_lo_u32 v5, v5, s6
	s_delay_alu instid0(VALU_DEP_1) | instskip(NEXT) | instid1(VALU_DEP_1)
	v_sub_nc_u32_e32 v3, v3, v5
	v_cmp_lt_u32_e32 vcc_lo, s3, v3
	s_wait_alu 0xfffd
	v_cndmask_b32_e64 v3, 0, 1, vcc_lo
.LBB884_13:
	s_or_b32 exec_lo, exec_lo, s0
	v_add_nc_u32_e32 v5, 3, v45
	s_mov_b32 s0, exec_lo
	s_delay_alu instid0(VALU_DEP_1)
	v_cmpx_gt_u32_e64 s23, v5
	s_cbranch_execz .LBB884_15
; %bb.14:
	v_add_nc_u32_e32 v4, s5, v27
	v_add_nc_u32_e32 v5, s7, v27
	s_delay_alu instid0(VALU_DEP_2) | instskip(NEXT) | instid1(VALU_DEP_2)
	v_mul_lo_u32 v4, v4, s4
	v_mul_lo_u32 v5, v5, s6
	s_delay_alu instid0(VALU_DEP_1) | instskip(NEXT) | instid1(VALU_DEP_1)
	v_sub_nc_u32_e32 v4, v4, v5
	v_cmp_lt_u32_e32 vcc_lo, s3, v4
	s_wait_alu 0xfffd
	v_cndmask_b32_e64 v4, 0, 1, vcc_lo
.LBB884_15:
	s_or_b32 exec_lo, exec_lo, s0
	v_dual_mov_b32 v6, 0 :: v_dual_add_nc_u32 v5, 4, v45
	s_delay_alu instid0(VALU_DEP_1)
	v_cmp_gt_u32_e32 vcc_lo, s23, v5
	v_mov_b32_e32 v5, 0
	s_and_saveexec_b32 s0, vcc_lo
	;; [unrolled: 37-line block ×5, first 2 shown]
	s_cbranch_execz .LBB884_29
; %bb.28:
	v_add_nc_u32_e32 v11, s5, v18
	v_add_nc_u32_e32 v13, s7, v18
	s_delay_alu instid0(VALU_DEP_2) | instskip(NEXT) | instid1(VALU_DEP_2)
	v_mul_lo_u32 v11, v11, s4
	v_mul_lo_u32 v13, v13, s6
	s_delay_alu instid0(VALU_DEP_1) | instskip(NEXT) | instid1(VALU_DEP_1)
	v_sub_nc_u32_e32 v11, v11, v13
	v_cmp_lt_u32_e32 vcc_lo, s3, v11
	s_wait_alu 0xfffd
	v_cndmask_b32_e64 v11, 0, 1, vcc_lo
.LBB884_29:
	s_or_b32 exec_lo, exec_lo, s0
	v_add_nc_u32_e32 v13, 11, v45
	s_mov_b32 s0, exec_lo
	s_delay_alu instid0(VALU_DEP_1)
	v_cmpx_gt_u32_e64 s23, v13
	s_cbranch_execz .LBB884_31
; %bb.30:
	v_add_nc_u32_e32 v12, s5, v19
	v_add_nc_u32_e32 v13, s7, v19
	s_delay_alu instid0(VALU_DEP_2) | instskip(NEXT) | instid1(VALU_DEP_2)
	v_mul_lo_u32 v12, v12, s4
	v_mul_lo_u32 v13, v13, s6
	s_delay_alu instid0(VALU_DEP_1) | instskip(NEXT) | instid1(VALU_DEP_1)
	v_sub_nc_u32_e32 v12, v12, v13
	v_cmp_lt_u32_e32 vcc_lo, s3, v12
	s_wait_alu 0xfffd
	v_cndmask_b32_e64 v12, 0, 1, vcc_lo
.LBB884_31:
	s_or_b32 exec_lo, exec_lo, s0
	v_dual_mov_b32 v46, 0 :: v_dual_add_nc_u32 v13, 12, v45
	s_mov_b32 s0, exec_lo
	s_delay_alu instid0(VALU_DEP_1)
	v_cmpx_gt_u32_e64 s23, v13
	s_cbranch_execz .LBB884_33
; %bb.32:
	v_add_nc_u32_e32 v13, s5, v44
	v_add_nc_u32_e32 v14, s7, v44
	s_delay_alu instid0(VALU_DEP_2) | instskip(NEXT) | instid1(VALU_DEP_2)
	v_mul_lo_u32 v13, v13, s4
	v_mul_lo_u32 v14, v14, s6
	s_delay_alu instid0(VALU_DEP_1) | instskip(NEXT) | instid1(VALU_DEP_1)
	v_sub_nc_u32_e32 v13, v13, v14
	v_cmp_lt_u32_e32 vcc_lo, s3, v13
	s_wait_alu 0xfffd
	v_cndmask_b32_e64 v46, 0, 1, vcc_lo
.LBB884_33:
	s_or_b32 exec_lo, exec_lo, s0
	v_lshlrev_b16 v2, 8, v2
	v_lshlrev_b16 v4, 8, v4
	;; [unrolled: 1-line block ×5, first 2 shown]
	v_or_b32_e32 v1, v1, v2
	v_lshlrev_b16 v2, 8, v12
	v_or_b32_e32 v3, v3, v4
	v_or_b32_e32 v4, v5, v6
	v_or_b32_e32 v5, v7, v8
	v_or_b32_e32 v6, v9, v10
	v_or_b32_e32 v2, v11, v2
	v_and_b32_e32 v1, 0xffff, v1
	v_lshlrev_b32_e32 v3, 16, v3
	v_and_b32_e32 v4, 0xffff, v4
	v_lshlrev_b32_e32 v5, 16, v5
	;; [unrolled: 2-line block ×3, first 2 shown]
	v_or_b32_e32 v51, v1, v3
	s_delay_alu instid0(VALU_DEP_4) | instskip(NEXT) | instid1(VALU_DEP_3)
	v_or_b32_e32 v49, v4, v5
	v_or_b32_e32 v47, v6, v2
.LBB884_34:
	s_delay_alu instid0(VALU_DEP_3)
	v_and_b32_e32 v53, 0xff, v51
	v_bfe_u32 v54, v51, 8, 8
	v_bfe_u32 v55, v51, 16, 8
	v_lshrrev_b32_e32 v52, 24, v51
	v_and_b32_e32 v56, 0xff, v49
	v_bfe_u32 v57, v49, 8, 8
	v_bfe_u32 v58, v49, 16, 8
	v_add3_u32 v1, v54, v53, v55
	v_lshrrev_b32_e32 v50, 24, v49
	v_and_b32_e32 v59, 0xff, v47
	v_bfe_u32 v60, v47, 8, 8
	v_mbcnt_lo_u32_b32 v62, -1, 0
	v_add3_u32 v1, v1, v52, v56
	v_bfe_u32 v61, v47, 16, 8
	v_lshrrev_b32_e32 v48, 24, v47
	v_and_b32_e32 v2, 0xff, v46
	v_and_b32_e32 v3, 15, v62
	v_add3_u32 v1, v1, v57, v58
	v_or_b32_e32 v4, 31, v0
	v_and_b32_e32 v5, 16, v62
	v_lshrrev_b32_e32 v63, 5, v0
	v_cmp_eq_u32_e64 s5, 0, v3
	v_add3_u32 v1, v1, v50, v59
	v_cmp_lt_u32_e64 s4, 1, v3
	v_cmp_lt_u32_e64 s3, 3, v3
	v_cmp_lt_u32_e64 s2, 7, v3
	v_cmp_eq_u32_e64 s1, 0, v5
	v_add3_u32 v1, v1, v60, v61
	v_cmp_eq_u32_e64 s0, v0, v4
	s_cmp_lg_u32 ttmp9, 0
	s_mov_b32 s6, -1
	v_add3_u32 v64, v1, v48, v2
	s_cbranch_scc0 .LBB884_55
; %bb.35:
	s_delay_alu instid0(VALU_DEP_1) | instskip(SKIP_1) | instid1(VALU_DEP_1)
	v_mov_b32_dpp v1, v64 row_shr:1 row_mask:0xf bank_mask:0xf
	s_wait_alu 0xf1ff
	v_cndmask_b32_e64 v1, v1, 0, s5
	s_delay_alu instid0(VALU_DEP_1) | instskip(NEXT) | instid1(VALU_DEP_1)
	v_add_nc_u32_e32 v1, v1, v64
	v_mov_b32_dpp v2, v1 row_shr:2 row_mask:0xf bank_mask:0xf
	s_delay_alu instid0(VALU_DEP_1) | instskip(NEXT) | instid1(VALU_DEP_1)
	v_cndmask_b32_e64 v2, 0, v2, s4
	v_add_nc_u32_e32 v1, v1, v2
	s_delay_alu instid0(VALU_DEP_1) | instskip(NEXT) | instid1(VALU_DEP_1)
	v_mov_b32_dpp v2, v1 row_shr:4 row_mask:0xf bank_mask:0xf
	v_cndmask_b32_e64 v2, 0, v2, s3
	s_delay_alu instid0(VALU_DEP_1) | instskip(NEXT) | instid1(VALU_DEP_1)
	v_add_nc_u32_e32 v1, v1, v2
	v_mov_b32_dpp v2, v1 row_shr:8 row_mask:0xf bank_mask:0xf
	s_delay_alu instid0(VALU_DEP_1) | instskip(NEXT) | instid1(VALU_DEP_1)
	v_cndmask_b32_e64 v2, 0, v2, s2
	v_add_nc_u32_e32 v1, v1, v2
	ds_swizzle_b32 v2, v1 offset:swizzle(BROADCAST,32,15)
	s_wait_dscnt 0x0
	v_cndmask_b32_e64 v2, v2, 0, s1
	s_delay_alu instid0(VALU_DEP_1)
	v_add_nc_u32_e32 v1, v1, v2
	s_and_saveexec_b32 s6, s0
; %bb.36:
	v_lshlrev_b32_e32 v2, 2, v63
	ds_store_b32 v2, v1
; %bb.37:
	s_wait_alu 0xfffe
	s_or_b32 exec_lo, exec_lo, s6
	s_delay_alu instid0(SALU_CYCLE_1)
	s_mov_b32 s6, exec_lo
	s_wait_loadcnt_dscnt 0x0
	s_barrier_signal -1
	s_barrier_wait -1
	global_inv scope:SCOPE_SE
	v_cmpx_gt_u32_e32 8, v0
	s_cbranch_execz .LBB884_39
; %bb.38:
	ds_load_b32 v2, v42
	s_wait_dscnt 0x0
	v_mov_b32_dpp v4, v2 row_shr:1 row_mask:0xf bank_mask:0xf
	v_and_b32_e32 v3, 7, v62
	s_delay_alu instid0(VALU_DEP_1) | instskip(SKIP_1) | instid1(VALU_DEP_3)
	v_cmp_ne_u32_e32 vcc_lo, 0, v3
	s_wait_alu 0xfffd
	v_cndmask_b32_e32 v4, 0, v4, vcc_lo
	v_cmp_lt_u32_e32 vcc_lo, 1, v3
	s_delay_alu instid0(VALU_DEP_2) | instskip(NEXT) | instid1(VALU_DEP_1)
	v_add_nc_u32_e32 v2, v4, v2
	v_mov_b32_dpp v4, v2 row_shr:2 row_mask:0xf bank_mask:0xf
	s_wait_alu 0xfffd
	s_delay_alu instid0(VALU_DEP_1) | instskip(SKIP_1) | instid1(VALU_DEP_2)
	v_cndmask_b32_e32 v4, 0, v4, vcc_lo
	v_cmp_lt_u32_e32 vcc_lo, 3, v3
	v_add_nc_u32_e32 v2, v2, v4
	s_delay_alu instid0(VALU_DEP_1) | instskip(SKIP_1) | instid1(VALU_DEP_1)
	v_mov_b32_dpp v4, v2 row_shr:4 row_mask:0xf bank_mask:0xf
	s_wait_alu 0xfffd
	v_cndmask_b32_e32 v3, 0, v4, vcc_lo
	s_delay_alu instid0(VALU_DEP_1)
	v_add_nc_u32_e32 v2, v2, v3
	ds_store_b32 v42, v2
.LBB884_39:
	s_wait_alu 0xfffe
	s_or_b32 exec_lo, exec_lo, s6
	s_delay_alu instid0(SALU_CYCLE_1)
	s_mov_b32 s7, exec_lo
	v_cmp_gt_u32_e32 vcc_lo, 32, v0
	s_wait_loadcnt_dscnt 0x0
	s_barrier_signal -1
	s_barrier_wait -1
	global_inv scope:SCOPE_SE
                                        ; implicit-def: $vgpr9
	v_cmpx_lt_u32_e32 31, v0
	s_cbranch_execz .LBB884_41
; %bb.40:
	v_lshl_add_u32 v2, v63, 2, -4
	ds_load_b32 v9, v2
	s_wait_dscnt 0x0
	v_add_nc_u32_e32 v1, v9, v1
.LBB884_41:
	s_wait_alu 0xfffe
	s_or_b32 exec_lo, exec_lo, s7
	v_sub_co_u32 v2, s6, v62, 1
	s_delay_alu instid0(VALU_DEP_1) | instskip(SKIP_1) | instid1(VALU_DEP_1)
	v_cmp_gt_i32_e64 s7, 0, v2
	s_wait_alu 0xf1ff
	v_cndmask_b32_e64 v2, v2, v62, s7
	s_delay_alu instid0(VALU_DEP_1)
	v_lshlrev_b32_e32 v2, 2, v2
	ds_bpermute_b32 v10, v2, v1
	s_and_saveexec_b32 s7, vcc_lo
	s_cbranch_execz .LBB884_60
; %bb.42:
	v_mov_b32_e32 v5, 0
	ds_load_b32 v1, v5 offset:28
	s_and_saveexec_b32 s17, s6
	s_cbranch_execz .LBB884_44
; %bb.43:
	s_add_co_i32 s24, ttmp9, 32
	s_mov_b32 s25, 0
	v_mov_b32_e32 v2, 1
	s_lshl_b64 s[24:25], s[24:25], 3
	s_wait_kmcnt 0x0
	s_add_nc_u64 s[24:25], s[20:21], s[24:25]
	s_wait_dscnt 0x0
	global_store_b64 v5, v[1:2], s[24:25] scope:SCOPE_DEV
.LBB884_44:
	s_or_b32 exec_lo, exec_lo, s17
	v_xad_u32 v3, v62, -1, ttmp9
	s_mov_b32 s24, 0
	s_mov_b32 s17, exec_lo
	s_delay_alu instid0(VALU_DEP_1) | instskip(NEXT) | instid1(VALU_DEP_1)
	v_add_nc_u32_e32 v4, 32, v3
	v_lshlrev_b64_e32 v[4:5], 3, v[4:5]
	s_wait_kmcnt 0x0
	s_delay_alu instid0(VALU_DEP_1) | instskip(SKIP_1) | instid1(VALU_DEP_2)
	v_add_co_u32 v7, vcc_lo, s20, v4
	s_wait_alu 0xfffd
	v_add_co_ci_u32_e64 v8, null, s21, v5, vcc_lo
	global_load_b64 v[5:6], v[7:8], off scope:SCOPE_DEV
	s_wait_loadcnt 0x0
	v_and_b32_e32 v2, 0xff, v6
	s_delay_alu instid0(VALU_DEP_1)
	v_cmpx_eq_u16_e32 0, v2
	s_cbranch_execz .LBB884_47
.LBB884_45:                             ; =>This Inner Loop Header: Depth=1
	global_load_b64 v[5:6], v[7:8], off scope:SCOPE_DEV
	s_wait_loadcnt 0x0
	v_and_b32_e32 v2, 0xff, v6
	s_delay_alu instid0(VALU_DEP_1) | instskip(SKIP_1) | instid1(SALU_CYCLE_1)
	v_cmp_ne_u16_e32 vcc_lo, 0, v2
	s_or_b32 s24, vcc_lo, s24
	s_and_not1_b32 exec_lo, exec_lo, s24
	s_cbranch_execnz .LBB884_45
; %bb.46:
	s_or_b32 exec_lo, exec_lo, s24
.LBB884_47:
	s_delay_alu instid0(SALU_CYCLE_1)
	s_or_b32 exec_lo, exec_lo, s17
	v_cmp_ne_u32_e32 vcc_lo, 31, v62
	v_lshlrev_b32_e64 v12, v62, -1
	v_add_nc_u32_e32 v14, 2, v62
	v_add_nc_u32_e32 v16, 4, v62
	;; [unrolled: 1-line block ×3, first 2 shown]
	s_wait_alu 0xfffd
	v_add_co_ci_u32_e64 v2, null, 0, v62, vcc_lo
	v_lshl_or_b32 v66, v62, 2, 64
	v_add_nc_u32_e32 v67, 16, v62
	s_delay_alu instid0(VALU_DEP_3)
	v_lshlrev_b32_e32 v11, 2, v2
	v_and_b32_e32 v2, 0xff, v6
	ds_bpermute_b32 v4, v11, v5
	v_cmp_eq_u16_e32 vcc_lo, 2, v2
	s_wait_alu 0xfffd
	v_and_or_b32 v2, vcc_lo, v12, 0x80000000
	v_cmp_gt_u32_e32 vcc_lo, 30, v62
	s_delay_alu instid0(VALU_DEP_2) | instskip(SKIP_2) | instid1(VALU_DEP_2)
	v_ctz_i32_b32_e32 v2, v2
	s_wait_alu 0xfffd
	v_cndmask_b32_e64 v7, 0, 2, vcc_lo
	v_cmp_lt_u32_e32 vcc_lo, v62, v2
	s_delay_alu instid0(VALU_DEP_2) | instskip(SKIP_4) | instid1(VALU_DEP_2)
	v_add_lshl_u32 v13, v7, v62, 2
	s_wait_dscnt 0x0
	s_wait_alu 0xfffd
	v_cndmask_b32_e32 v4, 0, v4, vcc_lo
	v_cmp_gt_u32_e32 vcc_lo, 28, v62
	v_add_nc_u32_e32 v4, v4, v5
	s_wait_alu 0xfffd
	v_cndmask_b32_e64 v7, 0, 4, vcc_lo
	v_cmp_le_u32_e32 vcc_lo, v14, v2
	ds_bpermute_b32 v5, v13, v4
	v_add_lshl_u32 v15, v7, v62, 2
	s_wait_dscnt 0x0
	s_wait_alu 0xfffd
	v_cndmask_b32_e32 v5, 0, v5, vcc_lo
	v_cmp_gt_u32_e32 vcc_lo, 24, v62
	s_delay_alu instid0(VALU_DEP_2)
	v_add_nc_u32_e32 v4, v4, v5
	s_wait_alu 0xfffd
	v_cndmask_b32_e64 v7, 0, 8, vcc_lo
	v_cmp_le_u32_e32 vcc_lo, v16, v2
	ds_bpermute_b32 v5, v15, v4
	v_add_lshl_u32 v17, v7, v62, 2
	s_wait_dscnt 0x0
	s_wait_alu 0xfffd
	v_cndmask_b32_e32 v5, 0, v5, vcc_lo
	v_cmp_le_u32_e32 vcc_lo, v65, v2
	s_delay_alu instid0(VALU_DEP_2)
	v_add_nc_u32_e32 v4, v4, v5
	ds_bpermute_b32 v5, v17, v4
	s_wait_dscnt 0x0
	s_wait_alu 0xfffd
	v_cndmask_b32_e32 v5, 0, v5, vcc_lo
	v_cmp_le_u32_e32 vcc_lo, v67, v2
	s_delay_alu instid0(VALU_DEP_2) | instskip(SKIP_4) | instid1(VALU_DEP_1)
	v_add_nc_u32_e32 v4, v4, v5
	ds_bpermute_b32 v5, v66, v4
	s_wait_dscnt 0x0
	s_wait_alu 0xfffd
	v_cndmask_b32_e32 v2, 0, v5, vcc_lo
	v_dual_mov_b32 v4, 0 :: v_dual_add_nc_u32 v5, v4, v2
	s_branch .LBB884_51
.LBB884_48:                             ;   in Loop: Header=BB884_51 Depth=1
	s_or_b32 exec_lo, exec_lo, s24
.LBB884_49:                             ;   in Loop: Header=BB884_51 Depth=1
	s_delay_alu instid0(SALU_CYCLE_1) | instskip(SKIP_4) | instid1(VALU_DEP_2)
	s_or_b32 exec_lo, exec_lo, s17
	ds_bpermute_b32 v8, v11, v5
	v_and_b32_e32 v7, 0xff, v6
	v_subrev_nc_u32_e32 v3, 32, v3
	s_mov_b32 s17, 0
	v_cmp_eq_u16_e32 vcc_lo, 2, v7
	s_wait_alu 0xfffd
	v_and_or_b32 v7, vcc_lo, v12, 0x80000000
	s_delay_alu instid0(VALU_DEP_1) | instskip(NEXT) | instid1(VALU_DEP_1)
	v_ctz_i32_b32_e32 v7, v7
	v_cmp_lt_u32_e32 vcc_lo, v62, v7
	s_wait_dscnt 0x0
	s_wait_alu 0xfffd
	v_cndmask_b32_e32 v8, 0, v8, vcc_lo
	v_cmp_le_u32_e32 vcc_lo, v14, v7
	s_delay_alu instid0(VALU_DEP_2)
	v_add_nc_u32_e32 v5, v8, v5
	ds_bpermute_b32 v8, v13, v5
	s_wait_dscnt 0x0
	s_wait_alu 0xfffd
	v_cndmask_b32_e32 v8, 0, v8, vcc_lo
	v_cmp_le_u32_e32 vcc_lo, v16, v7
	s_delay_alu instid0(VALU_DEP_2)
	v_add_nc_u32_e32 v5, v5, v8
	ds_bpermute_b32 v8, v15, v5
	;; [unrolled: 7-line block ×3, first 2 shown]
	s_wait_dscnt 0x0
	s_wait_alu 0xfffd
	v_cndmask_b32_e32 v8, 0, v8, vcc_lo
	v_cmp_le_u32_e32 vcc_lo, v67, v7
	s_delay_alu instid0(VALU_DEP_2) | instskip(SKIP_4) | instid1(VALU_DEP_1)
	v_add_nc_u32_e32 v5, v5, v8
	ds_bpermute_b32 v8, v66, v5
	s_wait_dscnt 0x0
	s_wait_alu 0xfffd
	v_cndmask_b32_e32 v7, 0, v8, vcc_lo
	v_add3_u32 v5, v7, v2, v5
.LBB884_50:                             ;   in Loop: Header=BB884_51 Depth=1
	s_and_b32 vcc_lo, exec_lo, s17
	s_wait_alu 0xfffe
	s_cbranch_vccnz .LBB884_56
.LBB884_51:                             ; =>This Loop Header: Depth=1
                                        ;     Child Loop BB884_54 Depth 2
	v_and_b32_e32 v2, 0xff, v6
	s_mov_b32 s17, -1
                                        ; implicit-def: $vgpr6
	s_delay_alu instid0(VALU_DEP_1)
	v_cmp_ne_u16_e32 vcc_lo, 2, v2
	v_mov_b32_e32 v2, v5
                                        ; implicit-def: $vgpr5
	s_cmp_lg_u32 vcc_lo, exec_lo
	s_cbranch_scc1 .LBB884_50
; %bb.52:                               ;   in Loop: Header=BB884_51 Depth=1
	v_lshlrev_b64_e32 v[5:6], 3, v[3:4]
	s_mov_b32 s17, exec_lo
	s_delay_alu instid0(VALU_DEP_1) | instskip(SKIP_1) | instid1(VALU_DEP_2)
	v_add_co_u32 v7, vcc_lo, s20, v5
	s_wait_alu 0xfffd
	v_add_co_ci_u32_e64 v8, null, s21, v6, vcc_lo
	global_load_b64 v[5:6], v[7:8], off scope:SCOPE_DEV
	s_wait_loadcnt 0x0
	v_and_b32_e32 v68, 0xff, v6
	s_delay_alu instid0(VALU_DEP_1)
	v_cmpx_eq_u16_e32 0, v68
	s_cbranch_execz .LBB884_49
; %bb.53:                               ;   in Loop: Header=BB884_51 Depth=1
	s_mov_b32 s24, 0
.LBB884_54:                             ;   Parent Loop BB884_51 Depth=1
                                        ; =>  This Inner Loop Header: Depth=2
	global_load_b64 v[5:6], v[7:8], off scope:SCOPE_DEV
	s_wait_loadcnt 0x0
	v_and_b32_e32 v68, 0xff, v6
	s_delay_alu instid0(VALU_DEP_1) | instskip(SKIP_1) | instid1(SALU_CYCLE_1)
	v_cmp_ne_u16_e32 vcc_lo, 0, v68
	s_or_b32 s24, vcc_lo, s24
	s_and_not1_b32 exec_lo, exec_lo, s24
	s_cbranch_execnz .LBB884_54
	s_branch .LBB884_48
.LBB884_55:
                                        ; implicit-def: $vgpr17
                                        ; implicit-def: $vgpr1_vgpr2_vgpr3_vgpr4_vgpr5_vgpr6_vgpr7_vgpr8_vgpr9_vgpr10_vgpr11_vgpr12_vgpr13_vgpr14_vgpr15_vgpr16
	s_wait_alu 0xfffe
	s_and_b32 vcc_lo, exec_lo, s6
	s_wait_alu 0xfffe
	s_cbranch_vccnz .LBB884_61
	s_branch .LBB884_70
.LBB884_56:
	s_and_saveexec_b32 s17, s6
	s_cbranch_execz .LBB884_58
; %bb.57:
	s_add_co_i32 s24, ttmp9, 32
	s_mov_b32 s25, 0
	v_dual_mov_b32 v4, 2 :: v_dual_add_nc_u32 v3, v2, v1
	v_mov_b32_e32 v5, 0
	s_lshl_b64 s[24:25], s[24:25], 3
	s_delay_alu instid0(SALU_CYCLE_1)
	s_add_nc_u64 s[24:25], s[20:21], s[24:25]
	global_store_b64 v5, v[3:4], s[24:25] scope:SCOPE_DEV
	ds_store_b64 v5, v[1:2] offset:13312
.LBB884_58:
	s_or_b32 exec_lo, exec_lo, s17
	v_cmp_eq_u32_e32 vcc_lo, 0, v0
	s_and_b32 exec_lo, exec_lo, vcc_lo
; %bb.59:
	v_mov_b32_e32 v1, 0
	ds_store_b32 v1, v2 offset:28
.LBB884_60:
	s_wait_alu 0xfffe
	s_or_b32 exec_lo, exec_lo, s7
	s_wait_dscnt 0x0
	v_cndmask_b32_e64 v2, v10, v9, s6
	v_cmp_ne_u32_e32 vcc_lo, 0, v0
	v_mov_b32_e32 v11, 0
	s_wait_loadcnt 0x0
	s_wait_storecnt 0x0
	s_barrier_signal -1
	s_barrier_wait -1
	global_inv scope:SCOPE_SE
	s_wait_alu 0xfffd
	v_cndmask_b32_e32 v2, 0, v2, vcc_lo
	ds_load_b32 v1, v11 offset:28
	s_wait_loadcnt_dscnt 0x0
	s_barrier_signal -1
	s_barrier_wait -1
	global_inv scope:SCOPE_SE
	ds_load_b64 v[16:17], v11 offset:13312
	v_add_nc_u32_e32 v1, v1, v2
	s_delay_alu instid0(VALU_DEP_1) | instskip(NEXT) | instid1(VALU_DEP_1)
	v_add_nc_u32_e32 v2, v1, v53
	v_add_nc_u32_e32 v3, v2, v54
	s_delay_alu instid0(VALU_DEP_1) | instskip(NEXT) | instid1(VALU_DEP_1)
	v_add_nc_u32_e32 v4, v3, v55
	;; [unrolled: 3-line block ×6, first 2 shown]
	v_add_nc_u32_e32 v13, v12, v48
	s_branch .LBB884_70
.LBB884_61:
	v_mov_b32_dpp v1, v64 row_shr:1 row_mask:0xf bank_mask:0xf
	s_delay_alu instid0(VALU_DEP_1) | instskip(NEXT) | instid1(VALU_DEP_1)
	v_cndmask_b32_e64 v1, v1, 0, s5
	v_add_nc_u32_e32 v1, v1, v64
	s_delay_alu instid0(VALU_DEP_1) | instskip(NEXT) | instid1(VALU_DEP_1)
	v_mov_b32_dpp v2, v1 row_shr:2 row_mask:0xf bank_mask:0xf
	v_cndmask_b32_e64 v2, 0, v2, s4
	s_delay_alu instid0(VALU_DEP_1) | instskip(NEXT) | instid1(VALU_DEP_1)
	v_add_nc_u32_e32 v1, v1, v2
	v_mov_b32_dpp v2, v1 row_shr:4 row_mask:0xf bank_mask:0xf
	s_delay_alu instid0(VALU_DEP_1) | instskip(NEXT) | instid1(VALU_DEP_1)
	v_cndmask_b32_e64 v2, 0, v2, s3
	v_add_nc_u32_e32 v1, v1, v2
	s_delay_alu instid0(VALU_DEP_1) | instskip(NEXT) | instid1(VALU_DEP_1)
	v_mov_b32_dpp v2, v1 row_shr:8 row_mask:0xf bank_mask:0xf
	v_cndmask_b32_e64 v2, 0, v2, s2
	s_delay_alu instid0(VALU_DEP_1) | instskip(SKIP_3) | instid1(VALU_DEP_1)
	v_add_nc_u32_e32 v1, v1, v2
	ds_swizzle_b32 v2, v1 offset:swizzle(BROADCAST,32,15)
	s_wait_dscnt 0x0
	v_cndmask_b32_e64 v2, v2, 0, s1
	v_add_nc_u32_e32 v1, v1, v2
	s_and_saveexec_b32 s1, s0
; %bb.62:
	v_lshlrev_b32_e32 v2, 2, v63
	ds_store_b32 v2, v1
; %bb.63:
	s_wait_alu 0xfffe
	s_or_b32 exec_lo, exec_lo, s1
	s_delay_alu instid0(SALU_CYCLE_1)
	s_mov_b32 s0, exec_lo
	s_wait_loadcnt_dscnt 0x0
	s_barrier_signal -1
	s_barrier_wait -1
	global_inv scope:SCOPE_SE
	v_cmpx_gt_u32_e32 8, v0
	s_cbranch_execz .LBB884_65
; %bb.64:
	ds_load_b32 v2, v42
	s_wait_dscnt 0x0
	v_mov_b32_dpp v4, v2 row_shr:1 row_mask:0xf bank_mask:0xf
	v_and_b32_e32 v3, 7, v62
	s_delay_alu instid0(VALU_DEP_1) | instskip(SKIP_1) | instid1(VALU_DEP_3)
	v_cmp_ne_u32_e32 vcc_lo, 0, v3
	s_wait_alu 0xfffd
	v_cndmask_b32_e32 v4, 0, v4, vcc_lo
	v_cmp_lt_u32_e32 vcc_lo, 1, v3
	s_delay_alu instid0(VALU_DEP_2) | instskip(NEXT) | instid1(VALU_DEP_1)
	v_add_nc_u32_e32 v2, v4, v2
	v_mov_b32_dpp v4, v2 row_shr:2 row_mask:0xf bank_mask:0xf
	s_wait_alu 0xfffd
	s_delay_alu instid0(VALU_DEP_1) | instskip(SKIP_1) | instid1(VALU_DEP_2)
	v_cndmask_b32_e32 v4, 0, v4, vcc_lo
	v_cmp_lt_u32_e32 vcc_lo, 3, v3
	v_add_nc_u32_e32 v2, v2, v4
	s_delay_alu instid0(VALU_DEP_1) | instskip(SKIP_1) | instid1(VALU_DEP_1)
	v_mov_b32_dpp v4, v2 row_shr:4 row_mask:0xf bank_mask:0xf
	s_wait_alu 0xfffd
	v_cndmask_b32_e32 v3, 0, v4, vcc_lo
	s_delay_alu instid0(VALU_DEP_1)
	v_add_nc_u32_e32 v2, v2, v3
	ds_store_b32 v42, v2
.LBB884_65:
	s_wait_alu 0xfffe
	s_or_b32 exec_lo, exec_lo, s0
	v_dual_mov_b32 v3, 0 :: v_dual_mov_b32 v2, 0
	s_mov_b32 s0, exec_lo
	s_wait_loadcnt_dscnt 0x0
	s_barrier_signal -1
	s_barrier_wait -1
	global_inv scope:SCOPE_SE
	v_cmpx_lt_u32_e32 31, v0
; %bb.66:
	v_lshl_add_u32 v2, v63, 2, -4
	ds_load_b32 v2, v2
; %bb.67:
	s_wait_alu 0xfffe
	s_or_b32 exec_lo, exec_lo, s0
	v_sub_co_u32 v4, vcc_lo, v62, 1
	s_wait_dscnt 0x0
	v_add_nc_u32_e32 v1, v2, v1
	ds_load_b32 v16, v3 offset:28
	v_cmp_gt_i32_e64 s0, 0, v4
	s_wait_alu 0xf1ff
	s_delay_alu instid0(VALU_DEP_1) | instskip(SKIP_1) | instid1(VALU_DEP_2)
	v_cndmask_b32_e64 v4, v4, v62, s0
	v_cmp_eq_u32_e64 s0, 0, v0
	v_lshlrev_b32_e32 v4, 2, v4
	ds_bpermute_b32 v1, v4, v1
	s_and_saveexec_b32 s1, s0
	s_cbranch_execz .LBB884_69
; %bb.68:
	v_mov_b32_e32 v3, 0
	v_mov_b32_e32 v17, 2
	s_wait_dscnt 0x1
	s_wait_kmcnt 0x0
	global_store_b64 v3, v[16:17], s[20:21] offset:256 scope:SCOPE_DEV
.LBB884_69:
	s_wait_alu 0xfffe
	s_or_b32 exec_lo, exec_lo, s1
	s_wait_dscnt 0x0
	s_wait_alu 0xfffd
	v_cndmask_b32_e32 v1, v1, v2, vcc_lo
	s_wait_loadcnt 0x0
	s_wait_storecnt 0x0
	s_barrier_signal -1
	s_barrier_wait -1
	global_inv scope:SCOPE_SE
	v_cndmask_b32_e64 v1, v1, 0, s0
	s_delay_alu instid0(VALU_DEP_1) | instskip(NEXT) | instid1(VALU_DEP_1)
	v_dual_mov_b32 v17, 0 :: v_dual_add_nc_u32 v2, v1, v53
	v_add_nc_u32_e32 v3, v2, v54
	s_delay_alu instid0(VALU_DEP_1) | instskip(NEXT) | instid1(VALU_DEP_1)
	v_add_nc_u32_e32 v4, v3, v55
	v_add_nc_u32_e32 v5, v4, v52
	s_delay_alu instid0(VALU_DEP_1) | instskip(NEXT) | instid1(VALU_DEP_1)
	v_add_nc_u32_e32 v6, v5, v56
	;; [unrolled: 3-line block ×5, first 2 shown]
	v_add_nc_u32_e32 v13, v12, v48
.LBB884_70:
	v_lshrrev_b32_e32 v56, 8, v51
	v_lshrrev_b32_e32 v55, 16, v51
	s_wait_dscnt 0x0
	v_sub_nc_u32_e32 v1, v1, v17
	v_and_b32_e32 v51, 1, v51
	v_sub_nc_u32_e32 v3, v3, v17
	v_add_nc_u32_e32 v45, v16, v45
	v_sub_nc_u32_e32 v2, v2, v17
	v_sub_nc_u32_e32 v4, v4, v17
	v_cmp_eq_u32_e32 vcc_lo, 1, v51
	v_and_b32_e32 v51, 1, v55
	v_sub_nc_u32_e32 v57, v45, v1
	v_and_b32_e32 v56, 1, v56
	v_sub_nc_u32_e32 v55, v45, v2
	v_lshrrev_b32_e32 v54, 8, v49
	v_lshrrev_b32_e32 v53, 16, v49
	s_wait_alu 0xfffd
	v_cndmask_b32_e32 v1, v57, v1, vcc_lo
	v_sub_nc_u32_e32 v57, v45, v3
	v_add_nc_u32_e32 v55, 1, v55
	v_cmp_eq_u32_e32 vcc_lo, 1, v56
	v_and_b32_e32 v52, 1, v52
	v_lshlrev_b32_e32 v1, 2, v1
	v_add_nc_u32_e32 v57, 2, v57
	v_lshrrev_b32_e32 v15, 8, v47
	v_lshrrev_b32_e32 v14, 16, v47
	ds_store_b32 v1, v28
	s_wait_alu 0xfffd
	v_cndmask_b32_e32 v1, v55, v2, vcc_lo
	v_cmp_eq_u32_e32 vcc_lo, 1, v51
	s_wait_alu 0xfffd
	s_delay_alu instid0(VALU_DEP_2)
	v_dual_cndmask_b32 v2, v57, v3 :: v_dual_lshlrev_b32 v1, 2, v1
	v_sub_nc_u32_e32 v58, v45, v4
	v_cmp_eq_u32_e32 vcc_lo, 1, v52
	ds_store_b32 v1, v29
	v_lshlrev_b32_e32 v2, 2, v2
	v_add_nc_u32_e32 v58, 3, v58
	s_wait_alu 0xfffd
	s_delay_alu instid0(VALU_DEP_1) | instskip(SKIP_2) | instid1(VALU_DEP_3)
	v_cndmask_b32_e32 v3, v58, v4, vcc_lo
	v_sub_nc_u32_e32 v4, v5, v17
	v_sub_nc_u32_e32 v5, v6, v17
	v_lshlrev_b32_e32 v3, 2, v3
	s_delay_alu instid0(VALU_DEP_3) | instskip(NEXT) | instid1(VALU_DEP_3)
	v_sub_nc_u32_e32 v1, v45, v4
	v_sub_nc_u32_e32 v6, v45, v5
	ds_store_b32 v2, v26
	ds_store_b32 v3, v27
	v_and_b32_e32 v2, 1, v49
	v_add_nc_u32_e32 v1, 4, v1
	v_add_nc_u32_e32 v3, 5, v6
	v_sub_nc_u32_e32 v6, v7, v17
	v_and_b32_e32 v7, 1, v54
	v_cmp_eq_u32_e32 vcc_lo, 1, v2
	v_sub_nc_u32_e32 v2, v8, v17
	s_wait_alu 0xfffd
	v_dual_cndmask_b32 v1, v1, v4 :: v_dual_and_b32 v8, 1, v50
	v_sub_nc_u32_e32 v4, v45, v6
	v_cmp_eq_u32_e32 vcc_lo, 1, v7
	v_and_b32_e32 v7, 1, v53
	s_delay_alu instid0(VALU_DEP_4)
	v_lshlrev_b32_e32 v1, 2, v1
	s_wait_alu 0xfffd
	v_dual_cndmask_b32 v3, v3, v5 :: v_dual_add_nc_u32 v4, 6, v4
	v_sub_nc_u32_e32 v5, v45, v2
	v_cmp_eq_u32_e32 vcc_lo, 1, v7
	v_sub_nc_u32_e32 v7, v13, v17
	s_delay_alu instid0(VALU_DEP_4)
	v_lshlrev_b32_e32 v3, 2, v3
	s_wait_alu 0xfffd
	v_dual_cndmask_b32 v4, v4, v6 :: v_dual_add_nc_u32 v5, 7, v5
	v_cmp_eq_u32_e32 vcc_lo, 1, v8
	v_sub_nc_u32_e32 v6, v9, v17
	ds_store_b32 v1, v24
	ds_store_b32 v3, v25
	s_wait_alu 0xfffd
	v_dual_cndmask_b32 v2, v5, v2 :: v_dual_lshlrev_b32 v3, 2, v4
	v_and_b32_e32 v5, 1, v47
	v_sub_nc_u32_e32 v1, v45, v6
	v_sub_nc_u32_e32 v4, v10, v17
	v_and_b32_e32 v10, 1, v48
	s_delay_alu instid0(VALU_DEP_4) | instskip(SKIP_2) | instid1(VALU_DEP_2)
	v_cmp_eq_u32_e32 vcc_lo, 1, v5
	v_sub_nc_u32_e32 v5, v12, v17
	v_add_nc_u32_e32 v1, 8, v1
	v_sub_nc_u32_e32 v9, v45, v5
	s_wait_alu 0xfffd
	s_delay_alu instid0(VALU_DEP_2)
	v_dual_cndmask_b32 v1, v1, v6 :: v_dual_and_b32 v6, 1, v15
	s_wait_kmcnt 0x0
	v_add_co_u32 v15, s0, s18, v17
	v_add_nc_u32_e32 v9, 11, v9
	v_lshlrev_b32_e32 v2, 2, v2
	ds_store_b32 v3, v22
	ds_store_b32 v2, v23
	v_sub_nc_u32_e32 v3, v11, v17
	v_sub_nc_u32_e32 v2, v45, v4
	v_cmp_eq_u32_e32 vcc_lo, 1, v6
	v_and_b32_e32 v11, 1, v46
	v_lshlrev_b32_e32 v1, 2, v1
	v_sub_nc_u32_e32 v8, v45, v3
	v_add_nc_u32_e32 v2, 9, v2
	s_wait_alu 0xf1ff
	v_add_co_ci_u32_e64 v17, null, s19, 0, s0
	s_delay_alu instid0(VALU_DEP_3) | instskip(SKIP_4) | instid1(VALU_DEP_3)
	v_add_nc_u32_e32 v6, 10, v8
	v_and_b32_e32 v8, 1, v14
	s_wait_alu 0xfffd
	v_cndmask_b32_e32 v2, v2, v4, vcc_lo
	v_sub_nc_u32_e32 v4, v45, v7
	v_cmp_eq_u32_e32 vcc_lo, 1, v8
	s_delay_alu instid0(VALU_DEP_3) | instskip(SKIP_1) | instid1(VALU_DEP_3)
	v_lshlrev_b32_e32 v2, 2, v2
	s_wait_alu 0xfffd
	v_dual_cndmask_b32 v3, v6, v3 :: v_dual_add_nc_u32 v4, 12, v4
	v_cmp_eq_u32_e32 vcc_lo, 1, v10
	s_delay_alu instid0(VALU_DEP_2) | instskip(SKIP_4) | instid1(VALU_DEP_2)
	v_lshlrev_b32_e32 v3, 2, v3
	s_wait_alu 0xfffd
	v_cndmask_b32_e32 v5, v9, v5, vcc_lo
	v_cmp_eq_u32_e32 vcc_lo, 1, v11
	s_wait_alu 0xfffd
	v_dual_cndmask_b32 v4, v4, v7 :: v_dual_lshlrev_b32 v5, 2, v5
	v_cmp_ne_u32_e32 vcc_lo, 1, v43
	s_delay_alu instid0(VALU_DEP_2)
	v_lshlrev_b32_e32 v4, 2, v4
	ds_store_b32 v1, v20
	ds_store_b32 v2, v21
	;; [unrolled: 1-line block ×5, first 2 shown]
	s_wait_loadcnt_dscnt 0x0
	s_barrier_signal -1
	s_barrier_wait -1
	global_inv scope:SCOPE_SE
	ds_load_2addr_stride64_b32 v[11:12], v42 offset1:4
	ds_load_2addr_stride64_b32 v[9:10], v42 offset0:8 offset1:12
	ds_load_2addr_stride64_b32 v[7:8], v42 offset0:16 offset1:20
	;; [unrolled: 1-line block ×5, first 2 shown]
	ds_load_b32 v18, v42 offset:12288
	s_cbranch_vccnz .LBB884_124
; %bb.71:
	s_mov_b32 s17, 0
	v_sub_co_u32 v13, vcc_lo, v15, s12
	s_sub_nc_u64 s[0:1], s[14:15], s[16:17]
	s_wait_alu 0xfffd
	v_subrev_co_ci_u32_e64 v14, null, s13, v17, vcc_lo
	s_wait_alu 0xfffe
	v_add_co_u32 v19, s0, s0, v16
	s_wait_alu 0xf1ff
	v_add_co_ci_u32_e64 v20, null, s1, 0, s0
	s_mov_b32 s0, exec_lo
	v_add_co_u32 v19, vcc_lo, v19, v13
	s_wait_alu 0xfffd
	v_add_co_ci_u32_e64 v20, null, v20, v14, vcc_lo
                                        ; implicit-def: $vgpr13_vgpr14
	v_cmpx_ge_u32_e64 v0, v16
	s_wait_alu 0xfffe
	s_xor_b32 s0, exec_lo, s0
; %bb.72:
	v_not_b32_e32 v13, v0
	s_delay_alu instid0(VALU_DEP_1) | instskip(SKIP_2) | instid1(VALU_DEP_2)
	v_ashrrev_i32_e32 v14, 31, v13
	v_add_co_u32 v13, vcc_lo, v19, v13
	s_wait_alu 0xfffd
	v_add_co_ci_u32_e64 v14, null, v20, v14, vcc_lo
; %bb.73:
	s_wait_alu 0xfffe
	s_and_not1_saveexec_b32 s0, s0
; %bb.74:
	v_add_co_u32 v13, vcc_lo, v15, v0
	s_wait_alu 0xfffd
	v_add_co_ci_u32_e64 v14, null, 0, v17, vcc_lo
; %bb.75:
	s_wait_alu 0xfffe
	s_or_b32 exec_lo, exec_lo, s0
	s_delay_alu instid0(VALU_DEP_1) | instskip(SKIP_1) | instid1(VALU_DEP_1)
	v_lshlrev_b64_e32 v[13:14], 2, v[13:14]
	s_mov_b32 s0, exec_lo
	v_add_co_u32 v13, vcc_lo, s10, v13
	s_wait_alu 0xfffd
	s_delay_alu instid0(VALU_DEP_2)
	v_add_co_ci_u32_e64 v14, null, s11, v14, vcc_lo
	s_wait_dscnt 0x6
	global_store_b32 v[13:14], v11, off
                                        ; implicit-def: $vgpr13_vgpr14
	v_cmpx_ge_u32_e64 v41, v16
	s_wait_alu 0xfffe
	s_xor_b32 s0, exec_lo, s0
; %bb.76:
	v_xor_b32_e32 v13, 0xfffffeff, v0
	s_delay_alu instid0(VALU_DEP_1) | instskip(SKIP_2) | instid1(VALU_DEP_2)
	v_ashrrev_i32_e32 v14, 31, v13
	v_add_co_u32 v13, vcc_lo, v19, v13
	s_wait_alu 0xfffd
	v_add_co_ci_u32_e64 v14, null, v20, v14, vcc_lo
; %bb.77:
	s_wait_alu 0xfffe
	s_and_not1_saveexec_b32 s0, s0
; %bb.78:
	v_add_co_u32 v13, vcc_lo, v15, v41
	s_wait_alu 0xfffd
	v_add_co_ci_u32_e64 v14, null, 0, v17, vcc_lo
; %bb.79:
	s_wait_alu 0xfffe
	s_or_b32 exec_lo, exec_lo, s0
	s_delay_alu instid0(VALU_DEP_1) | instskip(SKIP_1) | instid1(VALU_DEP_1)
	v_lshlrev_b64_e32 v[13:14], 2, v[13:14]
	s_mov_b32 s0, exec_lo
	v_add_co_u32 v13, vcc_lo, s10, v13
	s_wait_alu 0xfffd
	s_delay_alu instid0(VALU_DEP_2)
	v_add_co_ci_u32_e64 v14, null, s11, v14, vcc_lo
	global_store_b32 v[13:14], v12, off
                                        ; implicit-def: $vgpr13_vgpr14
	v_cmpx_ge_u32_e64 v40, v16
	s_wait_alu 0xfffe
	s_xor_b32 s0, exec_lo, s0
; %bb.80:
	v_xor_b32_e32 v13, 0xfffffdff, v0
	s_delay_alu instid0(VALU_DEP_1) | instskip(SKIP_2) | instid1(VALU_DEP_2)
	v_ashrrev_i32_e32 v14, 31, v13
	v_add_co_u32 v13, vcc_lo, v19, v13
	s_wait_alu 0xfffd
	v_add_co_ci_u32_e64 v14, null, v20, v14, vcc_lo
; %bb.81:
	s_wait_alu 0xfffe
	s_and_not1_saveexec_b32 s0, s0
; %bb.82:
	v_add_co_u32 v13, vcc_lo, v15, v40
	s_wait_alu 0xfffd
	v_add_co_ci_u32_e64 v14, null, 0, v17, vcc_lo
; %bb.83:
	s_wait_alu 0xfffe
	s_or_b32 exec_lo, exec_lo, s0
	s_delay_alu instid0(VALU_DEP_1) | instskip(SKIP_1) | instid1(VALU_DEP_1)
	v_lshlrev_b64_e32 v[13:14], 2, v[13:14]
	s_mov_b32 s0, exec_lo
	v_add_co_u32 v13, vcc_lo, s10, v13
	s_wait_alu 0xfffd
	s_delay_alu instid0(VALU_DEP_2)
	v_add_co_ci_u32_e64 v14, null, s11, v14, vcc_lo
	s_wait_dscnt 0x5
	global_store_b32 v[13:14], v9, off
                                        ; implicit-def: $vgpr13_vgpr14
	v_cmpx_ge_u32_e64 v39, v16
	s_wait_alu 0xfffe
	s_xor_b32 s0, exec_lo, s0
; %bb.84:
	v_xor_b32_e32 v13, 0xfffffcff, v0
	s_delay_alu instid0(VALU_DEP_1) | instskip(SKIP_2) | instid1(VALU_DEP_2)
	v_ashrrev_i32_e32 v14, 31, v13
	v_add_co_u32 v13, vcc_lo, v19, v13
	s_wait_alu 0xfffd
	v_add_co_ci_u32_e64 v14, null, v20, v14, vcc_lo
; %bb.85:
	s_wait_alu 0xfffe
	s_and_not1_saveexec_b32 s0, s0
; %bb.86:
	v_add_co_u32 v13, vcc_lo, v15, v39
	s_wait_alu 0xfffd
	v_add_co_ci_u32_e64 v14, null, 0, v17, vcc_lo
; %bb.87:
	s_wait_alu 0xfffe
	s_or_b32 exec_lo, exec_lo, s0
	s_delay_alu instid0(VALU_DEP_1) | instskip(SKIP_1) | instid1(VALU_DEP_1)
	v_lshlrev_b64_e32 v[13:14], 2, v[13:14]
	s_mov_b32 s0, exec_lo
	v_add_co_u32 v13, vcc_lo, s10, v13
	s_wait_alu 0xfffd
	s_delay_alu instid0(VALU_DEP_2)
	v_add_co_ci_u32_e64 v14, null, s11, v14, vcc_lo
	global_store_b32 v[13:14], v10, off
                                        ; implicit-def: $vgpr13_vgpr14
	v_cmpx_ge_u32_e64 v38, v16
	s_wait_alu 0xfffe
	s_xor_b32 s0, exec_lo, s0
; %bb.88:
	v_xor_b32_e32 v13, 0xfffffbff, v0
	;; [unrolled: 59-line block ×6, first 2 shown]
	s_delay_alu instid0(VALU_DEP_1) | instskip(SKIP_2) | instid1(VALU_DEP_2)
	v_ashrrev_i32_e32 v14, 31, v13
	v_add_co_u32 v13, vcc_lo, v19, v13
	s_wait_alu 0xfffd
	v_add_co_ci_u32_e64 v14, null, v20, v14, vcc_lo
; %bb.121:
	s_wait_alu 0xfffe
	s_and_not1_saveexec_b32 s0, s0
; %bb.122:
	v_add_co_u32 v13, vcc_lo, v15, v30
	s_wait_alu 0xfffd
	v_add_co_ci_u32_e64 v14, null, 0, v17, vcc_lo
; %bb.123:
	s_wait_alu 0xfffe
	s_or_b32 exec_lo, exec_lo, s0
	s_mov_b32 s0, -1
	s_branch .LBB884_204
.LBB884_124:
	s_mov_b32 s0, 0
                                        ; implicit-def: $vgpr13_vgpr14
	s_cbranch_execz .LBB884_204
; %bb.125:
	s_mov_b32 s17, 0
	s_delay_alu instid0(SALU_CYCLE_1)
	s_add_nc_u64 s[2:3], s[12:13], s[16:17]
	s_wait_alu 0xfffe
	s_sub_nc_u64 s[2:3], s[14:15], s[2:3]
	s_wait_alu 0xfffe
	v_add_co_u32 v13, s1, s2, v16
	s_wait_alu 0xf1ff
	v_add_co_ci_u32_e64 v14, null, s3, 0, s1
	s_mov_b32 s1, exec_lo
	v_add_co_u32 v19, vcc_lo, v13, v15
	s_wait_alu 0xfffd
	v_add_co_ci_u32_e64 v20, null, v14, v17, vcc_lo
	v_cmpx_gt_u32_e64 s23, v0
	s_cbranch_execz .LBB884_161
; %bb.126:
	s_mov_b32 s2, exec_lo
                                        ; implicit-def: $vgpr13_vgpr14
	v_cmpx_ge_u32_e64 v0, v16
	s_wait_alu 0xfffe
	s_xor_b32 s2, exec_lo, s2
; %bb.127:
	v_not_b32_e32 v13, v0
	s_delay_alu instid0(VALU_DEP_1) | instskip(SKIP_2) | instid1(VALU_DEP_2)
	v_ashrrev_i32_e32 v14, 31, v13
	v_add_co_u32 v13, vcc_lo, v19, v13
	s_wait_alu 0xfffd
	v_add_co_ci_u32_e64 v14, null, v20, v14, vcc_lo
; %bb.128:
	s_wait_alu 0xfffe
	s_and_not1_saveexec_b32 s2, s2
; %bb.129:
	v_add_co_u32 v13, vcc_lo, v15, v0
	s_wait_alu 0xfffd
	v_add_co_ci_u32_e64 v14, null, 0, v17, vcc_lo
; %bb.130:
	s_wait_alu 0xfffe
	s_or_b32 exec_lo, exec_lo, s2
	s_delay_alu instid0(VALU_DEP_1) | instskip(NEXT) | instid1(VALU_DEP_1)
	v_lshlrev_b64_e32 v[13:14], 2, v[13:14]
	v_add_co_u32 v13, vcc_lo, s10, v13
	s_wait_alu 0xfffd
	s_delay_alu instid0(VALU_DEP_2) | instskip(SKIP_3) | instid1(SALU_CYCLE_1)
	v_add_co_ci_u32_e64 v14, null, s11, v14, vcc_lo
	s_wait_dscnt 0x6
	global_store_b32 v[13:14], v11, off
	s_or_b32 exec_lo, exec_lo, s1
	s_mov_b32 s1, exec_lo
	v_cmpx_gt_u32_e64 s23, v41
	s_cbranch_execnz .LBB884_162
.LBB884_131:
	s_wait_alu 0xfffe
	s_or_b32 exec_lo, exec_lo, s1
	s_delay_alu instid0(SALU_CYCLE_1)
	s_mov_b32 s1, exec_lo
	v_cmpx_gt_u32_e64 s23, v40
	s_cbranch_execz .LBB884_167
.LBB884_132:
	s_mov_b32 s2, exec_lo
                                        ; implicit-def: $vgpr11_vgpr12
	v_cmpx_ge_u32_e64 v40, v16
	s_wait_alu 0xfffe
	s_xor_b32 s2, exec_lo, s2
	s_cbranch_execz .LBB884_134
; %bb.133:
	s_wait_dscnt 0x6
	v_xor_b32_e32 v11, 0xfffffdff, v0
                                        ; implicit-def: $vgpr40
	s_delay_alu instid0(VALU_DEP_1) | instskip(SKIP_2) | instid1(VALU_DEP_2)
	v_ashrrev_i32_e32 v12, 31, v11
	v_add_co_u32 v11, vcc_lo, v19, v11
	s_wait_alu 0xfffd
	v_add_co_ci_u32_e64 v12, null, v20, v12, vcc_lo
.LBB884_134:
	s_wait_alu 0xfffe
	s_and_not1_saveexec_b32 s2, s2
	s_cbranch_execz .LBB884_136
; %bb.135:
	s_wait_dscnt 0x6
	v_add_co_u32 v11, vcc_lo, v15, v40
	s_wait_alu 0xfffd
	v_add_co_ci_u32_e64 v12, null, 0, v17, vcc_lo
.LBB884_136:
	s_wait_alu 0xfffe
	s_or_b32 exec_lo, exec_lo, s2
	s_wait_dscnt 0x6
	s_delay_alu instid0(VALU_DEP_1) | instskip(NEXT) | instid1(VALU_DEP_1)
	v_lshlrev_b64_e32 v[11:12], 2, v[11:12]
	v_add_co_u32 v11, vcc_lo, s10, v11
	s_wait_alu 0xfffd
	s_delay_alu instid0(VALU_DEP_2) | instskip(SKIP_3) | instid1(SALU_CYCLE_1)
	v_add_co_ci_u32_e64 v12, null, s11, v12, vcc_lo
	s_wait_dscnt 0x5
	global_store_b32 v[11:12], v9, off
	s_or_b32 exec_lo, exec_lo, s1
	s_mov_b32 s1, exec_lo
	v_cmpx_gt_u32_e64 s23, v39
	s_cbranch_execnz .LBB884_168
.LBB884_137:
	s_wait_alu 0xfffe
	s_or_b32 exec_lo, exec_lo, s1
	s_delay_alu instid0(SALU_CYCLE_1)
	s_mov_b32 s1, exec_lo
	v_cmpx_gt_u32_e64 s23, v38
	s_cbranch_execz .LBB884_173
.LBB884_138:
	s_mov_b32 s2, exec_lo
                                        ; implicit-def: $vgpr9_vgpr10
	v_cmpx_ge_u32_e64 v38, v16
	s_wait_alu 0xfffe
	s_xor_b32 s2, exec_lo, s2
	s_cbranch_execz .LBB884_140
; %bb.139:
	s_wait_dscnt 0x5
	v_xor_b32_e32 v9, 0xfffffbff, v0
                                        ; implicit-def: $vgpr38
	s_delay_alu instid0(VALU_DEP_1) | instskip(SKIP_2) | instid1(VALU_DEP_2)
	v_ashrrev_i32_e32 v10, 31, v9
	v_add_co_u32 v9, vcc_lo, v19, v9
	s_wait_alu 0xfffd
	v_add_co_ci_u32_e64 v10, null, v20, v10, vcc_lo
.LBB884_140:
	s_wait_alu 0xfffe
	s_and_not1_saveexec_b32 s2, s2
	s_cbranch_execz .LBB884_142
; %bb.141:
	s_wait_dscnt 0x5
	v_add_co_u32 v9, vcc_lo, v15, v38
	s_wait_alu 0xfffd
	v_add_co_ci_u32_e64 v10, null, 0, v17, vcc_lo
.LBB884_142:
	s_wait_alu 0xfffe
	s_or_b32 exec_lo, exec_lo, s2
	s_wait_dscnt 0x5
	s_delay_alu instid0(VALU_DEP_1) | instskip(NEXT) | instid1(VALU_DEP_1)
	v_lshlrev_b64_e32 v[9:10], 2, v[9:10]
	v_add_co_u32 v9, vcc_lo, s10, v9
	s_wait_alu 0xfffd
	s_delay_alu instid0(VALU_DEP_2) | instskip(SKIP_3) | instid1(SALU_CYCLE_1)
	v_add_co_ci_u32_e64 v10, null, s11, v10, vcc_lo
	s_wait_dscnt 0x4
	global_store_b32 v[9:10], v7, off
	s_or_b32 exec_lo, exec_lo, s1
	s_mov_b32 s1, exec_lo
	v_cmpx_gt_u32_e64 s23, v37
	s_cbranch_execnz .LBB884_174
.LBB884_143:
	s_wait_alu 0xfffe
	s_or_b32 exec_lo, exec_lo, s1
	s_delay_alu instid0(SALU_CYCLE_1)
	s_mov_b32 s1, exec_lo
	v_cmpx_gt_u32_e64 s23, v36
	s_cbranch_execz .LBB884_179
.LBB884_144:
	s_mov_b32 s2, exec_lo
                                        ; implicit-def: $vgpr7_vgpr8
	v_cmpx_ge_u32_e64 v36, v16
	s_wait_alu 0xfffe
	s_xor_b32 s2, exec_lo, s2
	s_cbranch_execz .LBB884_146
; %bb.145:
	s_wait_dscnt 0x4
	v_xor_b32_e32 v7, 0xfffff9ff, v0
                                        ; implicit-def: $vgpr36
	s_delay_alu instid0(VALU_DEP_1) | instskip(SKIP_2) | instid1(VALU_DEP_2)
	v_ashrrev_i32_e32 v8, 31, v7
	v_add_co_u32 v7, vcc_lo, v19, v7
	s_wait_alu 0xfffd
	v_add_co_ci_u32_e64 v8, null, v20, v8, vcc_lo
.LBB884_146:
	s_wait_alu 0xfffe
	s_and_not1_saveexec_b32 s2, s2
	s_cbranch_execz .LBB884_148
; %bb.147:
	s_wait_dscnt 0x4
	v_add_co_u32 v7, vcc_lo, v15, v36
	s_wait_alu 0xfffd
	v_add_co_ci_u32_e64 v8, null, 0, v17, vcc_lo
.LBB884_148:
	s_wait_alu 0xfffe
	s_or_b32 exec_lo, exec_lo, s2
	s_wait_dscnt 0x4
	s_delay_alu instid0(VALU_DEP_1) | instskip(NEXT) | instid1(VALU_DEP_1)
	v_lshlrev_b64_e32 v[7:8], 2, v[7:8]
	v_add_co_u32 v7, vcc_lo, s10, v7
	s_wait_alu 0xfffd
	s_delay_alu instid0(VALU_DEP_2) | instskip(SKIP_3) | instid1(SALU_CYCLE_1)
	v_add_co_ci_u32_e64 v8, null, s11, v8, vcc_lo
	s_wait_dscnt 0x3
	global_store_b32 v[7:8], v5, off
	s_or_b32 exec_lo, exec_lo, s1
	s_mov_b32 s1, exec_lo
	v_cmpx_gt_u32_e64 s23, v35
	s_cbranch_execnz .LBB884_180
.LBB884_149:
	s_wait_alu 0xfffe
	s_or_b32 exec_lo, exec_lo, s1
	s_delay_alu instid0(SALU_CYCLE_1)
	s_mov_b32 s1, exec_lo
	v_cmpx_gt_u32_e64 s23, v34
	s_cbranch_execz .LBB884_185
.LBB884_150:
	s_mov_b32 s2, exec_lo
                                        ; implicit-def: $vgpr5_vgpr6
	v_cmpx_ge_u32_e64 v34, v16
	s_wait_alu 0xfffe
	s_xor_b32 s2, exec_lo, s2
	s_cbranch_execz .LBB884_152
; %bb.151:
	s_wait_dscnt 0x3
	v_xor_b32_e32 v5, 0xfffff7ff, v0
                                        ; implicit-def: $vgpr34
	s_delay_alu instid0(VALU_DEP_1) | instskip(SKIP_2) | instid1(VALU_DEP_2)
	v_ashrrev_i32_e32 v6, 31, v5
	v_add_co_u32 v5, vcc_lo, v19, v5
	s_wait_alu 0xfffd
	v_add_co_ci_u32_e64 v6, null, v20, v6, vcc_lo
.LBB884_152:
	s_wait_alu 0xfffe
	s_and_not1_saveexec_b32 s2, s2
	s_cbranch_execz .LBB884_154
; %bb.153:
	s_wait_dscnt 0x3
	v_add_co_u32 v5, vcc_lo, v15, v34
	s_wait_alu 0xfffd
	v_add_co_ci_u32_e64 v6, null, 0, v17, vcc_lo
.LBB884_154:
	s_wait_alu 0xfffe
	s_or_b32 exec_lo, exec_lo, s2
	s_wait_dscnt 0x3
	s_delay_alu instid0(VALU_DEP_1) | instskip(NEXT) | instid1(VALU_DEP_1)
	v_lshlrev_b64_e32 v[5:6], 2, v[5:6]
	v_add_co_u32 v5, vcc_lo, s10, v5
	s_wait_alu 0xfffd
	s_delay_alu instid0(VALU_DEP_2) | instskip(SKIP_3) | instid1(SALU_CYCLE_1)
	v_add_co_ci_u32_e64 v6, null, s11, v6, vcc_lo
	s_wait_dscnt 0x2
	global_store_b32 v[5:6], v3, off
	s_or_b32 exec_lo, exec_lo, s1
	s_mov_b32 s1, exec_lo
	v_cmpx_gt_u32_e64 s23, v33
	s_cbranch_execnz .LBB884_186
.LBB884_155:
	s_wait_alu 0xfffe
	s_or_b32 exec_lo, exec_lo, s1
	s_delay_alu instid0(SALU_CYCLE_1)
	s_mov_b32 s1, exec_lo
	v_cmpx_gt_u32_e64 s23, v32
	s_cbranch_execz .LBB884_191
.LBB884_156:
	s_mov_b32 s2, exec_lo
                                        ; implicit-def: $vgpr3_vgpr4
	v_cmpx_ge_u32_e64 v32, v16
	s_wait_alu 0xfffe
	s_xor_b32 s2, exec_lo, s2
	s_cbranch_execz .LBB884_158
; %bb.157:
	s_wait_dscnt 0x2
	v_xor_b32_e32 v3, 0xfffff5ff, v0
                                        ; implicit-def: $vgpr32
	s_delay_alu instid0(VALU_DEP_1) | instskip(SKIP_2) | instid1(VALU_DEP_2)
	v_ashrrev_i32_e32 v4, 31, v3
	v_add_co_u32 v3, vcc_lo, v19, v3
	s_wait_alu 0xfffd
	v_add_co_ci_u32_e64 v4, null, v20, v4, vcc_lo
.LBB884_158:
	s_wait_alu 0xfffe
	s_and_not1_saveexec_b32 s2, s2
	s_cbranch_execz .LBB884_160
; %bb.159:
	s_wait_dscnt 0x2
	v_add_co_u32 v3, vcc_lo, v15, v32
	s_wait_alu 0xfffd
	v_add_co_ci_u32_e64 v4, null, 0, v17, vcc_lo
.LBB884_160:
	s_wait_alu 0xfffe
	s_or_b32 exec_lo, exec_lo, s2
	s_wait_dscnt 0x2
	s_delay_alu instid0(VALU_DEP_1) | instskip(NEXT) | instid1(VALU_DEP_1)
	v_lshlrev_b64_e32 v[3:4], 2, v[3:4]
	v_add_co_u32 v3, vcc_lo, s10, v3
	s_wait_alu 0xfffd
	s_delay_alu instid0(VALU_DEP_2) | instskip(SKIP_3) | instid1(SALU_CYCLE_1)
	v_add_co_ci_u32_e64 v4, null, s11, v4, vcc_lo
	s_wait_dscnt 0x1
	global_store_b32 v[3:4], v1, off
	s_or_b32 exec_lo, exec_lo, s1
	s_mov_b32 s1, exec_lo
	v_cmpx_gt_u32_e64 s23, v31
	s_cbranch_execz .LBB884_197
	s_branch .LBB884_192
.LBB884_161:
	s_wait_alu 0xfffe
	s_or_b32 exec_lo, exec_lo, s1
	s_delay_alu instid0(SALU_CYCLE_1)
	s_mov_b32 s1, exec_lo
	v_cmpx_gt_u32_e64 s23, v41
	s_cbranch_execz .LBB884_131
.LBB884_162:
	s_mov_b32 s2, exec_lo
                                        ; implicit-def: $vgpr13_vgpr14
	v_cmpx_ge_u32_e64 v41, v16
	s_wait_alu 0xfffe
	s_xor_b32 s2, exec_lo, s2
	s_cbranch_execz .LBB884_164
; %bb.163:
	s_wait_dscnt 0x6
	v_xor_b32_e32 v11, 0xfffffeff, v0
                                        ; implicit-def: $vgpr41
	s_delay_alu instid0(VALU_DEP_1) | instskip(SKIP_2) | instid1(VALU_DEP_2)
	v_ashrrev_i32_e32 v14, 31, v11
	v_add_co_u32 v13, vcc_lo, v19, v11
	s_wait_alu 0xfffd
	v_add_co_ci_u32_e64 v14, null, v20, v14, vcc_lo
.LBB884_164:
	s_wait_alu 0xfffe
	s_and_not1_saveexec_b32 s2, s2
; %bb.165:
	v_add_co_u32 v13, vcc_lo, v15, v41
	s_wait_alu 0xfffd
	v_add_co_ci_u32_e64 v14, null, 0, v17, vcc_lo
; %bb.166:
	s_wait_alu 0xfffe
	s_or_b32 exec_lo, exec_lo, s2
	s_delay_alu instid0(VALU_DEP_1) | instskip(NEXT) | instid1(VALU_DEP_1)
	v_lshlrev_b64_e32 v[13:14], 2, v[13:14]
	v_add_co_u32 v13, vcc_lo, s10, v13
	s_wait_alu 0xfffd
	s_delay_alu instid0(VALU_DEP_2) | instskip(SKIP_3) | instid1(SALU_CYCLE_1)
	v_add_co_ci_u32_e64 v14, null, s11, v14, vcc_lo
	s_wait_dscnt 0x6
	global_store_b32 v[13:14], v12, off
	s_or_b32 exec_lo, exec_lo, s1
	s_mov_b32 s1, exec_lo
	v_cmpx_gt_u32_e64 s23, v40
	s_cbranch_execnz .LBB884_132
.LBB884_167:
	s_wait_alu 0xfffe
	s_or_b32 exec_lo, exec_lo, s1
	s_delay_alu instid0(SALU_CYCLE_1)
	s_mov_b32 s1, exec_lo
	v_cmpx_gt_u32_e64 s23, v39
	s_cbranch_execz .LBB884_137
.LBB884_168:
	s_mov_b32 s2, exec_lo
                                        ; implicit-def: $vgpr11_vgpr12
	v_cmpx_ge_u32_e64 v39, v16
	s_wait_alu 0xfffe
	s_xor_b32 s2, exec_lo, s2
	s_cbranch_execz .LBB884_170
; %bb.169:
	s_wait_dscnt 0x5
	v_xor_b32_e32 v9, 0xfffffcff, v0
                                        ; implicit-def: $vgpr39
	s_delay_alu instid0(VALU_DEP_1) | instskip(SKIP_2) | instid1(VALU_DEP_2)
	v_ashrrev_i32_e32 v12, 31, v9
	v_add_co_u32 v11, vcc_lo, v19, v9
	s_wait_alu 0xfffd
	v_add_co_ci_u32_e64 v12, null, v20, v12, vcc_lo
.LBB884_170:
	s_wait_alu 0xfffe
	s_and_not1_saveexec_b32 s2, s2
	s_cbranch_execz .LBB884_172
; %bb.171:
	s_wait_dscnt 0x6
	v_add_co_u32 v11, vcc_lo, v15, v39
	s_wait_alu 0xfffd
	v_add_co_ci_u32_e64 v12, null, 0, v17, vcc_lo
.LBB884_172:
	s_wait_alu 0xfffe
	s_or_b32 exec_lo, exec_lo, s2
	s_wait_dscnt 0x6
	s_delay_alu instid0(VALU_DEP_1) | instskip(NEXT) | instid1(VALU_DEP_1)
	v_lshlrev_b64_e32 v[11:12], 2, v[11:12]
	v_add_co_u32 v11, vcc_lo, s10, v11
	s_wait_alu 0xfffd
	s_delay_alu instid0(VALU_DEP_2) | instskip(SKIP_3) | instid1(SALU_CYCLE_1)
	v_add_co_ci_u32_e64 v12, null, s11, v12, vcc_lo
	s_wait_dscnt 0x5
	global_store_b32 v[11:12], v10, off
	s_or_b32 exec_lo, exec_lo, s1
	s_mov_b32 s1, exec_lo
	v_cmpx_gt_u32_e64 s23, v38
	s_cbranch_execnz .LBB884_138
.LBB884_173:
	s_wait_alu 0xfffe
	s_or_b32 exec_lo, exec_lo, s1
	s_delay_alu instid0(SALU_CYCLE_1)
	s_mov_b32 s1, exec_lo
	v_cmpx_gt_u32_e64 s23, v37
	s_cbranch_execz .LBB884_143
.LBB884_174:
	s_mov_b32 s2, exec_lo
                                        ; implicit-def: $vgpr9_vgpr10
	v_cmpx_ge_u32_e64 v37, v16
	s_wait_alu 0xfffe
	s_xor_b32 s2, exec_lo, s2
	s_cbranch_execz .LBB884_176
; %bb.175:
	s_wait_dscnt 0x4
	v_xor_b32_e32 v7, 0xfffffaff, v0
                                        ; implicit-def: $vgpr37
	s_delay_alu instid0(VALU_DEP_1) | instskip(SKIP_2) | instid1(VALU_DEP_2)
	v_ashrrev_i32_e32 v10, 31, v7
	v_add_co_u32 v9, vcc_lo, v19, v7
	s_wait_alu 0xfffd
	v_add_co_ci_u32_e64 v10, null, v20, v10, vcc_lo
.LBB884_176:
	s_wait_alu 0xfffe
	s_and_not1_saveexec_b32 s2, s2
	s_cbranch_execz .LBB884_178
; %bb.177:
	s_wait_dscnt 0x5
	v_add_co_u32 v9, vcc_lo, v15, v37
	s_wait_alu 0xfffd
	v_add_co_ci_u32_e64 v10, null, 0, v17, vcc_lo
.LBB884_178:
	s_wait_alu 0xfffe
	s_or_b32 exec_lo, exec_lo, s2
	s_wait_dscnt 0x5
	s_delay_alu instid0(VALU_DEP_1) | instskip(NEXT) | instid1(VALU_DEP_1)
	v_lshlrev_b64_e32 v[9:10], 2, v[9:10]
	v_add_co_u32 v9, vcc_lo, s10, v9
	s_wait_alu 0xfffd
	s_delay_alu instid0(VALU_DEP_2) | instskip(SKIP_3) | instid1(SALU_CYCLE_1)
	v_add_co_ci_u32_e64 v10, null, s11, v10, vcc_lo
	s_wait_dscnt 0x4
	global_store_b32 v[9:10], v8, off
	s_or_b32 exec_lo, exec_lo, s1
	s_mov_b32 s1, exec_lo
	v_cmpx_gt_u32_e64 s23, v36
	s_cbranch_execnz .LBB884_144
.LBB884_179:
	s_wait_alu 0xfffe
	s_or_b32 exec_lo, exec_lo, s1
	s_delay_alu instid0(SALU_CYCLE_1)
	s_mov_b32 s1, exec_lo
	v_cmpx_gt_u32_e64 s23, v35
	s_cbranch_execz .LBB884_149
.LBB884_180:
	s_mov_b32 s2, exec_lo
                                        ; implicit-def: $vgpr7_vgpr8
	v_cmpx_ge_u32_e64 v35, v16
	s_wait_alu 0xfffe
	s_xor_b32 s2, exec_lo, s2
	s_cbranch_execz .LBB884_182
; %bb.181:
	s_wait_dscnt 0x3
	v_xor_b32_e32 v5, 0xfffff8ff, v0
                                        ; implicit-def: $vgpr35
	s_delay_alu instid0(VALU_DEP_1) | instskip(SKIP_2) | instid1(VALU_DEP_2)
	v_ashrrev_i32_e32 v8, 31, v5
	v_add_co_u32 v7, vcc_lo, v19, v5
	s_wait_alu 0xfffd
	v_add_co_ci_u32_e64 v8, null, v20, v8, vcc_lo
.LBB884_182:
	s_wait_alu 0xfffe
	s_and_not1_saveexec_b32 s2, s2
	s_cbranch_execz .LBB884_184
; %bb.183:
	s_wait_dscnt 0x4
	v_add_co_u32 v7, vcc_lo, v15, v35
	s_wait_alu 0xfffd
	v_add_co_ci_u32_e64 v8, null, 0, v17, vcc_lo
.LBB884_184:
	s_wait_alu 0xfffe
	s_or_b32 exec_lo, exec_lo, s2
	s_wait_dscnt 0x4
	s_delay_alu instid0(VALU_DEP_1) | instskip(NEXT) | instid1(VALU_DEP_1)
	v_lshlrev_b64_e32 v[7:8], 2, v[7:8]
	v_add_co_u32 v7, vcc_lo, s10, v7
	s_wait_alu 0xfffd
	s_delay_alu instid0(VALU_DEP_2) | instskip(SKIP_3) | instid1(SALU_CYCLE_1)
	v_add_co_ci_u32_e64 v8, null, s11, v8, vcc_lo
	s_wait_dscnt 0x3
	global_store_b32 v[7:8], v6, off
	s_or_b32 exec_lo, exec_lo, s1
	s_mov_b32 s1, exec_lo
	v_cmpx_gt_u32_e64 s23, v34
	s_cbranch_execnz .LBB884_150
.LBB884_185:
	s_wait_alu 0xfffe
	s_or_b32 exec_lo, exec_lo, s1
	s_delay_alu instid0(SALU_CYCLE_1)
	s_mov_b32 s1, exec_lo
	v_cmpx_gt_u32_e64 s23, v33
	s_cbranch_execz .LBB884_155
.LBB884_186:
	s_mov_b32 s2, exec_lo
                                        ; implicit-def: $vgpr5_vgpr6
	v_cmpx_ge_u32_e64 v33, v16
	s_wait_alu 0xfffe
	s_xor_b32 s2, exec_lo, s2
	s_cbranch_execz .LBB884_188
; %bb.187:
	s_wait_dscnt 0x2
	v_xor_b32_e32 v3, 0xfffff6ff, v0
                                        ; implicit-def: $vgpr33
	s_delay_alu instid0(VALU_DEP_1) | instskip(SKIP_2) | instid1(VALU_DEP_2)
	v_ashrrev_i32_e32 v6, 31, v3
	v_add_co_u32 v5, vcc_lo, v19, v3
	s_wait_alu 0xfffd
	v_add_co_ci_u32_e64 v6, null, v20, v6, vcc_lo
.LBB884_188:
	s_wait_alu 0xfffe
	s_and_not1_saveexec_b32 s2, s2
	s_cbranch_execz .LBB884_190
; %bb.189:
	s_wait_dscnt 0x3
	v_add_co_u32 v5, vcc_lo, v15, v33
	s_wait_alu 0xfffd
	v_add_co_ci_u32_e64 v6, null, 0, v17, vcc_lo
.LBB884_190:
	s_wait_alu 0xfffe
	s_or_b32 exec_lo, exec_lo, s2
	s_wait_dscnt 0x3
	s_delay_alu instid0(VALU_DEP_1) | instskip(NEXT) | instid1(VALU_DEP_1)
	v_lshlrev_b64_e32 v[5:6], 2, v[5:6]
	v_add_co_u32 v5, vcc_lo, s10, v5
	s_wait_alu 0xfffd
	s_delay_alu instid0(VALU_DEP_2) | instskip(SKIP_3) | instid1(SALU_CYCLE_1)
	v_add_co_ci_u32_e64 v6, null, s11, v6, vcc_lo
	s_wait_dscnt 0x2
	global_store_b32 v[5:6], v4, off
	s_or_b32 exec_lo, exec_lo, s1
	s_mov_b32 s1, exec_lo
	v_cmpx_gt_u32_e64 s23, v32
	s_cbranch_execnz .LBB884_156
.LBB884_191:
	s_wait_alu 0xfffe
	s_or_b32 exec_lo, exec_lo, s1
	s_delay_alu instid0(SALU_CYCLE_1)
	s_mov_b32 s1, exec_lo
	v_cmpx_gt_u32_e64 s23, v31
	s_cbranch_execz .LBB884_197
.LBB884_192:
	s_mov_b32 s2, exec_lo
                                        ; implicit-def: $vgpr3_vgpr4
	v_cmpx_ge_u32_e64 v31, v16
	s_wait_alu 0xfffe
	s_xor_b32 s2, exec_lo, s2
	s_cbranch_execz .LBB884_194
; %bb.193:
	s_wait_dscnt 0x1
	v_xor_b32_e32 v1, 0xfffff4ff, v0
                                        ; implicit-def: $vgpr31
	s_delay_alu instid0(VALU_DEP_1) | instskip(SKIP_2) | instid1(VALU_DEP_2)
	v_ashrrev_i32_e32 v4, 31, v1
	v_add_co_u32 v3, vcc_lo, v19, v1
	s_wait_alu 0xfffd
	v_add_co_ci_u32_e64 v4, null, v20, v4, vcc_lo
.LBB884_194:
	s_wait_alu 0xfffe
	s_and_not1_saveexec_b32 s2, s2
	s_cbranch_execz .LBB884_196
; %bb.195:
	s_wait_dscnt 0x2
	v_add_co_u32 v3, vcc_lo, v15, v31
	s_wait_alu 0xfffd
	v_add_co_ci_u32_e64 v4, null, 0, v17, vcc_lo
.LBB884_196:
	s_wait_alu 0xfffe
	s_or_b32 exec_lo, exec_lo, s2
	s_wait_dscnt 0x2
	s_delay_alu instid0(VALU_DEP_1) | instskip(NEXT) | instid1(VALU_DEP_1)
	v_lshlrev_b64_e32 v[3:4], 2, v[3:4]
	v_add_co_u32 v3, vcc_lo, s10, v3
	s_wait_alu 0xfffd
	s_delay_alu instid0(VALU_DEP_2)
	v_add_co_ci_u32_e64 v4, null, s11, v4, vcc_lo
	s_wait_dscnt 0x1
	global_store_b32 v[3:4], v2, off
.LBB884_197:
	s_wait_alu 0xfffe
	s_or_b32 exec_lo, exec_lo, s1
	s_delay_alu instid0(SALU_CYCLE_1)
	s_mov_b32 s1, exec_lo
                                        ; implicit-def: $vgpr13_vgpr14
	v_cmpx_gt_u32_e64 s23, v30
	s_cbranch_execz .LBB884_203
; %bb.198:
	s_mov_b32 s2, exec_lo
                                        ; implicit-def: $vgpr13_vgpr14
	v_cmpx_ge_u32_e64 v30, v16
	s_wait_alu 0xfffe
	s_xor_b32 s2, exec_lo, s2
	s_cbranch_execz .LBB884_200
; %bb.199:
	s_wait_dscnt 0x1
	v_xor_b32_e32 v1, 0xfffff3ff, v0
                                        ; implicit-def: $vgpr30
	s_delay_alu instid0(VALU_DEP_1) | instskip(SKIP_2) | instid1(VALU_DEP_2)
	v_ashrrev_i32_e32 v2, 31, v1
	v_add_co_u32 v13, vcc_lo, v19, v1
	s_wait_alu 0xfffd
	v_add_co_ci_u32_e64 v14, null, v20, v2, vcc_lo
.LBB884_200:
	s_wait_alu 0xfffe
	s_and_not1_saveexec_b32 s2, s2
; %bb.201:
	v_add_co_u32 v13, vcc_lo, v15, v30
	s_wait_alu 0xfffd
	v_add_co_ci_u32_e64 v14, null, 0, v17, vcc_lo
; %bb.202:
	s_wait_alu 0xfffe
	s_or_b32 exec_lo, exec_lo, s2
	s_delay_alu instid0(SALU_CYCLE_1)
	s_or_b32 s0, s0, exec_lo
.LBB884_203:
	s_wait_alu 0xfffe
	s_or_b32 exec_lo, exec_lo, s1
.LBB884_204:
	s_wait_alu 0xfffe
	s_and_saveexec_b32 s1, s0
	s_cbranch_execz .LBB884_206
; %bb.205:
	s_wait_dscnt 0x1
	v_lshlrev_b64_e32 v[1:2], 2, v[13:14]
	s_delay_alu instid0(VALU_DEP_1) | instskip(SKIP_1) | instid1(VALU_DEP_2)
	v_add_co_u32 v1, vcc_lo, s10, v1
	s_wait_alu 0xfffd
	v_add_co_ci_u32_e64 v2, null, s11, v2, vcc_lo
	s_wait_dscnt 0x0
	global_store_b32 v[1:2], v18, off
.LBB884_206:
	s_wait_alu 0xfffe
	s_or_b32 exec_lo, exec_lo, s1
	v_cmp_eq_u32_e32 vcc_lo, 0, v0
	s_and_b32 s0, vcc_lo, s22
	s_wait_alu 0xfffe
	s_and_saveexec_b32 s1, s0
	s_cbranch_execz .LBB884_208
; %bb.207:
	v_add_co_u32 v0, vcc_lo, v15, v16
	s_wait_dscnt 0x1
	v_mov_b32_e32 v2, 0
	s_wait_alu 0xfffd
	v_add_co_ci_u32_e64 v1, null, 0, v17, vcc_lo
	global_store_b64 v2, v[0:1], s[8:9]
.LBB884_208:
	s_endpgm
	.section	.rodata,"a",@progbits
	.p2align	6, 0x0
	.amdhsa_kernel _ZN7rocprim17ROCPRIM_400000_NS6detail17trampoline_kernelINS0_13select_configILj256ELj13ELNS0_17block_load_methodE3ELS4_3ELS4_3ELNS0_20block_scan_algorithmE0ELj4294967295EEENS1_25partition_config_selectorILNS1_17partition_subalgoE3EjNS0_10empty_typeEbEEZZNS1_14partition_implILS8_3ELb0ES6_jNS0_17counting_iteratorIjlEEPS9_SE_NS0_5tupleIJPjSE_EEENSF_IJSE_SE_EEES9_SG_JZNS1_25segmented_radix_sort_implINS0_14default_configELb1EPKsPsPKlPlN2at6native12_GLOBAL__N_18offset_tEEE10hipError_tPvRmT1_PNSt15iterator_traitsISY_E10value_typeET2_T3_PNSZ_IS14_E10value_typeET4_jRbjT5_S1A_jjP12ihipStream_tbEUljE_EEESV_SW_SX_S14_S18_S1A_T6_T7_T9_mT8_S1C_bDpT10_ENKUlT_T0_E_clISt17integral_constantIbLb0EES1P_EEDaS1K_S1L_EUlS1K_E_NS1_11comp_targetILNS1_3genE10ELNS1_11target_archE1200ELNS1_3gpuE4ELNS1_3repE0EEENS1_30default_config_static_selectorELNS0_4arch9wavefront6targetE0EEEvSY_
		.amdhsa_group_segment_fixed_size 13320
		.amdhsa_private_segment_fixed_size 0
		.amdhsa_kernarg_size 144
		.amdhsa_user_sgpr_count 2
		.amdhsa_user_sgpr_dispatch_ptr 0
		.amdhsa_user_sgpr_queue_ptr 0
		.amdhsa_user_sgpr_kernarg_segment_ptr 1
		.amdhsa_user_sgpr_dispatch_id 0
		.amdhsa_user_sgpr_private_segment_size 0
		.amdhsa_wavefront_size32 1
		.amdhsa_uses_dynamic_stack 0
		.amdhsa_enable_private_segment 0
		.amdhsa_system_sgpr_workgroup_id_x 1
		.amdhsa_system_sgpr_workgroup_id_y 0
		.amdhsa_system_sgpr_workgroup_id_z 0
		.amdhsa_system_sgpr_workgroup_info 0
		.amdhsa_system_vgpr_workitem_id 0
		.amdhsa_next_free_vgpr 69
		.amdhsa_next_free_sgpr 26
		.amdhsa_reserve_vcc 1
		.amdhsa_float_round_mode_32 0
		.amdhsa_float_round_mode_16_64 0
		.amdhsa_float_denorm_mode_32 3
		.amdhsa_float_denorm_mode_16_64 3
		.amdhsa_fp16_overflow 0
		.amdhsa_workgroup_processor_mode 1
		.amdhsa_memory_ordered 1
		.amdhsa_forward_progress 1
		.amdhsa_inst_pref_size 84
		.amdhsa_round_robin_scheduling 0
		.amdhsa_exception_fp_ieee_invalid_op 0
		.amdhsa_exception_fp_denorm_src 0
		.amdhsa_exception_fp_ieee_div_zero 0
		.amdhsa_exception_fp_ieee_overflow 0
		.amdhsa_exception_fp_ieee_underflow 0
		.amdhsa_exception_fp_ieee_inexact 0
		.amdhsa_exception_int_div_zero 0
	.end_amdhsa_kernel
	.section	.text._ZN7rocprim17ROCPRIM_400000_NS6detail17trampoline_kernelINS0_13select_configILj256ELj13ELNS0_17block_load_methodE3ELS4_3ELS4_3ELNS0_20block_scan_algorithmE0ELj4294967295EEENS1_25partition_config_selectorILNS1_17partition_subalgoE3EjNS0_10empty_typeEbEEZZNS1_14partition_implILS8_3ELb0ES6_jNS0_17counting_iteratorIjlEEPS9_SE_NS0_5tupleIJPjSE_EEENSF_IJSE_SE_EEES9_SG_JZNS1_25segmented_radix_sort_implINS0_14default_configELb1EPKsPsPKlPlN2at6native12_GLOBAL__N_18offset_tEEE10hipError_tPvRmT1_PNSt15iterator_traitsISY_E10value_typeET2_T3_PNSZ_IS14_E10value_typeET4_jRbjT5_S1A_jjP12ihipStream_tbEUljE_EEESV_SW_SX_S14_S18_S1A_T6_T7_T9_mT8_S1C_bDpT10_ENKUlT_T0_E_clISt17integral_constantIbLb0EES1P_EEDaS1K_S1L_EUlS1K_E_NS1_11comp_targetILNS1_3genE10ELNS1_11target_archE1200ELNS1_3gpuE4ELNS1_3repE0EEENS1_30default_config_static_selectorELNS0_4arch9wavefront6targetE0EEEvSY_,"axG",@progbits,_ZN7rocprim17ROCPRIM_400000_NS6detail17trampoline_kernelINS0_13select_configILj256ELj13ELNS0_17block_load_methodE3ELS4_3ELS4_3ELNS0_20block_scan_algorithmE0ELj4294967295EEENS1_25partition_config_selectorILNS1_17partition_subalgoE3EjNS0_10empty_typeEbEEZZNS1_14partition_implILS8_3ELb0ES6_jNS0_17counting_iteratorIjlEEPS9_SE_NS0_5tupleIJPjSE_EEENSF_IJSE_SE_EEES9_SG_JZNS1_25segmented_radix_sort_implINS0_14default_configELb1EPKsPsPKlPlN2at6native12_GLOBAL__N_18offset_tEEE10hipError_tPvRmT1_PNSt15iterator_traitsISY_E10value_typeET2_T3_PNSZ_IS14_E10value_typeET4_jRbjT5_S1A_jjP12ihipStream_tbEUljE_EEESV_SW_SX_S14_S18_S1A_T6_T7_T9_mT8_S1C_bDpT10_ENKUlT_T0_E_clISt17integral_constantIbLb0EES1P_EEDaS1K_S1L_EUlS1K_E_NS1_11comp_targetILNS1_3genE10ELNS1_11target_archE1200ELNS1_3gpuE4ELNS1_3repE0EEENS1_30default_config_static_selectorELNS0_4arch9wavefront6targetE0EEEvSY_,comdat
.Lfunc_end884:
	.size	_ZN7rocprim17ROCPRIM_400000_NS6detail17trampoline_kernelINS0_13select_configILj256ELj13ELNS0_17block_load_methodE3ELS4_3ELS4_3ELNS0_20block_scan_algorithmE0ELj4294967295EEENS1_25partition_config_selectorILNS1_17partition_subalgoE3EjNS0_10empty_typeEbEEZZNS1_14partition_implILS8_3ELb0ES6_jNS0_17counting_iteratorIjlEEPS9_SE_NS0_5tupleIJPjSE_EEENSF_IJSE_SE_EEES9_SG_JZNS1_25segmented_radix_sort_implINS0_14default_configELb1EPKsPsPKlPlN2at6native12_GLOBAL__N_18offset_tEEE10hipError_tPvRmT1_PNSt15iterator_traitsISY_E10value_typeET2_T3_PNSZ_IS14_E10value_typeET4_jRbjT5_S1A_jjP12ihipStream_tbEUljE_EEESV_SW_SX_S14_S18_S1A_T6_T7_T9_mT8_S1C_bDpT10_ENKUlT_T0_E_clISt17integral_constantIbLb0EES1P_EEDaS1K_S1L_EUlS1K_E_NS1_11comp_targetILNS1_3genE10ELNS1_11target_archE1200ELNS1_3gpuE4ELNS1_3repE0EEENS1_30default_config_static_selectorELNS0_4arch9wavefront6targetE0EEEvSY_, .Lfunc_end884-_ZN7rocprim17ROCPRIM_400000_NS6detail17trampoline_kernelINS0_13select_configILj256ELj13ELNS0_17block_load_methodE3ELS4_3ELS4_3ELNS0_20block_scan_algorithmE0ELj4294967295EEENS1_25partition_config_selectorILNS1_17partition_subalgoE3EjNS0_10empty_typeEbEEZZNS1_14partition_implILS8_3ELb0ES6_jNS0_17counting_iteratorIjlEEPS9_SE_NS0_5tupleIJPjSE_EEENSF_IJSE_SE_EEES9_SG_JZNS1_25segmented_radix_sort_implINS0_14default_configELb1EPKsPsPKlPlN2at6native12_GLOBAL__N_18offset_tEEE10hipError_tPvRmT1_PNSt15iterator_traitsISY_E10value_typeET2_T3_PNSZ_IS14_E10value_typeET4_jRbjT5_S1A_jjP12ihipStream_tbEUljE_EEESV_SW_SX_S14_S18_S1A_T6_T7_T9_mT8_S1C_bDpT10_ENKUlT_T0_E_clISt17integral_constantIbLb0EES1P_EEDaS1K_S1L_EUlS1K_E_NS1_11comp_targetILNS1_3genE10ELNS1_11target_archE1200ELNS1_3gpuE4ELNS1_3repE0EEENS1_30default_config_static_selectorELNS0_4arch9wavefront6targetE0EEEvSY_
                                        ; -- End function
	.set _ZN7rocprim17ROCPRIM_400000_NS6detail17trampoline_kernelINS0_13select_configILj256ELj13ELNS0_17block_load_methodE3ELS4_3ELS4_3ELNS0_20block_scan_algorithmE0ELj4294967295EEENS1_25partition_config_selectorILNS1_17partition_subalgoE3EjNS0_10empty_typeEbEEZZNS1_14partition_implILS8_3ELb0ES6_jNS0_17counting_iteratorIjlEEPS9_SE_NS0_5tupleIJPjSE_EEENSF_IJSE_SE_EEES9_SG_JZNS1_25segmented_radix_sort_implINS0_14default_configELb1EPKsPsPKlPlN2at6native12_GLOBAL__N_18offset_tEEE10hipError_tPvRmT1_PNSt15iterator_traitsISY_E10value_typeET2_T3_PNSZ_IS14_E10value_typeET4_jRbjT5_S1A_jjP12ihipStream_tbEUljE_EEESV_SW_SX_S14_S18_S1A_T6_T7_T9_mT8_S1C_bDpT10_ENKUlT_T0_E_clISt17integral_constantIbLb0EES1P_EEDaS1K_S1L_EUlS1K_E_NS1_11comp_targetILNS1_3genE10ELNS1_11target_archE1200ELNS1_3gpuE4ELNS1_3repE0EEENS1_30default_config_static_selectorELNS0_4arch9wavefront6targetE0EEEvSY_.num_vgpr, 69
	.set _ZN7rocprim17ROCPRIM_400000_NS6detail17trampoline_kernelINS0_13select_configILj256ELj13ELNS0_17block_load_methodE3ELS4_3ELS4_3ELNS0_20block_scan_algorithmE0ELj4294967295EEENS1_25partition_config_selectorILNS1_17partition_subalgoE3EjNS0_10empty_typeEbEEZZNS1_14partition_implILS8_3ELb0ES6_jNS0_17counting_iteratorIjlEEPS9_SE_NS0_5tupleIJPjSE_EEENSF_IJSE_SE_EEES9_SG_JZNS1_25segmented_radix_sort_implINS0_14default_configELb1EPKsPsPKlPlN2at6native12_GLOBAL__N_18offset_tEEE10hipError_tPvRmT1_PNSt15iterator_traitsISY_E10value_typeET2_T3_PNSZ_IS14_E10value_typeET4_jRbjT5_S1A_jjP12ihipStream_tbEUljE_EEESV_SW_SX_S14_S18_S1A_T6_T7_T9_mT8_S1C_bDpT10_ENKUlT_T0_E_clISt17integral_constantIbLb0EES1P_EEDaS1K_S1L_EUlS1K_E_NS1_11comp_targetILNS1_3genE10ELNS1_11target_archE1200ELNS1_3gpuE4ELNS1_3repE0EEENS1_30default_config_static_selectorELNS0_4arch9wavefront6targetE0EEEvSY_.num_agpr, 0
	.set _ZN7rocprim17ROCPRIM_400000_NS6detail17trampoline_kernelINS0_13select_configILj256ELj13ELNS0_17block_load_methodE3ELS4_3ELS4_3ELNS0_20block_scan_algorithmE0ELj4294967295EEENS1_25partition_config_selectorILNS1_17partition_subalgoE3EjNS0_10empty_typeEbEEZZNS1_14partition_implILS8_3ELb0ES6_jNS0_17counting_iteratorIjlEEPS9_SE_NS0_5tupleIJPjSE_EEENSF_IJSE_SE_EEES9_SG_JZNS1_25segmented_radix_sort_implINS0_14default_configELb1EPKsPsPKlPlN2at6native12_GLOBAL__N_18offset_tEEE10hipError_tPvRmT1_PNSt15iterator_traitsISY_E10value_typeET2_T3_PNSZ_IS14_E10value_typeET4_jRbjT5_S1A_jjP12ihipStream_tbEUljE_EEESV_SW_SX_S14_S18_S1A_T6_T7_T9_mT8_S1C_bDpT10_ENKUlT_T0_E_clISt17integral_constantIbLb0EES1P_EEDaS1K_S1L_EUlS1K_E_NS1_11comp_targetILNS1_3genE10ELNS1_11target_archE1200ELNS1_3gpuE4ELNS1_3repE0EEENS1_30default_config_static_selectorELNS0_4arch9wavefront6targetE0EEEvSY_.numbered_sgpr, 26
	.set _ZN7rocprim17ROCPRIM_400000_NS6detail17trampoline_kernelINS0_13select_configILj256ELj13ELNS0_17block_load_methodE3ELS4_3ELS4_3ELNS0_20block_scan_algorithmE0ELj4294967295EEENS1_25partition_config_selectorILNS1_17partition_subalgoE3EjNS0_10empty_typeEbEEZZNS1_14partition_implILS8_3ELb0ES6_jNS0_17counting_iteratorIjlEEPS9_SE_NS0_5tupleIJPjSE_EEENSF_IJSE_SE_EEES9_SG_JZNS1_25segmented_radix_sort_implINS0_14default_configELb1EPKsPsPKlPlN2at6native12_GLOBAL__N_18offset_tEEE10hipError_tPvRmT1_PNSt15iterator_traitsISY_E10value_typeET2_T3_PNSZ_IS14_E10value_typeET4_jRbjT5_S1A_jjP12ihipStream_tbEUljE_EEESV_SW_SX_S14_S18_S1A_T6_T7_T9_mT8_S1C_bDpT10_ENKUlT_T0_E_clISt17integral_constantIbLb0EES1P_EEDaS1K_S1L_EUlS1K_E_NS1_11comp_targetILNS1_3genE10ELNS1_11target_archE1200ELNS1_3gpuE4ELNS1_3repE0EEENS1_30default_config_static_selectorELNS0_4arch9wavefront6targetE0EEEvSY_.num_named_barrier, 0
	.set _ZN7rocprim17ROCPRIM_400000_NS6detail17trampoline_kernelINS0_13select_configILj256ELj13ELNS0_17block_load_methodE3ELS4_3ELS4_3ELNS0_20block_scan_algorithmE0ELj4294967295EEENS1_25partition_config_selectorILNS1_17partition_subalgoE3EjNS0_10empty_typeEbEEZZNS1_14partition_implILS8_3ELb0ES6_jNS0_17counting_iteratorIjlEEPS9_SE_NS0_5tupleIJPjSE_EEENSF_IJSE_SE_EEES9_SG_JZNS1_25segmented_radix_sort_implINS0_14default_configELb1EPKsPsPKlPlN2at6native12_GLOBAL__N_18offset_tEEE10hipError_tPvRmT1_PNSt15iterator_traitsISY_E10value_typeET2_T3_PNSZ_IS14_E10value_typeET4_jRbjT5_S1A_jjP12ihipStream_tbEUljE_EEESV_SW_SX_S14_S18_S1A_T6_T7_T9_mT8_S1C_bDpT10_ENKUlT_T0_E_clISt17integral_constantIbLb0EES1P_EEDaS1K_S1L_EUlS1K_E_NS1_11comp_targetILNS1_3genE10ELNS1_11target_archE1200ELNS1_3gpuE4ELNS1_3repE0EEENS1_30default_config_static_selectorELNS0_4arch9wavefront6targetE0EEEvSY_.private_seg_size, 0
	.set _ZN7rocprim17ROCPRIM_400000_NS6detail17trampoline_kernelINS0_13select_configILj256ELj13ELNS0_17block_load_methodE3ELS4_3ELS4_3ELNS0_20block_scan_algorithmE0ELj4294967295EEENS1_25partition_config_selectorILNS1_17partition_subalgoE3EjNS0_10empty_typeEbEEZZNS1_14partition_implILS8_3ELb0ES6_jNS0_17counting_iteratorIjlEEPS9_SE_NS0_5tupleIJPjSE_EEENSF_IJSE_SE_EEES9_SG_JZNS1_25segmented_radix_sort_implINS0_14default_configELb1EPKsPsPKlPlN2at6native12_GLOBAL__N_18offset_tEEE10hipError_tPvRmT1_PNSt15iterator_traitsISY_E10value_typeET2_T3_PNSZ_IS14_E10value_typeET4_jRbjT5_S1A_jjP12ihipStream_tbEUljE_EEESV_SW_SX_S14_S18_S1A_T6_T7_T9_mT8_S1C_bDpT10_ENKUlT_T0_E_clISt17integral_constantIbLb0EES1P_EEDaS1K_S1L_EUlS1K_E_NS1_11comp_targetILNS1_3genE10ELNS1_11target_archE1200ELNS1_3gpuE4ELNS1_3repE0EEENS1_30default_config_static_selectorELNS0_4arch9wavefront6targetE0EEEvSY_.uses_vcc, 1
	.set _ZN7rocprim17ROCPRIM_400000_NS6detail17trampoline_kernelINS0_13select_configILj256ELj13ELNS0_17block_load_methodE3ELS4_3ELS4_3ELNS0_20block_scan_algorithmE0ELj4294967295EEENS1_25partition_config_selectorILNS1_17partition_subalgoE3EjNS0_10empty_typeEbEEZZNS1_14partition_implILS8_3ELb0ES6_jNS0_17counting_iteratorIjlEEPS9_SE_NS0_5tupleIJPjSE_EEENSF_IJSE_SE_EEES9_SG_JZNS1_25segmented_radix_sort_implINS0_14default_configELb1EPKsPsPKlPlN2at6native12_GLOBAL__N_18offset_tEEE10hipError_tPvRmT1_PNSt15iterator_traitsISY_E10value_typeET2_T3_PNSZ_IS14_E10value_typeET4_jRbjT5_S1A_jjP12ihipStream_tbEUljE_EEESV_SW_SX_S14_S18_S1A_T6_T7_T9_mT8_S1C_bDpT10_ENKUlT_T0_E_clISt17integral_constantIbLb0EES1P_EEDaS1K_S1L_EUlS1K_E_NS1_11comp_targetILNS1_3genE10ELNS1_11target_archE1200ELNS1_3gpuE4ELNS1_3repE0EEENS1_30default_config_static_selectorELNS0_4arch9wavefront6targetE0EEEvSY_.uses_flat_scratch, 0
	.set _ZN7rocprim17ROCPRIM_400000_NS6detail17trampoline_kernelINS0_13select_configILj256ELj13ELNS0_17block_load_methodE3ELS4_3ELS4_3ELNS0_20block_scan_algorithmE0ELj4294967295EEENS1_25partition_config_selectorILNS1_17partition_subalgoE3EjNS0_10empty_typeEbEEZZNS1_14partition_implILS8_3ELb0ES6_jNS0_17counting_iteratorIjlEEPS9_SE_NS0_5tupleIJPjSE_EEENSF_IJSE_SE_EEES9_SG_JZNS1_25segmented_radix_sort_implINS0_14default_configELb1EPKsPsPKlPlN2at6native12_GLOBAL__N_18offset_tEEE10hipError_tPvRmT1_PNSt15iterator_traitsISY_E10value_typeET2_T3_PNSZ_IS14_E10value_typeET4_jRbjT5_S1A_jjP12ihipStream_tbEUljE_EEESV_SW_SX_S14_S18_S1A_T6_T7_T9_mT8_S1C_bDpT10_ENKUlT_T0_E_clISt17integral_constantIbLb0EES1P_EEDaS1K_S1L_EUlS1K_E_NS1_11comp_targetILNS1_3genE10ELNS1_11target_archE1200ELNS1_3gpuE4ELNS1_3repE0EEENS1_30default_config_static_selectorELNS0_4arch9wavefront6targetE0EEEvSY_.has_dyn_sized_stack, 0
	.set _ZN7rocprim17ROCPRIM_400000_NS6detail17trampoline_kernelINS0_13select_configILj256ELj13ELNS0_17block_load_methodE3ELS4_3ELS4_3ELNS0_20block_scan_algorithmE0ELj4294967295EEENS1_25partition_config_selectorILNS1_17partition_subalgoE3EjNS0_10empty_typeEbEEZZNS1_14partition_implILS8_3ELb0ES6_jNS0_17counting_iteratorIjlEEPS9_SE_NS0_5tupleIJPjSE_EEENSF_IJSE_SE_EEES9_SG_JZNS1_25segmented_radix_sort_implINS0_14default_configELb1EPKsPsPKlPlN2at6native12_GLOBAL__N_18offset_tEEE10hipError_tPvRmT1_PNSt15iterator_traitsISY_E10value_typeET2_T3_PNSZ_IS14_E10value_typeET4_jRbjT5_S1A_jjP12ihipStream_tbEUljE_EEESV_SW_SX_S14_S18_S1A_T6_T7_T9_mT8_S1C_bDpT10_ENKUlT_T0_E_clISt17integral_constantIbLb0EES1P_EEDaS1K_S1L_EUlS1K_E_NS1_11comp_targetILNS1_3genE10ELNS1_11target_archE1200ELNS1_3gpuE4ELNS1_3repE0EEENS1_30default_config_static_selectorELNS0_4arch9wavefront6targetE0EEEvSY_.has_recursion, 0
	.set _ZN7rocprim17ROCPRIM_400000_NS6detail17trampoline_kernelINS0_13select_configILj256ELj13ELNS0_17block_load_methodE3ELS4_3ELS4_3ELNS0_20block_scan_algorithmE0ELj4294967295EEENS1_25partition_config_selectorILNS1_17partition_subalgoE3EjNS0_10empty_typeEbEEZZNS1_14partition_implILS8_3ELb0ES6_jNS0_17counting_iteratorIjlEEPS9_SE_NS0_5tupleIJPjSE_EEENSF_IJSE_SE_EEES9_SG_JZNS1_25segmented_radix_sort_implINS0_14default_configELb1EPKsPsPKlPlN2at6native12_GLOBAL__N_18offset_tEEE10hipError_tPvRmT1_PNSt15iterator_traitsISY_E10value_typeET2_T3_PNSZ_IS14_E10value_typeET4_jRbjT5_S1A_jjP12ihipStream_tbEUljE_EEESV_SW_SX_S14_S18_S1A_T6_T7_T9_mT8_S1C_bDpT10_ENKUlT_T0_E_clISt17integral_constantIbLb0EES1P_EEDaS1K_S1L_EUlS1K_E_NS1_11comp_targetILNS1_3genE10ELNS1_11target_archE1200ELNS1_3gpuE4ELNS1_3repE0EEENS1_30default_config_static_selectorELNS0_4arch9wavefront6targetE0EEEvSY_.has_indirect_call, 0
	.section	.AMDGPU.csdata,"",@progbits
; Kernel info:
; codeLenInByte = 10676
; TotalNumSgprs: 28
; NumVgprs: 69
; ScratchSize: 0
; MemoryBound: 0
; FloatMode: 240
; IeeeMode: 1
; LDSByteSize: 13320 bytes/workgroup (compile time only)
; SGPRBlocks: 0
; VGPRBlocks: 8
; NumSGPRsForWavesPerEU: 28
; NumVGPRsForWavesPerEU: 69
; Occupancy: 16
; WaveLimiterHint : 0
; COMPUTE_PGM_RSRC2:SCRATCH_EN: 0
; COMPUTE_PGM_RSRC2:USER_SGPR: 2
; COMPUTE_PGM_RSRC2:TRAP_HANDLER: 0
; COMPUTE_PGM_RSRC2:TGID_X_EN: 1
; COMPUTE_PGM_RSRC2:TGID_Y_EN: 0
; COMPUTE_PGM_RSRC2:TGID_Z_EN: 0
; COMPUTE_PGM_RSRC2:TIDIG_COMP_CNT: 0
	.section	.text._ZN7rocprim17ROCPRIM_400000_NS6detail17trampoline_kernelINS0_13select_configILj256ELj13ELNS0_17block_load_methodE3ELS4_3ELS4_3ELNS0_20block_scan_algorithmE0ELj4294967295EEENS1_25partition_config_selectorILNS1_17partition_subalgoE3EjNS0_10empty_typeEbEEZZNS1_14partition_implILS8_3ELb0ES6_jNS0_17counting_iteratorIjlEEPS9_SE_NS0_5tupleIJPjSE_EEENSF_IJSE_SE_EEES9_SG_JZNS1_25segmented_radix_sort_implINS0_14default_configELb1EPKsPsPKlPlN2at6native12_GLOBAL__N_18offset_tEEE10hipError_tPvRmT1_PNSt15iterator_traitsISY_E10value_typeET2_T3_PNSZ_IS14_E10value_typeET4_jRbjT5_S1A_jjP12ihipStream_tbEUljE_EEESV_SW_SX_S14_S18_S1A_T6_T7_T9_mT8_S1C_bDpT10_ENKUlT_T0_E_clISt17integral_constantIbLb0EES1P_EEDaS1K_S1L_EUlS1K_E_NS1_11comp_targetILNS1_3genE9ELNS1_11target_archE1100ELNS1_3gpuE3ELNS1_3repE0EEENS1_30default_config_static_selectorELNS0_4arch9wavefront6targetE0EEEvSY_,"axG",@progbits,_ZN7rocprim17ROCPRIM_400000_NS6detail17trampoline_kernelINS0_13select_configILj256ELj13ELNS0_17block_load_methodE3ELS4_3ELS4_3ELNS0_20block_scan_algorithmE0ELj4294967295EEENS1_25partition_config_selectorILNS1_17partition_subalgoE3EjNS0_10empty_typeEbEEZZNS1_14partition_implILS8_3ELb0ES6_jNS0_17counting_iteratorIjlEEPS9_SE_NS0_5tupleIJPjSE_EEENSF_IJSE_SE_EEES9_SG_JZNS1_25segmented_radix_sort_implINS0_14default_configELb1EPKsPsPKlPlN2at6native12_GLOBAL__N_18offset_tEEE10hipError_tPvRmT1_PNSt15iterator_traitsISY_E10value_typeET2_T3_PNSZ_IS14_E10value_typeET4_jRbjT5_S1A_jjP12ihipStream_tbEUljE_EEESV_SW_SX_S14_S18_S1A_T6_T7_T9_mT8_S1C_bDpT10_ENKUlT_T0_E_clISt17integral_constantIbLb0EES1P_EEDaS1K_S1L_EUlS1K_E_NS1_11comp_targetILNS1_3genE9ELNS1_11target_archE1100ELNS1_3gpuE3ELNS1_3repE0EEENS1_30default_config_static_selectorELNS0_4arch9wavefront6targetE0EEEvSY_,comdat
	.globl	_ZN7rocprim17ROCPRIM_400000_NS6detail17trampoline_kernelINS0_13select_configILj256ELj13ELNS0_17block_load_methodE3ELS4_3ELS4_3ELNS0_20block_scan_algorithmE0ELj4294967295EEENS1_25partition_config_selectorILNS1_17partition_subalgoE3EjNS0_10empty_typeEbEEZZNS1_14partition_implILS8_3ELb0ES6_jNS0_17counting_iteratorIjlEEPS9_SE_NS0_5tupleIJPjSE_EEENSF_IJSE_SE_EEES9_SG_JZNS1_25segmented_radix_sort_implINS0_14default_configELb1EPKsPsPKlPlN2at6native12_GLOBAL__N_18offset_tEEE10hipError_tPvRmT1_PNSt15iterator_traitsISY_E10value_typeET2_T3_PNSZ_IS14_E10value_typeET4_jRbjT5_S1A_jjP12ihipStream_tbEUljE_EEESV_SW_SX_S14_S18_S1A_T6_T7_T9_mT8_S1C_bDpT10_ENKUlT_T0_E_clISt17integral_constantIbLb0EES1P_EEDaS1K_S1L_EUlS1K_E_NS1_11comp_targetILNS1_3genE9ELNS1_11target_archE1100ELNS1_3gpuE3ELNS1_3repE0EEENS1_30default_config_static_selectorELNS0_4arch9wavefront6targetE0EEEvSY_ ; -- Begin function _ZN7rocprim17ROCPRIM_400000_NS6detail17trampoline_kernelINS0_13select_configILj256ELj13ELNS0_17block_load_methodE3ELS4_3ELS4_3ELNS0_20block_scan_algorithmE0ELj4294967295EEENS1_25partition_config_selectorILNS1_17partition_subalgoE3EjNS0_10empty_typeEbEEZZNS1_14partition_implILS8_3ELb0ES6_jNS0_17counting_iteratorIjlEEPS9_SE_NS0_5tupleIJPjSE_EEENSF_IJSE_SE_EEES9_SG_JZNS1_25segmented_radix_sort_implINS0_14default_configELb1EPKsPsPKlPlN2at6native12_GLOBAL__N_18offset_tEEE10hipError_tPvRmT1_PNSt15iterator_traitsISY_E10value_typeET2_T3_PNSZ_IS14_E10value_typeET4_jRbjT5_S1A_jjP12ihipStream_tbEUljE_EEESV_SW_SX_S14_S18_S1A_T6_T7_T9_mT8_S1C_bDpT10_ENKUlT_T0_E_clISt17integral_constantIbLb0EES1P_EEDaS1K_S1L_EUlS1K_E_NS1_11comp_targetILNS1_3genE9ELNS1_11target_archE1100ELNS1_3gpuE3ELNS1_3repE0EEENS1_30default_config_static_selectorELNS0_4arch9wavefront6targetE0EEEvSY_
	.p2align	8
	.type	_ZN7rocprim17ROCPRIM_400000_NS6detail17trampoline_kernelINS0_13select_configILj256ELj13ELNS0_17block_load_methodE3ELS4_3ELS4_3ELNS0_20block_scan_algorithmE0ELj4294967295EEENS1_25partition_config_selectorILNS1_17partition_subalgoE3EjNS0_10empty_typeEbEEZZNS1_14partition_implILS8_3ELb0ES6_jNS0_17counting_iteratorIjlEEPS9_SE_NS0_5tupleIJPjSE_EEENSF_IJSE_SE_EEES9_SG_JZNS1_25segmented_radix_sort_implINS0_14default_configELb1EPKsPsPKlPlN2at6native12_GLOBAL__N_18offset_tEEE10hipError_tPvRmT1_PNSt15iterator_traitsISY_E10value_typeET2_T3_PNSZ_IS14_E10value_typeET4_jRbjT5_S1A_jjP12ihipStream_tbEUljE_EEESV_SW_SX_S14_S18_S1A_T6_T7_T9_mT8_S1C_bDpT10_ENKUlT_T0_E_clISt17integral_constantIbLb0EES1P_EEDaS1K_S1L_EUlS1K_E_NS1_11comp_targetILNS1_3genE9ELNS1_11target_archE1100ELNS1_3gpuE3ELNS1_3repE0EEENS1_30default_config_static_selectorELNS0_4arch9wavefront6targetE0EEEvSY_,@function
_ZN7rocprim17ROCPRIM_400000_NS6detail17trampoline_kernelINS0_13select_configILj256ELj13ELNS0_17block_load_methodE3ELS4_3ELS4_3ELNS0_20block_scan_algorithmE0ELj4294967295EEENS1_25partition_config_selectorILNS1_17partition_subalgoE3EjNS0_10empty_typeEbEEZZNS1_14partition_implILS8_3ELb0ES6_jNS0_17counting_iteratorIjlEEPS9_SE_NS0_5tupleIJPjSE_EEENSF_IJSE_SE_EEES9_SG_JZNS1_25segmented_radix_sort_implINS0_14default_configELb1EPKsPsPKlPlN2at6native12_GLOBAL__N_18offset_tEEE10hipError_tPvRmT1_PNSt15iterator_traitsISY_E10value_typeET2_T3_PNSZ_IS14_E10value_typeET4_jRbjT5_S1A_jjP12ihipStream_tbEUljE_EEESV_SW_SX_S14_S18_S1A_T6_T7_T9_mT8_S1C_bDpT10_ENKUlT_T0_E_clISt17integral_constantIbLb0EES1P_EEDaS1K_S1L_EUlS1K_E_NS1_11comp_targetILNS1_3genE9ELNS1_11target_archE1100ELNS1_3gpuE3ELNS1_3repE0EEENS1_30default_config_static_selectorELNS0_4arch9wavefront6targetE0EEEvSY_: ; @_ZN7rocprim17ROCPRIM_400000_NS6detail17trampoline_kernelINS0_13select_configILj256ELj13ELNS0_17block_load_methodE3ELS4_3ELS4_3ELNS0_20block_scan_algorithmE0ELj4294967295EEENS1_25partition_config_selectorILNS1_17partition_subalgoE3EjNS0_10empty_typeEbEEZZNS1_14partition_implILS8_3ELb0ES6_jNS0_17counting_iteratorIjlEEPS9_SE_NS0_5tupleIJPjSE_EEENSF_IJSE_SE_EEES9_SG_JZNS1_25segmented_radix_sort_implINS0_14default_configELb1EPKsPsPKlPlN2at6native12_GLOBAL__N_18offset_tEEE10hipError_tPvRmT1_PNSt15iterator_traitsISY_E10value_typeET2_T3_PNSZ_IS14_E10value_typeET4_jRbjT5_S1A_jjP12ihipStream_tbEUljE_EEESV_SW_SX_S14_S18_S1A_T6_T7_T9_mT8_S1C_bDpT10_ENKUlT_T0_E_clISt17integral_constantIbLb0EES1P_EEDaS1K_S1L_EUlS1K_E_NS1_11comp_targetILNS1_3genE9ELNS1_11target_archE1100ELNS1_3gpuE3ELNS1_3repE0EEENS1_30default_config_static_selectorELNS0_4arch9wavefront6targetE0EEEvSY_
; %bb.0:
	.section	.rodata,"a",@progbits
	.p2align	6, 0x0
	.amdhsa_kernel _ZN7rocprim17ROCPRIM_400000_NS6detail17trampoline_kernelINS0_13select_configILj256ELj13ELNS0_17block_load_methodE3ELS4_3ELS4_3ELNS0_20block_scan_algorithmE0ELj4294967295EEENS1_25partition_config_selectorILNS1_17partition_subalgoE3EjNS0_10empty_typeEbEEZZNS1_14partition_implILS8_3ELb0ES6_jNS0_17counting_iteratorIjlEEPS9_SE_NS0_5tupleIJPjSE_EEENSF_IJSE_SE_EEES9_SG_JZNS1_25segmented_radix_sort_implINS0_14default_configELb1EPKsPsPKlPlN2at6native12_GLOBAL__N_18offset_tEEE10hipError_tPvRmT1_PNSt15iterator_traitsISY_E10value_typeET2_T3_PNSZ_IS14_E10value_typeET4_jRbjT5_S1A_jjP12ihipStream_tbEUljE_EEESV_SW_SX_S14_S18_S1A_T6_T7_T9_mT8_S1C_bDpT10_ENKUlT_T0_E_clISt17integral_constantIbLb0EES1P_EEDaS1K_S1L_EUlS1K_E_NS1_11comp_targetILNS1_3genE9ELNS1_11target_archE1100ELNS1_3gpuE3ELNS1_3repE0EEENS1_30default_config_static_selectorELNS0_4arch9wavefront6targetE0EEEvSY_
		.amdhsa_group_segment_fixed_size 0
		.amdhsa_private_segment_fixed_size 0
		.amdhsa_kernarg_size 144
		.amdhsa_user_sgpr_count 2
		.amdhsa_user_sgpr_dispatch_ptr 0
		.amdhsa_user_sgpr_queue_ptr 0
		.amdhsa_user_sgpr_kernarg_segment_ptr 1
		.amdhsa_user_sgpr_dispatch_id 0
		.amdhsa_user_sgpr_private_segment_size 0
		.amdhsa_wavefront_size32 1
		.amdhsa_uses_dynamic_stack 0
		.amdhsa_enable_private_segment 0
		.amdhsa_system_sgpr_workgroup_id_x 1
		.amdhsa_system_sgpr_workgroup_id_y 0
		.amdhsa_system_sgpr_workgroup_id_z 0
		.amdhsa_system_sgpr_workgroup_info 0
		.amdhsa_system_vgpr_workitem_id 0
		.amdhsa_next_free_vgpr 1
		.amdhsa_next_free_sgpr 1
		.amdhsa_reserve_vcc 0
		.amdhsa_float_round_mode_32 0
		.amdhsa_float_round_mode_16_64 0
		.amdhsa_float_denorm_mode_32 3
		.amdhsa_float_denorm_mode_16_64 3
		.amdhsa_fp16_overflow 0
		.amdhsa_workgroup_processor_mode 1
		.amdhsa_memory_ordered 1
		.amdhsa_forward_progress 1
		.amdhsa_inst_pref_size 0
		.amdhsa_round_robin_scheduling 0
		.amdhsa_exception_fp_ieee_invalid_op 0
		.amdhsa_exception_fp_denorm_src 0
		.amdhsa_exception_fp_ieee_div_zero 0
		.amdhsa_exception_fp_ieee_overflow 0
		.amdhsa_exception_fp_ieee_underflow 0
		.amdhsa_exception_fp_ieee_inexact 0
		.amdhsa_exception_int_div_zero 0
	.end_amdhsa_kernel
	.section	.text._ZN7rocprim17ROCPRIM_400000_NS6detail17trampoline_kernelINS0_13select_configILj256ELj13ELNS0_17block_load_methodE3ELS4_3ELS4_3ELNS0_20block_scan_algorithmE0ELj4294967295EEENS1_25partition_config_selectorILNS1_17partition_subalgoE3EjNS0_10empty_typeEbEEZZNS1_14partition_implILS8_3ELb0ES6_jNS0_17counting_iteratorIjlEEPS9_SE_NS0_5tupleIJPjSE_EEENSF_IJSE_SE_EEES9_SG_JZNS1_25segmented_radix_sort_implINS0_14default_configELb1EPKsPsPKlPlN2at6native12_GLOBAL__N_18offset_tEEE10hipError_tPvRmT1_PNSt15iterator_traitsISY_E10value_typeET2_T3_PNSZ_IS14_E10value_typeET4_jRbjT5_S1A_jjP12ihipStream_tbEUljE_EEESV_SW_SX_S14_S18_S1A_T6_T7_T9_mT8_S1C_bDpT10_ENKUlT_T0_E_clISt17integral_constantIbLb0EES1P_EEDaS1K_S1L_EUlS1K_E_NS1_11comp_targetILNS1_3genE9ELNS1_11target_archE1100ELNS1_3gpuE3ELNS1_3repE0EEENS1_30default_config_static_selectorELNS0_4arch9wavefront6targetE0EEEvSY_,"axG",@progbits,_ZN7rocprim17ROCPRIM_400000_NS6detail17trampoline_kernelINS0_13select_configILj256ELj13ELNS0_17block_load_methodE3ELS4_3ELS4_3ELNS0_20block_scan_algorithmE0ELj4294967295EEENS1_25partition_config_selectorILNS1_17partition_subalgoE3EjNS0_10empty_typeEbEEZZNS1_14partition_implILS8_3ELb0ES6_jNS0_17counting_iteratorIjlEEPS9_SE_NS0_5tupleIJPjSE_EEENSF_IJSE_SE_EEES9_SG_JZNS1_25segmented_radix_sort_implINS0_14default_configELb1EPKsPsPKlPlN2at6native12_GLOBAL__N_18offset_tEEE10hipError_tPvRmT1_PNSt15iterator_traitsISY_E10value_typeET2_T3_PNSZ_IS14_E10value_typeET4_jRbjT5_S1A_jjP12ihipStream_tbEUljE_EEESV_SW_SX_S14_S18_S1A_T6_T7_T9_mT8_S1C_bDpT10_ENKUlT_T0_E_clISt17integral_constantIbLb0EES1P_EEDaS1K_S1L_EUlS1K_E_NS1_11comp_targetILNS1_3genE9ELNS1_11target_archE1100ELNS1_3gpuE3ELNS1_3repE0EEENS1_30default_config_static_selectorELNS0_4arch9wavefront6targetE0EEEvSY_,comdat
.Lfunc_end885:
	.size	_ZN7rocprim17ROCPRIM_400000_NS6detail17trampoline_kernelINS0_13select_configILj256ELj13ELNS0_17block_load_methodE3ELS4_3ELS4_3ELNS0_20block_scan_algorithmE0ELj4294967295EEENS1_25partition_config_selectorILNS1_17partition_subalgoE3EjNS0_10empty_typeEbEEZZNS1_14partition_implILS8_3ELb0ES6_jNS0_17counting_iteratorIjlEEPS9_SE_NS0_5tupleIJPjSE_EEENSF_IJSE_SE_EEES9_SG_JZNS1_25segmented_radix_sort_implINS0_14default_configELb1EPKsPsPKlPlN2at6native12_GLOBAL__N_18offset_tEEE10hipError_tPvRmT1_PNSt15iterator_traitsISY_E10value_typeET2_T3_PNSZ_IS14_E10value_typeET4_jRbjT5_S1A_jjP12ihipStream_tbEUljE_EEESV_SW_SX_S14_S18_S1A_T6_T7_T9_mT8_S1C_bDpT10_ENKUlT_T0_E_clISt17integral_constantIbLb0EES1P_EEDaS1K_S1L_EUlS1K_E_NS1_11comp_targetILNS1_3genE9ELNS1_11target_archE1100ELNS1_3gpuE3ELNS1_3repE0EEENS1_30default_config_static_selectorELNS0_4arch9wavefront6targetE0EEEvSY_, .Lfunc_end885-_ZN7rocprim17ROCPRIM_400000_NS6detail17trampoline_kernelINS0_13select_configILj256ELj13ELNS0_17block_load_methodE3ELS4_3ELS4_3ELNS0_20block_scan_algorithmE0ELj4294967295EEENS1_25partition_config_selectorILNS1_17partition_subalgoE3EjNS0_10empty_typeEbEEZZNS1_14partition_implILS8_3ELb0ES6_jNS0_17counting_iteratorIjlEEPS9_SE_NS0_5tupleIJPjSE_EEENSF_IJSE_SE_EEES9_SG_JZNS1_25segmented_radix_sort_implINS0_14default_configELb1EPKsPsPKlPlN2at6native12_GLOBAL__N_18offset_tEEE10hipError_tPvRmT1_PNSt15iterator_traitsISY_E10value_typeET2_T3_PNSZ_IS14_E10value_typeET4_jRbjT5_S1A_jjP12ihipStream_tbEUljE_EEESV_SW_SX_S14_S18_S1A_T6_T7_T9_mT8_S1C_bDpT10_ENKUlT_T0_E_clISt17integral_constantIbLb0EES1P_EEDaS1K_S1L_EUlS1K_E_NS1_11comp_targetILNS1_3genE9ELNS1_11target_archE1100ELNS1_3gpuE3ELNS1_3repE0EEENS1_30default_config_static_selectorELNS0_4arch9wavefront6targetE0EEEvSY_
                                        ; -- End function
	.set _ZN7rocprim17ROCPRIM_400000_NS6detail17trampoline_kernelINS0_13select_configILj256ELj13ELNS0_17block_load_methodE3ELS4_3ELS4_3ELNS0_20block_scan_algorithmE0ELj4294967295EEENS1_25partition_config_selectorILNS1_17partition_subalgoE3EjNS0_10empty_typeEbEEZZNS1_14partition_implILS8_3ELb0ES6_jNS0_17counting_iteratorIjlEEPS9_SE_NS0_5tupleIJPjSE_EEENSF_IJSE_SE_EEES9_SG_JZNS1_25segmented_radix_sort_implINS0_14default_configELb1EPKsPsPKlPlN2at6native12_GLOBAL__N_18offset_tEEE10hipError_tPvRmT1_PNSt15iterator_traitsISY_E10value_typeET2_T3_PNSZ_IS14_E10value_typeET4_jRbjT5_S1A_jjP12ihipStream_tbEUljE_EEESV_SW_SX_S14_S18_S1A_T6_T7_T9_mT8_S1C_bDpT10_ENKUlT_T0_E_clISt17integral_constantIbLb0EES1P_EEDaS1K_S1L_EUlS1K_E_NS1_11comp_targetILNS1_3genE9ELNS1_11target_archE1100ELNS1_3gpuE3ELNS1_3repE0EEENS1_30default_config_static_selectorELNS0_4arch9wavefront6targetE0EEEvSY_.num_vgpr, 0
	.set _ZN7rocprim17ROCPRIM_400000_NS6detail17trampoline_kernelINS0_13select_configILj256ELj13ELNS0_17block_load_methodE3ELS4_3ELS4_3ELNS0_20block_scan_algorithmE0ELj4294967295EEENS1_25partition_config_selectorILNS1_17partition_subalgoE3EjNS0_10empty_typeEbEEZZNS1_14partition_implILS8_3ELb0ES6_jNS0_17counting_iteratorIjlEEPS9_SE_NS0_5tupleIJPjSE_EEENSF_IJSE_SE_EEES9_SG_JZNS1_25segmented_radix_sort_implINS0_14default_configELb1EPKsPsPKlPlN2at6native12_GLOBAL__N_18offset_tEEE10hipError_tPvRmT1_PNSt15iterator_traitsISY_E10value_typeET2_T3_PNSZ_IS14_E10value_typeET4_jRbjT5_S1A_jjP12ihipStream_tbEUljE_EEESV_SW_SX_S14_S18_S1A_T6_T7_T9_mT8_S1C_bDpT10_ENKUlT_T0_E_clISt17integral_constantIbLb0EES1P_EEDaS1K_S1L_EUlS1K_E_NS1_11comp_targetILNS1_3genE9ELNS1_11target_archE1100ELNS1_3gpuE3ELNS1_3repE0EEENS1_30default_config_static_selectorELNS0_4arch9wavefront6targetE0EEEvSY_.num_agpr, 0
	.set _ZN7rocprim17ROCPRIM_400000_NS6detail17trampoline_kernelINS0_13select_configILj256ELj13ELNS0_17block_load_methodE3ELS4_3ELS4_3ELNS0_20block_scan_algorithmE0ELj4294967295EEENS1_25partition_config_selectorILNS1_17partition_subalgoE3EjNS0_10empty_typeEbEEZZNS1_14partition_implILS8_3ELb0ES6_jNS0_17counting_iteratorIjlEEPS9_SE_NS0_5tupleIJPjSE_EEENSF_IJSE_SE_EEES9_SG_JZNS1_25segmented_radix_sort_implINS0_14default_configELb1EPKsPsPKlPlN2at6native12_GLOBAL__N_18offset_tEEE10hipError_tPvRmT1_PNSt15iterator_traitsISY_E10value_typeET2_T3_PNSZ_IS14_E10value_typeET4_jRbjT5_S1A_jjP12ihipStream_tbEUljE_EEESV_SW_SX_S14_S18_S1A_T6_T7_T9_mT8_S1C_bDpT10_ENKUlT_T0_E_clISt17integral_constantIbLb0EES1P_EEDaS1K_S1L_EUlS1K_E_NS1_11comp_targetILNS1_3genE9ELNS1_11target_archE1100ELNS1_3gpuE3ELNS1_3repE0EEENS1_30default_config_static_selectorELNS0_4arch9wavefront6targetE0EEEvSY_.numbered_sgpr, 0
	.set _ZN7rocprim17ROCPRIM_400000_NS6detail17trampoline_kernelINS0_13select_configILj256ELj13ELNS0_17block_load_methodE3ELS4_3ELS4_3ELNS0_20block_scan_algorithmE0ELj4294967295EEENS1_25partition_config_selectorILNS1_17partition_subalgoE3EjNS0_10empty_typeEbEEZZNS1_14partition_implILS8_3ELb0ES6_jNS0_17counting_iteratorIjlEEPS9_SE_NS0_5tupleIJPjSE_EEENSF_IJSE_SE_EEES9_SG_JZNS1_25segmented_radix_sort_implINS0_14default_configELb1EPKsPsPKlPlN2at6native12_GLOBAL__N_18offset_tEEE10hipError_tPvRmT1_PNSt15iterator_traitsISY_E10value_typeET2_T3_PNSZ_IS14_E10value_typeET4_jRbjT5_S1A_jjP12ihipStream_tbEUljE_EEESV_SW_SX_S14_S18_S1A_T6_T7_T9_mT8_S1C_bDpT10_ENKUlT_T0_E_clISt17integral_constantIbLb0EES1P_EEDaS1K_S1L_EUlS1K_E_NS1_11comp_targetILNS1_3genE9ELNS1_11target_archE1100ELNS1_3gpuE3ELNS1_3repE0EEENS1_30default_config_static_selectorELNS0_4arch9wavefront6targetE0EEEvSY_.num_named_barrier, 0
	.set _ZN7rocprim17ROCPRIM_400000_NS6detail17trampoline_kernelINS0_13select_configILj256ELj13ELNS0_17block_load_methodE3ELS4_3ELS4_3ELNS0_20block_scan_algorithmE0ELj4294967295EEENS1_25partition_config_selectorILNS1_17partition_subalgoE3EjNS0_10empty_typeEbEEZZNS1_14partition_implILS8_3ELb0ES6_jNS0_17counting_iteratorIjlEEPS9_SE_NS0_5tupleIJPjSE_EEENSF_IJSE_SE_EEES9_SG_JZNS1_25segmented_radix_sort_implINS0_14default_configELb1EPKsPsPKlPlN2at6native12_GLOBAL__N_18offset_tEEE10hipError_tPvRmT1_PNSt15iterator_traitsISY_E10value_typeET2_T3_PNSZ_IS14_E10value_typeET4_jRbjT5_S1A_jjP12ihipStream_tbEUljE_EEESV_SW_SX_S14_S18_S1A_T6_T7_T9_mT8_S1C_bDpT10_ENKUlT_T0_E_clISt17integral_constantIbLb0EES1P_EEDaS1K_S1L_EUlS1K_E_NS1_11comp_targetILNS1_3genE9ELNS1_11target_archE1100ELNS1_3gpuE3ELNS1_3repE0EEENS1_30default_config_static_selectorELNS0_4arch9wavefront6targetE0EEEvSY_.private_seg_size, 0
	.set _ZN7rocprim17ROCPRIM_400000_NS6detail17trampoline_kernelINS0_13select_configILj256ELj13ELNS0_17block_load_methodE3ELS4_3ELS4_3ELNS0_20block_scan_algorithmE0ELj4294967295EEENS1_25partition_config_selectorILNS1_17partition_subalgoE3EjNS0_10empty_typeEbEEZZNS1_14partition_implILS8_3ELb0ES6_jNS0_17counting_iteratorIjlEEPS9_SE_NS0_5tupleIJPjSE_EEENSF_IJSE_SE_EEES9_SG_JZNS1_25segmented_radix_sort_implINS0_14default_configELb1EPKsPsPKlPlN2at6native12_GLOBAL__N_18offset_tEEE10hipError_tPvRmT1_PNSt15iterator_traitsISY_E10value_typeET2_T3_PNSZ_IS14_E10value_typeET4_jRbjT5_S1A_jjP12ihipStream_tbEUljE_EEESV_SW_SX_S14_S18_S1A_T6_T7_T9_mT8_S1C_bDpT10_ENKUlT_T0_E_clISt17integral_constantIbLb0EES1P_EEDaS1K_S1L_EUlS1K_E_NS1_11comp_targetILNS1_3genE9ELNS1_11target_archE1100ELNS1_3gpuE3ELNS1_3repE0EEENS1_30default_config_static_selectorELNS0_4arch9wavefront6targetE0EEEvSY_.uses_vcc, 0
	.set _ZN7rocprim17ROCPRIM_400000_NS6detail17trampoline_kernelINS0_13select_configILj256ELj13ELNS0_17block_load_methodE3ELS4_3ELS4_3ELNS0_20block_scan_algorithmE0ELj4294967295EEENS1_25partition_config_selectorILNS1_17partition_subalgoE3EjNS0_10empty_typeEbEEZZNS1_14partition_implILS8_3ELb0ES6_jNS0_17counting_iteratorIjlEEPS9_SE_NS0_5tupleIJPjSE_EEENSF_IJSE_SE_EEES9_SG_JZNS1_25segmented_radix_sort_implINS0_14default_configELb1EPKsPsPKlPlN2at6native12_GLOBAL__N_18offset_tEEE10hipError_tPvRmT1_PNSt15iterator_traitsISY_E10value_typeET2_T3_PNSZ_IS14_E10value_typeET4_jRbjT5_S1A_jjP12ihipStream_tbEUljE_EEESV_SW_SX_S14_S18_S1A_T6_T7_T9_mT8_S1C_bDpT10_ENKUlT_T0_E_clISt17integral_constantIbLb0EES1P_EEDaS1K_S1L_EUlS1K_E_NS1_11comp_targetILNS1_3genE9ELNS1_11target_archE1100ELNS1_3gpuE3ELNS1_3repE0EEENS1_30default_config_static_selectorELNS0_4arch9wavefront6targetE0EEEvSY_.uses_flat_scratch, 0
	.set _ZN7rocprim17ROCPRIM_400000_NS6detail17trampoline_kernelINS0_13select_configILj256ELj13ELNS0_17block_load_methodE3ELS4_3ELS4_3ELNS0_20block_scan_algorithmE0ELj4294967295EEENS1_25partition_config_selectorILNS1_17partition_subalgoE3EjNS0_10empty_typeEbEEZZNS1_14partition_implILS8_3ELb0ES6_jNS0_17counting_iteratorIjlEEPS9_SE_NS0_5tupleIJPjSE_EEENSF_IJSE_SE_EEES9_SG_JZNS1_25segmented_radix_sort_implINS0_14default_configELb1EPKsPsPKlPlN2at6native12_GLOBAL__N_18offset_tEEE10hipError_tPvRmT1_PNSt15iterator_traitsISY_E10value_typeET2_T3_PNSZ_IS14_E10value_typeET4_jRbjT5_S1A_jjP12ihipStream_tbEUljE_EEESV_SW_SX_S14_S18_S1A_T6_T7_T9_mT8_S1C_bDpT10_ENKUlT_T0_E_clISt17integral_constantIbLb0EES1P_EEDaS1K_S1L_EUlS1K_E_NS1_11comp_targetILNS1_3genE9ELNS1_11target_archE1100ELNS1_3gpuE3ELNS1_3repE0EEENS1_30default_config_static_selectorELNS0_4arch9wavefront6targetE0EEEvSY_.has_dyn_sized_stack, 0
	.set _ZN7rocprim17ROCPRIM_400000_NS6detail17trampoline_kernelINS0_13select_configILj256ELj13ELNS0_17block_load_methodE3ELS4_3ELS4_3ELNS0_20block_scan_algorithmE0ELj4294967295EEENS1_25partition_config_selectorILNS1_17partition_subalgoE3EjNS0_10empty_typeEbEEZZNS1_14partition_implILS8_3ELb0ES6_jNS0_17counting_iteratorIjlEEPS9_SE_NS0_5tupleIJPjSE_EEENSF_IJSE_SE_EEES9_SG_JZNS1_25segmented_radix_sort_implINS0_14default_configELb1EPKsPsPKlPlN2at6native12_GLOBAL__N_18offset_tEEE10hipError_tPvRmT1_PNSt15iterator_traitsISY_E10value_typeET2_T3_PNSZ_IS14_E10value_typeET4_jRbjT5_S1A_jjP12ihipStream_tbEUljE_EEESV_SW_SX_S14_S18_S1A_T6_T7_T9_mT8_S1C_bDpT10_ENKUlT_T0_E_clISt17integral_constantIbLb0EES1P_EEDaS1K_S1L_EUlS1K_E_NS1_11comp_targetILNS1_3genE9ELNS1_11target_archE1100ELNS1_3gpuE3ELNS1_3repE0EEENS1_30default_config_static_selectorELNS0_4arch9wavefront6targetE0EEEvSY_.has_recursion, 0
	.set _ZN7rocprim17ROCPRIM_400000_NS6detail17trampoline_kernelINS0_13select_configILj256ELj13ELNS0_17block_load_methodE3ELS4_3ELS4_3ELNS0_20block_scan_algorithmE0ELj4294967295EEENS1_25partition_config_selectorILNS1_17partition_subalgoE3EjNS0_10empty_typeEbEEZZNS1_14partition_implILS8_3ELb0ES6_jNS0_17counting_iteratorIjlEEPS9_SE_NS0_5tupleIJPjSE_EEENSF_IJSE_SE_EEES9_SG_JZNS1_25segmented_radix_sort_implINS0_14default_configELb1EPKsPsPKlPlN2at6native12_GLOBAL__N_18offset_tEEE10hipError_tPvRmT1_PNSt15iterator_traitsISY_E10value_typeET2_T3_PNSZ_IS14_E10value_typeET4_jRbjT5_S1A_jjP12ihipStream_tbEUljE_EEESV_SW_SX_S14_S18_S1A_T6_T7_T9_mT8_S1C_bDpT10_ENKUlT_T0_E_clISt17integral_constantIbLb0EES1P_EEDaS1K_S1L_EUlS1K_E_NS1_11comp_targetILNS1_3genE9ELNS1_11target_archE1100ELNS1_3gpuE3ELNS1_3repE0EEENS1_30default_config_static_selectorELNS0_4arch9wavefront6targetE0EEEvSY_.has_indirect_call, 0
	.section	.AMDGPU.csdata,"",@progbits
; Kernel info:
; codeLenInByte = 0
; TotalNumSgprs: 0
; NumVgprs: 0
; ScratchSize: 0
; MemoryBound: 0
; FloatMode: 240
; IeeeMode: 1
; LDSByteSize: 0 bytes/workgroup (compile time only)
; SGPRBlocks: 0
; VGPRBlocks: 0
; NumSGPRsForWavesPerEU: 1
; NumVGPRsForWavesPerEU: 1
; Occupancy: 16
; WaveLimiterHint : 0
; COMPUTE_PGM_RSRC2:SCRATCH_EN: 0
; COMPUTE_PGM_RSRC2:USER_SGPR: 2
; COMPUTE_PGM_RSRC2:TRAP_HANDLER: 0
; COMPUTE_PGM_RSRC2:TGID_X_EN: 1
; COMPUTE_PGM_RSRC2:TGID_Y_EN: 0
; COMPUTE_PGM_RSRC2:TGID_Z_EN: 0
; COMPUTE_PGM_RSRC2:TIDIG_COMP_CNT: 0
	.section	.text._ZN7rocprim17ROCPRIM_400000_NS6detail17trampoline_kernelINS0_13select_configILj256ELj13ELNS0_17block_load_methodE3ELS4_3ELS4_3ELNS0_20block_scan_algorithmE0ELj4294967295EEENS1_25partition_config_selectorILNS1_17partition_subalgoE3EjNS0_10empty_typeEbEEZZNS1_14partition_implILS8_3ELb0ES6_jNS0_17counting_iteratorIjlEEPS9_SE_NS0_5tupleIJPjSE_EEENSF_IJSE_SE_EEES9_SG_JZNS1_25segmented_radix_sort_implINS0_14default_configELb1EPKsPsPKlPlN2at6native12_GLOBAL__N_18offset_tEEE10hipError_tPvRmT1_PNSt15iterator_traitsISY_E10value_typeET2_T3_PNSZ_IS14_E10value_typeET4_jRbjT5_S1A_jjP12ihipStream_tbEUljE_EEESV_SW_SX_S14_S18_S1A_T6_T7_T9_mT8_S1C_bDpT10_ENKUlT_T0_E_clISt17integral_constantIbLb0EES1P_EEDaS1K_S1L_EUlS1K_E_NS1_11comp_targetILNS1_3genE8ELNS1_11target_archE1030ELNS1_3gpuE2ELNS1_3repE0EEENS1_30default_config_static_selectorELNS0_4arch9wavefront6targetE0EEEvSY_,"axG",@progbits,_ZN7rocprim17ROCPRIM_400000_NS6detail17trampoline_kernelINS0_13select_configILj256ELj13ELNS0_17block_load_methodE3ELS4_3ELS4_3ELNS0_20block_scan_algorithmE0ELj4294967295EEENS1_25partition_config_selectorILNS1_17partition_subalgoE3EjNS0_10empty_typeEbEEZZNS1_14partition_implILS8_3ELb0ES6_jNS0_17counting_iteratorIjlEEPS9_SE_NS0_5tupleIJPjSE_EEENSF_IJSE_SE_EEES9_SG_JZNS1_25segmented_radix_sort_implINS0_14default_configELb1EPKsPsPKlPlN2at6native12_GLOBAL__N_18offset_tEEE10hipError_tPvRmT1_PNSt15iterator_traitsISY_E10value_typeET2_T3_PNSZ_IS14_E10value_typeET4_jRbjT5_S1A_jjP12ihipStream_tbEUljE_EEESV_SW_SX_S14_S18_S1A_T6_T7_T9_mT8_S1C_bDpT10_ENKUlT_T0_E_clISt17integral_constantIbLb0EES1P_EEDaS1K_S1L_EUlS1K_E_NS1_11comp_targetILNS1_3genE8ELNS1_11target_archE1030ELNS1_3gpuE2ELNS1_3repE0EEENS1_30default_config_static_selectorELNS0_4arch9wavefront6targetE0EEEvSY_,comdat
	.globl	_ZN7rocprim17ROCPRIM_400000_NS6detail17trampoline_kernelINS0_13select_configILj256ELj13ELNS0_17block_load_methodE3ELS4_3ELS4_3ELNS0_20block_scan_algorithmE0ELj4294967295EEENS1_25partition_config_selectorILNS1_17partition_subalgoE3EjNS0_10empty_typeEbEEZZNS1_14partition_implILS8_3ELb0ES6_jNS0_17counting_iteratorIjlEEPS9_SE_NS0_5tupleIJPjSE_EEENSF_IJSE_SE_EEES9_SG_JZNS1_25segmented_radix_sort_implINS0_14default_configELb1EPKsPsPKlPlN2at6native12_GLOBAL__N_18offset_tEEE10hipError_tPvRmT1_PNSt15iterator_traitsISY_E10value_typeET2_T3_PNSZ_IS14_E10value_typeET4_jRbjT5_S1A_jjP12ihipStream_tbEUljE_EEESV_SW_SX_S14_S18_S1A_T6_T7_T9_mT8_S1C_bDpT10_ENKUlT_T0_E_clISt17integral_constantIbLb0EES1P_EEDaS1K_S1L_EUlS1K_E_NS1_11comp_targetILNS1_3genE8ELNS1_11target_archE1030ELNS1_3gpuE2ELNS1_3repE0EEENS1_30default_config_static_selectorELNS0_4arch9wavefront6targetE0EEEvSY_ ; -- Begin function _ZN7rocprim17ROCPRIM_400000_NS6detail17trampoline_kernelINS0_13select_configILj256ELj13ELNS0_17block_load_methodE3ELS4_3ELS4_3ELNS0_20block_scan_algorithmE0ELj4294967295EEENS1_25partition_config_selectorILNS1_17partition_subalgoE3EjNS0_10empty_typeEbEEZZNS1_14partition_implILS8_3ELb0ES6_jNS0_17counting_iteratorIjlEEPS9_SE_NS0_5tupleIJPjSE_EEENSF_IJSE_SE_EEES9_SG_JZNS1_25segmented_radix_sort_implINS0_14default_configELb1EPKsPsPKlPlN2at6native12_GLOBAL__N_18offset_tEEE10hipError_tPvRmT1_PNSt15iterator_traitsISY_E10value_typeET2_T3_PNSZ_IS14_E10value_typeET4_jRbjT5_S1A_jjP12ihipStream_tbEUljE_EEESV_SW_SX_S14_S18_S1A_T6_T7_T9_mT8_S1C_bDpT10_ENKUlT_T0_E_clISt17integral_constantIbLb0EES1P_EEDaS1K_S1L_EUlS1K_E_NS1_11comp_targetILNS1_3genE8ELNS1_11target_archE1030ELNS1_3gpuE2ELNS1_3repE0EEENS1_30default_config_static_selectorELNS0_4arch9wavefront6targetE0EEEvSY_
	.p2align	8
	.type	_ZN7rocprim17ROCPRIM_400000_NS6detail17trampoline_kernelINS0_13select_configILj256ELj13ELNS0_17block_load_methodE3ELS4_3ELS4_3ELNS0_20block_scan_algorithmE0ELj4294967295EEENS1_25partition_config_selectorILNS1_17partition_subalgoE3EjNS0_10empty_typeEbEEZZNS1_14partition_implILS8_3ELb0ES6_jNS0_17counting_iteratorIjlEEPS9_SE_NS0_5tupleIJPjSE_EEENSF_IJSE_SE_EEES9_SG_JZNS1_25segmented_radix_sort_implINS0_14default_configELb1EPKsPsPKlPlN2at6native12_GLOBAL__N_18offset_tEEE10hipError_tPvRmT1_PNSt15iterator_traitsISY_E10value_typeET2_T3_PNSZ_IS14_E10value_typeET4_jRbjT5_S1A_jjP12ihipStream_tbEUljE_EEESV_SW_SX_S14_S18_S1A_T6_T7_T9_mT8_S1C_bDpT10_ENKUlT_T0_E_clISt17integral_constantIbLb0EES1P_EEDaS1K_S1L_EUlS1K_E_NS1_11comp_targetILNS1_3genE8ELNS1_11target_archE1030ELNS1_3gpuE2ELNS1_3repE0EEENS1_30default_config_static_selectorELNS0_4arch9wavefront6targetE0EEEvSY_,@function
_ZN7rocprim17ROCPRIM_400000_NS6detail17trampoline_kernelINS0_13select_configILj256ELj13ELNS0_17block_load_methodE3ELS4_3ELS4_3ELNS0_20block_scan_algorithmE0ELj4294967295EEENS1_25partition_config_selectorILNS1_17partition_subalgoE3EjNS0_10empty_typeEbEEZZNS1_14partition_implILS8_3ELb0ES6_jNS0_17counting_iteratorIjlEEPS9_SE_NS0_5tupleIJPjSE_EEENSF_IJSE_SE_EEES9_SG_JZNS1_25segmented_radix_sort_implINS0_14default_configELb1EPKsPsPKlPlN2at6native12_GLOBAL__N_18offset_tEEE10hipError_tPvRmT1_PNSt15iterator_traitsISY_E10value_typeET2_T3_PNSZ_IS14_E10value_typeET4_jRbjT5_S1A_jjP12ihipStream_tbEUljE_EEESV_SW_SX_S14_S18_S1A_T6_T7_T9_mT8_S1C_bDpT10_ENKUlT_T0_E_clISt17integral_constantIbLb0EES1P_EEDaS1K_S1L_EUlS1K_E_NS1_11comp_targetILNS1_3genE8ELNS1_11target_archE1030ELNS1_3gpuE2ELNS1_3repE0EEENS1_30default_config_static_selectorELNS0_4arch9wavefront6targetE0EEEvSY_: ; @_ZN7rocprim17ROCPRIM_400000_NS6detail17trampoline_kernelINS0_13select_configILj256ELj13ELNS0_17block_load_methodE3ELS4_3ELS4_3ELNS0_20block_scan_algorithmE0ELj4294967295EEENS1_25partition_config_selectorILNS1_17partition_subalgoE3EjNS0_10empty_typeEbEEZZNS1_14partition_implILS8_3ELb0ES6_jNS0_17counting_iteratorIjlEEPS9_SE_NS0_5tupleIJPjSE_EEENSF_IJSE_SE_EEES9_SG_JZNS1_25segmented_radix_sort_implINS0_14default_configELb1EPKsPsPKlPlN2at6native12_GLOBAL__N_18offset_tEEE10hipError_tPvRmT1_PNSt15iterator_traitsISY_E10value_typeET2_T3_PNSZ_IS14_E10value_typeET4_jRbjT5_S1A_jjP12ihipStream_tbEUljE_EEESV_SW_SX_S14_S18_S1A_T6_T7_T9_mT8_S1C_bDpT10_ENKUlT_T0_E_clISt17integral_constantIbLb0EES1P_EEDaS1K_S1L_EUlS1K_E_NS1_11comp_targetILNS1_3genE8ELNS1_11target_archE1030ELNS1_3gpuE2ELNS1_3repE0EEENS1_30default_config_static_selectorELNS0_4arch9wavefront6targetE0EEEvSY_
; %bb.0:
	.section	.rodata,"a",@progbits
	.p2align	6, 0x0
	.amdhsa_kernel _ZN7rocprim17ROCPRIM_400000_NS6detail17trampoline_kernelINS0_13select_configILj256ELj13ELNS0_17block_load_methodE3ELS4_3ELS4_3ELNS0_20block_scan_algorithmE0ELj4294967295EEENS1_25partition_config_selectorILNS1_17partition_subalgoE3EjNS0_10empty_typeEbEEZZNS1_14partition_implILS8_3ELb0ES6_jNS0_17counting_iteratorIjlEEPS9_SE_NS0_5tupleIJPjSE_EEENSF_IJSE_SE_EEES9_SG_JZNS1_25segmented_radix_sort_implINS0_14default_configELb1EPKsPsPKlPlN2at6native12_GLOBAL__N_18offset_tEEE10hipError_tPvRmT1_PNSt15iterator_traitsISY_E10value_typeET2_T3_PNSZ_IS14_E10value_typeET4_jRbjT5_S1A_jjP12ihipStream_tbEUljE_EEESV_SW_SX_S14_S18_S1A_T6_T7_T9_mT8_S1C_bDpT10_ENKUlT_T0_E_clISt17integral_constantIbLb0EES1P_EEDaS1K_S1L_EUlS1K_E_NS1_11comp_targetILNS1_3genE8ELNS1_11target_archE1030ELNS1_3gpuE2ELNS1_3repE0EEENS1_30default_config_static_selectorELNS0_4arch9wavefront6targetE0EEEvSY_
		.amdhsa_group_segment_fixed_size 0
		.amdhsa_private_segment_fixed_size 0
		.amdhsa_kernarg_size 144
		.amdhsa_user_sgpr_count 2
		.amdhsa_user_sgpr_dispatch_ptr 0
		.amdhsa_user_sgpr_queue_ptr 0
		.amdhsa_user_sgpr_kernarg_segment_ptr 1
		.amdhsa_user_sgpr_dispatch_id 0
		.amdhsa_user_sgpr_private_segment_size 0
		.amdhsa_wavefront_size32 1
		.amdhsa_uses_dynamic_stack 0
		.amdhsa_enable_private_segment 0
		.amdhsa_system_sgpr_workgroup_id_x 1
		.amdhsa_system_sgpr_workgroup_id_y 0
		.amdhsa_system_sgpr_workgroup_id_z 0
		.amdhsa_system_sgpr_workgroup_info 0
		.amdhsa_system_vgpr_workitem_id 0
		.amdhsa_next_free_vgpr 1
		.amdhsa_next_free_sgpr 1
		.amdhsa_reserve_vcc 0
		.amdhsa_float_round_mode_32 0
		.amdhsa_float_round_mode_16_64 0
		.amdhsa_float_denorm_mode_32 3
		.amdhsa_float_denorm_mode_16_64 3
		.amdhsa_fp16_overflow 0
		.amdhsa_workgroup_processor_mode 1
		.amdhsa_memory_ordered 1
		.amdhsa_forward_progress 1
		.amdhsa_inst_pref_size 0
		.amdhsa_round_robin_scheduling 0
		.amdhsa_exception_fp_ieee_invalid_op 0
		.amdhsa_exception_fp_denorm_src 0
		.amdhsa_exception_fp_ieee_div_zero 0
		.amdhsa_exception_fp_ieee_overflow 0
		.amdhsa_exception_fp_ieee_underflow 0
		.amdhsa_exception_fp_ieee_inexact 0
		.amdhsa_exception_int_div_zero 0
	.end_amdhsa_kernel
	.section	.text._ZN7rocprim17ROCPRIM_400000_NS6detail17trampoline_kernelINS0_13select_configILj256ELj13ELNS0_17block_load_methodE3ELS4_3ELS4_3ELNS0_20block_scan_algorithmE0ELj4294967295EEENS1_25partition_config_selectorILNS1_17partition_subalgoE3EjNS0_10empty_typeEbEEZZNS1_14partition_implILS8_3ELb0ES6_jNS0_17counting_iteratorIjlEEPS9_SE_NS0_5tupleIJPjSE_EEENSF_IJSE_SE_EEES9_SG_JZNS1_25segmented_radix_sort_implINS0_14default_configELb1EPKsPsPKlPlN2at6native12_GLOBAL__N_18offset_tEEE10hipError_tPvRmT1_PNSt15iterator_traitsISY_E10value_typeET2_T3_PNSZ_IS14_E10value_typeET4_jRbjT5_S1A_jjP12ihipStream_tbEUljE_EEESV_SW_SX_S14_S18_S1A_T6_T7_T9_mT8_S1C_bDpT10_ENKUlT_T0_E_clISt17integral_constantIbLb0EES1P_EEDaS1K_S1L_EUlS1K_E_NS1_11comp_targetILNS1_3genE8ELNS1_11target_archE1030ELNS1_3gpuE2ELNS1_3repE0EEENS1_30default_config_static_selectorELNS0_4arch9wavefront6targetE0EEEvSY_,"axG",@progbits,_ZN7rocprim17ROCPRIM_400000_NS6detail17trampoline_kernelINS0_13select_configILj256ELj13ELNS0_17block_load_methodE3ELS4_3ELS4_3ELNS0_20block_scan_algorithmE0ELj4294967295EEENS1_25partition_config_selectorILNS1_17partition_subalgoE3EjNS0_10empty_typeEbEEZZNS1_14partition_implILS8_3ELb0ES6_jNS0_17counting_iteratorIjlEEPS9_SE_NS0_5tupleIJPjSE_EEENSF_IJSE_SE_EEES9_SG_JZNS1_25segmented_radix_sort_implINS0_14default_configELb1EPKsPsPKlPlN2at6native12_GLOBAL__N_18offset_tEEE10hipError_tPvRmT1_PNSt15iterator_traitsISY_E10value_typeET2_T3_PNSZ_IS14_E10value_typeET4_jRbjT5_S1A_jjP12ihipStream_tbEUljE_EEESV_SW_SX_S14_S18_S1A_T6_T7_T9_mT8_S1C_bDpT10_ENKUlT_T0_E_clISt17integral_constantIbLb0EES1P_EEDaS1K_S1L_EUlS1K_E_NS1_11comp_targetILNS1_3genE8ELNS1_11target_archE1030ELNS1_3gpuE2ELNS1_3repE0EEENS1_30default_config_static_selectorELNS0_4arch9wavefront6targetE0EEEvSY_,comdat
.Lfunc_end886:
	.size	_ZN7rocprim17ROCPRIM_400000_NS6detail17trampoline_kernelINS0_13select_configILj256ELj13ELNS0_17block_load_methodE3ELS4_3ELS4_3ELNS0_20block_scan_algorithmE0ELj4294967295EEENS1_25partition_config_selectorILNS1_17partition_subalgoE3EjNS0_10empty_typeEbEEZZNS1_14partition_implILS8_3ELb0ES6_jNS0_17counting_iteratorIjlEEPS9_SE_NS0_5tupleIJPjSE_EEENSF_IJSE_SE_EEES9_SG_JZNS1_25segmented_radix_sort_implINS0_14default_configELb1EPKsPsPKlPlN2at6native12_GLOBAL__N_18offset_tEEE10hipError_tPvRmT1_PNSt15iterator_traitsISY_E10value_typeET2_T3_PNSZ_IS14_E10value_typeET4_jRbjT5_S1A_jjP12ihipStream_tbEUljE_EEESV_SW_SX_S14_S18_S1A_T6_T7_T9_mT8_S1C_bDpT10_ENKUlT_T0_E_clISt17integral_constantIbLb0EES1P_EEDaS1K_S1L_EUlS1K_E_NS1_11comp_targetILNS1_3genE8ELNS1_11target_archE1030ELNS1_3gpuE2ELNS1_3repE0EEENS1_30default_config_static_selectorELNS0_4arch9wavefront6targetE0EEEvSY_, .Lfunc_end886-_ZN7rocprim17ROCPRIM_400000_NS6detail17trampoline_kernelINS0_13select_configILj256ELj13ELNS0_17block_load_methodE3ELS4_3ELS4_3ELNS0_20block_scan_algorithmE0ELj4294967295EEENS1_25partition_config_selectorILNS1_17partition_subalgoE3EjNS0_10empty_typeEbEEZZNS1_14partition_implILS8_3ELb0ES6_jNS0_17counting_iteratorIjlEEPS9_SE_NS0_5tupleIJPjSE_EEENSF_IJSE_SE_EEES9_SG_JZNS1_25segmented_radix_sort_implINS0_14default_configELb1EPKsPsPKlPlN2at6native12_GLOBAL__N_18offset_tEEE10hipError_tPvRmT1_PNSt15iterator_traitsISY_E10value_typeET2_T3_PNSZ_IS14_E10value_typeET4_jRbjT5_S1A_jjP12ihipStream_tbEUljE_EEESV_SW_SX_S14_S18_S1A_T6_T7_T9_mT8_S1C_bDpT10_ENKUlT_T0_E_clISt17integral_constantIbLb0EES1P_EEDaS1K_S1L_EUlS1K_E_NS1_11comp_targetILNS1_3genE8ELNS1_11target_archE1030ELNS1_3gpuE2ELNS1_3repE0EEENS1_30default_config_static_selectorELNS0_4arch9wavefront6targetE0EEEvSY_
                                        ; -- End function
	.set _ZN7rocprim17ROCPRIM_400000_NS6detail17trampoline_kernelINS0_13select_configILj256ELj13ELNS0_17block_load_methodE3ELS4_3ELS4_3ELNS0_20block_scan_algorithmE0ELj4294967295EEENS1_25partition_config_selectorILNS1_17partition_subalgoE3EjNS0_10empty_typeEbEEZZNS1_14partition_implILS8_3ELb0ES6_jNS0_17counting_iteratorIjlEEPS9_SE_NS0_5tupleIJPjSE_EEENSF_IJSE_SE_EEES9_SG_JZNS1_25segmented_radix_sort_implINS0_14default_configELb1EPKsPsPKlPlN2at6native12_GLOBAL__N_18offset_tEEE10hipError_tPvRmT1_PNSt15iterator_traitsISY_E10value_typeET2_T3_PNSZ_IS14_E10value_typeET4_jRbjT5_S1A_jjP12ihipStream_tbEUljE_EEESV_SW_SX_S14_S18_S1A_T6_T7_T9_mT8_S1C_bDpT10_ENKUlT_T0_E_clISt17integral_constantIbLb0EES1P_EEDaS1K_S1L_EUlS1K_E_NS1_11comp_targetILNS1_3genE8ELNS1_11target_archE1030ELNS1_3gpuE2ELNS1_3repE0EEENS1_30default_config_static_selectorELNS0_4arch9wavefront6targetE0EEEvSY_.num_vgpr, 0
	.set _ZN7rocprim17ROCPRIM_400000_NS6detail17trampoline_kernelINS0_13select_configILj256ELj13ELNS0_17block_load_methodE3ELS4_3ELS4_3ELNS0_20block_scan_algorithmE0ELj4294967295EEENS1_25partition_config_selectorILNS1_17partition_subalgoE3EjNS0_10empty_typeEbEEZZNS1_14partition_implILS8_3ELb0ES6_jNS0_17counting_iteratorIjlEEPS9_SE_NS0_5tupleIJPjSE_EEENSF_IJSE_SE_EEES9_SG_JZNS1_25segmented_radix_sort_implINS0_14default_configELb1EPKsPsPKlPlN2at6native12_GLOBAL__N_18offset_tEEE10hipError_tPvRmT1_PNSt15iterator_traitsISY_E10value_typeET2_T3_PNSZ_IS14_E10value_typeET4_jRbjT5_S1A_jjP12ihipStream_tbEUljE_EEESV_SW_SX_S14_S18_S1A_T6_T7_T9_mT8_S1C_bDpT10_ENKUlT_T0_E_clISt17integral_constantIbLb0EES1P_EEDaS1K_S1L_EUlS1K_E_NS1_11comp_targetILNS1_3genE8ELNS1_11target_archE1030ELNS1_3gpuE2ELNS1_3repE0EEENS1_30default_config_static_selectorELNS0_4arch9wavefront6targetE0EEEvSY_.num_agpr, 0
	.set _ZN7rocprim17ROCPRIM_400000_NS6detail17trampoline_kernelINS0_13select_configILj256ELj13ELNS0_17block_load_methodE3ELS4_3ELS4_3ELNS0_20block_scan_algorithmE0ELj4294967295EEENS1_25partition_config_selectorILNS1_17partition_subalgoE3EjNS0_10empty_typeEbEEZZNS1_14partition_implILS8_3ELb0ES6_jNS0_17counting_iteratorIjlEEPS9_SE_NS0_5tupleIJPjSE_EEENSF_IJSE_SE_EEES9_SG_JZNS1_25segmented_radix_sort_implINS0_14default_configELb1EPKsPsPKlPlN2at6native12_GLOBAL__N_18offset_tEEE10hipError_tPvRmT1_PNSt15iterator_traitsISY_E10value_typeET2_T3_PNSZ_IS14_E10value_typeET4_jRbjT5_S1A_jjP12ihipStream_tbEUljE_EEESV_SW_SX_S14_S18_S1A_T6_T7_T9_mT8_S1C_bDpT10_ENKUlT_T0_E_clISt17integral_constantIbLb0EES1P_EEDaS1K_S1L_EUlS1K_E_NS1_11comp_targetILNS1_3genE8ELNS1_11target_archE1030ELNS1_3gpuE2ELNS1_3repE0EEENS1_30default_config_static_selectorELNS0_4arch9wavefront6targetE0EEEvSY_.numbered_sgpr, 0
	.set _ZN7rocprim17ROCPRIM_400000_NS6detail17trampoline_kernelINS0_13select_configILj256ELj13ELNS0_17block_load_methodE3ELS4_3ELS4_3ELNS0_20block_scan_algorithmE0ELj4294967295EEENS1_25partition_config_selectorILNS1_17partition_subalgoE3EjNS0_10empty_typeEbEEZZNS1_14partition_implILS8_3ELb0ES6_jNS0_17counting_iteratorIjlEEPS9_SE_NS0_5tupleIJPjSE_EEENSF_IJSE_SE_EEES9_SG_JZNS1_25segmented_radix_sort_implINS0_14default_configELb1EPKsPsPKlPlN2at6native12_GLOBAL__N_18offset_tEEE10hipError_tPvRmT1_PNSt15iterator_traitsISY_E10value_typeET2_T3_PNSZ_IS14_E10value_typeET4_jRbjT5_S1A_jjP12ihipStream_tbEUljE_EEESV_SW_SX_S14_S18_S1A_T6_T7_T9_mT8_S1C_bDpT10_ENKUlT_T0_E_clISt17integral_constantIbLb0EES1P_EEDaS1K_S1L_EUlS1K_E_NS1_11comp_targetILNS1_3genE8ELNS1_11target_archE1030ELNS1_3gpuE2ELNS1_3repE0EEENS1_30default_config_static_selectorELNS0_4arch9wavefront6targetE0EEEvSY_.num_named_barrier, 0
	.set _ZN7rocprim17ROCPRIM_400000_NS6detail17trampoline_kernelINS0_13select_configILj256ELj13ELNS0_17block_load_methodE3ELS4_3ELS4_3ELNS0_20block_scan_algorithmE0ELj4294967295EEENS1_25partition_config_selectorILNS1_17partition_subalgoE3EjNS0_10empty_typeEbEEZZNS1_14partition_implILS8_3ELb0ES6_jNS0_17counting_iteratorIjlEEPS9_SE_NS0_5tupleIJPjSE_EEENSF_IJSE_SE_EEES9_SG_JZNS1_25segmented_radix_sort_implINS0_14default_configELb1EPKsPsPKlPlN2at6native12_GLOBAL__N_18offset_tEEE10hipError_tPvRmT1_PNSt15iterator_traitsISY_E10value_typeET2_T3_PNSZ_IS14_E10value_typeET4_jRbjT5_S1A_jjP12ihipStream_tbEUljE_EEESV_SW_SX_S14_S18_S1A_T6_T7_T9_mT8_S1C_bDpT10_ENKUlT_T0_E_clISt17integral_constantIbLb0EES1P_EEDaS1K_S1L_EUlS1K_E_NS1_11comp_targetILNS1_3genE8ELNS1_11target_archE1030ELNS1_3gpuE2ELNS1_3repE0EEENS1_30default_config_static_selectorELNS0_4arch9wavefront6targetE0EEEvSY_.private_seg_size, 0
	.set _ZN7rocprim17ROCPRIM_400000_NS6detail17trampoline_kernelINS0_13select_configILj256ELj13ELNS0_17block_load_methodE3ELS4_3ELS4_3ELNS0_20block_scan_algorithmE0ELj4294967295EEENS1_25partition_config_selectorILNS1_17partition_subalgoE3EjNS0_10empty_typeEbEEZZNS1_14partition_implILS8_3ELb0ES6_jNS0_17counting_iteratorIjlEEPS9_SE_NS0_5tupleIJPjSE_EEENSF_IJSE_SE_EEES9_SG_JZNS1_25segmented_radix_sort_implINS0_14default_configELb1EPKsPsPKlPlN2at6native12_GLOBAL__N_18offset_tEEE10hipError_tPvRmT1_PNSt15iterator_traitsISY_E10value_typeET2_T3_PNSZ_IS14_E10value_typeET4_jRbjT5_S1A_jjP12ihipStream_tbEUljE_EEESV_SW_SX_S14_S18_S1A_T6_T7_T9_mT8_S1C_bDpT10_ENKUlT_T0_E_clISt17integral_constantIbLb0EES1P_EEDaS1K_S1L_EUlS1K_E_NS1_11comp_targetILNS1_3genE8ELNS1_11target_archE1030ELNS1_3gpuE2ELNS1_3repE0EEENS1_30default_config_static_selectorELNS0_4arch9wavefront6targetE0EEEvSY_.uses_vcc, 0
	.set _ZN7rocprim17ROCPRIM_400000_NS6detail17trampoline_kernelINS0_13select_configILj256ELj13ELNS0_17block_load_methodE3ELS4_3ELS4_3ELNS0_20block_scan_algorithmE0ELj4294967295EEENS1_25partition_config_selectorILNS1_17partition_subalgoE3EjNS0_10empty_typeEbEEZZNS1_14partition_implILS8_3ELb0ES6_jNS0_17counting_iteratorIjlEEPS9_SE_NS0_5tupleIJPjSE_EEENSF_IJSE_SE_EEES9_SG_JZNS1_25segmented_radix_sort_implINS0_14default_configELb1EPKsPsPKlPlN2at6native12_GLOBAL__N_18offset_tEEE10hipError_tPvRmT1_PNSt15iterator_traitsISY_E10value_typeET2_T3_PNSZ_IS14_E10value_typeET4_jRbjT5_S1A_jjP12ihipStream_tbEUljE_EEESV_SW_SX_S14_S18_S1A_T6_T7_T9_mT8_S1C_bDpT10_ENKUlT_T0_E_clISt17integral_constantIbLb0EES1P_EEDaS1K_S1L_EUlS1K_E_NS1_11comp_targetILNS1_3genE8ELNS1_11target_archE1030ELNS1_3gpuE2ELNS1_3repE0EEENS1_30default_config_static_selectorELNS0_4arch9wavefront6targetE0EEEvSY_.uses_flat_scratch, 0
	.set _ZN7rocprim17ROCPRIM_400000_NS6detail17trampoline_kernelINS0_13select_configILj256ELj13ELNS0_17block_load_methodE3ELS4_3ELS4_3ELNS0_20block_scan_algorithmE0ELj4294967295EEENS1_25partition_config_selectorILNS1_17partition_subalgoE3EjNS0_10empty_typeEbEEZZNS1_14partition_implILS8_3ELb0ES6_jNS0_17counting_iteratorIjlEEPS9_SE_NS0_5tupleIJPjSE_EEENSF_IJSE_SE_EEES9_SG_JZNS1_25segmented_radix_sort_implINS0_14default_configELb1EPKsPsPKlPlN2at6native12_GLOBAL__N_18offset_tEEE10hipError_tPvRmT1_PNSt15iterator_traitsISY_E10value_typeET2_T3_PNSZ_IS14_E10value_typeET4_jRbjT5_S1A_jjP12ihipStream_tbEUljE_EEESV_SW_SX_S14_S18_S1A_T6_T7_T9_mT8_S1C_bDpT10_ENKUlT_T0_E_clISt17integral_constantIbLb0EES1P_EEDaS1K_S1L_EUlS1K_E_NS1_11comp_targetILNS1_3genE8ELNS1_11target_archE1030ELNS1_3gpuE2ELNS1_3repE0EEENS1_30default_config_static_selectorELNS0_4arch9wavefront6targetE0EEEvSY_.has_dyn_sized_stack, 0
	.set _ZN7rocprim17ROCPRIM_400000_NS6detail17trampoline_kernelINS0_13select_configILj256ELj13ELNS0_17block_load_methodE3ELS4_3ELS4_3ELNS0_20block_scan_algorithmE0ELj4294967295EEENS1_25partition_config_selectorILNS1_17partition_subalgoE3EjNS0_10empty_typeEbEEZZNS1_14partition_implILS8_3ELb0ES6_jNS0_17counting_iteratorIjlEEPS9_SE_NS0_5tupleIJPjSE_EEENSF_IJSE_SE_EEES9_SG_JZNS1_25segmented_radix_sort_implINS0_14default_configELb1EPKsPsPKlPlN2at6native12_GLOBAL__N_18offset_tEEE10hipError_tPvRmT1_PNSt15iterator_traitsISY_E10value_typeET2_T3_PNSZ_IS14_E10value_typeET4_jRbjT5_S1A_jjP12ihipStream_tbEUljE_EEESV_SW_SX_S14_S18_S1A_T6_T7_T9_mT8_S1C_bDpT10_ENKUlT_T0_E_clISt17integral_constantIbLb0EES1P_EEDaS1K_S1L_EUlS1K_E_NS1_11comp_targetILNS1_3genE8ELNS1_11target_archE1030ELNS1_3gpuE2ELNS1_3repE0EEENS1_30default_config_static_selectorELNS0_4arch9wavefront6targetE0EEEvSY_.has_recursion, 0
	.set _ZN7rocprim17ROCPRIM_400000_NS6detail17trampoline_kernelINS0_13select_configILj256ELj13ELNS0_17block_load_methodE3ELS4_3ELS4_3ELNS0_20block_scan_algorithmE0ELj4294967295EEENS1_25partition_config_selectorILNS1_17partition_subalgoE3EjNS0_10empty_typeEbEEZZNS1_14partition_implILS8_3ELb0ES6_jNS0_17counting_iteratorIjlEEPS9_SE_NS0_5tupleIJPjSE_EEENSF_IJSE_SE_EEES9_SG_JZNS1_25segmented_radix_sort_implINS0_14default_configELb1EPKsPsPKlPlN2at6native12_GLOBAL__N_18offset_tEEE10hipError_tPvRmT1_PNSt15iterator_traitsISY_E10value_typeET2_T3_PNSZ_IS14_E10value_typeET4_jRbjT5_S1A_jjP12ihipStream_tbEUljE_EEESV_SW_SX_S14_S18_S1A_T6_T7_T9_mT8_S1C_bDpT10_ENKUlT_T0_E_clISt17integral_constantIbLb0EES1P_EEDaS1K_S1L_EUlS1K_E_NS1_11comp_targetILNS1_3genE8ELNS1_11target_archE1030ELNS1_3gpuE2ELNS1_3repE0EEENS1_30default_config_static_selectorELNS0_4arch9wavefront6targetE0EEEvSY_.has_indirect_call, 0
	.section	.AMDGPU.csdata,"",@progbits
; Kernel info:
; codeLenInByte = 0
; TotalNumSgprs: 0
; NumVgprs: 0
; ScratchSize: 0
; MemoryBound: 0
; FloatMode: 240
; IeeeMode: 1
; LDSByteSize: 0 bytes/workgroup (compile time only)
; SGPRBlocks: 0
; VGPRBlocks: 0
; NumSGPRsForWavesPerEU: 1
; NumVGPRsForWavesPerEU: 1
; Occupancy: 16
; WaveLimiterHint : 0
; COMPUTE_PGM_RSRC2:SCRATCH_EN: 0
; COMPUTE_PGM_RSRC2:USER_SGPR: 2
; COMPUTE_PGM_RSRC2:TRAP_HANDLER: 0
; COMPUTE_PGM_RSRC2:TGID_X_EN: 1
; COMPUTE_PGM_RSRC2:TGID_Y_EN: 0
; COMPUTE_PGM_RSRC2:TGID_Z_EN: 0
; COMPUTE_PGM_RSRC2:TIDIG_COMP_CNT: 0
	.section	.text._ZN7rocprim17ROCPRIM_400000_NS6detail17trampoline_kernelINS0_13select_configILj256ELj13ELNS0_17block_load_methodE3ELS4_3ELS4_3ELNS0_20block_scan_algorithmE0ELj4294967295EEENS1_25partition_config_selectorILNS1_17partition_subalgoE3EjNS0_10empty_typeEbEEZZNS1_14partition_implILS8_3ELb0ES6_jNS0_17counting_iteratorIjlEEPS9_SE_NS0_5tupleIJPjSE_EEENSF_IJSE_SE_EEES9_SG_JZNS1_25segmented_radix_sort_implINS0_14default_configELb1EPKsPsPKlPlN2at6native12_GLOBAL__N_18offset_tEEE10hipError_tPvRmT1_PNSt15iterator_traitsISY_E10value_typeET2_T3_PNSZ_IS14_E10value_typeET4_jRbjT5_S1A_jjP12ihipStream_tbEUljE_EEESV_SW_SX_S14_S18_S1A_T6_T7_T9_mT8_S1C_bDpT10_ENKUlT_T0_E_clISt17integral_constantIbLb1EES1P_EEDaS1K_S1L_EUlS1K_E_NS1_11comp_targetILNS1_3genE0ELNS1_11target_archE4294967295ELNS1_3gpuE0ELNS1_3repE0EEENS1_30default_config_static_selectorELNS0_4arch9wavefront6targetE0EEEvSY_,"axG",@progbits,_ZN7rocprim17ROCPRIM_400000_NS6detail17trampoline_kernelINS0_13select_configILj256ELj13ELNS0_17block_load_methodE3ELS4_3ELS4_3ELNS0_20block_scan_algorithmE0ELj4294967295EEENS1_25partition_config_selectorILNS1_17partition_subalgoE3EjNS0_10empty_typeEbEEZZNS1_14partition_implILS8_3ELb0ES6_jNS0_17counting_iteratorIjlEEPS9_SE_NS0_5tupleIJPjSE_EEENSF_IJSE_SE_EEES9_SG_JZNS1_25segmented_radix_sort_implINS0_14default_configELb1EPKsPsPKlPlN2at6native12_GLOBAL__N_18offset_tEEE10hipError_tPvRmT1_PNSt15iterator_traitsISY_E10value_typeET2_T3_PNSZ_IS14_E10value_typeET4_jRbjT5_S1A_jjP12ihipStream_tbEUljE_EEESV_SW_SX_S14_S18_S1A_T6_T7_T9_mT8_S1C_bDpT10_ENKUlT_T0_E_clISt17integral_constantIbLb1EES1P_EEDaS1K_S1L_EUlS1K_E_NS1_11comp_targetILNS1_3genE0ELNS1_11target_archE4294967295ELNS1_3gpuE0ELNS1_3repE0EEENS1_30default_config_static_selectorELNS0_4arch9wavefront6targetE0EEEvSY_,comdat
	.globl	_ZN7rocprim17ROCPRIM_400000_NS6detail17trampoline_kernelINS0_13select_configILj256ELj13ELNS0_17block_load_methodE3ELS4_3ELS4_3ELNS0_20block_scan_algorithmE0ELj4294967295EEENS1_25partition_config_selectorILNS1_17partition_subalgoE3EjNS0_10empty_typeEbEEZZNS1_14partition_implILS8_3ELb0ES6_jNS0_17counting_iteratorIjlEEPS9_SE_NS0_5tupleIJPjSE_EEENSF_IJSE_SE_EEES9_SG_JZNS1_25segmented_radix_sort_implINS0_14default_configELb1EPKsPsPKlPlN2at6native12_GLOBAL__N_18offset_tEEE10hipError_tPvRmT1_PNSt15iterator_traitsISY_E10value_typeET2_T3_PNSZ_IS14_E10value_typeET4_jRbjT5_S1A_jjP12ihipStream_tbEUljE_EEESV_SW_SX_S14_S18_S1A_T6_T7_T9_mT8_S1C_bDpT10_ENKUlT_T0_E_clISt17integral_constantIbLb1EES1P_EEDaS1K_S1L_EUlS1K_E_NS1_11comp_targetILNS1_3genE0ELNS1_11target_archE4294967295ELNS1_3gpuE0ELNS1_3repE0EEENS1_30default_config_static_selectorELNS0_4arch9wavefront6targetE0EEEvSY_ ; -- Begin function _ZN7rocprim17ROCPRIM_400000_NS6detail17trampoline_kernelINS0_13select_configILj256ELj13ELNS0_17block_load_methodE3ELS4_3ELS4_3ELNS0_20block_scan_algorithmE0ELj4294967295EEENS1_25partition_config_selectorILNS1_17partition_subalgoE3EjNS0_10empty_typeEbEEZZNS1_14partition_implILS8_3ELb0ES6_jNS0_17counting_iteratorIjlEEPS9_SE_NS0_5tupleIJPjSE_EEENSF_IJSE_SE_EEES9_SG_JZNS1_25segmented_radix_sort_implINS0_14default_configELb1EPKsPsPKlPlN2at6native12_GLOBAL__N_18offset_tEEE10hipError_tPvRmT1_PNSt15iterator_traitsISY_E10value_typeET2_T3_PNSZ_IS14_E10value_typeET4_jRbjT5_S1A_jjP12ihipStream_tbEUljE_EEESV_SW_SX_S14_S18_S1A_T6_T7_T9_mT8_S1C_bDpT10_ENKUlT_T0_E_clISt17integral_constantIbLb1EES1P_EEDaS1K_S1L_EUlS1K_E_NS1_11comp_targetILNS1_3genE0ELNS1_11target_archE4294967295ELNS1_3gpuE0ELNS1_3repE0EEENS1_30default_config_static_selectorELNS0_4arch9wavefront6targetE0EEEvSY_
	.p2align	8
	.type	_ZN7rocprim17ROCPRIM_400000_NS6detail17trampoline_kernelINS0_13select_configILj256ELj13ELNS0_17block_load_methodE3ELS4_3ELS4_3ELNS0_20block_scan_algorithmE0ELj4294967295EEENS1_25partition_config_selectorILNS1_17partition_subalgoE3EjNS0_10empty_typeEbEEZZNS1_14partition_implILS8_3ELb0ES6_jNS0_17counting_iteratorIjlEEPS9_SE_NS0_5tupleIJPjSE_EEENSF_IJSE_SE_EEES9_SG_JZNS1_25segmented_radix_sort_implINS0_14default_configELb1EPKsPsPKlPlN2at6native12_GLOBAL__N_18offset_tEEE10hipError_tPvRmT1_PNSt15iterator_traitsISY_E10value_typeET2_T3_PNSZ_IS14_E10value_typeET4_jRbjT5_S1A_jjP12ihipStream_tbEUljE_EEESV_SW_SX_S14_S18_S1A_T6_T7_T9_mT8_S1C_bDpT10_ENKUlT_T0_E_clISt17integral_constantIbLb1EES1P_EEDaS1K_S1L_EUlS1K_E_NS1_11comp_targetILNS1_3genE0ELNS1_11target_archE4294967295ELNS1_3gpuE0ELNS1_3repE0EEENS1_30default_config_static_selectorELNS0_4arch9wavefront6targetE0EEEvSY_,@function
_ZN7rocprim17ROCPRIM_400000_NS6detail17trampoline_kernelINS0_13select_configILj256ELj13ELNS0_17block_load_methodE3ELS4_3ELS4_3ELNS0_20block_scan_algorithmE0ELj4294967295EEENS1_25partition_config_selectorILNS1_17partition_subalgoE3EjNS0_10empty_typeEbEEZZNS1_14partition_implILS8_3ELb0ES6_jNS0_17counting_iteratorIjlEEPS9_SE_NS0_5tupleIJPjSE_EEENSF_IJSE_SE_EEES9_SG_JZNS1_25segmented_radix_sort_implINS0_14default_configELb1EPKsPsPKlPlN2at6native12_GLOBAL__N_18offset_tEEE10hipError_tPvRmT1_PNSt15iterator_traitsISY_E10value_typeET2_T3_PNSZ_IS14_E10value_typeET4_jRbjT5_S1A_jjP12ihipStream_tbEUljE_EEESV_SW_SX_S14_S18_S1A_T6_T7_T9_mT8_S1C_bDpT10_ENKUlT_T0_E_clISt17integral_constantIbLb1EES1P_EEDaS1K_S1L_EUlS1K_E_NS1_11comp_targetILNS1_3genE0ELNS1_11target_archE4294967295ELNS1_3gpuE0ELNS1_3repE0EEENS1_30default_config_static_selectorELNS0_4arch9wavefront6targetE0EEEvSY_: ; @_ZN7rocprim17ROCPRIM_400000_NS6detail17trampoline_kernelINS0_13select_configILj256ELj13ELNS0_17block_load_methodE3ELS4_3ELS4_3ELNS0_20block_scan_algorithmE0ELj4294967295EEENS1_25partition_config_selectorILNS1_17partition_subalgoE3EjNS0_10empty_typeEbEEZZNS1_14partition_implILS8_3ELb0ES6_jNS0_17counting_iteratorIjlEEPS9_SE_NS0_5tupleIJPjSE_EEENSF_IJSE_SE_EEES9_SG_JZNS1_25segmented_radix_sort_implINS0_14default_configELb1EPKsPsPKlPlN2at6native12_GLOBAL__N_18offset_tEEE10hipError_tPvRmT1_PNSt15iterator_traitsISY_E10value_typeET2_T3_PNSZ_IS14_E10value_typeET4_jRbjT5_S1A_jjP12ihipStream_tbEUljE_EEESV_SW_SX_S14_S18_S1A_T6_T7_T9_mT8_S1C_bDpT10_ENKUlT_T0_E_clISt17integral_constantIbLb1EES1P_EEDaS1K_S1L_EUlS1K_E_NS1_11comp_targetILNS1_3genE0ELNS1_11target_archE4294967295ELNS1_3gpuE0ELNS1_3repE0EEENS1_30default_config_static_selectorELNS0_4arch9wavefront6targetE0EEEvSY_
; %bb.0:
	.section	.rodata,"a",@progbits
	.p2align	6, 0x0
	.amdhsa_kernel _ZN7rocprim17ROCPRIM_400000_NS6detail17trampoline_kernelINS0_13select_configILj256ELj13ELNS0_17block_load_methodE3ELS4_3ELS4_3ELNS0_20block_scan_algorithmE0ELj4294967295EEENS1_25partition_config_selectorILNS1_17partition_subalgoE3EjNS0_10empty_typeEbEEZZNS1_14partition_implILS8_3ELb0ES6_jNS0_17counting_iteratorIjlEEPS9_SE_NS0_5tupleIJPjSE_EEENSF_IJSE_SE_EEES9_SG_JZNS1_25segmented_radix_sort_implINS0_14default_configELb1EPKsPsPKlPlN2at6native12_GLOBAL__N_18offset_tEEE10hipError_tPvRmT1_PNSt15iterator_traitsISY_E10value_typeET2_T3_PNSZ_IS14_E10value_typeET4_jRbjT5_S1A_jjP12ihipStream_tbEUljE_EEESV_SW_SX_S14_S18_S1A_T6_T7_T9_mT8_S1C_bDpT10_ENKUlT_T0_E_clISt17integral_constantIbLb1EES1P_EEDaS1K_S1L_EUlS1K_E_NS1_11comp_targetILNS1_3genE0ELNS1_11target_archE4294967295ELNS1_3gpuE0ELNS1_3repE0EEENS1_30default_config_static_selectorELNS0_4arch9wavefront6targetE0EEEvSY_
		.amdhsa_group_segment_fixed_size 0
		.amdhsa_private_segment_fixed_size 0
		.amdhsa_kernarg_size 152
		.amdhsa_user_sgpr_count 2
		.amdhsa_user_sgpr_dispatch_ptr 0
		.amdhsa_user_sgpr_queue_ptr 0
		.amdhsa_user_sgpr_kernarg_segment_ptr 1
		.amdhsa_user_sgpr_dispatch_id 0
		.amdhsa_user_sgpr_private_segment_size 0
		.amdhsa_wavefront_size32 1
		.amdhsa_uses_dynamic_stack 0
		.amdhsa_enable_private_segment 0
		.amdhsa_system_sgpr_workgroup_id_x 1
		.amdhsa_system_sgpr_workgroup_id_y 0
		.amdhsa_system_sgpr_workgroup_id_z 0
		.amdhsa_system_sgpr_workgroup_info 0
		.amdhsa_system_vgpr_workitem_id 0
		.amdhsa_next_free_vgpr 1
		.amdhsa_next_free_sgpr 1
		.amdhsa_reserve_vcc 0
		.amdhsa_float_round_mode_32 0
		.amdhsa_float_round_mode_16_64 0
		.amdhsa_float_denorm_mode_32 3
		.amdhsa_float_denorm_mode_16_64 3
		.amdhsa_fp16_overflow 0
		.amdhsa_workgroup_processor_mode 1
		.amdhsa_memory_ordered 1
		.amdhsa_forward_progress 1
		.amdhsa_inst_pref_size 0
		.amdhsa_round_robin_scheduling 0
		.amdhsa_exception_fp_ieee_invalid_op 0
		.amdhsa_exception_fp_denorm_src 0
		.amdhsa_exception_fp_ieee_div_zero 0
		.amdhsa_exception_fp_ieee_overflow 0
		.amdhsa_exception_fp_ieee_underflow 0
		.amdhsa_exception_fp_ieee_inexact 0
		.amdhsa_exception_int_div_zero 0
	.end_amdhsa_kernel
	.section	.text._ZN7rocprim17ROCPRIM_400000_NS6detail17trampoline_kernelINS0_13select_configILj256ELj13ELNS0_17block_load_methodE3ELS4_3ELS4_3ELNS0_20block_scan_algorithmE0ELj4294967295EEENS1_25partition_config_selectorILNS1_17partition_subalgoE3EjNS0_10empty_typeEbEEZZNS1_14partition_implILS8_3ELb0ES6_jNS0_17counting_iteratorIjlEEPS9_SE_NS0_5tupleIJPjSE_EEENSF_IJSE_SE_EEES9_SG_JZNS1_25segmented_radix_sort_implINS0_14default_configELb1EPKsPsPKlPlN2at6native12_GLOBAL__N_18offset_tEEE10hipError_tPvRmT1_PNSt15iterator_traitsISY_E10value_typeET2_T3_PNSZ_IS14_E10value_typeET4_jRbjT5_S1A_jjP12ihipStream_tbEUljE_EEESV_SW_SX_S14_S18_S1A_T6_T7_T9_mT8_S1C_bDpT10_ENKUlT_T0_E_clISt17integral_constantIbLb1EES1P_EEDaS1K_S1L_EUlS1K_E_NS1_11comp_targetILNS1_3genE0ELNS1_11target_archE4294967295ELNS1_3gpuE0ELNS1_3repE0EEENS1_30default_config_static_selectorELNS0_4arch9wavefront6targetE0EEEvSY_,"axG",@progbits,_ZN7rocprim17ROCPRIM_400000_NS6detail17trampoline_kernelINS0_13select_configILj256ELj13ELNS0_17block_load_methodE3ELS4_3ELS4_3ELNS0_20block_scan_algorithmE0ELj4294967295EEENS1_25partition_config_selectorILNS1_17partition_subalgoE3EjNS0_10empty_typeEbEEZZNS1_14partition_implILS8_3ELb0ES6_jNS0_17counting_iteratorIjlEEPS9_SE_NS0_5tupleIJPjSE_EEENSF_IJSE_SE_EEES9_SG_JZNS1_25segmented_radix_sort_implINS0_14default_configELb1EPKsPsPKlPlN2at6native12_GLOBAL__N_18offset_tEEE10hipError_tPvRmT1_PNSt15iterator_traitsISY_E10value_typeET2_T3_PNSZ_IS14_E10value_typeET4_jRbjT5_S1A_jjP12ihipStream_tbEUljE_EEESV_SW_SX_S14_S18_S1A_T6_T7_T9_mT8_S1C_bDpT10_ENKUlT_T0_E_clISt17integral_constantIbLb1EES1P_EEDaS1K_S1L_EUlS1K_E_NS1_11comp_targetILNS1_3genE0ELNS1_11target_archE4294967295ELNS1_3gpuE0ELNS1_3repE0EEENS1_30default_config_static_selectorELNS0_4arch9wavefront6targetE0EEEvSY_,comdat
.Lfunc_end887:
	.size	_ZN7rocprim17ROCPRIM_400000_NS6detail17trampoline_kernelINS0_13select_configILj256ELj13ELNS0_17block_load_methodE3ELS4_3ELS4_3ELNS0_20block_scan_algorithmE0ELj4294967295EEENS1_25partition_config_selectorILNS1_17partition_subalgoE3EjNS0_10empty_typeEbEEZZNS1_14partition_implILS8_3ELb0ES6_jNS0_17counting_iteratorIjlEEPS9_SE_NS0_5tupleIJPjSE_EEENSF_IJSE_SE_EEES9_SG_JZNS1_25segmented_radix_sort_implINS0_14default_configELb1EPKsPsPKlPlN2at6native12_GLOBAL__N_18offset_tEEE10hipError_tPvRmT1_PNSt15iterator_traitsISY_E10value_typeET2_T3_PNSZ_IS14_E10value_typeET4_jRbjT5_S1A_jjP12ihipStream_tbEUljE_EEESV_SW_SX_S14_S18_S1A_T6_T7_T9_mT8_S1C_bDpT10_ENKUlT_T0_E_clISt17integral_constantIbLb1EES1P_EEDaS1K_S1L_EUlS1K_E_NS1_11comp_targetILNS1_3genE0ELNS1_11target_archE4294967295ELNS1_3gpuE0ELNS1_3repE0EEENS1_30default_config_static_selectorELNS0_4arch9wavefront6targetE0EEEvSY_, .Lfunc_end887-_ZN7rocprim17ROCPRIM_400000_NS6detail17trampoline_kernelINS0_13select_configILj256ELj13ELNS0_17block_load_methodE3ELS4_3ELS4_3ELNS0_20block_scan_algorithmE0ELj4294967295EEENS1_25partition_config_selectorILNS1_17partition_subalgoE3EjNS0_10empty_typeEbEEZZNS1_14partition_implILS8_3ELb0ES6_jNS0_17counting_iteratorIjlEEPS9_SE_NS0_5tupleIJPjSE_EEENSF_IJSE_SE_EEES9_SG_JZNS1_25segmented_radix_sort_implINS0_14default_configELb1EPKsPsPKlPlN2at6native12_GLOBAL__N_18offset_tEEE10hipError_tPvRmT1_PNSt15iterator_traitsISY_E10value_typeET2_T3_PNSZ_IS14_E10value_typeET4_jRbjT5_S1A_jjP12ihipStream_tbEUljE_EEESV_SW_SX_S14_S18_S1A_T6_T7_T9_mT8_S1C_bDpT10_ENKUlT_T0_E_clISt17integral_constantIbLb1EES1P_EEDaS1K_S1L_EUlS1K_E_NS1_11comp_targetILNS1_3genE0ELNS1_11target_archE4294967295ELNS1_3gpuE0ELNS1_3repE0EEENS1_30default_config_static_selectorELNS0_4arch9wavefront6targetE0EEEvSY_
                                        ; -- End function
	.set _ZN7rocprim17ROCPRIM_400000_NS6detail17trampoline_kernelINS0_13select_configILj256ELj13ELNS0_17block_load_methodE3ELS4_3ELS4_3ELNS0_20block_scan_algorithmE0ELj4294967295EEENS1_25partition_config_selectorILNS1_17partition_subalgoE3EjNS0_10empty_typeEbEEZZNS1_14partition_implILS8_3ELb0ES6_jNS0_17counting_iteratorIjlEEPS9_SE_NS0_5tupleIJPjSE_EEENSF_IJSE_SE_EEES9_SG_JZNS1_25segmented_radix_sort_implINS0_14default_configELb1EPKsPsPKlPlN2at6native12_GLOBAL__N_18offset_tEEE10hipError_tPvRmT1_PNSt15iterator_traitsISY_E10value_typeET2_T3_PNSZ_IS14_E10value_typeET4_jRbjT5_S1A_jjP12ihipStream_tbEUljE_EEESV_SW_SX_S14_S18_S1A_T6_T7_T9_mT8_S1C_bDpT10_ENKUlT_T0_E_clISt17integral_constantIbLb1EES1P_EEDaS1K_S1L_EUlS1K_E_NS1_11comp_targetILNS1_3genE0ELNS1_11target_archE4294967295ELNS1_3gpuE0ELNS1_3repE0EEENS1_30default_config_static_selectorELNS0_4arch9wavefront6targetE0EEEvSY_.num_vgpr, 0
	.set _ZN7rocprim17ROCPRIM_400000_NS6detail17trampoline_kernelINS0_13select_configILj256ELj13ELNS0_17block_load_methodE3ELS4_3ELS4_3ELNS0_20block_scan_algorithmE0ELj4294967295EEENS1_25partition_config_selectorILNS1_17partition_subalgoE3EjNS0_10empty_typeEbEEZZNS1_14partition_implILS8_3ELb0ES6_jNS0_17counting_iteratorIjlEEPS9_SE_NS0_5tupleIJPjSE_EEENSF_IJSE_SE_EEES9_SG_JZNS1_25segmented_radix_sort_implINS0_14default_configELb1EPKsPsPKlPlN2at6native12_GLOBAL__N_18offset_tEEE10hipError_tPvRmT1_PNSt15iterator_traitsISY_E10value_typeET2_T3_PNSZ_IS14_E10value_typeET4_jRbjT5_S1A_jjP12ihipStream_tbEUljE_EEESV_SW_SX_S14_S18_S1A_T6_T7_T9_mT8_S1C_bDpT10_ENKUlT_T0_E_clISt17integral_constantIbLb1EES1P_EEDaS1K_S1L_EUlS1K_E_NS1_11comp_targetILNS1_3genE0ELNS1_11target_archE4294967295ELNS1_3gpuE0ELNS1_3repE0EEENS1_30default_config_static_selectorELNS0_4arch9wavefront6targetE0EEEvSY_.num_agpr, 0
	.set _ZN7rocprim17ROCPRIM_400000_NS6detail17trampoline_kernelINS0_13select_configILj256ELj13ELNS0_17block_load_methodE3ELS4_3ELS4_3ELNS0_20block_scan_algorithmE0ELj4294967295EEENS1_25partition_config_selectorILNS1_17partition_subalgoE3EjNS0_10empty_typeEbEEZZNS1_14partition_implILS8_3ELb0ES6_jNS0_17counting_iteratorIjlEEPS9_SE_NS0_5tupleIJPjSE_EEENSF_IJSE_SE_EEES9_SG_JZNS1_25segmented_radix_sort_implINS0_14default_configELb1EPKsPsPKlPlN2at6native12_GLOBAL__N_18offset_tEEE10hipError_tPvRmT1_PNSt15iterator_traitsISY_E10value_typeET2_T3_PNSZ_IS14_E10value_typeET4_jRbjT5_S1A_jjP12ihipStream_tbEUljE_EEESV_SW_SX_S14_S18_S1A_T6_T7_T9_mT8_S1C_bDpT10_ENKUlT_T0_E_clISt17integral_constantIbLb1EES1P_EEDaS1K_S1L_EUlS1K_E_NS1_11comp_targetILNS1_3genE0ELNS1_11target_archE4294967295ELNS1_3gpuE0ELNS1_3repE0EEENS1_30default_config_static_selectorELNS0_4arch9wavefront6targetE0EEEvSY_.numbered_sgpr, 0
	.set _ZN7rocprim17ROCPRIM_400000_NS6detail17trampoline_kernelINS0_13select_configILj256ELj13ELNS0_17block_load_methodE3ELS4_3ELS4_3ELNS0_20block_scan_algorithmE0ELj4294967295EEENS1_25partition_config_selectorILNS1_17partition_subalgoE3EjNS0_10empty_typeEbEEZZNS1_14partition_implILS8_3ELb0ES6_jNS0_17counting_iteratorIjlEEPS9_SE_NS0_5tupleIJPjSE_EEENSF_IJSE_SE_EEES9_SG_JZNS1_25segmented_radix_sort_implINS0_14default_configELb1EPKsPsPKlPlN2at6native12_GLOBAL__N_18offset_tEEE10hipError_tPvRmT1_PNSt15iterator_traitsISY_E10value_typeET2_T3_PNSZ_IS14_E10value_typeET4_jRbjT5_S1A_jjP12ihipStream_tbEUljE_EEESV_SW_SX_S14_S18_S1A_T6_T7_T9_mT8_S1C_bDpT10_ENKUlT_T0_E_clISt17integral_constantIbLb1EES1P_EEDaS1K_S1L_EUlS1K_E_NS1_11comp_targetILNS1_3genE0ELNS1_11target_archE4294967295ELNS1_3gpuE0ELNS1_3repE0EEENS1_30default_config_static_selectorELNS0_4arch9wavefront6targetE0EEEvSY_.num_named_barrier, 0
	.set _ZN7rocprim17ROCPRIM_400000_NS6detail17trampoline_kernelINS0_13select_configILj256ELj13ELNS0_17block_load_methodE3ELS4_3ELS4_3ELNS0_20block_scan_algorithmE0ELj4294967295EEENS1_25partition_config_selectorILNS1_17partition_subalgoE3EjNS0_10empty_typeEbEEZZNS1_14partition_implILS8_3ELb0ES6_jNS0_17counting_iteratorIjlEEPS9_SE_NS0_5tupleIJPjSE_EEENSF_IJSE_SE_EEES9_SG_JZNS1_25segmented_radix_sort_implINS0_14default_configELb1EPKsPsPKlPlN2at6native12_GLOBAL__N_18offset_tEEE10hipError_tPvRmT1_PNSt15iterator_traitsISY_E10value_typeET2_T3_PNSZ_IS14_E10value_typeET4_jRbjT5_S1A_jjP12ihipStream_tbEUljE_EEESV_SW_SX_S14_S18_S1A_T6_T7_T9_mT8_S1C_bDpT10_ENKUlT_T0_E_clISt17integral_constantIbLb1EES1P_EEDaS1K_S1L_EUlS1K_E_NS1_11comp_targetILNS1_3genE0ELNS1_11target_archE4294967295ELNS1_3gpuE0ELNS1_3repE0EEENS1_30default_config_static_selectorELNS0_4arch9wavefront6targetE0EEEvSY_.private_seg_size, 0
	.set _ZN7rocprim17ROCPRIM_400000_NS6detail17trampoline_kernelINS0_13select_configILj256ELj13ELNS0_17block_load_methodE3ELS4_3ELS4_3ELNS0_20block_scan_algorithmE0ELj4294967295EEENS1_25partition_config_selectorILNS1_17partition_subalgoE3EjNS0_10empty_typeEbEEZZNS1_14partition_implILS8_3ELb0ES6_jNS0_17counting_iteratorIjlEEPS9_SE_NS0_5tupleIJPjSE_EEENSF_IJSE_SE_EEES9_SG_JZNS1_25segmented_radix_sort_implINS0_14default_configELb1EPKsPsPKlPlN2at6native12_GLOBAL__N_18offset_tEEE10hipError_tPvRmT1_PNSt15iterator_traitsISY_E10value_typeET2_T3_PNSZ_IS14_E10value_typeET4_jRbjT5_S1A_jjP12ihipStream_tbEUljE_EEESV_SW_SX_S14_S18_S1A_T6_T7_T9_mT8_S1C_bDpT10_ENKUlT_T0_E_clISt17integral_constantIbLb1EES1P_EEDaS1K_S1L_EUlS1K_E_NS1_11comp_targetILNS1_3genE0ELNS1_11target_archE4294967295ELNS1_3gpuE0ELNS1_3repE0EEENS1_30default_config_static_selectorELNS0_4arch9wavefront6targetE0EEEvSY_.uses_vcc, 0
	.set _ZN7rocprim17ROCPRIM_400000_NS6detail17trampoline_kernelINS0_13select_configILj256ELj13ELNS0_17block_load_methodE3ELS4_3ELS4_3ELNS0_20block_scan_algorithmE0ELj4294967295EEENS1_25partition_config_selectorILNS1_17partition_subalgoE3EjNS0_10empty_typeEbEEZZNS1_14partition_implILS8_3ELb0ES6_jNS0_17counting_iteratorIjlEEPS9_SE_NS0_5tupleIJPjSE_EEENSF_IJSE_SE_EEES9_SG_JZNS1_25segmented_radix_sort_implINS0_14default_configELb1EPKsPsPKlPlN2at6native12_GLOBAL__N_18offset_tEEE10hipError_tPvRmT1_PNSt15iterator_traitsISY_E10value_typeET2_T3_PNSZ_IS14_E10value_typeET4_jRbjT5_S1A_jjP12ihipStream_tbEUljE_EEESV_SW_SX_S14_S18_S1A_T6_T7_T9_mT8_S1C_bDpT10_ENKUlT_T0_E_clISt17integral_constantIbLb1EES1P_EEDaS1K_S1L_EUlS1K_E_NS1_11comp_targetILNS1_3genE0ELNS1_11target_archE4294967295ELNS1_3gpuE0ELNS1_3repE0EEENS1_30default_config_static_selectorELNS0_4arch9wavefront6targetE0EEEvSY_.uses_flat_scratch, 0
	.set _ZN7rocprim17ROCPRIM_400000_NS6detail17trampoline_kernelINS0_13select_configILj256ELj13ELNS0_17block_load_methodE3ELS4_3ELS4_3ELNS0_20block_scan_algorithmE0ELj4294967295EEENS1_25partition_config_selectorILNS1_17partition_subalgoE3EjNS0_10empty_typeEbEEZZNS1_14partition_implILS8_3ELb0ES6_jNS0_17counting_iteratorIjlEEPS9_SE_NS0_5tupleIJPjSE_EEENSF_IJSE_SE_EEES9_SG_JZNS1_25segmented_radix_sort_implINS0_14default_configELb1EPKsPsPKlPlN2at6native12_GLOBAL__N_18offset_tEEE10hipError_tPvRmT1_PNSt15iterator_traitsISY_E10value_typeET2_T3_PNSZ_IS14_E10value_typeET4_jRbjT5_S1A_jjP12ihipStream_tbEUljE_EEESV_SW_SX_S14_S18_S1A_T6_T7_T9_mT8_S1C_bDpT10_ENKUlT_T0_E_clISt17integral_constantIbLb1EES1P_EEDaS1K_S1L_EUlS1K_E_NS1_11comp_targetILNS1_3genE0ELNS1_11target_archE4294967295ELNS1_3gpuE0ELNS1_3repE0EEENS1_30default_config_static_selectorELNS0_4arch9wavefront6targetE0EEEvSY_.has_dyn_sized_stack, 0
	.set _ZN7rocprim17ROCPRIM_400000_NS6detail17trampoline_kernelINS0_13select_configILj256ELj13ELNS0_17block_load_methodE3ELS4_3ELS4_3ELNS0_20block_scan_algorithmE0ELj4294967295EEENS1_25partition_config_selectorILNS1_17partition_subalgoE3EjNS0_10empty_typeEbEEZZNS1_14partition_implILS8_3ELb0ES6_jNS0_17counting_iteratorIjlEEPS9_SE_NS0_5tupleIJPjSE_EEENSF_IJSE_SE_EEES9_SG_JZNS1_25segmented_radix_sort_implINS0_14default_configELb1EPKsPsPKlPlN2at6native12_GLOBAL__N_18offset_tEEE10hipError_tPvRmT1_PNSt15iterator_traitsISY_E10value_typeET2_T3_PNSZ_IS14_E10value_typeET4_jRbjT5_S1A_jjP12ihipStream_tbEUljE_EEESV_SW_SX_S14_S18_S1A_T6_T7_T9_mT8_S1C_bDpT10_ENKUlT_T0_E_clISt17integral_constantIbLb1EES1P_EEDaS1K_S1L_EUlS1K_E_NS1_11comp_targetILNS1_3genE0ELNS1_11target_archE4294967295ELNS1_3gpuE0ELNS1_3repE0EEENS1_30default_config_static_selectorELNS0_4arch9wavefront6targetE0EEEvSY_.has_recursion, 0
	.set _ZN7rocprim17ROCPRIM_400000_NS6detail17trampoline_kernelINS0_13select_configILj256ELj13ELNS0_17block_load_methodE3ELS4_3ELS4_3ELNS0_20block_scan_algorithmE0ELj4294967295EEENS1_25partition_config_selectorILNS1_17partition_subalgoE3EjNS0_10empty_typeEbEEZZNS1_14partition_implILS8_3ELb0ES6_jNS0_17counting_iteratorIjlEEPS9_SE_NS0_5tupleIJPjSE_EEENSF_IJSE_SE_EEES9_SG_JZNS1_25segmented_radix_sort_implINS0_14default_configELb1EPKsPsPKlPlN2at6native12_GLOBAL__N_18offset_tEEE10hipError_tPvRmT1_PNSt15iterator_traitsISY_E10value_typeET2_T3_PNSZ_IS14_E10value_typeET4_jRbjT5_S1A_jjP12ihipStream_tbEUljE_EEESV_SW_SX_S14_S18_S1A_T6_T7_T9_mT8_S1C_bDpT10_ENKUlT_T0_E_clISt17integral_constantIbLb1EES1P_EEDaS1K_S1L_EUlS1K_E_NS1_11comp_targetILNS1_3genE0ELNS1_11target_archE4294967295ELNS1_3gpuE0ELNS1_3repE0EEENS1_30default_config_static_selectorELNS0_4arch9wavefront6targetE0EEEvSY_.has_indirect_call, 0
	.section	.AMDGPU.csdata,"",@progbits
; Kernel info:
; codeLenInByte = 0
; TotalNumSgprs: 0
; NumVgprs: 0
; ScratchSize: 0
; MemoryBound: 0
; FloatMode: 240
; IeeeMode: 1
; LDSByteSize: 0 bytes/workgroup (compile time only)
; SGPRBlocks: 0
; VGPRBlocks: 0
; NumSGPRsForWavesPerEU: 1
; NumVGPRsForWavesPerEU: 1
; Occupancy: 16
; WaveLimiterHint : 0
; COMPUTE_PGM_RSRC2:SCRATCH_EN: 0
; COMPUTE_PGM_RSRC2:USER_SGPR: 2
; COMPUTE_PGM_RSRC2:TRAP_HANDLER: 0
; COMPUTE_PGM_RSRC2:TGID_X_EN: 1
; COMPUTE_PGM_RSRC2:TGID_Y_EN: 0
; COMPUTE_PGM_RSRC2:TGID_Z_EN: 0
; COMPUTE_PGM_RSRC2:TIDIG_COMP_CNT: 0
	.section	.text._ZN7rocprim17ROCPRIM_400000_NS6detail17trampoline_kernelINS0_13select_configILj256ELj13ELNS0_17block_load_methodE3ELS4_3ELS4_3ELNS0_20block_scan_algorithmE0ELj4294967295EEENS1_25partition_config_selectorILNS1_17partition_subalgoE3EjNS0_10empty_typeEbEEZZNS1_14partition_implILS8_3ELb0ES6_jNS0_17counting_iteratorIjlEEPS9_SE_NS0_5tupleIJPjSE_EEENSF_IJSE_SE_EEES9_SG_JZNS1_25segmented_radix_sort_implINS0_14default_configELb1EPKsPsPKlPlN2at6native12_GLOBAL__N_18offset_tEEE10hipError_tPvRmT1_PNSt15iterator_traitsISY_E10value_typeET2_T3_PNSZ_IS14_E10value_typeET4_jRbjT5_S1A_jjP12ihipStream_tbEUljE_EEESV_SW_SX_S14_S18_S1A_T6_T7_T9_mT8_S1C_bDpT10_ENKUlT_T0_E_clISt17integral_constantIbLb1EES1P_EEDaS1K_S1L_EUlS1K_E_NS1_11comp_targetILNS1_3genE5ELNS1_11target_archE942ELNS1_3gpuE9ELNS1_3repE0EEENS1_30default_config_static_selectorELNS0_4arch9wavefront6targetE0EEEvSY_,"axG",@progbits,_ZN7rocprim17ROCPRIM_400000_NS6detail17trampoline_kernelINS0_13select_configILj256ELj13ELNS0_17block_load_methodE3ELS4_3ELS4_3ELNS0_20block_scan_algorithmE0ELj4294967295EEENS1_25partition_config_selectorILNS1_17partition_subalgoE3EjNS0_10empty_typeEbEEZZNS1_14partition_implILS8_3ELb0ES6_jNS0_17counting_iteratorIjlEEPS9_SE_NS0_5tupleIJPjSE_EEENSF_IJSE_SE_EEES9_SG_JZNS1_25segmented_radix_sort_implINS0_14default_configELb1EPKsPsPKlPlN2at6native12_GLOBAL__N_18offset_tEEE10hipError_tPvRmT1_PNSt15iterator_traitsISY_E10value_typeET2_T3_PNSZ_IS14_E10value_typeET4_jRbjT5_S1A_jjP12ihipStream_tbEUljE_EEESV_SW_SX_S14_S18_S1A_T6_T7_T9_mT8_S1C_bDpT10_ENKUlT_T0_E_clISt17integral_constantIbLb1EES1P_EEDaS1K_S1L_EUlS1K_E_NS1_11comp_targetILNS1_3genE5ELNS1_11target_archE942ELNS1_3gpuE9ELNS1_3repE0EEENS1_30default_config_static_selectorELNS0_4arch9wavefront6targetE0EEEvSY_,comdat
	.globl	_ZN7rocprim17ROCPRIM_400000_NS6detail17trampoline_kernelINS0_13select_configILj256ELj13ELNS0_17block_load_methodE3ELS4_3ELS4_3ELNS0_20block_scan_algorithmE0ELj4294967295EEENS1_25partition_config_selectorILNS1_17partition_subalgoE3EjNS0_10empty_typeEbEEZZNS1_14partition_implILS8_3ELb0ES6_jNS0_17counting_iteratorIjlEEPS9_SE_NS0_5tupleIJPjSE_EEENSF_IJSE_SE_EEES9_SG_JZNS1_25segmented_radix_sort_implINS0_14default_configELb1EPKsPsPKlPlN2at6native12_GLOBAL__N_18offset_tEEE10hipError_tPvRmT1_PNSt15iterator_traitsISY_E10value_typeET2_T3_PNSZ_IS14_E10value_typeET4_jRbjT5_S1A_jjP12ihipStream_tbEUljE_EEESV_SW_SX_S14_S18_S1A_T6_T7_T9_mT8_S1C_bDpT10_ENKUlT_T0_E_clISt17integral_constantIbLb1EES1P_EEDaS1K_S1L_EUlS1K_E_NS1_11comp_targetILNS1_3genE5ELNS1_11target_archE942ELNS1_3gpuE9ELNS1_3repE0EEENS1_30default_config_static_selectorELNS0_4arch9wavefront6targetE0EEEvSY_ ; -- Begin function _ZN7rocprim17ROCPRIM_400000_NS6detail17trampoline_kernelINS0_13select_configILj256ELj13ELNS0_17block_load_methodE3ELS4_3ELS4_3ELNS0_20block_scan_algorithmE0ELj4294967295EEENS1_25partition_config_selectorILNS1_17partition_subalgoE3EjNS0_10empty_typeEbEEZZNS1_14partition_implILS8_3ELb0ES6_jNS0_17counting_iteratorIjlEEPS9_SE_NS0_5tupleIJPjSE_EEENSF_IJSE_SE_EEES9_SG_JZNS1_25segmented_radix_sort_implINS0_14default_configELb1EPKsPsPKlPlN2at6native12_GLOBAL__N_18offset_tEEE10hipError_tPvRmT1_PNSt15iterator_traitsISY_E10value_typeET2_T3_PNSZ_IS14_E10value_typeET4_jRbjT5_S1A_jjP12ihipStream_tbEUljE_EEESV_SW_SX_S14_S18_S1A_T6_T7_T9_mT8_S1C_bDpT10_ENKUlT_T0_E_clISt17integral_constantIbLb1EES1P_EEDaS1K_S1L_EUlS1K_E_NS1_11comp_targetILNS1_3genE5ELNS1_11target_archE942ELNS1_3gpuE9ELNS1_3repE0EEENS1_30default_config_static_selectorELNS0_4arch9wavefront6targetE0EEEvSY_
	.p2align	8
	.type	_ZN7rocprim17ROCPRIM_400000_NS6detail17trampoline_kernelINS0_13select_configILj256ELj13ELNS0_17block_load_methodE3ELS4_3ELS4_3ELNS0_20block_scan_algorithmE0ELj4294967295EEENS1_25partition_config_selectorILNS1_17partition_subalgoE3EjNS0_10empty_typeEbEEZZNS1_14partition_implILS8_3ELb0ES6_jNS0_17counting_iteratorIjlEEPS9_SE_NS0_5tupleIJPjSE_EEENSF_IJSE_SE_EEES9_SG_JZNS1_25segmented_radix_sort_implINS0_14default_configELb1EPKsPsPKlPlN2at6native12_GLOBAL__N_18offset_tEEE10hipError_tPvRmT1_PNSt15iterator_traitsISY_E10value_typeET2_T3_PNSZ_IS14_E10value_typeET4_jRbjT5_S1A_jjP12ihipStream_tbEUljE_EEESV_SW_SX_S14_S18_S1A_T6_T7_T9_mT8_S1C_bDpT10_ENKUlT_T0_E_clISt17integral_constantIbLb1EES1P_EEDaS1K_S1L_EUlS1K_E_NS1_11comp_targetILNS1_3genE5ELNS1_11target_archE942ELNS1_3gpuE9ELNS1_3repE0EEENS1_30default_config_static_selectorELNS0_4arch9wavefront6targetE0EEEvSY_,@function
_ZN7rocprim17ROCPRIM_400000_NS6detail17trampoline_kernelINS0_13select_configILj256ELj13ELNS0_17block_load_methodE3ELS4_3ELS4_3ELNS0_20block_scan_algorithmE0ELj4294967295EEENS1_25partition_config_selectorILNS1_17partition_subalgoE3EjNS0_10empty_typeEbEEZZNS1_14partition_implILS8_3ELb0ES6_jNS0_17counting_iteratorIjlEEPS9_SE_NS0_5tupleIJPjSE_EEENSF_IJSE_SE_EEES9_SG_JZNS1_25segmented_radix_sort_implINS0_14default_configELb1EPKsPsPKlPlN2at6native12_GLOBAL__N_18offset_tEEE10hipError_tPvRmT1_PNSt15iterator_traitsISY_E10value_typeET2_T3_PNSZ_IS14_E10value_typeET4_jRbjT5_S1A_jjP12ihipStream_tbEUljE_EEESV_SW_SX_S14_S18_S1A_T6_T7_T9_mT8_S1C_bDpT10_ENKUlT_T0_E_clISt17integral_constantIbLb1EES1P_EEDaS1K_S1L_EUlS1K_E_NS1_11comp_targetILNS1_3genE5ELNS1_11target_archE942ELNS1_3gpuE9ELNS1_3repE0EEENS1_30default_config_static_selectorELNS0_4arch9wavefront6targetE0EEEvSY_: ; @_ZN7rocprim17ROCPRIM_400000_NS6detail17trampoline_kernelINS0_13select_configILj256ELj13ELNS0_17block_load_methodE3ELS4_3ELS4_3ELNS0_20block_scan_algorithmE0ELj4294967295EEENS1_25partition_config_selectorILNS1_17partition_subalgoE3EjNS0_10empty_typeEbEEZZNS1_14partition_implILS8_3ELb0ES6_jNS0_17counting_iteratorIjlEEPS9_SE_NS0_5tupleIJPjSE_EEENSF_IJSE_SE_EEES9_SG_JZNS1_25segmented_radix_sort_implINS0_14default_configELb1EPKsPsPKlPlN2at6native12_GLOBAL__N_18offset_tEEE10hipError_tPvRmT1_PNSt15iterator_traitsISY_E10value_typeET2_T3_PNSZ_IS14_E10value_typeET4_jRbjT5_S1A_jjP12ihipStream_tbEUljE_EEESV_SW_SX_S14_S18_S1A_T6_T7_T9_mT8_S1C_bDpT10_ENKUlT_T0_E_clISt17integral_constantIbLb1EES1P_EEDaS1K_S1L_EUlS1K_E_NS1_11comp_targetILNS1_3genE5ELNS1_11target_archE942ELNS1_3gpuE9ELNS1_3repE0EEENS1_30default_config_static_selectorELNS0_4arch9wavefront6targetE0EEEvSY_
; %bb.0:
	.section	.rodata,"a",@progbits
	.p2align	6, 0x0
	.amdhsa_kernel _ZN7rocprim17ROCPRIM_400000_NS6detail17trampoline_kernelINS0_13select_configILj256ELj13ELNS0_17block_load_methodE3ELS4_3ELS4_3ELNS0_20block_scan_algorithmE0ELj4294967295EEENS1_25partition_config_selectorILNS1_17partition_subalgoE3EjNS0_10empty_typeEbEEZZNS1_14partition_implILS8_3ELb0ES6_jNS0_17counting_iteratorIjlEEPS9_SE_NS0_5tupleIJPjSE_EEENSF_IJSE_SE_EEES9_SG_JZNS1_25segmented_radix_sort_implINS0_14default_configELb1EPKsPsPKlPlN2at6native12_GLOBAL__N_18offset_tEEE10hipError_tPvRmT1_PNSt15iterator_traitsISY_E10value_typeET2_T3_PNSZ_IS14_E10value_typeET4_jRbjT5_S1A_jjP12ihipStream_tbEUljE_EEESV_SW_SX_S14_S18_S1A_T6_T7_T9_mT8_S1C_bDpT10_ENKUlT_T0_E_clISt17integral_constantIbLb1EES1P_EEDaS1K_S1L_EUlS1K_E_NS1_11comp_targetILNS1_3genE5ELNS1_11target_archE942ELNS1_3gpuE9ELNS1_3repE0EEENS1_30default_config_static_selectorELNS0_4arch9wavefront6targetE0EEEvSY_
		.amdhsa_group_segment_fixed_size 0
		.amdhsa_private_segment_fixed_size 0
		.amdhsa_kernarg_size 152
		.amdhsa_user_sgpr_count 2
		.amdhsa_user_sgpr_dispatch_ptr 0
		.amdhsa_user_sgpr_queue_ptr 0
		.amdhsa_user_sgpr_kernarg_segment_ptr 1
		.amdhsa_user_sgpr_dispatch_id 0
		.amdhsa_user_sgpr_private_segment_size 0
		.amdhsa_wavefront_size32 1
		.amdhsa_uses_dynamic_stack 0
		.amdhsa_enable_private_segment 0
		.amdhsa_system_sgpr_workgroup_id_x 1
		.amdhsa_system_sgpr_workgroup_id_y 0
		.amdhsa_system_sgpr_workgroup_id_z 0
		.amdhsa_system_sgpr_workgroup_info 0
		.amdhsa_system_vgpr_workitem_id 0
		.amdhsa_next_free_vgpr 1
		.amdhsa_next_free_sgpr 1
		.amdhsa_reserve_vcc 0
		.amdhsa_float_round_mode_32 0
		.amdhsa_float_round_mode_16_64 0
		.amdhsa_float_denorm_mode_32 3
		.amdhsa_float_denorm_mode_16_64 3
		.amdhsa_fp16_overflow 0
		.amdhsa_workgroup_processor_mode 1
		.amdhsa_memory_ordered 1
		.amdhsa_forward_progress 1
		.amdhsa_inst_pref_size 0
		.amdhsa_round_robin_scheduling 0
		.amdhsa_exception_fp_ieee_invalid_op 0
		.amdhsa_exception_fp_denorm_src 0
		.amdhsa_exception_fp_ieee_div_zero 0
		.amdhsa_exception_fp_ieee_overflow 0
		.amdhsa_exception_fp_ieee_underflow 0
		.amdhsa_exception_fp_ieee_inexact 0
		.amdhsa_exception_int_div_zero 0
	.end_amdhsa_kernel
	.section	.text._ZN7rocprim17ROCPRIM_400000_NS6detail17trampoline_kernelINS0_13select_configILj256ELj13ELNS0_17block_load_methodE3ELS4_3ELS4_3ELNS0_20block_scan_algorithmE0ELj4294967295EEENS1_25partition_config_selectorILNS1_17partition_subalgoE3EjNS0_10empty_typeEbEEZZNS1_14partition_implILS8_3ELb0ES6_jNS0_17counting_iteratorIjlEEPS9_SE_NS0_5tupleIJPjSE_EEENSF_IJSE_SE_EEES9_SG_JZNS1_25segmented_radix_sort_implINS0_14default_configELb1EPKsPsPKlPlN2at6native12_GLOBAL__N_18offset_tEEE10hipError_tPvRmT1_PNSt15iterator_traitsISY_E10value_typeET2_T3_PNSZ_IS14_E10value_typeET4_jRbjT5_S1A_jjP12ihipStream_tbEUljE_EEESV_SW_SX_S14_S18_S1A_T6_T7_T9_mT8_S1C_bDpT10_ENKUlT_T0_E_clISt17integral_constantIbLb1EES1P_EEDaS1K_S1L_EUlS1K_E_NS1_11comp_targetILNS1_3genE5ELNS1_11target_archE942ELNS1_3gpuE9ELNS1_3repE0EEENS1_30default_config_static_selectorELNS0_4arch9wavefront6targetE0EEEvSY_,"axG",@progbits,_ZN7rocprim17ROCPRIM_400000_NS6detail17trampoline_kernelINS0_13select_configILj256ELj13ELNS0_17block_load_methodE3ELS4_3ELS4_3ELNS0_20block_scan_algorithmE0ELj4294967295EEENS1_25partition_config_selectorILNS1_17partition_subalgoE3EjNS0_10empty_typeEbEEZZNS1_14partition_implILS8_3ELb0ES6_jNS0_17counting_iteratorIjlEEPS9_SE_NS0_5tupleIJPjSE_EEENSF_IJSE_SE_EEES9_SG_JZNS1_25segmented_radix_sort_implINS0_14default_configELb1EPKsPsPKlPlN2at6native12_GLOBAL__N_18offset_tEEE10hipError_tPvRmT1_PNSt15iterator_traitsISY_E10value_typeET2_T3_PNSZ_IS14_E10value_typeET4_jRbjT5_S1A_jjP12ihipStream_tbEUljE_EEESV_SW_SX_S14_S18_S1A_T6_T7_T9_mT8_S1C_bDpT10_ENKUlT_T0_E_clISt17integral_constantIbLb1EES1P_EEDaS1K_S1L_EUlS1K_E_NS1_11comp_targetILNS1_3genE5ELNS1_11target_archE942ELNS1_3gpuE9ELNS1_3repE0EEENS1_30default_config_static_selectorELNS0_4arch9wavefront6targetE0EEEvSY_,comdat
.Lfunc_end888:
	.size	_ZN7rocprim17ROCPRIM_400000_NS6detail17trampoline_kernelINS0_13select_configILj256ELj13ELNS0_17block_load_methodE3ELS4_3ELS4_3ELNS0_20block_scan_algorithmE0ELj4294967295EEENS1_25partition_config_selectorILNS1_17partition_subalgoE3EjNS0_10empty_typeEbEEZZNS1_14partition_implILS8_3ELb0ES6_jNS0_17counting_iteratorIjlEEPS9_SE_NS0_5tupleIJPjSE_EEENSF_IJSE_SE_EEES9_SG_JZNS1_25segmented_radix_sort_implINS0_14default_configELb1EPKsPsPKlPlN2at6native12_GLOBAL__N_18offset_tEEE10hipError_tPvRmT1_PNSt15iterator_traitsISY_E10value_typeET2_T3_PNSZ_IS14_E10value_typeET4_jRbjT5_S1A_jjP12ihipStream_tbEUljE_EEESV_SW_SX_S14_S18_S1A_T6_T7_T9_mT8_S1C_bDpT10_ENKUlT_T0_E_clISt17integral_constantIbLb1EES1P_EEDaS1K_S1L_EUlS1K_E_NS1_11comp_targetILNS1_3genE5ELNS1_11target_archE942ELNS1_3gpuE9ELNS1_3repE0EEENS1_30default_config_static_selectorELNS0_4arch9wavefront6targetE0EEEvSY_, .Lfunc_end888-_ZN7rocprim17ROCPRIM_400000_NS6detail17trampoline_kernelINS0_13select_configILj256ELj13ELNS0_17block_load_methodE3ELS4_3ELS4_3ELNS0_20block_scan_algorithmE0ELj4294967295EEENS1_25partition_config_selectorILNS1_17partition_subalgoE3EjNS0_10empty_typeEbEEZZNS1_14partition_implILS8_3ELb0ES6_jNS0_17counting_iteratorIjlEEPS9_SE_NS0_5tupleIJPjSE_EEENSF_IJSE_SE_EEES9_SG_JZNS1_25segmented_radix_sort_implINS0_14default_configELb1EPKsPsPKlPlN2at6native12_GLOBAL__N_18offset_tEEE10hipError_tPvRmT1_PNSt15iterator_traitsISY_E10value_typeET2_T3_PNSZ_IS14_E10value_typeET4_jRbjT5_S1A_jjP12ihipStream_tbEUljE_EEESV_SW_SX_S14_S18_S1A_T6_T7_T9_mT8_S1C_bDpT10_ENKUlT_T0_E_clISt17integral_constantIbLb1EES1P_EEDaS1K_S1L_EUlS1K_E_NS1_11comp_targetILNS1_3genE5ELNS1_11target_archE942ELNS1_3gpuE9ELNS1_3repE0EEENS1_30default_config_static_selectorELNS0_4arch9wavefront6targetE0EEEvSY_
                                        ; -- End function
	.set _ZN7rocprim17ROCPRIM_400000_NS6detail17trampoline_kernelINS0_13select_configILj256ELj13ELNS0_17block_load_methodE3ELS4_3ELS4_3ELNS0_20block_scan_algorithmE0ELj4294967295EEENS1_25partition_config_selectorILNS1_17partition_subalgoE3EjNS0_10empty_typeEbEEZZNS1_14partition_implILS8_3ELb0ES6_jNS0_17counting_iteratorIjlEEPS9_SE_NS0_5tupleIJPjSE_EEENSF_IJSE_SE_EEES9_SG_JZNS1_25segmented_radix_sort_implINS0_14default_configELb1EPKsPsPKlPlN2at6native12_GLOBAL__N_18offset_tEEE10hipError_tPvRmT1_PNSt15iterator_traitsISY_E10value_typeET2_T3_PNSZ_IS14_E10value_typeET4_jRbjT5_S1A_jjP12ihipStream_tbEUljE_EEESV_SW_SX_S14_S18_S1A_T6_T7_T9_mT8_S1C_bDpT10_ENKUlT_T0_E_clISt17integral_constantIbLb1EES1P_EEDaS1K_S1L_EUlS1K_E_NS1_11comp_targetILNS1_3genE5ELNS1_11target_archE942ELNS1_3gpuE9ELNS1_3repE0EEENS1_30default_config_static_selectorELNS0_4arch9wavefront6targetE0EEEvSY_.num_vgpr, 0
	.set _ZN7rocprim17ROCPRIM_400000_NS6detail17trampoline_kernelINS0_13select_configILj256ELj13ELNS0_17block_load_methodE3ELS4_3ELS4_3ELNS0_20block_scan_algorithmE0ELj4294967295EEENS1_25partition_config_selectorILNS1_17partition_subalgoE3EjNS0_10empty_typeEbEEZZNS1_14partition_implILS8_3ELb0ES6_jNS0_17counting_iteratorIjlEEPS9_SE_NS0_5tupleIJPjSE_EEENSF_IJSE_SE_EEES9_SG_JZNS1_25segmented_radix_sort_implINS0_14default_configELb1EPKsPsPKlPlN2at6native12_GLOBAL__N_18offset_tEEE10hipError_tPvRmT1_PNSt15iterator_traitsISY_E10value_typeET2_T3_PNSZ_IS14_E10value_typeET4_jRbjT5_S1A_jjP12ihipStream_tbEUljE_EEESV_SW_SX_S14_S18_S1A_T6_T7_T9_mT8_S1C_bDpT10_ENKUlT_T0_E_clISt17integral_constantIbLb1EES1P_EEDaS1K_S1L_EUlS1K_E_NS1_11comp_targetILNS1_3genE5ELNS1_11target_archE942ELNS1_3gpuE9ELNS1_3repE0EEENS1_30default_config_static_selectorELNS0_4arch9wavefront6targetE0EEEvSY_.num_agpr, 0
	.set _ZN7rocprim17ROCPRIM_400000_NS6detail17trampoline_kernelINS0_13select_configILj256ELj13ELNS0_17block_load_methodE3ELS4_3ELS4_3ELNS0_20block_scan_algorithmE0ELj4294967295EEENS1_25partition_config_selectorILNS1_17partition_subalgoE3EjNS0_10empty_typeEbEEZZNS1_14partition_implILS8_3ELb0ES6_jNS0_17counting_iteratorIjlEEPS9_SE_NS0_5tupleIJPjSE_EEENSF_IJSE_SE_EEES9_SG_JZNS1_25segmented_radix_sort_implINS0_14default_configELb1EPKsPsPKlPlN2at6native12_GLOBAL__N_18offset_tEEE10hipError_tPvRmT1_PNSt15iterator_traitsISY_E10value_typeET2_T3_PNSZ_IS14_E10value_typeET4_jRbjT5_S1A_jjP12ihipStream_tbEUljE_EEESV_SW_SX_S14_S18_S1A_T6_T7_T9_mT8_S1C_bDpT10_ENKUlT_T0_E_clISt17integral_constantIbLb1EES1P_EEDaS1K_S1L_EUlS1K_E_NS1_11comp_targetILNS1_3genE5ELNS1_11target_archE942ELNS1_3gpuE9ELNS1_3repE0EEENS1_30default_config_static_selectorELNS0_4arch9wavefront6targetE0EEEvSY_.numbered_sgpr, 0
	.set _ZN7rocprim17ROCPRIM_400000_NS6detail17trampoline_kernelINS0_13select_configILj256ELj13ELNS0_17block_load_methodE3ELS4_3ELS4_3ELNS0_20block_scan_algorithmE0ELj4294967295EEENS1_25partition_config_selectorILNS1_17partition_subalgoE3EjNS0_10empty_typeEbEEZZNS1_14partition_implILS8_3ELb0ES6_jNS0_17counting_iteratorIjlEEPS9_SE_NS0_5tupleIJPjSE_EEENSF_IJSE_SE_EEES9_SG_JZNS1_25segmented_radix_sort_implINS0_14default_configELb1EPKsPsPKlPlN2at6native12_GLOBAL__N_18offset_tEEE10hipError_tPvRmT1_PNSt15iterator_traitsISY_E10value_typeET2_T3_PNSZ_IS14_E10value_typeET4_jRbjT5_S1A_jjP12ihipStream_tbEUljE_EEESV_SW_SX_S14_S18_S1A_T6_T7_T9_mT8_S1C_bDpT10_ENKUlT_T0_E_clISt17integral_constantIbLb1EES1P_EEDaS1K_S1L_EUlS1K_E_NS1_11comp_targetILNS1_3genE5ELNS1_11target_archE942ELNS1_3gpuE9ELNS1_3repE0EEENS1_30default_config_static_selectorELNS0_4arch9wavefront6targetE0EEEvSY_.num_named_barrier, 0
	.set _ZN7rocprim17ROCPRIM_400000_NS6detail17trampoline_kernelINS0_13select_configILj256ELj13ELNS0_17block_load_methodE3ELS4_3ELS4_3ELNS0_20block_scan_algorithmE0ELj4294967295EEENS1_25partition_config_selectorILNS1_17partition_subalgoE3EjNS0_10empty_typeEbEEZZNS1_14partition_implILS8_3ELb0ES6_jNS0_17counting_iteratorIjlEEPS9_SE_NS0_5tupleIJPjSE_EEENSF_IJSE_SE_EEES9_SG_JZNS1_25segmented_radix_sort_implINS0_14default_configELb1EPKsPsPKlPlN2at6native12_GLOBAL__N_18offset_tEEE10hipError_tPvRmT1_PNSt15iterator_traitsISY_E10value_typeET2_T3_PNSZ_IS14_E10value_typeET4_jRbjT5_S1A_jjP12ihipStream_tbEUljE_EEESV_SW_SX_S14_S18_S1A_T6_T7_T9_mT8_S1C_bDpT10_ENKUlT_T0_E_clISt17integral_constantIbLb1EES1P_EEDaS1K_S1L_EUlS1K_E_NS1_11comp_targetILNS1_3genE5ELNS1_11target_archE942ELNS1_3gpuE9ELNS1_3repE0EEENS1_30default_config_static_selectorELNS0_4arch9wavefront6targetE0EEEvSY_.private_seg_size, 0
	.set _ZN7rocprim17ROCPRIM_400000_NS6detail17trampoline_kernelINS0_13select_configILj256ELj13ELNS0_17block_load_methodE3ELS4_3ELS4_3ELNS0_20block_scan_algorithmE0ELj4294967295EEENS1_25partition_config_selectorILNS1_17partition_subalgoE3EjNS0_10empty_typeEbEEZZNS1_14partition_implILS8_3ELb0ES6_jNS0_17counting_iteratorIjlEEPS9_SE_NS0_5tupleIJPjSE_EEENSF_IJSE_SE_EEES9_SG_JZNS1_25segmented_radix_sort_implINS0_14default_configELb1EPKsPsPKlPlN2at6native12_GLOBAL__N_18offset_tEEE10hipError_tPvRmT1_PNSt15iterator_traitsISY_E10value_typeET2_T3_PNSZ_IS14_E10value_typeET4_jRbjT5_S1A_jjP12ihipStream_tbEUljE_EEESV_SW_SX_S14_S18_S1A_T6_T7_T9_mT8_S1C_bDpT10_ENKUlT_T0_E_clISt17integral_constantIbLb1EES1P_EEDaS1K_S1L_EUlS1K_E_NS1_11comp_targetILNS1_3genE5ELNS1_11target_archE942ELNS1_3gpuE9ELNS1_3repE0EEENS1_30default_config_static_selectorELNS0_4arch9wavefront6targetE0EEEvSY_.uses_vcc, 0
	.set _ZN7rocprim17ROCPRIM_400000_NS6detail17trampoline_kernelINS0_13select_configILj256ELj13ELNS0_17block_load_methodE3ELS4_3ELS4_3ELNS0_20block_scan_algorithmE0ELj4294967295EEENS1_25partition_config_selectorILNS1_17partition_subalgoE3EjNS0_10empty_typeEbEEZZNS1_14partition_implILS8_3ELb0ES6_jNS0_17counting_iteratorIjlEEPS9_SE_NS0_5tupleIJPjSE_EEENSF_IJSE_SE_EEES9_SG_JZNS1_25segmented_radix_sort_implINS0_14default_configELb1EPKsPsPKlPlN2at6native12_GLOBAL__N_18offset_tEEE10hipError_tPvRmT1_PNSt15iterator_traitsISY_E10value_typeET2_T3_PNSZ_IS14_E10value_typeET4_jRbjT5_S1A_jjP12ihipStream_tbEUljE_EEESV_SW_SX_S14_S18_S1A_T6_T7_T9_mT8_S1C_bDpT10_ENKUlT_T0_E_clISt17integral_constantIbLb1EES1P_EEDaS1K_S1L_EUlS1K_E_NS1_11comp_targetILNS1_3genE5ELNS1_11target_archE942ELNS1_3gpuE9ELNS1_3repE0EEENS1_30default_config_static_selectorELNS0_4arch9wavefront6targetE0EEEvSY_.uses_flat_scratch, 0
	.set _ZN7rocprim17ROCPRIM_400000_NS6detail17trampoline_kernelINS0_13select_configILj256ELj13ELNS0_17block_load_methodE3ELS4_3ELS4_3ELNS0_20block_scan_algorithmE0ELj4294967295EEENS1_25partition_config_selectorILNS1_17partition_subalgoE3EjNS0_10empty_typeEbEEZZNS1_14partition_implILS8_3ELb0ES6_jNS0_17counting_iteratorIjlEEPS9_SE_NS0_5tupleIJPjSE_EEENSF_IJSE_SE_EEES9_SG_JZNS1_25segmented_radix_sort_implINS0_14default_configELb1EPKsPsPKlPlN2at6native12_GLOBAL__N_18offset_tEEE10hipError_tPvRmT1_PNSt15iterator_traitsISY_E10value_typeET2_T3_PNSZ_IS14_E10value_typeET4_jRbjT5_S1A_jjP12ihipStream_tbEUljE_EEESV_SW_SX_S14_S18_S1A_T6_T7_T9_mT8_S1C_bDpT10_ENKUlT_T0_E_clISt17integral_constantIbLb1EES1P_EEDaS1K_S1L_EUlS1K_E_NS1_11comp_targetILNS1_3genE5ELNS1_11target_archE942ELNS1_3gpuE9ELNS1_3repE0EEENS1_30default_config_static_selectorELNS0_4arch9wavefront6targetE0EEEvSY_.has_dyn_sized_stack, 0
	.set _ZN7rocprim17ROCPRIM_400000_NS6detail17trampoline_kernelINS0_13select_configILj256ELj13ELNS0_17block_load_methodE3ELS4_3ELS4_3ELNS0_20block_scan_algorithmE0ELj4294967295EEENS1_25partition_config_selectorILNS1_17partition_subalgoE3EjNS0_10empty_typeEbEEZZNS1_14partition_implILS8_3ELb0ES6_jNS0_17counting_iteratorIjlEEPS9_SE_NS0_5tupleIJPjSE_EEENSF_IJSE_SE_EEES9_SG_JZNS1_25segmented_radix_sort_implINS0_14default_configELb1EPKsPsPKlPlN2at6native12_GLOBAL__N_18offset_tEEE10hipError_tPvRmT1_PNSt15iterator_traitsISY_E10value_typeET2_T3_PNSZ_IS14_E10value_typeET4_jRbjT5_S1A_jjP12ihipStream_tbEUljE_EEESV_SW_SX_S14_S18_S1A_T6_T7_T9_mT8_S1C_bDpT10_ENKUlT_T0_E_clISt17integral_constantIbLb1EES1P_EEDaS1K_S1L_EUlS1K_E_NS1_11comp_targetILNS1_3genE5ELNS1_11target_archE942ELNS1_3gpuE9ELNS1_3repE0EEENS1_30default_config_static_selectorELNS0_4arch9wavefront6targetE0EEEvSY_.has_recursion, 0
	.set _ZN7rocprim17ROCPRIM_400000_NS6detail17trampoline_kernelINS0_13select_configILj256ELj13ELNS0_17block_load_methodE3ELS4_3ELS4_3ELNS0_20block_scan_algorithmE0ELj4294967295EEENS1_25partition_config_selectorILNS1_17partition_subalgoE3EjNS0_10empty_typeEbEEZZNS1_14partition_implILS8_3ELb0ES6_jNS0_17counting_iteratorIjlEEPS9_SE_NS0_5tupleIJPjSE_EEENSF_IJSE_SE_EEES9_SG_JZNS1_25segmented_radix_sort_implINS0_14default_configELb1EPKsPsPKlPlN2at6native12_GLOBAL__N_18offset_tEEE10hipError_tPvRmT1_PNSt15iterator_traitsISY_E10value_typeET2_T3_PNSZ_IS14_E10value_typeET4_jRbjT5_S1A_jjP12ihipStream_tbEUljE_EEESV_SW_SX_S14_S18_S1A_T6_T7_T9_mT8_S1C_bDpT10_ENKUlT_T0_E_clISt17integral_constantIbLb1EES1P_EEDaS1K_S1L_EUlS1K_E_NS1_11comp_targetILNS1_3genE5ELNS1_11target_archE942ELNS1_3gpuE9ELNS1_3repE0EEENS1_30default_config_static_selectorELNS0_4arch9wavefront6targetE0EEEvSY_.has_indirect_call, 0
	.section	.AMDGPU.csdata,"",@progbits
; Kernel info:
; codeLenInByte = 0
; TotalNumSgprs: 0
; NumVgprs: 0
; ScratchSize: 0
; MemoryBound: 0
; FloatMode: 240
; IeeeMode: 1
; LDSByteSize: 0 bytes/workgroup (compile time only)
; SGPRBlocks: 0
; VGPRBlocks: 0
; NumSGPRsForWavesPerEU: 1
; NumVGPRsForWavesPerEU: 1
; Occupancy: 16
; WaveLimiterHint : 0
; COMPUTE_PGM_RSRC2:SCRATCH_EN: 0
; COMPUTE_PGM_RSRC2:USER_SGPR: 2
; COMPUTE_PGM_RSRC2:TRAP_HANDLER: 0
; COMPUTE_PGM_RSRC2:TGID_X_EN: 1
; COMPUTE_PGM_RSRC2:TGID_Y_EN: 0
; COMPUTE_PGM_RSRC2:TGID_Z_EN: 0
; COMPUTE_PGM_RSRC2:TIDIG_COMP_CNT: 0
	.section	.text._ZN7rocprim17ROCPRIM_400000_NS6detail17trampoline_kernelINS0_13select_configILj256ELj13ELNS0_17block_load_methodE3ELS4_3ELS4_3ELNS0_20block_scan_algorithmE0ELj4294967295EEENS1_25partition_config_selectorILNS1_17partition_subalgoE3EjNS0_10empty_typeEbEEZZNS1_14partition_implILS8_3ELb0ES6_jNS0_17counting_iteratorIjlEEPS9_SE_NS0_5tupleIJPjSE_EEENSF_IJSE_SE_EEES9_SG_JZNS1_25segmented_radix_sort_implINS0_14default_configELb1EPKsPsPKlPlN2at6native12_GLOBAL__N_18offset_tEEE10hipError_tPvRmT1_PNSt15iterator_traitsISY_E10value_typeET2_T3_PNSZ_IS14_E10value_typeET4_jRbjT5_S1A_jjP12ihipStream_tbEUljE_EEESV_SW_SX_S14_S18_S1A_T6_T7_T9_mT8_S1C_bDpT10_ENKUlT_T0_E_clISt17integral_constantIbLb1EES1P_EEDaS1K_S1L_EUlS1K_E_NS1_11comp_targetILNS1_3genE4ELNS1_11target_archE910ELNS1_3gpuE8ELNS1_3repE0EEENS1_30default_config_static_selectorELNS0_4arch9wavefront6targetE0EEEvSY_,"axG",@progbits,_ZN7rocprim17ROCPRIM_400000_NS6detail17trampoline_kernelINS0_13select_configILj256ELj13ELNS0_17block_load_methodE3ELS4_3ELS4_3ELNS0_20block_scan_algorithmE0ELj4294967295EEENS1_25partition_config_selectorILNS1_17partition_subalgoE3EjNS0_10empty_typeEbEEZZNS1_14partition_implILS8_3ELb0ES6_jNS0_17counting_iteratorIjlEEPS9_SE_NS0_5tupleIJPjSE_EEENSF_IJSE_SE_EEES9_SG_JZNS1_25segmented_radix_sort_implINS0_14default_configELb1EPKsPsPKlPlN2at6native12_GLOBAL__N_18offset_tEEE10hipError_tPvRmT1_PNSt15iterator_traitsISY_E10value_typeET2_T3_PNSZ_IS14_E10value_typeET4_jRbjT5_S1A_jjP12ihipStream_tbEUljE_EEESV_SW_SX_S14_S18_S1A_T6_T7_T9_mT8_S1C_bDpT10_ENKUlT_T0_E_clISt17integral_constantIbLb1EES1P_EEDaS1K_S1L_EUlS1K_E_NS1_11comp_targetILNS1_3genE4ELNS1_11target_archE910ELNS1_3gpuE8ELNS1_3repE0EEENS1_30default_config_static_selectorELNS0_4arch9wavefront6targetE0EEEvSY_,comdat
	.globl	_ZN7rocprim17ROCPRIM_400000_NS6detail17trampoline_kernelINS0_13select_configILj256ELj13ELNS0_17block_load_methodE3ELS4_3ELS4_3ELNS0_20block_scan_algorithmE0ELj4294967295EEENS1_25partition_config_selectorILNS1_17partition_subalgoE3EjNS0_10empty_typeEbEEZZNS1_14partition_implILS8_3ELb0ES6_jNS0_17counting_iteratorIjlEEPS9_SE_NS0_5tupleIJPjSE_EEENSF_IJSE_SE_EEES9_SG_JZNS1_25segmented_radix_sort_implINS0_14default_configELb1EPKsPsPKlPlN2at6native12_GLOBAL__N_18offset_tEEE10hipError_tPvRmT1_PNSt15iterator_traitsISY_E10value_typeET2_T3_PNSZ_IS14_E10value_typeET4_jRbjT5_S1A_jjP12ihipStream_tbEUljE_EEESV_SW_SX_S14_S18_S1A_T6_T7_T9_mT8_S1C_bDpT10_ENKUlT_T0_E_clISt17integral_constantIbLb1EES1P_EEDaS1K_S1L_EUlS1K_E_NS1_11comp_targetILNS1_3genE4ELNS1_11target_archE910ELNS1_3gpuE8ELNS1_3repE0EEENS1_30default_config_static_selectorELNS0_4arch9wavefront6targetE0EEEvSY_ ; -- Begin function _ZN7rocprim17ROCPRIM_400000_NS6detail17trampoline_kernelINS0_13select_configILj256ELj13ELNS0_17block_load_methodE3ELS4_3ELS4_3ELNS0_20block_scan_algorithmE0ELj4294967295EEENS1_25partition_config_selectorILNS1_17partition_subalgoE3EjNS0_10empty_typeEbEEZZNS1_14partition_implILS8_3ELb0ES6_jNS0_17counting_iteratorIjlEEPS9_SE_NS0_5tupleIJPjSE_EEENSF_IJSE_SE_EEES9_SG_JZNS1_25segmented_radix_sort_implINS0_14default_configELb1EPKsPsPKlPlN2at6native12_GLOBAL__N_18offset_tEEE10hipError_tPvRmT1_PNSt15iterator_traitsISY_E10value_typeET2_T3_PNSZ_IS14_E10value_typeET4_jRbjT5_S1A_jjP12ihipStream_tbEUljE_EEESV_SW_SX_S14_S18_S1A_T6_T7_T9_mT8_S1C_bDpT10_ENKUlT_T0_E_clISt17integral_constantIbLb1EES1P_EEDaS1K_S1L_EUlS1K_E_NS1_11comp_targetILNS1_3genE4ELNS1_11target_archE910ELNS1_3gpuE8ELNS1_3repE0EEENS1_30default_config_static_selectorELNS0_4arch9wavefront6targetE0EEEvSY_
	.p2align	8
	.type	_ZN7rocprim17ROCPRIM_400000_NS6detail17trampoline_kernelINS0_13select_configILj256ELj13ELNS0_17block_load_methodE3ELS4_3ELS4_3ELNS0_20block_scan_algorithmE0ELj4294967295EEENS1_25partition_config_selectorILNS1_17partition_subalgoE3EjNS0_10empty_typeEbEEZZNS1_14partition_implILS8_3ELb0ES6_jNS0_17counting_iteratorIjlEEPS9_SE_NS0_5tupleIJPjSE_EEENSF_IJSE_SE_EEES9_SG_JZNS1_25segmented_radix_sort_implINS0_14default_configELb1EPKsPsPKlPlN2at6native12_GLOBAL__N_18offset_tEEE10hipError_tPvRmT1_PNSt15iterator_traitsISY_E10value_typeET2_T3_PNSZ_IS14_E10value_typeET4_jRbjT5_S1A_jjP12ihipStream_tbEUljE_EEESV_SW_SX_S14_S18_S1A_T6_T7_T9_mT8_S1C_bDpT10_ENKUlT_T0_E_clISt17integral_constantIbLb1EES1P_EEDaS1K_S1L_EUlS1K_E_NS1_11comp_targetILNS1_3genE4ELNS1_11target_archE910ELNS1_3gpuE8ELNS1_3repE0EEENS1_30default_config_static_selectorELNS0_4arch9wavefront6targetE0EEEvSY_,@function
_ZN7rocprim17ROCPRIM_400000_NS6detail17trampoline_kernelINS0_13select_configILj256ELj13ELNS0_17block_load_methodE3ELS4_3ELS4_3ELNS0_20block_scan_algorithmE0ELj4294967295EEENS1_25partition_config_selectorILNS1_17partition_subalgoE3EjNS0_10empty_typeEbEEZZNS1_14partition_implILS8_3ELb0ES6_jNS0_17counting_iteratorIjlEEPS9_SE_NS0_5tupleIJPjSE_EEENSF_IJSE_SE_EEES9_SG_JZNS1_25segmented_radix_sort_implINS0_14default_configELb1EPKsPsPKlPlN2at6native12_GLOBAL__N_18offset_tEEE10hipError_tPvRmT1_PNSt15iterator_traitsISY_E10value_typeET2_T3_PNSZ_IS14_E10value_typeET4_jRbjT5_S1A_jjP12ihipStream_tbEUljE_EEESV_SW_SX_S14_S18_S1A_T6_T7_T9_mT8_S1C_bDpT10_ENKUlT_T0_E_clISt17integral_constantIbLb1EES1P_EEDaS1K_S1L_EUlS1K_E_NS1_11comp_targetILNS1_3genE4ELNS1_11target_archE910ELNS1_3gpuE8ELNS1_3repE0EEENS1_30default_config_static_selectorELNS0_4arch9wavefront6targetE0EEEvSY_: ; @_ZN7rocprim17ROCPRIM_400000_NS6detail17trampoline_kernelINS0_13select_configILj256ELj13ELNS0_17block_load_methodE3ELS4_3ELS4_3ELNS0_20block_scan_algorithmE0ELj4294967295EEENS1_25partition_config_selectorILNS1_17partition_subalgoE3EjNS0_10empty_typeEbEEZZNS1_14partition_implILS8_3ELb0ES6_jNS0_17counting_iteratorIjlEEPS9_SE_NS0_5tupleIJPjSE_EEENSF_IJSE_SE_EEES9_SG_JZNS1_25segmented_radix_sort_implINS0_14default_configELb1EPKsPsPKlPlN2at6native12_GLOBAL__N_18offset_tEEE10hipError_tPvRmT1_PNSt15iterator_traitsISY_E10value_typeET2_T3_PNSZ_IS14_E10value_typeET4_jRbjT5_S1A_jjP12ihipStream_tbEUljE_EEESV_SW_SX_S14_S18_S1A_T6_T7_T9_mT8_S1C_bDpT10_ENKUlT_T0_E_clISt17integral_constantIbLb1EES1P_EEDaS1K_S1L_EUlS1K_E_NS1_11comp_targetILNS1_3genE4ELNS1_11target_archE910ELNS1_3gpuE8ELNS1_3repE0EEENS1_30default_config_static_selectorELNS0_4arch9wavefront6targetE0EEEvSY_
; %bb.0:
	.section	.rodata,"a",@progbits
	.p2align	6, 0x0
	.amdhsa_kernel _ZN7rocprim17ROCPRIM_400000_NS6detail17trampoline_kernelINS0_13select_configILj256ELj13ELNS0_17block_load_methodE3ELS4_3ELS4_3ELNS0_20block_scan_algorithmE0ELj4294967295EEENS1_25partition_config_selectorILNS1_17partition_subalgoE3EjNS0_10empty_typeEbEEZZNS1_14partition_implILS8_3ELb0ES6_jNS0_17counting_iteratorIjlEEPS9_SE_NS0_5tupleIJPjSE_EEENSF_IJSE_SE_EEES9_SG_JZNS1_25segmented_radix_sort_implINS0_14default_configELb1EPKsPsPKlPlN2at6native12_GLOBAL__N_18offset_tEEE10hipError_tPvRmT1_PNSt15iterator_traitsISY_E10value_typeET2_T3_PNSZ_IS14_E10value_typeET4_jRbjT5_S1A_jjP12ihipStream_tbEUljE_EEESV_SW_SX_S14_S18_S1A_T6_T7_T9_mT8_S1C_bDpT10_ENKUlT_T0_E_clISt17integral_constantIbLb1EES1P_EEDaS1K_S1L_EUlS1K_E_NS1_11comp_targetILNS1_3genE4ELNS1_11target_archE910ELNS1_3gpuE8ELNS1_3repE0EEENS1_30default_config_static_selectorELNS0_4arch9wavefront6targetE0EEEvSY_
		.amdhsa_group_segment_fixed_size 0
		.amdhsa_private_segment_fixed_size 0
		.amdhsa_kernarg_size 152
		.amdhsa_user_sgpr_count 2
		.amdhsa_user_sgpr_dispatch_ptr 0
		.amdhsa_user_sgpr_queue_ptr 0
		.amdhsa_user_sgpr_kernarg_segment_ptr 1
		.amdhsa_user_sgpr_dispatch_id 0
		.amdhsa_user_sgpr_private_segment_size 0
		.amdhsa_wavefront_size32 1
		.amdhsa_uses_dynamic_stack 0
		.amdhsa_enable_private_segment 0
		.amdhsa_system_sgpr_workgroup_id_x 1
		.amdhsa_system_sgpr_workgroup_id_y 0
		.amdhsa_system_sgpr_workgroup_id_z 0
		.amdhsa_system_sgpr_workgroup_info 0
		.amdhsa_system_vgpr_workitem_id 0
		.amdhsa_next_free_vgpr 1
		.amdhsa_next_free_sgpr 1
		.amdhsa_reserve_vcc 0
		.amdhsa_float_round_mode_32 0
		.amdhsa_float_round_mode_16_64 0
		.amdhsa_float_denorm_mode_32 3
		.amdhsa_float_denorm_mode_16_64 3
		.amdhsa_fp16_overflow 0
		.amdhsa_workgroup_processor_mode 1
		.amdhsa_memory_ordered 1
		.amdhsa_forward_progress 1
		.amdhsa_inst_pref_size 0
		.amdhsa_round_robin_scheduling 0
		.amdhsa_exception_fp_ieee_invalid_op 0
		.amdhsa_exception_fp_denorm_src 0
		.amdhsa_exception_fp_ieee_div_zero 0
		.amdhsa_exception_fp_ieee_overflow 0
		.amdhsa_exception_fp_ieee_underflow 0
		.amdhsa_exception_fp_ieee_inexact 0
		.amdhsa_exception_int_div_zero 0
	.end_amdhsa_kernel
	.section	.text._ZN7rocprim17ROCPRIM_400000_NS6detail17trampoline_kernelINS0_13select_configILj256ELj13ELNS0_17block_load_methodE3ELS4_3ELS4_3ELNS0_20block_scan_algorithmE0ELj4294967295EEENS1_25partition_config_selectorILNS1_17partition_subalgoE3EjNS0_10empty_typeEbEEZZNS1_14partition_implILS8_3ELb0ES6_jNS0_17counting_iteratorIjlEEPS9_SE_NS0_5tupleIJPjSE_EEENSF_IJSE_SE_EEES9_SG_JZNS1_25segmented_radix_sort_implINS0_14default_configELb1EPKsPsPKlPlN2at6native12_GLOBAL__N_18offset_tEEE10hipError_tPvRmT1_PNSt15iterator_traitsISY_E10value_typeET2_T3_PNSZ_IS14_E10value_typeET4_jRbjT5_S1A_jjP12ihipStream_tbEUljE_EEESV_SW_SX_S14_S18_S1A_T6_T7_T9_mT8_S1C_bDpT10_ENKUlT_T0_E_clISt17integral_constantIbLb1EES1P_EEDaS1K_S1L_EUlS1K_E_NS1_11comp_targetILNS1_3genE4ELNS1_11target_archE910ELNS1_3gpuE8ELNS1_3repE0EEENS1_30default_config_static_selectorELNS0_4arch9wavefront6targetE0EEEvSY_,"axG",@progbits,_ZN7rocprim17ROCPRIM_400000_NS6detail17trampoline_kernelINS0_13select_configILj256ELj13ELNS0_17block_load_methodE3ELS4_3ELS4_3ELNS0_20block_scan_algorithmE0ELj4294967295EEENS1_25partition_config_selectorILNS1_17partition_subalgoE3EjNS0_10empty_typeEbEEZZNS1_14partition_implILS8_3ELb0ES6_jNS0_17counting_iteratorIjlEEPS9_SE_NS0_5tupleIJPjSE_EEENSF_IJSE_SE_EEES9_SG_JZNS1_25segmented_radix_sort_implINS0_14default_configELb1EPKsPsPKlPlN2at6native12_GLOBAL__N_18offset_tEEE10hipError_tPvRmT1_PNSt15iterator_traitsISY_E10value_typeET2_T3_PNSZ_IS14_E10value_typeET4_jRbjT5_S1A_jjP12ihipStream_tbEUljE_EEESV_SW_SX_S14_S18_S1A_T6_T7_T9_mT8_S1C_bDpT10_ENKUlT_T0_E_clISt17integral_constantIbLb1EES1P_EEDaS1K_S1L_EUlS1K_E_NS1_11comp_targetILNS1_3genE4ELNS1_11target_archE910ELNS1_3gpuE8ELNS1_3repE0EEENS1_30default_config_static_selectorELNS0_4arch9wavefront6targetE0EEEvSY_,comdat
.Lfunc_end889:
	.size	_ZN7rocprim17ROCPRIM_400000_NS6detail17trampoline_kernelINS0_13select_configILj256ELj13ELNS0_17block_load_methodE3ELS4_3ELS4_3ELNS0_20block_scan_algorithmE0ELj4294967295EEENS1_25partition_config_selectorILNS1_17partition_subalgoE3EjNS0_10empty_typeEbEEZZNS1_14partition_implILS8_3ELb0ES6_jNS0_17counting_iteratorIjlEEPS9_SE_NS0_5tupleIJPjSE_EEENSF_IJSE_SE_EEES9_SG_JZNS1_25segmented_radix_sort_implINS0_14default_configELb1EPKsPsPKlPlN2at6native12_GLOBAL__N_18offset_tEEE10hipError_tPvRmT1_PNSt15iterator_traitsISY_E10value_typeET2_T3_PNSZ_IS14_E10value_typeET4_jRbjT5_S1A_jjP12ihipStream_tbEUljE_EEESV_SW_SX_S14_S18_S1A_T6_T7_T9_mT8_S1C_bDpT10_ENKUlT_T0_E_clISt17integral_constantIbLb1EES1P_EEDaS1K_S1L_EUlS1K_E_NS1_11comp_targetILNS1_3genE4ELNS1_11target_archE910ELNS1_3gpuE8ELNS1_3repE0EEENS1_30default_config_static_selectorELNS0_4arch9wavefront6targetE0EEEvSY_, .Lfunc_end889-_ZN7rocprim17ROCPRIM_400000_NS6detail17trampoline_kernelINS0_13select_configILj256ELj13ELNS0_17block_load_methodE3ELS4_3ELS4_3ELNS0_20block_scan_algorithmE0ELj4294967295EEENS1_25partition_config_selectorILNS1_17partition_subalgoE3EjNS0_10empty_typeEbEEZZNS1_14partition_implILS8_3ELb0ES6_jNS0_17counting_iteratorIjlEEPS9_SE_NS0_5tupleIJPjSE_EEENSF_IJSE_SE_EEES9_SG_JZNS1_25segmented_radix_sort_implINS0_14default_configELb1EPKsPsPKlPlN2at6native12_GLOBAL__N_18offset_tEEE10hipError_tPvRmT1_PNSt15iterator_traitsISY_E10value_typeET2_T3_PNSZ_IS14_E10value_typeET4_jRbjT5_S1A_jjP12ihipStream_tbEUljE_EEESV_SW_SX_S14_S18_S1A_T6_T7_T9_mT8_S1C_bDpT10_ENKUlT_T0_E_clISt17integral_constantIbLb1EES1P_EEDaS1K_S1L_EUlS1K_E_NS1_11comp_targetILNS1_3genE4ELNS1_11target_archE910ELNS1_3gpuE8ELNS1_3repE0EEENS1_30default_config_static_selectorELNS0_4arch9wavefront6targetE0EEEvSY_
                                        ; -- End function
	.set _ZN7rocprim17ROCPRIM_400000_NS6detail17trampoline_kernelINS0_13select_configILj256ELj13ELNS0_17block_load_methodE3ELS4_3ELS4_3ELNS0_20block_scan_algorithmE0ELj4294967295EEENS1_25partition_config_selectorILNS1_17partition_subalgoE3EjNS0_10empty_typeEbEEZZNS1_14partition_implILS8_3ELb0ES6_jNS0_17counting_iteratorIjlEEPS9_SE_NS0_5tupleIJPjSE_EEENSF_IJSE_SE_EEES9_SG_JZNS1_25segmented_radix_sort_implINS0_14default_configELb1EPKsPsPKlPlN2at6native12_GLOBAL__N_18offset_tEEE10hipError_tPvRmT1_PNSt15iterator_traitsISY_E10value_typeET2_T3_PNSZ_IS14_E10value_typeET4_jRbjT5_S1A_jjP12ihipStream_tbEUljE_EEESV_SW_SX_S14_S18_S1A_T6_T7_T9_mT8_S1C_bDpT10_ENKUlT_T0_E_clISt17integral_constantIbLb1EES1P_EEDaS1K_S1L_EUlS1K_E_NS1_11comp_targetILNS1_3genE4ELNS1_11target_archE910ELNS1_3gpuE8ELNS1_3repE0EEENS1_30default_config_static_selectorELNS0_4arch9wavefront6targetE0EEEvSY_.num_vgpr, 0
	.set _ZN7rocprim17ROCPRIM_400000_NS6detail17trampoline_kernelINS0_13select_configILj256ELj13ELNS0_17block_load_methodE3ELS4_3ELS4_3ELNS0_20block_scan_algorithmE0ELj4294967295EEENS1_25partition_config_selectorILNS1_17partition_subalgoE3EjNS0_10empty_typeEbEEZZNS1_14partition_implILS8_3ELb0ES6_jNS0_17counting_iteratorIjlEEPS9_SE_NS0_5tupleIJPjSE_EEENSF_IJSE_SE_EEES9_SG_JZNS1_25segmented_radix_sort_implINS0_14default_configELb1EPKsPsPKlPlN2at6native12_GLOBAL__N_18offset_tEEE10hipError_tPvRmT1_PNSt15iterator_traitsISY_E10value_typeET2_T3_PNSZ_IS14_E10value_typeET4_jRbjT5_S1A_jjP12ihipStream_tbEUljE_EEESV_SW_SX_S14_S18_S1A_T6_T7_T9_mT8_S1C_bDpT10_ENKUlT_T0_E_clISt17integral_constantIbLb1EES1P_EEDaS1K_S1L_EUlS1K_E_NS1_11comp_targetILNS1_3genE4ELNS1_11target_archE910ELNS1_3gpuE8ELNS1_3repE0EEENS1_30default_config_static_selectorELNS0_4arch9wavefront6targetE0EEEvSY_.num_agpr, 0
	.set _ZN7rocprim17ROCPRIM_400000_NS6detail17trampoline_kernelINS0_13select_configILj256ELj13ELNS0_17block_load_methodE3ELS4_3ELS4_3ELNS0_20block_scan_algorithmE0ELj4294967295EEENS1_25partition_config_selectorILNS1_17partition_subalgoE3EjNS0_10empty_typeEbEEZZNS1_14partition_implILS8_3ELb0ES6_jNS0_17counting_iteratorIjlEEPS9_SE_NS0_5tupleIJPjSE_EEENSF_IJSE_SE_EEES9_SG_JZNS1_25segmented_radix_sort_implINS0_14default_configELb1EPKsPsPKlPlN2at6native12_GLOBAL__N_18offset_tEEE10hipError_tPvRmT1_PNSt15iterator_traitsISY_E10value_typeET2_T3_PNSZ_IS14_E10value_typeET4_jRbjT5_S1A_jjP12ihipStream_tbEUljE_EEESV_SW_SX_S14_S18_S1A_T6_T7_T9_mT8_S1C_bDpT10_ENKUlT_T0_E_clISt17integral_constantIbLb1EES1P_EEDaS1K_S1L_EUlS1K_E_NS1_11comp_targetILNS1_3genE4ELNS1_11target_archE910ELNS1_3gpuE8ELNS1_3repE0EEENS1_30default_config_static_selectorELNS0_4arch9wavefront6targetE0EEEvSY_.numbered_sgpr, 0
	.set _ZN7rocprim17ROCPRIM_400000_NS6detail17trampoline_kernelINS0_13select_configILj256ELj13ELNS0_17block_load_methodE3ELS4_3ELS4_3ELNS0_20block_scan_algorithmE0ELj4294967295EEENS1_25partition_config_selectorILNS1_17partition_subalgoE3EjNS0_10empty_typeEbEEZZNS1_14partition_implILS8_3ELb0ES6_jNS0_17counting_iteratorIjlEEPS9_SE_NS0_5tupleIJPjSE_EEENSF_IJSE_SE_EEES9_SG_JZNS1_25segmented_radix_sort_implINS0_14default_configELb1EPKsPsPKlPlN2at6native12_GLOBAL__N_18offset_tEEE10hipError_tPvRmT1_PNSt15iterator_traitsISY_E10value_typeET2_T3_PNSZ_IS14_E10value_typeET4_jRbjT5_S1A_jjP12ihipStream_tbEUljE_EEESV_SW_SX_S14_S18_S1A_T6_T7_T9_mT8_S1C_bDpT10_ENKUlT_T0_E_clISt17integral_constantIbLb1EES1P_EEDaS1K_S1L_EUlS1K_E_NS1_11comp_targetILNS1_3genE4ELNS1_11target_archE910ELNS1_3gpuE8ELNS1_3repE0EEENS1_30default_config_static_selectorELNS0_4arch9wavefront6targetE0EEEvSY_.num_named_barrier, 0
	.set _ZN7rocprim17ROCPRIM_400000_NS6detail17trampoline_kernelINS0_13select_configILj256ELj13ELNS0_17block_load_methodE3ELS4_3ELS4_3ELNS0_20block_scan_algorithmE0ELj4294967295EEENS1_25partition_config_selectorILNS1_17partition_subalgoE3EjNS0_10empty_typeEbEEZZNS1_14partition_implILS8_3ELb0ES6_jNS0_17counting_iteratorIjlEEPS9_SE_NS0_5tupleIJPjSE_EEENSF_IJSE_SE_EEES9_SG_JZNS1_25segmented_radix_sort_implINS0_14default_configELb1EPKsPsPKlPlN2at6native12_GLOBAL__N_18offset_tEEE10hipError_tPvRmT1_PNSt15iterator_traitsISY_E10value_typeET2_T3_PNSZ_IS14_E10value_typeET4_jRbjT5_S1A_jjP12ihipStream_tbEUljE_EEESV_SW_SX_S14_S18_S1A_T6_T7_T9_mT8_S1C_bDpT10_ENKUlT_T0_E_clISt17integral_constantIbLb1EES1P_EEDaS1K_S1L_EUlS1K_E_NS1_11comp_targetILNS1_3genE4ELNS1_11target_archE910ELNS1_3gpuE8ELNS1_3repE0EEENS1_30default_config_static_selectorELNS0_4arch9wavefront6targetE0EEEvSY_.private_seg_size, 0
	.set _ZN7rocprim17ROCPRIM_400000_NS6detail17trampoline_kernelINS0_13select_configILj256ELj13ELNS0_17block_load_methodE3ELS4_3ELS4_3ELNS0_20block_scan_algorithmE0ELj4294967295EEENS1_25partition_config_selectorILNS1_17partition_subalgoE3EjNS0_10empty_typeEbEEZZNS1_14partition_implILS8_3ELb0ES6_jNS0_17counting_iteratorIjlEEPS9_SE_NS0_5tupleIJPjSE_EEENSF_IJSE_SE_EEES9_SG_JZNS1_25segmented_radix_sort_implINS0_14default_configELb1EPKsPsPKlPlN2at6native12_GLOBAL__N_18offset_tEEE10hipError_tPvRmT1_PNSt15iterator_traitsISY_E10value_typeET2_T3_PNSZ_IS14_E10value_typeET4_jRbjT5_S1A_jjP12ihipStream_tbEUljE_EEESV_SW_SX_S14_S18_S1A_T6_T7_T9_mT8_S1C_bDpT10_ENKUlT_T0_E_clISt17integral_constantIbLb1EES1P_EEDaS1K_S1L_EUlS1K_E_NS1_11comp_targetILNS1_3genE4ELNS1_11target_archE910ELNS1_3gpuE8ELNS1_3repE0EEENS1_30default_config_static_selectorELNS0_4arch9wavefront6targetE0EEEvSY_.uses_vcc, 0
	.set _ZN7rocprim17ROCPRIM_400000_NS6detail17trampoline_kernelINS0_13select_configILj256ELj13ELNS0_17block_load_methodE3ELS4_3ELS4_3ELNS0_20block_scan_algorithmE0ELj4294967295EEENS1_25partition_config_selectorILNS1_17partition_subalgoE3EjNS0_10empty_typeEbEEZZNS1_14partition_implILS8_3ELb0ES6_jNS0_17counting_iteratorIjlEEPS9_SE_NS0_5tupleIJPjSE_EEENSF_IJSE_SE_EEES9_SG_JZNS1_25segmented_radix_sort_implINS0_14default_configELb1EPKsPsPKlPlN2at6native12_GLOBAL__N_18offset_tEEE10hipError_tPvRmT1_PNSt15iterator_traitsISY_E10value_typeET2_T3_PNSZ_IS14_E10value_typeET4_jRbjT5_S1A_jjP12ihipStream_tbEUljE_EEESV_SW_SX_S14_S18_S1A_T6_T7_T9_mT8_S1C_bDpT10_ENKUlT_T0_E_clISt17integral_constantIbLb1EES1P_EEDaS1K_S1L_EUlS1K_E_NS1_11comp_targetILNS1_3genE4ELNS1_11target_archE910ELNS1_3gpuE8ELNS1_3repE0EEENS1_30default_config_static_selectorELNS0_4arch9wavefront6targetE0EEEvSY_.uses_flat_scratch, 0
	.set _ZN7rocprim17ROCPRIM_400000_NS6detail17trampoline_kernelINS0_13select_configILj256ELj13ELNS0_17block_load_methodE3ELS4_3ELS4_3ELNS0_20block_scan_algorithmE0ELj4294967295EEENS1_25partition_config_selectorILNS1_17partition_subalgoE3EjNS0_10empty_typeEbEEZZNS1_14partition_implILS8_3ELb0ES6_jNS0_17counting_iteratorIjlEEPS9_SE_NS0_5tupleIJPjSE_EEENSF_IJSE_SE_EEES9_SG_JZNS1_25segmented_radix_sort_implINS0_14default_configELb1EPKsPsPKlPlN2at6native12_GLOBAL__N_18offset_tEEE10hipError_tPvRmT1_PNSt15iterator_traitsISY_E10value_typeET2_T3_PNSZ_IS14_E10value_typeET4_jRbjT5_S1A_jjP12ihipStream_tbEUljE_EEESV_SW_SX_S14_S18_S1A_T6_T7_T9_mT8_S1C_bDpT10_ENKUlT_T0_E_clISt17integral_constantIbLb1EES1P_EEDaS1K_S1L_EUlS1K_E_NS1_11comp_targetILNS1_3genE4ELNS1_11target_archE910ELNS1_3gpuE8ELNS1_3repE0EEENS1_30default_config_static_selectorELNS0_4arch9wavefront6targetE0EEEvSY_.has_dyn_sized_stack, 0
	.set _ZN7rocprim17ROCPRIM_400000_NS6detail17trampoline_kernelINS0_13select_configILj256ELj13ELNS0_17block_load_methodE3ELS4_3ELS4_3ELNS0_20block_scan_algorithmE0ELj4294967295EEENS1_25partition_config_selectorILNS1_17partition_subalgoE3EjNS0_10empty_typeEbEEZZNS1_14partition_implILS8_3ELb0ES6_jNS0_17counting_iteratorIjlEEPS9_SE_NS0_5tupleIJPjSE_EEENSF_IJSE_SE_EEES9_SG_JZNS1_25segmented_radix_sort_implINS0_14default_configELb1EPKsPsPKlPlN2at6native12_GLOBAL__N_18offset_tEEE10hipError_tPvRmT1_PNSt15iterator_traitsISY_E10value_typeET2_T3_PNSZ_IS14_E10value_typeET4_jRbjT5_S1A_jjP12ihipStream_tbEUljE_EEESV_SW_SX_S14_S18_S1A_T6_T7_T9_mT8_S1C_bDpT10_ENKUlT_T0_E_clISt17integral_constantIbLb1EES1P_EEDaS1K_S1L_EUlS1K_E_NS1_11comp_targetILNS1_3genE4ELNS1_11target_archE910ELNS1_3gpuE8ELNS1_3repE0EEENS1_30default_config_static_selectorELNS0_4arch9wavefront6targetE0EEEvSY_.has_recursion, 0
	.set _ZN7rocprim17ROCPRIM_400000_NS6detail17trampoline_kernelINS0_13select_configILj256ELj13ELNS0_17block_load_methodE3ELS4_3ELS4_3ELNS0_20block_scan_algorithmE0ELj4294967295EEENS1_25partition_config_selectorILNS1_17partition_subalgoE3EjNS0_10empty_typeEbEEZZNS1_14partition_implILS8_3ELb0ES6_jNS0_17counting_iteratorIjlEEPS9_SE_NS0_5tupleIJPjSE_EEENSF_IJSE_SE_EEES9_SG_JZNS1_25segmented_radix_sort_implINS0_14default_configELb1EPKsPsPKlPlN2at6native12_GLOBAL__N_18offset_tEEE10hipError_tPvRmT1_PNSt15iterator_traitsISY_E10value_typeET2_T3_PNSZ_IS14_E10value_typeET4_jRbjT5_S1A_jjP12ihipStream_tbEUljE_EEESV_SW_SX_S14_S18_S1A_T6_T7_T9_mT8_S1C_bDpT10_ENKUlT_T0_E_clISt17integral_constantIbLb1EES1P_EEDaS1K_S1L_EUlS1K_E_NS1_11comp_targetILNS1_3genE4ELNS1_11target_archE910ELNS1_3gpuE8ELNS1_3repE0EEENS1_30default_config_static_selectorELNS0_4arch9wavefront6targetE0EEEvSY_.has_indirect_call, 0
	.section	.AMDGPU.csdata,"",@progbits
; Kernel info:
; codeLenInByte = 0
; TotalNumSgprs: 0
; NumVgprs: 0
; ScratchSize: 0
; MemoryBound: 0
; FloatMode: 240
; IeeeMode: 1
; LDSByteSize: 0 bytes/workgroup (compile time only)
; SGPRBlocks: 0
; VGPRBlocks: 0
; NumSGPRsForWavesPerEU: 1
; NumVGPRsForWavesPerEU: 1
; Occupancy: 16
; WaveLimiterHint : 0
; COMPUTE_PGM_RSRC2:SCRATCH_EN: 0
; COMPUTE_PGM_RSRC2:USER_SGPR: 2
; COMPUTE_PGM_RSRC2:TRAP_HANDLER: 0
; COMPUTE_PGM_RSRC2:TGID_X_EN: 1
; COMPUTE_PGM_RSRC2:TGID_Y_EN: 0
; COMPUTE_PGM_RSRC2:TGID_Z_EN: 0
; COMPUTE_PGM_RSRC2:TIDIG_COMP_CNT: 0
	.section	.text._ZN7rocprim17ROCPRIM_400000_NS6detail17trampoline_kernelINS0_13select_configILj256ELj13ELNS0_17block_load_methodE3ELS4_3ELS4_3ELNS0_20block_scan_algorithmE0ELj4294967295EEENS1_25partition_config_selectorILNS1_17partition_subalgoE3EjNS0_10empty_typeEbEEZZNS1_14partition_implILS8_3ELb0ES6_jNS0_17counting_iteratorIjlEEPS9_SE_NS0_5tupleIJPjSE_EEENSF_IJSE_SE_EEES9_SG_JZNS1_25segmented_radix_sort_implINS0_14default_configELb1EPKsPsPKlPlN2at6native12_GLOBAL__N_18offset_tEEE10hipError_tPvRmT1_PNSt15iterator_traitsISY_E10value_typeET2_T3_PNSZ_IS14_E10value_typeET4_jRbjT5_S1A_jjP12ihipStream_tbEUljE_EEESV_SW_SX_S14_S18_S1A_T6_T7_T9_mT8_S1C_bDpT10_ENKUlT_T0_E_clISt17integral_constantIbLb1EES1P_EEDaS1K_S1L_EUlS1K_E_NS1_11comp_targetILNS1_3genE3ELNS1_11target_archE908ELNS1_3gpuE7ELNS1_3repE0EEENS1_30default_config_static_selectorELNS0_4arch9wavefront6targetE0EEEvSY_,"axG",@progbits,_ZN7rocprim17ROCPRIM_400000_NS6detail17trampoline_kernelINS0_13select_configILj256ELj13ELNS0_17block_load_methodE3ELS4_3ELS4_3ELNS0_20block_scan_algorithmE0ELj4294967295EEENS1_25partition_config_selectorILNS1_17partition_subalgoE3EjNS0_10empty_typeEbEEZZNS1_14partition_implILS8_3ELb0ES6_jNS0_17counting_iteratorIjlEEPS9_SE_NS0_5tupleIJPjSE_EEENSF_IJSE_SE_EEES9_SG_JZNS1_25segmented_radix_sort_implINS0_14default_configELb1EPKsPsPKlPlN2at6native12_GLOBAL__N_18offset_tEEE10hipError_tPvRmT1_PNSt15iterator_traitsISY_E10value_typeET2_T3_PNSZ_IS14_E10value_typeET4_jRbjT5_S1A_jjP12ihipStream_tbEUljE_EEESV_SW_SX_S14_S18_S1A_T6_T7_T9_mT8_S1C_bDpT10_ENKUlT_T0_E_clISt17integral_constantIbLb1EES1P_EEDaS1K_S1L_EUlS1K_E_NS1_11comp_targetILNS1_3genE3ELNS1_11target_archE908ELNS1_3gpuE7ELNS1_3repE0EEENS1_30default_config_static_selectorELNS0_4arch9wavefront6targetE0EEEvSY_,comdat
	.globl	_ZN7rocprim17ROCPRIM_400000_NS6detail17trampoline_kernelINS0_13select_configILj256ELj13ELNS0_17block_load_methodE3ELS4_3ELS4_3ELNS0_20block_scan_algorithmE0ELj4294967295EEENS1_25partition_config_selectorILNS1_17partition_subalgoE3EjNS0_10empty_typeEbEEZZNS1_14partition_implILS8_3ELb0ES6_jNS0_17counting_iteratorIjlEEPS9_SE_NS0_5tupleIJPjSE_EEENSF_IJSE_SE_EEES9_SG_JZNS1_25segmented_radix_sort_implINS0_14default_configELb1EPKsPsPKlPlN2at6native12_GLOBAL__N_18offset_tEEE10hipError_tPvRmT1_PNSt15iterator_traitsISY_E10value_typeET2_T3_PNSZ_IS14_E10value_typeET4_jRbjT5_S1A_jjP12ihipStream_tbEUljE_EEESV_SW_SX_S14_S18_S1A_T6_T7_T9_mT8_S1C_bDpT10_ENKUlT_T0_E_clISt17integral_constantIbLb1EES1P_EEDaS1K_S1L_EUlS1K_E_NS1_11comp_targetILNS1_3genE3ELNS1_11target_archE908ELNS1_3gpuE7ELNS1_3repE0EEENS1_30default_config_static_selectorELNS0_4arch9wavefront6targetE0EEEvSY_ ; -- Begin function _ZN7rocprim17ROCPRIM_400000_NS6detail17trampoline_kernelINS0_13select_configILj256ELj13ELNS0_17block_load_methodE3ELS4_3ELS4_3ELNS0_20block_scan_algorithmE0ELj4294967295EEENS1_25partition_config_selectorILNS1_17partition_subalgoE3EjNS0_10empty_typeEbEEZZNS1_14partition_implILS8_3ELb0ES6_jNS0_17counting_iteratorIjlEEPS9_SE_NS0_5tupleIJPjSE_EEENSF_IJSE_SE_EEES9_SG_JZNS1_25segmented_radix_sort_implINS0_14default_configELb1EPKsPsPKlPlN2at6native12_GLOBAL__N_18offset_tEEE10hipError_tPvRmT1_PNSt15iterator_traitsISY_E10value_typeET2_T3_PNSZ_IS14_E10value_typeET4_jRbjT5_S1A_jjP12ihipStream_tbEUljE_EEESV_SW_SX_S14_S18_S1A_T6_T7_T9_mT8_S1C_bDpT10_ENKUlT_T0_E_clISt17integral_constantIbLb1EES1P_EEDaS1K_S1L_EUlS1K_E_NS1_11comp_targetILNS1_3genE3ELNS1_11target_archE908ELNS1_3gpuE7ELNS1_3repE0EEENS1_30default_config_static_selectorELNS0_4arch9wavefront6targetE0EEEvSY_
	.p2align	8
	.type	_ZN7rocprim17ROCPRIM_400000_NS6detail17trampoline_kernelINS0_13select_configILj256ELj13ELNS0_17block_load_methodE3ELS4_3ELS4_3ELNS0_20block_scan_algorithmE0ELj4294967295EEENS1_25partition_config_selectorILNS1_17partition_subalgoE3EjNS0_10empty_typeEbEEZZNS1_14partition_implILS8_3ELb0ES6_jNS0_17counting_iteratorIjlEEPS9_SE_NS0_5tupleIJPjSE_EEENSF_IJSE_SE_EEES9_SG_JZNS1_25segmented_radix_sort_implINS0_14default_configELb1EPKsPsPKlPlN2at6native12_GLOBAL__N_18offset_tEEE10hipError_tPvRmT1_PNSt15iterator_traitsISY_E10value_typeET2_T3_PNSZ_IS14_E10value_typeET4_jRbjT5_S1A_jjP12ihipStream_tbEUljE_EEESV_SW_SX_S14_S18_S1A_T6_T7_T9_mT8_S1C_bDpT10_ENKUlT_T0_E_clISt17integral_constantIbLb1EES1P_EEDaS1K_S1L_EUlS1K_E_NS1_11comp_targetILNS1_3genE3ELNS1_11target_archE908ELNS1_3gpuE7ELNS1_3repE0EEENS1_30default_config_static_selectorELNS0_4arch9wavefront6targetE0EEEvSY_,@function
_ZN7rocprim17ROCPRIM_400000_NS6detail17trampoline_kernelINS0_13select_configILj256ELj13ELNS0_17block_load_methodE3ELS4_3ELS4_3ELNS0_20block_scan_algorithmE0ELj4294967295EEENS1_25partition_config_selectorILNS1_17partition_subalgoE3EjNS0_10empty_typeEbEEZZNS1_14partition_implILS8_3ELb0ES6_jNS0_17counting_iteratorIjlEEPS9_SE_NS0_5tupleIJPjSE_EEENSF_IJSE_SE_EEES9_SG_JZNS1_25segmented_radix_sort_implINS0_14default_configELb1EPKsPsPKlPlN2at6native12_GLOBAL__N_18offset_tEEE10hipError_tPvRmT1_PNSt15iterator_traitsISY_E10value_typeET2_T3_PNSZ_IS14_E10value_typeET4_jRbjT5_S1A_jjP12ihipStream_tbEUljE_EEESV_SW_SX_S14_S18_S1A_T6_T7_T9_mT8_S1C_bDpT10_ENKUlT_T0_E_clISt17integral_constantIbLb1EES1P_EEDaS1K_S1L_EUlS1K_E_NS1_11comp_targetILNS1_3genE3ELNS1_11target_archE908ELNS1_3gpuE7ELNS1_3repE0EEENS1_30default_config_static_selectorELNS0_4arch9wavefront6targetE0EEEvSY_: ; @_ZN7rocprim17ROCPRIM_400000_NS6detail17trampoline_kernelINS0_13select_configILj256ELj13ELNS0_17block_load_methodE3ELS4_3ELS4_3ELNS0_20block_scan_algorithmE0ELj4294967295EEENS1_25partition_config_selectorILNS1_17partition_subalgoE3EjNS0_10empty_typeEbEEZZNS1_14partition_implILS8_3ELb0ES6_jNS0_17counting_iteratorIjlEEPS9_SE_NS0_5tupleIJPjSE_EEENSF_IJSE_SE_EEES9_SG_JZNS1_25segmented_radix_sort_implINS0_14default_configELb1EPKsPsPKlPlN2at6native12_GLOBAL__N_18offset_tEEE10hipError_tPvRmT1_PNSt15iterator_traitsISY_E10value_typeET2_T3_PNSZ_IS14_E10value_typeET4_jRbjT5_S1A_jjP12ihipStream_tbEUljE_EEESV_SW_SX_S14_S18_S1A_T6_T7_T9_mT8_S1C_bDpT10_ENKUlT_T0_E_clISt17integral_constantIbLb1EES1P_EEDaS1K_S1L_EUlS1K_E_NS1_11comp_targetILNS1_3genE3ELNS1_11target_archE908ELNS1_3gpuE7ELNS1_3repE0EEENS1_30default_config_static_selectorELNS0_4arch9wavefront6targetE0EEEvSY_
; %bb.0:
	.section	.rodata,"a",@progbits
	.p2align	6, 0x0
	.amdhsa_kernel _ZN7rocprim17ROCPRIM_400000_NS6detail17trampoline_kernelINS0_13select_configILj256ELj13ELNS0_17block_load_methodE3ELS4_3ELS4_3ELNS0_20block_scan_algorithmE0ELj4294967295EEENS1_25partition_config_selectorILNS1_17partition_subalgoE3EjNS0_10empty_typeEbEEZZNS1_14partition_implILS8_3ELb0ES6_jNS0_17counting_iteratorIjlEEPS9_SE_NS0_5tupleIJPjSE_EEENSF_IJSE_SE_EEES9_SG_JZNS1_25segmented_radix_sort_implINS0_14default_configELb1EPKsPsPKlPlN2at6native12_GLOBAL__N_18offset_tEEE10hipError_tPvRmT1_PNSt15iterator_traitsISY_E10value_typeET2_T3_PNSZ_IS14_E10value_typeET4_jRbjT5_S1A_jjP12ihipStream_tbEUljE_EEESV_SW_SX_S14_S18_S1A_T6_T7_T9_mT8_S1C_bDpT10_ENKUlT_T0_E_clISt17integral_constantIbLb1EES1P_EEDaS1K_S1L_EUlS1K_E_NS1_11comp_targetILNS1_3genE3ELNS1_11target_archE908ELNS1_3gpuE7ELNS1_3repE0EEENS1_30default_config_static_selectorELNS0_4arch9wavefront6targetE0EEEvSY_
		.amdhsa_group_segment_fixed_size 0
		.amdhsa_private_segment_fixed_size 0
		.amdhsa_kernarg_size 152
		.amdhsa_user_sgpr_count 2
		.amdhsa_user_sgpr_dispatch_ptr 0
		.amdhsa_user_sgpr_queue_ptr 0
		.amdhsa_user_sgpr_kernarg_segment_ptr 1
		.amdhsa_user_sgpr_dispatch_id 0
		.amdhsa_user_sgpr_private_segment_size 0
		.amdhsa_wavefront_size32 1
		.amdhsa_uses_dynamic_stack 0
		.amdhsa_enable_private_segment 0
		.amdhsa_system_sgpr_workgroup_id_x 1
		.amdhsa_system_sgpr_workgroup_id_y 0
		.amdhsa_system_sgpr_workgroup_id_z 0
		.amdhsa_system_sgpr_workgroup_info 0
		.amdhsa_system_vgpr_workitem_id 0
		.amdhsa_next_free_vgpr 1
		.amdhsa_next_free_sgpr 1
		.amdhsa_reserve_vcc 0
		.amdhsa_float_round_mode_32 0
		.amdhsa_float_round_mode_16_64 0
		.amdhsa_float_denorm_mode_32 3
		.amdhsa_float_denorm_mode_16_64 3
		.amdhsa_fp16_overflow 0
		.amdhsa_workgroup_processor_mode 1
		.amdhsa_memory_ordered 1
		.amdhsa_forward_progress 1
		.amdhsa_inst_pref_size 0
		.amdhsa_round_robin_scheduling 0
		.amdhsa_exception_fp_ieee_invalid_op 0
		.amdhsa_exception_fp_denorm_src 0
		.amdhsa_exception_fp_ieee_div_zero 0
		.amdhsa_exception_fp_ieee_overflow 0
		.amdhsa_exception_fp_ieee_underflow 0
		.amdhsa_exception_fp_ieee_inexact 0
		.amdhsa_exception_int_div_zero 0
	.end_amdhsa_kernel
	.section	.text._ZN7rocprim17ROCPRIM_400000_NS6detail17trampoline_kernelINS0_13select_configILj256ELj13ELNS0_17block_load_methodE3ELS4_3ELS4_3ELNS0_20block_scan_algorithmE0ELj4294967295EEENS1_25partition_config_selectorILNS1_17partition_subalgoE3EjNS0_10empty_typeEbEEZZNS1_14partition_implILS8_3ELb0ES6_jNS0_17counting_iteratorIjlEEPS9_SE_NS0_5tupleIJPjSE_EEENSF_IJSE_SE_EEES9_SG_JZNS1_25segmented_radix_sort_implINS0_14default_configELb1EPKsPsPKlPlN2at6native12_GLOBAL__N_18offset_tEEE10hipError_tPvRmT1_PNSt15iterator_traitsISY_E10value_typeET2_T3_PNSZ_IS14_E10value_typeET4_jRbjT5_S1A_jjP12ihipStream_tbEUljE_EEESV_SW_SX_S14_S18_S1A_T6_T7_T9_mT8_S1C_bDpT10_ENKUlT_T0_E_clISt17integral_constantIbLb1EES1P_EEDaS1K_S1L_EUlS1K_E_NS1_11comp_targetILNS1_3genE3ELNS1_11target_archE908ELNS1_3gpuE7ELNS1_3repE0EEENS1_30default_config_static_selectorELNS0_4arch9wavefront6targetE0EEEvSY_,"axG",@progbits,_ZN7rocprim17ROCPRIM_400000_NS6detail17trampoline_kernelINS0_13select_configILj256ELj13ELNS0_17block_load_methodE3ELS4_3ELS4_3ELNS0_20block_scan_algorithmE0ELj4294967295EEENS1_25partition_config_selectorILNS1_17partition_subalgoE3EjNS0_10empty_typeEbEEZZNS1_14partition_implILS8_3ELb0ES6_jNS0_17counting_iteratorIjlEEPS9_SE_NS0_5tupleIJPjSE_EEENSF_IJSE_SE_EEES9_SG_JZNS1_25segmented_radix_sort_implINS0_14default_configELb1EPKsPsPKlPlN2at6native12_GLOBAL__N_18offset_tEEE10hipError_tPvRmT1_PNSt15iterator_traitsISY_E10value_typeET2_T3_PNSZ_IS14_E10value_typeET4_jRbjT5_S1A_jjP12ihipStream_tbEUljE_EEESV_SW_SX_S14_S18_S1A_T6_T7_T9_mT8_S1C_bDpT10_ENKUlT_T0_E_clISt17integral_constantIbLb1EES1P_EEDaS1K_S1L_EUlS1K_E_NS1_11comp_targetILNS1_3genE3ELNS1_11target_archE908ELNS1_3gpuE7ELNS1_3repE0EEENS1_30default_config_static_selectorELNS0_4arch9wavefront6targetE0EEEvSY_,comdat
.Lfunc_end890:
	.size	_ZN7rocprim17ROCPRIM_400000_NS6detail17trampoline_kernelINS0_13select_configILj256ELj13ELNS0_17block_load_methodE3ELS4_3ELS4_3ELNS0_20block_scan_algorithmE0ELj4294967295EEENS1_25partition_config_selectorILNS1_17partition_subalgoE3EjNS0_10empty_typeEbEEZZNS1_14partition_implILS8_3ELb0ES6_jNS0_17counting_iteratorIjlEEPS9_SE_NS0_5tupleIJPjSE_EEENSF_IJSE_SE_EEES9_SG_JZNS1_25segmented_radix_sort_implINS0_14default_configELb1EPKsPsPKlPlN2at6native12_GLOBAL__N_18offset_tEEE10hipError_tPvRmT1_PNSt15iterator_traitsISY_E10value_typeET2_T3_PNSZ_IS14_E10value_typeET4_jRbjT5_S1A_jjP12ihipStream_tbEUljE_EEESV_SW_SX_S14_S18_S1A_T6_T7_T9_mT8_S1C_bDpT10_ENKUlT_T0_E_clISt17integral_constantIbLb1EES1P_EEDaS1K_S1L_EUlS1K_E_NS1_11comp_targetILNS1_3genE3ELNS1_11target_archE908ELNS1_3gpuE7ELNS1_3repE0EEENS1_30default_config_static_selectorELNS0_4arch9wavefront6targetE0EEEvSY_, .Lfunc_end890-_ZN7rocprim17ROCPRIM_400000_NS6detail17trampoline_kernelINS0_13select_configILj256ELj13ELNS0_17block_load_methodE3ELS4_3ELS4_3ELNS0_20block_scan_algorithmE0ELj4294967295EEENS1_25partition_config_selectorILNS1_17partition_subalgoE3EjNS0_10empty_typeEbEEZZNS1_14partition_implILS8_3ELb0ES6_jNS0_17counting_iteratorIjlEEPS9_SE_NS0_5tupleIJPjSE_EEENSF_IJSE_SE_EEES9_SG_JZNS1_25segmented_radix_sort_implINS0_14default_configELb1EPKsPsPKlPlN2at6native12_GLOBAL__N_18offset_tEEE10hipError_tPvRmT1_PNSt15iterator_traitsISY_E10value_typeET2_T3_PNSZ_IS14_E10value_typeET4_jRbjT5_S1A_jjP12ihipStream_tbEUljE_EEESV_SW_SX_S14_S18_S1A_T6_T7_T9_mT8_S1C_bDpT10_ENKUlT_T0_E_clISt17integral_constantIbLb1EES1P_EEDaS1K_S1L_EUlS1K_E_NS1_11comp_targetILNS1_3genE3ELNS1_11target_archE908ELNS1_3gpuE7ELNS1_3repE0EEENS1_30default_config_static_selectorELNS0_4arch9wavefront6targetE0EEEvSY_
                                        ; -- End function
	.set _ZN7rocprim17ROCPRIM_400000_NS6detail17trampoline_kernelINS0_13select_configILj256ELj13ELNS0_17block_load_methodE3ELS4_3ELS4_3ELNS0_20block_scan_algorithmE0ELj4294967295EEENS1_25partition_config_selectorILNS1_17partition_subalgoE3EjNS0_10empty_typeEbEEZZNS1_14partition_implILS8_3ELb0ES6_jNS0_17counting_iteratorIjlEEPS9_SE_NS0_5tupleIJPjSE_EEENSF_IJSE_SE_EEES9_SG_JZNS1_25segmented_radix_sort_implINS0_14default_configELb1EPKsPsPKlPlN2at6native12_GLOBAL__N_18offset_tEEE10hipError_tPvRmT1_PNSt15iterator_traitsISY_E10value_typeET2_T3_PNSZ_IS14_E10value_typeET4_jRbjT5_S1A_jjP12ihipStream_tbEUljE_EEESV_SW_SX_S14_S18_S1A_T6_T7_T9_mT8_S1C_bDpT10_ENKUlT_T0_E_clISt17integral_constantIbLb1EES1P_EEDaS1K_S1L_EUlS1K_E_NS1_11comp_targetILNS1_3genE3ELNS1_11target_archE908ELNS1_3gpuE7ELNS1_3repE0EEENS1_30default_config_static_selectorELNS0_4arch9wavefront6targetE0EEEvSY_.num_vgpr, 0
	.set _ZN7rocprim17ROCPRIM_400000_NS6detail17trampoline_kernelINS0_13select_configILj256ELj13ELNS0_17block_load_methodE3ELS4_3ELS4_3ELNS0_20block_scan_algorithmE0ELj4294967295EEENS1_25partition_config_selectorILNS1_17partition_subalgoE3EjNS0_10empty_typeEbEEZZNS1_14partition_implILS8_3ELb0ES6_jNS0_17counting_iteratorIjlEEPS9_SE_NS0_5tupleIJPjSE_EEENSF_IJSE_SE_EEES9_SG_JZNS1_25segmented_radix_sort_implINS0_14default_configELb1EPKsPsPKlPlN2at6native12_GLOBAL__N_18offset_tEEE10hipError_tPvRmT1_PNSt15iterator_traitsISY_E10value_typeET2_T3_PNSZ_IS14_E10value_typeET4_jRbjT5_S1A_jjP12ihipStream_tbEUljE_EEESV_SW_SX_S14_S18_S1A_T6_T7_T9_mT8_S1C_bDpT10_ENKUlT_T0_E_clISt17integral_constantIbLb1EES1P_EEDaS1K_S1L_EUlS1K_E_NS1_11comp_targetILNS1_3genE3ELNS1_11target_archE908ELNS1_3gpuE7ELNS1_3repE0EEENS1_30default_config_static_selectorELNS0_4arch9wavefront6targetE0EEEvSY_.num_agpr, 0
	.set _ZN7rocprim17ROCPRIM_400000_NS6detail17trampoline_kernelINS0_13select_configILj256ELj13ELNS0_17block_load_methodE3ELS4_3ELS4_3ELNS0_20block_scan_algorithmE0ELj4294967295EEENS1_25partition_config_selectorILNS1_17partition_subalgoE3EjNS0_10empty_typeEbEEZZNS1_14partition_implILS8_3ELb0ES6_jNS0_17counting_iteratorIjlEEPS9_SE_NS0_5tupleIJPjSE_EEENSF_IJSE_SE_EEES9_SG_JZNS1_25segmented_radix_sort_implINS0_14default_configELb1EPKsPsPKlPlN2at6native12_GLOBAL__N_18offset_tEEE10hipError_tPvRmT1_PNSt15iterator_traitsISY_E10value_typeET2_T3_PNSZ_IS14_E10value_typeET4_jRbjT5_S1A_jjP12ihipStream_tbEUljE_EEESV_SW_SX_S14_S18_S1A_T6_T7_T9_mT8_S1C_bDpT10_ENKUlT_T0_E_clISt17integral_constantIbLb1EES1P_EEDaS1K_S1L_EUlS1K_E_NS1_11comp_targetILNS1_3genE3ELNS1_11target_archE908ELNS1_3gpuE7ELNS1_3repE0EEENS1_30default_config_static_selectorELNS0_4arch9wavefront6targetE0EEEvSY_.numbered_sgpr, 0
	.set _ZN7rocprim17ROCPRIM_400000_NS6detail17trampoline_kernelINS0_13select_configILj256ELj13ELNS0_17block_load_methodE3ELS4_3ELS4_3ELNS0_20block_scan_algorithmE0ELj4294967295EEENS1_25partition_config_selectorILNS1_17partition_subalgoE3EjNS0_10empty_typeEbEEZZNS1_14partition_implILS8_3ELb0ES6_jNS0_17counting_iteratorIjlEEPS9_SE_NS0_5tupleIJPjSE_EEENSF_IJSE_SE_EEES9_SG_JZNS1_25segmented_radix_sort_implINS0_14default_configELb1EPKsPsPKlPlN2at6native12_GLOBAL__N_18offset_tEEE10hipError_tPvRmT1_PNSt15iterator_traitsISY_E10value_typeET2_T3_PNSZ_IS14_E10value_typeET4_jRbjT5_S1A_jjP12ihipStream_tbEUljE_EEESV_SW_SX_S14_S18_S1A_T6_T7_T9_mT8_S1C_bDpT10_ENKUlT_T0_E_clISt17integral_constantIbLb1EES1P_EEDaS1K_S1L_EUlS1K_E_NS1_11comp_targetILNS1_3genE3ELNS1_11target_archE908ELNS1_3gpuE7ELNS1_3repE0EEENS1_30default_config_static_selectorELNS0_4arch9wavefront6targetE0EEEvSY_.num_named_barrier, 0
	.set _ZN7rocprim17ROCPRIM_400000_NS6detail17trampoline_kernelINS0_13select_configILj256ELj13ELNS0_17block_load_methodE3ELS4_3ELS4_3ELNS0_20block_scan_algorithmE0ELj4294967295EEENS1_25partition_config_selectorILNS1_17partition_subalgoE3EjNS0_10empty_typeEbEEZZNS1_14partition_implILS8_3ELb0ES6_jNS0_17counting_iteratorIjlEEPS9_SE_NS0_5tupleIJPjSE_EEENSF_IJSE_SE_EEES9_SG_JZNS1_25segmented_radix_sort_implINS0_14default_configELb1EPKsPsPKlPlN2at6native12_GLOBAL__N_18offset_tEEE10hipError_tPvRmT1_PNSt15iterator_traitsISY_E10value_typeET2_T3_PNSZ_IS14_E10value_typeET4_jRbjT5_S1A_jjP12ihipStream_tbEUljE_EEESV_SW_SX_S14_S18_S1A_T6_T7_T9_mT8_S1C_bDpT10_ENKUlT_T0_E_clISt17integral_constantIbLb1EES1P_EEDaS1K_S1L_EUlS1K_E_NS1_11comp_targetILNS1_3genE3ELNS1_11target_archE908ELNS1_3gpuE7ELNS1_3repE0EEENS1_30default_config_static_selectorELNS0_4arch9wavefront6targetE0EEEvSY_.private_seg_size, 0
	.set _ZN7rocprim17ROCPRIM_400000_NS6detail17trampoline_kernelINS0_13select_configILj256ELj13ELNS0_17block_load_methodE3ELS4_3ELS4_3ELNS0_20block_scan_algorithmE0ELj4294967295EEENS1_25partition_config_selectorILNS1_17partition_subalgoE3EjNS0_10empty_typeEbEEZZNS1_14partition_implILS8_3ELb0ES6_jNS0_17counting_iteratorIjlEEPS9_SE_NS0_5tupleIJPjSE_EEENSF_IJSE_SE_EEES9_SG_JZNS1_25segmented_radix_sort_implINS0_14default_configELb1EPKsPsPKlPlN2at6native12_GLOBAL__N_18offset_tEEE10hipError_tPvRmT1_PNSt15iterator_traitsISY_E10value_typeET2_T3_PNSZ_IS14_E10value_typeET4_jRbjT5_S1A_jjP12ihipStream_tbEUljE_EEESV_SW_SX_S14_S18_S1A_T6_T7_T9_mT8_S1C_bDpT10_ENKUlT_T0_E_clISt17integral_constantIbLb1EES1P_EEDaS1K_S1L_EUlS1K_E_NS1_11comp_targetILNS1_3genE3ELNS1_11target_archE908ELNS1_3gpuE7ELNS1_3repE0EEENS1_30default_config_static_selectorELNS0_4arch9wavefront6targetE0EEEvSY_.uses_vcc, 0
	.set _ZN7rocprim17ROCPRIM_400000_NS6detail17trampoline_kernelINS0_13select_configILj256ELj13ELNS0_17block_load_methodE3ELS4_3ELS4_3ELNS0_20block_scan_algorithmE0ELj4294967295EEENS1_25partition_config_selectorILNS1_17partition_subalgoE3EjNS0_10empty_typeEbEEZZNS1_14partition_implILS8_3ELb0ES6_jNS0_17counting_iteratorIjlEEPS9_SE_NS0_5tupleIJPjSE_EEENSF_IJSE_SE_EEES9_SG_JZNS1_25segmented_radix_sort_implINS0_14default_configELb1EPKsPsPKlPlN2at6native12_GLOBAL__N_18offset_tEEE10hipError_tPvRmT1_PNSt15iterator_traitsISY_E10value_typeET2_T3_PNSZ_IS14_E10value_typeET4_jRbjT5_S1A_jjP12ihipStream_tbEUljE_EEESV_SW_SX_S14_S18_S1A_T6_T7_T9_mT8_S1C_bDpT10_ENKUlT_T0_E_clISt17integral_constantIbLb1EES1P_EEDaS1K_S1L_EUlS1K_E_NS1_11comp_targetILNS1_3genE3ELNS1_11target_archE908ELNS1_3gpuE7ELNS1_3repE0EEENS1_30default_config_static_selectorELNS0_4arch9wavefront6targetE0EEEvSY_.uses_flat_scratch, 0
	.set _ZN7rocprim17ROCPRIM_400000_NS6detail17trampoline_kernelINS0_13select_configILj256ELj13ELNS0_17block_load_methodE3ELS4_3ELS4_3ELNS0_20block_scan_algorithmE0ELj4294967295EEENS1_25partition_config_selectorILNS1_17partition_subalgoE3EjNS0_10empty_typeEbEEZZNS1_14partition_implILS8_3ELb0ES6_jNS0_17counting_iteratorIjlEEPS9_SE_NS0_5tupleIJPjSE_EEENSF_IJSE_SE_EEES9_SG_JZNS1_25segmented_radix_sort_implINS0_14default_configELb1EPKsPsPKlPlN2at6native12_GLOBAL__N_18offset_tEEE10hipError_tPvRmT1_PNSt15iterator_traitsISY_E10value_typeET2_T3_PNSZ_IS14_E10value_typeET4_jRbjT5_S1A_jjP12ihipStream_tbEUljE_EEESV_SW_SX_S14_S18_S1A_T6_T7_T9_mT8_S1C_bDpT10_ENKUlT_T0_E_clISt17integral_constantIbLb1EES1P_EEDaS1K_S1L_EUlS1K_E_NS1_11comp_targetILNS1_3genE3ELNS1_11target_archE908ELNS1_3gpuE7ELNS1_3repE0EEENS1_30default_config_static_selectorELNS0_4arch9wavefront6targetE0EEEvSY_.has_dyn_sized_stack, 0
	.set _ZN7rocprim17ROCPRIM_400000_NS6detail17trampoline_kernelINS0_13select_configILj256ELj13ELNS0_17block_load_methodE3ELS4_3ELS4_3ELNS0_20block_scan_algorithmE0ELj4294967295EEENS1_25partition_config_selectorILNS1_17partition_subalgoE3EjNS0_10empty_typeEbEEZZNS1_14partition_implILS8_3ELb0ES6_jNS0_17counting_iteratorIjlEEPS9_SE_NS0_5tupleIJPjSE_EEENSF_IJSE_SE_EEES9_SG_JZNS1_25segmented_radix_sort_implINS0_14default_configELb1EPKsPsPKlPlN2at6native12_GLOBAL__N_18offset_tEEE10hipError_tPvRmT1_PNSt15iterator_traitsISY_E10value_typeET2_T3_PNSZ_IS14_E10value_typeET4_jRbjT5_S1A_jjP12ihipStream_tbEUljE_EEESV_SW_SX_S14_S18_S1A_T6_T7_T9_mT8_S1C_bDpT10_ENKUlT_T0_E_clISt17integral_constantIbLb1EES1P_EEDaS1K_S1L_EUlS1K_E_NS1_11comp_targetILNS1_3genE3ELNS1_11target_archE908ELNS1_3gpuE7ELNS1_3repE0EEENS1_30default_config_static_selectorELNS0_4arch9wavefront6targetE0EEEvSY_.has_recursion, 0
	.set _ZN7rocprim17ROCPRIM_400000_NS6detail17trampoline_kernelINS0_13select_configILj256ELj13ELNS0_17block_load_methodE3ELS4_3ELS4_3ELNS0_20block_scan_algorithmE0ELj4294967295EEENS1_25partition_config_selectorILNS1_17partition_subalgoE3EjNS0_10empty_typeEbEEZZNS1_14partition_implILS8_3ELb0ES6_jNS0_17counting_iteratorIjlEEPS9_SE_NS0_5tupleIJPjSE_EEENSF_IJSE_SE_EEES9_SG_JZNS1_25segmented_radix_sort_implINS0_14default_configELb1EPKsPsPKlPlN2at6native12_GLOBAL__N_18offset_tEEE10hipError_tPvRmT1_PNSt15iterator_traitsISY_E10value_typeET2_T3_PNSZ_IS14_E10value_typeET4_jRbjT5_S1A_jjP12ihipStream_tbEUljE_EEESV_SW_SX_S14_S18_S1A_T6_T7_T9_mT8_S1C_bDpT10_ENKUlT_T0_E_clISt17integral_constantIbLb1EES1P_EEDaS1K_S1L_EUlS1K_E_NS1_11comp_targetILNS1_3genE3ELNS1_11target_archE908ELNS1_3gpuE7ELNS1_3repE0EEENS1_30default_config_static_selectorELNS0_4arch9wavefront6targetE0EEEvSY_.has_indirect_call, 0
	.section	.AMDGPU.csdata,"",@progbits
; Kernel info:
; codeLenInByte = 0
; TotalNumSgprs: 0
; NumVgprs: 0
; ScratchSize: 0
; MemoryBound: 0
; FloatMode: 240
; IeeeMode: 1
; LDSByteSize: 0 bytes/workgroup (compile time only)
; SGPRBlocks: 0
; VGPRBlocks: 0
; NumSGPRsForWavesPerEU: 1
; NumVGPRsForWavesPerEU: 1
; Occupancy: 16
; WaveLimiterHint : 0
; COMPUTE_PGM_RSRC2:SCRATCH_EN: 0
; COMPUTE_PGM_RSRC2:USER_SGPR: 2
; COMPUTE_PGM_RSRC2:TRAP_HANDLER: 0
; COMPUTE_PGM_RSRC2:TGID_X_EN: 1
; COMPUTE_PGM_RSRC2:TGID_Y_EN: 0
; COMPUTE_PGM_RSRC2:TGID_Z_EN: 0
; COMPUTE_PGM_RSRC2:TIDIG_COMP_CNT: 0
	.section	.text._ZN7rocprim17ROCPRIM_400000_NS6detail17trampoline_kernelINS0_13select_configILj256ELj13ELNS0_17block_load_methodE3ELS4_3ELS4_3ELNS0_20block_scan_algorithmE0ELj4294967295EEENS1_25partition_config_selectorILNS1_17partition_subalgoE3EjNS0_10empty_typeEbEEZZNS1_14partition_implILS8_3ELb0ES6_jNS0_17counting_iteratorIjlEEPS9_SE_NS0_5tupleIJPjSE_EEENSF_IJSE_SE_EEES9_SG_JZNS1_25segmented_radix_sort_implINS0_14default_configELb1EPKsPsPKlPlN2at6native12_GLOBAL__N_18offset_tEEE10hipError_tPvRmT1_PNSt15iterator_traitsISY_E10value_typeET2_T3_PNSZ_IS14_E10value_typeET4_jRbjT5_S1A_jjP12ihipStream_tbEUljE_EEESV_SW_SX_S14_S18_S1A_T6_T7_T9_mT8_S1C_bDpT10_ENKUlT_T0_E_clISt17integral_constantIbLb1EES1P_EEDaS1K_S1L_EUlS1K_E_NS1_11comp_targetILNS1_3genE2ELNS1_11target_archE906ELNS1_3gpuE6ELNS1_3repE0EEENS1_30default_config_static_selectorELNS0_4arch9wavefront6targetE0EEEvSY_,"axG",@progbits,_ZN7rocprim17ROCPRIM_400000_NS6detail17trampoline_kernelINS0_13select_configILj256ELj13ELNS0_17block_load_methodE3ELS4_3ELS4_3ELNS0_20block_scan_algorithmE0ELj4294967295EEENS1_25partition_config_selectorILNS1_17partition_subalgoE3EjNS0_10empty_typeEbEEZZNS1_14partition_implILS8_3ELb0ES6_jNS0_17counting_iteratorIjlEEPS9_SE_NS0_5tupleIJPjSE_EEENSF_IJSE_SE_EEES9_SG_JZNS1_25segmented_radix_sort_implINS0_14default_configELb1EPKsPsPKlPlN2at6native12_GLOBAL__N_18offset_tEEE10hipError_tPvRmT1_PNSt15iterator_traitsISY_E10value_typeET2_T3_PNSZ_IS14_E10value_typeET4_jRbjT5_S1A_jjP12ihipStream_tbEUljE_EEESV_SW_SX_S14_S18_S1A_T6_T7_T9_mT8_S1C_bDpT10_ENKUlT_T0_E_clISt17integral_constantIbLb1EES1P_EEDaS1K_S1L_EUlS1K_E_NS1_11comp_targetILNS1_3genE2ELNS1_11target_archE906ELNS1_3gpuE6ELNS1_3repE0EEENS1_30default_config_static_selectorELNS0_4arch9wavefront6targetE0EEEvSY_,comdat
	.globl	_ZN7rocprim17ROCPRIM_400000_NS6detail17trampoline_kernelINS0_13select_configILj256ELj13ELNS0_17block_load_methodE3ELS4_3ELS4_3ELNS0_20block_scan_algorithmE0ELj4294967295EEENS1_25partition_config_selectorILNS1_17partition_subalgoE3EjNS0_10empty_typeEbEEZZNS1_14partition_implILS8_3ELb0ES6_jNS0_17counting_iteratorIjlEEPS9_SE_NS0_5tupleIJPjSE_EEENSF_IJSE_SE_EEES9_SG_JZNS1_25segmented_radix_sort_implINS0_14default_configELb1EPKsPsPKlPlN2at6native12_GLOBAL__N_18offset_tEEE10hipError_tPvRmT1_PNSt15iterator_traitsISY_E10value_typeET2_T3_PNSZ_IS14_E10value_typeET4_jRbjT5_S1A_jjP12ihipStream_tbEUljE_EEESV_SW_SX_S14_S18_S1A_T6_T7_T9_mT8_S1C_bDpT10_ENKUlT_T0_E_clISt17integral_constantIbLb1EES1P_EEDaS1K_S1L_EUlS1K_E_NS1_11comp_targetILNS1_3genE2ELNS1_11target_archE906ELNS1_3gpuE6ELNS1_3repE0EEENS1_30default_config_static_selectorELNS0_4arch9wavefront6targetE0EEEvSY_ ; -- Begin function _ZN7rocprim17ROCPRIM_400000_NS6detail17trampoline_kernelINS0_13select_configILj256ELj13ELNS0_17block_load_methodE3ELS4_3ELS4_3ELNS0_20block_scan_algorithmE0ELj4294967295EEENS1_25partition_config_selectorILNS1_17partition_subalgoE3EjNS0_10empty_typeEbEEZZNS1_14partition_implILS8_3ELb0ES6_jNS0_17counting_iteratorIjlEEPS9_SE_NS0_5tupleIJPjSE_EEENSF_IJSE_SE_EEES9_SG_JZNS1_25segmented_radix_sort_implINS0_14default_configELb1EPKsPsPKlPlN2at6native12_GLOBAL__N_18offset_tEEE10hipError_tPvRmT1_PNSt15iterator_traitsISY_E10value_typeET2_T3_PNSZ_IS14_E10value_typeET4_jRbjT5_S1A_jjP12ihipStream_tbEUljE_EEESV_SW_SX_S14_S18_S1A_T6_T7_T9_mT8_S1C_bDpT10_ENKUlT_T0_E_clISt17integral_constantIbLb1EES1P_EEDaS1K_S1L_EUlS1K_E_NS1_11comp_targetILNS1_3genE2ELNS1_11target_archE906ELNS1_3gpuE6ELNS1_3repE0EEENS1_30default_config_static_selectorELNS0_4arch9wavefront6targetE0EEEvSY_
	.p2align	8
	.type	_ZN7rocprim17ROCPRIM_400000_NS6detail17trampoline_kernelINS0_13select_configILj256ELj13ELNS0_17block_load_methodE3ELS4_3ELS4_3ELNS0_20block_scan_algorithmE0ELj4294967295EEENS1_25partition_config_selectorILNS1_17partition_subalgoE3EjNS0_10empty_typeEbEEZZNS1_14partition_implILS8_3ELb0ES6_jNS0_17counting_iteratorIjlEEPS9_SE_NS0_5tupleIJPjSE_EEENSF_IJSE_SE_EEES9_SG_JZNS1_25segmented_radix_sort_implINS0_14default_configELb1EPKsPsPKlPlN2at6native12_GLOBAL__N_18offset_tEEE10hipError_tPvRmT1_PNSt15iterator_traitsISY_E10value_typeET2_T3_PNSZ_IS14_E10value_typeET4_jRbjT5_S1A_jjP12ihipStream_tbEUljE_EEESV_SW_SX_S14_S18_S1A_T6_T7_T9_mT8_S1C_bDpT10_ENKUlT_T0_E_clISt17integral_constantIbLb1EES1P_EEDaS1K_S1L_EUlS1K_E_NS1_11comp_targetILNS1_3genE2ELNS1_11target_archE906ELNS1_3gpuE6ELNS1_3repE0EEENS1_30default_config_static_selectorELNS0_4arch9wavefront6targetE0EEEvSY_,@function
_ZN7rocprim17ROCPRIM_400000_NS6detail17trampoline_kernelINS0_13select_configILj256ELj13ELNS0_17block_load_methodE3ELS4_3ELS4_3ELNS0_20block_scan_algorithmE0ELj4294967295EEENS1_25partition_config_selectorILNS1_17partition_subalgoE3EjNS0_10empty_typeEbEEZZNS1_14partition_implILS8_3ELb0ES6_jNS0_17counting_iteratorIjlEEPS9_SE_NS0_5tupleIJPjSE_EEENSF_IJSE_SE_EEES9_SG_JZNS1_25segmented_radix_sort_implINS0_14default_configELb1EPKsPsPKlPlN2at6native12_GLOBAL__N_18offset_tEEE10hipError_tPvRmT1_PNSt15iterator_traitsISY_E10value_typeET2_T3_PNSZ_IS14_E10value_typeET4_jRbjT5_S1A_jjP12ihipStream_tbEUljE_EEESV_SW_SX_S14_S18_S1A_T6_T7_T9_mT8_S1C_bDpT10_ENKUlT_T0_E_clISt17integral_constantIbLb1EES1P_EEDaS1K_S1L_EUlS1K_E_NS1_11comp_targetILNS1_3genE2ELNS1_11target_archE906ELNS1_3gpuE6ELNS1_3repE0EEENS1_30default_config_static_selectorELNS0_4arch9wavefront6targetE0EEEvSY_: ; @_ZN7rocprim17ROCPRIM_400000_NS6detail17trampoline_kernelINS0_13select_configILj256ELj13ELNS0_17block_load_methodE3ELS4_3ELS4_3ELNS0_20block_scan_algorithmE0ELj4294967295EEENS1_25partition_config_selectorILNS1_17partition_subalgoE3EjNS0_10empty_typeEbEEZZNS1_14partition_implILS8_3ELb0ES6_jNS0_17counting_iteratorIjlEEPS9_SE_NS0_5tupleIJPjSE_EEENSF_IJSE_SE_EEES9_SG_JZNS1_25segmented_radix_sort_implINS0_14default_configELb1EPKsPsPKlPlN2at6native12_GLOBAL__N_18offset_tEEE10hipError_tPvRmT1_PNSt15iterator_traitsISY_E10value_typeET2_T3_PNSZ_IS14_E10value_typeET4_jRbjT5_S1A_jjP12ihipStream_tbEUljE_EEESV_SW_SX_S14_S18_S1A_T6_T7_T9_mT8_S1C_bDpT10_ENKUlT_T0_E_clISt17integral_constantIbLb1EES1P_EEDaS1K_S1L_EUlS1K_E_NS1_11comp_targetILNS1_3genE2ELNS1_11target_archE906ELNS1_3gpuE6ELNS1_3repE0EEENS1_30default_config_static_selectorELNS0_4arch9wavefront6targetE0EEEvSY_
; %bb.0:
	.section	.rodata,"a",@progbits
	.p2align	6, 0x0
	.amdhsa_kernel _ZN7rocprim17ROCPRIM_400000_NS6detail17trampoline_kernelINS0_13select_configILj256ELj13ELNS0_17block_load_methodE3ELS4_3ELS4_3ELNS0_20block_scan_algorithmE0ELj4294967295EEENS1_25partition_config_selectorILNS1_17partition_subalgoE3EjNS0_10empty_typeEbEEZZNS1_14partition_implILS8_3ELb0ES6_jNS0_17counting_iteratorIjlEEPS9_SE_NS0_5tupleIJPjSE_EEENSF_IJSE_SE_EEES9_SG_JZNS1_25segmented_radix_sort_implINS0_14default_configELb1EPKsPsPKlPlN2at6native12_GLOBAL__N_18offset_tEEE10hipError_tPvRmT1_PNSt15iterator_traitsISY_E10value_typeET2_T3_PNSZ_IS14_E10value_typeET4_jRbjT5_S1A_jjP12ihipStream_tbEUljE_EEESV_SW_SX_S14_S18_S1A_T6_T7_T9_mT8_S1C_bDpT10_ENKUlT_T0_E_clISt17integral_constantIbLb1EES1P_EEDaS1K_S1L_EUlS1K_E_NS1_11comp_targetILNS1_3genE2ELNS1_11target_archE906ELNS1_3gpuE6ELNS1_3repE0EEENS1_30default_config_static_selectorELNS0_4arch9wavefront6targetE0EEEvSY_
		.amdhsa_group_segment_fixed_size 0
		.amdhsa_private_segment_fixed_size 0
		.amdhsa_kernarg_size 152
		.amdhsa_user_sgpr_count 2
		.amdhsa_user_sgpr_dispatch_ptr 0
		.amdhsa_user_sgpr_queue_ptr 0
		.amdhsa_user_sgpr_kernarg_segment_ptr 1
		.amdhsa_user_sgpr_dispatch_id 0
		.amdhsa_user_sgpr_private_segment_size 0
		.amdhsa_wavefront_size32 1
		.amdhsa_uses_dynamic_stack 0
		.amdhsa_enable_private_segment 0
		.amdhsa_system_sgpr_workgroup_id_x 1
		.amdhsa_system_sgpr_workgroup_id_y 0
		.amdhsa_system_sgpr_workgroup_id_z 0
		.amdhsa_system_sgpr_workgroup_info 0
		.amdhsa_system_vgpr_workitem_id 0
		.amdhsa_next_free_vgpr 1
		.amdhsa_next_free_sgpr 1
		.amdhsa_reserve_vcc 0
		.amdhsa_float_round_mode_32 0
		.amdhsa_float_round_mode_16_64 0
		.amdhsa_float_denorm_mode_32 3
		.amdhsa_float_denorm_mode_16_64 3
		.amdhsa_fp16_overflow 0
		.amdhsa_workgroup_processor_mode 1
		.amdhsa_memory_ordered 1
		.amdhsa_forward_progress 1
		.amdhsa_inst_pref_size 0
		.amdhsa_round_robin_scheduling 0
		.amdhsa_exception_fp_ieee_invalid_op 0
		.amdhsa_exception_fp_denorm_src 0
		.amdhsa_exception_fp_ieee_div_zero 0
		.amdhsa_exception_fp_ieee_overflow 0
		.amdhsa_exception_fp_ieee_underflow 0
		.amdhsa_exception_fp_ieee_inexact 0
		.amdhsa_exception_int_div_zero 0
	.end_amdhsa_kernel
	.section	.text._ZN7rocprim17ROCPRIM_400000_NS6detail17trampoline_kernelINS0_13select_configILj256ELj13ELNS0_17block_load_methodE3ELS4_3ELS4_3ELNS0_20block_scan_algorithmE0ELj4294967295EEENS1_25partition_config_selectorILNS1_17partition_subalgoE3EjNS0_10empty_typeEbEEZZNS1_14partition_implILS8_3ELb0ES6_jNS0_17counting_iteratorIjlEEPS9_SE_NS0_5tupleIJPjSE_EEENSF_IJSE_SE_EEES9_SG_JZNS1_25segmented_radix_sort_implINS0_14default_configELb1EPKsPsPKlPlN2at6native12_GLOBAL__N_18offset_tEEE10hipError_tPvRmT1_PNSt15iterator_traitsISY_E10value_typeET2_T3_PNSZ_IS14_E10value_typeET4_jRbjT5_S1A_jjP12ihipStream_tbEUljE_EEESV_SW_SX_S14_S18_S1A_T6_T7_T9_mT8_S1C_bDpT10_ENKUlT_T0_E_clISt17integral_constantIbLb1EES1P_EEDaS1K_S1L_EUlS1K_E_NS1_11comp_targetILNS1_3genE2ELNS1_11target_archE906ELNS1_3gpuE6ELNS1_3repE0EEENS1_30default_config_static_selectorELNS0_4arch9wavefront6targetE0EEEvSY_,"axG",@progbits,_ZN7rocprim17ROCPRIM_400000_NS6detail17trampoline_kernelINS0_13select_configILj256ELj13ELNS0_17block_load_methodE3ELS4_3ELS4_3ELNS0_20block_scan_algorithmE0ELj4294967295EEENS1_25partition_config_selectorILNS1_17partition_subalgoE3EjNS0_10empty_typeEbEEZZNS1_14partition_implILS8_3ELb0ES6_jNS0_17counting_iteratorIjlEEPS9_SE_NS0_5tupleIJPjSE_EEENSF_IJSE_SE_EEES9_SG_JZNS1_25segmented_radix_sort_implINS0_14default_configELb1EPKsPsPKlPlN2at6native12_GLOBAL__N_18offset_tEEE10hipError_tPvRmT1_PNSt15iterator_traitsISY_E10value_typeET2_T3_PNSZ_IS14_E10value_typeET4_jRbjT5_S1A_jjP12ihipStream_tbEUljE_EEESV_SW_SX_S14_S18_S1A_T6_T7_T9_mT8_S1C_bDpT10_ENKUlT_T0_E_clISt17integral_constantIbLb1EES1P_EEDaS1K_S1L_EUlS1K_E_NS1_11comp_targetILNS1_3genE2ELNS1_11target_archE906ELNS1_3gpuE6ELNS1_3repE0EEENS1_30default_config_static_selectorELNS0_4arch9wavefront6targetE0EEEvSY_,comdat
.Lfunc_end891:
	.size	_ZN7rocprim17ROCPRIM_400000_NS6detail17trampoline_kernelINS0_13select_configILj256ELj13ELNS0_17block_load_methodE3ELS4_3ELS4_3ELNS0_20block_scan_algorithmE0ELj4294967295EEENS1_25partition_config_selectorILNS1_17partition_subalgoE3EjNS0_10empty_typeEbEEZZNS1_14partition_implILS8_3ELb0ES6_jNS0_17counting_iteratorIjlEEPS9_SE_NS0_5tupleIJPjSE_EEENSF_IJSE_SE_EEES9_SG_JZNS1_25segmented_radix_sort_implINS0_14default_configELb1EPKsPsPKlPlN2at6native12_GLOBAL__N_18offset_tEEE10hipError_tPvRmT1_PNSt15iterator_traitsISY_E10value_typeET2_T3_PNSZ_IS14_E10value_typeET4_jRbjT5_S1A_jjP12ihipStream_tbEUljE_EEESV_SW_SX_S14_S18_S1A_T6_T7_T9_mT8_S1C_bDpT10_ENKUlT_T0_E_clISt17integral_constantIbLb1EES1P_EEDaS1K_S1L_EUlS1K_E_NS1_11comp_targetILNS1_3genE2ELNS1_11target_archE906ELNS1_3gpuE6ELNS1_3repE0EEENS1_30default_config_static_selectorELNS0_4arch9wavefront6targetE0EEEvSY_, .Lfunc_end891-_ZN7rocprim17ROCPRIM_400000_NS6detail17trampoline_kernelINS0_13select_configILj256ELj13ELNS0_17block_load_methodE3ELS4_3ELS4_3ELNS0_20block_scan_algorithmE0ELj4294967295EEENS1_25partition_config_selectorILNS1_17partition_subalgoE3EjNS0_10empty_typeEbEEZZNS1_14partition_implILS8_3ELb0ES6_jNS0_17counting_iteratorIjlEEPS9_SE_NS0_5tupleIJPjSE_EEENSF_IJSE_SE_EEES9_SG_JZNS1_25segmented_radix_sort_implINS0_14default_configELb1EPKsPsPKlPlN2at6native12_GLOBAL__N_18offset_tEEE10hipError_tPvRmT1_PNSt15iterator_traitsISY_E10value_typeET2_T3_PNSZ_IS14_E10value_typeET4_jRbjT5_S1A_jjP12ihipStream_tbEUljE_EEESV_SW_SX_S14_S18_S1A_T6_T7_T9_mT8_S1C_bDpT10_ENKUlT_T0_E_clISt17integral_constantIbLb1EES1P_EEDaS1K_S1L_EUlS1K_E_NS1_11comp_targetILNS1_3genE2ELNS1_11target_archE906ELNS1_3gpuE6ELNS1_3repE0EEENS1_30default_config_static_selectorELNS0_4arch9wavefront6targetE0EEEvSY_
                                        ; -- End function
	.set _ZN7rocprim17ROCPRIM_400000_NS6detail17trampoline_kernelINS0_13select_configILj256ELj13ELNS0_17block_load_methodE3ELS4_3ELS4_3ELNS0_20block_scan_algorithmE0ELj4294967295EEENS1_25partition_config_selectorILNS1_17partition_subalgoE3EjNS0_10empty_typeEbEEZZNS1_14partition_implILS8_3ELb0ES6_jNS0_17counting_iteratorIjlEEPS9_SE_NS0_5tupleIJPjSE_EEENSF_IJSE_SE_EEES9_SG_JZNS1_25segmented_radix_sort_implINS0_14default_configELb1EPKsPsPKlPlN2at6native12_GLOBAL__N_18offset_tEEE10hipError_tPvRmT1_PNSt15iterator_traitsISY_E10value_typeET2_T3_PNSZ_IS14_E10value_typeET4_jRbjT5_S1A_jjP12ihipStream_tbEUljE_EEESV_SW_SX_S14_S18_S1A_T6_T7_T9_mT8_S1C_bDpT10_ENKUlT_T0_E_clISt17integral_constantIbLb1EES1P_EEDaS1K_S1L_EUlS1K_E_NS1_11comp_targetILNS1_3genE2ELNS1_11target_archE906ELNS1_3gpuE6ELNS1_3repE0EEENS1_30default_config_static_selectorELNS0_4arch9wavefront6targetE0EEEvSY_.num_vgpr, 0
	.set _ZN7rocprim17ROCPRIM_400000_NS6detail17trampoline_kernelINS0_13select_configILj256ELj13ELNS0_17block_load_methodE3ELS4_3ELS4_3ELNS0_20block_scan_algorithmE0ELj4294967295EEENS1_25partition_config_selectorILNS1_17partition_subalgoE3EjNS0_10empty_typeEbEEZZNS1_14partition_implILS8_3ELb0ES6_jNS0_17counting_iteratorIjlEEPS9_SE_NS0_5tupleIJPjSE_EEENSF_IJSE_SE_EEES9_SG_JZNS1_25segmented_radix_sort_implINS0_14default_configELb1EPKsPsPKlPlN2at6native12_GLOBAL__N_18offset_tEEE10hipError_tPvRmT1_PNSt15iterator_traitsISY_E10value_typeET2_T3_PNSZ_IS14_E10value_typeET4_jRbjT5_S1A_jjP12ihipStream_tbEUljE_EEESV_SW_SX_S14_S18_S1A_T6_T7_T9_mT8_S1C_bDpT10_ENKUlT_T0_E_clISt17integral_constantIbLb1EES1P_EEDaS1K_S1L_EUlS1K_E_NS1_11comp_targetILNS1_3genE2ELNS1_11target_archE906ELNS1_3gpuE6ELNS1_3repE0EEENS1_30default_config_static_selectorELNS0_4arch9wavefront6targetE0EEEvSY_.num_agpr, 0
	.set _ZN7rocprim17ROCPRIM_400000_NS6detail17trampoline_kernelINS0_13select_configILj256ELj13ELNS0_17block_load_methodE3ELS4_3ELS4_3ELNS0_20block_scan_algorithmE0ELj4294967295EEENS1_25partition_config_selectorILNS1_17partition_subalgoE3EjNS0_10empty_typeEbEEZZNS1_14partition_implILS8_3ELb0ES6_jNS0_17counting_iteratorIjlEEPS9_SE_NS0_5tupleIJPjSE_EEENSF_IJSE_SE_EEES9_SG_JZNS1_25segmented_radix_sort_implINS0_14default_configELb1EPKsPsPKlPlN2at6native12_GLOBAL__N_18offset_tEEE10hipError_tPvRmT1_PNSt15iterator_traitsISY_E10value_typeET2_T3_PNSZ_IS14_E10value_typeET4_jRbjT5_S1A_jjP12ihipStream_tbEUljE_EEESV_SW_SX_S14_S18_S1A_T6_T7_T9_mT8_S1C_bDpT10_ENKUlT_T0_E_clISt17integral_constantIbLb1EES1P_EEDaS1K_S1L_EUlS1K_E_NS1_11comp_targetILNS1_3genE2ELNS1_11target_archE906ELNS1_3gpuE6ELNS1_3repE0EEENS1_30default_config_static_selectorELNS0_4arch9wavefront6targetE0EEEvSY_.numbered_sgpr, 0
	.set _ZN7rocprim17ROCPRIM_400000_NS6detail17trampoline_kernelINS0_13select_configILj256ELj13ELNS0_17block_load_methodE3ELS4_3ELS4_3ELNS0_20block_scan_algorithmE0ELj4294967295EEENS1_25partition_config_selectorILNS1_17partition_subalgoE3EjNS0_10empty_typeEbEEZZNS1_14partition_implILS8_3ELb0ES6_jNS0_17counting_iteratorIjlEEPS9_SE_NS0_5tupleIJPjSE_EEENSF_IJSE_SE_EEES9_SG_JZNS1_25segmented_radix_sort_implINS0_14default_configELb1EPKsPsPKlPlN2at6native12_GLOBAL__N_18offset_tEEE10hipError_tPvRmT1_PNSt15iterator_traitsISY_E10value_typeET2_T3_PNSZ_IS14_E10value_typeET4_jRbjT5_S1A_jjP12ihipStream_tbEUljE_EEESV_SW_SX_S14_S18_S1A_T6_T7_T9_mT8_S1C_bDpT10_ENKUlT_T0_E_clISt17integral_constantIbLb1EES1P_EEDaS1K_S1L_EUlS1K_E_NS1_11comp_targetILNS1_3genE2ELNS1_11target_archE906ELNS1_3gpuE6ELNS1_3repE0EEENS1_30default_config_static_selectorELNS0_4arch9wavefront6targetE0EEEvSY_.num_named_barrier, 0
	.set _ZN7rocprim17ROCPRIM_400000_NS6detail17trampoline_kernelINS0_13select_configILj256ELj13ELNS0_17block_load_methodE3ELS4_3ELS4_3ELNS0_20block_scan_algorithmE0ELj4294967295EEENS1_25partition_config_selectorILNS1_17partition_subalgoE3EjNS0_10empty_typeEbEEZZNS1_14partition_implILS8_3ELb0ES6_jNS0_17counting_iteratorIjlEEPS9_SE_NS0_5tupleIJPjSE_EEENSF_IJSE_SE_EEES9_SG_JZNS1_25segmented_radix_sort_implINS0_14default_configELb1EPKsPsPKlPlN2at6native12_GLOBAL__N_18offset_tEEE10hipError_tPvRmT1_PNSt15iterator_traitsISY_E10value_typeET2_T3_PNSZ_IS14_E10value_typeET4_jRbjT5_S1A_jjP12ihipStream_tbEUljE_EEESV_SW_SX_S14_S18_S1A_T6_T7_T9_mT8_S1C_bDpT10_ENKUlT_T0_E_clISt17integral_constantIbLb1EES1P_EEDaS1K_S1L_EUlS1K_E_NS1_11comp_targetILNS1_3genE2ELNS1_11target_archE906ELNS1_3gpuE6ELNS1_3repE0EEENS1_30default_config_static_selectorELNS0_4arch9wavefront6targetE0EEEvSY_.private_seg_size, 0
	.set _ZN7rocprim17ROCPRIM_400000_NS6detail17trampoline_kernelINS0_13select_configILj256ELj13ELNS0_17block_load_methodE3ELS4_3ELS4_3ELNS0_20block_scan_algorithmE0ELj4294967295EEENS1_25partition_config_selectorILNS1_17partition_subalgoE3EjNS0_10empty_typeEbEEZZNS1_14partition_implILS8_3ELb0ES6_jNS0_17counting_iteratorIjlEEPS9_SE_NS0_5tupleIJPjSE_EEENSF_IJSE_SE_EEES9_SG_JZNS1_25segmented_radix_sort_implINS0_14default_configELb1EPKsPsPKlPlN2at6native12_GLOBAL__N_18offset_tEEE10hipError_tPvRmT1_PNSt15iterator_traitsISY_E10value_typeET2_T3_PNSZ_IS14_E10value_typeET4_jRbjT5_S1A_jjP12ihipStream_tbEUljE_EEESV_SW_SX_S14_S18_S1A_T6_T7_T9_mT8_S1C_bDpT10_ENKUlT_T0_E_clISt17integral_constantIbLb1EES1P_EEDaS1K_S1L_EUlS1K_E_NS1_11comp_targetILNS1_3genE2ELNS1_11target_archE906ELNS1_3gpuE6ELNS1_3repE0EEENS1_30default_config_static_selectorELNS0_4arch9wavefront6targetE0EEEvSY_.uses_vcc, 0
	.set _ZN7rocprim17ROCPRIM_400000_NS6detail17trampoline_kernelINS0_13select_configILj256ELj13ELNS0_17block_load_methodE3ELS4_3ELS4_3ELNS0_20block_scan_algorithmE0ELj4294967295EEENS1_25partition_config_selectorILNS1_17partition_subalgoE3EjNS0_10empty_typeEbEEZZNS1_14partition_implILS8_3ELb0ES6_jNS0_17counting_iteratorIjlEEPS9_SE_NS0_5tupleIJPjSE_EEENSF_IJSE_SE_EEES9_SG_JZNS1_25segmented_radix_sort_implINS0_14default_configELb1EPKsPsPKlPlN2at6native12_GLOBAL__N_18offset_tEEE10hipError_tPvRmT1_PNSt15iterator_traitsISY_E10value_typeET2_T3_PNSZ_IS14_E10value_typeET4_jRbjT5_S1A_jjP12ihipStream_tbEUljE_EEESV_SW_SX_S14_S18_S1A_T6_T7_T9_mT8_S1C_bDpT10_ENKUlT_T0_E_clISt17integral_constantIbLb1EES1P_EEDaS1K_S1L_EUlS1K_E_NS1_11comp_targetILNS1_3genE2ELNS1_11target_archE906ELNS1_3gpuE6ELNS1_3repE0EEENS1_30default_config_static_selectorELNS0_4arch9wavefront6targetE0EEEvSY_.uses_flat_scratch, 0
	.set _ZN7rocprim17ROCPRIM_400000_NS6detail17trampoline_kernelINS0_13select_configILj256ELj13ELNS0_17block_load_methodE3ELS4_3ELS4_3ELNS0_20block_scan_algorithmE0ELj4294967295EEENS1_25partition_config_selectorILNS1_17partition_subalgoE3EjNS0_10empty_typeEbEEZZNS1_14partition_implILS8_3ELb0ES6_jNS0_17counting_iteratorIjlEEPS9_SE_NS0_5tupleIJPjSE_EEENSF_IJSE_SE_EEES9_SG_JZNS1_25segmented_radix_sort_implINS0_14default_configELb1EPKsPsPKlPlN2at6native12_GLOBAL__N_18offset_tEEE10hipError_tPvRmT1_PNSt15iterator_traitsISY_E10value_typeET2_T3_PNSZ_IS14_E10value_typeET4_jRbjT5_S1A_jjP12ihipStream_tbEUljE_EEESV_SW_SX_S14_S18_S1A_T6_T7_T9_mT8_S1C_bDpT10_ENKUlT_T0_E_clISt17integral_constantIbLb1EES1P_EEDaS1K_S1L_EUlS1K_E_NS1_11comp_targetILNS1_3genE2ELNS1_11target_archE906ELNS1_3gpuE6ELNS1_3repE0EEENS1_30default_config_static_selectorELNS0_4arch9wavefront6targetE0EEEvSY_.has_dyn_sized_stack, 0
	.set _ZN7rocprim17ROCPRIM_400000_NS6detail17trampoline_kernelINS0_13select_configILj256ELj13ELNS0_17block_load_methodE3ELS4_3ELS4_3ELNS0_20block_scan_algorithmE0ELj4294967295EEENS1_25partition_config_selectorILNS1_17partition_subalgoE3EjNS0_10empty_typeEbEEZZNS1_14partition_implILS8_3ELb0ES6_jNS0_17counting_iteratorIjlEEPS9_SE_NS0_5tupleIJPjSE_EEENSF_IJSE_SE_EEES9_SG_JZNS1_25segmented_radix_sort_implINS0_14default_configELb1EPKsPsPKlPlN2at6native12_GLOBAL__N_18offset_tEEE10hipError_tPvRmT1_PNSt15iterator_traitsISY_E10value_typeET2_T3_PNSZ_IS14_E10value_typeET4_jRbjT5_S1A_jjP12ihipStream_tbEUljE_EEESV_SW_SX_S14_S18_S1A_T6_T7_T9_mT8_S1C_bDpT10_ENKUlT_T0_E_clISt17integral_constantIbLb1EES1P_EEDaS1K_S1L_EUlS1K_E_NS1_11comp_targetILNS1_3genE2ELNS1_11target_archE906ELNS1_3gpuE6ELNS1_3repE0EEENS1_30default_config_static_selectorELNS0_4arch9wavefront6targetE0EEEvSY_.has_recursion, 0
	.set _ZN7rocprim17ROCPRIM_400000_NS6detail17trampoline_kernelINS0_13select_configILj256ELj13ELNS0_17block_load_methodE3ELS4_3ELS4_3ELNS0_20block_scan_algorithmE0ELj4294967295EEENS1_25partition_config_selectorILNS1_17partition_subalgoE3EjNS0_10empty_typeEbEEZZNS1_14partition_implILS8_3ELb0ES6_jNS0_17counting_iteratorIjlEEPS9_SE_NS0_5tupleIJPjSE_EEENSF_IJSE_SE_EEES9_SG_JZNS1_25segmented_radix_sort_implINS0_14default_configELb1EPKsPsPKlPlN2at6native12_GLOBAL__N_18offset_tEEE10hipError_tPvRmT1_PNSt15iterator_traitsISY_E10value_typeET2_T3_PNSZ_IS14_E10value_typeET4_jRbjT5_S1A_jjP12ihipStream_tbEUljE_EEESV_SW_SX_S14_S18_S1A_T6_T7_T9_mT8_S1C_bDpT10_ENKUlT_T0_E_clISt17integral_constantIbLb1EES1P_EEDaS1K_S1L_EUlS1K_E_NS1_11comp_targetILNS1_3genE2ELNS1_11target_archE906ELNS1_3gpuE6ELNS1_3repE0EEENS1_30default_config_static_selectorELNS0_4arch9wavefront6targetE0EEEvSY_.has_indirect_call, 0
	.section	.AMDGPU.csdata,"",@progbits
; Kernel info:
; codeLenInByte = 0
; TotalNumSgprs: 0
; NumVgprs: 0
; ScratchSize: 0
; MemoryBound: 0
; FloatMode: 240
; IeeeMode: 1
; LDSByteSize: 0 bytes/workgroup (compile time only)
; SGPRBlocks: 0
; VGPRBlocks: 0
; NumSGPRsForWavesPerEU: 1
; NumVGPRsForWavesPerEU: 1
; Occupancy: 16
; WaveLimiterHint : 0
; COMPUTE_PGM_RSRC2:SCRATCH_EN: 0
; COMPUTE_PGM_RSRC2:USER_SGPR: 2
; COMPUTE_PGM_RSRC2:TRAP_HANDLER: 0
; COMPUTE_PGM_RSRC2:TGID_X_EN: 1
; COMPUTE_PGM_RSRC2:TGID_Y_EN: 0
; COMPUTE_PGM_RSRC2:TGID_Z_EN: 0
; COMPUTE_PGM_RSRC2:TIDIG_COMP_CNT: 0
	.section	.text._ZN7rocprim17ROCPRIM_400000_NS6detail17trampoline_kernelINS0_13select_configILj256ELj13ELNS0_17block_load_methodE3ELS4_3ELS4_3ELNS0_20block_scan_algorithmE0ELj4294967295EEENS1_25partition_config_selectorILNS1_17partition_subalgoE3EjNS0_10empty_typeEbEEZZNS1_14partition_implILS8_3ELb0ES6_jNS0_17counting_iteratorIjlEEPS9_SE_NS0_5tupleIJPjSE_EEENSF_IJSE_SE_EEES9_SG_JZNS1_25segmented_radix_sort_implINS0_14default_configELb1EPKsPsPKlPlN2at6native12_GLOBAL__N_18offset_tEEE10hipError_tPvRmT1_PNSt15iterator_traitsISY_E10value_typeET2_T3_PNSZ_IS14_E10value_typeET4_jRbjT5_S1A_jjP12ihipStream_tbEUljE_EEESV_SW_SX_S14_S18_S1A_T6_T7_T9_mT8_S1C_bDpT10_ENKUlT_T0_E_clISt17integral_constantIbLb1EES1P_EEDaS1K_S1L_EUlS1K_E_NS1_11comp_targetILNS1_3genE10ELNS1_11target_archE1200ELNS1_3gpuE4ELNS1_3repE0EEENS1_30default_config_static_selectorELNS0_4arch9wavefront6targetE0EEEvSY_,"axG",@progbits,_ZN7rocprim17ROCPRIM_400000_NS6detail17trampoline_kernelINS0_13select_configILj256ELj13ELNS0_17block_load_methodE3ELS4_3ELS4_3ELNS0_20block_scan_algorithmE0ELj4294967295EEENS1_25partition_config_selectorILNS1_17partition_subalgoE3EjNS0_10empty_typeEbEEZZNS1_14partition_implILS8_3ELb0ES6_jNS0_17counting_iteratorIjlEEPS9_SE_NS0_5tupleIJPjSE_EEENSF_IJSE_SE_EEES9_SG_JZNS1_25segmented_radix_sort_implINS0_14default_configELb1EPKsPsPKlPlN2at6native12_GLOBAL__N_18offset_tEEE10hipError_tPvRmT1_PNSt15iterator_traitsISY_E10value_typeET2_T3_PNSZ_IS14_E10value_typeET4_jRbjT5_S1A_jjP12ihipStream_tbEUljE_EEESV_SW_SX_S14_S18_S1A_T6_T7_T9_mT8_S1C_bDpT10_ENKUlT_T0_E_clISt17integral_constantIbLb1EES1P_EEDaS1K_S1L_EUlS1K_E_NS1_11comp_targetILNS1_3genE10ELNS1_11target_archE1200ELNS1_3gpuE4ELNS1_3repE0EEENS1_30default_config_static_selectorELNS0_4arch9wavefront6targetE0EEEvSY_,comdat
	.globl	_ZN7rocprim17ROCPRIM_400000_NS6detail17trampoline_kernelINS0_13select_configILj256ELj13ELNS0_17block_load_methodE3ELS4_3ELS4_3ELNS0_20block_scan_algorithmE0ELj4294967295EEENS1_25partition_config_selectorILNS1_17partition_subalgoE3EjNS0_10empty_typeEbEEZZNS1_14partition_implILS8_3ELb0ES6_jNS0_17counting_iteratorIjlEEPS9_SE_NS0_5tupleIJPjSE_EEENSF_IJSE_SE_EEES9_SG_JZNS1_25segmented_radix_sort_implINS0_14default_configELb1EPKsPsPKlPlN2at6native12_GLOBAL__N_18offset_tEEE10hipError_tPvRmT1_PNSt15iterator_traitsISY_E10value_typeET2_T3_PNSZ_IS14_E10value_typeET4_jRbjT5_S1A_jjP12ihipStream_tbEUljE_EEESV_SW_SX_S14_S18_S1A_T6_T7_T9_mT8_S1C_bDpT10_ENKUlT_T0_E_clISt17integral_constantIbLb1EES1P_EEDaS1K_S1L_EUlS1K_E_NS1_11comp_targetILNS1_3genE10ELNS1_11target_archE1200ELNS1_3gpuE4ELNS1_3repE0EEENS1_30default_config_static_selectorELNS0_4arch9wavefront6targetE0EEEvSY_ ; -- Begin function _ZN7rocprim17ROCPRIM_400000_NS6detail17trampoline_kernelINS0_13select_configILj256ELj13ELNS0_17block_load_methodE3ELS4_3ELS4_3ELNS0_20block_scan_algorithmE0ELj4294967295EEENS1_25partition_config_selectorILNS1_17partition_subalgoE3EjNS0_10empty_typeEbEEZZNS1_14partition_implILS8_3ELb0ES6_jNS0_17counting_iteratorIjlEEPS9_SE_NS0_5tupleIJPjSE_EEENSF_IJSE_SE_EEES9_SG_JZNS1_25segmented_radix_sort_implINS0_14default_configELb1EPKsPsPKlPlN2at6native12_GLOBAL__N_18offset_tEEE10hipError_tPvRmT1_PNSt15iterator_traitsISY_E10value_typeET2_T3_PNSZ_IS14_E10value_typeET4_jRbjT5_S1A_jjP12ihipStream_tbEUljE_EEESV_SW_SX_S14_S18_S1A_T6_T7_T9_mT8_S1C_bDpT10_ENKUlT_T0_E_clISt17integral_constantIbLb1EES1P_EEDaS1K_S1L_EUlS1K_E_NS1_11comp_targetILNS1_3genE10ELNS1_11target_archE1200ELNS1_3gpuE4ELNS1_3repE0EEENS1_30default_config_static_selectorELNS0_4arch9wavefront6targetE0EEEvSY_
	.p2align	8
	.type	_ZN7rocprim17ROCPRIM_400000_NS6detail17trampoline_kernelINS0_13select_configILj256ELj13ELNS0_17block_load_methodE3ELS4_3ELS4_3ELNS0_20block_scan_algorithmE0ELj4294967295EEENS1_25partition_config_selectorILNS1_17partition_subalgoE3EjNS0_10empty_typeEbEEZZNS1_14partition_implILS8_3ELb0ES6_jNS0_17counting_iteratorIjlEEPS9_SE_NS0_5tupleIJPjSE_EEENSF_IJSE_SE_EEES9_SG_JZNS1_25segmented_radix_sort_implINS0_14default_configELb1EPKsPsPKlPlN2at6native12_GLOBAL__N_18offset_tEEE10hipError_tPvRmT1_PNSt15iterator_traitsISY_E10value_typeET2_T3_PNSZ_IS14_E10value_typeET4_jRbjT5_S1A_jjP12ihipStream_tbEUljE_EEESV_SW_SX_S14_S18_S1A_T6_T7_T9_mT8_S1C_bDpT10_ENKUlT_T0_E_clISt17integral_constantIbLb1EES1P_EEDaS1K_S1L_EUlS1K_E_NS1_11comp_targetILNS1_3genE10ELNS1_11target_archE1200ELNS1_3gpuE4ELNS1_3repE0EEENS1_30default_config_static_selectorELNS0_4arch9wavefront6targetE0EEEvSY_,@function
_ZN7rocprim17ROCPRIM_400000_NS6detail17trampoline_kernelINS0_13select_configILj256ELj13ELNS0_17block_load_methodE3ELS4_3ELS4_3ELNS0_20block_scan_algorithmE0ELj4294967295EEENS1_25partition_config_selectorILNS1_17partition_subalgoE3EjNS0_10empty_typeEbEEZZNS1_14partition_implILS8_3ELb0ES6_jNS0_17counting_iteratorIjlEEPS9_SE_NS0_5tupleIJPjSE_EEENSF_IJSE_SE_EEES9_SG_JZNS1_25segmented_radix_sort_implINS0_14default_configELb1EPKsPsPKlPlN2at6native12_GLOBAL__N_18offset_tEEE10hipError_tPvRmT1_PNSt15iterator_traitsISY_E10value_typeET2_T3_PNSZ_IS14_E10value_typeET4_jRbjT5_S1A_jjP12ihipStream_tbEUljE_EEESV_SW_SX_S14_S18_S1A_T6_T7_T9_mT8_S1C_bDpT10_ENKUlT_T0_E_clISt17integral_constantIbLb1EES1P_EEDaS1K_S1L_EUlS1K_E_NS1_11comp_targetILNS1_3genE10ELNS1_11target_archE1200ELNS1_3gpuE4ELNS1_3repE0EEENS1_30default_config_static_selectorELNS0_4arch9wavefront6targetE0EEEvSY_: ; @_ZN7rocprim17ROCPRIM_400000_NS6detail17trampoline_kernelINS0_13select_configILj256ELj13ELNS0_17block_load_methodE3ELS4_3ELS4_3ELNS0_20block_scan_algorithmE0ELj4294967295EEENS1_25partition_config_selectorILNS1_17partition_subalgoE3EjNS0_10empty_typeEbEEZZNS1_14partition_implILS8_3ELb0ES6_jNS0_17counting_iteratorIjlEEPS9_SE_NS0_5tupleIJPjSE_EEENSF_IJSE_SE_EEES9_SG_JZNS1_25segmented_radix_sort_implINS0_14default_configELb1EPKsPsPKlPlN2at6native12_GLOBAL__N_18offset_tEEE10hipError_tPvRmT1_PNSt15iterator_traitsISY_E10value_typeET2_T3_PNSZ_IS14_E10value_typeET4_jRbjT5_S1A_jjP12ihipStream_tbEUljE_EEESV_SW_SX_S14_S18_S1A_T6_T7_T9_mT8_S1C_bDpT10_ENKUlT_T0_E_clISt17integral_constantIbLb1EES1P_EEDaS1K_S1L_EUlS1K_E_NS1_11comp_targetILNS1_3genE10ELNS1_11target_archE1200ELNS1_3gpuE4ELNS1_3repE0EEENS1_30default_config_static_selectorELNS0_4arch9wavefront6targetE0EEEvSY_
; %bb.0:
	s_endpgm
	.section	.rodata,"a",@progbits
	.p2align	6, 0x0
	.amdhsa_kernel _ZN7rocprim17ROCPRIM_400000_NS6detail17trampoline_kernelINS0_13select_configILj256ELj13ELNS0_17block_load_methodE3ELS4_3ELS4_3ELNS0_20block_scan_algorithmE0ELj4294967295EEENS1_25partition_config_selectorILNS1_17partition_subalgoE3EjNS0_10empty_typeEbEEZZNS1_14partition_implILS8_3ELb0ES6_jNS0_17counting_iteratorIjlEEPS9_SE_NS0_5tupleIJPjSE_EEENSF_IJSE_SE_EEES9_SG_JZNS1_25segmented_radix_sort_implINS0_14default_configELb1EPKsPsPKlPlN2at6native12_GLOBAL__N_18offset_tEEE10hipError_tPvRmT1_PNSt15iterator_traitsISY_E10value_typeET2_T3_PNSZ_IS14_E10value_typeET4_jRbjT5_S1A_jjP12ihipStream_tbEUljE_EEESV_SW_SX_S14_S18_S1A_T6_T7_T9_mT8_S1C_bDpT10_ENKUlT_T0_E_clISt17integral_constantIbLb1EES1P_EEDaS1K_S1L_EUlS1K_E_NS1_11comp_targetILNS1_3genE10ELNS1_11target_archE1200ELNS1_3gpuE4ELNS1_3repE0EEENS1_30default_config_static_selectorELNS0_4arch9wavefront6targetE0EEEvSY_
		.amdhsa_group_segment_fixed_size 0
		.amdhsa_private_segment_fixed_size 0
		.amdhsa_kernarg_size 152
		.amdhsa_user_sgpr_count 2
		.amdhsa_user_sgpr_dispatch_ptr 0
		.amdhsa_user_sgpr_queue_ptr 0
		.amdhsa_user_sgpr_kernarg_segment_ptr 1
		.amdhsa_user_sgpr_dispatch_id 0
		.amdhsa_user_sgpr_private_segment_size 0
		.amdhsa_wavefront_size32 1
		.amdhsa_uses_dynamic_stack 0
		.amdhsa_enable_private_segment 0
		.amdhsa_system_sgpr_workgroup_id_x 1
		.amdhsa_system_sgpr_workgroup_id_y 0
		.amdhsa_system_sgpr_workgroup_id_z 0
		.amdhsa_system_sgpr_workgroup_info 0
		.amdhsa_system_vgpr_workitem_id 0
		.amdhsa_next_free_vgpr 1
		.amdhsa_next_free_sgpr 1
		.amdhsa_reserve_vcc 0
		.amdhsa_float_round_mode_32 0
		.amdhsa_float_round_mode_16_64 0
		.amdhsa_float_denorm_mode_32 3
		.amdhsa_float_denorm_mode_16_64 3
		.amdhsa_fp16_overflow 0
		.amdhsa_workgroup_processor_mode 1
		.amdhsa_memory_ordered 1
		.amdhsa_forward_progress 1
		.amdhsa_inst_pref_size 1
		.amdhsa_round_robin_scheduling 0
		.amdhsa_exception_fp_ieee_invalid_op 0
		.amdhsa_exception_fp_denorm_src 0
		.amdhsa_exception_fp_ieee_div_zero 0
		.amdhsa_exception_fp_ieee_overflow 0
		.amdhsa_exception_fp_ieee_underflow 0
		.amdhsa_exception_fp_ieee_inexact 0
		.amdhsa_exception_int_div_zero 0
	.end_amdhsa_kernel
	.section	.text._ZN7rocprim17ROCPRIM_400000_NS6detail17trampoline_kernelINS0_13select_configILj256ELj13ELNS0_17block_load_methodE3ELS4_3ELS4_3ELNS0_20block_scan_algorithmE0ELj4294967295EEENS1_25partition_config_selectorILNS1_17partition_subalgoE3EjNS0_10empty_typeEbEEZZNS1_14partition_implILS8_3ELb0ES6_jNS0_17counting_iteratorIjlEEPS9_SE_NS0_5tupleIJPjSE_EEENSF_IJSE_SE_EEES9_SG_JZNS1_25segmented_radix_sort_implINS0_14default_configELb1EPKsPsPKlPlN2at6native12_GLOBAL__N_18offset_tEEE10hipError_tPvRmT1_PNSt15iterator_traitsISY_E10value_typeET2_T3_PNSZ_IS14_E10value_typeET4_jRbjT5_S1A_jjP12ihipStream_tbEUljE_EEESV_SW_SX_S14_S18_S1A_T6_T7_T9_mT8_S1C_bDpT10_ENKUlT_T0_E_clISt17integral_constantIbLb1EES1P_EEDaS1K_S1L_EUlS1K_E_NS1_11comp_targetILNS1_3genE10ELNS1_11target_archE1200ELNS1_3gpuE4ELNS1_3repE0EEENS1_30default_config_static_selectorELNS0_4arch9wavefront6targetE0EEEvSY_,"axG",@progbits,_ZN7rocprim17ROCPRIM_400000_NS6detail17trampoline_kernelINS0_13select_configILj256ELj13ELNS0_17block_load_methodE3ELS4_3ELS4_3ELNS0_20block_scan_algorithmE0ELj4294967295EEENS1_25partition_config_selectorILNS1_17partition_subalgoE3EjNS0_10empty_typeEbEEZZNS1_14partition_implILS8_3ELb0ES6_jNS0_17counting_iteratorIjlEEPS9_SE_NS0_5tupleIJPjSE_EEENSF_IJSE_SE_EEES9_SG_JZNS1_25segmented_radix_sort_implINS0_14default_configELb1EPKsPsPKlPlN2at6native12_GLOBAL__N_18offset_tEEE10hipError_tPvRmT1_PNSt15iterator_traitsISY_E10value_typeET2_T3_PNSZ_IS14_E10value_typeET4_jRbjT5_S1A_jjP12ihipStream_tbEUljE_EEESV_SW_SX_S14_S18_S1A_T6_T7_T9_mT8_S1C_bDpT10_ENKUlT_T0_E_clISt17integral_constantIbLb1EES1P_EEDaS1K_S1L_EUlS1K_E_NS1_11comp_targetILNS1_3genE10ELNS1_11target_archE1200ELNS1_3gpuE4ELNS1_3repE0EEENS1_30default_config_static_selectorELNS0_4arch9wavefront6targetE0EEEvSY_,comdat
.Lfunc_end892:
	.size	_ZN7rocprim17ROCPRIM_400000_NS6detail17trampoline_kernelINS0_13select_configILj256ELj13ELNS0_17block_load_methodE3ELS4_3ELS4_3ELNS0_20block_scan_algorithmE0ELj4294967295EEENS1_25partition_config_selectorILNS1_17partition_subalgoE3EjNS0_10empty_typeEbEEZZNS1_14partition_implILS8_3ELb0ES6_jNS0_17counting_iteratorIjlEEPS9_SE_NS0_5tupleIJPjSE_EEENSF_IJSE_SE_EEES9_SG_JZNS1_25segmented_radix_sort_implINS0_14default_configELb1EPKsPsPKlPlN2at6native12_GLOBAL__N_18offset_tEEE10hipError_tPvRmT1_PNSt15iterator_traitsISY_E10value_typeET2_T3_PNSZ_IS14_E10value_typeET4_jRbjT5_S1A_jjP12ihipStream_tbEUljE_EEESV_SW_SX_S14_S18_S1A_T6_T7_T9_mT8_S1C_bDpT10_ENKUlT_T0_E_clISt17integral_constantIbLb1EES1P_EEDaS1K_S1L_EUlS1K_E_NS1_11comp_targetILNS1_3genE10ELNS1_11target_archE1200ELNS1_3gpuE4ELNS1_3repE0EEENS1_30default_config_static_selectorELNS0_4arch9wavefront6targetE0EEEvSY_, .Lfunc_end892-_ZN7rocprim17ROCPRIM_400000_NS6detail17trampoline_kernelINS0_13select_configILj256ELj13ELNS0_17block_load_methodE3ELS4_3ELS4_3ELNS0_20block_scan_algorithmE0ELj4294967295EEENS1_25partition_config_selectorILNS1_17partition_subalgoE3EjNS0_10empty_typeEbEEZZNS1_14partition_implILS8_3ELb0ES6_jNS0_17counting_iteratorIjlEEPS9_SE_NS0_5tupleIJPjSE_EEENSF_IJSE_SE_EEES9_SG_JZNS1_25segmented_radix_sort_implINS0_14default_configELb1EPKsPsPKlPlN2at6native12_GLOBAL__N_18offset_tEEE10hipError_tPvRmT1_PNSt15iterator_traitsISY_E10value_typeET2_T3_PNSZ_IS14_E10value_typeET4_jRbjT5_S1A_jjP12ihipStream_tbEUljE_EEESV_SW_SX_S14_S18_S1A_T6_T7_T9_mT8_S1C_bDpT10_ENKUlT_T0_E_clISt17integral_constantIbLb1EES1P_EEDaS1K_S1L_EUlS1K_E_NS1_11comp_targetILNS1_3genE10ELNS1_11target_archE1200ELNS1_3gpuE4ELNS1_3repE0EEENS1_30default_config_static_selectorELNS0_4arch9wavefront6targetE0EEEvSY_
                                        ; -- End function
	.set _ZN7rocprim17ROCPRIM_400000_NS6detail17trampoline_kernelINS0_13select_configILj256ELj13ELNS0_17block_load_methodE3ELS4_3ELS4_3ELNS0_20block_scan_algorithmE0ELj4294967295EEENS1_25partition_config_selectorILNS1_17partition_subalgoE3EjNS0_10empty_typeEbEEZZNS1_14partition_implILS8_3ELb0ES6_jNS0_17counting_iteratorIjlEEPS9_SE_NS0_5tupleIJPjSE_EEENSF_IJSE_SE_EEES9_SG_JZNS1_25segmented_radix_sort_implINS0_14default_configELb1EPKsPsPKlPlN2at6native12_GLOBAL__N_18offset_tEEE10hipError_tPvRmT1_PNSt15iterator_traitsISY_E10value_typeET2_T3_PNSZ_IS14_E10value_typeET4_jRbjT5_S1A_jjP12ihipStream_tbEUljE_EEESV_SW_SX_S14_S18_S1A_T6_T7_T9_mT8_S1C_bDpT10_ENKUlT_T0_E_clISt17integral_constantIbLb1EES1P_EEDaS1K_S1L_EUlS1K_E_NS1_11comp_targetILNS1_3genE10ELNS1_11target_archE1200ELNS1_3gpuE4ELNS1_3repE0EEENS1_30default_config_static_selectorELNS0_4arch9wavefront6targetE0EEEvSY_.num_vgpr, 0
	.set _ZN7rocprim17ROCPRIM_400000_NS6detail17trampoline_kernelINS0_13select_configILj256ELj13ELNS0_17block_load_methodE3ELS4_3ELS4_3ELNS0_20block_scan_algorithmE0ELj4294967295EEENS1_25partition_config_selectorILNS1_17partition_subalgoE3EjNS0_10empty_typeEbEEZZNS1_14partition_implILS8_3ELb0ES6_jNS0_17counting_iteratorIjlEEPS9_SE_NS0_5tupleIJPjSE_EEENSF_IJSE_SE_EEES9_SG_JZNS1_25segmented_radix_sort_implINS0_14default_configELb1EPKsPsPKlPlN2at6native12_GLOBAL__N_18offset_tEEE10hipError_tPvRmT1_PNSt15iterator_traitsISY_E10value_typeET2_T3_PNSZ_IS14_E10value_typeET4_jRbjT5_S1A_jjP12ihipStream_tbEUljE_EEESV_SW_SX_S14_S18_S1A_T6_T7_T9_mT8_S1C_bDpT10_ENKUlT_T0_E_clISt17integral_constantIbLb1EES1P_EEDaS1K_S1L_EUlS1K_E_NS1_11comp_targetILNS1_3genE10ELNS1_11target_archE1200ELNS1_3gpuE4ELNS1_3repE0EEENS1_30default_config_static_selectorELNS0_4arch9wavefront6targetE0EEEvSY_.num_agpr, 0
	.set _ZN7rocprim17ROCPRIM_400000_NS6detail17trampoline_kernelINS0_13select_configILj256ELj13ELNS0_17block_load_methodE3ELS4_3ELS4_3ELNS0_20block_scan_algorithmE0ELj4294967295EEENS1_25partition_config_selectorILNS1_17partition_subalgoE3EjNS0_10empty_typeEbEEZZNS1_14partition_implILS8_3ELb0ES6_jNS0_17counting_iteratorIjlEEPS9_SE_NS0_5tupleIJPjSE_EEENSF_IJSE_SE_EEES9_SG_JZNS1_25segmented_radix_sort_implINS0_14default_configELb1EPKsPsPKlPlN2at6native12_GLOBAL__N_18offset_tEEE10hipError_tPvRmT1_PNSt15iterator_traitsISY_E10value_typeET2_T3_PNSZ_IS14_E10value_typeET4_jRbjT5_S1A_jjP12ihipStream_tbEUljE_EEESV_SW_SX_S14_S18_S1A_T6_T7_T9_mT8_S1C_bDpT10_ENKUlT_T0_E_clISt17integral_constantIbLb1EES1P_EEDaS1K_S1L_EUlS1K_E_NS1_11comp_targetILNS1_3genE10ELNS1_11target_archE1200ELNS1_3gpuE4ELNS1_3repE0EEENS1_30default_config_static_selectorELNS0_4arch9wavefront6targetE0EEEvSY_.numbered_sgpr, 0
	.set _ZN7rocprim17ROCPRIM_400000_NS6detail17trampoline_kernelINS0_13select_configILj256ELj13ELNS0_17block_load_methodE3ELS4_3ELS4_3ELNS0_20block_scan_algorithmE0ELj4294967295EEENS1_25partition_config_selectorILNS1_17partition_subalgoE3EjNS0_10empty_typeEbEEZZNS1_14partition_implILS8_3ELb0ES6_jNS0_17counting_iteratorIjlEEPS9_SE_NS0_5tupleIJPjSE_EEENSF_IJSE_SE_EEES9_SG_JZNS1_25segmented_radix_sort_implINS0_14default_configELb1EPKsPsPKlPlN2at6native12_GLOBAL__N_18offset_tEEE10hipError_tPvRmT1_PNSt15iterator_traitsISY_E10value_typeET2_T3_PNSZ_IS14_E10value_typeET4_jRbjT5_S1A_jjP12ihipStream_tbEUljE_EEESV_SW_SX_S14_S18_S1A_T6_T7_T9_mT8_S1C_bDpT10_ENKUlT_T0_E_clISt17integral_constantIbLb1EES1P_EEDaS1K_S1L_EUlS1K_E_NS1_11comp_targetILNS1_3genE10ELNS1_11target_archE1200ELNS1_3gpuE4ELNS1_3repE0EEENS1_30default_config_static_selectorELNS0_4arch9wavefront6targetE0EEEvSY_.num_named_barrier, 0
	.set _ZN7rocprim17ROCPRIM_400000_NS6detail17trampoline_kernelINS0_13select_configILj256ELj13ELNS0_17block_load_methodE3ELS4_3ELS4_3ELNS0_20block_scan_algorithmE0ELj4294967295EEENS1_25partition_config_selectorILNS1_17partition_subalgoE3EjNS0_10empty_typeEbEEZZNS1_14partition_implILS8_3ELb0ES6_jNS0_17counting_iteratorIjlEEPS9_SE_NS0_5tupleIJPjSE_EEENSF_IJSE_SE_EEES9_SG_JZNS1_25segmented_radix_sort_implINS0_14default_configELb1EPKsPsPKlPlN2at6native12_GLOBAL__N_18offset_tEEE10hipError_tPvRmT1_PNSt15iterator_traitsISY_E10value_typeET2_T3_PNSZ_IS14_E10value_typeET4_jRbjT5_S1A_jjP12ihipStream_tbEUljE_EEESV_SW_SX_S14_S18_S1A_T6_T7_T9_mT8_S1C_bDpT10_ENKUlT_T0_E_clISt17integral_constantIbLb1EES1P_EEDaS1K_S1L_EUlS1K_E_NS1_11comp_targetILNS1_3genE10ELNS1_11target_archE1200ELNS1_3gpuE4ELNS1_3repE0EEENS1_30default_config_static_selectorELNS0_4arch9wavefront6targetE0EEEvSY_.private_seg_size, 0
	.set _ZN7rocprim17ROCPRIM_400000_NS6detail17trampoline_kernelINS0_13select_configILj256ELj13ELNS0_17block_load_methodE3ELS4_3ELS4_3ELNS0_20block_scan_algorithmE0ELj4294967295EEENS1_25partition_config_selectorILNS1_17partition_subalgoE3EjNS0_10empty_typeEbEEZZNS1_14partition_implILS8_3ELb0ES6_jNS0_17counting_iteratorIjlEEPS9_SE_NS0_5tupleIJPjSE_EEENSF_IJSE_SE_EEES9_SG_JZNS1_25segmented_radix_sort_implINS0_14default_configELb1EPKsPsPKlPlN2at6native12_GLOBAL__N_18offset_tEEE10hipError_tPvRmT1_PNSt15iterator_traitsISY_E10value_typeET2_T3_PNSZ_IS14_E10value_typeET4_jRbjT5_S1A_jjP12ihipStream_tbEUljE_EEESV_SW_SX_S14_S18_S1A_T6_T7_T9_mT8_S1C_bDpT10_ENKUlT_T0_E_clISt17integral_constantIbLb1EES1P_EEDaS1K_S1L_EUlS1K_E_NS1_11comp_targetILNS1_3genE10ELNS1_11target_archE1200ELNS1_3gpuE4ELNS1_3repE0EEENS1_30default_config_static_selectorELNS0_4arch9wavefront6targetE0EEEvSY_.uses_vcc, 0
	.set _ZN7rocprim17ROCPRIM_400000_NS6detail17trampoline_kernelINS0_13select_configILj256ELj13ELNS0_17block_load_methodE3ELS4_3ELS4_3ELNS0_20block_scan_algorithmE0ELj4294967295EEENS1_25partition_config_selectorILNS1_17partition_subalgoE3EjNS0_10empty_typeEbEEZZNS1_14partition_implILS8_3ELb0ES6_jNS0_17counting_iteratorIjlEEPS9_SE_NS0_5tupleIJPjSE_EEENSF_IJSE_SE_EEES9_SG_JZNS1_25segmented_radix_sort_implINS0_14default_configELb1EPKsPsPKlPlN2at6native12_GLOBAL__N_18offset_tEEE10hipError_tPvRmT1_PNSt15iterator_traitsISY_E10value_typeET2_T3_PNSZ_IS14_E10value_typeET4_jRbjT5_S1A_jjP12ihipStream_tbEUljE_EEESV_SW_SX_S14_S18_S1A_T6_T7_T9_mT8_S1C_bDpT10_ENKUlT_T0_E_clISt17integral_constantIbLb1EES1P_EEDaS1K_S1L_EUlS1K_E_NS1_11comp_targetILNS1_3genE10ELNS1_11target_archE1200ELNS1_3gpuE4ELNS1_3repE0EEENS1_30default_config_static_selectorELNS0_4arch9wavefront6targetE0EEEvSY_.uses_flat_scratch, 0
	.set _ZN7rocprim17ROCPRIM_400000_NS6detail17trampoline_kernelINS0_13select_configILj256ELj13ELNS0_17block_load_methodE3ELS4_3ELS4_3ELNS0_20block_scan_algorithmE0ELj4294967295EEENS1_25partition_config_selectorILNS1_17partition_subalgoE3EjNS0_10empty_typeEbEEZZNS1_14partition_implILS8_3ELb0ES6_jNS0_17counting_iteratorIjlEEPS9_SE_NS0_5tupleIJPjSE_EEENSF_IJSE_SE_EEES9_SG_JZNS1_25segmented_radix_sort_implINS0_14default_configELb1EPKsPsPKlPlN2at6native12_GLOBAL__N_18offset_tEEE10hipError_tPvRmT1_PNSt15iterator_traitsISY_E10value_typeET2_T3_PNSZ_IS14_E10value_typeET4_jRbjT5_S1A_jjP12ihipStream_tbEUljE_EEESV_SW_SX_S14_S18_S1A_T6_T7_T9_mT8_S1C_bDpT10_ENKUlT_T0_E_clISt17integral_constantIbLb1EES1P_EEDaS1K_S1L_EUlS1K_E_NS1_11comp_targetILNS1_3genE10ELNS1_11target_archE1200ELNS1_3gpuE4ELNS1_3repE0EEENS1_30default_config_static_selectorELNS0_4arch9wavefront6targetE0EEEvSY_.has_dyn_sized_stack, 0
	.set _ZN7rocprim17ROCPRIM_400000_NS6detail17trampoline_kernelINS0_13select_configILj256ELj13ELNS0_17block_load_methodE3ELS4_3ELS4_3ELNS0_20block_scan_algorithmE0ELj4294967295EEENS1_25partition_config_selectorILNS1_17partition_subalgoE3EjNS0_10empty_typeEbEEZZNS1_14partition_implILS8_3ELb0ES6_jNS0_17counting_iteratorIjlEEPS9_SE_NS0_5tupleIJPjSE_EEENSF_IJSE_SE_EEES9_SG_JZNS1_25segmented_radix_sort_implINS0_14default_configELb1EPKsPsPKlPlN2at6native12_GLOBAL__N_18offset_tEEE10hipError_tPvRmT1_PNSt15iterator_traitsISY_E10value_typeET2_T3_PNSZ_IS14_E10value_typeET4_jRbjT5_S1A_jjP12ihipStream_tbEUljE_EEESV_SW_SX_S14_S18_S1A_T6_T7_T9_mT8_S1C_bDpT10_ENKUlT_T0_E_clISt17integral_constantIbLb1EES1P_EEDaS1K_S1L_EUlS1K_E_NS1_11comp_targetILNS1_3genE10ELNS1_11target_archE1200ELNS1_3gpuE4ELNS1_3repE0EEENS1_30default_config_static_selectorELNS0_4arch9wavefront6targetE0EEEvSY_.has_recursion, 0
	.set _ZN7rocprim17ROCPRIM_400000_NS6detail17trampoline_kernelINS0_13select_configILj256ELj13ELNS0_17block_load_methodE3ELS4_3ELS4_3ELNS0_20block_scan_algorithmE0ELj4294967295EEENS1_25partition_config_selectorILNS1_17partition_subalgoE3EjNS0_10empty_typeEbEEZZNS1_14partition_implILS8_3ELb0ES6_jNS0_17counting_iteratorIjlEEPS9_SE_NS0_5tupleIJPjSE_EEENSF_IJSE_SE_EEES9_SG_JZNS1_25segmented_radix_sort_implINS0_14default_configELb1EPKsPsPKlPlN2at6native12_GLOBAL__N_18offset_tEEE10hipError_tPvRmT1_PNSt15iterator_traitsISY_E10value_typeET2_T3_PNSZ_IS14_E10value_typeET4_jRbjT5_S1A_jjP12ihipStream_tbEUljE_EEESV_SW_SX_S14_S18_S1A_T6_T7_T9_mT8_S1C_bDpT10_ENKUlT_T0_E_clISt17integral_constantIbLb1EES1P_EEDaS1K_S1L_EUlS1K_E_NS1_11comp_targetILNS1_3genE10ELNS1_11target_archE1200ELNS1_3gpuE4ELNS1_3repE0EEENS1_30default_config_static_selectorELNS0_4arch9wavefront6targetE0EEEvSY_.has_indirect_call, 0
	.section	.AMDGPU.csdata,"",@progbits
; Kernel info:
; codeLenInByte = 4
; TotalNumSgprs: 0
; NumVgprs: 0
; ScratchSize: 0
; MemoryBound: 0
; FloatMode: 240
; IeeeMode: 1
; LDSByteSize: 0 bytes/workgroup (compile time only)
; SGPRBlocks: 0
; VGPRBlocks: 0
; NumSGPRsForWavesPerEU: 1
; NumVGPRsForWavesPerEU: 1
; Occupancy: 16
; WaveLimiterHint : 0
; COMPUTE_PGM_RSRC2:SCRATCH_EN: 0
; COMPUTE_PGM_RSRC2:USER_SGPR: 2
; COMPUTE_PGM_RSRC2:TRAP_HANDLER: 0
; COMPUTE_PGM_RSRC2:TGID_X_EN: 1
; COMPUTE_PGM_RSRC2:TGID_Y_EN: 0
; COMPUTE_PGM_RSRC2:TGID_Z_EN: 0
; COMPUTE_PGM_RSRC2:TIDIG_COMP_CNT: 0
	.section	.text._ZN7rocprim17ROCPRIM_400000_NS6detail17trampoline_kernelINS0_13select_configILj256ELj13ELNS0_17block_load_methodE3ELS4_3ELS4_3ELNS0_20block_scan_algorithmE0ELj4294967295EEENS1_25partition_config_selectorILNS1_17partition_subalgoE3EjNS0_10empty_typeEbEEZZNS1_14partition_implILS8_3ELb0ES6_jNS0_17counting_iteratorIjlEEPS9_SE_NS0_5tupleIJPjSE_EEENSF_IJSE_SE_EEES9_SG_JZNS1_25segmented_radix_sort_implINS0_14default_configELb1EPKsPsPKlPlN2at6native12_GLOBAL__N_18offset_tEEE10hipError_tPvRmT1_PNSt15iterator_traitsISY_E10value_typeET2_T3_PNSZ_IS14_E10value_typeET4_jRbjT5_S1A_jjP12ihipStream_tbEUljE_EEESV_SW_SX_S14_S18_S1A_T6_T7_T9_mT8_S1C_bDpT10_ENKUlT_T0_E_clISt17integral_constantIbLb1EES1P_EEDaS1K_S1L_EUlS1K_E_NS1_11comp_targetILNS1_3genE9ELNS1_11target_archE1100ELNS1_3gpuE3ELNS1_3repE0EEENS1_30default_config_static_selectorELNS0_4arch9wavefront6targetE0EEEvSY_,"axG",@progbits,_ZN7rocprim17ROCPRIM_400000_NS6detail17trampoline_kernelINS0_13select_configILj256ELj13ELNS0_17block_load_methodE3ELS4_3ELS4_3ELNS0_20block_scan_algorithmE0ELj4294967295EEENS1_25partition_config_selectorILNS1_17partition_subalgoE3EjNS0_10empty_typeEbEEZZNS1_14partition_implILS8_3ELb0ES6_jNS0_17counting_iteratorIjlEEPS9_SE_NS0_5tupleIJPjSE_EEENSF_IJSE_SE_EEES9_SG_JZNS1_25segmented_radix_sort_implINS0_14default_configELb1EPKsPsPKlPlN2at6native12_GLOBAL__N_18offset_tEEE10hipError_tPvRmT1_PNSt15iterator_traitsISY_E10value_typeET2_T3_PNSZ_IS14_E10value_typeET4_jRbjT5_S1A_jjP12ihipStream_tbEUljE_EEESV_SW_SX_S14_S18_S1A_T6_T7_T9_mT8_S1C_bDpT10_ENKUlT_T0_E_clISt17integral_constantIbLb1EES1P_EEDaS1K_S1L_EUlS1K_E_NS1_11comp_targetILNS1_3genE9ELNS1_11target_archE1100ELNS1_3gpuE3ELNS1_3repE0EEENS1_30default_config_static_selectorELNS0_4arch9wavefront6targetE0EEEvSY_,comdat
	.globl	_ZN7rocprim17ROCPRIM_400000_NS6detail17trampoline_kernelINS0_13select_configILj256ELj13ELNS0_17block_load_methodE3ELS4_3ELS4_3ELNS0_20block_scan_algorithmE0ELj4294967295EEENS1_25partition_config_selectorILNS1_17partition_subalgoE3EjNS0_10empty_typeEbEEZZNS1_14partition_implILS8_3ELb0ES6_jNS0_17counting_iteratorIjlEEPS9_SE_NS0_5tupleIJPjSE_EEENSF_IJSE_SE_EEES9_SG_JZNS1_25segmented_radix_sort_implINS0_14default_configELb1EPKsPsPKlPlN2at6native12_GLOBAL__N_18offset_tEEE10hipError_tPvRmT1_PNSt15iterator_traitsISY_E10value_typeET2_T3_PNSZ_IS14_E10value_typeET4_jRbjT5_S1A_jjP12ihipStream_tbEUljE_EEESV_SW_SX_S14_S18_S1A_T6_T7_T9_mT8_S1C_bDpT10_ENKUlT_T0_E_clISt17integral_constantIbLb1EES1P_EEDaS1K_S1L_EUlS1K_E_NS1_11comp_targetILNS1_3genE9ELNS1_11target_archE1100ELNS1_3gpuE3ELNS1_3repE0EEENS1_30default_config_static_selectorELNS0_4arch9wavefront6targetE0EEEvSY_ ; -- Begin function _ZN7rocprim17ROCPRIM_400000_NS6detail17trampoline_kernelINS0_13select_configILj256ELj13ELNS0_17block_load_methodE3ELS4_3ELS4_3ELNS0_20block_scan_algorithmE0ELj4294967295EEENS1_25partition_config_selectorILNS1_17partition_subalgoE3EjNS0_10empty_typeEbEEZZNS1_14partition_implILS8_3ELb0ES6_jNS0_17counting_iteratorIjlEEPS9_SE_NS0_5tupleIJPjSE_EEENSF_IJSE_SE_EEES9_SG_JZNS1_25segmented_radix_sort_implINS0_14default_configELb1EPKsPsPKlPlN2at6native12_GLOBAL__N_18offset_tEEE10hipError_tPvRmT1_PNSt15iterator_traitsISY_E10value_typeET2_T3_PNSZ_IS14_E10value_typeET4_jRbjT5_S1A_jjP12ihipStream_tbEUljE_EEESV_SW_SX_S14_S18_S1A_T6_T7_T9_mT8_S1C_bDpT10_ENKUlT_T0_E_clISt17integral_constantIbLb1EES1P_EEDaS1K_S1L_EUlS1K_E_NS1_11comp_targetILNS1_3genE9ELNS1_11target_archE1100ELNS1_3gpuE3ELNS1_3repE0EEENS1_30default_config_static_selectorELNS0_4arch9wavefront6targetE0EEEvSY_
	.p2align	8
	.type	_ZN7rocprim17ROCPRIM_400000_NS6detail17trampoline_kernelINS0_13select_configILj256ELj13ELNS0_17block_load_methodE3ELS4_3ELS4_3ELNS0_20block_scan_algorithmE0ELj4294967295EEENS1_25partition_config_selectorILNS1_17partition_subalgoE3EjNS0_10empty_typeEbEEZZNS1_14partition_implILS8_3ELb0ES6_jNS0_17counting_iteratorIjlEEPS9_SE_NS0_5tupleIJPjSE_EEENSF_IJSE_SE_EEES9_SG_JZNS1_25segmented_radix_sort_implINS0_14default_configELb1EPKsPsPKlPlN2at6native12_GLOBAL__N_18offset_tEEE10hipError_tPvRmT1_PNSt15iterator_traitsISY_E10value_typeET2_T3_PNSZ_IS14_E10value_typeET4_jRbjT5_S1A_jjP12ihipStream_tbEUljE_EEESV_SW_SX_S14_S18_S1A_T6_T7_T9_mT8_S1C_bDpT10_ENKUlT_T0_E_clISt17integral_constantIbLb1EES1P_EEDaS1K_S1L_EUlS1K_E_NS1_11comp_targetILNS1_3genE9ELNS1_11target_archE1100ELNS1_3gpuE3ELNS1_3repE0EEENS1_30default_config_static_selectorELNS0_4arch9wavefront6targetE0EEEvSY_,@function
_ZN7rocprim17ROCPRIM_400000_NS6detail17trampoline_kernelINS0_13select_configILj256ELj13ELNS0_17block_load_methodE3ELS4_3ELS4_3ELNS0_20block_scan_algorithmE0ELj4294967295EEENS1_25partition_config_selectorILNS1_17partition_subalgoE3EjNS0_10empty_typeEbEEZZNS1_14partition_implILS8_3ELb0ES6_jNS0_17counting_iteratorIjlEEPS9_SE_NS0_5tupleIJPjSE_EEENSF_IJSE_SE_EEES9_SG_JZNS1_25segmented_radix_sort_implINS0_14default_configELb1EPKsPsPKlPlN2at6native12_GLOBAL__N_18offset_tEEE10hipError_tPvRmT1_PNSt15iterator_traitsISY_E10value_typeET2_T3_PNSZ_IS14_E10value_typeET4_jRbjT5_S1A_jjP12ihipStream_tbEUljE_EEESV_SW_SX_S14_S18_S1A_T6_T7_T9_mT8_S1C_bDpT10_ENKUlT_T0_E_clISt17integral_constantIbLb1EES1P_EEDaS1K_S1L_EUlS1K_E_NS1_11comp_targetILNS1_3genE9ELNS1_11target_archE1100ELNS1_3gpuE3ELNS1_3repE0EEENS1_30default_config_static_selectorELNS0_4arch9wavefront6targetE0EEEvSY_: ; @_ZN7rocprim17ROCPRIM_400000_NS6detail17trampoline_kernelINS0_13select_configILj256ELj13ELNS0_17block_load_methodE3ELS4_3ELS4_3ELNS0_20block_scan_algorithmE0ELj4294967295EEENS1_25partition_config_selectorILNS1_17partition_subalgoE3EjNS0_10empty_typeEbEEZZNS1_14partition_implILS8_3ELb0ES6_jNS0_17counting_iteratorIjlEEPS9_SE_NS0_5tupleIJPjSE_EEENSF_IJSE_SE_EEES9_SG_JZNS1_25segmented_radix_sort_implINS0_14default_configELb1EPKsPsPKlPlN2at6native12_GLOBAL__N_18offset_tEEE10hipError_tPvRmT1_PNSt15iterator_traitsISY_E10value_typeET2_T3_PNSZ_IS14_E10value_typeET4_jRbjT5_S1A_jjP12ihipStream_tbEUljE_EEESV_SW_SX_S14_S18_S1A_T6_T7_T9_mT8_S1C_bDpT10_ENKUlT_T0_E_clISt17integral_constantIbLb1EES1P_EEDaS1K_S1L_EUlS1K_E_NS1_11comp_targetILNS1_3genE9ELNS1_11target_archE1100ELNS1_3gpuE3ELNS1_3repE0EEENS1_30default_config_static_selectorELNS0_4arch9wavefront6targetE0EEEvSY_
; %bb.0:
	.section	.rodata,"a",@progbits
	.p2align	6, 0x0
	.amdhsa_kernel _ZN7rocprim17ROCPRIM_400000_NS6detail17trampoline_kernelINS0_13select_configILj256ELj13ELNS0_17block_load_methodE3ELS4_3ELS4_3ELNS0_20block_scan_algorithmE0ELj4294967295EEENS1_25partition_config_selectorILNS1_17partition_subalgoE3EjNS0_10empty_typeEbEEZZNS1_14partition_implILS8_3ELb0ES6_jNS0_17counting_iteratorIjlEEPS9_SE_NS0_5tupleIJPjSE_EEENSF_IJSE_SE_EEES9_SG_JZNS1_25segmented_radix_sort_implINS0_14default_configELb1EPKsPsPKlPlN2at6native12_GLOBAL__N_18offset_tEEE10hipError_tPvRmT1_PNSt15iterator_traitsISY_E10value_typeET2_T3_PNSZ_IS14_E10value_typeET4_jRbjT5_S1A_jjP12ihipStream_tbEUljE_EEESV_SW_SX_S14_S18_S1A_T6_T7_T9_mT8_S1C_bDpT10_ENKUlT_T0_E_clISt17integral_constantIbLb1EES1P_EEDaS1K_S1L_EUlS1K_E_NS1_11comp_targetILNS1_3genE9ELNS1_11target_archE1100ELNS1_3gpuE3ELNS1_3repE0EEENS1_30default_config_static_selectorELNS0_4arch9wavefront6targetE0EEEvSY_
		.amdhsa_group_segment_fixed_size 0
		.amdhsa_private_segment_fixed_size 0
		.amdhsa_kernarg_size 152
		.amdhsa_user_sgpr_count 2
		.amdhsa_user_sgpr_dispatch_ptr 0
		.amdhsa_user_sgpr_queue_ptr 0
		.amdhsa_user_sgpr_kernarg_segment_ptr 1
		.amdhsa_user_sgpr_dispatch_id 0
		.amdhsa_user_sgpr_private_segment_size 0
		.amdhsa_wavefront_size32 1
		.amdhsa_uses_dynamic_stack 0
		.amdhsa_enable_private_segment 0
		.amdhsa_system_sgpr_workgroup_id_x 1
		.amdhsa_system_sgpr_workgroup_id_y 0
		.amdhsa_system_sgpr_workgroup_id_z 0
		.amdhsa_system_sgpr_workgroup_info 0
		.amdhsa_system_vgpr_workitem_id 0
		.amdhsa_next_free_vgpr 1
		.amdhsa_next_free_sgpr 1
		.amdhsa_reserve_vcc 0
		.amdhsa_float_round_mode_32 0
		.amdhsa_float_round_mode_16_64 0
		.amdhsa_float_denorm_mode_32 3
		.amdhsa_float_denorm_mode_16_64 3
		.amdhsa_fp16_overflow 0
		.amdhsa_workgroup_processor_mode 1
		.amdhsa_memory_ordered 1
		.amdhsa_forward_progress 1
		.amdhsa_inst_pref_size 0
		.amdhsa_round_robin_scheduling 0
		.amdhsa_exception_fp_ieee_invalid_op 0
		.amdhsa_exception_fp_denorm_src 0
		.amdhsa_exception_fp_ieee_div_zero 0
		.amdhsa_exception_fp_ieee_overflow 0
		.amdhsa_exception_fp_ieee_underflow 0
		.amdhsa_exception_fp_ieee_inexact 0
		.amdhsa_exception_int_div_zero 0
	.end_amdhsa_kernel
	.section	.text._ZN7rocprim17ROCPRIM_400000_NS6detail17trampoline_kernelINS0_13select_configILj256ELj13ELNS0_17block_load_methodE3ELS4_3ELS4_3ELNS0_20block_scan_algorithmE0ELj4294967295EEENS1_25partition_config_selectorILNS1_17partition_subalgoE3EjNS0_10empty_typeEbEEZZNS1_14partition_implILS8_3ELb0ES6_jNS0_17counting_iteratorIjlEEPS9_SE_NS0_5tupleIJPjSE_EEENSF_IJSE_SE_EEES9_SG_JZNS1_25segmented_radix_sort_implINS0_14default_configELb1EPKsPsPKlPlN2at6native12_GLOBAL__N_18offset_tEEE10hipError_tPvRmT1_PNSt15iterator_traitsISY_E10value_typeET2_T3_PNSZ_IS14_E10value_typeET4_jRbjT5_S1A_jjP12ihipStream_tbEUljE_EEESV_SW_SX_S14_S18_S1A_T6_T7_T9_mT8_S1C_bDpT10_ENKUlT_T0_E_clISt17integral_constantIbLb1EES1P_EEDaS1K_S1L_EUlS1K_E_NS1_11comp_targetILNS1_3genE9ELNS1_11target_archE1100ELNS1_3gpuE3ELNS1_3repE0EEENS1_30default_config_static_selectorELNS0_4arch9wavefront6targetE0EEEvSY_,"axG",@progbits,_ZN7rocprim17ROCPRIM_400000_NS6detail17trampoline_kernelINS0_13select_configILj256ELj13ELNS0_17block_load_methodE3ELS4_3ELS4_3ELNS0_20block_scan_algorithmE0ELj4294967295EEENS1_25partition_config_selectorILNS1_17partition_subalgoE3EjNS0_10empty_typeEbEEZZNS1_14partition_implILS8_3ELb0ES6_jNS0_17counting_iteratorIjlEEPS9_SE_NS0_5tupleIJPjSE_EEENSF_IJSE_SE_EEES9_SG_JZNS1_25segmented_radix_sort_implINS0_14default_configELb1EPKsPsPKlPlN2at6native12_GLOBAL__N_18offset_tEEE10hipError_tPvRmT1_PNSt15iterator_traitsISY_E10value_typeET2_T3_PNSZ_IS14_E10value_typeET4_jRbjT5_S1A_jjP12ihipStream_tbEUljE_EEESV_SW_SX_S14_S18_S1A_T6_T7_T9_mT8_S1C_bDpT10_ENKUlT_T0_E_clISt17integral_constantIbLb1EES1P_EEDaS1K_S1L_EUlS1K_E_NS1_11comp_targetILNS1_3genE9ELNS1_11target_archE1100ELNS1_3gpuE3ELNS1_3repE0EEENS1_30default_config_static_selectorELNS0_4arch9wavefront6targetE0EEEvSY_,comdat
.Lfunc_end893:
	.size	_ZN7rocprim17ROCPRIM_400000_NS6detail17trampoline_kernelINS0_13select_configILj256ELj13ELNS0_17block_load_methodE3ELS4_3ELS4_3ELNS0_20block_scan_algorithmE0ELj4294967295EEENS1_25partition_config_selectorILNS1_17partition_subalgoE3EjNS0_10empty_typeEbEEZZNS1_14partition_implILS8_3ELb0ES6_jNS0_17counting_iteratorIjlEEPS9_SE_NS0_5tupleIJPjSE_EEENSF_IJSE_SE_EEES9_SG_JZNS1_25segmented_radix_sort_implINS0_14default_configELb1EPKsPsPKlPlN2at6native12_GLOBAL__N_18offset_tEEE10hipError_tPvRmT1_PNSt15iterator_traitsISY_E10value_typeET2_T3_PNSZ_IS14_E10value_typeET4_jRbjT5_S1A_jjP12ihipStream_tbEUljE_EEESV_SW_SX_S14_S18_S1A_T6_T7_T9_mT8_S1C_bDpT10_ENKUlT_T0_E_clISt17integral_constantIbLb1EES1P_EEDaS1K_S1L_EUlS1K_E_NS1_11comp_targetILNS1_3genE9ELNS1_11target_archE1100ELNS1_3gpuE3ELNS1_3repE0EEENS1_30default_config_static_selectorELNS0_4arch9wavefront6targetE0EEEvSY_, .Lfunc_end893-_ZN7rocprim17ROCPRIM_400000_NS6detail17trampoline_kernelINS0_13select_configILj256ELj13ELNS0_17block_load_methodE3ELS4_3ELS4_3ELNS0_20block_scan_algorithmE0ELj4294967295EEENS1_25partition_config_selectorILNS1_17partition_subalgoE3EjNS0_10empty_typeEbEEZZNS1_14partition_implILS8_3ELb0ES6_jNS0_17counting_iteratorIjlEEPS9_SE_NS0_5tupleIJPjSE_EEENSF_IJSE_SE_EEES9_SG_JZNS1_25segmented_radix_sort_implINS0_14default_configELb1EPKsPsPKlPlN2at6native12_GLOBAL__N_18offset_tEEE10hipError_tPvRmT1_PNSt15iterator_traitsISY_E10value_typeET2_T3_PNSZ_IS14_E10value_typeET4_jRbjT5_S1A_jjP12ihipStream_tbEUljE_EEESV_SW_SX_S14_S18_S1A_T6_T7_T9_mT8_S1C_bDpT10_ENKUlT_T0_E_clISt17integral_constantIbLb1EES1P_EEDaS1K_S1L_EUlS1K_E_NS1_11comp_targetILNS1_3genE9ELNS1_11target_archE1100ELNS1_3gpuE3ELNS1_3repE0EEENS1_30default_config_static_selectorELNS0_4arch9wavefront6targetE0EEEvSY_
                                        ; -- End function
	.set _ZN7rocprim17ROCPRIM_400000_NS6detail17trampoline_kernelINS0_13select_configILj256ELj13ELNS0_17block_load_methodE3ELS4_3ELS4_3ELNS0_20block_scan_algorithmE0ELj4294967295EEENS1_25partition_config_selectorILNS1_17partition_subalgoE3EjNS0_10empty_typeEbEEZZNS1_14partition_implILS8_3ELb0ES6_jNS0_17counting_iteratorIjlEEPS9_SE_NS0_5tupleIJPjSE_EEENSF_IJSE_SE_EEES9_SG_JZNS1_25segmented_radix_sort_implINS0_14default_configELb1EPKsPsPKlPlN2at6native12_GLOBAL__N_18offset_tEEE10hipError_tPvRmT1_PNSt15iterator_traitsISY_E10value_typeET2_T3_PNSZ_IS14_E10value_typeET4_jRbjT5_S1A_jjP12ihipStream_tbEUljE_EEESV_SW_SX_S14_S18_S1A_T6_T7_T9_mT8_S1C_bDpT10_ENKUlT_T0_E_clISt17integral_constantIbLb1EES1P_EEDaS1K_S1L_EUlS1K_E_NS1_11comp_targetILNS1_3genE9ELNS1_11target_archE1100ELNS1_3gpuE3ELNS1_3repE0EEENS1_30default_config_static_selectorELNS0_4arch9wavefront6targetE0EEEvSY_.num_vgpr, 0
	.set _ZN7rocprim17ROCPRIM_400000_NS6detail17trampoline_kernelINS0_13select_configILj256ELj13ELNS0_17block_load_methodE3ELS4_3ELS4_3ELNS0_20block_scan_algorithmE0ELj4294967295EEENS1_25partition_config_selectorILNS1_17partition_subalgoE3EjNS0_10empty_typeEbEEZZNS1_14partition_implILS8_3ELb0ES6_jNS0_17counting_iteratorIjlEEPS9_SE_NS0_5tupleIJPjSE_EEENSF_IJSE_SE_EEES9_SG_JZNS1_25segmented_radix_sort_implINS0_14default_configELb1EPKsPsPKlPlN2at6native12_GLOBAL__N_18offset_tEEE10hipError_tPvRmT1_PNSt15iterator_traitsISY_E10value_typeET2_T3_PNSZ_IS14_E10value_typeET4_jRbjT5_S1A_jjP12ihipStream_tbEUljE_EEESV_SW_SX_S14_S18_S1A_T6_T7_T9_mT8_S1C_bDpT10_ENKUlT_T0_E_clISt17integral_constantIbLb1EES1P_EEDaS1K_S1L_EUlS1K_E_NS1_11comp_targetILNS1_3genE9ELNS1_11target_archE1100ELNS1_3gpuE3ELNS1_3repE0EEENS1_30default_config_static_selectorELNS0_4arch9wavefront6targetE0EEEvSY_.num_agpr, 0
	.set _ZN7rocprim17ROCPRIM_400000_NS6detail17trampoline_kernelINS0_13select_configILj256ELj13ELNS0_17block_load_methodE3ELS4_3ELS4_3ELNS0_20block_scan_algorithmE0ELj4294967295EEENS1_25partition_config_selectorILNS1_17partition_subalgoE3EjNS0_10empty_typeEbEEZZNS1_14partition_implILS8_3ELb0ES6_jNS0_17counting_iteratorIjlEEPS9_SE_NS0_5tupleIJPjSE_EEENSF_IJSE_SE_EEES9_SG_JZNS1_25segmented_radix_sort_implINS0_14default_configELb1EPKsPsPKlPlN2at6native12_GLOBAL__N_18offset_tEEE10hipError_tPvRmT1_PNSt15iterator_traitsISY_E10value_typeET2_T3_PNSZ_IS14_E10value_typeET4_jRbjT5_S1A_jjP12ihipStream_tbEUljE_EEESV_SW_SX_S14_S18_S1A_T6_T7_T9_mT8_S1C_bDpT10_ENKUlT_T0_E_clISt17integral_constantIbLb1EES1P_EEDaS1K_S1L_EUlS1K_E_NS1_11comp_targetILNS1_3genE9ELNS1_11target_archE1100ELNS1_3gpuE3ELNS1_3repE0EEENS1_30default_config_static_selectorELNS0_4arch9wavefront6targetE0EEEvSY_.numbered_sgpr, 0
	.set _ZN7rocprim17ROCPRIM_400000_NS6detail17trampoline_kernelINS0_13select_configILj256ELj13ELNS0_17block_load_methodE3ELS4_3ELS4_3ELNS0_20block_scan_algorithmE0ELj4294967295EEENS1_25partition_config_selectorILNS1_17partition_subalgoE3EjNS0_10empty_typeEbEEZZNS1_14partition_implILS8_3ELb0ES6_jNS0_17counting_iteratorIjlEEPS9_SE_NS0_5tupleIJPjSE_EEENSF_IJSE_SE_EEES9_SG_JZNS1_25segmented_radix_sort_implINS0_14default_configELb1EPKsPsPKlPlN2at6native12_GLOBAL__N_18offset_tEEE10hipError_tPvRmT1_PNSt15iterator_traitsISY_E10value_typeET2_T3_PNSZ_IS14_E10value_typeET4_jRbjT5_S1A_jjP12ihipStream_tbEUljE_EEESV_SW_SX_S14_S18_S1A_T6_T7_T9_mT8_S1C_bDpT10_ENKUlT_T0_E_clISt17integral_constantIbLb1EES1P_EEDaS1K_S1L_EUlS1K_E_NS1_11comp_targetILNS1_3genE9ELNS1_11target_archE1100ELNS1_3gpuE3ELNS1_3repE0EEENS1_30default_config_static_selectorELNS0_4arch9wavefront6targetE0EEEvSY_.num_named_barrier, 0
	.set _ZN7rocprim17ROCPRIM_400000_NS6detail17trampoline_kernelINS0_13select_configILj256ELj13ELNS0_17block_load_methodE3ELS4_3ELS4_3ELNS0_20block_scan_algorithmE0ELj4294967295EEENS1_25partition_config_selectorILNS1_17partition_subalgoE3EjNS0_10empty_typeEbEEZZNS1_14partition_implILS8_3ELb0ES6_jNS0_17counting_iteratorIjlEEPS9_SE_NS0_5tupleIJPjSE_EEENSF_IJSE_SE_EEES9_SG_JZNS1_25segmented_radix_sort_implINS0_14default_configELb1EPKsPsPKlPlN2at6native12_GLOBAL__N_18offset_tEEE10hipError_tPvRmT1_PNSt15iterator_traitsISY_E10value_typeET2_T3_PNSZ_IS14_E10value_typeET4_jRbjT5_S1A_jjP12ihipStream_tbEUljE_EEESV_SW_SX_S14_S18_S1A_T6_T7_T9_mT8_S1C_bDpT10_ENKUlT_T0_E_clISt17integral_constantIbLb1EES1P_EEDaS1K_S1L_EUlS1K_E_NS1_11comp_targetILNS1_3genE9ELNS1_11target_archE1100ELNS1_3gpuE3ELNS1_3repE0EEENS1_30default_config_static_selectorELNS0_4arch9wavefront6targetE0EEEvSY_.private_seg_size, 0
	.set _ZN7rocprim17ROCPRIM_400000_NS6detail17trampoline_kernelINS0_13select_configILj256ELj13ELNS0_17block_load_methodE3ELS4_3ELS4_3ELNS0_20block_scan_algorithmE0ELj4294967295EEENS1_25partition_config_selectorILNS1_17partition_subalgoE3EjNS0_10empty_typeEbEEZZNS1_14partition_implILS8_3ELb0ES6_jNS0_17counting_iteratorIjlEEPS9_SE_NS0_5tupleIJPjSE_EEENSF_IJSE_SE_EEES9_SG_JZNS1_25segmented_radix_sort_implINS0_14default_configELb1EPKsPsPKlPlN2at6native12_GLOBAL__N_18offset_tEEE10hipError_tPvRmT1_PNSt15iterator_traitsISY_E10value_typeET2_T3_PNSZ_IS14_E10value_typeET4_jRbjT5_S1A_jjP12ihipStream_tbEUljE_EEESV_SW_SX_S14_S18_S1A_T6_T7_T9_mT8_S1C_bDpT10_ENKUlT_T0_E_clISt17integral_constantIbLb1EES1P_EEDaS1K_S1L_EUlS1K_E_NS1_11comp_targetILNS1_3genE9ELNS1_11target_archE1100ELNS1_3gpuE3ELNS1_3repE0EEENS1_30default_config_static_selectorELNS0_4arch9wavefront6targetE0EEEvSY_.uses_vcc, 0
	.set _ZN7rocprim17ROCPRIM_400000_NS6detail17trampoline_kernelINS0_13select_configILj256ELj13ELNS0_17block_load_methodE3ELS4_3ELS4_3ELNS0_20block_scan_algorithmE0ELj4294967295EEENS1_25partition_config_selectorILNS1_17partition_subalgoE3EjNS0_10empty_typeEbEEZZNS1_14partition_implILS8_3ELb0ES6_jNS0_17counting_iteratorIjlEEPS9_SE_NS0_5tupleIJPjSE_EEENSF_IJSE_SE_EEES9_SG_JZNS1_25segmented_radix_sort_implINS0_14default_configELb1EPKsPsPKlPlN2at6native12_GLOBAL__N_18offset_tEEE10hipError_tPvRmT1_PNSt15iterator_traitsISY_E10value_typeET2_T3_PNSZ_IS14_E10value_typeET4_jRbjT5_S1A_jjP12ihipStream_tbEUljE_EEESV_SW_SX_S14_S18_S1A_T6_T7_T9_mT8_S1C_bDpT10_ENKUlT_T0_E_clISt17integral_constantIbLb1EES1P_EEDaS1K_S1L_EUlS1K_E_NS1_11comp_targetILNS1_3genE9ELNS1_11target_archE1100ELNS1_3gpuE3ELNS1_3repE0EEENS1_30default_config_static_selectorELNS0_4arch9wavefront6targetE0EEEvSY_.uses_flat_scratch, 0
	.set _ZN7rocprim17ROCPRIM_400000_NS6detail17trampoline_kernelINS0_13select_configILj256ELj13ELNS0_17block_load_methodE3ELS4_3ELS4_3ELNS0_20block_scan_algorithmE0ELj4294967295EEENS1_25partition_config_selectorILNS1_17partition_subalgoE3EjNS0_10empty_typeEbEEZZNS1_14partition_implILS8_3ELb0ES6_jNS0_17counting_iteratorIjlEEPS9_SE_NS0_5tupleIJPjSE_EEENSF_IJSE_SE_EEES9_SG_JZNS1_25segmented_radix_sort_implINS0_14default_configELb1EPKsPsPKlPlN2at6native12_GLOBAL__N_18offset_tEEE10hipError_tPvRmT1_PNSt15iterator_traitsISY_E10value_typeET2_T3_PNSZ_IS14_E10value_typeET4_jRbjT5_S1A_jjP12ihipStream_tbEUljE_EEESV_SW_SX_S14_S18_S1A_T6_T7_T9_mT8_S1C_bDpT10_ENKUlT_T0_E_clISt17integral_constantIbLb1EES1P_EEDaS1K_S1L_EUlS1K_E_NS1_11comp_targetILNS1_3genE9ELNS1_11target_archE1100ELNS1_3gpuE3ELNS1_3repE0EEENS1_30default_config_static_selectorELNS0_4arch9wavefront6targetE0EEEvSY_.has_dyn_sized_stack, 0
	.set _ZN7rocprim17ROCPRIM_400000_NS6detail17trampoline_kernelINS0_13select_configILj256ELj13ELNS0_17block_load_methodE3ELS4_3ELS4_3ELNS0_20block_scan_algorithmE0ELj4294967295EEENS1_25partition_config_selectorILNS1_17partition_subalgoE3EjNS0_10empty_typeEbEEZZNS1_14partition_implILS8_3ELb0ES6_jNS0_17counting_iteratorIjlEEPS9_SE_NS0_5tupleIJPjSE_EEENSF_IJSE_SE_EEES9_SG_JZNS1_25segmented_radix_sort_implINS0_14default_configELb1EPKsPsPKlPlN2at6native12_GLOBAL__N_18offset_tEEE10hipError_tPvRmT1_PNSt15iterator_traitsISY_E10value_typeET2_T3_PNSZ_IS14_E10value_typeET4_jRbjT5_S1A_jjP12ihipStream_tbEUljE_EEESV_SW_SX_S14_S18_S1A_T6_T7_T9_mT8_S1C_bDpT10_ENKUlT_T0_E_clISt17integral_constantIbLb1EES1P_EEDaS1K_S1L_EUlS1K_E_NS1_11comp_targetILNS1_3genE9ELNS1_11target_archE1100ELNS1_3gpuE3ELNS1_3repE0EEENS1_30default_config_static_selectorELNS0_4arch9wavefront6targetE0EEEvSY_.has_recursion, 0
	.set _ZN7rocprim17ROCPRIM_400000_NS6detail17trampoline_kernelINS0_13select_configILj256ELj13ELNS0_17block_load_methodE3ELS4_3ELS4_3ELNS0_20block_scan_algorithmE0ELj4294967295EEENS1_25partition_config_selectorILNS1_17partition_subalgoE3EjNS0_10empty_typeEbEEZZNS1_14partition_implILS8_3ELb0ES6_jNS0_17counting_iteratorIjlEEPS9_SE_NS0_5tupleIJPjSE_EEENSF_IJSE_SE_EEES9_SG_JZNS1_25segmented_radix_sort_implINS0_14default_configELb1EPKsPsPKlPlN2at6native12_GLOBAL__N_18offset_tEEE10hipError_tPvRmT1_PNSt15iterator_traitsISY_E10value_typeET2_T3_PNSZ_IS14_E10value_typeET4_jRbjT5_S1A_jjP12ihipStream_tbEUljE_EEESV_SW_SX_S14_S18_S1A_T6_T7_T9_mT8_S1C_bDpT10_ENKUlT_T0_E_clISt17integral_constantIbLb1EES1P_EEDaS1K_S1L_EUlS1K_E_NS1_11comp_targetILNS1_3genE9ELNS1_11target_archE1100ELNS1_3gpuE3ELNS1_3repE0EEENS1_30default_config_static_selectorELNS0_4arch9wavefront6targetE0EEEvSY_.has_indirect_call, 0
	.section	.AMDGPU.csdata,"",@progbits
; Kernel info:
; codeLenInByte = 0
; TotalNumSgprs: 0
; NumVgprs: 0
; ScratchSize: 0
; MemoryBound: 0
; FloatMode: 240
; IeeeMode: 1
; LDSByteSize: 0 bytes/workgroup (compile time only)
; SGPRBlocks: 0
; VGPRBlocks: 0
; NumSGPRsForWavesPerEU: 1
; NumVGPRsForWavesPerEU: 1
; Occupancy: 16
; WaveLimiterHint : 0
; COMPUTE_PGM_RSRC2:SCRATCH_EN: 0
; COMPUTE_PGM_RSRC2:USER_SGPR: 2
; COMPUTE_PGM_RSRC2:TRAP_HANDLER: 0
; COMPUTE_PGM_RSRC2:TGID_X_EN: 1
; COMPUTE_PGM_RSRC2:TGID_Y_EN: 0
; COMPUTE_PGM_RSRC2:TGID_Z_EN: 0
; COMPUTE_PGM_RSRC2:TIDIG_COMP_CNT: 0
	.section	.text._ZN7rocprim17ROCPRIM_400000_NS6detail17trampoline_kernelINS0_13select_configILj256ELj13ELNS0_17block_load_methodE3ELS4_3ELS4_3ELNS0_20block_scan_algorithmE0ELj4294967295EEENS1_25partition_config_selectorILNS1_17partition_subalgoE3EjNS0_10empty_typeEbEEZZNS1_14partition_implILS8_3ELb0ES6_jNS0_17counting_iteratorIjlEEPS9_SE_NS0_5tupleIJPjSE_EEENSF_IJSE_SE_EEES9_SG_JZNS1_25segmented_radix_sort_implINS0_14default_configELb1EPKsPsPKlPlN2at6native12_GLOBAL__N_18offset_tEEE10hipError_tPvRmT1_PNSt15iterator_traitsISY_E10value_typeET2_T3_PNSZ_IS14_E10value_typeET4_jRbjT5_S1A_jjP12ihipStream_tbEUljE_EEESV_SW_SX_S14_S18_S1A_T6_T7_T9_mT8_S1C_bDpT10_ENKUlT_T0_E_clISt17integral_constantIbLb1EES1P_EEDaS1K_S1L_EUlS1K_E_NS1_11comp_targetILNS1_3genE8ELNS1_11target_archE1030ELNS1_3gpuE2ELNS1_3repE0EEENS1_30default_config_static_selectorELNS0_4arch9wavefront6targetE0EEEvSY_,"axG",@progbits,_ZN7rocprim17ROCPRIM_400000_NS6detail17trampoline_kernelINS0_13select_configILj256ELj13ELNS0_17block_load_methodE3ELS4_3ELS4_3ELNS0_20block_scan_algorithmE0ELj4294967295EEENS1_25partition_config_selectorILNS1_17partition_subalgoE3EjNS0_10empty_typeEbEEZZNS1_14partition_implILS8_3ELb0ES6_jNS0_17counting_iteratorIjlEEPS9_SE_NS0_5tupleIJPjSE_EEENSF_IJSE_SE_EEES9_SG_JZNS1_25segmented_radix_sort_implINS0_14default_configELb1EPKsPsPKlPlN2at6native12_GLOBAL__N_18offset_tEEE10hipError_tPvRmT1_PNSt15iterator_traitsISY_E10value_typeET2_T3_PNSZ_IS14_E10value_typeET4_jRbjT5_S1A_jjP12ihipStream_tbEUljE_EEESV_SW_SX_S14_S18_S1A_T6_T7_T9_mT8_S1C_bDpT10_ENKUlT_T0_E_clISt17integral_constantIbLb1EES1P_EEDaS1K_S1L_EUlS1K_E_NS1_11comp_targetILNS1_3genE8ELNS1_11target_archE1030ELNS1_3gpuE2ELNS1_3repE0EEENS1_30default_config_static_selectorELNS0_4arch9wavefront6targetE0EEEvSY_,comdat
	.globl	_ZN7rocprim17ROCPRIM_400000_NS6detail17trampoline_kernelINS0_13select_configILj256ELj13ELNS0_17block_load_methodE3ELS4_3ELS4_3ELNS0_20block_scan_algorithmE0ELj4294967295EEENS1_25partition_config_selectorILNS1_17partition_subalgoE3EjNS0_10empty_typeEbEEZZNS1_14partition_implILS8_3ELb0ES6_jNS0_17counting_iteratorIjlEEPS9_SE_NS0_5tupleIJPjSE_EEENSF_IJSE_SE_EEES9_SG_JZNS1_25segmented_radix_sort_implINS0_14default_configELb1EPKsPsPKlPlN2at6native12_GLOBAL__N_18offset_tEEE10hipError_tPvRmT1_PNSt15iterator_traitsISY_E10value_typeET2_T3_PNSZ_IS14_E10value_typeET4_jRbjT5_S1A_jjP12ihipStream_tbEUljE_EEESV_SW_SX_S14_S18_S1A_T6_T7_T9_mT8_S1C_bDpT10_ENKUlT_T0_E_clISt17integral_constantIbLb1EES1P_EEDaS1K_S1L_EUlS1K_E_NS1_11comp_targetILNS1_3genE8ELNS1_11target_archE1030ELNS1_3gpuE2ELNS1_3repE0EEENS1_30default_config_static_selectorELNS0_4arch9wavefront6targetE0EEEvSY_ ; -- Begin function _ZN7rocprim17ROCPRIM_400000_NS6detail17trampoline_kernelINS0_13select_configILj256ELj13ELNS0_17block_load_methodE3ELS4_3ELS4_3ELNS0_20block_scan_algorithmE0ELj4294967295EEENS1_25partition_config_selectorILNS1_17partition_subalgoE3EjNS0_10empty_typeEbEEZZNS1_14partition_implILS8_3ELb0ES6_jNS0_17counting_iteratorIjlEEPS9_SE_NS0_5tupleIJPjSE_EEENSF_IJSE_SE_EEES9_SG_JZNS1_25segmented_radix_sort_implINS0_14default_configELb1EPKsPsPKlPlN2at6native12_GLOBAL__N_18offset_tEEE10hipError_tPvRmT1_PNSt15iterator_traitsISY_E10value_typeET2_T3_PNSZ_IS14_E10value_typeET4_jRbjT5_S1A_jjP12ihipStream_tbEUljE_EEESV_SW_SX_S14_S18_S1A_T6_T7_T9_mT8_S1C_bDpT10_ENKUlT_T0_E_clISt17integral_constantIbLb1EES1P_EEDaS1K_S1L_EUlS1K_E_NS1_11comp_targetILNS1_3genE8ELNS1_11target_archE1030ELNS1_3gpuE2ELNS1_3repE0EEENS1_30default_config_static_selectorELNS0_4arch9wavefront6targetE0EEEvSY_
	.p2align	8
	.type	_ZN7rocprim17ROCPRIM_400000_NS6detail17trampoline_kernelINS0_13select_configILj256ELj13ELNS0_17block_load_methodE3ELS4_3ELS4_3ELNS0_20block_scan_algorithmE0ELj4294967295EEENS1_25partition_config_selectorILNS1_17partition_subalgoE3EjNS0_10empty_typeEbEEZZNS1_14partition_implILS8_3ELb0ES6_jNS0_17counting_iteratorIjlEEPS9_SE_NS0_5tupleIJPjSE_EEENSF_IJSE_SE_EEES9_SG_JZNS1_25segmented_radix_sort_implINS0_14default_configELb1EPKsPsPKlPlN2at6native12_GLOBAL__N_18offset_tEEE10hipError_tPvRmT1_PNSt15iterator_traitsISY_E10value_typeET2_T3_PNSZ_IS14_E10value_typeET4_jRbjT5_S1A_jjP12ihipStream_tbEUljE_EEESV_SW_SX_S14_S18_S1A_T6_T7_T9_mT8_S1C_bDpT10_ENKUlT_T0_E_clISt17integral_constantIbLb1EES1P_EEDaS1K_S1L_EUlS1K_E_NS1_11comp_targetILNS1_3genE8ELNS1_11target_archE1030ELNS1_3gpuE2ELNS1_3repE0EEENS1_30default_config_static_selectorELNS0_4arch9wavefront6targetE0EEEvSY_,@function
_ZN7rocprim17ROCPRIM_400000_NS6detail17trampoline_kernelINS0_13select_configILj256ELj13ELNS0_17block_load_methodE3ELS4_3ELS4_3ELNS0_20block_scan_algorithmE0ELj4294967295EEENS1_25partition_config_selectorILNS1_17partition_subalgoE3EjNS0_10empty_typeEbEEZZNS1_14partition_implILS8_3ELb0ES6_jNS0_17counting_iteratorIjlEEPS9_SE_NS0_5tupleIJPjSE_EEENSF_IJSE_SE_EEES9_SG_JZNS1_25segmented_radix_sort_implINS0_14default_configELb1EPKsPsPKlPlN2at6native12_GLOBAL__N_18offset_tEEE10hipError_tPvRmT1_PNSt15iterator_traitsISY_E10value_typeET2_T3_PNSZ_IS14_E10value_typeET4_jRbjT5_S1A_jjP12ihipStream_tbEUljE_EEESV_SW_SX_S14_S18_S1A_T6_T7_T9_mT8_S1C_bDpT10_ENKUlT_T0_E_clISt17integral_constantIbLb1EES1P_EEDaS1K_S1L_EUlS1K_E_NS1_11comp_targetILNS1_3genE8ELNS1_11target_archE1030ELNS1_3gpuE2ELNS1_3repE0EEENS1_30default_config_static_selectorELNS0_4arch9wavefront6targetE0EEEvSY_: ; @_ZN7rocprim17ROCPRIM_400000_NS6detail17trampoline_kernelINS0_13select_configILj256ELj13ELNS0_17block_load_methodE3ELS4_3ELS4_3ELNS0_20block_scan_algorithmE0ELj4294967295EEENS1_25partition_config_selectorILNS1_17partition_subalgoE3EjNS0_10empty_typeEbEEZZNS1_14partition_implILS8_3ELb0ES6_jNS0_17counting_iteratorIjlEEPS9_SE_NS0_5tupleIJPjSE_EEENSF_IJSE_SE_EEES9_SG_JZNS1_25segmented_radix_sort_implINS0_14default_configELb1EPKsPsPKlPlN2at6native12_GLOBAL__N_18offset_tEEE10hipError_tPvRmT1_PNSt15iterator_traitsISY_E10value_typeET2_T3_PNSZ_IS14_E10value_typeET4_jRbjT5_S1A_jjP12ihipStream_tbEUljE_EEESV_SW_SX_S14_S18_S1A_T6_T7_T9_mT8_S1C_bDpT10_ENKUlT_T0_E_clISt17integral_constantIbLb1EES1P_EEDaS1K_S1L_EUlS1K_E_NS1_11comp_targetILNS1_3genE8ELNS1_11target_archE1030ELNS1_3gpuE2ELNS1_3repE0EEENS1_30default_config_static_selectorELNS0_4arch9wavefront6targetE0EEEvSY_
; %bb.0:
	.section	.rodata,"a",@progbits
	.p2align	6, 0x0
	.amdhsa_kernel _ZN7rocprim17ROCPRIM_400000_NS6detail17trampoline_kernelINS0_13select_configILj256ELj13ELNS0_17block_load_methodE3ELS4_3ELS4_3ELNS0_20block_scan_algorithmE0ELj4294967295EEENS1_25partition_config_selectorILNS1_17partition_subalgoE3EjNS0_10empty_typeEbEEZZNS1_14partition_implILS8_3ELb0ES6_jNS0_17counting_iteratorIjlEEPS9_SE_NS0_5tupleIJPjSE_EEENSF_IJSE_SE_EEES9_SG_JZNS1_25segmented_radix_sort_implINS0_14default_configELb1EPKsPsPKlPlN2at6native12_GLOBAL__N_18offset_tEEE10hipError_tPvRmT1_PNSt15iterator_traitsISY_E10value_typeET2_T3_PNSZ_IS14_E10value_typeET4_jRbjT5_S1A_jjP12ihipStream_tbEUljE_EEESV_SW_SX_S14_S18_S1A_T6_T7_T9_mT8_S1C_bDpT10_ENKUlT_T0_E_clISt17integral_constantIbLb1EES1P_EEDaS1K_S1L_EUlS1K_E_NS1_11comp_targetILNS1_3genE8ELNS1_11target_archE1030ELNS1_3gpuE2ELNS1_3repE0EEENS1_30default_config_static_selectorELNS0_4arch9wavefront6targetE0EEEvSY_
		.amdhsa_group_segment_fixed_size 0
		.amdhsa_private_segment_fixed_size 0
		.amdhsa_kernarg_size 152
		.amdhsa_user_sgpr_count 2
		.amdhsa_user_sgpr_dispatch_ptr 0
		.amdhsa_user_sgpr_queue_ptr 0
		.amdhsa_user_sgpr_kernarg_segment_ptr 1
		.amdhsa_user_sgpr_dispatch_id 0
		.amdhsa_user_sgpr_private_segment_size 0
		.amdhsa_wavefront_size32 1
		.amdhsa_uses_dynamic_stack 0
		.amdhsa_enable_private_segment 0
		.amdhsa_system_sgpr_workgroup_id_x 1
		.amdhsa_system_sgpr_workgroup_id_y 0
		.amdhsa_system_sgpr_workgroup_id_z 0
		.amdhsa_system_sgpr_workgroup_info 0
		.amdhsa_system_vgpr_workitem_id 0
		.amdhsa_next_free_vgpr 1
		.amdhsa_next_free_sgpr 1
		.amdhsa_reserve_vcc 0
		.amdhsa_float_round_mode_32 0
		.amdhsa_float_round_mode_16_64 0
		.amdhsa_float_denorm_mode_32 3
		.amdhsa_float_denorm_mode_16_64 3
		.amdhsa_fp16_overflow 0
		.amdhsa_workgroup_processor_mode 1
		.amdhsa_memory_ordered 1
		.amdhsa_forward_progress 1
		.amdhsa_inst_pref_size 0
		.amdhsa_round_robin_scheduling 0
		.amdhsa_exception_fp_ieee_invalid_op 0
		.amdhsa_exception_fp_denorm_src 0
		.amdhsa_exception_fp_ieee_div_zero 0
		.amdhsa_exception_fp_ieee_overflow 0
		.amdhsa_exception_fp_ieee_underflow 0
		.amdhsa_exception_fp_ieee_inexact 0
		.amdhsa_exception_int_div_zero 0
	.end_amdhsa_kernel
	.section	.text._ZN7rocprim17ROCPRIM_400000_NS6detail17trampoline_kernelINS0_13select_configILj256ELj13ELNS0_17block_load_methodE3ELS4_3ELS4_3ELNS0_20block_scan_algorithmE0ELj4294967295EEENS1_25partition_config_selectorILNS1_17partition_subalgoE3EjNS0_10empty_typeEbEEZZNS1_14partition_implILS8_3ELb0ES6_jNS0_17counting_iteratorIjlEEPS9_SE_NS0_5tupleIJPjSE_EEENSF_IJSE_SE_EEES9_SG_JZNS1_25segmented_radix_sort_implINS0_14default_configELb1EPKsPsPKlPlN2at6native12_GLOBAL__N_18offset_tEEE10hipError_tPvRmT1_PNSt15iterator_traitsISY_E10value_typeET2_T3_PNSZ_IS14_E10value_typeET4_jRbjT5_S1A_jjP12ihipStream_tbEUljE_EEESV_SW_SX_S14_S18_S1A_T6_T7_T9_mT8_S1C_bDpT10_ENKUlT_T0_E_clISt17integral_constantIbLb1EES1P_EEDaS1K_S1L_EUlS1K_E_NS1_11comp_targetILNS1_3genE8ELNS1_11target_archE1030ELNS1_3gpuE2ELNS1_3repE0EEENS1_30default_config_static_selectorELNS0_4arch9wavefront6targetE0EEEvSY_,"axG",@progbits,_ZN7rocprim17ROCPRIM_400000_NS6detail17trampoline_kernelINS0_13select_configILj256ELj13ELNS0_17block_load_methodE3ELS4_3ELS4_3ELNS0_20block_scan_algorithmE0ELj4294967295EEENS1_25partition_config_selectorILNS1_17partition_subalgoE3EjNS0_10empty_typeEbEEZZNS1_14partition_implILS8_3ELb0ES6_jNS0_17counting_iteratorIjlEEPS9_SE_NS0_5tupleIJPjSE_EEENSF_IJSE_SE_EEES9_SG_JZNS1_25segmented_radix_sort_implINS0_14default_configELb1EPKsPsPKlPlN2at6native12_GLOBAL__N_18offset_tEEE10hipError_tPvRmT1_PNSt15iterator_traitsISY_E10value_typeET2_T3_PNSZ_IS14_E10value_typeET4_jRbjT5_S1A_jjP12ihipStream_tbEUljE_EEESV_SW_SX_S14_S18_S1A_T6_T7_T9_mT8_S1C_bDpT10_ENKUlT_T0_E_clISt17integral_constantIbLb1EES1P_EEDaS1K_S1L_EUlS1K_E_NS1_11comp_targetILNS1_3genE8ELNS1_11target_archE1030ELNS1_3gpuE2ELNS1_3repE0EEENS1_30default_config_static_selectorELNS0_4arch9wavefront6targetE0EEEvSY_,comdat
.Lfunc_end894:
	.size	_ZN7rocprim17ROCPRIM_400000_NS6detail17trampoline_kernelINS0_13select_configILj256ELj13ELNS0_17block_load_methodE3ELS4_3ELS4_3ELNS0_20block_scan_algorithmE0ELj4294967295EEENS1_25partition_config_selectorILNS1_17partition_subalgoE3EjNS0_10empty_typeEbEEZZNS1_14partition_implILS8_3ELb0ES6_jNS0_17counting_iteratorIjlEEPS9_SE_NS0_5tupleIJPjSE_EEENSF_IJSE_SE_EEES9_SG_JZNS1_25segmented_radix_sort_implINS0_14default_configELb1EPKsPsPKlPlN2at6native12_GLOBAL__N_18offset_tEEE10hipError_tPvRmT1_PNSt15iterator_traitsISY_E10value_typeET2_T3_PNSZ_IS14_E10value_typeET4_jRbjT5_S1A_jjP12ihipStream_tbEUljE_EEESV_SW_SX_S14_S18_S1A_T6_T7_T9_mT8_S1C_bDpT10_ENKUlT_T0_E_clISt17integral_constantIbLb1EES1P_EEDaS1K_S1L_EUlS1K_E_NS1_11comp_targetILNS1_3genE8ELNS1_11target_archE1030ELNS1_3gpuE2ELNS1_3repE0EEENS1_30default_config_static_selectorELNS0_4arch9wavefront6targetE0EEEvSY_, .Lfunc_end894-_ZN7rocprim17ROCPRIM_400000_NS6detail17trampoline_kernelINS0_13select_configILj256ELj13ELNS0_17block_load_methodE3ELS4_3ELS4_3ELNS0_20block_scan_algorithmE0ELj4294967295EEENS1_25partition_config_selectorILNS1_17partition_subalgoE3EjNS0_10empty_typeEbEEZZNS1_14partition_implILS8_3ELb0ES6_jNS0_17counting_iteratorIjlEEPS9_SE_NS0_5tupleIJPjSE_EEENSF_IJSE_SE_EEES9_SG_JZNS1_25segmented_radix_sort_implINS0_14default_configELb1EPKsPsPKlPlN2at6native12_GLOBAL__N_18offset_tEEE10hipError_tPvRmT1_PNSt15iterator_traitsISY_E10value_typeET2_T3_PNSZ_IS14_E10value_typeET4_jRbjT5_S1A_jjP12ihipStream_tbEUljE_EEESV_SW_SX_S14_S18_S1A_T6_T7_T9_mT8_S1C_bDpT10_ENKUlT_T0_E_clISt17integral_constantIbLb1EES1P_EEDaS1K_S1L_EUlS1K_E_NS1_11comp_targetILNS1_3genE8ELNS1_11target_archE1030ELNS1_3gpuE2ELNS1_3repE0EEENS1_30default_config_static_selectorELNS0_4arch9wavefront6targetE0EEEvSY_
                                        ; -- End function
	.set _ZN7rocprim17ROCPRIM_400000_NS6detail17trampoline_kernelINS0_13select_configILj256ELj13ELNS0_17block_load_methodE3ELS4_3ELS4_3ELNS0_20block_scan_algorithmE0ELj4294967295EEENS1_25partition_config_selectorILNS1_17partition_subalgoE3EjNS0_10empty_typeEbEEZZNS1_14partition_implILS8_3ELb0ES6_jNS0_17counting_iteratorIjlEEPS9_SE_NS0_5tupleIJPjSE_EEENSF_IJSE_SE_EEES9_SG_JZNS1_25segmented_radix_sort_implINS0_14default_configELb1EPKsPsPKlPlN2at6native12_GLOBAL__N_18offset_tEEE10hipError_tPvRmT1_PNSt15iterator_traitsISY_E10value_typeET2_T3_PNSZ_IS14_E10value_typeET4_jRbjT5_S1A_jjP12ihipStream_tbEUljE_EEESV_SW_SX_S14_S18_S1A_T6_T7_T9_mT8_S1C_bDpT10_ENKUlT_T0_E_clISt17integral_constantIbLb1EES1P_EEDaS1K_S1L_EUlS1K_E_NS1_11comp_targetILNS1_3genE8ELNS1_11target_archE1030ELNS1_3gpuE2ELNS1_3repE0EEENS1_30default_config_static_selectorELNS0_4arch9wavefront6targetE0EEEvSY_.num_vgpr, 0
	.set _ZN7rocprim17ROCPRIM_400000_NS6detail17trampoline_kernelINS0_13select_configILj256ELj13ELNS0_17block_load_methodE3ELS4_3ELS4_3ELNS0_20block_scan_algorithmE0ELj4294967295EEENS1_25partition_config_selectorILNS1_17partition_subalgoE3EjNS0_10empty_typeEbEEZZNS1_14partition_implILS8_3ELb0ES6_jNS0_17counting_iteratorIjlEEPS9_SE_NS0_5tupleIJPjSE_EEENSF_IJSE_SE_EEES9_SG_JZNS1_25segmented_radix_sort_implINS0_14default_configELb1EPKsPsPKlPlN2at6native12_GLOBAL__N_18offset_tEEE10hipError_tPvRmT1_PNSt15iterator_traitsISY_E10value_typeET2_T3_PNSZ_IS14_E10value_typeET4_jRbjT5_S1A_jjP12ihipStream_tbEUljE_EEESV_SW_SX_S14_S18_S1A_T6_T7_T9_mT8_S1C_bDpT10_ENKUlT_T0_E_clISt17integral_constantIbLb1EES1P_EEDaS1K_S1L_EUlS1K_E_NS1_11comp_targetILNS1_3genE8ELNS1_11target_archE1030ELNS1_3gpuE2ELNS1_3repE0EEENS1_30default_config_static_selectorELNS0_4arch9wavefront6targetE0EEEvSY_.num_agpr, 0
	.set _ZN7rocprim17ROCPRIM_400000_NS6detail17trampoline_kernelINS0_13select_configILj256ELj13ELNS0_17block_load_methodE3ELS4_3ELS4_3ELNS0_20block_scan_algorithmE0ELj4294967295EEENS1_25partition_config_selectorILNS1_17partition_subalgoE3EjNS0_10empty_typeEbEEZZNS1_14partition_implILS8_3ELb0ES6_jNS0_17counting_iteratorIjlEEPS9_SE_NS0_5tupleIJPjSE_EEENSF_IJSE_SE_EEES9_SG_JZNS1_25segmented_radix_sort_implINS0_14default_configELb1EPKsPsPKlPlN2at6native12_GLOBAL__N_18offset_tEEE10hipError_tPvRmT1_PNSt15iterator_traitsISY_E10value_typeET2_T3_PNSZ_IS14_E10value_typeET4_jRbjT5_S1A_jjP12ihipStream_tbEUljE_EEESV_SW_SX_S14_S18_S1A_T6_T7_T9_mT8_S1C_bDpT10_ENKUlT_T0_E_clISt17integral_constantIbLb1EES1P_EEDaS1K_S1L_EUlS1K_E_NS1_11comp_targetILNS1_3genE8ELNS1_11target_archE1030ELNS1_3gpuE2ELNS1_3repE0EEENS1_30default_config_static_selectorELNS0_4arch9wavefront6targetE0EEEvSY_.numbered_sgpr, 0
	.set _ZN7rocprim17ROCPRIM_400000_NS6detail17trampoline_kernelINS0_13select_configILj256ELj13ELNS0_17block_load_methodE3ELS4_3ELS4_3ELNS0_20block_scan_algorithmE0ELj4294967295EEENS1_25partition_config_selectorILNS1_17partition_subalgoE3EjNS0_10empty_typeEbEEZZNS1_14partition_implILS8_3ELb0ES6_jNS0_17counting_iteratorIjlEEPS9_SE_NS0_5tupleIJPjSE_EEENSF_IJSE_SE_EEES9_SG_JZNS1_25segmented_radix_sort_implINS0_14default_configELb1EPKsPsPKlPlN2at6native12_GLOBAL__N_18offset_tEEE10hipError_tPvRmT1_PNSt15iterator_traitsISY_E10value_typeET2_T3_PNSZ_IS14_E10value_typeET4_jRbjT5_S1A_jjP12ihipStream_tbEUljE_EEESV_SW_SX_S14_S18_S1A_T6_T7_T9_mT8_S1C_bDpT10_ENKUlT_T0_E_clISt17integral_constantIbLb1EES1P_EEDaS1K_S1L_EUlS1K_E_NS1_11comp_targetILNS1_3genE8ELNS1_11target_archE1030ELNS1_3gpuE2ELNS1_3repE0EEENS1_30default_config_static_selectorELNS0_4arch9wavefront6targetE0EEEvSY_.num_named_barrier, 0
	.set _ZN7rocprim17ROCPRIM_400000_NS6detail17trampoline_kernelINS0_13select_configILj256ELj13ELNS0_17block_load_methodE3ELS4_3ELS4_3ELNS0_20block_scan_algorithmE0ELj4294967295EEENS1_25partition_config_selectorILNS1_17partition_subalgoE3EjNS0_10empty_typeEbEEZZNS1_14partition_implILS8_3ELb0ES6_jNS0_17counting_iteratorIjlEEPS9_SE_NS0_5tupleIJPjSE_EEENSF_IJSE_SE_EEES9_SG_JZNS1_25segmented_radix_sort_implINS0_14default_configELb1EPKsPsPKlPlN2at6native12_GLOBAL__N_18offset_tEEE10hipError_tPvRmT1_PNSt15iterator_traitsISY_E10value_typeET2_T3_PNSZ_IS14_E10value_typeET4_jRbjT5_S1A_jjP12ihipStream_tbEUljE_EEESV_SW_SX_S14_S18_S1A_T6_T7_T9_mT8_S1C_bDpT10_ENKUlT_T0_E_clISt17integral_constantIbLb1EES1P_EEDaS1K_S1L_EUlS1K_E_NS1_11comp_targetILNS1_3genE8ELNS1_11target_archE1030ELNS1_3gpuE2ELNS1_3repE0EEENS1_30default_config_static_selectorELNS0_4arch9wavefront6targetE0EEEvSY_.private_seg_size, 0
	.set _ZN7rocprim17ROCPRIM_400000_NS6detail17trampoline_kernelINS0_13select_configILj256ELj13ELNS0_17block_load_methodE3ELS4_3ELS4_3ELNS0_20block_scan_algorithmE0ELj4294967295EEENS1_25partition_config_selectorILNS1_17partition_subalgoE3EjNS0_10empty_typeEbEEZZNS1_14partition_implILS8_3ELb0ES6_jNS0_17counting_iteratorIjlEEPS9_SE_NS0_5tupleIJPjSE_EEENSF_IJSE_SE_EEES9_SG_JZNS1_25segmented_radix_sort_implINS0_14default_configELb1EPKsPsPKlPlN2at6native12_GLOBAL__N_18offset_tEEE10hipError_tPvRmT1_PNSt15iterator_traitsISY_E10value_typeET2_T3_PNSZ_IS14_E10value_typeET4_jRbjT5_S1A_jjP12ihipStream_tbEUljE_EEESV_SW_SX_S14_S18_S1A_T6_T7_T9_mT8_S1C_bDpT10_ENKUlT_T0_E_clISt17integral_constantIbLb1EES1P_EEDaS1K_S1L_EUlS1K_E_NS1_11comp_targetILNS1_3genE8ELNS1_11target_archE1030ELNS1_3gpuE2ELNS1_3repE0EEENS1_30default_config_static_selectorELNS0_4arch9wavefront6targetE0EEEvSY_.uses_vcc, 0
	.set _ZN7rocprim17ROCPRIM_400000_NS6detail17trampoline_kernelINS0_13select_configILj256ELj13ELNS0_17block_load_methodE3ELS4_3ELS4_3ELNS0_20block_scan_algorithmE0ELj4294967295EEENS1_25partition_config_selectorILNS1_17partition_subalgoE3EjNS0_10empty_typeEbEEZZNS1_14partition_implILS8_3ELb0ES6_jNS0_17counting_iteratorIjlEEPS9_SE_NS0_5tupleIJPjSE_EEENSF_IJSE_SE_EEES9_SG_JZNS1_25segmented_radix_sort_implINS0_14default_configELb1EPKsPsPKlPlN2at6native12_GLOBAL__N_18offset_tEEE10hipError_tPvRmT1_PNSt15iterator_traitsISY_E10value_typeET2_T3_PNSZ_IS14_E10value_typeET4_jRbjT5_S1A_jjP12ihipStream_tbEUljE_EEESV_SW_SX_S14_S18_S1A_T6_T7_T9_mT8_S1C_bDpT10_ENKUlT_T0_E_clISt17integral_constantIbLb1EES1P_EEDaS1K_S1L_EUlS1K_E_NS1_11comp_targetILNS1_3genE8ELNS1_11target_archE1030ELNS1_3gpuE2ELNS1_3repE0EEENS1_30default_config_static_selectorELNS0_4arch9wavefront6targetE0EEEvSY_.uses_flat_scratch, 0
	.set _ZN7rocprim17ROCPRIM_400000_NS6detail17trampoline_kernelINS0_13select_configILj256ELj13ELNS0_17block_load_methodE3ELS4_3ELS4_3ELNS0_20block_scan_algorithmE0ELj4294967295EEENS1_25partition_config_selectorILNS1_17partition_subalgoE3EjNS0_10empty_typeEbEEZZNS1_14partition_implILS8_3ELb0ES6_jNS0_17counting_iteratorIjlEEPS9_SE_NS0_5tupleIJPjSE_EEENSF_IJSE_SE_EEES9_SG_JZNS1_25segmented_radix_sort_implINS0_14default_configELb1EPKsPsPKlPlN2at6native12_GLOBAL__N_18offset_tEEE10hipError_tPvRmT1_PNSt15iterator_traitsISY_E10value_typeET2_T3_PNSZ_IS14_E10value_typeET4_jRbjT5_S1A_jjP12ihipStream_tbEUljE_EEESV_SW_SX_S14_S18_S1A_T6_T7_T9_mT8_S1C_bDpT10_ENKUlT_T0_E_clISt17integral_constantIbLb1EES1P_EEDaS1K_S1L_EUlS1K_E_NS1_11comp_targetILNS1_3genE8ELNS1_11target_archE1030ELNS1_3gpuE2ELNS1_3repE0EEENS1_30default_config_static_selectorELNS0_4arch9wavefront6targetE0EEEvSY_.has_dyn_sized_stack, 0
	.set _ZN7rocprim17ROCPRIM_400000_NS6detail17trampoline_kernelINS0_13select_configILj256ELj13ELNS0_17block_load_methodE3ELS4_3ELS4_3ELNS0_20block_scan_algorithmE0ELj4294967295EEENS1_25partition_config_selectorILNS1_17partition_subalgoE3EjNS0_10empty_typeEbEEZZNS1_14partition_implILS8_3ELb0ES6_jNS0_17counting_iteratorIjlEEPS9_SE_NS0_5tupleIJPjSE_EEENSF_IJSE_SE_EEES9_SG_JZNS1_25segmented_radix_sort_implINS0_14default_configELb1EPKsPsPKlPlN2at6native12_GLOBAL__N_18offset_tEEE10hipError_tPvRmT1_PNSt15iterator_traitsISY_E10value_typeET2_T3_PNSZ_IS14_E10value_typeET4_jRbjT5_S1A_jjP12ihipStream_tbEUljE_EEESV_SW_SX_S14_S18_S1A_T6_T7_T9_mT8_S1C_bDpT10_ENKUlT_T0_E_clISt17integral_constantIbLb1EES1P_EEDaS1K_S1L_EUlS1K_E_NS1_11comp_targetILNS1_3genE8ELNS1_11target_archE1030ELNS1_3gpuE2ELNS1_3repE0EEENS1_30default_config_static_selectorELNS0_4arch9wavefront6targetE0EEEvSY_.has_recursion, 0
	.set _ZN7rocprim17ROCPRIM_400000_NS6detail17trampoline_kernelINS0_13select_configILj256ELj13ELNS0_17block_load_methodE3ELS4_3ELS4_3ELNS0_20block_scan_algorithmE0ELj4294967295EEENS1_25partition_config_selectorILNS1_17partition_subalgoE3EjNS0_10empty_typeEbEEZZNS1_14partition_implILS8_3ELb0ES6_jNS0_17counting_iteratorIjlEEPS9_SE_NS0_5tupleIJPjSE_EEENSF_IJSE_SE_EEES9_SG_JZNS1_25segmented_radix_sort_implINS0_14default_configELb1EPKsPsPKlPlN2at6native12_GLOBAL__N_18offset_tEEE10hipError_tPvRmT1_PNSt15iterator_traitsISY_E10value_typeET2_T3_PNSZ_IS14_E10value_typeET4_jRbjT5_S1A_jjP12ihipStream_tbEUljE_EEESV_SW_SX_S14_S18_S1A_T6_T7_T9_mT8_S1C_bDpT10_ENKUlT_T0_E_clISt17integral_constantIbLb1EES1P_EEDaS1K_S1L_EUlS1K_E_NS1_11comp_targetILNS1_3genE8ELNS1_11target_archE1030ELNS1_3gpuE2ELNS1_3repE0EEENS1_30default_config_static_selectorELNS0_4arch9wavefront6targetE0EEEvSY_.has_indirect_call, 0
	.section	.AMDGPU.csdata,"",@progbits
; Kernel info:
; codeLenInByte = 0
; TotalNumSgprs: 0
; NumVgprs: 0
; ScratchSize: 0
; MemoryBound: 0
; FloatMode: 240
; IeeeMode: 1
; LDSByteSize: 0 bytes/workgroup (compile time only)
; SGPRBlocks: 0
; VGPRBlocks: 0
; NumSGPRsForWavesPerEU: 1
; NumVGPRsForWavesPerEU: 1
; Occupancy: 16
; WaveLimiterHint : 0
; COMPUTE_PGM_RSRC2:SCRATCH_EN: 0
; COMPUTE_PGM_RSRC2:USER_SGPR: 2
; COMPUTE_PGM_RSRC2:TRAP_HANDLER: 0
; COMPUTE_PGM_RSRC2:TGID_X_EN: 1
; COMPUTE_PGM_RSRC2:TGID_Y_EN: 0
; COMPUTE_PGM_RSRC2:TGID_Z_EN: 0
; COMPUTE_PGM_RSRC2:TIDIG_COMP_CNT: 0
	.section	.text._ZN7rocprim17ROCPRIM_400000_NS6detail17trampoline_kernelINS0_13select_configILj256ELj13ELNS0_17block_load_methodE3ELS4_3ELS4_3ELNS0_20block_scan_algorithmE0ELj4294967295EEENS1_25partition_config_selectorILNS1_17partition_subalgoE3EjNS0_10empty_typeEbEEZZNS1_14partition_implILS8_3ELb0ES6_jNS0_17counting_iteratorIjlEEPS9_SE_NS0_5tupleIJPjSE_EEENSF_IJSE_SE_EEES9_SG_JZNS1_25segmented_radix_sort_implINS0_14default_configELb1EPKsPsPKlPlN2at6native12_GLOBAL__N_18offset_tEEE10hipError_tPvRmT1_PNSt15iterator_traitsISY_E10value_typeET2_T3_PNSZ_IS14_E10value_typeET4_jRbjT5_S1A_jjP12ihipStream_tbEUljE_EEESV_SW_SX_S14_S18_S1A_T6_T7_T9_mT8_S1C_bDpT10_ENKUlT_T0_E_clISt17integral_constantIbLb1EES1O_IbLb0EEEEDaS1K_S1L_EUlS1K_E_NS1_11comp_targetILNS1_3genE0ELNS1_11target_archE4294967295ELNS1_3gpuE0ELNS1_3repE0EEENS1_30default_config_static_selectorELNS0_4arch9wavefront6targetE0EEEvSY_,"axG",@progbits,_ZN7rocprim17ROCPRIM_400000_NS6detail17trampoline_kernelINS0_13select_configILj256ELj13ELNS0_17block_load_methodE3ELS4_3ELS4_3ELNS0_20block_scan_algorithmE0ELj4294967295EEENS1_25partition_config_selectorILNS1_17partition_subalgoE3EjNS0_10empty_typeEbEEZZNS1_14partition_implILS8_3ELb0ES6_jNS0_17counting_iteratorIjlEEPS9_SE_NS0_5tupleIJPjSE_EEENSF_IJSE_SE_EEES9_SG_JZNS1_25segmented_radix_sort_implINS0_14default_configELb1EPKsPsPKlPlN2at6native12_GLOBAL__N_18offset_tEEE10hipError_tPvRmT1_PNSt15iterator_traitsISY_E10value_typeET2_T3_PNSZ_IS14_E10value_typeET4_jRbjT5_S1A_jjP12ihipStream_tbEUljE_EEESV_SW_SX_S14_S18_S1A_T6_T7_T9_mT8_S1C_bDpT10_ENKUlT_T0_E_clISt17integral_constantIbLb1EES1O_IbLb0EEEEDaS1K_S1L_EUlS1K_E_NS1_11comp_targetILNS1_3genE0ELNS1_11target_archE4294967295ELNS1_3gpuE0ELNS1_3repE0EEENS1_30default_config_static_selectorELNS0_4arch9wavefront6targetE0EEEvSY_,comdat
	.globl	_ZN7rocprim17ROCPRIM_400000_NS6detail17trampoline_kernelINS0_13select_configILj256ELj13ELNS0_17block_load_methodE3ELS4_3ELS4_3ELNS0_20block_scan_algorithmE0ELj4294967295EEENS1_25partition_config_selectorILNS1_17partition_subalgoE3EjNS0_10empty_typeEbEEZZNS1_14partition_implILS8_3ELb0ES6_jNS0_17counting_iteratorIjlEEPS9_SE_NS0_5tupleIJPjSE_EEENSF_IJSE_SE_EEES9_SG_JZNS1_25segmented_radix_sort_implINS0_14default_configELb1EPKsPsPKlPlN2at6native12_GLOBAL__N_18offset_tEEE10hipError_tPvRmT1_PNSt15iterator_traitsISY_E10value_typeET2_T3_PNSZ_IS14_E10value_typeET4_jRbjT5_S1A_jjP12ihipStream_tbEUljE_EEESV_SW_SX_S14_S18_S1A_T6_T7_T9_mT8_S1C_bDpT10_ENKUlT_T0_E_clISt17integral_constantIbLb1EES1O_IbLb0EEEEDaS1K_S1L_EUlS1K_E_NS1_11comp_targetILNS1_3genE0ELNS1_11target_archE4294967295ELNS1_3gpuE0ELNS1_3repE0EEENS1_30default_config_static_selectorELNS0_4arch9wavefront6targetE0EEEvSY_ ; -- Begin function _ZN7rocprim17ROCPRIM_400000_NS6detail17trampoline_kernelINS0_13select_configILj256ELj13ELNS0_17block_load_methodE3ELS4_3ELS4_3ELNS0_20block_scan_algorithmE0ELj4294967295EEENS1_25partition_config_selectorILNS1_17partition_subalgoE3EjNS0_10empty_typeEbEEZZNS1_14partition_implILS8_3ELb0ES6_jNS0_17counting_iteratorIjlEEPS9_SE_NS0_5tupleIJPjSE_EEENSF_IJSE_SE_EEES9_SG_JZNS1_25segmented_radix_sort_implINS0_14default_configELb1EPKsPsPKlPlN2at6native12_GLOBAL__N_18offset_tEEE10hipError_tPvRmT1_PNSt15iterator_traitsISY_E10value_typeET2_T3_PNSZ_IS14_E10value_typeET4_jRbjT5_S1A_jjP12ihipStream_tbEUljE_EEESV_SW_SX_S14_S18_S1A_T6_T7_T9_mT8_S1C_bDpT10_ENKUlT_T0_E_clISt17integral_constantIbLb1EES1O_IbLb0EEEEDaS1K_S1L_EUlS1K_E_NS1_11comp_targetILNS1_3genE0ELNS1_11target_archE4294967295ELNS1_3gpuE0ELNS1_3repE0EEENS1_30default_config_static_selectorELNS0_4arch9wavefront6targetE0EEEvSY_
	.p2align	8
	.type	_ZN7rocprim17ROCPRIM_400000_NS6detail17trampoline_kernelINS0_13select_configILj256ELj13ELNS0_17block_load_methodE3ELS4_3ELS4_3ELNS0_20block_scan_algorithmE0ELj4294967295EEENS1_25partition_config_selectorILNS1_17partition_subalgoE3EjNS0_10empty_typeEbEEZZNS1_14partition_implILS8_3ELb0ES6_jNS0_17counting_iteratorIjlEEPS9_SE_NS0_5tupleIJPjSE_EEENSF_IJSE_SE_EEES9_SG_JZNS1_25segmented_radix_sort_implINS0_14default_configELb1EPKsPsPKlPlN2at6native12_GLOBAL__N_18offset_tEEE10hipError_tPvRmT1_PNSt15iterator_traitsISY_E10value_typeET2_T3_PNSZ_IS14_E10value_typeET4_jRbjT5_S1A_jjP12ihipStream_tbEUljE_EEESV_SW_SX_S14_S18_S1A_T6_T7_T9_mT8_S1C_bDpT10_ENKUlT_T0_E_clISt17integral_constantIbLb1EES1O_IbLb0EEEEDaS1K_S1L_EUlS1K_E_NS1_11comp_targetILNS1_3genE0ELNS1_11target_archE4294967295ELNS1_3gpuE0ELNS1_3repE0EEENS1_30default_config_static_selectorELNS0_4arch9wavefront6targetE0EEEvSY_,@function
_ZN7rocprim17ROCPRIM_400000_NS6detail17trampoline_kernelINS0_13select_configILj256ELj13ELNS0_17block_load_methodE3ELS4_3ELS4_3ELNS0_20block_scan_algorithmE0ELj4294967295EEENS1_25partition_config_selectorILNS1_17partition_subalgoE3EjNS0_10empty_typeEbEEZZNS1_14partition_implILS8_3ELb0ES6_jNS0_17counting_iteratorIjlEEPS9_SE_NS0_5tupleIJPjSE_EEENSF_IJSE_SE_EEES9_SG_JZNS1_25segmented_radix_sort_implINS0_14default_configELb1EPKsPsPKlPlN2at6native12_GLOBAL__N_18offset_tEEE10hipError_tPvRmT1_PNSt15iterator_traitsISY_E10value_typeET2_T3_PNSZ_IS14_E10value_typeET4_jRbjT5_S1A_jjP12ihipStream_tbEUljE_EEESV_SW_SX_S14_S18_S1A_T6_T7_T9_mT8_S1C_bDpT10_ENKUlT_T0_E_clISt17integral_constantIbLb1EES1O_IbLb0EEEEDaS1K_S1L_EUlS1K_E_NS1_11comp_targetILNS1_3genE0ELNS1_11target_archE4294967295ELNS1_3gpuE0ELNS1_3repE0EEENS1_30default_config_static_selectorELNS0_4arch9wavefront6targetE0EEEvSY_: ; @_ZN7rocprim17ROCPRIM_400000_NS6detail17trampoline_kernelINS0_13select_configILj256ELj13ELNS0_17block_load_methodE3ELS4_3ELS4_3ELNS0_20block_scan_algorithmE0ELj4294967295EEENS1_25partition_config_selectorILNS1_17partition_subalgoE3EjNS0_10empty_typeEbEEZZNS1_14partition_implILS8_3ELb0ES6_jNS0_17counting_iteratorIjlEEPS9_SE_NS0_5tupleIJPjSE_EEENSF_IJSE_SE_EEES9_SG_JZNS1_25segmented_radix_sort_implINS0_14default_configELb1EPKsPsPKlPlN2at6native12_GLOBAL__N_18offset_tEEE10hipError_tPvRmT1_PNSt15iterator_traitsISY_E10value_typeET2_T3_PNSZ_IS14_E10value_typeET4_jRbjT5_S1A_jjP12ihipStream_tbEUljE_EEESV_SW_SX_S14_S18_S1A_T6_T7_T9_mT8_S1C_bDpT10_ENKUlT_T0_E_clISt17integral_constantIbLb1EES1O_IbLb0EEEEDaS1K_S1L_EUlS1K_E_NS1_11comp_targetILNS1_3genE0ELNS1_11target_archE4294967295ELNS1_3gpuE0ELNS1_3repE0EEENS1_30default_config_static_selectorELNS0_4arch9wavefront6targetE0EEEvSY_
; %bb.0:
	.section	.rodata,"a",@progbits
	.p2align	6, 0x0
	.amdhsa_kernel _ZN7rocprim17ROCPRIM_400000_NS6detail17trampoline_kernelINS0_13select_configILj256ELj13ELNS0_17block_load_methodE3ELS4_3ELS4_3ELNS0_20block_scan_algorithmE0ELj4294967295EEENS1_25partition_config_selectorILNS1_17partition_subalgoE3EjNS0_10empty_typeEbEEZZNS1_14partition_implILS8_3ELb0ES6_jNS0_17counting_iteratorIjlEEPS9_SE_NS0_5tupleIJPjSE_EEENSF_IJSE_SE_EEES9_SG_JZNS1_25segmented_radix_sort_implINS0_14default_configELb1EPKsPsPKlPlN2at6native12_GLOBAL__N_18offset_tEEE10hipError_tPvRmT1_PNSt15iterator_traitsISY_E10value_typeET2_T3_PNSZ_IS14_E10value_typeET4_jRbjT5_S1A_jjP12ihipStream_tbEUljE_EEESV_SW_SX_S14_S18_S1A_T6_T7_T9_mT8_S1C_bDpT10_ENKUlT_T0_E_clISt17integral_constantIbLb1EES1O_IbLb0EEEEDaS1K_S1L_EUlS1K_E_NS1_11comp_targetILNS1_3genE0ELNS1_11target_archE4294967295ELNS1_3gpuE0ELNS1_3repE0EEENS1_30default_config_static_selectorELNS0_4arch9wavefront6targetE0EEEvSY_
		.amdhsa_group_segment_fixed_size 0
		.amdhsa_private_segment_fixed_size 0
		.amdhsa_kernarg_size 144
		.amdhsa_user_sgpr_count 2
		.amdhsa_user_sgpr_dispatch_ptr 0
		.amdhsa_user_sgpr_queue_ptr 0
		.amdhsa_user_sgpr_kernarg_segment_ptr 1
		.amdhsa_user_sgpr_dispatch_id 0
		.amdhsa_user_sgpr_private_segment_size 0
		.amdhsa_wavefront_size32 1
		.amdhsa_uses_dynamic_stack 0
		.amdhsa_enable_private_segment 0
		.amdhsa_system_sgpr_workgroup_id_x 1
		.amdhsa_system_sgpr_workgroup_id_y 0
		.amdhsa_system_sgpr_workgroup_id_z 0
		.amdhsa_system_sgpr_workgroup_info 0
		.amdhsa_system_vgpr_workitem_id 0
		.amdhsa_next_free_vgpr 1
		.amdhsa_next_free_sgpr 1
		.amdhsa_reserve_vcc 0
		.amdhsa_float_round_mode_32 0
		.amdhsa_float_round_mode_16_64 0
		.amdhsa_float_denorm_mode_32 3
		.amdhsa_float_denorm_mode_16_64 3
		.amdhsa_fp16_overflow 0
		.amdhsa_workgroup_processor_mode 1
		.amdhsa_memory_ordered 1
		.amdhsa_forward_progress 1
		.amdhsa_inst_pref_size 0
		.amdhsa_round_robin_scheduling 0
		.amdhsa_exception_fp_ieee_invalid_op 0
		.amdhsa_exception_fp_denorm_src 0
		.amdhsa_exception_fp_ieee_div_zero 0
		.amdhsa_exception_fp_ieee_overflow 0
		.amdhsa_exception_fp_ieee_underflow 0
		.amdhsa_exception_fp_ieee_inexact 0
		.amdhsa_exception_int_div_zero 0
	.end_amdhsa_kernel
	.section	.text._ZN7rocprim17ROCPRIM_400000_NS6detail17trampoline_kernelINS0_13select_configILj256ELj13ELNS0_17block_load_methodE3ELS4_3ELS4_3ELNS0_20block_scan_algorithmE0ELj4294967295EEENS1_25partition_config_selectorILNS1_17partition_subalgoE3EjNS0_10empty_typeEbEEZZNS1_14partition_implILS8_3ELb0ES6_jNS0_17counting_iteratorIjlEEPS9_SE_NS0_5tupleIJPjSE_EEENSF_IJSE_SE_EEES9_SG_JZNS1_25segmented_radix_sort_implINS0_14default_configELb1EPKsPsPKlPlN2at6native12_GLOBAL__N_18offset_tEEE10hipError_tPvRmT1_PNSt15iterator_traitsISY_E10value_typeET2_T3_PNSZ_IS14_E10value_typeET4_jRbjT5_S1A_jjP12ihipStream_tbEUljE_EEESV_SW_SX_S14_S18_S1A_T6_T7_T9_mT8_S1C_bDpT10_ENKUlT_T0_E_clISt17integral_constantIbLb1EES1O_IbLb0EEEEDaS1K_S1L_EUlS1K_E_NS1_11comp_targetILNS1_3genE0ELNS1_11target_archE4294967295ELNS1_3gpuE0ELNS1_3repE0EEENS1_30default_config_static_selectorELNS0_4arch9wavefront6targetE0EEEvSY_,"axG",@progbits,_ZN7rocprim17ROCPRIM_400000_NS6detail17trampoline_kernelINS0_13select_configILj256ELj13ELNS0_17block_load_methodE3ELS4_3ELS4_3ELNS0_20block_scan_algorithmE0ELj4294967295EEENS1_25partition_config_selectorILNS1_17partition_subalgoE3EjNS0_10empty_typeEbEEZZNS1_14partition_implILS8_3ELb0ES6_jNS0_17counting_iteratorIjlEEPS9_SE_NS0_5tupleIJPjSE_EEENSF_IJSE_SE_EEES9_SG_JZNS1_25segmented_radix_sort_implINS0_14default_configELb1EPKsPsPKlPlN2at6native12_GLOBAL__N_18offset_tEEE10hipError_tPvRmT1_PNSt15iterator_traitsISY_E10value_typeET2_T3_PNSZ_IS14_E10value_typeET4_jRbjT5_S1A_jjP12ihipStream_tbEUljE_EEESV_SW_SX_S14_S18_S1A_T6_T7_T9_mT8_S1C_bDpT10_ENKUlT_T0_E_clISt17integral_constantIbLb1EES1O_IbLb0EEEEDaS1K_S1L_EUlS1K_E_NS1_11comp_targetILNS1_3genE0ELNS1_11target_archE4294967295ELNS1_3gpuE0ELNS1_3repE0EEENS1_30default_config_static_selectorELNS0_4arch9wavefront6targetE0EEEvSY_,comdat
.Lfunc_end895:
	.size	_ZN7rocprim17ROCPRIM_400000_NS6detail17trampoline_kernelINS0_13select_configILj256ELj13ELNS0_17block_load_methodE3ELS4_3ELS4_3ELNS0_20block_scan_algorithmE0ELj4294967295EEENS1_25partition_config_selectorILNS1_17partition_subalgoE3EjNS0_10empty_typeEbEEZZNS1_14partition_implILS8_3ELb0ES6_jNS0_17counting_iteratorIjlEEPS9_SE_NS0_5tupleIJPjSE_EEENSF_IJSE_SE_EEES9_SG_JZNS1_25segmented_radix_sort_implINS0_14default_configELb1EPKsPsPKlPlN2at6native12_GLOBAL__N_18offset_tEEE10hipError_tPvRmT1_PNSt15iterator_traitsISY_E10value_typeET2_T3_PNSZ_IS14_E10value_typeET4_jRbjT5_S1A_jjP12ihipStream_tbEUljE_EEESV_SW_SX_S14_S18_S1A_T6_T7_T9_mT8_S1C_bDpT10_ENKUlT_T0_E_clISt17integral_constantIbLb1EES1O_IbLb0EEEEDaS1K_S1L_EUlS1K_E_NS1_11comp_targetILNS1_3genE0ELNS1_11target_archE4294967295ELNS1_3gpuE0ELNS1_3repE0EEENS1_30default_config_static_selectorELNS0_4arch9wavefront6targetE0EEEvSY_, .Lfunc_end895-_ZN7rocprim17ROCPRIM_400000_NS6detail17trampoline_kernelINS0_13select_configILj256ELj13ELNS0_17block_load_methodE3ELS4_3ELS4_3ELNS0_20block_scan_algorithmE0ELj4294967295EEENS1_25partition_config_selectorILNS1_17partition_subalgoE3EjNS0_10empty_typeEbEEZZNS1_14partition_implILS8_3ELb0ES6_jNS0_17counting_iteratorIjlEEPS9_SE_NS0_5tupleIJPjSE_EEENSF_IJSE_SE_EEES9_SG_JZNS1_25segmented_radix_sort_implINS0_14default_configELb1EPKsPsPKlPlN2at6native12_GLOBAL__N_18offset_tEEE10hipError_tPvRmT1_PNSt15iterator_traitsISY_E10value_typeET2_T3_PNSZ_IS14_E10value_typeET4_jRbjT5_S1A_jjP12ihipStream_tbEUljE_EEESV_SW_SX_S14_S18_S1A_T6_T7_T9_mT8_S1C_bDpT10_ENKUlT_T0_E_clISt17integral_constantIbLb1EES1O_IbLb0EEEEDaS1K_S1L_EUlS1K_E_NS1_11comp_targetILNS1_3genE0ELNS1_11target_archE4294967295ELNS1_3gpuE0ELNS1_3repE0EEENS1_30default_config_static_selectorELNS0_4arch9wavefront6targetE0EEEvSY_
                                        ; -- End function
	.set _ZN7rocprim17ROCPRIM_400000_NS6detail17trampoline_kernelINS0_13select_configILj256ELj13ELNS0_17block_load_methodE3ELS4_3ELS4_3ELNS0_20block_scan_algorithmE0ELj4294967295EEENS1_25partition_config_selectorILNS1_17partition_subalgoE3EjNS0_10empty_typeEbEEZZNS1_14partition_implILS8_3ELb0ES6_jNS0_17counting_iteratorIjlEEPS9_SE_NS0_5tupleIJPjSE_EEENSF_IJSE_SE_EEES9_SG_JZNS1_25segmented_radix_sort_implINS0_14default_configELb1EPKsPsPKlPlN2at6native12_GLOBAL__N_18offset_tEEE10hipError_tPvRmT1_PNSt15iterator_traitsISY_E10value_typeET2_T3_PNSZ_IS14_E10value_typeET4_jRbjT5_S1A_jjP12ihipStream_tbEUljE_EEESV_SW_SX_S14_S18_S1A_T6_T7_T9_mT8_S1C_bDpT10_ENKUlT_T0_E_clISt17integral_constantIbLb1EES1O_IbLb0EEEEDaS1K_S1L_EUlS1K_E_NS1_11comp_targetILNS1_3genE0ELNS1_11target_archE4294967295ELNS1_3gpuE0ELNS1_3repE0EEENS1_30default_config_static_selectorELNS0_4arch9wavefront6targetE0EEEvSY_.num_vgpr, 0
	.set _ZN7rocprim17ROCPRIM_400000_NS6detail17trampoline_kernelINS0_13select_configILj256ELj13ELNS0_17block_load_methodE3ELS4_3ELS4_3ELNS0_20block_scan_algorithmE0ELj4294967295EEENS1_25partition_config_selectorILNS1_17partition_subalgoE3EjNS0_10empty_typeEbEEZZNS1_14partition_implILS8_3ELb0ES6_jNS0_17counting_iteratorIjlEEPS9_SE_NS0_5tupleIJPjSE_EEENSF_IJSE_SE_EEES9_SG_JZNS1_25segmented_radix_sort_implINS0_14default_configELb1EPKsPsPKlPlN2at6native12_GLOBAL__N_18offset_tEEE10hipError_tPvRmT1_PNSt15iterator_traitsISY_E10value_typeET2_T3_PNSZ_IS14_E10value_typeET4_jRbjT5_S1A_jjP12ihipStream_tbEUljE_EEESV_SW_SX_S14_S18_S1A_T6_T7_T9_mT8_S1C_bDpT10_ENKUlT_T0_E_clISt17integral_constantIbLb1EES1O_IbLb0EEEEDaS1K_S1L_EUlS1K_E_NS1_11comp_targetILNS1_3genE0ELNS1_11target_archE4294967295ELNS1_3gpuE0ELNS1_3repE0EEENS1_30default_config_static_selectorELNS0_4arch9wavefront6targetE0EEEvSY_.num_agpr, 0
	.set _ZN7rocprim17ROCPRIM_400000_NS6detail17trampoline_kernelINS0_13select_configILj256ELj13ELNS0_17block_load_methodE3ELS4_3ELS4_3ELNS0_20block_scan_algorithmE0ELj4294967295EEENS1_25partition_config_selectorILNS1_17partition_subalgoE3EjNS0_10empty_typeEbEEZZNS1_14partition_implILS8_3ELb0ES6_jNS0_17counting_iteratorIjlEEPS9_SE_NS0_5tupleIJPjSE_EEENSF_IJSE_SE_EEES9_SG_JZNS1_25segmented_radix_sort_implINS0_14default_configELb1EPKsPsPKlPlN2at6native12_GLOBAL__N_18offset_tEEE10hipError_tPvRmT1_PNSt15iterator_traitsISY_E10value_typeET2_T3_PNSZ_IS14_E10value_typeET4_jRbjT5_S1A_jjP12ihipStream_tbEUljE_EEESV_SW_SX_S14_S18_S1A_T6_T7_T9_mT8_S1C_bDpT10_ENKUlT_T0_E_clISt17integral_constantIbLb1EES1O_IbLb0EEEEDaS1K_S1L_EUlS1K_E_NS1_11comp_targetILNS1_3genE0ELNS1_11target_archE4294967295ELNS1_3gpuE0ELNS1_3repE0EEENS1_30default_config_static_selectorELNS0_4arch9wavefront6targetE0EEEvSY_.numbered_sgpr, 0
	.set _ZN7rocprim17ROCPRIM_400000_NS6detail17trampoline_kernelINS0_13select_configILj256ELj13ELNS0_17block_load_methodE3ELS4_3ELS4_3ELNS0_20block_scan_algorithmE0ELj4294967295EEENS1_25partition_config_selectorILNS1_17partition_subalgoE3EjNS0_10empty_typeEbEEZZNS1_14partition_implILS8_3ELb0ES6_jNS0_17counting_iteratorIjlEEPS9_SE_NS0_5tupleIJPjSE_EEENSF_IJSE_SE_EEES9_SG_JZNS1_25segmented_radix_sort_implINS0_14default_configELb1EPKsPsPKlPlN2at6native12_GLOBAL__N_18offset_tEEE10hipError_tPvRmT1_PNSt15iterator_traitsISY_E10value_typeET2_T3_PNSZ_IS14_E10value_typeET4_jRbjT5_S1A_jjP12ihipStream_tbEUljE_EEESV_SW_SX_S14_S18_S1A_T6_T7_T9_mT8_S1C_bDpT10_ENKUlT_T0_E_clISt17integral_constantIbLb1EES1O_IbLb0EEEEDaS1K_S1L_EUlS1K_E_NS1_11comp_targetILNS1_3genE0ELNS1_11target_archE4294967295ELNS1_3gpuE0ELNS1_3repE0EEENS1_30default_config_static_selectorELNS0_4arch9wavefront6targetE0EEEvSY_.num_named_barrier, 0
	.set _ZN7rocprim17ROCPRIM_400000_NS6detail17trampoline_kernelINS0_13select_configILj256ELj13ELNS0_17block_load_methodE3ELS4_3ELS4_3ELNS0_20block_scan_algorithmE0ELj4294967295EEENS1_25partition_config_selectorILNS1_17partition_subalgoE3EjNS0_10empty_typeEbEEZZNS1_14partition_implILS8_3ELb0ES6_jNS0_17counting_iteratorIjlEEPS9_SE_NS0_5tupleIJPjSE_EEENSF_IJSE_SE_EEES9_SG_JZNS1_25segmented_radix_sort_implINS0_14default_configELb1EPKsPsPKlPlN2at6native12_GLOBAL__N_18offset_tEEE10hipError_tPvRmT1_PNSt15iterator_traitsISY_E10value_typeET2_T3_PNSZ_IS14_E10value_typeET4_jRbjT5_S1A_jjP12ihipStream_tbEUljE_EEESV_SW_SX_S14_S18_S1A_T6_T7_T9_mT8_S1C_bDpT10_ENKUlT_T0_E_clISt17integral_constantIbLb1EES1O_IbLb0EEEEDaS1K_S1L_EUlS1K_E_NS1_11comp_targetILNS1_3genE0ELNS1_11target_archE4294967295ELNS1_3gpuE0ELNS1_3repE0EEENS1_30default_config_static_selectorELNS0_4arch9wavefront6targetE0EEEvSY_.private_seg_size, 0
	.set _ZN7rocprim17ROCPRIM_400000_NS6detail17trampoline_kernelINS0_13select_configILj256ELj13ELNS0_17block_load_methodE3ELS4_3ELS4_3ELNS0_20block_scan_algorithmE0ELj4294967295EEENS1_25partition_config_selectorILNS1_17partition_subalgoE3EjNS0_10empty_typeEbEEZZNS1_14partition_implILS8_3ELb0ES6_jNS0_17counting_iteratorIjlEEPS9_SE_NS0_5tupleIJPjSE_EEENSF_IJSE_SE_EEES9_SG_JZNS1_25segmented_radix_sort_implINS0_14default_configELb1EPKsPsPKlPlN2at6native12_GLOBAL__N_18offset_tEEE10hipError_tPvRmT1_PNSt15iterator_traitsISY_E10value_typeET2_T3_PNSZ_IS14_E10value_typeET4_jRbjT5_S1A_jjP12ihipStream_tbEUljE_EEESV_SW_SX_S14_S18_S1A_T6_T7_T9_mT8_S1C_bDpT10_ENKUlT_T0_E_clISt17integral_constantIbLb1EES1O_IbLb0EEEEDaS1K_S1L_EUlS1K_E_NS1_11comp_targetILNS1_3genE0ELNS1_11target_archE4294967295ELNS1_3gpuE0ELNS1_3repE0EEENS1_30default_config_static_selectorELNS0_4arch9wavefront6targetE0EEEvSY_.uses_vcc, 0
	.set _ZN7rocprim17ROCPRIM_400000_NS6detail17trampoline_kernelINS0_13select_configILj256ELj13ELNS0_17block_load_methodE3ELS4_3ELS4_3ELNS0_20block_scan_algorithmE0ELj4294967295EEENS1_25partition_config_selectorILNS1_17partition_subalgoE3EjNS0_10empty_typeEbEEZZNS1_14partition_implILS8_3ELb0ES6_jNS0_17counting_iteratorIjlEEPS9_SE_NS0_5tupleIJPjSE_EEENSF_IJSE_SE_EEES9_SG_JZNS1_25segmented_radix_sort_implINS0_14default_configELb1EPKsPsPKlPlN2at6native12_GLOBAL__N_18offset_tEEE10hipError_tPvRmT1_PNSt15iterator_traitsISY_E10value_typeET2_T3_PNSZ_IS14_E10value_typeET4_jRbjT5_S1A_jjP12ihipStream_tbEUljE_EEESV_SW_SX_S14_S18_S1A_T6_T7_T9_mT8_S1C_bDpT10_ENKUlT_T0_E_clISt17integral_constantIbLb1EES1O_IbLb0EEEEDaS1K_S1L_EUlS1K_E_NS1_11comp_targetILNS1_3genE0ELNS1_11target_archE4294967295ELNS1_3gpuE0ELNS1_3repE0EEENS1_30default_config_static_selectorELNS0_4arch9wavefront6targetE0EEEvSY_.uses_flat_scratch, 0
	.set _ZN7rocprim17ROCPRIM_400000_NS6detail17trampoline_kernelINS0_13select_configILj256ELj13ELNS0_17block_load_methodE3ELS4_3ELS4_3ELNS0_20block_scan_algorithmE0ELj4294967295EEENS1_25partition_config_selectorILNS1_17partition_subalgoE3EjNS0_10empty_typeEbEEZZNS1_14partition_implILS8_3ELb0ES6_jNS0_17counting_iteratorIjlEEPS9_SE_NS0_5tupleIJPjSE_EEENSF_IJSE_SE_EEES9_SG_JZNS1_25segmented_radix_sort_implINS0_14default_configELb1EPKsPsPKlPlN2at6native12_GLOBAL__N_18offset_tEEE10hipError_tPvRmT1_PNSt15iterator_traitsISY_E10value_typeET2_T3_PNSZ_IS14_E10value_typeET4_jRbjT5_S1A_jjP12ihipStream_tbEUljE_EEESV_SW_SX_S14_S18_S1A_T6_T7_T9_mT8_S1C_bDpT10_ENKUlT_T0_E_clISt17integral_constantIbLb1EES1O_IbLb0EEEEDaS1K_S1L_EUlS1K_E_NS1_11comp_targetILNS1_3genE0ELNS1_11target_archE4294967295ELNS1_3gpuE0ELNS1_3repE0EEENS1_30default_config_static_selectorELNS0_4arch9wavefront6targetE0EEEvSY_.has_dyn_sized_stack, 0
	.set _ZN7rocprim17ROCPRIM_400000_NS6detail17trampoline_kernelINS0_13select_configILj256ELj13ELNS0_17block_load_methodE3ELS4_3ELS4_3ELNS0_20block_scan_algorithmE0ELj4294967295EEENS1_25partition_config_selectorILNS1_17partition_subalgoE3EjNS0_10empty_typeEbEEZZNS1_14partition_implILS8_3ELb0ES6_jNS0_17counting_iteratorIjlEEPS9_SE_NS0_5tupleIJPjSE_EEENSF_IJSE_SE_EEES9_SG_JZNS1_25segmented_radix_sort_implINS0_14default_configELb1EPKsPsPKlPlN2at6native12_GLOBAL__N_18offset_tEEE10hipError_tPvRmT1_PNSt15iterator_traitsISY_E10value_typeET2_T3_PNSZ_IS14_E10value_typeET4_jRbjT5_S1A_jjP12ihipStream_tbEUljE_EEESV_SW_SX_S14_S18_S1A_T6_T7_T9_mT8_S1C_bDpT10_ENKUlT_T0_E_clISt17integral_constantIbLb1EES1O_IbLb0EEEEDaS1K_S1L_EUlS1K_E_NS1_11comp_targetILNS1_3genE0ELNS1_11target_archE4294967295ELNS1_3gpuE0ELNS1_3repE0EEENS1_30default_config_static_selectorELNS0_4arch9wavefront6targetE0EEEvSY_.has_recursion, 0
	.set _ZN7rocprim17ROCPRIM_400000_NS6detail17trampoline_kernelINS0_13select_configILj256ELj13ELNS0_17block_load_methodE3ELS4_3ELS4_3ELNS0_20block_scan_algorithmE0ELj4294967295EEENS1_25partition_config_selectorILNS1_17partition_subalgoE3EjNS0_10empty_typeEbEEZZNS1_14partition_implILS8_3ELb0ES6_jNS0_17counting_iteratorIjlEEPS9_SE_NS0_5tupleIJPjSE_EEENSF_IJSE_SE_EEES9_SG_JZNS1_25segmented_radix_sort_implINS0_14default_configELb1EPKsPsPKlPlN2at6native12_GLOBAL__N_18offset_tEEE10hipError_tPvRmT1_PNSt15iterator_traitsISY_E10value_typeET2_T3_PNSZ_IS14_E10value_typeET4_jRbjT5_S1A_jjP12ihipStream_tbEUljE_EEESV_SW_SX_S14_S18_S1A_T6_T7_T9_mT8_S1C_bDpT10_ENKUlT_T0_E_clISt17integral_constantIbLb1EES1O_IbLb0EEEEDaS1K_S1L_EUlS1K_E_NS1_11comp_targetILNS1_3genE0ELNS1_11target_archE4294967295ELNS1_3gpuE0ELNS1_3repE0EEENS1_30default_config_static_selectorELNS0_4arch9wavefront6targetE0EEEvSY_.has_indirect_call, 0
	.section	.AMDGPU.csdata,"",@progbits
; Kernel info:
; codeLenInByte = 0
; TotalNumSgprs: 0
; NumVgprs: 0
; ScratchSize: 0
; MemoryBound: 0
; FloatMode: 240
; IeeeMode: 1
; LDSByteSize: 0 bytes/workgroup (compile time only)
; SGPRBlocks: 0
; VGPRBlocks: 0
; NumSGPRsForWavesPerEU: 1
; NumVGPRsForWavesPerEU: 1
; Occupancy: 16
; WaveLimiterHint : 0
; COMPUTE_PGM_RSRC2:SCRATCH_EN: 0
; COMPUTE_PGM_RSRC2:USER_SGPR: 2
; COMPUTE_PGM_RSRC2:TRAP_HANDLER: 0
; COMPUTE_PGM_RSRC2:TGID_X_EN: 1
; COMPUTE_PGM_RSRC2:TGID_Y_EN: 0
; COMPUTE_PGM_RSRC2:TGID_Z_EN: 0
; COMPUTE_PGM_RSRC2:TIDIG_COMP_CNT: 0
	.section	.text._ZN7rocprim17ROCPRIM_400000_NS6detail17trampoline_kernelINS0_13select_configILj256ELj13ELNS0_17block_load_methodE3ELS4_3ELS4_3ELNS0_20block_scan_algorithmE0ELj4294967295EEENS1_25partition_config_selectorILNS1_17partition_subalgoE3EjNS0_10empty_typeEbEEZZNS1_14partition_implILS8_3ELb0ES6_jNS0_17counting_iteratorIjlEEPS9_SE_NS0_5tupleIJPjSE_EEENSF_IJSE_SE_EEES9_SG_JZNS1_25segmented_radix_sort_implINS0_14default_configELb1EPKsPsPKlPlN2at6native12_GLOBAL__N_18offset_tEEE10hipError_tPvRmT1_PNSt15iterator_traitsISY_E10value_typeET2_T3_PNSZ_IS14_E10value_typeET4_jRbjT5_S1A_jjP12ihipStream_tbEUljE_EEESV_SW_SX_S14_S18_S1A_T6_T7_T9_mT8_S1C_bDpT10_ENKUlT_T0_E_clISt17integral_constantIbLb1EES1O_IbLb0EEEEDaS1K_S1L_EUlS1K_E_NS1_11comp_targetILNS1_3genE5ELNS1_11target_archE942ELNS1_3gpuE9ELNS1_3repE0EEENS1_30default_config_static_selectorELNS0_4arch9wavefront6targetE0EEEvSY_,"axG",@progbits,_ZN7rocprim17ROCPRIM_400000_NS6detail17trampoline_kernelINS0_13select_configILj256ELj13ELNS0_17block_load_methodE3ELS4_3ELS4_3ELNS0_20block_scan_algorithmE0ELj4294967295EEENS1_25partition_config_selectorILNS1_17partition_subalgoE3EjNS0_10empty_typeEbEEZZNS1_14partition_implILS8_3ELb0ES6_jNS0_17counting_iteratorIjlEEPS9_SE_NS0_5tupleIJPjSE_EEENSF_IJSE_SE_EEES9_SG_JZNS1_25segmented_radix_sort_implINS0_14default_configELb1EPKsPsPKlPlN2at6native12_GLOBAL__N_18offset_tEEE10hipError_tPvRmT1_PNSt15iterator_traitsISY_E10value_typeET2_T3_PNSZ_IS14_E10value_typeET4_jRbjT5_S1A_jjP12ihipStream_tbEUljE_EEESV_SW_SX_S14_S18_S1A_T6_T7_T9_mT8_S1C_bDpT10_ENKUlT_T0_E_clISt17integral_constantIbLb1EES1O_IbLb0EEEEDaS1K_S1L_EUlS1K_E_NS1_11comp_targetILNS1_3genE5ELNS1_11target_archE942ELNS1_3gpuE9ELNS1_3repE0EEENS1_30default_config_static_selectorELNS0_4arch9wavefront6targetE0EEEvSY_,comdat
	.globl	_ZN7rocprim17ROCPRIM_400000_NS6detail17trampoline_kernelINS0_13select_configILj256ELj13ELNS0_17block_load_methodE3ELS4_3ELS4_3ELNS0_20block_scan_algorithmE0ELj4294967295EEENS1_25partition_config_selectorILNS1_17partition_subalgoE3EjNS0_10empty_typeEbEEZZNS1_14partition_implILS8_3ELb0ES6_jNS0_17counting_iteratorIjlEEPS9_SE_NS0_5tupleIJPjSE_EEENSF_IJSE_SE_EEES9_SG_JZNS1_25segmented_radix_sort_implINS0_14default_configELb1EPKsPsPKlPlN2at6native12_GLOBAL__N_18offset_tEEE10hipError_tPvRmT1_PNSt15iterator_traitsISY_E10value_typeET2_T3_PNSZ_IS14_E10value_typeET4_jRbjT5_S1A_jjP12ihipStream_tbEUljE_EEESV_SW_SX_S14_S18_S1A_T6_T7_T9_mT8_S1C_bDpT10_ENKUlT_T0_E_clISt17integral_constantIbLb1EES1O_IbLb0EEEEDaS1K_S1L_EUlS1K_E_NS1_11comp_targetILNS1_3genE5ELNS1_11target_archE942ELNS1_3gpuE9ELNS1_3repE0EEENS1_30default_config_static_selectorELNS0_4arch9wavefront6targetE0EEEvSY_ ; -- Begin function _ZN7rocprim17ROCPRIM_400000_NS6detail17trampoline_kernelINS0_13select_configILj256ELj13ELNS0_17block_load_methodE3ELS4_3ELS4_3ELNS0_20block_scan_algorithmE0ELj4294967295EEENS1_25partition_config_selectorILNS1_17partition_subalgoE3EjNS0_10empty_typeEbEEZZNS1_14partition_implILS8_3ELb0ES6_jNS0_17counting_iteratorIjlEEPS9_SE_NS0_5tupleIJPjSE_EEENSF_IJSE_SE_EEES9_SG_JZNS1_25segmented_radix_sort_implINS0_14default_configELb1EPKsPsPKlPlN2at6native12_GLOBAL__N_18offset_tEEE10hipError_tPvRmT1_PNSt15iterator_traitsISY_E10value_typeET2_T3_PNSZ_IS14_E10value_typeET4_jRbjT5_S1A_jjP12ihipStream_tbEUljE_EEESV_SW_SX_S14_S18_S1A_T6_T7_T9_mT8_S1C_bDpT10_ENKUlT_T0_E_clISt17integral_constantIbLb1EES1O_IbLb0EEEEDaS1K_S1L_EUlS1K_E_NS1_11comp_targetILNS1_3genE5ELNS1_11target_archE942ELNS1_3gpuE9ELNS1_3repE0EEENS1_30default_config_static_selectorELNS0_4arch9wavefront6targetE0EEEvSY_
	.p2align	8
	.type	_ZN7rocprim17ROCPRIM_400000_NS6detail17trampoline_kernelINS0_13select_configILj256ELj13ELNS0_17block_load_methodE3ELS4_3ELS4_3ELNS0_20block_scan_algorithmE0ELj4294967295EEENS1_25partition_config_selectorILNS1_17partition_subalgoE3EjNS0_10empty_typeEbEEZZNS1_14partition_implILS8_3ELb0ES6_jNS0_17counting_iteratorIjlEEPS9_SE_NS0_5tupleIJPjSE_EEENSF_IJSE_SE_EEES9_SG_JZNS1_25segmented_radix_sort_implINS0_14default_configELb1EPKsPsPKlPlN2at6native12_GLOBAL__N_18offset_tEEE10hipError_tPvRmT1_PNSt15iterator_traitsISY_E10value_typeET2_T3_PNSZ_IS14_E10value_typeET4_jRbjT5_S1A_jjP12ihipStream_tbEUljE_EEESV_SW_SX_S14_S18_S1A_T6_T7_T9_mT8_S1C_bDpT10_ENKUlT_T0_E_clISt17integral_constantIbLb1EES1O_IbLb0EEEEDaS1K_S1L_EUlS1K_E_NS1_11comp_targetILNS1_3genE5ELNS1_11target_archE942ELNS1_3gpuE9ELNS1_3repE0EEENS1_30default_config_static_selectorELNS0_4arch9wavefront6targetE0EEEvSY_,@function
_ZN7rocprim17ROCPRIM_400000_NS6detail17trampoline_kernelINS0_13select_configILj256ELj13ELNS0_17block_load_methodE3ELS4_3ELS4_3ELNS0_20block_scan_algorithmE0ELj4294967295EEENS1_25partition_config_selectorILNS1_17partition_subalgoE3EjNS0_10empty_typeEbEEZZNS1_14partition_implILS8_3ELb0ES6_jNS0_17counting_iteratorIjlEEPS9_SE_NS0_5tupleIJPjSE_EEENSF_IJSE_SE_EEES9_SG_JZNS1_25segmented_radix_sort_implINS0_14default_configELb1EPKsPsPKlPlN2at6native12_GLOBAL__N_18offset_tEEE10hipError_tPvRmT1_PNSt15iterator_traitsISY_E10value_typeET2_T3_PNSZ_IS14_E10value_typeET4_jRbjT5_S1A_jjP12ihipStream_tbEUljE_EEESV_SW_SX_S14_S18_S1A_T6_T7_T9_mT8_S1C_bDpT10_ENKUlT_T0_E_clISt17integral_constantIbLb1EES1O_IbLb0EEEEDaS1K_S1L_EUlS1K_E_NS1_11comp_targetILNS1_3genE5ELNS1_11target_archE942ELNS1_3gpuE9ELNS1_3repE0EEENS1_30default_config_static_selectorELNS0_4arch9wavefront6targetE0EEEvSY_: ; @_ZN7rocprim17ROCPRIM_400000_NS6detail17trampoline_kernelINS0_13select_configILj256ELj13ELNS0_17block_load_methodE3ELS4_3ELS4_3ELNS0_20block_scan_algorithmE0ELj4294967295EEENS1_25partition_config_selectorILNS1_17partition_subalgoE3EjNS0_10empty_typeEbEEZZNS1_14partition_implILS8_3ELb0ES6_jNS0_17counting_iteratorIjlEEPS9_SE_NS0_5tupleIJPjSE_EEENSF_IJSE_SE_EEES9_SG_JZNS1_25segmented_radix_sort_implINS0_14default_configELb1EPKsPsPKlPlN2at6native12_GLOBAL__N_18offset_tEEE10hipError_tPvRmT1_PNSt15iterator_traitsISY_E10value_typeET2_T3_PNSZ_IS14_E10value_typeET4_jRbjT5_S1A_jjP12ihipStream_tbEUljE_EEESV_SW_SX_S14_S18_S1A_T6_T7_T9_mT8_S1C_bDpT10_ENKUlT_T0_E_clISt17integral_constantIbLb1EES1O_IbLb0EEEEDaS1K_S1L_EUlS1K_E_NS1_11comp_targetILNS1_3genE5ELNS1_11target_archE942ELNS1_3gpuE9ELNS1_3repE0EEENS1_30default_config_static_selectorELNS0_4arch9wavefront6targetE0EEEvSY_
; %bb.0:
	.section	.rodata,"a",@progbits
	.p2align	6, 0x0
	.amdhsa_kernel _ZN7rocprim17ROCPRIM_400000_NS6detail17trampoline_kernelINS0_13select_configILj256ELj13ELNS0_17block_load_methodE3ELS4_3ELS4_3ELNS0_20block_scan_algorithmE0ELj4294967295EEENS1_25partition_config_selectorILNS1_17partition_subalgoE3EjNS0_10empty_typeEbEEZZNS1_14partition_implILS8_3ELb0ES6_jNS0_17counting_iteratorIjlEEPS9_SE_NS0_5tupleIJPjSE_EEENSF_IJSE_SE_EEES9_SG_JZNS1_25segmented_radix_sort_implINS0_14default_configELb1EPKsPsPKlPlN2at6native12_GLOBAL__N_18offset_tEEE10hipError_tPvRmT1_PNSt15iterator_traitsISY_E10value_typeET2_T3_PNSZ_IS14_E10value_typeET4_jRbjT5_S1A_jjP12ihipStream_tbEUljE_EEESV_SW_SX_S14_S18_S1A_T6_T7_T9_mT8_S1C_bDpT10_ENKUlT_T0_E_clISt17integral_constantIbLb1EES1O_IbLb0EEEEDaS1K_S1L_EUlS1K_E_NS1_11comp_targetILNS1_3genE5ELNS1_11target_archE942ELNS1_3gpuE9ELNS1_3repE0EEENS1_30default_config_static_selectorELNS0_4arch9wavefront6targetE0EEEvSY_
		.amdhsa_group_segment_fixed_size 0
		.amdhsa_private_segment_fixed_size 0
		.amdhsa_kernarg_size 144
		.amdhsa_user_sgpr_count 2
		.amdhsa_user_sgpr_dispatch_ptr 0
		.amdhsa_user_sgpr_queue_ptr 0
		.amdhsa_user_sgpr_kernarg_segment_ptr 1
		.amdhsa_user_sgpr_dispatch_id 0
		.amdhsa_user_sgpr_private_segment_size 0
		.amdhsa_wavefront_size32 1
		.amdhsa_uses_dynamic_stack 0
		.amdhsa_enable_private_segment 0
		.amdhsa_system_sgpr_workgroup_id_x 1
		.amdhsa_system_sgpr_workgroup_id_y 0
		.amdhsa_system_sgpr_workgroup_id_z 0
		.amdhsa_system_sgpr_workgroup_info 0
		.amdhsa_system_vgpr_workitem_id 0
		.amdhsa_next_free_vgpr 1
		.amdhsa_next_free_sgpr 1
		.amdhsa_reserve_vcc 0
		.amdhsa_float_round_mode_32 0
		.amdhsa_float_round_mode_16_64 0
		.amdhsa_float_denorm_mode_32 3
		.amdhsa_float_denorm_mode_16_64 3
		.amdhsa_fp16_overflow 0
		.amdhsa_workgroup_processor_mode 1
		.amdhsa_memory_ordered 1
		.amdhsa_forward_progress 1
		.amdhsa_inst_pref_size 0
		.amdhsa_round_robin_scheduling 0
		.amdhsa_exception_fp_ieee_invalid_op 0
		.amdhsa_exception_fp_denorm_src 0
		.amdhsa_exception_fp_ieee_div_zero 0
		.amdhsa_exception_fp_ieee_overflow 0
		.amdhsa_exception_fp_ieee_underflow 0
		.amdhsa_exception_fp_ieee_inexact 0
		.amdhsa_exception_int_div_zero 0
	.end_amdhsa_kernel
	.section	.text._ZN7rocprim17ROCPRIM_400000_NS6detail17trampoline_kernelINS0_13select_configILj256ELj13ELNS0_17block_load_methodE3ELS4_3ELS4_3ELNS0_20block_scan_algorithmE0ELj4294967295EEENS1_25partition_config_selectorILNS1_17partition_subalgoE3EjNS0_10empty_typeEbEEZZNS1_14partition_implILS8_3ELb0ES6_jNS0_17counting_iteratorIjlEEPS9_SE_NS0_5tupleIJPjSE_EEENSF_IJSE_SE_EEES9_SG_JZNS1_25segmented_radix_sort_implINS0_14default_configELb1EPKsPsPKlPlN2at6native12_GLOBAL__N_18offset_tEEE10hipError_tPvRmT1_PNSt15iterator_traitsISY_E10value_typeET2_T3_PNSZ_IS14_E10value_typeET4_jRbjT5_S1A_jjP12ihipStream_tbEUljE_EEESV_SW_SX_S14_S18_S1A_T6_T7_T9_mT8_S1C_bDpT10_ENKUlT_T0_E_clISt17integral_constantIbLb1EES1O_IbLb0EEEEDaS1K_S1L_EUlS1K_E_NS1_11comp_targetILNS1_3genE5ELNS1_11target_archE942ELNS1_3gpuE9ELNS1_3repE0EEENS1_30default_config_static_selectorELNS0_4arch9wavefront6targetE0EEEvSY_,"axG",@progbits,_ZN7rocprim17ROCPRIM_400000_NS6detail17trampoline_kernelINS0_13select_configILj256ELj13ELNS0_17block_load_methodE3ELS4_3ELS4_3ELNS0_20block_scan_algorithmE0ELj4294967295EEENS1_25partition_config_selectorILNS1_17partition_subalgoE3EjNS0_10empty_typeEbEEZZNS1_14partition_implILS8_3ELb0ES6_jNS0_17counting_iteratorIjlEEPS9_SE_NS0_5tupleIJPjSE_EEENSF_IJSE_SE_EEES9_SG_JZNS1_25segmented_radix_sort_implINS0_14default_configELb1EPKsPsPKlPlN2at6native12_GLOBAL__N_18offset_tEEE10hipError_tPvRmT1_PNSt15iterator_traitsISY_E10value_typeET2_T3_PNSZ_IS14_E10value_typeET4_jRbjT5_S1A_jjP12ihipStream_tbEUljE_EEESV_SW_SX_S14_S18_S1A_T6_T7_T9_mT8_S1C_bDpT10_ENKUlT_T0_E_clISt17integral_constantIbLb1EES1O_IbLb0EEEEDaS1K_S1L_EUlS1K_E_NS1_11comp_targetILNS1_3genE5ELNS1_11target_archE942ELNS1_3gpuE9ELNS1_3repE0EEENS1_30default_config_static_selectorELNS0_4arch9wavefront6targetE0EEEvSY_,comdat
.Lfunc_end896:
	.size	_ZN7rocprim17ROCPRIM_400000_NS6detail17trampoline_kernelINS0_13select_configILj256ELj13ELNS0_17block_load_methodE3ELS4_3ELS4_3ELNS0_20block_scan_algorithmE0ELj4294967295EEENS1_25partition_config_selectorILNS1_17partition_subalgoE3EjNS0_10empty_typeEbEEZZNS1_14partition_implILS8_3ELb0ES6_jNS0_17counting_iteratorIjlEEPS9_SE_NS0_5tupleIJPjSE_EEENSF_IJSE_SE_EEES9_SG_JZNS1_25segmented_radix_sort_implINS0_14default_configELb1EPKsPsPKlPlN2at6native12_GLOBAL__N_18offset_tEEE10hipError_tPvRmT1_PNSt15iterator_traitsISY_E10value_typeET2_T3_PNSZ_IS14_E10value_typeET4_jRbjT5_S1A_jjP12ihipStream_tbEUljE_EEESV_SW_SX_S14_S18_S1A_T6_T7_T9_mT8_S1C_bDpT10_ENKUlT_T0_E_clISt17integral_constantIbLb1EES1O_IbLb0EEEEDaS1K_S1L_EUlS1K_E_NS1_11comp_targetILNS1_3genE5ELNS1_11target_archE942ELNS1_3gpuE9ELNS1_3repE0EEENS1_30default_config_static_selectorELNS0_4arch9wavefront6targetE0EEEvSY_, .Lfunc_end896-_ZN7rocprim17ROCPRIM_400000_NS6detail17trampoline_kernelINS0_13select_configILj256ELj13ELNS0_17block_load_methodE3ELS4_3ELS4_3ELNS0_20block_scan_algorithmE0ELj4294967295EEENS1_25partition_config_selectorILNS1_17partition_subalgoE3EjNS0_10empty_typeEbEEZZNS1_14partition_implILS8_3ELb0ES6_jNS0_17counting_iteratorIjlEEPS9_SE_NS0_5tupleIJPjSE_EEENSF_IJSE_SE_EEES9_SG_JZNS1_25segmented_radix_sort_implINS0_14default_configELb1EPKsPsPKlPlN2at6native12_GLOBAL__N_18offset_tEEE10hipError_tPvRmT1_PNSt15iterator_traitsISY_E10value_typeET2_T3_PNSZ_IS14_E10value_typeET4_jRbjT5_S1A_jjP12ihipStream_tbEUljE_EEESV_SW_SX_S14_S18_S1A_T6_T7_T9_mT8_S1C_bDpT10_ENKUlT_T0_E_clISt17integral_constantIbLb1EES1O_IbLb0EEEEDaS1K_S1L_EUlS1K_E_NS1_11comp_targetILNS1_3genE5ELNS1_11target_archE942ELNS1_3gpuE9ELNS1_3repE0EEENS1_30default_config_static_selectorELNS0_4arch9wavefront6targetE0EEEvSY_
                                        ; -- End function
	.set _ZN7rocprim17ROCPRIM_400000_NS6detail17trampoline_kernelINS0_13select_configILj256ELj13ELNS0_17block_load_methodE3ELS4_3ELS4_3ELNS0_20block_scan_algorithmE0ELj4294967295EEENS1_25partition_config_selectorILNS1_17partition_subalgoE3EjNS0_10empty_typeEbEEZZNS1_14partition_implILS8_3ELb0ES6_jNS0_17counting_iteratorIjlEEPS9_SE_NS0_5tupleIJPjSE_EEENSF_IJSE_SE_EEES9_SG_JZNS1_25segmented_radix_sort_implINS0_14default_configELb1EPKsPsPKlPlN2at6native12_GLOBAL__N_18offset_tEEE10hipError_tPvRmT1_PNSt15iterator_traitsISY_E10value_typeET2_T3_PNSZ_IS14_E10value_typeET4_jRbjT5_S1A_jjP12ihipStream_tbEUljE_EEESV_SW_SX_S14_S18_S1A_T6_T7_T9_mT8_S1C_bDpT10_ENKUlT_T0_E_clISt17integral_constantIbLb1EES1O_IbLb0EEEEDaS1K_S1L_EUlS1K_E_NS1_11comp_targetILNS1_3genE5ELNS1_11target_archE942ELNS1_3gpuE9ELNS1_3repE0EEENS1_30default_config_static_selectorELNS0_4arch9wavefront6targetE0EEEvSY_.num_vgpr, 0
	.set _ZN7rocprim17ROCPRIM_400000_NS6detail17trampoline_kernelINS0_13select_configILj256ELj13ELNS0_17block_load_methodE3ELS4_3ELS4_3ELNS0_20block_scan_algorithmE0ELj4294967295EEENS1_25partition_config_selectorILNS1_17partition_subalgoE3EjNS0_10empty_typeEbEEZZNS1_14partition_implILS8_3ELb0ES6_jNS0_17counting_iteratorIjlEEPS9_SE_NS0_5tupleIJPjSE_EEENSF_IJSE_SE_EEES9_SG_JZNS1_25segmented_radix_sort_implINS0_14default_configELb1EPKsPsPKlPlN2at6native12_GLOBAL__N_18offset_tEEE10hipError_tPvRmT1_PNSt15iterator_traitsISY_E10value_typeET2_T3_PNSZ_IS14_E10value_typeET4_jRbjT5_S1A_jjP12ihipStream_tbEUljE_EEESV_SW_SX_S14_S18_S1A_T6_T7_T9_mT8_S1C_bDpT10_ENKUlT_T0_E_clISt17integral_constantIbLb1EES1O_IbLb0EEEEDaS1K_S1L_EUlS1K_E_NS1_11comp_targetILNS1_3genE5ELNS1_11target_archE942ELNS1_3gpuE9ELNS1_3repE0EEENS1_30default_config_static_selectorELNS0_4arch9wavefront6targetE0EEEvSY_.num_agpr, 0
	.set _ZN7rocprim17ROCPRIM_400000_NS6detail17trampoline_kernelINS0_13select_configILj256ELj13ELNS0_17block_load_methodE3ELS4_3ELS4_3ELNS0_20block_scan_algorithmE0ELj4294967295EEENS1_25partition_config_selectorILNS1_17partition_subalgoE3EjNS0_10empty_typeEbEEZZNS1_14partition_implILS8_3ELb0ES6_jNS0_17counting_iteratorIjlEEPS9_SE_NS0_5tupleIJPjSE_EEENSF_IJSE_SE_EEES9_SG_JZNS1_25segmented_radix_sort_implINS0_14default_configELb1EPKsPsPKlPlN2at6native12_GLOBAL__N_18offset_tEEE10hipError_tPvRmT1_PNSt15iterator_traitsISY_E10value_typeET2_T3_PNSZ_IS14_E10value_typeET4_jRbjT5_S1A_jjP12ihipStream_tbEUljE_EEESV_SW_SX_S14_S18_S1A_T6_T7_T9_mT8_S1C_bDpT10_ENKUlT_T0_E_clISt17integral_constantIbLb1EES1O_IbLb0EEEEDaS1K_S1L_EUlS1K_E_NS1_11comp_targetILNS1_3genE5ELNS1_11target_archE942ELNS1_3gpuE9ELNS1_3repE0EEENS1_30default_config_static_selectorELNS0_4arch9wavefront6targetE0EEEvSY_.numbered_sgpr, 0
	.set _ZN7rocprim17ROCPRIM_400000_NS6detail17trampoline_kernelINS0_13select_configILj256ELj13ELNS0_17block_load_methodE3ELS4_3ELS4_3ELNS0_20block_scan_algorithmE0ELj4294967295EEENS1_25partition_config_selectorILNS1_17partition_subalgoE3EjNS0_10empty_typeEbEEZZNS1_14partition_implILS8_3ELb0ES6_jNS0_17counting_iteratorIjlEEPS9_SE_NS0_5tupleIJPjSE_EEENSF_IJSE_SE_EEES9_SG_JZNS1_25segmented_radix_sort_implINS0_14default_configELb1EPKsPsPKlPlN2at6native12_GLOBAL__N_18offset_tEEE10hipError_tPvRmT1_PNSt15iterator_traitsISY_E10value_typeET2_T3_PNSZ_IS14_E10value_typeET4_jRbjT5_S1A_jjP12ihipStream_tbEUljE_EEESV_SW_SX_S14_S18_S1A_T6_T7_T9_mT8_S1C_bDpT10_ENKUlT_T0_E_clISt17integral_constantIbLb1EES1O_IbLb0EEEEDaS1K_S1L_EUlS1K_E_NS1_11comp_targetILNS1_3genE5ELNS1_11target_archE942ELNS1_3gpuE9ELNS1_3repE0EEENS1_30default_config_static_selectorELNS0_4arch9wavefront6targetE0EEEvSY_.num_named_barrier, 0
	.set _ZN7rocprim17ROCPRIM_400000_NS6detail17trampoline_kernelINS0_13select_configILj256ELj13ELNS0_17block_load_methodE3ELS4_3ELS4_3ELNS0_20block_scan_algorithmE0ELj4294967295EEENS1_25partition_config_selectorILNS1_17partition_subalgoE3EjNS0_10empty_typeEbEEZZNS1_14partition_implILS8_3ELb0ES6_jNS0_17counting_iteratorIjlEEPS9_SE_NS0_5tupleIJPjSE_EEENSF_IJSE_SE_EEES9_SG_JZNS1_25segmented_radix_sort_implINS0_14default_configELb1EPKsPsPKlPlN2at6native12_GLOBAL__N_18offset_tEEE10hipError_tPvRmT1_PNSt15iterator_traitsISY_E10value_typeET2_T3_PNSZ_IS14_E10value_typeET4_jRbjT5_S1A_jjP12ihipStream_tbEUljE_EEESV_SW_SX_S14_S18_S1A_T6_T7_T9_mT8_S1C_bDpT10_ENKUlT_T0_E_clISt17integral_constantIbLb1EES1O_IbLb0EEEEDaS1K_S1L_EUlS1K_E_NS1_11comp_targetILNS1_3genE5ELNS1_11target_archE942ELNS1_3gpuE9ELNS1_3repE0EEENS1_30default_config_static_selectorELNS0_4arch9wavefront6targetE0EEEvSY_.private_seg_size, 0
	.set _ZN7rocprim17ROCPRIM_400000_NS6detail17trampoline_kernelINS0_13select_configILj256ELj13ELNS0_17block_load_methodE3ELS4_3ELS4_3ELNS0_20block_scan_algorithmE0ELj4294967295EEENS1_25partition_config_selectorILNS1_17partition_subalgoE3EjNS0_10empty_typeEbEEZZNS1_14partition_implILS8_3ELb0ES6_jNS0_17counting_iteratorIjlEEPS9_SE_NS0_5tupleIJPjSE_EEENSF_IJSE_SE_EEES9_SG_JZNS1_25segmented_radix_sort_implINS0_14default_configELb1EPKsPsPKlPlN2at6native12_GLOBAL__N_18offset_tEEE10hipError_tPvRmT1_PNSt15iterator_traitsISY_E10value_typeET2_T3_PNSZ_IS14_E10value_typeET4_jRbjT5_S1A_jjP12ihipStream_tbEUljE_EEESV_SW_SX_S14_S18_S1A_T6_T7_T9_mT8_S1C_bDpT10_ENKUlT_T0_E_clISt17integral_constantIbLb1EES1O_IbLb0EEEEDaS1K_S1L_EUlS1K_E_NS1_11comp_targetILNS1_3genE5ELNS1_11target_archE942ELNS1_3gpuE9ELNS1_3repE0EEENS1_30default_config_static_selectorELNS0_4arch9wavefront6targetE0EEEvSY_.uses_vcc, 0
	.set _ZN7rocprim17ROCPRIM_400000_NS6detail17trampoline_kernelINS0_13select_configILj256ELj13ELNS0_17block_load_methodE3ELS4_3ELS4_3ELNS0_20block_scan_algorithmE0ELj4294967295EEENS1_25partition_config_selectorILNS1_17partition_subalgoE3EjNS0_10empty_typeEbEEZZNS1_14partition_implILS8_3ELb0ES6_jNS0_17counting_iteratorIjlEEPS9_SE_NS0_5tupleIJPjSE_EEENSF_IJSE_SE_EEES9_SG_JZNS1_25segmented_radix_sort_implINS0_14default_configELb1EPKsPsPKlPlN2at6native12_GLOBAL__N_18offset_tEEE10hipError_tPvRmT1_PNSt15iterator_traitsISY_E10value_typeET2_T3_PNSZ_IS14_E10value_typeET4_jRbjT5_S1A_jjP12ihipStream_tbEUljE_EEESV_SW_SX_S14_S18_S1A_T6_T7_T9_mT8_S1C_bDpT10_ENKUlT_T0_E_clISt17integral_constantIbLb1EES1O_IbLb0EEEEDaS1K_S1L_EUlS1K_E_NS1_11comp_targetILNS1_3genE5ELNS1_11target_archE942ELNS1_3gpuE9ELNS1_3repE0EEENS1_30default_config_static_selectorELNS0_4arch9wavefront6targetE0EEEvSY_.uses_flat_scratch, 0
	.set _ZN7rocprim17ROCPRIM_400000_NS6detail17trampoline_kernelINS0_13select_configILj256ELj13ELNS0_17block_load_methodE3ELS4_3ELS4_3ELNS0_20block_scan_algorithmE0ELj4294967295EEENS1_25partition_config_selectorILNS1_17partition_subalgoE3EjNS0_10empty_typeEbEEZZNS1_14partition_implILS8_3ELb0ES6_jNS0_17counting_iteratorIjlEEPS9_SE_NS0_5tupleIJPjSE_EEENSF_IJSE_SE_EEES9_SG_JZNS1_25segmented_radix_sort_implINS0_14default_configELb1EPKsPsPKlPlN2at6native12_GLOBAL__N_18offset_tEEE10hipError_tPvRmT1_PNSt15iterator_traitsISY_E10value_typeET2_T3_PNSZ_IS14_E10value_typeET4_jRbjT5_S1A_jjP12ihipStream_tbEUljE_EEESV_SW_SX_S14_S18_S1A_T6_T7_T9_mT8_S1C_bDpT10_ENKUlT_T0_E_clISt17integral_constantIbLb1EES1O_IbLb0EEEEDaS1K_S1L_EUlS1K_E_NS1_11comp_targetILNS1_3genE5ELNS1_11target_archE942ELNS1_3gpuE9ELNS1_3repE0EEENS1_30default_config_static_selectorELNS0_4arch9wavefront6targetE0EEEvSY_.has_dyn_sized_stack, 0
	.set _ZN7rocprim17ROCPRIM_400000_NS6detail17trampoline_kernelINS0_13select_configILj256ELj13ELNS0_17block_load_methodE3ELS4_3ELS4_3ELNS0_20block_scan_algorithmE0ELj4294967295EEENS1_25partition_config_selectorILNS1_17partition_subalgoE3EjNS0_10empty_typeEbEEZZNS1_14partition_implILS8_3ELb0ES6_jNS0_17counting_iteratorIjlEEPS9_SE_NS0_5tupleIJPjSE_EEENSF_IJSE_SE_EEES9_SG_JZNS1_25segmented_radix_sort_implINS0_14default_configELb1EPKsPsPKlPlN2at6native12_GLOBAL__N_18offset_tEEE10hipError_tPvRmT1_PNSt15iterator_traitsISY_E10value_typeET2_T3_PNSZ_IS14_E10value_typeET4_jRbjT5_S1A_jjP12ihipStream_tbEUljE_EEESV_SW_SX_S14_S18_S1A_T6_T7_T9_mT8_S1C_bDpT10_ENKUlT_T0_E_clISt17integral_constantIbLb1EES1O_IbLb0EEEEDaS1K_S1L_EUlS1K_E_NS1_11comp_targetILNS1_3genE5ELNS1_11target_archE942ELNS1_3gpuE9ELNS1_3repE0EEENS1_30default_config_static_selectorELNS0_4arch9wavefront6targetE0EEEvSY_.has_recursion, 0
	.set _ZN7rocprim17ROCPRIM_400000_NS6detail17trampoline_kernelINS0_13select_configILj256ELj13ELNS0_17block_load_methodE3ELS4_3ELS4_3ELNS0_20block_scan_algorithmE0ELj4294967295EEENS1_25partition_config_selectorILNS1_17partition_subalgoE3EjNS0_10empty_typeEbEEZZNS1_14partition_implILS8_3ELb0ES6_jNS0_17counting_iteratorIjlEEPS9_SE_NS0_5tupleIJPjSE_EEENSF_IJSE_SE_EEES9_SG_JZNS1_25segmented_radix_sort_implINS0_14default_configELb1EPKsPsPKlPlN2at6native12_GLOBAL__N_18offset_tEEE10hipError_tPvRmT1_PNSt15iterator_traitsISY_E10value_typeET2_T3_PNSZ_IS14_E10value_typeET4_jRbjT5_S1A_jjP12ihipStream_tbEUljE_EEESV_SW_SX_S14_S18_S1A_T6_T7_T9_mT8_S1C_bDpT10_ENKUlT_T0_E_clISt17integral_constantIbLb1EES1O_IbLb0EEEEDaS1K_S1L_EUlS1K_E_NS1_11comp_targetILNS1_3genE5ELNS1_11target_archE942ELNS1_3gpuE9ELNS1_3repE0EEENS1_30default_config_static_selectorELNS0_4arch9wavefront6targetE0EEEvSY_.has_indirect_call, 0
	.section	.AMDGPU.csdata,"",@progbits
; Kernel info:
; codeLenInByte = 0
; TotalNumSgprs: 0
; NumVgprs: 0
; ScratchSize: 0
; MemoryBound: 0
; FloatMode: 240
; IeeeMode: 1
; LDSByteSize: 0 bytes/workgroup (compile time only)
; SGPRBlocks: 0
; VGPRBlocks: 0
; NumSGPRsForWavesPerEU: 1
; NumVGPRsForWavesPerEU: 1
; Occupancy: 16
; WaveLimiterHint : 0
; COMPUTE_PGM_RSRC2:SCRATCH_EN: 0
; COMPUTE_PGM_RSRC2:USER_SGPR: 2
; COMPUTE_PGM_RSRC2:TRAP_HANDLER: 0
; COMPUTE_PGM_RSRC2:TGID_X_EN: 1
; COMPUTE_PGM_RSRC2:TGID_Y_EN: 0
; COMPUTE_PGM_RSRC2:TGID_Z_EN: 0
; COMPUTE_PGM_RSRC2:TIDIG_COMP_CNT: 0
	.section	.text._ZN7rocprim17ROCPRIM_400000_NS6detail17trampoline_kernelINS0_13select_configILj256ELj13ELNS0_17block_load_methodE3ELS4_3ELS4_3ELNS0_20block_scan_algorithmE0ELj4294967295EEENS1_25partition_config_selectorILNS1_17partition_subalgoE3EjNS0_10empty_typeEbEEZZNS1_14partition_implILS8_3ELb0ES6_jNS0_17counting_iteratorIjlEEPS9_SE_NS0_5tupleIJPjSE_EEENSF_IJSE_SE_EEES9_SG_JZNS1_25segmented_radix_sort_implINS0_14default_configELb1EPKsPsPKlPlN2at6native12_GLOBAL__N_18offset_tEEE10hipError_tPvRmT1_PNSt15iterator_traitsISY_E10value_typeET2_T3_PNSZ_IS14_E10value_typeET4_jRbjT5_S1A_jjP12ihipStream_tbEUljE_EEESV_SW_SX_S14_S18_S1A_T6_T7_T9_mT8_S1C_bDpT10_ENKUlT_T0_E_clISt17integral_constantIbLb1EES1O_IbLb0EEEEDaS1K_S1L_EUlS1K_E_NS1_11comp_targetILNS1_3genE4ELNS1_11target_archE910ELNS1_3gpuE8ELNS1_3repE0EEENS1_30default_config_static_selectorELNS0_4arch9wavefront6targetE0EEEvSY_,"axG",@progbits,_ZN7rocprim17ROCPRIM_400000_NS6detail17trampoline_kernelINS0_13select_configILj256ELj13ELNS0_17block_load_methodE3ELS4_3ELS4_3ELNS0_20block_scan_algorithmE0ELj4294967295EEENS1_25partition_config_selectorILNS1_17partition_subalgoE3EjNS0_10empty_typeEbEEZZNS1_14partition_implILS8_3ELb0ES6_jNS0_17counting_iteratorIjlEEPS9_SE_NS0_5tupleIJPjSE_EEENSF_IJSE_SE_EEES9_SG_JZNS1_25segmented_radix_sort_implINS0_14default_configELb1EPKsPsPKlPlN2at6native12_GLOBAL__N_18offset_tEEE10hipError_tPvRmT1_PNSt15iterator_traitsISY_E10value_typeET2_T3_PNSZ_IS14_E10value_typeET4_jRbjT5_S1A_jjP12ihipStream_tbEUljE_EEESV_SW_SX_S14_S18_S1A_T6_T7_T9_mT8_S1C_bDpT10_ENKUlT_T0_E_clISt17integral_constantIbLb1EES1O_IbLb0EEEEDaS1K_S1L_EUlS1K_E_NS1_11comp_targetILNS1_3genE4ELNS1_11target_archE910ELNS1_3gpuE8ELNS1_3repE0EEENS1_30default_config_static_selectorELNS0_4arch9wavefront6targetE0EEEvSY_,comdat
	.globl	_ZN7rocprim17ROCPRIM_400000_NS6detail17trampoline_kernelINS0_13select_configILj256ELj13ELNS0_17block_load_methodE3ELS4_3ELS4_3ELNS0_20block_scan_algorithmE0ELj4294967295EEENS1_25partition_config_selectorILNS1_17partition_subalgoE3EjNS0_10empty_typeEbEEZZNS1_14partition_implILS8_3ELb0ES6_jNS0_17counting_iteratorIjlEEPS9_SE_NS0_5tupleIJPjSE_EEENSF_IJSE_SE_EEES9_SG_JZNS1_25segmented_radix_sort_implINS0_14default_configELb1EPKsPsPKlPlN2at6native12_GLOBAL__N_18offset_tEEE10hipError_tPvRmT1_PNSt15iterator_traitsISY_E10value_typeET2_T3_PNSZ_IS14_E10value_typeET4_jRbjT5_S1A_jjP12ihipStream_tbEUljE_EEESV_SW_SX_S14_S18_S1A_T6_T7_T9_mT8_S1C_bDpT10_ENKUlT_T0_E_clISt17integral_constantIbLb1EES1O_IbLb0EEEEDaS1K_S1L_EUlS1K_E_NS1_11comp_targetILNS1_3genE4ELNS1_11target_archE910ELNS1_3gpuE8ELNS1_3repE0EEENS1_30default_config_static_selectorELNS0_4arch9wavefront6targetE0EEEvSY_ ; -- Begin function _ZN7rocprim17ROCPRIM_400000_NS6detail17trampoline_kernelINS0_13select_configILj256ELj13ELNS0_17block_load_methodE3ELS4_3ELS4_3ELNS0_20block_scan_algorithmE0ELj4294967295EEENS1_25partition_config_selectorILNS1_17partition_subalgoE3EjNS0_10empty_typeEbEEZZNS1_14partition_implILS8_3ELb0ES6_jNS0_17counting_iteratorIjlEEPS9_SE_NS0_5tupleIJPjSE_EEENSF_IJSE_SE_EEES9_SG_JZNS1_25segmented_radix_sort_implINS0_14default_configELb1EPKsPsPKlPlN2at6native12_GLOBAL__N_18offset_tEEE10hipError_tPvRmT1_PNSt15iterator_traitsISY_E10value_typeET2_T3_PNSZ_IS14_E10value_typeET4_jRbjT5_S1A_jjP12ihipStream_tbEUljE_EEESV_SW_SX_S14_S18_S1A_T6_T7_T9_mT8_S1C_bDpT10_ENKUlT_T0_E_clISt17integral_constantIbLb1EES1O_IbLb0EEEEDaS1K_S1L_EUlS1K_E_NS1_11comp_targetILNS1_3genE4ELNS1_11target_archE910ELNS1_3gpuE8ELNS1_3repE0EEENS1_30default_config_static_selectorELNS0_4arch9wavefront6targetE0EEEvSY_
	.p2align	8
	.type	_ZN7rocprim17ROCPRIM_400000_NS6detail17trampoline_kernelINS0_13select_configILj256ELj13ELNS0_17block_load_methodE3ELS4_3ELS4_3ELNS0_20block_scan_algorithmE0ELj4294967295EEENS1_25partition_config_selectorILNS1_17partition_subalgoE3EjNS0_10empty_typeEbEEZZNS1_14partition_implILS8_3ELb0ES6_jNS0_17counting_iteratorIjlEEPS9_SE_NS0_5tupleIJPjSE_EEENSF_IJSE_SE_EEES9_SG_JZNS1_25segmented_radix_sort_implINS0_14default_configELb1EPKsPsPKlPlN2at6native12_GLOBAL__N_18offset_tEEE10hipError_tPvRmT1_PNSt15iterator_traitsISY_E10value_typeET2_T3_PNSZ_IS14_E10value_typeET4_jRbjT5_S1A_jjP12ihipStream_tbEUljE_EEESV_SW_SX_S14_S18_S1A_T6_T7_T9_mT8_S1C_bDpT10_ENKUlT_T0_E_clISt17integral_constantIbLb1EES1O_IbLb0EEEEDaS1K_S1L_EUlS1K_E_NS1_11comp_targetILNS1_3genE4ELNS1_11target_archE910ELNS1_3gpuE8ELNS1_3repE0EEENS1_30default_config_static_selectorELNS0_4arch9wavefront6targetE0EEEvSY_,@function
_ZN7rocprim17ROCPRIM_400000_NS6detail17trampoline_kernelINS0_13select_configILj256ELj13ELNS0_17block_load_methodE3ELS4_3ELS4_3ELNS0_20block_scan_algorithmE0ELj4294967295EEENS1_25partition_config_selectorILNS1_17partition_subalgoE3EjNS0_10empty_typeEbEEZZNS1_14partition_implILS8_3ELb0ES6_jNS0_17counting_iteratorIjlEEPS9_SE_NS0_5tupleIJPjSE_EEENSF_IJSE_SE_EEES9_SG_JZNS1_25segmented_radix_sort_implINS0_14default_configELb1EPKsPsPKlPlN2at6native12_GLOBAL__N_18offset_tEEE10hipError_tPvRmT1_PNSt15iterator_traitsISY_E10value_typeET2_T3_PNSZ_IS14_E10value_typeET4_jRbjT5_S1A_jjP12ihipStream_tbEUljE_EEESV_SW_SX_S14_S18_S1A_T6_T7_T9_mT8_S1C_bDpT10_ENKUlT_T0_E_clISt17integral_constantIbLb1EES1O_IbLb0EEEEDaS1K_S1L_EUlS1K_E_NS1_11comp_targetILNS1_3genE4ELNS1_11target_archE910ELNS1_3gpuE8ELNS1_3repE0EEENS1_30default_config_static_selectorELNS0_4arch9wavefront6targetE0EEEvSY_: ; @_ZN7rocprim17ROCPRIM_400000_NS6detail17trampoline_kernelINS0_13select_configILj256ELj13ELNS0_17block_load_methodE3ELS4_3ELS4_3ELNS0_20block_scan_algorithmE0ELj4294967295EEENS1_25partition_config_selectorILNS1_17partition_subalgoE3EjNS0_10empty_typeEbEEZZNS1_14partition_implILS8_3ELb0ES6_jNS0_17counting_iteratorIjlEEPS9_SE_NS0_5tupleIJPjSE_EEENSF_IJSE_SE_EEES9_SG_JZNS1_25segmented_radix_sort_implINS0_14default_configELb1EPKsPsPKlPlN2at6native12_GLOBAL__N_18offset_tEEE10hipError_tPvRmT1_PNSt15iterator_traitsISY_E10value_typeET2_T3_PNSZ_IS14_E10value_typeET4_jRbjT5_S1A_jjP12ihipStream_tbEUljE_EEESV_SW_SX_S14_S18_S1A_T6_T7_T9_mT8_S1C_bDpT10_ENKUlT_T0_E_clISt17integral_constantIbLb1EES1O_IbLb0EEEEDaS1K_S1L_EUlS1K_E_NS1_11comp_targetILNS1_3genE4ELNS1_11target_archE910ELNS1_3gpuE8ELNS1_3repE0EEENS1_30default_config_static_selectorELNS0_4arch9wavefront6targetE0EEEvSY_
; %bb.0:
	.section	.rodata,"a",@progbits
	.p2align	6, 0x0
	.amdhsa_kernel _ZN7rocprim17ROCPRIM_400000_NS6detail17trampoline_kernelINS0_13select_configILj256ELj13ELNS0_17block_load_methodE3ELS4_3ELS4_3ELNS0_20block_scan_algorithmE0ELj4294967295EEENS1_25partition_config_selectorILNS1_17partition_subalgoE3EjNS0_10empty_typeEbEEZZNS1_14partition_implILS8_3ELb0ES6_jNS0_17counting_iteratorIjlEEPS9_SE_NS0_5tupleIJPjSE_EEENSF_IJSE_SE_EEES9_SG_JZNS1_25segmented_radix_sort_implINS0_14default_configELb1EPKsPsPKlPlN2at6native12_GLOBAL__N_18offset_tEEE10hipError_tPvRmT1_PNSt15iterator_traitsISY_E10value_typeET2_T3_PNSZ_IS14_E10value_typeET4_jRbjT5_S1A_jjP12ihipStream_tbEUljE_EEESV_SW_SX_S14_S18_S1A_T6_T7_T9_mT8_S1C_bDpT10_ENKUlT_T0_E_clISt17integral_constantIbLb1EES1O_IbLb0EEEEDaS1K_S1L_EUlS1K_E_NS1_11comp_targetILNS1_3genE4ELNS1_11target_archE910ELNS1_3gpuE8ELNS1_3repE0EEENS1_30default_config_static_selectorELNS0_4arch9wavefront6targetE0EEEvSY_
		.amdhsa_group_segment_fixed_size 0
		.amdhsa_private_segment_fixed_size 0
		.amdhsa_kernarg_size 144
		.amdhsa_user_sgpr_count 2
		.amdhsa_user_sgpr_dispatch_ptr 0
		.amdhsa_user_sgpr_queue_ptr 0
		.amdhsa_user_sgpr_kernarg_segment_ptr 1
		.amdhsa_user_sgpr_dispatch_id 0
		.amdhsa_user_sgpr_private_segment_size 0
		.amdhsa_wavefront_size32 1
		.amdhsa_uses_dynamic_stack 0
		.amdhsa_enable_private_segment 0
		.amdhsa_system_sgpr_workgroup_id_x 1
		.amdhsa_system_sgpr_workgroup_id_y 0
		.amdhsa_system_sgpr_workgroup_id_z 0
		.amdhsa_system_sgpr_workgroup_info 0
		.amdhsa_system_vgpr_workitem_id 0
		.amdhsa_next_free_vgpr 1
		.amdhsa_next_free_sgpr 1
		.amdhsa_reserve_vcc 0
		.amdhsa_float_round_mode_32 0
		.amdhsa_float_round_mode_16_64 0
		.amdhsa_float_denorm_mode_32 3
		.amdhsa_float_denorm_mode_16_64 3
		.amdhsa_fp16_overflow 0
		.amdhsa_workgroup_processor_mode 1
		.amdhsa_memory_ordered 1
		.amdhsa_forward_progress 1
		.amdhsa_inst_pref_size 0
		.amdhsa_round_robin_scheduling 0
		.amdhsa_exception_fp_ieee_invalid_op 0
		.amdhsa_exception_fp_denorm_src 0
		.amdhsa_exception_fp_ieee_div_zero 0
		.amdhsa_exception_fp_ieee_overflow 0
		.amdhsa_exception_fp_ieee_underflow 0
		.amdhsa_exception_fp_ieee_inexact 0
		.amdhsa_exception_int_div_zero 0
	.end_amdhsa_kernel
	.section	.text._ZN7rocprim17ROCPRIM_400000_NS6detail17trampoline_kernelINS0_13select_configILj256ELj13ELNS0_17block_load_methodE3ELS4_3ELS4_3ELNS0_20block_scan_algorithmE0ELj4294967295EEENS1_25partition_config_selectorILNS1_17partition_subalgoE3EjNS0_10empty_typeEbEEZZNS1_14partition_implILS8_3ELb0ES6_jNS0_17counting_iteratorIjlEEPS9_SE_NS0_5tupleIJPjSE_EEENSF_IJSE_SE_EEES9_SG_JZNS1_25segmented_radix_sort_implINS0_14default_configELb1EPKsPsPKlPlN2at6native12_GLOBAL__N_18offset_tEEE10hipError_tPvRmT1_PNSt15iterator_traitsISY_E10value_typeET2_T3_PNSZ_IS14_E10value_typeET4_jRbjT5_S1A_jjP12ihipStream_tbEUljE_EEESV_SW_SX_S14_S18_S1A_T6_T7_T9_mT8_S1C_bDpT10_ENKUlT_T0_E_clISt17integral_constantIbLb1EES1O_IbLb0EEEEDaS1K_S1L_EUlS1K_E_NS1_11comp_targetILNS1_3genE4ELNS1_11target_archE910ELNS1_3gpuE8ELNS1_3repE0EEENS1_30default_config_static_selectorELNS0_4arch9wavefront6targetE0EEEvSY_,"axG",@progbits,_ZN7rocprim17ROCPRIM_400000_NS6detail17trampoline_kernelINS0_13select_configILj256ELj13ELNS0_17block_load_methodE3ELS4_3ELS4_3ELNS0_20block_scan_algorithmE0ELj4294967295EEENS1_25partition_config_selectorILNS1_17partition_subalgoE3EjNS0_10empty_typeEbEEZZNS1_14partition_implILS8_3ELb0ES6_jNS0_17counting_iteratorIjlEEPS9_SE_NS0_5tupleIJPjSE_EEENSF_IJSE_SE_EEES9_SG_JZNS1_25segmented_radix_sort_implINS0_14default_configELb1EPKsPsPKlPlN2at6native12_GLOBAL__N_18offset_tEEE10hipError_tPvRmT1_PNSt15iterator_traitsISY_E10value_typeET2_T3_PNSZ_IS14_E10value_typeET4_jRbjT5_S1A_jjP12ihipStream_tbEUljE_EEESV_SW_SX_S14_S18_S1A_T6_T7_T9_mT8_S1C_bDpT10_ENKUlT_T0_E_clISt17integral_constantIbLb1EES1O_IbLb0EEEEDaS1K_S1L_EUlS1K_E_NS1_11comp_targetILNS1_3genE4ELNS1_11target_archE910ELNS1_3gpuE8ELNS1_3repE0EEENS1_30default_config_static_selectorELNS0_4arch9wavefront6targetE0EEEvSY_,comdat
.Lfunc_end897:
	.size	_ZN7rocprim17ROCPRIM_400000_NS6detail17trampoline_kernelINS0_13select_configILj256ELj13ELNS0_17block_load_methodE3ELS4_3ELS4_3ELNS0_20block_scan_algorithmE0ELj4294967295EEENS1_25partition_config_selectorILNS1_17partition_subalgoE3EjNS0_10empty_typeEbEEZZNS1_14partition_implILS8_3ELb0ES6_jNS0_17counting_iteratorIjlEEPS9_SE_NS0_5tupleIJPjSE_EEENSF_IJSE_SE_EEES9_SG_JZNS1_25segmented_radix_sort_implINS0_14default_configELb1EPKsPsPKlPlN2at6native12_GLOBAL__N_18offset_tEEE10hipError_tPvRmT1_PNSt15iterator_traitsISY_E10value_typeET2_T3_PNSZ_IS14_E10value_typeET4_jRbjT5_S1A_jjP12ihipStream_tbEUljE_EEESV_SW_SX_S14_S18_S1A_T6_T7_T9_mT8_S1C_bDpT10_ENKUlT_T0_E_clISt17integral_constantIbLb1EES1O_IbLb0EEEEDaS1K_S1L_EUlS1K_E_NS1_11comp_targetILNS1_3genE4ELNS1_11target_archE910ELNS1_3gpuE8ELNS1_3repE0EEENS1_30default_config_static_selectorELNS0_4arch9wavefront6targetE0EEEvSY_, .Lfunc_end897-_ZN7rocprim17ROCPRIM_400000_NS6detail17trampoline_kernelINS0_13select_configILj256ELj13ELNS0_17block_load_methodE3ELS4_3ELS4_3ELNS0_20block_scan_algorithmE0ELj4294967295EEENS1_25partition_config_selectorILNS1_17partition_subalgoE3EjNS0_10empty_typeEbEEZZNS1_14partition_implILS8_3ELb0ES6_jNS0_17counting_iteratorIjlEEPS9_SE_NS0_5tupleIJPjSE_EEENSF_IJSE_SE_EEES9_SG_JZNS1_25segmented_radix_sort_implINS0_14default_configELb1EPKsPsPKlPlN2at6native12_GLOBAL__N_18offset_tEEE10hipError_tPvRmT1_PNSt15iterator_traitsISY_E10value_typeET2_T3_PNSZ_IS14_E10value_typeET4_jRbjT5_S1A_jjP12ihipStream_tbEUljE_EEESV_SW_SX_S14_S18_S1A_T6_T7_T9_mT8_S1C_bDpT10_ENKUlT_T0_E_clISt17integral_constantIbLb1EES1O_IbLb0EEEEDaS1K_S1L_EUlS1K_E_NS1_11comp_targetILNS1_3genE4ELNS1_11target_archE910ELNS1_3gpuE8ELNS1_3repE0EEENS1_30default_config_static_selectorELNS0_4arch9wavefront6targetE0EEEvSY_
                                        ; -- End function
	.set _ZN7rocprim17ROCPRIM_400000_NS6detail17trampoline_kernelINS0_13select_configILj256ELj13ELNS0_17block_load_methodE3ELS4_3ELS4_3ELNS0_20block_scan_algorithmE0ELj4294967295EEENS1_25partition_config_selectorILNS1_17partition_subalgoE3EjNS0_10empty_typeEbEEZZNS1_14partition_implILS8_3ELb0ES6_jNS0_17counting_iteratorIjlEEPS9_SE_NS0_5tupleIJPjSE_EEENSF_IJSE_SE_EEES9_SG_JZNS1_25segmented_radix_sort_implINS0_14default_configELb1EPKsPsPKlPlN2at6native12_GLOBAL__N_18offset_tEEE10hipError_tPvRmT1_PNSt15iterator_traitsISY_E10value_typeET2_T3_PNSZ_IS14_E10value_typeET4_jRbjT5_S1A_jjP12ihipStream_tbEUljE_EEESV_SW_SX_S14_S18_S1A_T6_T7_T9_mT8_S1C_bDpT10_ENKUlT_T0_E_clISt17integral_constantIbLb1EES1O_IbLb0EEEEDaS1K_S1L_EUlS1K_E_NS1_11comp_targetILNS1_3genE4ELNS1_11target_archE910ELNS1_3gpuE8ELNS1_3repE0EEENS1_30default_config_static_selectorELNS0_4arch9wavefront6targetE0EEEvSY_.num_vgpr, 0
	.set _ZN7rocprim17ROCPRIM_400000_NS6detail17trampoline_kernelINS0_13select_configILj256ELj13ELNS0_17block_load_methodE3ELS4_3ELS4_3ELNS0_20block_scan_algorithmE0ELj4294967295EEENS1_25partition_config_selectorILNS1_17partition_subalgoE3EjNS0_10empty_typeEbEEZZNS1_14partition_implILS8_3ELb0ES6_jNS0_17counting_iteratorIjlEEPS9_SE_NS0_5tupleIJPjSE_EEENSF_IJSE_SE_EEES9_SG_JZNS1_25segmented_radix_sort_implINS0_14default_configELb1EPKsPsPKlPlN2at6native12_GLOBAL__N_18offset_tEEE10hipError_tPvRmT1_PNSt15iterator_traitsISY_E10value_typeET2_T3_PNSZ_IS14_E10value_typeET4_jRbjT5_S1A_jjP12ihipStream_tbEUljE_EEESV_SW_SX_S14_S18_S1A_T6_T7_T9_mT8_S1C_bDpT10_ENKUlT_T0_E_clISt17integral_constantIbLb1EES1O_IbLb0EEEEDaS1K_S1L_EUlS1K_E_NS1_11comp_targetILNS1_3genE4ELNS1_11target_archE910ELNS1_3gpuE8ELNS1_3repE0EEENS1_30default_config_static_selectorELNS0_4arch9wavefront6targetE0EEEvSY_.num_agpr, 0
	.set _ZN7rocprim17ROCPRIM_400000_NS6detail17trampoline_kernelINS0_13select_configILj256ELj13ELNS0_17block_load_methodE3ELS4_3ELS4_3ELNS0_20block_scan_algorithmE0ELj4294967295EEENS1_25partition_config_selectorILNS1_17partition_subalgoE3EjNS0_10empty_typeEbEEZZNS1_14partition_implILS8_3ELb0ES6_jNS0_17counting_iteratorIjlEEPS9_SE_NS0_5tupleIJPjSE_EEENSF_IJSE_SE_EEES9_SG_JZNS1_25segmented_radix_sort_implINS0_14default_configELb1EPKsPsPKlPlN2at6native12_GLOBAL__N_18offset_tEEE10hipError_tPvRmT1_PNSt15iterator_traitsISY_E10value_typeET2_T3_PNSZ_IS14_E10value_typeET4_jRbjT5_S1A_jjP12ihipStream_tbEUljE_EEESV_SW_SX_S14_S18_S1A_T6_T7_T9_mT8_S1C_bDpT10_ENKUlT_T0_E_clISt17integral_constantIbLb1EES1O_IbLb0EEEEDaS1K_S1L_EUlS1K_E_NS1_11comp_targetILNS1_3genE4ELNS1_11target_archE910ELNS1_3gpuE8ELNS1_3repE0EEENS1_30default_config_static_selectorELNS0_4arch9wavefront6targetE0EEEvSY_.numbered_sgpr, 0
	.set _ZN7rocprim17ROCPRIM_400000_NS6detail17trampoline_kernelINS0_13select_configILj256ELj13ELNS0_17block_load_methodE3ELS4_3ELS4_3ELNS0_20block_scan_algorithmE0ELj4294967295EEENS1_25partition_config_selectorILNS1_17partition_subalgoE3EjNS0_10empty_typeEbEEZZNS1_14partition_implILS8_3ELb0ES6_jNS0_17counting_iteratorIjlEEPS9_SE_NS0_5tupleIJPjSE_EEENSF_IJSE_SE_EEES9_SG_JZNS1_25segmented_radix_sort_implINS0_14default_configELb1EPKsPsPKlPlN2at6native12_GLOBAL__N_18offset_tEEE10hipError_tPvRmT1_PNSt15iterator_traitsISY_E10value_typeET2_T3_PNSZ_IS14_E10value_typeET4_jRbjT5_S1A_jjP12ihipStream_tbEUljE_EEESV_SW_SX_S14_S18_S1A_T6_T7_T9_mT8_S1C_bDpT10_ENKUlT_T0_E_clISt17integral_constantIbLb1EES1O_IbLb0EEEEDaS1K_S1L_EUlS1K_E_NS1_11comp_targetILNS1_3genE4ELNS1_11target_archE910ELNS1_3gpuE8ELNS1_3repE0EEENS1_30default_config_static_selectorELNS0_4arch9wavefront6targetE0EEEvSY_.num_named_barrier, 0
	.set _ZN7rocprim17ROCPRIM_400000_NS6detail17trampoline_kernelINS0_13select_configILj256ELj13ELNS0_17block_load_methodE3ELS4_3ELS4_3ELNS0_20block_scan_algorithmE0ELj4294967295EEENS1_25partition_config_selectorILNS1_17partition_subalgoE3EjNS0_10empty_typeEbEEZZNS1_14partition_implILS8_3ELb0ES6_jNS0_17counting_iteratorIjlEEPS9_SE_NS0_5tupleIJPjSE_EEENSF_IJSE_SE_EEES9_SG_JZNS1_25segmented_radix_sort_implINS0_14default_configELb1EPKsPsPKlPlN2at6native12_GLOBAL__N_18offset_tEEE10hipError_tPvRmT1_PNSt15iterator_traitsISY_E10value_typeET2_T3_PNSZ_IS14_E10value_typeET4_jRbjT5_S1A_jjP12ihipStream_tbEUljE_EEESV_SW_SX_S14_S18_S1A_T6_T7_T9_mT8_S1C_bDpT10_ENKUlT_T0_E_clISt17integral_constantIbLb1EES1O_IbLb0EEEEDaS1K_S1L_EUlS1K_E_NS1_11comp_targetILNS1_3genE4ELNS1_11target_archE910ELNS1_3gpuE8ELNS1_3repE0EEENS1_30default_config_static_selectorELNS0_4arch9wavefront6targetE0EEEvSY_.private_seg_size, 0
	.set _ZN7rocprim17ROCPRIM_400000_NS6detail17trampoline_kernelINS0_13select_configILj256ELj13ELNS0_17block_load_methodE3ELS4_3ELS4_3ELNS0_20block_scan_algorithmE0ELj4294967295EEENS1_25partition_config_selectorILNS1_17partition_subalgoE3EjNS0_10empty_typeEbEEZZNS1_14partition_implILS8_3ELb0ES6_jNS0_17counting_iteratorIjlEEPS9_SE_NS0_5tupleIJPjSE_EEENSF_IJSE_SE_EEES9_SG_JZNS1_25segmented_radix_sort_implINS0_14default_configELb1EPKsPsPKlPlN2at6native12_GLOBAL__N_18offset_tEEE10hipError_tPvRmT1_PNSt15iterator_traitsISY_E10value_typeET2_T3_PNSZ_IS14_E10value_typeET4_jRbjT5_S1A_jjP12ihipStream_tbEUljE_EEESV_SW_SX_S14_S18_S1A_T6_T7_T9_mT8_S1C_bDpT10_ENKUlT_T0_E_clISt17integral_constantIbLb1EES1O_IbLb0EEEEDaS1K_S1L_EUlS1K_E_NS1_11comp_targetILNS1_3genE4ELNS1_11target_archE910ELNS1_3gpuE8ELNS1_3repE0EEENS1_30default_config_static_selectorELNS0_4arch9wavefront6targetE0EEEvSY_.uses_vcc, 0
	.set _ZN7rocprim17ROCPRIM_400000_NS6detail17trampoline_kernelINS0_13select_configILj256ELj13ELNS0_17block_load_methodE3ELS4_3ELS4_3ELNS0_20block_scan_algorithmE0ELj4294967295EEENS1_25partition_config_selectorILNS1_17partition_subalgoE3EjNS0_10empty_typeEbEEZZNS1_14partition_implILS8_3ELb0ES6_jNS0_17counting_iteratorIjlEEPS9_SE_NS0_5tupleIJPjSE_EEENSF_IJSE_SE_EEES9_SG_JZNS1_25segmented_radix_sort_implINS0_14default_configELb1EPKsPsPKlPlN2at6native12_GLOBAL__N_18offset_tEEE10hipError_tPvRmT1_PNSt15iterator_traitsISY_E10value_typeET2_T3_PNSZ_IS14_E10value_typeET4_jRbjT5_S1A_jjP12ihipStream_tbEUljE_EEESV_SW_SX_S14_S18_S1A_T6_T7_T9_mT8_S1C_bDpT10_ENKUlT_T0_E_clISt17integral_constantIbLb1EES1O_IbLb0EEEEDaS1K_S1L_EUlS1K_E_NS1_11comp_targetILNS1_3genE4ELNS1_11target_archE910ELNS1_3gpuE8ELNS1_3repE0EEENS1_30default_config_static_selectorELNS0_4arch9wavefront6targetE0EEEvSY_.uses_flat_scratch, 0
	.set _ZN7rocprim17ROCPRIM_400000_NS6detail17trampoline_kernelINS0_13select_configILj256ELj13ELNS0_17block_load_methodE3ELS4_3ELS4_3ELNS0_20block_scan_algorithmE0ELj4294967295EEENS1_25partition_config_selectorILNS1_17partition_subalgoE3EjNS0_10empty_typeEbEEZZNS1_14partition_implILS8_3ELb0ES6_jNS0_17counting_iteratorIjlEEPS9_SE_NS0_5tupleIJPjSE_EEENSF_IJSE_SE_EEES9_SG_JZNS1_25segmented_radix_sort_implINS0_14default_configELb1EPKsPsPKlPlN2at6native12_GLOBAL__N_18offset_tEEE10hipError_tPvRmT1_PNSt15iterator_traitsISY_E10value_typeET2_T3_PNSZ_IS14_E10value_typeET4_jRbjT5_S1A_jjP12ihipStream_tbEUljE_EEESV_SW_SX_S14_S18_S1A_T6_T7_T9_mT8_S1C_bDpT10_ENKUlT_T0_E_clISt17integral_constantIbLb1EES1O_IbLb0EEEEDaS1K_S1L_EUlS1K_E_NS1_11comp_targetILNS1_3genE4ELNS1_11target_archE910ELNS1_3gpuE8ELNS1_3repE0EEENS1_30default_config_static_selectorELNS0_4arch9wavefront6targetE0EEEvSY_.has_dyn_sized_stack, 0
	.set _ZN7rocprim17ROCPRIM_400000_NS6detail17trampoline_kernelINS0_13select_configILj256ELj13ELNS0_17block_load_methodE3ELS4_3ELS4_3ELNS0_20block_scan_algorithmE0ELj4294967295EEENS1_25partition_config_selectorILNS1_17partition_subalgoE3EjNS0_10empty_typeEbEEZZNS1_14partition_implILS8_3ELb0ES6_jNS0_17counting_iteratorIjlEEPS9_SE_NS0_5tupleIJPjSE_EEENSF_IJSE_SE_EEES9_SG_JZNS1_25segmented_radix_sort_implINS0_14default_configELb1EPKsPsPKlPlN2at6native12_GLOBAL__N_18offset_tEEE10hipError_tPvRmT1_PNSt15iterator_traitsISY_E10value_typeET2_T3_PNSZ_IS14_E10value_typeET4_jRbjT5_S1A_jjP12ihipStream_tbEUljE_EEESV_SW_SX_S14_S18_S1A_T6_T7_T9_mT8_S1C_bDpT10_ENKUlT_T0_E_clISt17integral_constantIbLb1EES1O_IbLb0EEEEDaS1K_S1L_EUlS1K_E_NS1_11comp_targetILNS1_3genE4ELNS1_11target_archE910ELNS1_3gpuE8ELNS1_3repE0EEENS1_30default_config_static_selectorELNS0_4arch9wavefront6targetE0EEEvSY_.has_recursion, 0
	.set _ZN7rocprim17ROCPRIM_400000_NS6detail17trampoline_kernelINS0_13select_configILj256ELj13ELNS0_17block_load_methodE3ELS4_3ELS4_3ELNS0_20block_scan_algorithmE0ELj4294967295EEENS1_25partition_config_selectorILNS1_17partition_subalgoE3EjNS0_10empty_typeEbEEZZNS1_14partition_implILS8_3ELb0ES6_jNS0_17counting_iteratorIjlEEPS9_SE_NS0_5tupleIJPjSE_EEENSF_IJSE_SE_EEES9_SG_JZNS1_25segmented_radix_sort_implINS0_14default_configELb1EPKsPsPKlPlN2at6native12_GLOBAL__N_18offset_tEEE10hipError_tPvRmT1_PNSt15iterator_traitsISY_E10value_typeET2_T3_PNSZ_IS14_E10value_typeET4_jRbjT5_S1A_jjP12ihipStream_tbEUljE_EEESV_SW_SX_S14_S18_S1A_T6_T7_T9_mT8_S1C_bDpT10_ENKUlT_T0_E_clISt17integral_constantIbLb1EES1O_IbLb0EEEEDaS1K_S1L_EUlS1K_E_NS1_11comp_targetILNS1_3genE4ELNS1_11target_archE910ELNS1_3gpuE8ELNS1_3repE0EEENS1_30default_config_static_selectorELNS0_4arch9wavefront6targetE0EEEvSY_.has_indirect_call, 0
	.section	.AMDGPU.csdata,"",@progbits
; Kernel info:
; codeLenInByte = 0
; TotalNumSgprs: 0
; NumVgprs: 0
; ScratchSize: 0
; MemoryBound: 0
; FloatMode: 240
; IeeeMode: 1
; LDSByteSize: 0 bytes/workgroup (compile time only)
; SGPRBlocks: 0
; VGPRBlocks: 0
; NumSGPRsForWavesPerEU: 1
; NumVGPRsForWavesPerEU: 1
; Occupancy: 16
; WaveLimiterHint : 0
; COMPUTE_PGM_RSRC2:SCRATCH_EN: 0
; COMPUTE_PGM_RSRC2:USER_SGPR: 2
; COMPUTE_PGM_RSRC2:TRAP_HANDLER: 0
; COMPUTE_PGM_RSRC2:TGID_X_EN: 1
; COMPUTE_PGM_RSRC2:TGID_Y_EN: 0
; COMPUTE_PGM_RSRC2:TGID_Z_EN: 0
; COMPUTE_PGM_RSRC2:TIDIG_COMP_CNT: 0
	.section	.text._ZN7rocprim17ROCPRIM_400000_NS6detail17trampoline_kernelINS0_13select_configILj256ELj13ELNS0_17block_load_methodE3ELS4_3ELS4_3ELNS0_20block_scan_algorithmE0ELj4294967295EEENS1_25partition_config_selectorILNS1_17partition_subalgoE3EjNS0_10empty_typeEbEEZZNS1_14partition_implILS8_3ELb0ES6_jNS0_17counting_iteratorIjlEEPS9_SE_NS0_5tupleIJPjSE_EEENSF_IJSE_SE_EEES9_SG_JZNS1_25segmented_radix_sort_implINS0_14default_configELb1EPKsPsPKlPlN2at6native12_GLOBAL__N_18offset_tEEE10hipError_tPvRmT1_PNSt15iterator_traitsISY_E10value_typeET2_T3_PNSZ_IS14_E10value_typeET4_jRbjT5_S1A_jjP12ihipStream_tbEUljE_EEESV_SW_SX_S14_S18_S1A_T6_T7_T9_mT8_S1C_bDpT10_ENKUlT_T0_E_clISt17integral_constantIbLb1EES1O_IbLb0EEEEDaS1K_S1L_EUlS1K_E_NS1_11comp_targetILNS1_3genE3ELNS1_11target_archE908ELNS1_3gpuE7ELNS1_3repE0EEENS1_30default_config_static_selectorELNS0_4arch9wavefront6targetE0EEEvSY_,"axG",@progbits,_ZN7rocprim17ROCPRIM_400000_NS6detail17trampoline_kernelINS0_13select_configILj256ELj13ELNS0_17block_load_methodE3ELS4_3ELS4_3ELNS0_20block_scan_algorithmE0ELj4294967295EEENS1_25partition_config_selectorILNS1_17partition_subalgoE3EjNS0_10empty_typeEbEEZZNS1_14partition_implILS8_3ELb0ES6_jNS0_17counting_iteratorIjlEEPS9_SE_NS0_5tupleIJPjSE_EEENSF_IJSE_SE_EEES9_SG_JZNS1_25segmented_radix_sort_implINS0_14default_configELb1EPKsPsPKlPlN2at6native12_GLOBAL__N_18offset_tEEE10hipError_tPvRmT1_PNSt15iterator_traitsISY_E10value_typeET2_T3_PNSZ_IS14_E10value_typeET4_jRbjT5_S1A_jjP12ihipStream_tbEUljE_EEESV_SW_SX_S14_S18_S1A_T6_T7_T9_mT8_S1C_bDpT10_ENKUlT_T0_E_clISt17integral_constantIbLb1EES1O_IbLb0EEEEDaS1K_S1L_EUlS1K_E_NS1_11comp_targetILNS1_3genE3ELNS1_11target_archE908ELNS1_3gpuE7ELNS1_3repE0EEENS1_30default_config_static_selectorELNS0_4arch9wavefront6targetE0EEEvSY_,comdat
	.globl	_ZN7rocprim17ROCPRIM_400000_NS6detail17trampoline_kernelINS0_13select_configILj256ELj13ELNS0_17block_load_methodE3ELS4_3ELS4_3ELNS0_20block_scan_algorithmE0ELj4294967295EEENS1_25partition_config_selectorILNS1_17partition_subalgoE3EjNS0_10empty_typeEbEEZZNS1_14partition_implILS8_3ELb0ES6_jNS0_17counting_iteratorIjlEEPS9_SE_NS0_5tupleIJPjSE_EEENSF_IJSE_SE_EEES9_SG_JZNS1_25segmented_radix_sort_implINS0_14default_configELb1EPKsPsPKlPlN2at6native12_GLOBAL__N_18offset_tEEE10hipError_tPvRmT1_PNSt15iterator_traitsISY_E10value_typeET2_T3_PNSZ_IS14_E10value_typeET4_jRbjT5_S1A_jjP12ihipStream_tbEUljE_EEESV_SW_SX_S14_S18_S1A_T6_T7_T9_mT8_S1C_bDpT10_ENKUlT_T0_E_clISt17integral_constantIbLb1EES1O_IbLb0EEEEDaS1K_S1L_EUlS1K_E_NS1_11comp_targetILNS1_3genE3ELNS1_11target_archE908ELNS1_3gpuE7ELNS1_3repE0EEENS1_30default_config_static_selectorELNS0_4arch9wavefront6targetE0EEEvSY_ ; -- Begin function _ZN7rocprim17ROCPRIM_400000_NS6detail17trampoline_kernelINS0_13select_configILj256ELj13ELNS0_17block_load_methodE3ELS4_3ELS4_3ELNS0_20block_scan_algorithmE0ELj4294967295EEENS1_25partition_config_selectorILNS1_17partition_subalgoE3EjNS0_10empty_typeEbEEZZNS1_14partition_implILS8_3ELb0ES6_jNS0_17counting_iteratorIjlEEPS9_SE_NS0_5tupleIJPjSE_EEENSF_IJSE_SE_EEES9_SG_JZNS1_25segmented_radix_sort_implINS0_14default_configELb1EPKsPsPKlPlN2at6native12_GLOBAL__N_18offset_tEEE10hipError_tPvRmT1_PNSt15iterator_traitsISY_E10value_typeET2_T3_PNSZ_IS14_E10value_typeET4_jRbjT5_S1A_jjP12ihipStream_tbEUljE_EEESV_SW_SX_S14_S18_S1A_T6_T7_T9_mT8_S1C_bDpT10_ENKUlT_T0_E_clISt17integral_constantIbLb1EES1O_IbLb0EEEEDaS1K_S1L_EUlS1K_E_NS1_11comp_targetILNS1_3genE3ELNS1_11target_archE908ELNS1_3gpuE7ELNS1_3repE0EEENS1_30default_config_static_selectorELNS0_4arch9wavefront6targetE0EEEvSY_
	.p2align	8
	.type	_ZN7rocprim17ROCPRIM_400000_NS6detail17trampoline_kernelINS0_13select_configILj256ELj13ELNS0_17block_load_methodE3ELS4_3ELS4_3ELNS0_20block_scan_algorithmE0ELj4294967295EEENS1_25partition_config_selectorILNS1_17partition_subalgoE3EjNS0_10empty_typeEbEEZZNS1_14partition_implILS8_3ELb0ES6_jNS0_17counting_iteratorIjlEEPS9_SE_NS0_5tupleIJPjSE_EEENSF_IJSE_SE_EEES9_SG_JZNS1_25segmented_radix_sort_implINS0_14default_configELb1EPKsPsPKlPlN2at6native12_GLOBAL__N_18offset_tEEE10hipError_tPvRmT1_PNSt15iterator_traitsISY_E10value_typeET2_T3_PNSZ_IS14_E10value_typeET4_jRbjT5_S1A_jjP12ihipStream_tbEUljE_EEESV_SW_SX_S14_S18_S1A_T6_T7_T9_mT8_S1C_bDpT10_ENKUlT_T0_E_clISt17integral_constantIbLb1EES1O_IbLb0EEEEDaS1K_S1L_EUlS1K_E_NS1_11comp_targetILNS1_3genE3ELNS1_11target_archE908ELNS1_3gpuE7ELNS1_3repE0EEENS1_30default_config_static_selectorELNS0_4arch9wavefront6targetE0EEEvSY_,@function
_ZN7rocprim17ROCPRIM_400000_NS6detail17trampoline_kernelINS0_13select_configILj256ELj13ELNS0_17block_load_methodE3ELS4_3ELS4_3ELNS0_20block_scan_algorithmE0ELj4294967295EEENS1_25partition_config_selectorILNS1_17partition_subalgoE3EjNS0_10empty_typeEbEEZZNS1_14partition_implILS8_3ELb0ES6_jNS0_17counting_iteratorIjlEEPS9_SE_NS0_5tupleIJPjSE_EEENSF_IJSE_SE_EEES9_SG_JZNS1_25segmented_radix_sort_implINS0_14default_configELb1EPKsPsPKlPlN2at6native12_GLOBAL__N_18offset_tEEE10hipError_tPvRmT1_PNSt15iterator_traitsISY_E10value_typeET2_T3_PNSZ_IS14_E10value_typeET4_jRbjT5_S1A_jjP12ihipStream_tbEUljE_EEESV_SW_SX_S14_S18_S1A_T6_T7_T9_mT8_S1C_bDpT10_ENKUlT_T0_E_clISt17integral_constantIbLb1EES1O_IbLb0EEEEDaS1K_S1L_EUlS1K_E_NS1_11comp_targetILNS1_3genE3ELNS1_11target_archE908ELNS1_3gpuE7ELNS1_3repE0EEENS1_30default_config_static_selectorELNS0_4arch9wavefront6targetE0EEEvSY_: ; @_ZN7rocprim17ROCPRIM_400000_NS6detail17trampoline_kernelINS0_13select_configILj256ELj13ELNS0_17block_load_methodE3ELS4_3ELS4_3ELNS0_20block_scan_algorithmE0ELj4294967295EEENS1_25partition_config_selectorILNS1_17partition_subalgoE3EjNS0_10empty_typeEbEEZZNS1_14partition_implILS8_3ELb0ES6_jNS0_17counting_iteratorIjlEEPS9_SE_NS0_5tupleIJPjSE_EEENSF_IJSE_SE_EEES9_SG_JZNS1_25segmented_radix_sort_implINS0_14default_configELb1EPKsPsPKlPlN2at6native12_GLOBAL__N_18offset_tEEE10hipError_tPvRmT1_PNSt15iterator_traitsISY_E10value_typeET2_T3_PNSZ_IS14_E10value_typeET4_jRbjT5_S1A_jjP12ihipStream_tbEUljE_EEESV_SW_SX_S14_S18_S1A_T6_T7_T9_mT8_S1C_bDpT10_ENKUlT_T0_E_clISt17integral_constantIbLb1EES1O_IbLb0EEEEDaS1K_S1L_EUlS1K_E_NS1_11comp_targetILNS1_3genE3ELNS1_11target_archE908ELNS1_3gpuE7ELNS1_3repE0EEENS1_30default_config_static_selectorELNS0_4arch9wavefront6targetE0EEEvSY_
; %bb.0:
	.section	.rodata,"a",@progbits
	.p2align	6, 0x0
	.amdhsa_kernel _ZN7rocprim17ROCPRIM_400000_NS6detail17trampoline_kernelINS0_13select_configILj256ELj13ELNS0_17block_load_methodE3ELS4_3ELS4_3ELNS0_20block_scan_algorithmE0ELj4294967295EEENS1_25partition_config_selectorILNS1_17partition_subalgoE3EjNS0_10empty_typeEbEEZZNS1_14partition_implILS8_3ELb0ES6_jNS0_17counting_iteratorIjlEEPS9_SE_NS0_5tupleIJPjSE_EEENSF_IJSE_SE_EEES9_SG_JZNS1_25segmented_radix_sort_implINS0_14default_configELb1EPKsPsPKlPlN2at6native12_GLOBAL__N_18offset_tEEE10hipError_tPvRmT1_PNSt15iterator_traitsISY_E10value_typeET2_T3_PNSZ_IS14_E10value_typeET4_jRbjT5_S1A_jjP12ihipStream_tbEUljE_EEESV_SW_SX_S14_S18_S1A_T6_T7_T9_mT8_S1C_bDpT10_ENKUlT_T0_E_clISt17integral_constantIbLb1EES1O_IbLb0EEEEDaS1K_S1L_EUlS1K_E_NS1_11comp_targetILNS1_3genE3ELNS1_11target_archE908ELNS1_3gpuE7ELNS1_3repE0EEENS1_30default_config_static_selectorELNS0_4arch9wavefront6targetE0EEEvSY_
		.amdhsa_group_segment_fixed_size 0
		.amdhsa_private_segment_fixed_size 0
		.amdhsa_kernarg_size 144
		.amdhsa_user_sgpr_count 2
		.amdhsa_user_sgpr_dispatch_ptr 0
		.amdhsa_user_sgpr_queue_ptr 0
		.amdhsa_user_sgpr_kernarg_segment_ptr 1
		.amdhsa_user_sgpr_dispatch_id 0
		.amdhsa_user_sgpr_private_segment_size 0
		.amdhsa_wavefront_size32 1
		.amdhsa_uses_dynamic_stack 0
		.amdhsa_enable_private_segment 0
		.amdhsa_system_sgpr_workgroup_id_x 1
		.amdhsa_system_sgpr_workgroup_id_y 0
		.amdhsa_system_sgpr_workgroup_id_z 0
		.amdhsa_system_sgpr_workgroup_info 0
		.amdhsa_system_vgpr_workitem_id 0
		.amdhsa_next_free_vgpr 1
		.amdhsa_next_free_sgpr 1
		.amdhsa_reserve_vcc 0
		.amdhsa_float_round_mode_32 0
		.amdhsa_float_round_mode_16_64 0
		.amdhsa_float_denorm_mode_32 3
		.amdhsa_float_denorm_mode_16_64 3
		.amdhsa_fp16_overflow 0
		.amdhsa_workgroup_processor_mode 1
		.amdhsa_memory_ordered 1
		.amdhsa_forward_progress 1
		.amdhsa_inst_pref_size 0
		.amdhsa_round_robin_scheduling 0
		.amdhsa_exception_fp_ieee_invalid_op 0
		.amdhsa_exception_fp_denorm_src 0
		.amdhsa_exception_fp_ieee_div_zero 0
		.amdhsa_exception_fp_ieee_overflow 0
		.amdhsa_exception_fp_ieee_underflow 0
		.amdhsa_exception_fp_ieee_inexact 0
		.amdhsa_exception_int_div_zero 0
	.end_amdhsa_kernel
	.section	.text._ZN7rocprim17ROCPRIM_400000_NS6detail17trampoline_kernelINS0_13select_configILj256ELj13ELNS0_17block_load_methodE3ELS4_3ELS4_3ELNS0_20block_scan_algorithmE0ELj4294967295EEENS1_25partition_config_selectorILNS1_17partition_subalgoE3EjNS0_10empty_typeEbEEZZNS1_14partition_implILS8_3ELb0ES6_jNS0_17counting_iteratorIjlEEPS9_SE_NS0_5tupleIJPjSE_EEENSF_IJSE_SE_EEES9_SG_JZNS1_25segmented_radix_sort_implINS0_14default_configELb1EPKsPsPKlPlN2at6native12_GLOBAL__N_18offset_tEEE10hipError_tPvRmT1_PNSt15iterator_traitsISY_E10value_typeET2_T3_PNSZ_IS14_E10value_typeET4_jRbjT5_S1A_jjP12ihipStream_tbEUljE_EEESV_SW_SX_S14_S18_S1A_T6_T7_T9_mT8_S1C_bDpT10_ENKUlT_T0_E_clISt17integral_constantIbLb1EES1O_IbLb0EEEEDaS1K_S1L_EUlS1K_E_NS1_11comp_targetILNS1_3genE3ELNS1_11target_archE908ELNS1_3gpuE7ELNS1_3repE0EEENS1_30default_config_static_selectorELNS0_4arch9wavefront6targetE0EEEvSY_,"axG",@progbits,_ZN7rocprim17ROCPRIM_400000_NS6detail17trampoline_kernelINS0_13select_configILj256ELj13ELNS0_17block_load_methodE3ELS4_3ELS4_3ELNS0_20block_scan_algorithmE0ELj4294967295EEENS1_25partition_config_selectorILNS1_17partition_subalgoE3EjNS0_10empty_typeEbEEZZNS1_14partition_implILS8_3ELb0ES6_jNS0_17counting_iteratorIjlEEPS9_SE_NS0_5tupleIJPjSE_EEENSF_IJSE_SE_EEES9_SG_JZNS1_25segmented_radix_sort_implINS0_14default_configELb1EPKsPsPKlPlN2at6native12_GLOBAL__N_18offset_tEEE10hipError_tPvRmT1_PNSt15iterator_traitsISY_E10value_typeET2_T3_PNSZ_IS14_E10value_typeET4_jRbjT5_S1A_jjP12ihipStream_tbEUljE_EEESV_SW_SX_S14_S18_S1A_T6_T7_T9_mT8_S1C_bDpT10_ENKUlT_T0_E_clISt17integral_constantIbLb1EES1O_IbLb0EEEEDaS1K_S1L_EUlS1K_E_NS1_11comp_targetILNS1_3genE3ELNS1_11target_archE908ELNS1_3gpuE7ELNS1_3repE0EEENS1_30default_config_static_selectorELNS0_4arch9wavefront6targetE0EEEvSY_,comdat
.Lfunc_end898:
	.size	_ZN7rocprim17ROCPRIM_400000_NS6detail17trampoline_kernelINS0_13select_configILj256ELj13ELNS0_17block_load_methodE3ELS4_3ELS4_3ELNS0_20block_scan_algorithmE0ELj4294967295EEENS1_25partition_config_selectorILNS1_17partition_subalgoE3EjNS0_10empty_typeEbEEZZNS1_14partition_implILS8_3ELb0ES6_jNS0_17counting_iteratorIjlEEPS9_SE_NS0_5tupleIJPjSE_EEENSF_IJSE_SE_EEES9_SG_JZNS1_25segmented_radix_sort_implINS0_14default_configELb1EPKsPsPKlPlN2at6native12_GLOBAL__N_18offset_tEEE10hipError_tPvRmT1_PNSt15iterator_traitsISY_E10value_typeET2_T3_PNSZ_IS14_E10value_typeET4_jRbjT5_S1A_jjP12ihipStream_tbEUljE_EEESV_SW_SX_S14_S18_S1A_T6_T7_T9_mT8_S1C_bDpT10_ENKUlT_T0_E_clISt17integral_constantIbLb1EES1O_IbLb0EEEEDaS1K_S1L_EUlS1K_E_NS1_11comp_targetILNS1_3genE3ELNS1_11target_archE908ELNS1_3gpuE7ELNS1_3repE0EEENS1_30default_config_static_selectorELNS0_4arch9wavefront6targetE0EEEvSY_, .Lfunc_end898-_ZN7rocprim17ROCPRIM_400000_NS6detail17trampoline_kernelINS0_13select_configILj256ELj13ELNS0_17block_load_methodE3ELS4_3ELS4_3ELNS0_20block_scan_algorithmE0ELj4294967295EEENS1_25partition_config_selectorILNS1_17partition_subalgoE3EjNS0_10empty_typeEbEEZZNS1_14partition_implILS8_3ELb0ES6_jNS0_17counting_iteratorIjlEEPS9_SE_NS0_5tupleIJPjSE_EEENSF_IJSE_SE_EEES9_SG_JZNS1_25segmented_radix_sort_implINS0_14default_configELb1EPKsPsPKlPlN2at6native12_GLOBAL__N_18offset_tEEE10hipError_tPvRmT1_PNSt15iterator_traitsISY_E10value_typeET2_T3_PNSZ_IS14_E10value_typeET4_jRbjT5_S1A_jjP12ihipStream_tbEUljE_EEESV_SW_SX_S14_S18_S1A_T6_T7_T9_mT8_S1C_bDpT10_ENKUlT_T0_E_clISt17integral_constantIbLb1EES1O_IbLb0EEEEDaS1K_S1L_EUlS1K_E_NS1_11comp_targetILNS1_3genE3ELNS1_11target_archE908ELNS1_3gpuE7ELNS1_3repE0EEENS1_30default_config_static_selectorELNS0_4arch9wavefront6targetE0EEEvSY_
                                        ; -- End function
	.set _ZN7rocprim17ROCPRIM_400000_NS6detail17trampoline_kernelINS0_13select_configILj256ELj13ELNS0_17block_load_methodE3ELS4_3ELS4_3ELNS0_20block_scan_algorithmE0ELj4294967295EEENS1_25partition_config_selectorILNS1_17partition_subalgoE3EjNS0_10empty_typeEbEEZZNS1_14partition_implILS8_3ELb0ES6_jNS0_17counting_iteratorIjlEEPS9_SE_NS0_5tupleIJPjSE_EEENSF_IJSE_SE_EEES9_SG_JZNS1_25segmented_radix_sort_implINS0_14default_configELb1EPKsPsPKlPlN2at6native12_GLOBAL__N_18offset_tEEE10hipError_tPvRmT1_PNSt15iterator_traitsISY_E10value_typeET2_T3_PNSZ_IS14_E10value_typeET4_jRbjT5_S1A_jjP12ihipStream_tbEUljE_EEESV_SW_SX_S14_S18_S1A_T6_T7_T9_mT8_S1C_bDpT10_ENKUlT_T0_E_clISt17integral_constantIbLb1EES1O_IbLb0EEEEDaS1K_S1L_EUlS1K_E_NS1_11comp_targetILNS1_3genE3ELNS1_11target_archE908ELNS1_3gpuE7ELNS1_3repE0EEENS1_30default_config_static_selectorELNS0_4arch9wavefront6targetE0EEEvSY_.num_vgpr, 0
	.set _ZN7rocprim17ROCPRIM_400000_NS6detail17trampoline_kernelINS0_13select_configILj256ELj13ELNS0_17block_load_methodE3ELS4_3ELS4_3ELNS0_20block_scan_algorithmE0ELj4294967295EEENS1_25partition_config_selectorILNS1_17partition_subalgoE3EjNS0_10empty_typeEbEEZZNS1_14partition_implILS8_3ELb0ES6_jNS0_17counting_iteratorIjlEEPS9_SE_NS0_5tupleIJPjSE_EEENSF_IJSE_SE_EEES9_SG_JZNS1_25segmented_radix_sort_implINS0_14default_configELb1EPKsPsPKlPlN2at6native12_GLOBAL__N_18offset_tEEE10hipError_tPvRmT1_PNSt15iterator_traitsISY_E10value_typeET2_T3_PNSZ_IS14_E10value_typeET4_jRbjT5_S1A_jjP12ihipStream_tbEUljE_EEESV_SW_SX_S14_S18_S1A_T6_T7_T9_mT8_S1C_bDpT10_ENKUlT_T0_E_clISt17integral_constantIbLb1EES1O_IbLb0EEEEDaS1K_S1L_EUlS1K_E_NS1_11comp_targetILNS1_3genE3ELNS1_11target_archE908ELNS1_3gpuE7ELNS1_3repE0EEENS1_30default_config_static_selectorELNS0_4arch9wavefront6targetE0EEEvSY_.num_agpr, 0
	.set _ZN7rocprim17ROCPRIM_400000_NS6detail17trampoline_kernelINS0_13select_configILj256ELj13ELNS0_17block_load_methodE3ELS4_3ELS4_3ELNS0_20block_scan_algorithmE0ELj4294967295EEENS1_25partition_config_selectorILNS1_17partition_subalgoE3EjNS0_10empty_typeEbEEZZNS1_14partition_implILS8_3ELb0ES6_jNS0_17counting_iteratorIjlEEPS9_SE_NS0_5tupleIJPjSE_EEENSF_IJSE_SE_EEES9_SG_JZNS1_25segmented_radix_sort_implINS0_14default_configELb1EPKsPsPKlPlN2at6native12_GLOBAL__N_18offset_tEEE10hipError_tPvRmT1_PNSt15iterator_traitsISY_E10value_typeET2_T3_PNSZ_IS14_E10value_typeET4_jRbjT5_S1A_jjP12ihipStream_tbEUljE_EEESV_SW_SX_S14_S18_S1A_T6_T7_T9_mT8_S1C_bDpT10_ENKUlT_T0_E_clISt17integral_constantIbLb1EES1O_IbLb0EEEEDaS1K_S1L_EUlS1K_E_NS1_11comp_targetILNS1_3genE3ELNS1_11target_archE908ELNS1_3gpuE7ELNS1_3repE0EEENS1_30default_config_static_selectorELNS0_4arch9wavefront6targetE0EEEvSY_.numbered_sgpr, 0
	.set _ZN7rocprim17ROCPRIM_400000_NS6detail17trampoline_kernelINS0_13select_configILj256ELj13ELNS0_17block_load_methodE3ELS4_3ELS4_3ELNS0_20block_scan_algorithmE0ELj4294967295EEENS1_25partition_config_selectorILNS1_17partition_subalgoE3EjNS0_10empty_typeEbEEZZNS1_14partition_implILS8_3ELb0ES6_jNS0_17counting_iteratorIjlEEPS9_SE_NS0_5tupleIJPjSE_EEENSF_IJSE_SE_EEES9_SG_JZNS1_25segmented_radix_sort_implINS0_14default_configELb1EPKsPsPKlPlN2at6native12_GLOBAL__N_18offset_tEEE10hipError_tPvRmT1_PNSt15iterator_traitsISY_E10value_typeET2_T3_PNSZ_IS14_E10value_typeET4_jRbjT5_S1A_jjP12ihipStream_tbEUljE_EEESV_SW_SX_S14_S18_S1A_T6_T7_T9_mT8_S1C_bDpT10_ENKUlT_T0_E_clISt17integral_constantIbLb1EES1O_IbLb0EEEEDaS1K_S1L_EUlS1K_E_NS1_11comp_targetILNS1_3genE3ELNS1_11target_archE908ELNS1_3gpuE7ELNS1_3repE0EEENS1_30default_config_static_selectorELNS0_4arch9wavefront6targetE0EEEvSY_.num_named_barrier, 0
	.set _ZN7rocprim17ROCPRIM_400000_NS6detail17trampoline_kernelINS0_13select_configILj256ELj13ELNS0_17block_load_methodE3ELS4_3ELS4_3ELNS0_20block_scan_algorithmE0ELj4294967295EEENS1_25partition_config_selectorILNS1_17partition_subalgoE3EjNS0_10empty_typeEbEEZZNS1_14partition_implILS8_3ELb0ES6_jNS0_17counting_iteratorIjlEEPS9_SE_NS0_5tupleIJPjSE_EEENSF_IJSE_SE_EEES9_SG_JZNS1_25segmented_radix_sort_implINS0_14default_configELb1EPKsPsPKlPlN2at6native12_GLOBAL__N_18offset_tEEE10hipError_tPvRmT1_PNSt15iterator_traitsISY_E10value_typeET2_T3_PNSZ_IS14_E10value_typeET4_jRbjT5_S1A_jjP12ihipStream_tbEUljE_EEESV_SW_SX_S14_S18_S1A_T6_T7_T9_mT8_S1C_bDpT10_ENKUlT_T0_E_clISt17integral_constantIbLb1EES1O_IbLb0EEEEDaS1K_S1L_EUlS1K_E_NS1_11comp_targetILNS1_3genE3ELNS1_11target_archE908ELNS1_3gpuE7ELNS1_3repE0EEENS1_30default_config_static_selectorELNS0_4arch9wavefront6targetE0EEEvSY_.private_seg_size, 0
	.set _ZN7rocprim17ROCPRIM_400000_NS6detail17trampoline_kernelINS0_13select_configILj256ELj13ELNS0_17block_load_methodE3ELS4_3ELS4_3ELNS0_20block_scan_algorithmE0ELj4294967295EEENS1_25partition_config_selectorILNS1_17partition_subalgoE3EjNS0_10empty_typeEbEEZZNS1_14partition_implILS8_3ELb0ES6_jNS0_17counting_iteratorIjlEEPS9_SE_NS0_5tupleIJPjSE_EEENSF_IJSE_SE_EEES9_SG_JZNS1_25segmented_radix_sort_implINS0_14default_configELb1EPKsPsPKlPlN2at6native12_GLOBAL__N_18offset_tEEE10hipError_tPvRmT1_PNSt15iterator_traitsISY_E10value_typeET2_T3_PNSZ_IS14_E10value_typeET4_jRbjT5_S1A_jjP12ihipStream_tbEUljE_EEESV_SW_SX_S14_S18_S1A_T6_T7_T9_mT8_S1C_bDpT10_ENKUlT_T0_E_clISt17integral_constantIbLb1EES1O_IbLb0EEEEDaS1K_S1L_EUlS1K_E_NS1_11comp_targetILNS1_3genE3ELNS1_11target_archE908ELNS1_3gpuE7ELNS1_3repE0EEENS1_30default_config_static_selectorELNS0_4arch9wavefront6targetE0EEEvSY_.uses_vcc, 0
	.set _ZN7rocprim17ROCPRIM_400000_NS6detail17trampoline_kernelINS0_13select_configILj256ELj13ELNS0_17block_load_methodE3ELS4_3ELS4_3ELNS0_20block_scan_algorithmE0ELj4294967295EEENS1_25partition_config_selectorILNS1_17partition_subalgoE3EjNS0_10empty_typeEbEEZZNS1_14partition_implILS8_3ELb0ES6_jNS0_17counting_iteratorIjlEEPS9_SE_NS0_5tupleIJPjSE_EEENSF_IJSE_SE_EEES9_SG_JZNS1_25segmented_radix_sort_implINS0_14default_configELb1EPKsPsPKlPlN2at6native12_GLOBAL__N_18offset_tEEE10hipError_tPvRmT1_PNSt15iterator_traitsISY_E10value_typeET2_T3_PNSZ_IS14_E10value_typeET4_jRbjT5_S1A_jjP12ihipStream_tbEUljE_EEESV_SW_SX_S14_S18_S1A_T6_T7_T9_mT8_S1C_bDpT10_ENKUlT_T0_E_clISt17integral_constantIbLb1EES1O_IbLb0EEEEDaS1K_S1L_EUlS1K_E_NS1_11comp_targetILNS1_3genE3ELNS1_11target_archE908ELNS1_3gpuE7ELNS1_3repE0EEENS1_30default_config_static_selectorELNS0_4arch9wavefront6targetE0EEEvSY_.uses_flat_scratch, 0
	.set _ZN7rocprim17ROCPRIM_400000_NS6detail17trampoline_kernelINS0_13select_configILj256ELj13ELNS0_17block_load_methodE3ELS4_3ELS4_3ELNS0_20block_scan_algorithmE0ELj4294967295EEENS1_25partition_config_selectorILNS1_17partition_subalgoE3EjNS0_10empty_typeEbEEZZNS1_14partition_implILS8_3ELb0ES6_jNS0_17counting_iteratorIjlEEPS9_SE_NS0_5tupleIJPjSE_EEENSF_IJSE_SE_EEES9_SG_JZNS1_25segmented_radix_sort_implINS0_14default_configELb1EPKsPsPKlPlN2at6native12_GLOBAL__N_18offset_tEEE10hipError_tPvRmT1_PNSt15iterator_traitsISY_E10value_typeET2_T3_PNSZ_IS14_E10value_typeET4_jRbjT5_S1A_jjP12ihipStream_tbEUljE_EEESV_SW_SX_S14_S18_S1A_T6_T7_T9_mT8_S1C_bDpT10_ENKUlT_T0_E_clISt17integral_constantIbLb1EES1O_IbLb0EEEEDaS1K_S1L_EUlS1K_E_NS1_11comp_targetILNS1_3genE3ELNS1_11target_archE908ELNS1_3gpuE7ELNS1_3repE0EEENS1_30default_config_static_selectorELNS0_4arch9wavefront6targetE0EEEvSY_.has_dyn_sized_stack, 0
	.set _ZN7rocprim17ROCPRIM_400000_NS6detail17trampoline_kernelINS0_13select_configILj256ELj13ELNS0_17block_load_methodE3ELS4_3ELS4_3ELNS0_20block_scan_algorithmE0ELj4294967295EEENS1_25partition_config_selectorILNS1_17partition_subalgoE3EjNS0_10empty_typeEbEEZZNS1_14partition_implILS8_3ELb0ES6_jNS0_17counting_iteratorIjlEEPS9_SE_NS0_5tupleIJPjSE_EEENSF_IJSE_SE_EEES9_SG_JZNS1_25segmented_radix_sort_implINS0_14default_configELb1EPKsPsPKlPlN2at6native12_GLOBAL__N_18offset_tEEE10hipError_tPvRmT1_PNSt15iterator_traitsISY_E10value_typeET2_T3_PNSZ_IS14_E10value_typeET4_jRbjT5_S1A_jjP12ihipStream_tbEUljE_EEESV_SW_SX_S14_S18_S1A_T6_T7_T9_mT8_S1C_bDpT10_ENKUlT_T0_E_clISt17integral_constantIbLb1EES1O_IbLb0EEEEDaS1K_S1L_EUlS1K_E_NS1_11comp_targetILNS1_3genE3ELNS1_11target_archE908ELNS1_3gpuE7ELNS1_3repE0EEENS1_30default_config_static_selectorELNS0_4arch9wavefront6targetE0EEEvSY_.has_recursion, 0
	.set _ZN7rocprim17ROCPRIM_400000_NS6detail17trampoline_kernelINS0_13select_configILj256ELj13ELNS0_17block_load_methodE3ELS4_3ELS4_3ELNS0_20block_scan_algorithmE0ELj4294967295EEENS1_25partition_config_selectorILNS1_17partition_subalgoE3EjNS0_10empty_typeEbEEZZNS1_14partition_implILS8_3ELb0ES6_jNS0_17counting_iteratorIjlEEPS9_SE_NS0_5tupleIJPjSE_EEENSF_IJSE_SE_EEES9_SG_JZNS1_25segmented_radix_sort_implINS0_14default_configELb1EPKsPsPKlPlN2at6native12_GLOBAL__N_18offset_tEEE10hipError_tPvRmT1_PNSt15iterator_traitsISY_E10value_typeET2_T3_PNSZ_IS14_E10value_typeET4_jRbjT5_S1A_jjP12ihipStream_tbEUljE_EEESV_SW_SX_S14_S18_S1A_T6_T7_T9_mT8_S1C_bDpT10_ENKUlT_T0_E_clISt17integral_constantIbLb1EES1O_IbLb0EEEEDaS1K_S1L_EUlS1K_E_NS1_11comp_targetILNS1_3genE3ELNS1_11target_archE908ELNS1_3gpuE7ELNS1_3repE0EEENS1_30default_config_static_selectorELNS0_4arch9wavefront6targetE0EEEvSY_.has_indirect_call, 0
	.section	.AMDGPU.csdata,"",@progbits
; Kernel info:
; codeLenInByte = 0
; TotalNumSgprs: 0
; NumVgprs: 0
; ScratchSize: 0
; MemoryBound: 0
; FloatMode: 240
; IeeeMode: 1
; LDSByteSize: 0 bytes/workgroup (compile time only)
; SGPRBlocks: 0
; VGPRBlocks: 0
; NumSGPRsForWavesPerEU: 1
; NumVGPRsForWavesPerEU: 1
; Occupancy: 16
; WaveLimiterHint : 0
; COMPUTE_PGM_RSRC2:SCRATCH_EN: 0
; COMPUTE_PGM_RSRC2:USER_SGPR: 2
; COMPUTE_PGM_RSRC2:TRAP_HANDLER: 0
; COMPUTE_PGM_RSRC2:TGID_X_EN: 1
; COMPUTE_PGM_RSRC2:TGID_Y_EN: 0
; COMPUTE_PGM_RSRC2:TGID_Z_EN: 0
; COMPUTE_PGM_RSRC2:TIDIG_COMP_CNT: 0
	.section	.text._ZN7rocprim17ROCPRIM_400000_NS6detail17trampoline_kernelINS0_13select_configILj256ELj13ELNS0_17block_load_methodE3ELS4_3ELS4_3ELNS0_20block_scan_algorithmE0ELj4294967295EEENS1_25partition_config_selectorILNS1_17partition_subalgoE3EjNS0_10empty_typeEbEEZZNS1_14partition_implILS8_3ELb0ES6_jNS0_17counting_iteratorIjlEEPS9_SE_NS0_5tupleIJPjSE_EEENSF_IJSE_SE_EEES9_SG_JZNS1_25segmented_radix_sort_implINS0_14default_configELb1EPKsPsPKlPlN2at6native12_GLOBAL__N_18offset_tEEE10hipError_tPvRmT1_PNSt15iterator_traitsISY_E10value_typeET2_T3_PNSZ_IS14_E10value_typeET4_jRbjT5_S1A_jjP12ihipStream_tbEUljE_EEESV_SW_SX_S14_S18_S1A_T6_T7_T9_mT8_S1C_bDpT10_ENKUlT_T0_E_clISt17integral_constantIbLb1EES1O_IbLb0EEEEDaS1K_S1L_EUlS1K_E_NS1_11comp_targetILNS1_3genE2ELNS1_11target_archE906ELNS1_3gpuE6ELNS1_3repE0EEENS1_30default_config_static_selectorELNS0_4arch9wavefront6targetE0EEEvSY_,"axG",@progbits,_ZN7rocprim17ROCPRIM_400000_NS6detail17trampoline_kernelINS0_13select_configILj256ELj13ELNS0_17block_load_methodE3ELS4_3ELS4_3ELNS0_20block_scan_algorithmE0ELj4294967295EEENS1_25partition_config_selectorILNS1_17partition_subalgoE3EjNS0_10empty_typeEbEEZZNS1_14partition_implILS8_3ELb0ES6_jNS0_17counting_iteratorIjlEEPS9_SE_NS0_5tupleIJPjSE_EEENSF_IJSE_SE_EEES9_SG_JZNS1_25segmented_radix_sort_implINS0_14default_configELb1EPKsPsPKlPlN2at6native12_GLOBAL__N_18offset_tEEE10hipError_tPvRmT1_PNSt15iterator_traitsISY_E10value_typeET2_T3_PNSZ_IS14_E10value_typeET4_jRbjT5_S1A_jjP12ihipStream_tbEUljE_EEESV_SW_SX_S14_S18_S1A_T6_T7_T9_mT8_S1C_bDpT10_ENKUlT_T0_E_clISt17integral_constantIbLb1EES1O_IbLb0EEEEDaS1K_S1L_EUlS1K_E_NS1_11comp_targetILNS1_3genE2ELNS1_11target_archE906ELNS1_3gpuE6ELNS1_3repE0EEENS1_30default_config_static_selectorELNS0_4arch9wavefront6targetE0EEEvSY_,comdat
	.globl	_ZN7rocprim17ROCPRIM_400000_NS6detail17trampoline_kernelINS0_13select_configILj256ELj13ELNS0_17block_load_methodE3ELS4_3ELS4_3ELNS0_20block_scan_algorithmE0ELj4294967295EEENS1_25partition_config_selectorILNS1_17partition_subalgoE3EjNS0_10empty_typeEbEEZZNS1_14partition_implILS8_3ELb0ES6_jNS0_17counting_iteratorIjlEEPS9_SE_NS0_5tupleIJPjSE_EEENSF_IJSE_SE_EEES9_SG_JZNS1_25segmented_radix_sort_implINS0_14default_configELb1EPKsPsPKlPlN2at6native12_GLOBAL__N_18offset_tEEE10hipError_tPvRmT1_PNSt15iterator_traitsISY_E10value_typeET2_T3_PNSZ_IS14_E10value_typeET4_jRbjT5_S1A_jjP12ihipStream_tbEUljE_EEESV_SW_SX_S14_S18_S1A_T6_T7_T9_mT8_S1C_bDpT10_ENKUlT_T0_E_clISt17integral_constantIbLb1EES1O_IbLb0EEEEDaS1K_S1L_EUlS1K_E_NS1_11comp_targetILNS1_3genE2ELNS1_11target_archE906ELNS1_3gpuE6ELNS1_3repE0EEENS1_30default_config_static_selectorELNS0_4arch9wavefront6targetE0EEEvSY_ ; -- Begin function _ZN7rocprim17ROCPRIM_400000_NS6detail17trampoline_kernelINS0_13select_configILj256ELj13ELNS0_17block_load_methodE3ELS4_3ELS4_3ELNS0_20block_scan_algorithmE0ELj4294967295EEENS1_25partition_config_selectorILNS1_17partition_subalgoE3EjNS0_10empty_typeEbEEZZNS1_14partition_implILS8_3ELb0ES6_jNS0_17counting_iteratorIjlEEPS9_SE_NS0_5tupleIJPjSE_EEENSF_IJSE_SE_EEES9_SG_JZNS1_25segmented_radix_sort_implINS0_14default_configELb1EPKsPsPKlPlN2at6native12_GLOBAL__N_18offset_tEEE10hipError_tPvRmT1_PNSt15iterator_traitsISY_E10value_typeET2_T3_PNSZ_IS14_E10value_typeET4_jRbjT5_S1A_jjP12ihipStream_tbEUljE_EEESV_SW_SX_S14_S18_S1A_T6_T7_T9_mT8_S1C_bDpT10_ENKUlT_T0_E_clISt17integral_constantIbLb1EES1O_IbLb0EEEEDaS1K_S1L_EUlS1K_E_NS1_11comp_targetILNS1_3genE2ELNS1_11target_archE906ELNS1_3gpuE6ELNS1_3repE0EEENS1_30default_config_static_selectorELNS0_4arch9wavefront6targetE0EEEvSY_
	.p2align	8
	.type	_ZN7rocprim17ROCPRIM_400000_NS6detail17trampoline_kernelINS0_13select_configILj256ELj13ELNS0_17block_load_methodE3ELS4_3ELS4_3ELNS0_20block_scan_algorithmE0ELj4294967295EEENS1_25partition_config_selectorILNS1_17partition_subalgoE3EjNS0_10empty_typeEbEEZZNS1_14partition_implILS8_3ELb0ES6_jNS0_17counting_iteratorIjlEEPS9_SE_NS0_5tupleIJPjSE_EEENSF_IJSE_SE_EEES9_SG_JZNS1_25segmented_radix_sort_implINS0_14default_configELb1EPKsPsPKlPlN2at6native12_GLOBAL__N_18offset_tEEE10hipError_tPvRmT1_PNSt15iterator_traitsISY_E10value_typeET2_T3_PNSZ_IS14_E10value_typeET4_jRbjT5_S1A_jjP12ihipStream_tbEUljE_EEESV_SW_SX_S14_S18_S1A_T6_T7_T9_mT8_S1C_bDpT10_ENKUlT_T0_E_clISt17integral_constantIbLb1EES1O_IbLb0EEEEDaS1K_S1L_EUlS1K_E_NS1_11comp_targetILNS1_3genE2ELNS1_11target_archE906ELNS1_3gpuE6ELNS1_3repE0EEENS1_30default_config_static_selectorELNS0_4arch9wavefront6targetE0EEEvSY_,@function
_ZN7rocprim17ROCPRIM_400000_NS6detail17trampoline_kernelINS0_13select_configILj256ELj13ELNS0_17block_load_methodE3ELS4_3ELS4_3ELNS0_20block_scan_algorithmE0ELj4294967295EEENS1_25partition_config_selectorILNS1_17partition_subalgoE3EjNS0_10empty_typeEbEEZZNS1_14partition_implILS8_3ELb0ES6_jNS0_17counting_iteratorIjlEEPS9_SE_NS0_5tupleIJPjSE_EEENSF_IJSE_SE_EEES9_SG_JZNS1_25segmented_radix_sort_implINS0_14default_configELb1EPKsPsPKlPlN2at6native12_GLOBAL__N_18offset_tEEE10hipError_tPvRmT1_PNSt15iterator_traitsISY_E10value_typeET2_T3_PNSZ_IS14_E10value_typeET4_jRbjT5_S1A_jjP12ihipStream_tbEUljE_EEESV_SW_SX_S14_S18_S1A_T6_T7_T9_mT8_S1C_bDpT10_ENKUlT_T0_E_clISt17integral_constantIbLb1EES1O_IbLb0EEEEDaS1K_S1L_EUlS1K_E_NS1_11comp_targetILNS1_3genE2ELNS1_11target_archE906ELNS1_3gpuE6ELNS1_3repE0EEENS1_30default_config_static_selectorELNS0_4arch9wavefront6targetE0EEEvSY_: ; @_ZN7rocprim17ROCPRIM_400000_NS6detail17trampoline_kernelINS0_13select_configILj256ELj13ELNS0_17block_load_methodE3ELS4_3ELS4_3ELNS0_20block_scan_algorithmE0ELj4294967295EEENS1_25partition_config_selectorILNS1_17partition_subalgoE3EjNS0_10empty_typeEbEEZZNS1_14partition_implILS8_3ELb0ES6_jNS0_17counting_iteratorIjlEEPS9_SE_NS0_5tupleIJPjSE_EEENSF_IJSE_SE_EEES9_SG_JZNS1_25segmented_radix_sort_implINS0_14default_configELb1EPKsPsPKlPlN2at6native12_GLOBAL__N_18offset_tEEE10hipError_tPvRmT1_PNSt15iterator_traitsISY_E10value_typeET2_T3_PNSZ_IS14_E10value_typeET4_jRbjT5_S1A_jjP12ihipStream_tbEUljE_EEESV_SW_SX_S14_S18_S1A_T6_T7_T9_mT8_S1C_bDpT10_ENKUlT_T0_E_clISt17integral_constantIbLb1EES1O_IbLb0EEEEDaS1K_S1L_EUlS1K_E_NS1_11comp_targetILNS1_3genE2ELNS1_11target_archE906ELNS1_3gpuE6ELNS1_3repE0EEENS1_30default_config_static_selectorELNS0_4arch9wavefront6targetE0EEEvSY_
; %bb.0:
	.section	.rodata,"a",@progbits
	.p2align	6, 0x0
	.amdhsa_kernel _ZN7rocprim17ROCPRIM_400000_NS6detail17trampoline_kernelINS0_13select_configILj256ELj13ELNS0_17block_load_methodE3ELS4_3ELS4_3ELNS0_20block_scan_algorithmE0ELj4294967295EEENS1_25partition_config_selectorILNS1_17partition_subalgoE3EjNS0_10empty_typeEbEEZZNS1_14partition_implILS8_3ELb0ES6_jNS0_17counting_iteratorIjlEEPS9_SE_NS0_5tupleIJPjSE_EEENSF_IJSE_SE_EEES9_SG_JZNS1_25segmented_radix_sort_implINS0_14default_configELb1EPKsPsPKlPlN2at6native12_GLOBAL__N_18offset_tEEE10hipError_tPvRmT1_PNSt15iterator_traitsISY_E10value_typeET2_T3_PNSZ_IS14_E10value_typeET4_jRbjT5_S1A_jjP12ihipStream_tbEUljE_EEESV_SW_SX_S14_S18_S1A_T6_T7_T9_mT8_S1C_bDpT10_ENKUlT_T0_E_clISt17integral_constantIbLb1EES1O_IbLb0EEEEDaS1K_S1L_EUlS1K_E_NS1_11comp_targetILNS1_3genE2ELNS1_11target_archE906ELNS1_3gpuE6ELNS1_3repE0EEENS1_30default_config_static_selectorELNS0_4arch9wavefront6targetE0EEEvSY_
		.amdhsa_group_segment_fixed_size 0
		.amdhsa_private_segment_fixed_size 0
		.amdhsa_kernarg_size 144
		.amdhsa_user_sgpr_count 2
		.amdhsa_user_sgpr_dispatch_ptr 0
		.amdhsa_user_sgpr_queue_ptr 0
		.amdhsa_user_sgpr_kernarg_segment_ptr 1
		.amdhsa_user_sgpr_dispatch_id 0
		.amdhsa_user_sgpr_private_segment_size 0
		.amdhsa_wavefront_size32 1
		.amdhsa_uses_dynamic_stack 0
		.amdhsa_enable_private_segment 0
		.amdhsa_system_sgpr_workgroup_id_x 1
		.amdhsa_system_sgpr_workgroup_id_y 0
		.amdhsa_system_sgpr_workgroup_id_z 0
		.amdhsa_system_sgpr_workgroup_info 0
		.amdhsa_system_vgpr_workitem_id 0
		.amdhsa_next_free_vgpr 1
		.amdhsa_next_free_sgpr 1
		.amdhsa_reserve_vcc 0
		.amdhsa_float_round_mode_32 0
		.amdhsa_float_round_mode_16_64 0
		.amdhsa_float_denorm_mode_32 3
		.amdhsa_float_denorm_mode_16_64 3
		.amdhsa_fp16_overflow 0
		.amdhsa_workgroup_processor_mode 1
		.amdhsa_memory_ordered 1
		.amdhsa_forward_progress 1
		.amdhsa_inst_pref_size 0
		.amdhsa_round_robin_scheduling 0
		.amdhsa_exception_fp_ieee_invalid_op 0
		.amdhsa_exception_fp_denorm_src 0
		.amdhsa_exception_fp_ieee_div_zero 0
		.amdhsa_exception_fp_ieee_overflow 0
		.amdhsa_exception_fp_ieee_underflow 0
		.amdhsa_exception_fp_ieee_inexact 0
		.amdhsa_exception_int_div_zero 0
	.end_amdhsa_kernel
	.section	.text._ZN7rocprim17ROCPRIM_400000_NS6detail17trampoline_kernelINS0_13select_configILj256ELj13ELNS0_17block_load_methodE3ELS4_3ELS4_3ELNS0_20block_scan_algorithmE0ELj4294967295EEENS1_25partition_config_selectorILNS1_17partition_subalgoE3EjNS0_10empty_typeEbEEZZNS1_14partition_implILS8_3ELb0ES6_jNS0_17counting_iteratorIjlEEPS9_SE_NS0_5tupleIJPjSE_EEENSF_IJSE_SE_EEES9_SG_JZNS1_25segmented_radix_sort_implINS0_14default_configELb1EPKsPsPKlPlN2at6native12_GLOBAL__N_18offset_tEEE10hipError_tPvRmT1_PNSt15iterator_traitsISY_E10value_typeET2_T3_PNSZ_IS14_E10value_typeET4_jRbjT5_S1A_jjP12ihipStream_tbEUljE_EEESV_SW_SX_S14_S18_S1A_T6_T7_T9_mT8_S1C_bDpT10_ENKUlT_T0_E_clISt17integral_constantIbLb1EES1O_IbLb0EEEEDaS1K_S1L_EUlS1K_E_NS1_11comp_targetILNS1_3genE2ELNS1_11target_archE906ELNS1_3gpuE6ELNS1_3repE0EEENS1_30default_config_static_selectorELNS0_4arch9wavefront6targetE0EEEvSY_,"axG",@progbits,_ZN7rocprim17ROCPRIM_400000_NS6detail17trampoline_kernelINS0_13select_configILj256ELj13ELNS0_17block_load_methodE3ELS4_3ELS4_3ELNS0_20block_scan_algorithmE0ELj4294967295EEENS1_25partition_config_selectorILNS1_17partition_subalgoE3EjNS0_10empty_typeEbEEZZNS1_14partition_implILS8_3ELb0ES6_jNS0_17counting_iteratorIjlEEPS9_SE_NS0_5tupleIJPjSE_EEENSF_IJSE_SE_EEES9_SG_JZNS1_25segmented_radix_sort_implINS0_14default_configELb1EPKsPsPKlPlN2at6native12_GLOBAL__N_18offset_tEEE10hipError_tPvRmT1_PNSt15iterator_traitsISY_E10value_typeET2_T3_PNSZ_IS14_E10value_typeET4_jRbjT5_S1A_jjP12ihipStream_tbEUljE_EEESV_SW_SX_S14_S18_S1A_T6_T7_T9_mT8_S1C_bDpT10_ENKUlT_T0_E_clISt17integral_constantIbLb1EES1O_IbLb0EEEEDaS1K_S1L_EUlS1K_E_NS1_11comp_targetILNS1_3genE2ELNS1_11target_archE906ELNS1_3gpuE6ELNS1_3repE0EEENS1_30default_config_static_selectorELNS0_4arch9wavefront6targetE0EEEvSY_,comdat
.Lfunc_end899:
	.size	_ZN7rocprim17ROCPRIM_400000_NS6detail17trampoline_kernelINS0_13select_configILj256ELj13ELNS0_17block_load_methodE3ELS4_3ELS4_3ELNS0_20block_scan_algorithmE0ELj4294967295EEENS1_25partition_config_selectorILNS1_17partition_subalgoE3EjNS0_10empty_typeEbEEZZNS1_14partition_implILS8_3ELb0ES6_jNS0_17counting_iteratorIjlEEPS9_SE_NS0_5tupleIJPjSE_EEENSF_IJSE_SE_EEES9_SG_JZNS1_25segmented_radix_sort_implINS0_14default_configELb1EPKsPsPKlPlN2at6native12_GLOBAL__N_18offset_tEEE10hipError_tPvRmT1_PNSt15iterator_traitsISY_E10value_typeET2_T3_PNSZ_IS14_E10value_typeET4_jRbjT5_S1A_jjP12ihipStream_tbEUljE_EEESV_SW_SX_S14_S18_S1A_T6_T7_T9_mT8_S1C_bDpT10_ENKUlT_T0_E_clISt17integral_constantIbLb1EES1O_IbLb0EEEEDaS1K_S1L_EUlS1K_E_NS1_11comp_targetILNS1_3genE2ELNS1_11target_archE906ELNS1_3gpuE6ELNS1_3repE0EEENS1_30default_config_static_selectorELNS0_4arch9wavefront6targetE0EEEvSY_, .Lfunc_end899-_ZN7rocprim17ROCPRIM_400000_NS6detail17trampoline_kernelINS0_13select_configILj256ELj13ELNS0_17block_load_methodE3ELS4_3ELS4_3ELNS0_20block_scan_algorithmE0ELj4294967295EEENS1_25partition_config_selectorILNS1_17partition_subalgoE3EjNS0_10empty_typeEbEEZZNS1_14partition_implILS8_3ELb0ES6_jNS0_17counting_iteratorIjlEEPS9_SE_NS0_5tupleIJPjSE_EEENSF_IJSE_SE_EEES9_SG_JZNS1_25segmented_radix_sort_implINS0_14default_configELb1EPKsPsPKlPlN2at6native12_GLOBAL__N_18offset_tEEE10hipError_tPvRmT1_PNSt15iterator_traitsISY_E10value_typeET2_T3_PNSZ_IS14_E10value_typeET4_jRbjT5_S1A_jjP12ihipStream_tbEUljE_EEESV_SW_SX_S14_S18_S1A_T6_T7_T9_mT8_S1C_bDpT10_ENKUlT_T0_E_clISt17integral_constantIbLb1EES1O_IbLb0EEEEDaS1K_S1L_EUlS1K_E_NS1_11comp_targetILNS1_3genE2ELNS1_11target_archE906ELNS1_3gpuE6ELNS1_3repE0EEENS1_30default_config_static_selectorELNS0_4arch9wavefront6targetE0EEEvSY_
                                        ; -- End function
	.set _ZN7rocprim17ROCPRIM_400000_NS6detail17trampoline_kernelINS0_13select_configILj256ELj13ELNS0_17block_load_methodE3ELS4_3ELS4_3ELNS0_20block_scan_algorithmE0ELj4294967295EEENS1_25partition_config_selectorILNS1_17partition_subalgoE3EjNS0_10empty_typeEbEEZZNS1_14partition_implILS8_3ELb0ES6_jNS0_17counting_iteratorIjlEEPS9_SE_NS0_5tupleIJPjSE_EEENSF_IJSE_SE_EEES9_SG_JZNS1_25segmented_radix_sort_implINS0_14default_configELb1EPKsPsPKlPlN2at6native12_GLOBAL__N_18offset_tEEE10hipError_tPvRmT1_PNSt15iterator_traitsISY_E10value_typeET2_T3_PNSZ_IS14_E10value_typeET4_jRbjT5_S1A_jjP12ihipStream_tbEUljE_EEESV_SW_SX_S14_S18_S1A_T6_T7_T9_mT8_S1C_bDpT10_ENKUlT_T0_E_clISt17integral_constantIbLb1EES1O_IbLb0EEEEDaS1K_S1L_EUlS1K_E_NS1_11comp_targetILNS1_3genE2ELNS1_11target_archE906ELNS1_3gpuE6ELNS1_3repE0EEENS1_30default_config_static_selectorELNS0_4arch9wavefront6targetE0EEEvSY_.num_vgpr, 0
	.set _ZN7rocprim17ROCPRIM_400000_NS6detail17trampoline_kernelINS0_13select_configILj256ELj13ELNS0_17block_load_methodE3ELS4_3ELS4_3ELNS0_20block_scan_algorithmE0ELj4294967295EEENS1_25partition_config_selectorILNS1_17partition_subalgoE3EjNS0_10empty_typeEbEEZZNS1_14partition_implILS8_3ELb0ES6_jNS0_17counting_iteratorIjlEEPS9_SE_NS0_5tupleIJPjSE_EEENSF_IJSE_SE_EEES9_SG_JZNS1_25segmented_radix_sort_implINS0_14default_configELb1EPKsPsPKlPlN2at6native12_GLOBAL__N_18offset_tEEE10hipError_tPvRmT1_PNSt15iterator_traitsISY_E10value_typeET2_T3_PNSZ_IS14_E10value_typeET4_jRbjT5_S1A_jjP12ihipStream_tbEUljE_EEESV_SW_SX_S14_S18_S1A_T6_T7_T9_mT8_S1C_bDpT10_ENKUlT_T0_E_clISt17integral_constantIbLb1EES1O_IbLb0EEEEDaS1K_S1L_EUlS1K_E_NS1_11comp_targetILNS1_3genE2ELNS1_11target_archE906ELNS1_3gpuE6ELNS1_3repE0EEENS1_30default_config_static_selectorELNS0_4arch9wavefront6targetE0EEEvSY_.num_agpr, 0
	.set _ZN7rocprim17ROCPRIM_400000_NS6detail17trampoline_kernelINS0_13select_configILj256ELj13ELNS0_17block_load_methodE3ELS4_3ELS4_3ELNS0_20block_scan_algorithmE0ELj4294967295EEENS1_25partition_config_selectorILNS1_17partition_subalgoE3EjNS0_10empty_typeEbEEZZNS1_14partition_implILS8_3ELb0ES6_jNS0_17counting_iteratorIjlEEPS9_SE_NS0_5tupleIJPjSE_EEENSF_IJSE_SE_EEES9_SG_JZNS1_25segmented_radix_sort_implINS0_14default_configELb1EPKsPsPKlPlN2at6native12_GLOBAL__N_18offset_tEEE10hipError_tPvRmT1_PNSt15iterator_traitsISY_E10value_typeET2_T3_PNSZ_IS14_E10value_typeET4_jRbjT5_S1A_jjP12ihipStream_tbEUljE_EEESV_SW_SX_S14_S18_S1A_T6_T7_T9_mT8_S1C_bDpT10_ENKUlT_T0_E_clISt17integral_constantIbLb1EES1O_IbLb0EEEEDaS1K_S1L_EUlS1K_E_NS1_11comp_targetILNS1_3genE2ELNS1_11target_archE906ELNS1_3gpuE6ELNS1_3repE0EEENS1_30default_config_static_selectorELNS0_4arch9wavefront6targetE0EEEvSY_.numbered_sgpr, 0
	.set _ZN7rocprim17ROCPRIM_400000_NS6detail17trampoline_kernelINS0_13select_configILj256ELj13ELNS0_17block_load_methodE3ELS4_3ELS4_3ELNS0_20block_scan_algorithmE0ELj4294967295EEENS1_25partition_config_selectorILNS1_17partition_subalgoE3EjNS0_10empty_typeEbEEZZNS1_14partition_implILS8_3ELb0ES6_jNS0_17counting_iteratorIjlEEPS9_SE_NS0_5tupleIJPjSE_EEENSF_IJSE_SE_EEES9_SG_JZNS1_25segmented_radix_sort_implINS0_14default_configELb1EPKsPsPKlPlN2at6native12_GLOBAL__N_18offset_tEEE10hipError_tPvRmT1_PNSt15iterator_traitsISY_E10value_typeET2_T3_PNSZ_IS14_E10value_typeET4_jRbjT5_S1A_jjP12ihipStream_tbEUljE_EEESV_SW_SX_S14_S18_S1A_T6_T7_T9_mT8_S1C_bDpT10_ENKUlT_T0_E_clISt17integral_constantIbLb1EES1O_IbLb0EEEEDaS1K_S1L_EUlS1K_E_NS1_11comp_targetILNS1_3genE2ELNS1_11target_archE906ELNS1_3gpuE6ELNS1_3repE0EEENS1_30default_config_static_selectorELNS0_4arch9wavefront6targetE0EEEvSY_.num_named_barrier, 0
	.set _ZN7rocprim17ROCPRIM_400000_NS6detail17trampoline_kernelINS0_13select_configILj256ELj13ELNS0_17block_load_methodE3ELS4_3ELS4_3ELNS0_20block_scan_algorithmE0ELj4294967295EEENS1_25partition_config_selectorILNS1_17partition_subalgoE3EjNS0_10empty_typeEbEEZZNS1_14partition_implILS8_3ELb0ES6_jNS0_17counting_iteratorIjlEEPS9_SE_NS0_5tupleIJPjSE_EEENSF_IJSE_SE_EEES9_SG_JZNS1_25segmented_radix_sort_implINS0_14default_configELb1EPKsPsPKlPlN2at6native12_GLOBAL__N_18offset_tEEE10hipError_tPvRmT1_PNSt15iterator_traitsISY_E10value_typeET2_T3_PNSZ_IS14_E10value_typeET4_jRbjT5_S1A_jjP12ihipStream_tbEUljE_EEESV_SW_SX_S14_S18_S1A_T6_T7_T9_mT8_S1C_bDpT10_ENKUlT_T0_E_clISt17integral_constantIbLb1EES1O_IbLb0EEEEDaS1K_S1L_EUlS1K_E_NS1_11comp_targetILNS1_3genE2ELNS1_11target_archE906ELNS1_3gpuE6ELNS1_3repE0EEENS1_30default_config_static_selectorELNS0_4arch9wavefront6targetE0EEEvSY_.private_seg_size, 0
	.set _ZN7rocprim17ROCPRIM_400000_NS6detail17trampoline_kernelINS0_13select_configILj256ELj13ELNS0_17block_load_methodE3ELS4_3ELS4_3ELNS0_20block_scan_algorithmE0ELj4294967295EEENS1_25partition_config_selectorILNS1_17partition_subalgoE3EjNS0_10empty_typeEbEEZZNS1_14partition_implILS8_3ELb0ES6_jNS0_17counting_iteratorIjlEEPS9_SE_NS0_5tupleIJPjSE_EEENSF_IJSE_SE_EEES9_SG_JZNS1_25segmented_radix_sort_implINS0_14default_configELb1EPKsPsPKlPlN2at6native12_GLOBAL__N_18offset_tEEE10hipError_tPvRmT1_PNSt15iterator_traitsISY_E10value_typeET2_T3_PNSZ_IS14_E10value_typeET4_jRbjT5_S1A_jjP12ihipStream_tbEUljE_EEESV_SW_SX_S14_S18_S1A_T6_T7_T9_mT8_S1C_bDpT10_ENKUlT_T0_E_clISt17integral_constantIbLb1EES1O_IbLb0EEEEDaS1K_S1L_EUlS1K_E_NS1_11comp_targetILNS1_3genE2ELNS1_11target_archE906ELNS1_3gpuE6ELNS1_3repE0EEENS1_30default_config_static_selectorELNS0_4arch9wavefront6targetE0EEEvSY_.uses_vcc, 0
	.set _ZN7rocprim17ROCPRIM_400000_NS6detail17trampoline_kernelINS0_13select_configILj256ELj13ELNS0_17block_load_methodE3ELS4_3ELS4_3ELNS0_20block_scan_algorithmE0ELj4294967295EEENS1_25partition_config_selectorILNS1_17partition_subalgoE3EjNS0_10empty_typeEbEEZZNS1_14partition_implILS8_3ELb0ES6_jNS0_17counting_iteratorIjlEEPS9_SE_NS0_5tupleIJPjSE_EEENSF_IJSE_SE_EEES9_SG_JZNS1_25segmented_radix_sort_implINS0_14default_configELb1EPKsPsPKlPlN2at6native12_GLOBAL__N_18offset_tEEE10hipError_tPvRmT1_PNSt15iterator_traitsISY_E10value_typeET2_T3_PNSZ_IS14_E10value_typeET4_jRbjT5_S1A_jjP12ihipStream_tbEUljE_EEESV_SW_SX_S14_S18_S1A_T6_T7_T9_mT8_S1C_bDpT10_ENKUlT_T0_E_clISt17integral_constantIbLb1EES1O_IbLb0EEEEDaS1K_S1L_EUlS1K_E_NS1_11comp_targetILNS1_3genE2ELNS1_11target_archE906ELNS1_3gpuE6ELNS1_3repE0EEENS1_30default_config_static_selectorELNS0_4arch9wavefront6targetE0EEEvSY_.uses_flat_scratch, 0
	.set _ZN7rocprim17ROCPRIM_400000_NS6detail17trampoline_kernelINS0_13select_configILj256ELj13ELNS0_17block_load_methodE3ELS4_3ELS4_3ELNS0_20block_scan_algorithmE0ELj4294967295EEENS1_25partition_config_selectorILNS1_17partition_subalgoE3EjNS0_10empty_typeEbEEZZNS1_14partition_implILS8_3ELb0ES6_jNS0_17counting_iteratorIjlEEPS9_SE_NS0_5tupleIJPjSE_EEENSF_IJSE_SE_EEES9_SG_JZNS1_25segmented_radix_sort_implINS0_14default_configELb1EPKsPsPKlPlN2at6native12_GLOBAL__N_18offset_tEEE10hipError_tPvRmT1_PNSt15iterator_traitsISY_E10value_typeET2_T3_PNSZ_IS14_E10value_typeET4_jRbjT5_S1A_jjP12ihipStream_tbEUljE_EEESV_SW_SX_S14_S18_S1A_T6_T7_T9_mT8_S1C_bDpT10_ENKUlT_T0_E_clISt17integral_constantIbLb1EES1O_IbLb0EEEEDaS1K_S1L_EUlS1K_E_NS1_11comp_targetILNS1_3genE2ELNS1_11target_archE906ELNS1_3gpuE6ELNS1_3repE0EEENS1_30default_config_static_selectorELNS0_4arch9wavefront6targetE0EEEvSY_.has_dyn_sized_stack, 0
	.set _ZN7rocprim17ROCPRIM_400000_NS6detail17trampoline_kernelINS0_13select_configILj256ELj13ELNS0_17block_load_methodE3ELS4_3ELS4_3ELNS0_20block_scan_algorithmE0ELj4294967295EEENS1_25partition_config_selectorILNS1_17partition_subalgoE3EjNS0_10empty_typeEbEEZZNS1_14partition_implILS8_3ELb0ES6_jNS0_17counting_iteratorIjlEEPS9_SE_NS0_5tupleIJPjSE_EEENSF_IJSE_SE_EEES9_SG_JZNS1_25segmented_radix_sort_implINS0_14default_configELb1EPKsPsPKlPlN2at6native12_GLOBAL__N_18offset_tEEE10hipError_tPvRmT1_PNSt15iterator_traitsISY_E10value_typeET2_T3_PNSZ_IS14_E10value_typeET4_jRbjT5_S1A_jjP12ihipStream_tbEUljE_EEESV_SW_SX_S14_S18_S1A_T6_T7_T9_mT8_S1C_bDpT10_ENKUlT_T0_E_clISt17integral_constantIbLb1EES1O_IbLb0EEEEDaS1K_S1L_EUlS1K_E_NS1_11comp_targetILNS1_3genE2ELNS1_11target_archE906ELNS1_3gpuE6ELNS1_3repE0EEENS1_30default_config_static_selectorELNS0_4arch9wavefront6targetE0EEEvSY_.has_recursion, 0
	.set _ZN7rocprim17ROCPRIM_400000_NS6detail17trampoline_kernelINS0_13select_configILj256ELj13ELNS0_17block_load_methodE3ELS4_3ELS4_3ELNS0_20block_scan_algorithmE0ELj4294967295EEENS1_25partition_config_selectorILNS1_17partition_subalgoE3EjNS0_10empty_typeEbEEZZNS1_14partition_implILS8_3ELb0ES6_jNS0_17counting_iteratorIjlEEPS9_SE_NS0_5tupleIJPjSE_EEENSF_IJSE_SE_EEES9_SG_JZNS1_25segmented_radix_sort_implINS0_14default_configELb1EPKsPsPKlPlN2at6native12_GLOBAL__N_18offset_tEEE10hipError_tPvRmT1_PNSt15iterator_traitsISY_E10value_typeET2_T3_PNSZ_IS14_E10value_typeET4_jRbjT5_S1A_jjP12ihipStream_tbEUljE_EEESV_SW_SX_S14_S18_S1A_T6_T7_T9_mT8_S1C_bDpT10_ENKUlT_T0_E_clISt17integral_constantIbLb1EES1O_IbLb0EEEEDaS1K_S1L_EUlS1K_E_NS1_11comp_targetILNS1_3genE2ELNS1_11target_archE906ELNS1_3gpuE6ELNS1_3repE0EEENS1_30default_config_static_selectorELNS0_4arch9wavefront6targetE0EEEvSY_.has_indirect_call, 0
	.section	.AMDGPU.csdata,"",@progbits
; Kernel info:
; codeLenInByte = 0
; TotalNumSgprs: 0
; NumVgprs: 0
; ScratchSize: 0
; MemoryBound: 0
; FloatMode: 240
; IeeeMode: 1
; LDSByteSize: 0 bytes/workgroup (compile time only)
; SGPRBlocks: 0
; VGPRBlocks: 0
; NumSGPRsForWavesPerEU: 1
; NumVGPRsForWavesPerEU: 1
; Occupancy: 16
; WaveLimiterHint : 0
; COMPUTE_PGM_RSRC2:SCRATCH_EN: 0
; COMPUTE_PGM_RSRC2:USER_SGPR: 2
; COMPUTE_PGM_RSRC2:TRAP_HANDLER: 0
; COMPUTE_PGM_RSRC2:TGID_X_EN: 1
; COMPUTE_PGM_RSRC2:TGID_Y_EN: 0
; COMPUTE_PGM_RSRC2:TGID_Z_EN: 0
; COMPUTE_PGM_RSRC2:TIDIG_COMP_CNT: 0
	.section	.text._ZN7rocprim17ROCPRIM_400000_NS6detail17trampoline_kernelINS0_13select_configILj256ELj13ELNS0_17block_load_methodE3ELS4_3ELS4_3ELNS0_20block_scan_algorithmE0ELj4294967295EEENS1_25partition_config_selectorILNS1_17partition_subalgoE3EjNS0_10empty_typeEbEEZZNS1_14partition_implILS8_3ELb0ES6_jNS0_17counting_iteratorIjlEEPS9_SE_NS0_5tupleIJPjSE_EEENSF_IJSE_SE_EEES9_SG_JZNS1_25segmented_radix_sort_implINS0_14default_configELb1EPKsPsPKlPlN2at6native12_GLOBAL__N_18offset_tEEE10hipError_tPvRmT1_PNSt15iterator_traitsISY_E10value_typeET2_T3_PNSZ_IS14_E10value_typeET4_jRbjT5_S1A_jjP12ihipStream_tbEUljE_EEESV_SW_SX_S14_S18_S1A_T6_T7_T9_mT8_S1C_bDpT10_ENKUlT_T0_E_clISt17integral_constantIbLb1EES1O_IbLb0EEEEDaS1K_S1L_EUlS1K_E_NS1_11comp_targetILNS1_3genE10ELNS1_11target_archE1200ELNS1_3gpuE4ELNS1_3repE0EEENS1_30default_config_static_selectorELNS0_4arch9wavefront6targetE0EEEvSY_,"axG",@progbits,_ZN7rocprim17ROCPRIM_400000_NS6detail17trampoline_kernelINS0_13select_configILj256ELj13ELNS0_17block_load_methodE3ELS4_3ELS4_3ELNS0_20block_scan_algorithmE0ELj4294967295EEENS1_25partition_config_selectorILNS1_17partition_subalgoE3EjNS0_10empty_typeEbEEZZNS1_14partition_implILS8_3ELb0ES6_jNS0_17counting_iteratorIjlEEPS9_SE_NS0_5tupleIJPjSE_EEENSF_IJSE_SE_EEES9_SG_JZNS1_25segmented_radix_sort_implINS0_14default_configELb1EPKsPsPKlPlN2at6native12_GLOBAL__N_18offset_tEEE10hipError_tPvRmT1_PNSt15iterator_traitsISY_E10value_typeET2_T3_PNSZ_IS14_E10value_typeET4_jRbjT5_S1A_jjP12ihipStream_tbEUljE_EEESV_SW_SX_S14_S18_S1A_T6_T7_T9_mT8_S1C_bDpT10_ENKUlT_T0_E_clISt17integral_constantIbLb1EES1O_IbLb0EEEEDaS1K_S1L_EUlS1K_E_NS1_11comp_targetILNS1_3genE10ELNS1_11target_archE1200ELNS1_3gpuE4ELNS1_3repE0EEENS1_30default_config_static_selectorELNS0_4arch9wavefront6targetE0EEEvSY_,comdat
	.globl	_ZN7rocprim17ROCPRIM_400000_NS6detail17trampoline_kernelINS0_13select_configILj256ELj13ELNS0_17block_load_methodE3ELS4_3ELS4_3ELNS0_20block_scan_algorithmE0ELj4294967295EEENS1_25partition_config_selectorILNS1_17partition_subalgoE3EjNS0_10empty_typeEbEEZZNS1_14partition_implILS8_3ELb0ES6_jNS0_17counting_iteratorIjlEEPS9_SE_NS0_5tupleIJPjSE_EEENSF_IJSE_SE_EEES9_SG_JZNS1_25segmented_radix_sort_implINS0_14default_configELb1EPKsPsPKlPlN2at6native12_GLOBAL__N_18offset_tEEE10hipError_tPvRmT1_PNSt15iterator_traitsISY_E10value_typeET2_T3_PNSZ_IS14_E10value_typeET4_jRbjT5_S1A_jjP12ihipStream_tbEUljE_EEESV_SW_SX_S14_S18_S1A_T6_T7_T9_mT8_S1C_bDpT10_ENKUlT_T0_E_clISt17integral_constantIbLb1EES1O_IbLb0EEEEDaS1K_S1L_EUlS1K_E_NS1_11comp_targetILNS1_3genE10ELNS1_11target_archE1200ELNS1_3gpuE4ELNS1_3repE0EEENS1_30default_config_static_selectorELNS0_4arch9wavefront6targetE0EEEvSY_ ; -- Begin function _ZN7rocprim17ROCPRIM_400000_NS6detail17trampoline_kernelINS0_13select_configILj256ELj13ELNS0_17block_load_methodE3ELS4_3ELS4_3ELNS0_20block_scan_algorithmE0ELj4294967295EEENS1_25partition_config_selectorILNS1_17partition_subalgoE3EjNS0_10empty_typeEbEEZZNS1_14partition_implILS8_3ELb0ES6_jNS0_17counting_iteratorIjlEEPS9_SE_NS0_5tupleIJPjSE_EEENSF_IJSE_SE_EEES9_SG_JZNS1_25segmented_radix_sort_implINS0_14default_configELb1EPKsPsPKlPlN2at6native12_GLOBAL__N_18offset_tEEE10hipError_tPvRmT1_PNSt15iterator_traitsISY_E10value_typeET2_T3_PNSZ_IS14_E10value_typeET4_jRbjT5_S1A_jjP12ihipStream_tbEUljE_EEESV_SW_SX_S14_S18_S1A_T6_T7_T9_mT8_S1C_bDpT10_ENKUlT_T0_E_clISt17integral_constantIbLb1EES1O_IbLb0EEEEDaS1K_S1L_EUlS1K_E_NS1_11comp_targetILNS1_3genE10ELNS1_11target_archE1200ELNS1_3gpuE4ELNS1_3repE0EEENS1_30default_config_static_selectorELNS0_4arch9wavefront6targetE0EEEvSY_
	.p2align	8
	.type	_ZN7rocprim17ROCPRIM_400000_NS6detail17trampoline_kernelINS0_13select_configILj256ELj13ELNS0_17block_load_methodE3ELS4_3ELS4_3ELNS0_20block_scan_algorithmE0ELj4294967295EEENS1_25partition_config_selectorILNS1_17partition_subalgoE3EjNS0_10empty_typeEbEEZZNS1_14partition_implILS8_3ELb0ES6_jNS0_17counting_iteratorIjlEEPS9_SE_NS0_5tupleIJPjSE_EEENSF_IJSE_SE_EEES9_SG_JZNS1_25segmented_radix_sort_implINS0_14default_configELb1EPKsPsPKlPlN2at6native12_GLOBAL__N_18offset_tEEE10hipError_tPvRmT1_PNSt15iterator_traitsISY_E10value_typeET2_T3_PNSZ_IS14_E10value_typeET4_jRbjT5_S1A_jjP12ihipStream_tbEUljE_EEESV_SW_SX_S14_S18_S1A_T6_T7_T9_mT8_S1C_bDpT10_ENKUlT_T0_E_clISt17integral_constantIbLb1EES1O_IbLb0EEEEDaS1K_S1L_EUlS1K_E_NS1_11comp_targetILNS1_3genE10ELNS1_11target_archE1200ELNS1_3gpuE4ELNS1_3repE0EEENS1_30default_config_static_selectorELNS0_4arch9wavefront6targetE0EEEvSY_,@function
_ZN7rocprim17ROCPRIM_400000_NS6detail17trampoline_kernelINS0_13select_configILj256ELj13ELNS0_17block_load_methodE3ELS4_3ELS4_3ELNS0_20block_scan_algorithmE0ELj4294967295EEENS1_25partition_config_selectorILNS1_17partition_subalgoE3EjNS0_10empty_typeEbEEZZNS1_14partition_implILS8_3ELb0ES6_jNS0_17counting_iteratorIjlEEPS9_SE_NS0_5tupleIJPjSE_EEENSF_IJSE_SE_EEES9_SG_JZNS1_25segmented_radix_sort_implINS0_14default_configELb1EPKsPsPKlPlN2at6native12_GLOBAL__N_18offset_tEEE10hipError_tPvRmT1_PNSt15iterator_traitsISY_E10value_typeET2_T3_PNSZ_IS14_E10value_typeET4_jRbjT5_S1A_jjP12ihipStream_tbEUljE_EEESV_SW_SX_S14_S18_S1A_T6_T7_T9_mT8_S1C_bDpT10_ENKUlT_T0_E_clISt17integral_constantIbLb1EES1O_IbLb0EEEEDaS1K_S1L_EUlS1K_E_NS1_11comp_targetILNS1_3genE10ELNS1_11target_archE1200ELNS1_3gpuE4ELNS1_3repE0EEENS1_30default_config_static_selectorELNS0_4arch9wavefront6targetE0EEEvSY_: ; @_ZN7rocprim17ROCPRIM_400000_NS6detail17trampoline_kernelINS0_13select_configILj256ELj13ELNS0_17block_load_methodE3ELS4_3ELS4_3ELNS0_20block_scan_algorithmE0ELj4294967295EEENS1_25partition_config_selectorILNS1_17partition_subalgoE3EjNS0_10empty_typeEbEEZZNS1_14partition_implILS8_3ELb0ES6_jNS0_17counting_iteratorIjlEEPS9_SE_NS0_5tupleIJPjSE_EEENSF_IJSE_SE_EEES9_SG_JZNS1_25segmented_radix_sort_implINS0_14default_configELb1EPKsPsPKlPlN2at6native12_GLOBAL__N_18offset_tEEE10hipError_tPvRmT1_PNSt15iterator_traitsISY_E10value_typeET2_T3_PNSZ_IS14_E10value_typeET4_jRbjT5_S1A_jjP12ihipStream_tbEUljE_EEESV_SW_SX_S14_S18_S1A_T6_T7_T9_mT8_S1C_bDpT10_ENKUlT_T0_E_clISt17integral_constantIbLb1EES1O_IbLb0EEEEDaS1K_S1L_EUlS1K_E_NS1_11comp_targetILNS1_3genE10ELNS1_11target_archE1200ELNS1_3gpuE4ELNS1_3repE0EEENS1_30default_config_static_selectorELNS0_4arch9wavefront6targetE0EEEvSY_
; %bb.0:
	s_endpgm
	.section	.rodata,"a",@progbits
	.p2align	6, 0x0
	.amdhsa_kernel _ZN7rocprim17ROCPRIM_400000_NS6detail17trampoline_kernelINS0_13select_configILj256ELj13ELNS0_17block_load_methodE3ELS4_3ELS4_3ELNS0_20block_scan_algorithmE0ELj4294967295EEENS1_25partition_config_selectorILNS1_17partition_subalgoE3EjNS0_10empty_typeEbEEZZNS1_14partition_implILS8_3ELb0ES6_jNS0_17counting_iteratorIjlEEPS9_SE_NS0_5tupleIJPjSE_EEENSF_IJSE_SE_EEES9_SG_JZNS1_25segmented_radix_sort_implINS0_14default_configELb1EPKsPsPKlPlN2at6native12_GLOBAL__N_18offset_tEEE10hipError_tPvRmT1_PNSt15iterator_traitsISY_E10value_typeET2_T3_PNSZ_IS14_E10value_typeET4_jRbjT5_S1A_jjP12ihipStream_tbEUljE_EEESV_SW_SX_S14_S18_S1A_T6_T7_T9_mT8_S1C_bDpT10_ENKUlT_T0_E_clISt17integral_constantIbLb1EES1O_IbLb0EEEEDaS1K_S1L_EUlS1K_E_NS1_11comp_targetILNS1_3genE10ELNS1_11target_archE1200ELNS1_3gpuE4ELNS1_3repE0EEENS1_30default_config_static_selectorELNS0_4arch9wavefront6targetE0EEEvSY_
		.amdhsa_group_segment_fixed_size 0
		.amdhsa_private_segment_fixed_size 0
		.amdhsa_kernarg_size 144
		.amdhsa_user_sgpr_count 2
		.amdhsa_user_sgpr_dispatch_ptr 0
		.amdhsa_user_sgpr_queue_ptr 0
		.amdhsa_user_sgpr_kernarg_segment_ptr 1
		.amdhsa_user_sgpr_dispatch_id 0
		.amdhsa_user_sgpr_private_segment_size 0
		.amdhsa_wavefront_size32 1
		.amdhsa_uses_dynamic_stack 0
		.amdhsa_enable_private_segment 0
		.amdhsa_system_sgpr_workgroup_id_x 1
		.amdhsa_system_sgpr_workgroup_id_y 0
		.amdhsa_system_sgpr_workgroup_id_z 0
		.amdhsa_system_sgpr_workgroup_info 0
		.amdhsa_system_vgpr_workitem_id 0
		.amdhsa_next_free_vgpr 1
		.amdhsa_next_free_sgpr 1
		.amdhsa_reserve_vcc 0
		.amdhsa_float_round_mode_32 0
		.amdhsa_float_round_mode_16_64 0
		.amdhsa_float_denorm_mode_32 3
		.amdhsa_float_denorm_mode_16_64 3
		.amdhsa_fp16_overflow 0
		.amdhsa_workgroup_processor_mode 1
		.amdhsa_memory_ordered 1
		.amdhsa_forward_progress 1
		.amdhsa_inst_pref_size 1
		.amdhsa_round_robin_scheduling 0
		.amdhsa_exception_fp_ieee_invalid_op 0
		.amdhsa_exception_fp_denorm_src 0
		.amdhsa_exception_fp_ieee_div_zero 0
		.amdhsa_exception_fp_ieee_overflow 0
		.amdhsa_exception_fp_ieee_underflow 0
		.amdhsa_exception_fp_ieee_inexact 0
		.amdhsa_exception_int_div_zero 0
	.end_amdhsa_kernel
	.section	.text._ZN7rocprim17ROCPRIM_400000_NS6detail17trampoline_kernelINS0_13select_configILj256ELj13ELNS0_17block_load_methodE3ELS4_3ELS4_3ELNS0_20block_scan_algorithmE0ELj4294967295EEENS1_25partition_config_selectorILNS1_17partition_subalgoE3EjNS0_10empty_typeEbEEZZNS1_14partition_implILS8_3ELb0ES6_jNS0_17counting_iteratorIjlEEPS9_SE_NS0_5tupleIJPjSE_EEENSF_IJSE_SE_EEES9_SG_JZNS1_25segmented_radix_sort_implINS0_14default_configELb1EPKsPsPKlPlN2at6native12_GLOBAL__N_18offset_tEEE10hipError_tPvRmT1_PNSt15iterator_traitsISY_E10value_typeET2_T3_PNSZ_IS14_E10value_typeET4_jRbjT5_S1A_jjP12ihipStream_tbEUljE_EEESV_SW_SX_S14_S18_S1A_T6_T7_T9_mT8_S1C_bDpT10_ENKUlT_T0_E_clISt17integral_constantIbLb1EES1O_IbLb0EEEEDaS1K_S1L_EUlS1K_E_NS1_11comp_targetILNS1_3genE10ELNS1_11target_archE1200ELNS1_3gpuE4ELNS1_3repE0EEENS1_30default_config_static_selectorELNS0_4arch9wavefront6targetE0EEEvSY_,"axG",@progbits,_ZN7rocprim17ROCPRIM_400000_NS6detail17trampoline_kernelINS0_13select_configILj256ELj13ELNS0_17block_load_methodE3ELS4_3ELS4_3ELNS0_20block_scan_algorithmE0ELj4294967295EEENS1_25partition_config_selectorILNS1_17partition_subalgoE3EjNS0_10empty_typeEbEEZZNS1_14partition_implILS8_3ELb0ES6_jNS0_17counting_iteratorIjlEEPS9_SE_NS0_5tupleIJPjSE_EEENSF_IJSE_SE_EEES9_SG_JZNS1_25segmented_radix_sort_implINS0_14default_configELb1EPKsPsPKlPlN2at6native12_GLOBAL__N_18offset_tEEE10hipError_tPvRmT1_PNSt15iterator_traitsISY_E10value_typeET2_T3_PNSZ_IS14_E10value_typeET4_jRbjT5_S1A_jjP12ihipStream_tbEUljE_EEESV_SW_SX_S14_S18_S1A_T6_T7_T9_mT8_S1C_bDpT10_ENKUlT_T0_E_clISt17integral_constantIbLb1EES1O_IbLb0EEEEDaS1K_S1L_EUlS1K_E_NS1_11comp_targetILNS1_3genE10ELNS1_11target_archE1200ELNS1_3gpuE4ELNS1_3repE0EEENS1_30default_config_static_selectorELNS0_4arch9wavefront6targetE0EEEvSY_,comdat
.Lfunc_end900:
	.size	_ZN7rocprim17ROCPRIM_400000_NS6detail17trampoline_kernelINS0_13select_configILj256ELj13ELNS0_17block_load_methodE3ELS4_3ELS4_3ELNS0_20block_scan_algorithmE0ELj4294967295EEENS1_25partition_config_selectorILNS1_17partition_subalgoE3EjNS0_10empty_typeEbEEZZNS1_14partition_implILS8_3ELb0ES6_jNS0_17counting_iteratorIjlEEPS9_SE_NS0_5tupleIJPjSE_EEENSF_IJSE_SE_EEES9_SG_JZNS1_25segmented_radix_sort_implINS0_14default_configELb1EPKsPsPKlPlN2at6native12_GLOBAL__N_18offset_tEEE10hipError_tPvRmT1_PNSt15iterator_traitsISY_E10value_typeET2_T3_PNSZ_IS14_E10value_typeET4_jRbjT5_S1A_jjP12ihipStream_tbEUljE_EEESV_SW_SX_S14_S18_S1A_T6_T7_T9_mT8_S1C_bDpT10_ENKUlT_T0_E_clISt17integral_constantIbLb1EES1O_IbLb0EEEEDaS1K_S1L_EUlS1K_E_NS1_11comp_targetILNS1_3genE10ELNS1_11target_archE1200ELNS1_3gpuE4ELNS1_3repE0EEENS1_30default_config_static_selectorELNS0_4arch9wavefront6targetE0EEEvSY_, .Lfunc_end900-_ZN7rocprim17ROCPRIM_400000_NS6detail17trampoline_kernelINS0_13select_configILj256ELj13ELNS0_17block_load_methodE3ELS4_3ELS4_3ELNS0_20block_scan_algorithmE0ELj4294967295EEENS1_25partition_config_selectorILNS1_17partition_subalgoE3EjNS0_10empty_typeEbEEZZNS1_14partition_implILS8_3ELb0ES6_jNS0_17counting_iteratorIjlEEPS9_SE_NS0_5tupleIJPjSE_EEENSF_IJSE_SE_EEES9_SG_JZNS1_25segmented_radix_sort_implINS0_14default_configELb1EPKsPsPKlPlN2at6native12_GLOBAL__N_18offset_tEEE10hipError_tPvRmT1_PNSt15iterator_traitsISY_E10value_typeET2_T3_PNSZ_IS14_E10value_typeET4_jRbjT5_S1A_jjP12ihipStream_tbEUljE_EEESV_SW_SX_S14_S18_S1A_T6_T7_T9_mT8_S1C_bDpT10_ENKUlT_T0_E_clISt17integral_constantIbLb1EES1O_IbLb0EEEEDaS1K_S1L_EUlS1K_E_NS1_11comp_targetILNS1_3genE10ELNS1_11target_archE1200ELNS1_3gpuE4ELNS1_3repE0EEENS1_30default_config_static_selectorELNS0_4arch9wavefront6targetE0EEEvSY_
                                        ; -- End function
	.set _ZN7rocprim17ROCPRIM_400000_NS6detail17trampoline_kernelINS0_13select_configILj256ELj13ELNS0_17block_load_methodE3ELS4_3ELS4_3ELNS0_20block_scan_algorithmE0ELj4294967295EEENS1_25partition_config_selectorILNS1_17partition_subalgoE3EjNS0_10empty_typeEbEEZZNS1_14partition_implILS8_3ELb0ES6_jNS0_17counting_iteratorIjlEEPS9_SE_NS0_5tupleIJPjSE_EEENSF_IJSE_SE_EEES9_SG_JZNS1_25segmented_radix_sort_implINS0_14default_configELb1EPKsPsPKlPlN2at6native12_GLOBAL__N_18offset_tEEE10hipError_tPvRmT1_PNSt15iterator_traitsISY_E10value_typeET2_T3_PNSZ_IS14_E10value_typeET4_jRbjT5_S1A_jjP12ihipStream_tbEUljE_EEESV_SW_SX_S14_S18_S1A_T6_T7_T9_mT8_S1C_bDpT10_ENKUlT_T0_E_clISt17integral_constantIbLb1EES1O_IbLb0EEEEDaS1K_S1L_EUlS1K_E_NS1_11comp_targetILNS1_3genE10ELNS1_11target_archE1200ELNS1_3gpuE4ELNS1_3repE0EEENS1_30default_config_static_selectorELNS0_4arch9wavefront6targetE0EEEvSY_.num_vgpr, 0
	.set _ZN7rocprim17ROCPRIM_400000_NS6detail17trampoline_kernelINS0_13select_configILj256ELj13ELNS0_17block_load_methodE3ELS4_3ELS4_3ELNS0_20block_scan_algorithmE0ELj4294967295EEENS1_25partition_config_selectorILNS1_17partition_subalgoE3EjNS0_10empty_typeEbEEZZNS1_14partition_implILS8_3ELb0ES6_jNS0_17counting_iteratorIjlEEPS9_SE_NS0_5tupleIJPjSE_EEENSF_IJSE_SE_EEES9_SG_JZNS1_25segmented_radix_sort_implINS0_14default_configELb1EPKsPsPKlPlN2at6native12_GLOBAL__N_18offset_tEEE10hipError_tPvRmT1_PNSt15iterator_traitsISY_E10value_typeET2_T3_PNSZ_IS14_E10value_typeET4_jRbjT5_S1A_jjP12ihipStream_tbEUljE_EEESV_SW_SX_S14_S18_S1A_T6_T7_T9_mT8_S1C_bDpT10_ENKUlT_T0_E_clISt17integral_constantIbLb1EES1O_IbLb0EEEEDaS1K_S1L_EUlS1K_E_NS1_11comp_targetILNS1_3genE10ELNS1_11target_archE1200ELNS1_3gpuE4ELNS1_3repE0EEENS1_30default_config_static_selectorELNS0_4arch9wavefront6targetE0EEEvSY_.num_agpr, 0
	.set _ZN7rocprim17ROCPRIM_400000_NS6detail17trampoline_kernelINS0_13select_configILj256ELj13ELNS0_17block_load_methodE3ELS4_3ELS4_3ELNS0_20block_scan_algorithmE0ELj4294967295EEENS1_25partition_config_selectorILNS1_17partition_subalgoE3EjNS0_10empty_typeEbEEZZNS1_14partition_implILS8_3ELb0ES6_jNS0_17counting_iteratorIjlEEPS9_SE_NS0_5tupleIJPjSE_EEENSF_IJSE_SE_EEES9_SG_JZNS1_25segmented_radix_sort_implINS0_14default_configELb1EPKsPsPKlPlN2at6native12_GLOBAL__N_18offset_tEEE10hipError_tPvRmT1_PNSt15iterator_traitsISY_E10value_typeET2_T3_PNSZ_IS14_E10value_typeET4_jRbjT5_S1A_jjP12ihipStream_tbEUljE_EEESV_SW_SX_S14_S18_S1A_T6_T7_T9_mT8_S1C_bDpT10_ENKUlT_T0_E_clISt17integral_constantIbLb1EES1O_IbLb0EEEEDaS1K_S1L_EUlS1K_E_NS1_11comp_targetILNS1_3genE10ELNS1_11target_archE1200ELNS1_3gpuE4ELNS1_3repE0EEENS1_30default_config_static_selectorELNS0_4arch9wavefront6targetE0EEEvSY_.numbered_sgpr, 0
	.set _ZN7rocprim17ROCPRIM_400000_NS6detail17trampoline_kernelINS0_13select_configILj256ELj13ELNS0_17block_load_methodE3ELS4_3ELS4_3ELNS0_20block_scan_algorithmE0ELj4294967295EEENS1_25partition_config_selectorILNS1_17partition_subalgoE3EjNS0_10empty_typeEbEEZZNS1_14partition_implILS8_3ELb0ES6_jNS0_17counting_iteratorIjlEEPS9_SE_NS0_5tupleIJPjSE_EEENSF_IJSE_SE_EEES9_SG_JZNS1_25segmented_radix_sort_implINS0_14default_configELb1EPKsPsPKlPlN2at6native12_GLOBAL__N_18offset_tEEE10hipError_tPvRmT1_PNSt15iterator_traitsISY_E10value_typeET2_T3_PNSZ_IS14_E10value_typeET4_jRbjT5_S1A_jjP12ihipStream_tbEUljE_EEESV_SW_SX_S14_S18_S1A_T6_T7_T9_mT8_S1C_bDpT10_ENKUlT_T0_E_clISt17integral_constantIbLb1EES1O_IbLb0EEEEDaS1K_S1L_EUlS1K_E_NS1_11comp_targetILNS1_3genE10ELNS1_11target_archE1200ELNS1_3gpuE4ELNS1_3repE0EEENS1_30default_config_static_selectorELNS0_4arch9wavefront6targetE0EEEvSY_.num_named_barrier, 0
	.set _ZN7rocprim17ROCPRIM_400000_NS6detail17trampoline_kernelINS0_13select_configILj256ELj13ELNS0_17block_load_methodE3ELS4_3ELS4_3ELNS0_20block_scan_algorithmE0ELj4294967295EEENS1_25partition_config_selectorILNS1_17partition_subalgoE3EjNS0_10empty_typeEbEEZZNS1_14partition_implILS8_3ELb0ES6_jNS0_17counting_iteratorIjlEEPS9_SE_NS0_5tupleIJPjSE_EEENSF_IJSE_SE_EEES9_SG_JZNS1_25segmented_radix_sort_implINS0_14default_configELb1EPKsPsPKlPlN2at6native12_GLOBAL__N_18offset_tEEE10hipError_tPvRmT1_PNSt15iterator_traitsISY_E10value_typeET2_T3_PNSZ_IS14_E10value_typeET4_jRbjT5_S1A_jjP12ihipStream_tbEUljE_EEESV_SW_SX_S14_S18_S1A_T6_T7_T9_mT8_S1C_bDpT10_ENKUlT_T0_E_clISt17integral_constantIbLb1EES1O_IbLb0EEEEDaS1K_S1L_EUlS1K_E_NS1_11comp_targetILNS1_3genE10ELNS1_11target_archE1200ELNS1_3gpuE4ELNS1_3repE0EEENS1_30default_config_static_selectorELNS0_4arch9wavefront6targetE0EEEvSY_.private_seg_size, 0
	.set _ZN7rocprim17ROCPRIM_400000_NS6detail17trampoline_kernelINS0_13select_configILj256ELj13ELNS0_17block_load_methodE3ELS4_3ELS4_3ELNS0_20block_scan_algorithmE0ELj4294967295EEENS1_25partition_config_selectorILNS1_17partition_subalgoE3EjNS0_10empty_typeEbEEZZNS1_14partition_implILS8_3ELb0ES6_jNS0_17counting_iteratorIjlEEPS9_SE_NS0_5tupleIJPjSE_EEENSF_IJSE_SE_EEES9_SG_JZNS1_25segmented_radix_sort_implINS0_14default_configELb1EPKsPsPKlPlN2at6native12_GLOBAL__N_18offset_tEEE10hipError_tPvRmT1_PNSt15iterator_traitsISY_E10value_typeET2_T3_PNSZ_IS14_E10value_typeET4_jRbjT5_S1A_jjP12ihipStream_tbEUljE_EEESV_SW_SX_S14_S18_S1A_T6_T7_T9_mT8_S1C_bDpT10_ENKUlT_T0_E_clISt17integral_constantIbLb1EES1O_IbLb0EEEEDaS1K_S1L_EUlS1K_E_NS1_11comp_targetILNS1_3genE10ELNS1_11target_archE1200ELNS1_3gpuE4ELNS1_3repE0EEENS1_30default_config_static_selectorELNS0_4arch9wavefront6targetE0EEEvSY_.uses_vcc, 0
	.set _ZN7rocprim17ROCPRIM_400000_NS6detail17trampoline_kernelINS0_13select_configILj256ELj13ELNS0_17block_load_methodE3ELS4_3ELS4_3ELNS0_20block_scan_algorithmE0ELj4294967295EEENS1_25partition_config_selectorILNS1_17partition_subalgoE3EjNS0_10empty_typeEbEEZZNS1_14partition_implILS8_3ELb0ES6_jNS0_17counting_iteratorIjlEEPS9_SE_NS0_5tupleIJPjSE_EEENSF_IJSE_SE_EEES9_SG_JZNS1_25segmented_radix_sort_implINS0_14default_configELb1EPKsPsPKlPlN2at6native12_GLOBAL__N_18offset_tEEE10hipError_tPvRmT1_PNSt15iterator_traitsISY_E10value_typeET2_T3_PNSZ_IS14_E10value_typeET4_jRbjT5_S1A_jjP12ihipStream_tbEUljE_EEESV_SW_SX_S14_S18_S1A_T6_T7_T9_mT8_S1C_bDpT10_ENKUlT_T0_E_clISt17integral_constantIbLb1EES1O_IbLb0EEEEDaS1K_S1L_EUlS1K_E_NS1_11comp_targetILNS1_3genE10ELNS1_11target_archE1200ELNS1_3gpuE4ELNS1_3repE0EEENS1_30default_config_static_selectorELNS0_4arch9wavefront6targetE0EEEvSY_.uses_flat_scratch, 0
	.set _ZN7rocprim17ROCPRIM_400000_NS6detail17trampoline_kernelINS0_13select_configILj256ELj13ELNS0_17block_load_methodE3ELS4_3ELS4_3ELNS0_20block_scan_algorithmE0ELj4294967295EEENS1_25partition_config_selectorILNS1_17partition_subalgoE3EjNS0_10empty_typeEbEEZZNS1_14partition_implILS8_3ELb0ES6_jNS0_17counting_iteratorIjlEEPS9_SE_NS0_5tupleIJPjSE_EEENSF_IJSE_SE_EEES9_SG_JZNS1_25segmented_radix_sort_implINS0_14default_configELb1EPKsPsPKlPlN2at6native12_GLOBAL__N_18offset_tEEE10hipError_tPvRmT1_PNSt15iterator_traitsISY_E10value_typeET2_T3_PNSZ_IS14_E10value_typeET4_jRbjT5_S1A_jjP12ihipStream_tbEUljE_EEESV_SW_SX_S14_S18_S1A_T6_T7_T9_mT8_S1C_bDpT10_ENKUlT_T0_E_clISt17integral_constantIbLb1EES1O_IbLb0EEEEDaS1K_S1L_EUlS1K_E_NS1_11comp_targetILNS1_3genE10ELNS1_11target_archE1200ELNS1_3gpuE4ELNS1_3repE0EEENS1_30default_config_static_selectorELNS0_4arch9wavefront6targetE0EEEvSY_.has_dyn_sized_stack, 0
	.set _ZN7rocprim17ROCPRIM_400000_NS6detail17trampoline_kernelINS0_13select_configILj256ELj13ELNS0_17block_load_methodE3ELS4_3ELS4_3ELNS0_20block_scan_algorithmE0ELj4294967295EEENS1_25partition_config_selectorILNS1_17partition_subalgoE3EjNS0_10empty_typeEbEEZZNS1_14partition_implILS8_3ELb0ES6_jNS0_17counting_iteratorIjlEEPS9_SE_NS0_5tupleIJPjSE_EEENSF_IJSE_SE_EEES9_SG_JZNS1_25segmented_radix_sort_implINS0_14default_configELb1EPKsPsPKlPlN2at6native12_GLOBAL__N_18offset_tEEE10hipError_tPvRmT1_PNSt15iterator_traitsISY_E10value_typeET2_T3_PNSZ_IS14_E10value_typeET4_jRbjT5_S1A_jjP12ihipStream_tbEUljE_EEESV_SW_SX_S14_S18_S1A_T6_T7_T9_mT8_S1C_bDpT10_ENKUlT_T0_E_clISt17integral_constantIbLb1EES1O_IbLb0EEEEDaS1K_S1L_EUlS1K_E_NS1_11comp_targetILNS1_3genE10ELNS1_11target_archE1200ELNS1_3gpuE4ELNS1_3repE0EEENS1_30default_config_static_selectorELNS0_4arch9wavefront6targetE0EEEvSY_.has_recursion, 0
	.set _ZN7rocprim17ROCPRIM_400000_NS6detail17trampoline_kernelINS0_13select_configILj256ELj13ELNS0_17block_load_methodE3ELS4_3ELS4_3ELNS0_20block_scan_algorithmE0ELj4294967295EEENS1_25partition_config_selectorILNS1_17partition_subalgoE3EjNS0_10empty_typeEbEEZZNS1_14partition_implILS8_3ELb0ES6_jNS0_17counting_iteratorIjlEEPS9_SE_NS0_5tupleIJPjSE_EEENSF_IJSE_SE_EEES9_SG_JZNS1_25segmented_radix_sort_implINS0_14default_configELb1EPKsPsPKlPlN2at6native12_GLOBAL__N_18offset_tEEE10hipError_tPvRmT1_PNSt15iterator_traitsISY_E10value_typeET2_T3_PNSZ_IS14_E10value_typeET4_jRbjT5_S1A_jjP12ihipStream_tbEUljE_EEESV_SW_SX_S14_S18_S1A_T6_T7_T9_mT8_S1C_bDpT10_ENKUlT_T0_E_clISt17integral_constantIbLb1EES1O_IbLb0EEEEDaS1K_S1L_EUlS1K_E_NS1_11comp_targetILNS1_3genE10ELNS1_11target_archE1200ELNS1_3gpuE4ELNS1_3repE0EEENS1_30default_config_static_selectorELNS0_4arch9wavefront6targetE0EEEvSY_.has_indirect_call, 0
	.section	.AMDGPU.csdata,"",@progbits
; Kernel info:
; codeLenInByte = 4
; TotalNumSgprs: 0
; NumVgprs: 0
; ScratchSize: 0
; MemoryBound: 0
; FloatMode: 240
; IeeeMode: 1
; LDSByteSize: 0 bytes/workgroup (compile time only)
; SGPRBlocks: 0
; VGPRBlocks: 0
; NumSGPRsForWavesPerEU: 1
; NumVGPRsForWavesPerEU: 1
; Occupancy: 16
; WaveLimiterHint : 0
; COMPUTE_PGM_RSRC2:SCRATCH_EN: 0
; COMPUTE_PGM_RSRC2:USER_SGPR: 2
; COMPUTE_PGM_RSRC2:TRAP_HANDLER: 0
; COMPUTE_PGM_RSRC2:TGID_X_EN: 1
; COMPUTE_PGM_RSRC2:TGID_Y_EN: 0
; COMPUTE_PGM_RSRC2:TGID_Z_EN: 0
; COMPUTE_PGM_RSRC2:TIDIG_COMP_CNT: 0
	.section	.text._ZN7rocprim17ROCPRIM_400000_NS6detail17trampoline_kernelINS0_13select_configILj256ELj13ELNS0_17block_load_methodE3ELS4_3ELS4_3ELNS0_20block_scan_algorithmE0ELj4294967295EEENS1_25partition_config_selectorILNS1_17partition_subalgoE3EjNS0_10empty_typeEbEEZZNS1_14partition_implILS8_3ELb0ES6_jNS0_17counting_iteratorIjlEEPS9_SE_NS0_5tupleIJPjSE_EEENSF_IJSE_SE_EEES9_SG_JZNS1_25segmented_radix_sort_implINS0_14default_configELb1EPKsPsPKlPlN2at6native12_GLOBAL__N_18offset_tEEE10hipError_tPvRmT1_PNSt15iterator_traitsISY_E10value_typeET2_T3_PNSZ_IS14_E10value_typeET4_jRbjT5_S1A_jjP12ihipStream_tbEUljE_EEESV_SW_SX_S14_S18_S1A_T6_T7_T9_mT8_S1C_bDpT10_ENKUlT_T0_E_clISt17integral_constantIbLb1EES1O_IbLb0EEEEDaS1K_S1L_EUlS1K_E_NS1_11comp_targetILNS1_3genE9ELNS1_11target_archE1100ELNS1_3gpuE3ELNS1_3repE0EEENS1_30default_config_static_selectorELNS0_4arch9wavefront6targetE0EEEvSY_,"axG",@progbits,_ZN7rocprim17ROCPRIM_400000_NS6detail17trampoline_kernelINS0_13select_configILj256ELj13ELNS0_17block_load_methodE3ELS4_3ELS4_3ELNS0_20block_scan_algorithmE0ELj4294967295EEENS1_25partition_config_selectorILNS1_17partition_subalgoE3EjNS0_10empty_typeEbEEZZNS1_14partition_implILS8_3ELb0ES6_jNS0_17counting_iteratorIjlEEPS9_SE_NS0_5tupleIJPjSE_EEENSF_IJSE_SE_EEES9_SG_JZNS1_25segmented_radix_sort_implINS0_14default_configELb1EPKsPsPKlPlN2at6native12_GLOBAL__N_18offset_tEEE10hipError_tPvRmT1_PNSt15iterator_traitsISY_E10value_typeET2_T3_PNSZ_IS14_E10value_typeET4_jRbjT5_S1A_jjP12ihipStream_tbEUljE_EEESV_SW_SX_S14_S18_S1A_T6_T7_T9_mT8_S1C_bDpT10_ENKUlT_T0_E_clISt17integral_constantIbLb1EES1O_IbLb0EEEEDaS1K_S1L_EUlS1K_E_NS1_11comp_targetILNS1_3genE9ELNS1_11target_archE1100ELNS1_3gpuE3ELNS1_3repE0EEENS1_30default_config_static_selectorELNS0_4arch9wavefront6targetE0EEEvSY_,comdat
	.globl	_ZN7rocprim17ROCPRIM_400000_NS6detail17trampoline_kernelINS0_13select_configILj256ELj13ELNS0_17block_load_methodE3ELS4_3ELS4_3ELNS0_20block_scan_algorithmE0ELj4294967295EEENS1_25partition_config_selectorILNS1_17partition_subalgoE3EjNS0_10empty_typeEbEEZZNS1_14partition_implILS8_3ELb0ES6_jNS0_17counting_iteratorIjlEEPS9_SE_NS0_5tupleIJPjSE_EEENSF_IJSE_SE_EEES9_SG_JZNS1_25segmented_radix_sort_implINS0_14default_configELb1EPKsPsPKlPlN2at6native12_GLOBAL__N_18offset_tEEE10hipError_tPvRmT1_PNSt15iterator_traitsISY_E10value_typeET2_T3_PNSZ_IS14_E10value_typeET4_jRbjT5_S1A_jjP12ihipStream_tbEUljE_EEESV_SW_SX_S14_S18_S1A_T6_T7_T9_mT8_S1C_bDpT10_ENKUlT_T0_E_clISt17integral_constantIbLb1EES1O_IbLb0EEEEDaS1K_S1L_EUlS1K_E_NS1_11comp_targetILNS1_3genE9ELNS1_11target_archE1100ELNS1_3gpuE3ELNS1_3repE0EEENS1_30default_config_static_selectorELNS0_4arch9wavefront6targetE0EEEvSY_ ; -- Begin function _ZN7rocprim17ROCPRIM_400000_NS6detail17trampoline_kernelINS0_13select_configILj256ELj13ELNS0_17block_load_methodE3ELS4_3ELS4_3ELNS0_20block_scan_algorithmE0ELj4294967295EEENS1_25partition_config_selectorILNS1_17partition_subalgoE3EjNS0_10empty_typeEbEEZZNS1_14partition_implILS8_3ELb0ES6_jNS0_17counting_iteratorIjlEEPS9_SE_NS0_5tupleIJPjSE_EEENSF_IJSE_SE_EEES9_SG_JZNS1_25segmented_radix_sort_implINS0_14default_configELb1EPKsPsPKlPlN2at6native12_GLOBAL__N_18offset_tEEE10hipError_tPvRmT1_PNSt15iterator_traitsISY_E10value_typeET2_T3_PNSZ_IS14_E10value_typeET4_jRbjT5_S1A_jjP12ihipStream_tbEUljE_EEESV_SW_SX_S14_S18_S1A_T6_T7_T9_mT8_S1C_bDpT10_ENKUlT_T0_E_clISt17integral_constantIbLb1EES1O_IbLb0EEEEDaS1K_S1L_EUlS1K_E_NS1_11comp_targetILNS1_3genE9ELNS1_11target_archE1100ELNS1_3gpuE3ELNS1_3repE0EEENS1_30default_config_static_selectorELNS0_4arch9wavefront6targetE0EEEvSY_
	.p2align	8
	.type	_ZN7rocprim17ROCPRIM_400000_NS6detail17trampoline_kernelINS0_13select_configILj256ELj13ELNS0_17block_load_methodE3ELS4_3ELS4_3ELNS0_20block_scan_algorithmE0ELj4294967295EEENS1_25partition_config_selectorILNS1_17partition_subalgoE3EjNS0_10empty_typeEbEEZZNS1_14partition_implILS8_3ELb0ES6_jNS0_17counting_iteratorIjlEEPS9_SE_NS0_5tupleIJPjSE_EEENSF_IJSE_SE_EEES9_SG_JZNS1_25segmented_radix_sort_implINS0_14default_configELb1EPKsPsPKlPlN2at6native12_GLOBAL__N_18offset_tEEE10hipError_tPvRmT1_PNSt15iterator_traitsISY_E10value_typeET2_T3_PNSZ_IS14_E10value_typeET4_jRbjT5_S1A_jjP12ihipStream_tbEUljE_EEESV_SW_SX_S14_S18_S1A_T6_T7_T9_mT8_S1C_bDpT10_ENKUlT_T0_E_clISt17integral_constantIbLb1EES1O_IbLb0EEEEDaS1K_S1L_EUlS1K_E_NS1_11comp_targetILNS1_3genE9ELNS1_11target_archE1100ELNS1_3gpuE3ELNS1_3repE0EEENS1_30default_config_static_selectorELNS0_4arch9wavefront6targetE0EEEvSY_,@function
_ZN7rocprim17ROCPRIM_400000_NS6detail17trampoline_kernelINS0_13select_configILj256ELj13ELNS0_17block_load_methodE3ELS4_3ELS4_3ELNS0_20block_scan_algorithmE0ELj4294967295EEENS1_25partition_config_selectorILNS1_17partition_subalgoE3EjNS0_10empty_typeEbEEZZNS1_14partition_implILS8_3ELb0ES6_jNS0_17counting_iteratorIjlEEPS9_SE_NS0_5tupleIJPjSE_EEENSF_IJSE_SE_EEES9_SG_JZNS1_25segmented_radix_sort_implINS0_14default_configELb1EPKsPsPKlPlN2at6native12_GLOBAL__N_18offset_tEEE10hipError_tPvRmT1_PNSt15iterator_traitsISY_E10value_typeET2_T3_PNSZ_IS14_E10value_typeET4_jRbjT5_S1A_jjP12ihipStream_tbEUljE_EEESV_SW_SX_S14_S18_S1A_T6_T7_T9_mT8_S1C_bDpT10_ENKUlT_T0_E_clISt17integral_constantIbLb1EES1O_IbLb0EEEEDaS1K_S1L_EUlS1K_E_NS1_11comp_targetILNS1_3genE9ELNS1_11target_archE1100ELNS1_3gpuE3ELNS1_3repE0EEENS1_30default_config_static_selectorELNS0_4arch9wavefront6targetE0EEEvSY_: ; @_ZN7rocprim17ROCPRIM_400000_NS6detail17trampoline_kernelINS0_13select_configILj256ELj13ELNS0_17block_load_methodE3ELS4_3ELS4_3ELNS0_20block_scan_algorithmE0ELj4294967295EEENS1_25partition_config_selectorILNS1_17partition_subalgoE3EjNS0_10empty_typeEbEEZZNS1_14partition_implILS8_3ELb0ES6_jNS0_17counting_iteratorIjlEEPS9_SE_NS0_5tupleIJPjSE_EEENSF_IJSE_SE_EEES9_SG_JZNS1_25segmented_radix_sort_implINS0_14default_configELb1EPKsPsPKlPlN2at6native12_GLOBAL__N_18offset_tEEE10hipError_tPvRmT1_PNSt15iterator_traitsISY_E10value_typeET2_T3_PNSZ_IS14_E10value_typeET4_jRbjT5_S1A_jjP12ihipStream_tbEUljE_EEESV_SW_SX_S14_S18_S1A_T6_T7_T9_mT8_S1C_bDpT10_ENKUlT_T0_E_clISt17integral_constantIbLb1EES1O_IbLb0EEEEDaS1K_S1L_EUlS1K_E_NS1_11comp_targetILNS1_3genE9ELNS1_11target_archE1100ELNS1_3gpuE3ELNS1_3repE0EEENS1_30default_config_static_selectorELNS0_4arch9wavefront6targetE0EEEvSY_
; %bb.0:
	.section	.rodata,"a",@progbits
	.p2align	6, 0x0
	.amdhsa_kernel _ZN7rocprim17ROCPRIM_400000_NS6detail17trampoline_kernelINS0_13select_configILj256ELj13ELNS0_17block_load_methodE3ELS4_3ELS4_3ELNS0_20block_scan_algorithmE0ELj4294967295EEENS1_25partition_config_selectorILNS1_17partition_subalgoE3EjNS0_10empty_typeEbEEZZNS1_14partition_implILS8_3ELb0ES6_jNS0_17counting_iteratorIjlEEPS9_SE_NS0_5tupleIJPjSE_EEENSF_IJSE_SE_EEES9_SG_JZNS1_25segmented_radix_sort_implINS0_14default_configELb1EPKsPsPKlPlN2at6native12_GLOBAL__N_18offset_tEEE10hipError_tPvRmT1_PNSt15iterator_traitsISY_E10value_typeET2_T3_PNSZ_IS14_E10value_typeET4_jRbjT5_S1A_jjP12ihipStream_tbEUljE_EEESV_SW_SX_S14_S18_S1A_T6_T7_T9_mT8_S1C_bDpT10_ENKUlT_T0_E_clISt17integral_constantIbLb1EES1O_IbLb0EEEEDaS1K_S1L_EUlS1K_E_NS1_11comp_targetILNS1_3genE9ELNS1_11target_archE1100ELNS1_3gpuE3ELNS1_3repE0EEENS1_30default_config_static_selectorELNS0_4arch9wavefront6targetE0EEEvSY_
		.amdhsa_group_segment_fixed_size 0
		.amdhsa_private_segment_fixed_size 0
		.amdhsa_kernarg_size 144
		.amdhsa_user_sgpr_count 2
		.amdhsa_user_sgpr_dispatch_ptr 0
		.amdhsa_user_sgpr_queue_ptr 0
		.amdhsa_user_sgpr_kernarg_segment_ptr 1
		.amdhsa_user_sgpr_dispatch_id 0
		.amdhsa_user_sgpr_private_segment_size 0
		.amdhsa_wavefront_size32 1
		.amdhsa_uses_dynamic_stack 0
		.amdhsa_enable_private_segment 0
		.amdhsa_system_sgpr_workgroup_id_x 1
		.amdhsa_system_sgpr_workgroup_id_y 0
		.amdhsa_system_sgpr_workgroup_id_z 0
		.amdhsa_system_sgpr_workgroup_info 0
		.amdhsa_system_vgpr_workitem_id 0
		.amdhsa_next_free_vgpr 1
		.amdhsa_next_free_sgpr 1
		.amdhsa_reserve_vcc 0
		.amdhsa_float_round_mode_32 0
		.amdhsa_float_round_mode_16_64 0
		.amdhsa_float_denorm_mode_32 3
		.amdhsa_float_denorm_mode_16_64 3
		.amdhsa_fp16_overflow 0
		.amdhsa_workgroup_processor_mode 1
		.amdhsa_memory_ordered 1
		.amdhsa_forward_progress 1
		.amdhsa_inst_pref_size 0
		.amdhsa_round_robin_scheduling 0
		.amdhsa_exception_fp_ieee_invalid_op 0
		.amdhsa_exception_fp_denorm_src 0
		.amdhsa_exception_fp_ieee_div_zero 0
		.amdhsa_exception_fp_ieee_overflow 0
		.amdhsa_exception_fp_ieee_underflow 0
		.amdhsa_exception_fp_ieee_inexact 0
		.amdhsa_exception_int_div_zero 0
	.end_amdhsa_kernel
	.section	.text._ZN7rocprim17ROCPRIM_400000_NS6detail17trampoline_kernelINS0_13select_configILj256ELj13ELNS0_17block_load_methodE3ELS4_3ELS4_3ELNS0_20block_scan_algorithmE0ELj4294967295EEENS1_25partition_config_selectorILNS1_17partition_subalgoE3EjNS0_10empty_typeEbEEZZNS1_14partition_implILS8_3ELb0ES6_jNS0_17counting_iteratorIjlEEPS9_SE_NS0_5tupleIJPjSE_EEENSF_IJSE_SE_EEES9_SG_JZNS1_25segmented_radix_sort_implINS0_14default_configELb1EPKsPsPKlPlN2at6native12_GLOBAL__N_18offset_tEEE10hipError_tPvRmT1_PNSt15iterator_traitsISY_E10value_typeET2_T3_PNSZ_IS14_E10value_typeET4_jRbjT5_S1A_jjP12ihipStream_tbEUljE_EEESV_SW_SX_S14_S18_S1A_T6_T7_T9_mT8_S1C_bDpT10_ENKUlT_T0_E_clISt17integral_constantIbLb1EES1O_IbLb0EEEEDaS1K_S1L_EUlS1K_E_NS1_11comp_targetILNS1_3genE9ELNS1_11target_archE1100ELNS1_3gpuE3ELNS1_3repE0EEENS1_30default_config_static_selectorELNS0_4arch9wavefront6targetE0EEEvSY_,"axG",@progbits,_ZN7rocprim17ROCPRIM_400000_NS6detail17trampoline_kernelINS0_13select_configILj256ELj13ELNS0_17block_load_methodE3ELS4_3ELS4_3ELNS0_20block_scan_algorithmE0ELj4294967295EEENS1_25partition_config_selectorILNS1_17partition_subalgoE3EjNS0_10empty_typeEbEEZZNS1_14partition_implILS8_3ELb0ES6_jNS0_17counting_iteratorIjlEEPS9_SE_NS0_5tupleIJPjSE_EEENSF_IJSE_SE_EEES9_SG_JZNS1_25segmented_radix_sort_implINS0_14default_configELb1EPKsPsPKlPlN2at6native12_GLOBAL__N_18offset_tEEE10hipError_tPvRmT1_PNSt15iterator_traitsISY_E10value_typeET2_T3_PNSZ_IS14_E10value_typeET4_jRbjT5_S1A_jjP12ihipStream_tbEUljE_EEESV_SW_SX_S14_S18_S1A_T6_T7_T9_mT8_S1C_bDpT10_ENKUlT_T0_E_clISt17integral_constantIbLb1EES1O_IbLb0EEEEDaS1K_S1L_EUlS1K_E_NS1_11comp_targetILNS1_3genE9ELNS1_11target_archE1100ELNS1_3gpuE3ELNS1_3repE0EEENS1_30default_config_static_selectorELNS0_4arch9wavefront6targetE0EEEvSY_,comdat
.Lfunc_end901:
	.size	_ZN7rocprim17ROCPRIM_400000_NS6detail17trampoline_kernelINS0_13select_configILj256ELj13ELNS0_17block_load_methodE3ELS4_3ELS4_3ELNS0_20block_scan_algorithmE0ELj4294967295EEENS1_25partition_config_selectorILNS1_17partition_subalgoE3EjNS0_10empty_typeEbEEZZNS1_14partition_implILS8_3ELb0ES6_jNS0_17counting_iteratorIjlEEPS9_SE_NS0_5tupleIJPjSE_EEENSF_IJSE_SE_EEES9_SG_JZNS1_25segmented_radix_sort_implINS0_14default_configELb1EPKsPsPKlPlN2at6native12_GLOBAL__N_18offset_tEEE10hipError_tPvRmT1_PNSt15iterator_traitsISY_E10value_typeET2_T3_PNSZ_IS14_E10value_typeET4_jRbjT5_S1A_jjP12ihipStream_tbEUljE_EEESV_SW_SX_S14_S18_S1A_T6_T7_T9_mT8_S1C_bDpT10_ENKUlT_T0_E_clISt17integral_constantIbLb1EES1O_IbLb0EEEEDaS1K_S1L_EUlS1K_E_NS1_11comp_targetILNS1_3genE9ELNS1_11target_archE1100ELNS1_3gpuE3ELNS1_3repE0EEENS1_30default_config_static_selectorELNS0_4arch9wavefront6targetE0EEEvSY_, .Lfunc_end901-_ZN7rocprim17ROCPRIM_400000_NS6detail17trampoline_kernelINS0_13select_configILj256ELj13ELNS0_17block_load_methodE3ELS4_3ELS4_3ELNS0_20block_scan_algorithmE0ELj4294967295EEENS1_25partition_config_selectorILNS1_17partition_subalgoE3EjNS0_10empty_typeEbEEZZNS1_14partition_implILS8_3ELb0ES6_jNS0_17counting_iteratorIjlEEPS9_SE_NS0_5tupleIJPjSE_EEENSF_IJSE_SE_EEES9_SG_JZNS1_25segmented_radix_sort_implINS0_14default_configELb1EPKsPsPKlPlN2at6native12_GLOBAL__N_18offset_tEEE10hipError_tPvRmT1_PNSt15iterator_traitsISY_E10value_typeET2_T3_PNSZ_IS14_E10value_typeET4_jRbjT5_S1A_jjP12ihipStream_tbEUljE_EEESV_SW_SX_S14_S18_S1A_T6_T7_T9_mT8_S1C_bDpT10_ENKUlT_T0_E_clISt17integral_constantIbLb1EES1O_IbLb0EEEEDaS1K_S1L_EUlS1K_E_NS1_11comp_targetILNS1_3genE9ELNS1_11target_archE1100ELNS1_3gpuE3ELNS1_3repE0EEENS1_30default_config_static_selectorELNS0_4arch9wavefront6targetE0EEEvSY_
                                        ; -- End function
	.set _ZN7rocprim17ROCPRIM_400000_NS6detail17trampoline_kernelINS0_13select_configILj256ELj13ELNS0_17block_load_methodE3ELS4_3ELS4_3ELNS0_20block_scan_algorithmE0ELj4294967295EEENS1_25partition_config_selectorILNS1_17partition_subalgoE3EjNS0_10empty_typeEbEEZZNS1_14partition_implILS8_3ELb0ES6_jNS0_17counting_iteratorIjlEEPS9_SE_NS0_5tupleIJPjSE_EEENSF_IJSE_SE_EEES9_SG_JZNS1_25segmented_radix_sort_implINS0_14default_configELb1EPKsPsPKlPlN2at6native12_GLOBAL__N_18offset_tEEE10hipError_tPvRmT1_PNSt15iterator_traitsISY_E10value_typeET2_T3_PNSZ_IS14_E10value_typeET4_jRbjT5_S1A_jjP12ihipStream_tbEUljE_EEESV_SW_SX_S14_S18_S1A_T6_T7_T9_mT8_S1C_bDpT10_ENKUlT_T0_E_clISt17integral_constantIbLb1EES1O_IbLb0EEEEDaS1K_S1L_EUlS1K_E_NS1_11comp_targetILNS1_3genE9ELNS1_11target_archE1100ELNS1_3gpuE3ELNS1_3repE0EEENS1_30default_config_static_selectorELNS0_4arch9wavefront6targetE0EEEvSY_.num_vgpr, 0
	.set _ZN7rocprim17ROCPRIM_400000_NS6detail17trampoline_kernelINS0_13select_configILj256ELj13ELNS0_17block_load_methodE3ELS4_3ELS4_3ELNS0_20block_scan_algorithmE0ELj4294967295EEENS1_25partition_config_selectorILNS1_17partition_subalgoE3EjNS0_10empty_typeEbEEZZNS1_14partition_implILS8_3ELb0ES6_jNS0_17counting_iteratorIjlEEPS9_SE_NS0_5tupleIJPjSE_EEENSF_IJSE_SE_EEES9_SG_JZNS1_25segmented_radix_sort_implINS0_14default_configELb1EPKsPsPKlPlN2at6native12_GLOBAL__N_18offset_tEEE10hipError_tPvRmT1_PNSt15iterator_traitsISY_E10value_typeET2_T3_PNSZ_IS14_E10value_typeET4_jRbjT5_S1A_jjP12ihipStream_tbEUljE_EEESV_SW_SX_S14_S18_S1A_T6_T7_T9_mT8_S1C_bDpT10_ENKUlT_T0_E_clISt17integral_constantIbLb1EES1O_IbLb0EEEEDaS1K_S1L_EUlS1K_E_NS1_11comp_targetILNS1_3genE9ELNS1_11target_archE1100ELNS1_3gpuE3ELNS1_3repE0EEENS1_30default_config_static_selectorELNS0_4arch9wavefront6targetE0EEEvSY_.num_agpr, 0
	.set _ZN7rocprim17ROCPRIM_400000_NS6detail17trampoline_kernelINS0_13select_configILj256ELj13ELNS0_17block_load_methodE3ELS4_3ELS4_3ELNS0_20block_scan_algorithmE0ELj4294967295EEENS1_25partition_config_selectorILNS1_17partition_subalgoE3EjNS0_10empty_typeEbEEZZNS1_14partition_implILS8_3ELb0ES6_jNS0_17counting_iteratorIjlEEPS9_SE_NS0_5tupleIJPjSE_EEENSF_IJSE_SE_EEES9_SG_JZNS1_25segmented_radix_sort_implINS0_14default_configELb1EPKsPsPKlPlN2at6native12_GLOBAL__N_18offset_tEEE10hipError_tPvRmT1_PNSt15iterator_traitsISY_E10value_typeET2_T3_PNSZ_IS14_E10value_typeET4_jRbjT5_S1A_jjP12ihipStream_tbEUljE_EEESV_SW_SX_S14_S18_S1A_T6_T7_T9_mT8_S1C_bDpT10_ENKUlT_T0_E_clISt17integral_constantIbLb1EES1O_IbLb0EEEEDaS1K_S1L_EUlS1K_E_NS1_11comp_targetILNS1_3genE9ELNS1_11target_archE1100ELNS1_3gpuE3ELNS1_3repE0EEENS1_30default_config_static_selectorELNS0_4arch9wavefront6targetE0EEEvSY_.numbered_sgpr, 0
	.set _ZN7rocprim17ROCPRIM_400000_NS6detail17trampoline_kernelINS0_13select_configILj256ELj13ELNS0_17block_load_methodE3ELS4_3ELS4_3ELNS0_20block_scan_algorithmE0ELj4294967295EEENS1_25partition_config_selectorILNS1_17partition_subalgoE3EjNS0_10empty_typeEbEEZZNS1_14partition_implILS8_3ELb0ES6_jNS0_17counting_iteratorIjlEEPS9_SE_NS0_5tupleIJPjSE_EEENSF_IJSE_SE_EEES9_SG_JZNS1_25segmented_radix_sort_implINS0_14default_configELb1EPKsPsPKlPlN2at6native12_GLOBAL__N_18offset_tEEE10hipError_tPvRmT1_PNSt15iterator_traitsISY_E10value_typeET2_T3_PNSZ_IS14_E10value_typeET4_jRbjT5_S1A_jjP12ihipStream_tbEUljE_EEESV_SW_SX_S14_S18_S1A_T6_T7_T9_mT8_S1C_bDpT10_ENKUlT_T0_E_clISt17integral_constantIbLb1EES1O_IbLb0EEEEDaS1K_S1L_EUlS1K_E_NS1_11comp_targetILNS1_3genE9ELNS1_11target_archE1100ELNS1_3gpuE3ELNS1_3repE0EEENS1_30default_config_static_selectorELNS0_4arch9wavefront6targetE0EEEvSY_.num_named_barrier, 0
	.set _ZN7rocprim17ROCPRIM_400000_NS6detail17trampoline_kernelINS0_13select_configILj256ELj13ELNS0_17block_load_methodE3ELS4_3ELS4_3ELNS0_20block_scan_algorithmE0ELj4294967295EEENS1_25partition_config_selectorILNS1_17partition_subalgoE3EjNS0_10empty_typeEbEEZZNS1_14partition_implILS8_3ELb0ES6_jNS0_17counting_iteratorIjlEEPS9_SE_NS0_5tupleIJPjSE_EEENSF_IJSE_SE_EEES9_SG_JZNS1_25segmented_radix_sort_implINS0_14default_configELb1EPKsPsPKlPlN2at6native12_GLOBAL__N_18offset_tEEE10hipError_tPvRmT1_PNSt15iterator_traitsISY_E10value_typeET2_T3_PNSZ_IS14_E10value_typeET4_jRbjT5_S1A_jjP12ihipStream_tbEUljE_EEESV_SW_SX_S14_S18_S1A_T6_T7_T9_mT8_S1C_bDpT10_ENKUlT_T0_E_clISt17integral_constantIbLb1EES1O_IbLb0EEEEDaS1K_S1L_EUlS1K_E_NS1_11comp_targetILNS1_3genE9ELNS1_11target_archE1100ELNS1_3gpuE3ELNS1_3repE0EEENS1_30default_config_static_selectorELNS0_4arch9wavefront6targetE0EEEvSY_.private_seg_size, 0
	.set _ZN7rocprim17ROCPRIM_400000_NS6detail17trampoline_kernelINS0_13select_configILj256ELj13ELNS0_17block_load_methodE3ELS4_3ELS4_3ELNS0_20block_scan_algorithmE0ELj4294967295EEENS1_25partition_config_selectorILNS1_17partition_subalgoE3EjNS0_10empty_typeEbEEZZNS1_14partition_implILS8_3ELb0ES6_jNS0_17counting_iteratorIjlEEPS9_SE_NS0_5tupleIJPjSE_EEENSF_IJSE_SE_EEES9_SG_JZNS1_25segmented_radix_sort_implINS0_14default_configELb1EPKsPsPKlPlN2at6native12_GLOBAL__N_18offset_tEEE10hipError_tPvRmT1_PNSt15iterator_traitsISY_E10value_typeET2_T3_PNSZ_IS14_E10value_typeET4_jRbjT5_S1A_jjP12ihipStream_tbEUljE_EEESV_SW_SX_S14_S18_S1A_T6_T7_T9_mT8_S1C_bDpT10_ENKUlT_T0_E_clISt17integral_constantIbLb1EES1O_IbLb0EEEEDaS1K_S1L_EUlS1K_E_NS1_11comp_targetILNS1_3genE9ELNS1_11target_archE1100ELNS1_3gpuE3ELNS1_3repE0EEENS1_30default_config_static_selectorELNS0_4arch9wavefront6targetE0EEEvSY_.uses_vcc, 0
	.set _ZN7rocprim17ROCPRIM_400000_NS6detail17trampoline_kernelINS0_13select_configILj256ELj13ELNS0_17block_load_methodE3ELS4_3ELS4_3ELNS0_20block_scan_algorithmE0ELj4294967295EEENS1_25partition_config_selectorILNS1_17partition_subalgoE3EjNS0_10empty_typeEbEEZZNS1_14partition_implILS8_3ELb0ES6_jNS0_17counting_iteratorIjlEEPS9_SE_NS0_5tupleIJPjSE_EEENSF_IJSE_SE_EEES9_SG_JZNS1_25segmented_radix_sort_implINS0_14default_configELb1EPKsPsPKlPlN2at6native12_GLOBAL__N_18offset_tEEE10hipError_tPvRmT1_PNSt15iterator_traitsISY_E10value_typeET2_T3_PNSZ_IS14_E10value_typeET4_jRbjT5_S1A_jjP12ihipStream_tbEUljE_EEESV_SW_SX_S14_S18_S1A_T6_T7_T9_mT8_S1C_bDpT10_ENKUlT_T0_E_clISt17integral_constantIbLb1EES1O_IbLb0EEEEDaS1K_S1L_EUlS1K_E_NS1_11comp_targetILNS1_3genE9ELNS1_11target_archE1100ELNS1_3gpuE3ELNS1_3repE0EEENS1_30default_config_static_selectorELNS0_4arch9wavefront6targetE0EEEvSY_.uses_flat_scratch, 0
	.set _ZN7rocprim17ROCPRIM_400000_NS6detail17trampoline_kernelINS0_13select_configILj256ELj13ELNS0_17block_load_methodE3ELS4_3ELS4_3ELNS0_20block_scan_algorithmE0ELj4294967295EEENS1_25partition_config_selectorILNS1_17partition_subalgoE3EjNS0_10empty_typeEbEEZZNS1_14partition_implILS8_3ELb0ES6_jNS0_17counting_iteratorIjlEEPS9_SE_NS0_5tupleIJPjSE_EEENSF_IJSE_SE_EEES9_SG_JZNS1_25segmented_radix_sort_implINS0_14default_configELb1EPKsPsPKlPlN2at6native12_GLOBAL__N_18offset_tEEE10hipError_tPvRmT1_PNSt15iterator_traitsISY_E10value_typeET2_T3_PNSZ_IS14_E10value_typeET4_jRbjT5_S1A_jjP12ihipStream_tbEUljE_EEESV_SW_SX_S14_S18_S1A_T6_T7_T9_mT8_S1C_bDpT10_ENKUlT_T0_E_clISt17integral_constantIbLb1EES1O_IbLb0EEEEDaS1K_S1L_EUlS1K_E_NS1_11comp_targetILNS1_3genE9ELNS1_11target_archE1100ELNS1_3gpuE3ELNS1_3repE0EEENS1_30default_config_static_selectorELNS0_4arch9wavefront6targetE0EEEvSY_.has_dyn_sized_stack, 0
	.set _ZN7rocprim17ROCPRIM_400000_NS6detail17trampoline_kernelINS0_13select_configILj256ELj13ELNS0_17block_load_methodE3ELS4_3ELS4_3ELNS0_20block_scan_algorithmE0ELj4294967295EEENS1_25partition_config_selectorILNS1_17partition_subalgoE3EjNS0_10empty_typeEbEEZZNS1_14partition_implILS8_3ELb0ES6_jNS0_17counting_iteratorIjlEEPS9_SE_NS0_5tupleIJPjSE_EEENSF_IJSE_SE_EEES9_SG_JZNS1_25segmented_radix_sort_implINS0_14default_configELb1EPKsPsPKlPlN2at6native12_GLOBAL__N_18offset_tEEE10hipError_tPvRmT1_PNSt15iterator_traitsISY_E10value_typeET2_T3_PNSZ_IS14_E10value_typeET4_jRbjT5_S1A_jjP12ihipStream_tbEUljE_EEESV_SW_SX_S14_S18_S1A_T6_T7_T9_mT8_S1C_bDpT10_ENKUlT_T0_E_clISt17integral_constantIbLb1EES1O_IbLb0EEEEDaS1K_S1L_EUlS1K_E_NS1_11comp_targetILNS1_3genE9ELNS1_11target_archE1100ELNS1_3gpuE3ELNS1_3repE0EEENS1_30default_config_static_selectorELNS0_4arch9wavefront6targetE0EEEvSY_.has_recursion, 0
	.set _ZN7rocprim17ROCPRIM_400000_NS6detail17trampoline_kernelINS0_13select_configILj256ELj13ELNS0_17block_load_methodE3ELS4_3ELS4_3ELNS0_20block_scan_algorithmE0ELj4294967295EEENS1_25partition_config_selectorILNS1_17partition_subalgoE3EjNS0_10empty_typeEbEEZZNS1_14partition_implILS8_3ELb0ES6_jNS0_17counting_iteratorIjlEEPS9_SE_NS0_5tupleIJPjSE_EEENSF_IJSE_SE_EEES9_SG_JZNS1_25segmented_radix_sort_implINS0_14default_configELb1EPKsPsPKlPlN2at6native12_GLOBAL__N_18offset_tEEE10hipError_tPvRmT1_PNSt15iterator_traitsISY_E10value_typeET2_T3_PNSZ_IS14_E10value_typeET4_jRbjT5_S1A_jjP12ihipStream_tbEUljE_EEESV_SW_SX_S14_S18_S1A_T6_T7_T9_mT8_S1C_bDpT10_ENKUlT_T0_E_clISt17integral_constantIbLb1EES1O_IbLb0EEEEDaS1K_S1L_EUlS1K_E_NS1_11comp_targetILNS1_3genE9ELNS1_11target_archE1100ELNS1_3gpuE3ELNS1_3repE0EEENS1_30default_config_static_selectorELNS0_4arch9wavefront6targetE0EEEvSY_.has_indirect_call, 0
	.section	.AMDGPU.csdata,"",@progbits
; Kernel info:
; codeLenInByte = 0
; TotalNumSgprs: 0
; NumVgprs: 0
; ScratchSize: 0
; MemoryBound: 0
; FloatMode: 240
; IeeeMode: 1
; LDSByteSize: 0 bytes/workgroup (compile time only)
; SGPRBlocks: 0
; VGPRBlocks: 0
; NumSGPRsForWavesPerEU: 1
; NumVGPRsForWavesPerEU: 1
; Occupancy: 16
; WaveLimiterHint : 0
; COMPUTE_PGM_RSRC2:SCRATCH_EN: 0
; COMPUTE_PGM_RSRC2:USER_SGPR: 2
; COMPUTE_PGM_RSRC2:TRAP_HANDLER: 0
; COMPUTE_PGM_RSRC2:TGID_X_EN: 1
; COMPUTE_PGM_RSRC2:TGID_Y_EN: 0
; COMPUTE_PGM_RSRC2:TGID_Z_EN: 0
; COMPUTE_PGM_RSRC2:TIDIG_COMP_CNT: 0
	.section	.text._ZN7rocprim17ROCPRIM_400000_NS6detail17trampoline_kernelINS0_13select_configILj256ELj13ELNS0_17block_load_methodE3ELS4_3ELS4_3ELNS0_20block_scan_algorithmE0ELj4294967295EEENS1_25partition_config_selectorILNS1_17partition_subalgoE3EjNS0_10empty_typeEbEEZZNS1_14partition_implILS8_3ELb0ES6_jNS0_17counting_iteratorIjlEEPS9_SE_NS0_5tupleIJPjSE_EEENSF_IJSE_SE_EEES9_SG_JZNS1_25segmented_radix_sort_implINS0_14default_configELb1EPKsPsPKlPlN2at6native12_GLOBAL__N_18offset_tEEE10hipError_tPvRmT1_PNSt15iterator_traitsISY_E10value_typeET2_T3_PNSZ_IS14_E10value_typeET4_jRbjT5_S1A_jjP12ihipStream_tbEUljE_EEESV_SW_SX_S14_S18_S1A_T6_T7_T9_mT8_S1C_bDpT10_ENKUlT_T0_E_clISt17integral_constantIbLb1EES1O_IbLb0EEEEDaS1K_S1L_EUlS1K_E_NS1_11comp_targetILNS1_3genE8ELNS1_11target_archE1030ELNS1_3gpuE2ELNS1_3repE0EEENS1_30default_config_static_selectorELNS0_4arch9wavefront6targetE0EEEvSY_,"axG",@progbits,_ZN7rocprim17ROCPRIM_400000_NS6detail17trampoline_kernelINS0_13select_configILj256ELj13ELNS0_17block_load_methodE3ELS4_3ELS4_3ELNS0_20block_scan_algorithmE0ELj4294967295EEENS1_25partition_config_selectorILNS1_17partition_subalgoE3EjNS0_10empty_typeEbEEZZNS1_14partition_implILS8_3ELb0ES6_jNS0_17counting_iteratorIjlEEPS9_SE_NS0_5tupleIJPjSE_EEENSF_IJSE_SE_EEES9_SG_JZNS1_25segmented_radix_sort_implINS0_14default_configELb1EPKsPsPKlPlN2at6native12_GLOBAL__N_18offset_tEEE10hipError_tPvRmT1_PNSt15iterator_traitsISY_E10value_typeET2_T3_PNSZ_IS14_E10value_typeET4_jRbjT5_S1A_jjP12ihipStream_tbEUljE_EEESV_SW_SX_S14_S18_S1A_T6_T7_T9_mT8_S1C_bDpT10_ENKUlT_T0_E_clISt17integral_constantIbLb1EES1O_IbLb0EEEEDaS1K_S1L_EUlS1K_E_NS1_11comp_targetILNS1_3genE8ELNS1_11target_archE1030ELNS1_3gpuE2ELNS1_3repE0EEENS1_30default_config_static_selectorELNS0_4arch9wavefront6targetE0EEEvSY_,comdat
	.globl	_ZN7rocprim17ROCPRIM_400000_NS6detail17trampoline_kernelINS0_13select_configILj256ELj13ELNS0_17block_load_methodE3ELS4_3ELS4_3ELNS0_20block_scan_algorithmE0ELj4294967295EEENS1_25partition_config_selectorILNS1_17partition_subalgoE3EjNS0_10empty_typeEbEEZZNS1_14partition_implILS8_3ELb0ES6_jNS0_17counting_iteratorIjlEEPS9_SE_NS0_5tupleIJPjSE_EEENSF_IJSE_SE_EEES9_SG_JZNS1_25segmented_radix_sort_implINS0_14default_configELb1EPKsPsPKlPlN2at6native12_GLOBAL__N_18offset_tEEE10hipError_tPvRmT1_PNSt15iterator_traitsISY_E10value_typeET2_T3_PNSZ_IS14_E10value_typeET4_jRbjT5_S1A_jjP12ihipStream_tbEUljE_EEESV_SW_SX_S14_S18_S1A_T6_T7_T9_mT8_S1C_bDpT10_ENKUlT_T0_E_clISt17integral_constantIbLb1EES1O_IbLb0EEEEDaS1K_S1L_EUlS1K_E_NS1_11comp_targetILNS1_3genE8ELNS1_11target_archE1030ELNS1_3gpuE2ELNS1_3repE0EEENS1_30default_config_static_selectorELNS0_4arch9wavefront6targetE0EEEvSY_ ; -- Begin function _ZN7rocprim17ROCPRIM_400000_NS6detail17trampoline_kernelINS0_13select_configILj256ELj13ELNS0_17block_load_methodE3ELS4_3ELS4_3ELNS0_20block_scan_algorithmE0ELj4294967295EEENS1_25partition_config_selectorILNS1_17partition_subalgoE3EjNS0_10empty_typeEbEEZZNS1_14partition_implILS8_3ELb0ES6_jNS0_17counting_iteratorIjlEEPS9_SE_NS0_5tupleIJPjSE_EEENSF_IJSE_SE_EEES9_SG_JZNS1_25segmented_radix_sort_implINS0_14default_configELb1EPKsPsPKlPlN2at6native12_GLOBAL__N_18offset_tEEE10hipError_tPvRmT1_PNSt15iterator_traitsISY_E10value_typeET2_T3_PNSZ_IS14_E10value_typeET4_jRbjT5_S1A_jjP12ihipStream_tbEUljE_EEESV_SW_SX_S14_S18_S1A_T6_T7_T9_mT8_S1C_bDpT10_ENKUlT_T0_E_clISt17integral_constantIbLb1EES1O_IbLb0EEEEDaS1K_S1L_EUlS1K_E_NS1_11comp_targetILNS1_3genE8ELNS1_11target_archE1030ELNS1_3gpuE2ELNS1_3repE0EEENS1_30default_config_static_selectorELNS0_4arch9wavefront6targetE0EEEvSY_
	.p2align	8
	.type	_ZN7rocprim17ROCPRIM_400000_NS6detail17trampoline_kernelINS0_13select_configILj256ELj13ELNS0_17block_load_methodE3ELS4_3ELS4_3ELNS0_20block_scan_algorithmE0ELj4294967295EEENS1_25partition_config_selectorILNS1_17partition_subalgoE3EjNS0_10empty_typeEbEEZZNS1_14partition_implILS8_3ELb0ES6_jNS0_17counting_iteratorIjlEEPS9_SE_NS0_5tupleIJPjSE_EEENSF_IJSE_SE_EEES9_SG_JZNS1_25segmented_radix_sort_implINS0_14default_configELb1EPKsPsPKlPlN2at6native12_GLOBAL__N_18offset_tEEE10hipError_tPvRmT1_PNSt15iterator_traitsISY_E10value_typeET2_T3_PNSZ_IS14_E10value_typeET4_jRbjT5_S1A_jjP12ihipStream_tbEUljE_EEESV_SW_SX_S14_S18_S1A_T6_T7_T9_mT8_S1C_bDpT10_ENKUlT_T0_E_clISt17integral_constantIbLb1EES1O_IbLb0EEEEDaS1K_S1L_EUlS1K_E_NS1_11comp_targetILNS1_3genE8ELNS1_11target_archE1030ELNS1_3gpuE2ELNS1_3repE0EEENS1_30default_config_static_selectorELNS0_4arch9wavefront6targetE0EEEvSY_,@function
_ZN7rocprim17ROCPRIM_400000_NS6detail17trampoline_kernelINS0_13select_configILj256ELj13ELNS0_17block_load_methodE3ELS4_3ELS4_3ELNS0_20block_scan_algorithmE0ELj4294967295EEENS1_25partition_config_selectorILNS1_17partition_subalgoE3EjNS0_10empty_typeEbEEZZNS1_14partition_implILS8_3ELb0ES6_jNS0_17counting_iteratorIjlEEPS9_SE_NS0_5tupleIJPjSE_EEENSF_IJSE_SE_EEES9_SG_JZNS1_25segmented_radix_sort_implINS0_14default_configELb1EPKsPsPKlPlN2at6native12_GLOBAL__N_18offset_tEEE10hipError_tPvRmT1_PNSt15iterator_traitsISY_E10value_typeET2_T3_PNSZ_IS14_E10value_typeET4_jRbjT5_S1A_jjP12ihipStream_tbEUljE_EEESV_SW_SX_S14_S18_S1A_T6_T7_T9_mT8_S1C_bDpT10_ENKUlT_T0_E_clISt17integral_constantIbLb1EES1O_IbLb0EEEEDaS1K_S1L_EUlS1K_E_NS1_11comp_targetILNS1_3genE8ELNS1_11target_archE1030ELNS1_3gpuE2ELNS1_3repE0EEENS1_30default_config_static_selectorELNS0_4arch9wavefront6targetE0EEEvSY_: ; @_ZN7rocprim17ROCPRIM_400000_NS6detail17trampoline_kernelINS0_13select_configILj256ELj13ELNS0_17block_load_methodE3ELS4_3ELS4_3ELNS0_20block_scan_algorithmE0ELj4294967295EEENS1_25partition_config_selectorILNS1_17partition_subalgoE3EjNS0_10empty_typeEbEEZZNS1_14partition_implILS8_3ELb0ES6_jNS0_17counting_iteratorIjlEEPS9_SE_NS0_5tupleIJPjSE_EEENSF_IJSE_SE_EEES9_SG_JZNS1_25segmented_radix_sort_implINS0_14default_configELb1EPKsPsPKlPlN2at6native12_GLOBAL__N_18offset_tEEE10hipError_tPvRmT1_PNSt15iterator_traitsISY_E10value_typeET2_T3_PNSZ_IS14_E10value_typeET4_jRbjT5_S1A_jjP12ihipStream_tbEUljE_EEESV_SW_SX_S14_S18_S1A_T6_T7_T9_mT8_S1C_bDpT10_ENKUlT_T0_E_clISt17integral_constantIbLb1EES1O_IbLb0EEEEDaS1K_S1L_EUlS1K_E_NS1_11comp_targetILNS1_3genE8ELNS1_11target_archE1030ELNS1_3gpuE2ELNS1_3repE0EEENS1_30default_config_static_selectorELNS0_4arch9wavefront6targetE0EEEvSY_
; %bb.0:
	.section	.rodata,"a",@progbits
	.p2align	6, 0x0
	.amdhsa_kernel _ZN7rocprim17ROCPRIM_400000_NS6detail17trampoline_kernelINS0_13select_configILj256ELj13ELNS0_17block_load_methodE3ELS4_3ELS4_3ELNS0_20block_scan_algorithmE0ELj4294967295EEENS1_25partition_config_selectorILNS1_17partition_subalgoE3EjNS0_10empty_typeEbEEZZNS1_14partition_implILS8_3ELb0ES6_jNS0_17counting_iteratorIjlEEPS9_SE_NS0_5tupleIJPjSE_EEENSF_IJSE_SE_EEES9_SG_JZNS1_25segmented_radix_sort_implINS0_14default_configELb1EPKsPsPKlPlN2at6native12_GLOBAL__N_18offset_tEEE10hipError_tPvRmT1_PNSt15iterator_traitsISY_E10value_typeET2_T3_PNSZ_IS14_E10value_typeET4_jRbjT5_S1A_jjP12ihipStream_tbEUljE_EEESV_SW_SX_S14_S18_S1A_T6_T7_T9_mT8_S1C_bDpT10_ENKUlT_T0_E_clISt17integral_constantIbLb1EES1O_IbLb0EEEEDaS1K_S1L_EUlS1K_E_NS1_11comp_targetILNS1_3genE8ELNS1_11target_archE1030ELNS1_3gpuE2ELNS1_3repE0EEENS1_30default_config_static_selectorELNS0_4arch9wavefront6targetE0EEEvSY_
		.amdhsa_group_segment_fixed_size 0
		.amdhsa_private_segment_fixed_size 0
		.amdhsa_kernarg_size 144
		.amdhsa_user_sgpr_count 2
		.amdhsa_user_sgpr_dispatch_ptr 0
		.amdhsa_user_sgpr_queue_ptr 0
		.amdhsa_user_sgpr_kernarg_segment_ptr 1
		.amdhsa_user_sgpr_dispatch_id 0
		.amdhsa_user_sgpr_private_segment_size 0
		.amdhsa_wavefront_size32 1
		.amdhsa_uses_dynamic_stack 0
		.amdhsa_enable_private_segment 0
		.amdhsa_system_sgpr_workgroup_id_x 1
		.amdhsa_system_sgpr_workgroup_id_y 0
		.amdhsa_system_sgpr_workgroup_id_z 0
		.amdhsa_system_sgpr_workgroup_info 0
		.amdhsa_system_vgpr_workitem_id 0
		.amdhsa_next_free_vgpr 1
		.amdhsa_next_free_sgpr 1
		.amdhsa_reserve_vcc 0
		.amdhsa_float_round_mode_32 0
		.amdhsa_float_round_mode_16_64 0
		.amdhsa_float_denorm_mode_32 3
		.amdhsa_float_denorm_mode_16_64 3
		.amdhsa_fp16_overflow 0
		.amdhsa_workgroup_processor_mode 1
		.amdhsa_memory_ordered 1
		.amdhsa_forward_progress 1
		.amdhsa_inst_pref_size 0
		.amdhsa_round_robin_scheduling 0
		.amdhsa_exception_fp_ieee_invalid_op 0
		.amdhsa_exception_fp_denorm_src 0
		.amdhsa_exception_fp_ieee_div_zero 0
		.amdhsa_exception_fp_ieee_overflow 0
		.amdhsa_exception_fp_ieee_underflow 0
		.amdhsa_exception_fp_ieee_inexact 0
		.amdhsa_exception_int_div_zero 0
	.end_amdhsa_kernel
	.section	.text._ZN7rocprim17ROCPRIM_400000_NS6detail17trampoline_kernelINS0_13select_configILj256ELj13ELNS0_17block_load_methodE3ELS4_3ELS4_3ELNS0_20block_scan_algorithmE0ELj4294967295EEENS1_25partition_config_selectorILNS1_17partition_subalgoE3EjNS0_10empty_typeEbEEZZNS1_14partition_implILS8_3ELb0ES6_jNS0_17counting_iteratorIjlEEPS9_SE_NS0_5tupleIJPjSE_EEENSF_IJSE_SE_EEES9_SG_JZNS1_25segmented_radix_sort_implINS0_14default_configELb1EPKsPsPKlPlN2at6native12_GLOBAL__N_18offset_tEEE10hipError_tPvRmT1_PNSt15iterator_traitsISY_E10value_typeET2_T3_PNSZ_IS14_E10value_typeET4_jRbjT5_S1A_jjP12ihipStream_tbEUljE_EEESV_SW_SX_S14_S18_S1A_T6_T7_T9_mT8_S1C_bDpT10_ENKUlT_T0_E_clISt17integral_constantIbLb1EES1O_IbLb0EEEEDaS1K_S1L_EUlS1K_E_NS1_11comp_targetILNS1_3genE8ELNS1_11target_archE1030ELNS1_3gpuE2ELNS1_3repE0EEENS1_30default_config_static_selectorELNS0_4arch9wavefront6targetE0EEEvSY_,"axG",@progbits,_ZN7rocprim17ROCPRIM_400000_NS6detail17trampoline_kernelINS0_13select_configILj256ELj13ELNS0_17block_load_methodE3ELS4_3ELS4_3ELNS0_20block_scan_algorithmE0ELj4294967295EEENS1_25partition_config_selectorILNS1_17partition_subalgoE3EjNS0_10empty_typeEbEEZZNS1_14partition_implILS8_3ELb0ES6_jNS0_17counting_iteratorIjlEEPS9_SE_NS0_5tupleIJPjSE_EEENSF_IJSE_SE_EEES9_SG_JZNS1_25segmented_radix_sort_implINS0_14default_configELb1EPKsPsPKlPlN2at6native12_GLOBAL__N_18offset_tEEE10hipError_tPvRmT1_PNSt15iterator_traitsISY_E10value_typeET2_T3_PNSZ_IS14_E10value_typeET4_jRbjT5_S1A_jjP12ihipStream_tbEUljE_EEESV_SW_SX_S14_S18_S1A_T6_T7_T9_mT8_S1C_bDpT10_ENKUlT_T0_E_clISt17integral_constantIbLb1EES1O_IbLb0EEEEDaS1K_S1L_EUlS1K_E_NS1_11comp_targetILNS1_3genE8ELNS1_11target_archE1030ELNS1_3gpuE2ELNS1_3repE0EEENS1_30default_config_static_selectorELNS0_4arch9wavefront6targetE0EEEvSY_,comdat
.Lfunc_end902:
	.size	_ZN7rocprim17ROCPRIM_400000_NS6detail17trampoline_kernelINS0_13select_configILj256ELj13ELNS0_17block_load_methodE3ELS4_3ELS4_3ELNS0_20block_scan_algorithmE0ELj4294967295EEENS1_25partition_config_selectorILNS1_17partition_subalgoE3EjNS0_10empty_typeEbEEZZNS1_14partition_implILS8_3ELb0ES6_jNS0_17counting_iteratorIjlEEPS9_SE_NS0_5tupleIJPjSE_EEENSF_IJSE_SE_EEES9_SG_JZNS1_25segmented_radix_sort_implINS0_14default_configELb1EPKsPsPKlPlN2at6native12_GLOBAL__N_18offset_tEEE10hipError_tPvRmT1_PNSt15iterator_traitsISY_E10value_typeET2_T3_PNSZ_IS14_E10value_typeET4_jRbjT5_S1A_jjP12ihipStream_tbEUljE_EEESV_SW_SX_S14_S18_S1A_T6_T7_T9_mT8_S1C_bDpT10_ENKUlT_T0_E_clISt17integral_constantIbLb1EES1O_IbLb0EEEEDaS1K_S1L_EUlS1K_E_NS1_11comp_targetILNS1_3genE8ELNS1_11target_archE1030ELNS1_3gpuE2ELNS1_3repE0EEENS1_30default_config_static_selectorELNS0_4arch9wavefront6targetE0EEEvSY_, .Lfunc_end902-_ZN7rocprim17ROCPRIM_400000_NS6detail17trampoline_kernelINS0_13select_configILj256ELj13ELNS0_17block_load_methodE3ELS4_3ELS4_3ELNS0_20block_scan_algorithmE0ELj4294967295EEENS1_25partition_config_selectorILNS1_17partition_subalgoE3EjNS0_10empty_typeEbEEZZNS1_14partition_implILS8_3ELb0ES6_jNS0_17counting_iteratorIjlEEPS9_SE_NS0_5tupleIJPjSE_EEENSF_IJSE_SE_EEES9_SG_JZNS1_25segmented_radix_sort_implINS0_14default_configELb1EPKsPsPKlPlN2at6native12_GLOBAL__N_18offset_tEEE10hipError_tPvRmT1_PNSt15iterator_traitsISY_E10value_typeET2_T3_PNSZ_IS14_E10value_typeET4_jRbjT5_S1A_jjP12ihipStream_tbEUljE_EEESV_SW_SX_S14_S18_S1A_T6_T7_T9_mT8_S1C_bDpT10_ENKUlT_T0_E_clISt17integral_constantIbLb1EES1O_IbLb0EEEEDaS1K_S1L_EUlS1K_E_NS1_11comp_targetILNS1_3genE8ELNS1_11target_archE1030ELNS1_3gpuE2ELNS1_3repE0EEENS1_30default_config_static_selectorELNS0_4arch9wavefront6targetE0EEEvSY_
                                        ; -- End function
	.set _ZN7rocprim17ROCPRIM_400000_NS6detail17trampoline_kernelINS0_13select_configILj256ELj13ELNS0_17block_load_methodE3ELS4_3ELS4_3ELNS0_20block_scan_algorithmE0ELj4294967295EEENS1_25partition_config_selectorILNS1_17partition_subalgoE3EjNS0_10empty_typeEbEEZZNS1_14partition_implILS8_3ELb0ES6_jNS0_17counting_iteratorIjlEEPS9_SE_NS0_5tupleIJPjSE_EEENSF_IJSE_SE_EEES9_SG_JZNS1_25segmented_radix_sort_implINS0_14default_configELb1EPKsPsPKlPlN2at6native12_GLOBAL__N_18offset_tEEE10hipError_tPvRmT1_PNSt15iterator_traitsISY_E10value_typeET2_T3_PNSZ_IS14_E10value_typeET4_jRbjT5_S1A_jjP12ihipStream_tbEUljE_EEESV_SW_SX_S14_S18_S1A_T6_T7_T9_mT8_S1C_bDpT10_ENKUlT_T0_E_clISt17integral_constantIbLb1EES1O_IbLb0EEEEDaS1K_S1L_EUlS1K_E_NS1_11comp_targetILNS1_3genE8ELNS1_11target_archE1030ELNS1_3gpuE2ELNS1_3repE0EEENS1_30default_config_static_selectorELNS0_4arch9wavefront6targetE0EEEvSY_.num_vgpr, 0
	.set _ZN7rocprim17ROCPRIM_400000_NS6detail17trampoline_kernelINS0_13select_configILj256ELj13ELNS0_17block_load_methodE3ELS4_3ELS4_3ELNS0_20block_scan_algorithmE0ELj4294967295EEENS1_25partition_config_selectorILNS1_17partition_subalgoE3EjNS0_10empty_typeEbEEZZNS1_14partition_implILS8_3ELb0ES6_jNS0_17counting_iteratorIjlEEPS9_SE_NS0_5tupleIJPjSE_EEENSF_IJSE_SE_EEES9_SG_JZNS1_25segmented_radix_sort_implINS0_14default_configELb1EPKsPsPKlPlN2at6native12_GLOBAL__N_18offset_tEEE10hipError_tPvRmT1_PNSt15iterator_traitsISY_E10value_typeET2_T3_PNSZ_IS14_E10value_typeET4_jRbjT5_S1A_jjP12ihipStream_tbEUljE_EEESV_SW_SX_S14_S18_S1A_T6_T7_T9_mT8_S1C_bDpT10_ENKUlT_T0_E_clISt17integral_constantIbLb1EES1O_IbLb0EEEEDaS1K_S1L_EUlS1K_E_NS1_11comp_targetILNS1_3genE8ELNS1_11target_archE1030ELNS1_3gpuE2ELNS1_3repE0EEENS1_30default_config_static_selectorELNS0_4arch9wavefront6targetE0EEEvSY_.num_agpr, 0
	.set _ZN7rocprim17ROCPRIM_400000_NS6detail17trampoline_kernelINS0_13select_configILj256ELj13ELNS0_17block_load_methodE3ELS4_3ELS4_3ELNS0_20block_scan_algorithmE0ELj4294967295EEENS1_25partition_config_selectorILNS1_17partition_subalgoE3EjNS0_10empty_typeEbEEZZNS1_14partition_implILS8_3ELb0ES6_jNS0_17counting_iteratorIjlEEPS9_SE_NS0_5tupleIJPjSE_EEENSF_IJSE_SE_EEES9_SG_JZNS1_25segmented_radix_sort_implINS0_14default_configELb1EPKsPsPKlPlN2at6native12_GLOBAL__N_18offset_tEEE10hipError_tPvRmT1_PNSt15iterator_traitsISY_E10value_typeET2_T3_PNSZ_IS14_E10value_typeET4_jRbjT5_S1A_jjP12ihipStream_tbEUljE_EEESV_SW_SX_S14_S18_S1A_T6_T7_T9_mT8_S1C_bDpT10_ENKUlT_T0_E_clISt17integral_constantIbLb1EES1O_IbLb0EEEEDaS1K_S1L_EUlS1K_E_NS1_11comp_targetILNS1_3genE8ELNS1_11target_archE1030ELNS1_3gpuE2ELNS1_3repE0EEENS1_30default_config_static_selectorELNS0_4arch9wavefront6targetE0EEEvSY_.numbered_sgpr, 0
	.set _ZN7rocprim17ROCPRIM_400000_NS6detail17trampoline_kernelINS0_13select_configILj256ELj13ELNS0_17block_load_methodE3ELS4_3ELS4_3ELNS0_20block_scan_algorithmE0ELj4294967295EEENS1_25partition_config_selectorILNS1_17partition_subalgoE3EjNS0_10empty_typeEbEEZZNS1_14partition_implILS8_3ELb0ES6_jNS0_17counting_iteratorIjlEEPS9_SE_NS0_5tupleIJPjSE_EEENSF_IJSE_SE_EEES9_SG_JZNS1_25segmented_radix_sort_implINS0_14default_configELb1EPKsPsPKlPlN2at6native12_GLOBAL__N_18offset_tEEE10hipError_tPvRmT1_PNSt15iterator_traitsISY_E10value_typeET2_T3_PNSZ_IS14_E10value_typeET4_jRbjT5_S1A_jjP12ihipStream_tbEUljE_EEESV_SW_SX_S14_S18_S1A_T6_T7_T9_mT8_S1C_bDpT10_ENKUlT_T0_E_clISt17integral_constantIbLb1EES1O_IbLb0EEEEDaS1K_S1L_EUlS1K_E_NS1_11comp_targetILNS1_3genE8ELNS1_11target_archE1030ELNS1_3gpuE2ELNS1_3repE0EEENS1_30default_config_static_selectorELNS0_4arch9wavefront6targetE0EEEvSY_.num_named_barrier, 0
	.set _ZN7rocprim17ROCPRIM_400000_NS6detail17trampoline_kernelINS0_13select_configILj256ELj13ELNS0_17block_load_methodE3ELS4_3ELS4_3ELNS0_20block_scan_algorithmE0ELj4294967295EEENS1_25partition_config_selectorILNS1_17partition_subalgoE3EjNS0_10empty_typeEbEEZZNS1_14partition_implILS8_3ELb0ES6_jNS0_17counting_iteratorIjlEEPS9_SE_NS0_5tupleIJPjSE_EEENSF_IJSE_SE_EEES9_SG_JZNS1_25segmented_radix_sort_implINS0_14default_configELb1EPKsPsPKlPlN2at6native12_GLOBAL__N_18offset_tEEE10hipError_tPvRmT1_PNSt15iterator_traitsISY_E10value_typeET2_T3_PNSZ_IS14_E10value_typeET4_jRbjT5_S1A_jjP12ihipStream_tbEUljE_EEESV_SW_SX_S14_S18_S1A_T6_T7_T9_mT8_S1C_bDpT10_ENKUlT_T0_E_clISt17integral_constantIbLb1EES1O_IbLb0EEEEDaS1K_S1L_EUlS1K_E_NS1_11comp_targetILNS1_3genE8ELNS1_11target_archE1030ELNS1_3gpuE2ELNS1_3repE0EEENS1_30default_config_static_selectorELNS0_4arch9wavefront6targetE0EEEvSY_.private_seg_size, 0
	.set _ZN7rocprim17ROCPRIM_400000_NS6detail17trampoline_kernelINS0_13select_configILj256ELj13ELNS0_17block_load_methodE3ELS4_3ELS4_3ELNS0_20block_scan_algorithmE0ELj4294967295EEENS1_25partition_config_selectorILNS1_17partition_subalgoE3EjNS0_10empty_typeEbEEZZNS1_14partition_implILS8_3ELb0ES6_jNS0_17counting_iteratorIjlEEPS9_SE_NS0_5tupleIJPjSE_EEENSF_IJSE_SE_EEES9_SG_JZNS1_25segmented_radix_sort_implINS0_14default_configELb1EPKsPsPKlPlN2at6native12_GLOBAL__N_18offset_tEEE10hipError_tPvRmT1_PNSt15iterator_traitsISY_E10value_typeET2_T3_PNSZ_IS14_E10value_typeET4_jRbjT5_S1A_jjP12ihipStream_tbEUljE_EEESV_SW_SX_S14_S18_S1A_T6_T7_T9_mT8_S1C_bDpT10_ENKUlT_T0_E_clISt17integral_constantIbLb1EES1O_IbLb0EEEEDaS1K_S1L_EUlS1K_E_NS1_11comp_targetILNS1_3genE8ELNS1_11target_archE1030ELNS1_3gpuE2ELNS1_3repE0EEENS1_30default_config_static_selectorELNS0_4arch9wavefront6targetE0EEEvSY_.uses_vcc, 0
	.set _ZN7rocprim17ROCPRIM_400000_NS6detail17trampoline_kernelINS0_13select_configILj256ELj13ELNS0_17block_load_methodE3ELS4_3ELS4_3ELNS0_20block_scan_algorithmE0ELj4294967295EEENS1_25partition_config_selectorILNS1_17partition_subalgoE3EjNS0_10empty_typeEbEEZZNS1_14partition_implILS8_3ELb0ES6_jNS0_17counting_iteratorIjlEEPS9_SE_NS0_5tupleIJPjSE_EEENSF_IJSE_SE_EEES9_SG_JZNS1_25segmented_radix_sort_implINS0_14default_configELb1EPKsPsPKlPlN2at6native12_GLOBAL__N_18offset_tEEE10hipError_tPvRmT1_PNSt15iterator_traitsISY_E10value_typeET2_T3_PNSZ_IS14_E10value_typeET4_jRbjT5_S1A_jjP12ihipStream_tbEUljE_EEESV_SW_SX_S14_S18_S1A_T6_T7_T9_mT8_S1C_bDpT10_ENKUlT_T0_E_clISt17integral_constantIbLb1EES1O_IbLb0EEEEDaS1K_S1L_EUlS1K_E_NS1_11comp_targetILNS1_3genE8ELNS1_11target_archE1030ELNS1_3gpuE2ELNS1_3repE0EEENS1_30default_config_static_selectorELNS0_4arch9wavefront6targetE0EEEvSY_.uses_flat_scratch, 0
	.set _ZN7rocprim17ROCPRIM_400000_NS6detail17trampoline_kernelINS0_13select_configILj256ELj13ELNS0_17block_load_methodE3ELS4_3ELS4_3ELNS0_20block_scan_algorithmE0ELj4294967295EEENS1_25partition_config_selectorILNS1_17partition_subalgoE3EjNS0_10empty_typeEbEEZZNS1_14partition_implILS8_3ELb0ES6_jNS0_17counting_iteratorIjlEEPS9_SE_NS0_5tupleIJPjSE_EEENSF_IJSE_SE_EEES9_SG_JZNS1_25segmented_radix_sort_implINS0_14default_configELb1EPKsPsPKlPlN2at6native12_GLOBAL__N_18offset_tEEE10hipError_tPvRmT1_PNSt15iterator_traitsISY_E10value_typeET2_T3_PNSZ_IS14_E10value_typeET4_jRbjT5_S1A_jjP12ihipStream_tbEUljE_EEESV_SW_SX_S14_S18_S1A_T6_T7_T9_mT8_S1C_bDpT10_ENKUlT_T0_E_clISt17integral_constantIbLb1EES1O_IbLb0EEEEDaS1K_S1L_EUlS1K_E_NS1_11comp_targetILNS1_3genE8ELNS1_11target_archE1030ELNS1_3gpuE2ELNS1_3repE0EEENS1_30default_config_static_selectorELNS0_4arch9wavefront6targetE0EEEvSY_.has_dyn_sized_stack, 0
	.set _ZN7rocprim17ROCPRIM_400000_NS6detail17trampoline_kernelINS0_13select_configILj256ELj13ELNS0_17block_load_methodE3ELS4_3ELS4_3ELNS0_20block_scan_algorithmE0ELj4294967295EEENS1_25partition_config_selectorILNS1_17partition_subalgoE3EjNS0_10empty_typeEbEEZZNS1_14partition_implILS8_3ELb0ES6_jNS0_17counting_iteratorIjlEEPS9_SE_NS0_5tupleIJPjSE_EEENSF_IJSE_SE_EEES9_SG_JZNS1_25segmented_radix_sort_implINS0_14default_configELb1EPKsPsPKlPlN2at6native12_GLOBAL__N_18offset_tEEE10hipError_tPvRmT1_PNSt15iterator_traitsISY_E10value_typeET2_T3_PNSZ_IS14_E10value_typeET4_jRbjT5_S1A_jjP12ihipStream_tbEUljE_EEESV_SW_SX_S14_S18_S1A_T6_T7_T9_mT8_S1C_bDpT10_ENKUlT_T0_E_clISt17integral_constantIbLb1EES1O_IbLb0EEEEDaS1K_S1L_EUlS1K_E_NS1_11comp_targetILNS1_3genE8ELNS1_11target_archE1030ELNS1_3gpuE2ELNS1_3repE0EEENS1_30default_config_static_selectorELNS0_4arch9wavefront6targetE0EEEvSY_.has_recursion, 0
	.set _ZN7rocprim17ROCPRIM_400000_NS6detail17trampoline_kernelINS0_13select_configILj256ELj13ELNS0_17block_load_methodE3ELS4_3ELS4_3ELNS0_20block_scan_algorithmE0ELj4294967295EEENS1_25partition_config_selectorILNS1_17partition_subalgoE3EjNS0_10empty_typeEbEEZZNS1_14partition_implILS8_3ELb0ES6_jNS0_17counting_iteratorIjlEEPS9_SE_NS0_5tupleIJPjSE_EEENSF_IJSE_SE_EEES9_SG_JZNS1_25segmented_radix_sort_implINS0_14default_configELb1EPKsPsPKlPlN2at6native12_GLOBAL__N_18offset_tEEE10hipError_tPvRmT1_PNSt15iterator_traitsISY_E10value_typeET2_T3_PNSZ_IS14_E10value_typeET4_jRbjT5_S1A_jjP12ihipStream_tbEUljE_EEESV_SW_SX_S14_S18_S1A_T6_T7_T9_mT8_S1C_bDpT10_ENKUlT_T0_E_clISt17integral_constantIbLb1EES1O_IbLb0EEEEDaS1K_S1L_EUlS1K_E_NS1_11comp_targetILNS1_3genE8ELNS1_11target_archE1030ELNS1_3gpuE2ELNS1_3repE0EEENS1_30default_config_static_selectorELNS0_4arch9wavefront6targetE0EEEvSY_.has_indirect_call, 0
	.section	.AMDGPU.csdata,"",@progbits
; Kernel info:
; codeLenInByte = 0
; TotalNumSgprs: 0
; NumVgprs: 0
; ScratchSize: 0
; MemoryBound: 0
; FloatMode: 240
; IeeeMode: 1
; LDSByteSize: 0 bytes/workgroup (compile time only)
; SGPRBlocks: 0
; VGPRBlocks: 0
; NumSGPRsForWavesPerEU: 1
; NumVGPRsForWavesPerEU: 1
; Occupancy: 16
; WaveLimiterHint : 0
; COMPUTE_PGM_RSRC2:SCRATCH_EN: 0
; COMPUTE_PGM_RSRC2:USER_SGPR: 2
; COMPUTE_PGM_RSRC2:TRAP_HANDLER: 0
; COMPUTE_PGM_RSRC2:TGID_X_EN: 1
; COMPUTE_PGM_RSRC2:TGID_Y_EN: 0
; COMPUTE_PGM_RSRC2:TGID_Z_EN: 0
; COMPUTE_PGM_RSRC2:TIDIG_COMP_CNT: 0
	.section	.text._ZN7rocprim17ROCPRIM_400000_NS6detail17trampoline_kernelINS0_13select_configILj256ELj13ELNS0_17block_load_methodE3ELS4_3ELS4_3ELNS0_20block_scan_algorithmE0ELj4294967295EEENS1_25partition_config_selectorILNS1_17partition_subalgoE3EjNS0_10empty_typeEbEEZZNS1_14partition_implILS8_3ELb0ES6_jNS0_17counting_iteratorIjlEEPS9_SE_NS0_5tupleIJPjSE_EEENSF_IJSE_SE_EEES9_SG_JZNS1_25segmented_radix_sort_implINS0_14default_configELb1EPKsPsPKlPlN2at6native12_GLOBAL__N_18offset_tEEE10hipError_tPvRmT1_PNSt15iterator_traitsISY_E10value_typeET2_T3_PNSZ_IS14_E10value_typeET4_jRbjT5_S1A_jjP12ihipStream_tbEUljE_EEESV_SW_SX_S14_S18_S1A_T6_T7_T9_mT8_S1C_bDpT10_ENKUlT_T0_E_clISt17integral_constantIbLb0EES1O_IbLb1EEEEDaS1K_S1L_EUlS1K_E_NS1_11comp_targetILNS1_3genE0ELNS1_11target_archE4294967295ELNS1_3gpuE0ELNS1_3repE0EEENS1_30default_config_static_selectorELNS0_4arch9wavefront6targetE0EEEvSY_,"axG",@progbits,_ZN7rocprim17ROCPRIM_400000_NS6detail17trampoline_kernelINS0_13select_configILj256ELj13ELNS0_17block_load_methodE3ELS4_3ELS4_3ELNS0_20block_scan_algorithmE0ELj4294967295EEENS1_25partition_config_selectorILNS1_17partition_subalgoE3EjNS0_10empty_typeEbEEZZNS1_14partition_implILS8_3ELb0ES6_jNS0_17counting_iteratorIjlEEPS9_SE_NS0_5tupleIJPjSE_EEENSF_IJSE_SE_EEES9_SG_JZNS1_25segmented_radix_sort_implINS0_14default_configELb1EPKsPsPKlPlN2at6native12_GLOBAL__N_18offset_tEEE10hipError_tPvRmT1_PNSt15iterator_traitsISY_E10value_typeET2_T3_PNSZ_IS14_E10value_typeET4_jRbjT5_S1A_jjP12ihipStream_tbEUljE_EEESV_SW_SX_S14_S18_S1A_T6_T7_T9_mT8_S1C_bDpT10_ENKUlT_T0_E_clISt17integral_constantIbLb0EES1O_IbLb1EEEEDaS1K_S1L_EUlS1K_E_NS1_11comp_targetILNS1_3genE0ELNS1_11target_archE4294967295ELNS1_3gpuE0ELNS1_3repE0EEENS1_30default_config_static_selectorELNS0_4arch9wavefront6targetE0EEEvSY_,comdat
	.globl	_ZN7rocprim17ROCPRIM_400000_NS6detail17trampoline_kernelINS0_13select_configILj256ELj13ELNS0_17block_load_methodE3ELS4_3ELS4_3ELNS0_20block_scan_algorithmE0ELj4294967295EEENS1_25partition_config_selectorILNS1_17partition_subalgoE3EjNS0_10empty_typeEbEEZZNS1_14partition_implILS8_3ELb0ES6_jNS0_17counting_iteratorIjlEEPS9_SE_NS0_5tupleIJPjSE_EEENSF_IJSE_SE_EEES9_SG_JZNS1_25segmented_radix_sort_implINS0_14default_configELb1EPKsPsPKlPlN2at6native12_GLOBAL__N_18offset_tEEE10hipError_tPvRmT1_PNSt15iterator_traitsISY_E10value_typeET2_T3_PNSZ_IS14_E10value_typeET4_jRbjT5_S1A_jjP12ihipStream_tbEUljE_EEESV_SW_SX_S14_S18_S1A_T6_T7_T9_mT8_S1C_bDpT10_ENKUlT_T0_E_clISt17integral_constantIbLb0EES1O_IbLb1EEEEDaS1K_S1L_EUlS1K_E_NS1_11comp_targetILNS1_3genE0ELNS1_11target_archE4294967295ELNS1_3gpuE0ELNS1_3repE0EEENS1_30default_config_static_selectorELNS0_4arch9wavefront6targetE0EEEvSY_ ; -- Begin function _ZN7rocprim17ROCPRIM_400000_NS6detail17trampoline_kernelINS0_13select_configILj256ELj13ELNS0_17block_load_methodE3ELS4_3ELS4_3ELNS0_20block_scan_algorithmE0ELj4294967295EEENS1_25partition_config_selectorILNS1_17partition_subalgoE3EjNS0_10empty_typeEbEEZZNS1_14partition_implILS8_3ELb0ES6_jNS0_17counting_iteratorIjlEEPS9_SE_NS0_5tupleIJPjSE_EEENSF_IJSE_SE_EEES9_SG_JZNS1_25segmented_radix_sort_implINS0_14default_configELb1EPKsPsPKlPlN2at6native12_GLOBAL__N_18offset_tEEE10hipError_tPvRmT1_PNSt15iterator_traitsISY_E10value_typeET2_T3_PNSZ_IS14_E10value_typeET4_jRbjT5_S1A_jjP12ihipStream_tbEUljE_EEESV_SW_SX_S14_S18_S1A_T6_T7_T9_mT8_S1C_bDpT10_ENKUlT_T0_E_clISt17integral_constantIbLb0EES1O_IbLb1EEEEDaS1K_S1L_EUlS1K_E_NS1_11comp_targetILNS1_3genE0ELNS1_11target_archE4294967295ELNS1_3gpuE0ELNS1_3repE0EEENS1_30default_config_static_selectorELNS0_4arch9wavefront6targetE0EEEvSY_
	.p2align	8
	.type	_ZN7rocprim17ROCPRIM_400000_NS6detail17trampoline_kernelINS0_13select_configILj256ELj13ELNS0_17block_load_methodE3ELS4_3ELS4_3ELNS0_20block_scan_algorithmE0ELj4294967295EEENS1_25partition_config_selectorILNS1_17partition_subalgoE3EjNS0_10empty_typeEbEEZZNS1_14partition_implILS8_3ELb0ES6_jNS0_17counting_iteratorIjlEEPS9_SE_NS0_5tupleIJPjSE_EEENSF_IJSE_SE_EEES9_SG_JZNS1_25segmented_radix_sort_implINS0_14default_configELb1EPKsPsPKlPlN2at6native12_GLOBAL__N_18offset_tEEE10hipError_tPvRmT1_PNSt15iterator_traitsISY_E10value_typeET2_T3_PNSZ_IS14_E10value_typeET4_jRbjT5_S1A_jjP12ihipStream_tbEUljE_EEESV_SW_SX_S14_S18_S1A_T6_T7_T9_mT8_S1C_bDpT10_ENKUlT_T0_E_clISt17integral_constantIbLb0EES1O_IbLb1EEEEDaS1K_S1L_EUlS1K_E_NS1_11comp_targetILNS1_3genE0ELNS1_11target_archE4294967295ELNS1_3gpuE0ELNS1_3repE0EEENS1_30default_config_static_selectorELNS0_4arch9wavefront6targetE0EEEvSY_,@function
_ZN7rocprim17ROCPRIM_400000_NS6detail17trampoline_kernelINS0_13select_configILj256ELj13ELNS0_17block_load_methodE3ELS4_3ELS4_3ELNS0_20block_scan_algorithmE0ELj4294967295EEENS1_25partition_config_selectorILNS1_17partition_subalgoE3EjNS0_10empty_typeEbEEZZNS1_14partition_implILS8_3ELb0ES6_jNS0_17counting_iteratorIjlEEPS9_SE_NS0_5tupleIJPjSE_EEENSF_IJSE_SE_EEES9_SG_JZNS1_25segmented_radix_sort_implINS0_14default_configELb1EPKsPsPKlPlN2at6native12_GLOBAL__N_18offset_tEEE10hipError_tPvRmT1_PNSt15iterator_traitsISY_E10value_typeET2_T3_PNSZ_IS14_E10value_typeET4_jRbjT5_S1A_jjP12ihipStream_tbEUljE_EEESV_SW_SX_S14_S18_S1A_T6_T7_T9_mT8_S1C_bDpT10_ENKUlT_T0_E_clISt17integral_constantIbLb0EES1O_IbLb1EEEEDaS1K_S1L_EUlS1K_E_NS1_11comp_targetILNS1_3genE0ELNS1_11target_archE4294967295ELNS1_3gpuE0ELNS1_3repE0EEENS1_30default_config_static_selectorELNS0_4arch9wavefront6targetE0EEEvSY_: ; @_ZN7rocprim17ROCPRIM_400000_NS6detail17trampoline_kernelINS0_13select_configILj256ELj13ELNS0_17block_load_methodE3ELS4_3ELS4_3ELNS0_20block_scan_algorithmE0ELj4294967295EEENS1_25partition_config_selectorILNS1_17partition_subalgoE3EjNS0_10empty_typeEbEEZZNS1_14partition_implILS8_3ELb0ES6_jNS0_17counting_iteratorIjlEEPS9_SE_NS0_5tupleIJPjSE_EEENSF_IJSE_SE_EEES9_SG_JZNS1_25segmented_radix_sort_implINS0_14default_configELb1EPKsPsPKlPlN2at6native12_GLOBAL__N_18offset_tEEE10hipError_tPvRmT1_PNSt15iterator_traitsISY_E10value_typeET2_T3_PNSZ_IS14_E10value_typeET4_jRbjT5_S1A_jjP12ihipStream_tbEUljE_EEESV_SW_SX_S14_S18_S1A_T6_T7_T9_mT8_S1C_bDpT10_ENKUlT_T0_E_clISt17integral_constantIbLb0EES1O_IbLb1EEEEDaS1K_S1L_EUlS1K_E_NS1_11comp_targetILNS1_3genE0ELNS1_11target_archE4294967295ELNS1_3gpuE0ELNS1_3repE0EEENS1_30default_config_static_selectorELNS0_4arch9wavefront6targetE0EEEvSY_
; %bb.0:
	.section	.rodata,"a",@progbits
	.p2align	6, 0x0
	.amdhsa_kernel _ZN7rocprim17ROCPRIM_400000_NS6detail17trampoline_kernelINS0_13select_configILj256ELj13ELNS0_17block_load_methodE3ELS4_3ELS4_3ELNS0_20block_scan_algorithmE0ELj4294967295EEENS1_25partition_config_selectorILNS1_17partition_subalgoE3EjNS0_10empty_typeEbEEZZNS1_14partition_implILS8_3ELb0ES6_jNS0_17counting_iteratorIjlEEPS9_SE_NS0_5tupleIJPjSE_EEENSF_IJSE_SE_EEES9_SG_JZNS1_25segmented_radix_sort_implINS0_14default_configELb1EPKsPsPKlPlN2at6native12_GLOBAL__N_18offset_tEEE10hipError_tPvRmT1_PNSt15iterator_traitsISY_E10value_typeET2_T3_PNSZ_IS14_E10value_typeET4_jRbjT5_S1A_jjP12ihipStream_tbEUljE_EEESV_SW_SX_S14_S18_S1A_T6_T7_T9_mT8_S1C_bDpT10_ENKUlT_T0_E_clISt17integral_constantIbLb0EES1O_IbLb1EEEEDaS1K_S1L_EUlS1K_E_NS1_11comp_targetILNS1_3genE0ELNS1_11target_archE4294967295ELNS1_3gpuE0ELNS1_3repE0EEENS1_30default_config_static_selectorELNS0_4arch9wavefront6targetE0EEEvSY_
		.amdhsa_group_segment_fixed_size 0
		.amdhsa_private_segment_fixed_size 0
		.amdhsa_kernarg_size 152
		.amdhsa_user_sgpr_count 2
		.amdhsa_user_sgpr_dispatch_ptr 0
		.amdhsa_user_sgpr_queue_ptr 0
		.amdhsa_user_sgpr_kernarg_segment_ptr 1
		.amdhsa_user_sgpr_dispatch_id 0
		.amdhsa_user_sgpr_private_segment_size 0
		.amdhsa_wavefront_size32 1
		.amdhsa_uses_dynamic_stack 0
		.amdhsa_enable_private_segment 0
		.amdhsa_system_sgpr_workgroup_id_x 1
		.amdhsa_system_sgpr_workgroup_id_y 0
		.amdhsa_system_sgpr_workgroup_id_z 0
		.amdhsa_system_sgpr_workgroup_info 0
		.amdhsa_system_vgpr_workitem_id 0
		.amdhsa_next_free_vgpr 1
		.amdhsa_next_free_sgpr 1
		.amdhsa_reserve_vcc 0
		.amdhsa_float_round_mode_32 0
		.amdhsa_float_round_mode_16_64 0
		.amdhsa_float_denorm_mode_32 3
		.amdhsa_float_denorm_mode_16_64 3
		.amdhsa_fp16_overflow 0
		.amdhsa_workgroup_processor_mode 1
		.amdhsa_memory_ordered 1
		.amdhsa_forward_progress 1
		.amdhsa_inst_pref_size 0
		.amdhsa_round_robin_scheduling 0
		.amdhsa_exception_fp_ieee_invalid_op 0
		.amdhsa_exception_fp_denorm_src 0
		.amdhsa_exception_fp_ieee_div_zero 0
		.amdhsa_exception_fp_ieee_overflow 0
		.amdhsa_exception_fp_ieee_underflow 0
		.amdhsa_exception_fp_ieee_inexact 0
		.amdhsa_exception_int_div_zero 0
	.end_amdhsa_kernel
	.section	.text._ZN7rocprim17ROCPRIM_400000_NS6detail17trampoline_kernelINS0_13select_configILj256ELj13ELNS0_17block_load_methodE3ELS4_3ELS4_3ELNS0_20block_scan_algorithmE0ELj4294967295EEENS1_25partition_config_selectorILNS1_17partition_subalgoE3EjNS0_10empty_typeEbEEZZNS1_14partition_implILS8_3ELb0ES6_jNS0_17counting_iteratorIjlEEPS9_SE_NS0_5tupleIJPjSE_EEENSF_IJSE_SE_EEES9_SG_JZNS1_25segmented_radix_sort_implINS0_14default_configELb1EPKsPsPKlPlN2at6native12_GLOBAL__N_18offset_tEEE10hipError_tPvRmT1_PNSt15iterator_traitsISY_E10value_typeET2_T3_PNSZ_IS14_E10value_typeET4_jRbjT5_S1A_jjP12ihipStream_tbEUljE_EEESV_SW_SX_S14_S18_S1A_T6_T7_T9_mT8_S1C_bDpT10_ENKUlT_T0_E_clISt17integral_constantIbLb0EES1O_IbLb1EEEEDaS1K_S1L_EUlS1K_E_NS1_11comp_targetILNS1_3genE0ELNS1_11target_archE4294967295ELNS1_3gpuE0ELNS1_3repE0EEENS1_30default_config_static_selectorELNS0_4arch9wavefront6targetE0EEEvSY_,"axG",@progbits,_ZN7rocprim17ROCPRIM_400000_NS6detail17trampoline_kernelINS0_13select_configILj256ELj13ELNS0_17block_load_methodE3ELS4_3ELS4_3ELNS0_20block_scan_algorithmE0ELj4294967295EEENS1_25partition_config_selectorILNS1_17partition_subalgoE3EjNS0_10empty_typeEbEEZZNS1_14partition_implILS8_3ELb0ES6_jNS0_17counting_iteratorIjlEEPS9_SE_NS0_5tupleIJPjSE_EEENSF_IJSE_SE_EEES9_SG_JZNS1_25segmented_radix_sort_implINS0_14default_configELb1EPKsPsPKlPlN2at6native12_GLOBAL__N_18offset_tEEE10hipError_tPvRmT1_PNSt15iterator_traitsISY_E10value_typeET2_T3_PNSZ_IS14_E10value_typeET4_jRbjT5_S1A_jjP12ihipStream_tbEUljE_EEESV_SW_SX_S14_S18_S1A_T6_T7_T9_mT8_S1C_bDpT10_ENKUlT_T0_E_clISt17integral_constantIbLb0EES1O_IbLb1EEEEDaS1K_S1L_EUlS1K_E_NS1_11comp_targetILNS1_3genE0ELNS1_11target_archE4294967295ELNS1_3gpuE0ELNS1_3repE0EEENS1_30default_config_static_selectorELNS0_4arch9wavefront6targetE0EEEvSY_,comdat
.Lfunc_end903:
	.size	_ZN7rocprim17ROCPRIM_400000_NS6detail17trampoline_kernelINS0_13select_configILj256ELj13ELNS0_17block_load_methodE3ELS4_3ELS4_3ELNS0_20block_scan_algorithmE0ELj4294967295EEENS1_25partition_config_selectorILNS1_17partition_subalgoE3EjNS0_10empty_typeEbEEZZNS1_14partition_implILS8_3ELb0ES6_jNS0_17counting_iteratorIjlEEPS9_SE_NS0_5tupleIJPjSE_EEENSF_IJSE_SE_EEES9_SG_JZNS1_25segmented_radix_sort_implINS0_14default_configELb1EPKsPsPKlPlN2at6native12_GLOBAL__N_18offset_tEEE10hipError_tPvRmT1_PNSt15iterator_traitsISY_E10value_typeET2_T3_PNSZ_IS14_E10value_typeET4_jRbjT5_S1A_jjP12ihipStream_tbEUljE_EEESV_SW_SX_S14_S18_S1A_T6_T7_T9_mT8_S1C_bDpT10_ENKUlT_T0_E_clISt17integral_constantIbLb0EES1O_IbLb1EEEEDaS1K_S1L_EUlS1K_E_NS1_11comp_targetILNS1_3genE0ELNS1_11target_archE4294967295ELNS1_3gpuE0ELNS1_3repE0EEENS1_30default_config_static_selectorELNS0_4arch9wavefront6targetE0EEEvSY_, .Lfunc_end903-_ZN7rocprim17ROCPRIM_400000_NS6detail17trampoline_kernelINS0_13select_configILj256ELj13ELNS0_17block_load_methodE3ELS4_3ELS4_3ELNS0_20block_scan_algorithmE0ELj4294967295EEENS1_25partition_config_selectorILNS1_17partition_subalgoE3EjNS0_10empty_typeEbEEZZNS1_14partition_implILS8_3ELb0ES6_jNS0_17counting_iteratorIjlEEPS9_SE_NS0_5tupleIJPjSE_EEENSF_IJSE_SE_EEES9_SG_JZNS1_25segmented_radix_sort_implINS0_14default_configELb1EPKsPsPKlPlN2at6native12_GLOBAL__N_18offset_tEEE10hipError_tPvRmT1_PNSt15iterator_traitsISY_E10value_typeET2_T3_PNSZ_IS14_E10value_typeET4_jRbjT5_S1A_jjP12ihipStream_tbEUljE_EEESV_SW_SX_S14_S18_S1A_T6_T7_T9_mT8_S1C_bDpT10_ENKUlT_T0_E_clISt17integral_constantIbLb0EES1O_IbLb1EEEEDaS1K_S1L_EUlS1K_E_NS1_11comp_targetILNS1_3genE0ELNS1_11target_archE4294967295ELNS1_3gpuE0ELNS1_3repE0EEENS1_30default_config_static_selectorELNS0_4arch9wavefront6targetE0EEEvSY_
                                        ; -- End function
	.set _ZN7rocprim17ROCPRIM_400000_NS6detail17trampoline_kernelINS0_13select_configILj256ELj13ELNS0_17block_load_methodE3ELS4_3ELS4_3ELNS0_20block_scan_algorithmE0ELj4294967295EEENS1_25partition_config_selectorILNS1_17partition_subalgoE3EjNS0_10empty_typeEbEEZZNS1_14partition_implILS8_3ELb0ES6_jNS0_17counting_iteratorIjlEEPS9_SE_NS0_5tupleIJPjSE_EEENSF_IJSE_SE_EEES9_SG_JZNS1_25segmented_radix_sort_implINS0_14default_configELb1EPKsPsPKlPlN2at6native12_GLOBAL__N_18offset_tEEE10hipError_tPvRmT1_PNSt15iterator_traitsISY_E10value_typeET2_T3_PNSZ_IS14_E10value_typeET4_jRbjT5_S1A_jjP12ihipStream_tbEUljE_EEESV_SW_SX_S14_S18_S1A_T6_T7_T9_mT8_S1C_bDpT10_ENKUlT_T0_E_clISt17integral_constantIbLb0EES1O_IbLb1EEEEDaS1K_S1L_EUlS1K_E_NS1_11comp_targetILNS1_3genE0ELNS1_11target_archE4294967295ELNS1_3gpuE0ELNS1_3repE0EEENS1_30default_config_static_selectorELNS0_4arch9wavefront6targetE0EEEvSY_.num_vgpr, 0
	.set _ZN7rocprim17ROCPRIM_400000_NS6detail17trampoline_kernelINS0_13select_configILj256ELj13ELNS0_17block_load_methodE3ELS4_3ELS4_3ELNS0_20block_scan_algorithmE0ELj4294967295EEENS1_25partition_config_selectorILNS1_17partition_subalgoE3EjNS0_10empty_typeEbEEZZNS1_14partition_implILS8_3ELb0ES6_jNS0_17counting_iteratorIjlEEPS9_SE_NS0_5tupleIJPjSE_EEENSF_IJSE_SE_EEES9_SG_JZNS1_25segmented_radix_sort_implINS0_14default_configELb1EPKsPsPKlPlN2at6native12_GLOBAL__N_18offset_tEEE10hipError_tPvRmT1_PNSt15iterator_traitsISY_E10value_typeET2_T3_PNSZ_IS14_E10value_typeET4_jRbjT5_S1A_jjP12ihipStream_tbEUljE_EEESV_SW_SX_S14_S18_S1A_T6_T7_T9_mT8_S1C_bDpT10_ENKUlT_T0_E_clISt17integral_constantIbLb0EES1O_IbLb1EEEEDaS1K_S1L_EUlS1K_E_NS1_11comp_targetILNS1_3genE0ELNS1_11target_archE4294967295ELNS1_3gpuE0ELNS1_3repE0EEENS1_30default_config_static_selectorELNS0_4arch9wavefront6targetE0EEEvSY_.num_agpr, 0
	.set _ZN7rocprim17ROCPRIM_400000_NS6detail17trampoline_kernelINS0_13select_configILj256ELj13ELNS0_17block_load_methodE3ELS4_3ELS4_3ELNS0_20block_scan_algorithmE0ELj4294967295EEENS1_25partition_config_selectorILNS1_17partition_subalgoE3EjNS0_10empty_typeEbEEZZNS1_14partition_implILS8_3ELb0ES6_jNS0_17counting_iteratorIjlEEPS9_SE_NS0_5tupleIJPjSE_EEENSF_IJSE_SE_EEES9_SG_JZNS1_25segmented_radix_sort_implINS0_14default_configELb1EPKsPsPKlPlN2at6native12_GLOBAL__N_18offset_tEEE10hipError_tPvRmT1_PNSt15iterator_traitsISY_E10value_typeET2_T3_PNSZ_IS14_E10value_typeET4_jRbjT5_S1A_jjP12ihipStream_tbEUljE_EEESV_SW_SX_S14_S18_S1A_T6_T7_T9_mT8_S1C_bDpT10_ENKUlT_T0_E_clISt17integral_constantIbLb0EES1O_IbLb1EEEEDaS1K_S1L_EUlS1K_E_NS1_11comp_targetILNS1_3genE0ELNS1_11target_archE4294967295ELNS1_3gpuE0ELNS1_3repE0EEENS1_30default_config_static_selectorELNS0_4arch9wavefront6targetE0EEEvSY_.numbered_sgpr, 0
	.set _ZN7rocprim17ROCPRIM_400000_NS6detail17trampoline_kernelINS0_13select_configILj256ELj13ELNS0_17block_load_methodE3ELS4_3ELS4_3ELNS0_20block_scan_algorithmE0ELj4294967295EEENS1_25partition_config_selectorILNS1_17partition_subalgoE3EjNS0_10empty_typeEbEEZZNS1_14partition_implILS8_3ELb0ES6_jNS0_17counting_iteratorIjlEEPS9_SE_NS0_5tupleIJPjSE_EEENSF_IJSE_SE_EEES9_SG_JZNS1_25segmented_radix_sort_implINS0_14default_configELb1EPKsPsPKlPlN2at6native12_GLOBAL__N_18offset_tEEE10hipError_tPvRmT1_PNSt15iterator_traitsISY_E10value_typeET2_T3_PNSZ_IS14_E10value_typeET4_jRbjT5_S1A_jjP12ihipStream_tbEUljE_EEESV_SW_SX_S14_S18_S1A_T6_T7_T9_mT8_S1C_bDpT10_ENKUlT_T0_E_clISt17integral_constantIbLb0EES1O_IbLb1EEEEDaS1K_S1L_EUlS1K_E_NS1_11comp_targetILNS1_3genE0ELNS1_11target_archE4294967295ELNS1_3gpuE0ELNS1_3repE0EEENS1_30default_config_static_selectorELNS0_4arch9wavefront6targetE0EEEvSY_.num_named_barrier, 0
	.set _ZN7rocprim17ROCPRIM_400000_NS6detail17trampoline_kernelINS0_13select_configILj256ELj13ELNS0_17block_load_methodE3ELS4_3ELS4_3ELNS0_20block_scan_algorithmE0ELj4294967295EEENS1_25partition_config_selectorILNS1_17partition_subalgoE3EjNS0_10empty_typeEbEEZZNS1_14partition_implILS8_3ELb0ES6_jNS0_17counting_iteratorIjlEEPS9_SE_NS0_5tupleIJPjSE_EEENSF_IJSE_SE_EEES9_SG_JZNS1_25segmented_radix_sort_implINS0_14default_configELb1EPKsPsPKlPlN2at6native12_GLOBAL__N_18offset_tEEE10hipError_tPvRmT1_PNSt15iterator_traitsISY_E10value_typeET2_T3_PNSZ_IS14_E10value_typeET4_jRbjT5_S1A_jjP12ihipStream_tbEUljE_EEESV_SW_SX_S14_S18_S1A_T6_T7_T9_mT8_S1C_bDpT10_ENKUlT_T0_E_clISt17integral_constantIbLb0EES1O_IbLb1EEEEDaS1K_S1L_EUlS1K_E_NS1_11comp_targetILNS1_3genE0ELNS1_11target_archE4294967295ELNS1_3gpuE0ELNS1_3repE0EEENS1_30default_config_static_selectorELNS0_4arch9wavefront6targetE0EEEvSY_.private_seg_size, 0
	.set _ZN7rocprim17ROCPRIM_400000_NS6detail17trampoline_kernelINS0_13select_configILj256ELj13ELNS0_17block_load_methodE3ELS4_3ELS4_3ELNS0_20block_scan_algorithmE0ELj4294967295EEENS1_25partition_config_selectorILNS1_17partition_subalgoE3EjNS0_10empty_typeEbEEZZNS1_14partition_implILS8_3ELb0ES6_jNS0_17counting_iteratorIjlEEPS9_SE_NS0_5tupleIJPjSE_EEENSF_IJSE_SE_EEES9_SG_JZNS1_25segmented_radix_sort_implINS0_14default_configELb1EPKsPsPKlPlN2at6native12_GLOBAL__N_18offset_tEEE10hipError_tPvRmT1_PNSt15iterator_traitsISY_E10value_typeET2_T3_PNSZ_IS14_E10value_typeET4_jRbjT5_S1A_jjP12ihipStream_tbEUljE_EEESV_SW_SX_S14_S18_S1A_T6_T7_T9_mT8_S1C_bDpT10_ENKUlT_T0_E_clISt17integral_constantIbLb0EES1O_IbLb1EEEEDaS1K_S1L_EUlS1K_E_NS1_11comp_targetILNS1_3genE0ELNS1_11target_archE4294967295ELNS1_3gpuE0ELNS1_3repE0EEENS1_30default_config_static_selectorELNS0_4arch9wavefront6targetE0EEEvSY_.uses_vcc, 0
	.set _ZN7rocprim17ROCPRIM_400000_NS6detail17trampoline_kernelINS0_13select_configILj256ELj13ELNS0_17block_load_methodE3ELS4_3ELS4_3ELNS0_20block_scan_algorithmE0ELj4294967295EEENS1_25partition_config_selectorILNS1_17partition_subalgoE3EjNS0_10empty_typeEbEEZZNS1_14partition_implILS8_3ELb0ES6_jNS0_17counting_iteratorIjlEEPS9_SE_NS0_5tupleIJPjSE_EEENSF_IJSE_SE_EEES9_SG_JZNS1_25segmented_radix_sort_implINS0_14default_configELb1EPKsPsPKlPlN2at6native12_GLOBAL__N_18offset_tEEE10hipError_tPvRmT1_PNSt15iterator_traitsISY_E10value_typeET2_T3_PNSZ_IS14_E10value_typeET4_jRbjT5_S1A_jjP12ihipStream_tbEUljE_EEESV_SW_SX_S14_S18_S1A_T6_T7_T9_mT8_S1C_bDpT10_ENKUlT_T0_E_clISt17integral_constantIbLb0EES1O_IbLb1EEEEDaS1K_S1L_EUlS1K_E_NS1_11comp_targetILNS1_3genE0ELNS1_11target_archE4294967295ELNS1_3gpuE0ELNS1_3repE0EEENS1_30default_config_static_selectorELNS0_4arch9wavefront6targetE0EEEvSY_.uses_flat_scratch, 0
	.set _ZN7rocprim17ROCPRIM_400000_NS6detail17trampoline_kernelINS0_13select_configILj256ELj13ELNS0_17block_load_methodE3ELS4_3ELS4_3ELNS0_20block_scan_algorithmE0ELj4294967295EEENS1_25partition_config_selectorILNS1_17partition_subalgoE3EjNS0_10empty_typeEbEEZZNS1_14partition_implILS8_3ELb0ES6_jNS0_17counting_iteratorIjlEEPS9_SE_NS0_5tupleIJPjSE_EEENSF_IJSE_SE_EEES9_SG_JZNS1_25segmented_radix_sort_implINS0_14default_configELb1EPKsPsPKlPlN2at6native12_GLOBAL__N_18offset_tEEE10hipError_tPvRmT1_PNSt15iterator_traitsISY_E10value_typeET2_T3_PNSZ_IS14_E10value_typeET4_jRbjT5_S1A_jjP12ihipStream_tbEUljE_EEESV_SW_SX_S14_S18_S1A_T6_T7_T9_mT8_S1C_bDpT10_ENKUlT_T0_E_clISt17integral_constantIbLb0EES1O_IbLb1EEEEDaS1K_S1L_EUlS1K_E_NS1_11comp_targetILNS1_3genE0ELNS1_11target_archE4294967295ELNS1_3gpuE0ELNS1_3repE0EEENS1_30default_config_static_selectorELNS0_4arch9wavefront6targetE0EEEvSY_.has_dyn_sized_stack, 0
	.set _ZN7rocprim17ROCPRIM_400000_NS6detail17trampoline_kernelINS0_13select_configILj256ELj13ELNS0_17block_load_methodE3ELS4_3ELS4_3ELNS0_20block_scan_algorithmE0ELj4294967295EEENS1_25partition_config_selectorILNS1_17partition_subalgoE3EjNS0_10empty_typeEbEEZZNS1_14partition_implILS8_3ELb0ES6_jNS0_17counting_iteratorIjlEEPS9_SE_NS0_5tupleIJPjSE_EEENSF_IJSE_SE_EEES9_SG_JZNS1_25segmented_radix_sort_implINS0_14default_configELb1EPKsPsPKlPlN2at6native12_GLOBAL__N_18offset_tEEE10hipError_tPvRmT1_PNSt15iterator_traitsISY_E10value_typeET2_T3_PNSZ_IS14_E10value_typeET4_jRbjT5_S1A_jjP12ihipStream_tbEUljE_EEESV_SW_SX_S14_S18_S1A_T6_T7_T9_mT8_S1C_bDpT10_ENKUlT_T0_E_clISt17integral_constantIbLb0EES1O_IbLb1EEEEDaS1K_S1L_EUlS1K_E_NS1_11comp_targetILNS1_3genE0ELNS1_11target_archE4294967295ELNS1_3gpuE0ELNS1_3repE0EEENS1_30default_config_static_selectorELNS0_4arch9wavefront6targetE0EEEvSY_.has_recursion, 0
	.set _ZN7rocprim17ROCPRIM_400000_NS6detail17trampoline_kernelINS0_13select_configILj256ELj13ELNS0_17block_load_methodE3ELS4_3ELS4_3ELNS0_20block_scan_algorithmE0ELj4294967295EEENS1_25partition_config_selectorILNS1_17partition_subalgoE3EjNS0_10empty_typeEbEEZZNS1_14partition_implILS8_3ELb0ES6_jNS0_17counting_iteratorIjlEEPS9_SE_NS0_5tupleIJPjSE_EEENSF_IJSE_SE_EEES9_SG_JZNS1_25segmented_radix_sort_implINS0_14default_configELb1EPKsPsPKlPlN2at6native12_GLOBAL__N_18offset_tEEE10hipError_tPvRmT1_PNSt15iterator_traitsISY_E10value_typeET2_T3_PNSZ_IS14_E10value_typeET4_jRbjT5_S1A_jjP12ihipStream_tbEUljE_EEESV_SW_SX_S14_S18_S1A_T6_T7_T9_mT8_S1C_bDpT10_ENKUlT_T0_E_clISt17integral_constantIbLb0EES1O_IbLb1EEEEDaS1K_S1L_EUlS1K_E_NS1_11comp_targetILNS1_3genE0ELNS1_11target_archE4294967295ELNS1_3gpuE0ELNS1_3repE0EEENS1_30default_config_static_selectorELNS0_4arch9wavefront6targetE0EEEvSY_.has_indirect_call, 0
	.section	.AMDGPU.csdata,"",@progbits
; Kernel info:
; codeLenInByte = 0
; TotalNumSgprs: 0
; NumVgprs: 0
; ScratchSize: 0
; MemoryBound: 0
; FloatMode: 240
; IeeeMode: 1
; LDSByteSize: 0 bytes/workgroup (compile time only)
; SGPRBlocks: 0
; VGPRBlocks: 0
; NumSGPRsForWavesPerEU: 1
; NumVGPRsForWavesPerEU: 1
; Occupancy: 16
; WaveLimiterHint : 0
; COMPUTE_PGM_RSRC2:SCRATCH_EN: 0
; COMPUTE_PGM_RSRC2:USER_SGPR: 2
; COMPUTE_PGM_RSRC2:TRAP_HANDLER: 0
; COMPUTE_PGM_RSRC2:TGID_X_EN: 1
; COMPUTE_PGM_RSRC2:TGID_Y_EN: 0
; COMPUTE_PGM_RSRC2:TGID_Z_EN: 0
; COMPUTE_PGM_RSRC2:TIDIG_COMP_CNT: 0
	.section	.text._ZN7rocprim17ROCPRIM_400000_NS6detail17trampoline_kernelINS0_13select_configILj256ELj13ELNS0_17block_load_methodE3ELS4_3ELS4_3ELNS0_20block_scan_algorithmE0ELj4294967295EEENS1_25partition_config_selectorILNS1_17partition_subalgoE3EjNS0_10empty_typeEbEEZZNS1_14partition_implILS8_3ELb0ES6_jNS0_17counting_iteratorIjlEEPS9_SE_NS0_5tupleIJPjSE_EEENSF_IJSE_SE_EEES9_SG_JZNS1_25segmented_radix_sort_implINS0_14default_configELb1EPKsPsPKlPlN2at6native12_GLOBAL__N_18offset_tEEE10hipError_tPvRmT1_PNSt15iterator_traitsISY_E10value_typeET2_T3_PNSZ_IS14_E10value_typeET4_jRbjT5_S1A_jjP12ihipStream_tbEUljE_EEESV_SW_SX_S14_S18_S1A_T6_T7_T9_mT8_S1C_bDpT10_ENKUlT_T0_E_clISt17integral_constantIbLb0EES1O_IbLb1EEEEDaS1K_S1L_EUlS1K_E_NS1_11comp_targetILNS1_3genE5ELNS1_11target_archE942ELNS1_3gpuE9ELNS1_3repE0EEENS1_30default_config_static_selectorELNS0_4arch9wavefront6targetE0EEEvSY_,"axG",@progbits,_ZN7rocprim17ROCPRIM_400000_NS6detail17trampoline_kernelINS0_13select_configILj256ELj13ELNS0_17block_load_methodE3ELS4_3ELS4_3ELNS0_20block_scan_algorithmE0ELj4294967295EEENS1_25partition_config_selectorILNS1_17partition_subalgoE3EjNS0_10empty_typeEbEEZZNS1_14partition_implILS8_3ELb0ES6_jNS0_17counting_iteratorIjlEEPS9_SE_NS0_5tupleIJPjSE_EEENSF_IJSE_SE_EEES9_SG_JZNS1_25segmented_radix_sort_implINS0_14default_configELb1EPKsPsPKlPlN2at6native12_GLOBAL__N_18offset_tEEE10hipError_tPvRmT1_PNSt15iterator_traitsISY_E10value_typeET2_T3_PNSZ_IS14_E10value_typeET4_jRbjT5_S1A_jjP12ihipStream_tbEUljE_EEESV_SW_SX_S14_S18_S1A_T6_T7_T9_mT8_S1C_bDpT10_ENKUlT_T0_E_clISt17integral_constantIbLb0EES1O_IbLb1EEEEDaS1K_S1L_EUlS1K_E_NS1_11comp_targetILNS1_3genE5ELNS1_11target_archE942ELNS1_3gpuE9ELNS1_3repE0EEENS1_30default_config_static_selectorELNS0_4arch9wavefront6targetE0EEEvSY_,comdat
	.globl	_ZN7rocprim17ROCPRIM_400000_NS6detail17trampoline_kernelINS0_13select_configILj256ELj13ELNS0_17block_load_methodE3ELS4_3ELS4_3ELNS0_20block_scan_algorithmE0ELj4294967295EEENS1_25partition_config_selectorILNS1_17partition_subalgoE3EjNS0_10empty_typeEbEEZZNS1_14partition_implILS8_3ELb0ES6_jNS0_17counting_iteratorIjlEEPS9_SE_NS0_5tupleIJPjSE_EEENSF_IJSE_SE_EEES9_SG_JZNS1_25segmented_radix_sort_implINS0_14default_configELb1EPKsPsPKlPlN2at6native12_GLOBAL__N_18offset_tEEE10hipError_tPvRmT1_PNSt15iterator_traitsISY_E10value_typeET2_T3_PNSZ_IS14_E10value_typeET4_jRbjT5_S1A_jjP12ihipStream_tbEUljE_EEESV_SW_SX_S14_S18_S1A_T6_T7_T9_mT8_S1C_bDpT10_ENKUlT_T0_E_clISt17integral_constantIbLb0EES1O_IbLb1EEEEDaS1K_S1L_EUlS1K_E_NS1_11comp_targetILNS1_3genE5ELNS1_11target_archE942ELNS1_3gpuE9ELNS1_3repE0EEENS1_30default_config_static_selectorELNS0_4arch9wavefront6targetE0EEEvSY_ ; -- Begin function _ZN7rocprim17ROCPRIM_400000_NS6detail17trampoline_kernelINS0_13select_configILj256ELj13ELNS0_17block_load_methodE3ELS4_3ELS4_3ELNS0_20block_scan_algorithmE0ELj4294967295EEENS1_25partition_config_selectorILNS1_17partition_subalgoE3EjNS0_10empty_typeEbEEZZNS1_14partition_implILS8_3ELb0ES6_jNS0_17counting_iteratorIjlEEPS9_SE_NS0_5tupleIJPjSE_EEENSF_IJSE_SE_EEES9_SG_JZNS1_25segmented_radix_sort_implINS0_14default_configELb1EPKsPsPKlPlN2at6native12_GLOBAL__N_18offset_tEEE10hipError_tPvRmT1_PNSt15iterator_traitsISY_E10value_typeET2_T3_PNSZ_IS14_E10value_typeET4_jRbjT5_S1A_jjP12ihipStream_tbEUljE_EEESV_SW_SX_S14_S18_S1A_T6_T7_T9_mT8_S1C_bDpT10_ENKUlT_T0_E_clISt17integral_constantIbLb0EES1O_IbLb1EEEEDaS1K_S1L_EUlS1K_E_NS1_11comp_targetILNS1_3genE5ELNS1_11target_archE942ELNS1_3gpuE9ELNS1_3repE0EEENS1_30default_config_static_selectorELNS0_4arch9wavefront6targetE0EEEvSY_
	.p2align	8
	.type	_ZN7rocprim17ROCPRIM_400000_NS6detail17trampoline_kernelINS0_13select_configILj256ELj13ELNS0_17block_load_methodE3ELS4_3ELS4_3ELNS0_20block_scan_algorithmE0ELj4294967295EEENS1_25partition_config_selectorILNS1_17partition_subalgoE3EjNS0_10empty_typeEbEEZZNS1_14partition_implILS8_3ELb0ES6_jNS0_17counting_iteratorIjlEEPS9_SE_NS0_5tupleIJPjSE_EEENSF_IJSE_SE_EEES9_SG_JZNS1_25segmented_radix_sort_implINS0_14default_configELb1EPKsPsPKlPlN2at6native12_GLOBAL__N_18offset_tEEE10hipError_tPvRmT1_PNSt15iterator_traitsISY_E10value_typeET2_T3_PNSZ_IS14_E10value_typeET4_jRbjT5_S1A_jjP12ihipStream_tbEUljE_EEESV_SW_SX_S14_S18_S1A_T6_T7_T9_mT8_S1C_bDpT10_ENKUlT_T0_E_clISt17integral_constantIbLb0EES1O_IbLb1EEEEDaS1K_S1L_EUlS1K_E_NS1_11comp_targetILNS1_3genE5ELNS1_11target_archE942ELNS1_3gpuE9ELNS1_3repE0EEENS1_30default_config_static_selectorELNS0_4arch9wavefront6targetE0EEEvSY_,@function
_ZN7rocprim17ROCPRIM_400000_NS6detail17trampoline_kernelINS0_13select_configILj256ELj13ELNS0_17block_load_methodE3ELS4_3ELS4_3ELNS0_20block_scan_algorithmE0ELj4294967295EEENS1_25partition_config_selectorILNS1_17partition_subalgoE3EjNS0_10empty_typeEbEEZZNS1_14partition_implILS8_3ELb0ES6_jNS0_17counting_iteratorIjlEEPS9_SE_NS0_5tupleIJPjSE_EEENSF_IJSE_SE_EEES9_SG_JZNS1_25segmented_radix_sort_implINS0_14default_configELb1EPKsPsPKlPlN2at6native12_GLOBAL__N_18offset_tEEE10hipError_tPvRmT1_PNSt15iterator_traitsISY_E10value_typeET2_T3_PNSZ_IS14_E10value_typeET4_jRbjT5_S1A_jjP12ihipStream_tbEUljE_EEESV_SW_SX_S14_S18_S1A_T6_T7_T9_mT8_S1C_bDpT10_ENKUlT_T0_E_clISt17integral_constantIbLb0EES1O_IbLb1EEEEDaS1K_S1L_EUlS1K_E_NS1_11comp_targetILNS1_3genE5ELNS1_11target_archE942ELNS1_3gpuE9ELNS1_3repE0EEENS1_30default_config_static_selectorELNS0_4arch9wavefront6targetE0EEEvSY_: ; @_ZN7rocprim17ROCPRIM_400000_NS6detail17trampoline_kernelINS0_13select_configILj256ELj13ELNS0_17block_load_methodE3ELS4_3ELS4_3ELNS0_20block_scan_algorithmE0ELj4294967295EEENS1_25partition_config_selectorILNS1_17partition_subalgoE3EjNS0_10empty_typeEbEEZZNS1_14partition_implILS8_3ELb0ES6_jNS0_17counting_iteratorIjlEEPS9_SE_NS0_5tupleIJPjSE_EEENSF_IJSE_SE_EEES9_SG_JZNS1_25segmented_radix_sort_implINS0_14default_configELb1EPKsPsPKlPlN2at6native12_GLOBAL__N_18offset_tEEE10hipError_tPvRmT1_PNSt15iterator_traitsISY_E10value_typeET2_T3_PNSZ_IS14_E10value_typeET4_jRbjT5_S1A_jjP12ihipStream_tbEUljE_EEESV_SW_SX_S14_S18_S1A_T6_T7_T9_mT8_S1C_bDpT10_ENKUlT_T0_E_clISt17integral_constantIbLb0EES1O_IbLb1EEEEDaS1K_S1L_EUlS1K_E_NS1_11comp_targetILNS1_3genE5ELNS1_11target_archE942ELNS1_3gpuE9ELNS1_3repE0EEENS1_30default_config_static_selectorELNS0_4arch9wavefront6targetE0EEEvSY_
; %bb.0:
	.section	.rodata,"a",@progbits
	.p2align	6, 0x0
	.amdhsa_kernel _ZN7rocprim17ROCPRIM_400000_NS6detail17trampoline_kernelINS0_13select_configILj256ELj13ELNS0_17block_load_methodE3ELS4_3ELS4_3ELNS0_20block_scan_algorithmE0ELj4294967295EEENS1_25partition_config_selectorILNS1_17partition_subalgoE3EjNS0_10empty_typeEbEEZZNS1_14partition_implILS8_3ELb0ES6_jNS0_17counting_iteratorIjlEEPS9_SE_NS0_5tupleIJPjSE_EEENSF_IJSE_SE_EEES9_SG_JZNS1_25segmented_radix_sort_implINS0_14default_configELb1EPKsPsPKlPlN2at6native12_GLOBAL__N_18offset_tEEE10hipError_tPvRmT1_PNSt15iterator_traitsISY_E10value_typeET2_T3_PNSZ_IS14_E10value_typeET4_jRbjT5_S1A_jjP12ihipStream_tbEUljE_EEESV_SW_SX_S14_S18_S1A_T6_T7_T9_mT8_S1C_bDpT10_ENKUlT_T0_E_clISt17integral_constantIbLb0EES1O_IbLb1EEEEDaS1K_S1L_EUlS1K_E_NS1_11comp_targetILNS1_3genE5ELNS1_11target_archE942ELNS1_3gpuE9ELNS1_3repE0EEENS1_30default_config_static_selectorELNS0_4arch9wavefront6targetE0EEEvSY_
		.amdhsa_group_segment_fixed_size 0
		.amdhsa_private_segment_fixed_size 0
		.amdhsa_kernarg_size 152
		.amdhsa_user_sgpr_count 2
		.amdhsa_user_sgpr_dispatch_ptr 0
		.amdhsa_user_sgpr_queue_ptr 0
		.amdhsa_user_sgpr_kernarg_segment_ptr 1
		.amdhsa_user_sgpr_dispatch_id 0
		.amdhsa_user_sgpr_private_segment_size 0
		.amdhsa_wavefront_size32 1
		.amdhsa_uses_dynamic_stack 0
		.amdhsa_enable_private_segment 0
		.amdhsa_system_sgpr_workgroup_id_x 1
		.amdhsa_system_sgpr_workgroup_id_y 0
		.amdhsa_system_sgpr_workgroup_id_z 0
		.amdhsa_system_sgpr_workgroup_info 0
		.amdhsa_system_vgpr_workitem_id 0
		.amdhsa_next_free_vgpr 1
		.amdhsa_next_free_sgpr 1
		.amdhsa_reserve_vcc 0
		.amdhsa_float_round_mode_32 0
		.amdhsa_float_round_mode_16_64 0
		.amdhsa_float_denorm_mode_32 3
		.amdhsa_float_denorm_mode_16_64 3
		.amdhsa_fp16_overflow 0
		.amdhsa_workgroup_processor_mode 1
		.amdhsa_memory_ordered 1
		.amdhsa_forward_progress 1
		.amdhsa_inst_pref_size 0
		.amdhsa_round_robin_scheduling 0
		.amdhsa_exception_fp_ieee_invalid_op 0
		.amdhsa_exception_fp_denorm_src 0
		.amdhsa_exception_fp_ieee_div_zero 0
		.amdhsa_exception_fp_ieee_overflow 0
		.amdhsa_exception_fp_ieee_underflow 0
		.amdhsa_exception_fp_ieee_inexact 0
		.amdhsa_exception_int_div_zero 0
	.end_amdhsa_kernel
	.section	.text._ZN7rocprim17ROCPRIM_400000_NS6detail17trampoline_kernelINS0_13select_configILj256ELj13ELNS0_17block_load_methodE3ELS4_3ELS4_3ELNS0_20block_scan_algorithmE0ELj4294967295EEENS1_25partition_config_selectorILNS1_17partition_subalgoE3EjNS0_10empty_typeEbEEZZNS1_14partition_implILS8_3ELb0ES6_jNS0_17counting_iteratorIjlEEPS9_SE_NS0_5tupleIJPjSE_EEENSF_IJSE_SE_EEES9_SG_JZNS1_25segmented_radix_sort_implINS0_14default_configELb1EPKsPsPKlPlN2at6native12_GLOBAL__N_18offset_tEEE10hipError_tPvRmT1_PNSt15iterator_traitsISY_E10value_typeET2_T3_PNSZ_IS14_E10value_typeET4_jRbjT5_S1A_jjP12ihipStream_tbEUljE_EEESV_SW_SX_S14_S18_S1A_T6_T7_T9_mT8_S1C_bDpT10_ENKUlT_T0_E_clISt17integral_constantIbLb0EES1O_IbLb1EEEEDaS1K_S1L_EUlS1K_E_NS1_11comp_targetILNS1_3genE5ELNS1_11target_archE942ELNS1_3gpuE9ELNS1_3repE0EEENS1_30default_config_static_selectorELNS0_4arch9wavefront6targetE0EEEvSY_,"axG",@progbits,_ZN7rocprim17ROCPRIM_400000_NS6detail17trampoline_kernelINS0_13select_configILj256ELj13ELNS0_17block_load_methodE3ELS4_3ELS4_3ELNS0_20block_scan_algorithmE0ELj4294967295EEENS1_25partition_config_selectorILNS1_17partition_subalgoE3EjNS0_10empty_typeEbEEZZNS1_14partition_implILS8_3ELb0ES6_jNS0_17counting_iteratorIjlEEPS9_SE_NS0_5tupleIJPjSE_EEENSF_IJSE_SE_EEES9_SG_JZNS1_25segmented_radix_sort_implINS0_14default_configELb1EPKsPsPKlPlN2at6native12_GLOBAL__N_18offset_tEEE10hipError_tPvRmT1_PNSt15iterator_traitsISY_E10value_typeET2_T3_PNSZ_IS14_E10value_typeET4_jRbjT5_S1A_jjP12ihipStream_tbEUljE_EEESV_SW_SX_S14_S18_S1A_T6_T7_T9_mT8_S1C_bDpT10_ENKUlT_T0_E_clISt17integral_constantIbLb0EES1O_IbLb1EEEEDaS1K_S1L_EUlS1K_E_NS1_11comp_targetILNS1_3genE5ELNS1_11target_archE942ELNS1_3gpuE9ELNS1_3repE0EEENS1_30default_config_static_selectorELNS0_4arch9wavefront6targetE0EEEvSY_,comdat
.Lfunc_end904:
	.size	_ZN7rocprim17ROCPRIM_400000_NS6detail17trampoline_kernelINS0_13select_configILj256ELj13ELNS0_17block_load_methodE3ELS4_3ELS4_3ELNS0_20block_scan_algorithmE0ELj4294967295EEENS1_25partition_config_selectorILNS1_17partition_subalgoE3EjNS0_10empty_typeEbEEZZNS1_14partition_implILS8_3ELb0ES6_jNS0_17counting_iteratorIjlEEPS9_SE_NS0_5tupleIJPjSE_EEENSF_IJSE_SE_EEES9_SG_JZNS1_25segmented_radix_sort_implINS0_14default_configELb1EPKsPsPKlPlN2at6native12_GLOBAL__N_18offset_tEEE10hipError_tPvRmT1_PNSt15iterator_traitsISY_E10value_typeET2_T3_PNSZ_IS14_E10value_typeET4_jRbjT5_S1A_jjP12ihipStream_tbEUljE_EEESV_SW_SX_S14_S18_S1A_T6_T7_T9_mT8_S1C_bDpT10_ENKUlT_T0_E_clISt17integral_constantIbLb0EES1O_IbLb1EEEEDaS1K_S1L_EUlS1K_E_NS1_11comp_targetILNS1_3genE5ELNS1_11target_archE942ELNS1_3gpuE9ELNS1_3repE0EEENS1_30default_config_static_selectorELNS0_4arch9wavefront6targetE0EEEvSY_, .Lfunc_end904-_ZN7rocprim17ROCPRIM_400000_NS6detail17trampoline_kernelINS0_13select_configILj256ELj13ELNS0_17block_load_methodE3ELS4_3ELS4_3ELNS0_20block_scan_algorithmE0ELj4294967295EEENS1_25partition_config_selectorILNS1_17partition_subalgoE3EjNS0_10empty_typeEbEEZZNS1_14partition_implILS8_3ELb0ES6_jNS0_17counting_iteratorIjlEEPS9_SE_NS0_5tupleIJPjSE_EEENSF_IJSE_SE_EEES9_SG_JZNS1_25segmented_radix_sort_implINS0_14default_configELb1EPKsPsPKlPlN2at6native12_GLOBAL__N_18offset_tEEE10hipError_tPvRmT1_PNSt15iterator_traitsISY_E10value_typeET2_T3_PNSZ_IS14_E10value_typeET4_jRbjT5_S1A_jjP12ihipStream_tbEUljE_EEESV_SW_SX_S14_S18_S1A_T6_T7_T9_mT8_S1C_bDpT10_ENKUlT_T0_E_clISt17integral_constantIbLb0EES1O_IbLb1EEEEDaS1K_S1L_EUlS1K_E_NS1_11comp_targetILNS1_3genE5ELNS1_11target_archE942ELNS1_3gpuE9ELNS1_3repE0EEENS1_30default_config_static_selectorELNS0_4arch9wavefront6targetE0EEEvSY_
                                        ; -- End function
	.set _ZN7rocprim17ROCPRIM_400000_NS6detail17trampoline_kernelINS0_13select_configILj256ELj13ELNS0_17block_load_methodE3ELS4_3ELS4_3ELNS0_20block_scan_algorithmE0ELj4294967295EEENS1_25partition_config_selectorILNS1_17partition_subalgoE3EjNS0_10empty_typeEbEEZZNS1_14partition_implILS8_3ELb0ES6_jNS0_17counting_iteratorIjlEEPS9_SE_NS0_5tupleIJPjSE_EEENSF_IJSE_SE_EEES9_SG_JZNS1_25segmented_radix_sort_implINS0_14default_configELb1EPKsPsPKlPlN2at6native12_GLOBAL__N_18offset_tEEE10hipError_tPvRmT1_PNSt15iterator_traitsISY_E10value_typeET2_T3_PNSZ_IS14_E10value_typeET4_jRbjT5_S1A_jjP12ihipStream_tbEUljE_EEESV_SW_SX_S14_S18_S1A_T6_T7_T9_mT8_S1C_bDpT10_ENKUlT_T0_E_clISt17integral_constantIbLb0EES1O_IbLb1EEEEDaS1K_S1L_EUlS1K_E_NS1_11comp_targetILNS1_3genE5ELNS1_11target_archE942ELNS1_3gpuE9ELNS1_3repE0EEENS1_30default_config_static_selectorELNS0_4arch9wavefront6targetE0EEEvSY_.num_vgpr, 0
	.set _ZN7rocprim17ROCPRIM_400000_NS6detail17trampoline_kernelINS0_13select_configILj256ELj13ELNS0_17block_load_methodE3ELS4_3ELS4_3ELNS0_20block_scan_algorithmE0ELj4294967295EEENS1_25partition_config_selectorILNS1_17partition_subalgoE3EjNS0_10empty_typeEbEEZZNS1_14partition_implILS8_3ELb0ES6_jNS0_17counting_iteratorIjlEEPS9_SE_NS0_5tupleIJPjSE_EEENSF_IJSE_SE_EEES9_SG_JZNS1_25segmented_radix_sort_implINS0_14default_configELb1EPKsPsPKlPlN2at6native12_GLOBAL__N_18offset_tEEE10hipError_tPvRmT1_PNSt15iterator_traitsISY_E10value_typeET2_T3_PNSZ_IS14_E10value_typeET4_jRbjT5_S1A_jjP12ihipStream_tbEUljE_EEESV_SW_SX_S14_S18_S1A_T6_T7_T9_mT8_S1C_bDpT10_ENKUlT_T0_E_clISt17integral_constantIbLb0EES1O_IbLb1EEEEDaS1K_S1L_EUlS1K_E_NS1_11comp_targetILNS1_3genE5ELNS1_11target_archE942ELNS1_3gpuE9ELNS1_3repE0EEENS1_30default_config_static_selectorELNS0_4arch9wavefront6targetE0EEEvSY_.num_agpr, 0
	.set _ZN7rocprim17ROCPRIM_400000_NS6detail17trampoline_kernelINS0_13select_configILj256ELj13ELNS0_17block_load_methodE3ELS4_3ELS4_3ELNS0_20block_scan_algorithmE0ELj4294967295EEENS1_25partition_config_selectorILNS1_17partition_subalgoE3EjNS0_10empty_typeEbEEZZNS1_14partition_implILS8_3ELb0ES6_jNS0_17counting_iteratorIjlEEPS9_SE_NS0_5tupleIJPjSE_EEENSF_IJSE_SE_EEES9_SG_JZNS1_25segmented_radix_sort_implINS0_14default_configELb1EPKsPsPKlPlN2at6native12_GLOBAL__N_18offset_tEEE10hipError_tPvRmT1_PNSt15iterator_traitsISY_E10value_typeET2_T3_PNSZ_IS14_E10value_typeET4_jRbjT5_S1A_jjP12ihipStream_tbEUljE_EEESV_SW_SX_S14_S18_S1A_T6_T7_T9_mT8_S1C_bDpT10_ENKUlT_T0_E_clISt17integral_constantIbLb0EES1O_IbLb1EEEEDaS1K_S1L_EUlS1K_E_NS1_11comp_targetILNS1_3genE5ELNS1_11target_archE942ELNS1_3gpuE9ELNS1_3repE0EEENS1_30default_config_static_selectorELNS0_4arch9wavefront6targetE0EEEvSY_.numbered_sgpr, 0
	.set _ZN7rocprim17ROCPRIM_400000_NS6detail17trampoline_kernelINS0_13select_configILj256ELj13ELNS0_17block_load_methodE3ELS4_3ELS4_3ELNS0_20block_scan_algorithmE0ELj4294967295EEENS1_25partition_config_selectorILNS1_17partition_subalgoE3EjNS0_10empty_typeEbEEZZNS1_14partition_implILS8_3ELb0ES6_jNS0_17counting_iteratorIjlEEPS9_SE_NS0_5tupleIJPjSE_EEENSF_IJSE_SE_EEES9_SG_JZNS1_25segmented_radix_sort_implINS0_14default_configELb1EPKsPsPKlPlN2at6native12_GLOBAL__N_18offset_tEEE10hipError_tPvRmT1_PNSt15iterator_traitsISY_E10value_typeET2_T3_PNSZ_IS14_E10value_typeET4_jRbjT5_S1A_jjP12ihipStream_tbEUljE_EEESV_SW_SX_S14_S18_S1A_T6_T7_T9_mT8_S1C_bDpT10_ENKUlT_T0_E_clISt17integral_constantIbLb0EES1O_IbLb1EEEEDaS1K_S1L_EUlS1K_E_NS1_11comp_targetILNS1_3genE5ELNS1_11target_archE942ELNS1_3gpuE9ELNS1_3repE0EEENS1_30default_config_static_selectorELNS0_4arch9wavefront6targetE0EEEvSY_.num_named_barrier, 0
	.set _ZN7rocprim17ROCPRIM_400000_NS6detail17trampoline_kernelINS0_13select_configILj256ELj13ELNS0_17block_load_methodE3ELS4_3ELS4_3ELNS0_20block_scan_algorithmE0ELj4294967295EEENS1_25partition_config_selectorILNS1_17partition_subalgoE3EjNS0_10empty_typeEbEEZZNS1_14partition_implILS8_3ELb0ES6_jNS0_17counting_iteratorIjlEEPS9_SE_NS0_5tupleIJPjSE_EEENSF_IJSE_SE_EEES9_SG_JZNS1_25segmented_radix_sort_implINS0_14default_configELb1EPKsPsPKlPlN2at6native12_GLOBAL__N_18offset_tEEE10hipError_tPvRmT1_PNSt15iterator_traitsISY_E10value_typeET2_T3_PNSZ_IS14_E10value_typeET4_jRbjT5_S1A_jjP12ihipStream_tbEUljE_EEESV_SW_SX_S14_S18_S1A_T6_T7_T9_mT8_S1C_bDpT10_ENKUlT_T0_E_clISt17integral_constantIbLb0EES1O_IbLb1EEEEDaS1K_S1L_EUlS1K_E_NS1_11comp_targetILNS1_3genE5ELNS1_11target_archE942ELNS1_3gpuE9ELNS1_3repE0EEENS1_30default_config_static_selectorELNS0_4arch9wavefront6targetE0EEEvSY_.private_seg_size, 0
	.set _ZN7rocprim17ROCPRIM_400000_NS6detail17trampoline_kernelINS0_13select_configILj256ELj13ELNS0_17block_load_methodE3ELS4_3ELS4_3ELNS0_20block_scan_algorithmE0ELj4294967295EEENS1_25partition_config_selectorILNS1_17partition_subalgoE3EjNS0_10empty_typeEbEEZZNS1_14partition_implILS8_3ELb0ES6_jNS0_17counting_iteratorIjlEEPS9_SE_NS0_5tupleIJPjSE_EEENSF_IJSE_SE_EEES9_SG_JZNS1_25segmented_radix_sort_implINS0_14default_configELb1EPKsPsPKlPlN2at6native12_GLOBAL__N_18offset_tEEE10hipError_tPvRmT1_PNSt15iterator_traitsISY_E10value_typeET2_T3_PNSZ_IS14_E10value_typeET4_jRbjT5_S1A_jjP12ihipStream_tbEUljE_EEESV_SW_SX_S14_S18_S1A_T6_T7_T9_mT8_S1C_bDpT10_ENKUlT_T0_E_clISt17integral_constantIbLb0EES1O_IbLb1EEEEDaS1K_S1L_EUlS1K_E_NS1_11comp_targetILNS1_3genE5ELNS1_11target_archE942ELNS1_3gpuE9ELNS1_3repE0EEENS1_30default_config_static_selectorELNS0_4arch9wavefront6targetE0EEEvSY_.uses_vcc, 0
	.set _ZN7rocprim17ROCPRIM_400000_NS6detail17trampoline_kernelINS0_13select_configILj256ELj13ELNS0_17block_load_methodE3ELS4_3ELS4_3ELNS0_20block_scan_algorithmE0ELj4294967295EEENS1_25partition_config_selectorILNS1_17partition_subalgoE3EjNS0_10empty_typeEbEEZZNS1_14partition_implILS8_3ELb0ES6_jNS0_17counting_iteratorIjlEEPS9_SE_NS0_5tupleIJPjSE_EEENSF_IJSE_SE_EEES9_SG_JZNS1_25segmented_radix_sort_implINS0_14default_configELb1EPKsPsPKlPlN2at6native12_GLOBAL__N_18offset_tEEE10hipError_tPvRmT1_PNSt15iterator_traitsISY_E10value_typeET2_T3_PNSZ_IS14_E10value_typeET4_jRbjT5_S1A_jjP12ihipStream_tbEUljE_EEESV_SW_SX_S14_S18_S1A_T6_T7_T9_mT8_S1C_bDpT10_ENKUlT_T0_E_clISt17integral_constantIbLb0EES1O_IbLb1EEEEDaS1K_S1L_EUlS1K_E_NS1_11comp_targetILNS1_3genE5ELNS1_11target_archE942ELNS1_3gpuE9ELNS1_3repE0EEENS1_30default_config_static_selectorELNS0_4arch9wavefront6targetE0EEEvSY_.uses_flat_scratch, 0
	.set _ZN7rocprim17ROCPRIM_400000_NS6detail17trampoline_kernelINS0_13select_configILj256ELj13ELNS0_17block_load_methodE3ELS4_3ELS4_3ELNS0_20block_scan_algorithmE0ELj4294967295EEENS1_25partition_config_selectorILNS1_17partition_subalgoE3EjNS0_10empty_typeEbEEZZNS1_14partition_implILS8_3ELb0ES6_jNS0_17counting_iteratorIjlEEPS9_SE_NS0_5tupleIJPjSE_EEENSF_IJSE_SE_EEES9_SG_JZNS1_25segmented_radix_sort_implINS0_14default_configELb1EPKsPsPKlPlN2at6native12_GLOBAL__N_18offset_tEEE10hipError_tPvRmT1_PNSt15iterator_traitsISY_E10value_typeET2_T3_PNSZ_IS14_E10value_typeET4_jRbjT5_S1A_jjP12ihipStream_tbEUljE_EEESV_SW_SX_S14_S18_S1A_T6_T7_T9_mT8_S1C_bDpT10_ENKUlT_T0_E_clISt17integral_constantIbLb0EES1O_IbLb1EEEEDaS1K_S1L_EUlS1K_E_NS1_11comp_targetILNS1_3genE5ELNS1_11target_archE942ELNS1_3gpuE9ELNS1_3repE0EEENS1_30default_config_static_selectorELNS0_4arch9wavefront6targetE0EEEvSY_.has_dyn_sized_stack, 0
	.set _ZN7rocprim17ROCPRIM_400000_NS6detail17trampoline_kernelINS0_13select_configILj256ELj13ELNS0_17block_load_methodE3ELS4_3ELS4_3ELNS0_20block_scan_algorithmE0ELj4294967295EEENS1_25partition_config_selectorILNS1_17partition_subalgoE3EjNS0_10empty_typeEbEEZZNS1_14partition_implILS8_3ELb0ES6_jNS0_17counting_iteratorIjlEEPS9_SE_NS0_5tupleIJPjSE_EEENSF_IJSE_SE_EEES9_SG_JZNS1_25segmented_radix_sort_implINS0_14default_configELb1EPKsPsPKlPlN2at6native12_GLOBAL__N_18offset_tEEE10hipError_tPvRmT1_PNSt15iterator_traitsISY_E10value_typeET2_T3_PNSZ_IS14_E10value_typeET4_jRbjT5_S1A_jjP12ihipStream_tbEUljE_EEESV_SW_SX_S14_S18_S1A_T6_T7_T9_mT8_S1C_bDpT10_ENKUlT_T0_E_clISt17integral_constantIbLb0EES1O_IbLb1EEEEDaS1K_S1L_EUlS1K_E_NS1_11comp_targetILNS1_3genE5ELNS1_11target_archE942ELNS1_3gpuE9ELNS1_3repE0EEENS1_30default_config_static_selectorELNS0_4arch9wavefront6targetE0EEEvSY_.has_recursion, 0
	.set _ZN7rocprim17ROCPRIM_400000_NS6detail17trampoline_kernelINS0_13select_configILj256ELj13ELNS0_17block_load_methodE3ELS4_3ELS4_3ELNS0_20block_scan_algorithmE0ELj4294967295EEENS1_25partition_config_selectorILNS1_17partition_subalgoE3EjNS0_10empty_typeEbEEZZNS1_14partition_implILS8_3ELb0ES6_jNS0_17counting_iteratorIjlEEPS9_SE_NS0_5tupleIJPjSE_EEENSF_IJSE_SE_EEES9_SG_JZNS1_25segmented_radix_sort_implINS0_14default_configELb1EPKsPsPKlPlN2at6native12_GLOBAL__N_18offset_tEEE10hipError_tPvRmT1_PNSt15iterator_traitsISY_E10value_typeET2_T3_PNSZ_IS14_E10value_typeET4_jRbjT5_S1A_jjP12ihipStream_tbEUljE_EEESV_SW_SX_S14_S18_S1A_T6_T7_T9_mT8_S1C_bDpT10_ENKUlT_T0_E_clISt17integral_constantIbLb0EES1O_IbLb1EEEEDaS1K_S1L_EUlS1K_E_NS1_11comp_targetILNS1_3genE5ELNS1_11target_archE942ELNS1_3gpuE9ELNS1_3repE0EEENS1_30default_config_static_selectorELNS0_4arch9wavefront6targetE0EEEvSY_.has_indirect_call, 0
	.section	.AMDGPU.csdata,"",@progbits
; Kernel info:
; codeLenInByte = 0
; TotalNumSgprs: 0
; NumVgprs: 0
; ScratchSize: 0
; MemoryBound: 0
; FloatMode: 240
; IeeeMode: 1
; LDSByteSize: 0 bytes/workgroup (compile time only)
; SGPRBlocks: 0
; VGPRBlocks: 0
; NumSGPRsForWavesPerEU: 1
; NumVGPRsForWavesPerEU: 1
; Occupancy: 16
; WaveLimiterHint : 0
; COMPUTE_PGM_RSRC2:SCRATCH_EN: 0
; COMPUTE_PGM_RSRC2:USER_SGPR: 2
; COMPUTE_PGM_RSRC2:TRAP_HANDLER: 0
; COMPUTE_PGM_RSRC2:TGID_X_EN: 1
; COMPUTE_PGM_RSRC2:TGID_Y_EN: 0
; COMPUTE_PGM_RSRC2:TGID_Z_EN: 0
; COMPUTE_PGM_RSRC2:TIDIG_COMP_CNT: 0
	.section	.text._ZN7rocprim17ROCPRIM_400000_NS6detail17trampoline_kernelINS0_13select_configILj256ELj13ELNS0_17block_load_methodE3ELS4_3ELS4_3ELNS0_20block_scan_algorithmE0ELj4294967295EEENS1_25partition_config_selectorILNS1_17partition_subalgoE3EjNS0_10empty_typeEbEEZZNS1_14partition_implILS8_3ELb0ES6_jNS0_17counting_iteratorIjlEEPS9_SE_NS0_5tupleIJPjSE_EEENSF_IJSE_SE_EEES9_SG_JZNS1_25segmented_radix_sort_implINS0_14default_configELb1EPKsPsPKlPlN2at6native12_GLOBAL__N_18offset_tEEE10hipError_tPvRmT1_PNSt15iterator_traitsISY_E10value_typeET2_T3_PNSZ_IS14_E10value_typeET4_jRbjT5_S1A_jjP12ihipStream_tbEUljE_EEESV_SW_SX_S14_S18_S1A_T6_T7_T9_mT8_S1C_bDpT10_ENKUlT_T0_E_clISt17integral_constantIbLb0EES1O_IbLb1EEEEDaS1K_S1L_EUlS1K_E_NS1_11comp_targetILNS1_3genE4ELNS1_11target_archE910ELNS1_3gpuE8ELNS1_3repE0EEENS1_30default_config_static_selectorELNS0_4arch9wavefront6targetE0EEEvSY_,"axG",@progbits,_ZN7rocprim17ROCPRIM_400000_NS6detail17trampoline_kernelINS0_13select_configILj256ELj13ELNS0_17block_load_methodE3ELS4_3ELS4_3ELNS0_20block_scan_algorithmE0ELj4294967295EEENS1_25partition_config_selectorILNS1_17partition_subalgoE3EjNS0_10empty_typeEbEEZZNS1_14partition_implILS8_3ELb0ES6_jNS0_17counting_iteratorIjlEEPS9_SE_NS0_5tupleIJPjSE_EEENSF_IJSE_SE_EEES9_SG_JZNS1_25segmented_radix_sort_implINS0_14default_configELb1EPKsPsPKlPlN2at6native12_GLOBAL__N_18offset_tEEE10hipError_tPvRmT1_PNSt15iterator_traitsISY_E10value_typeET2_T3_PNSZ_IS14_E10value_typeET4_jRbjT5_S1A_jjP12ihipStream_tbEUljE_EEESV_SW_SX_S14_S18_S1A_T6_T7_T9_mT8_S1C_bDpT10_ENKUlT_T0_E_clISt17integral_constantIbLb0EES1O_IbLb1EEEEDaS1K_S1L_EUlS1K_E_NS1_11comp_targetILNS1_3genE4ELNS1_11target_archE910ELNS1_3gpuE8ELNS1_3repE0EEENS1_30default_config_static_selectorELNS0_4arch9wavefront6targetE0EEEvSY_,comdat
	.globl	_ZN7rocprim17ROCPRIM_400000_NS6detail17trampoline_kernelINS0_13select_configILj256ELj13ELNS0_17block_load_methodE3ELS4_3ELS4_3ELNS0_20block_scan_algorithmE0ELj4294967295EEENS1_25partition_config_selectorILNS1_17partition_subalgoE3EjNS0_10empty_typeEbEEZZNS1_14partition_implILS8_3ELb0ES6_jNS0_17counting_iteratorIjlEEPS9_SE_NS0_5tupleIJPjSE_EEENSF_IJSE_SE_EEES9_SG_JZNS1_25segmented_radix_sort_implINS0_14default_configELb1EPKsPsPKlPlN2at6native12_GLOBAL__N_18offset_tEEE10hipError_tPvRmT1_PNSt15iterator_traitsISY_E10value_typeET2_T3_PNSZ_IS14_E10value_typeET4_jRbjT5_S1A_jjP12ihipStream_tbEUljE_EEESV_SW_SX_S14_S18_S1A_T6_T7_T9_mT8_S1C_bDpT10_ENKUlT_T0_E_clISt17integral_constantIbLb0EES1O_IbLb1EEEEDaS1K_S1L_EUlS1K_E_NS1_11comp_targetILNS1_3genE4ELNS1_11target_archE910ELNS1_3gpuE8ELNS1_3repE0EEENS1_30default_config_static_selectorELNS0_4arch9wavefront6targetE0EEEvSY_ ; -- Begin function _ZN7rocprim17ROCPRIM_400000_NS6detail17trampoline_kernelINS0_13select_configILj256ELj13ELNS0_17block_load_methodE3ELS4_3ELS4_3ELNS0_20block_scan_algorithmE0ELj4294967295EEENS1_25partition_config_selectorILNS1_17partition_subalgoE3EjNS0_10empty_typeEbEEZZNS1_14partition_implILS8_3ELb0ES6_jNS0_17counting_iteratorIjlEEPS9_SE_NS0_5tupleIJPjSE_EEENSF_IJSE_SE_EEES9_SG_JZNS1_25segmented_radix_sort_implINS0_14default_configELb1EPKsPsPKlPlN2at6native12_GLOBAL__N_18offset_tEEE10hipError_tPvRmT1_PNSt15iterator_traitsISY_E10value_typeET2_T3_PNSZ_IS14_E10value_typeET4_jRbjT5_S1A_jjP12ihipStream_tbEUljE_EEESV_SW_SX_S14_S18_S1A_T6_T7_T9_mT8_S1C_bDpT10_ENKUlT_T0_E_clISt17integral_constantIbLb0EES1O_IbLb1EEEEDaS1K_S1L_EUlS1K_E_NS1_11comp_targetILNS1_3genE4ELNS1_11target_archE910ELNS1_3gpuE8ELNS1_3repE0EEENS1_30default_config_static_selectorELNS0_4arch9wavefront6targetE0EEEvSY_
	.p2align	8
	.type	_ZN7rocprim17ROCPRIM_400000_NS6detail17trampoline_kernelINS0_13select_configILj256ELj13ELNS0_17block_load_methodE3ELS4_3ELS4_3ELNS0_20block_scan_algorithmE0ELj4294967295EEENS1_25partition_config_selectorILNS1_17partition_subalgoE3EjNS0_10empty_typeEbEEZZNS1_14partition_implILS8_3ELb0ES6_jNS0_17counting_iteratorIjlEEPS9_SE_NS0_5tupleIJPjSE_EEENSF_IJSE_SE_EEES9_SG_JZNS1_25segmented_radix_sort_implINS0_14default_configELb1EPKsPsPKlPlN2at6native12_GLOBAL__N_18offset_tEEE10hipError_tPvRmT1_PNSt15iterator_traitsISY_E10value_typeET2_T3_PNSZ_IS14_E10value_typeET4_jRbjT5_S1A_jjP12ihipStream_tbEUljE_EEESV_SW_SX_S14_S18_S1A_T6_T7_T9_mT8_S1C_bDpT10_ENKUlT_T0_E_clISt17integral_constantIbLb0EES1O_IbLb1EEEEDaS1K_S1L_EUlS1K_E_NS1_11comp_targetILNS1_3genE4ELNS1_11target_archE910ELNS1_3gpuE8ELNS1_3repE0EEENS1_30default_config_static_selectorELNS0_4arch9wavefront6targetE0EEEvSY_,@function
_ZN7rocprim17ROCPRIM_400000_NS6detail17trampoline_kernelINS0_13select_configILj256ELj13ELNS0_17block_load_methodE3ELS4_3ELS4_3ELNS0_20block_scan_algorithmE0ELj4294967295EEENS1_25partition_config_selectorILNS1_17partition_subalgoE3EjNS0_10empty_typeEbEEZZNS1_14partition_implILS8_3ELb0ES6_jNS0_17counting_iteratorIjlEEPS9_SE_NS0_5tupleIJPjSE_EEENSF_IJSE_SE_EEES9_SG_JZNS1_25segmented_radix_sort_implINS0_14default_configELb1EPKsPsPKlPlN2at6native12_GLOBAL__N_18offset_tEEE10hipError_tPvRmT1_PNSt15iterator_traitsISY_E10value_typeET2_T3_PNSZ_IS14_E10value_typeET4_jRbjT5_S1A_jjP12ihipStream_tbEUljE_EEESV_SW_SX_S14_S18_S1A_T6_T7_T9_mT8_S1C_bDpT10_ENKUlT_T0_E_clISt17integral_constantIbLb0EES1O_IbLb1EEEEDaS1K_S1L_EUlS1K_E_NS1_11comp_targetILNS1_3genE4ELNS1_11target_archE910ELNS1_3gpuE8ELNS1_3repE0EEENS1_30default_config_static_selectorELNS0_4arch9wavefront6targetE0EEEvSY_: ; @_ZN7rocprim17ROCPRIM_400000_NS6detail17trampoline_kernelINS0_13select_configILj256ELj13ELNS0_17block_load_methodE3ELS4_3ELS4_3ELNS0_20block_scan_algorithmE0ELj4294967295EEENS1_25partition_config_selectorILNS1_17partition_subalgoE3EjNS0_10empty_typeEbEEZZNS1_14partition_implILS8_3ELb0ES6_jNS0_17counting_iteratorIjlEEPS9_SE_NS0_5tupleIJPjSE_EEENSF_IJSE_SE_EEES9_SG_JZNS1_25segmented_radix_sort_implINS0_14default_configELb1EPKsPsPKlPlN2at6native12_GLOBAL__N_18offset_tEEE10hipError_tPvRmT1_PNSt15iterator_traitsISY_E10value_typeET2_T3_PNSZ_IS14_E10value_typeET4_jRbjT5_S1A_jjP12ihipStream_tbEUljE_EEESV_SW_SX_S14_S18_S1A_T6_T7_T9_mT8_S1C_bDpT10_ENKUlT_T0_E_clISt17integral_constantIbLb0EES1O_IbLb1EEEEDaS1K_S1L_EUlS1K_E_NS1_11comp_targetILNS1_3genE4ELNS1_11target_archE910ELNS1_3gpuE8ELNS1_3repE0EEENS1_30default_config_static_selectorELNS0_4arch9wavefront6targetE0EEEvSY_
; %bb.0:
	.section	.rodata,"a",@progbits
	.p2align	6, 0x0
	.amdhsa_kernel _ZN7rocprim17ROCPRIM_400000_NS6detail17trampoline_kernelINS0_13select_configILj256ELj13ELNS0_17block_load_methodE3ELS4_3ELS4_3ELNS0_20block_scan_algorithmE0ELj4294967295EEENS1_25partition_config_selectorILNS1_17partition_subalgoE3EjNS0_10empty_typeEbEEZZNS1_14partition_implILS8_3ELb0ES6_jNS0_17counting_iteratorIjlEEPS9_SE_NS0_5tupleIJPjSE_EEENSF_IJSE_SE_EEES9_SG_JZNS1_25segmented_radix_sort_implINS0_14default_configELb1EPKsPsPKlPlN2at6native12_GLOBAL__N_18offset_tEEE10hipError_tPvRmT1_PNSt15iterator_traitsISY_E10value_typeET2_T3_PNSZ_IS14_E10value_typeET4_jRbjT5_S1A_jjP12ihipStream_tbEUljE_EEESV_SW_SX_S14_S18_S1A_T6_T7_T9_mT8_S1C_bDpT10_ENKUlT_T0_E_clISt17integral_constantIbLb0EES1O_IbLb1EEEEDaS1K_S1L_EUlS1K_E_NS1_11comp_targetILNS1_3genE4ELNS1_11target_archE910ELNS1_3gpuE8ELNS1_3repE0EEENS1_30default_config_static_selectorELNS0_4arch9wavefront6targetE0EEEvSY_
		.amdhsa_group_segment_fixed_size 0
		.amdhsa_private_segment_fixed_size 0
		.amdhsa_kernarg_size 152
		.amdhsa_user_sgpr_count 2
		.amdhsa_user_sgpr_dispatch_ptr 0
		.amdhsa_user_sgpr_queue_ptr 0
		.amdhsa_user_sgpr_kernarg_segment_ptr 1
		.amdhsa_user_sgpr_dispatch_id 0
		.amdhsa_user_sgpr_private_segment_size 0
		.amdhsa_wavefront_size32 1
		.amdhsa_uses_dynamic_stack 0
		.amdhsa_enable_private_segment 0
		.amdhsa_system_sgpr_workgroup_id_x 1
		.amdhsa_system_sgpr_workgroup_id_y 0
		.amdhsa_system_sgpr_workgroup_id_z 0
		.amdhsa_system_sgpr_workgroup_info 0
		.amdhsa_system_vgpr_workitem_id 0
		.amdhsa_next_free_vgpr 1
		.amdhsa_next_free_sgpr 1
		.amdhsa_reserve_vcc 0
		.amdhsa_float_round_mode_32 0
		.amdhsa_float_round_mode_16_64 0
		.amdhsa_float_denorm_mode_32 3
		.amdhsa_float_denorm_mode_16_64 3
		.amdhsa_fp16_overflow 0
		.amdhsa_workgroup_processor_mode 1
		.amdhsa_memory_ordered 1
		.amdhsa_forward_progress 1
		.amdhsa_inst_pref_size 0
		.amdhsa_round_robin_scheduling 0
		.amdhsa_exception_fp_ieee_invalid_op 0
		.amdhsa_exception_fp_denorm_src 0
		.amdhsa_exception_fp_ieee_div_zero 0
		.amdhsa_exception_fp_ieee_overflow 0
		.amdhsa_exception_fp_ieee_underflow 0
		.amdhsa_exception_fp_ieee_inexact 0
		.amdhsa_exception_int_div_zero 0
	.end_amdhsa_kernel
	.section	.text._ZN7rocprim17ROCPRIM_400000_NS6detail17trampoline_kernelINS0_13select_configILj256ELj13ELNS0_17block_load_methodE3ELS4_3ELS4_3ELNS0_20block_scan_algorithmE0ELj4294967295EEENS1_25partition_config_selectorILNS1_17partition_subalgoE3EjNS0_10empty_typeEbEEZZNS1_14partition_implILS8_3ELb0ES6_jNS0_17counting_iteratorIjlEEPS9_SE_NS0_5tupleIJPjSE_EEENSF_IJSE_SE_EEES9_SG_JZNS1_25segmented_radix_sort_implINS0_14default_configELb1EPKsPsPKlPlN2at6native12_GLOBAL__N_18offset_tEEE10hipError_tPvRmT1_PNSt15iterator_traitsISY_E10value_typeET2_T3_PNSZ_IS14_E10value_typeET4_jRbjT5_S1A_jjP12ihipStream_tbEUljE_EEESV_SW_SX_S14_S18_S1A_T6_T7_T9_mT8_S1C_bDpT10_ENKUlT_T0_E_clISt17integral_constantIbLb0EES1O_IbLb1EEEEDaS1K_S1L_EUlS1K_E_NS1_11comp_targetILNS1_3genE4ELNS1_11target_archE910ELNS1_3gpuE8ELNS1_3repE0EEENS1_30default_config_static_selectorELNS0_4arch9wavefront6targetE0EEEvSY_,"axG",@progbits,_ZN7rocprim17ROCPRIM_400000_NS6detail17trampoline_kernelINS0_13select_configILj256ELj13ELNS0_17block_load_methodE3ELS4_3ELS4_3ELNS0_20block_scan_algorithmE0ELj4294967295EEENS1_25partition_config_selectorILNS1_17partition_subalgoE3EjNS0_10empty_typeEbEEZZNS1_14partition_implILS8_3ELb0ES6_jNS0_17counting_iteratorIjlEEPS9_SE_NS0_5tupleIJPjSE_EEENSF_IJSE_SE_EEES9_SG_JZNS1_25segmented_radix_sort_implINS0_14default_configELb1EPKsPsPKlPlN2at6native12_GLOBAL__N_18offset_tEEE10hipError_tPvRmT1_PNSt15iterator_traitsISY_E10value_typeET2_T3_PNSZ_IS14_E10value_typeET4_jRbjT5_S1A_jjP12ihipStream_tbEUljE_EEESV_SW_SX_S14_S18_S1A_T6_T7_T9_mT8_S1C_bDpT10_ENKUlT_T0_E_clISt17integral_constantIbLb0EES1O_IbLb1EEEEDaS1K_S1L_EUlS1K_E_NS1_11comp_targetILNS1_3genE4ELNS1_11target_archE910ELNS1_3gpuE8ELNS1_3repE0EEENS1_30default_config_static_selectorELNS0_4arch9wavefront6targetE0EEEvSY_,comdat
.Lfunc_end905:
	.size	_ZN7rocprim17ROCPRIM_400000_NS6detail17trampoline_kernelINS0_13select_configILj256ELj13ELNS0_17block_load_methodE3ELS4_3ELS4_3ELNS0_20block_scan_algorithmE0ELj4294967295EEENS1_25partition_config_selectorILNS1_17partition_subalgoE3EjNS0_10empty_typeEbEEZZNS1_14partition_implILS8_3ELb0ES6_jNS0_17counting_iteratorIjlEEPS9_SE_NS0_5tupleIJPjSE_EEENSF_IJSE_SE_EEES9_SG_JZNS1_25segmented_radix_sort_implINS0_14default_configELb1EPKsPsPKlPlN2at6native12_GLOBAL__N_18offset_tEEE10hipError_tPvRmT1_PNSt15iterator_traitsISY_E10value_typeET2_T3_PNSZ_IS14_E10value_typeET4_jRbjT5_S1A_jjP12ihipStream_tbEUljE_EEESV_SW_SX_S14_S18_S1A_T6_T7_T9_mT8_S1C_bDpT10_ENKUlT_T0_E_clISt17integral_constantIbLb0EES1O_IbLb1EEEEDaS1K_S1L_EUlS1K_E_NS1_11comp_targetILNS1_3genE4ELNS1_11target_archE910ELNS1_3gpuE8ELNS1_3repE0EEENS1_30default_config_static_selectorELNS0_4arch9wavefront6targetE0EEEvSY_, .Lfunc_end905-_ZN7rocprim17ROCPRIM_400000_NS6detail17trampoline_kernelINS0_13select_configILj256ELj13ELNS0_17block_load_methodE3ELS4_3ELS4_3ELNS0_20block_scan_algorithmE0ELj4294967295EEENS1_25partition_config_selectorILNS1_17partition_subalgoE3EjNS0_10empty_typeEbEEZZNS1_14partition_implILS8_3ELb0ES6_jNS0_17counting_iteratorIjlEEPS9_SE_NS0_5tupleIJPjSE_EEENSF_IJSE_SE_EEES9_SG_JZNS1_25segmented_radix_sort_implINS0_14default_configELb1EPKsPsPKlPlN2at6native12_GLOBAL__N_18offset_tEEE10hipError_tPvRmT1_PNSt15iterator_traitsISY_E10value_typeET2_T3_PNSZ_IS14_E10value_typeET4_jRbjT5_S1A_jjP12ihipStream_tbEUljE_EEESV_SW_SX_S14_S18_S1A_T6_T7_T9_mT8_S1C_bDpT10_ENKUlT_T0_E_clISt17integral_constantIbLb0EES1O_IbLb1EEEEDaS1K_S1L_EUlS1K_E_NS1_11comp_targetILNS1_3genE4ELNS1_11target_archE910ELNS1_3gpuE8ELNS1_3repE0EEENS1_30default_config_static_selectorELNS0_4arch9wavefront6targetE0EEEvSY_
                                        ; -- End function
	.set _ZN7rocprim17ROCPRIM_400000_NS6detail17trampoline_kernelINS0_13select_configILj256ELj13ELNS0_17block_load_methodE3ELS4_3ELS4_3ELNS0_20block_scan_algorithmE0ELj4294967295EEENS1_25partition_config_selectorILNS1_17partition_subalgoE3EjNS0_10empty_typeEbEEZZNS1_14partition_implILS8_3ELb0ES6_jNS0_17counting_iteratorIjlEEPS9_SE_NS0_5tupleIJPjSE_EEENSF_IJSE_SE_EEES9_SG_JZNS1_25segmented_radix_sort_implINS0_14default_configELb1EPKsPsPKlPlN2at6native12_GLOBAL__N_18offset_tEEE10hipError_tPvRmT1_PNSt15iterator_traitsISY_E10value_typeET2_T3_PNSZ_IS14_E10value_typeET4_jRbjT5_S1A_jjP12ihipStream_tbEUljE_EEESV_SW_SX_S14_S18_S1A_T6_T7_T9_mT8_S1C_bDpT10_ENKUlT_T0_E_clISt17integral_constantIbLb0EES1O_IbLb1EEEEDaS1K_S1L_EUlS1K_E_NS1_11comp_targetILNS1_3genE4ELNS1_11target_archE910ELNS1_3gpuE8ELNS1_3repE0EEENS1_30default_config_static_selectorELNS0_4arch9wavefront6targetE0EEEvSY_.num_vgpr, 0
	.set _ZN7rocprim17ROCPRIM_400000_NS6detail17trampoline_kernelINS0_13select_configILj256ELj13ELNS0_17block_load_methodE3ELS4_3ELS4_3ELNS0_20block_scan_algorithmE0ELj4294967295EEENS1_25partition_config_selectorILNS1_17partition_subalgoE3EjNS0_10empty_typeEbEEZZNS1_14partition_implILS8_3ELb0ES6_jNS0_17counting_iteratorIjlEEPS9_SE_NS0_5tupleIJPjSE_EEENSF_IJSE_SE_EEES9_SG_JZNS1_25segmented_radix_sort_implINS0_14default_configELb1EPKsPsPKlPlN2at6native12_GLOBAL__N_18offset_tEEE10hipError_tPvRmT1_PNSt15iterator_traitsISY_E10value_typeET2_T3_PNSZ_IS14_E10value_typeET4_jRbjT5_S1A_jjP12ihipStream_tbEUljE_EEESV_SW_SX_S14_S18_S1A_T6_T7_T9_mT8_S1C_bDpT10_ENKUlT_T0_E_clISt17integral_constantIbLb0EES1O_IbLb1EEEEDaS1K_S1L_EUlS1K_E_NS1_11comp_targetILNS1_3genE4ELNS1_11target_archE910ELNS1_3gpuE8ELNS1_3repE0EEENS1_30default_config_static_selectorELNS0_4arch9wavefront6targetE0EEEvSY_.num_agpr, 0
	.set _ZN7rocprim17ROCPRIM_400000_NS6detail17trampoline_kernelINS0_13select_configILj256ELj13ELNS0_17block_load_methodE3ELS4_3ELS4_3ELNS0_20block_scan_algorithmE0ELj4294967295EEENS1_25partition_config_selectorILNS1_17partition_subalgoE3EjNS0_10empty_typeEbEEZZNS1_14partition_implILS8_3ELb0ES6_jNS0_17counting_iteratorIjlEEPS9_SE_NS0_5tupleIJPjSE_EEENSF_IJSE_SE_EEES9_SG_JZNS1_25segmented_radix_sort_implINS0_14default_configELb1EPKsPsPKlPlN2at6native12_GLOBAL__N_18offset_tEEE10hipError_tPvRmT1_PNSt15iterator_traitsISY_E10value_typeET2_T3_PNSZ_IS14_E10value_typeET4_jRbjT5_S1A_jjP12ihipStream_tbEUljE_EEESV_SW_SX_S14_S18_S1A_T6_T7_T9_mT8_S1C_bDpT10_ENKUlT_T0_E_clISt17integral_constantIbLb0EES1O_IbLb1EEEEDaS1K_S1L_EUlS1K_E_NS1_11comp_targetILNS1_3genE4ELNS1_11target_archE910ELNS1_3gpuE8ELNS1_3repE0EEENS1_30default_config_static_selectorELNS0_4arch9wavefront6targetE0EEEvSY_.numbered_sgpr, 0
	.set _ZN7rocprim17ROCPRIM_400000_NS6detail17trampoline_kernelINS0_13select_configILj256ELj13ELNS0_17block_load_methodE3ELS4_3ELS4_3ELNS0_20block_scan_algorithmE0ELj4294967295EEENS1_25partition_config_selectorILNS1_17partition_subalgoE3EjNS0_10empty_typeEbEEZZNS1_14partition_implILS8_3ELb0ES6_jNS0_17counting_iteratorIjlEEPS9_SE_NS0_5tupleIJPjSE_EEENSF_IJSE_SE_EEES9_SG_JZNS1_25segmented_radix_sort_implINS0_14default_configELb1EPKsPsPKlPlN2at6native12_GLOBAL__N_18offset_tEEE10hipError_tPvRmT1_PNSt15iterator_traitsISY_E10value_typeET2_T3_PNSZ_IS14_E10value_typeET4_jRbjT5_S1A_jjP12ihipStream_tbEUljE_EEESV_SW_SX_S14_S18_S1A_T6_T7_T9_mT8_S1C_bDpT10_ENKUlT_T0_E_clISt17integral_constantIbLb0EES1O_IbLb1EEEEDaS1K_S1L_EUlS1K_E_NS1_11comp_targetILNS1_3genE4ELNS1_11target_archE910ELNS1_3gpuE8ELNS1_3repE0EEENS1_30default_config_static_selectorELNS0_4arch9wavefront6targetE0EEEvSY_.num_named_barrier, 0
	.set _ZN7rocprim17ROCPRIM_400000_NS6detail17trampoline_kernelINS0_13select_configILj256ELj13ELNS0_17block_load_methodE3ELS4_3ELS4_3ELNS0_20block_scan_algorithmE0ELj4294967295EEENS1_25partition_config_selectorILNS1_17partition_subalgoE3EjNS0_10empty_typeEbEEZZNS1_14partition_implILS8_3ELb0ES6_jNS0_17counting_iteratorIjlEEPS9_SE_NS0_5tupleIJPjSE_EEENSF_IJSE_SE_EEES9_SG_JZNS1_25segmented_radix_sort_implINS0_14default_configELb1EPKsPsPKlPlN2at6native12_GLOBAL__N_18offset_tEEE10hipError_tPvRmT1_PNSt15iterator_traitsISY_E10value_typeET2_T3_PNSZ_IS14_E10value_typeET4_jRbjT5_S1A_jjP12ihipStream_tbEUljE_EEESV_SW_SX_S14_S18_S1A_T6_T7_T9_mT8_S1C_bDpT10_ENKUlT_T0_E_clISt17integral_constantIbLb0EES1O_IbLb1EEEEDaS1K_S1L_EUlS1K_E_NS1_11comp_targetILNS1_3genE4ELNS1_11target_archE910ELNS1_3gpuE8ELNS1_3repE0EEENS1_30default_config_static_selectorELNS0_4arch9wavefront6targetE0EEEvSY_.private_seg_size, 0
	.set _ZN7rocprim17ROCPRIM_400000_NS6detail17trampoline_kernelINS0_13select_configILj256ELj13ELNS0_17block_load_methodE3ELS4_3ELS4_3ELNS0_20block_scan_algorithmE0ELj4294967295EEENS1_25partition_config_selectorILNS1_17partition_subalgoE3EjNS0_10empty_typeEbEEZZNS1_14partition_implILS8_3ELb0ES6_jNS0_17counting_iteratorIjlEEPS9_SE_NS0_5tupleIJPjSE_EEENSF_IJSE_SE_EEES9_SG_JZNS1_25segmented_radix_sort_implINS0_14default_configELb1EPKsPsPKlPlN2at6native12_GLOBAL__N_18offset_tEEE10hipError_tPvRmT1_PNSt15iterator_traitsISY_E10value_typeET2_T3_PNSZ_IS14_E10value_typeET4_jRbjT5_S1A_jjP12ihipStream_tbEUljE_EEESV_SW_SX_S14_S18_S1A_T6_T7_T9_mT8_S1C_bDpT10_ENKUlT_T0_E_clISt17integral_constantIbLb0EES1O_IbLb1EEEEDaS1K_S1L_EUlS1K_E_NS1_11comp_targetILNS1_3genE4ELNS1_11target_archE910ELNS1_3gpuE8ELNS1_3repE0EEENS1_30default_config_static_selectorELNS0_4arch9wavefront6targetE0EEEvSY_.uses_vcc, 0
	.set _ZN7rocprim17ROCPRIM_400000_NS6detail17trampoline_kernelINS0_13select_configILj256ELj13ELNS0_17block_load_methodE3ELS4_3ELS4_3ELNS0_20block_scan_algorithmE0ELj4294967295EEENS1_25partition_config_selectorILNS1_17partition_subalgoE3EjNS0_10empty_typeEbEEZZNS1_14partition_implILS8_3ELb0ES6_jNS0_17counting_iteratorIjlEEPS9_SE_NS0_5tupleIJPjSE_EEENSF_IJSE_SE_EEES9_SG_JZNS1_25segmented_radix_sort_implINS0_14default_configELb1EPKsPsPKlPlN2at6native12_GLOBAL__N_18offset_tEEE10hipError_tPvRmT1_PNSt15iterator_traitsISY_E10value_typeET2_T3_PNSZ_IS14_E10value_typeET4_jRbjT5_S1A_jjP12ihipStream_tbEUljE_EEESV_SW_SX_S14_S18_S1A_T6_T7_T9_mT8_S1C_bDpT10_ENKUlT_T0_E_clISt17integral_constantIbLb0EES1O_IbLb1EEEEDaS1K_S1L_EUlS1K_E_NS1_11comp_targetILNS1_3genE4ELNS1_11target_archE910ELNS1_3gpuE8ELNS1_3repE0EEENS1_30default_config_static_selectorELNS0_4arch9wavefront6targetE0EEEvSY_.uses_flat_scratch, 0
	.set _ZN7rocprim17ROCPRIM_400000_NS6detail17trampoline_kernelINS0_13select_configILj256ELj13ELNS0_17block_load_methodE3ELS4_3ELS4_3ELNS0_20block_scan_algorithmE0ELj4294967295EEENS1_25partition_config_selectorILNS1_17partition_subalgoE3EjNS0_10empty_typeEbEEZZNS1_14partition_implILS8_3ELb0ES6_jNS0_17counting_iteratorIjlEEPS9_SE_NS0_5tupleIJPjSE_EEENSF_IJSE_SE_EEES9_SG_JZNS1_25segmented_radix_sort_implINS0_14default_configELb1EPKsPsPKlPlN2at6native12_GLOBAL__N_18offset_tEEE10hipError_tPvRmT1_PNSt15iterator_traitsISY_E10value_typeET2_T3_PNSZ_IS14_E10value_typeET4_jRbjT5_S1A_jjP12ihipStream_tbEUljE_EEESV_SW_SX_S14_S18_S1A_T6_T7_T9_mT8_S1C_bDpT10_ENKUlT_T0_E_clISt17integral_constantIbLb0EES1O_IbLb1EEEEDaS1K_S1L_EUlS1K_E_NS1_11comp_targetILNS1_3genE4ELNS1_11target_archE910ELNS1_3gpuE8ELNS1_3repE0EEENS1_30default_config_static_selectorELNS0_4arch9wavefront6targetE0EEEvSY_.has_dyn_sized_stack, 0
	.set _ZN7rocprim17ROCPRIM_400000_NS6detail17trampoline_kernelINS0_13select_configILj256ELj13ELNS0_17block_load_methodE3ELS4_3ELS4_3ELNS0_20block_scan_algorithmE0ELj4294967295EEENS1_25partition_config_selectorILNS1_17partition_subalgoE3EjNS0_10empty_typeEbEEZZNS1_14partition_implILS8_3ELb0ES6_jNS0_17counting_iteratorIjlEEPS9_SE_NS0_5tupleIJPjSE_EEENSF_IJSE_SE_EEES9_SG_JZNS1_25segmented_radix_sort_implINS0_14default_configELb1EPKsPsPKlPlN2at6native12_GLOBAL__N_18offset_tEEE10hipError_tPvRmT1_PNSt15iterator_traitsISY_E10value_typeET2_T3_PNSZ_IS14_E10value_typeET4_jRbjT5_S1A_jjP12ihipStream_tbEUljE_EEESV_SW_SX_S14_S18_S1A_T6_T7_T9_mT8_S1C_bDpT10_ENKUlT_T0_E_clISt17integral_constantIbLb0EES1O_IbLb1EEEEDaS1K_S1L_EUlS1K_E_NS1_11comp_targetILNS1_3genE4ELNS1_11target_archE910ELNS1_3gpuE8ELNS1_3repE0EEENS1_30default_config_static_selectorELNS0_4arch9wavefront6targetE0EEEvSY_.has_recursion, 0
	.set _ZN7rocprim17ROCPRIM_400000_NS6detail17trampoline_kernelINS0_13select_configILj256ELj13ELNS0_17block_load_methodE3ELS4_3ELS4_3ELNS0_20block_scan_algorithmE0ELj4294967295EEENS1_25partition_config_selectorILNS1_17partition_subalgoE3EjNS0_10empty_typeEbEEZZNS1_14partition_implILS8_3ELb0ES6_jNS0_17counting_iteratorIjlEEPS9_SE_NS0_5tupleIJPjSE_EEENSF_IJSE_SE_EEES9_SG_JZNS1_25segmented_radix_sort_implINS0_14default_configELb1EPKsPsPKlPlN2at6native12_GLOBAL__N_18offset_tEEE10hipError_tPvRmT1_PNSt15iterator_traitsISY_E10value_typeET2_T3_PNSZ_IS14_E10value_typeET4_jRbjT5_S1A_jjP12ihipStream_tbEUljE_EEESV_SW_SX_S14_S18_S1A_T6_T7_T9_mT8_S1C_bDpT10_ENKUlT_T0_E_clISt17integral_constantIbLb0EES1O_IbLb1EEEEDaS1K_S1L_EUlS1K_E_NS1_11comp_targetILNS1_3genE4ELNS1_11target_archE910ELNS1_3gpuE8ELNS1_3repE0EEENS1_30default_config_static_selectorELNS0_4arch9wavefront6targetE0EEEvSY_.has_indirect_call, 0
	.section	.AMDGPU.csdata,"",@progbits
; Kernel info:
; codeLenInByte = 0
; TotalNumSgprs: 0
; NumVgprs: 0
; ScratchSize: 0
; MemoryBound: 0
; FloatMode: 240
; IeeeMode: 1
; LDSByteSize: 0 bytes/workgroup (compile time only)
; SGPRBlocks: 0
; VGPRBlocks: 0
; NumSGPRsForWavesPerEU: 1
; NumVGPRsForWavesPerEU: 1
; Occupancy: 16
; WaveLimiterHint : 0
; COMPUTE_PGM_RSRC2:SCRATCH_EN: 0
; COMPUTE_PGM_RSRC2:USER_SGPR: 2
; COMPUTE_PGM_RSRC2:TRAP_HANDLER: 0
; COMPUTE_PGM_RSRC2:TGID_X_EN: 1
; COMPUTE_PGM_RSRC2:TGID_Y_EN: 0
; COMPUTE_PGM_RSRC2:TGID_Z_EN: 0
; COMPUTE_PGM_RSRC2:TIDIG_COMP_CNT: 0
	.section	.text._ZN7rocprim17ROCPRIM_400000_NS6detail17trampoline_kernelINS0_13select_configILj256ELj13ELNS0_17block_load_methodE3ELS4_3ELS4_3ELNS0_20block_scan_algorithmE0ELj4294967295EEENS1_25partition_config_selectorILNS1_17partition_subalgoE3EjNS0_10empty_typeEbEEZZNS1_14partition_implILS8_3ELb0ES6_jNS0_17counting_iteratorIjlEEPS9_SE_NS0_5tupleIJPjSE_EEENSF_IJSE_SE_EEES9_SG_JZNS1_25segmented_radix_sort_implINS0_14default_configELb1EPKsPsPKlPlN2at6native12_GLOBAL__N_18offset_tEEE10hipError_tPvRmT1_PNSt15iterator_traitsISY_E10value_typeET2_T3_PNSZ_IS14_E10value_typeET4_jRbjT5_S1A_jjP12ihipStream_tbEUljE_EEESV_SW_SX_S14_S18_S1A_T6_T7_T9_mT8_S1C_bDpT10_ENKUlT_T0_E_clISt17integral_constantIbLb0EES1O_IbLb1EEEEDaS1K_S1L_EUlS1K_E_NS1_11comp_targetILNS1_3genE3ELNS1_11target_archE908ELNS1_3gpuE7ELNS1_3repE0EEENS1_30default_config_static_selectorELNS0_4arch9wavefront6targetE0EEEvSY_,"axG",@progbits,_ZN7rocprim17ROCPRIM_400000_NS6detail17trampoline_kernelINS0_13select_configILj256ELj13ELNS0_17block_load_methodE3ELS4_3ELS4_3ELNS0_20block_scan_algorithmE0ELj4294967295EEENS1_25partition_config_selectorILNS1_17partition_subalgoE3EjNS0_10empty_typeEbEEZZNS1_14partition_implILS8_3ELb0ES6_jNS0_17counting_iteratorIjlEEPS9_SE_NS0_5tupleIJPjSE_EEENSF_IJSE_SE_EEES9_SG_JZNS1_25segmented_radix_sort_implINS0_14default_configELb1EPKsPsPKlPlN2at6native12_GLOBAL__N_18offset_tEEE10hipError_tPvRmT1_PNSt15iterator_traitsISY_E10value_typeET2_T3_PNSZ_IS14_E10value_typeET4_jRbjT5_S1A_jjP12ihipStream_tbEUljE_EEESV_SW_SX_S14_S18_S1A_T6_T7_T9_mT8_S1C_bDpT10_ENKUlT_T0_E_clISt17integral_constantIbLb0EES1O_IbLb1EEEEDaS1K_S1L_EUlS1K_E_NS1_11comp_targetILNS1_3genE3ELNS1_11target_archE908ELNS1_3gpuE7ELNS1_3repE0EEENS1_30default_config_static_selectorELNS0_4arch9wavefront6targetE0EEEvSY_,comdat
	.globl	_ZN7rocprim17ROCPRIM_400000_NS6detail17trampoline_kernelINS0_13select_configILj256ELj13ELNS0_17block_load_methodE3ELS4_3ELS4_3ELNS0_20block_scan_algorithmE0ELj4294967295EEENS1_25partition_config_selectorILNS1_17partition_subalgoE3EjNS0_10empty_typeEbEEZZNS1_14partition_implILS8_3ELb0ES6_jNS0_17counting_iteratorIjlEEPS9_SE_NS0_5tupleIJPjSE_EEENSF_IJSE_SE_EEES9_SG_JZNS1_25segmented_radix_sort_implINS0_14default_configELb1EPKsPsPKlPlN2at6native12_GLOBAL__N_18offset_tEEE10hipError_tPvRmT1_PNSt15iterator_traitsISY_E10value_typeET2_T3_PNSZ_IS14_E10value_typeET4_jRbjT5_S1A_jjP12ihipStream_tbEUljE_EEESV_SW_SX_S14_S18_S1A_T6_T7_T9_mT8_S1C_bDpT10_ENKUlT_T0_E_clISt17integral_constantIbLb0EES1O_IbLb1EEEEDaS1K_S1L_EUlS1K_E_NS1_11comp_targetILNS1_3genE3ELNS1_11target_archE908ELNS1_3gpuE7ELNS1_3repE0EEENS1_30default_config_static_selectorELNS0_4arch9wavefront6targetE0EEEvSY_ ; -- Begin function _ZN7rocprim17ROCPRIM_400000_NS6detail17trampoline_kernelINS0_13select_configILj256ELj13ELNS0_17block_load_methodE3ELS4_3ELS4_3ELNS0_20block_scan_algorithmE0ELj4294967295EEENS1_25partition_config_selectorILNS1_17partition_subalgoE3EjNS0_10empty_typeEbEEZZNS1_14partition_implILS8_3ELb0ES6_jNS0_17counting_iteratorIjlEEPS9_SE_NS0_5tupleIJPjSE_EEENSF_IJSE_SE_EEES9_SG_JZNS1_25segmented_radix_sort_implINS0_14default_configELb1EPKsPsPKlPlN2at6native12_GLOBAL__N_18offset_tEEE10hipError_tPvRmT1_PNSt15iterator_traitsISY_E10value_typeET2_T3_PNSZ_IS14_E10value_typeET4_jRbjT5_S1A_jjP12ihipStream_tbEUljE_EEESV_SW_SX_S14_S18_S1A_T6_T7_T9_mT8_S1C_bDpT10_ENKUlT_T0_E_clISt17integral_constantIbLb0EES1O_IbLb1EEEEDaS1K_S1L_EUlS1K_E_NS1_11comp_targetILNS1_3genE3ELNS1_11target_archE908ELNS1_3gpuE7ELNS1_3repE0EEENS1_30default_config_static_selectorELNS0_4arch9wavefront6targetE0EEEvSY_
	.p2align	8
	.type	_ZN7rocprim17ROCPRIM_400000_NS6detail17trampoline_kernelINS0_13select_configILj256ELj13ELNS0_17block_load_methodE3ELS4_3ELS4_3ELNS0_20block_scan_algorithmE0ELj4294967295EEENS1_25partition_config_selectorILNS1_17partition_subalgoE3EjNS0_10empty_typeEbEEZZNS1_14partition_implILS8_3ELb0ES6_jNS0_17counting_iteratorIjlEEPS9_SE_NS0_5tupleIJPjSE_EEENSF_IJSE_SE_EEES9_SG_JZNS1_25segmented_radix_sort_implINS0_14default_configELb1EPKsPsPKlPlN2at6native12_GLOBAL__N_18offset_tEEE10hipError_tPvRmT1_PNSt15iterator_traitsISY_E10value_typeET2_T3_PNSZ_IS14_E10value_typeET4_jRbjT5_S1A_jjP12ihipStream_tbEUljE_EEESV_SW_SX_S14_S18_S1A_T6_T7_T9_mT8_S1C_bDpT10_ENKUlT_T0_E_clISt17integral_constantIbLb0EES1O_IbLb1EEEEDaS1K_S1L_EUlS1K_E_NS1_11comp_targetILNS1_3genE3ELNS1_11target_archE908ELNS1_3gpuE7ELNS1_3repE0EEENS1_30default_config_static_selectorELNS0_4arch9wavefront6targetE0EEEvSY_,@function
_ZN7rocprim17ROCPRIM_400000_NS6detail17trampoline_kernelINS0_13select_configILj256ELj13ELNS0_17block_load_methodE3ELS4_3ELS4_3ELNS0_20block_scan_algorithmE0ELj4294967295EEENS1_25partition_config_selectorILNS1_17partition_subalgoE3EjNS0_10empty_typeEbEEZZNS1_14partition_implILS8_3ELb0ES6_jNS0_17counting_iteratorIjlEEPS9_SE_NS0_5tupleIJPjSE_EEENSF_IJSE_SE_EEES9_SG_JZNS1_25segmented_radix_sort_implINS0_14default_configELb1EPKsPsPKlPlN2at6native12_GLOBAL__N_18offset_tEEE10hipError_tPvRmT1_PNSt15iterator_traitsISY_E10value_typeET2_T3_PNSZ_IS14_E10value_typeET4_jRbjT5_S1A_jjP12ihipStream_tbEUljE_EEESV_SW_SX_S14_S18_S1A_T6_T7_T9_mT8_S1C_bDpT10_ENKUlT_T0_E_clISt17integral_constantIbLb0EES1O_IbLb1EEEEDaS1K_S1L_EUlS1K_E_NS1_11comp_targetILNS1_3genE3ELNS1_11target_archE908ELNS1_3gpuE7ELNS1_3repE0EEENS1_30default_config_static_selectorELNS0_4arch9wavefront6targetE0EEEvSY_: ; @_ZN7rocprim17ROCPRIM_400000_NS6detail17trampoline_kernelINS0_13select_configILj256ELj13ELNS0_17block_load_methodE3ELS4_3ELS4_3ELNS0_20block_scan_algorithmE0ELj4294967295EEENS1_25partition_config_selectorILNS1_17partition_subalgoE3EjNS0_10empty_typeEbEEZZNS1_14partition_implILS8_3ELb0ES6_jNS0_17counting_iteratorIjlEEPS9_SE_NS0_5tupleIJPjSE_EEENSF_IJSE_SE_EEES9_SG_JZNS1_25segmented_radix_sort_implINS0_14default_configELb1EPKsPsPKlPlN2at6native12_GLOBAL__N_18offset_tEEE10hipError_tPvRmT1_PNSt15iterator_traitsISY_E10value_typeET2_T3_PNSZ_IS14_E10value_typeET4_jRbjT5_S1A_jjP12ihipStream_tbEUljE_EEESV_SW_SX_S14_S18_S1A_T6_T7_T9_mT8_S1C_bDpT10_ENKUlT_T0_E_clISt17integral_constantIbLb0EES1O_IbLb1EEEEDaS1K_S1L_EUlS1K_E_NS1_11comp_targetILNS1_3genE3ELNS1_11target_archE908ELNS1_3gpuE7ELNS1_3repE0EEENS1_30default_config_static_selectorELNS0_4arch9wavefront6targetE0EEEvSY_
; %bb.0:
	.section	.rodata,"a",@progbits
	.p2align	6, 0x0
	.amdhsa_kernel _ZN7rocprim17ROCPRIM_400000_NS6detail17trampoline_kernelINS0_13select_configILj256ELj13ELNS0_17block_load_methodE3ELS4_3ELS4_3ELNS0_20block_scan_algorithmE0ELj4294967295EEENS1_25partition_config_selectorILNS1_17partition_subalgoE3EjNS0_10empty_typeEbEEZZNS1_14partition_implILS8_3ELb0ES6_jNS0_17counting_iteratorIjlEEPS9_SE_NS0_5tupleIJPjSE_EEENSF_IJSE_SE_EEES9_SG_JZNS1_25segmented_radix_sort_implINS0_14default_configELb1EPKsPsPKlPlN2at6native12_GLOBAL__N_18offset_tEEE10hipError_tPvRmT1_PNSt15iterator_traitsISY_E10value_typeET2_T3_PNSZ_IS14_E10value_typeET4_jRbjT5_S1A_jjP12ihipStream_tbEUljE_EEESV_SW_SX_S14_S18_S1A_T6_T7_T9_mT8_S1C_bDpT10_ENKUlT_T0_E_clISt17integral_constantIbLb0EES1O_IbLb1EEEEDaS1K_S1L_EUlS1K_E_NS1_11comp_targetILNS1_3genE3ELNS1_11target_archE908ELNS1_3gpuE7ELNS1_3repE0EEENS1_30default_config_static_selectorELNS0_4arch9wavefront6targetE0EEEvSY_
		.amdhsa_group_segment_fixed_size 0
		.amdhsa_private_segment_fixed_size 0
		.amdhsa_kernarg_size 152
		.amdhsa_user_sgpr_count 2
		.amdhsa_user_sgpr_dispatch_ptr 0
		.amdhsa_user_sgpr_queue_ptr 0
		.amdhsa_user_sgpr_kernarg_segment_ptr 1
		.amdhsa_user_sgpr_dispatch_id 0
		.amdhsa_user_sgpr_private_segment_size 0
		.amdhsa_wavefront_size32 1
		.amdhsa_uses_dynamic_stack 0
		.amdhsa_enable_private_segment 0
		.amdhsa_system_sgpr_workgroup_id_x 1
		.amdhsa_system_sgpr_workgroup_id_y 0
		.amdhsa_system_sgpr_workgroup_id_z 0
		.amdhsa_system_sgpr_workgroup_info 0
		.amdhsa_system_vgpr_workitem_id 0
		.amdhsa_next_free_vgpr 1
		.amdhsa_next_free_sgpr 1
		.amdhsa_reserve_vcc 0
		.amdhsa_float_round_mode_32 0
		.amdhsa_float_round_mode_16_64 0
		.amdhsa_float_denorm_mode_32 3
		.amdhsa_float_denorm_mode_16_64 3
		.amdhsa_fp16_overflow 0
		.amdhsa_workgroup_processor_mode 1
		.amdhsa_memory_ordered 1
		.amdhsa_forward_progress 1
		.amdhsa_inst_pref_size 0
		.amdhsa_round_robin_scheduling 0
		.amdhsa_exception_fp_ieee_invalid_op 0
		.amdhsa_exception_fp_denorm_src 0
		.amdhsa_exception_fp_ieee_div_zero 0
		.amdhsa_exception_fp_ieee_overflow 0
		.amdhsa_exception_fp_ieee_underflow 0
		.amdhsa_exception_fp_ieee_inexact 0
		.amdhsa_exception_int_div_zero 0
	.end_amdhsa_kernel
	.section	.text._ZN7rocprim17ROCPRIM_400000_NS6detail17trampoline_kernelINS0_13select_configILj256ELj13ELNS0_17block_load_methodE3ELS4_3ELS4_3ELNS0_20block_scan_algorithmE0ELj4294967295EEENS1_25partition_config_selectorILNS1_17partition_subalgoE3EjNS0_10empty_typeEbEEZZNS1_14partition_implILS8_3ELb0ES6_jNS0_17counting_iteratorIjlEEPS9_SE_NS0_5tupleIJPjSE_EEENSF_IJSE_SE_EEES9_SG_JZNS1_25segmented_radix_sort_implINS0_14default_configELb1EPKsPsPKlPlN2at6native12_GLOBAL__N_18offset_tEEE10hipError_tPvRmT1_PNSt15iterator_traitsISY_E10value_typeET2_T3_PNSZ_IS14_E10value_typeET4_jRbjT5_S1A_jjP12ihipStream_tbEUljE_EEESV_SW_SX_S14_S18_S1A_T6_T7_T9_mT8_S1C_bDpT10_ENKUlT_T0_E_clISt17integral_constantIbLb0EES1O_IbLb1EEEEDaS1K_S1L_EUlS1K_E_NS1_11comp_targetILNS1_3genE3ELNS1_11target_archE908ELNS1_3gpuE7ELNS1_3repE0EEENS1_30default_config_static_selectorELNS0_4arch9wavefront6targetE0EEEvSY_,"axG",@progbits,_ZN7rocprim17ROCPRIM_400000_NS6detail17trampoline_kernelINS0_13select_configILj256ELj13ELNS0_17block_load_methodE3ELS4_3ELS4_3ELNS0_20block_scan_algorithmE0ELj4294967295EEENS1_25partition_config_selectorILNS1_17partition_subalgoE3EjNS0_10empty_typeEbEEZZNS1_14partition_implILS8_3ELb0ES6_jNS0_17counting_iteratorIjlEEPS9_SE_NS0_5tupleIJPjSE_EEENSF_IJSE_SE_EEES9_SG_JZNS1_25segmented_radix_sort_implINS0_14default_configELb1EPKsPsPKlPlN2at6native12_GLOBAL__N_18offset_tEEE10hipError_tPvRmT1_PNSt15iterator_traitsISY_E10value_typeET2_T3_PNSZ_IS14_E10value_typeET4_jRbjT5_S1A_jjP12ihipStream_tbEUljE_EEESV_SW_SX_S14_S18_S1A_T6_T7_T9_mT8_S1C_bDpT10_ENKUlT_T0_E_clISt17integral_constantIbLb0EES1O_IbLb1EEEEDaS1K_S1L_EUlS1K_E_NS1_11comp_targetILNS1_3genE3ELNS1_11target_archE908ELNS1_3gpuE7ELNS1_3repE0EEENS1_30default_config_static_selectorELNS0_4arch9wavefront6targetE0EEEvSY_,comdat
.Lfunc_end906:
	.size	_ZN7rocprim17ROCPRIM_400000_NS6detail17trampoline_kernelINS0_13select_configILj256ELj13ELNS0_17block_load_methodE3ELS4_3ELS4_3ELNS0_20block_scan_algorithmE0ELj4294967295EEENS1_25partition_config_selectorILNS1_17partition_subalgoE3EjNS0_10empty_typeEbEEZZNS1_14partition_implILS8_3ELb0ES6_jNS0_17counting_iteratorIjlEEPS9_SE_NS0_5tupleIJPjSE_EEENSF_IJSE_SE_EEES9_SG_JZNS1_25segmented_radix_sort_implINS0_14default_configELb1EPKsPsPKlPlN2at6native12_GLOBAL__N_18offset_tEEE10hipError_tPvRmT1_PNSt15iterator_traitsISY_E10value_typeET2_T3_PNSZ_IS14_E10value_typeET4_jRbjT5_S1A_jjP12ihipStream_tbEUljE_EEESV_SW_SX_S14_S18_S1A_T6_T7_T9_mT8_S1C_bDpT10_ENKUlT_T0_E_clISt17integral_constantIbLb0EES1O_IbLb1EEEEDaS1K_S1L_EUlS1K_E_NS1_11comp_targetILNS1_3genE3ELNS1_11target_archE908ELNS1_3gpuE7ELNS1_3repE0EEENS1_30default_config_static_selectorELNS0_4arch9wavefront6targetE0EEEvSY_, .Lfunc_end906-_ZN7rocprim17ROCPRIM_400000_NS6detail17trampoline_kernelINS0_13select_configILj256ELj13ELNS0_17block_load_methodE3ELS4_3ELS4_3ELNS0_20block_scan_algorithmE0ELj4294967295EEENS1_25partition_config_selectorILNS1_17partition_subalgoE3EjNS0_10empty_typeEbEEZZNS1_14partition_implILS8_3ELb0ES6_jNS0_17counting_iteratorIjlEEPS9_SE_NS0_5tupleIJPjSE_EEENSF_IJSE_SE_EEES9_SG_JZNS1_25segmented_radix_sort_implINS0_14default_configELb1EPKsPsPKlPlN2at6native12_GLOBAL__N_18offset_tEEE10hipError_tPvRmT1_PNSt15iterator_traitsISY_E10value_typeET2_T3_PNSZ_IS14_E10value_typeET4_jRbjT5_S1A_jjP12ihipStream_tbEUljE_EEESV_SW_SX_S14_S18_S1A_T6_T7_T9_mT8_S1C_bDpT10_ENKUlT_T0_E_clISt17integral_constantIbLb0EES1O_IbLb1EEEEDaS1K_S1L_EUlS1K_E_NS1_11comp_targetILNS1_3genE3ELNS1_11target_archE908ELNS1_3gpuE7ELNS1_3repE0EEENS1_30default_config_static_selectorELNS0_4arch9wavefront6targetE0EEEvSY_
                                        ; -- End function
	.set _ZN7rocprim17ROCPRIM_400000_NS6detail17trampoline_kernelINS0_13select_configILj256ELj13ELNS0_17block_load_methodE3ELS4_3ELS4_3ELNS0_20block_scan_algorithmE0ELj4294967295EEENS1_25partition_config_selectorILNS1_17partition_subalgoE3EjNS0_10empty_typeEbEEZZNS1_14partition_implILS8_3ELb0ES6_jNS0_17counting_iteratorIjlEEPS9_SE_NS0_5tupleIJPjSE_EEENSF_IJSE_SE_EEES9_SG_JZNS1_25segmented_radix_sort_implINS0_14default_configELb1EPKsPsPKlPlN2at6native12_GLOBAL__N_18offset_tEEE10hipError_tPvRmT1_PNSt15iterator_traitsISY_E10value_typeET2_T3_PNSZ_IS14_E10value_typeET4_jRbjT5_S1A_jjP12ihipStream_tbEUljE_EEESV_SW_SX_S14_S18_S1A_T6_T7_T9_mT8_S1C_bDpT10_ENKUlT_T0_E_clISt17integral_constantIbLb0EES1O_IbLb1EEEEDaS1K_S1L_EUlS1K_E_NS1_11comp_targetILNS1_3genE3ELNS1_11target_archE908ELNS1_3gpuE7ELNS1_3repE0EEENS1_30default_config_static_selectorELNS0_4arch9wavefront6targetE0EEEvSY_.num_vgpr, 0
	.set _ZN7rocprim17ROCPRIM_400000_NS6detail17trampoline_kernelINS0_13select_configILj256ELj13ELNS0_17block_load_methodE3ELS4_3ELS4_3ELNS0_20block_scan_algorithmE0ELj4294967295EEENS1_25partition_config_selectorILNS1_17partition_subalgoE3EjNS0_10empty_typeEbEEZZNS1_14partition_implILS8_3ELb0ES6_jNS0_17counting_iteratorIjlEEPS9_SE_NS0_5tupleIJPjSE_EEENSF_IJSE_SE_EEES9_SG_JZNS1_25segmented_radix_sort_implINS0_14default_configELb1EPKsPsPKlPlN2at6native12_GLOBAL__N_18offset_tEEE10hipError_tPvRmT1_PNSt15iterator_traitsISY_E10value_typeET2_T3_PNSZ_IS14_E10value_typeET4_jRbjT5_S1A_jjP12ihipStream_tbEUljE_EEESV_SW_SX_S14_S18_S1A_T6_T7_T9_mT8_S1C_bDpT10_ENKUlT_T0_E_clISt17integral_constantIbLb0EES1O_IbLb1EEEEDaS1K_S1L_EUlS1K_E_NS1_11comp_targetILNS1_3genE3ELNS1_11target_archE908ELNS1_3gpuE7ELNS1_3repE0EEENS1_30default_config_static_selectorELNS0_4arch9wavefront6targetE0EEEvSY_.num_agpr, 0
	.set _ZN7rocprim17ROCPRIM_400000_NS6detail17trampoline_kernelINS0_13select_configILj256ELj13ELNS0_17block_load_methodE3ELS4_3ELS4_3ELNS0_20block_scan_algorithmE0ELj4294967295EEENS1_25partition_config_selectorILNS1_17partition_subalgoE3EjNS0_10empty_typeEbEEZZNS1_14partition_implILS8_3ELb0ES6_jNS0_17counting_iteratorIjlEEPS9_SE_NS0_5tupleIJPjSE_EEENSF_IJSE_SE_EEES9_SG_JZNS1_25segmented_radix_sort_implINS0_14default_configELb1EPKsPsPKlPlN2at6native12_GLOBAL__N_18offset_tEEE10hipError_tPvRmT1_PNSt15iterator_traitsISY_E10value_typeET2_T3_PNSZ_IS14_E10value_typeET4_jRbjT5_S1A_jjP12ihipStream_tbEUljE_EEESV_SW_SX_S14_S18_S1A_T6_T7_T9_mT8_S1C_bDpT10_ENKUlT_T0_E_clISt17integral_constantIbLb0EES1O_IbLb1EEEEDaS1K_S1L_EUlS1K_E_NS1_11comp_targetILNS1_3genE3ELNS1_11target_archE908ELNS1_3gpuE7ELNS1_3repE0EEENS1_30default_config_static_selectorELNS0_4arch9wavefront6targetE0EEEvSY_.numbered_sgpr, 0
	.set _ZN7rocprim17ROCPRIM_400000_NS6detail17trampoline_kernelINS0_13select_configILj256ELj13ELNS0_17block_load_methodE3ELS4_3ELS4_3ELNS0_20block_scan_algorithmE0ELj4294967295EEENS1_25partition_config_selectorILNS1_17partition_subalgoE3EjNS0_10empty_typeEbEEZZNS1_14partition_implILS8_3ELb0ES6_jNS0_17counting_iteratorIjlEEPS9_SE_NS0_5tupleIJPjSE_EEENSF_IJSE_SE_EEES9_SG_JZNS1_25segmented_radix_sort_implINS0_14default_configELb1EPKsPsPKlPlN2at6native12_GLOBAL__N_18offset_tEEE10hipError_tPvRmT1_PNSt15iterator_traitsISY_E10value_typeET2_T3_PNSZ_IS14_E10value_typeET4_jRbjT5_S1A_jjP12ihipStream_tbEUljE_EEESV_SW_SX_S14_S18_S1A_T6_T7_T9_mT8_S1C_bDpT10_ENKUlT_T0_E_clISt17integral_constantIbLb0EES1O_IbLb1EEEEDaS1K_S1L_EUlS1K_E_NS1_11comp_targetILNS1_3genE3ELNS1_11target_archE908ELNS1_3gpuE7ELNS1_3repE0EEENS1_30default_config_static_selectorELNS0_4arch9wavefront6targetE0EEEvSY_.num_named_barrier, 0
	.set _ZN7rocprim17ROCPRIM_400000_NS6detail17trampoline_kernelINS0_13select_configILj256ELj13ELNS0_17block_load_methodE3ELS4_3ELS4_3ELNS0_20block_scan_algorithmE0ELj4294967295EEENS1_25partition_config_selectorILNS1_17partition_subalgoE3EjNS0_10empty_typeEbEEZZNS1_14partition_implILS8_3ELb0ES6_jNS0_17counting_iteratorIjlEEPS9_SE_NS0_5tupleIJPjSE_EEENSF_IJSE_SE_EEES9_SG_JZNS1_25segmented_radix_sort_implINS0_14default_configELb1EPKsPsPKlPlN2at6native12_GLOBAL__N_18offset_tEEE10hipError_tPvRmT1_PNSt15iterator_traitsISY_E10value_typeET2_T3_PNSZ_IS14_E10value_typeET4_jRbjT5_S1A_jjP12ihipStream_tbEUljE_EEESV_SW_SX_S14_S18_S1A_T6_T7_T9_mT8_S1C_bDpT10_ENKUlT_T0_E_clISt17integral_constantIbLb0EES1O_IbLb1EEEEDaS1K_S1L_EUlS1K_E_NS1_11comp_targetILNS1_3genE3ELNS1_11target_archE908ELNS1_3gpuE7ELNS1_3repE0EEENS1_30default_config_static_selectorELNS0_4arch9wavefront6targetE0EEEvSY_.private_seg_size, 0
	.set _ZN7rocprim17ROCPRIM_400000_NS6detail17trampoline_kernelINS0_13select_configILj256ELj13ELNS0_17block_load_methodE3ELS4_3ELS4_3ELNS0_20block_scan_algorithmE0ELj4294967295EEENS1_25partition_config_selectorILNS1_17partition_subalgoE3EjNS0_10empty_typeEbEEZZNS1_14partition_implILS8_3ELb0ES6_jNS0_17counting_iteratorIjlEEPS9_SE_NS0_5tupleIJPjSE_EEENSF_IJSE_SE_EEES9_SG_JZNS1_25segmented_radix_sort_implINS0_14default_configELb1EPKsPsPKlPlN2at6native12_GLOBAL__N_18offset_tEEE10hipError_tPvRmT1_PNSt15iterator_traitsISY_E10value_typeET2_T3_PNSZ_IS14_E10value_typeET4_jRbjT5_S1A_jjP12ihipStream_tbEUljE_EEESV_SW_SX_S14_S18_S1A_T6_T7_T9_mT8_S1C_bDpT10_ENKUlT_T0_E_clISt17integral_constantIbLb0EES1O_IbLb1EEEEDaS1K_S1L_EUlS1K_E_NS1_11comp_targetILNS1_3genE3ELNS1_11target_archE908ELNS1_3gpuE7ELNS1_3repE0EEENS1_30default_config_static_selectorELNS0_4arch9wavefront6targetE0EEEvSY_.uses_vcc, 0
	.set _ZN7rocprim17ROCPRIM_400000_NS6detail17trampoline_kernelINS0_13select_configILj256ELj13ELNS0_17block_load_methodE3ELS4_3ELS4_3ELNS0_20block_scan_algorithmE0ELj4294967295EEENS1_25partition_config_selectorILNS1_17partition_subalgoE3EjNS0_10empty_typeEbEEZZNS1_14partition_implILS8_3ELb0ES6_jNS0_17counting_iteratorIjlEEPS9_SE_NS0_5tupleIJPjSE_EEENSF_IJSE_SE_EEES9_SG_JZNS1_25segmented_radix_sort_implINS0_14default_configELb1EPKsPsPKlPlN2at6native12_GLOBAL__N_18offset_tEEE10hipError_tPvRmT1_PNSt15iterator_traitsISY_E10value_typeET2_T3_PNSZ_IS14_E10value_typeET4_jRbjT5_S1A_jjP12ihipStream_tbEUljE_EEESV_SW_SX_S14_S18_S1A_T6_T7_T9_mT8_S1C_bDpT10_ENKUlT_T0_E_clISt17integral_constantIbLb0EES1O_IbLb1EEEEDaS1K_S1L_EUlS1K_E_NS1_11comp_targetILNS1_3genE3ELNS1_11target_archE908ELNS1_3gpuE7ELNS1_3repE0EEENS1_30default_config_static_selectorELNS0_4arch9wavefront6targetE0EEEvSY_.uses_flat_scratch, 0
	.set _ZN7rocprim17ROCPRIM_400000_NS6detail17trampoline_kernelINS0_13select_configILj256ELj13ELNS0_17block_load_methodE3ELS4_3ELS4_3ELNS0_20block_scan_algorithmE0ELj4294967295EEENS1_25partition_config_selectorILNS1_17partition_subalgoE3EjNS0_10empty_typeEbEEZZNS1_14partition_implILS8_3ELb0ES6_jNS0_17counting_iteratorIjlEEPS9_SE_NS0_5tupleIJPjSE_EEENSF_IJSE_SE_EEES9_SG_JZNS1_25segmented_radix_sort_implINS0_14default_configELb1EPKsPsPKlPlN2at6native12_GLOBAL__N_18offset_tEEE10hipError_tPvRmT1_PNSt15iterator_traitsISY_E10value_typeET2_T3_PNSZ_IS14_E10value_typeET4_jRbjT5_S1A_jjP12ihipStream_tbEUljE_EEESV_SW_SX_S14_S18_S1A_T6_T7_T9_mT8_S1C_bDpT10_ENKUlT_T0_E_clISt17integral_constantIbLb0EES1O_IbLb1EEEEDaS1K_S1L_EUlS1K_E_NS1_11comp_targetILNS1_3genE3ELNS1_11target_archE908ELNS1_3gpuE7ELNS1_3repE0EEENS1_30default_config_static_selectorELNS0_4arch9wavefront6targetE0EEEvSY_.has_dyn_sized_stack, 0
	.set _ZN7rocprim17ROCPRIM_400000_NS6detail17trampoline_kernelINS0_13select_configILj256ELj13ELNS0_17block_load_methodE3ELS4_3ELS4_3ELNS0_20block_scan_algorithmE0ELj4294967295EEENS1_25partition_config_selectorILNS1_17partition_subalgoE3EjNS0_10empty_typeEbEEZZNS1_14partition_implILS8_3ELb0ES6_jNS0_17counting_iteratorIjlEEPS9_SE_NS0_5tupleIJPjSE_EEENSF_IJSE_SE_EEES9_SG_JZNS1_25segmented_radix_sort_implINS0_14default_configELb1EPKsPsPKlPlN2at6native12_GLOBAL__N_18offset_tEEE10hipError_tPvRmT1_PNSt15iterator_traitsISY_E10value_typeET2_T3_PNSZ_IS14_E10value_typeET4_jRbjT5_S1A_jjP12ihipStream_tbEUljE_EEESV_SW_SX_S14_S18_S1A_T6_T7_T9_mT8_S1C_bDpT10_ENKUlT_T0_E_clISt17integral_constantIbLb0EES1O_IbLb1EEEEDaS1K_S1L_EUlS1K_E_NS1_11comp_targetILNS1_3genE3ELNS1_11target_archE908ELNS1_3gpuE7ELNS1_3repE0EEENS1_30default_config_static_selectorELNS0_4arch9wavefront6targetE0EEEvSY_.has_recursion, 0
	.set _ZN7rocprim17ROCPRIM_400000_NS6detail17trampoline_kernelINS0_13select_configILj256ELj13ELNS0_17block_load_methodE3ELS4_3ELS4_3ELNS0_20block_scan_algorithmE0ELj4294967295EEENS1_25partition_config_selectorILNS1_17partition_subalgoE3EjNS0_10empty_typeEbEEZZNS1_14partition_implILS8_3ELb0ES6_jNS0_17counting_iteratorIjlEEPS9_SE_NS0_5tupleIJPjSE_EEENSF_IJSE_SE_EEES9_SG_JZNS1_25segmented_radix_sort_implINS0_14default_configELb1EPKsPsPKlPlN2at6native12_GLOBAL__N_18offset_tEEE10hipError_tPvRmT1_PNSt15iterator_traitsISY_E10value_typeET2_T3_PNSZ_IS14_E10value_typeET4_jRbjT5_S1A_jjP12ihipStream_tbEUljE_EEESV_SW_SX_S14_S18_S1A_T6_T7_T9_mT8_S1C_bDpT10_ENKUlT_T0_E_clISt17integral_constantIbLb0EES1O_IbLb1EEEEDaS1K_S1L_EUlS1K_E_NS1_11comp_targetILNS1_3genE3ELNS1_11target_archE908ELNS1_3gpuE7ELNS1_3repE0EEENS1_30default_config_static_selectorELNS0_4arch9wavefront6targetE0EEEvSY_.has_indirect_call, 0
	.section	.AMDGPU.csdata,"",@progbits
; Kernel info:
; codeLenInByte = 0
; TotalNumSgprs: 0
; NumVgprs: 0
; ScratchSize: 0
; MemoryBound: 0
; FloatMode: 240
; IeeeMode: 1
; LDSByteSize: 0 bytes/workgroup (compile time only)
; SGPRBlocks: 0
; VGPRBlocks: 0
; NumSGPRsForWavesPerEU: 1
; NumVGPRsForWavesPerEU: 1
; Occupancy: 16
; WaveLimiterHint : 0
; COMPUTE_PGM_RSRC2:SCRATCH_EN: 0
; COMPUTE_PGM_RSRC2:USER_SGPR: 2
; COMPUTE_PGM_RSRC2:TRAP_HANDLER: 0
; COMPUTE_PGM_RSRC2:TGID_X_EN: 1
; COMPUTE_PGM_RSRC2:TGID_Y_EN: 0
; COMPUTE_PGM_RSRC2:TGID_Z_EN: 0
; COMPUTE_PGM_RSRC2:TIDIG_COMP_CNT: 0
	.section	.text._ZN7rocprim17ROCPRIM_400000_NS6detail17trampoline_kernelINS0_13select_configILj256ELj13ELNS0_17block_load_methodE3ELS4_3ELS4_3ELNS0_20block_scan_algorithmE0ELj4294967295EEENS1_25partition_config_selectorILNS1_17partition_subalgoE3EjNS0_10empty_typeEbEEZZNS1_14partition_implILS8_3ELb0ES6_jNS0_17counting_iteratorIjlEEPS9_SE_NS0_5tupleIJPjSE_EEENSF_IJSE_SE_EEES9_SG_JZNS1_25segmented_radix_sort_implINS0_14default_configELb1EPKsPsPKlPlN2at6native12_GLOBAL__N_18offset_tEEE10hipError_tPvRmT1_PNSt15iterator_traitsISY_E10value_typeET2_T3_PNSZ_IS14_E10value_typeET4_jRbjT5_S1A_jjP12ihipStream_tbEUljE_EEESV_SW_SX_S14_S18_S1A_T6_T7_T9_mT8_S1C_bDpT10_ENKUlT_T0_E_clISt17integral_constantIbLb0EES1O_IbLb1EEEEDaS1K_S1L_EUlS1K_E_NS1_11comp_targetILNS1_3genE2ELNS1_11target_archE906ELNS1_3gpuE6ELNS1_3repE0EEENS1_30default_config_static_selectorELNS0_4arch9wavefront6targetE0EEEvSY_,"axG",@progbits,_ZN7rocprim17ROCPRIM_400000_NS6detail17trampoline_kernelINS0_13select_configILj256ELj13ELNS0_17block_load_methodE3ELS4_3ELS4_3ELNS0_20block_scan_algorithmE0ELj4294967295EEENS1_25partition_config_selectorILNS1_17partition_subalgoE3EjNS0_10empty_typeEbEEZZNS1_14partition_implILS8_3ELb0ES6_jNS0_17counting_iteratorIjlEEPS9_SE_NS0_5tupleIJPjSE_EEENSF_IJSE_SE_EEES9_SG_JZNS1_25segmented_radix_sort_implINS0_14default_configELb1EPKsPsPKlPlN2at6native12_GLOBAL__N_18offset_tEEE10hipError_tPvRmT1_PNSt15iterator_traitsISY_E10value_typeET2_T3_PNSZ_IS14_E10value_typeET4_jRbjT5_S1A_jjP12ihipStream_tbEUljE_EEESV_SW_SX_S14_S18_S1A_T6_T7_T9_mT8_S1C_bDpT10_ENKUlT_T0_E_clISt17integral_constantIbLb0EES1O_IbLb1EEEEDaS1K_S1L_EUlS1K_E_NS1_11comp_targetILNS1_3genE2ELNS1_11target_archE906ELNS1_3gpuE6ELNS1_3repE0EEENS1_30default_config_static_selectorELNS0_4arch9wavefront6targetE0EEEvSY_,comdat
	.globl	_ZN7rocprim17ROCPRIM_400000_NS6detail17trampoline_kernelINS0_13select_configILj256ELj13ELNS0_17block_load_methodE3ELS4_3ELS4_3ELNS0_20block_scan_algorithmE0ELj4294967295EEENS1_25partition_config_selectorILNS1_17partition_subalgoE3EjNS0_10empty_typeEbEEZZNS1_14partition_implILS8_3ELb0ES6_jNS0_17counting_iteratorIjlEEPS9_SE_NS0_5tupleIJPjSE_EEENSF_IJSE_SE_EEES9_SG_JZNS1_25segmented_radix_sort_implINS0_14default_configELb1EPKsPsPKlPlN2at6native12_GLOBAL__N_18offset_tEEE10hipError_tPvRmT1_PNSt15iterator_traitsISY_E10value_typeET2_T3_PNSZ_IS14_E10value_typeET4_jRbjT5_S1A_jjP12ihipStream_tbEUljE_EEESV_SW_SX_S14_S18_S1A_T6_T7_T9_mT8_S1C_bDpT10_ENKUlT_T0_E_clISt17integral_constantIbLb0EES1O_IbLb1EEEEDaS1K_S1L_EUlS1K_E_NS1_11comp_targetILNS1_3genE2ELNS1_11target_archE906ELNS1_3gpuE6ELNS1_3repE0EEENS1_30default_config_static_selectorELNS0_4arch9wavefront6targetE0EEEvSY_ ; -- Begin function _ZN7rocprim17ROCPRIM_400000_NS6detail17trampoline_kernelINS0_13select_configILj256ELj13ELNS0_17block_load_methodE3ELS4_3ELS4_3ELNS0_20block_scan_algorithmE0ELj4294967295EEENS1_25partition_config_selectorILNS1_17partition_subalgoE3EjNS0_10empty_typeEbEEZZNS1_14partition_implILS8_3ELb0ES6_jNS0_17counting_iteratorIjlEEPS9_SE_NS0_5tupleIJPjSE_EEENSF_IJSE_SE_EEES9_SG_JZNS1_25segmented_radix_sort_implINS0_14default_configELb1EPKsPsPKlPlN2at6native12_GLOBAL__N_18offset_tEEE10hipError_tPvRmT1_PNSt15iterator_traitsISY_E10value_typeET2_T3_PNSZ_IS14_E10value_typeET4_jRbjT5_S1A_jjP12ihipStream_tbEUljE_EEESV_SW_SX_S14_S18_S1A_T6_T7_T9_mT8_S1C_bDpT10_ENKUlT_T0_E_clISt17integral_constantIbLb0EES1O_IbLb1EEEEDaS1K_S1L_EUlS1K_E_NS1_11comp_targetILNS1_3genE2ELNS1_11target_archE906ELNS1_3gpuE6ELNS1_3repE0EEENS1_30default_config_static_selectorELNS0_4arch9wavefront6targetE0EEEvSY_
	.p2align	8
	.type	_ZN7rocprim17ROCPRIM_400000_NS6detail17trampoline_kernelINS0_13select_configILj256ELj13ELNS0_17block_load_methodE3ELS4_3ELS4_3ELNS0_20block_scan_algorithmE0ELj4294967295EEENS1_25partition_config_selectorILNS1_17partition_subalgoE3EjNS0_10empty_typeEbEEZZNS1_14partition_implILS8_3ELb0ES6_jNS0_17counting_iteratorIjlEEPS9_SE_NS0_5tupleIJPjSE_EEENSF_IJSE_SE_EEES9_SG_JZNS1_25segmented_radix_sort_implINS0_14default_configELb1EPKsPsPKlPlN2at6native12_GLOBAL__N_18offset_tEEE10hipError_tPvRmT1_PNSt15iterator_traitsISY_E10value_typeET2_T3_PNSZ_IS14_E10value_typeET4_jRbjT5_S1A_jjP12ihipStream_tbEUljE_EEESV_SW_SX_S14_S18_S1A_T6_T7_T9_mT8_S1C_bDpT10_ENKUlT_T0_E_clISt17integral_constantIbLb0EES1O_IbLb1EEEEDaS1K_S1L_EUlS1K_E_NS1_11comp_targetILNS1_3genE2ELNS1_11target_archE906ELNS1_3gpuE6ELNS1_3repE0EEENS1_30default_config_static_selectorELNS0_4arch9wavefront6targetE0EEEvSY_,@function
_ZN7rocprim17ROCPRIM_400000_NS6detail17trampoline_kernelINS0_13select_configILj256ELj13ELNS0_17block_load_methodE3ELS4_3ELS4_3ELNS0_20block_scan_algorithmE0ELj4294967295EEENS1_25partition_config_selectorILNS1_17partition_subalgoE3EjNS0_10empty_typeEbEEZZNS1_14partition_implILS8_3ELb0ES6_jNS0_17counting_iteratorIjlEEPS9_SE_NS0_5tupleIJPjSE_EEENSF_IJSE_SE_EEES9_SG_JZNS1_25segmented_radix_sort_implINS0_14default_configELb1EPKsPsPKlPlN2at6native12_GLOBAL__N_18offset_tEEE10hipError_tPvRmT1_PNSt15iterator_traitsISY_E10value_typeET2_T3_PNSZ_IS14_E10value_typeET4_jRbjT5_S1A_jjP12ihipStream_tbEUljE_EEESV_SW_SX_S14_S18_S1A_T6_T7_T9_mT8_S1C_bDpT10_ENKUlT_T0_E_clISt17integral_constantIbLb0EES1O_IbLb1EEEEDaS1K_S1L_EUlS1K_E_NS1_11comp_targetILNS1_3genE2ELNS1_11target_archE906ELNS1_3gpuE6ELNS1_3repE0EEENS1_30default_config_static_selectorELNS0_4arch9wavefront6targetE0EEEvSY_: ; @_ZN7rocprim17ROCPRIM_400000_NS6detail17trampoline_kernelINS0_13select_configILj256ELj13ELNS0_17block_load_methodE3ELS4_3ELS4_3ELNS0_20block_scan_algorithmE0ELj4294967295EEENS1_25partition_config_selectorILNS1_17partition_subalgoE3EjNS0_10empty_typeEbEEZZNS1_14partition_implILS8_3ELb0ES6_jNS0_17counting_iteratorIjlEEPS9_SE_NS0_5tupleIJPjSE_EEENSF_IJSE_SE_EEES9_SG_JZNS1_25segmented_radix_sort_implINS0_14default_configELb1EPKsPsPKlPlN2at6native12_GLOBAL__N_18offset_tEEE10hipError_tPvRmT1_PNSt15iterator_traitsISY_E10value_typeET2_T3_PNSZ_IS14_E10value_typeET4_jRbjT5_S1A_jjP12ihipStream_tbEUljE_EEESV_SW_SX_S14_S18_S1A_T6_T7_T9_mT8_S1C_bDpT10_ENKUlT_T0_E_clISt17integral_constantIbLb0EES1O_IbLb1EEEEDaS1K_S1L_EUlS1K_E_NS1_11comp_targetILNS1_3genE2ELNS1_11target_archE906ELNS1_3gpuE6ELNS1_3repE0EEENS1_30default_config_static_selectorELNS0_4arch9wavefront6targetE0EEEvSY_
; %bb.0:
	.section	.rodata,"a",@progbits
	.p2align	6, 0x0
	.amdhsa_kernel _ZN7rocprim17ROCPRIM_400000_NS6detail17trampoline_kernelINS0_13select_configILj256ELj13ELNS0_17block_load_methodE3ELS4_3ELS4_3ELNS0_20block_scan_algorithmE0ELj4294967295EEENS1_25partition_config_selectorILNS1_17partition_subalgoE3EjNS0_10empty_typeEbEEZZNS1_14partition_implILS8_3ELb0ES6_jNS0_17counting_iteratorIjlEEPS9_SE_NS0_5tupleIJPjSE_EEENSF_IJSE_SE_EEES9_SG_JZNS1_25segmented_radix_sort_implINS0_14default_configELb1EPKsPsPKlPlN2at6native12_GLOBAL__N_18offset_tEEE10hipError_tPvRmT1_PNSt15iterator_traitsISY_E10value_typeET2_T3_PNSZ_IS14_E10value_typeET4_jRbjT5_S1A_jjP12ihipStream_tbEUljE_EEESV_SW_SX_S14_S18_S1A_T6_T7_T9_mT8_S1C_bDpT10_ENKUlT_T0_E_clISt17integral_constantIbLb0EES1O_IbLb1EEEEDaS1K_S1L_EUlS1K_E_NS1_11comp_targetILNS1_3genE2ELNS1_11target_archE906ELNS1_3gpuE6ELNS1_3repE0EEENS1_30default_config_static_selectorELNS0_4arch9wavefront6targetE0EEEvSY_
		.amdhsa_group_segment_fixed_size 0
		.amdhsa_private_segment_fixed_size 0
		.amdhsa_kernarg_size 152
		.amdhsa_user_sgpr_count 2
		.amdhsa_user_sgpr_dispatch_ptr 0
		.amdhsa_user_sgpr_queue_ptr 0
		.amdhsa_user_sgpr_kernarg_segment_ptr 1
		.amdhsa_user_sgpr_dispatch_id 0
		.amdhsa_user_sgpr_private_segment_size 0
		.amdhsa_wavefront_size32 1
		.amdhsa_uses_dynamic_stack 0
		.amdhsa_enable_private_segment 0
		.amdhsa_system_sgpr_workgroup_id_x 1
		.amdhsa_system_sgpr_workgroup_id_y 0
		.amdhsa_system_sgpr_workgroup_id_z 0
		.amdhsa_system_sgpr_workgroup_info 0
		.amdhsa_system_vgpr_workitem_id 0
		.amdhsa_next_free_vgpr 1
		.amdhsa_next_free_sgpr 1
		.amdhsa_reserve_vcc 0
		.amdhsa_float_round_mode_32 0
		.amdhsa_float_round_mode_16_64 0
		.amdhsa_float_denorm_mode_32 3
		.amdhsa_float_denorm_mode_16_64 3
		.amdhsa_fp16_overflow 0
		.amdhsa_workgroup_processor_mode 1
		.amdhsa_memory_ordered 1
		.amdhsa_forward_progress 1
		.amdhsa_inst_pref_size 0
		.amdhsa_round_robin_scheduling 0
		.amdhsa_exception_fp_ieee_invalid_op 0
		.amdhsa_exception_fp_denorm_src 0
		.amdhsa_exception_fp_ieee_div_zero 0
		.amdhsa_exception_fp_ieee_overflow 0
		.amdhsa_exception_fp_ieee_underflow 0
		.amdhsa_exception_fp_ieee_inexact 0
		.amdhsa_exception_int_div_zero 0
	.end_amdhsa_kernel
	.section	.text._ZN7rocprim17ROCPRIM_400000_NS6detail17trampoline_kernelINS0_13select_configILj256ELj13ELNS0_17block_load_methodE3ELS4_3ELS4_3ELNS0_20block_scan_algorithmE0ELj4294967295EEENS1_25partition_config_selectorILNS1_17partition_subalgoE3EjNS0_10empty_typeEbEEZZNS1_14partition_implILS8_3ELb0ES6_jNS0_17counting_iteratorIjlEEPS9_SE_NS0_5tupleIJPjSE_EEENSF_IJSE_SE_EEES9_SG_JZNS1_25segmented_radix_sort_implINS0_14default_configELb1EPKsPsPKlPlN2at6native12_GLOBAL__N_18offset_tEEE10hipError_tPvRmT1_PNSt15iterator_traitsISY_E10value_typeET2_T3_PNSZ_IS14_E10value_typeET4_jRbjT5_S1A_jjP12ihipStream_tbEUljE_EEESV_SW_SX_S14_S18_S1A_T6_T7_T9_mT8_S1C_bDpT10_ENKUlT_T0_E_clISt17integral_constantIbLb0EES1O_IbLb1EEEEDaS1K_S1L_EUlS1K_E_NS1_11comp_targetILNS1_3genE2ELNS1_11target_archE906ELNS1_3gpuE6ELNS1_3repE0EEENS1_30default_config_static_selectorELNS0_4arch9wavefront6targetE0EEEvSY_,"axG",@progbits,_ZN7rocprim17ROCPRIM_400000_NS6detail17trampoline_kernelINS0_13select_configILj256ELj13ELNS0_17block_load_methodE3ELS4_3ELS4_3ELNS0_20block_scan_algorithmE0ELj4294967295EEENS1_25partition_config_selectorILNS1_17partition_subalgoE3EjNS0_10empty_typeEbEEZZNS1_14partition_implILS8_3ELb0ES6_jNS0_17counting_iteratorIjlEEPS9_SE_NS0_5tupleIJPjSE_EEENSF_IJSE_SE_EEES9_SG_JZNS1_25segmented_radix_sort_implINS0_14default_configELb1EPKsPsPKlPlN2at6native12_GLOBAL__N_18offset_tEEE10hipError_tPvRmT1_PNSt15iterator_traitsISY_E10value_typeET2_T3_PNSZ_IS14_E10value_typeET4_jRbjT5_S1A_jjP12ihipStream_tbEUljE_EEESV_SW_SX_S14_S18_S1A_T6_T7_T9_mT8_S1C_bDpT10_ENKUlT_T0_E_clISt17integral_constantIbLb0EES1O_IbLb1EEEEDaS1K_S1L_EUlS1K_E_NS1_11comp_targetILNS1_3genE2ELNS1_11target_archE906ELNS1_3gpuE6ELNS1_3repE0EEENS1_30default_config_static_selectorELNS0_4arch9wavefront6targetE0EEEvSY_,comdat
.Lfunc_end907:
	.size	_ZN7rocprim17ROCPRIM_400000_NS6detail17trampoline_kernelINS0_13select_configILj256ELj13ELNS0_17block_load_methodE3ELS4_3ELS4_3ELNS0_20block_scan_algorithmE0ELj4294967295EEENS1_25partition_config_selectorILNS1_17partition_subalgoE3EjNS0_10empty_typeEbEEZZNS1_14partition_implILS8_3ELb0ES6_jNS0_17counting_iteratorIjlEEPS9_SE_NS0_5tupleIJPjSE_EEENSF_IJSE_SE_EEES9_SG_JZNS1_25segmented_radix_sort_implINS0_14default_configELb1EPKsPsPKlPlN2at6native12_GLOBAL__N_18offset_tEEE10hipError_tPvRmT1_PNSt15iterator_traitsISY_E10value_typeET2_T3_PNSZ_IS14_E10value_typeET4_jRbjT5_S1A_jjP12ihipStream_tbEUljE_EEESV_SW_SX_S14_S18_S1A_T6_T7_T9_mT8_S1C_bDpT10_ENKUlT_T0_E_clISt17integral_constantIbLb0EES1O_IbLb1EEEEDaS1K_S1L_EUlS1K_E_NS1_11comp_targetILNS1_3genE2ELNS1_11target_archE906ELNS1_3gpuE6ELNS1_3repE0EEENS1_30default_config_static_selectorELNS0_4arch9wavefront6targetE0EEEvSY_, .Lfunc_end907-_ZN7rocprim17ROCPRIM_400000_NS6detail17trampoline_kernelINS0_13select_configILj256ELj13ELNS0_17block_load_methodE3ELS4_3ELS4_3ELNS0_20block_scan_algorithmE0ELj4294967295EEENS1_25partition_config_selectorILNS1_17partition_subalgoE3EjNS0_10empty_typeEbEEZZNS1_14partition_implILS8_3ELb0ES6_jNS0_17counting_iteratorIjlEEPS9_SE_NS0_5tupleIJPjSE_EEENSF_IJSE_SE_EEES9_SG_JZNS1_25segmented_radix_sort_implINS0_14default_configELb1EPKsPsPKlPlN2at6native12_GLOBAL__N_18offset_tEEE10hipError_tPvRmT1_PNSt15iterator_traitsISY_E10value_typeET2_T3_PNSZ_IS14_E10value_typeET4_jRbjT5_S1A_jjP12ihipStream_tbEUljE_EEESV_SW_SX_S14_S18_S1A_T6_T7_T9_mT8_S1C_bDpT10_ENKUlT_T0_E_clISt17integral_constantIbLb0EES1O_IbLb1EEEEDaS1K_S1L_EUlS1K_E_NS1_11comp_targetILNS1_3genE2ELNS1_11target_archE906ELNS1_3gpuE6ELNS1_3repE0EEENS1_30default_config_static_selectorELNS0_4arch9wavefront6targetE0EEEvSY_
                                        ; -- End function
	.set _ZN7rocprim17ROCPRIM_400000_NS6detail17trampoline_kernelINS0_13select_configILj256ELj13ELNS0_17block_load_methodE3ELS4_3ELS4_3ELNS0_20block_scan_algorithmE0ELj4294967295EEENS1_25partition_config_selectorILNS1_17partition_subalgoE3EjNS0_10empty_typeEbEEZZNS1_14partition_implILS8_3ELb0ES6_jNS0_17counting_iteratorIjlEEPS9_SE_NS0_5tupleIJPjSE_EEENSF_IJSE_SE_EEES9_SG_JZNS1_25segmented_radix_sort_implINS0_14default_configELb1EPKsPsPKlPlN2at6native12_GLOBAL__N_18offset_tEEE10hipError_tPvRmT1_PNSt15iterator_traitsISY_E10value_typeET2_T3_PNSZ_IS14_E10value_typeET4_jRbjT5_S1A_jjP12ihipStream_tbEUljE_EEESV_SW_SX_S14_S18_S1A_T6_T7_T9_mT8_S1C_bDpT10_ENKUlT_T0_E_clISt17integral_constantIbLb0EES1O_IbLb1EEEEDaS1K_S1L_EUlS1K_E_NS1_11comp_targetILNS1_3genE2ELNS1_11target_archE906ELNS1_3gpuE6ELNS1_3repE0EEENS1_30default_config_static_selectorELNS0_4arch9wavefront6targetE0EEEvSY_.num_vgpr, 0
	.set _ZN7rocprim17ROCPRIM_400000_NS6detail17trampoline_kernelINS0_13select_configILj256ELj13ELNS0_17block_load_methodE3ELS4_3ELS4_3ELNS0_20block_scan_algorithmE0ELj4294967295EEENS1_25partition_config_selectorILNS1_17partition_subalgoE3EjNS0_10empty_typeEbEEZZNS1_14partition_implILS8_3ELb0ES6_jNS0_17counting_iteratorIjlEEPS9_SE_NS0_5tupleIJPjSE_EEENSF_IJSE_SE_EEES9_SG_JZNS1_25segmented_radix_sort_implINS0_14default_configELb1EPKsPsPKlPlN2at6native12_GLOBAL__N_18offset_tEEE10hipError_tPvRmT1_PNSt15iterator_traitsISY_E10value_typeET2_T3_PNSZ_IS14_E10value_typeET4_jRbjT5_S1A_jjP12ihipStream_tbEUljE_EEESV_SW_SX_S14_S18_S1A_T6_T7_T9_mT8_S1C_bDpT10_ENKUlT_T0_E_clISt17integral_constantIbLb0EES1O_IbLb1EEEEDaS1K_S1L_EUlS1K_E_NS1_11comp_targetILNS1_3genE2ELNS1_11target_archE906ELNS1_3gpuE6ELNS1_3repE0EEENS1_30default_config_static_selectorELNS0_4arch9wavefront6targetE0EEEvSY_.num_agpr, 0
	.set _ZN7rocprim17ROCPRIM_400000_NS6detail17trampoline_kernelINS0_13select_configILj256ELj13ELNS0_17block_load_methodE3ELS4_3ELS4_3ELNS0_20block_scan_algorithmE0ELj4294967295EEENS1_25partition_config_selectorILNS1_17partition_subalgoE3EjNS0_10empty_typeEbEEZZNS1_14partition_implILS8_3ELb0ES6_jNS0_17counting_iteratorIjlEEPS9_SE_NS0_5tupleIJPjSE_EEENSF_IJSE_SE_EEES9_SG_JZNS1_25segmented_radix_sort_implINS0_14default_configELb1EPKsPsPKlPlN2at6native12_GLOBAL__N_18offset_tEEE10hipError_tPvRmT1_PNSt15iterator_traitsISY_E10value_typeET2_T3_PNSZ_IS14_E10value_typeET4_jRbjT5_S1A_jjP12ihipStream_tbEUljE_EEESV_SW_SX_S14_S18_S1A_T6_T7_T9_mT8_S1C_bDpT10_ENKUlT_T0_E_clISt17integral_constantIbLb0EES1O_IbLb1EEEEDaS1K_S1L_EUlS1K_E_NS1_11comp_targetILNS1_3genE2ELNS1_11target_archE906ELNS1_3gpuE6ELNS1_3repE0EEENS1_30default_config_static_selectorELNS0_4arch9wavefront6targetE0EEEvSY_.numbered_sgpr, 0
	.set _ZN7rocprim17ROCPRIM_400000_NS6detail17trampoline_kernelINS0_13select_configILj256ELj13ELNS0_17block_load_methodE3ELS4_3ELS4_3ELNS0_20block_scan_algorithmE0ELj4294967295EEENS1_25partition_config_selectorILNS1_17partition_subalgoE3EjNS0_10empty_typeEbEEZZNS1_14partition_implILS8_3ELb0ES6_jNS0_17counting_iteratorIjlEEPS9_SE_NS0_5tupleIJPjSE_EEENSF_IJSE_SE_EEES9_SG_JZNS1_25segmented_radix_sort_implINS0_14default_configELb1EPKsPsPKlPlN2at6native12_GLOBAL__N_18offset_tEEE10hipError_tPvRmT1_PNSt15iterator_traitsISY_E10value_typeET2_T3_PNSZ_IS14_E10value_typeET4_jRbjT5_S1A_jjP12ihipStream_tbEUljE_EEESV_SW_SX_S14_S18_S1A_T6_T7_T9_mT8_S1C_bDpT10_ENKUlT_T0_E_clISt17integral_constantIbLb0EES1O_IbLb1EEEEDaS1K_S1L_EUlS1K_E_NS1_11comp_targetILNS1_3genE2ELNS1_11target_archE906ELNS1_3gpuE6ELNS1_3repE0EEENS1_30default_config_static_selectorELNS0_4arch9wavefront6targetE0EEEvSY_.num_named_barrier, 0
	.set _ZN7rocprim17ROCPRIM_400000_NS6detail17trampoline_kernelINS0_13select_configILj256ELj13ELNS0_17block_load_methodE3ELS4_3ELS4_3ELNS0_20block_scan_algorithmE0ELj4294967295EEENS1_25partition_config_selectorILNS1_17partition_subalgoE3EjNS0_10empty_typeEbEEZZNS1_14partition_implILS8_3ELb0ES6_jNS0_17counting_iteratorIjlEEPS9_SE_NS0_5tupleIJPjSE_EEENSF_IJSE_SE_EEES9_SG_JZNS1_25segmented_radix_sort_implINS0_14default_configELb1EPKsPsPKlPlN2at6native12_GLOBAL__N_18offset_tEEE10hipError_tPvRmT1_PNSt15iterator_traitsISY_E10value_typeET2_T3_PNSZ_IS14_E10value_typeET4_jRbjT5_S1A_jjP12ihipStream_tbEUljE_EEESV_SW_SX_S14_S18_S1A_T6_T7_T9_mT8_S1C_bDpT10_ENKUlT_T0_E_clISt17integral_constantIbLb0EES1O_IbLb1EEEEDaS1K_S1L_EUlS1K_E_NS1_11comp_targetILNS1_3genE2ELNS1_11target_archE906ELNS1_3gpuE6ELNS1_3repE0EEENS1_30default_config_static_selectorELNS0_4arch9wavefront6targetE0EEEvSY_.private_seg_size, 0
	.set _ZN7rocprim17ROCPRIM_400000_NS6detail17trampoline_kernelINS0_13select_configILj256ELj13ELNS0_17block_load_methodE3ELS4_3ELS4_3ELNS0_20block_scan_algorithmE0ELj4294967295EEENS1_25partition_config_selectorILNS1_17partition_subalgoE3EjNS0_10empty_typeEbEEZZNS1_14partition_implILS8_3ELb0ES6_jNS0_17counting_iteratorIjlEEPS9_SE_NS0_5tupleIJPjSE_EEENSF_IJSE_SE_EEES9_SG_JZNS1_25segmented_radix_sort_implINS0_14default_configELb1EPKsPsPKlPlN2at6native12_GLOBAL__N_18offset_tEEE10hipError_tPvRmT1_PNSt15iterator_traitsISY_E10value_typeET2_T3_PNSZ_IS14_E10value_typeET4_jRbjT5_S1A_jjP12ihipStream_tbEUljE_EEESV_SW_SX_S14_S18_S1A_T6_T7_T9_mT8_S1C_bDpT10_ENKUlT_T0_E_clISt17integral_constantIbLb0EES1O_IbLb1EEEEDaS1K_S1L_EUlS1K_E_NS1_11comp_targetILNS1_3genE2ELNS1_11target_archE906ELNS1_3gpuE6ELNS1_3repE0EEENS1_30default_config_static_selectorELNS0_4arch9wavefront6targetE0EEEvSY_.uses_vcc, 0
	.set _ZN7rocprim17ROCPRIM_400000_NS6detail17trampoline_kernelINS0_13select_configILj256ELj13ELNS0_17block_load_methodE3ELS4_3ELS4_3ELNS0_20block_scan_algorithmE0ELj4294967295EEENS1_25partition_config_selectorILNS1_17partition_subalgoE3EjNS0_10empty_typeEbEEZZNS1_14partition_implILS8_3ELb0ES6_jNS0_17counting_iteratorIjlEEPS9_SE_NS0_5tupleIJPjSE_EEENSF_IJSE_SE_EEES9_SG_JZNS1_25segmented_radix_sort_implINS0_14default_configELb1EPKsPsPKlPlN2at6native12_GLOBAL__N_18offset_tEEE10hipError_tPvRmT1_PNSt15iterator_traitsISY_E10value_typeET2_T3_PNSZ_IS14_E10value_typeET4_jRbjT5_S1A_jjP12ihipStream_tbEUljE_EEESV_SW_SX_S14_S18_S1A_T6_T7_T9_mT8_S1C_bDpT10_ENKUlT_T0_E_clISt17integral_constantIbLb0EES1O_IbLb1EEEEDaS1K_S1L_EUlS1K_E_NS1_11comp_targetILNS1_3genE2ELNS1_11target_archE906ELNS1_3gpuE6ELNS1_3repE0EEENS1_30default_config_static_selectorELNS0_4arch9wavefront6targetE0EEEvSY_.uses_flat_scratch, 0
	.set _ZN7rocprim17ROCPRIM_400000_NS6detail17trampoline_kernelINS0_13select_configILj256ELj13ELNS0_17block_load_methodE3ELS4_3ELS4_3ELNS0_20block_scan_algorithmE0ELj4294967295EEENS1_25partition_config_selectorILNS1_17partition_subalgoE3EjNS0_10empty_typeEbEEZZNS1_14partition_implILS8_3ELb0ES6_jNS0_17counting_iteratorIjlEEPS9_SE_NS0_5tupleIJPjSE_EEENSF_IJSE_SE_EEES9_SG_JZNS1_25segmented_radix_sort_implINS0_14default_configELb1EPKsPsPKlPlN2at6native12_GLOBAL__N_18offset_tEEE10hipError_tPvRmT1_PNSt15iterator_traitsISY_E10value_typeET2_T3_PNSZ_IS14_E10value_typeET4_jRbjT5_S1A_jjP12ihipStream_tbEUljE_EEESV_SW_SX_S14_S18_S1A_T6_T7_T9_mT8_S1C_bDpT10_ENKUlT_T0_E_clISt17integral_constantIbLb0EES1O_IbLb1EEEEDaS1K_S1L_EUlS1K_E_NS1_11comp_targetILNS1_3genE2ELNS1_11target_archE906ELNS1_3gpuE6ELNS1_3repE0EEENS1_30default_config_static_selectorELNS0_4arch9wavefront6targetE0EEEvSY_.has_dyn_sized_stack, 0
	.set _ZN7rocprim17ROCPRIM_400000_NS6detail17trampoline_kernelINS0_13select_configILj256ELj13ELNS0_17block_load_methodE3ELS4_3ELS4_3ELNS0_20block_scan_algorithmE0ELj4294967295EEENS1_25partition_config_selectorILNS1_17partition_subalgoE3EjNS0_10empty_typeEbEEZZNS1_14partition_implILS8_3ELb0ES6_jNS0_17counting_iteratorIjlEEPS9_SE_NS0_5tupleIJPjSE_EEENSF_IJSE_SE_EEES9_SG_JZNS1_25segmented_radix_sort_implINS0_14default_configELb1EPKsPsPKlPlN2at6native12_GLOBAL__N_18offset_tEEE10hipError_tPvRmT1_PNSt15iterator_traitsISY_E10value_typeET2_T3_PNSZ_IS14_E10value_typeET4_jRbjT5_S1A_jjP12ihipStream_tbEUljE_EEESV_SW_SX_S14_S18_S1A_T6_T7_T9_mT8_S1C_bDpT10_ENKUlT_T0_E_clISt17integral_constantIbLb0EES1O_IbLb1EEEEDaS1K_S1L_EUlS1K_E_NS1_11comp_targetILNS1_3genE2ELNS1_11target_archE906ELNS1_3gpuE6ELNS1_3repE0EEENS1_30default_config_static_selectorELNS0_4arch9wavefront6targetE0EEEvSY_.has_recursion, 0
	.set _ZN7rocprim17ROCPRIM_400000_NS6detail17trampoline_kernelINS0_13select_configILj256ELj13ELNS0_17block_load_methodE3ELS4_3ELS4_3ELNS0_20block_scan_algorithmE0ELj4294967295EEENS1_25partition_config_selectorILNS1_17partition_subalgoE3EjNS0_10empty_typeEbEEZZNS1_14partition_implILS8_3ELb0ES6_jNS0_17counting_iteratorIjlEEPS9_SE_NS0_5tupleIJPjSE_EEENSF_IJSE_SE_EEES9_SG_JZNS1_25segmented_radix_sort_implINS0_14default_configELb1EPKsPsPKlPlN2at6native12_GLOBAL__N_18offset_tEEE10hipError_tPvRmT1_PNSt15iterator_traitsISY_E10value_typeET2_T3_PNSZ_IS14_E10value_typeET4_jRbjT5_S1A_jjP12ihipStream_tbEUljE_EEESV_SW_SX_S14_S18_S1A_T6_T7_T9_mT8_S1C_bDpT10_ENKUlT_T0_E_clISt17integral_constantIbLb0EES1O_IbLb1EEEEDaS1K_S1L_EUlS1K_E_NS1_11comp_targetILNS1_3genE2ELNS1_11target_archE906ELNS1_3gpuE6ELNS1_3repE0EEENS1_30default_config_static_selectorELNS0_4arch9wavefront6targetE0EEEvSY_.has_indirect_call, 0
	.section	.AMDGPU.csdata,"",@progbits
; Kernel info:
; codeLenInByte = 0
; TotalNumSgprs: 0
; NumVgprs: 0
; ScratchSize: 0
; MemoryBound: 0
; FloatMode: 240
; IeeeMode: 1
; LDSByteSize: 0 bytes/workgroup (compile time only)
; SGPRBlocks: 0
; VGPRBlocks: 0
; NumSGPRsForWavesPerEU: 1
; NumVGPRsForWavesPerEU: 1
; Occupancy: 16
; WaveLimiterHint : 0
; COMPUTE_PGM_RSRC2:SCRATCH_EN: 0
; COMPUTE_PGM_RSRC2:USER_SGPR: 2
; COMPUTE_PGM_RSRC2:TRAP_HANDLER: 0
; COMPUTE_PGM_RSRC2:TGID_X_EN: 1
; COMPUTE_PGM_RSRC2:TGID_Y_EN: 0
; COMPUTE_PGM_RSRC2:TGID_Z_EN: 0
; COMPUTE_PGM_RSRC2:TIDIG_COMP_CNT: 0
	.section	.text._ZN7rocprim17ROCPRIM_400000_NS6detail17trampoline_kernelINS0_13select_configILj256ELj13ELNS0_17block_load_methodE3ELS4_3ELS4_3ELNS0_20block_scan_algorithmE0ELj4294967295EEENS1_25partition_config_selectorILNS1_17partition_subalgoE3EjNS0_10empty_typeEbEEZZNS1_14partition_implILS8_3ELb0ES6_jNS0_17counting_iteratorIjlEEPS9_SE_NS0_5tupleIJPjSE_EEENSF_IJSE_SE_EEES9_SG_JZNS1_25segmented_radix_sort_implINS0_14default_configELb1EPKsPsPKlPlN2at6native12_GLOBAL__N_18offset_tEEE10hipError_tPvRmT1_PNSt15iterator_traitsISY_E10value_typeET2_T3_PNSZ_IS14_E10value_typeET4_jRbjT5_S1A_jjP12ihipStream_tbEUljE_EEESV_SW_SX_S14_S18_S1A_T6_T7_T9_mT8_S1C_bDpT10_ENKUlT_T0_E_clISt17integral_constantIbLb0EES1O_IbLb1EEEEDaS1K_S1L_EUlS1K_E_NS1_11comp_targetILNS1_3genE10ELNS1_11target_archE1200ELNS1_3gpuE4ELNS1_3repE0EEENS1_30default_config_static_selectorELNS0_4arch9wavefront6targetE0EEEvSY_,"axG",@progbits,_ZN7rocprim17ROCPRIM_400000_NS6detail17trampoline_kernelINS0_13select_configILj256ELj13ELNS0_17block_load_methodE3ELS4_3ELS4_3ELNS0_20block_scan_algorithmE0ELj4294967295EEENS1_25partition_config_selectorILNS1_17partition_subalgoE3EjNS0_10empty_typeEbEEZZNS1_14partition_implILS8_3ELb0ES6_jNS0_17counting_iteratorIjlEEPS9_SE_NS0_5tupleIJPjSE_EEENSF_IJSE_SE_EEES9_SG_JZNS1_25segmented_radix_sort_implINS0_14default_configELb1EPKsPsPKlPlN2at6native12_GLOBAL__N_18offset_tEEE10hipError_tPvRmT1_PNSt15iterator_traitsISY_E10value_typeET2_T3_PNSZ_IS14_E10value_typeET4_jRbjT5_S1A_jjP12ihipStream_tbEUljE_EEESV_SW_SX_S14_S18_S1A_T6_T7_T9_mT8_S1C_bDpT10_ENKUlT_T0_E_clISt17integral_constantIbLb0EES1O_IbLb1EEEEDaS1K_S1L_EUlS1K_E_NS1_11comp_targetILNS1_3genE10ELNS1_11target_archE1200ELNS1_3gpuE4ELNS1_3repE0EEENS1_30default_config_static_selectorELNS0_4arch9wavefront6targetE0EEEvSY_,comdat
	.globl	_ZN7rocprim17ROCPRIM_400000_NS6detail17trampoline_kernelINS0_13select_configILj256ELj13ELNS0_17block_load_methodE3ELS4_3ELS4_3ELNS0_20block_scan_algorithmE0ELj4294967295EEENS1_25partition_config_selectorILNS1_17partition_subalgoE3EjNS0_10empty_typeEbEEZZNS1_14partition_implILS8_3ELb0ES6_jNS0_17counting_iteratorIjlEEPS9_SE_NS0_5tupleIJPjSE_EEENSF_IJSE_SE_EEES9_SG_JZNS1_25segmented_radix_sort_implINS0_14default_configELb1EPKsPsPKlPlN2at6native12_GLOBAL__N_18offset_tEEE10hipError_tPvRmT1_PNSt15iterator_traitsISY_E10value_typeET2_T3_PNSZ_IS14_E10value_typeET4_jRbjT5_S1A_jjP12ihipStream_tbEUljE_EEESV_SW_SX_S14_S18_S1A_T6_T7_T9_mT8_S1C_bDpT10_ENKUlT_T0_E_clISt17integral_constantIbLb0EES1O_IbLb1EEEEDaS1K_S1L_EUlS1K_E_NS1_11comp_targetILNS1_3genE10ELNS1_11target_archE1200ELNS1_3gpuE4ELNS1_3repE0EEENS1_30default_config_static_selectorELNS0_4arch9wavefront6targetE0EEEvSY_ ; -- Begin function _ZN7rocprim17ROCPRIM_400000_NS6detail17trampoline_kernelINS0_13select_configILj256ELj13ELNS0_17block_load_methodE3ELS4_3ELS4_3ELNS0_20block_scan_algorithmE0ELj4294967295EEENS1_25partition_config_selectorILNS1_17partition_subalgoE3EjNS0_10empty_typeEbEEZZNS1_14partition_implILS8_3ELb0ES6_jNS0_17counting_iteratorIjlEEPS9_SE_NS0_5tupleIJPjSE_EEENSF_IJSE_SE_EEES9_SG_JZNS1_25segmented_radix_sort_implINS0_14default_configELb1EPKsPsPKlPlN2at6native12_GLOBAL__N_18offset_tEEE10hipError_tPvRmT1_PNSt15iterator_traitsISY_E10value_typeET2_T3_PNSZ_IS14_E10value_typeET4_jRbjT5_S1A_jjP12ihipStream_tbEUljE_EEESV_SW_SX_S14_S18_S1A_T6_T7_T9_mT8_S1C_bDpT10_ENKUlT_T0_E_clISt17integral_constantIbLb0EES1O_IbLb1EEEEDaS1K_S1L_EUlS1K_E_NS1_11comp_targetILNS1_3genE10ELNS1_11target_archE1200ELNS1_3gpuE4ELNS1_3repE0EEENS1_30default_config_static_selectorELNS0_4arch9wavefront6targetE0EEEvSY_
	.p2align	8
	.type	_ZN7rocprim17ROCPRIM_400000_NS6detail17trampoline_kernelINS0_13select_configILj256ELj13ELNS0_17block_load_methodE3ELS4_3ELS4_3ELNS0_20block_scan_algorithmE0ELj4294967295EEENS1_25partition_config_selectorILNS1_17partition_subalgoE3EjNS0_10empty_typeEbEEZZNS1_14partition_implILS8_3ELb0ES6_jNS0_17counting_iteratorIjlEEPS9_SE_NS0_5tupleIJPjSE_EEENSF_IJSE_SE_EEES9_SG_JZNS1_25segmented_radix_sort_implINS0_14default_configELb1EPKsPsPKlPlN2at6native12_GLOBAL__N_18offset_tEEE10hipError_tPvRmT1_PNSt15iterator_traitsISY_E10value_typeET2_T3_PNSZ_IS14_E10value_typeET4_jRbjT5_S1A_jjP12ihipStream_tbEUljE_EEESV_SW_SX_S14_S18_S1A_T6_T7_T9_mT8_S1C_bDpT10_ENKUlT_T0_E_clISt17integral_constantIbLb0EES1O_IbLb1EEEEDaS1K_S1L_EUlS1K_E_NS1_11comp_targetILNS1_3genE10ELNS1_11target_archE1200ELNS1_3gpuE4ELNS1_3repE0EEENS1_30default_config_static_selectorELNS0_4arch9wavefront6targetE0EEEvSY_,@function
_ZN7rocprim17ROCPRIM_400000_NS6detail17trampoline_kernelINS0_13select_configILj256ELj13ELNS0_17block_load_methodE3ELS4_3ELS4_3ELNS0_20block_scan_algorithmE0ELj4294967295EEENS1_25partition_config_selectorILNS1_17partition_subalgoE3EjNS0_10empty_typeEbEEZZNS1_14partition_implILS8_3ELb0ES6_jNS0_17counting_iteratorIjlEEPS9_SE_NS0_5tupleIJPjSE_EEENSF_IJSE_SE_EEES9_SG_JZNS1_25segmented_radix_sort_implINS0_14default_configELb1EPKsPsPKlPlN2at6native12_GLOBAL__N_18offset_tEEE10hipError_tPvRmT1_PNSt15iterator_traitsISY_E10value_typeET2_T3_PNSZ_IS14_E10value_typeET4_jRbjT5_S1A_jjP12ihipStream_tbEUljE_EEESV_SW_SX_S14_S18_S1A_T6_T7_T9_mT8_S1C_bDpT10_ENKUlT_T0_E_clISt17integral_constantIbLb0EES1O_IbLb1EEEEDaS1K_S1L_EUlS1K_E_NS1_11comp_targetILNS1_3genE10ELNS1_11target_archE1200ELNS1_3gpuE4ELNS1_3repE0EEENS1_30default_config_static_selectorELNS0_4arch9wavefront6targetE0EEEvSY_: ; @_ZN7rocprim17ROCPRIM_400000_NS6detail17trampoline_kernelINS0_13select_configILj256ELj13ELNS0_17block_load_methodE3ELS4_3ELS4_3ELNS0_20block_scan_algorithmE0ELj4294967295EEENS1_25partition_config_selectorILNS1_17partition_subalgoE3EjNS0_10empty_typeEbEEZZNS1_14partition_implILS8_3ELb0ES6_jNS0_17counting_iteratorIjlEEPS9_SE_NS0_5tupleIJPjSE_EEENSF_IJSE_SE_EEES9_SG_JZNS1_25segmented_radix_sort_implINS0_14default_configELb1EPKsPsPKlPlN2at6native12_GLOBAL__N_18offset_tEEE10hipError_tPvRmT1_PNSt15iterator_traitsISY_E10value_typeET2_T3_PNSZ_IS14_E10value_typeET4_jRbjT5_S1A_jjP12ihipStream_tbEUljE_EEESV_SW_SX_S14_S18_S1A_T6_T7_T9_mT8_S1C_bDpT10_ENKUlT_T0_E_clISt17integral_constantIbLb0EES1O_IbLb1EEEEDaS1K_S1L_EUlS1K_E_NS1_11comp_targetILNS1_3genE10ELNS1_11target_archE1200ELNS1_3gpuE4ELNS1_3repE0EEENS1_30default_config_static_selectorELNS0_4arch9wavefront6targetE0EEEvSY_
; %bb.0:
	s_clause 0x6
	s_load_b64 s[16:17], s[0:1], 0x10
	s_load_b64 s[10:11], s[0:1], 0x28
	;; [unrolled: 1-line block ×3, first 2 shown]
	s_load_b128 s[12:15], s[0:1], 0x48
	s_load_b32 s3, s[0:1], 0x90
	s_load_b64 s[20:21], s[0:1], 0x68
	s_load_b128 s[4:7], s[0:1], 0x80
	v_cmp_eq_u32_e64 s2, 0, v0
	s_and_saveexec_b32 s8, s2
	s_cbranch_execz .LBB908_4
; %bb.1:
	s_mov_b32 s22, exec_lo
	s_mov_b32 s9, exec_lo
	v_mbcnt_lo_u32_b32 v1, s22, 0
                                        ; implicit-def: $vgpr2
	s_delay_alu instid0(VALU_DEP_1)
	v_cmpx_eq_u32_e32 0, v1
	s_cbranch_execz .LBB908_3
; %bb.2:
	s_load_b64 s[24:25], s[0:1], 0x78
	s_bcnt1_i32_b32 s22, s22
	s_wait_alu 0xfffe
	v_dual_mov_b32 v2, 0 :: v_dual_mov_b32 v3, s22
	s_wait_kmcnt 0x0
	global_atomic_add_u32 v2, v2, v3, s[24:25] th:TH_ATOMIC_RETURN scope:SCOPE_DEV
.LBB908_3:
	s_or_b32 exec_lo, exec_lo, s9
	s_wait_loadcnt 0x0
	v_readfirstlane_b32 s9, v2
	s_delay_alu instid0(VALU_DEP_1)
	v_dual_mov_b32 v2, 0 :: v_dual_add_nc_u32 v1, s9, v1
	ds_store_b32 v2, v1
.LBB908_4:
	s_or_b32 exec_lo, exec_lo, s8
	v_mov_b32_e32 v1, 0
	s_clause 0x1
	s_load_b32 s8, s[0:1], 0x8
	s_load_b32 s0, s[0:1], 0x70
	s_wait_dscnt 0x0
	s_barrier_signal -1
	s_barrier_wait -1
	global_inv scope:SCOPE_SE
	ds_load_b32 v2, v1
	s_wait_loadcnt_dscnt 0x0
	s_barrier_signal -1
	s_barrier_wait -1
	global_inv scope:SCOPE_SE
	s_wait_kmcnt 0x0
	global_load_b64 v[17:18], v1, s[14:15]
	s_mov_b32 s1, 0
	v_lshlrev_b32_e32 v45, 2, v0
	s_mov_b32 s23, -1
	s_add_co_i32 s8, s8, s16
	s_add_co_i32 s9, s0, -1
	s_mulk_i32 s0, 0xd00
	s_delay_alu instid0(SALU_CYCLE_1)
	s_add_co_i32 s14, s0, s16
	s_add_nc_u64 s[0:1], s[16:17], s[0:1]
	v_readfirstlane_b32 s15, v2
	v_cmp_gt_u64_e64 s0, s[18:19], s[0:1]
	s_sub_co_i32 s22, s18, s14
	s_wait_alu 0xfffe
	v_cmp_ne_u32_e32 vcc_lo, s9, v2
	s_addk_co_i32 s22, 0xd00
	s_cmp_eq_u32 s15, s9
	s_mul_i32 s14, s15, 0xd00
	s_cselect_b32 s9, -1, 0
	s_or_b32 s1, s0, vcc_lo
	s_wait_alu 0xfffe
	s_and_b32 vcc_lo, exec_lo, s1
	s_cbranch_vccz .LBB908_6
; %bb.5:
	v_add3_u32 v1, s14, s8, v0
	s_mov_b32 s23, 0
	s_delay_alu instid0(VALU_DEP_1)
	v_add_nc_u32_e32 v2, 0x100, v1
	v_add_nc_u32_e32 v3, 0x200, v1
	;; [unrolled: 1-line block ×12, first 2 shown]
	ds_store_2addr_stride64_b32 v45, v1, v2 offset1:4
	ds_store_2addr_stride64_b32 v45, v3, v4 offset0:8 offset1:12
	ds_store_2addr_stride64_b32 v45, v5, v6 offset0:16 offset1:20
	;; [unrolled: 1-line block ×5, first 2 shown]
	ds_store_b32 v45, v13 offset:12288
	s_wait_loadcnt_dscnt 0x0
	s_barrier_signal -1
	s_barrier_wait -1
.LBB908_6:
	v_cmp_gt_u32_e64 s0, s22, v0
	v_or_b32_e32 v44, 0x100, v0
	v_or_b32_e32 v43, 0x200, v0
	;; [unrolled: 1-line block ×12, first 2 shown]
	s_wait_alu 0xfffe
	s_and_not1_b32 vcc_lo, exec_lo, s23
	s_cbranch_vccnz .LBB908_8
; %bb.7:
	s_add_co_i32 s8, s14, s8
	v_cmp_gt_u32_e32 vcc_lo, s22, v44
	s_wait_alu 0xfffe
	v_add_nc_u32_e32 v13, s8, v33
	v_add_nc_u32_e32 v12, s8, v34
	;; [unrolled: 1-line block ×12, first 2 shown]
	s_delay_alu instid0(VALU_DEP_1) | instskip(SKIP_1) | instid1(VALU_DEP_2)
	v_dual_cndmask_b32 v2, 0, v2 :: v_dual_add_nc_u32 v1, s8, v0
	v_cmp_gt_u32_e32 vcc_lo, s22, v43
	v_cndmask_b32_e64 v1, 0, v1, s0
	s_wait_alu 0xfffd
	v_cndmask_b32_e32 v3, 0, v3, vcc_lo
	v_cmp_gt_u32_e32 vcc_lo, s22, v42
	s_wait_alu 0xfffd
	v_cndmask_b32_e32 v4, 0, v4, vcc_lo
	v_cmp_gt_u32_e32 vcc_lo, s22, v41
	;; [unrolled: 3-line block ×10, first 2 shown]
	s_wait_alu 0xfffd
	v_cndmask_b32_e32 v13, 0, v13, vcc_lo
	ds_store_2addr_stride64_b32 v45, v1, v2 offset1:4
	ds_store_2addr_stride64_b32 v45, v3, v4 offset0:8 offset1:12
	ds_store_2addr_stride64_b32 v45, v5, v6 offset0:16 offset1:20
	;; [unrolled: 1-line block ×5, first 2 shown]
	ds_store_b32 v45, v13 offset:12288
	s_wait_loadcnt_dscnt 0x0
	s_barrier_signal -1
	s_barrier_wait -1
.LBB908_8:
	v_mul_u32_u24_e32 v48, 13, v0
	s_wait_loadcnt 0x0
	global_inv scope:SCOPE_SE
	v_cndmask_b32_e64 v46, 0, 1, s1
	s_and_not1_b32 vcc_lo, exec_lo, s1
	v_lshlrev_b32_e32 v1, 2, v48
	ds_load_2addr_b32 v[29:30], v1 offset0:2 offset1:3
	ds_load_2addr_b32 v[25:26], v1 offset0:6 offset1:7
	;; [unrolled: 1-line block ×3, first 2 shown]
	ds_load_2addr_b32 v[31:32], v1 offset1:1
	ds_load_2addr_b32 v[21:22], v1 offset0:10 offset1:11
	ds_load_b32 v47, v1 offset:48
	ds_load_2addr_b32 v[23:24], v1 offset0:8 offset1:9
	s_wait_loadcnt_dscnt 0x0
	s_barrier_signal -1
	s_barrier_wait -1
	global_inv scope:SCOPE_SE
	s_wait_alu 0xfffe
	s_cbranch_vccnz .LBB908_10
; %bb.9:
	v_add_nc_u32_e32 v1, s5, v30
	v_add_nc_u32_e32 v2, s7, v30
	;; [unrolled: 1-line block ×5, first 2 shown]
	v_mul_lo_u32 v1, v1, s4
	v_mul_lo_u32 v2, v2, s6
	v_add_nc_u32_e32 v8, s7, v29
	v_add_nc_u32_e32 v3, s5, v32
	;; [unrolled: 1-line block ×3, first 2 shown]
	v_mul_lo_u32 v5, v5, s4
	v_mul_lo_u32 v4, v4, s4
	v_add_nc_u32_e32 v9, s5, v27
	v_mul_lo_u32 v3, v3, s4
	v_sub_nc_u32_e32 v1, v1, v2
	v_mul_lo_u32 v2, v7, s6
	v_mul_lo_u32 v7, v8, s6
	;; [unrolled: 1-line block ×3, first 2 shown]
	v_add_nc_u32_e32 v8, s5, v28
	v_add_nc_u32_e32 v10, s7, v27
	v_mul_lo_u32 v9, v9, s4
	v_cmp_lt_u32_e32 vcc_lo, s3, v1
	v_add_nc_u32_e32 v14, s7, v22
	v_sub_nc_u32_e32 v2, v4, v2
	v_sub_nc_u32_e32 v4, v5, v7
	v_add_nc_u32_e32 v5, s7, v28
	v_sub_nc_u32_e32 v3, v3, v6
	v_add_nc_u32_e32 v6, s5, v26
	v_add_nc_u32_e32 v7, s7, v26
	v_mul_lo_u32 v8, v8, s4
	v_mul_lo_u32 v5, v5, s6
	;; [unrolled: 1-line block ×5, first 2 shown]
	s_wait_alu 0xfffd
	v_cndmask_b32_e64 v1, 0, 1, vcc_lo
	v_cmp_lt_u32_e32 vcc_lo, s3, v3
	v_mul_lo_u32 v14, v14, s6
	v_add_nc_u32_e32 v15, s7, v24
	v_sub_nc_u32_e32 v5, v8, v5
	v_add_nc_u32_e32 v8, s7, v25
	s_wait_alu 0xfffd
	v_cndmask_b32_e64 v3, 0, 1, vcc_lo
	v_sub_nc_u32_e32 v6, v6, v7
	v_mul_lo_u32 v15, v15, s6
	v_cmp_lt_u32_e32 vcc_lo, s3, v5
	v_mul_lo_u32 v7, v8, s6
	v_sub_nc_u32_e32 v8, v9, v10
	v_add_nc_u32_e32 v9, s5, v22
	v_add_nc_u32_e32 v10, s5, v24
	s_wait_alu 0xfffd
	v_cndmask_b32_e64 v5, 0, 1, vcc_lo
	v_cmp_lt_u32_e32 vcc_lo, s3, v6
	v_add_nc_u32_e32 v11, s5, v25
	v_mul_lo_u32 v9, v9, s4
	v_mul_lo_u32 v10, v10, s4
	v_add_nc_u32_e32 v12, s5, v23
	s_wait_alu 0xfffd
	v_cndmask_b32_e64 v6, 0, 1, vcc_lo
	v_mul_lo_u32 v11, v11, s4
	v_add_nc_u32_e32 v16, s7, v23
	v_lshlrev_b16 v3, 8, v3
	v_add_nc_u32_e32 v13, s5, v21
	v_sub_nc_u32_e32 v9, v9, v14
	v_sub_nc_u32_e32 v10, v10, v15
	v_add_nc_u32_e32 v19, s7, v21
	v_mul_lo_u32 v12, v12, s4
	v_mul_lo_u32 v16, v16, s6
	v_cmp_lt_u32_e32 vcc_lo, s3, v9
	v_sub_nc_u32_e32 v7, v11, v7
	v_lshrrev_b32_e32 v3, 8, v3
	v_mul_lo_u32 v11, v13, s4
	v_mul_lo_u32 v13, v19, s6
	s_wait_alu 0xfffd
	v_cndmask_b32_e64 v9, 0, 1, vcc_lo
	v_cmp_lt_u32_e32 vcc_lo, s3, v2
	v_sub_nc_u32_e32 v12, v12, v16
	v_lshlrev_b16 v3, 8, v3
	v_lshlrev_b16 v1, 8, v1
	;; [unrolled: 1-line block ×3, first 2 shown]
	s_wait_alu 0xfffd
	v_cndmask_b32_e64 v2, 0, 1, vcc_lo
	v_cmp_lt_u32_e32 vcc_lo, s3, v10
	v_sub_nc_u32_e32 v11, v11, v13
	v_add_nc_u32_e32 v14, s5, v47
	v_add_nc_u32_e32 v15, s7, v47
	v_or_b32_e32 v2, v2, v3
	s_wait_alu 0xfffd
	v_cndmask_b32_e64 v10, 0, 1, vcc_lo
	v_cmp_lt_u32_e32 vcc_lo, s3, v4
	v_lshlrev_b16 v3, 8, v9
	v_lshrrev_b32_e32 v5, 8, v5
	v_lshrrev_b32_e32 v1, 8, v1
	v_lshlrev_b16 v9, 8, v10
	s_wait_alu 0xfffd
	v_cndmask_b32_e64 v4, 0, 1, vcc_lo
	v_cmp_lt_u32_e32 vcc_lo, s3, v8
	v_lshrrev_b32_e32 v3, 8, v3
	v_mul_lo_u32 v14, v14, s4
	v_lshrrev_b32_e32 v9, 8, v9
	v_mul_lo_u32 v15, v15, s6
	s_wait_alu 0xfffd
	v_cndmask_b32_e64 v8, 0, 1, vcc_lo
	v_cmp_lt_u32_e32 vcc_lo, s3, v7
	v_lshlrev_b16 v6, 8, v6
	v_lshlrev_b16 v1, 8, v1
	;; [unrolled: 1-line block ×4, first 2 shown]
	s_wait_alu 0xfffd
	v_cndmask_b32_e64 v7, 0, 1, vcc_lo
	v_cmp_lt_u32_e32 vcc_lo, s3, v12
	v_lshlrev_b16 v3, 8, v3
	v_sub_nc_u32_e32 v10, v14, v15
	v_or_b32_e32 v1, v4, v1
	v_or_b32_e32 v4, v8, v5
	s_wait_alu 0xfffd
	v_cndmask_b32_e64 v12, 0, 1, vcc_lo
	v_cmp_lt_u32_e32 vcc_lo, s3, v11
	v_or_b32_e32 v5, v7, v6
	v_and_b32_e32 v2, 0xffff, v2
	v_lshlrev_b32_e32 v1, 16, v1
	v_or_b32_e32 v6, v12, v9
	s_wait_alu 0xfffd
	v_cndmask_b32_e64 v11, 0, 1, vcc_lo
	v_and_b32_e32 v4, 0xffff, v4
	v_lshlrev_b32_e32 v5, 16, v5
	v_cmp_lt_u32_e32 vcc_lo, s3, v10
	v_and_b32_e32 v6, 0xffff, v6
	v_or_b32_e32 v3, v11, v3
	v_or_b32_e32 v54, v2, v1
	;; [unrolled: 1-line block ×3, first 2 shown]
	s_wait_alu 0xfffd
	v_cndmask_b32_e64 v49, 0, 1, vcc_lo
	v_lshlrev_b32_e32 v3, 16, v3
	s_delay_alu instid0(VALU_DEP_1)
	v_or_b32_e32 v50, v6, v3
	s_cbranch_execz .LBB908_11
	s_branch .LBB908_38
.LBB908_10:
                                        ; implicit-def: $vgpr49
                                        ; implicit-def: $vgpr50
                                        ; implicit-def: $vgpr52
                                        ; implicit-def: $vgpr54
.LBB908_11:
	v_dual_mov_b32 v2, 0 :: v_dual_mov_b32 v1, 0
	s_mov_b32 s0, exec_lo
	v_cmpx_gt_u32_e64 s22, v48
	s_cbranch_execz .LBB908_13
; %bb.12:
	v_add_nc_u32_e32 v1, s5, v31
	v_add_nc_u32_e32 v3, s7, v31
	s_delay_alu instid0(VALU_DEP_2) | instskip(NEXT) | instid1(VALU_DEP_2)
	v_mul_lo_u32 v1, v1, s4
	v_mul_lo_u32 v3, v3, s6
	s_delay_alu instid0(VALU_DEP_1) | instskip(NEXT) | instid1(VALU_DEP_1)
	v_sub_nc_u32_e32 v1, v1, v3
	v_cmp_lt_u32_e32 vcc_lo, s3, v1
	s_wait_alu 0xfffd
	v_cndmask_b32_e64 v1, 0, 1, vcc_lo
.LBB908_13:
	s_wait_alu 0xfffe
	s_or_b32 exec_lo, exec_lo, s0
	v_add_nc_u32_e32 v3, 1, v48
	s_mov_b32 s0, exec_lo
	s_delay_alu instid0(VALU_DEP_1)
	v_cmpx_gt_u32_e64 s22, v3
	s_cbranch_execz .LBB908_15
; %bb.14:
	v_add_nc_u32_e32 v2, s5, v32
	v_add_nc_u32_e32 v3, s7, v32
	s_delay_alu instid0(VALU_DEP_2) | instskip(NEXT) | instid1(VALU_DEP_2)
	v_mul_lo_u32 v2, v2, s4
	v_mul_lo_u32 v3, v3, s6
	s_delay_alu instid0(VALU_DEP_1) | instskip(NEXT) | instid1(VALU_DEP_1)
	v_sub_nc_u32_e32 v2, v2, v3
	v_cmp_lt_u32_e32 vcc_lo, s3, v2
	s_wait_alu 0xfffd
	v_cndmask_b32_e64 v2, 0, 1, vcc_lo
.LBB908_15:
	s_wait_alu 0xfffe
	s_or_b32 exec_lo, exec_lo, s0
	v_dual_mov_b32 v4, 0 :: v_dual_add_nc_u32 v3, 2, v48
	s_delay_alu instid0(VALU_DEP_1)
	v_cmp_gt_u32_e32 vcc_lo, s22, v3
	v_mov_b32_e32 v3, 0
	s_and_saveexec_b32 s0, vcc_lo
	s_cbranch_execz .LBB908_17
; %bb.16:
	v_add_nc_u32_e32 v3, s5, v29
	v_add_nc_u32_e32 v5, s7, v29
	s_delay_alu instid0(VALU_DEP_2) | instskip(NEXT) | instid1(VALU_DEP_2)
	v_mul_lo_u32 v3, v3, s4
	v_mul_lo_u32 v5, v5, s6
	s_delay_alu instid0(VALU_DEP_1) | instskip(NEXT) | instid1(VALU_DEP_1)
	v_sub_nc_u32_e32 v3, v3, v5
	v_cmp_lt_u32_e32 vcc_lo, s3, v3
	s_wait_alu 0xfffd
	v_cndmask_b32_e64 v3, 0, 1, vcc_lo
.LBB908_17:
	s_wait_alu 0xfffe
	s_or_b32 exec_lo, exec_lo, s0
	v_add_nc_u32_e32 v5, 3, v48
	s_mov_b32 s0, exec_lo
	s_delay_alu instid0(VALU_DEP_1)
	v_cmpx_gt_u32_e64 s22, v5
	s_cbranch_execz .LBB908_19
; %bb.18:
	v_add_nc_u32_e32 v4, s5, v30
	v_add_nc_u32_e32 v5, s7, v30
	s_delay_alu instid0(VALU_DEP_2) | instskip(NEXT) | instid1(VALU_DEP_2)
	v_mul_lo_u32 v4, v4, s4
	v_mul_lo_u32 v5, v5, s6
	s_delay_alu instid0(VALU_DEP_1) | instskip(NEXT) | instid1(VALU_DEP_1)
	v_sub_nc_u32_e32 v4, v4, v5
	v_cmp_lt_u32_e32 vcc_lo, s3, v4
	s_wait_alu 0xfffd
	v_cndmask_b32_e64 v4, 0, 1, vcc_lo
.LBB908_19:
	s_wait_alu 0xfffe
	s_or_b32 exec_lo, exec_lo, s0
	v_dual_mov_b32 v6, 0 :: v_dual_add_nc_u32 v5, 4, v48
	s_delay_alu instid0(VALU_DEP_1)
	v_cmp_gt_u32_e32 vcc_lo, s22, v5
	v_mov_b32_e32 v5, 0
	s_and_saveexec_b32 s0, vcc_lo
	;; [unrolled: 39-line block ×5, first 2 shown]
	s_cbranch_execz .LBB908_33
; %bb.32:
	v_add_nc_u32_e32 v11, s5, v21
	v_add_nc_u32_e32 v13, s7, v21
	s_delay_alu instid0(VALU_DEP_2) | instskip(NEXT) | instid1(VALU_DEP_2)
	v_mul_lo_u32 v11, v11, s4
	v_mul_lo_u32 v13, v13, s6
	s_delay_alu instid0(VALU_DEP_1) | instskip(NEXT) | instid1(VALU_DEP_1)
	v_sub_nc_u32_e32 v11, v11, v13
	v_cmp_lt_u32_e32 vcc_lo, s3, v11
	s_wait_alu 0xfffd
	v_cndmask_b32_e64 v11, 0, 1, vcc_lo
.LBB908_33:
	s_wait_alu 0xfffe
	s_or_b32 exec_lo, exec_lo, s0
	v_add_nc_u32_e32 v13, 11, v48
	s_mov_b32 s0, exec_lo
	s_delay_alu instid0(VALU_DEP_1)
	v_cmpx_gt_u32_e64 s22, v13
	s_cbranch_execz .LBB908_35
; %bb.34:
	v_add_nc_u32_e32 v12, s5, v22
	v_add_nc_u32_e32 v13, s7, v22
	s_delay_alu instid0(VALU_DEP_2) | instskip(NEXT) | instid1(VALU_DEP_2)
	v_mul_lo_u32 v12, v12, s4
	v_mul_lo_u32 v13, v13, s6
	s_delay_alu instid0(VALU_DEP_1) | instskip(NEXT) | instid1(VALU_DEP_1)
	v_sub_nc_u32_e32 v12, v12, v13
	v_cmp_lt_u32_e32 vcc_lo, s3, v12
	s_wait_alu 0xfffd
	v_cndmask_b32_e64 v12, 0, 1, vcc_lo
.LBB908_35:
	s_wait_alu 0xfffe
	s_or_b32 exec_lo, exec_lo, s0
	v_add_nc_u32_e32 v13, 12, v48
	v_mov_b32_e32 v49, 0
	s_mov_b32 s0, exec_lo
	s_delay_alu instid0(VALU_DEP_2)
	v_cmpx_gt_u32_e64 s22, v13
	s_cbranch_execz .LBB908_37
; %bb.36:
	v_add_nc_u32_e32 v13, s5, v47
	v_add_nc_u32_e32 v14, s7, v47
	s_delay_alu instid0(VALU_DEP_2) | instskip(NEXT) | instid1(VALU_DEP_2)
	v_mul_lo_u32 v13, v13, s4
	v_mul_lo_u32 v14, v14, s6
	s_delay_alu instid0(VALU_DEP_1) | instskip(NEXT) | instid1(VALU_DEP_1)
	v_sub_nc_u32_e32 v13, v13, v14
	v_cmp_lt_u32_e32 vcc_lo, s3, v13
	s_wait_alu 0xfffd
	v_cndmask_b32_e64 v49, 0, 1, vcc_lo
.LBB908_37:
	s_wait_alu 0xfffe
	s_or_b32 exec_lo, exec_lo, s0
	v_lshlrev_b16 v2, 8, v2
	v_lshlrev_b16 v4, 8, v4
	;; [unrolled: 1-line block ×5, first 2 shown]
	v_or_b32_e32 v1, v1, v2
	v_lshlrev_b16 v2, 8, v12
	v_or_b32_e32 v3, v3, v4
	v_or_b32_e32 v4, v5, v6
	;; [unrolled: 1-line block ×5, first 2 shown]
	v_and_b32_e32 v1, 0xffff, v1
	v_lshlrev_b32_e32 v3, 16, v3
	v_and_b32_e32 v4, 0xffff, v4
	v_lshlrev_b32_e32 v5, 16, v5
	;; [unrolled: 2-line block ×3, first 2 shown]
	v_or_b32_e32 v54, v1, v3
	s_delay_alu instid0(VALU_DEP_4) | instskip(NEXT) | instid1(VALU_DEP_3)
	v_or_b32_e32 v52, v4, v5
	v_or_b32_e32 v50, v6, v2
.LBB908_38:
	s_delay_alu instid0(VALU_DEP_3)
	v_and_b32_e32 v56, 0xff, v54
	v_bfe_u32 v57, v54, 8, 8
	v_bfe_u32 v58, v54, 16, 8
	v_lshrrev_b32_e32 v55, 24, v54
	v_and_b32_e32 v59, 0xff, v52
	v_bfe_u32 v60, v52, 8, 8
	v_bfe_u32 v61, v52, 16, 8
	v_add3_u32 v1, v57, v56, v58
	v_lshrrev_b32_e32 v53, 24, v52
	v_and_b32_e32 v62, 0xff, v50
	v_bfe_u32 v63, v50, 8, 8
	v_mbcnt_lo_u32_b32 v65, -1, 0
	v_add3_u32 v1, v1, v55, v59
	v_bfe_u32 v64, v50, 16, 8
	v_lshrrev_b32_e32 v51, 24, v50
	v_and_b32_e32 v2, 0xff, v49
	v_and_b32_e32 v3, 15, v65
	v_add3_u32 v1, v1, v60, v61
	v_or_b32_e32 v4, 31, v0
	v_and_b32_e32 v5, 16, v65
	v_lshrrev_b32_e32 v66, 5, v0
	v_cmp_eq_u32_e64 s6, 0, v3
	v_add3_u32 v1, v1, v53, v62
	v_cmp_lt_u32_e64 s5, 1, v3
	v_cmp_lt_u32_e64 s4, 3, v3
	;; [unrolled: 1-line block ×3, first 2 shown]
	v_cmp_eq_u32_e64 s1, 0, v5
	v_add3_u32 v1, v1, v63, v64
	v_cmp_eq_u32_e64 s0, v0, v4
	s_cmp_lg_u32 s15, 0
	s_mov_b32 s7, -1
	v_add3_u32 v67, v1, v51, v2
	s_cbranch_scc0 .LBB908_59
; %bb.39:
	s_delay_alu instid0(VALU_DEP_1) | instskip(NEXT) | instid1(VALU_DEP_1)
	v_mov_b32_dpp v1, v67 row_shr:1 row_mask:0xf bank_mask:0xf
	v_cndmask_b32_e64 v1, v1, 0, s6
	s_delay_alu instid0(VALU_DEP_1) | instskip(NEXT) | instid1(VALU_DEP_1)
	v_add_nc_u32_e32 v1, v1, v67
	v_mov_b32_dpp v2, v1 row_shr:2 row_mask:0xf bank_mask:0xf
	s_delay_alu instid0(VALU_DEP_1) | instskip(NEXT) | instid1(VALU_DEP_1)
	v_cndmask_b32_e64 v2, 0, v2, s5
	v_add_nc_u32_e32 v1, v1, v2
	s_delay_alu instid0(VALU_DEP_1) | instskip(NEXT) | instid1(VALU_DEP_1)
	v_mov_b32_dpp v2, v1 row_shr:4 row_mask:0xf bank_mask:0xf
	v_cndmask_b32_e64 v2, 0, v2, s4
	s_delay_alu instid0(VALU_DEP_1) | instskip(NEXT) | instid1(VALU_DEP_1)
	v_add_nc_u32_e32 v1, v1, v2
	v_mov_b32_dpp v2, v1 row_shr:8 row_mask:0xf bank_mask:0xf
	s_delay_alu instid0(VALU_DEP_1) | instskip(NEXT) | instid1(VALU_DEP_1)
	v_cndmask_b32_e64 v2, 0, v2, s3
	v_add_nc_u32_e32 v1, v1, v2
	ds_swizzle_b32 v2, v1 offset:swizzle(BROADCAST,32,15)
	s_wait_dscnt 0x0
	v_cndmask_b32_e64 v2, v2, 0, s1
	s_delay_alu instid0(VALU_DEP_1)
	v_add_nc_u32_e32 v1, v1, v2
	s_and_saveexec_b32 s7, s0
; %bb.40:
	v_lshlrev_b32_e32 v2, 2, v66
	ds_store_b32 v2, v1
; %bb.41:
	s_wait_alu 0xfffe
	s_or_b32 exec_lo, exec_lo, s7
	s_delay_alu instid0(SALU_CYCLE_1)
	s_mov_b32 s7, exec_lo
	s_wait_loadcnt_dscnt 0x0
	s_barrier_signal -1
	s_barrier_wait -1
	global_inv scope:SCOPE_SE
	v_cmpx_gt_u32_e32 8, v0
	s_cbranch_execz .LBB908_43
; %bb.42:
	ds_load_b32 v2, v45
	s_wait_dscnt 0x0
	v_mov_b32_dpp v4, v2 row_shr:1 row_mask:0xf bank_mask:0xf
	v_and_b32_e32 v3, 7, v65
	s_delay_alu instid0(VALU_DEP_1) | instskip(SKIP_1) | instid1(VALU_DEP_3)
	v_cmp_ne_u32_e32 vcc_lo, 0, v3
	s_wait_alu 0xfffd
	v_cndmask_b32_e32 v4, 0, v4, vcc_lo
	v_cmp_lt_u32_e32 vcc_lo, 1, v3
	s_delay_alu instid0(VALU_DEP_2) | instskip(NEXT) | instid1(VALU_DEP_1)
	v_add_nc_u32_e32 v2, v4, v2
	v_mov_b32_dpp v4, v2 row_shr:2 row_mask:0xf bank_mask:0xf
	s_wait_alu 0xfffd
	s_delay_alu instid0(VALU_DEP_1) | instskip(SKIP_1) | instid1(VALU_DEP_2)
	v_cndmask_b32_e32 v4, 0, v4, vcc_lo
	v_cmp_lt_u32_e32 vcc_lo, 3, v3
	v_add_nc_u32_e32 v2, v2, v4
	s_delay_alu instid0(VALU_DEP_1) | instskip(SKIP_1) | instid1(VALU_DEP_1)
	v_mov_b32_dpp v4, v2 row_shr:4 row_mask:0xf bank_mask:0xf
	s_wait_alu 0xfffd
	v_cndmask_b32_e32 v3, 0, v4, vcc_lo
	s_delay_alu instid0(VALU_DEP_1)
	v_add_nc_u32_e32 v2, v2, v3
	ds_store_b32 v45, v2
.LBB908_43:
	s_wait_alu 0xfffe
	s_or_b32 exec_lo, exec_lo, s7
	s_delay_alu instid0(SALU_CYCLE_1)
	s_mov_b32 s8, exec_lo
	v_cmp_gt_u32_e32 vcc_lo, 32, v0
	s_wait_loadcnt_dscnt 0x0
	s_barrier_signal -1
	s_barrier_wait -1
	global_inv scope:SCOPE_SE
                                        ; implicit-def: $vgpr9
	v_cmpx_lt_u32_e32 31, v0
	s_cbranch_execz .LBB908_45
; %bb.44:
	v_lshl_add_u32 v2, v66, 2, -4
	ds_load_b32 v9, v2
	s_wait_dscnt 0x0
	v_add_nc_u32_e32 v1, v9, v1
.LBB908_45:
	s_wait_alu 0xfffe
	s_or_b32 exec_lo, exec_lo, s8
	v_sub_co_u32 v2, s7, v65, 1
	s_delay_alu instid0(VALU_DEP_1) | instskip(SKIP_1) | instid1(VALU_DEP_1)
	v_cmp_gt_i32_e64 s8, 0, v2
	s_wait_alu 0xf1ff
	v_cndmask_b32_e64 v2, v2, v65, s8
	s_delay_alu instid0(VALU_DEP_1)
	v_lshlrev_b32_e32 v2, 2, v2
	ds_bpermute_b32 v10, v2, v1
	s_and_saveexec_b32 s8, vcc_lo
	s_cbranch_execz .LBB908_64
; %bb.46:
	v_mov_b32_e32 v5, 0
	ds_load_b32 v1, v5 offset:28
	s_and_saveexec_b32 s23, s7
	s_cbranch_execz .LBB908_48
; %bb.47:
	s_add_co_i32 s24, s15, 32
	s_mov_b32 s25, 0
	v_mov_b32_e32 v2, 1
	s_lshl_b64 s[24:25], s[24:25], 3
	s_delay_alu instid0(SALU_CYCLE_1)
	s_add_nc_u64 s[24:25], s[20:21], s[24:25]
	s_wait_dscnt 0x0
	global_store_b64 v5, v[1:2], s[24:25] scope:SCOPE_DEV
.LBB908_48:
	s_wait_alu 0xfffe
	s_or_b32 exec_lo, exec_lo, s23
	v_xad_u32 v3, v65, -1, s15
	s_mov_b32 s24, 0
	s_mov_b32 s23, exec_lo
	s_delay_alu instid0(VALU_DEP_1) | instskip(NEXT) | instid1(VALU_DEP_1)
	v_add_nc_u32_e32 v4, 32, v3
	v_lshlrev_b64_e32 v[4:5], 3, v[4:5]
	s_delay_alu instid0(VALU_DEP_1) | instskip(SKIP_1) | instid1(VALU_DEP_2)
	v_add_co_u32 v7, vcc_lo, s20, v4
	s_wait_alu 0xfffd
	v_add_co_ci_u32_e64 v8, null, s21, v5, vcc_lo
	global_load_b64 v[5:6], v[7:8], off scope:SCOPE_DEV
	s_wait_loadcnt 0x0
	v_and_b32_e32 v2, 0xff, v6
	s_delay_alu instid0(VALU_DEP_1)
	v_cmpx_eq_u16_e32 0, v2
	s_cbranch_execz .LBB908_51
.LBB908_49:                             ; =>This Inner Loop Header: Depth=1
	global_load_b64 v[5:6], v[7:8], off scope:SCOPE_DEV
	s_wait_loadcnt 0x0
	v_and_b32_e32 v2, 0xff, v6
	s_delay_alu instid0(VALU_DEP_1) | instskip(SKIP_1) | instid1(SALU_CYCLE_1)
	v_cmp_ne_u16_e32 vcc_lo, 0, v2
	s_or_b32 s24, vcc_lo, s24
	s_and_not1_b32 exec_lo, exec_lo, s24
	s_cbranch_execnz .LBB908_49
; %bb.50:
	s_or_b32 exec_lo, exec_lo, s24
.LBB908_51:
	s_wait_alu 0xfffe
	s_or_b32 exec_lo, exec_lo, s23
	v_cmp_ne_u32_e32 vcc_lo, 31, v65
	v_lshlrev_b32_e64 v12, v65, -1
	v_add_nc_u32_e32 v14, 2, v65
	v_add_nc_u32_e32 v16, 4, v65
	;; [unrolled: 1-line block ×3, first 2 shown]
	s_wait_alu 0xfffd
	v_add_co_ci_u32_e64 v2, null, 0, v65, vcc_lo
	v_lshl_or_b32 v68, v65, 2, 64
	v_add_nc_u32_e32 v69, 16, v65
	s_delay_alu instid0(VALU_DEP_3)
	v_lshlrev_b32_e32 v11, 2, v2
	v_and_b32_e32 v2, 0xff, v6
	ds_bpermute_b32 v4, v11, v5
	v_cmp_eq_u16_e32 vcc_lo, 2, v2
	s_wait_alu 0xfffd
	v_and_or_b32 v2, vcc_lo, v12, 0x80000000
	v_cmp_gt_u32_e32 vcc_lo, 30, v65
	s_delay_alu instid0(VALU_DEP_2) | instskip(SKIP_2) | instid1(VALU_DEP_2)
	v_ctz_i32_b32_e32 v2, v2
	s_wait_alu 0xfffd
	v_cndmask_b32_e64 v7, 0, 2, vcc_lo
	v_cmp_lt_u32_e32 vcc_lo, v65, v2
	s_delay_alu instid0(VALU_DEP_2) | instskip(SKIP_4) | instid1(VALU_DEP_2)
	v_add_lshl_u32 v13, v7, v65, 2
	s_wait_dscnt 0x0
	s_wait_alu 0xfffd
	v_cndmask_b32_e32 v4, 0, v4, vcc_lo
	v_cmp_gt_u32_e32 vcc_lo, 28, v65
	v_add_nc_u32_e32 v4, v4, v5
	s_wait_alu 0xfffd
	v_cndmask_b32_e64 v7, 0, 4, vcc_lo
	v_cmp_le_u32_e32 vcc_lo, v14, v2
	ds_bpermute_b32 v5, v13, v4
	v_add_lshl_u32 v15, v7, v65, 2
	s_wait_dscnt 0x0
	s_wait_alu 0xfffd
	v_cndmask_b32_e32 v5, 0, v5, vcc_lo
	v_cmp_gt_u32_e32 vcc_lo, 24, v65
	s_delay_alu instid0(VALU_DEP_2)
	v_add_nc_u32_e32 v4, v4, v5
	s_wait_alu 0xfffd
	v_cndmask_b32_e64 v7, 0, 8, vcc_lo
	v_cmp_le_u32_e32 vcc_lo, v16, v2
	ds_bpermute_b32 v5, v15, v4
	v_add_lshl_u32 v19, v7, v65, 2
	s_wait_dscnt 0x0
	s_wait_alu 0xfffd
	v_cndmask_b32_e32 v5, 0, v5, vcc_lo
	v_cmp_le_u32_e32 vcc_lo, v20, v2
	s_delay_alu instid0(VALU_DEP_2)
	v_add_nc_u32_e32 v4, v4, v5
	ds_bpermute_b32 v5, v19, v4
	s_wait_dscnt 0x0
	s_wait_alu 0xfffd
	v_cndmask_b32_e32 v5, 0, v5, vcc_lo
	v_cmp_le_u32_e32 vcc_lo, v69, v2
	s_delay_alu instid0(VALU_DEP_2) | instskip(SKIP_4) | instid1(VALU_DEP_1)
	v_add_nc_u32_e32 v4, v4, v5
	ds_bpermute_b32 v5, v68, v4
	s_wait_dscnt 0x0
	s_wait_alu 0xfffd
	v_cndmask_b32_e32 v2, 0, v5, vcc_lo
	v_dual_mov_b32 v4, 0 :: v_dual_add_nc_u32 v5, v4, v2
	s_branch .LBB908_55
.LBB908_52:                             ;   in Loop: Header=BB908_55 Depth=1
	s_or_b32 exec_lo, exec_lo, s24
.LBB908_53:                             ;   in Loop: Header=BB908_55 Depth=1
	s_wait_alu 0xfffe
	s_or_b32 exec_lo, exec_lo, s23
	ds_bpermute_b32 v8, v11, v5
	v_and_b32_e32 v7, 0xff, v6
	v_subrev_nc_u32_e32 v3, 32, v3
	s_mov_b32 s23, 0
	s_delay_alu instid0(VALU_DEP_2) | instskip(SKIP_2) | instid1(VALU_DEP_1)
	v_cmp_eq_u16_e32 vcc_lo, 2, v7
	s_wait_alu 0xfffd
	v_and_or_b32 v7, vcc_lo, v12, 0x80000000
	v_ctz_i32_b32_e32 v7, v7
	s_delay_alu instid0(VALU_DEP_1) | instskip(SKIP_4) | instid1(VALU_DEP_2)
	v_cmp_lt_u32_e32 vcc_lo, v65, v7
	s_wait_dscnt 0x0
	s_wait_alu 0xfffd
	v_cndmask_b32_e32 v8, 0, v8, vcc_lo
	v_cmp_le_u32_e32 vcc_lo, v14, v7
	v_add_nc_u32_e32 v5, v8, v5
	ds_bpermute_b32 v8, v13, v5
	s_wait_dscnt 0x0
	s_wait_alu 0xfffd
	v_cndmask_b32_e32 v8, 0, v8, vcc_lo
	v_cmp_le_u32_e32 vcc_lo, v16, v7
	s_delay_alu instid0(VALU_DEP_2)
	v_add_nc_u32_e32 v5, v5, v8
	ds_bpermute_b32 v8, v15, v5
	s_wait_dscnt 0x0
	s_wait_alu 0xfffd
	v_cndmask_b32_e32 v8, 0, v8, vcc_lo
	v_cmp_le_u32_e32 vcc_lo, v20, v7
	s_delay_alu instid0(VALU_DEP_2)
	v_add_nc_u32_e32 v5, v5, v8
	ds_bpermute_b32 v8, v19, v5
	s_wait_dscnt 0x0
	s_wait_alu 0xfffd
	v_cndmask_b32_e32 v8, 0, v8, vcc_lo
	v_cmp_le_u32_e32 vcc_lo, v69, v7
	s_delay_alu instid0(VALU_DEP_2) | instskip(SKIP_4) | instid1(VALU_DEP_1)
	v_add_nc_u32_e32 v5, v5, v8
	ds_bpermute_b32 v8, v68, v5
	s_wait_dscnt 0x0
	s_wait_alu 0xfffd
	v_cndmask_b32_e32 v7, 0, v8, vcc_lo
	v_add3_u32 v5, v7, v2, v5
.LBB908_54:                             ;   in Loop: Header=BB908_55 Depth=1
	s_wait_alu 0xfffe
	s_and_b32 vcc_lo, exec_lo, s23
	s_wait_alu 0xfffe
	s_cbranch_vccnz .LBB908_60
.LBB908_55:                             ; =>This Loop Header: Depth=1
                                        ;     Child Loop BB908_58 Depth 2
	v_and_b32_e32 v2, 0xff, v6
	s_mov_b32 s23, -1
                                        ; implicit-def: $vgpr6
	s_delay_alu instid0(VALU_DEP_1)
	v_cmp_ne_u16_e32 vcc_lo, 2, v2
	v_mov_b32_e32 v2, v5
                                        ; implicit-def: $vgpr5
	s_cmp_lg_u32 vcc_lo, exec_lo
	s_cbranch_scc1 .LBB908_54
; %bb.56:                               ;   in Loop: Header=BB908_55 Depth=1
	v_lshlrev_b64_e32 v[5:6], 3, v[3:4]
	s_mov_b32 s23, exec_lo
	s_delay_alu instid0(VALU_DEP_1) | instskip(SKIP_1) | instid1(VALU_DEP_2)
	v_add_co_u32 v7, vcc_lo, s20, v5
	s_wait_alu 0xfffd
	v_add_co_ci_u32_e64 v8, null, s21, v6, vcc_lo
	global_load_b64 v[5:6], v[7:8], off scope:SCOPE_DEV
	s_wait_loadcnt 0x0
	v_and_b32_e32 v70, 0xff, v6
	s_delay_alu instid0(VALU_DEP_1)
	v_cmpx_eq_u16_e32 0, v70
	s_cbranch_execz .LBB908_53
; %bb.57:                               ;   in Loop: Header=BB908_55 Depth=1
	s_mov_b32 s24, 0
.LBB908_58:                             ;   Parent Loop BB908_55 Depth=1
                                        ; =>  This Inner Loop Header: Depth=2
	global_load_b64 v[5:6], v[7:8], off scope:SCOPE_DEV
	s_wait_loadcnt 0x0
	v_and_b32_e32 v70, 0xff, v6
	s_delay_alu instid0(VALU_DEP_1) | instskip(SKIP_1) | instid1(SALU_CYCLE_1)
	v_cmp_ne_u16_e32 vcc_lo, 0, v70
	s_or_b32 s24, vcc_lo, s24
	s_and_not1_b32 exec_lo, exec_lo, s24
	s_cbranch_execnz .LBB908_58
	s_branch .LBB908_52
.LBB908_59:
                                        ; implicit-def: $vgpr20
                                        ; implicit-def: $vgpr1_vgpr2_vgpr3_vgpr4_vgpr5_vgpr6_vgpr7_vgpr8_vgpr9_vgpr10_vgpr11_vgpr12_vgpr13_vgpr14_vgpr15_vgpr16
	s_wait_alu 0xfffe
	s_and_b32 vcc_lo, exec_lo, s7
	s_wait_alu 0xfffe
	s_cbranch_vccnz .LBB908_65
	s_branch .LBB908_74
.LBB908_60:
	s_and_saveexec_b32 s23, s7
	s_cbranch_execz .LBB908_62
; %bb.61:
	s_add_co_i32 s24, s15, 32
	s_mov_b32 s25, 0
	v_dual_mov_b32 v4, 2 :: v_dual_add_nc_u32 v3, v2, v1
	v_mov_b32_e32 v5, 0
	s_lshl_b64 s[24:25], s[24:25], 3
	s_delay_alu instid0(SALU_CYCLE_1)
	s_add_nc_u64 s[24:25], s[20:21], s[24:25]
	global_store_b64 v5, v[3:4], s[24:25] scope:SCOPE_DEV
	ds_store_b64 v5, v[1:2] offset:13312
.LBB908_62:
	s_wait_alu 0xfffe
	s_or_b32 exec_lo, exec_lo, s23
	s_delay_alu instid0(SALU_CYCLE_1)
	s_and_b32 exec_lo, exec_lo, s2
; %bb.63:
	v_mov_b32_e32 v1, 0
	ds_store_b32 v1, v2 offset:28
.LBB908_64:
	s_wait_alu 0xfffe
	s_or_b32 exec_lo, exec_lo, s8
	v_mov_b32_e32 v11, 0
	s_wait_storecnt 0x0
	s_wait_loadcnt_dscnt 0x0
	s_barrier_signal -1
	s_barrier_wait -1
	global_inv scope:SCOPE_SE
	ds_load_b32 v1, v11 offset:28
	v_cndmask_b32_e64 v2, v10, v9, s7
	s_wait_loadcnt_dscnt 0x0
	s_barrier_signal -1
	s_barrier_wait -1
	global_inv scope:SCOPE_SE
	v_cndmask_b32_e64 v2, v2, 0, s2
	s_delay_alu instid0(VALU_DEP_1) | instskip(NEXT) | instid1(VALU_DEP_1)
	v_add_nc_u32_e32 v1, v1, v2
	v_add_nc_u32_e32 v2, v1, v56
	ds_load_b64 v[19:20], v11 offset:13312
	v_add_nc_u32_e32 v3, v2, v57
	s_delay_alu instid0(VALU_DEP_1) | instskip(NEXT) | instid1(VALU_DEP_1)
	v_add_nc_u32_e32 v4, v3, v58
	v_add_nc_u32_e32 v5, v4, v55
	s_delay_alu instid0(VALU_DEP_1) | instskip(NEXT) | instid1(VALU_DEP_1)
	v_add_nc_u32_e32 v6, v5, v59
	;; [unrolled: 3-line block ×5, first 2 shown]
	v_add_nc_u32_e32 v13, v12, v51
	s_branch .LBB908_74
.LBB908_65:
	v_mov_b32_dpp v1, v67 row_shr:1 row_mask:0xf bank_mask:0xf
	s_delay_alu instid0(VALU_DEP_1) | instskip(NEXT) | instid1(VALU_DEP_1)
	v_cndmask_b32_e64 v1, v1, 0, s6
	v_add_nc_u32_e32 v1, v1, v67
	s_delay_alu instid0(VALU_DEP_1) | instskip(NEXT) | instid1(VALU_DEP_1)
	v_mov_b32_dpp v2, v1 row_shr:2 row_mask:0xf bank_mask:0xf
	v_cndmask_b32_e64 v2, 0, v2, s5
	s_delay_alu instid0(VALU_DEP_1) | instskip(NEXT) | instid1(VALU_DEP_1)
	v_add_nc_u32_e32 v1, v1, v2
	v_mov_b32_dpp v2, v1 row_shr:4 row_mask:0xf bank_mask:0xf
	s_delay_alu instid0(VALU_DEP_1) | instskip(NEXT) | instid1(VALU_DEP_1)
	v_cndmask_b32_e64 v2, 0, v2, s4
	v_add_nc_u32_e32 v1, v1, v2
	s_delay_alu instid0(VALU_DEP_1) | instskip(NEXT) | instid1(VALU_DEP_1)
	v_mov_b32_dpp v2, v1 row_shr:8 row_mask:0xf bank_mask:0xf
	v_cndmask_b32_e64 v2, 0, v2, s3
	s_delay_alu instid0(VALU_DEP_1) | instskip(SKIP_3) | instid1(VALU_DEP_1)
	v_add_nc_u32_e32 v1, v1, v2
	ds_swizzle_b32 v2, v1 offset:swizzle(BROADCAST,32,15)
	s_wait_dscnt 0x0
	v_cndmask_b32_e64 v2, v2, 0, s1
	v_add_nc_u32_e32 v1, v1, v2
	s_and_saveexec_b32 s1, s0
; %bb.66:
	v_lshlrev_b32_e32 v2, 2, v66
	ds_store_b32 v2, v1
; %bb.67:
	s_wait_alu 0xfffe
	s_or_b32 exec_lo, exec_lo, s1
	s_delay_alu instid0(SALU_CYCLE_1)
	s_mov_b32 s0, exec_lo
	s_wait_loadcnt_dscnt 0x0
	s_barrier_signal -1
	s_barrier_wait -1
	global_inv scope:SCOPE_SE
	v_cmpx_gt_u32_e32 8, v0
	s_cbranch_execz .LBB908_69
; %bb.68:
	ds_load_b32 v2, v45
	s_wait_dscnt 0x0
	v_mov_b32_dpp v4, v2 row_shr:1 row_mask:0xf bank_mask:0xf
	v_and_b32_e32 v3, 7, v65
	s_delay_alu instid0(VALU_DEP_1) | instskip(SKIP_1) | instid1(VALU_DEP_3)
	v_cmp_ne_u32_e32 vcc_lo, 0, v3
	s_wait_alu 0xfffd
	v_cndmask_b32_e32 v4, 0, v4, vcc_lo
	v_cmp_lt_u32_e32 vcc_lo, 1, v3
	s_delay_alu instid0(VALU_DEP_2) | instskip(NEXT) | instid1(VALU_DEP_1)
	v_add_nc_u32_e32 v2, v4, v2
	v_mov_b32_dpp v4, v2 row_shr:2 row_mask:0xf bank_mask:0xf
	s_wait_alu 0xfffd
	s_delay_alu instid0(VALU_DEP_1) | instskip(SKIP_1) | instid1(VALU_DEP_2)
	v_cndmask_b32_e32 v4, 0, v4, vcc_lo
	v_cmp_lt_u32_e32 vcc_lo, 3, v3
	v_add_nc_u32_e32 v2, v2, v4
	s_delay_alu instid0(VALU_DEP_1) | instskip(SKIP_1) | instid1(VALU_DEP_1)
	v_mov_b32_dpp v4, v2 row_shr:4 row_mask:0xf bank_mask:0xf
	s_wait_alu 0xfffd
	v_cndmask_b32_e32 v3, 0, v4, vcc_lo
	s_delay_alu instid0(VALU_DEP_1)
	v_add_nc_u32_e32 v2, v2, v3
	ds_store_b32 v45, v2
.LBB908_69:
	s_wait_alu 0xfffe
	s_or_b32 exec_lo, exec_lo, s0
	v_dual_mov_b32 v3, 0 :: v_dual_mov_b32 v2, 0
	s_mov_b32 s0, exec_lo
	s_wait_loadcnt_dscnt 0x0
	s_barrier_signal -1
	s_barrier_wait -1
	global_inv scope:SCOPE_SE
	v_cmpx_lt_u32_e32 31, v0
; %bb.70:
	v_lshl_add_u32 v2, v66, 2, -4
	ds_load_b32 v2, v2
; %bb.71:
	s_wait_alu 0xfffe
	s_or_b32 exec_lo, exec_lo, s0
	v_sub_co_u32 v4, vcc_lo, v65, 1
	s_wait_dscnt 0x0
	v_add_nc_u32_e32 v1, v2, v1
	ds_load_b32 v19, v3 offset:28
	v_cmp_gt_i32_e64 s0, 0, v4
	s_wait_alu 0xf1ff
	s_delay_alu instid0(VALU_DEP_1) | instskip(NEXT) | instid1(VALU_DEP_1)
	v_cndmask_b32_e64 v4, v4, v65, s0
	v_lshlrev_b32_e32 v4, 2, v4
	ds_bpermute_b32 v1, v4, v1
	s_and_saveexec_b32 s0, s2
	s_cbranch_execz .LBB908_73
; %bb.72:
	v_dual_mov_b32 v3, 0 :: v_dual_mov_b32 v20, 2
	s_wait_dscnt 0x1
	global_store_b64 v3, v[19:20], s[20:21] offset:256 scope:SCOPE_DEV
.LBB908_73:
	s_wait_alu 0xfffe
	s_or_b32 exec_lo, exec_lo, s0
	s_wait_dscnt 0x0
	s_wait_alu 0xfffd
	v_cndmask_b32_e32 v1, v1, v2, vcc_lo
	s_wait_loadcnt 0x0
	s_wait_storecnt 0x0
	s_barrier_signal -1
	s_barrier_wait -1
	global_inv scope:SCOPE_SE
	v_cndmask_b32_e64 v1, v1, 0, s2
	v_mov_b32_e32 v20, 0
	s_delay_alu instid0(VALU_DEP_2) | instskip(NEXT) | instid1(VALU_DEP_1)
	v_add_nc_u32_e32 v2, v1, v56
	v_add_nc_u32_e32 v3, v2, v57
	s_delay_alu instid0(VALU_DEP_1) | instskip(NEXT) | instid1(VALU_DEP_1)
	v_add_nc_u32_e32 v4, v3, v58
	v_add_nc_u32_e32 v5, v4, v55
	s_delay_alu instid0(VALU_DEP_1) | instskip(NEXT) | instid1(VALU_DEP_1)
	;; [unrolled: 3-line block ×5, first 2 shown]
	v_add_nc_u32_e32 v12, v11, v64
	v_add_nc_u32_e32 v13, v12, v51
.LBB908_74:
	s_wait_dscnt 0x0
	v_sub_nc_u32_e32 v1, v1, v20
	v_sub_nc_u32_e32 v2, v2, v20
	v_add_nc_u32_e32 v48, v19, v48
	v_lshrrev_b32_e32 v58, 8, v54
	v_lshrrev_b32_e32 v57, 16, v54
	v_sub_nc_u32_e32 v4, v4, v20
	v_sub_nc_u32_e32 v3, v3, v20
	v_sub_nc_u32_e32 v59, v48, v1
	v_and_b32_e32 v54, 1, v54
	v_and_b32_e32 v58, 1, v58
	;; [unrolled: 1-line block ×3, first 2 shown]
	v_lshrrev_b32_e32 v56, 8, v52
	v_lshrrev_b32_e32 v16, 16, v52
	v_cmp_eq_u32_e32 vcc_lo, 1, v54
	v_and_b32_e32 v54, 1, v57
	v_sub_nc_u32_e32 v57, v48, v2
	v_lshrrev_b32_e32 v15, 8, v50
	v_lshrrev_b32_e32 v14, 16, v50
	s_wait_alu 0xfffd
	v_cndmask_b32_e32 v1, v59, v1, vcc_lo
	v_cmp_eq_u32_e32 vcc_lo, 1, v58
	v_add_nc_u32_e32 v57, 1, v57
	s_delay_alu instid0(VALU_DEP_3)
	v_lshlrev_b32_e32 v1, 2, v1
	ds_store_b32 v1, v31
	s_wait_alu 0xfffd
	v_cndmask_b32_e32 v1, v57, v2, vcc_lo
	v_sub_nc_u32_e32 v59, v48, v3
	v_sub_nc_u32_e32 v60, v48, v4
	v_cmp_eq_u32_e32 vcc_lo, 1, v54
	s_delay_alu instid0(VALU_DEP_4) | instskip(NEXT) | instid1(VALU_DEP_4)
	v_lshlrev_b32_e32 v1, 2, v1
	v_add_nc_u32_e32 v59, 2, v59
	s_delay_alu instid0(VALU_DEP_4)
	v_add_nc_u32_e32 v60, 3, v60
	ds_store_b32 v1, v32
	s_wait_alu 0xfffd
	v_cndmask_b32_e32 v2, v59, v3, vcc_lo
	v_cmp_eq_u32_e32 vcc_lo, 1, v55
	s_wait_alu 0xfffd
	s_delay_alu instid0(VALU_DEP_2) | instskip(SKIP_2) | instid1(VALU_DEP_3)
	v_dual_cndmask_b32 v3, v60, v4 :: v_dual_lshlrev_b32 v2, 2, v2
	v_sub_nc_u32_e32 v4, v5, v20
	v_sub_nc_u32_e32 v5, v6, v20
	v_lshlrev_b32_e32 v3, 2, v3
	s_delay_alu instid0(VALU_DEP_3) | instskip(NEXT) | instid1(VALU_DEP_3)
	v_sub_nc_u32_e32 v1, v48, v4
	v_sub_nc_u32_e32 v6, v48, v5
	ds_store_b32 v2, v29
	ds_store_b32 v3, v30
	v_and_b32_e32 v2, 1, v52
	v_add_nc_u32_e32 v1, 4, v1
	v_add_nc_u32_e32 v3, 5, v6
	v_sub_nc_u32_e32 v6, v7, v20
	v_and_b32_e32 v7, 1, v56
	v_cmp_eq_u32_e32 vcc_lo, 1, v2
	v_sub_nc_u32_e32 v2, v8, v20
	s_wait_alu 0xfffd
	v_dual_cndmask_b32 v1, v1, v4 :: v_dual_and_b32 v8, 1, v53
	v_sub_nc_u32_e32 v4, v48, v6
	v_cmp_eq_u32_e32 vcc_lo, 1, v7
	v_and_b32_e32 v7, 1, v16
	s_delay_alu instid0(VALU_DEP_4)
	v_lshlrev_b32_e32 v1, 2, v1
	s_wait_alu 0xfffd
	v_dual_cndmask_b32 v3, v3, v5 :: v_dual_add_nc_u32 v4, 6, v4
	v_sub_nc_u32_e32 v5, v48, v2
	v_cmp_eq_u32_e32 vcc_lo, 1, v7
	v_sub_nc_u32_e32 v7, v13, v20
	s_delay_alu instid0(VALU_DEP_4)
	v_lshlrev_b32_e32 v3, 2, v3
	s_wait_alu 0xfffd
	v_dual_cndmask_b32 v4, v4, v6 :: v_dual_add_nc_u32 v5, 7, v5
	v_cmp_eq_u32_e32 vcc_lo, 1, v8
	v_sub_nc_u32_e32 v6, v9, v20
	ds_store_b32 v1, v27
	ds_store_b32 v3, v28
	s_wait_alu 0xfffd
	v_dual_cndmask_b32 v2, v5, v2 :: v_dual_lshlrev_b32 v3, 2, v4
	v_sub_nc_u32_e32 v1, v48, v6
	v_and_b32_e32 v5, 1, v50
	v_sub_nc_u32_e32 v4, v10, v20
	v_and_b32_e32 v10, 1, v51
	v_lshlrev_b32_e32 v2, 2, v2
	v_add_nc_u32_e32 v1, 8, v1
	ds_store_b32 v3, v25
	ds_store_b32 v2, v26
	v_cmp_eq_u32_e32 vcc_lo, 1, v5
	v_sub_nc_u32_e32 v3, v11, v20
	v_sub_nc_u32_e32 v2, v48, v4
	;; [unrolled: 1-line block ×3, first 2 shown]
	v_and_b32_e32 v11, 1, v49
	s_wait_alu 0xfffd
	v_dual_cndmask_b32 v1, v1, v6 :: v_dual_and_b32 v6, 1, v15
	v_sub_nc_u32_e32 v8, v48, v3
	v_add_nc_u32_e32 v2, 9, v2
	v_sub_nc_u32_e32 v9, v48, v5
	s_delay_alu instid0(VALU_DEP_4)
	v_lshlrev_b32_e32 v1, 2, v1
	v_cmp_eq_u32_e32 vcc_lo, 1, v6
	v_add_nc_u32_e32 v6, 10, v8
	v_and_b32_e32 v8, 1, v14
	v_add_nc_u32_e32 v9, 11, v9
	v_add_co_u32 v15, s0, v17, v20
	s_wait_alu 0xfffd
	v_cndmask_b32_e32 v2, v2, v4, vcc_lo
	v_cmp_eq_u32_e32 vcc_lo, 1, v8
	v_sub_nc_u32_e32 v4, v48, v7
	s_wait_alu 0xf1ff
	v_add_co_ci_u32_e64 v16, null, 0, v18, s0
	s_wait_alu 0xfffd
	v_dual_cndmask_b32 v3, v6, v3 :: v_dual_lshlrev_b32 v2, 2, v2
	v_cmp_eq_u32_e32 vcc_lo, 1, v10
	v_add_nc_u32_e32 v4, 12, v4
	s_delay_alu instid0(VALU_DEP_3) | instskip(SKIP_4) | instid1(VALU_DEP_2)
	v_lshlrev_b32_e32 v3, 2, v3
	s_wait_alu 0xfffd
	v_cndmask_b32_e32 v5, v9, v5, vcc_lo
	v_cmp_eq_u32_e32 vcc_lo, 1, v11
	s_wait_alu 0xfffd
	v_dual_cndmask_b32 v4, v4, v7 :: v_dual_lshlrev_b32 v5, 2, v5
	v_cmp_ne_u32_e32 vcc_lo, 1, v46
	s_delay_alu instid0(VALU_DEP_2)
	v_lshlrev_b32_e32 v4, 2, v4
	ds_store_b32 v1, v23
	ds_store_b32 v2, v24
	;; [unrolled: 1-line block ×5, first 2 shown]
	s_wait_loadcnt_dscnt 0x0
	s_barrier_signal -1
	s_barrier_wait -1
	global_inv scope:SCOPE_SE
	ds_load_2addr_stride64_b32 v[11:12], v45 offset1:4
	ds_load_2addr_stride64_b32 v[9:10], v45 offset0:8 offset1:12
	ds_load_2addr_stride64_b32 v[7:8], v45 offset0:16 offset1:20
	;; [unrolled: 1-line block ×5, first 2 shown]
	ds_load_b32 v21, v45 offset:12288
	s_cbranch_vccnz .LBB908_131
; %bb.75:
	s_mov_b32 s15, 0
	v_sub_co_u32 v13, vcc_lo, v15, s16
	s_wait_alu 0xfffe
	s_sub_nc_u64 s[0:1], s[18:19], s[14:15]
	s_wait_alu 0xfffd
	v_subrev_co_ci_u32_e64 v14, null, s17, v16, vcc_lo
	s_wait_alu 0xfffe
	v_add_co_u32 v17, s0, s0, v19
	s_wait_alu 0xf1ff
	v_add_co_ci_u32_e64 v18, null, s1, 0, s0
	s_mov_b32 s0, exec_lo
	v_add_co_u32 v17, vcc_lo, v17, v13
	s_wait_alu 0xfffd
	v_add_co_ci_u32_e64 v18, null, v18, v14, vcc_lo
                                        ; implicit-def: $vgpr13_vgpr14
	v_cmpx_ge_u32_e64 v0, v19
	s_wait_alu 0xfffe
	s_xor_b32 s0, exec_lo, s0
; %bb.76:
	v_not_b32_e32 v13, v0
	s_delay_alu instid0(VALU_DEP_1) | instskip(SKIP_2) | instid1(VALU_DEP_2)
	v_ashrrev_i32_e32 v14, 31, v13
	v_add_co_u32 v13, vcc_lo, v17, v13
	s_wait_alu 0xfffd
	v_add_co_ci_u32_e64 v14, null, v18, v14, vcc_lo
; %bb.77:
	s_wait_alu 0xfffe
	s_and_not1_saveexec_b32 s0, s0
; %bb.78:
	v_add_co_u32 v13, vcc_lo, v15, v0
	s_wait_alu 0xfffd
	v_add_co_ci_u32_e64 v14, null, 0, v16, vcc_lo
; %bb.79:
	s_wait_alu 0xfffe
	s_or_b32 exec_lo, exec_lo, s0
	s_delay_alu instid0(VALU_DEP_1) | instskip(SKIP_1) | instid1(VALU_DEP_1)
	v_lshlrev_b64_e32 v[13:14], 2, v[13:14]
	s_mov_b32 s0, exec_lo
	v_add_co_u32 v13, vcc_lo, s10, v13
	s_wait_alu 0xfffd
	s_delay_alu instid0(VALU_DEP_2)
	v_add_co_ci_u32_e64 v14, null, s11, v14, vcc_lo
	s_wait_dscnt 0x6
	global_store_b32 v[13:14], v11, off
                                        ; implicit-def: $vgpr13_vgpr14
	v_cmpx_ge_u32_e64 v44, v19
	s_wait_alu 0xfffe
	s_xor_b32 s0, exec_lo, s0
; %bb.80:
	v_xor_b32_e32 v13, 0xfffffeff, v0
	s_delay_alu instid0(VALU_DEP_1) | instskip(SKIP_2) | instid1(VALU_DEP_2)
	v_ashrrev_i32_e32 v14, 31, v13
	v_add_co_u32 v13, vcc_lo, v17, v13
	s_wait_alu 0xfffd
	v_add_co_ci_u32_e64 v14, null, v18, v14, vcc_lo
; %bb.81:
	s_wait_alu 0xfffe
	s_and_not1_saveexec_b32 s0, s0
; %bb.82:
	v_add_co_u32 v13, vcc_lo, v15, v44
	s_wait_alu 0xfffd
	v_add_co_ci_u32_e64 v14, null, 0, v16, vcc_lo
; %bb.83:
	s_wait_alu 0xfffe
	s_or_b32 exec_lo, exec_lo, s0
	s_delay_alu instid0(VALU_DEP_1) | instskip(SKIP_1) | instid1(VALU_DEP_1)
	v_lshlrev_b64_e32 v[13:14], 2, v[13:14]
	s_mov_b32 s0, exec_lo
	v_add_co_u32 v13, vcc_lo, s10, v13
	s_wait_alu 0xfffd
	s_delay_alu instid0(VALU_DEP_2)
	v_add_co_ci_u32_e64 v14, null, s11, v14, vcc_lo
	global_store_b32 v[13:14], v12, off
                                        ; implicit-def: $vgpr13_vgpr14
	v_cmpx_ge_u32_e64 v43, v19
	s_wait_alu 0xfffe
	s_xor_b32 s0, exec_lo, s0
; %bb.84:
	v_xor_b32_e32 v13, 0xfffffdff, v0
	s_delay_alu instid0(VALU_DEP_1) | instskip(SKIP_2) | instid1(VALU_DEP_2)
	v_ashrrev_i32_e32 v14, 31, v13
	v_add_co_u32 v13, vcc_lo, v17, v13
	s_wait_alu 0xfffd
	v_add_co_ci_u32_e64 v14, null, v18, v14, vcc_lo
; %bb.85:
	s_wait_alu 0xfffe
	s_and_not1_saveexec_b32 s0, s0
; %bb.86:
	v_add_co_u32 v13, vcc_lo, v15, v43
	s_wait_alu 0xfffd
	v_add_co_ci_u32_e64 v14, null, 0, v16, vcc_lo
; %bb.87:
	s_wait_alu 0xfffe
	s_or_b32 exec_lo, exec_lo, s0
	s_delay_alu instid0(VALU_DEP_1) | instskip(SKIP_1) | instid1(VALU_DEP_1)
	v_lshlrev_b64_e32 v[13:14], 2, v[13:14]
	s_mov_b32 s0, exec_lo
	v_add_co_u32 v13, vcc_lo, s10, v13
	s_wait_alu 0xfffd
	s_delay_alu instid0(VALU_DEP_2)
	v_add_co_ci_u32_e64 v14, null, s11, v14, vcc_lo
	s_wait_dscnt 0x5
	global_store_b32 v[13:14], v9, off
                                        ; implicit-def: $vgpr13_vgpr14
	v_cmpx_ge_u32_e64 v42, v19
	s_wait_alu 0xfffe
	s_xor_b32 s0, exec_lo, s0
; %bb.88:
	v_xor_b32_e32 v13, 0xfffffcff, v0
	s_delay_alu instid0(VALU_DEP_1) | instskip(SKIP_2) | instid1(VALU_DEP_2)
	v_ashrrev_i32_e32 v14, 31, v13
	v_add_co_u32 v13, vcc_lo, v17, v13
	s_wait_alu 0xfffd
	v_add_co_ci_u32_e64 v14, null, v18, v14, vcc_lo
; %bb.89:
	s_wait_alu 0xfffe
	s_and_not1_saveexec_b32 s0, s0
; %bb.90:
	v_add_co_u32 v13, vcc_lo, v15, v42
	s_wait_alu 0xfffd
	v_add_co_ci_u32_e64 v14, null, 0, v16, vcc_lo
; %bb.91:
	s_wait_alu 0xfffe
	s_or_b32 exec_lo, exec_lo, s0
	s_delay_alu instid0(VALU_DEP_1) | instskip(SKIP_1) | instid1(VALU_DEP_1)
	v_lshlrev_b64_e32 v[13:14], 2, v[13:14]
	s_mov_b32 s0, exec_lo
	v_add_co_u32 v13, vcc_lo, s10, v13
	s_wait_alu 0xfffd
	s_delay_alu instid0(VALU_DEP_2)
	v_add_co_ci_u32_e64 v14, null, s11, v14, vcc_lo
	global_store_b32 v[13:14], v10, off
                                        ; implicit-def: $vgpr13_vgpr14
	v_cmpx_ge_u32_e64 v41, v19
	s_wait_alu 0xfffe
	s_xor_b32 s0, exec_lo, s0
; %bb.92:
	v_xor_b32_e32 v13, 0xfffffbff, v0
	;; [unrolled: 59-line block ×6, first 2 shown]
	s_delay_alu instid0(VALU_DEP_1) | instskip(SKIP_2) | instid1(VALU_DEP_2)
	v_ashrrev_i32_e32 v14, 31, v13
	v_add_co_u32 v13, vcc_lo, v17, v13
	s_wait_alu 0xfffd
	v_add_co_ci_u32_e64 v14, null, v18, v14, vcc_lo
; %bb.125:
	s_wait_alu 0xfffe
	s_and_not1_saveexec_b32 s0, s0
; %bb.126:
	v_add_co_u32 v13, vcc_lo, v15, v33
	s_wait_alu 0xfffd
	v_add_co_ci_u32_e64 v14, null, 0, v16, vcc_lo
; %bb.127:
	s_wait_alu 0xfffe
	s_or_b32 exec_lo, exec_lo, s0
	s_mov_b32 s0, -1
.LBB908_128:
	s_wait_alu 0xfffe
	s_and_saveexec_b32 s1, s0
	s_cbranch_execz .LBB908_211
.LBB908_129:
	s_wait_dscnt 0x1
	v_lshlrev_b64_e32 v[0:1], 2, v[13:14]
	s_delay_alu instid0(VALU_DEP_1) | instskip(SKIP_1) | instid1(VALU_DEP_2)
	v_add_co_u32 v0, vcc_lo, s10, v0
	s_wait_alu 0xfffd
	v_add_co_ci_u32_e64 v1, null, s11, v1, vcc_lo
	s_wait_dscnt 0x0
	global_store_b32 v[0:1], v21, off
	s_wait_alu 0xfffe
	s_or_b32 exec_lo, exec_lo, s1
	s_and_b32 s0, s2, s9
	s_wait_alu 0xfffe
	s_and_saveexec_b32 s1, s0
	s_cbranch_execnz .LBB908_212
.LBB908_130:
	s_endpgm
.LBB908_131:
	s_mov_b32 s0, 0
                                        ; implicit-def: $vgpr13_vgpr14
	s_cbranch_execz .LBB908_128
; %bb.132:
	s_mov_b32 s15, 0
	s_wait_alu 0xfffe
	s_add_nc_u64 s[4:5], s[16:17], s[14:15]
	s_wait_alu 0xfffe
	s_sub_nc_u64 s[4:5], s[18:19], s[4:5]
	s_wait_alu 0xfffe
	v_add_co_u32 v13, s1, s4, v19
	s_wait_alu 0xf1ff
	v_add_co_ci_u32_e64 v14, null, s5, 0, s1
	s_mov_b32 s1, exec_lo
	v_add_co_u32 v17, vcc_lo, v13, v15
	s_wait_alu 0xfffd
	v_add_co_ci_u32_e64 v18, null, v14, v16, vcc_lo
	v_cmpx_gt_u32_e64 s22, v0
	s_cbranch_execz .LBB908_168
; %bb.133:
	s_mov_b32 s3, exec_lo
                                        ; implicit-def: $vgpr13_vgpr14
	v_cmpx_ge_u32_e64 v0, v19
	s_wait_alu 0xfffe
	s_xor_b32 s3, exec_lo, s3
; %bb.134:
	v_not_b32_e32 v13, v0
	s_delay_alu instid0(VALU_DEP_1) | instskip(SKIP_2) | instid1(VALU_DEP_2)
	v_ashrrev_i32_e32 v14, 31, v13
	v_add_co_u32 v13, vcc_lo, v17, v13
	s_wait_alu 0xfffd
	v_add_co_ci_u32_e64 v14, null, v18, v14, vcc_lo
; %bb.135:
	s_wait_alu 0xfffe
	s_and_not1_saveexec_b32 s3, s3
; %bb.136:
	v_add_co_u32 v13, vcc_lo, v15, v0
	s_wait_alu 0xfffd
	v_add_co_ci_u32_e64 v14, null, 0, v16, vcc_lo
; %bb.137:
	s_wait_alu 0xfffe
	s_or_b32 exec_lo, exec_lo, s3
	s_delay_alu instid0(VALU_DEP_1) | instskip(NEXT) | instid1(VALU_DEP_1)
	v_lshlrev_b64_e32 v[13:14], 2, v[13:14]
	v_add_co_u32 v13, vcc_lo, s10, v13
	s_wait_alu 0xfffd
	s_delay_alu instid0(VALU_DEP_2) | instskip(SKIP_3) | instid1(SALU_CYCLE_1)
	v_add_co_ci_u32_e64 v14, null, s11, v14, vcc_lo
	s_wait_dscnt 0x6
	global_store_b32 v[13:14], v11, off
	s_or_b32 exec_lo, exec_lo, s1
	s_mov_b32 s1, exec_lo
	v_cmpx_gt_u32_e64 s22, v44
	s_cbranch_execnz .LBB908_169
.LBB908_138:
	s_wait_alu 0xfffe
	s_or_b32 exec_lo, exec_lo, s1
	s_delay_alu instid0(SALU_CYCLE_1)
	s_mov_b32 s1, exec_lo
	v_cmpx_gt_u32_e64 s22, v43
	s_cbranch_execz .LBB908_174
.LBB908_139:
	s_mov_b32 s3, exec_lo
                                        ; implicit-def: $vgpr11_vgpr12
	v_cmpx_ge_u32_e64 v43, v19
	s_wait_alu 0xfffe
	s_xor_b32 s3, exec_lo, s3
	s_cbranch_execz .LBB908_141
; %bb.140:
	s_wait_dscnt 0x6
	v_xor_b32_e32 v11, 0xfffffdff, v0
                                        ; implicit-def: $vgpr43
	s_delay_alu instid0(VALU_DEP_1) | instskip(SKIP_2) | instid1(VALU_DEP_2)
	v_ashrrev_i32_e32 v12, 31, v11
	v_add_co_u32 v11, vcc_lo, v17, v11
	s_wait_alu 0xfffd
	v_add_co_ci_u32_e64 v12, null, v18, v12, vcc_lo
.LBB908_141:
	s_wait_alu 0xfffe
	s_and_not1_saveexec_b32 s3, s3
	s_cbranch_execz .LBB908_143
; %bb.142:
	s_wait_dscnt 0x6
	v_add_co_u32 v11, vcc_lo, v15, v43
	s_wait_alu 0xfffd
	v_add_co_ci_u32_e64 v12, null, 0, v16, vcc_lo
.LBB908_143:
	s_wait_alu 0xfffe
	s_or_b32 exec_lo, exec_lo, s3
	s_wait_dscnt 0x6
	s_delay_alu instid0(VALU_DEP_1) | instskip(NEXT) | instid1(VALU_DEP_1)
	v_lshlrev_b64_e32 v[11:12], 2, v[11:12]
	v_add_co_u32 v11, vcc_lo, s10, v11
	s_wait_alu 0xfffd
	s_delay_alu instid0(VALU_DEP_2) | instskip(SKIP_3) | instid1(SALU_CYCLE_1)
	v_add_co_ci_u32_e64 v12, null, s11, v12, vcc_lo
	s_wait_dscnt 0x5
	global_store_b32 v[11:12], v9, off
	s_or_b32 exec_lo, exec_lo, s1
	s_mov_b32 s1, exec_lo
	v_cmpx_gt_u32_e64 s22, v42
	s_cbranch_execnz .LBB908_175
.LBB908_144:
	s_wait_alu 0xfffe
	s_or_b32 exec_lo, exec_lo, s1
	s_delay_alu instid0(SALU_CYCLE_1)
	s_mov_b32 s1, exec_lo
	v_cmpx_gt_u32_e64 s22, v41
	s_cbranch_execz .LBB908_180
.LBB908_145:
	s_mov_b32 s3, exec_lo
                                        ; implicit-def: $vgpr9_vgpr10
	v_cmpx_ge_u32_e64 v41, v19
	s_wait_alu 0xfffe
	s_xor_b32 s3, exec_lo, s3
	s_cbranch_execz .LBB908_147
; %bb.146:
	s_wait_dscnt 0x5
	v_xor_b32_e32 v9, 0xfffffbff, v0
                                        ; implicit-def: $vgpr41
	s_delay_alu instid0(VALU_DEP_1) | instskip(SKIP_2) | instid1(VALU_DEP_2)
	v_ashrrev_i32_e32 v10, 31, v9
	v_add_co_u32 v9, vcc_lo, v17, v9
	s_wait_alu 0xfffd
	v_add_co_ci_u32_e64 v10, null, v18, v10, vcc_lo
.LBB908_147:
	s_wait_alu 0xfffe
	s_and_not1_saveexec_b32 s3, s3
	s_cbranch_execz .LBB908_149
; %bb.148:
	s_wait_dscnt 0x5
	v_add_co_u32 v9, vcc_lo, v15, v41
	s_wait_alu 0xfffd
	v_add_co_ci_u32_e64 v10, null, 0, v16, vcc_lo
.LBB908_149:
	s_wait_alu 0xfffe
	s_or_b32 exec_lo, exec_lo, s3
	s_wait_dscnt 0x5
	s_delay_alu instid0(VALU_DEP_1) | instskip(NEXT) | instid1(VALU_DEP_1)
	v_lshlrev_b64_e32 v[9:10], 2, v[9:10]
	v_add_co_u32 v9, vcc_lo, s10, v9
	s_wait_alu 0xfffd
	s_delay_alu instid0(VALU_DEP_2) | instskip(SKIP_3) | instid1(SALU_CYCLE_1)
	v_add_co_ci_u32_e64 v10, null, s11, v10, vcc_lo
	s_wait_dscnt 0x4
	global_store_b32 v[9:10], v7, off
	s_or_b32 exec_lo, exec_lo, s1
	s_mov_b32 s1, exec_lo
	v_cmpx_gt_u32_e64 s22, v40
	s_cbranch_execnz .LBB908_181
.LBB908_150:
	s_wait_alu 0xfffe
	s_or_b32 exec_lo, exec_lo, s1
	s_delay_alu instid0(SALU_CYCLE_1)
	s_mov_b32 s1, exec_lo
	v_cmpx_gt_u32_e64 s22, v39
	s_cbranch_execz .LBB908_186
.LBB908_151:
	s_mov_b32 s3, exec_lo
                                        ; implicit-def: $vgpr7_vgpr8
	v_cmpx_ge_u32_e64 v39, v19
	s_wait_alu 0xfffe
	s_xor_b32 s3, exec_lo, s3
	s_cbranch_execz .LBB908_153
; %bb.152:
	s_wait_dscnt 0x4
	v_xor_b32_e32 v7, 0xfffff9ff, v0
                                        ; implicit-def: $vgpr39
	s_delay_alu instid0(VALU_DEP_1) | instskip(SKIP_2) | instid1(VALU_DEP_2)
	v_ashrrev_i32_e32 v8, 31, v7
	v_add_co_u32 v7, vcc_lo, v17, v7
	s_wait_alu 0xfffd
	v_add_co_ci_u32_e64 v8, null, v18, v8, vcc_lo
.LBB908_153:
	s_wait_alu 0xfffe
	s_and_not1_saveexec_b32 s3, s3
	s_cbranch_execz .LBB908_155
; %bb.154:
	s_wait_dscnt 0x4
	v_add_co_u32 v7, vcc_lo, v15, v39
	s_wait_alu 0xfffd
	v_add_co_ci_u32_e64 v8, null, 0, v16, vcc_lo
.LBB908_155:
	s_wait_alu 0xfffe
	s_or_b32 exec_lo, exec_lo, s3
	s_wait_dscnt 0x4
	s_delay_alu instid0(VALU_DEP_1) | instskip(NEXT) | instid1(VALU_DEP_1)
	v_lshlrev_b64_e32 v[7:8], 2, v[7:8]
	v_add_co_u32 v7, vcc_lo, s10, v7
	s_wait_alu 0xfffd
	s_delay_alu instid0(VALU_DEP_2) | instskip(SKIP_3) | instid1(SALU_CYCLE_1)
	v_add_co_ci_u32_e64 v8, null, s11, v8, vcc_lo
	s_wait_dscnt 0x3
	global_store_b32 v[7:8], v5, off
	s_or_b32 exec_lo, exec_lo, s1
	s_mov_b32 s1, exec_lo
	v_cmpx_gt_u32_e64 s22, v38
	s_cbranch_execnz .LBB908_187
.LBB908_156:
	s_wait_alu 0xfffe
	s_or_b32 exec_lo, exec_lo, s1
	s_delay_alu instid0(SALU_CYCLE_1)
	s_mov_b32 s1, exec_lo
	v_cmpx_gt_u32_e64 s22, v37
	s_cbranch_execz .LBB908_192
.LBB908_157:
	s_mov_b32 s3, exec_lo
                                        ; implicit-def: $vgpr5_vgpr6
	v_cmpx_ge_u32_e64 v37, v19
	s_wait_alu 0xfffe
	s_xor_b32 s3, exec_lo, s3
	s_cbranch_execz .LBB908_159
; %bb.158:
	s_wait_dscnt 0x3
	v_xor_b32_e32 v5, 0xfffff7ff, v0
                                        ; implicit-def: $vgpr37
	s_delay_alu instid0(VALU_DEP_1) | instskip(SKIP_2) | instid1(VALU_DEP_2)
	v_ashrrev_i32_e32 v6, 31, v5
	v_add_co_u32 v5, vcc_lo, v17, v5
	s_wait_alu 0xfffd
	v_add_co_ci_u32_e64 v6, null, v18, v6, vcc_lo
.LBB908_159:
	s_wait_alu 0xfffe
	s_and_not1_saveexec_b32 s3, s3
	s_cbranch_execz .LBB908_161
; %bb.160:
	s_wait_dscnt 0x3
	v_add_co_u32 v5, vcc_lo, v15, v37
	s_wait_alu 0xfffd
	v_add_co_ci_u32_e64 v6, null, 0, v16, vcc_lo
.LBB908_161:
	s_wait_alu 0xfffe
	s_or_b32 exec_lo, exec_lo, s3
	s_wait_dscnt 0x3
	s_delay_alu instid0(VALU_DEP_1) | instskip(NEXT) | instid1(VALU_DEP_1)
	v_lshlrev_b64_e32 v[5:6], 2, v[5:6]
	v_add_co_u32 v5, vcc_lo, s10, v5
	s_wait_alu 0xfffd
	s_delay_alu instid0(VALU_DEP_2) | instskip(SKIP_3) | instid1(SALU_CYCLE_1)
	v_add_co_ci_u32_e64 v6, null, s11, v6, vcc_lo
	s_wait_dscnt 0x2
	global_store_b32 v[5:6], v3, off
	s_or_b32 exec_lo, exec_lo, s1
	s_mov_b32 s1, exec_lo
	v_cmpx_gt_u32_e64 s22, v36
	s_cbranch_execnz .LBB908_193
.LBB908_162:
	s_wait_alu 0xfffe
	s_or_b32 exec_lo, exec_lo, s1
	s_delay_alu instid0(SALU_CYCLE_1)
	s_mov_b32 s1, exec_lo
	v_cmpx_gt_u32_e64 s22, v35
	s_cbranch_execz .LBB908_198
.LBB908_163:
	s_mov_b32 s3, exec_lo
                                        ; implicit-def: $vgpr3_vgpr4
	v_cmpx_ge_u32_e64 v35, v19
	s_wait_alu 0xfffe
	s_xor_b32 s3, exec_lo, s3
	s_cbranch_execz .LBB908_165
; %bb.164:
	s_wait_dscnt 0x2
	v_xor_b32_e32 v3, 0xfffff5ff, v0
                                        ; implicit-def: $vgpr35
	s_delay_alu instid0(VALU_DEP_1) | instskip(SKIP_2) | instid1(VALU_DEP_2)
	v_ashrrev_i32_e32 v4, 31, v3
	v_add_co_u32 v3, vcc_lo, v17, v3
	s_wait_alu 0xfffd
	v_add_co_ci_u32_e64 v4, null, v18, v4, vcc_lo
.LBB908_165:
	s_wait_alu 0xfffe
	s_and_not1_saveexec_b32 s3, s3
	s_cbranch_execz .LBB908_167
; %bb.166:
	s_wait_dscnt 0x2
	v_add_co_u32 v3, vcc_lo, v15, v35
	s_wait_alu 0xfffd
	v_add_co_ci_u32_e64 v4, null, 0, v16, vcc_lo
.LBB908_167:
	s_wait_alu 0xfffe
	s_or_b32 exec_lo, exec_lo, s3
	s_wait_dscnt 0x2
	s_delay_alu instid0(VALU_DEP_1) | instskip(NEXT) | instid1(VALU_DEP_1)
	v_lshlrev_b64_e32 v[3:4], 2, v[3:4]
	v_add_co_u32 v3, vcc_lo, s10, v3
	s_wait_alu 0xfffd
	s_delay_alu instid0(VALU_DEP_2) | instskip(SKIP_3) | instid1(SALU_CYCLE_1)
	v_add_co_ci_u32_e64 v4, null, s11, v4, vcc_lo
	s_wait_dscnt 0x1
	global_store_b32 v[3:4], v1, off
	s_or_b32 exec_lo, exec_lo, s1
	s_mov_b32 s1, exec_lo
	v_cmpx_gt_u32_e64 s22, v34
	s_cbranch_execz .LBB908_204
	s_branch .LBB908_199
.LBB908_168:
	s_wait_alu 0xfffe
	s_or_b32 exec_lo, exec_lo, s1
	s_delay_alu instid0(SALU_CYCLE_1)
	s_mov_b32 s1, exec_lo
	v_cmpx_gt_u32_e64 s22, v44
	s_cbranch_execz .LBB908_138
.LBB908_169:
	s_mov_b32 s3, exec_lo
                                        ; implicit-def: $vgpr13_vgpr14
	v_cmpx_ge_u32_e64 v44, v19
	s_wait_alu 0xfffe
	s_xor_b32 s3, exec_lo, s3
	s_cbranch_execz .LBB908_171
; %bb.170:
	s_wait_dscnt 0x6
	v_xor_b32_e32 v11, 0xfffffeff, v0
                                        ; implicit-def: $vgpr44
	s_delay_alu instid0(VALU_DEP_1) | instskip(SKIP_2) | instid1(VALU_DEP_2)
	v_ashrrev_i32_e32 v14, 31, v11
	v_add_co_u32 v13, vcc_lo, v17, v11
	s_wait_alu 0xfffd
	v_add_co_ci_u32_e64 v14, null, v18, v14, vcc_lo
.LBB908_171:
	s_wait_alu 0xfffe
	s_and_not1_saveexec_b32 s3, s3
; %bb.172:
	v_add_co_u32 v13, vcc_lo, v15, v44
	s_wait_alu 0xfffd
	v_add_co_ci_u32_e64 v14, null, 0, v16, vcc_lo
; %bb.173:
	s_wait_alu 0xfffe
	s_or_b32 exec_lo, exec_lo, s3
	s_delay_alu instid0(VALU_DEP_1) | instskip(NEXT) | instid1(VALU_DEP_1)
	v_lshlrev_b64_e32 v[13:14], 2, v[13:14]
	v_add_co_u32 v13, vcc_lo, s10, v13
	s_wait_alu 0xfffd
	s_delay_alu instid0(VALU_DEP_2) | instskip(SKIP_3) | instid1(SALU_CYCLE_1)
	v_add_co_ci_u32_e64 v14, null, s11, v14, vcc_lo
	s_wait_dscnt 0x6
	global_store_b32 v[13:14], v12, off
	s_or_b32 exec_lo, exec_lo, s1
	s_mov_b32 s1, exec_lo
	v_cmpx_gt_u32_e64 s22, v43
	s_cbranch_execnz .LBB908_139
.LBB908_174:
	s_wait_alu 0xfffe
	s_or_b32 exec_lo, exec_lo, s1
	s_delay_alu instid0(SALU_CYCLE_1)
	s_mov_b32 s1, exec_lo
	v_cmpx_gt_u32_e64 s22, v42
	s_cbranch_execz .LBB908_144
.LBB908_175:
	s_mov_b32 s3, exec_lo
                                        ; implicit-def: $vgpr11_vgpr12
	v_cmpx_ge_u32_e64 v42, v19
	s_wait_alu 0xfffe
	s_xor_b32 s3, exec_lo, s3
	s_cbranch_execz .LBB908_177
; %bb.176:
	s_wait_dscnt 0x5
	v_xor_b32_e32 v9, 0xfffffcff, v0
                                        ; implicit-def: $vgpr42
	s_delay_alu instid0(VALU_DEP_1) | instskip(SKIP_2) | instid1(VALU_DEP_2)
	v_ashrrev_i32_e32 v12, 31, v9
	v_add_co_u32 v11, vcc_lo, v17, v9
	s_wait_alu 0xfffd
	v_add_co_ci_u32_e64 v12, null, v18, v12, vcc_lo
.LBB908_177:
	s_wait_alu 0xfffe
	s_and_not1_saveexec_b32 s3, s3
	s_cbranch_execz .LBB908_179
; %bb.178:
	s_wait_dscnt 0x6
	v_add_co_u32 v11, vcc_lo, v15, v42
	s_wait_alu 0xfffd
	v_add_co_ci_u32_e64 v12, null, 0, v16, vcc_lo
.LBB908_179:
	s_wait_alu 0xfffe
	s_or_b32 exec_lo, exec_lo, s3
	s_wait_dscnt 0x6
	s_delay_alu instid0(VALU_DEP_1) | instskip(NEXT) | instid1(VALU_DEP_1)
	v_lshlrev_b64_e32 v[11:12], 2, v[11:12]
	v_add_co_u32 v11, vcc_lo, s10, v11
	s_wait_alu 0xfffd
	s_delay_alu instid0(VALU_DEP_2) | instskip(SKIP_3) | instid1(SALU_CYCLE_1)
	v_add_co_ci_u32_e64 v12, null, s11, v12, vcc_lo
	s_wait_dscnt 0x5
	global_store_b32 v[11:12], v10, off
	s_or_b32 exec_lo, exec_lo, s1
	s_mov_b32 s1, exec_lo
	v_cmpx_gt_u32_e64 s22, v41
	s_cbranch_execnz .LBB908_145
.LBB908_180:
	s_wait_alu 0xfffe
	s_or_b32 exec_lo, exec_lo, s1
	s_delay_alu instid0(SALU_CYCLE_1)
	s_mov_b32 s1, exec_lo
	v_cmpx_gt_u32_e64 s22, v40
	s_cbranch_execz .LBB908_150
.LBB908_181:
	s_mov_b32 s3, exec_lo
                                        ; implicit-def: $vgpr9_vgpr10
	v_cmpx_ge_u32_e64 v40, v19
	s_wait_alu 0xfffe
	s_xor_b32 s3, exec_lo, s3
	s_cbranch_execz .LBB908_183
; %bb.182:
	s_wait_dscnt 0x4
	v_xor_b32_e32 v7, 0xfffffaff, v0
                                        ; implicit-def: $vgpr40
	s_delay_alu instid0(VALU_DEP_1) | instskip(SKIP_2) | instid1(VALU_DEP_2)
	v_ashrrev_i32_e32 v10, 31, v7
	v_add_co_u32 v9, vcc_lo, v17, v7
	s_wait_alu 0xfffd
	v_add_co_ci_u32_e64 v10, null, v18, v10, vcc_lo
.LBB908_183:
	s_wait_alu 0xfffe
	s_and_not1_saveexec_b32 s3, s3
	s_cbranch_execz .LBB908_185
; %bb.184:
	s_wait_dscnt 0x5
	v_add_co_u32 v9, vcc_lo, v15, v40
	s_wait_alu 0xfffd
	v_add_co_ci_u32_e64 v10, null, 0, v16, vcc_lo
.LBB908_185:
	s_wait_alu 0xfffe
	s_or_b32 exec_lo, exec_lo, s3
	s_wait_dscnt 0x5
	s_delay_alu instid0(VALU_DEP_1) | instskip(NEXT) | instid1(VALU_DEP_1)
	v_lshlrev_b64_e32 v[9:10], 2, v[9:10]
	v_add_co_u32 v9, vcc_lo, s10, v9
	s_wait_alu 0xfffd
	s_delay_alu instid0(VALU_DEP_2) | instskip(SKIP_3) | instid1(SALU_CYCLE_1)
	v_add_co_ci_u32_e64 v10, null, s11, v10, vcc_lo
	s_wait_dscnt 0x4
	global_store_b32 v[9:10], v8, off
	s_or_b32 exec_lo, exec_lo, s1
	s_mov_b32 s1, exec_lo
	v_cmpx_gt_u32_e64 s22, v39
	s_cbranch_execnz .LBB908_151
.LBB908_186:
	s_wait_alu 0xfffe
	s_or_b32 exec_lo, exec_lo, s1
	s_delay_alu instid0(SALU_CYCLE_1)
	s_mov_b32 s1, exec_lo
	v_cmpx_gt_u32_e64 s22, v38
	s_cbranch_execz .LBB908_156
.LBB908_187:
	s_mov_b32 s3, exec_lo
                                        ; implicit-def: $vgpr7_vgpr8
	v_cmpx_ge_u32_e64 v38, v19
	s_wait_alu 0xfffe
	s_xor_b32 s3, exec_lo, s3
	s_cbranch_execz .LBB908_189
; %bb.188:
	s_wait_dscnt 0x3
	v_xor_b32_e32 v5, 0xfffff8ff, v0
                                        ; implicit-def: $vgpr38
	s_delay_alu instid0(VALU_DEP_1) | instskip(SKIP_2) | instid1(VALU_DEP_2)
	v_ashrrev_i32_e32 v8, 31, v5
	v_add_co_u32 v7, vcc_lo, v17, v5
	s_wait_alu 0xfffd
	v_add_co_ci_u32_e64 v8, null, v18, v8, vcc_lo
.LBB908_189:
	s_wait_alu 0xfffe
	s_and_not1_saveexec_b32 s3, s3
	s_cbranch_execz .LBB908_191
; %bb.190:
	s_wait_dscnt 0x4
	v_add_co_u32 v7, vcc_lo, v15, v38
	s_wait_alu 0xfffd
	v_add_co_ci_u32_e64 v8, null, 0, v16, vcc_lo
.LBB908_191:
	s_wait_alu 0xfffe
	s_or_b32 exec_lo, exec_lo, s3
	s_wait_dscnt 0x4
	s_delay_alu instid0(VALU_DEP_1) | instskip(NEXT) | instid1(VALU_DEP_1)
	v_lshlrev_b64_e32 v[7:8], 2, v[7:8]
	v_add_co_u32 v7, vcc_lo, s10, v7
	s_wait_alu 0xfffd
	s_delay_alu instid0(VALU_DEP_2) | instskip(SKIP_3) | instid1(SALU_CYCLE_1)
	v_add_co_ci_u32_e64 v8, null, s11, v8, vcc_lo
	s_wait_dscnt 0x3
	global_store_b32 v[7:8], v6, off
	s_or_b32 exec_lo, exec_lo, s1
	s_mov_b32 s1, exec_lo
	v_cmpx_gt_u32_e64 s22, v37
	s_cbranch_execnz .LBB908_157
.LBB908_192:
	s_wait_alu 0xfffe
	s_or_b32 exec_lo, exec_lo, s1
	s_delay_alu instid0(SALU_CYCLE_1)
	s_mov_b32 s1, exec_lo
	v_cmpx_gt_u32_e64 s22, v36
	s_cbranch_execz .LBB908_162
.LBB908_193:
	s_mov_b32 s3, exec_lo
                                        ; implicit-def: $vgpr5_vgpr6
	v_cmpx_ge_u32_e64 v36, v19
	s_wait_alu 0xfffe
	s_xor_b32 s3, exec_lo, s3
	s_cbranch_execz .LBB908_195
; %bb.194:
	s_wait_dscnt 0x2
	v_xor_b32_e32 v3, 0xfffff6ff, v0
                                        ; implicit-def: $vgpr36
	s_delay_alu instid0(VALU_DEP_1) | instskip(SKIP_2) | instid1(VALU_DEP_2)
	v_ashrrev_i32_e32 v6, 31, v3
	v_add_co_u32 v5, vcc_lo, v17, v3
	s_wait_alu 0xfffd
	v_add_co_ci_u32_e64 v6, null, v18, v6, vcc_lo
.LBB908_195:
	s_wait_alu 0xfffe
	s_and_not1_saveexec_b32 s3, s3
	s_cbranch_execz .LBB908_197
; %bb.196:
	s_wait_dscnt 0x3
	v_add_co_u32 v5, vcc_lo, v15, v36
	s_wait_alu 0xfffd
	v_add_co_ci_u32_e64 v6, null, 0, v16, vcc_lo
.LBB908_197:
	s_wait_alu 0xfffe
	s_or_b32 exec_lo, exec_lo, s3
	s_wait_dscnt 0x3
	s_delay_alu instid0(VALU_DEP_1) | instskip(NEXT) | instid1(VALU_DEP_1)
	v_lshlrev_b64_e32 v[5:6], 2, v[5:6]
	v_add_co_u32 v5, vcc_lo, s10, v5
	s_wait_alu 0xfffd
	s_delay_alu instid0(VALU_DEP_2) | instskip(SKIP_3) | instid1(SALU_CYCLE_1)
	v_add_co_ci_u32_e64 v6, null, s11, v6, vcc_lo
	s_wait_dscnt 0x2
	global_store_b32 v[5:6], v4, off
	s_or_b32 exec_lo, exec_lo, s1
	s_mov_b32 s1, exec_lo
	v_cmpx_gt_u32_e64 s22, v35
	s_cbranch_execnz .LBB908_163
.LBB908_198:
	s_wait_alu 0xfffe
	s_or_b32 exec_lo, exec_lo, s1
	s_delay_alu instid0(SALU_CYCLE_1)
	s_mov_b32 s1, exec_lo
	v_cmpx_gt_u32_e64 s22, v34
	s_cbranch_execz .LBB908_204
.LBB908_199:
	s_mov_b32 s3, exec_lo
                                        ; implicit-def: $vgpr3_vgpr4
	v_cmpx_ge_u32_e64 v34, v19
	s_wait_alu 0xfffe
	s_xor_b32 s3, exec_lo, s3
	s_cbranch_execz .LBB908_201
; %bb.200:
	s_wait_dscnt 0x1
	v_xor_b32_e32 v1, 0xfffff4ff, v0
                                        ; implicit-def: $vgpr34
	s_delay_alu instid0(VALU_DEP_1) | instskip(SKIP_2) | instid1(VALU_DEP_2)
	v_ashrrev_i32_e32 v4, 31, v1
	v_add_co_u32 v3, vcc_lo, v17, v1
	s_wait_alu 0xfffd
	v_add_co_ci_u32_e64 v4, null, v18, v4, vcc_lo
.LBB908_201:
	s_wait_alu 0xfffe
	s_and_not1_saveexec_b32 s3, s3
	s_cbranch_execz .LBB908_203
; %bb.202:
	s_wait_dscnt 0x2
	v_add_co_u32 v3, vcc_lo, v15, v34
	s_wait_alu 0xfffd
	v_add_co_ci_u32_e64 v4, null, 0, v16, vcc_lo
.LBB908_203:
	s_wait_alu 0xfffe
	s_or_b32 exec_lo, exec_lo, s3
	s_wait_dscnt 0x2
	s_delay_alu instid0(VALU_DEP_1) | instskip(NEXT) | instid1(VALU_DEP_1)
	v_lshlrev_b64_e32 v[3:4], 2, v[3:4]
	v_add_co_u32 v3, vcc_lo, s10, v3
	s_wait_alu 0xfffd
	s_delay_alu instid0(VALU_DEP_2)
	v_add_co_ci_u32_e64 v4, null, s11, v4, vcc_lo
	s_wait_dscnt 0x1
	global_store_b32 v[3:4], v2, off
.LBB908_204:
	s_wait_alu 0xfffe
	s_or_b32 exec_lo, exec_lo, s1
	s_delay_alu instid0(SALU_CYCLE_1)
	s_mov_b32 s1, exec_lo
                                        ; implicit-def: $vgpr13_vgpr14
	v_cmpx_gt_u32_e64 s22, v33
	s_cbranch_execz .LBB908_210
; %bb.205:
	s_mov_b32 s3, exec_lo
                                        ; implicit-def: $vgpr13_vgpr14
	v_cmpx_ge_u32_e64 v33, v19
	s_wait_alu 0xfffe
	s_xor_b32 s3, exec_lo, s3
	s_cbranch_execz .LBB908_207
; %bb.206:
	v_xor_b32_e32 v0, 0xfffff3ff, v0
                                        ; implicit-def: $vgpr33
	s_wait_dscnt 0x1
	s_delay_alu instid0(VALU_DEP_1) | instskip(SKIP_2) | instid1(VALU_DEP_2)
	v_ashrrev_i32_e32 v1, 31, v0
	v_add_co_u32 v13, vcc_lo, v17, v0
	s_wait_alu 0xfffd
	v_add_co_ci_u32_e64 v14, null, v18, v1, vcc_lo
.LBB908_207:
	s_wait_alu 0xfffe
	s_and_not1_saveexec_b32 s3, s3
; %bb.208:
	v_add_co_u32 v13, vcc_lo, v15, v33
	s_wait_alu 0xfffd
	v_add_co_ci_u32_e64 v14, null, 0, v16, vcc_lo
; %bb.209:
	s_wait_alu 0xfffe
	s_or_b32 exec_lo, exec_lo, s3
	s_delay_alu instid0(SALU_CYCLE_1)
	s_or_b32 s0, s0, exec_lo
.LBB908_210:
	s_wait_alu 0xfffe
	s_or_b32 exec_lo, exec_lo, s1
	s_and_saveexec_b32 s1, s0
	s_cbranch_execnz .LBB908_129
.LBB908_211:
	s_wait_alu 0xfffe
	s_or_b32 exec_lo, exec_lo, s1
	s_and_b32 s0, s2, s9
	s_wait_alu 0xfffe
	s_and_saveexec_b32 s1, s0
	s_cbranch_execz .LBB908_130
.LBB908_212:
	v_add_co_u32 v0, vcc_lo, v15, v19
	s_wait_dscnt 0x1
	v_mov_b32_e32 v2, 0
	s_wait_alu 0xfffd
	v_add_co_ci_u32_e64 v1, null, 0, v16, vcc_lo
	global_store_b64 v2, v[0:1], s[12:13]
	s_endpgm
	.section	.rodata,"a",@progbits
	.p2align	6, 0x0
	.amdhsa_kernel _ZN7rocprim17ROCPRIM_400000_NS6detail17trampoline_kernelINS0_13select_configILj256ELj13ELNS0_17block_load_methodE3ELS4_3ELS4_3ELNS0_20block_scan_algorithmE0ELj4294967295EEENS1_25partition_config_selectorILNS1_17partition_subalgoE3EjNS0_10empty_typeEbEEZZNS1_14partition_implILS8_3ELb0ES6_jNS0_17counting_iteratorIjlEEPS9_SE_NS0_5tupleIJPjSE_EEENSF_IJSE_SE_EEES9_SG_JZNS1_25segmented_radix_sort_implINS0_14default_configELb1EPKsPsPKlPlN2at6native12_GLOBAL__N_18offset_tEEE10hipError_tPvRmT1_PNSt15iterator_traitsISY_E10value_typeET2_T3_PNSZ_IS14_E10value_typeET4_jRbjT5_S1A_jjP12ihipStream_tbEUljE_EEESV_SW_SX_S14_S18_S1A_T6_T7_T9_mT8_S1C_bDpT10_ENKUlT_T0_E_clISt17integral_constantIbLb0EES1O_IbLb1EEEEDaS1K_S1L_EUlS1K_E_NS1_11comp_targetILNS1_3genE10ELNS1_11target_archE1200ELNS1_3gpuE4ELNS1_3repE0EEENS1_30default_config_static_selectorELNS0_4arch9wavefront6targetE0EEEvSY_
		.amdhsa_group_segment_fixed_size 13320
		.amdhsa_private_segment_fixed_size 0
		.amdhsa_kernarg_size 152
		.amdhsa_user_sgpr_count 2
		.amdhsa_user_sgpr_dispatch_ptr 0
		.amdhsa_user_sgpr_queue_ptr 0
		.amdhsa_user_sgpr_kernarg_segment_ptr 1
		.amdhsa_user_sgpr_dispatch_id 0
		.amdhsa_user_sgpr_private_segment_size 0
		.amdhsa_wavefront_size32 1
		.amdhsa_uses_dynamic_stack 0
		.amdhsa_enable_private_segment 0
		.amdhsa_system_sgpr_workgroup_id_x 1
		.amdhsa_system_sgpr_workgroup_id_y 0
		.amdhsa_system_sgpr_workgroup_id_z 0
		.amdhsa_system_sgpr_workgroup_info 0
		.amdhsa_system_vgpr_workitem_id 0
		.amdhsa_next_free_vgpr 71
		.amdhsa_next_free_sgpr 26
		.amdhsa_reserve_vcc 1
		.amdhsa_float_round_mode_32 0
		.amdhsa_float_round_mode_16_64 0
		.amdhsa_float_denorm_mode_32 3
		.amdhsa_float_denorm_mode_16_64 3
		.amdhsa_fp16_overflow 0
		.amdhsa_workgroup_processor_mode 1
		.amdhsa_memory_ordered 1
		.amdhsa_forward_progress 1
		.amdhsa_inst_pref_size 86
		.amdhsa_round_robin_scheduling 0
		.amdhsa_exception_fp_ieee_invalid_op 0
		.amdhsa_exception_fp_denorm_src 0
		.amdhsa_exception_fp_ieee_div_zero 0
		.amdhsa_exception_fp_ieee_overflow 0
		.amdhsa_exception_fp_ieee_underflow 0
		.amdhsa_exception_fp_ieee_inexact 0
		.amdhsa_exception_int_div_zero 0
	.end_amdhsa_kernel
	.section	.text._ZN7rocprim17ROCPRIM_400000_NS6detail17trampoline_kernelINS0_13select_configILj256ELj13ELNS0_17block_load_methodE3ELS4_3ELS4_3ELNS0_20block_scan_algorithmE0ELj4294967295EEENS1_25partition_config_selectorILNS1_17partition_subalgoE3EjNS0_10empty_typeEbEEZZNS1_14partition_implILS8_3ELb0ES6_jNS0_17counting_iteratorIjlEEPS9_SE_NS0_5tupleIJPjSE_EEENSF_IJSE_SE_EEES9_SG_JZNS1_25segmented_radix_sort_implINS0_14default_configELb1EPKsPsPKlPlN2at6native12_GLOBAL__N_18offset_tEEE10hipError_tPvRmT1_PNSt15iterator_traitsISY_E10value_typeET2_T3_PNSZ_IS14_E10value_typeET4_jRbjT5_S1A_jjP12ihipStream_tbEUljE_EEESV_SW_SX_S14_S18_S1A_T6_T7_T9_mT8_S1C_bDpT10_ENKUlT_T0_E_clISt17integral_constantIbLb0EES1O_IbLb1EEEEDaS1K_S1L_EUlS1K_E_NS1_11comp_targetILNS1_3genE10ELNS1_11target_archE1200ELNS1_3gpuE4ELNS1_3repE0EEENS1_30default_config_static_selectorELNS0_4arch9wavefront6targetE0EEEvSY_,"axG",@progbits,_ZN7rocprim17ROCPRIM_400000_NS6detail17trampoline_kernelINS0_13select_configILj256ELj13ELNS0_17block_load_methodE3ELS4_3ELS4_3ELNS0_20block_scan_algorithmE0ELj4294967295EEENS1_25partition_config_selectorILNS1_17partition_subalgoE3EjNS0_10empty_typeEbEEZZNS1_14partition_implILS8_3ELb0ES6_jNS0_17counting_iteratorIjlEEPS9_SE_NS0_5tupleIJPjSE_EEENSF_IJSE_SE_EEES9_SG_JZNS1_25segmented_radix_sort_implINS0_14default_configELb1EPKsPsPKlPlN2at6native12_GLOBAL__N_18offset_tEEE10hipError_tPvRmT1_PNSt15iterator_traitsISY_E10value_typeET2_T3_PNSZ_IS14_E10value_typeET4_jRbjT5_S1A_jjP12ihipStream_tbEUljE_EEESV_SW_SX_S14_S18_S1A_T6_T7_T9_mT8_S1C_bDpT10_ENKUlT_T0_E_clISt17integral_constantIbLb0EES1O_IbLb1EEEEDaS1K_S1L_EUlS1K_E_NS1_11comp_targetILNS1_3genE10ELNS1_11target_archE1200ELNS1_3gpuE4ELNS1_3repE0EEENS1_30default_config_static_selectorELNS0_4arch9wavefront6targetE0EEEvSY_,comdat
.Lfunc_end908:
	.size	_ZN7rocprim17ROCPRIM_400000_NS6detail17trampoline_kernelINS0_13select_configILj256ELj13ELNS0_17block_load_methodE3ELS4_3ELS4_3ELNS0_20block_scan_algorithmE0ELj4294967295EEENS1_25partition_config_selectorILNS1_17partition_subalgoE3EjNS0_10empty_typeEbEEZZNS1_14partition_implILS8_3ELb0ES6_jNS0_17counting_iteratorIjlEEPS9_SE_NS0_5tupleIJPjSE_EEENSF_IJSE_SE_EEES9_SG_JZNS1_25segmented_radix_sort_implINS0_14default_configELb1EPKsPsPKlPlN2at6native12_GLOBAL__N_18offset_tEEE10hipError_tPvRmT1_PNSt15iterator_traitsISY_E10value_typeET2_T3_PNSZ_IS14_E10value_typeET4_jRbjT5_S1A_jjP12ihipStream_tbEUljE_EEESV_SW_SX_S14_S18_S1A_T6_T7_T9_mT8_S1C_bDpT10_ENKUlT_T0_E_clISt17integral_constantIbLb0EES1O_IbLb1EEEEDaS1K_S1L_EUlS1K_E_NS1_11comp_targetILNS1_3genE10ELNS1_11target_archE1200ELNS1_3gpuE4ELNS1_3repE0EEENS1_30default_config_static_selectorELNS0_4arch9wavefront6targetE0EEEvSY_, .Lfunc_end908-_ZN7rocprim17ROCPRIM_400000_NS6detail17trampoline_kernelINS0_13select_configILj256ELj13ELNS0_17block_load_methodE3ELS4_3ELS4_3ELNS0_20block_scan_algorithmE0ELj4294967295EEENS1_25partition_config_selectorILNS1_17partition_subalgoE3EjNS0_10empty_typeEbEEZZNS1_14partition_implILS8_3ELb0ES6_jNS0_17counting_iteratorIjlEEPS9_SE_NS0_5tupleIJPjSE_EEENSF_IJSE_SE_EEES9_SG_JZNS1_25segmented_radix_sort_implINS0_14default_configELb1EPKsPsPKlPlN2at6native12_GLOBAL__N_18offset_tEEE10hipError_tPvRmT1_PNSt15iterator_traitsISY_E10value_typeET2_T3_PNSZ_IS14_E10value_typeET4_jRbjT5_S1A_jjP12ihipStream_tbEUljE_EEESV_SW_SX_S14_S18_S1A_T6_T7_T9_mT8_S1C_bDpT10_ENKUlT_T0_E_clISt17integral_constantIbLb0EES1O_IbLb1EEEEDaS1K_S1L_EUlS1K_E_NS1_11comp_targetILNS1_3genE10ELNS1_11target_archE1200ELNS1_3gpuE4ELNS1_3repE0EEENS1_30default_config_static_selectorELNS0_4arch9wavefront6targetE0EEEvSY_
                                        ; -- End function
	.set _ZN7rocprim17ROCPRIM_400000_NS6detail17trampoline_kernelINS0_13select_configILj256ELj13ELNS0_17block_load_methodE3ELS4_3ELS4_3ELNS0_20block_scan_algorithmE0ELj4294967295EEENS1_25partition_config_selectorILNS1_17partition_subalgoE3EjNS0_10empty_typeEbEEZZNS1_14partition_implILS8_3ELb0ES6_jNS0_17counting_iteratorIjlEEPS9_SE_NS0_5tupleIJPjSE_EEENSF_IJSE_SE_EEES9_SG_JZNS1_25segmented_radix_sort_implINS0_14default_configELb1EPKsPsPKlPlN2at6native12_GLOBAL__N_18offset_tEEE10hipError_tPvRmT1_PNSt15iterator_traitsISY_E10value_typeET2_T3_PNSZ_IS14_E10value_typeET4_jRbjT5_S1A_jjP12ihipStream_tbEUljE_EEESV_SW_SX_S14_S18_S1A_T6_T7_T9_mT8_S1C_bDpT10_ENKUlT_T0_E_clISt17integral_constantIbLb0EES1O_IbLb1EEEEDaS1K_S1L_EUlS1K_E_NS1_11comp_targetILNS1_3genE10ELNS1_11target_archE1200ELNS1_3gpuE4ELNS1_3repE0EEENS1_30default_config_static_selectorELNS0_4arch9wavefront6targetE0EEEvSY_.num_vgpr, 71
	.set _ZN7rocprim17ROCPRIM_400000_NS6detail17trampoline_kernelINS0_13select_configILj256ELj13ELNS0_17block_load_methodE3ELS4_3ELS4_3ELNS0_20block_scan_algorithmE0ELj4294967295EEENS1_25partition_config_selectorILNS1_17partition_subalgoE3EjNS0_10empty_typeEbEEZZNS1_14partition_implILS8_3ELb0ES6_jNS0_17counting_iteratorIjlEEPS9_SE_NS0_5tupleIJPjSE_EEENSF_IJSE_SE_EEES9_SG_JZNS1_25segmented_radix_sort_implINS0_14default_configELb1EPKsPsPKlPlN2at6native12_GLOBAL__N_18offset_tEEE10hipError_tPvRmT1_PNSt15iterator_traitsISY_E10value_typeET2_T3_PNSZ_IS14_E10value_typeET4_jRbjT5_S1A_jjP12ihipStream_tbEUljE_EEESV_SW_SX_S14_S18_S1A_T6_T7_T9_mT8_S1C_bDpT10_ENKUlT_T0_E_clISt17integral_constantIbLb0EES1O_IbLb1EEEEDaS1K_S1L_EUlS1K_E_NS1_11comp_targetILNS1_3genE10ELNS1_11target_archE1200ELNS1_3gpuE4ELNS1_3repE0EEENS1_30default_config_static_selectorELNS0_4arch9wavefront6targetE0EEEvSY_.num_agpr, 0
	.set _ZN7rocprim17ROCPRIM_400000_NS6detail17trampoline_kernelINS0_13select_configILj256ELj13ELNS0_17block_load_methodE3ELS4_3ELS4_3ELNS0_20block_scan_algorithmE0ELj4294967295EEENS1_25partition_config_selectorILNS1_17partition_subalgoE3EjNS0_10empty_typeEbEEZZNS1_14partition_implILS8_3ELb0ES6_jNS0_17counting_iteratorIjlEEPS9_SE_NS0_5tupleIJPjSE_EEENSF_IJSE_SE_EEES9_SG_JZNS1_25segmented_radix_sort_implINS0_14default_configELb1EPKsPsPKlPlN2at6native12_GLOBAL__N_18offset_tEEE10hipError_tPvRmT1_PNSt15iterator_traitsISY_E10value_typeET2_T3_PNSZ_IS14_E10value_typeET4_jRbjT5_S1A_jjP12ihipStream_tbEUljE_EEESV_SW_SX_S14_S18_S1A_T6_T7_T9_mT8_S1C_bDpT10_ENKUlT_T0_E_clISt17integral_constantIbLb0EES1O_IbLb1EEEEDaS1K_S1L_EUlS1K_E_NS1_11comp_targetILNS1_3genE10ELNS1_11target_archE1200ELNS1_3gpuE4ELNS1_3repE0EEENS1_30default_config_static_selectorELNS0_4arch9wavefront6targetE0EEEvSY_.numbered_sgpr, 26
	.set _ZN7rocprim17ROCPRIM_400000_NS6detail17trampoline_kernelINS0_13select_configILj256ELj13ELNS0_17block_load_methodE3ELS4_3ELS4_3ELNS0_20block_scan_algorithmE0ELj4294967295EEENS1_25partition_config_selectorILNS1_17partition_subalgoE3EjNS0_10empty_typeEbEEZZNS1_14partition_implILS8_3ELb0ES6_jNS0_17counting_iteratorIjlEEPS9_SE_NS0_5tupleIJPjSE_EEENSF_IJSE_SE_EEES9_SG_JZNS1_25segmented_radix_sort_implINS0_14default_configELb1EPKsPsPKlPlN2at6native12_GLOBAL__N_18offset_tEEE10hipError_tPvRmT1_PNSt15iterator_traitsISY_E10value_typeET2_T3_PNSZ_IS14_E10value_typeET4_jRbjT5_S1A_jjP12ihipStream_tbEUljE_EEESV_SW_SX_S14_S18_S1A_T6_T7_T9_mT8_S1C_bDpT10_ENKUlT_T0_E_clISt17integral_constantIbLb0EES1O_IbLb1EEEEDaS1K_S1L_EUlS1K_E_NS1_11comp_targetILNS1_3genE10ELNS1_11target_archE1200ELNS1_3gpuE4ELNS1_3repE0EEENS1_30default_config_static_selectorELNS0_4arch9wavefront6targetE0EEEvSY_.num_named_barrier, 0
	.set _ZN7rocprim17ROCPRIM_400000_NS6detail17trampoline_kernelINS0_13select_configILj256ELj13ELNS0_17block_load_methodE3ELS4_3ELS4_3ELNS0_20block_scan_algorithmE0ELj4294967295EEENS1_25partition_config_selectorILNS1_17partition_subalgoE3EjNS0_10empty_typeEbEEZZNS1_14partition_implILS8_3ELb0ES6_jNS0_17counting_iteratorIjlEEPS9_SE_NS0_5tupleIJPjSE_EEENSF_IJSE_SE_EEES9_SG_JZNS1_25segmented_radix_sort_implINS0_14default_configELb1EPKsPsPKlPlN2at6native12_GLOBAL__N_18offset_tEEE10hipError_tPvRmT1_PNSt15iterator_traitsISY_E10value_typeET2_T3_PNSZ_IS14_E10value_typeET4_jRbjT5_S1A_jjP12ihipStream_tbEUljE_EEESV_SW_SX_S14_S18_S1A_T6_T7_T9_mT8_S1C_bDpT10_ENKUlT_T0_E_clISt17integral_constantIbLb0EES1O_IbLb1EEEEDaS1K_S1L_EUlS1K_E_NS1_11comp_targetILNS1_3genE10ELNS1_11target_archE1200ELNS1_3gpuE4ELNS1_3repE0EEENS1_30default_config_static_selectorELNS0_4arch9wavefront6targetE0EEEvSY_.private_seg_size, 0
	.set _ZN7rocprim17ROCPRIM_400000_NS6detail17trampoline_kernelINS0_13select_configILj256ELj13ELNS0_17block_load_methodE3ELS4_3ELS4_3ELNS0_20block_scan_algorithmE0ELj4294967295EEENS1_25partition_config_selectorILNS1_17partition_subalgoE3EjNS0_10empty_typeEbEEZZNS1_14partition_implILS8_3ELb0ES6_jNS0_17counting_iteratorIjlEEPS9_SE_NS0_5tupleIJPjSE_EEENSF_IJSE_SE_EEES9_SG_JZNS1_25segmented_radix_sort_implINS0_14default_configELb1EPKsPsPKlPlN2at6native12_GLOBAL__N_18offset_tEEE10hipError_tPvRmT1_PNSt15iterator_traitsISY_E10value_typeET2_T3_PNSZ_IS14_E10value_typeET4_jRbjT5_S1A_jjP12ihipStream_tbEUljE_EEESV_SW_SX_S14_S18_S1A_T6_T7_T9_mT8_S1C_bDpT10_ENKUlT_T0_E_clISt17integral_constantIbLb0EES1O_IbLb1EEEEDaS1K_S1L_EUlS1K_E_NS1_11comp_targetILNS1_3genE10ELNS1_11target_archE1200ELNS1_3gpuE4ELNS1_3repE0EEENS1_30default_config_static_selectorELNS0_4arch9wavefront6targetE0EEEvSY_.uses_vcc, 1
	.set _ZN7rocprim17ROCPRIM_400000_NS6detail17trampoline_kernelINS0_13select_configILj256ELj13ELNS0_17block_load_methodE3ELS4_3ELS4_3ELNS0_20block_scan_algorithmE0ELj4294967295EEENS1_25partition_config_selectorILNS1_17partition_subalgoE3EjNS0_10empty_typeEbEEZZNS1_14partition_implILS8_3ELb0ES6_jNS0_17counting_iteratorIjlEEPS9_SE_NS0_5tupleIJPjSE_EEENSF_IJSE_SE_EEES9_SG_JZNS1_25segmented_radix_sort_implINS0_14default_configELb1EPKsPsPKlPlN2at6native12_GLOBAL__N_18offset_tEEE10hipError_tPvRmT1_PNSt15iterator_traitsISY_E10value_typeET2_T3_PNSZ_IS14_E10value_typeET4_jRbjT5_S1A_jjP12ihipStream_tbEUljE_EEESV_SW_SX_S14_S18_S1A_T6_T7_T9_mT8_S1C_bDpT10_ENKUlT_T0_E_clISt17integral_constantIbLb0EES1O_IbLb1EEEEDaS1K_S1L_EUlS1K_E_NS1_11comp_targetILNS1_3genE10ELNS1_11target_archE1200ELNS1_3gpuE4ELNS1_3repE0EEENS1_30default_config_static_selectorELNS0_4arch9wavefront6targetE0EEEvSY_.uses_flat_scratch, 0
	.set _ZN7rocprim17ROCPRIM_400000_NS6detail17trampoline_kernelINS0_13select_configILj256ELj13ELNS0_17block_load_methodE3ELS4_3ELS4_3ELNS0_20block_scan_algorithmE0ELj4294967295EEENS1_25partition_config_selectorILNS1_17partition_subalgoE3EjNS0_10empty_typeEbEEZZNS1_14partition_implILS8_3ELb0ES6_jNS0_17counting_iteratorIjlEEPS9_SE_NS0_5tupleIJPjSE_EEENSF_IJSE_SE_EEES9_SG_JZNS1_25segmented_radix_sort_implINS0_14default_configELb1EPKsPsPKlPlN2at6native12_GLOBAL__N_18offset_tEEE10hipError_tPvRmT1_PNSt15iterator_traitsISY_E10value_typeET2_T3_PNSZ_IS14_E10value_typeET4_jRbjT5_S1A_jjP12ihipStream_tbEUljE_EEESV_SW_SX_S14_S18_S1A_T6_T7_T9_mT8_S1C_bDpT10_ENKUlT_T0_E_clISt17integral_constantIbLb0EES1O_IbLb1EEEEDaS1K_S1L_EUlS1K_E_NS1_11comp_targetILNS1_3genE10ELNS1_11target_archE1200ELNS1_3gpuE4ELNS1_3repE0EEENS1_30default_config_static_selectorELNS0_4arch9wavefront6targetE0EEEvSY_.has_dyn_sized_stack, 0
	.set _ZN7rocprim17ROCPRIM_400000_NS6detail17trampoline_kernelINS0_13select_configILj256ELj13ELNS0_17block_load_methodE3ELS4_3ELS4_3ELNS0_20block_scan_algorithmE0ELj4294967295EEENS1_25partition_config_selectorILNS1_17partition_subalgoE3EjNS0_10empty_typeEbEEZZNS1_14partition_implILS8_3ELb0ES6_jNS0_17counting_iteratorIjlEEPS9_SE_NS0_5tupleIJPjSE_EEENSF_IJSE_SE_EEES9_SG_JZNS1_25segmented_radix_sort_implINS0_14default_configELb1EPKsPsPKlPlN2at6native12_GLOBAL__N_18offset_tEEE10hipError_tPvRmT1_PNSt15iterator_traitsISY_E10value_typeET2_T3_PNSZ_IS14_E10value_typeET4_jRbjT5_S1A_jjP12ihipStream_tbEUljE_EEESV_SW_SX_S14_S18_S1A_T6_T7_T9_mT8_S1C_bDpT10_ENKUlT_T0_E_clISt17integral_constantIbLb0EES1O_IbLb1EEEEDaS1K_S1L_EUlS1K_E_NS1_11comp_targetILNS1_3genE10ELNS1_11target_archE1200ELNS1_3gpuE4ELNS1_3repE0EEENS1_30default_config_static_selectorELNS0_4arch9wavefront6targetE0EEEvSY_.has_recursion, 0
	.set _ZN7rocprim17ROCPRIM_400000_NS6detail17trampoline_kernelINS0_13select_configILj256ELj13ELNS0_17block_load_methodE3ELS4_3ELS4_3ELNS0_20block_scan_algorithmE0ELj4294967295EEENS1_25partition_config_selectorILNS1_17partition_subalgoE3EjNS0_10empty_typeEbEEZZNS1_14partition_implILS8_3ELb0ES6_jNS0_17counting_iteratorIjlEEPS9_SE_NS0_5tupleIJPjSE_EEENSF_IJSE_SE_EEES9_SG_JZNS1_25segmented_radix_sort_implINS0_14default_configELb1EPKsPsPKlPlN2at6native12_GLOBAL__N_18offset_tEEE10hipError_tPvRmT1_PNSt15iterator_traitsISY_E10value_typeET2_T3_PNSZ_IS14_E10value_typeET4_jRbjT5_S1A_jjP12ihipStream_tbEUljE_EEESV_SW_SX_S14_S18_S1A_T6_T7_T9_mT8_S1C_bDpT10_ENKUlT_T0_E_clISt17integral_constantIbLb0EES1O_IbLb1EEEEDaS1K_S1L_EUlS1K_E_NS1_11comp_targetILNS1_3genE10ELNS1_11target_archE1200ELNS1_3gpuE4ELNS1_3repE0EEENS1_30default_config_static_selectorELNS0_4arch9wavefront6targetE0EEEvSY_.has_indirect_call, 0
	.section	.AMDGPU.csdata,"",@progbits
; Kernel info:
; codeLenInByte = 10900
; TotalNumSgprs: 28
; NumVgprs: 71
; ScratchSize: 0
; MemoryBound: 0
; FloatMode: 240
; IeeeMode: 1
; LDSByteSize: 13320 bytes/workgroup (compile time only)
; SGPRBlocks: 0
; VGPRBlocks: 8
; NumSGPRsForWavesPerEU: 28
; NumVGPRsForWavesPerEU: 71
; Occupancy: 16
; WaveLimiterHint : 0
; COMPUTE_PGM_RSRC2:SCRATCH_EN: 0
; COMPUTE_PGM_RSRC2:USER_SGPR: 2
; COMPUTE_PGM_RSRC2:TRAP_HANDLER: 0
; COMPUTE_PGM_RSRC2:TGID_X_EN: 1
; COMPUTE_PGM_RSRC2:TGID_Y_EN: 0
; COMPUTE_PGM_RSRC2:TGID_Z_EN: 0
; COMPUTE_PGM_RSRC2:TIDIG_COMP_CNT: 0
	.section	.text._ZN7rocprim17ROCPRIM_400000_NS6detail17trampoline_kernelINS0_13select_configILj256ELj13ELNS0_17block_load_methodE3ELS4_3ELS4_3ELNS0_20block_scan_algorithmE0ELj4294967295EEENS1_25partition_config_selectorILNS1_17partition_subalgoE3EjNS0_10empty_typeEbEEZZNS1_14partition_implILS8_3ELb0ES6_jNS0_17counting_iteratorIjlEEPS9_SE_NS0_5tupleIJPjSE_EEENSF_IJSE_SE_EEES9_SG_JZNS1_25segmented_radix_sort_implINS0_14default_configELb1EPKsPsPKlPlN2at6native12_GLOBAL__N_18offset_tEEE10hipError_tPvRmT1_PNSt15iterator_traitsISY_E10value_typeET2_T3_PNSZ_IS14_E10value_typeET4_jRbjT5_S1A_jjP12ihipStream_tbEUljE_EEESV_SW_SX_S14_S18_S1A_T6_T7_T9_mT8_S1C_bDpT10_ENKUlT_T0_E_clISt17integral_constantIbLb0EES1O_IbLb1EEEEDaS1K_S1L_EUlS1K_E_NS1_11comp_targetILNS1_3genE9ELNS1_11target_archE1100ELNS1_3gpuE3ELNS1_3repE0EEENS1_30default_config_static_selectorELNS0_4arch9wavefront6targetE0EEEvSY_,"axG",@progbits,_ZN7rocprim17ROCPRIM_400000_NS6detail17trampoline_kernelINS0_13select_configILj256ELj13ELNS0_17block_load_methodE3ELS4_3ELS4_3ELNS0_20block_scan_algorithmE0ELj4294967295EEENS1_25partition_config_selectorILNS1_17partition_subalgoE3EjNS0_10empty_typeEbEEZZNS1_14partition_implILS8_3ELb0ES6_jNS0_17counting_iteratorIjlEEPS9_SE_NS0_5tupleIJPjSE_EEENSF_IJSE_SE_EEES9_SG_JZNS1_25segmented_radix_sort_implINS0_14default_configELb1EPKsPsPKlPlN2at6native12_GLOBAL__N_18offset_tEEE10hipError_tPvRmT1_PNSt15iterator_traitsISY_E10value_typeET2_T3_PNSZ_IS14_E10value_typeET4_jRbjT5_S1A_jjP12ihipStream_tbEUljE_EEESV_SW_SX_S14_S18_S1A_T6_T7_T9_mT8_S1C_bDpT10_ENKUlT_T0_E_clISt17integral_constantIbLb0EES1O_IbLb1EEEEDaS1K_S1L_EUlS1K_E_NS1_11comp_targetILNS1_3genE9ELNS1_11target_archE1100ELNS1_3gpuE3ELNS1_3repE0EEENS1_30default_config_static_selectorELNS0_4arch9wavefront6targetE0EEEvSY_,comdat
	.globl	_ZN7rocprim17ROCPRIM_400000_NS6detail17trampoline_kernelINS0_13select_configILj256ELj13ELNS0_17block_load_methodE3ELS4_3ELS4_3ELNS0_20block_scan_algorithmE0ELj4294967295EEENS1_25partition_config_selectorILNS1_17partition_subalgoE3EjNS0_10empty_typeEbEEZZNS1_14partition_implILS8_3ELb0ES6_jNS0_17counting_iteratorIjlEEPS9_SE_NS0_5tupleIJPjSE_EEENSF_IJSE_SE_EEES9_SG_JZNS1_25segmented_radix_sort_implINS0_14default_configELb1EPKsPsPKlPlN2at6native12_GLOBAL__N_18offset_tEEE10hipError_tPvRmT1_PNSt15iterator_traitsISY_E10value_typeET2_T3_PNSZ_IS14_E10value_typeET4_jRbjT5_S1A_jjP12ihipStream_tbEUljE_EEESV_SW_SX_S14_S18_S1A_T6_T7_T9_mT8_S1C_bDpT10_ENKUlT_T0_E_clISt17integral_constantIbLb0EES1O_IbLb1EEEEDaS1K_S1L_EUlS1K_E_NS1_11comp_targetILNS1_3genE9ELNS1_11target_archE1100ELNS1_3gpuE3ELNS1_3repE0EEENS1_30default_config_static_selectorELNS0_4arch9wavefront6targetE0EEEvSY_ ; -- Begin function _ZN7rocprim17ROCPRIM_400000_NS6detail17trampoline_kernelINS0_13select_configILj256ELj13ELNS0_17block_load_methodE3ELS4_3ELS4_3ELNS0_20block_scan_algorithmE0ELj4294967295EEENS1_25partition_config_selectorILNS1_17partition_subalgoE3EjNS0_10empty_typeEbEEZZNS1_14partition_implILS8_3ELb0ES6_jNS0_17counting_iteratorIjlEEPS9_SE_NS0_5tupleIJPjSE_EEENSF_IJSE_SE_EEES9_SG_JZNS1_25segmented_radix_sort_implINS0_14default_configELb1EPKsPsPKlPlN2at6native12_GLOBAL__N_18offset_tEEE10hipError_tPvRmT1_PNSt15iterator_traitsISY_E10value_typeET2_T3_PNSZ_IS14_E10value_typeET4_jRbjT5_S1A_jjP12ihipStream_tbEUljE_EEESV_SW_SX_S14_S18_S1A_T6_T7_T9_mT8_S1C_bDpT10_ENKUlT_T0_E_clISt17integral_constantIbLb0EES1O_IbLb1EEEEDaS1K_S1L_EUlS1K_E_NS1_11comp_targetILNS1_3genE9ELNS1_11target_archE1100ELNS1_3gpuE3ELNS1_3repE0EEENS1_30default_config_static_selectorELNS0_4arch9wavefront6targetE0EEEvSY_
	.p2align	8
	.type	_ZN7rocprim17ROCPRIM_400000_NS6detail17trampoline_kernelINS0_13select_configILj256ELj13ELNS0_17block_load_methodE3ELS4_3ELS4_3ELNS0_20block_scan_algorithmE0ELj4294967295EEENS1_25partition_config_selectorILNS1_17partition_subalgoE3EjNS0_10empty_typeEbEEZZNS1_14partition_implILS8_3ELb0ES6_jNS0_17counting_iteratorIjlEEPS9_SE_NS0_5tupleIJPjSE_EEENSF_IJSE_SE_EEES9_SG_JZNS1_25segmented_radix_sort_implINS0_14default_configELb1EPKsPsPKlPlN2at6native12_GLOBAL__N_18offset_tEEE10hipError_tPvRmT1_PNSt15iterator_traitsISY_E10value_typeET2_T3_PNSZ_IS14_E10value_typeET4_jRbjT5_S1A_jjP12ihipStream_tbEUljE_EEESV_SW_SX_S14_S18_S1A_T6_T7_T9_mT8_S1C_bDpT10_ENKUlT_T0_E_clISt17integral_constantIbLb0EES1O_IbLb1EEEEDaS1K_S1L_EUlS1K_E_NS1_11comp_targetILNS1_3genE9ELNS1_11target_archE1100ELNS1_3gpuE3ELNS1_3repE0EEENS1_30default_config_static_selectorELNS0_4arch9wavefront6targetE0EEEvSY_,@function
_ZN7rocprim17ROCPRIM_400000_NS6detail17trampoline_kernelINS0_13select_configILj256ELj13ELNS0_17block_load_methodE3ELS4_3ELS4_3ELNS0_20block_scan_algorithmE0ELj4294967295EEENS1_25partition_config_selectorILNS1_17partition_subalgoE3EjNS0_10empty_typeEbEEZZNS1_14partition_implILS8_3ELb0ES6_jNS0_17counting_iteratorIjlEEPS9_SE_NS0_5tupleIJPjSE_EEENSF_IJSE_SE_EEES9_SG_JZNS1_25segmented_radix_sort_implINS0_14default_configELb1EPKsPsPKlPlN2at6native12_GLOBAL__N_18offset_tEEE10hipError_tPvRmT1_PNSt15iterator_traitsISY_E10value_typeET2_T3_PNSZ_IS14_E10value_typeET4_jRbjT5_S1A_jjP12ihipStream_tbEUljE_EEESV_SW_SX_S14_S18_S1A_T6_T7_T9_mT8_S1C_bDpT10_ENKUlT_T0_E_clISt17integral_constantIbLb0EES1O_IbLb1EEEEDaS1K_S1L_EUlS1K_E_NS1_11comp_targetILNS1_3genE9ELNS1_11target_archE1100ELNS1_3gpuE3ELNS1_3repE0EEENS1_30default_config_static_selectorELNS0_4arch9wavefront6targetE0EEEvSY_: ; @_ZN7rocprim17ROCPRIM_400000_NS6detail17trampoline_kernelINS0_13select_configILj256ELj13ELNS0_17block_load_methodE3ELS4_3ELS4_3ELNS0_20block_scan_algorithmE0ELj4294967295EEENS1_25partition_config_selectorILNS1_17partition_subalgoE3EjNS0_10empty_typeEbEEZZNS1_14partition_implILS8_3ELb0ES6_jNS0_17counting_iteratorIjlEEPS9_SE_NS0_5tupleIJPjSE_EEENSF_IJSE_SE_EEES9_SG_JZNS1_25segmented_radix_sort_implINS0_14default_configELb1EPKsPsPKlPlN2at6native12_GLOBAL__N_18offset_tEEE10hipError_tPvRmT1_PNSt15iterator_traitsISY_E10value_typeET2_T3_PNSZ_IS14_E10value_typeET4_jRbjT5_S1A_jjP12ihipStream_tbEUljE_EEESV_SW_SX_S14_S18_S1A_T6_T7_T9_mT8_S1C_bDpT10_ENKUlT_T0_E_clISt17integral_constantIbLb0EES1O_IbLb1EEEEDaS1K_S1L_EUlS1K_E_NS1_11comp_targetILNS1_3genE9ELNS1_11target_archE1100ELNS1_3gpuE3ELNS1_3repE0EEENS1_30default_config_static_selectorELNS0_4arch9wavefront6targetE0EEEvSY_
; %bb.0:
	.section	.rodata,"a",@progbits
	.p2align	6, 0x0
	.amdhsa_kernel _ZN7rocprim17ROCPRIM_400000_NS6detail17trampoline_kernelINS0_13select_configILj256ELj13ELNS0_17block_load_methodE3ELS4_3ELS4_3ELNS0_20block_scan_algorithmE0ELj4294967295EEENS1_25partition_config_selectorILNS1_17partition_subalgoE3EjNS0_10empty_typeEbEEZZNS1_14partition_implILS8_3ELb0ES6_jNS0_17counting_iteratorIjlEEPS9_SE_NS0_5tupleIJPjSE_EEENSF_IJSE_SE_EEES9_SG_JZNS1_25segmented_radix_sort_implINS0_14default_configELb1EPKsPsPKlPlN2at6native12_GLOBAL__N_18offset_tEEE10hipError_tPvRmT1_PNSt15iterator_traitsISY_E10value_typeET2_T3_PNSZ_IS14_E10value_typeET4_jRbjT5_S1A_jjP12ihipStream_tbEUljE_EEESV_SW_SX_S14_S18_S1A_T6_T7_T9_mT8_S1C_bDpT10_ENKUlT_T0_E_clISt17integral_constantIbLb0EES1O_IbLb1EEEEDaS1K_S1L_EUlS1K_E_NS1_11comp_targetILNS1_3genE9ELNS1_11target_archE1100ELNS1_3gpuE3ELNS1_3repE0EEENS1_30default_config_static_selectorELNS0_4arch9wavefront6targetE0EEEvSY_
		.amdhsa_group_segment_fixed_size 0
		.amdhsa_private_segment_fixed_size 0
		.amdhsa_kernarg_size 152
		.amdhsa_user_sgpr_count 2
		.amdhsa_user_sgpr_dispatch_ptr 0
		.amdhsa_user_sgpr_queue_ptr 0
		.amdhsa_user_sgpr_kernarg_segment_ptr 1
		.amdhsa_user_sgpr_dispatch_id 0
		.amdhsa_user_sgpr_private_segment_size 0
		.amdhsa_wavefront_size32 1
		.amdhsa_uses_dynamic_stack 0
		.amdhsa_enable_private_segment 0
		.amdhsa_system_sgpr_workgroup_id_x 1
		.amdhsa_system_sgpr_workgroup_id_y 0
		.amdhsa_system_sgpr_workgroup_id_z 0
		.amdhsa_system_sgpr_workgroup_info 0
		.amdhsa_system_vgpr_workitem_id 0
		.amdhsa_next_free_vgpr 1
		.amdhsa_next_free_sgpr 1
		.amdhsa_reserve_vcc 0
		.amdhsa_float_round_mode_32 0
		.amdhsa_float_round_mode_16_64 0
		.amdhsa_float_denorm_mode_32 3
		.amdhsa_float_denorm_mode_16_64 3
		.amdhsa_fp16_overflow 0
		.amdhsa_workgroup_processor_mode 1
		.amdhsa_memory_ordered 1
		.amdhsa_forward_progress 1
		.amdhsa_inst_pref_size 0
		.amdhsa_round_robin_scheduling 0
		.amdhsa_exception_fp_ieee_invalid_op 0
		.amdhsa_exception_fp_denorm_src 0
		.amdhsa_exception_fp_ieee_div_zero 0
		.amdhsa_exception_fp_ieee_overflow 0
		.amdhsa_exception_fp_ieee_underflow 0
		.amdhsa_exception_fp_ieee_inexact 0
		.amdhsa_exception_int_div_zero 0
	.end_amdhsa_kernel
	.section	.text._ZN7rocprim17ROCPRIM_400000_NS6detail17trampoline_kernelINS0_13select_configILj256ELj13ELNS0_17block_load_methodE3ELS4_3ELS4_3ELNS0_20block_scan_algorithmE0ELj4294967295EEENS1_25partition_config_selectorILNS1_17partition_subalgoE3EjNS0_10empty_typeEbEEZZNS1_14partition_implILS8_3ELb0ES6_jNS0_17counting_iteratorIjlEEPS9_SE_NS0_5tupleIJPjSE_EEENSF_IJSE_SE_EEES9_SG_JZNS1_25segmented_radix_sort_implINS0_14default_configELb1EPKsPsPKlPlN2at6native12_GLOBAL__N_18offset_tEEE10hipError_tPvRmT1_PNSt15iterator_traitsISY_E10value_typeET2_T3_PNSZ_IS14_E10value_typeET4_jRbjT5_S1A_jjP12ihipStream_tbEUljE_EEESV_SW_SX_S14_S18_S1A_T6_T7_T9_mT8_S1C_bDpT10_ENKUlT_T0_E_clISt17integral_constantIbLb0EES1O_IbLb1EEEEDaS1K_S1L_EUlS1K_E_NS1_11comp_targetILNS1_3genE9ELNS1_11target_archE1100ELNS1_3gpuE3ELNS1_3repE0EEENS1_30default_config_static_selectorELNS0_4arch9wavefront6targetE0EEEvSY_,"axG",@progbits,_ZN7rocprim17ROCPRIM_400000_NS6detail17trampoline_kernelINS0_13select_configILj256ELj13ELNS0_17block_load_methodE3ELS4_3ELS4_3ELNS0_20block_scan_algorithmE0ELj4294967295EEENS1_25partition_config_selectorILNS1_17partition_subalgoE3EjNS0_10empty_typeEbEEZZNS1_14partition_implILS8_3ELb0ES6_jNS0_17counting_iteratorIjlEEPS9_SE_NS0_5tupleIJPjSE_EEENSF_IJSE_SE_EEES9_SG_JZNS1_25segmented_radix_sort_implINS0_14default_configELb1EPKsPsPKlPlN2at6native12_GLOBAL__N_18offset_tEEE10hipError_tPvRmT1_PNSt15iterator_traitsISY_E10value_typeET2_T3_PNSZ_IS14_E10value_typeET4_jRbjT5_S1A_jjP12ihipStream_tbEUljE_EEESV_SW_SX_S14_S18_S1A_T6_T7_T9_mT8_S1C_bDpT10_ENKUlT_T0_E_clISt17integral_constantIbLb0EES1O_IbLb1EEEEDaS1K_S1L_EUlS1K_E_NS1_11comp_targetILNS1_3genE9ELNS1_11target_archE1100ELNS1_3gpuE3ELNS1_3repE0EEENS1_30default_config_static_selectorELNS0_4arch9wavefront6targetE0EEEvSY_,comdat
.Lfunc_end909:
	.size	_ZN7rocprim17ROCPRIM_400000_NS6detail17trampoline_kernelINS0_13select_configILj256ELj13ELNS0_17block_load_methodE3ELS4_3ELS4_3ELNS0_20block_scan_algorithmE0ELj4294967295EEENS1_25partition_config_selectorILNS1_17partition_subalgoE3EjNS0_10empty_typeEbEEZZNS1_14partition_implILS8_3ELb0ES6_jNS0_17counting_iteratorIjlEEPS9_SE_NS0_5tupleIJPjSE_EEENSF_IJSE_SE_EEES9_SG_JZNS1_25segmented_radix_sort_implINS0_14default_configELb1EPKsPsPKlPlN2at6native12_GLOBAL__N_18offset_tEEE10hipError_tPvRmT1_PNSt15iterator_traitsISY_E10value_typeET2_T3_PNSZ_IS14_E10value_typeET4_jRbjT5_S1A_jjP12ihipStream_tbEUljE_EEESV_SW_SX_S14_S18_S1A_T6_T7_T9_mT8_S1C_bDpT10_ENKUlT_T0_E_clISt17integral_constantIbLb0EES1O_IbLb1EEEEDaS1K_S1L_EUlS1K_E_NS1_11comp_targetILNS1_3genE9ELNS1_11target_archE1100ELNS1_3gpuE3ELNS1_3repE0EEENS1_30default_config_static_selectorELNS0_4arch9wavefront6targetE0EEEvSY_, .Lfunc_end909-_ZN7rocprim17ROCPRIM_400000_NS6detail17trampoline_kernelINS0_13select_configILj256ELj13ELNS0_17block_load_methodE3ELS4_3ELS4_3ELNS0_20block_scan_algorithmE0ELj4294967295EEENS1_25partition_config_selectorILNS1_17partition_subalgoE3EjNS0_10empty_typeEbEEZZNS1_14partition_implILS8_3ELb0ES6_jNS0_17counting_iteratorIjlEEPS9_SE_NS0_5tupleIJPjSE_EEENSF_IJSE_SE_EEES9_SG_JZNS1_25segmented_radix_sort_implINS0_14default_configELb1EPKsPsPKlPlN2at6native12_GLOBAL__N_18offset_tEEE10hipError_tPvRmT1_PNSt15iterator_traitsISY_E10value_typeET2_T3_PNSZ_IS14_E10value_typeET4_jRbjT5_S1A_jjP12ihipStream_tbEUljE_EEESV_SW_SX_S14_S18_S1A_T6_T7_T9_mT8_S1C_bDpT10_ENKUlT_T0_E_clISt17integral_constantIbLb0EES1O_IbLb1EEEEDaS1K_S1L_EUlS1K_E_NS1_11comp_targetILNS1_3genE9ELNS1_11target_archE1100ELNS1_3gpuE3ELNS1_3repE0EEENS1_30default_config_static_selectorELNS0_4arch9wavefront6targetE0EEEvSY_
                                        ; -- End function
	.set _ZN7rocprim17ROCPRIM_400000_NS6detail17trampoline_kernelINS0_13select_configILj256ELj13ELNS0_17block_load_methodE3ELS4_3ELS4_3ELNS0_20block_scan_algorithmE0ELj4294967295EEENS1_25partition_config_selectorILNS1_17partition_subalgoE3EjNS0_10empty_typeEbEEZZNS1_14partition_implILS8_3ELb0ES6_jNS0_17counting_iteratorIjlEEPS9_SE_NS0_5tupleIJPjSE_EEENSF_IJSE_SE_EEES9_SG_JZNS1_25segmented_radix_sort_implINS0_14default_configELb1EPKsPsPKlPlN2at6native12_GLOBAL__N_18offset_tEEE10hipError_tPvRmT1_PNSt15iterator_traitsISY_E10value_typeET2_T3_PNSZ_IS14_E10value_typeET4_jRbjT5_S1A_jjP12ihipStream_tbEUljE_EEESV_SW_SX_S14_S18_S1A_T6_T7_T9_mT8_S1C_bDpT10_ENKUlT_T0_E_clISt17integral_constantIbLb0EES1O_IbLb1EEEEDaS1K_S1L_EUlS1K_E_NS1_11comp_targetILNS1_3genE9ELNS1_11target_archE1100ELNS1_3gpuE3ELNS1_3repE0EEENS1_30default_config_static_selectorELNS0_4arch9wavefront6targetE0EEEvSY_.num_vgpr, 0
	.set _ZN7rocprim17ROCPRIM_400000_NS6detail17trampoline_kernelINS0_13select_configILj256ELj13ELNS0_17block_load_methodE3ELS4_3ELS4_3ELNS0_20block_scan_algorithmE0ELj4294967295EEENS1_25partition_config_selectorILNS1_17partition_subalgoE3EjNS0_10empty_typeEbEEZZNS1_14partition_implILS8_3ELb0ES6_jNS0_17counting_iteratorIjlEEPS9_SE_NS0_5tupleIJPjSE_EEENSF_IJSE_SE_EEES9_SG_JZNS1_25segmented_radix_sort_implINS0_14default_configELb1EPKsPsPKlPlN2at6native12_GLOBAL__N_18offset_tEEE10hipError_tPvRmT1_PNSt15iterator_traitsISY_E10value_typeET2_T3_PNSZ_IS14_E10value_typeET4_jRbjT5_S1A_jjP12ihipStream_tbEUljE_EEESV_SW_SX_S14_S18_S1A_T6_T7_T9_mT8_S1C_bDpT10_ENKUlT_T0_E_clISt17integral_constantIbLb0EES1O_IbLb1EEEEDaS1K_S1L_EUlS1K_E_NS1_11comp_targetILNS1_3genE9ELNS1_11target_archE1100ELNS1_3gpuE3ELNS1_3repE0EEENS1_30default_config_static_selectorELNS0_4arch9wavefront6targetE0EEEvSY_.num_agpr, 0
	.set _ZN7rocprim17ROCPRIM_400000_NS6detail17trampoline_kernelINS0_13select_configILj256ELj13ELNS0_17block_load_methodE3ELS4_3ELS4_3ELNS0_20block_scan_algorithmE0ELj4294967295EEENS1_25partition_config_selectorILNS1_17partition_subalgoE3EjNS0_10empty_typeEbEEZZNS1_14partition_implILS8_3ELb0ES6_jNS0_17counting_iteratorIjlEEPS9_SE_NS0_5tupleIJPjSE_EEENSF_IJSE_SE_EEES9_SG_JZNS1_25segmented_radix_sort_implINS0_14default_configELb1EPKsPsPKlPlN2at6native12_GLOBAL__N_18offset_tEEE10hipError_tPvRmT1_PNSt15iterator_traitsISY_E10value_typeET2_T3_PNSZ_IS14_E10value_typeET4_jRbjT5_S1A_jjP12ihipStream_tbEUljE_EEESV_SW_SX_S14_S18_S1A_T6_T7_T9_mT8_S1C_bDpT10_ENKUlT_T0_E_clISt17integral_constantIbLb0EES1O_IbLb1EEEEDaS1K_S1L_EUlS1K_E_NS1_11comp_targetILNS1_3genE9ELNS1_11target_archE1100ELNS1_3gpuE3ELNS1_3repE0EEENS1_30default_config_static_selectorELNS0_4arch9wavefront6targetE0EEEvSY_.numbered_sgpr, 0
	.set _ZN7rocprim17ROCPRIM_400000_NS6detail17trampoline_kernelINS0_13select_configILj256ELj13ELNS0_17block_load_methodE3ELS4_3ELS4_3ELNS0_20block_scan_algorithmE0ELj4294967295EEENS1_25partition_config_selectorILNS1_17partition_subalgoE3EjNS0_10empty_typeEbEEZZNS1_14partition_implILS8_3ELb0ES6_jNS0_17counting_iteratorIjlEEPS9_SE_NS0_5tupleIJPjSE_EEENSF_IJSE_SE_EEES9_SG_JZNS1_25segmented_radix_sort_implINS0_14default_configELb1EPKsPsPKlPlN2at6native12_GLOBAL__N_18offset_tEEE10hipError_tPvRmT1_PNSt15iterator_traitsISY_E10value_typeET2_T3_PNSZ_IS14_E10value_typeET4_jRbjT5_S1A_jjP12ihipStream_tbEUljE_EEESV_SW_SX_S14_S18_S1A_T6_T7_T9_mT8_S1C_bDpT10_ENKUlT_T0_E_clISt17integral_constantIbLb0EES1O_IbLb1EEEEDaS1K_S1L_EUlS1K_E_NS1_11comp_targetILNS1_3genE9ELNS1_11target_archE1100ELNS1_3gpuE3ELNS1_3repE0EEENS1_30default_config_static_selectorELNS0_4arch9wavefront6targetE0EEEvSY_.num_named_barrier, 0
	.set _ZN7rocprim17ROCPRIM_400000_NS6detail17trampoline_kernelINS0_13select_configILj256ELj13ELNS0_17block_load_methodE3ELS4_3ELS4_3ELNS0_20block_scan_algorithmE0ELj4294967295EEENS1_25partition_config_selectorILNS1_17partition_subalgoE3EjNS0_10empty_typeEbEEZZNS1_14partition_implILS8_3ELb0ES6_jNS0_17counting_iteratorIjlEEPS9_SE_NS0_5tupleIJPjSE_EEENSF_IJSE_SE_EEES9_SG_JZNS1_25segmented_radix_sort_implINS0_14default_configELb1EPKsPsPKlPlN2at6native12_GLOBAL__N_18offset_tEEE10hipError_tPvRmT1_PNSt15iterator_traitsISY_E10value_typeET2_T3_PNSZ_IS14_E10value_typeET4_jRbjT5_S1A_jjP12ihipStream_tbEUljE_EEESV_SW_SX_S14_S18_S1A_T6_T7_T9_mT8_S1C_bDpT10_ENKUlT_T0_E_clISt17integral_constantIbLb0EES1O_IbLb1EEEEDaS1K_S1L_EUlS1K_E_NS1_11comp_targetILNS1_3genE9ELNS1_11target_archE1100ELNS1_3gpuE3ELNS1_3repE0EEENS1_30default_config_static_selectorELNS0_4arch9wavefront6targetE0EEEvSY_.private_seg_size, 0
	.set _ZN7rocprim17ROCPRIM_400000_NS6detail17trampoline_kernelINS0_13select_configILj256ELj13ELNS0_17block_load_methodE3ELS4_3ELS4_3ELNS0_20block_scan_algorithmE0ELj4294967295EEENS1_25partition_config_selectorILNS1_17partition_subalgoE3EjNS0_10empty_typeEbEEZZNS1_14partition_implILS8_3ELb0ES6_jNS0_17counting_iteratorIjlEEPS9_SE_NS0_5tupleIJPjSE_EEENSF_IJSE_SE_EEES9_SG_JZNS1_25segmented_radix_sort_implINS0_14default_configELb1EPKsPsPKlPlN2at6native12_GLOBAL__N_18offset_tEEE10hipError_tPvRmT1_PNSt15iterator_traitsISY_E10value_typeET2_T3_PNSZ_IS14_E10value_typeET4_jRbjT5_S1A_jjP12ihipStream_tbEUljE_EEESV_SW_SX_S14_S18_S1A_T6_T7_T9_mT8_S1C_bDpT10_ENKUlT_T0_E_clISt17integral_constantIbLb0EES1O_IbLb1EEEEDaS1K_S1L_EUlS1K_E_NS1_11comp_targetILNS1_3genE9ELNS1_11target_archE1100ELNS1_3gpuE3ELNS1_3repE0EEENS1_30default_config_static_selectorELNS0_4arch9wavefront6targetE0EEEvSY_.uses_vcc, 0
	.set _ZN7rocprim17ROCPRIM_400000_NS6detail17trampoline_kernelINS0_13select_configILj256ELj13ELNS0_17block_load_methodE3ELS4_3ELS4_3ELNS0_20block_scan_algorithmE0ELj4294967295EEENS1_25partition_config_selectorILNS1_17partition_subalgoE3EjNS0_10empty_typeEbEEZZNS1_14partition_implILS8_3ELb0ES6_jNS0_17counting_iteratorIjlEEPS9_SE_NS0_5tupleIJPjSE_EEENSF_IJSE_SE_EEES9_SG_JZNS1_25segmented_radix_sort_implINS0_14default_configELb1EPKsPsPKlPlN2at6native12_GLOBAL__N_18offset_tEEE10hipError_tPvRmT1_PNSt15iterator_traitsISY_E10value_typeET2_T3_PNSZ_IS14_E10value_typeET4_jRbjT5_S1A_jjP12ihipStream_tbEUljE_EEESV_SW_SX_S14_S18_S1A_T6_T7_T9_mT8_S1C_bDpT10_ENKUlT_T0_E_clISt17integral_constantIbLb0EES1O_IbLb1EEEEDaS1K_S1L_EUlS1K_E_NS1_11comp_targetILNS1_3genE9ELNS1_11target_archE1100ELNS1_3gpuE3ELNS1_3repE0EEENS1_30default_config_static_selectorELNS0_4arch9wavefront6targetE0EEEvSY_.uses_flat_scratch, 0
	.set _ZN7rocprim17ROCPRIM_400000_NS6detail17trampoline_kernelINS0_13select_configILj256ELj13ELNS0_17block_load_methodE3ELS4_3ELS4_3ELNS0_20block_scan_algorithmE0ELj4294967295EEENS1_25partition_config_selectorILNS1_17partition_subalgoE3EjNS0_10empty_typeEbEEZZNS1_14partition_implILS8_3ELb0ES6_jNS0_17counting_iteratorIjlEEPS9_SE_NS0_5tupleIJPjSE_EEENSF_IJSE_SE_EEES9_SG_JZNS1_25segmented_radix_sort_implINS0_14default_configELb1EPKsPsPKlPlN2at6native12_GLOBAL__N_18offset_tEEE10hipError_tPvRmT1_PNSt15iterator_traitsISY_E10value_typeET2_T3_PNSZ_IS14_E10value_typeET4_jRbjT5_S1A_jjP12ihipStream_tbEUljE_EEESV_SW_SX_S14_S18_S1A_T6_T7_T9_mT8_S1C_bDpT10_ENKUlT_T0_E_clISt17integral_constantIbLb0EES1O_IbLb1EEEEDaS1K_S1L_EUlS1K_E_NS1_11comp_targetILNS1_3genE9ELNS1_11target_archE1100ELNS1_3gpuE3ELNS1_3repE0EEENS1_30default_config_static_selectorELNS0_4arch9wavefront6targetE0EEEvSY_.has_dyn_sized_stack, 0
	.set _ZN7rocprim17ROCPRIM_400000_NS6detail17trampoline_kernelINS0_13select_configILj256ELj13ELNS0_17block_load_methodE3ELS4_3ELS4_3ELNS0_20block_scan_algorithmE0ELj4294967295EEENS1_25partition_config_selectorILNS1_17partition_subalgoE3EjNS0_10empty_typeEbEEZZNS1_14partition_implILS8_3ELb0ES6_jNS0_17counting_iteratorIjlEEPS9_SE_NS0_5tupleIJPjSE_EEENSF_IJSE_SE_EEES9_SG_JZNS1_25segmented_radix_sort_implINS0_14default_configELb1EPKsPsPKlPlN2at6native12_GLOBAL__N_18offset_tEEE10hipError_tPvRmT1_PNSt15iterator_traitsISY_E10value_typeET2_T3_PNSZ_IS14_E10value_typeET4_jRbjT5_S1A_jjP12ihipStream_tbEUljE_EEESV_SW_SX_S14_S18_S1A_T6_T7_T9_mT8_S1C_bDpT10_ENKUlT_T0_E_clISt17integral_constantIbLb0EES1O_IbLb1EEEEDaS1K_S1L_EUlS1K_E_NS1_11comp_targetILNS1_3genE9ELNS1_11target_archE1100ELNS1_3gpuE3ELNS1_3repE0EEENS1_30default_config_static_selectorELNS0_4arch9wavefront6targetE0EEEvSY_.has_recursion, 0
	.set _ZN7rocprim17ROCPRIM_400000_NS6detail17trampoline_kernelINS0_13select_configILj256ELj13ELNS0_17block_load_methodE3ELS4_3ELS4_3ELNS0_20block_scan_algorithmE0ELj4294967295EEENS1_25partition_config_selectorILNS1_17partition_subalgoE3EjNS0_10empty_typeEbEEZZNS1_14partition_implILS8_3ELb0ES6_jNS0_17counting_iteratorIjlEEPS9_SE_NS0_5tupleIJPjSE_EEENSF_IJSE_SE_EEES9_SG_JZNS1_25segmented_radix_sort_implINS0_14default_configELb1EPKsPsPKlPlN2at6native12_GLOBAL__N_18offset_tEEE10hipError_tPvRmT1_PNSt15iterator_traitsISY_E10value_typeET2_T3_PNSZ_IS14_E10value_typeET4_jRbjT5_S1A_jjP12ihipStream_tbEUljE_EEESV_SW_SX_S14_S18_S1A_T6_T7_T9_mT8_S1C_bDpT10_ENKUlT_T0_E_clISt17integral_constantIbLb0EES1O_IbLb1EEEEDaS1K_S1L_EUlS1K_E_NS1_11comp_targetILNS1_3genE9ELNS1_11target_archE1100ELNS1_3gpuE3ELNS1_3repE0EEENS1_30default_config_static_selectorELNS0_4arch9wavefront6targetE0EEEvSY_.has_indirect_call, 0
	.section	.AMDGPU.csdata,"",@progbits
; Kernel info:
; codeLenInByte = 0
; TotalNumSgprs: 0
; NumVgprs: 0
; ScratchSize: 0
; MemoryBound: 0
; FloatMode: 240
; IeeeMode: 1
; LDSByteSize: 0 bytes/workgroup (compile time only)
; SGPRBlocks: 0
; VGPRBlocks: 0
; NumSGPRsForWavesPerEU: 1
; NumVGPRsForWavesPerEU: 1
; Occupancy: 16
; WaveLimiterHint : 0
; COMPUTE_PGM_RSRC2:SCRATCH_EN: 0
; COMPUTE_PGM_RSRC2:USER_SGPR: 2
; COMPUTE_PGM_RSRC2:TRAP_HANDLER: 0
; COMPUTE_PGM_RSRC2:TGID_X_EN: 1
; COMPUTE_PGM_RSRC2:TGID_Y_EN: 0
; COMPUTE_PGM_RSRC2:TGID_Z_EN: 0
; COMPUTE_PGM_RSRC2:TIDIG_COMP_CNT: 0
	.section	.text._ZN7rocprim17ROCPRIM_400000_NS6detail17trampoline_kernelINS0_13select_configILj256ELj13ELNS0_17block_load_methodE3ELS4_3ELS4_3ELNS0_20block_scan_algorithmE0ELj4294967295EEENS1_25partition_config_selectorILNS1_17partition_subalgoE3EjNS0_10empty_typeEbEEZZNS1_14partition_implILS8_3ELb0ES6_jNS0_17counting_iteratorIjlEEPS9_SE_NS0_5tupleIJPjSE_EEENSF_IJSE_SE_EEES9_SG_JZNS1_25segmented_radix_sort_implINS0_14default_configELb1EPKsPsPKlPlN2at6native12_GLOBAL__N_18offset_tEEE10hipError_tPvRmT1_PNSt15iterator_traitsISY_E10value_typeET2_T3_PNSZ_IS14_E10value_typeET4_jRbjT5_S1A_jjP12ihipStream_tbEUljE_EEESV_SW_SX_S14_S18_S1A_T6_T7_T9_mT8_S1C_bDpT10_ENKUlT_T0_E_clISt17integral_constantIbLb0EES1O_IbLb1EEEEDaS1K_S1L_EUlS1K_E_NS1_11comp_targetILNS1_3genE8ELNS1_11target_archE1030ELNS1_3gpuE2ELNS1_3repE0EEENS1_30default_config_static_selectorELNS0_4arch9wavefront6targetE0EEEvSY_,"axG",@progbits,_ZN7rocprim17ROCPRIM_400000_NS6detail17trampoline_kernelINS0_13select_configILj256ELj13ELNS0_17block_load_methodE3ELS4_3ELS4_3ELNS0_20block_scan_algorithmE0ELj4294967295EEENS1_25partition_config_selectorILNS1_17partition_subalgoE3EjNS0_10empty_typeEbEEZZNS1_14partition_implILS8_3ELb0ES6_jNS0_17counting_iteratorIjlEEPS9_SE_NS0_5tupleIJPjSE_EEENSF_IJSE_SE_EEES9_SG_JZNS1_25segmented_radix_sort_implINS0_14default_configELb1EPKsPsPKlPlN2at6native12_GLOBAL__N_18offset_tEEE10hipError_tPvRmT1_PNSt15iterator_traitsISY_E10value_typeET2_T3_PNSZ_IS14_E10value_typeET4_jRbjT5_S1A_jjP12ihipStream_tbEUljE_EEESV_SW_SX_S14_S18_S1A_T6_T7_T9_mT8_S1C_bDpT10_ENKUlT_T0_E_clISt17integral_constantIbLb0EES1O_IbLb1EEEEDaS1K_S1L_EUlS1K_E_NS1_11comp_targetILNS1_3genE8ELNS1_11target_archE1030ELNS1_3gpuE2ELNS1_3repE0EEENS1_30default_config_static_selectorELNS0_4arch9wavefront6targetE0EEEvSY_,comdat
	.globl	_ZN7rocprim17ROCPRIM_400000_NS6detail17trampoline_kernelINS0_13select_configILj256ELj13ELNS0_17block_load_methodE3ELS4_3ELS4_3ELNS0_20block_scan_algorithmE0ELj4294967295EEENS1_25partition_config_selectorILNS1_17partition_subalgoE3EjNS0_10empty_typeEbEEZZNS1_14partition_implILS8_3ELb0ES6_jNS0_17counting_iteratorIjlEEPS9_SE_NS0_5tupleIJPjSE_EEENSF_IJSE_SE_EEES9_SG_JZNS1_25segmented_radix_sort_implINS0_14default_configELb1EPKsPsPKlPlN2at6native12_GLOBAL__N_18offset_tEEE10hipError_tPvRmT1_PNSt15iterator_traitsISY_E10value_typeET2_T3_PNSZ_IS14_E10value_typeET4_jRbjT5_S1A_jjP12ihipStream_tbEUljE_EEESV_SW_SX_S14_S18_S1A_T6_T7_T9_mT8_S1C_bDpT10_ENKUlT_T0_E_clISt17integral_constantIbLb0EES1O_IbLb1EEEEDaS1K_S1L_EUlS1K_E_NS1_11comp_targetILNS1_3genE8ELNS1_11target_archE1030ELNS1_3gpuE2ELNS1_3repE0EEENS1_30default_config_static_selectorELNS0_4arch9wavefront6targetE0EEEvSY_ ; -- Begin function _ZN7rocprim17ROCPRIM_400000_NS6detail17trampoline_kernelINS0_13select_configILj256ELj13ELNS0_17block_load_methodE3ELS4_3ELS4_3ELNS0_20block_scan_algorithmE0ELj4294967295EEENS1_25partition_config_selectorILNS1_17partition_subalgoE3EjNS0_10empty_typeEbEEZZNS1_14partition_implILS8_3ELb0ES6_jNS0_17counting_iteratorIjlEEPS9_SE_NS0_5tupleIJPjSE_EEENSF_IJSE_SE_EEES9_SG_JZNS1_25segmented_radix_sort_implINS0_14default_configELb1EPKsPsPKlPlN2at6native12_GLOBAL__N_18offset_tEEE10hipError_tPvRmT1_PNSt15iterator_traitsISY_E10value_typeET2_T3_PNSZ_IS14_E10value_typeET4_jRbjT5_S1A_jjP12ihipStream_tbEUljE_EEESV_SW_SX_S14_S18_S1A_T6_T7_T9_mT8_S1C_bDpT10_ENKUlT_T0_E_clISt17integral_constantIbLb0EES1O_IbLb1EEEEDaS1K_S1L_EUlS1K_E_NS1_11comp_targetILNS1_3genE8ELNS1_11target_archE1030ELNS1_3gpuE2ELNS1_3repE0EEENS1_30default_config_static_selectorELNS0_4arch9wavefront6targetE0EEEvSY_
	.p2align	8
	.type	_ZN7rocprim17ROCPRIM_400000_NS6detail17trampoline_kernelINS0_13select_configILj256ELj13ELNS0_17block_load_methodE3ELS4_3ELS4_3ELNS0_20block_scan_algorithmE0ELj4294967295EEENS1_25partition_config_selectorILNS1_17partition_subalgoE3EjNS0_10empty_typeEbEEZZNS1_14partition_implILS8_3ELb0ES6_jNS0_17counting_iteratorIjlEEPS9_SE_NS0_5tupleIJPjSE_EEENSF_IJSE_SE_EEES9_SG_JZNS1_25segmented_radix_sort_implINS0_14default_configELb1EPKsPsPKlPlN2at6native12_GLOBAL__N_18offset_tEEE10hipError_tPvRmT1_PNSt15iterator_traitsISY_E10value_typeET2_T3_PNSZ_IS14_E10value_typeET4_jRbjT5_S1A_jjP12ihipStream_tbEUljE_EEESV_SW_SX_S14_S18_S1A_T6_T7_T9_mT8_S1C_bDpT10_ENKUlT_T0_E_clISt17integral_constantIbLb0EES1O_IbLb1EEEEDaS1K_S1L_EUlS1K_E_NS1_11comp_targetILNS1_3genE8ELNS1_11target_archE1030ELNS1_3gpuE2ELNS1_3repE0EEENS1_30default_config_static_selectorELNS0_4arch9wavefront6targetE0EEEvSY_,@function
_ZN7rocprim17ROCPRIM_400000_NS6detail17trampoline_kernelINS0_13select_configILj256ELj13ELNS0_17block_load_methodE3ELS4_3ELS4_3ELNS0_20block_scan_algorithmE0ELj4294967295EEENS1_25partition_config_selectorILNS1_17partition_subalgoE3EjNS0_10empty_typeEbEEZZNS1_14partition_implILS8_3ELb0ES6_jNS0_17counting_iteratorIjlEEPS9_SE_NS0_5tupleIJPjSE_EEENSF_IJSE_SE_EEES9_SG_JZNS1_25segmented_radix_sort_implINS0_14default_configELb1EPKsPsPKlPlN2at6native12_GLOBAL__N_18offset_tEEE10hipError_tPvRmT1_PNSt15iterator_traitsISY_E10value_typeET2_T3_PNSZ_IS14_E10value_typeET4_jRbjT5_S1A_jjP12ihipStream_tbEUljE_EEESV_SW_SX_S14_S18_S1A_T6_T7_T9_mT8_S1C_bDpT10_ENKUlT_T0_E_clISt17integral_constantIbLb0EES1O_IbLb1EEEEDaS1K_S1L_EUlS1K_E_NS1_11comp_targetILNS1_3genE8ELNS1_11target_archE1030ELNS1_3gpuE2ELNS1_3repE0EEENS1_30default_config_static_selectorELNS0_4arch9wavefront6targetE0EEEvSY_: ; @_ZN7rocprim17ROCPRIM_400000_NS6detail17trampoline_kernelINS0_13select_configILj256ELj13ELNS0_17block_load_methodE3ELS4_3ELS4_3ELNS0_20block_scan_algorithmE0ELj4294967295EEENS1_25partition_config_selectorILNS1_17partition_subalgoE3EjNS0_10empty_typeEbEEZZNS1_14partition_implILS8_3ELb0ES6_jNS0_17counting_iteratorIjlEEPS9_SE_NS0_5tupleIJPjSE_EEENSF_IJSE_SE_EEES9_SG_JZNS1_25segmented_radix_sort_implINS0_14default_configELb1EPKsPsPKlPlN2at6native12_GLOBAL__N_18offset_tEEE10hipError_tPvRmT1_PNSt15iterator_traitsISY_E10value_typeET2_T3_PNSZ_IS14_E10value_typeET4_jRbjT5_S1A_jjP12ihipStream_tbEUljE_EEESV_SW_SX_S14_S18_S1A_T6_T7_T9_mT8_S1C_bDpT10_ENKUlT_T0_E_clISt17integral_constantIbLb0EES1O_IbLb1EEEEDaS1K_S1L_EUlS1K_E_NS1_11comp_targetILNS1_3genE8ELNS1_11target_archE1030ELNS1_3gpuE2ELNS1_3repE0EEENS1_30default_config_static_selectorELNS0_4arch9wavefront6targetE0EEEvSY_
; %bb.0:
	.section	.rodata,"a",@progbits
	.p2align	6, 0x0
	.amdhsa_kernel _ZN7rocprim17ROCPRIM_400000_NS6detail17trampoline_kernelINS0_13select_configILj256ELj13ELNS0_17block_load_methodE3ELS4_3ELS4_3ELNS0_20block_scan_algorithmE0ELj4294967295EEENS1_25partition_config_selectorILNS1_17partition_subalgoE3EjNS0_10empty_typeEbEEZZNS1_14partition_implILS8_3ELb0ES6_jNS0_17counting_iteratorIjlEEPS9_SE_NS0_5tupleIJPjSE_EEENSF_IJSE_SE_EEES9_SG_JZNS1_25segmented_radix_sort_implINS0_14default_configELb1EPKsPsPKlPlN2at6native12_GLOBAL__N_18offset_tEEE10hipError_tPvRmT1_PNSt15iterator_traitsISY_E10value_typeET2_T3_PNSZ_IS14_E10value_typeET4_jRbjT5_S1A_jjP12ihipStream_tbEUljE_EEESV_SW_SX_S14_S18_S1A_T6_T7_T9_mT8_S1C_bDpT10_ENKUlT_T0_E_clISt17integral_constantIbLb0EES1O_IbLb1EEEEDaS1K_S1L_EUlS1K_E_NS1_11comp_targetILNS1_3genE8ELNS1_11target_archE1030ELNS1_3gpuE2ELNS1_3repE0EEENS1_30default_config_static_selectorELNS0_4arch9wavefront6targetE0EEEvSY_
		.amdhsa_group_segment_fixed_size 0
		.amdhsa_private_segment_fixed_size 0
		.amdhsa_kernarg_size 152
		.amdhsa_user_sgpr_count 2
		.amdhsa_user_sgpr_dispatch_ptr 0
		.amdhsa_user_sgpr_queue_ptr 0
		.amdhsa_user_sgpr_kernarg_segment_ptr 1
		.amdhsa_user_sgpr_dispatch_id 0
		.amdhsa_user_sgpr_private_segment_size 0
		.amdhsa_wavefront_size32 1
		.amdhsa_uses_dynamic_stack 0
		.amdhsa_enable_private_segment 0
		.amdhsa_system_sgpr_workgroup_id_x 1
		.amdhsa_system_sgpr_workgroup_id_y 0
		.amdhsa_system_sgpr_workgroup_id_z 0
		.amdhsa_system_sgpr_workgroup_info 0
		.amdhsa_system_vgpr_workitem_id 0
		.amdhsa_next_free_vgpr 1
		.amdhsa_next_free_sgpr 1
		.amdhsa_reserve_vcc 0
		.amdhsa_float_round_mode_32 0
		.amdhsa_float_round_mode_16_64 0
		.amdhsa_float_denorm_mode_32 3
		.amdhsa_float_denorm_mode_16_64 3
		.amdhsa_fp16_overflow 0
		.amdhsa_workgroup_processor_mode 1
		.amdhsa_memory_ordered 1
		.amdhsa_forward_progress 1
		.amdhsa_inst_pref_size 0
		.amdhsa_round_robin_scheduling 0
		.amdhsa_exception_fp_ieee_invalid_op 0
		.amdhsa_exception_fp_denorm_src 0
		.amdhsa_exception_fp_ieee_div_zero 0
		.amdhsa_exception_fp_ieee_overflow 0
		.amdhsa_exception_fp_ieee_underflow 0
		.amdhsa_exception_fp_ieee_inexact 0
		.amdhsa_exception_int_div_zero 0
	.end_amdhsa_kernel
	.section	.text._ZN7rocprim17ROCPRIM_400000_NS6detail17trampoline_kernelINS0_13select_configILj256ELj13ELNS0_17block_load_methodE3ELS4_3ELS4_3ELNS0_20block_scan_algorithmE0ELj4294967295EEENS1_25partition_config_selectorILNS1_17partition_subalgoE3EjNS0_10empty_typeEbEEZZNS1_14partition_implILS8_3ELb0ES6_jNS0_17counting_iteratorIjlEEPS9_SE_NS0_5tupleIJPjSE_EEENSF_IJSE_SE_EEES9_SG_JZNS1_25segmented_radix_sort_implINS0_14default_configELb1EPKsPsPKlPlN2at6native12_GLOBAL__N_18offset_tEEE10hipError_tPvRmT1_PNSt15iterator_traitsISY_E10value_typeET2_T3_PNSZ_IS14_E10value_typeET4_jRbjT5_S1A_jjP12ihipStream_tbEUljE_EEESV_SW_SX_S14_S18_S1A_T6_T7_T9_mT8_S1C_bDpT10_ENKUlT_T0_E_clISt17integral_constantIbLb0EES1O_IbLb1EEEEDaS1K_S1L_EUlS1K_E_NS1_11comp_targetILNS1_3genE8ELNS1_11target_archE1030ELNS1_3gpuE2ELNS1_3repE0EEENS1_30default_config_static_selectorELNS0_4arch9wavefront6targetE0EEEvSY_,"axG",@progbits,_ZN7rocprim17ROCPRIM_400000_NS6detail17trampoline_kernelINS0_13select_configILj256ELj13ELNS0_17block_load_methodE3ELS4_3ELS4_3ELNS0_20block_scan_algorithmE0ELj4294967295EEENS1_25partition_config_selectorILNS1_17partition_subalgoE3EjNS0_10empty_typeEbEEZZNS1_14partition_implILS8_3ELb0ES6_jNS0_17counting_iteratorIjlEEPS9_SE_NS0_5tupleIJPjSE_EEENSF_IJSE_SE_EEES9_SG_JZNS1_25segmented_radix_sort_implINS0_14default_configELb1EPKsPsPKlPlN2at6native12_GLOBAL__N_18offset_tEEE10hipError_tPvRmT1_PNSt15iterator_traitsISY_E10value_typeET2_T3_PNSZ_IS14_E10value_typeET4_jRbjT5_S1A_jjP12ihipStream_tbEUljE_EEESV_SW_SX_S14_S18_S1A_T6_T7_T9_mT8_S1C_bDpT10_ENKUlT_T0_E_clISt17integral_constantIbLb0EES1O_IbLb1EEEEDaS1K_S1L_EUlS1K_E_NS1_11comp_targetILNS1_3genE8ELNS1_11target_archE1030ELNS1_3gpuE2ELNS1_3repE0EEENS1_30default_config_static_selectorELNS0_4arch9wavefront6targetE0EEEvSY_,comdat
.Lfunc_end910:
	.size	_ZN7rocprim17ROCPRIM_400000_NS6detail17trampoline_kernelINS0_13select_configILj256ELj13ELNS0_17block_load_methodE3ELS4_3ELS4_3ELNS0_20block_scan_algorithmE0ELj4294967295EEENS1_25partition_config_selectorILNS1_17partition_subalgoE3EjNS0_10empty_typeEbEEZZNS1_14partition_implILS8_3ELb0ES6_jNS0_17counting_iteratorIjlEEPS9_SE_NS0_5tupleIJPjSE_EEENSF_IJSE_SE_EEES9_SG_JZNS1_25segmented_radix_sort_implINS0_14default_configELb1EPKsPsPKlPlN2at6native12_GLOBAL__N_18offset_tEEE10hipError_tPvRmT1_PNSt15iterator_traitsISY_E10value_typeET2_T3_PNSZ_IS14_E10value_typeET4_jRbjT5_S1A_jjP12ihipStream_tbEUljE_EEESV_SW_SX_S14_S18_S1A_T6_T7_T9_mT8_S1C_bDpT10_ENKUlT_T0_E_clISt17integral_constantIbLb0EES1O_IbLb1EEEEDaS1K_S1L_EUlS1K_E_NS1_11comp_targetILNS1_3genE8ELNS1_11target_archE1030ELNS1_3gpuE2ELNS1_3repE0EEENS1_30default_config_static_selectorELNS0_4arch9wavefront6targetE0EEEvSY_, .Lfunc_end910-_ZN7rocprim17ROCPRIM_400000_NS6detail17trampoline_kernelINS0_13select_configILj256ELj13ELNS0_17block_load_methodE3ELS4_3ELS4_3ELNS0_20block_scan_algorithmE0ELj4294967295EEENS1_25partition_config_selectorILNS1_17partition_subalgoE3EjNS0_10empty_typeEbEEZZNS1_14partition_implILS8_3ELb0ES6_jNS0_17counting_iteratorIjlEEPS9_SE_NS0_5tupleIJPjSE_EEENSF_IJSE_SE_EEES9_SG_JZNS1_25segmented_radix_sort_implINS0_14default_configELb1EPKsPsPKlPlN2at6native12_GLOBAL__N_18offset_tEEE10hipError_tPvRmT1_PNSt15iterator_traitsISY_E10value_typeET2_T3_PNSZ_IS14_E10value_typeET4_jRbjT5_S1A_jjP12ihipStream_tbEUljE_EEESV_SW_SX_S14_S18_S1A_T6_T7_T9_mT8_S1C_bDpT10_ENKUlT_T0_E_clISt17integral_constantIbLb0EES1O_IbLb1EEEEDaS1K_S1L_EUlS1K_E_NS1_11comp_targetILNS1_3genE8ELNS1_11target_archE1030ELNS1_3gpuE2ELNS1_3repE0EEENS1_30default_config_static_selectorELNS0_4arch9wavefront6targetE0EEEvSY_
                                        ; -- End function
	.set _ZN7rocprim17ROCPRIM_400000_NS6detail17trampoline_kernelINS0_13select_configILj256ELj13ELNS0_17block_load_methodE3ELS4_3ELS4_3ELNS0_20block_scan_algorithmE0ELj4294967295EEENS1_25partition_config_selectorILNS1_17partition_subalgoE3EjNS0_10empty_typeEbEEZZNS1_14partition_implILS8_3ELb0ES6_jNS0_17counting_iteratorIjlEEPS9_SE_NS0_5tupleIJPjSE_EEENSF_IJSE_SE_EEES9_SG_JZNS1_25segmented_radix_sort_implINS0_14default_configELb1EPKsPsPKlPlN2at6native12_GLOBAL__N_18offset_tEEE10hipError_tPvRmT1_PNSt15iterator_traitsISY_E10value_typeET2_T3_PNSZ_IS14_E10value_typeET4_jRbjT5_S1A_jjP12ihipStream_tbEUljE_EEESV_SW_SX_S14_S18_S1A_T6_T7_T9_mT8_S1C_bDpT10_ENKUlT_T0_E_clISt17integral_constantIbLb0EES1O_IbLb1EEEEDaS1K_S1L_EUlS1K_E_NS1_11comp_targetILNS1_3genE8ELNS1_11target_archE1030ELNS1_3gpuE2ELNS1_3repE0EEENS1_30default_config_static_selectorELNS0_4arch9wavefront6targetE0EEEvSY_.num_vgpr, 0
	.set _ZN7rocprim17ROCPRIM_400000_NS6detail17trampoline_kernelINS0_13select_configILj256ELj13ELNS0_17block_load_methodE3ELS4_3ELS4_3ELNS0_20block_scan_algorithmE0ELj4294967295EEENS1_25partition_config_selectorILNS1_17partition_subalgoE3EjNS0_10empty_typeEbEEZZNS1_14partition_implILS8_3ELb0ES6_jNS0_17counting_iteratorIjlEEPS9_SE_NS0_5tupleIJPjSE_EEENSF_IJSE_SE_EEES9_SG_JZNS1_25segmented_radix_sort_implINS0_14default_configELb1EPKsPsPKlPlN2at6native12_GLOBAL__N_18offset_tEEE10hipError_tPvRmT1_PNSt15iterator_traitsISY_E10value_typeET2_T3_PNSZ_IS14_E10value_typeET4_jRbjT5_S1A_jjP12ihipStream_tbEUljE_EEESV_SW_SX_S14_S18_S1A_T6_T7_T9_mT8_S1C_bDpT10_ENKUlT_T0_E_clISt17integral_constantIbLb0EES1O_IbLb1EEEEDaS1K_S1L_EUlS1K_E_NS1_11comp_targetILNS1_3genE8ELNS1_11target_archE1030ELNS1_3gpuE2ELNS1_3repE0EEENS1_30default_config_static_selectorELNS0_4arch9wavefront6targetE0EEEvSY_.num_agpr, 0
	.set _ZN7rocprim17ROCPRIM_400000_NS6detail17trampoline_kernelINS0_13select_configILj256ELj13ELNS0_17block_load_methodE3ELS4_3ELS4_3ELNS0_20block_scan_algorithmE0ELj4294967295EEENS1_25partition_config_selectorILNS1_17partition_subalgoE3EjNS0_10empty_typeEbEEZZNS1_14partition_implILS8_3ELb0ES6_jNS0_17counting_iteratorIjlEEPS9_SE_NS0_5tupleIJPjSE_EEENSF_IJSE_SE_EEES9_SG_JZNS1_25segmented_radix_sort_implINS0_14default_configELb1EPKsPsPKlPlN2at6native12_GLOBAL__N_18offset_tEEE10hipError_tPvRmT1_PNSt15iterator_traitsISY_E10value_typeET2_T3_PNSZ_IS14_E10value_typeET4_jRbjT5_S1A_jjP12ihipStream_tbEUljE_EEESV_SW_SX_S14_S18_S1A_T6_T7_T9_mT8_S1C_bDpT10_ENKUlT_T0_E_clISt17integral_constantIbLb0EES1O_IbLb1EEEEDaS1K_S1L_EUlS1K_E_NS1_11comp_targetILNS1_3genE8ELNS1_11target_archE1030ELNS1_3gpuE2ELNS1_3repE0EEENS1_30default_config_static_selectorELNS0_4arch9wavefront6targetE0EEEvSY_.numbered_sgpr, 0
	.set _ZN7rocprim17ROCPRIM_400000_NS6detail17trampoline_kernelINS0_13select_configILj256ELj13ELNS0_17block_load_methodE3ELS4_3ELS4_3ELNS0_20block_scan_algorithmE0ELj4294967295EEENS1_25partition_config_selectorILNS1_17partition_subalgoE3EjNS0_10empty_typeEbEEZZNS1_14partition_implILS8_3ELb0ES6_jNS0_17counting_iteratorIjlEEPS9_SE_NS0_5tupleIJPjSE_EEENSF_IJSE_SE_EEES9_SG_JZNS1_25segmented_radix_sort_implINS0_14default_configELb1EPKsPsPKlPlN2at6native12_GLOBAL__N_18offset_tEEE10hipError_tPvRmT1_PNSt15iterator_traitsISY_E10value_typeET2_T3_PNSZ_IS14_E10value_typeET4_jRbjT5_S1A_jjP12ihipStream_tbEUljE_EEESV_SW_SX_S14_S18_S1A_T6_T7_T9_mT8_S1C_bDpT10_ENKUlT_T0_E_clISt17integral_constantIbLb0EES1O_IbLb1EEEEDaS1K_S1L_EUlS1K_E_NS1_11comp_targetILNS1_3genE8ELNS1_11target_archE1030ELNS1_3gpuE2ELNS1_3repE0EEENS1_30default_config_static_selectorELNS0_4arch9wavefront6targetE0EEEvSY_.num_named_barrier, 0
	.set _ZN7rocprim17ROCPRIM_400000_NS6detail17trampoline_kernelINS0_13select_configILj256ELj13ELNS0_17block_load_methodE3ELS4_3ELS4_3ELNS0_20block_scan_algorithmE0ELj4294967295EEENS1_25partition_config_selectorILNS1_17partition_subalgoE3EjNS0_10empty_typeEbEEZZNS1_14partition_implILS8_3ELb0ES6_jNS0_17counting_iteratorIjlEEPS9_SE_NS0_5tupleIJPjSE_EEENSF_IJSE_SE_EEES9_SG_JZNS1_25segmented_radix_sort_implINS0_14default_configELb1EPKsPsPKlPlN2at6native12_GLOBAL__N_18offset_tEEE10hipError_tPvRmT1_PNSt15iterator_traitsISY_E10value_typeET2_T3_PNSZ_IS14_E10value_typeET4_jRbjT5_S1A_jjP12ihipStream_tbEUljE_EEESV_SW_SX_S14_S18_S1A_T6_T7_T9_mT8_S1C_bDpT10_ENKUlT_T0_E_clISt17integral_constantIbLb0EES1O_IbLb1EEEEDaS1K_S1L_EUlS1K_E_NS1_11comp_targetILNS1_3genE8ELNS1_11target_archE1030ELNS1_3gpuE2ELNS1_3repE0EEENS1_30default_config_static_selectorELNS0_4arch9wavefront6targetE0EEEvSY_.private_seg_size, 0
	.set _ZN7rocprim17ROCPRIM_400000_NS6detail17trampoline_kernelINS0_13select_configILj256ELj13ELNS0_17block_load_methodE3ELS4_3ELS4_3ELNS0_20block_scan_algorithmE0ELj4294967295EEENS1_25partition_config_selectorILNS1_17partition_subalgoE3EjNS0_10empty_typeEbEEZZNS1_14partition_implILS8_3ELb0ES6_jNS0_17counting_iteratorIjlEEPS9_SE_NS0_5tupleIJPjSE_EEENSF_IJSE_SE_EEES9_SG_JZNS1_25segmented_radix_sort_implINS0_14default_configELb1EPKsPsPKlPlN2at6native12_GLOBAL__N_18offset_tEEE10hipError_tPvRmT1_PNSt15iterator_traitsISY_E10value_typeET2_T3_PNSZ_IS14_E10value_typeET4_jRbjT5_S1A_jjP12ihipStream_tbEUljE_EEESV_SW_SX_S14_S18_S1A_T6_T7_T9_mT8_S1C_bDpT10_ENKUlT_T0_E_clISt17integral_constantIbLb0EES1O_IbLb1EEEEDaS1K_S1L_EUlS1K_E_NS1_11comp_targetILNS1_3genE8ELNS1_11target_archE1030ELNS1_3gpuE2ELNS1_3repE0EEENS1_30default_config_static_selectorELNS0_4arch9wavefront6targetE0EEEvSY_.uses_vcc, 0
	.set _ZN7rocprim17ROCPRIM_400000_NS6detail17trampoline_kernelINS0_13select_configILj256ELj13ELNS0_17block_load_methodE3ELS4_3ELS4_3ELNS0_20block_scan_algorithmE0ELj4294967295EEENS1_25partition_config_selectorILNS1_17partition_subalgoE3EjNS0_10empty_typeEbEEZZNS1_14partition_implILS8_3ELb0ES6_jNS0_17counting_iteratorIjlEEPS9_SE_NS0_5tupleIJPjSE_EEENSF_IJSE_SE_EEES9_SG_JZNS1_25segmented_radix_sort_implINS0_14default_configELb1EPKsPsPKlPlN2at6native12_GLOBAL__N_18offset_tEEE10hipError_tPvRmT1_PNSt15iterator_traitsISY_E10value_typeET2_T3_PNSZ_IS14_E10value_typeET4_jRbjT5_S1A_jjP12ihipStream_tbEUljE_EEESV_SW_SX_S14_S18_S1A_T6_T7_T9_mT8_S1C_bDpT10_ENKUlT_T0_E_clISt17integral_constantIbLb0EES1O_IbLb1EEEEDaS1K_S1L_EUlS1K_E_NS1_11comp_targetILNS1_3genE8ELNS1_11target_archE1030ELNS1_3gpuE2ELNS1_3repE0EEENS1_30default_config_static_selectorELNS0_4arch9wavefront6targetE0EEEvSY_.uses_flat_scratch, 0
	.set _ZN7rocprim17ROCPRIM_400000_NS6detail17trampoline_kernelINS0_13select_configILj256ELj13ELNS0_17block_load_methodE3ELS4_3ELS4_3ELNS0_20block_scan_algorithmE0ELj4294967295EEENS1_25partition_config_selectorILNS1_17partition_subalgoE3EjNS0_10empty_typeEbEEZZNS1_14partition_implILS8_3ELb0ES6_jNS0_17counting_iteratorIjlEEPS9_SE_NS0_5tupleIJPjSE_EEENSF_IJSE_SE_EEES9_SG_JZNS1_25segmented_radix_sort_implINS0_14default_configELb1EPKsPsPKlPlN2at6native12_GLOBAL__N_18offset_tEEE10hipError_tPvRmT1_PNSt15iterator_traitsISY_E10value_typeET2_T3_PNSZ_IS14_E10value_typeET4_jRbjT5_S1A_jjP12ihipStream_tbEUljE_EEESV_SW_SX_S14_S18_S1A_T6_T7_T9_mT8_S1C_bDpT10_ENKUlT_T0_E_clISt17integral_constantIbLb0EES1O_IbLb1EEEEDaS1K_S1L_EUlS1K_E_NS1_11comp_targetILNS1_3genE8ELNS1_11target_archE1030ELNS1_3gpuE2ELNS1_3repE0EEENS1_30default_config_static_selectorELNS0_4arch9wavefront6targetE0EEEvSY_.has_dyn_sized_stack, 0
	.set _ZN7rocprim17ROCPRIM_400000_NS6detail17trampoline_kernelINS0_13select_configILj256ELj13ELNS0_17block_load_methodE3ELS4_3ELS4_3ELNS0_20block_scan_algorithmE0ELj4294967295EEENS1_25partition_config_selectorILNS1_17partition_subalgoE3EjNS0_10empty_typeEbEEZZNS1_14partition_implILS8_3ELb0ES6_jNS0_17counting_iteratorIjlEEPS9_SE_NS0_5tupleIJPjSE_EEENSF_IJSE_SE_EEES9_SG_JZNS1_25segmented_radix_sort_implINS0_14default_configELb1EPKsPsPKlPlN2at6native12_GLOBAL__N_18offset_tEEE10hipError_tPvRmT1_PNSt15iterator_traitsISY_E10value_typeET2_T3_PNSZ_IS14_E10value_typeET4_jRbjT5_S1A_jjP12ihipStream_tbEUljE_EEESV_SW_SX_S14_S18_S1A_T6_T7_T9_mT8_S1C_bDpT10_ENKUlT_T0_E_clISt17integral_constantIbLb0EES1O_IbLb1EEEEDaS1K_S1L_EUlS1K_E_NS1_11comp_targetILNS1_3genE8ELNS1_11target_archE1030ELNS1_3gpuE2ELNS1_3repE0EEENS1_30default_config_static_selectorELNS0_4arch9wavefront6targetE0EEEvSY_.has_recursion, 0
	.set _ZN7rocprim17ROCPRIM_400000_NS6detail17trampoline_kernelINS0_13select_configILj256ELj13ELNS0_17block_load_methodE3ELS4_3ELS4_3ELNS0_20block_scan_algorithmE0ELj4294967295EEENS1_25partition_config_selectorILNS1_17partition_subalgoE3EjNS0_10empty_typeEbEEZZNS1_14partition_implILS8_3ELb0ES6_jNS0_17counting_iteratorIjlEEPS9_SE_NS0_5tupleIJPjSE_EEENSF_IJSE_SE_EEES9_SG_JZNS1_25segmented_radix_sort_implINS0_14default_configELb1EPKsPsPKlPlN2at6native12_GLOBAL__N_18offset_tEEE10hipError_tPvRmT1_PNSt15iterator_traitsISY_E10value_typeET2_T3_PNSZ_IS14_E10value_typeET4_jRbjT5_S1A_jjP12ihipStream_tbEUljE_EEESV_SW_SX_S14_S18_S1A_T6_T7_T9_mT8_S1C_bDpT10_ENKUlT_T0_E_clISt17integral_constantIbLb0EES1O_IbLb1EEEEDaS1K_S1L_EUlS1K_E_NS1_11comp_targetILNS1_3genE8ELNS1_11target_archE1030ELNS1_3gpuE2ELNS1_3repE0EEENS1_30default_config_static_selectorELNS0_4arch9wavefront6targetE0EEEvSY_.has_indirect_call, 0
	.section	.AMDGPU.csdata,"",@progbits
; Kernel info:
; codeLenInByte = 0
; TotalNumSgprs: 0
; NumVgprs: 0
; ScratchSize: 0
; MemoryBound: 0
; FloatMode: 240
; IeeeMode: 1
; LDSByteSize: 0 bytes/workgroup (compile time only)
; SGPRBlocks: 0
; VGPRBlocks: 0
; NumSGPRsForWavesPerEU: 1
; NumVGPRsForWavesPerEU: 1
; Occupancy: 16
; WaveLimiterHint : 0
; COMPUTE_PGM_RSRC2:SCRATCH_EN: 0
; COMPUTE_PGM_RSRC2:USER_SGPR: 2
; COMPUTE_PGM_RSRC2:TRAP_HANDLER: 0
; COMPUTE_PGM_RSRC2:TGID_X_EN: 1
; COMPUTE_PGM_RSRC2:TGID_Y_EN: 0
; COMPUTE_PGM_RSRC2:TGID_Z_EN: 0
; COMPUTE_PGM_RSRC2:TIDIG_COMP_CNT: 0
	.section	.text._ZN7rocprim17ROCPRIM_400000_NS6detail17trampoline_kernelINS0_14default_configENS1_36segmented_radix_sort_config_selectorIslEEZNS1_25segmented_radix_sort_implIS3_Lb1EPKsPsPKlPlN2at6native12_GLOBAL__N_18offset_tEEE10hipError_tPvRmT1_PNSt15iterator_traitsISK_E10value_typeET2_T3_PNSL_ISQ_E10value_typeET4_jRbjT5_SW_jjP12ihipStream_tbEUlT_E_NS1_11comp_targetILNS1_3genE0ELNS1_11target_archE4294967295ELNS1_3gpuE0ELNS1_3repE0EEENS1_30default_config_static_selectorELNS0_4arch9wavefront6targetE0EEEvSK_,"axG",@progbits,_ZN7rocprim17ROCPRIM_400000_NS6detail17trampoline_kernelINS0_14default_configENS1_36segmented_radix_sort_config_selectorIslEEZNS1_25segmented_radix_sort_implIS3_Lb1EPKsPsPKlPlN2at6native12_GLOBAL__N_18offset_tEEE10hipError_tPvRmT1_PNSt15iterator_traitsISK_E10value_typeET2_T3_PNSL_ISQ_E10value_typeET4_jRbjT5_SW_jjP12ihipStream_tbEUlT_E_NS1_11comp_targetILNS1_3genE0ELNS1_11target_archE4294967295ELNS1_3gpuE0ELNS1_3repE0EEENS1_30default_config_static_selectorELNS0_4arch9wavefront6targetE0EEEvSK_,comdat
	.globl	_ZN7rocprim17ROCPRIM_400000_NS6detail17trampoline_kernelINS0_14default_configENS1_36segmented_radix_sort_config_selectorIslEEZNS1_25segmented_radix_sort_implIS3_Lb1EPKsPsPKlPlN2at6native12_GLOBAL__N_18offset_tEEE10hipError_tPvRmT1_PNSt15iterator_traitsISK_E10value_typeET2_T3_PNSL_ISQ_E10value_typeET4_jRbjT5_SW_jjP12ihipStream_tbEUlT_E_NS1_11comp_targetILNS1_3genE0ELNS1_11target_archE4294967295ELNS1_3gpuE0ELNS1_3repE0EEENS1_30default_config_static_selectorELNS0_4arch9wavefront6targetE0EEEvSK_ ; -- Begin function _ZN7rocprim17ROCPRIM_400000_NS6detail17trampoline_kernelINS0_14default_configENS1_36segmented_radix_sort_config_selectorIslEEZNS1_25segmented_radix_sort_implIS3_Lb1EPKsPsPKlPlN2at6native12_GLOBAL__N_18offset_tEEE10hipError_tPvRmT1_PNSt15iterator_traitsISK_E10value_typeET2_T3_PNSL_ISQ_E10value_typeET4_jRbjT5_SW_jjP12ihipStream_tbEUlT_E_NS1_11comp_targetILNS1_3genE0ELNS1_11target_archE4294967295ELNS1_3gpuE0ELNS1_3repE0EEENS1_30default_config_static_selectorELNS0_4arch9wavefront6targetE0EEEvSK_
	.p2align	8
	.type	_ZN7rocprim17ROCPRIM_400000_NS6detail17trampoline_kernelINS0_14default_configENS1_36segmented_radix_sort_config_selectorIslEEZNS1_25segmented_radix_sort_implIS3_Lb1EPKsPsPKlPlN2at6native12_GLOBAL__N_18offset_tEEE10hipError_tPvRmT1_PNSt15iterator_traitsISK_E10value_typeET2_T3_PNSL_ISQ_E10value_typeET4_jRbjT5_SW_jjP12ihipStream_tbEUlT_E_NS1_11comp_targetILNS1_3genE0ELNS1_11target_archE4294967295ELNS1_3gpuE0ELNS1_3repE0EEENS1_30default_config_static_selectorELNS0_4arch9wavefront6targetE0EEEvSK_,@function
_ZN7rocprim17ROCPRIM_400000_NS6detail17trampoline_kernelINS0_14default_configENS1_36segmented_radix_sort_config_selectorIslEEZNS1_25segmented_radix_sort_implIS3_Lb1EPKsPsPKlPlN2at6native12_GLOBAL__N_18offset_tEEE10hipError_tPvRmT1_PNSt15iterator_traitsISK_E10value_typeET2_T3_PNSL_ISQ_E10value_typeET4_jRbjT5_SW_jjP12ihipStream_tbEUlT_E_NS1_11comp_targetILNS1_3genE0ELNS1_11target_archE4294967295ELNS1_3gpuE0ELNS1_3repE0EEENS1_30default_config_static_selectorELNS0_4arch9wavefront6targetE0EEEvSK_: ; @_ZN7rocprim17ROCPRIM_400000_NS6detail17trampoline_kernelINS0_14default_configENS1_36segmented_radix_sort_config_selectorIslEEZNS1_25segmented_radix_sort_implIS3_Lb1EPKsPsPKlPlN2at6native12_GLOBAL__N_18offset_tEEE10hipError_tPvRmT1_PNSt15iterator_traitsISK_E10value_typeET2_T3_PNSL_ISQ_E10value_typeET4_jRbjT5_SW_jjP12ihipStream_tbEUlT_E_NS1_11comp_targetILNS1_3genE0ELNS1_11target_archE4294967295ELNS1_3gpuE0ELNS1_3repE0EEENS1_30default_config_static_selectorELNS0_4arch9wavefront6targetE0EEEvSK_
; %bb.0:
	.section	.rodata,"a",@progbits
	.p2align	6, 0x0
	.amdhsa_kernel _ZN7rocprim17ROCPRIM_400000_NS6detail17trampoline_kernelINS0_14default_configENS1_36segmented_radix_sort_config_selectorIslEEZNS1_25segmented_radix_sort_implIS3_Lb1EPKsPsPKlPlN2at6native12_GLOBAL__N_18offset_tEEE10hipError_tPvRmT1_PNSt15iterator_traitsISK_E10value_typeET2_T3_PNSL_ISQ_E10value_typeET4_jRbjT5_SW_jjP12ihipStream_tbEUlT_E_NS1_11comp_targetILNS1_3genE0ELNS1_11target_archE4294967295ELNS1_3gpuE0ELNS1_3repE0EEENS1_30default_config_static_selectorELNS0_4arch9wavefront6targetE0EEEvSK_
		.amdhsa_group_segment_fixed_size 0
		.amdhsa_private_segment_fixed_size 0
		.amdhsa_kernarg_size 96
		.amdhsa_user_sgpr_count 2
		.amdhsa_user_sgpr_dispatch_ptr 0
		.amdhsa_user_sgpr_queue_ptr 0
		.amdhsa_user_sgpr_kernarg_segment_ptr 1
		.amdhsa_user_sgpr_dispatch_id 0
		.amdhsa_user_sgpr_private_segment_size 0
		.amdhsa_wavefront_size32 1
		.amdhsa_uses_dynamic_stack 0
		.amdhsa_enable_private_segment 0
		.amdhsa_system_sgpr_workgroup_id_x 1
		.amdhsa_system_sgpr_workgroup_id_y 0
		.amdhsa_system_sgpr_workgroup_id_z 0
		.amdhsa_system_sgpr_workgroup_info 0
		.amdhsa_system_vgpr_workitem_id 0
		.amdhsa_next_free_vgpr 1
		.amdhsa_next_free_sgpr 1
		.amdhsa_reserve_vcc 0
		.amdhsa_float_round_mode_32 0
		.amdhsa_float_round_mode_16_64 0
		.amdhsa_float_denorm_mode_32 3
		.amdhsa_float_denorm_mode_16_64 3
		.amdhsa_fp16_overflow 0
		.amdhsa_workgroup_processor_mode 1
		.amdhsa_memory_ordered 1
		.amdhsa_forward_progress 1
		.amdhsa_inst_pref_size 0
		.amdhsa_round_robin_scheduling 0
		.amdhsa_exception_fp_ieee_invalid_op 0
		.amdhsa_exception_fp_denorm_src 0
		.amdhsa_exception_fp_ieee_div_zero 0
		.amdhsa_exception_fp_ieee_overflow 0
		.amdhsa_exception_fp_ieee_underflow 0
		.amdhsa_exception_fp_ieee_inexact 0
		.amdhsa_exception_int_div_zero 0
	.end_amdhsa_kernel
	.section	.text._ZN7rocprim17ROCPRIM_400000_NS6detail17trampoline_kernelINS0_14default_configENS1_36segmented_radix_sort_config_selectorIslEEZNS1_25segmented_radix_sort_implIS3_Lb1EPKsPsPKlPlN2at6native12_GLOBAL__N_18offset_tEEE10hipError_tPvRmT1_PNSt15iterator_traitsISK_E10value_typeET2_T3_PNSL_ISQ_E10value_typeET4_jRbjT5_SW_jjP12ihipStream_tbEUlT_E_NS1_11comp_targetILNS1_3genE0ELNS1_11target_archE4294967295ELNS1_3gpuE0ELNS1_3repE0EEENS1_30default_config_static_selectorELNS0_4arch9wavefront6targetE0EEEvSK_,"axG",@progbits,_ZN7rocprim17ROCPRIM_400000_NS6detail17trampoline_kernelINS0_14default_configENS1_36segmented_radix_sort_config_selectorIslEEZNS1_25segmented_radix_sort_implIS3_Lb1EPKsPsPKlPlN2at6native12_GLOBAL__N_18offset_tEEE10hipError_tPvRmT1_PNSt15iterator_traitsISK_E10value_typeET2_T3_PNSL_ISQ_E10value_typeET4_jRbjT5_SW_jjP12ihipStream_tbEUlT_E_NS1_11comp_targetILNS1_3genE0ELNS1_11target_archE4294967295ELNS1_3gpuE0ELNS1_3repE0EEENS1_30default_config_static_selectorELNS0_4arch9wavefront6targetE0EEEvSK_,comdat
.Lfunc_end911:
	.size	_ZN7rocprim17ROCPRIM_400000_NS6detail17trampoline_kernelINS0_14default_configENS1_36segmented_radix_sort_config_selectorIslEEZNS1_25segmented_radix_sort_implIS3_Lb1EPKsPsPKlPlN2at6native12_GLOBAL__N_18offset_tEEE10hipError_tPvRmT1_PNSt15iterator_traitsISK_E10value_typeET2_T3_PNSL_ISQ_E10value_typeET4_jRbjT5_SW_jjP12ihipStream_tbEUlT_E_NS1_11comp_targetILNS1_3genE0ELNS1_11target_archE4294967295ELNS1_3gpuE0ELNS1_3repE0EEENS1_30default_config_static_selectorELNS0_4arch9wavefront6targetE0EEEvSK_, .Lfunc_end911-_ZN7rocprim17ROCPRIM_400000_NS6detail17trampoline_kernelINS0_14default_configENS1_36segmented_radix_sort_config_selectorIslEEZNS1_25segmented_radix_sort_implIS3_Lb1EPKsPsPKlPlN2at6native12_GLOBAL__N_18offset_tEEE10hipError_tPvRmT1_PNSt15iterator_traitsISK_E10value_typeET2_T3_PNSL_ISQ_E10value_typeET4_jRbjT5_SW_jjP12ihipStream_tbEUlT_E_NS1_11comp_targetILNS1_3genE0ELNS1_11target_archE4294967295ELNS1_3gpuE0ELNS1_3repE0EEENS1_30default_config_static_selectorELNS0_4arch9wavefront6targetE0EEEvSK_
                                        ; -- End function
	.set _ZN7rocprim17ROCPRIM_400000_NS6detail17trampoline_kernelINS0_14default_configENS1_36segmented_radix_sort_config_selectorIslEEZNS1_25segmented_radix_sort_implIS3_Lb1EPKsPsPKlPlN2at6native12_GLOBAL__N_18offset_tEEE10hipError_tPvRmT1_PNSt15iterator_traitsISK_E10value_typeET2_T3_PNSL_ISQ_E10value_typeET4_jRbjT5_SW_jjP12ihipStream_tbEUlT_E_NS1_11comp_targetILNS1_3genE0ELNS1_11target_archE4294967295ELNS1_3gpuE0ELNS1_3repE0EEENS1_30default_config_static_selectorELNS0_4arch9wavefront6targetE0EEEvSK_.num_vgpr, 0
	.set _ZN7rocprim17ROCPRIM_400000_NS6detail17trampoline_kernelINS0_14default_configENS1_36segmented_radix_sort_config_selectorIslEEZNS1_25segmented_radix_sort_implIS3_Lb1EPKsPsPKlPlN2at6native12_GLOBAL__N_18offset_tEEE10hipError_tPvRmT1_PNSt15iterator_traitsISK_E10value_typeET2_T3_PNSL_ISQ_E10value_typeET4_jRbjT5_SW_jjP12ihipStream_tbEUlT_E_NS1_11comp_targetILNS1_3genE0ELNS1_11target_archE4294967295ELNS1_3gpuE0ELNS1_3repE0EEENS1_30default_config_static_selectorELNS0_4arch9wavefront6targetE0EEEvSK_.num_agpr, 0
	.set _ZN7rocprim17ROCPRIM_400000_NS6detail17trampoline_kernelINS0_14default_configENS1_36segmented_radix_sort_config_selectorIslEEZNS1_25segmented_radix_sort_implIS3_Lb1EPKsPsPKlPlN2at6native12_GLOBAL__N_18offset_tEEE10hipError_tPvRmT1_PNSt15iterator_traitsISK_E10value_typeET2_T3_PNSL_ISQ_E10value_typeET4_jRbjT5_SW_jjP12ihipStream_tbEUlT_E_NS1_11comp_targetILNS1_3genE0ELNS1_11target_archE4294967295ELNS1_3gpuE0ELNS1_3repE0EEENS1_30default_config_static_selectorELNS0_4arch9wavefront6targetE0EEEvSK_.numbered_sgpr, 0
	.set _ZN7rocprim17ROCPRIM_400000_NS6detail17trampoline_kernelINS0_14default_configENS1_36segmented_radix_sort_config_selectorIslEEZNS1_25segmented_radix_sort_implIS3_Lb1EPKsPsPKlPlN2at6native12_GLOBAL__N_18offset_tEEE10hipError_tPvRmT1_PNSt15iterator_traitsISK_E10value_typeET2_T3_PNSL_ISQ_E10value_typeET4_jRbjT5_SW_jjP12ihipStream_tbEUlT_E_NS1_11comp_targetILNS1_3genE0ELNS1_11target_archE4294967295ELNS1_3gpuE0ELNS1_3repE0EEENS1_30default_config_static_selectorELNS0_4arch9wavefront6targetE0EEEvSK_.num_named_barrier, 0
	.set _ZN7rocprim17ROCPRIM_400000_NS6detail17trampoline_kernelINS0_14default_configENS1_36segmented_radix_sort_config_selectorIslEEZNS1_25segmented_radix_sort_implIS3_Lb1EPKsPsPKlPlN2at6native12_GLOBAL__N_18offset_tEEE10hipError_tPvRmT1_PNSt15iterator_traitsISK_E10value_typeET2_T3_PNSL_ISQ_E10value_typeET4_jRbjT5_SW_jjP12ihipStream_tbEUlT_E_NS1_11comp_targetILNS1_3genE0ELNS1_11target_archE4294967295ELNS1_3gpuE0ELNS1_3repE0EEENS1_30default_config_static_selectorELNS0_4arch9wavefront6targetE0EEEvSK_.private_seg_size, 0
	.set _ZN7rocprim17ROCPRIM_400000_NS6detail17trampoline_kernelINS0_14default_configENS1_36segmented_radix_sort_config_selectorIslEEZNS1_25segmented_radix_sort_implIS3_Lb1EPKsPsPKlPlN2at6native12_GLOBAL__N_18offset_tEEE10hipError_tPvRmT1_PNSt15iterator_traitsISK_E10value_typeET2_T3_PNSL_ISQ_E10value_typeET4_jRbjT5_SW_jjP12ihipStream_tbEUlT_E_NS1_11comp_targetILNS1_3genE0ELNS1_11target_archE4294967295ELNS1_3gpuE0ELNS1_3repE0EEENS1_30default_config_static_selectorELNS0_4arch9wavefront6targetE0EEEvSK_.uses_vcc, 0
	.set _ZN7rocprim17ROCPRIM_400000_NS6detail17trampoline_kernelINS0_14default_configENS1_36segmented_radix_sort_config_selectorIslEEZNS1_25segmented_radix_sort_implIS3_Lb1EPKsPsPKlPlN2at6native12_GLOBAL__N_18offset_tEEE10hipError_tPvRmT1_PNSt15iterator_traitsISK_E10value_typeET2_T3_PNSL_ISQ_E10value_typeET4_jRbjT5_SW_jjP12ihipStream_tbEUlT_E_NS1_11comp_targetILNS1_3genE0ELNS1_11target_archE4294967295ELNS1_3gpuE0ELNS1_3repE0EEENS1_30default_config_static_selectorELNS0_4arch9wavefront6targetE0EEEvSK_.uses_flat_scratch, 0
	.set _ZN7rocprim17ROCPRIM_400000_NS6detail17trampoline_kernelINS0_14default_configENS1_36segmented_radix_sort_config_selectorIslEEZNS1_25segmented_radix_sort_implIS3_Lb1EPKsPsPKlPlN2at6native12_GLOBAL__N_18offset_tEEE10hipError_tPvRmT1_PNSt15iterator_traitsISK_E10value_typeET2_T3_PNSL_ISQ_E10value_typeET4_jRbjT5_SW_jjP12ihipStream_tbEUlT_E_NS1_11comp_targetILNS1_3genE0ELNS1_11target_archE4294967295ELNS1_3gpuE0ELNS1_3repE0EEENS1_30default_config_static_selectorELNS0_4arch9wavefront6targetE0EEEvSK_.has_dyn_sized_stack, 0
	.set _ZN7rocprim17ROCPRIM_400000_NS6detail17trampoline_kernelINS0_14default_configENS1_36segmented_radix_sort_config_selectorIslEEZNS1_25segmented_radix_sort_implIS3_Lb1EPKsPsPKlPlN2at6native12_GLOBAL__N_18offset_tEEE10hipError_tPvRmT1_PNSt15iterator_traitsISK_E10value_typeET2_T3_PNSL_ISQ_E10value_typeET4_jRbjT5_SW_jjP12ihipStream_tbEUlT_E_NS1_11comp_targetILNS1_3genE0ELNS1_11target_archE4294967295ELNS1_3gpuE0ELNS1_3repE0EEENS1_30default_config_static_selectorELNS0_4arch9wavefront6targetE0EEEvSK_.has_recursion, 0
	.set _ZN7rocprim17ROCPRIM_400000_NS6detail17trampoline_kernelINS0_14default_configENS1_36segmented_radix_sort_config_selectorIslEEZNS1_25segmented_radix_sort_implIS3_Lb1EPKsPsPKlPlN2at6native12_GLOBAL__N_18offset_tEEE10hipError_tPvRmT1_PNSt15iterator_traitsISK_E10value_typeET2_T3_PNSL_ISQ_E10value_typeET4_jRbjT5_SW_jjP12ihipStream_tbEUlT_E_NS1_11comp_targetILNS1_3genE0ELNS1_11target_archE4294967295ELNS1_3gpuE0ELNS1_3repE0EEENS1_30default_config_static_selectorELNS0_4arch9wavefront6targetE0EEEvSK_.has_indirect_call, 0
	.section	.AMDGPU.csdata,"",@progbits
; Kernel info:
; codeLenInByte = 0
; TotalNumSgprs: 0
; NumVgprs: 0
; ScratchSize: 0
; MemoryBound: 0
; FloatMode: 240
; IeeeMode: 1
; LDSByteSize: 0 bytes/workgroup (compile time only)
; SGPRBlocks: 0
; VGPRBlocks: 0
; NumSGPRsForWavesPerEU: 1
; NumVGPRsForWavesPerEU: 1
; Occupancy: 16
; WaveLimiterHint : 0
; COMPUTE_PGM_RSRC2:SCRATCH_EN: 0
; COMPUTE_PGM_RSRC2:USER_SGPR: 2
; COMPUTE_PGM_RSRC2:TRAP_HANDLER: 0
; COMPUTE_PGM_RSRC2:TGID_X_EN: 1
; COMPUTE_PGM_RSRC2:TGID_Y_EN: 0
; COMPUTE_PGM_RSRC2:TGID_Z_EN: 0
; COMPUTE_PGM_RSRC2:TIDIG_COMP_CNT: 0
	.section	.text._ZN7rocprim17ROCPRIM_400000_NS6detail17trampoline_kernelINS0_14default_configENS1_36segmented_radix_sort_config_selectorIslEEZNS1_25segmented_radix_sort_implIS3_Lb1EPKsPsPKlPlN2at6native12_GLOBAL__N_18offset_tEEE10hipError_tPvRmT1_PNSt15iterator_traitsISK_E10value_typeET2_T3_PNSL_ISQ_E10value_typeET4_jRbjT5_SW_jjP12ihipStream_tbEUlT_E_NS1_11comp_targetILNS1_3genE5ELNS1_11target_archE942ELNS1_3gpuE9ELNS1_3repE0EEENS1_30default_config_static_selectorELNS0_4arch9wavefront6targetE0EEEvSK_,"axG",@progbits,_ZN7rocprim17ROCPRIM_400000_NS6detail17trampoline_kernelINS0_14default_configENS1_36segmented_radix_sort_config_selectorIslEEZNS1_25segmented_radix_sort_implIS3_Lb1EPKsPsPKlPlN2at6native12_GLOBAL__N_18offset_tEEE10hipError_tPvRmT1_PNSt15iterator_traitsISK_E10value_typeET2_T3_PNSL_ISQ_E10value_typeET4_jRbjT5_SW_jjP12ihipStream_tbEUlT_E_NS1_11comp_targetILNS1_3genE5ELNS1_11target_archE942ELNS1_3gpuE9ELNS1_3repE0EEENS1_30default_config_static_selectorELNS0_4arch9wavefront6targetE0EEEvSK_,comdat
	.globl	_ZN7rocprim17ROCPRIM_400000_NS6detail17trampoline_kernelINS0_14default_configENS1_36segmented_radix_sort_config_selectorIslEEZNS1_25segmented_radix_sort_implIS3_Lb1EPKsPsPKlPlN2at6native12_GLOBAL__N_18offset_tEEE10hipError_tPvRmT1_PNSt15iterator_traitsISK_E10value_typeET2_T3_PNSL_ISQ_E10value_typeET4_jRbjT5_SW_jjP12ihipStream_tbEUlT_E_NS1_11comp_targetILNS1_3genE5ELNS1_11target_archE942ELNS1_3gpuE9ELNS1_3repE0EEENS1_30default_config_static_selectorELNS0_4arch9wavefront6targetE0EEEvSK_ ; -- Begin function _ZN7rocprim17ROCPRIM_400000_NS6detail17trampoline_kernelINS0_14default_configENS1_36segmented_radix_sort_config_selectorIslEEZNS1_25segmented_radix_sort_implIS3_Lb1EPKsPsPKlPlN2at6native12_GLOBAL__N_18offset_tEEE10hipError_tPvRmT1_PNSt15iterator_traitsISK_E10value_typeET2_T3_PNSL_ISQ_E10value_typeET4_jRbjT5_SW_jjP12ihipStream_tbEUlT_E_NS1_11comp_targetILNS1_3genE5ELNS1_11target_archE942ELNS1_3gpuE9ELNS1_3repE0EEENS1_30default_config_static_selectorELNS0_4arch9wavefront6targetE0EEEvSK_
	.p2align	8
	.type	_ZN7rocprim17ROCPRIM_400000_NS6detail17trampoline_kernelINS0_14default_configENS1_36segmented_radix_sort_config_selectorIslEEZNS1_25segmented_radix_sort_implIS3_Lb1EPKsPsPKlPlN2at6native12_GLOBAL__N_18offset_tEEE10hipError_tPvRmT1_PNSt15iterator_traitsISK_E10value_typeET2_T3_PNSL_ISQ_E10value_typeET4_jRbjT5_SW_jjP12ihipStream_tbEUlT_E_NS1_11comp_targetILNS1_3genE5ELNS1_11target_archE942ELNS1_3gpuE9ELNS1_3repE0EEENS1_30default_config_static_selectorELNS0_4arch9wavefront6targetE0EEEvSK_,@function
_ZN7rocprim17ROCPRIM_400000_NS6detail17trampoline_kernelINS0_14default_configENS1_36segmented_radix_sort_config_selectorIslEEZNS1_25segmented_radix_sort_implIS3_Lb1EPKsPsPKlPlN2at6native12_GLOBAL__N_18offset_tEEE10hipError_tPvRmT1_PNSt15iterator_traitsISK_E10value_typeET2_T3_PNSL_ISQ_E10value_typeET4_jRbjT5_SW_jjP12ihipStream_tbEUlT_E_NS1_11comp_targetILNS1_3genE5ELNS1_11target_archE942ELNS1_3gpuE9ELNS1_3repE0EEENS1_30default_config_static_selectorELNS0_4arch9wavefront6targetE0EEEvSK_: ; @_ZN7rocprim17ROCPRIM_400000_NS6detail17trampoline_kernelINS0_14default_configENS1_36segmented_radix_sort_config_selectorIslEEZNS1_25segmented_radix_sort_implIS3_Lb1EPKsPsPKlPlN2at6native12_GLOBAL__N_18offset_tEEE10hipError_tPvRmT1_PNSt15iterator_traitsISK_E10value_typeET2_T3_PNSL_ISQ_E10value_typeET4_jRbjT5_SW_jjP12ihipStream_tbEUlT_E_NS1_11comp_targetILNS1_3genE5ELNS1_11target_archE942ELNS1_3gpuE9ELNS1_3repE0EEENS1_30default_config_static_selectorELNS0_4arch9wavefront6targetE0EEEvSK_
; %bb.0:
	.section	.rodata,"a",@progbits
	.p2align	6, 0x0
	.amdhsa_kernel _ZN7rocprim17ROCPRIM_400000_NS6detail17trampoline_kernelINS0_14default_configENS1_36segmented_radix_sort_config_selectorIslEEZNS1_25segmented_radix_sort_implIS3_Lb1EPKsPsPKlPlN2at6native12_GLOBAL__N_18offset_tEEE10hipError_tPvRmT1_PNSt15iterator_traitsISK_E10value_typeET2_T3_PNSL_ISQ_E10value_typeET4_jRbjT5_SW_jjP12ihipStream_tbEUlT_E_NS1_11comp_targetILNS1_3genE5ELNS1_11target_archE942ELNS1_3gpuE9ELNS1_3repE0EEENS1_30default_config_static_selectorELNS0_4arch9wavefront6targetE0EEEvSK_
		.amdhsa_group_segment_fixed_size 0
		.amdhsa_private_segment_fixed_size 0
		.amdhsa_kernarg_size 96
		.amdhsa_user_sgpr_count 2
		.amdhsa_user_sgpr_dispatch_ptr 0
		.amdhsa_user_sgpr_queue_ptr 0
		.amdhsa_user_sgpr_kernarg_segment_ptr 1
		.amdhsa_user_sgpr_dispatch_id 0
		.amdhsa_user_sgpr_private_segment_size 0
		.amdhsa_wavefront_size32 1
		.amdhsa_uses_dynamic_stack 0
		.amdhsa_enable_private_segment 0
		.amdhsa_system_sgpr_workgroup_id_x 1
		.amdhsa_system_sgpr_workgroup_id_y 0
		.amdhsa_system_sgpr_workgroup_id_z 0
		.amdhsa_system_sgpr_workgroup_info 0
		.amdhsa_system_vgpr_workitem_id 0
		.amdhsa_next_free_vgpr 1
		.amdhsa_next_free_sgpr 1
		.amdhsa_reserve_vcc 0
		.amdhsa_float_round_mode_32 0
		.amdhsa_float_round_mode_16_64 0
		.amdhsa_float_denorm_mode_32 3
		.amdhsa_float_denorm_mode_16_64 3
		.amdhsa_fp16_overflow 0
		.amdhsa_workgroup_processor_mode 1
		.amdhsa_memory_ordered 1
		.amdhsa_forward_progress 1
		.amdhsa_inst_pref_size 0
		.amdhsa_round_robin_scheduling 0
		.amdhsa_exception_fp_ieee_invalid_op 0
		.amdhsa_exception_fp_denorm_src 0
		.amdhsa_exception_fp_ieee_div_zero 0
		.amdhsa_exception_fp_ieee_overflow 0
		.amdhsa_exception_fp_ieee_underflow 0
		.amdhsa_exception_fp_ieee_inexact 0
		.amdhsa_exception_int_div_zero 0
	.end_amdhsa_kernel
	.section	.text._ZN7rocprim17ROCPRIM_400000_NS6detail17trampoline_kernelINS0_14default_configENS1_36segmented_radix_sort_config_selectorIslEEZNS1_25segmented_radix_sort_implIS3_Lb1EPKsPsPKlPlN2at6native12_GLOBAL__N_18offset_tEEE10hipError_tPvRmT1_PNSt15iterator_traitsISK_E10value_typeET2_T3_PNSL_ISQ_E10value_typeET4_jRbjT5_SW_jjP12ihipStream_tbEUlT_E_NS1_11comp_targetILNS1_3genE5ELNS1_11target_archE942ELNS1_3gpuE9ELNS1_3repE0EEENS1_30default_config_static_selectorELNS0_4arch9wavefront6targetE0EEEvSK_,"axG",@progbits,_ZN7rocprim17ROCPRIM_400000_NS6detail17trampoline_kernelINS0_14default_configENS1_36segmented_radix_sort_config_selectorIslEEZNS1_25segmented_radix_sort_implIS3_Lb1EPKsPsPKlPlN2at6native12_GLOBAL__N_18offset_tEEE10hipError_tPvRmT1_PNSt15iterator_traitsISK_E10value_typeET2_T3_PNSL_ISQ_E10value_typeET4_jRbjT5_SW_jjP12ihipStream_tbEUlT_E_NS1_11comp_targetILNS1_3genE5ELNS1_11target_archE942ELNS1_3gpuE9ELNS1_3repE0EEENS1_30default_config_static_selectorELNS0_4arch9wavefront6targetE0EEEvSK_,comdat
.Lfunc_end912:
	.size	_ZN7rocprim17ROCPRIM_400000_NS6detail17trampoline_kernelINS0_14default_configENS1_36segmented_radix_sort_config_selectorIslEEZNS1_25segmented_radix_sort_implIS3_Lb1EPKsPsPKlPlN2at6native12_GLOBAL__N_18offset_tEEE10hipError_tPvRmT1_PNSt15iterator_traitsISK_E10value_typeET2_T3_PNSL_ISQ_E10value_typeET4_jRbjT5_SW_jjP12ihipStream_tbEUlT_E_NS1_11comp_targetILNS1_3genE5ELNS1_11target_archE942ELNS1_3gpuE9ELNS1_3repE0EEENS1_30default_config_static_selectorELNS0_4arch9wavefront6targetE0EEEvSK_, .Lfunc_end912-_ZN7rocprim17ROCPRIM_400000_NS6detail17trampoline_kernelINS0_14default_configENS1_36segmented_radix_sort_config_selectorIslEEZNS1_25segmented_radix_sort_implIS3_Lb1EPKsPsPKlPlN2at6native12_GLOBAL__N_18offset_tEEE10hipError_tPvRmT1_PNSt15iterator_traitsISK_E10value_typeET2_T3_PNSL_ISQ_E10value_typeET4_jRbjT5_SW_jjP12ihipStream_tbEUlT_E_NS1_11comp_targetILNS1_3genE5ELNS1_11target_archE942ELNS1_3gpuE9ELNS1_3repE0EEENS1_30default_config_static_selectorELNS0_4arch9wavefront6targetE0EEEvSK_
                                        ; -- End function
	.set _ZN7rocprim17ROCPRIM_400000_NS6detail17trampoline_kernelINS0_14default_configENS1_36segmented_radix_sort_config_selectorIslEEZNS1_25segmented_radix_sort_implIS3_Lb1EPKsPsPKlPlN2at6native12_GLOBAL__N_18offset_tEEE10hipError_tPvRmT1_PNSt15iterator_traitsISK_E10value_typeET2_T3_PNSL_ISQ_E10value_typeET4_jRbjT5_SW_jjP12ihipStream_tbEUlT_E_NS1_11comp_targetILNS1_3genE5ELNS1_11target_archE942ELNS1_3gpuE9ELNS1_3repE0EEENS1_30default_config_static_selectorELNS0_4arch9wavefront6targetE0EEEvSK_.num_vgpr, 0
	.set _ZN7rocprim17ROCPRIM_400000_NS6detail17trampoline_kernelINS0_14default_configENS1_36segmented_radix_sort_config_selectorIslEEZNS1_25segmented_radix_sort_implIS3_Lb1EPKsPsPKlPlN2at6native12_GLOBAL__N_18offset_tEEE10hipError_tPvRmT1_PNSt15iterator_traitsISK_E10value_typeET2_T3_PNSL_ISQ_E10value_typeET4_jRbjT5_SW_jjP12ihipStream_tbEUlT_E_NS1_11comp_targetILNS1_3genE5ELNS1_11target_archE942ELNS1_3gpuE9ELNS1_3repE0EEENS1_30default_config_static_selectorELNS0_4arch9wavefront6targetE0EEEvSK_.num_agpr, 0
	.set _ZN7rocprim17ROCPRIM_400000_NS6detail17trampoline_kernelINS0_14default_configENS1_36segmented_radix_sort_config_selectorIslEEZNS1_25segmented_radix_sort_implIS3_Lb1EPKsPsPKlPlN2at6native12_GLOBAL__N_18offset_tEEE10hipError_tPvRmT1_PNSt15iterator_traitsISK_E10value_typeET2_T3_PNSL_ISQ_E10value_typeET4_jRbjT5_SW_jjP12ihipStream_tbEUlT_E_NS1_11comp_targetILNS1_3genE5ELNS1_11target_archE942ELNS1_3gpuE9ELNS1_3repE0EEENS1_30default_config_static_selectorELNS0_4arch9wavefront6targetE0EEEvSK_.numbered_sgpr, 0
	.set _ZN7rocprim17ROCPRIM_400000_NS6detail17trampoline_kernelINS0_14default_configENS1_36segmented_radix_sort_config_selectorIslEEZNS1_25segmented_radix_sort_implIS3_Lb1EPKsPsPKlPlN2at6native12_GLOBAL__N_18offset_tEEE10hipError_tPvRmT1_PNSt15iterator_traitsISK_E10value_typeET2_T3_PNSL_ISQ_E10value_typeET4_jRbjT5_SW_jjP12ihipStream_tbEUlT_E_NS1_11comp_targetILNS1_3genE5ELNS1_11target_archE942ELNS1_3gpuE9ELNS1_3repE0EEENS1_30default_config_static_selectorELNS0_4arch9wavefront6targetE0EEEvSK_.num_named_barrier, 0
	.set _ZN7rocprim17ROCPRIM_400000_NS6detail17trampoline_kernelINS0_14default_configENS1_36segmented_radix_sort_config_selectorIslEEZNS1_25segmented_radix_sort_implIS3_Lb1EPKsPsPKlPlN2at6native12_GLOBAL__N_18offset_tEEE10hipError_tPvRmT1_PNSt15iterator_traitsISK_E10value_typeET2_T3_PNSL_ISQ_E10value_typeET4_jRbjT5_SW_jjP12ihipStream_tbEUlT_E_NS1_11comp_targetILNS1_3genE5ELNS1_11target_archE942ELNS1_3gpuE9ELNS1_3repE0EEENS1_30default_config_static_selectorELNS0_4arch9wavefront6targetE0EEEvSK_.private_seg_size, 0
	.set _ZN7rocprim17ROCPRIM_400000_NS6detail17trampoline_kernelINS0_14default_configENS1_36segmented_radix_sort_config_selectorIslEEZNS1_25segmented_radix_sort_implIS3_Lb1EPKsPsPKlPlN2at6native12_GLOBAL__N_18offset_tEEE10hipError_tPvRmT1_PNSt15iterator_traitsISK_E10value_typeET2_T3_PNSL_ISQ_E10value_typeET4_jRbjT5_SW_jjP12ihipStream_tbEUlT_E_NS1_11comp_targetILNS1_3genE5ELNS1_11target_archE942ELNS1_3gpuE9ELNS1_3repE0EEENS1_30default_config_static_selectorELNS0_4arch9wavefront6targetE0EEEvSK_.uses_vcc, 0
	.set _ZN7rocprim17ROCPRIM_400000_NS6detail17trampoline_kernelINS0_14default_configENS1_36segmented_radix_sort_config_selectorIslEEZNS1_25segmented_radix_sort_implIS3_Lb1EPKsPsPKlPlN2at6native12_GLOBAL__N_18offset_tEEE10hipError_tPvRmT1_PNSt15iterator_traitsISK_E10value_typeET2_T3_PNSL_ISQ_E10value_typeET4_jRbjT5_SW_jjP12ihipStream_tbEUlT_E_NS1_11comp_targetILNS1_3genE5ELNS1_11target_archE942ELNS1_3gpuE9ELNS1_3repE0EEENS1_30default_config_static_selectorELNS0_4arch9wavefront6targetE0EEEvSK_.uses_flat_scratch, 0
	.set _ZN7rocprim17ROCPRIM_400000_NS6detail17trampoline_kernelINS0_14default_configENS1_36segmented_radix_sort_config_selectorIslEEZNS1_25segmented_radix_sort_implIS3_Lb1EPKsPsPKlPlN2at6native12_GLOBAL__N_18offset_tEEE10hipError_tPvRmT1_PNSt15iterator_traitsISK_E10value_typeET2_T3_PNSL_ISQ_E10value_typeET4_jRbjT5_SW_jjP12ihipStream_tbEUlT_E_NS1_11comp_targetILNS1_3genE5ELNS1_11target_archE942ELNS1_3gpuE9ELNS1_3repE0EEENS1_30default_config_static_selectorELNS0_4arch9wavefront6targetE0EEEvSK_.has_dyn_sized_stack, 0
	.set _ZN7rocprim17ROCPRIM_400000_NS6detail17trampoline_kernelINS0_14default_configENS1_36segmented_radix_sort_config_selectorIslEEZNS1_25segmented_radix_sort_implIS3_Lb1EPKsPsPKlPlN2at6native12_GLOBAL__N_18offset_tEEE10hipError_tPvRmT1_PNSt15iterator_traitsISK_E10value_typeET2_T3_PNSL_ISQ_E10value_typeET4_jRbjT5_SW_jjP12ihipStream_tbEUlT_E_NS1_11comp_targetILNS1_3genE5ELNS1_11target_archE942ELNS1_3gpuE9ELNS1_3repE0EEENS1_30default_config_static_selectorELNS0_4arch9wavefront6targetE0EEEvSK_.has_recursion, 0
	.set _ZN7rocprim17ROCPRIM_400000_NS6detail17trampoline_kernelINS0_14default_configENS1_36segmented_radix_sort_config_selectorIslEEZNS1_25segmented_radix_sort_implIS3_Lb1EPKsPsPKlPlN2at6native12_GLOBAL__N_18offset_tEEE10hipError_tPvRmT1_PNSt15iterator_traitsISK_E10value_typeET2_T3_PNSL_ISQ_E10value_typeET4_jRbjT5_SW_jjP12ihipStream_tbEUlT_E_NS1_11comp_targetILNS1_3genE5ELNS1_11target_archE942ELNS1_3gpuE9ELNS1_3repE0EEENS1_30default_config_static_selectorELNS0_4arch9wavefront6targetE0EEEvSK_.has_indirect_call, 0
	.section	.AMDGPU.csdata,"",@progbits
; Kernel info:
; codeLenInByte = 0
; TotalNumSgprs: 0
; NumVgprs: 0
; ScratchSize: 0
; MemoryBound: 0
; FloatMode: 240
; IeeeMode: 1
; LDSByteSize: 0 bytes/workgroup (compile time only)
; SGPRBlocks: 0
; VGPRBlocks: 0
; NumSGPRsForWavesPerEU: 1
; NumVGPRsForWavesPerEU: 1
; Occupancy: 16
; WaveLimiterHint : 0
; COMPUTE_PGM_RSRC2:SCRATCH_EN: 0
; COMPUTE_PGM_RSRC2:USER_SGPR: 2
; COMPUTE_PGM_RSRC2:TRAP_HANDLER: 0
; COMPUTE_PGM_RSRC2:TGID_X_EN: 1
; COMPUTE_PGM_RSRC2:TGID_Y_EN: 0
; COMPUTE_PGM_RSRC2:TGID_Z_EN: 0
; COMPUTE_PGM_RSRC2:TIDIG_COMP_CNT: 0
	.section	.text._ZN7rocprim17ROCPRIM_400000_NS6detail17trampoline_kernelINS0_14default_configENS1_36segmented_radix_sort_config_selectorIslEEZNS1_25segmented_radix_sort_implIS3_Lb1EPKsPsPKlPlN2at6native12_GLOBAL__N_18offset_tEEE10hipError_tPvRmT1_PNSt15iterator_traitsISK_E10value_typeET2_T3_PNSL_ISQ_E10value_typeET4_jRbjT5_SW_jjP12ihipStream_tbEUlT_E_NS1_11comp_targetILNS1_3genE4ELNS1_11target_archE910ELNS1_3gpuE8ELNS1_3repE0EEENS1_30default_config_static_selectorELNS0_4arch9wavefront6targetE0EEEvSK_,"axG",@progbits,_ZN7rocprim17ROCPRIM_400000_NS6detail17trampoline_kernelINS0_14default_configENS1_36segmented_radix_sort_config_selectorIslEEZNS1_25segmented_radix_sort_implIS3_Lb1EPKsPsPKlPlN2at6native12_GLOBAL__N_18offset_tEEE10hipError_tPvRmT1_PNSt15iterator_traitsISK_E10value_typeET2_T3_PNSL_ISQ_E10value_typeET4_jRbjT5_SW_jjP12ihipStream_tbEUlT_E_NS1_11comp_targetILNS1_3genE4ELNS1_11target_archE910ELNS1_3gpuE8ELNS1_3repE0EEENS1_30default_config_static_selectorELNS0_4arch9wavefront6targetE0EEEvSK_,comdat
	.globl	_ZN7rocprim17ROCPRIM_400000_NS6detail17trampoline_kernelINS0_14default_configENS1_36segmented_radix_sort_config_selectorIslEEZNS1_25segmented_radix_sort_implIS3_Lb1EPKsPsPKlPlN2at6native12_GLOBAL__N_18offset_tEEE10hipError_tPvRmT1_PNSt15iterator_traitsISK_E10value_typeET2_T3_PNSL_ISQ_E10value_typeET4_jRbjT5_SW_jjP12ihipStream_tbEUlT_E_NS1_11comp_targetILNS1_3genE4ELNS1_11target_archE910ELNS1_3gpuE8ELNS1_3repE0EEENS1_30default_config_static_selectorELNS0_4arch9wavefront6targetE0EEEvSK_ ; -- Begin function _ZN7rocprim17ROCPRIM_400000_NS6detail17trampoline_kernelINS0_14default_configENS1_36segmented_radix_sort_config_selectorIslEEZNS1_25segmented_radix_sort_implIS3_Lb1EPKsPsPKlPlN2at6native12_GLOBAL__N_18offset_tEEE10hipError_tPvRmT1_PNSt15iterator_traitsISK_E10value_typeET2_T3_PNSL_ISQ_E10value_typeET4_jRbjT5_SW_jjP12ihipStream_tbEUlT_E_NS1_11comp_targetILNS1_3genE4ELNS1_11target_archE910ELNS1_3gpuE8ELNS1_3repE0EEENS1_30default_config_static_selectorELNS0_4arch9wavefront6targetE0EEEvSK_
	.p2align	8
	.type	_ZN7rocprim17ROCPRIM_400000_NS6detail17trampoline_kernelINS0_14default_configENS1_36segmented_radix_sort_config_selectorIslEEZNS1_25segmented_radix_sort_implIS3_Lb1EPKsPsPKlPlN2at6native12_GLOBAL__N_18offset_tEEE10hipError_tPvRmT1_PNSt15iterator_traitsISK_E10value_typeET2_T3_PNSL_ISQ_E10value_typeET4_jRbjT5_SW_jjP12ihipStream_tbEUlT_E_NS1_11comp_targetILNS1_3genE4ELNS1_11target_archE910ELNS1_3gpuE8ELNS1_3repE0EEENS1_30default_config_static_selectorELNS0_4arch9wavefront6targetE0EEEvSK_,@function
_ZN7rocprim17ROCPRIM_400000_NS6detail17trampoline_kernelINS0_14default_configENS1_36segmented_radix_sort_config_selectorIslEEZNS1_25segmented_radix_sort_implIS3_Lb1EPKsPsPKlPlN2at6native12_GLOBAL__N_18offset_tEEE10hipError_tPvRmT1_PNSt15iterator_traitsISK_E10value_typeET2_T3_PNSL_ISQ_E10value_typeET4_jRbjT5_SW_jjP12ihipStream_tbEUlT_E_NS1_11comp_targetILNS1_3genE4ELNS1_11target_archE910ELNS1_3gpuE8ELNS1_3repE0EEENS1_30default_config_static_selectorELNS0_4arch9wavefront6targetE0EEEvSK_: ; @_ZN7rocprim17ROCPRIM_400000_NS6detail17trampoline_kernelINS0_14default_configENS1_36segmented_radix_sort_config_selectorIslEEZNS1_25segmented_radix_sort_implIS3_Lb1EPKsPsPKlPlN2at6native12_GLOBAL__N_18offset_tEEE10hipError_tPvRmT1_PNSt15iterator_traitsISK_E10value_typeET2_T3_PNSL_ISQ_E10value_typeET4_jRbjT5_SW_jjP12ihipStream_tbEUlT_E_NS1_11comp_targetILNS1_3genE4ELNS1_11target_archE910ELNS1_3gpuE8ELNS1_3repE0EEENS1_30default_config_static_selectorELNS0_4arch9wavefront6targetE0EEEvSK_
; %bb.0:
	.section	.rodata,"a",@progbits
	.p2align	6, 0x0
	.amdhsa_kernel _ZN7rocprim17ROCPRIM_400000_NS6detail17trampoline_kernelINS0_14default_configENS1_36segmented_radix_sort_config_selectorIslEEZNS1_25segmented_radix_sort_implIS3_Lb1EPKsPsPKlPlN2at6native12_GLOBAL__N_18offset_tEEE10hipError_tPvRmT1_PNSt15iterator_traitsISK_E10value_typeET2_T3_PNSL_ISQ_E10value_typeET4_jRbjT5_SW_jjP12ihipStream_tbEUlT_E_NS1_11comp_targetILNS1_3genE4ELNS1_11target_archE910ELNS1_3gpuE8ELNS1_3repE0EEENS1_30default_config_static_selectorELNS0_4arch9wavefront6targetE0EEEvSK_
		.amdhsa_group_segment_fixed_size 0
		.amdhsa_private_segment_fixed_size 0
		.amdhsa_kernarg_size 96
		.amdhsa_user_sgpr_count 2
		.amdhsa_user_sgpr_dispatch_ptr 0
		.amdhsa_user_sgpr_queue_ptr 0
		.amdhsa_user_sgpr_kernarg_segment_ptr 1
		.amdhsa_user_sgpr_dispatch_id 0
		.amdhsa_user_sgpr_private_segment_size 0
		.amdhsa_wavefront_size32 1
		.amdhsa_uses_dynamic_stack 0
		.amdhsa_enable_private_segment 0
		.amdhsa_system_sgpr_workgroup_id_x 1
		.amdhsa_system_sgpr_workgroup_id_y 0
		.amdhsa_system_sgpr_workgroup_id_z 0
		.amdhsa_system_sgpr_workgroup_info 0
		.amdhsa_system_vgpr_workitem_id 0
		.amdhsa_next_free_vgpr 1
		.amdhsa_next_free_sgpr 1
		.amdhsa_reserve_vcc 0
		.amdhsa_float_round_mode_32 0
		.amdhsa_float_round_mode_16_64 0
		.amdhsa_float_denorm_mode_32 3
		.amdhsa_float_denorm_mode_16_64 3
		.amdhsa_fp16_overflow 0
		.amdhsa_workgroup_processor_mode 1
		.amdhsa_memory_ordered 1
		.amdhsa_forward_progress 1
		.amdhsa_inst_pref_size 0
		.amdhsa_round_robin_scheduling 0
		.amdhsa_exception_fp_ieee_invalid_op 0
		.amdhsa_exception_fp_denorm_src 0
		.amdhsa_exception_fp_ieee_div_zero 0
		.amdhsa_exception_fp_ieee_overflow 0
		.amdhsa_exception_fp_ieee_underflow 0
		.amdhsa_exception_fp_ieee_inexact 0
		.amdhsa_exception_int_div_zero 0
	.end_amdhsa_kernel
	.section	.text._ZN7rocprim17ROCPRIM_400000_NS6detail17trampoline_kernelINS0_14default_configENS1_36segmented_radix_sort_config_selectorIslEEZNS1_25segmented_radix_sort_implIS3_Lb1EPKsPsPKlPlN2at6native12_GLOBAL__N_18offset_tEEE10hipError_tPvRmT1_PNSt15iterator_traitsISK_E10value_typeET2_T3_PNSL_ISQ_E10value_typeET4_jRbjT5_SW_jjP12ihipStream_tbEUlT_E_NS1_11comp_targetILNS1_3genE4ELNS1_11target_archE910ELNS1_3gpuE8ELNS1_3repE0EEENS1_30default_config_static_selectorELNS0_4arch9wavefront6targetE0EEEvSK_,"axG",@progbits,_ZN7rocprim17ROCPRIM_400000_NS6detail17trampoline_kernelINS0_14default_configENS1_36segmented_radix_sort_config_selectorIslEEZNS1_25segmented_radix_sort_implIS3_Lb1EPKsPsPKlPlN2at6native12_GLOBAL__N_18offset_tEEE10hipError_tPvRmT1_PNSt15iterator_traitsISK_E10value_typeET2_T3_PNSL_ISQ_E10value_typeET4_jRbjT5_SW_jjP12ihipStream_tbEUlT_E_NS1_11comp_targetILNS1_3genE4ELNS1_11target_archE910ELNS1_3gpuE8ELNS1_3repE0EEENS1_30default_config_static_selectorELNS0_4arch9wavefront6targetE0EEEvSK_,comdat
.Lfunc_end913:
	.size	_ZN7rocprim17ROCPRIM_400000_NS6detail17trampoline_kernelINS0_14default_configENS1_36segmented_radix_sort_config_selectorIslEEZNS1_25segmented_radix_sort_implIS3_Lb1EPKsPsPKlPlN2at6native12_GLOBAL__N_18offset_tEEE10hipError_tPvRmT1_PNSt15iterator_traitsISK_E10value_typeET2_T3_PNSL_ISQ_E10value_typeET4_jRbjT5_SW_jjP12ihipStream_tbEUlT_E_NS1_11comp_targetILNS1_3genE4ELNS1_11target_archE910ELNS1_3gpuE8ELNS1_3repE0EEENS1_30default_config_static_selectorELNS0_4arch9wavefront6targetE0EEEvSK_, .Lfunc_end913-_ZN7rocprim17ROCPRIM_400000_NS6detail17trampoline_kernelINS0_14default_configENS1_36segmented_radix_sort_config_selectorIslEEZNS1_25segmented_radix_sort_implIS3_Lb1EPKsPsPKlPlN2at6native12_GLOBAL__N_18offset_tEEE10hipError_tPvRmT1_PNSt15iterator_traitsISK_E10value_typeET2_T3_PNSL_ISQ_E10value_typeET4_jRbjT5_SW_jjP12ihipStream_tbEUlT_E_NS1_11comp_targetILNS1_3genE4ELNS1_11target_archE910ELNS1_3gpuE8ELNS1_3repE0EEENS1_30default_config_static_selectorELNS0_4arch9wavefront6targetE0EEEvSK_
                                        ; -- End function
	.set _ZN7rocprim17ROCPRIM_400000_NS6detail17trampoline_kernelINS0_14default_configENS1_36segmented_radix_sort_config_selectorIslEEZNS1_25segmented_radix_sort_implIS3_Lb1EPKsPsPKlPlN2at6native12_GLOBAL__N_18offset_tEEE10hipError_tPvRmT1_PNSt15iterator_traitsISK_E10value_typeET2_T3_PNSL_ISQ_E10value_typeET4_jRbjT5_SW_jjP12ihipStream_tbEUlT_E_NS1_11comp_targetILNS1_3genE4ELNS1_11target_archE910ELNS1_3gpuE8ELNS1_3repE0EEENS1_30default_config_static_selectorELNS0_4arch9wavefront6targetE0EEEvSK_.num_vgpr, 0
	.set _ZN7rocprim17ROCPRIM_400000_NS6detail17trampoline_kernelINS0_14default_configENS1_36segmented_radix_sort_config_selectorIslEEZNS1_25segmented_radix_sort_implIS3_Lb1EPKsPsPKlPlN2at6native12_GLOBAL__N_18offset_tEEE10hipError_tPvRmT1_PNSt15iterator_traitsISK_E10value_typeET2_T3_PNSL_ISQ_E10value_typeET4_jRbjT5_SW_jjP12ihipStream_tbEUlT_E_NS1_11comp_targetILNS1_3genE4ELNS1_11target_archE910ELNS1_3gpuE8ELNS1_3repE0EEENS1_30default_config_static_selectorELNS0_4arch9wavefront6targetE0EEEvSK_.num_agpr, 0
	.set _ZN7rocprim17ROCPRIM_400000_NS6detail17trampoline_kernelINS0_14default_configENS1_36segmented_radix_sort_config_selectorIslEEZNS1_25segmented_radix_sort_implIS3_Lb1EPKsPsPKlPlN2at6native12_GLOBAL__N_18offset_tEEE10hipError_tPvRmT1_PNSt15iterator_traitsISK_E10value_typeET2_T3_PNSL_ISQ_E10value_typeET4_jRbjT5_SW_jjP12ihipStream_tbEUlT_E_NS1_11comp_targetILNS1_3genE4ELNS1_11target_archE910ELNS1_3gpuE8ELNS1_3repE0EEENS1_30default_config_static_selectorELNS0_4arch9wavefront6targetE0EEEvSK_.numbered_sgpr, 0
	.set _ZN7rocprim17ROCPRIM_400000_NS6detail17trampoline_kernelINS0_14default_configENS1_36segmented_radix_sort_config_selectorIslEEZNS1_25segmented_radix_sort_implIS3_Lb1EPKsPsPKlPlN2at6native12_GLOBAL__N_18offset_tEEE10hipError_tPvRmT1_PNSt15iterator_traitsISK_E10value_typeET2_T3_PNSL_ISQ_E10value_typeET4_jRbjT5_SW_jjP12ihipStream_tbEUlT_E_NS1_11comp_targetILNS1_3genE4ELNS1_11target_archE910ELNS1_3gpuE8ELNS1_3repE0EEENS1_30default_config_static_selectorELNS0_4arch9wavefront6targetE0EEEvSK_.num_named_barrier, 0
	.set _ZN7rocprim17ROCPRIM_400000_NS6detail17trampoline_kernelINS0_14default_configENS1_36segmented_radix_sort_config_selectorIslEEZNS1_25segmented_radix_sort_implIS3_Lb1EPKsPsPKlPlN2at6native12_GLOBAL__N_18offset_tEEE10hipError_tPvRmT1_PNSt15iterator_traitsISK_E10value_typeET2_T3_PNSL_ISQ_E10value_typeET4_jRbjT5_SW_jjP12ihipStream_tbEUlT_E_NS1_11comp_targetILNS1_3genE4ELNS1_11target_archE910ELNS1_3gpuE8ELNS1_3repE0EEENS1_30default_config_static_selectorELNS0_4arch9wavefront6targetE0EEEvSK_.private_seg_size, 0
	.set _ZN7rocprim17ROCPRIM_400000_NS6detail17trampoline_kernelINS0_14default_configENS1_36segmented_radix_sort_config_selectorIslEEZNS1_25segmented_radix_sort_implIS3_Lb1EPKsPsPKlPlN2at6native12_GLOBAL__N_18offset_tEEE10hipError_tPvRmT1_PNSt15iterator_traitsISK_E10value_typeET2_T3_PNSL_ISQ_E10value_typeET4_jRbjT5_SW_jjP12ihipStream_tbEUlT_E_NS1_11comp_targetILNS1_3genE4ELNS1_11target_archE910ELNS1_3gpuE8ELNS1_3repE0EEENS1_30default_config_static_selectorELNS0_4arch9wavefront6targetE0EEEvSK_.uses_vcc, 0
	.set _ZN7rocprim17ROCPRIM_400000_NS6detail17trampoline_kernelINS0_14default_configENS1_36segmented_radix_sort_config_selectorIslEEZNS1_25segmented_radix_sort_implIS3_Lb1EPKsPsPKlPlN2at6native12_GLOBAL__N_18offset_tEEE10hipError_tPvRmT1_PNSt15iterator_traitsISK_E10value_typeET2_T3_PNSL_ISQ_E10value_typeET4_jRbjT5_SW_jjP12ihipStream_tbEUlT_E_NS1_11comp_targetILNS1_3genE4ELNS1_11target_archE910ELNS1_3gpuE8ELNS1_3repE0EEENS1_30default_config_static_selectorELNS0_4arch9wavefront6targetE0EEEvSK_.uses_flat_scratch, 0
	.set _ZN7rocprim17ROCPRIM_400000_NS6detail17trampoline_kernelINS0_14default_configENS1_36segmented_radix_sort_config_selectorIslEEZNS1_25segmented_radix_sort_implIS3_Lb1EPKsPsPKlPlN2at6native12_GLOBAL__N_18offset_tEEE10hipError_tPvRmT1_PNSt15iterator_traitsISK_E10value_typeET2_T3_PNSL_ISQ_E10value_typeET4_jRbjT5_SW_jjP12ihipStream_tbEUlT_E_NS1_11comp_targetILNS1_3genE4ELNS1_11target_archE910ELNS1_3gpuE8ELNS1_3repE0EEENS1_30default_config_static_selectorELNS0_4arch9wavefront6targetE0EEEvSK_.has_dyn_sized_stack, 0
	.set _ZN7rocprim17ROCPRIM_400000_NS6detail17trampoline_kernelINS0_14default_configENS1_36segmented_radix_sort_config_selectorIslEEZNS1_25segmented_radix_sort_implIS3_Lb1EPKsPsPKlPlN2at6native12_GLOBAL__N_18offset_tEEE10hipError_tPvRmT1_PNSt15iterator_traitsISK_E10value_typeET2_T3_PNSL_ISQ_E10value_typeET4_jRbjT5_SW_jjP12ihipStream_tbEUlT_E_NS1_11comp_targetILNS1_3genE4ELNS1_11target_archE910ELNS1_3gpuE8ELNS1_3repE0EEENS1_30default_config_static_selectorELNS0_4arch9wavefront6targetE0EEEvSK_.has_recursion, 0
	.set _ZN7rocprim17ROCPRIM_400000_NS6detail17trampoline_kernelINS0_14default_configENS1_36segmented_radix_sort_config_selectorIslEEZNS1_25segmented_radix_sort_implIS3_Lb1EPKsPsPKlPlN2at6native12_GLOBAL__N_18offset_tEEE10hipError_tPvRmT1_PNSt15iterator_traitsISK_E10value_typeET2_T3_PNSL_ISQ_E10value_typeET4_jRbjT5_SW_jjP12ihipStream_tbEUlT_E_NS1_11comp_targetILNS1_3genE4ELNS1_11target_archE910ELNS1_3gpuE8ELNS1_3repE0EEENS1_30default_config_static_selectorELNS0_4arch9wavefront6targetE0EEEvSK_.has_indirect_call, 0
	.section	.AMDGPU.csdata,"",@progbits
; Kernel info:
; codeLenInByte = 0
; TotalNumSgprs: 0
; NumVgprs: 0
; ScratchSize: 0
; MemoryBound: 0
; FloatMode: 240
; IeeeMode: 1
; LDSByteSize: 0 bytes/workgroup (compile time only)
; SGPRBlocks: 0
; VGPRBlocks: 0
; NumSGPRsForWavesPerEU: 1
; NumVGPRsForWavesPerEU: 1
; Occupancy: 16
; WaveLimiterHint : 0
; COMPUTE_PGM_RSRC2:SCRATCH_EN: 0
; COMPUTE_PGM_RSRC2:USER_SGPR: 2
; COMPUTE_PGM_RSRC2:TRAP_HANDLER: 0
; COMPUTE_PGM_RSRC2:TGID_X_EN: 1
; COMPUTE_PGM_RSRC2:TGID_Y_EN: 0
; COMPUTE_PGM_RSRC2:TGID_Z_EN: 0
; COMPUTE_PGM_RSRC2:TIDIG_COMP_CNT: 0
	.section	.text._ZN7rocprim17ROCPRIM_400000_NS6detail17trampoline_kernelINS0_14default_configENS1_36segmented_radix_sort_config_selectorIslEEZNS1_25segmented_radix_sort_implIS3_Lb1EPKsPsPKlPlN2at6native12_GLOBAL__N_18offset_tEEE10hipError_tPvRmT1_PNSt15iterator_traitsISK_E10value_typeET2_T3_PNSL_ISQ_E10value_typeET4_jRbjT5_SW_jjP12ihipStream_tbEUlT_E_NS1_11comp_targetILNS1_3genE3ELNS1_11target_archE908ELNS1_3gpuE7ELNS1_3repE0EEENS1_30default_config_static_selectorELNS0_4arch9wavefront6targetE0EEEvSK_,"axG",@progbits,_ZN7rocprim17ROCPRIM_400000_NS6detail17trampoline_kernelINS0_14default_configENS1_36segmented_radix_sort_config_selectorIslEEZNS1_25segmented_radix_sort_implIS3_Lb1EPKsPsPKlPlN2at6native12_GLOBAL__N_18offset_tEEE10hipError_tPvRmT1_PNSt15iterator_traitsISK_E10value_typeET2_T3_PNSL_ISQ_E10value_typeET4_jRbjT5_SW_jjP12ihipStream_tbEUlT_E_NS1_11comp_targetILNS1_3genE3ELNS1_11target_archE908ELNS1_3gpuE7ELNS1_3repE0EEENS1_30default_config_static_selectorELNS0_4arch9wavefront6targetE0EEEvSK_,comdat
	.globl	_ZN7rocprim17ROCPRIM_400000_NS6detail17trampoline_kernelINS0_14default_configENS1_36segmented_radix_sort_config_selectorIslEEZNS1_25segmented_radix_sort_implIS3_Lb1EPKsPsPKlPlN2at6native12_GLOBAL__N_18offset_tEEE10hipError_tPvRmT1_PNSt15iterator_traitsISK_E10value_typeET2_T3_PNSL_ISQ_E10value_typeET4_jRbjT5_SW_jjP12ihipStream_tbEUlT_E_NS1_11comp_targetILNS1_3genE3ELNS1_11target_archE908ELNS1_3gpuE7ELNS1_3repE0EEENS1_30default_config_static_selectorELNS0_4arch9wavefront6targetE0EEEvSK_ ; -- Begin function _ZN7rocprim17ROCPRIM_400000_NS6detail17trampoline_kernelINS0_14default_configENS1_36segmented_radix_sort_config_selectorIslEEZNS1_25segmented_radix_sort_implIS3_Lb1EPKsPsPKlPlN2at6native12_GLOBAL__N_18offset_tEEE10hipError_tPvRmT1_PNSt15iterator_traitsISK_E10value_typeET2_T3_PNSL_ISQ_E10value_typeET4_jRbjT5_SW_jjP12ihipStream_tbEUlT_E_NS1_11comp_targetILNS1_3genE3ELNS1_11target_archE908ELNS1_3gpuE7ELNS1_3repE0EEENS1_30default_config_static_selectorELNS0_4arch9wavefront6targetE0EEEvSK_
	.p2align	8
	.type	_ZN7rocprim17ROCPRIM_400000_NS6detail17trampoline_kernelINS0_14default_configENS1_36segmented_radix_sort_config_selectorIslEEZNS1_25segmented_radix_sort_implIS3_Lb1EPKsPsPKlPlN2at6native12_GLOBAL__N_18offset_tEEE10hipError_tPvRmT1_PNSt15iterator_traitsISK_E10value_typeET2_T3_PNSL_ISQ_E10value_typeET4_jRbjT5_SW_jjP12ihipStream_tbEUlT_E_NS1_11comp_targetILNS1_3genE3ELNS1_11target_archE908ELNS1_3gpuE7ELNS1_3repE0EEENS1_30default_config_static_selectorELNS0_4arch9wavefront6targetE0EEEvSK_,@function
_ZN7rocprim17ROCPRIM_400000_NS6detail17trampoline_kernelINS0_14default_configENS1_36segmented_radix_sort_config_selectorIslEEZNS1_25segmented_radix_sort_implIS3_Lb1EPKsPsPKlPlN2at6native12_GLOBAL__N_18offset_tEEE10hipError_tPvRmT1_PNSt15iterator_traitsISK_E10value_typeET2_T3_PNSL_ISQ_E10value_typeET4_jRbjT5_SW_jjP12ihipStream_tbEUlT_E_NS1_11comp_targetILNS1_3genE3ELNS1_11target_archE908ELNS1_3gpuE7ELNS1_3repE0EEENS1_30default_config_static_selectorELNS0_4arch9wavefront6targetE0EEEvSK_: ; @_ZN7rocprim17ROCPRIM_400000_NS6detail17trampoline_kernelINS0_14default_configENS1_36segmented_radix_sort_config_selectorIslEEZNS1_25segmented_radix_sort_implIS3_Lb1EPKsPsPKlPlN2at6native12_GLOBAL__N_18offset_tEEE10hipError_tPvRmT1_PNSt15iterator_traitsISK_E10value_typeET2_T3_PNSL_ISQ_E10value_typeET4_jRbjT5_SW_jjP12ihipStream_tbEUlT_E_NS1_11comp_targetILNS1_3genE3ELNS1_11target_archE908ELNS1_3gpuE7ELNS1_3repE0EEENS1_30default_config_static_selectorELNS0_4arch9wavefront6targetE0EEEvSK_
; %bb.0:
	.section	.rodata,"a",@progbits
	.p2align	6, 0x0
	.amdhsa_kernel _ZN7rocprim17ROCPRIM_400000_NS6detail17trampoline_kernelINS0_14default_configENS1_36segmented_radix_sort_config_selectorIslEEZNS1_25segmented_radix_sort_implIS3_Lb1EPKsPsPKlPlN2at6native12_GLOBAL__N_18offset_tEEE10hipError_tPvRmT1_PNSt15iterator_traitsISK_E10value_typeET2_T3_PNSL_ISQ_E10value_typeET4_jRbjT5_SW_jjP12ihipStream_tbEUlT_E_NS1_11comp_targetILNS1_3genE3ELNS1_11target_archE908ELNS1_3gpuE7ELNS1_3repE0EEENS1_30default_config_static_selectorELNS0_4arch9wavefront6targetE0EEEvSK_
		.amdhsa_group_segment_fixed_size 0
		.amdhsa_private_segment_fixed_size 0
		.amdhsa_kernarg_size 96
		.amdhsa_user_sgpr_count 2
		.amdhsa_user_sgpr_dispatch_ptr 0
		.amdhsa_user_sgpr_queue_ptr 0
		.amdhsa_user_sgpr_kernarg_segment_ptr 1
		.amdhsa_user_sgpr_dispatch_id 0
		.amdhsa_user_sgpr_private_segment_size 0
		.amdhsa_wavefront_size32 1
		.amdhsa_uses_dynamic_stack 0
		.amdhsa_enable_private_segment 0
		.amdhsa_system_sgpr_workgroup_id_x 1
		.amdhsa_system_sgpr_workgroup_id_y 0
		.amdhsa_system_sgpr_workgroup_id_z 0
		.amdhsa_system_sgpr_workgroup_info 0
		.amdhsa_system_vgpr_workitem_id 0
		.amdhsa_next_free_vgpr 1
		.amdhsa_next_free_sgpr 1
		.amdhsa_reserve_vcc 0
		.amdhsa_float_round_mode_32 0
		.amdhsa_float_round_mode_16_64 0
		.amdhsa_float_denorm_mode_32 3
		.amdhsa_float_denorm_mode_16_64 3
		.amdhsa_fp16_overflow 0
		.amdhsa_workgroup_processor_mode 1
		.amdhsa_memory_ordered 1
		.amdhsa_forward_progress 1
		.amdhsa_inst_pref_size 0
		.amdhsa_round_robin_scheduling 0
		.amdhsa_exception_fp_ieee_invalid_op 0
		.amdhsa_exception_fp_denorm_src 0
		.amdhsa_exception_fp_ieee_div_zero 0
		.amdhsa_exception_fp_ieee_overflow 0
		.amdhsa_exception_fp_ieee_underflow 0
		.amdhsa_exception_fp_ieee_inexact 0
		.amdhsa_exception_int_div_zero 0
	.end_amdhsa_kernel
	.section	.text._ZN7rocprim17ROCPRIM_400000_NS6detail17trampoline_kernelINS0_14default_configENS1_36segmented_radix_sort_config_selectorIslEEZNS1_25segmented_radix_sort_implIS3_Lb1EPKsPsPKlPlN2at6native12_GLOBAL__N_18offset_tEEE10hipError_tPvRmT1_PNSt15iterator_traitsISK_E10value_typeET2_T3_PNSL_ISQ_E10value_typeET4_jRbjT5_SW_jjP12ihipStream_tbEUlT_E_NS1_11comp_targetILNS1_3genE3ELNS1_11target_archE908ELNS1_3gpuE7ELNS1_3repE0EEENS1_30default_config_static_selectorELNS0_4arch9wavefront6targetE0EEEvSK_,"axG",@progbits,_ZN7rocprim17ROCPRIM_400000_NS6detail17trampoline_kernelINS0_14default_configENS1_36segmented_radix_sort_config_selectorIslEEZNS1_25segmented_radix_sort_implIS3_Lb1EPKsPsPKlPlN2at6native12_GLOBAL__N_18offset_tEEE10hipError_tPvRmT1_PNSt15iterator_traitsISK_E10value_typeET2_T3_PNSL_ISQ_E10value_typeET4_jRbjT5_SW_jjP12ihipStream_tbEUlT_E_NS1_11comp_targetILNS1_3genE3ELNS1_11target_archE908ELNS1_3gpuE7ELNS1_3repE0EEENS1_30default_config_static_selectorELNS0_4arch9wavefront6targetE0EEEvSK_,comdat
.Lfunc_end914:
	.size	_ZN7rocprim17ROCPRIM_400000_NS6detail17trampoline_kernelINS0_14default_configENS1_36segmented_radix_sort_config_selectorIslEEZNS1_25segmented_radix_sort_implIS3_Lb1EPKsPsPKlPlN2at6native12_GLOBAL__N_18offset_tEEE10hipError_tPvRmT1_PNSt15iterator_traitsISK_E10value_typeET2_T3_PNSL_ISQ_E10value_typeET4_jRbjT5_SW_jjP12ihipStream_tbEUlT_E_NS1_11comp_targetILNS1_3genE3ELNS1_11target_archE908ELNS1_3gpuE7ELNS1_3repE0EEENS1_30default_config_static_selectorELNS0_4arch9wavefront6targetE0EEEvSK_, .Lfunc_end914-_ZN7rocprim17ROCPRIM_400000_NS6detail17trampoline_kernelINS0_14default_configENS1_36segmented_radix_sort_config_selectorIslEEZNS1_25segmented_radix_sort_implIS3_Lb1EPKsPsPKlPlN2at6native12_GLOBAL__N_18offset_tEEE10hipError_tPvRmT1_PNSt15iterator_traitsISK_E10value_typeET2_T3_PNSL_ISQ_E10value_typeET4_jRbjT5_SW_jjP12ihipStream_tbEUlT_E_NS1_11comp_targetILNS1_3genE3ELNS1_11target_archE908ELNS1_3gpuE7ELNS1_3repE0EEENS1_30default_config_static_selectorELNS0_4arch9wavefront6targetE0EEEvSK_
                                        ; -- End function
	.set _ZN7rocprim17ROCPRIM_400000_NS6detail17trampoline_kernelINS0_14default_configENS1_36segmented_radix_sort_config_selectorIslEEZNS1_25segmented_radix_sort_implIS3_Lb1EPKsPsPKlPlN2at6native12_GLOBAL__N_18offset_tEEE10hipError_tPvRmT1_PNSt15iterator_traitsISK_E10value_typeET2_T3_PNSL_ISQ_E10value_typeET4_jRbjT5_SW_jjP12ihipStream_tbEUlT_E_NS1_11comp_targetILNS1_3genE3ELNS1_11target_archE908ELNS1_3gpuE7ELNS1_3repE0EEENS1_30default_config_static_selectorELNS0_4arch9wavefront6targetE0EEEvSK_.num_vgpr, 0
	.set _ZN7rocprim17ROCPRIM_400000_NS6detail17trampoline_kernelINS0_14default_configENS1_36segmented_radix_sort_config_selectorIslEEZNS1_25segmented_radix_sort_implIS3_Lb1EPKsPsPKlPlN2at6native12_GLOBAL__N_18offset_tEEE10hipError_tPvRmT1_PNSt15iterator_traitsISK_E10value_typeET2_T3_PNSL_ISQ_E10value_typeET4_jRbjT5_SW_jjP12ihipStream_tbEUlT_E_NS1_11comp_targetILNS1_3genE3ELNS1_11target_archE908ELNS1_3gpuE7ELNS1_3repE0EEENS1_30default_config_static_selectorELNS0_4arch9wavefront6targetE0EEEvSK_.num_agpr, 0
	.set _ZN7rocprim17ROCPRIM_400000_NS6detail17trampoline_kernelINS0_14default_configENS1_36segmented_radix_sort_config_selectorIslEEZNS1_25segmented_radix_sort_implIS3_Lb1EPKsPsPKlPlN2at6native12_GLOBAL__N_18offset_tEEE10hipError_tPvRmT1_PNSt15iterator_traitsISK_E10value_typeET2_T3_PNSL_ISQ_E10value_typeET4_jRbjT5_SW_jjP12ihipStream_tbEUlT_E_NS1_11comp_targetILNS1_3genE3ELNS1_11target_archE908ELNS1_3gpuE7ELNS1_3repE0EEENS1_30default_config_static_selectorELNS0_4arch9wavefront6targetE0EEEvSK_.numbered_sgpr, 0
	.set _ZN7rocprim17ROCPRIM_400000_NS6detail17trampoline_kernelINS0_14default_configENS1_36segmented_radix_sort_config_selectorIslEEZNS1_25segmented_radix_sort_implIS3_Lb1EPKsPsPKlPlN2at6native12_GLOBAL__N_18offset_tEEE10hipError_tPvRmT1_PNSt15iterator_traitsISK_E10value_typeET2_T3_PNSL_ISQ_E10value_typeET4_jRbjT5_SW_jjP12ihipStream_tbEUlT_E_NS1_11comp_targetILNS1_3genE3ELNS1_11target_archE908ELNS1_3gpuE7ELNS1_3repE0EEENS1_30default_config_static_selectorELNS0_4arch9wavefront6targetE0EEEvSK_.num_named_barrier, 0
	.set _ZN7rocprim17ROCPRIM_400000_NS6detail17trampoline_kernelINS0_14default_configENS1_36segmented_radix_sort_config_selectorIslEEZNS1_25segmented_radix_sort_implIS3_Lb1EPKsPsPKlPlN2at6native12_GLOBAL__N_18offset_tEEE10hipError_tPvRmT1_PNSt15iterator_traitsISK_E10value_typeET2_T3_PNSL_ISQ_E10value_typeET4_jRbjT5_SW_jjP12ihipStream_tbEUlT_E_NS1_11comp_targetILNS1_3genE3ELNS1_11target_archE908ELNS1_3gpuE7ELNS1_3repE0EEENS1_30default_config_static_selectorELNS0_4arch9wavefront6targetE0EEEvSK_.private_seg_size, 0
	.set _ZN7rocprim17ROCPRIM_400000_NS6detail17trampoline_kernelINS0_14default_configENS1_36segmented_radix_sort_config_selectorIslEEZNS1_25segmented_radix_sort_implIS3_Lb1EPKsPsPKlPlN2at6native12_GLOBAL__N_18offset_tEEE10hipError_tPvRmT1_PNSt15iterator_traitsISK_E10value_typeET2_T3_PNSL_ISQ_E10value_typeET4_jRbjT5_SW_jjP12ihipStream_tbEUlT_E_NS1_11comp_targetILNS1_3genE3ELNS1_11target_archE908ELNS1_3gpuE7ELNS1_3repE0EEENS1_30default_config_static_selectorELNS0_4arch9wavefront6targetE0EEEvSK_.uses_vcc, 0
	.set _ZN7rocprim17ROCPRIM_400000_NS6detail17trampoline_kernelINS0_14default_configENS1_36segmented_radix_sort_config_selectorIslEEZNS1_25segmented_radix_sort_implIS3_Lb1EPKsPsPKlPlN2at6native12_GLOBAL__N_18offset_tEEE10hipError_tPvRmT1_PNSt15iterator_traitsISK_E10value_typeET2_T3_PNSL_ISQ_E10value_typeET4_jRbjT5_SW_jjP12ihipStream_tbEUlT_E_NS1_11comp_targetILNS1_3genE3ELNS1_11target_archE908ELNS1_3gpuE7ELNS1_3repE0EEENS1_30default_config_static_selectorELNS0_4arch9wavefront6targetE0EEEvSK_.uses_flat_scratch, 0
	.set _ZN7rocprim17ROCPRIM_400000_NS6detail17trampoline_kernelINS0_14default_configENS1_36segmented_radix_sort_config_selectorIslEEZNS1_25segmented_radix_sort_implIS3_Lb1EPKsPsPKlPlN2at6native12_GLOBAL__N_18offset_tEEE10hipError_tPvRmT1_PNSt15iterator_traitsISK_E10value_typeET2_T3_PNSL_ISQ_E10value_typeET4_jRbjT5_SW_jjP12ihipStream_tbEUlT_E_NS1_11comp_targetILNS1_3genE3ELNS1_11target_archE908ELNS1_3gpuE7ELNS1_3repE0EEENS1_30default_config_static_selectorELNS0_4arch9wavefront6targetE0EEEvSK_.has_dyn_sized_stack, 0
	.set _ZN7rocprim17ROCPRIM_400000_NS6detail17trampoline_kernelINS0_14default_configENS1_36segmented_radix_sort_config_selectorIslEEZNS1_25segmented_radix_sort_implIS3_Lb1EPKsPsPKlPlN2at6native12_GLOBAL__N_18offset_tEEE10hipError_tPvRmT1_PNSt15iterator_traitsISK_E10value_typeET2_T3_PNSL_ISQ_E10value_typeET4_jRbjT5_SW_jjP12ihipStream_tbEUlT_E_NS1_11comp_targetILNS1_3genE3ELNS1_11target_archE908ELNS1_3gpuE7ELNS1_3repE0EEENS1_30default_config_static_selectorELNS0_4arch9wavefront6targetE0EEEvSK_.has_recursion, 0
	.set _ZN7rocprim17ROCPRIM_400000_NS6detail17trampoline_kernelINS0_14default_configENS1_36segmented_radix_sort_config_selectorIslEEZNS1_25segmented_radix_sort_implIS3_Lb1EPKsPsPKlPlN2at6native12_GLOBAL__N_18offset_tEEE10hipError_tPvRmT1_PNSt15iterator_traitsISK_E10value_typeET2_T3_PNSL_ISQ_E10value_typeET4_jRbjT5_SW_jjP12ihipStream_tbEUlT_E_NS1_11comp_targetILNS1_3genE3ELNS1_11target_archE908ELNS1_3gpuE7ELNS1_3repE0EEENS1_30default_config_static_selectorELNS0_4arch9wavefront6targetE0EEEvSK_.has_indirect_call, 0
	.section	.AMDGPU.csdata,"",@progbits
; Kernel info:
; codeLenInByte = 0
; TotalNumSgprs: 0
; NumVgprs: 0
; ScratchSize: 0
; MemoryBound: 0
; FloatMode: 240
; IeeeMode: 1
; LDSByteSize: 0 bytes/workgroup (compile time only)
; SGPRBlocks: 0
; VGPRBlocks: 0
; NumSGPRsForWavesPerEU: 1
; NumVGPRsForWavesPerEU: 1
; Occupancy: 16
; WaveLimiterHint : 0
; COMPUTE_PGM_RSRC2:SCRATCH_EN: 0
; COMPUTE_PGM_RSRC2:USER_SGPR: 2
; COMPUTE_PGM_RSRC2:TRAP_HANDLER: 0
; COMPUTE_PGM_RSRC2:TGID_X_EN: 1
; COMPUTE_PGM_RSRC2:TGID_Y_EN: 0
; COMPUTE_PGM_RSRC2:TGID_Z_EN: 0
; COMPUTE_PGM_RSRC2:TIDIG_COMP_CNT: 0
	.section	.text._ZN7rocprim17ROCPRIM_400000_NS6detail17trampoline_kernelINS0_14default_configENS1_36segmented_radix_sort_config_selectorIslEEZNS1_25segmented_radix_sort_implIS3_Lb1EPKsPsPKlPlN2at6native12_GLOBAL__N_18offset_tEEE10hipError_tPvRmT1_PNSt15iterator_traitsISK_E10value_typeET2_T3_PNSL_ISQ_E10value_typeET4_jRbjT5_SW_jjP12ihipStream_tbEUlT_E_NS1_11comp_targetILNS1_3genE2ELNS1_11target_archE906ELNS1_3gpuE6ELNS1_3repE0EEENS1_30default_config_static_selectorELNS0_4arch9wavefront6targetE0EEEvSK_,"axG",@progbits,_ZN7rocprim17ROCPRIM_400000_NS6detail17trampoline_kernelINS0_14default_configENS1_36segmented_radix_sort_config_selectorIslEEZNS1_25segmented_radix_sort_implIS3_Lb1EPKsPsPKlPlN2at6native12_GLOBAL__N_18offset_tEEE10hipError_tPvRmT1_PNSt15iterator_traitsISK_E10value_typeET2_T3_PNSL_ISQ_E10value_typeET4_jRbjT5_SW_jjP12ihipStream_tbEUlT_E_NS1_11comp_targetILNS1_3genE2ELNS1_11target_archE906ELNS1_3gpuE6ELNS1_3repE0EEENS1_30default_config_static_selectorELNS0_4arch9wavefront6targetE0EEEvSK_,comdat
	.globl	_ZN7rocprim17ROCPRIM_400000_NS6detail17trampoline_kernelINS0_14default_configENS1_36segmented_radix_sort_config_selectorIslEEZNS1_25segmented_radix_sort_implIS3_Lb1EPKsPsPKlPlN2at6native12_GLOBAL__N_18offset_tEEE10hipError_tPvRmT1_PNSt15iterator_traitsISK_E10value_typeET2_T3_PNSL_ISQ_E10value_typeET4_jRbjT5_SW_jjP12ihipStream_tbEUlT_E_NS1_11comp_targetILNS1_3genE2ELNS1_11target_archE906ELNS1_3gpuE6ELNS1_3repE0EEENS1_30default_config_static_selectorELNS0_4arch9wavefront6targetE0EEEvSK_ ; -- Begin function _ZN7rocprim17ROCPRIM_400000_NS6detail17trampoline_kernelINS0_14default_configENS1_36segmented_radix_sort_config_selectorIslEEZNS1_25segmented_radix_sort_implIS3_Lb1EPKsPsPKlPlN2at6native12_GLOBAL__N_18offset_tEEE10hipError_tPvRmT1_PNSt15iterator_traitsISK_E10value_typeET2_T3_PNSL_ISQ_E10value_typeET4_jRbjT5_SW_jjP12ihipStream_tbEUlT_E_NS1_11comp_targetILNS1_3genE2ELNS1_11target_archE906ELNS1_3gpuE6ELNS1_3repE0EEENS1_30default_config_static_selectorELNS0_4arch9wavefront6targetE0EEEvSK_
	.p2align	8
	.type	_ZN7rocprim17ROCPRIM_400000_NS6detail17trampoline_kernelINS0_14default_configENS1_36segmented_radix_sort_config_selectorIslEEZNS1_25segmented_radix_sort_implIS3_Lb1EPKsPsPKlPlN2at6native12_GLOBAL__N_18offset_tEEE10hipError_tPvRmT1_PNSt15iterator_traitsISK_E10value_typeET2_T3_PNSL_ISQ_E10value_typeET4_jRbjT5_SW_jjP12ihipStream_tbEUlT_E_NS1_11comp_targetILNS1_3genE2ELNS1_11target_archE906ELNS1_3gpuE6ELNS1_3repE0EEENS1_30default_config_static_selectorELNS0_4arch9wavefront6targetE0EEEvSK_,@function
_ZN7rocprim17ROCPRIM_400000_NS6detail17trampoline_kernelINS0_14default_configENS1_36segmented_radix_sort_config_selectorIslEEZNS1_25segmented_radix_sort_implIS3_Lb1EPKsPsPKlPlN2at6native12_GLOBAL__N_18offset_tEEE10hipError_tPvRmT1_PNSt15iterator_traitsISK_E10value_typeET2_T3_PNSL_ISQ_E10value_typeET4_jRbjT5_SW_jjP12ihipStream_tbEUlT_E_NS1_11comp_targetILNS1_3genE2ELNS1_11target_archE906ELNS1_3gpuE6ELNS1_3repE0EEENS1_30default_config_static_selectorELNS0_4arch9wavefront6targetE0EEEvSK_: ; @_ZN7rocprim17ROCPRIM_400000_NS6detail17trampoline_kernelINS0_14default_configENS1_36segmented_radix_sort_config_selectorIslEEZNS1_25segmented_radix_sort_implIS3_Lb1EPKsPsPKlPlN2at6native12_GLOBAL__N_18offset_tEEE10hipError_tPvRmT1_PNSt15iterator_traitsISK_E10value_typeET2_T3_PNSL_ISQ_E10value_typeET4_jRbjT5_SW_jjP12ihipStream_tbEUlT_E_NS1_11comp_targetILNS1_3genE2ELNS1_11target_archE906ELNS1_3gpuE6ELNS1_3repE0EEENS1_30default_config_static_selectorELNS0_4arch9wavefront6targetE0EEEvSK_
; %bb.0:
	.section	.rodata,"a",@progbits
	.p2align	6, 0x0
	.amdhsa_kernel _ZN7rocprim17ROCPRIM_400000_NS6detail17trampoline_kernelINS0_14default_configENS1_36segmented_radix_sort_config_selectorIslEEZNS1_25segmented_radix_sort_implIS3_Lb1EPKsPsPKlPlN2at6native12_GLOBAL__N_18offset_tEEE10hipError_tPvRmT1_PNSt15iterator_traitsISK_E10value_typeET2_T3_PNSL_ISQ_E10value_typeET4_jRbjT5_SW_jjP12ihipStream_tbEUlT_E_NS1_11comp_targetILNS1_3genE2ELNS1_11target_archE906ELNS1_3gpuE6ELNS1_3repE0EEENS1_30default_config_static_selectorELNS0_4arch9wavefront6targetE0EEEvSK_
		.amdhsa_group_segment_fixed_size 0
		.amdhsa_private_segment_fixed_size 0
		.amdhsa_kernarg_size 96
		.amdhsa_user_sgpr_count 2
		.amdhsa_user_sgpr_dispatch_ptr 0
		.amdhsa_user_sgpr_queue_ptr 0
		.amdhsa_user_sgpr_kernarg_segment_ptr 1
		.amdhsa_user_sgpr_dispatch_id 0
		.amdhsa_user_sgpr_private_segment_size 0
		.amdhsa_wavefront_size32 1
		.amdhsa_uses_dynamic_stack 0
		.amdhsa_enable_private_segment 0
		.amdhsa_system_sgpr_workgroup_id_x 1
		.amdhsa_system_sgpr_workgroup_id_y 0
		.amdhsa_system_sgpr_workgroup_id_z 0
		.amdhsa_system_sgpr_workgroup_info 0
		.amdhsa_system_vgpr_workitem_id 0
		.amdhsa_next_free_vgpr 1
		.amdhsa_next_free_sgpr 1
		.amdhsa_reserve_vcc 0
		.amdhsa_float_round_mode_32 0
		.amdhsa_float_round_mode_16_64 0
		.amdhsa_float_denorm_mode_32 3
		.amdhsa_float_denorm_mode_16_64 3
		.amdhsa_fp16_overflow 0
		.amdhsa_workgroup_processor_mode 1
		.amdhsa_memory_ordered 1
		.amdhsa_forward_progress 1
		.amdhsa_inst_pref_size 0
		.amdhsa_round_robin_scheduling 0
		.amdhsa_exception_fp_ieee_invalid_op 0
		.amdhsa_exception_fp_denorm_src 0
		.amdhsa_exception_fp_ieee_div_zero 0
		.amdhsa_exception_fp_ieee_overflow 0
		.amdhsa_exception_fp_ieee_underflow 0
		.amdhsa_exception_fp_ieee_inexact 0
		.amdhsa_exception_int_div_zero 0
	.end_amdhsa_kernel
	.section	.text._ZN7rocprim17ROCPRIM_400000_NS6detail17trampoline_kernelINS0_14default_configENS1_36segmented_radix_sort_config_selectorIslEEZNS1_25segmented_radix_sort_implIS3_Lb1EPKsPsPKlPlN2at6native12_GLOBAL__N_18offset_tEEE10hipError_tPvRmT1_PNSt15iterator_traitsISK_E10value_typeET2_T3_PNSL_ISQ_E10value_typeET4_jRbjT5_SW_jjP12ihipStream_tbEUlT_E_NS1_11comp_targetILNS1_3genE2ELNS1_11target_archE906ELNS1_3gpuE6ELNS1_3repE0EEENS1_30default_config_static_selectorELNS0_4arch9wavefront6targetE0EEEvSK_,"axG",@progbits,_ZN7rocprim17ROCPRIM_400000_NS6detail17trampoline_kernelINS0_14default_configENS1_36segmented_radix_sort_config_selectorIslEEZNS1_25segmented_radix_sort_implIS3_Lb1EPKsPsPKlPlN2at6native12_GLOBAL__N_18offset_tEEE10hipError_tPvRmT1_PNSt15iterator_traitsISK_E10value_typeET2_T3_PNSL_ISQ_E10value_typeET4_jRbjT5_SW_jjP12ihipStream_tbEUlT_E_NS1_11comp_targetILNS1_3genE2ELNS1_11target_archE906ELNS1_3gpuE6ELNS1_3repE0EEENS1_30default_config_static_selectorELNS0_4arch9wavefront6targetE0EEEvSK_,comdat
.Lfunc_end915:
	.size	_ZN7rocprim17ROCPRIM_400000_NS6detail17trampoline_kernelINS0_14default_configENS1_36segmented_radix_sort_config_selectorIslEEZNS1_25segmented_radix_sort_implIS3_Lb1EPKsPsPKlPlN2at6native12_GLOBAL__N_18offset_tEEE10hipError_tPvRmT1_PNSt15iterator_traitsISK_E10value_typeET2_T3_PNSL_ISQ_E10value_typeET4_jRbjT5_SW_jjP12ihipStream_tbEUlT_E_NS1_11comp_targetILNS1_3genE2ELNS1_11target_archE906ELNS1_3gpuE6ELNS1_3repE0EEENS1_30default_config_static_selectorELNS0_4arch9wavefront6targetE0EEEvSK_, .Lfunc_end915-_ZN7rocprim17ROCPRIM_400000_NS6detail17trampoline_kernelINS0_14default_configENS1_36segmented_radix_sort_config_selectorIslEEZNS1_25segmented_radix_sort_implIS3_Lb1EPKsPsPKlPlN2at6native12_GLOBAL__N_18offset_tEEE10hipError_tPvRmT1_PNSt15iterator_traitsISK_E10value_typeET2_T3_PNSL_ISQ_E10value_typeET4_jRbjT5_SW_jjP12ihipStream_tbEUlT_E_NS1_11comp_targetILNS1_3genE2ELNS1_11target_archE906ELNS1_3gpuE6ELNS1_3repE0EEENS1_30default_config_static_selectorELNS0_4arch9wavefront6targetE0EEEvSK_
                                        ; -- End function
	.set _ZN7rocprim17ROCPRIM_400000_NS6detail17trampoline_kernelINS0_14default_configENS1_36segmented_radix_sort_config_selectorIslEEZNS1_25segmented_radix_sort_implIS3_Lb1EPKsPsPKlPlN2at6native12_GLOBAL__N_18offset_tEEE10hipError_tPvRmT1_PNSt15iterator_traitsISK_E10value_typeET2_T3_PNSL_ISQ_E10value_typeET4_jRbjT5_SW_jjP12ihipStream_tbEUlT_E_NS1_11comp_targetILNS1_3genE2ELNS1_11target_archE906ELNS1_3gpuE6ELNS1_3repE0EEENS1_30default_config_static_selectorELNS0_4arch9wavefront6targetE0EEEvSK_.num_vgpr, 0
	.set _ZN7rocprim17ROCPRIM_400000_NS6detail17trampoline_kernelINS0_14default_configENS1_36segmented_radix_sort_config_selectorIslEEZNS1_25segmented_radix_sort_implIS3_Lb1EPKsPsPKlPlN2at6native12_GLOBAL__N_18offset_tEEE10hipError_tPvRmT1_PNSt15iterator_traitsISK_E10value_typeET2_T3_PNSL_ISQ_E10value_typeET4_jRbjT5_SW_jjP12ihipStream_tbEUlT_E_NS1_11comp_targetILNS1_3genE2ELNS1_11target_archE906ELNS1_3gpuE6ELNS1_3repE0EEENS1_30default_config_static_selectorELNS0_4arch9wavefront6targetE0EEEvSK_.num_agpr, 0
	.set _ZN7rocprim17ROCPRIM_400000_NS6detail17trampoline_kernelINS0_14default_configENS1_36segmented_radix_sort_config_selectorIslEEZNS1_25segmented_radix_sort_implIS3_Lb1EPKsPsPKlPlN2at6native12_GLOBAL__N_18offset_tEEE10hipError_tPvRmT1_PNSt15iterator_traitsISK_E10value_typeET2_T3_PNSL_ISQ_E10value_typeET4_jRbjT5_SW_jjP12ihipStream_tbEUlT_E_NS1_11comp_targetILNS1_3genE2ELNS1_11target_archE906ELNS1_3gpuE6ELNS1_3repE0EEENS1_30default_config_static_selectorELNS0_4arch9wavefront6targetE0EEEvSK_.numbered_sgpr, 0
	.set _ZN7rocprim17ROCPRIM_400000_NS6detail17trampoline_kernelINS0_14default_configENS1_36segmented_radix_sort_config_selectorIslEEZNS1_25segmented_radix_sort_implIS3_Lb1EPKsPsPKlPlN2at6native12_GLOBAL__N_18offset_tEEE10hipError_tPvRmT1_PNSt15iterator_traitsISK_E10value_typeET2_T3_PNSL_ISQ_E10value_typeET4_jRbjT5_SW_jjP12ihipStream_tbEUlT_E_NS1_11comp_targetILNS1_3genE2ELNS1_11target_archE906ELNS1_3gpuE6ELNS1_3repE0EEENS1_30default_config_static_selectorELNS0_4arch9wavefront6targetE0EEEvSK_.num_named_barrier, 0
	.set _ZN7rocprim17ROCPRIM_400000_NS6detail17trampoline_kernelINS0_14default_configENS1_36segmented_radix_sort_config_selectorIslEEZNS1_25segmented_radix_sort_implIS3_Lb1EPKsPsPKlPlN2at6native12_GLOBAL__N_18offset_tEEE10hipError_tPvRmT1_PNSt15iterator_traitsISK_E10value_typeET2_T3_PNSL_ISQ_E10value_typeET4_jRbjT5_SW_jjP12ihipStream_tbEUlT_E_NS1_11comp_targetILNS1_3genE2ELNS1_11target_archE906ELNS1_3gpuE6ELNS1_3repE0EEENS1_30default_config_static_selectorELNS0_4arch9wavefront6targetE0EEEvSK_.private_seg_size, 0
	.set _ZN7rocprim17ROCPRIM_400000_NS6detail17trampoline_kernelINS0_14default_configENS1_36segmented_radix_sort_config_selectorIslEEZNS1_25segmented_radix_sort_implIS3_Lb1EPKsPsPKlPlN2at6native12_GLOBAL__N_18offset_tEEE10hipError_tPvRmT1_PNSt15iterator_traitsISK_E10value_typeET2_T3_PNSL_ISQ_E10value_typeET4_jRbjT5_SW_jjP12ihipStream_tbEUlT_E_NS1_11comp_targetILNS1_3genE2ELNS1_11target_archE906ELNS1_3gpuE6ELNS1_3repE0EEENS1_30default_config_static_selectorELNS0_4arch9wavefront6targetE0EEEvSK_.uses_vcc, 0
	.set _ZN7rocprim17ROCPRIM_400000_NS6detail17trampoline_kernelINS0_14default_configENS1_36segmented_radix_sort_config_selectorIslEEZNS1_25segmented_radix_sort_implIS3_Lb1EPKsPsPKlPlN2at6native12_GLOBAL__N_18offset_tEEE10hipError_tPvRmT1_PNSt15iterator_traitsISK_E10value_typeET2_T3_PNSL_ISQ_E10value_typeET4_jRbjT5_SW_jjP12ihipStream_tbEUlT_E_NS1_11comp_targetILNS1_3genE2ELNS1_11target_archE906ELNS1_3gpuE6ELNS1_3repE0EEENS1_30default_config_static_selectorELNS0_4arch9wavefront6targetE0EEEvSK_.uses_flat_scratch, 0
	.set _ZN7rocprim17ROCPRIM_400000_NS6detail17trampoline_kernelINS0_14default_configENS1_36segmented_radix_sort_config_selectorIslEEZNS1_25segmented_radix_sort_implIS3_Lb1EPKsPsPKlPlN2at6native12_GLOBAL__N_18offset_tEEE10hipError_tPvRmT1_PNSt15iterator_traitsISK_E10value_typeET2_T3_PNSL_ISQ_E10value_typeET4_jRbjT5_SW_jjP12ihipStream_tbEUlT_E_NS1_11comp_targetILNS1_3genE2ELNS1_11target_archE906ELNS1_3gpuE6ELNS1_3repE0EEENS1_30default_config_static_selectorELNS0_4arch9wavefront6targetE0EEEvSK_.has_dyn_sized_stack, 0
	.set _ZN7rocprim17ROCPRIM_400000_NS6detail17trampoline_kernelINS0_14default_configENS1_36segmented_radix_sort_config_selectorIslEEZNS1_25segmented_radix_sort_implIS3_Lb1EPKsPsPKlPlN2at6native12_GLOBAL__N_18offset_tEEE10hipError_tPvRmT1_PNSt15iterator_traitsISK_E10value_typeET2_T3_PNSL_ISQ_E10value_typeET4_jRbjT5_SW_jjP12ihipStream_tbEUlT_E_NS1_11comp_targetILNS1_3genE2ELNS1_11target_archE906ELNS1_3gpuE6ELNS1_3repE0EEENS1_30default_config_static_selectorELNS0_4arch9wavefront6targetE0EEEvSK_.has_recursion, 0
	.set _ZN7rocprim17ROCPRIM_400000_NS6detail17trampoline_kernelINS0_14default_configENS1_36segmented_radix_sort_config_selectorIslEEZNS1_25segmented_radix_sort_implIS3_Lb1EPKsPsPKlPlN2at6native12_GLOBAL__N_18offset_tEEE10hipError_tPvRmT1_PNSt15iterator_traitsISK_E10value_typeET2_T3_PNSL_ISQ_E10value_typeET4_jRbjT5_SW_jjP12ihipStream_tbEUlT_E_NS1_11comp_targetILNS1_3genE2ELNS1_11target_archE906ELNS1_3gpuE6ELNS1_3repE0EEENS1_30default_config_static_selectorELNS0_4arch9wavefront6targetE0EEEvSK_.has_indirect_call, 0
	.section	.AMDGPU.csdata,"",@progbits
; Kernel info:
; codeLenInByte = 0
; TotalNumSgprs: 0
; NumVgprs: 0
; ScratchSize: 0
; MemoryBound: 0
; FloatMode: 240
; IeeeMode: 1
; LDSByteSize: 0 bytes/workgroup (compile time only)
; SGPRBlocks: 0
; VGPRBlocks: 0
; NumSGPRsForWavesPerEU: 1
; NumVGPRsForWavesPerEU: 1
; Occupancy: 16
; WaveLimiterHint : 0
; COMPUTE_PGM_RSRC2:SCRATCH_EN: 0
; COMPUTE_PGM_RSRC2:USER_SGPR: 2
; COMPUTE_PGM_RSRC2:TRAP_HANDLER: 0
; COMPUTE_PGM_RSRC2:TGID_X_EN: 1
; COMPUTE_PGM_RSRC2:TGID_Y_EN: 0
; COMPUTE_PGM_RSRC2:TGID_Z_EN: 0
; COMPUTE_PGM_RSRC2:TIDIG_COMP_CNT: 0
	.text
	.p2align	2                               ; -- Begin function _ZN7rocprim17ROCPRIM_400000_NS6detail40segmented_radix_sort_single_block_helperIslLj256ELj8ELb1EE4sortIPKsPsPKlPlEEbT_T0_T1_T2_jjjjRNS3_12storage_typeE
	.type	_ZN7rocprim17ROCPRIM_400000_NS6detail40segmented_radix_sort_single_block_helperIslLj256ELj8ELb1EE4sortIPKsPsPKlPlEEbT_T0_T1_T2_jjjjRNS3_12storage_typeE,@function
_ZN7rocprim17ROCPRIM_400000_NS6detail40segmented_radix_sort_single_block_helperIslLj256ELj8ELb1EE4sortIPKsPsPKlPlEEbT_T0_T1_T2_jjjjRNS3_12storage_typeE: ; @_ZN7rocprim17ROCPRIM_400000_NS6detail40segmented_radix_sort_single_block_helperIslLj256ELj8ELb1EE4sortIPKsPsPKlPlEEbT_T0_T1_T2_jjjjRNS3_12storage_typeE
; %bb.0:
	s_wait_loadcnt_dscnt 0x0
	s_wait_expcnt 0x0
	s_wait_samplecnt 0x0
	s_wait_bvhcnt 0x0
	s_wait_kmcnt 0x0
	v_sub_nc_u32_e32 v128, v9, v8
	s_mov_b32 s16, exec_lo
	s_delay_alu instid0(VALU_DEP_1)
	v_cmpx_gt_u32_e32 0x801, v128
	s_cbranch_execz .LBB916_199
; %bb.1:
	v_bfe_u32 v9, v31, 10, 10
	v_bfe_u32 v14, v31, 20, 10
	v_and_b32_e32 v18, 0x3ff, v31
	v_mbcnt_lo_u32_b32 v33, -1, 0
	s_mov_b32 s0, exec_lo
	v_cmpx_lt_u32_e32 0x400, v128
	s_wait_alu 0xfffe
	s_xor_b32 s17, exec_lo, s0
	s_cbranch_execz .LBB916_79
; %bb.2:
	s_load_b64 s[0:1], s[8:9], 0x0
	s_and_b32 s2, ttmp7, 0xffff
	s_mov_b32 s3, 0
	s_wait_kmcnt 0x0
	s_wait_alu 0xfffe
	s_cmp_lt_u32 s2, s1
	s_cselect_b32 s2, 14, 20
	s_cmp_lt_u32 ttmp9, s0
	s_wait_alu 0xfffe
	s_add_nc_u64 s[4:5], s[8:9], s[2:3]
	s_cselect_b32 s2, 12, 18
	s_load_u16 s4, s[4:5], 0x0
	s_add_nc_u64 s[0:1], s[8:9], s[2:3]
	s_load_u16 s0, s[0:1], 0x0
	s_wait_kmcnt 0x0
	v_mad_u32_u24 v9, v14, s4, v9
	v_mov_b32_e32 v14, 0x80008000
	s_delay_alu instid0(VALU_DEP_2) | instskip(SKIP_2) | instid1(VALU_DEP_4)
	v_mad_co_u64_u32 v[24:25], null, v9, s0, v[18:19]
	v_mov_b32_e32 v9, 0
	v_lshlrev_b32_e32 v17, 1, v33
	v_dual_mov_b32 v15, v14 :: v_dual_mov_b32 v16, v14
	s_delay_alu instid0(VALU_DEP_3) | instskip(SKIP_1) | instid1(VALU_DEP_2)
	v_lshlrev_b64_e32 v[26:27], 1, v[8:9]
	v_dual_mov_b32 v20, v9 :: v_dual_lshlrev_b32 v19, 3, v24
	v_add_co_u32 v22, vcc_lo, v0, v26
	s_delay_alu instid0(VALU_DEP_2) | instskip(SKIP_1) | instid1(VALU_DEP_4)
	v_and_b32_e32 v19, 0xffffff00, v19
	s_wait_alu 0xfffd
	v_add_co_ci_u32_e64 v23, null, v1, v27, vcc_lo
	s_delay_alu instid0(VALU_DEP_3) | instskip(NEXT) | instid1(VALU_DEP_3)
	v_add_co_u32 v17, vcc_lo, v22, v17
	v_lshlrev_b64_e32 v[0:1], 1, v[19:20]
	v_or_b32_e32 v21, v19, v33
	s_wait_alu 0xfffd
	v_add_co_ci_u32_e64 v22, null, 0, v23, vcc_lo
	s_delay_alu instid0(VALU_DEP_3) | instskip(NEXT) | instid1(VALU_DEP_3)
	v_add_co_u32 v0, s0, v17, v0
	v_cmp_lt_u32_e32 vcc_lo, v21, v128
	s_wait_alu 0xf1ff
	s_delay_alu instid0(VALU_DEP_3)
	v_add_co_ci_u32_e64 v1, null, v22, v1, s0
	v_mov_b32_e32 v17, v14
	s_and_saveexec_b32 s0, vcc_lo
	s_cbranch_execz .LBB916_4
; %bb.3:
	v_bfrev_b32_e32 v28, 1
	v_dual_mov_b32 v29, v14 :: v_dual_mov_b32 v30, v14
	v_mov_b32_e32 v31, v14
	flat_load_d16_b16 v28, v[0:1]
	s_wait_loadcnt_dscnt 0x0
	v_dual_mov_b32 v14, v28 :: v_dual_mov_b32 v15, v29
	v_dual_mov_b32 v16, v30 :: v_dual_mov_b32 v17, v31
.LBB916_4:
	s_wait_alu 0xfffe
	s_or_b32 exec_lo, exec_lo, s0
	v_or_b32_e32 v22, 32, v21
	s_delay_alu instid0(VALU_DEP_1)
	v_cmp_lt_u32_e64 s0, v22, v128
	s_and_saveexec_b32 s1, s0
	s_cbranch_execz .LBB916_6
; %bb.5:
	flat_load_d16_hi_b16 v14, v[0:1] offset:64
.LBB916_6:
	s_wait_alu 0xfffe
	s_or_b32 exec_lo, exec_lo, s1
	v_or_b32_e32 v22, 64, v21
	s_delay_alu instid0(VALU_DEP_1)
	v_cmp_lt_u32_e64 s1, v22, v128
	s_and_saveexec_b32 s2, s1
	s_cbranch_execz .LBB916_8
; %bb.7:
	flat_load_d16_b16 v15, v[0:1] offset:128
.LBB916_8:
	s_wait_alu 0xfffe
	s_or_b32 exec_lo, exec_lo, s2
	v_or_b32_e32 v22, 0x60, v21
	s_delay_alu instid0(VALU_DEP_1)
	v_cmp_lt_u32_e64 s2, v22, v128
	s_and_saveexec_b32 s3, s2
	s_cbranch_execz .LBB916_10
; %bb.9:
	s_wait_loadcnt_dscnt 0x0
	flat_load_d16_hi_b16 v15, v[0:1] offset:192
.LBB916_10:
	s_wait_alu 0xfffe
	s_or_b32 exec_lo, exec_lo, s3
	v_or_b32_e32 v22, 0x80, v21
	s_delay_alu instid0(VALU_DEP_1)
	v_cmp_lt_u32_e64 s3, v22, v128
	s_and_saveexec_b32 s4, s3
	s_cbranch_execz .LBB916_12
; %bb.11:
	flat_load_d16_b16 v16, v[0:1] offset:256
.LBB916_12:
	s_wait_alu 0xfffe
	s_or_b32 exec_lo, exec_lo, s4
	v_or_b32_e32 v22, 0xa0, v21
	s_delay_alu instid0(VALU_DEP_1)
	v_cmp_lt_u32_e64 s4, v22, v128
	s_and_saveexec_b32 s5, s4
	s_cbranch_execz .LBB916_14
; %bb.13:
	s_wait_loadcnt_dscnt 0x0
	flat_load_d16_hi_b16 v16, v[0:1] offset:320
.LBB916_14:
	;; [unrolled: 21-line block ×3, first 2 shown]
	s_wait_alu 0xfffe
	s_or_b32 exec_lo, exec_lo, s7
	v_lshlrev_b64_e32 v[0:1], 3, v[8:9]
	v_lshlrev_b32_e32 v8, 3, v33
                                        ; implicit-def: $vgpr34_vgpr35
	s_delay_alu instid0(VALU_DEP_2) | instskip(SKIP_1) | instid1(VALU_DEP_3)
	v_add_co_u32 v9, s7, v4, v0
	s_wait_alu 0xf1ff
	v_add_co_ci_u32_e64 v21, null, v5, v1, s7
	v_lshlrev_b64_e32 v[4:5], 3, v[19:20]
	s_delay_alu instid0(VALU_DEP_3) | instskip(SKIP_1) | instid1(VALU_DEP_3)
	v_add_co_u32 v8, s7, v9, v8
	s_wait_alu 0xf1ff
	v_add_co_ci_u32_e64 v9, null, 0, v21, s7
	s_delay_alu instid0(VALU_DEP_2) | instskip(SKIP_1) | instid1(VALU_DEP_2)
	v_add_co_u32 v4, s7, v8, v4
	s_wait_alu 0xf1ff
	v_add_co_ci_u32_e64 v5, null, v9, v5, s7
	s_and_saveexec_b32 s7, vcc_lo
	s_cbranch_execnz .LBB916_112
; %bb.19:
	s_wait_alu 0xfffe
	s_or_b32 exec_lo, exec_lo, s7
                                        ; implicit-def: $vgpr38_vgpr39
	s_and_saveexec_b32 s7, s0
	s_cbranch_execnz .LBB916_113
.LBB916_20:
	s_wait_alu 0xfffe
	s_or_b32 exec_lo, exec_lo, s7
                                        ; implicit-def: $vgpr48_vgpr49
	s_and_saveexec_b32 s0, s1
	s_cbranch_execnz .LBB916_114
.LBB916_21:
	s_wait_alu 0xfffe
	s_or_b32 exec_lo, exec_lo, s0
                                        ; implicit-def: $vgpr50_vgpr51
	s_and_saveexec_b32 s0, s2
	s_cbranch_execnz .LBB916_115
.LBB916_22:
	s_wait_alu 0xfffe
	s_or_b32 exec_lo, exec_lo, s0
                                        ; implicit-def: $vgpr52_vgpr53
	s_and_saveexec_b32 s0, s3
	s_cbranch_execnz .LBB916_116
.LBB916_23:
	s_wait_alu 0xfffe
	s_or_b32 exec_lo, exec_lo, s0
                                        ; implicit-def: $vgpr54_vgpr55
	s_and_saveexec_b32 s0, s4
	s_cbranch_execnz .LBB916_117
.LBB916_24:
	s_wait_alu 0xfffe
	s_or_b32 exec_lo, exec_lo, s0
                                        ; implicit-def: $vgpr64_vgpr65
	s_and_saveexec_b32 s0, s5
	s_cbranch_execnz .LBB916_118
.LBB916_25:
	s_wait_alu 0xfffe
	s_or_b32 exec_lo, exec_lo, s0
                                        ; implicit-def: $vgpr36_vgpr37
	s_and_saveexec_b32 s0, s6
	s_cbranch_execz .LBB916_27
.LBB916_26:
	flat_load_b64 v[36:37], v[4:5] offset:1792
.LBB916_27:
	s_wait_alu 0xfffe
	s_or_b32 exec_lo, exec_lo, s0
	v_lshl_add_u32 v19, v18, 5, v12
	s_wait_loadcnt_dscnt 0x0
	v_lshrrev_b32_e32 v5, 16, v16
	v_sub_co_u32 v28, s2, v33, 1
	v_lshrrev_b32_e32 v4, 16, v17
	v_add_nc_u32_e32 v23, 32, v19
	v_add_nc_u32_e32 v25, 36, v19
	;; [unrolled: 1-line block ×8, first 2 shown]
	v_and_b32_e32 v19, 0x3e0, v18
	v_xor_b32_e32 v8, 0x7fff, v17
	v_xor_b32_e32 v17, 0x7fff, v5
	v_lshrrev_b32_e32 v5, 16, v14
	v_and_b32_e32 v21, 15, v33
	v_min_u32_e32 v19, 0xe0, v19
	v_and_b32_e32 v22, 16, v33
	v_cmp_gt_i32_e64 s5, 0, v28
	s_getpc_b64 s[0:1]
	s_wait_alu 0xfffe
	s_sext_i32_i16 s1, s1
	s_add_co_u32 s0, s0, _ZN7rocprim17ROCPRIM_400000_NS16block_radix_sortIsLj256ELj8ElLj1ELj1ELj8ELNS0_26block_radix_rank_algorithmE2ELNS0_18block_padding_hintE2ELNS0_4arch9wavefront6targetE0EE19radix_bits_per_passE@rel32@lo+12
	s_wait_alu 0xfffe
	s_add_co_ci_u32 s1, s1, _ZN7rocprim17ROCPRIM_400000_NS16block_radix_sortIsLj256ELj8ElLj1ELj1ELj8ELNS0_26block_radix_rank_algorithmE2ELNS0_18block_padding_hintE2ELNS0_4arch9wavefront6targetE0EE19radix_bits_per_passE@rel32@hi+24
	v_xor_b32_e32 v20, 0x7fff, v5
	s_load_b32 s18, s[0:1], 0x0
	v_lshlrev_b32_e32 v5, 3, v18
	v_cmp_eq_u32_e32 vcc_lo, 0, v21
	v_cmp_lt_u32_e64 s0, 1, v21
	v_cmp_lt_u32_e64 s1, 3, v21
	;; [unrolled: 1-line block ×3, first 2 shown]
	v_or_b32_e32 v19, 31, v19
	v_cmp_eq_u32_e64 s4, 0, v22
	v_lshrrev_b32_e32 v21, 3, v18
	v_cndmask_b32_e64 v22, v28, v33, s5
	v_xor_b32_e32 v9, 0x7fff, v16
	v_cmp_eq_u32_e64 s5, v18, v19
	v_lshrrev_b32_e32 v16, 16, v15
	v_and_b32_e32 v19, 0x7c, v21
	v_lshlrev_b32_e32 v144, 2, v22
	v_and_or_b32 v22, 0x1f00, v5, v33
	v_xor_b32_e32 v4, 0x7fff, v4
	v_xor_b32_e32 v15, 0x7fff, v15
	v_add_nc_u32_e32 v145, v12, v19
	v_xor_b32_e32 v16, 0x7fff, v16
	v_lshl_add_u32 v147, v22, 1, v12
	v_mul_u32_u24_e32 v19, 6, v22
	v_xor_b32_e32 v14, 0x7fff, v14
	v_and_b32_e32 v21, 7, v33
	v_lshrrev_b32_e32 v135, 5, v24
	v_cmp_gt_u32_e64 s6, 8, v18
	v_add_nc_u32_e32 v160, v147, v19
	v_cmp_lt_u32_e64 s7, 31, v18
	v_cmp_eq_u32_e64 s10, 0, v18
	v_mov_b32_e32 v5, 0
	v_lshl_add_u32 v146, v18, 2, v12
	v_cmp_eq_u32_e64 s11, 0, v21
	v_cmp_lt_u32_e64 s12, 1, v21
	v_cmp_lt_u32_e64 s13, 3, v21
	v_add_nc_u32_e32 v148, -4, v145
	v_add_nc_u32_e32 v149, 64, v147
	v_add_nc_u32_e32 v150, 0x80, v147
	v_add_nc_u32_e32 v151, 0xc0, v147
	v_add_nc_u32_e32 v161, 0x100, v147
	v_add_nc_u32_e32 v162, 0x140, v147
	v_add_nc_u32_e32 v163, 0x180, v147
	v_add_nc_u32_e32 v164, 0x1c0, v147
	v_add_nc_u32_e32 v165, 0x100, v160
	v_add_nc_u32_e32 v166, 0x200, v160
	v_add_nc_u32_e32 v167, 0x300, v160
	v_add_nc_u32_e32 v176, 0x400, v160
	v_add_nc_u32_e32 v177, 0x500, v160
	v_add_nc_u32_e32 v178, 0x600, v160
	v_add_nc_u32_e32 v179, 0x700, v160
	v_perm_b32 v181, v20, v14, 0x5040100
	v_perm_b32 v67, v16, v15, 0x5040100
	;; [unrolled: 1-line block ×4, first 2 shown]
	v_sub_nc_u32_e32 v180, v11, v10
	s_mov_b32 s19, 0
	s_wait_storecnt 0x0
	s_barrier_signal -1
	s_barrier_wait -1
	global_inv scope:SCOPE_SE
	s_branch .LBB916_29
.LBB916_28:                             ;   in Loop: Header=BB916_29 Depth=1
	s_wait_alu 0xfffe
	s_or_b32 exec_lo, exec_lo, s15
	s_delay_alu instid0(SALU_CYCLE_1)
	s_and_b32 s14, exec_lo, s20
	s_wait_alu 0xfffe
	s_or_b32 s19, s14, s19
	s_wait_alu 0xfffe
	s_and_not1_b32 exec_lo, exec_lo, s19
	s_cbranch_execz .LBB916_53
.LBB916_29:                             ; =>This Inner Loop Header: Depth=1
	s_wait_kmcnt 0x0
	v_min_u32_e32 v4, s18, v180
	v_dual_mov_b32 v183, v69 :: v_dual_and_b32 v8, 0xffff, v181
	v_dual_mov_b32 v192, v67 :: v_dual_mov_b32 v21, v38
	s_delay_alu instid0(VALU_DEP_3) | instskip(NEXT) | instid1(VALU_DEP_3)
	v_lshlrev_b32_e64 v4, v4, -1
	v_lshrrev_b32_e32 v8, v10, v8
	v_mov_b32_e32 v22, v39
	v_dual_mov_b32 v30, v34 :: v_dual_mov_b32 v19, v48
	s_delay_alu instid0(VALU_DEP_4) | instskip(SKIP_2) | instid1(VALU_DEP_3)
	v_not_b32_e32 v66, v4
	v_mov_b32_e32 v28, v50
	v_dual_mov_b32 v182, v71 :: v_dual_mov_b32 v31, v35
	v_dual_mov_b32 v29, v51 :: v_dual_and_b32 v4, v8, v66
	v_dual_mov_b32 v14, v54 :: v_dual_mov_b32 v15, v55
	v_mov_b32_e32 v16, v52
	s_delay_alu instid0(VALU_DEP_3)
	v_dual_mov_b32 v8, v64 :: v_dual_lshlrev_b32 v39, 27, v4
	v_and_b32_e32 v32, 1, v4
	v_lshlrev_b32_e32 v33, 30, v4
	v_lshlrev_b32_e32 v34, 29, v4
	v_dual_mov_b32 v20, v49 :: v_dual_lshlrev_b32 v35, 28, v4
	v_mov_b32_e32 v17, v53
	v_add_co_u32 v32, s14, v32, -1
	s_wait_alu 0xf1ff
	v_cndmask_b32_e64 v38, 0, 1, s14
	v_not_b32_e32 v50, v33
	v_cmp_gt_i32_e64 s15, 0, v33
	v_not_b32_e32 v33, v34
	v_lshlrev_b32_e32 v48, 26, v4
	v_cmp_ne_u32_e64 s14, 0, v38
	v_ashrrev_i32_e32 v50, 31, v50
	v_lshlrev_b32_e32 v49, 25, v4
	v_ashrrev_i32_e32 v33, 31, v33
	v_lshlrev_b32_e32 v38, 24, v4
	s_wait_alu 0xf1ff
	v_xor_b32_e32 v32, s14, v32
	v_cmp_gt_i32_e64 s14, 0, v34
	v_not_b32_e32 v34, v35
	v_xor_b32_e32 v50, s15, v50
	v_cmp_gt_i32_e64 s15, 0, v35
	v_and_b32_e32 v32, exec_lo, v32
	v_not_b32_e32 v35, v39
	v_ashrrev_i32_e32 v34, 31, v34
	s_wait_alu 0xf1ff
	v_xor_b32_e32 v33, s14, v33
	v_cmp_gt_i32_e64 s14, 0, v39
	v_and_b32_e32 v32, v32, v50
	v_not_b32_e32 v39, v48
	v_ashrrev_i32_e32 v35, 31, v35
	v_xor_b32_e32 v34, s15, v34
	v_cmp_gt_i32_e64 s15, 0, v48
	v_and_b32_e32 v32, v32, v33
	v_not_b32_e32 v33, v49
	v_ashrrev_i32_e32 v39, 31, v39
	s_wait_alu 0xf1ff
	v_xor_b32_e32 v35, s14, v35
	v_lshlrev_b32_e32 v4, 3, v4
	v_and_b32_e32 v32, v32, v34
	v_not_b32_e32 v34, v38
	v_ashrrev_i32_e32 v48, 31, v33
	v_xor_b32_e32 v39, s15, v39
	v_cmp_gt_i32_e64 s15, 0, v38
	v_and_b32_e32 v35, v32, v35
	v_mov_b32_e32 v32, v36
	v_cmp_gt_i32_e64 s14, 0, v49
	v_mov_b32_e32 v33, v37
	v_ashrrev_i32_e32 v34, 31, v34
	v_and_b32_e32 v35, v35, v39
	v_mov_b32_e32 v9, v65
	s_wait_alu 0xf1ff
	v_xor_b32_e32 v36, s14, v48
	ds_store_b32 v23, v5
	ds_store_b32 v25, v5
	ds_store_b32 v129, v5
	v_xor_b32_e32 v34, s15, v34
	ds_store_b32 v130, v5
	ds_store_b32 v131, v5
	;; [unrolled: 1-line block ×3, first 2 shown]
	v_and_b32_e32 v35, v35, v36
	ds_store_b32 v133, v5
	ds_store_b32 v134, v5
	s_wait_loadcnt_dscnt 0x0
	s_barrier_signal -1
	s_barrier_wait -1
	v_and_b32_e32 v35, v35, v34
	v_add_lshl_u32 v34, v4, v135, 2
	global_inv scope:SCOPE_SE
	; wave barrier
	v_mbcnt_lo_u32_b32 v4, v35, 0
	v_add_co_u32 v34, null, v12, v34
	v_cmp_ne_u32_e64 s15, 0, v35
	s_delay_alu instid0(VALU_DEP_3) | instskip(NEXT) | instid1(VALU_DEP_3)
	v_cmp_eq_u32_e64 s14, 0, v4
	v_add_co_u32 v34, null, v34, 32
	s_and_b32 s15, s15, s14
	s_wait_alu 0xfffe
	s_and_saveexec_b32 s14, s15
; %bb.30:                               ;   in Loop: Header=BB916_29 Depth=1
	v_bcnt_u32_b32 v35, v35, 0
	ds_store_b32 v34, v35
; %bb.31:                               ;   in Loop: Header=BB916_29 Depth=1
	s_wait_alu 0xfffe
	s_or_b32 exec_lo, exec_lo, s14
	v_lshrrev_b32_e32 v193, 16, v181
	; wave barrier
	s_delay_alu instid0(VALU_DEP_1) | instskip(NEXT) | instid1(VALU_DEP_1)
	v_lshrrev_b32_e32 v35, v10, v193
	v_and_b32_e32 v35, v35, v66
	s_delay_alu instid0(VALU_DEP_1)
	v_and_b32_e32 v36, 1, v35
	v_lshlrev_b32_e32 v37, 30, v35
	v_lshlrev_b32_e32 v38, 29, v35
	;; [unrolled: 1-line block ×4, first 2 shown]
	v_add_co_u32 v36, s14, v36, -1
	s_wait_alu 0xf1ff
	v_cndmask_b32_e64 v48, 0, 1, s14
	v_not_b32_e32 v52, v37
	v_cmp_gt_i32_e64 s15, 0, v37
	v_not_b32_e32 v37, v38
	v_lshlrev_b32_e32 v50, 26, v35
	v_cmp_ne_u32_e64 s14, 0, v48
	v_ashrrev_i32_e32 v52, 31, v52
	v_lshlrev_b32_e32 v51, 25, v35
	v_ashrrev_i32_e32 v37, 31, v37
	v_lshlrev_b32_e32 v48, 24, v35
	s_wait_alu 0xf1ff
	v_xor_b32_e32 v36, s14, v36
	v_cmp_gt_i32_e64 s14, 0, v38
	v_not_b32_e32 v38, v39
	v_xor_b32_e32 v52, s15, v52
	v_cmp_gt_i32_e64 s15, 0, v39
	v_and_b32_e32 v36, exec_lo, v36
	v_not_b32_e32 v39, v49
	v_ashrrev_i32_e32 v38, 31, v38
	s_wait_alu 0xf1ff
	v_xor_b32_e32 v37, s14, v37
	v_cmp_gt_i32_e64 s14, 0, v49
	v_and_b32_e32 v36, v36, v52
	v_not_b32_e32 v49, v50
	v_ashrrev_i32_e32 v39, 31, v39
	v_xor_b32_e32 v38, s15, v38
	v_cmp_gt_i32_e64 s15, 0, v50
	v_and_b32_e32 v36, v36, v37
	v_not_b32_e32 v37, v51
	v_ashrrev_i32_e32 v49, 31, v49
	s_wait_alu 0xf1ff
	v_xor_b32_e32 v39, s14, v39
	v_cmp_gt_i32_e64 s14, 0, v51
	v_and_b32_e32 v36, v36, v38
	v_not_b32_e32 v38, v48
	v_ashrrev_i32_e32 v37, 31, v37
	v_xor_b32_e32 v49, s15, v49
	v_lshl_add_u32 v35, v35, 3, v135
	v_and_b32_e32 v36, v36, v39
	v_cmp_gt_i32_e64 s15, 0, v48
	v_ashrrev_i32_e32 v38, 31, v38
	s_wait_alu 0xf1ff
	v_xor_b32_e32 v37, s14, v37
	v_lshl_add_u32 v39, v35, 2, v12
	v_and_b32_e32 v36, v36, v49
	v_xor_b32_e32 v38, s15, v38
	ds_load_b32 v35, v39 offset:32
	v_and_b32_e32 v36, v36, v37
	v_add_nc_u32_e32 v37, 32, v39
	; wave barrier
	s_delay_alu instid0(VALU_DEP_2) | instskip(NEXT) | instid1(VALU_DEP_1)
	v_and_b32_e32 v38, v36, v38
	v_mbcnt_lo_u32_b32 v36, v38, 0
	v_cmp_ne_u32_e64 s15, 0, v38
	s_delay_alu instid0(VALU_DEP_2)
	v_cmp_eq_u32_e64 s14, 0, v36
	s_and_b32 s15, s15, s14
	s_wait_alu 0xfffe
	s_and_saveexec_b32 s14, s15
	s_cbranch_execz .LBB916_33
; %bb.32:                               ;   in Loop: Header=BB916_29 Depth=1
	s_wait_dscnt 0x0
	v_bcnt_u32_b32 v38, v38, v35
	ds_store_b32 v37, v38
.LBB916_33:                             ;   in Loop: Header=BB916_29 Depth=1
	s_wait_alu 0xfffe
	s_or_b32 exec_lo, exec_lo, s14
	v_and_b32_e32 v38, 0xffff, v192
	; wave barrier
	s_delay_alu instid0(VALU_DEP_1) | instskip(NEXT) | instid1(VALU_DEP_1)
	v_lshrrev_b32_e32 v38, v10, v38
	v_and_b32_e32 v38, v38, v66
	s_delay_alu instid0(VALU_DEP_1)
	v_and_b32_e32 v39, 1, v38
	v_lshlrev_b32_e32 v48, 30, v38
	v_lshlrev_b32_e32 v49, 29, v38
	;; [unrolled: 1-line block ×4, first 2 shown]
	v_add_co_u32 v39, s14, v39, -1
	s_wait_alu 0xf1ff
	v_cndmask_b32_e64 v51, 0, 1, s14
	v_not_b32_e32 v55, v48
	v_cmp_gt_i32_e64 s15, 0, v48
	v_not_b32_e32 v48, v49
	v_lshlrev_b32_e32 v53, 26, v38
	v_cmp_ne_u32_e64 s14, 0, v51
	v_ashrrev_i32_e32 v55, 31, v55
	v_lshlrev_b32_e32 v54, 25, v38
	v_ashrrev_i32_e32 v48, 31, v48
	v_lshlrev_b32_e32 v51, 24, v38
	s_wait_alu 0xf1ff
	v_xor_b32_e32 v39, s14, v39
	v_cmp_gt_i32_e64 s14, 0, v49
	v_not_b32_e32 v49, v50
	v_xor_b32_e32 v55, s15, v55
	v_cmp_gt_i32_e64 s15, 0, v50
	v_and_b32_e32 v39, exec_lo, v39
	v_not_b32_e32 v50, v52
	v_ashrrev_i32_e32 v49, 31, v49
	s_wait_alu 0xf1ff
	v_xor_b32_e32 v48, s14, v48
	v_cmp_gt_i32_e64 s14, 0, v52
	v_and_b32_e32 v39, v39, v55
	v_not_b32_e32 v52, v53
	v_ashrrev_i32_e32 v50, 31, v50
	v_xor_b32_e32 v49, s15, v49
	v_cmp_gt_i32_e64 s15, 0, v53
	v_and_b32_e32 v39, v39, v48
	v_not_b32_e32 v48, v54
	v_ashrrev_i32_e32 v52, 31, v52
	s_wait_alu 0xf1ff
	v_xor_b32_e32 v50, s14, v50
	v_cmp_gt_i32_e64 s14, 0, v54
	v_and_b32_e32 v39, v39, v49
	v_not_b32_e32 v49, v51
	v_ashrrev_i32_e32 v48, 31, v48
	v_xor_b32_e32 v52, s15, v52
	v_lshl_add_u32 v38, v38, 3, v135
	v_and_b32_e32 v39, v39, v50
	v_cmp_gt_i32_e64 s15, 0, v51
	v_ashrrev_i32_e32 v49, 31, v49
	s_wait_alu 0xf1ff
	v_xor_b32_e32 v48, s14, v48
	v_lshl_add_u32 v50, v38, 2, v12
	v_and_b32_e32 v39, v39, v52
	v_xor_b32_e32 v49, s15, v49
	ds_load_b32 v38, v50 offset:32
	v_and_b32_e32 v39, v39, v48
	v_add_nc_u32_e32 v48, 32, v50
	; wave barrier
	s_delay_alu instid0(VALU_DEP_2) | instskip(NEXT) | instid1(VALU_DEP_1)
	v_and_b32_e32 v49, v39, v49
	v_mbcnt_lo_u32_b32 v39, v49, 0
	v_cmp_ne_u32_e64 s15, 0, v49
	s_delay_alu instid0(VALU_DEP_2)
	v_cmp_eq_u32_e64 s14, 0, v39
	s_and_b32 s15, s15, s14
	s_wait_alu 0xfffe
	s_and_saveexec_b32 s14, s15
	s_cbranch_execz .LBB916_35
; %bb.34:                               ;   in Loop: Header=BB916_29 Depth=1
	s_wait_dscnt 0x0
	v_bcnt_u32_b32 v49, v49, v38
	ds_store_b32 v48, v49
.LBB916_35:                             ;   in Loop: Header=BB916_29 Depth=1
	s_wait_alu 0xfffe
	s_or_b32 exec_lo, exec_lo, s14
	v_lshrrev_b32_e32 v194, 16, v192
	; wave barrier
	s_delay_alu instid0(VALU_DEP_1) | instskip(NEXT) | instid1(VALU_DEP_1)
	v_lshrrev_b32_e32 v49, v10, v194
	v_and_b32_e32 v49, v49, v66
	s_delay_alu instid0(VALU_DEP_1)
	v_and_b32_e32 v50, 1, v49
	v_lshlrev_b32_e32 v51, 30, v49
	v_lshlrev_b32_e32 v52, 29, v49
	;; [unrolled: 1-line block ×4, first 2 shown]
	v_add_co_u32 v50, s14, v50, -1
	s_wait_alu 0xf1ff
	v_cndmask_b32_e64 v54, 0, 1, s14
	v_not_b32_e32 v67, v51
	v_cmp_gt_i32_e64 s15, 0, v51
	v_not_b32_e32 v51, v52
	v_lshlrev_b32_e32 v64, 26, v49
	v_cmp_ne_u32_e64 s14, 0, v54
	v_ashrrev_i32_e32 v67, 31, v67
	v_lshlrev_b32_e32 v65, 25, v49
	v_ashrrev_i32_e32 v51, 31, v51
	v_lshlrev_b32_e32 v54, 24, v49
	s_wait_alu 0xf1ff
	v_xor_b32_e32 v50, s14, v50
	v_cmp_gt_i32_e64 s14, 0, v52
	v_not_b32_e32 v52, v53
	v_xor_b32_e32 v67, s15, v67
	v_cmp_gt_i32_e64 s15, 0, v53
	v_and_b32_e32 v50, exec_lo, v50
	v_not_b32_e32 v53, v55
	v_ashrrev_i32_e32 v52, 31, v52
	s_wait_alu 0xf1ff
	v_xor_b32_e32 v51, s14, v51
	v_cmp_gt_i32_e64 s14, 0, v55
	v_and_b32_e32 v50, v50, v67
	v_not_b32_e32 v55, v64
	v_ashrrev_i32_e32 v53, 31, v53
	v_xor_b32_e32 v52, s15, v52
	v_cmp_gt_i32_e64 s15, 0, v64
	v_and_b32_e32 v50, v50, v51
	v_not_b32_e32 v51, v65
	v_ashrrev_i32_e32 v55, 31, v55
	s_wait_alu 0xf1ff
	v_xor_b32_e32 v53, s14, v53
	v_cmp_gt_i32_e64 s14, 0, v65
	v_and_b32_e32 v50, v50, v52
	v_not_b32_e32 v52, v54
	v_ashrrev_i32_e32 v51, 31, v51
	v_xor_b32_e32 v55, s15, v55
	v_lshl_add_u32 v49, v49, 3, v135
	v_and_b32_e32 v50, v50, v53
	v_cmp_gt_i32_e64 s15, 0, v54
	v_ashrrev_i32_e32 v52, 31, v52
	s_wait_alu 0xf1ff
	v_xor_b32_e32 v51, s14, v51
	v_lshl_add_u32 v53, v49, 2, v12
	v_and_b32_e32 v50, v50, v55
	v_xor_b32_e32 v52, s15, v52
	ds_load_b32 v49, v53 offset:32
	v_and_b32_e32 v50, v50, v51
	v_add_nc_u32_e32 v51, 32, v53
	; wave barrier
	s_delay_alu instid0(VALU_DEP_2) | instskip(NEXT) | instid1(VALU_DEP_1)
	v_and_b32_e32 v52, v50, v52
	v_mbcnt_lo_u32_b32 v50, v52, 0
	v_cmp_ne_u32_e64 s15, 0, v52
	s_delay_alu instid0(VALU_DEP_2)
	v_cmp_eq_u32_e64 s14, 0, v50
	s_and_b32 s15, s15, s14
	s_wait_alu 0xfffe
	s_and_saveexec_b32 s14, s15
	s_cbranch_execz .LBB916_37
; %bb.36:                               ;   in Loop: Header=BB916_29 Depth=1
	s_wait_dscnt 0x0
	v_bcnt_u32_b32 v52, v52, v49
	ds_store_b32 v51, v52
.LBB916_37:                             ;   in Loop: Header=BB916_29 Depth=1
	s_wait_alu 0xfffe
	s_or_b32 exec_lo, exec_lo, s14
	v_and_b32_e32 v52, 0xffff, v183
	; wave barrier
	s_delay_alu instid0(VALU_DEP_1) | instskip(NEXT) | instid1(VALU_DEP_1)
	v_lshrrev_b32_e32 v52, v10, v52
	v_and_b32_e32 v52, v52, v66
	s_delay_alu instid0(VALU_DEP_1)
	v_and_b32_e32 v53, 1, v52
	v_lshlrev_b32_e32 v54, 30, v52
	v_lshlrev_b32_e32 v55, 29, v52
	;; [unrolled: 1-line block ×4, first 2 shown]
	v_add_co_u32 v53, s14, v53, -1
	s_wait_alu 0xf1ff
	v_cndmask_b32_e64 v65, 0, 1, s14
	v_not_b32_e32 v70, v54
	v_cmp_gt_i32_e64 s15, 0, v54
	v_not_b32_e32 v54, v55
	v_lshlrev_b32_e32 v68, 26, v52
	v_cmp_ne_u32_e64 s14, 0, v65
	v_ashrrev_i32_e32 v70, 31, v70
	v_lshlrev_b32_e32 v69, 25, v52
	v_ashrrev_i32_e32 v54, 31, v54
	v_lshlrev_b32_e32 v65, 24, v52
	s_wait_alu 0xf1ff
	v_xor_b32_e32 v53, s14, v53
	v_cmp_gt_i32_e64 s14, 0, v55
	v_not_b32_e32 v55, v64
	v_xor_b32_e32 v70, s15, v70
	v_cmp_gt_i32_e64 s15, 0, v64
	v_and_b32_e32 v53, exec_lo, v53
	v_not_b32_e32 v64, v67
	v_ashrrev_i32_e32 v55, 31, v55
	s_wait_alu 0xf1ff
	v_xor_b32_e32 v54, s14, v54
	v_cmp_gt_i32_e64 s14, 0, v67
	v_and_b32_e32 v53, v53, v70
	v_not_b32_e32 v67, v68
	v_ashrrev_i32_e32 v64, 31, v64
	v_xor_b32_e32 v55, s15, v55
	v_cmp_gt_i32_e64 s15, 0, v68
	v_and_b32_e32 v53, v53, v54
	v_not_b32_e32 v54, v69
	v_ashrrev_i32_e32 v67, 31, v67
	s_wait_alu 0xf1ff
	v_xor_b32_e32 v64, s14, v64
	v_cmp_gt_i32_e64 s14, 0, v69
	v_and_b32_e32 v53, v53, v55
	v_not_b32_e32 v55, v65
	v_ashrrev_i32_e32 v54, 31, v54
	v_xor_b32_e32 v67, s15, v67
	v_lshl_add_u32 v52, v52, 3, v135
	v_and_b32_e32 v53, v53, v64
	v_cmp_gt_i32_e64 s15, 0, v65
	v_ashrrev_i32_e32 v55, 31, v55
	s_wait_alu 0xf1ff
	v_xor_b32_e32 v54, s14, v54
	v_lshl_add_u32 v64, v52, 2, v12
	v_and_b32_e32 v53, v53, v67
	v_xor_b32_e32 v55, s15, v55
	ds_load_b32 v52, v64 offset:32
	v_and_b32_e32 v53, v53, v54
	v_add_nc_u32_e32 v54, 32, v64
	; wave barrier
	s_delay_alu instid0(VALU_DEP_2) | instskip(NEXT) | instid1(VALU_DEP_1)
	v_and_b32_e32 v55, v53, v55
	v_mbcnt_lo_u32_b32 v53, v55, 0
	v_cmp_ne_u32_e64 s15, 0, v55
	s_delay_alu instid0(VALU_DEP_2)
	v_cmp_eq_u32_e64 s14, 0, v53
	s_and_b32 s15, s15, s14
	s_wait_alu 0xfffe
	s_and_saveexec_b32 s14, s15
	s_cbranch_execz .LBB916_39
; %bb.38:                               ;   in Loop: Header=BB916_29 Depth=1
	s_wait_dscnt 0x0
	v_bcnt_u32_b32 v55, v55, v52
	ds_store_b32 v54, v55
.LBB916_39:                             ;   in Loop: Header=BB916_29 Depth=1
	s_wait_alu 0xfffe
	s_or_b32 exec_lo, exec_lo, s14
	v_lshrrev_b32_e32 v195, 16, v183
	; wave barrier
	s_delay_alu instid0(VALU_DEP_1) | instskip(NEXT) | instid1(VALU_DEP_1)
	v_lshrrev_b32_e32 v55, v10, v195
	v_and_b32_e32 v55, v55, v66
	s_delay_alu instid0(VALU_DEP_1)
	v_and_b32_e32 v64, 1, v55
	v_lshlrev_b32_e32 v65, 30, v55
	v_lshlrev_b32_e32 v67, 29, v55
	;; [unrolled: 1-line block ×4, first 2 shown]
	v_add_co_u32 v64, s14, v64, -1
	s_wait_alu 0xf1ff
	v_cndmask_b32_e64 v69, 0, 1, s14
	v_not_b32_e32 v81, v65
	v_cmp_gt_i32_e64 s15, 0, v65
	v_not_b32_e32 v65, v67
	v_lshlrev_b32_e32 v71, 26, v55
	v_cmp_ne_u32_e64 s14, 0, v69
	v_ashrrev_i32_e32 v81, 31, v81
	v_lshlrev_b32_e32 v80, 25, v55
	v_ashrrev_i32_e32 v65, 31, v65
	v_lshlrev_b32_e32 v69, 24, v55
	s_wait_alu 0xf1ff
	v_xor_b32_e32 v64, s14, v64
	v_cmp_gt_i32_e64 s14, 0, v67
	v_not_b32_e32 v67, v68
	v_xor_b32_e32 v81, s15, v81
	v_cmp_gt_i32_e64 s15, 0, v68
	v_and_b32_e32 v64, exec_lo, v64
	v_not_b32_e32 v68, v70
	v_ashrrev_i32_e32 v67, 31, v67
	s_wait_alu 0xf1ff
	v_xor_b32_e32 v65, s14, v65
	v_cmp_gt_i32_e64 s14, 0, v70
	v_and_b32_e32 v64, v64, v81
	v_not_b32_e32 v70, v71
	v_ashrrev_i32_e32 v68, 31, v68
	v_xor_b32_e32 v67, s15, v67
	v_cmp_gt_i32_e64 s15, 0, v71
	v_and_b32_e32 v64, v64, v65
	v_not_b32_e32 v65, v80
	v_ashrrev_i32_e32 v70, 31, v70
	s_wait_alu 0xf1ff
	v_xor_b32_e32 v68, s14, v68
	v_cmp_gt_i32_e64 s14, 0, v80
	v_and_b32_e32 v64, v64, v67
	v_not_b32_e32 v67, v69
	v_ashrrev_i32_e32 v65, 31, v65
	v_xor_b32_e32 v70, s15, v70
	v_lshl_add_u32 v55, v55, 3, v135
	v_and_b32_e32 v64, v64, v68
	v_cmp_gt_i32_e64 s15, 0, v69
	v_ashrrev_i32_e32 v67, 31, v67
	s_wait_alu 0xf1ff
	v_xor_b32_e32 v65, s14, v65
	v_lshl_add_u32 v68, v55, 2, v12
	v_and_b32_e32 v64, v64, v70
	v_xor_b32_e32 v67, s15, v67
	ds_load_b32 v55, v68 offset:32
	v_and_b32_e32 v64, v64, v65
	v_add_nc_u32_e32 v65, 32, v68
	; wave barrier
	s_delay_alu instid0(VALU_DEP_2) | instskip(NEXT) | instid1(VALU_DEP_1)
	v_and_b32_e32 v67, v64, v67
	v_mbcnt_lo_u32_b32 v64, v67, 0
	v_cmp_ne_u32_e64 s15, 0, v67
	s_delay_alu instid0(VALU_DEP_2)
	v_cmp_eq_u32_e64 s14, 0, v64
	s_and_b32 s15, s15, s14
	s_wait_alu 0xfffe
	s_and_saveexec_b32 s14, s15
	s_cbranch_execz .LBB916_41
; %bb.40:                               ;   in Loop: Header=BB916_29 Depth=1
	s_wait_dscnt 0x0
	v_bcnt_u32_b32 v67, v67, v55
	ds_store_b32 v65, v67
.LBB916_41:                             ;   in Loop: Header=BB916_29 Depth=1
	s_wait_alu 0xfffe
	s_or_b32 exec_lo, exec_lo, s14
	v_and_b32_e32 v67, 0xffff, v182
	; wave barrier
	s_delay_alu instid0(VALU_DEP_1) | instskip(NEXT) | instid1(VALU_DEP_1)
	v_lshrrev_b32_e32 v67, v10, v67
	v_and_b32_e32 v67, v67, v66
	s_delay_alu instid0(VALU_DEP_1)
	v_and_b32_e32 v68, 1, v67
	v_lshlrev_b32_e32 v69, 30, v67
	v_lshlrev_b32_e32 v70, 29, v67
	;; [unrolled: 1-line block ×4, first 2 shown]
	v_add_co_u32 v68, s14, v68, -1
	s_wait_alu 0xf1ff
	v_cndmask_b32_e64 v80, 0, 1, s14
	v_not_b32_e32 v84, v69
	v_cmp_gt_i32_e64 s15, 0, v69
	v_not_b32_e32 v69, v70
	v_lshlrev_b32_e32 v82, 26, v67
	v_cmp_ne_u32_e64 s14, 0, v80
	v_ashrrev_i32_e32 v84, 31, v84
	v_lshlrev_b32_e32 v83, 25, v67
	v_ashrrev_i32_e32 v69, 31, v69
	v_lshlrev_b32_e32 v80, 24, v67
	s_wait_alu 0xf1ff
	v_xor_b32_e32 v68, s14, v68
	v_cmp_gt_i32_e64 s14, 0, v70
	v_not_b32_e32 v70, v71
	v_xor_b32_e32 v84, s15, v84
	v_cmp_gt_i32_e64 s15, 0, v71
	v_and_b32_e32 v68, exec_lo, v68
	v_not_b32_e32 v71, v81
	v_ashrrev_i32_e32 v70, 31, v70
	s_wait_alu 0xf1ff
	v_xor_b32_e32 v69, s14, v69
	v_cmp_gt_i32_e64 s14, 0, v81
	v_and_b32_e32 v68, v68, v84
	v_not_b32_e32 v81, v82
	v_ashrrev_i32_e32 v71, 31, v71
	v_xor_b32_e32 v70, s15, v70
	v_cmp_gt_i32_e64 s15, 0, v82
	v_and_b32_e32 v68, v68, v69
	v_not_b32_e32 v69, v83
	v_ashrrev_i32_e32 v81, 31, v81
	s_wait_alu 0xf1ff
	v_xor_b32_e32 v71, s14, v71
	v_cmp_gt_i32_e64 s14, 0, v83
	v_and_b32_e32 v68, v68, v70
	v_not_b32_e32 v70, v80
	v_ashrrev_i32_e32 v69, 31, v69
	v_xor_b32_e32 v81, s15, v81
	v_lshl_add_u32 v67, v67, 3, v135
	v_and_b32_e32 v68, v68, v71
	v_cmp_gt_i32_e64 s15, 0, v80
	v_ashrrev_i32_e32 v70, 31, v70
	s_wait_alu 0xf1ff
	v_xor_b32_e32 v69, s14, v69
	v_lshl_add_u32 v67, v67, 2, v12
	v_and_b32_e32 v68, v68, v81
	v_xor_b32_e32 v70, s15, v70
	ds_load_b32 v84, v67 offset:32
	v_and_b32_e32 v68, v68, v69
	v_add_nc_u32_e32 v67, 32, v67
	; wave barrier
	s_delay_alu instid0(VALU_DEP_2) | instskip(NEXT) | instid1(VALU_DEP_1)
	v_and_b32_e32 v68, v68, v70
	v_mbcnt_lo_u32_b32 v86, v68, 0
	v_cmp_ne_u32_e64 s15, 0, v68
	s_delay_alu instid0(VALU_DEP_2)
	v_cmp_eq_u32_e64 s14, 0, v86
	s_and_b32 s15, s15, s14
	s_wait_alu 0xfffe
	s_and_saveexec_b32 s14, s15
	s_cbranch_execz .LBB916_43
; %bb.42:                               ;   in Loop: Header=BB916_29 Depth=1
	s_wait_dscnt 0x0
	v_bcnt_u32_b32 v68, v68, v84
	ds_store_b32 v67, v68
.LBB916_43:                             ;   in Loop: Header=BB916_29 Depth=1
	s_wait_alu 0xfffe
	s_or_b32 exec_lo, exec_lo, s14
	v_lshrrev_b32_e32 v196, 16, v182
	; wave barrier
	s_delay_alu instid0(VALU_DEP_1) | instskip(NEXT) | instid1(VALU_DEP_1)
	v_lshrrev_b32_e32 v68, v10, v196
	v_and_b32_e32 v66, v68, v66
	s_delay_alu instid0(VALU_DEP_1)
	v_and_b32_e32 v68, 1, v66
	v_lshlrev_b32_e32 v69, 30, v66
	v_lshlrev_b32_e32 v70, 29, v66
	;; [unrolled: 1-line block ×4, first 2 shown]
	v_add_co_u32 v68, s14, v68, -1
	s_wait_alu 0xf1ff
	v_cndmask_b32_e64 v80, 0, 1, s14
	v_not_b32_e32 v85, v69
	v_cmp_gt_i32_e64 s15, 0, v69
	v_not_b32_e32 v69, v70
	v_lshlrev_b32_e32 v82, 26, v66
	v_cmp_ne_u32_e64 s14, 0, v80
	v_ashrrev_i32_e32 v85, 31, v85
	v_lshlrev_b32_e32 v83, 25, v66
	v_ashrrev_i32_e32 v69, 31, v69
	v_lshlrev_b32_e32 v80, 24, v66
	s_wait_alu 0xf1ff
	v_xor_b32_e32 v68, s14, v68
	v_cmp_gt_i32_e64 s14, 0, v70
	v_not_b32_e32 v70, v71
	v_xor_b32_e32 v85, s15, v85
	v_cmp_gt_i32_e64 s15, 0, v71
	v_and_b32_e32 v68, exec_lo, v68
	v_not_b32_e32 v71, v81
	v_ashrrev_i32_e32 v70, 31, v70
	s_wait_alu 0xf1ff
	v_xor_b32_e32 v69, s14, v69
	v_cmp_gt_i32_e64 s14, 0, v81
	v_and_b32_e32 v68, v68, v85
	v_not_b32_e32 v81, v82
	v_ashrrev_i32_e32 v71, 31, v71
	v_xor_b32_e32 v70, s15, v70
	v_cmp_gt_i32_e64 s15, 0, v82
	v_and_b32_e32 v68, v68, v69
	v_not_b32_e32 v69, v83
	v_ashrrev_i32_e32 v81, 31, v81
	s_wait_alu 0xf1ff
	v_xor_b32_e32 v71, s14, v71
	v_cmp_gt_i32_e64 s14, 0, v83
	v_and_b32_e32 v68, v68, v70
	v_not_b32_e32 v70, v80
	v_ashrrev_i32_e32 v69, 31, v69
	v_xor_b32_e32 v81, s15, v81
	v_lshl_add_u32 v66, v66, 3, v135
	v_and_b32_e32 v68, v68, v71
	v_cmp_gt_i32_e64 s15, 0, v80
	v_ashrrev_i32_e32 v70, 31, v70
	s_wait_alu 0xf1ff
	v_xor_b32_e32 v69, s14, v69
	v_lshl_add_u32 v66, v66, 2, v12
	v_and_b32_e32 v68, v68, v81
	v_xor_b32_e32 v70, s15, v70
	ds_load_b32 v96, v66 offset:32
	v_and_b32_e32 v68, v68, v69
	v_add_nc_u32_e32 v66, 32, v66
	; wave barrier
	s_delay_alu instid0(VALU_DEP_2) | instskip(NEXT) | instid1(VALU_DEP_1)
	v_and_b32_e32 v68, v68, v70
	v_mbcnt_lo_u32_b32 v97, v68, 0
	v_cmp_ne_u32_e64 s15, 0, v68
	s_delay_alu instid0(VALU_DEP_2)
	v_cmp_eq_u32_e64 s14, 0, v97
	s_and_b32 s15, s15, s14
	s_wait_alu 0xfffe
	s_and_saveexec_b32 s14, s15
	s_cbranch_execz .LBB916_45
; %bb.44:                               ;   in Loop: Header=BB916_29 Depth=1
	s_wait_dscnt 0x0
	v_bcnt_u32_b32 v68, v68, v96
	ds_store_b32 v66, v68
.LBB916_45:                             ;   in Loop: Header=BB916_29 Depth=1
	s_wait_alu 0xfffe
	s_or_b32 exec_lo, exec_lo, s14
	; wave barrier
	s_wait_loadcnt_dscnt 0x0
	s_barrier_signal -1
	s_barrier_wait -1
	global_inv scope:SCOPE_SE
	ds_load_b32 v69, v23
	ds_load_b32 v70, v25
	;; [unrolled: 1-line block ×8, first 2 shown]
	s_wait_dscnt 0x6
	v_add_nc_u32_e32 v85, v70, v69
	s_wait_dscnt 0x4
	s_delay_alu instid0(VALU_DEP_1) | instskip(SKIP_1) | instid1(VALU_DEP_1)
	v_add3_u32 v85, v85, v71, v80
	s_wait_dscnt 0x2
	v_add3_u32 v85, v85, v81, v82
	s_wait_dscnt 0x0
	s_delay_alu instid0(VALU_DEP_1) | instskip(NEXT) | instid1(VALU_DEP_1)
	v_add3_u32 v83, v85, v68, v83
	v_mov_b32_dpp v85, v83 row_shr:1 row_mask:0xf bank_mask:0xf
	s_wait_alu 0xfffd
	s_delay_alu instid0(VALU_DEP_1) | instskip(NEXT) | instid1(VALU_DEP_1)
	v_cndmask_b32_e64 v85, v85, 0, vcc_lo
	v_add_nc_u32_e32 v83, v85, v83
	s_delay_alu instid0(VALU_DEP_1) | instskip(NEXT) | instid1(VALU_DEP_1)
	v_mov_b32_dpp v85, v83 row_shr:2 row_mask:0xf bank_mask:0xf
	v_cndmask_b32_e64 v85, 0, v85, s0
	s_delay_alu instid0(VALU_DEP_1) | instskip(NEXT) | instid1(VALU_DEP_1)
	v_add_nc_u32_e32 v83, v83, v85
	v_mov_b32_dpp v85, v83 row_shr:4 row_mask:0xf bank_mask:0xf
	s_delay_alu instid0(VALU_DEP_1) | instskip(NEXT) | instid1(VALU_DEP_1)
	v_cndmask_b32_e64 v85, 0, v85, s1
	v_add_nc_u32_e32 v83, v83, v85
	s_delay_alu instid0(VALU_DEP_1) | instskip(NEXT) | instid1(VALU_DEP_1)
	v_mov_b32_dpp v85, v83 row_shr:8 row_mask:0xf bank_mask:0xf
	v_cndmask_b32_e64 v85, 0, v85, s3
	s_delay_alu instid0(VALU_DEP_1) | instskip(SKIP_3) | instid1(VALU_DEP_1)
	v_add_nc_u32_e32 v83, v83, v85
	ds_swizzle_b32 v85, v83 offset:swizzle(BROADCAST,32,15)
	s_wait_dscnt 0x0
	v_cndmask_b32_e64 v85, v85, 0, s4
	v_add_nc_u32_e32 v83, v83, v85
	s_and_saveexec_b32 s14, s5
; %bb.46:                               ;   in Loop: Header=BB916_29 Depth=1
	ds_store_b32 v145, v83
; %bb.47:                               ;   in Loop: Header=BB916_29 Depth=1
	s_wait_alu 0xfffe
	s_or_b32 exec_lo, exec_lo, s14
	s_wait_loadcnt_dscnt 0x0
	s_barrier_signal -1
	s_barrier_wait -1
	global_inv scope:SCOPE_SE
	s_and_saveexec_b32 s14, s6
	s_cbranch_execz .LBB916_49
; %bb.48:                               ;   in Loop: Header=BB916_29 Depth=1
	ds_load_b32 v85, v146
	s_wait_dscnt 0x0
	v_mov_b32_dpp v87, v85 row_shr:1 row_mask:0xf bank_mask:0xf
	s_delay_alu instid0(VALU_DEP_1) | instskip(NEXT) | instid1(VALU_DEP_1)
	v_cndmask_b32_e64 v87, v87, 0, s11
	v_add_nc_u32_e32 v85, v87, v85
	s_delay_alu instid0(VALU_DEP_1) | instskip(NEXT) | instid1(VALU_DEP_1)
	v_mov_b32_dpp v87, v85 row_shr:2 row_mask:0xf bank_mask:0xf
	v_cndmask_b32_e64 v87, 0, v87, s12
	s_delay_alu instid0(VALU_DEP_1) | instskip(NEXT) | instid1(VALU_DEP_1)
	v_add_nc_u32_e32 v85, v85, v87
	v_mov_b32_dpp v87, v85 row_shr:4 row_mask:0xf bank_mask:0xf
	s_delay_alu instid0(VALU_DEP_1) | instskip(NEXT) | instid1(VALU_DEP_1)
	v_cndmask_b32_e64 v87, 0, v87, s13
	v_add_nc_u32_e32 v85, v85, v87
	ds_store_b32 v146, v85
.LBB916_49:                             ;   in Loop: Header=BB916_29 Depth=1
	s_wait_alu 0xfffe
	s_or_b32 exec_lo, exec_lo, s14
	v_mov_b32_e32 v85, 0
	s_wait_loadcnt_dscnt 0x0
	s_barrier_signal -1
	s_barrier_wait -1
	global_inv scope:SCOPE_SE
	s_and_saveexec_b32 s14, s7
; %bb.50:                               ;   in Loop: Header=BB916_29 Depth=1
	ds_load_b32 v85, v148
; %bb.51:                               ;   in Loop: Header=BB916_29 Depth=1
	s_wait_alu 0xfffe
	s_or_b32 exec_lo, exec_lo, s14
	s_wait_dscnt 0x0
	v_add_nc_u32_e32 v83, v85, v83
	v_dual_mov_b32 v87, v5 :: v_dual_add_nc_u32 v10, 8, v10
	s_mov_b32 s20, -1
	v_mov_b32_e32 v197, v181
	ds_bpermute_b32 v83, v144, v83
	s_wait_dscnt 0x0
	v_cndmask_b32_e64 v83, v83, v85, s2
	v_mov_b32_e32 v85, v5
	s_delay_alu instid0(VALU_DEP_2) | instskip(NEXT) | instid1(VALU_DEP_1)
	v_cndmask_b32_e64 v83, v83, 0, s10
	v_add_nc_u32_e32 v69, v83, v69
	s_delay_alu instid0(VALU_DEP_1)
	v_add_nc_u32_e32 v70, v69, v70
	ds_store_b32 v23, v83
	ds_store_b32 v25, v69
	;; [unrolled: 1-line block ×3, first 2 shown]
	v_mov_b32_e32 v69, v5
	v_add_nc_u32_e32 v71, v70, v71
	v_mov_b32_e32 v83, v5
	v_cmp_lt_u32_e64 s14, v10, v11
	s_delay_alu instid0(VALU_DEP_3) | instskip(NEXT) | instid1(VALU_DEP_1)
	v_add_nc_u32_e32 v80, v71, v80
	v_add_nc_u32_e32 v81, v80, v81
	s_delay_alu instid0(VALU_DEP_1) | instskip(NEXT) | instid1(VALU_DEP_1)
	v_add_nc_u32_e32 v82, v81, v82
	v_add_nc_u32_e32 v68, v82, v68
	ds_store_b32 v130, v71
	ds_store_b32 v131, v80
	;; [unrolled: 1-line block ×5, first 2 shown]
	s_wait_loadcnt_dscnt 0x0
	s_barrier_signal -1
	s_barrier_wait -1
	global_inv scope:SCOPE_SE
	ds_load_b32 v34, v34
	ds_load_b32 v37, v37
	;; [unrolled: 1-line block ×8, first 2 shown]
	v_mov_b32_e32 v71, v5
	v_mov_b32_e32 v67, v5
	;; [unrolled: 1-line block ×3, first 2 shown]
	s_wait_loadcnt_dscnt 0x0
	v_add_nc_u32_e32 v4, v34, v4
	v_add3_u32 v66, v36, v35, v37
	v_add3_u32 v68, v39, v38, v48
	;; [unrolled: 1-line block ×4, first 2 shown]
	v_lshlrev_b64_e32 v[34:35], 1, v[4:5]
	v_lshlrev_b64_e32 v[36:37], 1, v[66:67]
	;; [unrolled: 1-line block ×3, first 2 shown]
	v_add3_u32 v82, v64, v55, v65
	v_lshlrev_b64_e32 v[48:49], 1, v[70:71]
	v_add3_u32 v84, v86, v84, v98
	v_add_co_u32 v118, s15, v12, v34
	v_add3_u32 v86, v97, v96, v99
	v_lshlrev_b64_e32 v[50:51], 1, v[80:81]
	s_wait_alu 0xf1ff
	v_add_co_ci_u32_e64 v119, null, v13, v35, s15
	v_add_co_u32 v96, s15, v12, v36
	v_lshlrev_b64_e32 v[52:53], 1, v[82:83]
	s_wait_alu 0xf1ff
	v_add_co_ci_u32_e64 v97, null, v13, v37, s15
	v_add_co_u32 v98, s15, v12, v38
	;; [unrolled: 4-line block ×4, first 2 shown]
	s_wait_alu 0xf1ff
	v_add_co_ci_u32_e64 v103, null, v13, v51, s15
	v_add_co_u32 v112, s15, v12, v52
	s_wait_alu 0xf1ff
	v_add_co_ci_u32_e64 v113, null, v13, v53, s15
	v_add_co_u32 v114, s15, v12, v54
	;; [unrolled: 3-line block ×3, first 2 shown]
	s_wait_alu 0xf1ff
	v_add_co_ci_u32_e64 v117, null, v13, v65, s15
                                        ; implicit-def: $vgpr71
                                        ; implicit-def: $vgpr69
                                        ; implicit-def: $vgpr67
                                        ; implicit-def: $vgpr34_vgpr35
                                        ; implicit-def: $vgpr38_vgpr39
                                        ; implicit-def: $vgpr48_vgpr49
                                        ; implicit-def: $vgpr50_vgpr51
                                        ; implicit-def: $vgpr52_vgpr53
                                        ; implicit-def: $vgpr54_vgpr55
                                        ; implicit-def: $vgpr64_vgpr65
                                        ; implicit-def: $vgpr36_vgpr37
	s_and_saveexec_b32 s15, s14
	s_cbranch_execz .LBB916_28
; %bb.52:                               ;   in Loop: Header=BB916_29 Depth=1
	s_barrier_signal -1
	s_barrier_wait -1
	global_inv scope:SCOPE_SE
	ds_store_b16 v118, v181
	ds_store_b16 v96, v193
	;; [unrolled: 1-line block ×8, first 2 shown]
	s_wait_loadcnt_dscnt 0x0
	s_barrier_signal -1
	s_barrier_wait -1
	global_inv scope:SCOPE_SE
	ds_load_u16 v181, v147
	ds_load_u16 v67, v150
	;; [unrolled: 1-line block ×4, first 2 shown]
	v_mad_co_u64_u32 v[34:35], null, v4, 6, v[118:119]
	v_mad_co_u64_u32 v[35:36], null, v66, 6, v[96:97]
	;; [unrolled: 1-line block ×8, first 2 shown]
	s_wait_dscnt 0x3
	ds_load_u16_d16_hi v181, v149
	s_wait_dscnt 0x3
	ds_load_u16_d16_hi v67, v151
	;; [unrolled: 2-line block ×4, first 2 shown]
	s_wait_loadcnt_dscnt 0x0
	s_barrier_signal -1
	s_barrier_wait -1
	global_inv scope:SCOPE_SE
	ds_store_b64 v34, v[30:31]
	ds_store_b64 v35, v[21:22]
	;; [unrolled: 1-line block ×8, first 2 shown]
	s_wait_loadcnt_dscnt 0x0
	s_barrier_signal -1
	s_barrier_wait -1
	global_inv scope:SCOPE_SE
	ds_load_b64 v[34:35], v160
	ds_load_b64 v[38:39], v165
	ds_load_b64 v[48:49], v166
	ds_load_b64 v[50:51], v167
	ds_load_b64 v[52:53], v176
	ds_load_b64 v[54:55], v177
	ds_load_b64 v[64:65], v178
	ds_load_b64 v[36:37], v179
	v_add_nc_u32_e32 v180, -8, v180
	s_xor_b32 s20, exec_lo, -1
	s_wait_loadcnt_dscnt 0x0
	s_barrier_signal -1
	s_barrier_wait -1
	global_inv scope:SCOPE_SE
	s_branch .LBB916_28
.LBB916_53:
	s_or_b32 exec_lo, exec_lo, s19
	v_mad_co_u64_u32 v[10:11], null, v4, 6, v[118:119]
	v_lshl_add_u32 v23, v18, 1, v12
	s_barrier_signal -1
	s_barrier_wait -1
	s_wait_loadcnt 0x0
	global_inv scope:SCOPE_SE
	ds_store_b16 v118, v197
	ds_store_b16 v96, v193
	;; [unrolled: 1-line block ×8, first 2 shown]
	s_wait_loadcnt_dscnt 0x0
	s_barrier_signal -1
	s_barrier_wait -1
	global_inv scope:SCOPE_SE
	ds_load_u16 v39, v23
	ds_load_u16 v38, v23 offset:512
	ds_load_u16 v37, v23 offset:1024
	;; [unrolled: 1-line block ×7, first 2 shown]
	s_wait_loadcnt_dscnt 0x0
	s_barrier_signal -1
	s_barrier_wait -1
	global_inv scope:SCOPE_SE
	ds_store_b64 v10, v[30:31]
	v_mad_co_u64_u32 v[10:11], null, v66, 6, v[96:97]
	v_mad_co_u64_u32 v[11:12], null, v68, 6, v[98:99]
	;; [unrolled: 1-line block ×7, first 2 shown]
	ds_store_b64 v10, v[21:22]
	ds_store_b64 v11, v[19:20]
	;; [unrolled: 1-line block ×3, first 2 shown]
	v_mul_u32_u24_e32 v10, 6, v18
	ds_store_b64 v30, v[16:17]
	ds_store_b64 v48, v[14:15]
	;; [unrolled: 1-line block ×4, first 2 shown]
	s_wait_loadcnt_dscnt 0x0
	s_barrier_signal -1
	v_dual_mov_b32 v25, 0 :: v_dual_add_nc_u32 v8, v23, v10
	s_barrier_wait -1
	global_inv scope:SCOPE_SE
	ds_load_2addr_stride64_b64 v[20:23], v8 offset1:4
	ds_load_2addr_stride64_b64 v[16:19], v8 offset0:8 offset1:12
	ds_load_2addr_stride64_b64 v[12:15], v8 offset0:16 offset1:20
	;; [unrolled: 1-line block ×3, first 2 shown]
	v_lshlrev_b64_e32 v[28:29], 1, v[24:25]
	v_add_co_u32 v2, vcc_lo, v2, v26
	s_wait_alu 0xfffd
	v_add_co_ci_u32_e64 v3, null, v3, v27, vcc_lo
	s_wait_loadcnt_dscnt 0x0
	s_delay_alu instid0(VALU_DEP_2) | instskip(SKIP_1) | instid1(VALU_DEP_2)
	v_add_co_u32 v2, vcc_lo, v2, v28
	s_wait_alu 0xfffd
	v_add_co_ci_u32_e64 v3, null, v3, v29, vcc_lo
	v_cmp_lt_u32_e32 vcc_lo, v24, v128
	s_barrier_signal -1
	s_barrier_wait -1
	global_inv scope:SCOPE_SE
	s_and_saveexec_b32 s0, vcc_lo
	s_cbranch_execz .LBB916_55
; %bb.54:
	v_xor_b32_e32 v26, 0x7fff, v39
	flat_store_b16 v[2:3], v26
.LBB916_55:
	s_wait_alu 0xfffe
	s_or_b32 exec_lo, exec_lo, s0
	v_add_nc_u32_e32 v26, 0x100, v24
	s_delay_alu instid0(VALU_DEP_1)
	v_cmp_lt_u32_e64 s0, v26, v128
	s_and_saveexec_b32 s1, s0
	s_cbranch_execz .LBB916_57
; %bb.56:
	v_xor_b32_e32 v26, 0x7fff, v38
	flat_store_b16 v[2:3], v26 offset:512
.LBB916_57:
	s_wait_alu 0xfffe
	s_or_b32 exec_lo, exec_lo, s1
	v_add_nc_u32_e32 v26, 0x200, v24
	s_delay_alu instid0(VALU_DEP_1)
	v_cmp_lt_u32_e64 s1, v26, v128
	s_and_saveexec_b32 s2, s1
	s_cbranch_execz .LBB916_59
; %bb.58:
	v_xor_b32_e32 v26, 0x7fff, v37
	flat_store_b16 v[2:3], v26 offset:1024
.LBB916_59:
	;; [unrolled: 11-line block ×7, first 2 shown]
	s_wait_alu 0xfffe
	s_or_b32 exec_lo, exec_lo, s7
	v_lshlrev_b64_e32 v[2:3], 3, v[24:25]
	v_add_co_u32 v0, s7, v6, v0
	s_wait_alu 0xf1ff
	v_add_co_ci_u32_e64 v1, null, v7, v1, s7
	s_delay_alu instid0(VALU_DEP_2) | instskip(SKIP_1) | instid1(VALU_DEP_2)
	v_add_co_u32 v0, s7, v0, v2
	s_wait_alu 0xf1ff
	v_add_co_ci_u32_e64 v1, null, v1, v3, s7
	s_and_saveexec_b32 s7, vcc_lo
	s_cbranch_execnz .LBB916_119
; %bb.70:
	s_wait_alu 0xfffe
	s_or_b32 exec_lo, exec_lo, s7
	s_and_saveexec_b32 s7, s0
	s_cbranch_execnz .LBB916_120
.LBB916_71:
	s_wait_alu 0xfffe
	s_or_b32 exec_lo, exec_lo, s7
	s_and_saveexec_b32 s0, s1
	s_cbranch_execnz .LBB916_121
.LBB916_72:
	s_wait_alu 0xfffe
	s_or_b32 exec_lo, exec_lo, s0
	s_and_saveexec_b32 s0, s2
	s_cbranch_execnz .LBB916_122
.LBB916_73:
	s_wait_alu 0xfffe
	s_or_b32 exec_lo, exec_lo, s0
	s_and_saveexec_b32 s0, s3
	s_cbranch_execnz .LBB916_123
.LBB916_74:
	s_wait_alu 0xfffe
	s_or_b32 exec_lo, exec_lo, s0
	s_and_saveexec_b32 s0, s4
	s_cbranch_execnz .LBB916_124
.LBB916_75:
	s_wait_alu 0xfffe
	s_or_b32 exec_lo, exec_lo, s0
	s_and_saveexec_b32 s0, s5
	s_cbranch_execnz .LBB916_125
.LBB916_76:
	s_wait_alu 0xfffe
	s_or_b32 exec_lo, exec_lo, s0
	s_and_saveexec_b32 s0, s6
	s_cbranch_execz .LBB916_78
.LBB916_77:
	flat_store_b64 v[0:1], v[10:11] offset:14336
.LBB916_78:
	s_wait_alu 0xfffe
	s_or_b32 exec_lo, exec_lo, s0
                                        ; implicit-def: $vgpr128
                                        ; implicit-def: $vgpr0
                                        ; implicit-def: $vgpr1
                                        ; implicit-def: $vgpr2
                                        ; implicit-def: $vgpr3
                                        ; implicit-def: $vgpr4
                                        ; implicit-def: $vgpr5
                                        ; implicit-def: $vgpr6
                                        ; implicit-def: $vgpr7
                                        ; implicit-def: $vgpr8
                                        ; implicit-def: $vgpr10
                                        ; implicit-def: $vgpr11
                                        ; implicit-def: $vgpr12
                                        ; implicit-def: $vgpr13
                                        ; implicit-def: $vgpr9
                                        ; implicit-def: $vgpr14
                                        ; implicit-def: $vgpr18
                                        ; implicit-def: $vgpr33
.LBB916_79:
	s_wait_alu 0xfffe
	s_and_not1_saveexec_b32 s0, s17
	s_cbranch_execz .LBB916_199
; %bb.80:
	s_mov_b32 s0, exec_lo
	v_cmpx_lt_u32_e32 0x200, v128
	s_wait_alu 0xfffe
	s_xor_b32 s17, exec_lo, s0
	s_cbranch_execz .LBB916_140
; %bb.81:
	s_load_b64 s[0:1], s[8:9], 0x0
	s_and_b32 s2, ttmp7, 0xffff
	s_mov_b32 s3, 0
	v_lshlrev_b32_e32 v23, 1, v33
	s_wait_kmcnt 0x0
	s_wait_alu 0xfffe
	s_cmp_lt_u32 s2, s1
	s_cselect_b32 s2, 14, 20
	s_cmp_lt_u32 ttmp9, s0
	s_wait_alu 0xfffe
	s_add_nc_u64 s[4:5], s[8:9], s[2:3]
	s_cselect_b32 s2, 12, 18
	s_load_u16 s4, s[4:5], 0x0
	s_add_nc_u64 s[0:1], s[8:9], s[2:3]
	s_load_u16 s0, s[0:1], 0x0
	s_wait_kmcnt 0x0
	v_mad_u32_u24 v9, v14, s4, v9
	v_mov_b32_e32 v14, 0x80008000
	s_delay_alu instid0(VALU_DEP_2) | instskip(SKIP_1) | instid1(VALU_DEP_1)
	v_mad_co_u64_u32 v[16:17], null, v9, s0, v[18:19]
	v_mov_b32_e32 v9, 0
	v_lshlrev_b64_e32 v[19:20], 1, v[8:9]
	s_delay_alu instid0(VALU_DEP_3) | instskip(NEXT) | instid1(VALU_DEP_1)
	v_dual_mov_b32 v22, v9 :: v_dual_lshlrev_b32 v15, 2, v16
	v_and_b32_e32 v21, 0xffffff80, v15
	s_delay_alu instid0(VALU_DEP_3) | instskip(SKIP_1) | instid1(VALU_DEP_4)
	v_add_co_u32 v15, vcc_lo, v0, v19
	s_wait_alu 0xfffd
	v_add_co_ci_u32_e64 v24, null, v1, v20, vcc_lo
	s_delay_alu instid0(VALU_DEP_3) | instskip(NEXT) | instid1(VALU_DEP_3)
	v_lshlrev_b64_e32 v[0:1], 1, v[21:22]
	v_add_co_u32 v15, vcc_lo, v15, v23
	v_or_b32_e32 v17, v21, v33
	s_wait_alu 0xfffd
	v_add_co_ci_u32_e64 v23, null, 0, v24, vcc_lo
	s_delay_alu instid0(VALU_DEP_3) | instskip(NEXT) | instid1(VALU_DEP_3)
	v_add_co_u32 v0, s0, v15, v0
	v_cmp_lt_u32_e32 vcc_lo, v17, v128
	s_wait_alu 0xf1ff
	s_delay_alu instid0(VALU_DEP_3)
	v_add_co_ci_u32_e64 v1, null, v23, v1, s0
	v_mov_b32_e32 v15, v14
	s_and_saveexec_b32 s0, vcc_lo
	s_cbranch_execz .LBB916_83
; %bb.82:
	v_bfrev_b32_e32 v23, 1
	v_mov_b32_e32 v24, v14
	flat_load_d16_b16 v23, v[0:1]
	s_wait_loadcnt_dscnt 0x0
	v_dual_mov_b32 v14, v23 :: v_dual_mov_b32 v15, v24
.LBB916_83:
	s_wait_alu 0xfffe
	s_or_b32 exec_lo, exec_lo, s0
	v_or_b32_e32 v23, 32, v17
	s_delay_alu instid0(VALU_DEP_1)
	v_cmp_lt_u32_e64 s0, v23, v128
	s_and_saveexec_b32 s1, s0
	s_cbranch_execz .LBB916_85
; %bb.84:
	flat_load_d16_hi_b16 v14, v[0:1] offset:64
.LBB916_85:
	s_wait_alu 0xfffe
	s_or_b32 exec_lo, exec_lo, s1
	v_or_b32_e32 v23, 64, v17
	s_delay_alu instid0(VALU_DEP_1)
	v_cmp_lt_u32_e64 s1, v23, v128
	s_and_saveexec_b32 s2, s1
	s_cbranch_execz .LBB916_87
; %bb.86:
	flat_load_d16_b16 v15, v[0:1] offset:128
.LBB916_87:
	s_wait_alu 0xfffe
	s_or_b32 exec_lo, exec_lo, s2
	v_or_b32_e32 v17, 0x60, v17
	s_delay_alu instid0(VALU_DEP_1)
	v_cmp_lt_u32_e64 s2, v17, v128
	s_and_saveexec_b32 s3, s2
	s_cbranch_execz .LBB916_89
; %bb.88:
	s_wait_loadcnt_dscnt 0x0
	flat_load_d16_hi_b16 v15, v[0:1] offset:192
.LBB916_89:
	s_wait_alu 0xfffe
	s_or_b32 exec_lo, exec_lo, s3
	v_lshlrev_b64_e32 v[0:1], 3, v[8:9]
	v_lshlrev_b32_e32 v8, 3, v33
                                        ; implicit-def: $vgpr27_vgpr28
	s_delay_alu instid0(VALU_DEP_2) | instskip(SKIP_1) | instid1(VALU_DEP_3)
	v_add_co_u32 v9, s3, v4, v0
	s_wait_alu 0xf1ff
	v_add_co_ci_u32_e64 v17, null, v5, v1, s3
	v_lshlrev_b64_e32 v[4:5], 3, v[21:22]
	s_delay_alu instid0(VALU_DEP_3) | instskip(SKIP_1) | instid1(VALU_DEP_3)
	v_add_co_u32 v8, s3, v9, v8
	s_wait_alu 0xf1ff
	v_add_co_ci_u32_e64 v9, null, 0, v17, s3
	s_delay_alu instid0(VALU_DEP_2) | instskip(SKIP_1) | instid1(VALU_DEP_2)
	v_add_co_u32 v4, s3, v8, v4
	s_wait_alu 0xf1ff
	v_add_co_ci_u32_e64 v5, null, v9, v5, s3
	s_and_saveexec_b32 s3, vcc_lo
	s_cbranch_execnz .LBB916_164
; %bb.90:
	s_wait_alu 0xfffe
	s_or_b32 exec_lo, exec_lo, s3
                                        ; implicit-def: $vgpr29_vgpr30
	s_and_saveexec_b32 s3, s0
	s_cbranch_execnz .LBB916_165
.LBB916_91:
	s_wait_alu 0xfffe
	s_or_b32 exec_lo, exec_lo, s3
                                        ; implicit-def: $vgpr31_vgpr32
	s_and_saveexec_b32 s0, s1
	s_cbranch_execnz .LBB916_166
.LBB916_92:
	s_wait_alu 0xfffe
	s_or_b32 exec_lo, exec_lo, s0
                                        ; implicit-def: $vgpr25_vgpr26
	s_and_saveexec_b32 s0, s2
	s_cbranch_execz .LBB916_94
.LBB916_93:
	flat_load_b64 v[25:26], v[4:5] offset:768
.LBB916_94:
	s_wait_alu 0xfffe
	s_or_b32 exec_lo, exec_lo, s0
	s_wait_loadcnt_dscnt 0x0
	v_lshrrev_b32_e32 v5, 16, v14
	v_lshrrev_b32_e32 v4, 16, v15
	v_xor_b32_e32 v8, 0x7fff, v15
	v_lshl_add_u32 v9, v18, 5, v12
	v_sub_co_u32 v22, s2, v33, 1
	v_xor_b32_e32 v15, 0x7fff, v5
	v_and_b32_e32 v5, 0x3e0, v18
	s_delay_alu instid0(VALU_DEP_4)
	v_add_nc_u32_e32 v17, 32, v9
	v_add_nc_u32_e32 v54, 36, v9
	v_add_nc_u32_e32 v55, 40, v9
	v_add_nc_u32_e32 v64, 44, v9
	v_add_nc_u32_e32 v65, 48, v9
	v_add_nc_u32_e32 v66, 52, v9
	v_and_b32_e32 v21, 15, v33
	v_add_nc_u32_e32 v67, 56, v9
	v_add_nc_u32_e32 v68, 60, v9
	v_min_u32_e32 v5, 0xe0, v5
	v_and_b32_e32 v9, 16, v33
	v_cmp_gt_i32_e64 s6, 0, v22
	s_getpc_b64 s[0:1]
	s_wait_alu 0xfffe
	s_sext_i32_i16 s1, s1
	s_add_co_u32 s0, s0, _ZN7rocprim17ROCPRIM_400000_NS16block_radix_sortIsLj256ELj4ElLj1ELj1ELj8ELNS0_26block_radix_rank_algorithmE2ELNS0_18block_padding_hintE2ELNS0_4arch9wavefront6targetE0EE19radix_bits_per_passE@rel32@lo+12
	s_wait_alu 0xfffe
	s_add_co_ci_u32 s1, s1, _ZN7rocprim17ROCPRIM_400000_NS16block_radix_sortIsLj256ELj4ElLj1ELj1ELj8ELNS0_26block_radix_rank_algorithmE2ELNS0_18block_padding_hintE2ELNS0_4arch9wavefront6targetE0EE19radix_bits_per_passE@rel32@hi+24
	v_cmp_eq_u32_e32 vcc_lo, 0, v21
	s_load_b32 s18, s[0:1], 0x0
	v_cmp_lt_u32_e64 s0, 1, v21
	v_cmp_lt_u32_e64 s1, 3, v21
	v_or_b32_e32 v5, 31, v5
	v_cmp_lt_u32_e64 s3, 7, v21
	v_cmp_eq_u32_e64 s4, 0, v9
	v_cndmask_b32_e64 v9, v22, v33, s6
	v_lshlrev_b32_e32 v21, 2, v18
	v_cmp_eq_u32_e64 s5, v18, v5
	v_lshrrev_b32_e32 v5, 3, v18
	v_xor_b32_e32 v4, 0x7fff, v4
	v_lshlrev_b32_e32 v70, 2, v9
	v_and_or_b32 v9, 0xf80, v21, v33
	v_xor_b32_e32 v14, 0x7fff, v14
	v_and_b32_e32 v5, 0x7c, v5
	v_and_b32_e32 v22, 7, v33
	v_lshrrev_b32_e32 v69, 5, v16
	v_lshl_add_u32 v80, v9, 1, v12
	v_mul_u32_u24_e32 v9, 6, v9
	v_add_nc_u32_e32 v71, v12, v5
	v_cmp_gt_u32_e64 s6, 8, v18
	v_cmp_lt_u32_e64 s7, 31, v18
	v_cmp_eq_u32_e64 s10, 0, v18
	v_dual_mov_b32 v5, 0 :: v_dual_add_nc_u32 v82, v80, v9
	v_add_nc_u32_e32 v81, v12, v21
	v_cmp_eq_u32_e64 s11, 0, v22
	v_cmp_lt_u32_e64 s12, 1, v22
	v_cmp_lt_u32_e64 s13, 3, v22
	v_add_nc_u32_e32 v83, -4, v71
	v_add_nc_u32_e32 v84, 64, v80
	v_add_nc_u32_e32 v85, 0x80, v80
	;; [unrolled: 1-line block ×6, first 2 shown]
	v_perm_b32 v99, v15, v14, 0x5040100
	v_perm_b32 v34, v4, v8, 0x5040100
	v_sub_nc_u32_e32 v98, v11, v10
	s_mov_b32 s19, 0
	s_wait_storecnt 0x0
	s_barrier_signal -1
	s_barrier_wait -1
	global_inv scope:SCOPE_SE
	s_branch .LBB916_96
.LBB916_95:                             ;   in Loop: Header=BB916_96 Depth=1
	s_wait_alu 0xfffe
	s_or_b32 exec_lo, exec_lo, s15
	s_delay_alu instid0(SALU_CYCLE_1)
	s_and_b32 s14, exec_lo, s20
	s_wait_alu 0xfffe
	s_or_b32 s19, s14, s19
	s_wait_alu 0xfffe
	s_and_not1_b32 exec_lo, exec_lo, s19
	s_cbranch_execz .LBB916_126
.LBB916_96:                             ; =>This Inner Loop Header: Depth=1
	s_wait_kmcnt 0x0
	v_min_u32_e32 v4, s18, v98
	v_dual_mov_b32 v21, v27 :: v_dual_and_b32 v8, 0xffff, v99
	v_mov_b32_e32 v100, v34
	ds_store_b32 v17, v5
	ds_store_b32 v54, v5
	;; [unrolled: 1-line block ×3, first 2 shown]
	v_lshlrev_b32_e64 v4, v4, -1
	v_lshrrev_b32_e32 v8, v10, v8
	ds_store_b32 v64, v5
	ds_store_b32 v65, v5
	ds_store_b32 v66, v5
	ds_store_b32 v67, v5
	ds_store_b32 v68, v5
	v_not_b32_e32 v33, v4
	s_wait_loadcnt_dscnt 0x0
	s_barrier_signal -1
	s_barrier_wait -1
	global_inv scope:SCOPE_SE
	v_and_b32_e32 v4, v8, v33
	v_dual_mov_b32 v14, v29 :: v_dual_mov_b32 v15, v30
	v_mov_b32_e32 v22, v28
	s_delay_alu instid0(VALU_DEP_3)
	v_dual_mov_b32 v8, v31 :: v_dual_and_b32 v23, 1, v4
	v_lshlrev_b32_e32 v24, 30, v4
	v_lshlrev_b32_e32 v27, 29, v4
	;; [unrolled: 1-line block ×4, first 2 shown]
	v_add_co_u32 v23, s14, v23, -1
	s_wait_alu 0xf1ff
	v_cndmask_b32_e64 v29, 0, 1, s14
	v_not_b32_e32 v34, v24
	v_cmp_gt_i32_e64 s15, 0, v24
	v_not_b32_e32 v24, v27
	v_mov_b32_e32 v9, v32
	v_cmp_ne_u32_e64 s14, 0, v29
	v_ashrrev_i32_e32 v34, 31, v34
	v_lshlrev_b32_e32 v31, 26, v4
	v_ashrrev_i32_e32 v24, 31, v24
	v_lshlrev_b32_e32 v32, 25, v4
	s_wait_alu 0xf1ff
	v_xor_b32_e32 v23, s14, v23
	v_cmp_gt_i32_e64 s14, 0, v27
	v_not_b32_e32 v27, v28
	v_xor_b32_e32 v34, s15, v34
	v_cmp_gt_i32_e64 s15, 0, v28
	v_and_b32_e32 v23, exec_lo, v23
	v_not_b32_e32 v28, v30
	v_ashrrev_i32_e32 v27, 31, v27
	s_wait_alu 0xf1ff
	v_xor_b32_e32 v24, s14, v24
	v_cmp_gt_i32_e64 s14, 0, v30
	v_and_b32_e32 v23, v23, v34
	v_ashrrev_i32_e32 v28, 31, v28
	v_xor_b32_e32 v27, s15, v27
	v_not_b32_e32 v30, v31
	v_lshlrev_b32_e32 v29, 24, v4
	v_and_b32_e32 v23, v23, v24
	v_not_b32_e32 v24, v32
	s_wait_alu 0xf1ff
	v_xor_b32_e32 v28, s14, v28
	v_cmp_gt_i32_e64 s15, 0, v31
	v_ashrrev_i32_e32 v30, 31, v30
	v_and_b32_e32 v23, v23, v27
	v_ashrrev_i32_e32 v31, 31, v24
	v_cmp_gt_i32_e64 s14, 0, v32
	v_lshlrev_b32_e32 v4, 3, v4
	s_wait_alu 0xf1ff
	v_xor_b32_e32 v30, s15, v30
	v_dual_mov_b32 v23, v25 :: v_dual_and_b32 v28, v23, v28
	v_mov_b32_e32 v24, v26
	v_not_b32_e32 v27, v29
	v_cmp_gt_i32_e64 s15, 0, v29
	v_xor_b32_e32 v26, s14, v31
	; wave barrier
	s_delay_alu instid0(VALU_DEP_3) | instskip(SKIP_2) | instid1(VALU_DEP_2)
	v_ashrrev_i32_e32 v25, 31, v27
	v_and_b32_e32 v27, v28, v30
	s_wait_alu 0xf1ff
	v_xor_b32_e32 v25, s15, v25
	s_delay_alu instid0(VALU_DEP_2) | instskip(NEXT) | instid1(VALU_DEP_1)
	v_and_b32_e32 v26, v27, v26
	v_and_b32_e32 v26, v26, v25
	v_add_lshl_u32 v25, v4, v69, 2
	s_delay_alu instid0(VALU_DEP_2) | instskip(NEXT) | instid1(VALU_DEP_2)
	v_mbcnt_lo_u32_b32 v4, v26, 0
	v_add_co_u32 v25, null, v12, v25
	v_cmp_ne_u32_e64 s15, 0, v26
	s_delay_alu instid0(VALU_DEP_3) | instskip(NEXT) | instid1(VALU_DEP_3)
	v_cmp_eq_u32_e64 s14, 0, v4
	v_add_co_u32 v25, null, v25, 32
	s_and_b32 s15, s15, s14
	s_wait_alu 0xfffe
	s_and_saveexec_b32 s14, s15
; %bb.97:                               ;   in Loop: Header=BB916_96 Depth=1
	v_bcnt_u32_b32 v26, v26, 0
	ds_store_b32 v25, v26
; %bb.98:                               ;   in Loop: Header=BB916_96 Depth=1
	s_wait_alu 0xfffe
	s_or_b32 exec_lo, exec_lo, s14
	v_lshrrev_b32_e32 v101, 16, v99
	; wave barrier
	s_delay_alu instid0(VALU_DEP_1) | instskip(NEXT) | instid1(VALU_DEP_1)
	v_lshrrev_b32_e32 v26, v10, v101
	v_and_b32_e32 v26, v26, v33
	s_delay_alu instid0(VALU_DEP_1)
	v_and_b32_e32 v27, 1, v26
	v_lshlrev_b32_e32 v28, 30, v26
	v_lshlrev_b32_e32 v29, 29, v26
	;; [unrolled: 1-line block ×4, first 2 shown]
	v_add_co_u32 v27, s14, v27, -1
	s_wait_alu 0xf1ff
	v_cndmask_b32_e64 v31, 0, 1, s14
	v_not_b32_e32 v36, v28
	v_cmp_gt_i32_e64 s15, 0, v28
	v_not_b32_e32 v28, v29
	v_lshlrev_b32_e32 v34, 26, v26
	v_cmp_ne_u32_e64 s14, 0, v31
	v_ashrrev_i32_e32 v36, 31, v36
	v_lshlrev_b32_e32 v35, 25, v26
	v_ashrrev_i32_e32 v28, 31, v28
	v_lshlrev_b32_e32 v31, 24, v26
	s_wait_alu 0xf1ff
	v_xor_b32_e32 v27, s14, v27
	v_cmp_gt_i32_e64 s14, 0, v29
	v_not_b32_e32 v29, v30
	v_xor_b32_e32 v36, s15, v36
	v_cmp_gt_i32_e64 s15, 0, v30
	v_and_b32_e32 v27, exec_lo, v27
	v_not_b32_e32 v30, v32
	v_ashrrev_i32_e32 v29, 31, v29
	s_wait_alu 0xf1ff
	v_xor_b32_e32 v28, s14, v28
	v_cmp_gt_i32_e64 s14, 0, v32
	v_and_b32_e32 v27, v27, v36
	v_not_b32_e32 v32, v34
	v_ashrrev_i32_e32 v30, 31, v30
	v_xor_b32_e32 v29, s15, v29
	v_cmp_gt_i32_e64 s15, 0, v34
	v_and_b32_e32 v27, v27, v28
	v_not_b32_e32 v28, v35
	v_ashrrev_i32_e32 v32, 31, v32
	s_wait_alu 0xf1ff
	v_xor_b32_e32 v30, s14, v30
	v_cmp_gt_i32_e64 s14, 0, v35
	v_and_b32_e32 v27, v27, v29
	v_not_b32_e32 v29, v31
	v_ashrrev_i32_e32 v28, 31, v28
	v_xor_b32_e32 v32, s15, v32
	v_lshl_add_u32 v26, v26, 3, v69
	v_and_b32_e32 v27, v27, v30
	v_cmp_gt_i32_e64 s15, 0, v31
	v_ashrrev_i32_e32 v29, 31, v29
	s_wait_alu 0xf1ff
	v_xor_b32_e32 v28, s14, v28
	v_lshl_add_u32 v30, v26, 2, v12
	v_and_b32_e32 v27, v27, v32
	v_xor_b32_e32 v29, s15, v29
	ds_load_b32 v26, v30 offset:32
	v_and_b32_e32 v27, v27, v28
	v_add_nc_u32_e32 v28, 32, v30
	; wave barrier
	s_delay_alu instid0(VALU_DEP_2) | instskip(NEXT) | instid1(VALU_DEP_1)
	v_and_b32_e32 v29, v27, v29
	v_mbcnt_lo_u32_b32 v27, v29, 0
	v_cmp_ne_u32_e64 s15, 0, v29
	s_delay_alu instid0(VALU_DEP_2)
	v_cmp_eq_u32_e64 s14, 0, v27
	s_and_b32 s15, s15, s14
	s_wait_alu 0xfffe
	s_and_saveexec_b32 s14, s15
	s_cbranch_execz .LBB916_100
; %bb.99:                               ;   in Loop: Header=BB916_96 Depth=1
	s_wait_dscnt 0x0
	v_bcnt_u32_b32 v29, v29, v26
	ds_store_b32 v28, v29
.LBB916_100:                            ;   in Loop: Header=BB916_96 Depth=1
	s_wait_alu 0xfffe
	s_or_b32 exec_lo, exec_lo, s14
	v_and_b32_e32 v29, 0xffff, v100
	; wave barrier
	s_delay_alu instid0(VALU_DEP_1) | instskip(NEXT) | instid1(VALU_DEP_1)
	v_lshrrev_b32_e32 v29, v10, v29
	v_and_b32_e32 v29, v29, v33
	s_delay_alu instid0(VALU_DEP_1)
	v_and_b32_e32 v30, 1, v29
	v_lshlrev_b32_e32 v31, 30, v29
	v_lshlrev_b32_e32 v32, 29, v29
	;; [unrolled: 1-line block ×4, first 2 shown]
	v_add_co_u32 v30, s14, v30, -1
	s_wait_alu 0xf1ff
	v_cndmask_b32_e64 v35, 0, 1, s14
	v_not_b32_e32 v39, v31
	v_cmp_gt_i32_e64 s15, 0, v31
	v_not_b32_e32 v31, v32
	v_lshlrev_b32_e32 v37, 26, v29
	v_cmp_ne_u32_e64 s14, 0, v35
	v_ashrrev_i32_e32 v39, 31, v39
	v_lshlrev_b32_e32 v38, 25, v29
	v_ashrrev_i32_e32 v31, 31, v31
	v_lshlrev_b32_e32 v35, 24, v29
	s_wait_alu 0xf1ff
	v_xor_b32_e32 v30, s14, v30
	v_cmp_gt_i32_e64 s14, 0, v32
	v_not_b32_e32 v32, v34
	v_xor_b32_e32 v39, s15, v39
	v_cmp_gt_i32_e64 s15, 0, v34
	v_and_b32_e32 v30, exec_lo, v30
	v_not_b32_e32 v34, v36
	v_ashrrev_i32_e32 v32, 31, v32
	s_wait_alu 0xf1ff
	v_xor_b32_e32 v31, s14, v31
	v_cmp_gt_i32_e64 s14, 0, v36
	v_and_b32_e32 v30, v30, v39
	v_not_b32_e32 v36, v37
	v_ashrrev_i32_e32 v34, 31, v34
	v_xor_b32_e32 v32, s15, v32
	v_cmp_gt_i32_e64 s15, 0, v37
	v_and_b32_e32 v30, v30, v31
	v_not_b32_e32 v31, v38
	v_ashrrev_i32_e32 v36, 31, v36
	s_wait_alu 0xf1ff
	v_xor_b32_e32 v34, s14, v34
	v_cmp_gt_i32_e64 s14, 0, v38
	v_and_b32_e32 v30, v30, v32
	v_not_b32_e32 v32, v35
	v_ashrrev_i32_e32 v31, 31, v31
	v_xor_b32_e32 v36, s15, v36
	v_lshl_add_u32 v29, v29, 3, v69
	v_and_b32_e32 v30, v30, v34
	v_cmp_gt_i32_e64 s15, 0, v35
	v_ashrrev_i32_e32 v32, 31, v32
	s_wait_alu 0xf1ff
	v_xor_b32_e32 v31, s14, v31
	v_lshl_add_u32 v34, v29, 2, v12
	v_and_b32_e32 v30, v30, v36
	v_xor_b32_e32 v32, s15, v32
	ds_load_b32 v29, v34 offset:32
	v_and_b32_e32 v30, v30, v31
	v_add_nc_u32_e32 v31, 32, v34
	; wave barrier
	s_delay_alu instid0(VALU_DEP_2) | instskip(NEXT) | instid1(VALU_DEP_1)
	v_and_b32_e32 v32, v30, v32
	v_mbcnt_lo_u32_b32 v30, v32, 0
	v_cmp_ne_u32_e64 s15, 0, v32
	s_delay_alu instid0(VALU_DEP_2)
	v_cmp_eq_u32_e64 s14, 0, v30
	s_and_b32 s15, s15, s14
	s_wait_alu 0xfffe
	s_and_saveexec_b32 s14, s15
	s_cbranch_execz .LBB916_102
; %bb.101:                              ;   in Loop: Header=BB916_96 Depth=1
	s_wait_dscnt 0x0
	v_bcnt_u32_b32 v32, v32, v29
	ds_store_b32 v31, v32
.LBB916_102:                            ;   in Loop: Header=BB916_96 Depth=1
	s_wait_alu 0xfffe
	s_or_b32 exec_lo, exec_lo, s14
	v_lshrrev_b32_e32 v102, 16, v100
	; wave barrier
	s_delay_alu instid0(VALU_DEP_1) | instskip(NEXT) | instid1(VALU_DEP_1)
	v_lshrrev_b32_e32 v32, v10, v102
	v_and_b32_e32 v32, v32, v33
	s_delay_alu instid0(VALU_DEP_1)
	v_and_b32_e32 v33, 1, v32
	v_lshlrev_b32_e32 v34, 30, v32
	v_lshlrev_b32_e32 v35, 29, v32
	;; [unrolled: 1-line block ×4, first 2 shown]
	v_add_co_u32 v33, s14, v33, -1
	s_wait_alu 0xf1ff
	v_cndmask_b32_e64 v37, 0, 1, s14
	v_not_b32_e32 v49, v34
	v_cmp_gt_i32_e64 s15, 0, v34
	v_not_b32_e32 v34, v35
	v_lshlrev_b32_e32 v39, 26, v32
	v_cmp_ne_u32_e64 s14, 0, v37
	v_ashrrev_i32_e32 v49, 31, v49
	v_lshlrev_b32_e32 v48, 25, v32
	v_ashrrev_i32_e32 v34, 31, v34
	v_lshlrev_b32_e32 v37, 24, v32
	s_wait_alu 0xf1ff
	v_xor_b32_e32 v33, s14, v33
	v_cmp_gt_i32_e64 s14, 0, v35
	v_not_b32_e32 v35, v36
	v_xor_b32_e32 v49, s15, v49
	v_cmp_gt_i32_e64 s15, 0, v36
	v_and_b32_e32 v33, exec_lo, v33
	v_not_b32_e32 v36, v38
	v_ashrrev_i32_e32 v35, 31, v35
	s_wait_alu 0xf1ff
	v_xor_b32_e32 v34, s14, v34
	v_cmp_gt_i32_e64 s14, 0, v38
	v_and_b32_e32 v33, v33, v49
	v_not_b32_e32 v38, v39
	v_ashrrev_i32_e32 v36, 31, v36
	v_xor_b32_e32 v35, s15, v35
	v_cmp_gt_i32_e64 s15, 0, v39
	v_and_b32_e32 v33, v33, v34
	v_not_b32_e32 v34, v48
	v_ashrrev_i32_e32 v38, 31, v38
	s_wait_alu 0xf1ff
	v_xor_b32_e32 v36, s14, v36
	v_cmp_gt_i32_e64 s14, 0, v48
	v_and_b32_e32 v33, v33, v35
	v_not_b32_e32 v35, v37
	v_ashrrev_i32_e32 v34, 31, v34
	v_xor_b32_e32 v38, s15, v38
	v_lshl_add_u32 v32, v32, 3, v69
	v_and_b32_e32 v33, v33, v36
	v_cmp_gt_i32_e64 s15, 0, v37
	v_ashrrev_i32_e32 v35, 31, v35
	s_wait_alu 0xf1ff
	v_xor_b32_e32 v34, s14, v34
	v_lshl_add_u32 v36, v32, 2, v12
	v_and_b32_e32 v33, v33, v38
	v_xor_b32_e32 v35, s15, v35
	ds_load_b32 v32, v36 offset:32
	v_and_b32_e32 v33, v33, v34
	; wave barrier
	s_delay_alu instid0(VALU_DEP_1) | instskip(SKIP_1) | instid1(VALU_DEP_2)
	v_and_b32_e32 v34, v33, v35
	v_add_nc_u32_e32 v33, 32, v36
	v_mbcnt_lo_u32_b32 v35, v34, 0
	v_cmp_ne_u32_e64 s15, 0, v34
	s_delay_alu instid0(VALU_DEP_2)
	v_cmp_eq_u32_e64 s14, 0, v35
	s_and_b32 s15, s15, s14
	s_wait_alu 0xfffe
	s_and_saveexec_b32 s14, s15
	s_cbranch_execz .LBB916_104
; %bb.103:                              ;   in Loop: Header=BB916_96 Depth=1
	s_wait_dscnt 0x0
	v_bcnt_u32_b32 v34, v34, v32
	ds_store_b32 v33, v34
.LBB916_104:                            ;   in Loop: Header=BB916_96 Depth=1
	s_wait_alu 0xfffe
	s_or_b32 exec_lo, exec_lo, s14
	; wave barrier
	s_wait_loadcnt_dscnt 0x0
	s_barrier_signal -1
	s_barrier_wait -1
	global_inv scope:SCOPE_SE
	ds_load_b32 v36, v17
	ds_load_b32 v37, v54
	;; [unrolled: 1-line block ×8, first 2 shown]
	s_wait_dscnt 0x6
	v_add_nc_u32_e32 v51, v37, v36
	s_wait_dscnt 0x4
	s_delay_alu instid0(VALU_DEP_1) | instskip(SKIP_1) | instid1(VALU_DEP_1)
	v_add3_u32 v51, v51, v38, v39
	s_wait_dscnt 0x2
	v_add3_u32 v51, v51, v48, v49
	s_wait_dscnt 0x0
	s_delay_alu instid0(VALU_DEP_1) | instskip(NEXT) | instid1(VALU_DEP_1)
	v_add3_u32 v50, v51, v34, v50
	v_mov_b32_dpp v51, v50 row_shr:1 row_mask:0xf bank_mask:0xf
	s_delay_alu instid0(VALU_DEP_1) | instskip(NEXT) | instid1(VALU_DEP_1)
	v_cndmask_b32_e64 v51, v51, 0, vcc_lo
	v_add_nc_u32_e32 v50, v51, v50
	s_delay_alu instid0(VALU_DEP_1) | instskip(NEXT) | instid1(VALU_DEP_1)
	v_mov_b32_dpp v51, v50 row_shr:2 row_mask:0xf bank_mask:0xf
	v_cndmask_b32_e64 v51, 0, v51, s0
	s_delay_alu instid0(VALU_DEP_1) | instskip(NEXT) | instid1(VALU_DEP_1)
	v_add_nc_u32_e32 v50, v50, v51
	v_mov_b32_dpp v51, v50 row_shr:4 row_mask:0xf bank_mask:0xf
	s_delay_alu instid0(VALU_DEP_1) | instskip(NEXT) | instid1(VALU_DEP_1)
	v_cndmask_b32_e64 v51, 0, v51, s1
	v_add_nc_u32_e32 v50, v50, v51
	s_delay_alu instid0(VALU_DEP_1) | instskip(NEXT) | instid1(VALU_DEP_1)
	v_mov_b32_dpp v51, v50 row_shr:8 row_mask:0xf bank_mask:0xf
	v_cndmask_b32_e64 v51, 0, v51, s3
	s_delay_alu instid0(VALU_DEP_1) | instskip(SKIP_3) | instid1(VALU_DEP_1)
	v_add_nc_u32_e32 v50, v50, v51
	ds_swizzle_b32 v51, v50 offset:swizzle(BROADCAST,32,15)
	s_wait_dscnt 0x0
	v_cndmask_b32_e64 v51, v51, 0, s4
	v_add_nc_u32_e32 v50, v50, v51
	s_and_saveexec_b32 s14, s5
; %bb.105:                              ;   in Loop: Header=BB916_96 Depth=1
	ds_store_b32 v71, v50
; %bb.106:                              ;   in Loop: Header=BB916_96 Depth=1
	s_wait_alu 0xfffe
	s_or_b32 exec_lo, exec_lo, s14
	s_wait_loadcnt_dscnt 0x0
	s_barrier_signal -1
	s_barrier_wait -1
	global_inv scope:SCOPE_SE
	s_and_saveexec_b32 s14, s6
	s_cbranch_execz .LBB916_108
; %bb.107:                              ;   in Loop: Header=BB916_96 Depth=1
	ds_load_b32 v51, v81
	s_wait_dscnt 0x0
	v_mov_b32_dpp v52, v51 row_shr:1 row_mask:0xf bank_mask:0xf
	s_delay_alu instid0(VALU_DEP_1) | instskip(NEXT) | instid1(VALU_DEP_1)
	v_cndmask_b32_e64 v52, v52, 0, s11
	v_add_nc_u32_e32 v51, v52, v51
	s_delay_alu instid0(VALU_DEP_1) | instskip(NEXT) | instid1(VALU_DEP_1)
	v_mov_b32_dpp v52, v51 row_shr:2 row_mask:0xf bank_mask:0xf
	v_cndmask_b32_e64 v52, 0, v52, s12
	s_delay_alu instid0(VALU_DEP_1) | instskip(NEXT) | instid1(VALU_DEP_1)
	v_add_nc_u32_e32 v51, v51, v52
	v_mov_b32_dpp v52, v51 row_shr:4 row_mask:0xf bank_mask:0xf
	s_delay_alu instid0(VALU_DEP_1) | instskip(NEXT) | instid1(VALU_DEP_1)
	v_cndmask_b32_e64 v52, 0, v52, s13
	v_add_nc_u32_e32 v51, v51, v52
	ds_store_b32 v81, v51
.LBB916_108:                            ;   in Loop: Header=BB916_96 Depth=1
	s_wait_alu 0xfffe
	s_or_b32 exec_lo, exec_lo, s14
	v_mov_b32_e32 v51, 0
	s_wait_loadcnt_dscnt 0x0
	s_barrier_signal -1
	s_barrier_wait -1
	global_inv scope:SCOPE_SE
	s_and_saveexec_b32 s14, s7
; %bb.109:                              ;   in Loop: Header=BB916_96 Depth=1
	ds_load_b32 v51, v83
; %bb.110:                              ;   in Loop: Header=BB916_96 Depth=1
	s_wait_alu 0xfffe
	s_or_b32 exec_lo, exec_lo, s14
	s_wait_dscnt 0x0
	v_add_nc_u32_e32 v50, v51, v50
	v_add_nc_u32_e32 v10, 8, v10
	s_mov_b32 s20, -1
	v_mov_b32_e32 v103, v99
	ds_bpermute_b32 v50, v70, v50
	s_wait_dscnt 0x0
	v_cndmask_b32_e64 v50, v50, v51, s2
	s_delay_alu instid0(VALU_DEP_1) | instskip(NEXT) | instid1(VALU_DEP_1)
	v_cndmask_b32_e64 v50, v50, 0, s10
	v_add_nc_u32_e32 v36, v50, v36
	s_delay_alu instid0(VALU_DEP_1)
	v_add_nc_u32_e32 v37, v36, v37
	ds_store_b32 v17, v50
	ds_store_b32 v54, v36
	;; [unrolled: 1-line block ×3, first 2 shown]
	v_mov_b32_e32 v36, v5
	v_add_nc_u32_e32 v38, v37, v38
	s_delay_alu instid0(VALU_DEP_1) | instskip(NEXT) | instid1(VALU_DEP_1)
	v_add_nc_u32_e32 v39, v38, v39
	v_add_nc_u32_e32 v48, v39, v48
	s_delay_alu instid0(VALU_DEP_1) | instskip(NEXT) | instid1(VALU_DEP_1)
	v_add_nc_u32_e32 v49, v48, v49
	v_add_nc_u32_e32 v34, v49, v34
	ds_store_b32 v64, v38
	ds_store_b32 v65, v39
	;; [unrolled: 1-line block ×5, first 2 shown]
	s_wait_loadcnt_dscnt 0x0
	s_barrier_signal -1
	s_barrier_wait -1
	global_inv scope:SCOPE_SE
	ds_load_b32 v25, v25
	ds_load_b32 v28, v28
	;; [unrolled: 1-line block ×4, first 2 shown]
	v_mov_b32_e32 v38, v5
	v_mov_b32_e32 v34, v5
	s_wait_loadcnt_dscnt 0x0
	v_add_nc_u32_e32 v37, v25, v4
	v_add3_u32 v4, v27, v26, v28
	v_add3_u32 v33, v30, v29, v31
	;; [unrolled: 1-line block ×3, first 2 shown]
	s_delay_alu instid0(VALU_DEP_4) | instskip(NEXT) | instid1(VALU_DEP_4)
	v_lshlrev_b64_e32 v[25:26], 1, v[37:38]
	v_lshlrev_b64_e32 v[27:28], 1, v[4:5]
	s_delay_alu instid0(VALU_DEP_4) | instskip(NEXT) | instid1(VALU_DEP_4)
	v_lshlrev_b64_e32 v[29:30], 1, v[33:34]
	v_lshlrev_b64_e32 v[31:32], 1, v[35:36]
                                        ; implicit-def: $vgpr34
	s_delay_alu instid0(VALU_DEP_4)
	v_add_co_u32 v52, s15, v12, v25
	s_wait_alu 0xf1ff
	v_add_co_ci_u32_e64 v53, null, v13, v26, s15
	v_add_co_u32 v38, s15, v12, v27
	s_wait_alu 0xf1ff
	v_add_co_ci_u32_e64 v39, null, v13, v28, s15
	v_add_co_u32 v48, s15, v12, v29
	v_mad_co_u64_u32 v[36:37], null, v37, 6, v[52:53]
	s_wait_alu 0xf1ff
	v_add_co_ci_u32_e64 v49, null, v13, v30, s15
	v_add_co_u32 v50, s15, v12, v31
	s_wait_alu 0xf1ff
	v_add_co_ci_u32_e64 v51, null, v13, v32, s15
	s_mov_b32 s15, exec_lo
                                        ; implicit-def: $vgpr27_vgpr28
                                        ; implicit-def: $vgpr29_vgpr30
                                        ; implicit-def: $vgpr31_vgpr32
                                        ; implicit-def: $vgpr25_vgpr26
	v_cmpx_lt_u32_e64 v10, v11
	s_cbranch_execz .LBB916_95
; %bb.111:                              ;   in Loop: Header=BB916_96 Depth=1
	s_barrier_signal -1
	s_barrier_wait -1
	global_inv scope:SCOPE_SE
	ds_store_b16 v52, v99
	ds_store_b16 v38, v101
	;; [unrolled: 1-line block ×4, first 2 shown]
	s_wait_loadcnt_dscnt 0x0
	s_barrier_signal -1
	s_barrier_wait -1
	global_inv scope:SCOPE_SE
	ds_load_u16 v99, v80
	ds_load_u16 v34, v85
	v_mad_co_u64_u32 v[25:26], null, v4, 6, v[38:39]
	v_mad_co_u64_u32 v[26:27], null, v33, 6, v[48:49]
	;; [unrolled: 1-line block ×3, first 2 shown]
	v_add_nc_u32_e32 v98, -8, v98
	s_xor_b32 s20, exec_lo, -1
	s_wait_dscnt 0x1
	ds_load_u16_d16_hi v99, v84
	s_wait_dscnt 0x1
	ds_load_u16_d16_hi v34, v86
	s_wait_loadcnt_dscnt 0x0
	s_barrier_signal -1
	s_barrier_wait -1
	global_inv scope:SCOPE_SE
	ds_store_b64 v36, v[21:22]
	ds_store_b64 v25, v[14:15]
	;; [unrolled: 1-line block ×4, first 2 shown]
	s_wait_loadcnt_dscnt 0x0
	s_barrier_signal -1
	s_barrier_wait -1
	global_inv scope:SCOPE_SE
	ds_load_b64 v[27:28], v82
	ds_load_b64 v[29:30], v87
	;; [unrolled: 1-line block ×4, first 2 shown]
	s_wait_loadcnt_dscnt 0x0
	s_barrier_signal -1
	s_barrier_wait -1
	global_inv scope:SCOPE_SE
	s_branch .LBB916_95
.LBB916_112:
	flat_load_b64 v[34:35], v[4:5]
	s_wait_alu 0xfffe
	s_or_b32 exec_lo, exec_lo, s7
                                        ; implicit-def: $vgpr38_vgpr39
	s_and_saveexec_b32 s7, s0
	s_cbranch_execz .LBB916_20
.LBB916_113:
	flat_load_b64 v[38:39], v[4:5] offset:256
	s_wait_alu 0xfffe
	s_or_b32 exec_lo, exec_lo, s7
                                        ; implicit-def: $vgpr48_vgpr49
	s_and_saveexec_b32 s0, s1
	s_cbranch_execz .LBB916_21
.LBB916_114:
	flat_load_b64 v[48:49], v[4:5] offset:512
	s_wait_alu 0xfffe
	s_or_b32 exec_lo, exec_lo, s0
                                        ; implicit-def: $vgpr50_vgpr51
	s_and_saveexec_b32 s0, s2
	s_cbranch_execz .LBB916_22
.LBB916_115:
	flat_load_b64 v[50:51], v[4:5] offset:768
	s_wait_alu 0xfffe
	s_or_b32 exec_lo, exec_lo, s0
                                        ; implicit-def: $vgpr52_vgpr53
	s_and_saveexec_b32 s0, s3
	s_cbranch_execz .LBB916_23
.LBB916_116:
	flat_load_b64 v[52:53], v[4:5] offset:1024
	s_wait_alu 0xfffe
	s_or_b32 exec_lo, exec_lo, s0
                                        ; implicit-def: $vgpr54_vgpr55
	s_and_saveexec_b32 s0, s4
	s_cbranch_execz .LBB916_24
.LBB916_117:
	flat_load_b64 v[54:55], v[4:5] offset:1280
	s_wait_alu 0xfffe
	s_or_b32 exec_lo, exec_lo, s0
                                        ; implicit-def: $vgpr64_vgpr65
	s_and_saveexec_b32 s0, s5
	s_cbranch_execz .LBB916_25
.LBB916_118:
	flat_load_b64 v[64:65], v[4:5] offset:1536
	s_wait_alu 0xfffe
	s_or_b32 exec_lo, exec_lo, s0
                                        ; implicit-def: $vgpr36_vgpr37
	s_and_saveexec_b32 s0, s6
	s_cbranch_execnz .LBB916_26
	s_branch .LBB916_27
.LBB916_119:
	flat_store_b64 v[0:1], v[20:21]
	s_wait_alu 0xfffe
	s_or_b32 exec_lo, exec_lo, s7
	s_and_saveexec_b32 s7, s0
	s_cbranch_execz .LBB916_71
.LBB916_120:
	flat_store_b64 v[0:1], v[22:23] offset:2048
	s_wait_alu 0xfffe
	s_or_b32 exec_lo, exec_lo, s7
	s_and_saveexec_b32 s0, s1
	s_cbranch_execz .LBB916_72
.LBB916_121:
	flat_store_b64 v[0:1], v[16:17] offset:4096
	s_wait_alu 0xfffe
	s_or_b32 exec_lo, exec_lo, s0
	s_and_saveexec_b32 s0, s2
	s_cbranch_execz .LBB916_73
.LBB916_122:
	flat_store_b64 v[0:1], v[18:19] offset:6144
	s_wait_alu 0xfffe
	s_or_b32 exec_lo, exec_lo, s0
	s_and_saveexec_b32 s0, s3
	s_cbranch_execz .LBB916_74
.LBB916_123:
	flat_store_b64 v[0:1], v[12:13] offset:8192
	s_wait_alu 0xfffe
	s_or_b32 exec_lo, exec_lo, s0
	s_and_saveexec_b32 s0, s4
	s_cbranch_execz .LBB916_75
.LBB916_124:
	flat_store_b64 v[0:1], v[14:15] offset:10240
	s_wait_alu 0xfffe
	s_or_b32 exec_lo, exec_lo, s0
	s_and_saveexec_b32 s0, s5
	s_cbranch_execz .LBB916_76
.LBB916_125:
	flat_store_b64 v[0:1], v[8:9] offset:12288
	s_wait_alu 0xfffe
	s_or_b32 exec_lo, exec_lo, s0
	s_and_saveexec_b32 s0, s6
	s_cbranch_execnz .LBB916_77
	s_branch .LBB916_78
.LBB916_126:
	s_or_b32 exec_lo, exec_lo, s19
	v_lshl_add_u32 v17, v18, 1, v12
	v_mad_co_u64_u32 v[10:11], null, v4, 6, v[38:39]
	v_mul_u32_u24_e32 v4, 6, v18
	v_mad_co_u64_u32 v[11:12], null, v33, 6, v[48:49]
	v_mad_co_u64_u32 v[12:13], null, v35, 6, v[50:51]
	s_delay_alu instid0(VALU_DEP_3)
	v_add_nc_u32_e32 v4, v17, v4
	s_barrier_signal -1
	s_barrier_wait -1
	s_wait_loadcnt 0x0
	global_inv scope:SCOPE_SE
	ds_store_b16 v52, v103
	ds_store_b16 v38, v101
	;; [unrolled: 1-line block ×4, first 2 shown]
	s_wait_loadcnt_dscnt 0x0
	s_barrier_signal -1
	s_barrier_wait -1
	global_inv scope:SCOPE_SE
	ds_load_u16 v27, v17
	ds_load_u16 v26, v17 offset:512
	ds_load_u16 v25, v17 offset:1024
	;; [unrolled: 1-line block ×3, first 2 shown]
	s_wait_loadcnt_dscnt 0x0
	s_barrier_signal -1
	s_barrier_wait -1
	global_inv scope:SCOPE_SE
	ds_store_b64 v36, v[21:22]
	ds_store_b64 v10, v[14:15]
	;; [unrolled: 1-line block ×4, first 2 shown]
	s_wait_loadcnt_dscnt 0x0
	s_barrier_signal -1
	s_barrier_wait -1
	global_inv scope:SCOPE_SE
	v_mov_b32_e32 v17, 0
	ds_load_2addr_stride64_b64 v[12:15], v4 offset1:4
	ds_load_2addr_stride64_b64 v[8:11], v4 offset0:8 offset1:12
	v_add_co_u32 v2, vcc_lo, v2, v19
	s_wait_alu 0xfffd
	v_add_co_ci_u32_e64 v3, null, v3, v20, vcc_lo
	v_lshlrev_b64_e32 v[21:22], 1, v[16:17]
	s_wait_loadcnt_dscnt 0x0
	s_barrier_signal -1
	s_barrier_wait -1
	global_inv scope:SCOPE_SE
	v_add_co_u32 v2, vcc_lo, v2, v21
	s_wait_alu 0xfffd
	v_add_co_ci_u32_e64 v3, null, v3, v22, vcc_lo
	v_cmp_lt_u32_e32 vcc_lo, v16, v128
	s_and_saveexec_b32 s0, vcc_lo
	s_cbranch_execz .LBB916_128
; %bb.127:
	v_xor_b32_e32 v4, 0x7fff, v27
	flat_store_b16 v[2:3], v4
.LBB916_128:
	s_wait_alu 0xfffe
	s_or_b32 exec_lo, exec_lo, s0
	v_add_nc_u32_e32 v4, 0x100, v16
	s_delay_alu instid0(VALU_DEP_1)
	v_cmp_lt_u32_e64 s0, v4, v128
	s_and_saveexec_b32 s1, s0
	s_cbranch_execz .LBB916_130
; %bb.129:
	v_xor_b32_e32 v4, 0x7fff, v26
	flat_store_b16 v[2:3], v4 offset:512
.LBB916_130:
	s_wait_alu 0xfffe
	s_or_b32 exec_lo, exec_lo, s1
	v_add_nc_u32_e32 v4, 0x200, v16
	s_delay_alu instid0(VALU_DEP_1)
	v_cmp_lt_u32_e64 s1, v4, v128
	s_and_saveexec_b32 s2, s1
	s_cbranch_execz .LBB916_132
; %bb.131:
	v_xor_b32_e32 v4, 0x7fff, v25
	flat_store_b16 v[2:3], v4 offset:1024
.LBB916_132:
	;; [unrolled: 11-line block ×3, first 2 shown]
	s_wait_alu 0xfffe
	s_or_b32 exec_lo, exec_lo, s3
	v_lshlrev_b64_e32 v[2:3], 3, v[16:17]
	v_add_co_u32 v0, s3, v6, v0
	s_wait_alu 0xf1ff
	v_add_co_ci_u32_e64 v1, null, v7, v1, s3
	s_delay_alu instid0(VALU_DEP_2) | instskip(SKIP_1) | instid1(VALU_DEP_2)
	v_add_co_u32 v0, s3, v0, v2
	s_wait_alu 0xf1ff
	v_add_co_ci_u32_e64 v1, null, v1, v3, s3
	s_and_saveexec_b32 s3, vcc_lo
	s_cbranch_execnz .LBB916_167
; %bb.135:
	s_wait_alu 0xfffe
	s_or_b32 exec_lo, exec_lo, s3
	s_and_saveexec_b32 s3, s0
	s_cbranch_execnz .LBB916_168
.LBB916_136:
	s_wait_alu 0xfffe
	s_or_b32 exec_lo, exec_lo, s3
	s_and_saveexec_b32 s0, s1
	s_cbranch_execnz .LBB916_169
.LBB916_137:
	s_wait_alu 0xfffe
	s_or_b32 exec_lo, exec_lo, s0
	s_and_saveexec_b32 s0, s2
	s_cbranch_execz .LBB916_139
.LBB916_138:
	flat_store_b64 v[0:1], v[10:11] offset:6144
.LBB916_139:
	s_wait_alu 0xfffe
	s_or_b32 exec_lo, exec_lo, s0
                                        ; implicit-def: $vgpr128
                                        ; implicit-def: $vgpr0
                                        ; implicit-def: $vgpr1
                                        ; implicit-def: $vgpr2
                                        ; implicit-def: $vgpr3
                                        ; implicit-def: $vgpr4
                                        ; implicit-def: $vgpr5
                                        ; implicit-def: $vgpr6
                                        ; implicit-def: $vgpr7
                                        ; implicit-def: $vgpr8
                                        ; implicit-def: $vgpr10
                                        ; implicit-def: $vgpr11
                                        ; implicit-def: $vgpr12
                                        ; implicit-def: $vgpr13
                                        ; implicit-def: $vgpr9
                                        ; implicit-def: $vgpr14
                                        ; implicit-def: $vgpr18
                                        ; implicit-def: $vgpr33
.LBB916_140:
	s_wait_alu 0xfffe
	s_and_not1_saveexec_b32 s0, s17
	s_cbranch_execz .LBB916_199
; %bb.141:
	s_load_b64 s[0:1], s[8:9], 0x0
	s_and_b32 s2, ttmp7, 0xffff
	s_mov_b32 s3, 0
	s_wait_kmcnt 0x0
	s_wait_alu 0xfffe
	s_cmp_lt_u32 s2, s1
	s_cselect_b32 s2, 14, 20
	s_cmp_lt_u32 ttmp9, s0
	s_wait_alu 0xfffe
	s_add_nc_u64 s[4:5], s[8:9], s[2:3]
	s_cselect_b32 s2, 12, 18
	s_load_u16 s4, s[4:5], 0x0
	s_add_nc_u64 s[0:1], s[8:9], s[2:3]
	s_load_u16 s0, s[0:1], 0x0
	s_wait_kmcnt 0x0
	v_mad_u32_u24 v14, v14, s4, v9
	v_mov_b32_e32 v9, 0
	s_delay_alu instid0(VALU_DEP_2) | instskip(NEXT) | instid1(VALU_DEP_2)
	v_mad_co_u64_u32 v[14:15], null, v14, s0, v[18:19]
	v_lshlrev_b64_e32 v[16:17], 1, v[8:9]
	s_mov_b32 s0, exec_lo
	v_cmpx_lt_u32_e32 0x100, v128
	s_wait_alu 0xfffe
	s_xor_b32 s14, exec_lo, s0
	s_cbranch_execz .LBB916_179
; %bb.142:
	s_delay_alu instid0(VALU_DEP_3) | instskip(SKIP_1) | instid1(VALU_DEP_2)
	v_dual_mov_b32 v20, v9 :: v_dual_lshlrev_b32 v15, 1, v14
	v_lshlrev_b32_e32 v21, 1, v33
	v_and_b32_e32 v19, 0xffffffc0, v15
	v_add_co_u32 v15, vcc_lo, v0, v16
	s_wait_alu 0xfffd
	v_add_co_ci_u32_e64 v22, null, v1, v17, vcc_lo
	s_delay_alu instid0(VALU_DEP_3) | instskip(NEXT) | instid1(VALU_DEP_3)
	v_lshlrev_b64_e32 v[0:1], 1, v[19:20]
	v_add_co_u32 v15, vcc_lo, v15, v21
	s_wait_alu 0xfffd
	s_delay_alu instid0(VALU_DEP_3) | instskip(SKIP_1) | instid1(VALU_DEP_3)
	v_add_co_ci_u32_e64 v22, null, 0, v22, vcc_lo
	v_or_b32_e32 v21, v33, v19
	v_add_co_u32 v0, vcc_lo, v15, v0
	s_wait_alu 0xfffd
	s_delay_alu instid0(VALU_DEP_3) | instskip(NEXT) | instid1(VALU_DEP_3)
	v_add_co_ci_u32_e64 v1, null, v22, v1, vcc_lo
	v_cmp_lt_u32_e32 vcc_lo, v21, v128
	v_mov_b32_e32 v15, 0x80008000
	s_and_saveexec_b32 s0, vcc_lo
	s_cbranch_execz .LBB916_144
; %bb.143:
	v_bfrev_b32_e32 v15, 1
	flat_load_d16_b16 v15, v[0:1]
.LBB916_144:
	s_wait_alu 0xfffe
	s_or_b32 exec_lo, exec_lo, s0
	v_or_b32_e32 v21, 32, v21
	s_delay_alu instid0(VALU_DEP_1)
	v_cmp_lt_u32_e64 s0, v21, v128
	s_and_saveexec_b32 s1, s0
	s_cbranch_execz .LBB916_146
; %bb.145:
	s_wait_loadcnt_dscnt 0x0
	flat_load_d16_hi_b16 v15, v[0:1] offset:64
.LBB916_146:
	s_wait_alu 0xfffe
	s_or_b32 exec_lo, exec_lo, s1
	v_lshlrev_b64_e32 v[0:1], 3, v[8:9]
	v_lshlrev_b32_e32 v21, 3, v33
	v_lshlrev_b64_e32 v[8:9], 3, v[19:20]
	v_mov_b32_e32 v23, 0
	v_mov_b32_e32 v24, 0
	v_add_co_u32 v4, s1, v4, v0
	s_wait_alu 0xf1ff
	v_add_co_ci_u32_e64 v5, null, v5, v1, s1
	s_delay_alu instid0(VALU_DEP_2) | instskip(SKIP_1) | instid1(VALU_DEP_2)
	v_add_co_u32 v4, s1, v4, v21
	s_wait_alu 0xf1ff
	v_add_co_ci_u32_e64 v5, null, 0, v5, s1
	v_mov_b32_e32 v21, 0
	s_delay_alu instid0(VALU_DEP_3)
	v_add_co_u32 v4, s1, v4, v8
	v_mov_b32_e32 v22, 0
	s_wait_alu 0xf1ff
	v_add_co_ci_u32_e64 v5, null, v5, v9, s1
	s_and_saveexec_b32 s1, vcc_lo
	s_cbranch_execz .LBB916_148
; %bb.147:
	flat_load_b64 v[21:22], v[4:5]
.LBB916_148:
	s_wait_alu 0xfffe
	s_or_b32 exec_lo, exec_lo, s1
	s_and_saveexec_b32 s1, s0
	s_cbranch_execz .LBB916_150
; %bb.149:
	flat_load_b64 v[23:24], v[4:5] offset:256
.LBB916_150:
	s_wait_alu 0xfffe
	s_or_b32 exec_lo, exec_lo, s1
	v_lshl_add_u32 v4, v18, 5, v12
	v_and_b32_e32 v5, 0x3e0, v18
	s_wait_loadcnt_dscnt 0x0
	v_xor_b32_e32 v37, 0x7fff7fff, v15
	v_sub_co_u32 v9, s2, v33, 1
	v_add_nc_u32_e32 v15, 32, v4
	v_add_nc_u32_e32 v32, 36, v4
	;; [unrolled: 1-line block ×8, first 2 shown]
	v_min_u32_e32 v4, 0xe0, v5
	v_and_b32_e32 v8, 15, v33
	v_and_b32_e32 v5, 16, v33
	v_cmp_gt_i32_e64 s6, 0, v9
	s_getpc_b64 s[0:1]
	s_wait_alu 0xfffe
	s_sext_i32_i16 s1, s1
	s_add_co_u32 s0, s0, _ZN7rocprim17ROCPRIM_400000_NS16block_radix_sortIsLj256ELj2ElLj1ELj1ELj8ELNS0_26block_radix_rank_algorithmE2ELNS0_18block_padding_hintE2ELNS0_4arch9wavefront6targetE0EE19radix_bits_per_passE@rel32@lo+12
	s_wait_alu 0xfffe
	s_add_co_ci_u32 s1, s1, _ZN7rocprim17ROCPRIM_400000_NS16block_radix_sortIsLj256ELj2ElLj1ELj1ELj8ELNS0_26block_radix_rank_algorithmE2ELNS0_18block_padding_hintE2ELNS0_4arch9wavefront6targetE0EE19radix_bits_per_passE@rel32@hi+24
	v_or_b32_e32 v4, 31, v4
	s_load_b32 s15, s[0:1], 0x0
	v_cmp_eq_u32_e32 vcc_lo, 0, v8
	v_cmp_lt_u32_e64 s0, 1, v8
	v_cmp_lt_u32_e64 s1, 3, v8
	v_cmp_eq_u32_e64 s5, v18, v4
	v_lshlrev_b32_e32 v4, 1, v18
	v_cmp_lt_u32_e64 s3, 7, v8
	v_cmp_eq_u32_e64 s4, 0, v5
	v_cndmask_b32_e64 v5, v9, v33, s6
	v_lshrrev_b32_e32 v8, 3, v18
	v_and_or_b32 v4, 0x7c0, v4, v33
	v_lshrrev_b32_e32 v49, 5, v14
	v_cmp_gt_u32_e64 s6, 8, v18
	v_lshlrev_b32_e32 v50, 2, v5
	v_and_b32_e32 v5, 0x7c, v8
	v_and_b32_e32 v8, 7, v33
	v_lshl_add_u32 v33, v4, 1, v12
	v_mul_u32_u24_e32 v4, 6, v4
	v_cmp_lt_u32_e64 s7, 31, v18
	v_add_nc_u32_e32 v51, v12, v5
	v_cmp_eq_u32_e64 s8, 0, v18
	v_mov_b32_e32 v5, 0
	v_add_nc_u32_e32 v53, v33, v4
	v_lshl_add_u32 v52, v18, 2, v12
	v_cmp_eq_u32_e64 s9, 0, v8
	v_cmp_lt_u32_e64 s10, 1, v8
	v_cmp_lt_u32_e64 s11, 3, v8
	v_add_nc_u32_e32 v54, -4, v51
	v_add_nc_u32_e32 v55, 64, v33
	v_add_nc_u32_e32 v64, 0x100, v53
	v_sub_nc_u32_e32 v65, v11, v10
	s_mov_b32 s17, 0
	s_wait_storecnt 0x0
	s_barrier_signal -1
	s_barrier_wait -1
	global_inv scope:SCOPE_SE
	s_branch .LBB916_152
.LBB916_151:                            ;   in Loop: Header=BB916_152 Depth=1
	s_wait_alu 0xfffe
	s_or_b32 exec_lo, exec_lo, s13
	s_delay_alu instid0(SALU_CYCLE_1)
	s_and_b32 s12, exec_lo, s18
	s_wait_alu 0xfffe
	s_or_b32 s17, s12, s17
	s_wait_alu 0xfffe
	s_and_not1_b32 exec_lo, exec_lo, s17
	s_cbranch_execz .LBB916_170
.LBB916_152:                            ; =>This Inner Loop Header: Depth=1
	s_wait_kmcnt 0x0
	v_min_u32_e32 v4, s15, v65
	v_and_b32_e32 v8, 0xffff, v37
	ds_store_b32 v15, v5
	ds_store_b32 v32, v5
	;; [unrolled: 1-line block ×6, first 2 shown]
	v_lshlrev_b32_e64 v4, v4, -1
	v_lshrrev_b32_e32 v8, v10, v8
	ds_store_b32 v39, v5
	ds_store_b32 v48, v5
	s_wait_loadcnt_dscnt 0x0
	s_barrier_signal -1
	v_not_b32_e32 v25, v4
	s_barrier_wait -1
	global_inv scope:SCOPE_SE
	; wave barrier
	v_and_b32_e32 v4, v8, v25
	v_dual_mov_b32 v8, v23 :: v_dual_mov_b32 v9, v24
	s_delay_alu instid0(VALU_DEP_2)
	v_and_b32_e32 v19, 1, v4
	v_lshlrev_b32_e32 v20, 30, v4
	v_lshlrev_b32_e32 v23, 29, v4
	;; [unrolled: 1-line block ×4, first 2 shown]
	v_add_co_u32 v19, s12, v19, -1
	s_wait_alu 0xf1ff
	v_cndmask_b32_e64 v26, 0, 1, s12
	v_not_b32_e32 v30, v20
	v_cmp_gt_i32_e64 s13, 0, v20
	v_not_b32_e32 v20, v23
	v_lshlrev_b32_e32 v28, 26, v4
	v_cmp_ne_u32_e64 s12, 0, v26
	v_ashrrev_i32_e32 v30, 31, v30
	v_lshlrev_b32_e32 v29, 25, v4
	v_ashrrev_i32_e32 v20, 31, v20
	s_wait_alu 0xf1ff
	v_xor_b32_e32 v19, s12, v19
	v_cmp_gt_i32_e64 s12, 0, v23
	v_not_b32_e32 v23, v24
	v_xor_b32_e32 v30, s13, v30
	v_cmp_gt_i32_e64 s13, 0, v24
	v_and_b32_e32 v19, exec_lo, v19
	v_not_b32_e32 v24, v27
	v_ashrrev_i32_e32 v23, 31, v23
	s_wait_alu 0xf1ff
	v_xor_b32_e32 v20, s12, v20
	v_cmp_gt_i32_e64 s12, 0, v27
	v_and_b32_e32 v19, v19, v30
	v_ashrrev_i32_e32 v24, 31, v24
	v_xor_b32_e32 v23, s13, v23
	v_not_b32_e32 v27, v28
	v_cmp_gt_i32_e64 s13, 0, v28
	v_and_b32_e32 v19, v19, v20
	v_not_b32_e32 v20, v29
	s_wait_alu 0xf1ff
	v_xor_b32_e32 v24, s12, v24
	v_ashrrev_i32_e32 v27, 31, v27
	v_cmp_gt_i32_e64 s12, 0, v29
	v_and_b32_e32 v19, v19, v23
	v_ashrrev_i32_e32 v28, 31, v20
	s_delay_alu instid0(VALU_DEP_4) | instskip(NEXT) | instid1(VALU_DEP_3)
	v_xor_b32_e32 v27, s13, v27
	v_dual_mov_b32 v19, v21 :: v_dual_and_b32 v24, v19, v24
	v_lshlrev_b32_e32 v26, 24, v4
	v_mov_b32_e32 v20, v22
	s_wait_alu 0xf1ff
	v_xor_b32_e32 v22, s12, v28
	v_lshlrev_b32_e32 v4, 3, v4
	v_not_b32_e32 v23, v26
	v_cmp_gt_i32_e64 s13, 0, v26
	s_delay_alu instid0(VALU_DEP_2) | instskip(SKIP_2) | instid1(VALU_DEP_2)
	v_ashrrev_i32_e32 v21, 31, v23
	v_and_b32_e32 v23, v24, v27
	s_wait_alu 0xf1ff
	v_xor_b32_e32 v21, s13, v21
	s_delay_alu instid0(VALU_DEP_2) | instskip(NEXT) | instid1(VALU_DEP_1)
	v_and_b32_e32 v22, v23, v22
	v_and_b32_e32 v22, v22, v21
	v_add_lshl_u32 v21, v4, v49, 2
	s_delay_alu instid0(VALU_DEP_2) | instskip(NEXT) | instid1(VALU_DEP_2)
	v_mbcnt_lo_u32_b32 v4, v22, 0
	v_add_co_u32 v21, null, v12, v21
	v_cmp_ne_u32_e64 s13, 0, v22
	s_delay_alu instid0(VALU_DEP_3) | instskip(NEXT) | instid1(VALU_DEP_3)
	v_cmp_eq_u32_e64 s12, 0, v4
	v_add_co_u32 v21, null, v21, 32
	s_and_b32 s13, s13, s12
	s_wait_alu 0xfffe
	s_and_saveexec_b32 s12, s13
; %bb.153:                              ;   in Loop: Header=BB916_152 Depth=1
	v_bcnt_u32_b32 v22, v22, 0
	ds_store_b32 v21, v22
; %bb.154:                              ;   in Loop: Header=BB916_152 Depth=1
	s_wait_alu 0xfffe
	s_or_b32 exec_lo, exec_lo, s12
	v_lshrrev_b32_e32 v66, 16, v37
	; wave barrier
	s_delay_alu instid0(VALU_DEP_1) | instskip(NEXT) | instid1(VALU_DEP_1)
	v_lshrrev_b32_e32 v22, v10, v66
	v_and_b32_e32 v22, v22, v25
	s_delay_alu instid0(VALU_DEP_1)
	v_and_b32_e32 v23, 1, v22
	v_lshlrev_b32_e32 v24, 30, v22
	v_lshlrev_b32_e32 v25, 29, v22
	;; [unrolled: 1-line block ×4, first 2 shown]
	v_add_co_u32 v23, s12, v23, -1
	s_wait_alu 0xf1ff
	v_cndmask_b32_e64 v27, 0, 1, s12
	v_not_b32_e32 v31, v24
	v_cmp_gt_i32_e64 s13, 0, v24
	v_not_b32_e32 v24, v25
	v_lshlrev_b32_e32 v29, 26, v22
	v_cmp_ne_u32_e64 s12, 0, v27
	v_ashrrev_i32_e32 v31, 31, v31
	v_lshlrev_b32_e32 v30, 25, v22
	v_ashrrev_i32_e32 v24, 31, v24
	v_lshlrev_b32_e32 v27, 24, v22
	s_wait_alu 0xf1ff
	v_xor_b32_e32 v23, s12, v23
	v_cmp_gt_i32_e64 s12, 0, v25
	v_not_b32_e32 v25, v26
	v_xor_b32_e32 v31, s13, v31
	v_cmp_gt_i32_e64 s13, 0, v26
	v_and_b32_e32 v23, exec_lo, v23
	v_not_b32_e32 v26, v28
	v_ashrrev_i32_e32 v25, 31, v25
	s_wait_alu 0xf1ff
	v_xor_b32_e32 v24, s12, v24
	v_cmp_gt_i32_e64 s12, 0, v28
	v_and_b32_e32 v23, v23, v31
	v_not_b32_e32 v28, v29
	v_ashrrev_i32_e32 v26, 31, v26
	v_xor_b32_e32 v25, s13, v25
	v_cmp_gt_i32_e64 s13, 0, v29
	v_and_b32_e32 v23, v23, v24
	v_not_b32_e32 v24, v30
	v_ashrrev_i32_e32 v28, 31, v28
	s_wait_alu 0xf1ff
	v_xor_b32_e32 v26, s12, v26
	v_cmp_gt_i32_e64 s12, 0, v30
	v_and_b32_e32 v23, v23, v25
	v_not_b32_e32 v25, v27
	v_ashrrev_i32_e32 v24, 31, v24
	v_xor_b32_e32 v28, s13, v28
	v_lshl_add_u32 v22, v22, 3, v49
	v_and_b32_e32 v23, v23, v26
	v_cmp_gt_i32_e64 s13, 0, v27
	v_ashrrev_i32_e32 v25, 31, v25
	s_wait_alu 0xf1ff
	v_xor_b32_e32 v24, s12, v24
	v_lshl_add_u32 v26, v22, 2, v12
	v_and_b32_e32 v23, v23, v28
	v_xor_b32_e32 v25, s13, v25
	ds_load_b32 v22, v26 offset:32
	v_and_b32_e32 v23, v23, v24
	v_add_nc_u32_e32 v24, 32, v26
	; wave barrier
	s_delay_alu instid0(VALU_DEP_2) | instskip(NEXT) | instid1(VALU_DEP_1)
	v_and_b32_e32 v25, v23, v25
	v_mbcnt_lo_u32_b32 v23, v25, 0
	v_cmp_ne_u32_e64 s13, 0, v25
	s_delay_alu instid0(VALU_DEP_2)
	v_cmp_eq_u32_e64 s12, 0, v23
	s_and_b32 s13, s13, s12
	s_wait_alu 0xfffe
	s_and_saveexec_b32 s12, s13
	s_cbranch_execz .LBB916_156
; %bb.155:                              ;   in Loop: Header=BB916_152 Depth=1
	s_wait_dscnt 0x0
	v_bcnt_u32_b32 v25, v25, v22
	ds_store_b32 v24, v25
.LBB916_156:                            ;   in Loop: Header=BB916_152 Depth=1
	s_wait_alu 0xfffe
	s_or_b32 exec_lo, exec_lo, s12
	; wave barrier
	s_wait_loadcnt_dscnt 0x0
	s_barrier_signal -1
	s_barrier_wait -1
	global_inv scope:SCOPE_SE
	ds_load_b32 v26, v15
	ds_load_b32 v27, v32
	;; [unrolled: 1-line block ×8, first 2 shown]
	s_wait_dscnt 0x6
	v_add_nc_u32_e32 v68, v27, v26
	s_wait_dscnt 0x4
	s_delay_alu instid0(VALU_DEP_1) | instskip(SKIP_1) | instid1(VALU_DEP_1)
	v_add3_u32 v68, v68, v28, v29
	s_wait_dscnt 0x2
	v_add3_u32 v68, v68, v30, v31
	s_wait_dscnt 0x0
	s_delay_alu instid0(VALU_DEP_1) | instskip(NEXT) | instid1(VALU_DEP_1)
	v_add3_u32 v67, v68, v25, v67
	v_mov_b32_dpp v68, v67 row_shr:1 row_mask:0xf bank_mask:0xf
	s_wait_alu 0xfffd
	s_delay_alu instid0(VALU_DEP_1) | instskip(NEXT) | instid1(VALU_DEP_1)
	v_cndmask_b32_e64 v68, v68, 0, vcc_lo
	v_add_nc_u32_e32 v67, v68, v67
	s_delay_alu instid0(VALU_DEP_1) | instskip(NEXT) | instid1(VALU_DEP_1)
	v_mov_b32_dpp v68, v67 row_shr:2 row_mask:0xf bank_mask:0xf
	v_cndmask_b32_e64 v68, 0, v68, s0
	s_delay_alu instid0(VALU_DEP_1) | instskip(NEXT) | instid1(VALU_DEP_1)
	v_add_nc_u32_e32 v67, v67, v68
	v_mov_b32_dpp v68, v67 row_shr:4 row_mask:0xf bank_mask:0xf
	s_delay_alu instid0(VALU_DEP_1) | instskip(NEXT) | instid1(VALU_DEP_1)
	v_cndmask_b32_e64 v68, 0, v68, s1
	v_add_nc_u32_e32 v67, v67, v68
	s_delay_alu instid0(VALU_DEP_1) | instskip(NEXT) | instid1(VALU_DEP_1)
	v_mov_b32_dpp v68, v67 row_shr:8 row_mask:0xf bank_mask:0xf
	v_cndmask_b32_e64 v68, 0, v68, s3
	s_delay_alu instid0(VALU_DEP_1) | instskip(SKIP_3) | instid1(VALU_DEP_1)
	v_add_nc_u32_e32 v67, v67, v68
	ds_swizzle_b32 v68, v67 offset:swizzle(BROADCAST,32,15)
	s_wait_dscnt 0x0
	v_cndmask_b32_e64 v68, v68, 0, s4
	v_add_nc_u32_e32 v67, v67, v68
	s_and_saveexec_b32 s12, s5
; %bb.157:                              ;   in Loop: Header=BB916_152 Depth=1
	ds_store_b32 v51, v67
; %bb.158:                              ;   in Loop: Header=BB916_152 Depth=1
	s_wait_alu 0xfffe
	s_or_b32 exec_lo, exec_lo, s12
	s_wait_loadcnt_dscnt 0x0
	s_barrier_signal -1
	s_barrier_wait -1
	global_inv scope:SCOPE_SE
	s_and_saveexec_b32 s12, s6
	s_cbranch_execz .LBB916_160
; %bb.159:                              ;   in Loop: Header=BB916_152 Depth=1
	ds_load_b32 v68, v52
	s_wait_dscnt 0x0
	v_mov_b32_dpp v69, v68 row_shr:1 row_mask:0xf bank_mask:0xf
	s_delay_alu instid0(VALU_DEP_1) | instskip(NEXT) | instid1(VALU_DEP_1)
	v_cndmask_b32_e64 v69, v69, 0, s9
	v_add_nc_u32_e32 v68, v69, v68
	s_delay_alu instid0(VALU_DEP_1) | instskip(NEXT) | instid1(VALU_DEP_1)
	v_mov_b32_dpp v69, v68 row_shr:2 row_mask:0xf bank_mask:0xf
	v_cndmask_b32_e64 v69, 0, v69, s10
	s_delay_alu instid0(VALU_DEP_1) | instskip(NEXT) | instid1(VALU_DEP_1)
	v_add_nc_u32_e32 v68, v68, v69
	v_mov_b32_dpp v69, v68 row_shr:4 row_mask:0xf bank_mask:0xf
	s_delay_alu instid0(VALU_DEP_1) | instskip(NEXT) | instid1(VALU_DEP_1)
	v_cndmask_b32_e64 v69, 0, v69, s11
	v_add_nc_u32_e32 v68, v68, v69
	ds_store_b32 v52, v68
.LBB916_160:                            ;   in Loop: Header=BB916_152 Depth=1
	s_wait_alu 0xfffe
	s_or_b32 exec_lo, exec_lo, s12
	v_mov_b32_e32 v68, 0
	s_wait_loadcnt_dscnt 0x0
	s_barrier_signal -1
	s_barrier_wait -1
	global_inv scope:SCOPE_SE
	s_and_saveexec_b32 s12, s7
; %bb.161:                              ;   in Loop: Header=BB916_152 Depth=1
	ds_load_b32 v68, v54
; %bb.162:                              ;   in Loop: Header=BB916_152 Depth=1
	s_wait_alu 0xfffe
	s_or_b32 exec_lo, exec_lo, s12
	s_wait_dscnt 0x0
	v_add_nc_u32_e32 v67, v68, v67
	v_add_nc_u32_e32 v10, 8, v10
	s_mov_b32 s18, -1
	s_mov_b32 s13, exec_lo
	ds_bpermute_b32 v67, v50, v67
	s_wait_dscnt 0x0
	v_cndmask_b32_e64 v67, v67, v68, s2
	s_delay_alu instid0(VALU_DEP_1) | instskip(NEXT) | instid1(VALU_DEP_1)
	v_cndmask_b32_e64 v67, v67, 0, s8
	v_add_nc_u32_e32 v26, v67, v26
	s_delay_alu instid0(VALU_DEP_1) | instskip(SKIP_4) | instid1(VALU_DEP_1)
	v_add_nc_u32_e32 v27, v26, v27
	ds_store_b32 v15, v67
	ds_store_b32 v32, v26
	;; [unrolled: 1-line block ×3, first 2 shown]
	v_add_nc_u32_e32 v28, v27, v28
	v_add_nc_u32_e32 v29, v28, v29
	s_delay_alu instid0(VALU_DEP_1) | instskip(NEXT) | instid1(VALU_DEP_1)
	v_add_nc_u32_e32 v30, v29, v30
	v_add_nc_u32_e32 v31, v30, v31
	s_delay_alu instid0(VALU_DEP_1)
	v_add_nc_u32_e32 v25, v31, v25
	ds_store_b32 v35, v28
	ds_store_b32 v36, v29
	;; [unrolled: 1-line block ×5, first 2 shown]
	s_wait_loadcnt_dscnt 0x0
	s_barrier_signal -1
	s_barrier_wait -1
	global_inv scope:SCOPE_SE
	ds_load_b32 v21, v21
	ds_load_b32 v25, v24
	v_mov_b32_e32 v24, v5
	s_wait_loadcnt_dscnt 0x0
	v_add_nc_u32_e32 v4, v21, v4
	v_add3_u32 v23, v23, v22, v25
	s_delay_alu instid0(VALU_DEP_2) | instskip(NEXT) | instid1(VALU_DEP_2)
	v_lshlrev_b64_e32 v[21:22], 1, v[4:5]
	v_lshlrev_b64_e32 v[24:25], 1, v[23:24]
	s_delay_alu instid0(VALU_DEP_2) | instskip(SKIP_1) | instid1(VALU_DEP_3)
	v_add_co_u32 v28, s12, v12, v21
	s_wait_alu 0xf1ff
	v_add_co_ci_u32_e64 v29, null, v13, v22, s12
	s_delay_alu instid0(VALU_DEP_3) | instskip(SKIP_2) | instid1(VALU_DEP_3)
	v_add_co_u32 v30, s12, v12, v24
	s_wait_alu 0xf1ff
	v_add_co_ci_u32_e64 v31, null, v13, v25, s12
	v_mad_co_u64_u32 v[25:26], null, v4, 6, v[28:29]
	v_mov_b32_e32 v4, v37
	s_delay_alu instid0(VALU_DEP_3)
	v_mad_co_u64_u32 v[26:27], null, v23, 6, v[30:31]
                                        ; implicit-def: $vgpr23_vgpr24
                                        ; implicit-def: $vgpr21_vgpr22
	v_cmpx_lt_u32_e64 v10, v11
	s_cbranch_execz .LBB916_151
; %bb.163:                              ;   in Loop: Header=BB916_152 Depth=1
	s_barrier_signal -1
	s_barrier_wait -1
	global_inv scope:SCOPE_SE
	ds_store_b16 v28, v37
	ds_store_b16 v30, v66
	s_wait_loadcnt_dscnt 0x0
	s_barrier_signal -1
	s_barrier_wait -1
	global_inv scope:SCOPE_SE
	ds_load_u16 v37, v33
	v_add_nc_u32_e32 v65, -8, v65
	s_xor_b32 s18, exec_lo, -1
	s_wait_dscnt 0x0
	ds_load_u16_d16_hi v37, v55
	s_wait_loadcnt_dscnt 0x0
	s_barrier_signal -1
	s_barrier_wait -1
	global_inv scope:SCOPE_SE
	ds_store_b64 v25, v[19:20]
	ds_store_b64 v26, v[8:9]
	s_wait_loadcnt_dscnt 0x0
	s_barrier_signal -1
	s_barrier_wait -1
	global_inv scope:SCOPE_SE
	ds_load_b64 v[21:22], v53
	ds_load_b64 v[23:24], v64
	s_wait_loadcnt_dscnt 0x0
	s_barrier_signal -1
	s_barrier_wait -1
	global_inv scope:SCOPE_SE
	s_branch .LBB916_151
.LBB916_164:
	flat_load_b64 v[27:28], v[4:5]
	s_wait_alu 0xfffe
	s_or_b32 exec_lo, exec_lo, s3
                                        ; implicit-def: $vgpr29_vgpr30
	s_and_saveexec_b32 s3, s0
	s_cbranch_execz .LBB916_91
.LBB916_165:
	flat_load_b64 v[29:30], v[4:5] offset:256
	s_wait_alu 0xfffe
	s_or_b32 exec_lo, exec_lo, s3
                                        ; implicit-def: $vgpr31_vgpr32
	s_and_saveexec_b32 s0, s1
	s_cbranch_execz .LBB916_92
.LBB916_166:
	flat_load_b64 v[31:32], v[4:5] offset:512
	s_wait_alu 0xfffe
	s_or_b32 exec_lo, exec_lo, s0
                                        ; implicit-def: $vgpr25_vgpr26
	s_and_saveexec_b32 s0, s2
	s_cbranch_execnz .LBB916_93
	s_branch .LBB916_94
.LBB916_167:
	flat_store_b64 v[0:1], v[12:13]
	s_wait_alu 0xfffe
	s_or_b32 exec_lo, exec_lo, s3
	s_and_saveexec_b32 s3, s0
	s_cbranch_execz .LBB916_136
.LBB916_168:
	flat_store_b64 v[0:1], v[14:15] offset:2048
	s_wait_alu 0xfffe
	s_or_b32 exec_lo, exec_lo, s3
	s_and_saveexec_b32 s0, s1
	s_cbranch_execz .LBB916_137
.LBB916_169:
	flat_store_b64 v[0:1], v[8:9] offset:4096
	s_wait_alu 0xfffe
	s_or_b32 exec_lo, exec_lo, s0
	s_and_saveexec_b32 s0, s2
	s_cbranch_execnz .LBB916_138
	s_branch .LBB916_139
.LBB916_170:
	s_or_b32 exec_lo, exec_lo, s17
	v_lshl_add_u32 v10, v18, 1, v12
	v_mul_u32_u24_e32 v11, 6, v18
	s_barrier_signal -1
	s_barrier_wait -1
	s_wait_loadcnt 0x0
	global_inv scope:SCOPE_SE
	ds_store_b16 v28, v4
	ds_store_b16 v30, v66
	s_wait_loadcnt_dscnt 0x0
	s_barrier_signal -1
	s_barrier_wait -1
	global_inv scope:SCOPE_SE
	ds_load_u16 v5, v10
	ds_load_u16 v4, v10 offset:512
	s_wait_loadcnt_dscnt 0x0
	s_barrier_signal -1
	s_barrier_wait -1
	global_inv scope:SCOPE_SE
	ds_store_b64 v25, v[19:20]
	ds_store_b64 v26, v[8:9]
	v_dual_mov_b32 v15, 0 :: v_dual_add_nc_u32 v8, v10, v11
	s_wait_loadcnt_dscnt 0x0
	s_barrier_signal -1
	s_barrier_wait -1
	global_inv scope:SCOPE_SE
	ds_load_2addr_stride64_b64 v[8:11], v8 offset1:4
	v_lshlrev_b64_e32 v[12:13], 1, v[14:15]
	v_add_co_u32 v2, vcc_lo, v2, v16
	s_wait_alu 0xfffd
	v_add_co_ci_u32_e64 v3, null, v3, v17, vcc_lo
	s_wait_loadcnt_dscnt 0x0
	s_delay_alu instid0(VALU_DEP_2) | instskip(SKIP_1) | instid1(VALU_DEP_2)
	v_add_co_u32 v2, vcc_lo, v2, v12
	s_wait_alu 0xfffd
	v_add_co_ci_u32_e64 v3, null, v3, v13, vcc_lo
	v_cmp_lt_u32_e32 vcc_lo, v14, v128
	s_barrier_signal -1
	s_barrier_wait -1
	global_inv scope:SCOPE_SE
	s_and_saveexec_b32 s0, vcc_lo
	s_cbranch_execz .LBB916_172
; %bb.171:
	v_xor_b32_e32 v5, 0x7fff, v5
	flat_store_b16 v[2:3], v5
.LBB916_172:
	s_wait_alu 0xfffe
	s_or_b32 exec_lo, exec_lo, s0
	v_add_nc_u32_e32 v5, 0x100, v14
	s_delay_alu instid0(VALU_DEP_1)
	v_cmp_lt_u32_e64 s0, v5, v128
	s_and_saveexec_b32 s1, s0
	s_cbranch_execz .LBB916_174
; %bb.173:
	v_xor_b32_e32 v4, 0x7fff, v4
	flat_store_b16 v[2:3], v4 offset:512
.LBB916_174:
	s_wait_alu 0xfffe
	s_or_b32 exec_lo, exec_lo, s1
	v_lshlrev_b64_e32 v[2:3], 3, v[14:15]
	v_add_co_u32 v0, s1, v6, v0
	s_wait_alu 0xf1ff
	v_add_co_ci_u32_e64 v1, null, v7, v1, s1
	s_delay_alu instid0(VALU_DEP_2) | instskip(SKIP_1) | instid1(VALU_DEP_2)
	v_add_co_u32 v0, s1, v0, v2
	s_wait_alu 0xf1ff
	v_add_co_ci_u32_e64 v1, null, v1, v3, s1
	s_and_saveexec_b32 s1, vcc_lo
	s_cbranch_execz .LBB916_176
; %bb.175:
	flat_store_b64 v[0:1], v[8:9]
.LBB916_176:
	s_wait_alu 0xfffe
	s_or_b32 exec_lo, exec_lo, s1
	s_and_saveexec_b32 s1, s0
	s_cbranch_execz .LBB916_178
; %bb.177:
	flat_store_b64 v[0:1], v[10:11] offset:2048
.LBB916_178:
	s_wait_alu 0xfffe
	s_or_b32 exec_lo, exec_lo, s1
                                        ; implicit-def: $vgpr14_vgpr15
                                        ; implicit-def: $vgpr8_vgpr9
                                        ; implicit-def: $vgpr16_vgpr17
                                        ; implicit-def: $vgpr128
                                        ; implicit-def: $vgpr0
                                        ; implicit-def: $vgpr1
                                        ; implicit-def: $vgpr2
                                        ; implicit-def: $vgpr3
                                        ; implicit-def: $vgpr4
                                        ; implicit-def: $vgpr5
                                        ; implicit-def: $vgpr6
                                        ; implicit-def: $vgpr7
                                        ; implicit-def: $vgpr10
                                        ; implicit-def: $vgpr11
                                        ; implicit-def: $vgpr12
                                        ; implicit-def: $vgpr13
                                        ; implicit-def: $vgpr18
                                        ; implicit-def: $vgpr33
.LBB916_179:
	s_wait_alu 0xfffe
	s_and_not1_saveexec_b32 s0, s14
	s_cbranch_execz .LBB916_199
; %bb.180:
	v_and_b32_e32 v21, 0xffffffe0, v14
	v_mov_b32_e32 v39, -1
	s_delay_alu instid0(VALU_DEP_2) | instskip(NEXT) | instid1(VALU_DEP_1)
	v_or_b32_e32 v15, v33, v21
	v_cmp_lt_u32_e32 vcc_lo, v15, v128
	s_and_saveexec_b32 s1, vcc_lo
	s_cbranch_execz .LBB916_182
; %bb.181:
	v_dual_mov_b32 v22, 0 :: v_dual_lshlrev_b32 v15, 1, v33
	v_add_co_u32 v19, s0, v0, v16
	s_wait_alu 0xf1fe
	v_add_co_ci_u32_e64 v20, null, v1, v17, s0
	s_delay_alu instid0(VALU_DEP_3) | instskip(NEXT) | instid1(VALU_DEP_3)
	v_lshlrev_b64_e32 v[0:1], 1, v[21:22]
	v_add_co_u32 v15, s0, v19, v15
	s_wait_alu 0xf1ff
	s_delay_alu instid0(VALU_DEP_3) | instskip(NEXT) | instid1(VALU_DEP_2)
	v_add_co_ci_u32_e64 v19, null, 0, v20, s0
	v_add_co_u32 v0, s0, v15, v0
	s_wait_alu 0xf1ff
	s_delay_alu instid0(VALU_DEP_2)
	v_add_co_ci_u32_e64 v1, null, v19, v1, s0
	flat_load_u16 v0, v[0:1]
	s_wait_loadcnt_dscnt 0x0
	v_xor_b32_e32 v39, 0x7fff, v0
.LBB916_182:
	s_wait_alu 0xfffe
	s_or_b32 exec_lo, exec_lo, s1
	v_lshlrev_b64_e32 v[0:1], 3, v[8:9]
                                        ; implicit-def: $vgpr19_vgpr20
	s_and_saveexec_b32 s0, vcc_lo
	s_cbranch_execz .LBB916_184
; %bb.183:
	v_mov_b32_e32 v22, 0
	v_lshlrev_b32_e32 v8, 3, v33
	s_delay_alu instid0(VALU_DEP_3) | instskip(SKIP_3) | instid1(VALU_DEP_3)
	v_add_co_u32 v9, vcc_lo, v4, v0
	s_wait_alu 0xfffd
	v_add_co_ci_u32_e64 v15, null, v5, v1, vcc_lo
	v_lshlrev_b64_e32 v[4:5], 3, v[21:22]
	v_add_co_u32 v8, vcc_lo, v9, v8
	s_wait_alu 0xfffd
	s_delay_alu instid0(VALU_DEP_3) | instskip(NEXT) | instid1(VALU_DEP_2)
	v_add_co_ci_u32_e64 v9, null, 0, v15, vcc_lo
	v_add_co_u32 v4, vcc_lo, v8, v4
	s_wait_alu 0xfffd
	s_delay_alu instid0(VALU_DEP_2)
	v_add_co_ci_u32_e64 v5, null, v9, v5, vcc_lo
	flat_load_b64 v[19:20], v[4:5]
.LBB916_184:
	s_wait_alu 0xfffe
	s_or_b32 exec_lo, exec_lo, s0
	v_lshl_add_u32 v4, v18, 5, v12
	v_and_b32_e32 v5, 15, v33
	v_sub_co_u32 v21, s2, v33, 1
	s_getpc_b64 s[0:1]
	s_wait_alu 0xfffe
	s_sext_i32_i16 s1, s1
	s_add_co_u32 s0, s0, _ZN7rocprim17ROCPRIM_400000_NS16block_radix_sortIsLj256ELj1ElLj1ELj1ELj8ELNS0_26block_radix_rank_algorithmE2ELNS0_18block_padding_hintE2ELNS0_4arch9wavefront6targetE0EE19radix_bits_per_passE@rel32@lo+12
	s_wait_alu 0xfffe
	s_add_co_ci_u32 s1, s1, _ZN7rocprim17ROCPRIM_400000_NS16block_radix_sortIsLj256ELj1ElLj1ELj1ELj8ELNS0_26block_radix_rank_algorithmE2ELNS0_18block_padding_hintE2ELNS0_4arch9wavefront6targetE0EE19radix_bits_per_passE@rel32@hi+24
	v_add_nc_u32_e32 v15, 32, v4
	v_add_nc_u32_e32 v23, 36, v4
	;; [unrolled: 1-line block ×8, first 2 shown]
	v_and_b32_e32 v4, 0x3e0, v18
	s_load_b32 s14, s[0:1], 0x0
	v_cmp_eq_u32_e32 vcc_lo, 0, v5
	v_cmp_lt_u32_e64 s0, 1, v5
	v_cmp_lt_u32_e64 s1, 3, v5
	v_min_u32_e32 v8, 0xe0, v4
	v_and_b32_e32 v9, 16, v33
	v_cmp_lt_u32_e64 s3, 7, v5
	v_cmp_gt_i32_e64 s5, 0, v21
	v_or_b32_e32 v4, v33, v4
	v_or_b32_e32 v5, 31, v8
	v_lshrrev_b32_e32 v8, 3, v18
	v_cmp_eq_u32_e64 s4, 0, v9
	s_wait_alu 0xf1ff
	v_cndmask_b32_e64 v9, v21, v33, s5
	v_lshl_add_u32 v34, v4, 1, v12
	v_cmp_eq_u32_e64 s5, v18, v5
	v_and_b32_e32 v5, 0x7c, v8
	v_and_b32_e32 v8, 7, v33
	v_mul_u32_u24_e32 v4, 6, v4
	v_lshrrev_b32_e32 v30, 5, v14
	v_cmp_gt_u32_e64 s6, 8, v18
	v_add_nc_u32_e32 v32, v12, v5
	v_cmp_lt_u32_e64 s7, 31, v18
	v_lshlrev_b32_e32 v31, 2, v9
	v_cmp_eq_u32_e64 s8, 0, v18
	v_mov_b32_e32 v5, 0
	v_lshl_add_u32 v33, v18, 2, v12
	v_cmp_eq_u32_e64 s9, 0, v8
	v_cmp_lt_u32_e64 s10, 1, v8
	v_cmp_lt_u32_e64 s11, 3, v8
	v_add_nc_u32_e32 v35, -4, v32
	v_add_nc_u32_e32 v36, v34, v4
	v_sub_nc_u32_e32 v37, v11, v10
	s_mov_b32 s15, 0
	s_wait_storecnt 0x0
	s_wait_loadcnt_dscnt 0x0
	s_barrier_signal -1
	s_barrier_wait -1
	global_inv scope:SCOPE_SE
	s_branch .LBB916_186
.LBB916_185:                            ;   in Loop: Header=BB916_186 Depth=1
	s_wait_alu 0xfffe
	s_or_b32 exec_lo, exec_lo, s13
	s_delay_alu instid0(SALU_CYCLE_1)
	s_and_b32 s12, exec_lo, s17
	s_wait_alu 0xfffe
	s_or_b32 s15, s12, s15
	s_wait_alu 0xfffe
	s_and_not1_b32 exec_lo, exec_lo, s15
	s_cbranch_execz .LBB916_196
.LBB916_186:                            ; =>This Inner Loop Header: Depth=1
	v_mov_b32_e32 v38, v39
	s_wait_kmcnt 0x0
	v_min_u32_e32 v8, s14, v37
	ds_store_b32 v15, v5
	ds_store_b32 v23, v5
	;; [unrolled: 1-line block ×6, first 2 shown]
	v_and_b32_e32 v4, 0xffff, v38
	ds_store_b32 v28, v5
	ds_store_b32 v29, v5
	s_wait_loadcnt_dscnt 0x0
	s_barrier_signal -1
	s_barrier_wait -1
	v_lshrrev_b32_e32 v4, v10, v4
	global_inv scope:SCOPE_SE
	; wave barrier
	v_bfe_u32 v4, v4, 0, v8
	s_delay_alu instid0(VALU_DEP_1)
	v_and_b32_e32 v8, 1, v4
	v_lshlrev_b32_e32 v9, 30, v4
	v_lshlrev_b32_e32 v21, 29, v4
	;; [unrolled: 1-line block ×4, first 2 shown]
	v_add_co_u32 v8, s12, v8, -1
	s_wait_alu 0xf1ff
	v_cndmask_b32_e64 v39, 0, 1, s12
	v_not_b32_e32 v51, v9
	v_cmp_gt_i32_e64 s13, 0, v9
	v_not_b32_e32 v9, v21
	v_lshlrev_b32_e32 v49, 26, v4
	v_cmp_ne_u32_e64 s12, 0, v39
	v_ashrrev_i32_e32 v51, 31, v51
	v_lshlrev_b32_e32 v50, 25, v4
	v_ashrrev_i32_e32 v9, 31, v9
	v_lshlrev_b32_e32 v39, 24, v4
	s_wait_alu 0xf1ff
	v_xor_b32_e32 v8, s12, v8
	v_cmp_gt_i32_e64 s12, 0, v21
	v_not_b32_e32 v21, v22
	v_xor_b32_e32 v51, s13, v51
	v_cmp_gt_i32_e64 s13, 0, v22
	v_and_b32_e32 v8, exec_lo, v8
	v_not_b32_e32 v22, v48
	v_ashrrev_i32_e32 v21, 31, v21
	s_wait_alu 0xf1ff
	v_xor_b32_e32 v9, s12, v9
	v_cmp_gt_i32_e64 s12, 0, v48
	v_and_b32_e32 v8, v8, v51
	v_not_b32_e32 v48, v49
	v_ashrrev_i32_e32 v22, 31, v22
	v_xor_b32_e32 v21, s13, v21
	v_cmp_gt_i32_e64 s13, 0, v49
	v_and_b32_e32 v8, v8, v9
	v_not_b32_e32 v9, v50
	v_ashrrev_i32_e32 v48, 31, v48
	s_wait_alu 0xf1ff
	v_xor_b32_e32 v22, s12, v22
	v_cmp_gt_i32_e64 s12, 0, v50
	v_and_b32_e32 v8, v8, v21
	v_not_b32_e32 v21, v39
	v_ashrrev_i32_e32 v49, 31, v9
	v_xor_b32_e32 v48, s13, v48
	v_cmp_gt_i32_e64 s13, 0, v39
	v_and_b32_e32 v22, v8, v22
	v_dual_mov_b32 v8, v19 :: v_dual_mov_b32 v9, v20
	v_ashrrev_i32_e32 v19, 31, v21
	s_wait_alu 0xf1ff
	v_xor_b32_e32 v20, s12, v49
	v_and_b32_e32 v21, v22, v48
	v_lshlrev_b32_e32 v4, 3, v4
	v_xor_b32_e32 v19, s13, v19
	s_delay_alu instid0(VALU_DEP_3) | instskip(NEXT) | instid1(VALU_DEP_1)
	v_and_b32_e32 v20, v21, v20
	v_and_b32_e32 v20, v20, v19
	s_delay_alu instid0(VALU_DEP_4) | instskip(NEXT) | instid1(VALU_DEP_2)
	v_add_lshl_u32 v19, v4, v30, 2
	v_mbcnt_lo_u32_b32 v4, v20, 0
	s_delay_alu instid0(VALU_DEP_2) | instskip(SKIP_1) | instid1(VALU_DEP_3)
	v_add_co_u32 v19, null, v12, v19
	v_cmp_ne_u32_e64 s13, 0, v20
	v_cmp_eq_u32_e64 s12, 0, v4
	s_delay_alu instid0(VALU_DEP_3)
	v_add_co_u32 v19, null, v19, 32
	s_and_b32 s13, s13, s12
	s_wait_alu 0xfffe
	s_and_saveexec_b32 s12, s13
; %bb.187:                              ;   in Loop: Header=BB916_186 Depth=1
	v_bcnt_u32_b32 v20, v20, 0
	ds_store_b32 v19, v20
; %bb.188:                              ;   in Loop: Header=BB916_186 Depth=1
	s_wait_alu 0xfffe
	s_or_b32 exec_lo, exec_lo, s12
	; wave barrier
	s_wait_loadcnt_dscnt 0x0
	s_barrier_signal -1
	s_barrier_wait -1
	global_inv scope:SCOPE_SE
	ds_load_b32 v21, v15
	ds_load_b32 v22, v23
	;; [unrolled: 1-line block ×8, first 2 shown]
	s_wait_dscnt 0x6
	v_add_nc_u32_e32 v52, v22, v21
	s_wait_dscnt 0x4
	s_delay_alu instid0(VALU_DEP_1) | instskip(SKIP_1) | instid1(VALU_DEP_1)
	v_add3_u32 v52, v52, v39, v48
	s_wait_dscnt 0x2
	v_add3_u32 v52, v52, v49, v50
	s_wait_dscnt 0x0
	s_delay_alu instid0(VALU_DEP_1) | instskip(NEXT) | instid1(VALU_DEP_1)
	v_add3_u32 v51, v52, v20, v51
	v_mov_b32_dpp v52, v51 row_shr:1 row_mask:0xf bank_mask:0xf
	s_wait_alu 0xfffd
	s_delay_alu instid0(VALU_DEP_1) | instskip(NEXT) | instid1(VALU_DEP_1)
	v_cndmask_b32_e64 v52, v52, 0, vcc_lo
	v_add_nc_u32_e32 v51, v52, v51
	s_delay_alu instid0(VALU_DEP_1) | instskip(NEXT) | instid1(VALU_DEP_1)
	v_mov_b32_dpp v52, v51 row_shr:2 row_mask:0xf bank_mask:0xf
	v_cndmask_b32_e64 v52, 0, v52, s0
	s_delay_alu instid0(VALU_DEP_1) | instskip(NEXT) | instid1(VALU_DEP_1)
	v_add_nc_u32_e32 v51, v51, v52
	v_mov_b32_dpp v52, v51 row_shr:4 row_mask:0xf bank_mask:0xf
	s_delay_alu instid0(VALU_DEP_1) | instskip(NEXT) | instid1(VALU_DEP_1)
	v_cndmask_b32_e64 v52, 0, v52, s1
	v_add_nc_u32_e32 v51, v51, v52
	s_delay_alu instid0(VALU_DEP_1) | instskip(NEXT) | instid1(VALU_DEP_1)
	v_mov_b32_dpp v52, v51 row_shr:8 row_mask:0xf bank_mask:0xf
	v_cndmask_b32_e64 v52, 0, v52, s3
	s_delay_alu instid0(VALU_DEP_1) | instskip(SKIP_3) | instid1(VALU_DEP_1)
	v_add_nc_u32_e32 v51, v51, v52
	ds_swizzle_b32 v52, v51 offset:swizzle(BROADCAST,32,15)
	s_wait_dscnt 0x0
	v_cndmask_b32_e64 v52, v52, 0, s4
	v_add_nc_u32_e32 v51, v51, v52
	s_and_saveexec_b32 s12, s5
; %bb.189:                              ;   in Loop: Header=BB916_186 Depth=1
	ds_store_b32 v32, v51
; %bb.190:                              ;   in Loop: Header=BB916_186 Depth=1
	s_wait_alu 0xfffe
	s_or_b32 exec_lo, exec_lo, s12
	s_wait_loadcnt_dscnt 0x0
	s_barrier_signal -1
	s_barrier_wait -1
	global_inv scope:SCOPE_SE
	s_and_saveexec_b32 s12, s6
	s_cbranch_execz .LBB916_192
; %bb.191:                              ;   in Loop: Header=BB916_186 Depth=1
	ds_load_b32 v52, v33
	s_wait_dscnt 0x0
	v_mov_b32_dpp v53, v52 row_shr:1 row_mask:0xf bank_mask:0xf
	s_delay_alu instid0(VALU_DEP_1) | instskip(NEXT) | instid1(VALU_DEP_1)
	v_cndmask_b32_e64 v53, v53, 0, s9
	v_add_nc_u32_e32 v52, v53, v52
	s_delay_alu instid0(VALU_DEP_1) | instskip(NEXT) | instid1(VALU_DEP_1)
	v_mov_b32_dpp v53, v52 row_shr:2 row_mask:0xf bank_mask:0xf
	v_cndmask_b32_e64 v53, 0, v53, s10
	s_delay_alu instid0(VALU_DEP_1) | instskip(NEXT) | instid1(VALU_DEP_1)
	v_add_nc_u32_e32 v52, v52, v53
	v_mov_b32_dpp v53, v52 row_shr:4 row_mask:0xf bank_mask:0xf
	s_delay_alu instid0(VALU_DEP_1) | instskip(NEXT) | instid1(VALU_DEP_1)
	v_cndmask_b32_e64 v53, 0, v53, s11
	v_add_nc_u32_e32 v52, v52, v53
	ds_store_b32 v33, v52
.LBB916_192:                            ;   in Loop: Header=BB916_186 Depth=1
	s_wait_alu 0xfffe
	s_or_b32 exec_lo, exec_lo, s12
	v_mov_b32_e32 v52, 0
	s_wait_loadcnt_dscnt 0x0
	s_barrier_signal -1
	s_barrier_wait -1
	global_inv scope:SCOPE_SE
	s_and_saveexec_b32 s12, s7
; %bb.193:                              ;   in Loop: Header=BB916_186 Depth=1
	ds_load_b32 v52, v35
; %bb.194:                              ;   in Loop: Header=BB916_186 Depth=1
	s_wait_alu 0xfffe
	s_or_b32 exec_lo, exec_lo, s12
	s_wait_dscnt 0x0
	v_add_nc_u32_e32 v51, v52, v51
	v_add_nc_u32_e32 v10, 8, v10
	s_mov_b32 s17, -1
	ds_bpermute_b32 v51, v31, v51
	s_wait_dscnt 0x0
	v_cndmask_b32_e64 v51, v51, v52, s2
	s_delay_alu instid0(VALU_DEP_1) | instskip(NEXT) | instid1(VALU_DEP_1)
	v_cndmask_b32_e64 v51, v51, 0, s8
	v_add_nc_u32_e32 v21, v51, v21
	s_delay_alu instid0(VALU_DEP_1) | instskip(SKIP_4) | instid1(VALU_DEP_1)
	v_add_nc_u32_e32 v22, v21, v22
	ds_store_b32 v15, v51
	ds_store_b32 v23, v21
	;; [unrolled: 1-line block ×3, first 2 shown]
	v_add_nc_u32_e32 v39, v22, v39
	v_add_nc_u32_e32 v48, v39, v48
	s_delay_alu instid0(VALU_DEP_1) | instskip(NEXT) | instid1(VALU_DEP_1)
	v_add_nc_u32_e32 v49, v48, v49
	v_add_nc_u32_e32 v50, v49, v50
	s_delay_alu instid0(VALU_DEP_1)
	v_add_nc_u32_e32 v20, v50, v20
	ds_store_b32 v25, v39
	ds_store_b32 v26, v48
	;; [unrolled: 1-line block ×5, first 2 shown]
	s_wait_loadcnt_dscnt 0x0
	s_barrier_signal -1
	s_barrier_wait -1
	global_inv scope:SCOPE_SE
	ds_load_b32 v19, v19
                                        ; implicit-def: $vgpr39
	s_wait_loadcnt_dscnt 0x0
	v_add_nc_u32_e32 v4, v19, v4
	s_delay_alu instid0(VALU_DEP_1) | instskip(NEXT) | instid1(VALU_DEP_1)
	v_lshlrev_b64_e32 v[19:20], 1, v[4:5]
	v_add_co_u32 v21, s13, v12, v19
	s_wait_alu 0xf1ff
	s_delay_alu instid0(VALU_DEP_2)
	v_add_co_ci_u32_e64 v22, null, v13, v20, s13
	s_mov_b32 s13, exec_lo
                                        ; implicit-def: $vgpr19_vgpr20
	v_cmpx_lt_u32_e64 v10, v11
	s_cbranch_execz .LBB916_185
; %bb.195:                              ;   in Loop: Header=BB916_186 Depth=1
	v_mad_co_u64_u32 v[19:20], null, v4, 6, v[21:22]
	s_barrier_signal -1
	s_barrier_wait -1
	global_inv scope:SCOPE_SE
	ds_store_b16 v21, v38
	s_wait_loadcnt_dscnt 0x0
	s_barrier_signal -1
	s_barrier_wait -1
	global_inv scope:SCOPE_SE
	ds_load_u16 v39, v34
	s_wait_loadcnt_dscnt 0x0
	s_barrier_signal -1
	s_barrier_wait -1
	global_inv scope:SCOPE_SE
	ds_store_b64 v19, v[8:9]
	s_wait_loadcnt_dscnt 0x0
	s_barrier_signal -1
	s_barrier_wait -1
	global_inv scope:SCOPE_SE
	ds_load_b64 v[19:20], v36
	v_add_nc_u32_e32 v37, -8, v37
	s_xor_b32 s17, exec_lo, -1
	s_wait_loadcnt_dscnt 0x0
	s_barrier_signal -1
	s_barrier_wait -1
	global_inv scope:SCOPE_SE
	s_branch .LBB916_185
.LBB916_196:
	s_or_b32 exec_lo, exec_lo, s15
	v_mad_co_u64_u32 v[4:5], null, v4, 6, v[21:22]
	v_lshl_add_u32 v11, v18, 1, v12
	v_mul_u32_u24_e32 v5, 6, v18
	s_barrier_signal -1
	s_barrier_wait -1
	s_wait_loadcnt 0x0
	global_inv scope:SCOPE_SE
	ds_store_b16 v21, v38
	s_wait_loadcnt_dscnt 0x0
	s_barrier_signal -1
	s_barrier_wait -1
	global_inv scope:SCOPE_SE
	ds_load_u16 v10, v11
	s_wait_loadcnt_dscnt 0x0
	s_barrier_signal -1
	s_barrier_wait -1
	global_inv scope:SCOPE_SE
	ds_store_b64 v4, v[8:9]
	v_add_nc_u32_e32 v4, v11, v5
	s_wait_loadcnt_dscnt 0x0
	s_barrier_signal -1
	s_barrier_wait -1
	global_inv scope:SCOPE_SE
	ds_load_b64 v[4:5], v4
	s_mov_b32 s0, exec_lo
	s_wait_loadcnt_dscnt 0x0
	s_barrier_signal -1
	s_barrier_wait -1
	global_inv scope:SCOPE_SE
	v_cmpx_lt_u32_e64 v14, v128
	s_cbranch_execz .LBB916_198
; %bb.197:
	v_mov_b32_e32 v15, 0
	v_add_co_u32 v8, vcc_lo, v6, v0
	s_wait_alu 0xfffd
	v_add_co_ci_u32_e64 v9, null, v7, v1, vcc_lo
	s_delay_alu instid0(VALU_DEP_3) | instskip(SKIP_4) | instid1(VALU_DEP_3)
	v_lshlrev_b64_e32 v[6:7], 1, v[14:15]
	v_add_co_u32 v2, vcc_lo, v2, v16
	v_lshlrev_b64_e32 v[0:1], 3, v[14:15]
	s_wait_alu 0xfffd
	v_add_co_ci_u32_e64 v3, null, v3, v17, vcc_lo
	v_add_co_u32 v2, vcc_lo, v2, v6
	v_xor_b32_e32 v10, 0x7fff, v10
	s_wait_alu 0xfffd
	s_delay_alu instid0(VALU_DEP_3)
	v_add_co_ci_u32_e64 v3, null, v3, v7, vcc_lo
	v_add_co_u32 v0, vcc_lo, v8, v0
	s_wait_alu 0xfffd
	v_add_co_ci_u32_e64 v1, null, v9, v1, vcc_lo
	flat_store_b16 v[2:3], v10
	flat_store_b64 v[0:1], v[4:5]
.LBB916_198:
	s_wait_alu 0xfffe
	s_or_b32 exec_lo, exec_lo, s0
.LBB916_199:
	s_wait_alu 0xfffe
	s_or_b32 exec_lo, exec_lo, s16
	s_wait_loadcnt_dscnt 0x0
	s_setpc_b64 s[30:31]
.Lfunc_end916:
	.size	_ZN7rocprim17ROCPRIM_400000_NS6detail40segmented_radix_sort_single_block_helperIslLj256ELj8ELb1EE4sortIPKsPsPKlPlEEbT_T0_T1_T2_jjjjRNS3_12storage_typeE, .Lfunc_end916-_ZN7rocprim17ROCPRIM_400000_NS6detail40segmented_radix_sort_single_block_helperIslLj256ELj8ELb1EE4sortIPKsPsPKlPlEEbT_T0_T1_T2_jjjjRNS3_12storage_typeE
                                        ; -- End function
	.set .L_ZN7rocprim17ROCPRIM_400000_NS6detail40segmented_radix_sort_single_block_helperIslLj256ELj8ELb1EE4sortIPKsPsPKlPlEEbT_T0_T1_T2_jjjjRNS3_12storage_typeE.num_vgpr, 198
	.set .L_ZN7rocprim17ROCPRIM_400000_NS6detail40segmented_radix_sort_single_block_helperIslLj256ELj8ELb1EE4sortIPKsPsPKlPlEEbT_T0_T1_T2_jjjjRNS3_12storage_typeE.num_agpr, 0
	.set .L_ZN7rocprim17ROCPRIM_400000_NS6detail40segmented_radix_sort_single_block_helperIslLj256ELj8ELb1EE4sortIPKsPsPKlPlEEbT_T0_T1_T2_jjjjRNS3_12storage_typeE.numbered_sgpr, 32
	.set .L_ZN7rocprim17ROCPRIM_400000_NS6detail40segmented_radix_sort_single_block_helperIslLj256ELj8ELb1EE4sortIPKsPsPKlPlEEbT_T0_T1_T2_jjjjRNS3_12storage_typeE.num_named_barrier, 0
	.set .L_ZN7rocprim17ROCPRIM_400000_NS6detail40segmented_radix_sort_single_block_helperIslLj256ELj8ELb1EE4sortIPKsPsPKlPlEEbT_T0_T1_T2_jjjjRNS3_12storage_typeE.private_seg_size, 0
	.set .L_ZN7rocprim17ROCPRIM_400000_NS6detail40segmented_radix_sort_single_block_helperIslLj256ELj8ELb1EE4sortIPKsPsPKlPlEEbT_T0_T1_T2_jjjjRNS3_12storage_typeE.uses_vcc, 1
	.set .L_ZN7rocprim17ROCPRIM_400000_NS6detail40segmented_radix_sort_single_block_helperIslLj256ELj8ELb1EE4sortIPKsPsPKlPlEEbT_T0_T1_T2_jjjjRNS3_12storage_typeE.uses_flat_scratch, 0
	.set .L_ZN7rocprim17ROCPRIM_400000_NS6detail40segmented_radix_sort_single_block_helperIslLj256ELj8ELb1EE4sortIPKsPsPKlPlEEbT_T0_T1_T2_jjjjRNS3_12storage_typeE.has_dyn_sized_stack, 0
	.set .L_ZN7rocprim17ROCPRIM_400000_NS6detail40segmented_radix_sort_single_block_helperIslLj256ELj8ELb1EE4sortIPKsPsPKlPlEEbT_T0_T1_T2_jjjjRNS3_12storage_typeE.has_recursion, 0
	.set .L_ZN7rocprim17ROCPRIM_400000_NS6detail40segmented_radix_sort_single_block_helperIslLj256ELj8ELb1EE4sortIPKsPsPKlPlEEbT_T0_T1_T2_jjjjRNS3_12storage_typeE.has_indirect_call, 0
	.section	.AMDGPU.csdata,"",@progbits
; Function info:
; codeLenInByte = 18064
; TotalNumSgprs: 34
; NumVgprs: 198
; ScratchSize: 0
; MemoryBound: 1
	.section	.text._ZN7rocprim17ROCPRIM_400000_NS6detail17trampoline_kernelINS0_14default_configENS1_36segmented_radix_sort_config_selectorIslEEZNS1_25segmented_radix_sort_implIS3_Lb1EPKsPsPKlPlN2at6native12_GLOBAL__N_18offset_tEEE10hipError_tPvRmT1_PNSt15iterator_traitsISK_E10value_typeET2_T3_PNSL_ISQ_E10value_typeET4_jRbjT5_SW_jjP12ihipStream_tbEUlT_E_NS1_11comp_targetILNS1_3genE10ELNS1_11target_archE1201ELNS1_3gpuE5ELNS1_3repE0EEENS1_30default_config_static_selectorELNS0_4arch9wavefront6targetE0EEEvSK_,"axG",@progbits,_ZN7rocprim17ROCPRIM_400000_NS6detail17trampoline_kernelINS0_14default_configENS1_36segmented_radix_sort_config_selectorIslEEZNS1_25segmented_radix_sort_implIS3_Lb1EPKsPsPKlPlN2at6native12_GLOBAL__N_18offset_tEEE10hipError_tPvRmT1_PNSt15iterator_traitsISK_E10value_typeET2_T3_PNSL_ISQ_E10value_typeET4_jRbjT5_SW_jjP12ihipStream_tbEUlT_E_NS1_11comp_targetILNS1_3genE10ELNS1_11target_archE1201ELNS1_3gpuE5ELNS1_3repE0EEENS1_30default_config_static_selectorELNS0_4arch9wavefront6targetE0EEEvSK_,comdat
	.globl	_ZN7rocprim17ROCPRIM_400000_NS6detail17trampoline_kernelINS0_14default_configENS1_36segmented_radix_sort_config_selectorIslEEZNS1_25segmented_radix_sort_implIS3_Lb1EPKsPsPKlPlN2at6native12_GLOBAL__N_18offset_tEEE10hipError_tPvRmT1_PNSt15iterator_traitsISK_E10value_typeET2_T3_PNSL_ISQ_E10value_typeET4_jRbjT5_SW_jjP12ihipStream_tbEUlT_E_NS1_11comp_targetILNS1_3genE10ELNS1_11target_archE1201ELNS1_3gpuE5ELNS1_3repE0EEENS1_30default_config_static_selectorELNS0_4arch9wavefront6targetE0EEEvSK_ ; -- Begin function _ZN7rocprim17ROCPRIM_400000_NS6detail17trampoline_kernelINS0_14default_configENS1_36segmented_radix_sort_config_selectorIslEEZNS1_25segmented_radix_sort_implIS3_Lb1EPKsPsPKlPlN2at6native12_GLOBAL__N_18offset_tEEE10hipError_tPvRmT1_PNSt15iterator_traitsISK_E10value_typeET2_T3_PNSL_ISQ_E10value_typeET4_jRbjT5_SW_jjP12ihipStream_tbEUlT_E_NS1_11comp_targetILNS1_3genE10ELNS1_11target_archE1201ELNS1_3gpuE5ELNS1_3repE0EEENS1_30default_config_static_selectorELNS0_4arch9wavefront6targetE0EEEvSK_
	.p2align	8
	.type	_ZN7rocprim17ROCPRIM_400000_NS6detail17trampoline_kernelINS0_14default_configENS1_36segmented_radix_sort_config_selectorIslEEZNS1_25segmented_radix_sort_implIS3_Lb1EPKsPsPKlPlN2at6native12_GLOBAL__N_18offset_tEEE10hipError_tPvRmT1_PNSt15iterator_traitsISK_E10value_typeET2_T3_PNSL_ISQ_E10value_typeET4_jRbjT5_SW_jjP12ihipStream_tbEUlT_E_NS1_11comp_targetILNS1_3genE10ELNS1_11target_archE1201ELNS1_3gpuE5ELNS1_3repE0EEENS1_30default_config_static_selectorELNS0_4arch9wavefront6targetE0EEEvSK_,@function
_ZN7rocprim17ROCPRIM_400000_NS6detail17trampoline_kernelINS0_14default_configENS1_36segmented_radix_sort_config_selectorIslEEZNS1_25segmented_radix_sort_implIS3_Lb1EPKsPsPKlPlN2at6native12_GLOBAL__N_18offset_tEEE10hipError_tPvRmT1_PNSt15iterator_traitsISK_E10value_typeET2_T3_PNSL_ISQ_E10value_typeET4_jRbjT5_SW_jjP12ihipStream_tbEUlT_E_NS1_11comp_targetILNS1_3genE10ELNS1_11target_archE1201ELNS1_3gpuE5ELNS1_3repE0EEENS1_30default_config_static_selectorELNS0_4arch9wavefront6targetE0EEEvSK_: ; @_ZN7rocprim17ROCPRIM_400000_NS6detail17trampoline_kernelINS0_14default_configENS1_36segmented_radix_sort_config_selectorIslEEZNS1_25segmented_radix_sort_implIS3_Lb1EPKsPsPKlPlN2at6native12_GLOBAL__N_18offset_tEEE10hipError_tPvRmT1_PNSt15iterator_traitsISK_E10value_typeET2_T3_PNSL_ISQ_E10value_typeET4_jRbjT5_SW_jjP12ihipStream_tbEUlT_E_NS1_11comp_targetILNS1_3genE10ELNS1_11target_archE1201ELNS1_3gpuE5ELNS1_3repE0EEENS1_30default_config_static_selectorELNS0_4arch9wavefront6targetE0EEEvSK_
; %bb.0:
	s_clause 0x1
	s_load_b64 s[8:9], s[0:1], 0x38
	s_load_b128 s[4:7], s[0:1], 0x40
	s_mov_b32 s2, ttmp9
	s_mov_b32 s3, 0
	s_mov_b32 s32, 0
	s_lshl_b64 s[2:3], s[2:3], 2
	s_wait_kmcnt 0x0
	s_add_nc_u64 s[2:3], s[8:9], s[2:3]
	s_load_b32 s2, s[2:3], 0x0
	s_wait_kmcnt 0x0
	s_add_co_i32 s33, s2, s5
	s_add_co_i32 s34, s2, s7
	s_mul_i32 s33, s33, s4
	s_mul_i32 s34, s34, s6
	s_delay_alu instid0(SALU_CYCLE_1)
	s_cmp_le_u32 s34, s33
	s_cbranch_scc1 .LBB917_670
; %bb.1:
	s_clause 0x3
	s_load_b32 s2, s[0:1], 0x30
	s_load_b128 s[24:27], s[0:1], 0x20
	s_load_b96 s[44:46], s[0:1], 0x50
	s_load_b256 s[36:43], s[0:1], 0x0
	s_wait_kmcnt 0x0
	s_bitcmp1_b32 s2, 0
	s_mov_b32 s2, -1
	s_cselect_b32 s35, -1, 0
	s_sub_co_i32 s47, s34, s33
	s_delay_alu instid0(SALU_CYCLE_1)
	s_cmp_lt_u32 s47, 0x801
	s_cbranch_scc0 .LBB917_7
; %bb.2:
	v_cndmask_b32_e64 v1, 0, 1, s35
	s_and_b32 s2, s44, 1
	s_delay_alu instid0(VALU_DEP_1) | instid1(SALU_CYCLE_1)
	v_cmp_ne_u32_e32 vcc_lo, s2, v1
	s_mov_b32 s2, -1
	s_cbranch_vccnz .LBB917_4
; %bb.3:
	s_mov_b64 s[2:3], src_shared_base
	v_dual_mov_b32 v31, v0 :: v_dual_mov_b32 v40, v0
	v_dual_mov_b32 v0, s36 :: v_dual_mov_b32 v1, s37
	;; [unrolled: 1-line block ×7, first 2 shown]
	s_wait_alu 0xfffe
	v_dual_mov_b32 v12, 0 :: v_dual_mov_b32 v13, s3
	s_add_nc_u64 s[8:9], s[0:1], 0x60
	s_getpc_b64 s[4:5]
	s_sext_i32_i16 s5, s5
	s_add_co_u32 s4, s4, _ZN7rocprim17ROCPRIM_400000_NS6detail40segmented_radix_sort_single_block_helperIslLj256ELj8ELb1EE4sortIPKsPsPKlPlEEbT_T0_T1_T2_jjjjRNS3_12storage_typeE@rel32@lo+8
	s_add_co_ci_u32 s5, s5, _ZN7rocprim17ROCPRIM_400000_NS6detail40segmented_radix_sort_single_block_helperIslLj256ELj8ELb1EE4sortIPKsPsPKlPlEEbT_T0_T1_T2_jjjjRNS3_12storage_typeE@rel32@hi+16
	s_mov_b64 s[22:23], s[0:1]
	s_swappc_b64 s[30:31], s[4:5]
	v_mov_b32_e32 v0, v40
	s_mov_b64 s[0:1], s[22:23]
	s_mov_b32 s2, 0
.LBB917_4:
	s_wait_alu 0xfffe
	s_and_not1_b32 vcc_lo, exec_lo, s2
	s_wait_alu 0xfffe
	s_cbranch_vccnz .LBB917_6
; %bb.5:
	s_mov_b64 s[2:3], src_shared_base
	v_dual_mov_b32 v31, v0 :: v_dual_mov_b32 v40, v0
	v_dual_mov_b32 v0, s36 :: v_dual_mov_b32 v1, s37
	;; [unrolled: 1-line block ×7, first 2 shown]
	s_wait_alu 0xfffe
	v_dual_mov_b32 v12, 0 :: v_dual_mov_b32 v13, s3
	s_add_nc_u64 s[8:9], s[0:1], 0x60
	s_getpc_b64 s[4:5]
	s_wait_alu 0xfffe
	s_sext_i32_i16 s5, s5
	s_add_co_u32 s4, s4, _ZN7rocprim17ROCPRIM_400000_NS6detail40segmented_radix_sort_single_block_helperIslLj256ELj8ELb1EE4sortIPKsPsPKlPlEEbT_T0_T1_T2_jjjjRNS3_12storage_typeE@rel32@lo+12
	s_wait_alu 0xfffe
	s_add_co_ci_u32 s5, s5, _ZN7rocprim17ROCPRIM_400000_NS6detail40segmented_radix_sort_single_block_helperIslLj256ELj8ELb1EE4sortIPKsPsPKlPlEEbT_T0_T1_T2_jjjjRNS3_12storage_typeE@rel32@hi+24
	s_mov_b64 s[22:23], s[0:1]
	s_wait_alu 0xfffe
	s_swappc_b64 s[30:31], s[4:5]
	v_mov_b32_e32 v0, v40
	s_mov_b64 s[0:1], s[22:23]
.LBB917_6:
	s_mov_b32 s2, 0
.LBB917_7:
	s_wait_alu 0xfffe
	s_and_not1_b32 vcc_lo, exec_lo, s2
	s_wait_alu 0xfffe
	s_cbranch_vccnz .LBB917_670
; %bb.8:
	s_cmp_ge_u32 s45, s46
	s_cbranch_scc1 .LBB917_670
; %bb.9:
	v_and_b32_e32 v13, 0x3ff, v0
	v_dual_mov_b32 v1, 0 :: v_dual_and_b32 v2, 3, v0
	v_lshrrev_b32_e32 v4, 3, v0
	v_bfe_u32 v45, v0, 20, 10
	s_delay_alu instid0(VALU_DEP_4) | instskip(NEXT) | instid1(VALU_DEP_4)
	v_dual_mov_b32 v63, 1 :: v_dual_lshlrev_b32 v28, 2, v13
	v_lshlrev_b32_e32 v39, 2, v2
	v_lshlrev_b32_e32 v2, 3, v13
	v_and_b32_e32 v38, 28, v4
	s_delay_alu instid0(VALU_DEP_4)
	v_mad_u32_u24 v40, v13, 12, v28
	v_lshlrev_b32_e32 v4, 5, v13
	v_or_b32_e32 v5, 31, v13
	v_and_b32_e32 v2, 0x700, v2
	v_bfe_u32 v46, v0, 10, 10
	v_mad_u32_u24 v43, v13, 20, v40
	v_lshlrev_b32_e32 v3, 1, v13
	v_cmp_eq_u32_e64 s3, v13, v5
	v_lshlrev_b32_e32 v0, 3, v2
	v_mbcnt_lo_u32_b32 v60, -1, 0
	v_sub_nc_u32_e32 v47, v43, v4
	v_lshlrev_b32_e32 v4, 1, v2
	v_or_b32_e32 v29, 0x100, v13
	v_add_co_u32 v5, s8, s26, v0
	s_wait_alu 0xf1ff
	v_add_co_ci_u32_e64 v6, null, s27, 0, s8
	v_add_co_u32 v7, s8, s40, v4
	s_wait_alu 0xf1ff
	v_add_co_ci_u32_e64 v8, null, s41, 0, s8
	;; [unrolled: 3-line block ×3, first 2 shown]
	v_add_co_u32 v52, s8, s24, v0
	v_lshlrev_b32_e32 v70, 3, v60
	s_wait_alu 0xf1ff
	v_add_co_ci_u32_e64 v53, null, s25, 0, s8
	v_add_co_u32 v54, s8, s38, v4
	v_lshlrev_b32_e32 v78, 1, v60
	s_wait_alu 0xf1ff
	v_add_co_ci_u32_e64 v55, null, s39, 0, s8
	v_add_co_u32 v56, s8, s36, v3
	v_or_b32_e32 v67, v60, v2
	s_wait_alu 0xf1ff
	v_add_co_ci_u32_e64 v57, null, s37, 0, s8
	v_add_co_u32 v58, s8, s42, v0
	v_add_co_u32 v80, vcc_lo, v5, v70
	s_wait_alu 0xf1ff
	v_add_co_ci_u32_e64 v59, null, s43, 0, s8
	v_add_co_u32 v61, s8, s36, v4
	s_wait_alu 0xfffd
	v_add_co_ci_u32_e64 v81, null, 0, v6, vcc_lo
	v_add_co_u32 v82, vcc_lo, v7, v78
	v_mov_b32_e32 v4, 0x80008000
	v_add_co_u32 v32, s2, s40, v3
	v_or_b32_e32 v30, 0x200, v13
	v_or_b32_e32 v31, 0x300, v13
	s_wait_alu 0xf1ff
	v_add_co_ci_u32_e64 v33, null, s41, 0, s2
	v_or_b32_e32 v34, 0x400, v13
	v_or_b32_e32 v35, 0x500, v13
	;; [unrolled: 1-line block ×4, first 2 shown]
	v_cmp_gt_u32_e64 s2, 0x100, v13
	v_or_b32_e32 v41, 0x4400, v38
	v_cmp_gt_u32_e64 s4, 8, v13
	v_add_nc_u32_e32 v42, 0x4400, v28
	v_cmp_lt_u32_e64 s5, 31, v13
	v_add_nc_u32_e32 v44, 0x43fc, v38
	v_cmp_eq_u32_e64 s6, 0, v13
	v_cmp_ne_u32_e64 s7, 0xff, v13
	v_sub_nc_u32_e32 v48, v47, v3
	v_mul_u32_u24_e32 v49, 6, v13
	v_add_co_ci_u32_e64 v62, null, s37, 0, s8
	v_and_b32_e32 v64, 15, v60
	v_bfe_i32 v65, v60, 4, 1
	v_and_b32_e32 v66, 16, v60
	v_and_b32_e32 v68, 7, v60
	v_sub_co_u32 v69, s8, v60, 1
	v_or_b32_e32 v71, 32, v67
	v_or_b32_e32 v72, 64, v67
	;; [unrolled: 1-line block ×7, first 2 shown]
	v_lshlrev_b32_e32 v79, 1, v13
	s_wait_alu 0xfffd
	v_add_co_ci_u32_e64 v83, null, 0, v8, vcc_lo
	s_add_nc_u64 s[28:29], s[0:1], 0x60
	s_mov_b32 s31, 0
	s_mov_b32 s23, s45
	s_branch .LBB917_12
.LBB917_10:                             ;   in Loop: Header=BB917_12 Depth=1
	s_wait_loadcnt_dscnt 0x0
	s_barrier_signal -1
	s_barrier_wait -1
.LBB917_11:                             ;   in Loop: Header=BB917_12 Depth=1
	s_add_co_i32 s23, s23, 8
	global_inv scope:SCOPE_SE
	s_wait_alu 0xfffe
	s_cmp_ge_u32 s23, s46
	s_cbranch_scc1 .LBB917_670
.LBB917_12:                             ; =>This Loop Header: Depth=1
                                        ;     Child Loop BB917_16 Depth 2
                                        ;     Child Loop BB917_64 Depth 2
	;; [unrolled: 1-line block ×8, first 2 shown]
	s_wait_alu 0xfffe
	s_sub_co_i32 s0, s46, s23
	s_xor_b32 s35, s35, -1
	s_wait_alu 0xfffe
	s_min_u32 s0, s0, 8
	ds_store_2addr_stride64_b32 v28, v1, v1 offset1:4
	s_wait_alu 0xfffe
	s_lshl_b32 s0, -1, s0
	ds_store_2addr_stride64_b32 v28, v1, v1 offset0:8 offset1:12
	s_wait_alu 0xfffe
	s_not_b32 s42, s0
	s_cmp_lg_u32 s23, s45
	s_mov_b32 s0, -1
	s_wait_storecnt_dscnt 0x0
	s_cbranch_scc0 .LBB917_342
; %bb.13:                               ;   in Loop: Header=BB917_12 Depth=1
	s_and_b32 vcc_lo, exec_lo, s35
	s_wait_alu 0xfffe
	s_cbranch_vccz .LBB917_177
; %bb.14:                               ;   in Loop: Header=BB917_12 Depth=1
	v_dual_mov_b32 v0, v1 :: v_dual_mov_b32 v3, v1
	v_mov_b32_e32 v2, v1
	s_mov_b32 s9, s47
	s_mov_b32 s30, s33
	s_barrier_signal -1
	s_delay_alu instid0(VALU_DEP_1)
	v_dual_mov_b32 v8, v3 :: v_dual_mov_b32 v7, v2
	v_dual_mov_b32 v6, v1 :: v_dual_mov_b32 v5, v0
	s_barrier_wait -1
	global_inv scope:SCOPE_SE
	s_branch .LBB917_16
.LBB917_15:                             ;   in Loop: Header=BB917_16 Depth=2
	s_wait_alu 0xfffe
	s_or_b32 exec_lo, exec_lo, s0
	s_addk_co_i32 s9, 0xf800
	s_cmp_ge_u32 s10, s34
	s_mov_b32 s30, s10
	s_cbranch_scc1 .LBB917_52
.LBB917_16:                             ;   Parent Loop BB917_12 Depth=1
                                        ; =>  This Inner Loop Header: Depth=2
	s_wait_alu 0xfffe
	s_add_co_i32 s10, s30, 0x800
	s_mov_b32 s0, -1
	s_wait_alu 0xfffe
	s_cmp_gt_u32 s10, s34
                                        ; implicit-def: $vgpr9_vgpr10_vgpr11_vgpr12
	s_cbranch_scc1 .LBB917_18
; %bb.17:                               ;   in Loop: Header=BB917_16 Depth=2
	s_lshl_b64 s[0:1], s[30:31], 1
	s_wait_alu 0xfffe
	v_add_co_u32 v2, vcc_lo, v32, s0
	s_wait_alu 0xfffd
	v_add_co_ci_u32_e64 v3, null, s1, v33, vcc_lo
	s_mov_b32 s0, 0
	s_clause 0x3
	global_load_u16 v9, v[2:3], off
	global_load_u16 v10, v[2:3], off offset:1024
	global_load_u16 v11, v[2:3], off offset:2048
	;; [unrolled: 1-line block ×3, first 2 shown]
	s_wait_loadcnt 0x3
	global_load_d16_hi_b16 v9, v[2:3], off offset:512
	s_wait_loadcnt 0x3
	global_load_d16_hi_b16 v10, v[2:3], off offset:1536
	;; [unrolled: 2-line block ×4, first 2 shown]
.LBB917_18:                             ;   in Loop: Header=BB917_16 Depth=2
	s_wait_alu 0xfffe
	s_and_not1_b32 vcc_lo, exec_lo, s0
	s_movk_i32 s0, 0x800
	s_wait_alu 0xfffe
	s_cbranch_vccnz .LBB917_29
; %bb.19:                               ;   in Loop: Header=BB917_16 Depth=2
	s_lshl_b64 s[0:1], s[30:31], 1
	s_mov_b32 s11, exec_lo
	s_wait_alu 0xfffe
	s_add_nc_u64 s[0:1], s[40:41], s[0:1]
	v_cmpx_gt_u32_e64 s9, v13
	s_cbranch_execnz .LBB917_45
; %bb.20:                               ;   in Loop: Header=BB917_16 Depth=2
	s_or_b32 exec_lo, exec_lo, s11
	s_delay_alu instid0(SALU_CYCLE_1)
	s_mov_b32 s11, exec_lo
	v_cmpx_gt_u32_e64 s9, v29
	s_cbranch_execnz .LBB917_46
.LBB917_21:                             ;   in Loop: Header=BB917_16 Depth=2
	s_wait_alu 0xfffe
	s_or_b32 exec_lo, exec_lo, s11
	s_delay_alu instid0(SALU_CYCLE_1)
	s_mov_b32 s11, exec_lo
	v_cmpx_gt_u32_e64 s9, v30
	s_cbranch_execnz .LBB917_47
.LBB917_22:                             ;   in Loop: Header=BB917_16 Depth=2
	s_wait_alu 0xfffe
	s_or_b32 exec_lo, exec_lo, s11
	s_delay_alu instid0(SALU_CYCLE_1)
	s_mov_b32 s11, exec_lo
	v_cmpx_gt_u32_e64 s9, v31
	s_cbranch_execnz .LBB917_48
.LBB917_23:                             ;   in Loop: Header=BB917_16 Depth=2
	s_wait_alu 0xfffe
	s_or_b32 exec_lo, exec_lo, s11
	s_delay_alu instid0(SALU_CYCLE_1)
	s_mov_b32 s11, exec_lo
	v_cmpx_gt_u32_e64 s9, v34
	s_cbranch_execnz .LBB917_49
.LBB917_24:                             ;   in Loop: Header=BB917_16 Depth=2
	s_wait_alu 0xfffe
	s_or_b32 exec_lo, exec_lo, s11
	s_delay_alu instid0(SALU_CYCLE_1)
	s_mov_b32 s11, exec_lo
	v_cmpx_gt_u32_e64 s9, v35
	s_cbranch_execnz .LBB917_50
.LBB917_25:                             ;   in Loop: Header=BB917_16 Depth=2
	s_wait_alu 0xfffe
	s_or_b32 exec_lo, exec_lo, s11
	s_delay_alu instid0(SALU_CYCLE_1)
	s_mov_b32 s11, exec_lo
	v_cmpx_gt_u32_e64 s9, v36
	s_cbranch_execnz .LBB917_51
.LBB917_26:                             ;   in Loop: Header=BB917_16 Depth=2
	s_wait_alu 0xfffe
	s_or_b32 exec_lo, exec_lo, s11
	s_delay_alu instid0(SALU_CYCLE_1)
	s_mov_b32 s11, exec_lo
	v_cmpx_gt_u32_e64 s9, v37
	s_cbranch_execz .LBB917_28
.LBB917_27:                             ;   in Loop: Header=BB917_16 Depth=2
	s_wait_loadcnt 0x0
	global_load_d16_hi_b16 v8, v79, s[0:1] offset:3584
.LBB917_28:                             ;   in Loop: Header=BB917_16 Depth=2
	s_wait_alu 0xfffe
	s_or_b32 exec_lo, exec_lo, s11
	s_wait_loadcnt 0x0
	v_dual_mov_b32 v12, v8 :: v_dual_mov_b32 v11, v7
	v_dual_mov_b32 v10, v6 :: v_dual_mov_b32 v9, v5
	s_mov_b32 s0, s9
.LBB917_29:                             ;   in Loop: Header=BB917_16 Depth=2
	s_wait_loadcnt 0x0
	s_delay_alu instid0(VALU_DEP_1)
	v_dual_mov_b32 v5, v9 :: v_dual_mov_b32 v6, v10
	v_dual_mov_b32 v7, v11 :: v_dual_mov_b32 v8, v12
	s_mov_b32 s1, exec_lo
	s_wait_alu 0xfffe
	v_cmpx_gt_u32_e64 s0, v13
	s_cbranch_execnz .LBB917_37
; %bb.30:                               ;   in Loop: Header=BB917_16 Depth=2
	s_or_b32 exec_lo, exec_lo, s1
	s_delay_alu instid0(SALU_CYCLE_1)
	s_mov_b32 s1, exec_lo
	v_cmpx_gt_u32_e64 s0, v29
	s_cbranch_execnz .LBB917_38
.LBB917_31:                             ;   in Loop: Header=BB917_16 Depth=2
	s_wait_alu 0xfffe
	s_or_b32 exec_lo, exec_lo, s1
	s_delay_alu instid0(SALU_CYCLE_1)
	s_mov_b32 s1, exec_lo
	v_cmpx_gt_u32_e64 s0, v30
	s_cbranch_execnz .LBB917_39
.LBB917_32:                             ;   in Loop: Header=BB917_16 Depth=2
	s_wait_alu 0xfffe
	s_or_b32 exec_lo, exec_lo, s1
	s_delay_alu instid0(SALU_CYCLE_1)
	s_mov_b32 s1, exec_lo
	v_cmpx_gt_u32_e64 s0, v31
	s_cbranch_execnz .LBB917_40
.LBB917_33:                             ;   in Loop: Header=BB917_16 Depth=2
	s_wait_alu 0xfffe
	s_or_b32 exec_lo, exec_lo, s1
	s_delay_alu instid0(SALU_CYCLE_1)
	s_mov_b32 s1, exec_lo
	v_cmpx_gt_u32_e64 s0, v34
	s_cbranch_execnz .LBB917_41
.LBB917_34:                             ;   in Loop: Header=BB917_16 Depth=2
	s_wait_alu 0xfffe
	s_or_b32 exec_lo, exec_lo, s1
	s_delay_alu instid0(SALU_CYCLE_1)
	s_mov_b32 s1, exec_lo
	v_cmpx_gt_u32_e64 s0, v35
	s_cbranch_execnz .LBB917_42
.LBB917_35:                             ;   in Loop: Header=BB917_16 Depth=2
	s_wait_alu 0xfffe
	s_or_b32 exec_lo, exec_lo, s1
	s_delay_alu instid0(SALU_CYCLE_1)
	s_mov_b32 s1, exec_lo
	v_cmpx_gt_u32_e64 s0, v36
	s_cbranch_execnz .LBB917_43
.LBB917_36:                             ;   in Loop: Header=BB917_16 Depth=2
	s_wait_alu 0xfffe
	s_or_b32 exec_lo, exec_lo, s1
	v_cmp_gt_u32_e32 vcc_lo, s0, v37
	s_and_saveexec_b32 s0, vcc_lo
	s_cbranch_execz .LBB917_15
	s_branch .LBB917_44
.LBB917_37:                             ;   in Loop: Header=BB917_16 Depth=2
	v_xor_b32_e32 v0, 0x7fff, v5
	s_delay_alu instid0(VALU_DEP_1) | instskip(NEXT) | instid1(VALU_DEP_1)
	v_and_b32_e32 v0, 0xffff, v0
	v_lshrrev_b32_e32 v0, s23, v0
	s_delay_alu instid0(VALU_DEP_1) | instskip(NEXT) | instid1(VALU_DEP_1)
	v_and_b32_e32 v0, s42, v0
	v_lshl_or_b32 v0, v0, 4, v39
	ds_add_u32 v0, v63
	s_or_b32 exec_lo, exec_lo, s1
	s_delay_alu instid0(SALU_CYCLE_1)
	s_mov_b32 s1, exec_lo
	v_cmpx_gt_u32_e64 s0, v29
	s_cbranch_execz .LBB917_31
.LBB917_38:                             ;   in Loop: Header=BB917_16 Depth=2
	v_lshrrev_b32_e32 v0, 16, v5
	s_delay_alu instid0(VALU_DEP_1) | instskip(NEXT) | instid1(VALU_DEP_1)
	v_xor_b32_e32 v0, 0x7fff, v0
	v_and_b32_e32 v0, 0xffff, v0
	s_delay_alu instid0(VALU_DEP_1) | instskip(NEXT) | instid1(VALU_DEP_1)
	v_lshrrev_b32_e32 v0, s23, v0
	v_and_b32_e32 v0, s42, v0
	s_delay_alu instid0(VALU_DEP_1) | instskip(SKIP_3) | instid1(SALU_CYCLE_1)
	v_lshl_or_b32 v0, v0, 4, v39
	ds_add_u32 v0, v63
	s_wait_alu 0xfffe
	s_or_b32 exec_lo, exec_lo, s1
	s_mov_b32 s1, exec_lo
	v_cmpx_gt_u32_e64 s0, v30
	s_cbranch_execz .LBB917_32
.LBB917_39:                             ;   in Loop: Header=BB917_16 Depth=2
	v_xor_b32_e32 v0, 0x7fff, v6
	s_delay_alu instid0(VALU_DEP_1) | instskip(NEXT) | instid1(VALU_DEP_1)
	v_and_b32_e32 v0, 0xffff, v0
	v_lshrrev_b32_e32 v0, s23, v0
	s_delay_alu instid0(VALU_DEP_1) | instskip(NEXT) | instid1(VALU_DEP_1)
	v_and_b32_e32 v0, s42, v0
	v_lshl_or_b32 v0, v0, 4, v39
	ds_add_u32 v0, v63
	s_wait_alu 0xfffe
	s_or_b32 exec_lo, exec_lo, s1
	s_delay_alu instid0(SALU_CYCLE_1)
	s_mov_b32 s1, exec_lo
	v_cmpx_gt_u32_e64 s0, v31
	s_cbranch_execz .LBB917_33
.LBB917_40:                             ;   in Loop: Header=BB917_16 Depth=2
	v_lshrrev_b32_e32 v0, 16, v6
	s_delay_alu instid0(VALU_DEP_1) | instskip(NEXT) | instid1(VALU_DEP_1)
	v_xor_b32_e32 v0, 0x7fff, v0
	v_and_b32_e32 v0, 0xffff, v0
	s_delay_alu instid0(VALU_DEP_1) | instskip(NEXT) | instid1(VALU_DEP_1)
	v_lshrrev_b32_e32 v0, s23, v0
	v_and_b32_e32 v0, s42, v0
	s_delay_alu instid0(VALU_DEP_1) | instskip(SKIP_3) | instid1(SALU_CYCLE_1)
	v_lshl_or_b32 v0, v0, 4, v39
	ds_add_u32 v0, v63
	s_wait_alu 0xfffe
	s_or_b32 exec_lo, exec_lo, s1
	s_mov_b32 s1, exec_lo
	v_cmpx_gt_u32_e64 s0, v34
	s_cbranch_execz .LBB917_34
.LBB917_41:                             ;   in Loop: Header=BB917_16 Depth=2
	v_xor_b32_e32 v0, 0x7fff, v7
	s_delay_alu instid0(VALU_DEP_1) | instskip(NEXT) | instid1(VALU_DEP_1)
	v_and_b32_e32 v0, 0xffff, v0
	v_lshrrev_b32_e32 v0, s23, v0
	s_delay_alu instid0(VALU_DEP_1) | instskip(NEXT) | instid1(VALU_DEP_1)
	v_and_b32_e32 v0, s42, v0
	v_lshl_or_b32 v0, v0, 4, v39
	ds_add_u32 v0, v63
	s_wait_alu 0xfffe
	s_or_b32 exec_lo, exec_lo, s1
	s_delay_alu instid0(SALU_CYCLE_1)
	s_mov_b32 s1, exec_lo
	v_cmpx_gt_u32_e64 s0, v35
	s_cbranch_execz .LBB917_35
.LBB917_42:                             ;   in Loop: Header=BB917_16 Depth=2
	v_lshrrev_b32_e32 v0, 16, v7
	s_delay_alu instid0(VALU_DEP_1) | instskip(NEXT) | instid1(VALU_DEP_1)
	v_xor_b32_e32 v0, 0x7fff, v0
	v_and_b32_e32 v0, 0xffff, v0
	s_delay_alu instid0(VALU_DEP_1) | instskip(NEXT) | instid1(VALU_DEP_1)
	v_lshrrev_b32_e32 v0, s23, v0
	v_and_b32_e32 v0, s42, v0
	s_delay_alu instid0(VALU_DEP_1) | instskip(SKIP_3) | instid1(SALU_CYCLE_1)
	v_lshl_or_b32 v0, v0, 4, v39
	ds_add_u32 v0, v63
	s_wait_alu 0xfffe
	s_or_b32 exec_lo, exec_lo, s1
	s_mov_b32 s1, exec_lo
	v_cmpx_gt_u32_e64 s0, v36
	s_cbranch_execz .LBB917_36
.LBB917_43:                             ;   in Loop: Header=BB917_16 Depth=2
	v_xor_b32_e32 v0, 0x7fff, v8
	s_delay_alu instid0(VALU_DEP_1) | instskip(NEXT) | instid1(VALU_DEP_1)
	v_and_b32_e32 v0, 0xffff, v0
	v_lshrrev_b32_e32 v0, s23, v0
	s_delay_alu instid0(VALU_DEP_1) | instskip(NEXT) | instid1(VALU_DEP_1)
	v_and_b32_e32 v0, s42, v0
	v_lshl_or_b32 v0, v0, 4, v39
	ds_add_u32 v0, v63
	s_wait_alu 0xfffe
	s_or_b32 exec_lo, exec_lo, s1
	v_cmp_gt_u32_e32 vcc_lo, s0, v37
	s_and_saveexec_b32 s0, vcc_lo
	s_cbranch_execz .LBB917_15
.LBB917_44:                             ;   in Loop: Header=BB917_16 Depth=2
	v_lshrrev_b32_e32 v0, 16, v8
	s_delay_alu instid0(VALU_DEP_1) | instskip(NEXT) | instid1(VALU_DEP_1)
	v_xor_b32_e32 v0, 0x7fff, v0
	v_and_b32_e32 v0, 0xffff, v0
	s_delay_alu instid0(VALU_DEP_1) | instskip(NEXT) | instid1(VALU_DEP_1)
	v_lshrrev_b32_e32 v0, s23, v0
	v_and_b32_e32 v0, s42, v0
	s_delay_alu instid0(VALU_DEP_1)
	v_lshl_or_b32 v0, v0, 4, v39
	ds_add_u32 v0, v63
	s_branch .LBB917_15
.LBB917_45:                             ;   in Loop: Header=BB917_16 Depth=2
	global_load_d16_b16 v5, v79, s[0:1]
	s_or_b32 exec_lo, exec_lo, s11
	s_delay_alu instid0(SALU_CYCLE_1)
	s_mov_b32 s11, exec_lo
	v_cmpx_gt_u32_e64 s9, v29
	s_cbranch_execz .LBB917_21
.LBB917_46:                             ;   in Loop: Header=BB917_16 Depth=2
	s_wait_loadcnt 0x0
	global_load_d16_hi_b16 v5, v79, s[0:1] offset:512
	s_wait_alu 0xfffe
	s_or_b32 exec_lo, exec_lo, s11
	s_delay_alu instid0(SALU_CYCLE_1)
	s_mov_b32 s11, exec_lo
	v_cmpx_gt_u32_e64 s9, v30
	s_cbranch_execz .LBB917_22
.LBB917_47:                             ;   in Loop: Header=BB917_16 Depth=2
	global_load_d16_b16 v6, v79, s[0:1] offset:1024
	s_wait_alu 0xfffe
	s_or_b32 exec_lo, exec_lo, s11
	s_delay_alu instid0(SALU_CYCLE_1)
	s_mov_b32 s11, exec_lo
	v_cmpx_gt_u32_e64 s9, v31
	s_cbranch_execz .LBB917_23
.LBB917_48:                             ;   in Loop: Header=BB917_16 Depth=2
	s_wait_loadcnt 0x0
	global_load_d16_hi_b16 v6, v79, s[0:1] offset:1536
	s_wait_alu 0xfffe
	s_or_b32 exec_lo, exec_lo, s11
	s_delay_alu instid0(SALU_CYCLE_1)
	s_mov_b32 s11, exec_lo
	v_cmpx_gt_u32_e64 s9, v34
	s_cbranch_execz .LBB917_24
.LBB917_49:                             ;   in Loop: Header=BB917_16 Depth=2
	global_load_d16_b16 v7, v79, s[0:1] offset:2048
	s_wait_alu 0xfffe
	s_or_b32 exec_lo, exec_lo, s11
	s_delay_alu instid0(SALU_CYCLE_1)
	s_mov_b32 s11, exec_lo
	v_cmpx_gt_u32_e64 s9, v35
	s_cbranch_execz .LBB917_25
.LBB917_50:                             ;   in Loop: Header=BB917_16 Depth=2
	s_wait_loadcnt 0x0
	global_load_d16_hi_b16 v7, v79, s[0:1] offset:2560
	s_wait_alu 0xfffe
	s_or_b32 exec_lo, exec_lo, s11
	s_delay_alu instid0(SALU_CYCLE_1)
	s_mov_b32 s11, exec_lo
	v_cmpx_gt_u32_e64 s9, v36
	s_cbranch_execz .LBB917_26
.LBB917_51:                             ;   in Loop: Header=BB917_16 Depth=2
	global_load_d16_b16 v8, v79, s[0:1] offset:3072
	s_wait_alu 0xfffe
	s_or_b32 exec_lo, exec_lo, s11
	s_delay_alu instid0(SALU_CYCLE_1)
	s_mov_b32 s11, exec_lo
	v_cmpx_gt_u32_e64 s9, v37
	s_cbranch_execnz .LBB917_27
	s_branch .LBB917_28
.LBB917_52:                             ;   in Loop: Header=BB917_12 Depth=1
	v_mov_b32_e32 v0, 0
	s_wait_dscnt 0x0
	s_barrier_signal -1
	s_barrier_wait -1
	global_inv scope:SCOPE_SE
	s_and_saveexec_b32 s0, s2
	s_cbranch_execz .LBB917_54
; %bb.53:                               ;   in Loop: Header=BB917_12 Depth=1
	ds_load_2addr_b64 v[5:8], v40 offset1:1
	s_wait_dscnt 0x0
	v_add_nc_u32_e32 v0, v6, v5
	s_delay_alu instid0(VALU_DEP_1)
	v_add3_u32 v0, v0, v7, v8
.LBB917_54:                             ;   in Loop: Header=BB917_12 Depth=1
	s_wait_alu 0xfffe
	s_or_b32 exec_lo, exec_lo, s0
	s_delay_alu instid0(VALU_DEP_1)
	v_mov_b32_dpp v2, v0 row_shr:1 row_mask:0xf bank_mask:0xf
	v_cmp_eq_u32_e64 s0, 0, v64
	v_cmp_lt_u32_e64 s1, 1, v64
	v_cmp_lt_u32_e64 s9, 3, v64
	;; [unrolled: 1-line block ×3, first 2 shown]
	v_cmp_eq_u32_e64 s11, 0, v66
	s_wait_alu 0xf1ff
	v_cndmask_b32_e64 v2, v2, 0, s0
	s_delay_alu instid0(VALU_DEP_1) | instskip(NEXT) | instid1(VALU_DEP_1)
	v_add_nc_u32_e32 v0, v2, v0
	v_mov_b32_dpp v2, v0 row_shr:2 row_mask:0xf bank_mask:0xf
	s_delay_alu instid0(VALU_DEP_1) | instskip(NEXT) | instid1(VALU_DEP_1)
	v_cndmask_b32_e64 v2, 0, v2, s1
	v_add_nc_u32_e32 v0, v0, v2
	s_delay_alu instid0(VALU_DEP_1) | instskip(NEXT) | instid1(VALU_DEP_1)
	v_mov_b32_dpp v2, v0 row_shr:4 row_mask:0xf bank_mask:0xf
	v_cndmask_b32_e64 v2, 0, v2, s9
	s_delay_alu instid0(VALU_DEP_1) | instskip(NEXT) | instid1(VALU_DEP_1)
	v_add_nc_u32_e32 v0, v0, v2
	v_mov_b32_dpp v2, v0 row_shr:8 row_mask:0xf bank_mask:0xf
	s_delay_alu instid0(VALU_DEP_1) | instskip(NEXT) | instid1(VALU_DEP_1)
	v_cndmask_b32_e64 v2, 0, v2, s10
	v_add_nc_u32_e32 v0, v0, v2
	ds_swizzle_b32 v2, v0 offset:swizzle(BROADCAST,32,15)
	s_wait_dscnt 0x0
	v_and_b32_e32 v2, v65, v2
	s_delay_alu instid0(VALU_DEP_1)
	v_add_nc_u32_e32 v0, v0, v2
	s_and_saveexec_b32 s12, s3
; %bb.55:                               ;   in Loop: Header=BB917_12 Depth=1
	ds_store_b32 v41, v0
; %bb.56:                               ;   in Loop: Header=BB917_12 Depth=1
	s_wait_alu 0xfffe
	s_or_b32 exec_lo, exec_lo, s12
	s_wait_loadcnt_dscnt 0x0
	s_barrier_signal -1
	s_barrier_wait -1
	global_inv scope:SCOPE_SE
	s_and_saveexec_b32 s12, s4
	s_cbranch_execz .LBB917_58
; %bb.57:                               ;   in Loop: Header=BB917_12 Depth=1
	ds_load_b32 v2, v42
	v_cmp_ne_u32_e32 vcc_lo, 0, v68
	s_wait_dscnt 0x0
	v_mov_b32_dpp v3, v2 row_shr:1 row_mask:0xf bank_mask:0xf
	s_wait_alu 0xfffd
	s_delay_alu instid0(VALU_DEP_1) | instskip(SKIP_1) | instid1(VALU_DEP_2)
	v_cndmask_b32_e32 v3, 0, v3, vcc_lo
	v_cmp_lt_u32_e32 vcc_lo, 1, v68
	v_add_nc_u32_e32 v2, v3, v2
	s_delay_alu instid0(VALU_DEP_1) | instskip(SKIP_1) | instid1(VALU_DEP_1)
	v_mov_b32_dpp v3, v2 row_shr:2 row_mask:0xf bank_mask:0xf
	s_wait_alu 0xfffd
	v_cndmask_b32_e32 v3, 0, v3, vcc_lo
	v_cmp_lt_u32_e32 vcc_lo, 3, v68
	s_delay_alu instid0(VALU_DEP_2) | instskip(NEXT) | instid1(VALU_DEP_1)
	v_add_nc_u32_e32 v2, v2, v3
	v_mov_b32_dpp v3, v2 row_shr:4 row_mask:0xf bank_mask:0xf
	s_wait_alu 0xfffd
	s_delay_alu instid0(VALU_DEP_1) | instskip(NEXT) | instid1(VALU_DEP_1)
	v_cndmask_b32_e32 v3, 0, v3, vcc_lo
	v_add_nc_u32_e32 v2, v2, v3
	ds_store_b32 v42, v2
.LBB917_58:                             ;   in Loop: Header=BB917_12 Depth=1
	s_wait_alu 0xfffe
	s_or_b32 exec_lo, exec_lo, s12
	v_mov_b32_e32 v2, 0
	s_wait_loadcnt_dscnt 0x0
	s_barrier_signal -1
	s_barrier_wait -1
	global_inv scope:SCOPE_SE
	s_and_saveexec_b32 s12, s5
; %bb.59:                               ;   in Loop: Header=BB917_12 Depth=1
	ds_load_b32 v2, v44
; %bb.60:                               ;   in Loop: Header=BB917_12 Depth=1
	s_wait_alu 0xfffe
	s_or_b32 exec_lo, exec_lo, s12
	v_cmp_gt_i32_e32 vcc_lo, 0, v69
	s_wait_dscnt 0x0
	v_add_nc_u32_e32 v0, v2, v0
	s_wait_loadcnt 0x0
	s_barrier_signal -1
	s_barrier_wait -1
	s_wait_alu 0xfffd
	v_cndmask_b32_e32 v3, v69, v60, vcc_lo
	global_inv scope:SCOPE_SE
	v_lshlrev_b32_e32 v84, 2, v3
	ds_bpermute_b32 v0, v84, v0
	s_and_saveexec_b32 s12, s2
	s_cbranch_execz .LBB917_62
; %bb.61:                               ;   in Loop: Header=BB917_12 Depth=1
	s_wait_dscnt 0x0
	v_cndmask_b32_e64 v0, v0, v2, s8
	s_delay_alu instid0(VALU_DEP_1)
	v_add_nc_u32_e32 v0, s33, v0
	ds_store_b32 v28, v0
.LBB917_62:                             ;   in Loop: Header=BB917_12 Depth=1
	s_wait_alu 0xfffe
	s_or_b32 exec_lo, exec_lo, s12
	s_clause 0x1
	s_load_b32 s12, s[28:29], 0x4
	s_load_b32 s14, s[28:29], 0xc
	s_mov_b32 s43, s47
                                        ; implicit-def: $vgpr9_vgpr10
                                        ; implicit-def: $vgpr11_vgpr12
                                        ; implicit-def: $vgpr16_vgpr17
                                        ; implicit-def: $vgpr18_vgpr19
                                        ; implicit-def: $vgpr20_vgpr21
                                        ; implicit-def: $vgpr22_vgpr23
                                        ; implicit-def: $vgpr86
                                        ; implicit-def: $vgpr87
                                        ; implicit-def: $vgpr88
                                        ; implicit-def: $vgpr89
                                        ; implicit-def: $vgpr90
                                        ; implicit-def: $vgpr91
                                        ; implicit-def: $vgpr92
                                        ; implicit-def: $vgpr93
	s_wait_kmcnt 0x0
	s_cmp_lt_u32 ttmp7, s12
	s_cselect_b32 s30, 14, 20
	s_wait_alu 0xfffe
	s_add_nc_u64 s[12:13], s[28:29], s[30:31]
	s_mov_b32 s30, s33
	s_load_u16 s12, s[12:13], 0x0
	v_cmp_lt_u32_e64 s13, 1, v68
	s_wait_dscnt 0x0
	s_wait_kmcnt 0x0
	v_mad_u32_u24 v0, v45, s12, v46
	s_and_b32 s12, s14, 0xffff
	v_cmp_lt_u32_e64 s14, 3, v68
	s_wait_alu 0xfffe
	s_delay_alu instid0(VALU_DEP_2) | instskip(SKIP_1) | instid1(VALU_DEP_2)
	v_mad_co_u64_u32 v[2:3], null, v0, s12, v[13:14]
	v_cmp_eq_u32_e64 s12, 0, v68
                                        ; implicit-def: $vgpr14_vgpr15
	v_lshrrev_b32_e32 v0, 3, v2
                                        ; implicit-def: $vgpr2_vgpr3
	s_delay_alu instid0(VALU_DEP_1)
	v_and_b32_e32 v85, 0x1ffffffc, v0
	s_branch .LBB917_64
.LBB917_63:                             ;   in Loop: Header=BB917_64 Depth=2
	s_wait_alu 0xfffe
	s_or_b32 exec_lo, exec_lo, s15
	s_addk_co_i32 s43, 0xf800
	s_cmp_lt_u32 s44, s34
	s_mov_b32 s30, s44
	s_cbranch_scc0 .LBB917_176
.LBB917_64:                             ;   Parent Loop BB917_12 Depth=1
                                        ; =>  This Inner Loop Header: Depth=2
	s_wait_alu 0xfffe
	s_add_co_i32 s44, s30, 0x800
	s_wait_alu 0xfffe
	s_cmp_gt_u32 s44, s34
	s_cbranch_scc1 .LBB917_66
; %bb.65:                               ;   in Loop: Header=BB917_64 Depth=2
	s_lshl_b64 s[16:17], s[30:31], 1
	s_mov_b32 s15, -1
	s_wait_alu 0xfffe
	v_add_co_u32 v24, vcc_lo, v82, s16
	s_wait_alu 0xfffd
	v_add_co_ci_u32_e64 v25, null, s17, v83, vcc_lo
	s_clause 0x3
	global_load_u16 v5, v[24:25], off
	global_load_u16 v6, v[24:25], off offset:128
	global_load_u16 v7, v[24:25], off offset:256
	global_load_d16_b16 v8, v[24:25], off offset:384
	s_wait_loadcnt 0x3
	global_load_d16_hi_b16 v5, v[24:25], off offset:64
	s_wait_loadcnt 0x3
	global_load_d16_hi_b16 v6, v[24:25], off offset:192
	;; [unrolled: 2-line block ×3, first 2 shown]
	s_movk_i32 s16, 0x800
	s_cbranch_execz .LBB917_67
	s_branch .LBB917_76
.LBB917_66:                             ;   in Loop: Header=BB917_64 Depth=2
	s_mov_b32 s15, 0
                                        ; implicit-def: $vgpr5_vgpr6_vgpr7_vgpr8
	s_movk_i32 s16, 0x800
.LBB917_67:                             ;   in Loop: Header=BB917_64 Depth=2
	s_wait_loadcnt 0x0
	v_mov_b32_e32 v7, v4
	s_lshl_b64 s[16:17], s[30:31], 1
	v_dual_mov_b32 v5, v4 :: v_dual_mov_b32 v6, v4
	s_wait_alu 0xfffe
	v_add_co_u32 v24, vcc_lo, v82, s16
	v_mov_b32_e32 v8, v7
	s_wait_alu 0xfffd
	v_add_co_ci_u32_e64 v25, null, s17, v83, vcc_lo
	v_mov_b32_e32 v7, v6
	v_mov_b32_e32 v6, v5
	;; [unrolled: 1-line block ×3, first 2 shown]
	s_mov_b32 s15, exec_lo
	v_cmpx_gt_u32_e64 s43, v67
	s_cbranch_execnz .LBB917_170
; %bb.68:                               ;   in Loop: Header=BB917_64 Depth=2
	s_wait_alu 0xfffe
	s_or_b32 exec_lo, exec_lo, s15
	s_delay_alu instid0(SALU_CYCLE_1)
	s_mov_b32 s15, exec_lo
	v_cmpx_gt_u32_e64 s43, v71
	s_cbranch_execnz .LBB917_171
.LBB917_69:                             ;   in Loop: Header=BB917_64 Depth=2
	s_wait_alu 0xfffe
	s_or_b32 exec_lo, exec_lo, s15
	s_delay_alu instid0(SALU_CYCLE_1)
	s_mov_b32 s15, exec_lo
	v_cmpx_gt_u32_e64 s43, v72
	s_cbranch_execnz .LBB917_172
.LBB917_70:                             ;   in Loop: Header=BB917_64 Depth=2
	s_wait_alu 0xfffe
	s_or_b32 exec_lo, exec_lo, s15
	s_delay_alu instid0(SALU_CYCLE_1)
	s_mov_b32 s15, exec_lo
	v_cmpx_gt_u32_e64 s43, v73
	s_cbranch_execnz .LBB917_173
.LBB917_71:                             ;   in Loop: Header=BB917_64 Depth=2
	s_wait_alu 0xfffe
	s_or_b32 exec_lo, exec_lo, s15
	s_delay_alu instid0(SALU_CYCLE_1)
	s_mov_b32 s15, exec_lo
	v_cmpx_gt_u32_e64 s43, v74
	s_cbranch_execnz .LBB917_174
.LBB917_72:                             ;   in Loop: Header=BB917_64 Depth=2
	s_wait_alu 0xfffe
	s_or_b32 exec_lo, exec_lo, s15
	s_delay_alu instid0(SALU_CYCLE_1)
	s_mov_b32 s15, exec_lo
	v_cmpx_gt_u32_e64 s43, v75
	s_cbranch_execnz .LBB917_175
.LBB917_73:                             ;   in Loop: Header=BB917_64 Depth=2
	s_wait_alu 0xfffe
	s_or_b32 exec_lo, exec_lo, s15
	s_delay_alu instid0(SALU_CYCLE_1)
	s_mov_b32 s15, exec_lo
	v_cmpx_gt_u32_e64 s43, v76
	s_cbranch_execz .LBB917_75
.LBB917_74:                             ;   in Loop: Header=BB917_64 Depth=2
	global_load_d16_b16 v8, v[24:25], off offset:384
.LBB917_75:                             ;   in Loop: Header=BB917_64 Depth=2
	s_wait_alu 0xfffe
	s_or_b32 exec_lo, exec_lo, s15
	v_cmp_gt_u32_e64 s15, s43, v77
	s_sub_co_i32 s16, s34, s30
.LBB917_76:                             ;   in Loop: Header=BB917_64 Depth=2
	v_mov_b32_e32 v94, s43
	s_and_saveexec_b32 s17, s15
	s_cbranch_execz .LBB917_78
; %bb.77:                               ;   in Loop: Header=BB917_64 Depth=2
	s_lshl_b64 s[18:19], s[30:31], 1
	s_wait_alu 0xfffe
	v_mov_b32_e32 v94, s16
	v_add_co_u32 v24, vcc_lo, v82, s18
	s_wait_alu 0xfffd
	v_add_co_ci_u32_e64 v25, null, s19, v83, vcc_lo
	s_wait_loadcnt 0x0
	global_load_d16_hi_b16 v8, v[24:25], off offset:448
.LBB917_78:                             ;   in Loop: Header=BB917_64 Depth=2
	s_wait_alu 0xfffe
	s_or_b32 exec_lo, exec_lo, s17
	s_wait_loadcnt 0x0
	v_xor_b32_e32 v0, 0x7fff, v5
	s_delay_alu instid0(VALU_DEP_1) | instskip(NEXT) | instid1(VALU_DEP_1)
	v_and_b32_e32 v24, 0xffff, v0
	v_lshrrev_b32_e32 v24, s23, v24
	s_delay_alu instid0(VALU_DEP_1) | instskip(NEXT) | instid1(VALU_DEP_1)
	v_and_b32_e32 v25, s42, v24
	v_and_b32_e32 v24, 1, v25
	v_lshlrev_b32_e32 v26, 30, v25
	v_lshlrev_b32_e32 v27, 29, v25
	;; [unrolled: 1-line block ×4, first 2 shown]
	v_add_co_u32 v24, s15, v24, -1
	s_wait_alu 0xf1ff
	v_cndmask_b32_e64 v96, 0, 1, s15
	v_not_b32_e32 v100, v26
	v_cmp_gt_i32_e64 s15, 0, v26
	v_not_b32_e32 v26, v27
	v_lshlrev_b32_e32 v98, 26, v25
	v_cmp_ne_u32_e32 vcc_lo, 0, v96
	v_ashrrev_i32_e32 v100, 31, v100
	v_lshlrev_b32_e32 v99, 25, v25
	v_ashrrev_i32_e32 v26, 31, v26
	v_lshlrev_b32_e32 v96, 24, v25
	s_wait_alu 0xfffd
	v_xor_b32_e32 v24, vcc_lo, v24
	v_cmp_gt_i32_e32 vcc_lo, 0, v27
	v_not_b32_e32 v27, v95
	s_wait_alu 0xf1ff
	v_xor_b32_e32 v100, s15, v100
	v_cmp_gt_i32_e64 s15, 0, v95
	v_and_b32_e32 v24, exec_lo, v24
	v_not_b32_e32 v95, v97
	v_ashrrev_i32_e32 v27, 31, v27
	s_wait_alu 0xfffd
	v_xor_b32_e32 v26, vcc_lo, v26
	v_cmp_gt_i32_e32 vcc_lo, 0, v97
	v_and_b32_e32 v24, v24, v100
	v_not_b32_e32 v97, v98
	v_ashrrev_i32_e32 v95, 31, v95
	s_wait_alu 0xf1ff
	v_xor_b32_e32 v27, s15, v27
	v_cmp_gt_i32_e64 s15, 0, v98
	v_and_b32_e32 v24, v24, v26
	v_not_b32_e32 v26, v99
	v_ashrrev_i32_e32 v97, 31, v97
	s_wait_alu 0xfffd
	v_xor_b32_e32 v95, vcc_lo, v95
	v_cmp_gt_i32_e32 vcc_lo, 0, v99
	v_and_b32_e32 v24, v24, v27
	v_not_b32_e32 v27, v96
	v_ashrrev_i32_e32 v26, 31, v26
	s_wait_alu 0xf1ff
	v_xor_b32_e32 v97, s15, v97
	v_cmp_gt_i32_e64 s15, 0, v96
	v_and_b32_e32 v24, v24, v95
	v_ashrrev_i32_e32 v27, 31, v27
	s_wait_alu 0xfffd
	v_xor_b32_e32 v26, vcc_lo, v26
	v_mul_u32_u24_e32 v25, 36, v25
	v_add_nc_u32_e32 v98, 0x420, v43
	v_and_b32_e32 v24, v24, v97
	s_wait_alu 0xf1ff
	v_xor_b32_e32 v27, s15, v27
	v_add_nc_u32_e32 v97, 0x438, v43
	v_add_nc_u32_e32 v99, 0x428, v43
	;; [unrolled: 1-line block ×3, first 2 shown]
	v_and_b32_e32 v24, v24, v26
	v_add_nc_u32_e32 v101, v85, v25
	ds_store_2addr_b32 v97, v1, v1 offset1:1
	ds_store_2addr_b32 v98, v1, v1 offset1:1
	;; [unrolled: 1-line block ×4, first 2 shown]
	ds_store_b32 v43, v1 offset:1088
	s_wait_dscnt 0x0
	v_and_b32_e32 v24, v24, v27
	s_barrier_signal -1
	s_barrier_wait -1
	global_inv scope:SCOPE_SE
	v_mbcnt_lo_u32_b32 v95, v24, 0
	v_cmp_ne_u32_e64 s15, 0, v24
	; wave barrier
	s_delay_alu instid0(VALU_DEP_2)
	v_cmp_eq_u32_e32 vcc_lo, 0, v95
	s_and_b32 s16, s15, vcc_lo
	s_wait_alu 0xfffe
	s_and_saveexec_b32 s15, s16
; %bb.79:                               ;   in Loop: Header=BB917_64 Depth=2
	v_bcnt_u32_b32 v24, v24, 0
	ds_store_b32 v101, v24 offset:1056
; %bb.80:                               ;   in Loop: Header=BB917_64 Depth=2
	s_wait_alu 0xfffe
	s_or_b32 exec_lo, exec_lo, s15
	v_lshrrev_b32_e32 v5, 16, v5
	; wave barrier
	s_delay_alu instid0(VALU_DEP_1) | instskip(NEXT) | instid1(VALU_DEP_1)
	v_xor_b32_e32 v96, 0x7fff, v5
	v_and_b32_e32 v5, 0xffff, v96
	s_delay_alu instid0(VALU_DEP_1) | instskip(NEXT) | instid1(VALU_DEP_1)
	v_lshrrev_b32_e32 v5, s23, v5
	v_and_b32_e32 v24, s42, v5
	s_delay_alu instid0(VALU_DEP_1)
	v_and_b32_e32 v5, 1, v24
	v_lshlrev_b32_e32 v25, 30, v24
	v_lshlrev_b32_e32 v26, 29, v24
	;; [unrolled: 1-line block ×4, first 2 shown]
	v_add_co_u32 v5, s15, v5, -1
	s_wait_alu 0xf1ff
	v_cndmask_b32_e64 v102, 0, 1, s15
	v_not_b32_e32 v106, v25
	v_cmp_gt_i32_e64 s15, 0, v25
	v_not_b32_e32 v25, v26
	v_lshlrev_b32_e32 v104, 26, v24
	v_cmp_ne_u32_e32 vcc_lo, 0, v102
	v_ashrrev_i32_e32 v106, 31, v106
	v_lshlrev_b32_e32 v105, 25, v24
	v_ashrrev_i32_e32 v25, 31, v25
	v_lshlrev_b32_e32 v102, 24, v24
	s_wait_alu 0xfffd
	v_xor_b32_e32 v5, vcc_lo, v5
	v_cmp_gt_i32_e32 vcc_lo, 0, v26
	v_not_b32_e32 v26, v27
	s_wait_alu 0xf1ff
	v_xor_b32_e32 v106, s15, v106
	v_cmp_gt_i32_e64 s15, 0, v27
	v_and_b32_e32 v5, exec_lo, v5
	v_not_b32_e32 v27, v103
	v_ashrrev_i32_e32 v26, 31, v26
	s_wait_alu 0xfffd
	v_xor_b32_e32 v25, vcc_lo, v25
	v_cmp_gt_i32_e32 vcc_lo, 0, v103
	v_and_b32_e32 v5, v5, v106
	v_not_b32_e32 v103, v104
	v_ashrrev_i32_e32 v27, 31, v27
	s_wait_alu 0xf1ff
	v_xor_b32_e32 v26, s15, v26
	v_cmp_gt_i32_e64 s15, 0, v104
	v_and_b32_e32 v5, v5, v25
	v_not_b32_e32 v25, v105
	v_ashrrev_i32_e32 v103, 31, v103
	s_wait_alu 0xfffd
	v_xor_b32_e32 v27, vcc_lo, v27
	v_cmp_gt_i32_e32 vcc_lo, 0, v105
	v_and_b32_e32 v5, v5, v26
	v_not_b32_e32 v26, v102
	v_ashrrev_i32_e32 v25, 31, v25
	s_wait_alu 0xf1ff
	v_xor_b32_e32 v103, s15, v103
	v_cmp_gt_i32_e64 s15, 0, v102
	v_and_b32_e32 v5, v5, v27
	v_ashrrev_i32_e32 v26, 31, v26
	s_wait_alu 0xfffd
	v_xor_b32_e32 v25, vcc_lo, v25
	v_mad_u32_u24 v27, v24, 36, v85
	v_mul_u32_u24_e32 v24, 36, v24
	v_and_b32_e32 v5, v5, v103
	s_wait_alu 0xf1ff
	v_xor_b32_e32 v26, s15, v26
	ds_load_b32 v102, v27 offset:1056
	v_add_nc_u32_e32 v105, v85, v24
	v_and_b32_e32 v5, v5, v25
	; wave barrier
	s_delay_alu instid0(VALU_DEP_1) | instskip(NEXT) | instid1(VALU_DEP_1)
	v_and_b32_e32 v5, v5, v26
	v_mbcnt_lo_u32_b32 v103, v5, 0
	v_cmp_ne_u32_e64 s15, 0, v5
	s_delay_alu instid0(VALU_DEP_2)
	v_cmp_eq_u32_e32 vcc_lo, 0, v103
	s_and_b32 s16, s15, vcc_lo
	s_wait_alu 0xfffe
	s_and_saveexec_b32 s15, s16
	s_cbranch_execz .LBB917_82
; %bb.81:                               ;   in Loop: Header=BB917_64 Depth=2
	s_wait_dscnt 0x0
	v_bcnt_u32_b32 v5, v5, v102
	ds_store_b32 v105, v5 offset:1056
.LBB917_82:                             ;   in Loop: Header=BB917_64 Depth=2
	s_wait_alu 0xfffe
	s_or_b32 exec_lo, exec_lo, s15
	v_xor_b32_e32 v104, 0x7fff, v6
	; wave barrier
	s_delay_alu instid0(VALU_DEP_1) | instskip(NEXT) | instid1(VALU_DEP_1)
	v_and_b32_e32 v5, 0xffff, v104
	v_lshrrev_b32_e32 v5, s23, v5
	s_delay_alu instid0(VALU_DEP_1) | instskip(NEXT) | instid1(VALU_DEP_1)
	v_and_b32_e32 v24, s42, v5
	v_and_b32_e32 v5, 1, v24
	v_lshlrev_b32_e32 v25, 30, v24
	v_lshlrev_b32_e32 v26, 29, v24
	;; [unrolled: 1-line block ×4, first 2 shown]
	v_add_co_u32 v5, s15, v5, -1
	s_wait_alu 0xf1ff
	v_cndmask_b32_e64 v106, 0, 1, s15
	v_not_b32_e32 v110, v25
	v_cmp_gt_i32_e64 s15, 0, v25
	v_not_b32_e32 v25, v26
	v_lshlrev_b32_e32 v108, 26, v24
	v_cmp_ne_u32_e32 vcc_lo, 0, v106
	v_ashrrev_i32_e32 v110, 31, v110
	v_lshlrev_b32_e32 v109, 25, v24
	v_ashrrev_i32_e32 v25, 31, v25
	v_lshlrev_b32_e32 v106, 24, v24
	s_wait_alu 0xfffd
	v_xor_b32_e32 v5, vcc_lo, v5
	v_cmp_gt_i32_e32 vcc_lo, 0, v26
	v_not_b32_e32 v26, v27
	s_wait_alu 0xf1ff
	v_xor_b32_e32 v110, s15, v110
	v_cmp_gt_i32_e64 s15, 0, v27
	v_and_b32_e32 v5, exec_lo, v5
	v_not_b32_e32 v27, v107
	v_ashrrev_i32_e32 v26, 31, v26
	s_wait_alu 0xfffd
	v_xor_b32_e32 v25, vcc_lo, v25
	v_cmp_gt_i32_e32 vcc_lo, 0, v107
	v_and_b32_e32 v5, v5, v110
	v_not_b32_e32 v107, v108
	v_ashrrev_i32_e32 v27, 31, v27
	s_wait_alu 0xf1ff
	v_xor_b32_e32 v26, s15, v26
	v_cmp_gt_i32_e64 s15, 0, v108
	v_and_b32_e32 v5, v5, v25
	v_not_b32_e32 v25, v109
	v_ashrrev_i32_e32 v107, 31, v107
	s_wait_alu 0xfffd
	v_xor_b32_e32 v27, vcc_lo, v27
	v_cmp_gt_i32_e32 vcc_lo, 0, v109
	v_and_b32_e32 v5, v5, v26
	v_not_b32_e32 v26, v106
	v_ashrrev_i32_e32 v25, 31, v25
	s_wait_alu 0xf1ff
	v_xor_b32_e32 v107, s15, v107
	v_cmp_gt_i32_e64 s15, 0, v106
	v_and_b32_e32 v5, v5, v27
	v_ashrrev_i32_e32 v26, 31, v26
	s_wait_alu 0xfffd
	v_xor_b32_e32 v25, vcc_lo, v25
	v_mad_u32_u24 v27, v24, 36, v85
	v_mul_u32_u24_e32 v24, 36, v24
	v_and_b32_e32 v5, v5, v107
	s_wait_alu 0xf1ff
	v_xor_b32_e32 v26, s15, v26
	ds_load_b32 v106, v27 offset:1056
	v_add_nc_u32_e32 v109, v85, v24
	v_and_b32_e32 v5, v5, v25
	; wave barrier
	s_delay_alu instid0(VALU_DEP_1) | instskip(NEXT) | instid1(VALU_DEP_1)
	v_and_b32_e32 v5, v5, v26
	v_mbcnt_lo_u32_b32 v108, v5, 0
	v_cmp_ne_u32_e64 s15, 0, v5
	s_delay_alu instid0(VALU_DEP_2)
	v_cmp_eq_u32_e32 vcc_lo, 0, v108
	s_and_b32 s16, s15, vcc_lo
	s_wait_alu 0xfffe
	s_and_saveexec_b32 s15, s16
	s_cbranch_execz .LBB917_84
; %bb.83:                               ;   in Loop: Header=BB917_64 Depth=2
	s_wait_dscnt 0x0
	v_bcnt_u32_b32 v5, v5, v106
	ds_store_b32 v109, v5 offset:1056
.LBB917_84:                             ;   in Loop: Header=BB917_64 Depth=2
	s_wait_alu 0xfffe
	s_or_b32 exec_lo, exec_lo, s15
	v_lshrrev_b32_e32 v5, 16, v6
	; wave barrier
	s_delay_alu instid0(VALU_DEP_1) | instskip(NEXT) | instid1(VALU_DEP_1)
	v_xor_b32_e32 v107, 0x7fff, v5
	v_and_b32_e32 v5, 0xffff, v107
	s_delay_alu instid0(VALU_DEP_1) | instskip(NEXT) | instid1(VALU_DEP_1)
	v_lshrrev_b32_e32 v5, s23, v5
	v_and_b32_e32 v6, s42, v5
	s_delay_alu instid0(VALU_DEP_1)
	v_and_b32_e32 v5, 1, v6
	v_lshlrev_b32_e32 v24, 30, v6
	v_lshlrev_b32_e32 v25, 29, v6
	;; [unrolled: 1-line block ×4, first 2 shown]
	v_add_co_u32 v5, s15, v5, -1
	s_wait_alu 0xf1ff
	v_cndmask_b32_e64 v27, 0, 1, s15
	v_not_b32_e32 v113, v24
	v_cmp_gt_i32_e64 s15, 0, v24
	v_not_b32_e32 v24, v25
	v_lshlrev_b32_e32 v111, 26, v6
	v_cmp_ne_u32_e32 vcc_lo, 0, v27
	v_ashrrev_i32_e32 v113, 31, v113
	v_lshlrev_b32_e32 v112, 25, v6
	v_ashrrev_i32_e32 v24, 31, v24
	v_lshlrev_b32_e32 v27, 24, v6
	s_wait_alu 0xfffd
	v_xor_b32_e32 v5, vcc_lo, v5
	v_cmp_gt_i32_e32 vcc_lo, 0, v25
	v_not_b32_e32 v25, v26
	s_wait_alu 0xf1ff
	v_xor_b32_e32 v113, s15, v113
	v_cmp_gt_i32_e64 s15, 0, v26
	v_and_b32_e32 v5, exec_lo, v5
	v_not_b32_e32 v26, v110
	v_ashrrev_i32_e32 v25, 31, v25
	s_wait_alu 0xfffd
	v_xor_b32_e32 v24, vcc_lo, v24
	v_cmp_gt_i32_e32 vcc_lo, 0, v110
	v_and_b32_e32 v5, v5, v113
	v_not_b32_e32 v110, v111
	v_ashrrev_i32_e32 v26, 31, v26
	s_wait_alu 0xf1ff
	v_xor_b32_e32 v25, s15, v25
	v_cmp_gt_i32_e64 s15, 0, v111
	v_and_b32_e32 v5, v5, v24
	v_not_b32_e32 v24, v112
	v_ashrrev_i32_e32 v110, 31, v110
	s_wait_alu 0xfffd
	v_xor_b32_e32 v26, vcc_lo, v26
	v_cmp_gt_i32_e32 vcc_lo, 0, v112
	v_and_b32_e32 v5, v5, v25
	v_not_b32_e32 v25, v27
	v_ashrrev_i32_e32 v24, 31, v24
	s_wait_alu 0xf1ff
	v_xor_b32_e32 v110, s15, v110
	v_cmp_gt_i32_e64 s15, 0, v27
	v_and_b32_e32 v5, v5, v26
	v_ashrrev_i32_e32 v25, 31, v25
	s_wait_alu 0xfffd
	v_xor_b32_e32 v24, vcc_lo, v24
	v_mad_u32_u24 v26, v6, 36, v85
	v_mul_u32_u24_e32 v6, 36, v6
	v_and_b32_e32 v5, v5, v110
	s_wait_alu 0xf1ff
	v_xor_b32_e32 v25, s15, v25
	ds_load_b32 v110, v26 offset:1056
	v_add_nc_u32_e32 v113, v85, v6
	v_and_b32_e32 v5, v5, v24
	; wave barrier
	s_delay_alu instid0(VALU_DEP_1) | instskip(NEXT) | instid1(VALU_DEP_1)
	v_and_b32_e32 v5, v5, v25
	v_mbcnt_lo_u32_b32 v112, v5, 0
	v_cmp_ne_u32_e64 s15, 0, v5
	s_delay_alu instid0(VALU_DEP_2)
	v_cmp_eq_u32_e32 vcc_lo, 0, v112
	s_and_b32 s16, s15, vcc_lo
	s_wait_alu 0xfffe
	s_and_saveexec_b32 s15, s16
	s_cbranch_execz .LBB917_86
; %bb.85:                               ;   in Loop: Header=BB917_64 Depth=2
	s_wait_dscnt 0x0
	v_bcnt_u32_b32 v5, v5, v110
	ds_store_b32 v113, v5 offset:1056
.LBB917_86:                             ;   in Loop: Header=BB917_64 Depth=2
	s_wait_alu 0xfffe
	s_or_b32 exec_lo, exec_lo, s15
	v_xor_b32_e32 v111, 0x7fff, v7
	; wave barrier
	s_delay_alu instid0(VALU_DEP_1) | instskip(NEXT) | instid1(VALU_DEP_1)
	v_and_b32_e32 v5, 0xffff, v111
	v_lshrrev_b32_e32 v5, s23, v5
	s_delay_alu instid0(VALU_DEP_1) | instskip(NEXT) | instid1(VALU_DEP_1)
	v_and_b32_e32 v6, s42, v5
	v_and_b32_e32 v5, 1, v6
	v_lshlrev_b32_e32 v24, 30, v6
	v_lshlrev_b32_e32 v25, 29, v6
	;; [unrolled: 1-line block ×4, first 2 shown]
	v_add_co_u32 v5, s15, v5, -1
	s_wait_alu 0xf1ff
	v_cndmask_b32_e64 v27, 0, 1, s15
	v_not_b32_e32 v117, v24
	v_cmp_gt_i32_e64 s15, 0, v24
	v_not_b32_e32 v24, v25
	v_lshlrev_b32_e32 v115, 26, v6
	v_cmp_ne_u32_e32 vcc_lo, 0, v27
	v_ashrrev_i32_e32 v117, 31, v117
	v_lshlrev_b32_e32 v116, 25, v6
	v_ashrrev_i32_e32 v24, 31, v24
	v_lshlrev_b32_e32 v27, 24, v6
	s_wait_alu 0xfffd
	v_xor_b32_e32 v5, vcc_lo, v5
	v_cmp_gt_i32_e32 vcc_lo, 0, v25
	v_not_b32_e32 v25, v26
	s_wait_alu 0xf1ff
	v_xor_b32_e32 v117, s15, v117
	v_cmp_gt_i32_e64 s15, 0, v26
	v_and_b32_e32 v5, exec_lo, v5
	v_not_b32_e32 v26, v114
	v_ashrrev_i32_e32 v25, 31, v25
	s_wait_alu 0xfffd
	v_xor_b32_e32 v24, vcc_lo, v24
	v_cmp_gt_i32_e32 vcc_lo, 0, v114
	v_and_b32_e32 v5, v5, v117
	v_not_b32_e32 v114, v115
	v_ashrrev_i32_e32 v26, 31, v26
	s_wait_alu 0xf1ff
	v_xor_b32_e32 v25, s15, v25
	v_cmp_gt_i32_e64 s15, 0, v115
	v_and_b32_e32 v5, v5, v24
	v_not_b32_e32 v24, v116
	v_ashrrev_i32_e32 v114, 31, v114
	s_wait_alu 0xfffd
	v_xor_b32_e32 v26, vcc_lo, v26
	v_cmp_gt_i32_e32 vcc_lo, 0, v116
	v_and_b32_e32 v5, v5, v25
	v_not_b32_e32 v25, v27
	v_ashrrev_i32_e32 v24, 31, v24
	s_wait_alu 0xf1ff
	v_xor_b32_e32 v114, s15, v114
	v_cmp_gt_i32_e64 s15, 0, v27
	v_and_b32_e32 v5, v5, v26
	v_ashrrev_i32_e32 v25, 31, v25
	s_wait_alu 0xfffd
	v_xor_b32_e32 v24, vcc_lo, v24
	v_mad_u32_u24 v26, v6, 36, v85
	v_mul_u32_u24_e32 v6, 36, v6
	v_and_b32_e32 v5, v5, v114
	s_wait_alu 0xf1ff
	v_xor_b32_e32 v25, s15, v25
	ds_load_b32 v114, v26 offset:1056
	v_add_nc_u32_e32 v117, v85, v6
	v_and_b32_e32 v5, v5, v24
	; wave barrier
	s_delay_alu instid0(VALU_DEP_1) | instskip(NEXT) | instid1(VALU_DEP_1)
	v_and_b32_e32 v5, v5, v25
	v_mbcnt_lo_u32_b32 v116, v5, 0
	v_cmp_ne_u32_e64 s15, 0, v5
	s_delay_alu instid0(VALU_DEP_2)
	v_cmp_eq_u32_e32 vcc_lo, 0, v116
	s_and_b32 s16, s15, vcc_lo
	s_wait_alu 0xfffe
	s_and_saveexec_b32 s15, s16
	s_cbranch_execz .LBB917_88
; %bb.87:                               ;   in Loop: Header=BB917_64 Depth=2
	s_wait_dscnt 0x0
	v_bcnt_u32_b32 v5, v5, v114
	ds_store_b32 v117, v5 offset:1056
.LBB917_88:                             ;   in Loop: Header=BB917_64 Depth=2
	s_wait_alu 0xfffe
	s_or_b32 exec_lo, exec_lo, s15
	v_lshrrev_b32_e32 v5, 16, v7
	; wave barrier
	s_delay_alu instid0(VALU_DEP_1) | instskip(NEXT) | instid1(VALU_DEP_1)
	v_xor_b32_e32 v115, 0x7fff, v5
	v_and_b32_e32 v5, 0xffff, v115
	s_delay_alu instid0(VALU_DEP_1) | instskip(NEXT) | instid1(VALU_DEP_1)
	v_lshrrev_b32_e32 v5, s23, v5
	v_and_b32_e32 v6, s42, v5
	s_delay_alu instid0(VALU_DEP_1)
	v_and_b32_e32 v5, 1, v6
	v_lshlrev_b32_e32 v7, 30, v6
	v_lshlrev_b32_e32 v24, 29, v6
	v_lshlrev_b32_e32 v25, 28, v6
	v_lshlrev_b32_e32 v27, 27, v6
	v_add_co_u32 v5, s15, v5, -1
	s_wait_alu 0xf1ff
	v_cndmask_b32_e64 v26, 0, 1, s15
	v_not_b32_e32 v120, v7
	v_cmp_gt_i32_e64 s15, 0, v7
	v_not_b32_e32 v7, v24
	v_lshlrev_b32_e32 v118, 26, v6
	v_cmp_ne_u32_e32 vcc_lo, 0, v26
	v_ashrrev_i32_e32 v120, 31, v120
	v_lshlrev_b32_e32 v119, 25, v6
	v_ashrrev_i32_e32 v7, 31, v7
	v_lshlrev_b32_e32 v26, 24, v6
	s_wait_alu 0xfffd
	v_xor_b32_e32 v5, vcc_lo, v5
	v_cmp_gt_i32_e32 vcc_lo, 0, v24
	v_not_b32_e32 v24, v25
	s_wait_alu 0xf1ff
	v_xor_b32_e32 v120, s15, v120
	v_cmp_gt_i32_e64 s15, 0, v25
	v_and_b32_e32 v5, exec_lo, v5
	v_not_b32_e32 v25, v27
	v_ashrrev_i32_e32 v24, 31, v24
	s_wait_alu 0xfffd
	v_xor_b32_e32 v7, vcc_lo, v7
	v_cmp_gt_i32_e32 vcc_lo, 0, v27
	v_and_b32_e32 v5, v5, v120
	v_not_b32_e32 v27, v118
	v_ashrrev_i32_e32 v25, 31, v25
	s_wait_alu 0xf1ff
	v_xor_b32_e32 v24, s15, v24
	v_cmp_gt_i32_e64 s15, 0, v118
	v_and_b32_e32 v5, v5, v7
	v_not_b32_e32 v7, v119
	v_ashrrev_i32_e32 v27, 31, v27
	s_wait_alu 0xfffd
	v_xor_b32_e32 v25, vcc_lo, v25
	v_cmp_gt_i32_e32 vcc_lo, 0, v119
	v_and_b32_e32 v5, v5, v24
	v_not_b32_e32 v24, v26
	v_ashrrev_i32_e32 v7, 31, v7
	s_wait_alu 0xf1ff
	v_xor_b32_e32 v27, s15, v27
	v_cmp_gt_i32_e64 s15, 0, v26
	v_and_b32_e32 v5, v5, v25
	v_ashrrev_i32_e32 v24, 31, v24
	s_wait_alu 0xfffd
	v_xor_b32_e32 v7, vcc_lo, v7
	v_mad_u32_u24 v25, v6, 36, v85
	v_mul_u32_u24_e32 v6, 36, v6
	v_and_b32_e32 v5, v5, v27
	s_wait_alu 0xf1ff
	v_xor_b32_e32 v24, s15, v24
	ds_load_b32 v118, v25 offset:1056
	v_add_nc_u32_e32 v121, v85, v6
	v_and_b32_e32 v5, v5, v7
	; wave barrier
	s_delay_alu instid0(VALU_DEP_1) | instskip(NEXT) | instid1(VALU_DEP_1)
	v_and_b32_e32 v5, v5, v24
	v_mbcnt_lo_u32_b32 v120, v5, 0
	v_cmp_ne_u32_e64 s15, 0, v5
	s_delay_alu instid0(VALU_DEP_2)
	v_cmp_eq_u32_e32 vcc_lo, 0, v120
	s_and_b32 s16, s15, vcc_lo
	s_wait_alu 0xfffe
	s_and_saveexec_b32 s15, s16
	s_cbranch_execz .LBB917_90
; %bb.89:                               ;   in Loop: Header=BB917_64 Depth=2
	s_wait_dscnt 0x0
	v_bcnt_u32_b32 v5, v5, v118
	ds_store_b32 v121, v5 offset:1056
.LBB917_90:                             ;   in Loop: Header=BB917_64 Depth=2
	s_wait_alu 0xfffe
	s_or_b32 exec_lo, exec_lo, s15
	v_xor_b32_e32 v119, 0x7fff, v8
	; wave barrier
	s_delay_alu instid0(VALU_DEP_1) | instskip(NEXT) | instid1(VALU_DEP_1)
	v_and_b32_e32 v5, 0xffff, v119
	v_lshrrev_b32_e32 v5, s23, v5
	s_delay_alu instid0(VALU_DEP_1) | instskip(NEXT) | instid1(VALU_DEP_1)
	v_and_b32_e32 v6, s42, v5
	v_and_b32_e32 v5, 1, v6
	v_lshlrev_b32_e32 v7, 30, v6
	v_lshlrev_b32_e32 v24, 29, v6
	;; [unrolled: 1-line block ×4, first 2 shown]
	v_add_co_u32 v5, s15, v5, -1
	s_wait_alu 0xf1ff
	v_cndmask_b32_e64 v26, 0, 1, s15
	v_not_b32_e32 v124, v7
	v_cmp_gt_i32_e64 s15, 0, v7
	v_not_b32_e32 v7, v24
	v_lshlrev_b32_e32 v122, 26, v6
	v_cmp_ne_u32_e32 vcc_lo, 0, v26
	v_ashrrev_i32_e32 v124, 31, v124
	v_lshlrev_b32_e32 v123, 25, v6
	v_ashrrev_i32_e32 v7, 31, v7
	v_lshlrev_b32_e32 v26, 24, v6
	s_wait_alu 0xfffd
	v_xor_b32_e32 v5, vcc_lo, v5
	v_cmp_gt_i32_e32 vcc_lo, 0, v24
	v_not_b32_e32 v24, v25
	s_wait_alu 0xf1ff
	v_xor_b32_e32 v124, s15, v124
	v_cmp_gt_i32_e64 s15, 0, v25
	v_and_b32_e32 v5, exec_lo, v5
	v_not_b32_e32 v25, v27
	v_ashrrev_i32_e32 v24, 31, v24
	s_wait_alu 0xfffd
	v_xor_b32_e32 v7, vcc_lo, v7
	v_cmp_gt_i32_e32 vcc_lo, 0, v27
	v_and_b32_e32 v5, v5, v124
	v_not_b32_e32 v27, v122
	v_ashrrev_i32_e32 v25, 31, v25
	s_wait_alu 0xf1ff
	v_xor_b32_e32 v24, s15, v24
	v_cmp_gt_i32_e64 s15, 0, v122
	v_and_b32_e32 v5, v5, v7
	v_not_b32_e32 v7, v123
	v_ashrrev_i32_e32 v27, 31, v27
	s_wait_alu 0xfffd
	v_xor_b32_e32 v25, vcc_lo, v25
	v_cmp_gt_i32_e32 vcc_lo, 0, v123
	v_and_b32_e32 v5, v5, v24
	v_not_b32_e32 v24, v26
	v_ashrrev_i32_e32 v7, 31, v7
	s_wait_alu 0xf1ff
	v_xor_b32_e32 v27, s15, v27
	v_cmp_gt_i32_e64 s15, 0, v26
	v_and_b32_e32 v5, v5, v25
	v_ashrrev_i32_e32 v24, 31, v24
	s_wait_alu 0xfffd
	v_xor_b32_e32 v7, vcc_lo, v7
	v_mad_u32_u24 v25, v6, 36, v85
	v_mul_u32_u24_e32 v6, 36, v6
	v_and_b32_e32 v5, v5, v27
	s_wait_alu 0xf1ff
	v_xor_b32_e32 v24, s15, v24
	ds_load_b32 v122, v25 offset:1056
	v_add_nc_u32_e32 v125, v85, v6
	v_and_b32_e32 v5, v5, v7
	; wave barrier
	s_delay_alu instid0(VALU_DEP_1) | instskip(NEXT) | instid1(VALU_DEP_1)
	v_and_b32_e32 v5, v5, v24
	v_mbcnt_lo_u32_b32 v123, v5, 0
	v_cmp_ne_u32_e64 s15, 0, v5
	s_delay_alu instid0(VALU_DEP_2)
	v_cmp_eq_u32_e32 vcc_lo, 0, v123
	s_and_b32 s16, s15, vcc_lo
	s_wait_alu 0xfffe
	s_and_saveexec_b32 s15, s16
	s_cbranch_execz .LBB917_92
; %bb.91:                               ;   in Loop: Header=BB917_64 Depth=2
	s_wait_dscnt 0x0
	v_bcnt_u32_b32 v5, v5, v122
	ds_store_b32 v125, v5 offset:1056
.LBB917_92:                             ;   in Loop: Header=BB917_64 Depth=2
	s_wait_alu 0xfffe
	s_or_b32 exec_lo, exec_lo, s15
	v_lshrrev_b32_e32 v5, 16, v8
	; wave barrier
	s_delay_alu instid0(VALU_DEP_1) | instskip(NEXT) | instid1(VALU_DEP_1)
	v_xor_b32_e32 v124, 0x7fff, v5
	v_and_b32_e32 v5, 0xffff, v124
	s_delay_alu instid0(VALU_DEP_1) | instskip(NEXT) | instid1(VALU_DEP_1)
	v_lshrrev_b32_e32 v5, s23, v5
	v_and_b32_e32 v6, s42, v5
	s_delay_alu instid0(VALU_DEP_1)
	v_and_b32_e32 v5, 1, v6
	v_lshlrev_b32_e32 v7, 30, v6
	v_lshlrev_b32_e32 v8, 29, v6
	;; [unrolled: 1-line block ×4, first 2 shown]
	v_add_co_u32 v5, s15, v5, -1
	s_wait_alu 0xf1ff
	v_cndmask_b32_e64 v25, 0, 1, s15
	v_not_b32_e32 v127, v7
	v_cmp_gt_i32_e64 s15, 0, v7
	v_not_b32_e32 v7, v8
	v_lshlrev_b32_e32 v27, 26, v6
	v_cmp_ne_u32_e32 vcc_lo, 0, v25
	v_ashrrev_i32_e32 v127, 31, v127
	v_lshlrev_b32_e32 v126, 25, v6
	v_ashrrev_i32_e32 v7, 31, v7
	v_lshlrev_b32_e32 v25, 24, v6
	s_wait_alu 0xfffd
	v_xor_b32_e32 v5, vcc_lo, v5
	v_cmp_gt_i32_e32 vcc_lo, 0, v8
	v_not_b32_e32 v8, v24
	s_wait_alu 0xf1ff
	v_xor_b32_e32 v127, s15, v127
	v_cmp_gt_i32_e64 s15, 0, v24
	v_and_b32_e32 v5, exec_lo, v5
	v_not_b32_e32 v24, v26
	v_ashrrev_i32_e32 v8, 31, v8
	s_wait_alu 0xfffd
	v_xor_b32_e32 v7, vcc_lo, v7
	v_cmp_gt_i32_e32 vcc_lo, 0, v26
	v_and_b32_e32 v5, v5, v127
	v_not_b32_e32 v26, v27
	v_ashrrev_i32_e32 v24, 31, v24
	s_wait_alu 0xf1ff
	v_xor_b32_e32 v8, s15, v8
	v_cmp_gt_i32_e64 s15, 0, v27
	v_and_b32_e32 v5, v5, v7
	v_not_b32_e32 v7, v126
	v_ashrrev_i32_e32 v26, 31, v26
	s_wait_alu 0xfffd
	v_xor_b32_e32 v24, vcc_lo, v24
	v_cmp_gt_i32_e32 vcc_lo, 0, v126
	v_and_b32_e32 v5, v5, v8
	v_not_b32_e32 v8, v25
	v_ashrrev_i32_e32 v7, 31, v7
	s_wait_alu 0xf1ff
	v_xor_b32_e32 v26, s15, v26
	v_cmp_gt_i32_e64 s15, 0, v25
	v_and_b32_e32 v5, v5, v24
	v_ashrrev_i32_e32 v8, 31, v8
	s_wait_alu 0xfffd
	v_xor_b32_e32 v7, vcc_lo, v7
	v_mad_u32_u24 v24, v6, 36, v85
	v_mul_u32_u24_e32 v6, 36, v6
	v_and_b32_e32 v5, v5, v26
	s_wait_alu 0xf1ff
	v_xor_b32_e32 v8, s15, v8
	ds_load_b32 v126, v24 offset:1056
	v_add_nc_u32_e32 v128, v85, v6
	v_and_b32_e32 v5, v5, v7
	; wave barrier
	s_delay_alu instid0(VALU_DEP_1) | instskip(NEXT) | instid1(VALU_DEP_1)
	v_and_b32_e32 v5, v5, v8
	v_mbcnt_lo_u32_b32 v127, v5, 0
	v_cmp_ne_u32_e64 s15, 0, v5
	s_delay_alu instid0(VALU_DEP_2)
	v_cmp_eq_u32_e32 vcc_lo, 0, v127
	s_and_b32 s16, s15, vcc_lo
	s_wait_alu 0xfffe
	s_and_saveexec_b32 s15, s16
	s_cbranch_execz .LBB917_94
; %bb.93:                               ;   in Loop: Header=BB917_64 Depth=2
	s_wait_dscnt 0x0
	v_bcnt_u32_b32 v5, v5, v126
	ds_store_b32 v128, v5 offset:1056
.LBB917_94:                             ;   in Loop: Header=BB917_64 Depth=2
	s_wait_alu 0xfffe
	s_or_b32 exec_lo, exec_lo, s15
	; wave barrier
	s_wait_loadcnt_dscnt 0x0
	s_barrier_signal -1
	s_barrier_wait -1
	global_inv scope:SCOPE_SE
	ds_load_2addr_b32 v[26:27], v98 offset1:1
	ds_load_2addr_b32 v[24:25], v99 offset1:1
	;; [unrolled: 1-line block ×4, first 2 shown]
	ds_load_b32 v129, v43 offset:1088
	s_wait_dscnt 0x3
	v_add3_u32 v130, v27, v26, v24
	s_wait_dscnt 0x2
	s_delay_alu instid0(VALU_DEP_1) | instskip(SKIP_1) | instid1(VALU_DEP_1)
	v_add3_u32 v130, v130, v25, v7
	s_wait_dscnt 0x1
	v_add3_u32 v130, v130, v8, v5
	s_wait_dscnt 0x0
	s_delay_alu instid0(VALU_DEP_1) | instskip(NEXT) | instid1(VALU_DEP_1)
	v_add3_u32 v129, v130, v6, v129
	v_mov_b32_dpp v130, v129 row_shr:1 row_mask:0xf bank_mask:0xf
	s_delay_alu instid0(VALU_DEP_1) | instskip(NEXT) | instid1(VALU_DEP_1)
	v_cndmask_b32_e64 v130, v130, 0, s0
	v_add_nc_u32_e32 v129, v130, v129
	s_delay_alu instid0(VALU_DEP_1) | instskip(NEXT) | instid1(VALU_DEP_1)
	v_mov_b32_dpp v130, v129 row_shr:2 row_mask:0xf bank_mask:0xf
	v_cndmask_b32_e64 v130, 0, v130, s1
	s_delay_alu instid0(VALU_DEP_1) | instskip(NEXT) | instid1(VALU_DEP_1)
	v_add_nc_u32_e32 v129, v129, v130
	v_mov_b32_dpp v130, v129 row_shr:4 row_mask:0xf bank_mask:0xf
	s_delay_alu instid0(VALU_DEP_1) | instskip(NEXT) | instid1(VALU_DEP_1)
	v_cndmask_b32_e64 v130, 0, v130, s9
	v_add_nc_u32_e32 v129, v129, v130
	s_delay_alu instid0(VALU_DEP_1) | instskip(NEXT) | instid1(VALU_DEP_1)
	v_mov_b32_dpp v130, v129 row_shr:8 row_mask:0xf bank_mask:0xf
	v_cndmask_b32_e64 v130, 0, v130, s10
	s_delay_alu instid0(VALU_DEP_1) | instskip(SKIP_3) | instid1(VALU_DEP_1)
	v_add_nc_u32_e32 v129, v129, v130
	ds_swizzle_b32 v130, v129 offset:swizzle(BROADCAST,32,15)
	s_wait_dscnt 0x0
	v_cndmask_b32_e64 v130, v130, 0, s11
	v_add_nc_u32_e32 v129, v129, v130
	s_and_saveexec_b32 s15, s3
; %bb.95:                               ;   in Loop: Header=BB917_64 Depth=2
	ds_store_b32 v38, v129 offset:1024
; %bb.96:                               ;   in Loop: Header=BB917_64 Depth=2
	s_wait_alu 0xfffe
	s_or_b32 exec_lo, exec_lo, s15
	s_wait_loadcnt_dscnt 0x0
	s_barrier_signal -1
	s_barrier_wait -1
	global_inv scope:SCOPE_SE
	s_and_saveexec_b32 s15, s4
	s_cbranch_execz .LBB917_98
; %bb.97:                               ;   in Loop: Header=BB917_64 Depth=2
	ds_load_b32 v130, v47 offset:1024
	s_wait_dscnt 0x0
	v_mov_b32_dpp v131, v130 row_shr:1 row_mask:0xf bank_mask:0xf
	s_delay_alu instid0(VALU_DEP_1) | instskip(NEXT) | instid1(VALU_DEP_1)
	v_cndmask_b32_e64 v131, v131, 0, s12
	v_add_nc_u32_e32 v130, v131, v130
	s_delay_alu instid0(VALU_DEP_1) | instskip(NEXT) | instid1(VALU_DEP_1)
	v_mov_b32_dpp v131, v130 row_shr:2 row_mask:0xf bank_mask:0xf
	v_cndmask_b32_e64 v131, 0, v131, s13
	s_delay_alu instid0(VALU_DEP_1) | instskip(NEXT) | instid1(VALU_DEP_1)
	v_add_nc_u32_e32 v130, v130, v131
	v_mov_b32_dpp v131, v130 row_shr:4 row_mask:0xf bank_mask:0xf
	s_delay_alu instid0(VALU_DEP_1) | instskip(NEXT) | instid1(VALU_DEP_1)
	v_cndmask_b32_e64 v131, 0, v131, s14
	v_add_nc_u32_e32 v130, v130, v131
	ds_store_b32 v47, v130 offset:1024
.LBB917_98:                             ;   in Loop: Header=BB917_64 Depth=2
	s_wait_alu 0xfffe
	s_or_b32 exec_lo, exec_lo, s15
	v_mov_b32_e32 v130, 0
	s_wait_loadcnt_dscnt 0x0
	s_barrier_signal -1
	s_barrier_wait -1
	global_inv scope:SCOPE_SE
	s_and_saveexec_b32 s15, s5
; %bb.99:                               ;   in Loop: Header=BB917_64 Depth=2
	ds_load_b32 v130, v38 offset:1020
; %bb.100:                              ;   in Loop: Header=BB917_64 Depth=2
	s_wait_alu 0xfffe
	s_or_b32 exec_lo, exec_lo, s15
	s_wait_dscnt 0x0
	v_add_nc_u32_e32 v129, v130, v129
	ds_bpermute_b32 v129, v84, v129
	s_wait_dscnt 0x0
	v_cndmask_b32_e64 v129, v129, v130, s8
	s_delay_alu instid0(VALU_DEP_1) | instskip(NEXT) | instid1(VALU_DEP_1)
	v_cndmask_b32_e64 v129, v129, 0, s6
	v_add_nc_u32_e32 v26, v129, v26
	s_delay_alu instid0(VALU_DEP_1) | instskip(NEXT) | instid1(VALU_DEP_1)
	v_add_nc_u32_e32 v27, v26, v27
	v_add_nc_u32_e32 v24, v27, v24
	s_delay_alu instid0(VALU_DEP_1) | instskip(NEXT) | instid1(VALU_DEP_1)
	v_add_nc_u32_e32 v25, v24, v25
	;; [unrolled: 3-line block ×3, first 2 shown]
	v_add_nc_u32_e32 v5, v8, v5
	s_delay_alu instid0(VALU_DEP_1)
	v_add_nc_u32_e32 v6, v5, v6
	ds_store_2addr_b32 v97, v8, v5 offset1:1
	ds_store_2addr_b32 v98, v129, v26 offset1:1
	;; [unrolled: 1-line block ×4, first 2 shown]
	ds_store_b32 v43, v6 offset:1088
	s_wait_loadcnt_dscnt 0x0
	s_barrier_signal -1
	s_barrier_wait -1
	global_inv scope:SCOPE_SE
	ds_load_b32 v8, v101 offset:1056
	ds_load_b32 v24, v105 offset:1056
	ds_load_b32 v25, v109 offset:1056
	ds_load_b32 v26, v113 offset:1056
	ds_load_b32 v27, v117 offset:1056
	ds_load_b32 v99, v121 offset:1056
	ds_load_b32 v5, v125 offset:1056
	ds_load_b32 v6, v128 offset:1056
	ds_load_b32 v97, v43 offset:1056
	v_mov_b32_e32 v7, 0x800
	s_and_saveexec_b32 s15, s7
; %bb.101:                              ;   in Loop: Header=BB917_64 Depth=2
	ds_load_b32 v7, v43 offset:1092
; %bb.102:                              ;   in Loop: Header=BB917_64 Depth=2
	s_wait_alu 0xfffe
	s_or_b32 exec_lo, exec_lo, s15
	s_wait_loadcnt_dscnt 0x0
	s_barrier_signal -1
	s_barrier_wait -1
	global_inv scope:SCOPE_SE
	s_and_saveexec_b32 s15, s2
	s_cbranch_execz .LBB917_104
; %bb.103:                              ;   in Loop: Header=BB917_64 Depth=2
	ds_load_b32 v98, v28
	s_wait_dscnt 0x0
	v_sub_nc_u32_e32 v97, v98, v97
	ds_store_b32 v28, v97
.LBB917_104:                            ;   in Loop: Header=BB917_64 Depth=2
	s_wait_alu 0xfffe
	s_or_b32 exec_lo, exec_lo, s15
	v_add_nc_u32_e32 v98, v8, v95
	v_add3_u32 v97, v103, v102, v24
	v_add3_u32 v95, v108, v106, v25
	;; [unrolled: 1-line block ×4, first 2 shown]
	v_lshlrev_b32_e32 v99, 1, v98
	v_add3_u32 v24, v116, v114, v27
	v_lshlrev_b32_e32 v100, 1, v97
	v_lshlrev_b32_e32 v101, 1, v95
	v_add3_u32 v27, v123, v122, v5
	v_add3_u32 v26, v127, v126, v6
	ds_store_b16 v99, v0 offset:1024
	ds_store_b16 v100, v96 offset:1024
	;; [unrolled: 1-line block ×3, first 2 shown]
	v_lshlrev_b32_e32 v0, 1, v25
	v_cmp_lt_u32_e32 vcc_lo, v13, v94
	v_lshlrev_b32_e32 v5, 1, v24
	v_lshlrev_b32_e32 v6, 1, v8
	;; [unrolled: 1-line block ×4, first 2 shown]
	ds_store_b16 v0, v107 offset:1024
	ds_store_b16 v5, v111 offset:1024
	;; [unrolled: 1-line block ×5, first 2 shown]
	s_wait_loadcnt_dscnt 0x0
	s_barrier_signal -1
	s_barrier_wait -1
	global_inv scope:SCOPE_SE
	s_and_saveexec_b32 s16, vcc_lo
	s_cbranch_execnz .LBB917_141
; %bb.105:                              ;   in Loop: Header=BB917_64 Depth=2
	s_wait_alu 0xfffe
	s_or_b32 exec_lo, exec_lo, s16
	v_cmp_lt_u32_e64 s15, v29, v94
	s_and_saveexec_b32 s17, s15
	s_cbranch_execnz .LBB917_142
.LBB917_106:                            ;   in Loop: Header=BB917_64 Depth=2
	s_wait_alu 0xfffe
	s_or_b32 exec_lo, exec_lo, s17
	v_cmp_lt_u32_e64 s16, v30, v94
	s_and_saveexec_b32 s18, s16
	s_cbranch_execnz .LBB917_143
.LBB917_107:                            ;   in Loop: Header=BB917_64 Depth=2
	s_wait_alu 0xfffe
	s_or_b32 exec_lo, exec_lo, s18
	v_cmp_lt_u32_e64 s17, v31, v94
	s_and_saveexec_b32 s19, s17
	s_cbranch_execnz .LBB917_144
.LBB917_108:                            ;   in Loop: Header=BB917_64 Depth=2
	s_wait_alu 0xfffe
	s_or_b32 exec_lo, exec_lo, s19
	v_cmp_lt_u32_e64 s18, v34, v94
	s_and_saveexec_b32 s20, s18
	s_cbranch_execnz .LBB917_145
.LBB917_109:                            ;   in Loop: Header=BB917_64 Depth=2
	s_wait_alu 0xfffe
	s_or_b32 exec_lo, exec_lo, s20
	v_cmp_lt_u32_e64 s19, v35, v94
	s_and_saveexec_b32 s21, s19
	s_cbranch_execnz .LBB917_146
.LBB917_110:                            ;   in Loop: Header=BB917_64 Depth=2
	s_wait_alu 0xfffe
	s_or_b32 exec_lo, exec_lo, s21
	v_cmp_lt_u32_e64 s20, v36, v94
	s_and_saveexec_b32 s22, s20
	s_cbranch_execnz .LBB917_147
.LBB917_111:                            ;   in Loop: Header=BB917_64 Depth=2
	s_wait_alu 0xfffe
	s_or_b32 exec_lo, exec_lo, s22
	v_cmp_lt_u32_e64 s21, v37, v94
	s_and_saveexec_b32 s48, s21
	s_cbranch_execz .LBB917_113
.LBB917_112:                            ;   in Loop: Header=BB917_64 Depth=2
	ds_load_u16 v96, v48 offset:4608
	s_wait_dscnt 0x0
	v_and_b32_e32 v0, 0xffff, v96
	s_delay_alu instid0(VALU_DEP_1) | instskip(NEXT) | instid1(VALU_DEP_1)
	v_lshrrev_b32_e32 v0, s23, v0
	v_and_b32_e32 v0, s42, v0
	s_delay_alu instid0(VALU_DEP_1) | instskip(SKIP_3) | instid1(VALU_DEP_1)
	v_lshlrev_b32_e32 v0, 2, v0
	ds_load_b32 v0, v0
	s_wait_dscnt 0x0
	v_add_nc_u32_e32 v0, v0, v37
	v_lshlrev_b64_e32 v[5:6], 1, v[0:1]
	v_xor_b32_e32 v0, 0x7fff, v96
	s_delay_alu instid0(VALU_DEP_2) | instskip(SKIP_1) | instid1(VALU_DEP_3)
	v_add_co_u32 v5, s22, s38, v5
	s_wait_alu 0xf1ff
	v_add_co_ci_u32_e64 v6, null, s39, v6, s22
	global_store_b16 v[5:6], v0, off
.LBB917_113:                            ;   in Loop: Header=BB917_64 Depth=2
	s_wait_alu 0xfffe
	s_or_b32 exec_lo, exec_lo, s48
	s_lshl_b64 s[48:49], s[30:31], 3
	s_wait_alu 0xfffe
	v_add_co_u32 v5, s22, v80, s48
	s_wait_alu 0xf1ff
	v_add_co_ci_u32_e64 v6, null, s49, v81, s22
	v_cmp_lt_u32_e64 s22, v67, v94
	s_and_saveexec_b32 s30, s22
	s_wait_alu 0xfffe
	s_xor_b32 s22, exec_lo, s30
	s_cbranch_execnz .LBB917_148
; %bb.114:                              ;   in Loop: Header=BB917_64 Depth=2
	s_wait_alu 0xfffe
	s_or_b32 exec_lo, exec_lo, s22
	s_delay_alu instid0(SALU_CYCLE_1)
	s_mov_b32 s30, exec_lo
	v_cmpx_lt_u32_e64 v71, v94
	s_cbranch_execnz .LBB917_149
.LBB917_115:                            ;   in Loop: Header=BB917_64 Depth=2
	s_wait_alu 0xfffe
	s_or_b32 exec_lo, exec_lo, s30
	s_delay_alu instid0(SALU_CYCLE_1)
	s_mov_b32 s30, exec_lo
	v_cmpx_lt_u32_e64 v72, v94
	s_cbranch_execnz .LBB917_150
.LBB917_116:                            ;   in Loop: Header=BB917_64 Depth=2
	s_wait_alu 0xfffe
	s_or_b32 exec_lo, exec_lo, s30
	s_delay_alu instid0(SALU_CYCLE_1)
	s_mov_b32 s30, exec_lo
	v_cmpx_lt_u32_e64 v73, v94
	s_cbranch_execnz .LBB917_151
.LBB917_117:                            ;   in Loop: Header=BB917_64 Depth=2
	s_wait_alu 0xfffe
	s_or_b32 exec_lo, exec_lo, s30
	s_delay_alu instid0(SALU_CYCLE_1)
	s_mov_b32 s30, exec_lo
	v_cmpx_lt_u32_e64 v74, v94
	s_cbranch_execnz .LBB917_152
.LBB917_118:                            ;   in Loop: Header=BB917_64 Depth=2
	s_wait_alu 0xfffe
	s_or_b32 exec_lo, exec_lo, s30
	s_delay_alu instid0(SALU_CYCLE_1)
	s_mov_b32 s30, exec_lo
	v_cmpx_lt_u32_e64 v75, v94
	s_cbranch_execnz .LBB917_153
.LBB917_119:                            ;   in Loop: Header=BB917_64 Depth=2
	s_wait_alu 0xfffe
	s_or_b32 exec_lo, exec_lo, s30
	s_delay_alu instid0(SALU_CYCLE_1)
	s_mov_b32 s30, exec_lo
	v_cmpx_lt_u32_e64 v76, v94
	s_cbranch_execnz .LBB917_154
.LBB917_120:                            ;   in Loop: Header=BB917_64 Depth=2
	s_wait_alu 0xfffe
	s_or_b32 exec_lo, exec_lo, s30
	s_delay_alu instid0(SALU_CYCLE_1)
	s_mov_b32 s30, exec_lo
	v_cmpx_lt_u32_e64 v77, v94
	s_cbranch_execnz .LBB917_155
.LBB917_121:                            ;   in Loop: Header=BB917_64 Depth=2
	s_wait_alu 0xfffe
	s_or_b32 exec_lo, exec_lo, s30
	s_and_saveexec_b32 s22, vcc_lo
	s_cbranch_execnz .LBB917_156
.LBB917_122:                            ;   in Loop: Header=BB917_64 Depth=2
	s_wait_alu 0xfffe
	s_or_b32 exec_lo, exec_lo, s22
	s_and_saveexec_b32 s22, s15
	s_cbranch_execnz .LBB917_157
.LBB917_123:                            ;   in Loop: Header=BB917_64 Depth=2
	s_wait_alu 0xfffe
	s_or_b32 exec_lo, exec_lo, s22
	s_and_saveexec_b32 s22, s16
	s_cbranch_execnz .LBB917_158
.LBB917_124:                            ;   in Loop: Header=BB917_64 Depth=2
	s_wait_alu 0xfffe
	s_or_b32 exec_lo, exec_lo, s22
	s_and_saveexec_b32 s22, s17
	s_cbranch_execnz .LBB917_159
.LBB917_125:                            ;   in Loop: Header=BB917_64 Depth=2
	s_wait_alu 0xfffe
	s_or_b32 exec_lo, exec_lo, s22
	s_and_saveexec_b32 s22, s18
	s_cbranch_execnz .LBB917_160
.LBB917_126:                            ;   in Loop: Header=BB917_64 Depth=2
	s_wait_alu 0xfffe
	s_or_b32 exec_lo, exec_lo, s22
	s_and_saveexec_b32 s22, s19
	s_cbranch_execnz .LBB917_161
.LBB917_127:                            ;   in Loop: Header=BB917_64 Depth=2
	s_wait_alu 0xfffe
	s_or_b32 exec_lo, exec_lo, s22
	s_and_saveexec_b32 s22, s20
	s_cbranch_execnz .LBB917_162
.LBB917_128:                            ;   in Loop: Header=BB917_64 Depth=2
	s_wait_alu 0xfffe
	s_or_b32 exec_lo, exec_lo, s22
	s_and_saveexec_b32 s22, s21
	s_cbranch_execz .LBB917_130
.LBB917_129:                            ;   in Loop: Header=BB917_64 Depth=2
	ds_load_u16 v0, v48 offset:4608
	s_wait_dscnt 0x0
	v_lshrrev_b32_e32 v0, s23, v0
	s_delay_alu instid0(VALU_DEP_1)
	v_and_b32_e32 v86, s42, v0
.LBB917_130:                            ;   in Loop: Header=BB917_64 Depth=2
	s_wait_alu 0xfffe
	s_or_b32 exec_lo, exec_lo, s22
	v_lshlrev_b32_e32 v0, 3, v98
	v_lshlrev_b32_e32 v5, 3, v97
	;; [unrolled: 1-line block ×3, first 2 shown]
	s_wait_loadcnt 0x0
	s_wait_storecnt 0x0
	s_barrier_signal -1
	s_barrier_wait -1
	global_inv scope:SCOPE_SE
	ds_store_b64 v0, v[22:23] offset:1024
	ds_store_b64 v5, v[20:21] offset:1024
	;; [unrolled: 1-line block ×3, first 2 shown]
	v_lshlrev_b32_e32 v0, 3, v25
	v_lshlrev_b32_e32 v5, 3, v24
	;; [unrolled: 1-line block ×5, first 2 shown]
	ds_store_b64 v0, v[16:17] offset:1024
	ds_store_b64 v5, v[14:15] offset:1024
	;; [unrolled: 1-line block ×5, first 2 shown]
	s_wait_loadcnt_dscnt 0x0
	s_barrier_signal -1
	s_barrier_wait -1
	global_inv scope:SCOPE_SE
	s_and_saveexec_b32 s22, vcc_lo
	s_cbranch_execnz .LBB917_163
; %bb.131:                              ;   in Loop: Header=BB917_64 Depth=2
	s_wait_alu 0xfffe
	s_or_b32 exec_lo, exec_lo, s22
	s_and_saveexec_b32 s22, s15
	s_cbranch_execnz .LBB917_164
.LBB917_132:                            ;   in Loop: Header=BB917_64 Depth=2
	s_wait_alu 0xfffe
	s_or_b32 exec_lo, exec_lo, s22
	s_and_saveexec_b32 s15, s16
	s_cbranch_execnz .LBB917_165
.LBB917_133:                            ;   in Loop: Header=BB917_64 Depth=2
	s_wait_alu 0xfffe
	s_or_b32 exec_lo, exec_lo, s15
	s_and_saveexec_b32 s15, s17
	s_cbranch_execnz .LBB917_166
.LBB917_134:                            ;   in Loop: Header=BB917_64 Depth=2
	s_wait_alu 0xfffe
	s_or_b32 exec_lo, exec_lo, s15
	s_and_saveexec_b32 s15, s18
	s_cbranch_execnz .LBB917_167
.LBB917_135:                            ;   in Loop: Header=BB917_64 Depth=2
	s_wait_alu 0xfffe
	s_or_b32 exec_lo, exec_lo, s15
	s_and_saveexec_b32 s15, s19
	s_cbranch_execnz .LBB917_168
.LBB917_136:                            ;   in Loop: Header=BB917_64 Depth=2
	s_wait_alu 0xfffe
	s_or_b32 exec_lo, exec_lo, s15
	s_and_saveexec_b32 s15, s20
	s_cbranch_execnz .LBB917_169
.LBB917_137:                            ;   in Loop: Header=BB917_64 Depth=2
	s_wait_alu 0xfffe
	s_or_b32 exec_lo, exec_lo, s15
	s_and_saveexec_b32 s15, s21
	s_cbranch_execz .LBB917_139
.LBB917_138:                            ;   in Loop: Header=BB917_64 Depth=2
	v_lshlrev_b32_e32 v0, 2, v86
	v_add_nc_u32_e32 v5, v48, v49
	ds_load_b32 v0, v0
	ds_load_b64 v[5:6], v5 offset:15360
	s_wait_dscnt 0x1
	v_add_nc_u32_e32 v0, v0, v37
	s_delay_alu instid0(VALU_DEP_1) | instskip(NEXT) | instid1(VALU_DEP_1)
	v_lshlrev_b64_e32 v[24:25], 3, v[0:1]
	v_add_co_u32 v24, vcc_lo, s24, v24
	s_wait_alu 0xfffd
	s_delay_alu instid0(VALU_DEP_2)
	v_add_co_ci_u32_e64 v25, null, s25, v25, vcc_lo
	s_wait_dscnt 0x0
	global_store_b64 v[24:25], v[5:6], off
.LBB917_139:                            ;   in Loop: Header=BB917_64 Depth=2
	s_wait_alu 0xfffe
	s_or_b32 exec_lo, exec_lo, s15
	s_wait_loadcnt 0x0
	s_wait_storecnt 0x0
	s_barrier_signal -1
	s_barrier_wait -1
	global_inv scope:SCOPE_SE
	s_and_saveexec_b32 s15, s2
	s_cbranch_execz .LBB917_63
; %bb.140:                              ;   in Loop: Header=BB917_64 Depth=2
	ds_load_b32 v0, v28
	s_wait_dscnt 0x0
	v_add_nc_u32_e32 v0, v0, v7
	ds_store_b32 v28, v0
	s_branch .LBB917_63
.LBB917_141:                            ;   in Loop: Header=BB917_64 Depth=2
	ds_load_u16 v96, v48 offset:1024
	s_wait_dscnt 0x0
	v_and_b32_e32 v0, 0xffff, v96
	s_delay_alu instid0(VALU_DEP_1) | instskip(NEXT) | instid1(VALU_DEP_1)
	v_lshrrev_b32_e32 v0, s23, v0
	v_and_b32_e32 v0, s42, v0
	s_delay_alu instid0(VALU_DEP_1) | instskip(SKIP_3) | instid1(VALU_DEP_1)
	v_lshlrev_b32_e32 v0, 2, v0
	ds_load_b32 v0, v0
	s_wait_dscnt 0x0
	v_add_nc_u32_e32 v0, v0, v13
	v_lshlrev_b64_e32 v[5:6], 1, v[0:1]
	v_xor_b32_e32 v0, 0x7fff, v96
	s_delay_alu instid0(VALU_DEP_2) | instskip(SKIP_1) | instid1(VALU_DEP_3)
	v_add_co_u32 v5, s15, s38, v5
	s_wait_alu 0xf1ff
	v_add_co_ci_u32_e64 v6, null, s39, v6, s15
	global_store_b16 v[5:6], v0, off
	s_wait_alu 0xfffe
	s_or_b32 exec_lo, exec_lo, s16
	v_cmp_lt_u32_e64 s15, v29, v94
	s_and_saveexec_b32 s17, s15
	s_cbranch_execz .LBB917_106
.LBB917_142:                            ;   in Loop: Header=BB917_64 Depth=2
	ds_load_u16 v96, v48 offset:1536
	s_wait_dscnt 0x0
	v_and_b32_e32 v0, 0xffff, v96
	s_delay_alu instid0(VALU_DEP_1) | instskip(NEXT) | instid1(VALU_DEP_1)
	v_lshrrev_b32_e32 v0, s23, v0
	v_and_b32_e32 v0, s42, v0
	s_delay_alu instid0(VALU_DEP_1) | instskip(SKIP_3) | instid1(VALU_DEP_1)
	v_lshlrev_b32_e32 v0, 2, v0
	ds_load_b32 v0, v0
	s_wait_dscnt 0x0
	v_add_nc_u32_e32 v0, v0, v29
	v_lshlrev_b64_e32 v[5:6], 1, v[0:1]
	v_xor_b32_e32 v0, 0x7fff, v96
	s_delay_alu instid0(VALU_DEP_2) | instskip(SKIP_1) | instid1(VALU_DEP_3)
	v_add_co_u32 v5, s16, s38, v5
	s_wait_alu 0xf1ff
	v_add_co_ci_u32_e64 v6, null, s39, v6, s16
	global_store_b16 v[5:6], v0, off
	s_wait_alu 0xfffe
	s_or_b32 exec_lo, exec_lo, s17
	v_cmp_lt_u32_e64 s16, v30, v94
	s_and_saveexec_b32 s18, s16
	s_cbranch_execz .LBB917_107
.LBB917_143:                            ;   in Loop: Header=BB917_64 Depth=2
	ds_load_u16 v96, v48 offset:2048
	s_wait_dscnt 0x0
	v_and_b32_e32 v0, 0xffff, v96
	s_delay_alu instid0(VALU_DEP_1) | instskip(NEXT) | instid1(VALU_DEP_1)
	v_lshrrev_b32_e32 v0, s23, v0
	v_and_b32_e32 v0, s42, v0
	s_delay_alu instid0(VALU_DEP_1) | instskip(SKIP_3) | instid1(VALU_DEP_1)
	v_lshlrev_b32_e32 v0, 2, v0
	ds_load_b32 v0, v0
	s_wait_dscnt 0x0
	v_add_nc_u32_e32 v0, v0, v30
	v_lshlrev_b64_e32 v[5:6], 1, v[0:1]
	v_xor_b32_e32 v0, 0x7fff, v96
	s_delay_alu instid0(VALU_DEP_2) | instskip(SKIP_1) | instid1(VALU_DEP_3)
	v_add_co_u32 v5, s17, s38, v5
	s_wait_alu 0xf1ff
	v_add_co_ci_u32_e64 v6, null, s39, v6, s17
	global_store_b16 v[5:6], v0, off
	s_wait_alu 0xfffe
	s_or_b32 exec_lo, exec_lo, s18
	v_cmp_lt_u32_e64 s17, v31, v94
	s_and_saveexec_b32 s19, s17
	s_cbranch_execz .LBB917_108
.LBB917_144:                            ;   in Loop: Header=BB917_64 Depth=2
	ds_load_u16 v96, v48 offset:2560
	s_wait_dscnt 0x0
	v_and_b32_e32 v0, 0xffff, v96
	s_delay_alu instid0(VALU_DEP_1) | instskip(NEXT) | instid1(VALU_DEP_1)
	v_lshrrev_b32_e32 v0, s23, v0
	v_and_b32_e32 v0, s42, v0
	s_delay_alu instid0(VALU_DEP_1) | instskip(SKIP_3) | instid1(VALU_DEP_1)
	v_lshlrev_b32_e32 v0, 2, v0
	ds_load_b32 v0, v0
	s_wait_dscnt 0x0
	v_add_nc_u32_e32 v0, v0, v31
	v_lshlrev_b64_e32 v[5:6], 1, v[0:1]
	v_xor_b32_e32 v0, 0x7fff, v96
	s_delay_alu instid0(VALU_DEP_2) | instskip(SKIP_1) | instid1(VALU_DEP_3)
	v_add_co_u32 v5, s18, s38, v5
	s_wait_alu 0xf1ff
	v_add_co_ci_u32_e64 v6, null, s39, v6, s18
	global_store_b16 v[5:6], v0, off
	s_wait_alu 0xfffe
	s_or_b32 exec_lo, exec_lo, s19
	v_cmp_lt_u32_e64 s18, v34, v94
	s_and_saveexec_b32 s20, s18
	s_cbranch_execz .LBB917_109
.LBB917_145:                            ;   in Loop: Header=BB917_64 Depth=2
	ds_load_u16 v96, v48 offset:3072
	s_wait_dscnt 0x0
	v_and_b32_e32 v0, 0xffff, v96
	s_delay_alu instid0(VALU_DEP_1) | instskip(NEXT) | instid1(VALU_DEP_1)
	v_lshrrev_b32_e32 v0, s23, v0
	v_and_b32_e32 v0, s42, v0
	s_delay_alu instid0(VALU_DEP_1) | instskip(SKIP_3) | instid1(VALU_DEP_1)
	v_lshlrev_b32_e32 v0, 2, v0
	ds_load_b32 v0, v0
	s_wait_dscnt 0x0
	v_add_nc_u32_e32 v0, v0, v34
	v_lshlrev_b64_e32 v[5:6], 1, v[0:1]
	v_xor_b32_e32 v0, 0x7fff, v96
	s_delay_alu instid0(VALU_DEP_2) | instskip(SKIP_1) | instid1(VALU_DEP_3)
	v_add_co_u32 v5, s19, s38, v5
	s_wait_alu 0xf1ff
	v_add_co_ci_u32_e64 v6, null, s39, v6, s19
	global_store_b16 v[5:6], v0, off
	s_wait_alu 0xfffe
	s_or_b32 exec_lo, exec_lo, s20
	v_cmp_lt_u32_e64 s19, v35, v94
	s_and_saveexec_b32 s21, s19
	s_cbranch_execz .LBB917_110
.LBB917_146:                            ;   in Loop: Header=BB917_64 Depth=2
	ds_load_u16 v96, v48 offset:3584
	s_wait_dscnt 0x0
	v_and_b32_e32 v0, 0xffff, v96
	s_delay_alu instid0(VALU_DEP_1) | instskip(NEXT) | instid1(VALU_DEP_1)
	v_lshrrev_b32_e32 v0, s23, v0
	v_and_b32_e32 v0, s42, v0
	s_delay_alu instid0(VALU_DEP_1) | instskip(SKIP_3) | instid1(VALU_DEP_1)
	v_lshlrev_b32_e32 v0, 2, v0
	ds_load_b32 v0, v0
	s_wait_dscnt 0x0
	v_add_nc_u32_e32 v0, v0, v35
	v_lshlrev_b64_e32 v[5:6], 1, v[0:1]
	v_xor_b32_e32 v0, 0x7fff, v96
	s_delay_alu instid0(VALU_DEP_2) | instskip(SKIP_1) | instid1(VALU_DEP_3)
	v_add_co_u32 v5, s20, s38, v5
	s_wait_alu 0xf1ff
	v_add_co_ci_u32_e64 v6, null, s39, v6, s20
	global_store_b16 v[5:6], v0, off
	s_wait_alu 0xfffe
	s_or_b32 exec_lo, exec_lo, s21
	v_cmp_lt_u32_e64 s20, v36, v94
	s_and_saveexec_b32 s22, s20
	s_cbranch_execz .LBB917_111
.LBB917_147:                            ;   in Loop: Header=BB917_64 Depth=2
	ds_load_u16 v96, v48 offset:4096
	s_wait_dscnt 0x0
	v_and_b32_e32 v0, 0xffff, v96
	s_delay_alu instid0(VALU_DEP_1) | instskip(NEXT) | instid1(VALU_DEP_1)
	v_lshrrev_b32_e32 v0, s23, v0
	v_and_b32_e32 v0, s42, v0
	s_delay_alu instid0(VALU_DEP_1) | instskip(SKIP_3) | instid1(VALU_DEP_1)
	v_lshlrev_b32_e32 v0, 2, v0
	ds_load_b32 v0, v0
	s_wait_dscnt 0x0
	v_add_nc_u32_e32 v0, v0, v36
	v_lshlrev_b64_e32 v[5:6], 1, v[0:1]
	v_xor_b32_e32 v0, 0x7fff, v96
	s_delay_alu instid0(VALU_DEP_2) | instskip(SKIP_1) | instid1(VALU_DEP_3)
	v_add_co_u32 v5, s21, s38, v5
	s_wait_alu 0xf1ff
	v_add_co_ci_u32_e64 v6, null, s39, v6, s21
	global_store_b16 v[5:6], v0, off
	s_wait_alu 0xfffe
	s_or_b32 exec_lo, exec_lo, s22
	v_cmp_lt_u32_e64 s21, v37, v94
	s_and_saveexec_b32 s48, s21
	s_cbranch_execnz .LBB917_112
	s_branch .LBB917_113
.LBB917_148:                            ;   in Loop: Header=BB917_64 Depth=2
	global_load_b64 v[22:23], v[5:6], off
	s_wait_alu 0xfffe
	s_or_b32 exec_lo, exec_lo, s22
	s_delay_alu instid0(SALU_CYCLE_1)
	s_mov_b32 s30, exec_lo
	v_cmpx_lt_u32_e64 v71, v94
	s_cbranch_execz .LBB917_115
.LBB917_149:                            ;   in Loop: Header=BB917_64 Depth=2
	global_load_b64 v[20:21], v[5:6], off offset:256
	s_wait_alu 0xfffe
	s_or_b32 exec_lo, exec_lo, s30
	s_delay_alu instid0(SALU_CYCLE_1)
	s_mov_b32 s30, exec_lo
	v_cmpx_lt_u32_e64 v72, v94
	s_cbranch_execz .LBB917_116
.LBB917_150:                            ;   in Loop: Header=BB917_64 Depth=2
	global_load_b64 v[18:19], v[5:6], off offset:512
	s_wait_alu 0xfffe
	s_or_b32 exec_lo, exec_lo, s30
	s_delay_alu instid0(SALU_CYCLE_1)
	s_mov_b32 s30, exec_lo
	v_cmpx_lt_u32_e64 v73, v94
	s_cbranch_execz .LBB917_117
.LBB917_151:                            ;   in Loop: Header=BB917_64 Depth=2
	global_load_b64 v[16:17], v[5:6], off offset:768
	s_wait_alu 0xfffe
	s_or_b32 exec_lo, exec_lo, s30
	s_delay_alu instid0(SALU_CYCLE_1)
	s_mov_b32 s30, exec_lo
	v_cmpx_lt_u32_e64 v74, v94
	s_cbranch_execz .LBB917_118
.LBB917_152:                            ;   in Loop: Header=BB917_64 Depth=2
	global_load_b64 v[14:15], v[5:6], off offset:1024
	s_wait_alu 0xfffe
	s_or_b32 exec_lo, exec_lo, s30
	s_delay_alu instid0(SALU_CYCLE_1)
	s_mov_b32 s30, exec_lo
	v_cmpx_lt_u32_e64 v75, v94
	s_cbranch_execz .LBB917_119
.LBB917_153:                            ;   in Loop: Header=BB917_64 Depth=2
	global_load_b64 v[11:12], v[5:6], off offset:1280
	s_wait_alu 0xfffe
	s_or_b32 exec_lo, exec_lo, s30
	s_delay_alu instid0(SALU_CYCLE_1)
	s_mov_b32 s30, exec_lo
	v_cmpx_lt_u32_e64 v76, v94
	s_cbranch_execz .LBB917_120
.LBB917_154:                            ;   in Loop: Header=BB917_64 Depth=2
	global_load_b64 v[9:10], v[5:6], off offset:1536
	s_wait_alu 0xfffe
	s_or_b32 exec_lo, exec_lo, s30
	s_delay_alu instid0(SALU_CYCLE_1)
	s_mov_b32 s30, exec_lo
	v_cmpx_lt_u32_e64 v77, v94
	s_cbranch_execz .LBB917_121
.LBB917_155:                            ;   in Loop: Header=BB917_64 Depth=2
	global_load_b64 v[2:3], v[5:6], off offset:1792
	s_wait_alu 0xfffe
	s_or_b32 exec_lo, exec_lo, s30
	s_and_saveexec_b32 s22, vcc_lo
	s_cbranch_execz .LBB917_122
.LBB917_156:                            ;   in Loop: Header=BB917_64 Depth=2
	ds_load_u16 v0, v48 offset:1024
	s_wait_dscnt 0x0
	v_lshrrev_b32_e32 v0, s23, v0
	s_delay_alu instid0(VALU_DEP_1)
	v_and_b32_e32 v93, s42, v0
	s_wait_alu 0xfffe
	s_or_b32 exec_lo, exec_lo, s22
	s_and_saveexec_b32 s22, s15
	s_cbranch_execz .LBB917_123
.LBB917_157:                            ;   in Loop: Header=BB917_64 Depth=2
	ds_load_u16 v0, v48 offset:1536
	s_wait_dscnt 0x0
	v_lshrrev_b32_e32 v0, s23, v0
	s_delay_alu instid0(VALU_DEP_1)
	v_and_b32_e32 v92, s42, v0
	s_wait_alu 0xfffe
	s_or_b32 exec_lo, exec_lo, s22
	s_and_saveexec_b32 s22, s16
	s_cbranch_execz .LBB917_124
.LBB917_158:                            ;   in Loop: Header=BB917_64 Depth=2
	ds_load_u16 v0, v48 offset:2048
	s_wait_dscnt 0x0
	v_lshrrev_b32_e32 v0, s23, v0
	s_delay_alu instid0(VALU_DEP_1)
	v_and_b32_e32 v91, s42, v0
	s_wait_alu 0xfffe
	s_or_b32 exec_lo, exec_lo, s22
	s_and_saveexec_b32 s22, s17
	s_cbranch_execz .LBB917_125
.LBB917_159:                            ;   in Loop: Header=BB917_64 Depth=2
	ds_load_u16 v0, v48 offset:2560
	s_wait_dscnt 0x0
	v_lshrrev_b32_e32 v0, s23, v0
	s_delay_alu instid0(VALU_DEP_1)
	v_and_b32_e32 v90, s42, v0
	s_wait_alu 0xfffe
	s_or_b32 exec_lo, exec_lo, s22
	s_and_saveexec_b32 s22, s18
	s_cbranch_execz .LBB917_126
.LBB917_160:                            ;   in Loop: Header=BB917_64 Depth=2
	ds_load_u16 v0, v48 offset:3072
	s_wait_dscnt 0x0
	v_lshrrev_b32_e32 v0, s23, v0
	s_delay_alu instid0(VALU_DEP_1)
	v_and_b32_e32 v89, s42, v0
	s_wait_alu 0xfffe
	s_or_b32 exec_lo, exec_lo, s22
	s_and_saveexec_b32 s22, s19
	s_cbranch_execz .LBB917_127
.LBB917_161:                            ;   in Loop: Header=BB917_64 Depth=2
	ds_load_u16 v0, v48 offset:3584
	s_wait_dscnt 0x0
	v_lshrrev_b32_e32 v0, s23, v0
	s_delay_alu instid0(VALU_DEP_1)
	v_and_b32_e32 v88, s42, v0
	s_wait_alu 0xfffe
	s_or_b32 exec_lo, exec_lo, s22
	s_and_saveexec_b32 s22, s20
	s_cbranch_execz .LBB917_128
.LBB917_162:                            ;   in Loop: Header=BB917_64 Depth=2
	ds_load_u16 v0, v48 offset:4096
	s_wait_dscnt 0x0
	v_lshrrev_b32_e32 v0, s23, v0
	s_delay_alu instid0(VALU_DEP_1)
	v_and_b32_e32 v87, s42, v0
	s_wait_alu 0xfffe
	s_or_b32 exec_lo, exec_lo, s22
	s_and_saveexec_b32 s22, s21
	s_cbranch_execnz .LBB917_129
	s_branch .LBB917_130
.LBB917_163:                            ;   in Loop: Header=BB917_64 Depth=2
	v_lshlrev_b32_e32 v0, 2, v93
	v_add_nc_u32_e32 v5, v48, v49
	ds_load_b32 v0, v0
	ds_load_b64 v[5:6], v5 offset:1024
	s_wait_dscnt 0x1
	v_add_nc_u32_e32 v0, v0, v13
	s_delay_alu instid0(VALU_DEP_1) | instskip(NEXT) | instid1(VALU_DEP_1)
	v_lshlrev_b64_e32 v[24:25], 3, v[0:1]
	v_add_co_u32 v24, vcc_lo, s24, v24
	s_wait_alu 0xfffd
	s_delay_alu instid0(VALU_DEP_2)
	v_add_co_ci_u32_e64 v25, null, s25, v25, vcc_lo
	s_wait_dscnt 0x0
	global_store_b64 v[24:25], v[5:6], off
	s_wait_alu 0xfffe
	s_or_b32 exec_lo, exec_lo, s22
	s_and_saveexec_b32 s22, s15
	s_cbranch_execz .LBB917_132
.LBB917_164:                            ;   in Loop: Header=BB917_64 Depth=2
	v_lshlrev_b32_e32 v0, 2, v92
	v_add_nc_u32_e32 v5, v48, v49
	ds_load_b32 v0, v0
	ds_load_b64 v[5:6], v5 offset:3072
	s_wait_dscnt 0x1
	v_add_nc_u32_e32 v0, v0, v29
	s_delay_alu instid0(VALU_DEP_1) | instskip(NEXT) | instid1(VALU_DEP_1)
	v_lshlrev_b64_e32 v[24:25], 3, v[0:1]
	v_add_co_u32 v24, vcc_lo, s24, v24
	s_wait_alu 0xfffd
	s_delay_alu instid0(VALU_DEP_2)
	v_add_co_ci_u32_e64 v25, null, s25, v25, vcc_lo
	s_wait_dscnt 0x0
	global_store_b64 v[24:25], v[5:6], off
	s_wait_alu 0xfffe
	s_or_b32 exec_lo, exec_lo, s22
	s_and_saveexec_b32 s15, s16
	s_cbranch_execz .LBB917_133
.LBB917_165:                            ;   in Loop: Header=BB917_64 Depth=2
	v_lshlrev_b32_e32 v0, 2, v91
	v_add_nc_u32_e32 v5, v48, v49
	ds_load_b32 v0, v0
	ds_load_b64 v[5:6], v5 offset:5120
	s_wait_dscnt 0x1
	v_add_nc_u32_e32 v0, v0, v30
	s_delay_alu instid0(VALU_DEP_1) | instskip(NEXT) | instid1(VALU_DEP_1)
	v_lshlrev_b64_e32 v[24:25], 3, v[0:1]
	v_add_co_u32 v24, vcc_lo, s24, v24
	s_wait_alu 0xfffd
	s_delay_alu instid0(VALU_DEP_2)
	v_add_co_ci_u32_e64 v25, null, s25, v25, vcc_lo
	s_wait_dscnt 0x0
	global_store_b64 v[24:25], v[5:6], off
	s_wait_alu 0xfffe
	s_or_b32 exec_lo, exec_lo, s15
	s_and_saveexec_b32 s15, s17
	s_cbranch_execz .LBB917_134
.LBB917_166:                            ;   in Loop: Header=BB917_64 Depth=2
	v_lshlrev_b32_e32 v0, 2, v90
	v_add_nc_u32_e32 v5, v48, v49
	ds_load_b32 v0, v0
	ds_load_b64 v[5:6], v5 offset:7168
	s_wait_dscnt 0x1
	v_add_nc_u32_e32 v0, v0, v31
	s_delay_alu instid0(VALU_DEP_1) | instskip(NEXT) | instid1(VALU_DEP_1)
	v_lshlrev_b64_e32 v[24:25], 3, v[0:1]
	v_add_co_u32 v24, vcc_lo, s24, v24
	s_wait_alu 0xfffd
	s_delay_alu instid0(VALU_DEP_2)
	v_add_co_ci_u32_e64 v25, null, s25, v25, vcc_lo
	s_wait_dscnt 0x0
	global_store_b64 v[24:25], v[5:6], off
	s_wait_alu 0xfffe
	s_or_b32 exec_lo, exec_lo, s15
	s_and_saveexec_b32 s15, s18
	s_cbranch_execz .LBB917_135
.LBB917_167:                            ;   in Loop: Header=BB917_64 Depth=2
	v_lshlrev_b32_e32 v0, 2, v89
	v_add_nc_u32_e32 v5, v48, v49
	ds_load_b32 v0, v0
	ds_load_b64 v[5:6], v5 offset:9216
	s_wait_dscnt 0x1
	v_add_nc_u32_e32 v0, v0, v34
	s_delay_alu instid0(VALU_DEP_1) | instskip(NEXT) | instid1(VALU_DEP_1)
	v_lshlrev_b64_e32 v[24:25], 3, v[0:1]
	v_add_co_u32 v24, vcc_lo, s24, v24
	s_wait_alu 0xfffd
	s_delay_alu instid0(VALU_DEP_2)
	v_add_co_ci_u32_e64 v25, null, s25, v25, vcc_lo
	s_wait_dscnt 0x0
	global_store_b64 v[24:25], v[5:6], off
	s_wait_alu 0xfffe
	s_or_b32 exec_lo, exec_lo, s15
	s_and_saveexec_b32 s15, s19
	s_cbranch_execz .LBB917_136
.LBB917_168:                            ;   in Loop: Header=BB917_64 Depth=2
	v_lshlrev_b32_e32 v0, 2, v88
	v_add_nc_u32_e32 v5, v48, v49
	ds_load_b32 v0, v0
	ds_load_b64 v[5:6], v5 offset:11264
	s_wait_dscnt 0x1
	v_add_nc_u32_e32 v0, v0, v35
	s_delay_alu instid0(VALU_DEP_1) | instskip(NEXT) | instid1(VALU_DEP_1)
	v_lshlrev_b64_e32 v[24:25], 3, v[0:1]
	v_add_co_u32 v24, vcc_lo, s24, v24
	s_wait_alu 0xfffd
	s_delay_alu instid0(VALU_DEP_2)
	v_add_co_ci_u32_e64 v25, null, s25, v25, vcc_lo
	s_wait_dscnt 0x0
	global_store_b64 v[24:25], v[5:6], off
	s_wait_alu 0xfffe
	s_or_b32 exec_lo, exec_lo, s15
	s_and_saveexec_b32 s15, s20
	s_cbranch_execz .LBB917_137
.LBB917_169:                            ;   in Loop: Header=BB917_64 Depth=2
	v_lshlrev_b32_e32 v0, 2, v87
	v_add_nc_u32_e32 v5, v48, v49
	ds_load_b32 v0, v0
	ds_load_b64 v[5:6], v5 offset:13312
	s_wait_dscnt 0x1
	v_add_nc_u32_e32 v0, v0, v36
	s_delay_alu instid0(VALU_DEP_1) | instskip(NEXT) | instid1(VALU_DEP_1)
	v_lshlrev_b64_e32 v[24:25], 3, v[0:1]
	v_add_co_u32 v24, vcc_lo, s24, v24
	s_wait_alu 0xfffd
	s_delay_alu instid0(VALU_DEP_2)
	v_add_co_ci_u32_e64 v25, null, s25, v25, vcc_lo
	s_wait_dscnt 0x0
	global_store_b64 v[24:25], v[5:6], off
	s_wait_alu 0xfffe
	s_or_b32 exec_lo, exec_lo, s15
	s_and_saveexec_b32 s15, s21
	s_cbranch_execnz .LBB917_138
	s_branch .LBB917_139
.LBB917_170:                            ;   in Loop: Header=BB917_64 Depth=2
	v_bfrev_b32_e32 v5, 1
	v_dual_mov_b32 v6, v4 :: v_dual_mov_b32 v7, v4
	v_mov_b32_e32 v8, v4
	global_load_d16_b16 v5, v[24:25], off
	s_wait_alu 0xfffe
	s_or_b32 exec_lo, exec_lo, s15
	s_delay_alu instid0(SALU_CYCLE_1)
	s_mov_b32 s15, exec_lo
	v_cmpx_gt_u32_e64 s43, v71
	s_cbranch_execz .LBB917_69
.LBB917_171:                            ;   in Loop: Header=BB917_64 Depth=2
	s_wait_loadcnt 0x0
	global_load_d16_hi_b16 v5, v[24:25], off offset:64
	s_wait_alu 0xfffe
	s_or_b32 exec_lo, exec_lo, s15
	s_delay_alu instid0(SALU_CYCLE_1)
	s_mov_b32 s15, exec_lo
	v_cmpx_gt_u32_e64 s43, v72
	s_cbranch_execz .LBB917_70
.LBB917_172:                            ;   in Loop: Header=BB917_64 Depth=2
	global_load_d16_b16 v6, v[24:25], off offset:128
	s_wait_alu 0xfffe
	s_or_b32 exec_lo, exec_lo, s15
	s_delay_alu instid0(SALU_CYCLE_1)
	s_mov_b32 s15, exec_lo
	v_cmpx_gt_u32_e64 s43, v73
	s_cbranch_execz .LBB917_71
.LBB917_173:                            ;   in Loop: Header=BB917_64 Depth=2
	s_wait_loadcnt 0x0
	global_load_d16_hi_b16 v6, v[24:25], off offset:192
	s_wait_alu 0xfffe
	s_or_b32 exec_lo, exec_lo, s15
	s_delay_alu instid0(SALU_CYCLE_1)
	s_mov_b32 s15, exec_lo
	v_cmpx_gt_u32_e64 s43, v74
	s_cbranch_execz .LBB917_72
.LBB917_174:                            ;   in Loop: Header=BB917_64 Depth=2
	global_load_d16_b16 v7, v[24:25], off offset:256
	s_wait_alu 0xfffe
	s_or_b32 exec_lo, exec_lo, s15
	s_delay_alu instid0(SALU_CYCLE_1)
	s_mov_b32 s15, exec_lo
	v_cmpx_gt_u32_e64 s43, v75
	s_cbranch_execz .LBB917_73
.LBB917_175:                            ;   in Loop: Header=BB917_64 Depth=2
	s_wait_loadcnt 0x0
	global_load_d16_hi_b16 v7, v[24:25], off offset:320
	s_wait_alu 0xfffe
	s_or_b32 exec_lo, exec_lo, s15
	s_delay_alu instid0(SALU_CYCLE_1)
	s_mov_b32 s15, exec_lo
	v_cmpx_gt_u32_e64 s43, v76
	s_cbranch_execnz .LBB917_74
	s_branch .LBB917_75
.LBB917_176:                            ;   in Loop: Header=BB917_12 Depth=1
	s_wait_loadcnt_dscnt 0x0
	s_barrier_signal -1
	s_mov_b32 s0, 0
	s_barrier_wait -1
.LBB917_177:                            ;   in Loop: Header=BB917_12 Depth=1
	s_wait_alu 0xfffe
	s_and_b32 vcc_lo, exec_lo, s0
	s_wait_alu 0xfffe
	s_cbranch_vccz .LBB917_341
; %bb.178:                              ;   in Loop: Header=BB917_12 Depth=1
	v_dual_mov_b32 v0, v1 :: v_dual_mov_b32 v3, v1
	v_mov_b32_e32 v2, v1
	s_mov_b32 s9, s47
	s_mov_b32 s30, s33
	s_barrier_signal -1
	s_delay_alu instid0(VALU_DEP_1)
	v_dual_mov_b32 v8, v3 :: v_dual_mov_b32 v7, v2
	v_dual_mov_b32 v6, v1 :: v_dual_mov_b32 v5, v0
	s_barrier_wait -1
	global_inv scope:SCOPE_SE
	s_branch .LBB917_180
.LBB917_179:                            ;   in Loop: Header=BB917_180 Depth=2
	s_wait_alu 0xfffe
	s_or_b32 exec_lo, exec_lo, s0
	s_addk_co_i32 s9, 0xf800
	s_cmp_ge_u32 s10, s34
	s_mov_b32 s30, s10
	s_cbranch_scc1 .LBB917_216
.LBB917_180:                            ;   Parent Loop BB917_12 Depth=1
                                        ; =>  This Inner Loop Header: Depth=2
	s_wait_alu 0xfffe
	s_add_co_i32 s10, s30, 0x800
	s_mov_b32 s0, -1
	s_wait_alu 0xfffe
	s_cmp_gt_u32 s10, s34
                                        ; implicit-def: $vgpr9_vgpr10_vgpr11_vgpr12
	s_cbranch_scc1 .LBB917_182
; %bb.181:                              ;   in Loop: Header=BB917_180 Depth=2
	s_lshl_b64 s[0:1], s[30:31], 1
	s_wait_alu 0xfffe
	v_add_co_u32 v2, vcc_lo, v50, s0
	s_wait_alu 0xfffd
	v_add_co_ci_u32_e64 v3, null, s1, v51, vcc_lo
	s_mov_b32 s0, 0
	s_clause 0x3
	global_load_u16 v9, v[2:3], off
	global_load_u16 v10, v[2:3], off offset:1024
	global_load_u16 v11, v[2:3], off offset:2048
	;; [unrolled: 1-line block ×3, first 2 shown]
	s_wait_loadcnt 0x3
	global_load_d16_hi_b16 v9, v[2:3], off offset:512
	s_wait_loadcnt 0x3
	global_load_d16_hi_b16 v10, v[2:3], off offset:1536
	;; [unrolled: 2-line block ×4, first 2 shown]
.LBB917_182:                            ;   in Loop: Header=BB917_180 Depth=2
	s_wait_alu 0xfffe
	s_and_not1_b32 vcc_lo, exec_lo, s0
	s_movk_i32 s0, 0x800
	s_wait_alu 0xfffe
	s_cbranch_vccnz .LBB917_193
; %bb.183:                              ;   in Loop: Header=BB917_180 Depth=2
	s_lshl_b64 s[0:1], s[30:31], 1
	s_mov_b32 s11, exec_lo
	s_wait_alu 0xfffe
	s_add_nc_u64 s[0:1], s[38:39], s[0:1]
	v_cmpx_gt_u32_e64 s9, v13
	s_cbranch_execnz .LBB917_209
; %bb.184:                              ;   in Loop: Header=BB917_180 Depth=2
	s_or_b32 exec_lo, exec_lo, s11
	s_delay_alu instid0(SALU_CYCLE_1)
	s_mov_b32 s11, exec_lo
	v_cmpx_gt_u32_e64 s9, v29
	s_cbranch_execnz .LBB917_210
.LBB917_185:                            ;   in Loop: Header=BB917_180 Depth=2
	s_wait_alu 0xfffe
	s_or_b32 exec_lo, exec_lo, s11
	s_delay_alu instid0(SALU_CYCLE_1)
	s_mov_b32 s11, exec_lo
	v_cmpx_gt_u32_e64 s9, v30
	s_cbranch_execnz .LBB917_211
.LBB917_186:                            ;   in Loop: Header=BB917_180 Depth=2
	s_wait_alu 0xfffe
	s_or_b32 exec_lo, exec_lo, s11
	s_delay_alu instid0(SALU_CYCLE_1)
	s_mov_b32 s11, exec_lo
	v_cmpx_gt_u32_e64 s9, v31
	s_cbranch_execnz .LBB917_212
.LBB917_187:                            ;   in Loop: Header=BB917_180 Depth=2
	s_wait_alu 0xfffe
	s_or_b32 exec_lo, exec_lo, s11
	s_delay_alu instid0(SALU_CYCLE_1)
	s_mov_b32 s11, exec_lo
	v_cmpx_gt_u32_e64 s9, v34
	s_cbranch_execnz .LBB917_213
.LBB917_188:                            ;   in Loop: Header=BB917_180 Depth=2
	s_wait_alu 0xfffe
	s_or_b32 exec_lo, exec_lo, s11
	s_delay_alu instid0(SALU_CYCLE_1)
	s_mov_b32 s11, exec_lo
	v_cmpx_gt_u32_e64 s9, v35
	s_cbranch_execnz .LBB917_214
.LBB917_189:                            ;   in Loop: Header=BB917_180 Depth=2
	s_wait_alu 0xfffe
	s_or_b32 exec_lo, exec_lo, s11
	s_delay_alu instid0(SALU_CYCLE_1)
	s_mov_b32 s11, exec_lo
	v_cmpx_gt_u32_e64 s9, v36
	s_cbranch_execnz .LBB917_215
.LBB917_190:                            ;   in Loop: Header=BB917_180 Depth=2
	s_wait_alu 0xfffe
	s_or_b32 exec_lo, exec_lo, s11
	s_delay_alu instid0(SALU_CYCLE_1)
	s_mov_b32 s11, exec_lo
	v_cmpx_gt_u32_e64 s9, v37
	s_cbranch_execz .LBB917_192
.LBB917_191:                            ;   in Loop: Header=BB917_180 Depth=2
	s_wait_loadcnt 0x0
	global_load_d16_hi_b16 v8, v79, s[0:1] offset:3584
.LBB917_192:                            ;   in Loop: Header=BB917_180 Depth=2
	s_wait_alu 0xfffe
	s_or_b32 exec_lo, exec_lo, s11
	s_wait_loadcnt 0x0
	v_dual_mov_b32 v12, v8 :: v_dual_mov_b32 v11, v7
	v_dual_mov_b32 v10, v6 :: v_dual_mov_b32 v9, v5
	s_mov_b32 s0, s9
.LBB917_193:                            ;   in Loop: Header=BB917_180 Depth=2
	s_wait_loadcnt 0x0
	s_delay_alu instid0(VALU_DEP_1)
	v_dual_mov_b32 v5, v9 :: v_dual_mov_b32 v6, v10
	v_dual_mov_b32 v7, v11 :: v_dual_mov_b32 v8, v12
	s_mov_b32 s1, exec_lo
	s_wait_alu 0xfffe
	v_cmpx_gt_u32_e64 s0, v13
	s_cbranch_execnz .LBB917_201
; %bb.194:                              ;   in Loop: Header=BB917_180 Depth=2
	s_or_b32 exec_lo, exec_lo, s1
	s_delay_alu instid0(SALU_CYCLE_1)
	s_mov_b32 s1, exec_lo
	v_cmpx_gt_u32_e64 s0, v29
	s_cbranch_execnz .LBB917_202
.LBB917_195:                            ;   in Loop: Header=BB917_180 Depth=2
	s_wait_alu 0xfffe
	s_or_b32 exec_lo, exec_lo, s1
	s_delay_alu instid0(SALU_CYCLE_1)
	s_mov_b32 s1, exec_lo
	v_cmpx_gt_u32_e64 s0, v30
	s_cbranch_execnz .LBB917_203
.LBB917_196:                            ;   in Loop: Header=BB917_180 Depth=2
	s_wait_alu 0xfffe
	s_or_b32 exec_lo, exec_lo, s1
	s_delay_alu instid0(SALU_CYCLE_1)
	s_mov_b32 s1, exec_lo
	v_cmpx_gt_u32_e64 s0, v31
	s_cbranch_execnz .LBB917_204
.LBB917_197:                            ;   in Loop: Header=BB917_180 Depth=2
	s_wait_alu 0xfffe
	s_or_b32 exec_lo, exec_lo, s1
	s_delay_alu instid0(SALU_CYCLE_1)
	s_mov_b32 s1, exec_lo
	v_cmpx_gt_u32_e64 s0, v34
	s_cbranch_execnz .LBB917_205
.LBB917_198:                            ;   in Loop: Header=BB917_180 Depth=2
	s_wait_alu 0xfffe
	s_or_b32 exec_lo, exec_lo, s1
	s_delay_alu instid0(SALU_CYCLE_1)
	s_mov_b32 s1, exec_lo
	v_cmpx_gt_u32_e64 s0, v35
	s_cbranch_execnz .LBB917_206
.LBB917_199:                            ;   in Loop: Header=BB917_180 Depth=2
	s_wait_alu 0xfffe
	s_or_b32 exec_lo, exec_lo, s1
	s_delay_alu instid0(SALU_CYCLE_1)
	s_mov_b32 s1, exec_lo
	v_cmpx_gt_u32_e64 s0, v36
	s_cbranch_execnz .LBB917_207
.LBB917_200:                            ;   in Loop: Header=BB917_180 Depth=2
	s_wait_alu 0xfffe
	s_or_b32 exec_lo, exec_lo, s1
	v_cmp_gt_u32_e32 vcc_lo, s0, v37
	s_and_saveexec_b32 s0, vcc_lo
	s_cbranch_execz .LBB917_179
	s_branch .LBB917_208
.LBB917_201:                            ;   in Loop: Header=BB917_180 Depth=2
	v_xor_b32_e32 v0, 0x7fff, v5
	s_delay_alu instid0(VALU_DEP_1) | instskip(NEXT) | instid1(VALU_DEP_1)
	v_and_b32_e32 v0, 0xffff, v0
	v_lshrrev_b32_e32 v0, s23, v0
	s_delay_alu instid0(VALU_DEP_1) | instskip(NEXT) | instid1(VALU_DEP_1)
	v_and_b32_e32 v0, s42, v0
	v_lshl_or_b32 v0, v0, 4, v39
	ds_add_u32 v0, v63
	s_or_b32 exec_lo, exec_lo, s1
	s_delay_alu instid0(SALU_CYCLE_1)
	s_mov_b32 s1, exec_lo
	v_cmpx_gt_u32_e64 s0, v29
	s_cbranch_execz .LBB917_195
.LBB917_202:                            ;   in Loop: Header=BB917_180 Depth=2
	v_lshrrev_b32_e32 v0, 16, v5
	s_delay_alu instid0(VALU_DEP_1) | instskip(NEXT) | instid1(VALU_DEP_1)
	v_xor_b32_e32 v0, 0x7fff, v0
	v_and_b32_e32 v0, 0xffff, v0
	s_delay_alu instid0(VALU_DEP_1) | instskip(NEXT) | instid1(VALU_DEP_1)
	v_lshrrev_b32_e32 v0, s23, v0
	v_and_b32_e32 v0, s42, v0
	s_delay_alu instid0(VALU_DEP_1) | instskip(SKIP_3) | instid1(SALU_CYCLE_1)
	v_lshl_or_b32 v0, v0, 4, v39
	ds_add_u32 v0, v63
	s_wait_alu 0xfffe
	s_or_b32 exec_lo, exec_lo, s1
	s_mov_b32 s1, exec_lo
	v_cmpx_gt_u32_e64 s0, v30
	s_cbranch_execz .LBB917_196
.LBB917_203:                            ;   in Loop: Header=BB917_180 Depth=2
	v_xor_b32_e32 v0, 0x7fff, v6
	s_delay_alu instid0(VALU_DEP_1) | instskip(NEXT) | instid1(VALU_DEP_1)
	v_and_b32_e32 v0, 0xffff, v0
	v_lshrrev_b32_e32 v0, s23, v0
	s_delay_alu instid0(VALU_DEP_1) | instskip(NEXT) | instid1(VALU_DEP_1)
	v_and_b32_e32 v0, s42, v0
	v_lshl_or_b32 v0, v0, 4, v39
	ds_add_u32 v0, v63
	s_wait_alu 0xfffe
	s_or_b32 exec_lo, exec_lo, s1
	s_delay_alu instid0(SALU_CYCLE_1)
	s_mov_b32 s1, exec_lo
	v_cmpx_gt_u32_e64 s0, v31
	s_cbranch_execz .LBB917_197
.LBB917_204:                            ;   in Loop: Header=BB917_180 Depth=2
	v_lshrrev_b32_e32 v0, 16, v6
	s_delay_alu instid0(VALU_DEP_1) | instskip(NEXT) | instid1(VALU_DEP_1)
	v_xor_b32_e32 v0, 0x7fff, v0
	v_and_b32_e32 v0, 0xffff, v0
	s_delay_alu instid0(VALU_DEP_1) | instskip(NEXT) | instid1(VALU_DEP_1)
	v_lshrrev_b32_e32 v0, s23, v0
	v_and_b32_e32 v0, s42, v0
	s_delay_alu instid0(VALU_DEP_1) | instskip(SKIP_3) | instid1(SALU_CYCLE_1)
	v_lshl_or_b32 v0, v0, 4, v39
	ds_add_u32 v0, v63
	s_wait_alu 0xfffe
	s_or_b32 exec_lo, exec_lo, s1
	s_mov_b32 s1, exec_lo
	v_cmpx_gt_u32_e64 s0, v34
	s_cbranch_execz .LBB917_198
.LBB917_205:                            ;   in Loop: Header=BB917_180 Depth=2
	v_xor_b32_e32 v0, 0x7fff, v7
	s_delay_alu instid0(VALU_DEP_1) | instskip(NEXT) | instid1(VALU_DEP_1)
	v_and_b32_e32 v0, 0xffff, v0
	v_lshrrev_b32_e32 v0, s23, v0
	s_delay_alu instid0(VALU_DEP_1) | instskip(NEXT) | instid1(VALU_DEP_1)
	v_and_b32_e32 v0, s42, v0
	v_lshl_or_b32 v0, v0, 4, v39
	ds_add_u32 v0, v63
	s_wait_alu 0xfffe
	s_or_b32 exec_lo, exec_lo, s1
	s_delay_alu instid0(SALU_CYCLE_1)
	s_mov_b32 s1, exec_lo
	v_cmpx_gt_u32_e64 s0, v35
	s_cbranch_execz .LBB917_199
.LBB917_206:                            ;   in Loop: Header=BB917_180 Depth=2
	v_lshrrev_b32_e32 v0, 16, v7
	s_delay_alu instid0(VALU_DEP_1) | instskip(NEXT) | instid1(VALU_DEP_1)
	v_xor_b32_e32 v0, 0x7fff, v0
	v_and_b32_e32 v0, 0xffff, v0
	s_delay_alu instid0(VALU_DEP_1) | instskip(NEXT) | instid1(VALU_DEP_1)
	v_lshrrev_b32_e32 v0, s23, v0
	v_and_b32_e32 v0, s42, v0
	s_delay_alu instid0(VALU_DEP_1) | instskip(SKIP_3) | instid1(SALU_CYCLE_1)
	v_lshl_or_b32 v0, v0, 4, v39
	ds_add_u32 v0, v63
	s_wait_alu 0xfffe
	s_or_b32 exec_lo, exec_lo, s1
	s_mov_b32 s1, exec_lo
	v_cmpx_gt_u32_e64 s0, v36
	s_cbranch_execz .LBB917_200
.LBB917_207:                            ;   in Loop: Header=BB917_180 Depth=2
	v_xor_b32_e32 v0, 0x7fff, v8
	s_delay_alu instid0(VALU_DEP_1) | instskip(NEXT) | instid1(VALU_DEP_1)
	v_and_b32_e32 v0, 0xffff, v0
	v_lshrrev_b32_e32 v0, s23, v0
	s_delay_alu instid0(VALU_DEP_1) | instskip(NEXT) | instid1(VALU_DEP_1)
	v_and_b32_e32 v0, s42, v0
	v_lshl_or_b32 v0, v0, 4, v39
	ds_add_u32 v0, v63
	s_wait_alu 0xfffe
	s_or_b32 exec_lo, exec_lo, s1
	v_cmp_gt_u32_e32 vcc_lo, s0, v37
	s_and_saveexec_b32 s0, vcc_lo
	s_cbranch_execz .LBB917_179
.LBB917_208:                            ;   in Loop: Header=BB917_180 Depth=2
	v_lshrrev_b32_e32 v0, 16, v8
	s_delay_alu instid0(VALU_DEP_1) | instskip(NEXT) | instid1(VALU_DEP_1)
	v_xor_b32_e32 v0, 0x7fff, v0
	v_and_b32_e32 v0, 0xffff, v0
	s_delay_alu instid0(VALU_DEP_1) | instskip(NEXT) | instid1(VALU_DEP_1)
	v_lshrrev_b32_e32 v0, s23, v0
	v_and_b32_e32 v0, s42, v0
	s_delay_alu instid0(VALU_DEP_1)
	v_lshl_or_b32 v0, v0, 4, v39
	ds_add_u32 v0, v63
	s_branch .LBB917_179
.LBB917_209:                            ;   in Loop: Header=BB917_180 Depth=2
	global_load_d16_b16 v5, v79, s[0:1]
	s_or_b32 exec_lo, exec_lo, s11
	s_delay_alu instid0(SALU_CYCLE_1)
	s_mov_b32 s11, exec_lo
	v_cmpx_gt_u32_e64 s9, v29
	s_cbranch_execz .LBB917_185
.LBB917_210:                            ;   in Loop: Header=BB917_180 Depth=2
	s_wait_loadcnt 0x0
	global_load_d16_hi_b16 v5, v79, s[0:1] offset:512
	s_wait_alu 0xfffe
	s_or_b32 exec_lo, exec_lo, s11
	s_delay_alu instid0(SALU_CYCLE_1)
	s_mov_b32 s11, exec_lo
	v_cmpx_gt_u32_e64 s9, v30
	s_cbranch_execz .LBB917_186
.LBB917_211:                            ;   in Loop: Header=BB917_180 Depth=2
	global_load_d16_b16 v6, v79, s[0:1] offset:1024
	s_wait_alu 0xfffe
	s_or_b32 exec_lo, exec_lo, s11
	s_delay_alu instid0(SALU_CYCLE_1)
	s_mov_b32 s11, exec_lo
	v_cmpx_gt_u32_e64 s9, v31
	s_cbranch_execz .LBB917_187
.LBB917_212:                            ;   in Loop: Header=BB917_180 Depth=2
	s_wait_loadcnt 0x0
	global_load_d16_hi_b16 v6, v79, s[0:1] offset:1536
	s_wait_alu 0xfffe
	s_or_b32 exec_lo, exec_lo, s11
	s_delay_alu instid0(SALU_CYCLE_1)
	s_mov_b32 s11, exec_lo
	v_cmpx_gt_u32_e64 s9, v34
	s_cbranch_execz .LBB917_188
.LBB917_213:                            ;   in Loop: Header=BB917_180 Depth=2
	global_load_d16_b16 v7, v79, s[0:1] offset:2048
	s_wait_alu 0xfffe
	s_or_b32 exec_lo, exec_lo, s11
	s_delay_alu instid0(SALU_CYCLE_1)
	s_mov_b32 s11, exec_lo
	v_cmpx_gt_u32_e64 s9, v35
	s_cbranch_execz .LBB917_189
.LBB917_214:                            ;   in Loop: Header=BB917_180 Depth=2
	s_wait_loadcnt 0x0
	global_load_d16_hi_b16 v7, v79, s[0:1] offset:2560
	s_wait_alu 0xfffe
	s_or_b32 exec_lo, exec_lo, s11
	s_delay_alu instid0(SALU_CYCLE_1)
	s_mov_b32 s11, exec_lo
	v_cmpx_gt_u32_e64 s9, v36
	s_cbranch_execz .LBB917_190
.LBB917_215:                            ;   in Loop: Header=BB917_180 Depth=2
	global_load_d16_b16 v8, v79, s[0:1] offset:3072
	s_wait_alu 0xfffe
	s_or_b32 exec_lo, exec_lo, s11
	s_delay_alu instid0(SALU_CYCLE_1)
	s_mov_b32 s11, exec_lo
	v_cmpx_gt_u32_e64 s9, v37
	s_cbranch_execnz .LBB917_191
	s_branch .LBB917_192
.LBB917_216:                            ;   in Loop: Header=BB917_12 Depth=1
	v_mov_b32_e32 v0, 0
	s_wait_dscnt 0x0
	s_barrier_signal -1
	s_barrier_wait -1
	global_inv scope:SCOPE_SE
	s_and_saveexec_b32 s0, s2
	s_cbranch_execz .LBB917_218
; %bb.217:                              ;   in Loop: Header=BB917_12 Depth=1
	ds_load_2addr_b64 v[5:8], v40 offset1:1
	s_wait_dscnt 0x0
	v_add_nc_u32_e32 v0, v6, v5
	s_delay_alu instid0(VALU_DEP_1)
	v_add3_u32 v0, v0, v7, v8
.LBB917_218:                            ;   in Loop: Header=BB917_12 Depth=1
	s_wait_alu 0xfffe
	s_or_b32 exec_lo, exec_lo, s0
	s_delay_alu instid0(VALU_DEP_1)
	v_mov_b32_dpp v2, v0 row_shr:1 row_mask:0xf bank_mask:0xf
	v_cmp_eq_u32_e64 s0, 0, v64
	v_cmp_lt_u32_e64 s1, 1, v64
	v_cmp_lt_u32_e64 s9, 3, v64
	;; [unrolled: 1-line block ×3, first 2 shown]
	v_cmp_eq_u32_e64 s11, 0, v66
	s_wait_alu 0xf1ff
	v_cndmask_b32_e64 v2, v2, 0, s0
	s_delay_alu instid0(VALU_DEP_1) | instskip(NEXT) | instid1(VALU_DEP_1)
	v_add_nc_u32_e32 v0, v2, v0
	v_mov_b32_dpp v2, v0 row_shr:2 row_mask:0xf bank_mask:0xf
	s_delay_alu instid0(VALU_DEP_1) | instskip(NEXT) | instid1(VALU_DEP_1)
	v_cndmask_b32_e64 v2, 0, v2, s1
	v_add_nc_u32_e32 v0, v0, v2
	s_delay_alu instid0(VALU_DEP_1) | instskip(NEXT) | instid1(VALU_DEP_1)
	v_mov_b32_dpp v2, v0 row_shr:4 row_mask:0xf bank_mask:0xf
	v_cndmask_b32_e64 v2, 0, v2, s9
	s_delay_alu instid0(VALU_DEP_1) | instskip(NEXT) | instid1(VALU_DEP_1)
	v_add_nc_u32_e32 v0, v0, v2
	v_mov_b32_dpp v2, v0 row_shr:8 row_mask:0xf bank_mask:0xf
	s_delay_alu instid0(VALU_DEP_1) | instskip(NEXT) | instid1(VALU_DEP_1)
	v_cndmask_b32_e64 v2, 0, v2, s10
	v_add_nc_u32_e32 v0, v0, v2
	ds_swizzle_b32 v2, v0 offset:swizzle(BROADCAST,32,15)
	s_wait_dscnt 0x0
	v_and_b32_e32 v2, v65, v2
	s_delay_alu instid0(VALU_DEP_1)
	v_add_nc_u32_e32 v0, v0, v2
	s_and_saveexec_b32 s12, s3
; %bb.219:                              ;   in Loop: Header=BB917_12 Depth=1
	ds_store_b32 v41, v0
; %bb.220:                              ;   in Loop: Header=BB917_12 Depth=1
	s_wait_alu 0xfffe
	s_or_b32 exec_lo, exec_lo, s12
	s_wait_loadcnt_dscnt 0x0
	s_barrier_signal -1
	s_barrier_wait -1
	global_inv scope:SCOPE_SE
	s_and_saveexec_b32 s12, s4
	s_cbranch_execz .LBB917_222
; %bb.221:                              ;   in Loop: Header=BB917_12 Depth=1
	ds_load_b32 v2, v42
	v_cmp_ne_u32_e32 vcc_lo, 0, v68
	s_wait_dscnt 0x0
	v_mov_b32_dpp v3, v2 row_shr:1 row_mask:0xf bank_mask:0xf
	s_wait_alu 0xfffd
	s_delay_alu instid0(VALU_DEP_1) | instskip(SKIP_1) | instid1(VALU_DEP_2)
	v_cndmask_b32_e32 v3, 0, v3, vcc_lo
	v_cmp_lt_u32_e32 vcc_lo, 1, v68
	v_add_nc_u32_e32 v2, v3, v2
	s_delay_alu instid0(VALU_DEP_1) | instskip(SKIP_1) | instid1(VALU_DEP_1)
	v_mov_b32_dpp v3, v2 row_shr:2 row_mask:0xf bank_mask:0xf
	s_wait_alu 0xfffd
	v_cndmask_b32_e32 v3, 0, v3, vcc_lo
	v_cmp_lt_u32_e32 vcc_lo, 3, v68
	s_delay_alu instid0(VALU_DEP_2) | instskip(NEXT) | instid1(VALU_DEP_1)
	v_add_nc_u32_e32 v2, v2, v3
	v_mov_b32_dpp v3, v2 row_shr:4 row_mask:0xf bank_mask:0xf
	s_wait_alu 0xfffd
	s_delay_alu instid0(VALU_DEP_1) | instskip(NEXT) | instid1(VALU_DEP_1)
	v_cndmask_b32_e32 v3, 0, v3, vcc_lo
	v_add_nc_u32_e32 v2, v2, v3
	ds_store_b32 v42, v2
.LBB917_222:                            ;   in Loop: Header=BB917_12 Depth=1
	s_wait_alu 0xfffe
	s_or_b32 exec_lo, exec_lo, s12
	v_mov_b32_e32 v2, 0
	s_wait_loadcnt_dscnt 0x0
	s_barrier_signal -1
	s_barrier_wait -1
	global_inv scope:SCOPE_SE
	s_and_saveexec_b32 s12, s5
; %bb.223:                              ;   in Loop: Header=BB917_12 Depth=1
	ds_load_b32 v2, v44
; %bb.224:                              ;   in Loop: Header=BB917_12 Depth=1
	s_wait_alu 0xfffe
	s_or_b32 exec_lo, exec_lo, s12
	v_cmp_gt_i32_e32 vcc_lo, 0, v69
	s_wait_dscnt 0x0
	v_add_nc_u32_e32 v0, v2, v0
	s_wait_loadcnt 0x0
	s_barrier_signal -1
	s_barrier_wait -1
	s_wait_alu 0xfffd
	v_cndmask_b32_e32 v3, v69, v60, vcc_lo
	global_inv scope:SCOPE_SE
	v_lshlrev_b32_e32 v84, 2, v3
	ds_bpermute_b32 v0, v84, v0
	s_and_saveexec_b32 s12, s2
	s_cbranch_execz .LBB917_226
; %bb.225:                              ;   in Loop: Header=BB917_12 Depth=1
	s_wait_dscnt 0x0
	v_cndmask_b32_e64 v0, v0, v2, s8
	s_delay_alu instid0(VALU_DEP_1)
	v_add_nc_u32_e32 v0, s33, v0
	ds_store_b32 v28, v0
.LBB917_226:                            ;   in Loop: Header=BB917_12 Depth=1
	s_wait_alu 0xfffe
	s_or_b32 exec_lo, exec_lo, s12
	s_load_b64 s[12:13], s[28:29], 0x0
	v_add_co_u32 v85, vcc_lo, v52, v70
	s_wait_alu 0xfffd
	v_add_co_ci_u32_e64 v86, null, 0, v53, vcc_lo
	v_add_co_u32 v87, vcc_lo, v54, v78
	s_wait_alu 0xfffd
	v_add_co_ci_u32_e64 v88, null, 0, v55, vcc_lo
	s_mov_b32 s43, s47
                                        ; implicit-def: $vgpr9_vgpr10
                                        ; implicit-def: $vgpr11_vgpr12
                                        ; implicit-def: $vgpr16_vgpr17
                                        ; implicit-def: $vgpr18_vgpr19
                                        ; implicit-def: $vgpr20_vgpr21
                                        ; implicit-def: $vgpr22_vgpr23
                                        ; implicit-def: $vgpr90
                                        ; implicit-def: $vgpr91
                                        ; implicit-def: $vgpr92
                                        ; implicit-def: $vgpr93
                                        ; implicit-def: $vgpr94
                                        ; implicit-def: $vgpr95
                                        ; implicit-def: $vgpr96
                                        ; implicit-def: $vgpr97
	s_wait_kmcnt 0x0
	s_cmp_lt_u32 ttmp7, s13
	s_cselect_b32 s30, 14, 20
	s_cmp_lt_u32 ttmp9, s12
	s_wait_alu 0xfffe
	s_add_nc_u64 s[14:15], s[28:29], s[30:31]
	s_cselect_b32 s30, 12, 18
	s_load_u16 s14, s[14:15], 0x0
	s_add_nc_u64 s[12:13], s[28:29], s[30:31]
	s_mov_b32 s30, s33
	s_load_u16 s12, s[12:13], 0x0
	v_cmp_lt_u32_e64 s13, 1, v68
	s_wait_dscnt 0x0
	s_wait_kmcnt 0x0
	v_mad_u32_u24 v0, v45, s14, v46
	v_cmp_lt_u32_e64 s14, 3, v68
	s_delay_alu instid0(VALU_DEP_2) | instskip(SKIP_1) | instid1(VALU_DEP_2)
	v_mad_co_u64_u32 v[2:3], null, v0, s12, v[13:14]
	v_cmp_eq_u32_e64 s12, 0, v68
                                        ; implicit-def: $vgpr14_vgpr15
	v_lshrrev_b32_e32 v0, 3, v2
                                        ; implicit-def: $vgpr2_vgpr3
	s_delay_alu instid0(VALU_DEP_1)
	v_and_b32_e32 v89, 0x1ffffffc, v0
	s_branch .LBB917_228
.LBB917_227:                            ;   in Loop: Header=BB917_228 Depth=2
	s_wait_alu 0xfffe
	s_or_b32 exec_lo, exec_lo, s15
	s_addk_co_i32 s43, 0xf800
	s_cmp_lt_u32 s44, s34
	s_mov_b32 s30, s44
	s_cbranch_scc0 .LBB917_340
.LBB917_228:                            ;   Parent Loop BB917_12 Depth=1
                                        ; =>  This Inner Loop Header: Depth=2
	s_wait_alu 0xfffe
	s_add_co_i32 s44, s30, 0x800
	s_wait_alu 0xfffe
	s_cmp_gt_u32 s44, s34
	s_cbranch_scc1 .LBB917_230
; %bb.229:                              ;   in Loop: Header=BB917_228 Depth=2
	s_lshl_b64 s[16:17], s[30:31], 1
	s_mov_b32 s15, -1
	s_wait_alu 0xfffe
	v_add_co_u32 v24, vcc_lo, v87, s16
	s_wait_alu 0xfffd
	v_add_co_ci_u32_e64 v25, null, s17, v88, vcc_lo
	s_clause 0x3
	global_load_u16 v5, v[24:25], off
	global_load_u16 v6, v[24:25], off offset:128
	global_load_u16 v7, v[24:25], off offset:256
	global_load_d16_b16 v8, v[24:25], off offset:384
	s_wait_loadcnt 0x3
	global_load_d16_hi_b16 v5, v[24:25], off offset:64
	s_wait_loadcnt 0x3
	global_load_d16_hi_b16 v6, v[24:25], off offset:192
	;; [unrolled: 2-line block ×3, first 2 shown]
	s_movk_i32 s16, 0x800
	s_cbranch_execz .LBB917_231
	s_branch .LBB917_240
.LBB917_230:                            ;   in Loop: Header=BB917_228 Depth=2
	s_mov_b32 s15, 0
                                        ; implicit-def: $vgpr5_vgpr6_vgpr7_vgpr8
	s_movk_i32 s16, 0x800
.LBB917_231:                            ;   in Loop: Header=BB917_228 Depth=2
	s_wait_loadcnt 0x0
	v_mov_b32_e32 v7, v4
	s_lshl_b64 s[16:17], s[30:31], 1
	v_dual_mov_b32 v5, v4 :: v_dual_mov_b32 v6, v4
	s_wait_alu 0xfffe
	v_add_co_u32 v24, vcc_lo, v87, s16
	v_mov_b32_e32 v8, v7
	s_wait_alu 0xfffd
	v_add_co_ci_u32_e64 v25, null, s17, v88, vcc_lo
	v_mov_b32_e32 v7, v6
	v_mov_b32_e32 v6, v5
	;; [unrolled: 1-line block ×3, first 2 shown]
	s_mov_b32 s15, exec_lo
	v_cmpx_gt_u32_e64 s43, v67
	s_cbranch_execnz .LBB917_334
; %bb.232:                              ;   in Loop: Header=BB917_228 Depth=2
	s_wait_alu 0xfffe
	s_or_b32 exec_lo, exec_lo, s15
	s_delay_alu instid0(SALU_CYCLE_1)
	s_mov_b32 s15, exec_lo
	v_cmpx_gt_u32_e64 s43, v71
	s_cbranch_execnz .LBB917_335
.LBB917_233:                            ;   in Loop: Header=BB917_228 Depth=2
	s_wait_alu 0xfffe
	s_or_b32 exec_lo, exec_lo, s15
	s_delay_alu instid0(SALU_CYCLE_1)
	s_mov_b32 s15, exec_lo
	v_cmpx_gt_u32_e64 s43, v72
	s_cbranch_execnz .LBB917_336
.LBB917_234:                            ;   in Loop: Header=BB917_228 Depth=2
	s_wait_alu 0xfffe
	s_or_b32 exec_lo, exec_lo, s15
	s_delay_alu instid0(SALU_CYCLE_1)
	s_mov_b32 s15, exec_lo
	v_cmpx_gt_u32_e64 s43, v73
	s_cbranch_execnz .LBB917_337
.LBB917_235:                            ;   in Loop: Header=BB917_228 Depth=2
	s_wait_alu 0xfffe
	s_or_b32 exec_lo, exec_lo, s15
	s_delay_alu instid0(SALU_CYCLE_1)
	s_mov_b32 s15, exec_lo
	v_cmpx_gt_u32_e64 s43, v74
	s_cbranch_execnz .LBB917_338
.LBB917_236:                            ;   in Loop: Header=BB917_228 Depth=2
	s_wait_alu 0xfffe
	s_or_b32 exec_lo, exec_lo, s15
	s_delay_alu instid0(SALU_CYCLE_1)
	s_mov_b32 s15, exec_lo
	v_cmpx_gt_u32_e64 s43, v75
	s_cbranch_execnz .LBB917_339
.LBB917_237:                            ;   in Loop: Header=BB917_228 Depth=2
	s_wait_alu 0xfffe
	s_or_b32 exec_lo, exec_lo, s15
	s_delay_alu instid0(SALU_CYCLE_1)
	s_mov_b32 s15, exec_lo
	v_cmpx_gt_u32_e64 s43, v76
	s_cbranch_execz .LBB917_239
.LBB917_238:                            ;   in Loop: Header=BB917_228 Depth=2
	global_load_d16_b16 v8, v[24:25], off offset:384
.LBB917_239:                            ;   in Loop: Header=BB917_228 Depth=2
	s_wait_alu 0xfffe
	s_or_b32 exec_lo, exec_lo, s15
	v_cmp_gt_u32_e64 s15, s43, v77
	s_sub_co_i32 s16, s34, s30
.LBB917_240:                            ;   in Loop: Header=BB917_228 Depth=2
	v_mov_b32_e32 v98, s43
	s_and_saveexec_b32 s17, s15
	s_cbranch_execz .LBB917_242
; %bb.241:                              ;   in Loop: Header=BB917_228 Depth=2
	s_lshl_b64 s[18:19], s[30:31], 1
	s_wait_alu 0xfffe
	v_mov_b32_e32 v98, s16
	v_add_co_u32 v24, vcc_lo, v87, s18
	s_wait_alu 0xfffd
	v_add_co_ci_u32_e64 v25, null, s19, v88, vcc_lo
	s_wait_loadcnt 0x0
	global_load_d16_hi_b16 v8, v[24:25], off offset:448
.LBB917_242:                            ;   in Loop: Header=BB917_228 Depth=2
	s_wait_alu 0xfffe
	s_or_b32 exec_lo, exec_lo, s17
	s_wait_loadcnt 0x0
	v_xor_b32_e32 v0, 0x7fff, v5
	s_delay_alu instid0(VALU_DEP_1) | instskip(NEXT) | instid1(VALU_DEP_1)
	v_and_b32_e32 v24, 0xffff, v0
	v_lshrrev_b32_e32 v24, s23, v24
	s_delay_alu instid0(VALU_DEP_1) | instskip(NEXT) | instid1(VALU_DEP_1)
	v_and_b32_e32 v25, s42, v24
	v_and_b32_e32 v24, 1, v25
	v_lshlrev_b32_e32 v26, 30, v25
	v_lshlrev_b32_e32 v27, 29, v25
	;; [unrolled: 1-line block ×4, first 2 shown]
	v_add_co_u32 v24, s15, v24, -1
	s_wait_alu 0xf1ff
	v_cndmask_b32_e64 v100, 0, 1, s15
	v_not_b32_e32 v104, v26
	v_cmp_gt_i32_e64 s15, 0, v26
	v_not_b32_e32 v26, v27
	v_lshlrev_b32_e32 v102, 26, v25
	v_cmp_ne_u32_e32 vcc_lo, 0, v100
	v_ashrrev_i32_e32 v104, 31, v104
	v_lshlrev_b32_e32 v103, 25, v25
	v_ashrrev_i32_e32 v26, 31, v26
	v_lshlrev_b32_e32 v100, 24, v25
	s_wait_alu 0xfffd
	v_xor_b32_e32 v24, vcc_lo, v24
	v_cmp_gt_i32_e32 vcc_lo, 0, v27
	v_not_b32_e32 v27, v99
	s_wait_alu 0xf1ff
	v_xor_b32_e32 v104, s15, v104
	v_cmp_gt_i32_e64 s15, 0, v99
	v_and_b32_e32 v24, exec_lo, v24
	v_not_b32_e32 v99, v101
	v_ashrrev_i32_e32 v27, 31, v27
	s_wait_alu 0xfffd
	v_xor_b32_e32 v26, vcc_lo, v26
	v_cmp_gt_i32_e32 vcc_lo, 0, v101
	v_and_b32_e32 v24, v24, v104
	v_not_b32_e32 v101, v102
	v_ashrrev_i32_e32 v99, 31, v99
	s_wait_alu 0xf1ff
	v_xor_b32_e32 v27, s15, v27
	v_cmp_gt_i32_e64 s15, 0, v102
	v_and_b32_e32 v24, v24, v26
	v_not_b32_e32 v26, v103
	v_ashrrev_i32_e32 v101, 31, v101
	s_wait_alu 0xfffd
	v_xor_b32_e32 v99, vcc_lo, v99
	v_cmp_gt_i32_e32 vcc_lo, 0, v103
	v_and_b32_e32 v24, v24, v27
	v_not_b32_e32 v27, v100
	v_ashrrev_i32_e32 v26, 31, v26
	s_wait_alu 0xf1ff
	v_xor_b32_e32 v101, s15, v101
	v_cmp_gt_i32_e64 s15, 0, v100
	v_and_b32_e32 v24, v24, v99
	v_ashrrev_i32_e32 v27, 31, v27
	s_wait_alu 0xfffd
	v_xor_b32_e32 v26, vcc_lo, v26
	v_mul_u32_u24_e32 v25, 36, v25
	v_add_nc_u32_e32 v102, 0x420, v43
	v_and_b32_e32 v24, v24, v101
	s_wait_alu 0xf1ff
	v_xor_b32_e32 v27, s15, v27
	v_add_nc_u32_e32 v101, 0x438, v43
	v_add_nc_u32_e32 v103, 0x428, v43
	;; [unrolled: 1-line block ×3, first 2 shown]
	v_and_b32_e32 v24, v24, v26
	v_add_nc_u32_e32 v105, v89, v25
	ds_store_2addr_b32 v101, v1, v1 offset1:1
	ds_store_2addr_b32 v102, v1, v1 offset1:1
	;; [unrolled: 1-line block ×4, first 2 shown]
	ds_store_b32 v43, v1 offset:1088
	s_wait_dscnt 0x0
	v_and_b32_e32 v24, v24, v27
	s_barrier_signal -1
	s_barrier_wait -1
	global_inv scope:SCOPE_SE
	v_mbcnt_lo_u32_b32 v99, v24, 0
	v_cmp_ne_u32_e64 s15, 0, v24
	; wave barrier
	s_delay_alu instid0(VALU_DEP_2)
	v_cmp_eq_u32_e32 vcc_lo, 0, v99
	s_and_b32 s16, s15, vcc_lo
	s_wait_alu 0xfffe
	s_and_saveexec_b32 s15, s16
; %bb.243:                              ;   in Loop: Header=BB917_228 Depth=2
	v_bcnt_u32_b32 v24, v24, 0
	ds_store_b32 v105, v24 offset:1056
; %bb.244:                              ;   in Loop: Header=BB917_228 Depth=2
	s_wait_alu 0xfffe
	s_or_b32 exec_lo, exec_lo, s15
	v_lshrrev_b32_e32 v5, 16, v5
	; wave barrier
	s_delay_alu instid0(VALU_DEP_1) | instskip(NEXT) | instid1(VALU_DEP_1)
	v_xor_b32_e32 v100, 0x7fff, v5
	v_and_b32_e32 v5, 0xffff, v100
	s_delay_alu instid0(VALU_DEP_1) | instskip(NEXT) | instid1(VALU_DEP_1)
	v_lshrrev_b32_e32 v5, s23, v5
	v_and_b32_e32 v24, s42, v5
	s_delay_alu instid0(VALU_DEP_1)
	v_and_b32_e32 v5, 1, v24
	v_lshlrev_b32_e32 v25, 30, v24
	v_lshlrev_b32_e32 v26, 29, v24
	;; [unrolled: 1-line block ×4, first 2 shown]
	v_add_co_u32 v5, s15, v5, -1
	s_wait_alu 0xf1ff
	v_cndmask_b32_e64 v106, 0, 1, s15
	v_not_b32_e32 v110, v25
	v_cmp_gt_i32_e64 s15, 0, v25
	v_not_b32_e32 v25, v26
	v_lshlrev_b32_e32 v108, 26, v24
	v_cmp_ne_u32_e32 vcc_lo, 0, v106
	v_ashrrev_i32_e32 v110, 31, v110
	v_lshlrev_b32_e32 v109, 25, v24
	v_ashrrev_i32_e32 v25, 31, v25
	v_lshlrev_b32_e32 v106, 24, v24
	s_wait_alu 0xfffd
	v_xor_b32_e32 v5, vcc_lo, v5
	v_cmp_gt_i32_e32 vcc_lo, 0, v26
	v_not_b32_e32 v26, v27
	s_wait_alu 0xf1ff
	v_xor_b32_e32 v110, s15, v110
	v_cmp_gt_i32_e64 s15, 0, v27
	v_and_b32_e32 v5, exec_lo, v5
	v_not_b32_e32 v27, v107
	v_ashrrev_i32_e32 v26, 31, v26
	s_wait_alu 0xfffd
	v_xor_b32_e32 v25, vcc_lo, v25
	v_cmp_gt_i32_e32 vcc_lo, 0, v107
	v_and_b32_e32 v5, v5, v110
	v_not_b32_e32 v107, v108
	v_ashrrev_i32_e32 v27, 31, v27
	s_wait_alu 0xf1ff
	v_xor_b32_e32 v26, s15, v26
	v_cmp_gt_i32_e64 s15, 0, v108
	v_and_b32_e32 v5, v5, v25
	v_not_b32_e32 v25, v109
	v_ashrrev_i32_e32 v107, 31, v107
	s_wait_alu 0xfffd
	v_xor_b32_e32 v27, vcc_lo, v27
	v_cmp_gt_i32_e32 vcc_lo, 0, v109
	v_and_b32_e32 v5, v5, v26
	v_not_b32_e32 v26, v106
	v_ashrrev_i32_e32 v25, 31, v25
	s_wait_alu 0xf1ff
	v_xor_b32_e32 v107, s15, v107
	v_cmp_gt_i32_e64 s15, 0, v106
	v_and_b32_e32 v5, v5, v27
	v_ashrrev_i32_e32 v26, 31, v26
	s_wait_alu 0xfffd
	v_xor_b32_e32 v25, vcc_lo, v25
	v_mad_u32_u24 v27, v24, 36, v89
	v_mul_u32_u24_e32 v24, 36, v24
	v_and_b32_e32 v5, v5, v107
	s_wait_alu 0xf1ff
	v_xor_b32_e32 v26, s15, v26
	ds_load_b32 v106, v27 offset:1056
	v_add_nc_u32_e32 v109, v89, v24
	v_and_b32_e32 v5, v5, v25
	; wave barrier
	s_delay_alu instid0(VALU_DEP_1) | instskip(NEXT) | instid1(VALU_DEP_1)
	v_and_b32_e32 v5, v5, v26
	v_mbcnt_lo_u32_b32 v107, v5, 0
	v_cmp_ne_u32_e64 s15, 0, v5
	s_delay_alu instid0(VALU_DEP_2)
	v_cmp_eq_u32_e32 vcc_lo, 0, v107
	s_and_b32 s16, s15, vcc_lo
	s_wait_alu 0xfffe
	s_and_saveexec_b32 s15, s16
	s_cbranch_execz .LBB917_246
; %bb.245:                              ;   in Loop: Header=BB917_228 Depth=2
	s_wait_dscnt 0x0
	v_bcnt_u32_b32 v5, v5, v106
	ds_store_b32 v109, v5 offset:1056
.LBB917_246:                            ;   in Loop: Header=BB917_228 Depth=2
	s_wait_alu 0xfffe
	s_or_b32 exec_lo, exec_lo, s15
	v_xor_b32_e32 v108, 0x7fff, v6
	; wave barrier
	s_delay_alu instid0(VALU_DEP_1) | instskip(NEXT) | instid1(VALU_DEP_1)
	v_and_b32_e32 v5, 0xffff, v108
	v_lshrrev_b32_e32 v5, s23, v5
	s_delay_alu instid0(VALU_DEP_1) | instskip(NEXT) | instid1(VALU_DEP_1)
	v_and_b32_e32 v24, s42, v5
	v_and_b32_e32 v5, 1, v24
	v_lshlrev_b32_e32 v25, 30, v24
	v_lshlrev_b32_e32 v26, 29, v24
	;; [unrolled: 1-line block ×4, first 2 shown]
	v_add_co_u32 v5, s15, v5, -1
	s_wait_alu 0xf1ff
	v_cndmask_b32_e64 v110, 0, 1, s15
	v_not_b32_e32 v114, v25
	v_cmp_gt_i32_e64 s15, 0, v25
	v_not_b32_e32 v25, v26
	v_lshlrev_b32_e32 v112, 26, v24
	v_cmp_ne_u32_e32 vcc_lo, 0, v110
	v_ashrrev_i32_e32 v114, 31, v114
	v_lshlrev_b32_e32 v113, 25, v24
	v_ashrrev_i32_e32 v25, 31, v25
	v_lshlrev_b32_e32 v110, 24, v24
	s_wait_alu 0xfffd
	v_xor_b32_e32 v5, vcc_lo, v5
	v_cmp_gt_i32_e32 vcc_lo, 0, v26
	v_not_b32_e32 v26, v27
	s_wait_alu 0xf1ff
	v_xor_b32_e32 v114, s15, v114
	v_cmp_gt_i32_e64 s15, 0, v27
	v_and_b32_e32 v5, exec_lo, v5
	v_not_b32_e32 v27, v111
	v_ashrrev_i32_e32 v26, 31, v26
	s_wait_alu 0xfffd
	v_xor_b32_e32 v25, vcc_lo, v25
	v_cmp_gt_i32_e32 vcc_lo, 0, v111
	v_and_b32_e32 v5, v5, v114
	v_not_b32_e32 v111, v112
	v_ashrrev_i32_e32 v27, 31, v27
	s_wait_alu 0xf1ff
	v_xor_b32_e32 v26, s15, v26
	v_cmp_gt_i32_e64 s15, 0, v112
	v_and_b32_e32 v5, v5, v25
	v_not_b32_e32 v25, v113
	v_ashrrev_i32_e32 v111, 31, v111
	s_wait_alu 0xfffd
	v_xor_b32_e32 v27, vcc_lo, v27
	v_cmp_gt_i32_e32 vcc_lo, 0, v113
	v_and_b32_e32 v5, v5, v26
	v_not_b32_e32 v26, v110
	v_ashrrev_i32_e32 v25, 31, v25
	s_wait_alu 0xf1ff
	v_xor_b32_e32 v111, s15, v111
	v_cmp_gt_i32_e64 s15, 0, v110
	v_and_b32_e32 v5, v5, v27
	v_ashrrev_i32_e32 v26, 31, v26
	s_wait_alu 0xfffd
	v_xor_b32_e32 v25, vcc_lo, v25
	v_mad_u32_u24 v27, v24, 36, v89
	v_mul_u32_u24_e32 v24, 36, v24
	v_and_b32_e32 v5, v5, v111
	s_wait_alu 0xf1ff
	v_xor_b32_e32 v26, s15, v26
	ds_load_b32 v110, v27 offset:1056
	v_add_nc_u32_e32 v113, v89, v24
	v_and_b32_e32 v5, v5, v25
	; wave barrier
	s_delay_alu instid0(VALU_DEP_1) | instskip(NEXT) | instid1(VALU_DEP_1)
	v_and_b32_e32 v5, v5, v26
	v_mbcnt_lo_u32_b32 v112, v5, 0
	v_cmp_ne_u32_e64 s15, 0, v5
	s_delay_alu instid0(VALU_DEP_2)
	v_cmp_eq_u32_e32 vcc_lo, 0, v112
	s_and_b32 s16, s15, vcc_lo
	s_wait_alu 0xfffe
	s_and_saveexec_b32 s15, s16
	s_cbranch_execz .LBB917_248
; %bb.247:                              ;   in Loop: Header=BB917_228 Depth=2
	s_wait_dscnt 0x0
	v_bcnt_u32_b32 v5, v5, v110
	ds_store_b32 v113, v5 offset:1056
.LBB917_248:                            ;   in Loop: Header=BB917_228 Depth=2
	s_wait_alu 0xfffe
	s_or_b32 exec_lo, exec_lo, s15
	v_lshrrev_b32_e32 v5, 16, v6
	; wave barrier
	s_delay_alu instid0(VALU_DEP_1) | instskip(NEXT) | instid1(VALU_DEP_1)
	v_xor_b32_e32 v111, 0x7fff, v5
	v_and_b32_e32 v5, 0xffff, v111
	s_delay_alu instid0(VALU_DEP_1) | instskip(NEXT) | instid1(VALU_DEP_1)
	v_lshrrev_b32_e32 v5, s23, v5
	v_and_b32_e32 v6, s42, v5
	s_delay_alu instid0(VALU_DEP_1)
	v_and_b32_e32 v5, 1, v6
	v_lshlrev_b32_e32 v24, 30, v6
	v_lshlrev_b32_e32 v25, 29, v6
	;; [unrolled: 1-line block ×4, first 2 shown]
	v_add_co_u32 v5, s15, v5, -1
	s_wait_alu 0xf1ff
	v_cndmask_b32_e64 v27, 0, 1, s15
	v_not_b32_e32 v117, v24
	v_cmp_gt_i32_e64 s15, 0, v24
	v_not_b32_e32 v24, v25
	v_lshlrev_b32_e32 v115, 26, v6
	v_cmp_ne_u32_e32 vcc_lo, 0, v27
	v_ashrrev_i32_e32 v117, 31, v117
	v_lshlrev_b32_e32 v116, 25, v6
	v_ashrrev_i32_e32 v24, 31, v24
	v_lshlrev_b32_e32 v27, 24, v6
	s_wait_alu 0xfffd
	v_xor_b32_e32 v5, vcc_lo, v5
	v_cmp_gt_i32_e32 vcc_lo, 0, v25
	v_not_b32_e32 v25, v26
	s_wait_alu 0xf1ff
	v_xor_b32_e32 v117, s15, v117
	v_cmp_gt_i32_e64 s15, 0, v26
	v_and_b32_e32 v5, exec_lo, v5
	v_not_b32_e32 v26, v114
	v_ashrrev_i32_e32 v25, 31, v25
	s_wait_alu 0xfffd
	v_xor_b32_e32 v24, vcc_lo, v24
	v_cmp_gt_i32_e32 vcc_lo, 0, v114
	v_and_b32_e32 v5, v5, v117
	v_not_b32_e32 v114, v115
	v_ashrrev_i32_e32 v26, 31, v26
	s_wait_alu 0xf1ff
	v_xor_b32_e32 v25, s15, v25
	v_cmp_gt_i32_e64 s15, 0, v115
	v_and_b32_e32 v5, v5, v24
	v_not_b32_e32 v24, v116
	v_ashrrev_i32_e32 v114, 31, v114
	s_wait_alu 0xfffd
	v_xor_b32_e32 v26, vcc_lo, v26
	v_cmp_gt_i32_e32 vcc_lo, 0, v116
	v_and_b32_e32 v5, v5, v25
	v_not_b32_e32 v25, v27
	v_ashrrev_i32_e32 v24, 31, v24
	s_wait_alu 0xf1ff
	v_xor_b32_e32 v114, s15, v114
	v_cmp_gt_i32_e64 s15, 0, v27
	v_and_b32_e32 v5, v5, v26
	v_ashrrev_i32_e32 v25, 31, v25
	s_wait_alu 0xfffd
	v_xor_b32_e32 v24, vcc_lo, v24
	v_mad_u32_u24 v26, v6, 36, v89
	v_mul_u32_u24_e32 v6, 36, v6
	v_and_b32_e32 v5, v5, v114
	s_wait_alu 0xf1ff
	v_xor_b32_e32 v25, s15, v25
	ds_load_b32 v114, v26 offset:1056
	v_add_nc_u32_e32 v117, v89, v6
	v_and_b32_e32 v5, v5, v24
	; wave barrier
	s_delay_alu instid0(VALU_DEP_1) | instskip(NEXT) | instid1(VALU_DEP_1)
	v_and_b32_e32 v5, v5, v25
	v_mbcnt_lo_u32_b32 v116, v5, 0
	v_cmp_ne_u32_e64 s15, 0, v5
	s_delay_alu instid0(VALU_DEP_2)
	v_cmp_eq_u32_e32 vcc_lo, 0, v116
	s_and_b32 s16, s15, vcc_lo
	s_wait_alu 0xfffe
	s_and_saveexec_b32 s15, s16
	s_cbranch_execz .LBB917_250
; %bb.249:                              ;   in Loop: Header=BB917_228 Depth=2
	s_wait_dscnt 0x0
	v_bcnt_u32_b32 v5, v5, v114
	ds_store_b32 v117, v5 offset:1056
.LBB917_250:                            ;   in Loop: Header=BB917_228 Depth=2
	s_wait_alu 0xfffe
	s_or_b32 exec_lo, exec_lo, s15
	v_xor_b32_e32 v115, 0x7fff, v7
	; wave barrier
	s_delay_alu instid0(VALU_DEP_1) | instskip(NEXT) | instid1(VALU_DEP_1)
	v_and_b32_e32 v5, 0xffff, v115
	v_lshrrev_b32_e32 v5, s23, v5
	s_delay_alu instid0(VALU_DEP_1) | instskip(NEXT) | instid1(VALU_DEP_1)
	v_and_b32_e32 v6, s42, v5
	v_and_b32_e32 v5, 1, v6
	v_lshlrev_b32_e32 v24, 30, v6
	v_lshlrev_b32_e32 v25, 29, v6
	;; [unrolled: 1-line block ×4, first 2 shown]
	v_add_co_u32 v5, s15, v5, -1
	s_wait_alu 0xf1ff
	v_cndmask_b32_e64 v27, 0, 1, s15
	v_not_b32_e32 v121, v24
	v_cmp_gt_i32_e64 s15, 0, v24
	v_not_b32_e32 v24, v25
	v_lshlrev_b32_e32 v119, 26, v6
	v_cmp_ne_u32_e32 vcc_lo, 0, v27
	v_ashrrev_i32_e32 v121, 31, v121
	v_lshlrev_b32_e32 v120, 25, v6
	v_ashrrev_i32_e32 v24, 31, v24
	v_lshlrev_b32_e32 v27, 24, v6
	s_wait_alu 0xfffd
	v_xor_b32_e32 v5, vcc_lo, v5
	v_cmp_gt_i32_e32 vcc_lo, 0, v25
	v_not_b32_e32 v25, v26
	s_wait_alu 0xf1ff
	v_xor_b32_e32 v121, s15, v121
	v_cmp_gt_i32_e64 s15, 0, v26
	v_and_b32_e32 v5, exec_lo, v5
	v_not_b32_e32 v26, v118
	v_ashrrev_i32_e32 v25, 31, v25
	s_wait_alu 0xfffd
	v_xor_b32_e32 v24, vcc_lo, v24
	v_cmp_gt_i32_e32 vcc_lo, 0, v118
	v_and_b32_e32 v5, v5, v121
	v_not_b32_e32 v118, v119
	v_ashrrev_i32_e32 v26, 31, v26
	s_wait_alu 0xf1ff
	v_xor_b32_e32 v25, s15, v25
	v_cmp_gt_i32_e64 s15, 0, v119
	v_and_b32_e32 v5, v5, v24
	v_not_b32_e32 v24, v120
	v_ashrrev_i32_e32 v118, 31, v118
	s_wait_alu 0xfffd
	v_xor_b32_e32 v26, vcc_lo, v26
	v_cmp_gt_i32_e32 vcc_lo, 0, v120
	v_and_b32_e32 v5, v5, v25
	v_not_b32_e32 v25, v27
	v_ashrrev_i32_e32 v24, 31, v24
	s_wait_alu 0xf1ff
	v_xor_b32_e32 v118, s15, v118
	v_cmp_gt_i32_e64 s15, 0, v27
	v_and_b32_e32 v5, v5, v26
	v_ashrrev_i32_e32 v25, 31, v25
	s_wait_alu 0xfffd
	v_xor_b32_e32 v24, vcc_lo, v24
	v_mad_u32_u24 v26, v6, 36, v89
	v_mul_u32_u24_e32 v6, 36, v6
	v_and_b32_e32 v5, v5, v118
	s_wait_alu 0xf1ff
	v_xor_b32_e32 v25, s15, v25
	ds_load_b32 v118, v26 offset:1056
	v_add_nc_u32_e32 v121, v89, v6
	v_and_b32_e32 v5, v5, v24
	; wave barrier
	s_delay_alu instid0(VALU_DEP_1) | instskip(NEXT) | instid1(VALU_DEP_1)
	v_and_b32_e32 v5, v5, v25
	v_mbcnt_lo_u32_b32 v120, v5, 0
	v_cmp_ne_u32_e64 s15, 0, v5
	s_delay_alu instid0(VALU_DEP_2)
	v_cmp_eq_u32_e32 vcc_lo, 0, v120
	s_and_b32 s16, s15, vcc_lo
	s_wait_alu 0xfffe
	s_and_saveexec_b32 s15, s16
	s_cbranch_execz .LBB917_252
; %bb.251:                              ;   in Loop: Header=BB917_228 Depth=2
	s_wait_dscnt 0x0
	v_bcnt_u32_b32 v5, v5, v118
	ds_store_b32 v121, v5 offset:1056
.LBB917_252:                            ;   in Loop: Header=BB917_228 Depth=2
	s_wait_alu 0xfffe
	s_or_b32 exec_lo, exec_lo, s15
	v_lshrrev_b32_e32 v5, 16, v7
	; wave barrier
	s_delay_alu instid0(VALU_DEP_1) | instskip(NEXT) | instid1(VALU_DEP_1)
	v_xor_b32_e32 v119, 0x7fff, v5
	v_and_b32_e32 v5, 0xffff, v119
	s_delay_alu instid0(VALU_DEP_1) | instskip(NEXT) | instid1(VALU_DEP_1)
	v_lshrrev_b32_e32 v5, s23, v5
	v_and_b32_e32 v6, s42, v5
	s_delay_alu instid0(VALU_DEP_1)
	v_and_b32_e32 v5, 1, v6
	v_lshlrev_b32_e32 v7, 30, v6
	v_lshlrev_b32_e32 v24, 29, v6
	;; [unrolled: 1-line block ×4, first 2 shown]
	v_add_co_u32 v5, s15, v5, -1
	s_wait_alu 0xf1ff
	v_cndmask_b32_e64 v26, 0, 1, s15
	v_not_b32_e32 v124, v7
	v_cmp_gt_i32_e64 s15, 0, v7
	v_not_b32_e32 v7, v24
	v_lshlrev_b32_e32 v122, 26, v6
	v_cmp_ne_u32_e32 vcc_lo, 0, v26
	v_ashrrev_i32_e32 v124, 31, v124
	v_lshlrev_b32_e32 v123, 25, v6
	v_ashrrev_i32_e32 v7, 31, v7
	v_lshlrev_b32_e32 v26, 24, v6
	s_wait_alu 0xfffd
	v_xor_b32_e32 v5, vcc_lo, v5
	v_cmp_gt_i32_e32 vcc_lo, 0, v24
	v_not_b32_e32 v24, v25
	s_wait_alu 0xf1ff
	v_xor_b32_e32 v124, s15, v124
	v_cmp_gt_i32_e64 s15, 0, v25
	v_and_b32_e32 v5, exec_lo, v5
	v_not_b32_e32 v25, v27
	v_ashrrev_i32_e32 v24, 31, v24
	s_wait_alu 0xfffd
	v_xor_b32_e32 v7, vcc_lo, v7
	v_cmp_gt_i32_e32 vcc_lo, 0, v27
	v_and_b32_e32 v5, v5, v124
	v_not_b32_e32 v27, v122
	v_ashrrev_i32_e32 v25, 31, v25
	s_wait_alu 0xf1ff
	v_xor_b32_e32 v24, s15, v24
	v_cmp_gt_i32_e64 s15, 0, v122
	v_and_b32_e32 v5, v5, v7
	v_not_b32_e32 v7, v123
	v_ashrrev_i32_e32 v27, 31, v27
	s_wait_alu 0xfffd
	v_xor_b32_e32 v25, vcc_lo, v25
	v_cmp_gt_i32_e32 vcc_lo, 0, v123
	v_and_b32_e32 v5, v5, v24
	v_not_b32_e32 v24, v26
	v_ashrrev_i32_e32 v7, 31, v7
	s_wait_alu 0xf1ff
	v_xor_b32_e32 v27, s15, v27
	v_cmp_gt_i32_e64 s15, 0, v26
	v_and_b32_e32 v5, v5, v25
	v_ashrrev_i32_e32 v24, 31, v24
	s_wait_alu 0xfffd
	v_xor_b32_e32 v7, vcc_lo, v7
	v_mad_u32_u24 v25, v6, 36, v89
	v_mul_u32_u24_e32 v6, 36, v6
	v_and_b32_e32 v5, v5, v27
	s_wait_alu 0xf1ff
	v_xor_b32_e32 v24, s15, v24
	ds_load_b32 v122, v25 offset:1056
	v_add_nc_u32_e32 v125, v89, v6
	v_and_b32_e32 v5, v5, v7
	; wave barrier
	s_delay_alu instid0(VALU_DEP_1) | instskip(NEXT) | instid1(VALU_DEP_1)
	v_and_b32_e32 v5, v5, v24
	v_mbcnt_lo_u32_b32 v124, v5, 0
	v_cmp_ne_u32_e64 s15, 0, v5
	s_delay_alu instid0(VALU_DEP_2)
	v_cmp_eq_u32_e32 vcc_lo, 0, v124
	s_and_b32 s16, s15, vcc_lo
	s_wait_alu 0xfffe
	s_and_saveexec_b32 s15, s16
	s_cbranch_execz .LBB917_254
; %bb.253:                              ;   in Loop: Header=BB917_228 Depth=2
	s_wait_dscnt 0x0
	v_bcnt_u32_b32 v5, v5, v122
	ds_store_b32 v125, v5 offset:1056
.LBB917_254:                            ;   in Loop: Header=BB917_228 Depth=2
	s_wait_alu 0xfffe
	s_or_b32 exec_lo, exec_lo, s15
	v_xor_b32_e32 v123, 0x7fff, v8
	; wave barrier
	s_delay_alu instid0(VALU_DEP_1) | instskip(NEXT) | instid1(VALU_DEP_1)
	v_and_b32_e32 v5, 0xffff, v123
	v_lshrrev_b32_e32 v5, s23, v5
	s_delay_alu instid0(VALU_DEP_1) | instskip(NEXT) | instid1(VALU_DEP_1)
	v_and_b32_e32 v6, s42, v5
	v_and_b32_e32 v5, 1, v6
	v_lshlrev_b32_e32 v7, 30, v6
	v_lshlrev_b32_e32 v24, 29, v6
	;; [unrolled: 1-line block ×4, first 2 shown]
	v_add_co_u32 v5, s15, v5, -1
	s_wait_alu 0xf1ff
	v_cndmask_b32_e64 v26, 0, 1, s15
	v_not_b32_e32 v128, v7
	v_cmp_gt_i32_e64 s15, 0, v7
	v_not_b32_e32 v7, v24
	v_lshlrev_b32_e32 v126, 26, v6
	v_cmp_ne_u32_e32 vcc_lo, 0, v26
	v_ashrrev_i32_e32 v128, 31, v128
	v_lshlrev_b32_e32 v127, 25, v6
	v_ashrrev_i32_e32 v7, 31, v7
	v_lshlrev_b32_e32 v26, 24, v6
	s_wait_alu 0xfffd
	v_xor_b32_e32 v5, vcc_lo, v5
	v_cmp_gt_i32_e32 vcc_lo, 0, v24
	v_not_b32_e32 v24, v25
	s_wait_alu 0xf1ff
	v_xor_b32_e32 v128, s15, v128
	v_cmp_gt_i32_e64 s15, 0, v25
	v_and_b32_e32 v5, exec_lo, v5
	v_not_b32_e32 v25, v27
	v_ashrrev_i32_e32 v24, 31, v24
	s_wait_alu 0xfffd
	v_xor_b32_e32 v7, vcc_lo, v7
	v_cmp_gt_i32_e32 vcc_lo, 0, v27
	v_and_b32_e32 v5, v5, v128
	v_not_b32_e32 v27, v126
	v_ashrrev_i32_e32 v25, 31, v25
	s_wait_alu 0xf1ff
	v_xor_b32_e32 v24, s15, v24
	v_cmp_gt_i32_e64 s15, 0, v126
	v_and_b32_e32 v5, v5, v7
	v_not_b32_e32 v7, v127
	v_ashrrev_i32_e32 v27, 31, v27
	s_wait_alu 0xfffd
	v_xor_b32_e32 v25, vcc_lo, v25
	v_cmp_gt_i32_e32 vcc_lo, 0, v127
	v_and_b32_e32 v5, v5, v24
	v_not_b32_e32 v24, v26
	v_ashrrev_i32_e32 v7, 31, v7
	s_wait_alu 0xf1ff
	v_xor_b32_e32 v27, s15, v27
	v_cmp_gt_i32_e64 s15, 0, v26
	v_and_b32_e32 v5, v5, v25
	v_ashrrev_i32_e32 v24, 31, v24
	s_wait_alu 0xfffd
	v_xor_b32_e32 v7, vcc_lo, v7
	v_mad_u32_u24 v25, v6, 36, v89
	v_mul_u32_u24_e32 v6, 36, v6
	v_and_b32_e32 v5, v5, v27
	s_wait_alu 0xf1ff
	v_xor_b32_e32 v24, s15, v24
	ds_load_b32 v126, v25 offset:1056
	v_add_nc_u32_e32 v129, v89, v6
	v_and_b32_e32 v5, v5, v7
	; wave barrier
	s_delay_alu instid0(VALU_DEP_1) | instskip(NEXT) | instid1(VALU_DEP_1)
	v_and_b32_e32 v5, v5, v24
	v_mbcnt_lo_u32_b32 v127, v5, 0
	v_cmp_ne_u32_e64 s15, 0, v5
	s_delay_alu instid0(VALU_DEP_2)
	v_cmp_eq_u32_e32 vcc_lo, 0, v127
	s_and_b32 s16, s15, vcc_lo
	s_wait_alu 0xfffe
	s_and_saveexec_b32 s15, s16
	s_cbranch_execz .LBB917_256
; %bb.255:                              ;   in Loop: Header=BB917_228 Depth=2
	s_wait_dscnt 0x0
	v_bcnt_u32_b32 v5, v5, v126
	ds_store_b32 v129, v5 offset:1056
.LBB917_256:                            ;   in Loop: Header=BB917_228 Depth=2
	s_wait_alu 0xfffe
	s_or_b32 exec_lo, exec_lo, s15
	v_lshrrev_b32_e32 v5, 16, v8
	; wave barrier
	s_delay_alu instid0(VALU_DEP_1) | instskip(NEXT) | instid1(VALU_DEP_1)
	v_xor_b32_e32 v128, 0x7fff, v5
	v_and_b32_e32 v5, 0xffff, v128
	s_delay_alu instid0(VALU_DEP_1) | instskip(NEXT) | instid1(VALU_DEP_1)
	v_lshrrev_b32_e32 v5, s23, v5
	v_and_b32_e32 v6, s42, v5
	s_delay_alu instid0(VALU_DEP_1)
	v_and_b32_e32 v5, 1, v6
	v_lshlrev_b32_e32 v7, 30, v6
	v_lshlrev_b32_e32 v8, 29, v6
	;; [unrolled: 1-line block ×4, first 2 shown]
	v_add_co_u32 v5, s15, v5, -1
	s_wait_alu 0xf1ff
	v_cndmask_b32_e64 v25, 0, 1, s15
	v_not_b32_e32 v131, v7
	v_cmp_gt_i32_e64 s15, 0, v7
	v_not_b32_e32 v7, v8
	v_lshlrev_b32_e32 v27, 26, v6
	v_cmp_ne_u32_e32 vcc_lo, 0, v25
	v_ashrrev_i32_e32 v131, 31, v131
	v_lshlrev_b32_e32 v130, 25, v6
	v_ashrrev_i32_e32 v7, 31, v7
	v_lshlrev_b32_e32 v25, 24, v6
	s_wait_alu 0xfffd
	v_xor_b32_e32 v5, vcc_lo, v5
	v_cmp_gt_i32_e32 vcc_lo, 0, v8
	v_not_b32_e32 v8, v24
	s_wait_alu 0xf1ff
	v_xor_b32_e32 v131, s15, v131
	v_cmp_gt_i32_e64 s15, 0, v24
	v_and_b32_e32 v5, exec_lo, v5
	v_not_b32_e32 v24, v26
	v_ashrrev_i32_e32 v8, 31, v8
	s_wait_alu 0xfffd
	v_xor_b32_e32 v7, vcc_lo, v7
	v_cmp_gt_i32_e32 vcc_lo, 0, v26
	v_and_b32_e32 v5, v5, v131
	v_not_b32_e32 v26, v27
	v_ashrrev_i32_e32 v24, 31, v24
	s_wait_alu 0xf1ff
	v_xor_b32_e32 v8, s15, v8
	v_cmp_gt_i32_e64 s15, 0, v27
	v_and_b32_e32 v5, v5, v7
	v_not_b32_e32 v7, v130
	v_ashrrev_i32_e32 v26, 31, v26
	s_wait_alu 0xfffd
	v_xor_b32_e32 v24, vcc_lo, v24
	v_cmp_gt_i32_e32 vcc_lo, 0, v130
	v_and_b32_e32 v5, v5, v8
	v_not_b32_e32 v8, v25
	v_ashrrev_i32_e32 v7, 31, v7
	s_wait_alu 0xf1ff
	v_xor_b32_e32 v26, s15, v26
	v_cmp_gt_i32_e64 s15, 0, v25
	v_and_b32_e32 v5, v5, v24
	v_ashrrev_i32_e32 v8, 31, v8
	s_wait_alu 0xfffd
	v_xor_b32_e32 v7, vcc_lo, v7
	v_mad_u32_u24 v24, v6, 36, v89
	v_mul_u32_u24_e32 v6, 36, v6
	v_and_b32_e32 v5, v5, v26
	s_wait_alu 0xf1ff
	v_xor_b32_e32 v8, s15, v8
	ds_load_b32 v130, v24 offset:1056
	v_add_nc_u32_e32 v132, v89, v6
	v_and_b32_e32 v5, v5, v7
	; wave barrier
	s_delay_alu instid0(VALU_DEP_1) | instskip(NEXT) | instid1(VALU_DEP_1)
	v_and_b32_e32 v5, v5, v8
	v_mbcnt_lo_u32_b32 v131, v5, 0
	v_cmp_ne_u32_e64 s15, 0, v5
	s_delay_alu instid0(VALU_DEP_2)
	v_cmp_eq_u32_e32 vcc_lo, 0, v131
	s_and_b32 s16, s15, vcc_lo
	s_wait_alu 0xfffe
	s_and_saveexec_b32 s15, s16
	s_cbranch_execz .LBB917_258
; %bb.257:                              ;   in Loop: Header=BB917_228 Depth=2
	s_wait_dscnt 0x0
	v_bcnt_u32_b32 v5, v5, v130
	ds_store_b32 v132, v5 offset:1056
.LBB917_258:                            ;   in Loop: Header=BB917_228 Depth=2
	s_wait_alu 0xfffe
	s_or_b32 exec_lo, exec_lo, s15
	; wave barrier
	s_wait_loadcnt_dscnt 0x0
	s_barrier_signal -1
	s_barrier_wait -1
	global_inv scope:SCOPE_SE
	ds_load_2addr_b32 v[26:27], v102 offset1:1
	ds_load_2addr_b32 v[24:25], v103 offset1:1
	;; [unrolled: 1-line block ×4, first 2 shown]
	ds_load_b32 v133, v43 offset:1088
	s_wait_dscnt 0x3
	v_add3_u32 v134, v27, v26, v24
	s_wait_dscnt 0x2
	s_delay_alu instid0(VALU_DEP_1) | instskip(SKIP_1) | instid1(VALU_DEP_1)
	v_add3_u32 v134, v134, v25, v7
	s_wait_dscnt 0x1
	v_add3_u32 v134, v134, v8, v5
	s_wait_dscnt 0x0
	s_delay_alu instid0(VALU_DEP_1) | instskip(NEXT) | instid1(VALU_DEP_1)
	v_add3_u32 v133, v134, v6, v133
	v_mov_b32_dpp v134, v133 row_shr:1 row_mask:0xf bank_mask:0xf
	s_delay_alu instid0(VALU_DEP_1) | instskip(NEXT) | instid1(VALU_DEP_1)
	v_cndmask_b32_e64 v134, v134, 0, s0
	v_add_nc_u32_e32 v133, v134, v133
	s_delay_alu instid0(VALU_DEP_1) | instskip(NEXT) | instid1(VALU_DEP_1)
	v_mov_b32_dpp v134, v133 row_shr:2 row_mask:0xf bank_mask:0xf
	v_cndmask_b32_e64 v134, 0, v134, s1
	s_delay_alu instid0(VALU_DEP_1) | instskip(NEXT) | instid1(VALU_DEP_1)
	v_add_nc_u32_e32 v133, v133, v134
	v_mov_b32_dpp v134, v133 row_shr:4 row_mask:0xf bank_mask:0xf
	s_delay_alu instid0(VALU_DEP_1) | instskip(NEXT) | instid1(VALU_DEP_1)
	v_cndmask_b32_e64 v134, 0, v134, s9
	v_add_nc_u32_e32 v133, v133, v134
	s_delay_alu instid0(VALU_DEP_1) | instskip(NEXT) | instid1(VALU_DEP_1)
	v_mov_b32_dpp v134, v133 row_shr:8 row_mask:0xf bank_mask:0xf
	v_cndmask_b32_e64 v134, 0, v134, s10
	s_delay_alu instid0(VALU_DEP_1) | instskip(SKIP_3) | instid1(VALU_DEP_1)
	v_add_nc_u32_e32 v133, v133, v134
	ds_swizzle_b32 v134, v133 offset:swizzle(BROADCAST,32,15)
	s_wait_dscnt 0x0
	v_cndmask_b32_e64 v134, v134, 0, s11
	v_add_nc_u32_e32 v133, v133, v134
	s_and_saveexec_b32 s15, s3
; %bb.259:                              ;   in Loop: Header=BB917_228 Depth=2
	ds_store_b32 v38, v133 offset:1024
; %bb.260:                              ;   in Loop: Header=BB917_228 Depth=2
	s_wait_alu 0xfffe
	s_or_b32 exec_lo, exec_lo, s15
	s_wait_loadcnt_dscnt 0x0
	s_barrier_signal -1
	s_barrier_wait -1
	global_inv scope:SCOPE_SE
	s_and_saveexec_b32 s15, s4
	s_cbranch_execz .LBB917_262
; %bb.261:                              ;   in Loop: Header=BB917_228 Depth=2
	ds_load_b32 v134, v47 offset:1024
	s_wait_dscnt 0x0
	v_mov_b32_dpp v135, v134 row_shr:1 row_mask:0xf bank_mask:0xf
	s_delay_alu instid0(VALU_DEP_1) | instskip(NEXT) | instid1(VALU_DEP_1)
	v_cndmask_b32_e64 v135, v135, 0, s12
	v_add_nc_u32_e32 v134, v135, v134
	s_delay_alu instid0(VALU_DEP_1) | instskip(NEXT) | instid1(VALU_DEP_1)
	v_mov_b32_dpp v135, v134 row_shr:2 row_mask:0xf bank_mask:0xf
	v_cndmask_b32_e64 v135, 0, v135, s13
	s_delay_alu instid0(VALU_DEP_1) | instskip(NEXT) | instid1(VALU_DEP_1)
	v_add_nc_u32_e32 v134, v134, v135
	v_mov_b32_dpp v135, v134 row_shr:4 row_mask:0xf bank_mask:0xf
	s_delay_alu instid0(VALU_DEP_1) | instskip(NEXT) | instid1(VALU_DEP_1)
	v_cndmask_b32_e64 v135, 0, v135, s14
	v_add_nc_u32_e32 v134, v134, v135
	ds_store_b32 v47, v134 offset:1024
.LBB917_262:                            ;   in Loop: Header=BB917_228 Depth=2
	s_wait_alu 0xfffe
	s_or_b32 exec_lo, exec_lo, s15
	v_mov_b32_e32 v134, 0
	s_wait_loadcnt_dscnt 0x0
	s_barrier_signal -1
	s_barrier_wait -1
	global_inv scope:SCOPE_SE
	s_and_saveexec_b32 s15, s5
; %bb.263:                              ;   in Loop: Header=BB917_228 Depth=2
	ds_load_b32 v134, v38 offset:1020
; %bb.264:                              ;   in Loop: Header=BB917_228 Depth=2
	s_wait_alu 0xfffe
	s_or_b32 exec_lo, exec_lo, s15
	s_wait_dscnt 0x0
	v_add_nc_u32_e32 v133, v134, v133
	ds_bpermute_b32 v133, v84, v133
	s_wait_dscnt 0x0
	v_cndmask_b32_e64 v133, v133, v134, s8
	s_delay_alu instid0(VALU_DEP_1) | instskip(NEXT) | instid1(VALU_DEP_1)
	v_cndmask_b32_e64 v133, v133, 0, s6
	v_add_nc_u32_e32 v26, v133, v26
	s_delay_alu instid0(VALU_DEP_1) | instskip(NEXT) | instid1(VALU_DEP_1)
	v_add_nc_u32_e32 v27, v26, v27
	v_add_nc_u32_e32 v24, v27, v24
	s_delay_alu instid0(VALU_DEP_1) | instskip(NEXT) | instid1(VALU_DEP_1)
	v_add_nc_u32_e32 v25, v24, v25
	;; [unrolled: 3-line block ×3, first 2 shown]
	v_add_nc_u32_e32 v5, v8, v5
	s_delay_alu instid0(VALU_DEP_1)
	v_add_nc_u32_e32 v6, v5, v6
	ds_store_2addr_b32 v101, v8, v5 offset1:1
	ds_store_2addr_b32 v102, v133, v26 offset1:1
	;; [unrolled: 1-line block ×4, first 2 shown]
	ds_store_b32 v43, v6 offset:1088
	s_wait_loadcnt_dscnt 0x0
	s_barrier_signal -1
	s_barrier_wait -1
	global_inv scope:SCOPE_SE
	ds_load_b32 v8, v105 offset:1056
	ds_load_b32 v24, v109 offset:1056
	;; [unrolled: 1-line block ×9, first 2 shown]
	v_mov_b32_e32 v7, 0x800
	s_and_saveexec_b32 s15, s7
; %bb.265:                              ;   in Loop: Header=BB917_228 Depth=2
	ds_load_b32 v7, v43 offset:1092
; %bb.266:                              ;   in Loop: Header=BB917_228 Depth=2
	s_wait_alu 0xfffe
	s_or_b32 exec_lo, exec_lo, s15
	s_wait_loadcnt_dscnt 0x0
	s_barrier_signal -1
	s_barrier_wait -1
	global_inv scope:SCOPE_SE
	s_and_saveexec_b32 s15, s2
	s_cbranch_execz .LBB917_268
; %bb.267:                              ;   in Loop: Header=BB917_228 Depth=2
	ds_load_b32 v102, v28
	s_wait_dscnt 0x0
	v_sub_nc_u32_e32 v101, v102, v101
	ds_store_b32 v28, v101
.LBB917_268:                            ;   in Loop: Header=BB917_228 Depth=2
	s_wait_alu 0xfffe
	s_or_b32 exec_lo, exec_lo, s15
	v_add_nc_u32_e32 v102, v8, v99
	v_add3_u32 v101, v107, v106, v24
	v_add3_u32 v99, v112, v110, v25
	;; [unrolled: 1-line block ×4, first 2 shown]
	v_lshlrev_b32_e32 v103, 1, v102
	v_add3_u32 v24, v120, v118, v27
	v_lshlrev_b32_e32 v104, 1, v101
	v_lshlrev_b32_e32 v105, 1, v99
	v_add3_u32 v27, v127, v126, v5
	v_add3_u32 v26, v131, v130, v6
	ds_store_b16 v103, v0 offset:1024
	ds_store_b16 v104, v100 offset:1024
	;; [unrolled: 1-line block ×3, first 2 shown]
	v_lshlrev_b32_e32 v0, 1, v25
	v_cmp_lt_u32_e32 vcc_lo, v13, v98
	v_lshlrev_b32_e32 v5, 1, v24
	v_lshlrev_b32_e32 v6, 1, v8
	;; [unrolled: 1-line block ×4, first 2 shown]
	ds_store_b16 v0, v111 offset:1024
	ds_store_b16 v5, v115 offset:1024
	;; [unrolled: 1-line block ×5, first 2 shown]
	s_wait_loadcnt_dscnt 0x0
	s_barrier_signal -1
	s_barrier_wait -1
	global_inv scope:SCOPE_SE
	s_and_saveexec_b32 s16, vcc_lo
	s_cbranch_execnz .LBB917_305
; %bb.269:                              ;   in Loop: Header=BB917_228 Depth=2
	s_wait_alu 0xfffe
	s_or_b32 exec_lo, exec_lo, s16
	v_cmp_lt_u32_e64 s15, v29, v98
	s_and_saveexec_b32 s17, s15
	s_cbranch_execnz .LBB917_306
.LBB917_270:                            ;   in Loop: Header=BB917_228 Depth=2
	s_wait_alu 0xfffe
	s_or_b32 exec_lo, exec_lo, s17
	v_cmp_lt_u32_e64 s16, v30, v98
	s_and_saveexec_b32 s18, s16
	s_cbranch_execnz .LBB917_307
.LBB917_271:                            ;   in Loop: Header=BB917_228 Depth=2
	s_wait_alu 0xfffe
	s_or_b32 exec_lo, exec_lo, s18
	v_cmp_lt_u32_e64 s17, v31, v98
	s_and_saveexec_b32 s19, s17
	s_cbranch_execnz .LBB917_308
.LBB917_272:                            ;   in Loop: Header=BB917_228 Depth=2
	s_wait_alu 0xfffe
	s_or_b32 exec_lo, exec_lo, s19
	v_cmp_lt_u32_e64 s18, v34, v98
	s_and_saveexec_b32 s20, s18
	s_cbranch_execnz .LBB917_309
.LBB917_273:                            ;   in Loop: Header=BB917_228 Depth=2
	s_wait_alu 0xfffe
	s_or_b32 exec_lo, exec_lo, s20
	v_cmp_lt_u32_e64 s19, v35, v98
	s_and_saveexec_b32 s21, s19
	s_cbranch_execnz .LBB917_310
.LBB917_274:                            ;   in Loop: Header=BB917_228 Depth=2
	s_wait_alu 0xfffe
	s_or_b32 exec_lo, exec_lo, s21
	v_cmp_lt_u32_e64 s20, v36, v98
	s_and_saveexec_b32 s22, s20
	s_cbranch_execnz .LBB917_311
.LBB917_275:                            ;   in Loop: Header=BB917_228 Depth=2
	s_wait_alu 0xfffe
	s_or_b32 exec_lo, exec_lo, s22
	v_cmp_lt_u32_e64 s21, v37, v98
	s_and_saveexec_b32 s48, s21
	s_cbranch_execz .LBB917_277
.LBB917_276:                            ;   in Loop: Header=BB917_228 Depth=2
	ds_load_u16 v100, v48 offset:4608
	s_wait_dscnt 0x0
	v_and_b32_e32 v0, 0xffff, v100
	s_delay_alu instid0(VALU_DEP_1) | instskip(NEXT) | instid1(VALU_DEP_1)
	v_lshrrev_b32_e32 v0, s23, v0
	v_and_b32_e32 v0, s42, v0
	s_delay_alu instid0(VALU_DEP_1) | instskip(SKIP_3) | instid1(VALU_DEP_1)
	v_lshlrev_b32_e32 v0, 2, v0
	ds_load_b32 v0, v0
	s_wait_dscnt 0x0
	v_add_nc_u32_e32 v0, v0, v37
	v_lshlrev_b64_e32 v[5:6], 1, v[0:1]
	v_xor_b32_e32 v0, 0x7fff, v100
	s_delay_alu instid0(VALU_DEP_2) | instskip(SKIP_1) | instid1(VALU_DEP_3)
	v_add_co_u32 v5, s22, s40, v5
	s_wait_alu 0xf1ff
	v_add_co_ci_u32_e64 v6, null, s41, v6, s22
	global_store_b16 v[5:6], v0, off
.LBB917_277:                            ;   in Loop: Header=BB917_228 Depth=2
	s_wait_alu 0xfffe
	s_or_b32 exec_lo, exec_lo, s48
	s_lshl_b64 s[48:49], s[30:31], 3
	s_wait_alu 0xfffe
	v_add_co_u32 v5, s22, v85, s48
	s_wait_alu 0xf1ff
	v_add_co_ci_u32_e64 v6, null, s49, v86, s22
	v_cmp_lt_u32_e64 s22, v67, v98
	s_and_saveexec_b32 s30, s22
	s_wait_alu 0xfffe
	s_xor_b32 s22, exec_lo, s30
	s_cbranch_execnz .LBB917_312
; %bb.278:                              ;   in Loop: Header=BB917_228 Depth=2
	s_wait_alu 0xfffe
	s_or_b32 exec_lo, exec_lo, s22
	s_delay_alu instid0(SALU_CYCLE_1)
	s_mov_b32 s30, exec_lo
	v_cmpx_lt_u32_e64 v71, v98
	s_cbranch_execnz .LBB917_313
.LBB917_279:                            ;   in Loop: Header=BB917_228 Depth=2
	s_wait_alu 0xfffe
	s_or_b32 exec_lo, exec_lo, s30
	s_delay_alu instid0(SALU_CYCLE_1)
	s_mov_b32 s30, exec_lo
	v_cmpx_lt_u32_e64 v72, v98
	s_cbranch_execnz .LBB917_314
.LBB917_280:                            ;   in Loop: Header=BB917_228 Depth=2
	s_wait_alu 0xfffe
	s_or_b32 exec_lo, exec_lo, s30
	s_delay_alu instid0(SALU_CYCLE_1)
	s_mov_b32 s30, exec_lo
	v_cmpx_lt_u32_e64 v73, v98
	s_cbranch_execnz .LBB917_315
.LBB917_281:                            ;   in Loop: Header=BB917_228 Depth=2
	s_wait_alu 0xfffe
	s_or_b32 exec_lo, exec_lo, s30
	s_delay_alu instid0(SALU_CYCLE_1)
	s_mov_b32 s30, exec_lo
	v_cmpx_lt_u32_e64 v74, v98
	s_cbranch_execnz .LBB917_316
.LBB917_282:                            ;   in Loop: Header=BB917_228 Depth=2
	s_wait_alu 0xfffe
	s_or_b32 exec_lo, exec_lo, s30
	s_delay_alu instid0(SALU_CYCLE_1)
	s_mov_b32 s30, exec_lo
	v_cmpx_lt_u32_e64 v75, v98
	s_cbranch_execnz .LBB917_317
.LBB917_283:                            ;   in Loop: Header=BB917_228 Depth=2
	s_wait_alu 0xfffe
	s_or_b32 exec_lo, exec_lo, s30
	s_delay_alu instid0(SALU_CYCLE_1)
	s_mov_b32 s30, exec_lo
	v_cmpx_lt_u32_e64 v76, v98
	s_cbranch_execnz .LBB917_318
.LBB917_284:                            ;   in Loop: Header=BB917_228 Depth=2
	s_wait_alu 0xfffe
	s_or_b32 exec_lo, exec_lo, s30
	s_delay_alu instid0(SALU_CYCLE_1)
	s_mov_b32 s30, exec_lo
	v_cmpx_lt_u32_e64 v77, v98
	s_cbranch_execnz .LBB917_319
.LBB917_285:                            ;   in Loop: Header=BB917_228 Depth=2
	s_wait_alu 0xfffe
	s_or_b32 exec_lo, exec_lo, s30
	s_and_saveexec_b32 s22, vcc_lo
	s_cbranch_execnz .LBB917_320
.LBB917_286:                            ;   in Loop: Header=BB917_228 Depth=2
	s_wait_alu 0xfffe
	s_or_b32 exec_lo, exec_lo, s22
	s_and_saveexec_b32 s22, s15
	s_cbranch_execnz .LBB917_321
.LBB917_287:                            ;   in Loop: Header=BB917_228 Depth=2
	s_wait_alu 0xfffe
	s_or_b32 exec_lo, exec_lo, s22
	s_and_saveexec_b32 s22, s16
	s_cbranch_execnz .LBB917_322
.LBB917_288:                            ;   in Loop: Header=BB917_228 Depth=2
	s_wait_alu 0xfffe
	s_or_b32 exec_lo, exec_lo, s22
	s_and_saveexec_b32 s22, s17
	s_cbranch_execnz .LBB917_323
.LBB917_289:                            ;   in Loop: Header=BB917_228 Depth=2
	s_wait_alu 0xfffe
	s_or_b32 exec_lo, exec_lo, s22
	s_and_saveexec_b32 s22, s18
	s_cbranch_execnz .LBB917_324
.LBB917_290:                            ;   in Loop: Header=BB917_228 Depth=2
	s_wait_alu 0xfffe
	s_or_b32 exec_lo, exec_lo, s22
	s_and_saveexec_b32 s22, s19
	s_cbranch_execnz .LBB917_325
.LBB917_291:                            ;   in Loop: Header=BB917_228 Depth=2
	s_wait_alu 0xfffe
	s_or_b32 exec_lo, exec_lo, s22
	s_and_saveexec_b32 s22, s20
	s_cbranch_execnz .LBB917_326
.LBB917_292:                            ;   in Loop: Header=BB917_228 Depth=2
	s_wait_alu 0xfffe
	s_or_b32 exec_lo, exec_lo, s22
	s_and_saveexec_b32 s22, s21
	s_cbranch_execz .LBB917_294
.LBB917_293:                            ;   in Loop: Header=BB917_228 Depth=2
	ds_load_u16 v0, v48 offset:4608
	s_wait_dscnt 0x0
	v_lshrrev_b32_e32 v0, s23, v0
	s_delay_alu instid0(VALU_DEP_1)
	v_and_b32_e32 v90, s42, v0
.LBB917_294:                            ;   in Loop: Header=BB917_228 Depth=2
	s_wait_alu 0xfffe
	s_or_b32 exec_lo, exec_lo, s22
	v_lshlrev_b32_e32 v0, 3, v102
	v_lshlrev_b32_e32 v5, 3, v101
	;; [unrolled: 1-line block ×3, first 2 shown]
	s_wait_loadcnt 0x0
	s_wait_storecnt 0x0
	s_barrier_signal -1
	s_barrier_wait -1
	global_inv scope:SCOPE_SE
	ds_store_b64 v0, v[22:23] offset:1024
	ds_store_b64 v5, v[20:21] offset:1024
	;; [unrolled: 1-line block ×3, first 2 shown]
	v_lshlrev_b32_e32 v0, 3, v25
	v_lshlrev_b32_e32 v5, 3, v24
	v_lshlrev_b32_e32 v6, 3, v8
	v_lshlrev_b32_e32 v8, 3, v27
	v_lshlrev_b32_e32 v24, 3, v26
	ds_store_b64 v0, v[16:17] offset:1024
	ds_store_b64 v5, v[14:15] offset:1024
	;; [unrolled: 1-line block ×5, first 2 shown]
	s_wait_loadcnt_dscnt 0x0
	s_barrier_signal -1
	s_barrier_wait -1
	global_inv scope:SCOPE_SE
	s_and_saveexec_b32 s22, vcc_lo
	s_cbranch_execnz .LBB917_327
; %bb.295:                              ;   in Loop: Header=BB917_228 Depth=2
	s_wait_alu 0xfffe
	s_or_b32 exec_lo, exec_lo, s22
	s_and_saveexec_b32 s22, s15
	s_cbranch_execnz .LBB917_328
.LBB917_296:                            ;   in Loop: Header=BB917_228 Depth=2
	s_wait_alu 0xfffe
	s_or_b32 exec_lo, exec_lo, s22
	s_and_saveexec_b32 s15, s16
	s_cbranch_execnz .LBB917_329
.LBB917_297:                            ;   in Loop: Header=BB917_228 Depth=2
	s_wait_alu 0xfffe
	s_or_b32 exec_lo, exec_lo, s15
	s_and_saveexec_b32 s15, s17
	s_cbranch_execnz .LBB917_330
.LBB917_298:                            ;   in Loop: Header=BB917_228 Depth=2
	s_wait_alu 0xfffe
	s_or_b32 exec_lo, exec_lo, s15
	s_and_saveexec_b32 s15, s18
	s_cbranch_execnz .LBB917_331
.LBB917_299:                            ;   in Loop: Header=BB917_228 Depth=2
	s_wait_alu 0xfffe
	s_or_b32 exec_lo, exec_lo, s15
	s_and_saveexec_b32 s15, s19
	s_cbranch_execnz .LBB917_332
.LBB917_300:                            ;   in Loop: Header=BB917_228 Depth=2
	s_wait_alu 0xfffe
	s_or_b32 exec_lo, exec_lo, s15
	s_and_saveexec_b32 s15, s20
	s_cbranch_execnz .LBB917_333
.LBB917_301:                            ;   in Loop: Header=BB917_228 Depth=2
	s_wait_alu 0xfffe
	s_or_b32 exec_lo, exec_lo, s15
	s_and_saveexec_b32 s15, s21
	s_cbranch_execz .LBB917_303
.LBB917_302:                            ;   in Loop: Header=BB917_228 Depth=2
	v_lshlrev_b32_e32 v0, 2, v90
	v_add_nc_u32_e32 v5, v48, v49
	ds_load_b32 v0, v0
	ds_load_b64 v[5:6], v5 offset:15360
	s_wait_dscnt 0x1
	v_add_nc_u32_e32 v0, v0, v37
	s_delay_alu instid0(VALU_DEP_1) | instskip(NEXT) | instid1(VALU_DEP_1)
	v_lshlrev_b64_e32 v[24:25], 3, v[0:1]
	v_add_co_u32 v24, vcc_lo, s26, v24
	s_wait_alu 0xfffd
	s_delay_alu instid0(VALU_DEP_2)
	v_add_co_ci_u32_e64 v25, null, s27, v25, vcc_lo
	s_wait_dscnt 0x0
	global_store_b64 v[24:25], v[5:6], off
.LBB917_303:                            ;   in Loop: Header=BB917_228 Depth=2
	s_wait_alu 0xfffe
	s_or_b32 exec_lo, exec_lo, s15
	s_wait_loadcnt 0x0
	s_wait_storecnt 0x0
	s_barrier_signal -1
	s_barrier_wait -1
	global_inv scope:SCOPE_SE
	s_and_saveexec_b32 s15, s2
	s_cbranch_execz .LBB917_227
; %bb.304:                              ;   in Loop: Header=BB917_228 Depth=2
	ds_load_b32 v0, v28
	s_wait_dscnt 0x0
	v_add_nc_u32_e32 v0, v0, v7
	ds_store_b32 v28, v0
	s_branch .LBB917_227
.LBB917_305:                            ;   in Loop: Header=BB917_228 Depth=2
	ds_load_u16 v100, v48 offset:1024
	s_wait_dscnt 0x0
	v_and_b32_e32 v0, 0xffff, v100
	s_delay_alu instid0(VALU_DEP_1) | instskip(NEXT) | instid1(VALU_DEP_1)
	v_lshrrev_b32_e32 v0, s23, v0
	v_and_b32_e32 v0, s42, v0
	s_delay_alu instid0(VALU_DEP_1) | instskip(SKIP_3) | instid1(VALU_DEP_1)
	v_lshlrev_b32_e32 v0, 2, v0
	ds_load_b32 v0, v0
	s_wait_dscnt 0x0
	v_add_nc_u32_e32 v0, v0, v13
	v_lshlrev_b64_e32 v[5:6], 1, v[0:1]
	v_xor_b32_e32 v0, 0x7fff, v100
	s_delay_alu instid0(VALU_DEP_2) | instskip(SKIP_1) | instid1(VALU_DEP_3)
	v_add_co_u32 v5, s15, s40, v5
	s_wait_alu 0xf1ff
	v_add_co_ci_u32_e64 v6, null, s41, v6, s15
	global_store_b16 v[5:6], v0, off
	s_wait_alu 0xfffe
	s_or_b32 exec_lo, exec_lo, s16
	v_cmp_lt_u32_e64 s15, v29, v98
	s_and_saveexec_b32 s17, s15
	s_cbranch_execz .LBB917_270
.LBB917_306:                            ;   in Loop: Header=BB917_228 Depth=2
	ds_load_u16 v100, v48 offset:1536
	s_wait_dscnt 0x0
	v_and_b32_e32 v0, 0xffff, v100
	s_delay_alu instid0(VALU_DEP_1) | instskip(NEXT) | instid1(VALU_DEP_1)
	v_lshrrev_b32_e32 v0, s23, v0
	v_and_b32_e32 v0, s42, v0
	s_delay_alu instid0(VALU_DEP_1) | instskip(SKIP_3) | instid1(VALU_DEP_1)
	v_lshlrev_b32_e32 v0, 2, v0
	ds_load_b32 v0, v0
	s_wait_dscnt 0x0
	v_add_nc_u32_e32 v0, v0, v29
	v_lshlrev_b64_e32 v[5:6], 1, v[0:1]
	v_xor_b32_e32 v0, 0x7fff, v100
	s_delay_alu instid0(VALU_DEP_2) | instskip(SKIP_1) | instid1(VALU_DEP_3)
	v_add_co_u32 v5, s16, s40, v5
	s_wait_alu 0xf1ff
	v_add_co_ci_u32_e64 v6, null, s41, v6, s16
	global_store_b16 v[5:6], v0, off
	s_wait_alu 0xfffe
	s_or_b32 exec_lo, exec_lo, s17
	v_cmp_lt_u32_e64 s16, v30, v98
	s_and_saveexec_b32 s18, s16
	s_cbranch_execz .LBB917_271
.LBB917_307:                            ;   in Loop: Header=BB917_228 Depth=2
	ds_load_u16 v100, v48 offset:2048
	s_wait_dscnt 0x0
	v_and_b32_e32 v0, 0xffff, v100
	s_delay_alu instid0(VALU_DEP_1) | instskip(NEXT) | instid1(VALU_DEP_1)
	v_lshrrev_b32_e32 v0, s23, v0
	v_and_b32_e32 v0, s42, v0
	s_delay_alu instid0(VALU_DEP_1) | instskip(SKIP_3) | instid1(VALU_DEP_1)
	v_lshlrev_b32_e32 v0, 2, v0
	ds_load_b32 v0, v0
	s_wait_dscnt 0x0
	v_add_nc_u32_e32 v0, v0, v30
	v_lshlrev_b64_e32 v[5:6], 1, v[0:1]
	v_xor_b32_e32 v0, 0x7fff, v100
	s_delay_alu instid0(VALU_DEP_2) | instskip(SKIP_1) | instid1(VALU_DEP_3)
	v_add_co_u32 v5, s17, s40, v5
	s_wait_alu 0xf1ff
	v_add_co_ci_u32_e64 v6, null, s41, v6, s17
	global_store_b16 v[5:6], v0, off
	s_wait_alu 0xfffe
	s_or_b32 exec_lo, exec_lo, s18
	v_cmp_lt_u32_e64 s17, v31, v98
	s_and_saveexec_b32 s19, s17
	s_cbranch_execz .LBB917_272
.LBB917_308:                            ;   in Loop: Header=BB917_228 Depth=2
	ds_load_u16 v100, v48 offset:2560
	s_wait_dscnt 0x0
	v_and_b32_e32 v0, 0xffff, v100
	s_delay_alu instid0(VALU_DEP_1) | instskip(NEXT) | instid1(VALU_DEP_1)
	v_lshrrev_b32_e32 v0, s23, v0
	v_and_b32_e32 v0, s42, v0
	s_delay_alu instid0(VALU_DEP_1) | instskip(SKIP_3) | instid1(VALU_DEP_1)
	v_lshlrev_b32_e32 v0, 2, v0
	ds_load_b32 v0, v0
	s_wait_dscnt 0x0
	v_add_nc_u32_e32 v0, v0, v31
	v_lshlrev_b64_e32 v[5:6], 1, v[0:1]
	v_xor_b32_e32 v0, 0x7fff, v100
	s_delay_alu instid0(VALU_DEP_2) | instskip(SKIP_1) | instid1(VALU_DEP_3)
	v_add_co_u32 v5, s18, s40, v5
	s_wait_alu 0xf1ff
	v_add_co_ci_u32_e64 v6, null, s41, v6, s18
	global_store_b16 v[5:6], v0, off
	s_wait_alu 0xfffe
	s_or_b32 exec_lo, exec_lo, s19
	v_cmp_lt_u32_e64 s18, v34, v98
	s_and_saveexec_b32 s20, s18
	s_cbranch_execz .LBB917_273
.LBB917_309:                            ;   in Loop: Header=BB917_228 Depth=2
	ds_load_u16 v100, v48 offset:3072
	s_wait_dscnt 0x0
	v_and_b32_e32 v0, 0xffff, v100
	s_delay_alu instid0(VALU_DEP_1) | instskip(NEXT) | instid1(VALU_DEP_1)
	v_lshrrev_b32_e32 v0, s23, v0
	v_and_b32_e32 v0, s42, v0
	s_delay_alu instid0(VALU_DEP_1) | instskip(SKIP_3) | instid1(VALU_DEP_1)
	v_lshlrev_b32_e32 v0, 2, v0
	ds_load_b32 v0, v0
	s_wait_dscnt 0x0
	v_add_nc_u32_e32 v0, v0, v34
	v_lshlrev_b64_e32 v[5:6], 1, v[0:1]
	v_xor_b32_e32 v0, 0x7fff, v100
	s_delay_alu instid0(VALU_DEP_2) | instskip(SKIP_1) | instid1(VALU_DEP_3)
	v_add_co_u32 v5, s19, s40, v5
	s_wait_alu 0xf1ff
	v_add_co_ci_u32_e64 v6, null, s41, v6, s19
	global_store_b16 v[5:6], v0, off
	s_wait_alu 0xfffe
	s_or_b32 exec_lo, exec_lo, s20
	v_cmp_lt_u32_e64 s19, v35, v98
	s_and_saveexec_b32 s21, s19
	s_cbranch_execz .LBB917_274
.LBB917_310:                            ;   in Loop: Header=BB917_228 Depth=2
	ds_load_u16 v100, v48 offset:3584
	s_wait_dscnt 0x0
	v_and_b32_e32 v0, 0xffff, v100
	s_delay_alu instid0(VALU_DEP_1) | instskip(NEXT) | instid1(VALU_DEP_1)
	v_lshrrev_b32_e32 v0, s23, v0
	v_and_b32_e32 v0, s42, v0
	s_delay_alu instid0(VALU_DEP_1) | instskip(SKIP_3) | instid1(VALU_DEP_1)
	v_lshlrev_b32_e32 v0, 2, v0
	ds_load_b32 v0, v0
	s_wait_dscnt 0x0
	v_add_nc_u32_e32 v0, v0, v35
	v_lshlrev_b64_e32 v[5:6], 1, v[0:1]
	v_xor_b32_e32 v0, 0x7fff, v100
	s_delay_alu instid0(VALU_DEP_2) | instskip(SKIP_1) | instid1(VALU_DEP_3)
	v_add_co_u32 v5, s20, s40, v5
	s_wait_alu 0xf1ff
	v_add_co_ci_u32_e64 v6, null, s41, v6, s20
	global_store_b16 v[5:6], v0, off
	s_wait_alu 0xfffe
	s_or_b32 exec_lo, exec_lo, s21
	v_cmp_lt_u32_e64 s20, v36, v98
	s_and_saveexec_b32 s22, s20
	s_cbranch_execz .LBB917_275
.LBB917_311:                            ;   in Loop: Header=BB917_228 Depth=2
	ds_load_u16 v100, v48 offset:4096
	s_wait_dscnt 0x0
	v_and_b32_e32 v0, 0xffff, v100
	s_delay_alu instid0(VALU_DEP_1) | instskip(NEXT) | instid1(VALU_DEP_1)
	v_lshrrev_b32_e32 v0, s23, v0
	v_and_b32_e32 v0, s42, v0
	s_delay_alu instid0(VALU_DEP_1) | instskip(SKIP_3) | instid1(VALU_DEP_1)
	v_lshlrev_b32_e32 v0, 2, v0
	ds_load_b32 v0, v0
	s_wait_dscnt 0x0
	v_add_nc_u32_e32 v0, v0, v36
	v_lshlrev_b64_e32 v[5:6], 1, v[0:1]
	v_xor_b32_e32 v0, 0x7fff, v100
	s_delay_alu instid0(VALU_DEP_2) | instskip(SKIP_1) | instid1(VALU_DEP_3)
	v_add_co_u32 v5, s21, s40, v5
	s_wait_alu 0xf1ff
	v_add_co_ci_u32_e64 v6, null, s41, v6, s21
	global_store_b16 v[5:6], v0, off
	s_wait_alu 0xfffe
	s_or_b32 exec_lo, exec_lo, s22
	v_cmp_lt_u32_e64 s21, v37, v98
	s_and_saveexec_b32 s48, s21
	s_cbranch_execnz .LBB917_276
	s_branch .LBB917_277
.LBB917_312:                            ;   in Loop: Header=BB917_228 Depth=2
	global_load_b64 v[22:23], v[5:6], off
	s_wait_alu 0xfffe
	s_or_b32 exec_lo, exec_lo, s22
	s_delay_alu instid0(SALU_CYCLE_1)
	s_mov_b32 s30, exec_lo
	v_cmpx_lt_u32_e64 v71, v98
	s_cbranch_execz .LBB917_279
.LBB917_313:                            ;   in Loop: Header=BB917_228 Depth=2
	global_load_b64 v[20:21], v[5:6], off offset:256
	s_wait_alu 0xfffe
	s_or_b32 exec_lo, exec_lo, s30
	s_delay_alu instid0(SALU_CYCLE_1)
	s_mov_b32 s30, exec_lo
	v_cmpx_lt_u32_e64 v72, v98
	s_cbranch_execz .LBB917_280
.LBB917_314:                            ;   in Loop: Header=BB917_228 Depth=2
	global_load_b64 v[18:19], v[5:6], off offset:512
	s_wait_alu 0xfffe
	s_or_b32 exec_lo, exec_lo, s30
	s_delay_alu instid0(SALU_CYCLE_1)
	s_mov_b32 s30, exec_lo
	v_cmpx_lt_u32_e64 v73, v98
	s_cbranch_execz .LBB917_281
.LBB917_315:                            ;   in Loop: Header=BB917_228 Depth=2
	global_load_b64 v[16:17], v[5:6], off offset:768
	s_wait_alu 0xfffe
	s_or_b32 exec_lo, exec_lo, s30
	s_delay_alu instid0(SALU_CYCLE_1)
	s_mov_b32 s30, exec_lo
	v_cmpx_lt_u32_e64 v74, v98
	s_cbranch_execz .LBB917_282
.LBB917_316:                            ;   in Loop: Header=BB917_228 Depth=2
	global_load_b64 v[14:15], v[5:6], off offset:1024
	s_wait_alu 0xfffe
	s_or_b32 exec_lo, exec_lo, s30
	s_delay_alu instid0(SALU_CYCLE_1)
	s_mov_b32 s30, exec_lo
	v_cmpx_lt_u32_e64 v75, v98
	s_cbranch_execz .LBB917_283
.LBB917_317:                            ;   in Loop: Header=BB917_228 Depth=2
	global_load_b64 v[11:12], v[5:6], off offset:1280
	s_wait_alu 0xfffe
	s_or_b32 exec_lo, exec_lo, s30
	s_delay_alu instid0(SALU_CYCLE_1)
	s_mov_b32 s30, exec_lo
	v_cmpx_lt_u32_e64 v76, v98
	s_cbranch_execz .LBB917_284
.LBB917_318:                            ;   in Loop: Header=BB917_228 Depth=2
	global_load_b64 v[9:10], v[5:6], off offset:1536
	s_wait_alu 0xfffe
	s_or_b32 exec_lo, exec_lo, s30
	s_delay_alu instid0(SALU_CYCLE_1)
	s_mov_b32 s30, exec_lo
	v_cmpx_lt_u32_e64 v77, v98
	s_cbranch_execz .LBB917_285
.LBB917_319:                            ;   in Loop: Header=BB917_228 Depth=2
	global_load_b64 v[2:3], v[5:6], off offset:1792
	s_wait_alu 0xfffe
	s_or_b32 exec_lo, exec_lo, s30
	s_and_saveexec_b32 s22, vcc_lo
	s_cbranch_execz .LBB917_286
.LBB917_320:                            ;   in Loop: Header=BB917_228 Depth=2
	ds_load_u16 v0, v48 offset:1024
	s_wait_dscnt 0x0
	v_lshrrev_b32_e32 v0, s23, v0
	s_delay_alu instid0(VALU_DEP_1)
	v_and_b32_e32 v97, s42, v0
	s_wait_alu 0xfffe
	s_or_b32 exec_lo, exec_lo, s22
	s_and_saveexec_b32 s22, s15
	s_cbranch_execz .LBB917_287
.LBB917_321:                            ;   in Loop: Header=BB917_228 Depth=2
	ds_load_u16 v0, v48 offset:1536
	s_wait_dscnt 0x0
	v_lshrrev_b32_e32 v0, s23, v0
	s_delay_alu instid0(VALU_DEP_1)
	v_and_b32_e32 v96, s42, v0
	s_wait_alu 0xfffe
	s_or_b32 exec_lo, exec_lo, s22
	s_and_saveexec_b32 s22, s16
	s_cbranch_execz .LBB917_288
.LBB917_322:                            ;   in Loop: Header=BB917_228 Depth=2
	ds_load_u16 v0, v48 offset:2048
	s_wait_dscnt 0x0
	v_lshrrev_b32_e32 v0, s23, v0
	s_delay_alu instid0(VALU_DEP_1)
	v_and_b32_e32 v95, s42, v0
	s_wait_alu 0xfffe
	s_or_b32 exec_lo, exec_lo, s22
	s_and_saveexec_b32 s22, s17
	s_cbranch_execz .LBB917_289
.LBB917_323:                            ;   in Loop: Header=BB917_228 Depth=2
	ds_load_u16 v0, v48 offset:2560
	s_wait_dscnt 0x0
	v_lshrrev_b32_e32 v0, s23, v0
	s_delay_alu instid0(VALU_DEP_1)
	v_and_b32_e32 v94, s42, v0
	s_wait_alu 0xfffe
	s_or_b32 exec_lo, exec_lo, s22
	s_and_saveexec_b32 s22, s18
	s_cbranch_execz .LBB917_290
.LBB917_324:                            ;   in Loop: Header=BB917_228 Depth=2
	ds_load_u16 v0, v48 offset:3072
	s_wait_dscnt 0x0
	v_lshrrev_b32_e32 v0, s23, v0
	s_delay_alu instid0(VALU_DEP_1)
	v_and_b32_e32 v93, s42, v0
	s_wait_alu 0xfffe
	s_or_b32 exec_lo, exec_lo, s22
	s_and_saveexec_b32 s22, s19
	s_cbranch_execz .LBB917_291
.LBB917_325:                            ;   in Loop: Header=BB917_228 Depth=2
	ds_load_u16 v0, v48 offset:3584
	s_wait_dscnt 0x0
	v_lshrrev_b32_e32 v0, s23, v0
	s_delay_alu instid0(VALU_DEP_1)
	v_and_b32_e32 v92, s42, v0
	s_wait_alu 0xfffe
	s_or_b32 exec_lo, exec_lo, s22
	s_and_saveexec_b32 s22, s20
	s_cbranch_execz .LBB917_292
.LBB917_326:                            ;   in Loop: Header=BB917_228 Depth=2
	ds_load_u16 v0, v48 offset:4096
	s_wait_dscnt 0x0
	v_lshrrev_b32_e32 v0, s23, v0
	s_delay_alu instid0(VALU_DEP_1)
	v_and_b32_e32 v91, s42, v0
	s_wait_alu 0xfffe
	s_or_b32 exec_lo, exec_lo, s22
	s_and_saveexec_b32 s22, s21
	s_cbranch_execnz .LBB917_293
	s_branch .LBB917_294
.LBB917_327:                            ;   in Loop: Header=BB917_228 Depth=2
	v_lshlrev_b32_e32 v0, 2, v97
	v_add_nc_u32_e32 v5, v48, v49
	ds_load_b32 v0, v0
	ds_load_b64 v[5:6], v5 offset:1024
	s_wait_dscnt 0x1
	v_add_nc_u32_e32 v0, v0, v13
	s_delay_alu instid0(VALU_DEP_1) | instskip(NEXT) | instid1(VALU_DEP_1)
	v_lshlrev_b64_e32 v[24:25], 3, v[0:1]
	v_add_co_u32 v24, vcc_lo, s26, v24
	s_wait_alu 0xfffd
	s_delay_alu instid0(VALU_DEP_2)
	v_add_co_ci_u32_e64 v25, null, s27, v25, vcc_lo
	s_wait_dscnt 0x0
	global_store_b64 v[24:25], v[5:6], off
	s_wait_alu 0xfffe
	s_or_b32 exec_lo, exec_lo, s22
	s_and_saveexec_b32 s22, s15
	s_cbranch_execz .LBB917_296
.LBB917_328:                            ;   in Loop: Header=BB917_228 Depth=2
	v_lshlrev_b32_e32 v0, 2, v96
	v_add_nc_u32_e32 v5, v48, v49
	ds_load_b32 v0, v0
	ds_load_b64 v[5:6], v5 offset:3072
	s_wait_dscnt 0x1
	v_add_nc_u32_e32 v0, v0, v29
	s_delay_alu instid0(VALU_DEP_1) | instskip(NEXT) | instid1(VALU_DEP_1)
	v_lshlrev_b64_e32 v[24:25], 3, v[0:1]
	v_add_co_u32 v24, vcc_lo, s26, v24
	s_wait_alu 0xfffd
	s_delay_alu instid0(VALU_DEP_2)
	v_add_co_ci_u32_e64 v25, null, s27, v25, vcc_lo
	s_wait_dscnt 0x0
	global_store_b64 v[24:25], v[5:6], off
	s_wait_alu 0xfffe
	s_or_b32 exec_lo, exec_lo, s22
	s_and_saveexec_b32 s15, s16
	s_cbranch_execz .LBB917_297
.LBB917_329:                            ;   in Loop: Header=BB917_228 Depth=2
	v_lshlrev_b32_e32 v0, 2, v95
	v_add_nc_u32_e32 v5, v48, v49
	ds_load_b32 v0, v0
	ds_load_b64 v[5:6], v5 offset:5120
	s_wait_dscnt 0x1
	v_add_nc_u32_e32 v0, v0, v30
	s_delay_alu instid0(VALU_DEP_1) | instskip(NEXT) | instid1(VALU_DEP_1)
	v_lshlrev_b64_e32 v[24:25], 3, v[0:1]
	v_add_co_u32 v24, vcc_lo, s26, v24
	s_wait_alu 0xfffd
	s_delay_alu instid0(VALU_DEP_2)
	v_add_co_ci_u32_e64 v25, null, s27, v25, vcc_lo
	s_wait_dscnt 0x0
	global_store_b64 v[24:25], v[5:6], off
	s_wait_alu 0xfffe
	s_or_b32 exec_lo, exec_lo, s15
	s_and_saveexec_b32 s15, s17
	s_cbranch_execz .LBB917_298
.LBB917_330:                            ;   in Loop: Header=BB917_228 Depth=2
	v_lshlrev_b32_e32 v0, 2, v94
	v_add_nc_u32_e32 v5, v48, v49
	ds_load_b32 v0, v0
	ds_load_b64 v[5:6], v5 offset:7168
	s_wait_dscnt 0x1
	v_add_nc_u32_e32 v0, v0, v31
	s_delay_alu instid0(VALU_DEP_1) | instskip(NEXT) | instid1(VALU_DEP_1)
	v_lshlrev_b64_e32 v[24:25], 3, v[0:1]
	v_add_co_u32 v24, vcc_lo, s26, v24
	s_wait_alu 0xfffd
	s_delay_alu instid0(VALU_DEP_2)
	v_add_co_ci_u32_e64 v25, null, s27, v25, vcc_lo
	s_wait_dscnt 0x0
	global_store_b64 v[24:25], v[5:6], off
	s_wait_alu 0xfffe
	s_or_b32 exec_lo, exec_lo, s15
	s_and_saveexec_b32 s15, s18
	s_cbranch_execz .LBB917_299
.LBB917_331:                            ;   in Loop: Header=BB917_228 Depth=2
	v_lshlrev_b32_e32 v0, 2, v93
	v_add_nc_u32_e32 v5, v48, v49
	ds_load_b32 v0, v0
	ds_load_b64 v[5:6], v5 offset:9216
	s_wait_dscnt 0x1
	v_add_nc_u32_e32 v0, v0, v34
	s_delay_alu instid0(VALU_DEP_1) | instskip(NEXT) | instid1(VALU_DEP_1)
	v_lshlrev_b64_e32 v[24:25], 3, v[0:1]
	v_add_co_u32 v24, vcc_lo, s26, v24
	s_wait_alu 0xfffd
	s_delay_alu instid0(VALU_DEP_2)
	v_add_co_ci_u32_e64 v25, null, s27, v25, vcc_lo
	s_wait_dscnt 0x0
	global_store_b64 v[24:25], v[5:6], off
	s_wait_alu 0xfffe
	s_or_b32 exec_lo, exec_lo, s15
	s_and_saveexec_b32 s15, s19
	s_cbranch_execz .LBB917_300
.LBB917_332:                            ;   in Loop: Header=BB917_228 Depth=2
	v_lshlrev_b32_e32 v0, 2, v92
	v_add_nc_u32_e32 v5, v48, v49
	ds_load_b32 v0, v0
	ds_load_b64 v[5:6], v5 offset:11264
	s_wait_dscnt 0x1
	v_add_nc_u32_e32 v0, v0, v35
	s_delay_alu instid0(VALU_DEP_1) | instskip(NEXT) | instid1(VALU_DEP_1)
	v_lshlrev_b64_e32 v[24:25], 3, v[0:1]
	v_add_co_u32 v24, vcc_lo, s26, v24
	s_wait_alu 0xfffd
	s_delay_alu instid0(VALU_DEP_2)
	v_add_co_ci_u32_e64 v25, null, s27, v25, vcc_lo
	s_wait_dscnt 0x0
	global_store_b64 v[24:25], v[5:6], off
	s_wait_alu 0xfffe
	s_or_b32 exec_lo, exec_lo, s15
	s_and_saveexec_b32 s15, s20
	s_cbranch_execz .LBB917_301
.LBB917_333:                            ;   in Loop: Header=BB917_228 Depth=2
	v_lshlrev_b32_e32 v0, 2, v91
	v_add_nc_u32_e32 v5, v48, v49
	ds_load_b32 v0, v0
	ds_load_b64 v[5:6], v5 offset:13312
	s_wait_dscnt 0x1
	v_add_nc_u32_e32 v0, v0, v36
	s_delay_alu instid0(VALU_DEP_1) | instskip(NEXT) | instid1(VALU_DEP_1)
	v_lshlrev_b64_e32 v[24:25], 3, v[0:1]
	v_add_co_u32 v24, vcc_lo, s26, v24
	s_wait_alu 0xfffd
	s_delay_alu instid0(VALU_DEP_2)
	v_add_co_ci_u32_e64 v25, null, s27, v25, vcc_lo
	s_wait_dscnt 0x0
	global_store_b64 v[24:25], v[5:6], off
	s_wait_alu 0xfffe
	s_or_b32 exec_lo, exec_lo, s15
	s_and_saveexec_b32 s15, s21
	s_cbranch_execnz .LBB917_302
	s_branch .LBB917_303
.LBB917_334:                            ;   in Loop: Header=BB917_228 Depth=2
	v_bfrev_b32_e32 v5, 1
	v_dual_mov_b32 v6, v4 :: v_dual_mov_b32 v7, v4
	v_mov_b32_e32 v8, v4
	global_load_d16_b16 v5, v[24:25], off
	s_wait_alu 0xfffe
	s_or_b32 exec_lo, exec_lo, s15
	s_delay_alu instid0(SALU_CYCLE_1)
	s_mov_b32 s15, exec_lo
	v_cmpx_gt_u32_e64 s43, v71
	s_cbranch_execz .LBB917_233
.LBB917_335:                            ;   in Loop: Header=BB917_228 Depth=2
	s_wait_loadcnt 0x0
	global_load_d16_hi_b16 v5, v[24:25], off offset:64
	s_wait_alu 0xfffe
	s_or_b32 exec_lo, exec_lo, s15
	s_delay_alu instid0(SALU_CYCLE_1)
	s_mov_b32 s15, exec_lo
	v_cmpx_gt_u32_e64 s43, v72
	s_cbranch_execz .LBB917_234
.LBB917_336:                            ;   in Loop: Header=BB917_228 Depth=2
	global_load_d16_b16 v6, v[24:25], off offset:128
	s_wait_alu 0xfffe
	s_or_b32 exec_lo, exec_lo, s15
	s_delay_alu instid0(SALU_CYCLE_1)
	s_mov_b32 s15, exec_lo
	v_cmpx_gt_u32_e64 s43, v73
	s_cbranch_execz .LBB917_235
.LBB917_337:                            ;   in Loop: Header=BB917_228 Depth=2
	s_wait_loadcnt 0x0
	global_load_d16_hi_b16 v6, v[24:25], off offset:192
	s_wait_alu 0xfffe
	s_or_b32 exec_lo, exec_lo, s15
	s_delay_alu instid0(SALU_CYCLE_1)
	s_mov_b32 s15, exec_lo
	v_cmpx_gt_u32_e64 s43, v74
	s_cbranch_execz .LBB917_236
.LBB917_338:                            ;   in Loop: Header=BB917_228 Depth=2
	global_load_d16_b16 v7, v[24:25], off offset:256
	s_wait_alu 0xfffe
	s_or_b32 exec_lo, exec_lo, s15
	s_delay_alu instid0(SALU_CYCLE_1)
	s_mov_b32 s15, exec_lo
	v_cmpx_gt_u32_e64 s43, v75
	s_cbranch_execz .LBB917_237
.LBB917_339:                            ;   in Loop: Header=BB917_228 Depth=2
	s_wait_loadcnt 0x0
	global_load_d16_hi_b16 v7, v[24:25], off offset:320
	s_wait_alu 0xfffe
	s_or_b32 exec_lo, exec_lo, s15
	s_delay_alu instid0(SALU_CYCLE_1)
	s_mov_b32 s15, exec_lo
	v_cmpx_gt_u32_e64 s43, v76
	s_cbranch_execnz .LBB917_238
	s_branch .LBB917_239
.LBB917_340:                            ;   in Loop: Header=BB917_12 Depth=1
	s_wait_loadcnt_dscnt 0x0
	s_barrier_signal -1
	s_barrier_wait -1
.LBB917_341:                            ;   in Loop: Header=BB917_12 Depth=1
	s_mov_b32 s0, 0
.LBB917_342:                            ;   in Loop: Header=BB917_12 Depth=1
	s_wait_alu 0xfffe
	s_and_not1_b32 vcc_lo, exec_lo, s0
	s_wait_alu 0xfffe
	s_cbranch_vccnz .LBB917_11
; %bb.343:                              ;   in Loop: Header=BB917_12 Depth=1
	s_and_b32 vcc_lo, exec_lo, s35
	s_mov_b32 s0, -1
	s_wait_alu 0xfffe
	s_cbranch_vccz .LBB917_507
; %bb.344:                              ;   in Loop: Header=BB917_12 Depth=1
	v_dual_mov_b32 v0, v1 :: v_dual_mov_b32 v3, v1
	v_mov_b32_e32 v2, v1
	s_mov_b32 s9, s47
	s_mov_b32 s30, s33
	s_barrier_signal -1
	s_delay_alu instid0(VALU_DEP_1)
	v_dual_mov_b32 v8, v3 :: v_dual_mov_b32 v7, v2
	v_dual_mov_b32 v6, v1 :: v_dual_mov_b32 v5, v0
	s_barrier_wait -1
	global_inv scope:SCOPE_SE
	s_branch .LBB917_346
.LBB917_345:                            ;   in Loop: Header=BB917_346 Depth=2
	s_wait_alu 0xfffe
	s_or_b32 exec_lo, exec_lo, s0
	s_addk_co_i32 s9, 0xf800
	s_cmp_ge_u32 s10, s34
	s_mov_b32 s30, s10
	s_cbranch_scc1 .LBB917_382
.LBB917_346:                            ;   Parent Loop BB917_12 Depth=1
                                        ; =>  This Inner Loop Header: Depth=2
	s_wait_alu 0xfffe
	s_add_co_i32 s10, s30, 0x800
	s_mov_b32 s0, -1
	s_wait_alu 0xfffe
	s_cmp_gt_u32 s10, s34
                                        ; implicit-def: $vgpr9_vgpr10_vgpr11_vgpr12
	s_cbranch_scc1 .LBB917_348
; %bb.347:                              ;   in Loop: Header=BB917_346 Depth=2
	s_lshl_b64 s[0:1], s[30:31], 1
	s_wait_alu 0xfffe
	v_add_co_u32 v2, vcc_lo, v56, s0
	s_wait_alu 0xfffd
	v_add_co_ci_u32_e64 v3, null, s1, v57, vcc_lo
	s_mov_b32 s0, 0
	s_clause 0x3
	global_load_u16 v9, v[2:3], off
	global_load_u16 v10, v[2:3], off offset:1024
	global_load_u16 v11, v[2:3], off offset:2048
	;; [unrolled: 1-line block ×3, first 2 shown]
	s_wait_loadcnt 0x3
	global_load_d16_hi_b16 v9, v[2:3], off offset:512
	s_wait_loadcnt 0x3
	global_load_d16_hi_b16 v10, v[2:3], off offset:1536
	;; [unrolled: 2-line block ×4, first 2 shown]
.LBB917_348:                            ;   in Loop: Header=BB917_346 Depth=2
	s_wait_alu 0xfffe
	s_and_not1_b32 vcc_lo, exec_lo, s0
	s_movk_i32 s0, 0x800
	s_wait_alu 0xfffe
	s_cbranch_vccnz .LBB917_359
; %bb.349:                              ;   in Loop: Header=BB917_346 Depth=2
	s_lshl_b64 s[0:1], s[30:31], 1
	s_mov_b32 s11, exec_lo
	s_wait_alu 0xfffe
	s_add_nc_u64 s[0:1], s[36:37], s[0:1]
	v_cmpx_gt_u32_e64 s9, v13
	s_cbranch_execnz .LBB917_375
; %bb.350:                              ;   in Loop: Header=BB917_346 Depth=2
	s_or_b32 exec_lo, exec_lo, s11
	s_delay_alu instid0(SALU_CYCLE_1)
	s_mov_b32 s11, exec_lo
	v_cmpx_gt_u32_e64 s9, v29
	s_cbranch_execnz .LBB917_376
.LBB917_351:                            ;   in Loop: Header=BB917_346 Depth=2
	s_wait_alu 0xfffe
	s_or_b32 exec_lo, exec_lo, s11
	s_delay_alu instid0(SALU_CYCLE_1)
	s_mov_b32 s11, exec_lo
	v_cmpx_gt_u32_e64 s9, v30
	s_cbranch_execnz .LBB917_377
.LBB917_352:                            ;   in Loop: Header=BB917_346 Depth=2
	s_wait_alu 0xfffe
	s_or_b32 exec_lo, exec_lo, s11
	s_delay_alu instid0(SALU_CYCLE_1)
	s_mov_b32 s11, exec_lo
	v_cmpx_gt_u32_e64 s9, v31
	s_cbranch_execnz .LBB917_378
.LBB917_353:                            ;   in Loop: Header=BB917_346 Depth=2
	s_wait_alu 0xfffe
	s_or_b32 exec_lo, exec_lo, s11
	s_delay_alu instid0(SALU_CYCLE_1)
	s_mov_b32 s11, exec_lo
	v_cmpx_gt_u32_e64 s9, v34
	s_cbranch_execnz .LBB917_379
.LBB917_354:                            ;   in Loop: Header=BB917_346 Depth=2
	s_wait_alu 0xfffe
	s_or_b32 exec_lo, exec_lo, s11
	s_delay_alu instid0(SALU_CYCLE_1)
	s_mov_b32 s11, exec_lo
	v_cmpx_gt_u32_e64 s9, v35
	s_cbranch_execnz .LBB917_380
.LBB917_355:                            ;   in Loop: Header=BB917_346 Depth=2
	s_wait_alu 0xfffe
	s_or_b32 exec_lo, exec_lo, s11
	s_delay_alu instid0(SALU_CYCLE_1)
	s_mov_b32 s11, exec_lo
	v_cmpx_gt_u32_e64 s9, v36
	s_cbranch_execnz .LBB917_381
.LBB917_356:                            ;   in Loop: Header=BB917_346 Depth=2
	s_wait_alu 0xfffe
	s_or_b32 exec_lo, exec_lo, s11
	s_delay_alu instid0(SALU_CYCLE_1)
	s_mov_b32 s11, exec_lo
	v_cmpx_gt_u32_e64 s9, v37
	s_cbranch_execz .LBB917_358
.LBB917_357:                            ;   in Loop: Header=BB917_346 Depth=2
	s_wait_loadcnt 0x0
	global_load_d16_hi_b16 v8, v79, s[0:1] offset:3584
.LBB917_358:                            ;   in Loop: Header=BB917_346 Depth=2
	s_wait_alu 0xfffe
	s_or_b32 exec_lo, exec_lo, s11
	s_wait_loadcnt 0x0
	v_dual_mov_b32 v12, v8 :: v_dual_mov_b32 v11, v7
	v_dual_mov_b32 v10, v6 :: v_dual_mov_b32 v9, v5
	s_mov_b32 s0, s9
.LBB917_359:                            ;   in Loop: Header=BB917_346 Depth=2
	s_wait_loadcnt 0x0
	s_delay_alu instid0(VALU_DEP_1)
	v_dual_mov_b32 v5, v9 :: v_dual_mov_b32 v6, v10
	v_dual_mov_b32 v7, v11 :: v_dual_mov_b32 v8, v12
	s_mov_b32 s1, exec_lo
	s_wait_alu 0xfffe
	v_cmpx_gt_u32_e64 s0, v13
	s_cbranch_execnz .LBB917_367
; %bb.360:                              ;   in Loop: Header=BB917_346 Depth=2
	s_or_b32 exec_lo, exec_lo, s1
	s_delay_alu instid0(SALU_CYCLE_1)
	s_mov_b32 s1, exec_lo
	v_cmpx_gt_u32_e64 s0, v29
	s_cbranch_execnz .LBB917_368
.LBB917_361:                            ;   in Loop: Header=BB917_346 Depth=2
	s_wait_alu 0xfffe
	s_or_b32 exec_lo, exec_lo, s1
	s_delay_alu instid0(SALU_CYCLE_1)
	s_mov_b32 s1, exec_lo
	v_cmpx_gt_u32_e64 s0, v30
	s_cbranch_execnz .LBB917_369
.LBB917_362:                            ;   in Loop: Header=BB917_346 Depth=2
	s_wait_alu 0xfffe
	s_or_b32 exec_lo, exec_lo, s1
	s_delay_alu instid0(SALU_CYCLE_1)
	s_mov_b32 s1, exec_lo
	v_cmpx_gt_u32_e64 s0, v31
	s_cbranch_execnz .LBB917_370
.LBB917_363:                            ;   in Loop: Header=BB917_346 Depth=2
	s_wait_alu 0xfffe
	s_or_b32 exec_lo, exec_lo, s1
	s_delay_alu instid0(SALU_CYCLE_1)
	s_mov_b32 s1, exec_lo
	v_cmpx_gt_u32_e64 s0, v34
	s_cbranch_execnz .LBB917_371
.LBB917_364:                            ;   in Loop: Header=BB917_346 Depth=2
	s_wait_alu 0xfffe
	s_or_b32 exec_lo, exec_lo, s1
	s_delay_alu instid0(SALU_CYCLE_1)
	s_mov_b32 s1, exec_lo
	v_cmpx_gt_u32_e64 s0, v35
	s_cbranch_execnz .LBB917_372
.LBB917_365:                            ;   in Loop: Header=BB917_346 Depth=2
	s_wait_alu 0xfffe
	s_or_b32 exec_lo, exec_lo, s1
	s_delay_alu instid0(SALU_CYCLE_1)
	s_mov_b32 s1, exec_lo
	v_cmpx_gt_u32_e64 s0, v36
	s_cbranch_execnz .LBB917_373
.LBB917_366:                            ;   in Loop: Header=BB917_346 Depth=2
	s_wait_alu 0xfffe
	s_or_b32 exec_lo, exec_lo, s1
	v_cmp_gt_u32_e32 vcc_lo, s0, v37
	s_and_saveexec_b32 s0, vcc_lo
	s_cbranch_execz .LBB917_345
	s_branch .LBB917_374
.LBB917_367:                            ;   in Loop: Header=BB917_346 Depth=2
	v_xor_b32_e32 v0, 0x7fff, v5
	s_delay_alu instid0(VALU_DEP_1) | instskip(NEXT) | instid1(VALU_DEP_1)
	v_and_b32_e32 v0, 0xffff, v0
	v_lshrrev_b32_e32 v0, s45, v0
	s_delay_alu instid0(VALU_DEP_1) | instskip(NEXT) | instid1(VALU_DEP_1)
	v_and_b32_e32 v0, s42, v0
	v_lshl_or_b32 v0, v0, 4, v39
	ds_add_u32 v0, v63
	s_or_b32 exec_lo, exec_lo, s1
	s_delay_alu instid0(SALU_CYCLE_1)
	s_mov_b32 s1, exec_lo
	v_cmpx_gt_u32_e64 s0, v29
	s_cbranch_execz .LBB917_361
.LBB917_368:                            ;   in Loop: Header=BB917_346 Depth=2
	v_lshrrev_b32_e32 v0, 16, v5
	s_delay_alu instid0(VALU_DEP_1) | instskip(NEXT) | instid1(VALU_DEP_1)
	v_xor_b32_e32 v0, 0x7fff, v0
	v_and_b32_e32 v0, 0xffff, v0
	s_delay_alu instid0(VALU_DEP_1) | instskip(NEXT) | instid1(VALU_DEP_1)
	v_lshrrev_b32_e32 v0, s45, v0
	v_and_b32_e32 v0, s42, v0
	s_delay_alu instid0(VALU_DEP_1) | instskip(SKIP_3) | instid1(SALU_CYCLE_1)
	v_lshl_or_b32 v0, v0, 4, v39
	ds_add_u32 v0, v63
	s_wait_alu 0xfffe
	s_or_b32 exec_lo, exec_lo, s1
	s_mov_b32 s1, exec_lo
	v_cmpx_gt_u32_e64 s0, v30
	s_cbranch_execz .LBB917_362
.LBB917_369:                            ;   in Loop: Header=BB917_346 Depth=2
	v_xor_b32_e32 v0, 0x7fff, v6
	s_delay_alu instid0(VALU_DEP_1) | instskip(NEXT) | instid1(VALU_DEP_1)
	v_and_b32_e32 v0, 0xffff, v0
	v_lshrrev_b32_e32 v0, s45, v0
	s_delay_alu instid0(VALU_DEP_1) | instskip(NEXT) | instid1(VALU_DEP_1)
	v_and_b32_e32 v0, s42, v0
	v_lshl_or_b32 v0, v0, 4, v39
	ds_add_u32 v0, v63
	s_wait_alu 0xfffe
	s_or_b32 exec_lo, exec_lo, s1
	s_delay_alu instid0(SALU_CYCLE_1)
	s_mov_b32 s1, exec_lo
	v_cmpx_gt_u32_e64 s0, v31
	s_cbranch_execz .LBB917_363
.LBB917_370:                            ;   in Loop: Header=BB917_346 Depth=2
	v_lshrrev_b32_e32 v0, 16, v6
	s_delay_alu instid0(VALU_DEP_1) | instskip(NEXT) | instid1(VALU_DEP_1)
	v_xor_b32_e32 v0, 0x7fff, v0
	v_and_b32_e32 v0, 0xffff, v0
	s_delay_alu instid0(VALU_DEP_1) | instskip(NEXT) | instid1(VALU_DEP_1)
	v_lshrrev_b32_e32 v0, s45, v0
	v_and_b32_e32 v0, s42, v0
	s_delay_alu instid0(VALU_DEP_1) | instskip(SKIP_3) | instid1(SALU_CYCLE_1)
	v_lshl_or_b32 v0, v0, 4, v39
	ds_add_u32 v0, v63
	s_wait_alu 0xfffe
	s_or_b32 exec_lo, exec_lo, s1
	s_mov_b32 s1, exec_lo
	v_cmpx_gt_u32_e64 s0, v34
	s_cbranch_execz .LBB917_364
.LBB917_371:                            ;   in Loop: Header=BB917_346 Depth=2
	v_xor_b32_e32 v0, 0x7fff, v7
	s_delay_alu instid0(VALU_DEP_1) | instskip(NEXT) | instid1(VALU_DEP_1)
	v_and_b32_e32 v0, 0xffff, v0
	v_lshrrev_b32_e32 v0, s45, v0
	s_delay_alu instid0(VALU_DEP_1) | instskip(NEXT) | instid1(VALU_DEP_1)
	v_and_b32_e32 v0, s42, v0
	v_lshl_or_b32 v0, v0, 4, v39
	ds_add_u32 v0, v63
	s_wait_alu 0xfffe
	s_or_b32 exec_lo, exec_lo, s1
	s_delay_alu instid0(SALU_CYCLE_1)
	s_mov_b32 s1, exec_lo
	v_cmpx_gt_u32_e64 s0, v35
	s_cbranch_execz .LBB917_365
.LBB917_372:                            ;   in Loop: Header=BB917_346 Depth=2
	v_lshrrev_b32_e32 v0, 16, v7
	s_delay_alu instid0(VALU_DEP_1) | instskip(NEXT) | instid1(VALU_DEP_1)
	v_xor_b32_e32 v0, 0x7fff, v0
	v_and_b32_e32 v0, 0xffff, v0
	s_delay_alu instid0(VALU_DEP_1) | instskip(NEXT) | instid1(VALU_DEP_1)
	v_lshrrev_b32_e32 v0, s45, v0
	v_and_b32_e32 v0, s42, v0
	s_delay_alu instid0(VALU_DEP_1) | instskip(SKIP_3) | instid1(SALU_CYCLE_1)
	v_lshl_or_b32 v0, v0, 4, v39
	ds_add_u32 v0, v63
	s_wait_alu 0xfffe
	s_or_b32 exec_lo, exec_lo, s1
	s_mov_b32 s1, exec_lo
	v_cmpx_gt_u32_e64 s0, v36
	s_cbranch_execz .LBB917_366
.LBB917_373:                            ;   in Loop: Header=BB917_346 Depth=2
	v_xor_b32_e32 v0, 0x7fff, v8
	s_delay_alu instid0(VALU_DEP_1) | instskip(NEXT) | instid1(VALU_DEP_1)
	v_and_b32_e32 v0, 0xffff, v0
	v_lshrrev_b32_e32 v0, s45, v0
	s_delay_alu instid0(VALU_DEP_1) | instskip(NEXT) | instid1(VALU_DEP_1)
	v_and_b32_e32 v0, s42, v0
	v_lshl_or_b32 v0, v0, 4, v39
	ds_add_u32 v0, v63
	s_wait_alu 0xfffe
	s_or_b32 exec_lo, exec_lo, s1
	v_cmp_gt_u32_e32 vcc_lo, s0, v37
	s_and_saveexec_b32 s0, vcc_lo
	s_cbranch_execz .LBB917_345
.LBB917_374:                            ;   in Loop: Header=BB917_346 Depth=2
	v_lshrrev_b32_e32 v0, 16, v8
	s_delay_alu instid0(VALU_DEP_1) | instskip(NEXT) | instid1(VALU_DEP_1)
	v_xor_b32_e32 v0, 0x7fff, v0
	v_and_b32_e32 v0, 0xffff, v0
	s_delay_alu instid0(VALU_DEP_1) | instskip(NEXT) | instid1(VALU_DEP_1)
	v_lshrrev_b32_e32 v0, s45, v0
	v_and_b32_e32 v0, s42, v0
	s_delay_alu instid0(VALU_DEP_1)
	v_lshl_or_b32 v0, v0, 4, v39
	ds_add_u32 v0, v63
	s_branch .LBB917_345
.LBB917_375:                            ;   in Loop: Header=BB917_346 Depth=2
	global_load_d16_b16 v5, v79, s[0:1]
	s_or_b32 exec_lo, exec_lo, s11
	s_delay_alu instid0(SALU_CYCLE_1)
	s_mov_b32 s11, exec_lo
	v_cmpx_gt_u32_e64 s9, v29
	s_cbranch_execz .LBB917_351
.LBB917_376:                            ;   in Loop: Header=BB917_346 Depth=2
	s_wait_loadcnt 0x0
	global_load_d16_hi_b16 v5, v79, s[0:1] offset:512
	s_wait_alu 0xfffe
	s_or_b32 exec_lo, exec_lo, s11
	s_delay_alu instid0(SALU_CYCLE_1)
	s_mov_b32 s11, exec_lo
	v_cmpx_gt_u32_e64 s9, v30
	s_cbranch_execz .LBB917_352
.LBB917_377:                            ;   in Loop: Header=BB917_346 Depth=2
	global_load_d16_b16 v6, v79, s[0:1] offset:1024
	s_wait_alu 0xfffe
	s_or_b32 exec_lo, exec_lo, s11
	s_delay_alu instid0(SALU_CYCLE_1)
	s_mov_b32 s11, exec_lo
	v_cmpx_gt_u32_e64 s9, v31
	s_cbranch_execz .LBB917_353
.LBB917_378:                            ;   in Loop: Header=BB917_346 Depth=2
	s_wait_loadcnt 0x0
	global_load_d16_hi_b16 v6, v79, s[0:1] offset:1536
	s_wait_alu 0xfffe
	s_or_b32 exec_lo, exec_lo, s11
	s_delay_alu instid0(SALU_CYCLE_1)
	s_mov_b32 s11, exec_lo
	v_cmpx_gt_u32_e64 s9, v34
	s_cbranch_execz .LBB917_354
.LBB917_379:                            ;   in Loop: Header=BB917_346 Depth=2
	global_load_d16_b16 v7, v79, s[0:1] offset:2048
	s_wait_alu 0xfffe
	s_or_b32 exec_lo, exec_lo, s11
	s_delay_alu instid0(SALU_CYCLE_1)
	s_mov_b32 s11, exec_lo
	v_cmpx_gt_u32_e64 s9, v35
	s_cbranch_execz .LBB917_355
.LBB917_380:                            ;   in Loop: Header=BB917_346 Depth=2
	s_wait_loadcnt 0x0
	global_load_d16_hi_b16 v7, v79, s[0:1] offset:2560
	s_wait_alu 0xfffe
	s_or_b32 exec_lo, exec_lo, s11
	s_delay_alu instid0(SALU_CYCLE_1)
	s_mov_b32 s11, exec_lo
	v_cmpx_gt_u32_e64 s9, v36
	s_cbranch_execz .LBB917_356
.LBB917_381:                            ;   in Loop: Header=BB917_346 Depth=2
	global_load_d16_b16 v8, v79, s[0:1] offset:3072
	s_wait_alu 0xfffe
	s_or_b32 exec_lo, exec_lo, s11
	s_delay_alu instid0(SALU_CYCLE_1)
	s_mov_b32 s11, exec_lo
	v_cmpx_gt_u32_e64 s9, v37
	s_cbranch_execnz .LBB917_357
	s_branch .LBB917_358
.LBB917_382:                            ;   in Loop: Header=BB917_12 Depth=1
	v_mov_b32_e32 v0, 0
	s_wait_dscnt 0x0
	s_barrier_signal -1
	s_barrier_wait -1
	global_inv scope:SCOPE_SE
	s_and_saveexec_b32 s0, s2
	s_cbranch_execz .LBB917_384
; %bb.383:                              ;   in Loop: Header=BB917_12 Depth=1
	ds_load_2addr_b64 v[5:8], v40 offset1:1
	s_wait_dscnt 0x0
	v_add_nc_u32_e32 v0, v6, v5
	s_delay_alu instid0(VALU_DEP_1)
	v_add3_u32 v0, v0, v7, v8
.LBB917_384:                            ;   in Loop: Header=BB917_12 Depth=1
	s_wait_alu 0xfffe
	s_or_b32 exec_lo, exec_lo, s0
	s_delay_alu instid0(VALU_DEP_1)
	v_mov_b32_dpp v2, v0 row_shr:1 row_mask:0xf bank_mask:0xf
	v_cmp_eq_u32_e64 s0, 0, v64
	v_cmp_lt_u32_e64 s1, 1, v64
	v_cmp_lt_u32_e64 s9, 3, v64
	;; [unrolled: 1-line block ×3, first 2 shown]
	v_cmp_eq_u32_e64 s11, 0, v66
	s_wait_alu 0xf1ff
	v_cndmask_b32_e64 v2, v2, 0, s0
	s_delay_alu instid0(VALU_DEP_1) | instskip(NEXT) | instid1(VALU_DEP_1)
	v_add_nc_u32_e32 v0, v2, v0
	v_mov_b32_dpp v2, v0 row_shr:2 row_mask:0xf bank_mask:0xf
	s_delay_alu instid0(VALU_DEP_1) | instskip(NEXT) | instid1(VALU_DEP_1)
	v_cndmask_b32_e64 v2, 0, v2, s1
	v_add_nc_u32_e32 v0, v0, v2
	s_delay_alu instid0(VALU_DEP_1) | instskip(NEXT) | instid1(VALU_DEP_1)
	v_mov_b32_dpp v2, v0 row_shr:4 row_mask:0xf bank_mask:0xf
	v_cndmask_b32_e64 v2, 0, v2, s9
	s_delay_alu instid0(VALU_DEP_1) | instskip(NEXT) | instid1(VALU_DEP_1)
	v_add_nc_u32_e32 v0, v0, v2
	v_mov_b32_dpp v2, v0 row_shr:8 row_mask:0xf bank_mask:0xf
	s_delay_alu instid0(VALU_DEP_1) | instskip(NEXT) | instid1(VALU_DEP_1)
	v_cndmask_b32_e64 v2, 0, v2, s10
	v_add_nc_u32_e32 v0, v0, v2
	ds_swizzle_b32 v2, v0 offset:swizzle(BROADCAST,32,15)
	s_wait_dscnt 0x0
	v_and_b32_e32 v2, v65, v2
	s_delay_alu instid0(VALU_DEP_1)
	v_add_nc_u32_e32 v0, v0, v2
	s_and_saveexec_b32 s12, s3
; %bb.385:                              ;   in Loop: Header=BB917_12 Depth=1
	ds_store_b32 v41, v0
; %bb.386:                              ;   in Loop: Header=BB917_12 Depth=1
	s_wait_alu 0xfffe
	s_or_b32 exec_lo, exec_lo, s12
	s_wait_loadcnt_dscnt 0x0
	s_barrier_signal -1
	s_barrier_wait -1
	global_inv scope:SCOPE_SE
	s_and_saveexec_b32 s12, s4
	s_cbranch_execz .LBB917_388
; %bb.387:                              ;   in Loop: Header=BB917_12 Depth=1
	ds_load_b32 v2, v42
	v_cmp_ne_u32_e32 vcc_lo, 0, v68
	s_wait_dscnt 0x0
	v_mov_b32_dpp v3, v2 row_shr:1 row_mask:0xf bank_mask:0xf
	s_wait_alu 0xfffd
	s_delay_alu instid0(VALU_DEP_1) | instskip(SKIP_1) | instid1(VALU_DEP_2)
	v_cndmask_b32_e32 v3, 0, v3, vcc_lo
	v_cmp_lt_u32_e32 vcc_lo, 1, v68
	v_add_nc_u32_e32 v2, v3, v2
	s_delay_alu instid0(VALU_DEP_1) | instskip(SKIP_1) | instid1(VALU_DEP_1)
	v_mov_b32_dpp v3, v2 row_shr:2 row_mask:0xf bank_mask:0xf
	s_wait_alu 0xfffd
	v_cndmask_b32_e32 v3, 0, v3, vcc_lo
	v_cmp_lt_u32_e32 vcc_lo, 3, v68
	s_delay_alu instid0(VALU_DEP_2) | instskip(NEXT) | instid1(VALU_DEP_1)
	v_add_nc_u32_e32 v2, v2, v3
	v_mov_b32_dpp v3, v2 row_shr:4 row_mask:0xf bank_mask:0xf
	s_wait_alu 0xfffd
	s_delay_alu instid0(VALU_DEP_1) | instskip(NEXT) | instid1(VALU_DEP_1)
	v_cndmask_b32_e32 v3, 0, v3, vcc_lo
	v_add_nc_u32_e32 v2, v2, v3
	ds_store_b32 v42, v2
.LBB917_388:                            ;   in Loop: Header=BB917_12 Depth=1
	s_wait_alu 0xfffe
	s_or_b32 exec_lo, exec_lo, s12
	v_mov_b32_e32 v2, 0
	s_wait_loadcnt_dscnt 0x0
	s_barrier_signal -1
	s_barrier_wait -1
	global_inv scope:SCOPE_SE
	s_and_saveexec_b32 s12, s5
; %bb.389:                              ;   in Loop: Header=BB917_12 Depth=1
	ds_load_b32 v2, v44
; %bb.390:                              ;   in Loop: Header=BB917_12 Depth=1
	s_wait_alu 0xfffe
	s_or_b32 exec_lo, exec_lo, s12
	v_cmp_gt_i32_e32 vcc_lo, 0, v69
	s_wait_dscnt 0x0
	v_add_nc_u32_e32 v0, v2, v0
	s_wait_loadcnt 0x0
	s_barrier_signal -1
	s_barrier_wait -1
	s_wait_alu 0xfffd
	v_cndmask_b32_e32 v3, v69, v60, vcc_lo
	global_inv scope:SCOPE_SE
	v_lshlrev_b32_e32 v84, 2, v3
	ds_bpermute_b32 v0, v84, v0
	s_and_saveexec_b32 s12, s2
	s_cbranch_execz .LBB917_392
; %bb.391:                              ;   in Loop: Header=BB917_12 Depth=1
	s_wait_dscnt 0x0
	v_cndmask_b32_e64 v0, v0, v2, s8
	s_delay_alu instid0(VALU_DEP_1)
	v_add_nc_u32_e32 v0, s33, v0
	ds_store_b32 v28, v0
.LBB917_392:                            ;   in Loop: Header=BB917_12 Depth=1
	s_wait_alu 0xfffe
	s_or_b32 exec_lo, exec_lo, s12
	s_load_b64 s[12:13], s[28:29], 0x0
	v_add_co_u32 v85, vcc_lo, v58, v70
	s_wait_alu 0xfffd
	v_add_co_ci_u32_e64 v86, null, 0, v59, vcc_lo
	v_add_co_u32 v87, vcc_lo, v61, v78
	s_wait_alu 0xfffd
	v_add_co_ci_u32_e64 v88, null, 0, v62, vcc_lo
	s_mov_b32 s43, s47
                                        ; implicit-def: $vgpr9_vgpr10
                                        ; implicit-def: $vgpr11_vgpr12
                                        ; implicit-def: $vgpr16_vgpr17
                                        ; implicit-def: $vgpr18_vgpr19
                                        ; implicit-def: $vgpr20_vgpr21
                                        ; implicit-def: $vgpr22_vgpr23
                                        ; implicit-def: $vgpr90
                                        ; implicit-def: $vgpr91
                                        ; implicit-def: $vgpr92
                                        ; implicit-def: $vgpr93
                                        ; implicit-def: $vgpr94
                                        ; implicit-def: $vgpr95
                                        ; implicit-def: $vgpr96
                                        ; implicit-def: $vgpr97
	s_wait_kmcnt 0x0
	s_cmp_lt_u32 ttmp7, s13
	s_cselect_b32 s30, 14, 20
	s_cmp_lt_u32 ttmp9, s12
	s_wait_alu 0xfffe
	s_add_nc_u64 s[14:15], s[28:29], s[30:31]
	s_cselect_b32 s30, 12, 18
	s_load_u16 s14, s[14:15], 0x0
	s_add_nc_u64 s[12:13], s[28:29], s[30:31]
	s_mov_b32 s30, s33
	s_load_u16 s12, s[12:13], 0x0
	v_cmp_lt_u32_e64 s13, 1, v68
	s_wait_dscnt 0x0
	s_wait_kmcnt 0x0
	v_mad_u32_u24 v0, v45, s14, v46
	v_cmp_lt_u32_e64 s14, 3, v68
	s_delay_alu instid0(VALU_DEP_2) | instskip(SKIP_1) | instid1(VALU_DEP_2)
	v_mad_co_u64_u32 v[2:3], null, v0, s12, v[13:14]
	v_cmp_eq_u32_e64 s12, 0, v68
                                        ; implicit-def: $vgpr14_vgpr15
	v_lshrrev_b32_e32 v0, 3, v2
                                        ; implicit-def: $vgpr2_vgpr3
	s_delay_alu instid0(VALU_DEP_1)
	v_and_b32_e32 v89, 0x1ffffffc, v0
	s_branch .LBB917_394
.LBB917_393:                            ;   in Loop: Header=BB917_394 Depth=2
	s_wait_alu 0xfffe
	s_or_b32 exec_lo, exec_lo, s15
	s_addk_co_i32 s43, 0xf800
	s_cmp_lt_u32 s44, s34
	s_mov_b32 s30, s44
	s_cbranch_scc0 .LBB917_506
.LBB917_394:                            ;   Parent Loop BB917_12 Depth=1
                                        ; =>  This Inner Loop Header: Depth=2
	s_wait_alu 0xfffe
	s_add_co_i32 s44, s30, 0x800
	s_wait_alu 0xfffe
	s_cmp_gt_u32 s44, s34
	s_cbranch_scc1 .LBB917_396
; %bb.395:                              ;   in Loop: Header=BB917_394 Depth=2
	s_lshl_b64 s[16:17], s[30:31], 1
	s_mov_b32 s15, -1
	s_wait_alu 0xfffe
	v_add_co_u32 v24, vcc_lo, v87, s16
	s_wait_alu 0xfffd
	v_add_co_ci_u32_e64 v25, null, s17, v88, vcc_lo
	s_clause 0x3
	global_load_u16 v5, v[24:25], off
	global_load_u16 v6, v[24:25], off offset:128
	global_load_u16 v7, v[24:25], off offset:256
	global_load_d16_b16 v8, v[24:25], off offset:384
	s_wait_loadcnt 0x3
	global_load_d16_hi_b16 v5, v[24:25], off offset:64
	s_wait_loadcnt 0x3
	global_load_d16_hi_b16 v6, v[24:25], off offset:192
	;; [unrolled: 2-line block ×3, first 2 shown]
	s_movk_i32 s16, 0x800
	s_cbranch_execz .LBB917_397
	s_branch .LBB917_406
.LBB917_396:                            ;   in Loop: Header=BB917_394 Depth=2
	s_mov_b32 s15, 0
                                        ; implicit-def: $vgpr5_vgpr6_vgpr7_vgpr8
	s_movk_i32 s16, 0x800
.LBB917_397:                            ;   in Loop: Header=BB917_394 Depth=2
	s_wait_loadcnt 0x0
	v_mov_b32_e32 v7, v4
	s_lshl_b64 s[16:17], s[30:31], 1
	v_dual_mov_b32 v5, v4 :: v_dual_mov_b32 v6, v4
	s_wait_alu 0xfffe
	v_add_co_u32 v24, vcc_lo, v87, s16
	v_mov_b32_e32 v8, v7
	s_wait_alu 0xfffd
	v_add_co_ci_u32_e64 v25, null, s17, v88, vcc_lo
	v_mov_b32_e32 v7, v6
	v_mov_b32_e32 v6, v5
	;; [unrolled: 1-line block ×3, first 2 shown]
	s_mov_b32 s15, exec_lo
	v_cmpx_gt_u32_e64 s43, v67
	s_cbranch_execnz .LBB917_500
; %bb.398:                              ;   in Loop: Header=BB917_394 Depth=2
	s_wait_alu 0xfffe
	s_or_b32 exec_lo, exec_lo, s15
	s_delay_alu instid0(SALU_CYCLE_1)
	s_mov_b32 s15, exec_lo
	v_cmpx_gt_u32_e64 s43, v71
	s_cbranch_execnz .LBB917_501
.LBB917_399:                            ;   in Loop: Header=BB917_394 Depth=2
	s_wait_alu 0xfffe
	s_or_b32 exec_lo, exec_lo, s15
	s_delay_alu instid0(SALU_CYCLE_1)
	s_mov_b32 s15, exec_lo
	v_cmpx_gt_u32_e64 s43, v72
	s_cbranch_execnz .LBB917_502
.LBB917_400:                            ;   in Loop: Header=BB917_394 Depth=2
	s_wait_alu 0xfffe
	s_or_b32 exec_lo, exec_lo, s15
	s_delay_alu instid0(SALU_CYCLE_1)
	s_mov_b32 s15, exec_lo
	v_cmpx_gt_u32_e64 s43, v73
	s_cbranch_execnz .LBB917_503
.LBB917_401:                            ;   in Loop: Header=BB917_394 Depth=2
	s_wait_alu 0xfffe
	s_or_b32 exec_lo, exec_lo, s15
	s_delay_alu instid0(SALU_CYCLE_1)
	s_mov_b32 s15, exec_lo
	v_cmpx_gt_u32_e64 s43, v74
	s_cbranch_execnz .LBB917_504
.LBB917_402:                            ;   in Loop: Header=BB917_394 Depth=2
	s_wait_alu 0xfffe
	s_or_b32 exec_lo, exec_lo, s15
	s_delay_alu instid0(SALU_CYCLE_1)
	s_mov_b32 s15, exec_lo
	v_cmpx_gt_u32_e64 s43, v75
	s_cbranch_execnz .LBB917_505
.LBB917_403:                            ;   in Loop: Header=BB917_394 Depth=2
	s_wait_alu 0xfffe
	s_or_b32 exec_lo, exec_lo, s15
	s_delay_alu instid0(SALU_CYCLE_1)
	s_mov_b32 s15, exec_lo
	v_cmpx_gt_u32_e64 s43, v76
	s_cbranch_execz .LBB917_405
.LBB917_404:                            ;   in Loop: Header=BB917_394 Depth=2
	global_load_d16_b16 v8, v[24:25], off offset:384
.LBB917_405:                            ;   in Loop: Header=BB917_394 Depth=2
	s_wait_alu 0xfffe
	s_or_b32 exec_lo, exec_lo, s15
	v_cmp_gt_u32_e64 s15, s43, v77
	s_sub_co_i32 s16, s34, s30
.LBB917_406:                            ;   in Loop: Header=BB917_394 Depth=2
	v_mov_b32_e32 v98, s43
	s_and_saveexec_b32 s17, s15
	s_cbranch_execz .LBB917_408
; %bb.407:                              ;   in Loop: Header=BB917_394 Depth=2
	s_lshl_b64 s[18:19], s[30:31], 1
	s_wait_alu 0xfffe
	v_mov_b32_e32 v98, s16
	v_add_co_u32 v24, vcc_lo, v87, s18
	s_wait_alu 0xfffd
	v_add_co_ci_u32_e64 v25, null, s19, v88, vcc_lo
	s_wait_loadcnt 0x0
	global_load_d16_hi_b16 v8, v[24:25], off offset:448
.LBB917_408:                            ;   in Loop: Header=BB917_394 Depth=2
	s_wait_alu 0xfffe
	s_or_b32 exec_lo, exec_lo, s17
	s_wait_loadcnt 0x0
	v_xor_b32_e32 v0, 0x7fff, v5
	s_delay_alu instid0(VALU_DEP_1) | instskip(NEXT) | instid1(VALU_DEP_1)
	v_and_b32_e32 v24, 0xffff, v0
	v_lshrrev_b32_e32 v24, s45, v24
	s_delay_alu instid0(VALU_DEP_1) | instskip(NEXT) | instid1(VALU_DEP_1)
	v_and_b32_e32 v25, s42, v24
	v_and_b32_e32 v24, 1, v25
	v_lshlrev_b32_e32 v26, 30, v25
	v_lshlrev_b32_e32 v27, 29, v25
	;; [unrolled: 1-line block ×4, first 2 shown]
	v_add_co_u32 v24, s15, v24, -1
	s_wait_alu 0xf1ff
	v_cndmask_b32_e64 v100, 0, 1, s15
	v_not_b32_e32 v104, v26
	v_cmp_gt_i32_e64 s15, 0, v26
	v_not_b32_e32 v26, v27
	v_lshlrev_b32_e32 v102, 26, v25
	v_cmp_ne_u32_e32 vcc_lo, 0, v100
	v_ashrrev_i32_e32 v104, 31, v104
	v_lshlrev_b32_e32 v103, 25, v25
	v_ashrrev_i32_e32 v26, 31, v26
	v_lshlrev_b32_e32 v100, 24, v25
	s_wait_alu 0xfffd
	v_xor_b32_e32 v24, vcc_lo, v24
	v_cmp_gt_i32_e32 vcc_lo, 0, v27
	v_not_b32_e32 v27, v99
	s_wait_alu 0xf1ff
	v_xor_b32_e32 v104, s15, v104
	v_cmp_gt_i32_e64 s15, 0, v99
	v_and_b32_e32 v24, exec_lo, v24
	v_not_b32_e32 v99, v101
	v_ashrrev_i32_e32 v27, 31, v27
	s_wait_alu 0xfffd
	v_xor_b32_e32 v26, vcc_lo, v26
	v_cmp_gt_i32_e32 vcc_lo, 0, v101
	v_and_b32_e32 v24, v24, v104
	v_not_b32_e32 v101, v102
	v_ashrrev_i32_e32 v99, 31, v99
	s_wait_alu 0xf1ff
	v_xor_b32_e32 v27, s15, v27
	v_cmp_gt_i32_e64 s15, 0, v102
	v_and_b32_e32 v24, v24, v26
	v_not_b32_e32 v26, v103
	v_ashrrev_i32_e32 v101, 31, v101
	s_wait_alu 0xfffd
	v_xor_b32_e32 v99, vcc_lo, v99
	v_cmp_gt_i32_e32 vcc_lo, 0, v103
	v_and_b32_e32 v24, v24, v27
	v_not_b32_e32 v27, v100
	v_ashrrev_i32_e32 v26, 31, v26
	s_wait_alu 0xf1ff
	v_xor_b32_e32 v101, s15, v101
	v_cmp_gt_i32_e64 s15, 0, v100
	v_and_b32_e32 v24, v24, v99
	v_ashrrev_i32_e32 v27, 31, v27
	s_wait_alu 0xfffd
	v_xor_b32_e32 v26, vcc_lo, v26
	v_mul_u32_u24_e32 v25, 36, v25
	v_add_nc_u32_e32 v102, 0x420, v43
	v_and_b32_e32 v24, v24, v101
	s_wait_alu 0xf1ff
	v_xor_b32_e32 v27, s15, v27
	v_add_nc_u32_e32 v101, 0x438, v43
	v_add_nc_u32_e32 v103, 0x428, v43
	;; [unrolled: 1-line block ×3, first 2 shown]
	v_and_b32_e32 v24, v24, v26
	v_add_nc_u32_e32 v105, v89, v25
	ds_store_2addr_b32 v101, v1, v1 offset1:1
	ds_store_2addr_b32 v102, v1, v1 offset1:1
	;; [unrolled: 1-line block ×4, first 2 shown]
	ds_store_b32 v43, v1 offset:1088
	s_wait_dscnt 0x0
	v_and_b32_e32 v24, v24, v27
	s_barrier_signal -1
	s_barrier_wait -1
	global_inv scope:SCOPE_SE
	v_mbcnt_lo_u32_b32 v99, v24, 0
	v_cmp_ne_u32_e64 s15, 0, v24
	; wave barrier
	s_delay_alu instid0(VALU_DEP_2)
	v_cmp_eq_u32_e32 vcc_lo, 0, v99
	s_and_b32 s16, s15, vcc_lo
	s_wait_alu 0xfffe
	s_and_saveexec_b32 s15, s16
; %bb.409:                              ;   in Loop: Header=BB917_394 Depth=2
	v_bcnt_u32_b32 v24, v24, 0
	ds_store_b32 v105, v24 offset:1056
; %bb.410:                              ;   in Loop: Header=BB917_394 Depth=2
	s_wait_alu 0xfffe
	s_or_b32 exec_lo, exec_lo, s15
	v_lshrrev_b32_e32 v5, 16, v5
	; wave barrier
	s_delay_alu instid0(VALU_DEP_1) | instskip(NEXT) | instid1(VALU_DEP_1)
	v_xor_b32_e32 v100, 0x7fff, v5
	v_and_b32_e32 v5, 0xffff, v100
	s_delay_alu instid0(VALU_DEP_1) | instskip(NEXT) | instid1(VALU_DEP_1)
	v_lshrrev_b32_e32 v5, s45, v5
	v_and_b32_e32 v24, s42, v5
	s_delay_alu instid0(VALU_DEP_1)
	v_and_b32_e32 v5, 1, v24
	v_lshlrev_b32_e32 v25, 30, v24
	v_lshlrev_b32_e32 v26, 29, v24
	;; [unrolled: 1-line block ×4, first 2 shown]
	v_add_co_u32 v5, s15, v5, -1
	s_wait_alu 0xf1ff
	v_cndmask_b32_e64 v106, 0, 1, s15
	v_not_b32_e32 v110, v25
	v_cmp_gt_i32_e64 s15, 0, v25
	v_not_b32_e32 v25, v26
	v_lshlrev_b32_e32 v108, 26, v24
	v_cmp_ne_u32_e32 vcc_lo, 0, v106
	v_ashrrev_i32_e32 v110, 31, v110
	v_lshlrev_b32_e32 v109, 25, v24
	v_ashrrev_i32_e32 v25, 31, v25
	v_lshlrev_b32_e32 v106, 24, v24
	s_wait_alu 0xfffd
	v_xor_b32_e32 v5, vcc_lo, v5
	v_cmp_gt_i32_e32 vcc_lo, 0, v26
	v_not_b32_e32 v26, v27
	s_wait_alu 0xf1ff
	v_xor_b32_e32 v110, s15, v110
	v_cmp_gt_i32_e64 s15, 0, v27
	v_and_b32_e32 v5, exec_lo, v5
	v_not_b32_e32 v27, v107
	v_ashrrev_i32_e32 v26, 31, v26
	s_wait_alu 0xfffd
	v_xor_b32_e32 v25, vcc_lo, v25
	v_cmp_gt_i32_e32 vcc_lo, 0, v107
	v_and_b32_e32 v5, v5, v110
	v_not_b32_e32 v107, v108
	v_ashrrev_i32_e32 v27, 31, v27
	s_wait_alu 0xf1ff
	v_xor_b32_e32 v26, s15, v26
	v_cmp_gt_i32_e64 s15, 0, v108
	v_and_b32_e32 v5, v5, v25
	v_not_b32_e32 v25, v109
	v_ashrrev_i32_e32 v107, 31, v107
	s_wait_alu 0xfffd
	v_xor_b32_e32 v27, vcc_lo, v27
	v_cmp_gt_i32_e32 vcc_lo, 0, v109
	v_and_b32_e32 v5, v5, v26
	v_not_b32_e32 v26, v106
	v_ashrrev_i32_e32 v25, 31, v25
	s_wait_alu 0xf1ff
	v_xor_b32_e32 v107, s15, v107
	v_cmp_gt_i32_e64 s15, 0, v106
	v_and_b32_e32 v5, v5, v27
	v_ashrrev_i32_e32 v26, 31, v26
	s_wait_alu 0xfffd
	v_xor_b32_e32 v25, vcc_lo, v25
	v_mad_u32_u24 v27, v24, 36, v89
	v_mul_u32_u24_e32 v24, 36, v24
	v_and_b32_e32 v5, v5, v107
	s_wait_alu 0xf1ff
	v_xor_b32_e32 v26, s15, v26
	ds_load_b32 v106, v27 offset:1056
	v_add_nc_u32_e32 v109, v89, v24
	v_and_b32_e32 v5, v5, v25
	; wave barrier
	s_delay_alu instid0(VALU_DEP_1) | instskip(NEXT) | instid1(VALU_DEP_1)
	v_and_b32_e32 v5, v5, v26
	v_mbcnt_lo_u32_b32 v107, v5, 0
	v_cmp_ne_u32_e64 s15, 0, v5
	s_delay_alu instid0(VALU_DEP_2)
	v_cmp_eq_u32_e32 vcc_lo, 0, v107
	s_and_b32 s16, s15, vcc_lo
	s_wait_alu 0xfffe
	s_and_saveexec_b32 s15, s16
	s_cbranch_execz .LBB917_412
; %bb.411:                              ;   in Loop: Header=BB917_394 Depth=2
	s_wait_dscnt 0x0
	v_bcnt_u32_b32 v5, v5, v106
	ds_store_b32 v109, v5 offset:1056
.LBB917_412:                            ;   in Loop: Header=BB917_394 Depth=2
	s_wait_alu 0xfffe
	s_or_b32 exec_lo, exec_lo, s15
	v_xor_b32_e32 v108, 0x7fff, v6
	; wave barrier
	s_delay_alu instid0(VALU_DEP_1) | instskip(NEXT) | instid1(VALU_DEP_1)
	v_and_b32_e32 v5, 0xffff, v108
	v_lshrrev_b32_e32 v5, s45, v5
	s_delay_alu instid0(VALU_DEP_1) | instskip(NEXT) | instid1(VALU_DEP_1)
	v_and_b32_e32 v24, s42, v5
	v_and_b32_e32 v5, 1, v24
	v_lshlrev_b32_e32 v25, 30, v24
	v_lshlrev_b32_e32 v26, 29, v24
	;; [unrolled: 1-line block ×4, first 2 shown]
	v_add_co_u32 v5, s15, v5, -1
	s_wait_alu 0xf1ff
	v_cndmask_b32_e64 v110, 0, 1, s15
	v_not_b32_e32 v114, v25
	v_cmp_gt_i32_e64 s15, 0, v25
	v_not_b32_e32 v25, v26
	v_lshlrev_b32_e32 v112, 26, v24
	v_cmp_ne_u32_e32 vcc_lo, 0, v110
	v_ashrrev_i32_e32 v114, 31, v114
	v_lshlrev_b32_e32 v113, 25, v24
	v_ashrrev_i32_e32 v25, 31, v25
	v_lshlrev_b32_e32 v110, 24, v24
	s_wait_alu 0xfffd
	v_xor_b32_e32 v5, vcc_lo, v5
	v_cmp_gt_i32_e32 vcc_lo, 0, v26
	v_not_b32_e32 v26, v27
	s_wait_alu 0xf1ff
	v_xor_b32_e32 v114, s15, v114
	v_cmp_gt_i32_e64 s15, 0, v27
	v_and_b32_e32 v5, exec_lo, v5
	v_not_b32_e32 v27, v111
	v_ashrrev_i32_e32 v26, 31, v26
	s_wait_alu 0xfffd
	v_xor_b32_e32 v25, vcc_lo, v25
	v_cmp_gt_i32_e32 vcc_lo, 0, v111
	v_and_b32_e32 v5, v5, v114
	v_not_b32_e32 v111, v112
	v_ashrrev_i32_e32 v27, 31, v27
	s_wait_alu 0xf1ff
	v_xor_b32_e32 v26, s15, v26
	v_cmp_gt_i32_e64 s15, 0, v112
	v_and_b32_e32 v5, v5, v25
	v_not_b32_e32 v25, v113
	v_ashrrev_i32_e32 v111, 31, v111
	s_wait_alu 0xfffd
	v_xor_b32_e32 v27, vcc_lo, v27
	v_cmp_gt_i32_e32 vcc_lo, 0, v113
	v_and_b32_e32 v5, v5, v26
	v_not_b32_e32 v26, v110
	v_ashrrev_i32_e32 v25, 31, v25
	s_wait_alu 0xf1ff
	v_xor_b32_e32 v111, s15, v111
	v_cmp_gt_i32_e64 s15, 0, v110
	v_and_b32_e32 v5, v5, v27
	v_ashrrev_i32_e32 v26, 31, v26
	s_wait_alu 0xfffd
	v_xor_b32_e32 v25, vcc_lo, v25
	v_mad_u32_u24 v27, v24, 36, v89
	v_mul_u32_u24_e32 v24, 36, v24
	v_and_b32_e32 v5, v5, v111
	s_wait_alu 0xf1ff
	v_xor_b32_e32 v26, s15, v26
	ds_load_b32 v110, v27 offset:1056
	v_add_nc_u32_e32 v113, v89, v24
	v_and_b32_e32 v5, v5, v25
	; wave barrier
	s_delay_alu instid0(VALU_DEP_1) | instskip(NEXT) | instid1(VALU_DEP_1)
	v_and_b32_e32 v5, v5, v26
	v_mbcnt_lo_u32_b32 v112, v5, 0
	v_cmp_ne_u32_e64 s15, 0, v5
	s_delay_alu instid0(VALU_DEP_2)
	v_cmp_eq_u32_e32 vcc_lo, 0, v112
	s_and_b32 s16, s15, vcc_lo
	s_wait_alu 0xfffe
	s_and_saveexec_b32 s15, s16
	s_cbranch_execz .LBB917_414
; %bb.413:                              ;   in Loop: Header=BB917_394 Depth=2
	s_wait_dscnt 0x0
	v_bcnt_u32_b32 v5, v5, v110
	ds_store_b32 v113, v5 offset:1056
.LBB917_414:                            ;   in Loop: Header=BB917_394 Depth=2
	s_wait_alu 0xfffe
	s_or_b32 exec_lo, exec_lo, s15
	v_lshrrev_b32_e32 v5, 16, v6
	; wave barrier
	s_delay_alu instid0(VALU_DEP_1) | instskip(NEXT) | instid1(VALU_DEP_1)
	v_xor_b32_e32 v111, 0x7fff, v5
	v_and_b32_e32 v5, 0xffff, v111
	s_delay_alu instid0(VALU_DEP_1) | instskip(NEXT) | instid1(VALU_DEP_1)
	v_lshrrev_b32_e32 v5, s45, v5
	v_and_b32_e32 v6, s42, v5
	s_delay_alu instid0(VALU_DEP_1)
	v_and_b32_e32 v5, 1, v6
	v_lshlrev_b32_e32 v24, 30, v6
	v_lshlrev_b32_e32 v25, 29, v6
	;; [unrolled: 1-line block ×4, first 2 shown]
	v_add_co_u32 v5, s15, v5, -1
	s_wait_alu 0xf1ff
	v_cndmask_b32_e64 v27, 0, 1, s15
	v_not_b32_e32 v117, v24
	v_cmp_gt_i32_e64 s15, 0, v24
	v_not_b32_e32 v24, v25
	v_lshlrev_b32_e32 v115, 26, v6
	v_cmp_ne_u32_e32 vcc_lo, 0, v27
	v_ashrrev_i32_e32 v117, 31, v117
	v_lshlrev_b32_e32 v116, 25, v6
	v_ashrrev_i32_e32 v24, 31, v24
	v_lshlrev_b32_e32 v27, 24, v6
	s_wait_alu 0xfffd
	v_xor_b32_e32 v5, vcc_lo, v5
	v_cmp_gt_i32_e32 vcc_lo, 0, v25
	v_not_b32_e32 v25, v26
	s_wait_alu 0xf1ff
	v_xor_b32_e32 v117, s15, v117
	v_cmp_gt_i32_e64 s15, 0, v26
	v_and_b32_e32 v5, exec_lo, v5
	v_not_b32_e32 v26, v114
	v_ashrrev_i32_e32 v25, 31, v25
	s_wait_alu 0xfffd
	v_xor_b32_e32 v24, vcc_lo, v24
	v_cmp_gt_i32_e32 vcc_lo, 0, v114
	v_and_b32_e32 v5, v5, v117
	v_not_b32_e32 v114, v115
	v_ashrrev_i32_e32 v26, 31, v26
	s_wait_alu 0xf1ff
	v_xor_b32_e32 v25, s15, v25
	v_cmp_gt_i32_e64 s15, 0, v115
	v_and_b32_e32 v5, v5, v24
	v_not_b32_e32 v24, v116
	v_ashrrev_i32_e32 v114, 31, v114
	s_wait_alu 0xfffd
	v_xor_b32_e32 v26, vcc_lo, v26
	v_cmp_gt_i32_e32 vcc_lo, 0, v116
	v_and_b32_e32 v5, v5, v25
	v_not_b32_e32 v25, v27
	v_ashrrev_i32_e32 v24, 31, v24
	s_wait_alu 0xf1ff
	v_xor_b32_e32 v114, s15, v114
	v_cmp_gt_i32_e64 s15, 0, v27
	v_and_b32_e32 v5, v5, v26
	v_ashrrev_i32_e32 v25, 31, v25
	s_wait_alu 0xfffd
	v_xor_b32_e32 v24, vcc_lo, v24
	v_mad_u32_u24 v26, v6, 36, v89
	v_mul_u32_u24_e32 v6, 36, v6
	v_and_b32_e32 v5, v5, v114
	s_wait_alu 0xf1ff
	v_xor_b32_e32 v25, s15, v25
	ds_load_b32 v114, v26 offset:1056
	v_add_nc_u32_e32 v117, v89, v6
	v_and_b32_e32 v5, v5, v24
	; wave barrier
	s_delay_alu instid0(VALU_DEP_1) | instskip(NEXT) | instid1(VALU_DEP_1)
	v_and_b32_e32 v5, v5, v25
	v_mbcnt_lo_u32_b32 v116, v5, 0
	v_cmp_ne_u32_e64 s15, 0, v5
	s_delay_alu instid0(VALU_DEP_2)
	v_cmp_eq_u32_e32 vcc_lo, 0, v116
	s_and_b32 s16, s15, vcc_lo
	s_wait_alu 0xfffe
	s_and_saveexec_b32 s15, s16
	s_cbranch_execz .LBB917_416
; %bb.415:                              ;   in Loop: Header=BB917_394 Depth=2
	s_wait_dscnt 0x0
	v_bcnt_u32_b32 v5, v5, v114
	ds_store_b32 v117, v5 offset:1056
.LBB917_416:                            ;   in Loop: Header=BB917_394 Depth=2
	s_wait_alu 0xfffe
	s_or_b32 exec_lo, exec_lo, s15
	v_xor_b32_e32 v115, 0x7fff, v7
	; wave barrier
	s_delay_alu instid0(VALU_DEP_1) | instskip(NEXT) | instid1(VALU_DEP_1)
	v_and_b32_e32 v5, 0xffff, v115
	v_lshrrev_b32_e32 v5, s45, v5
	s_delay_alu instid0(VALU_DEP_1) | instskip(NEXT) | instid1(VALU_DEP_1)
	v_and_b32_e32 v6, s42, v5
	v_and_b32_e32 v5, 1, v6
	v_lshlrev_b32_e32 v24, 30, v6
	v_lshlrev_b32_e32 v25, 29, v6
	;; [unrolled: 1-line block ×4, first 2 shown]
	v_add_co_u32 v5, s15, v5, -1
	s_wait_alu 0xf1ff
	v_cndmask_b32_e64 v27, 0, 1, s15
	v_not_b32_e32 v121, v24
	v_cmp_gt_i32_e64 s15, 0, v24
	v_not_b32_e32 v24, v25
	v_lshlrev_b32_e32 v119, 26, v6
	v_cmp_ne_u32_e32 vcc_lo, 0, v27
	v_ashrrev_i32_e32 v121, 31, v121
	v_lshlrev_b32_e32 v120, 25, v6
	v_ashrrev_i32_e32 v24, 31, v24
	v_lshlrev_b32_e32 v27, 24, v6
	s_wait_alu 0xfffd
	v_xor_b32_e32 v5, vcc_lo, v5
	v_cmp_gt_i32_e32 vcc_lo, 0, v25
	v_not_b32_e32 v25, v26
	s_wait_alu 0xf1ff
	v_xor_b32_e32 v121, s15, v121
	v_cmp_gt_i32_e64 s15, 0, v26
	v_and_b32_e32 v5, exec_lo, v5
	v_not_b32_e32 v26, v118
	v_ashrrev_i32_e32 v25, 31, v25
	s_wait_alu 0xfffd
	v_xor_b32_e32 v24, vcc_lo, v24
	v_cmp_gt_i32_e32 vcc_lo, 0, v118
	v_and_b32_e32 v5, v5, v121
	v_not_b32_e32 v118, v119
	v_ashrrev_i32_e32 v26, 31, v26
	s_wait_alu 0xf1ff
	v_xor_b32_e32 v25, s15, v25
	v_cmp_gt_i32_e64 s15, 0, v119
	v_and_b32_e32 v5, v5, v24
	v_not_b32_e32 v24, v120
	v_ashrrev_i32_e32 v118, 31, v118
	s_wait_alu 0xfffd
	v_xor_b32_e32 v26, vcc_lo, v26
	v_cmp_gt_i32_e32 vcc_lo, 0, v120
	v_and_b32_e32 v5, v5, v25
	v_not_b32_e32 v25, v27
	v_ashrrev_i32_e32 v24, 31, v24
	s_wait_alu 0xf1ff
	v_xor_b32_e32 v118, s15, v118
	v_cmp_gt_i32_e64 s15, 0, v27
	v_and_b32_e32 v5, v5, v26
	v_ashrrev_i32_e32 v25, 31, v25
	s_wait_alu 0xfffd
	v_xor_b32_e32 v24, vcc_lo, v24
	v_mad_u32_u24 v26, v6, 36, v89
	v_mul_u32_u24_e32 v6, 36, v6
	v_and_b32_e32 v5, v5, v118
	s_wait_alu 0xf1ff
	v_xor_b32_e32 v25, s15, v25
	ds_load_b32 v118, v26 offset:1056
	v_add_nc_u32_e32 v121, v89, v6
	v_and_b32_e32 v5, v5, v24
	; wave barrier
	s_delay_alu instid0(VALU_DEP_1) | instskip(NEXT) | instid1(VALU_DEP_1)
	v_and_b32_e32 v5, v5, v25
	v_mbcnt_lo_u32_b32 v120, v5, 0
	v_cmp_ne_u32_e64 s15, 0, v5
	s_delay_alu instid0(VALU_DEP_2)
	v_cmp_eq_u32_e32 vcc_lo, 0, v120
	s_and_b32 s16, s15, vcc_lo
	s_wait_alu 0xfffe
	s_and_saveexec_b32 s15, s16
	s_cbranch_execz .LBB917_418
; %bb.417:                              ;   in Loop: Header=BB917_394 Depth=2
	s_wait_dscnt 0x0
	v_bcnt_u32_b32 v5, v5, v118
	ds_store_b32 v121, v5 offset:1056
.LBB917_418:                            ;   in Loop: Header=BB917_394 Depth=2
	s_wait_alu 0xfffe
	s_or_b32 exec_lo, exec_lo, s15
	v_lshrrev_b32_e32 v5, 16, v7
	; wave barrier
	s_delay_alu instid0(VALU_DEP_1) | instskip(NEXT) | instid1(VALU_DEP_1)
	v_xor_b32_e32 v119, 0x7fff, v5
	v_and_b32_e32 v5, 0xffff, v119
	s_delay_alu instid0(VALU_DEP_1) | instskip(NEXT) | instid1(VALU_DEP_1)
	v_lshrrev_b32_e32 v5, s45, v5
	v_and_b32_e32 v6, s42, v5
	s_delay_alu instid0(VALU_DEP_1)
	v_and_b32_e32 v5, 1, v6
	v_lshlrev_b32_e32 v7, 30, v6
	v_lshlrev_b32_e32 v24, 29, v6
	v_lshlrev_b32_e32 v25, 28, v6
	v_lshlrev_b32_e32 v27, 27, v6
	v_add_co_u32 v5, s15, v5, -1
	s_wait_alu 0xf1ff
	v_cndmask_b32_e64 v26, 0, 1, s15
	v_not_b32_e32 v124, v7
	v_cmp_gt_i32_e64 s15, 0, v7
	v_not_b32_e32 v7, v24
	v_lshlrev_b32_e32 v122, 26, v6
	v_cmp_ne_u32_e32 vcc_lo, 0, v26
	v_ashrrev_i32_e32 v124, 31, v124
	v_lshlrev_b32_e32 v123, 25, v6
	v_ashrrev_i32_e32 v7, 31, v7
	v_lshlrev_b32_e32 v26, 24, v6
	s_wait_alu 0xfffd
	v_xor_b32_e32 v5, vcc_lo, v5
	v_cmp_gt_i32_e32 vcc_lo, 0, v24
	v_not_b32_e32 v24, v25
	s_wait_alu 0xf1ff
	v_xor_b32_e32 v124, s15, v124
	v_cmp_gt_i32_e64 s15, 0, v25
	v_and_b32_e32 v5, exec_lo, v5
	v_not_b32_e32 v25, v27
	v_ashrrev_i32_e32 v24, 31, v24
	s_wait_alu 0xfffd
	v_xor_b32_e32 v7, vcc_lo, v7
	v_cmp_gt_i32_e32 vcc_lo, 0, v27
	v_and_b32_e32 v5, v5, v124
	v_not_b32_e32 v27, v122
	v_ashrrev_i32_e32 v25, 31, v25
	s_wait_alu 0xf1ff
	v_xor_b32_e32 v24, s15, v24
	v_cmp_gt_i32_e64 s15, 0, v122
	v_and_b32_e32 v5, v5, v7
	v_not_b32_e32 v7, v123
	v_ashrrev_i32_e32 v27, 31, v27
	s_wait_alu 0xfffd
	v_xor_b32_e32 v25, vcc_lo, v25
	v_cmp_gt_i32_e32 vcc_lo, 0, v123
	v_and_b32_e32 v5, v5, v24
	v_not_b32_e32 v24, v26
	v_ashrrev_i32_e32 v7, 31, v7
	s_wait_alu 0xf1ff
	v_xor_b32_e32 v27, s15, v27
	v_cmp_gt_i32_e64 s15, 0, v26
	v_and_b32_e32 v5, v5, v25
	v_ashrrev_i32_e32 v24, 31, v24
	s_wait_alu 0xfffd
	v_xor_b32_e32 v7, vcc_lo, v7
	v_mad_u32_u24 v25, v6, 36, v89
	v_mul_u32_u24_e32 v6, 36, v6
	v_and_b32_e32 v5, v5, v27
	s_wait_alu 0xf1ff
	v_xor_b32_e32 v24, s15, v24
	ds_load_b32 v122, v25 offset:1056
	v_add_nc_u32_e32 v125, v89, v6
	v_and_b32_e32 v5, v5, v7
	; wave barrier
	s_delay_alu instid0(VALU_DEP_1) | instskip(NEXT) | instid1(VALU_DEP_1)
	v_and_b32_e32 v5, v5, v24
	v_mbcnt_lo_u32_b32 v124, v5, 0
	v_cmp_ne_u32_e64 s15, 0, v5
	s_delay_alu instid0(VALU_DEP_2)
	v_cmp_eq_u32_e32 vcc_lo, 0, v124
	s_and_b32 s16, s15, vcc_lo
	s_wait_alu 0xfffe
	s_and_saveexec_b32 s15, s16
	s_cbranch_execz .LBB917_420
; %bb.419:                              ;   in Loop: Header=BB917_394 Depth=2
	s_wait_dscnt 0x0
	v_bcnt_u32_b32 v5, v5, v122
	ds_store_b32 v125, v5 offset:1056
.LBB917_420:                            ;   in Loop: Header=BB917_394 Depth=2
	s_wait_alu 0xfffe
	s_or_b32 exec_lo, exec_lo, s15
	v_xor_b32_e32 v123, 0x7fff, v8
	; wave barrier
	s_delay_alu instid0(VALU_DEP_1) | instskip(NEXT) | instid1(VALU_DEP_1)
	v_and_b32_e32 v5, 0xffff, v123
	v_lshrrev_b32_e32 v5, s45, v5
	s_delay_alu instid0(VALU_DEP_1) | instskip(NEXT) | instid1(VALU_DEP_1)
	v_and_b32_e32 v6, s42, v5
	v_and_b32_e32 v5, 1, v6
	v_lshlrev_b32_e32 v7, 30, v6
	v_lshlrev_b32_e32 v24, 29, v6
	;; [unrolled: 1-line block ×4, first 2 shown]
	v_add_co_u32 v5, s15, v5, -1
	s_wait_alu 0xf1ff
	v_cndmask_b32_e64 v26, 0, 1, s15
	v_not_b32_e32 v128, v7
	v_cmp_gt_i32_e64 s15, 0, v7
	v_not_b32_e32 v7, v24
	v_lshlrev_b32_e32 v126, 26, v6
	v_cmp_ne_u32_e32 vcc_lo, 0, v26
	v_ashrrev_i32_e32 v128, 31, v128
	v_lshlrev_b32_e32 v127, 25, v6
	v_ashrrev_i32_e32 v7, 31, v7
	v_lshlrev_b32_e32 v26, 24, v6
	s_wait_alu 0xfffd
	v_xor_b32_e32 v5, vcc_lo, v5
	v_cmp_gt_i32_e32 vcc_lo, 0, v24
	v_not_b32_e32 v24, v25
	s_wait_alu 0xf1ff
	v_xor_b32_e32 v128, s15, v128
	v_cmp_gt_i32_e64 s15, 0, v25
	v_and_b32_e32 v5, exec_lo, v5
	v_not_b32_e32 v25, v27
	v_ashrrev_i32_e32 v24, 31, v24
	s_wait_alu 0xfffd
	v_xor_b32_e32 v7, vcc_lo, v7
	v_cmp_gt_i32_e32 vcc_lo, 0, v27
	v_and_b32_e32 v5, v5, v128
	v_not_b32_e32 v27, v126
	v_ashrrev_i32_e32 v25, 31, v25
	s_wait_alu 0xf1ff
	v_xor_b32_e32 v24, s15, v24
	v_cmp_gt_i32_e64 s15, 0, v126
	v_and_b32_e32 v5, v5, v7
	v_not_b32_e32 v7, v127
	v_ashrrev_i32_e32 v27, 31, v27
	s_wait_alu 0xfffd
	v_xor_b32_e32 v25, vcc_lo, v25
	v_cmp_gt_i32_e32 vcc_lo, 0, v127
	v_and_b32_e32 v5, v5, v24
	v_not_b32_e32 v24, v26
	v_ashrrev_i32_e32 v7, 31, v7
	s_wait_alu 0xf1ff
	v_xor_b32_e32 v27, s15, v27
	v_cmp_gt_i32_e64 s15, 0, v26
	v_and_b32_e32 v5, v5, v25
	v_ashrrev_i32_e32 v24, 31, v24
	s_wait_alu 0xfffd
	v_xor_b32_e32 v7, vcc_lo, v7
	v_mad_u32_u24 v25, v6, 36, v89
	v_mul_u32_u24_e32 v6, 36, v6
	v_and_b32_e32 v5, v5, v27
	s_wait_alu 0xf1ff
	v_xor_b32_e32 v24, s15, v24
	ds_load_b32 v126, v25 offset:1056
	v_add_nc_u32_e32 v129, v89, v6
	v_and_b32_e32 v5, v5, v7
	; wave barrier
	s_delay_alu instid0(VALU_DEP_1) | instskip(NEXT) | instid1(VALU_DEP_1)
	v_and_b32_e32 v5, v5, v24
	v_mbcnt_lo_u32_b32 v127, v5, 0
	v_cmp_ne_u32_e64 s15, 0, v5
	s_delay_alu instid0(VALU_DEP_2)
	v_cmp_eq_u32_e32 vcc_lo, 0, v127
	s_and_b32 s16, s15, vcc_lo
	s_wait_alu 0xfffe
	s_and_saveexec_b32 s15, s16
	s_cbranch_execz .LBB917_422
; %bb.421:                              ;   in Loop: Header=BB917_394 Depth=2
	s_wait_dscnt 0x0
	v_bcnt_u32_b32 v5, v5, v126
	ds_store_b32 v129, v5 offset:1056
.LBB917_422:                            ;   in Loop: Header=BB917_394 Depth=2
	s_wait_alu 0xfffe
	s_or_b32 exec_lo, exec_lo, s15
	v_lshrrev_b32_e32 v5, 16, v8
	; wave barrier
	s_delay_alu instid0(VALU_DEP_1) | instskip(NEXT) | instid1(VALU_DEP_1)
	v_xor_b32_e32 v128, 0x7fff, v5
	v_and_b32_e32 v5, 0xffff, v128
	s_delay_alu instid0(VALU_DEP_1) | instskip(NEXT) | instid1(VALU_DEP_1)
	v_lshrrev_b32_e32 v5, s45, v5
	v_and_b32_e32 v6, s42, v5
	s_delay_alu instid0(VALU_DEP_1)
	v_and_b32_e32 v5, 1, v6
	v_lshlrev_b32_e32 v7, 30, v6
	v_lshlrev_b32_e32 v8, 29, v6
	;; [unrolled: 1-line block ×4, first 2 shown]
	v_add_co_u32 v5, s15, v5, -1
	s_wait_alu 0xf1ff
	v_cndmask_b32_e64 v25, 0, 1, s15
	v_not_b32_e32 v131, v7
	v_cmp_gt_i32_e64 s15, 0, v7
	v_not_b32_e32 v7, v8
	v_lshlrev_b32_e32 v27, 26, v6
	v_cmp_ne_u32_e32 vcc_lo, 0, v25
	v_ashrrev_i32_e32 v131, 31, v131
	v_lshlrev_b32_e32 v130, 25, v6
	v_ashrrev_i32_e32 v7, 31, v7
	v_lshlrev_b32_e32 v25, 24, v6
	s_wait_alu 0xfffd
	v_xor_b32_e32 v5, vcc_lo, v5
	v_cmp_gt_i32_e32 vcc_lo, 0, v8
	v_not_b32_e32 v8, v24
	s_wait_alu 0xf1ff
	v_xor_b32_e32 v131, s15, v131
	v_cmp_gt_i32_e64 s15, 0, v24
	v_and_b32_e32 v5, exec_lo, v5
	v_not_b32_e32 v24, v26
	v_ashrrev_i32_e32 v8, 31, v8
	s_wait_alu 0xfffd
	v_xor_b32_e32 v7, vcc_lo, v7
	v_cmp_gt_i32_e32 vcc_lo, 0, v26
	v_and_b32_e32 v5, v5, v131
	v_not_b32_e32 v26, v27
	v_ashrrev_i32_e32 v24, 31, v24
	s_wait_alu 0xf1ff
	v_xor_b32_e32 v8, s15, v8
	v_cmp_gt_i32_e64 s15, 0, v27
	v_and_b32_e32 v5, v5, v7
	v_not_b32_e32 v7, v130
	v_ashrrev_i32_e32 v26, 31, v26
	s_wait_alu 0xfffd
	v_xor_b32_e32 v24, vcc_lo, v24
	v_cmp_gt_i32_e32 vcc_lo, 0, v130
	v_and_b32_e32 v5, v5, v8
	v_not_b32_e32 v8, v25
	v_ashrrev_i32_e32 v7, 31, v7
	s_wait_alu 0xf1ff
	v_xor_b32_e32 v26, s15, v26
	v_cmp_gt_i32_e64 s15, 0, v25
	v_and_b32_e32 v5, v5, v24
	v_ashrrev_i32_e32 v8, 31, v8
	s_wait_alu 0xfffd
	v_xor_b32_e32 v7, vcc_lo, v7
	v_mad_u32_u24 v24, v6, 36, v89
	v_mul_u32_u24_e32 v6, 36, v6
	v_and_b32_e32 v5, v5, v26
	s_wait_alu 0xf1ff
	v_xor_b32_e32 v8, s15, v8
	ds_load_b32 v130, v24 offset:1056
	v_add_nc_u32_e32 v132, v89, v6
	v_and_b32_e32 v5, v5, v7
	; wave barrier
	s_delay_alu instid0(VALU_DEP_1) | instskip(NEXT) | instid1(VALU_DEP_1)
	v_and_b32_e32 v5, v5, v8
	v_mbcnt_lo_u32_b32 v131, v5, 0
	v_cmp_ne_u32_e64 s15, 0, v5
	s_delay_alu instid0(VALU_DEP_2)
	v_cmp_eq_u32_e32 vcc_lo, 0, v131
	s_and_b32 s16, s15, vcc_lo
	s_wait_alu 0xfffe
	s_and_saveexec_b32 s15, s16
	s_cbranch_execz .LBB917_424
; %bb.423:                              ;   in Loop: Header=BB917_394 Depth=2
	s_wait_dscnt 0x0
	v_bcnt_u32_b32 v5, v5, v130
	ds_store_b32 v132, v5 offset:1056
.LBB917_424:                            ;   in Loop: Header=BB917_394 Depth=2
	s_wait_alu 0xfffe
	s_or_b32 exec_lo, exec_lo, s15
	; wave barrier
	s_wait_loadcnt_dscnt 0x0
	s_barrier_signal -1
	s_barrier_wait -1
	global_inv scope:SCOPE_SE
	ds_load_2addr_b32 v[26:27], v102 offset1:1
	ds_load_2addr_b32 v[24:25], v103 offset1:1
	;; [unrolled: 1-line block ×4, first 2 shown]
	ds_load_b32 v133, v43 offset:1088
	s_wait_dscnt 0x3
	v_add3_u32 v134, v27, v26, v24
	s_wait_dscnt 0x2
	s_delay_alu instid0(VALU_DEP_1) | instskip(SKIP_1) | instid1(VALU_DEP_1)
	v_add3_u32 v134, v134, v25, v7
	s_wait_dscnt 0x1
	v_add3_u32 v134, v134, v8, v5
	s_wait_dscnt 0x0
	s_delay_alu instid0(VALU_DEP_1) | instskip(NEXT) | instid1(VALU_DEP_1)
	v_add3_u32 v133, v134, v6, v133
	v_mov_b32_dpp v134, v133 row_shr:1 row_mask:0xf bank_mask:0xf
	s_delay_alu instid0(VALU_DEP_1) | instskip(NEXT) | instid1(VALU_DEP_1)
	v_cndmask_b32_e64 v134, v134, 0, s0
	v_add_nc_u32_e32 v133, v134, v133
	s_delay_alu instid0(VALU_DEP_1) | instskip(NEXT) | instid1(VALU_DEP_1)
	v_mov_b32_dpp v134, v133 row_shr:2 row_mask:0xf bank_mask:0xf
	v_cndmask_b32_e64 v134, 0, v134, s1
	s_delay_alu instid0(VALU_DEP_1) | instskip(NEXT) | instid1(VALU_DEP_1)
	v_add_nc_u32_e32 v133, v133, v134
	v_mov_b32_dpp v134, v133 row_shr:4 row_mask:0xf bank_mask:0xf
	s_delay_alu instid0(VALU_DEP_1) | instskip(NEXT) | instid1(VALU_DEP_1)
	v_cndmask_b32_e64 v134, 0, v134, s9
	v_add_nc_u32_e32 v133, v133, v134
	s_delay_alu instid0(VALU_DEP_1) | instskip(NEXT) | instid1(VALU_DEP_1)
	v_mov_b32_dpp v134, v133 row_shr:8 row_mask:0xf bank_mask:0xf
	v_cndmask_b32_e64 v134, 0, v134, s10
	s_delay_alu instid0(VALU_DEP_1) | instskip(SKIP_3) | instid1(VALU_DEP_1)
	v_add_nc_u32_e32 v133, v133, v134
	ds_swizzle_b32 v134, v133 offset:swizzle(BROADCAST,32,15)
	s_wait_dscnt 0x0
	v_cndmask_b32_e64 v134, v134, 0, s11
	v_add_nc_u32_e32 v133, v133, v134
	s_and_saveexec_b32 s15, s3
; %bb.425:                              ;   in Loop: Header=BB917_394 Depth=2
	ds_store_b32 v38, v133 offset:1024
; %bb.426:                              ;   in Loop: Header=BB917_394 Depth=2
	s_wait_alu 0xfffe
	s_or_b32 exec_lo, exec_lo, s15
	s_wait_loadcnt_dscnt 0x0
	s_barrier_signal -1
	s_barrier_wait -1
	global_inv scope:SCOPE_SE
	s_and_saveexec_b32 s15, s4
	s_cbranch_execz .LBB917_428
; %bb.427:                              ;   in Loop: Header=BB917_394 Depth=2
	ds_load_b32 v134, v47 offset:1024
	s_wait_dscnt 0x0
	v_mov_b32_dpp v135, v134 row_shr:1 row_mask:0xf bank_mask:0xf
	s_delay_alu instid0(VALU_DEP_1) | instskip(NEXT) | instid1(VALU_DEP_1)
	v_cndmask_b32_e64 v135, v135, 0, s12
	v_add_nc_u32_e32 v134, v135, v134
	s_delay_alu instid0(VALU_DEP_1) | instskip(NEXT) | instid1(VALU_DEP_1)
	v_mov_b32_dpp v135, v134 row_shr:2 row_mask:0xf bank_mask:0xf
	v_cndmask_b32_e64 v135, 0, v135, s13
	s_delay_alu instid0(VALU_DEP_1) | instskip(NEXT) | instid1(VALU_DEP_1)
	v_add_nc_u32_e32 v134, v134, v135
	v_mov_b32_dpp v135, v134 row_shr:4 row_mask:0xf bank_mask:0xf
	s_delay_alu instid0(VALU_DEP_1) | instskip(NEXT) | instid1(VALU_DEP_1)
	v_cndmask_b32_e64 v135, 0, v135, s14
	v_add_nc_u32_e32 v134, v134, v135
	ds_store_b32 v47, v134 offset:1024
.LBB917_428:                            ;   in Loop: Header=BB917_394 Depth=2
	s_wait_alu 0xfffe
	s_or_b32 exec_lo, exec_lo, s15
	v_mov_b32_e32 v134, 0
	s_wait_loadcnt_dscnt 0x0
	s_barrier_signal -1
	s_barrier_wait -1
	global_inv scope:SCOPE_SE
	s_and_saveexec_b32 s15, s5
; %bb.429:                              ;   in Loop: Header=BB917_394 Depth=2
	ds_load_b32 v134, v38 offset:1020
; %bb.430:                              ;   in Loop: Header=BB917_394 Depth=2
	s_wait_alu 0xfffe
	s_or_b32 exec_lo, exec_lo, s15
	s_wait_dscnt 0x0
	v_add_nc_u32_e32 v133, v134, v133
	ds_bpermute_b32 v133, v84, v133
	s_wait_dscnt 0x0
	v_cndmask_b32_e64 v133, v133, v134, s8
	s_delay_alu instid0(VALU_DEP_1) | instskip(NEXT) | instid1(VALU_DEP_1)
	v_cndmask_b32_e64 v133, v133, 0, s6
	v_add_nc_u32_e32 v26, v133, v26
	s_delay_alu instid0(VALU_DEP_1) | instskip(NEXT) | instid1(VALU_DEP_1)
	v_add_nc_u32_e32 v27, v26, v27
	v_add_nc_u32_e32 v24, v27, v24
	s_delay_alu instid0(VALU_DEP_1) | instskip(NEXT) | instid1(VALU_DEP_1)
	v_add_nc_u32_e32 v25, v24, v25
	;; [unrolled: 3-line block ×3, first 2 shown]
	v_add_nc_u32_e32 v5, v8, v5
	s_delay_alu instid0(VALU_DEP_1)
	v_add_nc_u32_e32 v6, v5, v6
	ds_store_2addr_b32 v101, v8, v5 offset1:1
	ds_store_2addr_b32 v102, v133, v26 offset1:1
	;; [unrolled: 1-line block ×4, first 2 shown]
	ds_store_b32 v43, v6 offset:1088
	s_wait_loadcnt_dscnt 0x0
	s_barrier_signal -1
	s_barrier_wait -1
	global_inv scope:SCOPE_SE
	ds_load_b32 v8, v105 offset:1056
	ds_load_b32 v24, v109 offset:1056
	;; [unrolled: 1-line block ×9, first 2 shown]
	v_mov_b32_e32 v7, 0x800
	s_and_saveexec_b32 s15, s7
; %bb.431:                              ;   in Loop: Header=BB917_394 Depth=2
	ds_load_b32 v7, v43 offset:1092
; %bb.432:                              ;   in Loop: Header=BB917_394 Depth=2
	s_wait_alu 0xfffe
	s_or_b32 exec_lo, exec_lo, s15
	s_wait_loadcnt_dscnt 0x0
	s_barrier_signal -1
	s_barrier_wait -1
	global_inv scope:SCOPE_SE
	s_and_saveexec_b32 s15, s2
	s_cbranch_execz .LBB917_434
; %bb.433:                              ;   in Loop: Header=BB917_394 Depth=2
	ds_load_b32 v102, v28
	s_wait_dscnt 0x0
	v_sub_nc_u32_e32 v101, v102, v101
	ds_store_b32 v28, v101
.LBB917_434:                            ;   in Loop: Header=BB917_394 Depth=2
	s_wait_alu 0xfffe
	s_or_b32 exec_lo, exec_lo, s15
	v_add_nc_u32_e32 v102, v8, v99
	v_add3_u32 v101, v107, v106, v24
	v_add3_u32 v99, v112, v110, v25
	;; [unrolled: 1-line block ×4, first 2 shown]
	v_lshlrev_b32_e32 v103, 1, v102
	v_add3_u32 v24, v120, v118, v27
	v_lshlrev_b32_e32 v104, 1, v101
	v_lshlrev_b32_e32 v105, 1, v99
	v_add3_u32 v27, v127, v126, v5
	v_add3_u32 v26, v131, v130, v6
	ds_store_b16 v103, v0 offset:1024
	ds_store_b16 v104, v100 offset:1024
	;; [unrolled: 1-line block ×3, first 2 shown]
	v_lshlrev_b32_e32 v0, 1, v25
	v_cmp_lt_u32_e32 vcc_lo, v13, v98
	v_lshlrev_b32_e32 v5, 1, v24
	v_lshlrev_b32_e32 v6, 1, v8
	;; [unrolled: 1-line block ×4, first 2 shown]
	ds_store_b16 v0, v111 offset:1024
	ds_store_b16 v5, v115 offset:1024
	;; [unrolled: 1-line block ×5, first 2 shown]
	s_wait_loadcnt_dscnt 0x0
	s_barrier_signal -1
	s_barrier_wait -1
	global_inv scope:SCOPE_SE
	s_and_saveexec_b32 s16, vcc_lo
	s_cbranch_execnz .LBB917_471
; %bb.435:                              ;   in Loop: Header=BB917_394 Depth=2
	s_wait_alu 0xfffe
	s_or_b32 exec_lo, exec_lo, s16
	v_cmp_lt_u32_e64 s15, v29, v98
	s_and_saveexec_b32 s17, s15
	s_cbranch_execnz .LBB917_472
.LBB917_436:                            ;   in Loop: Header=BB917_394 Depth=2
	s_wait_alu 0xfffe
	s_or_b32 exec_lo, exec_lo, s17
	v_cmp_lt_u32_e64 s16, v30, v98
	s_and_saveexec_b32 s18, s16
	s_cbranch_execnz .LBB917_473
.LBB917_437:                            ;   in Loop: Header=BB917_394 Depth=2
	s_wait_alu 0xfffe
	s_or_b32 exec_lo, exec_lo, s18
	v_cmp_lt_u32_e64 s17, v31, v98
	s_and_saveexec_b32 s19, s17
	s_cbranch_execnz .LBB917_474
.LBB917_438:                            ;   in Loop: Header=BB917_394 Depth=2
	s_wait_alu 0xfffe
	s_or_b32 exec_lo, exec_lo, s19
	v_cmp_lt_u32_e64 s18, v34, v98
	s_and_saveexec_b32 s20, s18
	s_cbranch_execnz .LBB917_475
.LBB917_439:                            ;   in Loop: Header=BB917_394 Depth=2
	s_wait_alu 0xfffe
	s_or_b32 exec_lo, exec_lo, s20
	v_cmp_lt_u32_e64 s19, v35, v98
	s_and_saveexec_b32 s21, s19
	s_cbranch_execnz .LBB917_476
.LBB917_440:                            ;   in Loop: Header=BB917_394 Depth=2
	s_wait_alu 0xfffe
	s_or_b32 exec_lo, exec_lo, s21
	v_cmp_lt_u32_e64 s20, v36, v98
	s_and_saveexec_b32 s22, s20
	s_cbranch_execnz .LBB917_477
.LBB917_441:                            ;   in Loop: Header=BB917_394 Depth=2
	s_wait_alu 0xfffe
	s_or_b32 exec_lo, exec_lo, s22
	v_cmp_lt_u32_e64 s21, v37, v98
	s_and_saveexec_b32 s48, s21
	s_cbranch_execz .LBB917_443
.LBB917_442:                            ;   in Loop: Header=BB917_394 Depth=2
	ds_load_u16 v100, v48 offset:4608
	s_wait_dscnt 0x0
	v_and_b32_e32 v0, 0xffff, v100
	s_delay_alu instid0(VALU_DEP_1) | instskip(NEXT) | instid1(VALU_DEP_1)
	v_lshrrev_b32_e32 v0, s45, v0
	v_and_b32_e32 v0, s42, v0
	s_delay_alu instid0(VALU_DEP_1) | instskip(SKIP_3) | instid1(VALU_DEP_1)
	v_lshlrev_b32_e32 v0, 2, v0
	ds_load_b32 v0, v0
	s_wait_dscnt 0x0
	v_add_nc_u32_e32 v0, v0, v37
	v_lshlrev_b64_e32 v[5:6], 1, v[0:1]
	v_xor_b32_e32 v0, 0x7fff, v100
	s_delay_alu instid0(VALU_DEP_2) | instskip(SKIP_1) | instid1(VALU_DEP_3)
	v_add_co_u32 v5, s22, s38, v5
	s_wait_alu 0xf1ff
	v_add_co_ci_u32_e64 v6, null, s39, v6, s22
	global_store_b16 v[5:6], v0, off
.LBB917_443:                            ;   in Loop: Header=BB917_394 Depth=2
	s_wait_alu 0xfffe
	s_or_b32 exec_lo, exec_lo, s48
	s_lshl_b64 s[48:49], s[30:31], 3
	s_wait_alu 0xfffe
	v_add_co_u32 v5, s22, v85, s48
	s_wait_alu 0xf1ff
	v_add_co_ci_u32_e64 v6, null, s49, v86, s22
	v_cmp_lt_u32_e64 s22, v67, v98
	s_and_saveexec_b32 s30, s22
	s_wait_alu 0xfffe
	s_xor_b32 s22, exec_lo, s30
	s_cbranch_execnz .LBB917_478
; %bb.444:                              ;   in Loop: Header=BB917_394 Depth=2
	s_wait_alu 0xfffe
	s_or_b32 exec_lo, exec_lo, s22
	s_delay_alu instid0(SALU_CYCLE_1)
	s_mov_b32 s30, exec_lo
	v_cmpx_lt_u32_e64 v71, v98
	s_cbranch_execnz .LBB917_479
.LBB917_445:                            ;   in Loop: Header=BB917_394 Depth=2
	s_wait_alu 0xfffe
	s_or_b32 exec_lo, exec_lo, s30
	s_delay_alu instid0(SALU_CYCLE_1)
	s_mov_b32 s30, exec_lo
	v_cmpx_lt_u32_e64 v72, v98
	s_cbranch_execnz .LBB917_480
.LBB917_446:                            ;   in Loop: Header=BB917_394 Depth=2
	s_wait_alu 0xfffe
	s_or_b32 exec_lo, exec_lo, s30
	s_delay_alu instid0(SALU_CYCLE_1)
	s_mov_b32 s30, exec_lo
	v_cmpx_lt_u32_e64 v73, v98
	s_cbranch_execnz .LBB917_481
.LBB917_447:                            ;   in Loop: Header=BB917_394 Depth=2
	s_wait_alu 0xfffe
	s_or_b32 exec_lo, exec_lo, s30
	s_delay_alu instid0(SALU_CYCLE_1)
	s_mov_b32 s30, exec_lo
	v_cmpx_lt_u32_e64 v74, v98
	s_cbranch_execnz .LBB917_482
.LBB917_448:                            ;   in Loop: Header=BB917_394 Depth=2
	s_wait_alu 0xfffe
	s_or_b32 exec_lo, exec_lo, s30
	s_delay_alu instid0(SALU_CYCLE_1)
	s_mov_b32 s30, exec_lo
	v_cmpx_lt_u32_e64 v75, v98
	s_cbranch_execnz .LBB917_483
.LBB917_449:                            ;   in Loop: Header=BB917_394 Depth=2
	s_wait_alu 0xfffe
	s_or_b32 exec_lo, exec_lo, s30
	s_delay_alu instid0(SALU_CYCLE_1)
	s_mov_b32 s30, exec_lo
	v_cmpx_lt_u32_e64 v76, v98
	s_cbranch_execnz .LBB917_484
.LBB917_450:                            ;   in Loop: Header=BB917_394 Depth=2
	s_wait_alu 0xfffe
	s_or_b32 exec_lo, exec_lo, s30
	s_delay_alu instid0(SALU_CYCLE_1)
	s_mov_b32 s30, exec_lo
	v_cmpx_lt_u32_e64 v77, v98
	s_cbranch_execnz .LBB917_485
.LBB917_451:                            ;   in Loop: Header=BB917_394 Depth=2
	s_wait_alu 0xfffe
	s_or_b32 exec_lo, exec_lo, s30
	s_and_saveexec_b32 s22, vcc_lo
	s_cbranch_execnz .LBB917_486
.LBB917_452:                            ;   in Loop: Header=BB917_394 Depth=2
	s_wait_alu 0xfffe
	s_or_b32 exec_lo, exec_lo, s22
	s_and_saveexec_b32 s22, s15
	s_cbranch_execnz .LBB917_487
.LBB917_453:                            ;   in Loop: Header=BB917_394 Depth=2
	s_wait_alu 0xfffe
	s_or_b32 exec_lo, exec_lo, s22
	s_and_saveexec_b32 s22, s16
	s_cbranch_execnz .LBB917_488
.LBB917_454:                            ;   in Loop: Header=BB917_394 Depth=2
	s_wait_alu 0xfffe
	s_or_b32 exec_lo, exec_lo, s22
	s_and_saveexec_b32 s22, s17
	s_cbranch_execnz .LBB917_489
.LBB917_455:                            ;   in Loop: Header=BB917_394 Depth=2
	s_wait_alu 0xfffe
	s_or_b32 exec_lo, exec_lo, s22
	s_and_saveexec_b32 s22, s18
	s_cbranch_execnz .LBB917_490
.LBB917_456:                            ;   in Loop: Header=BB917_394 Depth=2
	s_wait_alu 0xfffe
	s_or_b32 exec_lo, exec_lo, s22
	s_and_saveexec_b32 s22, s19
	s_cbranch_execnz .LBB917_491
.LBB917_457:                            ;   in Loop: Header=BB917_394 Depth=2
	s_wait_alu 0xfffe
	s_or_b32 exec_lo, exec_lo, s22
	s_and_saveexec_b32 s22, s20
	s_cbranch_execnz .LBB917_492
.LBB917_458:                            ;   in Loop: Header=BB917_394 Depth=2
	s_wait_alu 0xfffe
	s_or_b32 exec_lo, exec_lo, s22
	s_and_saveexec_b32 s22, s21
	s_cbranch_execz .LBB917_460
.LBB917_459:                            ;   in Loop: Header=BB917_394 Depth=2
	ds_load_u16 v0, v48 offset:4608
	s_wait_dscnt 0x0
	v_lshrrev_b32_e32 v0, s45, v0
	s_delay_alu instid0(VALU_DEP_1)
	v_and_b32_e32 v90, s42, v0
.LBB917_460:                            ;   in Loop: Header=BB917_394 Depth=2
	s_wait_alu 0xfffe
	s_or_b32 exec_lo, exec_lo, s22
	v_lshlrev_b32_e32 v0, 3, v102
	v_lshlrev_b32_e32 v5, 3, v101
	;; [unrolled: 1-line block ×3, first 2 shown]
	s_wait_loadcnt 0x0
	s_wait_storecnt 0x0
	s_barrier_signal -1
	s_barrier_wait -1
	global_inv scope:SCOPE_SE
	ds_store_b64 v0, v[22:23] offset:1024
	ds_store_b64 v5, v[20:21] offset:1024
	;; [unrolled: 1-line block ×3, first 2 shown]
	v_lshlrev_b32_e32 v0, 3, v25
	v_lshlrev_b32_e32 v5, 3, v24
	;; [unrolled: 1-line block ×5, first 2 shown]
	ds_store_b64 v0, v[16:17] offset:1024
	ds_store_b64 v5, v[14:15] offset:1024
	;; [unrolled: 1-line block ×5, first 2 shown]
	s_wait_loadcnt_dscnt 0x0
	s_barrier_signal -1
	s_barrier_wait -1
	global_inv scope:SCOPE_SE
	s_and_saveexec_b32 s22, vcc_lo
	s_cbranch_execnz .LBB917_493
; %bb.461:                              ;   in Loop: Header=BB917_394 Depth=2
	s_wait_alu 0xfffe
	s_or_b32 exec_lo, exec_lo, s22
	s_and_saveexec_b32 s22, s15
	s_cbranch_execnz .LBB917_494
.LBB917_462:                            ;   in Loop: Header=BB917_394 Depth=2
	s_wait_alu 0xfffe
	s_or_b32 exec_lo, exec_lo, s22
	s_and_saveexec_b32 s15, s16
	s_cbranch_execnz .LBB917_495
.LBB917_463:                            ;   in Loop: Header=BB917_394 Depth=2
	s_wait_alu 0xfffe
	s_or_b32 exec_lo, exec_lo, s15
	s_and_saveexec_b32 s15, s17
	s_cbranch_execnz .LBB917_496
.LBB917_464:                            ;   in Loop: Header=BB917_394 Depth=2
	s_wait_alu 0xfffe
	s_or_b32 exec_lo, exec_lo, s15
	s_and_saveexec_b32 s15, s18
	s_cbranch_execnz .LBB917_497
.LBB917_465:                            ;   in Loop: Header=BB917_394 Depth=2
	s_wait_alu 0xfffe
	s_or_b32 exec_lo, exec_lo, s15
	s_and_saveexec_b32 s15, s19
	s_cbranch_execnz .LBB917_498
.LBB917_466:                            ;   in Loop: Header=BB917_394 Depth=2
	s_wait_alu 0xfffe
	s_or_b32 exec_lo, exec_lo, s15
	s_and_saveexec_b32 s15, s20
	s_cbranch_execnz .LBB917_499
.LBB917_467:                            ;   in Loop: Header=BB917_394 Depth=2
	s_wait_alu 0xfffe
	s_or_b32 exec_lo, exec_lo, s15
	s_and_saveexec_b32 s15, s21
	s_cbranch_execz .LBB917_469
.LBB917_468:                            ;   in Loop: Header=BB917_394 Depth=2
	v_lshlrev_b32_e32 v0, 2, v90
	v_add_nc_u32_e32 v5, v48, v49
	ds_load_b32 v0, v0
	ds_load_b64 v[5:6], v5 offset:15360
	s_wait_dscnt 0x1
	v_add_nc_u32_e32 v0, v0, v37
	s_delay_alu instid0(VALU_DEP_1) | instskip(NEXT) | instid1(VALU_DEP_1)
	v_lshlrev_b64_e32 v[24:25], 3, v[0:1]
	v_add_co_u32 v24, vcc_lo, s24, v24
	s_wait_alu 0xfffd
	s_delay_alu instid0(VALU_DEP_2)
	v_add_co_ci_u32_e64 v25, null, s25, v25, vcc_lo
	s_wait_dscnt 0x0
	global_store_b64 v[24:25], v[5:6], off
.LBB917_469:                            ;   in Loop: Header=BB917_394 Depth=2
	s_wait_alu 0xfffe
	s_or_b32 exec_lo, exec_lo, s15
	s_wait_loadcnt 0x0
	s_wait_storecnt 0x0
	s_barrier_signal -1
	s_barrier_wait -1
	global_inv scope:SCOPE_SE
	s_and_saveexec_b32 s15, s2
	s_cbranch_execz .LBB917_393
; %bb.470:                              ;   in Loop: Header=BB917_394 Depth=2
	ds_load_b32 v0, v28
	s_wait_dscnt 0x0
	v_add_nc_u32_e32 v0, v0, v7
	ds_store_b32 v28, v0
	s_branch .LBB917_393
.LBB917_471:                            ;   in Loop: Header=BB917_394 Depth=2
	ds_load_u16 v100, v48 offset:1024
	s_wait_dscnt 0x0
	v_and_b32_e32 v0, 0xffff, v100
	s_delay_alu instid0(VALU_DEP_1) | instskip(NEXT) | instid1(VALU_DEP_1)
	v_lshrrev_b32_e32 v0, s45, v0
	v_and_b32_e32 v0, s42, v0
	s_delay_alu instid0(VALU_DEP_1) | instskip(SKIP_3) | instid1(VALU_DEP_1)
	v_lshlrev_b32_e32 v0, 2, v0
	ds_load_b32 v0, v0
	s_wait_dscnt 0x0
	v_add_nc_u32_e32 v0, v0, v13
	v_lshlrev_b64_e32 v[5:6], 1, v[0:1]
	v_xor_b32_e32 v0, 0x7fff, v100
	s_delay_alu instid0(VALU_DEP_2) | instskip(SKIP_1) | instid1(VALU_DEP_3)
	v_add_co_u32 v5, s15, s38, v5
	s_wait_alu 0xf1ff
	v_add_co_ci_u32_e64 v6, null, s39, v6, s15
	global_store_b16 v[5:6], v0, off
	s_wait_alu 0xfffe
	s_or_b32 exec_lo, exec_lo, s16
	v_cmp_lt_u32_e64 s15, v29, v98
	s_and_saveexec_b32 s17, s15
	s_cbranch_execz .LBB917_436
.LBB917_472:                            ;   in Loop: Header=BB917_394 Depth=2
	ds_load_u16 v100, v48 offset:1536
	s_wait_dscnt 0x0
	v_and_b32_e32 v0, 0xffff, v100
	s_delay_alu instid0(VALU_DEP_1) | instskip(NEXT) | instid1(VALU_DEP_1)
	v_lshrrev_b32_e32 v0, s45, v0
	v_and_b32_e32 v0, s42, v0
	s_delay_alu instid0(VALU_DEP_1) | instskip(SKIP_3) | instid1(VALU_DEP_1)
	v_lshlrev_b32_e32 v0, 2, v0
	ds_load_b32 v0, v0
	s_wait_dscnt 0x0
	v_add_nc_u32_e32 v0, v0, v29
	v_lshlrev_b64_e32 v[5:6], 1, v[0:1]
	v_xor_b32_e32 v0, 0x7fff, v100
	s_delay_alu instid0(VALU_DEP_2) | instskip(SKIP_1) | instid1(VALU_DEP_3)
	v_add_co_u32 v5, s16, s38, v5
	s_wait_alu 0xf1ff
	v_add_co_ci_u32_e64 v6, null, s39, v6, s16
	global_store_b16 v[5:6], v0, off
	s_wait_alu 0xfffe
	s_or_b32 exec_lo, exec_lo, s17
	v_cmp_lt_u32_e64 s16, v30, v98
	s_and_saveexec_b32 s18, s16
	s_cbranch_execz .LBB917_437
.LBB917_473:                            ;   in Loop: Header=BB917_394 Depth=2
	ds_load_u16 v100, v48 offset:2048
	s_wait_dscnt 0x0
	v_and_b32_e32 v0, 0xffff, v100
	s_delay_alu instid0(VALU_DEP_1) | instskip(NEXT) | instid1(VALU_DEP_1)
	v_lshrrev_b32_e32 v0, s45, v0
	v_and_b32_e32 v0, s42, v0
	s_delay_alu instid0(VALU_DEP_1) | instskip(SKIP_3) | instid1(VALU_DEP_1)
	v_lshlrev_b32_e32 v0, 2, v0
	ds_load_b32 v0, v0
	s_wait_dscnt 0x0
	v_add_nc_u32_e32 v0, v0, v30
	v_lshlrev_b64_e32 v[5:6], 1, v[0:1]
	v_xor_b32_e32 v0, 0x7fff, v100
	s_delay_alu instid0(VALU_DEP_2) | instskip(SKIP_1) | instid1(VALU_DEP_3)
	v_add_co_u32 v5, s17, s38, v5
	s_wait_alu 0xf1ff
	v_add_co_ci_u32_e64 v6, null, s39, v6, s17
	global_store_b16 v[5:6], v0, off
	s_wait_alu 0xfffe
	s_or_b32 exec_lo, exec_lo, s18
	v_cmp_lt_u32_e64 s17, v31, v98
	s_and_saveexec_b32 s19, s17
	s_cbranch_execz .LBB917_438
.LBB917_474:                            ;   in Loop: Header=BB917_394 Depth=2
	ds_load_u16 v100, v48 offset:2560
	s_wait_dscnt 0x0
	v_and_b32_e32 v0, 0xffff, v100
	s_delay_alu instid0(VALU_DEP_1) | instskip(NEXT) | instid1(VALU_DEP_1)
	v_lshrrev_b32_e32 v0, s45, v0
	v_and_b32_e32 v0, s42, v0
	s_delay_alu instid0(VALU_DEP_1) | instskip(SKIP_3) | instid1(VALU_DEP_1)
	v_lshlrev_b32_e32 v0, 2, v0
	ds_load_b32 v0, v0
	s_wait_dscnt 0x0
	v_add_nc_u32_e32 v0, v0, v31
	v_lshlrev_b64_e32 v[5:6], 1, v[0:1]
	v_xor_b32_e32 v0, 0x7fff, v100
	s_delay_alu instid0(VALU_DEP_2) | instskip(SKIP_1) | instid1(VALU_DEP_3)
	v_add_co_u32 v5, s18, s38, v5
	s_wait_alu 0xf1ff
	v_add_co_ci_u32_e64 v6, null, s39, v6, s18
	global_store_b16 v[5:6], v0, off
	s_wait_alu 0xfffe
	s_or_b32 exec_lo, exec_lo, s19
	v_cmp_lt_u32_e64 s18, v34, v98
	s_and_saveexec_b32 s20, s18
	s_cbranch_execz .LBB917_439
.LBB917_475:                            ;   in Loop: Header=BB917_394 Depth=2
	ds_load_u16 v100, v48 offset:3072
	s_wait_dscnt 0x0
	v_and_b32_e32 v0, 0xffff, v100
	s_delay_alu instid0(VALU_DEP_1) | instskip(NEXT) | instid1(VALU_DEP_1)
	v_lshrrev_b32_e32 v0, s45, v0
	v_and_b32_e32 v0, s42, v0
	s_delay_alu instid0(VALU_DEP_1) | instskip(SKIP_3) | instid1(VALU_DEP_1)
	v_lshlrev_b32_e32 v0, 2, v0
	ds_load_b32 v0, v0
	s_wait_dscnt 0x0
	v_add_nc_u32_e32 v0, v0, v34
	v_lshlrev_b64_e32 v[5:6], 1, v[0:1]
	v_xor_b32_e32 v0, 0x7fff, v100
	s_delay_alu instid0(VALU_DEP_2) | instskip(SKIP_1) | instid1(VALU_DEP_3)
	v_add_co_u32 v5, s19, s38, v5
	s_wait_alu 0xf1ff
	v_add_co_ci_u32_e64 v6, null, s39, v6, s19
	global_store_b16 v[5:6], v0, off
	s_wait_alu 0xfffe
	s_or_b32 exec_lo, exec_lo, s20
	v_cmp_lt_u32_e64 s19, v35, v98
	s_and_saveexec_b32 s21, s19
	s_cbranch_execz .LBB917_440
.LBB917_476:                            ;   in Loop: Header=BB917_394 Depth=2
	ds_load_u16 v100, v48 offset:3584
	s_wait_dscnt 0x0
	v_and_b32_e32 v0, 0xffff, v100
	s_delay_alu instid0(VALU_DEP_1) | instskip(NEXT) | instid1(VALU_DEP_1)
	v_lshrrev_b32_e32 v0, s45, v0
	v_and_b32_e32 v0, s42, v0
	s_delay_alu instid0(VALU_DEP_1) | instskip(SKIP_3) | instid1(VALU_DEP_1)
	v_lshlrev_b32_e32 v0, 2, v0
	ds_load_b32 v0, v0
	s_wait_dscnt 0x0
	v_add_nc_u32_e32 v0, v0, v35
	v_lshlrev_b64_e32 v[5:6], 1, v[0:1]
	v_xor_b32_e32 v0, 0x7fff, v100
	s_delay_alu instid0(VALU_DEP_2) | instskip(SKIP_1) | instid1(VALU_DEP_3)
	v_add_co_u32 v5, s20, s38, v5
	s_wait_alu 0xf1ff
	v_add_co_ci_u32_e64 v6, null, s39, v6, s20
	global_store_b16 v[5:6], v0, off
	s_wait_alu 0xfffe
	s_or_b32 exec_lo, exec_lo, s21
	v_cmp_lt_u32_e64 s20, v36, v98
	s_and_saveexec_b32 s22, s20
	s_cbranch_execz .LBB917_441
.LBB917_477:                            ;   in Loop: Header=BB917_394 Depth=2
	ds_load_u16 v100, v48 offset:4096
	s_wait_dscnt 0x0
	v_and_b32_e32 v0, 0xffff, v100
	s_delay_alu instid0(VALU_DEP_1) | instskip(NEXT) | instid1(VALU_DEP_1)
	v_lshrrev_b32_e32 v0, s45, v0
	v_and_b32_e32 v0, s42, v0
	s_delay_alu instid0(VALU_DEP_1) | instskip(SKIP_3) | instid1(VALU_DEP_1)
	v_lshlrev_b32_e32 v0, 2, v0
	ds_load_b32 v0, v0
	s_wait_dscnt 0x0
	v_add_nc_u32_e32 v0, v0, v36
	v_lshlrev_b64_e32 v[5:6], 1, v[0:1]
	v_xor_b32_e32 v0, 0x7fff, v100
	s_delay_alu instid0(VALU_DEP_2) | instskip(SKIP_1) | instid1(VALU_DEP_3)
	v_add_co_u32 v5, s21, s38, v5
	s_wait_alu 0xf1ff
	v_add_co_ci_u32_e64 v6, null, s39, v6, s21
	global_store_b16 v[5:6], v0, off
	s_wait_alu 0xfffe
	s_or_b32 exec_lo, exec_lo, s22
	v_cmp_lt_u32_e64 s21, v37, v98
	s_and_saveexec_b32 s48, s21
	s_cbranch_execnz .LBB917_442
	s_branch .LBB917_443
.LBB917_478:                            ;   in Loop: Header=BB917_394 Depth=2
	global_load_b64 v[22:23], v[5:6], off
	s_wait_alu 0xfffe
	s_or_b32 exec_lo, exec_lo, s22
	s_delay_alu instid0(SALU_CYCLE_1)
	s_mov_b32 s30, exec_lo
	v_cmpx_lt_u32_e64 v71, v98
	s_cbranch_execz .LBB917_445
.LBB917_479:                            ;   in Loop: Header=BB917_394 Depth=2
	global_load_b64 v[20:21], v[5:6], off offset:256
	s_wait_alu 0xfffe
	s_or_b32 exec_lo, exec_lo, s30
	s_delay_alu instid0(SALU_CYCLE_1)
	s_mov_b32 s30, exec_lo
	v_cmpx_lt_u32_e64 v72, v98
	s_cbranch_execz .LBB917_446
.LBB917_480:                            ;   in Loop: Header=BB917_394 Depth=2
	global_load_b64 v[18:19], v[5:6], off offset:512
	s_wait_alu 0xfffe
	s_or_b32 exec_lo, exec_lo, s30
	s_delay_alu instid0(SALU_CYCLE_1)
	s_mov_b32 s30, exec_lo
	v_cmpx_lt_u32_e64 v73, v98
	s_cbranch_execz .LBB917_447
.LBB917_481:                            ;   in Loop: Header=BB917_394 Depth=2
	global_load_b64 v[16:17], v[5:6], off offset:768
	s_wait_alu 0xfffe
	s_or_b32 exec_lo, exec_lo, s30
	s_delay_alu instid0(SALU_CYCLE_1)
	s_mov_b32 s30, exec_lo
	v_cmpx_lt_u32_e64 v74, v98
	s_cbranch_execz .LBB917_448
.LBB917_482:                            ;   in Loop: Header=BB917_394 Depth=2
	global_load_b64 v[14:15], v[5:6], off offset:1024
	s_wait_alu 0xfffe
	s_or_b32 exec_lo, exec_lo, s30
	s_delay_alu instid0(SALU_CYCLE_1)
	s_mov_b32 s30, exec_lo
	v_cmpx_lt_u32_e64 v75, v98
	s_cbranch_execz .LBB917_449
.LBB917_483:                            ;   in Loop: Header=BB917_394 Depth=2
	global_load_b64 v[11:12], v[5:6], off offset:1280
	s_wait_alu 0xfffe
	s_or_b32 exec_lo, exec_lo, s30
	s_delay_alu instid0(SALU_CYCLE_1)
	s_mov_b32 s30, exec_lo
	v_cmpx_lt_u32_e64 v76, v98
	s_cbranch_execz .LBB917_450
.LBB917_484:                            ;   in Loop: Header=BB917_394 Depth=2
	global_load_b64 v[9:10], v[5:6], off offset:1536
	s_wait_alu 0xfffe
	s_or_b32 exec_lo, exec_lo, s30
	s_delay_alu instid0(SALU_CYCLE_1)
	s_mov_b32 s30, exec_lo
	v_cmpx_lt_u32_e64 v77, v98
	s_cbranch_execz .LBB917_451
.LBB917_485:                            ;   in Loop: Header=BB917_394 Depth=2
	global_load_b64 v[2:3], v[5:6], off offset:1792
	s_wait_alu 0xfffe
	s_or_b32 exec_lo, exec_lo, s30
	s_and_saveexec_b32 s22, vcc_lo
	s_cbranch_execz .LBB917_452
.LBB917_486:                            ;   in Loop: Header=BB917_394 Depth=2
	ds_load_u16 v0, v48 offset:1024
	s_wait_dscnt 0x0
	v_lshrrev_b32_e32 v0, s45, v0
	s_delay_alu instid0(VALU_DEP_1)
	v_and_b32_e32 v97, s42, v0
	s_wait_alu 0xfffe
	s_or_b32 exec_lo, exec_lo, s22
	s_and_saveexec_b32 s22, s15
	s_cbranch_execz .LBB917_453
.LBB917_487:                            ;   in Loop: Header=BB917_394 Depth=2
	ds_load_u16 v0, v48 offset:1536
	s_wait_dscnt 0x0
	v_lshrrev_b32_e32 v0, s45, v0
	s_delay_alu instid0(VALU_DEP_1)
	v_and_b32_e32 v96, s42, v0
	s_wait_alu 0xfffe
	s_or_b32 exec_lo, exec_lo, s22
	s_and_saveexec_b32 s22, s16
	s_cbranch_execz .LBB917_454
.LBB917_488:                            ;   in Loop: Header=BB917_394 Depth=2
	ds_load_u16 v0, v48 offset:2048
	s_wait_dscnt 0x0
	v_lshrrev_b32_e32 v0, s45, v0
	s_delay_alu instid0(VALU_DEP_1)
	v_and_b32_e32 v95, s42, v0
	s_wait_alu 0xfffe
	s_or_b32 exec_lo, exec_lo, s22
	s_and_saveexec_b32 s22, s17
	s_cbranch_execz .LBB917_455
.LBB917_489:                            ;   in Loop: Header=BB917_394 Depth=2
	ds_load_u16 v0, v48 offset:2560
	s_wait_dscnt 0x0
	v_lshrrev_b32_e32 v0, s45, v0
	s_delay_alu instid0(VALU_DEP_1)
	v_and_b32_e32 v94, s42, v0
	s_wait_alu 0xfffe
	s_or_b32 exec_lo, exec_lo, s22
	s_and_saveexec_b32 s22, s18
	s_cbranch_execz .LBB917_456
.LBB917_490:                            ;   in Loop: Header=BB917_394 Depth=2
	ds_load_u16 v0, v48 offset:3072
	s_wait_dscnt 0x0
	v_lshrrev_b32_e32 v0, s45, v0
	s_delay_alu instid0(VALU_DEP_1)
	v_and_b32_e32 v93, s42, v0
	s_wait_alu 0xfffe
	s_or_b32 exec_lo, exec_lo, s22
	s_and_saveexec_b32 s22, s19
	s_cbranch_execz .LBB917_457
.LBB917_491:                            ;   in Loop: Header=BB917_394 Depth=2
	ds_load_u16 v0, v48 offset:3584
	s_wait_dscnt 0x0
	v_lshrrev_b32_e32 v0, s45, v0
	s_delay_alu instid0(VALU_DEP_1)
	v_and_b32_e32 v92, s42, v0
	s_wait_alu 0xfffe
	s_or_b32 exec_lo, exec_lo, s22
	s_and_saveexec_b32 s22, s20
	s_cbranch_execz .LBB917_458
.LBB917_492:                            ;   in Loop: Header=BB917_394 Depth=2
	ds_load_u16 v0, v48 offset:4096
	s_wait_dscnt 0x0
	v_lshrrev_b32_e32 v0, s45, v0
	s_delay_alu instid0(VALU_DEP_1)
	v_and_b32_e32 v91, s42, v0
	s_wait_alu 0xfffe
	s_or_b32 exec_lo, exec_lo, s22
	s_and_saveexec_b32 s22, s21
	s_cbranch_execnz .LBB917_459
	s_branch .LBB917_460
.LBB917_493:                            ;   in Loop: Header=BB917_394 Depth=2
	v_lshlrev_b32_e32 v0, 2, v97
	v_add_nc_u32_e32 v5, v48, v49
	ds_load_b32 v0, v0
	ds_load_b64 v[5:6], v5 offset:1024
	s_wait_dscnt 0x1
	v_add_nc_u32_e32 v0, v0, v13
	s_delay_alu instid0(VALU_DEP_1) | instskip(NEXT) | instid1(VALU_DEP_1)
	v_lshlrev_b64_e32 v[24:25], 3, v[0:1]
	v_add_co_u32 v24, vcc_lo, s24, v24
	s_wait_alu 0xfffd
	s_delay_alu instid0(VALU_DEP_2)
	v_add_co_ci_u32_e64 v25, null, s25, v25, vcc_lo
	s_wait_dscnt 0x0
	global_store_b64 v[24:25], v[5:6], off
	s_wait_alu 0xfffe
	s_or_b32 exec_lo, exec_lo, s22
	s_and_saveexec_b32 s22, s15
	s_cbranch_execz .LBB917_462
.LBB917_494:                            ;   in Loop: Header=BB917_394 Depth=2
	v_lshlrev_b32_e32 v0, 2, v96
	v_add_nc_u32_e32 v5, v48, v49
	ds_load_b32 v0, v0
	ds_load_b64 v[5:6], v5 offset:3072
	s_wait_dscnt 0x1
	v_add_nc_u32_e32 v0, v0, v29
	s_delay_alu instid0(VALU_DEP_1) | instskip(NEXT) | instid1(VALU_DEP_1)
	v_lshlrev_b64_e32 v[24:25], 3, v[0:1]
	v_add_co_u32 v24, vcc_lo, s24, v24
	s_wait_alu 0xfffd
	s_delay_alu instid0(VALU_DEP_2)
	v_add_co_ci_u32_e64 v25, null, s25, v25, vcc_lo
	s_wait_dscnt 0x0
	global_store_b64 v[24:25], v[5:6], off
	s_wait_alu 0xfffe
	s_or_b32 exec_lo, exec_lo, s22
	s_and_saveexec_b32 s15, s16
	s_cbranch_execz .LBB917_463
.LBB917_495:                            ;   in Loop: Header=BB917_394 Depth=2
	v_lshlrev_b32_e32 v0, 2, v95
	v_add_nc_u32_e32 v5, v48, v49
	ds_load_b32 v0, v0
	ds_load_b64 v[5:6], v5 offset:5120
	s_wait_dscnt 0x1
	v_add_nc_u32_e32 v0, v0, v30
	s_delay_alu instid0(VALU_DEP_1) | instskip(NEXT) | instid1(VALU_DEP_1)
	v_lshlrev_b64_e32 v[24:25], 3, v[0:1]
	v_add_co_u32 v24, vcc_lo, s24, v24
	s_wait_alu 0xfffd
	s_delay_alu instid0(VALU_DEP_2)
	v_add_co_ci_u32_e64 v25, null, s25, v25, vcc_lo
	s_wait_dscnt 0x0
	global_store_b64 v[24:25], v[5:6], off
	s_wait_alu 0xfffe
	s_or_b32 exec_lo, exec_lo, s15
	s_and_saveexec_b32 s15, s17
	s_cbranch_execz .LBB917_464
.LBB917_496:                            ;   in Loop: Header=BB917_394 Depth=2
	v_lshlrev_b32_e32 v0, 2, v94
	v_add_nc_u32_e32 v5, v48, v49
	ds_load_b32 v0, v0
	ds_load_b64 v[5:6], v5 offset:7168
	s_wait_dscnt 0x1
	v_add_nc_u32_e32 v0, v0, v31
	s_delay_alu instid0(VALU_DEP_1) | instskip(NEXT) | instid1(VALU_DEP_1)
	v_lshlrev_b64_e32 v[24:25], 3, v[0:1]
	v_add_co_u32 v24, vcc_lo, s24, v24
	s_wait_alu 0xfffd
	s_delay_alu instid0(VALU_DEP_2)
	v_add_co_ci_u32_e64 v25, null, s25, v25, vcc_lo
	s_wait_dscnt 0x0
	global_store_b64 v[24:25], v[5:6], off
	s_wait_alu 0xfffe
	s_or_b32 exec_lo, exec_lo, s15
	s_and_saveexec_b32 s15, s18
	s_cbranch_execz .LBB917_465
.LBB917_497:                            ;   in Loop: Header=BB917_394 Depth=2
	v_lshlrev_b32_e32 v0, 2, v93
	v_add_nc_u32_e32 v5, v48, v49
	ds_load_b32 v0, v0
	ds_load_b64 v[5:6], v5 offset:9216
	s_wait_dscnt 0x1
	v_add_nc_u32_e32 v0, v0, v34
	s_delay_alu instid0(VALU_DEP_1) | instskip(NEXT) | instid1(VALU_DEP_1)
	v_lshlrev_b64_e32 v[24:25], 3, v[0:1]
	v_add_co_u32 v24, vcc_lo, s24, v24
	s_wait_alu 0xfffd
	s_delay_alu instid0(VALU_DEP_2)
	v_add_co_ci_u32_e64 v25, null, s25, v25, vcc_lo
	s_wait_dscnt 0x0
	global_store_b64 v[24:25], v[5:6], off
	s_wait_alu 0xfffe
	s_or_b32 exec_lo, exec_lo, s15
	s_and_saveexec_b32 s15, s19
	s_cbranch_execz .LBB917_466
.LBB917_498:                            ;   in Loop: Header=BB917_394 Depth=2
	v_lshlrev_b32_e32 v0, 2, v92
	v_add_nc_u32_e32 v5, v48, v49
	ds_load_b32 v0, v0
	ds_load_b64 v[5:6], v5 offset:11264
	s_wait_dscnt 0x1
	v_add_nc_u32_e32 v0, v0, v35
	s_delay_alu instid0(VALU_DEP_1) | instskip(NEXT) | instid1(VALU_DEP_1)
	v_lshlrev_b64_e32 v[24:25], 3, v[0:1]
	v_add_co_u32 v24, vcc_lo, s24, v24
	s_wait_alu 0xfffd
	s_delay_alu instid0(VALU_DEP_2)
	v_add_co_ci_u32_e64 v25, null, s25, v25, vcc_lo
	s_wait_dscnt 0x0
	global_store_b64 v[24:25], v[5:6], off
	s_wait_alu 0xfffe
	s_or_b32 exec_lo, exec_lo, s15
	s_and_saveexec_b32 s15, s20
	s_cbranch_execz .LBB917_467
.LBB917_499:                            ;   in Loop: Header=BB917_394 Depth=2
	v_lshlrev_b32_e32 v0, 2, v91
	v_add_nc_u32_e32 v5, v48, v49
	ds_load_b32 v0, v0
	ds_load_b64 v[5:6], v5 offset:13312
	s_wait_dscnt 0x1
	v_add_nc_u32_e32 v0, v0, v36
	s_delay_alu instid0(VALU_DEP_1) | instskip(NEXT) | instid1(VALU_DEP_1)
	v_lshlrev_b64_e32 v[24:25], 3, v[0:1]
	v_add_co_u32 v24, vcc_lo, s24, v24
	s_wait_alu 0xfffd
	s_delay_alu instid0(VALU_DEP_2)
	v_add_co_ci_u32_e64 v25, null, s25, v25, vcc_lo
	s_wait_dscnt 0x0
	global_store_b64 v[24:25], v[5:6], off
	s_wait_alu 0xfffe
	s_or_b32 exec_lo, exec_lo, s15
	s_and_saveexec_b32 s15, s21
	s_cbranch_execnz .LBB917_468
	s_branch .LBB917_469
.LBB917_500:                            ;   in Loop: Header=BB917_394 Depth=2
	v_bfrev_b32_e32 v5, 1
	v_dual_mov_b32 v6, v4 :: v_dual_mov_b32 v7, v4
	v_mov_b32_e32 v8, v4
	global_load_d16_b16 v5, v[24:25], off
	s_wait_alu 0xfffe
	s_or_b32 exec_lo, exec_lo, s15
	s_delay_alu instid0(SALU_CYCLE_1)
	s_mov_b32 s15, exec_lo
	v_cmpx_gt_u32_e64 s43, v71
	s_cbranch_execz .LBB917_399
.LBB917_501:                            ;   in Loop: Header=BB917_394 Depth=2
	s_wait_loadcnt 0x0
	global_load_d16_hi_b16 v5, v[24:25], off offset:64
	s_wait_alu 0xfffe
	s_or_b32 exec_lo, exec_lo, s15
	s_delay_alu instid0(SALU_CYCLE_1)
	s_mov_b32 s15, exec_lo
	v_cmpx_gt_u32_e64 s43, v72
	s_cbranch_execz .LBB917_400
.LBB917_502:                            ;   in Loop: Header=BB917_394 Depth=2
	global_load_d16_b16 v6, v[24:25], off offset:128
	s_wait_alu 0xfffe
	s_or_b32 exec_lo, exec_lo, s15
	s_delay_alu instid0(SALU_CYCLE_1)
	s_mov_b32 s15, exec_lo
	v_cmpx_gt_u32_e64 s43, v73
	s_cbranch_execz .LBB917_401
.LBB917_503:                            ;   in Loop: Header=BB917_394 Depth=2
	s_wait_loadcnt 0x0
	global_load_d16_hi_b16 v6, v[24:25], off offset:192
	s_wait_alu 0xfffe
	s_or_b32 exec_lo, exec_lo, s15
	s_delay_alu instid0(SALU_CYCLE_1)
	s_mov_b32 s15, exec_lo
	v_cmpx_gt_u32_e64 s43, v74
	s_cbranch_execz .LBB917_402
.LBB917_504:                            ;   in Loop: Header=BB917_394 Depth=2
	global_load_d16_b16 v7, v[24:25], off offset:256
	s_wait_alu 0xfffe
	s_or_b32 exec_lo, exec_lo, s15
	s_delay_alu instid0(SALU_CYCLE_1)
	s_mov_b32 s15, exec_lo
	v_cmpx_gt_u32_e64 s43, v75
	s_cbranch_execz .LBB917_403
.LBB917_505:                            ;   in Loop: Header=BB917_394 Depth=2
	s_wait_loadcnt 0x0
	global_load_d16_hi_b16 v7, v[24:25], off offset:320
	s_wait_alu 0xfffe
	s_or_b32 exec_lo, exec_lo, s15
	s_delay_alu instid0(SALU_CYCLE_1)
	s_mov_b32 s15, exec_lo
	v_cmpx_gt_u32_e64 s43, v76
	s_cbranch_execnz .LBB917_404
	s_branch .LBB917_405
.LBB917_506:                            ;   in Loop: Header=BB917_12 Depth=1
	s_wait_loadcnt_dscnt 0x0
	s_barrier_signal -1
	s_mov_b32 s0, 0
	s_barrier_wait -1
.LBB917_507:                            ;   in Loop: Header=BB917_12 Depth=1
	s_wait_alu 0xfffe
	s_and_b32 vcc_lo, exec_lo, s0
	s_wait_alu 0xfffe
	s_cbranch_vccz .LBB917_11
; %bb.508:                              ;   in Loop: Header=BB917_12 Depth=1
	v_dual_mov_b32 v0, v1 :: v_dual_mov_b32 v3, v1
	v_mov_b32_e32 v2, v1
	s_mov_b32 s9, s47
	s_mov_b32 s30, s33
	s_barrier_signal -1
	s_delay_alu instid0(VALU_DEP_1)
	v_dual_mov_b32 v8, v3 :: v_dual_mov_b32 v7, v2
	v_dual_mov_b32 v6, v1 :: v_dual_mov_b32 v5, v0
	s_barrier_wait -1
	global_inv scope:SCOPE_SE
	s_branch .LBB917_510
.LBB917_509:                            ;   in Loop: Header=BB917_510 Depth=2
	s_wait_alu 0xfffe
	s_or_b32 exec_lo, exec_lo, s0
	s_addk_co_i32 s9, 0xf800
	s_cmp_ge_u32 s10, s34
	s_mov_b32 s30, s10
	s_cbranch_scc1 .LBB917_546
.LBB917_510:                            ;   Parent Loop BB917_12 Depth=1
                                        ; =>  This Inner Loop Header: Depth=2
	s_wait_alu 0xfffe
	s_add_co_i32 s10, s30, 0x800
	s_mov_b32 s0, -1
	s_wait_alu 0xfffe
	s_cmp_gt_u32 s10, s34
                                        ; implicit-def: $vgpr9_vgpr10_vgpr11_vgpr12
	s_cbranch_scc1 .LBB917_512
; %bb.511:                              ;   in Loop: Header=BB917_510 Depth=2
	s_lshl_b64 s[0:1], s[30:31], 1
	s_wait_alu 0xfffe
	v_add_co_u32 v2, vcc_lo, v56, s0
	s_wait_alu 0xfffd
	v_add_co_ci_u32_e64 v3, null, s1, v57, vcc_lo
	s_mov_b32 s0, 0
	s_clause 0x3
	global_load_u16 v9, v[2:3], off
	global_load_u16 v10, v[2:3], off offset:1024
	global_load_u16 v11, v[2:3], off offset:2048
	;; [unrolled: 1-line block ×3, first 2 shown]
	s_wait_loadcnt 0x3
	global_load_d16_hi_b16 v9, v[2:3], off offset:512
	s_wait_loadcnt 0x3
	global_load_d16_hi_b16 v10, v[2:3], off offset:1536
	;; [unrolled: 2-line block ×4, first 2 shown]
.LBB917_512:                            ;   in Loop: Header=BB917_510 Depth=2
	s_wait_alu 0xfffe
	s_and_not1_b32 vcc_lo, exec_lo, s0
	s_movk_i32 s0, 0x800
	s_wait_alu 0xfffe
	s_cbranch_vccnz .LBB917_523
; %bb.513:                              ;   in Loop: Header=BB917_510 Depth=2
	s_lshl_b64 s[0:1], s[30:31], 1
	s_mov_b32 s11, exec_lo
	s_wait_alu 0xfffe
	s_add_nc_u64 s[0:1], s[36:37], s[0:1]
	v_cmpx_gt_u32_e64 s9, v13
	s_cbranch_execnz .LBB917_539
; %bb.514:                              ;   in Loop: Header=BB917_510 Depth=2
	s_or_b32 exec_lo, exec_lo, s11
	s_delay_alu instid0(SALU_CYCLE_1)
	s_mov_b32 s11, exec_lo
	v_cmpx_gt_u32_e64 s9, v29
	s_cbranch_execnz .LBB917_540
.LBB917_515:                            ;   in Loop: Header=BB917_510 Depth=2
	s_wait_alu 0xfffe
	s_or_b32 exec_lo, exec_lo, s11
	s_delay_alu instid0(SALU_CYCLE_1)
	s_mov_b32 s11, exec_lo
	v_cmpx_gt_u32_e64 s9, v30
	s_cbranch_execnz .LBB917_541
.LBB917_516:                            ;   in Loop: Header=BB917_510 Depth=2
	s_wait_alu 0xfffe
	s_or_b32 exec_lo, exec_lo, s11
	s_delay_alu instid0(SALU_CYCLE_1)
	s_mov_b32 s11, exec_lo
	v_cmpx_gt_u32_e64 s9, v31
	s_cbranch_execnz .LBB917_542
.LBB917_517:                            ;   in Loop: Header=BB917_510 Depth=2
	s_wait_alu 0xfffe
	s_or_b32 exec_lo, exec_lo, s11
	s_delay_alu instid0(SALU_CYCLE_1)
	s_mov_b32 s11, exec_lo
	v_cmpx_gt_u32_e64 s9, v34
	s_cbranch_execnz .LBB917_543
.LBB917_518:                            ;   in Loop: Header=BB917_510 Depth=2
	s_wait_alu 0xfffe
	s_or_b32 exec_lo, exec_lo, s11
	s_delay_alu instid0(SALU_CYCLE_1)
	s_mov_b32 s11, exec_lo
	v_cmpx_gt_u32_e64 s9, v35
	s_cbranch_execnz .LBB917_544
.LBB917_519:                            ;   in Loop: Header=BB917_510 Depth=2
	s_wait_alu 0xfffe
	s_or_b32 exec_lo, exec_lo, s11
	s_delay_alu instid0(SALU_CYCLE_1)
	s_mov_b32 s11, exec_lo
	v_cmpx_gt_u32_e64 s9, v36
	s_cbranch_execnz .LBB917_545
.LBB917_520:                            ;   in Loop: Header=BB917_510 Depth=2
	s_wait_alu 0xfffe
	s_or_b32 exec_lo, exec_lo, s11
	s_delay_alu instid0(SALU_CYCLE_1)
	s_mov_b32 s11, exec_lo
	v_cmpx_gt_u32_e64 s9, v37
	s_cbranch_execz .LBB917_522
.LBB917_521:                            ;   in Loop: Header=BB917_510 Depth=2
	s_wait_loadcnt 0x0
	global_load_d16_hi_b16 v8, v79, s[0:1] offset:3584
.LBB917_522:                            ;   in Loop: Header=BB917_510 Depth=2
	s_wait_alu 0xfffe
	s_or_b32 exec_lo, exec_lo, s11
	s_wait_loadcnt 0x0
	v_dual_mov_b32 v12, v8 :: v_dual_mov_b32 v11, v7
	v_dual_mov_b32 v10, v6 :: v_dual_mov_b32 v9, v5
	s_mov_b32 s0, s9
.LBB917_523:                            ;   in Loop: Header=BB917_510 Depth=2
	s_wait_loadcnt 0x0
	s_delay_alu instid0(VALU_DEP_1)
	v_dual_mov_b32 v5, v9 :: v_dual_mov_b32 v6, v10
	v_dual_mov_b32 v7, v11 :: v_dual_mov_b32 v8, v12
	s_mov_b32 s1, exec_lo
	s_wait_alu 0xfffe
	v_cmpx_gt_u32_e64 s0, v13
	s_cbranch_execnz .LBB917_531
; %bb.524:                              ;   in Loop: Header=BB917_510 Depth=2
	s_or_b32 exec_lo, exec_lo, s1
	s_delay_alu instid0(SALU_CYCLE_1)
	s_mov_b32 s1, exec_lo
	v_cmpx_gt_u32_e64 s0, v29
	s_cbranch_execnz .LBB917_532
.LBB917_525:                            ;   in Loop: Header=BB917_510 Depth=2
	s_wait_alu 0xfffe
	s_or_b32 exec_lo, exec_lo, s1
	s_delay_alu instid0(SALU_CYCLE_1)
	s_mov_b32 s1, exec_lo
	v_cmpx_gt_u32_e64 s0, v30
	s_cbranch_execnz .LBB917_533
.LBB917_526:                            ;   in Loop: Header=BB917_510 Depth=2
	s_wait_alu 0xfffe
	s_or_b32 exec_lo, exec_lo, s1
	s_delay_alu instid0(SALU_CYCLE_1)
	s_mov_b32 s1, exec_lo
	v_cmpx_gt_u32_e64 s0, v31
	s_cbranch_execnz .LBB917_534
.LBB917_527:                            ;   in Loop: Header=BB917_510 Depth=2
	s_wait_alu 0xfffe
	s_or_b32 exec_lo, exec_lo, s1
	s_delay_alu instid0(SALU_CYCLE_1)
	s_mov_b32 s1, exec_lo
	v_cmpx_gt_u32_e64 s0, v34
	s_cbranch_execnz .LBB917_535
.LBB917_528:                            ;   in Loop: Header=BB917_510 Depth=2
	s_wait_alu 0xfffe
	s_or_b32 exec_lo, exec_lo, s1
	s_delay_alu instid0(SALU_CYCLE_1)
	s_mov_b32 s1, exec_lo
	v_cmpx_gt_u32_e64 s0, v35
	s_cbranch_execnz .LBB917_536
.LBB917_529:                            ;   in Loop: Header=BB917_510 Depth=2
	s_wait_alu 0xfffe
	s_or_b32 exec_lo, exec_lo, s1
	s_delay_alu instid0(SALU_CYCLE_1)
	s_mov_b32 s1, exec_lo
	v_cmpx_gt_u32_e64 s0, v36
	s_cbranch_execnz .LBB917_537
.LBB917_530:                            ;   in Loop: Header=BB917_510 Depth=2
	s_wait_alu 0xfffe
	s_or_b32 exec_lo, exec_lo, s1
	v_cmp_gt_u32_e32 vcc_lo, s0, v37
	s_and_saveexec_b32 s0, vcc_lo
	s_cbranch_execz .LBB917_509
	s_branch .LBB917_538
.LBB917_531:                            ;   in Loop: Header=BB917_510 Depth=2
	v_xor_b32_e32 v0, 0x7fff, v5
	s_delay_alu instid0(VALU_DEP_1) | instskip(NEXT) | instid1(VALU_DEP_1)
	v_and_b32_e32 v0, 0xffff, v0
	v_lshrrev_b32_e32 v0, s45, v0
	s_delay_alu instid0(VALU_DEP_1) | instskip(NEXT) | instid1(VALU_DEP_1)
	v_and_b32_e32 v0, s42, v0
	v_lshl_or_b32 v0, v0, 4, v39
	ds_add_u32 v0, v63
	s_or_b32 exec_lo, exec_lo, s1
	s_delay_alu instid0(SALU_CYCLE_1)
	s_mov_b32 s1, exec_lo
	v_cmpx_gt_u32_e64 s0, v29
	s_cbranch_execz .LBB917_525
.LBB917_532:                            ;   in Loop: Header=BB917_510 Depth=2
	v_lshrrev_b32_e32 v0, 16, v5
	s_delay_alu instid0(VALU_DEP_1) | instskip(NEXT) | instid1(VALU_DEP_1)
	v_xor_b32_e32 v0, 0x7fff, v0
	v_and_b32_e32 v0, 0xffff, v0
	s_delay_alu instid0(VALU_DEP_1) | instskip(NEXT) | instid1(VALU_DEP_1)
	v_lshrrev_b32_e32 v0, s45, v0
	v_and_b32_e32 v0, s42, v0
	s_delay_alu instid0(VALU_DEP_1) | instskip(SKIP_3) | instid1(SALU_CYCLE_1)
	v_lshl_or_b32 v0, v0, 4, v39
	ds_add_u32 v0, v63
	s_wait_alu 0xfffe
	s_or_b32 exec_lo, exec_lo, s1
	s_mov_b32 s1, exec_lo
	v_cmpx_gt_u32_e64 s0, v30
	s_cbranch_execz .LBB917_526
.LBB917_533:                            ;   in Loop: Header=BB917_510 Depth=2
	v_xor_b32_e32 v0, 0x7fff, v6
	s_delay_alu instid0(VALU_DEP_1) | instskip(NEXT) | instid1(VALU_DEP_1)
	v_and_b32_e32 v0, 0xffff, v0
	v_lshrrev_b32_e32 v0, s45, v0
	s_delay_alu instid0(VALU_DEP_1) | instskip(NEXT) | instid1(VALU_DEP_1)
	v_and_b32_e32 v0, s42, v0
	v_lshl_or_b32 v0, v0, 4, v39
	ds_add_u32 v0, v63
	s_wait_alu 0xfffe
	s_or_b32 exec_lo, exec_lo, s1
	s_delay_alu instid0(SALU_CYCLE_1)
	s_mov_b32 s1, exec_lo
	v_cmpx_gt_u32_e64 s0, v31
	s_cbranch_execz .LBB917_527
.LBB917_534:                            ;   in Loop: Header=BB917_510 Depth=2
	v_lshrrev_b32_e32 v0, 16, v6
	s_delay_alu instid0(VALU_DEP_1) | instskip(NEXT) | instid1(VALU_DEP_1)
	v_xor_b32_e32 v0, 0x7fff, v0
	v_and_b32_e32 v0, 0xffff, v0
	s_delay_alu instid0(VALU_DEP_1) | instskip(NEXT) | instid1(VALU_DEP_1)
	v_lshrrev_b32_e32 v0, s45, v0
	v_and_b32_e32 v0, s42, v0
	s_delay_alu instid0(VALU_DEP_1) | instskip(SKIP_3) | instid1(SALU_CYCLE_1)
	v_lshl_or_b32 v0, v0, 4, v39
	ds_add_u32 v0, v63
	s_wait_alu 0xfffe
	s_or_b32 exec_lo, exec_lo, s1
	s_mov_b32 s1, exec_lo
	v_cmpx_gt_u32_e64 s0, v34
	s_cbranch_execz .LBB917_528
.LBB917_535:                            ;   in Loop: Header=BB917_510 Depth=2
	v_xor_b32_e32 v0, 0x7fff, v7
	s_delay_alu instid0(VALU_DEP_1) | instskip(NEXT) | instid1(VALU_DEP_1)
	v_and_b32_e32 v0, 0xffff, v0
	v_lshrrev_b32_e32 v0, s45, v0
	s_delay_alu instid0(VALU_DEP_1) | instskip(NEXT) | instid1(VALU_DEP_1)
	v_and_b32_e32 v0, s42, v0
	v_lshl_or_b32 v0, v0, 4, v39
	ds_add_u32 v0, v63
	s_wait_alu 0xfffe
	s_or_b32 exec_lo, exec_lo, s1
	s_delay_alu instid0(SALU_CYCLE_1)
	s_mov_b32 s1, exec_lo
	v_cmpx_gt_u32_e64 s0, v35
	s_cbranch_execz .LBB917_529
.LBB917_536:                            ;   in Loop: Header=BB917_510 Depth=2
	v_lshrrev_b32_e32 v0, 16, v7
	s_delay_alu instid0(VALU_DEP_1) | instskip(NEXT) | instid1(VALU_DEP_1)
	v_xor_b32_e32 v0, 0x7fff, v0
	v_and_b32_e32 v0, 0xffff, v0
	s_delay_alu instid0(VALU_DEP_1) | instskip(NEXT) | instid1(VALU_DEP_1)
	v_lshrrev_b32_e32 v0, s45, v0
	v_and_b32_e32 v0, s42, v0
	s_delay_alu instid0(VALU_DEP_1) | instskip(SKIP_3) | instid1(SALU_CYCLE_1)
	v_lshl_or_b32 v0, v0, 4, v39
	ds_add_u32 v0, v63
	s_wait_alu 0xfffe
	s_or_b32 exec_lo, exec_lo, s1
	s_mov_b32 s1, exec_lo
	v_cmpx_gt_u32_e64 s0, v36
	s_cbranch_execz .LBB917_530
.LBB917_537:                            ;   in Loop: Header=BB917_510 Depth=2
	v_xor_b32_e32 v0, 0x7fff, v8
	s_delay_alu instid0(VALU_DEP_1) | instskip(NEXT) | instid1(VALU_DEP_1)
	v_and_b32_e32 v0, 0xffff, v0
	v_lshrrev_b32_e32 v0, s45, v0
	s_delay_alu instid0(VALU_DEP_1) | instskip(NEXT) | instid1(VALU_DEP_1)
	v_and_b32_e32 v0, s42, v0
	v_lshl_or_b32 v0, v0, 4, v39
	ds_add_u32 v0, v63
	s_wait_alu 0xfffe
	s_or_b32 exec_lo, exec_lo, s1
	v_cmp_gt_u32_e32 vcc_lo, s0, v37
	s_and_saveexec_b32 s0, vcc_lo
	s_cbranch_execz .LBB917_509
.LBB917_538:                            ;   in Loop: Header=BB917_510 Depth=2
	v_lshrrev_b32_e32 v0, 16, v8
	s_delay_alu instid0(VALU_DEP_1) | instskip(NEXT) | instid1(VALU_DEP_1)
	v_xor_b32_e32 v0, 0x7fff, v0
	v_and_b32_e32 v0, 0xffff, v0
	s_delay_alu instid0(VALU_DEP_1) | instskip(NEXT) | instid1(VALU_DEP_1)
	v_lshrrev_b32_e32 v0, s45, v0
	v_and_b32_e32 v0, s42, v0
	s_delay_alu instid0(VALU_DEP_1)
	v_lshl_or_b32 v0, v0, 4, v39
	ds_add_u32 v0, v63
	s_branch .LBB917_509
.LBB917_539:                            ;   in Loop: Header=BB917_510 Depth=2
	global_load_d16_b16 v5, v79, s[0:1]
	s_or_b32 exec_lo, exec_lo, s11
	s_delay_alu instid0(SALU_CYCLE_1)
	s_mov_b32 s11, exec_lo
	v_cmpx_gt_u32_e64 s9, v29
	s_cbranch_execz .LBB917_515
.LBB917_540:                            ;   in Loop: Header=BB917_510 Depth=2
	s_wait_loadcnt 0x0
	global_load_d16_hi_b16 v5, v79, s[0:1] offset:512
	s_wait_alu 0xfffe
	s_or_b32 exec_lo, exec_lo, s11
	s_delay_alu instid0(SALU_CYCLE_1)
	s_mov_b32 s11, exec_lo
	v_cmpx_gt_u32_e64 s9, v30
	s_cbranch_execz .LBB917_516
.LBB917_541:                            ;   in Loop: Header=BB917_510 Depth=2
	global_load_d16_b16 v6, v79, s[0:1] offset:1024
	s_wait_alu 0xfffe
	s_or_b32 exec_lo, exec_lo, s11
	s_delay_alu instid0(SALU_CYCLE_1)
	s_mov_b32 s11, exec_lo
	v_cmpx_gt_u32_e64 s9, v31
	s_cbranch_execz .LBB917_517
.LBB917_542:                            ;   in Loop: Header=BB917_510 Depth=2
	s_wait_loadcnt 0x0
	global_load_d16_hi_b16 v6, v79, s[0:1] offset:1536
	s_wait_alu 0xfffe
	s_or_b32 exec_lo, exec_lo, s11
	s_delay_alu instid0(SALU_CYCLE_1)
	s_mov_b32 s11, exec_lo
	v_cmpx_gt_u32_e64 s9, v34
	s_cbranch_execz .LBB917_518
.LBB917_543:                            ;   in Loop: Header=BB917_510 Depth=2
	global_load_d16_b16 v7, v79, s[0:1] offset:2048
	s_wait_alu 0xfffe
	s_or_b32 exec_lo, exec_lo, s11
	s_delay_alu instid0(SALU_CYCLE_1)
	s_mov_b32 s11, exec_lo
	v_cmpx_gt_u32_e64 s9, v35
	s_cbranch_execz .LBB917_519
.LBB917_544:                            ;   in Loop: Header=BB917_510 Depth=2
	s_wait_loadcnt 0x0
	global_load_d16_hi_b16 v7, v79, s[0:1] offset:2560
	s_wait_alu 0xfffe
	s_or_b32 exec_lo, exec_lo, s11
	s_delay_alu instid0(SALU_CYCLE_1)
	s_mov_b32 s11, exec_lo
	v_cmpx_gt_u32_e64 s9, v36
	s_cbranch_execz .LBB917_520
.LBB917_545:                            ;   in Loop: Header=BB917_510 Depth=2
	global_load_d16_b16 v8, v79, s[0:1] offset:3072
	s_wait_alu 0xfffe
	s_or_b32 exec_lo, exec_lo, s11
	s_delay_alu instid0(SALU_CYCLE_1)
	s_mov_b32 s11, exec_lo
	v_cmpx_gt_u32_e64 s9, v37
	s_cbranch_execnz .LBB917_521
	s_branch .LBB917_522
.LBB917_546:                            ;   in Loop: Header=BB917_12 Depth=1
	v_mov_b32_e32 v0, 0
	s_wait_dscnt 0x0
	s_barrier_signal -1
	s_barrier_wait -1
	global_inv scope:SCOPE_SE
	s_and_saveexec_b32 s0, s2
	s_cbranch_execz .LBB917_548
; %bb.547:                              ;   in Loop: Header=BB917_12 Depth=1
	ds_load_2addr_b64 v[5:8], v40 offset1:1
	s_wait_dscnt 0x0
	v_add_nc_u32_e32 v0, v6, v5
	s_delay_alu instid0(VALU_DEP_1)
	v_add3_u32 v0, v0, v7, v8
.LBB917_548:                            ;   in Loop: Header=BB917_12 Depth=1
	s_wait_alu 0xfffe
	s_or_b32 exec_lo, exec_lo, s0
	s_delay_alu instid0(VALU_DEP_1)
	v_mov_b32_dpp v2, v0 row_shr:1 row_mask:0xf bank_mask:0xf
	v_cmp_eq_u32_e64 s0, 0, v64
	v_cmp_lt_u32_e64 s1, 1, v64
	v_cmp_lt_u32_e64 s9, 3, v64
	;; [unrolled: 1-line block ×3, first 2 shown]
	v_cmp_eq_u32_e64 s11, 0, v66
	s_wait_alu 0xf1ff
	v_cndmask_b32_e64 v2, v2, 0, s0
	s_delay_alu instid0(VALU_DEP_1) | instskip(NEXT) | instid1(VALU_DEP_1)
	v_add_nc_u32_e32 v0, v2, v0
	v_mov_b32_dpp v2, v0 row_shr:2 row_mask:0xf bank_mask:0xf
	s_delay_alu instid0(VALU_DEP_1) | instskip(NEXT) | instid1(VALU_DEP_1)
	v_cndmask_b32_e64 v2, 0, v2, s1
	v_add_nc_u32_e32 v0, v0, v2
	s_delay_alu instid0(VALU_DEP_1) | instskip(NEXT) | instid1(VALU_DEP_1)
	v_mov_b32_dpp v2, v0 row_shr:4 row_mask:0xf bank_mask:0xf
	v_cndmask_b32_e64 v2, 0, v2, s9
	s_delay_alu instid0(VALU_DEP_1) | instskip(NEXT) | instid1(VALU_DEP_1)
	v_add_nc_u32_e32 v0, v0, v2
	v_mov_b32_dpp v2, v0 row_shr:8 row_mask:0xf bank_mask:0xf
	s_delay_alu instid0(VALU_DEP_1) | instskip(NEXT) | instid1(VALU_DEP_1)
	v_cndmask_b32_e64 v2, 0, v2, s10
	v_add_nc_u32_e32 v0, v0, v2
	ds_swizzle_b32 v2, v0 offset:swizzle(BROADCAST,32,15)
	s_wait_dscnt 0x0
	v_and_b32_e32 v2, v65, v2
	s_delay_alu instid0(VALU_DEP_1)
	v_add_nc_u32_e32 v0, v0, v2
	s_and_saveexec_b32 s12, s3
; %bb.549:                              ;   in Loop: Header=BB917_12 Depth=1
	ds_store_b32 v41, v0
; %bb.550:                              ;   in Loop: Header=BB917_12 Depth=1
	s_wait_alu 0xfffe
	s_or_b32 exec_lo, exec_lo, s12
	s_wait_loadcnt_dscnt 0x0
	s_barrier_signal -1
	s_barrier_wait -1
	global_inv scope:SCOPE_SE
	s_and_saveexec_b32 s12, s4
	s_cbranch_execz .LBB917_552
; %bb.551:                              ;   in Loop: Header=BB917_12 Depth=1
	ds_load_b32 v2, v42
	v_cmp_ne_u32_e32 vcc_lo, 0, v68
	s_wait_dscnt 0x0
	v_mov_b32_dpp v3, v2 row_shr:1 row_mask:0xf bank_mask:0xf
	s_wait_alu 0xfffd
	s_delay_alu instid0(VALU_DEP_1) | instskip(SKIP_1) | instid1(VALU_DEP_2)
	v_cndmask_b32_e32 v3, 0, v3, vcc_lo
	v_cmp_lt_u32_e32 vcc_lo, 1, v68
	v_add_nc_u32_e32 v2, v3, v2
	s_delay_alu instid0(VALU_DEP_1) | instskip(SKIP_1) | instid1(VALU_DEP_1)
	v_mov_b32_dpp v3, v2 row_shr:2 row_mask:0xf bank_mask:0xf
	s_wait_alu 0xfffd
	v_cndmask_b32_e32 v3, 0, v3, vcc_lo
	v_cmp_lt_u32_e32 vcc_lo, 3, v68
	s_delay_alu instid0(VALU_DEP_2) | instskip(NEXT) | instid1(VALU_DEP_1)
	v_add_nc_u32_e32 v2, v2, v3
	v_mov_b32_dpp v3, v2 row_shr:4 row_mask:0xf bank_mask:0xf
	s_wait_alu 0xfffd
	s_delay_alu instid0(VALU_DEP_1) | instskip(NEXT) | instid1(VALU_DEP_1)
	v_cndmask_b32_e32 v3, 0, v3, vcc_lo
	v_add_nc_u32_e32 v2, v2, v3
	ds_store_b32 v42, v2
.LBB917_552:                            ;   in Loop: Header=BB917_12 Depth=1
	s_wait_alu 0xfffe
	s_or_b32 exec_lo, exec_lo, s12
	v_mov_b32_e32 v2, 0
	s_wait_loadcnt_dscnt 0x0
	s_barrier_signal -1
	s_barrier_wait -1
	global_inv scope:SCOPE_SE
	s_and_saveexec_b32 s12, s5
; %bb.553:                              ;   in Loop: Header=BB917_12 Depth=1
	ds_load_b32 v2, v44
; %bb.554:                              ;   in Loop: Header=BB917_12 Depth=1
	s_wait_alu 0xfffe
	s_or_b32 exec_lo, exec_lo, s12
	v_cmp_gt_i32_e32 vcc_lo, 0, v69
	s_wait_dscnt 0x0
	v_add_nc_u32_e32 v0, v2, v0
	s_wait_loadcnt 0x0
	s_barrier_signal -1
	s_barrier_wait -1
	s_wait_alu 0xfffd
	v_cndmask_b32_e32 v3, v69, v60, vcc_lo
	global_inv scope:SCOPE_SE
	v_lshlrev_b32_e32 v84, 2, v3
	ds_bpermute_b32 v0, v84, v0
	s_and_saveexec_b32 s12, s2
	s_cbranch_execz .LBB917_556
; %bb.555:                              ;   in Loop: Header=BB917_12 Depth=1
	s_wait_dscnt 0x0
	v_cndmask_b32_e64 v0, v0, v2, s8
	s_delay_alu instid0(VALU_DEP_1)
	v_add_nc_u32_e32 v0, s33, v0
	ds_store_b32 v28, v0
.LBB917_556:                            ;   in Loop: Header=BB917_12 Depth=1
	s_wait_alu 0xfffe
	s_or_b32 exec_lo, exec_lo, s12
	s_load_b64 s[12:13], s[28:29], 0x0
	v_add_co_u32 v85, vcc_lo, v58, v70
	s_wait_alu 0xfffd
	v_add_co_ci_u32_e64 v86, null, 0, v59, vcc_lo
	v_add_co_u32 v87, vcc_lo, v61, v78
	s_wait_alu 0xfffd
	v_add_co_ci_u32_e64 v88, null, 0, v62, vcc_lo
	s_mov_b32 s43, s47
                                        ; implicit-def: $vgpr9_vgpr10
                                        ; implicit-def: $vgpr11_vgpr12
                                        ; implicit-def: $vgpr16_vgpr17
                                        ; implicit-def: $vgpr18_vgpr19
                                        ; implicit-def: $vgpr20_vgpr21
                                        ; implicit-def: $vgpr22_vgpr23
                                        ; implicit-def: $vgpr90
                                        ; implicit-def: $vgpr91
                                        ; implicit-def: $vgpr92
                                        ; implicit-def: $vgpr93
                                        ; implicit-def: $vgpr94
                                        ; implicit-def: $vgpr95
                                        ; implicit-def: $vgpr96
                                        ; implicit-def: $vgpr97
	s_wait_kmcnt 0x0
	s_cmp_lt_u32 ttmp7, s13
	s_cselect_b32 s30, 14, 20
	s_cmp_lt_u32 ttmp9, s12
	s_wait_alu 0xfffe
	s_add_nc_u64 s[14:15], s[28:29], s[30:31]
	s_cselect_b32 s30, 12, 18
	s_load_u16 s14, s[14:15], 0x0
	s_add_nc_u64 s[12:13], s[28:29], s[30:31]
	s_mov_b32 s30, s33
	s_load_u16 s12, s[12:13], 0x0
	v_cmp_lt_u32_e64 s13, 1, v68
	s_wait_dscnt 0x0
	s_wait_kmcnt 0x0
	v_mad_u32_u24 v0, v45, s14, v46
	v_cmp_lt_u32_e64 s14, 3, v68
	s_delay_alu instid0(VALU_DEP_2) | instskip(SKIP_1) | instid1(VALU_DEP_2)
	v_mad_co_u64_u32 v[2:3], null, v0, s12, v[13:14]
	v_cmp_eq_u32_e64 s12, 0, v68
                                        ; implicit-def: $vgpr14_vgpr15
	v_lshrrev_b32_e32 v0, 3, v2
                                        ; implicit-def: $vgpr2_vgpr3
	s_delay_alu instid0(VALU_DEP_1)
	v_and_b32_e32 v89, 0x1ffffffc, v0
	s_branch .LBB917_558
.LBB917_557:                            ;   in Loop: Header=BB917_558 Depth=2
	s_wait_alu 0xfffe
	s_or_b32 exec_lo, exec_lo, s15
	s_addk_co_i32 s43, 0xf800
	s_cmp_lt_u32 s44, s34
	s_mov_b32 s30, s44
	s_cbranch_scc0 .LBB917_10
.LBB917_558:                            ;   Parent Loop BB917_12 Depth=1
                                        ; =>  This Inner Loop Header: Depth=2
	s_wait_alu 0xfffe
	s_add_co_i32 s44, s30, 0x800
	s_wait_alu 0xfffe
	s_cmp_gt_u32 s44, s34
	s_cbranch_scc1 .LBB917_560
; %bb.559:                              ;   in Loop: Header=BB917_558 Depth=2
	s_lshl_b64 s[16:17], s[30:31], 1
	s_mov_b32 s15, -1
	s_wait_alu 0xfffe
	v_add_co_u32 v24, vcc_lo, v87, s16
	s_wait_alu 0xfffd
	v_add_co_ci_u32_e64 v25, null, s17, v88, vcc_lo
	s_clause 0x3
	global_load_u16 v5, v[24:25], off
	global_load_u16 v6, v[24:25], off offset:128
	global_load_u16 v7, v[24:25], off offset:256
	global_load_d16_b16 v8, v[24:25], off offset:384
	s_wait_loadcnt 0x3
	global_load_d16_hi_b16 v5, v[24:25], off offset:64
	s_wait_loadcnt 0x3
	global_load_d16_hi_b16 v6, v[24:25], off offset:192
	;; [unrolled: 2-line block ×3, first 2 shown]
	s_movk_i32 s16, 0x800
	s_cbranch_execz .LBB917_561
	s_branch .LBB917_570
.LBB917_560:                            ;   in Loop: Header=BB917_558 Depth=2
	s_mov_b32 s15, 0
                                        ; implicit-def: $vgpr5_vgpr6_vgpr7_vgpr8
	s_movk_i32 s16, 0x800
.LBB917_561:                            ;   in Loop: Header=BB917_558 Depth=2
	s_wait_loadcnt 0x0
	v_mov_b32_e32 v7, v4
	s_lshl_b64 s[16:17], s[30:31], 1
	v_dual_mov_b32 v5, v4 :: v_dual_mov_b32 v6, v4
	s_wait_alu 0xfffe
	v_add_co_u32 v24, vcc_lo, v87, s16
	v_mov_b32_e32 v8, v7
	s_wait_alu 0xfffd
	v_add_co_ci_u32_e64 v25, null, s17, v88, vcc_lo
	v_mov_b32_e32 v7, v6
	v_mov_b32_e32 v6, v5
	;; [unrolled: 1-line block ×3, first 2 shown]
	s_mov_b32 s15, exec_lo
	v_cmpx_gt_u32_e64 s43, v67
	s_cbranch_execnz .LBB917_664
; %bb.562:                              ;   in Loop: Header=BB917_558 Depth=2
	s_wait_alu 0xfffe
	s_or_b32 exec_lo, exec_lo, s15
	s_delay_alu instid0(SALU_CYCLE_1)
	s_mov_b32 s15, exec_lo
	v_cmpx_gt_u32_e64 s43, v71
	s_cbranch_execnz .LBB917_665
.LBB917_563:                            ;   in Loop: Header=BB917_558 Depth=2
	s_wait_alu 0xfffe
	s_or_b32 exec_lo, exec_lo, s15
	s_delay_alu instid0(SALU_CYCLE_1)
	s_mov_b32 s15, exec_lo
	v_cmpx_gt_u32_e64 s43, v72
	s_cbranch_execnz .LBB917_666
.LBB917_564:                            ;   in Loop: Header=BB917_558 Depth=2
	s_wait_alu 0xfffe
	s_or_b32 exec_lo, exec_lo, s15
	s_delay_alu instid0(SALU_CYCLE_1)
	s_mov_b32 s15, exec_lo
	v_cmpx_gt_u32_e64 s43, v73
	s_cbranch_execnz .LBB917_667
.LBB917_565:                            ;   in Loop: Header=BB917_558 Depth=2
	s_wait_alu 0xfffe
	s_or_b32 exec_lo, exec_lo, s15
	s_delay_alu instid0(SALU_CYCLE_1)
	s_mov_b32 s15, exec_lo
	v_cmpx_gt_u32_e64 s43, v74
	s_cbranch_execnz .LBB917_668
.LBB917_566:                            ;   in Loop: Header=BB917_558 Depth=2
	s_wait_alu 0xfffe
	s_or_b32 exec_lo, exec_lo, s15
	s_delay_alu instid0(SALU_CYCLE_1)
	s_mov_b32 s15, exec_lo
	v_cmpx_gt_u32_e64 s43, v75
	s_cbranch_execnz .LBB917_669
.LBB917_567:                            ;   in Loop: Header=BB917_558 Depth=2
	s_wait_alu 0xfffe
	s_or_b32 exec_lo, exec_lo, s15
	s_delay_alu instid0(SALU_CYCLE_1)
	s_mov_b32 s15, exec_lo
	v_cmpx_gt_u32_e64 s43, v76
	s_cbranch_execz .LBB917_569
.LBB917_568:                            ;   in Loop: Header=BB917_558 Depth=2
	global_load_d16_b16 v8, v[24:25], off offset:384
.LBB917_569:                            ;   in Loop: Header=BB917_558 Depth=2
	s_wait_alu 0xfffe
	s_or_b32 exec_lo, exec_lo, s15
	v_cmp_gt_u32_e64 s15, s43, v77
	s_sub_co_i32 s16, s34, s30
.LBB917_570:                            ;   in Loop: Header=BB917_558 Depth=2
	v_mov_b32_e32 v98, s43
	s_and_saveexec_b32 s17, s15
	s_cbranch_execz .LBB917_572
; %bb.571:                              ;   in Loop: Header=BB917_558 Depth=2
	s_lshl_b64 s[18:19], s[30:31], 1
	s_wait_alu 0xfffe
	v_mov_b32_e32 v98, s16
	v_add_co_u32 v24, vcc_lo, v87, s18
	s_wait_alu 0xfffd
	v_add_co_ci_u32_e64 v25, null, s19, v88, vcc_lo
	s_wait_loadcnt 0x0
	global_load_d16_hi_b16 v8, v[24:25], off offset:448
.LBB917_572:                            ;   in Loop: Header=BB917_558 Depth=2
	s_wait_alu 0xfffe
	s_or_b32 exec_lo, exec_lo, s17
	s_wait_loadcnt 0x0
	v_xor_b32_e32 v0, 0x7fff, v5
	s_delay_alu instid0(VALU_DEP_1) | instskip(NEXT) | instid1(VALU_DEP_1)
	v_and_b32_e32 v24, 0xffff, v0
	v_lshrrev_b32_e32 v24, s45, v24
	s_delay_alu instid0(VALU_DEP_1) | instskip(NEXT) | instid1(VALU_DEP_1)
	v_and_b32_e32 v25, s42, v24
	v_and_b32_e32 v24, 1, v25
	v_lshlrev_b32_e32 v26, 30, v25
	v_lshlrev_b32_e32 v27, 29, v25
	;; [unrolled: 1-line block ×4, first 2 shown]
	v_add_co_u32 v24, s15, v24, -1
	s_wait_alu 0xf1ff
	v_cndmask_b32_e64 v100, 0, 1, s15
	v_not_b32_e32 v104, v26
	v_cmp_gt_i32_e64 s15, 0, v26
	v_not_b32_e32 v26, v27
	v_lshlrev_b32_e32 v102, 26, v25
	v_cmp_ne_u32_e32 vcc_lo, 0, v100
	v_ashrrev_i32_e32 v104, 31, v104
	v_lshlrev_b32_e32 v103, 25, v25
	v_ashrrev_i32_e32 v26, 31, v26
	v_lshlrev_b32_e32 v100, 24, v25
	s_wait_alu 0xfffd
	v_xor_b32_e32 v24, vcc_lo, v24
	v_cmp_gt_i32_e32 vcc_lo, 0, v27
	v_not_b32_e32 v27, v99
	s_wait_alu 0xf1ff
	v_xor_b32_e32 v104, s15, v104
	v_cmp_gt_i32_e64 s15, 0, v99
	v_and_b32_e32 v24, exec_lo, v24
	v_not_b32_e32 v99, v101
	v_ashrrev_i32_e32 v27, 31, v27
	s_wait_alu 0xfffd
	v_xor_b32_e32 v26, vcc_lo, v26
	v_cmp_gt_i32_e32 vcc_lo, 0, v101
	v_and_b32_e32 v24, v24, v104
	v_not_b32_e32 v101, v102
	v_ashrrev_i32_e32 v99, 31, v99
	s_wait_alu 0xf1ff
	v_xor_b32_e32 v27, s15, v27
	v_cmp_gt_i32_e64 s15, 0, v102
	v_and_b32_e32 v24, v24, v26
	v_not_b32_e32 v26, v103
	v_ashrrev_i32_e32 v101, 31, v101
	s_wait_alu 0xfffd
	v_xor_b32_e32 v99, vcc_lo, v99
	v_cmp_gt_i32_e32 vcc_lo, 0, v103
	v_and_b32_e32 v24, v24, v27
	v_not_b32_e32 v27, v100
	v_ashrrev_i32_e32 v26, 31, v26
	s_wait_alu 0xf1ff
	v_xor_b32_e32 v101, s15, v101
	v_cmp_gt_i32_e64 s15, 0, v100
	v_and_b32_e32 v24, v24, v99
	v_ashrrev_i32_e32 v27, 31, v27
	s_wait_alu 0xfffd
	v_xor_b32_e32 v26, vcc_lo, v26
	v_mul_u32_u24_e32 v25, 36, v25
	v_add_nc_u32_e32 v102, 0x420, v43
	v_and_b32_e32 v24, v24, v101
	s_wait_alu 0xf1ff
	v_xor_b32_e32 v27, s15, v27
	v_add_nc_u32_e32 v101, 0x438, v43
	v_add_nc_u32_e32 v103, 0x428, v43
	;; [unrolled: 1-line block ×3, first 2 shown]
	v_and_b32_e32 v24, v24, v26
	v_add_nc_u32_e32 v105, v89, v25
	ds_store_2addr_b32 v101, v1, v1 offset1:1
	ds_store_2addr_b32 v102, v1, v1 offset1:1
	;; [unrolled: 1-line block ×4, first 2 shown]
	ds_store_b32 v43, v1 offset:1088
	s_wait_dscnt 0x0
	v_and_b32_e32 v24, v24, v27
	s_barrier_signal -1
	s_barrier_wait -1
	global_inv scope:SCOPE_SE
	v_mbcnt_lo_u32_b32 v99, v24, 0
	v_cmp_ne_u32_e64 s15, 0, v24
	; wave barrier
	s_delay_alu instid0(VALU_DEP_2)
	v_cmp_eq_u32_e32 vcc_lo, 0, v99
	s_and_b32 s16, s15, vcc_lo
	s_wait_alu 0xfffe
	s_and_saveexec_b32 s15, s16
; %bb.573:                              ;   in Loop: Header=BB917_558 Depth=2
	v_bcnt_u32_b32 v24, v24, 0
	ds_store_b32 v105, v24 offset:1056
; %bb.574:                              ;   in Loop: Header=BB917_558 Depth=2
	s_wait_alu 0xfffe
	s_or_b32 exec_lo, exec_lo, s15
	v_lshrrev_b32_e32 v5, 16, v5
	; wave barrier
	s_delay_alu instid0(VALU_DEP_1) | instskip(NEXT) | instid1(VALU_DEP_1)
	v_xor_b32_e32 v100, 0x7fff, v5
	v_and_b32_e32 v5, 0xffff, v100
	s_delay_alu instid0(VALU_DEP_1) | instskip(NEXT) | instid1(VALU_DEP_1)
	v_lshrrev_b32_e32 v5, s45, v5
	v_and_b32_e32 v24, s42, v5
	s_delay_alu instid0(VALU_DEP_1)
	v_and_b32_e32 v5, 1, v24
	v_lshlrev_b32_e32 v25, 30, v24
	v_lshlrev_b32_e32 v26, 29, v24
	;; [unrolled: 1-line block ×4, first 2 shown]
	v_add_co_u32 v5, s15, v5, -1
	s_wait_alu 0xf1ff
	v_cndmask_b32_e64 v106, 0, 1, s15
	v_not_b32_e32 v110, v25
	v_cmp_gt_i32_e64 s15, 0, v25
	v_not_b32_e32 v25, v26
	v_lshlrev_b32_e32 v108, 26, v24
	v_cmp_ne_u32_e32 vcc_lo, 0, v106
	v_ashrrev_i32_e32 v110, 31, v110
	v_lshlrev_b32_e32 v109, 25, v24
	v_ashrrev_i32_e32 v25, 31, v25
	v_lshlrev_b32_e32 v106, 24, v24
	s_wait_alu 0xfffd
	v_xor_b32_e32 v5, vcc_lo, v5
	v_cmp_gt_i32_e32 vcc_lo, 0, v26
	v_not_b32_e32 v26, v27
	s_wait_alu 0xf1ff
	v_xor_b32_e32 v110, s15, v110
	v_cmp_gt_i32_e64 s15, 0, v27
	v_and_b32_e32 v5, exec_lo, v5
	v_not_b32_e32 v27, v107
	v_ashrrev_i32_e32 v26, 31, v26
	s_wait_alu 0xfffd
	v_xor_b32_e32 v25, vcc_lo, v25
	v_cmp_gt_i32_e32 vcc_lo, 0, v107
	v_and_b32_e32 v5, v5, v110
	v_not_b32_e32 v107, v108
	v_ashrrev_i32_e32 v27, 31, v27
	s_wait_alu 0xf1ff
	v_xor_b32_e32 v26, s15, v26
	v_cmp_gt_i32_e64 s15, 0, v108
	v_and_b32_e32 v5, v5, v25
	v_not_b32_e32 v25, v109
	v_ashrrev_i32_e32 v107, 31, v107
	s_wait_alu 0xfffd
	v_xor_b32_e32 v27, vcc_lo, v27
	v_cmp_gt_i32_e32 vcc_lo, 0, v109
	v_and_b32_e32 v5, v5, v26
	v_not_b32_e32 v26, v106
	v_ashrrev_i32_e32 v25, 31, v25
	s_wait_alu 0xf1ff
	v_xor_b32_e32 v107, s15, v107
	v_cmp_gt_i32_e64 s15, 0, v106
	v_and_b32_e32 v5, v5, v27
	v_ashrrev_i32_e32 v26, 31, v26
	s_wait_alu 0xfffd
	v_xor_b32_e32 v25, vcc_lo, v25
	v_mad_u32_u24 v27, v24, 36, v89
	v_mul_u32_u24_e32 v24, 36, v24
	v_and_b32_e32 v5, v5, v107
	s_wait_alu 0xf1ff
	v_xor_b32_e32 v26, s15, v26
	ds_load_b32 v106, v27 offset:1056
	v_add_nc_u32_e32 v109, v89, v24
	v_and_b32_e32 v5, v5, v25
	; wave barrier
	s_delay_alu instid0(VALU_DEP_1) | instskip(NEXT) | instid1(VALU_DEP_1)
	v_and_b32_e32 v5, v5, v26
	v_mbcnt_lo_u32_b32 v107, v5, 0
	v_cmp_ne_u32_e64 s15, 0, v5
	s_delay_alu instid0(VALU_DEP_2)
	v_cmp_eq_u32_e32 vcc_lo, 0, v107
	s_and_b32 s16, s15, vcc_lo
	s_wait_alu 0xfffe
	s_and_saveexec_b32 s15, s16
	s_cbranch_execz .LBB917_576
; %bb.575:                              ;   in Loop: Header=BB917_558 Depth=2
	s_wait_dscnt 0x0
	v_bcnt_u32_b32 v5, v5, v106
	ds_store_b32 v109, v5 offset:1056
.LBB917_576:                            ;   in Loop: Header=BB917_558 Depth=2
	s_wait_alu 0xfffe
	s_or_b32 exec_lo, exec_lo, s15
	v_xor_b32_e32 v108, 0x7fff, v6
	; wave barrier
	s_delay_alu instid0(VALU_DEP_1) | instskip(NEXT) | instid1(VALU_DEP_1)
	v_and_b32_e32 v5, 0xffff, v108
	v_lshrrev_b32_e32 v5, s45, v5
	s_delay_alu instid0(VALU_DEP_1) | instskip(NEXT) | instid1(VALU_DEP_1)
	v_and_b32_e32 v24, s42, v5
	v_and_b32_e32 v5, 1, v24
	v_lshlrev_b32_e32 v25, 30, v24
	v_lshlrev_b32_e32 v26, 29, v24
	;; [unrolled: 1-line block ×4, first 2 shown]
	v_add_co_u32 v5, s15, v5, -1
	s_wait_alu 0xf1ff
	v_cndmask_b32_e64 v110, 0, 1, s15
	v_not_b32_e32 v114, v25
	v_cmp_gt_i32_e64 s15, 0, v25
	v_not_b32_e32 v25, v26
	v_lshlrev_b32_e32 v112, 26, v24
	v_cmp_ne_u32_e32 vcc_lo, 0, v110
	v_ashrrev_i32_e32 v114, 31, v114
	v_lshlrev_b32_e32 v113, 25, v24
	v_ashrrev_i32_e32 v25, 31, v25
	v_lshlrev_b32_e32 v110, 24, v24
	s_wait_alu 0xfffd
	v_xor_b32_e32 v5, vcc_lo, v5
	v_cmp_gt_i32_e32 vcc_lo, 0, v26
	v_not_b32_e32 v26, v27
	s_wait_alu 0xf1ff
	v_xor_b32_e32 v114, s15, v114
	v_cmp_gt_i32_e64 s15, 0, v27
	v_and_b32_e32 v5, exec_lo, v5
	v_not_b32_e32 v27, v111
	v_ashrrev_i32_e32 v26, 31, v26
	s_wait_alu 0xfffd
	v_xor_b32_e32 v25, vcc_lo, v25
	v_cmp_gt_i32_e32 vcc_lo, 0, v111
	v_and_b32_e32 v5, v5, v114
	v_not_b32_e32 v111, v112
	v_ashrrev_i32_e32 v27, 31, v27
	s_wait_alu 0xf1ff
	v_xor_b32_e32 v26, s15, v26
	v_cmp_gt_i32_e64 s15, 0, v112
	v_and_b32_e32 v5, v5, v25
	v_not_b32_e32 v25, v113
	v_ashrrev_i32_e32 v111, 31, v111
	s_wait_alu 0xfffd
	v_xor_b32_e32 v27, vcc_lo, v27
	v_cmp_gt_i32_e32 vcc_lo, 0, v113
	v_and_b32_e32 v5, v5, v26
	v_not_b32_e32 v26, v110
	v_ashrrev_i32_e32 v25, 31, v25
	s_wait_alu 0xf1ff
	v_xor_b32_e32 v111, s15, v111
	v_cmp_gt_i32_e64 s15, 0, v110
	v_and_b32_e32 v5, v5, v27
	v_ashrrev_i32_e32 v26, 31, v26
	s_wait_alu 0xfffd
	v_xor_b32_e32 v25, vcc_lo, v25
	v_mad_u32_u24 v27, v24, 36, v89
	v_mul_u32_u24_e32 v24, 36, v24
	v_and_b32_e32 v5, v5, v111
	s_wait_alu 0xf1ff
	v_xor_b32_e32 v26, s15, v26
	ds_load_b32 v110, v27 offset:1056
	v_add_nc_u32_e32 v113, v89, v24
	v_and_b32_e32 v5, v5, v25
	; wave barrier
	s_delay_alu instid0(VALU_DEP_1) | instskip(NEXT) | instid1(VALU_DEP_1)
	v_and_b32_e32 v5, v5, v26
	v_mbcnt_lo_u32_b32 v112, v5, 0
	v_cmp_ne_u32_e64 s15, 0, v5
	s_delay_alu instid0(VALU_DEP_2)
	v_cmp_eq_u32_e32 vcc_lo, 0, v112
	s_and_b32 s16, s15, vcc_lo
	s_wait_alu 0xfffe
	s_and_saveexec_b32 s15, s16
	s_cbranch_execz .LBB917_578
; %bb.577:                              ;   in Loop: Header=BB917_558 Depth=2
	s_wait_dscnt 0x0
	v_bcnt_u32_b32 v5, v5, v110
	ds_store_b32 v113, v5 offset:1056
.LBB917_578:                            ;   in Loop: Header=BB917_558 Depth=2
	s_wait_alu 0xfffe
	s_or_b32 exec_lo, exec_lo, s15
	v_lshrrev_b32_e32 v5, 16, v6
	; wave barrier
	s_delay_alu instid0(VALU_DEP_1) | instskip(NEXT) | instid1(VALU_DEP_1)
	v_xor_b32_e32 v111, 0x7fff, v5
	v_and_b32_e32 v5, 0xffff, v111
	s_delay_alu instid0(VALU_DEP_1) | instskip(NEXT) | instid1(VALU_DEP_1)
	v_lshrrev_b32_e32 v5, s45, v5
	v_and_b32_e32 v6, s42, v5
	s_delay_alu instid0(VALU_DEP_1)
	v_and_b32_e32 v5, 1, v6
	v_lshlrev_b32_e32 v24, 30, v6
	v_lshlrev_b32_e32 v25, 29, v6
	;; [unrolled: 1-line block ×4, first 2 shown]
	v_add_co_u32 v5, s15, v5, -1
	s_wait_alu 0xf1ff
	v_cndmask_b32_e64 v27, 0, 1, s15
	v_not_b32_e32 v117, v24
	v_cmp_gt_i32_e64 s15, 0, v24
	v_not_b32_e32 v24, v25
	v_lshlrev_b32_e32 v115, 26, v6
	v_cmp_ne_u32_e32 vcc_lo, 0, v27
	v_ashrrev_i32_e32 v117, 31, v117
	v_lshlrev_b32_e32 v116, 25, v6
	v_ashrrev_i32_e32 v24, 31, v24
	v_lshlrev_b32_e32 v27, 24, v6
	s_wait_alu 0xfffd
	v_xor_b32_e32 v5, vcc_lo, v5
	v_cmp_gt_i32_e32 vcc_lo, 0, v25
	v_not_b32_e32 v25, v26
	s_wait_alu 0xf1ff
	v_xor_b32_e32 v117, s15, v117
	v_cmp_gt_i32_e64 s15, 0, v26
	v_and_b32_e32 v5, exec_lo, v5
	v_not_b32_e32 v26, v114
	v_ashrrev_i32_e32 v25, 31, v25
	s_wait_alu 0xfffd
	v_xor_b32_e32 v24, vcc_lo, v24
	v_cmp_gt_i32_e32 vcc_lo, 0, v114
	v_and_b32_e32 v5, v5, v117
	v_not_b32_e32 v114, v115
	v_ashrrev_i32_e32 v26, 31, v26
	s_wait_alu 0xf1ff
	v_xor_b32_e32 v25, s15, v25
	v_cmp_gt_i32_e64 s15, 0, v115
	v_and_b32_e32 v5, v5, v24
	v_not_b32_e32 v24, v116
	v_ashrrev_i32_e32 v114, 31, v114
	s_wait_alu 0xfffd
	v_xor_b32_e32 v26, vcc_lo, v26
	v_cmp_gt_i32_e32 vcc_lo, 0, v116
	v_and_b32_e32 v5, v5, v25
	v_not_b32_e32 v25, v27
	v_ashrrev_i32_e32 v24, 31, v24
	s_wait_alu 0xf1ff
	v_xor_b32_e32 v114, s15, v114
	v_cmp_gt_i32_e64 s15, 0, v27
	v_and_b32_e32 v5, v5, v26
	v_ashrrev_i32_e32 v25, 31, v25
	s_wait_alu 0xfffd
	v_xor_b32_e32 v24, vcc_lo, v24
	v_mad_u32_u24 v26, v6, 36, v89
	v_mul_u32_u24_e32 v6, 36, v6
	v_and_b32_e32 v5, v5, v114
	s_wait_alu 0xf1ff
	v_xor_b32_e32 v25, s15, v25
	ds_load_b32 v114, v26 offset:1056
	v_add_nc_u32_e32 v117, v89, v6
	v_and_b32_e32 v5, v5, v24
	; wave barrier
	s_delay_alu instid0(VALU_DEP_1) | instskip(NEXT) | instid1(VALU_DEP_1)
	v_and_b32_e32 v5, v5, v25
	v_mbcnt_lo_u32_b32 v116, v5, 0
	v_cmp_ne_u32_e64 s15, 0, v5
	s_delay_alu instid0(VALU_DEP_2)
	v_cmp_eq_u32_e32 vcc_lo, 0, v116
	s_and_b32 s16, s15, vcc_lo
	s_wait_alu 0xfffe
	s_and_saveexec_b32 s15, s16
	s_cbranch_execz .LBB917_580
; %bb.579:                              ;   in Loop: Header=BB917_558 Depth=2
	s_wait_dscnt 0x0
	v_bcnt_u32_b32 v5, v5, v114
	ds_store_b32 v117, v5 offset:1056
.LBB917_580:                            ;   in Loop: Header=BB917_558 Depth=2
	s_wait_alu 0xfffe
	s_or_b32 exec_lo, exec_lo, s15
	v_xor_b32_e32 v115, 0x7fff, v7
	; wave barrier
	s_delay_alu instid0(VALU_DEP_1) | instskip(NEXT) | instid1(VALU_DEP_1)
	v_and_b32_e32 v5, 0xffff, v115
	v_lshrrev_b32_e32 v5, s45, v5
	s_delay_alu instid0(VALU_DEP_1) | instskip(NEXT) | instid1(VALU_DEP_1)
	v_and_b32_e32 v6, s42, v5
	v_and_b32_e32 v5, 1, v6
	v_lshlrev_b32_e32 v24, 30, v6
	v_lshlrev_b32_e32 v25, 29, v6
	;; [unrolled: 1-line block ×4, first 2 shown]
	v_add_co_u32 v5, s15, v5, -1
	s_wait_alu 0xf1ff
	v_cndmask_b32_e64 v27, 0, 1, s15
	v_not_b32_e32 v121, v24
	v_cmp_gt_i32_e64 s15, 0, v24
	v_not_b32_e32 v24, v25
	v_lshlrev_b32_e32 v119, 26, v6
	v_cmp_ne_u32_e32 vcc_lo, 0, v27
	v_ashrrev_i32_e32 v121, 31, v121
	v_lshlrev_b32_e32 v120, 25, v6
	v_ashrrev_i32_e32 v24, 31, v24
	v_lshlrev_b32_e32 v27, 24, v6
	s_wait_alu 0xfffd
	v_xor_b32_e32 v5, vcc_lo, v5
	v_cmp_gt_i32_e32 vcc_lo, 0, v25
	v_not_b32_e32 v25, v26
	s_wait_alu 0xf1ff
	v_xor_b32_e32 v121, s15, v121
	v_cmp_gt_i32_e64 s15, 0, v26
	v_and_b32_e32 v5, exec_lo, v5
	v_not_b32_e32 v26, v118
	v_ashrrev_i32_e32 v25, 31, v25
	s_wait_alu 0xfffd
	v_xor_b32_e32 v24, vcc_lo, v24
	v_cmp_gt_i32_e32 vcc_lo, 0, v118
	v_and_b32_e32 v5, v5, v121
	v_not_b32_e32 v118, v119
	v_ashrrev_i32_e32 v26, 31, v26
	s_wait_alu 0xf1ff
	v_xor_b32_e32 v25, s15, v25
	v_cmp_gt_i32_e64 s15, 0, v119
	v_and_b32_e32 v5, v5, v24
	v_not_b32_e32 v24, v120
	v_ashrrev_i32_e32 v118, 31, v118
	s_wait_alu 0xfffd
	v_xor_b32_e32 v26, vcc_lo, v26
	v_cmp_gt_i32_e32 vcc_lo, 0, v120
	v_and_b32_e32 v5, v5, v25
	v_not_b32_e32 v25, v27
	v_ashrrev_i32_e32 v24, 31, v24
	s_wait_alu 0xf1ff
	v_xor_b32_e32 v118, s15, v118
	v_cmp_gt_i32_e64 s15, 0, v27
	v_and_b32_e32 v5, v5, v26
	v_ashrrev_i32_e32 v25, 31, v25
	s_wait_alu 0xfffd
	v_xor_b32_e32 v24, vcc_lo, v24
	v_mad_u32_u24 v26, v6, 36, v89
	v_mul_u32_u24_e32 v6, 36, v6
	v_and_b32_e32 v5, v5, v118
	s_wait_alu 0xf1ff
	v_xor_b32_e32 v25, s15, v25
	ds_load_b32 v118, v26 offset:1056
	v_add_nc_u32_e32 v121, v89, v6
	v_and_b32_e32 v5, v5, v24
	; wave barrier
	s_delay_alu instid0(VALU_DEP_1) | instskip(NEXT) | instid1(VALU_DEP_1)
	v_and_b32_e32 v5, v5, v25
	v_mbcnt_lo_u32_b32 v120, v5, 0
	v_cmp_ne_u32_e64 s15, 0, v5
	s_delay_alu instid0(VALU_DEP_2)
	v_cmp_eq_u32_e32 vcc_lo, 0, v120
	s_and_b32 s16, s15, vcc_lo
	s_wait_alu 0xfffe
	s_and_saveexec_b32 s15, s16
	s_cbranch_execz .LBB917_582
; %bb.581:                              ;   in Loop: Header=BB917_558 Depth=2
	s_wait_dscnt 0x0
	v_bcnt_u32_b32 v5, v5, v118
	ds_store_b32 v121, v5 offset:1056
.LBB917_582:                            ;   in Loop: Header=BB917_558 Depth=2
	s_wait_alu 0xfffe
	s_or_b32 exec_lo, exec_lo, s15
	v_lshrrev_b32_e32 v5, 16, v7
	; wave barrier
	s_delay_alu instid0(VALU_DEP_1) | instskip(NEXT) | instid1(VALU_DEP_1)
	v_xor_b32_e32 v119, 0x7fff, v5
	v_and_b32_e32 v5, 0xffff, v119
	s_delay_alu instid0(VALU_DEP_1) | instskip(NEXT) | instid1(VALU_DEP_1)
	v_lshrrev_b32_e32 v5, s45, v5
	v_and_b32_e32 v6, s42, v5
	s_delay_alu instid0(VALU_DEP_1)
	v_and_b32_e32 v5, 1, v6
	v_lshlrev_b32_e32 v7, 30, v6
	v_lshlrev_b32_e32 v24, 29, v6
	;; [unrolled: 1-line block ×4, first 2 shown]
	v_add_co_u32 v5, s15, v5, -1
	s_wait_alu 0xf1ff
	v_cndmask_b32_e64 v26, 0, 1, s15
	v_not_b32_e32 v124, v7
	v_cmp_gt_i32_e64 s15, 0, v7
	v_not_b32_e32 v7, v24
	v_lshlrev_b32_e32 v122, 26, v6
	v_cmp_ne_u32_e32 vcc_lo, 0, v26
	v_ashrrev_i32_e32 v124, 31, v124
	v_lshlrev_b32_e32 v123, 25, v6
	v_ashrrev_i32_e32 v7, 31, v7
	v_lshlrev_b32_e32 v26, 24, v6
	s_wait_alu 0xfffd
	v_xor_b32_e32 v5, vcc_lo, v5
	v_cmp_gt_i32_e32 vcc_lo, 0, v24
	v_not_b32_e32 v24, v25
	s_wait_alu 0xf1ff
	v_xor_b32_e32 v124, s15, v124
	v_cmp_gt_i32_e64 s15, 0, v25
	v_and_b32_e32 v5, exec_lo, v5
	v_not_b32_e32 v25, v27
	v_ashrrev_i32_e32 v24, 31, v24
	s_wait_alu 0xfffd
	v_xor_b32_e32 v7, vcc_lo, v7
	v_cmp_gt_i32_e32 vcc_lo, 0, v27
	v_and_b32_e32 v5, v5, v124
	v_not_b32_e32 v27, v122
	v_ashrrev_i32_e32 v25, 31, v25
	s_wait_alu 0xf1ff
	v_xor_b32_e32 v24, s15, v24
	v_cmp_gt_i32_e64 s15, 0, v122
	v_and_b32_e32 v5, v5, v7
	v_not_b32_e32 v7, v123
	v_ashrrev_i32_e32 v27, 31, v27
	s_wait_alu 0xfffd
	v_xor_b32_e32 v25, vcc_lo, v25
	v_cmp_gt_i32_e32 vcc_lo, 0, v123
	v_and_b32_e32 v5, v5, v24
	v_not_b32_e32 v24, v26
	v_ashrrev_i32_e32 v7, 31, v7
	s_wait_alu 0xf1ff
	v_xor_b32_e32 v27, s15, v27
	v_cmp_gt_i32_e64 s15, 0, v26
	v_and_b32_e32 v5, v5, v25
	v_ashrrev_i32_e32 v24, 31, v24
	s_wait_alu 0xfffd
	v_xor_b32_e32 v7, vcc_lo, v7
	v_mad_u32_u24 v25, v6, 36, v89
	v_mul_u32_u24_e32 v6, 36, v6
	v_and_b32_e32 v5, v5, v27
	s_wait_alu 0xf1ff
	v_xor_b32_e32 v24, s15, v24
	ds_load_b32 v122, v25 offset:1056
	v_add_nc_u32_e32 v125, v89, v6
	v_and_b32_e32 v5, v5, v7
	; wave barrier
	s_delay_alu instid0(VALU_DEP_1) | instskip(NEXT) | instid1(VALU_DEP_1)
	v_and_b32_e32 v5, v5, v24
	v_mbcnt_lo_u32_b32 v124, v5, 0
	v_cmp_ne_u32_e64 s15, 0, v5
	s_delay_alu instid0(VALU_DEP_2)
	v_cmp_eq_u32_e32 vcc_lo, 0, v124
	s_and_b32 s16, s15, vcc_lo
	s_wait_alu 0xfffe
	s_and_saveexec_b32 s15, s16
	s_cbranch_execz .LBB917_584
; %bb.583:                              ;   in Loop: Header=BB917_558 Depth=2
	s_wait_dscnt 0x0
	v_bcnt_u32_b32 v5, v5, v122
	ds_store_b32 v125, v5 offset:1056
.LBB917_584:                            ;   in Loop: Header=BB917_558 Depth=2
	s_wait_alu 0xfffe
	s_or_b32 exec_lo, exec_lo, s15
	v_xor_b32_e32 v123, 0x7fff, v8
	; wave barrier
	s_delay_alu instid0(VALU_DEP_1) | instskip(NEXT) | instid1(VALU_DEP_1)
	v_and_b32_e32 v5, 0xffff, v123
	v_lshrrev_b32_e32 v5, s45, v5
	s_delay_alu instid0(VALU_DEP_1) | instskip(NEXT) | instid1(VALU_DEP_1)
	v_and_b32_e32 v6, s42, v5
	v_and_b32_e32 v5, 1, v6
	v_lshlrev_b32_e32 v7, 30, v6
	v_lshlrev_b32_e32 v24, 29, v6
	v_lshlrev_b32_e32 v25, 28, v6
	v_lshlrev_b32_e32 v27, 27, v6
	v_add_co_u32 v5, s15, v5, -1
	s_wait_alu 0xf1ff
	v_cndmask_b32_e64 v26, 0, 1, s15
	v_not_b32_e32 v128, v7
	v_cmp_gt_i32_e64 s15, 0, v7
	v_not_b32_e32 v7, v24
	v_lshlrev_b32_e32 v126, 26, v6
	v_cmp_ne_u32_e32 vcc_lo, 0, v26
	v_ashrrev_i32_e32 v128, 31, v128
	v_lshlrev_b32_e32 v127, 25, v6
	v_ashrrev_i32_e32 v7, 31, v7
	v_lshlrev_b32_e32 v26, 24, v6
	s_wait_alu 0xfffd
	v_xor_b32_e32 v5, vcc_lo, v5
	v_cmp_gt_i32_e32 vcc_lo, 0, v24
	v_not_b32_e32 v24, v25
	s_wait_alu 0xf1ff
	v_xor_b32_e32 v128, s15, v128
	v_cmp_gt_i32_e64 s15, 0, v25
	v_and_b32_e32 v5, exec_lo, v5
	v_not_b32_e32 v25, v27
	v_ashrrev_i32_e32 v24, 31, v24
	s_wait_alu 0xfffd
	v_xor_b32_e32 v7, vcc_lo, v7
	v_cmp_gt_i32_e32 vcc_lo, 0, v27
	v_and_b32_e32 v5, v5, v128
	v_not_b32_e32 v27, v126
	v_ashrrev_i32_e32 v25, 31, v25
	s_wait_alu 0xf1ff
	v_xor_b32_e32 v24, s15, v24
	v_cmp_gt_i32_e64 s15, 0, v126
	v_and_b32_e32 v5, v5, v7
	v_not_b32_e32 v7, v127
	v_ashrrev_i32_e32 v27, 31, v27
	s_wait_alu 0xfffd
	v_xor_b32_e32 v25, vcc_lo, v25
	v_cmp_gt_i32_e32 vcc_lo, 0, v127
	v_and_b32_e32 v5, v5, v24
	v_not_b32_e32 v24, v26
	v_ashrrev_i32_e32 v7, 31, v7
	s_wait_alu 0xf1ff
	v_xor_b32_e32 v27, s15, v27
	v_cmp_gt_i32_e64 s15, 0, v26
	v_and_b32_e32 v5, v5, v25
	v_ashrrev_i32_e32 v24, 31, v24
	s_wait_alu 0xfffd
	v_xor_b32_e32 v7, vcc_lo, v7
	v_mad_u32_u24 v25, v6, 36, v89
	v_mul_u32_u24_e32 v6, 36, v6
	v_and_b32_e32 v5, v5, v27
	s_wait_alu 0xf1ff
	v_xor_b32_e32 v24, s15, v24
	ds_load_b32 v126, v25 offset:1056
	v_add_nc_u32_e32 v129, v89, v6
	v_and_b32_e32 v5, v5, v7
	; wave barrier
	s_delay_alu instid0(VALU_DEP_1) | instskip(NEXT) | instid1(VALU_DEP_1)
	v_and_b32_e32 v5, v5, v24
	v_mbcnt_lo_u32_b32 v127, v5, 0
	v_cmp_ne_u32_e64 s15, 0, v5
	s_delay_alu instid0(VALU_DEP_2)
	v_cmp_eq_u32_e32 vcc_lo, 0, v127
	s_and_b32 s16, s15, vcc_lo
	s_wait_alu 0xfffe
	s_and_saveexec_b32 s15, s16
	s_cbranch_execz .LBB917_586
; %bb.585:                              ;   in Loop: Header=BB917_558 Depth=2
	s_wait_dscnt 0x0
	v_bcnt_u32_b32 v5, v5, v126
	ds_store_b32 v129, v5 offset:1056
.LBB917_586:                            ;   in Loop: Header=BB917_558 Depth=2
	s_wait_alu 0xfffe
	s_or_b32 exec_lo, exec_lo, s15
	v_lshrrev_b32_e32 v5, 16, v8
	; wave barrier
	s_delay_alu instid0(VALU_DEP_1) | instskip(NEXT) | instid1(VALU_DEP_1)
	v_xor_b32_e32 v128, 0x7fff, v5
	v_and_b32_e32 v5, 0xffff, v128
	s_delay_alu instid0(VALU_DEP_1) | instskip(NEXT) | instid1(VALU_DEP_1)
	v_lshrrev_b32_e32 v5, s45, v5
	v_and_b32_e32 v6, s42, v5
	s_delay_alu instid0(VALU_DEP_1)
	v_and_b32_e32 v5, 1, v6
	v_lshlrev_b32_e32 v7, 30, v6
	v_lshlrev_b32_e32 v8, 29, v6
	;; [unrolled: 1-line block ×4, first 2 shown]
	v_add_co_u32 v5, s15, v5, -1
	s_wait_alu 0xf1ff
	v_cndmask_b32_e64 v25, 0, 1, s15
	v_not_b32_e32 v131, v7
	v_cmp_gt_i32_e64 s15, 0, v7
	v_not_b32_e32 v7, v8
	v_lshlrev_b32_e32 v27, 26, v6
	v_cmp_ne_u32_e32 vcc_lo, 0, v25
	v_ashrrev_i32_e32 v131, 31, v131
	v_lshlrev_b32_e32 v130, 25, v6
	v_ashrrev_i32_e32 v7, 31, v7
	v_lshlrev_b32_e32 v25, 24, v6
	s_wait_alu 0xfffd
	v_xor_b32_e32 v5, vcc_lo, v5
	v_cmp_gt_i32_e32 vcc_lo, 0, v8
	v_not_b32_e32 v8, v24
	s_wait_alu 0xf1ff
	v_xor_b32_e32 v131, s15, v131
	v_cmp_gt_i32_e64 s15, 0, v24
	v_and_b32_e32 v5, exec_lo, v5
	v_not_b32_e32 v24, v26
	v_ashrrev_i32_e32 v8, 31, v8
	s_wait_alu 0xfffd
	v_xor_b32_e32 v7, vcc_lo, v7
	v_cmp_gt_i32_e32 vcc_lo, 0, v26
	v_and_b32_e32 v5, v5, v131
	v_not_b32_e32 v26, v27
	v_ashrrev_i32_e32 v24, 31, v24
	s_wait_alu 0xf1ff
	v_xor_b32_e32 v8, s15, v8
	v_cmp_gt_i32_e64 s15, 0, v27
	v_and_b32_e32 v5, v5, v7
	v_not_b32_e32 v7, v130
	v_ashrrev_i32_e32 v26, 31, v26
	s_wait_alu 0xfffd
	v_xor_b32_e32 v24, vcc_lo, v24
	v_cmp_gt_i32_e32 vcc_lo, 0, v130
	v_and_b32_e32 v5, v5, v8
	v_not_b32_e32 v8, v25
	v_ashrrev_i32_e32 v7, 31, v7
	s_wait_alu 0xf1ff
	v_xor_b32_e32 v26, s15, v26
	v_cmp_gt_i32_e64 s15, 0, v25
	v_and_b32_e32 v5, v5, v24
	v_ashrrev_i32_e32 v8, 31, v8
	s_wait_alu 0xfffd
	v_xor_b32_e32 v7, vcc_lo, v7
	v_mad_u32_u24 v24, v6, 36, v89
	v_mul_u32_u24_e32 v6, 36, v6
	v_and_b32_e32 v5, v5, v26
	s_wait_alu 0xf1ff
	v_xor_b32_e32 v8, s15, v8
	ds_load_b32 v130, v24 offset:1056
	v_add_nc_u32_e32 v132, v89, v6
	v_and_b32_e32 v5, v5, v7
	; wave barrier
	s_delay_alu instid0(VALU_DEP_1) | instskip(NEXT) | instid1(VALU_DEP_1)
	v_and_b32_e32 v5, v5, v8
	v_mbcnt_lo_u32_b32 v131, v5, 0
	v_cmp_ne_u32_e64 s15, 0, v5
	s_delay_alu instid0(VALU_DEP_2)
	v_cmp_eq_u32_e32 vcc_lo, 0, v131
	s_and_b32 s16, s15, vcc_lo
	s_wait_alu 0xfffe
	s_and_saveexec_b32 s15, s16
	s_cbranch_execz .LBB917_588
; %bb.587:                              ;   in Loop: Header=BB917_558 Depth=2
	s_wait_dscnt 0x0
	v_bcnt_u32_b32 v5, v5, v130
	ds_store_b32 v132, v5 offset:1056
.LBB917_588:                            ;   in Loop: Header=BB917_558 Depth=2
	s_wait_alu 0xfffe
	s_or_b32 exec_lo, exec_lo, s15
	; wave barrier
	s_wait_loadcnt_dscnt 0x0
	s_barrier_signal -1
	s_barrier_wait -1
	global_inv scope:SCOPE_SE
	ds_load_2addr_b32 v[26:27], v102 offset1:1
	ds_load_2addr_b32 v[24:25], v103 offset1:1
	ds_load_2addr_b32 v[7:8], v104 offset1:1
	ds_load_2addr_b32 v[5:6], v101 offset1:1
	ds_load_b32 v133, v43 offset:1088
	s_wait_dscnt 0x3
	v_add3_u32 v134, v27, v26, v24
	s_wait_dscnt 0x2
	s_delay_alu instid0(VALU_DEP_1) | instskip(SKIP_1) | instid1(VALU_DEP_1)
	v_add3_u32 v134, v134, v25, v7
	s_wait_dscnt 0x1
	v_add3_u32 v134, v134, v8, v5
	s_wait_dscnt 0x0
	s_delay_alu instid0(VALU_DEP_1) | instskip(NEXT) | instid1(VALU_DEP_1)
	v_add3_u32 v133, v134, v6, v133
	v_mov_b32_dpp v134, v133 row_shr:1 row_mask:0xf bank_mask:0xf
	s_delay_alu instid0(VALU_DEP_1) | instskip(NEXT) | instid1(VALU_DEP_1)
	v_cndmask_b32_e64 v134, v134, 0, s0
	v_add_nc_u32_e32 v133, v134, v133
	s_delay_alu instid0(VALU_DEP_1) | instskip(NEXT) | instid1(VALU_DEP_1)
	v_mov_b32_dpp v134, v133 row_shr:2 row_mask:0xf bank_mask:0xf
	v_cndmask_b32_e64 v134, 0, v134, s1
	s_delay_alu instid0(VALU_DEP_1) | instskip(NEXT) | instid1(VALU_DEP_1)
	v_add_nc_u32_e32 v133, v133, v134
	v_mov_b32_dpp v134, v133 row_shr:4 row_mask:0xf bank_mask:0xf
	s_delay_alu instid0(VALU_DEP_1) | instskip(NEXT) | instid1(VALU_DEP_1)
	v_cndmask_b32_e64 v134, 0, v134, s9
	v_add_nc_u32_e32 v133, v133, v134
	s_delay_alu instid0(VALU_DEP_1) | instskip(NEXT) | instid1(VALU_DEP_1)
	v_mov_b32_dpp v134, v133 row_shr:8 row_mask:0xf bank_mask:0xf
	v_cndmask_b32_e64 v134, 0, v134, s10
	s_delay_alu instid0(VALU_DEP_1) | instskip(SKIP_3) | instid1(VALU_DEP_1)
	v_add_nc_u32_e32 v133, v133, v134
	ds_swizzle_b32 v134, v133 offset:swizzle(BROADCAST,32,15)
	s_wait_dscnt 0x0
	v_cndmask_b32_e64 v134, v134, 0, s11
	v_add_nc_u32_e32 v133, v133, v134
	s_and_saveexec_b32 s15, s3
; %bb.589:                              ;   in Loop: Header=BB917_558 Depth=2
	ds_store_b32 v38, v133 offset:1024
; %bb.590:                              ;   in Loop: Header=BB917_558 Depth=2
	s_wait_alu 0xfffe
	s_or_b32 exec_lo, exec_lo, s15
	s_wait_loadcnt_dscnt 0x0
	s_barrier_signal -1
	s_barrier_wait -1
	global_inv scope:SCOPE_SE
	s_and_saveexec_b32 s15, s4
	s_cbranch_execz .LBB917_592
; %bb.591:                              ;   in Loop: Header=BB917_558 Depth=2
	ds_load_b32 v134, v47 offset:1024
	s_wait_dscnt 0x0
	v_mov_b32_dpp v135, v134 row_shr:1 row_mask:0xf bank_mask:0xf
	s_delay_alu instid0(VALU_DEP_1) | instskip(NEXT) | instid1(VALU_DEP_1)
	v_cndmask_b32_e64 v135, v135, 0, s12
	v_add_nc_u32_e32 v134, v135, v134
	s_delay_alu instid0(VALU_DEP_1) | instskip(NEXT) | instid1(VALU_DEP_1)
	v_mov_b32_dpp v135, v134 row_shr:2 row_mask:0xf bank_mask:0xf
	v_cndmask_b32_e64 v135, 0, v135, s13
	s_delay_alu instid0(VALU_DEP_1) | instskip(NEXT) | instid1(VALU_DEP_1)
	v_add_nc_u32_e32 v134, v134, v135
	v_mov_b32_dpp v135, v134 row_shr:4 row_mask:0xf bank_mask:0xf
	s_delay_alu instid0(VALU_DEP_1) | instskip(NEXT) | instid1(VALU_DEP_1)
	v_cndmask_b32_e64 v135, 0, v135, s14
	v_add_nc_u32_e32 v134, v134, v135
	ds_store_b32 v47, v134 offset:1024
.LBB917_592:                            ;   in Loop: Header=BB917_558 Depth=2
	s_wait_alu 0xfffe
	s_or_b32 exec_lo, exec_lo, s15
	v_mov_b32_e32 v134, 0
	s_wait_loadcnt_dscnt 0x0
	s_barrier_signal -1
	s_barrier_wait -1
	global_inv scope:SCOPE_SE
	s_and_saveexec_b32 s15, s5
; %bb.593:                              ;   in Loop: Header=BB917_558 Depth=2
	ds_load_b32 v134, v38 offset:1020
; %bb.594:                              ;   in Loop: Header=BB917_558 Depth=2
	s_wait_alu 0xfffe
	s_or_b32 exec_lo, exec_lo, s15
	s_wait_dscnt 0x0
	v_add_nc_u32_e32 v133, v134, v133
	ds_bpermute_b32 v133, v84, v133
	s_wait_dscnt 0x0
	v_cndmask_b32_e64 v133, v133, v134, s8
	s_delay_alu instid0(VALU_DEP_1) | instskip(NEXT) | instid1(VALU_DEP_1)
	v_cndmask_b32_e64 v133, v133, 0, s6
	v_add_nc_u32_e32 v26, v133, v26
	s_delay_alu instid0(VALU_DEP_1) | instskip(NEXT) | instid1(VALU_DEP_1)
	v_add_nc_u32_e32 v27, v26, v27
	v_add_nc_u32_e32 v24, v27, v24
	s_delay_alu instid0(VALU_DEP_1) | instskip(NEXT) | instid1(VALU_DEP_1)
	v_add_nc_u32_e32 v25, v24, v25
	v_add_nc_u32_e32 v7, v25, v7
	s_delay_alu instid0(VALU_DEP_1) | instskip(NEXT) | instid1(VALU_DEP_1)
	v_add_nc_u32_e32 v8, v7, v8
	v_add_nc_u32_e32 v5, v8, v5
	s_delay_alu instid0(VALU_DEP_1)
	v_add_nc_u32_e32 v6, v5, v6
	ds_store_2addr_b32 v101, v8, v5 offset1:1
	ds_store_2addr_b32 v102, v133, v26 offset1:1
	ds_store_2addr_b32 v103, v27, v24 offset1:1
	ds_store_2addr_b32 v104, v25, v7 offset1:1
	ds_store_b32 v43, v6 offset:1088
	s_wait_loadcnt_dscnt 0x0
	s_barrier_signal -1
	s_barrier_wait -1
	global_inv scope:SCOPE_SE
	ds_load_b32 v8, v105 offset:1056
	ds_load_b32 v24, v109 offset:1056
	;; [unrolled: 1-line block ×9, first 2 shown]
	v_mov_b32_e32 v7, 0x800
	s_and_saveexec_b32 s15, s7
; %bb.595:                              ;   in Loop: Header=BB917_558 Depth=2
	ds_load_b32 v7, v43 offset:1092
; %bb.596:                              ;   in Loop: Header=BB917_558 Depth=2
	s_wait_alu 0xfffe
	s_or_b32 exec_lo, exec_lo, s15
	s_wait_loadcnt_dscnt 0x0
	s_barrier_signal -1
	s_barrier_wait -1
	global_inv scope:SCOPE_SE
	s_and_saveexec_b32 s15, s2
	s_cbranch_execz .LBB917_598
; %bb.597:                              ;   in Loop: Header=BB917_558 Depth=2
	ds_load_b32 v102, v28
	s_wait_dscnt 0x0
	v_sub_nc_u32_e32 v101, v102, v101
	ds_store_b32 v28, v101
.LBB917_598:                            ;   in Loop: Header=BB917_558 Depth=2
	s_wait_alu 0xfffe
	s_or_b32 exec_lo, exec_lo, s15
	v_add_nc_u32_e32 v102, v8, v99
	v_add3_u32 v101, v107, v106, v24
	v_add3_u32 v99, v112, v110, v25
	;; [unrolled: 1-line block ×4, first 2 shown]
	v_lshlrev_b32_e32 v103, 1, v102
	v_add3_u32 v24, v120, v118, v27
	v_lshlrev_b32_e32 v104, 1, v101
	v_lshlrev_b32_e32 v105, 1, v99
	v_add3_u32 v27, v127, v126, v5
	v_add3_u32 v26, v131, v130, v6
	ds_store_b16 v103, v0 offset:1024
	ds_store_b16 v104, v100 offset:1024
	;; [unrolled: 1-line block ×3, first 2 shown]
	v_lshlrev_b32_e32 v0, 1, v25
	v_cmp_lt_u32_e32 vcc_lo, v13, v98
	v_lshlrev_b32_e32 v5, 1, v24
	v_lshlrev_b32_e32 v6, 1, v8
	;; [unrolled: 1-line block ×4, first 2 shown]
	ds_store_b16 v0, v111 offset:1024
	ds_store_b16 v5, v115 offset:1024
	;; [unrolled: 1-line block ×5, first 2 shown]
	s_wait_loadcnt_dscnt 0x0
	s_barrier_signal -1
	s_barrier_wait -1
	global_inv scope:SCOPE_SE
	s_and_saveexec_b32 s16, vcc_lo
	s_cbranch_execnz .LBB917_635
; %bb.599:                              ;   in Loop: Header=BB917_558 Depth=2
	s_wait_alu 0xfffe
	s_or_b32 exec_lo, exec_lo, s16
	v_cmp_lt_u32_e64 s15, v29, v98
	s_and_saveexec_b32 s17, s15
	s_cbranch_execnz .LBB917_636
.LBB917_600:                            ;   in Loop: Header=BB917_558 Depth=2
	s_wait_alu 0xfffe
	s_or_b32 exec_lo, exec_lo, s17
	v_cmp_lt_u32_e64 s16, v30, v98
	s_and_saveexec_b32 s18, s16
	s_cbranch_execnz .LBB917_637
.LBB917_601:                            ;   in Loop: Header=BB917_558 Depth=2
	s_wait_alu 0xfffe
	s_or_b32 exec_lo, exec_lo, s18
	v_cmp_lt_u32_e64 s17, v31, v98
	s_and_saveexec_b32 s19, s17
	s_cbranch_execnz .LBB917_638
.LBB917_602:                            ;   in Loop: Header=BB917_558 Depth=2
	s_wait_alu 0xfffe
	s_or_b32 exec_lo, exec_lo, s19
	v_cmp_lt_u32_e64 s18, v34, v98
	s_and_saveexec_b32 s20, s18
	s_cbranch_execnz .LBB917_639
.LBB917_603:                            ;   in Loop: Header=BB917_558 Depth=2
	s_wait_alu 0xfffe
	s_or_b32 exec_lo, exec_lo, s20
	v_cmp_lt_u32_e64 s19, v35, v98
	s_and_saveexec_b32 s21, s19
	s_cbranch_execnz .LBB917_640
.LBB917_604:                            ;   in Loop: Header=BB917_558 Depth=2
	s_wait_alu 0xfffe
	s_or_b32 exec_lo, exec_lo, s21
	v_cmp_lt_u32_e64 s20, v36, v98
	s_and_saveexec_b32 s22, s20
	s_cbranch_execnz .LBB917_641
.LBB917_605:                            ;   in Loop: Header=BB917_558 Depth=2
	s_wait_alu 0xfffe
	s_or_b32 exec_lo, exec_lo, s22
	v_cmp_lt_u32_e64 s21, v37, v98
	s_and_saveexec_b32 s48, s21
	s_cbranch_execz .LBB917_607
.LBB917_606:                            ;   in Loop: Header=BB917_558 Depth=2
	ds_load_u16 v100, v48 offset:4608
	s_wait_dscnt 0x0
	v_and_b32_e32 v0, 0xffff, v100
	s_delay_alu instid0(VALU_DEP_1) | instskip(NEXT) | instid1(VALU_DEP_1)
	v_lshrrev_b32_e32 v0, s45, v0
	v_and_b32_e32 v0, s42, v0
	s_delay_alu instid0(VALU_DEP_1) | instskip(SKIP_3) | instid1(VALU_DEP_1)
	v_lshlrev_b32_e32 v0, 2, v0
	ds_load_b32 v0, v0
	s_wait_dscnt 0x0
	v_add_nc_u32_e32 v0, v0, v37
	v_lshlrev_b64_e32 v[5:6], 1, v[0:1]
	v_xor_b32_e32 v0, 0x7fff, v100
	s_delay_alu instid0(VALU_DEP_2) | instskip(SKIP_1) | instid1(VALU_DEP_3)
	v_add_co_u32 v5, s22, s40, v5
	s_wait_alu 0xf1ff
	v_add_co_ci_u32_e64 v6, null, s41, v6, s22
	global_store_b16 v[5:6], v0, off
.LBB917_607:                            ;   in Loop: Header=BB917_558 Depth=2
	s_wait_alu 0xfffe
	s_or_b32 exec_lo, exec_lo, s48
	s_lshl_b64 s[48:49], s[30:31], 3
	s_wait_alu 0xfffe
	v_add_co_u32 v5, s22, v85, s48
	s_wait_alu 0xf1ff
	v_add_co_ci_u32_e64 v6, null, s49, v86, s22
	v_cmp_lt_u32_e64 s22, v67, v98
	s_and_saveexec_b32 s30, s22
	s_wait_alu 0xfffe
	s_xor_b32 s22, exec_lo, s30
	s_cbranch_execnz .LBB917_642
; %bb.608:                              ;   in Loop: Header=BB917_558 Depth=2
	s_wait_alu 0xfffe
	s_or_b32 exec_lo, exec_lo, s22
	s_delay_alu instid0(SALU_CYCLE_1)
	s_mov_b32 s30, exec_lo
	v_cmpx_lt_u32_e64 v71, v98
	s_cbranch_execnz .LBB917_643
.LBB917_609:                            ;   in Loop: Header=BB917_558 Depth=2
	s_wait_alu 0xfffe
	s_or_b32 exec_lo, exec_lo, s30
	s_delay_alu instid0(SALU_CYCLE_1)
	s_mov_b32 s30, exec_lo
	v_cmpx_lt_u32_e64 v72, v98
	s_cbranch_execnz .LBB917_644
.LBB917_610:                            ;   in Loop: Header=BB917_558 Depth=2
	s_wait_alu 0xfffe
	s_or_b32 exec_lo, exec_lo, s30
	s_delay_alu instid0(SALU_CYCLE_1)
	s_mov_b32 s30, exec_lo
	v_cmpx_lt_u32_e64 v73, v98
	s_cbranch_execnz .LBB917_645
.LBB917_611:                            ;   in Loop: Header=BB917_558 Depth=2
	s_wait_alu 0xfffe
	s_or_b32 exec_lo, exec_lo, s30
	s_delay_alu instid0(SALU_CYCLE_1)
	s_mov_b32 s30, exec_lo
	v_cmpx_lt_u32_e64 v74, v98
	s_cbranch_execnz .LBB917_646
.LBB917_612:                            ;   in Loop: Header=BB917_558 Depth=2
	s_wait_alu 0xfffe
	s_or_b32 exec_lo, exec_lo, s30
	s_delay_alu instid0(SALU_CYCLE_1)
	s_mov_b32 s30, exec_lo
	v_cmpx_lt_u32_e64 v75, v98
	s_cbranch_execnz .LBB917_647
.LBB917_613:                            ;   in Loop: Header=BB917_558 Depth=2
	s_wait_alu 0xfffe
	s_or_b32 exec_lo, exec_lo, s30
	s_delay_alu instid0(SALU_CYCLE_1)
	s_mov_b32 s30, exec_lo
	v_cmpx_lt_u32_e64 v76, v98
	s_cbranch_execnz .LBB917_648
.LBB917_614:                            ;   in Loop: Header=BB917_558 Depth=2
	s_wait_alu 0xfffe
	s_or_b32 exec_lo, exec_lo, s30
	s_delay_alu instid0(SALU_CYCLE_1)
	s_mov_b32 s30, exec_lo
	v_cmpx_lt_u32_e64 v77, v98
	s_cbranch_execnz .LBB917_649
.LBB917_615:                            ;   in Loop: Header=BB917_558 Depth=2
	s_wait_alu 0xfffe
	s_or_b32 exec_lo, exec_lo, s30
	s_and_saveexec_b32 s22, vcc_lo
	s_cbranch_execnz .LBB917_650
.LBB917_616:                            ;   in Loop: Header=BB917_558 Depth=2
	s_wait_alu 0xfffe
	s_or_b32 exec_lo, exec_lo, s22
	s_and_saveexec_b32 s22, s15
	s_cbranch_execnz .LBB917_651
.LBB917_617:                            ;   in Loop: Header=BB917_558 Depth=2
	s_wait_alu 0xfffe
	s_or_b32 exec_lo, exec_lo, s22
	s_and_saveexec_b32 s22, s16
	s_cbranch_execnz .LBB917_652
.LBB917_618:                            ;   in Loop: Header=BB917_558 Depth=2
	s_wait_alu 0xfffe
	s_or_b32 exec_lo, exec_lo, s22
	s_and_saveexec_b32 s22, s17
	s_cbranch_execnz .LBB917_653
.LBB917_619:                            ;   in Loop: Header=BB917_558 Depth=2
	s_wait_alu 0xfffe
	s_or_b32 exec_lo, exec_lo, s22
	s_and_saveexec_b32 s22, s18
	s_cbranch_execnz .LBB917_654
.LBB917_620:                            ;   in Loop: Header=BB917_558 Depth=2
	s_wait_alu 0xfffe
	s_or_b32 exec_lo, exec_lo, s22
	s_and_saveexec_b32 s22, s19
	s_cbranch_execnz .LBB917_655
.LBB917_621:                            ;   in Loop: Header=BB917_558 Depth=2
	s_wait_alu 0xfffe
	s_or_b32 exec_lo, exec_lo, s22
	s_and_saveexec_b32 s22, s20
	s_cbranch_execnz .LBB917_656
.LBB917_622:                            ;   in Loop: Header=BB917_558 Depth=2
	s_wait_alu 0xfffe
	s_or_b32 exec_lo, exec_lo, s22
	s_and_saveexec_b32 s22, s21
	s_cbranch_execz .LBB917_624
.LBB917_623:                            ;   in Loop: Header=BB917_558 Depth=2
	ds_load_u16 v0, v48 offset:4608
	s_wait_dscnt 0x0
	v_lshrrev_b32_e32 v0, s45, v0
	s_delay_alu instid0(VALU_DEP_1)
	v_and_b32_e32 v90, s42, v0
.LBB917_624:                            ;   in Loop: Header=BB917_558 Depth=2
	s_wait_alu 0xfffe
	s_or_b32 exec_lo, exec_lo, s22
	v_lshlrev_b32_e32 v0, 3, v102
	v_lshlrev_b32_e32 v5, 3, v101
	;; [unrolled: 1-line block ×3, first 2 shown]
	s_wait_loadcnt 0x0
	s_wait_storecnt 0x0
	s_barrier_signal -1
	s_barrier_wait -1
	global_inv scope:SCOPE_SE
	ds_store_b64 v0, v[22:23] offset:1024
	ds_store_b64 v5, v[20:21] offset:1024
	;; [unrolled: 1-line block ×3, first 2 shown]
	v_lshlrev_b32_e32 v0, 3, v25
	v_lshlrev_b32_e32 v5, 3, v24
	;; [unrolled: 1-line block ×5, first 2 shown]
	ds_store_b64 v0, v[16:17] offset:1024
	ds_store_b64 v5, v[14:15] offset:1024
	;; [unrolled: 1-line block ×5, first 2 shown]
	v_add_nc_u32_e32 v5, v48, v49
	s_wait_loadcnt_dscnt 0x0
	s_barrier_signal -1
	s_barrier_wait -1
	global_inv scope:SCOPE_SE
	s_and_saveexec_b32 s22, vcc_lo
	s_cbranch_execnz .LBB917_657
; %bb.625:                              ;   in Loop: Header=BB917_558 Depth=2
	s_wait_alu 0xfffe
	s_or_b32 exec_lo, exec_lo, s22
	s_and_saveexec_b32 s22, s15
	s_cbranch_execnz .LBB917_658
.LBB917_626:                            ;   in Loop: Header=BB917_558 Depth=2
	s_wait_alu 0xfffe
	s_or_b32 exec_lo, exec_lo, s22
	s_and_saveexec_b32 s15, s16
	s_cbranch_execnz .LBB917_659
.LBB917_627:                            ;   in Loop: Header=BB917_558 Depth=2
	s_wait_alu 0xfffe
	s_or_b32 exec_lo, exec_lo, s15
	s_and_saveexec_b32 s15, s17
	s_cbranch_execnz .LBB917_660
.LBB917_628:                            ;   in Loop: Header=BB917_558 Depth=2
	s_wait_alu 0xfffe
	s_or_b32 exec_lo, exec_lo, s15
	s_and_saveexec_b32 s15, s18
	s_cbranch_execnz .LBB917_661
.LBB917_629:                            ;   in Loop: Header=BB917_558 Depth=2
	s_wait_alu 0xfffe
	s_or_b32 exec_lo, exec_lo, s15
	s_and_saveexec_b32 s15, s19
	s_cbranch_execnz .LBB917_662
.LBB917_630:                            ;   in Loop: Header=BB917_558 Depth=2
	s_wait_alu 0xfffe
	s_or_b32 exec_lo, exec_lo, s15
	s_and_saveexec_b32 s15, s20
	s_cbranch_execnz .LBB917_663
.LBB917_631:                            ;   in Loop: Header=BB917_558 Depth=2
	s_wait_alu 0xfffe
	s_or_b32 exec_lo, exec_lo, s15
	s_and_saveexec_b32 s15, s21
	s_cbranch_execz .LBB917_633
.LBB917_632:                            ;   in Loop: Header=BB917_558 Depth=2
	v_lshlrev_b32_e32 v0, 2, v90
	ds_load_b32 v0, v0
	ds_load_b64 v[5:6], v5 offset:15360
	s_wait_dscnt 0x1
	v_add_nc_u32_e32 v0, v0, v37
	s_delay_alu instid0(VALU_DEP_1) | instskip(NEXT) | instid1(VALU_DEP_1)
	v_lshlrev_b64_e32 v[24:25], 3, v[0:1]
	v_add_co_u32 v24, vcc_lo, s26, v24
	s_wait_alu 0xfffd
	s_delay_alu instid0(VALU_DEP_2)
	v_add_co_ci_u32_e64 v25, null, s27, v25, vcc_lo
	s_wait_dscnt 0x0
	global_store_b64 v[24:25], v[5:6], off
.LBB917_633:                            ;   in Loop: Header=BB917_558 Depth=2
	s_wait_alu 0xfffe
	s_or_b32 exec_lo, exec_lo, s15
	s_wait_loadcnt 0x0
	s_wait_storecnt 0x0
	s_barrier_signal -1
	s_barrier_wait -1
	global_inv scope:SCOPE_SE
	s_and_saveexec_b32 s15, s2
	s_cbranch_execz .LBB917_557
; %bb.634:                              ;   in Loop: Header=BB917_558 Depth=2
	ds_load_b32 v0, v28
	s_wait_dscnt 0x0
	v_add_nc_u32_e32 v0, v0, v7
	ds_store_b32 v28, v0
	s_branch .LBB917_557
.LBB917_635:                            ;   in Loop: Header=BB917_558 Depth=2
	ds_load_u16 v100, v48 offset:1024
	s_wait_dscnt 0x0
	v_and_b32_e32 v0, 0xffff, v100
	s_delay_alu instid0(VALU_DEP_1) | instskip(NEXT) | instid1(VALU_DEP_1)
	v_lshrrev_b32_e32 v0, s45, v0
	v_and_b32_e32 v0, s42, v0
	s_delay_alu instid0(VALU_DEP_1) | instskip(SKIP_3) | instid1(VALU_DEP_1)
	v_lshlrev_b32_e32 v0, 2, v0
	ds_load_b32 v0, v0
	s_wait_dscnt 0x0
	v_add_nc_u32_e32 v0, v0, v13
	v_lshlrev_b64_e32 v[5:6], 1, v[0:1]
	v_xor_b32_e32 v0, 0x7fff, v100
	s_delay_alu instid0(VALU_DEP_2) | instskip(SKIP_1) | instid1(VALU_DEP_3)
	v_add_co_u32 v5, s15, s40, v5
	s_wait_alu 0xf1ff
	v_add_co_ci_u32_e64 v6, null, s41, v6, s15
	global_store_b16 v[5:6], v0, off
	s_wait_alu 0xfffe
	s_or_b32 exec_lo, exec_lo, s16
	v_cmp_lt_u32_e64 s15, v29, v98
	s_and_saveexec_b32 s17, s15
	s_cbranch_execz .LBB917_600
.LBB917_636:                            ;   in Loop: Header=BB917_558 Depth=2
	ds_load_u16 v100, v48 offset:1536
	s_wait_dscnt 0x0
	v_and_b32_e32 v0, 0xffff, v100
	s_delay_alu instid0(VALU_DEP_1) | instskip(NEXT) | instid1(VALU_DEP_1)
	v_lshrrev_b32_e32 v0, s45, v0
	v_and_b32_e32 v0, s42, v0
	s_delay_alu instid0(VALU_DEP_1) | instskip(SKIP_3) | instid1(VALU_DEP_1)
	v_lshlrev_b32_e32 v0, 2, v0
	ds_load_b32 v0, v0
	s_wait_dscnt 0x0
	v_add_nc_u32_e32 v0, v0, v29
	v_lshlrev_b64_e32 v[5:6], 1, v[0:1]
	v_xor_b32_e32 v0, 0x7fff, v100
	s_delay_alu instid0(VALU_DEP_2) | instskip(SKIP_1) | instid1(VALU_DEP_3)
	v_add_co_u32 v5, s16, s40, v5
	s_wait_alu 0xf1ff
	v_add_co_ci_u32_e64 v6, null, s41, v6, s16
	global_store_b16 v[5:6], v0, off
	s_wait_alu 0xfffe
	s_or_b32 exec_lo, exec_lo, s17
	v_cmp_lt_u32_e64 s16, v30, v98
	s_and_saveexec_b32 s18, s16
	s_cbranch_execz .LBB917_601
.LBB917_637:                            ;   in Loop: Header=BB917_558 Depth=2
	ds_load_u16 v100, v48 offset:2048
	s_wait_dscnt 0x0
	v_and_b32_e32 v0, 0xffff, v100
	s_delay_alu instid0(VALU_DEP_1) | instskip(NEXT) | instid1(VALU_DEP_1)
	v_lshrrev_b32_e32 v0, s45, v0
	v_and_b32_e32 v0, s42, v0
	s_delay_alu instid0(VALU_DEP_1) | instskip(SKIP_3) | instid1(VALU_DEP_1)
	v_lshlrev_b32_e32 v0, 2, v0
	ds_load_b32 v0, v0
	s_wait_dscnt 0x0
	v_add_nc_u32_e32 v0, v0, v30
	v_lshlrev_b64_e32 v[5:6], 1, v[0:1]
	v_xor_b32_e32 v0, 0x7fff, v100
	s_delay_alu instid0(VALU_DEP_2) | instskip(SKIP_1) | instid1(VALU_DEP_3)
	v_add_co_u32 v5, s17, s40, v5
	s_wait_alu 0xf1ff
	v_add_co_ci_u32_e64 v6, null, s41, v6, s17
	global_store_b16 v[5:6], v0, off
	s_wait_alu 0xfffe
	s_or_b32 exec_lo, exec_lo, s18
	v_cmp_lt_u32_e64 s17, v31, v98
	s_and_saveexec_b32 s19, s17
	s_cbranch_execz .LBB917_602
.LBB917_638:                            ;   in Loop: Header=BB917_558 Depth=2
	ds_load_u16 v100, v48 offset:2560
	s_wait_dscnt 0x0
	v_and_b32_e32 v0, 0xffff, v100
	s_delay_alu instid0(VALU_DEP_1) | instskip(NEXT) | instid1(VALU_DEP_1)
	v_lshrrev_b32_e32 v0, s45, v0
	v_and_b32_e32 v0, s42, v0
	s_delay_alu instid0(VALU_DEP_1) | instskip(SKIP_3) | instid1(VALU_DEP_1)
	v_lshlrev_b32_e32 v0, 2, v0
	ds_load_b32 v0, v0
	s_wait_dscnt 0x0
	v_add_nc_u32_e32 v0, v0, v31
	v_lshlrev_b64_e32 v[5:6], 1, v[0:1]
	v_xor_b32_e32 v0, 0x7fff, v100
	s_delay_alu instid0(VALU_DEP_2) | instskip(SKIP_1) | instid1(VALU_DEP_3)
	v_add_co_u32 v5, s18, s40, v5
	s_wait_alu 0xf1ff
	v_add_co_ci_u32_e64 v6, null, s41, v6, s18
	global_store_b16 v[5:6], v0, off
	s_wait_alu 0xfffe
	s_or_b32 exec_lo, exec_lo, s19
	v_cmp_lt_u32_e64 s18, v34, v98
	s_and_saveexec_b32 s20, s18
	s_cbranch_execz .LBB917_603
.LBB917_639:                            ;   in Loop: Header=BB917_558 Depth=2
	ds_load_u16 v100, v48 offset:3072
	s_wait_dscnt 0x0
	v_and_b32_e32 v0, 0xffff, v100
	s_delay_alu instid0(VALU_DEP_1) | instskip(NEXT) | instid1(VALU_DEP_1)
	v_lshrrev_b32_e32 v0, s45, v0
	v_and_b32_e32 v0, s42, v0
	s_delay_alu instid0(VALU_DEP_1) | instskip(SKIP_3) | instid1(VALU_DEP_1)
	v_lshlrev_b32_e32 v0, 2, v0
	ds_load_b32 v0, v0
	s_wait_dscnt 0x0
	v_add_nc_u32_e32 v0, v0, v34
	v_lshlrev_b64_e32 v[5:6], 1, v[0:1]
	v_xor_b32_e32 v0, 0x7fff, v100
	s_delay_alu instid0(VALU_DEP_2) | instskip(SKIP_1) | instid1(VALU_DEP_3)
	v_add_co_u32 v5, s19, s40, v5
	s_wait_alu 0xf1ff
	v_add_co_ci_u32_e64 v6, null, s41, v6, s19
	global_store_b16 v[5:6], v0, off
	s_wait_alu 0xfffe
	s_or_b32 exec_lo, exec_lo, s20
	v_cmp_lt_u32_e64 s19, v35, v98
	s_and_saveexec_b32 s21, s19
	s_cbranch_execz .LBB917_604
.LBB917_640:                            ;   in Loop: Header=BB917_558 Depth=2
	ds_load_u16 v100, v48 offset:3584
	s_wait_dscnt 0x0
	v_and_b32_e32 v0, 0xffff, v100
	s_delay_alu instid0(VALU_DEP_1) | instskip(NEXT) | instid1(VALU_DEP_1)
	v_lshrrev_b32_e32 v0, s45, v0
	v_and_b32_e32 v0, s42, v0
	s_delay_alu instid0(VALU_DEP_1) | instskip(SKIP_3) | instid1(VALU_DEP_1)
	v_lshlrev_b32_e32 v0, 2, v0
	ds_load_b32 v0, v0
	s_wait_dscnt 0x0
	v_add_nc_u32_e32 v0, v0, v35
	v_lshlrev_b64_e32 v[5:6], 1, v[0:1]
	v_xor_b32_e32 v0, 0x7fff, v100
	s_delay_alu instid0(VALU_DEP_2) | instskip(SKIP_1) | instid1(VALU_DEP_3)
	v_add_co_u32 v5, s20, s40, v5
	s_wait_alu 0xf1ff
	v_add_co_ci_u32_e64 v6, null, s41, v6, s20
	global_store_b16 v[5:6], v0, off
	s_wait_alu 0xfffe
	s_or_b32 exec_lo, exec_lo, s21
	v_cmp_lt_u32_e64 s20, v36, v98
	s_and_saveexec_b32 s22, s20
	s_cbranch_execz .LBB917_605
.LBB917_641:                            ;   in Loop: Header=BB917_558 Depth=2
	ds_load_u16 v100, v48 offset:4096
	s_wait_dscnt 0x0
	v_and_b32_e32 v0, 0xffff, v100
	s_delay_alu instid0(VALU_DEP_1) | instskip(NEXT) | instid1(VALU_DEP_1)
	v_lshrrev_b32_e32 v0, s45, v0
	v_and_b32_e32 v0, s42, v0
	s_delay_alu instid0(VALU_DEP_1) | instskip(SKIP_3) | instid1(VALU_DEP_1)
	v_lshlrev_b32_e32 v0, 2, v0
	ds_load_b32 v0, v0
	s_wait_dscnt 0x0
	v_add_nc_u32_e32 v0, v0, v36
	v_lshlrev_b64_e32 v[5:6], 1, v[0:1]
	v_xor_b32_e32 v0, 0x7fff, v100
	s_delay_alu instid0(VALU_DEP_2) | instskip(SKIP_1) | instid1(VALU_DEP_3)
	v_add_co_u32 v5, s21, s40, v5
	s_wait_alu 0xf1ff
	v_add_co_ci_u32_e64 v6, null, s41, v6, s21
	global_store_b16 v[5:6], v0, off
	s_wait_alu 0xfffe
	s_or_b32 exec_lo, exec_lo, s22
	v_cmp_lt_u32_e64 s21, v37, v98
	s_and_saveexec_b32 s48, s21
	s_cbranch_execnz .LBB917_606
	s_branch .LBB917_607
.LBB917_642:                            ;   in Loop: Header=BB917_558 Depth=2
	global_load_b64 v[22:23], v[5:6], off
	s_wait_alu 0xfffe
	s_or_b32 exec_lo, exec_lo, s22
	s_delay_alu instid0(SALU_CYCLE_1)
	s_mov_b32 s30, exec_lo
	v_cmpx_lt_u32_e64 v71, v98
	s_cbranch_execz .LBB917_609
.LBB917_643:                            ;   in Loop: Header=BB917_558 Depth=2
	global_load_b64 v[20:21], v[5:6], off offset:256
	s_wait_alu 0xfffe
	s_or_b32 exec_lo, exec_lo, s30
	s_delay_alu instid0(SALU_CYCLE_1)
	s_mov_b32 s30, exec_lo
	v_cmpx_lt_u32_e64 v72, v98
	s_cbranch_execz .LBB917_610
.LBB917_644:                            ;   in Loop: Header=BB917_558 Depth=2
	global_load_b64 v[18:19], v[5:6], off offset:512
	s_wait_alu 0xfffe
	s_or_b32 exec_lo, exec_lo, s30
	s_delay_alu instid0(SALU_CYCLE_1)
	s_mov_b32 s30, exec_lo
	v_cmpx_lt_u32_e64 v73, v98
	s_cbranch_execz .LBB917_611
.LBB917_645:                            ;   in Loop: Header=BB917_558 Depth=2
	global_load_b64 v[16:17], v[5:6], off offset:768
	s_wait_alu 0xfffe
	s_or_b32 exec_lo, exec_lo, s30
	s_delay_alu instid0(SALU_CYCLE_1)
	s_mov_b32 s30, exec_lo
	v_cmpx_lt_u32_e64 v74, v98
	s_cbranch_execz .LBB917_612
.LBB917_646:                            ;   in Loop: Header=BB917_558 Depth=2
	global_load_b64 v[14:15], v[5:6], off offset:1024
	s_wait_alu 0xfffe
	s_or_b32 exec_lo, exec_lo, s30
	s_delay_alu instid0(SALU_CYCLE_1)
	s_mov_b32 s30, exec_lo
	v_cmpx_lt_u32_e64 v75, v98
	s_cbranch_execz .LBB917_613
.LBB917_647:                            ;   in Loop: Header=BB917_558 Depth=2
	global_load_b64 v[11:12], v[5:6], off offset:1280
	s_wait_alu 0xfffe
	s_or_b32 exec_lo, exec_lo, s30
	s_delay_alu instid0(SALU_CYCLE_1)
	s_mov_b32 s30, exec_lo
	v_cmpx_lt_u32_e64 v76, v98
	s_cbranch_execz .LBB917_614
.LBB917_648:                            ;   in Loop: Header=BB917_558 Depth=2
	global_load_b64 v[9:10], v[5:6], off offset:1536
	s_wait_alu 0xfffe
	s_or_b32 exec_lo, exec_lo, s30
	s_delay_alu instid0(SALU_CYCLE_1)
	s_mov_b32 s30, exec_lo
	v_cmpx_lt_u32_e64 v77, v98
	s_cbranch_execz .LBB917_615
.LBB917_649:                            ;   in Loop: Header=BB917_558 Depth=2
	global_load_b64 v[2:3], v[5:6], off offset:1792
	s_wait_alu 0xfffe
	s_or_b32 exec_lo, exec_lo, s30
	s_and_saveexec_b32 s22, vcc_lo
	s_cbranch_execz .LBB917_616
.LBB917_650:                            ;   in Loop: Header=BB917_558 Depth=2
	ds_load_u16 v0, v48 offset:1024
	s_wait_dscnt 0x0
	v_lshrrev_b32_e32 v0, s45, v0
	s_delay_alu instid0(VALU_DEP_1)
	v_and_b32_e32 v97, s42, v0
	s_wait_alu 0xfffe
	s_or_b32 exec_lo, exec_lo, s22
	s_and_saveexec_b32 s22, s15
	s_cbranch_execz .LBB917_617
.LBB917_651:                            ;   in Loop: Header=BB917_558 Depth=2
	ds_load_u16 v0, v48 offset:1536
	s_wait_dscnt 0x0
	v_lshrrev_b32_e32 v0, s45, v0
	s_delay_alu instid0(VALU_DEP_1)
	v_and_b32_e32 v96, s42, v0
	s_wait_alu 0xfffe
	s_or_b32 exec_lo, exec_lo, s22
	s_and_saveexec_b32 s22, s16
	s_cbranch_execz .LBB917_618
.LBB917_652:                            ;   in Loop: Header=BB917_558 Depth=2
	ds_load_u16 v0, v48 offset:2048
	s_wait_dscnt 0x0
	v_lshrrev_b32_e32 v0, s45, v0
	s_delay_alu instid0(VALU_DEP_1)
	v_and_b32_e32 v95, s42, v0
	s_wait_alu 0xfffe
	s_or_b32 exec_lo, exec_lo, s22
	s_and_saveexec_b32 s22, s17
	s_cbranch_execz .LBB917_619
.LBB917_653:                            ;   in Loop: Header=BB917_558 Depth=2
	ds_load_u16 v0, v48 offset:2560
	s_wait_dscnt 0x0
	v_lshrrev_b32_e32 v0, s45, v0
	s_delay_alu instid0(VALU_DEP_1)
	v_and_b32_e32 v94, s42, v0
	s_wait_alu 0xfffe
	s_or_b32 exec_lo, exec_lo, s22
	s_and_saveexec_b32 s22, s18
	s_cbranch_execz .LBB917_620
.LBB917_654:                            ;   in Loop: Header=BB917_558 Depth=2
	ds_load_u16 v0, v48 offset:3072
	s_wait_dscnt 0x0
	v_lshrrev_b32_e32 v0, s45, v0
	s_delay_alu instid0(VALU_DEP_1)
	v_and_b32_e32 v93, s42, v0
	s_wait_alu 0xfffe
	s_or_b32 exec_lo, exec_lo, s22
	s_and_saveexec_b32 s22, s19
	s_cbranch_execz .LBB917_621
.LBB917_655:                            ;   in Loop: Header=BB917_558 Depth=2
	ds_load_u16 v0, v48 offset:3584
	s_wait_dscnt 0x0
	v_lshrrev_b32_e32 v0, s45, v0
	s_delay_alu instid0(VALU_DEP_1)
	v_and_b32_e32 v92, s42, v0
	s_wait_alu 0xfffe
	s_or_b32 exec_lo, exec_lo, s22
	s_and_saveexec_b32 s22, s20
	s_cbranch_execz .LBB917_622
.LBB917_656:                            ;   in Loop: Header=BB917_558 Depth=2
	ds_load_u16 v0, v48 offset:4096
	s_wait_dscnt 0x0
	v_lshrrev_b32_e32 v0, s45, v0
	s_delay_alu instid0(VALU_DEP_1)
	v_and_b32_e32 v91, s42, v0
	s_wait_alu 0xfffe
	s_or_b32 exec_lo, exec_lo, s22
	s_and_saveexec_b32 s22, s21
	s_cbranch_execnz .LBB917_623
	s_branch .LBB917_624
.LBB917_657:                            ;   in Loop: Header=BB917_558 Depth=2
	v_lshlrev_b32_e32 v0, 2, v97
	ds_load_b32 v0, v0
	ds_load_b64 v[24:25], v5 offset:1024
	s_wait_dscnt 0x1
	v_add_nc_u32_e32 v0, v0, v13
	s_delay_alu instid0(VALU_DEP_1) | instskip(NEXT) | instid1(VALU_DEP_1)
	v_lshlrev_b64_e32 v[26:27], 3, v[0:1]
	v_add_co_u32 v26, vcc_lo, s26, v26
	s_wait_alu 0xfffd
	s_delay_alu instid0(VALU_DEP_2)
	v_add_co_ci_u32_e64 v27, null, s27, v27, vcc_lo
	s_wait_dscnt 0x0
	global_store_b64 v[26:27], v[24:25], off
	s_wait_alu 0xfffe
	s_or_b32 exec_lo, exec_lo, s22
	s_and_saveexec_b32 s22, s15
	s_cbranch_execz .LBB917_626
.LBB917_658:                            ;   in Loop: Header=BB917_558 Depth=2
	v_lshlrev_b32_e32 v0, 2, v96
	ds_load_b32 v0, v0
	ds_load_b64 v[24:25], v5 offset:3072
	s_wait_dscnt 0x1
	v_add_nc_u32_e32 v0, v0, v29
	s_delay_alu instid0(VALU_DEP_1) | instskip(NEXT) | instid1(VALU_DEP_1)
	v_lshlrev_b64_e32 v[26:27], 3, v[0:1]
	v_add_co_u32 v26, vcc_lo, s26, v26
	s_wait_alu 0xfffd
	s_delay_alu instid0(VALU_DEP_2)
	v_add_co_ci_u32_e64 v27, null, s27, v27, vcc_lo
	s_wait_dscnt 0x0
	global_store_b64 v[26:27], v[24:25], off
	s_wait_alu 0xfffe
	s_or_b32 exec_lo, exec_lo, s22
	s_and_saveexec_b32 s15, s16
	s_cbranch_execz .LBB917_627
.LBB917_659:                            ;   in Loop: Header=BB917_558 Depth=2
	v_lshlrev_b32_e32 v0, 2, v95
	ds_load_b32 v0, v0
	ds_load_b64 v[24:25], v5 offset:5120
	s_wait_dscnt 0x1
	v_add_nc_u32_e32 v0, v0, v30
	s_delay_alu instid0(VALU_DEP_1) | instskip(NEXT) | instid1(VALU_DEP_1)
	v_lshlrev_b64_e32 v[26:27], 3, v[0:1]
	v_add_co_u32 v26, vcc_lo, s26, v26
	s_wait_alu 0xfffd
	s_delay_alu instid0(VALU_DEP_2)
	v_add_co_ci_u32_e64 v27, null, s27, v27, vcc_lo
	s_wait_dscnt 0x0
	global_store_b64 v[26:27], v[24:25], off
	s_wait_alu 0xfffe
	s_or_b32 exec_lo, exec_lo, s15
	s_and_saveexec_b32 s15, s17
	s_cbranch_execz .LBB917_628
.LBB917_660:                            ;   in Loop: Header=BB917_558 Depth=2
	v_lshlrev_b32_e32 v0, 2, v94
	ds_load_b32 v0, v0
	ds_load_b64 v[24:25], v5 offset:7168
	s_wait_dscnt 0x1
	v_add_nc_u32_e32 v0, v0, v31
	s_delay_alu instid0(VALU_DEP_1) | instskip(NEXT) | instid1(VALU_DEP_1)
	v_lshlrev_b64_e32 v[26:27], 3, v[0:1]
	v_add_co_u32 v26, vcc_lo, s26, v26
	s_wait_alu 0xfffd
	s_delay_alu instid0(VALU_DEP_2)
	v_add_co_ci_u32_e64 v27, null, s27, v27, vcc_lo
	s_wait_dscnt 0x0
	global_store_b64 v[26:27], v[24:25], off
	s_wait_alu 0xfffe
	s_or_b32 exec_lo, exec_lo, s15
	s_and_saveexec_b32 s15, s18
	s_cbranch_execz .LBB917_629
.LBB917_661:                            ;   in Loop: Header=BB917_558 Depth=2
	v_lshlrev_b32_e32 v0, 2, v93
	ds_load_b32 v0, v0
	ds_load_b64 v[24:25], v5 offset:9216
	s_wait_dscnt 0x1
	v_add_nc_u32_e32 v0, v0, v34
	s_delay_alu instid0(VALU_DEP_1) | instskip(NEXT) | instid1(VALU_DEP_1)
	v_lshlrev_b64_e32 v[26:27], 3, v[0:1]
	v_add_co_u32 v26, vcc_lo, s26, v26
	s_wait_alu 0xfffd
	s_delay_alu instid0(VALU_DEP_2)
	v_add_co_ci_u32_e64 v27, null, s27, v27, vcc_lo
	s_wait_dscnt 0x0
	global_store_b64 v[26:27], v[24:25], off
	s_wait_alu 0xfffe
	s_or_b32 exec_lo, exec_lo, s15
	s_and_saveexec_b32 s15, s19
	s_cbranch_execz .LBB917_630
.LBB917_662:                            ;   in Loop: Header=BB917_558 Depth=2
	v_lshlrev_b32_e32 v0, 2, v92
	ds_load_b32 v0, v0
	ds_load_b64 v[24:25], v5 offset:11264
	s_wait_dscnt 0x1
	v_add_nc_u32_e32 v0, v0, v35
	s_delay_alu instid0(VALU_DEP_1) | instskip(NEXT) | instid1(VALU_DEP_1)
	v_lshlrev_b64_e32 v[26:27], 3, v[0:1]
	v_add_co_u32 v26, vcc_lo, s26, v26
	s_wait_alu 0xfffd
	s_delay_alu instid0(VALU_DEP_2)
	v_add_co_ci_u32_e64 v27, null, s27, v27, vcc_lo
	s_wait_dscnt 0x0
	global_store_b64 v[26:27], v[24:25], off
	s_wait_alu 0xfffe
	s_or_b32 exec_lo, exec_lo, s15
	s_and_saveexec_b32 s15, s20
	s_cbranch_execz .LBB917_631
.LBB917_663:                            ;   in Loop: Header=BB917_558 Depth=2
	v_lshlrev_b32_e32 v0, 2, v91
	ds_load_b32 v0, v0
	ds_load_b64 v[24:25], v5 offset:13312
	s_wait_dscnt 0x1
	v_add_nc_u32_e32 v0, v0, v36
	s_delay_alu instid0(VALU_DEP_1) | instskip(NEXT) | instid1(VALU_DEP_1)
	v_lshlrev_b64_e32 v[26:27], 3, v[0:1]
	v_add_co_u32 v26, vcc_lo, s26, v26
	s_wait_alu 0xfffd
	s_delay_alu instid0(VALU_DEP_2)
	v_add_co_ci_u32_e64 v27, null, s27, v27, vcc_lo
	s_wait_dscnt 0x0
	global_store_b64 v[26:27], v[24:25], off
	s_wait_alu 0xfffe
	s_or_b32 exec_lo, exec_lo, s15
	s_and_saveexec_b32 s15, s21
	s_cbranch_execnz .LBB917_632
	s_branch .LBB917_633
.LBB917_664:                            ;   in Loop: Header=BB917_558 Depth=2
	v_bfrev_b32_e32 v5, 1
	v_dual_mov_b32 v6, v4 :: v_dual_mov_b32 v7, v4
	v_mov_b32_e32 v8, v4
	global_load_d16_b16 v5, v[24:25], off
	s_wait_alu 0xfffe
	s_or_b32 exec_lo, exec_lo, s15
	s_delay_alu instid0(SALU_CYCLE_1)
	s_mov_b32 s15, exec_lo
	v_cmpx_gt_u32_e64 s43, v71
	s_cbranch_execz .LBB917_563
.LBB917_665:                            ;   in Loop: Header=BB917_558 Depth=2
	s_wait_loadcnt 0x0
	global_load_d16_hi_b16 v5, v[24:25], off offset:64
	s_wait_alu 0xfffe
	s_or_b32 exec_lo, exec_lo, s15
	s_delay_alu instid0(SALU_CYCLE_1)
	s_mov_b32 s15, exec_lo
	v_cmpx_gt_u32_e64 s43, v72
	s_cbranch_execz .LBB917_564
.LBB917_666:                            ;   in Loop: Header=BB917_558 Depth=2
	global_load_d16_b16 v6, v[24:25], off offset:128
	s_wait_alu 0xfffe
	s_or_b32 exec_lo, exec_lo, s15
	s_delay_alu instid0(SALU_CYCLE_1)
	s_mov_b32 s15, exec_lo
	v_cmpx_gt_u32_e64 s43, v73
	s_cbranch_execz .LBB917_565
.LBB917_667:                            ;   in Loop: Header=BB917_558 Depth=2
	s_wait_loadcnt 0x0
	global_load_d16_hi_b16 v6, v[24:25], off offset:192
	s_wait_alu 0xfffe
	s_or_b32 exec_lo, exec_lo, s15
	s_delay_alu instid0(SALU_CYCLE_1)
	s_mov_b32 s15, exec_lo
	v_cmpx_gt_u32_e64 s43, v74
	s_cbranch_execz .LBB917_566
.LBB917_668:                            ;   in Loop: Header=BB917_558 Depth=2
	global_load_d16_b16 v7, v[24:25], off offset:256
	s_wait_alu 0xfffe
	s_or_b32 exec_lo, exec_lo, s15
	s_delay_alu instid0(SALU_CYCLE_1)
	s_mov_b32 s15, exec_lo
	v_cmpx_gt_u32_e64 s43, v75
	s_cbranch_execz .LBB917_567
.LBB917_669:                            ;   in Loop: Header=BB917_558 Depth=2
	s_wait_loadcnt 0x0
	global_load_d16_hi_b16 v7, v[24:25], off offset:320
	s_wait_alu 0xfffe
	s_or_b32 exec_lo, exec_lo, s15
	s_delay_alu instid0(SALU_CYCLE_1)
	s_mov_b32 s15, exec_lo
	v_cmpx_gt_u32_e64 s43, v76
	s_cbranch_execnz .LBB917_568
	s_branch .LBB917_569
.LBB917_670:
	s_endpgm
	.section	.rodata,"a",@progbits
	.p2align	6, 0x0
	.amdhsa_kernel _ZN7rocprim17ROCPRIM_400000_NS6detail17trampoline_kernelINS0_14default_configENS1_36segmented_radix_sort_config_selectorIslEEZNS1_25segmented_radix_sort_implIS3_Lb1EPKsPsPKlPlN2at6native12_GLOBAL__N_18offset_tEEE10hipError_tPvRmT1_PNSt15iterator_traitsISK_E10value_typeET2_T3_PNSL_ISQ_E10value_typeET4_jRbjT5_SW_jjP12ihipStream_tbEUlT_E_NS1_11comp_targetILNS1_3genE10ELNS1_11target_archE1201ELNS1_3gpuE5ELNS1_3repE0EEENS1_30default_config_static_selectorELNS0_4arch9wavefront6targetE0EEEvSK_
		.amdhsa_group_segment_fixed_size 17440
		.amdhsa_private_segment_fixed_size 0
		.amdhsa_kernarg_size 352
		.amdhsa_user_sgpr_count 2
		.amdhsa_user_sgpr_dispatch_ptr 0
		.amdhsa_user_sgpr_queue_ptr 0
		.amdhsa_user_sgpr_kernarg_segment_ptr 1
		.amdhsa_user_sgpr_dispatch_id 0
		.amdhsa_user_sgpr_private_segment_size 0
		.amdhsa_wavefront_size32 1
		.amdhsa_uses_dynamic_stack 0
		.amdhsa_enable_private_segment 0
		.amdhsa_system_sgpr_workgroup_id_x 1
		.amdhsa_system_sgpr_workgroup_id_y 1
		.amdhsa_system_sgpr_workgroup_id_z 0
		.amdhsa_system_sgpr_workgroup_info 0
		.amdhsa_system_vgpr_workitem_id 2
		.amdhsa_next_free_vgpr 198
		.amdhsa_next_free_sgpr 50
		.amdhsa_reserve_vcc 1
		.amdhsa_float_round_mode_32 0
		.amdhsa_float_round_mode_16_64 0
		.amdhsa_float_denorm_mode_32 3
		.amdhsa_float_denorm_mode_16_64 3
		.amdhsa_fp16_overflow 0
		.amdhsa_workgroup_processor_mode 1
		.amdhsa_memory_ordered 1
		.amdhsa_forward_progress 1
		.amdhsa_inst_pref_size 255
		.amdhsa_round_robin_scheduling 0
		.amdhsa_exception_fp_ieee_invalid_op 0
		.amdhsa_exception_fp_denorm_src 0
		.amdhsa_exception_fp_ieee_div_zero 0
		.amdhsa_exception_fp_ieee_overflow 0
		.amdhsa_exception_fp_ieee_underflow 0
		.amdhsa_exception_fp_ieee_inexact 0
		.amdhsa_exception_int_div_zero 0
	.end_amdhsa_kernel
	.section	.text._ZN7rocprim17ROCPRIM_400000_NS6detail17trampoline_kernelINS0_14default_configENS1_36segmented_radix_sort_config_selectorIslEEZNS1_25segmented_radix_sort_implIS3_Lb1EPKsPsPKlPlN2at6native12_GLOBAL__N_18offset_tEEE10hipError_tPvRmT1_PNSt15iterator_traitsISK_E10value_typeET2_T3_PNSL_ISQ_E10value_typeET4_jRbjT5_SW_jjP12ihipStream_tbEUlT_E_NS1_11comp_targetILNS1_3genE10ELNS1_11target_archE1201ELNS1_3gpuE5ELNS1_3repE0EEENS1_30default_config_static_selectorELNS0_4arch9wavefront6targetE0EEEvSK_,"axG",@progbits,_ZN7rocprim17ROCPRIM_400000_NS6detail17trampoline_kernelINS0_14default_configENS1_36segmented_radix_sort_config_selectorIslEEZNS1_25segmented_radix_sort_implIS3_Lb1EPKsPsPKlPlN2at6native12_GLOBAL__N_18offset_tEEE10hipError_tPvRmT1_PNSt15iterator_traitsISK_E10value_typeET2_T3_PNSL_ISQ_E10value_typeET4_jRbjT5_SW_jjP12ihipStream_tbEUlT_E_NS1_11comp_targetILNS1_3genE10ELNS1_11target_archE1201ELNS1_3gpuE5ELNS1_3repE0EEENS1_30default_config_static_selectorELNS0_4arch9wavefront6targetE0EEEvSK_,comdat
.Lfunc_end917:
	.size	_ZN7rocprim17ROCPRIM_400000_NS6detail17trampoline_kernelINS0_14default_configENS1_36segmented_radix_sort_config_selectorIslEEZNS1_25segmented_radix_sort_implIS3_Lb1EPKsPsPKlPlN2at6native12_GLOBAL__N_18offset_tEEE10hipError_tPvRmT1_PNSt15iterator_traitsISK_E10value_typeET2_T3_PNSL_ISQ_E10value_typeET4_jRbjT5_SW_jjP12ihipStream_tbEUlT_E_NS1_11comp_targetILNS1_3genE10ELNS1_11target_archE1201ELNS1_3gpuE5ELNS1_3repE0EEENS1_30default_config_static_selectorELNS0_4arch9wavefront6targetE0EEEvSK_, .Lfunc_end917-_ZN7rocprim17ROCPRIM_400000_NS6detail17trampoline_kernelINS0_14default_configENS1_36segmented_radix_sort_config_selectorIslEEZNS1_25segmented_radix_sort_implIS3_Lb1EPKsPsPKlPlN2at6native12_GLOBAL__N_18offset_tEEE10hipError_tPvRmT1_PNSt15iterator_traitsISK_E10value_typeET2_T3_PNSL_ISQ_E10value_typeET4_jRbjT5_SW_jjP12ihipStream_tbEUlT_E_NS1_11comp_targetILNS1_3genE10ELNS1_11target_archE1201ELNS1_3gpuE5ELNS1_3repE0EEENS1_30default_config_static_selectorELNS0_4arch9wavefront6targetE0EEEvSK_
                                        ; -- End function
	.set _ZN7rocprim17ROCPRIM_400000_NS6detail17trampoline_kernelINS0_14default_configENS1_36segmented_radix_sort_config_selectorIslEEZNS1_25segmented_radix_sort_implIS3_Lb1EPKsPsPKlPlN2at6native12_GLOBAL__N_18offset_tEEE10hipError_tPvRmT1_PNSt15iterator_traitsISK_E10value_typeET2_T3_PNSL_ISQ_E10value_typeET4_jRbjT5_SW_jjP12ihipStream_tbEUlT_E_NS1_11comp_targetILNS1_3genE10ELNS1_11target_archE1201ELNS1_3gpuE5ELNS1_3repE0EEENS1_30default_config_static_selectorELNS0_4arch9wavefront6targetE0EEEvSK_.num_vgpr, max(136, .L_ZN7rocprim17ROCPRIM_400000_NS6detail40segmented_radix_sort_single_block_helperIslLj256ELj8ELb1EE4sortIPKsPsPKlPlEEbT_T0_T1_T2_jjjjRNS3_12storage_typeE.num_vgpr)
	.set _ZN7rocprim17ROCPRIM_400000_NS6detail17trampoline_kernelINS0_14default_configENS1_36segmented_radix_sort_config_selectorIslEEZNS1_25segmented_radix_sort_implIS3_Lb1EPKsPsPKlPlN2at6native12_GLOBAL__N_18offset_tEEE10hipError_tPvRmT1_PNSt15iterator_traitsISK_E10value_typeET2_T3_PNSL_ISQ_E10value_typeET4_jRbjT5_SW_jjP12ihipStream_tbEUlT_E_NS1_11comp_targetILNS1_3genE10ELNS1_11target_archE1201ELNS1_3gpuE5ELNS1_3repE0EEENS1_30default_config_static_selectorELNS0_4arch9wavefront6targetE0EEEvSK_.num_agpr, max(0, .L_ZN7rocprim17ROCPRIM_400000_NS6detail40segmented_radix_sort_single_block_helperIslLj256ELj8ELb1EE4sortIPKsPsPKlPlEEbT_T0_T1_T2_jjjjRNS3_12storage_typeE.num_agpr)
	.set _ZN7rocprim17ROCPRIM_400000_NS6detail17trampoline_kernelINS0_14default_configENS1_36segmented_radix_sort_config_selectorIslEEZNS1_25segmented_radix_sort_implIS3_Lb1EPKsPsPKlPlN2at6native12_GLOBAL__N_18offset_tEEE10hipError_tPvRmT1_PNSt15iterator_traitsISK_E10value_typeET2_T3_PNSL_ISQ_E10value_typeET4_jRbjT5_SW_jjP12ihipStream_tbEUlT_E_NS1_11comp_targetILNS1_3genE10ELNS1_11target_archE1201ELNS1_3gpuE5ELNS1_3repE0EEENS1_30default_config_static_selectorELNS0_4arch9wavefront6targetE0EEEvSK_.numbered_sgpr, max(50, .L_ZN7rocprim17ROCPRIM_400000_NS6detail40segmented_radix_sort_single_block_helperIslLj256ELj8ELb1EE4sortIPKsPsPKlPlEEbT_T0_T1_T2_jjjjRNS3_12storage_typeE.numbered_sgpr)
	.set _ZN7rocprim17ROCPRIM_400000_NS6detail17trampoline_kernelINS0_14default_configENS1_36segmented_radix_sort_config_selectorIslEEZNS1_25segmented_radix_sort_implIS3_Lb1EPKsPsPKlPlN2at6native12_GLOBAL__N_18offset_tEEE10hipError_tPvRmT1_PNSt15iterator_traitsISK_E10value_typeET2_T3_PNSL_ISQ_E10value_typeET4_jRbjT5_SW_jjP12ihipStream_tbEUlT_E_NS1_11comp_targetILNS1_3genE10ELNS1_11target_archE1201ELNS1_3gpuE5ELNS1_3repE0EEENS1_30default_config_static_selectorELNS0_4arch9wavefront6targetE0EEEvSK_.num_named_barrier, max(0, .L_ZN7rocprim17ROCPRIM_400000_NS6detail40segmented_radix_sort_single_block_helperIslLj256ELj8ELb1EE4sortIPKsPsPKlPlEEbT_T0_T1_T2_jjjjRNS3_12storage_typeE.num_named_barrier)
	.set _ZN7rocprim17ROCPRIM_400000_NS6detail17trampoline_kernelINS0_14default_configENS1_36segmented_radix_sort_config_selectorIslEEZNS1_25segmented_radix_sort_implIS3_Lb1EPKsPsPKlPlN2at6native12_GLOBAL__N_18offset_tEEE10hipError_tPvRmT1_PNSt15iterator_traitsISK_E10value_typeET2_T3_PNSL_ISQ_E10value_typeET4_jRbjT5_SW_jjP12ihipStream_tbEUlT_E_NS1_11comp_targetILNS1_3genE10ELNS1_11target_archE1201ELNS1_3gpuE5ELNS1_3repE0EEENS1_30default_config_static_selectorELNS0_4arch9wavefront6targetE0EEEvSK_.private_seg_size, 0+max(.L_ZN7rocprim17ROCPRIM_400000_NS6detail40segmented_radix_sort_single_block_helperIslLj256ELj8ELb1EE4sortIPKsPsPKlPlEEbT_T0_T1_T2_jjjjRNS3_12storage_typeE.private_seg_size)
	.set _ZN7rocprim17ROCPRIM_400000_NS6detail17trampoline_kernelINS0_14default_configENS1_36segmented_radix_sort_config_selectorIslEEZNS1_25segmented_radix_sort_implIS3_Lb1EPKsPsPKlPlN2at6native12_GLOBAL__N_18offset_tEEE10hipError_tPvRmT1_PNSt15iterator_traitsISK_E10value_typeET2_T3_PNSL_ISQ_E10value_typeET4_jRbjT5_SW_jjP12ihipStream_tbEUlT_E_NS1_11comp_targetILNS1_3genE10ELNS1_11target_archE1201ELNS1_3gpuE5ELNS1_3repE0EEENS1_30default_config_static_selectorELNS0_4arch9wavefront6targetE0EEEvSK_.uses_vcc, or(1, .L_ZN7rocprim17ROCPRIM_400000_NS6detail40segmented_radix_sort_single_block_helperIslLj256ELj8ELb1EE4sortIPKsPsPKlPlEEbT_T0_T1_T2_jjjjRNS3_12storage_typeE.uses_vcc)
	.set _ZN7rocprim17ROCPRIM_400000_NS6detail17trampoline_kernelINS0_14default_configENS1_36segmented_radix_sort_config_selectorIslEEZNS1_25segmented_radix_sort_implIS3_Lb1EPKsPsPKlPlN2at6native12_GLOBAL__N_18offset_tEEE10hipError_tPvRmT1_PNSt15iterator_traitsISK_E10value_typeET2_T3_PNSL_ISQ_E10value_typeET4_jRbjT5_SW_jjP12ihipStream_tbEUlT_E_NS1_11comp_targetILNS1_3genE10ELNS1_11target_archE1201ELNS1_3gpuE5ELNS1_3repE0EEENS1_30default_config_static_selectorELNS0_4arch9wavefront6targetE0EEEvSK_.uses_flat_scratch, or(0, .L_ZN7rocprim17ROCPRIM_400000_NS6detail40segmented_radix_sort_single_block_helperIslLj256ELj8ELb1EE4sortIPKsPsPKlPlEEbT_T0_T1_T2_jjjjRNS3_12storage_typeE.uses_flat_scratch)
	.set _ZN7rocprim17ROCPRIM_400000_NS6detail17trampoline_kernelINS0_14default_configENS1_36segmented_radix_sort_config_selectorIslEEZNS1_25segmented_radix_sort_implIS3_Lb1EPKsPsPKlPlN2at6native12_GLOBAL__N_18offset_tEEE10hipError_tPvRmT1_PNSt15iterator_traitsISK_E10value_typeET2_T3_PNSL_ISQ_E10value_typeET4_jRbjT5_SW_jjP12ihipStream_tbEUlT_E_NS1_11comp_targetILNS1_3genE10ELNS1_11target_archE1201ELNS1_3gpuE5ELNS1_3repE0EEENS1_30default_config_static_selectorELNS0_4arch9wavefront6targetE0EEEvSK_.has_dyn_sized_stack, or(0, .L_ZN7rocprim17ROCPRIM_400000_NS6detail40segmented_radix_sort_single_block_helperIslLj256ELj8ELb1EE4sortIPKsPsPKlPlEEbT_T0_T1_T2_jjjjRNS3_12storage_typeE.has_dyn_sized_stack)
	.set _ZN7rocprim17ROCPRIM_400000_NS6detail17trampoline_kernelINS0_14default_configENS1_36segmented_radix_sort_config_selectorIslEEZNS1_25segmented_radix_sort_implIS3_Lb1EPKsPsPKlPlN2at6native12_GLOBAL__N_18offset_tEEE10hipError_tPvRmT1_PNSt15iterator_traitsISK_E10value_typeET2_T3_PNSL_ISQ_E10value_typeET4_jRbjT5_SW_jjP12ihipStream_tbEUlT_E_NS1_11comp_targetILNS1_3genE10ELNS1_11target_archE1201ELNS1_3gpuE5ELNS1_3repE0EEENS1_30default_config_static_selectorELNS0_4arch9wavefront6targetE0EEEvSK_.has_recursion, or(0, .L_ZN7rocprim17ROCPRIM_400000_NS6detail40segmented_radix_sort_single_block_helperIslLj256ELj8ELb1EE4sortIPKsPsPKlPlEEbT_T0_T1_T2_jjjjRNS3_12storage_typeE.has_recursion)
	.set _ZN7rocprim17ROCPRIM_400000_NS6detail17trampoline_kernelINS0_14default_configENS1_36segmented_radix_sort_config_selectorIslEEZNS1_25segmented_radix_sort_implIS3_Lb1EPKsPsPKlPlN2at6native12_GLOBAL__N_18offset_tEEE10hipError_tPvRmT1_PNSt15iterator_traitsISK_E10value_typeET2_T3_PNSL_ISQ_E10value_typeET4_jRbjT5_SW_jjP12ihipStream_tbEUlT_E_NS1_11comp_targetILNS1_3genE10ELNS1_11target_archE1201ELNS1_3gpuE5ELNS1_3repE0EEENS1_30default_config_static_selectorELNS0_4arch9wavefront6targetE0EEEvSK_.has_indirect_call, or(0, .L_ZN7rocprim17ROCPRIM_400000_NS6detail40segmented_radix_sort_single_block_helperIslLj256ELj8ELb1EE4sortIPKsPsPKlPlEEbT_T0_T1_T2_jjjjRNS3_12storage_typeE.has_indirect_call)
	.section	.AMDGPU.csdata,"",@progbits
; Kernel info:
; codeLenInByte = 43656
; TotalNumSgprs: 52
; NumVgprs: 198
; ScratchSize: 0
; MemoryBound: 0
; FloatMode: 240
; IeeeMode: 1
; LDSByteSize: 17440 bytes/workgroup (compile time only)
; SGPRBlocks: 0
; VGPRBlocks: 24
; NumSGPRsForWavesPerEU: 52
; NumVGPRsForWavesPerEU: 198
; Occupancy: 7
; WaveLimiterHint : 1
; COMPUTE_PGM_RSRC2:SCRATCH_EN: 0
; COMPUTE_PGM_RSRC2:USER_SGPR: 2
; COMPUTE_PGM_RSRC2:TRAP_HANDLER: 0
; COMPUTE_PGM_RSRC2:TGID_X_EN: 1
; COMPUTE_PGM_RSRC2:TGID_Y_EN: 1
; COMPUTE_PGM_RSRC2:TGID_Z_EN: 0
; COMPUTE_PGM_RSRC2:TIDIG_COMP_CNT: 2
	.section	.text._ZN7rocprim17ROCPRIM_400000_NS6detail17trampoline_kernelINS0_14default_configENS1_36segmented_radix_sort_config_selectorIslEEZNS1_25segmented_radix_sort_implIS3_Lb1EPKsPsPKlPlN2at6native12_GLOBAL__N_18offset_tEEE10hipError_tPvRmT1_PNSt15iterator_traitsISK_E10value_typeET2_T3_PNSL_ISQ_E10value_typeET4_jRbjT5_SW_jjP12ihipStream_tbEUlT_E_NS1_11comp_targetILNS1_3genE10ELNS1_11target_archE1200ELNS1_3gpuE4ELNS1_3repE0EEENS1_30default_config_static_selectorELNS0_4arch9wavefront6targetE0EEEvSK_,"axG",@progbits,_ZN7rocprim17ROCPRIM_400000_NS6detail17trampoline_kernelINS0_14default_configENS1_36segmented_radix_sort_config_selectorIslEEZNS1_25segmented_radix_sort_implIS3_Lb1EPKsPsPKlPlN2at6native12_GLOBAL__N_18offset_tEEE10hipError_tPvRmT1_PNSt15iterator_traitsISK_E10value_typeET2_T3_PNSL_ISQ_E10value_typeET4_jRbjT5_SW_jjP12ihipStream_tbEUlT_E_NS1_11comp_targetILNS1_3genE10ELNS1_11target_archE1200ELNS1_3gpuE4ELNS1_3repE0EEENS1_30default_config_static_selectorELNS0_4arch9wavefront6targetE0EEEvSK_,comdat
	.globl	_ZN7rocprim17ROCPRIM_400000_NS6detail17trampoline_kernelINS0_14default_configENS1_36segmented_radix_sort_config_selectorIslEEZNS1_25segmented_radix_sort_implIS3_Lb1EPKsPsPKlPlN2at6native12_GLOBAL__N_18offset_tEEE10hipError_tPvRmT1_PNSt15iterator_traitsISK_E10value_typeET2_T3_PNSL_ISQ_E10value_typeET4_jRbjT5_SW_jjP12ihipStream_tbEUlT_E_NS1_11comp_targetILNS1_3genE10ELNS1_11target_archE1200ELNS1_3gpuE4ELNS1_3repE0EEENS1_30default_config_static_selectorELNS0_4arch9wavefront6targetE0EEEvSK_ ; -- Begin function _ZN7rocprim17ROCPRIM_400000_NS6detail17trampoline_kernelINS0_14default_configENS1_36segmented_radix_sort_config_selectorIslEEZNS1_25segmented_radix_sort_implIS3_Lb1EPKsPsPKlPlN2at6native12_GLOBAL__N_18offset_tEEE10hipError_tPvRmT1_PNSt15iterator_traitsISK_E10value_typeET2_T3_PNSL_ISQ_E10value_typeET4_jRbjT5_SW_jjP12ihipStream_tbEUlT_E_NS1_11comp_targetILNS1_3genE10ELNS1_11target_archE1200ELNS1_3gpuE4ELNS1_3repE0EEENS1_30default_config_static_selectorELNS0_4arch9wavefront6targetE0EEEvSK_
	.p2align	8
	.type	_ZN7rocprim17ROCPRIM_400000_NS6detail17trampoline_kernelINS0_14default_configENS1_36segmented_radix_sort_config_selectorIslEEZNS1_25segmented_radix_sort_implIS3_Lb1EPKsPsPKlPlN2at6native12_GLOBAL__N_18offset_tEEE10hipError_tPvRmT1_PNSt15iterator_traitsISK_E10value_typeET2_T3_PNSL_ISQ_E10value_typeET4_jRbjT5_SW_jjP12ihipStream_tbEUlT_E_NS1_11comp_targetILNS1_3genE10ELNS1_11target_archE1200ELNS1_3gpuE4ELNS1_3repE0EEENS1_30default_config_static_selectorELNS0_4arch9wavefront6targetE0EEEvSK_,@function
_ZN7rocprim17ROCPRIM_400000_NS6detail17trampoline_kernelINS0_14default_configENS1_36segmented_radix_sort_config_selectorIslEEZNS1_25segmented_radix_sort_implIS3_Lb1EPKsPsPKlPlN2at6native12_GLOBAL__N_18offset_tEEE10hipError_tPvRmT1_PNSt15iterator_traitsISK_E10value_typeET2_T3_PNSL_ISQ_E10value_typeET4_jRbjT5_SW_jjP12ihipStream_tbEUlT_E_NS1_11comp_targetILNS1_3genE10ELNS1_11target_archE1200ELNS1_3gpuE4ELNS1_3repE0EEENS1_30default_config_static_selectorELNS0_4arch9wavefront6targetE0EEEvSK_: ; @_ZN7rocprim17ROCPRIM_400000_NS6detail17trampoline_kernelINS0_14default_configENS1_36segmented_radix_sort_config_selectorIslEEZNS1_25segmented_radix_sort_implIS3_Lb1EPKsPsPKlPlN2at6native12_GLOBAL__N_18offset_tEEE10hipError_tPvRmT1_PNSt15iterator_traitsISK_E10value_typeET2_T3_PNSL_ISQ_E10value_typeET4_jRbjT5_SW_jjP12ihipStream_tbEUlT_E_NS1_11comp_targetILNS1_3genE10ELNS1_11target_archE1200ELNS1_3gpuE4ELNS1_3repE0EEENS1_30default_config_static_selectorELNS0_4arch9wavefront6targetE0EEEvSK_
; %bb.0:
	.section	.rodata,"a",@progbits
	.p2align	6, 0x0
	.amdhsa_kernel _ZN7rocprim17ROCPRIM_400000_NS6detail17trampoline_kernelINS0_14default_configENS1_36segmented_radix_sort_config_selectorIslEEZNS1_25segmented_radix_sort_implIS3_Lb1EPKsPsPKlPlN2at6native12_GLOBAL__N_18offset_tEEE10hipError_tPvRmT1_PNSt15iterator_traitsISK_E10value_typeET2_T3_PNSL_ISQ_E10value_typeET4_jRbjT5_SW_jjP12ihipStream_tbEUlT_E_NS1_11comp_targetILNS1_3genE10ELNS1_11target_archE1200ELNS1_3gpuE4ELNS1_3repE0EEENS1_30default_config_static_selectorELNS0_4arch9wavefront6targetE0EEEvSK_
		.amdhsa_group_segment_fixed_size 0
		.amdhsa_private_segment_fixed_size 0
		.amdhsa_kernarg_size 96
		.amdhsa_user_sgpr_count 2
		.amdhsa_user_sgpr_dispatch_ptr 0
		.amdhsa_user_sgpr_queue_ptr 0
		.amdhsa_user_sgpr_kernarg_segment_ptr 1
		.amdhsa_user_sgpr_dispatch_id 0
		.amdhsa_user_sgpr_private_segment_size 0
		.amdhsa_wavefront_size32 1
		.amdhsa_uses_dynamic_stack 0
		.amdhsa_enable_private_segment 0
		.amdhsa_system_sgpr_workgroup_id_x 1
		.amdhsa_system_sgpr_workgroup_id_y 0
		.amdhsa_system_sgpr_workgroup_id_z 0
		.amdhsa_system_sgpr_workgroup_info 0
		.amdhsa_system_vgpr_workitem_id 0
		.amdhsa_next_free_vgpr 1
		.amdhsa_next_free_sgpr 1
		.amdhsa_reserve_vcc 0
		.amdhsa_float_round_mode_32 0
		.amdhsa_float_round_mode_16_64 0
		.amdhsa_float_denorm_mode_32 3
		.amdhsa_float_denorm_mode_16_64 3
		.amdhsa_fp16_overflow 0
		.amdhsa_workgroup_processor_mode 1
		.amdhsa_memory_ordered 1
		.amdhsa_forward_progress 1
		.amdhsa_inst_pref_size 0
		.amdhsa_round_robin_scheduling 0
		.amdhsa_exception_fp_ieee_invalid_op 0
		.amdhsa_exception_fp_denorm_src 0
		.amdhsa_exception_fp_ieee_div_zero 0
		.amdhsa_exception_fp_ieee_overflow 0
		.amdhsa_exception_fp_ieee_underflow 0
		.amdhsa_exception_fp_ieee_inexact 0
		.amdhsa_exception_int_div_zero 0
	.end_amdhsa_kernel
	.section	.text._ZN7rocprim17ROCPRIM_400000_NS6detail17trampoline_kernelINS0_14default_configENS1_36segmented_radix_sort_config_selectorIslEEZNS1_25segmented_radix_sort_implIS3_Lb1EPKsPsPKlPlN2at6native12_GLOBAL__N_18offset_tEEE10hipError_tPvRmT1_PNSt15iterator_traitsISK_E10value_typeET2_T3_PNSL_ISQ_E10value_typeET4_jRbjT5_SW_jjP12ihipStream_tbEUlT_E_NS1_11comp_targetILNS1_3genE10ELNS1_11target_archE1200ELNS1_3gpuE4ELNS1_3repE0EEENS1_30default_config_static_selectorELNS0_4arch9wavefront6targetE0EEEvSK_,"axG",@progbits,_ZN7rocprim17ROCPRIM_400000_NS6detail17trampoline_kernelINS0_14default_configENS1_36segmented_radix_sort_config_selectorIslEEZNS1_25segmented_radix_sort_implIS3_Lb1EPKsPsPKlPlN2at6native12_GLOBAL__N_18offset_tEEE10hipError_tPvRmT1_PNSt15iterator_traitsISK_E10value_typeET2_T3_PNSL_ISQ_E10value_typeET4_jRbjT5_SW_jjP12ihipStream_tbEUlT_E_NS1_11comp_targetILNS1_3genE10ELNS1_11target_archE1200ELNS1_3gpuE4ELNS1_3repE0EEENS1_30default_config_static_selectorELNS0_4arch9wavefront6targetE0EEEvSK_,comdat
.Lfunc_end918:
	.size	_ZN7rocprim17ROCPRIM_400000_NS6detail17trampoline_kernelINS0_14default_configENS1_36segmented_radix_sort_config_selectorIslEEZNS1_25segmented_radix_sort_implIS3_Lb1EPKsPsPKlPlN2at6native12_GLOBAL__N_18offset_tEEE10hipError_tPvRmT1_PNSt15iterator_traitsISK_E10value_typeET2_T3_PNSL_ISQ_E10value_typeET4_jRbjT5_SW_jjP12ihipStream_tbEUlT_E_NS1_11comp_targetILNS1_3genE10ELNS1_11target_archE1200ELNS1_3gpuE4ELNS1_3repE0EEENS1_30default_config_static_selectorELNS0_4arch9wavefront6targetE0EEEvSK_, .Lfunc_end918-_ZN7rocprim17ROCPRIM_400000_NS6detail17trampoline_kernelINS0_14default_configENS1_36segmented_radix_sort_config_selectorIslEEZNS1_25segmented_radix_sort_implIS3_Lb1EPKsPsPKlPlN2at6native12_GLOBAL__N_18offset_tEEE10hipError_tPvRmT1_PNSt15iterator_traitsISK_E10value_typeET2_T3_PNSL_ISQ_E10value_typeET4_jRbjT5_SW_jjP12ihipStream_tbEUlT_E_NS1_11comp_targetILNS1_3genE10ELNS1_11target_archE1200ELNS1_3gpuE4ELNS1_3repE0EEENS1_30default_config_static_selectorELNS0_4arch9wavefront6targetE0EEEvSK_
                                        ; -- End function
	.set _ZN7rocprim17ROCPRIM_400000_NS6detail17trampoline_kernelINS0_14default_configENS1_36segmented_radix_sort_config_selectorIslEEZNS1_25segmented_radix_sort_implIS3_Lb1EPKsPsPKlPlN2at6native12_GLOBAL__N_18offset_tEEE10hipError_tPvRmT1_PNSt15iterator_traitsISK_E10value_typeET2_T3_PNSL_ISQ_E10value_typeET4_jRbjT5_SW_jjP12ihipStream_tbEUlT_E_NS1_11comp_targetILNS1_3genE10ELNS1_11target_archE1200ELNS1_3gpuE4ELNS1_3repE0EEENS1_30default_config_static_selectorELNS0_4arch9wavefront6targetE0EEEvSK_.num_vgpr, 0
	.set _ZN7rocprim17ROCPRIM_400000_NS6detail17trampoline_kernelINS0_14default_configENS1_36segmented_radix_sort_config_selectorIslEEZNS1_25segmented_radix_sort_implIS3_Lb1EPKsPsPKlPlN2at6native12_GLOBAL__N_18offset_tEEE10hipError_tPvRmT1_PNSt15iterator_traitsISK_E10value_typeET2_T3_PNSL_ISQ_E10value_typeET4_jRbjT5_SW_jjP12ihipStream_tbEUlT_E_NS1_11comp_targetILNS1_3genE10ELNS1_11target_archE1200ELNS1_3gpuE4ELNS1_3repE0EEENS1_30default_config_static_selectorELNS0_4arch9wavefront6targetE0EEEvSK_.num_agpr, 0
	.set _ZN7rocprim17ROCPRIM_400000_NS6detail17trampoline_kernelINS0_14default_configENS1_36segmented_radix_sort_config_selectorIslEEZNS1_25segmented_radix_sort_implIS3_Lb1EPKsPsPKlPlN2at6native12_GLOBAL__N_18offset_tEEE10hipError_tPvRmT1_PNSt15iterator_traitsISK_E10value_typeET2_T3_PNSL_ISQ_E10value_typeET4_jRbjT5_SW_jjP12ihipStream_tbEUlT_E_NS1_11comp_targetILNS1_3genE10ELNS1_11target_archE1200ELNS1_3gpuE4ELNS1_3repE0EEENS1_30default_config_static_selectorELNS0_4arch9wavefront6targetE0EEEvSK_.numbered_sgpr, 0
	.set _ZN7rocprim17ROCPRIM_400000_NS6detail17trampoline_kernelINS0_14default_configENS1_36segmented_radix_sort_config_selectorIslEEZNS1_25segmented_radix_sort_implIS3_Lb1EPKsPsPKlPlN2at6native12_GLOBAL__N_18offset_tEEE10hipError_tPvRmT1_PNSt15iterator_traitsISK_E10value_typeET2_T3_PNSL_ISQ_E10value_typeET4_jRbjT5_SW_jjP12ihipStream_tbEUlT_E_NS1_11comp_targetILNS1_3genE10ELNS1_11target_archE1200ELNS1_3gpuE4ELNS1_3repE0EEENS1_30default_config_static_selectorELNS0_4arch9wavefront6targetE0EEEvSK_.num_named_barrier, 0
	.set _ZN7rocprim17ROCPRIM_400000_NS6detail17trampoline_kernelINS0_14default_configENS1_36segmented_radix_sort_config_selectorIslEEZNS1_25segmented_radix_sort_implIS3_Lb1EPKsPsPKlPlN2at6native12_GLOBAL__N_18offset_tEEE10hipError_tPvRmT1_PNSt15iterator_traitsISK_E10value_typeET2_T3_PNSL_ISQ_E10value_typeET4_jRbjT5_SW_jjP12ihipStream_tbEUlT_E_NS1_11comp_targetILNS1_3genE10ELNS1_11target_archE1200ELNS1_3gpuE4ELNS1_3repE0EEENS1_30default_config_static_selectorELNS0_4arch9wavefront6targetE0EEEvSK_.private_seg_size, 0
	.set _ZN7rocprim17ROCPRIM_400000_NS6detail17trampoline_kernelINS0_14default_configENS1_36segmented_radix_sort_config_selectorIslEEZNS1_25segmented_radix_sort_implIS3_Lb1EPKsPsPKlPlN2at6native12_GLOBAL__N_18offset_tEEE10hipError_tPvRmT1_PNSt15iterator_traitsISK_E10value_typeET2_T3_PNSL_ISQ_E10value_typeET4_jRbjT5_SW_jjP12ihipStream_tbEUlT_E_NS1_11comp_targetILNS1_3genE10ELNS1_11target_archE1200ELNS1_3gpuE4ELNS1_3repE0EEENS1_30default_config_static_selectorELNS0_4arch9wavefront6targetE0EEEvSK_.uses_vcc, 0
	.set _ZN7rocprim17ROCPRIM_400000_NS6detail17trampoline_kernelINS0_14default_configENS1_36segmented_radix_sort_config_selectorIslEEZNS1_25segmented_radix_sort_implIS3_Lb1EPKsPsPKlPlN2at6native12_GLOBAL__N_18offset_tEEE10hipError_tPvRmT1_PNSt15iterator_traitsISK_E10value_typeET2_T3_PNSL_ISQ_E10value_typeET4_jRbjT5_SW_jjP12ihipStream_tbEUlT_E_NS1_11comp_targetILNS1_3genE10ELNS1_11target_archE1200ELNS1_3gpuE4ELNS1_3repE0EEENS1_30default_config_static_selectorELNS0_4arch9wavefront6targetE0EEEvSK_.uses_flat_scratch, 0
	.set _ZN7rocprim17ROCPRIM_400000_NS6detail17trampoline_kernelINS0_14default_configENS1_36segmented_radix_sort_config_selectorIslEEZNS1_25segmented_radix_sort_implIS3_Lb1EPKsPsPKlPlN2at6native12_GLOBAL__N_18offset_tEEE10hipError_tPvRmT1_PNSt15iterator_traitsISK_E10value_typeET2_T3_PNSL_ISQ_E10value_typeET4_jRbjT5_SW_jjP12ihipStream_tbEUlT_E_NS1_11comp_targetILNS1_3genE10ELNS1_11target_archE1200ELNS1_3gpuE4ELNS1_3repE0EEENS1_30default_config_static_selectorELNS0_4arch9wavefront6targetE0EEEvSK_.has_dyn_sized_stack, 0
	.set _ZN7rocprim17ROCPRIM_400000_NS6detail17trampoline_kernelINS0_14default_configENS1_36segmented_radix_sort_config_selectorIslEEZNS1_25segmented_radix_sort_implIS3_Lb1EPKsPsPKlPlN2at6native12_GLOBAL__N_18offset_tEEE10hipError_tPvRmT1_PNSt15iterator_traitsISK_E10value_typeET2_T3_PNSL_ISQ_E10value_typeET4_jRbjT5_SW_jjP12ihipStream_tbEUlT_E_NS1_11comp_targetILNS1_3genE10ELNS1_11target_archE1200ELNS1_3gpuE4ELNS1_3repE0EEENS1_30default_config_static_selectorELNS0_4arch9wavefront6targetE0EEEvSK_.has_recursion, 0
	.set _ZN7rocprim17ROCPRIM_400000_NS6detail17trampoline_kernelINS0_14default_configENS1_36segmented_radix_sort_config_selectorIslEEZNS1_25segmented_radix_sort_implIS3_Lb1EPKsPsPKlPlN2at6native12_GLOBAL__N_18offset_tEEE10hipError_tPvRmT1_PNSt15iterator_traitsISK_E10value_typeET2_T3_PNSL_ISQ_E10value_typeET4_jRbjT5_SW_jjP12ihipStream_tbEUlT_E_NS1_11comp_targetILNS1_3genE10ELNS1_11target_archE1200ELNS1_3gpuE4ELNS1_3repE0EEENS1_30default_config_static_selectorELNS0_4arch9wavefront6targetE0EEEvSK_.has_indirect_call, 0
	.section	.AMDGPU.csdata,"",@progbits
; Kernel info:
; codeLenInByte = 0
; TotalNumSgprs: 0
; NumVgprs: 0
; ScratchSize: 0
; MemoryBound: 0
; FloatMode: 240
; IeeeMode: 1
; LDSByteSize: 0 bytes/workgroup (compile time only)
; SGPRBlocks: 0
; VGPRBlocks: 0
; NumSGPRsForWavesPerEU: 1
; NumVGPRsForWavesPerEU: 1
; Occupancy: 16
; WaveLimiterHint : 0
; COMPUTE_PGM_RSRC2:SCRATCH_EN: 0
; COMPUTE_PGM_RSRC2:USER_SGPR: 2
; COMPUTE_PGM_RSRC2:TRAP_HANDLER: 0
; COMPUTE_PGM_RSRC2:TGID_X_EN: 1
; COMPUTE_PGM_RSRC2:TGID_Y_EN: 0
; COMPUTE_PGM_RSRC2:TGID_Z_EN: 0
; COMPUTE_PGM_RSRC2:TIDIG_COMP_CNT: 0
	.section	.text._ZN7rocprim17ROCPRIM_400000_NS6detail17trampoline_kernelINS0_14default_configENS1_36segmented_radix_sort_config_selectorIslEEZNS1_25segmented_radix_sort_implIS3_Lb1EPKsPsPKlPlN2at6native12_GLOBAL__N_18offset_tEEE10hipError_tPvRmT1_PNSt15iterator_traitsISK_E10value_typeET2_T3_PNSL_ISQ_E10value_typeET4_jRbjT5_SW_jjP12ihipStream_tbEUlT_E_NS1_11comp_targetILNS1_3genE9ELNS1_11target_archE1100ELNS1_3gpuE3ELNS1_3repE0EEENS1_30default_config_static_selectorELNS0_4arch9wavefront6targetE0EEEvSK_,"axG",@progbits,_ZN7rocprim17ROCPRIM_400000_NS6detail17trampoline_kernelINS0_14default_configENS1_36segmented_radix_sort_config_selectorIslEEZNS1_25segmented_radix_sort_implIS3_Lb1EPKsPsPKlPlN2at6native12_GLOBAL__N_18offset_tEEE10hipError_tPvRmT1_PNSt15iterator_traitsISK_E10value_typeET2_T3_PNSL_ISQ_E10value_typeET4_jRbjT5_SW_jjP12ihipStream_tbEUlT_E_NS1_11comp_targetILNS1_3genE9ELNS1_11target_archE1100ELNS1_3gpuE3ELNS1_3repE0EEENS1_30default_config_static_selectorELNS0_4arch9wavefront6targetE0EEEvSK_,comdat
	.globl	_ZN7rocprim17ROCPRIM_400000_NS6detail17trampoline_kernelINS0_14default_configENS1_36segmented_radix_sort_config_selectorIslEEZNS1_25segmented_radix_sort_implIS3_Lb1EPKsPsPKlPlN2at6native12_GLOBAL__N_18offset_tEEE10hipError_tPvRmT1_PNSt15iterator_traitsISK_E10value_typeET2_T3_PNSL_ISQ_E10value_typeET4_jRbjT5_SW_jjP12ihipStream_tbEUlT_E_NS1_11comp_targetILNS1_3genE9ELNS1_11target_archE1100ELNS1_3gpuE3ELNS1_3repE0EEENS1_30default_config_static_selectorELNS0_4arch9wavefront6targetE0EEEvSK_ ; -- Begin function _ZN7rocprim17ROCPRIM_400000_NS6detail17trampoline_kernelINS0_14default_configENS1_36segmented_radix_sort_config_selectorIslEEZNS1_25segmented_radix_sort_implIS3_Lb1EPKsPsPKlPlN2at6native12_GLOBAL__N_18offset_tEEE10hipError_tPvRmT1_PNSt15iterator_traitsISK_E10value_typeET2_T3_PNSL_ISQ_E10value_typeET4_jRbjT5_SW_jjP12ihipStream_tbEUlT_E_NS1_11comp_targetILNS1_3genE9ELNS1_11target_archE1100ELNS1_3gpuE3ELNS1_3repE0EEENS1_30default_config_static_selectorELNS0_4arch9wavefront6targetE0EEEvSK_
	.p2align	8
	.type	_ZN7rocprim17ROCPRIM_400000_NS6detail17trampoline_kernelINS0_14default_configENS1_36segmented_radix_sort_config_selectorIslEEZNS1_25segmented_radix_sort_implIS3_Lb1EPKsPsPKlPlN2at6native12_GLOBAL__N_18offset_tEEE10hipError_tPvRmT1_PNSt15iterator_traitsISK_E10value_typeET2_T3_PNSL_ISQ_E10value_typeET4_jRbjT5_SW_jjP12ihipStream_tbEUlT_E_NS1_11comp_targetILNS1_3genE9ELNS1_11target_archE1100ELNS1_3gpuE3ELNS1_3repE0EEENS1_30default_config_static_selectorELNS0_4arch9wavefront6targetE0EEEvSK_,@function
_ZN7rocprim17ROCPRIM_400000_NS6detail17trampoline_kernelINS0_14default_configENS1_36segmented_radix_sort_config_selectorIslEEZNS1_25segmented_radix_sort_implIS3_Lb1EPKsPsPKlPlN2at6native12_GLOBAL__N_18offset_tEEE10hipError_tPvRmT1_PNSt15iterator_traitsISK_E10value_typeET2_T3_PNSL_ISQ_E10value_typeET4_jRbjT5_SW_jjP12ihipStream_tbEUlT_E_NS1_11comp_targetILNS1_3genE9ELNS1_11target_archE1100ELNS1_3gpuE3ELNS1_3repE0EEENS1_30default_config_static_selectorELNS0_4arch9wavefront6targetE0EEEvSK_: ; @_ZN7rocprim17ROCPRIM_400000_NS6detail17trampoline_kernelINS0_14default_configENS1_36segmented_radix_sort_config_selectorIslEEZNS1_25segmented_radix_sort_implIS3_Lb1EPKsPsPKlPlN2at6native12_GLOBAL__N_18offset_tEEE10hipError_tPvRmT1_PNSt15iterator_traitsISK_E10value_typeET2_T3_PNSL_ISQ_E10value_typeET4_jRbjT5_SW_jjP12ihipStream_tbEUlT_E_NS1_11comp_targetILNS1_3genE9ELNS1_11target_archE1100ELNS1_3gpuE3ELNS1_3repE0EEENS1_30default_config_static_selectorELNS0_4arch9wavefront6targetE0EEEvSK_
; %bb.0:
	.section	.rodata,"a",@progbits
	.p2align	6, 0x0
	.amdhsa_kernel _ZN7rocprim17ROCPRIM_400000_NS6detail17trampoline_kernelINS0_14default_configENS1_36segmented_radix_sort_config_selectorIslEEZNS1_25segmented_radix_sort_implIS3_Lb1EPKsPsPKlPlN2at6native12_GLOBAL__N_18offset_tEEE10hipError_tPvRmT1_PNSt15iterator_traitsISK_E10value_typeET2_T3_PNSL_ISQ_E10value_typeET4_jRbjT5_SW_jjP12ihipStream_tbEUlT_E_NS1_11comp_targetILNS1_3genE9ELNS1_11target_archE1100ELNS1_3gpuE3ELNS1_3repE0EEENS1_30default_config_static_selectorELNS0_4arch9wavefront6targetE0EEEvSK_
		.amdhsa_group_segment_fixed_size 0
		.amdhsa_private_segment_fixed_size 0
		.amdhsa_kernarg_size 96
		.amdhsa_user_sgpr_count 2
		.amdhsa_user_sgpr_dispatch_ptr 0
		.amdhsa_user_sgpr_queue_ptr 0
		.amdhsa_user_sgpr_kernarg_segment_ptr 1
		.amdhsa_user_sgpr_dispatch_id 0
		.amdhsa_user_sgpr_private_segment_size 0
		.amdhsa_wavefront_size32 1
		.amdhsa_uses_dynamic_stack 0
		.amdhsa_enable_private_segment 0
		.amdhsa_system_sgpr_workgroup_id_x 1
		.amdhsa_system_sgpr_workgroup_id_y 0
		.amdhsa_system_sgpr_workgroup_id_z 0
		.amdhsa_system_sgpr_workgroup_info 0
		.amdhsa_system_vgpr_workitem_id 0
		.amdhsa_next_free_vgpr 1
		.amdhsa_next_free_sgpr 1
		.amdhsa_reserve_vcc 0
		.amdhsa_float_round_mode_32 0
		.amdhsa_float_round_mode_16_64 0
		.amdhsa_float_denorm_mode_32 3
		.amdhsa_float_denorm_mode_16_64 3
		.amdhsa_fp16_overflow 0
		.amdhsa_workgroup_processor_mode 1
		.amdhsa_memory_ordered 1
		.amdhsa_forward_progress 1
		.amdhsa_inst_pref_size 0
		.amdhsa_round_robin_scheduling 0
		.amdhsa_exception_fp_ieee_invalid_op 0
		.amdhsa_exception_fp_denorm_src 0
		.amdhsa_exception_fp_ieee_div_zero 0
		.amdhsa_exception_fp_ieee_overflow 0
		.amdhsa_exception_fp_ieee_underflow 0
		.amdhsa_exception_fp_ieee_inexact 0
		.amdhsa_exception_int_div_zero 0
	.end_amdhsa_kernel
	.section	.text._ZN7rocprim17ROCPRIM_400000_NS6detail17trampoline_kernelINS0_14default_configENS1_36segmented_radix_sort_config_selectorIslEEZNS1_25segmented_radix_sort_implIS3_Lb1EPKsPsPKlPlN2at6native12_GLOBAL__N_18offset_tEEE10hipError_tPvRmT1_PNSt15iterator_traitsISK_E10value_typeET2_T3_PNSL_ISQ_E10value_typeET4_jRbjT5_SW_jjP12ihipStream_tbEUlT_E_NS1_11comp_targetILNS1_3genE9ELNS1_11target_archE1100ELNS1_3gpuE3ELNS1_3repE0EEENS1_30default_config_static_selectorELNS0_4arch9wavefront6targetE0EEEvSK_,"axG",@progbits,_ZN7rocprim17ROCPRIM_400000_NS6detail17trampoline_kernelINS0_14default_configENS1_36segmented_radix_sort_config_selectorIslEEZNS1_25segmented_radix_sort_implIS3_Lb1EPKsPsPKlPlN2at6native12_GLOBAL__N_18offset_tEEE10hipError_tPvRmT1_PNSt15iterator_traitsISK_E10value_typeET2_T3_PNSL_ISQ_E10value_typeET4_jRbjT5_SW_jjP12ihipStream_tbEUlT_E_NS1_11comp_targetILNS1_3genE9ELNS1_11target_archE1100ELNS1_3gpuE3ELNS1_3repE0EEENS1_30default_config_static_selectorELNS0_4arch9wavefront6targetE0EEEvSK_,comdat
.Lfunc_end919:
	.size	_ZN7rocprim17ROCPRIM_400000_NS6detail17trampoline_kernelINS0_14default_configENS1_36segmented_radix_sort_config_selectorIslEEZNS1_25segmented_radix_sort_implIS3_Lb1EPKsPsPKlPlN2at6native12_GLOBAL__N_18offset_tEEE10hipError_tPvRmT1_PNSt15iterator_traitsISK_E10value_typeET2_T3_PNSL_ISQ_E10value_typeET4_jRbjT5_SW_jjP12ihipStream_tbEUlT_E_NS1_11comp_targetILNS1_3genE9ELNS1_11target_archE1100ELNS1_3gpuE3ELNS1_3repE0EEENS1_30default_config_static_selectorELNS0_4arch9wavefront6targetE0EEEvSK_, .Lfunc_end919-_ZN7rocprim17ROCPRIM_400000_NS6detail17trampoline_kernelINS0_14default_configENS1_36segmented_radix_sort_config_selectorIslEEZNS1_25segmented_radix_sort_implIS3_Lb1EPKsPsPKlPlN2at6native12_GLOBAL__N_18offset_tEEE10hipError_tPvRmT1_PNSt15iterator_traitsISK_E10value_typeET2_T3_PNSL_ISQ_E10value_typeET4_jRbjT5_SW_jjP12ihipStream_tbEUlT_E_NS1_11comp_targetILNS1_3genE9ELNS1_11target_archE1100ELNS1_3gpuE3ELNS1_3repE0EEENS1_30default_config_static_selectorELNS0_4arch9wavefront6targetE0EEEvSK_
                                        ; -- End function
	.set _ZN7rocprim17ROCPRIM_400000_NS6detail17trampoline_kernelINS0_14default_configENS1_36segmented_radix_sort_config_selectorIslEEZNS1_25segmented_radix_sort_implIS3_Lb1EPKsPsPKlPlN2at6native12_GLOBAL__N_18offset_tEEE10hipError_tPvRmT1_PNSt15iterator_traitsISK_E10value_typeET2_T3_PNSL_ISQ_E10value_typeET4_jRbjT5_SW_jjP12ihipStream_tbEUlT_E_NS1_11comp_targetILNS1_3genE9ELNS1_11target_archE1100ELNS1_3gpuE3ELNS1_3repE0EEENS1_30default_config_static_selectorELNS0_4arch9wavefront6targetE0EEEvSK_.num_vgpr, 0
	.set _ZN7rocprim17ROCPRIM_400000_NS6detail17trampoline_kernelINS0_14default_configENS1_36segmented_radix_sort_config_selectorIslEEZNS1_25segmented_radix_sort_implIS3_Lb1EPKsPsPKlPlN2at6native12_GLOBAL__N_18offset_tEEE10hipError_tPvRmT1_PNSt15iterator_traitsISK_E10value_typeET2_T3_PNSL_ISQ_E10value_typeET4_jRbjT5_SW_jjP12ihipStream_tbEUlT_E_NS1_11comp_targetILNS1_3genE9ELNS1_11target_archE1100ELNS1_3gpuE3ELNS1_3repE0EEENS1_30default_config_static_selectorELNS0_4arch9wavefront6targetE0EEEvSK_.num_agpr, 0
	.set _ZN7rocprim17ROCPRIM_400000_NS6detail17trampoline_kernelINS0_14default_configENS1_36segmented_radix_sort_config_selectorIslEEZNS1_25segmented_radix_sort_implIS3_Lb1EPKsPsPKlPlN2at6native12_GLOBAL__N_18offset_tEEE10hipError_tPvRmT1_PNSt15iterator_traitsISK_E10value_typeET2_T3_PNSL_ISQ_E10value_typeET4_jRbjT5_SW_jjP12ihipStream_tbEUlT_E_NS1_11comp_targetILNS1_3genE9ELNS1_11target_archE1100ELNS1_3gpuE3ELNS1_3repE0EEENS1_30default_config_static_selectorELNS0_4arch9wavefront6targetE0EEEvSK_.numbered_sgpr, 0
	.set _ZN7rocprim17ROCPRIM_400000_NS6detail17trampoline_kernelINS0_14default_configENS1_36segmented_radix_sort_config_selectorIslEEZNS1_25segmented_radix_sort_implIS3_Lb1EPKsPsPKlPlN2at6native12_GLOBAL__N_18offset_tEEE10hipError_tPvRmT1_PNSt15iterator_traitsISK_E10value_typeET2_T3_PNSL_ISQ_E10value_typeET4_jRbjT5_SW_jjP12ihipStream_tbEUlT_E_NS1_11comp_targetILNS1_3genE9ELNS1_11target_archE1100ELNS1_3gpuE3ELNS1_3repE0EEENS1_30default_config_static_selectorELNS0_4arch9wavefront6targetE0EEEvSK_.num_named_barrier, 0
	.set _ZN7rocprim17ROCPRIM_400000_NS6detail17trampoline_kernelINS0_14default_configENS1_36segmented_radix_sort_config_selectorIslEEZNS1_25segmented_radix_sort_implIS3_Lb1EPKsPsPKlPlN2at6native12_GLOBAL__N_18offset_tEEE10hipError_tPvRmT1_PNSt15iterator_traitsISK_E10value_typeET2_T3_PNSL_ISQ_E10value_typeET4_jRbjT5_SW_jjP12ihipStream_tbEUlT_E_NS1_11comp_targetILNS1_3genE9ELNS1_11target_archE1100ELNS1_3gpuE3ELNS1_3repE0EEENS1_30default_config_static_selectorELNS0_4arch9wavefront6targetE0EEEvSK_.private_seg_size, 0
	.set _ZN7rocprim17ROCPRIM_400000_NS6detail17trampoline_kernelINS0_14default_configENS1_36segmented_radix_sort_config_selectorIslEEZNS1_25segmented_radix_sort_implIS3_Lb1EPKsPsPKlPlN2at6native12_GLOBAL__N_18offset_tEEE10hipError_tPvRmT1_PNSt15iterator_traitsISK_E10value_typeET2_T3_PNSL_ISQ_E10value_typeET4_jRbjT5_SW_jjP12ihipStream_tbEUlT_E_NS1_11comp_targetILNS1_3genE9ELNS1_11target_archE1100ELNS1_3gpuE3ELNS1_3repE0EEENS1_30default_config_static_selectorELNS0_4arch9wavefront6targetE0EEEvSK_.uses_vcc, 0
	.set _ZN7rocprim17ROCPRIM_400000_NS6detail17trampoline_kernelINS0_14default_configENS1_36segmented_radix_sort_config_selectorIslEEZNS1_25segmented_radix_sort_implIS3_Lb1EPKsPsPKlPlN2at6native12_GLOBAL__N_18offset_tEEE10hipError_tPvRmT1_PNSt15iterator_traitsISK_E10value_typeET2_T3_PNSL_ISQ_E10value_typeET4_jRbjT5_SW_jjP12ihipStream_tbEUlT_E_NS1_11comp_targetILNS1_3genE9ELNS1_11target_archE1100ELNS1_3gpuE3ELNS1_3repE0EEENS1_30default_config_static_selectorELNS0_4arch9wavefront6targetE0EEEvSK_.uses_flat_scratch, 0
	.set _ZN7rocprim17ROCPRIM_400000_NS6detail17trampoline_kernelINS0_14default_configENS1_36segmented_radix_sort_config_selectorIslEEZNS1_25segmented_radix_sort_implIS3_Lb1EPKsPsPKlPlN2at6native12_GLOBAL__N_18offset_tEEE10hipError_tPvRmT1_PNSt15iterator_traitsISK_E10value_typeET2_T3_PNSL_ISQ_E10value_typeET4_jRbjT5_SW_jjP12ihipStream_tbEUlT_E_NS1_11comp_targetILNS1_3genE9ELNS1_11target_archE1100ELNS1_3gpuE3ELNS1_3repE0EEENS1_30default_config_static_selectorELNS0_4arch9wavefront6targetE0EEEvSK_.has_dyn_sized_stack, 0
	.set _ZN7rocprim17ROCPRIM_400000_NS6detail17trampoline_kernelINS0_14default_configENS1_36segmented_radix_sort_config_selectorIslEEZNS1_25segmented_radix_sort_implIS3_Lb1EPKsPsPKlPlN2at6native12_GLOBAL__N_18offset_tEEE10hipError_tPvRmT1_PNSt15iterator_traitsISK_E10value_typeET2_T3_PNSL_ISQ_E10value_typeET4_jRbjT5_SW_jjP12ihipStream_tbEUlT_E_NS1_11comp_targetILNS1_3genE9ELNS1_11target_archE1100ELNS1_3gpuE3ELNS1_3repE0EEENS1_30default_config_static_selectorELNS0_4arch9wavefront6targetE0EEEvSK_.has_recursion, 0
	.set _ZN7rocprim17ROCPRIM_400000_NS6detail17trampoline_kernelINS0_14default_configENS1_36segmented_radix_sort_config_selectorIslEEZNS1_25segmented_radix_sort_implIS3_Lb1EPKsPsPKlPlN2at6native12_GLOBAL__N_18offset_tEEE10hipError_tPvRmT1_PNSt15iterator_traitsISK_E10value_typeET2_T3_PNSL_ISQ_E10value_typeET4_jRbjT5_SW_jjP12ihipStream_tbEUlT_E_NS1_11comp_targetILNS1_3genE9ELNS1_11target_archE1100ELNS1_3gpuE3ELNS1_3repE0EEENS1_30default_config_static_selectorELNS0_4arch9wavefront6targetE0EEEvSK_.has_indirect_call, 0
	.section	.AMDGPU.csdata,"",@progbits
; Kernel info:
; codeLenInByte = 0
; TotalNumSgprs: 0
; NumVgprs: 0
; ScratchSize: 0
; MemoryBound: 0
; FloatMode: 240
; IeeeMode: 1
; LDSByteSize: 0 bytes/workgroup (compile time only)
; SGPRBlocks: 0
; VGPRBlocks: 0
; NumSGPRsForWavesPerEU: 1
; NumVGPRsForWavesPerEU: 1
; Occupancy: 16
; WaveLimiterHint : 0
; COMPUTE_PGM_RSRC2:SCRATCH_EN: 0
; COMPUTE_PGM_RSRC2:USER_SGPR: 2
; COMPUTE_PGM_RSRC2:TRAP_HANDLER: 0
; COMPUTE_PGM_RSRC2:TGID_X_EN: 1
; COMPUTE_PGM_RSRC2:TGID_Y_EN: 0
; COMPUTE_PGM_RSRC2:TGID_Z_EN: 0
; COMPUTE_PGM_RSRC2:TIDIG_COMP_CNT: 0
	.section	.text._ZN7rocprim17ROCPRIM_400000_NS6detail17trampoline_kernelINS0_14default_configENS1_36segmented_radix_sort_config_selectorIslEEZNS1_25segmented_radix_sort_implIS3_Lb1EPKsPsPKlPlN2at6native12_GLOBAL__N_18offset_tEEE10hipError_tPvRmT1_PNSt15iterator_traitsISK_E10value_typeET2_T3_PNSL_ISQ_E10value_typeET4_jRbjT5_SW_jjP12ihipStream_tbEUlT_E_NS1_11comp_targetILNS1_3genE8ELNS1_11target_archE1030ELNS1_3gpuE2ELNS1_3repE0EEENS1_30default_config_static_selectorELNS0_4arch9wavefront6targetE0EEEvSK_,"axG",@progbits,_ZN7rocprim17ROCPRIM_400000_NS6detail17trampoline_kernelINS0_14default_configENS1_36segmented_radix_sort_config_selectorIslEEZNS1_25segmented_radix_sort_implIS3_Lb1EPKsPsPKlPlN2at6native12_GLOBAL__N_18offset_tEEE10hipError_tPvRmT1_PNSt15iterator_traitsISK_E10value_typeET2_T3_PNSL_ISQ_E10value_typeET4_jRbjT5_SW_jjP12ihipStream_tbEUlT_E_NS1_11comp_targetILNS1_3genE8ELNS1_11target_archE1030ELNS1_3gpuE2ELNS1_3repE0EEENS1_30default_config_static_selectorELNS0_4arch9wavefront6targetE0EEEvSK_,comdat
	.globl	_ZN7rocprim17ROCPRIM_400000_NS6detail17trampoline_kernelINS0_14default_configENS1_36segmented_radix_sort_config_selectorIslEEZNS1_25segmented_radix_sort_implIS3_Lb1EPKsPsPKlPlN2at6native12_GLOBAL__N_18offset_tEEE10hipError_tPvRmT1_PNSt15iterator_traitsISK_E10value_typeET2_T3_PNSL_ISQ_E10value_typeET4_jRbjT5_SW_jjP12ihipStream_tbEUlT_E_NS1_11comp_targetILNS1_3genE8ELNS1_11target_archE1030ELNS1_3gpuE2ELNS1_3repE0EEENS1_30default_config_static_selectorELNS0_4arch9wavefront6targetE0EEEvSK_ ; -- Begin function _ZN7rocprim17ROCPRIM_400000_NS6detail17trampoline_kernelINS0_14default_configENS1_36segmented_radix_sort_config_selectorIslEEZNS1_25segmented_radix_sort_implIS3_Lb1EPKsPsPKlPlN2at6native12_GLOBAL__N_18offset_tEEE10hipError_tPvRmT1_PNSt15iterator_traitsISK_E10value_typeET2_T3_PNSL_ISQ_E10value_typeET4_jRbjT5_SW_jjP12ihipStream_tbEUlT_E_NS1_11comp_targetILNS1_3genE8ELNS1_11target_archE1030ELNS1_3gpuE2ELNS1_3repE0EEENS1_30default_config_static_selectorELNS0_4arch9wavefront6targetE0EEEvSK_
	.p2align	8
	.type	_ZN7rocprim17ROCPRIM_400000_NS6detail17trampoline_kernelINS0_14default_configENS1_36segmented_radix_sort_config_selectorIslEEZNS1_25segmented_radix_sort_implIS3_Lb1EPKsPsPKlPlN2at6native12_GLOBAL__N_18offset_tEEE10hipError_tPvRmT1_PNSt15iterator_traitsISK_E10value_typeET2_T3_PNSL_ISQ_E10value_typeET4_jRbjT5_SW_jjP12ihipStream_tbEUlT_E_NS1_11comp_targetILNS1_3genE8ELNS1_11target_archE1030ELNS1_3gpuE2ELNS1_3repE0EEENS1_30default_config_static_selectorELNS0_4arch9wavefront6targetE0EEEvSK_,@function
_ZN7rocprim17ROCPRIM_400000_NS6detail17trampoline_kernelINS0_14default_configENS1_36segmented_radix_sort_config_selectorIslEEZNS1_25segmented_radix_sort_implIS3_Lb1EPKsPsPKlPlN2at6native12_GLOBAL__N_18offset_tEEE10hipError_tPvRmT1_PNSt15iterator_traitsISK_E10value_typeET2_T3_PNSL_ISQ_E10value_typeET4_jRbjT5_SW_jjP12ihipStream_tbEUlT_E_NS1_11comp_targetILNS1_3genE8ELNS1_11target_archE1030ELNS1_3gpuE2ELNS1_3repE0EEENS1_30default_config_static_selectorELNS0_4arch9wavefront6targetE0EEEvSK_: ; @_ZN7rocprim17ROCPRIM_400000_NS6detail17trampoline_kernelINS0_14default_configENS1_36segmented_radix_sort_config_selectorIslEEZNS1_25segmented_radix_sort_implIS3_Lb1EPKsPsPKlPlN2at6native12_GLOBAL__N_18offset_tEEE10hipError_tPvRmT1_PNSt15iterator_traitsISK_E10value_typeET2_T3_PNSL_ISQ_E10value_typeET4_jRbjT5_SW_jjP12ihipStream_tbEUlT_E_NS1_11comp_targetILNS1_3genE8ELNS1_11target_archE1030ELNS1_3gpuE2ELNS1_3repE0EEENS1_30default_config_static_selectorELNS0_4arch9wavefront6targetE0EEEvSK_
; %bb.0:
	.section	.rodata,"a",@progbits
	.p2align	6, 0x0
	.amdhsa_kernel _ZN7rocprim17ROCPRIM_400000_NS6detail17trampoline_kernelINS0_14default_configENS1_36segmented_radix_sort_config_selectorIslEEZNS1_25segmented_radix_sort_implIS3_Lb1EPKsPsPKlPlN2at6native12_GLOBAL__N_18offset_tEEE10hipError_tPvRmT1_PNSt15iterator_traitsISK_E10value_typeET2_T3_PNSL_ISQ_E10value_typeET4_jRbjT5_SW_jjP12ihipStream_tbEUlT_E_NS1_11comp_targetILNS1_3genE8ELNS1_11target_archE1030ELNS1_3gpuE2ELNS1_3repE0EEENS1_30default_config_static_selectorELNS0_4arch9wavefront6targetE0EEEvSK_
		.amdhsa_group_segment_fixed_size 0
		.amdhsa_private_segment_fixed_size 0
		.amdhsa_kernarg_size 96
		.amdhsa_user_sgpr_count 2
		.amdhsa_user_sgpr_dispatch_ptr 0
		.amdhsa_user_sgpr_queue_ptr 0
		.amdhsa_user_sgpr_kernarg_segment_ptr 1
		.amdhsa_user_sgpr_dispatch_id 0
		.amdhsa_user_sgpr_private_segment_size 0
		.amdhsa_wavefront_size32 1
		.amdhsa_uses_dynamic_stack 0
		.amdhsa_enable_private_segment 0
		.amdhsa_system_sgpr_workgroup_id_x 1
		.amdhsa_system_sgpr_workgroup_id_y 0
		.amdhsa_system_sgpr_workgroup_id_z 0
		.amdhsa_system_sgpr_workgroup_info 0
		.amdhsa_system_vgpr_workitem_id 0
		.amdhsa_next_free_vgpr 1
		.amdhsa_next_free_sgpr 1
		.amdhsa_reserve_vcc 0
		.amdhsa_float_round_mode_32 0
		.amdhsa_float_round_mode_16_64 0
		.amdhsa_float_denorm_mode_32 3
		.amdhsa_float_denorm_mode_16_64 3
		.amdhsa_fp16_overflow 0
		.amdhsa_workgroup_processor_mode 1
		.amdhsa_memory_ordered 1
		.amdhsa_forward_progress 1
		.amdhsa_inst_pref_size 0
		.amdhsa_round_robin_scheduling 0
		.amdhsa_exception_fp_ieee_invalid_op 0
		.amdhsa_exception_fp_denorm_src 0
		.amdhsa_exception_fp_ieee_div_zero 0
		.amdhsa_exception_fp_ieee_overflow 0
		.amdhsa_exception_fp_ieee_underflow 0
		.amdhsa_exception_fp_ieee_inexact 0
		.amdhsa_exception_int_div_zero 0
	.end_amdhsa_kernel
	.section	.text._ZN7rocprim17ROCPRIM_400000_NS6detail17trampoline_kernelINS0_14default_configENS1_36segmented_radix_sort_config_selectorIslEEZNS1_25segmented_radix_sort_implIS3_Lb1EPKsPsPKlPlN2at6native12_GLOBAL__N_18offset_tEEE10hipError_tPvRmT1_PNSt15iterator_traitsISK_E10value_typeET2_T3_PNSL_ISQ_E10value_typeET4_jRbjT5_SW_jjP12ihipStream_tbEUlT_E_NS1_11comp_targetILNS1_3genE8ELNS1_11target_archE1030ELNS1_3gpuE2ELNS1_3repE0EEENS1_30default_config_static_selectorELNS0_4arch9wavefront6targetE0EEEvSK_,"axG",@progbits,_ZN7rocprim17ROCPRIM_400000_NS6detail17trampoline_kernelINS0_14default_configENS1_36segmented_radix_sort_config_selectorIslEEZNS1_25segmented_radix_sort_implIS3_Lb1EPKsPsPKlPlN2at6native12_GLOBAL__N_18offset_tEEE10hipError_tPvRmT1_PNSt15iterator_traitsISK_E10value_typeET2_T3_PNSL_ISQ_E10value_typeET4_jRbjT5_SW_jjP12ihipStream_tbEUlT_E_NS1_11comp_targetILNS1_3genE8ELNS1_11target_archE1030ELNS1_3gpuE2ELNS1_3repE0EEENS1_30default_config_static_selectorELNS0_4arch9wavefront6targetE0EEEvSK_,comdat
.Lfunc_end920:
	.size	_ZN7rocprim17ROCPRIM_400000_NS6detail17trampoline_kernelINS0_14default_configENS1_36segmented_radix_sort_config_selectorIslEEZNS1_25segmented_radix_sort_implIS3_Lb1EPKsPsPKlPlN2at6native12_GLOBAL__N_18offset_tEEE10hipError_tPvRmT1_PNSt15iterator_traitsISK_E10value_typeET2_T3_PNSL_ISQ_E10value_typeET4_jRbjT5_SW_jjP12ihipStream_tbEUlT_E_NS1_11comp_targetILNS1_3genE8ELNS1_11target_archE1030ELNS1_3gpuE2ELNS1_3repE0EEENS1_30default_config_static_selectorELNS0_4arch9wavefront6targetE0EEEvSK_, .Lfunc_end920-_ZN7rocprim17ROCPRIM_400000_NS6detail17trampoline_kernelINS0_14default_configENS1_36segmented_radix_sort_config_selectorIslEEZNS1_25segmented_radix_sort_implIS3_Lb1EPKsPsPKlPlN2at6native12_GLOBAL__N_18offset_tEEE10hipError_tPvRmT1_PNSt15iterator_traitsISK_E10value_typeET2_T3_PNSL_ISQ_E10value_typeET4_jRbjT5_SW_jjP12ihipStream_tbEUlT_E_NS1_11comp_targetILNS1_3genE8ELNS1_11target_archE1030ELNS1_3gpuE2ELNS1_3repE0EEENS1_30default_config_static_selectorELNS0_4arch9wavefront6targetE0EEEvSK_
                                        ; -- End function
	.set _ZN7rocprim17ROCPRIM_400000_NS6detail17trampoline_kernelINS0_14default_configENS1_36segmented_radix_sort_config_selectorIslEEZNS1_25segmented_radix_sort_implIS3_Lb1EPKsPsPKlPlN2at6native12_GLOBAL__N_18offset_tEEE10hipError_tPvRmT1_PNSt15iterator_traitsISK_E10value_typeET2_T3_PNSL_ISQ_E10value_typeET4_jRbjT5_SW_jjP12ihipStream_tbEUlT_E_NS1_11comp_targetILNS1_3genE8ELNS1_11target_archE1030ELNS1_3gpuE2ELNS1_3repE0EEENS1_30default_config_static_selectorELNS0_4arch9wavefront6targetE0EEEvSK_.num_vgpr, 0
	.set _ZN7rocprim17ROCPRIM_400000_NS6detail17trampoline_kernelINS0_14default_configENS1_36segmented_radix_sort_config_selectorIslEEZNS1_25segmented_radix_sort_implIS3_Lb1EPKsPsPKlPlN2at6native12_GLOBAL__N_18offset_tEEE10hipError_tPvRmT1_PNSt15iterator_traitsISK_E10value_typeET2_T3_PNSL_ISQ_E10value_typeET4_jRbjT5_SW_jjP12ihipStream_tbEUlT_E_NS1_11comp_targetILNS1_3genE8ELNS1_11target_archE1030ELNS1_3gpuE2ELNS1_3repE0EEENS1_30default_config_static_selectorELNS0_4arch9wavefront6targetE0EEEvSK_.num_agpr, 0
	.set _ZN7rocprim17ROCPRIM_400000_NS6detail17trampoline_kernelINS0_14default_configENS1_36segmented_radix_sort_config_selectorIslEEZNS1_25segmented_radix_sort_implIS3_Lb1EPKsPsPKlPlN2at6native12_GLOBAL__N_18offset_tEEE10hipError_tPvRmT1_PNSt15iterator_traitsISK_E10value_typeET2_T3_PNSL_ISQ_E10value_typeET4_jRbjT5_SW_jjP12ihipStream_tbEUlT_E_NS1_11comp_targetILNS1_3genE8ELNS1_11target_archE1030ELNS1_3gpuE2ELNS1_3repE0EEENS1_30default_config_static_selectorELNS0_4arch9wavefront6targetE0EEEvSK_.numbered_sgpr, 0
	.set _ZN7rocprim17ROCPRIM_400000_NS6detail17trampoline_kernelINS0_14default_configENS1_36segmented_radix_sort_config_selectorIslEEZNS1_25segmented_radix_sort_implIS3_Lb1EPKsPsPKlPlN2at6native12_GLOBAL__N_18offset_tEEE10hipError_tPvRmT1_PNSt15iterator_traitsISK_E10value_typeET2_T3_PNSL_ISQ_E10value_typeET4_jRbjT5_SW_jjP12ihipStream_tbEUlT_E_NS1_11comp_targetILNS1_3genE8ELNS1_11target_archE1030ELNS1_3gpuE2ELNS1_3repE0EEENS1_30default_config_static_selectorELNS0_4arch9wavefront6targetE0EEEvSK_.num_named_barrier, 0
	.set _ZN7rocprim17ROCPRIM_400000_NS6detail17trampoline_kernelINS0_14default_configENS1_36segmented_radix_sort_config_selectorIslEEZNS1_25segmented_radix_sort_implIS3_Lb1EPKsPsPKlPlN2at6native12_GLOBAL__N_18offset_tEEE10hipError_tPvRmT1_PNSt15iterator_traitsISK_E10value_typeET2_T3_PNSL_ISQ_E10value_typeET4_jRbjT5_SW_jjP12ihipStream_tbEUlT_E_NS1_11comp_targetILNS1_3genE8ELNS1_11target_archE1030ELNS1_3gpuE2ELNS1_3repE0EEENS1_30default_config_static_selectorELNS0_4arch9wavefront6targetE0EEEvSK_.private_seg_size, 0
	.set _ZN7rocprim17ROCPRIM_400000_NS6detail17trampoline_kernelINS0_14default_configENS1_36segmented_radix_sort_config_selectorIslEEZNS1_25segmented_radix_sort_implIS3_Lb1EPKsPsPKlPlN2at6native12_GLOBAL__N_18offset_tEEE10hipError_tPvRmT1_PNSt15iterator_traitsISK_E10value_typeET2_T3_PNSL_ISQ_E10value_typeET4_jRbjT5_SW_jjP12ihipStream_tbEUlT_E_NS1_11comp_targetILNS1_3genE8ELNS1_11target_archE1030ELNS1_3gpuE2ELNS1_3repE0EEENS1_30default_config_static_selectorELNS0_4arch9wavefront6targetE0EEEvSK_.uses_vcc, 0
	.set _ZN7rocprim17ROCPRIM_400000_NS6detail17trampoline_kernelINS0_14default_configENS1_36segmented_radix_sort_config_selectorIslEEZNS1_25segmented_radix_sort_implIS3_Lb1EPKsPsPKlPlN2at6native12_GLOBAL__N_18offset_tEEE10hipError_tPvRmT1_PNSt15iterator_traitsISK_E10value_typeET2_T3_PNSL_ISQ_E10value_typeET4_jRbjT5_SW_jjP12ihipStream_tbEUlT_E_NS1_11comp_targetILNS1_3genE8ELNS1_11target_archE1030ELNS1_3gpuE2ELNS1_3repE0EEENS1_30default_config_static_selectorELNS0_4arch9wavefront6targetE0EEEvSK_.uses_flat_scratch, 0
	.set _ZN7rocprim17ROCPRIM_400000_NS6detail17trampoline_kernelINS0_14default_configENS1_36segmented_radix_sort_config_selectorIslEEZNS1_25segmented_radix_sort_implIS3_Lb1EPKsPsPKlPlN2at6native12_GLOBAL__N_18offset_tEEE10hipError_tPvRmT1_PNSt15iterator_traitsISK_E10value_typeET2_T3_PNSL_ISQ_E10value_typeET4_jRbjT5_SW_jjP12ihipStream_tbEUlT_E_NS1_11comp_targetILNS1_3genE8ELNS1_11target_archE1030ELNS1_3gpuE2ELNS1_3repE0EEENS1_30default_config_static_selectorELNS0_4arch9wavefront6targetE0EEEvSK_.has_dyn_sized_stack, 0
	.set _ZN7rocprim17ROCPRIM_400000_NS6detail17trampoline_kernelINS0_14default_configENS1_36segmented_radix_sort_config_selectorIslEEZNS1_25segmented_radix_sort_implIS3_Lb1EPKsPsPKlPlN2at6native12_GLOBAL__N_18offset_tEEE10hipError_tPvRmT1_PNSt15iterator_traitsISK_E10value_typeET2_T3_PNSL_ISQ_E10value_typeET4_jRbjT5_SW_jjP12ihipStream_tbEUlT_E_NS1_11comp_targetILNS1_3genE8ELNS1_11target_archE1030ELNS1_3gpuE2ELNS1_3repE0EEENS1_30default_config_static_selectorELNS0_4arch9wavefront6targetE0EEEvSK_.has_recursion, 0
	.set _ZN7rocprim17ROCPRIM_400000_NS6detail17trampoline_kernelINS0_14default_configENS1_36segmented_radix_sort_config_selectorIslEEZNS1_25segmented_radix_sort_implIS3_Lb1EPKsPsPKlPlN2at6native12_GLOBAL__N_18offset_tEEE10hipError_tPvRmT1_PNSt15iterator_traitsISK_E10value_typeET2_T3_PNSL_ISQ_E10value_typeET4_jRbjT5_SW_jjP12ihipStream_tbEUlT_E_NS1_11comp_targetILNS1_3genE8ELNS1_11target_archE1030ELNS1_3gpuE2ELNS1_3repE0EEENS1_30default_config_static_selectorELNS0_4arch9wavefront6targetE0EEEvSK_.has_indirect_call, 0
	.section	.AMDGPU.csdata,"",@progbits
; Kernel info:
; codeLenInByte = 0
; TotalNumSgprs: 0
; NumVgprs: 0
; ScratchSize: 0
; MemoryBound: 0
; FloatMode: 240
; IeeeMode: 1
; LDSByteSize: 0 bytes/workgroup (compile time only)
; SGPRBlocks: 0
; VGPRBlocks: 0
; NumSGPRsForWavesPerEU: 1
; NumVGPRsForWavesPerEU: 1
; Occupancy: 16
; WaveLimiterHint : 0
; COMPUTE_PGM_RSRC2:SCRATCH_EN: 0
; COMPUTE_PGM_RSRC2:USER_SGPR: 2
; COMPUTE_PGM_RSRC2:TRAP_HANDLER: 0
; COMPUTE_PGM_RSRC2:TGID_X_EN: 1
; COMPUTE_PGM_RSRC2:TGID_Y_EN: 0
; COMPUTE_PGM_RSRC2:TGID_Z_EN: 0
; COMPUTE_PGM_RSRC2:TIDIG_COMP_CNT: 0
	.section	.text._ZN7rocprim17ROCPRIM_400000_NS6detail17trampoline_kernelINS0_14default_configENS1_36segmented_radix_sort_config_selectorIslEEZNS1_25segmented_radix_sort_implIS3_Lb1EPKsPsPKlPlN2at6native12_GLOBAL__N_18offset_tEEE10hipError_tPvRmT1_PNSt15iterator_traitsISK_E10value_typeET2_T3_PNSL_ISQ_E10value_typeET4_jRbjT5_SW_jjP12ihipStream_tbEUlT_E0_NS1_11comp_targetILNS1_3genE0ELNS1_11target_archE4294967295ELNS1_3gpuE0ELNS1_3repE0EEENS1_60segmented_radix_sort_warp_sort_medium_config_static_selectorELNS0_4arch9wavefront6targetE0EEEvSK_,"axG",@progbits,_ZN7rocprim17ROCPRIM_400000_NS6detail17trampoline_kernelINS0_14default_configENS1_36segmented_radix_sort_config_selectorIslEEZNS1_25segmented_radix_sort_implIS3_Lb1EPKsPsPKlPlN2at6native12_GLOBAL__N_18offset_tEEE10hipError_tPvRmT1_PNSt15iterator_traitsISK_E10value_typeET2_T3_PNSL_ISQ_E10value_typeET4_jRbjT5_SW_jjP12ihipStream_tbEUlT_E0_NS1_11comp_targetILNS1_3genE0ELNS1_11target_archE4294967295ELNS1_3gpuE0ELNS1_3repE0EEENS1_60segmented_radix_sort_warp_sort_medium_config_static_selectorELNS0_4arch9wavefront6targetE0EEEvSK_,comdat
	.globl	_ZN7rocprim17ROCPRIM_400000_NS6detail17trampoline_kernelINS0_14default_configENS1_36segmented_radix_sort_config_selectorIslEEZNS1_25segmented_radix_sort_implIS3_Lb1EPKsPsPKlPlN2at6native12_GLOBAL__N_18offset_tEEE10hipError_tPvRmT1_PNSt15iterator_traitsISK_E10value_typeET2_T3_PNSL_ISQ_E10value_typeET4_jRbjT5_SW_jjP12ihipStream_tbEUlT_E0_NS1_11comp_targetILNS1_3genE0ELNS1_11target_archE4294967295ELNS1_3gpuE0ELNS1_3repE0EEENS1_60segmented_radix_sort_warp_sort_medium_config_static_selectorELNS0_4arch9wavefront6targetE0EEEvSK_ ; -- Begin function _ZN7rocprim17ROCPRIM_400000_NS6detail17trampoline_kernelINS0_14default_configENS1_36segmented_radix_sort_config_selectorIslEEZNS1_25segmented_radix_sort_implIS3_Lb1EPKsPsPKlPlN2at6native12_GLOBAL__N_18offset_tEEE10hipError_tPvRmT1_PNSt15iterator_traitsISK_E10value_typeET2_T3_PNSL_ISQ_E10value_typeET4_jRbjT5_SW_jjP12ihipStream_tbEUlT_E0_NS1_11comp_targetILNS1_3genE0ELNS1_11target_archE4294967295ELNS1_3gpuE0ELNS1_3repE0EEENS1_60segmented_radix_sort_warp_sort_medium_config_static_selectorELNS0_4arch9wavefront6targetE0EEEvSK_
	.p2align	8
	.type	_ZN7rocprim17ROCPRIM_400000_NS6detail17trampoline_kernelINS0_14default_configENS1_36segmented_radix_sort_config_selectorIslEEZNS1_25segmented_radix_sort_implIS3_Lb1EPKsPsPKlPlN2at6native12_GLOBAL__N_18offset_tEEE10hipError_tPvRmT1_PNSt15iterator_traitsISK_E10value_typeET2_T3_PNSL_ISQ_E10value_typeET4_jRbjT5_SW_jjP12ihipStream_tbEUlT_E0_NS1_11comp_targetILNS1_3genE0ELNS1_11target_archE4294967295ELNS1_3gpuE0ELNS1_3repE0EEENS1_60segmented_radix_sort_warp_sort_medium_config_static_selectorELNS0_4arch9wavefront6targetE0EEEvSK_,@function
_ZN7rocprim17ROCPRIM_400000_NS6detail17trampoline_kernelINS0_14default_configENS1_36segmented_radix_sort_config_selectorIslEEZNS1_25segmented_radix_sort_implIS3_Lb1EPKsPsPKlPlN2at6native12_GLOBAL__N_18offset_tEEE10hipError_tPvRmT1_PNSt15iterator_traitsISK_E10value_typeET2_T3_PNSL_ISQ_E10value_typeET4_jRbjT5_SW_jjP12ihipStream_tbEUlT_E0_NS1_11comp_targetILNS1_3genE0ELNS1_11target_archE4294967295ELNS1_3gpuE0ELNS1_3repE0EEENS1_60segmented_radix_sort_warp_sort_medium_config_static_selectorELNS0_4arch9wavefront6targetE0EEEvSK_: ; @_ZN7rocprim17ROCPRIM_400000_NS6detail17trampoline_kernelINS0_14default_configENS1_36segmented_radix_sort_config_selectorIslEEZNS1_25segmented_radix_sort_implIS3_Lb1EPKsPsPKlPlN2at6native12_GLOBAL__N_18offset_tEEE10hipError_tPvRmT1_PNSt15iterator_traitsISK_E10value_typeET2_T3_PNSL_ISQ_E10value_typeET4_jRbjT5_SW_jjP12ihipStream_tbEUlT_E0_NS1_11comp_targetILNS1_3genE0ELNS1_11target_archE4294967295ELNS1_3gpuE0ELNS1_3repE0EEENS1_60segmented_radix_sort_warp_sort_medium_config_static_selectorELNS0_4arch9wavefront6targetE0EEEvSK_
; %bb.0:
	.section	.rodata,"a",@progbits
	.p2align	6, 0x0
	.amdhsa_kernel _ZN7rocprim17ROCPRIM_400000_NS6detail17trampoline_kernelINS0_14default_configENS1_36segmented_radix_sort_config_selectorIslEEZNS1_25segmented_radix_sort_implIS3_Lb1EPKsPsPKlPlN2at6native12_GLOBAL__N_18offset_tEEE10hipError_tPvRmT1_PNSt15iterator_traitsISK_E10value_typeET2_T3_PNSL_ISQ_E10value_typeET4_jRbjT5_SW_jjP12ihipStream_tbEUlT_E0_NS1_11comp_targetILNS1_3genE0ELNS1_11target_archE4294967295ELNS1_3gpuE0ELNS1_3repE0EEENS1_60segmented_radix_sort_warp_sort_medium_config_static_selectorELNS0_4arch9wavefront6targetE0EEEvSK_
		.amdhsa_group_segment_fixed_size 0
		.amdhsa_private_segment_fixed_size 0
		.amdhsa_kernarg_size 88
		.amdhsa_user_sgpr_count 2
		.amdhsa_user_sgpr_dispatch_ptr 0
		.amdhsa_user_sgpr_queue_ptr 0
		.amdhsa_user_sgpr_kernarg_segment_ptr 1
		.amdhsa_user_sgpr_dispatch_id 0
		.amdhsa_user_sgpr_private_segment_size 0
		.amdhsa_wavefront_size32 1
		.amdhsa_uses_dynamic_stack 0
		.amdhsa_enable_private_segment 0
		.amdhsa_system_sgpr_workgroup_id_x 1
		.amdhsa_system_sgpr_workgroup_id_y 0
		.amdhsa_system_sgpr_workgroup_id_z 0
		.amdhsa_system_sgpr_workgroup_info 0
		.amdhsa_system_vgpr_workitem_id 0
		.amdhsa_next_free_vgpr 1
		.amdhsa_next_free_sgpr 1
		.amdhsa_reserve_vcc 0
		.amdhsa_float_round_mode_32 0
		.amdhsa_float_round_mode_16_64 0
		.amdhsa_float_denorm_mode_32 3
		.amdhsa_float_denorm_mode_16_64 3
		.amdhsa_fp16_overflow 0
		.amdhsa_workgroup_processor_mode 1
		.amdhsa_memory_ordered 1
		.amdhsa_forward_progress 1
		.amdhsa_inst_pref_size 0
		.amdhsa_round_robin_scheduling 0
		.amdhsa_exception_fp_ieee_invalid_op 0
		.amdhsa_exception_fp_denorm_src 0
		.amdhsa_exception_fp_ieee_div_zero 0
		.amdhsa_exception_fp_ieee_overflow 0
		.amdhsa_exception_fp_ieee_underflow 0
		.amdhsa_exception_fp_ieee_inexact 0
		.amdhsa_exception_int_div_zero 0
	.end_amdhsa_kernel
	.section	.text._ZN7rocprim17ROCPRIM_400000_NS6detail17trampoline_kernelINS0_14default_configENS1_36segmented_radix_sort_config_selectorIslEEZNS1_25segmented_radix_sort_implIS3_Lb1EPKsPsPKlPlN2at6native12_GLOBAL__N_18offset_tEEE10hipError_tPvRmT1_PNSt15iterator_traitsISK_E10value_typeET2_T3_PNSL_ISQ_E10value_typeET4_jRbjT5_SW_jjP12ihipStream_tbEUlT_E0_NS1_11comp_targetILNS1_3genE0ELNS1_11target_archE4294967295ELNS1_3gpuE0ELNS1_3repE0EEENS1_60segmented_radix_sort_warp_sort_medium_config_static_selectorELNS0_4arch9wavefront6targetE0EEEvSK_,"axG",@progbits,_ZN7rocprim17ROCPRIM_400000_NS6detail17trampoline_kernelINS0_14default_configENS1_36segmented_radix_sort_config_selectorIslEEZNS1_25segmented_radix_sort_implIS3_Lb1EPKsPsPKlPlN2at6native12_GLOBAL__N_18offset_tEEE10hipError_tPvRmT1_PNSt15iterator_traitsISK_E10value_typeET2_T3_PNSL_ISQ_E10value_typeET4_jRbjT5_SW_jjP12ihipStream_tbEUlT_E0_NS1_11comp_targetILNS1_3genE0ELNS1_11target_archE4294967295ELNS1_3gpuE0ELNS1_3repE0EEENS1_60segmented_radix_sort_warp_sort_medium_config_static_selectorELNS0_4arch9wavefront6targetE0EEEvSK_,comdat
.Lfunc_end921:
	.size	_ZN7rocprim17ROCPRIM_400000_NS6detail17trampoline_kernelINS0_14default_configENS1_36segmented_radix_sort_config_selectorIslEEZNS1_25segmented_radix_sort_implIS3_Lb1EPKsPsPKlPlN2at6native12_GLOBAL__N_18offset_tEEE10hipError_tPvRmT1_PNSt15iterator_traitsISK_E10value_typeET2_T3_PNSL_ISQ_E10value_typeET4_jRbjT5_SW_jjP12ihipStream_tbEUlT_E0_NS1_11comp_targetILNS1_3genE0ELNS1_11target_archE4294967295ELNS1_3gpuE0ELNS1_3repE0EEENS1_60segmented_radix_sort_warp_sort_medium_config_static_selectorELNS0_4arch9wavefront6targetE0EEEvSK_, .Lfunc_end921-_ZN7rocprim17ROCPRIM_400000_NS6detail17trampoline_kernelINS0_14default_configENS1_36segmented_radix_sort_config_selectorIslEEZNS1_25segmented_radix_sort_implIS3_Lb1EPKsPsPKlPlN2at6native12_GLOBAL__N_18offset_tEEE10hipError_tPvRmT1_PNSt15iterator_traitsISK_E10value_typeET2_T3_PNSL_ISQ_E10value_typeET4_jRbjT5_SW_jjP12ihipStream_tbEUlT_E0_NS1_11comp_targetILNS1_3genE0ELNS1_11target_archE4294967295ELNS1_3gpuE0ELNS1_3repE0EEENS1_60segmented_radix_sort_warp_sort_medium_config_static_selectorELNS0_4arch9wavefront6targetE0EEEvSK_
                                        ; -- End function
	.set _ZN7rocprim17ROCPRIM_400000_NS6detail17trampoline_kernelINS0_14default_configENS1_36segmented_radix_sort_config_selectorIslEEZNS1_25segmented_radix_sort_implIS3_Lb1EPKsPsPKlPlN2at6native12_GLOBAL__N_18offset_tEEE10hipError_tPvRmT1_PNSt15iterator_traitsISK_E10value_typeET2_T3_PNSL_ISQ_E10value_typeET4_jRbjT5_SW_jjP12ihipStream_tbEUlT_E0_NS1_11comp_targetILNS1_3genE0ELNS1_11target_archE4294967295ELNS1_3gpuE0ELNS1_3repE0EEENS1_60segmented_radix_sort_warp_sort_medium_config_static_selectorELNS0_4arch9wavefront6targetE0EEEvSK_.num_vgpr, 0
	.set _ZN7rocprim17ROCPRIM_400000_NS6detail17trampoline_kernelINS0_14default_configENS1_36segmented_radix_sort_config_selectorIslEEZNS1_25segmented_radix_sort_implIS3_Lb1EPKsPsPKlPlN2at6native12_GLOBAL__N_18offset_tEEE10hipError_tPvRmT1_PNSt15iterator_traitsISK_E10value_typeET2_T3_PNSL_ISQ_E10value_typeET4_jRbjT5_SW_jjP12ihipStream_tbEUlT_E0_NS1_11comp_targetILNS1_3genE0ELNS1_11target_archE4294967295ELNS1_3gpuE0ELNS1_3repE0EEENS1_60segmented_radix_sort_warp_sort_medium_config_static_selectorELNS0_4arch9wavefront6targetE0EEEvSK_.num_agpr, 0
	.set _ZN7rocprim17ROCPRIM_400000_NS6detail17trampoline_kernelINS0_14default_configENS1_36segmented_radix_sort_config_selectorIslEEZNS1_25segmented_radix_sort_implIS3_Lb1EPKsPsPKlPlN2at6native12_GLOBAL__N_18offset_tEEE10hipError_tPvRmT1_PNSt15iterator_traitsISK_E10value_typeET2_T3_PNSL_ISQ_E10value_typeET4_jRbjT5_SW_jjP12ihipStream_tbEUlT_E0_NS1_11comp_targetILNS1_3genE0ELNS1_11target_archE4294967295ELNS1_3gpuE0ELNS1_3repE0EEENS1_60segmented_radix_sort_warp_sort_medium_config_static_selectorELNS0_4arch9wavefront6targetE0EEEvSK_.numbered_sgpr, 0
	.set _ZN7rocprim17ROCPRIM_400000_NS6detail17trampoline_kernelINS0_14default_configENS1_36segmented_radix_sort_config_selectorIslEEZNS1_25segmented_radix_sort_implIS3_Lb1EPKsPsPKlPlN2at6native12_GLOBAL__N_18offset_tEEE10hipError_tPvRmT1_PNSt15iterator_traitsISK_E10value_typeET2_T3_PNSL_ISQ_E10value_typeET4_jRbjT5_SW_jjP12ihipStream_tbEUlT_E0_NS1_11comp_targetILNS1_3genE0ELNS1_11target_archE4294967295ELNS1_3gpuE0ELNS1_3repE0EEENS1_60segmented_radix_sort_warp_sort_medium_config_static_selectorELNS0_4arch9wavefront6targetE0EEEvSK_.num_named_barrier, 0
	.set _ZN7rocprim17ROCPRIM_400000_NS6detail17trampoline_kernelINS0_14default_configENS1_36segmented_radix_sort_config_selectorIslEEZNS1_25segmented_radix_sort_implIS3_Lb1EPKsPsPKlPlN2at6native12_GLOBAL__N_18offset_tEEE10hipError_tPvRmT1_PNSt15iterator_traitsISK_E10value_typeET2_T3_PNSL_ISQ_E10value_typeET4_jRbjT5_SW_jjP12ihipStream_tbEUlT_E0_NS1_11comp_targetILNS1_3genE0ELNS1_11target_archE4294967295ELNS1_3gpuE0ELNS1_3repE0EEENS1_60segmented_radix_sort_warp_sort_medium_config_static_selectorELNS0_4arch9wavefront6targetE0EEEvSK_.private_seg_size, 0
	.set _ZN7rocprim17ROCPRIM_400000_NS6detail17trampoline_kernelINS0_14default_configENS1_36segmented_radix_sort_config_selectorIslEEZNS1_25segmented_radix_sort_implIS3_Lb1EPKsPsPKlPlN2at6native12_GLOBAL__N_18offset_tEEE10hipError_tPvRmT1_PNSt15iterator_traitsISK_E10value_typeET2_T3_PNSL_ISQ_E10value_typeET4_jRbjT5_SW_jjP12ihipStream_tbEUlT_E0_NS1_11comp_targetILNS1_3genE0ELNS1_11target_archE4294967295ELNS1_3gpuE0ELNS1_3repE0EEENS1_60segmented_radix_sort_warp_sort_medium_config_static_selectorELNS0_4arch9wavefront6targetE0EEEvSK_.uses_vcc, 0
	.set _ZN7rocprim17ROCPRIM_400000_NS6detail17trampoline_kernelINS0_14default_configENS1_36segmented_radix_sort_config_selectorIslEEZNS1_25segmented_radix_sort_implIS3_Lb1EPKsPsPKlPlN2at6native12_GLOBAL__N_18offset_tEEE10hipError_tPvRmT1_PNSt15iterator_traitsISK_E10value_typeET2_T3_PNSL_ISQ_E10value_typeET4_jRbjT5_SW_jjP12ihipStream_tbEUlT_E0_NS1_11comp_targetILNS1_3genE0ELNS1_11target_archE4294967295ELNS1_3gpuE0ELNS1_3repE0EEENS1_60segmented_radix_sort_warp_sort_medium_config_static_selectorELNS0_4arch9wavefront6targetE0EEEvSK_.uses_flat_scratch, 0
	.set _ZN7rocprim17ROCPRIM_400000_NS6detail17trampoline_kernelINS0_14default_configENS1_36segmented_radix_sort_config_selectorIslEEZNS1_25segmented_radix_sort_implIS3_Lb1EPKsPsPKlPlN2at6native12_GLOBAL__N_18offset_tEEE10hipError_tPvRmT1_PNSt15iterator_traitsISK_E10value_typeET2_T3_PNSL_ISQ_E10value_typeET4_jRbjT5_SW_jjP12ihipStream_tbEUlT_E0_NS1_11comp_targetILNS1_3genE0ELNS1_11target_archE4294967295ELNS1_3gpuE0ELNS1_3repE0EEENS1_60segmented_radix_sort_warp_sort_medium_config_static_selectorELNS0_4arch9wavefront6targetE0EEEvSK_.has_dyn_sized_stack, 0
	.set _ZN7rocprim17ROCPRIM_400000_NS6detail17trampoline_kernelINS0_14default_configENS1_36segmented_radix_sort_config_selectorIslEEZNS1_25segmented_radix_sort_implIS3_Lb1EPKsPsPKlPlN2at6native12_GLOBAL__N_18offset_tEEE10hipError_tPvRmT1_PNSt15iterator_traitsISK_E10value_typeET2_T3_PNSL_ISQ_E10value_typeET4_jRbjT5_SW_jjP12ihipStream_tbEUlT_E0_NS1_11comp_targetILNS1_3genE0ELNS1_11target_archE4294967295ELNS1_3gpuE0ELNS1_3repE0EEENS1_60segmented_radix_sort_warp_sort_medium_config_static_selectorELNS0_4arch9wavefront6targetE0EEEvSK_.has_recursion, 0
	.set _ZN7rocprim17ROCPRIM_400000_NS6detail17trampoline_kernelINS0_14default_configENS1_36segmented_radix_sort_config_selectorIslEEZNS1_25segmented_radix_sort_implIS3_Lb1EPKsPsPKlPlN2at6native12_GLOBAL__N_18offset_tEEE10hipError_tPvRmT1_PNSt15iterator_traitsISK_E10value_typeET2_T3_PNSL_ISQ_E10value_typeET4_jRbjT5_SW_jjP12ihipStream_tbEUlT_E0_NS1_11comp_targetILNS1_3genE0ELNS1_11target_archE4294967295ELNS1_3gpuE0ELNS1_3repE0EEENS1_60segmented_radix_sort_warp_sort_medium_config_static_selectorELNS0_4arch9wavefront6targetE0EEEvSK_.has_indirect_call, 0
	.section	.AMDGPU.csdata,"",@progbits
; Kernel info:
; codeLenInByte = 0
; TotalNumSgprs: 0
; NumVgprs: 0
; ScratchSize: 0
; MemoryBound: 0
; FloatMode: 240
; IeeeMode: 1
; LDSByteSize: 0 bytes/workgroup (compile time only)
; SGPRBlocks: 0
; VGPRBlocks: 0
; NumSGPRsForWavesPerEU: 1
; NumVGPRsForWavesPerEU: 1
; Occupancy: 16
; WaveLimiterHint : 0
; COMPUTE_PGM_RSRC2:SCRATCH_EN: 0
; COMPUTE_PGM_RSRC2:USER_SGPR: 2
; COMPUTE_PGM_RSRC2:TRAP_HANDLER: 0
; COMPUTE_PGM_RSRC2:TGID_X_EN: 1
; COMPUTE_PGM_RSRC2:TGID_Y_EN: 0
; COMPUTE_PGM_RSRC2:TGID_Z_EN: 0
; COMPUTE_PGM_RSRC2:TIDIG_COMP_CNT: 0
	.section	.text._ZN7rocprim17ROCPRIM_400000_NS6detail17trampoline_kernelINS0_14default_configENS1_36segmented_radix_sort_config_selectorIslEEZNS1_25segmented_radix_sort_implIS3_Lb1EPKsPsPKlPlN2at6native12_GLOBAL__N_18offset_tEEE10hipError_tPvRmT1_PNSt15iterator_traitsISK_E10value_typeET2_T3_PNSL_ISQ_E10value_typeET4_jRbjT5_SW_jjP12ihipStream_tbEUlT_E0_NS1_11comp_targetILNS1_3genE5ELNS1_11target_archE942ELNS1_3gpuE9ELNS1_3repE0EEENS1_60segmented_radix_sort_warp_sort_medium_config_static_selectorELNS0_4arch9wavefront6targetE0EEEvSK_,"axG",@progbits,_ZN7rocprim17ROCPRIM_400000_NS6detail17trampoline_kernelINS0_14default_configENS1_36segmented_radix_sort_config_selectorIslEEZNS1_25segmented_radix_sort_implIS3_Lb1EPKsPsPKlPlN2at6native12_GLOBAL__N_18offset_tEEE10hipError_tPvRmT1_PNSt15iterator_traitsISK_E10value_typeET2_T3_PNSL_ISQ_E10value_typeET4_jRbjT5_SW_jjP12ihipStream_tbEUlT_E0_NS1_11comp_targetILNS1_3genE5ELNS1_11target_archE942ELNS1_3gpuE9ELNS1_3repE0EEENS1_60segmented_radix_sort_warp_sort_medium_config_static_selectorELNS0_4arch9wavefront6targetE0EEEvSK_,comdat
	.globl	_ZN7rocprim17ROCPRIM_400000_NS6detail17trampoline_kernelINS0_14default_configENS1_36segmented_radix_sort_config_selectorIslEEZNS1_25segmented_radix_sort_implIS3_Lb1EPKsPsPKlPlN2at6native12_GLOBAL__N_18offset_tEEE10hipError_tPvRmT1_PNSt15iterator_traitsISK_E10value_typeET2_T3_PNSL_ISQ_E10value_typeET4_jRbjT5_SW_jjP12ihipStream_tbEUlT_E0_NS1_11comp_targetILNS1_3genE5ELNS1_11target_archE942ELNS1_3gpuE9ELNS1_3repE0EEENS1_60segmented_radix_sort_warp_sort_medium_config_static_selectorELNS0_4arch9wavefront6targetE0EEEvSK_ ; -- Begin function _ZN7rocprim17ROCPRIM_400000_NS6detail17trampoline_kernelINS0_14default_configENS1_36segmented_radix_sort_config_selectorIslEEZNS1_25segmented_radix_sort_implIS3_Lb1EPKsPsPKlPlN2at6native12_GLOBAL__N_18offset_tEEE10hipError_tPvRmT1_PNSt15iterator_traitsISK_E10value_typeET2_T3_PNSL_ISQ_E10value_typeET4_jRbjT5_SW_jjP12ihipStream_tbEUlT_E0_NS1_11comp_targetILNS1_3genE5ELNS1_11target_archE942ELNS1_3gpuE9ELNS1_3repE0EEENS1_60segmented_radix_sort_warp_sort_medium_config_static_selectorELNS0_4arch9wavefront6targetE0EEEvSK_
	.p2align	8
	.type	_ZN7rocprim17ROCPRIM_400000_NS6detail17trampoline_kernelINS0_14default_configENS1_36segmented_radix_sort_config_selectorIslEEZNS1_25segmented_radix_sort_implIS3_Lb1EPKsPsPKlPlN2at6native12_GLOBAL__N_18offset_tEEE10hipError_tPvRmT1_PNSt15iterator_traitsISK_E10value_typeET2_T3_PNSL_ISQ_E10value_typeET4_jRbjT5_SW_jjP12ihipStream_tbEUlT_E0_NS1_11comp_targetILNS1_3genE5ELNS1_11target_archE942ELNS1_3gpuE9ELNS1_3repE0EEENS1_60segmented_radix_sort_warp_sort_medium_config_static_selectorELNS0_4arch9wavefront6targetE0EEEvSK_,@function
_ZN7rocprim17ROCPRIM_400000_NS6detail17trampoline_kernelINS0_14default_configENS1_36segmented_radix_sort_config_selectorIslEEZNS1_25segmented_radix_sort_implIS3_Lb1EPKsPsPKlPlN2at6native12_GLOBAL__N_18offset_tEEE10hipError_tPvRmT1_PNSt15iterator_traitsISK_E10value_typeET2_T3_PNSL_ISQ_E10value_typeET4_jRbjT5_SW_jjP12ihipStream_tbEUlT_E0_NS1_11comp_targetILNS1_3genE5ELNS1_11target_archE942ELNS1_3gpuE9ELNS1_3repE0EEENS1_60segmented_radix_sort_warp_sort_medium_config_static_selectorELNS0_4arch9wavefront6targetE0EEEvSK_: ; @_ZN7rocprim17ROCPRIM_400000_NS6detail17trampoline_kernelINS0_14default_configENS1_36segmented_radix_sort_config_selectorIslEEZNS1_25segmented_radix_sort_implIS3_Lb1EPKsPsPKlPlN2at6native12_GLOBAL__N_18offset_tEEE10hipError_tPvRmT1_PNSt15iterator_traitsISK_E10value_typeET2_T3_PNSL_ISQ_E10value_typeET4_jRbjT5_SW_jjP12ihipStream_tbEUlT_E0_NS1_11comp_targetILNS1_3genE5ELNS1_11target_archE942ELNS1_3gpuE9ELNS1_3repE0EEENS1_60segmented_radix_sort_warp_sort_medium_config_static_selectorELNS0_4arch9wavefront6targetE0EEEvSK_
; %bb.0:
	.section	.rodata,"a",@progbits
	.p2align	6, 0x0
	.amdhsa_kernel _ZN7rocprim17ROCPRIM_400000_NS6detail17trampoline_kernelINS0_14default_configENS1_36segmented_radix_sort_config_selectorIslEEZNS1_25segmented_radix_sort_implIS3_Lb1EPKsPsPKlPlN2at6native12_GLOBAL__N_18offset_tEEE10hipError_tPvRmT1_PNSt15iterator_traitsISK_E10value_typeET2_T3_PNSL_ISQ_E10value_typeET4_jRbjT5_SW_jjP12ihipStream_tbEUlT_E0_NS1_11comp_targetILNS1_3genE5ELNS1_11target_archE942ELNS1_3gpuE9ELNS1_3repE0EEENS1_60segmented_radix_sort_warp_sort_medium_config_static_selectorELNS0_4arch9wavefront6targetE0EEEvSK_
		.amdhsa_group_segment_fixed_size 0
		.amdhsa_private_segment_fixed_size 0
		.amdhsa_kernarg_size 88
		.amdhsa_user_sgpr_count 2
		.amdhsa_user_sgpr_dispatch_ptr 0
		.amdhsa_user_sgpr_queue_ptr 0
		.amdhsa_user_sgpr_kernarg_segment_ptr 1
		.amdhsa_user_sgpr_dispatch_id 0
		.amdhsa_user_sgpr_private_segment_size 0
		.amdhsa_wavefront_size32 1
		.amdhsa_uses_dynamic_stack 0
		.amdhsa_enable_private_segment 0
		.amdhsa_system_sgpr_workgroup_id_x 1
		.amdhsa_system_sgpr_workgroup_id_y 0
		.amdhsa_system_sgpr_workgroup_id_z 0
		.amdhsa_system_sgpr_workgroup_info 0
		.amdhsa_system_vgpr_workitem_id 0
		.amdhsa_next_free_vgpr 1
		.amdhsa_next_free_sgpr 1
		.amdhsa_reserve_vcc 0
		.amdhsa_float_round_mode_32 0
		.amdhsa_float_round_mode_16_64 0
		.amdhsa_float_denorm_mode_32 3
		.amdhsa_float_denorm_mode_16_64 3
		.amdhsa_fp16_overflow 0
		.amdhsa_workgroup_processor_mode 1
		.amdhsa_memory_ordered 1
		.amdhsa_forward_progress 1
		.amdhsa_inst_pref_size 0
		.amdhsa_round_robin_scheduling 0
		.amdhsa_exception_fp_ieee_invalid_op 0
		.amdhsa_exception_fp_denorm_src 0
		.amdhsa_exception_fp_ieee_div_zero 0
		.amdhsa_exception_fp_ieee_overflow 0
		.amdhsa_exception_fp_ieee_underflow 0
		.amdhsa_exception_fp_ieee_inexact 0
		.amdhsa_exception_int_div_zero 0
	.end_amdhsa_kernel
	.section	.text._ZN7rocprim17ROCPRIM_400000_NS6detail17trampoline_kernelINS0_14default_configENS1_36segmented_radix_sort_config_selectorIslEEZNS1_25segmented_radix_sort_implIS3_Lb1EPKsPsPKlPlN2at6native12_GLOBAL__N_18offset_tEEE10hipError_tPvRmT1_PNSt15iterator_traitsISK_E10value_typeET2_T3_PNSL_ISQ_E10value_typeET4_jRbjT5_SW_jjP12ihipStream_tbEUlT_E0_NS1_11comp_targetILNS1_3genE5ELNS1_11target_archE942ELNS1_3gpuE9ELNS1_3repE0EEENS1_60segmented_radix_sort_warp_sort_medium_config_static_selectorELNS0_4arch9wavefront6targetE0EEEvSK_,"axG",@progbits,_ZN7rocprim17ROCPRIM_400000_NS6detail17trampoline_kernelINS0_14default_configENS1_36segmented_radix_sort_config_selectorIslEEZNS1_25segmented_radix_sort_implIS3_Lb1EPKsPsPKlPlN2at6native12_GLOBAL__N_18offset_tEEE10hipError_tPvRmT1_PNSt15iterator_traitsISK_E10value_typeET2_T3_PNSL_ISQ_E10value_typeET4_jRbjT5_SW_jjP12ihipStream_tbEUlT_E0_NS1_11comp_targetILNS1_3genE5ELNS1_11target_archE942ELNS1_3gpuE9ELNS1_3repE0EEENS1_60segmented_radix_sort_warp_sort_medium_config_static_selectorELNS0_4arch9wavefront6targetE0EEEvSK_,comdat
.Lfunc_end922:
	.size	_ZN7rocprim17ROCPRIM_400000_NS6detail17trampoline_kernelINS0_14default_configENS1_36segmented_radix_sort_config_selectorIslEEZNS1_25segmented_radix_sort_implIS3_Lb1EPKsPsPKlPlN2at6native12_GLOBAL__N_18offset_tEEE10hipError_tPvRmT1_PNSt15iterator_traitsISK_E10value_typeET2_T3_PNSL_ISQ_E10value_typeET4_jRbjT5_SW_jjP12ihipStream_tbEUlT_E0_NS1_11comp_targetILNS1_3genE5ELNS1_11target_archE942ELNS1_3gpuE9ELNS1_3repE0EEENS1_60segmented_radix_sort_warp_sort_medium_config_static_selectorELNS0_4arch9wavefront6targetE0EEEvSK_, .Lfunc_end922-_ZN7rocprim17ROCPRIM_400000_NS6detail17trampoline_kernelINS0_14default_configENS1_36segmented_radix_sort_config_selectorIslEEZNS1_25segmented_radix_sort_implIS3_Lb1EPKsPsPKlPlN2at6native12_GLOBAL__N_18offset_tEEE10hipError_tPvRmT1_PNSt15iterator_traitsISK_E10value_typeET2_T3_PNSL_ISQ_E10value_typeET4_jRbjT5_SW_jjP12ihipStream_tbEUlT_E0_NS1_11comp_targetILNS1_3genE5ELNS1_11target_archE942ELNS1_3gpuE9ELNS1_3repE0EEENS1_60segmented_radix_sort_warp_sort_medium_config_static_selectorELNS0_4arch9wavefront6targetE0EEEvSK_
                                        ; -- End function
	.set _ZN7rocprim17ROCPRIM_400000_NS6detail17trampoline_kernelINS0_14default_configENS1_36segmented_radix_sort_config_selectorIslEEZNS1_25segmented_radix_sort_implIS3_Lb1EPKsPsPKlPlN2at6native12_GLOBAL__N_18offset_tEEE10hipError_tPvRmT1_PNSt15iterator_traitsISK_E10value_typeET2_T3_PNSL_ISQ_E10value_typeET4_jRbjT5_SW_jjP12ihipStream_tbEUlT_E0_NS1_11comp_targetILNS1_3genE5ELNS1_11target_archE942ELNS1_3gpuE9ELNS1_3repE0EEENS1_60segmented_radix_sort_warp_sort_medium_config_static_selectorELNS0_4arch9wavefront6targetE0EEEvSK_.num_vgpr, 0
	.set _ZN7rocprim17ROCPRIM_400000_NS6detail17trampoline_kernelINS0_14default_configENS1_36segmented_radix_sort_config_selectorIslEEZNS1_25segmented_radix_sort_implIS3_Lb1EPKsPsPKlPlN2at6native12_GLOBAL__N_18offset_tEEE10hipError_tPvRmT1_PNSt15iterator_traitsISK_E10value_typeET2_T3_PNSL_ISQ_E10value_typeET4_jRbjT5_SW_jjP12ihipStream_tbEUlT_E0_NS1_11comp_targetILNS1_3genE5ELNS1_11target_archE942ELNS1_3gpuE9ELNS1_3repE0EEENS1_60segmented_radix_sort_warp_sort_medium_config_static_selectorELNS0_4arch9wavefront6targetE0EEEvSK_.num_agpr, 0
	.set _ZN7rocprim17ROCPRIM_400000_NS6detail17trampoline_kernelINS0_14default_configENS1_36segmented_radix_sort_config_selectorIslEEZNS1_25segmented_radix_sort_implIS3_Lb1EPKsPsPKlPlN2at6native12_GLOBAL__N_18offset_tEEE10hipError_tPvRmT1_PNSt15iterator_traitsISK_E10value_typeET2_T3_PNSL_ISQ_E10value_typeET4_jRbjT5_SW_jjP12ihipStream_tbEUlT_E0_NS1_11comp_targetILNS1_3genE5ELNS1_11target_archE942ELNS1_3gpuE9ELNS1_3repE0EEENS1_60segmented_radix_sort_warp_sort_medium_config_static_selectorELNS0_4arch9wavefront6targetE0EEEvSK_.numbered_sgpr, 0
	.set _ZN7rocprim17ROCPRIM_400000_NS6detail17trampoline_kernelINS0_14default_configENS1_36segmented_radix_sort_config_selectorIslEEZNS1_25segmented_radix_sort_implIS3_Lb1EPKsPsPKlPlN2at6native12_GLOBAL__N_18offset_tEEE10hipError_tPvRmT1_PNSt15iterator_traitsISK_E10value_typeET2_T3_PNSL_ISQ_E10value_typeET4_jRbjT5_SW_jjP12ihipStream_tbEUlT_E0_NS1_11comp_targetILNS1_3genE5ELNS1_11target_archE942ELNS1_3gpuE9ELNS1_3repE0EEENS1_60segmented_radix_sort_warp_sort_medium_config_static_selectorELNS0_4arch9wavefront6targetE0EEEvSK_.num_named_barrier, 0
	.set _ZN7rocprim17ROCPRIM_400000_NS6detail17trampoline_kernelINS0_14default_configENS1_36segmented_radix_sort_config_selectorIslEEZNS1_25segmented_radix_sort_implIS3_Lb1EPKsPsPKlPlN2at6native12_GLOBAL__N_18offset_tEEE10hipError_tPvRmT1_PNSt15iterator_traitsISK_E10value_typeET2_T3_PNSL_ISQ_E10value_typeET4_jRbjT5_SW_jjP12ihipStream_tbEUlT_E0_NS1_11comp_targetILNS1_3genE5ELNS1_11target_archE942ELNS1_3gpuE9ELNS1_3repE0EEENS1_60segmented_radix_sort_warp_sort_medium_config_static_selectorELNS0_4arch9wavefront6targetE0EEEvSK_.private_seg_size, 0
	.set _ZN7rocprim17ROCPRIM_400000_NS6detail17trampoline_kernelINS0_14default_configENS1_36segmented_radix_sort_config_selectorIslEEZNS1_25segmented_radix_sort_implIS3_Lb1EPKsPsPKlPlN2at6native12_GLOBAL__N_18offset_tEEE10hipError_tPvRmT1_PNSt15iterator_traitsISK_E10value_typeET2_T3_PNSL_ISQ_E10value_typeET4_jRbjT5_SW_jjP12ihipStream_tbEUlT_E0_NS1_11comp_targetILNS1_3genE5ELNS1_11target_archE942ELNS1_3gpuE9ELNS1_3repE0EEENS1_60segmented_radix_sort_warp_sort_medium_config_static_selectorELNS0_4arch9wavefront6targetE0EEEvSK_.uses_vcc, 0
	.set _ZN7rocprim17ROCPRIM_400000_NS6detail17trampoline_kernelINS0_14default_configENS1_36segmented_radix_sort_config_selectorIslEEZNS1_25segmented_radix_sort_implIS3_Lb1EPKsPsPKlPlN2at6native12_GLOBAL__N_18offset_tEEE10hipError_tPvRmT1_PNSt15iterator_traitsISK_E10value_typeET2_T3_PNSL_ISQ_E10value_typeET4_jRbjT5_SW_jjP12ihipStream_tbEUlT_E0_NS1_11comp_targetILNS1_3genE5ELNS1_11target_archE942ELNS1_3gpuE9ELNS1_3repE0EEENS1_60segmented_radix_sort_warp_sort_medium_config_static_selectorELNS0_4arch9wavefront6targetE0EEEvSK_.uses_flat_scratch, 0
	.set _ZN7rocprim17ROCPRIM_400000_NS6detail17trampoline_kernelINS0_14default_configENS1_36segmented_radix_sort_config_selectorIslEEZNS1_25segmented_radix_sort_implIS3_Lb1EPKsPsPKlPlN2at6native12_GLOBAL__N_18offset_tEEE10hipError_tPvRmT1_PNSt15iterator_traitsISK_E10value_typeET2_T3_PNSL_ISQ_E10value_typeET4_jRbjT5_SW_jjP12ihipStream_tbEUlT_E0_NS1_11comp_targetILNS1_3genE5ELNS1_11target_archE942ELNS1_3gpuE9ELNS1_3repE0EEENS1_60segmented_radix_sort_warp_sort_medium_config_static_selectorELNS0_4arch9wavefront6targetE0EEEvSK_.has_dyn_sized_stack, 0
	.set _ZN7rocprim17ROCPRIM_400000_NS6detail17trampoline_kernelINS0_14default_configENS1_36segmented_radix_sort_config_selectorIslEEZNS1_25segmented_radix_sort_implIS3_Lb1EPKsPsPKlPlN2at6native12_GLOBAL__N_18offset_tEEE10hipError_tPvRmT1_PNSt15iterator_traitsISK_E10value_typeET2_T3_PNSL_ISQ_E10value_typeET4_jRbjT5_SW_jjP12ihipStream_tbEUlT_E0_NS1_11comp_targetILNS1_3genE5ELNS1_11target_archE942ELNS1_3gpuE9ELNS1_3repE0EEENS1_60segmented_radix_sort_warp_sort_medium_config_static_selectorELNS0_4arch9wavefront6targetE0EEEvSK_.has_recursion, 0
	.set _ZN7rocprim17ROCPRIM_400000_NS6detail17trampoline_kernelINS0_14default_configENS1_36segmented_radix_sort_config_selectorIslEEZNS1_25segmented_radix_sort_implIS3_Lb1EPKsPsPKlPlN2at6native12_GLOBAL__N_18offset_tEEE10hipError_tPvRmT1_PNSt15iterator_traitsISK_E10value_typeET2_T3_PNSL_ISQ_E10value_typeET4_jRbjT5_SW_jjP12ihipStream_tbEUlT_E0_NS1_11comp_targetILNS1_3genE5ELNS1_11target_archE942ELNS1_3gpuE9ELNS1_3repE0EEENS1_60segmented_radix_sort_warp_sort_medium_config_static_selectorELNS0_4arch9wavefront6targetE0EEEvSK_.has_indirect_call, 0
	.section	.AMDGPU.csdata,"",@progbits
; Kernel info:
; codeLenInByte = 0
; TotalNumSgprs: 0
; NumVgprs: 0
; ScratchSize: 0
; MemoryBound: 0
; FloatMode: 240
; IeeeMode: 1
; LDSByteSize: 0 bytes/workgroup (compile time only)
; SGPRBlocks: 0
; VGPRBlocks: 0
; NumSGPRsForWavesPerEU: 1
; NumVGPRsForWavesPerEU: 1
; Occupancy: 16
; WaveLimiterHint : 0
; COMPUTE_PGM_RSRC2:SCRATCH_EN: 0
; COMPUTE_PGM_RSRC2:USER_SGPR: 2
; COMPUTE_PGM_RSRC2:TRAP_HANDLER: 0
; COMPUTE_PGM_RSRC2:TGID_X_EN: 1
; COMPUTE_PGM_RSRC2:TGID_Y_EN: 0
; COMPUTE_PGM_RSRC2:TGID_Z_EN: 0
; COMPUTE_PGM_RSRC2:TIDIG_COMP_CNT: 0
	.section	.text._ZN7rocprim17ROCPRIM_400000_NS6detail17trampoline_kernelINS0_14default_configENS1_36segmented_radix_sort_config_selectorIslEEZNS1_25segmented_radix_sort_implIS3_Lb1EPKsPsPKlPlN2at6native12_GLOBAL__N_18offset_tEEE10hipError_tPvRmT1_PNSt15iterator_traitsISK_E10value_typeET2_T3_PNSL_ISQ_E10value_typeET4_jRbjT5_SW_jjP12ihipStream_tbEUlT_E0_NS1_11comp_targetILNS1_3genE4ELNS1_11target_archE910ELNS1_3gpuE8ELNS1_3repE0EEENS1_60segmented_radix_sort_warp_sort_medium_config_static_selectorELNS0_4arch9wavefront6targetE0EEEvSK_,"axG",@progbits,_ZN7rocprim17ROCPRIM_400000_NS6detail17trampoline_kernelINS0_14default_configENS1_36segmented_radix_sort_config_selectorIslEEZNS1_25segmented_radix_sort_implIS3_Lb1EPKsPsPKlPlN2at6native12_GLOBAL__N_18offset_tEEE10hipError_tPvRmT1_PNSt15iterator_traitsISK_E10value_typeET2_T3_PNSL_ISQ_E10value_typeET4_jRbjT5_SW_jjP12ihipStream_tbEUlT_E0_NS1_11comp_targetILNS1_3genE4ELNS1_11target_archE910ELNS1_3gpuE8ELNS1_3repE0EEENS1_60segmented_radix_sort_warp_sort_medium_config_static_selectorELNS0_4arch9wavefront6targetE0EEEvSK_,comdat
	.globl	_ZN7rocprim17ROCPRIM_400000_NS6detail17trampoline_kernelINS0_14default_configENS1_36segmented_radix_sort_config_selectorIslEEZNS1_25segmented_radix_sort_implIS3_Lb1EPKsPsPKlPlN2at6native12_GLOBAL__N_18offset_tEEE10hipError_tPvRmT1_PNSt15iterator_traitsISK_E10value_typeET2_T3_PNSL_ISQ_E10value_typeET4_jRbjT5_SW_jjP12ihipStream_tbEUlT_E0_NS1_11comp_targetILNS1_3genE4ELNS1_11target_archE910ELNS1_3gpuE8ELNS1_3repE0EEENS1_60segmented_radix_sort_warp_sort_medium_config_static_selectorELNS0_4arch9wavefront6targetE0EEEvSK_ ; -- Begin function _ZN7rocprim17ROCPRIM_400000_NS6detail17trampoline_kernelINS0_14default_configENS1_36segmented_radix_sort_config_selectorIslEEZNS1_25segmented_radix_sort_implIS3_Lb1EPKsPsPKlPlN2at6native12_GLOBAL__N_18offset_tEEE10hipError_tPvRmT1_PNSt15iterator_traitsISK_E10value_typeET2_T3_PNSL_ISQ_E10value_typeET4_jRbjT5_SW_jjP12ihipStream_tbEUlT_E0_NS1_11comp_targetILNS1_3genE4ELNS1_11target_archE910ELNS1_3gpuE8ELNS1_3repE0EEENS1_60segmented_radix_sort_warp_sort_medium_config_static_selectorELNS0_4arch9wavefront6targetE0EEEvSK_
	.p2align	8
	.type	_ZN7rocprim17ROCPRIM_400000_NS6detail17trampoline_kernelINS0_14default_configENS1_36segmented_radix_sort_config_selectorIslEEZNS1_25segmented_radix_sort_implIS3_Lb1EPKsPsPKlPlN2at6native12_GLOBAL__N_18offset_tEEE10hipError_tPvRmT1_PNSt15iterator_traitsISK_E10value_typeET2_T3_PNSL_ISQ_E10value_typeET4_jRbjT5_SW_jjP12ihipStream_tbEUlT_E0_NS1_11comp_targetILNS1_3genE4ELNS1_11target_archE910ELNS1_3gpuE8ELNS1_3repE0EEENS1_60segmented_radix_sort_warp_sort_medium_config_static_selectorELNS0_4arch9wavefront6targetE0EEEvSK_,@function
_ZN7rocprim17ROCPRIM_400000_NS6detail17trampoline_kernelINS0_14default_configENS1_36segmented_radix_sort_config_selectorIslEEZNS1_25segmented_radix_sort_implIS3_Lb1EPKsPsPKlPlN2at6native12_GLOBAL__N_18offset_tEEE10hipError_tPvRmT1_PNSt15iterator_traitsISK_E10value_typeET2_T3_PNSL_ISQ_E10value_typeET4_jRbjT5_SW_jjP12ihipStream_tbEUlT_E0_NS1_11comp_targetILNS1_3genE4ELNS1_11target_archE910ELNS1_3gpuE8ELNS1_3repE0EEENS1_60segmented_radix_sort_warp_sort_medium_config_static_selectorELNS0_4arch9wavefront6targetE0EEEvSK_: ; @_ZN7rocprim17ROCPRIM_400000_NS6detail17trampoline_kernelINS0_14default_configENS1_36segmented_radix_sort_config_selectorIslEEZNS1_25segmented_radix_sort_implIS3_Lb1EPKsPsPKlPlN2at6native12_GLOBAL__N_18offset_tEEE10hipError_tPvRmT1_PNSt15iterator_traitsISK_E10value_typeET2_T3_PNSL_ISQ_E10value_typeET4_jRbjT5_SW_jjP12ihipStream_tbEUlT_E0_NS1_11comp_targetILNS1_3genE4ELNS1_11target_archE910ELNS1_3gpuE8ELNS1_3repE0EEENS1_60segmented_radix_sort_warp_sort_medium_config_static_selectorELNS0_4arch9wavefront6targetE0EEEvSK_
; %bb.0:
	.section	.rodata,"a",@progbits
	.p2align	6, 0x0
	.amdhsa_kernel _ZN7rocprim17ROCPRIM_400000_NS6detail17trampoline_kernelINS0_14default_configENS1_36segmented_radix_sort_config_selectorIslEEZNS1_25segmented_radix_sort_implIS3_Lb1EPKsPsPKlPlN2at6native12_GLOBAL__N_18offset_tEEE10hipError_tPvRmT1_PNSt15iterator_traitsISK_E10value_typeET2_T3_PNSL_ISQ_E10value_typeET4_jRbjT5_SW_jjP12ihipStream_tbEUlT_E0_NS1_11comp_targetILNS1_3genE4ELNS1_11target_archE910ELNS1_3gpuE8ELNS1_3repE0EEENS1_60segmented_radix_sort_warp_sort_medium_config_static_selectorELNS0_4arch9wavefront6targetE0EEEvSK_
		.amdhsa_group_segment_fixed_size 0
		.amdhsa_private_segment_fixed_size 0
		.amdhsa_kernarg_size 88
		.amdhsa_user_sgpr_count 2
		.amdhsa_user_sgpr_dispatch_ptr 0
		.amdhsa_user_sgpr_queue_ptr 0
		.amdhsa_user_sgpr_kernarg_segment_ptr 1
		.amdhsa_user_sgpr_dispatch_id 0
		.amdhsa_user_sgpr_private_segment_size 0
		.amdhsa_wavefront_size32 1
		.amdhsa_uses_dynamic_stack 0
		.amdhsa_enable_private_segment 0
		.amdhsa_system_sgpr_workgroup_id_x 1
		.amdhsa_system_sgpr_workgroup_id_y 0
		.amdhsa_system_sgpr_workgroup_id_z 0
		.amdhsa_system_sgpr_workgroup_info 0
		.amdhsa_system_vgpr_workitem_id 0
		.amdhsa_next_free_vgpr 1
		.amdhsa_next_free_sgpr 1
		.amdhsa_reserve_vcc 0
		.amdhsa_float_round_mode_32 0
		.amdhsa_float_round_mode_16_64 0
		.amdhsa_float_denorm_mode_32 3
		.amdhsa_float_denorm_mode_16_64 3
		.amdhsa_fp16_overflow 0
		.amdhsa_workgroup_processor_mode 1
		.amdhsa_memory_ordered 1
		.amdhsa_forward_progress 1
		.amdhsa_inst_pref_size 0
		.amdhsa_round_robin_scheduling 0
		.amdhsa_exception_fp_ieee_invalid_op 0
		.amdhsa_exception_fp_denorm_src 0
		.amdhsa_exception_fp_ieee_div_zero 0
		.amdhsa_exception_fp_ieee_overflow 0
		.amdhsa_exception_fp_ieee_underflow 0
		.amdhsa_exception_fp_ieee_inexact 0
		.amdhsa_exception_int_div_zero 0
	.end_amdhsa_kernel
	.section	.text._ZN7rocprim17ROCPRIM_400000_NS6detail17trampoline_kernelINS0_14default_configENS1_36segmented_radix_sort_config_selectorIslEEZNS1_25segmented_radix_sort_implIS3_Lb1EPKsPsPKlPlN2at6native12_GLOBAL__N_18offset_tEEE10hipError_tPvRmT1_PNSt15iterator_traitsISK_E10value_typeET2_T3_PNSL_ISQ_E10value_typeET4_jRbjT5_SW_jjP12ihipStream_tbEUlT_E0_NS1_11comp_targetILNS1_3genE4ELNS1_11target_archE910ELNS1_3gpuE8ELNS1_3repE0EEENS1_60segmented_radix_sort_warp_sort_medium_config_static_selectorELNS0_4arch9wavefront6targetE0EEEvSK_,"axG",@progbits,_ZN7rocprim17ROCPRIM_400000_NS6detail17trampoline_kernelINS0_14default_configENS1_36segmented_radix_sort_config_selectorIslEEZNS1_25segmented_radix_sort_implIS3_Lb1EPKsPsPKlPlN2at6native12_GLOBAL__N_18offset_tEEE10hipError_tPvRmT1_PNSt15iterator_traitsISK_E10value_typeET2_T3_PNSL_ISQ_E10value_typeET4_jRbjT5_SW_jjP12ihipStream_tbEUlT_E0_NS1_11comp_targetILNS1_3genE4ELNS1_11target_archE910ELNS1_3gpuE8ELNS1_3repE0EEENS1_60segmented_radix_sort_warp_sort_medium_config_static_selectorELNS0_4arch9wavefront6targetE0EEEvSK_,comdat
.Lfunc_end923:
	.size	_ZN7rocprim17ROCPRIM_400000_NS6detail17trampoline_kernelINS0_14default_configENS1_36segmented_radix_sort_config_selectorIslEEZNS1_25segmented_radix_sort_implIS3_Lb1EPKsPsPKlPlN2at6native12_GLOBAL__N_18offset_tEEE10hipError_tPvRmT1_PNSt15iterator_traitsISK_E10value_typeET2_T3_PNSL_ISQ_E10value_typeET4_jRbjT5_SW_jjP12ihipStream_tbEUlT_E0_NS1_11comp_targetILNS1_3genE4ELNS1_11target_archE910ELNS1_3gpuE8ELNS1_3repE0EEENS1_60segmented_radix_sort_warp_sort_medium_config_static_selectorELNS0_4arch9wavefront6targetE0EEEvSK_, .Lfunc_end923-_ZN7rocprim17ROCPRIM_400000_NS6detail17trampoline_kernelINS0_14default_configENS1_36segmented_radix_sort_config_selectorIslEEZNS1_25segmented_radix_sort_implIS3_Lb1EPKsPsPKlPlN2at6native12_GLOBAL__N_18offset_tEEE10hipError_tPvRmT1_PNSt15iterator_traitsISK_E10value_typeET2_T3_PNSL_ISQ_E10value_typeET4_jRbjT5_SW_jjP12ihipStream_tbEUlT_E0_NS1_11comp_targetILNS1_3genE4ELNS1_11target_archE910ELNS1_3gpuE8ELNS1_3repE0EEENS1_60segmented_radix_sort_warp_sort_medium_config_static_selectorELNS0_4arch9wavefront6targetE0EEEvSK_
                                        ; -- End function
	.set _ZN7rocprim17ROCPRIM_400000_NS6detail17trampoline_kernelINS0_14default_configENS1_36segmented_radix_sort_config_selectorIslEEZNS1_25segmented_radix_sort_implIS3_Lb1EPKsPsPKlPlN2at6native12_GLOBAL__N_18offset_tEEE10hipError_tPvRmT1_PNSt15iterator_traitsISK_E10value_typeET2_T3_PNSL_ISQ_E10value_typeET4_jRbjT5_SW_jjP12ihipStream_tbEUlT_E0_NS1_11comp_targetILNS1_3genE4ELNS1_11target_archE910ELNS1_3gpuE8ELNS1_3repE0EEENS1_60segmented_radix_sort_warp_sort_medium_config_static_selectorELNS0_4arch9wavefront6targetE0EEEvSK_.num_vgpr, 0
	.set _ZN7rocprim17ROCPRIM_400000_NS6detail17trampoline_kernelINS0_14default_configENS1_36segmented_radix_sort_config_selectorIslEEZNS1_25segmented_radix_sort_implIS3_Lb1EPKsPsPKlPlN2at6native12_GLOBAL__N_18offset_tEEE10hipError_tPvRmT1_PNSt15iterator_traitsISK_E10value_typeET2_T3_PNSL_ISQ_E10value_typeET4_jRbjT5_SW_jjP12ihipStream_tbEUlT_E0_NS1_11comp_targetILNS1_3genE4ELNS1_11target_archE910ELNS1_3gpuE8ELNS1_3repE0EEENS1_60segmented_radix_sort_warp_sort_medium_config_static_selectorELNS0_4arch9wavefront6targetE0EEEvSK_.num_agpr, 0
	.set _ZN7rocprim17ROCPRIM_400000_NS6detail17trampoline_kernelINS0_14default_configENS1_36segmented_radix_sort_config_selectorIslEEZNS1_25segmented_radix_sort_implIS3_Lb1EPKsPsPKlPlN2at6native12_GLOBAL__N_18offset_tEEE10hipError_tPvRmT1_PNSt15iterator_traitsISK_E10value_typeET2_T3_PNSL_ISQ_E10value_typeET4_jRbjT5_SW_jjP12ihipStream_tbEUlT_E0_NS1_11comp_targetILNS1_3genE4ELNS1_11target_archE910ELNS1_3gpuE8ELNS1_3repE0EEENS1_60segmented_radix_sort_warp_sort_medium_config_static_selectorELNS0_4arch9wavefront6targetE0EEEvSK_.numbered_sgpr, 0
	.set _ZN7rocprim17ROCPRIM_400000_NS6detail17trampoline_kernelINS0_14default_configENS1_36segmented_radix_sort_config_selectorIslEEZNS1_25segmented_radix_sort_implIS3_Lb1EPKsPsPKlPlN2at6native12_GLOBAL__N_18offset_tEEE10hipError_tPvRmT1_PNSt15iterator_traitsISK_E10value_typeET2_T3_PNSL_ISQ_E10value_typeET4_jRbjT5_SW_jjP12ihipStream_tbEUlT_E0_NS1_11comp_targetILNS1_3genE4ELNS1_11target_archE910ELNS1_3gpuE8ELNS1_3repE0EEENS1_60segmented_radix_sort_warp_sort_medium_config_static_selectorELNS0_4arch9wavefront6targetE0EEEvSK_.num_named_barrier, 0
	.set _ZN7rocprim17ROCPRIM_400000_NS6detail17trampoline_kernelINS0_14default_configENS1_36segmented_radix_sort_config_selectorIslEEZNS1_25segmented_radix_sort_implIS3_Lb1EPKsPsPKlPlN2at6native12_GLOBAL__N_18offset_tEEE10hipError_tPvRmT1_PNSt15iterator_traitsISK_E10value_typeET2_T3_PNSL_ISQ_E10value_typeET4_jRbjT5_SW_jjP12ihipStream_tbEUlT_E0_NS1_11comp_targetILNS1_3genE4ELNS1_11target_archE910ELNS1_3gpuE8ELNS1_3repE0EEENS1_60segmented_radix_sort_warp_sort_medium_config_static_selectorELNS0_4arch9wavefront6targetE0EEEvSK_.private_seg_size, 0
	.set _ZN7rocprim17ROCPRIM_400000_NS6detail17trampoline_kernelINS0_14default_configENS1_36segmented_radix_sort_config_selectorIslEEZNS1_25segmented_radix_sort_implIS3_Lb1EPKsPsPKlPlN2at6native12_GLOBAL__N_18offset_tEEE10hipError_tPvRmT1_PNSt15iterator_traitsISK_E10value_typeET2_T3_PNSL_ISQ_E10value_typeET4_jRbjT5_SW_jjP12ihipStream_tbEUlT_E0_NS1_11comp_targetILNS1_3genE4ELNS1_11target_archE910ELNS1_3gpuE8ELNS1_3repE0EEENS1_60segmented_radix_sort_warp_sort_medium_config_static_selectorELNS0_4arch9wavefront6targetE0EEEvSK_.uses_vcc, 0
	.set _ZN7rocprim17ROCPRIM_400000_NS6detail17trampoline_kernelINS0_14default_configENS1_36segmented_radix_sort_config_selectorIslEEZNS1_25segmented_radix_sort_implIS3_Lb1EPKsPsPKlPlN2at6native12_GLOBAL__N_18offset_tEEE10hipError_tPvRmT1_PNSt15iterator_traitsISK_E10value_typeET2_T3_PNSL_ISQ_E10value_typeET4_jRbjT5_SW_jjP12ihipStream_tbEUlT_E0_NS1_11comp_targetILNS1_3genE4ELNS1_11target_archE910ELNS1_3gpuE8ELNS1_3repE0EEENS1_60segmented_radix_sort_warp_sort_medium_config_static_selectorELNS0_4arch9wavefront6targetE0EEEvSK_.uses_flat_scratch, 0
	.set _ZN7rocprim17ROCPRIM_400000_NS6detail17trampoline_kernelINS0_14default_configENS1_36segmented_radix_sort_config_selectorIslEEZNS1_25segmented_radix_sort_implIS3_Lb1EPKsPsPKlPlN2at6native12_GLOBAL__N_18offset_tEEE10hipError_tPvRmT1_PNSt15iterator_traitsISK_E10value_typeET2_T3_PNSL_ISQ_E10value_typeET4_jRbjT5_SW_jjP12ihipStream_tbEUlT_E0_NS1_11comp_targetILNS1_3genE4ELNS1_11target_archE910ELNS1_3gpuE8ELNS1_3repE0EEENS1_60segmented_radix_sort_warp_sort_medium_config_static_selectorELNS0_4arch9wavefront6targetE0EEEvSK_.has_dyn_sized_stack, 0
	.set _ZN7rocprim17ROCPRIM_400000_NS6detail17trampoline_kernelINS0_14default_configENS1_36segmented_radix_sort_config_selectorIslEEZNS1_25segmented_radix_sort_implIS3_Lb1EPKsPsPKlPlN2at6native12_GLOBAL__N_18offset_tEEE10hipError_tPvRmT1_PNSt15iterator_traitsISK_E10value_typeET2_T3_PNSL_ISQ_E10value_typeET4_jRbjT5_SW_jjP12ihipStream_tbEUlT_E0_NS1_11comp_targetILNS1_3genE4ELNS1_11target_archE910ELNS1_3gpuE8ELNS1_3repE0EEENS1_60segmented_radix_sort_warp_sort_medium_config_static_selectorELNS0_4arch9wavefront6targetE0EEEvSK_.has_recursion, 0
	.set _ZN7rocprim17ROCPRIM_400000_NS6detail17trampoline_kernelINS0_14default_configENS1_36segmented_radix_sort_config_selectorIslEEZNS1_25segmented_radix_sort_implIS3_Lb1EPKsPsPKlPlN2at6native12_GLOBAL__N_18offset_tEEE10hipError_tPvRmT1_PNSt15iterator_traitsISK_E10value_typeET2_T3_PNSL_ISQ_E10value_typeET4_jRbjT5_SW_jjP12ihipStream_tbEUlT_E0_NS1_11comp_targetILNS1_3genE4ELNS1_11target_archE910ELNS1_3gpuE8ELNS1_3repE0EEENS1_60segmented_radix_sort_warp_sort_medium_config_static_selectorELNS0_4arch9wavefront6targetE0EEEvSK_.has_indirect_call, 0
	.section	.AMDGPU.csdata,"",@progbits
; Kernel info:
; codeLenInByte = 0
; TotalNumSgprs: 0
; NumVgprs: 0
; ScratchSize: 0
; MemoryBound: 0
; FloatMode: 240
; IeeeMode: 1
; LDSByteSize: 0 bytes/workgroup (compile time only)
; SGPRBlocks: 0
; VGPRBlocks: 0
; NumSGPRsForWavesPerEU: 1
; NumVGPRsForWavesPerEU: 1
; Occupancy: 16
; WaveLimiterHint : 0
; COMPUTE_PGM_RSRC2:SCRATCH_EN: 0
; COMPUTE_PGM_RSRC2:USER_SGPR: 2
; COMPUTE_PGM_RSRC2:TRAP_HANDLER: 0
; COMPUTE_PGM_RSRC2:TGID_X_EN: 1
; COMPUTE_PGM_RSRC2:TGID_Y_EN: 0
; COMPUTE_PGM_RSRC2:TGID_Z_EN: 0
; COMPUTE_PGM_RSRC2:TIDIG_COMP_CNT: 0
	.section	.text._ZN7rocprim17ROCPRIM_400000_NS6detail17trampoline_kernelINS0_14default_configENS1_36segmented_radix_sort_config_selectorIslEEZNS1_25segmented_radix_sort_implIS3_Lb1EPKsPsPKlPlN2at6native12_GLOBAL__N_18offset_tEEE10hipError_tPvRmT1_PNSt15iterator_traitsISK_E10value_typeET2_T3_PNSL_ISQ_E10value_typeET4_jRbjT5_SW_jjP12ihipStream_tbEUlT_E0_NS1_11comp_targetILNS1_3genE3ELNS1_11target_archE908ELNS1_3gpuE7ELNS1_3repE0EEENS1_60segmented_radix_sort_warp_sort_medium_config_static_selectorELNS0_4arch9wavefront6targetE0EEEvSK_,"axG",@progbits,_ZN7rocprim17ROCPRIM_400000_NS6detail17trampoline_kernelINS0_14default_configENS1_36segmented_radix_sort_config_selectorIslEEZNS1_25segmented_radix_sort_implIS3_Lb1EPKsPsPKlPlN2at6native12_GLOBAL__N_18offset_tEEE10hipError_tPvRmT1_PNSt15iterator_traitsISK_E10value_typeET2_T3_PNSL_ISQ_E10value_typeET4_jRbjT5_SW_jjP12ihipStream_tbEUlT_E0_NS1_11comp_targetILNS1_3genE3ELNS1_11target_archE908ELNS1_3gpuE7ELNS1_3repE0EEENS1_60segmented_radix_sort_warp_sort_medium_config_static_selectorELNS0_4arch9wavefront6targetE0EEEvSK_,comdat
	.globl	_ZN7rocprim17ROCPRIM_400000_NS6detail17trampoline_kernelINS0_14default_configENS1_36segmented_radix_sort_config_selectorIslEEZNS1_25segmented_radix_sort_implIS3_Lb1EPKsPsPKlPlN2at6native12_GLOBAL__N_18offset_tEEE10hipError_tPvRmT1_PNSt15iterator_traitsISK_E10value_typeET2_T3_PNSL_ISQ_E10value_typeET4_jRbjT5_SW_jjP12ihipStream_tbEUlT_E0_NS1_11comp_targetILNS1_3genE3ELNS1_11target_archE908ELNS1_3gpuE7ELNS1_3repE0EEENS1_60segmented_radix_sort_warp_sort_medium_config_static_selectorELNS0_4arch9wavefront6targetE0EEEvSK_ ; -- Begin function _ZN7rocprim17ROCPRIM_400000_NS6detail17trampoline_kernelINS0_14default_configENS1_36segmented_radix_sort_config_selectorIslEEZNS1_25segmented_radix_sort_implIS3_Lb1EPKsPsPKlPlN2at6native12_GLOBAL__N_18offset_tEEE10hipError_tPvRmT1_PNSt15iterator_traitsISK_E10value_typeET2_T3_PNSL_ISQ_E10value_typeET4_jRbjT5_SW_jjP12ihipStream_tbEUlT_E0_NS1_11comp_targetILNS1_3genE3ELNS1_11target_archE908ELNS1_3gpuE7ELNS1_3repE0EEENS1_60segmented_radix_sort_warp_sort_medium_config_static_selectorELNS0_4arch9wavefront6targetE0EEEvSK_
	.p2align	8
	.type	_ZN7rocprim17ROCPRIM_400000_NS6detail17trampoline_kernelINS0_14default_configENS1_36segmented_radix_sort_config_selectorIslEEZNS1_25segmented_radix_sort_implIS3_Lb1EPKsPsPKlPlN2at6native12_GLOBAL__N_18offset_tEEE10hipError_tPvRmT1_PNSt15iterator_traitsISK_E10value_typeET2_T3_PNSL_ISQ_E10value_typeET4_jRbjT5_SW_jjP12ihipStream_tbEUlT_E0_NS1_11comp_targetILNS1_3genE3ELNS1_11target_archE908ELNS1_3gpuE7ELNS1_3repE0EEENS1_60segmented_radix_sort_warp_sort_medium_config_static_selectorELNS0_4arch9wavefront6targetE0EEEvSK_,@function
_ZN7rocprim17ROCPRIM_400000_NS6detail17trampoline_kernelINS0_14default_configENS1_36segmented_radix_sort_config_selectorIslEEZNS1_25segmented_radix_sort_implIS3_Lb1EPKsPsPKlPlN2at6native12_GLOBAL__N_18offset_tEEE10hipError_tPvRmT1_PNSt15iterator_traitsISK_E10value_typeET2_T3_PNSL_ISQ_E10value_typeET4_jRbjT5_SW_jjP12ihipStream_tbEUlT_E0_NS1_11comp_targetILNS1_3genE3ELNS1_11target_archE908ELNS1_3gpuE7ELNS1_3repE0EEENS1_60segmented_radix_sort_warp_sort_medium_config_static_selectorELNS0_4arch9wavefront6targetE0EEEvSK_: ; @_ZN7rocprim17ROCPRIM_400000_NS6detail17trampoline_kernelINS0_14default_configENS1_36segmented_radix_sort_config_selectorIslEEZNS1_25segmented_radix_sort_implIS3_Lb1EPKsPsPKlPlN2at6native12_GLOBAL__N_18offset_tEEE10hipError_tPvRmT1_PNSt15iterator_traitsISK_E10value_typeET2_T3_PNSL_ISQ_E10value_typeET4_jRbjT5_SW_jjP12ihipStream_tbEUlT_E0_NS1_11comp_targetILNS1_3genE3ELNS1_11target_archE908ELNS1_3gpuE7ELNS1_3repE0EEENS1_60segmented_radix_sort_warp_sort_medium_config_static_selectorELNS0_4arch9wavefront6targetE0EEEvSK_
; %bb.0:
	.section	.rodata,"a",@progbits
	.p2align	6, 0x0
	.amdhsa_kernel _ZN7rocprim17ROCPRIM_400000_NS6detail17trampoline_kernelINS0_14default_configENS1_36segmented_radix_sort_config_selectorIslEEZNS1_25segmented_radix_sort_implIS3_Lb1EPKsPsPKlPlN2at6native12_GLOBAL__N_18offset_tEEE10hipError_tPvRmT1_PNSt15iterator_traitsISK_E10value_typeET2_T3_PNSL_ISQ_E10value_typeET4_jRbjT5_SW_jjP12ihipStream_tbEUlT_E0_NS1_11comp_targetILNS1_3genE3ELNS1_11target_archE908ELNS1_3gpuE7ELNS1_3repE0EEENS1_60segmented_radix_sort_warp_sort_medium_config_static_selectorELNS0_4arch9wavefront6targetE0EEEvSK_
		.amdhsa_group_segment_fixed_size 0
		.amdhsa_private_segment_fixed_size 0
		.amdhsa_kernarg_size 88
		.amdhsa_user_sgpr_count 2
		.amdhsa_user_sgpr_dispatch_ptr 0
		.amdhsa_user_sgpr_queue_ptr 0
		.amdhsa_user_sgpr_kernarg_segment_ptr 1
		.amdhsa_user_sgpr_dispatch_id 0
		.amdhsa_user_sgpr_private_segment_size 0
		.amdhsa_wavefront_size32 1
		.amdhsa_uses_dynamic_stack 0
		.amdhsa_enable_private_segment 0
		.amdhsa_system_sgpr_workgroup_id_x 1
		.amdhsa_system_sgpr_workgroup_id_y 0
		.amdhsa_system_sgpr_workgroup_id_z 0
		.amdhsa_system_sgpr_workgroup_info 0
		.amdhsa_system_vgpr_workitem_id 0
		.amdhsa_next_free_vgpr 1
		.amdhsa_next_free_sgpr 1
		.amdhsa_reserve_vcc 0
		.amdhsa_float_round_mode_32 0
		.amdhsa_float_round_mode_16_64 0
		.amdhsa_float_denorm_mode_32 3
		.amdhsa_float_denorm_mode_16_64 3
		.amdhsa_fp16_overflow 0
		.amdhsa_workgroup_processor_mode 1
		.amdhsa_memory_ordered 1
		.amdhsa_forward_progress 1
		.amdhsa_inst_pref_size 0
		.amdhsa_round_robin_scheduling 0
		.amdhsa_exception_fp_ieee_invalid_op 0
		.amdhsa_exception_fp_denorm_src 0
		.amdhsa_exception_fp_ieee_div_zero 0
		.amdhsa_exception_fp_ieee_overflow 0
		.amdhsa_exception_fp_ieee_underflow 0
		.amdhsa_exception_fp_ieee_inexact 0
		.amdhsa_exception_int_div_zero 0
	.end_amdhsa_kernel
	.section	.text._ZN7rocprim17ROCPRIM_400000_NS6detail17trampoline_kernelINS0_14default_configENS1_36segmented_radix_sort_config_selectorIslEEZNS1_25segmented_radix_sort_implIS3_Lb1EPKsPsPKlPlN2at6native12_GLOBAL__N_18offset_tEEE10hipError_tPvRmT1_PNSt15iterator_traitsISK_E10value_typeET2_T3_PNSL_ISQ_E10value_typeET4_jRbjT5_SW_jjP12ihipStream_tbEUlT_E0_NS1_11comp_targetILNS1_3genE3ELNS1_11target_archE908ELNS1_3gpuE7ELNS1_3repE0EEENS1_60segmented_radix_sort_warp_sort_medium_config_static_selectorELNS0_4arch9wavefront6targetE0EEEvSK_,"axG",@progbits,_ZN7rocprim17ROCPRIM_400000_NS6detail17trampoline_kernelINS0_14default_configENS1_36segmented_radix_sort_config_selectorIslEEZNS1_25segmented_radix_sort_implIS3_Lb1EPKsPsPKlPlN2at6native12_GLOBAL__N_18offset_tEEE10hipError_tPvRmT1_PNSt15iterator_traitsISK_E10value_typeET2_T3_PNSL_ISQ_E10value_typeET4_jRbjT5_SW_jjP12ihipStream_tbEUlT_E0_NS1_11comp_targetILNS1_3genE3ELNS1_11target_archE908ELNS1_3gpuE7ELNS1_3repE0EEENS1_60segmented_radix_sort_warp_sort_medium_config_static_selectorELNS0_4arch9wavefront6targetE0EEEvSK_,comdat
.Lfunc_end924:
	.size	_ZN7rocprim17ROCPRIM_400000_NS6detail17trampoline_kernelINS0_14default_configENS1_36segmented_radix_sort_config_selectorIslEEZNS1_25segmented_radix_sort_implIS3_Lb1EPKsPsPKlPlN2at6native12_GLOBAL__N_18offset_tEEE10hipError_tPvRmT1_PNSt15iterator_traitsISK_E10value_typeET2_T3_PNSL_ISQ_E10value_typeET4_jRbjT5_SW_jjP12ihipStream_tbEUlT_E0_NS1_11comp_targetILNS1_3genE3ELNS1_11target_archE908ELNS1_3gpuE7ELNS1_3repE0EEENS1_60segmented_radix_sort_warp_sort_medium_config_static_selectorELNS0_4arch9wavefront6targetE0EEEvSK_, .Lfunc_end924-_ZN7rocprim17ROCPRIM_400000_NS6detail17trampoline_kernelINS0_14default_configENS1_36segmented_radix_sort_config_selectorIslEEZNS1_25segmented_radix_sort_implIS3_Lb1EPKsPsPKlPlN2at6native12_GLOBAL__N_18offset_tEEE10hipError_tPvRmT1_PNSt15iterator_traitsISK_E10value_typeET2_T3_PNSL_ISQ_E10value_typeET4_jRbjT5_SW_jjP12ihipStream_tbEUlT_E0_NS1_11comp_targetILNS1_3genE3ELNS1_11target_archE908ELNS1_3gpuE7ELNS1_3repE0EEENS1_60segmented_radix_sort_warp_sort_medium_config_static_selectorELNS0_4arch9wavefront6targetE0EEEvSK_
                                        ; -- End function
	.set _ZN7rocprim17ROCPRIM_400000_NS6detail17trampoline_kernelINS0_14default_configENS1_36segmented_radix_sort_config_selectorIslEEZNS1_25segmented_radix_sort_implIS3_Lb1EPKsPsPKlPlN2at6native12_GLOBAL__N_18offset_tEEE10hipError_tPvRmT1_PNSt15iterator_traitsISK_E10value_typeET2_T3_PNSL_ISQ_E10value_typeET4_jRbjT5_SW_jjP12ihipStream_tbEUlT_E0_NS1_11comp_targetILNS1_3genE3ELNS1_11target_archE908ELNS1_3gpuE7ELNS1_3repE0EEENS1_60segmented_radix_sort_warp_sort_medium_config_static_selectorELNS0_4arch9wavefront6targetE0EEEvSK_.num_vgpr, 0
	.set _ZN7rocprim17ROCPRIM_400000_NS6detail17trampoline_kernelINS0_14default_configENS1_36segmented_radix_sort_config_selectorIslEEZNS1_25segmented_radix_sort_implIS3_Lb1EPKsPsPKlPlN2at6native12_GLOBAL__N_18offset_tEEE10hipError_tPvRmT1_PNSt15iterator_traitsISK_E10value_typeET2_T3_PNSL_ISQ_E10value_typeET4_jRbjT5_SW_jjP12ihipStream_tbEUlT_E0_NS1_11comp_targetILNS1_3genE3ELNS1_11target_archE908ELNS1_3gpuE7ELNS1_3repE0EEENS1_60segmented_radix_sort_warp_sort_medium_config_static_selectorELNS0_4arch9wavefront6targetE0EEEvSK_.num_agpr, 0
	.set _ZN7rocprim17ROCPRIM_400000_NS6detail17trampoline_kernelINS0_14default_configENS1_36segmented_radix_sort_config_selectorIslEEZNS1_25segmented_radix_sort_implIS3_Lb1EPKsPsPKlPlN2at6native12_GLOBAL__N_18offset_tEEE10hipError_tPvRmT1_PNSt15iterator_traitsISK_E10value_typeET2_T3_PNSL_ISQ_E10value_typeET4_jRbjT5_SW_jjP12ihipStream_tbEUlT_E0_NS1_11comp_targetILNS1_3genE3ELNS1_11target_archE908ELNS1_3gpuE7ELNS1_3repE0EEENS1_60segmented_radix_sort_warp_sort_medium_config_static_selectorELNS0_4arch9wavefront6targetE0EEEvSK_.numbered_sgpr, 0
	.set _ZN7rocprim17ROCPRIM_400000_NS6detail17trampoline_kernelINS0_14default_configENS1_36segmented_radix_sort_config_selectorIslEEZNS1_25segmented_radix_sort_implIS3_Lb1EPKsPsPKlPlN2at6native12_GLOBAL__N_18offset_tEEE10hipError_tPvRmT1_PNSt15iterator_traitsISK_E10value_typeET2_T3_PNSL_ISQ_E10value_typeET4_jRbjT5_SW_jjP12ihipStream_tbEUlT_E0_NS1_11comp_targetILNS1_3genE3ELNS1_11target_archE908ELNS1_3gpuE7ELNS1_3repE0EEENS1_60segmented_radix_sort_warp_sort_medium_config_static_selectorELNS0_4arch9wavefront6targetE0EEEvSK_.num_named_barrier, 0
	.set _ZN7rocprim17ROCPRIM_400000_NS6detail17trampoline_kernelINS0_14default_configENS1_36segmented_radix_sort_config_selectorIslEEZNS1_25segmented_radix_sort_implIS3_Lb1EPKsPsPKlPlN2at6native12_GLOBAL__N_18offset_tEEE10hipError_tPvRmT1_PNSt15iterator_traitsISK_E10value_typeET2_T3_PNSL_ISQ_E10value_typeET4_jRbjT5_SW_jjP12ihipStream_tbEUlT_E0_NS1_11comp_targetILNS1_3genE3ELNS1_11target_archE908ELNS1_3gpuE7ELNS1_3repE0EEENS1_60segmented_radix_sort_warp_sort_medium_config_static_selectorELNS0_4arch9wavefront6targetE0EEEvSK_.private_seg_size, 0
	.set _ZN7rocprim17ROCPRIM_400000_NS6detail17trampoline_kernelINS0_14default_configENS1_36segmented_radix_sort_config_selectorIslEEZNS1_25segmented_radix_sort_implIS3_Lb1EPKsPsPKlPlN2at6native12_GLOBAL__N_18offset_tEEE10hipError_tPvRmT1_PNSt15iterator_traitsISK_E10value_typeET2_T3_PNSL_ISQ_E10value_typeET4_jRbjT5_SW_jjP12ihipStream_tbEUlT_E0_NS1_11comp_targetILNS1_3genE3ELNS1_11target_archE908ELNS1_3gpuE7ELNS1_3repE0EEENS1_60segmented_radix_sort_warp_sort_medium_config_static_selectorELNS0_4arch9wavefront6targetE0EEEvSK_.uses_vcc, 0
	.set _ZN7rocprim17ROCPRIM_400000_NS6detail17trampoline_kernelINS0_14default_configENS1_36segmented_radix_sort_config_selectorIslEEZNS1_25segmented_radix_sort_implIS3_Lb1EPKsPsPKlPlN2at6native12_GLOBAL__N_18offset_tEEE10hipError_tPvRmT1_PNSt15iterator_traitsISK_E10value_typeET2_T3_PNSL_ISQ_E10value_typeET4_jRbjT5_SW_jjP12ihipStream_tbEUlT_E0_NS1_11comp_targetILNS1_3genE3ELNS1_11target_archE908ELNS1_3gpuE7ELNS1_3repE0EEENS1_60segmented_radix_sort_warp_sort_medium_config_static_selectorELNS0_4arch9wavefront6targetE0EEEvSK_.uses_flat_scratch, 0
	.set _ZN7rocprim17ROCPRIM_400000_NS6detail17trampoline_kernelINS0_14default_configENS1_36segmented_radix_sort_config_selectorIslEEZNS1_25segmented_radix_sort_implIS3_Lb1EPKsPsPKlPlN2at6native12_GLOBAL__N_18offset_tEEE10hipError_tPvRmT1_PNSt15iterator_traitsISK_E10value_typeET2_T3_PNSL_ISQ_E10value_typeET4_jRbjT5_SW_jjP12ihipStream_tbEUlT_E0_NS1_11comp_targetILNS1_3genE3ELNS1_11target_archE908ELNS1_3gpuE7ELNS1_3repE0EEENS1_60segmented_radix_sort_warp_sort_medium_config_static_selectorELNS0_4arch9wavefront6targetE0EEEvSK_.has_dyn_sized_stack, 0
	.set _ZN7rocprim17ROCPRIM_400000_NS6detail17trampoline_kernelINS0_14default_configENS1_36segmented_radix_sort_config_selectorIslEEZNS1_25segmented_radix_sort_implIS3_Lb1EPKsPsPKlPlN2at6native12_GLOBAL__N_18offset_tEEE10hipError_tPvRmT1_PNSt15iterator_traitsISK_E10value_typeET2_T3_PNSL_ISQ_E10value_typeET4_jRbjT5_SW_jjP12ihipStream_tbEUlT_E0_NS1_11comp_targetILNS1_3genE3ELNS1_11target_archE908ELNS1_3gpuE7ELNS1_3repE0EEENS1_60segmented_radix_sort_warp_sort_medium_config_static_selectorELNS0_4arch9wavefront6targetE0EEEvSK_.has_recursion, 0
	.set _ZN7rocprim17ROCPRIM_400000_NS6detail17trampoline_kernelINS0_14default_configENS1_36segmented_radix_sort_config_selectorIslEEZNS1_25segmented_radix_sort_implIS3_Lb1EPKsPsPKlPlN2at6native12_GLOBAL__N_18offset_tEEE10hipError_tPvRmT1_PNSt15iterator_traitsISK_E10value_typeET2_T3_PNSL_ISQ_E10value_typeET4_jRbjT5_SW_jjP12ihipStream_tbEUlT_E0_NS1_11comp_targetILNS1_3genE3ELNS1_11target_archE908ELNS1_3gpuE7ELNS1_3repE0EEENS1_60segmented_radix_sort_warp_sort_medium_config_static_selectorELNS0_4arch9wavefront6targetE0EEEvSK_.has_indirect_call, 0
	.section	.AMDGPU.csdata,"",@progbits
; Kernel info:
; codeLenInByte = 0
; TotalNumSgprs: 0
; NumVgprs: 0
; ScratchSize: 0
; MemoryBound: 0
; FloatMode: 240
; IeeeMode: 1
; LDSByteSize: 0 bytes/workgroup (compile time only)
; SGPRBlocks: 0
; VGPRBlocks: 0
; NumSGPRsForWavesPerEU: 1
; NumVGPRsForWavesPerEU: 1
; Occupancy: 16
; WaveLimiterHint : 0
; COMPUTE_PGM_RSRC2:SCRATCH_EN: 0
; COMPUTE_PGM_RSRC2:USER_SGPR: 2
; COMPUTE_PGM_RSRC2:TRAP_HANDLER: 0
; COMPUTE_PGM_RSRC2:TGID_X_EN: 1
; COMPUTE_PGM_RSRC2:TGID_Y_EN: 0
; COMPUTE_PGM_RSRC2:TGID_Z_EN: 0
; COMPUTE_PGM_RSRC2:TIDIG_COMP_CNT: 0
	.section	.text._ZN7rocprim17ROCPRIM_400000_NS6detail17trampoline_kernelINS0_14default_configENS1_36segmented_radix_sort_config_selectorIslEEZNS1_25segmented_radix_sort_implIS3_Lb1EPKsPsPKlPlN2at6native12_GLOBAL__N_18offset_tEEE10hipError_tPvRmT1_PNSt15iterator_traitsISK_E10value_typeET2_T3_PNSL_ISQ_E10value_typeET4_jRbjT5_SW_jjP12ihipStream_tbEUlT_E0_NS1_11comp_targetILNS1_3genE2ELNS1_11target_archE906ELNS1_3gpuE6ELNS1_3repE0EEENS1_60segmented_radix_sort_warp_sort_medium_config_static_selectorELNS0_4arch9wavefront6targetE0EEEvSK_,"axG",@progbits,_ZN7rocprim17ROCPRIM_400000_NS6detail17trampoline_kernelINS0_14default_configENS1_36segmented_radix_sort_config_selectorIslEEZNS1_25segmented_radix_sort_implIS3_Lb1EPKsPsPKlPlN2at6native12_GLOBAL__N_18offset_tEEE10hipError_tPvRmT1_PNSt15iterator_traitsISK_E10value_typeET2_T3_PNSL_ISQ_E10value_typeET4_jRbjT5_SW_jjP12ihipStream_tbEUlT_E0_NS1_11comp_targetILNS1_3genE2ELNS1_11target_archE906ELNS1_3gpuE6ELNS1_3repE0EEENS1_60segmented_radix_sort_warp_sort_medium_config_static_selectorELNS0_4arch9wavefront6targetE0EEEvSK_,comdat
	.globl	_ZN7rocprim17ROCPRIM_400000_NS6detail17trampoline_kernelINS0_14default_configENS1_36segmented_radix_sort_config_selectorIslEEZNS1_25segmented_radix_sort_implIS3_Lb1EPKsPsPKlPlN2at6native12_GLOBAL__N_18offset_tEEE10hipError_tPvRmT1_PNSt15iterator_traitsISK_E10value_typeET2_T3_PNSL_ISQ_E10value_typeET4_jRbjT5_SW_jjP12ihipStream_tbEUlT_E0_NS1_11comp_targetILNS1_3genE2ELNS1_11target_archE906ELNS1_3gpuE6ELNS1_3repE0EEENS1_60segmented_radix_sort_warp_sort_medium_config_static_selectorELNS0_4arch9wavefront6targetE0EEEvSK_ ; -- Begin function _ZN7rocprim17ROCPRIM_400000_NS6detail17trampoline_kernelINS0_14default_configENS1_36segmented_radix_sort_config_selectorIslEEZNS1_25segmented_radix_sort_implIS3_Lb1EPKsPsPKlPlN2at6native12_GLOBAL__N_18offset_tEEE10hipError_tPvRmT1_PNSt15iterator_traitsISK_E10value_typeET2_T3_PNSL_ISQ_E10value_typeET4_jRbjT5_SW_jjP12ihipStream_tbEUlT_E0_NS1_11comp_targetILNS1_3genE2ELNS1_11target_archE906ELNS1_3gpuE6ELNS1_3repE0EEENS1_60segmented_radix_sort_warp_sort_medium_config_static_selectorELNS0_4arch9wavefront6targetE0EEEvSK_
	.p2align	8
	.type	_ZN7rocprim17ROCPRIM_400000_NS6detail17trampoline_kernelINS0_14default_configENS1_36segmented_radix_sort_config_selectorIslEEZNS1_25segmented_radix_sort_implIS3_Lb1EPKsPsPKlPlN2at6native12_GLOBAL__N_18offset_tEEE10hipError_tPvRmT1_PNSt15iterator_traitsISK_E10value_typeET2_T3_PNSL_ISQ_E10value_typeET4_jRbjT5_SW_jjP12ihipStream_tbEUlT_E0_NS1_11comp_targetILNS1_3genE2ELNS1_11target_archE906ELNS1_3gpuE6ELNS1_3repE0EEENS1_60segmented_radix_sort_warp_sort_medium_config_static_selectorELNS0_4arch9wavefront6targetE0EEEvSK_,@function
_ZN7rocprim17ROCPRIM_400000_NS6detail17trampoline_kernelINS0_14default_configENS1_36segmented_radix_sort_config_selectorIslEEZNS1_25segmented_radix_sort_implIS3_Lb1EPKsPsPKlPlN2at6native12_GLOBAL__N_18offset_tEEE10hipError_tPvRmT1_PNSt15iterator_traitsISK_E10value_typeET2_T3_PNSL_ISQ_E10value_typeET4_jRbjT5_SW_jjP12ihipStream_tbEUlT_E0_NS1_11comp_targetILNS1_3genE2ELNS1_11target_archE906ELNS1_3gpuE6ELNS1_3repE0EEENS1_60segmented_radix_sort_warp_sort_medium_config_static_selectorELNS0_4arch9wavefront6targetE0EEEvSK_: ; @_ZN7rocprim17ROCPRIM_400000_NS6detail17trampoline_kernelINS0_14default_configENS1_36segmented_radix_sort_config_selectorIslEEZNS1_25segmented_radix_sort_implIS3_Lb1EPKsPsPKlPlN2at6native12_GLOBAL__N_18offset_tEEE10hipError_tPvRmT1_PNSt15iterator_traitsISK_E10value_typeET2_T3_PNSL_ISQ_E10value_typeET4_jRbjT5_SW_jjP12ihipStream_tbEUlT_E0_NS1_11comp_targetILNS1_3genE2ELNS1_11target_archE906ELNS1_3gpuE6ELNS1_3repE0EEENS1_60segmented_radix_sort_warp_sort_medium_config_static_selectorELNS0_4arch9wavefront6targetE0EEEvSK_
; %bb.0:
	.section	.rodata,"a",@progbits
	.p2align	6, 0x0
	.amdhsa_kernel _ZN7rocprim17ROCPRIM_400000_NS6detail17trampoline_kernelINS0_14default_configENS1_36segmented_radix_sort_config_selectorIslEEZNS1_25segmented_radix_sort_implIS3_Lb1EPKsPsPKlPlN2at6native12_GLOBAL__N_18offset_tEEE10hipError_tPvRmT1_PNSt15iterator_traitsISK_E10value_typeET2_T3_PNSL_ISQ_E10value_typeET4_jRbjT5_SW_jjP12ihipStream_tbEUlT_E0_NS1_11comp_targetILNS1_3genE2ELNS1_11target_archE906ELNS1_3gpuE6ELNS1_3repE0EEENS1_60segmented_radix_sort_warp_sort_medium_config_static_selectorELNS0_4arch9wavefront6targetE0EEEvSK_
		.amdhsa_group_segment_fixed_size 0
		.amdhsa_private_segment_fixed_size 0
		.amdhsa_kernarg_size 88
		.amdhsa_user_sgpr_count 2
		.amdhsa_user_sgpr_dispatch_ptr 0
		.amdhsa_user_sgpr_queue_ptr 0
		.amdhsa_user_sgpr_kernarg_segment_ptr 1
		.amdhsa_user_sgpr_dispatch_id 0
		.amdhsa_user_sgpr_private_segment_size 0
		.amdhsa_wavefront_size32 1
		.amdhsa_uses_dynamic_stack 0
		.amdhsa_enable_private_segment 0
		.amdhsa_system_sgpr_workgroup_id_x 1
		.amdhsa_system_sgpr_workgroup_id_y 0
		.amdhsa_system_sgpr_workgroup_id_z 0
		.amdhsa_system_sgpr_workgroup_info 0
		.amdhsa_system_vgpr_workitem_id 0
		.amdhsa_next_free_vgpr 1
		.amdhsa_next_free_sgpr 1
		.amdhsa_reserve_vcc 0
		.amdhsa_float_round_mode_32 0
		.amdhsa_float_round_mode_16_64 0
		.amdhsa_float_denorm_mode_32 3
		.amdhsa_float_denorm_mode_16_64 3
		.amdhsa_fp16_overflow 0
		.amdhsa_workgroup_processor_mode 1
		.amdhsa_memory_ordered 1
		.amdhsa_forward_progress 1
		.amdhsa_inst_pref_size 0
		.amdhsa_round_robin_scheduling 0
		.amdhsa_exception_fp_ieee_invalid_op 0
		.amdhsa_exception_fp_denorm_src 0
		.amdhsa_exception_fp_ieee_div_zero 0
		.amdhsa_exception_fp_ieee_overflow 0
		.amdhsa_exception_fp_ieee_underflow 0
		.amdhsa_exception_fp_ieee_inexact 0
		.amdhsa_exception_int_div_zero 0
	.end_amdhsa_kernel
	.section	.text._ZN7rocprim17ROCPRIM_400000_NS6detail17trampoline_kernelINS0_14default_configENS1_36segmented_radix_sort_config_selectorIslEEZNS1_25segmented_radix_sort_implIS3_Lb1EPKsPsPKlPlN2at6native12_GLOBAL__N_18offset_tEEE10hipError_tPvRmT1_PNSt15iterator_traitsISK_E10value_typeET2_T3_PNSL_ISQ_E10value_typeET4_jRbjT5_SW_jjP12ihipStream_tbEUlT_E0_NS1_11comp_targetILNS1_3genE2ELNS1_11target_archE906ELNS1_3gpuE6ELNS1_3repE0EEENS1_60segmented_radix_sort_warp_sort_medium_config_static_selectorELNS0_4arch9wavefront6targetE0EEEvSK_,"axG",@progbits,_ZN7rocprim17ROCPRIM_400000_NS6detail17trampoline_kernelINS0_14default_configENS1_36segmented_radix_sort_config_selectorIslEEZNS1_25segmented_radix_sort_implIS3_Lb1EPKsPsPKlPlN2at6native12_GLOBAL__N_18offset_tEEE10hipError_tPvRmT1_PNSt15iterator_traitsISK_E10value_typeET2_T3_PNSL_ISQ_E10value_typeET4_jRbjT5_SW_jjP12ihipStream_tbEUlT_E0_NS1_11comp_targetILNS1_3genE2ELNS1_11target_archE906ELNS1_3gpuE6ELNS1_3repE0EEENS1_60segmented_radix_sort_warp_sort_medium_config_static_selectorELNS0_4arch9wavefront6targetE0EEEvSK_,comdat
.Lfunc_end925:
	.size	_ZN7rocprim17ROCPRIM_400000_NS6detail17trampoline_kernelINS0_14default_configENS1_36segmented_radix_sort_config_selectorIslEEZNS1_25segmented_radix_sort_implIS3_Lb1EPKsPsPKlPlN2at6native12_GLOBAL__N_18offset_tEEE10hipError_tPvRmT1_PNSt15iterator_traitsISK_E10value_typeET2_T3_PNSL_ISQ_E10value_typeET4_jRbjT5_SW_jjP12ihipStream_tbEUlT_E0_NS1_11comp_targetILNS1_3genE2ELNS1_11target_archE906ELNS1_3gpuE6ELNS1_3repE0EEENS1_60segmented_radix_sort_warp_sort_medium_config_static_selectorELNS0_4arch9wavefront6targetE0EEEvSK_, .Lfunc_end925-_ZN7rocprim17ROCPRIM_400000_NS6detail17trampoline_kernelINS0_14default_configENS1_36segmented_radix_sort_config_selectorIslEEZNS1_25segmented_radix_sort_implIS3_Lb1EPKsPsPKlPlN2at6native12_GLOBAL__N_18offset_tEEE10hipError_tPvRmT1_PNSt15iterator_traitsISK_E10value_typeET2_T3_PNSL_ISQ_E10value_typeET4_jRbjT5_SW_jjP12ihipStream_tbEUlT_E0_NS1_11comp_targetILNS1_3genE2ELNS1_11target_archE906ELNS1_3gpuE6ELNS1_3repE0EEENS1_60segmented_radix_sort_warp_sort_medium_config_static_selectorELNS0_4arch9wavefront6targetE0EEEvSK_
                                        ; -- End function
	.set _ZN7rocprim17ROCPRIM_400000_NS6detail17trampoline_kernelINS0_14default_configENS1_36segmented_radix_sort_config_selectorIslEEZNS1_25segmented_radix_sort_implIS3_Lb1EPKsPsPKlPlN2at6native12_GLOBAL__N_18offset_tEEE10hipError_tPvRmT1_PNSt15iterator_traitsISK_E10value_typeET2_T3_PNSL_ISQ_E10value_typeET4_jRbjT5_SW_jjP12ihipStream_tbEUlT_E0_NS1_11comp_targetILNS1_3genE2ELNS1_11target_archE906ELNS1_3gpuE6ELNS1_3repE0EEENS1_60segmented_radix_sort_warp_sort_medium_config_static_selectorELNS0_4arch9wavefront6targetE0EEEvSK_.num_vgpr, 0
	.set _ZN7rocprim17ROCPRIM_400000_NS6detail17trampoline_kernelINS0_14default_configENS1_36segmented_radix_sort_config_selectorIslEEZNS1_25segmented_radix_sort_implIS3_Lb1EPKsPsPKlPlN2at6native12_GLOBAL__N_18offset_tEEE10hipError_tPvRmT1_PNSt15iterator_traitsISK_E10value_typeET2_T3_PNSL_ISQ_E10value_typeET4_jRbjT5_SW_jjP12ihipStream_tbEUlT_E0_NS1_11comp_targetILNS1_3genE2ELNS1_11target_archE906ELNS1_3gpuE6ELNS1_3repE0EEENS1_60segmented_radix_sort_warp_sort_medium_config_static_selectorELNS0_4arch9wavefront6targetE0EEEvSK_.num_agpr, 0
	.set _ZN7rocprim17ROCPRIM_400000_NS6detail17trampoline_kernelINS0_14default_configENS1_36segmented_radix_sort_config_selectorIslEEZNS1_25segmented_radix_sort_implIS3_Lb1EPKsPsPKlPlN2at6native12_GLOBAL__N_18offset_tEEE10hipError_tPvRmT1_PNSt15iterator_traitsISK_E10value_typeET2_T3_PNSL_ISQ_E10value_typeET4_jRbjT5_SW_jjP12ihipStream_tbEUlT_E0_NS1_11comp_targetILNS1_3genE2ELNS1_11target_archE906ELNS1_3gpuE6ELNS1_3repE0EEENS1_60segmented_radix_sort_warp_sort_medium_config_static_selectorELNS0_4arch9wavefront6targetE0EEEvSK_.numbered_sgpr, 0
	.set _ZN7rocprim17ROCPRIM_400000_NS6detail17trampoline_kernelINS0_14default_configENS1_36segmented_radix_sort_config_selectorIslEEZNS1_25segmented_radix_sort_implIS3_Lb1EPKsPsPKlPlN2at6native12_GLOBAL__N_18offset_tEEE10hipError_tPvRmT1_PNSt15iterator_traitsISK_E10value_typeET2_T3_PNSL_ISQ_E10value_typeET4_jRbjT5_SW_jjP12ihipStream_tbEUlT_E0_NS1_11comp_targetILNS1_3genE2ELNS1_11target_archE906ELNS1_3gpuE6ELNS1_3repE0EEENS1_60segmented_radix_sort_warp_sort_medium_config_static_selectorELNS0_4arch9wavefront6targetE0EEEvSK_.num_named_barrier, 0
	.set _ZN7rocprim17ROCPRIM_400000_NS6detail17trampoline_kernelINS0_14default_configENS1_36segmented_radix_sort_config_selectorIslEEZNS1_25segmented_radix_sort_implIS3_Lb1EPKsPsPKlPlN2at6native12_GLOBAL__N_18offset_tEEE10hipError_tPvRmT1_PNSt15iterator_traitsISK_E10value_typeET2_T3_PNSL_ISQ_E10value_typeET4_jRbjT5_SW_jjP12ihipStream_tbEUlT_E0_NS1_11comp_targetILNS1_3genE2ELNS1_11target_archE906ELNS1_3gpuE6ELNS1_3repE0EEENS1_60segmented_radix_sort_warp_sort_medium_config_static_selectorELNS0_4arch9wavefront6targetE0EEEvSK_.private_seg_size, 0
	.set _ZN7rocprim17ROCPRIM_400000_NS6detail17trampoline_kernelINS0_14default_configENS1_36segmented_radix_sort_config_selectorIslEEZNS1_25segmented_radix_sort_implIS3_Lb1EPKsPsPKlPlN2at6native12_GLOBAL__N_18offset_tEEE10hipError_tPvRmT1_PNSt15iterator_traitsISK_E10value_typeET2_T3_PNSL_ISQ_E10value_typeET4_jRbjT5_SW_jjP12ihipStream_tbEUlT_E0_NS1_11comp_targetILNS1_3genE2ELNS1_11target_archE906ELNS1_3gpuE6ELNS1_3repE0EEENS1_60segmented_radix_sort_warp_sort_medium_config_static_selectorELNS0_4arch9wavefront6targetE0EEEvSK_.uses_vcc, 0
	.set _ZN7rocprim17ROCPRIM_400000_NS6detail17trampoline_kernelINS0_14default_configENS1_36segmented_radix_sort_config_selectorIslEEZNS1_25segmented_radix_sort_implIS3_Lb1EPKsPsPKlPlN2at6native12_GLOBAL__N_18offset_tEEE10hipError_tPvRmT1_PNSt15iterator_traitsISK_E10value_typeET2_T3_PNSL_ISQ_E10value_typeET4_jRbjT5_SW_jjP12ihipStream_tbEUlT_E0_NS1_11comp_targetILNS1_3genE2ELNS1_11target_archE906ELNS1_3gpuE6ELNS1_3repE0EEENS1_60segmented_radix_sort_warp_sort_medium_config_static_selectorELNS0_4arch9wavefront6targetE0EEEvSK_.uses_flat_scratch, 0
	.set _ZN7rocprim17ROCPRIM_400000_NS6detail17trampoline_kernelINS0_14default_configENS1_36segmented_radix_sort_config_selectorIslEEZNS1_25segmented_radix_sort_implIS3_Lb1EPKsPsPKlPlN2at6native12_GLOBAL__N_18offset_tEEE10hipError_tPvRmT1_PNSt15iterator_traitsISK_E10value_typeET2_T3_PNSL_ISQ_E10value_typeET4_jRbjT5_SW_jjP12ihipStream_tbEUlT_E0_NS1_11comp_targetILNS1_3genE2ELNS1_11target_archE906ELNS1_3gpuE6ELNS1_3repE0EEENS1_60segmented_radix_sort_warp_sort_medium_config_static_selectorELNS0_4arch9wavefront6targetE0EEEvSK_.has_dyn_sized_stack, 0
	.set _ZN7rocprim17ROCPRIM_400000_NS6detail17trampoline_kernelINS0_14default_configENS1_36segmented_radix_sort_config_selectorIslEEZNS1_25segmented_radix_sort_implIS3_Lb1EPKsPsPKlPlN2at6native12_GLOBAL__N_18offset_tEEE10hipError_tPvRmT1_PNSt15iterator_traitsISK_E10value_typeET2_T3_PNSL_ISQ_E10value_typeET4_jRbjT5_SW_jjP12ihipStream_tbEUlT_E0_NS1_11comp_targetILNS1_3genE2ELNS1_11target_archE906ELNS1_3gpuE6ELNS1_3repE0EEENS1_60segmented_radix_sort_warp_sort_medium_config_static_selectorELNS0_4arch9wavefront6targetE0EEEvSK_.has_recursion, 0
	.set _ZN7rocprim17ROCPRIM_400000_NS6detail17trampoline_kernelINS0_14default_configENS1_36segmented_radix_sort_config_selectorIslEEZNS1_25segmented_radix_sort_implIS3_Lb1EPKsPsPKlPlN2at6native12_GLOBAL__N_18offset_tEEE10hipError_tPvRmT1_PNSt15iterator_traitsISK_E10value_typeET2_T3_PNSL_ISQ_E10value_typeET4_jRbjT5_SW_jjP12ihipStream_tbEUlT_E0_NS1_11comp_targetILNS1_3genE2ELNS1_11target_archE906ELNS1_3gpuE6ELNS1_3repE0EEENS1_60segmented_radix_sort_warp_sort_medium_config_static_selectorELNS0_4arch9wavefront6targetE0EEEvSK_.has_indirect_call, 0
	.section	.AMDGPU.csdata,"",@progbits
; Kernel info:
; codeLenInByte = 0
; TotalNumSgprs: 0
; NumVgprs: 0
; ScratchSize: 0
; MemoryBound: 0
; FloatMode: 240
; IeeeMode: 1
; LDSByteSize: 0 bytes/workgroup (compile time only)
; SGPRBlocks: 0
; VGPRBlocks: 0
; NumSGPRsForWavesPerEU: 1
; NumVGPRsForWavesPerEU: 1
; Occupancy: 16
; WaveLimiterHint : 0
; COMPUTE_PGM_RSRC2:SCRATCH_EN: 0
; COMPUTE_PGM_RSRC2:USER_SGPR: 2
; COMPUTE_PGM_RSRC2:TRAP_HANDLER: 0
; COMPUTE_PGM_RSRC2:TGID_X_EN: 1
; COMPUTE_PGM_RSRC2:TGID_Y_EN: 0
; COMPUTE_PGM_RSRC2:TGID_Z_EN: 0
; COMPUTE_PGM_RSRC2:TIDIG_COMP_CNT: 0
	.text
	.p2align	2                               ; -- Begin function _ZN7rocprim17ROCPRIM_400000_NS6detail26segmented_warp_sort_helperINS1_20WarpSortHelperConfigILj16ELj8ELj256EEEslLi256ELb1EvE4sortIPKsPsPKlPlEEvT_T0_T1_T2_jjjjRNS5_12storage_typeE
	.type	_ZN7rocprim17ROCPRIM_400000_NS6detail26segmented_warp_sort_helperINS1_20WarpSortHelperConfigILj16ELj8ELj256EEEslLi256ELb1EvE4sortIPKsPsPKlPlEEvT_T0_T1_T2_jjjjRNS5_12storage_typeE,@function
_ZN7rocprim17ROCPRIM_400000_NS6detail26segmented_warp_sort_helperINS1_20WarpSortHelperConfigILj16ELj8ELj256EEEslLi256ELb1EvE4sortIPKsPsPKlPlEEvT_T0_T1_T2_jjjjRNS5_12storage_typeE: ; @_ZN7rocprim17ROCPRIM_400000_NS6detail26segmented_warp_sort_helperINS1_20WarpSortHelperConfigILj16ELj8ELj256EEEslLi256ELb1EvE4sortIPKsPsPKlPlEEvT_T0_T1_T2_jjjjRNS5_12storage_typeE
; %bb.0:
	s_wait_loadcnt_dscnt 0x0
	s_wait_expcnt 0x0
	s_wait_samplecnt 0x0
	s_wait_bvhcnt 0x0
	s_wait_kmcnt 0x0
	v_mov_b32_e32 v12, v9
	v_mbcnt_lo_u32_b32 v9, -1, 0
	v_dual_mov_b32 v37, 0xffff8000 :: v_dual_mov_b32 v48, 0xffff8000
	s_delay_alu instid0(VALU_DEP_2) | instskip(SKIP_2) | instid1(VALU_DEP_3)
	v_lshlrev_b32_e32 v35, 3, v9
	v_mov_b32_e32 v9, 0
	v_sub_nc_u32_e32 v12, v12, v8
	v_and_b32_e32 v36, 0x78, v35
	s_delay_alu instid0(VALU_DEP_3) | instskip(NEXT) | instid1(VALU_DEP_2)
	v_lshlrev_b64_e32 v[13:14], 1, v[8:9]
	v_lshlrev_b32_e32 v33, 1, v36
	s_delay_alu instid0(VALU_DEP_2) | instskip(SKIP_1) | instid1(VALU_DEP_3)
	v_add_co_u32 v0, vcc_lo, v0, v13
	s_wait_alu 0xfffd
	v_add_co_ci_u32_e64 v1, null, v1, v14, vcc_lo
	s_delay_alu instid0(VALU_DEP_2) | instskip(SKIP_1) | instid1(VALU_DEP_2)
	v_add_co_u32 v0, vcc_lo, v0, v33
	s_wait_alu 0xfffd
	v_add_co_ci_u32_e64 v1, null, 0, v1, vcc_lo
	v_cmp_lt_u32_e32 vcc_lo, v36, v12
	s_and_saveexec_b32 s0, vcc_lo
	s_cbranch_execz .LBB926_2
; %bb.1:
	flat_load_u16 v37, v[0:1]
.LBB926_2:
	s_wait_alu 0xfffe
	s_or_b32 exec_lo, exec_lo, s0
	v_or_b32_e32 v15, 1, v36
	s_delay_alu instid0(VALU_DEP_1)
	v_cmp_lt_u32_e64 s0, v15, v12
	s_and_saveexec_b32 s1, s0
	s_cbranch_execz .LBB926_4
; %bb.3:
	flat_load_u16 v48, v[0:1] offset:2
.LBB926_4:
	s_wait_alu 0xfffe
	s_or_b32 exec_lo, exec_lo, s1
	v_or_b32_e32 v15, 2, v36
	v_dual_mov_b32 v51, 0xffff8000 :: v_dual_mov_b32 v32, 0xffff8000
	s_delay_alu instid0(VALU_DEP_2)
	v_cmp_lt_u32_e64 s1, v15, v12
	s_and_saveexec_b32 s2, s1
	s_cbranch_execz .LBB926_6
; %bb.5:
	flat_load_u16 v32, v[0:1] offset:4
.LBB926_6:
	s_wait_alu 0xfffe
	s_or_b32 exec_lo, exec_lo, s2
	v_or_b32_e32 v15, 3, v36
	s_delay_alu instid0(VALU_DEP_1)
	v_cmp_lt_u32_e64 s2, v15, v12
	s_and_saveexec_b32 s3, s2
	s_cbranch_execz .LBB926_8
; %bb.7:
	flat_load_u16 v51, v[0:1] offset:6
.LBB926_8:
	s_wait_alu 0xfffe
	s_or_b32 exec_lo, exec_lo, s3
	v_or_b32_e32 v15, 4, v36
	v_mov_b32_e32 v39, 0xffff8000
	v_mov_b32_e32 v49, 0xffff8000
	s_delay_alu instid0(VALU_DEP_3)
	v_cmp_lt_u32_e64 s3, v15, v12
	s_and_saveexec_b32 s4, s3
	s_cbranch_execz .LBB926_10
; %bb.9:
	flat_load_u16 v49, v[0:1] offset:8
.LBB926_10:
	s_wait_alu 0xfffe
	s_or_b32 exec_lo, exec_lo, s4
	v_or_b32_e32 v15, 5, v36
	s_delay_alu instid0(VALU_DEP_1)
	v_cmp_lt_u32_e64 s4, v15, v12
	s_and_saveexec_b32 s5, s4
	s_cbranch_execz .LBB926_12
; %bb.11:
	flat_load_u16 v39, v[0:1] offset:10
.LBB926_12:
	s_wait_alu 0xfffe
	s_or_b32 exec_lo, exec_lo, s5
	v_or_b32_e32 v15, 6, v36
	v_mov_b32_e32 v38, 0xffff8000
	v_mov_b32_e32 v52, 0xffff8000
	s_delay_alu instid0(VALU_DEP_3)
	v_cmp_lt_u32_e64 s5, v15, v12
	s_and_saveexec_b32 s6, s5
	s_cbranch_execz .LBB926_14
; %bb.13:
	flat_load_u16 v52, v[0:1] offset:12
.LBB926_14:
	s_wait_alu 0xfffe
	s_or_b32 exec_lo, exec_lo, s6
	v_or_b32_e32 v15, 7, v36
	s_delay_alu instid0(VALU_DEP_1)
	v_cmp_lt_u32_e64 s6, v15, v12
	s_and_saveexec_b32 s7, s6
	s_cbranch_execz .LBB926_16
; %bb.15:
	flat_load_u16 v38, v[0:1] offset:14
.LBB926_16:
	s_wait_alu 0xfffe
	s_or_b32 exec_lo, exec_lo, s7
	v_lshlrev_b64_e32 v[0:1], 3, v[8:9]
	v_lshlrev_b32_e32 v34, 3, v36
	; wave barrier
	s_delay_alu instid0(VALU_DEP_2) | instskip(SKIP_1) | instid1(VALU_DEP_3)
	v_add_co_u32 v4, s7, v4, v0
	s_wait_alu 0xf1ff
	v_add_co_ci_u32_e64 v5, null, v5, v1, s7
	s_delay_alu instid0(VALU_DEP_2) | instskip(SKIP_1) | instid1(VALU_DEP_2)
	v_add_co_u32 v27, s7, v4, v34
	s_wait_alu 0xf1ff
	v_add_co_ci_u32_e64 v28, null, 0, v5, s7
                                        ; implicit-def: $vgpr4_vgpr5
	s_and_saveexec_b32 s7, vcc_lo
	s_cbranch_execnz .LBB926_243
; %bb.17:
	s_wait_alu 0xfffe
	s_or_b32 exec_lo, exec_lo, s7
	s_and_saveexec_b32 s7, s0
                                        ; implicit-def: $vgpr15_vgpr16
	s_cbranch_execnz .LBB926_244
.LBB926_18:
	s_wait_alu 0xfffe
	s_or_b32 exec_lo, exec_lo, s7
                                        ; implicit-def: $vgpr17_vgpr18
	s_and_saveexec_b32 s7, s1
	s_cbranch_execnz .LBB926_245
.LBB926_19:
	s_wait_alu 0xfffe
	s_or_b32 exec_lo, exec_lo, s7
	s_and_saveexec_b32 s7, s2
                                        ; implicit-def: $vgpr19_vgpr20
	s_cbranch_execnz .LBB926_246
.LBB926_20:
	s_wait_alu 0xfffe
	s_or_b32 exec_lo, exec_lo, s7
                                        ; implicit-def: $vgpr21_vgpr22
	s_and_saveexec_b32 s7, s3
	s_cbranch_execnz .LBB926_247
.LBB926_21:
	s_wait_alu 0xfffe
	s_or_b32 exec_lo, exec_lo, s7
	s_and_saveexec_b32 s7, s4
                                        ; implicit-def: $vgpr25_vgpr26
	s_cbranch_execnz .LBB926_248
.LBB926_22:
	s_wait_alu 0xfffe
	s_or_b32 exec_lo, exec_lo, s7
                                        ; implicit-def: $vgpr8_vgpr9
	s_and_saveexec_b32 s7, s5
	s_cbranch_execnz .LBB926_249
.LBB926_23:
	s_wait_alu 0xfffe
	s_or_b32 exec_lo, exec_lo, s7
	s_and_saveexec_b32 s7, s6
                                        ; implicit-def: $vgpr23_vgpr24
	s_cbranch_execz .LBB926_25
.LBB926_24:
	flat_load_b64 v[23:24], v[27:28] offset:56
.LBB926_25:
	s_wait_alu 0xfffe
	s_or_b32 exec_lo, exec_lo, s7
	v_cmp_ne_u32_e64 s7, 0, v10
	v_cmp_ne_u32_e64 s10, 16, v11
	v_bfe_u32 v27, v31, 10, 10
	v_bfe_u32 v28, v31, 20, 10
	v_and_b32_e32 v12, 0x3ff, v31
	s_mov_b32 s11, 0
	s_or_b32 s7, s7, s10
	; wave barrier
	s_wait_alu 0xfffe
	s_and_saveexec_b32 s10, s7
	s_wait_alu 0xfffe
	s_xor_b32 s19, exec_lo, s10
	s_cbranch_execz .LBB926_125
; %bb.26:
	s_load_b64 s[12:13], s[8:9], 0x0
	s_and_b32 s7, ttmp7, 0xffff
	v_lshlrev_b32_e64 v11, v11, -1
	v_lshlrev_b32_e64 v10, v10, -1
	s_delay_alu instid0(VALU_DEP_1)
	v_xor_b32_e32 v50, v11, v10
	s_wait_kmcnt 0x0
	s_wait_alu 0xfffe
	s_cmp_lt_u32 s7, s13
	s_cselect_b32 s10, 14, 20
	s_cmp_lt_u32 ttmp9, s12
	s_wait_alu 0xfffe
	s_add_nc_u64 s[14:15], s[8:9], s[10:11]
	s_cselect_b32 s10, 12, 18
	s_load_u16 s7, s[14:15], 0x0
	s_add_nc_u64 s[10:11], s[8:9], s[10:11]
	s_load_u16 s10, s[10:11], 0x0
	s_wait_kmcnt 0x0
	v_mad_u32_u24 v27, v28, s7, v27
	s_delay_alu instid0(VALU_DEP_1) | instskip(SKIP_1) | instid1(VALU_DEP_1)
	v_mul_lo_u32 v27, v27, s10
	s_mov_b32 s10, exec_lo
	v_add_lshl_u32 v12, v27, v12, 3
	s_delay_alu instid0(VALU_DEP_1)
	v_cmpx_gt_u32_e32 0x800, v12
	s_cbranch_execz .LBB926_84
; %bb.27:
	s_wait_loadcnt_dscnt 0x0
	v_dual_mov_b32 v28, v16 :: v_dual_and_b32 v11, v37, v50
	v_dual_mov_b32 v27, v15 :: v_dual_and_b32 v10, v48, v50
	v_mov_b32_e32 v53, v48
	s_mov_b32 s11, exec_lo
	s_delay_alu instid0(VALU_DEP_2)
	v_cmpx_gt_i16_e64 v10, v11
; %bb.28:
	v_dual_mov_b32 v53, v37 :: v_dual_mov_b32 v28, v5
	v_mov_b32_e32 v37, v48
	v_dual_mov_b32 v27, v4 :: v_dual_mov_b32 v4, v15
	v_mov_b32_e32 v5, v16
; %bb.29:
	s_wait_alu 0xfffe
	s_or_b32 exec_lo, exec_lo, s11
	v_dual_mov_b32 v31, v51 :: v_dual_mov_b32 v30, v20
	v_and_b32_e32 v10, v51, v50
	v_and_b32_e32 v11, v32, v50
	v_mov_b32_e32 v29, v19
	s_mov_b32 s11, exec_lo
	s_delay_alu instid0(VALU_DEP_2)
	v_cmpx_gt_i16_e64 v10, v11
; %bb.30:
	v_dual_mov_b32 v31, v32 :: v_dual_mov_b32 v32, v51
	v_dual_mov_b32 v30, v18 :: v_dual_mov_b32 v29, v17
	;; [unrolled: 1-line block ×3, first 2 shown]
; %bb.31:
	s_wait_alu 0xfffe
	s_or_b32 exec_lo, exec_lo, s11
	v_dual_mov_b32 v15, v25 :: v_dual_and_b32 v10, v39, v50
	v_dual_mov_b32 v16, v26 :: v_dual_and_b32 v11, v49, v50
	v_mov_b32_e32 v54, v49
	s_mov_b32 s11, exec_lo
	s_delay_alu instid0(VALU_DEP_2)
	v_cmpx_gt_i16_e64 v10, v11
; %bb.32:
	v_dual_mov_b32 v15, v21 :: v_dual_mov_b32 v16, v22
	v_dual_mov_b32 v21, v25 :: v_dual_mov_b32 v22, v26
	;; [unrolled: 1-line block ×3, first 2 shown]
; %bb.33:
	s_wait_alu 0xfffe
	s_or_b32 exec_lo, exec_lo, s11
	v_dual_mov_b32 v10, v23 :: v_dual_and_b32 v19, v38, v50
	v_and_b32_e32 v20, v52, v50
	v_mov_b32_e32 v11, v24
	v_mov_b32_e32 v49, v52
	s_mov_b32 s11, exec_lo
	s_delay_alu instid0(VALU_DEP_3)
	v_cmpx_gt_i16_e64 v19, v20
; %bb.34:
	v_dual_mov_b32 v11, v9 :: v_dual_mov_b32 v10, v8
	v_dual_mov_b32 v8, v23 :: v_dual_mov_b32 v9, v24
	;; [unrolled: 1-line block ×3, first 2 shown]
; %bb.35:
	s_wait_alu 0xfffe
	s_or_b32 exec_lo, exec_lo, s11
	v_dual_mov_b32 v24, v18 :: v_dual_and_b32 v19, v32, v50
	v_and_b32_e32 v20, v53, v50
	v_dual_mov_b32 v48, v32 :: v_dual_mov_b32 v23, v17
	s_delay_alu instid0(VALU_DEP_2)
	v_cmp_gt_i16_e64 s7, v19, v20
	s_and_saveexec_b32 s11, s7
	s_wait_alu 0xfffe
	s_xor_b32 s7, exec_lo, s11
; %bb.36:
	v_dual_mov_b32 v48, v53 :: v_dual_mov_b32 v53, v32
	v_dual_mov_b32 v23, v27 :: v_dual_mov_b32 v24, v28
	;; [unrolled: 1-line block ×3, first 2 shown]
; %bb.37:
	s_wait_alu 0xfffe
	s_or_b32 exec_lo, exec_lo, s7
	v_dual_mov_b32 v19, v31 :: v_dual_mov_b32 v26, v22
	v_and_b32_e32 v17, v54, v50
	v_dual_mov_b32 v25, v21 :: v_dual_and_b32 v18, v31, v50
	s_mov_b32 s11, exec_lo
	s_delay_alu instid0(VALU_DEP_1)
	v_cmpx_gt_i16_e64 v17, v18
; %bb.38:
	v_mov_b32_e32 v25, v29
	v_dual_mov_b32 v19, v54 :: v_dual_mov_b32 v26, v30
	v_dual_mov_b32 v30, v22 :: v_dual_mov_b32 v29, v21
	v_mov_b32_e32 v54, v31
; %bb.39:
	s_wait_alu 0xfffe
	s_or_b32 exec_lo, exec_lo, s11
	v_dual_mov_b32 v18, v9 :: v_dual_and_b32 v21, v39, v50
	v_dual_mov_b32 v17, v8 :: v_dual_and_b32 v20, v49, v50
	v_mov_b32_e32 v51, v39
	s_mov_b32 s11, exec_lo
	s_delay_alu instid0(VALU_DEP_2)
	v_cmpx_gt_i16_e64 v20, v21
; %bb.40:
	v_dual_mov_b32 v18, v16 :: v_dual_mov_b32 v17, v15
	v_dual_mov_b32 v16, v9 :: v_dual_mov_b32 v15, v8
	v_mov_b32_e32 v51, v49
	v_mov_b32_e32 v49, v39
; %bb.41:
	s_wait_alu 0xfffe
	s_or_b32 exec_lo, exec_lo, s11
	v_dual_mov_b32 v32, v28 :: v_dual_and_b32 v9, v37, v50
	v_dual_mov_b32 v31, v27 :: v_dual_and_b32 v8, v53, v50
	v_mov_b32_e32 v39, v53
	s_mov_b32 s11, exec_lo
	s_delay_alu instid0(VALU_DEP_2)
	v_cmpx_gt_i16_e64 v8, v9
; %bb.42:
	v_dual_mov_b32 v39, v37 :: v_dual_mov_b32 v32, v5
	v_mov_b32_e32 v37, v53
	v_dual_mov_b32 v31, v4 :: v_dual_mov_b32 v4, v27
	v_mov_b32_e32 v5, v28
; %bb.43:
	s_wait_alu 0xfffe
	s_or_b32 exec_lo, exec_lo, s11
	v_dual_mov_b32 v27, v29 :: v_dual_and_b32 v8, v19, v50
	v_dual_mov_b32 v28, v30 :: v_dual_and_b32 v9, v48, v50
	v_mov_b32_e32 v55, v19
	s_mov_b32 s11, exec_lo
	s_delay_alu instid0(VALU_DEP_2)
	v_cmpx_gt_i16_e64 v8, v9
; %bb.44:
	v_dual_mov_b32 v55, v48 :: v_dual_mov_b32 v48, v19
	v_dual_mov_b32 v28, v24 :: v_dual_mov_b32 v27, v23
	;; [unrolled: 1-line block ×3, first 2 shown]
; %bb.45:
	s_wait_alu 0xfffe
	s_or_b32 exec_lo, exec_lo, s11
	v_dual_mov_b32 v20, v16 :: v_dual_and_b32 v9, v54, v50
	v_dual_mov_b32 v53, v54 :: v_dual_and_b32 v8, v51, v50
	v_mov_b32_e32 v19, v15
	s_mov_b32 s11, exec_lo
	s_delay_alu instid0(VALU_DEP_2)
	v_cmpx_gt_i16_e64 v8, v9
; %bb.46:
	v_dual_mov_b32 v19, v25 :: v_dual_mov_b32 v20, v26
	v_dual_mov_b32 v26, v16 :: v_dual_mov_b32 v25, v15
	v_mov_b32_e32 v53, v51
	v_mov_b32_e32 v51, v54
; %bb.47:
	s_wait_alu 0xfffe
	s_or_b32 exec_lo, exec_lo, s11
	v_mov_b32_e32 v8, v10
	v_dual_mov_b32 v52, v49 :: v_dual_and_b32 v15, v38, v50
	v_dual_mov_b32 v9, v11 :: v_dual_and_b32 v16, v49, v50
	s_mov_b32 s11, exec_lo
	s_delay_alu instid0(VALU_DEP_1)
	v_cmpx_gt_i16_e64 v15, v16
; %bb.48:
	v_dual_mov_b32 v8, v17 :: v_dual_mov_b32 v9, v18
	v_dual_mov_b32 v18, v11 :: v_dual_mov_b32 v17, v10
	v_mov_b32_e32 v52, v38
	v_mov_b32_e32 v38, v49
; %bb.49:
	s_wait_alu 0xfffe
	s_or_b32 exec_lo, exec_lo, s11
	v_dual_mov_b32 v30, v24 :: v_dual_and_b32 v11, v39, v50
	v_dual_mov_b32 v29, v23 :: v_dual_and_b32 v10, v48, v50
	v_mov_b32_e32 v49, v48
	s_mov_b32 s11, exec_lo
	s_delay_alu instid0(VALU_DEP_2)
	v_cmpx_gt_i16_e64 v10, v11
; %bb.50:
	v_mov_b32_e32 v29, v31
	v_dual_mov_b32 v49, v39 :: v_dual_mov_b32 v30, v32
	v_dual_mov_b32 v39, v48 :: v_dual_mov_b32 v32, v24
	v_mov_b32_e32 v31, v23
; %bb.51:
	s_wait_alu 0xfffe
	s_or_b32 exec_lo, exec_lo, s11
	v_mov_b32_e32 v21, v25
	v_dual_mov_b32 v10, v55 :: v_dual_and_b32 v11, v53, v50
	v_dual_mov_b32 v22, v26 :: v_dual_and_b32 v15, v55, v50
	s_mov_b32 s11, exec_lo
	s_delay_alu instid0(VALU_DEP_1)
	v_cmpx_gt_i16_e64 v11, v15
; %bb.52:
	v_dual_mov_b32 v10, v53 :: v_dual_mov_b32 v21, v27
	v_mov_b32_e32 v22, v28
	v_dual_mov_b32 v28, v26 :: v_dual_mov_b32 v53, v55
	v_mov_b32_e32 v27, v25
; %bb.53:
	s_wait_alu 0xfffe
	s_or_b32 exec_lo, exec_lo, s11
	v_dual_mov_b32 v15, v17 :: v_dual_mov_b32 v48, v51
	v_dual_mov_b32 v16, v18 :: v_dual_and_b32 v11, v52, v50
	v_and_b32_e32 v23, v51, v50
	s_mov_b32 s11, exec_lo
	s_delay_alu instid0(VALU_DEP_1)
	v_cmpx_gt_i16_e64 v11, v23
; %bb.54:
	v_dual_mov_b32 v15, v19 :: v_dual_mov_b32 v16, v20
	v_dual_mov_b32 v20, v18 :: v_dual_mov_b32 v19, v17
	v_mov_b32_e32 v48, v52
	v_mov_b32_e32 v52, v51
; %bb.55:
	s_wait_alu 0xfffe
	s_or_b32 exec_lo, exec_lo, s11
	v_mov_b32_e32 v23, v31
	v_dual_mov_b32 v24, v32 :: v_dual_and_b32 v11, v39, v50
	v_and_b32_e32 v17, v37, v50
	v_mov_b32_e32 v51, v39
	s_mov_b32 s11, exec_lo
	s_delay_alu instid0(VALU_DEP_2)
	v_cmpx_gt_i16_e64 v11, v17
; %bb.56:
	v_dual_mov_b32 v51, v37 :: v_dual_mov_b32 v24, v5
	v_mov_b32_e32 v37, v39
	v_dual_mov_b32 v23, v4 :: v_dual_mov_b32 v4, v31
	v_mov_b32_e32 v5, v32
; %bb.57:
	s_wait_alu 0xfffe
	s_or_b32 exec_lo, exec_lo, s11
	v_dual_mov_b32 v32, v28 :: v_dual_and_b32 v11, v10, v50
	v_and_b32_e32 v17, v49, v50
	v_mov_b32_e32 v39, v10
	v_mov_b32_e32 v31, v27
	s_mov_b32 s11, exec_lo
	s_delay_alu instid0(VALU_DEP_3)
	v_cmpx_gt_i16_e64 v11, v17
; %bb.58:
	v_dual_mov_b32 v39, v49 :: v_dual_mov_b32 v32, v30
	v_mov_b32_e32 v49, v10
	v_dual_mov_b32 v31, v29 :: v_dual_mov_b32 v30, v28
	v_mov_b32_e32 v29, v27
; %bb.59:
	s_wait_alu 0xfffe
	s_or_b32 exec_lo, exec_lo, s11
	v_dual_mov_b32 v17, v19 :: v_dual_and_b32 v10, v48, v50
	v_dual_mov_b32 v18, v20 :: v_dual_and_b32 v11, v53, v50
	v_mov_b32_e32 v54, v53
	s_mov_b32 s11, exec_lo
	s_delay_alu instid0(VALU_DEP_2)
	v_cmpx_gt_i16_e64 v10, v11
; %bb.60:
	v_dual_mov_b32 v17, v21 :: v_dual_mov_b32 v18, v22
	v_dual_mov_b32 v22, v20 :: v_dual_mov_b32 v21, v19
	v_mov_b32_e32 v54, v48
	v_mov_b32_e32 v48, v53
; %bb.61:
	s_wait_alu 0xfffe
	s_or_b32 exec_lo, exec_lo, s11
	v_dual_mov_b32 v11, v9 :: v_dual_and_b32 v20, v52, v50
	v_dual_mov_b32 v10, v8 :: v_dual_and_b32 v19, v38, v50
	v_mov_b32_e32 v53, v52
	s_mov_b32 s11, exec_lo
	s_delay_alu instid0(VALU_DEP_2)
	v_cmpx_gt_i16_e64 v19, v20
; %bb.62:
	v_dual_mov_b32 v10, v15 :: v_dual_mov_b32 v11, v16
	v_dual_mov_b32 v16, v9 :: v_dual_mov_b32 v15, v8
	;; [unrolled: 1-line block ×3, first 2 shown]
; %bb.63:
	s_wait_alu 0xfffe
	s_or_b32 exec_lo, exec_lo, s11
	v_and_b32_e32 v8, v49, v50
	v_dual_mov_b32 v52, v49 :: v_dual_and_b32 v9, v51, v50
	v_dual_mov_b32 v27, v29 :: v_dual_mov_b32 v28, v30
	s_mov_b32 s11, exec_lo
	s_delay_alu instid0(VALU_DEP_2)
	v_cmpx_gt_i16_e64 v8, v9
; %bb.64:
	v_dual_mov_b32 v52, v51 :: v_dual_mov_b32 v51, v49
	v_dual_mov_b32 v28, v24 :: v_dual_mov_b32 v27, v23
	;; [unrolled: 1-line block ×3, first 2 shown]
; %bb.65:
	s_wait_alu 0xfffe
	s_or_b32 exec_lo, exec_lo, s11
	v_dual_mov_b32 v26, v22 :: v_dual_and_b32 v9, v39, v50
	v_dual_mov_b32 v29, v39 :: v_dual_and_b32 v8, v54, v50
	v_mov_b32_e32 v25, v21
	s_mov_b32 s11, exec_lo
	s_delay_alu instid0(VALU_DEP_2)
	v_cmpx_gt_i16_e64 v8, v9
; %bb.66:
	v_mov_b32_e32 v25, v31
	v_dual_mov_b32 v29, v54 :: v_dual_mov_b32 v26, v32
	v_dual_mov_b32 v32, v22 :: v_dual_mov_b32 v31, v21
	v_mov_b32_e32 v54, v39
; %bb.67:
	s_wait_alu 0xfffe
	s_or_b32 exec_lo, exec_lo, s11
	v_dual_mov_b32 v8, v15 :: v_dual_and_b32 v19, v53, v50
	v_and_b32_e32 v20, v48, v50
	v_mov_b32_e32 v9, v16
	v_mov_b32_e32 v39, v48
	s_mov_b32 s11, exec_lo
	s_delay_alu instid0(VALU_DEP_3)
	v_cmpx_gt_i16_e64 v19, v20
; %bb.68:
	v_dual_mov_b32 v8, v17 :: v_dual_mov_b32 v9, v18
	v_dual_mov_b32 v18, v16 :: v_dual_mov_b32 v17, v15
	v_mov_b32_e32 v39, v53
	v_mov_b32_e32 v53, v48
; %bb.69:
	s_wait_alu 0xfffe
	s_or_b32 exec_lo, exec_lo, s11
	v_and_b32_e32 v15, v51, v50
	v_and_b32_e32 v16, v37, v50
	v_mov_b32_e32 v48, v51
	s_delay_alu instid0(VALU_DEP_2)
	v_cmp_gt_i16_e64 s7, v15, v16
	v_dual_mov_b32 v15, v23 :: v_dual_mov_b32 v16, v24
	s_and_saveexec_b32 s11, s7
; %bb.70:
	v_dual_mov_b32 v48, v37 :: v_dual_mov_b32 v37, v51
	v_dual_mov_b32 v16, v5 :: v_dual_mov_b32 v15, v4
	;; [unrolled: 1-line block ×3, first 2 shown]
; %bb.71:
	s_wait_alu 0xfffe
	s_or_b32 exec_lo, exec_lo, s11
	v_and_b32_e32 v19, v29, v50
	v_dual_mov_b32 v55, v29 :: v_dual_and_b32 v20, v52, v50
	s_delay_alu instid0(VALU_DEP_1)
	v_cmp_gt_i16_e64 s7, v19, v20
	v_dual_mov_b32 v19, v31 :: v_dual_mov_b32 v20, v32
	s_and_saveexec_b32 s11, s7
; %bb.72:
	v_dual_mov_b32 v55, v52 :: v_dual_mov_b32 v52, v29
	v_dual_mov_b32 v19, v27 :: v_dual_mov_b32 v20, v28
	;; [unrolled: 1-line block ×3, first 2 shown]
; %bb.73:
	s_wait_alu 0xfffe
	s_or_b32 exec_lo, exec_lo, s11
	v_dual_mov_b32 v30, v18 :: v_dual_and_b32 v21, v39, v50
	v_dual_mov_b32 v29, v17 :: v_dual_and_b32 v22, v54, v50
	v_mov_b32_e32 v49, v54
	s_mov_b32 s11, exec_lo
	s_delay_alu instid0(VALU_DEP_2)
	v_cmpx_gt_i16_e64 v21, v22
; %bb.74:
	v_dual_mov_b32 v30, v26 :: v_dual_mov_b32 v29, v25
	v_dual_mov_b32 v26, v18 :: v_dual_mov_b32 v25, v17
	v_mov_b32_e32 v49, v39
	v_mov_b32_e32 v39, v54
; %bb.75:
	s_wait_alu 0xfffe
	s_or_b32 exec_lo, exec_lo, s11
	v_dual_mov_b32 v24, v11 :: v_dual_and_b32 v17, v38, v50
	v_dual_mov_b32 v23, v10 :: v_dual_and_b32 v18, v53, v50
	v_mov_b32_e32 v31, v53
	s_mov_b32 s11, exec_lo
	s_delay_alu instid0(VALU_DEP_2)
	v_cmpx_gt_i16_e64 v17, v18
; %bb.76:
	v_dual_mov_b32 v24, v9 :: v_dual_mov_b32 v23, v8
	v_dual_mov_b32 v8, v10 :: v_dual_mov_b32 v9, v11
	;; [unrolled: 1-line block ×3, first 2 shown]
; %bb.77:
	s_wait_alu 0xfffe
	s_or_b32 exec_lo, exec_lo, s11
	v_dual_mov_b32 v17, v27 :: v_dual_and_b32 v10, v52, v50
	v_and_b32_e32 v11, v48, v50
	v_mov_b32_e32 v32, v52
	v_mov_b32_e32 v18, v28
	s_mov_b32 s11, exec_lo
	s_delay_alu instid0(VALU_DEP_3)
	v_cmpx_gt_i16_e64 v10, v11
; %bb.78:
	v_mov_b32_e32 v18, v16
	v_dual_mov_b32 v32, v48 :: v_dual_mov_b32 v17, v15
	v_dual_mov_b32 v48, v52 :: v_dual_mov_b32 v15, v27
	v_mov_b32_e32 v16, v28
; %bb.79:
	s_wait_alu 0xfffe
	s_or_b32 exec_lo, exec_lo, s11
	v_mov_b32_e32 v21, v25
	v_dual_mov_b32 v51, v55 :: v_dual_and_b32 v10, v49, v50
	v_dual_mov_b32 v22, v26 :: v_dual_and_b32 v11, v55, v50
	s_mov_b32 s11, exec_lo
	s_delay_alu instid0(VALU_DEP_1)
	v_cmpx_gt_i16_e64 v10, v11
; %bb.80:
	v_dual_mov_b32 v51, v49 :: v_dual_mov_b32 v22, v20
	v_mov_b32_e32 v21, v19
	v_dual_mov_b32 v19, v25 :: v_dual_mov_b32 v20, v26
	v_mov_b32_e32 v49, v55
; %bb.81:
	s_wait_alu 0xfffe
	s_or_b32 exec_lo, exec_lo, s11
	v_dual_mov_b32 v25, v29 :: v_dual_and_b32 v10, v31, v50
	v_dual_mov_b32 v26, v30 :: v_dual_and_b32 v11, v39, v50
	v_mov_b32_e32 v52, v31
	s_mov_b32 s11, exec_lo
	s_delay_alu instid0(VALU_DEP_2)
	v_cmpx_gt_i16_e64 v10, v11
; %bb.82:
	v_dual_mov_b32 v52, v39 :: v_dual_mov_b32 v39, v31
	v_dual_mov_b32 v26, v9 :: v_dual_mov_b32 v25, v8
	;; [unrolled: 1-line block ×3, first 2 shown]
; %bb.83:
	s_wait_alu 0xfffe
	s_or_b32 exec_lo, exec_lo, s11
.LBB926_84:
	s_wait_alu 0xfffe
	s_or_b32 exec_lo, exec_lo, s10
	v_and_b32_e32 v10, 0xffffff00, v12
	v_or_b32_e32 v11, 8, v35
	v_and_b32_e32 v28, 8, v35
	v_and_b32_e32 v65, 0xf0, v35
	s_wait_loadcnt_dscnt 0x0
	v_perm_b32 v69, v38, v52, 0x5040100
	v_sub_nc_u32_e64 v27, 0x800, v10 clamp
	v_lshlrev_b32_e32 v12, 1, v10
	v_perm_b32 v68, v39, v49, 0x5040100
	v_perm_b32 v71, v51, v32, 0x5040100
	;; [unrolled: 1-line block ×3, first 2 shown]
	v_min_u32_e32 v53, v27, v11
	v_mad_co_u64_u32 v[10:11], null, v10, 6, v[12:13]
	v_min_u32_e32 v66, v27, v28
	v_lshl_or_b32 v55, v65, 1, v12
	s_delay_alu instid0(VALU_DEP_4) | instskip(SKIP_3) | instid1(VALU_DEP_3)
	v_add_nc_u32_e32 v11, 8, v53
	v_sub_nc_u32_e32 v28, v53, v65
	s_mov_b32 s10, exec_lo
	v_lshl_add_u32 v80, v35, 3, v10
	v_min_u32_e32 v54, v27, v11
	v_lshl_or_b32 v11, v35, 1, v12
	v_min_u32_e32 v67, v66, v28
	s_delay_alu instid0(VALU_DEP_4) | instskip(NEXT) | instid1(VALU_DEP_4)
	v_add_nc_u32_e32 v30, 0x1010, v80
	v_sub_nc_u32_e32 v29, v54, v53
	v_add_nc_u32_e32 v31, 0x1020, v80
	v_add_nc_u32_e32 v28, 0x1030, v80
	s_delay_alu instid0(VALU_DEP_3)
	v_sub_nc_u32_e64 v64, v66, v29 clamp
	v_add_nc_u32_e32 v29, 0x1000, v80
	ds_store_2addr_b64 v30, v[17:18], v[19:20] offset1:1
	ds_store_2addr_b64 v31, v[21:22], v[25:26] offset1:1
	;; [unrolled: 1-line block ×5, first 2 shown]
	; wave barrier
	v_cmpx_lt_u32_e64 v64, v67
	s_cbranch_execz .LBB926_88
; %bb.85:
	v_lshlrev_b32_e32 v68, 1, v53
	v_lshlrev_b32_e32 v69, 1, v66
	s_mov_b32 s11, 0
	s_delay_alu instid0(VALU_DEP_1)
	v_add3_u32 v68, v12, v68, v69
.LBB926_86:                             ; =>This Inner Loop Header: Depth=1
	v_add_nc_u32_e32 v69, v67, v64
	s_delay_alu instid0(VALU_DEP_1) | instskip(SKIP_1) | instid1(VALU_DEP_2)
	v_lshrrev_b32_e32 v70, 1, v69
	v_and_b32_e32 v69, -2, v69
	v_not_b32_e32 v71, v70
	s_delay_alu instid0(VALU_DEP_2) | instskip(SKIP_1) | instid1(VALU_DEP_3)
	v_add_nc_u32_e32 v69, v55, v69
	v_add_nc_u32_e32 v80, 1, v70
	v_lshl_add_u32 v71, v71, 1, v68
	ds_load_u16 v69, v69
	ds_load_u16 v71, v71
	s_wait_dscnt 0x1
	v_and_b32_e32 v69, v69, v50
	s_wait_dscnt 0x0
	v_and_b32_e32 v71, v71, v50
	s_delay_alu instid0(VALU_DEP_1) | instskip(SKIP_1) | instid1(VALU_DEP_1)
	v_cmp_gt_i16_e64 s7, v71, v69
	s_wait_alu 0xf1ff
	v_cndmask_b32_e64 v67, v67, v70, s7
	v_cndmask_b32_e64 v64, v80, v64, s7
	s_delay_alu instid0(VALU_DEP_1)
	v_cmp_ge_u32_e64 s7, v64, v67
	s_wait_alu 0xfffe
	s_or_b32 s11, s7, s11
	s_wait_alu 0xfffe
	s_and_not1_b32 exec_lo, exec_lo, s11
	s_cbranch_execnz .LBB926_86
; %bb.87:
	s_or_b32 exec_lo, exec_lo, s11
.LBB926_88:
	s_wait_alu 0xfffe
	s_or_b32 exec_lo, exec_lo, s10
	v_add_nc_u32_e32 v67, v53, v66
	v_add_nc_u32_e32 v66, v64, v65
	s_delay_alu instid0(VALU_DEP_2) | instskip(NEXT) | instid1(VALU_DEP_2)
	v_sub_nc_u32_e32 v65, v67, v64
	v_cmp_le_u32_e64 s7, v66, v53
	s_delay_alu instid0(VALU_DEP_2)
	v_cmp_le_u32_e64 s10, v65, v54
	s_or_b32 s7, s7, s10
	s_wait_alu 0xfffe
	s_and_saveexec_b32 s20, s7
	s_cbranch_execz .LBB926_94
; %bb.89:
	v_cmp_lt_u32_e64 s7, v66, v53
                                        ; implicit-def: $vgpr32
	s_and_saveexec_b32 s10, s7
; %bb.90:
	v_lshl_add_u32 v4, v64, 1, v55
	ds_load_u16 v32, v4
; %bb.91:
	s_wait_alu 0xfffe
	s_or_b32 exec_lo, exec_lo, s10
	v_cmp_ge_u32_e64 s10, v65, v54
	s_mov_b32 s12, exec_lo
                                        ; implicit-def: $vgpr37
	v_cmpx_lt_u32_e64 v65, v54
; %bb.92:
	v_lshl_add_u32 v4, v65, 1, v12
	ds_load_u16 v37, v4
; %bb.93:
	s_wait_alu 0xfffe
	s_or_b32 exec_lo, exec_lo, s12
	s_wait_dscnt 0x0
	v_and_b32_e32 v4, v37, v50
	v_and_b32_e32 v5, v32, v50
	s_delay_alu instid0(VALU_DEP_1)
	v_cmp_le_i16_e64 s11, v4, v5
	s_and_b32 s7, s7, s11
	s_wait_alu 0xfffe
	s_or_b32 s7, s10, s7
	s_wait_alu 0xfffe
	v_cndmask_b32_e64 v4, v65, v66, s7
	v_cndmask_b32_e64 v5, v54, v53, s7
	s_delay_alu instid0(VALU_DEP_2) | instskip(NEXT) | instid1(VALU_DEP_2)
	v_add_nc_u32_e32 v8, 1, v4
	v_add_nc_u32_e32 v5, -1, v5
	v_lshl_add_u32 v4, v4, 3, v10
	s_delay_alu instid0(VALU_DEP_2) | instskip(NEXT) | instid1(VALU_DEP_1)
	v_min_u32_e32 v5, v8, v5
	v_lshl_add_u32 v5, v5, 1, v12
	ds_load_u16 v5, v5
	s_wait_dscnt 0x0
	v_cndmask_b32_e64 v38, v5, v37, s7
	v_cndmask_b32_e64 v39, v32, v5, s7
	;; [unrolled: 1-line block ×5, first 2 shown]
	v_and_b32_e32 v9, v38, v50
	v_and_b32_e32 v15, v39, v50
	v_cmp_lt_u32_e64 s10, v5, v53
	v_cmp_ge_u32_e64 s12, v8, v54
	s_delay_alu instid0(VALU_DEP_3)
	v_cmp_le_i16_e64 s11, v9, v15
	s_and_b32 s10, s10, s11
	s_wait_alu 0xfffe
	s_or_b32 s10, s12, s10
	s_wait_alu 0xfffe
	v_cndmask_b32_e64 v9, v8, v5, s10
	v_cndmask_b32_e64 v15, v54, v53, s10
	s_delay_alu instid0(VALU_DEP_2) | instskip(NEXT) | instid1(VALU_DEP_2)
	v_add_nc_u32_e32 v16, 1, v9
	v_add_nc_u32_e32 v15, -1, v15
	v_lshl_add_u32 v9, v9, 3, v10
	s_delay_alu instid0(VALU_DEP_3) | instskip(NEXT) | instid1(VALU_DEP_3)
	v_cndmask_b32_e64 v5, v5, v16, s10
	v_min_u32_e32 v15, v16, v15
	v_cndmask_b32_e64 v8, v16, v8, s10
	s_delay_alu instid0(VALU_DEP_3) | instskip(NEXT) | instid1(VALU_DEP_3)
	v_cmp_lt_u32_e64 s11, v5, v53
	v_lshl_add_u32 v15, v15, 1, v12
	s_delay_alu instid0(VALU_DEP_3) | instskip(SKIP_4) | instid1(VALU_DEP_2)
	v_cmp_ge_u32_e64 s13, v8, v54
	ds_load_u16 v15, v15
	s_wait_dscnt 0x0
	v_cndmask_b32_e64 v49, v15, v38, s10
	v_cndmask_b32_e64 v51, v39, v15, s10
	v_and_b32_e32 v15, v49, v50
	s_delay_alu instid0(VALU_DEP_2) | instskip(NEXT) | instid1(VALU_DEP_1)
	v_and_b32_e32 v17, v51, v50
	v_cmp_le_i16_e64 s12, v15, v17
	s_and_b32 s11, s11, s12
	s_wait_alu 0xfffe
	s_or_b32 s11, s13, s11
	s_wait_alu 0xfffe
	v_cndmask_b32_e64 v15, v8, v5, s11
	v_cndmask_b32_e64 v16, v54, v53, s11
	v_cndmask_b32_e64 v32, v49, v51, s11
	s_delay_alu instid0(VALU_DEP_3) | instskip(NEXT) | instid1(VALU_DEP_3)
	v_add_nc_u32_e32 v17, 1, v15
	v_add_nc_u32_e32 v16, -1, v16
	s_delay_alu instid0(VALU_DEP_2) | instskip(NEXT) | instid1(VALU_DEP_2)
	v_cndmask_b32_e64 v5, v5, v17, s11
	v_min_u32_e32 v16, v17, v16
	v_cndmask_b32_e64 v8, v17, v8, s11
	s_delay_alu instid0(VALU_DEP_3) | instskip(NEXT) | instid1(VALU_DEP_3)
	v_cmp_lt_u32_e64 s12, v5, v53
	v_lshl_add_u32 v16, v16, 1, v12
	s_delay_alu instid0(VALU_DEP_3) | instskip(SKIP_4) | instid1(VALU_DEP_2)
	v_cmp_ge_u32_e64 s14, v8, v54
	ds_load_u16 v16, v16
	s_wait_dscnt 0x0
	v_cndmask_b32_e64 v52, v16, v49, s11
	v_cndmask_b32_e64 v55, v51, v16, s11
	v_and_b32_e32 v16, v52, v50
	s_delay_alu instid0(VALU_DEP_2) | instskip(NEXT) | instid1(VALU_DEP_1)
	v_and_b32_e32 v18, v55, v50
	v_cmp_le_i16_e64 s13, v16, v18
	s_and_b32 s12, s12, s13
	s_wait_alu 0xfffe
	s_or_b32 s12, s14, s12
	s_wait_alu 0xfffe
	v_cndmask_b32_e64 v19, v8, v5, s12
	v_cndmask_b32_e64 v16, v54, v53, s12
	v_cndmask_b32_e64 v51, v52, v55, s12
	s_delay_alu instid0(VALU_DEP_3) | instskip(NEXT) | instid1(VALU_DEP_3)
	v_add_nc_u32_e32 v17, 1, v19
	v_add_nc_u32_e32 v16, -1, v16
	s_delay_alu instid0(VALU_DEP_2) | instskip(NEXT) | instid1(VALU_DEP_2)
	;; [unrolled: 27-line block ×3, first 2 shown]
	v_cndmask_b32_e64 v5, v5, v17, s13
	v_min_u32_e32 v16, v17, v16
	v_cndmask_b32_e64 v8, v17, v8, s13
	s_delay_alu instid0(VALU_DEP_3) | instskip(NEXT) | instid1(VALU_DEP_3)
	v_cmp_lt_u32_e64 s14, v5, v53
	v_lshl_add_u32 v16, v16, 1, v12
	s_delay_alu instid0(VALU_DEP_3) | instskip(SKIP_4) | instid1(VALU_DEP_2)
	v_cmp_ge_u32_e64 s16, v8, v54
	ds_load_u16 v16, v16
	s_wait_dscnt 0x0
	v_cndmask_b32_e64 v66, v16, v64, s13
	v_cndmask_b32_e64 v67, v65, v16, s13
	v_and_b32_e32 v16, v66, v50
	s_delay_alu instid0(VALU_DEP_2) | instskip(NEXT) | instid1(VALU_DEP_1)
	v_and_b32_e32 v18, v67, v50
	v_cmp_le_i16_e64 s15, v16, v18
	s_and_b32 s14, s14, s15
	s_wait_alu 0xfffe
	s_or_b32 s14, s16, s14
	s_wait_alu 0xfffe
	v_cndmask_b32_e64 v21, v8, v5, s14
	v_cndmask_b32_e64 v16, v54, v53, s14
	s_delay_alu instid0(VALU_DEP_2) | instskip(NEXT) | instid1(VALU_DEP_2)
	v_add_nc_u32_e32 v17, 1, v21
	v_add_nc_u32_e32 v16, -1, v16
	v_lshl_add_u32 v24, v21, 3, v10
	s_delay_alu instid0(VALU_DEP_3) | instskip(NEXT) | instid1(VALU_DEP_3)
	v_cndmask_b32_e64 v5, v5, v17, s14
	v_min_u32_e32 v16, v17, v16
	v_cndmask_b32_e64 v8, v17, v8, s14
	s_delay_alu instid0(VALU_DEP_3) | instskip(NEXT) | instid1(VALU_DEP_3)
	v_cmp_lt_u32_e64 s15, v5, v53
	v_lshl_add_u32 v16, v16, 1, v12
	s_delay_alu instid0(VALU_DEP_3) | instskip(SKIP_4) | instid1(VALU_DEP_2)
	v_cmp_ge_u32_e64 s17, v8, v54
	ds_load_u16 v16, v16
	s_wait_dscnt 0x0
	v_cndmask_b32_e64 v68, v16, v66, s14
	v_cndmask_b32_e64 v69, v67, v16, s14
	v_and_b32_e32 v16, v68, v50
	s_delay_alu instid0(VALU_DEP_2) | instskip(NEXT) | instid1(VALU_DEP_1)
	v_and_b32_e32 v18, v69, v50
	v_cmp_le_i16_e64 s16, v16, v18
	s_and_b32 s15, s15, s16
	s_wait_alu 0xfffe
	s_or_b32 s15, s17, s15
	s_wait_alu 0xfffe
	v_cndmask_b32_e64 v22, v8, v5, s15
	v_cndmask_b32_e64 v16, v54, v53, s15
	v_cndmask_b32_e64 v52, v68, v69, s15
	s_delay_alu instid0(VALU_DEP_3) | instskip(NEXT) | instid1(VALU_DEP_3)
	v_add_nc_u32_e32 v17, 1, v22
	v_add_nc_u32_e32 v16, -1, v16
	v_lshl_add_u32 v48, v22, 3, v10
	s_delay_alu instid0(VALU_DEP_3) | instskip(NEXT) | instid1(VALU_DEP_3)
	v_cndmask_b32_e64 v23, v5, v17, s15
	v_min_u32_e32 v16, v17, v16
	v_cndmask_b32_e64 v8, v17, v8, s15
	v_lshl_add_u32 v17, v15, 3, v10
	s_delay_alu instid0(VALU_DEP_4) | instskip(NEXT) | instid1(VALU_DEP_4)
	v_cmp_lt_u32_e64 s16, v23, v53
	v_lshl_add_u32 v16, v16, 1, v12
	s_delay_alu instid0(VALU_DEP_4) | instskip(SKIP_4) | instid1(VALU_DEP_2)
	v_cmp_ge_u32_e64 s18, v8, v54
	ds_load_u16 v16, v16
	s_wait_dscnt 0x0
	v_cndmask_b32_e64 v70, v16, v68, s15
	v_cndmask_b32_e64 v71, v69, v16, s15
	v_and_b32_e32 v5, v70, v50
	s_delay_alu instid0(VALU_DEP_2) | instskip(NEXT) | instid1(VALU_DEP_1)
	v_and_b32_e32 v16, v71, v50
	v_cmp_le_i16_e64 s17, v5, v16
	ds_load_b64 v[4:5], v4 offset:4096
	ds_load_b64 v[15:16], v9 offset:4096
	v_lshl_add_u32 v9, v19, 3, v10
	ds_load_b64 v[17:18], v17 offset:4096
	s_and_b32 s16, s16, s17
	s_wait_alu 0xfffe
	s_or_b32 s16, s18, s16
	s_wait_alu 0xfffe
	v_cndmask_b32_e64 v8, v8, v23, s16
	v_lshl_add_u32 v23, v20, 3, v10
	s_delay_alu instid0(VALU_DEP_2)
	v_lshl_add_u32 v53, v8, 3, v10
	ds_load_b64 v[19:20], v9 offset:4096
	ds_load_b64 v[21:22], v23 offset:4096
	;; [unrolled: 1-line block ×5, first 2 shown]
	v_cndmask_b32_e64 v48, v38, v39, s10
	v_cndmask_b32_e64 v39, v66, v67, s14
	;; [unrolled: 1-line block ×3, first 2 shown]
.LBB926_94:
	s_wait_alu 0xfffe
	s_or_b32 exec_lo, exec_lo, s20
	v_and_b32_e32 v65, 0xe0, v35
	v_and_b32_e32 v55, 24, v35
	v_perm_b32 v69, v38, v52, 0x5040100
	v_perm_b32 v68, v39, v49, 0x5040100
	;; [unrolled: 1-line block ×3, first 2 shown]
	v_or_b32_e32 v53, 16, v65
	v_min_u32_e32 v66, v27, v55
	v_perm_b32 v70, v48, v37, 0x5040100
	s_mov_b32 s10, exec_lo
	s_delay_alu instid0(VALU_DEP_3)
	v_min_u32_e32 v53, v27, v53
	; wave barrier
	s_wait_dscnt 0x4
	ds_store_2addr_b64 v30, v[17:18], v[19:20] offset1:1
	s_wait_dscnt 0x3
	ds_store_2addr_b64 v31, v[21:22], v[25:26] offset1:1
	ds_store_2addr_b64 v29, v[4:5], v[15:16] offset1:1
	;; [unrolled: 1-line block ×3, first 2 shown]
	s_wait_dscnt 0x4
	ds_store_2addr_b64 v28, v[8:9], v[23:24] offset1:1
	v_add_nc_u32_e32 v54, 16, v53
	v_sub_nc_u32_e32 v55, v53, v65
	; wave barrier
	s_delay_alu instid0(VALU_DEP_2) | instskip(NEXT) | instid1(VALU_DEP_2)
	v_min_u32_e32 v54, v27, v54
	v_min_u32_e32 v67, v66, v55
	s_delay_alu instid0(VALU_DEP_2) | instskip(NEXT) | instid1(VALU_DEP_1)
	v_sub_nc_u32_e32 v64, v54, v53
	v_sub_nc_u32_e64 v55, v66, v64 clamp
	v_lshl_add_u32 v64, v65, 1, v12
	s_delay_alu instid0(VALU_DEP_2)
	v_cmpx_lt_u32_e64 v55, v67
	s_cbranch_execz .LBB926_98
; %bb.95:
	v_lshlrev_b32_e32 v68, 1, v53
	v_lshlrev_b32_e32 v69, 1, v66
	s_mov_b32 s11, 0
	s_delay_alu instid0(VALU_DEP_1)
	v_add3_u32 v68, v12, v68, v69
.LBB926_96:                             ; =>This Inner Loop Header: Depth=1
	v_add_nc_u32_e32 v69, v67, v55
	s_delay_alu instid0(VALU_DEP_1) | instskip(SKIP_1) | instid1(VALU_DEP_2)
	v_lshrrev_b32_e32 v70, 1, v69
	v_and_b32_e32 v69, -2, v69
	v_not_b32_e32 v71, v70
	s_delay_alu instid0(VALU_DEP_2) | instskip(SKIP_1) | instid1(VALU_DEP_3)
	v_add_nc_u32_e32 v69, v64, v69
	v_add_nc_u32_e32 v80, 1, v70
	v_lshl_add_u32 v71, v71, 1, v68
	ds_load_u16 v69, v69
	ds_load_u16 v71, v71
	s_wait_dscnt 0x1
	v_and_b32_e32 v69, v69, v50
	s_wait_dscnt 0x0
	v_and_b32_e32 v71, v71, v50
	s_delay_alu instid0(VALU_DEP_1) | instskip(SKIP_1) | instid1(VALU_DEP_1)
	v_cmp_gt_i16_e64 s7, v71, v69
	s_wait_alu 0xf1ff
	v_cndmask_b32_e64 v67, v67, v70, s7
	v_cndmask_b32_e64 v55, v80, v55, s7
	s_delay_alu instid0(VALU_DEP_1)
	v_cmp_ge_u32_e64 s7, v55, v67
	s_wait_alu 0xfffe
	s_or_b32 s11, s7, s11
	s_wait_alu 0xfffe
	s_and_not1_b32 exec_lo, exec_lo, s11
	s_cbranch_execnz .LBB926_96
; %bb.97:
	s_or_b32 exec_lo, exec_lo, s11
.LBB926_98:
	s_wait_alu 0xfffe
	s_or_b32 exec_lo, exec_lo, s10
	v_add_nc_u32_e32 v67, v53, v66
	v_add_nc_u32_e32 v66, v55, v65
	s_delay_alu instid0(VALU_DEP_2) | instskip(NEXT) | instid1(VALU_DEP_2)
	v_sub_nc_u32_e32 v65, v67, v55
	v_cmp_le_u32_e64 s7, v66, v53
	s_delay_alu instid0(VALU_DEP_2)
	v_cmp_le_u32_e64 s10, v65, v54
	s_or_b32 s7, s7, s10
	s_wait_alu 0xfffe
	s_and_saveexec_b32 s20, s7
	s_cbranch_execz .LBB926_104
; %bb.99:
	v_cmp_lt_u32_e64 s7, v66, v53
                                        ; implicit-def: $vgpr32
	s_and_saveexec_b32 s10, s7
; %bb.100:
	v_lshl_add_u32 v4, v55, 1, v64
	ds_load_u16 v32, v4
; %bb.101:
	s_wait_alu 0xfffe
	s_or_b32 exec_lo, exec_lo, s10
	v_cmp_ge_u32_e64 s10, v65, v54
	s_mov_b32 s12, exec_lo
                                        ; implicit-def: $vgpr37
	v_cmpx_lt_u32_e64 v65, v54
; %bb.102:
	v_lshl_add_u32 v4, v65, 1, v12
	ds_load_u16 v37, v4
; %bb.103:
	s_wait_alu 0xfffe
	s_or_b32 exec_lo, exec_lo, s12
	s_wait_dscnt 0x0
	v_and_b32_e32 v4, v37, v50
	v_and_b32_e32 v5, v32, v50
	s_delay_alu instid0(VALU_DEP_1)
	v_cmp_le_i16_e64 s11, v4, v5
	s_and_b32 s7, s7, s11
	s_wait_alu 0xfffe
	s_or_b32 s7, s10, s7
	s_wait_alu 0xfffe
	v_cndmask_b32_e64 v4, v65, v66, s7
	v_cndmask_b32_e64 v5, v54, v53, s7
	s_delay_alu instid0(VALU_DEP_2) | instskip(NEXT) | instid1(VALU_DEP_2)
	v_add_nc_u32_e32 v8, 1, v4
	v_add_nc_u32_e32 v5, -1, v5
	v_lshl_add_u32 v4, v4, 3, v10
	s_delay_alu instid0(VALU_DEP_2) | instskip(NEXT) | instid1(VALU_DEP_1)
	v_min_u32_e32 v5, v8, v5
	v_lshl_add_u32 v5, v5, 1, v12
	ds_load_u16 v5, v5
	s_wait_dscnt 0x0
	v_cndmask_b32_e64 v38, v5, v37, s7
	v_cndmask_b32_e64 v39, v32, v5, s7
	;; [unrolled: 1-line block ×5, first 2 shown]
	v_and_b32_e32 v9, v38, v50
	v_and_b32_e32 v15, v39, v50
	v_cmp_lt_u32_e64 s10, v5, v53
	v_cmp_ge_u32_e64 s12, v8, v54
	s_delay_alu instid0(VALU_DEP_3)
	v_cmp_le_i16_e64 s11, v9, v15
	s_and_b32 s10, s10, s11
	s_wait_alu 0xfffe
	s_or_b32 s10, s12, s10
	s_wait_alu 0xfffe
	v_cndmask_b32_e64 v9, v8, v5, s10
	v_cndmask_b32_e64 v15, v54, v53, s10
	s_delay_alu instid0(VALU_DEP_2) | instskip(NEXT) | instid1(VALU_DEP_2)
	v_add_nc_u32_e32 v16, 1, v9
	v_add_nc_u32_e32 v15, -1, v15
	v_lshl_add_u32 v9, v9, 3, v10
	s_delay_alu instid0(VALU_DEP_3) | instskip(NEXT) | instid1(VALU_DEP_3)
	v_cndmask_b32_e64 v5, v5, v16, s10
	v_min_u32_e32 v15, v16, v15
	v_cndmask_b32_e64 v8, v16, v8, s10
	s_delay_alu instid0(VALU_DEP_3) | instskip(NEXT) | instid1(VALU_DEP_3)
	v_cmp_lt_u32_e64 s11, v5, v53
	v_lshl_add_u32 v15, v15, 1, v12
	s_delay_alu instid0(VALU_DEP_3) | instskip(SKIP_4) | instid1(VALU_DEP_2)
	v_cmp_ge_u32_e64 s13, v8, v54
	ds_load_u16 v15, v15
	s_wait_dscnt 0x0
	v_cndmask_b32_e64 v49, v15, v38, s10
	v_cndmask_b32_e64 v51, v39, v15, s10
	v_and_b32_e32 v15, v49, v50
	s_delay_alu instid0(VALU_DEP_2) | instskip(NEXT) | instid1(VALU_DEP_1)
	v_and_b32_e32 v17, v51, v50
	v_cmp_le_i16_e64 s12, v15, v17
	s_and_b32 s11, s11, s12
	s_wait_alu 0xfffe
	s_or_b32 s11, s13, s11
	s_wait_alu 0xfffe
	v_cndmask_b32_e64 v15, v8, v5, s11
	v_cndmask_b32_e64 v16, v54, v53, s11
	v_cndmask_b32_e64 v32, v49, v51, s11
	s_delay_alu instid0(VALU_DEP_3) | instskip(NEXT) | instid1(VALU_DEP_3)
	v_add_nc_u32_e32 v17, 1, v15
	v_add_nc_u32_e32 v16, -1, v16
	s_delay_alu instid0(VALU_DEP_2) | instskip(NEXT) | instid1(VALU_DEP_2)
	v_cndmask_b32_e64 v5, v5, v17, s11
	v_min_u32_e32 v16, v17, v16
	v_cndmask_b32_e64 v8, v17, v8, s11
	s_delay_alu instid0(VALU_DEP_3) | instskip(NEXT) | instid1(VALU_DEP_3)
	v_cmp_lt_u32_e64 s12, v5, v53
	v_lshl_add_u32 v16, v16, 1, v12
	s_delay_alu instid0(VALU_DEP_3) | instskip(SKIP_4) | instid1(VALU_DEP_2)
	v_cmp_ge_u32_e64 s14, v8, v54
	ds_load_u16 v16, v16
	s_wait_dscnt 0x0
	v_cndmask_b32_e64 v52, v16, v49, s11
	v_cndmask_b32_e64 v55, v51, v16, s11
	v_and_b32_e32 v16, v52, v50
	s_delay_alu instid0(VALU_DEP_2) | instskip(NEXT) | instid1(VALU_DEP_1)
	v_and_b32_e32 v18, v55, v50
	v_cmp_le_i16_e64 s13, v16, v18
	s_and_b32 s12, s12, s13
	s_wait_alu 0xfffe
	s_or_b32 s12, s14, s12
	s_wait_alu 0xfffe
	v_cndmask_b32_e64 v19, v8, v5, s12
	v_cndmask_b32_e64 v16, v54, v53, s12
	v_cndmask_b32_e64 v51, v52, v55, s12
	s_delay_alu instid0(VALU_DEP_3) | instskip(NEXT) | instid1(VALU_DEP_3)
	v_add_nc_u32_e32 v17, 1, v19
	v_add_nc_u32_e32 v16, -1, v16
	s_delay_alu instid0(VALU_DEP_2) | instskip(NEXT) | instid1(VALU_DEP_2)
	;; [unrolled: 27-line block ×3, first 2 shown]
	v_cndmask_b32_e64 v5, v5, v17, s13
	v_min_u32_e32 v16, v17, v16
	v_cndmask_b32_e64 v8, v17, v8, s13
	s_delay_alu instid0(VALU_DEP_3) | instskip(NEXT) | instid1(VALU_DEP_3)
	v_cmp_lt_u32_e64 s14, v5, v53
	v_lshl_add_u32 v16, v16, 1, v12
	s_delay_alu instid0(VALU_DEP_3) | instskip(SKIP_4) | instid1(VALU_DEP_2)
	v_cmp_ge_u32_e64 s16, v8, v54
	ds_load_u16 v16, v16
	s_wait_dscnt 0x0
	v_cndmask_b32_e64 v66, v16, v64, s13
	v_cndmask_b32_e64 v67, v65, v16, s13
	v_and_b32_e32 v16, v66, v50
	s_delay_alu instid0(VALU_DEP_2) | instskip(NEXT) | instid1(VALU_DEP_1)
	v_and_b32_e32 v18, v67, v50
	v_cmp_le_i16_e64 s15, v16, v18
	s_and_b32 s14, s14, s15
	s_wait_alu 0xfffe
	s_or_b32 s14, s16, s14
	s_wait_alu 0xfffe
	v_cndmask_b32_e64 v21, v8, v5, s14
	v_cndmask_b32_e64 v16, v54, v53, s14
	s_delay_alu instid0(VALU_DEP_2) | instskip(NEXT) | instid1(VALU_DEP_2)
	v_add_nc_u32_e32 v17, 1, v21
	v_add_nc_u32_e32 v16, -1, v16
	v_lshl_add_u32 v24, v21, 3, v10
	s_delay_alu instid0(VALU_DEP_3) | instskip(NEXT) | instid1(VALU_DEP_3)
	v_cndmask_b32_e64 v5, v5, v17, s14
	v_min_u32_e32 v16, v17, v16
	v_cndmask_b32_e64 v8, v17, v8, s14
	s_delay_alu instid0(VALU_DEP_3) | instskip(NEXT) | instid1(VALU_DEP_3)
	v_cmp_lt_u32_e64 s15, v5, v53
	v_lshl_add_u32 v16, v16, 1, v12
	s_delay_alu instid0(VALU_DEP_3) | instskip(SKIP_4) | instid1(VALU_DEP_2)
	v_cmp_ge_u32_e64 s17, v8, v54
	ds_load_u16 v16, v16
	s_wait_dscnt 0x0
	v_cndmask_b32_e64 v68, v16, v66, s14
	v_cndmask_b32_e64 v69, v67, v16, s14
	v_and_b32_e32 v16, v68, v50
	s_delay_alu instid0(VALU_DEP_2) | instskip(NEXT) | instid1(VALU_DEP_1)
	v_and_b32_e32 v18, v69, v50
	v_cmp_le_i16_e64 s16, v16, v18
	s_and_b32 s15, s15, s16
	s_wait_alu 0xfffe
	s_or_b32 s15, s17, s15
	s_wait_alu 0xfffe
	v_cndmask_b32_e64 v22, v8, v5, s15
	v_cndmask_b32_e64 v16, v54, v53, s15
	v_cndmask_b32_e64 v52, v68, v69, s15
	s_delay_alu instid0(VALU_DEP_3) | instskip(NEXT) | instid1(VALU_DEP_3)
	v_add_nc_u32_e32 v17, 1, v22
	v_add_nc_u32_e32 v16, -1, v16
	v_lshl_add_u32 v48, v22, 3, v10
	s_delay_alu instid0(VALU_DEP_3) | instskip(NEXT) | instid1(VALU_DEP_3)
	v_cndmask_b32_e64 v23, v5, v17, s15
	v_min_u32_e32 v16, v17, v16
	v_cndmask_b32_e64 v8, v17, v8, s15
	v_lshl_add_u32 v17, v15, 3, v10
	s_delay_alu instid0(VALU_DEP_4) | instskip(NEXT) | instid1(VALU_DEP_4)
	v_cmp_lt_u32_e64 s16, v23, v53
	v_lshl_add_u32 v16, v16, 1, v12
	s_delay_alu instid0(VALU_DEP_4) | instskip(SKIP_4) | instid1(VALU_DEP_2)
	v_cmp_ge_u32_e64 s18, v8, v54
	ds_load_u16 v16, v16
	s_wait_dscnt 0x0
	v_cndmask_b32_e64 v70, v16, v68, s15
	v_cndmask_b32_e64 v71, v69, v16, s15
	v_and_b32_e32 v5, v70, v50
	s_delay_alu instid0(VALU_DEP_2) | instskip(NEXT) | instid1(VALU_DEP_1)
	v_and_b32_e32 v16, v71, v50
	v_cmp_le_i16_e64 s17, v5, v16
	ds_load_b64 v[4:5], v4 offset:4096
	ds_load_b64 v[15:16], v9 offset:4096
	v_lshl_add_u32 v9, v19, 3, v10
	ds_load_b64 v[17:18], v17 offset:4096
	s_and_b32 s16, s16, s17
	s_wait_alu 0xfffe
	s_or_b32 s16, s18, s16
	s_wait_alu 0xfffe
	v_cndmask_b32_e64 v8, v8, v23, s16
	v_lshl_add_u32 v23, v20, 3, v10
	s_delay_alu instid0(VALU_DEP_2)
	v_lshl_add_u32 v53, v8, 3, v10
	ds_load_b64 v[19:20], v9 offset:4096
	ds_load_b64 v[21:22], v23 offset:4096
	;; [unrolled: 1-line block ×5, first 2 shown]
	v_cndmask_b32_e64 v48, v38, v39, s10
	v_cndmask_b32_e64 v39, v66, v67, s14
	;; [unrolled: 1-line block ×3, first 2 shown]
.LBB926_104:
	s_wait_alu 0xfffe
	s_or_b32 exec_lo, exec_lo, s20
	v_and_b32_e32 v65, 0xc0, v35
	v_and_b32_e32 v55, 56, v35
	v_perm_b32 v69, v38, v52, 0x5040100
	v_perm_b32 v68, v39, v49, 0x5040100
	;; [unrolled: 1-line block ×3, first 2 shown]
	v_or_b32_e32 v53, 32, v65
	v_min_u32_e32 v66, v27, v55
	v_perm_b32 v70, v48, v37, 0x5040100
	s_mov_b32 s10, exec_lo
	s_delay_alu instid0(VALU_DEP_3)
	v_min_u32_e32 v53, v27, v53
	; wave barrier
	s_wait_dscnt 0x4
	ds_store_2addr_b64 v30, v[17:18], v[19:20] offset1:1
	s_wait_dscnt 0x3
	ds_store_2addr_b64 v31, v[21:22], v[25:26] offset1:1
	ds_store_2addr_b64 v29, v[4:5], v[15:16] offset1:1
	;; [unrolled: 1-line block ×3, first 2 shown]
	s_wait_dscnt 0x4
	ds_store_2addr_b64 v28, v[8:9], v[23:24] offset1:1
	v_add_nc_u32_e32 v54, 32, v53
	v_sub_nc_u32_e32 v55, v53, v65
	; wave barrier
	s_delay_alu instid0(VALU_DEP_2) | instskip(NEXT) | instid1(VALU_DEP_2)
	v_min_u32_e32 v54, v27, v54
	v_min_u32_e32 v67, v66, v55
	s_delay_alu instid0(VALU_DEP_2) | instskip(NEXT) | instid1(VALU_DEP_1)
	v_sub_nc_u32_e32 v64, v54, v53
	v_sub_nc_u32_e64 v55, v66, v64 clamp
	v_lshl_add_u32 v64, v65, 1, v12
	s_delay_alu instid0(VALU_DEP_2)
	v_cmpx_lt_u32_e64 v55, v67
	s_cbranch_execz .LBB926_108
; %bb.105:
	v_lshlrev_b32_e32 v68, 1, v53
	v_lshlrev_b32_e32 v69, 1, v66
	s_mov_b32 s11, 0
	s_delay_alu instid0(VALU_DEP_1)
	v_add3_u32 v68, v12, v68, v69
.LBB926_106:                            ; =>This Inner Loop Header: Depth=1
	v_add_nc_u32_e32 v69, v67, v55
	s_delay_alu instid0(VALU_DEP_1) | instskip(SKIP_1) | instid1(VALU_DEP_2)
	v_lshrrev_b32_e32 v70, 1, v69
	v_and_b32_e32 v69, -2, v69
	v_not_b32_e32 v71, v70
	s_delay_alu instid0(VALU_DEP_2) | instskip(SKIP_1) | instid1(VALU_DEP_3)
	v_add_nc_u32_e32 v69, v64, v69
	v_add_nc_u32_e32 v80, 1, v70
	v_lshl_add_u32 v71, v71, 1, v68
	ds_load_u16 v69, v69
	ds_load_u16 v71, v71
	s_wait_dscnt 0x1
	v_and_b32_e32 v69, v69, v50
	s_wait_dscnt 0x0
	v_and_b32_e32 v71, v71, v50
	s_delay_alu instid0(VALU_DEP_1) | instskip(SKIP_1) | instid1(VALU_DEP_1)
	v_cmp_gt_i16_e64 s7, v71, v69
	s_wait_alu 0xf1ff
	v_cndmask_b32_e64 v67, v67, v70, s7
	v_cndmask_b32_e64 v55, v80, v55, s7
	s_delay_alu instid0(VALU_DEP_1)
	v_cmp_ge_u32_e64 s7, v55, v67
	s_wait_alu 0xfffe
	s_or_b32 s11, s7, s11
	s_wait_alu 0xfffe
	s_and_not1_b32 exec_lo, exec_lo, s11
	s_cbranch_execnz .LBB926_106
; %bb.107:
	s_or_b32 exec_lo, exec_lo, s11
.LBB926_108:
	s_wait_alu 0xfffe
	s_or_b32 exec_lo, exec_lo, s10
	v_add_nc_u32_e32 v67, v53, v66
	v_add_nc_u32_e32 v66, v55, v65
	s_delay_alu instid0(VALU_DEP_2) | instskip(NEXT) | instid1(VALU_DEP_2)
	v_sub_nc_u32_e32 v65, v67, v55
	v_cmp_le_u32_e64 s7, v66, v53
	s_delay_alu instid0(VALU_DEP_2)
	v_cmp_le_u32_e64 s10, v65, v54
	s_or_b32 s7, s7, s10
	s_wait_alu 0xfffe
	s_and_saveexec_b32 s20, s7
	s_cbranch_execz .LBB926_114
; %bb.109:
	v_cmp_lt_u32_e64 s7, v66, v53
                                        ; implicit-def: $vgpr32
	s_and_saveexec_b32 s10, s7
; %bb.110:
	v_lshl_add_u32 v4, v55, 1, v64
	ds_load_u16 v32, v4
; %bb.111:
	s_wait_alu 0xfffe
	s_or_b32 exec_lo, exec_lo, s10
	v_cmp_ge_u32_e64 s10, v65, v54
	s_mov_b32 s12, exec_lo
                                        ; implicit-def: $vgpr37
	v_cmpx_lt_u32_e64 v65, v54
; %bb.112:
	v_lshl_add_u32 v4, v65, 1, v12
	ds_load_u16 v37, v4
; %bb.113:
	s_wait_alu 0xfffe
	s_or_b32 exec_lo, exec_lo, s12
	s_wait_dscnt 0x0
	v_and_b32_e32 v4, v37, v50
	v_and_b32_e32 v5, v32, v50
	s_delay_alu instid0(VALU_DEP_1)
	v_cmp_le_i16_e64 s11, v4, v5
	s_and_b32 s7, s7, s11
	s_wait_alu 0xfffe
	s_or_b32 s7, s10, s7
	s_wait_alu 0xfffe
	v_cndmask_b32_e64 v4, v65, v66, s7
	v_cndmask_b32_e64 v5, v54, v53, s7
	s_delay_alu instid0(VALU_DEP_2) | instskip(NEXT) | instid1(VALU_DEP_2)
	v_add_nc_u32_e32 v8, 1, v4
	v_add_nc_u32_e32 v5, -1, v5
	v_lshl_add_u32 v4, v4, 3, v10
	s_delay_alu instid0(VALU_DEP_2) | instskip(NEXT) | instid1(VALU_DEP_1)
	v_min_u32_e32 v5, v8, v5
	v_lshl_add_u32 v5, v5, 1, v12
	ds_load_u16 v5, v5
	s_wait_dscnt 0x0
	v_cndmask_b32_e64 v38, v5, v37, s7
	v_cndmask_b32_e64 v39, v32, v5, s7
	;; [unrolled: 1-line block ×5, first 2 shown]
	v_and_b32_e32 v9, v38, v50
	v_and_b32_e32 v15, v39, v50
	v_cmp_lt_u32_e64 s10, v5, v53
	v_cmp_ge_u32_e64 s12, v8, v54
	s_delay_alu instid0(VALU_DEP_3)
	v_cmp_le_i16_e64 s11, v9, v15
	s_and_b32 s10, s10, s11
	s_wait_alu 0xfffe
	s_or_b32 s10, s12, s10
	s_wait_alu 0xfffe
	v_cndmask_b32_e64 v9, v8, v5, s10
	v_cndmask_b32_e64 v15, v54, v53, s10
	s_delay_alu instid0(VALU_DEP_2) | instskip(NEXT) | instid1(VALU_DEP_2)
	v_add_nc_u32_e32 v16, 1, v9
	v_add_nc_u32_e32 v15, -1, v15
	v_lshl_add_u32 v9, v9, 3, v10
	s_delay_alu instid0(VALU_DEP_3) | instskip(NEXT) | instid1(VALU_DEP_3)
	v_cndmask_b32_e64 v5, v5, v16, s10
	v_min_u32_e32 v15, v16, v15
	v_cndmask_b32_e64 v8, v16, v8, s10
	s_delay_alu instid0(VALU_DEP_3) | instskip(NEXT) | instid1(VALU_DEP_3)
	v_cmp_lt_u32_e64 s11, v5, v53
	v_lshl_add_u32 v15, v15, 1, v12
	s_delay_alu instid0(VALU_DEP_3) | instskip(SKIP_4) | instid1(VALU_DEP_2)
	v_cmp_ge_u32_e64 s13, v8, v54
	ds_load_u16 v15, v15
	s_wait_dscnt 0x0
	v_cndmask_b32_e64 v49, v15, v38, s10
	v_cndmask_b32_e64 v51, v39, v15, s10
	v_and_b32_e32 v15, v49, v50
	s_delay_alu instid0(VALU_DEP_2) | instskip(NEXT) | instid1(VALU_DEP_1)
	v_and_b32_e32 v17, v51, v50
	v_cmp_le_i16_e64 s12, v15, v17
	s_and_b32 s11, s11, s12
	s_wait_alu 0xfffe
	s_or_b32 s11, s13, s11
	s_wait_alu 0xfffe
	v_cndmask_b32_e64 v15, v8, v5, s11
	v_cndmask_b32_e64 v16, v54, v53, s11
	v_cndmask_b32_e64 v32, v49, v51, s11
	s_delay_alu instid0(VALU_DEP_3) | instskip(NEXT) | instid1(VALU_DEP_3)
	v_add_nc_u32_e32 v17, 1, v15
	v_add_nc_u32_e32 v16, -1, v16
	s_delay_alu instid0(VALU_DEP_2) | instskip(NEXT) | instid1(VALU_DEP_2)
	v_cndmask_b32_e64 v5, v5, v17, s11
	v_min_u32_e32 v16, v17, v16
	v_cndmask_b32_e64 v8, v17, v8, s11
	s_delay_alu instid0(VALU_DEP_3) | instskip(NEXT) | instid1(VALU_DEP_3)
	v_cmp_lt_u32_e64 s12, v5, v53
	v_lshl_add_u32 v16, v16, 1, v12
	s_delay_alu instid0(VALU_DEP_3) | instskip(SKIP_4) | instid1(VALU_DEP_2)
	v_cmp_ge_u32_e64 s14, v8, v54
	ds_load_u16 v16, v16
	s_wait_dscnt 0x0
	v_cndmask_b32_e64 v52, v16, v49, s11
	v_cndmask_b32_e64 v55, v51, v16, s11
	v_and_b32_e32 v16, v52, v50
	s_delay_alu instid0(VALU_DEP_2) | instskip(NEXT) | instid1(VALU_DEP_1)
	v_and_b32_e32 v18, v55, v50
	v_cmp_le_i16_e64 s13, v16, v18
	s_and_b32 s12, s12, s13
	s_wait_alu 0xfffe
	s_or_b32 s12, s14, s12
	s_wait_alu 0xfffe
	v_cndmask_b32_e64 v19, v8, v5, s12
	v_cndmask_b32_e64 v16, v54, v53, s12
	v_cndmask_b32_e64 v51, v52, v55, s12
	s_delay_alu instid0(VALU_DEP_3) | instskip(NEXT) | instid1(VALU_DEP_3)
	v_add_nc_u32_e32 v17, 1, v19
	v_add_nc_u32_e32 v16, -1, v16
	s_delay_alu instid0(VALU_DEP_2) | instskip(NEXT) | instid1(VALU_DEP_2)
	;; [unrolled: 27-line block ×3, first 2 shown]
	v_cndmask_b32_e64 v5, v5, v17, s13
	v_min_u32_e32 v16, v17, v16
	v_cndmask_b32_e64 v8, v17, v8, s13
	s_delay_alu instid0(VALU_DEP_3) | instskip(NEXT) | instid1(VALU_DEP_3)
	v_cmp_lt_u32_e64 s14, v5, v53
	v_lshl_add_u32 v16, v16, 1, v12
	s_delay_alu instid0(VALU_DEP_3) | instskip(SKIP_4) | instid1(VALU_DEP_2)
	v_cmp_ge_u32_e64 s16, v8, v54
	ds_load_u16 v16, v16
	s_wait_dscnt 0x0
	v_cndmask_b32_e64 v66, v16, v64, s13
	v_cndmask_b32_e64 v67, v65, v16, s13
	v_and_b32_e32 v16, v66, v50
	s_delay_alu instid0(VALU_DEP_2) | instskip(NEXT) | instid1(VALU_DEP_1)
	v_and_b32_e32 v18, v67, v50
	v_cmp_le_i16_e64 s15, v16, v18
	s_and_b32 s14, s14, s15
	s_wait_alu 0xfffe
	s_or_b32 s14, s16, s14
	s_wait_alu 0xfffe
	v_cndmask_b32_e64 v21, v8, v5, s14
	v_cndmask_b32_e64 v16, v54, v53, s14
	s_delay_alu instid0(VALU_DEP_2) | instskip(NEXT) | instid1(VALU_DEP_2)
	v_add_nc_u32_e32 v17, 1, v21
	v_add_nc_u32_e32 v16, -1, v16
	v_lshl_add_u32 v24, v21, 3, v10
	s_delay_alu instid0(VALU_DEP_3) | instskip(NEXT) | instid1(VALU_DEP_3)
	v_cndmask_b32_e64 v5, v5, v17, s14
	v_min_u32_e32 v16, v17, v16
	v_cndmask_b32_e64 v8, v17, v8, s14
	s_delay_alu instid0(VALU_DEP_3) | instskip(NEXT) | instid1(VALU_DEP_3)
	v_cmp_lt_u32_e64 s15, v5, v53
	v_lshl_add_u32 v16, v16, 1, v12
	s_delay_alu instid0(VALU_DEP_3) | instskip(SKIP_4) | instid1(VALU_DEP_2)
	v_cmp_ge_u32_e64 s17, v8, v54
	ds_load_u16 v16, v16
	s_wait_dscnt 0x0
	v_cndmask_b32_e64 v68, v16, v66, s14
	v_cndmask_b32_e64 v69, v67, v16, s14
	v_and_b32_e32 v16, v68, v50
	s_delay_alu instid0(VALU_DEP_2) | instskip(NEXT) | instid1(VALU_DEP_1)
	v_and_b32_e32 v18, v69, v50
	v_cmp_le_i16_e64 s16, v16, v18
	s_and_b32 s15, s15, s16
	s_wait_alu 0xfffe
	s_or_b32 s15, s17, s15
	s_wait_alu 0xfffe
	v_cndmask_b32_e64 v22, v8, v5, s15
	v_cndmask_b32_e64 v16, v54, v53, s15
	;; [unrolled: 1-line block ×3, first 2 shown]
	s_delay_alu instid0(VALU_DEP_3) | instskip(NEXT) | instid1(VALU_DEP_3)
	v_add_nc_u32_e32 v17, 1, v22
	v_add_nc_u32_e32 v16, -1, v16
	v_lshl_add_u32 v48, v22, 3, v10
	s_delay_alu instid0(VALU_DEP_3) | instskip(NEXT) | instid1(VALU_DEP_3)
	v_cndmask_b32_e64 v23, v5, v17, s15
	v_min_u32_e32 v16, v17, v16
	v_cndmask_b32_e64 v8, v17, v8, s15
	v_lshl_add_u32 v17, v15, 3, v10
	s_delay_alu instid0(VALU_DEP_4) | instskip(NEXT) | instid1(VALU_DEP_4)
	v_cmp_lt_u32_e64 s16, v23, v53
	v_lshl_add_u32 v16, v16, 1, v12
	s_delay_alu instid0(VALU_DEP_4) | instskip(SKIP_4) | instid1(VALU_DEP_2)
	v_cmp_ge_u32_e64 s18, v8, v54
	ds_load_u16 v16, v16
	s_wait_dscnt 0x0
	v_cndmask_b32_e64 v70, v16, v68, s15
	v_cndmask_b32_e64 v71, v69, v16, s15
	v_and_b32_e32 v5, v70, v50
	s_delay_alu instid0(VALU_DEP_2) | instskip(NEXT) | instid1(VALU_DEP_1)
	v_and_b32_e32 v16, v71, v50
	v_cmp_le_i16_e64 s17, v5, v16
	ds_load_b64 v[4:5], v4 offset:4096
	ds_load_b64 v[15:16], v9 offset:4096
	v_lshl_add_u32 v9, v19, 3, v10
	ds_load_b64 v[17:18], v17 offset:4096
	s_and_b32 s16, s16, s17
	s_wait_alu 0xfffe
	s_or_b32 s16, s18, s16
	s_wait_alu 0xfffe
	v_cndmask_b32_e64 v8, v8, v23, s16
	v_lshl_add_u32 v23, v20, 3, v10
	s_delay_alu instid0(VALU_DEP_2)
	v_lshl_add_u32 v53, v8, 3, v10
	ds_load_b64 v[19:20], v9 offset:4096
	ds_load_b64 v[21:22], v23 offset:4096
	;; [unrolled: 1-line block ×5, first 2 shown]
	v_cndmask_b32_e64 v48, v38, v39, s10
	v_cndmask_b32_e64 v39, v66, v67, s14
	v_cndmask_b32_e64 v38, v70, v71, s16
.LBB926_114:
	s_wait_alu 0xfffe
	s_or_b32 exec_lo, exec_lo, s20
	v_and_b32_e32 v54, 0x80, v35
	v_min_u32_e32 v36, v27, v36
	; wave barrier
	s_wait_dscnt 0x4
	ds_store_2addr_b64 v30, v[17:18], v[19:20] offset1:1
	s_wait_dscnt 0x3
	ds_store_2addr_b64 v31, v[21:22], v[25:26] offset1:1
	v_or_b32_e32 v35, 64, v54
	v_lshl_add_u32 v30, v54, 1, v12
	v_perm_b32 v65, v38, v52, 0x5040100
	v_perm_b32 v64, v39, v49, 0x5040100
	;; [unrolled: 1-line block ×3, first 2 shown]
	v_min_u32_e32 v53, v27, v35
	s_mov_b32 s10, exec_lo
	s_delay_alu instid0(VALU_DEP_1) | instskip(NEXT) | instid1(VALU_DEP_1)
	v_add_nc_u32_e32 v35, 64, v53
	v_min_u32_e32 v35, v27, v35
	v_sub_nc_u32_e32 v27, v53, v54
	s_delay_alu instid0(VALU_DEP_2) | instskip(NEXT) | instid1(VALU_DEP_2)
	v_sub_nc_u32_e32 v66, v35, v53
	v_min_u32_e32 v55, v36, v27
	s_delay_alu instid0(VALU_DEP_2)
	v_sub_nc_u32_e64 v27, v36, v66 clamp
	v_perm_b32 v66, v48, v37, 0x5040100
	ds_store_2addr_b64 v29, v[4:5], v[15:16] offset1:1
	ds_store_2addr_b64 v11, v[66:67], v[64:65] offset1:1
	s_wait_dscnt 0x4
	ds_store_2addr_b64 v28, v[8:9], v[23:24] offset1:1
	; wave barrier
	v_cmpx_lt_u32_e64 v27, v55
	s_cbranch_execz .LBB926_118
; %bb.115:
	v_lshlrev_b32_e32 v11, 1, v53
	v_lshlrev_b32_e32 v28, 1, v36
	s_mov_b32 s11, 0
	s_delay_alu instid0(VALU_DEP_1)
	v_add3_u32 v11, v12, v11, v28
.LBB926_116:                            ; =>This Inner Loop Header: Depth=1
	v_add_nc_u32_e32 v28, v55, v27
	s_delay_alu instid0(VALU_DEP_1) | instskip(SKIP_1) | instid1(VALU_DEP_2)
	v_lshrrev_b32_e32 v29, 1, v28
	v_and_b32_e32 v28, -2, v28
	v_not_b32_e32 v31, v29
	s_delay_alu instid0(VALU_DEP_2) | instskip(SKIP_1) | instid1(VALU_DEP_3)
	v_add_nc_u32_e32 v28, v30, v28
	v_add_nc_u32_e32 v64, 1, v29
	v_lshl_add_u32 v31, v31, 1, v11
	ds_load_u16 v28, v28
	ds_load_u16 v31, v31
	s_wait_dscnt 0x1
	v_and_b32_e32 v28, v28, v50
	s_wait_dscnt 0x0
	v_and_b32_e32 v31, v31, v50
	s_delay_alu instid0(VALU_DEP_1) | instskip(SKIP_1) | instid1(VALU_DEP_1)
	v_cmp_gt_i16_e64 s7, v31, v28
	s_wait_alu 0xf1ff
	v_cndmask_b32_e64 v55, v55, v29, s7
	v_cndmask_b32_e64 v27, v64, v27, s7
	s_delay_alu instid0(VALU_DEP_1)
	v_cmp_ge_u32_e64 s7, v27, v55
	s_wait_alu 0xfffe
	s_or_b32 s11, s7, s11
	s_wait_alu 0xfffe
	s_and_not1_b32 exec_lo, exec_lo, s11
	s_cbranch_execnz .LBB926_116
; %bb.117:
	s_or_b32 exec_lo, exec_lo, s11
.LBB926_118:
	s_wait_alu 0xfffe
	s_or_b32 exec_lo, exec_lo, s10
	v_add_nc_u32_e32 v11, v53, v36
	v_add_nc_u32_e32 v29, v27, v54
	s_delay_alu instid0(VALU_DEP_2) | instskip(NEXT) | instid1(VALU_DEP_2)
	v_sub_nc_u32_e32 v28, v11, v27
	v_cmp_le_u32_e64 s7, v29, v53
	s_delay_alu instid0(VALU_DEP_2)
	v_cmp_le_u32_e64 s10, v28, v35
	s_or_b32 s7, s7, s10
	s_wait_alu 0xfffe
	s_and_saveexec_b32 s20, s7
	s_cbranch_execz .LBB926_124
; %bb.119:
	v_cmp_lt_u32_e64 s7, v29, v53
                                        ; implicit-def: $vgpr11
	s_and_saveexec_b32 s10, s7
; %bb.120:
	v_lshl_add_u32 v4, v27, 1, v30
	ds_load_u16 v11, v4
; %bb.121:
	s_wait_alu 0xfffe
	s_or_b32 exec_lo, exec_lo, s10
	v_cmp_ge_u32_e64 s10, v28, v35
	s_mov_b32 s12, exec_lo
                                        ; implicit-def: $vgpr27
	v_cmpx_lt_u32_e64 v28, v35
; %bb.122:
	v_lshl_add_u32 v4, v28, 1, v12
	ds_load_u16 v27, v4
; %bb.123:
	s_wait_alu 0xfffe
	s_or_b32 exec_lo, exec_lo, s12
	s_wait_dscnt 0x0
	v_and_b32_e32 v4, v27, v50
	v_and_b32_e32 v5, v11, v50
	s_delay_alu instid0(VALU_DEP_1)
	v_cmp_le_i16_e64 s11, v4, v5
	s_and_b32 s7, s7, s11
	s_wait_alu 0xfffe
	s_or_b32 s7, s10, s7
	s_wait_alu 0xfffe
	v_cndmask_b32_e64 v4, v28, v29, s7
	v_cndmask_b32_e64 v5, v35, v53, s7
	;; [unrolled: 1-line block ×3, first 2 shown]
	s_delay_alu instid0(VALU_DEP_3) | instskip(NEXT) | instid1(VALU_DEP_3)
	v_add_nc_u32_e32 v8, 1, v4
	v_add_nc_u32_e32 v5, -1, v5
	v_lshl_add_u32 v4, v4, 3, v10
	s_delay_alu instid0(VALU_DEP_2) | instskip(NEXT) | instid1(VALU_DEP_1)
	v_min_u32_e32 v5, v8, v5
	v_lshl_add_u32 v5, v5, 1, v12
	ds_load_u16 v5, v5
	s_wait_dscnt 0x0
	v_cndmask_b32_e64 v30, v5, v27, s7
	v_cndmask_b32_e64 v31, v11, v5, s7
	;; [unrolled: 1-line block ×4, first 2 shown]
	s_delay_alu instid0(VALU_DEP_4) | instskip(NEXT) | instid1(VALU_DEP_4)
	v_and_b32_e32 v9, v30, v50
	v_and_b32_e32 v15, v31, v50
	s_delay_alu instid0(VALU_DEP_4) | instskip(NEXT) | instid1(VALU_DEP_4)
	v_cmp_lt_u32_e64 s10, v5, v53
	v_cmp_ge_u32_e64 s12, v8, v35
	s_delay_alu instid0(VALU_DEP_3)
	v_cmp_le_i16_e64 s11, v9, v15
	s_and_b32 s10, s10, s11
	s_wait_alu 0xfffe
	s_or_b32 s10, s12, s10
	s_wait_alu 0xfffe
	v_cndmask_b32_e64 v9, v8, v5, s10
	v_cndmask_b32_e64 v15, v35, v53, s10
	;; [unrolled: 1-line block ×3, first 2 shown]
	s_delay_alu instid0(VALU_DEP_3) | instskip(NEXT) | instid1(VALU_DEP_3)
	v_add_nc_u32_e32 v16, 1, v9
	v_add_nc_u32_e32 v15, -1, v15
	v_lshl_add_u32 v9, v9, 3, v10
	s_delay_alu instid0(VALU_DEP_3) | instskip(NEXT) | instid1(VALU_DEP_3)
	v_cndmask_b32_e64 v5, v5, v16, s10
	v_min_u32_e32 v15, v16, v15
	v_cndmask_b32_e64 v8, v16, v8, s10
	s_delay_alu instid0(VALU_DEP_3) | instskip(NEXT) | instid1(VALU_DEP_3)
	v_cmp_lt_u32_e64 s11, v5, v53
	v_lshl_add_u32 v15, v15, 1, v12
	s_delay_alu instid0(VALU_DEP_3) | instskip(SKIP_4) | instid1(VALU_DEP_2)
	v_cmp_ge_u32_e64 s13, v8, v35
	ds_load_u16 v15, v15
	s_wait_dscnt 0x0
	v_cndmask_b32_e64 v28, v15, v30, s10
	v_cndmask_b32_e64 v29, v31, v15, s10
	v_and_b32_e32 v15, v28, v50
	s_delay_alu instid0(VALU_DEP_2) | instskip(NEXT) | instid1(VALU_DEP_1)
	v_and_b32_e32 v17, v29, v50
	v_cmp_le_i16_e64 s12, v15, v17
	s_and_b32 s11, s11, s12
	s_wait_alu 0xfffe
	s_or_b32 s11, s13, s11
	s_wait_alu 0xfffe
	v_cndmask_b32_e64 v15, v8, v5, s11
	v_cndmask_b32_e64 v16, v35, v53, s11
	s_delay_alu instid0(VALU_DEP_2) | instskip(NEXT) | instid1(VALU_DEP_2)
	v_add_nc_u32_e32 v17, 1, v15
	v_add_nc_u32_e32 v16, -1, v16
	s_delay_alu instid0(VALU_DEP_2) | instskip(NEXT) | instid1(VALU_DEP_2)
	v_cndmask_b32_e64 v5, v5, v17, s11
	v_min_u32_e32 v16, v17, v16
	v_cndmask_b32_e64 v8, v17, v8, s11
	s_delay_alu instid0(VALU_DEP_3) | instskip(NEXT) | instid1(VALU_DEP_3)
	v_cmp_lt_u32_e64 s12, v5, v53
	v_lshl_add_u32 v16, v16, 1, v12
	s_delay_alu instid0(VALU_DEP_3) | instskip(SKIP_4) | instid1(VALU_DEP_2)
	v_cmp_ge_u32_e64 s14, v8, v35
	ds_load_u16 v16, v16
	s_wait_dscnt 0x0
	v_cndmask_b32_e64 v36, v16, v28, s11
	v_cndmask_b32_e64 v38, v29, v16, s11
	v_and_b32_e32 v16, v36, v50
	s_delay_alu instid0(VALU_DEP_2) | instskip(NEXT) | instid1(VALU_DEP_1)
	v_and_b32_e32 v18, v38, v50
	v_cmp_le_i16_e64 s13, v16, v18
	s_and_b32 s12, s12, s13
	s_wait_alu 0xfffe
	s_or_b32 s12, s14, s12
	s_wait_alu 0xfffe
	v_cndmask_b32_e64 v19, v8, v5, s12
	v_cndmask_b32_e64 v16, v35, v53, s12
	;; [unrolled: 1-line block ×3, first 2 shown]
	s_delay_alu instid0(VALU_DEP_3) | instskip(NEXT) | instid1(VALU_DEP_3)
	v_add_nc_u32_e32 v17, 1, v19
	v_add_nc_u32_e32 v16, -1, v16
	s_delay_alu instid0(VALU_DEP_2) | instskip(NEXT) | instid1(VALU_DEP_2)
	v_cndmask_b32_e64 v5, v5, v17, s12
	v_min_u32_e32 v16, v17, v16
	v_cndmask_b32_e64 v8, v17, v8, s12
	s_delay_alu instid0(VALU_DEP_3) | instskip(NEXT) | instid1(VALU_DEP_3)
	v_cmp_lt_u32_e64 s13, v5, v53
	v_lshl_add_u32 v16, v16, 1, v12
	s_delay_alu instid0(VALU_DEP_3) | instskip(SKIP_4) | instid1(VALU_DEP_2)
	v_cmp_ge_u32_e64 s15, v8, v35
	ds_load_u16 v16, v16
	s_wait_dscnt 0x0
	v_cndmask_b32_e64 v39, v16, v36, s12
	v_cndmask_b32_e64 v49, v38, v16, s12
	v_and_b32_e32 v16, v39, v50
	s_delay_alu instid0(VALU_DEP_2) | instskip(NEXT) | instid1(VALU_DEP_1)
	v_and_b32_e32 v18, v49, v50
	v_cmp_le_i16_e64 s14, v16, v18
	s_and_b32 s13, s13, s14
	s_wait_alu 0xfffe
	s_or_b32 s13, s15, s13
	s_wait_alu 0xfffe
	v_cndmask_b32_e64 v20, v8, v5, s13
	v_cndmask_b32_e64 v16, v35, v53, s13
	s_delay_alu instid0(VALU_DEP_2) | instskip(NEXT) | instid1(VALU_DEP_2)
	v_add_nc_u32_e32 v17, 1, v20
	v_add_nc_u32_e32 v16, -1, v16
	s_delay_alu instid0(VALU_DEP_2) | instskip(NEXT) | instid1(VALU_DEP_2)
	v_cndmask_b32_e64 v5, v5, v17, s13
	v_min_u32_e32 v16, v17, v16
	v_cndmask_b32_e64 v8, v17, v8, s13
	s_delay_alu instid0(VALU_DEP_3) | instskip(NEXT) | instid1(VALU_DEP_3)
	v_cmp_lt_u32_e64 s14, v5, v53
	v_lshl_add_u32 v16, v16, 1, v12
	s_delay_alu instid0(VALU_DEP_3)
	v_cmp_ge_u32_e64 s16, v8, v35
	ds_load_u16 v16, v16
	s_wait_dscnt 0x0
	v_cndmask_b32_e64 v52, v16, v39, s13
	v_cndmask_b32_e64 v54, v49, v16, s13
	;; [unrolled: 1-line block ×3, first 2 shown]
	s_delay_alu instid0(VALU_DEP_3) | instskip(NEXT) | instid1(VALU_DEP_3)
	v_and_b32_e32 v16, v52, v50
	v_and_b32_e32 v18, v54, v50
	s_delay_alu instid0(VALU_DEP_1)
	v_cmp_le_i16_e64 s15, v16, v18
	s_and_b32 s14, s14, s15
	s_wait_alu 0xfffe
	s_or_b32 s14, s16, s14
	s_wait_alu 0xfffe
	v_cndmask_b32_e64 v21, v8, v5, s14
	v_cndmask_b32_e64 v16, v35, v53, s14
	v_cndmask_b32_e64 v39, v52, v54, s14
	s_delay_alu instid0(VALU_DEP_3) | instskip(NEXT) | instid1(VALU_DEP_3)
	v_add_nc_u32_e32 v17, 1, v21
	v_add_nc_u32_e32 v16, -1, v16
	v_lshl_add_u32 v24, v21, 3, v10
	s_delay_alu instid0(VALU_DEP_3) | instskip(NEXT) | instid1(VALU_DEP_3)
	v_cndmask_b32_e64 v5, v5, v17, s14
	v_min_u32_e32 v16, v17, v16
	v_cndmask_b32_e64 v8, v17, v8, s14
	s_delay_alu instid0(VALU_DEP_3) | instskip(NEXT) | instid1(VALU_DEP_3)
	v_cmp_lt_u32_e64 s15, v5, v53
	v_lshl_add_u32 v16, v16, 1, v12
	s_delay_alu instid0(VALU_DEP_3) | instskip(SKIP_4) | instid1(VALU_DEP_2)
	v_cmp_ge_u32_e64 s17, v8, v35
	ds_load_u16 v16, v16
	s_wait_dscnt 0x0
	v_cndmask_b32_e64 v55, v16, v52, s14
	v_cndmask_b32_e64 v64, v54, v16, s14
	v_and_b32_e32 v16, v55, v50
	s_delay_alu instid0(VALU_DEP_2) | instskip(NEXT) | instid1(VALU_DEP_1)
	v_and_b32_e32 v18, v64, v50
	v_cmp_le_i16_e64 s16, v16, v18
	s_and_b32 s15, s15, s16
	s_wait_alu 0xfffe
	s_or_b32 s15, s17, s15
	s_wait_alu 0xfffe
	v_cndmask_b32_e64 v22, v8, v5, s15
	v_cndmask_b32_e64 v16, v35, v53, s15
	;; [unrolled: 1-line block ×3, first 2 shown]
	s_delay_alu instid0(VALU_DEP_3) | instskip(NEXT) | instid1(VALU_DEP_3)
	v_add_nc_u32_e32 v17, 1, v22
	v_add_nc_u32_e32 v16, -1, v16
	v_lshl_add_u32 v32, v22, 3, v10
	s_delay_alu instid0(VALU_DEP_3) | instskip(NEXT) | instid1(VALU_DEP_3)
	v_cndmask_b32_e64 v23, v5, v17, s15
	v_min_u32_e32 v16, v17, v16
	v_cndmask_b32_e64 v8, v17, v8, s15
	v_lshl_add_u32 v17, v15, 3, v10
	s_delay_alu instid0(VALU_DEP_4) | instskip(NEXT) | instid1(VALU_DEP_4)
	v_cmp_lt_u32_e64 s16, v23, v53
	v_lshl_add_u32 v12, v16, 1, v12
	s_delay_alu instid0(VALU_DEP_4) | instskip(SKIP_4) | instid1(VALU_DEP_2)
	v_cmp_ge_u32_e64 s18, v8, v35
	ds_load_u16 v12, v12
	s_wait_dscnt 0x0
	v_cndmask_b32_e64 v65, v12, v55, s15
	v_cndmask_b32_e64 v12, v64, v12, s15
	v_and_b32_e32 v5, v65, v50
	s_delay_alu instid0(VALU_DEP_2) | instskip(NEXT) | instid1(VALU_DEP_1)
	v_and_b32_e32 v16, v12, v50
	v_cmp_le_i16_e64 s17, v5, v16
	ds_load_b64 v[4:5], v4 offset:4096
	ds_load_b64 v[15:16], v9 offset:4096
	v_lshl_add_u32 v9, v19, 3, v10
	ds_load_b64 v[17:18], v17 offset:4096
	s_and_b32 s16, s16, s17
	s_wait_alu 0xfffe
	s_or_b32 s16, s18, s16
	s_wait_alu 0xfffe
	v_cndmask_b32_e64 v8, v8, v23, s16
	v_lshl_add_u32 v23, v20, 3, v10
	v_cndmask_b32_e64 v38, v65, v12, s16
	s_delay_alu instid0(VALU_DEP_3)
	v_lshl_add_u32 v10, v8, 3, v10
	ds_load_b64 v[19:20], v9 offset:4096
	ds_load_b64 v[21:22], v23 offset:4096
	;; [unrolled: 1-line block ×5, first 2 shown]
	v_cndmask_b32_e64 v32, v28, v29, s11
.LBB926_124:
	s_wait_alu 0xfffe
	s_or_b32 exec_lo, exec_lo, s20
	; wave barrier
	s_wait_storecnt_dscnt 0x0
	s_barrier_signal -1
	s_barrier_wait -1
                                        ; implicit-def: $vgpr35
                                        ; implicit-def: $vgpr36
                                        ; implicit-def: $vgpr27
                                        ; implicit-def: $vgpr28
                                        ; implicit-def: $vgpr12
.LBB926_125:
	s_wait_alu 0xfffe
	s_and_not1_saveexec_b32 s17, s19
	s_cbranch_execz .LBB926_225
; %bb.126:
	s_load_b64 s[10:11], s[8:9], 0x0
	s_and_b32 s7, ttmp7, 0xffff
	s_mov_b32 s13, 0
	s_wait_kmcnt 0x0
	s_wait_alu 0xfffe
	s_cmp_lt_u32 s7, s11
	s_cselect_b32 s12, 14, 20
	s_cmp_lt_u32 ttmp9, s10
	s_wait_alu 0xfffe
	s_add_nc_u64 s[14:15], s[8:9], s[12:13]
	s_cselect_b32 s12, 12, 18
	s_load_u16 s7, s[14:15], 0x0
	s_add_nc_u64 s[8:9], s[8:9], s[12:13]
	s_load_u16 s8, s[8:9], 0x0
	s_wait_kmcnt 0x0
	v_mad_u32_u24 v10, v28, s7, v27
	s_delay_alu instid0(VALU_DEP_1) | instskip(SKIP_1) | instid1(VALU_DEP_1)
	v_mul_lo_u32 v10, v10, s8
	s_mov_b32 s8, exec_lo
	v_add_lshl_u32 v12, v10, v12, 3
	s_delay_alu instid0(VALU_DEP_1)
	v_cmpx_gt_u32_e32 0x800, v12
	s_cbranch_execz .LBB926_184
; %bb.127:
	s_wait_loadcnt_dscnt 0x0
	v_mov_b32_e32 v28, v16
	v_dual_mov_b32 v50, v48 :: v_dual_mov_b32 v27, v15
	s_mov_b32 s9, exec_lo
	v_cmpx_gt_i16_e64 v48, v37
; %bb.128:
	v_dual_mov_b32 v50, v37 :: v_dual_mov_b32 v37, v48
	v_dual_mov_b32 v28, v5 :: v_dual_mov_b32 v27, v4
	;; [unrolled: 1-line block ×3, first 2 shown]
; %bb.129:
	s_wait_alu 0xfffe
	s_or_b32 exec_lo, exec_lo, s9
	v_dual_mov_b32 v31, v51 :: v_dual_mov_b32 v30, v20
	v_mov_b32_e32 v29, v19
	s_mov_b32 s9, exec_lo
	v_cmpx_gt_i16_e64 v51, v32
; %bb.130:
	v_dual_mov_b32 v31, v32 :: v_dual_mov_b32 v32, v51
	v_dual_mov_b32 v30, v18 :: v_dual_mov_b32 v29, v17
	;; [unrolled: 1-line block ×3, first 2 shown]
; %bb.131:
	s_wait_alu 0xfffe
	s_or_b32 exec_lo, exec_lo, s9
	v_dual_mov_b32 v15, v25 :: v_dual_mov_b32 v16, v26
	v_mov_b32_e32 v53, v49
	s_mov_b32 s9, exec_lo
	v_cmpx_gt_i16_e64 v39, v49
; %bb.132:
	v_dual_mov_b32 v15, v21 :: v_dual_mov_b32 v16, v22
	v_dual_mov_b32 v21, v25 :: v_dual_mov_b32 v22, v26
	v_mov_b32_e32 v53, v39
	v_mov_b32_e32 v39, v49
; %bb.133:
	s_wait_alu 0xfffe
	s_or_b32 exec_lo, exec_lo, s9
	v_dual_mov_b32 v10, v23 :: v_dual_mov_b32 v11, v24
	v_mov_b32_e32 v49, v52
	s_mov_b32 s9, exec_lo
	v_cmpx_gt_i16_e64 v38, v52
; %bb.134:
	v_dual_mov_b32 v11, v9 :: v_dual_mov_b32 v10, v8
	v_dual_mov_b32 v8, v23 :: v_dual_mov_b32 v9, v24
	;; [unrolled: 1-line block ×3, first 2 shown]
; %bb.135:
	s_wait_alu 0xfffe
	s_or_b32 exec_lo, exec_lo, s9
	v_mov_b32_e32 v24, v18
	v_cmp_gt_i16_e64 s7, v32, v50
	v_dual_mov_b32 v48, v32 :: v_dual_mov_b32 v23, v17
	s_and_saveexec_b32 s9, s7
	s_wait_alu 0xfffe
	s_xor_b32 s7, exec_lo, s9
; %bb.136:
	v_dual_mov_b32 v48, v50 :: v_dual_mov_b32 v23, v27
	v_mov_b32_e32 v24, v28
	v_mov_b32_e32 v28, v18
	v_dual_mov_b32 v50, v32 :: v_dual_mov_b32 v27, v17
; %bb.137:
	s_wait_alu 0xfffe
	s_or_b32 exec_lo, exec_lo, s7
	v_dual_mov_b32 v19, v31 :: v_dual_mov_b32 v26, v22
	v_mov_b32_e32 v25, v21
	s_mov_b32 s9, exec_lo
	v_cmpx_gt_i16_e64 v53, v31
; %bb.138:
	v_mov_b32_e32 v25, v29
	v_dual_mov_b32 v19, v53 :: v_dual_mov_b32 v26, v30
	v_dual_mov_b32 v30, v22 :: v_dual_mov_b32 v29, v21
	v_mov_b32_e32 v53, v31
; %bb.139:
	s_wait_alu 0xfffe
	s_or_b32 exec_lo, exec_lo, s9
	v_dual_mov_b32 v18, v9 :: v_dual_mov_b32 v17, v8
	v_mov_b32_e32 v51, v39
	s_mov_b32 s9, exec_lo
	v_cmpx_gt_i16_e64 v49, v39
; %bb.140:
	v_dual_mov_b32 v18, v16 :: v_dual_mov_b32 v17, v15
	v_dual_mov_b32 v16, v9 :: v_dual_mov_b32 v15, v8
	v_mov_b32_e32 v51, v49
	v_mov_b32_e32 v49, v39
; %bb.141:
	s_wait_alu 0xfffe
	s_or_b32 exec_lo, exec_lo, s9
	v_dual_mov_b32 v39, v50 :: v_dual_mov_b32 v32, v28
	v_mov_b32_e32 v31, v27
	s_mov_b32 s9, exec_lo
	v_cmpx_gt_i16_e64 v50, v37
; %bb.142:
	v_dual_mov_b32 v39, v37 :: v_dual_mov_b32 v32, v5
	v_mov_b32_e32 v37, v50
	v_dual_mov_b32 v31, v4 :: v_dual_mov_b32 v4, v27
	v_mov_b32_e32 v5, v28
; %bb.143:
	s_wait_alu 0xfffe
	s_or_b32 exec_lo, exec_lo, s9
	v_dual_mov_b32 v50, v19 :: v_dual_mov_b32 v27, v29
	v_mov_b32_e32 v28, v30
	s_mov_b32 s9, exec_lo
	v_cmpx_gt_i16_e64 v19, v48
; %bb.144:
	v_mov_b32_e32 v28, v24
	v_dual_mov_b32 v50, v48 :: v_dual_mov_b32 v27, v23
	v_dual_mov_b32 v48, v19 :: v_dual_mov_b32 v23, v29
	v_mov_b32_e32 v24, v30
; %bb.145:
	s_wait_alu 0xfffe
	s_or_b32 exec_lo, exec_lo, s9
	v_dual_mov_b32 v20, v16 :: v_dual_mov_b32 v19, v15
	v_mov_b32_e32 v54, v53
	s_mov_b32 s9, exec_lo
	v_cmpx_gt_i16_e64 v51, v53
; %bb.146:
	v_dual_mov_b32 v19, v25 :: v_dual_mov_b32 v20, v26
	v_dual_mov_b32 v26, v16 :: v_dual_mov_b32 v25, v15
	;; [unrolled: 1-line block ×3, first 2 shown]
; %bb.147:
	s_wait_alu 0xfffe
	s_or_b32 exec_lo, exec_lo, s9
	v_dual_mov_b32 v8, v10 :: v_dual_mov_b32 v9, v11
	v_mov_b32_e32 v52, v49
	s_mov_b32 s9, exec_lo
	v_cmpx_gt_i16_e64 v38, v49
; %bb.148:
	v_dual_mov_b32 v8, v17 :: v_dual_mov_b32 v9, v18
	v_dual_mov_b32 v18, v11 :: v_dual_mov_b32 v17, v10
	v_mov_b32_e32 v52, v38
	v_mov_b32_e32 v38, v49
; %bb.149:
	s_wait_alu 0xfffe
	s_or_b32 exec_lo, exec_lo, s9
	v_dual_mov_b32 v49, v48 :: v_dual_mov_b32 v30, v24
	v_mov_b32_e32 v29, v23
	s_mov_b32 s9, exec_lo
	v_cmpx_gt_i16_e64 v48, v39
; %bb.150:
	v_mov_b32_e32 v29, v31
	v_dual_mov_b32 v49, v39 :: v_dual_mov_b32 v30, v32
	v_dual_mov_b32 v39, v48 :: v_dual_mov_b32 v32, v24
	v_mov_b32_e32 v31, v23
; %bb.151:
	s_wait_alu 0xfffe
	s_or_b32 exec_lo, exec_lo, s9
	v_dual_mov_b32 v10, v50 :: v_dual_mov_b32 v21, v25
	v_mov_b32_e32 v22, v26
	s_mov_b32 s9, exec_lo
	v_cmpx_gt_i16_e64 v54, v50
; %bb.152:
	v_dual_mov_b32 v10, v54 :: v_dual_mov_b32 v21, v27
	v_mov_b32_e32 v22, v28
	v_dual_mov_b32 v28, v26 :: v_dual_mov_b32 v27, v25
	v_mov_b32_e32 v54, v50
; %bb.153:
	s_wait_alu 0xfffe
	s_or_b32 exec_lo, exec_lo, s9
	v_dual_mov_b32 v15, v17 :: v_dual_mov_b32 v16, v18
	v_mov_b32_e32 v48, v51
	s_mov_b32 s9, exec_lo
	v_cmpx_gt_i16_e64 v52, v51
; %bb.154:
	v_dual_mov_b32 v15, v19 :: v_dual_mov_b32 v16, v20
	v_dual_mov_b32 v20, v18 :: v_dual_mov_b32 v19, v17
	v_mov_b32_e32 v48, v52
	v_mov_b32_e32 v52, v51
; %bb.155:
	s_wait_alu 0xfffe
	s_or_b32 exec_lo, exec_lo, s9
	v_dual_mov_b32 v50, v39 :: v_dual_mov_b32 v23, v31
	v_mov_b32_e32 v24, v32
	s_mov_b32 s9, exec_lo
	v_cmpx_gt_i16_e64 v39, v37
; %bb.156:
	v_dual_mov_b32 v50, v37 :: v_dual_mov_b32 v37, v39
	v_dual_mov_b32 v24, v5 :: v_dual_mov_b32 v23, v4
	v_dual_mov_b32 v4, v31 :: v_dual_mov_b32 v5, v32
; %bb.157:
	s_wait_alu 0xfffe
	s_or_b32 exec_lo, exec_lo, s9
	v_dual_mov_b32 v39, v10 :: v_dual_mov_b32 v32, v28
	v_mov_b32_e32 v31, v27
	s_mov_b32 s9, exec_lo
	v_cmpx_gt_i16_e64 v10, v49
; %bb.158:
	v_dual_mov_b32 v39, v49 :: v_dual_mov_b32 v32, v30
	v_mov_b32_e32 v49, v10
	v_dual_mov_b32 v31, v29 :: v_dual_mov_b32 v30, v28
	v_mov_b32_e32 v29, v27
; %bb.159:
	s_wait_alu 0xfffe
	s_or_b32 exec_lo, exec_lo, s9
	v_dual_mov_b32 v17, v19 :: v_dual_mov_b32 v18, v20
	v_mov_b32_e32 v55, v54
	s_mov_b32 s9, exec_lo
	v_cmpx_gt_i16_e64 v48, v54
; %bb.160:
	v_dual_mov_b32 v17, v21 :: v_dual_mov_b32 v18, v22
	v_dual_mov_b32 v22, v20 :: v_dual_mov_b32 v21, v19
	v_dual_mov_b32 v55, v48 :: v_dual_mov_b32 v48, v54
; %bb.161:
	s_wait_alu 0xfffe
	s_or_b32 exec_lo, exec_lo, s9
	v_dual_mov_b32 v11, v9 :: v_dual_mov_b32 v10, v8
	v_mov_b32_e32 v53, v52
	s_mov_b32 s9, exec_lo
	v_cmpx_gt_i16_e64 v38, v52
; %bb.162:
	v_dual_mov_b32 v10, v15 :: v_dual_mov_b32 v11, v16
	v_dual_mov_b32 v16, v9 :: v_dual_mov_b32 v15, v8
	;; [unrolled: 1-line block ×3, first 2 shown]
; %bb.163:
	s_wait_alu 0xfffe
	s_or_b32 exec_lo, exec_lo, s9
	v_mov_b32_e32 v27, v29
	v_dual_mov_b32 v51, v49 :: v_dual_mov_b32 v28, v30
	s_mov_b32 s9, exec_lo
	v_cmpx_gt_i16_e64 v49, v50
; %bb.164:
	v_dual_mov_b32 v51, v50 :: v_dual_mov_b32 v50, v49
	v_dual_mov_b32 v28, v24 :: v_dual_mov_b32 v27, v23
	;; [unrolled: 1-line block ×3, first 2 shown]
; %bb.165:
	s_wait_alu 0xfffe
	s_or_b32 exec_lo, exec_lo, s9
	v_dual_mov_b32 v29, v39 :: v_dual_mov_b32 v26, v22
	v_mov_b32_e32 v25, v21
	s_mov_b32 s9, exec_lo
	v_cmpx_gt_i16_e64 v55, v39
; %bb.166:
	v_mov_b32_e32 v25, v31
	v_dual_mov_b32 v29, v55 :: v_dual_mov_b32 v26, v32
	v_dual_mov_b32 v32, v22 :: v_dual_mov_b32 v31, v21
	v_mov_b32_e32 v55, v39
; %bb.167:
	s_wait_alu 0xfffe
	s_or_b32 exec_lo, exec_lo, s9
	v_dual_mov_b32 v8, v15 :: v_dual_mov_b32 v9, v16
	v_mov_b32_e32 v39, v48
	s_mov_b32 s9, exec_lo
	v_cmpx_gt_i16_e64 v53, v48
; %bb.168:
	v_dual_mov_b32 v8, v17 :: v_dual_mov_b32 v9, v18
	v_dual_mov_b32 v18, v16 :: v_dual_mov_b32 v17, v15
	v_mov_b32_e32 v39, v53
	v_mov_b32_e32 v53, v48
; %bb.169:
	s_wait_alu 0xfffe
	s_or_b32 exec_lo, exec_lo, s9
	v_dual_mov_b32 v48, v50 :: v_dual_mov_b32 v15, v23
	v_mov_b32_e32 v16, v24
	s_mov_b32 s9, exec_lo
	v_cmpx_gt_i16_e64 v50, v37
; %bb.170:
	v_dual_mov_b32 v48, v37 :: v_dual_mov_b32 v37, v50
	v_dual_mov_b32 v16, v5 :: v_dual_mov_b32 v15, v4
	;; [unrolled: 1-line block ×3, first 2 shown]
; %bb.171:
	s_wait_alu 0xfffe
	s_or_b32 exec_lo, exec_lo, s9
	v_dual_mov_b32 v50, v29 :: v_dual_mov_b32 v19, v31
	v_mov_b32_e32 v20, v32
	s_mov_b32 s9, exec_lo
	v_cmpx_gt_i16_e64 v29, v51
; %bb.172:
	v_dual_mov_b32 v50, v51 :: v_dual_mov_b32 v51, v29
	v_dual_mov_b32 v19, v27 :: v_dual_mov_b32 v20, v28
	;; [unrolled: 1-line block ×3, first 2 shown]
; %bb.173:
	s_wait_alu 0xfffe
	s_or_b32 exec_lo, exec_lo, s9
	v_dual_mov_b32 v30, v18 :: v_dual_mov_b32 v29, v17
	v_mov_b32_e32 v49, v55
	s_mov_b32 s9, exec_lo
	v_cmpx_gt_i16_e64 v39, v55
; %bb.174:
	v_dual_mov_b32 v30, v26 :: v_dual_mov_b32 v29, v25
	v_dual_mov_b32 v26, v18 :: v_dual_mov_b32 v25, v17
	v_mov_b32_e32 v49, v39
	v_mov_b32_e32 v39, v55
; %bb.175:
	s_wait_alu 0xfffe
	s_or_b32 exec_lo, exec_lo, s9
	v_dual_mov_b32 v24, v11 :: v_dual_mov_b32 v23, v10
	v_mov_b32_e32 v31, v53
	s_mov_b32 s9, exec_lo
	v_cmpx_gt_i16_e64 v38, v53
; %bb.176:
	v_dual_mov_b32 v24, v9 :: v_dual_mov_b32 v23, v8
	v_dual_mov_b32 v8, v10 :: v_dual_mov_b32 v9, v11
	;; [unrolled: 1-line block ×3, first 2 shown]
; %bb.177:
	s_wait_alu 0xfffe
	s_or_b32 exec_lo, exec_lo, s9
	v_dual_mov_b32 v32, v51 :: v_dual_mov_b32 v17, v27
	v_mov_b32_e32 v18, v28
	s_mov_b32 s9, exec_lo
	v_cmpx_gt_i16_e64 v51, v48
; %bb.178:
	v_mov_b32_e32 v18, v16
	v_dual_mov_b32 v32, v48 :: v_dual_mov_b32 v17, v15
	v_dual_mov_b32 v48, v51 :: v_dual_mov_b32 v15, v27
	v_mov_b32_e32 v16, v28
; %bb.179:
	s_wait_alu 0xfffe
	s_or_b32 exec_lo, exec_lo, s9
	v_mov_b32_e32 v21, v25
	v_dual_mov_b32 v51, v50 :: v_dual_mov_b32 v22, v26
	s_mov_b32 s9, exec_lo
	v_cmpx_gt_i16_e64 v49, v50
; %bb.180:
	v_dual_mov_b32 v51, v49 :: v_dual_mov_b32 v22, v20
	v_mov_b32_e32 v21, v19
	v_dual_mov_b32 v19, v25 :: v_dual_mov_b32 v20, v26
	v_mov_b32_e32 v49, v50
; %bb.181:
	s_wait_alu 0xfffe
	s_or_b32 exec_lo, exec_lo, s9
	v_dual_mov_b32 v52, v31 :: v_dual_mov_b32 v25, v29
	v_mov_b32_e32 v26, v30
	s_mov_b32 s9, exec_lo
	v_cmpx_gt_i16_e64 v31, v39
; %bb.182:
	v_dual_mov_b32 v52, v39 :: v_dual_mov_b32 v39, v31
	v_dual_mov_b32 v26, v9 :: v_dual_mov_b32 v25, v8
	v_dual_mov_b32 v8, v29 :: v_dual_mov_b32 v9, v30
; %bb.183:
	s_wait_alu 0xfffe
	s_or_b32 exec_lo, exec_lo, s9
.LBB926_184:
	s_wait_alu 0xfffe
	s_or_b32 exec_lo, exec_lo, s8
	v_and_b32_e32 v10, 0xffffff00, v12
	v_or_b32_e32 v11, 8, v35
	v_and_b32_e32 v28, 8, v35
	v_and_b32_e32 v64, 0xf0, v35
	s_wait_loadcnt_dscnt 0x0
	v_perm_b32 v68, v38, v52, 0x5040100
	v_sub_nc_u32_e64 v27, 0x800, v10 clamp
	v_lshlrev_b32_e32 v12, 1, v10
	v_perm_b32 v67, v39, v49, 0x5040100
	v_perm_b32 v70, v51, v32, 0x5040100
	;; [unrolled: 1-line block ×3, first 2 shown]
	v_min_u32_e32 v50, v27, v11
	v_mad_co_u64_u32 v[10:11], null, v10, 6, v[12:13]
	v_min_u32_e32 v65, v27, v28
	v_lshl_or_b32 v54, v64, 1, v12
	s_delay_alu instid0(VALU_DEP_4) | instskip(SKIP_3) | instid1(VALU_DEP_3)
	v_add_nc_u32_e32 v11, 8, v50
	v_sub_nc_u32_e32 v28, v50, v64
	s_mov_b32 s8, exec_lo
	v_lshl_add_u32 v71, v35, 3, v10
	v_min_u32_e32 v53, v27, v11
	v_lshl_or_b32 v11, v35, 1, v12
	v_min_u32_e32 v66, v65, v28
	s_delay_alu instid0(VALU_DEP_4) | instskip(NEXT) | instid1(VALU_DEP_4)
	v_add_nc_u32_e32 v30, 0x1010, v71
	v_sub_nc_u32_e32 v29, v53, v50
	v_add_nc_u32_e32 v31, 0x1020, v71
	v_add_nc_u32_e32 v28, 0x1030, v71
	s_delay_alu instid0(VALU_DEP_3)
	v_sub_nc_u32_e64 v55, v65, v29 clamp
	v_add_nc_u32_e32 v29, 0x1000, v71
	ds_store_2addr_b64 v30, v[17:18], v[19:20] offset1:1
	ds_store_2addr_b64 v31, v[21:22], v[25:26] offset1:1
	;; [unrolled: 1-line block ×5, first 2 shown]
	; wave barrier
	v_cmpx_lt_u32_e64 v55, v66
	s_cbranch_execz .LBB926_188
; %bb.185:
	v_lshlrev_b32_e32 v67, 1, v50
	v_lshlrev_b32_e32 v68, 1, v65
	s_mov_b32 s9, 0
	s_delay_alu instid0(VALU_DEP_1)
	v_add3_u32 v67, v12, v67, v68
.LBB926_186:                            ; =>This Inner Loop Header: Depth=1
	v_add_nc_u32_e32 v68, v66, v55
	s_delay_alu instid0(VALU_DEP_1) | instskip(SKIP_1) | instid1(VALU_DEP_2)
	v_lshrrev_b32_e32 v69, 1, v68
	v_and_b32_e32 v68, -2, v68
	v_not_b32_e32 v70, v69
	s_delay_alu instid0(VALU_DEP_2) | instskip(SKIP_1) | instid1(VALU_DEP_3)
	v_add_nc_u32_e32 v68, v54, v68
	v_add_nc_u32_e32 v71, 1, v69
	v_lshl_add_u32 v70, v70, 1, v67
	ds_load_u16 v68, v68
	ds_load_u16 v70, v70
	s_wait_dscnt 0x0
	v_cmp_gt_i16_e64 s7, v70, v68
	s_wait_alu 0xf1ff
	s_delay_alu instid0(VALU_DEP_1) | instskip(SKIP_1) | instid1(VALU_DEP_1)
	v_cndmask_b32_e64 v66, v66, v69, s7
	v_cndmask_b32_e64 v55, v71, v55, s7
	v_cmp_ge_u32_e64 s7, v55, v66
	s_wait_alu 0xfffe
	s_or_b32 s9, s7, s9
	s_wait_alu 0xfffe
	s_and_not1_b32 exec_lo, exec_lo, s9
	s_cbranch_execnz .LBB926_186
; %bb.187:
	s_or_b32 exec_lo, exec_lo, s9
.LBB926_188:
	s_wait_alu 0xfffe
	s_or_b32 exec_lo, exec_lo, s8
	v_add_nc_u32_e32 v66, v50, v65
	v_add_nc_u32_e32 v65, v55, v64
	s_delay_alu instid0(VALU_DEP_2) | instskip(NEXT) | instid1(VALU_DEP_2)
	v_sub_nc_u32_e32 v64, v66, v55
	v_cmp_le_u32_e64 s7, v65, v50
	s_delay_alu instid0(VALU_DEP_2)
	v_cmp_le_u32_e64 s8, v64, v53
	s_or_b32 s7, s7, s8
	s_wait_alu 0xfffe
	s_and_saveexec_b32 s18, s7
	s_cbranch_execz .LBB926_194
; %bb.189:
	v_cmp_lt_u32_e64 s7, v65, v50
                                        ; implicit-def: $vgpr32
	s_and_saveexec_b32 s8, s7
; %bb.190:
	v_lshl_add_u32 v4, v55, 1, v54
	ds_load_u16 v32, v4
; %bb.191:
	s_wait_alu 0xfffe
	s_or_b32 exec_lo, exec_lo, s8
	v_cmp_ge_u32_e64 s8, v64, v53
	s_mov_b32 s10, exec_lo
                                        ; implicit-def: $vgpr37
	v_cmpx_lt_u32_e64 v64, v53
; %bb.192:
	v_lshl_add_u32 v4, v64, 1, v12
	ds_load_u16 v37, v4
; %bb.193:
	s_wait_alu 0xfffe
	s_or_b32 exec_lo, exec_lo, s10
	s_wait_dscnt 0x0
	v_cmp_le_i16_e64 s9, v37, v32
	s_and_b32 s7, s7, s9
	s_wait_alu 0xfffe
	s_or_b32 s7, s8, s7
	s_wait_alu 0xfffe
	v_cndmask_b32_e64 v4, v64, v65, s7
	v_cndmask_b32_e64 v5, v53, v50, s7
	s_delay_alu instid0(VALU_DEP_2) | instskip(NEXT) | instid1(VALU_DEP_2)
	v_add_nc_u32_e32 v8, 1, v4
	v_add_nc_u32_e32 v5, -1, v5
	v_lshl_add_u32 v4, v4, 3, v10
	s_delay_alu instid0(VALU_DEP_3) | instskip(NEXT) | instid1(VALU_DEP_3)
	v_cndmask_b32_e64 v9, v65, v8, s7
	v_min_u32_e32 v5, v8, v5
	s_delay_alu instid0(VALU_DEP_2) | instskip(NEXT) | instid1(VALU_DEP_2)
	v_cmp_lt_u32_e64 s8, v9, v50
	v_lshl_add_u32 v5, v5, 1, v12
	ds_load_u16 v5, v5
	s_wait_dscnt 0x0
	v_cndmask_b32_e64 v38, v5, v37, s7
	v_cndmask_b32_e64 v39, v32, v5, s7
	;; [unrolled: 1-line block ×4, first 2 shown]
	s_delay_alu instid0(VALU_DEP_3) | instskip(NEXT) | instid1(VALU_DEP_3)
	v_cmp_le_i16_e64 s9, v38, v39
	v_cmp_ge_u32_e64 s10, v5, v53
	s_and_b32 s8, s8, s9
	s_wait_alu 0xfffe
	s_or_b32 s8, s10, s8
	s_wait_alu 0xfffe
	v_cndmask_b32_e64 v8, v5, v9, s8
	v_cndmask_b32_e64 v15, v53, v50, s8
	s_delay_alu instid0(VALU_DEP_2) | instskip(NEXT) | instid1(VALU_DEP_2)
	v_add_nc_u32_e32 v16, 1, v8
	v_add_nc_u32_e32 v15, -1, v15
	v_lshl_add_u32 v8, v8, 3, v10
	s_delay_alu instid0(VALU_DEP_3) | instskip(NEXT) | instid1(VALU_DEP_3)
	v_cndmask_b32_e64 v9, v9, v16, s8
	v_min_u32_e32 v15, v16, v15
	v_cndmask_b32_e64 v5, v16, v5, s8
	s_delay_alu instid0(VALU_DEP_3) | instskip(NEXT) | instid1(VALU_DEP_3)
	v_cmp_lt_u32_e64 s9, v9, v50
	v_lshl_add_u32 v15, v15, 1, v12
	s_delay_alu instid0(VALU_DEP_3) | instskip(SKIP_4) | instid1(VALU_DEP_1)
	v_cmp_ge_u32_e64 s11, v5, v53
	ds_load_u16 v15, v15
	s_wait_dscnt 0x0
	v_cndmask_b32_e64 v49, v15, v38, s8
	v_cndmask_b32_e64 v51, v39, v15, s8
	v_cmp_le_i16_e64 s10, v49, v51
	s_and_b32 s9, s9, s10
	s_wait_alu 0xfffe
	s_or_b32 s9, s11, s9
	s_wait_alu 0xfffe
	v_cndmask_b32_e64 v15, v5, v9, s9
	v_cndmask_b32_e64 v16, v53, v50, s9
	v_cndmask_b32_e64 v32, v49, v51, s9
	s_delay_alu instid0(VALU_DEP_3) | instskip(NEXT) | instid1(VALU_DEP_3)
	v_add_nc_u32_e32 v17, 1, v15
	v_add_nc_u32_e32 v16, -1, v16
	s_delay_alu instid0(VALU_DEP_2) | instskip(NEXT) | instid1(VALU_DEP_2)
	v_cndmask_b32_e64 v9, v9, v17, s9
	v_min_u32_e32 v16, v17, v16
	v_cndmask_b32_e64 v5, v17, v5, s9
	s_delay_alu instid0(VALU_DEP_3) | instskip(NEXT) | instid1(VALU_DEP_3)
	v_cmp_lt_u32_e64 s10, v9, v50
	v_lshl_add_u32 v16, v16, 1, v12
	s_delay_alu instid0(VALU_DEP_3) | instskip(SKIP_4) | instid1(VALU_DEP_1)
	v_cmp_ge_u32_e64 s12, v5, v53
	ds_load_u16 v16, v16
	s_wait_dscnt 0x0
	v_cndmask_b32_e64 v52, v16, v49, s9
	v_cndmask_b32_e64 v54, v51, v16, s9
	v_cmp_le_i16_e64 s11, v52, v54
	s_and_b32 s10, s10, s11
	s_wait_alu 0xfffe
	s_or_b32 s10, s12, s10
	s_wait_alu 0xfffe
	v_cndmask_b32_e64 v19, v5, v9, s10
	v_cndmask_b32_e64 v16, v53, v50, s10
	v_cndmask_b32_e64 v51, v52, v54, s10
	s_delay_alu instid0(VALU_DEP_3) | instskip(NEXT) | instid1(VALU_DEP_3)
	v_add_nc_u32_e32 v17, 1, v19
	v_add_nc_u32_e32 v16, -1, v16
	s_delay_alu instid0(VALU_DEP_2) | instskip(NEXT) | instid1(VALU_DEP_2)
	;; [unrolled: 24-line block ×3, first 2 shown]
	v_cndmask_b32_e64 v9, v9, v17, s11
	v_min_u32_e32 v16, v17, v16
	v_cndmask_b32_e64 v5, v17, v5, s11
	s_delay_alu instid0(VALU_DEP_3) | instskip(NEXT) | instid1(VALU_DEP_3)
	v_cmp_lt_u32_e64 s12, v9, v50
	v_lshl_add_u32 v16, v16, 1, v12
	s_delay_alu instid0(VALU_DEP_3) | instskip(SKIP_4) | instid1(VALU_DEP_1)
	v_cmp_ge_u32_e64 s14, v5, v53
	ds_load_u16 v16, v16
	s_wait_dscnt 0x0
	v_cndmask_b32_e64 v65, v16, v55, s11
	v_cndmask_b32_e64 v66, v64, v16, s11
	v_cmp_le_i16_e64 s13, v65, v66
	s_and_b32 s12, s12, s13
	s_wait_alu 0xfffe
	s_or_b32 s12, s14, s12
	s_wait_alu 0xfffe
	v_cndmask_b32_e64 v21, v5, v9, s12
	v_cndmask_b32_e64 v16, v53, v50, s12
	s_delay_alu instid0(VALU_DEP_2) | instskip(NEXT) | instid1(VALU_DEP_2)
	v_add_nc_u32_e32 v17, 1, v21
	v_add_nc_u32_e32 v16, -1, v16
	v_lshl_add_u32 v24, v21, 3, v10
	s_delay_alu instid0(VALU_DEP_3) | instskip(NEXT) | instid1(VALU_DEP_3)
	v_cndmask_b32_e64 v9, v9, v17, s12
	v_min_u32_e32 v16, v17, v16
	v_cndmask_b32_e64 v5, v17, v5, s12
	s_delay_alu instid0(VALU_DEP_3) | instskip(NEXT) | instid1(VALU_DEP_3)
	v_cmp_lt_u32_e64 s13, v9, v50
	v_lshl_add_u32 v16, v16, 1, v12
	s_delay_alu instid0(VALU_DEP_3) | instskip(SKIP_4) | instid1(VALU_DEP_1)
	v_cmp_ge_u32_e64 s15, v5, v53
	ds_load_u16 v16, v16
	s_wait_dscnt 0x0
	v_cndmask_b32_e64 v67, v16, v65, s12
	v_cndmask_b32_e64 v68, v66, v16, s12
	v_cmp_le_i16_e64 s14, v67, v68
	s_and_b32 s13, s13, s14
	s_wait_alu 0xfffe
	s_or_b32 s13, s15, s13
	s_wait_alu 0xfffe
	v_cndmask_b32_e64 v22, v5, v9, s13
	v_cndmask_b32_e64 v16, v53, v50, s13
	;; [unrolled: 1-line block ×3, first 2 shown]
	s_delay_alu instid0(VALU_DEP_3) | instskip(NEXT) | instid1(VALU_DEP_3)
	v_add_nc_u32_e32 v17, 1, v22
	v_add_nc_u32_e32 v16, -1, v16
	v_lshl_add_u32 v48, v22, 3, v10
	s_delay_alu instid0(VALU_DEP_3) | instskip(NEXT) | instid1(VALU_DEP_3)
	v_cndmask_b32_e64 v9, v9, v17, s13
	v_min_u32_e32 v16, v17, v16
	v_cndmask_b32_e64 v23, v17, v5, s13
	v_lshl_add_u32 v17, v15, 3, v10
	s_delay_alu instid0(VALU_DEP_4) | instskip(NEXT) | instid1(VALU_DEP_4)
	v_cmp_lt_u32_e64 s14, v9, v50
	v_lshl_add_u32 v16, v16, 1, v12
	s_delay_alu instid0(VALU_DEP_4)
	v_cmp_ge_u32_e64 s16, v23, v53
	ds_load_u16 v16, v16
	s_wait_dscnt 0x0
	v_cndmask_b32_e64 v69, v16, v67, s13
	v_cndmask_b32_e64 v70, v68, v16, s13
	ds_load_b64 v[4:5], v4 offset:4096
	ds_load_b64 v[15:16], v8 offset:4096
	;; [unrolled: 1-line block ×3, first 2 shown]
	v_cmp_le_i16_e64 s15, v69, v70
	s_and_b32 s14, s14, s15
	s_wait_alu 0xfffe
	s_or_b32 s14, s16, s14
	s_wait_alu 0xfffe
	v_cndmask_b32_e64 v8, v23, v9, s14
	v_lshl_add_u32 v9, v19, 3, v10
	v_lshl_add_u32 v23, v20, 3, v10
	s_delay_alu instid0(VALU_DEP_3)
	v_lshl_add_u32 v50, v8, 3, v10
	ds_load_b64 v[19:20], v9 offset:4096
	ds_load_b64 v[21:22], v23 offset:4096
	;; [unrolled: 1-line block ×5, first 2 shown]
	v_cndmask_b32_e64 v48, v38, v39, s8
	v_cndmask_b32_e64 v39, v65, v66, s12
	v_cndmask_b32_e64 v38, v69, v70, s14
.LBB926_194:
	s_wait_alu 0xfffe
	s_or_b32 exec_lo, exec_lo, s18
	v_and_b32_e32 v64, 0xe0, v35
	v_and_b32_e32 v54, 24, v35
	v_perm_b32 v68, v38, v52, 0x5040100
	v_perm_b32 v67, v39, v49, 0x5040100
	;; [unrolled: 1-line block ×3, first 2 shown]
	v_or_b32_e32 v50, 16, v64
	v_min_u32_e32 v65, v27, v54
	v_perm_b32 v69, v48, v37, 0x5040100
	s_mov_b32 s8, exec_lo
	s_delay_alu instid0(VALU_DEP_3)
	v_min_u32_e32 v50, v27, v50
	; wave barrier
	s_wait_dscnt 0x4
	ds_store_2addr_b64 v30, v[17:18], v[19:20] offset1:1
	s_wait_dscnt 0x3
	ds_store_2addr_b64 v31, v[21:22], v[25:26] offset1:1
	ds_store_2addr_b64 v29, v[4:5], v[15:16] offset1:1
	;; [unrolled: 1-line block ×3, first 2 shown]
	s_wait_dscnt 0x4
	ds_store_2addr_b64 v28, v[8:9], v[23:24] offset1:1
	v_add_nc_u32_e32 v53, 16, v50
	v_sub_nc_u32_e32 v54, v50, v64
	; wave barrier
	s_delay_alu instid0(VALU_DEP_2) | instskip(NEXT) | instid1(VALU_DEP_2)
	v_min_u32_e32 v53, v27, v53
	v_min_u32_e32 v66, v65, v54
	s_delay_alu instid0(VALU_DEP_2) | instskip(NEXT) | instid1(VALU_DEP_1)
	v_sub_nc_u32_e32 v55, v53, v50
	v_sub_nc_u32_e64 v54, v65, v55 clamp
	v_lshl_add_u32 v55, v64, 1, v12
	s_delay_alu instid0(VALU_DEP_2)
	v_cmpx_lt_u32_e64 v54, v66
	s_cbranch_execz .LBB926_198
; %bb.195:
	v_lshlrev_b32_e32 v67, 1, v50
	v_lshlrev_b32_e32 v68, 1, v65
	s_mov_b32 s9, 0
	s_delay_alu instid0(VALU_DEP_1)
	v_add3_u32 v67, v12, v67, v68
.LBB926_196:                            ; =>This Inner Loop Header: Depth=1
	v_add_nc_u32_e32 v68, v66, v54
	s_delay_alu instid0(VALU_DEP_1) | instskip(SKIP_1) | instid1(VALU_DEP_2)
	v_lshrrev_b32_e32 v69, 1, v68
	v_and_b32_e32 v68, -2, v68
	v_not_b32_e32 v70, v69
	s_delay_alu instid0(VALU_DEP_2) | instskip(SKIP_1) | instid1(VALU_DEP_3)
	v_add_nc_u32_e32 v68, v55, v68
	v_add_nc_u32_e32 v71, 1, v69
	v_lshl_add_u32 v70, v70, 1, v67
	ds_load_u16 v68, v68
	ds_load_u16 v70, v70
	s_wait_dscnt 0x0
	v_cmp_gt_i16_e64 s7, v70, v68
	s_wait_alu 0xf1ff
	s_delay_alu instid0(VALU_DEP_1) | instskip(SKIP_1) | instid1(VALU_DEP_1)
	v_cndmask_b32_e64 v66, v66, v69, s7
	v_cndmask_b32_e64 v54, v71, v54, s7
	v_cmp_ge_u32_e64 s7, v54, v66
	s_wait_alu 0xfffe
	s_or_b32 s9, s7, s9
	s_wait_alu 0xfffe
	s_and_not1_b32 exec_lo, exec_lo, s9
	s_cbranch_execnz .LBB926_196
; %bb.197:
	s_or_b32 exec_lo, exec_lo, s9
.LBB926_198:
	s_wait_alu 0xfffe
	s_or_b32 exec_lo, exec_lo, s8
	v_add_nc_u32_e32 v66, v50, v65
	v_add_nc_u32_e32 v65, v54, v64
	s_delay_alu instid0(VALU_DEP_2) | instskip(NEXT) | instid1(VALU_DEP_2)
	v_sub_nc_u32_e32 v64, v66, v54
	v_cmp_le_u32_e64 s7, v65, v50
	s_delay_alu instid0(VALU_DEP_2)
	v_cmp_le_u32_e64 s8, v64, v53
	s_or_b32 s7, s7, s8
	s_wait_alu 0xfffe
	s_and_saveexec_b32 s18, s7
	s_cbranch_execz .LBB926_204
; %bb.199:
	v_cmp_lt_u32_e64 s7, v65, v50
                                        ; implicit-def: $vgpr32
	s_and_saveexec_b32 s8, s7
; %bb.200:
	v_lshl_add_u32 v4, v54, 1, v55
	ds_load_u16 v32, v4
; %bb.201:
	s_wait_alu 0xfffe
	s_or_b32 exec_lo, exec_lo, s8
	v_cmp_ge_u32_e64 s8, v64, v53
	s_mov_b32 s10, exec_lo
                                        ; implicit-def: $vgpr37
	v_cmpx_lt_u32_e64 v64, v53
; %bb.202:
	v_lshl_add_u32 v4, v64, 1, v12
	ds_load_u16 v37, v4
; %bb.203:
	s_wait_alu 0xfffe
	s_or_b32 exec_lo, exec_lo, s10
	s_wait_dscnt 0x0
	v_cmp_le_i16_e64 s9, v37, v32
	s_and_b32 s7, s7, s9
	s_wait_alu 0xfffe
	s_or_b32 s7, s8, s7
	s_wait_alu 0xfffe
	v_cndmask_b32_e64 v4, v64, v65, s7
	v_cndmask_b32_e64 v5, v53, v50, s7
	s_delay_alu instid0(VALU_DEP_2) | instskip(NEXT) | instid1(VALU_DEP_2)
	v_add_nc_u32_e32 v8, 1, v4
	v_add_nc_u32_e32 v5, -1, v5
	v_lshl_add_u32 v4, v4, 3, v10
	s_delay_alu instid0(VALU_DEP_3) | instskip(NEXT) | instid1(VALU_DEP_3)
	v_cndmask_b32_e64 v9, v65, v8, s7
	v_min_u32_e32 v5, v8, v5
	s_delay_alu instid0(VALU_DEP_2) | instskip(NEXT) | instid1(VALU_DEP_2)
	v_cmp_lt_u32_e64 s8, v9, v50
	v_lshl_add_u32 v5, v5, 1, v12
	ds_load_u16 v5, v5
	s_wait_dscnt 0x0
	v_cndmask_b32_e64 v38, v5, v37, s7
	v_cndmask_b32_e64 v39, v32, v5, s7
	;; [unrolled: 1-line block ×4, first 2 shown]
	s_delay_alu instid0(VALU_DEP_3) | instskip(NEXT) | instid1(VALU_DEP_3)
	v_cmp_le_i16_e64 s9, v38, v39
	v_cmp_ge_u32_e64 s10, v5, v53
	s_and_b32 s8, s8, s9
	s_wait_alu 0xfffe
	s_or_b32 s8, s10, s8
	s_wait_alu 0xfffe
	v_cndmask_b32_e64 v8, v5, v9, s8
	v_cndmask_b32_e64 v15, v53, v50, s8
	s_delay_alu instid0(VALU_DEP_2) | instskip(NEXT) | instid1(VALU_DEP_2)
	v_add_nc_u32_e32 v16, 1, v8
	v_add_nc_u32_e32 v15, -1, v15
	v_lshl_add_u32 v8, v8, 3, v10
	s_delay_alu instid0(VALU_DEP_3) | instskip(NEXT) | instid1(VALU_DEP_3)
	v_cndmask_b32_e64 v9, v9, v16, s8
	v_min_u32_e32 v15, v16, v15
	v_cndmask_b32_e64 v5, v16, v5, s8
	s_delay_alu instid0(VALU_DEP_3) | instskip(NEXT) | instid1(VALU_DEP_3)
	v_cmp_lt_u32_e64 s9, v9, v50
	v_lshl_add_u32 v15, v15, 1, v12
	s_delay_alu instid0(VALU_DEP_3) | instskip(SKIP_4) | instid1(VALU_DEP_1)
	v_cmp_ge_u32_e64 s11, v5, v53
	ds_load_u16 v15, v15
	s_wait_dscnt 0x0
	v_cndmask_b32_e64 v49, v15, v38, s8
	v_cndmask_b32_e64 v51, v39, v15, s8
	v_cmp_le_i16_e64 s10, v49, v51
	s_and_b32 s9, s9, s10
	s_wait_alu 0xfffe
	s_or_b32 s9, s11, s9
	s_wait_alu 0xfffe
	v_cndmask_b32_e64 v15, v5, v9, s9
	v_cndmask_b32_e64 v16, v53, v50, s9
	v_cndmask_b32_e64 v32, v49, v51, s9
	s_delay_alu instid0(VALU_DEP_3) | instskip(NEXT) | instid1(VALU_DEP_3)
	v_add_nc_u32_e32 v17, 1, v15
	v_add_nc_u32_e32 v16, -1, v16
	s_delay_alu instid0(VALU_DEP_2) | instskip(NEXT) | instid1(VALU_DEP_2)
	v_cndmask_b32_e64 v9, v9, v17, s9
	v_min_u32_e32 v16, v17, v16
	v_cndmask_b32_e64 v5, v17, v5, s9
	s_delay_alu instid0(VALU_DEP_3) | instskip(NEXT) | instid1(VALU_DEP_3)
	v_cmp_lt_u32_e64 s10, v9, v50
	v_lshl_add_u32 v16, v16, 1, v12
	s_delay_alu instid0(VALU_DEP_3) | instskip(SKIP_4) | instid1(VALU_DEP_1)
	v_cmp_ge_u32_e64 s12, v5, v53
	ds_load_u16 v16, v16
	s_wait_dscnt 0x0
	v_cndmask_b32_e64 v52, v16, v49, s9
	v_cndmask_b32_e64 v54, v51, v16, s9
	v_cmp_le_i16_e64 s11, v52, v54
	s_and_b32 s10, s10, s11
	s_wait_alu 0xfffe
	s_or_b32 s10, s12, s10
	s_wait_alu 0xfffe
	v_cndmask_b32_e64 v19, v5, v9, s10
	v_cndmask_b32_e64 v16, v53, v50, s10
	v_cndmask_b32_e64 v51, v52, v54, s10
	s_delay_alu instid0(VALU_DEP_3) | instskip(NEXT) | instid1(VALU_DEP_3)
	v_add_nc_u32_e32 v17, 1, v19
	v_add_nc_u32_e32 v16, -1, v16
	s_delay_alu instid0(VALU_DEP_2) | instskip(NEXT) | instid1(VALU_DEP_2)
	;; [unrolled: 24-line block ×3, first 2 shown]
	v_cndmask_b32_e64 v9, v9, v17, s11
	v_min_u32_e32 v16, v17, v16
	v_cndmask_b32_e64 v5, v17, v5, s11
	s_delay_alu instid0(VALU_DEP_3) | instskip(NEXT) | instid1(VALU_DEP_3)
	v_cmp_lt_u32_e64 s12, v9, v50
	v_lshl_add_u32 v16, v16, 1, v12
	s_delay_alu instid0(VALU_DEP_3) | instskip(SKIP_4) | instid1(VALU_DEP_1)
	v_cmp_ge_u32_e64 s14, v5, v53
	ds_load_u16 v16, v16
	s_wait_dscnt 0x0
	v_cndmask_b32_e64 v65, v16, v55, s11
	v_cndmask_b32_e64 v66, v64, v16, s11
	v_cmp_le_i16_e64 s13, v65, v66
	s_and_b32 s12, s12, s13
	s_wait_alu 0xfffe
	s_or_b32 s12, s14, s12
	s_wait_alu 0xfffe
	v_cndmask_b32_e64 v21, v5, v9, s12
	v_cndmask_b32_e64 v16, v53, v50, s12
	s_delay_alu instid0(VALU_DEP_2) | instskip(NEXT) | instid1(VALU_DEP_2)
	v_add_nc_u32_e32 v17, 1, v21
	v_add_nc_u32_e32 v16, -1, v16
	v_lshl_add_u32 v24, v21, 3, v10
	s_delay_alu instid0(VALU_DEP_3) | instskip(NEXT) | instid1(VALU_DEP_3)
	v_cndmask_b32_e64 v9, v9, v17, s12
	v_min_u32_e32 v16, v17, v16
	v_cndmask_b32_e64 v5, v17, v5, s12
	s_delay_alu instid0(VALU_DEP_3) | instskip(NEXT) | instid1(VALU_DEP_3)
	v_cmp_lt_u32_e64 s13, v9, v50
	v_lshl_add_u32 v16, v16, 1, v12
	s_delay_alu instid0(VALU_DEP_3) | instskip(SKIP_4) | instid1(VALU_DEP_1)
	v_cmp_ge_u32_e64 s15, v5, v53
	ds_load_u16 v16, v16
	s_wait_dscnt 0x0
	v_cndmask_b32_e64 v67, v16, v65, s12
	v_cndmask_b32_e64 v68, v66, v16, s12
	v_cmp_le_i16_e64 s14, v67, v68
	s_and_b32 s13, s13, s14
	s_wait_alu 0xfffe
	s_or_b32 s13, s15, s13
	s_wait_alu 0xfffe
	v_cndmask_b32_e64 v22, v5, v9, s13
	v_cndmask_b32_e64 v16, v53, v50, s13
	;; [unrolled: 1-line block ×3, first 2 shown]
	s_delay_alu instid0(VALU_DEP_3) | instskip(NEXT) | instid1(VALU_DEP_3)
	v_add_nc_u32_e32 v17, 1, v22
	v_add_nc_u32_e32 v16, -1, v16
	v_lshl_add_u32 v48, v22, 3, v10
	s_delay_alu instid0(VALU_DEP_3) | instskip(NEXT) | instid1(VALU_DEP_3)
	v_cndmask_b32_e64 v9, v9, v17, s13
	v_min_u32_e32 v16, v17, v16
	v_cndmask_b32_e64 v23, v17, v5, s13
	v_lshl_add_u32 v17, v15, 3, v10
	s_delay_alu instid0(VALU_DEP_4) | instskip(NEXT) | instid1(VALU_DEP_4)
	v_cmp_lt_u32_e64 s14, v9, v50
	v_lshl_add_u32 v16, v16, 1, v12
	s_delay_alu instid0(VALU_DEP_4)
	v_cmp_ge_u32_e64 s16, v23, v53
	ds_load_u16 v16, v16
	s_wait_dscnt 0x0
	v_cndmask_b32_e64 v69, v16, v67, s13
	v_cndmask_b32_e64 v70, v68, v16, s13
	ds_load_b64 v[4:5], v4 offset:4096
	ds_load_b64 v[15:16], v8 offset:4096
	;; [unrolled: 1-line block ×3, first 2 shown]
	v_cmp_le_i16_e64 s15, v69, v70
	s_and_b32 s14, s14, s15
	s_wait_alu 0xfffe
	s_or_b32 s14, s16, s14
	s_wait_alu 0xfffe
	v_cndmask_b32_e64 v8, v23, v9, s14
	v_lshl_add_u32 v9, v19, 3, v10
	v_lshl_add_u32 v23, v20, 3, v10
	s_delay_alu instid0(VALU_DEP_3)
	v_lshl_add_u32 v50, v8, 3, v10
	ds_load_b64 v[19:20], v9 offset:4096
	ds_load_b64 v[21:22], v23 offset:4096
	;; [unrolled: 1-line block ×5, first 2 shown]
	v_cndmask_b32_e64 v48, v38, v39, s8
	v_cndmask_b32_e64 v39, v65, v66, s12
	;; [unrolled: 1-line block ×3, first 2 shown]
.LBB926_204:
	s_wait_alu 0xfffe
	s_or_b32 exec_lo, exec_lo, s18
	v_and_b32_e32 v64, 0xc0, v35
	v_and_b32_e32 v54, 56, v35
	v_perm_b32 v68, v38, v52, 0x5040100
	v_perm_b32 v67, v39, v49, 0x5040100
	;; [unrolled: 1-line block ×3, first 2 shown]
	v_or_b32_e32 v50, 32, v64
	v_min_u32_e32 v65, v27, v54
	v_perm_b32 v69, v48, v37, 0x5040100
	s_mov_b32 s8, exec_lo
	s_delay_alu instid0(VALU_DEP_3)
	v_min_u32_e32 v50, v27, v50
	; wave barrier
	s_wait_dscnt 0x4
	ds_store_2addr_b64 v30, v[17:18], v[19:20] offset1:1
	s_wait_dscnt 0x3
	ds_store_2addr_b64 v31, v[21:22], v[25:26] offset1:1
	ds_store_2addr_b64 v29, v[4:5], v[15:16] offset1:1
	;; [unrolled: 1-line block ×3, first 2 shown]
	s_wait_dscnt 0x4
	ds_store_2addr_b64 v28, v[8:9], v[23:24] offset1:1
	v_add_nc_u32_e32 v53, 32, v50
	v_sub_nc_u32_e32 v54, v50, v64
	; wave barrier
	s_delay_alu instid0(VALU_DEP_2) | instskip(NEXT) | instid1(VALU_DEP_2)
	v_min_u32_e32 v53, v27, v53
	v_min_u32_e32 v66, v65, v54
	s_delay_alu instid0(VALU_DEP_2) | instskip(NEXT) | instid1(VALU_DEP_1)
	v_sub_nc_u32_e32 v55, v53, v50
	v_sub_nc_u32_e64 v54, v65, v55 clamp
	v_lshl_add_u32 v55, v64, 1, v12
	s_delay_alu instid0(VALU_DEP_2)
	v_cmpx_lt_u32_e64 v54, v66
	s_cbranch_execz .LBB926_208
; %bb.205:
	v_lshlrev_b32_e32 v67, 1, v50
	v_lshlrev_b32_e32 v68, 1, v65
	s_mov_b32 s9, 0
	s_delay_alu instid0(VALU_DEP_1)
	v_add3_u32 v67, v12, v67, v68
.LBB926_206:                            ; =>This Inner Loop Header: Depth=1
	v_add_nc_u32_e32 v68, v66, v54
	s_delay_alu instid0(VALU_DEP_1) | instskip(SKIP_1) | instid1(VALU_DEP_2)
	v_lshrrev_b32_e32 v69, 1, v68
	v_and_b32_e32 v68, -2, v68
	v_not_b32_e32 v70, v69
	s_delay_alu instid0(VALU_DEP_2) | instskip(SKIP_1) | instid1(VALU_DEP_3)
	v_add_nc_u32_e32 v68, v55, v68
	v_add_nc_u32_e32 v71, 1, v69
	v_lshl_add_u32 v70, v70, 1, v67
	ds_load_u16 v68, v68
	ds_load_u16 v70, v70
	s_wait_dscnt 0x0
	v_cmp_gt_i16_e64 s7, v70, v68
	s_wait_alu 0xf1ff
	s_delay_alu instid0(VALU_DEP_1) | instskip(SKIP_1) | instid1(VALU_DEP_1)
	v_cndmask_b32_e64 v66, v66, v69, s7
	v_cndmask_b32_e64 v54, v71, v54, s7
	v_cmp_ge_u32_e64 s7, v54, v66
	s_wait_alu 0xfffe
	s_or_b32 s9, s7, s9
	s_wait_alu 0xfffe
	s_and_not1_b32 exec_lo, exec_lo, s9
	s_cbranch_execnz .LBB926_206
; %bb.207:
	s_or_b32 exec_lo, exec_lo, s9
.LBB926_208:
	s_wait_alu 0xfffe
	s_or_b32 exec_lo, exec_lo, s8
	v_add_nc_u32_e32 v66, v50, v65
	v_add_nc_u32_e32 v65, v54, v64
	s_delay_alu instid0(VALU_DEP_2) | instskip(NEXT) | instid1(VALU_DEP_2)
	v_sub_nc_u32_e32 v64, v66, v54
	v_cmp_le_u32_e64 s7, v65, v50
	s_delay_alu instid0(VALU_DEP_2)
	v_cmp_le_u32_e64 s8, v64, v53
	s_or_b32 s7, s7, s8
	s_wait_alu 0xfffe
	s_and_saveexec_b32 s18, s7
	s_cbranch_execz .LBB926_214
; %bb.209:
	v_cmp_lt_u32_e64 s7, v65, v50
                                        ; implicit-def: $vgpr32
	s_and_saveexec_b32 s8, s7
; %bb.210:
	v_lshl_add_u32 v4, v54, 1, v55
	ds_load_u16 v32, v4
; %bb.211:
	s_wait_alu 0xfffe
	s_or_b32 exec_lo, exec_lo, s8
	v_cmp_ge_u32_e64 s8, v64, v53
	s_mov_b32 s10, exec_lo
                                        ; implicit-def: $vgpr37
	v_cmpx_lt_u32_e64 v64, v53
; %bb.212:
	v_lshl_add_u32 v4, v64, 1, v12
	ds_load_u16 v37, v4
; %bb.213:
	s_wait_alu 0xfffe
	s_or_b32 exec_lo, exec_lo, s10
	s_wait_dscnt 0x0
	v_cmp_le_i16_e64 s9, v37, v32
	s_and_b32 s7, s7, s9
	s_wait_alu 0xfffe
	s_or_b32 s7, s8, s7
	s_wait_alu 0xfffe
	v_cndmask_b32_e64 v4, v64, v65, s7
	v_cndmask_b32_e64 v5, v53, v50, s7
	s_delay_alu instid0(VALU_DEP_2) | instskip(NEXT) | instid1(VALU_DEP_2)
	v_add_nc_u32_e32 v8, 1, v4
	v_add_nc_u32_e32 v5, -1, v5
	v_lshl_add_u32 v4, v4, 3, v10
	s_delay_alu instid0(VALU_DEP_3) | instskip(NEXT) | instid1(VALU_DEP_3)
	v_cndmask_b32_e64 v9, v65, v8, s7
	v_min_u32_e32 v5, v8, v5
	s_delay_alu instid0(VALU_DEP_2) | instskip(NEXT) | instid1(VALU_DEP_2)
	v_cmp_lt_u32_e64 s8, v9, v50
	v_lshl_add_u32 v5, v5, 1, v12
	ds_load_u16 v5, v5
	s_wait_dscnt 0x0
	v_cndmask_b32_e64 v38, v5, v37, s7
	v_cndmask_b32_e64 v39, v32, v5, s7
	;; [unrolled: 1-line block ×4, first 2 shown]
	s_delay_alu instid0(VALU_DEP_3) | instskip(NEXT) | instid1(VALU_DEP_3)
	v_cmp_le_i16_e64 s9, v38, v39
	v_cmp_ge_u32_e64 s10, v5, v53
	s_and_b32 s8, s8, s9
	s_wait_alu 0xfffe
	s_or_b32 s8, s10, s8
	s_wait_alu 0xfffe
	v_cndmask_b32_e64 v8, v5, v9, s8
	v_cndmask_b32_e64 v15, v53, v50, s8
	s_delay_alu instid0(VALU_DEP_2) | instskip(NEXT) | instid1(VALU_DEP_2)
	v_add_nc_u32_e32 v16, 1, v8
	v_add_nc_u32_e32 v15, -1, v15
	v_lshl_add_u32 v8, v8, 3, v10
	s_delay_alu instid0(VALU_DEP_3) | instskip(NEXT) | instid1(VALU_DEP_3)
	v_cndmask_b32_e64 v9, v9, v16, s8
	v_min_u32_e32 v15, v16, v15
	v_cndmask_b32_e64 v5, v16, v5, s8
	s_delay_alu instid0(VALU_DEP_3) | instskip(NEXT) | instid1(VALU_DEP_3)
	v_cmp_lt_u32_e64 s9, v9, v50
	v_lshl_add_u32 v15, v15, 1, v12
	s_delay_alu instid0(VALU_DEP_3) | instskip(SKIP_4) | instid1(VALU_DEP_1)
	v_cmp_ge_u32_e64 s11, v5, v53
	ds_load_u16 v15, v15
	s_wait_dscnt 0x0
	v_cndmask_b32_e64 v49, v15, v38, s8
	v_cndmask_b32_e64 v51, v39, v15, s8
	v_cmp_le_i16_e64 s10, v49, v51
	s_and_b32 s9, s9, s10
	s_wait_alu 0xfffe
	s_or_b32 s9, s11, s9
	s_wait_alu 0xfffe
	v_cndmask_b32_e64 v15, v5, v9, s9
	v_cndmask_b32_e64 v16, v53, v50, s9
	v_cndmask_b32_e64 v32, v49, v51, s9
	s_delay_alu instid0(VALU_DEP_3) | instskip(NEXT) | instid1(VALU_DEP_3)
	v_add_nc_u32_e32 v17, 1, v15
	v_add_nc_u32_e32 v16, -1, v16
	s_delay_alu instid0(VALU_DEP_2) | instskip(NEXT) | instid1(VALU_DEP_2)
	v_cndmask_b32_e64 v9, v9, v17, s9
	v_min_u32_e32 v16, v17, v16
	v_cndmask_b32_e64 v5, v17, v5, s9
	s_delay_alu instid0(VALU_DEP_3) | instskip(NEXT) | instid1(VALU_DEP_3)
	v_cmp_lt_u32_e64 s10, v9, v50
	v_lshl_add_u32 v16, v16, 1, v12
	s_delay_alu instid0(VALU_DEP_3) | instskip(SKIP_4) | instid1(VALU_DEP_1)
	v_cmp_ge_u32_e64 s12, v5, v53
	ds_load_u16 v16, v16
	s_wait_dscnt 0x0
	v_cndmask_b32_e64 v52, v16, v49, s9
	v_cndmask_b32_e64 v54, v51, v16, s9
	v_cmp_le_i16_e64 s11, v52, v54
	s_and_b32 s10, s10, s11
	s_wait_alu 0xfffe
	s_or_b32 s10, s12, s10
	s_wait_alu 0xfffe
	v_cndmask_b32_e64 v19, v5, v9, s10
	v_cndmask_b32_e64 v16, v53, v50, s10
	v_cndmask_b32_e64 v51, v52, v54, s10
	s_delay_alu instid0(VALU_DEP_3) | instskip(NEXT) | instid1(VALU_DEP_3)
	v_add_nc_u32_e32 v17, 1, v19
	v_add_nc_u32_e32 v16, -1, v16
	s_delay_alu instid0(VALU_DEP_2) | instskip(NEXT) | instid1(VALU_DEP_2)
	;; [unrolled: 24-line block ×3, first 2 shown]
	v_cndmask_b32_e64 v9, v9, v17, s11
	v_min_u32_e32 v16, v17, v16
	v_cndmask_b32_e64 v5, v17, v5, s11
	s_delay_alu instid0(VALU_DEP_3) | instskip(NEXT) | instid1(VALU_DEP_3)
	v_cmp_lt_u32_e64 s12, v9, v50
	v_lshl_add_u32 v16, v16, 1, v12
	s_delay_alu instid0(VALU_DEP_3) | instskip(SKIP_4) | instid1(VALU_DEP_1)
	v_cmp_ge_u32_e64 s14, v5, v53
	ds_load_u16 v16, v16
	s_wait_dscnt 0x0
	v_cndmask_b32_e64 v65, v16, v55, s11
	v_cndmask_b32_e64 v66, v64, v16, s11
	v_cmp_le_i16_e64 s13, v65, v66
	s_and_b32 s12, s12, s13
	s_wait_alu 0xfffe
	s_or_b32 s12, s14, s12
	s_wait_alu 0xfffe
	v_cndmask_b32_e64 v21, v5, v9, s12
	v_cndmask_b32_e64 v16, v53, v50, s12
	s_delay_alu instid0(VALU_DEP_2) | instskip(NEXT) | instid1(VALU_DEP_2)
	v_add_nc_u32_e32 v17, 1, v21
	v_add_nc_u32_e32 v16, -1, v16
	v_lshl_add_u32 v24, v21, 3, v10
	s_delay_alu instid0(VALU_DEP_3) | instskip(NEXT) | instid1(VALU_DEP_3)
	v_cndmask_b32_e64 v9, v9, v17, s12
	v_min_u32_e32 v16, v17, v16
	v_cndmask_b32_e64 v5, v17, v5, s12
	s_delay_alu instid0(VALU_DEP_3) | instskip(NEXT) | instid1(VALU_DEP_3)
	v_cmp_lt_u32_e64 s13, v9, v50
	v_lshl_add_u32 v16, v16, 1, v12
	s_delay_alu instid0(VALU_DEP_3) | instskip(SKIP_4) | instid1(VALU_DEP_1)
	v_cmp_ge_u32_e64 s15, v5, v53
	ds_load_u16 v16, v16
	s_wait_dscnt 0x0
	v_cndmask_b32_e64 v67, v16, v65, s12
	v_cndmask_b32_e64 v68, v66, v16, s12
	v_cmp_le_i16_e64 s14, v67, v68
	s_and_b32 s13, s13, s14
	s_wait_alu 0xfffe
	s_or_b32 s13, s15, s13
	s_wait_alu 0xfffe
	v_cndmask_b32_e64 v22, v5, v9, s13
	v_cndmask_b32_e64 v16, v53, v50, s13
	;; [unrolled: 1-line block ×3, first 2 shown]
	s_delay_alu instid0(VALU_DEP_3) | instskip(NEXT) | instid1(VALU_DEP_3)
	v_add_nc_u32_e32 v17, 1, v22
	v_add_nc_u32_e32 v16, -1, v16
	v_lshl_add_u32 v48, v22, 3, v10
	s_delay_alu instid0(VALU_DEP_3) | instskip(NEXT) | instid1(VALU_DEP_3)
	v_cndmask_b32_e64 v9, v9, v17, s13
	v_min_u32_e32 v16, v17, v16
	v_cndmask_b32_e64 v23, v17, v5, s13
	v_lshl_add_u32 v17, v15, 3, v10
	s_delay_alu instid0(VALU_DEP_4) | instskip(NEXT) | instid1(VALU_DEP_4)
	v_cmp_lt_u32_e64 s14, v9, v50
	v_lshl_add_u32 v16, v16, 1, v12
	s_delay_alu instid0(VALU_DEP_4)
	v_cmp_ge_u32_e64 s16, v23, v53
	ds_load_u16 v16, v16
	s_wait_dscnt 0x0
	v_cndmask_b32_e64 v69, v16, v67, s13
	v_cndmask_b32_e64 v70, v68, v16, s13
	ds_load_b64 v[4:5], v4 offset:4096
	ds_load_b64 v[15:16], v8 offset:4096
	;; [unrolled: 1-line block ×3, first 2 shown]
	v_cmp_le_i16_e64 s15, v69, v70
	s_and_b32 s14, s14, s15
	s_wait_alu 0xfffe
	s_or_b32 s14, s16, s14
	s_wait_alu 0xfffe
	v_cndmask_b32_e64 v8, v23, v9, s14
	v_lshl_add_u32 v9, v19, 3, v10
	v_lshl_add_u32 v23, v20, 3, v10
	s_delay_alu instid0(VALU_DEP_3)
	v_lshl_add_u32 v50, v8, 3, v10
	ds_load_b64 v[19:20], v9 offset:4096
	ds_load_b64 v[21:22], v23 offset:4096
	;; [unrolled: 1-line block ×5, first 2 shown]
	v_cndmask_b32_e64 v48, v38, v39, s8
	v_cndmask_b32_e64 v39, v65, v66, s12
	;; [unrolled: 1-line block ×3, first 2 shown]
.LBB926_214:
	s_wait_alu 0xfffe
	s_or_b32 exec_lo, exec_lo, s18
	v_and_b32_e32 v53, 0x80, v35
	v_min_u32_e32 v36, v27, v36
	; wave barrier
	s_wait_dscnt 0x4
	ds_store_2addr_b64 v30, v[17:18], v[19:20] offset1:1
	s_wait_dscnt 0x3
	ds_store_2addr_b64 v31, v[21:22], v[25:26] offset1:1
	v_or_b32_e32 v35, 64, v53
	v_lshl_add_u32 v30, v53, 1, v12
	v_perm_b32 v65, v38, v52, 0x5040100
	v_perm_b32 v64, v39, v49, 0x5040100
	;; [unrolled: 1-line block ×3, first 2 shown]
	v_min_u32_e32 v50, v27, v35
	v_perm_b32 v66, v48, v37, 0x5040100
	s_mov_b32 s8, exec_lo
	ds_store_2addr_b64 v29, v[4:5], v[15:16] offset1:1
	ds_store_2addr_b64 v11, v[66:67], v[64:65] offset1:1
	s_wait_dscnt 0x4
	ds_store_2addr_b64 v28, v[8:9], v[23:24] offset1:1
	v_add_nc_u32_e32 v35, 64, v50
	; wave barrier
	s_delay_alu instid0(VALU_DEP_1) | instskip(SKIP_1) | instid1(VALU_DEP_2)
	v_min_u32_e32 v35, v27, v35
	v_sub_nc_u32_e32 v27, v50, v53
	v_sub_nc_u32_e32 v55, v35, v50
	s_delay_alu instid0(VALU_DEP_2) | instskip(NEXT) | instid1(VALU_DEP_2)
	v_min_u32_e32 v54, v36, v27
	v_sub_nc_u32_e64 v27, v36, v55 clamp
	s_delay_alu instid0(VALU_DEP_1)
	v_cmpx_lt_u32_e64 v27, v54
	s_cbranch_execz .LBB926_218
; %bb.215:
	v_lshlrev_b32_e32 v11, 1, v50
	v_lshlrev_b32_e32 v28, 1, v36
	s_mov_b32 s9, 0
	s_delay_alu instid0(VALU_DEP_1)
	v_add3_u32 v11, v12, v11, v28
.LBB926_216:                            ; =>This Inner Loop Header: Depth=1
	v_add_nc_u32_e32 v28, v54, v27
	s_delay_alu instid0(VALU_DEP_1) | instskip(SKIP_1) | instid1(VALU_DEP_2)
	v_lshrrev_b32_e32 v29, 1, v28
	v_and_b32_e32 v28, -2, v28
	v_not_b32_e32 v31, v29
	s_delay_alu instid0(VALU_DEP_2) | instskip(SKIP_1) | instid1(VALU_DEP_3)
	v_add_nc_u32_e32 v28, v30, v28
	v_add_nc_u32_e32 v55, 1, v29
	v_lshl_add_u32 v31, v31, 1, v11
	ds_load_u16 v28, v28
	ds_load_u16 v31, v31
	s_wait_dscnt 0x0
	v_cmp_gt_i16_e64 s7, v31, v28
	s_wait_alu 0xf1ff
	s_delay_alu instid0(VALU_DEP_1) | instskip(SKIP_1) | instid1(VALU_DEP_1)
	v_cndmask_b32_e64 v54, v54, v29, s7
	v_cndmask_b32_e64 v27, v55, v27, s7
	v_cmp_ge_u32_e64 s7, v27, v54
	s_wait_alu 0xfffe
	s_or_b32 s9, s7, s9
	s_wait_alu 0xfffe
	s_and_not1_b32 exec_lo, exec_lo, s9
	s_cbranch_execnz .LBB926_216
; %bb.217:
	s_or_b32 exec_lo, exec_lo, s9
.LBB926_218:
	s_wait_alu 0xfffe
	s_or_b32 exec_lo, exec_lo, s8
	v_add_nc_u32_e32 v11, v50, v36
	v_add_nc_u32_e32 v29, v27, v53
	s_delay_alu instid0(VALU_DEP_2) | instskip(NEXT) | instid1(VALU_DEP_2)
	v_sub_nc_u32_e32 v28, v11, v27
	v_cmp_le_u32_e64 s7, v29, v50
	s_delay_alu instid0(VALU_DEP_2)
	v_cmp_le_u32_e64 s8, v28, v35
	s_or_b32 s7, s7, s8
	s_wait_alu 0xfffe
	s_and_saveexec_b32 s18, s7
	s_cbranch_execz .LBB926_224
; %bb.219:
	v_cmp_lt_u32_e64 s7, v29, v50
                                        ; implicit-def: $vgpr11
	s_and_saveexec_b32 s8, s7
; %bb.220:
	v_lshl_add_u32 v4, v27, 1, v30
	ds_load_u16 v11, v4
; %bb.221:
	s_wait_alu 0xfffe
	s_or_b32 exec_lo, exec_lo, s8
	v_cmp_ge_u32_e64 s8, v28, v35
	s_mov_b32 s10, exec_lo
                                        ; implicit-def: $vgpr27
	v_cmpx_lt_u32_e64 v28, v35
; %bb.222:
	v_lshl_add_u32 v4, v28, 1, v12
	ds_load_u16 v27, v4
; %bb.223:
	s_wait_alu 0xfffe
	s_or_b32 exec_lo, exec_lo, s10
	s_wait_dscnt 0x0
	v_cmp_le_i16_e64 s9, v27, v11
	s_and_b32 s7, s7, s9
	s_wait_alu 0xfffe
	s_or_b32 s7, s8, s7
	s_wait_alu 0xfffe
	v_cndmask_b32_e64 v4, v28, v29, s7
	v_cndmask_b32_e64 v5, v35, v50, s7
	;; [unrolled: 1-line block ×3, first 2 shown]
	s_delay_alu instid0(VALU_DEP_3) | instskip(NEXT) | instid1(VALU_DEP_3)
	v_add_nc_u32_e32 v8, 1, v4
	v_add_nc_u32_e32 v5, -1, v5
	v_lshl_add_u32 v4, v4, 3, v10
	s_delay_alu instid0(VALU_DEP_3) | instskip(NEXT) | instid1(VALU_DEP_3)
	v_cndmask_b32_e64 v9, v29, v8, s7
	v_min_u32_e32 v5, v8, v5
	s_delay_alu instid0(VALU_DEP_2) | instskip(NEXT) | instid1(VALU_DEP_2)
	v_cmp_lt_u32_e64 s8, v9, v50
	v_lshl_add_u32 v5, v5, 1, v12
	ds_load_u16 v5, v5
	s_wait_dscnt 0x0
	v_cndmask_b32_e64 v29, v5, v27, s7
	v_cndmask_b32_e64 v30, v11, v5, s7
	;; [unrolled: 1-line block ×3, first 2 shown]
	s_delay_alu instid0(VALU_DEP_2) | instskip(NEXT) | instid1(VALU_DEP_2)
	v_cmp_le_i16_e64 s9, v29, v30
	v_cmp_ge_u32_e64 s10, v5, v35
	s_and_b32 s8, s8, s9
	s_wait_alu 0xfffe
	s_or_b32 s8, s10, s8
	s_wait_alu 0xfffe
	v_cndmask_b32_e64 v8, v5, v9, s8
	v_cndmask_b32_e64 v15, v35, v50, s8
	;; [unrolled: 1-line block ×3, first 2 shown]
	s_delay_alu instid0(VALU_DEP_3) | instskip(NEXT) | instid1(VALU_DEP_3)
	v_add_nc_u32_e32 v16, 1, v8
	v_add_nc_u32_e32 v15, -1, v15
	v_lshl_add_u32 v8, v8, 3, v10
	s_delay_alu instid0(VALU_DEP_3) | instskip(NEXT) | instid1(VALU_DEP_3)
	v_cndmask_b32_e64 v9, v9, v16, s8
	v_min_u32_e32 v15, v16, v15
	v_cndmask_b32_e64 v5, v16, v5, s8
	s_delay_alu instid0(VALU_DEP_3) | instskip(NEXT) | instid1(VALU_DEP_3)
	v_cmp_lt_u32_e64 s9, v9, v50
	v_lshl_add_u32 v15, v15, 1, v12
	s_delay_alu instid0(VALU_DEP_3) | instskip(SKIP_4) | instid1(VALU_DEP_1)
	v_cmp_ge_u32_e64 s11, v5, v35
	ds_load_u16 v15, v15
	s_wait_dscnt 0x0
	v_cndmask_b32_e64 v28, v15, v29, s8
	v_cndmask_b32_e64 v31, v30, v15, s8
	v_cmp_le_i16_e64 s10, v28, v31
	s_and_b32 s9, s9, s10
	s_wait_alu 0xfffe
	s_or_b32 s9, s11, s9
	s_wait_alu 0xfffe
	v_cndmask_b32_e64 v15, v5, v9, s9
	v_cndmask_b32_e64 v16, v35, v50, s9
	s_delay_alu instid0(VALU_DEP_2) | instskip(NEXT) | instid1(VALU_DEP_2)
	v_add_nc_u32_e32 v17, 1, v15
	v_add_nc_u32_e32 v16, -1, v16
	s_delay_alu instid0(VALU_DEP_2) | instskip(NEXT) | instid1(VALU_DEP_2)
	v_cndmask_b32_e64 v9, v9, v17, s9
	v_min_u32_e32 v16, v17, v16
	v_cndmask_b32_e64 v5, v17, v5, s9
	s_delay_alu instid0(VALU_DEP_3) | instskip(NEXT) | instid1(VALU_DEP_3)
	v_cmp_lt_u32_e64 s10, v9, v50
	v_lshl_add_u32 v16, v16, 1, v12
	s_delay_alu instid0(VALU_DEP_3) | instskip(SKIP_4) | instid1(VALU_DEP_1)
	v_cmp_ge_u32_e64 s12, v5, v35
	ds_load_u16 v16, v16
	s_wait_dscnt 0x0
	v_cndmask_b32_e64 v36, v16, v28, s9
	v_cndmask_b32_e64 v38, v31, v16, s9
	v_cmp_le_i16_e64 s11, v36, v38
	s_and_b32 s10, s10, s11
	s_wait_alu 0xfffe
	s_or_b32 s10, s12, s10
	s_wait_alu 0xfffe
	v_cndmask_b32_e64 v19, v5, v9, s10
	v_cndmask_b32_e64 v16, v35, v50, s10
	;; [unrolled: 1-line block ×3, first 2 shown]
	s_delay_alu instid0(VALU_DEP_3) | instskip(NEXT) | instid1(VALU_DEP_3)
	v_add_nc_u32_e32 v17, 1, v19
	v_add_nc_u32_e32 v16, -1, v16
	s_delay_alu instid0(VALU_DEP_2) | instskip(NEXT) | instid1(VALU_DEP_2)
	v_cndmask_b32_e64 v9, v9, v17, s10
	v_min_u32_e32 v16, v17, v16
	v_cndmask_b32_e64 v5, v17, v5, s10
	s_delay_alu instid0(VALU_DEP_3) | instskip(NEXT) | instid1(VALU_DEP_3)
	v_cmp_lt_u32_e64 s11, v9, v50
	v_lshl_add_u32 v16, v16, 1, v12
	s_delay_alu instid0(VALU_DEP_3) | instskip(SKIP_4) | instid1(VALU_DEP_1)
	v_cmp_ge_u32_e64 s13, v5, v35
	ds_load_u16 v16, v16
	s_wait_dscnt 0x0
	v_cndmask_b32_e64 v39, v16, v36, s10
	v_cndmask_b32_e64 v49, v38, v16, s10
	v_cmp_le_i16_e64 s12, v39, v49
	s_and_b32 s11, s11, s12
	s_wait_alu 0xfffe
	s_or_b32 s11, s13, s11
	s_wait_alu 0xfffe
	v_cndmask_b32_e64 v20, v5, v9, s11
	v_cndmask_b32_e64 v16, v35, v50, s11
	s_delay_alu instid0(VALU_DEP_2) | instskip(NEXT) | instid1(VALU_DEP_2)
	v_add_nc_u32_e32 v17, 1, v20
	v_add_nc_u32_e32 v16, -1, v16
	s_delay_alu instid0(VALU_DEP_2) | instskip(NEXT) | instid1(VALU_DEP_2)
	v_cndmask_b32_e64 v9, v9, v17, s11
	v_min_u32_e32 v16, v17, v16
	v_cndmask_b32_e64 v5, v17, v5, s11
	s_delay_alu instid0(VALU_DEP_3) | instskip(NEXT) | instid1(VALU_DEP_3)
	v_cmp_lt_u32_e64 s12, v9, v50
	v_lshl_add_u32 v16, v16, 1, v12
	s_delay_alu instid0(VALU_DEP_3)
	v_cmp_ge_u32_e64 s14, v5, v35
	ds_load_u16 v16, v16
	s_wait_dscnt 0x0
	v_cndmask_b32_e64 v52, v16, v39, s11
	v_cndmask_b32_e64 v53, v49, v16, s11
	;; [unrolled: 1-line block ×3, first 2 shown]
	s_delay_alu instid0(VALU_DEP_2)
	v_cmp_le_i16_e64 s13, v52, v53
	s_and_b32 s12, s12, s13
	s_wait_alu 0xfffe
	s_or_b32 s12, s14, s12
	s_wait_alu 0xfffe
	v_cndmask_b32_e64 v21, v5, v9, s12
	v_cndmask_b32_e64 v16, v35, v50, s12
	;; [unrolled: 1-line block ×3, first 2 shown]
	s_delay_alu instid0(VALU_DEP_3) | instskip(NEXT) | instid1(VALU_DEP_3)
	v_add_nc_u32_e32 v17, 1, v21
	v_add_nc_u32_e32 v16, -1, v16
	v_lshl_add_u32 v24, v21, 3, v10
	s_delay_alu instid0(VALU_DEP_3) | instskip(NEXT) | instid1(VALU_DEP_3)
	v_cndmask_b32_e64 v9, v9, v17, s12
	v_min_u32_e32 v16, v17, v16
	v_cndmask_b32_e64 v5, v17, v5, s12
	s_delay_alu instid0(VALU_DEP_3) | instskip(NEXT) | instid1(VALU_DEP_3)
	v_cmp_lt_u32_e64 s13, v9, v50
	v_lshl_add_u32 v16, v16, 1, v12
	s_delay_alu instid0(VALU_DEP_3) | instskip(SKIP_4) | instid1(VALU_DEP_1)
	v_cmp_ge_u32_e64 s15, v5, v35
	ds_load_u16 v16, v16
	s_wait_dscnt 0x0
	v_cndmask_b32_e64 v54, v16, v52, s12
	v_cndmask_b32_e64 v55, v53, v16, s12
	v_cmp_le_i16_e64 s14, v54, v55
	s_and_b32 s13, s13, s14
	s_wait_alu 0xfffe
	s_or_b32 s13, s15, s13
	s_wait_alu 0xfffe
	v_cndmask_b32_e64 v22, v5, v9, s13
	v_cndmask_b32_e64 v16, v35, v50, s13
	;; [unrolled: 1-line block ×3, first 2 shown]
	s_delay_alu instid0(VALU_DEP_3) | instskip(NEXT) | instid1(VALU_DEP_3)
	v_add_nc_u32_e32 v17, 1, v22
	v_add_nc_u32_e32 v16, -1, v16
	v_lshl_add_u32 v32, v22, 3, v10
	s_delay_alu instid0(VALU_DEP_3) | instskip(NEXT) | instid1(VALU_DEP_3)
	v_cndmask_b32_e64 v9, v9, v17, s13
	v_min_u32_e32 v16, v17, v16
	v_cndmask_b32_e64 v23, v17, v5, s13
	v_lshl_add_u32 v17, v15, 3, v10
	s_delay_alu instid0(VALU_DEP_4) | instskip(NEXT) | instid1(VALU_DEP_4)
	v_cmp_lt_u32_e64 s14, v9, v50
	v_lshl_add_u32 v12, v16, 1, v12
	s_delay_alu instid0(VALU_DEP_4)
	v_cmp_ge_u32_e64 s16, v23, v35
	ds_load_u16 v12, v12
	ds_load_b64 v[4:5], v4 offset:4096
	ds_load_b64 v[15:16], v8 offset:4096
	;; [unrolled: 1-line block ×3, first 2 shown]
	s_wait_dscnt 0x3
	v_cndmask_b32_e64 v64, v12, v54, s13
	v_cndmask_b32_e64 v12, v55, v12, s13
	s_delay_alu instid0(VALU_DEP_1)
	v_cmp_le_i16_e64 s15, v64, v12
	s_and_b32 s14, s14, s15
	s_wait_alu 0xfffe
	s_or_b32 s14, s16, s14
	s_wait_alu 0xfffe
	v_cndmask_b32_e64 v8, v23, v9, s14
	v_lshl_add_u32 v9, v19, 3, v10
	v_lshl_add_u32 v23, v20, 3, v10
	v_cndmask_b32_e64 v38, v64, v12, s14
	s_delay_alu instid0(VALU_DEP_4)
	v_lshl_add_u32 v10, v8, 3, v10
	ds_load_b64 v[19:20], v9 offset:4096
	ds_load_b64 v[21:22], v23 offset:4096
	;; [unrolled: 1-line block ×5, first 2 shown]
	v_cndmask_b32_e64 v32, v28, v31, s9
.LBB926_224:
	s_wait_alu 0xfffe
	s_or_b32 exec_lo, exec_lo, s18
	; wave barrier
	s_wait_storecnt_dscnt 0x0
	s_barrier_signal -1
	s_barrier_wait -1
.LBB926_225:
	s_wait_alu 0xfffe
	s_or_b32 exec_lo, exec_lo, s17
	v_add_co_u32 v2, s7, v2, v13
	s_wait_alu 0xf1ff
	v_add_co_ci_u32_e64 v3, null, v3, v14, s7
	s_wait_storecnt 0x0
	s_wait_loadcnt_dscnt 0x0
	global_inv scope:SCOPE_SE
	v_add_co_u32 v2, s7, v2, v33
	s_wait_alu 0xf1ff
	v_add_co_ci_u32_e64 v3, null, 0, v3, s7
	; wave barrier
	s_and_saveexec_b32 s7, vcc_lo
	s_cbranch_execnz .LBB926_250
; %bb.226:
	s_wait_alu 0xfffe
	s_or_b32 exec_lo, exec_lo, s7
	s_and_saveexec_b32 s7, s0
	s_cbranch_execnz .LBB926_251
.LBB926_227:
	s_wait_alu 0xfffe
	s_or_b32 exec_lo, exec_lo, s7
	s_and_saveexec_b32 s7, s1
	s_cbranch_execnz .LBB926_252
.LBB926_228:
	s_wait_alu 0xfffe
	s_or_b32 exec_lo, exec_lo, s7
	s_and_saveexec_b32 s7, s2
	s_cbranch_execnz .LBB926_253
.LBB926_229:
	s_wait_alu 0xfffe
	s_or_b32 exec_lo, exec_lo, s7
	s_and_saveexec_b32 s7, s3
	s_cbranch_execnz .LBB926_254
.LBB926_230:
	s_wait_alu 0xfffe
	s_or_b32 exec_lo, exec_lo, s7
	s_and_saveexec_b32 s7, s4
	s_cbranch_execnz .LBB926_255
.LBB926_231:
	s_wait_alu 0xfffe
	s_or_b32 exec_lo, exec_lo, s7
	s_and_saveexec_b32 s7, s5
	s_cbranch_execnz .LBB926_256
.LBB926_232:
	s_wait_alu 0xfffe
	s_or_b32 exec_lo, exec_lo, s7
	s_and_saveexec_b32 s7, s6
	s_cbranch_execz .LBB926_234
.LBB926_233:
	flat_store_b16 v[2:3], v38 offset:14
.LBB926_234:
	s_wait_alu 0xfffe
	s_or_b32 exec_lo, exec_lo, s7
	v_add_co_u32 v0, s7, v6, v0
	s_wait_alu 0xf1ff
	v_add_co_ci_u32_e64 v1, null, v7, v1, s7
	s_delay_alu instid0(VALU_DEP_2) | instskip(SKIP_1) | instid1(VALU_DEP_2)
	v_add_co_u32 v0, s7, v0, v34
	s_wait_alu 0xf1ff
	v_add_co_ci_u32_e64 v1, null, 0, v1, s7
	; wave barrier
	s_and_saveexec_b32 s7, vcc_lo
	s_cbranch_execnz .LBB926_257
; %bb.235:
	s_wait_alu 0xfffe
	s_or_b32 exec_lo, exec_lo, s7
	s_and_saveexec_b32 s7, s0
	s_cbranch_execnz .LBB926_258
.LBB926_236:
	s_wait_alu 0xfffe
	s_or_b32 exec_lo, exec_lo, s7
	s_and_saveexec_b32 s0, s1
	s_cbranch_execnz .LBB926_259
.LBB926_237:
	s_wait_alu 0xfffe
	s_or_b32 exec_lo, exec_lo, s0
	s_and_saveexec_b32 s0, s2
	s_cbranch_execnz .LBB926_260
.LBB926_238:
	s_wait_alu 0xfffe
	s_or_b32 exec_lo, exec_lo, s0
	s_and_saveexec_b32 s0, s3
	s_cbranch_execnz .LBB926_261
.LBB926_239:
	s_wait_alu 0xfffe
	s_or_b32 exec_lo, exec_lo, s0
	s_and_saveexec_b32 s0, s4
	s_cbranch_execnz .LBB926_262
.LBB926_240:
	s_wait_alu 0xfffe
	s_or_b32 exec_lo, exec_lo, s0
	s_and_saveexec_b32 s0, s5
	s_cbranch_execnz .LBB926_263
.LBB926_241:
	s_wait_alu 0xfffe
	s_or_b32 exec_lo, exec_lo, s0
	s_and_saveexec_b32 s0, s6
	s_cbranch_execnz .LBB926_264
.LBB926_242:
	s_wait_alu 0xfffe
	s_or_b32 exec_lo, exec_lo, s0
	s_wait_loadcnt_dscnt 0x0
	s_setpc_b64 s[30:31]
.LBB926_243:
	flat_load_b64 v[4:5], v[27:28]
	s_wait_alu 0xfffe
	s_or_b32 exec_lo, exec_lo, s7
	s_and_saveexec_b32 s7, s0
                                        ; implicit-def: $vgpr15_vgpr16
	s_cbranch_execz .LBB926_18
.LBB926_244:
	flat_load_b64 v[15:16], v[27:28] offset:8
	s_wait_alu 0xfffe
	s_or_b32 exec_lo, exec_lo, s7
                                        ; implicit-def: $vgpr17_vgpr18
	s_and_saveexec_b32 s7, s1
	s_cbranch_execz .LBB926_19
.LBB926_245:
	flat_load_b64 v[17:18], v[27:28] offset:16
	s_wait_alu 0xfffe
	s_or_b32 exec_lo, exec_lo, s7
	s_and_saveexec_b32 s7, s2
                                        ; implicit-def: $vgpr19_vgpr20
	s_cbranch_execz .LBB926_20
.LBB926_246:
	flat_load_b64 v[19:20], v[27:28] offset:24
	s_wait_alu 0xfffe
	s_or_b32 exec_lo, exec_lo, s7
                                        ; implicit-def: $vgpr21_vgpr22
	s_and_saveexec_b32 s7, s3
	s_cbranch_execz .LBB926_21
.LBB926_247:
	flat_load_b64 v[21:22], v[27:28] offset:32
	s_wait_alu 0xfffe
	s_or_b32 exec_lo, exec_lo, s7
	s_and_saveexec_b32 s7, s4
                                        ; implicit-def: $vgpr25_vgpr26
	s_cbranch_execz .LBB926_22
.LBB926_248:
	flat_load_b64 v[25:26], v[27:28] offset:40
	s_wait_alu 0xfffe
	s_or_b32 exec_lo, exec_lo, s7
                                        ; implicit-def: $vgpr8_vgpr9
	s_and_saveexec_b32 s7, s5
	s_cbranch_execz .LBB926_23
.LBB926_249:
	flat_load_b64 v[8:9], v[27:28] offset:48
	s_wait_alu 0xfffe
	s_or_b32 exec_lo, exec_lo, s7
	s_and_saveexec_b32 s7, s6
                                        ; implicit-def: $vgpr23_vgpr24
	s_cbranch_execnz .LBB926_24
	s_branch .LBB926_25
.LBB926_250:
	flat_store_b16 v[2:3], v37
	s_wait_alu 0xfffe
	s_or_b32 exec_lo, exec_lo, s7
	s_and_saveexec_b32 s7, s0
	s_cbranch_execz .LBB926_227
.LBB926_251:
	flat_store_b16 v[2:3], v48 offset:2
	s_wait_alu 0xfffe
	s_or_b32 exec_lo, exec_lo, s7
	s_and_saveexec_b32 s7, s1
	s_cbranch_execz .LBB926_228
.LBB926_252:
	flat_store_b16 v[2:3], v32 offset:4
	s_wait_alu 0xfffe
	s_or_b32 exec_lo, exec_lo, s7
	s_and_saveexec_b32 s7, s2
	s_cbranch_execz .LBB926_229
.LBB926_253:
	flat_store_b16 v[2:3], v51 offset:6
	s_wait_alu 0xfffe
	s_or_b32 exec_lo, exec_lo, s7
	s_and_saveexec_b32 s7, s3
	s_cbranch_execz .LBB926_230
.LBB926_254:
	flat_store_b16 v[2:3], v49 offset:8
	s_wait_alu 0xfffe
	s_or_b32 exec_lo, exec_lo, s7
	s_and_saveexec_b32 s7, s4
	s_cbranch_execz .LBB926_231
.LBB926_255:
	flat_store_b16 v[2:3], v39 offset:10
	s_wait_alu 0xfffe
	s_or_b32 exec_lo, exec_lo, s7
	s_and_saveexec_b32 s7, s5
	s_cbranch_execz .LBB926_232
.LBB926_256:
	flat_store_b16 v[2:3], v52 offset:12
	s_wait_alu 0xfffe
	s_or_b32 exec_lo, exec_lo, s7
	s_and_saveexec_b32 s7, s6
	s_cbranch_execnz .LBB926_233
	s_branch .LBB926_234
.LBB926_257:
	flat_store_b64 v[0:1], v[4:5]
	s_wait_alu 0xfffe
	s_or_b32 exec_lo, exec_lo, s7
	s_and_saveexec_b32 s7, s0
	s_cbranch_execz .LBB926_236
.LBB926_258:
	flat_store_b64 v[0:1], v[15:16] offset:8
	s_wait_alu 0xfffe
	s_or_b32 exec_lo, exec_lo, s7
	s_and_saveexec_b32 s0, s1
	s_cbranch_execz .LBB926_237
.LBB926_259:
	flat_store_b64 v[0:1], v[17:18] offset:16
	s_wait_alu 0xfffe
	s_or_b32 exec_lo, exec_lo, s0
	s_and_saveexec_b32 s0, s2
	s_cbranch_execz .LBB926_238
.LBB926_260:
	flat_store_b64 v[0:1], v[19:20] offset:24
	s_wait_alu 0xfffe
	s_or_b32 exec_lo, exec_lo, s0
	s_and_saveexec_b32 s0, s3
	s_cbranch_execz .LBB926_239
.LBB926_261:
	flat_store_b64 v[0:1], v[21:22] offset:32
	s_wait_alu 0xfffe
	s_or_b32 exec_lo, exec_lo, s0
	s_and_saveexec_b32 s0, s4
	s_cbranch_execz .LBB926_240
.LBB926_262:
	flat_store_b64 v[0:1], v[25:26] offset:40
	s_wait_alu 0xfffe
	s_or_b32 exec_lo, exec_lo, s0
	s_and_saveexec_b32 s0, s5
	s_cbranch_execz .LBB926_241
.LBB926_263:
	flat_store_b64 v[0:1], v[8:9] offset:48
	s_wait_alu 0xfffe
	s_or_b32 exec_lo, exec_lo, s0
	s_and_saveexec_b32 s0, s6
	s_cbranch_execz .LBB926_242
.LBB926_264:
	flat_store_b64 v[0:1], v[23:24] offset:56
	s_wait_alu 0xfffe
	s_or_b32 exec_lo, exec_lo, s0
	s_wait_loadcnt_dscnt 0x0
	s_setpc_b64 s[30:31]
.Lfunc_end926:
	.size	_ZN7rocprim17ROCPRIM_400000_NS6detail26segmented_warp_sort_helperINS1_20WarpSortHelperConfigILj16ELj8ELj256EEEslLi256ELb1EvE4sortIPKsPsPKlPlEEvT_T0_T1_T2_jjjjRNS5_12storage_typeE, .Lfunc_end926-_ZN7rocprim17ROCPRIM_400000_NS6detail26segmented_warp_sort_helperINS1_20WarpSortHelperConfigILj16ELj8ELj256EEEslLi256ELb1EvE4sortIPKsPsPKlPlEEvT_T0_T1_T2_jjjjRNS5_12storage_typeE
                                        ; -- End function
	.set .L_ZN7rocprim17ROCPRIM_400000_NS6detail26segmented_warp_sort_helperINS1_20WarpSortHelperConfigILj16ELj8ELj256EEEslLi256ELb1EvE4sortIPKsPsPKlPlEEvT_T0_T1_T2_jjjjRNS5_12storage_typeE.num_vgpr, 81
	.set .L_ZN7rocprim17ROCPRIM_400000_NS6detail26segmented_warp_sort_helperINS1_20WarpSortHelperConfigILj16ELj8ELj256EEEslLi256ELb1EvE4sortIPKsPsPKlPlEEvT_T0_T1_T2_jjjjRNS5_12storage_typeE.num_agpr, 0
	.set .L_ZN7rocprim17ROCPRIM_400000_NS6detail26segmented_warp_sort_helperINS1_20WarpSortHelperConfigILj16ELj8ELj256EEEslLi256ELb1EvE4sortIPKsPsPKlPlEEvT_T0_T1_T2_jjjjRNS5_12storage_typeE.numbered_sgpr, 32
	.set .L_ZN7rocprim17ROCPRIM_400000_NS6detail26segmented_warp_sort_helperINS1_20WarpSortHelperConfigILj16ELj8ELj256EEEslLi256ELb1EvE4sortIPKsPsPKlPlEEvT_T0_T1_T2_jjjjRNS5_12storage_typeE.num_named_barrier, 0
	.set .L_ZN7rocprim17ROCPRIM_400000_NS6detail26segmented_warp_sort_helperINS1_20WarpSortHelperConfigILj16ELj8ELj256EEEslLi256ELb1EvE4sortIPKsPsPKlPlEEvT_T0_T1_T2_jjjjRNS5_12storage_typeE.private_seg_size, 0
	.set .L_ZN7rocprim17ROCPRIM_400000_NS6detail26segmented_warp_sort_helperINS1_20WarpSortHelperConfigILj16ELj8ELj256EEEslLi256ELb1EvE4sortIPKsPsPKlPlEEvT_T0_T1_T2_jjjjRNS5_12storage_typeE.uses_vcc, 1
	.set .L_ZN7rocprim17ROCPRIM_400000_NS6detail26segmented_warp_sort_helperINS1_20WarpSortHelperConfigILj16ELj8ELj256EEEslLi256ELb1EvE4sortIPKsPsPKlPlEEvT_T0_T1_T2_jjjjRNS5_12storage_typeE.uses_flat_scratch, 0
	.set .L_ZN7rocprim17ROCPRIM_400000_NS6detail26segmented_warp_sort_helperINS1_20WarpSortHelperConfigILj16ELj8ELj256EEEslLi256ELb1EvE4sortIPKsPsPKlPlEEvT_T0_T1_T2_jjjjRNS5_12storage_typeE.has_dyn_sized_stack, 0
	.set .L_ZN7rocprim17ROCPRIM_400000_NS6detail26segmented_warp_sort_helperINS1_20WarpSortHelperConfigILj16ELj8ELj256EEEslLi256ELb1EvE4sortIPKsPsPKlPlEEvT_T0_T1_T2_jjjjRNS5_12storage_typeE.has_recursion, 0
	.set .L_ZN7rocprim17ROCPRIM_400000_NS6detail26segmented_warp_sort_helperINS1_20WarpSortHelperConfigILj16ELj8ELj256EEEslLi256ELb1EvE4sortIPKsPsPKlPlEEvT_T0_T1_T2_jjjjRNS5_12storage_typeE.has_indirect_call, 0
	.section	.AMDGPU.csdata,"",@progbits
; Function info:
; codeLenInByte = 19536
; TotalNumSgprs: 34
; NumVgprs: 81
; ScratchSize: 0
; MemoryBound: 0
	.section	.text._ZN7rocprim17ROCPRIM_400000_NS6detail17trampoline_kernelINS0_14default_configENS1_36segmented_radix_sort_config_selectorIslEEZNS1_25segmented_radix_sort_implIS3_Lb1EPKsPsPKlPlN2at6native12_GLOBAL__N_18offset_tEEE10hipError_tPvRmT1_PNSt15iterator_traitsISK_E10value_typeET2_T3_PNSL_ISQ_E10value_typeET4_jRbjT5_SW_jjP12ihipStream_tbEUlT_E0_NS1_11comp_targetILNS1_3genE10ELNS1_11target_archE1201ELNS1_3gpuE5ELNS1_3repE0EEENS1_60segmented_radix_sort_warp_sort_medium_config_static_selectorELNS0_4arch9wavefront6targetE0EEEvSK_,"axG",@progbits,_ZN7rocprim17ROCPRIM_400000_NS6detail17trampoline_kernelINS0_14default_configENS1_36segmented_radix_sort_config_selectorIslEEZNS1_25segmented_radix_sort_implIS3_Lb1EPKsPsPKlPlN2at6native12_GLOBAL__N_18offset_tEEE10hipError_tPvRmT1_PNSt15iterator_traitsISK_E10value_typeET2_T3_PNSL_ISQ_E10value_typeET4_jRbjT5_SW_jjP12ihipStream_tbEUlT_E0_NS1_11comp_targetILNS1_3genE10ELNS1_11target_archE1201ELNS1_3gpuE5ELNS1_3repE0EEENS1_60segmented_radix_sort_warp_sort_medium_config_static_selectorELNS0_4arch9wavefront6targetE0EEEvSK_,comdat
	.globl	_ZN7rocprim17ROCPRIM_400000_NS6detail17trampoline_kernelINS0_14default_configENS1_36segmented_radix_sort_config_selectorIslEEZNS1_25segmented_radix_sort_implIS3_Lb1EPKsPsPKlPlN2at6native12_GLOBAL__N_18offset_tEEE10hipError_tPvRmT1_PNSt15iterator_traitsISK_E10value_typeET2_T3_PNSL_ISQ_E10value_typeET4_jRbjT5_SW_jjP12ihipStream_tbEUlT_E0_NS1_11comp_targetILNS1_3genE10ELNS1_11target_archE1201ELNS1_3gpuE5ELNS1_3repE0EEENS1_60segmented_radix_sort_warp_sort_medium_config_static_selectorELNS0_4arch9wavefront6targetE0EEEvSK_ ; -- Begin function _ZN7rocprim17ROCPRIM_400000_NS6detail17trampoline_kernelINS0_14default_configENS1_36segmented_radix_sort_config_selectorIslEEZNS1_25segmented_radix_sort_implIS3_Lb1EPKsPsPKlPlN2at6native12_GLOBAL__N_18offset_tEEE10hipError_tPvRmT1_PNSt15iterator_traitsISK_E10value_typeET2_T3_PNSL_ISQ_E10value_typeET4_jRbjT5_SW_jjP12ihipStream_tbEUlT_E0_NS1_11comp_targetILNS1_3genE10ELNS1_11target_archE1201ELNS1_3gpuE5ELNS1_3repE0EEENS1_60segmented_radix_sort_warp_sort_medium_config_static_selectorELNS0_4arch9wavefront6targetE0EEEvSK_
	.p2align	8
	.type	_ZN7rocprim17ROCPRIM_400000_NS6detail17trampoline_kernelINS0_14default_configENS1_36segmented_radix_sort_config_selectorIslEEZNS1_25segmented_radix_sort_implIS3_Lb1EPKsPsPKlPlN2at6native12_GLOBAL__N_18offset_tEEE10hipError_tPvRmT1_PNSt15iterator_traitsISK_E10value_typeET2_T3_PNSL_ISQ_E10value_typeET4_jRbjT5_SW_jjP12ihipStream_tbEUlT_E0_NS1_11comp_targetILNS1_3genE10ELNS1_11target_archE1201ELNS1_3gpuE5ELNS1_3repE0EEENS1_60segmented_radix_sort_warp_sort_medium_config_static_selectorELNS0_4arch9wavefront6targetE0EEEvSK_,@function
_ZN7rocprim17ROCPRIM_400000_NS6detail17trampoline_kernelINS0_14default_configENS1_36segmented_radix_sort_config_selectorIslEEZNS1_25segmented_radix_sort_implIS3_Lb1EPKsPsPKlPlN2at6native12_GLOBAL__N_18offset_tEEE10hipError_tPvRmT1_PNSt15iterator_traitsISK_E10value_typeET2_T3_PNSL_ISQ_E10value_typeET4_jRbjT5_SW_jjP12ihipStream_tbEUlT_E0_NS1_11comp_targetILNS1_3genE10ELNS1_11target_archE1201ELNS1_3gpuE5ELNS1_3repE0EEENS1_60segmented_radix_sort_warp_sort_medium_config_static_selectorELNS0_4arch9wavefront6targetE0EEEvSK_: ; @_ZN7rocprim17ROCPRIM_400000_NS6detail17trampoline_kernelINS0_14default_configENS1_36segmented_radix_sort_config_selectorIslEEZNS1_25segmented_radix_sort_implIS3_Lb1EPKsPsPKlPlN2at6native12_GLOBAL__N_18offset_tEEE10hipError_tPvRmT1_PNSt15iterator_traitsISK_E10value_typeET2_T3_PNSL_ISQ_E10value_typeET4_jRbjT5_SW_jjP12ihipStream_tbEUlT_E0_NS1_11comp_targetILNS1_3genE10ELNS1_11target_archE1201ELNS1_3gpuE5ELNS1_3repE0EEENS1_60segmented_radix_sort_warp_sort_medium_config_static_selectorELNS0_4arch9wavefront6targetE0EEEvSK_
; %bb.0:
	s_load_b32 s2, s[0:1], 0x64
	v_bfe_u32 v1, v0, 10, 10
	v_bfe_u32 v2, v0, 20, 10
	s_mov_b32 s32, 0
	s_wait_kmcnt 0x0
	s_lshr_b32 s3, s2, 16
	s_and_b32 s2, s2, 0xffff
	v_mad_u32_u24 v2, v2, s3, v1
	v_and_b32_e32 v1, 0x3ff, v0
	s_load_b32 s3, s[0:1], 0x34
	s_delay_alu instid0(VALU_DEP_1) | instskip(SKIP_2) | instid1(VALU_DEP_1)
	v_mad_co_u64_u32 v[1:2], null, v2, s2, v[1:2]
	s_mov_b32 s2, exec_lo
	v_lshrrev_b32_e32 v1, 4, v1
	v_lshl_add_u32 v1, ttmp9, 4, v1
	s_wait_kmcnt 0x0
	s_delay_alu instid0(VALU_DEP_1)
	v_cmpx_gt_u32_e64 s3, v1
	s_cbranch_execz .LBB927_6
; %bb.1:
	s_clause 0x1
	s_load_b64 s[2:3], s[0:1], 0x38
	s_load_b128 s[4:7], s[0:1], 0x40
	v_mov_b32_e32 v2, 0
	s_delay_alu instid0(VALU_DEP_1) | instskip(SKIP_1) | instid1(VALU_DEP_1)
	v_lshlrev_b64_e32 v[1:2], 2, v[1:2]
	s_wait_kmcnt 0x0
	v_add_co_u32 v1, vcc_lo, s2, v1
	s_delay_alu instid0(VALU_DEP_1) | instskip(SKIP_4) | instid1(VALU_DEP_2)
	v_add_co_ci_u32_e64 v2, null, s3, v2, vcc_lo
	global_load_b32 v1, v[1:2], off
	s_wait_loadcnt 0x0
	v_add_nc_u32_e32 v2, s5, v1
	v_add_nc_u32_e32 v1, s7, v1
	v_mul_lo_u32 v40, v2, s4
	s_delay_alu instid0(VALU_DEP_2) | instskip(NEXT) | instid1(VALU_DEP_1)
	v_mul_lo_u32 v41, v1, s6
	v_cmp_gt_u32_e32 vcc_lo, v41, v40
	s_and_b32 exec_lo, exec_lo, vcc_lo
	s_cbranch_execz .LBB927_6
; %bb.2:
	s_clause 0x3
	s_load_b32 s2, s[0:1], 0x30
	s_load_b128 s[24:27], s[0:1], 0x20
	s_load_b256 s[36:43], s[0:1], 0x0
	s_load_b64 s[28:29], s[0:1], 0x50
	s_add_nc_u64 s[22:23], s[0:1], 0x58
	s_wait_kmcnt 0x0
	s_bitcmp0_b32 s2, 0
	s_mov_b32 s2, -1
	s_cbranch_scc0 .LBB927_4
; %bb.3:
	v_dual_mov_b32 v31, v0 :: v_dual_mov_b32 v42, v0
	v_dual_mov_b32 v0, s36 :: v_dual_mov_b32 v1, s37
	;; [unrolled: 1-line block ×7, first 2 shown]
	s_getpc_b64 s[0:1]
	s_wait_alu 0xfffe
	s_sext_i32_i16 s1, s1
	s_add_co_u32 s0, s0, _ZN7rocprim17ROCPRIM_400000_NS6detail26segmented_warp_sort_helperINS1_20WarpSortHelperConfigILj16ELj8ELj256EEEslLi256ELb1EvE4sortIPKsPsPKlPlEEvT_T0_T1_T2_jjjjRNS5_12storage_typeE@rel32@lo+12
	s_wait_alu 0xfffe
	s_add_co_ci_u32 s1, s1, _ZN7rocprim17ROCPRIM_400000_NS6detail26segmented_warp_sort_helperINS1_20WarpSortHelperConfigILj16ELj8ELj256EEEslLi256ELb1EvE4sortIPKsPsPKlPlEEvT_T0_T1_T2_jjjjRNS5_12storage_typeE@rel32@hi+24
	s_mov_b64 s[8:9], s[22:23]
	s_wait_alu 0xfffe
	s_swappc_b64 s[30:31], s[0:1]
	v_mov_b32_e32 v0, v42
	s_mov_b32 s2, 0
.LBB927_4:
	s_wait_alu 0xfffe
	s_and_not1_b32 vcc_lo, exec_lo, s2
	s_wait_alu 0xfffe
	s_cbranch_vccnz .LBB927_6
; %bb.5:
	v_dual_mov_b32 v31, v0 :: v_dual_mov_b32 v0, s36
	v_dual_mov_b32 v1, s37 :: v_dual_mov_b32 v2, s40
	;; [unrolled: 1-line block ×6, first 2 shown]
	v_mov_b32_e32 v11, s29
	s_getpc_b64 s[0:1]
	s_wait_alu 0xfffe
	s_sext_i32_i16 s1, s1
	s_add_co_u32 s0, s0, _ZN7rocprim17ROCPRIM_400000_NS6detail26segmented_warp_sort_helperINS1_20WarpSortHelperConfigILj16ELj8ELj256EEEslLi256ELb1EvE4sortIPKsPsPKlPlEEvT_T0_T1_T2_jjjjRNS5_12storage_typeE@rel32@lo+12
	s_wait_alu 0xfffe
	s_add_co_ci_u32 s1, s1, _ZN7rocprim17ROCPRIM_400000_NS6detail26segmented_warp_sort_helperINS1_20WarpSortHelperConfigILj16ELj8ELj256EEEslLi256ELb1EvE4sortIPKsPsPKlPlEEvT_T0_T1_T2_jjjjRNS5_12storage_typeE@rel32@hi+24
	s_mov_b64 s[8:9], s[22:23]
	s_wait_alu 0xfffe
	s_swappc_b64 s[30:31], s[0:1]
.LBB927_6:
	s_endpgm
	.section	.rodata,"a",@progbits
	.p2align	6, 0x0
	.amdhsa_kernel _ZN7rocprim17ROCPRIM_400000_NS6detail17trampoline_kernelINS0_14default_configENS1_36segmented_radix_sort_config_selectorIslEEZNS1_25segmented_radix_sort_implIS3_Lb1EPKsPsPKlPlN2at6native12_GLOBAL__N_18offset_tEEE10hipError_tPvRmT1_PNSt15iterator_traitsISK_E10value_typeET2_T3_PNSL_ISQ_E10value_typeET4_jRbjT5_SW_jjP12ihipStream_tbEUlT_E0_NS1_11comp_targetILNS1_3genE10ELNS1_11target_archE1201ELNS1_3gpuE5ELNS1_3repE0EEENS1_60segmented_radix_sort_warp_sort_medium_config_static_selectorELNS0_4arch9wavefront6targetE0EEEvSK_
		.amdhsa_group_segment_fixed_size 20480
		.amdhsa_private_segment_fixed_size 0
		.amdhsa_kernarg_size 344
		.amdhsa_user_sgpr_count 2
		.amdhsa_user_sgpr_dispatch_ptr 0
		.amdhsa_user_sgpr_queue_ptr 0
		.amdhsa_user_sgpr_kernarg_segment_ptr 1
		.amdhsa_user_sgpr_dispatch_id 0
		.amdhsa_user_sgpr_private_segment_size 0
		.amdhsa_wavefront_size32 1
		.amdhsa_uses_dynamic_stack 0
		.amdhsa_enable_private_segment 0
		.amdhsa_system_sgpr_workgroup_id_x 1
		.amdhsa_system_sgpr_workgroup_id_y 1
		.amdhsa_system_sgpr_workgroup_id_z 0
		.amdhsa_system_sgpr_workgroup_info 0
		.amdhsa_system_vgpr_workitem_id 2
		.amdhsa_next_free_vgpr 97
		.amdhsa_next_free_sgpr 44
		.amdhsa_reserve_vcc 1
		.amdhsa_float_round_mode_32 0
		.amdhsa_float_round_mode_16_64 0
		.amdhsa_float_denorm_mode_32 3
		.amdhsa_float_denorm_mode_16_64 3
		.amdhsa_fp16_overflow 0
		.amdhsa_workgroup_processor_mode 1
		.amdhsa_memory_ordered 1
		.amdhsa_forward_progress 1
		.amdhsa_inst_pref_size 4
		.amdhsa_round_robin_scheduling 0
		.amdhsa_exception_fp_ieee_invalid_op 0
		.amdhsa_exception_fp_denorm_src 0
		.amdhsa_exception_fp_ieee_div_zero 0
		.amdhsa_exception_fp_ieee_overflow 0
		.amdhsa_exception_fp_ieee_underflow 0
		.amdhsa_exception_fp_ieee_inexact 0
		.amdhsa_exception_int_div_zero 0
	.end_amdhsa_kernel
	.section	.text._ZN7rocprim17ROCPRIM_400000_NS6detail17trampoline_kernelINS0_14default_configENS1_36segmented_radix_sort_config_selectorIslEEZNS1_25segmented_radix_sort_implIS3_Lb1EPKsPsPKlPlN2at6native12_GLOBAL__N_18offset_tEEE10hipError_tPvRmT1_PNSt15iterator_traitsISK_E10value_typeET2_T3_PNSL_ISQ_E10value_typeET4_jRbjT5_SW_jjP12ihipStream_tbEUlT_E0_NS1_11comp_targetILNS1_3genE10ELNS1_11target_archE1201ELNS1_3gpuE5ELNS1_3repE0EEENS1_60segmented_radix_sort_warp_sort_medium_config_static_selectorELNS0_4arch9wavefront6targetE0EEEvSK_,"axG",@progbits,_ZN7rocprim17ROCPRIM_400000_NS6detail17trampoline_kernelINS0_14default_configENS1_36segmented_radix_sort_config_selectorIslEEZNS1_25segmented_radix_sort_implIS3_Lb1EPKsPsPKlPlN2at6native12_GLOBAL__N_18offset_tEEE10hipError_tPvRmT1_PNSt15iterator_traitsISK_E10value_typeET2_T3_PNSL_ISQ_E10value_typeET4_jRbjT5_SW_jjP12ihipStream_tbEUlT_E0_NS1_11comp_targetILNS1_3genE10ELNS1_11target_archE1201ELNS1_3gpuE5ELNS1_3repE0EEENS1_60segmented_radix_sort_warp_sort_medium_config_static_selectorELNS0_4arch9wavefront6targetE0EEEvSK_,comdat
.Lfunc_end927:
	.size	_ZN7rocprim17ROCPRIM_400000_NS6detail17trampoline_kernelINS0_14default_configENS1_36segmented_radix_sort_config_selectorIslEEZNS1_25segmented_radix_sort_implIS3_Lb1EPKsPsPKlPlN2at6native12_GLOBAL__N_18offset_tEEE10hipError_tPvRmT1_PNSt15iterator_traitsISK_E10value_typeET2_T3_PNSL_ISQ_E10value_typeET4_jRbjT5_SW_jjP12ihipStream_tbEUlT_E0_NS1_11comp_targetILNS1_3genE10ELNS1_11target_archE1201ELNS1_3gpuE5ELNS1_3repE0EEENS1_60segmented_radix_sort_warp_sort_medium_config_static_selectorELNS0_4arch9wavefront6targetE0EEEvSK_, .Lfunc_end927-_ZN7rocprim17ROCPRIM_400000_NS6detail17trampoline_kernelINS0_14default_configENS1_36segmented_radix_sort_config_selectorIslEEZNS1_25segmented_radix_sort_implIS3_Lb1EPKsPsPKlPlN2at6native12_GLOBAL__N_18offset_tEEE10hipError_tPvRmT1_PNSt15iterator_traitsISK_E10value_typeET2_T3_PNSL_ISQ_E10value_typeET4_jRbjT5_SW_jjP12ihipStream_tbEUlT_E0_NS1_11comp_targetILNS1_3genE10ELNS1_11target_archE1201ELNS1_3gpuE5ELNS1_3repE0EEENS1_60segmented_radix_sort_warp_sort_medium_config_static_selectorELNS0_4arch9wavefront6targetE0EEEvSK_
                                        ; -- End function
	.set _ZN7rocprim17ROCPRIM_400000_NS6detail17trampoline_kernelINS0_14default_configENS1_36segmented_radix_sort_config_selectorIslEEZNS1_25segmented_radix_sort_implIS3_Lb1EPKsPsPKlPlN2at6native12_GLOBAL__N_18offset_tEEE10hipError_tPvRmT1_PNSt15iterator_traitsISK_E10value_typeET2_T3_PNSL_ISQ_E10value_typeET4_jRbjT5_SW_jjP12ihipStream_tbEUlT_E0_NS1_11comp_targetILNS1_3genE10ELNS1_11target_archE1201ELNS1_3gpuE5ELNS1_3repE0EEENS1_60segmented_radix_sort_warp_sort_medium_config_static_selectorELNS0_4arch9wavefront6targetE0EEEvSK_.num_vgpr, max(43, .L_ZN7rocprim17ROCPRIM_400000_NS6detail26segmented_warp_sort_helperINS1_20WarpSortHelperConfigILj16ELj8ELj256EEEslLi256ELb1EvE4sortIPKsPsPKlPlEEvT_T0_T1_T2_jjjjRNS5_12storage_typeE.num_vgpr)
	.set _ZN7rocprim17ROCPRIM_400000_NS6detail17trampoline_kernelINS0_14default_configENS1_36segmented_radix_sort_config_selectorIslEEZNS1_25segmented_radix_sort_implIS3_Lb1EPKsPsPKlPlN2at6native12_GLOBAL__N_18offset_tEEE10hipError_tPvRmT1_PNSt15iterator_traitsISK_E10value_typeET2_T3_PNSL_ISQ_E10value_typeET4_jRbjT5_SW_jjP12ihipStream_tbEUlT_E0_NS1_11comp_targetILNS1_3genE10ELNS1_11target_archE1201ELNS1_3gpuE5ELNS1_3repE0EEENS1_60segmented_radix_sort_warp_sort_medium_config_static_selectorELNS0_4arch9wavefront6targetE0EEEvSK_.num_agpr, max(0, .L_ZN7rocprim17ROCPRIM_400000_NS6detail26segmented_warp_sort_helperINS1_20WarpSortHelperConfigILj16ELj8ELj256EEEslLi256ELb1EvE4sortIPKsPsPKlPlEEvT_T0_T1_T2_jjjjRNS5_12storage_typeE.num_agpr)
	.set _ZN7rocprim17ROCPRIM_400000_NS6detail17trampoline_kernelINS0_14default_configENS1_36segmented_radix_sort_config_selectorIslEEZNS1_25segmented_radix_sort_implIS3_Lb1EPKsPsPKlPlN2at6native12_GLOBAL__N_18offset_tEEE10hipError_tPvRmT1_PNSt15iterator_traitsISK_E10value_typeET2_T3_PNSL_ISQ_E10value_typeET4_jRbjT5_SW_jjP12ihipStream_tbEUlT_E0_NS1_11comp_targetILNS1_3genE10ELNS1_11target_archE1201ELNS1_3gpuE5ELNS1_3repE0EEENS1_60segmented_radix_sort_warp_sort_medium_config_static_selectorELNS0_4arch9wavefront6targetE0EEEvSK_.numbered_sgpr, max(44, .L_ZN7rocprim17ROCPRIM_400000_NS6detail26segmented_warp_sort_helperINS1_20WarpSortHelperConfigILj16ELj8ELj256EEEslLi256ELb1EvE4sortIPKsPsPKlPlEEvT_T0_T1_T2_jjjjRNS5_12storage_typeE.numbered_sgpr)
	.set _ZN7rocprim17ROCPRIM_400000_NS6detail17trampoline_kernelINS0_14default_configENS1_36segmented_radix_sort_config_selectorIslEEZNS1_25segmented_radix_sort_implIS3_Lb1EPKsPsPKlPlN2at6native12_GLOBAL__N_18offset_tEEE10hipError_tPvRmT1_PNSt15iterator_traitsISK_E10value_typeET2_T3_PNSL_ISQ_E10value_typeET4_jRbjT5_SW_jjP12ihipStream_tbEUlT_E0_NS1_11comp_targetILNS1_3genE10ELNS1_11target_archE1201ELNS1_3gpuE5ELNS1_3repE0EEENS1_60segmented_radix_sort_warp_sort_medium_config_static_selectorELNS0_4arch9wavefront6targetE0EEEvSK_.num_named_barrier, max(0, .L_ZN7rocprim17ROCPRIM_400000_NS6detail26segmented_warp_sort_helperINS1_20WarpSortHelperConfigILj16ELj8ELj256EEEslLi256ELb1EvE4sortIPKsPsPKlPlEEvT_T0_T1_T2_jjjjRNS5_12storage_typeE.num_named_barrier)
	.set _ZN7rocprim17ROCPRIM_400000_NS6detail17trampoline_kernelINS0_14default_configENS1_36segmented_radix_sort_config_selectorIslEEZNS1_25segmented_radix_sort_implIS3_Lb1EPKsPsPKlPlN2at6native12_GLOBAL__N_18offset_tEEE10hipError_tPvRmT1_PNSt15iterator_traitsISK_E10value_typeET2_T3_PNSL_ISQ_E10value_typeET4_jRbjT5_SW_jjP12ihipStream_tbEUlT_E0_NS1_11comp_targetILNS1_3genE10ELNS1_11target_archE1201ELNS1_3gpuE5ELNS1_3repE0EEENS1_60segmented_radix_sort_warp_sort_medium_config_static_selectorELNS0_4arch9wavefront6targetE0EEEvSK_.private_seg_size, 0+max(.L_ZN7rocprim17ROCPRIM_400000_NS6detail26segmented_warp_sort_helperINS1_20WarpSortHelperConfigILj16ELj8ELj256EEEslLi256ELb1EvE4sortIPKsPsPKlPlEEvT_T0_T1_T2_jjjjRNS5_12storage_typeE.private_seg_size)
	.set _ZN7rocprim17ROCPRIM_400000_NS6detail17trampoline_kernelINS0_14default_configENS1_36segmented_radix_sort_config_selectorIslEEZNS1_25segmented_radix_sort_implIS3_Lb1EPKsPsPKlPlN2at6native12_GLOBAL__N_18offset_tEEE10hipError_tPvRmT1_PNSt15iterator_traitsISK_E10value_typeET2_T3_PNSL_ISQ_E10value_typeET4_jRbjT5_SW_jjP12ihipStream_tbEUlT_E0_NS1_11comp_targetILNS1_3genE10ELNS1_11target_archE1201ELNS1_3gpuE5ELNS1_3repE0EEENS1_60segmented_radix_sort_warp_sort_medium_config_static_selectorELNS0_4arch9wavefront6targetE0EEEvSK_.uses_vcc, or(1, .L_ZN7rocprim17ROCPRIM_400000_NS6detail26segmented_warp_sort_helperINS1_20WarpSortHelperConfigILj16ELj8ELj256EEEslLi256ELb1EvE4sortIPKsPsPKlPlEEvT_T0_T1_T2_jjjjRNS5_12storage_typeE.uses_vcc)
	.set _ZN7rocprim17ROCPRIM_400000_NS6detail17trampoline_kernelINS0_14default_configENS1_36segmented_radix_sort_config_selectorIslEEZNS1_25segmented_radix_sort_implIS3_Lb1EPKsPsPKlPlN2at6native12_GLOBAL__N_18offset_tEEE10hipError_tPvRmT1_PNSt15iterator_traitsISK_E10value_typeET2_T3_PNSL_ISQ_E10value_typeET4_jRbjT5_SW_jjP12ihipStream_tbEUlT_E0_NS1_11comp_targetILNS1_3genE10ELNS1_11target_archE1201ELNS1_3gpuE5ELNS1_3repE0EEENS1_60segmented_radix_sort_warp_sort_medium_config_static_selectorELNS0_4arch9wavefront6targetE0EEEvSK_.uses_flat_scratch, or(0, .L_ZN7rocprim17ROCPRIM_400000_NS6detail26segmented_warp_sort_helperINS1_20WarpSortHelperConfigILj16ELj8ELj256EEEslLi256ELb1EvE4sortIPKsPsPKlPlEEvT_T0_T1_T2_jjjjRNS5_12storage_typeE.uses_flat_scratch)
	.set _ZN7rocprim17ROCPRIM_400000_NS6detail17trampoline_kernelINS0_14default_configENS1_36segmented_radix_sort_config_selectorIslEEZNS1_25segmented_radix_sort_implIS3_Lb1EPKsPsPKlPlN2at6native12_GLOBAL__N_18offset_tEEE10hipError_tPvRmT1_PNSt15iterator_traitsISK_E10value_typeET2_T3_PNSL_ISQ_E10value_typeET4_jRbjT5_SW_jjP12ihipStream_tbEUlT_E0_NS1_11comp_targetILNS1_3genE10ELNS1_11target_archE1201ELNS1_3gpuE5ELNS1_3repE0EEENS1_60segmented_radix_sort_warp_sort_medium_config_static_selectorELNS0_4arch9wavefront6targetE0EEEvSK_.has_dyn_sized_stack, or(0, .L_ZN7rocprim17ROCPRIM_400000_NS6detail26segmented_warp_sort_helperINS1_20WarpSortHelperConfigILj16ELj8ELj256EEEslLi256ELb1EvE4sortIPKsPsPKlPlEEvT_T0_T1_T2_jjjjRNS5_12storage_typeE.has_dyn_sized_stack)
	.set _ZN7rocprim17ROCPRIM_400000_NS6detail17trampoline_kernelINS0_14default_configENS1_36segmented_radix_sort_config_selectorIslEEZNS1_25segmented_radix_sort_implIS3_Lb1EPKsPsPKlPlN2at6native12_GLOBAL__N_18offset_tEEE10hipError_tPvRmT1_PNSt15iterator_traitsISK_E10value_typeET2_T3_PNSL_ISQ_E10value_typeET4_jRbjT5_SW_jjP12ihipStream_tbEUlT_E0_NS1_11comp_targetILNS1_3genE10ELNS1_11target_archE1201ELNS1_3gpuE5ELNS1_3repE0EEENS1_60segmented_radix_sort_warp_sort_medium_config_static_selectorELNS0_4arch9wavefront6targetE0EEEvSK_.has_recursion, or(0, .L_ZN7rocprim17ROCPRIM_400000_NS6detail26segmented_warp_sort_helperINS1_20WarpSortHelperConfigILj16ELj8ELj256EEEslLi256ELb1EvE4sortIPKsPsPKlPlEEvT_T0_T1_T2_jjjjRNS5_12storage_typeE.has_recursion)
	.set _ZN7rocprim17ROCPRIM_400000_NS6detail17trampoline_kernelINS0_14default_configENS1_36segmented_radix_sort_config_selectorIslEEZNS1_25segmented_radix_sort_implIS3_Lb1EPKsPsPKlPlN2at6native12_GLOBAL__N_18offset_tEEE10hipError_tPvRmT1_PNSt15iterator_traitsISK_E10value_typeET2_T3_PNSL_ISQ_E10value_typeET4_jRbjT5_SW_jjP12ihipStream_tbEUlT_E0_NS1_11comp_targetILNS1_3genE10ELNS1_11target_archE1201ELNS1_3gpuE5ELNS1_3repE0EEENS1_60segmented_radix_sort_warp_sort_medium_config_static_selectorELNS0_4arch9wavefront6targetE0EEEvSK_.has_indirect_call, or(0, .L_ZN7rocprim17ROCPRIM_400000_NS6detail26segmented_warp_sort_helperINS1_20WarpSortHelperConfigILj16ELj8ELj256EEEslLi256ELb1EvE4sortIPKsPsPKlPlEEvT_T0_T1_T2_jjjjRNS5_12storage_typeE.has_indirect_call)
	.section	.AMDGPU.csdata,"",@progbits
; Kernel info:
; codeLenInByte = 512
; TotalNumSgprs: 46
; NumVgprs: 81
; ScratchSize: 0
; MemoryBound: 0
; FloatMode: 240
; IeeeMode: 1
; LDSByteSize: 20480 bytes/workgroup (compile time only)
; SGPRBlocks: 0
; VGPRBlocks: 12
; NumSGPRsForWavesPerEU: 46
; NumVGPRsForWavesPerEU: 97
; Occupancy: 12
; WaveLimiterHint : 0
; COMPUTE_PGM_RSRC2:SCRATCH_EN: 0
; COMPUTE_PGM_RSRC2:USER_SGPR: 2
; COMPUTE_PGM_RSRC2:TRAP_HANDLER: 0
; COMPUTE_PGM_RSRC2:TGID_X_EN: 1
; COMPUTE_PGM_RSRC2:TGID_Y_EN: 1
; COMPUTE_PGM_RSRC2:TGID_Z_EN: 0
; COMPUTE_PGM_RSRC2:TIDIG_COMP_CNT: 2
	.section	.text._ZN7rocprim17ROCPRIM_400000_NS6detail17trampoline_kernelINS0_14default_configENS1_36segmented_radix_sort_config_selectorIslEEZNS1_25segmented_radix_sort_implIS3_Lb1EPKsPsPKlPlN2at6native12_GLOBAL__N_18offset_tEEE10hipError_tPvRmT1_PNSt15iterator_traitsISK_E10value_typeET2_T3_PNSL_ISQ_E10value_typeET4_jRbjT5_SW_jjP12ihipStream_tbEUlT_E0_NS1_11comp_targetILNS1_3genE10ELNS1_11target_archE1200ELNS1_3gpuE4ELNS1_3repE0EEENS1_60segmented_radix_sort_warp_sort_medium_config_static_selectorELNS0_4arch9wavefront6targetE0EEEvSK_,"axG",@progbits,_ZN7rocprim17ROCPRIM_400000_NS6detail17trampoline_kernelINS0_14default_configENS1_36segmented_radix_sort_config_selectorIslEEZNS1_25segmented_radix_sort_implIS3_Lb1EPKsPsPKlPlN2at6native12_GLOBAL__N_18offset_tEEE10hipError_tPvRmT1_PNSt15iterator_traitsISK_E10value_typeET2_T3_PNSL_ISQ_E10value_typeET4_jRbjT5_SW_jjP12ihipStream_tbEUlT_E0_NS1_11comp_targetILNS1_3genE10ELNS1_11target_archE1200ELNS1_3gpuE4ELNS1_3repE0EEENS1_60segmented_radix_sort_warp_sort_medium_config_static_selectorELNS0_4arch9wavefront6targetE0EEEvSK_,comdat
	.globl	_ZN7rocprim17ROCPRIM_400000_NS6detail17trampoline_kernelINS0_14default_configENS1_36segmented_radix_sort_config_selectorIslEEZNS1_25segmented_radix_sort_implIS3_Lb1EPKsPsPKlPlN2at6native12_GLOBAL__N_18offset_tEEE10hipError_tPvRmT1_PNSt15iterator_traitsISK_E10value_typeET2_T3_PNSL_ISQ_E10value_typeET4_jRbjT5_SW_jjP12ihipStream_tbEUlT_E0_NS1_11comp_targetILNS1_3genE10ELNS1_11target_archE1200ELNS1_3gpuE4ELNS1_3repE0EEENS1_60segmented_radix_sort_warp_sort_medium_config_static_selectorELNS0_4arch9wavefront6targetE0EEEvSK_ ; -- Begin function _ZN7rocprim17ROCPRIM_400000_NS6detail17trampoline_kernelINS0_14default_configENS1_36segmented_radix_sort_config_selectorIslEEZNS1_25segmented_radix_sort_implIS3_Lb1EPKsPsPKlPlN2at6native12_GLOBAL__N_18offset_tEEE10hipError_tPvRmT1_PNSt15iterator_traitsISK_E10value_typeET2_T3_PNSL_ISQ_E10value_typeET4_jRbjT5_SW_jjP12ihipStream_tbEUlT_E0_NS1_11comp_targetILNS1_3genE10ELNS1_11target_archE1200ELNS1_3gpuE4ELNS1_3repE0EEENS1_60segmented_radix_sort_warp_sort_medium_config_static_selectorELNS0_4arch9wavefront6targetE0EEEvSK_
	.p2align	8
	.type	_ZN7rocprim17ROCPRIM_400000_NS6detail17trampoline_kernelINS0_14default_configENS1_36segmented_radix_sort_config_selectorIslEEZNS1_25segmented_radix_sort_implIS3_Lb1EPKsPsPKlPlN2at6native12_GLOBAL__N_18offset_tEEE10hipError_tPvRmT1_PNSt15iterator_traitsISK_E10value_typeET2_T3_PNSL_ISQ_E10value_typeET4_jRbjT5_SW_jjP12ihipStream_tbEUlT_E0_NS1_11comp_targetILNS1_3genE10ELNS1_11target_archE1200ELNS1_3gpuE4ELNS1_3repE0EEENS1_60segmented_radix_sort_warp_sort_medium_config_static_selectorELNS0_4arch9wavefront6targetE0EEEvSK_,@function
_ZN7rocprim17ROCPRIM_400000_NS6detail17trampoline_kernelINS0_14default_configENS1_36segmented_radix_sort_config_selectorIslEEZNS1_25segmented_radix_sort_implIS3_Lb1EPKsPsPKlPlN2at6native12_GLOBAL__N_18offset_tEEE10hipError_tPvRmT1_PNSt15iterator_traitsISK_E10value_typeET2_T3_PNSL_ISQ_E10value_typeET4_jRbjT5_SW_jjP12ihipStream_tbEUlT_E0_NS1_11comp_targetILNS1_3genE10ELNS1_11target_archE1200ELNS1_3gpuE4ELNS1_3repE0EEENS1_60segmented_radix_sort_warp_sort_medium_config_static_selectorELNS0_4arch9wavefront6targetE0EEEvSK_: ; @_ZN7rocprim17ROCPRIM_400000_NS6detail17trampoline_kernelINS0_14default_configENS1_36segmented_radix_sort_config_selectorIslEEZNS1_25segmented_radix_sort_implIS3_Lb1EPKsPsPKlPlN2at6native12_GLOBAL__N_18offset_tEEE10hipError_tPvRmT1_PNSt15iterator_traitsISK_E10value_typeET2_T3_PNSL_ISQ_E10value_typeET4_jRbjT5_SW_jjP12ihipStream_tbEUlT_E0_NS1_11comp_targetILNS1_3genE10ELNS1_11target_archE1200ELNS1_3gpuE4ELNS1_3repE0EEENS1_60segmented_radix_sort_warp_sort_medium_config_static_selectorELNS0_4arch9wavefront6targetE0EEEvSK_
; %bb.0:
	.section	.rodata,"a",@progbits
	.p2align	6, 0x0
	.amdhsa_kernel _ZN7rocprim17ROCPRIM_400000_NS6detail17trampoline_kernelINS0_14default_configENS1_36segmented_radix_sort_config_selectorIslEEZNS1_25segmented_radix_sort_implIS3_Lb1EPKsPsPKlPlN2at6native12_GLOBAL__N_18offset_tEEE10hipError_tPvRmT1_PNSt15iterator_traitsISK_E10value_typeET2_T3_PNSL_ISQ_E10value_typeET4_jRbjT5_SW_jjP12ihipStream_tbEUlT_E0_NS1_11comp_targetILNS1_3genE10ELNS1_11target_archE1200ELNS1_3gpuE4ELNS1_3repE0EEENS1_60segmented_radix_sort_warp_sort_medium_config_static_selectorELNS0_4arch9wavefront6targetE0EEEvSK_
		.amdhsa_group_segment_fixed_size 0
		.amdhsa_private_segment_fixed_size 0
		.amdhsa_kernarg_size 88
		.amdhsa_user_sgpr_count 2
		.amdhsa_user_sgpr_dispatch_ptr 0
		.amdhsa_user_sgpr_queue_ptr 0
		.amdhsa_user_sgpr_kernarg_segment_ptr 1
		.amdhsa_user_sgpr_dispatch_id 0
		.amdhsa_user_sgpr_private_segment_size 0
		.amdhsa_wavefront_size32 1
		.amdhsa_uses_dynamic_stack 0
		.amdhsa_enable_private_segment 0
		.amdhsa_system_sgpr_workgroup_id_x 1
		.amdhsa_system_sgpr_workgroup_id_y 0
		.amdhsa_system_sgpr_workgroup_id_z 0
		.amdhsa_system_sgpr_workgroup_info 0
		.amdhsa_system_vgpr_workitem_id 0
		.amdhsa_next_free_vgpr 1
		.amdhsa_next_free_sgpr 1
		.amdhsa_reserve_vcc 0
		.amdhsa_float_round_mode_32 0
		.amdhsa_float_round_mode_16_64 0
		.amdhsa_float_denorm_mode_32 3
		.amdhsa_float_denorm_mode_16_64 3
		.amdhsa_fp16_overflow 0
		.amdhsa_workgroup_processor_mode 1
		.amdhsa_memory_ordered 1
		.amdhsa_forward_progress 1
		.amdhsa_inst_pref_size 0
		.amdhsa_round_robin_scheduling 0
		.amdhsa_exception_fp_ieee_invalid_op 0
		.amdhsa_exception_fp_denorm_src 0
		.amdhsa_exception_fp_ieee_div_zero 0
		.amdhsa_exception_fp_ieee_overflow 0
		.amdhsa_exception_fp_ieee_underflow 0
		.amdhsa_exception_fp_ieee_inexact 0
		.amdhsa_exception_int_div_zero 0
	.end_amdhsa_kernel
	.section	.text._ZN7rocprim17ROCPRIM_400000_NS6detail17trampoline_kernelINS0_14default_configENS1_36segmented_radix_sort_config_selectorIslEEZNS1_25segmented_radix_sort_implIS3_Lb1EPKsPsPKlPlN2at6native12_GLOBAL__N_18offset_tEEE10hipError_tPvRmT1_PNSt15iterator_traitsISK_E10value_typeET2_T3_PNSL_ISQ_E10value_typeET4_jRbjT5_SW_jjP12ihipStream_tbEUlT_E0_NS1_11comp_targetILNS1_3genE10ELNS1_11target_archE1200ELNS1_3gpuE4ELNS1_3repE0EEENS1_60segmented_radix_sort_warp_sort_medium_config_static_selectorELNS0_4arch9wavefront6targetE0EEEvSK_,"axG",@progbits,_ZN7rocprim17ROCPRIM_400000_NS6detail17trampoline_kernelINS0_14default_configENS1_36segmented_radix_sort_config_selectorIslEEZNS1_25segmented_radix_sort_implIS3_Lb1EPKsPsPKlPlN2at6native12_GLOBAL__N_18offset_tEEE10hipError_tPvRmT1_PNSt15iterator_traitsISK_E10value_typeET2_T3_PNSL_ISQ_E10value_typeET4_jRbjT5_SW_jjP12ihipStream_tbEUlT_E0_NS1_11comp_targetILNS1_3genE10ELNS1_11target_archE1200ELNS1_3gpuE4ELNS1_3repE0EEENS1_60segmented_radix_sort_warp_sort_medium_config_static_selectorELNS0_4arch9wavefront6targetE0EEEvSK_,comdat
.Lfunc_end928:
	.size	_ZN7rocprim17ROCPRIM_400000_NS6detail17trampoline_kernelINS0_14default_configENS1_36segmented_radix_sort_config_selectorIslEEZNS1_25segmented_radix_sort_implIS3_Lb1EPKsPsPKlPlN2at6native12_GLOBAL__N_18offset_tEEE10hipError_tPvRmT1_PNSt15iterator_traitsISK_E10value_typeET2_T3_PNSL_ISQ_E10value_typeET4_jRbjT5_SW_jjP12ihipStream_tbEUlT_E0_NS1_11comp_targetILNS1_3genE10ELNS1_11target_archE1200ELNS1_3gpuE4ELNS1_3repE0EEENS1_60segmented_radix_sort_warp_sort_medium_config_static_selectorELNS0_4arch9wavefront6targetE0EEEvSK_, .Lfunc_end928-_ZN7rocprim17ROCPRIM_400000_NS6detail17trampoline_kernelINS0_14default_configENS1_36segmented_radix_sort_config_selectorIslEEZNS1_25segmented_radix_sort_implIS3_Lb1EPKsPsPKlPlN2at6native12_GLOBAL__N_18offset_tEEE10hipError_tPvRmT1_PNSt15iterator_traitsISK_E10value_typeET2_T3_PNSL_ISQ_E10value_typeET4_jRbjT5_SW_jjP12ihipStream_tbEUlT_E0_NS1_11comp_targetILNS1_3genE10ELNS1_11target_archE1200ELNS1_3gpuE4ELNS1_3repE0EEENS1_60segmented_radix_sort_warp_sort_medium_config_static_selectorELNS0_4arch9wavefront6targetE0EEEvSK_
                                        ; -- End function
	.set _ZN7rocprim17ROCPRIM_400000_NS6detail17trampoline_kernelINS0_14default_configENS1_36segmented_radix_sort_config_selectorIslEEZNS1_25segmented_radix_sort_implIS3_Lb1EPKsPsPKlPlN2at6native12_GLOBAL__N_18offset_tEEE10hipError_tPvRmT1_PNSt15iterator_traitsISK_E10value_typeET2_T3_PNSL_ISQ_E10value_typeET4_jRbjT5_SW_jjP12ihipStream_tbEUlT_E0_NS1_11comp_targetILNS1_3genE10ELNS1_11target_archE1200ELNS1_3gpuE4ELNS1_3repE0EEENS1_60segmented_radix_sort_warp_sort_medium_config_static_selectorELNS0_4arch9wavefront6targetE0EEEvSK_.num_vgpr, 0
	.set _ZN7rocprim17ROCPRIM_400000_NS6detail17trampoline_kernelINS0_14default_configENS1_36segmented_radix_sort_config_selectorIslEEZNS1_25segmented_radix_sort_implIS3_Lb1EPKsPsPKlPlN2at6native12_GLOBAL__N_18offset_tEEE10hipError_tPvRmT1_PNSt15iterator_traitsISK_E10value_typeET2_T3_PNSL_ISQ_E10value_typeET4_jRbjT5_SW_jjP12ihipStream_tbEUlT_E0_NS1_11comp_targetILNS1_3genE10ELNS1_11target_archE1200ELNS1_3gpuE4ELNS1_3repE0EEENS1_60segmented_radix_sort_warp_sort_medium_config_static_selectorELNS0_4arch9wavefront6targetE0EEEvSK_.num_agpr, 0
	.set _ZN7rocprim17ROCPRIM_400000_NS6detail17trampoline_kernelINS0_14default_configENS1_36segmented_radix_sort_config_selectorIslEEZNS1_25segmented_radix_sort_implIS3_Lb1EPKsPsPKlPlN2at6native12_GLOBAL__N_18offset_tEEE10hipError_tPvRmT1_PNSt15iterator_traitsISK_E10value_typeET2_T3_PNSL_ISQ_E10value_typeET4_jRbjT5_SW_jjP12ihipStream_tbEUlT_E0_NS1_11comp_targetILNS1_3genE10ELNS1_11target_archE1200ELNS1_3gpuE4ELNS1_3repE0EEENS1_60segmented_radix_sort_warp_sort_medium_config_static_selectorELNS0_4arch9wavefront6targetE0EEEvSK_.numbered_sgpr, 0
	.set _ZN7rocprim17ROCPRIM_400000_NS6detail17trampoline_kernelINS0_14default_configENS1_36segmented_radix_sort_config_selectorIslEEZNS1_25segmented_radix_sort_implIS3_Lb1EPKsPsPKlPlN2at6native12_GLOBAL__N_18offset_tEEE10hipError_tPvRmT1_PNSt15iterator_traitsISK_E10value_typeET2_T3_PNSL_ISQ_E10value_typeET4_jRbjT5_SW_jjP12ihipStream_tbEUlT_E0_NS1_11comp_targetILNS1_3genE10ELNS1_11target_archE1200ELNS1_3gpuE4ELNS1_3repE0EEENS1_60segmented_radix_sort_warp_sort_medium_config_static_selectorELNS0_4arch9wavefront6targetE0EEEvSK_.num_named_barrier, 0
	.set _ZN7rocprim17ROCPRIM_400000_NS6detail17trampoline_kernelINS0_14default_configENS1_36segmented_radix_sort_config_selectorIslEEZNS1_25segmented_radix_sort_implIS3_Lb1EPKsPsPKlPlN2at6native12_GLOBAL__N_18offset_tEEE10hipError_tPvRmT1_PNSt15iterator_traitsISK_E10value_typeET2_T3_PNSL_ISQ_E10value_typeET4_jRbjT5_SW_jjP12ihipStream_tbEUlT_E0_NS1_11comp_targetILNS1_3genE10ELNS1_11target_archE1200ELNS1_3gpuE4ELNS1_3repE0EEENS1_60segmented_radix_sort_warp_sort_medium_config_static_selectorELNS0_4arch9wavefront6targetE0EEEvSK_.private_seg_size, 0
	.set _ZN7rocprim17ROCPRIM_400000_NS6detail17trampoline_kernelINS0_14default_configENS1_36segmented_radix_sort_config_selectorIslEEZNS1_25segmented_radix_sort_implIS3_Lb1EPKsPsPKlPlN2at6native12_GLOBAL__N_18offset_tEEE10hipError_tPvRmT1_PNSt15iterator_traitsISK_E10value_typeET2_T3_PNSL_ISQ_E10value_typeET4_jRbjT5_SW_jjP12ihipStream_tbEUlT_E0_NS1_11comp_targetILNS1_3genE10ELNS1_11target_archE1200ELNS1_3gpuE4ELNS1_3repE0EEENS1_60segmented_radix_sort_warp_sort_medium_config_static_selectorELNS0_4arch9wavefront6targetE0EEEvSK_.uses_vcc, 0
	.set _ZN7rocprim17ROCPRIM_400000_NS6detail17trampoline_kernelINS0_14default_configENS1_36segmented_radix_sort_config_selectorIslEEZNS1_25segmented_radix_sort_implIS3_Lb1EPKsPsPKlPlN2at6native12_GLOBAL__N_18offset_tEEE10hipError_tPvRmT1_PNSt15iterator_traitsISK_E10value_typeET2_T3_PNSL_ISQ_E10value_typeET4_jRbjT5_SW_jjP12ihipStream_tbEUlT_E0_NS1_11comp_targetILNS1_3genE10ELNS1_11target_archE1200ELNS1_3gpuE4ELNS1_3repE0EEENS1_60segmented_radix_sort_warp_sort_medium_config_static_selectorELNS0_4arch9wavefront6targetE0EEEvSK_.uses_flat_scratch, 0
	.set _ZN7rocprim17ROCPRIM_400000_NS6detail17trampoline_kernelINS0_14default_configENS1_36segmented_radix_sort_config_selectorIslEEZNS1_25segmented_radix_sort_implIS3_Lb1EPKsPsPKlPlN2at6native12_GLOBAL__N_18offset_tEEE10hipError_tPvRmT1_PNSt15iterator_traitsISK_E10value_typeET2_T3_PNSL_ISQ_E10value_typeET4_jRbjT5_SW_jjP12ihipStream_tbEUlT_E0_NS1_11comp_targetILNS1_3genE10ELNS1_11target_archE1200ELNS1_3gpuE4ELNS1_3repE0EEENS1_60segmented_radix_sort_warp_sort_medium_config_static_selectorELNS0_4arch9wavefront6targetE0EEEvSK_.has_dyn_sized_stack, 0
	.set _ZN7rocprim17ROCPRIM_400000_NS6detail17trampoline_kernelINS0_14default_configENS1_36segmented_radix_sort_config_selectorIslEEZNS1_25segmented_radix_sort_implIS3_Lb1EPKsPsPKlPlN2at6native12_GLOBAL__N_18offset_tEEE10hipError_tPvRmT1_PNSt15iterator_traitsISK_E10value_typeET2_T3_PNSL_ISQ_E10value_typeET4_jRbjT5_SW_jjP12ihipStream_tbEUlT_E0_NS1_11comp_targetILNS1_3genE10ELNS1_11target_archE1200ELNS1_3gpuE4ELNS1_3repE0EEENS1_60segmented_radix_sort_warp_sort_medium_config_static_selectorELNS0_4arch9wavefront6targetE0EEEvSK_.has_recursion, 0
	.set _ZN7rocprim17ROCPRIM_400000_NS6detail17trampoline_kernelINS0_14default_configENS1_36segmented_radix_sort_config_selectorIslEEZNS1_25segmented_radix_sort_implIS3_Lb1EPKsPsPKlPlN2at6native12_GLOBAL__N_18offset_tEEE10hipError_tPvRmT1_PNSt15iterator_traitsISK_E10value_typeET2_T3_PNSL_ISQ_E10value_typeET4_jRbjT5_SW_jjP12ihipStream_tbEUlT_E0_NS1_11comp_targetILNS1_3genE10ELNS1_11target_archE1200ELNS1_3gpuE4ELNS1_3repE0EEENS1_60segmented_radix_sort_warp_sort_medium_config_static_selectorELNS0_4arch9wavefront6targetE0EEEvSK_.has_indirect_call, 0
	.section	.AMDGPU.csdata,"",@progbits
; Kernel info:
; codeLenInByte = 0
; TotalNumSgprs: 0
; NumVgprs: 0
; ScratchSize: 0
; MemoryBound: 0
; FloatMode: 240
; IeeeMode: 1
; LDSByteSize: 0 bytes/workgroup (compile time only)
; SGPRBlocks: 0
; VGPRBlocks: 0
; NumSGPRsForWavesPerEU: 1
; NumVGPRsForWavesPerEU: 1
; Occupancy: 16
; WaveLimiterHint : 0
; COMPUTE_PGM_RSRC2:SCRATCH_EN: 0
; COMPUTE_PGM_RSRC2:USER_SGPR: 2
; COMPUTE_PGM_RSRC2:TRAP_HANDLER: 0
; COMPUTE_PGM_RSRC2:TGID_X_EN: 1
; COMPUTE_PGM_RSRC2:TGID_Y_EN: 0
; COMPUTE_PGM_RSRC2:TGID_Z_EN: 0
; COMPUTE_PGM_RSRC2:TIDIG_COMP_CNT: 0
	.section	.text._ZN7rocprim17ROCPRIM_400000_NS6detail17trampoline_kernelINS0_14default_configENS1_36segmented_radix_sort_config_selectorIslEEZNS1_25segmented_radix_sort_implIS3_Lb1EPKsPsPKlPlN2at6native12_GLOBAL__N_18offset_tEEE10hipError_tPvRmT1_PNSt15iterator_traitsISK_E10value_typeET2_T3_PNSL_ISQ_E10value_typeET4_jRbjT5_SW_jjP12ihipStream_tbEUlT_E0_NS1_11comp_targetILNS1_3genE9ELNS1_11target_archE1100ELNS1_3gpuE3ELNS1_3repE0EEENS1_60segmented_radix_sort_warp_sort_medium_config_static_selectorELNS0_4arch9wavefront6targetE0EEEvSK_,"axG",@progbits,_ZN7rocprim17ROCPRIM_400000_NS6detail17trampoline_kernelINS0_14default_configENS1_36segmented_radix_sort_config_selectorIslEEZNS1_25segmented_radix_sort_implIS3_Lb1EPKsPsPKlPlN2at6native12_GLOBAL__N_18offset_tEEE10hipError_tPvRmT1_PNSt15iterator_traitsISK_E10value_typeET2_T3_PNSL_ISQ_E10value_typeET4_jRbjT5_SW_jjP12ihipStream_tbEUlT_E0_NS1_11comp_targetILNS1_3genE9ELNS1_11target_archE1100ELNS1_3gpuE3ELNS1_3repE0EEENS1_60segmented_radix_sort_warp_sort_medium_config_static_selectorELNS0_4arch9wavefront6targetE0EEEvSK_,comdat
	.globl	_ZN7rocprim17ROCPRIM_400000_NS6detail17trampoline_kernelINS0_14default_configENS1_36segmented_radix_sort_config_selectorIslEEZNS1_25segmented_radix_sort_implIS3_Lb1EPKsPsPKlPlN2at6native12_GLOBAL__N_18offset_tEEE10hipError_tPvRmT1_PNSt15iterator_traitsISK_E10value_typeET2_T3_PNSL_ISQ_E10value_typeET4_jRbjT5_SW_jjP12ihipStream_tbEUlT_E0_NS1_11comp_targetILNS1_3genE9ELNS1_11target_archE1100ELNS1_3gpuE3ELNS1_3repE0EEENS1_60segmented_radix_sort_warp_sort_medium_config_static_selectorELNS0_4arch9wavefront6targetE0EEEvSK_ ; -- Begin function _ZN7rocprim17ROCPRIM_400000_NS6detail17trampoline_kernelINS0_14default_configENS1_36segmented_radix_sort_config_selectorIslEEZNS1_25segmented_radix_sort_implIS3_Lb1EPKsPsPKlPlN2at6native12_GLOBAL__N_18offset_tEEE10hipError_tPvRmT1_PNSt15iterator_traitsISK_E10value_typeET2_T3_PNSL_ISQ_E10value_typeET4_jRbjT5_SW_jjP12ihipStream_tbEUlT_E0_NS1_11comp_targetILNS1_3genE9ELNS1_11target_archE1100ELNS1_3gpuE3ELNS1_3repE0EEENS1_60segmented_radix_sort_warp_sort_medium_config_static_selectorELNS0_4arch9wavefront6targetE0EEEvSK_
	.p2align	8
	.type	_ZN7rocprim17ROCPRIM_400000_NS6detail17trampoline_kernelINS0_14default_configENS1_36segmented_radix_sort_config_selectorIslEEZNS1_25segmented_radix_sort_implIS3_Lb1EPKsPsPKlPlN2at6native12_GLOBAL__N_18offset_tEEE10hipError_tPvRmT1_PNSt15iterator_traitsISK_E10value_typeET2_T3_PNSL_ISQ_E10value_typeET4_jRbjT5_SW_jjP12ihipStream_tbEUlT_E0_NS1_11comp_targetILNS1_3genE9ELNS1_11target_archE1100ELNS1_3gpuE3ELNS1_3repE0EEENS1_60segmented_radix_sort_warp_sort_medium_config_static_selectorELNS0_4arch9wavefront6targetE0EEEvSK_,@function
_ZN7rocprim17ROCPRIM_400000_NS6detail17trampoline_kernelINS0_14default_configENS1_36segmented_radix_sort_config_selectorIslEEZNS1_25segmented_radix_sort_implIS3_Lb1EPKsPsPKlPlN2at6native12_GLOBAL__N_18offset_tEEE10hipError_tPvRmT1_PNSt15iterator_traitsISK_E10value_typeET2_T3_PNSL_ISQ_E10value_typeET4_jRbjT5_SW_jjP12ihipStream_tbEUlT_E0_NS1_11comp_targetILNS1_3genE9ELNS1_11target_archE1100ELNS1_3gpuE3ELNS1_3repE0EEENS1_60segmented_radix_sort_warp_sort_medium_config_static_selectorELNS0_4arch9wavefront6targetE0EEEvSK_: ; @_ZN7rocprim17ROCPRIM_400000_NS6detail17trampoline_kernelINS0_14default_configENS1_36segmented_radix_sort_config_selectorIslEEZNS1_25segmented_radix_sort_implIS3_Lb1EPKsPsPKlPlN2at6native12_GLOBAL__N_18offset_tEEE10hipError_tPvRmT1_PNSt15iterator_traitsISK_E10value_typeET2_T3_PNSL_ISQ_E10value_typeET4_jRbjT5_SW_jjP12ihipStream_tbEUlT_E0_NS1_11comp_targetILNS1_3genE9ELNS1_11target_archE1100ELNS1_3gpuE3ELNS1_3repE0EEENS1_60segmented_radix_sort_warp_sort_medium_config_static_selectorELNS0_4arch9wavefront6targetE0EEEvSK_
; %bb.0:
	.section	.rodata,"a",@progbits
	.p2align	6, 0x0
	.amdhsa_kernel _ZN7rocprim17ROCPRIM_400000_NS6detail17trampoline_kernelINS0_14default_configENS1_36segmented_radix_sort_config_selectorIslEEZNS1_25segmented_radix_sort_implIS3_Lb1EPKsPsPKlPlN2at6native12_GLOBAL__N_18offset_tEEE10hipError_tPvRmT1_PNSt15iterator_traitsISK_E10value_typeET2_T3_PNSL_ISQ_E10value_typeET4_jRbjT5_SW_jjP12ihipStream_tbEUlT_E0_NS1_11comp_targetILNS1_3genE9ELNS1_11target_archE1100ELNS1_3gpuE3ELNS1_3repE0EEENS1_60segmented_radix_sort_warp_sort_medium_config_static_selectorELNS0_4arch9wavefront6targetE0EEEvSK_
		.amdhsa_group_segment_fixed_size 0
		.amdhsa_private_segment_fixed_size 0
		.amdhsa_kernarg_size 88
		.amdhsa_user_sgpr_count 2
		.amdhsa_user_sgpr_dispatch_ptr 0
		.amdhsa_user_sgpr_queue_ptr 0
		.amdhsa_user_sgpr_kernarg_segment_ptr 1
		.amdhsa_user_sgpr_dispatch_id 0
		.amdhsa_user_sgpr_private_segment_size 0
		.amdhsa_wavefront_size32 1
		.amdhsa_uses_dynamic_stack 0
		.amdhsa_enable_private_segment 0
		.amdhsa_system_sgpr_workgroup_id_x 1
		.amdhsa_system_sgpr_workgroup_id_y 0
		.amdhsa_system_sgpr_workgroup_id_z 0
		.amdhsa_system_sgpr_workgroup_info 0
		.amdhsa_system_vgpr_workitem_id 0
		.amdhsa_next_free_vgpr 1
		.amdhsa_next_free_sgpr 1
		.amdhsa_reserve_vcc 0
		.amdhsa_float_round_mode_32 0
		.amdhsa_float_round_mode_16_64 0
		.amdhsa_float_denorm_mode_32 3
		.amdhsa_float_denorm_mode_16_64 3
		.amdhsa_fp16_overflow 0
		.amdhsa_workgroup_processor_mode 1
		.amdhsa_memory_ordered 1
		.amdhsa_forward_progress 1
		.amdhsa_inst_pref_size 0
		.amdhsa_round_robin_scheduling 0
		.amdhsa_exception_fp_ieee_invalid_op 0
		.amdhsa_exception_fp_denorm_src 0
		.amdhsa_exception_fp_ieee_div_zero 0
		.amdhsa_exception_fp_ieee_overflow 0
		.amdhsa_exception_fp_ieee_underflow 0
		.amdhsa_exception_fp_ieee_inexact 0
		.amdhsa_exception_int_div_zero 0
	.end_amdhsa_kernel
	.section	.text._ZN7rocprim17ROCPRIM_400000_NS6detail17trampoline_kernelINS0_14default_configENS1_36segmented_radix_sort_config_selectorIslEEZNS1_25segmented_radix_sort_implIS3_Lb1EPKsPsPKlPlN2at6native12_GLOBAL__N_18offset_tEEE10hipError_tPvRmT1_PNSt15iterator_traitsISK_E10value_typeET2_T3_PNSL_ISQ_E10value_typeET4_jRbjT5_SW_jjP12ihipStream_tbEUlT_E0_NS1_11comp_targetILNS1_3genE9ELNS1_11target_archE1100ELNS1_3gpuE3ELNS1_3repE0EEENS1_60segmented_radix_sort_warp_sort_medium_config_static_selectorELNS0_4arch9wavefront6targetE0EEEvSK_,"axG",@progbits,_ZN7rocprim17ROCPRIM_400000_NS6detail17trampoline_kernelINS0_14default_configENS1_36segmented_radix_sort_config_selectorIslEEZNS1_25segmented_radix_sort_implIS3_Lb1EPKsPsPKlPlN2at6native12_GLOBAL__N_18offset_tEEE10hipError_tPvRmT1_PNSt15iterator_traitsISK_E10value_typeET2_T3_PNSL_ISQ_E10value_typeET4_jRbjT5_SW_jjP12ihipStream_tbEUlT_E0_NS1_11comp_targetILNS1_3genE9ELNS1_11target_archE1100ELNS1_3gpuE3ELNS1_3repE0EEENS1_60segmented_radix_sort_warp_sort_medium_config_static_selectorELNS0_4arch9wavefront6targetE0EEEvSK_,comdat
.Lfunc_end929:
	.size	_ZN7rocprim17ROCPRIM_400000_NS6detail17trampoline_kernelINS0_14default_configENS1_36segmented_radix_sort_config_selectorIslEEZNS1_25segmented_radix_sort_implIS3_Lb1EPKsPsPKlPlN2at6native12_GLOBAL__N_18offset_tEEE10hipError_tPvRmT1_PNSt15iterator_traitsISK_E10value_typeET2_T3_PNSL_ISQ_E10value_typeET4_jRbjT5_SW_jjP12ihipStream_tbEUlT_E0_NS1_11comp_targetILNS1_3genE9ELNS1_11target_archE1100ELNS1_3gpuE3ELNS1_3repE0EEENS1_60segmented_radix_sort_warp_sort_medium_config_static_selectorELNS0_4arch9wavefront6targetE0EEEvSK_, .Lfunc_end929-_ZN7rocprim17ROCPRIM_400000_NS6detail17trampoline_kernelINS0_14default_configENS1_36segmented_radix_sort_config_selectorIslEEZNS1_25segmented_radix_sort_implIS3_Lb1EPKsPsPKlPlN2at6native12_GLOBAL__N_18offset_tEEE10hipError_tPvRmT1_PNSt15iterator_traitsISK_E10value_typeET2_T3_PNSL_ISQ_E10value_typeET4_jRbjT5_SW_jjP12ihipStream_tbEUlT_E0_NS1_11comp_targetILNS1_3genE9ELNS1_11target_archE1100ELNS1_3gpuE3ELNS1_3repE0EEENS1_60segmented_radix_sort_warp_sort_medium_config_static_selectorELNS0_4arch9wavefront6targetE0EEEvSK_
                                        ; -- End function
	.set _ZN7rocprim17ROCPRIM_400000_NS6detail17trampoline_kernelINS0_14default_configENS1_36segmented_radix_sort_config_selectorIslEEZNS1_25segmented_radix_sort_implIS3_Lb1EPKsPsPKlPlN2at6native12_GLOBAL__N_18offset_tEEE10hipError_tPvRmT1_PNSt15iterator_traitsISK_E10value_typeET2_T3_PNSL_ISQ_E10value_typeET4_jRbjT5_SW_jjP12ihipStream_tbEUlT_E0_NS1_11comp_targetILNS1_3genE9ELNS1_11target_archE1100ELNS1_3gpuE3ELNS1_3repE0EEENS1_60segmented_radix_sort_warp_sort_medium_config_static_selectorELNS0_4arch9wavefront6targetE0EEEvSK_.num_vgpr, 0
	.set _ZN7rocprim17ROCPRIM_400000_NS6detail17trampoline_kernelINS0_14default_configENS1_36segmented_radix_sort_config_selectorIslEEZNS1_25segmented_radix_sort_implIS3_Lb1EPKsPsPKlPlN2at6native12_GLOBAL__N_18offset_tEEE10hipError_tPvRmT1_PNSt15iterator_traitsISK_E10value_typeET2_T3_PNSL_ISQ_E10value_typeET4_jRbjT5_SW_jjP12ihipStream_tbEUlT_E0_NS1_11comp_targetILNS1_3genE9ELNS1_11target_archE1100ELNS1_3gpuE3ELNS1_3repE0EEENS1_60segmented_radix_sort_warp_sort_medium_config_static_selectorELNS0_4arch9wavefront6targetE0EEEvSK_.num_agpr, 0
	.set _ZN7rocprim17ROCPRIM_400000_NS6detail17trampoline_kernelINS0_14default_configENS1_36segmented_radix_sort_config_selectorIslEEZNS1_25segmented_radix_sort_implIS3_Lb1EPKsPsPKlPlN2at6native12_GLOBAL__N_18offset_tEEE10hipError_tPvRmT1_PNSt15iterator_traitsISK_E10value_typeET2_T3_PNSL_ISQ_E10value_typeET4_jRbjT5_SW_jjP12ihipStream_tbEUlT_E0_NS1_11comp_targetILNS1_3genE9ELNS1_11target_archE1100ELNS1_3gpuE3ELNS1_3repE0EEENS1_60segmented_radix_sort_warp_sort_medium_config_static_selectorELNS0_4arch9wavefront6targetE0EEEvSK_.numbered_sgpr, 0
	.set _ZN7rocprim17ROCPRIM_400000_NS6detail17trampoline_kernelINS0_14default_configENS1_36segmented_radix_sort_config_selectorIslEEZNS1_25segmented_radix_sort_implIS3_Lb1EPKsPsPKlPlN2at6native12_GLOBAL__N_18offset_tEEE10hipError_tPvRmT1_PNSt15iterator_traitsISK_E10value_typeET2_T3_PNSL_ISQ_E10value_typeET4_jRbjT5_SW_jjP12ihipStream_tbEUlT_E0_NS1_11comp_targetILNS1_3genE9ELNS1_11target_archE1100ELNS1_3gpuE3ELNS1_3repE0EEENS1_60segmented_radix_sort_warp_sort_medium_config_static_selectorELNS0_4arch9wavefront6targetE0EEEvSK_.num_named_barrier, 0
	.set _ZN7rocprim17ROCPRIM_400000_NS6detail17trampoline_kernelINS0_14default_configENS1_36segmented_radix_sort_config_selectorIslEEZNS1_25segmented_radix_sort_implIS3_Lb1EPKsPsPKlPlN2at6native12_GLOBAL__N_18offset_tEEE10hipError_tPvRmT1_PNSt15iterator_traitsISK_E10value_typeET2_T3_PNSL_ISQ_E10value_typeET4_jRbjT5_SW_jjP12ihipStream_tbEUlT_E0_NS1_11comp_targetILNS1_3genE9ELNS1_11target_archE1100ELNS1_3gpuE3ELNS1_3repE0EEENS1_60segmented_radix_sort_warp_sort_medium_config_static_selectorELNS0_4arch9wavefront6targetE0EEEvSK_.private_seg_size, 0
	.set _ZN7rocprim17ROCPRIM_400000_NS6detail17trampoline_kernelINS0_14default_configENS1_36segmented_radix_sort_config_selectorIslEEZNS1_25segmented_radix_sort_implIS3_Lb1EPKsPsPKlPlN2at6native12_GLOBAL__N_18offset_tEEE10hipError_tPvRmT1_PNSt15iterator_traitsISK_E10value_typeET2_T3_PNSL_ISQ_E10value_typeET4_jRbjT5_SW_jjP12ihipStream_tbEUlT_E0_NS1_11comp_targetILNS1_3genE9ELNS1_11target_archE1100ELNS1_3gpuE3ELNS1_3repE0EEENS1_60segmented_radix_sort_warp_sort_medium_config_static_selectorELNS0_4arch9wavefront6targetE0EEEvSK_.uses_vcc, 0
	.set _ZN7rocprim17ROCPRIM_400000_NS6detail17trampoline_kernelINS0_14default_configENS1_36segmented_radix_sort_config_selectorIslEEZNS1_25segmented_radix_sort_implIS3_Lb1EPKsPsPKlPlN2at6native12_GLOBAL__N_18offset_tEEE10hipError_tPvRmT1_PNSt15iterator_traitsISK_E10value_typeET2_T3_PNSL_ISQ_E10value_typeET4_jRbjT5_SW_jjP12ihipStream_tbEUlT_E0_NS1_11comp_targetILNS1_3genE9ELNS1_11target_archE1100ELNS1_3gpuE3ELNS1_3repE0EEENS1_60segmented_radix_sort_warp_sort_medium_config_static_selectorELNS0_4arch9wavefront6targetE0EEEvSK_.uses_flat_scratch, 0
	.set _ZN7rocprim17ROCPRIM_400000_NS6detail17trampoline_kernelINS0_14default_configENS1_36segmented_radix_sort_config_selectorIslEEZNS1_25segmented_radix_sort_implIS3_Lb1EPKsPsPKlPlN2at6native12_GLOBAL__N_18offset_tEEE10hipError_tPvRmT1_PNSt15iterator_traitsISK_E10value_typeET2_T3_PNSL_ISQ_E10value_typeET4_jRbjT5_SW_jjP12ihipStream_tbEUlT_E0_NS1_11comp_targetILNS1_3genE9ELNS1_11target_archE1100ELNS1_3gpuE3ELNS1_3repE0EEENS1_60segmented_radix_sort_warp_sort_medium_config_static_selectorELNS0_4arch9wavefront6targetE0EEEvSK_.has_dyn_sized_stack, 0
	.set _ZN7rocprim17ROCPRIM_400000_NS6detail17trampoline_kernelINS0_14default_configENS1_36segmented_radix_sort_config_selectorIslEEZNS1_25segmented_radix_sort_implIS3_Lb1EPKsPsPKlPlN2at6native12_GLOBAL__N_18offset_tEEE10hipError_tPvRmT1_PNSt15iterator_traitsISK_E10value_typeET2_T3_PNSL_ISQ_E10value_typeET4_jRbjT5_SW_jjP12ihipStream_tbEUlT_E0_NS1_11comp_targetILNS1_3genE9ELNS1_11target_archE1100ELNS1_3gpuE3ELNS1_3repE0EEENS1_60segmented_radix_sort_warp_sort_medium_config_static_selectorELNS0_4arch9wavefront6targetE0EEEvSK_.has_recursion, 0
	.set _ZN7rocprim17ROCPRIM_400000_NS6detail17trampoline_kernelINS0_14default_configENS1_36segmented_radix_sort_config_selectorIslEEZNS1_25segmented_radix_sort_implIS3_Lb1EPKsPsPKlPlN2at6native12_GLOBAL__N_18offset_tEEE10hipError_tPvRmT1_PNSt15iterator_traitsISK_E10value_typeET2_T3_PNSL_ISQ_E10value_typeET4_jRbjT5_SW_jjP12ihipStream_tbEUlT_E0_NS1_11comp_targetILNS1_3genE9ELNS1_11target_archE1100ELNS1_3gpuE3ELNS1_3repE0EEENS1_60segmented_radix_sort_warp_sort_medium_config_static_selectorELNS0_4arch9wavefront6targetE0EEEvSK_.has_indirect_call, 0
	.section	.AMDGPU.csdata,"",@progbits
; Kernel info:
; codeLenInByte = 0
; TotalNumSgprs: 0
; NumVgprs: 0
; ScratchSize: 0
; MemoryBound: 0
; FloatMode: 240
; IeeeMode: 1
; LDSByteSize: 0 bytes/workgroup (compile time only)
; SGPRBlocks: 0
; VGPRBlocks: 0
; NumSGPRsForWavesPerEU: 1
; NumVGPRsForWavesPerEU: 1
; Occupancy: 16
; WaveLimiterHint : 0
; COMPUTE_PGM_RSRC2:SCRATCH_EN: 0
; COMPUTE_PGM_RSRC2:USER_SGPR: 2
; COMPUTE_PGM_RSRC2:TRAP_HANDLER: 0
; COMPUTE_PGM_RSRC2:TGID_X_EN: 1
; COMPUTE_PGM_RSRC2:TGID_Y_EN: 0
; COMPUTE_PGM_RSRC2:TGID_Z_EN: 0
; COMPUTE_PGM_RSRC2:TIDIG_COMP_CNT: 0
	.section	.text._ZN7rocprim17ROCPRIM_400000_NS6detail17trampoline_kernelINS0_14default_configENS1_36segmented_radix_sort_config_selectorIslEEZNS1_25segmented_radix_sort_implIS3_Lb1EPKsPsPKlPlN2at6native12_GLOBAL__N_18offset_tEEE10hipError_tPvRmT1_PNSt15iterator_traitsISK_E10value_typeET2_T3_PNSL_ISQ_E10value_typeET4_jRbjT5_SW_jjP12ihipStream_tbEUlT_E0_NS1_11comp_targetILNS1_3genE8ELNS1_11target_archE1030ELNS1_3gpuE2ELNS1_3repE0EEENS1_60segmented_radix_sort_warp_sort_medium_config_static_selectorELNS0_4arch9wavefront6targetE0EEEvSK_,"axG",@progbits,_ZN7rocprim17ROCPRIM_400000_NS6detail17trampoline_kernelINS0_14default_configENS1_36segmented_radix_sort_config_selectorIslEEZNS1_25segmented_radix_sort_implIS3_Lb1EPKsPsPKlPlN2at6native12_GLOBAL__N_18offset_tEEE10hipError_tPvRmT1_PNSt15iterator_traitsISK_E10value_typeET2_T3_PNSL_ISQ_E10value_typeET4_jRbjT5_SW_jjP12ihipStream_tbEUlT_E0_NS1_11comp_targetILNS1_3genE8ELNS1_11target_archE1030ELNS1_3gpuE2ELNS1_3repE0EEENS1_60segmented_radix_sort_warp_sort_medium_config_static_selectorELNS0_4arch9wavefront6targetE0EEEvSK_,comdat
	.globl	_ZN7rocprim17ROCPRIM_400000_NS6detail17trampoline_kernelINS0_14default_configENS1_36segmented_radix_sort_config_selectorIslEEZNS1_25segmented_radix_sort_implIS3_Lb1EPKsPsPKlPlN2at6native12_GLOBAL__N_18offset_tEEE10hipError_tPvRmT1_PNSt15iterator_traitsISK_E10value_typeET2_T3_PNSL_ISQ_E10value_typeET4_jRbjT5_SW_jjP12ihipStream_tbEUlT_E0_NS1_11comp_targetILNS1_3genE8ELNS1_11target_archE1030ELNS1_3gpuE2ELNS1_3repE0EEENS1_60segmented_radix_sort_warp_sort_medium_config_static_selectorELNS0_4arch9wavefront6targetE0EEEvSK_ ; -- Begin function _ZN7rocprim17ROCPRIM_400000_NS6detail17trampoline_kernelINS0_14default_configENS1_36segmented_radix_sort_config_selectorIslEEZNS1_25segmented_radix_sort_implIS3_Lb1EPKsPsPKlPlN2at6native12_GLOBAL__N_18offset_tEEE10hipError_tPvRmT1_PNSt15iterator_traitsISK_E10value_typeET2_T3_PNSL_ISQ_E10value_typeET4_jRbjT5_SW_jjP12ihipStream_tbEUlT_E0_NS1_11comp_targetILNS1_3genE8ELNS1_11target_archE1030ELNS1_3gpuE2ELNS1_3repE0EEENS1_60segmented_radix_sort_warp_sort_medium_config_static_selectorELNS0_4arch9wavefront6targetE0EEEvSK_
	.p2align	8
	.type	_ZN7rocprim17ROCPRIM_400000_NS6detail17trampoline_kernelINS0_14default_configENS1_36segmented_radix_sort_config_selectorIslEEZNS1_25segmented_radix_sort_implIS3_Lb1EPKsPsPKlPlN2at6native12_GLOBAL__N_18offset_tEEE10hipError_tPvRmT1_PNSt15iterator_traitsISK_E10value_typeET2_T3_PNSL_ISQ_E10value_typeET4_jRbjT5_SW_jjP12ihipStream_tbEUlT_E0_NS1_11comp_targetILNS1_3genE8ELNS1_11target_archE1030ELNS1_3gpuE2ELNS1_3repE0EEENS1_60segmented_radix_sort_warp_sort_medium_config_static_selectorELNS0_4arch9wavefront6targetE0EEEvSK_,@function
_ZN7rocprim17ROCPRIM_400000_NS6detail17trampoline_kernelINS0_14default_configENS1_36segmented_radix_sort_config_selectorIslEEZNS1_25segmented_radix_sort_implIS3_Lb1EPKsPsPKlPlN2at6native12_GLOBAL__N_18offset_tEEE10hipError_tPvRmT1_PNSt15iterator_traitsISK_E10value_typeET2_T3_PNSL_ISQ_E10value_typeET4_jRbjT5_SW_jjP12ihipStream_tbEUlT_E0_NS1_11comp_targetILNS1_3genE8ELNS1_11target_archE1030ELNS1_3gpuE2ELNS1_3repE0EEENS1_60segmented_radix_sort_warp_sort_medium_config_static_selectorELNS0_4arch9wavefront6targetE0EEEvSK_: ; @_ZN7rocprim17ROCPRIM_400000_NS6detail17trampoline_kernelINS0_14default_configENS1_36segmented_radix_sort_config_selectorIslEEZNS1_25segmented_radix_sort_implIS3_Lb1EPKsPsPKlPlN2at6native12_GLOBAL__N_18offset_tEEE10hipError_tPvRmT1_PNSt15iterator_traitsISK_E10value_typeET2_T3_PNSL_ISQ_E10value_typeET4_jRbjT5_SW_jjP12ihipStream_tbEUlT_E0_NS1_11comp_targetILNS1_3genE8ELNS1_11target_archE1030ELNS1_3gpuE2ELNS1_3repE0EEENS1_60segmented_radix_sort_warp_sort_medium_config_static_selectorELNS0_4arch9wavefront6targetE0EEEvSK_
; %bb.0:
	.section	.rodata,"a",@progbits
	.p2align	6, 0x0
	.amdhsa_kernel _ZN7rocprim17ROCPRIM_400000_NS6detail17trampoline_kernelINS0_14default_configENS1_36segmented_radix_sort_config_selectorIslEEZNS1_25segmented_radix_sort_implIS3_Lb1EPKsPsPKlPlN2at6native12_GLOBAL__N_18offset_tEEE10hipError_tPvRmT1_PNSt15iterator_traitsISK_E10value_typeET2_T3_PNSL_ISQ_E10value_typeET4_jRbjT5_SW_jjP12ihipStream_tbEUlT_E0_NS1_11comp_targetILNS1_3genE8ELNS1_11target_archE1030ELNS1_3gpuE2ELNS1_3repE0EEENS1_60segmented_radix_sort_warp_sort_medium_config_static_selectorELNS0_4arch9wavefront6targetE0EEEvSK_
		.amdhsa_group_segment_fixed_size 0
		.amdhsa_private_segment_fixed_size 0
		.amdhsa_kernarg_size 88
		.amdhsa_user_sgpr_count 2
		.amdhsa_user_sgpr_dispatch_ptr 0
		.amdhsa_user_sgpr_queue_ptr 0
		.amdhsa_user_sgpr_kernarg_segment_ptr 1
		.amdhsa_user_sgpr_dispatch_id 0
		.amdhsa_user_sgpr_private_segment_size 0
		.amdhsa_wavefront_size32 1
		.amdhsa_uses_dynamic_stack 0
		.amdhsa_enable_private_segment 0
		.amdhsa_system_sgpr_workgroup_id_x 1
		.amdhsa_system_sgpr_workgroup_id_y 0
		.amdhsa_system_sgpr_workgroup_id_z 0
		.amdhsa_system_sgpr_workgroup_info 0
		.amdhsa_system_vgpr_workitem_id 0
		.amdhsa_next_free_vgpr 1
		.amdhsa_next_free_sgpr 1
		.amdhsa_reserve_vcc 0
		.amdhsa_float_round_mode_32 0
		.amdhsa_float_round_mode_16_64 0
		.amdhsa_float_denorm_mode_32 3
		.amdhsa_float_denorm_mode_16_64 3
		.amdhsa_fp16_overflow 0
		.amdhsa_workgroup_processor_mode 1
		.amdhsa_memory_ordered 1
		.amdhsa_forward_progress 1
		.amdhsa_inst_pref_size 0
		.amdhsa_round_robin_scheduling 0
		.amdhsa_exception_fp_ieee_invalid_op 0
		.amdhsa_exception_fp_denorm_src 0
		.amdhsa_exception_fp_ieee_div_zero 0
		.amdhsa_exception_fp_ieee_overflow 0
		.amdhsa_exception_fp_ieee_underflow 0
		.amdhsa_exception_fp_ieee_inexact 0
		.amdhsa_exception_int_div_zero 0
	.end_amdhsa_kernel
	.section	.text._ZN7rocprim17ROCPRIM_400000_NS6detail17trampoline_kernelINS0_14default_configENS1_36segmented_radix_sort_config_selectorIslEEZNS1_25segmented_radix_sort_implIS3_Lb1EPKsPsPKlPlN2at6native12_GLOBAL__N_18offset_tEEE10hipError_tPvRmT1_PNSt15iterator_traitsISK_E10value_typeET2_T3_PNSL_ISQ_E10value_typeET4_jRbjT5_SW_jjP12ihipStream_tbEUlT_E0_NS1_11comp_targetILNS1_3genE8ELNS1_11target_archE1030ELNS1_3gpuE2ELNS1_3repE0EEENS1_60segmented_radix_sort_warp_sort_medium_config_static_selectorELNS0_4arch9wavefront6targetE0EEEvSK_,"axG",@progbits,_ZN7rocprim17ROCPRIM_400000_NS6detail17trampoline_kernelINS0_14default_configENS1_36segmented_radix_sort_config_selectorIslEEZNS1_25segmented_radix_sort_implIS3_Lb1EPKsPsPKlPlN2at6native12_GLOBAL__N_18offset_tEEE10hipError_tPvRmT1_PNSt15iterator_traitsISK_E10value_typeET2_T3_PNSL_ISQ_E10value_typeET4_jRbjT5_SW_jjP12ihipStream_tbEUlT_E0_NS1_11comp_targetILNS1_3genE8ELNS1_11target_archE1030ELNS1_3gpuE2ELNS1_3repE0EEENS1_60segmented_radix_sort_warp_sort_medium_config_static_selectorELNS0_4arch9wavefront6targetE0EEEvSK_,comdat
.Lfunc_end930:
	.size	_ZN7rocprim17ROCPRIM_400000_NS6detail17trampoline_kernelINS0_14default_configENS1_36segmented_radix_sort_config_selectorIslEEZNS1_25segmented_radix_sort_implIS3_Lb1EPKsPsPKlPlN2at6native12_GLOBAL__N_18offset_tEEE10hipError_tPvRmT1_PNSt15iterator_traitsISK_E10value_typeET2_T3_PNSL_ISQ_E10value_typeET4_jRbjT5_SW_jjP12ihipStream_tbEUlT_E0_NS1_11comp_targetILNS1_3genE8ELNS1_11target_archE1030ELNS1_3gpuE2ELNS1_3repE0EEENS1_60segmented_radix_sort_warp_sort_medium_config_static_selectorELNS0_4arch9wavefront6targetE0EEEvSK_, .Lfunc_end930-_ZN7rocprim17ROCPRIM_400000_NS6detail17trampoline_kernelINS0_14default_configENS1_36segmented_radix_sort_config_selectorIslEEZNS1_25segmented_radix_sort_implIS3_Lb1EPKsPsPKlPlN2at6native12_GLOBAL__N_18offset_tEEE10hipError_tPvRmT1_PNSt15iterator_traitsISK_E10value_typeET2_T3_PNSL_ISQ_E10value_typeET4_jRbjT5_SW_jjP12ihipStream_tbEUlT_E0_NS1_11comp_targetILNS1_3genE8ELNS1_11target_archE1030ELNS1_3gpuE2ELNS1_3repE0EEENS1_60segmented_radix_sort_warp_sort_medium_config_static_selectorELNS0_4arch9wavefront6targetE0EEEvSK_
                                        ; -- End function
	.set _ZN7rocprim17ROCPRIM_400000_NS6detail17trampoline_kernelINS0_14default_configENS1_36segmented_radix_sort_config_selectorIslEEZNS1_25segmented_radix_sort_implIS3_Lb1EPKsPsPKlPlN2at6native12_GLOBAL__N_18offset_tEEE10hipError_tPvRmT1_PNSt15iterator_traitsISK_E10value_typeET2_T3_PNSL_ISQ_E10value_typeET4_jRbjT5_SW_jjP12ihipStream_tbEUlT_E0_NS1_11comp_targetILNS1_3genE8ELNS1_11target_archE1030ELNS1_3gpuE2ELNS1_3repE0EEENS1_60segmented_radix_sort_warp_sort_medium_config_static_selectorELNS0_4arch9wavefront6targetE0EEEvSK_.num_vgpr, 0
	.set _ZN7rocprim17ROCPRIM_400000_NS6detail17trampoline_kernelINS0_14default_configENS1_36segmented_radix_sort_config_selectorIslEEZNS1_25segmented_radix_sort_implIS3_Lb1EPKsPsPKlPlN2at6native12_GLOBAL__N_18offset_tEEE10hipError_tPvRmT1_PNSt15iterator_traitsISK_E10value_typeET2_T3_PNSL_ISQ_E10value_typeET4_jRbjT5_SW_jjP12ihipStream_tbEUlT_E0_NS1_11comp_targetILNS1_3genE8ELNS1_11target_archE1030ELNS1_3gpuE2ELNS1_3repE0EEENS1_60segmented_radix_sort_warp_sort_medium_config_static_selectorELNS0_4arch9wavefront6targetE0EEEvSK_.num_agpr, 0
	.set _ZN7rocprim17ROCPRIM_400000_NS6detail17trampoline_kernelINS0_14default_configENS1_36segmented_radix_sort_config_selectorIslEEZNS1_25segmented_radix_sort_implIS3_Lb1EPKsPsPKlPlN2at6native12_GLOBAL__N_18offset_tEEE10hipError_tPvRmT1_PNSt15iterator_traitsISK_E10value_typeET2_T3_PNSL_ISQ_E10value_typeET4_jRbjT5_SW_jjP12ihipStream_tbEUlT_E0_NS1_11comp_targetILNS1_3genE8ELNS1_11target_archE1030ELNS1_3gpuE2ELNS1_3repE0EEENS1_60segmented_radix_sort_warp_sort_medium_config_static_selectorELNS0_4arch9wavefront6targetE0EEEvSK_.numbered_sgpr, 0
	.set _ZN7rocprim17ROCPRIM_400000_NS6detail17trampoline_kernelINS0_14default_configENS1_36segmented_radix_sort_config_selectorIslEEZNS1_25segmented_radix_sort_implIS3_Lb1EPKsPsPKlPlN2at6native12_GLOBAL__N_18offset_tEEE10hipError_tPvRmT1_PNSt15iterator_traitsISK_E10value_typeET2_T3_PNSL_ISQ_E10value_typeET4_jRbjT5_SW_jjP12ihipStream_tbEUlT_E0_NS1_11comp_targetILNS1_3genE8ELNS1_11target_archE1030ELNS1_3gpuE2ELNS1_3repE0EEENS1_60segmented_radix_sort_warp_sort_medium_config_static_selectorELNS0_4arch9wavefront6targetE0EEEvSK_.num_named_barrier, 0
	.set _ZN7rocprim17ROCPRIM_400000_NS6detail17trampoline_kernelINS0_14default_configENS1_36segmented_radix_sort_config_selectorIslEEZNS1_25segmented_radix_sort_implIS3_Lb1EPKsPsPKlPlN2at6native12_GLOBAL__N_18offset_tEEE10hipError_tPvRmT1_PNSt15iterator_traitsISK_E10value_typeET2_T3_PNSL_ISQ_E10value_typeET4_jRbjT5_SW_jjP12ihipStream_tbEUlT_E0_NS1_11comp_targetILNS1_3genE8ELNS1_11target_archE1030ELNS1_3gpuE2ELNS1_3repE0EEENS1_60segmented_radix_sort_warp_sort_medium_config_static_selectorELNS0_4arch9wavefront6targetE0EEEvSK_.private_seg_size, 0
	.set _ZN7rocprim17ROCPRIM_400000_NS6detail17trampoline_kernelINS0_14default_configENS1_36segmented_radix_sort_config_selectorIslEEZNS1_25segmented_radix_sort_implIS3_Lb1EPKsPsPKlPlN2at6native12_GLOBAL__N_18offset_tEEE10hipError_tPvRmT1_PNSt15iterator_traitsISK_E10value_typeET2_T3_PNSL_ISQ_E10value_typeET4_jRbjT5_SW_jjP12ihipStream_tbEUlT_E0_NS1_11comp_targetILNS1_3genE8ELNS1_11target_archE1030ELNS1_3gpuE2ELNS1_3repE0EEENS1_60segmented_radix_sort_warp_sort_medium_config_static_selectorELNS0_4arch9wavefront6targetE0EEEvSK_.uses_vcc, 0
	.set _ZN7rocprim17ROCPRIM_400000_NS6detail17trampoline_kernelINS0_14default_configENS1_36segmented_radix_sort_config_selectorIslEEZNS1_25segmented_radix_sort_implIS3_Lb1EPKsPsPKlPlN2at6native12_GLOBAL__N_18offset_tEEE10hipError_tPvRmT1_PNSt15iterator_traitsISK_E10value_typeET2_T3_PNSL_ISQ_E10value_typeET4_jRbjT5_SW_jjP12ihipStream_tbEUlT_E0_NS1_11comp_targetILNS1_3genE8ELNS1_11target_archE1030ELNS1_3gpuE2ELNS1_3repE0EEENS1_60segmented_radix_sort_warp_sort_medium_config_static_selectorELNS0_4arch9wavefront6targetE0EEEvSK_.uses_flat_scratch, 0
	.set _ZN7rocprim17ROCPRIM_400000_NS6detail17trampoline_kernelINS0_14default_configENS1_36segmented_radix_sort_config_selectorIslEEZNS1_25segmented_radix_sort_implIS3_Lb1EPKsPsPKlPlN2at6native12_GLOBAL__N_18offset_tEEE10hipError_tPvRmT1_PNSt15iterator_traitsISK_E10value_typeET2_T3_PNSL_ISQ_E10value_typeET4_jRbjT5_SW_jjP12ihipStream_tbEUlT_E0_NS1_11comp_targetILNS1_3genE8ELNS1_11target_archE1030ELNS1_3gpuE2ELNS1_3repE0EEENS1_60segmented_radix_sort_warp_sort_medium_config_static_selectorELNS0_4arch9wavefront6targetE0EEEvSK_.has_dyn_sized_stack, 0
	.set _ZN7rocprim17ROCPRIM_400000_NS6detail17trampoline_kernelINS0_14default_configENS1_36segmented_radix_sort_config_selectorIslEEZNS1_25segmented_radix_sort_implIS3_Lb1EPKsPsPKlPlN2at6native12_GLOBAL__N_18offset_tEEE10hipError_tPvRmT1_PNSt15iterator_traitsISK_E10value_typeET2_T3_PNSL_ISQ_E10value_typeET4_jRbjT5_SW_jjP12ihipStream_tbEUlT_E0_NS1_11comp_targetILNS1_3genE8ELNS1_11target_archE1030ELNS1_3gpuE2ELNS1_3repE0EEENS1_60segmented_radix_sort_warp_sort_medium_config_static_selectorELNS0_4arch9wavefront6targetE0EEEvSK_.has_recursion, 0
	.set _ZN7rocprim17ROCPRIM_400000_NS6detail17trampoline_kernelINS0_14default_configENS1_36segmented_radix_sort_config_selectorIslEEZNS1_25segmented_radix_sort_implIS3_Lb1EPKsPsPKlPlN2at6native12_GLOBAL__N_18offset_tEEE10hipError_tPvRmT1_PNSt15iterator_traitsISK_E10value_typeET2_T3_PNSL_ISQ_E10value_typeET4_jRbjT5_SW_jjP12ihipStream_tbEUlT_E0_NS1_11comp_targetILNS1_3genE8ELNS1_11target_archE1030ELNS1_3gpuE2ELNS1_3repE0EEENS1_60segmented_radix_sort_warp_sort_medium_config_static_selectorELNS0_4arch9wavefront6targetE0EEEvSK_.has_indirect_call, 0
	.section	.AMDGPU.csdata,"",@progbits
; Kernel info:
; codeLenInByte = 0
; TotalNumSgprs: 0
; NumVgprs: 0
; ScratchSize: 0
; MemoryBound: 0
; FloatMode: 240
; IeeeMode: 1
; LDSByteSize: 0 bytes/workgroup (compile time only)
; SGPRBlocks: 0
; VGPRBlocks: 0
; NumSGPRsForWavesPerEU: 1
; NumVGPRsForWavesPerEU: 1
; Occupancy: 16
; WaveLimiterHint : 0
; COMPUTE_PGM_RSRC2:SCRATCH_EN: 0
; COMPUTE_PGM_RSRC2:USER_SGPR: 2
; COMPUTE_PGM_RSRC2:TRAP_HANDLER: 0
; COMPUTE_PGM_RSRC2:TGID_X_EN: 1
; COMPUTE_PGM_RSRC2:TGID_Y_EN: 0
; COMPUTE_PGM_RSRC2:TGID_Z_EN: 0
; COMPUTE_PGM_RSRC2:TIDIG_COMP_CNT: 0
	.section	.text._ZN7rocprim17ROCPRIM_400000_NS6detail17trampoline_kernelINS0_14default_configENS1_36segmented_radix_sort_config_selectorIslEEZNS1_25segmented_radix_sort_implIS3_Lb1EPKsPsPKlPlN2at6native12_GLOBAL__N_18offset_tEEE10hipError_tPvRmT1_PNSt15iterator_traitsISK_E10value_typeET2_T3_PNSL_ISQ_E10value_typeET4_jRbjT5_SW_jjP12ihipStream_tbEUlT_E1_NS1_11comp_targetILNS1_3genE0ELNS1_11target_archE4294967295ELNS1_3gpuE0ELNS1_3repE0EEENS1_59segmented_radix_sort_warp_sort_small_config_static_selectorELNS0_4arch9wavefront6targetE0EEEvSK_,"axG",@progbits,_ZN7rocprim17ROCPRIM_400000_NS6detail17trampoline_kernelINS0_14default_configENS1_36segmented_radix_sort_config_selectorIslEEZNS1_25segmented_radix_sort_implIS3_Lb1EPKsPsPKlPlN2at6native12_GLOBAL__N_18offset_tEEE10hipError_tPvRmT1_PNSt15iterator_traitsISK_E10value_typeET2_T3_PNSL_ISQ_E10value_typeET4_jRbjT5_SW_jjP12ihipStream_tbEUlT_E1_NS1_11comp_targetILNS1_3genE0ELNS1_11target_archE4294967295ELNS1_3gpuE0ELNS1_3repE0EEENS1_59segmented_radix_sort_warp_sort_small_config_static_selectorELNS0_4arch9wavefront6targetE0EEEvSK_,comdat
	.globl	_ZN7rocprim17ROCPRIM_400000_NS6detail17trampoline_kernelINS0_14default_configENS1_36segmented_radix_sort_config_selectorIslEEZNS1_25segmented_radix_sort_implIS3_Lb1EPKsPsPKlPlN2at6native12_GLOBAL__N_18offset_tEEE10hipError_tPvRmT1_PNSt15iterator_traitsISK_E10value_typeET2_T3_PNSL_ISQ_E10value_typeET4_jRbjT5_SW_jjP12ihipStream_tbEUlT_E1_NS1_11comp_targetILNS1_3genE0ELNS1_11target_archE4294967295ELNS1_3gpuE0ELNS1_3repE0EEENS1_59segmented_radix_sort_warp_sort_small_config_static_selectorELNS0_4arch9wavefront6targetE0EEEvSK_ ; -- Begin function _ZN7rocprim17ROCPRIM_400000_NS6detail17trampoline_kernelINS0_14default_configENS1_36segmented_radix_sort_config_selectorIslEEZNS1_25segmented_radix_sort_implIS3_Lb1EPKsPsPKlPlN2at6native12_GLOBAL__N_18offset_tEEE10hipError_tPvRmT1_PNSt15iterator_traitsISK_E10value_typeET2_T3_PNSL_ISQ_E10value_typeET4_jRbjT5_SW_jjP12ihipStream_tbEUlT_E1_NS1_11comp_targetILNS1_3genE0ELNS1_11target_archE4294967295ELNS1_3gpuE0ELNS1_3repE0EEENS1_59segmented_radix_sort_warp_sort_small_config_static_selectorELNS0_4arch9wavefront6targetE0EEEvSK_
	.p2align	8
	.type	_ZN7rocprim17ROCPRIM_400000_NS6detail17trampoline_kernelINS0_14default_configENS1_36segmented_radix_sort_config_selectorIslEEZNS1_25segmented_radix_sort_implIS3_Lb1EPKsPsPKlPlN2at6native12_GLOBAL__N_18offset_tEEE10hipError_tPvRmT1_PNSt15iterator_traitsISK_E10value_typeET2_T3_PNSL_ISQ_E10value_typeET4_jRbjT5_SW_jjP12ihipStream_tbEUlT_E1_NS1_11comp_targetILNS1_3genE0ELNS1_11target_archE4294967295ELNS1_3gpuE0ELNS1_3repE0EEENS1_59segmented_radix_sort_warp_sort_small_config_static_selectorELNS0_4arch9wavefront6targetE0EEEvSK_,@function
_ZN7rocprim17ROCPRIM_400000_NS6detail17trampoline_kernelINS0_14default_configENS1_36segmented_radix_sort_config_selectorIslEEZNS1_25segmented_radix_sort_implIS3_Lb1EPKsPsPKlPlN2at6native12_GLOBAL__N_18offset_tEEE10hipError_tPvRmT1_PNSt15iterator_traitsISK_E10value_typeET2_T3_PNSL_ISQ_E10value_typeET4_jRbjT5_SW_jjP12ihipStream_tbEUlT_E1_NS1_11comp_targetILNS1_3genE0ELNS1_11target_archE4294967295ELNS1_3gpuE0ELNS1_3repE0EEENS1_59segmented_radix_sort_warp_sort_small_config_static_selectorELNS0_4arch9wavefront6targetE0EEEvSK_: ; @_ZN7rocprim17ROCPRIM_400000_NS6detail17trampoline_kernelINS0_14default_configENS1_36segmented_radix_sort_config_selectorIslEEZNS1_25segmented_radix_sort_implIS3_Lb1EPKsPsPKlPlN2at6native12_GLOBAL__N_18offset_tEEE10hipError_tPvRmT1_PNSt15iterator_traitsISK_E10value_typeET2_T3_PNSL_ISQ_E10value_typeET4_jRbjT5_SW_jjP12ihipStream_tbEUlT_E1_NS1_11comp_targetILNS1_3genE0ELNS1_11target_archE4294967295ELNS1_3gpuE0ELNS1_3repE0EEENS1_59segmented_radix_sort_warp_sort_small_config_static_selectorELNS0_4arch9wavefront6targetE0EEEvSK_
; %bb.0:
	.section	.rodata,"a",@progbits
	.p2align	6, 0x0
	.amdhsa_kernel _ZN7rocprim17ROCPRIM_400000_NS6detail17trampoline_kernelINS0_14default_configENS1_36segmented_radix_sort_config_selectorIslEEZNS1_25segmented_radix_sort_implIS3_Lb1EPKsPsPKlPlN2at6native12_GLOBAL__N_18offset_tEEE10hipError_tPvRmT1_PNSt15iterator_traitsISK_E10value_typeET2_T3_PNSL_ISQ_E10value_typeET4_jRbjT5_SW_jjP12ihipStream_tbEUlT_E1_NS1_11comp_targetILNS1_3genE0ELNS1_11target_archE4294967295ELNS1_3gpuE0ELNS1_3repE0EEENS1_59segmented_radix_sort_warp_sort_small_config_static_selectorELNS0_4arch9wavefront6targetE0EEEvSK_
		.amdhsa_group_segment_fixed_size 0
		.amdhsa_private_segment_fixed_size 0
		.amdhsa_kernarg_size 88
		.amdhsa_user_sgpr_count 2
		.amdhsa_user_sgpr_dispatch_ptr 0
		.amdhsa_user_sgpr_queue_ptr 0
		.amdhsa_user_sgpr_kernarg_segment_ptr 1
		.amdhsa_user_sgpr_dispatch_id 0
		.amdhsa_user_sgpr_private_segment_size 0
		.amdhsa_wavefront_size32 1
		.amdhsa_uses_dynamic_stack 0
		.amdhsa_enable_private_segment 0
		.amdhsa_system_sgpr_workgroup_id_x 1
		.amdhsa_system_sgpr_workgroup_id_y 0
		.amdhsa_system_sgpr_workgroup_id_z 0
		.amdhsa_system_sgpr_workgroup_info 0
		.amdhsa_system_vgpr_workitem_id 0
		.amdhsa_next_free_vgpr 1
		.amdhsa_next_free_sgpr 1
		.amdhsa_reserve_vcc 0
		.amdhsa_float_round_mode_32 0
		.amdhsa_float_round_mode_16_64 0
		.amdhsa_float_denorm_mode_32 3
		.amdhsa_float_denorm_mode_16_64 3
		.amdhsa_fp16_overflow 0
		.amdhsa_workgroup_processor_mode 1
		.amdhsa_memory_ordered 1
		.amdhsa_forward_progress 1
		.amdhsa_inst_pref_size 0
		.amdhsa_round_robin_scheduling 0
		.amdhsa_exception_fp_ieee_invalid_op 0
		.amdhsa_exception_fp_denorm_src 0
		.amdhsa_exception_fp_ieee_div_zero 0
		.amdhsa_exception_fp_ieee_overflow 0
		.amdhsa_exception_fp_ieee_underflow 0
		.amdhsa_exception_fp_ieee_inexact 0
		.amdhsa_exception_int_div_zero 0
	.end_amdhsa_kernel
	.section	.text._ZN7rocprim17ROCPRIM_400000_NS6detail17trampoline_kernelINS0_14default_configENS1_36segmented_radix_sort_config_selectorIslEEZNS1_25segmented_radix_sort_implIS3_Lb1EPKsPsPKlPlN2at6native12_GLOBAL__N_18offset_tEEE10hipError_tPvRmT1_PNSt15iterator_traitsISK_E10value_typeET2_T3_PNSL_ISQ_E10value_typeET4_jRbjT5_SW_jjP12ihipStream_tbEUlT_E1_NS1_11comp_targetILNS1_3genE0ELNS1_11target_archE4294967295ELNS1_3gpuE0ELNS1_3repE0EEENS1_59segmented_radix_sort_warp_sort_small_config_static_selectorELNS0_4arch9wavefront6targetE0EEEvSK_,"axG",@progbits,_ZN7rocprim17ROCPRIM_400000_NS6detail17trampoline_kernelINS0_14default_configENS1_36segmented_radix_sort_config_selectorIslEEZNS1_25segmented_radix_sort_implIS3_Lb1EPKsPsPKlPlN2at6native12_GLOBAL__N_18offset_tEEE10hipError_tPvRmT1_PNSt15iterator_traitsISK_E10value_typeET2_T3_PNSL_ISQ_E10value_typeET4_jRbjT5_SW_jjP12ihipStream_tbEUlT_E1_NS1_11comp_targetILNS1_3genE0ELNS1_11target_archE4294967295ELNS1_3gpuE0ELNS1_3repE0EEENS1_59segmented_radix_sort_warp_sort_small_config_static_selectorELNS0_4arch9wavefront6targetE0EEEvSK_,comdat
.Lfunc_end931:
	.size	_ZN7rocprim17ROCPRIM_400000_NS6detail17trampoline_kernelINS0_14default_configENS1_36segmented_radix_sort_config_selectorIslEEZNS1_25segmented_radix_sort_implIS3_Lb1EPKsPsPKlPlN2at6native12_GLOBAL__N_18offset_tEEE10hipError_tPvRmT1_PNSt15iterator_traitsISK_E10value_typeET2_T3_PNSL_ISQ_E10value_typeET4_jRbjT5_SW_jjP12ihipStream_tbEUlT_E1_NS1_11comp_targetILNS1_3genE0ELNS1_11target_archE4294967295ELNS1_3gpuE0ELNS1_3repE0EEENS1_59segmented_radix_sort_warp_sort_small_config_static_selectorELNS0_4arch9wavefront6targetE0EEEvSK_, .Lfunc_end931-_ZN7rocprim17ROCPRIM_400000_NS6detail17trampoline_kernelINS0_14default_configENS1_36segmented_radix_sort_config_selectorIslEEZNS1_25segmented_radix_sort_implIS3_Lb1EPKsPsPKlPlN2at6native12_GLOBAL__N_18offset_tEEE10hipError_tPvRmT1_PNSt15iterator_traitsISK_E10value_typeET2_T3_PNSL_ISQ_E10value_typeET4_jRbjT5_SW_jjP12ihipStream_tbEUlT_E1_NS1_11comp_targetILNS1_3genE0ELNS1_11target_archE4294967295ELNS1_3gpuE0ELNS1_3repE0EEENS1_59segmented_radix_sort_warp_sort_small_config_static_selectorELNS0_4arch9wavefront6targetE0EEEvSK_
                                        ; -- End function
	.set _ZN7rocprim17ROCPRIM_400000_NS6detail17trampoline_kernelINS0_14default_configENS1_36segmented_radix_sort_config_selectorIslEEZNS1_25segmented_radix_sort_implIS3_Lb1EPKsPsPKlPlN2at6native12_GLOBAL__N_18offset_tEEE10hipError_tPvRmT1_PNSt15iterator_traitsISK_E10value_typeET2_T3_PNSL_ISQ_E10value_typeET4_jRbjT5_SW_jjP12ihipStream_tbEUlT_E1_NS1_11comp_targetILNS1_3genE0ELNS1_11target_archE4294967295ELNS1_3gpuE0ELNS1_3repE0EEENS1_59segmented_radix_sort_warp_sort_small_config_static_selectorELNS0_4arch9wavefront6targetE0EEEvSK_.num_vgpr, 0
	.set _ZN7rocprim17ROCPRIM_400000_NS6detail17trampoline_kernelINS0_14default_configENS1_36segmented_radix_sort_config_selectorIslEEZNS1_25segmented_radix_sort_implIS3_Lb1EPKsPsPKlPlN2at6native12_GLOBAL__N_18offset_tEEE10hipError_tPvRmT1_PNSt15iterator_traitsISK_E10value_typeET2_T3_PNSL_ISQ_E10value_typeET4_jRbjT5_SW_jjP12ihipStream_tbEUlT_E1_NS1_11comp_targetILNS1_3genE0ELNS1_11target_archE4294967295ELNS1_3gpuE0ELNS1_3repE0EEENS1_59segmented_radix_sort_warp_sort_small_config_static_selectorELNS0_4arch9wavefront6targetE0EEEvSK_.num_agpr, 0
	.set _ZN7rocprim17ROCPRIM_400000_NS6detail17trampoline_kernelINS0_14default_configENS1_36segmented_radix_sort_config_selectorIslEEZNS1_25segmented_radix_sort_implIS3_Lb1EPKsPsPKlPlN2at6native12_GLOBAL__N_18offset_tEEE10hipError_tPvRmT1_PNSt15iterator_traitsISK_E10value_typeET2_T3_PNSL_ISQ_E10value_typeET4_jRbjT5_SW_jjP12ihipStream_tbEUlT_E1_NS1_11comp_targetILNS1_3genE0ELNS1_11target_archE4294967295ELNS1_3gpuE0ELNS1_3repE0EEENS1_59segmented_radix_sort_warp_sort_small_config_static_selectorELNS0_4arch9wavefront6targetE0EEEvSK_.numbered_sgpr, 0
	.set _ZN7rocprim17ROCPRIM_400000_NS6detail17trampoline_kernelINS0_14default_configENS1_36segmented_radix_sort_config_selectorIslEEZNS1_25segmented_radix_sort_implIS3_Lb1EPKsPsPKlPlN2at6native12_GLOBAL__N_18offset_tEEE10hipError_tPvRmT1_PNSt15iterator_traitsISK_E10value_typeET2_T3_PNSL_ISQ_E10value_typeET4_jRbjT5_SW_jjP12ihipStream_tbEUlT_E1_NS1_11comp_targetILNS1_3genE0ELNS1_11target_archE4294967295ELNS1_3gpuE0ELNS1_3repE0EEENS1_59segmented_radix_sort_warp_sort_small_config_static_selectorELNS0_4arch9wavefront6targetE0EEEvSK_.num_named_barrier, 0
	.set _ZN7rocprim17ROCPRIM_400000_NS6detail17trampoline_kernelINS0_14default_configENS1_36segmented_radix_sort_config_selectorIslEEZNS1_25segmented_radix_sort_implIS3_Lb1EPKsPsPKlPlN2at6native12_GLOBAL__N_18offset_tEEE10hipError_tPvRmT1_PNSt15iterator_traitsISK_E10value_typeET2_T3_PNSL_ISQ_E10value_typeET4_jRbjT5_SW_jjP12ihipStream_tbEUlT_E1_NS1_11comp_targetILNS1_3genE0ELNS1_11target_archE4294967295ELNS1_3gpuE0ELNS1_3repE0EEENS1_59segmented_radix_sort_warp_sort_small_config_static_selectorELNS0_4arch9wavefront6targetE0EEEvSK_.private_seg_size, 0
	.set _ZN7rocprim17ROCPRIM_400000_NS6detail17trampoline_kernelINS0_14default_configENS1_36segmented_radix_sort_config_selectorIslEEZNS1_25segmented_radix_sort_implIS3_Lb1EPKsPsPKlPlN2at6native12_GLOBAL__N_18offset_tEEE10hipError_tPvRmT1_PNSt15iterator_traitsISK_E10value_typeET2_T3_PNSL_ISQ_E10value_typeET4_jRbjT5_SW_jjP12ihipStream_tbEUlT_E1_NS1_11comp_targetILNS1_3genE0ELNS1_11target_archE4294967295ELNS1_3gpuE0ELNS1_3repE0EEENS1_59segmented_radix_sort_warp_sort_small_config_static_selectorELNS0_4arch9wavefront6targetE0EEEvSK_.uses_vcc, 0
	.set _ZN7rocprim17ROCPRIM_400000_NS6detail17trampoline_kernelINS0_14default_configENS1_36segmented_radix_sort_config_selectorIslEEZNS1_25segmented_radix_sort_implIS3_Lb1EPKsPsPKlPlN2at6native12_GLOBAL__N_18offset_tEEE10hipError_tPvRmT1_PNSt15iterator_traitsISK_E10value_typeET2_T3_PNSL_ISQ_E10value_typeET4_jRbjT5_SW_jjP12ihipStream_tbEUlT_E1_NS1_11comp_targetILNS1_3genE0ELNS1_11target_archE4294967295ELNS1_3gpuE0ELNS1_3repE0EEENS1_59segmented_radix_sort_warp_sort_small_config_static_selectorELNS0_4arch9wavefront6targetE0EEEvSK_.uses_flat_scratch, 0
	.set _ZN7rocprim17ROCPRIM_400000_NS6detail17trampoline_kernelINS0_14default_configENS1_36segmented_radix_sort_config_selectorIslEEZNS1_25segmented_radix_sort_implIS3_Lb1EPKsPsPKlPlN2at6native12_GLOBAL__N_18offset_tEEE10hipError_tPvRmT1_PNSt15iterator_traitsISK_E10value_typeET2_T3_PNSL_ISQ_E10value_typeET4_jRbjT5_SW_jjP12ihipStream_tbEUlT_E1_NS1_11comp_targetILNS1_3genE0ELNS1_11target_archE4294967295ELNS1_3gpuE0ELNS1_3repE0EEENS1_59segmented_radix_sort_warp_sort_small_config_static_selectorELNS0_4arch9wavefront6targetE0EEEvSK_.has_dyn_sized_stack, 0
	.set _ZN7rocprim17ROCPRIM_400000_NS6detail17trampoline_kernelINS0_14default_configENS1_36segmented_radix_sort_config_selectorIslEEZNS1_25segmented_radix_sort_implIS3_Lb1EPKsPsPKlPlN2at6native12_GLOBAL__N_18offset_tEEE10hipError_tPvRmT1_PNSt15iterator_traitsISK_E10value_typeET2_T3_PNSL_ISQ_E10value_typeET4_jRbjT5_SW_jjP12ihipStream_tbEUlT_E1_NS1_11comp_targetILNS1_3genE0ELNS1_11target_archE4294967295ELNS1_3gpuE0ELNS1_3repE0EEENS1_59segmented_radix_sort_warp_sort_small_config_static_selectorELNS0_4arch9wavefront6targetE0EEEvSK_.has_recursion, 0
	.set _ZN7rocprim17ROCPRIM_400000_NS6detail17trampoline_kernelINS0_14default_configENS1_36segmented_radix_sort_config_selectorIslEEZNS1_25segmented_radix_sort_implIS3_Lb1EPKsPsPKlPlN2at6native12_GLOBAL__N_18offset_tEEE10hipError_tPvRmT1_PNSt15iterator_traitsISK_E10value_typeET2_T3_PNSL_ISQ_E10value_typeET4_jRbjT5_SW_jjP12ihipStream_tbEUlT_E1_NS1_11comp_targetILNS1_3genE0ELNS1_11target_archE4294967295ELNS1_3gpuE0ELNS1_3repE0EEENS1_59segmented_radix_sort_warp_sort_small_config_static_selectorELNS0_4arch9wavefront6targetE0EEEvSK_.has_indirect_call, 0
	.section	.AMDGPU.csdata,"",@progbits
; Kernel info:
; codeLenInByte = 0
; TotalNumSgprs: 0
; NumVgprs: 0
; ScratchSize: 0
; MemoryBound: 0
; FloatMode: 240
; IeeeMode: 1
; LDSByteSize: 0 bytes/workgroup (compile time only)
; SGPRBlocks: 0
; VGPRBlocks: 0
; NumSGPRsForWavesPerEU: 1
; NumVGPRsForWavesPerEU: 1
; Occupancy: 16
; WaveLimiterHint : 0
; COMPUTE_PGM_RSRC2:SCRATCH_EN: 0
; COMPUTE_PGM_RSRC2:USER_SGPR: 2
; COMPUTE_PGM_RSRC2:TRAP_HANDLER: 0
; COMPUTE_PGM_RSRC2:TGID_X_EN: 1
; COMPUTE_PGM_RSRC2:TGID_Y_EN: 0
; COMPUTE_PGM_RSRC2:TGID_Z_EN: 0
; COMPUTE_PGM_RSRC2:TIDIG_COMP_CNT: 0
	.section	.text._ZN7rocprim17ROCPRIM_400000_NS6detail17trampoline_kernelINS0_14default_configENS1_36segmented_radix_sort_config_selectorIslEEZNS1_25segmented_radix_sort_implIS3_Lb1EPKsPsPKlPlN2at6native12_GLOBAL__N_18offset_tEEE10hipError_tPvRmT1_PNSt15iterator_traitsISK_E10value_typeET2_T3_PNSL_ISQ_E10value_typeET4_jRbjT5_SW_jjP12ihipStream_tbEUlT_E1_NS1_11comp_targetILNS1_3genE5ELNS1_11target_archE942ELNS1_3gpuE9ELNS1_3repE0EEENS1_59segmented_radix_sort_warp_sort_small_config_static_selectorELNS0_4arch9wavefront6targetE0EEEvSK_,"axG",@progbits,_ZN7rocprim17ROCPRIM_400000_NS6detail17trampoline_kernelINS0_14default_configENS1_36segmented_radix_sort_config_selectorIslEEZNS1_25segmented_radix_sort_implIS3_Lb1EPKsPsPKlPlN2at6native12_GLOBAL__N_18offset_tEEE10hipError_tPvRmT1_PNSt15iterator_traitsISK_E10value_typeET2_T3_PNSL_ISQ_E10value_typeET4_jRbjT5_SW_jjP12ihipStream_tbEUlT_E1_NS1_11comp_targetILNS1_3genE5ELNS1_11target_archE942ELNS1_3gpuE9ELNS1_3repE0EEENS1_59segmented_radix_sort_warp_sort_small_config_static_selectorELNS0_4arch9wavefront6targetE0EEEvSK_,comdat
	.globl	_ZN7rocprim17ROCPRIM_400000_NS6detail17trampoline_kernelINS0_14default_configENS1_36segmented_radix_sort_config_selectorIslEEZNS1_25segmented_radix_sort_implIS3_Lb1EPKsPsPKlPlN2at6native12_GLOBAL__N_18offset_tEEE10hipError_tPvRmT1_PNSt15iterator_traitsISK_E10value_typeET2_T3_PNSL_ISQ_E10value_typeET4_jRbjT5_SW_jjP12ihipStream_tbEUlT_E1_NS1_11comp_targetILNS1_3genE5ELNS1_11target_archE942ELNS1_3gpuE9ELNS1_3repE0EEENS1_59segmented_radix_sort_warp_sort_small_config_static_selectorELNS0_4arch9wavefront6targetE0EEEvSK_ ; -- Begin function _ZN7rocprim17ROCPRIM_400000_NS6detail17trampoline_kernelINS0_14default_configENS1_36segmented_radix_sort_config_selectorIslEEZNS1_25segmented_radix_sort_implIS3_Lb1EPKsPsPKlPlN2at6native12_GLOBAL__N_18offset_tEEE10hipError_tPvRmT1_PNSt15iterator_traitsISK_E10value_typeET2_T3_PNSL_ISQ_E10value_typeET4_jRbjT5_SW_jjP12ihipStream_tbEUlT_E1_NS1_11comp_targetILNS1_3genE5ELNS1_11target_archE942ELNS1_3gpuE9ELNS1_3repE0EEENS1_59segmented_radix_sort_warp_sort_small_config_static_selectorELNS0_4arch9wavefront6targetE0EEEvSK_
	.p2align	8
	.type	_ZN7rocprim17ROCPRIM_400000_NS6detail17trampoline_kernelINS0_14default_configENS1_36segmented_radix_sort_config_selectorIslEEZNS1_25segmented_radix_sort_implIS3_Lb1EPKsPsPKlPlN2at6native12_GLOBAL__N_18offset_tEEE10hipError_tPvRmT1_PNSt15iterator_traitsISK_E10value_typeET2_T3_PNSL_ISQ_E10value_typeET4_jRbjT5_SW_jjP12ihipStream_tbEUlT_E1_NS1_11comp_targetILNS1_3genE5ELNS1_11target_archE942ELNS1_3gpuE9ELNS1_3repE0EEENS1_59segmented_radix_sort_warp_sort_small_config_static_selectorELNS0_4arch9wavefront6targetE0EEEvSK_,@function
_ZN7rocprim17ROCPRIM_400000_NS6detail17trampoline_kernelINS0_14default_configENS1_36segmented_radix_sort_config_selectorIslEEZNS1_25segmented_radix_sort_implIS3_Lb1EPKsPsPKlPlN2at6native12_GLOBAL__N_18offset_tEEE10hipError_tPvRmT1_PNSt15iterator_traitsISK_E10value_typeET2_T3_PNSL_ISQ_E10value_typeET4_jRbjT5_SW_jjP12ihipStream_tbEUlT_E1_NS1_11comp_targetILNS1_3genE5ELNS1_11target_archE942ELNS1_3gpuE9ELNS1_3repE0EEENS1_59segmented_radix_sort_warp_sort_small_config_static_selectorELNS0_4arch9wavefront6targetE0EEEvSK_: ; @_ZN7rocprim17ROCPRIM_400000_NS6detail17trampoline_kernelINS0_14default_configENS1_36segmented_radix_sort_config_selectorIslEEZNS1_25segmented_radix_sort_implIS3_Lb1EPKsPsPKlPlN2at6native12_GLOBAL__N_18offset_tEEE10hipError_tPvRmT1_PNSt15iterator_traitsISK_E10value_typeET2_T3_PNSL_ISQ_E10value_typeET4_jRbjT5_SW_jjP12ihipStream_tbEUlT_E1_NS1_11comp_targetILNS1_3genE5ELNS1_11target_archE942ELNS1_3gpuE9ELNS1_3repE0EEENS1_59segmented_radix_sort_warp_sort_small_config_static_selectorELNS0_4arch9wavefront6targetE0EEEvSK_
; %bb.0:
	.section	.rodata,"a",@progbits
	.p2align	6, 0x0
	.amdhsa_kernel _ZN7rocprim17ROCPRIM_400000_NS6detail17trampoline_kernelINS0_14default_configENS1_36segmented_radix_sort_config_selectorIslEEZNS1_25segmented_radix_sort_implIS3_Lb1EPKsPsPKlPlN2at6native12_GLOBAL__N_18offset_tEEE10hipError_tPvRmT1_PNSt15iterator_traitsISK_E10value_typeET2_T3_PNSL_ISQ_E10value_typeET4_jRbjT5_SW_jjP12ihipStream_tbEUlT_E1_NS1_11comp_targetILNS1_3genE5ELNS1_11target_archE942ELNS1_3gpuE9ELNS1_3repE0EEENS1_59segmented_radix_sort_warp_sort_small_config_static_selectorELNS0_4arch9wavefront6targetE0EEEvSK_
		.amdhsa_group_segment_fixed_size 0
		.amdhsa_private_segment_fixed_size 0
		.amdhsa_kernarg_size 88
		.amdhsa_user_sgpr_count 2
		.amdhsa_user_sgpr_dispatch_ptr 0
		.amdhsa_user_sgpr_queue_ptr 0
		.amdhsa_user_sgpr_kernarg_segment_ptr 1
		.amdhsa_user_sgpr_dispatch_id 0
		.amdhsa_user_sgpr_private_segment_size 0
		.amdhsa_wavefront_size32 1
		.amdhsa_uses_dynamic_stack 0
		.amdhsa_enable_private_segment 0
		.amdhsa_system_sgpr_workgroup_id_x 1
		.amdhsa_system_sgpr_workgroup_id_y 0
		.amdhsa_system_sgpr_workgroup_id_z 0
		.amdhsa_system_sgpr_workgroup_info 0
		.amdhsa_system_vgpr_workitem_id 0
		.amdhsa_next_free_vgpr 1
		.amdhsa_next_free_sgpr 1
		.amdhsa_reserve_vcc 0
		.amdhsa_float_round_mode_32 0
		.amdhsa_float_round_mode_16_64 0
		.amdhsa_float_denorm_mode_32 3
		.amdhsa_float_denorm_mode_16_64 3
		.amdhsa_fp16_overflow 0
		.amdhsa_workgroup_processor_mode 1
		.amdhsa_memory_ordered 1
		.amdhsa_forward_progress 1
		.amdhsa_inst_pref_size 0
		.amdhsa_round_robin_scheduling 0
		.amdhsa_exception_fp_ieee_invalid_op 0
		.amdhsa_exception_fp_denorm_src 0
		.amdhsa_exception_fp_ieee_div_zero 0
		.amdhsa_exception_fp_ieee_overflow 0
		.amdhsa_exception_fp_ieee_underflow 0
		.amdhsa_exception_fp_ieee_inexact 0
		.amdhsa_exception_int_div_zero 0
	.end_amdhsa_kernel
	.section	.text._ZN7rocprim17ROCPRIM_400000_NS6detail17trampoline_kernelINS0_14default_configENS1_36segmented_radix_sort_config_selectorIslEEZNS1_25segmented_radix_sort_implIS3_Lb1EPKsPsPKlPlN2at6native12_GLOBAL__N_18offset_tEEE10hipError_tPvRmT1_PNSt15iterator_traitsISK_E10value_typeET2_T3_PNSL_ISQ_E10value_typeET4_jRbjT5_SW_jjP12ihipStream_tbEUlT_E1_NS1_11comp_targetILNS1_3genE5ELNS1_11target_archE942ELNS1_3gpuE9ELNS1_3repE0EEENS1_59segmented_radix_sort_warp_sort_small_config_static_selectorELNS0_4arch9wavefront6targetE0EEEvSK_,"axG",@progbits,_ZN7rocprim17ROCPRIM_400000_NS6detail17trampoline_kernelINS0_14default_configENS1_36segmented_radix_sort_config_selectorIslEEZNS1_25segmented_radix_sort_implIS3_Lb1EPKsPsPKlPlN2at6native12_GLOBAL__N_18offset_tEEE10hipError_tPvRmT1_PNSt15iterator_traitsISK_E10value_typeET2_T3_PNSL_ISQ_E10value_typeET4_jRbjT5_SW_jjP12ihipStream_tbEUlT_E1_NS1_11comp_targetILNS1_3genE5ELNS1_11target_archE942ELNS1_3gpuE9ELNS1_3repE0EEENS1_59segmented_radix_sort_warp_sort_small_config_static_selectorELNS0_4arch9wavefront6targetE0EEEvSK_,comdat
.Lfunc_end932:
	.size	_ZN7rocprim17ROCPRIM_400000_NS6detail17trampoline_kernelINS0_14default_configENS1_36segmented_radix_sort_config_selectorIslEEZNS1_25segmented_radix_sort_implIS3_Lb1EPKsPsPKlPlN2at6native12_GLOBAL__N_18offset_tEEE10hipError_tPvRmT1_PNSt15iterator_traitsISK_E10value_typeET2_T3_PNSL_ISQ_E10value_typeET4_jRbjT5_SW_jjP12ihipStream_tbEUlT_E1_NS1_11comp_targetILNS1_3genE5ELNS1_11target_archE942ELNS1_3gpuE9ELNS1_3repE0EEENS1_59segmented_radix_sort_warp_sort_small_config_static_selectorELNS0_4arch9wavefront6targetE0EEEvSK_, .Lfunc_end932-_ZN7rocprim17ROCPRIM_400000_NS6detail17trampoline_kernelINS0_14default_configENS1_36segmented_radix_sort_config_selectorIslEEZNS1_25segmented_radix_sort_implIS3_Lb1EPKsPsPKlPlN2at6native12_GLOBAL__N_18offset_tEEE10hipError_tPvRmT1_PNSt15iterator_traitsISK_E10value_typeET2_T3_PNSL_ISQ_E10value_typeET4_jRbjT5_SW_jjP12ihipStream_tbEUlT_E1_NS1_11comp_targetILNS1_3genE5ELNS1_11target_archE942ELNS1_3gpuE9ELNS1_3repE0EEENS1_59segmented_radix_sort_warp_sort_small_config_static_selectorELNS0_4arch9wavefront6targetE0EEEvSK_
                                        ; -- End function
	.set _ZN7rocprim17ROCPRIM_400000_NS6detail17trampoline_kernelINS0_14default_configENS1_36segmented_radix_sort_config_selectorIslEEZNS1_25segmented_radix_sort_implIS3_Lb1EPKsPsPKlPlN2at6native12_GLOBAL__N_18offset_tEEE10hipError_tPvRmT1_PNSt15iterator_traitsISK_E10value_typeET2_T3_PNSL_ISQ_E10value_typeET4_jRbjT5_SW_jjP12ihipStream_tbEUlT_E1_NS1_11comp_targetILNS1_3genE5ELNS1_11target_archE942ELNS1_3gpuE9ELNS1_3repE0EEENS1_59segmented_radix_sort_warp_sort_small_config_static_selectorELNS0_4arch9wavefront6targetE0EEEvSK_.num_vgpr, 0
	.set _ZN7rocprim17ROCPRIM_400000_NS6detail17trampoline_kernelINS0_14default_configENS1_36segmented_radix_sort_config_selectorIslEEZNS1_25segmented_radix_sort_implIS3_Lb1EPKsPsPKlPlN2at6native12_GLOBAL__N_18offset_tEEE10hipError_tPvRmT1_PNSt15iterator_traitsISK_E10value_typeET2_T3_PNSL_ISQ_E10value_typeET4_jRbjT5_SW_jjP12ihipStream_tbEUlT_E1_NS1_11comp_targetILNS1_3genE5ELNS1_11target_archE942ELNS1_3gpuE9ELNS1_3repE0EEENS1_59segmented_radix_sort_warp_sort_small_config_static_selectorELNS0_4arch9wavefront6targetE0EEEvSK_.num_agpr, 0
	.set _ZN7rocprim17ROCPRIM_400000_NS6detail17trampoline_kernelINS0_14default_configENS1_36segmented_radix_sort_config_selectorIslEEZNS1_25segmented_radix_sort_implIS3_Lb1EPKsPsPKlPlN2at6native12_GLOBAL__N_18offset_tEEE10hipError_tPvRmT1_PNSt15iterator_traitsISK_E10value_typeET2_T3_PNSL_ISQ_E10value_typeET4_jRbjT5_SW_jjP12ihipStream_tbEUlT_E1_NS1_11comp_targetILNS1_3genE5ELNS1_11target_archE942ELNS1_3gpuE9ELNS1_3repE0EEENS1_59segmented_radix_sort_warp_sort_small_config_static_selectorELNS0_4arch9wavefront6targetE0EEEvSK_.numbered_sgpr, 0
	.set _ZN7rocprim17ROCPRIM_400000_NS6detail17trampoline_kernelINS0_14default_configENS1_36segmented_radix_sort_config_selectorIslEEZNS1_25segmented_radix_sort_implIS3_Lb1EPKsPsPKlPlN2at6native12_GLOBAL__N_18offset_tEEE10hipError_tPvRmT1_PNSt15iterator_traitsISK_E10value_typeET2_T3_PNSL_ISQ_E10value_typeET4_jRbjT5_SW_jjP12ihipStream_tbEUlT_E1_NS1_11comp_targetILNS1_3genE5ELNS1_11target_archE942ELNS1_3gpuE9ELNS1_3repE0EEENS1_59segmented_radix_sort_warp_sort_small_config_static_selectorELNS0_4arch9wavefront6targetE0EEEvSK_.num_named_barrier, 0
	.set _ZN7rocprim17ROCPRIM_400000_NS6detail17trampoline_kernelINS0_14default_configENS1_36segmented_radix_sort_config_selectorIslEEZNS1_25segmented_radix_sort_implIS3_Lb1EPKsPsPKlPlN2at6native12_GLOBAL__N_18offset_tEEE10hipError_tPvRmT1_PNSt15iterator_traitsISK_E10value_typeET2_T3_PNSL_ISQ_E10value_typeET4_jRbjT5_SW_jjP12ihipStream_tbEUlT_E1_NS1_11comp_targetILNS1_3genE5ELNS1_11target_archE942ELNS1_3gpuE9ELNS1_3repE0EEENS1_59segmented_radix_sort_warp_sort_small_config_static_selectorELNS0_4arch9wavefront6targetE0EEEvSK_.private_seg_size, 0
	.set _ZN7rocprim17ROCPRIM_400000_NS6detail17trampoline_kernelINS0_14default_configENS1_36segmented_radix_sort_config_selectorIslEEZNS1_25segmented_radix_sort_implIS3_Lb1EPKsPsPKlPlN2at6native12_GLOBAL__N_18offset_tEEE10hipError_tPvRmT1_PNSt15iterator_traitsISK_E10value_typeET2_T3_PNSL_ISQ_E10value_typeET4_jRbjT5_SW_jjP12ihipStream_tbEUlT_E1_NS1_11comp_targetILNS1_3genE5ELNS1_11target_archE942ELNS1_3gpuE9ELNS1_3repE0EEENS1_59segmented_radix_sort_warp_sort_small_config_static_selectorELNS0_4arch9wavefront6targetE0EEEvSK_.uses_vcc, 0
	.set _ZN7rocprim17ROCPRIM_400000_NS6detail17trampoline_kernelINS0_14default_configENS1_36segmented_radix_sort_config_selectorIslEEZNS1_25segmented_radix_sort_implIS3_Lb1EPKsPsPKlPlN2at6native12_GLOBAL__N_18offset_tEEE10hipError_tPvRmT1_PNSt15iterator_traitsISK_E10value_typeET2_T3_PNSL_ISQ_E10value_typeET4_jRbjT5_SW_jjP12ihipStream_tbEUlT_E1_NS1_11comp_targetILNS1_3genE5ELNS1_11target_archE942ELNS1_3gpuE9ELNS1_3repE0EEENS1_59segmented_radix_sort_warp_sort_small_config_static_selectorELNS0_4arch9wavefront6targetE0EEEvSK_.uses_flat_scratch, 0
	.set _ZN7rocprim17ROCPRIM_400000_NS6detail17trampoline_kernelINS0_14default_configENS1_36segmented_radix_sort_config_selectorIslEEZNS1_25segmented_radix_sort_implIS3_Lb1EPKsPsPKlPlN2at6native12_GLOBAL__N_18offset_tEEE10hipError_tPvRmT1_PNSt15iterator_traitsISK_E10value_typeET2_T3_PNSL_ISQ_E10value_typeET4_jRbjT5_SW_jjP12ihipStream_tbEUlT_E1_NS1_11comp_targetILNS1_3genE5ELNS1_11target_archE942ELNS1_3gpuE9ELNS1_3repE0EEENS1_59segmented_radix_sort_warp_sort_small_config_static_selectorELNS0_4arch9wavefront6targetE0EEEvSK_.has_dyn_sized_stack, 0
	.set _ZN7rocprim17ROCPRIM_400000_NS6detail17trampoline_kernelINS0_14default_configENS1_36segmented_radix_sort_config_selectorIslEEZNS1_25segmented_radix_sort_implIS3_Lb1EPKsPsPKlPlN2at6native12_GLOBAL__N_18offset_tEEE10hipError_tPvRmT1_PNSt15iterator_traitsISK_E10value_typeET2_T3_PNSL_ISQ_E10value_typeET4_jRbjT5_SW_jjP12ihipStream_tbEUlT_E1_NS1_11comp_targetILNS1_3genE5ELNS1_11target_archE942ELNS1_3gpuE9ELNS1_3repE0EEENS1_59segmented_radix_sort_warp_sort_small_config_static_selectorELNS0_4arch9wavefront6targetE0EEEvSK_.has_recursion, 0
	.set _ZN7rocprim17ROCPRIM_400000_NS6detail17trampoline_kernelINS0_14default_configENS1_36segmented_radix_sort_config_selectorIslEEZNS1_25segmented_radix_sort_implIS3_Lb1EPKsPsPKlPlN2at6native12_GLOBAL__N_18offset_tEEE10hipError_tPvRmT1_PNSt15iterator_traitsISK_E10value_typeET2_T3_PNSL_ISQ_E10value_typeET4_jRbjT5_SW_jjP12ihipStream_tbEUlT_E1_NS1_11comp_targetILNS1_3genE5ELNS1_11target_archE942ELNS1_3gpuE9ELNS1_3repE0EEENS1_59segmented_radix_sort_warp_sort_small_config_static_selectorELNS0_4arch9wavefront6targetE0EEEvSK_.has_indirect_call, 0
	.section	.AMDGPU.csdata,"",@progbits
; Kernel info:
; codeLenInByte = 0
; TotalNumSgprs: 0
; NumVgprs: 0
; ScratchSize: 0
; MemoryBound: 0
; FloatMode: 240
; IeeeMode: 1
; LDSByteSize: 0 bytes/workgroup (compile time only)
; SGPRBlocks: 0
; VGPRBlocks: 0
; NumSGPRsForWavesPerEU: 1
; NumVGPRsForWavesPerEU: 1
; Occupancy: 16
; WaveLimiterHint : 0
; COMPUTE_PGM_RSRC2:SCRATCH_EN: 0
; COMPUTE_PGM_RSRC2:USER_SGPR: 2
; COMPUTE_PGM_RSRC2:TRAP_HANDLER: 0
; COMPUTE_PGM_RSRC2:TGID_X_EN: 1
; COMPUTE_PGM_RSRC2:TGID_Y_EN: 0
; COMPUTE_PGM_RSRC2:TGID_Z_EN: 0
; COMPUTE_PGM_RSRC2:TIDIG_COMP_CNT: 0
	.section	.text._ZN7rocprim17ROCPRIM_400000_NS6detail17trampoline_kernelINS0_14default_configENS1_36segmented_radix_sort_config_selectorIslEEZNS1_25segmented_radix_sort_implIS3_Lb1EPKsPsPKlPlN2at6native12_GLOBAL__N_18offset_tEEE10hipError_tPvRmT1_PNSt15iterator_traitsISK_E10value_typeET2_T3_PNSL_ISQ_E10value_typeET4_jRbjT5_SW_jjP12ihipStream_tbEUlT_E1_NS1_11comp_targetILNS1_3genE4ELNS1_11target_archE910ELNS1_3gpuE8ELNS1_3repE0EEENS1_59segmented_radix_sort_warp_sort_small_config_static_selectorELNS0_4arch9wavefront6targetE0EEEvSK_,"axG",@progbits,_ZN7rocprim17ROCPRIM_400000_NS6detail17trampoline_kernelINS0_14default_configENS1_36segmented_radix_sort_config_selectorIslEEZNS1_25segmented_radix_sort_implIS3_Lb1EPKsPsPKlPlN2at6native12_GLOBAL__N_18offset_tEEE10hipError_tPvRmT1_PNSt15iterator_traitsISK_E10value_typeET2_T3_PNSL_ISQ_E10value_typeET4_jRbjT5_SW_jjP12ihipStream_tbEUlT_E1_NS1_11comp_targetILNS1_3genE4ELNS1_11target_archE910ELNS1_3gpuE8ELNS1_3repE0EEENS1_59segmented_radix_sort_warp_sort_small_config_static_selectorELNS0_4arch9wavefront6targetE0EEEvSK_,comdat
	.globl	_ZN7rocprim17ROCPRIM_400000_NS6detail17trampoline_kernelINS0_14default_configENS1_36segmented_radix_sort_config_selectorIslEEZNS1_25segmented_radix_sort_implIS3_Lb1EPKsPsPKlPlN2at6native12_GLOBAL__N_18offset_tEEE10hipError_tPvRmT1_PNSt15iterator_traitsISK_E10value_typeET2_T3_PNSL_ISQ_E10value_typeET4_jRbjT5_SW_jjP12ihipStream_tbEUlT_E1_NS1_11comp_targetILNS1_3genE4ELNS1_11target_archE910ELNS1_3gpuE8ELNS1_3repE0EEENS1_59segmented_radix_sort_warp_sort_small_config_static_selectorELNS0_4arch9wavefront6targetE0EEEvSK_ ; -- Begin function _ZN7rocprim17ROCPRIM_400000_NS6detail17trampoline_kernelINS0_14default_configENS1_36segmented_radix_sort_config_selectorIslEEZNS1_25segmented_radix_sort_implIS3_Lb1EPKsPsPKlPlN2at6native12_GLOBAL__N_18offset_tEEE10hipError_tPvRmT1_PNSt15iterator_traitsISK_E10value_typeET2_T3_PNSL_ISQ_E10value_typeET4_jRbjT5_SW_jjP12ihipStream_tbEUlT_E1_NS1_11comp_targetILNS1_3genE4ELNS1_11target_archE910ELNS1_3gpuE8ELNS1_3repE0EEENS1_59segmented_radix_sort_warp_sort_small_config_static_selectorELNS0_4arch9wavefront6targetE0EEEvSK_
	.p2align	8
	.type	_ZN7rocprim17ROCPRIM_400000_NS6detail17trampoline_kernelINS0_14default_configENS1_36segmented_radix_sort_config_selectorIslEEZNS1_25segmented_radix_sort_implIS3_Lb1EPKsPsPKlPlN2at6native12_GLOBAL__N_18offset_tEEE10hipError_tPvRmT1_PNSt15iterator_traitsISK_E10value_typeET2_T3_PNSL_ISQ_E10value_typeET4_jRbjT5_SW_jjP12ihipStream_tbEUlT_E1_NS1_11comp_targetILNS1_3genE4ELNS1_11target_archE910ELNS1_3gpuE8ELNS1_3repE0EEENS1_59segmented_radix_sort_warp_sort_small_config_static_selectorELNS0_4arch9wavefront6targetE0EEEvSK_,@function
_ZN7rocprim17ROCPRIM_400000_NS6detail17trampoline_kernelINS0_14default_configENS1_36segmented_radix_sort_config_selectorIslEEZNS1_25segmented_radix_sort_implIS3_Lb1EPKsPsPKlPlN2at6native12_GLOBAL__N_18offset_tEEE10hipError_tPvRmT1_PNSt15iterator_traitsISK_E10value_typeET2_T3_PNSL_ISQ_E10value_typeET4_jRbjT5_SW_jjP12ihipStream_tbEUlT_E1_NS1_11comp_targetILNS1_3genE4ELNS1_11target_archE910ELNS1_3gpuE8ELNS1_3repE0EEENS1_59segmented_radix_sort_warp_sort_small_config_static_selectorELNS0_4arch9wavefront6targetE0EEEvSK_: ; @_ZN7rocprim17ROCPRIM_400000_NS6detail17trampoline_kernelINS0_14default_configENS1_36segmented_radix_sort_config_selectorIslEEZNS1_25segmented_radix_sort_implIS3_Lb1EPKsPsPKlPlN2at6native12_GLOBAL__N_18offset_tEEE10hipError_tPvRmT1_PNSt15iterator_traitsISK_E10value_typeET2_T3_PNSL_ISQ_E10value_typeET4_jRbjT5_SW_jjP12ihipStream_tbEUlT_E1_NS1_11comp_targetILNS1_3genE4ELNS1_11target_archE910ELNS1_3gpuE8ELNS1_3repE0EEENS1_59segmented_radix_sort_warp_sort_small_config_static_selectorELNS0_4arch9wavefront6targetE0EEEvSK_
; %bb.0:
	.section	.rodata,"a",@progbits
	.p2align	6, 0x0
	.amdhsa_kernel _ZN7rocprim17ROCPRIM_400000_NS6detail17trampoline_kernelINS0_14default_configENS1_36segmented_radix_sort_config_selectorIslEEZNS1_25segmented_radix_sort_implIS3_Lb1EPKsPsPKlPlN2at6native12_GLOBAL__N_18offset_tEEE10hipError_tPvRmT1_PNSt15iterator_traitsISK_E10value_typeET2_T3_PNSL_ISQ_E10value_typeET4_jRbjT5_SW_jjP12ihipStream_tbEUlT_E1_NS1_11comp_targetILNS1_3genE4ELNS1_11target_archE910ELNS1_3gpuE8ELNS1_3repE0EEENS1_59segmented_radix_sort_warp_sort_small_config_static_selectorELNS0_4arch9wavefront6targetE0EEEvSK_
		.amdhsa_group_segment_fixed_size 0
		.amdhsa_private_segment_fixed_size 0
		.amdhsa_kernarg_size 88
		.amdhsa_user_sgpr_count 2
		.amdhsa_user_sgpr_dispatch_ptr 0
		.amdhsa_user_sgpr_queue_ptr 0
		.amdhsa_user_sgpr_kernarg_segment_ptr 1
		.amdhsa_user_sgpr_dispatch_id 0
		.amdhsa_user_sgpr_private_segment_size 0
		.amdhsa_wavefront_size32 1
		.amdhsa_uses_dynamic_stack 0
		.amdhsa_enable_private_segment 0
		.amdhsa_system_sgpr_workgroup_id_x 1
		.amdhsa_system_sgpr_workgroup_id_y 0
		.amdhsa_system_sgpr_workgroup_id_z 0
		.amdhsa_system_sgpr_workgroup_info 0
		.amdhsa_system_vgpr_workitem_id 0
		.amdhsa_next_free_vgpr 1
		.amdhsa_next_free_sgpr 1
		.amdhsa_reserve_vcc 0
		.amdhsa_float_round_mode_32 0
		.amdhsa_float_round_mode_16_64 0
		.amdhsa_float_denorm_mode_32 3
		.amdhsa_float_denorm_mode_16_64 3
		.amdhsa_fp16_overflow 0
		.amdhsa_workgroup_processor_mode 1
		.amdhsa_memory_ordered 1
		.amdhsa_forward_progress 1
		.amdhsa_inst_pref_size 0
		.amdhsa_round_robin_scheduling 0
		.amdhsa_exception_fp_ieee_invalid_op 0
		.amdhsa_exception_fp_denorm_src 0
		.amdhsa_exception_fp_ieee_div_zero 0
		.amdhsa_exception_fp_ieee_overflow 0
		.amdhsa_exception_fp_ieee_underflow 0
		.amdhsa_exception_fp_ieee_inexact 0
		.amdhsa_exception_int_div_zero 0
	.end_amdhsa_kernel
	.section	.text._ZN7rocprim17ROCPRIM_400000_NS6detail17trampoline_kernelINS0_14default_configENS1_36segmented_radix_sort_config_selectorIslEEZNS1_25segmented_radix_sort_implIS3_Lb1EPKsPsPKlPlN2at6native12_GLOBAL__N_18offset_tEEE10hipError_tPvRmT1_PNSt15iterator_traitsISK_E10value_typeET2_T3_PNSL_ISQ_E10value_typeET4_jRbjT5_SW_jjP12ihipStream_tbEUlT_E1_NS1_11comp_targetILNS1_3genE4ELNS1_11target_archE910ELNS1_3gpuE8ELNS1_3repE0EEENS1_59segmented_radix_sort_warp_sort_small_config_static_selectorELNS0_4arch9wavefront6targetE0EEEvSK_,"axG",@progbits,_ZN7rocprim17ROCPRIM_400000_NS6detail17trampoline_kernelINS0_14default_configENS1_36segmented_radix_sort_config_selectorIslEEZNS1_25segmented_radix_sort_implIS3_Lb1EPKsPsPKlPlN2at6native12_GLOBAL__N_18offset_tEEE10hipError_tPvRmT1_PNSt15iterator_traitsISK_E10value_typeET2_T3_PNSL_ISQ_E10value_typeET4_jRbjT5_SW_jjP12ihipStream_tbEUlT_E1_NS1_11comp_targetILNS1_3genE4ELNS1_11target_archE910ELNS1_3gpuE8ELNS1_3repE0EEENS1_59segmented_radix_sort_warp_sort_small_config_static_selectorELNS0_4arch9wavefront6targetE0EEEvSK_,comdat
.Lfunc_end933:
	.size	_ZN7rocprim17ROCPRIM_400000_NS6detail17trampoline_kernelINS0_14default_configENS1_36segmented_radix_sort_config_selectorIslEEZNS1_25segmented_radix_sort_implIS3_Lb1EPKsPsPKlPlN2at6native12_GLOBAL__N_18offset_tEEE10hipError_tPvRmT1_PNSt15iterator_traitsISK_E10value_typeET2_T3_PNSL_ISQ_E10value_typeET4_jRbjT5_SW_jjP12ihipStream_tbEUlT_E1_NS1_11comp_targetILNS1_3genE4ELNS1_11target_archE910ELNS1_3gpuE8ELNS1_3repE0EEENS1_59segmented_radix_sort_warp_sort_small_config_static_selectorELNS0_4arch9wavefront6targetE0EEEvSK_, .Lfunc_end933-_ZN7rocprim17ROCPRIM_400000_NS6detail17trampoline_kernelINS0_14default_configENS1_36segmented_radix_sort_config_selectorIslEEZNS1_25segmented_radix_sort_implIS3_Lb1EPKsPsPKlPlN2at6native12_GLOBAL__N_18offset_tEEE10hipError_tPvRmT1_PNSt15iterator_traitsISK_E10value_typeET2_T3_PNSL_ISQ_E10value_typeET4_jRbjT5_SW_jjP12ihipStream_tbEUlT_E1_NS1_11comp_targetILNS1_3genE4ELNS1_11target_archE910ELNS1_3gpuE8ELNS1_3repE0EEENS1_59segmented_radix_sort_warp_sort_small_config_static_selectorELNS0_4arch9wavefront6targetE0EEEvSK_
                                        ; -- End function
	.set _ZN7rocprim17ROCPRIM_400000_NS6detail17trampoline_kernelINS0_14default_configENS1_36segmented_radix_sort_config_selectorIslEEZNS1_25segmented_radix_sort_implIS3_Lb1EPKsPsPKlPlN2at6native12_GLOBAL__N_18offset_tEEE10hipError_tPvRmT1_PNSt15iterator_traitsISK_E10value_typeET2_T3_PNSL_ISQ_E10value_typeET4_jRbjT5_SW_jjP12ihipStream_tbEUlT_E1_NS1_11comp_targetILNS1_3genE4ELNS1_11target_archE910ELNS1_3gpuE8ELNS1_3repE0EEENS1_59segmented_radix_sort_warp_sort_small_config_static_selectorELNS0_4arch9wavefront6targetE0EEEvSK_.num_vgpr, 0
	.set _ZN7rocprim17ROCPRIM_400000_NS6detail17trampoline_kernelINS0_14default_configENS1_36segmented_radix_sort_config_selectorIslEEZNS1_25segmented_radix_sort_implIS3_Lb1EPKsPsPKlPlN2at6native12_GLOBAL__N_18offset_tEEE10hipError_tPvRmT1_PNSt15iterator_traitsISK_E10value_typeET2_T3_PNSL_ISQ_E10value_typeET4_jRbjT5_SW_jjP12ihipStream_tbEUlT_E1_NS1_11comp_targetILNS1_3genE4ELNS1_11target_archE910ELNS1_3gpuE8ELNS1_3repE0EEENS1_59segmented_radix_sort_warp_sort_small_config_static_selectorELNS0_4arch9wavefront6targetE0EEEvSK_.num_agpr, 0
	.set _ZN7rocprim17ROCPRIM_400000_NS6detail17trampoline_kernelINS0_14default_configENS1_36segmented_radix_sort_config_selectorIslEEZNS1_25segmented_radix_sort_implIS3_Lb1EPKsPsPKlPlN2at6native12_GLOBAL__N_18offset_tEEE10hipError_tPvRmT1_PNSt15iterator_traitsISK_E10value_typeET2_T3_PNSL_ISQ_E10value_typeET4_jRbjT5_SW_jjP12ihipStream_tbEUlT_E1_NS1_11comp_targetILNS1_3genE4ELNS1_11target_archE910ELNS1_3gpuE8ELNS1_3repE0EEENS1_59segmented_radix_sort_warp_sort_small_config_static_selectorELNS0_4arch9wavefront6targetE0EEEvSK_.numbered_sgpr, 0
	.set _ZN7rocprim17ROCPRIM_400000_NS6detail17trampoline_kernelINS0_14default_configENS1_36segmented_radix_sort_config_selectorIslEEZNS1_25segmented_radix_sort_implIS3_Lb1EPKsPsPKlPlN2at6native12_GLOBAL__N_18offset_tEEE10hipError_tPvRmT1_PNSt15iterator_traitsISK_E10value_typeET2_T3_PNSL_ISQ_E10value_typeET4_jRbjT5_SW_jjP12ihipStream_tbEUlT_E1_NS1_11comp_targetILNS1_3genE4ELNS1_11target_archE910ELNS1_3gpuE8ELNS1_3repE0EEENS1_59segmented_radix_sort_warp_sort_small_config_static_selectorELNS0_4arch9wavefront6targetE0EEEvSK_.num_named_barrier, 0
	.set _ZN7rocprim17ROCPRIM_400000_NS6detail17trampoline_kernelINS0_14default_configENS1_36segmented_radix_sort_config_selectorIslEEZNS1_25segmented_radix_sort_implIS3_Lb1EPKsPsPKlPlN2at6native12_GLOBAL__N_18offset_tEEE10hipError_tPvRmT1_PNSt15iterator_traitsISK_E10value_typeET2_T3_PNSL_ISQ_E10value_typeET4_jRbjT5_SW_jjP12ihipStream_tbEUlT_E1_NS1_11comp_targetILNS1_3genE4ELNS1_11target_archE910ELNS1_3gpuE8ELNS1_3repE0EEENS1_59segmented_radix_sort_warp_sort_small_config_static_selectorELNS0_4arch9wavefront6targetE0EEEvSK_.private_seg_size, 0
	.set _ZN7rocprim17ROCPRIM_400000_NS6detail17trampoline_kernelINS0_14default_configENS1_36segmented_radix_sort_config_selectorIslEEZNS1_25segmented_radix_sort_implIS3_Lb1EPKsPsPKlPlN2at6native12_GLOBAL__N_18offset_tEEE10hipError_tPvRmT1_PNSt15iterator_traitsISK_E10value_typeET2_T3_PNSL_ISQ_E10value_typeET4_jRbjT5_SW_jjP12ihipStream_tbEUlT_E1_NS1_11comp_targetILNS1_3genE4ELNS1_11target_archE910ELNS1_3gpuE8ELNS1_3repE0EEENS1_59segmented_radix_sort_warp_sort_small_config_static_selectorELNS0_4arch9wavefront6targetE0EEEvSK_.uses_vcc, 0
	.set _ZN7rocprim17ROCPRIM_400000_NS6detail17trampoline_kernelINS0_14default_configENS1_36segmented_radix_sort_config_selectorIslEEZNS1_25segmented_radix_sort_implIS3_Lb1EPKsPsPKlPlN2at6native12_GLOBAL__N_18offset_tEEE10hipError_tPvRmT1_PNSt15iterator_traitsISK_E10value_typeET2_T3_PNSL_ISQ_E10value_typeET4_jRbjT5_SW_jjP12ihipStream_tbEUlT_E1_NS1_11comp_targetILNS1_3genE4ELNS1_11target_archE910ELNS1_3gpuE8ELNS1_3repE0EEENS1_59segmented_radix_sort_warp_sort_small_config_static_selectorELNS0_4arch9wavefront6targetE0EEEvSK_.uses_flat_scratch, 0
	.set _ZN7rocprim17ROCPRIM_400000_NS6detail17trampoline_kernelINS0_14default_configENS1_36segmented_radix_sort_config_selectorIslEEZNS1_25segmented_radix_sort_implIS3_Lb1EPKsPsPKlPlN2at6native12_GLOBAL__N_18offset_tEEE10hipError_tPvRmT1_PNSt15iterator_traitsISK_E10value_typeET2_T3_PNSL_ISQ_E10value_typeET4_jRbjT5_SW_jjP12ihipStream_tbEUlT_E1_NS1_11comp_targetILNS1_3genE4ELNS1_11target_archE910ELNS1_3gpuE8ELNS1_3repE0EEENS1_59segmented_radix_sort_warp_sort_small_config_static_selectorELNS0_4arch9wavefront6targetE0EEEvSK_.has_dyn_sized_stack, 0
	.set _ZN7rocprim17ROCPRIM_400000_NS6detail17trampoline_kernelINS0_14default_configENS1_36segmented_radix_sort_config_selectorIslEEZNS1_25segmented_radix_sort_implIS3_Lb1EPKsPsPKlPlN2at6native12_GLOBAL__N_18offset_tEEE10hipError_tPvRmT1_PNSt15iterator_traitsISK_E10value_typeET2_T3_PNSL_ISQ_E10value_typeET4_jRbjT5_SW_jjP12ihipStream_tbEUlT_E1_NS1_11comp_targetILNS1_3genE4ELNS1_11target_archE910ELNS1_3gpuE8ELNS1_3repE0EEENS1_59segmented_radix_sort_warp_sort_small_config_static_selectorELNS0_4arch9wavefront6targetE0EEEvSK_.has_recursion, 0
	.set _ZN7rocprim17ROCPRIM_400000_NS6detail17trampoline_kernelINS0_14default_configENS1_36segmented_radix_sort_config_selectorIslEEZNS1_25segmented_radix_sort_implIS3_Lb1EPKsPsPKlPlN2at6native12_GLOBAL__N_18offset_tEEE10hipError_tPvRmT1_PNSt15iterator_traitsISK_E10value_typeET2_T3_PNSL_ISQ_E10value_typeET4_jRbjT5_SW_jjP12ihipStream_tbEUlT_E1_NS1_11comp_targetILNS1_3genE4ELNS1_11target_archE910ELNS1_3gpuE8ELNS1_3repE0EEENS1_59segmented_radix_sort_warp_sort_small_config_static_selectorELNS0_4arch9wavefront6targetE0EEEvSK_.has_indirect_call, 0
	.section	.AMDGPU.csdata,"",@progbits
; Kernel info:
; codeLenInByte = 0
; TotalNumSgprs: 0
; NumVgprs: 0
; ScratchSize: 0
; MemoryBound: 0
; FloatMode: 240
; IeeeMode: 1
; LDSByteSize: 0 bytes/workgroup (compile time only)
; SGPRBlocks: 0
; VGPRBlocks: 0
; NumSGPRsForWavesPerEU: 1
; NumVGPRsForWavesPerEU: 1
; Occupancy: 16
; WaveLimiterHint : 0
; COMPUTE_PGM_RSRC2:SCRATCH_EN: 0
; COMPUTE_PGM_RSRC2:USER_SGPR: 2
; COMPUTE_PGM_RSRC2:TRAP_HANDLER: 0
; COMPUTE_PGM_RSRC2:TGID_X_EN: 1
; COMPUTE_PGM_RSRC2:TGID_Y_EN: 0
; COMPUTE_PGM_RSRC2:TGID_Z_EN: 0
; COMPUTE_PGM_RSRC2:TIDIG_COMP_CNT: 0
	.section	.text._ZN7rocprim17ROCPRIM_400000_NS6detail17trampoline_kernelINS0_14default_configENS1_36segmented_radix_sort_config_selectorIslEEZNS1_25segmented_radix_sort_implIS3_Lb1EPKsPsPKlPlN2at6native12_GLOBAL__N_18offset_tEEE10hipError_tPvRmT1_PNSt15iterator_traitsISK_E10value_typeET2_T3_PNSL_ISQ_E10value_typeET4_jRbjT5_SW_jjP12ihipStream_tbEUlT_E1_NS1_11comp_targetILNS1_3genE3ELNS1_11target_archE908ELNS1_3gpuE7ELNS1_3repE0EEENS1_59segmented_radix_sort_warp_sort_small_config_static_selectorELNS0_4arch9wavefront6targetE0EEEvSK_,"axG",@progbits,_ZN7rocprim17ROCPRIM_400000_NS6detail17trampoline_kernelINS0_14default_configENS1_36segmented_radix_sort_config_selectorIslEEZNS1_25segmented_radix_sort_implIS3_Lb1EPKsPsPKlPlN2at6native12_GLOBAL__N_18offset_tEEE10hipError_tPvRmT1_PNSt15iterator_traitsISK_E10value_typeET2_T3_PNSL_ISQ_E10value_typeET4_jRbjT5_SW_jjP12ihipStream_tbEUlT_E1_NS1_11comp_targetILNS1_3genE3ELNS1_11target_archE908ELNS1_3gpuE7ELNS1_3repE0EEENS1_59segmented_radix_sort_warp_sort_small_config_static_selectorELNS0_4arch9wavefront6targetE0EEEvSK_,comdat
	.globl	_ZN7rocprim17ROCPRIM_400000_NS6detail17trampoline_kernelINS0_14default_configENS1_36segmented_radix_sort_config_selectorIslEEZNS1_25segmented_radix_sort_implIS3_Lb1EPKsPsPKlPlN2at6native12_GLOBAL__N_18offset_tEEE10hipError_tPvRmT1_PNSt15iterator_traitsISK_E10value_typeET2_T3_PNSL_ISQ_E10value_typeET4_jRbjT5_SW_jjP12ihipStream_tbEUlT_E1_NS1_11comp_targetILNS1_3genE3ELNS1_11target_archE908ELNS1_3gpuE7ELNS1_3repE0EEENS1_59segmented_radix_sort_warp_sort_small_config_static_selectorELNS0_4arch9wavefront6targetE0EEEvSK_ ; -- Begin function _ZN7rocprim17ROCPRIM_400000_NS6detail17trampoline_kernelINS0_14default_configENS1_36segmented_radix_sort_config_selectorIslEEZNS1_25segmented_radix_sort_implIS3_Lb1EPKsPsPKlPlN2at6native12_GLOBAL__N_18offset_tEEE10hipError_tPvRmT1_PNSt15iterator_traitsISK_E10value_typeET2_T3_PNSL_ISQ_E10value_typeET4_jRbjT5_SW_jjP12ihipStream_tbEUlT_E1_NS1_11comp_targetILNS1_3genE3ELNS1_11target_archE908ELNS1_3gpuE7ELNS1_3repE0EEENS1_59segmented_radix_sort_warp_sort_small_config_static_selectorELNS0_4arch9wavefront6targetE0EEEvSK_
	.p2align	8
	.type	_ZN7rocprim17ROCPRIM_400000_NS6detail17trampoline_kernelINS0_14default_configENS1_36segmented_radix_sort_config_selectorIslEEZNS1_25segmented_radix_sort_implIS3_Lb1EPKsPsPKlPlN2at6native12_GLOBAL__N_18offset_tEEE10hipError_tPvRmT1_PNSt15iterator_traitsISK_E10value_typeET2_T3_PNSL_ISQ_E10value_typeET4_jRbjT5_SW_jjP12ihipStream_tbEUlT_E1_NS1_11comp_targetILNS1_3genE3ELNS1_11target_archE908ELNS1_3gpuE7ELNS1_3repE0EEENS1_59segmented_radix_sort_warp_sort_small_config_static_selectorELNS0_4arch9wavefront6targetE0EEEvSK_,@function
_ZN7rocprim17ROCPRIM_400000_NS6detail17trampoline_kernelINS0_14default_configENS1_36segmented_radix_sort_config_selectorIslEEZNS1_25segmented_radix_sort_implIS3_Lb1EPKsPsPKlPlN2at6native12_GLOBAL__N_18offset_tEEE10hipError_tPvRmT1_PNSt15iterator_traitsISK_E10value_typeET2_T3_PNSL_ISQ_E10value_typeET4_jRbjT5_SW_jjP12ihipStream_tbEUlT_E1_NS1_11comp_targetILNS1_3genE3ELNS1_11target_archE908ELNS1_3gpuE7ELNS1_3repE0EEENS1_59segmented_radix_sort_warp_sort_small_config_static_selectorELNS0_4arch9wavefront6targetE0EEEvSK_: ; @_ZN7rocprim17ROCPRIM_400000_NS6detail17trampoline_kernelINS0_14default_configENS1_36segmented_radix_sort_config_selectorIslEEZNS1_25segmented_radix_sort_implIS3_Lb1EPKsPsPKlPlN2at6native12_GLOBAL__N_18offset_tEEE10hipError_tPvRmT1_PNSt15iterator_traitsISK_E10value_typeET2_T3_PNSL_ISQ_E10value_typeET4_jRbjT5_SW_jjP12ihipStream_tbEUlT_E1_NS1_11comp_targetILNS1_3genE3ELNS1_11target_archE908ELNS1_3gpuE7ELNS1_3repE0EEENS1_59segmented_radix_sort_warp_sort_small_config_static_selectorELNS0_4arch9wavefront6targetE0EEEvSK_
; %bb.0:
	.section	.rodata,"a",@progbits
	.p2align	6, 0x0
	.amdhsa_kernel _ZN7rocprim17ROCPRIM_400000_NS6detail17trampoline_kernelINS0_14default_configENS1_36segmented_radix_sort_config_selectorIslEEZNS1_25segmented_radix_sort_implIS3_Lb1EPKsPsPKlPlN2at6native12_GLOBAL__N_18offset_tEEE10hipError_tPvRmT1_PNSt15iterator_traitsISK_E10value_typeET2_T3_PNSL_ISQ_E10value_typeET4_jRbjT5_SW_jjP12ihipStream_tbEUlT_E1_NS1_11comp_targetILNS1_3genE3ELNS1_11target_archE908ELNS1_3gpuE7ELNS1_3repE0EEENS1_59segmented_radix_sort_warp_sort_small_config_static_selectorELNS0_4arch9wavefront6targetE0EEEvSK_
		.amdhsa_group_segment_fixed_size 0
		.amdhsa_private_segment_fixed_size 0
		.amdhsa_kernarg_size 88
		.amdhsa_user_sgpr_count 2
		.amdhsa_user_sgpr_dispatch_ptr 0
		.amdhsa_user_sgpr_queue_ptr 0
		.amdhsa_user_sgpr_kernarg_segment_ptr 1
		.amdhsa_user_sgpr_dispatch_id 0
		.amdhsa_user_sgpr_private_segment_size 0
		.amdhsa_wavefront_size32 1
		.amdhsa_uses_dynamic_stack 0
		.amdhsa_enable_private_segment 0
		.amdhsa_system_sgpr_workgroup_id_x 1
		.amdhsa_system_sgpr_workgroup_id_y 0
		.amdhsa_system_sgpr_workgroup_id_z 0
		.amdhsa_system_sgpr_workgroup_info 0
		.amdhsa_system_vgpr_workitem_id 0
		.amdhsa_next_free_vgpr 1
		.amdhsa_next_free_sgpr 1
		.amdhsa_reserve_vcc 0
		.amdhsa_float_round_mode_32 0
		.amdhsa_float_round_mode_16_64 0
		.amdhsa_float_denorm_mode_32 3
		.amdhsa_float_denorm_mode_16_64 3
		.amdhsa_fp16_overflow 0
		.amdhsa_workgroup_processor_mode 1
		.amdhsa_memory_ordered 1
		.amdhsa_forward_progress 1
		.amdhsa_inst_pref_size 0
		.amdhsa_round_robin_scheduling 0
		.amdhsa_exception_fp_ieee_invalid_op 0
		.amdhsa_exception_fp_denorm_src 0
		.amdhsa_exception_fp_ieee_div_zero 0
		.amdhsa_exception_fp_ieee_overflow 0
		.amdhsa_exception_fp_ieee_underflow 0
		.amdhsa_exception_fp_ieee_inexact 0
		.amdhsa_exception_int_div_zero 0
	.end_amdhsa_kernel
	.section	.text._ZN7rocprim17ROCPRIM_400000_NS6detail17trampoline_kernelINS0_14default_configENS1_36segmented_radix_sort_config_selectorIslEEZNS1_25segmented_radix_sort_implIS3_Lb1EPKsPsPKlPlN2at6native12_GLOBAL__N_18offset_tEEE10hipError_tPvRmT1_PNSt15iterator_traitsISK_E10value_typeET2_T3_PNSL_ISQ_E10value_typeET4_jRbjT5_SW_jjP12ihipStream_tbEUlT_E1_NS1_11comp_targetILNS1_3genE3ELNS1_11target_archE908ELNS1_3gpuE7ELNS1_3repE0EEENS1_59segmented_radix_sort_warp_sort_small_config_static_selectorELNS0_4arch9wavefront6targetE0EEEvSK_,"axG",@progbits,_ZN7rocprim17ROCPRIM_400000_NS6detail17trampoline_kernelINS0_14default_configENS1_36segmented_radix_sort_config_selectorIslEEZNS1_25segmented_radix_sort_implIS3_Lb1EPKsPsPKlPlN2at6native12_GLOBAL__N_18offset_tEEE10hipError_tPvRmT1_PNSt15iterator_traitsISK_E10value_typeET2_T3_PNSL_ISQ_E10value_typeET4_jRbjT5_SW_jjP12ihipStream_tbEUlT_E1_NS1_11comp_targetILNS1_3genE3ELNS1_11target_archE908ELNS1_3gpuE7ELNS1_3repE0EEENS1_59segmented_radix_sort_warp_sort_small_config_static_selectorELNS0_4arch9wavefront6targetE0EEEvSK_,comdat
.Lfunc_end934:
	.size	_ZN7rocprim17ROCPRIM_400000_NS6detail17trampoline_kernelINS0_14default_configENS1_36segmented_radix_sort_config_selectorIslEEZNS1_25segmented_radix_sort_implIS3_Lb1EPKsPsPKlPlN2at6native12_GLOBAL__N_18offset_tEEE10hipError_tPvRmT1_PNSt15iterator_traitsISK_E10value_typeET2_T3_PNSL_ISQ_E10value_typeET4_jRbjT5_SW_jjP12ihipStream_tbEUlT_E1_NS1_11comp_targetILNS1_3genE3ELNS1_11target_archE908ELNS1_3gpuE7ELNS1_3repE0EEENS1_59segmented_radix_sort_warp_sort_small_config_static_selectorELNS0_4arch9wavefront6targetE0EEEvSK_, .Lfunc_end934-_ZN7rocprim17ROCPRIM_400000_NS6detail17trampoline_kernelINS0_14default_configENS1_36segmented_radix_sort_config_selectorIslEEZNS1_25segmented_radix_sort_implIS3_Lb1EPKsPsPKlPlN2at6native12_GLOBAL__N_18offset_tEEE10hipError_tPvRmT1_PNSt15iterator_traitsISK_E10value_typeET2_T3_PNSL_ISQ_E10value_typeET4_jRbjT5_SW_jjP12ihipStream_tbEUlT_E1_NS1_11comp_targetILNS1_3genE3ELNS1_11target_archE908ELNS1_3gpuE7ELNS1_3repE0EEENS1_59segmented_radix_sort_warp_sort_small_config_static_selectorELNS0_4arch9wavefront6targetE0EEEvSK_
                                        ; -- End function
	.set _ZN7rocprim17ROCPRIM_400000_NS6detail17trampoline_kernelINS0_14default_configENS1_36segmented_radix_sort_config_selectorIslEEZNS1_25segmented_radix_sort_implIS3_Lb1EPKsPsPKlPlN2at6native12_GLOBAL__N_18offset_tEEE10hipError_tPvRmT1_PNSt15iterator_traitsISK_E10value_typeET2_T3_PNSL_ISQ_E10value_typeET4_jRbjT5_SW_jjP12ihipStream_tbEUlT_E1_NS1_11comp_targetILNS1_3genE3ELNS1_11target_archE908ELNS1_3gpuE7ELNS1_3repE0EEENS1_59segmented_radix_sort_warp_sort_small_config_static_selectorELNS0_4arch9wavefront6targetE0EEEvSK_.num_vgpr, 0
	.set _ZN7rocprim17ROCPRIM_400000_NS6detail17trampoline_kernelINS0_14default_configENS1_36segmented_radix_sort_config_selectorIslEEZNS1_25segmented_radix_sort_implIS3_Lb1EPKsPsPKlPlN2at6native12_GLOBAL__N_18offset_tEEE10hipError_tPvRmT1_PNSt15iterator_traitsISK_E10value_typeET2_T3_PNSL_ISQ_E10value_typeET4_jRbjT5_SW_jjP12ihipStream_tbEUlT_E1_NS1_11comp_targetILNS1_3genE3ELNS1_11target_archE908ELNS1_3gpuE7ELNS1_3repE0EEENS1_59segmented_radix_sort_warp_sort_small_config_static_selectorELNS0_4arch9wavefront6targetE0EEEvSK_.num_agpr, 0
	.set _ZN7rocprim17ROCPRIM_400000_NS6detail17trampoline_kernelINS0_14default_configENS1_36segmented_radix_sort_config_selectorIslEEZNS1_25segmented_radix_sort_implIS3_Lb1EPKsPsPKlPlN2at6native12_GLOBAL__N_18offset_tEEE10hipError_tPvRmT1_PNSt15iterator_traitsISK_E10value_typeET2_T3_PNSL_ISQ_E10value_typeET4_jRbjT5_SW_jjP12ihipStream_tbEUlT_E1_NS1_11comp_targetILNS1_3genE3ELNS1_11target_archE908ELNS1_3gpuE7ELNS1_3repE0EEENS1_59segmented_radix_sort_warp_sort_small_config_static_selectorELNS0_4arch9wavefront6targetE0EEEvSK_.numbered_sgpr, 0
	.set _ZN7rocprim17ROCPRIM_400000_NS6detail17trampoline_kernelINS0_14default_configENS1_36segmented_radix_sort_config_selectorIslEEZNS1_25segmented_radix_sort_implIS3_Lb1EPKsPsPKlPlN2at6native12_GLOBAL__N_18offset_tEEE10hipError_tPvRmT1_PNSt15iterator_traitsISK_E10value_typeET2_T3_PNSL_ISQ_E10value_typeET4_jRbjT5_SW_jjP12ihipStream_tbEUlT_E1_NS1_11comp_targetILNS1_3genE3ELNS1_11target_archE908ELNS1_3gpuE7ELNS1_3repE0EEENS1_59segmented_radix_sort_warp_sort_small_config_static_selectorELNS0_4arch9wavefront6targetE0EEEvSK_.num_named_barrier, 0
	.set _ZN7rocprim17ROCPRIM_400000_NS6detail17trampoline_kernelINS0_14default_configENS1_36segmented_radix_sort_config_selectorIslEEZNS1_25segmented_radix_sort_implIS3_Lb1EPKsPsPKlPlN2at6native12_GLOBAL__N_18offset_tEEE10hipError_tPvRmT1_PNSt15iterator_traitsISK_E10value_typeET2_T3_PNSL_ISQ_E10value_typeET4_jRbjT5_SW_jjP12ihipStream_tbEUlT_E1_NS1_11comp_targetILNS1_3genE3ELNS1_11target_archE908ELNS1_3gpuE7ELNS1_3repE0EEENS1_59segmented_radix_sort_warp_sort_small_config_static_selectorELNS0_4arch9wavefront6targetE0EEEvSK_.private_seg_size, 0
	.set _ZN7rocprim17ROCPRIM_400000_NS6detail17trampoline_kernelINS0_14default_configENS1_36segmented_radix_sort_config_selectorIslEEZNS1_25segmented_radix_sort_implIS3_Lb1EPKsPsPKlPlN2at6native12_GLOBAL__N_18offset_tEEE10hipError_tPvRmT1_PNSt15iterator_traitsISK_E10value_typeET2_T3_PNSL_ISQ_E10value_typeET4_jRbjT5_SW_jjP12ihipStream_tbEUlT_E1_NS1_11comp_targetILNS1_3genE3ELNS1_11target_archE908ELNS1_3gpuE7ELNS1_3repE0EEENS1_59segmented_radix_sort_warp_sort_small_config_static_selectorELNS0_4arch9wavefront6targetE0EEEvSK_.uses_vcc, 0
	.set _ZN7rocprim17ROCPRIM_400000_NS6detail17trampoline_kernelINS0_14default_configENS1_36segmented_radix_sort_config_selectorIslEEZNS1_25segmented_radix_sort_implIS3_Lb1EPKsPsPKlPlN2at6native12_GLOBAL__N_18offset_tEEE10hipError_tPvRmT1_PNSt15iterator_traitsISK_E10value_typeET2_T3_PNSL_ISQ_E10value_typeET4_jRbjT5_SW_jjP12ihipStream_tbEUlT_E1_NS1_11comp_targetILNS1_3genE3ELNS1_11target_archE908ELNS1_3gpuE7ELNS1_3repE0EEENS1_59segmented_radix_sort_warp_sort_small_config_static_selectorELNS0_4arch9wavefront6targetE0EEEvSK_.uses_flat_scratch, 0
	.set _ZN7rocprim17ROCPRIM_400000_NS6detail17trampoline_kernelINS0_14default_configENS1_36segmented_radix_sort_config_selectorIslEEZNS1_25segmented_radix_sort_implIS3_Lb1EPKsPsPKlPlN2at6native12_GLOBAL__N_18offset_tEEE10hipError_tPvRmT1_PNSt15iterator_traitsISK_E10value_typeET2_T3_PNSL_ISQ_E10value_typeET4_jRbjT5_SW_jjP12ihipStream_tbEUlT_E1_NS1_11comp_targetILNS1_3genE3ELNS1_11target_archE908ELNS1_3gpuE7ELNS1_3repE0EEENS1_59segmented_radix_sort_warp_sort_small_config_static_selectorELNS0_4arch9wavefront6targetE0EEEvSK_.has_dyn_sized_stack, 0
	.set _ZN7rocprim17ROCPRIM_400000_NS6detail17trampoline_kernelINS0_14default_configENS1_36segmented_radix_sort_config_selectorIslEEZNS1_25segmented_radix_sort_implIS3_Lb1EPKsPsPKlPlN2at6native12_GLOBAL__N_18offset_tEEE10hipError_tPvRmT1_PNSt15iterator_traitsISK_E10value_typeET2_T3_PNSL_ISQ_E10value_typeET4_jRbjT5_SW_jjP12ihipStream_tbEUlT_E1_NS1_11comp_targetILNS1_3genE3ELNS1_11target_archE908ELNS1_3gpuE7ELNS1_3repE0EEENS1_59segmented_radix_sort_warp_sort_small_config_static_selectorELNS0_4arch9wavefront6targetE0EEEvSK_.has_recursion, 0
	.set _ZN7rocprim17ROCPRIM_400000_NS6detail17trampoline_kernelINS0_14default_configENS1_36segmented_radix_sort_config_selectorIslEEZNS1_25segmented_radix_sort_implIS3_Lb1EPKsPsPKlPlN2at6native12_GLOBAL__N_18offset_tEEE10hipError_tPvRmT1_PNSt15iterator_traitsISK_E10value_typeET2_T3_PNSL_ISQ_E10value_typeET4_jRbjT5_SW_jjP12ihipStream_tbEUlT_E1_NS1_11comp_targetILNS1_3genE3ELNS1_11target_archE908ELNS1_3gpuE7ELNS1_3repE0EEENS1_59segmented_radix_sort_warp_sort_small_config_static_selectorELNS0_4arch9wavefront6targetE0EEEvSK_.has_indirect_call, 0
	.section	.AMDGPU.csdata,"",@progbits
; Kernel info:
; codeLenInByte = 0
; TotalNumSgprs: 0
; NumVgprs: 0
; ScratchSize: 0
; MemoryBound: 0
; FloatMode: 240
; IeeeMode: 1
; LDSByteSize: 0 bytes/workgroup (compile time only)
; SGPRBlocks: 0
; VGPRBlocks: 0
; NumSGPRsForWavesPerEU: 1
; NumVGPRsForWavesPerEU: 1
; Occupancy: 16
; WaveLimiterHint : 0
; COMPUTE_PGM_RSRC2:SCRATCH_EN: 0
; COMPUTE_PGM_RSRC2:USER_SGPR: 2
; COMPUTE_PGM_RSRC2:TRAP_HANDLER: 0
; COMPUTE_PGM_RSRC2:TGID_X_EN: 1
; COMPUTE_PGM_RSRC2:TGID_Y_EN: 0
; COMPUTE_PGM_RSRC2:TGID_Z_EN: 0
; COMPUTE_PGM_RSRC2:TIDIG_COMP_CNT: 0
	.section	.text._ZN7rocprim17ROCPRIM_400000_NS6detail17trampoline_kernelINS0_14default_configENS1_36segmented_radix_sort_config_selectorIslEEZNS1_25segmented_radix_sort_implIS3_Lb1EPKsPsPKlPlN2at6native12_GLOBAL__N_18offset_tEEE10hipError_tPvRmT1_PNSt15iterator_traitsISK_E10value_typeET2_T3_PNSL_ISQ_E10value_typeET4_jRbjT5_SW_jjP12ihipStream_tbEUlT_E1_NS1_11comp_targetILNS1_3genE2ELNS1_11target_archE906ELNS1_3gpuE6ELNS1_3repE0EEENS1_59segmented_radix_sort_warp_sort_small_config_static_selectorELNS0_4arch9wavefront6targetE0EEEvSK_,"axG",@progbits,_ZN7rocprim17ROCPRIM_400000_NS6detail17trampoline_kernelINS0_14default_configENS1_36segmented_radix_sort_config_selectorIslEEZNS1_25segmented_radix_sort_implIS3_Lb1EPKsPsPKlPlN2at6native12_GLOBAL__N_18offset_tEEE10hipError_tPvRmT1_PNSt15iterator_traitsISK_E10value_typeET2_T3_PNSL_ISQ_E10value_typeET4_jRbjT5_SW_jjP12ihipStream_tbEUlT_E1_NS1_11comp_targetILNS1_3genE2ELNS1_11target_archE906ELNS1_3gpuE6ELNS1_3repE0EEENS1_59segmented_radix_sort_warp_sort_small_config_static_selectorELNS0_4arch9wavefront6targetE0EEEvSK_,comdat
	.globl	_ZN7rocprim17ROCPRIM_400000_NS6detail17trampoline_kernelINS0_14default_configENS1_36segmented_radix_sort_config_selectorIslEEZNS1_25segmented_radix_sort_implIS3_Lb1EPKsPsPKlPlN2at6native12_GLOBAL__N_18offset_tEEE10hipError_tPvRmT1_PNSt15iterator_traitsISK_E10value_typeET2_T3_PNSL_ISQ_E10value_typeET4_jRbjT5_SW_jjP12ihipStream_tbEUlT_E1_NS1_11comp_targetILNS1_3genE2ELNS1_11target_archE906ELNS1_3gpuE6ELNS1_3repE0EEENS1_59segmented_radix_sort_warp_sort_small_config_static_selectorELNS0_4arch9wavefront6targetE0EEEvSK_ ; -- Begin function _ZN7rocprim17ROCPRIM_400000_NS6detail17trampoline_kernelINS0_14default_configENS1_36segmented_radix_sort_config_selectorIslEEZNS1_25segmented_radix_sort_implIS3_Lb1EPKsPsPKlPlN2at6native12_GLOBAL__N_18offset_tEEE10hipError_tPvRmT1_PNSt15iterator_traitsISK_E10value_typeET2_T3_PNSL_ISQ_E10value_typeET4_jRbjT5_SW_jjP12ihipStream_tbEUlT_E1_NS1_11comp_targetILNS1_3genE2ELNS1_11target_archE906ELNS1_3gpuE6ELNS1_3repE0EEENS1_59segmented_radix_sort_warp_sort_small_config_static_selectorELNS0_4arch9wavefront6targetE0EEEvSK_
	.p2align	8
	.type	_ZN7rocprim17ROCPRIM_400000_NS6detail17trampoline_kernelINS0_14default_configENS1_36segmented_radix_sort_config_selectorIslEEZNS1_25segmented_radix_sort_implIS3_Lb1EPKsPsPKlPlN2at6native12_GLOBAL__N_18offset_tEEE10hipError_tPvRmT1_PNSt15iterator_traitsISK_E10value_typeET2_T3_PNSL_ISQ_E10value_typeET4_jRbjT5_SW_jjP12ihipStream_tbEUlT_E1_NS1_11comp_targetILNS1_3genE2ELNS1_11target_archE906ELNS1_3gpuE6ELNS1_3repE0EEENS1_59segmented_radix_sort_warp_sort_small_config_static_selectorELNS0_4arch9wavefront6targetE0EEEvSK_,@function
_ZN7rocprim17ROCPRIM_400000_NS6detail17trampoline_kernelINS0_14default_configENS1_36segmented_radix_sort_config_selectorIslEEZNS1_25segmented_radix_sort_implIS3_Lb1EPKsPsPKlPlN2at6native12_GLOBAL__N_18offset_tEEE10hipError_tPvRmT1_PNSt15iterator_traitsISK_E10value_typeET2_T3_PNSL_ISQ_E10value_typeET4_jRbjT5_SW_jjP12ihipStream_tbEUlT_E1_NS1_11comp_targetILNS1_3genE2ELNS1_11target_archE906ELNS1_3gpuE6ELNS1_3repE0EEENS1_59segmented_radix_sort_warp_sort_small_config_static_selectorELNS0_4arch9wavefront6targetE0EEEvSK_: ; @_ZN7rocprim17ROCPRIM_400000_NS6detail17trampoline_kernelINS0_14default_configENS1_36segmented_radix_sort_config_selectorIslEEZNS1_25segmented_radix_sort_implIS3_Lb1EPKsPsPKlPlN2at6native12_GLOBAL__N_18offset_tEEE10hipError_tPvRmT1_PNSt15iterator_traitsISK_E10value_typeET2_T3_PNSL_ISQ_E10value_typeET4_jRbjT5_SW_jjP12ihipStream_tbEUlT_E1_NS1_11comp_targetILNS1_3genE2ELNS1_11target_archE906ELNS1_3gpuE6ELNS1_3repE0EEENS1_59segmented_radix_sort_warp_sort_small_config_static_selectorELNS0_4arch9wavefront6targetE0EEEvSK_
; %bb.0:
	.section	.rodata,"a",@progbits
	.p2align	6, 0x0
	.amdhsa_kernel _ZN7rocprim17ROCPRIM_400000_NS6detail17trampoline_kernelINS0_14default_configENS1_36segmented_radix_sort_config_selectorIslEEZNS1_25segmented_radix_sort_implIS3_Lb1EPKsPsPKlPlN2at6native12_GLOBAL__N_18offset_tEEE10hipError_tPvRmT1_PNSt15iterator_traitsISK_E10value_typeET2_T3_PNSL_ISQ_E10value_typeET4_jRbjT5_SW_jjP12ihipStream_tbEUlT_E1_NS1_11comp_targetILNS1_3genE2ELNS1_11target_archE906ELNS1_3gpuE6ELNS1_3repE0EEENS1_59segmented_radix_sort_warp_sort_small_config_static_selectorELNS0_4arch9wavefront6targetE0EEEvSK_
		.amdhsa_group_segment_fixed_size 0
		.amdhsa_private_segment_fixed_size 0
		.amdhsa_kernarg_size 88
		.amdhsa_user_sgpr_count 2
		.amdhsa_user_sgpr_dispatch_ptr 0
		.amdhsa_user_sgpr_queue_ptr 0
		.amdhsa_user_sgpr_kernarg_segment_ptr 1
		.amdhsa_user_sgpr_dispatch_id 0
		.amdhsa_user_sgpr_private_segment_size 0
		.amdhsa_wavefront_size32 1
		.amdhsa_uses_dynamic_stack 0
		.amdhsa_enable_private_segment 0
		.amdhsa_system_sgpr_workgroup_id_x 1
		.amdhsa_system_sgpr_workgroup_id_y 0
		.amdhsa_system_sgpr_workgroup_id_z 0
		.amdhsa_system_sgpr_workgroup_info 0
		.amdhsa_system_vgpr_workitem_id 0
		.amdhsa_next_free_vgpr 1
		.amdhsa_next_free_sgpr 1
		.amdhsa_reserve_vcc 0
		.amdhsa_float_round_mode_32 0
		.amdhsa_float_round_mode_16_64 0
		.amdhsa_float_denorm_mode_32 3
		.amdhsa_float_denorm_mode_16_64 3
		.amdhsa_fp16_overflow 0
		.amdhsa_workgroup_processor_mode 1
		.amdhsa_memory_ordered 1
		.amdhsa_forward_progress 1
		.amdhsa_inst_pref_size 0
		.amdhsa_round_robin_scheduling 0
		.amdhsa_exception_fp_ieee_invalid_op 0
		.amdhsa_exception_fp_denorm_src 0
		.amdhsa_exception_fp_ieee_div_zero 0
		.amdhsa_exception_fp_ieee_overflow 0
		.amdhsa_exception_fp_ieee_underflow 0
		.amdhsa_exception_fp_ieee_inexact 0
		.amdhsa_exception_int_div_zero 0
	.end_amdhsa_kernel
	.section	.text._ZN7rocprim17ROCPRIM_400000_NS6detail17trampoline_kernelINS0_14default_configENS1_36segmented_radix_sort_config_selectorIslEEZNS1_25segmented_radix_sort_implIS3_Lb1EPKsPsPKlPlN2at6native12_GLOBAL__N_18offset_tEEE10hipError_tPvRmT1_PNSt15iterator_traitsISK_E10value_typeET2_T3_PNSL_ISQ_E10value_typeET4_jRbjT5_SW_jjP12ihipStream_tbEUlT_E1_NS1_11comp_targetILNS1_3genE2ELNS1_11target_archE906ELNS1_3gpuE6ELNS1_3repE0EEENS1_59segmented_radix_sort_warp_sort_small_config_static_selectorELNS0_4arch9wavefront6targetE0EEEvSK_,"axG",@progbits,_ZN7rocprim17ROCPRIM_400000_NS6detail17trampoline_kernelINS0_14default_configENS1_36segmented_radix_sort_config_selectorIslEEZNS1_25segmented_radix_sort_implIS3_Lb1EPKsPsPKlPlN2at6native12_GLOBAL__N_18offset_tEEE10hipError_tPvRmT1_PNSt15iterator_traitsISK_E10value_typeET2_T3_PNSL_ISQ_E10value_typeET4_jRbjT5_SW_jjP12ihipStream_tbEUlT_E1_NS1_11comp_targetILNS1_3genE2ELNS1_11target_archE906ELNS1_3gpuE6ELNS1_3repE0EEENS1_59segmented_radix_sort_warp_sort_small_config_static_selectorELNS0_4arch9wavefront6targetE0EEEvSK_,comdat
.Lfunc_end935:
	.size	_ZN7rocprim17ROCPRIM_400000_NS6detail17trampoline_kernelINS0_14default_configENS1_36segmented_radix_sort_config_selectorIslEEZNS1_25segmented_radix_sort_implIS3_Lb1EPKsPsPKlPlN2at6native12_GLOBAL__N_18offset_tEEE10hipError_tPvRmT1_PNSt15iterator_traitsISK_E10value_typeET2_T3_PNSL_ISQ_E10value_typeET4_jRbjT5_SW_jjP12ihipStream_tbEUlT_E1_NS1_11comp_targetILNS1_3genE2ELNS1_11target_archE906ELNS1_3gpuE6ELNS1_3repE0EEENS1_59segmented_radix_sort_warp_sort_small_config_static_selectorELNS0_4arch9wavefront6targetE0EEEvSK_, .Lfunc_end935-_ZN7rocprim17ROCPRIM_400000_NS6detail17trampoline_kernelINS0_14default_configENS1_36segmented_radix_sort_config_selectorIslEEZNS1_25segmented_radix_sort_implIS3_Lb1EPKsPsPKlPlN2at6native12_GLOBAL__N_18offset_tEEE10hipError_tPvRmT1_PNSt15iterator_traitsISK_E10value_typeET2_T3_PNSL_ISQ_E10value_typeET4_jRbjT5_SW_jjP12ihipStream_tbEUlT_E1_NS1_11comp_targetILNS1_3genE2ELNS1_11target_archE906ELNS1_3gpuE6ELNS1_3repE0EEENS1_59segmented_radix_sort_warp_sort_small_config_static_selectorELNS0_4arch9wavefront6targetE0EEEvSK_
                                        ; -- End function
	.set _ZN7rocprim17ROCPRIM_400000_NS6detail17trampoline_kernelINS0_14default_configENS1_36segmented_radix_sort_config_selectorIslEEZNS1_25segmented_radix_sort_implIS3_Lb1EPKsPsPKlPlN2at6native12_GLOBAL__N_18offset_tEEE10hipError_tPvRmT1_PNSt15iterator_traitsISK_E10value_typeET2_T3_PNSL_ISQ_E10value_typeET4_jRbjT5_SW_jjP12ihipStream_tbEUlT_E1_NS1_11comp_targetILNS1_3genE2ELNS1_11target_archE906ELNS1_3gpuE6ELNS1_3repE0EEENS1_59segmented_radix_sort_warp_sort_small_config_static_selectorELNS0_4arch9wavefront6targetE0EEEvSK_.num_vgpr, 0
	.set _ZN7rocprim17ROCPRIM_400000_NS6detail17trampoline_kernelINS0_14default_configENS1_36segmented_radix_sort_config_selectorIslEEZNS1_25segmented_radix_sort_implIS3_Lb1EPKsPsPKlPlN2at6native12_GLOBAL__N_18offset_tEEE10hipError_tPvRmT1_PNSt15iterator_traitsISK_E10value_typeET2_T3_PNSL_ISQ_E10value_typeET4_jRbjT5_SW_jjP12ihipStream_tbEUlT_E1_NS1_11comp_targetILNS1_3genE2ELNS1_11target_archE906ELNS1_3gpuE6ELNS1_3repE0EEENS1_59segmented_radix_sort_warp_sort_small_config_static_selectorELNS0_4arch9wavefront6targetE0EEEvSK_.num_agpr, 0
	.set _ZN7rocprim17ROCPRIM_400000_NS6detail17trampoline_kernelINS0_14default_configENS1_36segmented_radix_sort_config_selectorIslEEZNS1_25segmented_radix_sort_implIS3_Lb1EPKsPsPKlPlN2at6native12_GLOBAL__N_18offset_tEEE10hipError_tPvRmT1_PNSt15iterator_traitsISK_E10value_typeET2_T3_PNSL_ISQ_E10value_typeET4_jRbjT5_SW_jjP12ihipStream_tbEUlT_E1_NS1_11comp_targetILNS1_3genE2ELNS1_11target_archE906ELNS1_3gpuE6ELNS1_3repE0EEENS1_59segmented_radix_sort_warp_sort_small_config_static_selectorELNS0_4arch9wavefront6targetE0EEEvSK_.numbered_sgpr, 0
	.set _ZN7rocprim17ROCPRIM_400000_NS6detail17trampoline_kernelINS0_14default_configENS1_36segmented_radix_sort_config_selectorIslEEZNS1_25segmented_radix_sort_implIS3_Lb1EPKsPsPKlPlN2at6native12_GLOBAL__N_18offset_tEEE10hipError_tPvRmT1_PNSt15iterator_traitsISK_E10value_typeET2_T3_PNSL_ISQ_E10value_typeET4_jRbjT5_SW_jjP12ihipStream_tbEUlT_E1_NS1_11comp_targetILNS1_3genE2ELNS1_11target_archE906ELNS1_3gpuE6ELNS1_3repE0EEENS1_59segmented_radix_sort_warp_sort_small_config_static_selectorELNS0_4arch9wavefront6targetE0EEEvSK_.num_named_barrier, 0
	.set _ZN7rocprim17ROCPRIM_400000_NS6detail17trampoline_kernelINS0_14default_configENS1_36segmented_radix_sort_config_selectorIslEEZNS1_25segmented_radix_sort_implIS3_Lb1EPKsPsPKlPlN2at6native12_GLOBAL__N_18offset_tEEE10hipError_tPvRmT1_PNSt15iterator_traitsISK_E10value_typeET2_T3_PNSL_ISQ_E10value_typeET4_jRbjT5_SW_jjP12ihipStream_tbEUlT_E1_NS1_11comp_targetILNS1_3genE2ELNS1_11target_archE906ELNS1_3gpuE6ELNS1_3repE0EEENS1_59segmented_radix_sort_warp_sort_small_config_static_selectorELNS0_4arch9wavefront6targetE0EEEvSK_.private_seg_size, 0
	.set _ZN7rocprim17ROCPRIM_400000_NS6detail17trampoline_kernelINS0_14default_configENS1_36segmented_radix_sort_config_selectorIslEEZNS1_25segmented_radix_sort_implIS3_Lb1EPKsPsPKlPlN2at6native12_GLOBAL__N_18offset_tEEE10hipError_tPvRmT1_PNSt15iterator_traitsISK_E10value_typeET2_T3_PNSL_ISQ_E10value_typeET4_jRbjT5_SW_jjP12ihipStream_tbEUlT_E1_NS1_11comp_targetILNS1_3genE2ELNS1_11target_archE906ELNS1_3gpuE6ELNS1_3repE0EEENS1_59segmented_radix_sort_warp_sort_small_config_static_selectorELNS0_4arch9wavefront6targetE0EEEvSK_.uses_vcc, 0
	.set _ZN7rocprim17ROCPRIM_400000_NS6detail17trampoline_kernelINS0_14default_configENS1_36segmented_radix_sort_config_selectorIslEEZNS1_25segmented_radix_sort_implIS3_Lb1EPKsPsPKlPlN2at6native12_GLOBAL__N_18offset_tEEE10hipError_tPvRmT1_PNSt15iterator_traitsISK_E10value_typeET2_T3_PNSL_ISQ_E10value_typeET4_jRbjT5_SW_jjP12ihipStream_tbEUlT_E1_NS1_11comp_targetILNS1_3genE2ELNS1_11target_archE906ELNS1_3gpuE6ELNS1_3repE0EEENS1_59segmented_radix_sort_warp_sort_small_config_static_selectorELNS0_4arch9wavefront6targetE0EEEvSK_.uses_flat_scratch, 0
	.set _ZN7rocprim17ROCPRIM_400000_NS6detail17trampoline_kernelINS0_14default_configENS1_36segmented_radix_sort_config_selectorIslEEZNS1_25segmented_radix_sort_implIS3_Lb1EPKsPsPKlPlN2at6native12_GLOBAL__N_18offset_tEEE10hipError_tPvRmT1_PNSt15iterator_traitsISK_E10value_typeET2_T3_PNSL_ISQ_E10value_typeET4_jRbjT5_SW_jjP12ihipStream_tbEUlT_E1_NS1_11comp_targetILNS1_3genE2ELNS1_11target_archE906ELNS1_3gpuE6ELNS1_3repE0EEENS1_59segmented_radix_sort_warp_sort_small_config_static_selectorELNS0_4arch9wavefront6targetE0EEEvSK_.has_dyn_sized_stack, 0
	.set _ZN7rocprim17ROCPRIM_400000_NS6detail17trampoline_kernelINS0_14default_configENS1_36segmented_radix_sort_config_selectorIslEEZNS1_25segmented_radix_sort_implIS3_Lb1EPKsPsPKlPlN2at6native12_GLOBAL__N_18offset_tEEE10hipError_tPvRmT1_PNSt15iterator_traitsISK_E10value_typeET2_T3_PNSL_ISQ_E10value_typeET4_jRbjT5_SW_jjP12ihipStream_tbEUlT_E1_NS1_11comp_targetILNS1_3genE2ELNS1_11target_archE906ELNS1_3gpuE6ELNS1_3repE0EEENS1_59segmented_radix_sort_warp_sort_small_config_static_selectorELNS0_4arch9wavefront6targetE0EEEvSK_.has_recursion, 0
	.set _ZN7rocprim17ROCPRIM_400000_NS6detail17trampoline_kernelINS0_14default_configENS1_36segmented_radix_sort_config_selectorIslEEZNS1_25segmented_radix_sort_implIS3_Lb1EPKsPsPKlPlN2at6native12_GLOBAL__N_18offset_tEEE10hipError_tPvRmT1_PNSt15iterator_traitsISK_E10value_typeET2_T3_PNSL_ISQ_E10value_typeET4_jRbjT5_SW_jjP12ihipStream_tbEUlT_E1_NS1_11comp_targetILNS1_3genE2ELNS1_11target_archE906ELNS1_3gpuE6ELNS1_3repE0EEENS1_59segmented_radix_sort_warp_sort_small_config_static_selectorELNS0_4arch9wavefront6targetE0EEEvSK_.has_indirect_call, 0
	.section	.AMDGPU.csdata,"",@progbits
; Kernel info:
; codeLenInByte = 0
; TotalNumSgprs: 0
; NumVgprs: 0
; ScratchSize: 0
; MemoryBound: 0
; FloatMode: 240
; IeeeMode: 1
; LDSByteSize: 0 bytes/workgroup (compile time only)
; SGPRBlocks: 0
; VGPRBlocks: 0
; NumSGPRsForWavesPerEU: 1
; NumVGPRsForWavesPerEU: 1
; Occupancy: 16
; WaveLimiterHint : 0
; COMPUTE_PGM_RSRC2:SCRATCH_EN: 0
; COMPUTE_PGM_RSRC2:USER_SGPR: 2
; COMPUTE_PGM_RSRC2:TRAP_HANDLER: 0
; COMPUTE_PGM_RSRC2:TGID_X_EN: 1
; COMPUTE_PGM_RSRC2:TGID_Y_EN: 0
; COMPUTE_PGM_RSRC2:TGID_Z_EN: 0
; COMPUTE_PGM_RSRC2:TIDIG_COMP_CNT: 0
	.text
	.p2align	2                               ; -- Begin function _ZN7rocprim17ROCPRIM_400000_NS6detail26segmented_warp_sort_helperINS1_20WarpSortHelperConfigILj8ELj4ELj256EEEslLi256ELb1EvE4sortIPKsPsPKlPlEEvT_T0_T1_T2_jjjjRNS5_12storage_typeE
	.type	_ZN7rocprim17ROCPRIM_400000_NS6detail26segmented_warp_sort_helperINS1_20WarpSortHelperConfigILj8ELj4ELj256EEEslLi256ELb1EvE4sortIPKsPsPKlPlEEvT_T0_T1_T2_jjjjRNS5_12storage_typeE,@function
_ZN7rocprim17ROCPRIM_400000_NS6detail26segmented_warp_sort_helperINS1_20WarpSortHelperConfigILj8ELj4ELj256EEEslLi256ELb1EvE4sortIPKsPsPKlPlEEvT_T0_T1_T2_jjjjRNS5_12storage_typeE: ; @_ZN7rocprim17ROCPRIM_400000_NS6detail26segmented_warp_sort_helperINS1_20WarpSortHelperConfigILj8ELj4ELj256EEEslLi256ELb1EvE4sortIPKsPsPKlPlEEvT_T0_T1_T2_jjjjRNS5_12storage_typeE
; %bb.0:
	s_wait_loadcnt_dscnt 0x0
	s_wait_expcnt 0x0
	s_wait_samplecnt 0x0
	s_wait_bvhcnt 0x0
	s_wait_kmcnt 0x0
	v_mov_b32_e32 v14, v9
	v_mbcnt_lo_u32_b32 v9, -1, 0
	v_mov_b32_e32 v49, 0xffff8000
	v_mov_b32_e32 v39, 0xffff8000
	s_delay_alu instid0(VALU_DEP_3) | instskip(SKIP_2) | instid1(VALU_DEP_3)
	v_lshlrev_b32_e32 v37, 2, v9
	v_mov_b32_e32 v9, 0
	v_sub_nc_u32_e32 v14, v14, v8
	v_and_b32_e32 v38, 28, v37
	s_delay_alu instid0(VALU_DEP_3) | instskip(NEXT) | instid1(VALU_DEP_2)
	v_lshlrev_b64_e32 v[32:33], 1, v[8:9]
	v_lshlrev_b32_e32 v30, 1, v38
	s_delay_alu instid0(VALU_DEP_2) | instskip(SKIP_1) | instid1(VALU_DEP_3)
	v_add_co_u32 v0, vcc_lo, v0, v32
	s_wait_alu 0xfffd
	v_add_co_ci_u32_e64 v1, null, v1, v33, vcc_lo
	s_delay_alu instid0(VALU_DEP_2) | instskip(SKIP_1) | instid1(VALU_DEP_2)
	v_add_co_u32 v0, vcc_lo, v0, v30
	s_wait_alu 0xfffd
	v_add_co_ci_u32_e64 v1, null, 0, v1, vcc_lo
	v_cmp_lt_u32_e32 vcc_lo, v38, v14
	s_and_saveexec_b32 s0, vcc_lo
	s_cbranch_execz .LBB936_2
; %bb.1:
	flat_load_u16 v49, v[0:1]
.LBB936_2:
	s_wait_alu 0xfffe
	s_or_b32 exec_lo, exec_lo, s0
	v_or_b32_e32 v15, 1, v38
	s_delay_alu instid0(VALU_DEP_1)
	v_cmp_lt_u32_e64 s0, v15, v14
	s_and_saveexec_b32 s1, s0
	s_cbranch_execz .LBB936_4
; %bb.3:
	flat_load_u16 v39, v[0:1] offset:2
.LBB936_4:
	s_wait_alu 0xfffe
	s_or_b32 exec_lo, exec_lo, s1
	v_or_b32_e32 v15, 2, v38
	v_mov_b32_e32 v48, 0xffff8000
	v_mov_b32_e32 v24, 0xffff8000
	s_delay_alu instid0(VALU_DEP_3)
	v_cmp_lt_u32_e64 s1, v15, v14
	s_and_saveexec_b32 s2, s1
	s_cbranch_execz .LBB936_6
; %bb.5:
	flat_load_u16 v24, v[0:1] offset:4
.LBB936_6:
	s_wait_alu 0xfffe
	s_or_b32 exec_lo, exec_lo, s2
	v_or_b32_e32 v15, 3, v38
	s_delay_alu instid0(VALU_DEP_1)
	v_cmp_lt_u32_e64 s2, v15, v14
	s_and_saveexec_b32 s3, s2
	s_cbranch_execz .LBB936_8
; %bb.7:
	flat_load_u16 v48, v[0:1] offset:6
.LBB936_8:
	s_wait_alu 0xfffe
	s_or_b32 exec_lo, exec_lo, s3
	v_lshlrev_b64_e32 v[0:1], 3, v[8:9]
	v_lshlrev_b32_e32 v36, 3, v38
	v_mov_b32_e32 v8, 0
	v_mov_b32_e32 v9, 0
	; wave barrier
	s_delay_alu instid0(VALU_DEP_4) | instskip(SKIP_3) | instid1(VALU_DEP_3)
	v_add_co_u32 v14, s3, v4, v0
	s_wait_alu 0xf1ff
	v_add_co_ci_u32_e64 v15, null, v5, v1, s3
	v_mov_b32_e32 v4, 0
	v_add_co_u32 v16, s3, v14, v36
	v_mov_b32_e32 v5, 0
	s_wait_alu 0xf1ff
	v_add_co_ci_u32_e64 v17, null, 0, v15, s3
	s_and_saveexec_b32 s3, vcc_lo
	s_cbranch_execz .LBB936_10
; %bb.9:
	flat_load_b64 v[4:5], v[16:17]
.LBB936_10:
	s_wait_alu 0xfffe
	s_or_b32 exec_lo, exec_lo, s3
	s_mov_b32 s3, 0
	s_wait_alu 0xfffe
	v_dual_mov_b32 v18, s3 :: v_dual_mov_b32 v19, s3
	v_dual_mov_b32 v22, s3 :: v_dual_mov_b32 v23, s3
	;; [unrolled: 1-line block ×3, first 2 shown]
	s_and_saveexec_b32 s4, s0
	s_cbranch_execz .LBB936_12
; %bb.11:
	flat_load_b64 v[18:19], v[16:17] offset:8
	v_dual_mov_b32 v22, s3 :: v_dual_mov_b32 v23, s3
	v_dual_mov_b32 v34, s3 :: v_dual_mov_b32 v35, s3
	s_wait_loadcnt_dscnt 0x0
	v_dual_mov_b32 v8, v18 :: v_dual_mov_b32 v9, v19
.LBB936_12:
	s_wait_alu 0xfffe
	s_or_b32 exec_lo, exec_lo, s4
	v_mov_b32_e32 v20, 0
	v_dual_mov_b32 v21, 0 :: v_dual_mov_b32 v14, 0
	v_mov_b32_e32 v15, 0
	s_and_saveexec_b32 s3, s1
	s_cbranch_execz .LBB936_14
; %bb.13:
	flat_load_b64 v[22:23], v[16:17] offset:16
	s_mov_b32 s4, 0
	s_wait_alu 0xfffe
	v_dual_mov_b32 v34, s4 :: v_dual_mov_b32 v35, s4
	s_wait_loadcnt_dscnt 0x0
	v_dual_mov_b32 v14, v22 :: v_dual_mov_b32 v15, v23
.LBB936_14:
	s_wait_alu 0xfffe
	s_or_b32 exec_lo, exec_lo, s3
	s_and_saveexec_b32 s3, s2
	s_cbranch_execz .LBB936_16
; %bb.15:
	flat_load_b64 v[34:35], v[16:17] offset:24
	s_wait_loadcnt_dscnt 0x0
	v_dual_mov_b32 v20, v34 :: v_dual_mov_b32 v21, v35
.LBB936_16:
	s_wait_alu 0xfffe
	s_or_b32 exec_lo, exec_lo, s3
	v_cmp_ne_u32_e64 s3, 0, v10
	v_cmp_ne_u32_e64 s4, 16, v11
	v_bfe_u32 v17, v31, 10, 10
	v_bfe_u32 v25, v31, 20, 10
	v_and_b32_e32 v16, 0x3ff, v31
	s_mov_b32 s5, 0
	s_or_b32 s3, s3, s4
	; wave barrier
	s_wait_alu 0xfffe
	s_and_saveexec_b32 s4, s3
	s_wait_alu 0xfffe
	s_xor_b32 s11, exec_lo, s4
	s_cbranch_execz .LBB936_60
; %bb.17:
	s_load_b64 s[6:7], s[8:9], 0x0
	s_and_b32 s3, ttmp7, 0xffff
	v_lshlrev_b32_e64 v11, v11, -1
	s_wait_kmcnt 0x0
	s_wait_alu 0xfffe
	s_cmp_lt_u32 s3, s7
	s_cselect_b32 s4, 14, 20
	s_cmp_lt_u32 ttmp9, s6
	s_wait_alu 0xfffe
	s_add_nc_u64 s[12:13], s[8:9], s[4:5]
	s_cselect_b32 s4, 12, 18
	s_load_u16 s3, s[12:13], 0x0
	s_add_nc_u64 s[4:5], s[8:9], s[4:5]
	s_load_u16 s4, s[4:5], 0x0
	s_mov_b32 s5, exec_lo
	s_wait_kmcnt 0x0
	v_mad_u32_u24 v17, v25, s3, v17
	v_lshlrev_b32_e64 v25, v10, -1
	s_delay_alu instid0(VALU_DEP_2) | instskip(NEXT) | instid1(VALU_DEP_2)
	v_mul_lo_u32 v17, v17, s4
	v_xor_b32_e32 v31, v11, v25
	s_delay_alu instid0(VALU_DEP_2) | instskip(NEXT) | instid1(VALU_DEP_1)
	v_add_lshl_u32 v10, v17, v16, 2
	v_cmpx_gt_u32_e32 0x400, v10
	s_cbranch_execz .LBB936_29
; %bb.18:
	s_wait_loadcnt_dscnt 0x0
	v_and_b32_e32 v11, v39, v31
	v_and_b32_e32 v14, v49, v31
	;; [unrolled: 1-line block ×4, first 2 shown]
	s_mov_b32 s6, exec_lo
	s_delay_alu instid0(VALU_DEP_3) | instskip(SKIP_2) | instid1(VALU_DEP_2)
	v_cmp_gt_i16_e64 s3, v11, v14
	v_mov_b32_e32 v11, v24
	s_wait_alu 0xf1ff
	v_cndmask_b32_e64 v17, v19, v5, s3
	v_cndmask_b32_e64 v16, v18, v4, s3
	;; [unrolled: 1-line block ×4, first 2 shown]
	v_dual_mov_b32 v18, v22 :: v_dual_mov_b32 v19, v23
	v_cmpx_gt_i16_e64 v9, v8
; %bb.19:
	v_mov_b32_e32 v18, v34
	v_dual_mov_b32 v8, v9 :: v_dual_mov_b32 v19, v35
	v_mov_b32_e32 v35, v23
	v_dual_mov_b32 v11, v48 :: v_dual_mov_b32 v48, v24
	v_mov_b32_e32 v34, v22
; %bb.20:
	s_wait_alu 0xfffe
	s_or_b32 exec_lo, exec_lo, s6
	v_cndmask_b32_e64 v5, v39, v49, s3
	s_delay_alu instid0(VALU_DEP_2) | instskip(SKIP_1) | instid1(VALU_DEP_3)
	v_mov_b32_e32 v20, v34
	v_dual_mov_b32 v29, v21 :: v_dual_mov_b32 v24, v16
	v_dual_mov_b32 v23, v15 :: v_dual_and_b32 v4, v5, v31
	v_dual_mov_b32 v27, v19 :: v_dual_mov_b32 v22, v14
	s_delay_alu instid0(VALU_DEP_4) | instskip(SKIP_1) | instid1(VALU_DEP_4)
	v_mov_b32_e32 v28, v20
	v_dual_mov_b32 v26, v18 :: v_dual_mov_b32 v25, v17
	v_cmp_le_i16_e64 s4, v8, v4
                                        ; implicit-def: $vgpr50
	s_and_saveexec_b32 s6, s4
	s_wait_alu 0xfffe
	s_xor_b32 s4, exec_lo, s6
; %bb.21:
	v_and_b32_e32 v50, v11, v31
                                        ; implicit-def: $vgpr22_vgpr23_vgpr24_vgpr25_vgpr26_vgpr27_vgpr28_vgpr29
                                        ; implicit-def: $vgpr8
; %bb.22:
	s_wait_alu 0xfffe
	s_or_saveexec_b32 s4, s4
	v_mov_b32_e32 v21, v35
	v_mov_b32_e32 v25, v5
	s_wait_alu 0xfffe
	s_xor_b32 exec_lo, exec_lo, s4
	s_cbranch_execz .LBB936_24
; %bb.23:
	v_dual_mov_b32 v24, v18 :: v_dual_mov_b32 v25, v19
	v_dual_mov_b32 v26, v16 :: v_dual_mov_b32 v27, v17
	;; [unrolled: 1-line block ×4, first 2 shown]
	s_delay_alu instid0(VALU_DEP_4) | instskip(NEXT) | instid1(VALU_DEP_4)
	v_dual_mov_b32 v16, v24 :: v_dual_mov_b32 v17, v25
	v_dual_mov_b32 v18, v26 :: v_dual_mov_b32 v19, v27
	s_delay_alu instid0(VALU_DEP_4)
	v_dual_mov_b32 v20, v28 :: v_dual_mov_b32 v21, v29
	v_dual_mov_b32 v50, v4 :: v_dual_mov_b32 v25, v11
	;; [unrolled: 1-line block ×3, first 2 shown]
.LBB936_24:
	s_or_b32 exec_lo, exec_lo, s4
	v_cndmask_b32_e64 v22, v49, v39, s3
	v_and_b32_e32 v23, v48, v31
	s_mov_b32 s6, exec_lo
	s_delay_alu instid0(VALU_DEP_2) | instskip(NEXT) | instid1(VALU_DEP_1)
	v_and_b32_e32 v5, v22, v31
	v_cmp_gt_i16_e64 s3, v4, v5
	s_wait_alu 0xf1ff
	s_delay_alu instid0(VALU_DEP_1)
	v_cndmask_b32_e64 v9, v17, v15, s3
	v_cndmask_b32_e64 v8, v16, v14, s3
	;; [unrolled: 1-line block ×4, first 2 shown]
	v_mov_b32_e32 v16, v11
	v_cmpx_gt_i16_e64 v23, v50
; %bb.25:
	v_dual_mov_b32 v14, v18 :: v_dual_mov_b32 v15, v19
	v_mov_b32_e32 v18, v20
	v_dual_mov_b32 v16, v48 :: v_dual_mov_b32 v19, v21
	s_delay_alu instid0(VALU_DEP_3)
	v_dual_mov_b32 v48, v11 :: v_dual_mov_b32 v21, v15
	v_mov_b32_e32 v50, v23
	v_mov_b32_e32 v20, v14
; %bb.26:
	s_wait_alu 0xfffe
	s_or_b32 exec_lo, exec_lo, s6
	v_cndmask_b32_e64 v39, v25, v22, s3
	s_mov_b32 s6, exec_lo
	v_dual_mov_b32 v14, v18 :: v_dual_mov_b32 v15, v19
	s_delay_alu instid0(VALU_DEP_2) | instskip(NEXT) | instid1(VALU_DEP_1)
	v_dual_mov_b32 v24, v16 :: v_dual_and_b32 v11, v39, v31
	v_cmpx_gt_i16_e64 v50, v11
; %bb.27:
	v_dual_mov_b32 v15, v9 :: v_dual_mov_b32 v14, v8
	v_dual_mov_b32 v8, v18 :: v_dual_mov_b32 v9, v19
	;; [unrolled: 1-line block ×3, first 2 shown]
; %bb.28:
	s_wait_alu 0xfffe
	s_or_b32 exec_lo, exec_lo, s6
	v_cndmask_b32_e64 v49, v22, v25, s3
.LBB936_29:
	s_wait_alu 0xfffe
	s_or_b32 exec_lo, exec_lo, s5
	v_dual_mov_b32 v11, 0 :: v_dual_and_b32 v10, 0xffffff80, v10
	v_or_b32_e32 v19, 4, v37
	v_and_b32_e32 v28, 0x78, v37
	s_mov_b32 s4, exec_lo
	s_delay_alu instid0(VALU_DEP_3) | instskip(SKIP_1) | instid1(VALU_DEP_2)
	v_sub_nc_u32_e64 v16, 0x400, v10 clamp
	v_lshlrev_b64_e32 v[17:18], 1, v[10:11]
	v_min_u32_e32 v26, v16, v19
	s_delay_alu instid0(VALU_DEP_2) | instskip(SKIP_1) | instid1(VALU_DEP_3)
	v_add_co_u32 v12, s3, v12, v17
	s_wait_alu 0xf1ff
	v_add_co_ci_u32_e64 v13, null, v13, v18, s3
	s_delay_alu instid0(VALU_DEP_3) | instskip(NEXT) | instid1(VALU_DEP_2)
	v_add_nc_u32_e32 v17, 4, v26
	v_mad_co_u64_u32 v[10:11], null, v10, 6, v[12:13]
	v_and_b32_e32 v11, 4, v37
	s_delay_alu instid0(VALU_DEP_3) | instskip(NEXT) | instid1(VALU_DEP_2)
	v_min_u32_e32 v27, v16, v17
	v_min_u32_e32 v29, v16, v11
	v_sub_nc_u32_e32 v11, v26, v28
	v_lshl_add_u32 v17, v37, 3, v10
	s_delay_alu instid0(VALU_DEP_4) | instskip(NEXT) | instid1(VALU_DEP_3)
	v_sub_nc_u32_e32 v18, v27, v26
	v_min_u32_e32 v13, v29, v11
	s_delay_alu instid0(VALU_DEP_3) | instskip(NEXT) | instid1(VALU_DEP_3)
	v_add_nc_u32_e32 v19, 0x800, v17
	v_sub_nc_u32_e64 v34, v29, v18 clamp
	v_lshl_add_u32 v11, v37, 1, v12
	s_wait_loadcnt_dscnt 0x0
	ds_store_2addr_b64 v19, v[4:5], v[8:9] offset1:1
	ds_store_b16 v11, v49
	ds_store_b16 v11, v39 offset:2
	ds_store_b16 v11, v24 offset:4
	ds_store_b16 v11, v48 offset:6
	ds_store_2addr_b64 v19, v[14:15], v[20:21] offset0:2 offset1:3
	; wave barrier
	v_cmpx_lt_u32_e64 v34, v13
	s_cbranch_execz .LBB936_33
; %bb.30:
	v_lshlrev_b32_e32 v18, 1, v28
	v_lshlrev_b32_e32 v19, 1, v26
	s_mov_b32 s5, 0
	s_delay_alu instid0(VALU_DEP_2) | instskip(NEXT) | instid1(VALU_DEP_2)
	v_add_co_u32 v18, null, v12, v18
	v_add_co_u32 v19, null, v12, v19
.LBB936_31:                             ; =>This Inner Loop Header: Depth=1
	v_add_nc_u32_e32 v22, v13, v34
	s_delay_alu instid0(VALU_DEP_1) | instskip(SKIP_1) | instid1(VALU_DEP_2)
	v_lshrrev_b32_e32 v23, 1, v22
	v_and_b32_e32 v22, -2, v22
	v_xad_u32 v25, v23, -1, v29
	s_delay_alu instid0(VALU_DEP_2) | instskip(SKIP_1) | instid1(VALU_DEP_3)
	v_add_nc_u32_e32 v22, v18, v22
	v_add_nc_u32_e32 v35, 1, v23
	v_lshl_add_u32 v25, v25, 1, v19
	ds_load_u16 v22, v22
	ds_load_u16 v25, v25
	s_wait_dscnt 0x1
	v_and_b32_e32 v22, v22, v31
	s_wait_dscnt 0x0
	v_and_b32_e32 v25, v25, v31
	s_delay_alu instid0(VALU_DEP_1) | instskip(SKIP_1) | instid1(VALU_DEP_1)
	v_cmp_gt_i16_e64 s3, v25, v22
	s_wait_alu 0xf1ff
	v_cndmask_b32_e64 v13, v13, v23, s3
	v_cndmask_b32_e64 v34, v35, v34, s3
	s_delay_alu instid0(VALU_DEP_1)
	v_cmp_ge_u32_e64 s3, v34, v13
	s_wait_alu 0xfffe
	s_or_b32 s5, s3, s5
	s_wait_alu 0xfffe
	s_and_not1_b32 exec_lo, exec_lo, s5
	s_cbranch_execnz .LBB936_31
; %bb.32:
	s_or_b32 exec_lo, exec_lo, s5
.LBB936_33:
	s_wait_alu 0xfffe
	s_or_b32 exec_lo, exec_lo, s4
	v_add_nc_u32_e32 v29, v26, v29
	v_add_nc_u32_e32 v35, v34, v28
	;; [unrolled: 1-line block ×5, first 2 shown]
	v_sub_nc_u32_e32 v29, v29, v34
	v_cmp_le_u32_e64 s3, v35, v26
	v_add_nc_u32_e32 v22, 4, v11
	v_add_nc_u32_e32 v23, 0x810, v17
	;; [unrolled: 1-line block ×3, first 2 shown]
	v_cmp_le_u32_e64 s4, v29, v27
	v_add_nc_u32_e32 v17, 0x818, v17
	s_or_b32 s3, s3, s4
	s_wait_alu 0xfffe
	s_and_saveexec_b32 s12, s3
	s_cbranch_execz .LBB936_39
; %bb.34:
	v_cmp_lt_u32_e64 s3, v35, v26
                                        ; implicit-def: $vgpr24
	s_and_saveexec_b32 s4, s3
; %bb.35:
	v_lshl_add_u32 v4, v35, 1, v12
	ds_load_u16 v24, v4
; %bb.36:
	s_wait_alu 0xfffe
	s_or_b32 exec_lo, exec_lo, s4
	v_cmp_ge_u32_e64 s4, v29, v27
	s_mov_b32 s6, exec_lo
                                        ; implicit-def: $vgpr28
	v_cmpx_lt_u32_e64 v29, v27
; %bb.37:
	v_lshl_add_u32 v4, v29, 1, v12
	ds_load_u16 v28, v4
; %bb.38:
	s_wait_alu 0xfffe
	s_or_b32 exec_lo, exec_lo, s6
	s_wait_dscnt 0x0
	v_and_b32_e32 v4, v28, v31
	v_and_b32_e32 v5, v24, v31
	s_delay_alu instid0(VALU_DEP_1)
	v_cmp_le_i16_e64 s5, v4, v5
	s_and_b32 s3, s3, s5
	s_wait_alu 0xfffe
	s_or_b32 s3, s4, s3
	s_wait_alu 0xfffe
	v_cndmask_b32_e64 v4, v29, v35, s3
	v_cndmask_b32_e64 v5, v27, v26, s3
	;; [unrolled: 1-line block ×3, first 2 shown]
	s_delay_alu instid0(VALU_DEP_3) | instskip(NEXT) | instid1(VALU_DEP_3)
	v_add_nc_u32_e32 v8, 1, v4
	v_add_nc_u32_e32 v5, -1, v5
	v_lshl_add_u32 v4, v4, 3, v10
	s_delay_alu instid0(VALU_DEP_2) | instskip(NEXT) | instid1(VALU_DEP_1)
	v_min_u32_e32 v5, v8, v5
	v_lshl_add_u32 v5, v5, 1, v12
	ds_load_u16 v5, v5
	s_wait_dscnt 0x0
	v_cndmask_b32_e64 v34, v5, v28, s3
	v_cndmask_b32_e64 v39, v24, v5, s3
	;; [unrolled: 1-line block ×4, first 2 shown]
	s_delay_alu instid0(VALU_DEP_4) | instskip(NEXT) | instid1(VALU_DEP_4)
	v_and_b32_e32 v9, v34, v31
	v_and_b32_e32 v14, v39, v31
	s_delay_alu instid0(VALU_DEP_4) | instskip(NEXT) | instid1(VALU_DEP_4)
	v_cmp_lt_u32_e64 s4, v5, v26
	v_cmp_ge_u32_e64 s6, v8, v27
	s_delay_alu instid0(VALU_DEP_3)
	v_cmp_le_i16_e64 s5, v9, v14
	s_and_b32 s4, s4, s5
	s_wait_alu 0xfffe
	s_or_b32 s4, s6, s4
	s_wait_alu 0xfffe
	v_cndmask_b32_e64 v9, v8, v5, s4
	v_cndmask_b32_e64 v14, v27, v26, s4
	s_delay_alu instid0(VALU_DEP_2) | instskip(NEXT) | instid1(VALU_DEP_2)
	v_add_nc_u32_e32 v15, 1, v9
	v_add_nc_u32_e32 v14, -1, v14
	s_delay_alu instid0(VALU_DEP_2) | instskip(NEXT) | instid1(VALU_DEP_2)
	v_cndmask_b32_e64 v5, v5, v15, s4
	v_min_u32_e32 v14, v15, v14
	v_cndmask_b32_e64 v8, v15, v8, s4
	s_delay_alu instid0(VALU_DEP_3) | instskip(NEXT) | instid1(VALU_DEP_3)
	v_cmp_lt_u32_e64 s5, v5, v26
	v_lshl_add_u32 v14, v14, 1, v12
	s_delay_alu instid0(VALU_DEP_3)
	v_cmp_ge_u32_e64 s7, v8, v27
	ds_load_u16 v14, v14
	s_wait_dscnt 0x0
	v_cndmask_b32_e64 v29, v14, v34, s4
	v_cndmask_b32_e64 v35, v39, v14, s4
	;; [unrolled: 1-line block ×3, first 2 shown]
	s_delay_alu instid0(VALU_DEP_3) | instskip(NEXT) | instid1(VALU_DEP_3)
	v_and_b32_e32 v14, v29, v31
	v_and_b32_e32 v20, v35, v31
	s_delay_alu instid0(VALU_DEP_1)
	v_cmp_le_i16_e64 s6, v14, v20
	s_and_b32 s5, s5, s6
	s_wait_alu 0xfffe
	s_or_b32 s5, s7, s5
	s_wait_alu 0xfffe
	v_cndmask_b32_e64 v14, v8, v5, s5
	v_cndmask_b32_e64 v15, v27, v26, s5
	;; [unrolled: 1-line block ×3, first 2 shown]
	s_delay_alu instid0(VALU_DEP_3) | instskip(NEXT) | instid1(VALU_DEP_3)
	v_add_nc_u32_e32 v20, 1, v14
	v_add_nc_u32_e32 v15, -1, v15
	v_lshl_add_u32 v14, v14, 3, v10
	s_delay_alu instid0(VALU_DEP_3) | instskip(NEXT) | instid1(VALU_DEP_3)
	v_cndmask_b32_e64 v5, v5, v20, s5
	v_min_u32_e32 v15, v20, v15
	v_cndmask_b32_e64 v8, v20, v8, s5
	s_delay_alu instid0(VALU_DEP_3) | instskip(NEXT) | instid1(VALU_DEP_3)
	v_cmp_lt_u32_e64 s6, v5, v26
	v_lshl_add_u32 v15, v15, 1, v12
	s_delay_alu instid0(VALU_DEP_3) | instskip(SKIP_4) | instid1(VALU_DEP_2)
	v_cmp_ge_u32_e64 s10, v8, v27
	ds_load_u16 v15, v15
	s_wait_dscnt 0x0
	v_cndmask_b32_e64 v48, v15, v29, s5
	v_cndmask_b32_e64 v50, v35, v15, s5
	v_and_b32_e32 v15, v48, v31
	s_delay_alu instid0(VALU_DEP_2) | instskip(NEXT) | instid1(VALU_DEP_1)
	v_and_b32_e32 v21, v50, v31
	v_cmp_le_i16_e64 s7, v15, v21
	s_and_b32 s6, s6, s7
	s_wait_alu 0xfffe
	s_or_b32 s6, s10, s6
	s_wait_alu 0xfffe
	v_cndmask_b32_e64 v5, v8, v5, s6
	v_lshl_add_u32 v8, v9, 3, v10
	v_cndmask_b32_e64 v48, v48, v50, s6
	s_delay_alu instid0(VALU_DEP_3)
	v_lshl_add_u32 v20, v5, 3, v10
	ds_load_b64 v[4:5], v4 offset:2048
	ds_load_b64 v[8:9], v8 offset:2048
	;; [unrolled: 1-line block ×4, first 2 shown]
.LBB936_39:
	s_wait_alu 0xfffe
	s_or_b32 exec_lo, exec_lo, s12
	v_and_b32_e32 v28, 0x70, v37
	v_and_b32_e32 v29, 12, v37
	s_mov_b32 s4, exec_lo
	; wave barrier
	s_delay_alu instid0(VALU_DEP_2) | instskip(NEXT) | instid1(VALU_DEP_2)
	v_or_b32_e32 v26, 8, v28
	v_min_u32_e32 v29, v16, v29
	ds_store_b16 v11, v49
	s_wait_dscnt 0x4
	ds_store_b64 v25, v[4:5]
	ds_store_b16 v18, v39
	s_wait_dscnt 0x5
	ds_store_b64 v19, v[8:9]
	;; [unrolled: 3-line block ×4, first 2 shown]
	v_min_u32_e32 v26, v16, v26
	; wave barrier
	s_delay_alu instid0(VALU_DEP_1) | instskip(SKIP_1) | instid1(VALU_DEP_2)
	v_add_nc_u32_e32 v27, 8, v26
	v_sub_nc_u32_e32 v35, v26, v28
	v_min_u32_e32 v27, v16, v27
	s_delay_alu instid0(VALU_DEP_2) | instskip(NEXT) | instid1(VALU_DEP_2)
	v_min_u32_e32 v35, v29, v35
	v_sub_nc_u32_e32 v34, v27, v26
	s_delay_alu instid0(VALU_DEP_1) | instskip(NEXT) | instid1(VALU_DEP_1)
	v_sub_nc_u32_e64 v34, v29, v34 clamp
	v_cmpx_lt_u32_e64 v34, v35
	s_cbranch_execz .LBB936_43
; %bb.40:
	v_lshlrev_b32_e32 v50, 1, v28
	v_lshlrev_b32_e32 v51, 1, v26
	s_mov_b32 s5, 0
	s_delay_alu instid0(VALU_DEP_2) | instskip(NEXT) | instid1(VALU_DEP_2)
	v_add_co_u32 v50, null, v12, v50
	v_add_co_u32 v51, null, v12, v51
.LBB936_41:                             ; =>This Inner Loop Header: Depth=1
	v_add_nc_u32_e32 v52, v35, v34
	s_delay_alu instid0(VALU_DEP_1) | instskip(SKIP_1) | instid1(VALU_DEP_2)
	v_lshrrev_b32_e32 v53, 1, v52
	v_and_b32_e32 v52, -2, v52
	v_xad_u32 v54, v53, -1, v29
	s_delay_alu instid0(VALU_DEP_2) | instskip(SKIP_1) | instid1(VALU_DEP_3)
	v_add_nc_u32_e32 v52, v50, v52
	v_add_nc_u32_e32 v55, 1, v53
	v_lshl_add_u32 v54, v54, 1, v51
	ds_load_u16 v52, v52
	ds_load_u16 v54, v54
	s_wait_dscnt 0x1
	v_and_b32_e32 v52, v52, v31
	s_wait_dscnt 0x0
	v_and_b32_e32 v54, v54, v31
	s_delay_alu instid0(VALU_DEP_1) | instskip(SKIP_1) | instid1(VALU_DEP_1)
	v_cmp_gt_i16_e64 s3, v54, v52
	s_wait_alu 0xf1ff
	v_cndmask_b32_e64 v35, v35, v53, s3
	v_cndmask_b32_e64 v34, v55, v34, s3
	s_delay_alu instid0(VALU_DEP_1)
	v_cmp_ge_u32_e64 s3, v34, v35
	s_wait_alu 0xfffe
	s_or_b32 s5, s3, s5
	s_wait_alu 0xfffe
	s_and_not1_b32 exec_lo, exec_lo, s5
	s_cbranch_execnz .LBB936_41
; %bb.42:
	s_or_b32 exec_lo, exec_lo, s5
.LBB936_43:
	s_wait_alu 0xfffe
	s_or_b32 exec_lo, exec_lo, s4
	v_add_nc_u32_e32 v29, v26, v29
	v_add_nc_u32_e32 v35, v34, v28
	s_delay_alu instid0(VALU_DEP_2) | instskip(NEXT) | instid1(VALU_DEP_2)
	v_sub_nc_u32_e32 v29, v29, v34
	v_cmp_le_u32_e64 s3, v35, v26
	s_delay_alu instid0(VALU_DEP_2)
	v_cmp_le_u32_e64 s4, v29, v27
	s_or_b32 s3, s3, s4
	s_wait_alu 0xfffe
	s_and_saveexec_b32 s12, s3
	s_cbranch_execz .LBB936_49
; %bb.44:
	v_cmp_lt_u32_e64 s3, v35, v26
                                        ; implicit-def: $vgpr24
	s_and_saveexec_b32 s4, s3
; %bb.45:
	v_lshl_add_u32 v4, v35, 1, v12
	ds_load_u16 v24, v4
; %bb.46:
	s_wait_alu 0xfffe
	s_or_b32 exec_lo, exec_lo, s4
	v_cmp_ge_u32_e64 s4, v29, v27
	s_mov_b32 s6, exec_lo
                                        ; implicit-def: $vgpr28
	v_cmpx_lt_u32_e64 v29, v27
; %bb.47:
	v_lshl_add_u32 v4, v29, 1, v12
	ds_load_u16 v28, v4
; %bb.48:
	s_wait_alu 0xfffe
	s_or_b32 exec_lo, exec_lo, s6
	s_wait_dscnt 0x0
	v_and_b32_e32 v4, v28, v31
	v_and_b32_e32 v5, v24, v31
	s_delay_alu instid0(VALU_DEP_1)
	v_cmp_le_i16_e64 s5, v4, v5
	s_and_b32 s3, s3, s5
	s_wait_alu 0xfffe
	s_or_b32 s3, s4, s3
	s_wait_alu 0xfffe
	v_cndmask_b32_e64 v4, v29, v35, s3
	v_cndmask_b32_e64 v5, v27, v26, s3
	v_cndmask_b32_e64 v49, v28, v24, s3
	s_delay_alu instid0(VALU_DEP_3) | instskip(NEXT) | instid1(VALU_DEP_3)
	v_add_nc_u32_e32 v8, 1, v4
	v_add_nc_u32_e32 v5, -1, v5
	v_lshl_add_u32 v4, v4, 3, v10
	s_delay_alu instid0(VALU_DEP_2) | instskip(NEXT) | instid1(VALU_DEP_1)
	v_min_u32_e32 v5, v8, v5
	v_lshl_add_u32 v5, v5, 1, v12
	ds_load_u16 v5, v5
	s_wait_dscnt 0x0
	v_cndmask_b32_e64 v34, v5, v28, s3
	v_cndmask_b32_e64 v39, v24, v5, s3
	;; [unrolled: 1-line block ×4, first 2 shown]
	s_delay_alu instid0(VALU_DEP_4) | instskip(NEXT) | instid1(VALU_DEP_4)
	v_and_b32_e32 v9, v34, v31
	v_and_b32_e32 v14, v39, v31
	s_delay_alu instid0(VALU_DEP_4) | instskip(NEXT) | instid1(VALU_DEP_4)
	v_cmp_lt_u32_e64 s4, v5, v26
	v_cmp_ge_u32_e64 s6, v8, v27
	s_delay_alu instid0(VALU_DEP_3)
	v_cmp_le_i16_e64 s5, v9, v14
	s_and_b32 s4, s4, s5
	s_wait_alu 0xfffe
	s_or_b32 s4, s6, s4
	s_wait_alu 0xfffe
	v_cndmask_b32_e64 v9, v8, v5, s4
	v_cndmask_b32_e64 v14, v27, v26, s4
	s_delay_alu instid0(VALU_DEP_2) | instskip(NEXT) | instid1(VALU_DEP_2)
	v_add_nc_u32_e32 v15, 1, v9
	v_add_nc_u32_e32 v14, -1, v14
	s_delay_alu instid0(VALU_DEP_2) | instskip(NEXT) | instid1(VALU_DEP_2)
	v_cndmask_b32_e64 v5, v5, v15, s4
	v_min_u32_e32 v14, v15, v14
	v_cndmask_b32_e64 v8, v15, v8, s4
	s_delay_alu instid0(VALU_DEP_3) | instskip(NEXT) | instid1(VALU_DEP_3)
	v_cmp_lt_u32_e64 s5, v5, v26
	v_lshl_add_u32 v14, v14, 1, v12
	s_delay_alu instid0(VALU_DEP_3)
	v_cmp_ge_u32_e64 s7, v8, v27
	ds_load_u16 v14, v14
	s_wait_dscnt 0x0
	v_cndmask_b32_e64 v29, v14, v34, s4
	v_cndmask_b32_e64 v35, v39, v14, s4
	v_cndmask_b32_e64 v39, v34, v39, s4
	s_delay_alu instid0(VALU_DEP_3) | instskip(NEXT) | instid1(VALU_DEP_3)
	v_and_b32_e32 v14, v29, v31
	v_and_b32_e32 v20, v35, v31
	s_delay_alu instid0(VALU_DEP_1)
	v_cmp_le_i16_e64 s6, v14, v20
	s_and_b32 s5, s5, s6
	s_wait_alu 0xfffe
	s_or_b32 s5, s7, s5
	s_wait_alu 0xfffe
	v_cndmask_b32_e64 v14, v8, v5, s5
	v_cndmask_b32_e64 v15, v27, v26, s5
	;; [unrolled: 1-line block ×3, first 2 shown]
	s_delay_alu instid0(VALU_DEP_3) | instskip(NEXT) | instid1(VALU_DEP_3)
	v_add_nc_u32_e32 v20, 1, v14
	v_add_nc_u32_e32 v15, -1, v15
	v_lshl_add_u32 v14, v14, 3, v10
	s_delay_alu instid0(VALU_DEP_3) | instskip(NEXT) | instid1(VALU_DEP_3)
	v_cndmask_b32_e64 v5, v5, v20, s5
	v_min_u32_e32 v15, v20, v15
	v_cndmask_b32_e64 v8, v20, v8, s5
	s_delay_alu instid0(VALU_DEP_3) | instskip(NEXT) | instid1(VALU_DEP_3)
	v_cmp_lt_u32_e64 s6, v5, v26
	v_lshl_add_u32 v15, v15, 1, v12
	s_delay_alu instid0(VALU_DEP_3) | instskip(SKIP_4) | instid1(VALU_DEP_2)
	v_cmp_ge_u32_e64 s10, v8, v27
	ds_load_u16 v15, v15
	s_wait_dscnt 0x0
	v_cndmask_b32_e64 v48, v15, v29, s5
	v_cndmask_b32_e64 v50, v35, v15, s5
	v_and_b32_e32 v15, v48, v31
	s_delay_alu instid0(VALU_DEP_2) | instskip(NEXT) | instid1(VALU_DEP_1)
	v_and_b32_e32 v21, v50, v31
	v_cmp_le_i16_e64 s7, v15, v21
	s_and_b32 s6, s6, s7
	s_wait_alu 0xfffe
	s_or_b32 s6, s10, s6
	s_wait_alu 0xfffe
	v_cndmask_b32_e64 v5, v8, v5, s6
	v_lshl_add_u32 v8, v9, 3, v10
	v_cndmask_b32_e64 v48, v48, v50, s6
	s_delay_alu instid0(VALU_DEP_3)
	v_lshl_add_u32 v20, v5, 3, v10
	ds_load_b64 v[4:5], v4 offset:2048
	ds_load_b64 v[8:9], v8 offset:2048
	;; [unrolled: 1-line block ×4, first 2 shown]
.LBB936_49:
	s_wait_alu 0xfffe
	s_or_b32 exec_lo, exec_lo, s12
	v_and_b32_e32 v28, 0x60, v37
	; wave barrier
	ds_store_b16 v11, v49
	s_wait_dscnt 0x4
	ds_store_b64 v25, v[4:5]
	s_mov_b32 s4, exec_lo
	v_or_b32_e32 v26, 16, v28
	ds_store_b16 v18, v39
	s_wait_dscnt 0x5
	ds_store_b64 v19, v[8:9]
	ds_store_b16 v22, v24
	s_wait_dscnt 0x6
	ds_store_b64 v23, v[14:15]
	;; [unrolled: 3-line block ×3, first 2 shown]
	; wave barrier
	v_min_u32_e32 v26, v16, v26
	s_delay_alu instid0(VALU_DEP_1) | instskip(SKIP_1) | instid1(VALU_DEP_2)
	v_add_nc_u32_e32 v27, 16, v26
	v_sub_nc_u32_e32 v34, v26, v28
	v_min_u32_e32 v27, v16, v27
	v_min_u32_e32 v16, v16, v38
	s_delay_alu instid0(VALU_DEP_2) | instskip(NEXT) | instid1(VALU_DEP_2)
	v_sub_nc_u32_e32 v29, v27, v26
	v_min_u32_e32 v25, v16, v34
	s_delay_alu instid0(VALU_DEP_2) | instskip(NEXT) | instid1(VALU_DEP_1)
	v_sub_nc_u32_e64 v11, v16, v29 clamp
	v_cmpx_lt_u32_e64 v11, v25
	s_cbranch_execz .LBB936_53
; %bb.50:
	v_lshlrev_b32_e32 v13, 1, v28
	v_lshlrev_b32_e32 v17, 1, v26
	s_mov_b32 s5, 0
	s_delay_alu instid0(VALU_DEP_2) | instskip(NEXT) | instid1(VALU_DEP_2)
	v_add_co_u32 v13, null, v12, v13
	v_add_co_u32 v17, null, v12, v17
.LBB936_51:                             ; =>This Inner Loop Header: Depth=1
	v_add_nc_u32_e32 v18, v25, v11
	s_delay_alu instid0(VALU_DEP_1) | instskip(SKIP_1) | instid1(VALU_DEP_2)
	v_lshrrev_b32_e32 v19, 1, v18
	v_and_b32_e32 v18, -2, v18
	v_xad_u32 v22, v19, -1, v16
	s_delay_alu instid0(VALU_DEP_2) | instskip(SKIP_1) | instid1(VALU_DEP_3)
	v_add_nc_u32_e32 v18, v13, v18
	v_add_nc_u32_e32 v23, 1, v19
	v_lshl_add_u32 v22, v22, 1, v17
	ds_load_u16 v18, v18
	ds_load_u16 v22, v22
	s_wait_dscnt 0x1
	v_and_b32_e32 v18, v18, v31
	s_wait_dscnt 0x0
	v_and_b32_e32 v22, v22, v31
	s_delay_alu instid0(VALU_DEP_1) | instskip(SKIP_1) | instid1(VALU_DEP_1)
	v_cmp_gt_i16_e64 s3, v22, v18
	s_wait_alu 0xf1ff
	v_cndmask_b32_e64 v25, v25, v19, s3
	v_cndmask_b32_e64 v11, v23, v11, s3
	s_delay_alu instid0(VALU_DEP_1)
	v_cmp_ge_u32_e64 s3, v11, v25
	s_wait_alu 0xfffe
	s_or_b32 s5, s3, s5
	s_wait_alu 0xfffe
	s_and_not1_b32 exec_lo, exec_lo, s5
	s_cbranch_execnz .LBB936_51
; %bb.52:
	s_or_b32 exec_lo, exec_lo, s5
.LBB936_53:
	s_wait_alu 0xfffe
	s_or_b32 exec_lo, exec_lo, s4
	v_add_nc_u32_e32 v13, v26, v16
	v_add_nc_u32_e32 v17, v11, v28
	s_delay_alu instid0(VALU_DEP_2) | instskip(NEXT) | instid1(VALU_DEP_2)
	v_sub_nc_u32_e32 v16, v13, v11
	v_cmp_le_u32_e64 s3, v17, v26
	s_delay_alu instid0(VALU_DEP_2)
	v_cmp_le_u32_e64 s4, v16, v27
	s_or_b32 s3, s3, s4
	s_wait_alu 0xfffe
	s_and_saveexec_b32 s12, s3
	s_cbranch_execz .LBB936_59
; %bb.54:
	v_cmp_lt_u32_e64 s3, v17, v26
                                        ; implicit-def: $vgpr11
	s_and_saveexec_b32 s4, s3
; %bb.55:
	v_lshl_add_u32 v4, v17, 1, v12
	ds_load_u16 v11, v4
; %bb.56:
	s_wait_alu 0xfffe
	s_or_b32 exec_lo, exec_lo, s4
	v_cmp_ge_u32_e64 s4, v16, v27
	s_mov_b32 s6, exec_lo
                                        ; implicit-def: $vgpr13
	v_cmpx_lt_u32_e64 v16, v27
; %bb.57:
	v_lshl_add_u32 v4, v16, 1, v12
	ds_load_u16 v13, v4
; %bb.58:
	s_wait_alu 0xfffe
	s_or_b32 exec_lo, exec_lo, s6
	s_wait_dscnt 0x0
	v_and_b32_e32 v4, v13, v31
	v_and_b32_e32 v5, v11, v31
	s_delay_alu instid0(VALU_DEP_1)
	v_cmp_le_i16_e64 s5, v4, v5
	s_and_b32 s3, s3, s5
	s_wait_alu 0xfffe
	s_or_b32 s3, s4, s3
	s_wait_alu 0xfffe
	v_cndmask_b32_e64 v4, v16, v17, s3
	v_cndmask_b32_e64 v5, v27, v26, s3
	;; [unrolled: 1-line block ×3, first 2 shown]
	s_delay_alu instid0(VALU_DEP_3) | instskip(NEXT) | instid1(VALU_DEP_3)
	v_add_nc_u32_e32 v8, 1, v4
	v_add_nc_u32_e32 v5, -1, v5
	v_lshl_add_u32 v4, v4, 3, v10
	s_delay_alu instid0(VALU_DEP_2) | instskip(NEXT) | instid1(VALU_DEP_1)
	v_min_u32_e32 v5, v8, v5
	v_lshl_add_u32 v5, v5, 1, v12
	ds_load_u16 v5, v5
	s_wait_dscnt 0x0
	v_cndmask_b32_e64 v18, v5, v13, s3
	v_cndmask_b32_e64 v19, v11, v5, s3
	;; [unrolled: 1-line block ×4, first 2 shown]
	s_delay_alu instid0(VALU_DEP_4) | instskip(NEXT) | instid1(VALU_DEP_4)
	v_and_b32_e32 v9, v18, v31
	v_and_b32_e32 v14, v19, v31
	s_delay_alu instid0(VALU_DEP_4) | instskip(NEXT) | instid1(VALU_DEP_4)
	v_cmp_lt_u32_e64 s4, v5, v26
	v_cmp_ge_u32_e64 s6, v8, v27
	s_delay_alu instid0(VALU_DEP_3)
	v_cmp_le_i16_e64 s5, v9, v14
	s_and_b32 s4, s4, s5
	s_wait_alu 0xfffe
	s_or_b32 s4, s6, s4
	s_wait_alu 0xfffe
	v_cndmask_b32_e64 v9, v8, v5, s4
	v_cndmask_b32_e64 v14, v27, v26, s4
	;; [unrolled: 1-line block ×3, first 2 shown]
	s_delay_alu instid0(VALU_DEP_3) | instskip(NEXT) | instid1(VALU_DEP_3)
	v_add_nc_u32_e32 v15, 1, v9
	v_add_nc_u32_e32 v14, -1, v14
	s_delay_alu instid0(VALU_DEP_2) | instskip(NEXT) | instid1(VALU_DEP_2)
	v_cndmask_b32_e64 v5, v5, v15, s4
	v_min_u32_e32 v14, v15, v14
	v_cndmask_b32_e64 v8, v15, v8, s4
	s_delay_alu instid0(VALU_DEP_3) | instskip(NEXT) | instid1(VALU_DEP_3)
	v_cmp_lt_u32_e64 s5, v5, v26
	v_lshl_add_u32 v14, v14, 1, v12
	s_delay_alu instid0(VALU_DEP_3) | instskip(SKIP_4) | instid1(VALU_DEP_2)
	v_cmp_ge_u32_e64 s7, v8, v27
	ds_load_u16 v14, v14
	s_wait_dscnt 0x0
	v_cndmask_b32_e64 v16, v14, v18, s4
	v_cndmask_b32_e64 v17, v19, v14, s4
	v_and_b32_e32 v14, v16, v31
	s_delay_alu instid0(VALU_DEP_2) | instskip(NEXT) | instid1(VALU_DEP_1)
	v_and_b32_e32 v20, v17, v31
	v_cmp_le_i16_e64 s6, v14, v20
	s_and_b32 s5, s5, s6
	s_wait_alu 0xfffe
	s_or_b32 s5, s7, s5
	s_wait_alu 0xfffe
	v_cndmask_b32_e64 v14, v8, v5, s5
	v_cndmask_b32_e64 v15, v27, v26, s5
	;; [unrolled: 1-line block ×3, first 2 shown]
	s_delay_alu instid0(VALU_DEP_3) | instskip(NEXT) | instid1(VALU_DEP_3)
	v_add_nc_u32_e32 v20, 1, v14
	v_add_nc_u32_e32 v15, -1, v15
	v_lshl_add_u32 v14, v14, 3, v10
	s_delay_alu instid0(VALU_DEP_3) | instskip(NEXT) | instid1(VALU_DEP_3)
	v_cndmask_b32_e64 v5, v5, v20, s5
	v_min_u32_e32 v15, v20, v15
	v_cndmask_b32_e64 v8, v20, v8, s5
	s_delay_alu instid0(VALU_DEP_3) | instskip(NEXT) | instid1(VALU_DEP_3)
	v_cmp_lt_u32_e64 s6, v5, v26
	v_lshl_add_u32 v12, v15, 1, v12
	s_delay_alu instid0(VALU_DEP_3) | instskip(SKIP_4) | instid1(VALU_DEP_2)
	v_cmp_ge_u32_e64 s10, v8, v27
	ds_load_u16 v12, v12
	s_wait_dscnt 0x0
	v_cndmask_b32_e64 v22, v12, v16, s5
	v_cndmask_b32_e64 v12, v17, v12, s5
	v_and_b32_e32 v15, v22, v31
	s_delay_alu instid0(VALU_DEP_2) | instskip(NEXT) | instid1(VALU_DEP_1)
	v_and_b32_e32 v21, v12, v31
	v_cmp_le_i16_e64 s7, v15, v21
	s_and_b32 s6, s6, s7
	s_wait_alu 0xfffe
	s_or_b32 s6, s10, s6
	s_wait_alu 0xfffe
	v_cndmask_b32_e64 v5, v8, v5, s6
	v_lshl_add_u32 v8, v9, 3, v10
	v_cndmask_b32_e64 v48, v22, v12, s6
	s_delay_alu instid0(VALU_DEP_3)
	v_lshl_add_u32 v10, v5, 3, v10
	ds_load_b64 v[4:5], v4 offset:2048
	ds_load_b64 v[8:9], v8 offset:2048
	;; [unrolled: 1-line block ×4, first 2 shown]
.LBB936_59:
	s_wait_alu 0xfffe
	s_or_b32 exec_lo, exec_lo, s12
	; wave barrier
	s_wait_storecnt_dscnt 0x0
	s_barrier_signal -1
	s_barrier_wait -1
                                        ; implicit-def: $vgpr37
                                        ; implicit-def: $vgpr12
                                        ; implicit-def: $vgpr13
                                        ; implicit-def: $vgpr38
                                        ; implicit-def: $vgpr17
                                        ; implicit-def: $vgpr25
                                        ; implicit-def: $vgpr16
                                        ; implicit-def: $vgpr34_vgpr35
                                        ; implicit-def: $vgpr22_vgpr23
                                        ; implicit-def: $vgpr18_vgpr19
.LBB936_60:
	s_wait_alu 0xfffe
	s_and_not1_saveexec_b32 s10, s11
	s_cbranch_execz .LBB936_96
; %bb.61:
	s_load_b64 s[4:5], s[8:9], 0x0
	s_and_b32 s3, ttmp7, 0xffff
	s_mov_b32 s7, 0
	s_wait_kmcnt 0x0
	s_wait_alu 0xfffe
	s_cmp_lt_u32 s3, s5
	s_cselect_b32 s6, 14, 20
	s_cmp_lt_u32 ttmp9, s4
	s_wait_alu 0xfffe
	s_add_nc_u64 s[12:13], s[8:9], s[6:7]
	s_cselect_b32 s6, 12, 18
	s_load_u16 s3, s[12:13], 0x0
	s_add_nc_u64 s[4:5], s[8:9], s[6:7]
	s_mov_b32 s6, exec_lo
	s_load_u16 s4, s[4:5], 0x0
	s_wait_kmcnt 0x0
	v_mad_u32_u24 v10, v25, s3, v17
	s_delay_alu instid0(VALU_DEP_1) | instskip(NEXT) | instid1(VALU_DEP_1)
	v_mul_lo_u32 v10, v10, s4
	v_add_lshl_u32 v10, v10, v16, 2
	s_delay_alu instid0(VALU_DEP_1)
	v_cmpx_gt_u32_e32 0x400, v10
	s_cbranch_execz .LBB936_65
; %bb.62:
	s_wait_loadcnt_dscnt 0x0
	v_cmp_gt_i16_e64 s3, v39, v49
	v_min_i16 v8, v39, v49
	v_cmp_gt_i16_e64 s4, v48, v24
	v_max_i16 v15, v48, v24
	v_min_i16 v16, v48, v24
	v_max_i16 v11, v39, v49
	s_wait_alu 0xf1ff
	v_cndmask_b32_e64 v14, v4, v18, s3
	v_cndmask_b32_e64 v9, v5, v19, s3
	;; [unrolled: 1-line block ×7, first 2 shown]
	v_cmp_gt_i16_e64 s5, v15, v8
	v_cndmask_b32_e64 v22, v35, v23, s4
	v_min_i16 v18, v15, v8
	v_cmp_lt_i16_e64 s4, v8, v16
	v_max_i16 v17, v15, v8
	s_wait_alu 0xf1ff
	v_cndmask_b32_e64 v23, v20, v4, s5
	v_cndmask_b32_e64 v21, v5, v19, s5
	v_cmp_gt_i16_e64 s3, v15, v11
	v_cndmask_b32_e64 v15, v4, v20, s5
	v_cndmask_b32_e64 v24, v19, v5, s5
	;; [unrolled: 1-line block ×4, first 2 shown]
	s_wait_alu 0xf1ff
	v_cndmask_b32_e64 v39, v17, v11, s3
	v_cndmask_b32_e64 v5, v9, v21, s3
	;; [unrolled: 1-line block ×8, first 2 shown]
	v_mov_b32_e32 v24, v19
	s_mov_b32 s7, exec_lo
	v_cmpx_gt_i16_e64 v19, v39
; %bb.63:
	s_delay_alu instid0(VALU_DEP_3) | instskip(SKIP_2) | instid1(VALU_DEP_3)
	v_dual_mov_b32 v23, v15 :: v_dual_mov_b32 v22, v14
	v_dual_mov_b32 v15, v9 :: v_dual_mov_b32 v14, v8
	;; [unrolled: 1-line block ×4, first 2 shown]
; %bb.64:
	s_wait_alu 0xfffe
	s_or_b32 exec_lo, exec_lo, s7
	v_cndmask_b32_e64 v49, v11, v17, s3
	v_cndmask_b32_e64 v48, v16, v18, s4
.LBB936_65:
	s_or_b32 exec_lo, exec_lo, s6
	v_dual_mov_b32 v11, 0 :: v_dual_and_b32 v10, 0xffffff80, v10
	v_or_b32_e32 v19, 4, v37
	v_and_b32_e32 v28, 0x78, v37
	s_mov_b32 s4, exec_lo
	s_delay_alu instid0(VALU_DEP_3) | instskip(SKIP_1) | instid1(VALU_DEP_2)
	v_sub_nc_u32_e64 v16, 0x400, v10 clamp
	v_lshlrev_b64_e32 v[17:18], 1, v[10:11]
	v_min_u32_e32 v26, v16, v19
	s_delay_alu instid0(VALU_DEP_2) | instskip(SKIP_1) | instid1(VALU_DEP_3)
	v_add_co_u32 v12, s3, v12, v17
	s_wait_alu 0xf1ff
	v_add_co_ci_u32_e64 v13, null, v13, v18, s3
	s_delay_alu instid0(VALU_DEP_3) | instskip(NEXT) | instid1(VALU_DEP_2)
	v_add_nc_u32_e32 v17, 4, v26
	v_mad_co_u64_u32 v[10:11], null, v10, 6, v[12:13]
	v_and_b32_e32 v11, 4, v37
	s_delay_alu instid0(VALU_DEP_3) | instskip(NEXT) | instid1(VALU_DEP_2)
	v_min_u32_e32 v27, v16, v17
	v_min_u32_e32 v29, v16, v11
	v_sub_nc_u32_e32 v11, v26, v28
	v_lshl_add_u32 v17, v37, 3, v10
	s_delay_alu instid0(VALU_DEP_4) | instskip(NEXT) | instid1(VALU_DEP_3)
	v_sub_nc_u32_e32 v18, v27, v26
	v_min_u32_e32 v13, v29, v11
	s_delay_alu instid0(VALU_DEP_3) | instskip(NEXT) | instid1(VALU_DEP_3)
	v_add_nc_u32_e32 v19, 0x800, v17
	v_sub_nc_u32_e64 v31, v29, v18 clamp
	v_lshl_add_u32 v11, v37, 1, v12
	s_wait_loadcnt_dscnt 0x0
	ds_store_2addr_b64 v19, v[4:5], v[8:9] offset1:1
	ds_store_b16 v11, v49
	ds_store_b16 v11, v39 offset:2
	ds_store_b16 v11, v24 offset:4
	;; [unrolled: 1-line block ×3, first 2 shown]
	ds_store_2addr_b64 v19, v[14:15], v[20:21] offset0:2 offset1:3
	; wave barrier
	v_cmpx_lt_u32_e64 v31, v13
	s_cbranch_execz .LBB936_69
; %bb.66:
	v_lshlrev_b32_e32 v18, 1, v28
	v_lshlrev_b32_e32 v19, 1, v26
	s_mov_b32 s5, 0
	s_delay_alu instid0(VALU_DEP_2) | instskip(NEXT) | instid1(VALU_DEP_2)
	v_add_co_u32 v18, null, v12, v18
	v_add_co_u32 v19, null, v12, v19
.LBB936_67:                             ; =>This Inner Loop Header: Depth=1
	v_add_nc_u32_e32 v22, v13, v31
	s_delay_alu instid0(VALU_DEP_1) | instskip(SKIP_1) | instid1(VALU_DEP_2)
	v_lshrrev_b32_e32 v23, 1, v22
	v_and_b32_e32 v22, -2, v22
	v_xad_u32 v25, v23, -1, v29
	s_delay_alu instid0(VALU_DEP_2) | instskip(SKIP_1) | instid1(VALU_DEP_3)
	v_add_nc_u32_e32 v22, v18, v22
	v_add_nc_u32_e32 v34, 1, v23
	v_lshl_add_u32 v25, v25, 1, v19
	ds_load_u16 v22, v22
	ds_load_u16 v25, v25
	s_wait_dscnt 0x0
	v_cmp_gt_i16_e64 s3, v25, v22
	s_wait_alu 0xf1ff
	s_delay_alu instid0(VALU_DEP_1) | instskip(SKIP_1) | instid1(VALU_DEP_1)
	v_cndmask_b32_e64 v13, v13, v23, s3
	v_cndmask_b32_e64 v31, v34, v31, s3
	v_cmp_ge_u32_e64 s3, v31, v13
	s_wait_alu 0xfffe
	s_or_b32 s5, s3, s5
	s_wait_alu 0xfffe
	s_and_not1_b32 exec_lo, exec_lo, s5
	s_cbranch_execnz .LBB936_67
; %bb.68:
	s_or_b32 exec_lo, exec_lo, s5
.LBB936_69:
	s_wait_alu 0xfffe
	s_or_b32 exec_lo, exec_lo, s4
	v_add_nc_u32_e32 v29, v26, v29
	v_add_nc_u32_e32 v34, v31, v28
	;; [unrolled: 1-line block ×5, first 2 shown]
	v_sub_nc_u32_e32 v29, v29, v31
	v_cmp_le_u32_e64 s3, v34, v26
	v_add_nc_u32_e32 v22, 4, v11
	v_add_nc_u32_e32 v23, 0x810, v17
	;; [unrolled: 1-line block ×3, first 2 shown]
	v_cmp_le_u32_e64 s4, v29, v27
	v_add_nc_u32_e32 v17, 0x818, v17
	s_or_b32 s3, s3, s4
	s_wait_alu 0xfffe
	s_and_saveexec_b32 s9, s3
	s_cbranch_execz .LBB936_75
; %bb.70:
	v_cmp_lt_u32_e64 s3, v34, v26
                                        ; implicit-def: $vgpr24
	s_and_saveexec_b32 s4, s3
; %bb.71:
	v_lshl_add_u32 v4, v34, 1, v12
	ds_load_u16 v24, v4
; %bb.72:
	s_wait_alu 0xfffe
	s_or_b32 exec_lo, exec_lo, s4
	v_cmp_ge_u32_e64 s4, v29, v27
	s_mov_b32 s6, exec_lo
                                        ; implicit-def: $vgpr28
	v_cmpx_lt_u32_e64 v29, v27
; %bb.73:
	v_lshl_add_u32 v4, v29, 1, v12
	ds_load_u16 v28, v4
; %bb.74:
	s_wait_alu 0xfffe
	s_or_b32 exec_lo, exec_lo, s6
	s_wait_dscnt 0x0
	v_cmp_le_i16_e64 s5, v28, v24
	s_and_b32 s3, s3, s5
	s_wait_alu 0xfffe
	s_or_b32 s3, s4, s3
	s_wait_alu 0xfffe
	v_cndmask_b32_e64 v4, v29, v34, s3
	v_cndmask_b32_e64 v5, v27, v26, s3
	v_cndmask_b32_e64 v49, v28, v24, s3
	s_delay_alu instid0(VALU_DEP_3) | instskip(NEXT) | instid1(VALU_DEP_3)
	v_add_nc_u32_e32 v8, 1, v4
	v_add_nc_u32_e32 v5, -1, v5
	v_lshl_add_u32 v4, v4, 3, v10
	s_delay_alu instid0(VALU_DEP_3) | instskip(NEXT) | instid1(VALU_DEP_3)
	v_cndmask_b32_e64 v9, v34, v8, s3
	v_min_u32_e32 v5, v8, v5
	s_delay_alu instid0(VALU_DEP_2) | instskip(NEXT) | instid1(VALU_DEP_2)
	v_cmp_lt_u32_e64 s4, v9, v26
	v_lshl_add_u32 v5, v5, 1, v12
	ds_load_u16 v5, v5
	s_wait_dscnt 0x0
	v_cndmask_b32_e64 v31, v5, v28, s3
	v_cndmask_b32_e64 v34, v24, v5, s3
	;; [unrolled: 1-line block ×3, first 2 shown]
	s_delay_alu instid0(VALU_DEP_2) | instskip(NEXT) | instid1(VALU_DEP_2)
	v_cmp_le_i16_e64 s5, v31, v34
	v_cmp_ge_u32_e64 s6, v5, v27
	s_and_b32 s4, s4, s5
	s_wait_alu 0xfffe
	s_or_b32 s4, s6, s4
	s_wait_alu 0xfffe
	v_cndmask_b32_e64 v8, v5, v9, s4
	v_cndmask_b32_e64 v14, v27, v26, s4
	;; [unrolled: 1-line block ×3, first 2 shown]
	s_delay_alu instid0(VALU_DEP_3) | instskip(NEXT) | instid1(VALU_DEP_3)
	v_add_nc_u32_e32 v15, 1, v8
	v_add_nc_u32_e32 v14, -1, v14
	v_lshl_add_u32 v8, v8, 3, v10
	s_delay_alu instid0(VALU_DEP_3) | instskip(NEXT) | instid1(VALU_DEP_3)
	v_cndmask_b32_e64 v9, v9, v15, s4
	v_min_u32_e32 v14, v15, v14
	v_cndmask_b32_e64 v5, v15, v5, s4
	s_delay_alu instid0(VALU_DEP_3) | instskip(NEXT) | instid1(VALU_DEP_3)
	v_cmp_lt_u32_e64 s5, v9, v26
	v_lshl_add_u32 v14, v14, 1, v12
	s_delay_alu instid0(VALU_DEP_3) | instskip(SKIP_4) | instid1(VALU_DEP_1)
	v_cmp_ge_u32_e64 s7, v5, v27
	ds_load_u16 v14, v14
	s_wait_dscnt 0x0
	v_cndmask_b32_e64 v29, v14, v31, s4
	v_cndmask_b32_e64 v35, v34, v14, s4
	v_cmp_le_i16_e64 s6, v29, v35
	s_and_b32 s5, s5, s6
	s_wait_alu 0xfffe
	s_or_b32 s5, s7, s5
	s_wait_alu 0xfffe
	v_cndmask_b32_e64 v14, v5, v9, s5
	v_cndmask_b32_e64 v15, v27, v26, s5
	;; [unrolled: 1-line block ×3, first 2 shown]
	s_delay_alu instid0(VALU_DEP_3) | instskip(NEXT) | instid1(VALU_DEP_3)
	v_add_nc_u32_e32 v20, 1, v14
	v_add_nc_u32_e32 v15, -1, v15
	v_lshl_add_u32 v14, v14, 3, v10
	s_delay_alu instid0(VALU_DEP_3) | instskip(NEXT) | instid1(VALU_DEP_3)
	v_cndmask_b32_e64 v9, v9, v20, s5
	v_min_u32_e32 v15, v20, v15
	v_cndmask_b32_e64 v5, v20, v5, s5
	s_delay_alu instid0(VALU_DEP_3) | instskip(NEXT) | instid1(VALU_DEP_3)
	v_cmp_lt_u32_e64 s6, v9, v26
	v_lshl_add_u32 v15, v15, 1, v12
	s_delay_alu instid0(VALU_DEP_3) | instskip(SKIP_4) | instid1(VALU_DEP_1)
	v_cmp_ge_u32_e64 s8, v5, v27
	ds_load_u16 v15, v15
	s_wait_dscnt 0x0
	v_cndmask_b32_e64 v48, v15, v29, s5
	v_cndmask_b32_e64 v50, v35, v15, s5
	v_cmp_le_i16_e64 s7, v48, v50
	s_and_b32 s6, s6, s7
	s_wait_alu 0xfffe
	s_or_b32 s6, s8, s6
	s_wait_alu 0xfffe
	v_cndmask_b32_e64 v5, v5, v9, s6
	v_cndmask_b32_e64 v48, v48, v50, s6
	s_delay_alu instid0(VALU_DEP_2)
	v_lshl_add_u32 v20, v5, 3, v10
	ds_load_b64 v[4:5], v4 offset:2048
	ds_load_b64 v[8:9], v8 offset:2048
	;; [unrolled: 1-line block ×4, first 2 shown]
.LBB936_75:
	s_wait_alu 0xfffe
	s_or_b32 exec_lo, exec_lo, s9
	v_and_b32_e32 v28, 0x70, v37
	v_and_b32_e32 v29, 12, v37
	s_mov_b32 s4, exec_lo
	; wave barrier
	s_delay_alu instid0(VALU_DEP_2) | instskip(NEXT) | instid1(VALU_DEP_2)
	v_or_b32_e32 v26, 8, v28
	v_min_u32_e32 v29, v16, v29
	ds_store_b16 v11, v49
	s_wait_dscnt 0x4
	ds_store_b64 v25, v[4:5]
	ds_store_b16 v18, v39
	s_wait_dscnt 0x5
	ds_store_b64 v19, v[8:9]
	;; [unrolled: 3-line block ×4, first 2 shown]
	v_min_u32_e32 v26, v16, v26
	; wave barrier
	s_delay_alu instid0(VALU_DEP_1) | instskip(SKIP_1) | instid1(VALU_DEP_2)
	v_add_nc_u32_e32 v27, 8, v26
	v_sub_nc_u32_e32 v34, v26, v28
	v_min_u32_e32 v27, v16, v27
	s_delay_alu instid0(VALU_DEP_2) | instskip(NEXT) | instid1(VALU_DEP_2)
	v_min_u32_e32 v34, v29, v34
	v_sub_nc_u32_e32 v31, v27, v26
	s_delay_alu instid0(VALU_DEP_1) | instskip(NEXT) | instid1(VALU_DEP_1)
	v_sub_nc_u32_e64 v31, v29, v31 clamp
	v_cmpx_lt_u32_e64 v31, v34
	s_cbranch_execz .LBB936_79
; %bb.76:
	v_lshlrev_b32_e32 v35, 1, v28
	v_lshlrev_b32_e32 v50, 1, v26
	s_mov_b32 s5, 0
	s_delay_alu instid0(VALU_DEP_2) | instskip(NEXT) | instid1(VALU_DEP_2)
	v_add_co_u32 v35, null, v12, v35
	v_add_co_u32 v50, null, v12, v50
.LBB936_77:                             ; =>This Inner Loop Header: Depth=1
	v_add_nc_u32_e32 v51, v34, v31
	s_delay_alu instid0(VALU_DEP_1) | instskip(SKIP_1) | instid1(VALU_DEP_2)
	v_lshrrev_b32_e32 v52, 1, v51
	v_and_b32_e32 v51, -2, v51
	v_xad_u32 v53, v52, -1, v29
	s_delay_alu instid0(VALU_DEP_2) | instskip(SKIP_1) | instid1(VALU_DEP_3)
	v_add_nc_u32_e32 v51, v35, v51
	v_add_nc_u32_e32 v54, 1, v52
	v_lshl_add_u32 v53, v53, 1, v50
	ds_load_u16 v51, v51
	ds_load_u16 v53, v53
	s_wait_dscnt 0x0
	v_cmp_gt_i16_e64 s3, v53, v51
	s_wait_alu 0xf1ff
	s_delay_alu instid0(VALU_DEP_1) | instskip(SKIP_1) | instid1(VALU_DEP_1)
	v_cndmask_b32_e64 v34, v34, v52, s3
	v_cndmask_b32_e64 v31, v54, v31, s3
	v_cmp_ge_u32_e64 s3, v31, v34
	s_wait_alu 0xfffe
	s_or_b32 s5, s3, s5
	s_wait_alu 0xfffe
	s_and_not1_b32 exec_lo, exec_lo, s5
	s_cbranch_execnz .LBB936_77
; %bb.78:
	s_or_b32 exec_lo, exec_lo, s5
.LBB936_79:
	s_wait_alu 0xfffe
	s_or_b32 exec_lo, exec_lo, s4
	v_add_nc_u32_e32 v29, v26, v29
	v_add_nc_u32_e32 v34, v31, v28
	s_delay_alu instid0(VALU_DEP_2) | instskip(NEXT) | instid1(VALU_DEP_2)
	v_sub_nc_u32_e32 v29, v29, v31
	v_cmp_le_u32_e64 s3, v34, v26
	s_delay_alu instid0(VALU_DEP_2)
	v_cmp_le_u32_e64 s4, v29, v27
	s_or_b32 s3, s3, s4
	s_wait_alu 0xfffe
	s_and_saveexec_b32 s9, s3
	s_cbranch_execz .LBB936_85
; %bb.80:
	v_cmp_lt_u32_e64 s3, v34, v26
                                        ; implicit-def: $vgpr24
	s_and_saveexec_b32 s4, s3
; %bb.81:
	v_lshl_add_u32 v4, v34, 1, v12
	ds_load_u16 v24, v4
; %bb.82:
	s_wait_alu 0xfffe
	s_or_b32 exec_lo, exec_lo, s4
	v_cmp_ge_u32_e64 s4, v29, v27
	s_mov_b32 s6, exec_lo
                                        ; implicit-def: $vgpr28
	v_cmpx_lt_u32_e64 v29, v27
; %bb.83:
	v_lshl_add_u32 v4, v29, 1, v12
	ds_load_u16 v28, v4
; %bb.84:
	s_wait_alu 0xfffe
	s_or_b32 exec_lo, exec_lo, s6
	s_wait_dscnt 0x0
	v_cmp_le_i16_e64 s5, v28, v24
	s_and_b32 s3, s3, s5
	s_wait_alu 0xfffe
	s_or_b32 s3, s4, s3
	s_wait_alu 0xfffe
	v_cndmask_b32_e64 v4, v29, v34, s3
	v_cndmask_b32_e64 v5, v27, v26, s3
	;; [unrolled: 1-line block ×3, first 2 shown]
	s_delay_alu instid0(VALU_DEP_3) | instskip(NEXT) | instid1(VALU_DEP_3)
	v_add_nc_u32_e32 v8, 1, v4
	v_add_nc_u32_e32 v5, -1, v5
	v_lshl_add_u32 v4, v4, 3, v10
	s_delay_alu instid0(VALU_DEP_3) | instskip(NEXT) | instid1(VALU_DEP_3)
	v_cndmask_b32_e64 v9, v34, v8, s3
	v_min_u32_e32 v5, v8, v5
	s_delay_alu instid0(VALU_DEP_2) | instskip(NEXT) | instid1(VALU_DEP_2)
	v_cmp_lt_u32_e64 s4, v9, v26
	v_lshl_add_u32 v5, v5, 1, v12
	ds_load_u16 v5, v5
	s_wait_dscnt 0x0
	v_cndmask_b32_e64 v31, v5, v28, s3
	v_cndmask_b32_e64 v34, v24, v5, s3
	;; [unrolled: 1-line block ×3, first 2 shown]
	s_delay_alu instid0(VALU_DEP_2) | instskip(NEXT) | instid1(VALU_DEP_2)
	v_cmp_le_i16_e64 s5, v31, v34
	v_cmp_ge_u32_e64 s6, v5, v27
	s_and_b32 s4, s4, s5
	s_wait_alu 0xfffe
	s_or_b32 s4, s6, s4
	s_wait_alu 0xfffe
	v_cndmask_b32_e64 v8, v5, v9, s4
	v_cndmask_b32_e64 v14, v27, v26, s4
	;; [unrolled: 1-line block ×3, first 2 shown]
	s_delay_alu instid0(VALU_DEP_3) | instskip(NEXT) | instid1(VALU_DEP_3)
	v_add_nc_u32_e32 v15, 1, v8
	v_add_nc_u32_e32 v14, -1, v14
	v_lshl_add_u32 v8, v8, 3, v10
	s_delay_alu instid0(VALU_DEP_3) | instskip(NEXT) | instid1(VALU_DEP_3)
	v_cndmask_b32_e64 v9, v9, v15, s4
	v_min_u32_e32 v14, v15, v14
	v_cndmask_b32_e64 v5, v15, v5, s4
	s_delay_alu instid0(VALU_DEP_3) | instskip(NEXT) | instid1(VALU_DEP_3)
	v_cmp_lt_u32_e64 s5, v9, v26
	v_lshl_add_u32 v14, v14, 1, v12
	s_delay_alu instid0(VALU_DEP_3) | instskip(SKIP_4) | instid1(VALU_DEP_1)
	v_cmp_ge_u32_e64 s7, v5, v27
	ds_load_u16 v14, v14
	s_wait_dscnt 0x0
	v_cndmask_b32_e64 v29, v14, v31, s4
	v_cndmask_b32_e64 v35, v34, v14, s4
	v_cmp_le_i16_e64 s6, v29, v35
	s_and_b32 s5, s5, s6
	s_wait_alu 0xfffe
	s_or_b32 s5, s7, s5
	s_wait_alu 0xfffe
	v_cndmask_b32_e64 v14, v5, v9, s5
	v_cndmask_b32_e64 v15, v27, v26, s5
	;; [unrolled: 1-line block ×3, first 2 shown]
	s_delay_alu instid0(VALU_DEP_3) | instskip(NEXT) | instid1(VALU_DEP_3)
	v_add_nc_u32_e32 v20, 1, v14
	v_add_nc_u32_e32 v15, -1, v15
	v_lshl_add_u32 v14, v14, 3, v10
	s_delay_alu instid0(VALU_DEP_3) | instskip(NEXT) | instid1(VALU_DEP_3)
	v_cndmask_b32_e64 v9, v9, v20, s5
	v_min_u32_e32 v15, v20, v15
	v_cndmask_b32_e64 v5, v20, v5, s5
	s_delay_alu instid0(VALU_DEP_3) | instskip(NEXT) | instid1(VALU_DEP_3)
	v_cmp_lt_u32_e64 s6, v9, v26
	v_lshl_add_u32 v15, v15, 1, v12
	s_delay_alu instid0(VALU_DEP_3) | instskip(SKIP_4) | instid1(VALU_DEP_1)
	v_cmp_ge_u32_e64 s8, v5, v27
	ds_load_u16 v15, v15
	s_wait_dscnt 0x0
	v_cndmask_b32_e64 v48, v15, v29, s5
	v_cndmask_b32_e64 v50, v35, v15, s5
	v_cmp_le_i16_e64 s7, v48, v50
	s_and_b32 s6, s6, s7
	s_wait_alu 0xfffe
	s_or_b32 s6, s8, s6
	s_wait_alu 0xfffe
	v_cndmask_b32_e64 v5, v5, v9, s6
	v_cndmask_b32_e64 v48, v48, v50, s6
	s_delay_alu instid0(VALU_DEP_2)
	v_lshl_add_u32 v20, v5, 3, v10
	ds_load_b64 v[4:5], v4 offset:2048
	ds_load_b64 v[8:9], v8 offset:2048
	;; [unrolled: 1-line block ×4, first 2 shown]
.LBB936_85:
	s_wait_alu 0xfffe
	s_or_b32 exec_lo, exec_lo, s9
	v_and_b32_e32 v28, 0x60, v37
	; wave barrier
	ds_store_b16 v11, v49
	s_wait_dscnt 0x4
	ds_store_b64 v25, v[4:5]
	s_mov_b32 s4, exec_lo
	v_or_b32_e32 v26, 16, v28
	ds_store_b16 v18, v39
	s_wait_dscnt 0x5
	ds_store_b64 v19, v[8:9]
	ds_store_b16 v22, v24
	s_wait_dscnt 0x6
	ds_store_b64 v23, v[14:15]
	ds_store_b16 v13, v48
	s_wait_dscnt 0x7
	ds_store_b64 v17, v[20:21]
	; wave barrier
	v_min_u32_e32 v26, v16, v26
	s_delay_alu instid0(VALU_DEP_1) | instskip(SKIP_1) | instid1(VALU_DEP_2)
	v_add_nc_u32_e32 v27, 16, v26
	v_sub_nc_u32_e32 v31, v26, v28
	v_min_u32_e32 v27, v16, v27
	v_min_u32_e32 v16, v16, v38
	s_delay_alu instid0(VALU_DEP_2) | instskip(NEXT) | instid1(VALU_DEP_2)
	v_sub_nc_u32_e32 v29, v27, v26
	v_min_u32_e32 v25, v16, v31
	s_delay_alu instid0(VALU_DEP_2) | instskip(NEXT) | instid1(VALU_DEP_1)
	v_sub_nc_u32_e64 v11, v16, v29 clamp
	v_cmpx_lt_u32_e64 v11, v25
	s_cbranch_execz .LBB936_89
; %bb.86:
	v_lshlrev_b32_e32 v13, 1, v28
	v_lshlrev_b32_e32 v17, 1, v26
	s_mov_b32 s5, 0
	s_delay_alu instid0(VALU_DEP_2) | instskip(NEXT) | instid1(VALU_DEP_2)
	v_add_co_u32 v13, null, v12, v13
	v_add_co_u32 v17, null, v12, v17
.LBB936_87:                             ; =>This Inner Loop Header: Depth=1
	v_add_nc_u32_e32 v18, v25, v11
	s_delay_alu instid0(VALU_DEP_1) | instskip(SKIP_1) | instid1(VALU_DEP_2)
	v_lshrrev_b32_e32 v19, 1, v18
	v_and_b32_e32 v18, -2, v18
	v_xad_u32 v22, v19, -1, v16
	s_delay_alu instid0(VALU_DEP_2) | instskip(SKIP_1) | instid1(VALU_DEP_3)
	v_add_nc_u32_e32 v18, v13, v18
	v_add_nc_u32_e32 v23, 1, v19
	v_lshl_add_u32 v22, v22, 1, v17
	ds_load_u16 v18, v18
	ds_load_u16 v22, v22
	s_wait_dscnt 0x0
	v_cmp_gt_i16_e64 s3, v22, v18
	s_wait_alu 0xf1ff
	s_delay_alu instid0(VALU_DEP_1) | instskip(SKIP_1) | instid1(VALU_DEP_1)
	v_cndmask_b32_e64 v25, v25, v19, s3
	v_cndmask_b32_e64 v11, v23, v11, s3
	v_cmp_ge_u32_e64 s3, v11, v25
	s_wait_alu 0xfffe
	s_or_b32 s5, s3, s5
	s_wait_alu 0xfffe
	s_and_not1_b32 exec_lo, exec_lo, s5
	s_cbranch_execnz .LBB936_87
; %bb.88:
	s_or_b32 exec_lo, exec_lo, s5
.LBB936_89:
	s_wait_alu 0xfffe
	s_or_b32 exec_lo, exec_lo, s4
	v_add_nc_u32_e32 v13, v26, v16
	v_add_nc_u32_e32 v17, v11, v28
	s_delay_alu instid0(VALU_DEP_2) | instskip(NEXT) | instid1(VALU_DEP_2)
	v_sub_nc_u32_e32 v16, v13, v11
	v_cmp_le_u32_e64 s3, v17, v26
	s_delay_alu instid0(VALU_DEP_2)
	v_cmp_le_u32_e64 s4, v16, v27
	s_or_b32 s3, s3, s4
	s_wait_alu 0xfffe
	s_and_saveexec_b32 s9, s3
	s_cbranch_execz .LBB936_95
; %bb.90:
	v_cmp_lt_u32_e64 s3, v17, v26
                                        ; implicit-def: $vgpr11
	s_and_saveexec_b32 s4, s3
; %bb.91:
	v_lshl_add_u32 v4, v17, 1, v12
	ds_load_u16 v11, v4
; %bb.92:
	s_wait_alu 0xfffe
	s_or_b32 exec_lo, exec_lo, s4
	v_cmp_ge_u32_e64 s4, v16, v27
	s_mov_b32 s6, exec_lo
                                        ; implicit-def: $vgpr13
	v_cmpx_lt_u32_e64 v16, v27
; %bb.93:
	v_lshl_add_u32 v4, v16, 1, v12
	ds_load_u16 v13, v4
; %bb.94:
	s_wait_alu 0xfffe
	s_or_b32 exec_lo, exec_lo, s6
	s_wait_dscnt 0x0
	v_cmp_le_i16_e64 s5, v13, v11
	s_and_b32 s3, s3, s5
	s_wait_alu 0xfffe
	s_or_b32 s3, s4, s3
	s_wait_alu 0xfffe
	v_cndmask_b32_e64 v4, v16, v17, s3
	v_cndmask_b32_e64 v5, v27, v26, s3
	;; [unrolled: 1-line block ×3, first 2 shown]
	s_delay_alu instid0(VALU_DEP_3) | instskip(NEXT) | instid1(VALU_DEP_3)
	v_add_nc_u32_e32 v8, 1, v4
	v_add_nc_u32_e32 v5, -1, v5
	v_lshl_add_u32 v4, v4, 3, v10
	s_delay_alu instid0(VALU_DEP_3) | instskip(NEXT) | instid1(VALU_DEP_3)
	v_cndmask_b32_e64 v9, v17, v8, s3
	v_min_u32_e32 v5, v8, v5
	s_delay_alu instid0(VALU_DEP_2) | instskip(NEXT) | instid1(VALU_DEP_2)
	v_cmp_lt_u32_e64 s4, v9, v26
	v_lshl_add_u32 v5, v5, 1, v12
	ds_load_u16 v5, v5
	s_wait_dscnt 0x0
	v_cndmask_b32_e64 v17, v5, v13, s3
	v_cndmask_b32_e64 v18, v11, v5, s3
	;; [unrolled: 1-line block ×3, first 2 shown]
	s_delay_alu instid0(VALU_DEP_2) | instskip(NEXT) | instid1(VALU_DEP_2)
	v_cmp_le_i16_e64 s5, v17, v18
	v_cmp_ge_u32_e64 s6, v5, v27
	s_and_b32 s4, s4, s5
	s_wait_alu 0xfffe
	s_or_b32 s4, s6, s4
	s_wait_alu 0xfffe
	v_cndmask_b32_e64 v8, v5, v9, s4
	v_cndmask_b32_e64 v14, v27, v26, s4
	;; [unrolled: 1-line block ×3, first 2 shown]
	s_delay_alu instid0(VALU_DEP_3) | instskip(NEXT) | instid1(VALU_DEP_3)
	v_add_nc_u32_e32 v15, 1, v8
	v_add_nc_u32_e32 v14, -1, v14
	v_lshl_add_u32 v8, v8, 3, v10
	s_delay_alu instid0(VALU_DEP_3) | instskip(NEXT) | instid1(VALU_DEP_3)
	v_cndmask_b32_e64 v9, v9, v15, s4
	v_min_u32_e32 v14, v15, v14
	v_cndmask_b32_e64 v5, v15, v5, s4
	s_delay_alu instid0(VALU_DEP_3) | instskip(NEXT) | instid1(VALU_DEP_3)
	v_cmp_lt_u32_e64 s5, v9, v26
	v_lshl_add_u32 v14, v14, 1, v12
	s_delay_alu instid0(VALU_DEP_3) | instskip(SKIP_4) | instid1(VALU_DEP_1)
	v_cmp_ge_u32_e64 s7, v5, v27
	ds_load_u16 v14, v14
	s_wait_dscnt 0x0
	v_cndmask_b32_e64 v16, v14, v17, s4
	v_cndmask_b32_e64 v19, v18, v14, s4
	v_cmp_le_i16_e64 s6, v16, v19
	s_and_b32 s5, s5, s6
	s_wait_alu 0xfffe
	s_or_b32 s5, s7, s5
	s_wait_alu 0xfffe
	v_cndmask_b32_e64 v14, v5, v9, s5
	v_cndmask_b32_e64 v15, v27, v26, s5
	;; [unrolled: 1-line block ×3, first 2 shown]
	s_delay_alu instid0(VALU_DEP_3) | instskip(NEXT) | instid1(VALU_DEP_3)
	v_add_nc_u32_e32 v20, 1, v14
	v_add_nc_u32_e32 v15, -1, v15
	v_lshl_add_u32 v14, v14, 3, v10
	s_delay_alu instid0(VALU_DEP_3) | instskip(NEXT) | instid1(VALU_DEP_3)
	v_cndmask_b32_e64 v9, v9, v20, s5
	v_min_u32_e32 v15, v20, v15
	v_cndmask_b32_e64 v5, v20, v5, s5
	s_delay_alu instid0(VALU_DEP_3) | instskip(NEXT) | instid1(VALU_DEP_3)
	v_cmp_lt_u32_e64 s6, v9, v26
	v_lshl_add_u32 v12, v15, 1, v12
	s_delay_alu instid0(VALU_DEP_3) | instskip(SKIP_4) | instid1(VALU_DEP_1)
	v_cmp_ge_u32_e64 s8, v5, v27
	ds_load_u16 v12, v12
	s_wait_dscnt 0x0
	v_cndmask_b32_e64 v22, v12, v16, s5
	v_cndmask_b32_e64 v12, v19, v12, s5
	v_cmp_le_i16_e64 s7, v22, v12
	s_and_b32 s6, s6, s7
	s_wait_alu 0xfffe
	s_or_b32 s6, s8, s6
	s_wait_alu 0xfffe
	v_cndmask_b32_e64 v5, v5, v9, s6
	v_cndmask_b32_e64 v48, v22, v12, s6
	s_delay_alu instid0(VALU_DEP_2)
	v_lshl_add_u32 v10, v5, 3, v10
	ds_load_b64 v[4:5], v4 offset:2048
	ds_load_b64 v[8:9], v8 offset:2048
	;; [unrolled: 1-line block ×4, first 2 shown]
.LBB936_95:
	s_wait_alu 0xfffe
	s_or_b32 exec_lo, exec_lo, s9
	; wave barrier
	s_wait_storecnt_dscnt 0x0
	s_barrier_signal -1
	s_barrier_wait -1
.LBB936_96:
	s_wait_alu 0xfffe
	s_or_b32 exec_lo, exec_lo, s10
	v_add_co_u32 v2, s3, v2, v32
	s_wait_alu 0xf1ff
	v_add_co_ci_u32_e64 v3, null, v3, v33, s3
	s_wait_storecnt 0x0
	s_wait_loadcnt_dscnt 0x0
	global_inv scope:SCOPE_SE
	v_add_co_u32 v2, s3, v2, v30
	s_wait_alu 0xf1ff
	v_add_co_ci_u32_e64 v3, null, 0, v3, s3
	; wave barrier
	s_and_saveexec_b32 s3, vcc_lo
	s_cbranch_execnz .LBB936_106
; %bb.97:
	s_wait_alu 0xfffe
	s_or_b32 exec_lo, exec_lo, s3
	s_and_saveexec_b32 s3, s0
	s_cbranch_execnz .LBB936_107
.LBB936_98:
	s_wait_alu 0xfffe
	s_or_b32 exec_lo, exec_lo, s3
	s_and_saveexec_b32 s3, s1
	s_cbranch_execnz .LBB936_108
.LBB936_99:
	s_wait_alu 0xfffe
	s_or_b32 exec_lo, exec_lo, s3
	s_and_saveexec_b32 s3, s2
	s_cbranch_execz .LBB936_101
.LBB936_100:
	flat_store_b16 v[2:3], v48 offset:6
.LBB936_101:
	s_wait_alu 0xfffe
	s_or_b32 exec_lo, exec_lo, s3
	v_add_co_u32 v0, s3, v6, v0
	s_wait_alu 0xf1ff
	v_add_co_ci_u32_e64 v1, null, v7, v1, s3
	s_delay_alu instid0(VALU_DEP_2) | instskip(SKIP_1) | instid1(VALU_DEP_2)
	v_add_co_u32 v0, s3, v0, v36
	s_wait_alu 0xf1ff
	v_add_co_ci_u32_e64 v1, null, 0, v1, s3
	; wave barrier
	s_and_saveexec_b32 s3, vcc_lo
	s_cbranch_execnz .LBB936_109
; %bb.102:
	s_wait_alu 0xfffe
	s_or_b32 exec_lo, exec_lo, s3
	s_and_saveexec_b32 s3, s0
	s_cbranch_execnz .LBB936_110
.LBB936_103:
	s_wait_alu 0xfffe
	s_or_b32 exec_lo, exec_lo, s3
	s_and_saveexec_b32 s0, s1
	s_cbranch_execnz .LBB936_111
.LBB936_104:
	s_wait_alu 0xfffe
	s_or_b32 exec_lo, exec_lo, s0
	s_and_saveexec_b32 s0, s2
	s_cbranch_execnz .LBB936_112
.LBB936_105:
	s_wait_alu 0xfffe
	s_or_b32 exec_lo, exec_lo, s0
	s_wait_loadcnt_dscnt 0x0
	s_setpc_b64 s[30:31]
.LBB936_106:
	flat_store_b16 v[2:3], v49
	s_wait_alu 0xfffe
	s_or_b32 exec_lo, exec_lo, s3
	s_and_saveexec_b32 s3, s0
	s_cbranch_execz .LBB936_98
.LBB936_107:
	flat_store_b16 v[2:3], v39 offset:2
	s_wait_alu 0xfffe
	s_or_b32 exec_lo, exec_lo, s3
	s_and_saveexec_b32 s3, s1
	s_cbranch_execz .LBB936_99
.LBB936_108:
	flat_store_b16 v[2:3], v24 offset:4
	s_wait_alu 0xfffe
	s_or_b32 exec_lo, exec_lo, s3
	s_and_saveexec_b32 s3, s2
	s_cbranch_execnz .LBB936_100
	s_branch .LBB936_101
.LBB936_109:
	flat_store_b64 v[0:1], v[4:5]
	s_wait_alu 0xfffe
	s_or_b32 exec_lo, exec_lo, s3
	s_and_saveexec_b32 s3, s0
	s_cbranch_execz .LBB936_103
.LBB936_110:
	flat_store_b64 v[0:1], v[8:9] offset:8
	s_wait_alu 0xfffe
	s_or_b32 exec_lo, exec_lo, s3
	s_and_saveexec_b32 s0, s1
	s_cbranch_execz .LBB936_104
.LBB936_111:
	flat_store_b64 v[0:1], v[14:15] offset:16
	s_wait_alu 0xfffe
	s_or_b32 exec_lo, exec_lo, s0
	s_and_saveexec_b32 s0, s2
	s_cbranch_execz .LBB936_105
.LBB936_112:
	flat_store_b64 v[0:1], v[20:21] offset:24
	s_wait_alu 0xfffe
	s_or_b32 exec_lo, exec_lo, s0
	s_wait_loadcnt_dscnt 0x0
	s_setpc_b64 s[30:31]
.Lfunc_end936:
	.size	_ZN7rocprim17ROCPRIM_400000_NS6detail26segmented_warp_sort_helperINS1_20WarpSortHelperConfigILj8ELj4ELj256EEEslLi256ELb1EvE4sortIPKsPsPKlPlEEvT_T0_T1_T2_jjjjRNS5_12storage_typeE, .Lfunc_end936-_ZN7rocprim17ROCPRIM_400000_NS6detail26segmented_warp_sort_helperINS1_20WarpSortHelperConfigILj8ELj4ELj256EEEslLi256ELb1EvE4sortIPKsPsPKlPlEEvT_T0_T1_T2_jjjjRNS5_12storage_typeE
                                        ; -- End function
	.set .L_ZN7rocprim17ROCPRIM_400000_NS6detail26segmented_warp_sort_helperINS1_20WarpSortHelperConfigILj8ELj4ELj256EEEslLi256ELb1EvE4sortIPKsPsPKlPlEEvT_T0_T1_T2_jjjjRNS5_12storage_typeE.num_vgpr, 56
	.set .L_ZN7rocprim17ROCPRIM_400000_NS6detail26segmented_warp_sort_helperINS1_20WarpSortHelperConfigILj8ELj4ELj256EEEslLi256ELb1EvE4sortIPKsPsPKlPlEEvT_T0_T1_T2_jjjjRNS5_12storage_typeE.num_agpr, 0
	.set .L_ZN7rocprim17ROCPRIM_400000_NS6detail26segmented_warp_sort_helperINS1_20WarpSortHelperConfigILj8ELj4ELj256EEEslLi256ELb1EvE4sortIPKsPsPKlPlEEvT_T0_T1_T2_jjjjRNS5_12storage_typeE.numbered_sgpr, 32
	.set .L_ZN7rocprim17ROCPRIM_400000_NS6detail26segmented_warp_sort_helperINS1_20WarpSortHelperConfigILj8ELj4ELj256EEEslLi256ELb1EvE4sortIPKsPsPKlPlEEvT_T0_T1_T2_jjjjRNS5_12storage_typeE.num_named_barrier, 0
	.set .L_ZN7rocprim17ROCPRIM_400000_NS6detail26segmented_warp_sort_helperINS1_20WarpSortHelperConfigILj8ELj4ELj256EEEslLi256ELb1EvE4sortIPKsPsPKlPlEEvT_T0_T1_T2_jjjjRNS5_12storage_typeE.private_seg_size, 0
	.set .L_ZN7rocprim17ROCPRIM_400000_NS6detail26segmented_warp_sort_helperINS1_20WarpSortHelperConfigILj8ELj4ELj256EEEslLi256ELb1EvE4sortIPKsPsPKlPlEEvT_T0_T1_T2_jjjjRNS5_12storage_typeE.uses_vcc, 1
	.set .L_ZN7rocprim17ROCPRIM_400000_NS6detail26segmented_warp_sort_helperINS1_20WarpSortHelperConfigILj8ELj4ELj256EEEslLi256ELb1EvE4sortIPKsPsPKlPlEEvT_T0_T1_T2_jjjjRNS5_12storage_typeE.uses_flat_scratch, 0
	.set .L_ZN7rocprim17ROCPRIM_400000_NS6detail26segmented_warp_sort_helperINS1_20WarpSortHelperConfigILj8ELj4ELj256EEEslLi256ELb1EvE4sortIPKsPsPKlPlEEvT_T0_T1_T2_jjjjRNS5_12storage_typeE.has_dyn_sized_stack, 0
	.set .L_ZN7rocprim17ROCPRIM_400000_NS6detail26segmented_warp_sort_helperINS1_20WarpSortHelperConfigILj8ELj4ELj256EEEslLi256ELb1EvE4sortIPKsPsPKlPlEEvT_T0_T1_T2_jjjjRNS5_12storage_typeE.has_recursion, 0
	.set .L_ZN7rocprim17ROCPRIM_400000_NS6detail26segmented_warp_sort_helperINS1_20WarpSortHelperConfigILj8ELj4ELj256EEEslLi256ELb1EvE4sortIPKsPsPKlPlEEvT_T0_T1_T2_jjjjRNS5_12storage_typeE.has_indirect_call, 0
	.section	.AMDGPU.csdata,"",@progbits
; Function info:
; codeLenInByte = 8804
; TotalNumSgprs: 34
; NumVgprs: 56
; ScratchSize: 0
; MemoryBound: 1
	.section	.text._ZN7rocprim17ROCPRIM_400000_NS6detail17trampoline_kernelINS0_14default_configENS1_36segmented_radix_sort_config_selectorIslEEZNS1_25segmented_radix_sort_implIS3_Lb1EPKsPsPKlPlN2at6native12_GLOBAL__N_18offset_tEEE10hipError_tPvRmT1_PNSt15iterator_traitsISK_E10value_typeET2_T3_PNSL_ISQ_E10value_typeET4_jRbjT5_SW_jjP12ihipStream_tbEUlT_E1_NS1_11comp_targetILNS1_3genE10ELNS1_11target_archE1201ELNS1_3gpuE5ELNS1_3repE0EEENS1_59segmented_radix_sort_warp_sort_small_config_static_selectorELNS0_4arch9wavefront6targetE0EEEvSK_,"axG",@progbits,_ZN7rocprim17ROCPRIM_400000_NS6detail17trampoline_kernelINS0_14default_configENS1_36segmented_radix_sort_config_selectorIslEEZNS1_25segmented_radix_sort_implIS3_Lb1EPKsPsPKlPlN2at6native12_GLOBAL__N_18offset_tEEE10hipError_tPvRmT1_PNSt15iterator_traitsISK_E10value_typeET2_T3_PNSL_ISQ_E10value_typeET4_jRbjT5_SW_jjP12ihipStream_tbEUlT_E1_NS1_11comp_targetILNS1_3genE10ELNS1_11target_archE1201ELNS1_3gpuE5ELNS1_3repE0EEENS1_59segmented_radix_sort_warp_sort_small_config_static_selectorELNS0_4arch9wavefront6targetE0EEEvSK_,comdat
	.globl	_ZN7rocprim17ROCPRIM_400000_NS6detail17trampoline_kernelINS0_14default_configENS1_36segmented_radix_sort_config_selectorIslEEZNS1_25segmented_radix_sort_implIS3_Lb1EPKsPsPKlPlN2at6native12_GLOBAL__N_18offset_tEEE10hipError_tPvRmT1_PNSt15iterator_traitsISK_E10value_typeET2_T3_PNSL_ISQ_E10value_typeET4_jRbjT5_SW_jjP12ihipStream_tbEUlT_E1_NS1_11comp_targetILNS1_3genE10ELNS1_11target_archE1201ELNS1_3gpuE5ELNS1_3repE0EEENS1_59segmented_radix_sort_warp_sort_small_config_static_selectorELNS0_4arch9wavefront6targetE0EEEvSK_ ; -- Begin function _ZN7rocprim17ROCPRIM_400000_NS6detail17trampoline_kernelINS0_14default_configENS1_36segmented_radix_sort_config_selectorIslEEZNS1_25segmented_radix_sort_implIS3_Lb1EPKsPsPKlPlN2at6native12_GLOBAL__N_18offset_tEEE10hipError_tPvRmT1_PNSt15iterator_traitsISK_E10value_typeET2_T3_PNSL_ISQ_E10value_typeET4_jRbjT5_SW_jjP12ihipStream_tbEUlT_E1_NS1_11comp_targetILNS1_3genE10ELNS1_11target_archE1201ELNS1_3gpuE5ELNS1_3repE0EEENS1_59segmented_radix_sort_warp_sort_small_config_static_selectorELNS0_4arch9wavefront6targetE0EEEvSK_
	.p2align	8
	.type	_ZN7rocprim17ROCPRIM_400000_NS6detail17trampoline_kernelINS0_14default_configENS1_36segmented_radix_sort_config_selectorIslEEZNS1_25segmented_radix_sort_implIS3_Lb1EPKsPsPKlPlN2at6native12_GLOBAL__N_18offset_tEEE10hipError_tPvRmT1_PNSt15iterator_traitsISK_E10value_typeET2_T3_PNSL_ISQ_E10value_typeET4_jRbjT5_SW_jjP12ihipStream_tbEUlT_E1_NS1_11comp_targetILNS1_3genE10ELNS1_11target_archE1201ELNS1_3gpuE5ELNS1_3repE0EEENS1_59segmented_radix_sort_warp_sort_small_config_static_selectorELNS0_4arch9wavefront6targetE0EEEvSK_,@function
_ZN7rocprim17ROCPRIM_400000_NS6detail17trampoline_kernelINS0_14default_configENS1_36segmented_radix_sort_config_selectorIslEEZNS1_25segmented_radix_sort_implIS3_Lb1EPKsPsPKlPlN2at6native12_GLOBAL__N_18offset_tEEE10hipError_tPvRmT1_PNSt15iterator_traitsISK_E10value_typeET2_T3_PNSL_ISQ_E10value_typeET4_jRbjT5_SW_jjP12ihipStream_tbEUlT_E1_NS1_11comp_targetILNS1_3genE10ELNS1_11target_archE1201ELNS1_3gpuE5ELNS1_3repE0EEENS1_59segmented_radix_sort_warp_sort_small_config_static_selectorELNS0_4arch9wavefront6targetE0EEEvSK_: ; @_ZN7rocprim17ROCPRIM_400000_NS6detail17trampoline_kernelINS0_14default_configENS1_36segmented_radix_sort_config_selectorIslEEZNS1_25segmented_radix_sort_implIS3_Lb1EPKsPsPKlPlN2at6native12_GLOBAL__N_18offset_tEEE10hipError_tPvRmT1_PNSt15iterator_traitsISK_E10value_typeET2_T3_PNSL_ISQ_E10value_typeET4_jRbjT5_SW_jjP12ihipStream_tbEUlT_E1_NS1_11comp_targetILNS1_3genE10ELNS1_11target_archE1201ELNS1_3gpuE5ELNS1_3repE0EEENS1_59segmented_radix_sort_warp_sort_small_config_static_selectorELNS0_4arch9wavefront6targetE0EEEvSK_
; %bb.0:
	s_load_b32 s2, s[0:1], 0x64
	v_bfe_u32 v1, v0, 10, 10
	v_bfe_u32 v2, v0, 20, 10
	s_mov_b32 s32, 0
	s_wait_kmcnt 0x0
	s_lshr_b32 s3, s2, 16
	s_and_b32 s2, s2, 0xffff
	v_mad_u32_u24 v2, v2, s3, v1
	v_and_b32_e32 v1, 0x3ff, v0
	s_load_b32 s3, s[0:1], 0x34
	s_delay_alu instid0(VALU_DEP_1) | instskip(SKIP_2) | instid1(VALU_DEP_1)
	v_mad_co_u64_u32 v[1:2], null, v2, s2, v[1:2]
	s_mov_b32 s2, exec_lo
	v_lshrrev_b32_e32 v1, 3, v1
	v_lshl_add_u32 v1, ttmp9, 5, v1
	s_wait_kmcnt 0x0
	s_delay_alu instid0(VALU_DEP_1)
	v_cmpx_gt_u32_e64 s3, v1
	s_cbranch_execz .LBB937_6
; %bb.1:
	s_clause 0x1
	s_load_b64 s[2:3], s[0:1], 0x38
	s_load_b128 s[4:7], s[0:1], 0x40
	v_mov_b32_e32 v2, 0
	s_delay_alu instid0(VALU_DEP_1) | instskip(SKIP_1) | instid1(VALU_DEP_1)
	v_lshlrev_b64_e32 v[1:2], 2, v[1:2]
	s_wait_kmcnt 0x0
	v_sub_co_u32 v1, vcc_lo, s2, v1
	s_delay_alu instid0(VALU_DEP_1) | instskip(SKIP_4) | instid1(VALU_DEP_2)
	v_sub_co_ci_u32_e64 v2, null, s3, v2, vcc_lo
	global_load_b32 v1, v[1:2], off offset:-4
	s_wait_loadcnt 0x0
	v_add_nc_u32_e32 v2, s5, v1
	v_add_nc_u32_e32 v1, s7, v1
	v_mul_lo_u32 v40, v2, s4
	s_delay_alu instid0(VALU_DEP_2) | instskip(NEXT) | instid1(VALU_DEP_1)
	v_mul_lo_u32 v41, v1, s6
	v_cmp_gt_u32_e32 vcc_lo, v41, v40
	s_and_b32 exec_lo, exec_lo, vcc_lo
	s_cbranch_execz .LBB937_6
; %bb.2:
	s_clause 0x3
	s_load_b32 s2, s[0:1], 0x30
	s_load_b128 s[24:27], s[0:1], 0x20
	s_load_b256 s[16:23], s[0:1], 0x0
	s_load_b64 s[28:29], s[0:1], 0x50
	s_add_nc_u64 s[14:15], s[0:1], 0x58
	s_wait_kmcnt 0x0
	s_bitcmp0_b32 s2, 0
	s_mov_b32 s2, -1
	s_cbranch_scc0 .LBB937_4
; %bb.3:
	s_mov_b64 s[0:1], src_shared_base
	v_dual_mov_b32 v31, v0 :: v_dual_mov_b32 v42, v0
	v_dual_mov_b32 v0, s16 :: v_dual_mov_b32 v1, s17
	;; [unrolled: 1-line block ×7, first 2 shown]
	s_wait_alu 0xfffe
	v_dual_mov_b32 v12, 0 :: v_dual_mov_b32 v13, s1
	s_getpc_b64 s[2:3]
	s_wait_alu 0xfffe
	s_sext_i32_i16 s3, s3
	s_add_co_u32 s2, s2, _ZN7rocprim17ROCPRIM_400000_NS6detail26segmented_warp_sort_helperINS1_20WarpSortHelperConfigILj8ELj4ELj256EEEslLi256ELb1EvE4sortIPKsPsPKlPlEEvT_T0_T1_T2_jjjjRNS5_12storage_typeE@rel32@lo+12
	s_wait_alu 0xfffe
	s_add_co_ci_u32 s3, s3, _ZN7rocprim17ROCPRIM_400000_NS6detail26segmented_warp_sort_helperINS1_20WarpSortHelperConfigILj8ELj4ELj256EEEslLi256ELb1EvE4sortIPKsPsPKlPlEEvT_T0_T1_T2_jjjjRNS5_12storage_typeE@rel32@hi+24
	s_mov_b64 s[8:9], s[14:15]
	s_wait_alu 0xfffe
	s_swappc_b64 s[30:31], s[2:3]
	v_mov_b32_e32 v0, v42
	s_mov_b32 s2, 0
.LBB937_4:
	s_wait_alu 0xfffe
	s_and_not1_b32 vcc_lo, exec_lo, s2
	s_wait_alu 0xfffe
	s_cbranch_vccnz .LBB937_6
; %bb.5:
	s_mov_b64 s[0:1], src_shared_base
	v_dual_mov_b32 v31, v0 :: v_dual_mov_b32 v0, s16
	v_dual_mov_b32 v1, s17 :: v_dual_mov_b32 v2, s20
	;; [unrolled: 1-line block ×7, first 2 shown]
	s_wait_alu 0xfffe
	v_mov_b32_e32 v13, s1
	s_getpc_b64 s[2:3]
	s_wait_alu 0xfffe
	s_sext_i32_i16 s3, s3
	s_add_co_u32 s2, s2, _ZN7rocprim17ROCPRIM_400000_NS6detail26segmented_warp_sort_helperINS1_20WarpSortHelperConfigILj8ELj4ELj256EEEslLi256ELb1EvE4sortIPKsPsPKlPlEEvT_T0_T1_T2_jjjjRNS5_12storage_typeE@rel32@lo+12
	s_wait_alu 0xfffe
	s_add_co_ci_u32 s3, s3, _ZN7rocprim17ROCPRIM_400000_NS6detail26segmented_warp_sort_helperINS1_20WarpSortHelperConfigILj8ELj4ELj256EEEslLi256ELb1EvE4sortIPKsPsPKlPlEEvT_T0_T1_T2_jjjjRNS5_12storage_typeE@rel32@hi+24
	s_mov_b64 s[8:9], s[14:15]
	s_wait_alu 0xfffe
	s_swappc_b64 s[30:31], s[2:3]
.LBB937_6:
	s_endpgm
	.section	.rodata,"a",@progbits
	.p2align	6, 0x0
	.amdhsa_kernel _ZN7rocprim17ROCPRIM_400000_NS6detail17trampoline_kernelINS0_14default_configENS1_36segmented_radix_sort_config_selectorIslEEZNS1_25segmented_radix_sort_implIS3_Lb1EPKsPsPKlPlN2at6native12_GLOBAL__N_18offset_tEEE10hipError_tPvRmT1_PNSt15iterator_traitsISK_E10value_typeET2_T3_PNSL_ISQ_E10value_typeET4_jRbjT5_SW_jjP12ihipStream_tbEUlT_E1_NS1_11comp_targetILNS1_3genE10ELNS1_11target_archE1201ELNS1_3gpuE5ELNS1_3repE0EEENS1_59segmented_radix_sort_warp_sort_small_config_static_selectorELNS0_4arch9wavefront6targetE0EEEvSK_
		.amdhsa_group_segment_fixed_size 10240
		.amdhsa_private_segment_fixed_size 0
		.amdhsa_kernarg_size 344
		.amdhsa_user_sgpr_count 2
		.amdhsa_user_sgpr_dispatch_ptr 0
		.amdhsa_user_sgpr_queue_ptr 0
		.amdhsa_user_sgpr_kernarg_segment_ptr 1
		.amdhsa_user_sgpr_dispatch_id 0
		.amdhsa_user_sgpr_private_segment_size 0
		.amdhsa_wavefront_size32 1
		.amdhsa_uses_dynamic_stack 0
		.amdhsa_enable_private_segment 0
		.amdhsa_system_sgpr_workgroup_id_x 1
		.amdhsa_system_sgpr_workgroup_id_y 1
		.amdhsa_system_sgpr_workgroup_id_z 0
		.amdhsa_system_sgpr_workgroup_info 0
		.amdhsa_system_vgpr_workitem_id 2
		.amdhsa_next_free_vgpr 56
		.amdhsa_next_free_sgpr 33
		.amdhsa_reserve_vcc 1
		.amdhsa_float_round_mode_32 0
		.amdhsa_float_round_mode_16_64 0
		.amdhsa_float_denorm_mode_32 3
		.amdhsa_float_denorm_mode_16_64 3
		.amdhsa_fp16_overflow 0
		.amdhsa_workgroup_processor_mode 1
		.amdhsa_memory_ordered 1
		.amdhsa_forward_progress 1
		.amdhsa_inst_pref_size 5
		.amdhsa_round_robin_scheduling 0
		.amdhsa_exception_fp_ieee_invalid_op 0
		.amdhsa_exception_fp_denorm_src 0
		.amdhsa_exception_fp_ieee_div_zero 0
		.amdhsa_exception_fp_ieee_overflow 0
		.amdhsa_exception_fp_ieee_underflow 0
		.amdhsa_exception_fp_ieee_inexact 0
		.amdhsa_exception_int_div_zero 0
	.end_amdhsa_kernel
	.section	.text._ZN7rocprim17ROCPRIM_400000_NS6detail17trampoline_kernelINS0_14default_configENS1_36segmented_radix_sort_config_selectorIslEEZNS1_25segmented_radix_sort_implIS3_Lb1EPKsPsPKlPlN2at6native12_GLOBAL__N_18offset_tEEE10hipError_tPvRmT1_PNSt15iterator_traitsISK_E10value_typeET2_T3_PNSL_ISQ_E10value_typeET4_jRbjT5_SW_jjP12ihipStream_tbEUlT_E1_NS1_11comp_targetILNS1_3genE10ELNS1_11target_archE1201ELNS1_3gpuE5ELNS1_3repE0EEENS1_59segmented_radix_sort_warp_sort_small_config_static_selectorELNS0_4arch9wavefront6targetE0EEEvSK_,"axG",@progbits,_ZN7rocprim17ROCPRIM_400000_NS6detail17trampoline_kernelINS0_14default_configENS1_36segmented_radix_sort_config_selectorIslEEZNS1_25segmented_radix_sort_implIS3_Lb1EPKsPsPKlPlN2at6native12_GLOBAL__N_18offset_tEEE10hipError_tPvRmT1_PNSt15iterator_traitsISK_E10value_typeET2_T3_PNSL_ISQ_E10value_typeET4_jRbjT5_SW_jjP12ihipStream_tbEUlT_E1_NS1_11comp_targetILNS1_3genE10ELNS1_11target_archE1201ELNS1_3gpuE5ELNS1_3repE0EEENS1_59segmented_radix_sort_warp_sort_small_config_static_selectorELNS0_4arch9wavefront6targetE0EEEvSK_,comdat
.Lfunc_end937:
	.size	_ZN7rocprim17ROCPRIM_400000_NS6detail17trampoline_kernelINS0_14default_configENS1_36segmented_radix_sort_config_selectorIslEEZNS1_25segmented_radix_sort_implIS3_Lb1EPKsPsPKlPlN2at6native12_GLOBAL__N_18offset_tEEE10hipError_tPvRmT1_PNSt15iterator_traitsISK_E10value_typeET2_T3_PNSL_ISQ_E10value_typeET4_jRbjT5_SW_jjP12ihipStream_tbEUlT_E1_NS1_11comp_targetILNS1_3genE10ELNS1_11target_archE1201ELNS1_3gpuE5ELNS1_3repE0EEENS1_59segmented_radix_sort_warp_sort_small_config_static_selectorELNS0_4arch9wavefront6targetE0EEEvSK_, .Lfunc_end937-_ZN7rocprim17ROCPRIM_400000_NS6detail17trampoline_kernelINS0_14default_configENS1_36segmented_radix_sort_config_selectorIslEEZNS1_25segmented_radix_sort_implIS3_Lb1EPKsPsPKlPlN2at6native12_GLOBAL__N_18offset_tEEE10hipError_tPvRmT1_PNSt15iterator_traitsISK_E10value_typeET2_T3_PNSL_ISQ_E10value_typeET4_jRbjT5_SW_jjP12ihipStream_tbEUlT_E1_NS1_11comp_targetILNS1_3genE10ELNS1_11target_archE1201ELNS1_3gpuE5ELNS1_3repE0EEENS1_59segmented_radix_sort_warp_sort_small_config_static_selectorELNS0_4arch9wavefront6targetE0EEEvSK_
                                        ; -- End function
	.set _ZN7rocprim17ROCPRIM_400000_NS6detail17trampoline_kernelINS0_14default_configENS1_36segmented_radix_sort_config_selectorIslEEZNS1_25segmented_radix_sort_implIS3_Lb1EPKsPsPKlPlN2at6native12_GLOBAL__N_18offset_tEEE10hipError_tPvRmT1_PNSt15iterator_traitsISK_E10value_typeET2_T3_PNSL_ISQ_E10value_typeET4_jRbjT5_SW_jjP12ihipStream_tbEUlT_E1_NS1_11comp_targetILNS1_3genE10ELNS1_11target_archE1201ELNS1_3gpuE5ELNS1_3repE0EEENS1_59segmented_radix_sort_warp_sort_small_config_static_selectorELNS0_4arch9wavefront6targetE0EEEvSK_.num_vgpr, max(43, .L_ZN7rocprim17ROCPRIM_400000_NS6detail26segmented_warp_sort_helperINS1_20WarpSortHelperConfigILj8ELj4ELj256EEEslLi256ELb1EvE4sortIPKsPsPKlPlEEvT_T0_T1_T2_jjjjRNS5_12storage_typeE.num_vgpr)
	.set _ZN7rocprim17ROCPRIM_400000_NS6detail17trampoline_kernelINS0_14default_configENS1_36segmented_radix_sort_config_selectorIslEEZNS1_25segmented_radix_sort_implIS3_Lb1EPKsPsPKlPlN2at6native12_GLOBAL__N_18offset_tEEE10hipError_tPvRmT1_PNSt15iterator_traitsISK_E10value_typeET2_T3_PNSL_ISQ_E10value_typeET4_jRbjT5_SW_jjP12ihipStream_tbEUlT_E1_NS1_11comp_targetILNS1_3genE10ELNS1_11target_archE1201ELNS1_3gpuE5ELNS1_3repE0EEENS1_59segmented_radix_sort_warp_sort_small_config_static_selectorELNS0_4arch9wavefront6targetE0EEEvSK_.num_agpr, max(0, .L_ZN7rocprim17ROCPRIM_400000_NS6detail26segmented_warp_sort_helperINS1_20WarpSortHelperConfigILj8ELj4ELj256EEEslLi256ELb1EvE4sortIPKsPsPKlPlEEvT_T0_T1_T2_jjjjRNS5_12storage_typeE.num_agpr)
	.set _ZN7rocprim17ROCPRIM_400000_NS6detail17trampoline_kernelINS0_14default_configENS1_36segmented_radix_sort_config_selectorIslEEZNS1_25segmented_radix_sort_implIS3_Lb1EPKsPsPKlPlN2at6native12_GLOBAL__N_18offset_tEEE10hipError_tPvRmT1_PNSt15iterator_traitsISK_E10value_typeET2_T3_PNSL_ISQ_E10value_typeET4_jRbjT5_SW_jjP12ihipStream_tbEUlT_E1_NS1_11comp_targetILNS1_3genE10ELNS1_11target_archE1201ELNS1_3gpuE5ELNS1_3repE0EEENS1_59segmented_radix_sort_warp_sort_small_config_static_selectorELNS0_4arch9wavefront6targetE0EEEvSK_.numbered_sgpr, max(33, .L_ZN7rocprim17ROCPRIM_400000_NS6detail26segmented_warp_sort_helperINS1_20WarpSortHelperConfigILj8ELj4ELj256EEEslLi256ELb1EvE4sortIPKsPsPKlPlEEvT_T0_T1_T2_jjjjRNS5_12storage_typeE.numbered_sgpr)
	.set _ZN7rocprim17ROCPRIM_400000_NS6detail17trampoline_kernelINS0_14default_configENS1_36segmented_radix_sort_config_selectorIslEEZNS1_25segmented_radix_sort_implIS3_Lb1EPKsPsPKlPlN2at6native12_GLOBAL__N_18offset_tEEE10hipError_tPvRmT1_PNSt15iterator_traitsISK_E10value_typeET2_T3_PNSL_ISQ_E10value_typeET4_jRbjT5_SW_jjP12ihipStream_tbEUlT_E1_NS1_11comp_targetILNS1_3genE10ELNS1_11target_archE1201ELNS1_3gpuE5ELNS1_3repE0EEENS1_59segmented_radix_sort_warp_sort_small_config_static_selectorELNS0_4arch9wavefront6targetE0EEEvSK_.num_named_barrier, max(0, .L_ZN7rocprim17ROCPRIM_400000_NS6detail26segmented_warp_sort_helperINS1_20WarpSortHelperConfigILj8ELj4ELj256EEEslLi256ELb1EvE4sortIPKsPsPKlPlEEvT_T0_T1_T2_jjjjRNS5_12storage_typeE.num_named_barrier)
	.set _ZN7rocprim17ROCPRIM_400000_NS6detail17trampoline_kernelINS0_14default_configENS1_36segmented_radix_sort_config_selectorIslEEZNS1_25segmented_radix_sort_implIS3_Lb1EPKsPsPKlPlN2at6native12_GLOBAL__N_18offset_tEEE10hipError_tPvRmT1_PNSt15iterator_traitsISK_E10value_typeET2_T3_PNSL_ISQ_E10value_typeET4_jRbjT5_SW_jjP12ihipStream_tbEUlT_E1_NS1_11comp_targetILNS1_3genE10ELNS1_11target_archE1201ELNS1_3gpuE5ELNS1_3repE0EEENS1_59segmented_radix_sort_warp_sort_small_config_static_selectorELNS0_4arch9wavefront6targetE0EEEvSK_.private_seg_size, 0+max(.L_ZN7rocprim17ROCPRIM_400000_NS6detail26segmented_warp_sort_helperINS1_20WarpSortHelperConfigILj8ELj4ELj256EEEslLi256ELb1EvE4sortIPKsPsPKlPlEEvT_T0_T1_T2_jjjjRNS5_12storage_typeE.private_seg_size)
	.set _ZN7rocprim17ROCPRIM_400000_NS6detail17trampoline_kernelINS0_14default_configENS1_36segmented_radix_sort_config_selectorIslEEZNS1_25segmented_radix_sort_implIS3_Lb1EPKsPsPKlPlN2at6native12_GLOBAL__N_18offset_tEEE10hipError_tPvRmT1_PNSt15iterator_traitsISK_E10value_typeET2_T3_PNSL_ISQ_E10value_typeET4_jRbjT5_SW_jjP12ihipStream_tbEUlT_E1_NS1_11comp_targetILNS1_3genE10ELNS1_11target_archE1201ELNS1_3gpuE5ELNS1_3repE0EEENS1_59segmented_radix_sort_warp_sort_small_config_static_selectorELNS0_4arch9wavefront6targetE0EEEvSK_.uses_vcc, or(1, .L_ZN7rocprim17ROCPRIM_400000_NS6detail26segmented_warp_sort_helperINS1_20WarpSortHelperConfigILj8ELj4ELj256EEEslLi256ELb1EvE4sortIPKsPsPKlPlEEvT_T0_T1_T2_jjjjRNS5_12storage_typeE.uses_vcc)
	.set _ZN7rocprim17ROCPRIM_400000_NS6detail17trampoline_kernelINS0_14default_configENS1_36segmented_radix_sort_config_selectorIslEEZNS1_25segmented_radix_sort_implIS3_Lb1EPKsPsPKlPlN2at6native12_GLOBAL__N_18offset_tEEE10hipError_tPvRmT1_PNSt15iterator_traitsISK_E10value_typeET2_T3_PNSL_ISQ_E10value_typeET4_jRbjT5_SW_jjP12ihipStream_tbEUlT_E1_NS1_11comp_targetILNS1_3genE10ELNS1_11target_archE1201ELNS1_3gpuE5ELNS1_3repE0EEENS1_59segmented_radix_sort_warp_sort_small_config_static_selectorELNS0_4arch9wavefront6targetE0EEEvSK_.uses_flat_scratch, or(0, .L_ZN7rocprim17ROCPRIM_400000_NS6detail26segmented_warp_sort_helperINS1_20WarpSortHelperConfigILj8ELj4ELj256EEEslLi256ELb1EvE4sortIPKsPsPKlPlEEvT_T0_T1_T2_jjjjRNS5_12storage_typeE.uses_flat_scratch)
	.set _ZN7rocprim17ROCPRIM_400000_NS6detail17trampoline_kernelINS0_14default_configENS1_36segmented_radix_sort_config_selectorIslEEZNS1_25segmented_radix_sort_implIS3_Lb1EPKsPsPKlPlN2at6native12_GLOBAL__N_18offset_tEEE10hipError_tPvRmT1_PNSt15iterator_traitsISK_E10value_typeET2_T3_PNSL_ISQ_E10value_typeET4_jRbjT5_SW_jjP12ihipStream_tbEUlT_E1_NS1_11comp_targetILNS1_3genE10ELNS1_11target_archE1201ELNS1_3gpuE5ELNS1_3repE0EEENS1_59segmented_radix_sort_warp_sort_small_config_static_selectorELNS0_4arch9wavefront6targetE0EEEvSK_.has_dyn_sized_stack, or(0, .L_ZN7rocprim17ROCPRIM_400000_NS6detail26segmented_warp_sort_helperINS1_20WarpSortHelperConfigILj8ELj4ELj256EEEslLi256ELb1EvE4sortIPKsPsPKlPlEEvT_T0_T1_T2_jjjjRNS5_12storage_typeE.has_dyn_sized_stack)
	.set _ZN7rocprim17ROCPRIM_400000_NS6detail17trampoline_kernelINS0_14default_configENS1_36segmented_radix_sort_config_selectorIslEEZNS1_25segmented_radix_sort_implIS3_Lb1EPKsPsPKlPlN2at6native12_GLOBAL__N_18offset_tEEE10hipError_tPvRmT1_PNSt15iterator_traitsISK_E10value_typeET2_T3_PNSL_ISQ_E10value_typeET4_jRbjT5_SW_jjP12ihipStream_tbEUlT_E1_NS1_11comp_targetILNS1_3genE10ELNS1_11target_archE1201ELNS1_3gpuE5ELNS1_3repE0EEENS1_59segmented_radix_sort_warp_sort_small_config_static_selectorELNS0_4arch9wavefront6targetE0EEEvSK_.has_recursion, or(0, .L_ZN7rocprim17ROCPRIM_400000_NS6detail26segmented_warp_sort_helperINS1_20WarpSortHelperConfigILj8ELj4ELj256EEEslLi256ELb1EvE4sortIPKsPsPKlPlEEvT_T0_T1_T2_jjjjRNS5_12storage_typeE.has_recursion)
	.set _ZN7rocprim17ROCPRIM_400000_NS6detail17trampoline_kernelINS0_14default_configENS1_36segmented_radix_sort_config_selectorIslEEZNS1_25segmented_radix_sort_implIS3_Lb1EPKsPsPKlPlN2at6native12_GLOBAL__N_18offset_tEEE10hipError_tPvRmT1_PNSt15iterator_traitsISK_E10value_typeET2_T3_PNSL_ISQ_E10value_typeET4_jRbjT5_SW_jjP12ihipStream_tbEUlT_E1_NS1_11comp_targetILNS1_3genE10ELNS1_11target_archE1201ELNS1_3gpuE5ELNS1_3repE0EEENS1_59segmented_radix_sort_warp_sort_small_config_static_selectorELNS0_4arch9wavefront6targetE0EEEvSK_.has_indirect_call, or(0, .L_ZN7rocprim17ROCPRIM_400000_NS6detail26segmented_warp_sort_helperINS1_20WarpSortHelperConfigILj8ELj4ELj256EEEslLi256ELb1EvE4sortIPKsPsPKlPlEEvT_T0_T1_T2_jjjjRNS5_12storage_typeE.has_indirect_call)
	.section	.AMDGPU.csdata,"",@progbits
; Kernel info:
; codeLenInByte = 544
; TotalNumSgprs: 35
; NumVgprs: 56
; ScratchSize: 0
; MemoryBound: 0
; FloatMode: 240
; IeeeMode: 1
; LDSByteSize: 10240 bytes/workgroup (compile time only)
; SGPRBlocks: 0
; VGPRBlocks: 6
; NumSGPRsForWavesPerEU: 35
; NumVGPRsForWavesPerEU: 56
; Occupancy: 16
; WaveLimiterHint : 0
; COMPUTE_PGM_RSRC2:SCRATCH_EN: 0
; COMPUTE_PGM_RSRC2:USER_SGPR: 2
; COMPUTE_PGM_RSRC2:TRAP_HANDLER: 0
; COMPUTE_PGM_RSRC2:TGID_X_EN: 1
; COMPUTE_PGM_RSRC2:TGID_Y_EN: 1
; COMPUTE_PGM_RSRC2:TGID_Z_EN: 0
; COMPUTE_PGM_RSRC2:TIDIG_COMP_CNT: 2
	.section	.text._ZN7rocprim17ROCPRIM_400000_NS6detail17trampoline_kernelINS0_14default_configENS1_36segmented_radix_sort_config_selectorIslEEZNS1_25segmented_radix_sort_implIS3_Lb1EPKsPsPKlPlN2at6native12_GLOBAL__N_18offset_tEEE10hipError_tPvRmT1_PNSt15iterator_traitsISK_E10value_typeET2_T3_PNSL_ISQ_E10value_typeET4_jRbjT5_SW_jjP12ihipStream_tbEUlT_E1_NS1_11comp_targetILNS1_3genE10ELNS1_11target_archE1200ELNS1_3gpuE4ELNS1_3repE0EEENS1_59segmented_radix_sort_warp_sort_small_config_static_selectorELNS0_4arch9wavefront6targetE0EEEvSK_,"axG",@progbits,_ZN7rocprim17ROCPRIM_400000_NS6detail17trampoline_kernelINS0_14default_configENS1_36segmented_radix_sort_config_selectorIslEEZNS1_25segmented_radix_sort_implIS3_Lb1EPKsPsPKlPlN2at6native12_GLOBAL__N_18offset_tEEE10hipError_tPvRmT1_PNSt15iterator_traitsISK_E10value_typeET2_T3_PNSL_ISQ_E10value_typeET4_jRbjT5_SW_jjP12ihipStream_tbEUlT_E1_NS1_11comp_targetILNS1_3genE10ELNS1_11target_archE1200ELNS1_3gpuE4ELNS1_3repE0EEENS1_59segmented_radix_sort_warp_sort_small_config_static_selectorELNS0_4arch9wavefront6targetE0EEEvSK_,comdat
	.globl	_ZN7rocprim17ROCPRIM_400000_NS6detail17trampoline_kernelINS0_14default_configENS1_36segmented_radix_sort_config_selectorIslEEZNS1_25segmented_radix_sort_implIS3_Lb1EPKsPsPKlPlN2at6native12_GLOBAL__N_18offset_tEEE10hipError_tPvRmT1_PNSt15iterator_traitsISK_E10value_typeET2_T3_PNSL_ISQ_E10value_typeET4_jRbjT5_SW_jjP12ihipStream_tbEUlT_E1_NS1_11comp_targetILNS1_3genE10ELNS1_11target_archE1200ELNS1_3gpuE4ELNS1_3repE0EEENS1_59segmented_radix_sort_warp_sort_small_config_static_selectorELNS0_4arch9wavefront6targetE0EEEvSK_ ; -- Begin function _ZN7rocprim17ROCPRIM_400000_NS6detail17trampoline_kernelINS0_14default_configENS1_36segmented_radix_sort_config_selectorIslEEZNS1_25segmented_radix_sort_implIS3_Lb1EPKsPsPKlPlN2at6native12_GLOBAL__N_18offset_tEEE10hipError_tPvRmT1_PNSt15iterator_traitsISK_E10value_typeET2_T3_PNSL_ISQ_E10value_typeET4_jRbjT5_SW_jjP12ihipStream_tbEUlT_E1_NS1_11comp_targetILNS1_3genE10ELNS1_11target_archE1200ELNS1_3gpuE4ELNS1_3repE0EEENS1_59segmented_radix_sort_warp_sort_small_config_static_selectorELNS0_4arch9wavefront6targetE0EEEvSK_
	.p2align	8
	.type	_ZN7rocprim17ROCPRIM_400000_NS6detail17trampoline_kernelINS0_14default_configENS1_36segmented_radix_sort_config_selectorIslEEZNS1_25segmented_radix_sort_implIS3_Lb1EPKsPsPKlPlN2at6native12_GLOBAL__N_18offset_tEEE10hipError_tPvRmT1_PNSt15iterator_traitsISK_E10value_typeET2_T3_PNSL_ISQ_E10value_typeET4_jRbjT5_SW_jjP12ihipStream_tbEUlT_E1_NS1_11comp_targetILNS1_3genE10ELNS1_11target_archE1200ELNS1_3gpuE4ELNS1_3repE0EEENS1_59segmented_radix_sort_warp_sort_small_config_static_selectorELNS0_4arch9wavefront6targetE0EEEvSK_,@function
_ZN7rocprim17ROCPRIM_400000_NS6detail17trampoline_kernelINS0_14default_configENS1_36segmented_radix_sort_config_selectorIslEEZNS1_25segmented_radix_sort_implIS3_Lb1EPKsPsPKlPlN2at6native12_GLOBAL__N_18offset_tEEE10hipError_tPvRmT1_PNSt15iterator_traitsISK_E10value_typeET2_T3_PNSL_ISQ_E10value_typeET4_jRbjT5_SW_jjP12ihipStream_tbEUlT_E1_NS1_11comp_targetILNS1_3genE10ELNS1_11target_archE1200ELNS1_3gpuE4ELNS1_3repE0EEENS1_59segmented_radix_sort_warp_sort_small_config_static_selectorELNS0_4arch9wavefront6targetE0EEEvSK_: ; @_ZN7rocprim17ROCPRIM_400000_NS6detail17trampoline_kernelINS0_14default_configENS1_36segmented_radix_sort_config_selectorIslEEZNS1_25segmented_radix_sort_implIS3_Lb1EPKsPsPKlPlN2at6native12_GLOBAL__N_18offset_tEEE10hipError_tPvRmT1_PNSt15iterator_traitsISK_E10value_typeET2_T3_PNSL_ISQ_E10value_typeET4_jRbjT5_SW_jjP12ihipStream_tbEUlT_E1_NS1_11comp_targetILNS1_3genE10ELNS1_11target_archE1200ELNS1_3gpuE4ELNS1_3repE0EEENS1_59segmented_radix_sort_warp_sort_small_config_static_selectorELNS0_4arch9wavefront6targetE0EEEvSK_
; %bb.0:
	.section	.rodata,"a",@progbits
	.p2align	6, 0x0
	.amdhsa_kernel _ZN7rocprim17ROCPRIM_400000_NS6detail17trampoline_kernelINS0_14default_configENS1_36segmented_radix_sort_config_selectorIslEEZNS1_25segmented_radix_sort_implIS3_Lb1EPKsPsPKlPlN2at6native12_GLOBAL__N_18offset_tEEE10hipError_tPvRmT1_PNSt15iterator_traitsISK_E10value_typeET2_T3_PNSL_ISQ_E10value_typeET4_jRbjT5_SW_jjP12ihipStream_tbEUlT_E1_NS1_11comp_targetILNS1_3genE10ELNS1_11target_archE1200ELNS1_3gpuE4ELNS1_3repE0EEENS1_59segmented_radix_sort_warp_sort_small_config_static_selectorELNS0_4arch9wavefront6targetE0EEEvSK_
		.amdhsa_group_segment_fixed_size 0
		.amdhsa_private_segment_fixed_size 0
		.amdhsa_kernarg_size 88
		.amdhsa_user_sgpr_count 2
		.amdhsa_user_sgpr_dispatch_ptr 0
		.amdhsa_user_sgpr_queue_ptr 0
		.amdhsa_user_sgpr_kernarg_segment_ptr 1
		.amdhsa_user_sgpr_dispatch_id 0
		.amdhsa_user_sgpr_private_segment_size 0
		.amdhsa_wavefront_size32 1
		.amdhsa_uses_dynamic_stack 0
		.amdhsa_enable_private_segment 0
		.amdhsa_system_sgpr_workgroup_id_x 1
		.amdhsa_system_sgpr_workgroup_id_y 0
		.amdhsa_system_sgpr_workgroup_id_z 0
		.amdhsa_system_sgpr_workgroup_info 0
		.amdhsa_system_vgpr_workitem_id 0
		.amdhsa_next_free_vgpr 1
		.amdhsa_next_free_sgpr 1
		.amdhsa_reserve_vcc 0
		.amdhsa_float_round_mode_32 0
		.amdhsa_float_round_mode_16_64 0
		.amdhsa_float_denorm_mode_32 3
		.amdhsa_float_denorm_mode_16_64 3
		.amdhsa_fp16_overflow 0
		.amdhsa_workgroup_processor_mode 1
		.amdhsa_memory_ordered 1
		.amdhsa_forward_progress 1
		.amdhsa_inst_pref_size 0
		.amdhsa_round_robin_scheduling 0
		.amdhsa_exception_fp_ieee_invalid_op 0
		.amdhsa_exception_fp_denorm_src 0
		.amdhsa_exception_fp_ieee_div_zero 0
		.amdhsa_exception_fp_ieee_overflow 0
		.amdhsa_exception_fp_ieee_underflow 0
		.amdhsa_exception_fp_ieee_inexact 0
		.amdhsa_exception_int_div_zero 0
	.end_amdhsa_kernel
	.section	.text._ZN7rocprim17ROCPRIM_400000_NS6detail17trampoline_kernelINS0_14default_configENS1_36segmented_radix_sort_config_selectorIslEEZNS1_25segmented_radix_sort_implIS3_Lb1EPKsPsPKlPlN2at6native12_GLOBAL__N_18offset_tEEE10hipError_tPvRmT1_PNSt15iterator_traitsISK_E10value_typeET2_T3_PNSL_ISQ_E10value_typeET4_jRbjT5_SW_jjP12ihipStream_tbEUlT_E1_NS1_11comp_targetILNS1_3genE10ELNS1_11target_archE1200ELNS1_3gpuE4ELNS1_3repE0EEENS1_59segmented_radix_sort_warp_sort_small_config_static_selectorELNS0_4arch9wavefront6targetE0EEEvSK_,"axG",@progbits,_ZN7rocprim17ROCPRIM_400000_NS6detail17trampoline_kernelINS0_14default_configENS1_36segmented_radix_sort_config_selectorIslEEZNS1_25segmented_radix_sort_implIS3_Lb1EPKsPsPKlPlN2at6native12_GLOBAL__N_18offset_tEEE10hipError_tPvRmT1_PNSt15iterator_traitsISK_E10value_typeET2_T3_PNSL_ISQ_E10value_typeET4_jRbjT5_SW_jjP12ihipStream_tbEUlT_E1_NS1_11comp_targetILNS1_3genE10ELNS1_11target_archE1200ELNS1_3gpuE4ELNS1_3repE0EEENS1_59segmented_radix_sort_warp_sort_small_config_static_selectorELNS0_4arch9wavefront6targetE0EEEvSK_,comdat
.Lfunc_end938:
	.size	_ZN7rocprim17ROCPRIM_400000_NS6detail17trampoline_kernelINS0_14default_configENS1_36segmented_radix_sort_config_selectorIslEEZNS1_25segmented_radix_sort_implIS3_Lb1EPKsPsPKlPlN2at6native12_GLOBAL__N_18offset_tEEE10hipError_tPvRmT1_PNSt15iterator_traitsISK_E10value_typeET2_T3_PNSL_ISQ_E10value_typeET4_jRbjT5_SW_jjP12ihipStream_tbEUlT_E1_NS1_11comp_targetILNS1_3genE10ELNS1_11target_archE1200ELNS1_3gpuE4ELNS1_3repE0EEENS1_59segmented_radix_sort_warp_sort_small_config_static_selectorELNS0_4arch9wavefront6targetE0EEEvSK_, .Lfunc_end938-_ZN7rocprim17ROCPRIM_400000_NS6detail17trampoline_kernelINS0_14default_configENS1_36segmented_radix_sort_config_selectorIslEEZNS1_25segmented_radix_sort_implIS3_Lb1EPKsPsPKlPlN2at6native12_GLOBAL__N_18offset_tEEE10hipError_tPvRmT1_PNSt15iterator_traitsISK_E10value_typeET2_T3_PNSL_ISQ_E10value_typeET4_jRbjT5_SW_jjP12ihipStream_tbEUlT_E1_NS1_11comp_targetILNS1_3genE10ELNS1_11target_archE1200ELNS1_3gpuE4ELNS1_3repE0EEENS1_59segmented_radix_sort_warp_sort_small_config_static_selectorELNS0_4arch9wavefront6targetE0EEEvSK_
                                        ; -- End function
	.set _ZN7rocprim17ROCPRIM_400000_NS6detail17trampoline_kernelINS0_14default_configENS1_36segmented_radix_sort_config_selectorIslEEZNS1_25segmented_radix_sort_implIS3_Lb1EPKsPsPKlPlN2at6native12_GLOBAL__N_18offset_tEEE10hipError_tPvRmT1_PNSt15iterator_traitsISK_E10value_typeET2_T3_PNSL_ISQ_E10value_typeET4_jRbjT5_SW_jjP12ihipStream_tbEUlT_E1_NS1_11comp_targetILNS1_3genE10ELNS1_11target_archE1200ELNS1_3gpuE4ELNS1_3repE0EEENS1_59segmented_radix_sort_warp_sort_small_config_static_selectorELNS0_4arch9wavefront6targetE0EEEvSK_.num_vgpr, 0
	.set _ZN7rocprim17ROCPRIM_400000_NS6detail17trampoline_kernelINS0_14default_configENS1_36segmented_radix_sort_config_selectorIslEEZNS1_25segmented_radix_sort_implIS3_Lb1EPKsPsPKlPlN2at6native12_GLOBAL__N_18offset_tEEE10hipError_tPvRmT1_PNSt15iterator_traitsISK_E10value_typeET2_T3_PNSL_ISQ_E10value_typeET4_jRbjT5_SW_jjP12ihipStream_tbEUlT_E1_NS1_11comp_targetILNS1_3genE10ELNS1_11target_archE1200ELNS1_3gpuE4ELNS1_3repE0EEENS1_59segmented_radix_sort_warp_sort_small_config_static_selectorELNS0_4arch9wavefront6targetE0EEEvSK_.num_agpr, 0
	.set _ZN7rocprim17ROCPRIM_400000_NS6detail17trampoline_kernelINS0_14default_configENS1_36segmented_radix_sort_config_selectorIslEEZNS1_25segmented_radix_sort_implIS3_Lb1EPKsPsPKlPlN2at6native12_GLOBAL__N_18offset_tEEE10hipError_tPvRmT1_PNSt15iterator_traitsISK_E10value_typeET2_T3_PNSL_ISQ_E10value_typeET4_jRbjT5_SW_jjP12ihipStream_tbEUlT_E1_NS1_11comp_targetILNS1_3genE10ELNS1_11target_archE1200ELNS1_3gpuE4ELNS1_3repE0EEENS1_59segmented_radix_sort_warp_sort_small_config_static_selectorELNS0_4arch9wavefront6targetE0EEEvSK_.numbered_sgpr, 0
	.set _ZN7rocprim17ROCPRIM_400000_NS6detail17trampoline_kernelINS0_14default_configENS1_36segmented_radix_sort_config_selectorIslEEZNS1_25segmented_radix_sort_implIS3_Lb1EPKsPsPKlPlN2at6native12_GLOBAL__N_18offset_tEEE10hipError_tPvRmT1_PNSt15iterator_traitsISK_E10value_typeET2_T3_PNSL_ISQ_E10value_typeET4_jRbjT5_SW_jjP12ihipStream_tbEUlT_E1_NS1_11comp_targetILNS1_3genE10ELNS1_11target_archE1200ELNS1_3gpuE4ELNS1_3repE0EEENS1_59segmented_radix_sort_warp_sort_small_config_static_selectorELNS0_4arch9wavefront6targetE0EEEvSK_.num_named_barrier, 0
	.set _ZN7rocprim17ROCPRIM_400000_NS6detail17trampoline_kernelINS0_14default_configENS1_36segmented_radix_sort_config_selectorIslEEZNS1_25segmented_radix_sort_implIS3_Lb1EPKsPsPKlPlN2at6native12_GLOBAL__N_18offset_tEEE10hipError_tPvRmT1_PNSt15iterator_traitsISK_E10value_typeET2_T3_PNSL_ISQ_E10value_typeET4_jRbjT5_SW_jjP12ihipStream_tbEUlT_E1_NS1_11comp_targetILNS1_3genE10ELNS1_11target_archE1200ELNS1_3gpuE4ELNS1_3repE0EEENS1_59segmented_radix_sort_warp_sort_small_config_static_selectorELNS0_4arch9wavefront6targetE0EEEvSK_.private_seg_size, 0
	.set _ZN7rocprim17ROCPRIM_400000_NS6detail17trampoline_kernelINS0_14default_configENS1_36segmented_radix_sort_config_selectorIslEEZNS1_25segmented_radix_sort_implIS3_Lb1EPKsPsPKlPlN2at6native12_GLOBAL__N_18offset_tEEE10hipError_tPvRmT1_PNSt15iterator_traitsISK_E10value_typeET2_T3_PNSL_ISQ_E10value_typeET4_jRbjT5_SW_jjP12ihipStream_tbEUlT_E1_NS1_11comp_targetILNS1_3genE10ELNS1_11target_archE1200ELNS1_3gpuE4ELNS1_3repE0EEENS1_59segmented_radix_sort_warp_sort_small_config_static_selectorELNS0_4arch9wavefront6targetE0EEEvSK_.uses_vcc, 0
	.set _ZN7rocprim17ROCPRIM_400000_NS6detail17trampoline_kernelINS0_14default_configENS1_36segmented_radix_sort_config_selectorIslEEZNS1_25segmented_radix_sort_implIS3_Lb1EPKsPsPKlPlN2at6native12_GLOBAL__N_18offset_tEEE10hipError_tPvRmT1_PNSt15iterator_traitsISK_E10value_typeET2_T3_PNSL_ISQ_E10value_typeET4_jRbjT5_SW_jjP12ihipStream_tbEUlT_E1_NS1_11comp_targetILNS1_3genE10ELNS1_11target_archE1200ELNS1_3gpuE4ELNS1_3repE0EEENS1_59segmented_radix_sort_warp_sort_small_config_static_selectorELNS0_4arch9wavefront6targetE0EEEvSK_.uses_flat_scratch, 0
	.set _ZN7rocprim17ROCPRIM_400000_NS6detail17trampoline_kernelINS0_14default_configENS1_36segmented_radix_sort_config_selectorIslEEZNS1_25segmented_radix_sort_implIS3_Lb1EPKsPsPKlPlN2at6native12_GLOBAL__N_18offset_tEEE10hipError_tPvRmT1_PNSt15iterator_traitsISK_E10value_typeET2_T3_PNSL_ISQ_E10value_typeET4_jRbjT5_SW_jjP12ihipStream_tbEUlT_E1_NS1_11comp_targetILNS1_3genE10ELNS1_11target_archE1200ELNS1_3gpuE4ELNS1_3repE0EEENS1_59segmented_radix_sort_warp_sort_small_config_static_selectorELNS0_4arch9wavefront6targetE0EEEvSK_.has_dyn_sized_stack, 0
	.set _ZN7rocprim17ROCPRIM_400000_NS6detail17trampoline_kernelINS0_14default_configENS1_36segmented_radix_sort_config_selectorIslEEZNS1_25segmented_radix_sort_implIS3_Lb1EPKsPsPKlPlN2at6native12_GLOBAL__N_18offset_tEEE10hipError_tPvRmT1_PNSt15iterator_traitsISK_E10value_typeET2_T3_PNSL_ISQ_E10value_typeET4_jRbjT5_SW_jjP12ihipStream_tbEUlT_E1_NS1_11comp_targetILNS1_3genE10ELNS1_11target_archE1200ELNS1_3gpuE4ELNS1_3repE0EEENS1_59segmented_radix_sort_warp_sort_small_config_static_selectorELNS0_4arch9wavefront6targetE0EEEvSK_.has_recursion, 0
	.set _ZN7rocprim17ROCPRIM_400000_NS6detail17trampoline_kernelINS0_14default_configENS1_36segmented_radix_sort_config_selectorIslEEZNS1_25segmented_radix_sort_implIS3_Lb1EPKsPsPKlPlN2at6native12_GLOBAL__N_18offset_tEEE10hipError_tPvRmT1_PNSt15iterator_traitsISK_E10value_typeET2_T3_PNSL_ISQ_E10value_typeET4_jRbjT5_SW_jjP12ihipStream_tbEUlT_E1_NS1_11comp_targetILNS1_3genE10ELNS1_11target_archE1200ELNS1_3gpuE4ELNS1_3repE0EEENS1_59segmented_radix_sort_warp_sort_small_config_static_selectorELNS0_4arch9wavefront6targetE0EEEvSK_.has_indirect_call, 0
	.section	.AMDGPU.csdata,"",@progbits
; Kernel info:
; codeLenInByte = 0
; TotalNumSgprs: 0
; NumVgprs: 0
; ScratchSize: 0
; MemoryBound: 0
; FloatMode: 240
; IeeeMode: 1
; LDSByteSize: 0 bytes/workgroup (compile time only)
; SGPRBlocks: 0
; VGPRBlocks: 0
; NumSGPRsForWavesPerEU: 1
; NumVGPRsForWavesPerEU: 1
; Occupancy: 16
; WaveLimiterHint : 0
; COMPUTE_PGM_RSRC2:SCRATCH_EN: 0
; COMPUTE_PGM_RSRC2:USER_SGPR: 2
; COMPUTE_PGM_RSRC2:TRAP_HANDLER: 0
; COMPUTE_PGM_RSRC2:TGID_X_EN: 1
; COMPUTE_PGM_RSRC2:TGID_Y_EN: 0
; COMPUTE_PGM_RSRC2:TGID_Z_EN: 0
; COMPUTE_PGM_RSRC2:TIDIG_COMP_CNT: 0
	.section	.text._ZN7rocprim17ROCPRIM_400000_NS6detail17trampoline_kernelINS0_14default_configENS1_36segmented_radix_sort_config_selectorIslEEZNS1_25segmented_radix_sort_implIS3_Lb1EPKsPsPKlPlN2at6native12_GLOBAL__N_18offset_tEEE10hipError_tPvRmT1_PNSt15iterator_traitsISK_E10value_typeET2_T3_PNSL_ISQ_E10value_typeET4_jRbjT5_SW_jjP12ihipStream_tbEUlT_E1_NS1_11comp_targetILNS1_3genE9ELNS1_11target_archE1100ELNS1_3gpuE3ELNS1_3repE0EEENS1_59segmented_radix_sort_warp_sort_small_config_static_selectorELNS0_4arch9wavefront6targetE0EEEvSK_,"axG",@progbits,_ZN7rocprim17ROCPRIM_400000_NS6detail17trampoline_kernelINS0_14default_configENS1_36segmented_radix_sort_config_selectorIslEEZNS1_25segmented_radix_sort_implIS3_Lb1EPKsPsPKlPlN2at6native12_GLOBAL__N_18offset_tEEE10hipError_tPvRmT1_PNSt15iterator_traitsISK_E10value_typeET2_T3_PNSL_ISQ_E10value_typeET4_jRbjT5_SW_jjP12ihipStream_tbEUlT_E1_NS1_11comp_targetILNS1_3genE9ELNS1_11target_archE1100ELNS1_3gpuE3ELNS1_3repE0EEENS1_59segmented_radix_sort_warp_sort_small_config_static_selectorELNS0_4arch9wavefront6targetE0EEEvSK_,comdat
	.globl	_ZN7rocprim17ROCPRIM_400000_NS6detail17trampoline_kernelINS0_14default_configENS1_36segmented_radix_sort_config_selectorIslEEZNS1_25segmented_radix_sort_implIS3_Lb1EPKsPsPKlPlN2at6native12_GLOBAL__N_18offset_tEEE10hipError_tPvRmT1_PNSt15iterator_traitsISK_E10value_typeET2_T3_PNSL_ISQ_E10value_typeET4_jRbjT5_SW_jjP12ihipStream_tbEUlT_E1_NS1_11comp_targetILNS1_3genE9ELNS1_11target_archE1100ELNS1_3gpuE3ELNS1_3repE0EEENS1_59segmented_radix_sort_warp_sort_small_config_static_selectorELNS0_4arch9wavefront6targetE0EEEvSK_ ; -- Begin function _ZN7rocprim17ROCPRIM_400000_NS6detail17trampoline_kernelINS0_14default_configENS1_36segmented_radix_sort_config_selectorIslEEZNS1_25segmented_radix_sort_implIS3_Lb1EPKsPsPKlPlN2at6native12_GLOBAL__N_18offset_tEEE10hipError_tPvRmT1_PNSt15iterator_traitsISK_E10value_typeET2_T3_PNSL_ISQ_E10value_typeET4_jRbjT5_SW_jjP12ihipStream_tbEUlT_E1_NS1_11comp_targetILNS1_3genE9ELNS1_11target_archE1100ELNS1_3gpuE3ELNS1_3repE0EEENS1_59segmented_radix_sort_warp_sort_small_config_static_selectorELNS0_4arch9wavefront6targetE0EEEvSK_
	.p2align	8
	.type	_ZN7rocprim17ROCPRIM_400000_NS6detail17trampoline_kernelINS0_14default_configENS1_36segmented_radix_sort_config_selectorIslEEZNS1_25segmented_radix_sort_implIS3_Lb1EPKsPsPKlPlN2at6native12_GLOBAL__N_18offset_tEEE10hipError_tPvRmT1_PNSt15iterator_traitsISK_E10value_typeET2_T3_PNSL_ISQ_E10value_typeET4_jRbjT5_SW_jjP12ihipStream_tbEUlT_E1_NS1_11comp_targetILNS1_3genE9ELNS1_11target_archE1100ELNS1_3gpuE3ELNS1_3repE0EEENS1_59segmented_radix_sort_warp_sort_small_config_static_selectorELNS0_4arch9wavefront6targetE0EEEvSK_,@function
_ZN7rocprim17ROCPRIM_400000_NS6detail17trampoline_kernelINS0_14default_configENS1_36segmented_radix_sort_config_selectorIslEEZNS1_25segmented_radix_sort_implIS3_Lb1EPKsPsPKlPlN2at6native12_GLOBAL__N_18offset_tEEE10hipError_tPvRmT1_PNSt15iterator_traitsISK_E10value_typeET2_T3_PNSL_ISQ_E10value_typeET4_jRbjT5_SW_jjP12ihipStream_tbEUlT_E1_NS1_11comp_targetILNS1_3genE9ELNS1_11target_archE1100ELNS1_3gpuE3ELNS1_3repE0EEENS1_59segmented_radix_sort_warp_sort_small_config_static_selectorELNS0_4arch9wavefront6targetE0EEEvSK_: ; @_ZN7rocprim17ROCPRIM_400000_NS6detail17trampoline_kernelINS0_14default_configENS1_36segmented_radix_sort_config_selectorIslEEZNS1_25segmented_radix_sort_implIS3_Lb1EPKsPsPKlPlN2at6native12_GLOBAL__N_18offset_tEEE10hipError_tPvRmT1_PNSt15iterator_traitsISK_E10value_typeET2_T3_PNSL_ISQ_E10value_typeET4_jRbjT5_SW_jjP12ihipStream_tbEUlT_E1_NS1_11comp_targetILNS1_3genE9ELNS1_11target_archE1100ELNS1_3gpuE3ELNS1_3repE0EEENS1_59segmented_radix_sort_warp_sort_small_config_static_selectorELNS0_4arch9wavefront6targetE0EEEvSK_
; %bb.0:
	.section	.rodata,"a",@progbits
	.p2align	6, 0x0
	.amdhsa_kernel _ZN7rocprim17ROCPRIM_400000_NS6detail17trampoline_kernelINS0_14default_configENS1_36segmented_radix_sort_config_selectorIslEEZNS1_25segmented_radix_sort_implIS3_Lb1EPKsPsPKlPlN2at6native12_GLOBAL__N_18offset_tEEE10hipError_tPvRmT1_PNSt15iterator_traitsISK_E10value_typeET2_T3_PNSL_ISQ_E10value_typeET4_jRbjT5_SW_jjP12ihipStream_tbEUlT_E1_NS1_11comp_targetILNS1_3genE9ELNS1_11target_archE1100ELNS1_3gpuE3ELNS1_3repE0EEENS1_59segmented_radix_sort_warp_sort_small_config_static_selectorELNS0_4arch9wavefront6targetE0EEEvSK_
		.amdhsa_group_segment_fixed_size 0
		.amdhsa_private_segment_fixed_size 0
		.amdhsa_kernarg_size 88
		.amdhsa_user_sgpr_count 2
		.amdhsa_user_sgpr_dispatch_ptr 0
		.amdhsa_user_sgpr_queue_ptr 0
		.amdhsa_user_sgpr_kernarg_segment_ptr 1
		.amdhsa_user_sgpr_dispatch_id 0
		.amdhsa_user_sgpr_private_segment_size 0
		.amdhsa_wavefront_size32 1
		.amdhsa_uses_dynamic_stack 0
		.amdhsa_enable_private_segment 0
		.amdhsa_system_sgpr_workgroup_id_x 1
		.amdhsa_system_sgpr_workgroup_id_y 0
		.amdhsa_system_sgpr_workgroup_id_z 0
		.amdhsa_system_sgpr_workgroup_info 0
		.amdhsa_system_vgpr_workitem_id 0
		.amdhsa_next_free_vgpr 1
		.amdhsa_next_free_sgpr 1
		.amdhsa_reserve_vcc 0
		.amdhsa_float_round_mode_32 0
		.amdhsa_float_round_mode_16_64 0
		.amdhsa_float_denorm_mode_32 3
		.amdhsa_float_denorm_mode_16_64 3
		.amdhsa_fp16_overflow 0
		.amdhsa_workgroup_processor_mode 1
		.amdhsa_memory_ordered 1
		.amdhsa_forward_progress 1
		.amdhsa_inst_pref_size 0
		.amdhsa_round_robin_scheduling 0
		.amdhsa_exception_fp_ieee_invalid_op 0
		.amdhsa_exception_fp_denorm_src 0
		.amdhsa_exception_fp_ieee_div_zero 0
		.amdhsa_exception_fp_ieee_overflow 0
		.amdhsa_exception_fp_ieee_underflow 0
		.amdhsa_exception_fp_ieee_inexact 0
		.amdhsa_exception_int_div_zero 0
	.end_amdhsa_kernel
	.section	.text._ZN7rocprim17ROCPRIM_400000_NS6detail17trampoline_kernelINS0_14default_configENS1_36segmented_radix_sort_config_selectorIslEEZNS1_25segmented_radix_sort_implIS3_Lb1EPKsPsPKlPlN2at6native12_GLOBAL__N_18offset_tEEE10hipError_tPvRmT1_PNSt15iterator_traitsISK_E10value_typeET2_T3_PNSL_ISQ_E10value_typeET4_jRbjT5_SW_jjP12ihipStream_tbEUlT_E1_NS1_11comp_targetILNS1_3genE9ELNS1_11target_archE1100ELNS1_3gpuE3ELNS1_3repE0EEENS1_59segmented_radix_sort_warp_sort_small_config_static_selectorELNS0_4arch9wavefront6targetE0EEEvSK_,"axG",@progbits,_ZN7rocprim17ROCPRIM_400000_NS6detail17trampoline_kernelINS0_14default_configENS1_36segmented_radix_sort_config_selectorIslEEZNS1_25segmented_radix_sort_implIS3_Lb1EPKsPsPKlPlN2at6native12_GLOBAL__N_18offset_tEEE10hipError_tPvRmT1_PNSt15iterator_traitsISK_E10value_typeET2_T3_PNSL_ISQ_E10value_typeET4_jRbjT5_SW_jjP12ihipStream_tbEUlT_E1_NS1_11comp_targetILNS1_3genE9ELNS1_11target_archE1100ELNS1_3gpuE3ELNS1_3repE0EEENS1_59segmented_radix_sort_warp_sort_small_config_static_selectorELNS0_4arch9wavefront6targetE0EEEvSK_,comdat
.Lfunc_end939:
	.size	_ZN7rocprim17ROCPRIM_400000_NS6detail17trampoline_kernelINS0_14default_configENS1_36segmented_radix_sort_config_selectorIslEEZNS1_25segmented_radix_sort_implIS3_Lb1EPKsPsPKlPlN2at6native12_GLOBAL__N_18offset_tEEE10hipError_tPvRmT1_PNSt15iterator_traitsISK_E10value_typeET2_T3_PNSL_ISQ_E10value_typeET4_jRbjT5_SW_jjP12ihipStream_tbEUlT_E1_NS1_11comp_targetILNS1_3genE9ELNS1_11target_archE1100ELNS1_3gpuE3ELNS1_3repE0EEENS1_59segmented_radix_sort_warp_sort_small_config_static_selectorELNS0_4arch9wavefront6targetE0EEEvSK_, .Lfunc_end939-_ZN7rocprim17ROCPRIM_400000_NS6detail17trampoline_kernelINS0_14default_configENS1_36segmented_radix_sort_config_selectorIslEEZNS1_25segmented_radix_sort_implIS3_Lb1EPKsPsPKlPlN2at6native12_GLOBAL__N_18offset_tEEE10hipError_tPvRmT1_PNSt15iterator_traitsISK_E10value_typeET2_T3_PNSL_ISQ_E10value_typeET4_jRbjT5_SW_jjP12ihipStream_tbEUlT_E1_NS1_11comp_targetILNS1_3genE9ELNS1_11target_archE1100ELNS1_3gpuE3ELNS1_3repE0EEENS1_59segmented_radix_sort_warp_sort_small_config_static_selectorELNS0_4arch9wavefront6targetE0EEEvSK_
                                        ; -- End function
	.set _ZN7rocprim17ROCPRIM_400000_NS6detail17trampoline_kernelINS0_14default_configENS1_36segmented_radix_sort_config_selectorIslEEZNS1_25segmented_radix_sort_implIS3_Lb1EPKsPsPKlPlN2at6native12_GLOBAL__N_18offset_tEEE10hipError_tPvRmT1_PNSt15iterator_traitsISK_E10value_typeET2_T3_PNSL_ISQ_E10value_typeET4_jRbjT5_SW_jjP12ihipStream_tbEUlT_E1_NS1_11comp_targetILNS1_3genE9ELNS1_11target_archE1100ELNS1_3gpuE3ELNS1_3repE0EEENS1_59segmented_radix_sort_warp_sort_small_config_static_selectorELNS0_4arch9wavefront6targetE0EEEvSK_.num_vgpr, 0
	.set _ZN7rocprim17ROCPRIM_400000_NS6detail17trampoline_kernelINS0_14default_configENS1_36segmented_radix_sort_config_selectorIslEEZNS1_25segmented_radix_sort_implIS3_Lb1EPKsPsPKlPlN2at6native12_GLOBAL__N_18offset_tEEE10hipError_tPvRmT1_PNSt15iterator_traitsISK_E10value_typeET2_T3_PNSL_ISQ_E10value_typeET4_jRbjT5_SW_jjP12ihipStream_tbEUlT_E1_NS1_11comp_targetILNS1_3genE9ELNS1_11target_archE1100ELNS1_3gpuE3ELNS1_3repE0EEENS1_59segmented_radix_sort_warp_sort_small_config_static_selectorELNS0_4arch9wavefront6targetE0EEEvSK_.num_agpr, 0
	.set _ZN7rocprim17ROCPRIM_400000_NS6detail17trampoline_kernelINS0_14default_configENS1_36segmented_radix_sort_config_selectorIslEEZNS1_25segmented_radix_sort_implIS3_Lb1EPKsPsPKlPlN2at6native12_GLOBAL__N_18offset_tEEE10hipError_tPvRmT1_PNSt15iterator_traitsISK_E10value_typeET2_T3_PNSL_ISQ_E10value_typeET4_jRbjT5_SW_jjP12ihipStream_tbEUlT_E1_NS1_11comp_targetILNS1_3genE9ELNS1_11target_archE1100ELNS1_3gpuE3ELNS1_3repE0EEENS1_59segmented_radix_sort_warp_sort_small_config_static_selectorELNS0_4arch9wavefront6targetE0EEEvSK_.numbered_sgpr, 0
	.set _ZN7rocprim17ROCPRIM_400000_NS6detail17trampoline_kernelINS0_14default_configENS1_36segmented_radix_sort_config_selectorIslEEZNS1_25segmented_radix_sort_implIS3_Lb1EPKsPsPKlPlN2at6native12_GLOBAL__N_18offset_tEEE10hipError_tPvRmT1_PNSt15iterator_traitsISK_E10value_typeET2_T3_PNSL_ISQ_E10value_typeET4_jRbjT5_SW_jjP12ihipStream_tbEUlT_E1_NS1_11comp_targetILNS1_3genE9ELNS1_11target_archE1100ELNS1_3gpuE3ELNS1_3repE0EEENS1_59segmented_radix_sort_warp_sort_small_config_static_selectorELNS0_4arch9wavefront6targetE0EEEvSK_.num_named_barrier, 0
	.set _ZN7rocprim17ROCPRIM_400000_NS6detail17trampoline_kernelINS0_14default_configENS1_36segmented_radix_sort_config_selectorIslEEZNS1_25segmented_radix_sort_implIS3_Lb1EPKsPsPKlPlN2at6native12_GLOBAL__N_18offset_tEEE10hipError_tPvRmT1_PNSt15iterator_traitsISK_E10value_typeET2_T3_PNSL_ISQ_E10value_typeET4_jRbjT5_SW_jjP12ihipStream_tbEUlT_E1_NS1_11comp_targetILNS1_3genE9ELNS1_11target_archE1100ELNS1_3gpuE3ELNS1_3repE0EEENS1_59segmented_radix_sort_warp_sort_small_config_static_selectorELNS0_4arch9wavefront6targetE0EEEvSK_.private_seg_size, 0
	.set _ZN7rocprim17ROCPRIM_400000_NS6detail17trampoline_kernelINS0_14default_configENS1_36segmented_radix_sort_config_selectorIslEEZNS1_25segmented_radix_sort_implIS3_Lb1EPKsPsPKlPlN2at6native12_GLOBAL__N_18offset_tEEE10hipError_tPvRmT1_PNSt15iterator_traitsISK_E10value_typeET2_T3_PNSL_ISQ_E10value_typeET4_jRbjT5_SW_jjP12ihipStream_tbEUlT_E1_NS1_11comp_targetILNS1_3genE9ELNS1_11target_archE1100ELNS1_3gpuE3ELNS1_3repE0EEENS1_59segmented_radix_sort_warp_sort_small_config_static_selectorELNS0_4arch9wavefront6targetE0EEEvSK_.uses_vcc, 0
	.set _ZN7rocprim17ROCPRIM_400000_NS6detail17trampoline_kernelINS0_14default_configENS1_36segmented_radix_sort_config_selectorIslEEZNS1_25segmented_radix_sort_implIS3_Lb1EPKsPsPKlPlN2at6native12_GLOBAL__N_18offset_tEEE10hipError_tPvRmT1_PNSt15iterator_traitsISK_E10value_typeET2_T3_PNSL_ISQ_E10value_typeET4_jRbjT5_SW_jjP12ihipStream_tbEUlT_E1_NS1_11comp_targetILNS1_3genE9ELNS1_11target_archE1100ELNS1_3gpuE3ELNS1_3repE0EEENS1_59segmented_radix_sort_warp_sort_small_config_static_selectorELNS0_4arch9wavefront6targetE0EEEvSK_.uses_flat_scratch, 0
	.set _ZN7rocprim17ROCPRIM_400000_NS6detail17trampoline_kernelINS0_14default_configENS1_36segmented_radix_sort_config_selectorIslEEZNS1_25segmented_radix_sort_implIS3_Lb1EPKsPsPKlPlN2at6native12_GLOBAL__N_18offset_tEEE10hipError_tPvRmT1_PNSt15iterator_traitsISK_E10value_typeET2_T3_PNSL_ISQ_E10value_typeET4_jRbjT5_SW_jjP12ihipStream_tbEUlT_E1_NS1_11comp_targetILNS1_3genE9ELNS1_11target_archE1100ELNS1_3gpuE3ELNS1_3repE0EEENS1_59segmented_radix_sort_warp_sort_small_config_static_selectorELNS0_4arch9wavefront6targetE0EEEvSK_.has_dyn_sized_stack, 0
	.set _ZN7rocprim17ROCPRIM_400000_NS6detail17trampoline_kernelINS0_14default_configENS1_36segmented_radix_sort_config_selectorIslEEZNS1_25segmented_radix_sort_implIS3_Lb1EPKsPsPKlPlN2at6native12_GLOBAL__N_18offset_tEEE10hipError_tPvRmT1_PNSt15iterator_traitsISK_E10value_typeET2_T3_PNSL_ISQ_E10value_typeET4_jRbjT5_SW_jjP12ihipStream_tbEUlT_E1_NS1_11comp_targetILNS1_3genE9ELNS1_11target_archE1100ELNS1_3gpuE3ELNS1_3repE0EEENS1_59segmented_radix_sort_warp_sort_small_config_static_selectorELNS0_4arch9wavefront6targetE0EEEvSK_.has_recursion, 0
	.set _ZN7rocprim17ROCPRIM_400000_NS6detail17trampoline_kernelINS0_14default_configENS1_36segmented_radix_sort_config_selectorIslEEZNS1_25segmented_radix_sort_implIS3_Lb1EPKsPsPKlPlN2at6native12_GLOBAL__N_18offset_tEEE10hipError_tPvRmT1_PNSt15iterator_traitsISK_E10value_typeET2_T3_PNSL_ISQ_E10value_typeET4_jRbjT5_SW_jjP12ihipStream_tbEUlT_E1_NS1_11comp_targetILNS1_3genE9ELNS1_11target_archE1100ELNS1_3gpuE3ELNS1_3repE0EEENS1_59segmented_radix_sort_warp_sort_small_config_static_selectorELNS0_4arch9wavefront6targetE0EEEvSK_.has_indirect_call, 0
	.section	.AMDGPU.csdata,"",@progbits
; Kernel info:
; codeLenInByte = 0
; TotalNumSgprs: 0
; NumVgprs: 0
; ScratchSize: 0
; MemoryBound: 0
; FloatMode: 240
; IeeeMode: 1
; LDSByteSize: 0 bytes/workgroup (compile time only)
; SGPRBlocks: 0
; VGPRBlocks: 0
; NumSGPRsForWavesPerEU: 1
; NumVGPRsForWavesPerEU: 1
; Occupancy: 16
; WaveLimiterHint : 0
; COMPUTE_PGM_RSRC2:SCRATCH_EN: 0
; COMPUTE_PGM_RSRC2:USER_SGPR: 2
; COMPUTE_PGM_RSRC2:TRAP_HANDLER: 0
; COMPUTE_PGM_RSRC2:TGID_X_EN: 1
; COMPUTE_PGM_RSRC2:TGID_Y_EN: 0
; COMPUTE_PGM_RSRC2:TGID_Z_EN: 0
; COMPUTE_PGM_RSRC2:TIDIG_COMP_CNT: 0
	.section	.text._ZN7rocprim17ROCPRIM_400000_NS6detail17trampoline_kernelINS0_14default_configENS1_36segmented_radix_sort_config_selectorIslEEZNS1_25segmented_radix_sort_implIS3_Lb1EPKsPsPKlPlN2at6native12_GLOBAL__N_18offset_tEEE10hipError_tPvRmT1_PNSt15iterator_traitsISK_E10value_typeET2_T3_PNSL_ISQ_E10value_typeET4_jRbjT5_SW_jjP12ihipStream_tbEUlT_E1_NS1_11comp_targetILNS1_3genE8ELNS1_11target_archE1030ELNS1_3gpuE2ELNS1_3repE0EEENS1_59segmented_radix_sort_warp_sort_small_config_static_selectorELNS0_4arch9wavefront6targetE0EEEvSK_,"axG",@progbits,_ZN7rocprim17ROCPRIM_400000_NS6detail17trampoline_kernelINS0_14default_configENS1_36segmented_radix_sort_config_selectorIslEEZNS1_25segmented_radix_sort_implIS3_Lb1EPKsPsPKlPlN2at6native12_GLOBAL__N_18offset_tEEE10hipError_tPvRmT1_PNSt15iterator_traitsISK_E10value_typeET2_T3_PNSL_ISQ_E10value_typeET4_jRbjT5_SW_jjP12ihipStream_tbEUlT_E1_NS1_11comp_targetILNS1_3genE8ELNS1_11target_archE1030ELNS1_3gpuE2ELNS1_3repE0EEENS1_59segmented_radix_sort_warp_sort_small_config_static_selectorELNS0_4arch9wavefront6targetE0EEEvSK_,comdat
	.globl	_ZN7rocprim17ROCPRIM_400000_NS6detail17trampoline_kernelINS0_14default_configENS1_36segmented_radix_sort_config_selectorIslEEZNS1_25segmented_radix_sort_implIS3_Lb1EPKsPsPKlPlN2at6native12_GLOBAL__N_18offset_tEEE10hipError_tPvRmT1_PNSt15iterator_traitsISK_E10value_typeET2_T3_PNSL_ISQ_E10value_typeET4_jRbjT5_SW_jjP12ihipStream_tbEUlT_E1_NS1_11comp_targetILNS1_3genE8ELNS1_11target_archE1030ELNS1_3gpuE2ELNS1_3repE0EEENS1_59segmented_radix_sort_warp_sort_small_config_static_selectorELNS0_4arch9wavefront6targetE0EEEvSK_ ; -- Begin function _ZN7rocprim17ROCPRIM_400000_NS6detail17trampoline_kernelINS0_14default_configENS1_36segmented_radix_sort_config_selectorIslEEZNS1_25segmented_radix_sort_implIS3_Lb1EPKsPsPKlPlN2at6native12_GLOBAL__N_18offset_tEEE10hipError_tPvRmT1_PNSt15iterator_traitsISK_E10value_typeET2_T3_PNSL_ISQ_E10value_typeET4_jRbjT5_SW_jjP12ihipStream_tbEUlT_E1_NS1_11comp_targetILNS1_3genE8ELNS1_11target_archE1030ELNS1_3gpuE2ELNS1_3repE0EEENS1_59segmented_radix_sort_warp_sort_small_config_static_selectorELNS0_4arch9wavefront6targetE0EEEvSK_
	.p2align	8
	.type	_ZN7rocprim17ROCPRIM_400000_NS6detail17trampoline_kernelINS0_14default_configENS1_36segmented_radix_sort_config_selectorIslEEZNS1_25segmented_radix_sort_implIS3_Lb1EPKsPsPKlPlN2at6native12_GLOBAL__N_18offset_tEEE10hipError_tPvRmT1_PNSt15iterator_traitsISK_E10value_typeET2_T3_PNSL_ISQ_E10value_typeET4_jRbjT5_SW_jjP12ihipStream_tbEUlT_E1_NS1_11comp_targetILNS1_3genE8ELNS1_11target_archE1030ELNS1_3gpuE2ELNS1_3repE0EEENS1_59segmented_radix_sort_warp_sort_small_config_static_selectorELNS0_4arch9wavefront6targetE0EEEvSK_,@function
_ZN7rocprim17ROCPRIM_400000_NS6detail17trampoline_kernelINS0_14default_configENS1_36segmented_radix_sort_config_selectorIslEEZNS1_25segmented_radix_sort_implIS3_Lb1EPKsPsPKlPlN2at6native12_GLOBAL__N_18offset_tEEE10hipError_tPvRmT1_PNSt15iterator_traitsISK_E10value_typeET2_T3_PNSL_ISQ_E10value_typeET4_jRbjT5_SW_jjP12ihipStream_tbEUlT_E1_NS1_11comp_targetILNS1_3genE8ELNS1_11target_archE1030ELNS1_3gpuE2ELNS1_3repE0EEENS1_59segmented_radix_sort_warp_sort_small_config_static_selectorELNS0_4arch9wavefront6targetE0EEEvSK_: ; @_ZN7rocprim17ROCPRIM_400000_NS6detail17trampoline_kernelINS0_14default_configENS1_36segmented_radix_sort_config_selectorIslEEZNS1_25segmented_radix_sort_implIS3_Lb1EPKsPsPKlPlN2at6native12_GLOBAL__N_18offset_tEEE10hipError_tPvRmT1_PNSt15iterator_traitsISK_E10value_typeET2_T3_PNSL_ISQ_E10value_typeET4_jRbjT5_SW_jjP12ihipStream_tbEUlT_E1_NS1_11comp_targetILNS1_3genE8ELNS1_11target_archE1030ELNS1_3gpuE2ELNS1_3repE0EEENS1_59segmented_radix_sort_warp_sort_small_config_static_selectorELNS0_4arch9wavefront6targetE0EEEvSK_
; %bb.0:
	.section	.rodata,"a",@progbits
	.p2align	6, 0x0
	.amdhsa_kernel _ZN7rocprim17ROCPRIM_400000_NS6detail17trampoline_kernelINS0_14default_configENS1_36segmented_radix_sort_config_selectorIslEEZNS1_25segmented_radix_sort_implIS3_Lb1EPKsPsPKlPlN2at6native12_GLOBAL__N_18offset_tEEE10hipError_tPvRmT1_PNSt15iterator_traitsISK_E10value_typeET2_T3_PNSL_ISQ_E10value_typeET4_jRbjT5_SW_jjP12ihipStream_tbEUlT_E1_NS1_11comp_targetILNS1_3genE8ELNS1_11target_archE1030ELNS1_3gpuE2ELNS1_3repE0EEENS1_59segmented_radix_sort_warp_sort_small_config_static_selectorELNS0_4arch9wavefront6targetE0EEEvSK_
		.amdhsa_group_segment_fixed_size 0
		.amdhsa_private_segment_fixed_size 0
		.amdhsa_kernarg_size 88
		.amdhsa_user_sgpr_count 2
		.amdhsa_user_sgpr_dispatch_ptr 0
		.amdhsa_user_sgpr_queue_ptr 0
		.amdhsa_user_sgpr_kernarg_segment_ptr 1
		.amdhsa_user_sgpr_dispatch_id 0
		.amdhsa_user_sgpr_private_segment_size 0
		.amdhsa_wavefront_size32 1
		.amdhsa_uses_dynamic_stack 0
		.amdhsa_enable_private_segment 0
		.amdhsa_system_sgpr_workgroup_id_x 1
		.amdhsa_system_sgpr_workgroup_id_y 0
		.amdhsa_system_sgpr_workgroup_id_z 0
		.amdhsa_system_sgpr_workgroup_info 0
		.amdhsa_system_vgpr_workitem_id 0
		.amdhsa_next_free_vgpr 1
		.amdhsa_next_free_sgpr 1
		.amdhsa_reserve_vcc 0
		.amdhsa_float_round_mode_32 0
		.amdhsa_float_round_mode_16_64 0
		.amdhsa_float_denorm_mode_32 3
		.amdhsa_float_denorm_mode_16_64 3
		.amdhsa_fp16_overflow 0
		.amdhsa_workgroup_processor_mode 1
		.amdhsa_memory_ordered 1
		.amdhsa_forward_progress 1
		.amdhsa_inst_pref_size 0
		.amdhsa_round_robin_scheduling 0
		.amdhsa_exception_fp_ieee_invalid_op 0
		.amdhsa_exception_fp_denorm_src 0
		.amdhsa_exception_fp_ieee_div_zero 0
		.amdhsa_exception_fp_ieee_overflow 0
		.amdhsa_exception_fp_ieee_underflow 0
		.amdhsa_exception_fp_ieee_inexact 0
		.amdhsa_exception_int_div_zero 0
	.end_amdhsa_kernel
	.section	.text._ZN7rocprim17ROCPRIM_400000_NS6detail17trampoline_kernelINS0_14default_configENS1_36segmented_radix_sort_config_selectorIslEEZNS1_25segmented_radix_sort_implIS3_Lb1EPKsPsPKlPlN2at6native12_GLOBAL__N_18offset_tEEE10hipError_tPvRmT1_PNSt15iterator_traitsISK_E10value_typeET2_T3_PNSL_ISQ_E10value_typeET4_jRbjT5_SW_jjP12ihipStream_tbEUlT_E1_NS1_11comp_targetILNS1_3genE8ELNS1_11target_archE1030ELNS1_3gpuE2ELNS1_3repE0EEENS1_59segmented_radix_sort_warp_sort_small_config_static_selectorELNS0_4arch9wavefront6targetE0EEEvSK_,"axG",@progbits,_ZN7rocprim17ROCPRIM_400000_NS6detail17trampoline_kernelINS0_14default_configENS1_36segmented_radix_sort_config_selectorIslEEZNS1_25segmented_radix_sort_implIS3_Lb1EPKsPsPKlPlN2at6native12_GLOBAL__N_18offset_tEEE10hipError_tPvRmT1_PNSt15iterator_traitsISK_E10value_typeET2_T3_PNSL_ISQ_E10value_typeET4_jRbjT5_SW_jjP12ihipStream_tbEUlT_E1_NS1_11comp_targetILNS1_3genE8ELNS1_11target_archE1030ELNS1_3gpuE2ELNS1_3repE0EEENS1_59segmented_radix_sort_warp_sort_small_config_static_selectorELNS0_4arch9wavefront6targetE0EEEvSK_,comdat
.Lfunc_end940:
	.size	_ZN7rocprim17ROCPRIM_400000_NS6detail17trampoline_kernelINS0_14default_configENS1_36segmented_radix_sort_config_selectorIslEEZNS1_25segmented_radix_sort_implIS3_Lb1EPKsPsPKlPlN2at6native12_GLOBAL__N_18offset_tEEE10hipError_tPvRmT1_PNSt15iterator_traitsISK_E10value_typeET2_T3_PNSL_ISQ_E10value_typeET4_jRbjT5_SW_jjP12ihipStream_tbEUlT_E1_NS1_11comp_targetILNS1_3genE8ELNS1_11target_archE1030ELNS1_3gpuE2ELNS1_3repE0EEENS1_59segmented_radix_sort_warp_sort_small_config_static_selectorELNS0_4arch9wavefront6targetE0EEEvSK_, .Lfunc_end940-_ZN7rocprim17ROCPRIM_400000_NS6detail17trampoline_kernelINS0_14default_configENS1_36segmented_radix_sort_config_selectorIslEEZNS1_25segmented_radix_sort_implIS3_Lb1EPKsPsPKlPlN2at6native12_GLOBAL__N_18offset_tEEE10hipError_tPvRmT1_PNSt15iterator_traitsISK_E10value_typeET2_T3_PNSL_ISQ_E10value_typeET4_jRbjT5_SW_jjP12ihipStream_tbEUlT_E1_NS1_11comp_targetILNS1_3genE8ELNS1_11target_archE1030ELNS1_3gpuE2ELNS1_3repE0EEENS1_59segmented_radix_sort_warp_sort_small_config_static_selectorELNS0_4arch9wavefront6targetE0EEEvSK_
                                        ; -- End function
	.set _ZN7rocprim17ROCPRIM_400000_NS6detail17trampoline_kernelINS0_14default_configENS1_36segmented_radix_sort_config_selectorIslEEZNS1_25segmented_radix_sort_implIS3_Lb1EPKsPsPKlPlN2at6native12_GLOBAL__N_18offset_tEEE10hipError_tPvRmT1_PNSt15iterator_traitsISK_E10value_typeET2_T3_PNSL_ISQ_E10value_typeET4_jRbjT5_SW_jjP12ihipStream_tbEUlT_E1_NS1_11comp_targetILNS1_3genE8ELNS1_11target_archE1030ELNS1_3gpuE2ELNS1_3repE0EEENS1_59segmented_radix_sort_warp_sort_small_config_static_selectorELNS0_4arch9wavefront6targetE0EEEvSK_.num_vgpr, 0
	.set _ZN7rocprim17ROCPRIM_400000_NS6detail17trampoline_kernelINS0_14default_configENS1_36segmented_radix_sort_config_selectorIslEEZNS1_25segmented_radix_sort_implIS3_Lb1EPKsPsPKlPlN2at6native12_GLOBAL__N_18offset_tEEE10hipError_tPvRmT1_PNSt15iterator_traitsISK_E10value_typeET2_T3_PNSL_ISQ_E10value_typeET4_jRbjT5_SW_jjP12ihipStream_tbEUlT_E1_NS1_11comp_targetILNS1_3genE8ELNS1_11target_archE1030ELNS1_3gpuE2ELNS1_3repE0EEENS1_59segmented_radix_sort_warp_sort_small_config_static_selectorELNS0_4arch9wavefront6targetE0EEEvSK_.num_agpr, 0
	.set _ZN7rocprim17ROCPRIM_400000_NS6detail17trampoline_kernelINS0_14default_configENS1_36segmented_radix_sort_config_selectorIslEEZNS1_25segmented_radix_sort_implIS3_Lb1EPKsPsPKlPlN2at6native12_GLOBAL__N_18offset_tEEE10hipError_tPvRmT1_PNSt15iterator_traitsISK_E10value_typeET2_T3_PNSL_ISQ_E10value_typeET4_jRbjT5_SW_jjP12ihipStream_tbEUlT_E1_NS1_11comp_targetILNS1_3genE8ELNS1_11target_archE1030ELNS1_3gpuE2ELNS1_3repE0EEENS1_59segmented_radix_sort_warp_sort_small_config_static_selectorELNS0_4arch9wavefront6targetE0EEEvSK_.numbered_sgpr, 0
	.set _ZN7rocprim17ROCPRIM_400000_NS6detail17trampoline_kernelINS0_14default_configENS1_36segmented_radix_sort_config_selectorIslEEZNS1_25segmented_radix_sort_implIS3_Lb1EPKsPsPKlPlN2at6native12_GLOBAL__N_18offset_tEEE10hipError_tPvRmT1_PNSt15iterator_traitsISK_E10value_typeET2_T3_PNSL_ISQ_E10value_typeET4_jRbjT5_SW_jjP12ihipStream_tbEUlT_E1_NS1_11comp_targetILNS1_3genE8ELNS1_11target_archE1030ELNS1_3gpuE2ELNS1_3repE0EEENS1_59segmented_radix_sort_warp_sort_small_config_static_selectorELNS0_4arch9wavefront6targetE0EEEvSK_.num_named_barrier, 0
	.set _ZN7rocprim17ROCPRIM_400000_NS6detail17trampoline_kernelINS0_14default_configENS1_36segmented_radix_sort_config_selectorIslEEZNS1_25segmented_radix_sort_implIS3_Lb1EPKsPsPKlPlN2at6native12_GLOBAL__N_18offset_tEEE10hipError_tPvRmT1_PNSt15iterator_traitsISK_E10value_typeET2_T3_PNSL_ISQ_E10value_typeET4_jRbjT5_SW_jjP12ihipStream_tbEUlT_E1_NS1_11comp_targetILNS1_3genE8ELNS1_11target_archE1030ELNS1_3gpuE2ELNS1_3repE0EEENS1_59segmented_radix_sort_warp_sort_small_config_static_selectorELNS0_4arch9wavefront6targetE0EEEvSK_.private_seg_size, 0
	.set _ZN7rocprim17ROCPRIM_400000_NS6detail17trampoline_kernelINS0_14default_configENS1_36segmented_radix_sort_config_selectorIslEEZNS1_25segmented_radix_sort_implIS3_Lb1EPKsPsPKlPlN2at6native12_GLOBAL__N_18offset_tEEE10hipError_tPvRmT1_PNSt15iterator_traitsISK_E10value_typeET2_T3_PNSL_ISQ_E10value_typeET4_jRbjT5_SW_jjP12ihipStream_tbEUlT_E1_NS1_11comp_targetILNS1_3genE8ELNS1_11target_archE1030ELNS1_3gpuE2ELNS1_3repE0EEENS1_59segmented_radix_sort_warp_sort_small_config_static_selectorELNS0_4arch9wavefront6targetE0EEEvSK_.uses_vcc, 0
	.set _ZN7rocprim17ROCPRIM_400000_NS6detail17trampoline_kernelINS0_14default_configENS1_36segmented_radix_sort_config_selectorIslEEZNS1_25segmented_radix_sort_implIS3_Lb1EPKsPsPKlPlN2at6native12_GLOBAL__N_18offset_tEEE10hipError_tPvRmT1_PNSt15iterator_traitsISK_E10value_typeET2_T3_PNSL_ISQ_E10value_typeET4_jRbjT5_SW_jjP12ihipStream_tbEUlT_E1_NS1_11comp_targetILNS1_3genE8ELNS1_11target_archE1030ELNS1_3gpuE2ELNS1_3repE0EEENS1_59segmented_radix_sort_warp_sort_small_config_static_selectorELNS0_4arch9wavefront6targetE0EEEvSK_.uses_flat_scratch, 0
	.set _ZN7rocprim17ROCPRIM_400000_NS6detail17trampoline_kernelINS0_14default_configENS1_36segmented_radix_sort_config_selectorIslEEZNS1_25segmented_radix_sort_implIS3_Lb1EPKsPsPKlPlN2at6native12_GLOBAL__N_18offset_tEEE10hipError_tPvRmT1_PNSt15iterator_traitsISK_E10value_typeET2_T3_PNSL_ISQ_E10value_typeET4_jRbjT5_SW_jjP12ihipStream_tbEUlT_E1_NS1_11comp_targetILNS1_3genE8ELNS1_11target_archE1030ELNS1_3gpuE2ELNS1_3repE0EEENS1_59segmented_radix_sort_warp_sort_small_config_static_selectorELNS0_4arch9wavefront6targetE0EEEvSK_.has_dyn_sized_stack, 0
	.set _ZN7rocprim17ROCPRIM_400000_NS6detail17trampoline_kernelINS0_14default_configENS1_36segmented_radix_sort_config_selectorIslEEZNS1_25segmented_radix_sort_implIS3_Lb1EPKsPsPKlPlN2at6native12_GLOBAL__N_18offset_tEEE10hipError_tPvRmT1_PNSt15iterator_traitsISK_E10value_typeET2_T3_PNSL_ISQ_E10value_typeET4_jRbjT5_SW_jjP12ihipStream_tbEUlT_E1_NS1_11comp_targetILNS1_3genE8ELNS1_11target_archE1030ELNS1_3gpuE2ELNS1_3repE0EEENS1_59segmented_radix_sort_warp_sort_small_config_static_selectorELNS0_4arch9wavefront6targetE0EEEvSK_.has_recursion, 0
	.set _ZN7rocprim17ROCPRIM_400000_NS6detail17trampoline_kernelINS0_14default_configENS1_36segmented_radix_sort_config_selectorIslEEZNS1_25segmented_radix_sort_implIS3_Lb1EPKsPsPKlPlN2at6native12_GLOBAL__N_18offset_tEEE10hipError_tPvRmT1_PNSt15iterator_traitsISK_E10value_typeET2_T3_PNSL_ISQ_E10value_typeET4_jRbjT5_SW_jjP12ihipStream_tbEUlT_E1_NS1_11comp_targetILNS1_3genE8ELNS1_11target_archE1030ELNS1_3gpuE2ELNS1_3repE0EEENS1_59segmented_radix_sort_warp_sort_small_config_static_selectorELNS0_4arch9wavefront6targetE0EEEvSK_.has_indirect_call, 0
	.section	.AMDGPU.csdata,"",@progbits
; Kernel info:
; codeLenInByte = 0
; TotalNumSgprs: 0
; NumVgprs: 0
; ScratchSize: 0
; MemoryBound: 0
; FloatMode: 240
; IeeeMode: 1
; LDSByteSize: 0 bytes/workgroup (compile time only)
; SGPRBlocks: 0
; VGPRBlocks: 0
; NumSGPRsForWavesPerEU: 1
; NumVGPRsForWavesPerEU: 1
; Occupancy: 16
; WaveLimiterHint : 0
; COMPUTE_PGM_RSRC2:SCRATCH_EN: 0
; COMPUTE_PGM_RSRC2:USER_SGPR: 2
; COMPUTE_PGM_RSRC2:TRAP_HANDLER: 0
; COMPUTE_PGM_RSRC2:TGID_X_EN: 1
; COMPUTE_PGM_RSRC2:TGID_Y_EN: 0
; COMPUTE_PGM_RSRC2:TGID_Z_EN: 0
; COMPUTE_PGM_RSRC2:TIDIG_COMP_CNT: 0
	.section	.text._ZN7rocprim17ROCPRIM_400000_NS6detail17trampoline_kernelINS0_14default_configENS1_36segmented_radix_sort_config_selectorIslEEZNS1_25segmented_radix_sort_implIS3_Lb1EPKsPsPKlPlN2at6native12_GLOBAL__N_18offset_tEEE10hipError_tPvRmT1_PNSt15iterator_traitsISK_E10value_typeET2_T3_PNSL_ISQ_E10value_typeET4_jRbjT5_SW_jjP12ihipStream_tbEUlT_E2_NS1_11comp_targetILNS1_3genE0ELNS1_11target_archE4294967295ELNS1_3gpuE0ELNS1_3repE0EEENS1_30default_config_static_selectorELNS0_4arch9wavefront6targetE0EEEvSK_,"axG",@progbits,_ZN7rocprim17ROCPRIM_400000_NS6detail17trampoline_kernelINS0_14default_configENS1_36segmented_radix_sort_config_selectorIslEEZNS1_25segmented_radix_sort_implIS3_Lb1EPKsPsPKlPlN2at6native12_GLOBAL__N_18offset_tEEE10hipError_tPvRmT1_PNSt15iterator_traitsISK_E10value_typeET2_T3_PNSL_ISQ_E10value_typeET4_jRbjT5_SW_jjP12ihipStream_tbEUlT_E2_NS1_11comp_targetILNS1_3genE0ELNS1_11target_archE4294967295ELNS1_3gpuE0ELNS1_3repE0EEENS1_30default_config_static_selectorELNS0_4arch9wavefront6targetE0EEEvSK_,comdat
	.globl	_ZN7rocprim17ROCPRIM_400000_NS6detail17trampoline_kernelINS0_14default_configENS1_36segmented_radix_sort_config_selectorIslEEZNS1_25segmented_radix_sort_implIS3_Lb1EPKsPsPKlPlN2at6native12_GLOBAL__N_18offset_tEEE10hipError_tPvRmT1_PNSt15iterator_traitsISK_E10value_typeET2_T3_PNSL_ISQ_E10value_typeET4_jRbjT5_SW_jjP12ihipStream_tbEUlT_E2_NS1_11comp_targetILNS1_3genE0ELNS1_11target_archE4294967295ELNS1_3gpuE0ELNS1_3repE0EEENS1_30default_config_static_selectorELNS0_4arch9wavefront6targetE0EEEvSK_ ; -- Begin function _ZN7rocprim17ROCPRIM_400000_NS6detail17trampoline_kernelINS0_14default_configENS1_36segmented_radix_sort_config_selectorIslEEZNS1_25segmented_radix_sort_implIS3_Lb1EPKsPsPKlPlN2at6native12_GLOBAL__N_18offset_tEEE10hipError_tPvRmT1_PNSt15iterator_traitsISK_E10value_typeET2_T3_PNSL_ISQ_E10value_typeET4_jRbjT5_SW_jjP12ihipStream_tbEUlT_E2_NS1_11comp_targetILNS1_3genE0ELNS1_11target_archE4294967295ELNS1_3gpuE0ELNS1_3repE0EEENS1_30default_config_static_selectorELNS0_4arch9wavefront6targetE0EEEvSK_
	.p2align	8
	.type	_ZN7rocprim17ROCPRIM_400000_NS6detail17trampoline_kernelINS0_14default_configENS1_36segmented_radix_sort_config_selectorIslEEZNS1_25segmented_radix_sort_implIS3_Lb1EPKsPsPKlPlN2at6native12_GLOBAL__N_18offset_tEEE10hipError_tPvRmT1_PNSt15iterator_traitsISK_E10value_typeET2_T3_PNSL_ISQ_E10value_typeET4_jRbjT5_SW_jjP12ihipStream_tbEUlT_E2_NS1_11comp_targetILNS1_3genE0ELNS1_11target_archE4294967295ELNS1_3gpuE0ELNS1_3repE0EEENS1_30default_config_static_selectorELNS0_4arch9wavefront6targetE0EEEvSK_,@function
_ZN7rocprim17ROCPRIM_400000_NS6detail17trampoline_kernelINS0_14default_configENS1_36segmented_radix_sort_config_selectorIslEEZNS1_25segmented_radix_sort_implIS3_Lb1EPKsPsPKlPlN2at6native12_GLOBAL__N_18offset_tEEE10hipError_tPvRmT1_PNSt15iterator_traitsISK_E10value_typeET2_T3_PNSL_ISQ_E10value_typeET4_jRbjT5_SW_jjP12ihipStream_tbEUlT_E2_NS1_11comp_targetILNS1_3genE0ELNS1_11target_archE4294967295ELNS1_3gpuE0ELNS1_3repE0EEENS1_30default_config_static_selectorELNS0_4arch9wavefront6targetE0EEEvSK_: ; @_ZN7rocprim17ROCPRIM_400000_NS6detail17trampoline_kernelINS0_14default_configENS1_36segmented_radix_sort_config_selectorIslEEZNS1_25segmented_radix_sort_implIS3_Lb1EPKsPsPKlPlN2at6native12_GLOBAL__N_18offset_tEEE10hipError_tPvRmT1_PNSt15iterator_traitsISK_E10value_typeET2_T3_PNSL_ISQ_E10value_typeET4_jRbjT5_SW_jjP12ihipStream_tbEUlT_E2_NS1_11comp_targetILNS1_3genE0ELNS1_11target_archE4294967295ELNS1_3gpuE0ELNS1_3repE0EEENS1_30default_config_static_selectorELNS0_4arch9wavefront6targetE0EEEvSK_
; %bb.0:
	.section	.rodata,"a",@progbits
	.p2align	6, 0x0
	.amdhsa_kernel _ZN7rocprim17ROCPRIM_400000_NS6detail17trampoline_kernelINS0_14default_configENS1_36segmented_radix_sort_config_selectorIslEEZNS1_25segmented_radix_sort_implIS3_Lb1EPKsPsPKlPlN2at6native12_GLOBAL__N_18offset_tEEE10hipError_tPvRmT1_PNSt15iterator_traitsISK_E10value_typeET2_T3_PNSL_ISQ_E10value_typeET4_jRbjT5_SW_jjP12ihipStream_tbEUlT_E2_NS1_11comp_targetILNS1_3genE0ELNS1_11target_archE4294967295ELNS1_3gpuE0ELNS1_3repE0EEENS1_30default_config_static_selectorELNS0_4arch9wavefront6targetE0EEEvSK_
		.amdhsa_group_segment_fixed_size 0
		.amdhsa_private_segment_fixed_size 0
		.amdhsa_kernarg_size 80
		.amdhsa_user_sgpr_count 2
		.amdhsa_user_sgpr_dispatch_ptr 0
		.amdhsa_user_sgpr_queue_ptr 0
		.amdhsa_user_sgpr_kernarg_segment_ptr 1
		.amdhsa_user_sgpr_dispatch_id 0
		.amdhsa_user_sgpr_private_segment_size 0
		.amdhsa_wavefront_size32 1
		.amdhsa_uses_dynamic_stack 0
		.amdhsa_enable_private_segment 0
		.amdhsa_system_sgpr_workgroup_id_x 1
		.amdhsa_system_sgpr_workgroup_id_y 0
		.amdhsa_system_sgpr_workgroup_id_z 0
		.amdhsa_system_sgpr_workgroup_info 0
		.amdhsa_system_vgpr_workitem_id 0
		.amdhsa_next_free_vgpr 1
		.amdhsa_next_free_sgpr 1
		.amdhsa_reserve_vcc 0
		.amdhsa_float_round_mode_32 0
		.amdhsa_float_round_mode_16_64 0
		.amdhsa_float_denorm_mode_32 3
		.amdhsa_float_denorm_mode_16_64 3
		.amdhsa_fp16_overflow 0
		.amdhsa_workgroup_processor_mode 1
		.amdhsa_memory_ordered 1
		.amdhsa_forward_progress 1
		.amdhsa_inst_pref_size 0
		.amdhsa_round_robin_scheduling 0
		.amdhsa_exception_fp_ieee_invalid_op 0
		.amdhsa_exception_fp_denorm_src 0
		.amdhsa_exception_fp_ieee_div_zero 0
		.amdhsa_exception_fp_ieee_overflow 0
		.amdhsa_exception_fp_ieee_underflow 0
		.amdhsa_exception_fp_ieee_inexact 0
		.amdhsa_exception_int_div_zero 0
	.end_amdhsa_kernel
	.section	.text._ZN7rocprim17ROCPRIM_400000_NS6detail17trampoline_kernelINS0_14default_configENS1_36segmented_radix_sort_config_selectorIslEEZNS1_25segmented_radix_sort_implIS3_Lb1EPKsPsPKlPlN2at6native12_GLOBAL__N_18offset_tEEE10hipError_tPvRmT1_PNSt15iterator_traitsISK_E10value_typeET2_T3_PNSL_ISQ_E10value_typeET4_jRbjT5_SW_jjP12ihipStream_tbEUlT_E2_NS1_11comp_targetILNS1_3genE0ELNS1_11target_archE4294967295ELNS1_3gpuE0ELNS1_3repE0EEENS1_30default_config_static_selectorELNS0_4arch9wavefront6targetE0EEEvSK_,"axG",@progbits,_ZN7rocprim17ROCPRIM_400000_NS6detail17trampoline_kernelINS0_14default_configENS1_36segmented_radix_sort_config_selectorIslEEZNS1_25segmented_radix_sort_implIS3_Lb1EPKsPsPKlPlN2at6native12_GLOBAL__N_18offset_tEEE10hipError_tPvRmT1_PNSt15iterator_traitsISK_E10value_typeET2_T3_PNSL_ISQ_E10value_typeET4_jRbjT5_SW_jjP12ihipStream_tbEUlT_E2_NS1_11comp_targetILNS1_3genE0ELNS1_11target_archE4294967295ELNS1_3gpuE0ELNS1_3repE0EEENS1_30default_config_static_selectorELNS0_4arch9wavefront6targetE0EEEvSK_,comdat
.Lfunc_end941:
	.size	_ZN7rocprim17ROCPRIM_400000_NS6detail17trampoline_kernelINS0_14default_configENS1_36segmented_radix_sort_config_selectorIslEEZNS1_25segmented_radix_sort_implIS3_Lb1EPKsPsPKlPlN2at6native12_GLOBAL__N_18offset_tEEE10hipError_tPvRmT1_PNSt15iterator_traitsISK_E10value_typeET2_T3_PNSL_ISQ_E10value_typeET4_jRbjT5_SW_jjP12ihipStream_tbEUlT_E2_NS1_11comp_targetILNS1_3genE0ELNS1_11target_archE4294967295ELNS1_3gpuE0ELNS1_3repE0EEENS1_30default_config_static_selectorELNS0_4arch9wavefront6targetE0EEEvSK_, .Lfunc_end941-_ZN7rocprim17ROCPRIM_400000_NS6detail17trampoline_kernelINS0_14default_configENS1_36segmented_radix_sort_config_selectorIslEEZNS1_25segmented_radix_sort_implIS3_Lb1EPKsPsPKlPlN2at6native12_GLOBAL__N_18offset_tEEE10hipError_tPvRmT1_PNSt15iterator_traitsISK_E10value_typeET2_T3_PNSL_ISQ_E10value_typeET4_jRbjT5_SW_jjP12ihipStream_tbEUlT_E2_NS1_11comp_targetILNS1_3genE0ELNS1_11target_archE4294967295ELNS1_3gpuE0ELNS1_3repE0EEENS1_30default_config_static_selectorELNS0_4arch9wavefront6targetE0EEEvSK_
                                        ; -- End function
	.set _ZN7rocprim17ROCPRIM_400000_NS6detail17trampoline_kernelINS0_14default_configENS1_36segmented_radix_sort_config_selectorIslEEZNS1_25segmented_radix_sort_implIS3_Lb1EPKsPsPKlPlN2at6native12_GLOBAL__N_18offset_tEEE10hipError_tPvRmT1_PNSt15iterator_traitsISK_E10value_typeET2_T3_PNSL_ISQ_E10value_typeET4_jRbjT5_SW_jjP12ihipStream_tbEUlT_E2_NS1_11comp_targetILNS1_3genE0ELNS1_11target_archE4294967295ELNS1_3gpuE0ELNS1_3repE0EEENS1_30default_config_static_selectorELNS0_4arch9wavefront6targetE0EEEvSK_.num_vgpr, 0
	.set _ZN7rocprim17ROCPRIM_400000_NS6detail17trampoline_kernelINS0_14default_configENS1_36segmented_radix_sort_config_selectorIslEEZNS1_25segmented_radix_sort_implIS3_Lb1EPKsPsPKlPlN2at6native12_GLOBAL__N_18offset_tEEE10hipError_tPvRmT1_PNSt15iterator_traitsISK_E10value_typeET2_T3_PNSL_ISQ_E10value_typeET4_jRbjT5_SW_jjP12ihipStream_tbEUlT_E2_NS1_11comp_targetILNS1_3genE0ELNS1_11target_archE4294967295ELNS1_3gpuE0ELNS1_3repE0EEENS1_30default_config_static_selectorELNS0_4arch9wavefront6targetE0EEEvSK_.num_agpr, 0
	.set _ZN7rocprim17ROCPRIM_400000_NS6detail17trampoline_kernelINS0_14default_configENS1_36segmented_radix_sort_config_selectorIslEEZNS1_25segmented_radix_sort_implIS3_Lb1EPKsPsPKlPlN2at6native12_GLOBAL__N_18offset_tEEE10hipError_tPvRmT1_PNSt15iterator_traitsISK_E10value_typeET2_T3_PNSL_ISQ_E10value_typeET4_jRbjT5_SW_jjP12ihipStream_tbEUlT_E2_NS1_11comp_targetILNS1_3genE0ELNS1_11target_archE4294967295ELNS1_3gpuE0ELNS1_3repE0EEENS1_30default_config_static_selectorELNS0_4arch9wavefront6targetE0EEEvSK_.numbered_sgpr, 0
	.set _ZN7rocprim17ROCPRIM_400000_NS6detail17trampoline_kernelINS0_14default_configENS1_36segmented_radix_sort_config_selectorIslEEZNS1_25segmented_radix_sort_implIS3_Lb1EPKsPsPKlPlN2at6native12_GLOBAL__N_18offset_tEEE10hipError_tPvRmT1_PNSt15iterator_traitsISK_E10value_typeET2_T3_PNSL_ISQ_E10value_typeET4_jRbjT5_SW_jjP12ihipStream_tbEUlT_E2_NS1_11comp_targetILNS1_3genE0ELNS1_11target_archE4294967295ELNS1_3gpuE0ELNS1_3repE0EEENS1_30default_config_static_selectorELNS0_4arch9wavefront6targetE0EEEvSK_.num_named_barrier, 0
	.set _ZN7rocprim17ROCPRIM_400000_NS6detail17trampoline_kernelINS0_14default_configENS1_36segmented_radix_sort_config_selectorIslEEZNS1_25segmented_radix_sort_implIS3_Lb1EPKsPsPKlPlN2at6native12_GLOBAL__N_18offset_tEEE10hipError_tPvRmT1_PNSt15iterator_traitsISK_E10value_typeET2_T3_PNSL_ISQ_E10value_typeET4_jRbjT5_SW_jjP12ihipStream_tbEUlT_E2_NS1_11comp_targetILNS1_3genE0ELNS1_11target_archE4294967295ELNS1_3gpuE0ELNS1_3repE0EEENS1_30default_config_static_selectorELNS0_4arch9wavefront6targetE0EEEvSK_.private_seg_size, 0
	.set _ZN7rocprim17ROCPRIM_400000_NS6detail17trampoline_kernelINS0_14default_configENS1_36segmented_radix_sort_config_selectorIslEEZNS1_25segmented_radix_sort_implIS3_Lb1EPKsPsPKlPlN2at6native12_GLOBAL__N_18offset_tEEE10hipError_tPvRmT1_PNSt15iterator_traitsISK_E10value_typeET2_T3_PNSL_ISQ_E10value_typeET4_jRbjT5_SW_jjP12ihipStream_tbEUlT_E2_NS1_11comp_targetILNS1_3genE0ELNS1_11target_archE4294967295ELNS1_3gpuE0ELNS1_3repE0EEENS1_30default_config_static_selectorELNS0_4arch9wavefront6targetE0EEEvSK_.uses_vcc, 0
	.set _ZN7rocprim17ROCPRIM_400000_NS6detail17trampoline_kernelINS0_14default_configENS1_36segmented_radix_sort_config_selectorIslEEZNS1_25segmented_radix_sort_implIS3_Lb1EPKsPsPKlPlN2at6native12_GLOBAL__N_18offset_tEEE10hipError_tPvRmT1_PNSt15iterator_traitsISK_E10value_typeET2_T3_PNSL_ISQ_E10value_typeET4_jRbjT5_SW_jjP12ihipStream_tbEUlT_E2_NS1_11comp_targetILNS1_3genE0ELNS1_11target_archE4294967295ELNS1_3gpuE0ELNS1_3repE0EEENS1_30default_config_static_selectorELNS0_4arch9wavefront6targetE0EEEvSK_.uses_flat_scratch, 0
	.set _ZN7rocprim17ROCPRIM_400000_NS6detail17trampoline_kernelINS0_14default_configENS1_36segmented_radix_sort_config_selectorIslEEZNS1_25segmented_radix_sort_implIS3_Lb1EPKsPsPKlPlN2at6native12_GLOBAL__N_18offset_tEEE10hipError_tPvRmT1_PNSt15iterator_traitsISK_E10value_typeET2_T3_PNSL_ISQ_E10value_typeET4_jRbjT5_SW_jjP12ihipStream_tbEUlT_E2_NS1_11comp_targetILNS1_3genE0ELNS1_11target_archE4294967295ELNS1_3gpuE0ELNS1_3repE0EEENS1_30default_config_static_selectorELNS0_4arch9wavefront6targetE0EEEvSK_.has_dyn_sized_stack, 0
	.set _ZN7rocprim17ROCPRIM_400000_NS6detail17trampoline_kernelINS0_14default_configENS1_36segmented_radix_sort_config_selectorIslEEZNS1_25segmented_radix_sort_implIS3_Lb1EPKsPsPKlPlN2at6native12_GLOBAL__N_18offset_tEEE10hipError_tPvRmT1_PNSt15iterator_traitsISK_E10value_typeET2_T3_PNSL_ISQ_E10value_typeET4_jRbjT5_SW_jjP12ihipStream_tbEUlT_E2_NS1_11comp_targetILNS1_3genE0ELNS1_11target_archE4294967295ELNS1_3gpuE0ELNS1_3repE0EEENS1_30default_config_static_selectorELNS0_4arch9wavefront6targetE0EEEvSK_.has_recursion, 0
	.set _ZN7rocprim17ROCPRIM_400000_NS6detail17trampoline_kernelINS0_14default_configENS1_36segmented_radix_sort_config_selectorIslEEZNS1_25segmented_radix_sort_implIS3_Lb1EPKsPsPKlPlN2at6native12_GLOBAL__N_18offset_tEEE10hipError_tPvRmT1_PNSt15iterator_traitsISK_E10value_typeET2_T3_PNSL_ISQ_E10value_typeET4_jRbjT5_SW_jjP12ihipStream_tbEUlT_E2_NS1_11comp_targetILNS1_3genE0ELNS1_11target_archE4294967295ELNS1_3gpuE0ELNS1_3repE0EEENS1_30default_config_static_selectorELNS0_4arch9wavefront6targetE0EEEvSK_.has_indirect_call, 0
	.section	.AMDGPU.csdata,"",@progbits
; Kernel info:
; codeLenInByte = 0
; TotalNumSgprs: 0
; NumVgprs: 0
; ScratchSize: 0
; MemoryBound: 0
; FloatMode: 240
; IeeeMode: 1
; LDSByteSize: 0 bytes/workgroup (compile time only)
; SGPRBlocks: 0
; VGPRBlocks: 0
; NumSGPRsForWavesPerEU: 1
; NumVGPRsForWavesPerEU: 1
; Occupancy: 16
; WaveLimiterHint : 0
; COMPUTE_PGM_RSRC2:SCRATCH_EN: 0
; COMPUTE_PGM_RSRC2:USER_SGPR: 2
; COMPUTE_PGM_RSRC2:TRAP_HANDLER: 0
; COMPUTE_PGM_RSRC2:TGID_X_EN: 1
; COMPUTE_PGM_RSRC2:TGID_Y_EN: 0
; COMPUTE_PGM_RSRC2:TGID_Z_EN: 0
; COMPUTE_PGM_RSRC2:TIDIG_COMP_CNT: 0
	.section	.text._ZN7rocprim17ROCPRIM_400000_NS6detail17trampoline_kernelINS0_14default_configENS1_36segmented_radix_sort_config_selectorIslEEZNS1_25segmented_radix_sort_implIS3_Lb1EPKsPsPKlPlN2at6native12_GLOBAL__N_18offset_tEEE10hipError_tPvRmT1_PNSt15iterator_traitsISK_E10value_typeET2_T3_PNSL_ISQ_E10value_typeET4_jRbjT5_SW_jjP12ihipStream_tbEUlT_E2_NS1_11comp_targetILNS1_3genE5ELNS1_11target_archE942ELNS1_3gpuE9ELNS1_3repE0EEENS1_30default_config_static_selectorELNS0_4arch9wavefront6targetE0EEEvSK_,"axG",@progbits,_ZN7rocprim17ROCPRIM_400000_NS6detail17trampoline_kernelINS0_14default_configENS1_36segmented_radix_sort_config_selectorIslEEZNS1_25segmented_radix_sort_implIS3_Lb1EPKsPsPKlPlN2at6native12_GLOBAL__N_18offset_tEEE10hipError_tPvRmT1_PNSt15iterator_traitsISK_E10value_typeET2_T3_PNSL_ISQ_E10value_typeET4_jRbjT5_SW_jjP12ihipStream_tbEUlT_E2_NS1_11comp_targetILNS1_3genE5ELNS1_11target_archE942ELNS1_3gpuE9ELNS1_3repE0EEENS1_30default_config_static_selectorELNS0_4arch9wavefront6targetE0EEEvSK_,comdat
	.globl	_ZN7rocprim17ROCPRIM_400000_NS6detail17trampoline_kernelINS0_14default_configENS1_36segmented_radix_sort_config_selectorIslEEZNS1_25segmented_radix_sort_implIS3_Lb1EPKsPsPKlPlN2at6native12_GLOBAL__N_18offset_tEEE10hipError_tPvRmT1_PNSt15iterator_traitsISK_E10value_typeET2_T3_PNSL_ISQ_E10value_typeET4_jRbjT5_SW_jjP12ihipStream_tbEUlT_E2_NS1_11comp_targetILNS1_3genE5ELNS1_11target_archE942ELNS1_3gpuE9ELNS1_3repE0EEENS1_30default_config_static_selectorELNS0_4arch9wavefront6targetE0EEEvSK_ ; -- Begin function _ZN7rocprim17ROCPRIM_400000_NS6detail17trampoline_kernelINS0_14default_configENS1_36segmented_radix_sort_config_selectorIslEEZNS1_25segmented_radix_sort_implIS3_Lb1EPKsPsPKlPlN2at6native12_GLOBAL__N_18offset_tEEE10hipError_tPvRmT1_PNSt15iterator_traitsISK_E10value_typeET2_T3_PNSL_ISQ_E10value_typeET4_jRbjT5_SW_jjP12ihipStream_tbEUlT_E2_NS1_11comp_targetILNS1_3genE5ELNS1_11target_archE942ELNS1_3gpuE9ELNS1_3repE0EEENS1_30default_config_static_selectorELNS0_4arch9wavefront6targetE0EEEvSK_
	.p2align	8
	.type	_ZN7rocprim17ROCPRIM_400000_NS6detail17trampoline_kernelINS0_14default_configENS1_36segmented_radix_sort_config_selectorIslEEZNS1_25segmented_radix_sort_implIS3_Lb1EPKsPsPKlPlN2at6native12_GLOBAL__N_18offset_tEEE10hipError_tPvRmT1_PNSt15iterator_traitsISK_E10value_typeET2_T3_PNSL_ISQ_E10value_typeET4_jRbjT5_SW_jjP12ihipStream_tbEUlT_E2_NS1_11comp_targetILNS1_3genE5ELNS1_11target_archE942ELNS1_3gpuE9ELNS1_3repE0EEENS1_30default_config_static_selectorELNS0_4arch9wavefront6targetE0EEEvSK_,@function
_ZN7rocprim17ROCPRIM_400000_NS6detail17trampoline_kernelINS0_14default_configENS1_36segmented_radix_sort_config_selectorIslEEZNS1_25segmented_radix_sort_implIS3_Lb1EPKsPsPKlPlN2at6native12_GLOBAL__N_18offset_tEEE10hipError_tPvRmT1_PNSt15iterator_traitsISK_E10value_typeET2_T3_PNSL_ISQ_E10value_typeET4_jRbjT5_SW_jjP12ihipStream_tbEUlT_E2_NS1_11comp_targetILNS1_3genE5ELNS1_11target_archE942ELNS1_3gpuE9ELNS1_3repE0EEENS1_30default_config_static_selectorELNS0_4arch9wavefront6targetE0EEEvSK_: ; @_ZN7rocprim17ROCPRIM_400000_NS6detail17trampoline_kernelINS0_14default_configENS1_36segmented_radix_sort_config_selectorIslEEZNS1_25segmented_radix_sort_implIS3_Lb1EPKsPsPKlPlN2at6native12_GLOBAL__N_18offset_tEEE10hipError_tPvRmT1_PNSt15iterator_traitsISK_E10value_typeET2_T3_PNSL_ISQ_E10value_typeET4_jRbjT5_SW_jjP12ihipStream_tbEUlT_E2_NS1_11comp_targetILNS1_3genE5ELNS1_11target_archE942ELNS1_3gpuE9ELNS1_3repE0EEENS1_30default_config_static_selectorELNS0_4arch9wavefront6targetE0EEEvSK_
; %bb.0:
	.section	.rodata,"a",@progbits
	.p2align	6, 0x0
	.amdhsa_kernel _ZN7rocprim17ROCPRIM_400000_NS6detail17trampoline_kernelINS0_14default_configENS1_36segmented_radix_sort_config_selectorIslEEZNS1_25segmented_radix_sort_implIS3_Lb1EPKsPsPKlPlN2at6native12_GLOBAL__N_18offset_tEEE10hipError_tPvRmT1_PNSt15iterator_traitsISK_E10value_typeET2_T3_PNSL_ISQ_E10value_typeET4_jRbjT5_SW_jjP12ihipStream_tbEUlT_E2_NS1_11comp_targetILNS1_3genE5ELNS1_11target_archE942ELNS1_3gpuE9ELNS1_3repE0EEENS1_30default_config_static_selectorELNS0_4arch9wavefront6targetE0EEEvSK_
		.amdhsa_group_segment_fixed_size 0
		.amdhsa_private_segment_fixed_size 0
		.amdhsa_kernarg_size 80
		.amdhsa_user_sgpr_count 2
		.amdhsa_user_sgpr_dispatch_ptr 0
		.amdhsa_user_sgpr_queue_ptr 0
		.amdhsa_user_sgpr_kernarg_segment_ptr 1
		.amdhsa_user_sgpr_dispatch_id 0
		.amdhsa_user_sgpr_private_segment_size 0
		.amdhsa_wavefront_size32 1
		.amdhsa_uses_dynamic_stack 0
		.amdhsa_enable_private_segment 0
		.amdhsa_system_sgpr_workgroup_id_x 1
		.amdhsa_system_sgpr_workgroup_id_y 0
		.amdhsa_system_sgpr_workgroup_id_z 0
		.amdhsa_system_sgpr_workgroup_info 0
		.amdhsa_system_vgpr_workitem_id 0
		.amdhsa_next_free_vgpr 1
		.amdhsa_next_free_sgpr 1
		.amdhsa_reserve_vcc 0
		.amdhsa_float_round_mode_32 0
		.amdhsa_float_round_mode_16_64 0
		.amdhsa_float_denorm_mode_32 3
		.amdhsa_float_denorm_mode_16_64 3
		.amdhsa_fp16_overflow 0
		.amdhsa_workgroup_processor_mode 1
		.amdhsa_memory_ordered 1
		.amdhsa_forward_progress 1
		.amdhsa_inst_pref_size 0
		.amdhsa_round_robin_scheduling 0
		.amdhsa_exception_fp_ieee_invalid_op 0
		.amdhsa_exception_fp_denorm_src 0
		.amdhsa_exception_fp_ieee_div_zero 0
		.amdhsa_exception_fp_ieee_overflow 0
		.amdhsa_exception_fp_ieee_underflow 0
		.amdhsa_exception_fp_ieee_inexact 0
		.amdhsa_exception_int_div_zero 0
	.end_amdhsa_kernel
	.section	.text._ZN7rocprim17ROCPRIM_400000_NS6detail17trampoline_kernelINS0_14default_configENS1_36segmented_radix_sort_config_selectorIslEEZNS1_25segmented_radix_sort_implIS3_Lb1EPKsPsPKlPlN2at6native12_GLOBAL__N_18offset_tEEE10hipError_tPvRmT1_PNSt15iterator_traitsISK_E10value_typeET2_T3_PNSL_ISQ_E10value_typeET4_jRbjT5_SW_jjP12ihipStream_tbEUlT_E2_NS1_11comp_targetILNS1_3genE5ELNS1_11target_archE942ELNS1_3gpuE9ELNS1_3repE0EEENS1_30default_config_static_selectorELNS0_4arch9wavefront6targetE0EEEvSK_,"axG",@progbits,_ZN7rocprim17ROCPRIM_400000_NS6detail17trampoline_kernelINS0_14default_configENS1_36segmented_radix_sort_config_selectorIslEEZNS1_25segmented_radix_sort_implIS3_Lb1EPKsPsPKlPlN2at6native12_GLOBAL__N_18offset_tEEE10hipError_tPvRmT1_PNSt15iterator_traitsISK_E10value_typeET2_T3_PNSL_ISQ_E10value_typeET4_jRbjT5_SW_jjP12ihipStream_tbEUlT_E2_NS1_11comp_targetILNS1_3genE5ELNS1_11target_archE942ELNS1_3gpuE9ELNS1_3repE0EEENS1_30default_config_static_selectorELNS0_4arch9wavefront6targetE0EEEvSK_,comdat
.Lfunc_end942:
	.size	_ZN7rocprim17ROCPRIM_400000_NS6detail17trampoline_kernelINS0_14default_configENS1_36segmented_radix_sort_config_selectorIslEEZNS1_25segmented_radix_sort_implIS3_Lb1EPKsPsPKlPlN2at6native12_GLOBAL__N_18offset_tEEE10hipError_tPvRmT1_PNSt15iterator_traitsISK_E10value_typeET2_T3_PNSL_ISQ_E10value_typeET4_jRbjT5_SW_jjP12ihipStream_tbEUlT_E2_NS1_11comp_targetILNS1_3genE5ELNS1_11target_archE942ELNS1_3gpuE9ELNS1_3repE0EEENS1_30default_config_static_selectorELNS0_4arch9wavefront6targetE0EEEvSK_, .Lfunc_end942-_ZN7rocprim17ROCPRIM_400000_NS6detail17trampoline_kernelINS0_14default_configENS1_36segmented_radix_sort_config_selectorIslEEZNS1_25segmented_radix_sort_implIS3_Lb1EPKsPsPKlPlN2at6native12_GLOBAL__N_18offset_tEEE10hipError_tPvRmT1_PNSt15iterator_traitsISK_E10value_typeET2_T3_PNSL_ISQ_E10value_typeET4_jRbjT5_SW_jjP12ihipStream_tbEUlT_E2_NS1_11comp_targetILNS1_3genE5ELNS1_11target_archE942ELNS1_3gpuE9ELNS1_3repE0EEENS1_30default_config_static_selectorELNS0_4arch9wavefront6targetE0EEEvSK_
                                        ; -- End function
	.set _ZN7rocprim17ROCPRIM_400000_NS6detail17trampoline_kernelINS0_14default_configENS1_36segmented_radix_sort_config_selectorIslEEZNS1_25segmented_radix_sort_implIS3_Lb1EPKsPsPKlPlN2at6native12_GLOBAL__N_18offset_tEEE10hipError_tPvRmT1_PNSt15iterator_traitsISK_E10value_typeET2_T3_PNSL_ISQ_E10value_typeET4_jRbjT5_SW_jjP12ihipStream_tbEUlT_E2_NS1_11comp_targetILNS1_3genE5ELNS1_11target_archE942ELNS1_3gpuE9ELNS1_3repE0EEENS1_30default_config_static_selectorELNS0_4arch9wavefront6targetE0EEEvSK_.num_vgpr, 0
	.set _ZN7rocprim17ROCPRIM_400000_NS6detail17trampoline_kernelINS0_14default_configENS1_36segmented_radix_sort_config_selectorIslEEZNS1_25segmented_radix_sort_implIS3_Lb1EPKsPsPKlPlN2at6native12_GLOBAL__N_18offset_tEEE10hipError_tPvRmT1_PNSt15iterator_traitsISK_E10value_typeET2_T3_PNSL_ISQ_E10value_typeET4_jRbjT5_SW_jjP12ihipStream_tbEUlT_E2_NS1_11comp_targetILNS1_3genE5ELNS1_11target_archE942ELNS1_3gpuE9ELNS1_3repE0EEENS1_30default_config_static_selectorELNS0_4arch9wavefront6targetE0EEEvSK_.num_agpr, 0
	.set _ZN7rocprim17ROCPRIM_400000_NS6detail17trampoline_kernelINS0_14default_configENS1_36segmented_radix_sort_config_selectorIslEEZNS1_25segmented_radix_sort_implIS3_Lb1EPKsPsPKlPlN2at6native12_GLOBAL__N_18offset_tEEE10hipError_tPvRmT1_PNSt15iterator_traitsISK_E10value_typeET2_T3_PNSL_ISQ_E10value_typeET4_jRbjT5_SW_jjP12ihipStream_tbEUlT_E2_NS1_11comp_targetILNS1_3genE5ELNS1_11target_archE942ELNS1_3gpuE9ELNS1_3repE0EEENS1_30default_config_static_selectorELNS0_4arch9wavefront6targetE0EEEvSK_.numbered_sgpr, 0
	.set _ZN7rocprim17ROCPRIM_400000_NS6detail17trampoline_kernelINS0_14default_configENS1_36segmented_radix_sort_config_selectorIslEEZNS1_25segmented_radix_sort_implIS3_Lb1EPKsPsPKlPlN2at6native12_GLOBAL__N_18offset_tEEE10hipError_tPvRmT1_PNSt15iterator_traitsISK_E10value_typeET2_T3_PNSL_ISQ_E10value_typeET4_jRbjT5_SW_jjP12ihipStream_tbEUlT_E2_NS1_11comp_targetILNS1_3genE5ELNS1_11target_archE942ELNS1_3gpuE9ELNS1_3repE0EEENS1_30default_config_static_selectorELNS0_4arch9wavefront6targetE0EEEvSK_.num_named_barrier, 0
	.set _ZN7rocprim17ROCPRIM_400000_NS6detail17trampoline_kernelINS0_14default_configENS1_36segmented_radix_sort_config_selectorIslEEZNS1_25segmented_radix_sort_implIS3_Lb1EPKsPsPKlPlN2at6native12_GLOBAL__N_18offset_tEEE10hipError_tPvRmT1_PNSt15iterator_traitsISK_E10value_typeET2_T3_PNSL_ISQ_E10value_typeET4_jRbjT5_SW_jjP12ihipStream_tbEUlT_E2_NS1_11comp_targetILNS1_3genE5ELNS1_11target_archE942ELNS1_3gpuE9ELNS1_3repE0EEENS1_30default_config_static_selectorELNS0_4arch9wavefront6targetE0EEEvSK_.private_seg_size, 0
	.set _ZN7rocprim17ROCPRIM_400000_NS6detail17trampoline_kernelINS0_14default_configENS1_36segmented_radix_sort_config_selectorIslEEZNS1_25segmented_radix_sort_implIS3_Lb1EPKsPsPKlPlN2at6native12_GLOBAL__N_18offset_tEEE10hipError_tPvRmT1_PNSt15iterator_traitsISK_E10value_typeET2_T3_PNSL_ISQ_E10value_typeET4_jRbjT5_SW_jjP12ihipStream_tbEUlT_E2_NS1_11comp_targetILNS1_3genE5ELNS1_11target_archE942ELNS1_3gpuE9ELNS1_3repE0EEENS1_30default_config_static_selectorELNS0_4arch9wavefront6targetE0EEEvSK_.uses_vcc, 0
	.set _ZN7rocprim17ROCPRIM_400000_NS6detail17trampoline_kernelINS0_14default_configENS1_36segmented_radix_sort_config_selectorIslEEZNS1_25segmented_radix_sort_implIS3_Lb1EPKsPsPKlPlN2at6native12_GLOBAL__N_18offset_tEEE10hipError_tPvRmT1_PNSt15iterator_traitsISK_E10value_typeET2_T3_PNSL_ISQ_E10value_typeET4_jRbjT5_SW_jjP12ihipStream_tbEUlT_E2_NS1_11comp_targetILNS1_3genE5ELNS1_11target_archE942ELNS1_3gpuE9ELNS1_3repE0EEENS1_30default_config_static_selectorELNS0_4arch9wavefront6targetE0EEEvSK_.uses_flat_scratch, 0
	.set _ZN7rocprim17ROCPRIM_400000_NS6detail17trampoline_kernelINS0_14default_configENS1_36segmented_radix_sort_config_selectorIslEEZNS1_25segmented_radix_sort_implIS3_Lb1EPKsPsPKlPlN2at6native12_GLOBAL__N_18offset_tEEE10hipError_tPvRmT1_PNSt15iterator_traitsISK_E10value_typeET2_T3_PNSL_ISQ_E10value_typeET4_jRbjT5_SW_jjP12ihipStream_tbEUlT_E2_NS1_11comp_targetILNS1_3genE5ELNS1_11target_archE942ELNS1_3gpuE9ELNS1_3repE0EEENS1_30default_config_static_selectorELNS0_4arch9wavefront6targetE0EEEvSK_.has_dyn_sized_stack, 0
	.set _ZN7rocprim17ROCPRIM_400000_NS6detail17trampoline_kernelINS0_14default_configENS1_36segmented_radix_sort_config_selectorIslEEZNS1_25segmented_radix_sort_implIS3_Lb1EPKsPsPKlPlN2at6native12_GLOBAL__N_18offset_tEEE10hipError_tPvRmT1_PNSt15iterator_traitsISK_E10value_typeET2_T3_PNSL_ISQ_E10value_typeET4_jRbjT5_SW_jjP12ihipStream_tbEUlT_E2_NS1_11comp_targetILNS1_3genE5ELNS1_11target_archE942ELNS1_3gpuE9ELNS1_3repE0EEENS1_30default_config_static_selectorELNS0_4arch9wavefront6targetE0EEEvSK_.has_recursion, 0
	.set _ZN7rocprim17ROCPRIM_400000_NS6detail17trampoline_kernelINS0_14default_configENS1_36segmented_radix_sort_config_selectorIslEEZNS1_25segmented_radix_sort_implIS3_Lb1EPKsPsPKlPlN2at6native12_GLOBAL__N_18offset_tEEE10hipError_tPvRmT1_PNSt15iterator_traitsISK_E10value_typeET2_T3_PNSL_ISQ_E10value_typeET4_jRbjT5_SW_jjP12ihipStream_tbEUlT_E2_NS1_11comp_targetILNS1_3genE5ELNS1_11target_archE942ELNS1_3gpuE9ELNS1_3repE0EEENS1_30default_config_static_selectorELNS0_4arch9wavefront6targetE0EEEvSK_.has_indirect_call, 0
	.section	.AMDGPU.csdata,"",@progbits
; Kernel info:
; codeLenInByte = 0
; TotalNumSgprs: 0
; NumVgprs: 0
; ScratchSize: 0
; MemoryBound: 0
; FloatMode: 240
; IeeeMode: 1
; LDSByteSize: 0 bytes/workgroup (compile time only)
; SGPRBlocks: 0
; VGPRBlocks: 0
; NumSGPRsForWavesPerEU: 1
; NumVGPRsForWavesPerEU: 1
; Occupancy: 16
; WaveLimiterHint : 0
; COMPUTE_PGM_RSRC2:SCRATCH_EN: 0
; COMPUTE_PGM_RSRC2:USER_SGPR: 2
; COMPUTE_PGM_RSRC2:TRAP_HANDLER: 0
; COMPUTE_PGM_RSRC2:TGID_X_EN: 1
; COMPUTE_PGM_RSRC2:TGID_Y_EN: 0
; COMPUTE_PGM_RSRC2:TGID_Z_EN: 0
; COMPUTE_PGM_RSRC2:TIDIG_COMP_CNT: 0
	.section	.text._ZN7rocprim17ROCPRIM_400000_NS6detail17trampoline_kernelINS0_14default_configENS1_36segmented_radix_sort_config_selectorIslEEZNS1_25segmented_radix_sort_implIS3_Lb1EPKsPsPKlPlN2at6native12_GLOBAL__N_18offset_tEEE10hipError_tPvRmT1_PNSt15iterator_traitsISK_E10value_typeET2_T3_PNSL_ISQ_E10value_typeET4_jRbjT5_SW_jjP12ihipStream_tbEUlT_E2_NS1_11comp_targetILNS1_3genE4ELNS1_11target_archE910ELNS1_3gpuE8ELNS1_3repE0EEENS1_30default_config_static_selectorELNS0_4arch9wavefront6targetE0EEEvSK_,"axG",@progbits,_ZN7rocprim17ROCPRIM_400000_NS6detail17trampoline_kernelINS0_14default_configENS1_36segmented_radix_sort_config_selectorIslEEZNS1_25segmented_radix_sort_implIS3_Lb1EPKsPsPKlPlN2at6native12_GLOBAL__N_18offset_tEEE10hipError_tPvRmT1_PNSt15iterator_traitsISK_E10value_typeET2_T3_PNSL_ISQ_E10value_typeET4_jRbjT5_SW_jjP12ihipStream_tbEUlT_E2_NS1_11comp_targetILNS1_3genE4ELNS1_11target_archE910ELNS1_3gpuE8ELNS1_3repE0EEENS1_30default_config_static_selectorELNS0_4arch9wavefront6targetE0EEEvSK_,comdat
	.globl	_ZN7rocprim17ROCPRIM_400000_NS6detail17trampoline_kernelINS0_14default_configENS1_36segmented_radix_sort_config_selectorIslEEZNS1_25segmented_radix_sort_implIS3_Lb1EPKsPsPKlPlN2at6native12_GLOBAL__N_18offset_tEEE10hipError_tPvRmT1_PNSt15iterator_traitsISK_E10value_typeET2_T3_PNSL_ISQ_E10value_typeET4_jRbjT5_SW_jjP12ihipStream_tbEUlT_E2_NS1_11comp_targetILNS1_3genE4ELNS1_11target_archE910ELNS1_3gpuE8ELNS1_3repE0EEENS1_30default_config_static_selectorELNS0_4arch9wavefront6targetE0EEEvSK_ ; -- Begin function _ZN7rocprim17ROCPRIM_400000_NS6detail17trampoline_kernelINS0_14default_configENS1_36segmented_radix_sort_config_selectorIslEEZNS1_25segmented_radix_sort_implIS3_Lb1EPKsPsPKlPlN2at6native12_GLOBAL__N_18offset_tEEE10hipError_tPvRmT1_PNSt15iterator_traitsISK_E10value_typeET2_T3_PNSL_ISQ_E10value_typeET4_jRbjT5_SW_jjP12ihipStream_tbEUlT_E2_NS1_11comp_targetILNS1_3genE4ELNS1_11target_archE910ELNS1_3gpuE8ELNS1_3repE0EEENS1_30default_config_static_selectorELNS0_4arch9wavefront6targetE0EEEvSK_
	.p2align	8
	.type	_ZN7rocprim17ROCPRIM_400000_NS6detail17trampoline_kernelINS0_14default_configENS1_36segmented_radix_sort_config_selectorIslEEZNS1_25segmented_radix_sort_implIS3_Lb1EPKsPsPKlPlN2at6native12_GLOBAL__N_18offset_tEEE10hipError_tPvRmT1_PNSt15iterator_traitsISK_E10value_typeET2_T3_PNSL_ISQ_E10value_typeET4_jRbjT5_SW_jjP12ihipStream_tbEUlT_E2_NS1_11comp_targetILNS1_3genE4ELNS1_11target_archE910ELNS1_3gpuE8ELNS1_3repE0EEENS1_30default_config_static_selectorELNS0_4arch9wavefront6targetE0EEEvSK_,@function
_ZN7rocprim17ROCPRIM_400000_NS6detail17trampoline_kernelINS0_14default_configENS1_36segmented_radix_sort_config_selectorIslEEZNS1_25segmented_radix_sort_implIS3_Lb1EPKsPsPKlPlN2at6native12_GLOBAL__N_18offset_tEEE10hipError_tPvRmT1_PNSt15iterator_traitsISK_E10value_typeET2_T3_PNSL_ISQ_E10value_typeET4_jRbjT5_SW_jjP12ihipStream_tbEUlT_E2_NS1_11comp_targetILNS1_3genE4ELNS1_11target_archE910ELNS1_3gpuE8ELNS1_3repE0EEENS1_30default_config_static_selectorELNS0_4arch9wavefront6targetE0EEEvSK_: ; @_ZN7rocprim17ROCPRIM_400000_NS6detail17trampoline_kernelINS0_14default_configENS1_36segmented_radix_sort_config_selectorIslEEZNS1_25segmented_radix_sort_implIS3_Lb1EPKsPsPKlPlN2at6native12_GLOBAL__N_18offset_tEEE10hipError_tPvRmT1_PNSt15iterator_traitsISK_E10value_typeET2_T3_PNSL_ISQ_E10value_typeET4_jRbjT5_SW_jjP12ihipStream_tbEUlT_E2_NS1_11comp_targetILNS1_3genE4ELNS1_11target_archE910ELNS1_3gpuE8ELNS1_3repE0EEENS1_30default_config_static_selectorELNS0_4arch9wavefront6targetE0EEEvSK_
; %bb.0:
	.section	.rodata,"a",@progbits
	.p2align	6, 0x0
	.amdhsa_kernel _ZN7rocprim17ROCPRIM_400000_NS6detail17trampoline_kernelINS0_14default_configENS1_36segmented_radix_sort_config_selectorIslEEZNS1_25segmented_radix_sort_implIS3_Lb1EPKsPsPKlPlN2at6native12_GLOBAL__N_18offset_tEEE10hipError_tPvRmT1_PNSt15iterator_traitsISK_E10value_typeET2_T3_PNSL_ISQ_E10value_typeET4_jRbjT5_SW_jjP12ihipStream_tbEUlT_E2_NS1_11comp_targetILNS1_3genE4ELNS1_11target_archE910ELNS1_3gpuE8ELNS1_3repE0EEENS1_30default_config_static_selectorELNS0_4arch9wavefront6targetE0EEEvSK_
		.amdhsa_group_segment_fixed_size 0
		.amdhsa_private_segment_fixed_size 0
		.amdhsa_kernarg_size 80
		.amdhsa_user_sgpr_count 2
		.amdhsa_user_sgpr_dispatch_ptr 0
		.amdhsa_user_sgpr_queue_ptr 0
		.amdhsa_user_sgpr_kernarg_segment_ptr 1
		.amdhsa_user_sgpr_dispatch_id 0
		.amdhsa_user_sgpr_private_segment_size 0
		.amdhsa_wavefront_size32 1
		.amdhsa_uses_dynamic_stack 0
		.amdhsa_enable_private_segment 0
		.amdhsa_system_sgpr_workgroup_id_x 1
		.amdhsa_system_sgpr_workgroup_id_y 0
		.amdhsa_system_sgpr_workgroup_id_z 0
		.amdhsa_system_sgpr_workgroup_info 0
		.amdhsa_system_vgpr_workitem_id 0
		.amdhsa_next_free_vgpr 1
		.amdhsa_next_free_sgpr 1
		.amdhsa_reserve_vcc 0
		.amdhsa_float_round_mode_32 0
		.amdhsa_float_round_mode_16_64 0
		.amdhsa_float_denorm_mode_32 3
		.amdhsa_float_denorm_mode_16_64 3
		.amdhsa_fp16_overflow 0
		.amdhsa_workgroup_processor_mode 1
		.amdhsa_memory_ordered 1
		.amdhsa_forward_progress 1
		.amdhsa_inst_pref_size 0
		.amdhsa_round_robin_scheduling 0
		.amdhsa_exception_fp_ieee_invalid_op 0
		.amdhsa_exception_fp_denorm_src 0
		.amdhsa_exception_fp_ieee_div_zero 0
		.amdhsa_exception_fp_ieee_overflow 0
		.amdhsa_exception_fp_ieee_underflow 0
		.amdhsa_exception_fp_ieee_inexact 0
		.amdhsa_exception_int_div_zero 0
	.end_amdhsa_kernel
	.section	.text._ZN7rocprim17ROCPRIM_400000_NS6detail17trampoline_kernelINS0_14default_configENS1_36segmented_radix_sort_config_selectorIslEEZNS1_25segmented_radix_sort_implIS3_Lb1EPKsPsPKlPlN2at6native12_GLOBAL__N_18offset_tEEE10hipError_tPvRmT1_PNSt15iterator_traitsISK_E10value_typeET2_T3_PNSL_ISQ_E10value_typeET4_jRbjT5_SW_jjP12ihipStream_tbEUlT_E2_NS1_11comp_targetILNS1_3genE4ELNS1_11target_archE910ELNS1_3gpuE8ELNS1_3repE0EEENS1_30default_config_static_selectorELNS0_4arch9wavefront6targetE0EEEvSK_,"axG",@progbits,_ZN7rocprim17ROCPRIM_400000_NS6detail17trampoline_kernelINS0_14default_configENS1_36segmented_radix_sort_config_selectorIslEEZNS1_25segmented_radix_sort_implIS3_Lb1EPKsPsPKlPlN2at6native12_GLOBAL__N_18offset_tEEE10hipError_tPvRmT1_PNSt15iterator_traitsISK_E10value_typeET2_T3_PNSL_ISQ_E10value_typeET4_jRbjT5_SW_jjP12ihipStream_tbEUlT_E2_NS1_11comp_targetILNS1_3genE4ELNS1_11target_archE910ELNS1_3gpuE8ELNS1_3repE0EEENS1_30default_config_static_selectorELNS0_4arch9wavefront6targetE0EEEvSK_,comdat
.Lfunc_end943:
	.size	_ZN7rocprim17ROCPRIM_400000_NS6detail17trampoline_kernelINS0_14default_configENS1_36segmented_radix_sort_config_selectorIslEEZNS1_25segmented_radix_sort_implIS3_Lb1EPKsPsPKlPlN2at6native12_GLOBAL__N_18offset_tEEE10hipError_tPvRmT1_PNSt15iterator_traitsISK_E10value_typeET2_T3_PNSL_ISQ_E10value_typeET4_jRbjT5_SW_jjP12ihipStream_tbEUlT_E2_NS1_11comp_targetILNS1_3genE4ELNS1_11target_archE910ELNS1_3gpuE8ELNS1_3repE0EEENS1_30default_config_static_selectorELNS0_4arch9wavefront6targetE0EEEvSK_, .Lfunc_end943-_ZN7rocprim17ROCPRIM_400000_NS6detail17trampoline_kernelINS0_14default_configENS1_36segmented_radix_sort_config_selectorIslEEZNS1_25segmented_radix_sort_implIS3_Lb1EPKsPsPKlPlN2at6native12_GLOBAL__N_18offset_tEEE10hipError_tPvRmT1_PNSt15iterator_traitsISK_E10value_typeET2_T3_PNSL_ISQ_E10value_typeET4_jRbjT5_SW_jjP12ihipStream_tbEUlT_E2_NS1_11comp_targetILNS1_3genE4ELNS1_11target_archE910ELNS1_3gpuE8ELNS1_3repE0EEENS1_30default_config_static_selectorELNS0_4arch9wavefront6targetE0EEEvSK_
                                        ; -- End function
	.set _ZN7rocprim17ROCPRIM_400000_NS6detail17trampoline_kernelINS0_14default_configENS1_36segmented_radix_sort_config_selectorIslEEZNS1_25segmented_radix_sort_implIS3_Lb1EPKsPsPKlPlN2at6native12_GLOBAL__N_18offset_tEEE10hipError_tPvRmT1_PNSt15iterator_traitsISK_E10value_typeET2_T3_PNSL_ISQ_E10value_typeET4_jRbjT5_SW_jjP12ihipStream_tbEUlT_E2_NS1_11comp_targetILNS1_3genE4ELNS1_11target_archE910ELNS1_3gpuE8ELNS1_3repE0EEENS1_30default_config_static_selectorELNS0_4arch9wavefront6targetE0EEEvSK_.num_vgpr, 0
	.set _ZN7rocprim17ROCPRIM_400000_NS6detail17trampoline_kernelINS0_14default_configENS1_36segmented_radix_sort_config_selectorIslEEZNS1_25segmented_radix_sort_implIS3_Lb1EPKsPsPKlPlN2at6native12_GLOBAL__N_18offset_tEEE10hipError_tPvRmT1_PNSt15iterator_traitsISK_E10value_typeET2_T3_PNSL_ISQ_E10value_typeET4_jRbjT5_SW_jjP12ihipStream_tbEUlT_E2_NS1_11comp_targetILNS1_3genE4ELNS1_11target_archE910ELNS1_3gpuE8ELNS1_3repE0EEENS1_30default_config_static_selectorELNS0_4arch9wavefront6targetE0EEEvSK_.num_agpr, 0
	.set _ZN7rocprim17ROCPRIM_400000_NS6detail17trampoline_kernelINS0_14default_configENS1_36segmented_radix_sort_config_selectorIslEEZNS1_25segmented_radix_sort_implIS3_Lb1EPKsPsPKlPlN2at6native12_GLOBAL__N_18offset_tEEE10hipError_tPvRmT1_PNSt15iterator_traitsISK_E10value_typeET2_T3_PNSL_ISQ_E10value_typeET4_jRbjT5_SW_jjP12ihipStream_tbEUlT_E2_NS1_11comp_targetILNS1_3genE4ELNS1_11target_archE910ELNS1_3gpuE8ELNS1_3repE0EEENS1_30default_config_static_selectorELNS0_4arch9wavefront6targetE0EEEvSK_.numbered_sgpr, 0
	.set _ZN7rocprim17ROCPRIM_400000_NS6detail17trampoline_kernelINS0_14default_configENS1_36segmented_radix_sort_config_selectorIslEEZNS1_25segmented_radix_sort_implIS3_Lb1EPKsPsPKlPlN2at6native12_GLOBAL__N_18offset_tEEE10hipError_tPvRmT1_PNSt15iterator_traitsISK_E10value_typeET2_T3_PNSL_ISQ_E10value_typeET4_jRbjT5_SW_jjP12ihipStream_tbEUlT_E2_NS1_11comp_targetILNS1_3genE4ELNS1_11target_archE910ELNS1_3gpuE8ELNS1_3repE0EEENS1_30default_config_static_selectorELNS0_4arch9wavefront6targetE0EEEvSK_.num_named_barrier, 0
	.set _ZN7rocprim17ROCPRIM_400000_NS6detail17trampoline_kernelINS0_14default_configENS1_36segmented_radix_sort_config_selectorIslEEZNS1_25segmented_radix_sort_implIS3_Lb1EPKsPsPKlPlN2at6native12_GLOBAL__N_18offset_tEEE10hipError_tPvRmT1_PNSt15iterator_traitsISK_E10value_typeET2_T3_PNSL_ISQ_E10value_typeET4_jRbjT5_SW_jjP12ihipStream_tbEUlT_E2_NS1_11comp_targetILNS1_3genE4ELNS1_11target_archE910ELNS1_3gpuE8ELNS1_3repE0EEENS1_30default_config_static_selectorELNS0_4arch9wavefront6targetE0EEEvSK_.private_seg_size, 0
	.set _ZN7rocprim17ROCPRIM_400000_NS6detail17trampoline_kernelINS0_14default_configENS1_36segmented_radix_sort_config_selectorIslEEZNS1_25segmented_radix_sort_implIS3_Lb1EPKsPsPKlPlN2at6native12_GLOBAL__N_18offset_tEEE10hipError_tPvRmT1_PNSt15iterator_traitsISK_E10value_typeET2_T3_PNSL_ISQ_E10value_typeET4_jRbjT5_SW_jjP12ihipStream_tbEUlT_E2_NS1_11comp_targetILNS1_3genE4ELNS1_11target_archE910ELNS1_3gpuE8ELNS1_3repE0EEENS1_30default_config_static_selectorELNS0_4arch9wavefront6targetE0EEEvSK_.uses_vcc, 0
	.set _ZN7rocprim17ROCPRIM_400000_NS6detail17trampoline_kernelINS0_14default_configENS1_36segmented_radix_sort_config_selectorIslEEZNS1_25segmented_radix_sort_implIS3_Lb1EPKsPsPKlPlN2at6native12_GLOBAL__N_18offset_tEEE10hipError_tPvRmT1_PNSt15iterator_traitsISK_E10value_typeET2_T3_PNSL_ISQ_E10value_typeET4_jRbjT5_SW_jjP12ihipStream_tbEUlT_E2_NS1_11comp_targetILNS1_3genE4ELNS1_11target_archE910ELNS1_3gpuE8ELNS1_3repE0EEENS1_30default_config_static_selectorELNS0_4arch9wavefront6targetE0EEEvSK_.uses_flat_scratch, 0
	.set _ZN7rocprim17ROCPRIM_400000_NS6detail17trampoline_kernelINS0_14default_configENS1_36segmented_radix_sort_config_selectorIslEEZNS1_25segmented_radix_sort_implIS3_Lb1EPKsPsPKlPlN2at6native12_GLOBAL__N_18offset_tEEE10hipError_tPvRmT1_PNSt15iterator_traitsISK_E10value_typeET2_T3_PNSL_ISQ_E10value_typeET4_jRbjT5_SW_jjP12ihipStream_tbEUlT_E2_NS1_11comp_targetILNS1_3genE4ELNS1_11target_archE910ELNS1_3gpuE8ELNS1_3repE0EEENS1_30default_config_static_selectorELNS0_4arch9wavefront6targetE0EEEvSK_.has_dyn_sized_stack, 0
	.set _ZN7rocprim17ROCPRIM_400000_NS6detail17trampoline_kernelINS0_14default_configENS1_36segmented_radix_sort_config_selectorIslEEZNS1_25segmented_radix_sort_implIS3_Lb1EPKsPsPKlPlN2at6native12_GLOBAL__N_18offset_tEEE10hipError_tPvRmT1_PNSt15iterator_traitsISK_E10value_typeET2_T3_PNSL_ISQ_E10value_typeET4_jRbjT5_SW_jjP12ihipStream_tbEUlT_E2_NS1_11comp_targetILNS1_3genE4ELNS1_11target_archE910ELNS1_3gpuE8ELNS1_3repE0EEENS1_30default_config_static_selectorELNS0_4arch9wavefront6targetE0EEEvSK_.has_recursion, 0
	.set _ZN7rocprim17ROCPRIM_400000_NS6detail17trampoline_kernelINS0_14default_configENS1_36segmented_radix_sort_config_selectorIslEEZNS1_25segmented_radix_sort_implIS3_Lb1EPKsPsPKlPlN2at6native12_GLOBAL__N_18offset_tEEE10hipError_tPvRmT1_PNSt15iterator_traitsISK_E10value_typeET2_T3_PNSL_ISQ_E10value_typeET4_jRbjT5_SW_jjP12ihipStream_tbEUlT_E2_NS1_11comp_targetILNS1_3genE4ELNS1_11target_archE910ELNS1_3gpuE8ELNS1_3repE0EEENS1_30default_config_static_selectorELNS0_4arch9wavefront6targetE0EEEvSK_.has_indirect_call, 0
	.section	.AMDGPU.csdata,"",@progbits
; Kernel info:
; codeLenInByte = 0
; TotalNumSgprs: 0
; NumVgprs: 0
; ScratchSize: 0
; MemoryBound: 0
; FloatMode: 240
; IeeeMode: 1
; LDSByteSize: 0 bytes/workgroup (compile time only)
; SGPRBlocks: 0
; VGPRBlocks: 0
; NumSGPRsForWavesPerEU: 1
; NumVGPRsForWavesPerEU: 1
; Occupancy: 16
; WaveLimiterHint : 0
; COMPUTE_PGM_RSRC2:SCRATCH_EN: 0
; COMPUTE_PGM_RSRC2:USER_SGPR: 2
; COMPUTE_PGM_RSRC2:TRAP_HANDLER: 0
; COMPUTE_PGM_RSRC2:TGID_X_EN: 1
; COMPUTE_PGM_RSRC2:TGID_Y_EN: 0
; COMPUTE_PGM_RSRC2:TGID_Z_EN: 0
; COMPUTE_PGM_RSRC2:TIDIG_COMP_CNT: 0
	.section	.text._ZN7rocprim17ROCPRIM_400000_NS6detail17trampoline_kernelINS0_14default_configENS1_36segmented_radix_sort_config_selectorIslEEZNS1_25segmented_radix_sort_implIS3_Lb1EPKsPsPKlPlN2at6native12_GLOBAL__N_18offset_tEEE10hipError_tPvRmT1_PNSt15iterator_traitsISK_E10value_typeET2_T3_PNSL_ISQ_E10value_typeET4_jRbjT5_SW_jjP12ihipStream_tbEUlT_E2_NS1_11comp_targetILNS1_3genE3ELNS1_11target_archE908ELNS1_3gpuE7ELNS1_3repE0EEENS1_30default_config_static_selectorELNS0_4arch9wavefront6targetE0EEEvSK_,"axG",@progbits,_ZN7rocprim17ROCPRIM_400000_NS6detail17trampoline_kernelINS0_14default_configENS1_36segmented_radix_sort_config_selectorIslEEZNS1_25segmented_radix_sort_implIS3_Lb1EPKsPsPKlPlN2at6native12_GLOBAL__N_18offset_tEEE10hipError_tPvRmT1_PNSt15iterator_traitsISK_E10value_typeET2_T3_PNSL_ISQ_E10value_typeET4_jRbjT5_SW_jjP12ihipStream_tbEUlT_E2_NS1_11comp_targetILNS1_3genE3ELNS1_11target_archE908ELNS1_3gpuE7ELNS1_3repE0EEENS1_30default_config_static_selectorELNS0_4arch9wavefront6targetE0EEEvSK_,comdat
	.globl	_ZN7rocprim17ROCPRIM_400000_NS6detail17trampoline_kernelINS0_14default_configENS1_36segmented_radix_sort_config_selectorIslEEZNS1_25segmented_radix_sort_implIS3_Lb1EPKsPsPKlPlN2at6native12_GLOBAL__N_18offset_tEEE10hipError_tPvRmT1_PNSt15iterator_traitsISK_E10value_typeET2_T3_PNSL_ISQ_E10value_typeET4_jRbjT5_SW_jjP12ihipStream_tbEUlT_E2_NS1_11comp_targetILNS1_3genE3ELNS1_11target_archE908ELNS1_3gpuE7ELNS1_3repE0EEENS1_30default_config_static_selectorELNS0_4arch9wavefront6targetE0EEEvSK_ ; -- Begin function _ZN7rocprim17ROCPRIM_400000_NS6detail17trampoline_kernelINS0_14default_configENS1_36segmented_radix_sort_config_selectorIslEEZNS1_25segmented_radix_sort_implIS3_Lb1EPKsPsPKlPlN2at6native12_GLOBAL__N_18offset_tEEE10hipError_tPvRmT1_PNSt15iterator_traitsISK_E10value_typeET2_T3_PNSL_ISQ_E10value_typeET4_jRbjT5_SW_jjP12ihipStream_tbEUlT_E2_NS1_11comp_targetILNS1_3genE3ELNS1_11target_archE908ELNS1_3gpuE7ELNS1_3repE0EEENS1_30default_config_static_selectorELNS0_4arch9wavefront6targetE0EEEvSK_
	.p2align	8
	.type	_ZN7rocprim17ROCPRIM_400000_NS6detail17trampoline_kernelINS0_14default_configENS1_36segmented_radix_sort_config_selectorIslEEZNS1_25segmented_radix_sort_implIS3_Lb1EPKsPsPKlPlN2at6native12_GLOBAL__N_18offset_tEEE10hipError_tPvRmT1_PNSt15iterator_traitsISK_E10value_typeET2_T3_PNSL_ISQ_E10value_typeET4_jRbjT5_SW_jjP12ihipStream_tbEUlT_E2_NS1_11comp_targetILNS1_3genE3ELNS1_11target_archE908ELNS1_3gpuE7ELNS1_3repE0EEENS1_30default_config_static_selectorELNS0_4arch9wavefront6targetE0EEEvSK_,@function
_ZN7rocprim17ROCPRIM_400000_NS6detail17trampoline_kernelINS0_14default_configENS1_36segmented_radix_sort_config_selectorIslEEZNS1_25segmented_radix_sort_implIS3_Lb1EPKsPsPKlPlN2at6native12_GLOBAL__N_18offset_tEEE10hipError_tPvRmT1_PNSt15iterator_traitsISK_E10value_typeET2_T3_PNSL_ISQ_E10value_typeET4_jRbjT5_SW_jjP12ihipStream_tbEUlT_E2_NS1_11comp_targetILNS1_3genE3ELNS1_11target_archE908ELNS1_3gpuE7ELNS1_3repE0EEENS1_30default_config_static_selectorELNS0_4arch9wavefront6targetE0EEEvSK_: ; @_ZN7rocprim17ROCPRIM_400000_NS6detail17trampoline_kernelINS0_14default_configENS1_36segmented_radix_sort_config_selectorIslEEZNS1_25segmented_radix_sort_implIS3_Lb1EPKsPsPKlPlN2at6native12_GLOBAL__N_18offset_tEEE10hipError_tPvRmT1_PNSt15iterator_traitsISK_E10value_typeET2_T3_PNSL_ISQ_E10value_typeET4_jRbjT5_SW_jjP12ihipStream_tbEUlT_E2_NS1_11comp_targetILNS1_3genE3ELNS1_11target_archE908ELNS1_3gpuE7ELNS1_3repE0EEENS1_30default_config_static_selectorELNS0_4arch9wavefront6targetE0EEEvSK_
; %bb.0:
	.section	.rodata,"a",@progbits
	.p2align	6, 0x0
	.amdhsa_kernel _ZN7rocprim17ROCPRIM_400000_NS6detail17trampoline_kernelINS0_14default_configENS1_36segmented_radix_sort_config_selectorIslEEZNS1_25segmented_radix_sort_implIS3_Lb1EPKsPsPKlPlN2at6native12_GLOBAL__N_18offset_tEEE10hipError_tPvRmT1_PNSt15iterator_traitsISK_E10value_typeET2_T3_PNSL_ISQ_E10value_typeET4_jRbjT5_SW_jjP12ihipStream_tbEUlT_E2_NS1_11comp_targetILNS1_3genE3ELNS1_11target_archE908ELNS1_3gpuE7ELNS1_3repE0EEENS1_30default_config_static_selectorELNS0_4arch9wavefront6targetE0EEEvSK_
		.amdhsa_group_segment_fixed_size 0
		.amdhsa_private_segment_fixed_size 0
		.amdhsa_kernarg_size 80
		.amdhsa_user_sgpr_count 2
		.amdhsa_user_sgpr_dispatch_ptr 0
		.amdhsa_user_sgpr_queue_ptr 0
		.amdhsa_user_sgpr_kernarg_segment_ptr 1
		.amdhsa_user_sgpr_dispatch_id 0
		.amdhsa_user_sgpr_private_segment_size 0
		.amdhsa_wavefront_size32 1
		.amdhsa_uses_dynamic_stack 0
		.amdhsa_enable_private_segment 0
		.amdhsa_system_sgpr_workgroup_id_x 1
		.amdhsa_system_sgpr_workgroup_id_y 0
		.amdhsa_system_sgpr_workgroup_id_z 0
		.amdhsa_system_sgpr_workgroup_info 0
		.amdhsa_system_vgpr_workitem_id 0
		.amdhsa_next_free_vgpr 1
		.amdhsa_next_free_sgpr 1
		.amdhsa_reserve_vcc 0
		.amdhsa_float_round_mode_32 0
		.amdhsa_float_round_mode_16_64 0
		.amdhsa_float_denorm_mode_32 3
		.amdhsa_float_denorm_mode_16_64 3
		.amdhsa_fp16_overflow 0
		.amdhsa_workgroup_processor_mode 1
		.amdhsa_memory_ordered 1
		.amdhsa_forward_progress 1
		.amdhsa_inst_pref_size 0
		.amdhsa_round_robin_scheduling 0
		.amdhsa_exception_fp_ieee_invalid_op 0
		.amdhsa_exception_fp_denorm_src 0
		.amdhsa_exception_fp_ieee_div_zero 0
		.amdhsa_exception_fp_ieee_overflow 0
		.amdhsa_exception_fp_ieee_underflow 0
		.amdhsa_exception_fp_ieee_inexact 0
		.amdhsa_exception_int_div_zero 0
	.end_amdhsa_kernel
	.section	.text._ZN7rocprim17ROCPRIM_400000_NS6detail17trampoline_kernelINS0_14default_configENS1_36segmented_radix_sort_config_selectorIslEEZNS1_25segmented_radix_sort_implIS3_Lb1EPKsPsPKlPlN2at6native12_GLOBAL__N_18offset_tEEE10hipError_tPvRmT1_PNSt15iterator_traitsISK_E10value_typeET2_T3_PNSL_ISQ_E10value_typeET4_jRbjT5_SW_jjP12ihipStream_tbEUlT_E2_NS1_11comp_targetILNS1_3genE3ELNS1_11target_archE908ELNS1_3gpuE7ELNS1_3repE0EEENS1_30default_config_static_selectorELNS0_4arch9wavefront6targetE0EEEvSK_,"axG",@progbits,_ZN7rocprim17ROCPRIM_400000_NS6detail17trampoline_kernelINS0_14default_configENS1_36segmented_radix_sort_config_selectorIslEEZNS1_25segmented_radix_sort_implIS3_Lb1EPKsPsPKlPlN2at6native12_GLOBAL__N_18offset_tEEE10hipError_tPvRmT1_PNSt15iterator_traitsISK_E10value_typeET2_T3_PNSL_ISQ_E10value_typeET4_jRbjT5_SW_jjP12ihipStream_tbEUlT_E2_NS1_11comp_targetILNS1_3genE3ELNS1_11target_archE908ELNS1_3gpuE7ELNS1_3repE0EEENS1_30default_config_static_selectorELNS0_4arch9wavefront6targetE0EEEvSK_,comdat
.Lfunc_end944:
	.size	_ZN7rocprim17ROCPRIM_400000_NS6detail17trampoline_kernelINS0_14default_configENS1_36segmented_radix_sort_config_selectorIslEEZNS1_25segmented_radix_sort_implIS3_Lb1EPKsPsPKlPlN2at6native12_GLOBAL__N_18offset_tEEE10hipError_tPvRmT1_PNSt15iterator_traitsISK_E10value_typeET2_T3_PNSL_ISQ_E10value_typeET4_jRbjT5_SW_jjP12ihipStream_tbEUlT_E2_NS1_11comp_targetILNS1_3genE3ELNS1_11target_archE908ELNS1_3gpuE7ELNS1_3repE0EEENS1_30default_config_static_selectorELNS0_4arch9wavefront6targetE0EEEvSK_, .Lfunc_end944-_ZN7rocprim17ROCPRIM_400000_NS6detail17trampoline_kernelINS0_14default_configENS1_36segmented_radix_sort_config_selectorIslEEZNS1_25segmented_radix_sort_implIS3_Lb1EPKsPsPKlPlN2at6native12_GLOBAL__N_18offset_tEEE10hipError_tPvRmT1_PNSt15iterator_traitsISK_E10value_typeET2_T3_PNSL_ISQ_E10value_typeET4_jRbjT5_SW_jjP12ihipStream_tbEUlT_E2_NS1_11comp_targetILNS1_3genE3ELNS1_11target_archE908ELNS1_3gpuE7ELNS1_3repE0EEENS1_30default_config_static_selectorELNS0_4arch9wavefront6targetE0EEEvSK_
                                        ; -- End function
	.set _ZN7rocprim17ROCPRIM_400000_NS6detail17trampoline_kernelINS0_14default_configENS1_36segmented_radix_sort_config_selectorIslEEZNS1_25segmented_radix_sort_implIS3_Lb1EPKsPsPKlPlN2at6native12_GLOBAL__N_18offset_tEEE10hipError_tPvRmT1_PNSt15iterator_traitsISK_E10value_typeET2_T3_PNSL_ISQ_E10value_typeET4_jRbjT5_SW_jjP12ihipStream_tbEUlT_E2_NS1_11comp_targetILNS1_3genE3ELNS1_11target_archE908ELNS1_3gpuE7ELNS1_3repE0EEENS1_30default_config_static_selectorELNS0_4arch9wavefront6targetE0EEEvSK_.num_vgpr, 0
	.set _ZN7rocprim17ROCPRIM_400000_NS6detail17trampoline_kernelINS0_14default_configENS1_36segmented_radix_sort_config_selectorIslEEZNS1_25segmented_radix_sort_implIS3_Lb1EPKsPsPKlPlN2at6native12_GLOBAL__N_18offset_tEEE10hipError_tPvRmT1_PNSt15iterator_traitsISK_E10value_typeET2_T3_PNSL_ISQ_E10value_typeET4_jRbjT5_SW_jjP12ihipStream_tbEUlT_E2_NS1_11comp_targetILNS1_3genE3ELNS1_11target_archE908ELNS1_3gpuE7ELNS1_3repE0EEENS1_30default_config_static_selectorELNS0_4arch9wavefront6targetE0EEEvSK_.num_agpr, 0
	.set _ZN7rocprim17ROCPRIM_400000_NS6detail17trampoline_kernelINS0_14default_configENS1_36segmented_radix_sort_config_selectorIslEEZNS1_25segmented_radix_sort_implIS3_Lb1EPKsPsPKlPlN2at6native12_GLOBAL__N_18offset_tEEE10hipError_tPvRmT1_PNSt15iterator_traitsISK_E10value_typeET2_T3_PNSL_ISQ_E10value_typeET4_jRbjT5_SW_jjP12ihipStream_tbEUlT_E2_NS1_11comp_targetILNS1_3genE3ELNS1_11target_archE908ELNS1_3gpuE7ELNS1_3repE0EEENS1_30default_config_static_selectorELNS0_4arch9wavefront6targetE0EEEvSK_.numbered_sgpr, 0
	.set _ZN7rocprim17ROCPRIM_400000_NS6detail17trampoline_kernelINS0_14default_configENS1_36segmented_radix_sort_config_selectorIslEEZNS1_25segmented_radix_sort_implIS3_Lb1EPKsPsPKlPlN2at6native12_GLOBAL__N_18offset_tEEE10hipError_tPvRmT1_PNSt15iterator_traitsISK_E10value_typeET2_T3_PNSL_ISQ_E10value_typeET4_jRbjT5_SW_jjP12ihipStream_tbEUlT_E2_NS1_11comp_targetILNS1_3genE3ELNS1_11target_archE908ELNS1_3gpuE7ELNS1_3repE0EEENS1_30default_config_static_selectorELNS0_4arch9wavefront6targetE0EEEvSK_.num_named_barrier, 0
	.set _ZN7rocprim17ROCPRIM_400000_NS6detail17trampoline_kernelINS0_14default_configENS1_36segmented_radix_sort_config_selectorIslEEZNS1_25segmented_radix_sort_implIS3_Lb1EPKsPsPKlPlN2at6native12_GLOBAL__N_18offset_tEEE10hipError_tPvRmT1_PNSt15iterator_traitsISK_E10value_typeET2_T3_PNSL_ISQ_E10value_typeET4_jRbjT5_SW_jjP12ihipStream_tbEUlT_E2_NS1_11comp_targetILNS1_3genE3ELNS1_11target_archE908ELNS1_3gpuE7ELNS1_3repE0EEENS1_30default_config_static_selectorELNS0_4arch9wavefront6targetE0EEEvSK_.private_seg_size, 0
	.set _ZN7rocprim17ROCPRIM_400000_NS6detail17trampoline_kernelINS0_14default_configENS1_36segmented_radix_sort_config_selectorIslEEZNS1_25segmented_radix_sort_implIS3_Lb1EPKsPsPKlPlN2at6native12_GLOBAL__N_18offset_tEEE10hipError_tPvRmT1_PNSt15iterator_traitsISK_E10value_typeET2_T3_PNSL_ISQ_E10value_typeET4_jRbjT5_SW_jjP12ihipStream_tbEUlT_E2_NS1_11comp_targetILNS1_3genE3ELNS1_11target_archE908ELNS1_3gpuE7ELNS1_3repE0EEENS1_30default_config_static_selectorELNS0_4arch9wavefront6targetE0EEEvSK_.uses_vcc, 0
	.set _ZN7rocprim17ROCPRIM_400000_NS6detail17trampoline_kernelINS0_14default_configENS1_36segmented_radix_sort_config_selectorIslEEZNS1_25segmented_radix_sort_implIS3_Lb1EPKsPsPKlPlN2at6native12_GLOBAL__N_18offset_tEEE10hipError_tPvRmT1_PNSt15iterator_traitsISK_E10value_typeET2_T3_PNSL_ISQ_E10value_typeET4_jRbjT5_SW_jjP12ihipStream_tbEUlT_E2_NS1_11comp_targetILNS1_3genE3ELNS1_11target_archE908ELNS1_3gpuE7ELNS1_3repE0EEENS1_30default_config_static_selectorELNS0_4arch9wavefront6targetE0EEEvSK_.uses_flat_scratch, 0
	.set _ZN7rocprim17ROCPRIM_400000_NS6detail17trampoline_kernelINS0_14default_configENS1_36segmented_radix_sort_config_selectorIslEEZNS1_25segmented_radix_sort_implIS3_Lb1EPKsPsPKlPlN2at6native12_GLOBAL__N_18offset_tEEE10hipError_tPvRmT1_PNSt15iterator_traitsISK_E10value_typeET2_T3_PNSL_ISQ_E10value_typeET4_jRbjT5_SW_jjP12ihipStream_tbEUlT_E2_NS1_11comp_targetILNS1_3genE3ELNS1_11target_archE908ELNS1_3gpuE7ELNS1_3repE0EEENS1_30default_config_static_selectorELNS0_4arch9wavefront6targetE0EEEvSK_.has_dyn_sized_stack, 0
	.set _ZN7rocprim17ROCPRIM_400000_NS6detail17trampoline_kernelINS0_14default_configENS1_36segmented_radix_sort_config_selectorIslEEZNS1_25segmented_radix_sort_implIS3_Lb1EPKsPsPKlPlN2at6native12_GLOBAL__N_18offset_tEEE10hipError_tPvRmT1_PNSt15iterator_traitsISK_E10value_typeET2_T3_PNSL_ISQ_E10value_typeET4_jRbjT5_SW_jjP12ihipStream_tbEUlT_E2_NS1_11comp_targetILNS1_3genE3ELNS1_11target_archE908ELNS1_3gpuE7ELNS1_3repE0EEENS1_30default_config_static_selectorELNS0_4arch9wavefront6targetE0EEEvSK_.has_recursion, 0
	.set _ZN7rocprim17ROCPRIM_400000_NS6detail17trampoline_kernelINS0_14default_configENS1_36segmented_radix_sort_config_selectorIslEEZNS1_25segmented_radix_sort_implIS3_Lb1EPKsPsPKlPlN2at6native12_GLOBAL__N_18offset_tEEE10hipError_tPvRmT1_PNSt15iterator_traitsISK_E10value_typeET2_T3_PNSL_ISQ_E10value_typeET4_jRbjT5_SW_jjP12ihipStream_tbEUlT_E2_NS1_11comp_targetILNS1_3genE3ELNS1_11target_archE908ELNS1_3gpuE7ELNS1_3repE0EEENS1_30default_config_static_selectorELNS0_4arch9wavefront6targetE0EEEvSK_.has_indirect_call, 0
	.section	.AMDGPU.csdata,"",@progbits
; Kernel info:
; codeLenInByte = 0
; TotalNumSgprs: 0
; NumVgprs: 0
; ScratchSize: 0
; MemoryBound: 0
; FloatMode: 240
; IeeeMode: 1
; LDSByteSize: 0 bytes/workgroup (compile time only)
; SGPRBlocks: 0
; VGPRBlocks: 0
; NumSGPRsForWavesPerEU: 1
; NumVGPRsForWavesPerEU: 1
; Occupancy: 16
; WaveLimiterHint : 0
; COMPUTE_PGM_RSRC2:SCRATCH_EN: 0
; COMPUTE_PGM_RSRC2:USER_SGPR: 2
; COMPUTE_PGM_RSRC2:TRAP_HANDLER: 0
; COMPUTE_PGM_RSRC2:TGID_X_EN: 1
; COMPUTE_PGM_RSRC2:TGID_Y_EN: 0
; COMPUTE_PGM_RSRC2:TGID_Z_EN: 0
; COMPUTE_PGM_RSRC2:TIDIG_COMP_CNT: 0
	.section	.text._ZN7rocprim17ROCPRIM_400000_NS6detail17trampoline_kernelINS0_14default_configENS1_36segmented_radix_sort_config_selectorIslEEZNS1_25segmented_radix_sort_implIS3_Lb1EPKsPsPKlPlN2at6native12_GLOBAL__N_18offset_tEEE10hipError_tPvRmT1_PNSt15iterator_traitsISK_E10value_typeET2_T3_PNSL_ISQ_E10value_typeET4_jRbjT5_SW_jjP12ihipStream_tbEUlT_E2_NS1_11comp_targetILNS1_3genE2ELNS1_11target_archE906ELNS1_3gpuE6ELNS1_3repE0EEENS1_30default_config_static_selectorELNS0_4arch9wavefront6targetE0EEEvSK_,"axG",@progbits,_ZN7rocprim17ROCPRIM_400000_NS6detail17trampoline_kernelINS0_14default_configENS1_36segmented_radix_sort_config_selectorIslEEZNS1_25segmented_radix_sort_implIS3_Lb1EPKsPsPKlPlN2at6native12_GLOBAL__N_18offset_tEEE10hipError_tPvRmT1_PNSt15iterator_traitsISK_E10value_typeET2_T3_PNSL_ISQ_E10value_typeET4_jRbjT5_SW_jjP12ihipStream_tbEUlT_E2_NS1_11comp_targetILNS1_3genE2ELNS1_11target_archE906ELNS1_3gpuE6ELNS1_3repE0EEENS1_30default_config_static_selectorELNS0_4arch9wavefront6targetE0EEEvSK_,comdat
	.globl	_ZN7rocprim17ROCPRIM_400000_NS6detail17trampoline_kernelINS0_14default_configENS1_36segmented_radix_sort_config_selectorIslEEZNS1_25segmented_radix_sort_implIS3_Lb1EPKsPsPKlPlN2at6native12_GLOBAL__N_18offset_tEEE10hipError_tPvRmT1_PNSt15iterator_traitsISK_E10value_typeET2_T3_PNSL_ISQ_E10value_typeET4_jRbjT5_SW_jjP12ihipStream_tbEUlT_E2_NS1_11comp_targetILNS1_3genE2ELNS1_11target_archE906ELNS1_3gpuE6ELNS1_3repE0EEENS1_30default_config_static_selectorELNS0_4arch9wavefront6targetE0EEEvSK_ ; -- Begin function _ZN7rocprim17ROCPRIM_400000_NS6detail17trampoline_kernelINS0_14default_configENS1_36segmented_radix_sort_config_selectorIslEEZNS1_25segmented_radix_sort_implIS3_Lb1EPKsPsPKlPlN2at6native12_GLOBAL__N_18offset_tEEE10hipError_tPvRmT1_PNSt15iterator_traitsISK_E10value_typeET2_T3_PNSL_ISQ_E10value_typeET4_jRbjT5_SW_jjP12ihipStream_tbEUlT_E2_NS1_11comp_targetILNS1_3genE2ELNS1_11target_archE906ELNS1_3gpuE6ELNS1_3repE0EEENS1_30default_config_static_selectorELNS0_4arch9wavefront6targetE0EEEvSK_
	.p2align	8
	.type	_ZN7rocprim17ROCPRIM_400000_NS6detail17trampoline_kernelINS0_14default_configENS1_36segmented_radix_sort_config_selectorIslEEZNS1_25segmented_radix_sort_implIS3_Lb1EPKsPsPKlPlN2at6native12_GLOBAL__N_18offset_tEEE10hipError_tPvRmT1_PNSt15iterator_traitsISK_E10value_typeET2_T3_PNSL_ISQ_E10value_typeET4_jRbjT5_SW_jjP12ihipStream_tbEUlT_E2_NS1_11comp_targetILNS1_3genE2ELNS1_11target_archE906ELNS1_3gpuE6ELNS1_3repE0EEENS1_30default_config_static_selectorELNS0_4arch9wavefront6targetE0EEEvSK_,@function
_ZN7rocprim17ROCPRIM_400000_NS6detail17trampoline_kernelINS0_14default_configENS1_36segmented_radix_sort_config_selectorIslEEZNS1_25segmented_radix_sort_implIS3_Lb1EPKsPsPKlPlN2at6native12_GLOBAL__N_18offset_tEEE10hipError_tPvRmT1_PNSt15iterator_traitsISK_E10value_typeET2_T3_PNSL_ISQ_E10value_typeET4_jRbjT5_SW_jjP12ihipStream_tbEUlT_E2_NS1_11comp_targetILNS1_3genE2ELNS1_11target_archE906ELNS1_3gpuE6ELNS1_3repE0EEENS1_30default_config_static_selectorELNS0_4arch9wavefront6targetE0EEEvSK_: ; @_ZN7rocprim17ROCPRIM_400000_NS6detail17trampoline_kernelINS0_14default_configENS1_36segmented_radix_sort_config_selectorIslEEZNS1_25segmented_radix_sort_implIS3_Lb1EPKsPsPKlPlN2at6native12_GLOBAL__N_18offset_tEEE10hipError_tPvRmT1_PNSt15iterator_traitsISK_E10value_typeET2_T3_PNSL_ISQ_E10value_typeET4_jRbjT5_SW_jjP12ihipStream_tbEUlT_E2_NS1_11comp_targetILNS1_3genE2ELNS1_11target_archE906ELNS1_3gpuE6ELNS1_3repE0EEENS1_30default_config_static_selectorELNS0_4arch9wavefront6targetE0EEEvSK_
; %bb.0:
	.section	.rodata,"a",@progbits
	.p2align	6, 0x0
	.amdhsa_kernel _ZN7rocprim17ROCPRIM_400000_NS6detail17trampoline_kernelINS0_14default_configENS1_36segmented_radix_sort_config_selectorIslEEZNS1_25segmented_radix_sort_implIS3_Lb1EPKsPsPKlPlN2at6native12_GLOBAL__N_18offset_tEEE10hipError_tPvRmT1_PNSt15iterator_traitsISK_E10value_typeET2_T3_PNSL_ISQ_E10value_typeET4_jRbjT5_SW_jjP12ihipStream_tbEUlT_E2_NS1_11comp_targetILNS1_3genE2ELNS1_11target_archE906ELNS1_3gpuE6ELNS1_3repE0EEENS1_30default_config_static_selectorELNS0_4arch9wavefront6targetE0EEEvSK_
		.amdhsa_group_segment_fixed_size 0
		.amdhsa_private_segment_fixed_size 0
		.amdhsa_kernarg_size 80
		.amdhsa_user_sgpr_count 2
		.amdhsa_user_sgpr_dispatch_ptr 0
		.amdhsa_user_sgpr_queue_ptr 0
		.amdhsa_user_sgpr_kernarg_segment_ptr 1
		.amdhsa_user_sgpr_dispatch_id 0
		.amdhsa_user_sgpr_private_segment_size 0
		.amdhsa_wavefront_size32 1
		.amdhsa_uses_dynamic_stack 0
		.amdhsa_enable_private_segment 0
		.amdhsa_system_sgpr_workgroup_id_x 1
		.amdhsa_system_sgpr_workgroup_id_y 0
		.amdhsa_system_sgpr_workgroup_id_z 0
		.amdhsa_system_sgpr_workgroup_info 0
		.amdhsa_system_vgpr_workitem_id 0
		.amdhsa_next_free_vgpr 1
		.amdhsa_next_free_sgpr 1
		.amdhsa_reserve_vcc 0
		.amdhsa_float_round_mode_32 0
		.amdhsa_float_round_mode_16_64 0
		.amdhsa_float_denorm_mode_32 3
		.amdhsa_float_denorm_mode_16_64 3
		.amdhsa_fp16_overflow 0
		.amdhsa_workgroup_processor_mode 1
		.amdhsa_memory_ordered 1
		.amdhsa_forward_progress 1
		.amdhsa_inst_pref_size 0
		.amdhsa_round_robin_scheduling 0
		.amdhsa_exception_fp_ieee_invalid_op 0
		.amdhsa_exception_fp_denorm_src 0
		.amdhsa_exception_fp_ieee_div_zero 0
		.amdhsa_exception_fp_ieee_overflow 0
		.amdhsa_exception_fp_ieee_underflow 0
		.amdhsa_exception_fp_ieee_inexact 0
		.amdhsa_exception_int_div_zero 0
	.end_amdhsa_kernel
	.section	.text._ZN7rocprim17ROCPRIM_400000_NS6detail17trampoline_kernelINS0_14default_configENS1_36segmented_radix_sort_config_selectorIslEEZNS1_25segmented_radix_sort_implIS3_Lb1EPKsPsPKlPlN2at6native12_GLOBAL__N_18offset_tEEE10hipError_tPvRmT1_PNSt15iterator_traitsISK_E10value_typeET2_T3_PNSL_ISQ_E10value_typeET4_jRbjT5_SW_jjP12ihipStream_tbEUlT_E2_NS1_11comp_targetILNS1_3genE2ELNS1_11target_archE906ELNS1_3gpuE6ELNS1_3repE0EEENS1_30default_config_static_selectorELNS0_4arch9wavefront6targetE0EEEvSK_,"axG",@progbits,_ZN7rocprim17ROCPRIM_400000_NS6detail17trampoline_kernelINS0_14default_configENS1_36segmented_radix_sort_config_selectorIslEEZNS1_25segmented_radix_sort_implIS3_Lb1EPKsPsPKlPlN2at6native12_GLOBAL__N_18offset_tEEE10hipError_tPvRmT1_PNSt15iterator_traitsISK_E10value_typeET2_T3_PNSL_ISQ_E10value_typeET4_jRbjT5_SW_jjP12ihipStream_tbEUlT_E2_NS1_11comp_targetILNS1_3genE2ELNS1_11target_archE906ELNS1_3gpuE6ELNS1_3repE0EEENS1_30default_config_static_selectorELNS0_4arch9wavefront6targetE0EEEvSK_,comdat
.Lfunc_end945:
	.size	_ZN7rocprim17ROCPRIM_400000_NS6detail17trampoline_kernelINS0_14default_configENS1_36segmented_radix_sort_config_selectorIslEEZNS1_25segmented_radix_sort_implIS3_Lb1EPKsPsPKlPlN2at6native12_GLOBAL__N_18offset_tEEE10hipError_tPvRmT1_PNSt15iterator_traitsISK_E10value_typeET2_T3_PNSL_ISQ_E10value_typeET4_jRbjT5_SW_jjP12ihipStream_tbEUlT_E2_NS1_11comp_targetILNS1_3genE2ELNS1_11target_archE906ELNS1_3gpuE6ELNS1_3repE0EEENS1_30default_config_static_selectorELNS0_4arch9wavefront6targetE0EEEvSK_, .Lfunc_end945-_ZN7rocprim17ROCPRIM_400000_NS6detail17trampoline_kernelINS0_14default_configENS1_36segmented_radix_sort_config_selectorIslEEZNS1_25segmented_radix_sort_implIS3_Lb1EPKsPsPKlPlN2at6native12_GLOBAL__N_18offset_tEEE10hipError_tPvRmT1_PNSt15iterator_traitsISK_E10value_typeET2_T3_PNSL_ISQ_E10value_typeET4_jRbjT5_SW_jjP12ihipStream_tbEUlT_E2_NS1_11comp_targetILNS1_3genE2ELNS1_11target_archE906ELNS1_3gpuE6ELNS1_3repE0EEENS1_30default_config_static_selectorELNS0_4arch9wavefront6targetE0EEEvSK_
                                        ; -- End function
	.set _ZN7rocprim17ROCPRIM_400000_NS6detail17trampoline_kernelINS0_14default_configENS1_36segmented_radix_sort_config_selectorIslEEZNS1_25segmented_radix_sort_implIS3_Lb1EPKsPsPKlPlN2at6native12_GLOBAL__N_18offset_tEEE10hipError_tPvRmT1_PNSt15iterator_traitsISK_E10value_typeET2_T3_PNSL_ISQ_E10value_typeET4_jRbjT5_SW_jjP12ihipStream_tbEUlT_E2_NS1_11comp_targetILNS1_3genE2ELNS1_11target_archE906ELNS1_3gpuE6ELNS1_3repE0EEENS1_30default_config_static_selectorELNS0_4arch9wavefront6targetE0EEEvSK_.num_vgpr, 0
	.set _ZN7rocprim17ROCPRIM_400000_NS6detail17trampoline_kernelINS0_14default_configENS1_36segmented_radix_sort_config_selectorIslEEZNS1_25segmented_radix_sort_implIS3_Lb1EPKsPsPKlPlN2at6native12_GLOBAL__N_18offset_tEEE10hipError_tPvRmT1_PNSt15iterator_traitsISK_E10value_typeET2_T3_PNSL_ISQ_E10value_typeET4_jRbjT5_SW_jjP12ihipStream_tbEUlT_E2_NS1_11comp_targetILNS1_3genE2ELNS1_11target_archE906ELNS1_3gpuE6ELNS1_3repE0EEENS1_30default_config_static_selectorELNS0_4arch9wavefront6targetE0EEEvSK_.num_agpr, 0
	.set _ZN7rocprim17ROCPRIM_400000_NS6detail17trampoline_kernelINS0_14default_configENS1_36segmented_radix_sort_config_selectorIslEEZNS1_25segmented_radix_sort_implIS3_Lb1EPKsPsPKlPlN2at6native12_GLOBAL__N_18offset_tEEE10hipError_tPvRmT1_PNSt15iterator_traitsISK_E10value_typeET2_T3_PNSL_ISQ_E10value_typeET4_jRbjT5_SW_jjP12ihipStream_tbEUlT_E2_NS1_11comp_targetILNS1_3genE2ELNS1_11target_archE906ELNS1_3gpuE6ELNS1_3repE0EEENS1_30default_config_static_selectorELNS0_4arch9wavefront6targetE0EEEvSK_.numbered_sgpr, 0
	.set _ZN7rocprim17ROCPRIM_400000_NS6detail17trampoline_kernelINS0_14default_configENS1_36segmented_radix_sort_config_selectorIslEEZNS1_25segmented_radix_sort_implIS3_Lb1EPKsPsPKlPlN2at6native12_GLOBAL__N_18offset_tEEE10hipError_tPvRmT1_PNSt15iterator_traitsISK_E10value_typeET2_T3_PNSL_ISQ_E10value_typeET4_jRbjT5_SW_jjP12ihipStream_tbEUlT_E2_NS1_11comp_targetILNS1_3genE2ELNS1_11target_archE906ELNS1_3gpuE6ELNS1_3repE0EEENS1_30default_config_static_selectorELNS0_4arch9wavefront6targetE0EEEvSK_.num_named_barrier, 0
	.set _ZN7rocprim17ROCPRIM_400000_NS6detail17trampoline_kernelINS0_14default_configENS1_36segmented_radix_sort_config_selectorIslEEZNS1_25segmented_radix_sort_implIS3_Lb1EPKsPsPKlPlN2at6native12_GLOBAL__N_18offset_tEEE10hipError_tPvRmT1_PNSt15iterator_traitsISK_E10value_typeET2_T3_PNSL_ISQ_E10value_typeET4_jRbjT5_SW_jjP12ihipStream_tbEUlT_E2_NS1_11comp_targetILNS1_3genE2ELNS1_11target_archE906ELNS1_3gpuE6ELNS1_3repE0EEENS1_30default_config_static_selectorELNS0_4arch9wavefront6targetE0EEEvSK_.private_seg_size, 0
	.set _ZN7rocprim17ROCPRIM_400000_NS6detail17trampoline_kernelINS0_14default_configENS1_36segmented_radix_sort_config_selectorIslEEZNS1_25segmented_radix_sort_implIS3_Lb1EPKsPsPKlPlN2at6native12_GLOBAL__N_18offset_tEEE10hipError_tPvRmT1_PNSt15iterator_traitsISK_E10value_typeET2_T3_PNSL_ISQ_E10value_typeET4_jRbjT5_SW_jjP12ihipStream_tbEUlT_E2_NS1_11comp_targetILNS1_3genE2ELNS1_11target_archE906ELNS1_3gpuE6ELNS1_3repE0EEENS1_30default_config_static_selectorELNS0_4arch9wavefront6targetE0EEEvSK_.uses_vcc, 0
	.set _ZN7rocprim17ROCPRIM_400000_NS6detail17trampoline_kernelINS0_14default_configENS1_36segmented_radix_sort_config_selectorIslEEZNS1_25segmented_radix_sort_implIS3_Lb1EPKsPsPKlPlN2at6native12_GLOBAL__N_18offset_tEEE10hipError_tPvRmT1_PNSt15iterator_traitsISK_E10value_typeET2_T3_PNSL_ISQ_E10value_typeET4_jRbjT5_SW_jjP12ihipStream_tbEUlT_E2_NS1_11comp_targetILNS1_3genE2ELNS1_11target_archE906ELNS1_3gpuE6ELNS1_3repE0EEENS1_30default_config_static_selectorELNS0_4arch9wavefront6targetE0EEEvSK_.uses_flat_scratch, 0
	.set _ZN7rocprim17ROCPRIM_400000_NS6detail17trampoline_kernelINS0_14default_configENS1_36segmented_radix_sort_config_selectorIslEEZNS1_25segmented_radix_sort_implIS3_Lb1EPKsPsPKlPlN2at6native12_GLOBAL__N_18offset_tEEE10hipError_tPvRmT1_PNSt15iterator_traitsISK_E10value_typeET2_T3_PNSL_ISQ_E10value_typeET4_jRbjT5_SW_jjP12ihipStream_tbEUlT_E2_NS1_11comp_targetILNS1_3genE2ELNS1_11target_archE906ELNS1_3gpuE6ELNS1_3repE0EEENS1_30default_config_static_selectorELNS0_4arch9wavefront6targetE0EEEvSK_.has_dyn_sized_stack, 0
	.set _ZN7rocprim17ROCPRIM_400000_NS6detail17trampoline_kernelINS0_14default_configENS1_36segmented_radix_sort_config_selectorIslEEZNS1_25segmented_radix_sort_implIS3_Lb1EPKsPsPKlPlN2at6native12_GLOBAL__N_18offset_tEEE10hipError_tPvRmT1_PNSt15iterator_traitsISK_E10value_typeET2_T3_PNSL_ISQ_E10value_typeET4_jRbjT5_SW_jjP12ihipStream_tbEUlT_E2_NS1_11comp_targetILNS1_3genE2ELNS1_11target_archE906ELNS1_3gpuE6ELNS1_3repE0EEENS1_30default_config_static_selectorELNS0_4arch9wavefront6targetE0EEEvSK_.has_recursion, 0
	.set _ZN7rocprim17ROCPRIM_400000_NS6detail17trampoline_kernelINS0_14default_configENS1_36segmented_radix_sort_config_selectorIslEEZNS1_25segmented_radix_sort_implIS3_Lb1EPKsPsPKlPlN2at6native12_GLOBAL__N_18offset_tEEE10hipError_tPvRmT1_PNSt15iterator_traitsISK_E10value_typeET2_T3_PNSL_ISQ_E10value_typeET4_jRbjT5_SW_jjP12ihipStream_tbEUlT_E2_NS1_11comp_targetILNS1_3genE2ELNS1_11target_archE906ELNS1_3gpuE6ELNS1_3repE0EEENS1_30default_config_static_selectorELNS0_4arch9wavefront6targetE0EEEvSK_.has_indirect_call, 0
	.section	.AMDGPU.csdata,"",@progbits
; Kernel info:
; codeLenInByte = 0
; TotalNumSgprs: 0
; NumVgprs: 0
; ScratchSize: 0
; MemoryBound: 0
; FloatMode: 240
; IeeeMode: 1
; LDSByteSize: 0 bytes/workgroup (compile time only)
; SGPRBlocks: 0
; VGPRBlocks: 0
; NumSGPRsForWavesPerEU: 1
; NumVGPRsForWavesPerEU: 1
; Occupancy: 16
; WaveLimiterHint : 0
; COMPUTE_PGM_RSRC2:SCRATCH_EN: 0
; COMPUTE_PGM_RSRC2:USER_SGPR: 2
; COMPUTE_PGM_RSRC2:TRAP_HANDLER: 0
; COMPUTE_PGM_RSRC2:TGID_X_EN: 1
; COMPUTE_PGM_RSRC2:TGID_Y_EN: 0
; COMPUTE_PGM_RSRC2:TGID_Z_EN: 0
; COMPUTE_PGM_RSRC2:TIDIG_COMP_CNT: 0
	.section	.text._ZN7rocprim17ROCPRIM_400000_NS6detail17trampoline_kernelINS0_14default_configENS1_36segmented_radix_sort_config_selectorIslEEZNS1_25segmented_radix_sort_implIS3_Lb1EPKsPsPKlPlN2at6native12_GLOBAL__N_18offset_tEEE10hipError_tPvRmT1_PNSt15iterator_traitsISK_E10value_typeET2_T3_PNSL_ISQ_E10value_typeET4_jRbjT5_SW_jjP12ihipStream_tbEUlT_E2_NS1_11comp_targetILNS1_3genE10ELNS1_11target_archE1201ELNS1_3gpuE5ELNS1_3repE0EEENS1_30default_config_static_selectorELNS0_4arch9wavefront6targetE0EEEvSK_,"axG",@progbits,_ZN7rocprim17ROCPRIM_400000_NS6detail17trampoline_kernelINS0_14default_configENS1_36segmented_radix_sort_config_selectorIslEEZNS1_25segmented_radix_sort_implIS3_Lb1EPKsPsPKlPlN2at6native12_GLOBAL__N_18offset_tEEE10hipError_tPvRmT1_PNSt15iterator_traitsISK_E10value_typeET2_T3_PNSL_ISQ_E10value_typeET4_jRbjT5_SW_jjP12ihipStream_tbEUlT_E2_NS1_11comp_targetILNS1_3genE10ELNS1_11target_archE1201ELNS1_3gpuE5ELNS1_3repE0EEENS1_30default_config_static_selectorELNS0_4arch9wavefront6targetE0EEEvSK_,comdat
	.globl	_ZN7rocprim17ROCPRIM_400000_NS6detail17trampoline_kernelINS0_14default_configENS1_36segmented_radix_sort_config_selectorIslEEZNS1_25segmented_radix_sort_implIS3_Lb1EPKsPsPKlPlN2at6native12_GLOBAL__N_18offset_tEEE10hipError_tPvRmT1_PNSt15iterator_traitsISK_E10value_typeET2_T3_PNSL_ISQ_E10value_typeET4_jRbjT5_SW_jjP12ihipStream_tbEUlT_E2_NS1_11comp_targetILNS1_3genE10ELNS1_11target_archE1201ELNS1_3gpuE5ELNS1_3repE0EEENS1_30default_config_static_selectorELNS0_4arch9wavefront6targetE0EEEvSK_ ; -- Begin function _ZN7rocprim17ROCPRIM_400000_NS6detail17trampoline_kernelINS0_14default_configENS1_36segmented_radix_sort_config_selectorIslEEZNS1_25segmented_radix_sort_implIS3_Lb1EPKsPsPKlPlN2at6native12_GLOBAL__N_18offset_tEEE10hipError_tPvRmT1_PNSt15iterator_traitsISK_E10value_typeET2_T3_PNSL_ISQ_E10value_typeET4_jRbjT5_SW_jjP12ihipStream_tbEUlT_E2_NS1_11comp_targetILNS1_3genE10ELNS1_11target_archE1201ELNS1_3gpuE5ELNS1_3repE0EEENS1_30default_config_static_selectorELNS0_4arch9wavefront6targetE0EEEvSK_
	.p2align	8
	.type	_ZN7rocprim17ROCPRIM_400000_NS6detail17trampoline_kernelINS0_14default_configENS1_36segmented_radix_sort_config_selectorIslEEZNS1_25segmented_radix_sort_implIS3_Lb1EPKsPsPKlPlN2at6native12_GLOBAL__N_18offset_tEEE10hipError_tPvRmT1_PNSt15iterator_traitsISK_E10value_typeET2_T3_PNSL_ISQ_E10value_typeET4_jRbjT5_SW_jjP12ihipStream_tbEUlT_E2_NS1_11comp_targetILNS1_3genE10ELNS1_11target_archE1201ELNS1_3gpuE5ELNS1_3repE0EEENS1_30default_config_static_selectorELNS0_4arch9wavefront6targetE0EEEvSK_,@function
_ZN7rocprim17ROCPRIM_400000_NS6detail17trampoline_kernelINS0_14default_configENS1_36segmented_radix_sort_config_selectorIslEEZNS1_25segmented_radix_sort_implIS3_Lb1EPKsPsPKlPlN2at6native12_GLOBAL__N_18offset_tEEE10hipError_tPvRmT1_PNSt15iterator_traitsISK_E10value_typeET2_T3_PNSL_ISQ_E10value_typeET4_jRbjT5_SW_jjP12ihipStream_tbEUlT_E2_NS1_11comp_targetILNS1_3genE10ELNS1_11target_archE1201ELNS1_3gpuE5ELNS1_3repE0EEENS1_30default_config_static_selectorELNS0_4arch9wavefront6targetE0EEEvSK_: ; @_ZN7rocprim17ROCPRIM_400000_NS6detail17trampoline_kernelINS0_14default_configENS1_36segmented_radix_sort_config_selectorIslEEZNS1_25segmented_radix_sort_implIS3_Lb1EPKsPsPKlPlN2at6native12_GLOBAL__N_18offset_tEEE10hipError_tPvRmT1_PNSt15iterator_traitsISK_E10value_typeET2_T3_PNSL_ISQ_E10value_typeET4_jRbjT5_SW_jjP12ihipStream_tbEUlT_E2_NS1_11comp_targetILNS1_3genE10ELNS1_11target_archE1201ELNS1_3gpuE5ELNS1_3repE0EEENS1_30default_config_static_selectorELNS0_4arch9wavefront6targetE0EEEvSK_
; %bb.0:
	s_load_b128 s[4:7], s[0:1], 0x34
	s_mov_b32 s32, 0
	s_wait_kmcnt 0x0
	s_add_co_i32 s33, s5, ttmp9
	s_add_co_i32 s34, s7, ttmp9
	s_mul_i32 s33, s33, s4
	s_mul_i32 s34, s34, s6
	s_delay_alu instid0(SALU_CYCLE_1)
	s_cmp_le_u32 s34, s33
	s_cbranch_scc1 .LBB946_678
; %bb.1:
	s_clause 0x3
	s_load_b32 s2, s[0:1], 0x30
	s_load_b128 s[24:27], s[0:1], 0x20
	s_load_b96 s[44:46], s[0:1], 0x44
	s_load_b256 s[36:43], s[0:1], 0x0
	s_wait_kmcnt 0x0
	s_bitcmp1_b32 s2, 0
	s_mov_b32 s2, -1
	s_cselect_b32 s35, -1, 0
	s_sub_co_i32 s47, s34, s33
	s_delay_alu instid0(SALU_CYCLE_1)
	s_cmp_lt_u32 s47, 0x801
	s_cbranch_scc0 .LBB946_15
; %bb.2:
	s_cmp_lt_u32 s47, 33
	s_cbranch_scc0 .LBB946_9
; %bb.3:
	s_load_b32 s2, s[0:1], 0x5c
	v_bfe_u32 v1, v0, 10, 10
	v_bfe_u32 v2, v0, 20, 10
	s_mov_b32 s16, exec_lo
	s_wait_kmcnt 0x0
	s_lshr_b32 s3, s2, 16
	s_and_b32 s2, s2, 0xffff
	v_mad_u32_u24 v2, v2, s3, v1
	v_and_b32_e32 v1, 0x3ff, v0
	s_delay_alu instid0(VALU_DEP_1) | instskip(NEXT) | instid1(VALU_DEP_1)
	v_mad_co_u64_u32 v[1:2], null, v2, s2, v[1:2]
	v_cmpx_gt_u32_e32 8, v1
	s_cbranch_execz .LBB946_8
; %bb.4:
	v_cndmask_b32_e64 v1, 0, 1, s35
	s_and_b32 s2, s44, 1
	s_wait_alu 0xfffe
	s_delay_alu instid0(VALU_DEP_1)
	v_cmp_ne_u32_e32 vcc_lo, s2, v1
	s_mov_b32 s2, -1
	s_cbranch_vccnz .LBB946_6
; %bb.5:
	s_mov_b64 s[2:3], src_shared_base
	v_dual_mov_b32 v31, v0 :: v_dual_mov_b32 v40, v0
	v_dual_mov_b32 v0, s36 :: v_dual_mov_b32 v1, s37
	;; [unrolled: 1-line block ×7, first 2 shown]
	s_wait_alu 0xfffe
	v_dual_mov_b32 v12, 0 :: v_dual_mov_b32 v13, s3
	s_add_nc_u64 s[8:9], s[0:1], 0x50
	s_getpc_b64 s[4:5]
	s_sext_i32_i16 s5, s5
	s_add_co_u32 s4, s4, _ZN7rocprim17ROCPRIM_400000_NS6detail26segmented_warp_sort_helperINS1_20WarpSortHelperConfigILj8ELj4ELj256EEEslLi256ELb1EvE4sortIPKsPsPKlPlEEvT_T0_T1_T2_jjjjRNS5_12storage_typeE@rel32@lo+8
	s_add_co_ci_u32 s5, s5, _ZN7rocprim17ROCPRIM_400000_NS6detail26segmented_warp_sort_helperINS1_20WarpSortHelperConfigILj8ELj4ELj256EEEslLi256ELb1EvE4sortIPKsPsPKlPlEEvT_T0_T1_T2_jjjjRNS5_12storage_typeE@rel32@hi+16
	s_mov_b64 s[14:15], s[0:1]
	s_swappc_b64 s[30:31], s[4:5]
	v_mov_b32_e32 v0, v40
	s_mov_b64 s[0:1], s[14:15]
	s_mov_b32 s2, 0
.LBB946_6:
	s_wait_alu 0xfffe
	s_and_not1_b32 vcc_lo, exec_lo, s2
	s_wait_alu 0xfffe
	s_cbranch_vccnz .LBB946_8
; %bb.7:
	s_mov_b64 s[2:3], src_shared_base
	v_dual_mov_b32 v31, v0 :: v_dual_mov_b32 v40, v0
	v_dual_mov_b32 v0, s36 :: v_dual_mov_b32 v1, s37
	;; [unrolled: 1-line block ×7, first 2 shown]
	s_wait_alu 0xfffe
	v_dual_mov_b32 v12, 0 :: v_dual_mov_b32 v13, s3
	s_add_nc_u64 s[8:9], s[0:1], 0x50
	s_getpc_b64 s[4:5]
	s_wait_alu 0xfffe
	s_sext_i32_i16 s5, s5
	s_add_co_u32 s4, s4, _ZN7rocprim17ROCPRIM_400000_NS6detail26segmented_warp_sort_helperINS1_20WarpSortHelperConfigILj8ELj4ELj256EEEslLi256ELb1EvE4sortIPKsPsPKlPlEEvT_T0_T1_T2_jjjjRNS5_12storage_typeE@rel32@lo+12
	s_wait_alu 0xfffe
	s_add_co_ci_u32 s5, s5, _ZN7rocprim17ROCPRIM_400000_NS6detail26segmented_warp_sort_helperINS1_20WarpSortHelperConfigILj8ELj4ELj256EEEslLi256ELb1EvE4sortIPKsPsPKlPlEEvT_T0_T1_T2_jjjjRNS5_12storage_typeE@rel32@hi+24
	s_mov_b64 s[14:15], s[0:1]
	s_wait_alu 0xfffe
	s_swappc_b64 s[30:31], s[4:5]
	v_mov_b32_e32 v0, v40
	s_mov_b64 s[0:1], s[14:15]
.LBB946_8:
	s_or_b32 exec_lo, exec_lo, s16
	s_mov_b32 s2, 0
.LBB946_9:
	s_wait_alu 0xfffe
	s_and_not1_b32 vcc_lo, exec_lo, s2
	s_wait_alu 0xfffe
	s_cbranch_vccnz .LBB946_14
; %bb.10:
	v_cndmask_b32_e64 v1, 0, 1, s35
	s_and_b32 s2, s44, 1
	s_wait_alu 0xfffe
	s_delay_alu instid0(VALU_DEP_1)
	v_cmp_ne_u32_e32 vcc_lo, s2, v1
	s_mov_b32 s2, -1
	s_cbranch_vccnz .LBB946_12
; %bb.11:
	s_mov_b64 s[2:3], src_shared_base
	v_dual_mov_b32 v31, v0 :: v_dual_mov_b32 v40, v0
	v_dual_mov_b32 v0, s36 :: v_dual_mov_b32 v1, s37
	;; [unrolled: 1-line block ×7, first 2 shown]
	s_wait_alu 0xfffe
	v_dual_mov_b32 v12, 0 :: v_dual_mov_b32 v13, s3
	s_add_nc_u64 s[8:9], s[0:1], 0x50
	s_getpc_b64 s[4:5]
	s_wait_alu 0xfffe
	s_sext_i32_i16 s5, s5
	s_add_co_u32 s4, s4, _ZN7rocprim17ROCPRIM_400000_NS6detail40segmented_radix_sort_single_block_helperIslLj256ELj8ELb1EE4sortIPKsPsPKlPlEEbT_T0_T1_T2_jjjjRNS3_12storage_typeE@rel32@lo+12
	s_wait_alu 0xfffe
	s_add_co_ci_u32 s5, s5, _ZN7rocprim17ROCPRIM_400000_NS6detail40segmented_radix_sort_single_block_helperIslLj256ELj8ELb1EE4sortIPKsPsPKlPlEEbT_T0_T1_T2_jjjjRNS3_12storage_typeE@rel32@hi+24
	s_mov_b64 s[22:23], s[0:1]
	s_wait_alu 0xfffe
	s_swappc_b64 s[30:31], s[4:5]
	v_mov_b32_e32 v0, v40
	s_mov_b64 s[0:1], s[22:23]
	s_mov_b32 s2, 0
.LBB946_12:
	s_wait_alu 0xfffe
	s_and_not1_b32 vcc_lo, exec_lo, s2
	s_wait_alu 0xfffe
	s_cbranch_vccnz .LBB946_14
; %bb.13:
	s_mov_b64 s[2:3], src_shared_base
	v_dual_mov_b32 v31, v0 :: v_dual_mov_b32 v40, v0
	v_dual_mov_b32 v0, s36 :: v_dual_mov_b32 v1, s37
	;; [unrolled: 1-line block ×7, first 2 shown]
	s_wait_alu 0xfffe
	v_dual_mov_b32 v12, 0 :: v_dual_mov_b32 v13, s3
	s_add_nc_u64 s[8:9], s[0:1], 0x50
	s_getpc_b64 s[4:5]
	s_wait_alu 0xfffe
	s_sext_i32_i16 s5, s5
	s_add_co_u32 s4, s4, _ZN7rocprim17ROCPRIM_400000_NS6detail40segmented_radix_sort_single_block_helperIslLj256ELj8ELb1EE4sortIPKsPsPKlPlEEbT_T0_T1_T2_jjjjRNS3_12storage_typeE@rel32@lo+12
	s_wait_alu 0xfffe
	s_add_co_ci_u32 s5, s5, _ZN7rocprim17ROCPRIM_400000_NS6detail40segmented_radix_sort_single_block_helperIslLj256ELj8ELb1EE4sortIPKsPsPKlPlEEbT_T0_T1_T2_jjjjRNS3_12storage_typeE@rel32@hi+24
	s_mov_b64 s[22:23], s[0:1]
	s_wait_alu 0xfffe
	s_swappc_b64 s[30:31], s[4:5]
	v_mov_b32_e32 v0, v40
	s_mov_b64 s[0:1], s[22:23]
.LBB946_14:
	s_mov_b32 s2, 0
.LBB946_15:
	s_wait_alu 0xfffe
	s_and_not1_b32 vcc_lo, exec_lo, s2
	s_wait_alu 0xfffe
	s_cbranch_vccnz .LBB946_678
; %bb.16:
	s_cmp_ge_u32 s45, s46
	s_cbranch_scc1 .LBB946_678
; %bb.17:
	v_and_b32_e32 v13, 0x3ff, v0
	v_dual_mov_b32 v1, 0 :: v_dual_and_b32 v2, 3, v0
	v_lshrrev_b32_e32 v4, 3, v0
	v_bfe_u32 v45, v0, 20, 10
	s_delay_alu instid0(VALU_DEP_4) | instskip(NEXT) | instid1(VALU_DEP_4)
	v_dual_mov_b32 v63, 1 :: v_dual_lshlrev_b32 v28, 2, v13
	v_lshlrev_b32_e32 v39, 2, v2
	v_lshlrev_b32_e32 v2, 3, v13
	v_and_b32_e32 v38, 28, v4
	s_delay_alu instid0(VALU_DEP_4)
	v_mad_u32_u24 v40, v13, 12, v28
	v_lshlrev_b32_e32 v4, 5, v13
	v_or_b32_e32 v5, 31, v13
	v_and_b32_e32 v2, 0x700, v2
	v_bfe_u32 v46, v0, 10, 10
	v_mad_u32_u24 v43, v13, 20, v40
	v_lshlrev_b32_e32 v3, 1, v13
	v_cmp_eq_u32_e64 s3, v13, v5
	v_lshlrev_b32_e32 v0, 3, v2
	v_mbcnt_lo_u32_b32 v60, -1, 0
	v_sub_nc_u32_e32 v47, v43, v4
	v_lshlrev_b32_e32 v4, 1, v2
	v_or_b32_e32 v29, 0x100, v13
	v_add_co_u32 v5, s8, s26, v0
	s_wait_alu 0xf1ff
	v_add_co_ci_u32_e64 v6, null, s27, 0, s8
	v_add_co_u32 v7, s8, s40, v4
	s_wait_alu 0xf1ff
	v_add_co_ci_u32_e64 v8, null, s41, 0, s8
	;; [unrolled: 3-line block ×3, first 2 shown]
	v_add_co_u32 v52, s8, s24, v0
	v_lshlrev_b32_e32 v70, 3, v60
	s_wait_alu 0xf1ff
	v_add_co_ci_u32_e64 v53, null, s25, 0, s8
	v_add_co_u32 v54, s8, s38, v4
	v_lshlrev_b32_e32 v78, 1, v60
	s_wait_alu 0xf1ff
	v_add_co_ci_u32_e64 v55, null, s39, 0, s8
	v_add_co_u32 v56, s8, s36, v3
	v_or_b32_e32 v67, v60, v2
	s_wait_alu 0xf1ff
	v_add_co_ci_u32_e64 v57, null, s37, 0, s8
	v_add_co_u32 v58, s8, s42, v0
	v_add_co_u32 v80, vcc_lo, v5, v70
	s_wait_alu 0xf1ff
	v_add_co_ci_u32_e64 v59, null, s43, 0, s8
	v_add_co_u32 v61, s8, s36, v4
	s_wait_alu 0xfffd
	v_add_co_ci_u32_e64 v81, null, 0, v6, vcc_lo
	v_add_co_u32 v82, vcc_lo, v7, v78
	v_mov_b32_e32 v4, 0x80008000
	v_add_co_u32 v32, s2, s40, v3
	v_or_b32_e32 v30, 0x200, v13
	v_or_b32_e32 v31, 0x300, v13
	s_wait_alu 0xf1ff
	v_add_co_ci_u32_e64 v33, null, s41, 0, s2
	v_or_b32_e32 v34, 0x400, v13
	v_or_b32_e32 v35, 0x500, v13
	;; [unrolled: 1-line block ×4, first 2 shown]
	v_cmp_gt_u32_e64 s2, 0x100, v13
	v_or_b32_e32 v41, 0x4400, v38
	v_cmp_gt_u32_e64 s4, 8, v13
	v_add_nc_u32_e32 v42, 0x4400, v28
	v_cmp_lt_u32_e64 s5, 31, v13
	v_add_nc_u32_e32 v44, 0x43fc, v38
	v_cmp_eq_u32_e64 s6, 0, v13
	v_cmp_ne_u32_e64 s7, 0xff, v13
	v_sub_nc_u32_e32 v48, v47, v3
	v_mul_u32_u24_e32 v49, 6, v13
	v_add_co_ci_u32_e64 v62, null, s37, 0, s8
	v_and_b32_e32 v64, 15, v60
	v_bfe_i32 v65, v60, 4, 1
	v_and_b32_e32 v66, 16, v60
	v_and_b32_e32 v68, 7, v60
	v_sub_co_u32 v69, s8, v60, 1
	v_or_b32_e32 v71, 32, v67
	v_or_b32_e32 v72, 64, v67
	;; [unrolled: 1-line block ×7, first 2 shown]
	v_lshlrev_b32_e32 v79, 1, v13
	s_wait_alu 0xfffd
	v_add_co_ci_u32_e64 v83, null, 0, v8, vcc_lo
	s_add_nc_u64 s[28:29], s[0:1], 0x50
	s_mov_b32 s31, 0
	s_mov_b32 s23, s45
	s_branch .LBB946_20
.LBB946_18:                             ;   in Loop: Header=BB946_20 Depth=1
	s_wait_loadcnt_dscnt 0x0
	s_barrier_signal -1
	s_barrier_wait -1
.LBB946_19:                             ;   in Loop: Header=BB946_20 Depth=1
	s_add_co_i32 s23, s23, 8
	global_inv scope:SCOPE_SE
	s_wait_alu 0xfffe
	s_cmp_ge_u32 s23, s46
	s_cbranch_scc1 .LBB946_678
.LBB946_20:                             ; =>This Loop Header: Depth=1
                                        ;     Child Loop BB946_24 Depth 2
                                        ;     Child Loop BB946_72 Depth 2
	;; [unrolled: 1-line block ×8, first 2 shown]
	s_wait_alu 0xfffe
	s_sub_co_i32 s0, s46, s23
	s_xor_b32 s35, s35, -1
	s_wait_alu 0xfffe
	s_min_u32 s0, s0, 8
	ds_store_2addr_stride64_b32 v28, v1, v1 offset1:4
	s_wait_alu 0xfffe
	s_lshl_b32 s0, -1, s0
	ds_store_2addr_stride64_b32 v28, v1, v1 offset0:8 offset1:12
	s_wait_alu 0xfffe
	s_not_b32 s42, s0
	s_cmp_lg_u32 s23, s45
	s_mov_b32 s0, -1
	s_wait_storecnt_dscnt 0x0
	s_cbranch_scc0 .LBB946_350
; %bb.21:                               ;   in Loop: Header=BB946_20 Depth=1
	s_and_b32 vcc_lo, exec_lo, s35
	s_wait_alu 0xfffe
	s_cbranch_vccz .LBB946_185
; %bb.22:                               ;   in Loop: Header=BB946_20 Depth=1
	v_dual_mov_b32 v0, v1 :: v_dual_mov_b32 v3, v1
	v_mov_b32_e32 v2, v1
	s_mov_b32 s9, s47
	s_mov_b32 s30, s33
	s_barrier_signal -1
	s_delay_alu instid0(VALU_DEP_1)
	v_dual_mov_b32 v8, v3 :: v_dual_mov_b32 v7, v2
	v_dual_mov_b32 v6, v1 :: v_dual_mov_b32 v5, v0
	s_barrier_wait -1
	global_inv scope:SCOPE_SE
	s_branch .LBB946_24
.LBB946_23:                             ;   in Loop: Header=BB946_24 Depth=2
	s_wait_alu 0xfffe
	s_or_b32 exec_lo, exec_lo, s0
	s_addk_co_i32 s9, 0xf800
	s_cmp_ge_u32 s10, s34
	s_mov_b32 s30, s10
	s_cbranch_scc1 .LBB946_60
.LBB946_24:                             ;   Parent Loop BB946_20 Depth=1
                                        ; =>  This Inner Loop Header: Depth=2
	s_wait_alu 0xfffe
	s_add_co_i32 s10, s30, 0x800
	s_mov_b32 s0, -1
	s_wait_alu 0xfffe
	s_cmp_gt_u32 s10, s34
                                        ; implicit-def: $vgpr9_vgpr10_vgpr11_vgpr12
	s_cbranch_scc1 .LBB946_26
; %bb.25:                               ;   in Loop: Header=BB946_24 Depth=2
	s_lshl_b64 s[0:1], s[30:31], 1
	s_wait_alu 0xfffe
	v_add_co_u32 v2, vcc_lo, v32, s0
	s_wait_alu 0xfffd
	v_add_co_ci_u32_e64 v3, null, s1, v33, vcc_lo
	s_mov_b32 s0, 0
	s_clause 0x3
	global_load_u16 v9, v[2:3], off
	global_load_u16 v10, v[2:3], off offset:1024
	global_load_u16 v11, v[2:3], off offset:2048
	global_load_u16 v12, v[2:3], off offset:3072
	s_wait_loadcnt 0x3
	global_load_d16_hi_b16 v9, v[2:3], off offset:512
	s_wait_loadcnt 0x3
	global_load_d16_hi_b16 v10, v[2:3], off offset:1536
	;; [unrolled: 2-line block ×4, first 2 shown]
.LBB946_26:                             ;   in Loop: Header=BB946_24 Depth=2
	s_wait_alu 0xfffe
	s_and_not1_b32 vcc_lo, exec_lo, s0
	s_movk_i32 s0, 0x800
	s_wait_alu 0xfffe
	s_cbranch_vccnz .LBB946_37
; %bb.27:                               ;   in Loop: Header=BB946_24 Depth=2
	s_lshl_b64 s[0:1], s[30:31], 1
	s_mov_b32 s11, exec_lo
	s_wait_alu 0xfffe
	s_add_nc_u64 s[0:1], s[40:41], s[0:1]
	v_cmpx_gt_u32_e64 s9, v13
	s_cbranch_execnz .LBB946_53
; %bb.28:                               ;   in Loop: Header=BB946_24 Depth=2
	s_or_b32 exec_lo, exec_lo, s11
	s_delay_alu instid0(SALU_CYCLE_1)
	s_mov_b32 s11, exec_lo
	v_cmpx_gt_u32_e64 s9, v29
	s_cbranch_execnz .LBB946_54
.LBB946_29:                             ;   in Loop: Header=BB946_24 Depth=2
	s_wait_alu 0xfffe
	s_or_b32 exec_lo, exec_lo, s11
	s_delay_alu instid0(SALU_CYCLE_1)
	s_mov_b32 s11, exec_lo
	v_cmpx_gt_u32_e64 s9, v30
	s_cbranch_execnz .LBB946_55
.LBB946_30:                             ;   in Loop: Header=BB946_24 Depth=2
	s_wait_alu 0xfffe
	s_or_b32 exec_lo, exec_lo, s11
	s_delay_alu instid0(SALU_CYCLE_1)
	s_mov_b32 s11, exec_lo
	v_cmpx_gt_u32_e64 s9, v31
	s_cbranch_execnz .LBB946_56
.LBB946_31:                             ;   in Loop: Header=BB946_24 Depth=2
	s_wait_alu 0xfffe
	s_or_b32 exec_lo, exec_lo, s11
	s_delay_alu instid0(SALU_CYCLE_1)
	s_mov_b32 s11, exec_lo
	v_cmpx_gt_u32_e64 s9, v34
	s_cbranch_execnz .LBB946_57
.LBB946_32:                             ;   in Loop: Header=BB946_24 Depth=2
	s_wait_alu 0xfffe
	s_or_b32 exec_lo, exec_lo, s11
	s_delay_alu instid0(SALU_CYCLE_1)
	s_mov_b32 s11, exec_lo
	v_cmpx_gt_u32_e64 s9, v35
	s_cbranch_execnz .LBB946_58
.LBB946_33:                             ;   in Loop: Header=BB946_24 Depth=2
	s_wait_alu 0xfffe
	s_or_b32 exec_lo, exec_lo, s11
	s_delay_alu instid0(SALU_CYCLE_1)
	s_mov_b32 s11, exec_lo
	v_cmpx_gt_u32_e64 s9, v36
	s_cbranch_execnz .LBB946_59
.LBB946_34:                             ;   in Loop: Header=BB946_24 Depth=2
	s_wait_alu 0xfffe
	s_or_b32 exec_lo, exec_lo, s11
	s_delay_alu instid0(SALU_CYCLE_1)
	s_mov_b32 s11, exec_lo
	v_cmpx_gt_u32_e64 s9, v37
	s_cbranch_execz .LBB946_36
.LBB946_35:                             ;   in Loop: Header=BB946_24 Depth=2
	s_wait_loadcnt 0x0
	global_load_d16_hi_b16 v8, v79, s[0:1] offset:3584
.LBB946_36:                             ;   in Loop: Header=BB946_24 Depth=2
	s_wait_alu 0xfffe
	s_or_b32 exec_lo, exec_lo, s11
	s_wait_loadcnt 0x0
	v_dual_mov_b32 v12, v8 :: v_dual_mov_b32 v11, v7
	v_dual_mov_b32 v10, v6 :: v_dual_mov_b32 v9, v5
	s_mov_b32 s0, s9
.LBB946_37:                             ;   in Loop: Header=BB946_24 Depth=2
	s_wait_loadcnt 0x0
	s_delay_alu instid0(VALU_DEP_1)
	v_dual_mov_b32 v5, v9 :: v_dual_mov_b32 v6, v10
	v_dual_mov_b32 v7, v11 :: v_dual_mov_b32 v8, v12
	s_mov_b32 s1, exec_lo
	s_wait_alu 0xfffe
	v_cmpx_gt_u32_e64 s0, v13
	s_cbranch_execnz .LBB946_45
; %bb.38:                               ;   in Loop: Header=BB946_24 Depth=2
	s_or_b32 exec_lo, exec_lo, s1
	s_delay_alu instid0(SALU_CYCLE_1)
	s_mov_b32 s1, exec_lo
	v_cmpx_gt_u32_e64 s0, v29
	s_cbranch_execnz .LBB946_46
.LBB946_39:                             ;   in Loop: Header=BB946_24 Depth=2
	s_wait_alu 0xfffe
	s_or_b32 exec_lo, exec_lo, s1
	s_delay_alu instid0(SALU_CYCLE_1)
	s_mov_b32 s1, exec_lo
	v_cmpx_gt_u32_e64 s0, v30
	s_cbranch_execnz .LBB946_47
.LBB946_40:                             ;   in Loop: Header=BB946_24 Depth=2
	s_wait_alu 0xfffe
	s_or_b32 exec_lo, exec_lo, s1
	s_delay_alu instid0(SALU_CYCLE_1)
	s_mov_b32 s1, exec_lo
	v_cmpx_gt_u32_e64 s0, v31
	s_cbranch_execnz .LBB946_48
.LBB946_41:                             ;   in Loop: Header=BB946_24 Depth=2
	s_wait_alu 0xfffe
	s_or_b32 exec_lo, exec_lo, s1
	s_delay_alu instid0(SALU_CYCLE_1)
	s_mov_b32 s1, exec_lo
	v_cmpx_gt_u32_e64 s0, v34
	s_cbranch_execnz .LBB946_49
.LBB946_42:                             ;   in Loop: Header=BB946_24 Depth=2
	s_wait_alu 0xfffe
	s_or_b32 exec_lo, exec_lo, s1
	s_delay_alu instid0(SALU_CYCLE_1)
	s_mov_b32 s1, exec_lo
	v_cmpx_gt_u32_e64 s0, v35
	s_cbranch_execnz .LBB946_50
.LBB946_43:                             ;   in Loop: Header=BB946_24 Depth=2
	s_wait_alu 0xfffe
	s_or_b32 exec_lo, exec_lo, s1
	s_delay_alu instid0(SALU_CYCLE_1)
	s_mov_b32 s1, exec_lo
	v_cmpx_gt_u32_e64 s0, v36
	s_cbranch_execnz .LBB946_51
.LBB946_44:                             ;   in Loop: Header=BB946_24 Depth=2
	s_wait_alu 0xfffe
	s_or_b32 exec_lo, exec_lo, s1
	v_cmp_gt_u32_e32 vcc_lo, s0, v37
	s_and_saveexec_b32 s0, vcc_lo
	s_cbranch_execz .LBB946_23
	s_branch .LBB946_52
.LBB946_45:                             ;   in Loop: Header=BB946_24 Depth=2
	v_xor_b32_e32 v0, 0x7fff, v5
	s_delay_alu instid0(VALU_DEP_1) | instskip(NEXT) | instid1(VALU_DEP_1)
	v_and_b32_e32 v0, 0xffff, v0
	v_lshrrev_b32_e32 v0, s23, v0
	s_delay_alu instid0(VALU_DEP_1) | instskip(NEXT) | instid1(VALU_DEP_1)
	v_and_b32_e32 v0, s42, v0
	v_lshl_or_b32 v0, v0, 4, v39
	ds_add_u32 v0, v63
	s_or_b32 exec_lo, exec_lo, s1
	s_delay_alu instid0(SALU_CYCLE_1)
	s_mov_b32 s1, exec_lo
	v_cmpx_gt_u32_e64 s0, v29
	s_cbranch_execz .LBB946_39
.LBB946_46:                             ;   in Loop: Header=BB946_24 Depth=2
	v_lshrrev_b32_e32 v0, 16, v5
	s_delay_alu instid0(VALU_DEP_1) | instskip(NEXT) | instid1(VALU_DEP_1)
	v_xor_b32_e32 v0, 0x7fff, v0
	v_and_b32_e32 v0, 0xffff, v0
	s_delay_alu instid0(VALU_DEP_1) | instskip(NEXT) | instid1(VALU_DEP_1)
	v_lshrrev_b32_e32 v0, s23, v0
	v_and_b32_e32 v0, s42, v0
	s_delay_alu instid0(VALU_DEP_1) | instskip(SKIP_3) | instid1(SALU_CYCLE_1)
	v_lshl_or_b32 v0, v0, 4, v39
	ds_add_u32 v0, v63
	s_wait_alu 0xfffe
	s_or_b32 exec_lo, exec_lo, s1
	s_mov_b32 s1, exec_lo
	v_cmpx_gt_u32_e64 s0, v30
	s_cbranch_execz .LBB946_40
.LBB946_47:                             ;   in Loop: Header=BB946_24 Depth=2
	v_xor_b32_e32 v0, 0x7fff, v6
	s_delay_alu instid0(VALU_DEP_1) | instskip(NEXT) | instid1(VALU_DEP_1)
	v_and_b32_e32 v0, 0xffff, v0
	v_lshrrev_b32_e32 v0, s23, v0
	s_delay_alu instid0(VALU_DEP_1) | instskip(NEXT) | instid1(VALU_DEP_1)
	v_and_b32_e32 v0, s42, v0
	v_lshl_or_b32 v0, v0, 4, v39
	ds_add_u32 v0, v63
	s_wait_alu 0xfffe
	s_or_b32 exec_lo, exec_lo, s1
	s_delay_alu instid0(SALU_CYCLE_1)
	s_mov_b32 s1, exec_lo
	v_cmpx_gt_u32_e64 s0, v31
	s_cbranch_execz .LBB946_41
.LBB946_48:                             ;   in Loop: Header=BB946_24 Depth=2
	v_lshrrev_b32_e32 v0, 16, v6
	s_delay_alu instid0(VALU_DEP_1) | instskip(NEXT) | instid1(VALU_DEP_1)
	v_xor_b32_e32 v0, 0x7fff, v0
	v_and_b32_e32 v0, 0xffff, v0
	s_delay_alu instid0(VALU_DEP_1) | instskip(NEXT) | instid1(VALU_DEP_1)
	v_lshrrev_b32_e32 v0, s23, v0
	v_and_b32_e32 v0, s42, v0
	s_delay_alu instid0(VALU_DEP_1) | instskip(SKIP_3) | instid1(SALU_CYCLE_1)
	v_lshl_or_b32 v0, v0, 4, v39
	ds_add_u32 v0, v63
	s_wait_alu 0xfffe
	s_or_b32 exec_lo, exec_lo, s1
	s_mov_b32 s1, exec_lo
	v_cmpx_gt_u32_e64 s0, v34
	s_cbranch_execz .LBB946_42
.LBB946_49:                             ;   in Loop: Header=BB946_24 Depth=2
	v_xor_b32_e32 v0, 0x7fff, v7
	s_delay_alu instid0(VALU_DEP_1) | instskip(NEXT) | instid1(VALU_DEP_1)
	v_and_b32_e32 v0, 0xffff, v0
	v_lshrrev_b32_e32 v0, s23, v0
	s_delay_alu instid0(VALU_DEP_1) | instskip(NEXT) | instid1(VALU_DEP_1)
	v_and_b32_e32 v0, s42, v0
	v_lshl_or_b32 v0, v0, 4, v39
	ds_add_u32 v0, v63
	s_wait_alu 0xfffe
	s_or_b32 exec_lo, exec_lo, s1
	s_delay_alu instid0(SALU_CYCLE_1)
	s_mov_b32 s1, exec_lo
	v_cmpx_gt_u32_e64 s0, v35
	s_cbranch_execz .LBB946_43
.LBB946_50:                             ;   in Loop: Header=BB946_24 Depth=2
	v_lshrrev_b32_e32 v0, 16, v7
	s_delay_alu instid0(VALU_DEP_1) | instskip(NEXT) | instid1(VALU_DEP_1)
	v_xor_b32_e32 v0, 0x7fff, v0
	v_and_b32_e32 v0, 0xffff, v0
	s_delay_alu instid0(VALU_DEP_1) | instskip(NEXT) | instid1(VALU_DEP_1)
	v_lshrrev_b32_e32 v0, s23, v0
	v_and_b32_e32 v0, s42, v0
	s_delay_alu instid0(VALU_DEP_1) | instskip(SKIP_3) | instid1(SALU_CYCLE_1)
	v_lshl_or_b32 v0, v0, 4, v39
	ds_add_u32 v0, v63
	s_wait_alu 0xfffe
	s_or_b32 exec_lo, exec_lo, s1
	s_mov_b32 s1, exec_lo
	v_cmpx_gt_u32_e64 s0, v36
	s_cbranch_execz .LBB946_44
.LBB946_51:                             ;   in Loop: Header=BB946_24 Depth=2
	v_xor_b32_e32 v0, 0x7fff, v8
	s_delay_alu instid0(VALU_DEP_1) | instskip(NEXT) | instid1(VALU_DEP_1)
	v_and_b32_e32 v0, 0xffff, v0
	v_lshrrev_b32_e32 v0, s23, v0
	s_delay_alu instid0(VALU_DEP_1) | instskip(NEXT) | instid1(VALU_DEP_1)
	v_and_b32_e32 v0, s42, v0
	v_lshl_or_b32 v0, v0, 4, v39
	ds_add_u32 v0, v63
	s_wait_alu 0xfffe
	s_or_b32 exec_lo, exec_lo, s1
	v_cmp_gt_u32_e32 vcc_lo, s0, v37
	s_and_saveexec_b32 s0, vcc_lo
	s_cbranch_execz .LBB946_23
.LBB946_52:                             ;   in Loop: Header=BB946_24 Depth=2
	v_lshrrev_b32_e32 v0, 16, v8
	s_delay_alu instid0(VALU_DEP_1) | instskip(NEXT) | instid1(VALU_DEP_1)
	v_xor_b32_e32 v0, 0x7fff, v0
	v_and_b32_e32 v0, 0xffff, v0
	s_delay_alu instid0(VALU_DEP_1) | instskip(NEXT) | instid1(VALU_DEP_1)
	v_lshrrev_b32_e32 v0, s23, v0
	v_and_b32_e32 v0, s42, v0
	s_delay_alu instid0(VALU_DEP_1)
	v_lshl_or_b32 v0, v0, 4, v39
	ds_add_u32 v0, v63
	s_branch .LBB946_23
.LBB946_53:                             ;   in Loop: Header=BB946_24 Depth=2
	global_load_d16_b16 v5, v79, s[0:1]
	s_or_b32 exec_lo, exec_lo, s11
	s_delay_alu instid0(SALU_CYCLE_1)
	s_mov_b32 s11, exec_lo
	v_cmpx_gt_u32_e64 s9, v29
	s_cbranch_execz .LBB946_29
.LBB946_54:                             ;   in Loop: Header=BB946_24 Depth=2
	s_wait_loadcnt 0x0
	global_load_d16_hi_b16 v5, v79, s[0:1] offset:512
	s_wait_alu 0xfffe
	s_or_b32 exec_lo, exec_lo, s11
	s_delay_alu instid0(SALU_CYCLE_1)
	s_mov_b32 s11, exec_lo
	v_cmpx_gt_u32_e64 s9, v30
	s_cbranch_execz .LBB946_30
.LBB946_55:                             ;   in Loop: Header=BB946_24 Depth=2
	global_load_d16_b16 v6, v79, s[0:1] offset:1024
	s_wait_alu 0xfffe
	s_or_b32 exec_lo, exec_lo, s11
	s_delay_alu instid0(SALU_CYCLE_1)
	s_mov_b32 s11, exec_lo
	v_cmpx_gt_u32_e64 s9, v31
	s_cbranch_execz .LBB946_31
.LBB946_56:                             ;   in Loop: Header=BB946_24 Depth=2
	s_wait_loadcnt 0x0
	global_load_d16_hi_b16 v6, v79, s[0:1] offset:1536
	s_wait_alu 0xfffe
	s_or_b32 exec_lo, exec_lo, s11
	s_delay_alu instid0(SALU_CYCLE_1)
	s_mov_b32 s11, exec_lo
	v_cmpx_gt_u32_e64 s9, v34
	s_cbranch_execz .LBB946_32
.LBB946_57:                             ;   in Loop: Header=BB946_24 Depth=2
	global_load_d16_b16 v7, v79, s[0:1] offset:2048
	s_wait_alu 0xfffe
	s_or_b32 exec_lo, exec_lo, s11
	s_delay_alu instid0(SALU_CYCLE_1)
	s_mov_b32 s11, exec_lo
	v_cmpx_gt_u32_e64 s9, v35
	s_cbranch_execz .LBB946_33
.LBB946_58:                             ;   in Loop: Header=BB946_24 Depth=2
	s_wait_loadcnt 0x0
	global_load_d16_hi_b16 v7, v79, s[0:1] offset:2560
	s_wait_alu 0xfffe
	s_or_b32 exec_lo, exec_lo, s11
	s_delay_alu instid0(SALU_CYCLE_1)
	s_mov_b32 s11, exec_lo
	v_cmpx_gt_u32_e64 s9, v36
	s_cbranch_execz .LBB946_34
.LBB946_59:                             ;   in Loop: Header=BB946_24 Depth=2
	global_load_d16_b16 v8, v79, s[0:1] offset:3072
	s_wait_alu 0xfffe
	s_or_b32 exec_lo, exec_lo, s11
	s_delay_alu instid0(SALU_CYCLE_1)
	s_mov_b32 s11, exec_lo
	v_cmpx_gt_u32_e64 s9, v37
	s_cbranch_execnz .LBB946_35
	s_branch .LBB946_36
.LBB946_60:                             ;   in Loop: Header=BB946_20 Depth=1
	v_mov_b32_e32 v0, 0
	s_wait_dscnt 0x0
	s_barrier_signal -1
	s_barrier_wait -1
	global_inv scope:SCOPE_SE
	s_and_saveexec_b32 s0, s2
	s_cbranch_execz .LBB946_62
; %bb.61:                               ;   in Loop: Header=BB946_20 Depth=1
	ds_load_2addr_b64 v[5:8], v40 offset1:1
	s_wait_dscnt 0x0
	v_add_nc_u32_e32 v0, v6, v5
	s_delay_alu instid0(VALU_DEP_1)
	v_add3_u32 v0, v0, v7, v8
.LBB946_62:                             ;   in Loop: Header=BB946_20 Depth=1
	s_wait_alu 0xfffe
	s_or_b32 exec_lo, exec_lo, s0
	s_delay_alu instid0(VALU_DEP_1)
	v_mov_b32_dpp v2, v0 row_shr:1 row_mask:0xf bank_mask:0xf
	v_cmp_eq_u32_e64 s0, 0, v64
	v_cmp_lt_u32_e64 s1, 1, v64
	v_cmp_lt_u32_e64 s9, 3, v64
	;; [unrolled: 1-line block ×3, first 2 shown]
	v_cmp_eq_u32_e64 s11, 0, v66
	s_wait_alu 0xf1ff
	v_cndmask_b32_e64 v2, v2, 0, s0
	s_delay_alu instid0(VALU_DEP_1) | instskip(NEXT) | instid1(VALU_DEP_1)
	v_add_nc_u32_e32 v0, v2, v0
	v_mov_b32_dpp v2, v0 row_shr:2 row_mask:0xf bank_mask:0xf
	s_delay_alu instid0(VALU_DEP_1) | instskip(NEXT) | instid1(VALU_DEP_1)
	v_cndmask_b32_e64 v2, 0, v2, s1
	v_add_nc_u32_e32 v0, v0, v2
	s_delay_alu instid0(VALU_DEP_1) | instskip(NEXT) | instid1(VALU_DEP_1)
	v_mov_b32_dpp v2, v0 row_shr:4 row_mask:0xf bank_mask:0xf
	v_cndmask_b32_e64 v2, 0, v2, s9
	s_delay_alu instid0(VALU_DEP_1) | instskip(NEXT) | instid1(VALU_DEP_1)
	v_add_nc_u32_e32 v0, v0, v2
	v_mov_b32_dpp v2, v0 row_shr:8 row_mask:0xf bank_mask:0xf
	s_delay_alu instid0(VALU_DEP_1) | instskip(NEXT) | instid1(VALU_DEP_1)
	v_cndmask_b32_e64 v2, 0, v2, s10
	v_add_nc_u32_e32 v0, v0, v2
	ds_swizzle_b32 v2, v0 offset:swizzle(BROADCAST,32,15)
	s_wait_dscnt 0x0
	v_and_b32_e32 v2, v65, v2
	s_delay_alu instid0(VALU_DEP_1)
	v_add_nc_u32_e32 v0, v0, v2
	s_and_saveexec_b32 s12, s3
; %bb.63:                               ;   in Loop: Header=BB946_20 Depth=1
	ds_store_b32 v41, v0
; %bb.64:                               ;   in Loop: Header=BB946_20 Depth=1
	s_wait_alu 0xfffe
	s_or_b32 exec_lo, exec_lo, s12
	s_wait_loadcnt_dscnt 0x0
	s_barrier_signal -1
	s_barrier_wait -1
	global_inv scope:SCOPE_SE
	s_and_saveexec_b32 s12, s4
	s_cbranch_execz .LBB946_66
; %bb.65:                               ;   in Loop: Header=BB946_20 Depth=1
	ds_load_b32 v2, v42
	v_cmp_ne_u32_e32 vcc_lo, 0, v68
	s_wait_dscnt 0x0
	v_mov_b32_dpp v3, v2 row_shr:1 row_mask:0xf bank_mask:0xf
	s_wait_alu 0xfffd
	s_delay_alu instid0(VALU_DEP_1) | instskip(SKIP_1) | instid1(VALU_DEP_2)
	v_cndmask_b32_e32 v3, 0, v3, vcc_lo
	v_cmp_lt_u32_e32 vcc_lo, 1, v68
	v_add_nc_u32_e32 v2, v3, v2
	s_delay_alu instid0(VALU_DEP_1) | instskip(SKIP_1) | instid1(VALU_DEP_1)
	v_mov_b32_dpp v3, v2 row_shr:2 row_mask:0xf bank_mask:0xf
	s_wait_alu 0xfffd
	v_cndmask_b32_e32 v3, 0, v3, vcc_lo
	v_cmp_lt_u32_e32 vcc_lo, 3, v68
	s_delay_alu instid0(VALU_DEP_2) | instskip(NEXT) | instid1(VALU_DEP_1)
	v_add_nc_u32_e32 v2, v2, v3
	v_mov_b32_dpp v3, v2 row_shr:4 row_mask:0xf bank_mask:0xf
	s_wait_alu 0xfffd
	s_delay_alu instid0(VALU_DEP_1) | instskip(NEXT) | instid1(VALU_DEP_1)
	v_cndmask_b32_e32 v3, 0, v3, vcc_lo
	v_add_nc_u32_e32 v2, v2, v3
	ds_store_b32 v42, v2
.LBB946_66:                             ;   in Loop: Header=BB946_20 Depth=1
	s_wait_alu 0xfffe
	s_or_b32 exec_lo, exec_lo, s12
	v_mov_b32_e32 v2, 0
	s_wait_loadcnt_dscnt 0x0
	s_barrier_signal -1
	s_barrier_wait -1
	global_inv scope:SCOPE_SE
	s_and_saveexec_b32 s12, s5
; %bb.67:                               ;   in Loop: Header=BB946_20 Depth=1
	ds_load_b32 v2, v44
; %bb.68:                               ;   in Loop: Header=BB946_20 Depth=1
	s_wait_alu 0xfffe
	s_or_b32 exec_lo, exec_lo, s12
	v_cmp_gt_i32_e32 vcc_lo, 0, v69
	s_wait_dscnt 0x0
	v_add_nc_u32_e32 v0, v2, v0
	s_wait_loadcnt 0x0
	s_barrier_signal -1
	s_barrier_wait -1
	s_wait_alu 0xfffd
	v_cndmask_b32_e32 v3, v69, v60, vcc_lo
	global_inv scope:SCOPE_SE
	v_lshlrev_b32_e32 v84, 2, v3
	ds_bpermute_b32 v0, v84, v0
	s_and_saveexec_b32 s12, s2
	s_cbranch_execz .LBB946_70
; %bb.69:                               ;   in Loop: Header=BB946_20 Depth=1
	s_wait_dscnt 0x0
	v_cndmask_b32_e64 v0, v0, v2, s8
	s_delay_alu instid0(VALU_DEP_1)
	v_add_nc_u32_e32 v0, s33, v0
	ds_store_b32 v28, v0
.LBB946_70:                             ;   in Loop: Header=BB946_20 Depth=1
	s_wait_alu 0xfffe
	s_or_b32 exec_lo, exec_lo, s12
	s_clause 0x1
	s_load_b32 s12, s[28:29], 0x4
	s_load_b32 s14, s[28:29], 0xc
	s_mov_b32 s43, s47
                                        ; implicit-def: $vgpr9_vgpr10
                                        ; implicit-def: $vgpr11_vgpr12
                                        ; implicit-def: $vgpr16_vgpr17
                                        ; implicit-def: $vgpr18_vgpr19
                                        ; implicit-def: $vgpr20_vgpr21
                                        ; implicit-def: $vgpr22_vgpr23
                                        ; implicit-def: $vgpr86
                                        ; implicit-def: $vgpr87
                                        ; implicit-def: $vgpr88
                                        ; implicit-def: $vgpr89
                                        ; implicit-def: $vgpr90
                                        ; implicit-def: $vgpr91
                                        ; implicit-def: $vgpr92
                                        ; implicit-def: $vgpr93
	s_wait_kmcnt 0x0
	s_cmp_lt_u32 ttmp7, s12
	s_cselect_b32 s30, 14, 20
	s_wait_alu 0xfffe
	s_add_nc_u64 s[12:13], s[28:29], s[30:31]
	s_mov_b32 s30, s33
	s_load_u16 s12, s[12:13], 0x0
	v_cmp_lt_u32_e64 s13, 1, v68
	s_wait_dscnt 0x0
	s_wait_kmcnt 0x0
	v_mad_u32_u24 v0, v45, s12, v46
	s_and_b32 s12, s14, 0xffff
	v_cmp_lt_u32_e64 s14, 3, v68
	s_wait_alu 0xfffe
	s_delay_alu instid0(VALU_DEP_2) | instskip(SKIP_1) | instid1(VALU_DEP_2)
	v_mad_co_u64_u32 v[2:3], null, v0, s12, v[13:14]
	v_cmp_eq_u32_e64 s12, 0, v68
                                        ; implicit-def: $vgpr14_vgpr15
	v_lshrrev_b32_e32 v0, 3, v2
                                        ; implicit-def: $vgpr2_vgpr3
	s_delay_alu instid0(VALU_DEP_1)
	v_and_b32_e32 v85, 0x1ffffffc, v0
	s_branch .LBB946_72
.LBB946_71:                             ;   in Loop: Header=BB946_72 Depth=2
	s_wait_alu 0xfffe
	s_or_b32 exec_lo, exec_lo, s15
	s_addk_co_i32 s43, 0xf800
	s_cmp_lt_u32 s44, s34
	s_mov_b32 s30, s44
	s_cbranch_scc0 .LBB946_184
.LBB946_72:                             ;   Parent Loop BB946_20 Depth=1
                                        ; =>  This Inner Loop Header: Depth=2
	s_wait_alu 0xfffe
	s_add_co_i32 s44, s30, 0x800
	s_wait_alu 0xfffe
	s_cmp_gt_u32 s44, s34
	s_cbranch_scc1 .LBB946_74
; %bb.73:                               ;   in Loop: Header=BB946_72 Depth=2
	s_lshl_b64 s[16:17], s[30:31], 1
	s_mov_b32 s15, -1
	s_wait_alu 0xfffe
	v_add_co_u32 v24, vcc_lo, v82, s16
	s_wait_alu 0xfffd
	v_add_co_ci_u32_e64 v25, null, s17, v83, vcc_lo
	s_clause 0x3
	global_load_u16 v5, v[24:25], off
	global_load_u16 v6, v[24:25], off offset:128
	global_load_u16 v7, v[24:25], off offset:256
	global_load_d16_b16 v8, v[24:25], off offset:384
	s_wait_loadcnt 0x3
	global_load_d16_hi_b16 v5, v[24:25], off offset:64
	s_wait_loadcnt 0x3
	global_load_d16_hi_b16 v6, v[24:25], off offset:192
	;; [unrolled: 2-line block ×3, first 2 shown]
	s_movk_i32 s16, 0x800
	s_cbranch_execz .LBB946_75
	s_branch .LBB946_84
.LBB946_74:                             ;   in Loop: Header=BB946_72 Depth=2
	s_mov_b32 s15, 0
                                        ; implicit-def: $vgpr5_vgpr6_vgpr7_vgpr8
	s_movk_i32 s16, 0x800
.LBB946_75:                             ;   in Loop: Header=BB946_72 Depth=2
	s_wait_loadcnt 0x0
	v_mov_b32_e32 v7, v4
	s_lshl_b64 s[16:17], s[30:31], 1
	v_dual_mov_b32 v5, v4 :: v_dual_mov_b32 v6, v4
	s_wait_alu 0xfffe
	v_add_co_u32 v24, vcc_lo, v82, s16
	v_mov_b32_e32 v8, v7
	s_wait_alu 0xfffd
	v_add_co_ci_u32_e64 v25, null, s17, v83, vcc_lo
	v_mov_b32_e32 v7, v6
	v_mov_b32_e32 v6, v5
	;; [unrolled: 1-line block ×3, first 2 shown]
	s_mov_b32 s15, exec_lo
	v_cmpx_gt_u32_e64 s43, v67
	s_cbranch_execnz .LBB946_178
; %bb.76:                               ;   in Loop: Header=BB946_72 Depth=2
	s_wait_alu 0xfffe
	s_or_b32 exec_lo, exec_lo, s15
	s_delay_alu instid0(SALU_CYCLE_1)
	s_mov_b32 s15, exec_lo
	v_cmpx_gt_u32_e64 s43, v71
	s_cbranch_execnz .LBB946_179
.LBB946_77:                             ;   in Loop: Header=BB946_72 Depth=2
	s_wait_alu 0xfffe
	s_or_b32 exec_lo, exec_lo, s15
	s_delay_alu instid0(SALU_CYCLE_1)
	s_mov_b32 s15, exec_lo
	v_cmpx_gt_u32_e64 s43, v72
	s_cbranch_execnz .LBB946_180
.LBB946_78:                             ;   in Loop: Header=BB946_72 Depth=2
	s_wait_alu 0xfffe
	s_or_b32 exec_lo, exec_lo, s15
	s_delay_alu instid0(SALU_CYCLE_1)
	s_mov_b32 s15, exec_lo
	v_cmpx_gt_u32_e64 s43, v73
	s_cbranch_execnz .LBB946_181
.LBB946_79:                             ;   in Loop: Header=BB946_72 Depth=2
	s_wait_alu 0xfffe
	s_or_b32 exec_lo, exec_lo, s15
	s_delay_alu instid0(SALU_CYCLE_1)
	s_mov_b32 s15, exec_lo
	v_cmpx_gt_u32_e64 s43, v74
	s_cbranch_execnz .LBB946_182
.LBB946_80:                             ;   in Loop: Header=BB946_72 Depth=2
	s_wait_alu 0xfffe
	s_or_b32 exec_lo, exec_lo, s15
	s_delay_alu instid0(SALU_CYCLE_1)
	s_mov_b32 s15, exec_lo
	v_cmpx_gt_u32_e64 s43, v75
	s_cbranch_execnz .LBB946_183
.LBB946_81:                             ;   in Loop: Header=BB946_72 Depth=2
	s_wait_alu 0xfffe
	s_or_b32 exec_lo, exec_lo, s15
	s_delay_alu instid0(SALU_CYCLE_1)
	s_mov_b32 s15, exec_lo
	v_cmpx_gt_u32_e64 s43, v76
	s_cbranch_execz .LBB946_83
.LBB946_82:                             ;   in Loop: Header=BB946_72 Depth=2
	global_load_d16_b16 v8, v[24:25], off offset:384
.LBB946_83:                             ;   in Loop: Header=BB946_72 Depth=2
	s_wait_alu 0xfffe
	s_or_b32 exec_lo, exec_lo, s15
	v_cmp_gt_u32_e64 s15, s43, v77
	s_sub_co_i32 s16, s34, s30
.LBB946_84:                             ;   in Loop: Header=BB946_72 Depth=2
	v_mov_b32_e32 v94, s43
	s_and_saveexec_b32 s17, s15
	s_cbranch_execz .LBB946_86
; %bb.85:                               ;   in Loop: Header=BB946_72 Depth=2
	s_lshl_b64 s[18:19], s[30:31], 1
	s_wait_alu 0xfffe
	v_mov_b32_e32 v94, s16
	v_add_co_u32 v24, vcc_lo, v82, s18
	s_wait_alu 0xfffd
	v_add_co_ci_u32_e64 v25, null, s19, v83, vcc_lo
	s_wait_loadcnt 0x0
	global_load_d16_hi_b16 v8, v[24:25], off offset:448
.LBB946_86:                             ;   in Loop: Header=BB946_72 Depth=2
	s_wait_alu 0xfffe
	s_or_b32 exec_lo, exec_lo, s17
	s_wait_loadcnt 0x0
	v_xor_b32_e32 v0, 0x7fff, v5
	s_delay_alu instid0(VALU_DEP_1) | instskip(NEXT) | instid1(VALU_DEP_1)
	v_and_b32_e32 v24, 0xffff, v0
	v_lshrrev_b32_e32 v24, s23, v24
	s_delay_alu instid0(VALU_DEP_1) | instskip(NEXT) | instid1(VALU_DEP_1)
	v_and_b32_e32 v25, s42, v24
	v_and_b32_e32 v24, 1, v25
	v_lshlrev_b32_e32 v26, 30, v25
	v_lshlrev_b32_e32 v27, 29, v25
	;; [unrolled: 1-line block ×4, first 2 shown]
	v_add_co_u32 v24, s15, v24, -1
	s_wait_alu 0xf1ff
	v_cndmask_b32_e64 v96, 0, 1, s15
	v_not_b32_e32 v100, v26
	v_cmp_gt_i32_e64 s15, 0, v26
	v_not_b32_e32 v26, v27
	v_lshlrev_b32_e32 v98, 26, v25
	v_cmp_ne_u32_e32 vcc_lo, 0, v96
	v_ashrrev_i32_e32 v100, 31, v100
	v_lshlrev_b32_e32 v99, 25, v25
	v_ashrrev_i32_e32 v26, 31, v26
	v_lshlrev_b32_e32 v96, 24, v25
	s_wait_alu 0xfffd
	v_xor_b32_e32 v24, vcc_lo, v24
	v_cmp_gt_i32_e32 vcc_lo, 0, v27
	v_not_b32_e32 v27, v95
	s_wait_alu 0xf1ff
	v_xor_b32_e32 v100, s15, v100
	v_cmp_gt_i32_e64 s15, 0, v95
	v_and_b32_e32 v24, exec_lo, v24
	v_not_b32_e32 v95, v97
	v_ashrrev_i32_e32 v27, 31, v27
	s_wait_alu 0xfffd
	v_xor_b32_e32 v26, vcc_lo, v26
	v_cmp_gt_i32_e32 vcc_lo, 0, v97
	v_and_b32_e32 v24, v24, v100
	v_not_b32_e32 v97, v98
	v_ashrrev_i32_e32 v95, 31, v95
	s_wait_alu 0xf1ff
	v_xor_b32_e32 v27, s15, v27
	v_cmp_gt_i32_e64 s15, 0, v98
	v_and_b32_e32 v24, v24, v26
	v_not_b32_e32 v26, v99
	v_ashrrev_i32_e32 v97, 31, v97
	s_wait_alu 0xfffd
	v_xor_b32_e32 v95, vcc_lo, v95
	v_cmp_gt_i32_e32 vcc_lo, 0, v99
	v_and_b32_e32 v24, v24, v27
	v_not_b32_e32 v27, v96
	v_ashrrev_i32_e32 v26, 31, v26
	s_wait_alu 0xf1ff
	v_xor_b32_e32 v97, s15, v97
	v_cmp_gt_i32_e64 s15, 0, v96
	v_and_b32_e32 v24, v24, v95
	v_ashrrev_i32_e32 v27, 31, v27
	s_wait_alu 0xfffd
	v_xor_b32_e32 v26, vcc_lo, v26
	v_mul_u32_u24_e32 v25, 36, v25
	v_add_nc_u32_e32 v98, 0x420, v43
	v_and_b32_e32 v24, v24, v97
	s_wait_alu 0xf1ff
	v_xor_b32_e32 v27, s15, v27
	v_add_nc_u32_e32 v97, 0x438, v43
	v_add_nc_u32_e32 v99, 0x428, v43
	;; [unrolled: 1-line block ×3, first 2 shown]
	v_and_b32_e32 v24, v24, v26
	v_add_nc_u32_e32 v101, v85, v25
	ds_store_2addr_b32 v97, v1, v1 offset1:1
	ds_store_2addr_b32 v98, v1, v1 offset1:1
	;; [unrolled: 1-line block ×4, first 2 shown]
	ds_store_b32 v43, v1 offset:1088
	s_wait_dscnt 0x0
	v_and_b32_e32 v24, v24, v27
	s_barrier_signal -1
	s_barrier_wait -1
	global_inv scope:SCOPE_SE
	v_mbcnt_lo_u32_b32 v95, v24, 0
	v_cmp_ne_u32_e64 s15, 0, v24
	; wave barrier
	s_delay_alu instid0(VALU_DEP_2)
	v_cmp_eq_u32_e32 vcc_lo, 0, v95
	s_and_b32 s16, s15, vcc_lo
	s_wait_alu 0xfffe
	s_and_saveexec_b32 s15, s16
; %bb.87:                               ;   in Loop: Header=BB946_72 Depth=2
	v_bcnt_u32_b32 v24, v24, 0
	ds_store_b32 v101, v24 offset:1056
; %bb.88:                               ;   in Loop: Header=BB946_72 Depth=2
	s_wait_alu 0xfffe
	s_or_b32 exec_lo, exec_lo, s15
	v_lshrrev_b32_e32 v5, 16, v5
	; wave barrier
	s_delay_alu instid0(VALU_DEP_1) | instskip(NEXT) | instid1(VALU_DEP_1)
	v_xor_b32_e32 v96, 0x7fff, v5
	v_and_b32_e32 v5, 0xffff, v96
	s_delay_alu instid0(VALU_DEP_1) | instskip(NEXT) | instid1(VALU_DEP_1)
	v_lshrrev_b32_e32 v5, s23, v5
	v_and_b32_e32 v24, s42, v5
	s_delay_alu instid0(VALU_DEP_1)
	v_and_b32_e32 v5, 1, v24
	v_lshlrev_b32_e32 v25, 30, v24
	v_lshlrev_b32_e32 v26, 29, v24
	v_lshlrev_b32_e32 v27, 28, v24
	v_lshlrev_b32_e32 v103, 27, v24
	v_add_co_u32 v5, s15, v5, -1
	s_wait_alu 0xf1ff
	v_cndmask_b32_e64 v102, 0, 1, s15
	v_not_b32_e32 v106, v25
	v_cmp_gt_i32_e64 s15, 0, v25
	v_not_b32_e32 v25, v26
	v_lshlrev_b32_e32 v104, 26, v24
	v_cmp_ne_u32_e32 vcc_lo, 0, v102
	v_ashrrev_i32_e32 v106, 31, v106
	v_lshlrev_b32_e32 v105, 25, v24
	v_ashrrev_i32_e32 v25, 31, v25
	v_lshlrev_b32_e32 v102, 24, v24
	s_wait_alu 0xfffd
	v_xor_b32_e32 v5, vcc_lo, v5
	v_cmp_gt_i32_e32 vcc_lo, 0, v26
	v_not_b32_e32 v26, v27
	s_wait_alu 0xf1ff
	v_xor_b32_e32 v106, s15, v106
	v_cmp_gt_i32_e64 s15, 0, v27
	v_and_b32_e32 v5, exec_lo, v5
	v_not_b32_e32 v27, v103
	v_ashrrev_i32_e32 v26, 31, v26
	s_wait_alu 0xfffd
	v_xor_b32_e32 v25, vcc_lo, v25
	v_cmp_gt_i32_e32 vcc_lo, 0, v103
	v_and_b32_e32 v5, v5, v106
	v_not_b32_e32 v103, v104
	v_ashrrev_i32_e32 v27, 31, v27
	s_wait_alu 0xf1ff
	v_xor_b32_e32 v26, s15, v26
	v_cmp_gt_i32_e64 s15, 0, v104
	v_and_b32_e32 v5, v5, v25
	v_not_b32_e32 v25, v105
	v_ashrrev_i32_e32 v103, 31, v103
	s_wait_alu 0xfffd
	v_xor_b32_e32 v27, vcc_lo, v27
	v_cmp_gt_i32_e32 vcc_lo, 0, v105
	v_and_b32_e32 v5, v5, v26
	v_not_b32_e32 v26, v102
	v_ashrrev_i32_e32 v25, 31, v25
	s_wait_alu 0xf1ff
	v_xor_b32_e32 v103, s15, v103
	v_cmp_gt_i32_e64 s15, 0, v102
	v_and_b32_e32 v5, v5, v27
	v_ashrrev_i32_e32 v26, 31, v26
	s_wait_alu 0xfffd
	v_xor_b32_e32 v25, vcc_lo, v25
	v_mad_u32_u24 v27, v24, 36, v85
	v_mul_u32_u24_e32 v24, 36, v24
	v_and_b32_e32 v5, v5, v103
	s_wait_alu 0xf1ff
	v_xor_b32_e32 v26, s15, v26
	ds_load_b32 v102, v27 offset:1056
	v_add_nc_u32_e32 v105, v85, v24
	v_and_b32_e32 v5, v5, v25
	; wave barrier
	s_delay_alu instid0(VALU_DEP_1) | instskip(NEXT) | instid1(VALU_DEP_1)
	v_and_b32_e32 v5, v5, v26
	v_mbcnt_lo_u32_b32 v103, v5, 0
	v_cmp_ne_u32_e64 s15, 0, v5
	s_delay_alu instid0(VALU_DEP_2)
	v_cmp_eq_u32_e32 vcc_lo, 0, v103
	s_and_b32 s16, s15, vcc_lo
	s_wait_alu 0xfffe
	s_and_saveexec_b32 s15, s16
	s_cbranch_execz .LBB946_90
; %bb.89:                               ;   in Loop: Header=BB946_72 Depth=2
	s_wait_dscnt 0x0
	v_bcnt_u32_b32 v5, v5, v102
	ds_store_b32 v105, v5 offset:1056
.LBB946_90:                             ;   in Loop: Header=BB946_72 Depth=2
	s_wait_alu 0xfffe
	s_or_b32 exec_lo, exec_lo, s15
	v_xor_b32_e32 v104, 0x7fff, v6
	; wave barrier
	s_delay_alu instid0(VALU_DEP_1) | instskip(NEXT) | instid1(VALU_DEP_1)
	v_and_b32_e32 v5, 0xffff, v104
	v_lshrrev_b32_e32 v5, s23, v5
	s_delay_alu instid0(VALU_DEP_1) | instskip(NEXT) | instid1(VALU_DEP_1)
	v_and_b32_e32 v24, s42, v5
	v_and_b32_e32 v5, 1, v24
	v_lshlrev_b32_e32 v25, 30, v24
	v_lshlrev_b32_e32 v26, 29, v24
	v_lshlrev_b32_e32 v27, 28, v24
	v_lshlrev_b32_e32 v107, 27, v24
	v_add_co_u32 v5, s15, v5, -1
	s_wait_alu 0xf1ff
	v_cndmask_b32_e64 v106, 0, 1, s15
	v_not_b32_e32 v110, v25
	v_cmp_gt_i32_e64 s15, 0, v25
	v_not_b32_e32 v25, v26
	v_lshlrev_b32_e32 v108, 26, v24
	v_cmp_ne_u32_e32 vcc_lo, 0, v106
	v_ashrrev_i32_e32 v110, 31, v110
	v_lshlrev_b32_e32 v109, 25, v24
	v_ashrrev_i32_e32 v25, 31, v25
	v_lshlrev_b32_e32 v106, 24, v24
	s_wait_alu 0xfffd
	v_xor_b32_e32 v5, vcc_lo, v5
	v_cmp_gt_i32_e32 vcc_lo, 0, v26
	v_not_b32_e32 v26, v27
	s_wait_alu 0xf1ff
	v_xor_b32_e32 v110, s15, v110
	v_cmp_gt_i32_e64 s15, 0, v27
	v_and_b32_e32 v5, exec_lo, v5
	v_not_b32_e32 v27, v107
	v_ashrrev_i32_e32 v26, 31, v26
	s_wait_alu 0xfffd
	v_xor_b32_e32 v25, vcc_lo, v25
	v_cmp_gt_i32_e32 vcc_lo, 0, v107
	v_and_b32_e32 v5, v5, v110
	v_not_b32_e32 v107, v108
	v_ashrrev_i32_e32 v27, 31, v27
	s_wait_alu 0xf1ff
	v_xor_b32_e32 v26, s15, v26
	v_cmp_gt_i32_e64 s15, 0, v108
	v_and_b32_e32 v5, v5, v25
	v_not_b32_e32 v25, v109
	v_ashrrev_i32_e32 v107, 31, v107
	s_wait_alu 0xfffd
	v_xor_b32_e32 v27, vcc_lo, v27
	v_cmp_gt_i32_e32 vcc_lo, 0, v109
	v_and_b32_e32 v5, v5, v26
	v_not_b32_e32 v26, v106
	v_ashrrev_i32_e32 v25, 31, v25
	s_wait_alu 0xf1ff
	v_xor_b32_e32 v107, s15, v107
	v_cmp_gt_i32_e64 s15, 0, v106
	v_and_b32_e32 v5, v5, v27
	v_ashrrev_i32_e32 v26, 31, v26
	s_wait_alu 0xfffd
	v_xor_b32_e32 v25, vcc_lo, v25
	v_mad_u32_u24 v27, v24, 36, v85
	v_mul_u32_u24_e32 v24, 36, v24
	v_and_b32_e32 v5, v5, v107
	s_wait_alu 0xf1ff
	v_xor_b32_e32 v26, s15, v26
	ds_load_b32 v106, v27 offset:1056
	v_add_nc_u32_e32 v109, v85, v24
	v_and_b32_e32 v5, v5, v25
	; wave barrier
	s_delay_alu instid0(VALU_DEP_1) | instskip(NEXT) | instid1(VALU_DEP_1)
	v_and_b32_e32 v5, v5, v26
	v_mbcnt_lo_u32_b32 v108, v5, 0
	v_cmp_ne_u32_e64 s15, 0, v5
	s_delay_alu instid0(VALU_DEP_2)
	v_cmp_eq_u32_e32 vcc_lo, 0, v108
	s_and_b32 s16, s15, vcc_lo
	s_wait_alu 0xfffe
	s_and_saveexec_b32 s15, s16
	s_cbranch_execz .LBB946_92
; %bb.91:                               ;   in Loop: Header=BB946_72 Depth=2
	s_wait_dscnt 0x0
	v_bcnt_u32_b32 v5, v5, v106
	ds_store_b32 v109, v5 offset:1056
.LBB946_92:                             ;   in Loop: Header=BB946_72 Depth=2
	s_wait_alu 0xfffe
	s_or_b32 exec_lo, exec_lo, s15
	v_lshrrev_b32_e32 v5, 16, v6
	; wave barrier
	s_delay_alu instid0(VALU_DEP_1) | instskip(NEXT) | instid1(VALU_DEP_1)
	v_xor_b32_e32 v107, 0x7fff, v5
	v_and_b32_e32 v5, 0xffff, v107
	s_delay_alu instid0(VALU_DEP_1) | instskip(NEXT) | instid1(VALU_DEP_1)
	v_lshrrev_b32_e32 v5, s23, v5
	v_and_b32_e32 v6, s42, v5
	s_delay_alu instid0(VALU_DEP_1)
	v_and_b32_e32 v5, 1, v6
	v_lshlrev_b32_e32 v24, 30, v6
	v_lshlrev_b32_e32 v25, 29, v6
	;; [unrolled: 1-line block ×4, first 2 shown]
	v_add_co_u32 v5, s15, v5, -1
	s_wait_alu 0xf1ff
	v_cndmask_b32_e64 v27, 0, 1, s15
	v_not_b32_e32 v113, v24
	v_cmp_gt_i32_e64 s15, 0, v24
	v_not_b32_e32 v24, v25
	v_lshlrev_b32_e32 v111, 26, v6
	v_cmp_ne_u32_e32 vcc_lo, 0, v27
	v_ashrrev_i32_e32 v113, 31, v113
	v_lshlrev_b32_e32 v112, 25, v6
	v_ashrrev_i32_e32 v24, 31, v24
	v_lshlrev_b32_e32 v27, 24, v6
	s_wait_alu 0xfffd
	v_xor_b32_e32 v5, vcc_lo, v5
	v_cmp_gt_i32_e32 vcc_lo, 0, v25
	v_not_b32_e32 v25, v26
	s_wait_alu 0xf1ff
	v_xor_b32_e32 v113, s15, v113
	v_cmp_gt_i32_e64 s15, 0, v26
	v_and_b32_e32 v5, exec_lo, v5
	v_not_b32_e32 v26, v110
	v_ashrrev_i32_e32 v25, 31, v25
	s_wait_alu 0xfffd
	v_xor_b32_e32 v24, vcc_lo, v24
	v_cmp_gt_i32_e32 vcc_lo, 0, v110
	v_and_b32_e32 v5, v5, v113
	v_not_b32_e32 v110, v111
	v_ashrrev_i32_e32 v26, 31, v26
	s_wait_alu 0xf1ff
	v_xor_b32_e32 v25, s15, v25
	v_cmp_gt_i32_e64 s15, 0, v111
	v_and_b32_e32 v5, v5, v24
	v_not_b32_e32 v24, v112
	v_ashrrev_i32_e32 v110, 31, v110
	s_wait_alu 0xfffd
	v_xor_b32_e32 v26, vcc_lo, v26
	v_cmp_gt_i32_e32 vcc_lo, 0, v112
	v_and_b32_e32 v5, v5, v25
	v_not_b32_e32 v25, v27
	v_ashrrev_i32_e32 v24, 31, v24
	s_wait_alu 0xf1ff
	v_xor_b32_e32 v110, s15, v110
	v_cmp_gt_i32_e64 s15, 0, v27
	v_and_b32_e32 v5, v5, v26
	v_ashrrev_i32_e32 v25, 31, v25
	s_wait_alu 0xfffd
	v_xor_b32_e32 v24, vcc_lo, v24
	v_mad_u32_u24 v26, v6, 36, v85
	v_mul_u32_u24_e32 v6, 36, v6
	v_and_b32_e32 v5, v5, v110
	s_wait_alu 0xf1ff
	v_xor_b32_e32 v25, s15, v25
	ds_load_b32 v110, v26 offset:1056
	v_add_nc_u32_e32 v113, v85, v6
	v_and_b32_e32 v5, v5, v24
	; wave barrier
	s_delay_alu instid0(VALU_DEP_1) | instskip(NEXT) | instid1(VALU_DEP_1)
	v_and_b32_e32 v5, v5, v25
	v_mbcnt_lo_u32_b32 v112, v5, 0
	v_cmp_ne_u32_e64 s15, 0, v5
	s_delay_alu instid0(VALU_DEP_2)
	v_cmp_eq_u32_e32 vcc_lo, 0, v112
	s_and_b32 s16, s15, vcc_lo
	s_wait_alu 0xfffe
	s_and_saveexec_b32 s15, s16
	s_cbranch_execz .LBB946_94
; %bb.93:                               ;   in Loop: Header=BB946_72 Depth=2
	s_wait_dscnt 0x0
	v_bcnt_u32_b32 v5, v5, v110
	ds_store_b32 v113, v5 offset:1056
.LBB946_94:                             ;   in Loop: Header=BB946_72 Depth=2
	s_wait_alu 0xfffe
	s_or_b32 exec_lo, exec_lo, s15
	v_xor_b32_e32 v111, 0x7fff, v7
	; wave barrier
	s_delay_alu instid0(VALU_DEP_1) | instskip(NEXT) | instid1(VALU_DEP_1)
	v_and_b32_e32 v5, 0xffff, v111
	v_lshrrev_b32_e32 v5, s23, v5
	s_delay_alu instid0(VALU_DEP_1) | instskip(NEXT) | instid1(VALU_DEP_1)
	v_and_b32_e32 v6, s42, v5
	v_and_b32_e32 v5, 1, v6
	v_lshlrev_b32_e32 v24, 30, v6
	v_lshlrev_b32_e32 v25, 29, v6
	;; [unrolled: 1-line block ×4, first 2 shown]
	v_add_co_u32 v5, s15, v5, -1
	s_wait_alu 0xf1ff
	v_cndmask_b32_e64 v27, 0, 1, s15
	v_not_b32_e32 v117, v24
	v_cmp_gt_i32_e64 s15, 0, v24
	v_not_b32_e32 v24, v25
	v_lshlrev_b32_e32 v115, 26, v6
	v_cmp_ne_u32_e32 vcc_lo, 0, v27
	v_ashrrev_i32_e32 v117, 31, v117
	v_lshlrev_b32_e32 v116, 25, v6
	v_ashrrev_i32_e32 v24, 31, v24
	v_lshlrev_b32_e32 v27, 24, v6
	s_wait_alu 0xfffd
	v_xor_b32_e32 v5, vcc_lo, v5
	v_cmp_gt_i32_e32 vcc_lo, 0, v25
	v_not_b32_e32 v25, v26
	s_wait_alu 0xf1ff
	v_xor_b32_e32 v117, s15, v117
	v_cmp_gt_i32_e64 s15, 0, v26
	v_and_b32_e32 v5, exec_lo, v5
	v_not_b32_e32 v26, v114
	v_ashrrev_i32_e32 v25, 31, v25
	s_wait_alu 0xfffd
	v_xor_b32_e32 v24, vcc_lo, v24
	v_cmp_gt_i32_e32 vcc_lo, 0, v114
	v_and_b32_e32 v5, v5, v117
	v_not_b32_e32 v114, v115
	v_ashrrev_i32_e32 v26, 31, v26
	s_wait_alu 0xf1ff
	v_xor_b32_e32 v25, s15, v25
	v_cmp_gt_i32_e64 s15, 0, v115
	v_and_b32_e32 v5, v5, v24
	v_not_b32_e32 v24, v116
	v_ashrrev_i32_e32 v114, 31, v114
	s_wait_alu 0xfffd
	v_xor_b32_e32 v26, vcc_lo, v26
	v_cmp_gt_i32_e32 vcc_lo, 0, v116
	v_and_b32_e32 v5, v5, v25
	v_not_b32_e32 v25, v27
	v_ashrrev_i32_e32 v24, 31, v24
	s_wait_alu 0xf1ff
	v_xor_b32_e32 v114, s15, v114
	v_cmp_gt_i32_e64 s15, 0, v27
	v_and_b32_e32 v5, v5, v26
	v_ashrrev_i32_e32 v25, 31, v25
	s_wait_alu 0xfffd
	v_xor_b32_e32 v24, vcc_lo, v24
	v_mad_u32_u24 v26, v6, 36, v85
	v_mul_u32_u24_e32 v6, 36, v6
	v_and_b32_e32 v5, v5, v114
	s_wait_alu 0xf1ff
	v_xor_b32_e32 v25, s15, v25
	ds_load_b32 v114, v26 offset:1056
	v_add_nc_u32_e32 v117, v85, v6
	v_and_b32_e32 v5, v5, v24
	; wave barrier
	s_delay_alu instid0(VALU_DEP_1) | instskip(NEXT) | instid1(VALU_DEP_1)
	v_and_b32_e32 v5, v5, v25
	v_mbcnt_lo_u32_b32 v116, v5, 0
	v_cmp_ne_u32_e64 s15, 0, v5
	s_delay_alu instid0(VALU_DEP_2)
	v_cmp_eq_u32_e32 vcc_lo, 0, v116
	s_and_b32 s16, s15, vcc_lo
	s_wait_alu 0xfffe
	s_and_saveexec_b32 s15, s16
	s_cbranch_execz .LBB946_96
; %bb.95:                               ;   in Loop: Header=BB946_72 Depth=2
	s_wait_dscnt 0x0
	v_bcnt_u32_b32 v5, v5, v114
	ds_store_b32 v117, v5 offset:1056
.LBB946_96:                             ;   in Loop: Header=BB946_72 Depth=2
	s_wait_alu 0xfffe
	s_or_b32 exec_lo, exec_lo, s15
	v_lshrrev_b32_e32 v5, 16, v7
	; wave barrier
	s_delay_alu instid0(VALU_DEP_1) | instskip(NEXT) | instid1(VALU_DEP_1)
	v_xor_b32_e32 v115, 0x7fff, v5
	v_and_b32_e32 v5, 0xffff, v115
	s_delay_alu instid0(VALU_DEP_1) | instskip(NEXT) | instid1(VALU_DEP_1)
	v_lshrrev_b32_e32 v5, s23, v5
	v_and_b32_e32 v6, s42, v5
	s_delay_alu instid0(VALU_DEP_1)
	v_and_b32_e32 v5, 1, v6
	v_lshlrev_b32_e32 v7, 30, v6
	v_lshlrev_b32_e32 v24, 29, v6
	;; [unrolled: 1-line block ×4, first 2 shown]
	v_add_co_u32 v5, s15, v5, -1
	s_wait_alu 0xf1ff
	v_cndmask_b32_e64 v26, 0, 1, s15
	v_not_b32_e32 v120, v7
	v_cmp_gt_i32_e64 s15, 0, v7
	v_not_b32_e32 v7, v24
	v_lshlrev_b32_e32 v118, 26, v6
	v_cmp_ne_u32_e32 vcc_lo, 0, v26
	v_ashrrev_i32_e32 v120, 31, v120
	v_lshlrev_b32_e32 v119, 25, v6
	v_ashrrev_i32_e32 v7, 31, v7
	v_lshlrev_b32_e32 v26, 24, v6
	s_wait_alu 0xfffd
	v_xor_b32_e32 v5, vcc_lo, v5
	v_cmp_gt_i32_e32 vcc_lo, 0, v24
	v_not_b32_e32 v24, v25
	s_wait_alu 0xf1ff
	v_xor_b32_e32 v120, s15, v120
	v_cmp_gt_i32_e64 s15, 0, v25
	v_and_b32_e32 v5, exec_lo, v5
	v_not_b32_e32 v25, v27
	v_ashrrev_i32_e32 v24, 31, v24
	s_wait_alu 0xfffd
	v_xor_b32_e32 v7, vcc_lo, v7
	v_cmp_gt_i32_e32 vcc_lo, 0, v27
	v_and_b32_e32 v5, v5, v120
	v_not_b32_e32 v27, v118
	v_ashrrev_i32_e32 v25, 31, v25
	s_wait_alu 0xf1ff
	v_xor_b32_e32 v24, s15, v24
	v_cmp_gt_i32_e64 s15, 0, v118
	v_and_b32_e32 v5, v5, v7
	v_not_b32_e32 v7, v119
	v_ashrrev_i32_e32 v27, 31, v27
	s_wait_alu 0xfffd
	v_xor_b32_e32 v25, vcc_lo, v25
	v_cmp_gt_i32_e32 vcc_lo, 0, v119
	v_and_b32_e32 v5, v5, v24
	v_not_b32_e32 v24, v26
	v_ashrrev_i32_e32 v7, 31, v7
	s_wait_alu 0xf1ff
	v_xor_b32_e32 v27, s15, v27
	v_cmp_gt_i32_e64 s15, 0, v26
	v_and_b32_e32 v5, v5, v25
	v_ashrrev_i32_e32 v24, 31, v24
	s_wait_alu 0xfffd
	v_xor_b32_e32 v7, vcc_lo, v7
	v_mad_u32_u24 v25, v6, 36, v85
	v_mul_u32_u24_e32 v6, 36, v6
	v_and_b32_e32 v5, v5, v27
	s_wait_alu 0xf1ff
	v_xor_b32_e32 v24, s15, v24
	ds_load_b32 v118, v25 offset:1056
	v_add_nc_u32_e32 v121, v85, v6
	v_and_b32_e32 v5, v5, v7
	; wave barrier
	s_delay_alu instid0(VALU_DEP_1) | instskip(NEXT) | instid1(VALU_DEP_1)
	v_and_b32_e32 v5, v5, v24
	v_mbcnt_lo_u32_b32 v120, v5, 0
	v_cmp_ne_u32_e64 s15, 0, v5
	s_delay_alu instid0(VALU_DEP_2)
	v_cmp_eq_u32_e32 vcc_lo, 0, v120
	s_and_b32 s16, s15, vcc_lo
	s_wait_alu 0xfffe
	s_and_saveexec_b32 s15, s16
	s_cbranch_execz .LBB946_98
; %bb.97:                               ;   in Loop: Header=BB946_72 Depth=2
	s_wait_dscnt 0x0
	v_bcnt_u32_b32 v5, v5, v118
	ds_store_b32 v121, v5 offset:1056
.LBB946_98:                             ;   in Loop: Header=BB946_72 Depth=2
	s_wait_alu 0xfffe
	s_or_b32 exec_lo, exec_lo, s15
	v_xor_b32_e32 v119, 0x7fff, v8
	; wave barrier
	s_delay_alu instid0(VALU_DEP_1) | instskip(NEXT) | instid1(VALU_DEP_1)
	v_and_b32_e32 v5, 0xffff, v119
	v_lshrrev_b32_e32 v5, s23, v5
	s_delay_alu instid0(VALU_DEP_1) | instskip(NEXT) | instid1(VALU_DEP_1)
	v_and_b32_e32 v6, s42, v5
	v_and_b32_e32 v5, 1, v6
	v_lshlrev_b32_e32 v7, 30, v6
	v_lshlrev_b32_e32 v24, 29, v6
	;; [unrolled: 1-line block ×4, first 2 shown]
	v_add_co_u32 v5, s15, v5, -1
	s_wait_alu 0xf1ff
	v_cndmask_b32_e64 v26, 0, 1, s15
	v_not_b32_e32 v124, v7
	v_cmp_gt_i32_e64 s15, 0, v7
	v_not_b32_e32 v7, v24
	v_lshlrev_b32_e32 v122, 26, v6
	v_cmp_ne_u32_e32 vcc_lo, 0, v26
	v_ashrrev_i32_e32 v124, 31, v124
	v_lshlrev_b32_e32 v123, 25, v6
	v_ashrrev_i32_e32 v7, 31, v7
	v_lshlrev_b32_e32 v26, 24, v6
	s_wait_alu 0xfffd
	v_xor_b32_e32 v5, vcc_lo, v5
	v_cmp_gt_i32_e32 vcc_lo, 0, v24
	v_not_b32_e32 v24, v25
	s_wait_alu 0xf1ff
	v_xor_b32_e32 v124, s15, v124
	v_cmp_gt_i32_e64 s15, 0, v25
	v_and_b32_e32 v5, exec_lo, v5
	v_not_b32_e32 v25, v27
	v_ashrrev_i32_e32 v24, 31, v24
	s_wait_alu 0xfffd
	v_xor_b32_e32 v7, vcc_lo, v7
	v_cmp_gt_i32_e32 vcc_lo, 0, v27
	v_and_b32_e32 v5, v5, v124
	v_not_b32_e32 v27, v122
	v_ashrrev_i32_e32 v25, 31, v25
	s_wait_alu 0xf1ff
	v_xor_b32_e32 v24, s15, v24
	v_cmp_gt_i32_e64 s15, 0, v122
	v_and_b32_e32 v5, v5, v7
	v_not_b32_e32 v7, v123
	v_ashrrev_i32_e32 v27, 31, v27
	s_wait_alu 0xfffd
	v_xor_b32_e32 v25, vcc_lo, v25
	v_cmp_gt_i32_e32 vcc_lo, 0, v123
	v_and_b32_e32 v5, v5, v24
	v_not_b32_e32 v24, v26
	v_ashrrev_i32_e32 v7, 31, v7
	s_wait_alu 0xf1ff
	v_xor_b32_e32 v27, s15, v27
	v_cmp_gt_i32_e64 s15, 0, v26
	v_and_b32_e32 v5, v5, v25
	v_ashrrev_i32_e32 v24, 31, v24
	s_wait_alu 0xfffd
	v_xor_b32_e32 v7, vcc_lo, v7
	v_mad_u32_u24 v25, v6, 36, v85
	v_mul_u32_u24_e32 v6, 36, v6
	v_and_b32_e32 v5, v5, v27
	s_wait_alu 0xf1ff
	v_xor_b32_e32 v24, s15, v24
	ds_load_b32 v122, v25 offset:1056
	v_add_nc_u32_e32 v125, v85, v6
	v_and_b32_e32 v5, v5, v7
	; wave barrier
	s_delay_alu instid0(VALU_DEP_1) | instskip(NEXT) | instid1(VALU_DEP_1)
	v_and_b32_e32 v5, v5, v24
	v_mbcnt_lo_u32_b32 v123, v5, 0
	v_cmp_ne_u32_e64 s15, 0, v5
	s_delay_alu instid0(VALU_DEP_2)
	v_cmp_eq_u32_e32 vcc_lo, 0, v123
	s_and_b32 s16, s15, vcc_lo
	s_wait_alu 0xfffe
	s_and_saveexec_b32 s15, s16
	s_cbranch_execz .LBB946_100
; %bb.99:                               ;   in Loop: Header=BB946_72 Depth=2
	s_wait_dscnt 0x0
	v_bcnt_u32_b32 v5, v5, v122
	ds_store_b32 v125, v5 offset:1056
.LBB946_100:                            ;   in Loop: Header=BB946_72 Depth=2
	s_wait_alu 0xfffe
	s_or_b32 exec_lo, exec_lo, s15
	v_lshrrev_b32_e32 v5, 16, v8
	; wave barrier
	s_delay_alu instid0(VALU_DEP_1) | instskip(NEXT) | instid1(VALU_DEP_1)
	v_xor_b32_e32 v124, 0x7fff, v5
	v_and_b32_e32 v5, 0xffff, v124
	s_delay_alu instid0(VALU_DEP_1) | instskip(NEXT) | instid1(VALU_DEP_1)
	v_lshrrev_b32_e32 v5, s23, v5
	v_and_b32_e32 v6, s42, v5
	s_delay_alu instid0(VALU_DEP_1)
	v_and_b32_e32 v5, 1, v6
	v_lshlrev_b32_e32 v7, 30, v6
	v_lshlrev_b32_e32 v8, 29, v6
	;; [unrolled: 1-line block ×4, first 2 shown]
	v_add_co_u32 v5, s15, v5, -1
	s_wait_alu 0xf1ff
	v_cndmask_b32_e64 v25, 0, 1, s15
	v_not_b32_e32 v127, v7
	v_cmp_gt_i32_e64 s15, 0, v7
	v_not_b32_e32 v7, v8
	v_lshlrev_b32_e32 v27, 26, v6
	v_cmp_ne_u32_e32 vcc_lo, 0, v25
	v_ashrrev_i32_e32 v127, 31, v127
	v_lshlrev_b32_e32 v126, 25, v6
	v_ashrrev_i32_e32 v7, 31, v7
	v_lshlrev_b32_e32 v25, 24, v6
	s_wait_alu 0xfffd
	v_xor_b32_e32 v5, vcc_lo, v5
	v_cmp_gt_i32_e32 vcc_lo, 0, v8
	v_not_b32_e32 v8, v24
	s_wait_alu 0xf1ff
	v_xor_b32_e32 v127, s15, v127
	v_cmp_gt_i32_e64 s15, 0, v24
	v_and_b32_e32 v5, exec_lo, v5
	v_not_b32_e32 v24, v26
	v_ashrrev_i32_e32 v8, 31, v8
	s_wait_alu 0xfffd
	v_xor_b32_e32 v7, vcc_lo, v7
	v_cmp_gt_i32_e32 vcc_lo, 0, v26
	v_and_b32_e32 v5, v5, v127
	v_not_b32_e32 v26, v27
	v_ashrrev_i32_e32 v24, 31, v24
	s_wait_alu 0xf1ff
	v_xor_b32_e32 v8, s15, v8
	v_cmp_gt_i32_e64 s15, 0, v27
	v_and_b32_e32 v5, v5, v7
	v_not_b32_e32 v7, v126
	v_ashrrev_i32_e32 v26, 31, v26
	s_wait_alu 0xfffd
	v_xor_b32_e32 v24, vcc_lo, v24
	v_cmp_gt_i32_e32 vcc_lo, 0, v126
	v_and_b32_e32 v5, v5, v8
	v_not_b32_e32 v8, v25
	v_ashrrev_i32_e32 v7, 31, v7
	s_wait_alu 0xf1ff
	v_xor_b32_e32 v26, s15, v26
	v_cmp_gt_i32_e64 s15, 0, v25
	v_and_b32_e32 v5, v5, v24
	v_ashrrev_i32_e32 v8, 31, v8
	s_wait_alu 0xfffd
	v_xor_b32_e32 v7, vcc_lo, v7
	v_mad_u32_u24 v24, v6, 36, v85
	v_mul_u32_u24_e32 v6, 36, v6
	v_and_b32_e32 v5, v5, v26
	s_wait_alu 0xf1ff
	v_xor_b32_e32 v8, s15, v8
	ds_load_b32 v126, v24 offset:1056
	v_add_nc_u32_e32 v128, v85, v6
	v_and_b32_e32 v5, v5, v7
	; wave barrier
	s_delay_alu instid0(VALU_DEP_1) | instskip(NEXT) | instid1(VALU_DEP_1)
	v_and_b32_e32 v5, v5, v8
	v_mbcnt_lo_u32_b32 v127, v5, 0
	v_cmp_ne_u32_e64 s15, 0, v5
	s_delay_alu instid0(VALU_DEP_2)
	v_cmp_eq_u32_e32 vcc_lo, 0, v127
	s_and_b32 s16, s15, vcc_lo
	s_wait_alu 0xfffe
	s_and_saveexec_b32 s15, s16
	s_cbranch_execz .LBB946_102
; %bb.101:                              ;   in Loop: Header=BB946_72 Depth=2
	s_wait_dscnt 0x0
	v_bcnt_u32_b32 v5, v5, v126
	ds_store_b32 v128, v5 offset:1056
.LBB946_102:                            ;   in Loop: Header=BB946_72 Depth=2
	s_wait_alu 0xfffe
	s_or_b32 exec_lo, exec_lo, s15
	; wave barrier
	s_wait_loadcnt_dscnt 0x0
	s_barrier_signal -1
	s_barrier_wait -1
	global_inv scope:SCOPE_SE
	ds_load_2addr_b32 v[26:27], v98 offset1:1
	ds_load_2addr_b32 v[24:25], v99 offset1:1
	;; [unrolled: 1-line block ×4, first 2 shown]
	ds_load_b32 v129, v43 offset:1088
	s_wait_dscnt 0x3
	v_add3_u32 v130, v27, v26, v24
	s_wait_dscnt 0x2
	s_delay_alu instid0(VALU_DEP_1) | instskip(SKIP_1) | instid1(VALU_DEP_1)
	v_add3_u32 v130, v130, v25, v7
	s_wait_dscnt 0x1
	v_add3_u32 v130, v130, v8, v5
	s_wait_dscnt 0x0
	s_delay_alu instid0(VALU_DEP_1) | instskip(NEXT) | instid1(VALU_DEP_1)
	v_add3_u32 v129, v130, v6, v129
	v_mov_b32_dpp v130, v129 row_shr:1 row_mask:0xf bank_mask:0xf
	s_delay_alu instid0(VALU_DEP_1) | instskip(NEXT) | instid1(VALU_DEP_1)
	v_cndmask_b32_e64 v130, v130, 0, s0
	v_add_nc_u32_e32 v129, v130, v129
	s_delay_alu instid0(VALU_DEP_1) | instskip(NEXT) | instid1(VALU_DEP_1)
	v_mov_b32_dpp v130, v129 row_shr:2 row_mask:0xf bank_mask:0xf
	v_cndmask_b32_e64 v130, 0, v130, s1
	s_delay_alu instid0(VALU_DEP_1) | instskip(NEXT) | instid1(VALU_DEP_1)
	v_add_nc_u32_e32 v129, v129, v130
	v_mov_b32_dpp v130, v129 row_shr:4 row_mask:0xf bank_mask:0xf
	s_delay_alu instid0(VALU_DEP_1) | instskip(NEXT) | instid1(VALU_DEP_1)
	v_cndmask_b32_e64 v130, 0, v130, s9
	v_add_nc_u32_e32 v129, v129, v130
	s_delay_alu instid0(VALU_DEP_1) | instskip(NEXT) | instid1(VALU_DEP_1)
	v_mov_b32_dpp v130, v129 row_shr:8 row_mask:0xf bank_mask:0xf
	v_cndmask_b32_e64 v130, 0, v130, s10
	s_delay_alu instid0(VALU_DEP_1) | instskip(SKIP_3) | instid1(VALU_DEP_1)
	v_add_nc_u32_e32 v129, v129, v130
	ds_swizzle_b32 v130, v129 offset:swizzle(BROADCAST,32,15)
	s_wait_dscnt 0x0
	v_cndmask_b32_e64 v130, v130, 0, s11
	v_add_nc_u32_e32 v129, v129, v130
	s_and_saveexec_b32 s15, s3
; %bb.103:                              ;   in Loop: Header=BB946_72 Depth=2
	ds_store_b32 v38, v129 offset:1024
; %bb.104:                              ;   in Loop: Header=BB946_72 Depth=2
	s_wait_alu 0xfffe
	s_or_b32 exec_lo, exec_lo, s15
	s_wait_loadcnt_dscnt 0x0
	s_barrier_signal -1
	s_barrier_wait -1
	global_inv scope:SCOPE_SE
	s_and_saveexec_b32 s15, s4
	s_cbranch_execz .LBB946_106
; %bb.105:                              ;   in Loop: Header=BB946_72 Depth=2
	ds_load_b32 v130, v47 offset:1024
	s_wait_dscnt 0x0
	v_mov_b32_dpp v131, v130 row_shr:1 row_mask:0xf bank_mask:0xf
	s_delay_alu instid0(VALU_DEP_1) | instskip(NEXT) | instid1(VALU_DEP_1)
	v_cndmask_b32_e64 v131, v131, 0, s12
	v_add_nc_u32_e32 v130, v131, v130
	s_delay_alu instid0(VALU_DEP_1) | instskip(NEXT) | instid1(VALU_DEP_1)
	v_mov_b32_dpp v131, v130 row_shr:2 row_mask:0xf bank_mask:0xf
	v_cndmask_b32_e64 v131, 0, v131, s13
	s_delay_alu instid0(VALU_DEP_1) | instskip(NEXT) | instid1(VALU_DEP_1)
	v_add_nc_u32_e32 v130, v130, v131
	v_mov_b32_dpp v131, v130 row_shr:4 row_mask:0xf bank_mask:0xf
	s_delay_alu instid0(VALU_DEP_1) | instskip(NEXT) | instid1(VALU_DEP_1)
	v_cndmask_b32_e64 v131, 0, v131, s14
	v_add_nc_u32_e32 v130, v130, v131
	ds_store_b32 v47, v130 offset:1024
.LBB946_106:                            ;   in Loop: Header=BB946_72 Depth=2
	s_wait_alu 0xfffe
	s_or_b32 exec_lo, exec_lo, s15
	v_mov_b32_e32 v130, 0
	s_wait_loadcnt_dscnt 0x0
	s_barrier_signal -1
	s_barrier_wait -1
	global_inv scope:SCOPE_SE
	s_and_saveexec_b32 s15, s5
; %bb.107:                              ;   in Loop: Header=BB946_72 Depth=2
	ds_load_b32 v130, v38 offset:1020
; %bb.108:                              ;   in Loop: Header=BB946_72 Depth=2
	s_wait_alu 0xfffe
	s_or_b32 exec_lo, exec_lo, s15
	s_wait_dscnt 0x0
	v_add_nc_u32_e32 v129, v130, v129
	ds_bpermute_b32 v129, v84, v129
	s_wait_dscnt 0x0
	v_cndmask_b32_e64 v129, v129, v130, s8
	s_delay_alu instid0(VALU_DEP_1) | instskip(NEXT) | instid1(VALU_DEP_1)
	v_cndmask_b32_e64 v129, v129, 0, s6
	v_add_nc_u32_e32 v26, v129, v26
	s_delay_alu instid0(VALU_DEP_1) | instskip(NEXT) | instid1(VALU_DEP_1)
	v_add_nc_u32_e32 v27, v26, v27
	v_add_nc_u32_e32 v24, v27, v24
	s_delay_alu instid0(VALU_DEP_1) | instskip(NEXT) | instid1(VALU_DEP_1)
	v_add_nc_u32_e32 v25, v24, v25
	;; [unrolled: 3-line block ×3, first 2 shown]
	v_add_nc_u32_e32 v5, v8, v5
	s_delay_alu instid0(VALU_DEP_1)
	v_add_nc_u32_e32 v6, v5, v6
	ds_store_2addr_b32 v97, v8, v5 offset1:1
	ds_store_2addr_b32 v98, v129, v26 offset1:1
	;; [unrolled: 1-line block ×4, first 2 shown]
	ds_store_b32 v43, v6 offset:1088
	s_wait_loadcnt_dscnt 0x0
	s_barrier_signal -1
	s_barrier_wait -1
	global_inv scope:SCOPE_SE
	ds_load_b32 v8, v101 offset:1056
	ds_load_b32 v24, v105 offset:1056
	;; [unrolled: 1-line block ×9, first 2 shown]
	v_mov_b32_e32 v7, 0x800
	s_and_saveexec_b32 s15, s7
; %bb.109:                              ;   in Loop: Header=BB946_72 Depth=2
	ds_load_b32 v7, v43 offset:1092
; %bb.110:                              ;   in Loop: Header=BB946_72 Depth=2
	s_wait_alu 0xfffe
	s_or_b32 exec_lo, exec_lo, s15
	s_wait_loadcnt_dscnt 0x0
	s_barrier_signal -1
	s_barrier_wait -1
	global_inv scope:SCOPE_SE
	s_and_saveexec_b32 s15, s2
	s_cbranch_execz .LBB946_112
; %bb.111:                              ;   in Loop: Header=BB946_72 Depth=2
	ds_load_b32 v98, v28
	s_wait_dscnt 0x0
	v_sub_nc_u32_e32 v97, v98, v97
	ds_store_b32 v28, v97
.LBB946_112:                            ;   in Loop: Header=BB946_72 Depth=2
	s_wait_alu 0xfffe
	s_or_b32 exec_lo, exec_lo, s15
	v_add_nc_u32_e32 v98, v8, v95
	v_add3_u32 v97, v103, v102, v24
	v_add3_u32 v95, v108, v106, v25
	v_add3_u32 v25, v112, v110, v26
	v_add3_u32 v8, v120, v118, v99
	v_lshlrev_b32_e32 v99, 1, v98
	v_add3_u32 v24, v116, v114, v27
	v_lshlrev_b32_e32 v100, 1, v97
	v_lshlrev_b32_e32 v101, 1, v95
	v_add3_u32 v27, v123, v122, v5
	v_add3_u32 v26, v127, v126, v6
	ds_store_b16 v99, v0 offset:1024
	ds_store_b16 v100, v96 offset:1024
	;; [unrolled: 1-line block ×3, first 2 shown]
	v_lshlrev_b32_e32 v0, 1, v25
	v_cmp_lt_u32_e32 vcc_lo, v13, v94
	v_lshlrev_b32_e32 v5, 1, v24
	v_lshlrev_b32_e32 v6, 1, v8
	;; [unrolled: 1-line block ×4, first 2 shown]
	ds_store_b16 v0, v107 offset:1024
	ds_store_b16 v5, v111 offset:1024
	;; [unrolled: 1-line block ×5, first 2 shown]
	s_wait_loadcnt_dscnt 0x0
	s_barrier_signal -1
	s_barrier_wait -1
	global_inv scope:SCOPE_SE
	s_and_saveexec_b32 s16, vcc_lo
	s_cbranch_execnz .LBB946_149
; %bb.113:                              ;   in Loop: Header=BB946_72 Depth=2
	s_wait_alu 0xfffe
	s_or_b32 exec_lo, exec_lo, s16
	v_cmp_lt_u32_e64 s15, v29, v94
	s_and_saveexec_b32 s17, s15
	s_cbranch_execnz .LBB946_150
.LBB946_114:                            ;   in Loop: Header=BB946_72 Depth=2
	s_wait_alu 0xfffe
	s_or_b32 exec_lo, exec_lo, s17
	v_cmp_lt_u32_e64 s16, v30, v94
	s_and_saveexec_b32 s18, s16
	s_cbranch_execnz .LBB946_151
.LBB946_115:                            ;   in Loop: Header=BB946_72 Depth=2
	s_wait_alu 0xfffe
	s_or_b32 exec_lo, exec_lo, s18
	v_cmp_lt_u32_e64 s17, v31, v94
	s_and_saveexec_b32 s19, s17
	s_cbranch_execnz .LBB946_152
.LBB946_116:                            ;   in Loop: Header=BB946_72 Depth=2
	s_wait_alu 0xfffe
	s_or_b32 exec_lo, exec_lo, s19
	v_cmp_lt_u32_e64 s18, v34, v94
	s_and_saveexec_b32 s20, s18
	s_cbranch_execnz .LBB946_153
.LBB946_117:                            ;   in Loop: Header=BB946_72 Depth=2
	s_wait_alu 0xfffe
	s_or_b32 exec_lo, exec_lo, s20
	v_cmp_lt_u32_e64 s19, v35, v94
	s_and_saveexec_b32 s21, s19
	s_cbranch_execnz .LBB946_154
.LBB946_118:                            ;   in Loop: Header=BB946_72 Depth=2
	s_wait_alu 0xfffe
	s_or_b32 exec_lo, exec_lo, s21
	v_cmp_lt_u32_e64 s20, v36, v94
	s_and_saveexec_b32 s22, s20
	s_cbranch_execnz .LBB946_155
.LBB946_119:                            ;   in Loop: Header=BB946_72 Depth=2
	s_wait_alu 0xfffe
	s_or_b32 exec_lo, exec_lo, s22
	v_cmp_lt_u32_e64 s21, v37, v94
	s_and_saveexec_b32 s48, s21
	s_cbranch_execz .LBB946_121
.LBB946_120:                            ;   in Loop: Header=BB946_72 Depth=2
	ds_load_u16 v96, v48 offset:4608
	s_wait_dscnt 0x0
	v_and_b32_e32 v0, 0xffff, v96
	s_delay_alu instid0(VALU_DEP_1) | instskip(NEXT) | instid1(VALU_DEP_1)
	v_lshrrev_b32_e32 v0, s23, v0
	v_and_b32_e32 v0, s42, v0
	s_delay_alu instid0(VALU_DEP_1) | instskip(SKIP_3) | instid1(VALU_DEP_1)
	v_lshlrev_b32_e32 v0, 2, v0
	ds_load_b32 v0, v0
	s_wait_dscnt 0x0
	v_add_nc_u32_e32 v0, v0, v37
	v_lshlrev_b64_e32 v[5:6], 1, v[0:1]
	v_xor_b32_e32 v0, 0x7fff, v96
	s_delay_alu instid0(VALU_DEP_2) | instskip(SKIP_1) | instid1(VALU_DEP_3)
	v_add_co_u32 v5, s22, s38, v5
	s_wait_alu 0xf1ff
	v_add_co_ci_u32_e64 v6, null, s39, v6, s22
	global_store_b16 v[5:6], v0, off
.LBB946_121:                            ;   in Loop: Header=BB946_72 Depth=2
	s_wait_alu 0xfffe
	s_or_b32 exec_lo, exec_lo, s48
	s_lshl_b64 s[48:49], s[30:31], 3
	s_wait_alu 0xfffe
	v_add_co_u32 v5, s22, v80, s48
	s_wait_alu 0xf1ff
	v_add_co_ci_u32_e64 v6, null, s49, v81, s22
	v_cmp_lt_u32_e64 s22, v67, v94
	s_and_saveexec_b32 s30, s22
	s_wait_alu 0xfffe
	s_xor_b32 s22, exec_lo, s30
	s_cbranch_execnz .LBB946_156
; %bb.122:                              ;   in Loop: Header=BB946_72 Depth=2
	s_wait_alu 0xfffe
	s_or_b32 exec_lo, exec_lo, s22
	s_delay_alu instid0(SALU_CYCLE_1)
	s_mov_b32 s30, exec_lo
	v_cmpx_lt_u32_e64 v71, v94
	s_cbranch_execnz .LBB946_157
.LBB946_123:                            ;   in Loop: Header=BB946_72 Depth=2
	s_wait_alu 0xfffe
	s_or_b32 exec_lo, exec_lo, s30
	s_delay_alu instid0(SALU_CYCLE_1)
	s_mov_b32 s30, exec_lo
	v_cmpx_lt_u32_e64 v72, v94
	s_cbranch_execnz .LBB946_158
.LBB946_124:                            ;   in Loop: Header=BB946_72 Depth=2
	s_wait_alu 0xfffe
	s_or_b32 exec_lo, exec_lo, s30
	s_delay_alu instid0(SALU_CYCLE_1)
	s_mov_b32 s30, exec_lo
	v_cmpx_lt_u32_e64 v73, v94
	s_cbranch_execnz .LBB946_159
.LBB946_125:                            ;   in Loop: Header=BB946_72 Depth=2
	s_wait_alu 0xfffe
	s_or_b32 exec_lo, exec_lo, s30
	s_delay_alu instid0(SALU_CYCLE_1)
	s_mov_b32 s30, exec_lo
	v_cmpx_lt_u32_e64 v74, v94
	s_cbranch_execnz .LBB946_160
.LBB946_126:                            ;   in Loop: Header=BB946_72 Depth=2
	s_wait_alu 0xfffe
	s_or_b32 exec_lo, exec_lo, s30
	s_delay_alu instid0(SALU_CYCLE_1)
	s_mov_b32 s30, exec_lo
	v_cmpx_lt_u32_e64 v75, v94
	s_cbranch_execnz .LBB946_161
.LBB946_127:                            ;   in Loop: Header=BB946_72 Depth=2
	s_wait_alu 0xfffe
	s_or_b32 exec_lo, exec_lo, s30
	s_delay_alu instid0(SALU_CYCLE_1)
	s_mov_b32 s30, exec_lo
	v_cmpx_lt_u32_e64 v76, v94
	s_cbranch_execnz .LBB946_162
.LBB946_128:                            ;   in Loop: Header=BB946_72 Depth=2
	s_wait_alu 0xfffe
	s_or_b32 exec_lo, exec_lo, s30
	s_delay_alu instid0(SALU_CYCLE_1)
	s_mov_b32 s30, exec_lo
	v_cmpx_lt_u32_e64 v77, v94
	s_cbranch_execnz .LBB946_163
.LBB946_129:                            ;   in Loop: Header=BB946_72 Depth=2
	s_wait_alu 0xfffe
	s_or_b32 exec_lo, exec_lo, s30
	s_and_saveexec_b32 s22, vcc_lo
	s_cbranch_execnz .LBB946_164
.LBB946_130:                            ;   in Loop: Header=BB946_72 Depth=2
	s_wait_alu 0xfffe
	s_or_b32 exec_lo, exec_lo, s22
	s_and_saveexec_b32 s22, s15
	s_cbranch_execnz .LBB946_165
.LBB946_131:                            ;   in Loop: Header=BB946_72 Depth=2
	s_wait_alu 0xfffe
	s_or_b32 exec_lo, exec_lo, s22
	s_and_saveexec_b32 s22, s16
	s_cbranch_execnz .LBB946_166
.LBB946_132:                            ;   in Loop: Header=BB946_72 Depth=2
	s_wait_alu 0xfffe
	s_or_b32 exec_lo, exec_lo, s22
	s_and_saveexec_b32 s22, s17
	s_cbranch_execnz .LBB946_167
.LBB946_133:                            ;   in Loop: Header=BB946_72 Depth=2
	s_wait_alu 0xfffe
	s_or_b32 exec_lo, exec_lo, s22
	s_and_saveexec_b32 s22, s18
	s_cbranch_execnz .LBB946_168
.LBB946_134:                            ;   in Loop: Header=BB946_72 Depth=2
	s_wait_alu 0xfffe
	s_or_b32 exec_lo, exec_lo, s22
	s_and_saveexec_b32 s22, s19
	s_cbranch_execnz .LBB946_169
.LBB946_135:                            ;   in Loop: Header=BB946_72 Depth=2
	s_wait_alu 0xfffe
	s_or_b32 exec_lo, exec_lo, s22
	s_and_saveexec_b32 s22, s20
	s_cbranch_execnz .LBB946_170
.LBB946_136:                            ;   in Loop: Header=BB946_72 Depth=2
	s_wait_alu 0xfffe
	s_or_b32 exec_lo, exec_lo, s22
	s_and_saveexec_b32 s22, s21
	s_cbranch_execz .LBB946_138
.LBB946_137:                            ;   in Loop: Header=BB946_72 Depth=2
	ds_load_u16 v0, v48 offset:4608
	s_wait_dscnt 0x0
	v_lshrrev_b32_e32 v0, s23, v0
	s_delay_alu instid0(VALU_DEP_1)
	v_and_b32_e32 v86, s42, v0
.LBB946_138:                            ;   in Loop: Header=BB946_72 Depth=2
	s_wait_alu 0xfffe
	s_or_b32 exec_lo, exec_lo, s22
	v_lshlrev_b32_e32 v0, 3, v98
	v_lshlrev_b32_e32 v5, 3, v97
	v_lshlrev_b32_e32 v6, 3, v95
	s_wait_loadcnt 0x0
	s_wait_storecnt 0x0
	s_barrier_signal -1
	s_barrier_wait -1
	global_inv scope:SCOPE_SE
	ds_store_b64 v0, v[22:23] offset:1024
	ds_store_b64 v5, v[20:21] offset:1024
	;; [unrolled: 1-line block ×3, first 2 shown]
	v_lshlrev_b32_e32 v0, 3, v25
	v_lshlrev_b32_e32 v5, 3, v24
	;; [unrolled: 1-line block ×5, first 2 shown]
	ds_store_b64 v0, v[16:17] offset:1024
	ds_store_b64 v5, v[14:15] offset:1024
	;; [unrolled: 1-line block ×5, first 2 shown]
	s_wait_loadcnt_dscnt 0x0
	s_barrier_signal -1
	s_barrier_wait -1
	global_inv scope:SCOPE_SE
	s_and_saveexec_b32 s22, vcc_lo
	s_cbranch_execnz .LBB946_171
; %bb.139:                              ;   in Loop: Header=BB946_72 Depth=2
	s_wait_alu 0xfffe
	s_or_b32 exec_lo, exec_lo, s22
	s_and_saveexec_b32 s22, s15
	s_cbranch_execnz .LBB946_172
.LBB946_140:                            ;   in Loop: Header=BB946_72 Depth=2
	s_wait_alu 0xfffe
	s_or_b32 exec_lo, exec_lo, s22
	s_and_saveexec_b32 s15, s16
	s_cbranch_execnz .LBB946_173
.LBB946_141:                            ;   in Loop: Header=BB946_72 Depth=2
	s_wait_alu 0xfffe
	s_or_b32 exec_lo, exec_lo, s15
	s_and_saveexec_b32 s15, s17
	s_cbranch_execnz .LBB946_174
.LBB946_142:                            ;   in Loop: Header=BB946_72 Depth=2
	s_wait_alu 0xfffe
	s_or_b32 exec_lo, exec_lo, s15
	s_and_saveexec_b32 s15, s18
	s_cbranch_execnz .LBB946_175
.LBB946_143:                            ;   in Loop: Header=BB946_72 Depth=2
	s_wait_alu 0xfffe
	s_or_b32 exec_lo, exec_lo, s15
	s_and_saveexec_b32 s15, s19
	s_cbranch_execnz .LBB946_176
.LBB946_144:                            ;   in Loop: Header=BB946_72 Depth=2
	s_wait_alu 0xfffe
	s_or_b32 exec_lo, exec_lo, s15
	s_and_saveexec_b32 s15, s20
	s_cbranch_execnz .LBB946_177
.LBB946_145:                            ;   in Loop: Header=BB946_72 Depth=2
	s_wait_alu 0xfffe
	s_or_b32 exec_lo, exec_lo, s15
	s_and_saveexec_b32 s15, s21
	s_cbranch_execz .LBB946_147
.LBB946_146:                            ;   in Loop: Header=BB946_72 Depth=2
	v_lshlrev_b32_e32 v0, 2, v86
	v_add_nc_u32_e32 v5, v48, v49
	ds_load_b32 v0, v0
	ds_load_b64 v[5:6], v5 offset:15360
	s_wait_dscnt 0x1
	v_add_nc_u32_e32 v0, v0, v37
	s_delay_alu instid0(VALU_DEP_1) | instskip(NEXT) | instid1(VALU_DEP_1)
	v_lshlrev_b64_e32 v[24:25], 3, v[0:1]
	v_add_co_u32 v24, vcc_lo, s24, v24
	s_wait_alu 0xfffd
	s_delay_alu instid0(VALU_DEP_2)
	v_add_co_ci_u32_e64 v25, null, s25, v25, vcc_lo
	s_wait_dscnt 0x0
	global_store_b64 v[24:25], v[5:6], off
.LBB946_147:                            ;   in Loop: Header=BB946_72 Depth=2
	s_wait_alu 0xfffe
	s_or_b32 exec_lo, exec_lo, s15
	s_wait_loadcnt 0x0
	s_wait_storecnt 0x0
	s_barrier_signal -1
	s_barrier_wait -1
	global_inv scope:SCOPE_SE
	s_and_saveexec_b32 s15, s2
	s_cbranch_execz .LBB946_71
; %bb.148:                              ;   in Loop: Header=BB946_72 Depth=2
	ds_load_b32 v0, v28
	s_wait_dscnt 0x0
	v_add_nc_u32_e32 v0, v0, v7
	ds_store_b32 v28, v0
	s_branch .LBB946_71
.LBB946_149:                            ;   in Loop: Header=BB946_72 Depth=2
	ds_load_u16 v96, v48 offset:1024
	s_wait_dscnt 0x0
	v_and_b32_e32 v0, 0xffff, v96
	s_delay_alu instid0(VALU_DEP_1) | instskip(NEXT) | instid1(VALU_DEP_1)
	v_lshrrev_b32_e32 v0, s23, v0
	v_and_b32_e32 v0, s42, v0
	s_delay_alu instid0(VALU_DEP_1) | instskip(SKIP_3) | instid1(VALU_DEP_1)
	v_lshlrev_b32_e32 v0, 2, v0
	ds_load_b32 v0, v0
	s_wait_dscnt 0x0
	v_add_nc_u32_e32 v0, v0, v13
	v_lshlrev_b64_e32 v[5:6], 1, v[0:1]
	v_xor_b32_e32 v0, 0x7fff, v96
	s_delay_alu instid0(VALU_DEP_2) | instskip(SKIP_1) | instid1(VALU_DEP_3)
	v_add_co_u32 v5, s15, s38, v5
	s_wait_alu 0xf1ff
	v_add_co_ci_u32_e64 v6, null, s39, v6, s15
	global_store_b16 v[5:6], v0, off
	s_wait_alu 0xfffe
	s_or_b32 exec_lo, exec_lo, s16
	v_cmp_lt_u32_e64 s15, v29, v94
	s_and_saveexec_b32 s17, s15
	s_cbranch_execz .LBB946_114
.LBB946_150:                            ;   in Loop: Header=BB946_72 Depth=2
	ds_load_u16 v96, v48 offset:1536
	s_wait_dscnt 0x0
	v_and_b32_e32 v0, 0xffff, v96
	s_delay_alu instid0(VALU_DEP_1) | instskip(NEXT) | instid1(VALU_DEP_1)
	v_lshrrev_b32_e32 v0, s23, v0
	v_and_b32_e32 v0, s42, v0
	s_delay_alu instid0(VALU_DEP_1) | instskip(SKIP_3) | instid1(VALU_DEP_1)
	v_lshlrev_b32_e32 v0, 2, v0
	ds_load_b32 v0, v0
	s_wait_dscnt 0x0
	v_add_nc_u32_e32 v0, v0, v29
	v_lshlrev_b64_e32 v[5:6], 1, v[0:1]
	v_xor_b32_e32 v0, 0x7fff, v96
	s_delay_alu instid0(VALU_DEP_2) | instskip(SKIP_1) | instid1(VALU_DEP_3)
	v_add_co_u32 v5, s16, s38, v5
	s_wait_alu 0xf1ff
	v_add_co_ci_u32_e64 v6, null, s39, v6, s16
	global_store_b16 v[5:6], v0, off
	s_wait_alu 0xfffe
	s_or_b32 exec_lo, exec_lo, s17
	v_cmp_lt_u32_e64 s16, v30, v94
	s_and_saveexec_b32 s18, s16
	s_cbranch_execz .LBB946_115
.LBB946_151:                            ;   in Loop: Header=BB946_72 Depth=2
	ds_load_u16 v96, v48 offset:2048
	s_wait_dscnt 0x0
	v_and_b32_e32 v0, 0xffff, v96
	s_delay_alu instid0(VALU_DEP_1) | instskip(NEXT) | instid1(VALU_DEP_1)
	v_lshrrev_b32_e32 v0, s23, v0
	v_and_b32_e32 v0, s42, v0
	s_delay_alu instid0(VALU_DEP_1) | instskip(SKIP_3) | instid1(VALU_DEP_1)
	v_lshlrev_b32_e32 v0, 2, v0
	ds_load_b32 v0, v0
	s_wait_dscnt 0x0
	v_add_nc_u32_e32 v0, v0, v30
	v_lshlrev_b64_e32 v[5:6], 1, v[0:1]
	v_xor_b32_e32 v0, 0x7fff, v96
	s_delay_alu instid0(VALU_DEP_2) | instskip(SKIP_1) | instid1(VALU_DEP_3)
	v_add_co_u32 v5, s17, s38, v5
	s_wait_alu 0xf1ff
	v_add_co_ci_u32_e64 v6, null, s39, v6, s17
	global_store_b16 v[5:6], v0, off
	s_wait_alu 0xfffe
	s_or_b32 exec_lo, exec_lo, s18
	v_cmp_lt_u32_e64 s17, v31, v94
	s_and_saveexec_b32 s19, s17
	s_cbranch_execz .LBB946_116
.LBB946_152:                            ;   in Loop: Header=BB946_72 Depth=2
	ds_load_u16 v96, v48 offset:2560
	s_wait_dscnt 0x0
	v_and_b32_e32 v0, 0xffff, v96
	s_delay_alu instid0(VALU_DEP_1) | instskip(NEXT) | instid1(VALU_DEP_1)
	v_lshrrev_b32_e32 v0, s23, v0
	v_and_b32_e32 v0, s42, v0
	s_delay_alu instid0(VALU_DEP_1) | instskip(SKIP_3) | instid1(VALU_DEP_1)
	v_lshlrev_b32_e32 v0, 2, v0
	ds_load_b32 v0, v0
	s_wait_dscnt 0x0
	v_add_nc_u32_e32 v0, v0, v31
	v_lshlrev_b64_e32 v[5:6], 1, v[0:1]
	v_xor_b32_e32 v0, 0x7fff, v96
	s_delay_alu instid0(VALU_DEP_2) | instskip(SKIP_1) | instid1(VALU_DEP_3)
	v_add_co_u32 v5, s18, s38, v5
	s_wait_alu 0xf1ff
	v_add_co_ci_u32_e64 v6, null, s39, v6, s18
	global_store_b16 v[5:6], v0, off
	s_wait_alu 0xfffe
	s_or_b32 exec_lo, exec_lo, s19
	v_cmp_lt_u32_e64 s18, v34, v94
	s_and_saveexec_b32 s20, s18
	s_cbranch_execz .LBB946_117
.LBB946_153:                            ;   in Loop: Header=BB946_72 Depth=2
	ds_load_u16 v96, v48 offset:3072
	s_wait_dscnt 0x0
	v_and_b32_e32 v0, 0xffff, v96
	s_delay_alu instid0(VALU_DEP_1) | instskip(NEXT) | instid1(VALU_DEP_1)
	v_lshrrev_b32_e32 v0, s23, v0
	v_and_b32_e32 v0, s42, v0
	s_delay_alu instid0(VALU_DEP_1) | instskip(SKIP_3) | instid1(VALU_DEP_1)
	v_lshlrev_b32_e32 v0, 2, v0
	ds_load_b32 v0, v0
	s_wait_dscnt 0x0
	v_add_nc_u32_e32 v0, v0, v34
	v_lshlrev_b64_e32 v[5:6], 1, v[0:1]
	v_xor_b32_e32 v0, 0x7fff, v96
	s_delay_alu instid0(VALU_DEP_2) | instskip(SKIP_1) | instid1(VALU_DEP_3)
	v_add_co_u32 v5, s19, s38, v5
	s_wait_alu 0xf1ff
	v_add_co_ci_u32_e64 v6, null, s39, v6, s19
	global_store_b16 v[5:6], v0, off
	s_wait_alu 0xfffe
	s_or_b32 exec_lo, exec_lo, s20
	v_cmp_lt_u32_e64 s19, v35, v94
	s_and_saveexec_b32 s21, s19
	s_cbranch_execz .LBB946_118
.LBB946_154:                            ;   in Loop: Header=BB946_72 Depth=2
	ds_load_u16 v96, v48 offset:3584
	s_wait_dscnt 0x0
	v_and_b32_e32 v0, 0xffff, v96
	s_delay_alu instid0(VALU_DEP_1) | instskip(NEXT) | instid1(VALU_DEP_1)
	v_lshrrev_b32_e32 v0, s23, v0
	v_and_b32_e32 v0, s42, v0
	s_delay_alu instid0(VALU_DEP_1) | instskip(SKIP_3) | instid1(VALU_DEP_1)
	v_lshlrev_b32_e32 v0, 2, v0
	ds_load_b32 v0, v0
	s_wait_dscnt 0x0
	v_add_nc_u32_e32 v0, v0, v35
	v_lshlrev_b64_e32 v[5:6], 1, v[0:1]
	v_xor_b32_e32 v0, 0x7fff, v96
	s_delay_alu instid0(VALU_DEP_2) | instskip(SKIP_1) | instid1(VALU_DEP_3)
	v_add_co_u32 v5, s20, s38, v5
	s_wait_alu 0xf1ff
	v_add_co_ci_u32_e64 v6, null, s39, v6, s20
	global_store_b16 v[5:6], v0, off
	s_wait_alu 0xfffe
	s_or_b32 exec_lo, exec_lo, s21
	v_cmp_lt_u32_e64 s20, v36, v94
	s_and_saveexec_b32 s22, s20
	s_cbranch_execz .LBB946_119
.LBB946_155:                            ;   in Loop: Header=BB946_72 Depth=2
	ds_load_u16 v96, v48 offset:4096
	s_wait_dscnt 0x0
	v_and_b32_e32 v0, 0xffff, v96
	s_delay_alu instid0(VALU_DEP_1) | instskip(NEXT) | instid1(VALU_DEP_1)
	v_lshrrev_b32_e32 v0, s23, v0
	v_and_b32_e32 v0, s42, v0
	s_delay_alu instid0(VALU_DEP_1) | instskip(SKIP_3) | instid1(VALU_DEP_1)
	v_lshlrev_b32_e32 v0, 2, v0
	ds_load_b32 v0, v0
	s_wait_dscnt 0x0
	v_add_nc_u32_e32 v0, v0, v36
	v_lshlrev_b64_e32 v[5:6], 1, v[0:1]
	v_xor_b32_e32 v0, 0x7fff, v96
	s_delay_alu instid0(VALU_DEP_2) | instskip(SKIP_1) | instid1(VALU_DEP_3)
	v_add_co_u32 v5, s21, s38, v5
	s_wait_alu 0xf1ff
	v_add_co_ci_u32_e64 v6, null, s39, v6, s21
	global_store_b16 v[5:6], v0, off
	s_wait_alu 0xfffe
	s_or_b32 exec_lo, exec_lo, s22
	v_cmp_lt_u32_e64 s21, v37, v94
	s_and_saveexec_b32 s48, s21
	s_cbranch_execnz .LBB946_120
	s_branch .LBB946_121
.LBB946_156:                            ;   in Loop: Header=BB946_72 Depth=2
	global_load_b64 v[22:23], v[5:6], off
	s_wait_alu 0xfffe
	s_or_b32 exec_lo, exec_lo, s22
	s_delay_alu instid0(SALU_CYCLE_1)
	s_mov_b32 s30, exec_lo
	v_cmpx_lt_u32_e64 v71, v94
	s_cbranch_execz .LBB946_123
.LBB946_157:                            ;   in Loop: Header=BB946_72 Depth=2
	global_load_b64 v[20:21], v[5:6], off offset:256
	s_wait_alu 0xfffe
	s_or_b32 exec_lo, exec_lo, s30
	s_delay_alu instid0(SALU_CYCLE_1)
	s_mov_b32 s30, exec_lo
	v_cmpx_lt_u32_e64 v72, v94
	s_cbranch_execz .LBB946_124
.LBB946_158:                            ;   in Loop: Header=BB946_72 Depth=2
	global_load_b64 v[18:19], v[5:6], off offset:512
	s_wait_alu 0xfffe
	s_or_b32 exec_lo, exec_lo, s30
	s_delay_alu instid0(SALU_CYCLE_1)
	s_mov_b32 s30, exec_lo
	v_cmpx_lt_u32_e64 v73, v94
	s_cbranch_execz .LBB946_125
.LBB946_159:                            ;   in Loop: Header=BB946_72 Depth=2
	global_load_b64 v[16:17], v[5:6], off offset:768
	s_wait_alu 0xfffe
	s_or_b32 exec_lo, exec_lo, s30
	s_delay_alu instid0(SALU_CYCLE_1)
	s_mov_b32 s30, exec_lo
	v_cmpx_lt_u32_e64 v74, v94
	s_cbranch_execz .LBB946_126
.LBB946_160:                            ;   in Loop: Header=BB946_72 Depth=2
	global_load_b64 v[14:15], v[5:6], off offset:1024
	s_wait_alu 0xfffe
	s_or_b32 exec_lo, exec_lo, s30
	s_delay_alu instid0(SALU_CYCLE_1)
	s_mov_b32 s30, exec_lo
	v_cmpx_lt_u32_e64 v75, v94
	s_cbranch_execz .LBB946_127
.LBB946_161:                            ;   in Loop: Header=BB946_72 Depth=2
	global_load_b64 v[11:12], v[5:6], off offset:1280
	s_wait_alu 0xfffe
	s_or_b32 exec_lo, exec_lo, s30
	s_delay_alu instid0(SALU_CYCLE_1)
	s_mov_b32 s30, exec_lo
	v_cmpx_lt_u32_e64 v76, v94
	s_cbranch_execz .LBB946_128
.LBB946_162:                            ;   in Loop: Header=BB946_72 Depth=2
	global_load_b64 v[9:10], v[5:6], off offset:1536
	s_wait_alu 0xfffe
	s_or_b32 exec_lo, exec_lo, s30
	s_delay_alu instid0(SALU_CYCLE_1)
	s_mov_b32 s30, exec_lo
	v_cmpx_lt_u32_e64 v77, v94
	s_cbranch_execz .LBB946_129
.LBB946_163:                            ;   in Loop: Header=BB946_72 Depth=2
	global_load_b64 v[2:3], v[5:6], off offset:1792
	s_wait_alu 0xfffe
	s_or_b32 exec_lo, exec_lo, s30
	s_and_saveexec_b32 s22, vcc_lo
	s_cbranch_execz .LBB946_130
.LBB946_164:                            ;   in Loop: Header=BB946_72 Depth=2
	ds_load_u16 v0, v48 offset:1024
	s_wait_dscnt 0x0
	v_lshrrev_b32_e32 v0, s23, v0
	s_delay_alu instid0(VALU_DEP_1)
	v_and_b32_e32 v93, s42, v0
	s_wait_alu 0xfffe
	s_or_b32 exec_lo, exec_lo, s22
	s_and_saveexec_b32 s22, s15
	s_cbranch_execz .LBB946_131
.LBB946_165:                            ;   in Loop: Header=BB946_72 Depth=2
	ds_load_u16 v0, v48 offset:1536
	s_wait_dscnt 0x0
	v_lshrrev_b32_e32 v0, s23, v0
	s_delay_alu instid0(VALU_DEP_1)
	v_and_b32_e32 v92, s42, v0
	s_wait_alu 0xfffe
	s_or_b32 exec_lo, exec_lo, s22
	s_and_saveexec_b32 s22, s16
	s_cbranch_execz .LBB946_132
.LBB946_166:                            ;   in Loop: Header=BB946_72 Depth=2
	ds_load_u16 v0, v48 offset:2048
	s_wait_dscnt 0x0
	v_lshrrev_b32_e32 v0, s23, v0
	s_delay_alu instid0(VALU_DEP_1)
	v_and_b32_e32 v91, s42, v0
	s_wait_alu 0xfffe
	s_or_b32 exec_lo, exec_lo, s22
	s_and_saveexec_b32 s22, s17
	s_cbranch_execz .LBB946_133
.LBB946_167:                            ;   in Loop: Header=BB946_72 Depth=2
	ds_load_u16 v0, v48 offset:2560
	s_wait_dscnt 0x0
	v_lshrrev_b32_e32 v0, s23, v0
	s_delay_alu instid0(VALU_DEP_1)
	v_and_b32_e32 v90, s42, v0
	s_wait_alu 0xfffe
	s_or_b32 exec_lo, exec_lo, s22
	s_and_saveexec_b32 s22, s18
	s_cbranch_execz .LBB946_134
.LBB946_168:                            ;   in Loop: Header=BB946_72 Depth=2
	ds_load_u16 v0, v48 offset:3072
	s_wait_dscnt 0x0
	v_lshrrev_b32_e32 v0, s23, v0
	s_delay_alu instid0(VALU_DEP_1)
	v_and_b32_e32 v89, s42, v0
	s_wait_alu 0xfffe
	s_or_b32 exec_lo, exec_lo, s22
	s_and_saveexec_b32 s22, s19
	s_cbranch_execz .LBB946_135
.LBB946_169:                            ;   in Loop: Header=BB946_72 Depth=2
	ds_load_u16 v0, v48 offset:3584
	s_wait_dscnt 0x0
	v_lshrrev_b32_e32 v0, s23, v0
	s_delay_alu instid0(VALU_DEP_1)
	v_and_b32_e32 v88, s42, v0
	s_wait_alu 0xfffe
	s_or_b32 exec_lo, exec_lo, s22
	s_and_saveexec_b32 s22, s20
	s_cbranch_execz .LBB946_136
.LBB946_170:                            ;   in Loop: Header=BB946_72 Depth=2
	ds_load_u16 v0, v48 offset:4096
	s_wait_dscnt 0x0
	v_lshrrev_b32_e32 v0, s23, v0
	s_delay_alu instid0(VALU_DEP_1)
	v_and_b32_e32 v87, s42, v0
	s_wait_alu 0xfffe
	s_or_b32 exec_lo, exec_lo, s22
	s_and_saveexec_b32 s22, s21
	s_cbranch_execnz .LBB946_137
	s_branch .LBB946_138
.LBB946_171:                            ;   in Loop: Header=BB946_72 Depth=2
	v_lshlrev_b32_e32 v0, 2, v93
	v_add_nc_u32_e32 v5, v48, v49
	ds_load_b32 v0, v0
	ds_load_b64 v[5:6], v5 offset:1024
	s_wait_dscnt 0x1
	v_add_nc_u32_e32 v0, v0, v13
	s_delay_alu instid0(VALU_DEP_1) | instskip(NEXT) | instid1(VALU_DEP_1)
	v_lshlrev_b64_e32 v[24:25], 3, v[0:1]
	v_add_co_u32 v24, vcc_lo, s24, v24
	s_wait_alu 0xfffd
	s_delay_alu instid0(VALU_DEP_2)
	v_add_co_ci_u32_e64 v25, null, s25, v25, vcc_lo
	s_wait_dscnt 0x0
	global_store_b64 v[24:25], v[5:6], off
	s_wait_alu 0xfffe
	s_or_b32 exec_lo, exec_lo, s22
	s_and_saveexec_b32 s22, s15
	s_cbranch_execz .LBB946_140
.LBB946_172:                            ;   in Loop: Header=BB946_72 Depth=2
	v_lshlrev_b32_e32 v0, 2, v92
	v_add_nc_u32_e32 v5, v48, v49
	ds_load_b32 v0, v0
	ds_load_b64 v[5:6], v5 offset:3072
	s_wait_dscnt 0x1
	v_add_nc_u32_e32 v0, v0, v29
	s_delay_alu instid0(VALU_DEP_1) | instskip(NEXT) | instid1(VALU_DEP_1)
	v_lshlrev_b64_e32 v[24:25], 3, v[0:1]
	v_add_co_u32 v24, vcc_lo, s24, v24
	s_wait_alu 0xfffd
	s_delay_alu instid0(VALU_DEP_2)
	v_add_co_ci_u32_e64 v25, null, s25, v25, vcc_lo
	s_wait_dscnt 0x0
	global_store_b64 v[24:25], v[5:6], off
	s_wait_alu 0xfffe
	s_or_b32 exec_lo, exec_lo, s22
	s_and_saveexec_b32 s15, s16
	s_cbranch_execz .LBB946_141
.LBB946_173:                            ;   in Loop: Header=BB946_72 Depth=2
	v_lshlrev_b32_e32 v0, 2, v91
	v_add_nc_u32_e32 v5, v48, v49
	ds_load_b32 v0, v0
	ds_load_b64 v[5:6], v5 offset:5120
	s_wait_dscnt 0x1
	v_add_nc_u32_e32 v0, v0, v30
	s_delay_alu instid0(VALU_DEP_1) | instskip(NEXT) | instid1(VALU_DEP_1)
	v_lshlrev_b64_e32 v[24:25], 3, v[0:1]
	v_add_co_u32 v24, vcc_lo, s24, v24
	s_wait_alu 0xfffd
	s_delay_alu instid0(VALU_DEP_2)
	v_add_co_ci_u32_e64 v25, null, s25, v25, vcc_lo
	s_wait_dscnt 0x0
	global_store_b64 v[24:25], v[5:6], off
	s_wait_alu 0xfffe
	s_or_b32 exec_lo, exec_lo, s15
	s_and_saveexec_b32 s15, s17
	s_cbranch_execz .LBB946_142
.LBB946_174:                            ;   in Loop: Header=BB946_72 Depth=2
	v_lshlrev_b32_e32 v0, 2, v90
	v_add_nc_u32_e32 v5, v48, v49
	ds_load_b32 v0, v0
	ds_load_b64 v[5:6], v5 offset:7168
	s_wait_dscnt 0x1
	v_add_nc_u32_e32 v0, v0, v31
	s_delay_alu instid0(VALU_DEP_1) | instskip(NEXT) | instid1(VALU_DEP_1)
	v_lshlrev_b64_e32 v[24:25], 3, v[0:1]
	v_add_co_u32 v24, vcc_lo, s24, v24
	s_wait_alu 0xfffd
	s_delay_alu instid0(VALU_DEP_2)
	v_add_co_ci_u32_e64 v25, null, s25, v25, vcc_lo
	s_wait_dscnt 0x0
	global_store_b64 v[24:25], v[5:6], off
	s_wait_alu 0xfffe
	s_or_b32 exec_lo, exec_lo, s15
	s_and_saveexec_b32 s15, s18
	s_cbranch_execz .LBB946_143
.LBB946_175:                            ;   in Loop: Header=BB946_72 Depth=2
	v_lshlrev_b32_e32 v0, 2, v89
	v_add_nc_u32_e32 v5, v48, v49
	ds_load_b32 v0, v0
	ds_load_b64 v[5:6], v5 offset:9216
	s_wait_dscnt 0x1
	v_add_nc_u32_e32 v0, v0, v34
	s_delay_alu instid0(VALU_DEP_1) | instskip(NEXT) | instid1(VALU_DEP_1)
	v_lshlrev_b64_e32 v[24:25], 3, v[0:1]
	v_add_co_u32 v24, vcc_lo, s24, v24
	s_wait_alu 0xfffd
	s_delay_alu instid0(VALU_DEP_2)
	v_add_co_ci_u32_e64 v25, null, s25, v25, vcc_lo
	s_wait_dscnt 0x0
	global_store_b64 v[24:25], v[5:6], off
	s_wait_alu 0xfffe
	s_or_b32 exec_lo, exec_lo, s15
	s_and_saveexec_b32 s15, s19
	s_cbranch_execz .LBB946_144
.LBB946_176:                            ;   in Loop: Header=BB946_72 Depth=2
	v_lshlrev_b32_e32 v0, 2, v88
	v_add_nc_u32_e32 v5, v48, v49
	ds_load_b32 v0, v0
	ds_load_b64 v[5:6], v5 offset:11264
	s_wait_dscnt 0x1
	v_add_nc_u32_e32 v0, v0, v35
	s_delay_alu instid0(VALU_DEP_1) | instskip(NEXT) | instid1(VALU_DEP_1)
	v_lshlrev_b64_e32 v[24:25], 3, v[0:1]
	v_add_co_u32 v24, vcc_lo, s24, v24
	s_wait_alu 0xfffd
	s_delay_alu instid0(VALU_DEP_2)
	v_add_co_ci_u32_e64 v25, null, s25, v25, vcc_lo
	s_wait_dscnt 0x0
	global_store_b64 v[24:25], v[5:6], off
	s_wait_alu 0xfffe
	s_or_b32 exec_lo, exec_lo, s15
	s_and_saveexec_b32 s15, s20
	s_cbranch_execz .LBB946_145
.LBB946_177:                            ;   in Loop: Header=BB946_72 Depth=2
	v_lshlrev_b32_e32 v0, 2, v87
	v_add_nc_u32_e32 v5, v48, v49
	ds_load_b32 v0, v0
	ds_load_b64 v[5:6], v5 offset:13312
	s_wait_dscnt 0x1
	v_add_nc_u32_e32 v0, v0, v36
	s_delay_alu instid0(VALU_DEP_1) | instskip(NEXT) | instid1(VALU_DEP_1)
	v_lshlrev_b64_e32 v[24:25], 3, v[0:1]
	v_add_co_u32 v24, vcc_lo, s24, v24
	s_wait_alu 0xfffd
	s_delay_alu instid0(VALU_DEP_2)
	v_add_co_ci_u32_e64 v25, null, s25, v25, vcc_lo
	s_wait_dscnt 0x0
	global_store_b64 v[24:25], v[5:6], off
	s_wait_alu 0xfffe
	s_or_b32 exec_lo, exec_lo, s15
	s_and_saveexec_b32 s15, s21
	s_cbranch_execnz .LBB946_146
	s_branch .LBB946_147
.LBB946_178:                            ;   in Loop: Header=BB946_72 Depth=2
	v_bfrev_b32_e32 v5, 1
	v_dual_mov_b32 v6, v4 :: v_dual_mov_b32 v7, v4
	v_mov_b32_e32 v8, v4
	global_load_d16_b16 v5, v[24:25], off
	s_wait_alu 0xfffe
	s_or_b32 exec_lo, exec_lo, s15
	s_delay_alu instid0(SALU_CYCLE_1)
	s_mov_b32 s15, exec_lo
	v_cmpx_gt_u32_e64 s43, v71
	s_cbranch_execz .LBB946_77
.LBB946_179:                            ;   in Loop: Header=BB946_72 Depth=2
	s_wait_loadcnt 0x0
	global_load_d16_hi_b16 v5, v[24:25], off offset:64
	s_wait_alu 0xfffe
	s_or_b32 exec_lo, exec_lo, s15
	s_delay_alu instid0(SALU_CYCLE_1)
	s_mov_b32 s15, exec_lo
	v_cmpx_gt_u32_e64 s43, v72
	s_cbranch_execz .LBB946_78
.LBB946_180:                            ;   in Loop: Header=BB946_72 Depth=2
	global_load_d16_b16 v6, v[24:25], off offset:128
	s_wait_alu 0xfffe
	s_or_b32 exec_lo, exec_lo, s15
	s_delay_alu instid0(SALU_CYCLE_1)
	s_mov_b32 s15, exec_lo
	v_cmpx_gt_u32_e64 s43, v73
	s_cbranch_execz .LBB946_79
.LBB946_181:                            ;   in Loop: Header=BB946_72 Depth=2
	s_wait_loadcnt 0x0
	global_load_d16_hi_b16 v6, v[24:25], off offset:192
	s_wait_alu 0xfffe
	s_or_b32 exec_lo, exec_lo, s15
	s_delay_alu instid0(SALU_CYCLE_1)
	s_mov_b32 s15, exec_lo
	v_cmpx_gt_u32_e64 s43, v74
	s_cbranch_execz .LBB946_80
.LBB946_182:                            ;   in Loop: Header=BB946_72 Depth=2
	global_load_d16_b16 v7, v[24:25], off offset:256
	s_wait_alu 0xfffe
	s_or_b32 exec_lo, exec_lo, s15
	s_delay_alu instid0(SALU_CYCLE_1)
	s_mov_b32 s15, exec_lo
	v_cmpx_gt_u32_e64 s43, v75
	s_cbranch_execz .LBB946_81
.LBB946_183:                            ;   in Loop: Header=BB946_72 Depth=2
	s_wait_loadcnt 0x0
	global_load_d16_hi_b16 v7, v[24:25], off offset:320
	s_wait_alu 0xfffe
	s_or_b32 exec_lo, exec_lo, s15
	s_delay_alu instid0(SALU_CYCLE_1)
	s_mov_b32 s15, exec_lo
	v_cmpx_gt_u32_e64 s43, v76
	s_cbranch_execnz .LBB946_82
	s_branch .LBB946_83
.LBB946_184:                            ;   in Loop: Header=BB946_20 Depth=1
	s_wait_loadcnt_dscnt 0x0
	s_barrier_signal -1
	s_mov_b32 s0, 0
	s_barrier_wait -1
.LBB946_185:                            ;   in Loop: Header=BB946_20 Depth=1
	s_wait_alu 0xfffe
	s_and_b32 vcc_lo, exec_lo, s0
	s_wait_alu 0xfffe
	s_cbranch_vccz .LBB946_349
; %bb.186:                              ;   in Loop: Header=BB946_20 Depth=1
	v_dual_mov_b32 v0, v1 :: v_dual_mov_b32 v3, v1
	v_mov_b32_e32 v2, v1
	s_mov_b32 s9, s47
	s_mov_b32 s30, s33
	s_barrier_signal -1
	s_delay_alu instid0(VALU_DEP_1)
	v_dual_mov_b32 v8, v3 :: v_dual_mov_b32 v7, v2
	v_dual_mov_b32 v6, v1 :: v_dual_mov_b32 v5, v0
	s_barrier_wait -1
	global_inv scope:SCOPE_SE
	s_branch .LBB946_188
.LBB946_187:                            ;   in Loop: Header=BB946_188 Depth=2
	s_wait_alu 0xfffe
	s_or_b32 exec_lo, exec_lo, s0
	s_addk_co_i32 s9, 0xf800
	s_cmp_ge_u32 s10, s34
	s_mov_b32 s30, s10
	s_cbranch_scc1 .LBB946_224
.LBB946_188:                            ;   Parent Loop BB946_20 Depth=1
                                        ; =>  This Inner Loop Header: Depth=2
	s_wait_alu 0xfffe
	s_add_co_i32 s10, s30, 0x800
	s_mov_b32 s0, -1
	s_wait_alu 0xfffe
	s_cmp_gt_u32 s10, s34
                                        ; implicit-def: $vgpr9_vgpr10_vgpr11_vgpr12
	s_cbranch_scc1 .LBB946_190
; %bb.189:                              ;   in Loop: Header=BB946_188 Depth=2
	s_lshl_b64 s[0:1], s[30:31], 1
	s_wait_alu 0xfffe
	v_add_co_u32 v2, vcc_lo, v50, s0
	s_wait_alu 0xfffd
	v_add_co_ci_u32_e64 v3, null, s1, v51, vcc_lo
	s_mov_b32 s0, 0
	s_clause 0x3
	global_load_u16 v9, v[2:3], off
	global_load_u16 v10, v[2:3], off offset:1024
	global_load_u16 v11, v[2:3], off offset:2048
	;; [unrolled: 1-line block ×3, first 2 shown]
	s_wait_loadcnt 0x3
	global_load_d16_hi_b16 v9, v[2:3], off offset:512
	s_wait_loadcnt 0x3
	global_load_d16_hi_b16 v10, v[2:3], off offset:1536
	;; [unrolled: 2-line block ×4, first 2 shown]
.LBB946_190:                            ;   in Loop: Header=BB946_188 Depth=2
	s_wait_alu 0xfffe
	s_and_not1_b32 vcc_lo, exec_lo, s0
	s_movk_i32 s0, 0x800
	s_wait_alu 0xfffe
	s_cbranch_vccnz .LBB946_201
; %bb.191:                              ;   in Loop: Header=BB946_188 Depth=2
	s_lshl_b64 s[0:1], s[30:31], 1
	s_mov_b32 s11, exec_lo
	s_wait_alu 0xfffe
	s_add_nc_u64 s[0:1], s[38:39], s[0:1]
	v_cmpx_gt_u32_e64 s9, v13
	s_cbranch_execnz .LBB946_217
; %bb.192:                              ;   in Loop: Header=BB946_188 Depth=2
	s_or_b32 exec_lo, exec_lo, s11
	s_delay_alu instid0(SALU_CYCLE_1)
	s_mov_b32 s11, exec_lo
	v_cmpx_gt_u32_e64 s9, v29
	s_cbranch_execnz .LBB946_218
.LBB946_193:                            ;   in Loop: Header=BB946_188 Depth=2
	s_wait_alu 0xfffe
	s_or_b32 exec_lo, exec_lo, s11
	s_delay_alu instid0(SALU_CYCLE_1)
	s_mov_b32 s11, exec_lo
	v_cmpx_gt_u32_e64 s9, v30
	s_cbranch_execnz .LBB946_219
.LBB946_194:                            ;   in Loop: Header=BB946_188 Depth=2
	s_wait_alu 0xfffe
	s_or_b32 exec_lo, exec_lo, s11
	s_delay_alu instid0(SALU_CYCLE_1)
	s_mov_b32 s11, exec_lo
	v_cmpx_gt_u32_e64 s9, v31
	s_cbranch_execnz .LBB946_220
.LBB946_195:                            ;   in Loop: Header=BB946_188 Depth=2
	s_wait_alu 0xfffe
	s_or_b32 exec_lo, exec_lo, s11
	s_delay_alu instid0(SALU_CYCLE_1)
	s_mov_b32 s11, exec_lo
	v_cmpx_gt_u32_e64 s9, v34
	s_cbranch_execnz .LBB946_221
.LBB946_196:                            ;   in Loop: Header=BB946_188 Depth=2
	s_wait_alu 0xfffe
	s_or_b32 exec_lo, exec_lo, s11
	s_delay_alu instid0(SALU_CYCLE_1)
	s_mov_b32 s11, exec_lo
	v_cmpx_gt_u32_e64 s9, v35
	s_cbranch_execnz .LBB946_222
.LBB946_197:                            ;   in Loop: Header=BB946_188 Depth=2
	s_wait_alu 0xfffe
	s_or_b32 exec_lo, exec_lo, s11
	s_delay_alu instid0(SALU_CYCLE_1)
	s_mov_b32 s11, exec_lo
	v_cmpx_gt_u32_e64 s9, v36
	s_cbranch_execnz .LBB946_223
.LBB946_198:                            ;   in Loop: Header=BB946_188 Depth=2
	s_wait_alu 0xfffe
	s_or_b32 exec_lo, exec_lo, s11
	s_delay_alu instid0(SALU_CYCLE_1)
	s_mov_b32 s11, exec_lo
	v_cmpx_gt_u32_e64 s9, v37
	s_cbranch_execz .LBB946_200
.LBB946_199:                            ;   in Loop: Header=BB946_188 Depth=2
	s_wait_loadcnt 0x0
	global_load_d16_hi_b16 v8, v79, s[0:1] offset:3584
.LBB946_200:                            ;   in Loop: Header=BB946_188 Depth=2
	s_wait_alu 0xfffe
	s_or_b32 exec_lo, exec_lo, s11
	s_wait_loadcnt 0x0
	v_dual_mov_b32 v12, v8 :: v_dual_mov_b32 v11, v7
	v_dual_mov_b32 v10, v6 :: v_dual_mov_b32 v9, v5
	s_mov_b32 s0, s9
.LBB946_201:                            ;   in Loop: Header=BB946_188 Depth=2
	s_wait_loadcnt 0x0
	s_delay_alu instid0(VALU_DEP_1)
	v_dual_mov_b32 v5, v9 :: v_dual_mov_b32 v6, v10
	v_dual_mov_b32 v7, v11 :: v_dual_mov_b32 v8, v12
	s_mov_b32 s1, exec_lo
	s_wait_alu 0xfffe
	v_cmpx_gt_u32_e64 s0, v13
	s_cbranch_execnz .LBB946_209
; %bb.202:                              ;   in Loop: Header=BB946_188 Depth=2
	s_or_b32 exec_lo, exec_lo, s1
	s_delay_alu instid0(SALU_CYCLE_1)
	s_mov_b32 s1, exec_lo
	v_cmpx_gt_u32_e64 s0, v29
	s_cbranch_execnz .LBB946_210
.LBB946_203:                            ;   in Loop: Header=BB946_188 Depth=2
	s_wait_alu 0xfffe
	s_or_b32 exec_lo, exec_lo, s1
	s_delay_alu instid0(SALU_CYCLE_1)
	s_mov_b32 s1, exec_lo
	v_cmpx_gt_u32_e64 s0, v30
	s_cbranch_execnz .LBB946_211
.LBB946_204:                            ;   in Loop: Header=BB946_188 Depth=2
	s_wait_alu 0xfffe
	s_or_b32 exec_lo, exec_lo, s1
	s_delay_alu instid0(SALU_CYCLE_1)
	s_mov_b32 s1, exec_lo
	v_cmpx_gt_u32_e64 s0, v31
	s_cbranch_execnz .LBB946_212
.LBB946_205:                            ;   in Loop: Header=BB946_188 Depth=2
	s_wait_alu 0xfffe
	s_or_b32 exec_lo, exec_lo, s1
	s_delay_alu instid0(SALU_CYCLE_1)
	s_mov_b32 s1, exec_lo
	v_cmpx_gt_u32_e64 s0, v34
	s_cbranch_execnz .LBB946_213
.LBB946_206:                            ;   in Loop: Header=BB946_188 Depth=2
	s_wait_alu 0xfffe
	s_or_b32 exec_lo, exec_lo, s1
	s_delay_alu instid0(SALU_CYCLE_1)
	s_mov_b32 s1, exec_lo
	v_cmpx_gt_u32_e64 s0, v35
	s_cbranch_execnz .LBB946_214
.LBB946_207:                            ;   in Loop: Header=BB946_188 Depth=2
	s_wait_alu 0xfffe
	s_or_b32 exec_lo, exec_lo, s1
	s_delay_alu instid0(SALU_CYCLE_1)
	s_mov_b32 s1, exec_lo
	v_cmpx_gt_u32_e64 s0, v36
	s_cbranch_execnz .LBB946_215
.LBB946_208:                            ;   in Loop: Header=BB946_188 Depth=2
	s_wait_alu 0xfffe
	s_or_b32 exec_lo, exec_lo, s1
	v_cmp_gt_u32_e32 vcc_lo, s0, v37
	s_and_saveexec_b32 s0, vcc_lo
	s_cbranch_execz .LBB946_187
	s_branch .LBB946_216
.LBB946_209:                            ;   in Loop: Header=BB946_188 Depth=2
	v_xor_b32_e32 v0, 0x7fff, v5
	s_delay_alu instid0(VALU_DEP_1) | instskip(NEXT) | instid1(VALU_DEP_1)
	v_and_b32_e32 v0, 0xffff, v0
	v_lshrrev_b32_e32 v0, s23, v0
	s_delay_alu instid0(VALU_DEP_1) | instskip(NEXT) | instid1(VALU_DEP_1)
	v_and_b32_e32 v0, s42, v0
	v_lshl_or_b32 v0, v0, 4, v39
	ds_add_u32 v0, v63
	s_or_b32 exec_lo, exec_lo, s1
	s_delay_alu instid0(SALU_CYCLE_1)
	s_mov_b32 s1, exec_lo
	v_cmpx_gt_u32_e64 s0, v29
	s_cbranch_execz .LBB946_203
.LBB946_210:                            ;   in Loop: Header=BB946_188 Depth=2
	v_lshrrev_b32_e32 v0, 16, v5
	s_delay_alu instid0(VALU_DEP_1) | instskip(NEXT) | instid1(VALU_DEP_1)
	v_xor_b32_e32 v0, 0x7fff, v0
	v_and_b32_e32 v0, 0xffff, v0
	s_delay_alu instid0(VALU_DEP_1) | instskip(NEXT) | instid1(VALU_DEP_1)
	v_lshrrev_b32_e32 v0, s23, v0
	v_and_b32_e32 v0, s42, v0
	s_delay_alu instid0(VALU_DEP_1) | instskip(SKIP_3) | instid1(SALU_CYCLE_1)
	v_lshl_or_b32 v0, v0, 4, v39
	ds_add_u32 v0, v63
	s_wait_alu 0xfffe
	s_or_b32 exec_lo, exec_lo, s1
	s_mov_b32 s1, exec_lo
	v_cmpx_gt_u32_e64 s0, v30
	s_cbranch_execz .LBB946_204
.LBB946_211:                            ;   in Loop: Header=BB946_188 Depth=2
	v_xor_b32_e32 v0, 0x7fff, v6
	s_delay_alu instid0(VALU_DEP_1) | instskip(NEXT) | instid1(VALU_DEP_1)
	v_and_b32_e32 v0, 0xffff, v0
	v_lshrrev_b32_e32 v0, s23, v0
	s_delay_alu instid0(VALU_DEP_1) | instskip(NEXT) | instid1(VALU_DEP_1)
	v_and_b32_e32 v0, s42, v0
	v_lshl_or_b32 v0, v0, 4, v39
	ds_add_u32 v0, v63
	s_wait_alu 0xfffe
	s_or_b32 exec_lo, exec_lo, s1
	s_delay_alu instid0(SALU_CYCLE_1)
	s_mov_b32 s1, exec_lo
	v_cmpx_gt_u32_e64 s0, v31
	s_cbranch_execz .LBB946_205
.LBB946_212:                            ;   in Loop: Header=BB946_188 Depth=2
	v_lshrrev_b32_e32 v0, 16, v6
	s_delay_alu instid0(VALU_DEP_1) | instskip(NEXT) | instid1(VALU_DEP_1)
	v_xor_b32_e32 v0, 0x7fff, v0
	v_and_b32_e32 v0, 0xffff, v0
	s_delay_alu instid0(VALU_DEP_1) | instskip(NEXT) | instid1(VALU_DEP_1)
	v_lshrrev_b32_e32 v0, s23, v0
	v_and_b32_e32 v0, s42, v0
	s_delay_alu instid0(VALU_DEP_1) | instskip(SKIP_3) | instid1(SALU_CYCLE_1)
	v_lshl_or_b32 v0, v0, 4, v39
	ds_add_u32 v0, v63
	s_wait_alu 0xfffe
	s_or_b32 exec_lo, exec_lo, s1
	s_mov_b32 s1, exec_lo
	v_cmpx_gt_u32_e64 s0, v34
	s_cbranch_execz .LBB946_206
.LBB946_213:                            ;   in Loop: Header=BB946_188 Depth=2
	v_xor_b32_e32 v0, 0x7fff, v7
	s_delay_alu instid0(VALU_DEP_1) | instskip(NEXT) | instid1(VALU_DEP_1)
	v_and_b32_e32 v0, 0xffff, v0
	v_lshrrev_b32_e32 v0, s23, v0
	s_delay_alu instid0(VALU_DEP_1) | instskip(NEXT) | instid1(VALU_DEP_1)
	v_and_b32_e32 v0, s42, v0
	v_lshl_or_b32 v0, v0, 4, v39
	ds_add_u32 v0, v63
	s_wait_alu 0xfffe
	s_or_b32 exec_lo, exec_lo, s1
	s_delay_alu instid0(SALU_CYCLE_1)
	s_mov_b32 s1, exec_lo
	v_cmpx_gt_u32_e64 s0, v35
	s_cbranch_execz .LBB946_207
.LBB946_214:                            ;   in Loop: Header=BB946_188 Depth=2
	v_lshrrev_b32_e32 v0, 16, v7
	s_delay_alu instid0(VALU_DEP_1) | instskip(NEXT) | instid1(VALU_DEP_1)
	v_xor_b32_e32 v0, 0x7fff, v0
	v_and_b32_e32 v0, 0xffff, v0
	s_delay_alu instid0(VALU_DEP_1) | instskip(NEXT) | instid1(VALU_DEP_1)
	v_lshrrev_b32_e32 v0, s23, v0
	v_and_b32_e32 v0, s42, v0
	s_delay_alu instid0(VALU_DEP_1) | instskip(SKIP_3) | instid1(SALU_CYCLE_1)
	v_lshl_or_b32 v0, v0, 4, v39
	ds_add_u32 v0, v63
	s_wait_alu 0xfffe
	s_or_b32 exec_lo, exec_lo, s1
	s_mov_b32 s1, exec_lo
	v_cmpx_gt_u32_e64 s0, v36
	s_cbranch_execz .LBB946_208
.LBB946_215:                            ;   in Loop: Header=BB946_188 Depth=2
	v_xor_b32_e32 v0, 0x7fff, v8
	s_delay_alu instid0(VALU_DEP_1) | instskip(NEXT) | instid1(VALU_DEP_1)
	v_and_b32_e32 v0, 0xffff, v0
	v_lshrrev_b32_e32 v0, s23, v0
	s_delay_alu instid0(VALU_DEP_1) | instskip(NEXT) | instid1(VALU_DEP_1)
	v_and_b32_e32 v0, s42, v0
	v_lshl_or_b32 v0, v0, 4, v39
	ds_add_u32 v0, v63
	s_wait_alu 0xfffe
	s_or_b32 exec_lo, exec_lo, s1
	v_cmp_gt_u32_e32 vcc_lo, s0, v37
	s_and_saveexec_b32 s0, vcc_lo
	s_cbranch_execz .LBB946_187
.LBB946_216:                            ;   in Loop: Header=BB946_188 Depth=2
	v_lshrrev_b32_e32 v0, 16, v8
	s_delay_alu instid0(VALU_DEP_1) | instskip(NEXT) | instid1(VALU_DEP_1)
	v_xor_b32_e32 v0, 0x7fff, v0
	v_and_b32_e32 v0, 0xffff, v0
	s_delay_alu instid0(VALU_DEP_1) | instskip(NEXT) | instid1(VALU_DEP_1)
	v_lshrrev_b32_e32 v0, s23, v0
	v_and_b32_e32 v0, s42, v0
	s_delay_alu instid0(VALU_DEP_1)
	v_lshl_or_b32 v0, v0, 4, v39
	ds_add_u32 v0, v63
	s_branch .LBB946_187
.LBB946_217:                            ;   in Loop: Header=BB946_188 Depth=2
	global_load_d16_b16 v5, v79, s[0:1]
	s_or_b32 exec_lo, exec_lo, s11
	s_delay_alu instid0(SALU_CYCLE_1)
	s_mov_b32 s11, exec_lo
	v_cmpx_gt_u32_e64 s9, v29
	s_cbranch_execz .LBB946_193
.LBB946_218:                            ;   in Loop: Header=BB946_188 Depth=2
	s_wait_loadcnt 0x0
	global_load_d16_hi_b16 v5, v79, s[0:1] offset:512
	s_wait_alu 0xfffe
	s_or_b32 exec_lo, exec_lo, s11
	s_delay_alu instid0(SALU_CYCLE_1)
	s_mov_b32 s11, exec_lo
	v_cmpx_gt_u32_e64 s9, v30
	s_cbranch_execz .LBB946_194
.LBB946_219:                            ;   in Loop: Header=BB946_188 Depth=2
	global_load_d16_b16 v6, v79, s[0:1] offset:1024
	s_wait_alu 0xfffe
	s_or_b32 exec_lo, exec_lo, s11
	s_delay_alu instid0(SALU_CYCLE_1)
	s_mov_b32 s11, exec_lo
	v_cmpx_gt_u32_e64 s9, v31
	s_cbranch_execz .LBB946_195
.LBB946_220:                            ;   in Loop: Header=BB946_188 Depth=2
	s_wait_loadcnt 0x0
	global_load_d16_hi_b16 v6, v79, s[0:1] offset:1536
	s_wait_alu 0xfffe
	s_or_b32 exec_lo, exec_lo, s11
	s_delay_alu instid0(SALU_CYCLE_1)
	s_mov_b32 s11, exec_lo
	v_cmpx_gt_u32_e64 s9, v34
	s_cbranch_execz .LBB946_196
.LBB946_221:                            ;   in Loop: Header=BB946_188 Depth=2
	global_load_d16_b16 v7, v79, s[0:1] offset:2048
	s_wait_alu 0xfffe
	s_or_b32 exec_lo, exec_lo, s11
	s_delay_alu instid0(SALU_CYCLE_1)
	s_mov_b32 s11, exec_lo
	v_cmpx_gt_u32_e64 s9, v35
	s_cbranch_execz .LBB946_197
.LBB946_222:                            ;   in Loop: Header=BB946_188 Depth=2
	s_wait_loadcnt 0x0
	global_load_d16_hi_b16 v7, v79, s[0:1] offset:2560
	s_wait_alu 0xfffe
	s_or_b32 exec_lo, exec_lo, s11
	s_delay_alu instid0(SALU_CYCLE_1)
	s_mov_b32 s11, exec_lo
	v_cmpx_gt_u32_e64 s9, v36
	s_cbranch_execz .LBB946_198
.LBB946_223:                            ;   in Loop: Header=BB946_188 Depth=2
	global_load_d16_b16 v8, v79, s[0:1] offset:3072
	s_wait_alu 0xfffe
	s_or_b32 exec_lo, exec_lo, s11
	s_delay_alu instid0(SALU_CYCLE_1)
	s_mov_b32 s11, exec_lo
	v_cmpx_gt_u32_e64 s9, v37
	s_cbranch_execnz .LBB946_199
	s_branch .LBB946_200
.LBB946_224:                            ;   in Loop: Header=BB946_20 Depth=1
	v_mov_b32_e32 v0, 0
	s_wait_dscnt 0x0
	s_barrier_signal -1
	s_barrier_wait -1
	global_inv scope:SCOPE_SE
	s_and_saveexec_b32 s0, s2
	s_cbranch_execz .LBB946_226
; %bb.225:                              ;   in Loop: Header=BB946_20 Depth=1
	ds_load_2addr_b64 v[5:8], v40 offset1:1
	s_wait_dscnt 0x0
	v_add_nc_u32_e32 v0, v6, v5
	s_delay_alu instid0(VALU_DEP_1)
	v_add3_u32 v0, v0, v7, v8
.LBB946_226:                            ;   in Loop: Header=BB946_20 Depth=1
	s_wait_alu 0xfffe
	s_or_b32 exec_lo, exec_lo, s0
	s_delay_alu instid0(VALU_DEP_1)
	v_mov_b32_dpp v2, v0 row_shr:1 row_mask:0xf bank_mask:0xf
	v_cmp_eq_u32_e64 s0, 0, v64
	v_cmp_lt_u32_e64 s1, 1, v64
	v_cmp_lt_u32_e64 s9, 3, v64
	;; [unrolled: 1-line block ×3, first 2 shown]
	v_cmp_eq_u32_e64 s11, 0, v66
	s_wait_alu 0xf1ff
	v_cndmask_b32_e64 v2, v2, 0, s0
	s_delay_alu instid0(VALU_DEP_1) | instskip(NEXT) | instid1(VALU_DEP_1)
	v_add_nc_u32_e32 v0, v2, v0
	v_mov_b32_dpp v2, v0 row_shr:2 row_mask:0xf bank_mask:0xf
	s_delay_alu instid0(VALU_DEP_1) | instskip(NEXT) | instid1(VALU_DEP_1)
	v_cndmask_b32_e64 v2, 0, v2, s1
	v_add_nc_u32_e32 v0, v0, v2
	s_delay_alu instid0(VALU_DEP_1) | instskip(NEXT) | instid1(VALU_DEP_1)
	v_mov_b32_dpp v2, v0 row_shr:4 row_mask:0xf bank_mask:0xf
	v_cndmask_b32_e64 v2, 0, v2, s9
	s_delay_alu instid0(VALU_DEP_1) | instskip(NEXT) | instid1(VALU_DEP_1)
	v_add_nc_u32_e32 v0, v0, v2
	v_mov_b32_dpp v2, v0 row_shr:8 row_mask:0xf bank_mask:0xf
	s_delay_alu instid0(VALU_DEP_1) | instskip(NEXT) | instid1(VALU_DEP_1)
	v_cndmask_b32_e64 v2, 0, v2, s10
	v_add_nc_u32_e32 v0, v0, v2
	ds_swizzle_b32 v2, v0 offset:swizzle(BROADCAST,32,15)
	s_wait_dscnt 0x0
	v_and_b32_e32 v2, v65, v2
	s_delay_alu instid0(VALU_DEP_1)
	v_add_nc_u32_e32 v0, v0, v2
	s_and_saveexec_b32 s12, s3
; %bb.227:                              ;   in Loop: Header=BB946_20 Depth=1
	ds_store_b32 v41, v0
; %bb.228:                              ;   in Loop: Header=BB946_20 Depth=1
	s_wait_alu 0xfffe
	s_or_b32 exec_lo, exec_lo, s12
	s_wait_loadcnt_dscnt 0x0
	s_barrier_signal -1
	s_barrier_wait -1
	global_inv scope:SCOPE_SE
	s_and_saveexec_b32 s12, s4
	s_cbranch_execz .LBB946_230
; %bb.229:                              ;   in Loop: Header=BB946_20 Depth=1
	ds_load_b32 v2, v42
	v_cmp_ne_u32_e32 vcc_lo, 0, v68
	s_wait_dscnt 0x0
	v_mov_b32_dpp v3, v2 row_shr:1 row_mask:0xf bank_mask:0xf
	s_wait_alu 0xfffd
	s_delay_alu instid0(VALU_DEP_1) | instskip(SKIP_1) | instid1(VALU_DEP_2)
	v_cndmask_b32_e32 v3, 0, v3, vcc_lo
	v_cmp_lt_u32_e32 vcc_lo, 1, v68
	v_add_nc_u32_e32 v2, v3, v2
	s_delay_alu instid0(VALU_DEP_1) | instskip(SKIP_1) | instid1(VALU_DEP_1)
	v_mov_b32_dpp v3, v2 row_shr:2 row_mask:0xf bank_mask:0xf
	s_wait_alu 0xfffd
	v_cndmask_b32_e32 v3, 0, v3, vcc_lo
	v_cmp_lt_u32_e32 vcc_lo, 3, v68
	s_delay_alu instid0(VALU_DEP_2) | instskip(NEXT) | instid1(VALU_DEP_1)
	v_add_nc_u32_e32 v2, v2, v3
	v_mov_b32_dpp v3, v2 row_shr:4 row_mask:0xf bank_mask:0xf
	s_wait_alu 0xfffd
	s_delay_alu instid0(VALU_DEP_1) | instskip(NEXT) | instid1(VALU_DEP_1)
	v_cndmask_b32_e32 v3, 0, v3, vcc_lo
	v_add_nc_u32_e32 v2, v2, v3
	ds_store_b32 v42, v2
.LBB946_230:                            ;   in Loop: Header=BB946_20 Depth=1
	s_wait_alu 0xfffe
	s_or_b32 exec_lo, exec_lo, s12
	v_mov_b32_e32 v2, 0
	s_wait_loadcnt_dscnt 0x0
	s_barrier_signal -1
	s_barrier_wait -1
	global_inv scope:SCOPE_SE
	s_and_saveexec_b32 s12, s5
; %bb.231:                              ;   in Loop: Header=BB946_20 Depth=1
	ds_load_b32 v2, v44
; %bb.232:                              ;   in Loop: Header=BB946_20 Depth=1
	s_wait_alu 0xfffe
	s_or_b32 exec_lo, exec_lo, s12
	v_cmp_gt_i32_e32 vcc_lo, 0, v69
	s_wait_dscnt 0x0
	v_add_nc_u32_e32 v0, v2, v0
	s_wait_loadcnt 0x0
	s_barrier_signal -1
	s_barrier_wait -1
	s_wait_alu 0xfffd
	v_cndmask_b32_e32 v3, v69, v60, vcc_lo
	global_inv scope:SCOPE_SE
	v_lshlrev_b32_e32 v84, 2, v3
	ds_bpermute_b32 v0, v84, v0
	s_and_saveexec_b32 s12, s2
	s_cbranch_execz .LBB946_234
; %bb.233:                              ;   in Loop: Header=BB946_20 Depth=1
	s_wait_dscnt 0x0
	v_cndmask_b32_e64 v0, v0, v2, s8
	s_delay_alu instid0(VALU_DEP_1)
	v_add_nc_u32_e32 v0, s33, v0
	ds_store_b32 v28, v0
.LBB946_234:                            ;   in Loop: Header=BB946_20 Depth=1
	s_wait_alu 0xfffe
	s_or_b32 exec_lo, exec_lo, s12
	s_load_b64 s[12:13], s[28:29], 0x0
	v_add_co_u32 v85, vcc_lo, v52, v70
	s_wait_alu 0xfffd
	v_add_co_ci_u32_e64 v86, null, 0, v53, vcc_lo
	v_add_co_u32 v87, vcc_lo, v54, v78
	s_wait_alu 0xfffd
	v_add_co_ci_u32_e64 v88, null, 0, v55, vcc_lo
	s_mov_b32 s43, s47
                                        ; implicit-def: $vgpr9_vgpr10
                                        ; implicit-def: $vgpr11_vgpr12
                                        ; implicit-def: $vgpr16_vgpr17
                                        ; implicit-def: $vgpr18_vgpr19
                                        ; implicit-def: $vgpr20_vgpr21
                                        ; implicit-def: $vgpr22_vgpr23
                                        ; implicit-def: $vgpr90
                                        ; implicit-def: $vgpr91
                                        ; implicit-def: $vgpr92
                                        ; implicit-def: $vgpr93
                                        ; implicit-def: $vgpr94
                                        ; implicit-def: $vgpr95
                                        ; implicit-def: $vgpr96
                                        ; implicit-def: $vgpr97
	s_wait_kmcnt 0x0
	s_cmp_lt_u32 ttmp7, s13
	s_cselect_b32 s30, 14, 20
	s_cmp_lt_u32 ttmp9, s12
	s_wait_alu 0xfffe
	s_add_nc_u64 s[14:15], s[28:29], s[30:31]
	s_cselect_b32 s30, 12, 18
	s_load_u16 s14, s[14:15], 0x0
	s_add_nc_u64 s[12:13], s[28:29], s[30:31]
	s_mov_b32 s30, s33
	s_load_u16 s12, s[12:13], 0x0
	v_cmp_lt_u32_e64 s13, 1, v68
	s_wait_dscnt 0x0
	s_wait_kmcnt 0x0
	v_mad_u32_u24 v0, v45, s14, v46
	v_cmp_lt_u32_e64 s14, 3, v68
	s_delay_alu instid0(VALU_DEP_2) | instskip(SKIP_1) | instid1(VALU_DEP_2)
	v_mad_co_u64_u32 v[2:3], null, v0, s12, v[13:14]
	v_cmp_eq_u32_e64 s12, 0, v68
                                        ; implicit-def: $vgpr14_vgpr15
	v_lshrrev_b32_e32 v0, 3, v2
                                        ; implicit-def: $vgpr2_vgpr3
	s_delay_alu instid0(VALU_DEP_1)
	v_and_b32_e32 v89, 0x1ffffffc, v0
	s_branch .LBB946_236
.LBB946_235:                            ;   in Loop: Header=BB946_236 Depth=2
	s_wait_alu 0xfffe
	s_or_b32 exec_lo, exec_lo, s15
	s_addk_co_i32 s43, 0xf800
	s_cmp_lt_u32 s44, s34
	s_mov_b32 s30, s44
	s_cbranch_scc0 .LBB946_348
.LBB946_236:                            ;   Parent Loop BB946_20 Depth=1
                                        ; =>  This Inner Loop Header: Depth=2
	s_wait_alu 0xfffe
	s_add_co_i32 s44, s30, 0x800
	s_wait_alu 0xfffe
	s_cmp_gt_u32 s44, s34
	s_cbranch_scc1 .LBB946_238
; %bb.237:                              ;   in Loop: Header=BB946_236 Depth=2
	s_lshl_b64 s[16:17], s[30:31], 1
	s_mov_b32 s15, -1
	s_wait_alu 0xfffe
	v_add_co_u32 v24, vcc_lo, v87, s16
	s_wait_alu 0xfffd
	v_add_co_ci_u32_e64 v25, null, s17, v88, vcc_lo
	s_clause 0x3
	global_load_u16 v5, v[24:25], off
	global_load_u16 v6, v[24:25], off offset:128
	global_load_u16 v7, v[24:25], off offset:256
	global_load_d16_b16 v8, v[24:25], off offset:384
	s_wait_loadcnt 0x3
	global_load_d16_hi_b16 v5, v[24:25], off offset:64
	s_wait_loadcnt 0x3
	global_load_d16_hi_b16 v6, v[24:25], off offset:192
	;; [unrolled: 2-line block ×3, first 2 shown]
	s_movk_i32 s16, 0x800
	s_cbranch_execz .LBB946_239
	s_branch .LBB946_248
.LBB946_238:                            ;   in Loop: Header=BB946_236 Depth=2
	s_mov_b32 s15, 0
                                        ; implicit-def: $vgpr5_vgpr6_vgpr7_vgpr8
	s_movk_i32 s16, 0x800
.LBB946_239:                            ;   in Loop: Header=BB946_236 Depth=2
	s_wait_loadcnt 0x0
	v_mov_b32_e32 v7, v4
	s_lshl_b64 s[16:17], s[30:31], 1
	v_dual_mov_b32 v5, v4 :: v_dual_mov_b32 v6, v4
	s_wait_alu 0xfffe
	v_add_co_u32 v24, vcc_lo, v87, s16
	v_mov_b32_e32 v8, v7
	s_wait_alu 0xfffd
	v_add_co_ci_u32_e64 v25, null, s17, v88, vcc_lo
	v_mov_b32_e32 v7, v6
	v_mov_b32_e32 v6, v5
	;; [unrolled: 1-line block ×3, first 2 shown]
	s_mov_b32 s15, exec_lo
	v_cmpx_gt_u32_e64 s43, v67
	s_cbranch_execnz .LBB946_342
; %bb.240:                              ;   in Loop: Header=BB946_236 Depth=2
	s_wait_alu 0xfffe
	s_or_b32 exec_lo, exec_lo, s15
	s_delay_alu instid0(SALU_CYCLE_1)
	s_mov_b32 s15, exec_lo
	v_cmpx_gt_u32_e64 s43, v71
	s_cbranch_execnz .LBB946_343
.LBB946_241:                            ;   in Loop: Header=BB946_236 Depth=2
	s_wait_alu 0xfffe
	s_or_b32 exec_lo, exec_lo, s15
	s_delay_alu instid0(SALU_CYCLE_1)
	s_mov_b32 s15, exec_lo
	v_cmpx_gt_u32_e64 s43, v72
	s_cbranch_execnz .LBB946_344
.LBB946_242:                            ;   in Loop: Header=BB946_236 Depth=2
	s_wait_alu 0xfffe
	s_or_b32 exec_lo, exec_lo, s15
	s_delay_alu instid0(SALU_CYCLE_1)
	s_mov_b32 s15, exec_lo
	v_cmpx_gt_u32_e64 s43, v73
	s_cbranch_execnz .LBB946_345
.LBB946_243:                            ;   in Loop: Header=BB946_236 Depth=2
	s_wait_alu 0xfffe
	s_or_b32 exec_lo, exec_lo, s15
	s_delay_alu instid0(SALU_CYCLE_1)
	s_mov_b32 s15, exec_lo
	v_cmpx_gt_u32_e64 s43, v74
	s_cbranch_execnz .LBB946_346
.LBB946_244:                            ;   in Loop: Header=BB946_236 Depth=2
	s_wait_alu 0xfffe
	s_or_b32 exec_lo, exec_lo, s15
	s_delay_alu instid0(SALU_CYCLE_1)
	s_mov_b32 s15, exec_lo
	v_cmpx_gt_u32_e64 s43, v75
	s_cbranch_execnz .LBB946_347
.LBB946_245:                            ;   in Loop: Header=BB946_236 Depth=2
	s_wait_alu 0xfffe
	s_or_b32 exec_lo, exec_lo, s15
	s_delay_alu instid0(SALU_CYCLE_1)
	s_mov_b32 s15, exec_lo
	v_cmpx_gt_u32_e64 s43, v76
	s_cbranch_execz .LBB946_247
.LBB946_246:                            ;   in Loop: Header=BB946_236 Depth=2
	global_load_d16_b16 v8, v[24:25], off offset:384
.LBB946_247:                            ;   in Loop: Header=BB946_236 Depth=2
	s_wait_alu 0xfffe
	s_or_b32 exec_lo, exec_lo, s15
	v_cmp_gt_u32_e64 s15, s43, v77
	s_sub_co_i32 s16, s34, s30
.LBB946_248:                            ;   in Loop: Header=BB946_236 Depth=2
	v_mov_b32_e32 v98, s43
	s_and_saveexec_b32 s17, s15
	s_cbranch_execz .LBB946_250
; %bb.249:                              ;   in Loop: Header=BB946_236 Depth=2
	s_lshl_b64 s[18:19], s[30:31], 1
	s_wait_alu 0xfffe
	v_mov_b32_e32 v98, s16
	v_add_co_u32 v24, vcc_lo, v87, s18
	s_wait_alu 0xfffd
	v_add_co_ci_u32_e64 v25, null, s19, v88, vcc_lo
	s_wait_loadcnt 0x0
	global_load_d16_hi_b16 v8, v[24:25], off offset:448
.LBB946_250:                            ;   in Loop: Header=BB946_236 Depth=2
	s_wait_alu 0xfffe
	s_or_b32 exec_lo, exec_lo, s17
	s_wait_loadcnt 0x0
	v_xor_b32_e32 v0, 0x7fff, v5
	s_delay_alu instid0(VALU_DEP_1) | instskip(NEXT) | instid1(VALU_DEP_1)
	v_and_b32_e32 v24, 0xffff, v0
	v_lshrrev_b32_e32 v24, s23, v24
	s_delay_alu instid0(VALU_DEP_1) | instskip(NEXT) | instid1(VALU_DEP_1)
	v_and_b32_e32 v25, s42, v24
	v_and_b32_e32 v24, 1, v25
	v_lshlrev_b32_e32 v26, 30, v25
	v_lshlrev_b32_e32 v27, 29, v25
	;; [unrolled: 1-line block ×4, first 2 shown]
	v_add_co_u32 v24, s15, v24, -1
	s_wait_alu 0xf1ff
	v_cndmask_b32_e64 v100, 0, 1, s15
	v_not_b32_e32 v104, v26
	v_cmp_gt_i32_e64 s15, 0, v26
	v_not_b32_e32 v26, v27
	v_lshlrev_b32_e32 v102, 26, v25
	v_cmp_ne_u32_e32 vcc_lo, 0, v100
	v_ashrrev_i32_e32 v104, 31, v104
	v_lshlrev_b32_e32 v103, 25, v25
	v_ashrrev_i32_e32 v26, 31, v26
	v_lshlrev_b32_e32 v100, 24, v25
	s_wait_alu 0xfffd
	v_xor_b32_e32 v24, vcc_lo, v24
	v_cmp_gt_i32_e32 vcc_lo, 0, v27
	v_not_b32_e32 v27, v99
	s_wait_alu 0xf1ff
	v_xor_b32_e32 v104, s15, v104
	v_cmp_gt_i32_e64 s15, 0, v99
	v_and_b32_e32 v24, exec_lo, v24
	v_not_b32_e32 v99, v101
	v_ashrrev_i32_e32 v27, 31, v27
	s_wait_alu 0xfffd
	v_xor_b32_e32 v26, vcc_lo, v26
	v_cmp_gt_i32_e32 vcc_lo, 0, v101
	v_and_b32_e32 v24, v24, v104
	v_not_b32_e32 v101, v102
	v_ashrrev_i32_e32 v99, 31, v99
	s_wait_alu 0xf1ff
	v_xor_b32_e32 v27, s15, v27
	v_cmp_gt_i32_e64 s15, 0, v102
	v_and_b32_e32 v24, v24, v26
	v_not_b32_e32 v26, v103
	v_ashrrev_i32_e32 v101, 31, v101
	s_wait_alu 0xfffd
	v_xor_b32_e32 v99, vcc_lo, v99
	v_cmp_gt_i32_e32 vcc_lo, 0, v103
	v_and_b32_e32 v24, v24, v27
	v_not_b32_e32 v27, v100
	v_ashrrev_i32_e32 v26, 31, v26
	s_wait_alu 0xf1ff
	v_xor_b32_e32 v101, s15, v101
	v_cmp_gt_i32_e64 s15, 0, v100
	v_and_b32_e32 v24, v24, v99
	v_ashrrev_i32_e32 v27, 31, v27
	s_wait_alu 0xfffd
	v_xor_b32_e32 v26, vcc_lo, v26
	v_mul_u32_u24_e32 v25, 36, v25
	v_add_nc_u32_e32 v102, 0x420, v43
	v_and_b32_e32 v24, v24, v101
	s_wait_alu 0xf1ff
	v_xor_b32_e32 v27, s15, v27
	v_add_nc_u32_e32 v101, 0x438, v43
	v_add_nc_u32_e32 v103, 0x428, v43
	;; [unrolled: 1-line block ×3, first 2 shown]
	v_and_b32_e32 v24, v24, v26
	v_add_nc_u32_e32 v105, v89, v25
	ds_store_2addr_b32 v101, v1, v1 offset1:1
	ds_store_2addr_b32 v102, v1, v1 offset1:1
	;; [unrolled: 1-line block ×4, first 2 shown]
	ds_store_b32 v43, v1 offset:1088
	s_wait_dscnt 0x0
	v_and_b32_e32 v24, v24, v27
	s_barrier_signal -1
	s_barrier_wait -1
	global_inv scope:SCOPE_SE
	v_mbcnt_lo_u32_b32 v99, v24, 0
	v_cmp_ne_u32_e64 s15, 0, v24
	; wave barrier
	s_delay_alu instid0(VALU_DEP_2)
	v_cmp_eq_u32_e32 vcc_lo, 0, v99
	s_and_b32 s16, s15, vcc_lo
	s_wait_alu 0xfffe
	s_and_saveexec_b32 s15, s16
; %bb.251:                              ;   in Loop: Header=BB946_236 Depth=2
	v_bcnt_u32_b32 v24, v24, 0
	ds_store_b32 v105, v24 offset:1056
; %bb.252:                              ;   in Loop: Header=BB946_236 Depth=2
	s_wait_alu 0xfffe
	s_or_b32 exec_lo, exec_lo, s15
	v_lshrrev_b32_e32 v5, 16, v5
	; wave barrier
	s_delay_alu instid0(VALU_DEP_1) | instskip(NEXT) | instid1(VALU_DEP_1)
	v_xor_b32_e32 v100, 0x7fff, v5
	v_and_b32_e32 v5, 0xffff, v100
	s_delay_alu instid0(VALU_DEP_1) | instskip(NEXT) | instid1(VALU_DEP_1)
	v_lshrrev_b32_e32 v5, s23, v5
	v_and_b32_e32 v24, s42, v5
	s_delay_alu instid0(VALU_DEP_1)
	v_and_b32_e32 v5, 1, v24
	v_lshlrev_b32_e32 v25, 30, v24
	v_lshlrev_b32_e32 v26, 29, v24
	;; [unrolled: 1-line block ×4, first 2 shown]
	v_add_co_u32 v5, s15, v5, -1
	s_wait_alu 0xf1ff
	v_cndmask_b32_e64 v106, 0, 1, s15
	v_not_b32_e32 v110, v25
	v_cmp_gt_i32_e64 s15, 0, v25
	v_not_b32_e32 v25, v26
	v_lshlrev_b32_e32 v108, 26, v24
	v_cmp_ne_u32_e32 vcc_lo, 0, v106
	v_ashrrev_i32_e32 v110, 31, v110
	v_lshlrev_b32_e32 v109, 25, v24
	v_ashrrev_i32_e32 v25, 31, v25
	v_lshlrev_b32_e32 v106, 24, v24
	s_wait_alu 0xfffd
	v_xor_b32_e32 v5, vcc_lo, v5
	v_cmp_gt_i32_e32 vcc_lo, 0, v26
	v_not_b32_e32 v26, v27
	s_wait_alu 0xf1ff
	v_xor_b32_e32 v110, s15, v110
	v_cmp_gt_i32_e64 s15, 0, v27
	v_and_b32_e32 v5, exec_lo, v5
	v_not_b32_e32 v27, v107
	v_ashrrev_i32_e32 v26, 31, v26
	s_wait_alu 0xfffd
	v_xor_b32_e32 v25, vcc_lo, v25
	v_cmp_gt_i32_e32 vcc_lo, 0, v107
	v_and_b32_e32 v5, v5, v110
	v_not_b32_e32 v107, v108
	v_ashrrev_i32_e32 v27, 31, v27
	s_wait_alu 0xf1ff
	v_xor_b32_e32 v26, s15, v26
	v_cmp_gt_i32_e64 s15, 0, v108
	v_and_b32_e32 v5, v5, v25
	v_not_b32_e32 v25, v109
	v_ashrrev_i32_e32 v107, 31, v107
	s_wait_alu 0xfffd
	v_xor_b32_e32 v27, vcc_lo, v27
	v_cmp_gt_i32_e32 vcc_lo, 0, v109
	v_and_b32_e32 v5, v5, v26
	v_not_b32_e32 v26, v106
	v_ashrrev_i32_e32 v25, 31, v25
	s_wait_alu 0xf1ff
	v_xor_b32_e32 v107, s15, v107
	v_cmp_gt_i32_e64 s15, 0, v106
	v_and_b32_e32 v5, v5, v27
	v_ashrrev_i32_e32 v26, 31, v26
	s_wait_alu 0xfffd
	v_xor_b32_e32 v25, vcc_lo, v25
	v_mad_u32_u24 v27, v24, 36, v89
	v_mul_u32_u24_e32 v24, 36, v24
	v_and_b32_e32 v5, v5, v107
	s_wait_alu 0xf1ff
	v_xor_b32_e32 v26, s15, v26
	ds_load_b32 v106, v27 offset:1056
	v_add_nc_u32_e32 v109, v89, v24
	v_and_b32_e32 v5, v5, v25
	; wave barrier
	s_delay_alu instid0(VALU_DEP_1) | instskip(NEXT) | instid1(VALU_DEP_1)
	v_and_b32_e32 v5, v5, v26
	v_mbcnt_lo_u32_b32 v107, v5, 0
	v_cmp_ne_u32_e64 s15, 0, v5
	s_delay_alu instid0(VALU_DEP_2)
	v_cmp_eq_u32_e32 vcc_lo, 0, v107
	s_and_b32 s16, s15, vcc_lo
	s_wait_alu 0xfffe
	s_and_saveexec_b32 s15, s16
	s_cbranch_execz .LBB946_254
; %bb.253:                              ;   in Loop: Header=BB946_236 Depth=2
	s_wait_dscnt 0x0
	v_bcnt_u32_b32 v5, v5, v106
	ds_store_b32 v109, v5 offset:1056
.LBB946_254:                            ;   in Loop: Header=BB946_236 Depth=2
	s_wait_alu 0xfffe
	s_or_b32 exec_lo, exec_lo, s15
	v_xor_b32_e32 v108, 0x7fff, v6
	; wave barrier
	s_delay_alu instid0(VALU_DEP_1) | instskip(NEXT) | instid1(VALU_DEP_1)
	v_and_b32_e32 v5, 0xffff, v108
	v_lshrrev_b32_e32 v5, s23, v5
	s_delay_alu instid0(VALU_DEP_1) | instskip(NEXT) | instid1(VALU_DEP_1)
	v_and_b32_e32 v24, s42, v5
	v_and_b32_e32 v5, 1, v24
	v_lshlrev_b32_e32 v25, 30, v24
	v_lshlrev_b32_e32 v26, 29, v24
	;; [unrolled: 1-line block ×4, first 2 shown]
	v_add_co_u32 v5, s15, v5, -1
	s_wait_alu 0xf1ff
	v_cndmask_b32_e64 v110, 0, 1, s15
	v_not_b32_e32 v114, v25
	v_cmp_gt_i32_e64 s15, 0, v25
	v_not_b32_e32 v25, v26
	v_lshlrev_b32_e32 v112, 26, v24
	v_cmp_ne_u32_e32 vcc_lo, 0, v110
	v_ashrrev_i32_e32 v114, 31, v114
	v_lshlrev_b32_e32 v113, 25, v24
	v_ashrrev_i32_e32 v25, 31, v25
	v_lshlrev_b32_e32 v110, 24, v24
	s_wait_alu 0xfffd
	v_xor_b32_e32 v5, vcc_lo, v5
	v_cmp_gt_i32_e32 vcc_lo, 0, v26
	v_not_b32_e32 v26, v27
	s_wait_alu 0xf1ff
	v_xor_b32_e32 v114, s15, v114
	v_cmp_gt_i32_e64 s15, 0, v27
	v_and_b32_e32 v5, exec_lo, v5
	v_not_b32_e32 v27, v111
	v_ashrrev_i32_e32 v26, 31, v26
	s_wait_alu 0xfffd
	v_xor_b32_e32 v25, vcc_lo, v25
	v_cmp_gt_i32_e32 vcc_lo, 0, v111
	v_and_b32_e32 v5, v5, v114
	v_not_b32_e32 v111, v112
	v_ashrrev_i32_e32 v27, 31, v27
	s_wait_alu 0xf1ff
	v_xor_b32_e32 v26, s15, v26
	v_cmp_gt_i32_e64 s15, 0, v112
	v_and_b32_e32 v5, v5, v25
	v_not_b32_e32 v25, v113
	v_ashrrev_i32_e32 v111, 31, v111
	s_wait_alu 0xfffd
	v_xor_b32_e32 v27, vcc_lo, v27
	v_cmp_gt_i32_e32 vcc_lo, 0, v113
	v_and_b32_e32 v5, v5, v26
	v_not_b32_e32 v26, v110
	v_ashrrev_i32_e32 v25, 31, v25
	s_wait_alu 0xf1ff
	v_xor_b32_e32 v111, s15, v111
	v_cmp_gt_i32_e64 s15, 0, v110
	v_and_b32_e32 v5, v5, v27
	v_ashrrev_i32_e32 v26, 31, v26
	s_wait_alu 0xfffd
	v_xor_b32_e32 v25, vcc_lo, v25
	v_mad_u32_u24 v27, v24, 36, v89
	v_mul_u32_u24_e32 v24, 36, v24
	v_and_b32_e32 v5, v5, v111
	s_wait_alu 0xf1ff
	v_xor_b32_e32 v26, s15, v26
	ds_load_b32 v110, v27 offset:1056
	v_add_nc_u32_e32 v113, v89, v24
	v_and_b32_e32 v5, v5, v25
	; wave barrier
	s_delay_alu instid0(VALU_DEP_1) | instskip(NEXT) | instid1(VALU_DEP_1)
	v_and_b32_e32 v5, v5, v26
	v_mbcnt_lo_u32_b32 v112, v5, 0
	v_cmp_ne_u32_e64 s15, 0, v5
	s_delay_alu instid0(VALU_DEP_2)
	v_cmp_eq_u32_e32 vcc_lo, 0, v112
	s_and_b32 s16, s15, vcc_lo
	s_wait_alu 0xfffe
	s_and_saveexec_b32 s15, s16
	s_cbranch_execz .LBB946_256
; %bb.255:                              ;   in Loop: Header=BB946_236 Depth=2
	s_wait_dscnt 0x0
	v_bcnt_u32_b32 v5, v5, v110
	ds_store_b32 v113, v5 offset:1056
.LBB946_256:                            ;   in Loop: Header=BB946_236 Depth=2
	s_wait_alu 0xfffe
	s_or_b32 exec_lo, exec_lo, s15
	v_lshrrev_b32_e32 v5, 16, v6
	; wave barrier
	s_delay_alu instid0(VALU_DEP_1) | instskip(NEXT) | instid1(VALU_DEP_1)
	v_xor_b32_e32 v111, 0x7fff, v5
	v_and_b32_e32 v5, 0xffff, v111
	s_delay_alu instid0(VALU_DEP_1) | instskip(NEXT) | instid1(VALU_DEP_1)
	v_lshrrev_b32_e32 v5, s23, v5
	v_and_b32_e32 v6, s42, v5
	s_delay_alu instid0(VALU_DEP_1)
	v_and_b32_e32 v5, 1, v6
	v_lshlrev_b32_e32 v24, 30, v6
	v_lshlrev_b32_e32 v25, 29, v6
	;; [unrolled: 1-line block ×4, first 2 shown]
	v_add_co_u32 v5, s15, v5, -1
	s_wait_alu 0xf1ff
	v_cndmask_b32_e64 v27, 0, 1, s15
	v_not_b32_e32 v117, v24
	v_cmp_gt_i32_e64 s15, 0, v24
	v_not_b32_e32 v24, v25
	v_lshlrev_b32_e32 v115, 26, v6
	v_cmp_ne_u32_e32 vcc_lo, 0, v27
	v_ashrrev_i32_e32 v117, 31, v117
	v_lshlrev_b32_e32 v116, 25, v6
	v_ashrrev_i32_e32 v24, 31, v24
	v_lshlrev_b32_e32 v27, 24, v6
	s_wait_alu 0xfffd
	v_xor_b32_e32 v5, vcc_lo, v5
	v_cmp_gt_i32_e32 vcc_lo, 0, v25
	v_not_b32_e32 v25, v26
	s_wait_alu 0xf1ff
	v_xor_b32_e32 v117, s15, v117
	v_cmp_gt_i32_e64 s15, 0, v26
	v_and_b32_e32 v5, exec_lo, v5
	v_not_b32_e32 v26, v114
	v_ashrrev_i32_e32 v25, 31, v25
	s_wait_alu 0xfffd
	v_xor_b32_e32 v24, vcc_lo, v24
	v_cmp_gt_i32_e32 vcc_lo, 0, v114
	v_and_b32_e32 v5, v5, v117
	v_not_b32_e32 v114, v115
	v_ashrrev_i32_e32 v26, 31, v26
	s_wait_alu 0xf1ff
	v_xor_b32_e32 v25, s15, v25
	v_cmp_gt_i32_e64 s15, 0, v115
	v_and_b32_e32 v5, v5, v24
	v_not_b32_e32 v24, v116
	v_ashrrev_i32_e32 v114, 31, v114
	s_wait_alu 0xfffd
	v_xor_b32_e32 v26, vcc_lo, v26
	v_cmp_gt_i32_e32 vcc_lo, 0, v116
	v_and_b32_e32 v5, v5, v25
	v_not_b32_e32 v25, v27
	v_ashrrev_i32_e32 v24, 31, v24
	s_wait_alu 0xf1ff
	v_xor_b32_e32 v114, s15, v114
	v_cmp_gt_i32_e64 s15, 0, v27
	v_and_b32_e32 v5, v5, v26
	v_ashrrev_i32_e32 v25, 31, v25
	s_wait_alu 0xfffd
	v_xor_b32_e32 v24, vcc_lo, v24
	v_mad_u32_u24 v26, v6, 36, v89
	v_mul_u32_u24_e32 v6, 36, v6
	v_and_b32_e32 v5, v5, v114
	s_wait_alu 0xf1ff
	v_xor_b32_e32 v25, s15, v25
	ds_load_b32 v114, v26 offset:1056
	v_add_nc_u32_e32 v117, v89, v6
	v_and_b32_e32 v5, v5, v24
	; wave barrier
	s_delay_alu instid0(VALU_DEP_1) | instskip(NEXT) | instid1(VALU_DEP_1)
	v_and_b32_e32 v5, v5, v25
	v_mbcnt_lo_u32_b32 v116, v5, 0
	v_cmp_ne_u32_e64 s15, 0, v5
	s_delay_alu instid0(VALU_DEP_2)
	v_cmp_eq_u32_e32 vcc_lo, 0, v116
	s_and_b32 s16, s15, vcc_lo
	s_wait_alu 0xfffe
	s_and_saveexec_b32 s15, s16
	s_cbranch_execz .LBB946_258
; %bb.257:                              ;   in Loop: Header=BB946_236 Depth=2
	s_wait_dscnt 0x0
	v_bcnt_u32_b32 v5, v5, v114
	ds_store_b32 v117, v5 offset:1056
.LBB946_258:                            ;   in Loop: Header=BB946_236 Depth=2
	s_wait_alu 0xfffe
	s_or_b32 exec_lo, exec_lo, s15
	v_xor_b32_e32 v115, 0x7fff, v7
	; wave barrier
	s_delay_alu instid0(VALU_DEP_1) | instskip(NEXT) | instid1(VALU_DEP_1)
	v_and_b32_e32 v5, 0xffff, v115
	v_lshrrev_b32_e32 v5, s23, v5
	s_delay_alu instid0(VALU_DEP_1) | instskip(NEXT) | instid1(VALU_DEP_1)
	v_and_b32_e32 v6, s42, v5
	v_and_b32_e32 v5, 1, v6
	v_lshlrev_b32_e32 v24, 30, v6
	v_lshlrev_b32_e32 v25, 29, v6
	;; [unrolled: 1-line block ×4, first 2 shown]
	v_add_co_u32 v5, s15, v5, -1
	s_wait_alu 0xf1ff
	v_cndmask_b32_e64 v27, 0, 1, s15
	v_not_b32_e32 v121, v24
	v_cmp_gt_i32_e64 s15, 0, v24
	v_not_b32_e32 v24, v25
	v_lshlrev_b32_e32 v119, 26, v6
	v_cmp_ne_u32_e32 vcc_lo, 0, v27
	v_ashrrev_i32_e32 v121, 31, v121
	v_lshlrev_b32_e32 v120, 25, v6
	v_ashrrev_i32_e32 v24, 31, v24
	v_lshlrev_b32_e32 v27, 24, v6
	s_wait_alu 0xfffd
	v_xor_b32_e32 v5, vcc_lo, v5
	v_cmp_gt_i32_e32 vcc_lo, 0, v25
	v_not_b32_e32 v25, v26
	s_wait_alu 0xf1ff
	v_xor_b32_e32 v121, s15, v121
	v_cmp_gt_i32_e64 s15, 0, v26
	v_and_b32_e32 v5, exec_lo, v5
	v_not_b32_e32 v26, v118
	v_ashrrev_i32_e32 v25, 31, v25
	s_wait_alu 0xfffd
	v_xor_b32_e32 v24, vcc_lo, v24
	v_cmp_gt_i32_e32 vcc_lo, 0, v118
	v_and_b32_e32 v5, v5, v121
	v_not_b32_e32 v118, v119
	v_ashrrev_i32_e32 v26, 31, v26
	s_wait_alu 0xf1ff
	v_xor_b32_e32 v25, s15, v25
	v_cmp_gt_i32_e64 s15, 0, v119
	v_and_b32_e32 v5, v5, v24
	v_not_b32_e32 v24, v120
	v_ashrrev_i32_e32 v118, 31, v118
	s_wait_alu 0xfffd
	v_xor_b32_e32 v26, vcc_lo, v26
	v_cmp_gt_i32_e32 vcc_lo, 0, v120
	v_and_b32_e32 v5, v5, v25
	v_not_b32_e32 v25, v27
	v_ashrrev_i32_e32 v24, 31, v24
	s_wait_alu 0xf1ff
	v_xor_b32_e32 v118, s15, v118
	v_cmp_gt_i32_e64 s15, 0, v27
	v_and_b32_e32 v5, v5, v26
	v_ashrrev_i32_e32 v25, 31, v25
	s_wait_alu 0xfffd
	v_xor_b32_e32 v24, vcc_lo, v24
	v_mad_u32_u24 v26, v6, 36, v89
	v_mul_u32_u24_e32 v6, 36, v6
	v_and_b32_e32 v5, v5, v118
	s_wait_alu 0xf1ff
	v_xor_b32_e32 v25, s15, v25
	ds_load_b32 v118, v26 offset:1056
	v_add_nc_u32_e32 v121, v89, v6
	v_and_b32_e32 v5, v5, v24
	; wave barrier
	s_delay_alu instid0(VALU_DEP_1) | instskip(NEXT) | instid1(VALU_DEP_1)
	v_and_b32_e32 v5, v5, v25
	v_mbcnt_lo_u32_b32 v120, v5, 0
	v_cmp_ne_u32_e64 s15, 0, v5
	s_delay_alu instid0(VALU_DEP_2)
	v_cmp_eq_u32_e32 vcc_lo, 0, v120
	s_and_b32 s16, s15, vcc_lo
	s_wait_alu 0xfffe
	s_and_saveexec_b32 s15, s16
	s_cbranch_execz .LBB946_260
; %bb.259:                              ;   in Loop: Header=BB946_236 Depth=2
	s_wait_dscnt 0x0
	v_bcnt_u32_b32 v5, v5, v118
	ds_store_b32 v121, v5 offset:1056
.LBB946_260:                            ;   in Loop: Header=BB946_236 Depth=2
	s_wait_alu 0xfffe
	s_or_b32 exec_lo, exec_lo, s15
	v_lshrrev_b32_e32 v5, 16, v7
	; wave barrier
	s_delay_alu instid0(VALU_DEP_1) | instskip(NEXT) | instid1(VALU_DEP_1)
	v_xor_b32_e32 v119, 0x7fff, v5
	v_and_b32_e32 v5, 0xffff, v119
	s_delay_alu instid0(VALU_DEP_1) | instskip(NEXT) | instid1(VALU_DEP_1)
	v_lshrrev_b32_e32 v5, s23, v5
	v_and_b32_e32 v6, s42, v5
	s_delay_alu instid0(VALU_DEP_1)
	v_and_b32_e32 v5, 1, v6
	v_lshlrev_b32_e32 v7, 30, v6
	v_lshlrev_b32_e32 v24, 29, v6
	;; [unrolled: 1-line block ×4, first 2 shown]
	v_add_co_u32 v5, s15, v5, -1
	s_wait_alu 0xf1ff
	v_cndmask_b32_e64 v26, 0, 1, s15
	v_not_b32_e32 v124, v7
	v_cmp_gt_i32_e64 s15, 0, v7
	v_not_b32_e32 v7, v24
	v_lshlrev_b32_e32 v122, 26, v6
	v_cmp_ne_u32_e32 vcc_lo, 0, v26
	v_ashrrev_i32_e32 v124, 31, v124
	v_lshlrev_b32_e32 v123, 25, v6
	v_ashrrev_i32_e32 v7, 31, v7
	v_lshlrev_b32_e32 v26, 24, v6
	s_wait_alu 0xfffd
	v_xor_b32_e32 v5, vcc_lo, v5
	v_cmp_gt_i32_e32 vcc_lo, 0, v24
	v_not_b32_e32 v24, v25
	s_wait_alu 0xf1ff
	v_xor_b32_e32 v124, s15, v124
	v_cmp_gt_i32_e64 s15, 0, v25
	v_and_b32_e32 v5, exec_lo, v5
	v_not_b32_e32 v25, v27
	v_ashrrev_i32_e32 v24, 31, v24
	s_wait_alu 0xfffd
	v_xor_b32_e32 v7, vcc_lo, v7
	v_cmp_gt_i32_e32 vcc_lo, 0, v27
	v_and_b32_e32 v5, v5, v124
	v_not_b32_e32 v27, v122
	v_ashrrev_i32_e32 v25, 31, v25
	s_wait_alu 0xf1ff
	v_xor_b32_e32 v24, s15, v24
	v_cmp_gt_i32_e64 s15, 0, v122
	v_and_b32_e32 v5, v5, v7
	v_not_b32_e32 v7, v123
	v_ashrrev_i32_e32 v27, 31, v27
	s_wait_alu 0xfffd
	v_xor_b32_e32 v25, vcc_lo, v25
	v_cmp_gt_i32_e32 vcc_lo, 0, v123
	v_and_b32_e32 v5, v5, v24
	v_not_b32_e32 v24, v26
	v_ashrrev_i32_e32 v7, 31, v7
	s_wait_alu 0xf1ff
	v_xor_b32_e32 v27, s15, v27
	v_cmp_gt_i32_e64 s15, 0, v26
	v_and_b32_e32 v5, v5, v25
	v_ashrrev_i32_e32 v24, 31, v24
	s_wait_alu 0xfffd
	v_xor_b32_e32 v7, vcc_lo, v7
	v_mad_u32_u24 v25, v6, 36, v89
	v_mul_u32_u24_e32 v6, 36, v6
	v_and_b32_e32 v5, v5, v27
	s_wait_alu 0xf1ff
	v_xor_b32_e32 v24, s15, v24
	ds_load_b32 v122, v25 offset:1056
	v_add_nc_u32_e32 v125, v89, v6
	v_and_b32_e32 v5, v5, v7
	; wave barrier
	s_delay_alu instid0(VALU_DEP_1) | instskip(NEXT) | instid1(VALU_DEP_1)
	v_and_b32_e32 v5, v5, v24
	v_mbcnt_lo_u32_b32 v124, v5, 0
	v_cmp_ne_u32_e64 s15, 0, v5
	s_delay_alu instid0(VALU_DEP_2)
	v_cmp_eq_u32_e32 vcc_lo, 0, v124
	s_and_b32 s16, s15, vcc_lo
	s_wait_alu 0xfffe
	s_and_saveexec_b32 s15, s16
	s_cbranch_execz .LBB946_262
; %bb.261:                              ;   in Loop: Header=BB946_236 Depth=2
	s_wait_dscnt 0x0
	v_bcnt_u32_b32 v5, v5, v122
	ds_store_b32 v125, v5 offset:1056
.LBB946_262:                            ;   in Loop: Header=BB946_236 Depth=2
	s_wait_alu 0xfffe
	s_or_b32 exec_lo, exec_lo, s15
	v_xor_b32_e32 v123, 0x7fff, v8
	; wave barrier
	s_delay_alu instid0(VALU_DEP_1) | instskip(NEXT) | instid1(VALU_DEP_1)
	v_and_b32_e32 v5, 0xffff, v123
	v_lshrrev_b32_e32 v5, s23, v5
	s_delay_alu instid0(VALU_DEP_1) | instskip(NEXT) | instid1(VALU_DEP_1)
	v_and_b32_e32 v6, s42, v5
	v_and_b32_e32 v5, 1, v6
	v_lshlrev_b32_e32 v7, 30, v6
	v_lshlrev_b32_e32 v24, 29, v6
	;; [unrolled: 1-line block ×4, first 2 shown]
	v_add_co_u32 v5, s15, v5, -1
	s_wait_alu 0xf1ff
	v_cndmask_b32_e64 v26, 0, 1, s15
	v_not_b32_e32 v128, v7
	v_cmp_gt_i32_e64 s15, 0, v7
	v_not_b32_e32 v7, v24
	v_lshlrev_b32_e32 v126, 26, v6
	v_cmp_ne_u32_e32 vcc_lo, 0, v26
	v_ashrrev_i32_e32 v128, 31, v128
	v_lshlrev_b32_e32 v127, 25, v6
	v_ashrrev_i32_e32 v7, 31, v7
	v_lshlrev_b32_e32 v26, 24, v6
	s_wait_alu 0xfffd
	v_xor_b32_e32 v5, vcc_lo, v5
	v_cmp_gt_i32_e32 vcc_lo, 0, v24
	v_not_b32_e32 v24, v25
	s_wait_alu 0xf1ff
	v_xor_b32_e32 v128, s15, v128
	v_cmp_gt_i32_e64 s15, 0, v25
	v_and_b32_e32 v5, exec_lo, v5
	v_not_b32_e32 v25, v27
	v_ashrrev_i32_e32 v24, 31, v24
	s_wait_alu 0xfffd
	v_xor_b32_e32 v7, vcc_lo, v7
	v_cmp_gt_i32_e32 vcc_lo, 0, v27
	v_and_b32_e32 v5, v5, v128
	v_not_b32_e32 v27, v126
	v_ashrrev_i32_e32 v25, 31, v25
	s_wait_alu 0xf1ff
	v_xor_b32_e32 v24, s15, v24
	v_cmp_gt_i32_e64 s15, 0, v126
	v_and_b32_e32 v5, v5, v7
	v_not_b32_e32 v7, v127
	v_ashrrev_i32_e32 v27, 31, v27
	s_wait_alu 0xfffd
	v_xor_b32_e32 v25, vcc_lo, v25
	v_cmp_gt_i32_e32 vcc_lo, 0, v127
	v_and_b32_e32 v5, v5, v24
	v_not_b32_e32 v24, v26
	v_ashrrev_i32_e32 v7, 31, v7
	s_wait_alu 0xf1ff
	v_xor_b32_e32 v27, s15, v27
	v_cmp_gt_i32_e64 s15, 0, v26
	v_and_b32_e32 v5, v5, v25
	v_ashrrev_i32_e32 v24, 31, v24
	s_wait_alu 0xfffd
	v_xor_b32_e32 v7, vcc_lo, v7
	v_mad_u32_u24 v25, v6, 36, v89
	v_mul_u32_u24_e32 v6, 36, v6
	v_and_b32_e32 v5, v5, v27
	s_wait_alu 0xf1ff
	v_xor_b32_e32 v24, s15, v24
	ds_load_b32 v126, v25 offset:1056
	v_add_nc_u32_e32 v129, v89, v6
	v_and_b32_e32 v5, v5, v7
	; wave barrier
	s_delay_alu instid0(VALU_DEP_1) | instskip(NEXT) | instid1(VALU_DEP_1)
	v_and_b32_e32 v5, v5, v24
	v_mbcnt_lo_u32_b32 v127, v5, 0
	v_cmp_ne_u32_e64 s15, 0, v5
	s_delay_alu instid0(VALU_DEP_2)
	v_cmp_eq_u32_e32 vcc_lo, 0, v127
	s_and_b32 s16, s15, vcc_lo
	s_wait_alu 0xfffe
	s_and_saveexec_b32 s15, s16
	s_cbranch_execz .LBB946_264
; %bb.263:                              ;   in Loop: Header=BB946_236 Depth=2
	s_wait_dscnt 0x0
	v_bcnt_u32_b32 v5, v5, v126
	ds_store_b32 v129, v5 offset:1056
.LBB946_264:                            ;   in Loop: Header=BB946_236 Depth=2
	s_wait_alu 0xfffe
	s_or_b32 exec_lo, exec_lo, s15
	v_lshrrev_b32_e32 v5, 16, v8
	; wave barrier
	s_delay_alu instid0(VALU_DEP_1) | instskip(NEXT) | instid1(VALU_DEP_1)
	v_xor_b32_e32 v128, 0x7fff, v5
	v_and_b32_e32 v5, 0xffff, v128
	s_delay_alu instid0(VALU_DEP_1) | instskip(NEXT) | instid1(VALU_DEP_1)
	v_lshrrev_b32_e32 v5, s23, v5
	v_and_b32_e32 v6, s42, v5
	s_delay_alu instid0(VALU_DEP_1)
	v_and_b32_e32 v5, 1, v6
	v_lshlrev_b32_e32 v7, 30, v6
	v_lshlrev_b32_e32 v8, 29, v6
	;; [unrolled: 1-line block ×4, first 2 shown]
	v_add_co_u32 v5, s15, v5, -1
	s_wait_alu 0xf1ff
	v_cndmask_b32_e64 v25, 0, 1, s15
	v_not_b32_e32 v131, v7
	v_cmp_gt_i32_e64 s15, 0, v7
	v_not_b32_e32 v7, v8
	v_lshlrev_b32_e32 v27, 26, v6
	v_cmp_ne_u32_e32 vcc_lo, 0, v25
	v_ashrrev_i32_e32 v131, 31, v131
	v_lshlrev_b32_e32 v130, 25, v6
	v_ashrrev_i32_e32 v7, 31, v7
	v_lshlrev_b32_e32 v25, 24, v6
	s_wait_alu 0xfffd
	v_xor_b32_e32 v5, vcc_lo, v5
	v_cmp_gt_i32_e32 vcc_lo, 0, v8
	v_not_b32_e32 v8, v24
	s_wait_alu 0xf1ff
	v_xor_b32_e32 v131, s15, v131
	v_cmp_gt_i32_e64 s15, 0, v24
	v_and_b32_e32 v5, exec_lo, v5
	v_not_b32_e32 v24, v26
	v_ashrrev_i32_e32 v8, 31, v8
	s_wait_alu 0xfffd
	v_xor_b32_e32 v7, vcc_lo, v7
	v_cmp_gt_i32_e32 vcc_lo, 0, v26
	v_and_b32_e32 v5, v5, v131
	v_not_b32_e32 v26, v27
	v_ashrrev_i32_e32 v24, 31, v24
	s_wait_alu 0xf1ff
	v_xor_b32_e32 v8, s15, v8
	v_cmp_gt_i32_e64 s15, 0, v27
	v_and_b32_e32 v5, v5, v7
	v_not_b32_e32 v7, v130
	v_ashrrev_i32_e32 v26, 31, v26
	s_wait_alu 0xfffd
	v_xor_b32_e32 v24, vcc_lo, v24
	v_cmp_gt_i32_e32 vcc_lo, 0, v130
	v_and_b32_e32 v5, v5, v8
	v_not_b32_e32 v8, v25
	v_ashrrev_i32_e32 v7, 31, v7
	s_wait_alu 0xf1ff
	v_xor_b32_e32 v26, s15, v26
	v_cmp_gt_i32_e64 s15, 0, v25
	v_and_b32_e32 v5, v5, v24
	v_ashrrev_i32_e32 v8, 31, v8
	s_wait_alu 0xfffd
	v_xor_b32_e32 v7, vcc_lo, v7
	v_mad_u32_u24 v24, v6, 36, v89
	v_mul_u32_u24_e32 v6, 36, v6
	v_and_b32_e32 v5, v5, v26
	s_wait_alu 0xf1ff
	v_xor_b32_e32 v8, s15, v8
	ds_load_b32 v130, v24 offset:1056
	v_add_nc_u32_e32 v132, v89, v6
	v_and_b32_e32 v5, v5, v7
	; wave barrier
	s_delay_alu instid0(VALU_DEP_1) | instskip(NEXT) | instid1(VALU_DEP_1)
	v_and_b32_e32 v5, v5, v8
	v_mbcnt_lo_u32_b32 v131, v5, 0
	v_cmp_ne_u32_e64 s15, 0, v5
	s_delay_alu instid0(VALU_DEP_2)
	v_cmp_eq_u32_e32 vcc_lo, 0, v131
	s_and_b32 s16, s15, vcc_lo
	s_wait_alu 0xfffe
	s_and_saveexec_b32 s15, s16
	s_cbranch_execz .LBB946_266
; %bb.265:                              ;   in Loop: Header=BB946_236 Depth=2
	s_wait_dscnt 0x0
	v_bcnt_u32_b32 v5, v5, v130
	ds_store_b32 v132, v5 offset:1056
.LBB946_266:                            ;   in Loop: Header=BB946_236 Depth=2
	s_wait_alu 0xfffe
	s_or_b32 exec_lo, exec_lo, s15
	; wave barrier
	s_wait_loadcnt_dscnt 0x0
	s_barrier_signal -1
	s_barrier_wait -1
	global_inv scope:SCOPE_SE
	ds_load_2addr_b32 v[26:27], v102 offset1:1
	ds_load_2addr_b32 v[24:25], v103 offset1:1
	ds_load_2addr_b32 v[7:8], v104 offset1:1
	ds_load_2addr_b32 v[5:6], v101 offset1:1
	ds_load_b32 v133, v43 offset:1088
	s_wait_dscnt 0x3
	v_add3_u32 v134, v27, v26, v24
	s_wait_dscnt 0x2
	s_delay_alu instid0(VALU_DEP_1) | instskip(SKIP_1) | instid1(VALU_DEP_1)
	v_add3_u32 v134, v134, v25, v7
	s_wait_dscnt 0x1
	v_add3_u32 v134, v134, v8, v5
	s_wait_dscnt 0x0
	s_delay_alu instid0(VALU_DEP_1) | instskip(NEXT) | instid1(VALU_DEP_1)
	v_add3_u32 v133, v134, v6, v133
	v_mov_b32_dpp v134, v133 row_shr:1 row_mask:0xf bank_mask:0xf
	s_delay_alu instid0(VALU_DEP_1) | instskip(NEXT) | instid1(VALU_DEP_1)
	v_cndmask_b32_e64 v134, v134, 0, s0
	v_add_nc_u32_e32 v133, v134, v133
	s_delay_alu instid0(VALU_DEP_1) | instskip(NEXT) | instid1(VALU_DEP_1)
	v_mov_b32_dpp v134, v133 row_shr:2 row_mask:0xf bank_mask:0xf
	v_cndmask_b32_e64 v134, 0, v134, s1
	s_delay_alu instid0(VALU_DEP_1) | instskip(NEXT) | instid1(VALU_DEP_1)
	v_add_nc_u32_e32 v133, v133, v134
	v_mov_b32_dpp v134, v133 row_shr:4 row_mask:0xf bank_mask:0xf
	s_delay_alu instid0(VALU_DEP_1) | instskip(NEXT) | instid1(VALU_DEP_1)
	v_cndmask_b32_e64 v134, 0, v134, s9
	v_add_nc_u32_e32 v133, v133, v134
	s_delay_alu instid0(VALU_DEP_1) | instskip(NEXT) | instid1(VALU_DEP_1)
	v_mov_b32_dpp v134, v133 row_shr:8 row_mask:0xf bank_mask:0xf
	v_cndmask_b32_e64 v134, 0, v134, s10
	s_delay_alu instid0(VALU_DEP_1) | instskip(SKIP_3) | instid1(VALU_DEP_1)
	v_add_nc_u32_e32 v133, v133, v134
	ds_swizzle_b32 v134, v133 offset:swizzle(BROADCAST,32,15)
	s_wait_dscnt 0x0
	v_cndmask_b32_e64 v134, v134, 0, s11
	v_add_nc_u32_e32 v133, v133, v134
	s_and_saveexec_b32 s15, s3
; %bb.267:                              ;   in Loop: Header=BB946_236 Depth=2
	ds_store_b32 v38, v133 offset:1024
; %bb.268:                              ;   in Loop: Header=BB946_236 Depth=2
	s_wait_alu 0xfffe
	s_or_b32 exec_lo, exec_lo, s15
	s_wait_loadcnt_dscnt 0x0
	s_barrier_signal -1
	s_barrier_wait -1
	global_inv scope:SCOPE_SE
	s_and_saveexec_b32 s15, s4
	s_cbranch_execz .LBB946_270
; %bb.269:                              ;   in Loop: Header=BB946_236 Depth=2
	ds_load_b32 v134, v47 offset:1024
	s_wait_dscnt 0x0
	v_mov_b32_dpp v135, v134 row_shr:1 row_mask:0xf bank_mask:0xf
	s_delay_alu instid0(VALU_DEP_1) | instskip(NEXT) | instid1(VALU_DEP_1)
	v_cndmask_b32_e64 v135, v135, 0, s12
	v_add_nc_u32_e32 v134, v135, v134
	s_delay_alu instid0(VALU_DEP_1) | instskip(NEXT) | instid1(VALU_DEP_1)
	v_mov_b32_dpp v135, v134 row_shr:2 row_mask:0xf bank_mask:0xf
	v_cndmask_b32_e64 v135, 0, v135, s13
	s_delay_alu instid0(VALU_DEP_1) | instskip(NEXT) | instid1(VALU_DEP_1)
	v_add_nc_u32_e32 v134, v134, v135
	v_mov_b32_dpp v135, v134 row_shr:4 row_mask:0xf bank_mask:0xf
	s_delay_alu instid0(VALU_DEP_1) | instskip(NEXT) | instid1(VALU_DEP_1)
	v_cndmask_b32_e64 v135, 0, v135, s14
	v_add_nc_u32_e32 v134, v134, v135
	ds_store_b32 v47, v134 offset:1024
.LBB946_270:                            ;   in Loop: Header=BB946_236 Depth=2
	s_wait_alu 0xfffe
	s_or_b32 exec_lo, exec_lo, s15
	v_mov_b32_e32 v134, 0
	s_wait_loadcnt_dscnt 0x0
	s_barrier_signal -1
	s_barrier_wait -1
	global_inv scope:SCOPE_SE
	s_and_saveexec_b32 s15, s5
; %bb.271:                              ;   in Loop: Header=BB946_236 Depth=2
	ds_load_b32 v134, v38 offset:1020
; %bb.272:                              ;   in Loop: Header=BB946_236 Depth=2
	s_wait_alu 0xfffe
	s_or_b32 exec_lo, exec_lo, s15
	s_wait_dscnt 0x0
	v_add_nc_u32_e32 v133, v134, v133
	ds_bpermute_b32 v133, v84, v133
	s_wait_dscnt 0x0
	v_cndmask_b32_e64 v133, v133, v134, s8
	s_delay_alu instid0(VALU_DEP_1) | instskip(NEXT) | instid1(VALU_DEP_1)
	v_cndmask_b32_e64 v133, v133, 0, s6
	v_add_nc_u32_e32 v26, v133, v26
	s_delay_alu instid0(VALU_DEP_1) | instskip(NEXT) | instid1(VALU_DEP_1)
	v_add_nc_u32_e32 v27, v26, v27
	v_add_nc_u32_e32 v24, v27, v24
	s_delay_alu instid0(VALU_DEP_1) | instskip(NEXT) | instid1(VALU_DEP_1)
	v_add_nc_u32_e32 v25, v24, v25
	;; [unrolled: 3-line block ×3, first 2 shown]
	v_add_nc_u32_e32 v5, v8, v5
	s_delay_alu instid0(VALU_DEP_1)
	v_add_nc_u32_e32 v6, v5, v6
	ds_store_2addr_b32 v101, v8, v5 offset1:1
	ds_store_2addr_b32 v102, v133, v26 offset1:1
	;; [unrolled: 1-line block ×4, first 2 shown]
	ds_store_b32 v43, v6 offset:1088
	s_wait_loadcnt_dscnt 0x0
	s_barrier_signal -1
	s_barrier_wait -1
	global_inv scope:SCOPE_SE
	ds_load_b32 v8, v105 offset:1056
	ds_load_b32 v24, v109 offset:1056
	ds_load_b32 v25, v113 offset:1056
	ds_load_b32 v26, v117 offset:1056
	ds_load_b32 v27, v121 offset:1056
	ds_load_b32 v103, v125 offset:1056
	ds_load_b32 v5, v129 offset:1056
	ds_load_b32 v6, v132 offset:1056
	ds_load_b32 v101, v43 offset:1056
	v_mov_b32_e32 v7, 0x800
	s_and_saveexec_b32 s15, s7
; %bb.273:                              ;   in Loop: Header=BB946_236 Depth=2
	ds_load_b32 v7, v43 offset:1092
; %bb.274:                              ;   in Loop: Header=BB946_236 Depth=2
	s_wait_alu 0xfffe
	s_or_b32 exec_lo, exec_lo, s15
	s_wait_loadcnt_dscnt 0x0
	s_barrier_signal -1
	s_barrier_wait -1
	global_inv scope:SCOPE_SE
	s_and_saveexec_b32 s15, s2
	s_cbranch_execz .LBB946_276
; %bb.275:                              ;   in Loop: Header=BB946_236 Depth=2
	ds_load_b32 v102, v28
	s_wait_dscnt 0x0
	v_sub_nc_u32_e32 v101, v102, v101
	ds_store_b32 v28, v101
.LBB946_276:                            ;   in Loop: Header=BB946_236 Depth=2
	s_wait_alu 0xfffe
	s_or_b32 exec_lo, exec_lo, s15
	v_add_nc_u32_e32 v102, v8, v99
	v_add3_u32 v101, v107, v106, v24
	v_add3_u32 v99, v112, v110, v25
	;; [unrolled: 1-line block ×4, first 2 shown]
	v_lshlrev_b32_e32 v103, 1, v102
	v_add3_u32 v24, v120, v118, v27
	v_lshlrev_b32_e32 v104, 1, v101
	v_lshlrev_b32_e32 v105, 1, v99
	v_add3_u32 v27, v127, v126, v5
	v_add3_u32 v26, v131, v130, v6
	ds_store_b16 v103, v0 offset:1024
	ds_store_b16 v104, v100 offset:1024
	ds_store_b16 v105, v108 offset:1024
	v_lshlrev_b32_e32 v0, 1, v25
	v_cmp_lt_u32_e32 vcc_lo, v13, v98
	v_lshlrev_b32_e32 v5, 1, v24
	v_lshlrev_b32_e32 v6, 1, v8
	;; [unrolled: 1-line block ×4, first 2 shown]
	ds_store_b16 v0, v111 offset:1024
	ds_store_b16 v5, v115 offset:1024
	;; [unrolled: 1-line block ×5, first 2 shown]
	s_wait_loadcnt_dscnt 0x0
	s_barrier_signal -1
	s_barrier_wait -1
	global_inv scope:SCOPE_SE
	s_and_saveexec_b32 s16, vcc_lo
	s_cbranch_execnz .LBB946_313
; %bb.277:                              ;   in Loop: Header=BB946_236 Depth=2
	s_wait_alu 0xfffe
	s_or_b32 exec_lo, exec_lo, s16
	v_cmp_lt_u32_e64 s15, v29, v98
	s_and_saveexec_b32 s17, s15
	s_cbranch_execnz .LBB946_314
.LBB946_278:                            ;   in Loop: Header=BB946_236 Depth=2
	s_wait_alu 0xfffe
	s_or_b32 exec_lo, exec_lo, s17
	v_cmp_lt_u32_e64 s16, v30, v98
	s_and_saveexec_b32 s18, s16
	s_cbranch_execnz .LBB946_315
.LBB946_279:                            ;   in Loop: Header=BB946_236 Depth=2
	s_wait_alu 0xfffe
	s_or_b32 exec_lo, exec_lo, s18
	v_cmp_lt_u32_e64 s17, v31, v98
	s_and_saveexec_b32 s19, s17
	s_cbranch_execnz .LBB946_316
.LBB946_280:                            ;   in Loop: Header=BB946_236 Depth=2
	s_wait_alu 0xfffe
	s_or_b32 exec_lo, exec_lo, s19
	v_cmp_lt_u32_e64 s18, v34, v98
	s_and_saveexec_b32 s20, s18
	s_cbranch_execnz .LBB946_317
.LBB946_281:                            ;   in Loop: Header=BB946_236 Depth=2
	s_wait_alu 0xfffe
	s_or_b32 exec_lo, exec_lo, s20
	v_cmp_lt_u32_e64 s19, v35, v98
	s_and_saveexec_b32 s21, s19
	s_cbranch_execnz .LBB946_318
.LBB946_282:                            ;   in Loop: Header=BB946_236 Depth=2
	s_wait_alu 0xfffe
	s_or_b32 exec_lo, exec_lo, s21
	v_cmp_lt_u32_e64 s20, v36, v98
	s_and_saveexec_b32 s22, s20
	s_cbranch_execnz .LBB946_319
.LBB946_283:                            ;   in Loop: Header=BB946_236 Depth=2
	s_wait_alu 0xfffe
	s_or_b32 exec_lo, exec_lo, s22
	v_cmp_lt_u32_e64 s21, v37, v98
	s_and_saveexec_b32 s48, s21
	s_cbranch_execz .LBB946_285
.LBB946_284:                            ;   in Loop: Header=BB946_236 Depth=2
	ds_load_u16 v100, v48 offset:4608
	s_wait_dscnt 0x0
	v_and_b32_e32 v0, 0xffff, v100
	s_delay_alu instid0(VALU_DEP_1) | instskip(NEXT) | instid1(VALU_DEP_1)
	v_lshrrev_b32_e32 v0, s23, v0
	v_and_b32_e32 v0, s42, v0
	s_delay_alu instid0(VALU_DEP_1) | instskip(SKIP_3) | instid1(VALU_DEP_1)
	v_lshlrev_b32_e32 v0, 2, v0
	ds_load_b32 v0, v0
	s_wait_dscnt 0x0
	v_add_nc_u32_e32 v0, v0, v37
	v_lshlrev_b64_e32 v[5:6], 1, v[0:1]
	v_xor_b32_e32 v0, 0x7fff, v100
	s_delay_alu instid0(VALU_DEP_2) | instskip(SKIP_1) | instid1(VALU_DEP_3)
	v_add_co_u32 v5, s22, s40, v5
	s_wait_alu 0xf1ff
	v_add_co_ci_u32_e64 v6, null, s41, v6, s22
	global_store_b16 v[5:6], v0, off
.LBB946_285:                            ;   in Loop: Header=BB946_236 Depth=2
	s_wait_alu 0xfffe
	s_or_b32 exec_lo, exec_lo, s48
	s_lshl_b64 s[48:49], s[30:31], 3
	s_wait_alu 0xfffe
	v_add_co_u32 v5, s22, v85, s48
	s_wait_alu 0xf1ff
	v_add_co_ci_u32_e64 v6, null, s49, v86, s22
	v_cmp_lt_u32_e64 s22, v67, v98
	s_and_saveexec_b32 s30, s22
	s_wait_alu 0xfffe
	s_xor_b32 s22, exec_lo, s30
	s_cbranch_execnz .LBB946_320
; %bb.286:                              ;   in Loop: Header=BB946_236 Depth=2
	s_wait_alu 0xfffe
	s_or_b32 exec_lo, exec_lo, s22
	s_delay_alu instid0(SALU_CYCLE_1)
	s_mov_b32 s30, exec_lo
	v_cmpx_lt_u32_e64 v71, v98
	s_cbranch_execnz .LBB946_321
.LBB946_287:                            ;   in Loop: Header=BB946_236 Depth=2
	s_wait_alu 0xfffe
	s_or_b32 exec_lo, exec_lo, s30
	s_delay_alu instid0(SALU_CYCLE_1)
	s_mov_b32 s30, exec_lo
	v_cmpx_lt_u32_e64 v72, v98
	s_cbranch_execnz .LBB946_322
.LBB946_288:                            ;   in Loop: Header=BB946_236 Depth=2
	s_wait_alu 0xfffe
	s_or_b32 exec_lo, exec_lo, s30
	s_delay_alu instid0(SALU_CYCLE_1)
	s_mov_b32 s30, exec_lo
	v_cmpx_lt_u32_e64 v73, v98
	s_cbranch_execnz .LBB946_323
.LBB946_289:                            ;   in Loop: Header=BB946_236 Depth=2
	s_wait_alu 0xfffe
	s_or_b32 exec_lo, exec_lo, s30
	s_delay_alu instid0(SALU_CYCLE_1)
	s_mov_b32 s30, exec_lo
	v_cmpx_lt_u32_e64 v74, v98
	s_cbranch_execnz .LBB946_324
.LBB946_290:                            ;   in Loop: Header=BB946_236 Depth=2
	s_wait_alu 0xfffe
	s_or_b32 exec_lo, exec_lo, s30
	s_delay_alu instid0(SALU_CYCLE_1)
	s_mov_b32 s30, exec_lo
	v_cmpx_lt_u32_e64 v75, v98
	s_cbranch_execnz .LBB946_325
.LBB946_291:                            ;   in Loop: Header=BB946_236 Depth=2
	s_wait_alu 0xfffe
	s_or_b32 exec_lo, exec_lo, s30
	s_delay_alu instid0(SALU_CYCLE_1)
	s_mov_b32 s30, exec_lo
	v_cmpx_lt_u32_e64 v76, v98
	s_cbranch_execnz .LBB946_326
.LBB946_292:                            ;   in Loop: Header=BB946_236 Depth=2
	s_wait_alu 0xfffe
	s_or_b32 exec_lo, exec_lo, s30
	s_delay_alu instid0(SALU_CYCLE_1)
	s_mov_b32 s30, exec_lo
	v_cmpx_lt_u32_e64 v77, v98
	s_cbranch_execnz .LBB946_327
.LBB946_293:                            ;   in Loop: Header=BB946_236 Depth=2
	s_wait_alu 0xfffe
	s_or_b32 exec_lo, exec_lo, s30
	s_and_saveexec_b32 s22, vcc_lo
	s_cbranch_execnz .LBB946_328
.LBB946_294:                            ;   in Loop: Header=BB946_236 Depth=2
	s_wait_alu 0xfffe
	s_or_b32 exec_lo, exec_lo, s22
	s_and_saveexec_b32 s22, s15
	s_cbranch_execnz .LBB946_329
.LBB946_295:                            ;   in Loop: Header=BB946_236 Depth=2
	s_wait_alu 0xfffe
	s_or_b32 exec_lo, exec_lo, s22
	s_and_saveexec_b32 s22, s16
	s_cbranch_execnz .LBB946_330
.LBB946_296:                            ;   in Loop: Header=BB946_236 Depth=2
	s_wait_alu 0xfffe
	s_or_b32 exec_lo, exec_lo, s22
	s_and_saveexec_b32 s22, s17
	s_cbranch_execnz .LBB946_331
.LBB946_297:                            ;   in Loop: Header=BB946_236 Depth=2
	s_wait_alu 0xfffe
	s_or_b32 exec_lo, exec_lo, s22
	s_and_saveexec_b32 s22, s18
	s_cbranch_execnz .LBB946_332
.LBB946_298:                            ;   in Loop: Header=BB946_236 Depth=2
	s_wait_alu 0xfffe
	s_or_b32 exec_lo, exec_lo, s22
	s_and_saveexec_b32 s22, s19
	s_cbranch_execnz .LBB946_333
.LBB946_299:                            ;   in Loop: Header=BB946_236 Depth=2
	s_wait_alu 0xfffe
	s_or_b32 exec_lo, exec_lo, s22
	s_and_saveexec_b32 s22, s20
	s_cbranch_execnz .LBB946_334
.LBB946_300:                            ;   in Loop: Header=BB946_236 Depth=2
	s_wait_alu 0xfffe
	s_or_b32 exec_lo, exec_lo, s22
	s_and_saveexec_b32 s22, s21
	s_cbranch_execz .LBB946_302
.LBB946_301:                            ;   in Loop: Header=BB946_236 Depth=2
	ds_load_u16 v0, v48 offset:4608
	s_wait_dscnt 0x0
	v_lshrrev_b32_e32 v0, s23, v0
	s_delay_alu instid0(VALU_DEP_1)
	v_and_b32_e32 v90, s42, v0
.LBB946_302:                            ;   in Loop: Header=BB946_236 Depth=2
	s_wait_alu 0xfffe
	s_or_b32 exec_lo, exec_lo, s22
	v_lshlrev_b32_e32 v0, 3, v102
	v_lshlrev_b32_e32 v5, 3, v101
	;; [unrolled: 1-line block ×3, first 2 shown]
	s_wait_loadcnt 0x0
	s_wait_storecnt 0x0
	s_barrier_signal -1
	s_barrier_wait -1
	global_inv scope:SCOPE_SE
	ds_store_b64 v0, v[22:23] offset:1024
	ds_store_b64 v5, v[20:21] offset:1024
	;; [unrolled: 1-line block ×3, first 2 shown]
	v_lshlrev_b32_e32 v0, 3, v25
	v_lshlrev_b32_e32 v5, 3, v24
	;; [unrolled: 1-line block ×5, first 2 shown]
	ds_store_b64 v0, v[16:17] offset:1024
	ds_store_b64 v5, v[14:15] offset:1024
	;; [unrolled: 1-line block ×5, first 2 shown]
	s_wait_loadcnt_dscnt 0x0
	s_barrier_signal -1
	s_barrier_wait -1
	global_inv scope:SCOPE_SE
	s_and_saveexec_b32 s22, vcc_lo
	s_cbranch_execnz .LBB946_335
; %bb.303:                              ;   in Loop: Header=BB946_236 Depth=2
	s_wait_alu 0xfffe
	s_or_b32 exec_lo, exec_lo, s22
	s_and_saveexec_b32 s22, s15
	s_cbranch_execnz .LBB946_336
.LBB946_304:                            ;   in Loop: Header=BB946_236 Depth=2
	s_wait_alu 0xfffe
	s_or_b32 exec_lo, exec_lo, s22
	s_and_saveexec_b32 s15, s16
	s_cbranch_execnz .LBB946_337
.LBB946_305:                            ;   in Loop: Header=BB946_236 Depth=2
	s_wait_alu 0xfffe
	s_or_b32 exec_lo, exec_lo, s15
	s_and_saveexec_b32 s15, s17
	s_cbranch_execnz .LBB946_338
.LBB946_306:                            ;   in Loop: Header=BB946_236 Depth=2
	s_wait_alu 0xfffe
	s_or_b32 exec_lo, exec_lo, s15
	s_and_saveexec_b32 s15, s18
	s_cbranch_execnz .LBB946_339
.LBB946_307:                            ;   in Loop: Header=BB946_236 Depth=2
	s_wait_alu 0xfffe
	s_or_b32 exec_lo, exec_lo, s15
	s_and_saveexec_b32 s15, s19
	s_cbranch_execnz .LBB946_340
.LBB946_308:                            ;   in Loop: Header=BB946_236 Depth=2
	s_wait_alu 0xfffe
	s_or_b32 exec_lo, exec_lo, s15
	s_and_saveexec_b32 s15, s20
	s_cbranch_execnz .LBB946_341
.LBB946_309:                            ;   in Loop: Header=BB946_236 Depth=2
	s_wait_alu 0xfffe
	s_or_b32 exec_lo, exec_lo, s15
	s_and_saveexec_b32 s15, s21
	s_cbranch_execz .LBB946_311
.LBB946_310:                            ;   in Loop: Header=BB946_236 Depth=2
	v_lshlrev_b32_e32 v0, 2, v90
	v_add_nc_u32_e32 v5, v48, v49
	ds_load_b32 v0, v0
	ds_load_b64 v[5:6], v5 offset:15360
	s_wait_dscnt 0x1
	v_add_nc_u32_e32 v0, v0, v37
	s_delay_alu instid0(VALU_DEP_1) | instskip(NEXT) | instid1(VALU_DEP_1)
	v_lshlrev_b64_e32 v[24:25], 3, v[0:1]
	v_add_co_u32 v24, vcc_lo, s26, v24
	s_wait_alu 0xfffd
	s_delay_alu instid0(VALU_DEP_2)
	v_add_co_ci_u32_e64 v25, null, s27, v25, vcc_lo
	s_wait_dscnt 0x0
	global_store_b64 v[24:25], v[5:6], off
.LBB946_311:                            ;   in Loop: Header=BB946_236 Depth=2
	s_wait_alu 0xfffe
	s_or_b32 exec_lo, exec_lo, s15
	s_wait_loadcnt 0x0
	s_wait_storecnt 0x0
	s_barrier_signal -1
	s_barrier_wait -1
	global_inv scope:SCOPE_SE
	s_and_saveexec_b32 s15, s2
	s_cbranch_execz .LBB946_235
; %bb.312:                              ;   in Loop: Header=BB946_236 Depth=2
	ds_load_b32 v0, v28
	s_wait_dscnt 0x0
	v_add_nc_u32_e32 v0, v0, v7
	ds_store_b32 v28, v0
	s_branch .LBB946_235
.LBB946_313:                            ;   in Loop: Header=BB946_236 Depth=2
	ds_load_u16 v100, v48 offset:1024
	s_wait_dscnt 0x0
	v_and_b32_e32 v0, 0xffff, v100
	s_delay_alu instid0(VALU_DEP_1) | instskip(NEXT) | instid1(VALU_DEP_1)
	v_lshrrev_b32_e32 v0, s23, v0
	v_and_b32_e32 v0, s42, v0
	s_delay_alu instid0(VALU_DEP_1) | instskip(SKIP_3) | instid1(VALU_DEP_1)
	v_lshlrev_b32_e32 v0, 2, v0
	ds_load_b32 v0, v0
	s_wait_dscnt 0x0
	v_add_nc_u32_e32 v0, v0, v13
	v_lshlrev_b64_e32 v[5:6], 1, v[0:1]
	v_xor_b32_e32 v0, 0x7fff, v100
	s_delay_alu instid0(VALU_DEP_2) | instskip(SKIP_1) | instid1(VALU_DEP_3)
	v_add_co_u32 v5, s15, s40, v5
	s_wait_alu 0xf1ff
	v_add_co_ci_u32_e64 v6, null, s41, v6, s15
	global_store_b16 v[5:6], v0, off
	s_wait_alu 0xfffe
	s_or_b32 exec_lo, exec_lo, s16
	v_cmp_lt_u32_e64 s15, v29, v98
	s_and_saveexec_b32 s17, s15
	s_cbranch_execz .LBB946_278
.LBB946_314:                            ;   in Loop: Header=BB946_236 Depth=2
	ds_load_u16 v100, v48 offset:1536
	s_wait_dscnt 0x0
	v_and_b32_e32 v0, 0xffff, v100
	s_delay_alu instid0(VALU_DEP_1) | instskip(NEXT) | instid1(VALU_DEP_1)
	v_lshrrev_b32_e32 v0, s23, v0
	v_and_b32_e32 v0, s42, v0
	s_delay_alu instid0(VALU_DEP_1) | instskip(SKIP_3) | instid1(VALU_DEP_1)
	v_lshlrev_b32_e32 v0, 2, v0
	ds_load_b32 v0, v0
	s_wait_dscnt 0x0
	v_add_nc_u32_e32 v0, v0, v29
	v_lshlrev_b64_e32 v[5:6], 1, v[0:1]
	v_xor_b32_e32 v0, 0x7fff, v100
	s_delay_alu instid0(VALU_DEP_2) | instskip(SKIP_1) | instid1(VALU_DEP_3)
	v_add_co_u32 v5, s16, s40, v5
	s_wait_alu 0xf1ff
	v_add_co_ci_u32_e64 v6, null, s41, v6, s16
	global_store_b16 v[5:6], v0, off
	s_wait_alu 0xfffe
	s_or_b32 exec_lo, exec_lo, s17
	v_cmp_lt_u32_e64 s16, v30, v98
	s_and_saveexec_b32 s18, s16
	s_cbranch_execz .LBB946_279
.LBB946_315:                            ;   in Loop: Header=BB946_236 Depth=2
	ds_load_u16 v100, v48 offset:2048
	s_wait_dscnt 0x0
	v_and_b32_e32 v0, 0xffff, v100
	s_delay_alu instid0(VALU_DEP_1) | instskip(NEXT) | instid1(VALU_DEP_1)
	v_lshrrev_b32_e32 v0, s23, v0
	v_and_b32_e32 v0, s42, v0
	s_delay_alu instid0(VALU_DEP_1) | instskip(SKIP_3) | instid1(VALU_DEP_1)
	v_lshlrev_b32_e32 v0, 2, v0
	ds_load_b32 v0, v0
	s_wait_dscnt 0x0
	v_add_nc_u32_e32 v0, v0, v30
	v_lshlrev_b64_e32 v[5:6], 1, v[0:1]
	v_xor_b32_e32 v0, 0x7fff, v100
	s_delay_alu instid0(VALU_DEP_2) | instskip(SKIP_1) | instid1(VALU_DEP_3)
	v_add_co_u32 v5, s17, s40, v5
	s_wait_alu 0xf1ff
	v_add_co_ci_u32_e64 v6, null, s41, v6, s17
	global_store_b16 v[5:6], v0, off
	s_wait_alu 0xfffe
	s_or_b32 exec_lo, exec_lo, s18
	v_cmp_lt_u32_e64 s17, v31, v98
	s_and_saveexec_b32 s19, s17
	s_cbranch_execz .LBB946_280
.LBB946_316:                            ;   in Loop: Header=BB946_236 Depth=2
	ds_load_u16 v100, v48 offset:2560
	s_wait_dscnt 0x0
	v_and_b32_e32 v0, 0xffff, v100
	s_delay_alu instid0(VALU_DEP_1) | instskip(NEXT) | instid1(VALU_DEP_1)
	v_lshrrev_b32_e32 v0, s23, v0
	v_and_b32_e32 v0, s42, v0
	s_delay_alu instid0(VALU_DEP_1) | instskip(SKIP_3) | instid1(VALU_DEP_1)
	v_lshlrev_b32_e32 v0, 2, v0
	ds_load_b32 v0, v0
	s_wait_dscnt 0x0
	v_add_nc_u32_e32 v0, v0, v31
	v_lshlrev_b64_e32 v[5:6], 1, v[0:1]
	v_xor_b32_e32 v0, 0x7fff, v100
	s_delay_alu instid0(VALU_DEP_2) | instskip(SKIP_1) | instid1(VALU_DEP_3)
	v_add_co_u32 v5, s18, s40, v5
	s_wait_alu 0xf1ff
	v_add_co_ci_u32_e64 v6, null, s41, v6, s18
	global_store_b16 v[5:6], v0, off
	s_wait_alu 0xfffe
	s_or_b32 exec_lo, exec_lo, s19
	v_cmp_lt_u32_e64 s18, v34, v98
	s_and_saveexec_b32 s20, s18
	s_cbranch_execz .LBB946_281
.LBB946_317:                            ;   in Loop: Header=BB946_236 Depth=2
	ds_load_u16 v100, v48 offset:3072
	s_wait_dscnt 0x0
	v_and_b32_e32 v0, 0xffff, v100
	s_delay_alu instid0(VALU_DEP_1) | instskip(NEXT) | instid1(VALU_DEP_1)
	v_lshrrev_b32_e32 v0, s23, v0
	v_and_b32_e32 v0, s42, v0
	s_delay_alu instid0(VALU_DEP_1) | instskip(SKIP_3) | instid1(VALU_DEP_1)
	v_lshlrev_b32_e32 v0, 2, v0
	ds_load_b32 v0, v0
	s_wait_dscnt 0x0
	v_add_nc_u32_e32 v0, v0, v34
	v_lshlrev_b64_e32 v[5:6], 1, v[0:1]
	v_xor_b32_e32 v0, 0x7fff, v100
	s_delay_alu instid0(VALU_DEP_2) | instskip(SKIP_1) | instid1(VALU_DEP_3)
	v_add_co_u32 v5, s19, s40, v5
	s_wait_alu 0xf1ff
	v_add_co_ci_u32_e64 v6, null, s41, v6, s19
	global_store_b16 v[5:6], v0, off
	s_wait_alu 0xfffe
	s_or_b32 exec_lo, exec_lo, s20
	v_cmp_lt_u32_e64 s19, v35, v98
	s_and_saveexec_b32 s21, s19
	s_cbranch_execz .LBB946_282
.LBB946_318:                            ;   in Loop: Header=BB946_236 Depth=2
	ds_load_u16 v100, v48 offset:3584
	s_wait_dscnt 0x0
	v_and_b32_e32 v0, 0xffff, v100
	s_delay_alu instid0(VALU_DEP_1) | instskip(NEXT) | instid1(VALU_DEP_1)
	v_lshrrev_b32_e32 v0, s23, v0
	v_and_b32_e32 v0, s42, v0
	s_delay_alu instid0(VALU_DEP_1) | instskip(SKIP_3) | instid1(VALU_DEP_1)
	v_lshlrev_b32_e32 v0, 2, v0
	ds_load_b32 v0, v0
	s_wait_dscnt 0x0
	v_add_nc_u32_e32 v0, v0, v35
	v_lshlrev_b64_e32 v[5:6], 1, v[0:1]
	v_xor_b32_e32 v0, 0x7fff, v100
	s_delay_alu instid0(VALU_DEP_2) | instskip(SKIP_1) | instid1(VALU_DEP_3)
	v_add_co_u32 v5, s20, s40, v5
	s_wait_alu 0xf1ff
	v_add_co_ci_u32_e64 v6, null, s41, v6, s20
	global_store_b16 v[5:6], v0, off
	s_wait_alu 0xfffe
	s_or_b32 exec_lo, exec_lo, s21
	v_cmp_lt_u32_e64 s20, v36, v98
	s_and_saveexec_b32 s22, s20
	s_cbranch_execz .LBB946_283
.LBB946_319:                            ;   in Loop: Header=BB946_236 Depth=2
	ds_load_u16 v100, v48 offset:4096
	s_wait_dscnt 0x0
	v_and_b32_e32 v0, 0xffff, v100
	s_delay_alu instid0(VALU_DEP_1) | instskip(NEXT) | instid1(VALU_DEP_1)
	v_lshrrev_b32_e32 v0, s23, v0
	v_and_b32_e32 v0, s42, v0
	s_delay_alu instid0(VALU_DEP_1) | instskip(SKIP_3) | instid1(VALU_DEP_1)
	v_lshlrev_b32_e32 v0, 2, v0
	ds_load_b32 v0, v0
	s_wait_dscnt 0x0
	v_add_nc_u32_e32 v0, v0, v36
	v_lshlrev_b64_e32 v[5:6], 1, v[0:1]
	v_xor_b32_e32 v0, 0x7fff, v100
	s_delay_alu instid0(VALU_DEP_2) | instskip(SKIP_1) | instid1(VALU_DEP_3)
	v_add_co_u32 v5, s21, s40, v5
	s_wait_alu 0xf1ff
	v_add_co_ci_u32_e64 v6, null, s41, v6, s21
	global_store_b16 v[5:6], v0, off
	s_wait_alu 0xfffe
	s_or_b32 exec_lo, exec_lo, s22
	v_cmp_lt_u32_e64 s21, v37, v98
	s_and_saveexec_b32 s48, s21
	s_cbranch_execnz .LBB946_284
	s_branch .LBB946_285
.LBB946_320:                            ;   in Loop: Header=BB946_236 Depth=2
	global_load_b64 v[22:23], v[5:6], off
	s_wait_alu 0xfffe
	s_or_b32 exec_lo, exec_lo, s22
	s_delay_alu instid0(SALU_CYCLE_1)
	s_mov_b32 s30, exec_lo
	v_cmpx_lt_u32_e64 v71, v98
	s_cbranch_execz .LBB946_287
.LBB946_321:                            ;   in Loop: Header=BB946_236 Depth=2
	global_load_b64 v[20:21], v[5:6], off offset:256
	s_wait_alu 0xfffe
	s_or_b32 exec_lo, exec_lo, s30
	s_delay_alu instid0(SALU_CYCLE_1)
	s_mov_b32 s30, exec_lo
	v_cmpx_lt_u32_e64 v72, v98
	s_cbranch_execz .LBB946_288
.LBB946_322:                            ;   in Loop: Header=BB946_236 Depth=2
	global_load_b64 v[18:19], v[5:6], off offset:512
	s_wait_alu 0xfffe
	s_or_b32 exec_lo, exec_lo, s30
	s_delay_alu instid0(SALU_CYCLE_1)
	s_mov_b32 s30, exec_lo
	v_cmpx_lt_u32_e64 v73, v98
	s_cbranch_execz .LBB946_289
.LBB946_323:                            ;   in Loop: Header=BB946_236 Depth=2
	global_load_b64 v[16:17], v[5:6], off offset:768
	s_wait_alu 0xfffe
	s_or_b32 exec_lo, exec_lo, s30
	s_delay_alu instid0(SALU_CYCLE_1)
	s_mov_b32 s30, exec_lo
	v_cmpx_lt_u32_e64 v74, v98
	s_cbranch_execz .LBB946_290
.LBB946_324:                            ;   in Loop: Header=BB946_236 Depth=2
	global_load_b64 v[14:15], v[5:6], off offset:1024
	s_wait_alu 0xfffe
	s_or_b32 exec_lo, exec_lo, s30
	s_delay_alu instid0(SALU_CYCLE_1)
	s_mov_b32 s30, exec_lo
	v_cmpx_lt_u32_e64 v75, v98
	s_cbranch_execz .LBB946_291
.LBB946_325:                            ;   in Loop: Header=BB946_236 Depth=2
	global_load_b64 v[11:12], v[5:6], off offset:1280
	s_wait_alu 0xfffe
	s_or_b32 exec_lo, exec_lo, s30
	s_delay_alu instid0(SALU_CYCLE_1)
	s_mov_b32 s30, exec_lo
	v_cmpx_lt_u32_e64 v76, v98
	s_cbranch_execz .LBB946_292
.LBB946_326:                            ;   in Loop: Header=BB946_236 Depth=2
	global_load_b64 v[9:10], v[5:6], off offset:1536
	s_wait_alu 0xfffe
	s_or_b32 exec_lo, exec_lo, s30
	s_delay_alu instid0(SALU_CYCLE_1)
	s_mov_b32 s30, exec_lo
	v_cmpx_lt_u32_e64 v77, v98
	s_cbranch_execz .LBB946_293
.LBB946_327:                            ;   in Loop: Header=BB946_236 Depth=2
	global_load_b64 v[2:3], v[5:6], off offset:1792
	s_wait_alu 0xfffe
	s_or_b32 exec_lo, exec_lo, s30
	s_and_saveexec_b32 s22, vcc_lo
	s_cbranch_execz .LBB946_294
.LBB946_328:                            ;   in Loop: Header=BB946_236 Depth=2
	ds_load_u16 v0, v48 offset:1024
	s_wait_dscnt 0x0
	v_lshrrev_b32_e32 v0, s23, v0
	s_delay_alu instid0(VALU_DEP_1)
	v_and_b32_e32 v97, s42, v0
	s_wait_alu 0xfffe
	s_or_b32 exec_lo, exec_lo, s22
	s_and_saveexec_b32 s22, s15
	s_cbranch_execz .LBB946_295
.LBB946_329:                            ;   in Loop: Header=BB946_236 Depth=2
	ds_load_u16 v0, v48 offset:1536
	s_wait_dscnt 0x0
	v_lshrrev_b32_e32 v0, s23, v0
	s_delay_alu instid0(VALU_DEP_1)
	v_and_b32_e32 v96, s42, v0
	s_wait_alu 0xfffe
	s_or_b32 exec_lo, exec_lo, s22
	s_and_saveexec_b32 s22, s16
	s_cbranch_execz .LBB946_296
.LBB946_330:                            ;   in Loop: Header=BB946_236 Depth=2
	ds_load_u16 v0, v48 offset:2048
	s_wait_dscnt 0x0
	v_lshrrev_b32_e32 v0, s23, v0
	s_delay_alu instid0(VALU_DEP_1)
	v_and_b32_e32 v95, s42, v0
	s_wait_alu 0xfffe
	s_or_b32 exec_lo, exec_lo, s22
	s_and_saveexec_b32 s22, s17
	s_cbranch_execz .LBB946_297
.LBB946_331:                            ;   in Loop: Header=BB946_236 Depth=2
	ds_load_u16 v0, v48 offset:2560
	s_wait_dscnt 0x0
	v_lshrrev_b32_e32 v0, s23, v0
	s_delay_alu instid0(VALU_DEP_1)
	v_and_b32_e32 v94, s42, v0
	s_wait_alu 0xfffe
	s_or_b32 exec_lo, exec_lo, s22
	s_and_saveexec_b32 s22, s18
	s_cbranch_execz .LBB946_298
.LBB946_332:                            ;   in Loop: Header=BB946_236 Depth=2
	ds_load_u16 v0, v48 offset:3072
	s_wait_dscnt 0x0
	v_lshrrev_b32_e32 v0, s23, v0
	s_delay_alu instid0(VALU_DEP_1)
	v_and_b32_e32 v93, s42, v0
	s_wait_alu 0xfffe
	s_or_b32 exec_lo, exec_lo, s22
	s_and_saveexec_b32 s22, s19
	s_cbranch_execz .LBB946_299
.LBB946_333:                            ;   in Loop: Header=BB946_236 Depth=2
	ds_load_u16 v0, v48 offset:3584
	s_wait_dscnt 0x0
	v_lshrrev_b32_e32 v0, s23, v0
	s_delay_alu instid0(VALU_DEP_1)
	v_and_b32_e32 v92, s42, v0
	s_wait_alu 0xfffe
	s_or_b32 exec_lo, exec_lo, s22
	s_and_saveexec_b32 s22, s20
	s_cbranch_execz .LBB946_300
.LBB946_334:                            ;   in Loop: Header=BB946_236 Depth=2
	ds_load_u16 v0, v48 offset:4096
	s_wait_dscnt 0x0
	v_lshrrev_b32_e32 v0, s23, v0
	s_delay_alu instid0(VALU_DEP_1)
	v_and_b32_e32 v91, s42, v0
	s_wait_alu 0xfffe
	s_or_b32 exec_lo, exec_lo, s22
	s_and_saveexec_b32 s22, s21
	s_cbranch_execnz .LBB946_301
	s_branch .LBB946_302
.LBB946_335:                            ;   in Loop: Header=BB946_236 Depth=2
	v_lshlrev_b32_e32 v0, 2, v97
	v_add_nc_u32_e32 v5, v48, v49
	ds_load_b32 v0, v0
	ds_load_b64 v[5:6], v5 offset:1024
	s_wait_dscnt 0x1
	v_add_nc_u32_e32 v0, v0, v13
	s_delay_alu instid0(VALU_DEP_1) | instskip(NEXT) | instid1(VALU_DEP_1)
	v_lshlrev_b64_e32 v[24:25], 3, v[0:1]
	v_add_co_u32 v24, vcc_lo, s26, v24
	s_wait_alu 0xfffd
	s_delay_alu instid0(VALU_DEP_2)
	v_add_co_ci_u32_e64 v25, null, s27, v25, vcc_lo
	s_wait_dscnt 0x0
	global_store_b64 v[24:25], v[5:6], off
	s_wait_alu 0xfffe
	s_or_b32 exec_lo, exec_lo, s22
	s_and_saveexec_b32 s22, s15
	s_cbranch_execz .LBB946_304
.LBB946_336:                            ;   in Loop: Header=BB946_236 Depth=2
	v_lshlrev_b32_e32 v0, 2, v96
	v_add_nc_u32_e32 v5, v48, v49
	ds_load_b32 v0, v0
	ds_load_b64 v[5:6], v5 offset:3072
	s_wait_dscnt 0x1
	v_add_nc_u32_e32 v0, v0, v29
	s_delay_alu instid0(VALU_DEP_1) | instskip(NEXT) | instid1(VALU_DEP_1)
	v_lshlrev_b64_e32 v[24:25], 3, v[0:1]
	v_add_co_u32 v24, vcc_lo, s26, v24
	s_wait_alu 0xfffd
	s_delay_alu instid0(VALU_DEP_2)
	v_add_co_ci_u32_e64 v25, null, s27, v25, vcc_lo
	s_wait_dscnt 0x0
	global_store_b64 v[24:25], v[5:6], off
	s_wait_alu 0xfffe
	s_or_b32 exec_lo, exec_lo, s22
	s_and_saveexec_b32 s15, s16
	s_cbranch_execz .LBB946_305
.LBB946_337:                            ;   in Loop: Header=BB946_236 Depth=2
	v_lshlrev_b32_e32 v0, 2, v95
	v_add_nc_u32_e32 v5, v48, v49
	ds_load_b32 v0, v0
	ds_load_b64 v[5:6], v5 offset:5120
	s_wait_dscnt 0x1
	v_add_nc_u32_e32 v0, v0, v30
	s_delay_alu instid0(VALU_DEP_1) | instskip(NEXT) | instid1(VALU_DEP_1)
	v_lshlrev_b64_e32 v[24:25], 3, v[0:1]
	v_add_co_u32 v24, vcc_lo, s26, v24
	s_wait_alu 0xfffd
	s_delay_alu instid0(VALU_DEP_2)
	v_add_co_ci_u32_e64 v25, null, s27, v25, vcc_lo
	s_wait_dscnt 0x0
	global_store_b64 v[24:25], v[5:6], off
	s_wait_alu 0xfffe
	s_or_b32 exec_lo, exec_lo, s15
	s_and_saveexec_b32 s15, s17
	s_cbranch_execz .LBB946_306
.LBB946_338:                            ;   in Loop: Header=BB946_236 Depth=2
	v_lshlrev_b32_e32 v0, 2, v94
	v_add_nc_u32_e32 v5, v48, v49
	ds_load_b32 v0, v0
	ds_load_b64 v[5:6], v5 offset:7168
	s_wait_dscnt 0x1
	v_add_nc_u32_e32 v0, v0, v31
	s_delay_alu instid0(VALU_DEP_1) | instskip(NEXT) | instid1(VALU_DEP_1)
	v_lshlrev_b64_e32 v[24:25], 3, v[0:1]
	v_add_co_u32 v24, vcc_lo, s26, v24
	s_wait_alu 0xfffd
	s_delay_alu instid0(VALU_DEP_2)
	v_add_co_ci_u32_e64 v25, null, s27, v25, vcc_lo
	s_wait_dscnt 0x0
	global_store_b64 v[24:25], v[5:6], off
	s_wait_alu 0xfffe
	s_or_b32 exec_lo, exec_lo, s15
	s_and_saveexec_b32 s15, s18
	s_cbranch_execz .LBB946_307
.LBB946_339:                            ;   in Loop: Header=BB946_236 Depth=2
	v_lshlrev_b32_e32 v0, 2, v93
	v_add_nc_u32_e32 v5, v48, v49
	ds_load_b32 v0, v0
	ds_load_b64 v[5:6], v5 offset:9216
	s_wait_dscnt 0x1
	v_add_nc_u32_e32 v0, v0, v34
	s_delay_alu instid0(VALU_DEP_1) | instskip(NEXT) | instid1(VALU_DEP_1)
	v_lshlrev_b64_e32 v[24:25], 3, v[0:1]
	v_add_co_u32 v24, vcc_lo, s26, v24
	s_wait_alu 0xfffd
	s_delay_alu instid0(VALU_DEP_2)
	v_add_co_ci_u32_e64 v25, null, s27, v25, vcc_lo
	s_wait_dscnt 0x0
	global_store_b64 v[24:25], v[5:6], off
	s_wait_alu 0xfffe
	s_or_b32 exec_lo, exec_lo, s15
	s_and_saveexec_b32 s15, s19
	s_cbranch_execz .LBB946_308
.LBB946_340:                            ;   in Loop: Header=BB946_236 Depth=2
	v_lshlrev_b32_e32 v0, 2, v92
	v_add_nc_u32_e32 v5, v48, v49
	ds_load_b32 v0, v0
	ds_load_b64 v[5:6], v5 offset:11264
	s_wait_dscnt 0x1
	v_add_nc_u32_e32 v0, v0, v35
	s_delay_alu instid0(VALU_DEP_1) | instskip(NEXT) | instid1(VALU_DEP_1)
	v_lshlrev_b64_e32 v[24:25], 3, v[0:1]
	v_add_co_u32 v24, vcc_lo, s26, v24
	s_wait_alu 0xfffd
	s_delay_alu instid0(VALU_DEP_2)
	v_add_co_ci_u32_e64 v25, null, s27, v25, vcc_lo
	s_wait_dscnt 0x0
	global_store_b64 v[24:25], v[5:6], off
	s_wait_alu 0xfffe
	s_or_b32 exec_lo, exec_lo, s15
	s_and_saveexec_b32 s15, s20
	s_cbranch_execz .LBB946_309
.LBB946_341:                            ;   in Loop: Header=BB946_236 Depth=2
	v_lshlrev_b32_e32 v0, 2, v91
	v_add_nc_u32_e32 v5, v48, v49
	ds_load_b32 v0, v0
	ds_load_b64 v[5:6], v5 offset:13312
	s_wait_dscnt 0x1
	v_add_nc_u32_e32 v0, v0, v36
	s_delay_alu instid0(VALU_DEP_1) | instskip(NEXT) | instid1(VALU_DEP_1)
	v_lshlrev_b64_e32 v[24:25], 3, v[0:1]
	v_add_co_u32 v24, vcc_lo, s26, v24
	s_wait_alu 0xfffd
	s_delay_alu instid0(VALU_DEP_2)
	v_add_co_ci_u32_e64 v25, null, s27, v25, vcc_lo
	s_wait_dscnt 0x0
	global_store_b64 v[24:25], v[5:6], off
	s_wait_alu 0xfffe
	s_or_b32 exec_lo, exec_lo, s15
	s_and_saveexec_b32 s15, s21
	s_cbranch_execnz .LBB946_310
	s_branch .LBB946_311
.LBB946_342:                            ;   in Loop: Header=BB946_236 Depth=2
	v_bfrev_b32_e32 v5, 1
	v_dual_mov_b32 v6, v4 :: v_dual_mov_b32 v7, v4
	v_mov_b32_e32 v8, v4
	global_load_d16_b16 v5, v[24:25], off
	s_wait_alu 0xfffe
	s_or_b32 exec_lo, exec_lo, s15
	s_delay_alu instid0(SALU_CYCLE_1)
	s_mov_b32 s15, exec_lo
	v_cmpx_gt_u32_e64 s43, v71
	s_cbranch_execz .LBB946_241
.LBB946_343:                            ;   in Loop: Header=BB946_236 Depth=2
	s_wait_loadcnt 0x0
	global_load_d16_hi_b16 v5, v[24:25], off offset:64
	s_wait_alu 0xfffe
	s_or_b32 exec_lo, exec_lo, s15
	s_delay_alu instid0(SALU_CYCLE_1)
	s_mov_b32 s15, exec_lo
	v_cmpx_gt_u32_e64 s43, v72
	s_cbranch_execz .LBB946_242
.LBB946_344:                            ;   in Loop: Header=BB946_236 Depth=2
	global_load_d16_b16 v6, v[24:25], off offset:128
	s_wait_alu 0xfffe
	s_or_b32 exec_lo, exec_lo, s15
	s_delay_alu instid0(SALU_CYCLE_1)
	s_mov_b32 s15, exec_lo
	v_cmpx_gt_u32_e64 s43, v73
	s_cbranch_execz .LBB946_243
.LBB946_345:                            ;   in Loop: Header=BB946_236 Depth=2
	s_wait_loadcnt 0x0
	global_load_d16_hi_b16 v6, v[24:25], off offset:192
	s_wait_alu 0xfffe
	s_or_b32 exec_lo, exec_lo, s15
	s_delay_alu instid0(SALU_CYCLE_1)
	s_mov_b32 s15, exec_lo
	v_cmpx_gt_u32_e64 s43, v74
	s_cbranch_execz .LBB946_244
.LBB946_346:                            ;   in Loop: Header=BB946_236 Depth=2
	global_load_d16_b16 v7, v[24:25], off offset:256
	s_wait_alu 0xfffe
	s_or_b32 exec_lo, exec_lo, s15
	s_delay_alu instid0(SALU_CYCLE_1)
	s_mov_b32 s15, exec_lo
	v_cmpx_gt_u32_e64 s43, v75
	s_cbranch_execz .LBB946_245
.LBB946_347:                            ;   in Loop: Header=BB946_236 Depth=2
	s_wait_loadcnt 0x0
	global_load_d16_hi_b16 v7, v[24:25], off offset:320
	s_wait_alu 0xfffe
	s_or_b32 exec_lo, exec_lo, s15
	s_delay_alu instid0(SALU_CYCLE_1)
	s_mov_b32 s15, exec_lo
	v_cmpx_gt_u32_e64 s43, v76
	s_cbranch_execnz .LBB946_246
	s_branch .LBB946_247
.LBB946_348:                            ;   in Loop: Header=BB946_20 Depth=1
	s_wait_loadcnt_dscnt 0x0
	s_barrier_signal -1
	s_barrier_wait -1
.LBB946_349:                            ;   in Loop: Header=BB946_20 Depth=1
	s_mov_b32 s0, 0
.LBB946_350:                            ;   in Loop: Header=BB946_20 Depth=1
	s_wait_alu 0xfffe
	s_and_not1_b32 vcc_lo, exec_lo, s0
	s_wait_alu 0xfffe
	s_cbranch_vccnz .LBB946_19
; %bb.351:                              ;   in Loop: Header=BB946_20 Depth=1
	s_and_b32 vcc_lo, exec_lo, s35
	s_mov_b32 s0, -1
	s_wait_alu 0xfffe
	s_cbranch_vccz .LBB946_515
; %bb.352:                              ;   in Loop: Header=BB946_20 Depth=1
	v_dual_mov_b32 v0, v1 :: v_dual_mov_b32 v3, v1
	v_mov_b32_e32 v2, v1
	s_mov_b32 s9, s47
	s_mov_b32 s30, s33
	s_barrier_signal -1
	s_delay_alu instid0(VALU_DEP_1)
	v_dual_mov_b32 v8, v3 :: v_dual_mov_b32 v7, v2
	v_dual_mov_b32 v6, v1 :: v_dual_mov_b32 v5, v0
	s_barrier_wait -1
	global_inv scope:SCOPE_SE
	s_branch .LBB946_354
.LBB946_353:                            ;   in Loop: Header=BB946_354 Depth=2
	s_wait_alu 0xfffe
	s_or_b32 exec_lo, exec_lo, s0
	s_addk_co_i32 s9, 0xf800
	s_cmp_ge_u32 s10, s34
	s_mov_b32 s30, s10
	s_cbranch_scc1 .LBB946_390
.LBB946_354:                            ;   Parent Loop BB946_20 Depth=1
                                        ; =>  This Inner Loop Header: Depth=2
	s_wait_alu 0xfffe
	s_add_co_i32 s10, s30, 0x800
	s_mov_b32 s0, -1
	s_wait_alu 0xfffe
	s_cmp_gt_u32 s10, s34
                                        ; implicit-def: $vgpr9_vgpr10_vgpr11_vgpr12
	s_cbranch_scc1 .LBB946_356
; %bb.355:                              ;   in Loop: Header=BB946_354 Depth=2
	s_lshl_b64 s[0:1], s[30:31], 1
	s_wait_alu 0xfffe
	v_add_co_u32 v2, vcc_lo, v56, s0
	s_wait_alu 0xfffd
	v_add_co_ci_u32_e64 v3, null, s1, v57, vcc_lo
	s_mov_b32 s0, 0
	s_clause 0x3
	global_load_u16 v9, v[2:3], off
	global_load_u16 v10, v[2:3], off offset:1024
	global_load_u16 v11, v[2:3], off offset:2048
	;; [unrolled: 1-line block ×3, first 2 shown]
	s_wait_loadcnt 0x3
	global_load_d16_hi_b16 v9, v[2:3], off offset:512
	s_wait_loadcnt 0x3
	global_load_d16_hi_b16 v10, v[2:3], off offset:1536
	;; [unrolled: 2-line block ×4, first 2 shown]
.LBB946_356:                            ;   in Loop: Header=BB946_354 Depth=2
	s_wait_alu 0xfffe
	s_and_not1_b32 vcc_lo, exec_lo, s0
	s_movk_i32 s0, 0x800
	s_wait_alu 0xfffe
	s_cbranch_vccnz .LBB946_367
; %bb.357:                              ;   in Loop: Header=BB946_354 Depth=2
	s_lshl_b64 s[0:1], s[30:31], 1
	s_mov_b32 s11, exec_lo
	s_wait_alu 0xfffe
	s_add_nc_u64 s[0:1], s[36:37], s[0:1]
	v_cmpx_gt_u32_e64 s9, v13
	s_cbranch_execnz .LBB946_383
; %bb.358:                              ;   in Loop: Header=BB946_354 Depth=2
	s_or_b32 exec_lo, exec_lo, s11
	s_delay_alu instid0(SALU_CYCLE_1)
	s_mov_b32 s11, exec_lo
	v_cmpx_gt_u32_e64 s9, v29
	s_cbranch_execnz .LBB946_384
.LBB946_359:                            ;   in Loop: Header=BB946_354 Depth=2
	s_wait_alu 0xfffe
	s_or_b32 exec_lo, exec_lo, s11
	s_delay_alu instid0(SALU_CYCLE_1)
	s_mov_b32 s11, exec_lo
	v_cmpx_gt_u32_e64 s9, v30
	s_cbranch_execnz .LBB946_385
.LBB946_360:                            ;   in Loop: Header=BB946_354 Depth=2
	s_wait_alu 0xfffe
	s_or_b32 exec_lo, exec_lo, s11
	s_delay_alu instid0(SALU_CYCLE_1)
	s_mov_b32 s11, exec_lo
	v_cmpx_gt_u32_e64 s9, v31
	s_cbranch_execnz .LBB946_386
.LBB946_361:                            ;   in Loop: Header=BB946_354 Depth=2
	s_wait_alu 0xfffe
	s_or_b32 exec_lo, exec_lo, s11
	s_delay_alu instid0(SALU_CYCLE_1)
	s_mov_b32 s11, exec_lo
	v_cmpx_gt_u32_e64 s9, v34
	s_cbranch_execnz .LBB946_387
.LBB946_362:                            ;   in Loop: Header=BB946_354 Depth=2
	s_wait_alu 0xfffe
	s_or_b32 exec_lo, exec_lo, s11
	s_delay_alu instid0(SALU_CYCLE_1)
	s_mov_b32 s11, exec_lo
	v_cmpx_gt_u32_e64 s9, v35
	s_cbranch_execnz .LBB946_388
.LBB946_363:                            ;   in Loop: Header=BB946_354 Depth=2
	s_wait_alu 0xfffe
	s_or_b32 exec_lo, exec_lo, s11
	s_delay_alu instid0(SALU_CYCLE_1)
	s_mov_b32 s11, exec_lo
	v_cmpx_gt_u32_e64 s9, v36
	s_cbranch_execnz .LBB946_389
.LBB946_364:                            ;   in Loop: Header=BB946_354 Depth=2
	s_wait_alu 0xfffe
	s_or_b32 exec_lo, exec_lo, s11
	s_delay_alu instid0(SALU_CYCLE_1)
	s_mov_b32 s11, exec_lo
	v_cmpx_gt_u32_e64 s9, v37
	s_cbranch_execz .LBB946_366
.LBB946_365:                            ;   in Loop: Header=BB946_354 Depth=2
	s_wait_loadcnt 0x0
	global_load_d16_hi_b16 v8, v79, s[0:1] offset:3584
.LBB946_366:                            ;   in Loop: Header=BB946_354 Depth=2
	s_wait_alu 0xfffe
	s_or_b32 exec_lo, exec_lo, s11
	s_wait_loadcnt 0x0
	v_dual_mov_b32 v12, v8 :: v_dual_mov_b32 v11, v7
	v_dual_mov_b32 v10, v6 :: v_dual_mov_b32 v9, v5
	s_mov_b32 s0, s9
.LBB946_367:                            ;   in Loop: Header=BB946_354 Depth=2
	s_wait_loadcnt 0x0
	s_delay_alu instid0(VALU_DEP_1)
	v_dual_mov_b32 v5, v9 :: v_dual_mov_b32 v6, v10
	v_dual_mov_b32 v7, v11 :: v_dual_mov_b32 v8, v12
	s_mov_b32 s1, exec_lo
	s_wait_alu 0xfffe
	v_cmpx_gt_u32_e64 s0, v13
	s_cbranch_execnz .LBB946_375
; %bb.368:                              ;   in Loop: Header=BB946_354 Depth=2
	s_or_b32 exec_lo, exec_lo, s1
	s_delay_alu instid0(SALU_CYCLE_1)
	s_mov_b32 s1, exec_lo
	v_cmpx_gt_u32_e64 s0, v29
	s_cbranch_execnz .LBB946_376
.LBB946_369:                            ;   in Loop: Header=BB946_354 Depth=2
	s_wait_alu 0xfffe
	s_or_b32 exec_lo, exec_lo, s1
	s_delay_alu instid0(SALU_CYCLE_1)
	s_mov_b32 s1, exec_lo
	v_cmpx_gt_u32_e64 s0, v30
	s_cbranch_execnz .LBB946_377
.LBB946_370:                            ;   in Loop: Header=BB946_354 Depth=2
	s_wait_alu 0xfffe
	s_or_b32 exec_lo, exec_lo, s1
	s_delay_alu instid0(SALU_CYCLE_1)
	s_mov_b32 s1, exec_lo
	v_cmpx_gt_u32_e64 s0, v31
	s_cbranch_execnz .LBB946_378
.LBB946_371:                            ;   in Loop: Header=BB946_354 Depth=2
	s_wait_alu 0xfffe
	s_or_b32 exec_lo, exec_lo, s1
	s_delay_alu instid0(SALU_CYCLE_1)
	s_mov_b32 s1, exec_lo
	v_cmpx_gt_u32_e64 s0, v34
	s_cbranch_execnz .LBB946_379
.LBB946_372:                            ;   in Loop: Header=BB946_354 Depth=2
	s_wait_alu 0xfffe
	s_or_b32 exec_lo, exec_lo, s1
	s_delay_alu instid0(SALU_CYCLE_1)
	s_mov_b32 s1, exec_lo
	v_cmpx_gt_u32_e64 s0, v35
	s_cbranch_execnz .LBB946_380
.LBB946_373:                            ;   in Loop: Header=BB946_354 Depth=2
	s_wait_alu 0xfffe
	s_or_b32 exec_lo, exec_lo, s1
	s_delay_alu instid0(SALU_CYCLE_1)
	s_mov_b32 s1, exec_lo
	v_cmpx_gt_u32_e64 s0, v36
	s_cbranch_execnz .LBB946_381
.LBB946_374:                            ;   in Loop: Header=BB946_354 Depth=2
	s_wait_alu 0xfffe
	s_or_b32 exec_lo, exec_lo, s1
	v_cmp_gt_u32_e32 vcc_lo, s0, v37
	s_and_saveexec_b32 s0, vcc_lo
	s_cbranch_execz .LBB946_353
	s_branch .LBB946_382
.LBB946_375:                            ;   in Loop: Header=BB946_354 Depth=2
	v_xor_b32_e32 v0, 0x7fff, v5
	s_delay_alu instid0(VALU_DEP_1) | instskip(NEXT) | instid1(VALU_DEP_1)
	v_and_b32_e32 v0, 0xffff, v0
	v_lshrrev_b32_e32 v0, s45, v0
	s_delay_alu instid0(VALU_DEP_1) | instskip(NEXT) | instid1(VALU_DEP_1)
	v_and_b32_e32 v0, s42, v0
	v_lshl_or_b32 v0, v0, 4, v39
	ds_add_u32 v0, v63
	s_or_b32 exec_lo, exec_lo, s1
	s_delay_alu instid0(SALU_CYCLE_1)
	s_mov_b32 s1, exec_lo
	v_cmpx_gt_u32_e64 s0, v29
	s_cbranch_execz .LBB946_369
.LBB946_376:                            ;   in Loop: Header=BB946_354 Depth=2
	v_lshrrev_b32_e32 v0, 16, v5
	s_delay_alu instid0(VALU_DEP_1) | instskip(NEXT) | instid1(VALU_DEP_1)
	v_xor_b32_e32 v0, 0x7fff, v0
	v_and_b32_e32 v0, 0xffff, v0
	s_delay_alu instid0(VALU_DEP_1) | instskip(NEXT) | instid1(VALU_DEP_1)
	v_lshrrev_b32_e32 v0, s45, v0
	v_and_b32_e32 v0, s42, v0
	s_delay_alu instid0(VALU_DEP_1) | instskip(SKIP_3) | instid1(SALU_CYCLE_1)
	v_lshl_or_b32 v0, v0, 4, v39
	ds_add_u32 v0, v63
	s_wait_alu 0xfffe
	s_or_b32 exec_lo, exec_lo, s1
	s_mov_b32 s1, exec_lo
	v_cmpx_gt_u32_e64 s0, v30
	s_cbranch_execz .LBB946_370
.LBB946_377:                            ;   in Loop: Header=BB946_354 Depth=2
	v_xor_b32_e32 v0, 0x7fff, v6
	s_delay_alu instid0(VALU_DEP_1) | instskip(NEXT) | instid1(VALU_DEP_1)
	v_and_b32_e32 v0, 0xffff, v0
	v_lshrrev_b32_e32 v0, s45, v0
	s_delay_alu instid0(VALU_DEP_1) | instskip(NEXT) | instid1(VALU_DEP_1)
	v_and_b32_e32 v0, s42, v0
	v_lshl_or_b32 v0, v0, 4, v39
	ds_add_u32 v0, v63
	s_wait_alu 0xfffe
	s_or_b32 exec_lo, exec_lo, s1
	s_delay_alu instid0(SALU_CYCLE_1)
	s_mov_b32 s1, exec_lo
	v_cmpx_gt_u32_e64 s0, v31
	s_cbranch_execz .LBB946_371
.LBB946_378:                            ;   in Loop: Header=BB946_354 Depth=2
	v_lshrrev_b32_e32 v0, 16, v6
	s_delay_alu instid0(VALU_DEP_1) | instskip(NEXT) | instid1(VALU_DEP_1)
	v_xor_b32_e32 v0, 0x7fff, v0
	v_and_b32_e32 v0, 0xffff, v0
	s_delay_alu instid0(VALU_DEP_1) | instskip(NEXT) | instid1(VALU_DEP_1)
	v_lshrrev_b32_e32 v0, s45, v0
	v_and_b32_e32 v0, s42, v0
	s_delay_alu instid0(VALU_DEP_1) | instskip(SKIP_3) | instid1(SALU_CYCLE_1)
	v_lshl_or_b32 v0, v0, 4, v39
	ds_add_u32 v0, v63
	s_wait_alu 0xfffe
	s_or_b32 exec_lo, exec_lo, s1
	s_mov_b32 s1, exec_lo
	v_cmpx_gt_u32_e64 s0, v34
	s_cbranch_execz .LBB946_372
.LBB946_379:                            ;   in Loop: Header=BB946_354 Depth=2
	v_xor_b32_e32 v0, 0x7fff, v7
	s_delay_alu instid0(VALU_DEP_1) | instskip(NEXT) | instid1(VALU_DEP_1)
	v_and_b32_e32 v0, 0xffff, v0
	v_lshrrev_b32_e32 v0, s45, v0
	s_delay_alu instid0(VALU_DEP_1) | instskip(NEXT) | instid1(VALU_DEP_1)
	v_and_b32_e32 v0, s42, v0
	v_lshl_or_b32 v0, v0, 4, v39
	ds_add_u32 v0, v63
	s_wait_alu 0xfffe
	s_or_b32 exec_lo, exec_lo, s1
	s_delay_alu instid0(SALU_CYCLE_1)
	s_mov_b32 s1, exec_lo
	v_cmpx_gt_u32_e64 s0, v35
	s_cbranch_execz .LBB946_373
.LBB946_380:                            ;   in Loop: Header=BB946_354 Depth=2
	v_lshrrev_b32_e32 v0, 16, v7
	s_delay_alu instid0(VALU_DEP_1) | instskip(NEXT) | instid1(VALU_DEP_1)
	v_xor_b32_e32 v0, 0x7fff, v0
	v_and_b32_e32 v0, 0xffff, v0
	s_delay_alu instid0(VALU_DEP_1) | instskip(NEXT) | instid1(VALU_DEP_1)
	v_lshrrev_b32_e32 v0, s45, v0
	v_and_b32_e32 v0, s42, v0
	s_delay_alu instid0(VALU_DEP_1) | instskip(SKIP_3) | instid1(SALU_CYCLE_1)
	v_lshl_or_b32 v0, v0, 4, v39
	ds_add_u32 v0, v63
	s_wait_alu 0xfffe
	s_or_b32 exec_lo, exec_lo, s1
	s_mov_b32 s1, exec_lo
	v_cmpx_gt_u32_e64 s0, v36
	s_cbranch_execz .LBB946_374
.LBB946_381:                            ;   in Loop: Header=BB946_354 Depth=2
	v_xor_b32_e32 v0, 0x7fff, v8
	s_delay_alu instid0(VALU_DEP_1) | instskip(NEXT) | instid1(VALU_DEP_1)
	v_and_b32_e32 v0, 0xffff, v0
	v_lshrrev_b32_e32 v0, s45, v0
	s_delay_alu instid0(VALU_DEP_1) | instskip(NEXT) | instid1(VALU_DEP_1)
	v_and_b32_e32 v0, s42, v0
	v_lshl_or_b32 v0, v0, 4, v39
	ds_add_u32 v0, v63
	s_wait_alu 0xfffe
	s_or_b32 exec_lo, exec_lo, s1
	v_cmp_gt_u32_e32 vcc_lo, s0, v37
	s_and_saveexec_b32 s0, vcc_lo
	s_cbranch_execz .LBB946_353
.LBB946_382:                            ;   in Loop: Header=BB946_354 Depth=2
	v_lshrrev_b32_e32 v0, 16, v8
	s_delay_alu instid0(VALU_DEP_1) | instskip(NEXT) | instid1(VALU_DEP_1)
	v_xor_b32_e32 v0, 0x7fff, v0
	v_and_b32_e32 v0, 0xffff, v0
	s_delay_alu instid0(VALU_DEP_1) | instskip(NEXT) | instid1(VALU_DEP_1)
	v_lshrrev_b32_e32 v0, s45, v0
	v_and_b32_e32 v0, s42, v0
	s_delay_alu instid0(VALU_DEP_1)
	v_lshl_or_b32 v0, v0, 4, v39
	ds_add_u32 v0, v63
	s_branch .LBB946_353
.LBB946_383:                            ;   in Loop: Header=BB946_354 Depth=2
	global_load_d16_b16 v5, v79, s[0:1]
	s_or_b32 exec_lo, exec_lo, s11
	s_delay_alu instid0(SALU_CYCLE_1)
	s_mov_b32 s11, exec_lo
	v_cmpx_gt_u32_e64 s9, v29
	s_cbranch_execz .LBB946_359
.LBB946_384:                            ;   in Loop: Header=BB946_354 Depth=2
	s_wait_loadcnt 0x0
	global_load_d16_hi_b16 v5, v79, s[0:1] offset:512
	s_wait_alu 0xfffe
	s_or_b32 exec_lo, exec_lo, s11
	s_delay_alu instid0(SALU_CYCLE_1)
	s_mov_b32 s11, exec_lo
	v_cmpx_gt_u32_e64 s9, v30
	s_cbranch_execz .LBB946_360
.LBB946_385:                            ;   in Loop: Header=BB946_354 Depth=2
	global_load_d16_b16 v6, v79, s[0:1] offset:1024
	s_wait_alu 0xfffe
	s_or_b32 exec_lo, exec_lo, s11
	s_delay_alu instid0(SALU_CYCLE_1)
	s_mov_b32 s11, exec_lo
	v_cmpx_gt_u32_e64 s9, v31
	s_cbranch_execz .LBB946_361
.LBB946_386:                            ;   in Loop: Header=BB946_354 Depth=2
	s_wait_loadcnt 0x0
	global_load_d16_hi_b16 v6, v79, s[0:1] offset:1536
	s_wait_alu 0xfffe
	s_or_b32 exec_lo, exec_lo, s11
	s_delay_alu instid0(SALU_CYCLE_1)
	s_mov_b32 s11, exec_lo
	v_cmpx_gt_u32_e64 s9, v34
	s_cbranch_execz .LBB946_362
.LBB946_387:                            ;   in Loop: Header=BB946_354 Depth=2
	global_load_d16_b16 v7, v79, s[0:1] offset:2048
	s_wait_alu 0xfffe
	s_or_b32 exec_lo, exec_lo, s11
	s_delay_alu instid0(SALU_CYCLE_1)
	s_mov_b32 s11, exec_lo
	v_cmpx_gt_u32_e64 s9, v35
	s_cbranch_execz .LBB946_363
.LBB946_388:                            ;   in Loop: Header=BB946_354 Depth=2
	s_wait_loadcnt 0x0
	global_load_d16_hi_b16 v7, v79, s[0:1] offset:2560
	s_wait_alu 0xfffe
	s_or_b32 exec_lo, exec_lo, s11
	s_delay_alu instid0(SALU_CYCLE_1)
	s_mov_b32 s11, exec_lo
	v_cmpx_gt_u32_e64 s9, v36
	s_cbranch_execz .LBB946_364
.LBB946_389:                            ;   in Loop: Header=BB946_354 Depth=2
	global_load_d16_b16 v8, v79, s[0:1] offset:3072
	s_wait_alu 0xfffe
	s_or_b32 exec_lo, exec_lo, s11
	s_delay_alu instid0(SALU_CYCLE_1)
	s_mov_b32 s11, exec_lo
	v_cmpx_gt_u32_e64 s9, v37
	s_cbranch_execnz .LBB946_365
	s_branch .LBB946_366
.LBB946_390:                            ;   in Loop: Header=BB946_20 Depth=1
	v_mov_b32_e32 v0, 0
	s_wait_dscnt 0x0
	s_barrier_signal -1
	s_barrier_wait -1
	global_inv scope:SCOPE_SE
	s_and_saveexec_b32 s0, s2
	s_cbranch_execz .LBB946_392
; %bb.391:                              ;   in Loop: Header=BB946_20 Depth=1
	ds_load_2addr_b64 v[5:8], v40 offset1:1
	s_wait_dscnt 0x0
	v_add_nc_u32_e32 v0, v6, v5
	s_delay_alu instid0(VALU_DEP_1)
	v_add3_u32 v0, v0, v7, v8
.LBB946_392:                            ;   in Loop: Header=BB946_20 Depth=1
	s_wait_alu 0xfffe
	s_or_b32 exec_lo, exec_lo, s0
	s_delay_alu instid0(VALU_DEP_1)
	v_mov_b32_dpp v2, v0 row_shr:1 row_mask:0xf bank_mask:0xf
	v_cmp_eq_u32_e64 s0, 0, v64
	v_cmp_lt_u32_e64 s1, 1, v64
	v_cmp_lt_u32_e64 s9, 3, v64
	;; [unrolled: 1-line block ×3, first 2 shown]
	v_cmp_eq_u32_e64 s11, 0, v66
	s_wait_alu 0xf1ff
	v_cndmask_b32_e64 v2, v2, 0, s0
	s_delay_alu instid0(VALU_DEP_1) | instskip(NEXT) | instid1(VALU_DEP_1)
	v_add_nc_u32_e32 v0, v2, v0
	v_mov_b32_dpp v2, v0 row_shr:2 row_mask:0xf bank_mask:0xf
	s_delay_alu instid0(VALU_DEP_1) | instskip(NEXT) | instid1(VALU_DEP_1)
	v_cndmask_b32_e64 v2, 0, v2, s1
	v_add_nc_u32_e32 v0, v0, v2
	s_delay_alu instid0(VALU_DEP_1) | instskip(NEXT) | instid1(VALU_DEP_1)
	v_mov_b32_dpp v2, v0 row_shr:4 row_mask:0xf bank_mask:0xf
	v_cndmask_b32_e64 v2, 0, v2, s9
	s_delay_alu instid0(VALU_DEP_1) | instskip(NEXT) | instid1(VALU_DEP_1)
	v_add_nc_u32_e32 v0, v0, v2
	v_mov_b32_dpp v2, v0 row_shr:8 row_mask:0xf bank_mask:0xf
	s_delay_alu instid0(VALU_DEP_1) | instskip(NEXT) | instid1(VALU_DEP_1)
	v_cndmask_b32_e64 v2, 0, v2, s10
	v_add_nc_u32_e32 v0, v0, v2
	ds_swizzle_b32 v2, v0 offset:swizzle(BROADCAST,32,15)
	s_wait_dscnt 0x0
	v_and_b32_e32 v2, v65, v2
	s_delay_alu instid0(VALU_DEP_1)
	v_add_nc_u32_e32 v0, v0, v2
	s_and_saveexec_b32 s12, s3
; %bb.393:                              ;   in Loop: Header=BB946_20 Depth=1
	ds_store_b32 v41, v0
; %bb.394:                              ;   in Loop: Header=BB946_20 Depth=1
	s_wait_alu 0xfffe
	s_or_b32 exec_lo, exec_lo, s12
	s_wait_loadcnt_dscnt 0x0
	s_barrier_signal -1
	s_barrier_wait -1
	global_inv scope:SCOPE_SE
	s_and_saveexec_b32 s12, s4
	s_cbranch_execz .LBB946_396
; %bb.395:                              ;   in Loop: Header=BB946_20 Depth=1
	ds_load_b32 v2, v42
	v_cmp_ne_u32_e32 vcc_lo, 0, v68
	s_wait_dscnt 0x0
	v_mov_b32_dpp v3, v2 row_shr:1 row_mask:0xf bank_mask:0xf
	s_wait_alu 0xfffd
	s_delay_alu instid0(VALU_DEP_1) | instskip(SKIP_1) | instid1(VALU_DEP_2)
	v_cndmask_b32_e32 v3, 0, v3, vcc_lo
	v_cmp_lt_u32_e32 vcc_lo, 1, v68
	v_add_nc_u32_e32 v2, v3, v2
	s_delay_alu instid0(VALU_DEP_1) | instskip(SKIP_1) | instid1(VALU_DEP_1)
	v_mov_b32_dpp v3, v2 row_shr:2 row_mask:0xf bank_mask:0xf
	s_wait_alu 0xfffd
	v_cndmask_b32_e32 v3, 0, v3, vcc_lo
	v_cmp_lt_u32_e32 vcc_lo, 3, v68
	s_delay_alu instid0(VALU_DEP_2) | instskip(NEXT) | instid1(VALU_DEP_1)
	v_add_nc_u32_e32 v2, v2, v3
	v_mov_b32_dpp v3, v2 row_shr:4 row_mask:0xf bank_mask:0xf
	s_wait_alu 0xfffd
	s_delay_alu instid0(VALU_DEP_1) | instskip(NEXT) | instid1(VALU_DEP_1)
	v_cndmask_b32_e32 v3, 0, v3, vcc_lo
	v_add_nc_u32_e32 v2, v2, v3
	ds_store_b32 v42, v2
.LBB946_396:                            ;   in Loop: Header=BB946_20 Depth=1
	s_wait_alu 0xfffe
	s_or_b32 exec_lo, exec_lo, s12
	v_mov_b32_e32 v2, 0
	s_wait_loadcnt_dscnt 0x0
	s_barrier_signal -1
	s_barrier_wait -1
	global_inv scope:SCOPE_SE
	s_and_saveexec_b32 s12, s5
; %bb.397:                              ;   in Loop: Header=BB946_20 Depth=1
	ds_load_b32 v2, v44
; %bb.398:                              ;   in Loop: Header=BB946_20 Depth=1
	s_wait_alu 0xfffe
	s_or_b32 exec_lo, exec_lo, s12
	v_cmp_gt_i32_e32 vcc_lo, 0, v69
	s_wait_dscnt 0x0
	v_add_nc_u32_e32 v0, v2, v0
	s_wait_loadcnt 0x0
	s_barrier_signal -1
	s_barrier_wait -1
	s_wait_alu 0xfffd
	v_cndmask_b32_e32 v3, v69, v60, vcc_lo
	global_inv scope:SCOPE_SE
	v_lshlrev_b32_e32 v84, 2, v3
	ds_bpermute_b32 v0, v84, v0
	s_and_saveexec_b32 s12, s2
	s_cbranch_execz .LBB946_400
; %bb.399:                              ;   in Loop: Header=BB946_20 Depth=1
	s_wait_dscnt 0x0
	v_cndmask_b32_e64 v0, v0, v2, s8
	s_delay_alu instid0(VALU_DEP_1)
	v_add_nc_u32_e32 v0, s33, v0
	ds_store_b32 v28, v0
.LBB946_400:                            ;   in Loop: Header=BB946_20 Depth=1
	s_wait_alu 0xfffe
	s_or_b32 exec_lo, exec_lo, s12
	s_load_b64 s[12:13], s[28:29], 0x0
	v_add_co_u32 v85, vcc_lo, v58, v70
	s_wait_alu 0xfffd
	v_add_co_ci_u32_e64 v86, null, 0, v59, vcc_lo
	v_add_co_u32 v87, vcc_lo, v61, v78
	s_wait_alu 0xfffd
	v_add_co_ci_u32_e64 v88, null, 0, v62, vcc_lo
	s_mov_b32 s43, s47
                                        ; implicit-def: $vgpr9_vgpr10
                                        ; implicit-def: $vgpr11_vgpr12
                                        ; implicit-def: $vgpr16_vgpr17
                                        ; implicit-def: $vgpr18_vgpr19
                                        ; implicit-def: $vgpr20_vgpr21
                                        ; implicit-def: $vgpr22_vgpr23
                                        ; implicit-def: $vgpr90
                                        ; implicit-def: $vgpr91
                                        ; implicit-def: $vgpr92
                                        ; implicit-def: $vgpr93
                                        ; implicit-def: $vgpr94
                                        ; implicit-def: $vgpr95
                                        ; implicit-def: $vgpr96
                                        ; implicit-def: $vgpr97
	s_wait_kmcnt 0x0
	s_cmp_lt_u32 ttmp7, s13
	s_cselect_b32 s30, 14, 20
	s_cmp_lt_u32 ttmp9, s12
	s_wait_alu 0xfffe
	s_add_nc_u64 s[14:15], s[28:29], s[30:31]
	s_cselect_b32 s30, 12, 18
	s_load_u16 s14, s[14:15], 0x0
	s_add_nc_u64 s[12:13], s[28:29], s[30:31]
	s_mov_b32 s30, s33
	s_load_u16 s12, s[12:13], 0x0
	v_cmp_lt_u32_e64 s13, 1, v68
	s_wait_dscnt 0x0
	s_wait_kmcnt 0x0
	v_mad_u32_u24 v0, v45, s14, v46
	v_cmp_lt_u32_e64 s14, 3, v68
	s_delay_alu instid0(VALU_DEP_2) | instskip(SKIP_1) | instid1(VALU_DEP_2)
	v_mad_co_u64_u32 v[2:3], null, v0, s12, v[13:14]
	v_cmp_eq_u32_e64 s12, 0, v68
                                        ; implicit-def: $vgpr14_vgpr15
	v_lshrrev_b32_e32 v0, 3, v2
                                        ; implicit-def: $vgpr2_vgpr3
	s_delay_alu instid0(VALU_DEP_1)
	v_and_b32_e32 v89, 0x1ffffffc, v0
	s_branch .LBB946_402
.LBB946_401:                            ;   in Loop: Header=BB946_402 Depth=2
	s_wait_alu 0xfffe
	s_or_b32 exec_lo, exec_lo, s15
	s_addk_co_i32 s43, 0xf800
	s_cmp_lt_u32 s44, s34
	s_mov_b32 s30, s44
	s_cbranch_scc0 .LBB946_514
.LBB946_402:                            ;   Parent Loop BB946_20 Depth=1
                                        ; =>  This Inner Loop Header: Depth=2
	s_wait_alu 0xfffe
	s_add_co_i32 s44, s30, 0x800
	s_wait_alu 0xfffe
	s_cmp_gt_u32 s44, s34
	s_cbranch_scc1 .LBB946_404
; %bb.403:                              ;   in Loop: Header=BB946_402 Depth=2
	s_lshl_b64 s[16:17], s[30:31], 1
	s_mov_b32 s15, -1
	s_wait_alu 0xfffe
	v_add_co_u32 v24, vcc_lo, v87, s16
	s_wait_alu 0xfffd
	v_add_co_ci_u32_e64 v25, null, s17, v88, vcc_lo
	s_clause 0x3
	global_load_u16 v5, v[24:25], off
	global_load_u16 v6, v[24:25], off offset:128
	global_load_u16 v7, v[24:25], off offset:256
	global_load_d16_b16 v8, v[24:25], off offset:384
	s_wait_loadcnt 0x3
	global_load_d16_hi_b16 v5, v[24:25], off offset:64
	s_wait_loadcnt 0x3
	global_load_d16_hi_b16 v6, v[24:25], off offset:192
	;; [unrolled: 2-line block ×3, first 2 shown]
	s_movk_i32 s16, 0x800
	s_cbranch_execz .LBB946_405
	s_branch .LBB946_414
.LBB946_404:                            ;   in Loop: Header=BB946_402 Depth=2
	s_mov_b32 s15, 0
                                        ; implicit-def: $vgpr5_vgpr6_vgpr7_vgpr8
	s_movk_i32 s16, 0x800
.LBB946_405:                            ;   in Loop: Header=BB946_402 Depth=2
	s_wait_loadcnt 0x0
	v_mov_b32_e32 v7, v4
	s_lshl_b64 s[16:17], s[30:31], 1
	v_dual_mov_b32 v5, v4 :: v_dual_mov_b32 v6, v4
	s_wait_alu 0xfffe
	v_add_co_u32 v24, vcc_lo, v87, s16
	v_mov_b32_e32 v8, v7
	s_wait_alu 0xfffd
	v_add_co_ci_u32_e64 v25, null, s17, v88, vcc_lo
	v_mov_b32_e32 v7, v6
	v_mov_b32_e32 v6, v5
	;; [unrolled: 1-line block ×3, first 2 shown]
	s_mov_b32 s15, exec_lo
	v_cmpx_gt_u32_e64 s43, v67
	s_cbranch_execnz .LBB946_508
; %bb.406:                              ;   in Loop: Header=BB946_402 Depth=2
	s_wait_alu 0xfffe
	s_or_b32 exec_lo, exec_lo, s15
	s_delay_alu instid0(SALU_CYCLE_1)
	s_mov_b32 s15, exec_lo
	v_cmpx_gt_u32_e64 s43, v71
	s_cbranch_execnz .LBB946_509
.LBB946_407:                            ;   in Loop: Header=BB946_402 Depth=2
	s_wait_alu 0xfffe
	s_or_b32 exec_lo, exec_lo, s15
	s_delay_alu instid0(SALU_CYCLE_1)
	s_mov_b32 s15, exec_lo
	v_cmpx_gt_u32_e64 s43, v72
	s_cbranch_execnz .LBB946_510
.LBB946_408:                            ;   in Loop: Header=BB946_402 Depth=2
	s_wait_alu 0xfffe
	s_or_b32 exec_lo, exec_lo, s15
	s_delay_alu instid0(SALU_CYCLE_1)
	s_mov_b32 s15, exec_lo
	v_cmpx_gt_u32_e64 s43, v73
	s_cbranch_execnz .LBB946_511
.LBB946_409:                            ;   in Loop: Header=BB946_402 Depth=2
	s_wait_alu 0xfffe
	s_or_b32 exec_lo, exec_lo, s15
	s_delay_alu instid0(SALU_CYCLE_1)
	s_mov_b32 s15, exec_lo
	v_cmpx_gt_u32_e64 s43, v74
	s_cbranch_execnz .LBB946_512
.LBB946_410:                            ;   in Loop: Header=BB946_402 Depth=2
	s_wait_alu 0xfffe
	s_or_b32 exec_lo, exec_lo, s15
	s_delay_alu instid0(SALU_CYCLE_1)
	s_mov_b32 s15, exec_lo
	v_cmpx_gt_u32_e64 s43, v75
	s_cbranch_execnz .LBB946_513
.LBB946_411:                            ;   in Loop: Header=BB946_402 Depth=2
	s_wait_alu 0xfffe
	s_or_b32 exec_lo, exec_lo, s15
	s_delay_alu instid0(SALU_CYCLE_1)
	s_mov_b32 s15, exec_lo
	v_cmpx_gt_u32_e64 s43, v76
	s_cbranch_execz .LBB946_413
.LBB946_412:                            ;   in Loop: Header=BB946_402 Depth=2
	global_load_d16_b16 v8, v[24:25], off offset:384
.LBB946_413:                            ;   in Loop: Header=BB946_402 Depth=2
	s_wait_alu 0xfffe
	s_or_b32 exec_lo, exec_lo, s15
	v_cmp_gt_u32_e64 s15, s43, v77
	s_sub_co_i32 s16, s34, s30
.LBB946_414:                            ;   in Loop: Header=BB946_402 Depth=2
	v_mov_b32_e32 v98, s43
	s_and_saveexec_b32 s17, s15
	s_cbranch_execz .LBB946_416
; %bb.415:                              ;   in Loop: Header=BB946_402 Depth=2
	s_lshl_b64 s[18:19], s[30:31], 1
	s_wait_alu 0xfffe
	v_mov_b32_e32 v98, s16
	v_add_co_u32 v24, vcc_lo, v87, s18
	s_wait_alu 0xfffd
	v_add_co_ci_u32_e64 v25, null, s19, v88, vcc_lo
	s_wait_loadcnt 0x0
	global_load_d16_hi_b16 v8, v[24:25], off offset:448
.LBB946_416:                            ;   in Loop: Header=BB946_402 Depth=2
	s_wait_alu 0xfffe
	s_or_b32 exec_lo, exec_lo, s17
	s_wait_loadcnt 0x0
	v_xor_b32_e32 v0, 0x7fff, v5
	s_delay_alu instid0(VALU_DEP_1) | instskip(NEXT) | instid1(VALU_DEP_1)
	v_and_b32_e32 v24, 0xffff, v0
	v_lshrrev_b32_e32 v24, s45, v24
	s_delay_alu instid0(VALU_DEP_1) | instskip(NEXT) | instid1(VALU_DEP_1)
	v_and_b32_e32 v25, s42, v24
	v_and_b32_e32 v24, 1, v25
	v_lshlrev_b32_e32 v26, 30, v25
	v_lshlrev_b32_e32 v27, 29, v25
	;; [unrolled: 1-line block ×4, first 2 shown]
	v_add_co_u32 v24, s15, v24, -1
	s_wait_alu 0xf1ff
	v_cndmask_b32_e64 v100, 0, 1, s15
	v_not_b32_e32 v104, v26
	v_cmp_gt_i32_e64 s15, 0, v26
	v_not_b32_e32 v26, v27
	v_lshlrev_b32_e32 v102, 26, v25
	v_cmp_ne_u32_e32 vcc_lo, 0, v100
	v_ashrrev_i32_e32 v104, 31, v104
	v_lshlrev_b32_e32 v103, 25, v25
	v_ashrrev_i32_e32 v26, 31, v26
	v_lshlrev_b32_e32 v100, 24, v25
	s_wait_alu 0xfffd
	v_xor_b32_e32 v24, vcc_lo, v24
	v_cmp_gt_i32_e32 vcc_lo, 0, v27
	v_not_b32_e32 v27, v99
	s_wait_alu 0xf1ff
	v_xor_b32_e32 v104, s15, v104
	v_cmp_gt_i32_e64 s15, 0, v99
	v_and_b32_e32 v24, exec_lo, v24
	v_not_b32_e32 v99, v101
	v_ashrrev_i32_e32 v27, 31, v27
	s_wait_alu 0xfffd
	v_xor_b32_e32 v26, vcc_lo, v26
	v_cmp_gt_i32_e32 vcc_lo, 0, v101
	v_and_b32_e32 v24, v24, v104
	v_not_b32_e32 v101, v102
	v_ashrrev_i32_e32 v99, 31, v99
	s_wait_alu 0xf1ff
	v_xor_b32_e32 v27, s15, v27
	v_cmp_gt_i32_e64 s15, 0, v102
	v_and_b32_e32 v24, v24, v26
	v_not_b32_e32 v26, v103
	v_ashrrev_i32_e32 v101, 31, v101
	s_wait_alu 0xfffd
	v_xor_b32_e32 v99, vcc_lo, v99
	v_cmp_gt_i32_e32 vcc_lo, 0, v103
	v_and_b32_e32 v24, v24, v27
	v_not_b32_e32 v27, v100
	v_ashrrev_i32_e32 v26, 31, v26
	s_wait_alu 0xf1ff
	v_xor_b32_e32 v101, s15, v101
	v_cmp_gt_i32_e64 s15, 0, v100
	v_and_b32_e32 v24, v24, v99
	v_ashrrev_i32_e32 v27, 31, v27
	s_wait_alu 0xfffd
	v_xor_b32_e32 v26, vcc_lo, v26
	v_mul_u32_u24_e32 v25, 36, v25
	v_add_nc_u32_e32 v102, 0x420, v43
	v_and_b32_e32 v24, v24, v101
	s_wait_alu 0xf1ff
	v_xor_b32_e32 v27, s15, v27
	v_add_nc_u32_e32 v101, 0x438, v43
	v_add_nc_u32_e32 v103, 0x428, v43
	;; [unrolled: 1-line block ×3, first 2 shown]
	v_and_b32_e32 v24, v24, v26
	v_add_nc_u32_e32 v105, v89, v25
	ds_store_2addr_b32 v101, v1, v1 offset1:1
	ds_store_2addr_b32 v102, v1, v1 offset1:1
	;; [unrolled: 1-line block ×4, first 2 shown]
	ds_store_b32 v43, v1 offset:1088
	s_wait_dscnt 0x0
	v_and_b32_e32 v24, v24, v27
	s_barrier_signal -1
	s_barrier_wait -1
	global_inv scope:SCOPE_SE
	v_mbcnt_lo_u32_b32 v99, v24, 0
	v_cmp_ne_u32_e64 s15, 0, v24
	; wave barrier
	s_delay_alu instid0(VALU_DEP_2)
	v_cmp_eq_u32_e32 vcc_lo, 0, v99
	s_and_b32 s16, s15, vcc_lo
	s_wait_alu 0xfffe
	s_and_saveexec_b32 s15, s16
; %bb.417:                              ;   in Loop: Header=BB946_402 Depth=2
	v_bcnt_u32_b32 v24, v24, 0
	ds_store_b32 v105, v24 offset:1056
; %bb.418:                              ;   in Loop: Header=BB946_402 Depth=2
	s_wait_alu 0xfffe
	s_or_b32 exec_lo, exec_lo, s15
	v_lshrrev_b32_e32 v5, 16, v5
	; wave barrier
	s_delay_alu instid0(VALU_DEP_1) | instskip(NEXT) | instid1(VALU_DEP_1)
	v_xor_b32_e32 v100, 0x7fff, v5
	v_and_b32_e32 v5, 0xffff, v100
	s_delay_alu instid0(VALU_DEP_1) | instskip(NEXT) | instid1(VALU_DEP_1)
	v_lshrrev_b32_e32 v5, s45, v5
	v_and_b32_e32 v24, s42, v5
	s_delay_alu instid0(VALU_DEP_1)
	v_and_b32_e32 v5, 1, v24
	v_lshlrev_b32_e32 v25, 30, v24
	v_lshlrev_b32_e32 v26, 29, v24
	;; [unrolled: 1-line block ×4, first 2 shown]
	v_add_co_u32 v5, s15, v5, -1
	s_wait_alu 0xf1ff
	v_cndmask_b32_e64 v106, 0, 1, s15
	v_not_b32_e32 v110, v25
	v_cmp_gt_i32_e64 s15, 0, v25
	v_not_b32_e32 v25, v26
	v_lshlrev_b32_e32 v108, 26, v24
	v_cmp_ne_u32_e32 vcc_lo, 0, v106
	v_ashrrev_i32_e32 v110, 31, v110
	v_lshlrev_b32_e32 v109, 25, v24
	v_ashrrev_i32_e32 v25, 31, v25
	v_lshlrev_b32_e32 v106, 24, v24
	s_wait_alu 0xfffd
	v_xor_b32_e32 v5, vcc_lo, v5
	v_cmp_gt_i32_e32 vcc_lo, 0, v26
	v_not_b32_e32 v26, v27
	s_wait_alu 0xf1ff
	v_xor_b32_e32 v110, s15, v110
	v_cmp_gt_i32_e64 s15, 0, v27
	v_and_b32_e32 v5, exec_lo, v5
	v_not_b32_e32 v27, v107
	v_ashrrev_i32_e32 v26, 31, v26
	s_wait_alu 0xfffd
	v_xor_b32_e32 v25, vcc_lo, v25
	v_cmp_gt_i32_e32 vcc_lo, 0, v107
	v_and_b32_e32 v5, v5, v110
	v_not_b32_e32 v107, v108
	v_ashrrev_i32_e32 v27, 31, v27
	s_wait_alu 0xf1ff
	v_xor_b32_e32 v26, s15, v26
	v_cmp_gt_i32_e64 s15, 0, v108
	v_and_b32_e32 v5, v5, v25
	v_not_b32_e32 v25, v109
	v_ashrrev_i32_e32 v107, 31, v107
	s_wait_alu 0xfffd
	v_xor_b32_e32 v27, vcc_lo, v27
	v_cmp_gt_i32_e32 vcc_lo, 0, v109
	v_and_b32_e32 v5, v5, v26
	v_not_b32_e32 v26, v106
	v_ashrrev_i32_e32 v25, 31, v25
	s_wait_alu 0xf1ff
	v_xor_b32_e32 v107, s15, v107
	v_cmp_gt_i32_e64 s15, 0, v106
	v_and_b32_e32 v5, v5, v27
	v_ashrrev_i32_e32 v26, 31, v26
	s_wait_alu 0xfffd
	v_xor_b32_e32 v25, vcc_lo, v25
	v_mad_u32_u24 v27, v24, 36, v89
	v_mul_u32_u24_e32 v24, 36, v24
	v_and_b32_e32 v5, v5, v107
	s_wait_alu 0xf1ff
	v_xor_b32_e32 v26, s15, v26
	ds_load_b32 v106, v27 offset:1056
	v_add_nc_u32_e32 v109, v89, v24
	v_and_b32_e32 v5, v5, v25
	; wave barrier
	s_delay_alu instid0(VALU_DEP_1) | instskip(NEXT) | instid1(VALU_DEP_1)
	v_and_b32_e32 v5, v5, v26
	v_mbcnt_lo_u32_b32 v107, v5, 0
	v_cmp_ne_u32_e64 s15, 0, v5
	s_delay_alu instid0(VALU_DEP_2)
	v_cmp_eq_u32_e32 vcc_lo, 0, v107
	s_and_b32 s16, s15, vcc_lo
	s_wait_alu 0xfffe
	s_and_saveexec_b32 s15, s16
	s_cbranch_execz .LBB946_420
; %bb.419:                              ;   in Loop: Header=BB946_402 Depth=2
	s_wait_dscnt 0x0
	v_bcnt_u32_b32 v5, v5, v106
	ds_store_b32 v109, v5 offset:1056
.LBB946_420:                            ;   in Loop: Header=BB946_402 Depth=2
	s_wait_alu 0xfffe
	s_or_b32 exec_lo, exec_lo, s15
	v_xor_b32_e32 v108, 0x7fff, v6
	; wave barrier
	s_delay_alu instid0(VALU_DEP_1) | instskip(NEXT) | instid1(VALU_DEP_1)
	v_and_b32_e32 v5, 0xffff, v108
	v_lshrrev_b32_e32 v5, s45, v5
	s_delay_alu instid0(VALU_DEP_1) | instskip(NEXT) | instid1(VALU_DEP_1)
	v_and_b32_e32 v24, s42, v5
	v_and_b32_e32 v5, 1, v24
	v_lshlrev_b32_e32 v25, 30, v24
	v_lshlrev_b32_e32 v26, 29, v24
	;; [unrolled: 1-line block ×4, first 2 shown]
	v_add_co_u32 v5, s15, v5, -1
	s_wait_alu 0xf1ff
	v_cndmask_b32_e64 v110, 0, 1, s15
	v_not_b32_e32 v114, v25
	v_cmp_gt_i32_e64 s15, 0, v25
	v_not_b32_e32 v25, v26
	v_lshlrev_b32_e32 v112, 26, v24
	v_cmp_ne_u32_e32 vcc_lo, 0, v110
	v_ashrrev_i32_e32 v114, 31, v114
	v_lshlrev_b32_e32 v113, 25, v24
	v_ashrrev_i32_e32 v25, 31, v25
	v_lshlrev_b32_e32 v110, 24, v24
	s_wait_alu 0xfffd
	v_xor_b32_e32 v5, vcc_lo, v5
	v_cmp_gt_i32_e32 vcc_lo, 0, v26
	v_not_b32_e32 v26, v27
	s_wait_alu 0xf1ff
	v_xor_b32_e32 v114, s15, v114
	v_cmp_gt_i32_e64 s15, 0, v27
	v_and_b32_e32 v5, exec_lo, v5
	v_not_b32_e32 v27, v111
	v_ashrrev_i32_e32 v26, 31, v26
	s_wait_alu 0xfffd
	v_xor_b32_e32 v25, vcc_lo, v25
	v_cmp_gt_i32_e32 vcc_lo, 0, v111
	v_and_b32_e32 v5, v5, v114
	v_not_b32_e32 v111, v112
	v_ashrrev_i32_e32 v27, 31, v27
	s_wait_alu 0xf1ff
	v_xor_b32_e32 v26, s15, v26
	v_cmp_gt_i32_e64 s15, 0, v112
	v_and_b32_e32 v5, v5, v25
	v_not_b32_e32 v25, v113
	v_ashrrev_i32_e32 v111, 31, v111
	s_wait_alu 0xfffd
	v_xor_b32_e32 v27, vcc_lo, v27
	v_cmp_gt_i32_e32 vcc_lo, 0, v113
	v_and_b32_e32 v5, v5, v26
	v_not_b32_e32 v26, v110
	v_ashrrev_i32_e32 v25, 31, v25
	s_wait_alu 0xf1ff
	v_xor_b32_e32 v111, s15, v111
	v_cmp_gt_i32_e64 s15, 0, v110
	v_and_b32_e32 v5, v5, v27
	v_ashrrev_i32_e32 v26, 31, v26
	s_wait_alu 0xfffd
	v_xor_b32_e32 v25, vcc_lo, v25
	v_mad_u32_u24 v27, v24, 36, v89
	v_mul_u32_u24_e32 v24, 36, v24
	v_and_b32_e32 v5, v5, v111
	s_wait_alu 0xf1ff
	v_xor_b32_e32 v26, s15, v26
	ds_load_b32 v110, v27 offset:1056
	v_add_nc_u32_e32 v113, v89, v24
	v_and_b32_e32 v5, v5, v25
	; wave barrier
	s_delay_alu instid0(VALU_DEP_1) | instskip(NEXT) | instid1(VALU_DEP_1)
	v_and_b32_e32 v5, v5, v26
	v_mbcnt_lo_u32_b32 v112, v5, 0
	v_cmp_ne_u32_e64 s15, 0, v5
	s_delay_alu instid0(VALU_DEP_2)
	v_cmp_eq_u32_e32 vcc_lo, 0, v112
	s_and_b32 s16, s15, vcc_lo
	s_wait_alu 0xfffe
	s_and_saveexec_b32 s15, s16
	s_cbranch_execz .LBB946_422
; %bb.421:                              ;   in Loop: Header=BB946_402 Depth=2
	s_wait_dscnt 0x0
	v_bcnt_u32_b32 v5, v5, v110
	ds_store_b32 v113, v5 offset:1056
.LBB946_422:                            ;   in Loop: Header=BB946_402 Depth=2
	s_wait_alu 0xfffe
	s_or_b32 exec_lo, exec_lo, s15
	v_lshrrev_b32_e32 v5, 16, v6
	; wave barrier
	s_delay_alu instid0(VALU_DEP_1) | instskip(NEXT) | instid1(VALU_DEP_1)
	v_xor_b32_e32 v111, 0x7fff, v5
	v_and_b32_e32 v5, 0xffff, v111
	s_delay_alu instid0(VALU_DEP_1) | instskip(NEXT) | instid1(VALU_DEP_1)
	v_lshrrev_b32_e32 v5, s45, v5
	v_and_b32_e32 v6, s42, v5
	s_delay_alu instid0(VALU_DEP_1)
	v_and_b32_e32 v5, 1, v6
	v_lshlrev_b32_e32 v24, 30, v6
	v_lshlrev_b32_e32 v25, 29, v6
	;; [unrolled: 1-line block ×4, first 2 shown]
	v_add_co_u32 v5, s15, v5, -1
	s_wait_alu 0xf1ff
	v_cndmask_b32_e64 v27, 0, 1, s15
	v_not_b32_e32 v117, v24
	v_cmp_gt_i32_e64 s15, 0, v24
	v_not_b32_e32 v24, v25
	v_lshlrev_b32_e32 v115, 26, v6
	v_cmp_ne_u32_e32 vcc_lo, 0, v27
	v_ashrrev_i32_e32 v117, 31, v117
	v_lshlrev_b32_e32 v116, 25, v6
	v_ashrrev_i32_e32 v24, 31, v24
	v_lshlrev_b32_e32 v27, 24, v6
	s_wait_alu 0xfffd
	v_xor_b32_e32 v5, vcc_lo, v5
	v_cmp_gt_i32_e32 vcc_lo, 0, v25
	v_not_b32_e32 v25, v26
	s_wait_alu 0xf1ff
	v_xor_b32_e32 v117, s15, v117
	v_cmp_gt_i32_e64 s15, 0, v26
	v_and_b32_e32 v5, exec_lo, v5
	v_not_b32_e32 v26, v114
	v_ashrrev_i32_e32 v25, 31, v25
	s_wait_alu 0xfffd
	v_xor_b32_e32 v24, vcc_lo, v24
	v_cmp_gt_i32_e32 vcc_lo, 0, v114
	v_and_b32_e32 v5, v5, v117
	v_not_b32_e32 v114, v115
	v_ashrrev_i32_e32 v26, 31, v26
	s_wait_alu 0xf1ff
	v_xor_b32_e32 v25, s15, v25
	v_cmp_gt_i32_e64 s15, 0, v115
	v_and_b32_e32 v5, v5, v24
	v_not_b32_e32 v24, v116
	v_ashrrev_i32_e32 v114, 31, v114
	s_wait_alu 0xfffd
	v_xor_b32_e32 v26, vcc_lo, v26
	v_cmp_gt_i32_e32 vcc_lo, 0, v116
	v_and_b32_e32 v5, v5, v25
	v_not_b32_e32 v25, v27
	v_ashrrev_i32_e32 v24, 31, v24
	s_wait_alu 0xf1ff
	v_xor_b32_e32 v114, s15, v114
	v_cmp_gt_i32_e64 s15, 0, v27
	v_and_b32_e32 v5, v5, v26
	v_ashrrev_i32_e32 v25, 31, v25
	s_wait_alu 0xfffd
	v_xor_b32_e32 v24, vcc_lo, v24
	v_mad_u32_u24 v26, v6, 36, v89
	v_mul_u32_u24_e32 v6, 36, v6
	v_and_b32_e32 v5, v5, v114
	s_wait_alu 0xf1ff
	v_xor_b32_e32 v25, s15, v25
	ds_load_b32 v114, v26 offset:1056
	v_add_nc_u32_e32 v117, v89, v6
	v_and_b32_e32 v5, v5, v24
	; wave barrier
	s_delay_alu instid0(VALU_DEP_1) | instskip(NEXT) | instid1(VALU_DEP_1)
	v_and_b32_e32 v5, v5, v25
	v_mbcnt_lo_u32_b32 v116, v5, 0
	v_cmp_ne_u32_e64 s15, 0, v5
	s_delay_alu instid0(VALU_DEP_2)
	v_cmp_eq_u32_e32 vcc_lo, 0, v116
	s_and_b32 s16, s15, vcc_lo
	s_wait_alu 0xfffe
	s_and_saveexec_b32 s15, s16
	s_cbranch_execz .LBB946_424
; %bb.423:                              ;   in Loop: Header=BB946_402 Depth=2
	s_wait_dscnt 0x0
	v_bcnt_u32_b32 v5, v5, v114
	ds_store_b32 v117, v5 offset:1056
.LBB946_424:                            ;   in Loop: Header=BB946_402 Depth=2
	s_wait_alu 0xfffe
	s_or_b32 exec_lo, exec_lo, s15
	v_xor_b32_e32 v115, 0x7fff, v7
	; wave barrier
	s_delay_alu instid0(VALU_DEP_1) | instskip(NEXT) | instid1(VALU_DEP_1)
	v_and_b32_e32 v5, 0xffff, v115
	v_lshrrev_b32_e32 v5, s45, v5
	s_delay_alu instid0(VALU_DEP_1) | instskip(NEXT) | instid1(VALU_DEP_1)
	v_and_b32_e32 v6, s42, v5
	v_and_b32_e32 v5, 1, v6
	v_lshlrev_b32_e32 v24, 30, v6
	v_lshlrev_b32_e32 v25, 29, v6
	;; [unrolled: 1-line block ×4, first 2 shown]
	v_add_co_u32 v5, s15, v5, -1
	s_wait_alu 0xf1ff
	v_cndmask_b32_e64 v27, 0, 1, s15
	v_not_b32_e32 v121, v24
	v_cmp_gt_i32_e64 s15, 0, v24
	v_not_b32_e32 v24, v25
	v_lshlrev_b32_e32 v119, 26, v6
	v_cmp_ne_u32_e32 vcc_lo, 0, v27
	v_ashrrev_i32_e32 v121, 31, v121
	v_lshlrev_b32_e32 v120, 25, v6
	v_ashrrev_i32_e32 v24, 31, v24
	v_lshlrev_b32_e32 v27, 24, v6
	s_wait_alu 0xfffd
	v_xor_b32_e32 v5, vcc_lo, v5
	v_cmp_gt_i32_e32 vcc_lo, 0, v25
	v_not_b32_e32 v25, v26
	s_wait_alu 0xf1ff
	v_xor_b32_e32 v121, s15, v121
	v_cmp_gt_i32_e64 s15, 0, v26
	v_and_b32_e32 v5, exec_lo, v5
	v_not_b32_e32 v26, v118
	v_ashrrev_i32_e32 v25, 31, v25
	s_wait_alu 0xfffd
	v_xor_b32_e32 v24, vcc_lo, v24
	v_cmp_gt_i32_e32 vcc_lo, 0, v118
	v_and_b32_e32 v5, v5, v121
	v_not_b32_e32 v118, v119
	v_ashrrev_i32_e32 v26, 31, v26
	s_wait_alu 0xf1ff
	v_xor_b32_e32 v25, s15, v25
	v_cmp_gt_i32_e64 s15, 0, v119
	v_and_b32_e32 v5, v5, v24
	v_not_b32_e32 v24, v120
	v_ashrrev_i32_e32 v118, 31, v118
	s_wait_alu 0xfffd
	v_xor_b32_e32 v26, vcc_lo, v26
	v_cmp_gt_i32_e32 vcc_lo, 0, v120
	v_and_b32_e32 v5, v5, v25
	v_not_b32_e32 v25, v27
	v_ashrrev_i32_e32 v24, 31, v24
	s_wait_alu 0xf1ff
	v_xor_b32_e32 v118, s15, v118
	v_cmp_gt_i32_e64 s15, 0, v27
	v_and_b32_e32 v5, v5, v26
	v_ashrrev_i32_e32 v25, 31, v25
	s_wait_alu 0xfffd
	v_xor_b32_e32 v24, vcc_lo, v24
	v_mad_u32_u24 v26, v6, 36, v89
	v_mul_u32_u24_e32 v6, 36, v6
	v_and_b32_e32 v5, v5, v118
	s_wait_alu 0xf1ff
	v_xor_b32_e32 v25, s15, v25
	ds_load_b32 v118, v26 offset:1056
	v_add_nc_u32_e32 v121, v89, v6
	v_and_b32_e32 v5, v5, v24
	; wave barrier
	s_delay_alu instid0(VALU_DEP_1) | instskip(NEXT) | instid1(VALU_DEP_1)
	v_and_b32_e32 v5, v5, v25
	v_mbcnt_lo_u32_b32 v120, v5, 0
	v_cmp_ne_u32_e64 s15, 0, v5
	s_delay_alu instid0(VALU_DEP_2)
	v_cmp_eq_u32_e32 vcc_lo, 0, v120
	s_and_b32 s16, s15, vcc_lo
	s_wait_alu 0xfffe
	s_and_saveexec_b32 s15, s16
	s_cbranch_execz .LBB946_426
; %bb.425:                              ;   in Loop: Header=BB946_402 Depth=2
	s_wait_dscnt 0x0
	v_bcnt_u32_b32 v5, v5, v118
	ds_store_b32 v121, v5 offset:1056
.LBB946_426:                            ;   in Loop: Header=BB946_402 Depth=2
	s_wait_alu 0xfffe
	s_or_b32 exec_lo, exec_lo, s15
	v_lshrrev_b32_e32 v5, 16, v7
	; wave barrier
	s_delay_alu instid0(VALU_DEP_1) | instskip(NEXT) | instid1(VALU_DEP_1)
	v_xor_b32_e32 v119, 0x7fff, v5
	v_and_b32_e32 v5, 0xffff, v119
	s_delay_alu instid0(VALU_DEP_1) | instskip(NEXT) | instid1(VALU_DEP_1)
	v_lshrrev_b32_e32 v5, s45, v5
	v_and_b32_e32 v6, s42, v5
	s_delay_alu instid0(VALU_DEP_1)
	v_and_b32_e32 v5, 1, v6
	v_lshlrev_b32_e32 v7, 30, v6
	v_lshlrev_b32_e32 v24, 29, v6
	;; [unrolled: 1-line block ×4, first 2 shown]
	v_add_co_u32 v5, s15, v5, -1
	s_wait_alu 0xf1ff
	v_cndmask_b32_e64 v26, 0, 1, s15
	v_not_b32_e32 v124, v7
	v_cmp_gt_i32_e64 s15, 0, v7
	v_not_b32_e32 v7, v24
	v_lshlrev_b32_e32 v122, 26, v6
	v_cmp_ne_u32_e32 vcc_lo, 0, v26
	v_ashrrev_i32_e32 v124, 31, v124
	v_lshlrev_b32_e32 v123, 25, v6
	v_ashrrev_i32_e32 v7, 31, v7
	v_lshlrev_b32_e32 v26, 24, v6
	s_wait_alu 0xfffd
	v_xor_b32_e32 v5, vcc_lo, v5
	v_cmp_gt_i32_e32 vcc_lo, 0, v24
	v_not_b32_e32 v24, v25
	s_wait_alu 0xf1ff
	v_xor_b32_e32 v124, s15, v124
	v_cmp_gt_i32_e64 s15, 0, v25
	v_and_b32_e32 v5, exec_lo, v5
	v_not_b32_e32 v25, v27
	v_ashrrev_i32_e32 v24, 31, v24
	s_wait_alu 0xfffd
	v_xor_b32_e32 v7, vcc_lo, v7
	v_cmp_gt_i32_e32 vcc_lo, 0, v27
	v_and_b32_e32 v5, v5, v124
	v_not_b32_e32 v27, v122
	v_ashrrev_i32_e32 v25, 31, v25
	s_wait_alu 0xf1ff
	v_xor_b32_e32 v24, s15, v24
	v_cmp_gt_i32_e64 s15, 0, v122
	v_and_b32_e32 v5, v5, v7
	v_not_b32_e32 v7, v123
	v_ashrrev_i32_e32 v27, 31, v27
	s_wait_alu 0xfffd
	v_xor_b32_e32 v25, vcc_lo, v25
	v_cmp_gt_i32_e32 vcc_lo, 0, v123
	v_and_b32_e32 v5, v5, v24
	v_not_b32_e32 v24, v26
	v_ashrrev_i32_e32 v7, 31, v7
	s_wait_alu 0xf1ff
	v_xor_b32_e32 v27, s15, v27
	v_cmp_gt_i32_e64 s15, 0, v26
	v_and_b32_e32 v5, v5, v25
	v_ashrrev_i32_e32 v24, 31, v24
	s_wait_alu 0xfffd
	v_xor_b32_e32 v7, vcc_lo, v7
	v_mad_u32_u24 v25, v6, 36, v89
	v_mul_u32_u24_e32 v6, 36, v6
	v_and_b32_e32 v5, v5, v27
	s_wait_alu 0xf1ff
	v_xor_b32_e32 v24, s15, v24
	ds_load_b32 v122, v25 offset:1056
	v_add_nc_u32_e32 v125, v89, v6
	v_and_b32_e32 v5, v5, v7
	; wave barrier
	s_delay_alu instid0(VALU_DEP_1) | instskip(NEXT) | instid1(VALU_DEP_1)
	v_and_b32_e32 v5, v5, v24
	v_mbcnt_lo_u32_b32 v124, v5, 0
	v_cmp_ne_u32_e64 s15, 0, v5
	s_delay_alu instid0(VALU_DEP_2)
	v_cmp_eq_u32_e32 vcc_lo, 0, v124
	s_and_b32 s16, s15, vcc_lo
	s_wait_alu 0xfffe
	s_and_saveexec_b32 s15, s16
	s_cbranch_execz .LBB946_428
; %bb.427:                              ;   in Loop: Header=BB946_402 Depth=2
	s_wait_dscnt 0x0
	v_bcnt_u32_b32 v5, v5, v122
	ds_store_b32 v125, v5 offset:1056
.LBB946_428:                            ;   in Loop: Header=BB946_402 Depth=2
	s_wait_alu 0xfffe
	s_or_b32 exec_lo, exec_lo, s15
	v_xor_b32_e32 v123, 0x7fff, v8
	; wave barrier
	s_delay_alu instid0(VALU_DEP_1) | instskip(NEXT) | instid1(VALU_DEP_1)
	v_and_b32_e32 v5, 0xffff, v123
	v_lshrrev_b32_e32 v5, s45, v5
	s_delay_alu instid0(VALU_DEP_1) | instskip(NEXT) | instid1(VALU_DEP_1)
	v_and_b32_e32 v6, s42, v5
	v_and_b32_e32 v5, 1, v6
	v_lshlrev_b32_e32 v7, 30, v6
	v_lshlrev_b32_e32 v24, 29, v6
	v_lshlrev_b32_e32 v25, 28, v6
	v_lshlrev_b32_e32 v27, 27, v6
	v_add_co_u32 v5, s15, v5, -1
	s_wait_alu 0xf1ff
	v_cndmask_b32_e64 v26, 0, 1, s15
	v_not_b32_e32 v128, v7
	v_cmp_gt_i32_e64 s15, 0, v7
	v_not_b32_e32 v7, v24
	v_lshlrev_b32_e32 v126, 26, v6
	v_cmp_ne_u32_e32 vcc_lo, 0, v26
	v_ashrrev_i32_e32 v128, 31, v128
	v_lshlrev_b32_e32 v127, 25, v6
	v_ashrrev_i32_e32 v7, 31, v7
	v_lshlrev_b32_e32 v26, 24, v6
	s_wait_alu 0xfffd
	v_xor_b32_e32 v5, vcc_lo, v5
	v_cmp_gt_i32_e32 vcc_lo, 0, v24
	v_not_b32_e32 v24, v25
	s_wait_alu 0xf1ff
	v_xor_b32_e32 v128, s15, v128
	v_cmp_gt_i32_e64 s15, 0, v25
	v_and_b32_e32 v5, exec_lo, v5
	v_not_b32_e32 v25, v27
	v_ashrrev_i32_e32 v24, 31, v24
	s_wait_alu 0xfffd
	v_xor_b32_e32 v7, vcc_lo, v7
	v_cmp_gt_i32_e32 vcc_lo, 0, v27
	v_and_b32_e32 v5, v5, v128
	v_not_b32_e32 v27, v126
	v_ashrrev_i32_e32 v25, 31, v25
	s_wait_alu 0xf1ff
	v_xor_b32_e32 v24, s15, v24
	v_cmp_gt_i32_e64 s15, 0, v126
	v_and_b32_e32 v5, v5, v7
	v_not_b32_e32 v7, v127
	v_ashrrev_i32_e32 v27, 31, v27
	s_wait_alu 0xfffd
	v_xor_b32_e32 v25, vcc_lo, v25
	v_cmp_gt_i32_e32 vcc_lo, 0, v127
	v_and_b32_e32 v5, v5, v24
	v_not_b32_e32 v24, v26
	v_ashrrev_i32_e32 v7, 31, v7
	s_wait_alu 0xf1ff
	v_xor_b32_e32 v27, s15, v27
	v_cmp_gt_i32_e64 s15, 0, v26
	v_and_b32_e32 v5, v5, v25
	v_ashrrev_i32_e32 v24, 31, v24
	s_wait_alu 0xfffd
	v_xor_b32_e32 v7, vcc_lo, v7
	v_mad_u32_u24 v25, v6, 36, v89
	v_mul_u32_u24_e32 v6, 36, v6
	v_and_b32_e32 v5, v5, v27
	s_wait_alu 0xf1ff
	v_xor_b32_e32 v24, s15, v24
	ds_load_b32 v126, v25 offset:1056
	v_add_nc_u32_e32 v129, v89, v6
	v_and_b32_e32 v5, v5, v7
	; wave barrier
	s_delay_alu instid0(VALU_DEP_1) | instskip(NEXT) | instid1(VALU_DEP_1)
	v_and_b32_e32 v5, v5, v24
	v_mbcnt_lo_u32_b32 v127, v5, 0
	v_cmp_ne_u32_e64 s15, 0, v5
	s_delay_alu instid0(VALU_DEP_2)
	v_cmp_eq_u32_e32 vcc_lo, 0, v127
	s_and_b32 s16, s15, vcc_lo
	s_wait_alu 0xfffe
	s_and_saveexec_b32 s15, s16
	s_cbranch_execz .LBB946_430
; %bb.429:                              ;   in Loop: Header=BB946_402 Depth=2
	s_wait_dscnt 0x0
	v_bcnt_u32_b32 v5, v5, v126
	ds_store_b32 v129, v5 offset:1056
.LBB946_430:                            ;   in Loop: Header=BB946_402 Depth=2
	s_wait_alu 0xfffe
	s_or_b32 exec_lo, exec_lo, s15
	v_lshrrev_b32_e32 v5, 16, v8
	; wave barrier
	s_delay_alu instid0(VALU_DEP_1) | instskip(NEXT) | instid1(VALU_DEP_1)
	v_xor_b32_e32 v128, 0x7fff, v5
	v_and_b32_e32 v5, 0xffff, v128
	s_delay_alu instid0(VALU_DEP_1) | instskip(NEXT) | instid1(VALU_DEP_1)
	v_lshrrev_b32_e32 v5, s45, v5
	v_and_b32_e32 v6, s42, v5
	s_delay_alu instid0(VALU_DEP_1)
	v_and_b32_e32 v5, 1, v6
	v_lshlrev_b32_e32 v7, 30, v6
	v_lshlrev_b32_e32 v8, 29, v6
	;; [unrolled: 1-line block ×4, first 2 shown]
	v_add_co_u32 v5, s15, v5, -1
	s_wait_alu 0xf1ff
	v_cndmask_b32_e64 v25, 0, 1, s15
	v_not_b32_e32 v131, v7
	v_cmp_gt_i32_e64 s15, 0, v7
	v_not_b32_e32 v7, v8
	v_lshlrev_b32_e32 v27, 26, v6
	v_cmp_ne_u32_e32 vcc_lo, 0, v25
	v_ashrrev_i32_e32 v131, 31, v131
	v_lshlrev_b32_e32 v130, 25, v6
	v_ashrrev_i32_e32 v7, 31, v7
	v_lshlrev_b32_e32 v25, 24, v6
	s_wait_alu 0xfffd
	v_xor_b32_e32 v5, vcc_lo, v5
	v_cmp_gt_i32_e32 vcc_lo, 0, v8
	v_not_b32_e32 v8, v24
	s_wait_alu 0xf1ff
	v_xor_b32_e32 v131, s15, v131
	v_cmp_gt_i32_e64 s15, 0, v24
	v_and_b32_e32 v5, exec_lo, v5
	v_not_b32_e32 v24, v26
	v_ashrrev_i32_e32 v8, 31, v8
	s_wait_alu 0xfffd
	v_xor_b32_e32 v7, vcc_lo, v7
	v_cmp_gt_i32_e32 vcc_lo, 0, v26
	v_and_b32_e32 v5, v5, v131
	v_not_b32_e32 v26, v27
	v_ashrrev_i32_e32 v24, 31, v24
	s_wait_alu 0xf1ff
	v_xor_b32_e32 v8, s15, v8
	v_cmp_gt_i32_e64 s15, 0, v27
	v_and_b32_e32 v5, v5, v7
	v_not_b32_e32 v7, v130
	v_ashrrev_i32_e32 v26, 31, v26
	s_wait_alu 0xfffd
	v_xor_b32_e32 v24, vcc_lo, v24
	v_cmp_gt_i32_e32 vcc_lo, 0, v130
	v_and_b32_e32 v5, v5, v8
	v_not_b32_e32 v8, v25
	v_ashrrev_i32_e32 v7, 31, v7
	s_wait_alu 0xf1ff
	v_xor_b32_e32 v26, s15, v26
	v_cmp_gt_i32_e64 s15, 0, v25
	v_and_b32_e32 v5, v5, v24
	v_ashrrev_i32_e32 v8, 31, v8
	s_wait_alu 0xfffd
	v_xor_b32_e32 v7, vcc_lo, v7
	v_mad_u32_u24 v24, v6, 36, v89
	v_mul_u32_u24_e32 v6, 36, v6
	v_and_b32_e32 v5, v5, v26
	s_wait_alu 0xf1ff
	v_xor_b32_e32 v8, s15, v8
	ds_load_b32 v130, v24 offset:1056
	v_add_nc_u32_e32 v132, v89, v6
	v_and_b32_e32 v5, v5, v7
	; wave barrier
	s_delay_alu instid0(VALU_DEP_1) | instskip(NEXT) | instid1(VALU_DEP_1)
	v_and_b32_e32 v5, v5, v8
	v_mbcnt_lo_u32_b32 v131, v5, 0
	v_cmp_ne_u32_e64 s15, 0, v5
	s_delay_alu instid0(VALU_DEP_2)
	v_cmp_eq_u32_e32 vcc_lo, 0, v131
	s_and_b32 s16, s15, vcc_lo
	s_wait_alu 0xfffe
	s_and_saveexec_b32 s15, s16
	s_cbranch_execz .LBB946_432
; %bb.431:                              ;   in Loop: Header=BB946_402 Depth=2
	s_wait_dscnt 0x0
	v_bcnt_u32_b32 v5, v5, v130
	ds_store_b32 v132, v5 offset:1056
.LBB946_432:                            ;   in Loop: Header=BB946_402 Depth=2
	s_wait_alu 0xfffe
	s_or_b32 exec_lo, exec_lo, s15
	; wave barrier
	s_wait_loadcnt_dscnt 0x0
	s_barrier_signal -1
	s_barrier_wait -1
	global_inv scope:SCOPE_SE
	ds_load_2addr_b32 v[26:27], v102 offset1:1
	ds_load_2addr_b32 v[24:25], v103 offset1:1
	;; [unrolled: 1-line block ×4, first 2 shown]
	ds_load_b32 v133, v43 offset:1088
	s_wait_dscnt 0x3
	v_add3_u32 v134, v27, v26, v24
	s_wait_dscnt 0x2
	s_delay_alu instid0(VALU_DEP_1) | instskip(SKIP_1) | instid1(VALU_DEP_1)
	v_add3_u32 v134, v134, v25, v7
	s_wait_dscnt 0x1
	v_add3_u32 v134, v134, v8, v5
	s_wait_dscnt 0x0
	s_delay_alu instid0(VALU_DEP_1) | instskip(NEXT) | instid1(VALU_DEP_1)
	v_add3_u32 v133, v134, v6, v133
	v_mov_b32_dpp v134, v133 row_shr:1 row_mask:0xf bank_mask:0xf
	s_delay_alu instid0(VALU_DEP_1) | instskip(NEXT) | instid1(VALU_DEP_1)
	v_cndmask_b32_e64 v134, v134, 0, s0
	v_add_nc_u32_e32 v133, v134, v133
	s_delay_alu instid0(VALU_DEP_1) | instskip(NEXT) | instid1(VALU_DEP_1)
	v_mov_b32_dpp v134, v133 row_shr:2 row_mask:0xf bank_mask:0xf
	v_cndmask_b32_e64 v134, 0, v134, s1
	s_delay_alu instid0(VALU_DEP_1) | instskip(NEXT) | instid1(VALU_DEP_1)
	v_add_nc_u32_e32 v133, v133, v134
	v_mov_b32_dpp v134, v133 row_shr:4 row_mask:0xf bank_mask:0xf
	s_delay_alu instid0(VALU_DEP_1) | instskip(NEXT) | instid1(VALU_DEP_1)
	v_cndmask_b32_e64 v134, 0, v134, s9
	v_add_nc_u32_e32 v133, v133, v134
	s_delay_alu instid0(VALU_DEP_1) | instskip(NEXT) | instid1(VALU_DEP_1)
	v_mov_b32_dpp v134, v133 row_shr:8 row_mask:0xf bank_mask:0xf
	v_cndmask_b32_e64 v134, 0, v134, s10
	s_delay_alu instid0(VALU_DEP_1) | instskip(SKIP_3) | instid1(VALU_DEP_1)
	v_add_nc_u32_e32 v133, v133, v134
	ds_swizzle_b32 v134, v133 offset:swizzle(BROADCAST,32,15)
	s_wait_dscnt 0x0
	v_cndmask_b32_e64 v134, v134, 0, s11
	v_add_nc_u32_e32 v133, v133, v134
	s_and_saveexec_b32 s15, s3
; %bb.433:                              ;   in Loop: Header=BB946_402 Depth=2
	ds_store_b32 v38, v133 offset:1024
; %bb.434:                              ;   in Loop: Header=BB946_402 Depth=2
	s_wait_alu 0xfffe
	s_or_b32 exec_lo, exec_lo, s15
	s_wait_loadcnt_dscnt 0x0
	s_barrier_signal -1
	s_barrier_wait -1
	global_inv scope:SCOPE_SE
	s_and_saveexec_b32 s15, s4
	s_cbranch_execz .LBB946_436
; %bb.435:                              ;   in Loop: Header=BB946_402 Depth=2
	ds_load_b32 v134, v47 offset:1024
	s_wait_dscnt 0x0
	v_mov_b32_dpp v135, v134 row_shr:1 row_mask:0xf bank_mask:0xf
	s_delay_alu instid0(VALU_DEP_1) | instskip(NEXT) | instid1(VALU_DEP_1)
	v_cndmask_b32_e64 v135, v135, 0, s12
	v_add_nc_u32_e32 v134, v135, v134
	s_delay_alu instid0(VALU_DEP_1) | instskip(NEXT) | instid1(VALU_DEP_1)
	v_mov_b32_dpp v135, v134 row_shr:2 row_mask:0xf bank_mask:0xf
	v_cndmask_b32_e64 v135, 0, v135, s13
	s_delay_alu instid0(VALU_DEP_1) | instskip(NEXT) | instid1(VALU_DEP_1)
	v_add_nc_u32_e32 v134, v134, v135
	v_mov_b32_dpp v135, v134 row_shr:4 row_mask:0xf bank_mask:0xf
	s_delay_alu instid0(VALU_DEP_1) | instskip(NEXT) | instid1(VALU_DEP_1)
	v_cndmask_b32_e64 v135, 0, v135, s14
	v_add_nc_u32_e32 v134, v134, v135
	ds_store_b32 v47, v134 offset:1024
.LBB946_436:                            ;   in Loop: Header=BB946_402 Depth=2
	s_wait_alu 0xfffe
	s_or_b32 exec_lo, exec_lo, s15
	v_mov_b32_e32 v134, 0
	s_wait_loadcnt_dscnt 0x0
	s_barrier_signal -1
	s_barrier_wait -1
	global_inv scope:SCOPE_SE
	s_and_saveexec_b32 s15, s5
; %bb.437:                              ;   in Loop: Header=BB946_402 Depth=2
	ds_load_b32 v134, v38 offset:1020
; %bb.438:                              ;   in Loop: Header=BB946_402 Depth=2
	s_wait_alu 0xfffe
	s_or_b32 exec_lo, exec_lo, s15
	s_wait_dscnt 0x0
	v_add_nc_u32_e32 v133, v134, v133
	ds_bpermute_b32 v133, v84, v133
	s_wait_dscnt 0x0
	v_cndmask_b32_e64 v133, v133, v134, s8
	s_delay_alu instid0(VALU_DEP_1) | instskip(NEXT) | instid1(VALU_DEP_1)
	v_cndmask_b32_e64 v133, v133, 0, s6
	v_add_nc_u32_e32 v26, v133, v26
	s_delay_alu instid0(VALU_DEP_1) | instskip(NEXT) | instid1(VALU_DEP_1)
	v_add_nc_u32_e32 v27, v26, v27
	v_add_nc_u32_e32 v24, v27, v24
	s_delay_alu instid0(VALU_DEP_1) | instskip(NEXT) | instid1(VALU_DEP_1)
	v_add_nc_u32_e32 v25, v24, v25
	;; [unrolled: 3-line block ×3, first 2 shown]
	v_add_nc_u32_e32 v5, v8, v5
	s_delay_alu instid0(VALU_DEP_1)
	v_add_nc_u32_e32 v6, v5, v6
	ds_store_2addr_b32 v101, v8, v5 offset1:1
	ds_store_2addr_b32 v102, v133, v26 offset1:1
	;; [unrolled: 1-line block ×4, first 2 shown]
	ds_store_b32 v43, v6 offset:1088
	s_wait_loadcnt_dscnt 0x0
	s_barrier_signal -1
	s_barrier_wait -1
	global_inv scope:SCOPE_SE
	ds_load_b32 v8, v105 offset:1056
	ds_load_b32 v24, v109 offset:1056
	;; [unrolled: 1-line block ×9, first 2 shown]
	v_mov_b32_e32 v7, 0x800
	s_and_saveexec_b32 s15, s7
; %bb.439:                              ;   in Loop: Header=BB946_402 Depth=2
	ds_load_b32 v7, v43 offset:1092
; %bb.440:                              ;   in Loop: Header=BB946_402 Depth=2
	s_wait_alu 0xfffe
	s_or_b32 exec_lo, exec_lo, s15
	s_wait_loadcnt_dscnt 0x0
	s_barrier_signal -1
	s_barrier_wait -1
	global_inv scope:SCOPE_SE
	s_and_saveexec_b32 s15, s2
	s_cbranch_execz .LBB946_442
; %bb.441:                              ;   in Loop: Header=BB946_402 Depth=2
	ds_load_b32 v102, v28
	s_wait_dscnt 0x0
	v_sub_nc_u32_e32 v101, v102, v101
	ds_store_b32 v28, v101
.LBB946_442:                            ;   in Loop: Header=BB946_402 Depth=2
	s_wait_alu 0xfffe
	s_or_b32 exec_lo, exec_lo, s15
	v_add_nc_u32_e32 v102, v8, v99
	v_add3_u32 v101, v107, v106, v24
	v_add3_u32 v99, v112, v110, v25
	v_add3_u32 v25, v116, v114, v26
	v_add3_u32 v8, v124, v122, v103
	v_lshlrev_b32_e32 v103, 1, v102
	v_add3_u32 v24, v120, v118, v27
	v_lshlrev_b32_e32 v104, 1, v101
	v_lshlrev_b32_e32 v105, 1, v99
	v_add3_u32 v27, v127, v126, v5
	v_add3_u32 v26, v131, v130, v6
	ds_store_b16 v103, v0 offset:1024
	ds_store_b16 v104, v100 offset:1024
	;; [unrolled: 1-line block ×3, first 2 shown]
	v_lshlrev_b32_e32 v0, 1, v25
	v_cmp_lt_u32_e32 vcc_lo, v13, v98
	v_lshlrev_b32_e32 v5, 1, v24
	v_lshlrev_b32_e32 v6, 1, v8
	;; [unrolled: 1-line block ×4, first 2 shown]
	ds_store_b16 v0, v111 offset:1024
	ds_store_b16 v5, v115 offset:1024
	;; [unrolled: 1-line block ×5, first 2 shown]
	s_wait_loadcnt_dscnt 0x0
	s_barrier_signal -1
	s_barrier_wait -1
	global_inv scope:SCOPE_SE
	s_and_saveexec_b32 s16, vcc_lo
	s_cbranch_execnz .LBB946_479
; %bb.443:                              ;   in Loop: Header=BB946_402 Depth=2
	s_wait_alu 0xfffe
	s_or_b32 exec_lo, exec_lo, s16
	v_cmp_lt_u32_e64 s15, v29, v98
	s_and_saveexec_b32 s17, s15
	s_cbranch_execnz .LBB946_480
.LBB946_444:                            ;   in Loop: Header=BB946_402 Depth=2
	s_wait_alu 0xfffe
	s_or_b32 exec_lo, exec_lo, s17
	v_cmp_lt_u32_e64 s16, v30, v98
	s_and_saveexec_b32 s18, s16
	s_cbranch_execnz .LBB946_481
.LBB946_445:                            ;   in Loop: Header=BB946_402 Depth=2
	s_wait_alu 0xfffe
	s_or_b32 exec_lo, exec_lo, s18
	v_cmp_lt_u32_e64 s17, v31, v98
	s_and_saveexec_b32 s19, s17
	s_cbranch_execnz .LBB946_482
.LBB946_446:                            ;   in Loop: Header=BB946_402 Depth=2
	s_wait_alu 0xfffe
	s_or_b32 exec_lo, exec_lo, s19
	v_cmp_lt_u32_e64 s18, v34, v98
	s_and_saveexec_b32 s20, s18
	s_cbranch_execnz .LBB946_483
.LBB946_447:                            ;   in Loop: Header=BB946_402 Depth=2
	s_wait_alu 0xfffe
	s_or_b32 exec_lo, exec_lo, s20
	v_cmp_lt_u32_e64 s19, v35, v98
	s_and_saveexec_b32 s21, s19
	s_cbranch_execnz .LBB946_484
.LBB946_448:                            ;   in Loop: Header=BB946_402 Depth=2
	s_wait_alu 0xfffe
	s_or_b32 exec_lo, exec_lo, s21
	v_cmp_lt_u32_e64 s20, v36, v98
	s_and_saveexec_b32 s22, s20
	s_cbranch_execnz .LBB946_485
.LBB946_449:                            ;   in Loop: Header=BB946_402 Depth=2
	s_wait_alu 0xfffe
	s_or_b32 exec_lo, exec_lo, s22
	v_cmp_lt_u32_e64 s21, v37, v98
	s_and_saveexec_b32 s48, s21
	s_cbranch_execz .LBB946_451
.LBB946_450:                            ;   in Loop: Header=BB946_402 Depth=2
	ds_load_u16 v100, v48 offset:4608
	s_wait_dscnt 0x0
	v_and_b32_e32 v0, 0xffff, v100
	s_delay_alu instid0(VALU_DEP_1) | instskip(NEXT) | instid1(VALU_DEP_1)
	v_lshrrev_b32_e32 v0, s45, v0
	v_and_b32_e32 v0, s42, v0
	s_delay_alu instid0(VALU_DEP_1) | instskip(SKIP_3) | instid1(VALU_DEP_1)
	v_lshlrev_b32_e32 v0, 2, v0
	ds_load_b32 v0, v0
	s_wait_dscnt 0x0
	v_add_nc_u32_e32 v0, v0, v37
	v_lshlrev_b64_e32 v[5:6], 1, v[0:1]
	v_xor_b32_e32 v0, 0x7fff, v100
	s_delay_alu instid0(VALU_DEP_2) | instskip(SKIP_1) | instid1(VALU_DEP_3)
	v_add_co_u32 v5, s22, s38, v5
	s_wait_alu 0xf1ff
	v_add_co_ci_u32_e64 v6, null, s39, v6, s22
	global_store_b16 v[5:6], v0, off
.LBB946_451:                            ;   in Loop: Header=BB946_402 Depth=2
	s_wait_alu 0xfffe
	s_or_b32 exec_lo, exec_lo, s48
	s_lshl_b64 s[48:49], s[30:31], 3
	s_wait_alu 0xfffe
	v_add_co_u32 v5, s22, v85, s48
	s_wait_alu 0xf1ff
	v_add_co_ci_u32_e64 v6, null, s49, v86, s22
	v_cmp_lt_u32_e64 s22, v67, v98
	s_and_saveexec_b32 s30, s22
	s_wait_alu 0xfffe
	s_xor_b32 s22, exec_lo, s30
	s_cbranch_execnz .LBB946_486
; %bb.452:                              ;   in Loop: Header=BB946_402 Depth=2
	s_wait_alu 0xfffe
	s_or_b32 exec_lo, exec_lo, s22
	s_delay_alu instid0(SALU_CYCLE_1)
	s_mov_b32 s30, exec_lo
	v_cmpx_lt_u32_e64 v71, v98
	s_cbranch_execnz .LBB946_487
.LBB946_453:                            ;   in Loop: Header=BB946_402 Depth=2
	s_wait_alu 0xfffe
	s_or_b32 exec_lo, exec_lo, s30
	s_delay_alu instid0(SALU_CYCLE_1)
	s_mov_b32 s30, exec_lo
	v_cmpx_lt_u32_e64 v72, v98
	s_cbranch_execnz .LBB946_488
.LBB946_454:                            ;   in Loop: Header=BB946_402 Depth=2
	s_wait_alu 0xfffe
	s_or_b32 exec_lo, exec_lo, s30
	s_delay_alu instid0(SALU_CYCLE_1)
	s_mov_b32 s30, exec_lo
	v_cmpx_lt_u32_e64 v73, v98
	s_cbranch_execnz .LBB946_489
.LBB946_455:                            ;   in Loop: Header=BB946_402 Depth=2
	s_wait_alu 0xfffe
	s_or_b32 exec_lo, exec_lo, s30
	s_delay_alu instid0(SALU_CYCLE_1)
	s_mov_b32 s30, exec_lo
	v_cmpx_lt_u32_e64 v74, v98
	s_cbranch_execnz .LBB946_490
.LBB946_456:                            ;   in Loop: Header=BB946_402 Depth=2
	s_wait_alu 0xfffe
	s_or_b32 exec_lo, exec_lo, s30
	s_delay_alu instid0(SALU_CYCLE_1)
	s_mov_b32 s30, exec_lo
	v_cmpx_lt_u32_e64 v75, v98
	s_cbranch_execnz .LBB946_491
.LBB946_457:                            ;   in Loop: Header=BB946_402 Depth=2
	s_wait_alu 0xfffe
	s_or_b32 exec_lo, exec_lo, s30
	s_delay_alu instid0(SALU_CYCLE_1)
	s_mov_b32 s30, exec_lo
	v_cmpx_lt_u32_e64 v76, v98
	s_cbranch_execnz .LBB946_492
.LBB946_458:                            ;   in Loop: Header=BB946_402 Depth=2
	s_wait_alu 0xfffe
	s_or_b32 exec_lo, exec_lo, s30
	s_delay_alu instid0(SALU_CYCLE_1)
	s_mov_b32 s30, exec_lo
	v_cmpx_lt_u32_e64 v77, v98
	s_cbranch_execnz .LBB946_493
.LBB946_459:                            ;   in Loop: Header=BB946_402 Depth=2
	s_wait_alu 0xfffe
	s_or_b32 exec_lo, exec_lo, s30
	s_and_saveexec_b32 s22, vcc_lo
	s_cbranch_execnz .LBB946_494
.LBB946_460:                            ;   in Loop: Header=BB946_402 Depth=2
	s_wait_alu 0xfffe
	s_or_b32 exec_lo, exec_lo, s22
	s_and_saveexec_b32 s22, s15
	s_cbranch_execnz .LBB946_495
.LBB946_461:                            ;   in Loop: Header=BB946_402 Depth=2
	s_wait_alu 0xfffe
	s_or_b32 exec_lo, exec_lo, s22
	s_and_saveexec_b32 s22, s16
	s_cbranch_execnz .LBB946_496
.LBB946_462:                            ;   in Loop: Header=BB946_402 Depth=2
	s_wait_alu 0xfffe
	s_or_b32 exec_lo, exec_lo, s22
	s_and_saveexec_b32 s22, s17
	s_cbranch_execnz .LBB946_497
.LBB946_463:                            ;   in Loop: Header=BB946_402 Depth=2
	s_wait_alu 0xfffe
	s_or_b32 exec_lo, exec_lo, s22
	s_and_saveexec_b32 s22, s18
	s_cbranch_execnz .LBB946_498
.LBB946_464:                            ;   in Loop: Header=BB946_402 Depth=2
	s_wait_alu 0xfffe
	s_or_b32 exec_lo, exec_lo, s22
	s_and_saveexec_b32 s22, s19
	s_cbranch_execnz .LBB946_499
.LBB946_465:                            ;   in Loop: Header=BB946_402 Depth=2
	s_wait_alu 0xfffe
	s_or_b32 exec_lo, exec_lo, s22
	s_and_saveexec_b32 s22, s20
	s_cbranch_execnz .LBB946_500
.LBB946_466:                            ;   in Loop: Header=BB946_402 Depth=2
	s_wait_alu 0xfffe
	s_or_b32 exec_lo, exec_lo, s22
	s_and_saveexec_b32 s22, s21
	s_cbranch_execz .LBB946_468
.LBB946_467:                            ;   in Loop: Header=BB946_402 Depth=2
	ds_load_u16 v0, v48 offset:4608
	s_wait_dscnt 0x0
	v_lshrrev_b32_e32 v0, s45, v0
	s_delay_alu instid0(VALU_DEP_1)
	v_and_b32_e32 v90, s42, v0
.LBB946_468:                            ;   in Loop: Header=BB946_402 Depth=2
	s_wait_alu 0xfffe
	s_or_b32 exec_lo, exec_lo, s22
	v_lshlrev_b32_e32 v0, 3, v102
	v_lshlrev_b32_e32 v5, 3, v101
	;; [unrolled: 1-line block ×3, first 2 shown]
	s_wait_loadcnt 0x0
	s_wait_storecnt 0x0
	s_barrier_signal -1
	s_barrier_wait -1
	global_inv scope:SCOPE_SE
	ds_store_b64 v0, v[22:23] offset:1024
	ds_store_b64 v5, v[20:21] offset:1024
	;; [unrolled: 1-line block ×3, first 2 shown]
	v_lshlrev_b32_e32 v0, 3, v25
	v_lshlrev_b32_e32 v5, 3, v24
	;; [unrolled: 1-line block ×5, first 2 shown]
	ds_store_b64 v0, v[16:17] offset:1024
	ds_store_b64 v5, v[14:15] offset:1024
	;; [unrolled: 1-line block ×5, first 2 shown]
	s_wait_loadcnt_dscnt 0x0
	s_barrier_signal -1
	s_barrier_wait -1
	global_inv scope:SCOPE_SE
	s_and_saveexec_b32 s22, vcc_lo
	s_cbranch_execnz .LBB946_501
; %bb.469:                              ;   in Loop: Header=BB946_402 Depth=2
	s_wait_alu 0xfffe
	s_or_b32 exec_lo, exec_lo, s22
	s_and_saveexec_b32 s22, s15
	s_cbranch_execnz .LBB946_502
.LBB946_470:                            ;   in Loop: Header=BB946_402 Depth=2
	s_wait_alu 0xfffe
	s_or_b32 exec_lo, exec_lo, s22
	s_and_saveexec_b32 s15, s16
	s_cbranch_execnz .LBB946_503
.LBB946_471:                            ;   in Loop: Header=BB946_402 Depth=2
	s_wait_alu 0xfffe
	s_or_b32 exec_lo, exec_lo, s15
	s_and_saveexec_b32 s15, s17
	s_cbranch_execnz .LBB946_504
.LBB946_472:                            ;   in Loop: Header=BB946_402 Depth=2
	s_wait_alu 0xfffe
	s_or_b32 exec_lo, exec_lo, s15
	s_and_saveexec_b32 s15, s18
	s_cbranch_execnz .LBB946_505
.LBB946_473:                            ;   in Loop: Header=BB946_402 Depth=2
	s_wait_alu 0xfffe
	s_or_b32 exec_lo, exec_lo, s15
	s_and_saveexec_b32 s15, s19
	s_cbranch_execnz .LBB946_506
.LBB946_474:                            ;   in Loop: Header=BB946_402 Depth=2
	s_wait_alu 0xfffe
	s_or_b32 exec_lo, exec_lo, s15
	s_and_saveexec_b32 s15, s20
	s_cbranch_execnz .LBB946_507
.LBB946_475:                            ;   in Loop: Header=BB946_402 Depth=2
	s_wait_alu 0xfffe
	s_or_b32 exec_lo, exec_lo, s15
	s_and_saveexec_b32 s15, s21
	s_cbranch_execz .LBB946_477
.LBB946_476:                            ;   in Loop: Header=BB946_402 Depth=2
	v_lshlrev_b32_e32 v0, 2, v90
	v_add_nc_u32_e32 v5, v48, v49
	ds_load_b32 v0, v0
	ds_load_b64 v[5:6], v5 offset:15360
	s_wait_dscnt 0x1
	v_add_nc_u32_e32 v0, v0, v37
	s_delay_alu instid0(VALU_DEP_1) | instskip(NEXT) | instid1(VALU_DEP_1)
	v_lshlrev_b64_e32 v[24:25], 3, v[0:1]
	v_add_co_u32 v24, vcc_lo, s24, v24
	s_wait_alu 0xfffd
	s_delay_alu instid0(VALU_DEP_2)
	v_add_co_ci_u32_e64 v25, null, s25, v25, vcc_lo
	s_wait_dscnt 0x0
	global_store_b64 v[24:25], v[5:6], off
.LBB946_477:                            ;   in Loop: Header=BB946_402 Depth=2
	s_wait_alu 0xfffe
	s_or_b32 exec_lo, exec_lo, s15
	s_wait_loadcnt 0x0
	s_wait_storecnt 0x0
	s_barrier_signal -1
	s_barrier_wait -1
	global_inv scope:SCOPE_SE
	s_and_saveexec_b32 s15, s2
	s_cbranch_execz .LBB946_401
; %bb.478:                              ;   in Loop: Header=BB946_402 Depth=2
	ds_load_b32 v0, v28
	s_wait_dscnt 0x0
	v_add_nc_u32_e32 v0, v0, v7
	ds_store_b32 v28, v0
	s_branch .LBB946_401
.LBB946_479:                            ;   in Loop: Header=BB946_402 Depth=2
	ds_load_u16 v100, v48 offset:1024
	s_wait_dscnt 0x0
	v_and_b32_e32 v0, 0xffff, v100
	s_delay_alu instid0(VALU_DEP_1) | instskip(NEXT) | instid1(VALU_DEP_1)
	v_lshrrev_b32_e32 v0, s45, v0
	v_and_b32_e32 v0, s42, v0
	s_delay_alu instid0(VALU_DEP_1) | instskip(SKIP_3) | instid1(VALU_DEP_1)
	v_lshlrev_b32_e32 v0, 2, v0
	ds_load_b32 v0, v0
	s_wait_dscnt 0x0
	v_add_nc_u32_e32 v0, v0, v13
	v_lshlrev_b64_e32 v[5:6], 1, v[0:1]
	v_xor_b32_e32 v0, 0x7fff, v100
	s_delay_alu instid0(VALU_DEP_2) | instskip(SKIP_1) | instid1(VALU_DEP_3)
	v_add_co_u32 v5, s15, s38, v5
	s_wait_alu 0xf1ff
	v_add_co_ci_u32_e64 v6, null, s39, v6, s15
	global_store_b16 v[5:6], v0, off
	s_wait_alu 0xfffe
	s_or_b32 exec_lo, exec_lo, s16
	v_cmp_lt_u32_e64 s15, v29, v98
	s_and_saveexec_b32 s17, s15
	s_cbranch_execz .LBB946_444
.LBB946_480:                            ;   in Loop: Header=BB946_402 Depth=2
	ds_load_u16 v100, v48 offset:1536
	s_wait_dscnt 0x0
	v_and_b32_e32 v0, 0xffff, v100
	s_delay_alu instid0(VALU_DEP_1) | instskip(NEXT) | instid1(VALU_DEP_1)
	v_lshrrev_b32_e32 v0, s45, v0
	v_and_b32_e32 v0, s42, v0
	s_delay_alu instid0(VALU_DEP_1) | instskip(SKIP_3) | instid1(VALU_DEP_1)
	v_lshlrev_b32_e32 v0, 2, v0
	ds_load_b32 v0, v0
	s_wait_dscnt 0x0
	v_add_nc_u32_e32 v0, v0, v29
	v_lshlrev_b64_e32 v[5:6], 1, v[0:1]
	v_xor_b32_e32 v0, 0x7fff, v100
	s_delay_alu instid0(VALU_DEP_2) | instskip(SKIP_1) | instid1(VALU_DEP_3)
	v_add_co_u32 v5, s16, s38, v5
	s_wait_alu 0xf1ff
	v_add_co_ci_u32_e64 v6, null, s39, v6, s16
	global_store_b16 v[5:6], v0, off
	s_wait_alu 0xfffe
	s_or_b32 exec_lo, exec_lo, s17
	v_cmp_lt_u32_e64 s16, v30, v98
	s_and_saveexec_b32 s18, s16
	s_cbranch_execz .LBB946_445
.LBB946_481:                            ;   in Loop: Header=BB946_402 Depth=2
	ds_load_u16 v100, v48 offset:2048
	s_wait_dscnt 0x0
	v_and_b32_e32 v0, 0xffff, v100
	s_delay_alu instid0(VALU_DEP_1) | instskip(NEXT) | instid1(VALU_DEP_1)
	v_lshrrev_b32_e32 v0, s45, v0
	v_and_b32_e32 v0, s42, v0
	s_delay_alu instid0(VALU_DEP_1) | instskip(SKIP_3) | instid1(VALU_DEP_1)
	v_lshlrev_b32_e32 v0, 2, v0
	ds_load_b32 v0, v0
	s_wait_dscnt 0x0
	v_add_nc_u32_e32 v0, v0, v30
	v_lshlrev_b64_e32 v[5:6], 1, v[0:1]
	v_xor_b32_e32 v0, 0x7fff, v100
	s_delay_alu instid0(VALU_DEP_2) | instskip(SKIP_1) | instid1(VALU_DEP_3)
	v_add_co_u32 v5, s17, s38, v5
	s_wait_alu 0xf1ff
	v_add_co_ci_u32_e64 v6, null, s39, v6, s17
	global_store_b16 v[5:6], v0, off
	s_wait_alu 0xfffe
	s_or_b32 exec_lo, exec_lo, s18
	v_cmp_lt_u32_e64 s17, v31, v98
	s_and_saveexec_b32 s19, s17
	s_cbranch_execz .LBB946_446
.LBB946_482:                            ;   in Loop: Header=BB946_402 Depth=2
	ds_load_u16 v100, v48 offset:2560
	s_wait_dscnt 0x0
	v_and_b32_e32 v0, 0xffff, v100
	s_delay_alu instid0(VALU_DEP_1) | instskip(NEXT) | instid1(VALU_DEP_1)
	v_lshrrev_b32_e32 v0, s45, v0
	v_and_b32_e32 v0, s42, v0
	s_delay_alu instid0(VALU_DEP_1) | instskip(SKIP_3) | instid1(VALU_DEP_1)
	v_lshlrev_b32_e32 v0, 2, v0
	ds_load_b32 v0, v0
	s_wait_dscnt 0x0
	v_add_nc_u32_e32 v0, v0, v31
	v_lshlrev_b64_e32 v[5:6], 1, v[0:1]
	v_xor_b32_e32 v0, 0x7fff, v100
	s_delay_alu instid0(VALU_DEP_2) | instskip(SKIP_1) | instid1(VALU_DEP_3)
	v_add_co_u32 v5, s18, s38, v5
	s_wait_alu 0xf1ff
	v_add_co_ci_u32_e64 v6, null, s39, v6, s18
	global_store_b16 v[5:6], v0, off
	s_wait_alu 0xfffe
	s_or_b32 exec_lo, exec_lo, s19
	v_cmp_lt_u32_e64 s18, v34, v98
	s_and_saveexec_b32 s20, s18
	s_cbranch_execz .LBB946_447
.LBB946_483:                            ;   in Loop: Header=BB946_402 Depth=2
	ds_load_u16 v100, v48 offset:3072
	s_wait_dscnt 0x0
	v_and_b32_e32 v0, 0xffff, v100
	s_delay_alu instid0(VALU_DEP_1) | instskip(NEXT) | instid1(VALU_DEP_1)
	v_lshrrev_b32_e32 v0, s45, v0
	v_and_b32_e32 v0, s42, v0
	s_delay_alu instid0(VALU_DEP_1) | instskip(SKIP_3) | instid1(VALU_DEP_1)
	v_lshlrev_b32_e32 v0, 2, v0
	ds_load_b32 v0, v0
	s_wait_dscnt 0x0
	v_add_nc_u32_e32 v0, v0, v34
	v_lshlrev_b64_e32 v[5:6], 1, v[0:1]
	v_xor_b32_e32 v0, 0x7fff, v100
	s_delay_alu instid0(VALU_DEP_2) | instskip(SKIP_1) | instid1(VALU_DEP_3)
	v_add_co_u32 v5, s19, s38, v5
	s_wait_alu 0xf1ff
	v_add_co_ci_u32_e64 v6, null, s39, v6, s19
	global_store_b16 v[5:6], v0, off
	s_wait_alu 0xfffe
	s_or_b32 exec_lo, exec_lo, s20
	v_cmp_lt_u32_e64 s19, v35, v98
	s_and_saveexec_b32 s21, s19
	s_cbranch_execz .LBB946_448
.LBB946_484:                            ;   in Loop: Header=BB946_402 Depth=2
	ds_load_u16 v100, v48 offset:3584
	s_wait_dscnt 0x0
	v_and_b32_e32 v0, 0xffff, v100
	s_delay_alu instid0(VALU_DEP_1) | instskip(NEXT) | instid1(VALU_DEP_1)
	v_lshrrev_b32_e32 v0, s45, v0
	v_and_b32_e32 v0, s42, v0
	s_delay_alu instid0(VALU_DEP_1) | instskip(SKIP_3) | instid1(VALU_DEP_1)
	v_lshlrev_b32_e32 v0, 2, v0
	ds_load_b32 v0, v0
	s_wait_dscnt 0x0
	v_add_nc_u32_e32 v0, v0, v35
	v_lshlrev_b64_e32 v[5:6], 1, v[0:1]
	v_xor_b32_e32 v0, 0x7fff, v100
	s_delay_alu instid0(VALU_DEP_2) | instskip(SKIP_1) | instid1(VALU_DEP_3)
	v_add_co_u32 v5, s20, s38, v5
	s_wait_alu 0xf1ff
	v_add_co_ci_u32_e64 v6, null, s39, v6, s20
	global_store_b16 v[5:6], v0, off
	s_wait_alu 0xfffe
	s_or_b32 exec_lo, exec_lo, s21
	v_cmp_lt_u32_e64 s20, v36, v98
	s_and_saveexec_b32 s22, s20
	s_cbranch_execz .LBB946_449
.LBB946_485:                            ;   in Loop: Header=BB946_402 Depth=2
	ds_load_u16 v100, v48 offset:4096
	s_wait_dscnt 0x0
	v_and_b32_e32 v0, 0xffff, v100
	s_delay_alu instid0(VALU_DEP_1) | instskip(NEXT) | instid1(VALU_DEP_1)
	v_lshrrev_b32_e32 v0, s45, v0
	v_and_b32_e32 v0, s42, v0
	s_delay_alu instid0(VALU_DEP_1) | instskip(SKIP_3) | instid1(VALU_DEP_1)
	v_lshlrev_b32_e32 v0, 2, v0
	ds_load_b32 v0, v0
	s_wait_dscnt 0x0
	v_add_nc_u32_e32 v0, v0, v36
	v_lshlrev_b64_e32 v[5:6], 1, v[0:1]
	v_xor_b32_e32 v0, 0x7fff, v100
	s_delay_alu instid0(VALU_DEP_2) | instskip(SKIP_1) | instid1(VALU_DEP_3)
	v_add_co_u32 v5, s21, s38, v5
	s_wait_alu 0xf1ff
	v_add_co_ci_u32_e64 v6, null, s39, v6, s21
	global_store_b16 v[5:6], v0, off
	s_wait_alu 0xfffe
	s_or_b32 exec_lo, exec_lo, s22
	v_cmp_lt_u32_e64 s21, v37, v98
	s_and_saveexec_b32 s48, s21
	s_cbranch_execnz .LBB946_450
	s_branch .LBB946_451
.LBB946_486:                            ;   in Loop: Header=BB946_402 Depth=2
	global_load_b64 v[22:23], v[5:6], off
	s_wait_alu 0xfffe
	s_or_b32 exec_lo, exec_lo, s22
	s_delay_alu instid0(SALU_CYCLE_1)
	s_mov_b32 s30, exec_lo
	v_cmpx_lt_u32_e64 v71, v98
	s_cbranch_execz .LBB946_453
.LBB946_487:                            ;   in Loop: Header=BB946_402 Depth=2
	global_load_b64 v[20:21], v[5:6], off offset:256
	s_wait_alu 0xfffe
	s_or_b32 exec_lo, exec_lo, s30
	s_delay_alu instid0(SALU_CYCLE_1)
	s_mov_b32 s30, exec_lo
	v_cmpx_lt_u32_e64 v72, v98
	s_cbranch_execz .LBB946_454
.LBB946_488:                            ;   in Loop: Header=BB946_402 Depth=2
	global_load_b64 v[18:19], v[5:6], off offset:512
	s_wait_alu 0xfffe
	s_or_b32 exec_lo, exec_lo, s30
	s_delay_alu instid0(SALU_CYCLE_1)
	s_mov_b32 s30, exec_lo
	v_cmpx_lt_u32_e64 v73, v98
	s_cbranch_execz .LBB946_455
.LBB946_489:                            ;   in Loop: Header=BB946_402 Depth=2
	global_load_b64 v[16:17], v[5:6], off offset:768
	s_wait_alu 0xfffe
	s_or_b32 exec_lo, exec_lo, s30
	s_delay_alu instid0(SALU_CYCLE_1)
	s_mov_b32 s30, exec_lo
	v_cmpx_lt_u32_e64 v74, v98
	s_cbranch_execz .LBB946_456
.LBB946_490:                            ;   in Loop: Header=BB946_402 Depth=2
	global_load_b64 v[14:15], v[5:6], off offset:1024
	s_wait_alu 0xfffe
	s_or_b32 exec_lo, exec_lo, s30
	s_delay_alu instid0(SALU_CYCLE_1)
	s_mov_b32 s30, exec_lo
	v_cmpx_lt_u32_e64 v75, v98
	s_cbranch_execz .LBB946_457
.LBB946_491:                            ;   in Loop: Header=BB946_402 Depth=2
	global_load_b64 v[11:12], v[5:6], off offset:1280
	s_wait_alu 0xfffe
	s_or_b32 exec_lo, exec_lo, s30
	s_delay_alu instid0(SALU_CYCLE_1)
	s_mov_b32 s30, exec_lo
	v_cmpx_lt_u32_e64 v76, v98
	s_cbranch_execz .LBB946_458
.LBB946_492:                            ;   in Loop: Header=BB946_402 Depth=2
	global_load_b64 v[9:10], v[5:6], off offset:1536
	s_wait_alu 0xfffe
	s_or_b32 exec_lo, exec_lo, s30
	s_delay_alu instid0(SALU_CYCLE_1)
	s_mov_b32 s30, exec_lo
	v_cmpx_lt_u32_e64 v77, v98
	s_cbranch_execz .LBB946_459
.LBB946_493:                            ;   in Loop: Header=BB946_402 Depth=2
	global_load_b64 v[2:3], v[5:6], off offset:1792
	s_wait_alu 0xfffe
	s_or_b32 exec_lo, exec_lo, s30
	s_and_saveexec_b32 s22, vcc_lo
	s_cbranch_execz .LBB946_460
.LBB946_494:                            ;   in Loop: Header=BB946_402 Depth=2
	ds_load_u16 v0, v48 offset:1024
	s_wait_dscnt 0x0
	v_lshrrev_b32_e32 v0, s45, v0
	s_delay_alu instid0(VALU_DEP_1)
	v_and_b32_e32 v97, s42, v0
	s_wait_alu 0xfffe
	s_or_b32 exec_lo, exec_lo, s22
	s_and_saveexec_b32 s22, s15
	s_cbranch_execz .LBB946_461
.LBB946_495:                            ;   in Loop: Header=BB946_402 Depth=2
	ds_load_u16 v0, v48 offset:1536
	s_wait_dscnt 0x0
	v_lshrrev_b32_e32 v0, s45, v0
	s_delay_alu instid0(VALU_DEP_1)
	v_and_b32_e32 v96, s42, v0
	s_wait_alu 0xfffe
	s_or_b32 exec_lo, exec_lo, s22
	s_and_saveexec_b32 s22, s16
	s_cbranch_execz .LBB946_462
.LBB946_496:                            ;   in Loop: Header=BB946_402 Depth=2
	ds_load_u16 v0, v48 offset:2048
	s_wait_dscnt 0x0
	v_lshrrev_b32_e32 v0, s45, v0
	s_delay_alu instid0(VALU_DEP_1)
	v_and_b32_e32 v95, s42, v0
	s_wait_alu 0xfffe
	s_or_b32 exec_lo, exec_lo, s22
	s_and_saveexec_b32 s22, s17
	s_cbranch_execz .LBB946_463
.LBB946_497:                            ;   in Loop: Header=BB946_402 Depth=2
	ds_load_u16 v0, v48 offset:2560
	s_wait_dscnt 0x0
	v_lshrrev_b32_e32 v0, s45, v0
	s_delay_alu instid0(VALU_DEP_1)
	v_and_b32_e32 v94, s42, v0
	s_wait_alu 0xfffe
	s_or_b32 exec_lo, exec_lo, s22
	s_and_saveexec_b32 s22, s18
	s_cbranch_execz .LBB946_464
.LBB946_498:                            ;   in Loop: Header=BB946_402 Depth=2
	ds_load_u16 v0, v48 offset:3072
	s_wait_dscnt 0x0
	v_lshrrev_b32_e32 v0, s45, v0
	s_delay_alu instid0(VALU_DEP_1)
	v_and_b32_e32 v93, s42, v0
	s_wait_alu 0xfffe
	s_or_b32 exec_lo, exec_lo, s22
	s_and_saveexec_b32 s22, s19
	s_cbranch_execz .LBB946_465
.LBB946_499:                            ;   in Loop: Header=BB946_402 Depth=2
	ds_load_u16 v0, v48 offset:3584
	s_wait_dscnt 0x0
	v_lshrrev_b32_e32 v0, s45, v0
	s_delay_alu instid0(VALU_DEP_1)
	v_and_b32_e32 v92, s42, v0
	s_wait_alu 0xfffe
	s_or_b32 exec_lo, exec_lo, s22
	s_and_saveexec_b32 s22, s20
	s_cbranch_execz .LBB946_466
.LBB946_500:                            ;   in Loop: Header=BB946_402 Depth=2
	ds_load_u16 v0, v48 offset:4096
	s_wait_dscnt 0x0
	v_lshrrev_b32_e32 v0, s45, v0
	s_delay_alu instid0(VALU_DEP_1)
	v_and_b32_e32 v91, s42, v0
	s_wait_alu 0xfffe
	s_or_b32 exec_lo, exec_lo, s22
	s_and_saveexec_b32 s22, s21
	s_cbranch_execnz .LBB946_467
	s_branch .LBB946_468
.LBB946_501:                            ;   in Loop: Header=BB946_402 Depth=2
	v_lshlrev_b32_e32 v0, 2, v97
	v_add_nc_u32_e32 v5, v48, v49
	ds_load_b32 v0, v0
	ds_load_b64 v[5:6], v5 offset:1024
	s_wait_dscnt 0x1
	v_add_nc_u32_e32 v0, v0, v13
	s_delay_alu instid0(VALU_DEP_1) | instskip(NEXT) | instid1(VALU_DEP_1)
	v_lshlrev_b64_e32 v[24:25], 3, v[0:1]
	v_add_co_u32 v24, vcc_lo, s24, v24
	s_wait_alu 0xfffd
	s_delay_alu instid0(VALU_DEP_2)
	v_add_co_ci_u32_e64 v25, null, s25, v25, vcc_lo
	s_wait_dscnt 0x0
	global_store_b64 v[24:25], v[5:6], off
	s_wait_alu 0xfffe
	s_or_b32 exec_lo, exec_lo, s22
	s_and_saveexec_b32 s22, s15
	s_cbranch_execz .LBB946_470
.LBB946_502:                            ;   in Loop: Header=BB946_402 Depth=2
	v_lshlrev_b32_e32 v0, 2, v96
	v_add_nc_u32_e32 v5, v48, v49
	ds_load_b32 v0, v0
	ds_load_b64 v[5:6], v5 offset:3072
	s_wait_dscnt 0x1
	v_add_nc_u32_e32 v0, v0, v29
	s_delay_alu instid0(VALU_DEP_1) | instskip(NEXT) | instid1(VALU_DEP_1)
	v_lshlrev_b64_e32 v[24:25], 3, v[0:1]
	v_add_co_u32 v24, vcc_lo, s24, v24
	s_wait_alu 0xfffd
	s_delay_alu instid0(VALU_DEP_2)
	v_add_co_ci_u32_e64 v25, null, s25, v25, vcc_lo
	s_wait_dscnt 0x0
	global_store_b64 v[24:25], v[5:6], off
	s_wait_alu 0xfffe
	s_or_b32 exec_lo, exec_lo, s22
	s_and_saveexec_b32 s15, s16
	s_cbranch_execz .LBB946_471
.LBB946_503:                            ;   in Loop: Header=BB946_402 Depth=2
	v_lshlrev_b32_e32 v0, 2, v95
	v_add_nc_u32_e32 v5, v48, v49
	ds_load_b32 v0, v0
	ds_load_b64 v[5:6], v5 offset:5120
	s_wait_dscnt 0x1
	v_add_nc_u32_e32 v0, v0, v30
	s_delay_alu instid0(VALU_DEP_1) | instskip(NEXT) | instid1(VALU_DEP_1)
	v_lshlrev_b64_e32 v[24:25], 3, v[0:1]
	v_add_co_u32 v24, vcc_lo, s24, v24
	s_wait_alu 0xfffd
	s_delay_alu instid0(VALU_DEP_2)
	v_add_co_ci_u32_e64 v25, null, s25, v25, vcc_lo
	s_wait_dscnt 0x0
	global_store_b64 v[24:25], v[5:6], off
	s_wait_alu 0xfffe
	s_or_b32 exec_lo, exec_lo, s15
	s_and_saveexec_b32 s15, s17
	s_cbranch_execz .LBB946_472
.LBB946_504:                            ;   in Loop: Header=BB946_402 Depth=2
	v_lshlrev_b32_e32 v0, 2, v94
	v_add_nc_u32_e32 v5, v48, v49
	ds_load_b32 v0, v0
	ds_load_b64 v[5:6], v5 offset:7168
	s_wait_dscnt 0x1
	v_add_nc_u32_e32 v0, v0, v31
	s_delay_alu instid0(VALU_DEP_1) | instskip(NEXT) | instid1(VALU_DEP_1)
	v_lshlrev_b64_e32 v[24:25], 3, v[0:1]
	v_add_co_u32 v24, vcc_lo, s24, v24
	s_wait_alu 0xfffd
	s_delay_alu instid0(VALU_DEP_2)
	v_add_co_ci_u32_e64 v25, null, s25, v25, vcc_lo
	s_wait_dscnt 0x0
	global_store_b64 v[24:25], v[5:6], off
	s_wait_alu 0xfffe
	s_or_b32 exec_lo, exec_lo, s15
	s_and_saveexec_b32 s15, s18
	s_cbranch_execz .LBB946_473
.LBB946_505:                            ;   in Loop: Header=BB946_402 Depth=2
	v_lshlrev_b32_e32 v0, 2, v93
	v_add_nc_u32_e32 v5, v48, v49
	ds_load_b32 v0, v0
	ds_load_b64 v[5:6], v5 offset:9216
	s_wait_dscnt 0x1
	v_add_nc_u32_e32 v0, v0, v34
	s_delay_alu instid0(VALU_DEP_1) | instskip(NEXT) | instid1(VALU_DEP_1)
	v_lshlrev_b64_e32 v[24:25], 3, v[0:1]
	v_add_co_u32 v24, vcc_lo, s24, v24
	s_wait_alu 0xfffd
	s_delay_alu instid0(VALU_DEP_2)
	v_add_co_ci_u32_e64 v25, null, s25, v25, vcc_lo
	s_wait_dscnt 0x0
	global_store_b64 v[24:25], v[5:6], off
	s_wait_alu 0xfffe
	s_or_b32 exec_lo, exec_lo, s15
	s_and_saveexec_b32 s15, s19
	s_cbranch_execz .LBB946_474
.LBB946_506:                            ;   in Loop: Header=BB946_402 Depth=2
	v_lshlrev_b32_e32 v0, 2, v92
	v_add_nc_u32_e32 v5, v48, v49
	ds_load_b32 v0, v0
	ds_load_b64 v[5:6], v5 offset:11264
	s_wait_dscnt 0x1
	v_add_nc_u32_e32 v0, v0, v35
	s_delay_alu instid0(VALU_DEP_1) | instskip(NEXT) | instid1(VALU_DEP_1)
	v_lshlrev_b64_e32 v[24:25], 3, v[0:1]
	v_add_co_u32 v24, vcc_lo, s24, v24
	s_wait_alu 0xfffd
	s_delay_alu instid0(VALU_DEP_2)
	v_add_co_ci_u32_e64 v25, null, s25, v25, vcc_lo
	s_wait_dscnt 0x0
	global_store_b64 v[24:25], v[5:6], off
	s_wait_alu 0xfffe
	s_or_b32 exec_lo, exec_lo, s15
	s_and_saveexec_b32 s15, s20
	s_cbranch_execz .LBB946_475
.LBB946_507:                            ;   in Loop: Header=BB946_402 Depth=2
	v_lshlrev_b32_e32 v0, 2, v91
	v_add_nc_u32_e32 v5, v48, v49
	ds_load_b32 v0, v0
	ds_load_b64 v[5:6], v5 offset:13312
	s_wait_dscnt 0x1
	v_add_nc_u32_e32 v0, v0, v36
	s_delay_alu instid0(VALU_DEP_1) | instskip(NEXT) | instid1(VALU_DEP_1)
	v_lshlrev_b64_e32 v[24:25], 3, v[0:1]
	v_add_co_u32 v24, vcc_lo, s24, v24
	s_wait_alu 0xfffd
	s_delay_alu instid0(VALU_DEP_2)
	v_add_co_ci_u32_e64 v25, null, s25, v25, vcc_lo
	s_wait_dscnt 0x0
	global_store_b64 v[24:25], v[5:6], off
	s_wait_alu 0xfffe
	s_or_b32 exec_lo, exec_lo, s15
	s_and_saveexec_b32 s15, s21
	s_cbranch_execnz .LBB946_476
	s_branch .LBB946_477
.LBB946_508:                            ;   in Loop: Header=BB946_402 Depth=2
	v_bfrev_b32_e32 v5, 1
	v_dual_mov_b32 v6, v4 :: v_dual_mov_b32 v7, v4
	v_mov_b32_e32 v8, v4
	global_load_d16_b16 v5, v[24:25], off
	s_wait_alu 0xfffe
	s_or_b32 exec_lo, exec_lo, s15
	s_delay_alu instid0(SALU_CYCLE_1)
	s_mov_b32 s15, exec_lo
	v_cmpx_gt_u32_e64 s43, v71
	s_cbranch_execz .LBB946_407
.LBB946_509:                            ;   in Loop: Header=BB946_402 Depth=2
	s_wait_loadcnt 0x0
	global_load_d16_hi_b16 v5, v[24:25], off offset:64
	s_wait_alu 0xfffe
	s_or_b32 exec_lo, exec_lo, s15
	s_delay_alu instid0(SALU_CYCLE_1)
	s_mov_b32 s15, exec_lo
	v_cmpx_gt_u32_e64 s43, v72
	s_cbranch_execz .LBB946_408
.LBB946_510:                            ;   in Loop: Header=BB946_402 Depth=2
	global_load_d16_b16 v6, v[24:25], off offset:128
	s_wait_alu 0xfffe
	s_or_b32 exec_lo, exec_lo, s15
	s_delay_alu instid0(SALU_CYCLE_1)
	s_mov_b32 s15, exec_lo
	v_cmpx_gt_u32_e64 s43, v73
	s_cbranch_execz .LBB946_409
.LBB946_511:                            ;   in Loop: Header=BB946_402 Depth=2
	s_wait_loadcnt 0x0
	global_load_d16_hi_b16 v6, v[24:25], off offset:192
	s_wait_alu 0xfffe
	s_or_b32 exec_lo, exec_lo, s15
	s_delay_alu instid0(SALU_CYCLE_1)
	s_mov_b32 s15, exec_lo
	v_cmpx_gt_u32_e64 s43, v74
	s_cbranch_execz .LBB946_410
.LBB946_512:                            ;   in Loop: Header=BB946_402 Depth=2
	global_load_d16_b16 v7, v[24:25], off offset:256
	s_wait_alu 0xfffe
	s_or_b32 exec_lo, exec_lo, s15
	s_delay_alu instid0(SALU_CYCLE_1)
	s_mov_b32 s15, exec_lo
	v_cmpx_gt_u32_e64 s43, v75
	s_cbranch_execz .LBB946_411
.LBB946_513:                            ;   in Loop: Header=BB946_402 Depth=2
	s_wait_loadcnt 0x0
	global_load_d16_hi_b16 v7, v[24:25], off offset:320
	s_wait_alu 0xfffe
	s_or_b32 exec_lo, exec_lo, s15
	s_delay_alu instid0(SALU_CYCLE_1)
	s_mov_b32 s15, exec_lo
	v_cmpx_gt_u32_e64 s43, v76
	s_cbranch_execnz .LBB946_412
	s_branch .LBB946_413
.LBB946_514:                            ;   in Loop: Header=BB946_20 Depth=1
	s_wait_loadcnt_dscnt 0x0
	s_barrier_signal -1
	s_mov_b32 s0, 0
	s_barrier_wait -1
.LBB946_515:                            ;   in Loop: Header=BB946_20 Depth=1
	s_wait_alu 0xfffe
	s_and_b32 vcc_lo, exec_lo, s0
	s_wait_alu 0xfffe
	s_cbranch_vccz .LBB946_19
; %bb.516:                              ;   in Loop: Header=BB946_20 Depth=1
	v_dual_mov_b32 v0, v1 :: v_dual_mov_b32 v3, v1
	v_mov_b32_e32 v2, v1
	s_mov_b32 s9, s47
	s_mov_b32 s30, s33
	s_barrier_signal -1
	s_delay_alu instid0(VALU_DEP_1)
	v_dual_mov_b32 v8, v3 :: v_dual_mov_b32 v7, v2
	v_dual_mov_b32 v6, v1 :: v_dual_mov_b32 v5, v0
	s_barrier_wait -1
	global_inv scope:SCOPE_SE
	s_branch .LBB946_518
.LBB946_517:                            ;   in Loop: Header=BB946_518 Depth=2
	s_wait_alu 0xfffe
	s_or_b32 exec_lo, exec_lo, s0
	s_addk_co_i32 s9, 0xf800
	s_cmp_ge_u32 s10, s34
	s_mov_b32 s30, s10
	s_cbranch_scc1 .LBB946_554
.LBB946_518:                            ;   Parent Loop BB946_20 Depth=1
                                        ; =>  This Inner Loop Header: Depth=2
	s_wait_alu 0xfffe
	s_add_co_i32 s10, s30, 0x800
	s_mov_b32 s0, -1
	s_wait_alu 0xfffe
	s_cmp_gt_u32 s10, s34
                                        ; implicit-def: $vgpr9_vgpr10_vgpr11_vgpr12
	s_cbranch_scc1 .LBB946_520
; %bb.519:                              ;   in Loop: Header=BB946_518 Depth=2
	s_lshl_b64 s[0:1], s[30:31], 1
	s_wait_alu 0xfffe
	v_add_co_u32 v2, vcc_lo, v56, s0
	s_wait_alu 0xfffd
	v_add_co_ci_u32_e64 v3, null, s1, v57, vcc_lo
	s_mov_b32 s0, 0
	s_clause 0x3
	global_load_u16 v9, v[2:3], off
	global_load_u16 v10, v[2:3], off offset:1024
	global_load_u16 v11, v[2:3], off offset:2048
	global_load_u16 v12, v[2:3], off offset:3072
	s_wait_loadcnt 0x3
	global_load_d16_hi_b16 v9, v[2:3], off offset:512
	s_wait_loadcnt 0x3
	global_load_d16_hi_b16 v10, v[2:3], off offset:1536
	;; [unrolled: 2-line block ×4, first 2 shown]
.LBB946_520:                            ;   in Loop: Header=BB946_518 Depth=2
	s_wait_alu 0xfffe
	s_and_not1_b32 vcc_lo, exec_lo, s0
	s_movk_i32 s0, 0x800
	s_wait_alu 0xfffe
	s_cbranch_vccnz .LBB946_531
; %bb.521:                              ;   in Loop: Header=BB946_518 Depth=2
	s_lshl_b64 s[0:1], s[30:31], 1
	s_mov_b32 s11, exec_lo
	s_wait_alu 0xfffe
	s_add_nc_u64 s[0:1], s[36:37], s[0:1]
	v_cmpx_gt_u32_e64 s9, v13
	s_cbranch_execnz .LBB946_547
; %bb.522:                              ;   in Loop: Header=BB946_518 Depth=2
	s_or_b32 exec_lo, exec_lo, s11
	s_delay_alu instid0(SALU_CYCLE_1)
	s_mov_b32 s11, exec_lo
	v_cmpx_gt_u32_e64 s9, v29
	s_cbranch_execnz .LBB946_548
.LBB946_523:                            ;   in Loop: Header=BB946_518 Depth=2
	s_wait_alu 0xfffe
	s_or_b32 exec_lo, exec_lo, s11
	s_delay_alu instid0(SALU_CYCLE_1)
	s_mov_b32 s11, exec_lo
	v_cmpx_gt_u32_e64 s9, v30
	s_cbranch_execnz .LBB946_549
.LBB946_524:                            ;   in Loop: Header=BB946_518 Depth=2
	s_wait_alu 0xfffe
	s_or_b32 exec_lo, exec_lo, s11
	s_delay_alu instid0(SALU_CYCLE_1)
	s_mov_b32 s11, exec_lo
	v_cmpx_gt_u32_e64 s9, v31
	s_cbranch_execnz .LBB946_550
.LBB946_525:                            ;   in Loop: Header=BB946_518 Depth=2
	s_wait_alu 0xfffe
	s_or_b32 exec_lo, exec_lo, s11
	s_delay_alu instid0(SALU_CYCLE_1)
	s_mov_b32 s11, exec_lo
	v_cmpx_gt_u32_e64 s9, v34
	s_cbranch_execnz .LBB946_551
.LBB946_526:                            ;   in Loop: Header=BB946_518 Depth=2
	s_wait_alu 0xfffe
	s_or_b32 exec_lo, exec_lo, s11
	s_delay_alu instid0(SALU_CYCLE_1)
	s_mov_b32 s11, exec_lo
	v_cmpx_gt_u32_e64 s9, v35
	s_cbranch_execnz .LBB946_552
.LBB946_527:                            ;   in Loop: Header=BB946_518 Depth=2
	s_wait_alu 0xfffe
	s_or_b32 exec_lo, exec_lo, s11
	s_delay_alu instid0(SALU_CYCLE_1)
	s_mov_b32 s11, exec_lo
	v_cmpx_gt_u32_e64 s9, v36
	s_cbranch_execnz .LBB946_553
.LBB946_528:                            ;   in Loop: Header=BB946_518 Depth=2
	s_wait_alu 0xfffe
	s_or_b32 exec_lo, exec_lo, s11
	s_delay_alu instid0(SALU_CYCLE_1)
	s_mov_b32 s11, exec_lo
	v_cmpx_gt_u32_e64 s9, v37
	s_cbranch_execz .LBB946_530
.LBB946_529:                            ;   in Loop: Header=BB946_518 Depth=2
	s_wait_loadcnt 0x0
	global_load_d16_hi_b16 v8, v79, s[0:1] offset:3584
.LBB946_530:                            ;   in Loop: Header=BB946_518 Depth=2
	s_wait_alu 0xfffe
	s_or_b32 exec_lo, exec_lo, s11
	s_wait_loadcnt 0x0
	v_dual_mov_b32 v12, v8 :: v_dual_mov_b32 v11, v7
	v_dual_mov_b32 v10, v6 :: v_dual_mov_b32 v9, v5
	s_mov_b32 s0, s9
.LBB946_531:                            ;   in Loop: Header=BB946_518 Depth=2
	s_wait_loadcnt 0x0
	s_delay_alu instid0(VALU_DEP_1)
	v_dual_mov_b32 v5, v9 :: v_dual_mov_b32 v6, v10
	v_dual_mov_b32 v7, v11 :: v_dual_mov_b32 v8, v12
	s_mov_b32 s1, exec_lo
	s_wait_alu 0xfffe
	v_cmpx_gt_u32_e64 s0, v13
	s_cbranch_execnz .LBB946_539
; %bb.532:                              ;   in Loop: Header=BB946_518 Depth=2
	s_or_b32 exec_lo, exec_lo, s1
	s_delay_alu instid0(SALU_CYCLE_1)
	s_mov_b32 s1, exec_lo
	v_cmpx_gt_u32_e64 s0, v29
	s_cbranch_execnz .LBB946_540
.LBB946_533:                            ;   in Loop: Header=BB946_518 Depth=2
	s_wait_alu 0xfffe
	s_or_b32 exec_lo, exec_lo, s1
	s_delay_alu instid0(SALU_CYCLE_1)
	s_mov_b32 s1, exec_lo
	v_cmpx_gt_u32_e64 s0, v30
	s_cbranch_execnz .LBB946_541
.LBB946_534:                            ;   in Loop: Header=BB946_518 Depth=2
	s_wait_alu 0xfffe
	s_or_b32 exec_lo, exec_lo, s1
	s_delay_alu instid0(SALU_CYCLE_1)
	s_mov_b32 s1, exec_lo
	v_cmpx_gt_u32_e64 s0, v31
	s_cbranch_execnz .LBB946_542
.LBB946_535:                            ;   in Loop: Header=BB946_518 Depth=2
	s_wait_alu 0xfffe
	s_or_b32 exec_lo, exec_lo, s1
	s_delay_alu instid0(SALU_CYCLE_1)
	s_mov_b32 s1, exec_lo
	v_cmpx_gt_u32_e64 s0, v34
	s_cbranch_execnz .LBB946_543
.LBB946_536:                            ;   in Loop: Header=BB946_518 Depth=2
	s_wait_alu 0xfffe
	s_or_b32 exec_lo, exec_lo, s1
	s_delay_alu instid0(SALU_CYCLE_1)
	s_mov_b32 s1, exec_lo
	v_cmpx_gt_u32_e64 s0, v35
	s_cbranch_execnz .LBB946_544
.LBB946_537:                            ;   in Loop: Header=BB946_518 Depth=2
	s_wait_alu 0xfffe
	s_or_b32 exec_lo, exec_lo, s1
	s_delay_alu instid0(SALU_CYCLE_1)
	s_mov_b32 s1, exec_lo
	v_cmpx_gt_u32_e64 s0, v36
	s_cbranch_execnz .LBB946_545
.LBB946_538:                            ;   in Loop: Header=BB946_518 Depth=2
	s_wait_alu 0xfffe
	s_or_b32 exec_lo, exec_lo, s1
	v_cmp_gt_u32_e32 vcc_lo, s0, v37
	s_and_saveexec_b32 s0, vcc_lo
	s_cbranch_execz .LBB946_517
	s_branch .LBB946_546
.LBB946_539:                            ;   in Loop: Header=BB946_518 Depth=2
	v_xor_b32_e32 v0, 0x7fff, v5
	s_delay_alu instid0(VALU_DEP_1) | instskip(NEXT) | instid1(VALU_DEP_1)
	v_and_b32_e32 v0, 0xffff, v0
	v_lshrrev_b32_e32 v0, s45, v0
	s_delay_alu instid0(VALU_DEP_1) | instskip(NEXT) | instid1(VALU_DEP_1)
	v_and_b32_e32 v0, s42, v0
	v_lshl_or_b32 v0, v0, 4, v39
	ds_add_u32 v0, v63
	s_or_b32 exec_lo, exec_lo, s1
	s_delay_alu instid0(SALU_CYCLE_1)
	s_mov_b32 s1, exec_lo
	v_cmpx_gt_u32_e64 s0, v29
	s_cbranch_execz .LBB946_533
.LBB946_540:                            ;   in Loop: Header=BB946_518 Depth=2
	v_lshrrev_b32_e32 v0, 16, v5
	s_delay_alu instid0(VALU_DEP_1) | instskip(NEXT) | instid1(VALU_DEP_1)
	v_xor_b32_e32 v0, 0x7fff, v0
	v_and_b32_e32 v0, 0xffff, v0
	s_delay_alu instid0(VALU_DEP_1) | instskip(NEXT) | instid1(VALU_DEP_1)
	v_lshrrev_b32_e32 v0, s45, v0
	v_and_b32_e32 v0, s42, v0
	s_delay_alu instid0(VALU_DEP_1) | instskip(SKIP_3) | instid1(SALU_CYCLE_1)
	v_lshl_or_b32 v0, v0, 4, v39
	ds_add_u32 v0, v63
	s_wait_alu 0xfffe
	s_or_b32 exec_lo, exec_lo, s1
	s_mov_b32 s1, exec_lo
	v_cmpx_gt_u32_e64 s0, v30
	s_cbranch_execz .LBB946_534
.LBB946_541:                            ;   in Loop: Header=BB946_518 Depth=2
	v_xor_b32_e32 v0, 0x7fff, v6
	s_delay_alu instid0(VALU_DEP_1) | instskip(NEXT) | instid1(VALU_DEP_1)
	v_and_b32_e32 v0, 0xffff, v0
	v_lshrrev_b32_e32 v0, s45, v0
	s_delay_alu instid0(VALU_DEP_1) | instskip(NEXT) | instid1(VALU_DEP_1)
	v_and_b32_e32 v0, s42, v0
	v_lshl_or_b32 v0, v0, 4, v39
	ds_add_u32 v0, v63
	s_wait_alu 0xfffe
	s_or_b32 exec_lo, exec_lo, s1
	s_delay_alu instid0(SALU_CYCLE_1)
	s_mov_b32 s1, exec_lo
	v_cmpx_gt_u32_e64 s0, v31
	s_cbranch_execz .LBB946_535
.LBB946_542:                            ;   in Loop: Header=BB946_518 Depth=2
	v_lshrrev_b32_e32 v0, 16, v6
	s_delay_alu instid0(VALU_DEP_1) | instskip(NEXT) | instid1(VALU_DEP_1)
	v_xor_b32_e32 v0, 0x7fff, v0
	v_and_b32_e32 v0, 0xffff, v0
	s_delay_alu instid0(VALU_DEP_1) | instskip(NEXT) | instid1(VALU_DEP_1)
	v_lshrrev_b32_e32 v0, s45, v0
	v_and_b32_e32 v0, s42, v0
	s_delay_alu instid0(VALU_DEP_1) | instskip(SKIP_3) | instid1(SALU_CYCLE_1)
	v_lshl_or_b32 v0, v0, 4, v39
	ds_add_u32 v0, v63
	s_wait_alu 0xfffe
	s_or_b32 exec_lo, exec_lo, s1
	s_mov_b32 s1, exec_lo
	v_cmpx_gt_u32_e64 s0, v34
	s_cbranch_execz .LBB946_536
.LBB946_543:                            ;   in Loop: Header=BB946_518 Depth=2
	v_xor_b32_e32 v0, 0x7fff, v7
	s_delay_alu instid0(VALU_DEP_1) | instskip(NEXT) | instid1(VALU_DEP_1)
	v_and_b32_e32 v0, 0xffff, v0
	v_lshrrev_b32_e32 v0, s45, v0
	s_delay_alu instid0(VALU_DEP_1) | instskip(NEXT) | instid1(VALU_DEP_1)
	v_and_b32_e32 v0, s42, v0
	v_lshl_or_b32 v0, v0, 4, v39
	ds_add_u32 v0, v63
	s_wait_alu 0xfffe
	s_or_b32 exec_lo, exec_lo, s1
	s_delay_alu instid0(SALU_CYCLE_1)
	s_mov_b32 s1, exec_lo
	v_cmpx_gt_u32_e64 s0, v35
	s_cbranch_execz .LBB946_537
.LBB946_544:                            ;   in Loop: Header=BB946_518 Depth=2
	v_lshrrev_b32_e32 v0, 16, v7
	s_delay_alu instid0(VALU_DEP_1) | instskip(NEXT) | instid1(VALU_DEP_1)
	v_xor_b32_e32 v0, 0x7fff, v0
	v_and_b32_e32 v0, 0xffff, v0
	s_delay_alu instid0(VALU_DEP_1) | instskip(NEXT) | instid1(VALU_DEP_1)
	v_lshrrev_b32_e32 v0, s45, v0
	v_and_b32_e32 v0, s42, v0
	s_delay_alu instid0(VALU_DEP_1) | instskip(SKIP_3) | instid1(SALU_CYCLE_1)
	v_lshl_or_b32 v0, v0, 4, v39
	ds_add_u32 v0, v63
	s_wait_alu 0xfffe
	s_or_b32 exec_lo, exec_lo, s1
	s_mov_b32 s1, exec_lo
	v_cmpx_gt_u32_e64 s0, v36
	s_cbranch_execz .LBB946_538
.LBB946_545:                            ;   in Loop: Header=BB946_518 Depth=2
	v_xor_b32_e32 v0, 0x7fff, v8
	s_delay_alu instid0(VALU_DEP_1) | instskip(NEXT) | instid1(VALU_DEP_1)
	v_and_b32_e32 v0, 0xffff, v0
	v_lshrrev_b32_e32 v0, s45, v0
	s_delay_alu instid0(VALU_DEP_1) | instskip(NEXT) | instid1(VALU_DEP_1)
	v_and_b32_e32 v0, s42, v0
	v_lshl_or_b32 v0, v0, 4, v39
	ds_add_u32 v0, v63
	s_wait_alu 0xfffe
	s_or_b32 exec_lo, exec_lo, s1
	v_cmp_gt_u32_e32 vcc_lo, s0, v37
	s_and_saveexec_b32 s0, vcc_lo
	s_cbranch_execz .LBB946_517
.LBB946_546:                            ;   in Loop: Header=BB946_518 Depth=2
	v_lshrrev_b32_e32 v0, 16, v8
	s_delay_alu instid0(VALU_DEP_1) | instskip(NEXT) | instid1(VALU_DEP_1)
	v_xor_b32_e32 v0, 0x7fff, v0
	v_and_b32_e32 v0, 0xffff, v0
	s_delay_alu instid0(VALU_DEP_1) | instskip(NEXT) | instid1(VALU_DEP_1)
	v_lshrrev_b32_e32 v0, s45, v0
	v_and_b32_e32 v0, s42, v0
	s_delay_alu instid0(VALU_DEP_1)
	v_lshl_or_b32 v0, v0, 4, v39
	ds_add_u32 v0, v63
	s_branch .LBB946_517
.LBB946_547:                            ;   in Loop: Header=BB946_518 Depth=2
	global_load_d16_b16 v5, v79, s[0:1]
	s_or_b32 exec_lo, exec_lo, s11
	s_delay_alu instid0(SALU_CYCLE_1)
	s_mov_b32 s11, exec_lo
	v_cmpx_gt_u32_e64 s9, v29
	s_cbranch_execz .LBB946_523
.LBB946_548:                            ;   in Loop: Header=BB946_518 Depth=2
	s_wait_loadcnt 0x0
	global_load_d16_hi_b16 v5, v79, s[0:1] offset:512
	s_wait_alu 0xfffe
	s_or_b32 exec_lo, exec_lo, s11
	s_delay_alu instid0(SALU_CYCLE_1)
	s_mov_b32 s11, exec_lo
	v_cmpx_gt_u32_e64 s9, v30
	s_cbranch_execz .LBB946_524
.LBB946_549:                            ;   in Loop: Header=BB946_518 Depth=2
	global_load_d16_b16 v6, v79, s[0:1] offset:1024
	s_wait_alu 0xfffe
	s_or_b32 exec_lo, exec_lo, s11
	s_delay_alu instid0(SALU_CYCLE_1)
	s_mov_b32 s11, exec_lo
	v_cmpx_gt_u32_e64 s9, v31
	s_cbranch_execz .LBB946_525
.LBB946_550:                            ;   in Loop: Header=BB946_518 Depth=2
	s_wait_loadcnt 0x0
	global_load_d16_hi_b16 v6, v79, s[0:1] offset:1536
	s_wait_alu 0xfffe
	s_or_b32 exec_lo, exec_lo, s11
	s_delay_alu instid0(SALU_CYCLE_1)
	s_mov_b32 s11, exec_lo
	v_cmpx_gt_u32_e64 s9, v34
	s_cbranch_execz .LBB946_526
.LBB946_551:                            ;   in Loop: Header=BB946_518 Depth=2
	global_load_d16_b16 v7, v79, s[0:1] offset:2048
	s_wait_alu 0xfffe
	s_or_b32 exec_lo, exec_lo, s11
	s_delay_alu instid0(SALU_CYCLE_1)
	s_mov_b32 s11, exec_lo
	v_cmpx_gt_u32_e64 s9, v35
	s_cbranch_execz .LBB946_527
.LBB946_552:                            ;   in Loop: Header=BB946_518 Depth=2
	s_wait_loadcnt 0x0
	global_load_d16_hi_b16 v7, v79, s[0:1] offset:2560
	s_wait_alu 0xfffe
	s_or_b32 exec_lo, exec_lo, s11
	s_delay_alu instid0(SALU_CYCLE_1)
	s_mov_b32 s11, exec_lo
	v_cmpx_gt_u32_e64 s9, v36
	s_cbranch_execz .LBB946_528
.LBB946_553:                            ;   in Loop: Header=BB946_518 Depth=2
	global_load_d16_b16 v8, v79, s[0:1] offset:3072
	s_wait_alu 0xfffe
	s_or_b32 exec_lo, exec_lo, s11
	s_delay_alu instid0(SALU_CYCLE_1)
	s_mov_b32 s11, exec_lo
	v_cmpx_gt_u32_e64 s9, v37
	s_cbranch_execnz .LBB946_529
	s_branch .LBB946_530
.LBB946_554:                            ;   in Loop: Header=BB946_20 Depth=1
	v_mov_b32_e32 v0, 0
	s_wait_dscnt 0x0
	s_barrier_signal -1
	s_barrier_wait -1
	global_inv scope:SCOPE_SE
	s_and_saveexec_b32 s0, s2
	s_cbranch_execz .LBB946_556
; %bb.555:                              ;   in Loop: Header=BB946_20 Depth=1
	ds_load_2addr_b64 v[5:8], v40 offset1:1
	s_wait_dscnt 0x0
	v_add_nc_u32_e32 v0, v6, v5
	s_delay_alu instid0(VALU_DEP_1)
	v_add3_u32 v0, v0, v7, v8
.LBB946_556:                            ;   in Loop: Header=BB946_20 Depth=1
	s_wait_alu 0xfffe
	s_or_b32 exec_lo, exec_lo, s0
	s_delay_alu instid0(VALU_DEP_1)
	v_mov_b32_dpp v2, v0 row_shr:1 row_mask:0xf bank_mask:0xf
	v_cmp_eq_u32_e64 s0, 0, v64
	v_cmp_lt_u32_e64 s1, 1, v64
	v_cmp_lt_u32_e64 s9, 3, v64
	;; [unrolled: 1-line block ×3, first 2 shown]
	v_cmp_eq_u32_e64 s11, 0, v66
	s_wait_alu 0xf1ff
	v_cndmask_b32_e64 v2, v2, 0, s0
	s_delay_alu instid0(VALU_DEP_1) | instskip(NEXT) | instid1(VALU_DEP_1)
	v_add_nc_u32_e32 v0, v2, v0
	v_mov_b32_dpp v2, v0 row_shr:2 row_mask:0xf bank_mask:0xf
	s_delay_alu instid0(VALU_DEP_1) | instskip(NEXT) | instid1(VALU_DEP_1)
	v_cndmask_b32_e64 v2, 0, v2, s1
	v_add_nc_u32_e32 v0, v0, v2
	s_delay_alu instid0(VALU_DEP_1) | instskip(NEXT) | instid1(VALU_DEP_1)
	v_mov_b32_dpp v2, v0 row_shr:4 row_mask:0xf bank_mask:0xf
	v_cndmask_b32_e64 v2, 0, v2, s9
	s_delay_alu instid0(VALU_DEP_1) | instskip(NEXT) | instid1(VALU_DEP_1)
	v_add_nc_u32_e32 v0, v0, v2
	v_mov_b32_dpp v2, v0 row_shr:8 row_mask:0xf bank_mask:0xf
	s_delay_alu instid0(VALU_DEP_1) | instskip(NEXT) | instid1(VALU_DEP_1)
	v_cndmask_b32_e64 v2, 0, v2, s10
	v_add_nc_u32_e32 v0, v0, v2
	ds_swizzle_b32 v2, v0 offset:swizzle(BROADCAST,32,15)
	s_wait_dscnt 0x0
	v_and_b32_e32 v2, v65, v2
	s_delay_alu instid0(VALU_DEP_1)
	v_add_nc_u32_e32 v0, v0, v2
	s_and_saveexec_b32 s12, s3
; %bb.557:                              ;   in Loop: Header=BB946_20 Depth=1
	ds_store_b32 v41, v0
; %bb.558:                              ;   in Loop: Header=BB946_20 Depth=1
	s_wait_alu 0xfffe
	s_or_b32 exec_lo, exec_lo, s12
	s_wait_loadcnt_dscnt 0x0
	s_barrier_signal -1
	s_barrier_wait -1
	global_inv scope:SCOPE_SE
	s_and_saveexec_b32 s12, s4
	s_cbranch_execz .LBB946_560
; %bb.559:                              ;   in Loop: Header=BB946_20 Depth=1
	ds_load_b32 v2, v42
	v_cmp_ne_u32_e32 vcc_lo, 0, v68
	s_wait_dscnt 0x0
	v_mov_b32_dpp v3, v2 row_shr:1 row_mask:0xf bank_mask:0xf
	s_wait_alu 0xfffd
	s_delay_alu instid0(VALU_DEP_1) | instskip(SKIP_1) | instid1(VALU_DEP_2)
	v_cndmask_b32_e32 v3, 0, v3, vcc_lo
	v_cmp_lt_u32_e32 vcc_lo, 1, v68
	v_add_nc_u32_e32 v2, v3, v2
	s_delay_alu instid0(VALU_DEP_1) | instskip(SKIP_1) | instid1(VALU_DEP_1)
	v_mov_b32_dpp v3, v2 row_shr:2 row_mask:0xf bank_mask:0xf
	s_wait_alu 0xfffd
	v_cndmask_b32_e32 v3, 0, v3, vcc_lo
	v_cmp_lt_u32_e32 vcc_lo, 3, v68
	s_delay_alu instid0(VALU_DEP_2) | instskip(NEXT) | instid1(VALU_DEP_1)
	v_add_nc_u32_e32 v2, v2, v3
	v_mov_b32_dpp v3, v2 row_shr:4 row_mask:0xf bank_mask:0xf
	s_wait_alu 0xfffd
	s_delay_alu instid0(VALU_DEP_1) | instskip(NEXT) | instid1(VALU_DEP_1)
	v_cndmask_b32_e32 v3, 0, v3, vcc_lo
	v_add_nc_u32_e32 v2, v2, v3
	ds_store_b32 v42, v2
.LBB946_560:                            ;   in Loop: Header=BB946_20 Depth=1
	s_wait_alu 0xfffe
	s_or_b32 exec_lo, exec_lo, s12
	v_mov_b32_e32 v2, 0
	s_wait_loadcnt_dscnt 0x0
	s_barrier_signal -1
	s_barrier_wait -1
	global_inv scope:SCOPE_SE
	s_and_saveexec_b32 s12, s5
; %bb.561:                              ;   in Loop: Header=BB946_20 Depth=1
	ds_load_b32 v2, v44
; %bb.562:                              ;   in Loop: Header=BB946_20 Depth=1
	s_wait_alu 0xfffe
	s_or_b32 exec_lo, exec_lo, s12
	v_cmp_gt_i32_e32 vcc_lo, 0, v69
	s_wait_dscnt 0x0
	v_add_nc_u32_e32 v0, v2, v0
	s_wait_loadcnt 0x0
	s_barrier_signal -1
	s_barrier_wait -1
	s_wait_alu 0xfffd
	v_cndmask_b32_e32 v3, v69, v60, vcc_lo
	global_inv scope:SCOPE_SE
	v_lshlrev_b32_e32 v84, 2, v3
	ds_bpermute_b32 v0, v84, v0
	s_and_saveexec_b32 s12, s2
	s_cbranch_execz .LBB946_564
; %bb.563:                              ;   in Loop: Header=BB946_20 Depth=1
	s_wait_dscnt 0x0
	v_cndmask_b32_e64 v0, v0, v2, s8
	s_delay_alu instid0(VALU_DEP_1)
	v_add_nc_u32_e32 v0, s33, v0
	ds_store_b32 v28, v0
.LBB946_564:                            ;   in Loop: Header=BB946_20 Depth=1
	s_wait_alu 0xfffe
	s_or_b32 exec_lo, exec_lo, s12
	s_load_b64 s[12:13], s[28:29], 0x0
	v_add_co_u32 v85, vcc_lo, v58, v70
	s_wait_alu 0xfffd
	v_add_co_ci_u32_e64 v86, null, 0, v59, vcc_lo
	v_add_co_u32 v87, vcc_lo, v61, v78
	s_wait_alu 0xfffd
	v_add_co_ci_u32_e64 v88, null, 0, v62, vcc_lo
	s_mov_b32 s43, s47
                                        ; implicit-def: $vgpr9_vgpr10
                                        ; implicit-def: $vgpr11_vgpr12
                                        ; implicit-def: $vgpr16_vgpr17
                                        ; implicit-def: $vgpr18_vgpr19
                                        ; implicit-def: $vgpr20_vgpr21
                                        ; implicit-def: $vgpr22_vgpr23
                                        ; implicit-def: $vgpr90
                                        ; implicit-def: $vgpr91
                                        ; implicit-def: $vgpr92
                                        ; implicit-def: $vgpr93
                                        ; implicit-def: $vgpr94
                                        ; implicit-def: $vgpr95
                                        ; implicit-def: $vgpr96
                                        ; implicit-def: $vgpr97
	s_wait_kmcnt 0x0
	s_cmp_lt_u32 ttmp7, s13
	s_cselect_b32 s30, 14, 20
	s_cmp_lt_u32 ttmp9, s12
	s_wait_alu 0xfffe
	s_add_nc_u64 s[14:15], s[28:29], s[30:31]
	s_cselect_b32 s30, 12, 18
	s_load_u16 s14, s[14:15], 0x0
	s_add_nc_u64 s[12:13], s[28:29], s[30:31]
	s_mov_b32 s30, s33
	s_load_u16 s12, s[12:13], 0x0
	v_cmp_lt_u32_e64 s13, 1, v68
	s_wait_dscnt 0x0
	s_wait_kmcnt 0x0
	v_mad_u32_u24 v0, v45, s14, v46
	v_cmp_lt_u32_e64 s14, 3, v68
	s_delay_alu instid0(VALU_DEP_2) | instskip(SKIP_1) | instid1(VALU_DEP_2)
	v_mad_co_u64_u32 v[2:3], null, v0, s12, v[13:14]
	v_cmp_eq_u32_e64 s12, 0, v68
                                        ; implicit-def: $vgpr14_vgpr15
	v_lshrrev_b32_e32 v0, 3, v2
                                        ; implicit-def: $vgpr2_vgpr3
	s_delay_alu instid0(VALU_DEP_1)
	v_and_b32_e32 v89, 0x1ffffffc, v0
	s_branch .LBB946_566
.LBB946_565:                            ;   in Loop: Header=BB946_566 Depth=2
	s_wait_alu 0xfffe
	s_or_b32 exec_lo, exec_lo, s15
	s_addk_co_i32 s43, 0xf800
	s_cmp_lt_u32 s44, s34
	s_mov_b32 s30, s44
	s_cbranch_scc0 .LBB946_18
.LBB946_566:                            ;   Parent Loop BB946_20 Depth=1
                                        ; =>  This Inner Loop Header: Depth=2
	s_wait_alu 0xfffe
	s_add_co_i32 s44, s30, 0x800
	s_wait_alu 0xfffe
	s_cmp_gt_u32 s44, s34
	s_cbranch_scc1 .LBB946_568
; %bb.567:                              ;   in Loop: Header=BB946_566 Depth=2
	s_lshl_b64 s[16:17], s[30:31], 1
	s_mov_b32 s15, -1
	s_wait_alu 0xfffe
	v_add_co_u32 v24, vcc_lo, v87, s16
	s_wait_alu 0xfffd
	v_add_co_ci_u32_e64 v25, null, s17, v88, vcc_lo
	s_clause 0x3
	global_load_u16 v5, v[24:25], off
	global_load_u16 v6, v[24:25], off offset:128
	global_load_u16 v7, v[24:25], off offset:256
	global_load_d16_b16 v8, v[24:25], off offset:384
	s_wait_loadcnt 0x3
	global_load_d16_hi_b16 v5, v[24:25], off offset:64
	s_wait_loadcnt 0x3
	global_load_d16_hi_b16 v6, v[24:25], off offset:192
	;; [unrolled: 2-line block ×3, first 2 shown]
	s_movk_i32 s16, 0x800
	s_cbranch_execz .LBB946_569
	s_branch .LBB946_578
.LBB946_568:                            ;   in Loop: Header=BB946_566 Depth=2
	s_mov_b32 s15, 0
                                        ; implicit-def: $vgpr5_vgpr6_vgpr7_vgpr8
	s_movk_i32 s16, 0x800
.LBB946_569:                            ;   in Loop: Header=BB946_566 Depth=2
	s_wait_loadcnt 0x0
	v_mov_b32_e32 v7, v4
	s_lshl_b64 s[16:17], s[30:31], 1
	v_dual_mov_b32 v5, v4 :: v_dual_mov_b32 v6, v4
	s_wait_alu 0xfffe
	v_add_co_u32 v24, vcc_lo, v87, s16
	v_mov_b32_e32 v8, v7
	s_wait_alu 0xfffd
	v_add_co_ci_u32_e64 v25, null, s17, v88, vcc_lo
	v_mov_b32_e32 v7, v6
	v_mov_b32_e32 v6, v5
	;; [unrolled: 1-line block ×3, first 2 shown]
	s_mov_b32 s15, exec_lo
	v_cmpx_gt_u32_e64 s43, v67
	s_cbranch_execnz .LBB946_672
; %bb.570:                              ;   in Loop: Header=BB946_566 Depth=2
	s_wait_alu 0xfffe
	s_or_b32 exec_lo, exec_lo, s15
	s_delay_alu instid0(SALU_CYCLE_1)
	s_mov_b32 s15, exec_lo
	v_cmpx_gt_u32_e64 s43, v71
	s_cbranch_execnz .LBB946_673
.LBB946_571:                            ;   in Loop: Header=BB946_566 Depth=2
	s_wait_alu 0xfffe
	s_or_b32 exec_lo, exec_lo, s15
	s_delay_alu instid0(SALU_CYCLE_1)
	s_mov_b32 s15, exec_lo
	v_cmpx_gt_u32_e64 s43, v72
	s_cbranch_execnz .LBB946_674
.LBB946_572:                            ;   in Loop: Header=BB946_566 Depth=2
	s_wait_alu 0xfffe
	s_or_b32 exec_lo, exec_lo, s15
	s_delay_alu instid0(SALU_CYCLE_1)
	s_mov_b32 s15, exec_lo
	v_cmpx_gt_u32_e64 s43, v73
	s_cbranch_execnz .LBB946_675
.LBB946_573:                            ;   in Loop: Header=BB946_566 Depth=2
	s_wait_alu 0xfffe
	s_or_b32 exec_lo, exec_lo, s15
	s_delay_alu instid0(SALU_CYCLE_1)
	s_mov_b32 s15, exec_lo
	v_cmpx_gt_u32_e64 s43, v74
	s_cbranch_execnz .LBB946_676
.LBB946_574:                            ;   in Loop: Header=BB946_566 Depth=2
	s_wait_alu 0xfffe
	s_or_b32 exec_lo, exec_lo, s15
	s_delay_alu instid0(SALU_CYCLE_1)
	s_mov_b32 s15, exec_lo
	v_cmpx_gt_u32_e64 s43, v75
	s_cbranch_execnz .LBB946_677
.LBB946_575:                            ;   in Loop: Header=BB946_566 Depth=2
	s_wait_alu 0xfffe
	s_or_b32 exec_lo, exec_lo, s15
	s_delay_alu instid0(SALU_CYCLE_1)
	s_mov_b32 s15, exec_lo
	v_cmpx_gt_u32_e64 s43, v76
	s_cbranch_execz .LBB946_577
.LBB946_576:                            ;   in Loop: Header=BB946_566 Depth=2
	global_load_d16_b16 v8, v[24:25], off offset:384
.LBB946_577:                            ;   in Loop: Header=BB946_566 Depth=2
	s_wait_alu 0xfffe
	s_or_b32 exec_lo, exec_lo, s15
	v_cmp_gt_u32_e64 s15, s43, v77
	s_sub_co_i32 s16, s34, s30
.LBB946_578:                            ;   in Loop: Header=BB946_566 Depth=2
	v_mov_b32_e32 v98, s43
	s_and_saveexec_b32 s17, s15
	s_cbranch_execz .LBB946_580
; %bb.579:                              ;   in Loop: Header=BB946_566 Depth=2
	s_lshl_b64 s[18:19], s[30:31], 1
	s_wait_alu 0xfffe
	v_mov_b32_e32 v98, s16
	v_add_co_u32 v24, vcc_lo, v87, s18
	s_wait_alu 0xfffd
	v_add_co_ci_u32_e64 v25, null, s19, v88, vcc_lo
	s_wait_loadcnt 0x0
	global_load_d16_hi_b16 v8, v[24:25], off offset:448
.LBB946_580:                            ;   in Loop: Header=BB946_566 Depth=2
	s_wait_alu 0xfffe
	s_or_b32 exec_lo, exec_lo, s17
	s_wait_loadcnt 0x0
	v_xor_b32_e32 v0, 0x7fff, v5
	s_delay_alu instid0(VALU_DEP_1) | instskip(NEXT) | instid1(VALU_DEP_1)
	v_and_b32_e32 v24, 0xffff, v0
	v_lshrrev_b32_e32 v24, s45, v24
	s_delay_alu instid0(VALU_DEP_1) | instskip(NEXT) | instid1(VALU_DEP_1)
	v_and_b32_e32 v25, s42, v24
	v_and_b32_e32 v24, 1, v25
	v_lshlrev_b32_e32 v26, 30, v25
	v_lshlrev_b32_e32 v27, 29, v25
	;; [unrolled: 1-line block ×4, first 2 shown]
	v_add_co_u32 v24, s15, v24, -1
	s_wait_alu 0xf1ff
	v_cndmask_b32_e64 v100, 0, 1, s15
	v_not_b32_e32 v104, v26
	v_cmp_gt_i32_e64 s15, 0, v26
	v_not_b32_e32 v26, v27
	v_lshlrev_b32_e32 v102, 26, v25
	v_cmp_ne_u32_e32 vcc_lo, 0, v100
	v_ashrrev_i32_e32 v104, 31, v104
	v_lshlrev_b32_e32 v103, 25, v25
	v_ashrrev_i32_e32 v26, 31, v26
	v_lshlrev_b32_e32 v100, 24, v25
	s_wait_alu 0xfffd
	v_xor_b32_e32 v24, vcc_lo, v24
	v_cmp_gt_i32_e32 vcc_lo, 0, v27
	v_not_b32_e32 v27, v99
	s_wait_alu 0xf1ff
	v_xor_b32_e32 v104, s15, v104
	v_cmp_gt_i32_e64 s15, 0, v99
	v_and_b32_e32 v24, exec_lo, v24
	v_not_b32_e32 v99, v101
	v_ashrrev_i32_e32 v27, 31, v27
	s_wait_alu 0xfffd
	v_xor_b32_e32 v26, vcc_lo, v26
	v_cmp_gt_i32_e32 vcc_lo, 0, v101
	v_and_b32_e32 v24, v24, v104
	v_not_b32_e32 v101, v102
	v_ashrrev_i32_e32 v99, 31, v99
	s_wait_alu 0xf1ff
	v_xor_b32_e32 v27, s15, v27
	v_cmp_gt_i32_e64 s15, 0, v102
	v_and_b32_e32 v24, v24, v26
	v_not_b32_e32 v26, v103
	v_ashrrev_i32_e32 v101, 31, v101
	s_wait_alu 0xfffd
	v_xor_b32_e32 v99, vcc_lo, v99
	v_cmp_gt_i32_e32 vcc_lo, 0, v103
	v_and_b32_e32 v24, v24, v27
	v_not_b32_e32 v27, v100
	v_ashrrev_i32_e32 v26, 31, v26
	s_wait_alu 0xf1ff
	v_xor_b32_e32 v101, s15, v101
	v_cmp_gt_i32_e64 s15, 0, v100
	v_and_b32_e32 v24, v24, v99
	v_ashrrev_i32_e32 v27, 31, v27
	s_wait_alu 0xfffd
	v_xor_b32_e32 v26, vcc_lo, v26
	v_mul_u32_u24_e32 v25, 36, v25
	v_add_nc_u32_e32 v102, 0x420, v43
	v_and_b32_e32 v24, v24, v101
	s_wait_alu 0xf1ff
	v_xor_b32_e32 v27, s15, v27
	v_add_nc_u32_e32 v101, 0x438, v43
	v_add_nc_u32_e32 v103, 0x428, v43
	;; [unrolled: 1-line block ×3, first 2 shown]
	v_and_b32_e32 v24, v24, v26
	v_add_nc_u32_e32 v105, v89, v25
	ds_store_2addr_b32 v101, v1, v1 offset1:1
	ds_store_2addr_b32 v102, v1, v1 offset1:1
	;; [unrolled: 1-line block ×4, first 2 shown]
	ds_store_b32 v43, v1 offset:1088
	s_wait_dscnt 0x0
	v_and_b32_e32 v24, v24, v27
	s_barrier_signal -1
	s_barrier_wait -1
	global_inv scope:SCOPE_SE
	v_mbcnt_lo_u32_b32 v99, v24, 0
	v_cmp_ne_u32_e64 s15, 0, v24
	; wave barrier
	s_delay_alu instid0(VALU_DEP_2)
	v_cmp_eq_u32_e32 vcc_lo, 0, v99
	s_and_b32 s16, s15, vcc_lo
	s_wait_alu 0xfffe
	s_and_saveexec_b32 s15, s16
; %bb.581:                              ;   in Loop: Header=BB946_566 Depth=2
	v_bcnt_u32_b32 v24, v24, 0
	ds_store_b32 v105, v24 offset:1056
; %bb.582:                              ;   in Loop: Header=BB946_566 Depth=2
	s_wait_alu 0xfffe
	s_or_b32 exec_lo, exec_lo, s15
	v_lshrrev_b32_e32 v5, 16, v5
	; wave barrier
	s_delay_alu instid0(VALU_DEP_1) | instskip(NEXT) | instid1(VALU_DEP_1)
	v_xor_b32_e32 v100, 0x7fff, v5
	v_and_b32_e32 v5, 0xffff, v100
	s_delay_alu instid0(VALU_DEP_1) | instskip(NEXT) | instid1(VALU_DEP_1)
	v_lshrrev_b32_e32 v5, s45, v5
	v_and_b32_e32 v24, s42, v5
	s_delay_alu instid0(VALU_DEP_1)
	v_and_b32_e32 v5, 1, v24
	v_lshlrev_b32_e32 v25, 30, v24
	v_lshlrev_b32_e32 v26, 29, v24
	;; [unrolled: 1-line block ×4, first 2 shown]
	v_add_co_u32 v5, s15, v5, -1
	s_wait_alu 0xf1ff
	v_cndmask_b32_e64 v106, 0, 1, s15
	v_not_b32_e32 v110, v25
	v_cmp_gt_i32_e64 s15, 0, v25
	v_not_b32_e32 v25, v26
	v_lshlrev_b32_e32 v108, 26, v24
	v_cmp_ne_u32_e32 vcc_lo, 0, v106
	v_ashrrev_i32_e32 v110, 31, v110
	v_lshlrev_b32_e32 v109, 25, v24
	v_ashrrev_i32_e32 v25, 31, v25
	v_lshlrev_b32_e32 v106, 24, v24
	s_wait_alu 0xfffd
	v_xor_b32_e32 v5, vcc_lo, v5
	v_cmp_gt_i32_e32 vcc_lo, 0, v26
	v_not_b32_e32 v26, v27
	s_wait_alu 0xf1ff
	v_xor_b32_e32 v110, s15, v110
	v_cmp_gt_i32_e64 s15, 0, v27
	v_and_b32_e32 v5, exec_lo, v5
	v_not_b32_e32 v27, v107
	v_ashrrev_i32_e32 v26, 31, v26
	s_wait_alu 0xfffd
	v_xor_b32_e32 v25, vcc_lo, v25
	v_cmp_gt_i32_e32 vcc_lo, 0, v107
	v_and_b32_e32 v5, v5, v110
	v_not_b32_e32 v107, v108
	v_ashrrev_i32_e32 v27, 31, v27
	s_wait_alu 0xf1ff
	v_xor_b32_e32 v26, s15, v26
	v_cmp_gt_i32_e64 s15, 0, v108
	v_and_b32_e32 v5, v5, v25
	v_not_b32_e32 v25, v109
	v_ashrrev_i32_e32 v107, 31, v107
	s_wait_alu 0xfffd
	v_xor_b32_e32 v27, vcc_lo, v27
	v_cmp_gt_i32_e32 vcc_lo, 0, v109
	v_and_b32_e32 v5, v5, v26
	v_not_b32_e32 v26, v106
	v_ashrrev_i32_e32 v25, 31, v25
	s_wait_alu 0xf1ff
	v_xor_b32_e32 v107, s15, v107
	v_cmp_gt_i32_e64 s15, 0, v106
	v_and_b32_e32 v5, v5, v27
	v_ashrrev_i32_e32 v26, 31, v26
	s_wait_alu 0xfffd
	v_xor_b32_e32 v25, vcc_lo, v25
	v_mad_u32_u24 v27, v24, 36, v89
	v_mul_u32_u24_e32 v24, 36, v24
	v_and_b32_e32 v5, v5, v107
	s_wait_alu 0xf1ff
	v_xor_b32_e32 v26, s15, v26
	ds_load_b32 v106, v27 offset:1056
	v_add_nc_u32_e32 v109, v89, v24
	v_and_b32_e32 v5, v5, v25
	; wave barrier
	s_delay_alu instid0(VALU_DEP_1) | instskip(NEXT) | instid1(VALU_DEP_1)
	v_and_b32_e32 v5, v5, v26
	v_mbcnt_lo_u32_b32 v107, v5, 0
	v_cmp_ne_u32_e64 s15, 0, v5
	s_delay_alu instid0(VALU_DEP_2)
	v_cmp_eq_u32_e32 vcc_lo, 0, v107
	s_and_b32 s16, s15, vcc_lo
	s_wait_alu 0xfffe
	s_and_saveexec_b32 s15, s16
	s_cbranch_execz .LBB946_584
; %bb.583:                              ;   in Loop: Header=BB946_566 Depth=2
	s_wait_dscnt 0x0
	v_bcnt_u32_b32 v5, v5, v106
	ds_store_b32 v109, v5 offset:1056
.LBB946_584:                            ;   in Loop: Header=BB946_566 Depth=2
	s_wait_alu 0xfffe
	s_or_b32 exec_lo, exec_lo, s15
	v_xor_b32_e32 v108, 0x7fff, v6
	; wave barrier
	s_delay_alu instid0(VALU_DEP_1) | instskip(NEXT) | instid1(VALU_DEP_1)
	v_and_b32_e32 v5, 0xffff, v108
	v_lshrrev_b32_e32 v5, s45, v5
	s_delay_alu instid0(VALU_DEP_1) | instskip(NEXT) | instid1(VALU_DEP_1)
	v_and_b32_e32 v24, s42, v5
	v_and_b32_e32 v5, 1, v24
	v_lshlrev_b32_e32 v25, 30, v24
	v_lshlrev_b32_e32 v26, 29, v24
	;; [unrolled: 1-line block ×4, first 2 shown]
	v_add_co_u32 v5, s15, v5, -1
	s_wait_alu 0xf1ff
	v_cndmask_b32_e64 v110, 0, 1, s15
	v_not_b32_e32 v114, v25
	v_cmp_gt_i32_e64 s15, 0, v25
	v_not_b32_e32 v25, v26
	v_lshlrev_b32_e32 v112, 26, v24
	v_cmp_ne_u32_e32 vcc_lo, 0, v110
	v_ashrrev_i32_e32 v114, 31, v114
	v_lshlrev_b32_e32 v113, 25, v24
	v_ashrrev_i32_e32 v25, 31, v25
	v_lshlrev_b32_e32 v110, 24, v24
	s_wait_alu 0xfffd
	v_xor_b32_e32 v5, vcc_lo, v5
	v_cmp_gt_i32_e32 vcc_lo, 0, v26
	v_not_b32_e32 v26, v27
	s_wait_alu 0xf1ff
	v_xor_b32_e32 v114, s15, v114
	v_cmp_gt_i32_e64 s15, 0, v27
	v_and_b32_e32 v5, exec_lo, v5
	v_not_b32_e32 v27, v111
	v_ashrrev_i32_e32 v26, 31, v26
	s_wait_alu 0xfffd
	v_xor_b32_e32 v25, vcc_lo, v25
	v_cmp_gt_i32_e32 vcc_lo, 0, v111
	v_and_b32_e32 v5, v5, v114
	v_not_b32_e32 v111, v112
	v_ashrrev_i32_e32 v27, 31, v27
	s_wait_alu 0xf1ff
	v_xor_b32_e32 v26, s15, v26
	v_cmp_gt_i32_e64 s15, 0, v112
	v_and_b32_e32 v5, v5, v25
	v_not_b32_e32 v25, v113
	v_ashrrev_i32_e32 v111, 31, v111
	s_wait_alu 0xfffd
	v_xor_b32_e32 v27, vcc_lo, v27
	v_cmp_gt_i32_e32 vcc_lo, 0, v113
	v_and_b32_e32 v5, v5, v26
	v_not_b32_e32 v26, v110
	v_ashrrev_i32_e32 v25, 31, v25
	s_wait_alu 0xf1ff
	v_xor_b32_e32 v111, s15, v111
	v_cmp_gt_i32_e64 s15, 0, v110
	v_and_b32_e32 v5, v5, v27
	v_ashrrev_i32_e32 v26, 31, v26
	s_wait_alu 0xfffd
	v_xor_b32_e32 v25, vcc_lo, v25
	v_mad_u32_u24 v27, v24, 36, v89
	v_mul_u32_u24_e32 v24, 36, v24
	v_and_b32_e32 v5, v5, v111
	s_wait_alu 0xf1ff
	v_xor_b32_e32 v26, s15, v26
	ds_load_b32 v110, v27 offset:1056
	v_add_nc_u32_e32 v113, v89, v24
	v_and_b32_e32 v5, v5, v25
	; wave barrier
	s_delay_alu instid0(VALU_DEP_1) | instskip(NEXT) | instid1(VALU_DEP_1)
	v_and_b32_e32 v5, v5, v26
	v_mbcnt_lo_u32_b32 v112, v5, 0
	v_cmp_ne_u32_e64 s15, 0, v5
	s_delay_alu instid0(VALU_DEP_2)
	v_cmp_eq_u32_e32 vcc_lo, 0, v112
	s_and_b32 s16, s15, vcc_lo
	s_wait_alu 0xfffe
	s_and_saveexec_b32 s15, s16
	s_cbranch_execz .LBB946_586
; %bb.585:                              ;   in Loop: Header=BB946_566 Depth=2
	s_wait_dscnt 0x0
	v_bcnt_u32_b32 v5, v5, v110
	ds_store_b32 v113, v5 offset:1056
.LBB946_586:                            ;   in Loop: Header=BB946_566 Depth=2
	s_wait_alu 0xfffe
	s_or_b32 exec_lo, exec_lo, s15
	v_lshrrev_b32_e32 v5, 16, v6
	; wave barrier
	s_delay_alu instid0(VALU_DEP_1) | instskip(NEXT) | instid1(VALU_DEP_1)
	v_xor_b32_e32 v111, 0x7fff, v5
	v_and_b32_e32 v5, 0xffff, v111
	s_delay_alu instid0(VALU_DEP_1) | instskip(NEXT) | instid1(VALU_DEP_1)
	v_lshrrev_b32_e32 v5, s45, v5
	v_and_b32_e32 v6, s42, v5
	s_delay_alu instid0(VALU_DEP_1)
	v_and_b32_e32 v5, 1, v6
	v_lshlrev_b32_e32 v24, 30, v6
	v_lshlrev_b32_e32 v25, 29, v6
	;; [unrolled: 1-line block ×4, first 2 shown]
	v_add_co_u32 v5, s15, v5, -1
	s_wait_alu 0xf1ff
	v_cndmask_b32_e64 v27, 0, 1, s15
	v_not_b32_e32 v117, v24
	v_cmp_gt_i32_e64 s15, 0, v24
	v_not_b32_e32 v24, v25
	v_lshlrev_b32_e32 v115, 26, v6
	v_cmp_ne_u32_e32 vcc_lo, 0, v27
	v_ashrrev_i32_e32 v117, 31, v117
	v_lshlrev_b32_e32 v116, 25, v6
	v_ashrrev_i32_e32 v24, 31, v24
	v_lshlrev_b32_e32 v27, 24, v6
	s_wait_alu 0xfffd
	v_xor_b32_e32 v5, vcc_lo, v5
	v_cmp_gt_i32_e32 vcc_lo, 0, v25
	v_not_b32_e32 v25, v26
	s_wait_alu 0xf1ff
	v_xor_b32_e32 v117, s15, v117
	v_cmp_gt_i32_e64 s15, 0, v26
	v_and_b32_e32 v5, exec_lo, v5
	v_not_b32_e32 v26, v114
	v_ashrrev_i32_e32 v25, 31, v25
	s_wait_alu 0xfffd
	v_xor_b32_e32 v24, vcc_lo, v24
	v_cmp_gt_i32_e32 vcc_lo, 0, v114
	v_and_b32_e32 v5, v5, v117
	v_not_b32_e32 v114, v115
	v_ashrrev_i32_e32 v26, 31, v26
	s_wait_alu 0xf1ff
	v_xor_b32_e32 v25, s15, v25
	v_cmp_gt_i32_e64 s15, 0, v115
	v_and_b32_e32 v5, v5, v24
	v_not_b32_e32 v24, v116
	v_ashrrev_i32_e32 v114, 31, v114
	s_wait_alu 0xfffd
	v_xor_b32_e32 v26, vcc_lo, v26
	v_cmp_gt_i32_e32 vcc_lo, 0, v116
	v_and_b32_e32 v5, v5, v25
	v_not_b32_e32 v25, v27
	v_ashrrev_i32_e32 v24, 31, v24
	s_wait_alu 0xf1ff
	v_xor_b32_e32 v114, s15, v114
	v_cmp_gt_i32_e64 s15, 0, v27
	v_and_b32_e32 v5, v5, v26
	v_ashrrev_i32_e32 v25, 31, v25
	s_wait_alu 0xfffd
	v_xor_b32_e32 v24, vcc_lo, v24
	v_mad_u32_u24 v26, v6, 36, v89
	v_mul_u32_u24_e32 v6, 36, v6
	v_and_b32_e32 v5, v5, v114
	s_wait_alu 0xf1ff
	v_xor_b32_e32 v25, s15, v25
	ds_load_b32 v114, v26 offset:1056
	v_add_nc_u32_e32 v117, v89, v6
	v_and_b32_e32 v5, v5, v24
	; wave barrier
	s_delay_alu instid0(VALU_DEP_1) | instskip(NEXT) | instid1(VALU_DEP_1)
	v_and_b32_e32 v5, v5, v25
	v_mbcnt_lo_u32_b32 v116, v5, 0
	v_cmp_ne_u32_e64 s15, 0, v5
	s_delay_alu instid0(VALU_DEP_2)
	v_cmp_eq_u32_e32 vcc_lo, 0, v116
	s_and_b32 s16, s15, vcc_lo
	s_wait_alu 0xfffe
	s_and_saveexec_b32 s15, s16
	s_cbranch_execz .LBB946_588
; %bb.587:                              ;   in Loop: Header=BB946_566 Depth=2
	s_wait_dscnt 0x0
	v_bcnt_u32_b32 v5, v5, v114
	ds_store_b32 v117, v5 offset:1056
.LBB946_588:                            ;   in Loop: Header=BB946_566 Depth=2
	s_wait_alu 0xfffe
	s_or_b32 exec_lo, exec_lo, s15
	v_xor_b32_e32 v115, 0x7fff, v7
	; wave barrier
	s_delay_alu instid0(VALU_DEP_1) | instskip(NEXT) | instid1(VALU_DEP_1)
	v_and_b32_e32 v5, 0xffff, v115
	v_lshrrev_b32_e32 v5, s45, v5
	s_delay_alu instid0(VALU_DEP_1) | instskip(NEXT) | instid1(VALU_DEP_1)
	v_and_b32_e32 v6, s42, v5
	v_and_b32_e32 v5, 1, v6
	v_lshlrev_b32_e32 v24, 30, v6
	v_lshlrev_b32_e32 v25, 29, v6
	;; [unrolled: 1-line block ×4, first 2 shown]
	v_add_co_u32 v5, s15, v5, -1
	s_wait_alu 0xf1ff
	v_cndmask_b32_e64 v27, 0, 1, s15
	v_not_b32_e32 v121, v24
	v_cmp_gt_i32_e64 s15, 0, v24
	v_not_b32_e32 v24, v25
	v_lshlrev_b32_e32 v119, 26, v6
	v_cmp_ne_u32_e32 vcc_lo, 0, v27
	v_ashrrev_i32_e32 v121, 31, v121
	v_lshlrev_b32_e32 v120, 25, v6
	v_ashrrev_i32_e32 v24, 31, v24
	v_lshlrev_b32_e32 v27, 24, v6
	s_wait_alu 0xfffd
	v_xor_b32_e32 v5, vcc_lo, v5
	v_cmp_gt_i32_e32 vcc_lo, 0, v25
	v_not_b32_e32 v25, v26
	s_wait_alu 0xf1ff
	v_xor_b32_e32 v121, s15, v121
	v_cmp_gt_i32_e64 s15, 0, v26
	v_and_b32_e32 v5, exec_lo, v5
	v_not_b32_e32 v26, v118
	v_ashrrev_i32_e32 v25, 31, v25
	s_wait_alu 0xfffd
	v_xor_b32_e32 v24, vcc_lo, v24
	v_cmp_gt_i32_e32 vcc_lo, 0, v118
	v_and_b32_e32 v5, v5, v121
	v_not_b32_e32 v118, v119
	v_ashrrev_i32_e32 v26, 31, v26
	s_wait_alu 0xf1ff
	v_xor_b32_e32 v25, s15, v25
	v_cmp_gt_i32_e64 s15, 0, v119
	v_and_b32_e32 v5, v5, v24
	v_not_b32_e32 v24, v120
	v_ashrrev_i32_e32 v118, 31, v118
	s_wait_alu 0xfffd
	v_xor_b32_e32 v26, vcc_lo, v26
	v_cmp_gt_i32_e32 vcc_lo, 0, v120
	v_and_b32_e32 v5, v5, v25
	v_not_b32_e32 v25, v27
	v_ashrrev_i32_e32 v24, 31, v24
	s_wait_alu 0xf1ff
	v_xor_b32_e32 v118, s15, v118
	v_cmp_gt_i32_e64 s15, 0, v27
	v_and_b32_e32 v5, v5, v26
	v_ashrrev_i32_e32 v25, 31, v25
	s_wait_alu 0xfffd
	v_xor_b32_e32 v24, vcc_lo, v24
	v_mad_u32_u24 v26, v6, 36, v89
	v_mul_u32_u24_e32 v6, 36, v6
	v_and_b32_e32 v5, v5, v118
	s_wait_alu 0xf1ff
	v_xor_b32_e32 v25, s15, v25
	ds_load_b32 v118, v26 offset:1056
	v_add_nc_u32_e32 v121, v89, v6
	v_and_b32_e32 v5, v5, v24
	; wave barrier
	s_delay_alu instid0(VALU_DEP_1) | instskip(NEXT) | instid1(VALU_DEP_1)
	v_and_b32_e32 v5, v5, v25
	v_mbcnt_lo_u32_b32 v120, v5, 0
	v_cmp_ne_u32_e64 s15, 0, v5
	s_delay_alu instid0(VALU_DEP_2)
	v_cmp_eq_u32_e32 vcc_lo, 0, v120
	s_and_b32 s16, s15, vcc_lo
	s_wait_alu 0xfffe
	s_and_saveexec_b32 s15, s16
	s_cbranch_execz .LBB946_590
; %bb.589:                              ;   in Loop: Header=BB946_566 Depth=2
	s_wait_dscnt 0x0
	v_bcnt_u32_b32 v5, v5, v118
	ds_store_b32 v121, v5 offset:1056
.LBB946_590:                            ;   in Loop: Header=BB946_566 Depth=2
	s_wait_alu 0xfffe
	s_or_b32 exec_lo, exec_lo, s15
	v_lshrrev_b32_e32 v5, 16, v7
	; wave barrier
	s_delay_alu instid0(VALU_DEP_1) | instskip(NEXT) | instid1(VALU_DEP_1)
	v_xor_b32_e32 v119, 0x7fff, v5
	v_and_b32_e32 v5, 0xffff, v119
	s_delay_alu instid0(VALU_DEP_1) | instskip(NEXT) | instid1(VALU_DEP_1)
	v_lshrrev_b32_e32 v5, s45, v5
	v_and_b32_e32 v6, s42, v5
	s_delay_alu instid0(VALU_DEP_1)
	v_and_b32_e32 v5, 1, v6
	v_lshlrev_b32_e32 v7, 30, v6
	v_lshlrev_b32_e32 v24, 29, v6
	v_lshlrev_b32_e32 v25, 28, v6
	v_lshlrev_b32_e32 v27, 27, v6
	v_add_co_u32 v5, s15, v5, -1
	s_wait_alu 0xf1ff
	v_cndmask_b32_e64 v26, 0, 1, s15
	v_not_b32_e32 v124, v7
	v_cmp_gt_i32_e64 s15, 0, v7
	v_not_b32_e32 v7, v24
	v_lshlrev_b32_e32 v122, 26, v6
	v_cmp_ne_u32_e32 vcc_lo, 0, v26
	v_ashrrev_i32_e32 v124, 31, v124
	v_lshlrev_b32_e32 v123, 25, v6
	v_ashrrev_i32_e32 v7, 31, v7
	v_lshlrev_b32_e32 v26, 24, v6
	s_wait_alu 0xfffd
	v_xor_b32_e32 v5, vcc_lo, v5
	v_cmp_gt_i32_e32 vcc_lo, 0, v24
	v_not_b32_e32 v24, v25
	s_wait_alu 0xf1ff
	v_xor_b32_e32 v124, s15, v124
	v_cmp_gt_i32_e64 s15, 0, v25
	v_and_b32_e32 v5, exec_lo, v5
	v_not_b32_e32 v25, v27
	v_ashrrev_i32_e32 v24, 31, v24
	s_wait_alu 0xfffd
	v_xor_b32_e32 v7, vcc_lo, v7
	v_cmp_gt_i32_e32 vcc_lo, 0, v27
	v_and_b32_e32 v5, v5, v124
	v_not_b32_e32 v27, v122
	v_ashrrev_i32_e32 v25, 31, v25
	s_wait_alu 0xf1ff
	v_xor_b32_e32 v24, s15, v24
	v_cmp_gt_i32_e64 s15, 0, v122
	v_and_b32_e32 v5, v5, v7
	v_not_b32_e32 v7, v123
	v_ashrrev_i32_e32 v27, 31, v27
	s_wait_alu 0xfffd
	v_xor_b32_e32 v25, vcc_lo, v25
	v_cmp_gt_i32_e32 vcc_lo, 0, v123
	v_and_b32_e32 v5, v5, v24
	v_not_b32_e32 v24, v26
	v_ashrrev_i32_e32 v7, 31, v7
	s_wait_alu 0xf1ff
	v_xor_b32_e32 v27, s15, v27
	v_cmp_gt_i32_e64 s15, 0, v26
	v_and_b32_e32 v5, v5, v25
	v_ashrrev_i32_e32 v24, 31, v24
	s_wait_alu 0xfffd
	v_xor_b32_e32 v7, vcc_lo, v7
	v_mad_u32_u24 v25, v6, 36, v89
	v_mul_u32_u24_e32 v6, 36, v6
	v_and_b32_e32 v5, v5, v27
	s_wait_alu 0xf1ff
	v_xor_b32_e32 v24, s15, v24
	ds_load_b32 v122, v25 offset:1056
	v_add_nc_u32_e32 v125, v89, v6
	v_and_b32_e32 v5, v5, v7
	; wave barrier
	s_delay_alu instid0(VALU_DEP_1) | instskip(NEXT) | instid1(VALU_DEP_1)
	v_and_b32_e32 v5, v5, v24
	v_mbcnt_lo_u32_b32 v124, v5, 0
	v_cmp_ne_u32_e64 s15, 0, v5
	s_delay_alu instid0(VALU_DEP_2)
	v_cmp_eq_u32_e32 vcc_lo, 0, v124
	s_and_b32 s16, s15, vcc_lo
	s_wait_alu 0xfffe
	s_and_saveexec_b32 s15, s16
	s_cbranch_execz .LBB946_592
; %bb.591:                              ;   in Loop: Header=BB946_566 Depth=2
	s_wait_dscnt 0x0
	v_bcnt_u32_b32 v5, v5, v122
	ds_store_b32 v125, v5 offset:1056
.LBB946_592:                            ;   in Loop: Header=BB946_566 Depth=2
	s_wait_alu 0xfffe
	s_or_b32 exec_lo, exec_lo, s15
	v_xor_b32_e32 v123, 0x7fff, v8
	; wave barrier
	s_delay_alu instid0(VALU_DEP_1) | instskip(NEXT) | instid1(VALU_DEP_1)
	v_and_b32_e32 v5, 0xffff, v123
	v_lshrrev_b32_e32 v5, s45, v5
	s_delay_alu instid0(VALU_DEP_1) | instskip(NEXT) | instid1(VALU_DEP_1)
	v_and_b32_e32 v6, s42, v5
	v_and_b32_e32 v5, 1, v6
	v_lshlrev_b32_e32 v7, 30, v6
	v_lshlrev_b32_e32 v24, 29, v6
	;; [unrolled: 1-line block ×4, first 2 shown]
	v_add_co_u32 v5, s15, v5, -1
	s_wait_alu 0xf1ff
	v_cndmask_b32_e64 v26, 0, 1, s15
	v_not_b32_e32 v128, v7
	v_cmp_gt_i32_e64 s15, 0, v7
	v_not_b32_e32 v7, v24
	v_lshlrev_b32_e32 v126, 26, v6
	v_cmp_ne_u32_e32 vcc_lo, 0, v26
	v_ashrrev_i32_e32 v128, 31, v128
	v_lshlrev_b32_e32 v127, 25, v6
	v_ashrrev_i32_e32 v7, 31, v7
	v_lshlrev_b32_e32 v26, 24, v6
	s_wait_alu 0xfffd
	v_xor_b32_e32 v5, vcc_lo, v5
	v_cmp_gt_i32_e32 vcc_lo, 0, v24
	v_not_b32_e32 v24, v25
	s_wait_alu 0xf1ff
	v_xor_b32_e32 v128, s15, v128
	v_cmp_gt_i32_e64 s15, 0, v25
	v_and_b32_e32 v5, exec_lo, v5
	v_not_b32_e32 v25, v27
	v_ashrrev_i32_e32 v24, 31, v24
	s_wait_alu 0xfffd
	v_xor_b32_e32 v7, vcc_lo, v7
	v_cmp_gt_i32_e32 vcc_lo, 0, v27
	v_and_b32_e32 v5, v5, v128
	v_not_b32_e32 v27, v126
	v_ashrrev_i32_e32 v25, 31, v25
	s_wait_alu 0xf1ff
	v_xor_b32_e32 v24, s15, v24
	v_cmp_gt_i32_e64 s15, 0, v126
	v_and_b32_e32 v5, v5, v7
	v_not_b32_e32 v7, v127
	v_ashrrev_i32_e32 v27, 31, v27
	s_wait_alu 0xfffd
	v_xor_b32_e32 v25, vcc_lo, v25
	v_cmp_gt_i32_e32 vcc_lo, 0, v127
	v_and_b32_e32 v5, v5, v24
	v_not_b32_e32 v24, v26
	v_ashrrev_i32_e32 v7, 31, v7
	s_wait_alu 0xf1ff
	v_xor_b32_e32 v27, s15, v27
	v_cmp_gt_i32_e64 s15, 0, v26
	v_and_b32_e32 v5, v5, v25
	v_ashrrev_i32_e32 v24, 31, v24
	s_wait_alu 0xfffd
	v_xor_b32_e32 v7, vcc_lo, v7
	v_mad_u32_u24 v25, v6, 36, v89
	v_mul_u32_u24_e32 v6, 36, v6
	v_and_b32_e32 v5, v5, v27
	s_wait_alu 0xf1ff
	v_xor_b32_e32 v24, s15, v24
	ds_load_b32 v126, v25 offset:1056
	v_add_nc_u32_e32 v129, v89, v6
	v_and_b32_e32 v5, v5, v7
	; wave barrier
	s_delay_alu instid0(VALU_DEP_1) | instskip(NEXT) | instid1(VALU_DEP_1)
	v_and_b32_e32 v5, v5, v24
	v_mbcnt_lo_u32_b32 v127, v5, 0
	v_cmp_ne_u32_e64 s15, 0, v5
	s_delay_alu instid0(VALU_DEP_2)
	v_cmp_eq_u32_e32 vcc_lo, 0, v127
	s_and_b32 s16, s15, vcc_lo
	s_wait_alu 0xfffe
	s_and_saveexec_b32 s15, s16
	s_cbranch_execz .LBB946_594
; %bb.593:                              ;   in Loop: Header=BB946_566 Depth=2
	s_wait_dscnt 0x0
	v_bcnt_u32_b32 v5, v5, v126
	ds_store_b32 v129, v5 offset:1056
.LBB946_594:                            ;   in Loop: Header=BB946_566 Depth=2
	s_wait_alu 0xfffe
	s_or_b32 exec_lo, exec_lo, s15
	v_lshrrev_b32_e32 v5, 16, v8
	; wave barrier
	s_delay_alu instid0(VALU_DEP_1) | instskip(NEXT) | instid1(VALU_DEP_1)
	v_xor_b32_e32 v128, 0x7fff, v5
	v_and_b32_e32 v5, 0xffff, v128
	s_delay_alu instid0(VALU_DEP_1) | instskip(NEXT) | instid1(VALU_DEP_1)
	v_lshrrev_b32_e32 v5, s45, v5
	v_and_b32_e32 v6, s42, v5
	s_delay_alu instid0(VALU_DEP_1)
	v_and_b32_e32 v5, 1, v6
	v_lshlrev_b32_e32 v7, 30, v6
	v_lshlrev_b32_e32 v8, 29, v6
	;; [unrolled: 1-line block ×4, first 2 shown]
	v_add_co_u32 v5, s15, v5, -1
	s_wait_alu 0xf1ff
	v_cndmask_b32_e64 v25, 0, 1, s15
	v_not_b32_e32 v131, v7
	v_cmp_gt_i32_e64 s15, 0, v7
	v_not_b32_e32 v7, v8
	v_lshlrev_b32_e32 v27, 26, v6
	v_cmp_ne_u32_e32 vcc_lo, 0, v25
	v_ashrrev_i32_e32 v131, 31, v131
	v_lshlrev_b32_e32 v130, 25, v6
	v_ashrrev_i32_e32 v7, 31, v7
	v_lshlrev_b32_e32 v25, 24, v6
	s_wait_alu 0xfffd
	v_xor_b32_e32 v5, vcc_lo, v5
	v_cmp_gt_i32_e32 vcc_lo, 0, v8
	v_not_b32_e32 v8, v24
	s_wait_alu 0xf1ff
	v_xor_b32_e32 v131, s15, v131
	v_cmp_gt_i32_e64 s15, 0, v24
	v_and_b32_e32 v5, exec_lo, v5
	v_not_b32_e32 v24, v26
	v_ashrrev_i32_e32 v8, 31, v8
	s_wait_alu 0xfffd
	v_xor_b32_e32 v7, vcc_lo, v7
	v_cmp_gt_i32_e32 vcc_lo, 0, v26
	v_and_b32_e32 v5, v5, v131
	v_not_b32_e32 v26, v27
	v_ashrrev_i32_e32 v24, 31, v24
	s_wait_alu 0xf1ff
	v_xor_b32_e32 v8, s15, v8
	v_cmp_gt_i32_e64 s15, 0, v27
	v_and_b32_e32 v5, v5, v7
	v_not_b32_e32 v7, v130
	v_ashrrev_i32_e32 v26, 31, v26
	s_wait_alu 0xfffd
	v_xor_b32_e32 v24, vcc_lo, v24
	v_cmp_gt_i32_e32 vcc_lo, 0, v130
	v_and_b32_e32 v5, v5, v8
	v_not_b32_e32 v8, v25
	v_ashrrev_i32_e32 v7, 31, v7
	s_wait_alu 0xf1ff
	v_xor_b32_e32 v26, s15, v26
	v_cmp_gt_i32_e64 s15, 0, v25
	v_and_b32_e32 v5, v5, v24
	v_ashrrev_i32_e32 v8, 31, v8
	s_wait_alu 0xfffd
	v_xor_b32_e32 v7, vcc_lo, v7
	v_mad_u32_u24 v24, v6, 36, v89
	v_mul_u32_u24_e32 v6, 36, v6
	v_and_b32_e32 v5, v5, v26
	s_wait_alu 0xf1ff
	v_xor_b32_e32 v8, s15, v8
	ds_load_b32 v130, v24 offset:1056
	v_add_nc_u32_e32 v132, v89, v6
	v_and_b32_e32 v5, v5, v7
	; wave barrier
	s_delay_alu instid0(VALU_DEP_1) | instskip(NEXT) | instid1(VALU_DEP_1)
	v_and_b32_e32 v5, v5, v8
	v_mbcnt_lo_u32_b32 v131, v5, 0
	v_cmp_ne_u32_e64 s15, 0, v5
	s_delay_alu instid0(VALU_DEP_2)
	v_cmp_eq_u32_e32 vcc_lo, 0, v131
	s_and_b32 s16, s15, vcc_lo
	s_wait_alu 0xfffe
	s_and_saveexec_b32 s15, s16
	s_cbranch_execz .LBB946_596
; %bb.595:                              ;   in Loop: Header=BB946_566 Depth=2
	s_wait_dscnt 0x0
	v_bcnt_u32_b32 v5, v5, v130
	ds_store_b32 v132, v5 offset:1056
.LBB946_596:                            ;   in Loop: Header=BB946_566 Depth=2
	s_wait_alu 0xfffe
	s_or_b32 exec_lo, exec_lo, s15
	; wave barrier
	s_wait_loadcnt_dscnt 0x0
	s_barrier_signal -1
	s_barrier_wait -1
	global_inv scope:SCOPE_SE
	ds_load_2addr_b32 v[26:27], v102 offset1:1
	ds_load_2addr_b32 v[24:25], v103 offset1:1
	;; [unrolled: 1-line block ×4, first 2 shown]
	ds_load_b32 v133, v43 offset:1088
	s_wait_dscnt 0x3
	v_add3_u32 v134, v27, v26, v24
	s_wait_dscnt 0x2
	s_delay_alu instid0(VALU_DEP_1) | instskip(SKIP_1) | instid1(VALU_DEP_1)
	v_add3_u32 v134, v134, v25, v7
	s_wait_dscnt 0x1
	v_add3_u32 v134, v134, v8, v5
	s_wait_dscnt 0x0
	s_delay_alu instid0(VALU_DEP_1) | instskip(NEXT) | instid1(VALU_DEP_1)
	v_add3_u32 v133, v134, v6, v133
	v_mov_b32_dpp v134, v133 row_shr:1 row_mask:0xf bank_mask:0xf
	s_delay_alu instid0(VALU_DEP_1) | instskip(NEXT) | instid1(VALU_DEP_1)
	v_cndmask_b32_e64 v134, v134, 0, s0
	v_add_nc_u32_e32 v133, v134, v133
	s_delay_alu instid0(VALU_DEP_1) | instskip(NEXT) | instid1(VALU_DEP_1)
	v_mov_b32_dpp v134, v133 row_shr:2 row_mask:0xf bank_mask:0xf
	v_cndmask_b32_e64 v134, 0, v134, s1
	s_delay_alu instid0(VALU_DEP_1) | instskip(NEXT) | instid1(VALU_DEP_1)
	v_add_nc_u32_e32 v133, v133, v134
	v_mov_b32_dpp v134, v133 row_shr:4 row_mask:0xf bank_mask:0xf
	s_delay_alu instid0(VALU_DEP_1) | instskip(NEXT) | instid1(VALU_DEP_1)
	v_cndmask_b32_e64 v134, 0, v134, s9
	v_add_nc_u32_e32 v133, v133, v134
	s_delay_alu instid0(VALU_DEP_1) | instskip(NEXT) | instid1(VALU_DEP_1)
	v_mov_b32_dpp v134, v133 row_shr:8 row_mask:0xf bank_mask:0xf
	v_cndmask_b32_e64 v134, 0, v134, s10
	s_delay_alu instid0(VALU_DEP_1) | instskip(SKIP_3) | instid1(VALU_DEP_1)
	v_add_nc_u32_e32 v133, v133, v134
	ds_swizzle_b32 v134, v133 offset:swizzle(BROADCAST,32,15)
	s_wait_dscnt 0x0
	v_cndmask_b32_e64 v134, v134, 0, s11
	v_add_nc_u32_e32 v133, v133, v134
	s_and_saveexec_b32 s15, s3
; %bb.597:                              ;   in Loop: Header=BB946_566 Depth=2
	ds_store_b32 v38, v133 offset:1024
; %bb.598:                              ;   in Loop: Header=BB946_566 Depth=2
	s_wait_alu 0xfffe
	s_or_b32 exec_lo, exec_lo, s15
	s_wait_loadcnt_dscnt 0x0
	s_barrier_signal -1
	s_barrier_wait -1
	global_inv scope:SCOPE_SE
	s_and_saveexec_b32 s15, s4
	s_cbranch_execz .LBB946_600
; %bb.599:                              ;   in Loop: Header=BB946_566 Depth=2
	ds_load_b32 v134, v47 offset:1024
	s_wait_dscnt 0x0
	v_mov_b32_dpp v135, v134 row_shr:1 row_mask:0xf bank_mask:0xf
	s_delay_alu instid0(VALU_DEP_1) | instskip(NEXT) | instid1(VALU_DEP_1)
	v_cndmask_b32_e64 v135, v135, 0, s12
	v_add_nc_u32_e32 v134, v135, v134
	s_delay_alu instid0(VALU_DEP_1) | instskip(NEXT) | instid1(VALU_DEP_1)
	v_mov_b32_dpp v135, v134 row_shr:2 row_mask:0xf bank_mask:0xf
	v_cndmask_b32_e64 v135, 0, v135, s13
	s_delay_alu instid0(VALU_DEP_1) | instskip(NEXT) | instid1(VALU_DEP_1)
	v_add_nc_u32_e32 v134, v134, v135
	v_mov_b32_dpp v135, v134 row_shr:4 row_mask:0xf bank_mask:0xf
	s_delay_alu instid0(VALU_DEP_1) | instskip(NEXT) | instid1(VALU_DEP_1)
	v_cndmask_b32_e64 v135, 0, v135, s14
	v_add_nc_u32_e32 v134, v134, v135
	ds_store_b32 v47, v134 offset:1024
.LBB946_600:                            ;   in Loop: Header=BB946_566 Depth=2
	s_wait_alu 0xfffe
	s_or_b32 exec_lo, exec_lo, s15
	v_mov_b32_e32 v134, 0
	s_wait_loadcnt_dscnt 0x0
	s_barrier_signal -1
	s_barrier_wait -1
	global_inv scope:SCOPE_SE
	s_and_saveexec_b32 s15, s5
; %bb.601:                              ;   in Loop: Header=BB946_566 Depth=2
	ds_load_b32 v134, v38 offset:1020
; %bb.602:                              ;   in Loop: Header=BB946_566 Depth=2
	s_wait_alu 0xfffe
	s_or_b32 exec_lo, exec_lo, s15
	s_wait_dscnt 0x0
	v_add_nc_u32_e32 v133, v134, v133
	ds_bpermute_b32 v133, v84, v133
	s_wait_dscnt 0x0
	v_cndmask_b32_e64 v133, v133, v134, s8
	s_delay_alu instid0(VALU_DEP_1) | instskip(NEXT) | instid1(VALU_DEP_1)
	v_cndmask_b32_e64 v133, v133, 0, s6
	v_add_nc_u32_e32 v26, v133, v26
	s_delay_alu instid0(VALU_DEP_1) | instskip(NEXT) | instid1(VALU_DEP_1)
	v_add_nc_u32_e32 v27, v26, v27
	v_add_nc_u32_e32 v24, v27, v24
	s_delay_alu instid0(VALU_DEP_1) | instskip(NEXT) | instid1(VALU_DEP_1)
	v_add_nc_u32_e32 v25, v24, v25
	;; [unrolled: 3-line block ×3, first 2 shown]
	v_add_nc_u32_e32 v5, v8, v5
	s_delay_alu instid0(VALU_DEP_1)
	v_add_nc_u32_e32 v6, v5, v6
	ds_store_2addr_b32 v101, v8, v5 offset1:1
	ds_store_2addr_b32 v102, v133, v26 offset1:1
	;; [unrolled: 1-line block ×4, first 2 shown]
	ds_store_b32 v43, v6 offset:1088
	s_wait_loadcnt_dscnt 0x0
	s_barrier_signal -1
	s_barrier_wait -1
	global_inv scope:SCOPE_SE
	ds_load_b32 v8, v105 offset:1056
	ds_load_b32 v24, v109 offset:1056
	;; [unrolled: 1-line block ×9, first 2 shown]
	v_mov_b32_e32 v7, 0x800
	s_and_saveexec_b32 s15, s7
; %bb.603:                              ;   in Loop: Header=BB946_566 Depth=2
	ds_load_b32 v7, v43 offset:1092
; %bb.604:                              ;   in Loop: Header=BB946_566 Depth=2
	s_wait_alu 0xfffe
	s_or_b32 exec_lo, exec_lo, s15
	s_wait_loadcnt_dscnt 0x0
	s_barrier_signal -1
	s_barrier_wait -1
	global_inv scope:SCOPE_SE
	s_and_saveexec_b32 s15, s2
	s_cbranch_execz .LBB946_606
; %bb.605:                              ;   in Loop: Header=BB946_566 Depth=2
	ds_load_b32 v102, v28
	s_wait_dscnt 0x0
	v_sub_nc_u32_e32 v101, v102, v101
	ds_store_b32 v28, v101
.LBB946_606:                            ;   in Loop: Header=BB946_566 Depth=2
	s_wait_alu 0xfffe
	s_or_b32 exec_lo, exec_lo, s15
	v_add_nc_u32_e32 v102, v8, v99
	v_add3_u32 v101, v107, v106, v24
	v_add3_u32 v99, v112, v110, v25
	;; [unrolled: 1-line block ×4, first 2 shown]
	v_lshlrev_b32_e32 v103, 1, v102
	v_add3_u32 v24, v120, v118, v27
	v_lshlrev_b32_e32 v104, 1, v101
	v_lshlrev_b32_e32 v105, 1, v99
	v_add3_u32 v27, v127, v126, v5
	v_add3_u32 v26, v131, v130, v6
	ds_store_b16 v103, v0 offset:1024
	ds_store_b16 v104, v100 offset:1024
	;; [unrolled: 1-line block ×3, first 2 shown]
	v_lshlrev_b32_e32 v0, 1, v25
	v_cmp_lt_u32_e32 vcc_lo, v13, v98
	v_lshlrev_b32_e32 v5, 1, v24
	v_lshlrev_b32_e32 v6, 1, v8
	;; [unrolled: 1-line block ×4, first 2 shown]
	ds_store_b16 v0, v111 offset:1024
	ds_store_b16 v5, v115 offset:1024
	;; [unrolled: 1-line block ×5, first 2 shown]
	s_wait_loadcnt_dscnt 0x0
	s_barrier_signal -1
	s_barrier_wait -1
	global_inv scope:SCOPE_SE
	s_and_saveexec_b32 s16, vcc_lo
	s_cbranch_execnz .LBB946_643
; %bb.607:                              ;   in Loop: Header=BB946_566 Depth=2
	s_wait_alu 0xfffe
	s_or_b32 exec_lo, exec_lo, s16
	v_cmp_lt_u32_e64 s15, v29, v98
	s_and_saveexec_b32 s17, s15
	s_cbranch_execnz .LBB946_644
.LBB946_608:                            ;   in Loop: Header=BB946_566 Depth=2
	s_wait_alu 0xfffe
	s_or_b32 exec_lo, exec_lo, s17
	v_cmp_lt_u32_e64 s16, v30, v98
	s_and_saveexec_b32 s18, s16
	s_cbranch_execnz .LBB946_645
.LBB946_609:                            ;   in Loop: Header=BB946_566 Depth=2
	s_wait_alu 0xfffe
	s_or_b32 exec_lo, exec_lo, s18
	v_cmp_lt_u32_e64 s17, v31, v98
	s_and_saveexec_b32 s19, s17
	s_cbranch_execnz .LBB946_646
.LBB946_610:                            ;   in Loop: Header=BB946_566 Depth=2
	s_wait_alu 0xfffe
	s_or_b32 exec_lo, exec_lo, s19
	v_cmp_lt_u32_e64 s18, v34, v98
	s_and_saveexec_b32 s20, s18
	s_cbranch_execnz .LBB946_647
.LBB946_611:                            ;   in Loop: Header=BB946_566 Depth=2
	s_wait_alu 0xfffe
	s_or_b32 exec_lo, exec_lo, s20
	v_cmp_lt_u32_e64 s19, v35, v98
	s_and_saveexec_b32 s21, s19
	s_cbranch_execnz .LBB946_648
.LBB946_612:                            ;   in Loop: Header=BB946_566 Depth=2
	s_wait_alu 0xfffe
	s_or_b32 exec_lo, exec_lo, s21
	v_cmp_lt_u32_e64 s20, v36, v98
	s_and_saveexec_b32 s22, s20
	s_cbranch_execnz .LBB946_649
.LBB946_613:                            ;   in Loop: Header=BB946_566 Depth=2
	s_wait_alu 0xfffe
	s_or_b32 exec_lo, exec_lo, s22
	v_cmp_lt_u32_e64 s21, v37, v98
	s_and_saveexec_b32 s48, s21
	s_cbranch_execz .LBB946_615
.LBB946_614:                            ;   in Loop: Header=BB946_566 Depth=2
	ds_load_u16 v100, v48 offset:4608
	s_wait_dscnt 0x0
	v_and_b32_e32 v0, 0xffff, v100
	s_delay_alu instid0(VALU_DEP_1) | instskip(NEXT) | instid1(VALU_DEP_1)
	v_lshrrev_b32_e32 v0, s45, v0
	v_and_b32_e32 v0, s42, v0
	s_delay_alu instid0(VALU_DEP_1) | instskip(SKIP_3) | instid1(VALU_DEP_1)
	v_lshlrev_b32_e32 v0, 2, v0
	ds_load_b32 v0, v0
	s_wait_dscnt 0x0
	v_add_nc_u32_e32 v0, v0, v37
	v_lshlrev_b64_e32 v[5:6], 1, v[0:1]
	v_xor_b32_e32 v0, 0x7fff, v100
	s_delay_alu instid0(VALU_DEP_2) | instskip(SKIP_1) | instid1(VALU_DEP_3)
	v_add_co_u32 v5, s22, s40, v5
	s_wait_alu 0xf1ff
	v_add_co_ci_u32_e64 v6, null, s41, v6, s22
	global_store_b16 v[5:6], v0, off
.LBB946_615:                            ;   in Loop: Header=BB946_566 Depth=2
	s_wait_alu 0xfffe
	s_or_b32 exec_lo, exec_lo, s48
	s_lshl_b64 s[48:49], s[30:31], 3
	s_wait_alu 0xfffe
	v_add_co_u32 v5, s22, v85, s48
	s_wait_alu 0xf1ff
	v_add_co_ci_u32_e64 v6, null, s49, v86, s22
	v_cmp_lt_u32_e64 s22, v67, v98
	s_and_saveexec_b32 s30, s22
	s_wait_alu 0xfffe
	s_xor_b32 s22, exec_lo, s30
	s_cbranch_execnz .LBB946_650
; %bb.616:                              ;   in Loop: Header=BB946_566 Depth=2
	s_wait_alu 0xfffe
	s_or_b32 exec_lo, exec_lo, s22
	s_delay_alu instid0(SALU_CYCLE_1)
	s_mov_b32 s30, exec_lo
	v_cmpx_lt_u32_e64 v71, v98
	s_cbranch_execnz .LBB946_651
.LBB946_617:                            ;   in Loop: Header=BB946_566 Depth=2
	s_wait_alu 0xfffe
	s_or_b32 exec_lo, exec_lo, s30
	s_delay_alu instid0(SALU_CYCLE_1)
	s_mov_b32 s30, exec_lo
	v_cmpx_lt_u32_e64 v72, v98
	s_cbranch_execnz .LBB946_652
.LBB946_618:                            ;   in Loop: Header=BB946_566 Depth=2
	s_wait_alu 0xfffe
	s_or_b32 exec_lo, exec_lo, s30
	s_delay_alu instid0(SALU_CYCLE_1)
	s_mov_b32 s30, exec_lo
	v_cmpx_lt_u32_e64 v73, v98
	s_cbranch_execnz .LBB946_653
.LBB946_619:                            ;   in Loop: Header=BB946_566 Depth=2
	s_wait_alu 0xfffe
	s_or_b32 exec_lo, exec_lo, s30
	s_delay_alu instid0(SALU_CYCLE_1)
	s_mov_b32 s30, exec_lo
	v_cmpx_lt_u32_e64 v74, v98
	s_cbranch_execnz .LBB946_654
.LBB946_620:                            ;   in Loop: Header=BB946_566 Depth=2
	s_wait_alu 0xfffe
	s_or_b32 exec_lo, exec_lo, s30
	s_delay_alu instid0(SALU_CYCLE_1)
	s_mov_b32 s30, exec_lo
	v_cmpx_lt_u32_e64 v75, v98
	s_cbranch_execnz .LBB946_655
.LBB946_621:                            ;   in Loop: Header=BB946_566 Depth=2
	s_wait_alu 0xfffe
	s_or_b32 exec_lo, exec_lo, s30
	s_delay_alu instid0(SALU_CYCLE_1)
	s_mov_b32 s30, exec_lo
	v_cmpx_lt_u32_e64 v76, v98
	s_cbranch_execnz .LBB946_656
.LBB946_622:                            ;   in Loop: Header=BB946_566 Depth=2
	s_wait_alu 0xfffe
	s_or_b32 exec_lo, exec_lo, s30
	s_delay_alu instid0(SALU_CYCLE_1)
	s_mov_b32 s30, exec_lo
	v_cmpx_lt_u32_e64 v77, v98
	s_cbranch_execnz .LBB946_657
.LBB946_623:                            ;   in Loop: Header=BB946_566 Depth=2
	s_wait_alu 0xfffe
	s_or_b32 exec_lo, exec_lo, s30
	s_and_saveexec_b32 s22, vcc_lo
	s_cbranch_execnz .LBB946_658
.LBB946_624:                            ;   in Loop: Header=BB946_566 Depth=2
	s_wait_alu 0xfffe
	s_or_b32 exec_lo, exec_lo, s22
	s_and_saveexec_b32 s22, s15
	s_cbranch_execnz .LBB946_659
.LBB946_625:                            ;   in Loop: Header=BB946_566 Depth=2
	s_wait_alu 0xfffe
	s_or_b32 exec_lo, exec_lo, s22
	s_and_saveexec_b32 s22, s16
	s_cbranch_execnz .LBB946_660
.LBB946_626:                            ;   in Loop: Header=BB946_566 Depth=2
	s_wait_alu 0xfffe
	s_or_b32 exec_lo, exec_lo, s22
	s_and_saveexec_b32 s22, s17
	s_cbranch_execnz .LBB946_661
.LBB946_627:                            ;   in Loop: Header=BB946_566 Depth=2
	s_wait_alu 0xfffe
	s_or_b32 exec_lo, exec_lo, s22
	s_and_saveexec_b32 s22, s18
	s_cbranch_execnz .LBB946_662
.LBB946_628:                            ;   in Loop: Header=BB946_566 Depth=2
	s_wait_alu 0xfffe
	s_or_b32 exec_lo, exec_lo, s22
	s_and_saveexec_b32 s22, s19
	s_cbranch_execnz .LBB946_663
.LBB946_629:                            ;   in Loop: Header=BB946_566 Depth=2
	s_wait_alu 0xfffe
	s_or_b32 exec_lo, exec_lo, s22
	s_and_saveexec_b32 s22, s20
	s_cbranch_execnz .LBB946_664
.LBB946_630:                            ;   in Loop: Header=BB946_566 Depth=2
	s_wait_alu 0xfffe
	s_or_b32 exec_lo, exec_lo, s22
	s_and_saveexec_b32 s22, s21
	s_cbranch_execz .LBB946_632
.LBB946_631:                            ;   in Loop: Header=BB946_566 Depth=2
	ds_load_u16 v0, v48 offset:4608
	s_wait_dscnt 0x0
	v_lshrrev_b32_e32 v0, s45, v0
	s_delay_alu instid0(VALU_DEP_1)
	v_and_b32_e32 v90, s42, v0
.LBB946_632:                            ;   in Loop: Header=BB946_566 Depth=2
	s_wait_alu 0xfffe
	s_or_b32 exec_lo, exec_lo, s22
	v_lshlrev_b32_e32 v0, 3, v102
	v_lshlrev_b32_e32 v5, 3, v101
	;; [unrolled: 1-line block ×3, first 2 shown]
	s_wait_loadcnt 0x0
	s_wait_storecnt 0x0
	s_barrier_signal -1
	s_barrier_wait -1
	global_inv scope:SCOPE_SE
	ds_store_b64 v0, v[22:23] offset:1024
	ds_store_b64 v5, v[20:21] offset:1024
	;; [unrolled: 1-line block ×3, first 2 shown]
	v_lshlrev_b32_e32 v0, 3, v25
	v_lshlrev_b32_e32 v5, 3, v24
	;; [unrolled: 1-line block ×5, first 2 shown]
	ds_store_b64 v0, v[16:17] offset:1024
	ds_store_b64 v5, v[14:15] offset:1024
	;; [unrolled: 1-line block ×5, first 2 shown]
	v_add_nc_u32_e32 v5, v48, v49
	s_wait_loadcnt_dscnt 0x0
	s_barrier_signal -1
	s_barrier_wait -1
	global_inv scope:SCOPE_SE
	s_and_saveexec_b32 s22, vcc_lo
	s_cbranch_execnz .LBB946_665
; %bb.633:                              ;   in Loop: Header=BB946_566 Depth=2
	s_wait_alu 0xfffe
	s_or_b32 exec_lo, exec_lo, s22
	s_and_saveexec_b32 s22, s15
	s_cbranch_execnz .LBB946_666
.LBB946_634:                            ;   in Loop: Header=BB946_566 Depth=2
	s_wait_alu 0xfffe
	s_or_b32 exec_lo, exec_lo, s22
	s_and_saveexec_b32 s15, s16
	s_cbranch_execnz .LBB946_667
.LBB946_635:                            ;   in Loop: Header=BB946_566 Depth=2
	s_wait_alu 0xfffe
	s_or_b32 exec_lo, exec_lo, s15
	s_and_saveexec_b32 s15, s17
	s_cbranch_execnz .LBB946_668
.LBB946_636:                            ;   in Loop: Header=BB946_566 Depth=2
	s_wait_alu 0xfffe
	s_or_b32 exec_lo, exec_lo, s15
	s_and_saveexec_b32 s15, s18
	s_cbranch_execnz .LBB946_669
.LBB946_637:                            ;   in Loop: Header=BB946_566 Depth=2
	s_wait_alu 0xfffe
	s_or_b32 exec_lo, exec_lo, s15
	s_and_saveexec_b32 s15, s19
	s_cbranch_execnz .LBB946_670
.LBB946_638:                            ;   in Loop: Header=BB946_566 Depth=2
	s_wait_alu 0xfffe
	s_or_b32 exec_lo, exec_lo, s15
	s_and_saveexec_b32 s15, s20
	s_cbranch_execnz .LBB946_671
.LBB946_639:                            ;   in Loop: Header=BB946_566 Depth=2
	s_wait_alu 0xfffe
	s_or_b32 exec_lo, exec_lo, s15
	s_and_saveexec_b32 s15, s21
	s_cbranch_execz .LBB946_641
.LBB946_640:                            ;   in Loop: Header=BB946_566 Depth=2
	v_lshlrev_b32_e32 v0, 2, v90
	ds_load_b32 v0, v0
	ds_load_b64 v[5:6], v5 offset:15360
	s_wait_dscnt 0x1
	v_add_nc_u32_e32 v0, v0, v37
	s_delay_alu instid0(VALU_DEP_1) | instskip(NEXT) | instid1(VALU_DEP_1)
	v_lshlrev_b64_e32 v[24:25], 3, v[0:1]
	v_add_co_u32 v24, vcc_lo, s26, v24
	s_wait_alu 0xfffd
	s_delay_alu instid0(VALU_DEP_2)
	v_add_co_ci_u32_e64 v25, null, s27, v25, vcc_lo
	s_wait_dscnt 0x0
	global_store_b64 v[24:25], v[5:6], off
.LBB946_641:                            ;   in Loop: Header=BB946_566 Depth=2
	s_wait_alu 0xfffe
	s_or_b32 exec_lo, exec_lo, s15
	s_wait_loadcnt 0x0
	s_wait_storecnt 0x0
	s_barrier_signal -1
	s_barrier_wait -1
	global_inv scope:SCOPE_SE
	s_and_saveexec_b32 s15, s2
	s_cbranch_execz .LBB946_565
; %bb.642:                              ;   in Loop: Header=BB946_566 Depth=2
	ds_load_b32 v0, v28
	s_wait_dscnt 0x0
	v_add_nc_u32_e32 v0, v0, v7
	ds_store_b32 v28, v0
	s_branch .LBB946_565
.LBB946_643:                            ;   in Loop: Header=BB946_566 Depth=2
	ds_load_u16 v100, v48 offset:1024
	s_wait_dscnt 0x0
	v_and_b32_e32 v0, 0xffff, v100
	s_delay_alu instid0(VALU_DEP_1) | instskip(NEXT) | instid1(VALU_DEP_1)
	v_lshrrev_b32_e32 v0, s45, v0
	v_and_b32_e32 v0, s42, v0
	s_delay_alu instid0(VALU_DEP_1) | instskip(SKIP_3) | instid1(VALU_DEP_1)
	v_lshlrev_b32_e32 v0, 2, v0
	ds_load_b32 v0, v0
	s_wait_dscnt 0x0
	v_add_nc_u32_e32 v0, v0, v13
	v_lshlrev_b64_e32 v[5:6], 1, v[0:1]
	v_xor_b32_e32 v0, 0x7fff, v100
	s_delay_alu instid0(VALU_DEP_2) | instskip(SKIP_1) | instid1(VALU_DEP_3)
	v_add_co_u32 v5, s15, s40, v5
	s_wait_alu 0xf1ff
	v_add_co_ci_u32_e64 v6, null, s41, v6, s15
	global_store_b16 v[5:6], v0, off
	s_wait_alu 0xfffe
	s_or_b32 exec_lo, exec_lo, s16
	v_cmp_lt_u32_e64 s15, v29, v98
	s_and_saveexec_b32 s17, s15
	s_cbranch_execz .LBB946_608
.LBB946_644:                            ;   in Loop: Header=BB946_566 Depth=2
	ds_load_u16 v100, v48 offset:1536
	s_wait_dscnt 0x0
	v_and_b32_e32 v0, 0xffff, v100
	s_delay_alu instid0(VALU_DEP_1) | instskip(NEXT) | instid1(VALU_DEP_1)
	v_lshrrev_b32_e32 v0, s45, v0
	v_and_b32_e32 v0, s42, v0
	s_delay_alu instid0(VALU_DEP_1) | instskip(SKIP_3) | instid1(VALU_DEP_1)
	v_lshlrev_b32_e32 v0, 2, v0
	ds_load_b32 v0, v0
	s_wait_dscnt 0x0
	v_add_nc_u32_e32 v0, v0, v29
	v_lshlrev_b64_e32 v[5:6], 1, v[0:1]
	v_xor_b32_e32 v0, 0x7fff, v100
	s_delay_alu instid0(VALU_DEP_2) | instskip(SKIP_1) | instid1(VALU_DEP_3)
	v_add_co_u32 v5, s16, s40, v5
	s_wait_alu 0xf1ff
	v_add_co_ci_u32_e64 v6, null, s41, v6, s16
	global_store_b16 v[5:6], v0, off
	s_wait_alu 0xfffe
	s_or_b32 exec_lo, exec_lo, s17
	v_cmp_lt_u32_e64 s16, v30, v98
	s_and_saveexec_b32 s18, s16
	s_cbranch_execz .LBB946_609
.LBB946_645:                            ;   in Loop: Header=BB946_566 Depth=2
	ds_load_u16 v100, v48 offset:2048
	s_wait_dscnt 0x0
	v_and_b32_e32 v0, 0xffff, v100
	s_delay_alu instid0(VALU_DEP_1) | instskip(NEXT) | instid1(VALU_DEP_1)
	v_lshrrev_b32_e32 v0, s45, v0
	v_and_b32_e32 v0, s42, v0
	s_delay_alu instid0(VALU_DEP_1) | instskip(SKIP_3) | instid1(VALU_DEP_1)
	v_lshlrev_b32_e32 v0, 2, v0
	ds_load_b32 v0, v0
	s_wait_dscnt 0x0
	v_add_nc_u32_e32 v0, v0, v30
	v_lshlrev_b64_e32 v[5:6], 1, v[0:1]
	v_xor_b32_e32 v0, 0x7fff, v100
	s_delay_alu instid0(VALU_DEP_2) | instskip(SKIP_1) | instid1(VALU_DEP_3)
	v_add_co_u32 v5, s17, s40, v5
	s_wait_alu 0xf1ff
	v_add_co_ci_u32_e64 v6, null, s41, v6, s17
	global_store_b16 v[5:6], v0, off
	s_wait_alu 0xfffe
	s_or_b32 exec_lo, exec_lo, s18
	v_cmp_lt_u32_e64 s17, v31, v98
	s_and_saveexec_b32 s19, s17
	s_cbranch_execz .LBB946_610
.LBB946_646:                            ;   in Loop: Header=BB946_566 Depth=2
	ds_load_u16 v100, v48 offset:2560
	s_wait_dscnt 0x0
	v_and_b32_e32 v0, 0xffff, v100
	s_delay_alu instid0(VALU_DEP_1) | instskip(NEXT) | instid1(VALU_DEP_1)
	v_lshrrev_b32_e32 v0, s45, v0
	v_and_b32_e32 v0, s42, v0
	s_delay_alu instid0(VALU_DEP_1) | instskip(SKIP_3) | instid1(VALU_DEP_1)
	v_lshlrev_b32_e32 v0, 2, v0
	ds_load_b32 v0, v0
	s_wait_dscnt 0x0
	v_add_nc_u32_e32 v0, v0, v31
	v_lshlrev_b64_e32 v[5:6], 1, v[0:1]
	v_xor_b32_e32 v0, 0x7fff, v100
	s_delay_alu instid0(VALU_DEP_2) | instskip(SKIP_1) | instid1(VALU_DEP_3)
	v_add_co_u32 v5, s18, s40, v5
	s_wait_alu 0xf1ff
	v_add_co_ci_u32_e64 v6, null, s41, v6, s18
	global_store_b16 v[5:6], v0, off
	s_wait_alu 0xfffe
	s_or_b32 exec_lo, exec_lo, s19
	v_cmp_lt_u32_e64 s18, v34, v98
	s_and_saveexec_b32 s20, s18
	s_cbranch_execz .LBB946_611
.LBB946_647:                            ;   in Loop: Header=BB946_566 Depth=2
	ds_load_u16 v100, v48 offset:3072
	s_wait_dscnt 0x0
	v_and_b32_e32 v0, 0xffff, v100
	s_delay_alu instid0(VALU_DEP_1) | instskip(NEXT) | instid1(VALU_DEP_1)
	v_lshrrev_b32_e32 v0, s45, v0
	v_and_b32_e32 v0, s42, v0
	s_delay_alu instid0(VALU_DEP_1) | instskip(SKIP_3) | instid1(VALU_DEP_1)
	v_lshlrev_b32_e32 v0, 2, v0
	ds_load_b32 v0, v0
	s_wait_dscnt 0x0
	v_add_nc_u32_e32 v0, v0, v34
	v_lshlrev_b64_e32 v[5:6], 1, v[0:1]
	v_xor_b32_e32 v0, 0x7fff, v100
	s_delay_alu instid0(VALU_DEP_2) | instskip(SKIP_1) | instid1(VALU_DEP_3)
	v_add_co_u32 v5, s19, s40, v5
	s_wait_alu 0xf1ff
	v_add_co_ci_u32_e64 v6, null, s41, v6, s19
	global_store_b16 v[5:6], v0, off
	s_wait_alu 0xfffe
	s_or_b32 exec_lo, exec_lo, s20
	v_cmp_lt_u32_e64 s19, v35, v98
	s_and_saveexec_b32 s21, s19
	s_cbranch_execz .LBB946_612
.LBB946_648:                            ;   in Loop: Header=BB946_566 Depth=2
	ds_load_u16 v100, v48 offset:3584
	s_wait_dscnt 0x0
	v_and_b32_e32 v0, 0xffff, v100
	s_delay_alu instid0(VALU_DEP_1) | instskip(NEXT) | instid1(VALU_DEP_1)
	v_lshrrev_b32_e32 v0, s45, v0
	v_and_b32_e32 v0, s42, v0
	s_delay_alu instid0(VALU_DEP_1) | instskip(SKIP_3) | instid1(VALU_DEP_1)
	v_lshlrev_b32_e32 v0, 2, v0
	ds_load_b32 v0, v0
	s_wait_dscnt 0x0
	v_add_nc_u32_e32 v0, v0, v35
	v_lshlrev_b64_e32 v[5:6], 1, v[0:1]
	v_xor_b32_e32 v0, 0x7fff, v100
	s_delay_alu instid0(VALU_DEP_2) | instskip(SKIP_1) | instid1(VALU_DEP_3)
	v_add_co_u32 v5, s20, s40, v5
	s_wait_alu 0xf1ff
	v_add_co_ci_u32_e64 v6, null, s41, v6, s20
	global_store_b16 v[5:6], v0, off
	s_wait_alu 0xfffe
	s_or_b32 exec_lo, exec_lo, s21
	v_cmp_lt_u32_e64 s20, v36, v98
	s_and_saveexec_b32 s22, s20
	s_cbranch_execz .LBB946_613
.LBB946_649:                            ;   in Loop: Header=BB946_566 Depth=2
	ds_load_u16 v100, v48 offset:4096
	s_wait_dscnt 0x0
	v_and_b32_e32 v0, 0xffff, v100
	s_delay_alu instid0(VALU_DEP_1) | instskip(NEXT) | instid1(VALU_DEP_1)
	v_lshrrev_b32_e32 v0, s45, v0
	v_and_b32_e32 v0, s42, v0
	s_delay_alu instid0(VALU_DEP_1) | instskip(SKIP_3) | instid1(VALU_DEP_1)
	v_lshlrev_b32_e32 v0, 2, v0
	ds_load_b32 v0, v0
	s_wait_dscnt 0x0
	v_add_nc_u32_e32 v0, v0, v36
	v_lshlrev_b64_e32 v[5:6], 1, v[0:1]
	v_xor_b32_e32 v0, 0x7fff, v100
	s_delay_alu instid0(VALU_DEP_2) | instskip(SKIP_1) | instid1(VALU_DEP_3)
	v_add_co_u32 v5, s21, s40, v5
	s_wait_alu 0xf1ff
	v_add_co_ci_u32_e64 v6, null, s41, v6, s21
	global_store_b16 v[5:6], v0, off
	s_wait_alu 0xfffe
	s_or_b32 exec_lo, exec_lo, s22
	v_cmp_lt_u32_e64 s21, v37, v98
	s_and_saveexec_b32 s48, s21
	s_cbranch_execnz .LBB946_614
	s_branch .LBB946_615
.LBB946_650:                            ;   in Loop: Header=BB946_566 Depth=2
	global_load_b64 v[22:23], v[5:6], off
	s_wait_alu 0xfffe
	s_or_b32 exec_lo, exec_lo, s22
	s_delay_alu instid0(SALU_CYCLE_1)
	s_mov_b32 s30, exec_lo
	v_cmpx_lt_u32_e64 v71, v98
	s_cbranch_execz .LBB946_617
.LBB946_651:                            ;   in Loop: Header=BB946_566 Depth=2
	global_load_b64 v[20:21], v[5:6], off offset:256
	s_wait_alu 0xfffe
	s_or_b32 exec_lo, exec_lo, s30
	s_delay_alu instid0(SALU_CYCLE_1)
	s_mov_b32 s30, exec_lo
	v_cmpx_lt_u32_e64 v72, v98
	s_cbranch_execz .LBB946_618
.LBB946_652:                            ;   in Loop: Header=BB946_566 Depth=2
	global_load_b64 v[18:19], v[5:6], off offset:512
	s_wait_alu 0xfffe
	s_or_b32 exec_lo, exec_lo, s30
	s_delay_alu instid0(SALU_CYCLE_1)
	s_mov_b32 s30, exec_lo
	v_cmpx_lt_u32_e64 v73, v98
	s_cbranch_execz .LBB946_619
.LBB946_653:                            ;   in Loop: Header=BB946_566 Depth=2
	global_load_b64 v[16:17], v[5:6], off offset:768
	s_wait_alu 0xfffe
	s_or_b32 exec_lo, exec_lo, s30
	s_delay_alu instid0(SALU_CYCLE_1)
	s_mov_b32 s30, exec_lo
	v_cmpx_lt_u32_e64 v74, v98
	s_cbranch_execz .LBB946_620
.LBB946_654:                            ;   in Loop: Header=BB946_566 Depth=2
	global_load_b64 v[14:15], v[5:6], off offset:1024
	s_wait_alu 0xfffe
	s_or_b32 exec_lo, exec_lo, s30
	s_delay_alu instid0(SALU_CYCLE_1)
	s_mov_b32 s30, exec_lo
	v_cmpx_lt_u32_e64 v75, v98
	s_cbranch_execz .LBB946_621
.LBB946_655:                            ;   in Loop: Header=BB946_566 Depth=2
	global_load_b64 v[11:12], v[5:6], off offset:1280
	s_wait_alu 0xfffe
	s_or_b32 exec_lo, exec_lo, s30
	s_delay_alu instid0(SALU_CYCLE_1)
	s_mov_b32 s30, exec_lo
	v_cmpx_lt_u32_e64 v76, v98
	s_cbranch_execz .LBB946_622
.LBB946_656:                            ;   in Loop: Header=BB946_566 Depth=2
	global_load_b64 v[9:10], v[5:6], off offset:1536
	s_wait_alu 0xfffe
	s_or_b32 exec_lo, exec_lo, s30
	s_delay_alu instid0(SALU_CYCLE_1)
	s_mov_b32 s30, exec_lo
	v_cmpx_lt_u32_e64 v77, v98
	s_cbranch_execz .LBB946_623
.LBB946_657:                            ;   in Loop: Header=BB946_566 Depth=2
	global_load_b64 v[2:3], v[5:6], off offset:1792
	s_wait_alu 0xfffe
	s_or_b32 exec_lo, exec_lo, s30
	s_and_saveexec_b32 s22, vcc_lo
	s_cbranch_execz .LBB946_624
.LBB946_658:                            ;   in Loop: Header=BB946_566 Depth=2
	ds_load_u16 v0, v48 offset:1024
	s_wait_dscnt 0x0
	v_lshrrev_b32_e32 v0, s45, v0
	s_delay_alu instid0(VALU_DEP_1)
	v_and_b32_e32 v97, s42, v0
	s_wait_alu 0xfffe
	s_or_b32 exec_lo, exec_lo, s22
	s_and_saveexec_b32 s22, s15
	s_cbranch_execz .LBB946_625
.LBB946_659:                            ;   in Loop: Header=BB946_566 Depth=2
	ds_load_u16 v0, v48 offset:1536
	s_wait_dscnt 0x0
	v_lshrrev_b32_e32 v0, s45, v0
	s_delay_alu instid0(VALU_DEP_1)
	v_and_b32_e32 v96, s42, v0
	s_wait_alu 0xfffe
	s_or_b32 exec_lo, exec_lo, s22
	s_and_saveexec_b32 s22, s16
	s_cbranch_execz .LBB946_626
.LBB946_660:                            ;   in Loop: Header=BB946_566 Depth=2
	ds_load_u16 v0, v48 offset:2048
	s_wait_dscnt 0x0
	v_lshrrev_b32_e32 v0, s45, v0
	s_delay_alu instid0(VALU_DEP_1)
	v_and_b32_e32 v95, s42, v0
	s_wait_alu 0xfffe
	s_or_b32 exec_lo, exec_lo, s22
	s_and_saveexec_b32 s22, s17
	s_cbranch_execz .LBB946_627
.LBB946_661:                            ;   in Loop: Header=BB946_566 Depth=2
	ds_load_u16 v0, v48 offset:2560
	s_wait_dscnt 0x0
	v_lshrrev_b32_e32 v0, s45, v0
	s_delay_alu instid0(VALU_DEP_1)
	v_and_b32_e32 v94, s42, v0
	s_wait_alu 0xfffe
	s_or_b32 exec_lo, exec_lo, s22
	s_and_saveexec_b32 s22, s18
	s_cbranch_execz .LBB946_628
.LBB946_662:                            ;   in Loop: Header=BB946_566 Depth=2
	ds_load_u16 v0, v48 offset:3072
	s_wait_dscnt 0x0
	v_lshrrev_b32_e32 v0, s45, v0
	s_delay_alu instid0(VALU_DEP_1)
	v_and_b32_e32 v93, s42, v0
	s_wait_alu 0xfffe
	s_or_b32 exec_lo, exec_lo, s22
	s_and_saveexec_b32 s22, s19
	s_cbranch_execz .LBB946_629
.LBB946_663:                            ;   in Loop: Header=BB946_566 Depth=2
	ds_load_u16 v0, v48 offset:3584
	s_wait_dscnt 0x0
	v_lshrrev_b32_e32 v0, s45, v0
	s_delay_alu instid0(VALU_DEP_1)
	v_and_b32_e32 v92, s42, v0
	s_wait_alu 0xfffe
	s_or_b32 exec_lo, exec_lo, s22
	s_and_saveexec_b32 s22, s20
	s_cbranch_execz .LBB946_630
.LBB946_664:                            ;   in Loop: Header=BB946_566 Depth=2
	ds_load_u16 v0, v48 offset:4096
	s_wait_dscnt 0x0
	v_lshrrev_b32_e32 v0, s45, v0
	s_delay_alu instid0(VALU_DEP_1)
	v_and_b32_e32 v91, s42, v0
	s_wait_alu 0xfffe
	s_or_b32 exec_lo, exec_lo, s22
	s_and_saveexec_b32 s22, s21
	s_cbranch_execnz .LBB946_631
	s_branch .LBB946_632
.LBB946_665:                            ;   in Loop: Header=BB946_566 Depth=2
	v_lshlrev_b32_e32 v0, 2, v97
	ds_load_b32 v0, v0
	ds_load_b64 v[24:25], v5 offset:1024
	s_wait_dscnt 0x1
	v_add_nc_u32_e32 v0, v0, v13
	s_delay_alu instid0(VALU_DEP_1) | instskip(NEXT) | instid1(VALU_DEP_1)
	v_lshlrev_b64_e32 v[26:27], 3, v[0:1]
	v_add_co_u32 v26, vcc_lo, s26, v26
	s_wait_alu 0xfffd
	s_delay_alu instid0(VALU_DEP_2)
	v_add_co_ci_u32_e64 v27, null, s27, v27, vcc_lo
	s_wait_dscnt 0x0
	global_store_b64 v[26:27], v[24:25], off
	s_wait_alu 0xfffe
	s_or_b32 exec_lo, exec_lo, s22
	s_and_saveexec_b32 s22, s15
	s_cbranch_execz .LBB946_634
.LBB946_666:                            ;   in Loop: Header=BB946_566 Depth=2
	v_lshlrev_b32_e32 v0, 2, v96
	ds_load_b32 v0, v0
	ds_load_b64 v[24:25], v5 offset:3072
	s_wait_dscnt 0x1
	v_add_nc_u32_e32 v0, v0, v29
	s_delay_alu instid0(VALU_DEP_1) | instskip(NEXT) | instid1(VALU_DEP_1)
	v_lshlrev_b64_e32 v[26:27], 3, v[0:1]
	v_add_co_u32 v26, vcc_lo, s26, v26
	s_wait_alu 0xfffd
	s_delay_alu instid0(VALU_DEP_2)
	v_add_co_ci_u32_e64 v27, null, s27, v27, vcc_lo
	s_wait_dscnt 0x0
	global_store_b64 v[26:27], v[24:25], off
	s_wait_alu 0xfffe
	s_or_b32 exec_lo, exec_lo, s22
	s_and_saveexec_b32 s15, s16
	s_cbranch_execz .LBB946_635
.LBB946_667:                            ;   in Loop: Header=BB946_566 Depth=2
	v_lshlrev_b32_e32 v0, 2, v95
	ds_load_b32 v0, v0
	ds_load_b64 v[24:25], v5 offset:5120
	s_wait_dscnt 0x1
	v_add_nc_u32_e32 v0, v0, v30
	s_delay_alu instid0(VALU_DEP_1) | instskip(NEXT) | instid1(VALU_DEP_1)
	v_lshlrev_b64_e32 v[26:27], 3, v[0:1]
	v_add_co_u32 v26, vcc_lo, s26, v26
	s_wait_alu 0xfffd
	s_delay_alu instid0(VALU_DEP_2)
	v_add_co_ci_u32_e64 v27, null, s27, v27, vcc_lo
	s_wait_dscnt 0x0
	global_store_b64 v[26:27], v[24:25], off
	s_wait_alu 0xfffe
	s_or_b32 exec_lo, exec_lo, s15
	s_and_saveexec_b32 s15, s17
	s_cbranch_execz .LBB946_636
.LBB946_668:                            ;   in Loop: Header=BB946_566 Depth=2
	v_lshlrev_b32_e32 v0, 2, v94
	ds_load_b32 v0, v0
	ds_load_b64 v[24:25], v5 offset:7168
	s_wait_dscnt 0x1
	v_add_nc_u32_e32 v0, v0, v31
	s_delay_alu instid0(VALU_DEP_1) | instskip(NEXT) | instid1(VALU_DEP_1)
	v_lshlrev_b64_e32 v[26:27], 3, v[0:1]
	v_add_co_u32 v26, vcc_lo, s26, v26
	s_wait_alu 0xfffd
	s_delay_alu instid0(VALU_DEP_2)
	v_add_co_ci_u32_e64 v27, null, s27, v27, vcc_lo
	s_wait_dscnt 0x0
	global_store_b64 v[26:27], v[24:25], off
	s_wait_alu 0xfffe
	s_or_b32 exec_lo, exec_lo, s15
	s_and_saveexec_b32 s15, s18
	s_cbranch_execz .LBB946_637
.LBB946_669:                            ;   in Loop: Header=BB946_566 Depth=2
	v_lshlrev_b32_e32 v0, 2, v93
	ds_load_b32 v0, v0
	ds_load_b64 v[24:25], v5 offset:9216
	s_wait_dscnt 0x1
	v_add_nc_u32_e32 v0, v0, v34
	s_delay_alu instid0(VALU_DEP_1) | instskip(NEXT) | instid1(VALU_DEP_1)
	v_lshlrev_b64_e32 v[26:27], 3, v[0:1]
	v_add_co_u32 v26, vcc_lo, s26, v26
	s_wait_alu 0xfffd
	s_delay_alu instid0(VALU_DEP_2)
	v_add_co_ci_u32_e64 v27, null, s27, v27, vcc_lo
	s_wait_dscnt 0x0
	global_store_b64 v[26:27], v[24:25], off
	s_wait_alu 0xfffe
	s_or_b32 exec_lo, exec_lo, s15
	s_and_saveexec_b32 s15, s19
	s_cbranch_execz .LBB946_638
.LBB946_670:                            ;   in Loop: Header=BB946_566 Depth=2
	v_lshlrev_b32_e32 v0, 2, v92
	ds_load_b32 v0, v0
	ds_load_b64 v[24:25], v5 offset:11264
	s_wait_dscnt 0x1
	v_add_nc_u32_e32 v0, v0, v35
	s_delay_alu instid0(VALU_DEP_1) | instskip(NEXT) | instid1(VALU_DEP_1)
	v_lshlrev_b64_e32 v[26:27], 3, v[0:1]
	v_add_co_u32 v26, vcc_lo, s26, v26
	s_wait_alu 0xfffd
	s_delay_alu instid0(VALU_DEP_2)
	v_add_co_ci_u32_e64 v27, null, s27, v27, vcc_lo
	s_wait_dscnt 0x0
	global_store_b64 v[26:27], v[24:25], off
	s_wait_alu 0xfffe
	s_or_b32 exec_lo, exec_lo, s15
	s_and_saveexec_b32 s15, s20
	s_cbranch_execz .LBB946_639
.LBB946_671:                            ;   in Loop: Header=BB946_566 Depth=2
	v_lshlrev_b32_e32 v0, 2, v91
	ds_load_b32 v0, v0
	ds_load_b64 v[24:25], v5 offset:13312
	s_wait_dscnt 0x1
	v_add_nc_u32_e32 v0, v0, v36
	s_delay_alu instid0(VALU_DEP_1) | instskip(NEXT) | instid1(VALU_DEP_1)
	v_lshlrev_b64_e32 v[26:27], 3, v[0:1]
	v_add_co_u32 v26, vcc_lo, s26, v26
	s_wait_alu 0xfffd
	s_delay_alu instid0(VALU_DEP_2)
	v_add_co_ci_u32_e64 v27, null, s27, v27, vcc_lo
	s_wait_dscnt 0x0
	global_store_b64 v[26:27], v[24:25], off
	s_wait_alu 0xfffe
	s_or_b32 exec_lo, exec_lo, s15
	s_and_saveexec_b32 s15, s21
	s_cbranch_execnz .LBB946_640
	s_branch .LBB946_641
.LBB946_672:                            ;   in Loop: Header=BB946_566 Depth=2
	v_bfrev_b32_e32 v5, 1
	v_dual_mov_b32 v6, v4 :: v_dual_mov_b32 v7, v4
	v_mov_b32_e32 v8, v4
	global_load_d16_b16 v5, v[24:25], off
	s_wait_alu 0xfffe
	s_or_b32 exec_lo, exec_lo, s15
	s_delay_alu instid0(SALU_CYCLE_1)
	s_mov_b32 s15, exec_lo
	v_cmpx_gt_u32_e64 s43, v71
	s_cbranch_execz .LBB946_571
.LBB946_673:                            ;   in Loop: Header=BB946_566 Depth=2
	s_wait_loadcnt 0x0
	global_load_d16_hi_b16 v5, v[24:25], off offset:64
	s_wait_alu 0xfffe
	s_or_b32 exec_lo, exec_lo, s15
	s_delay_alu instid0(SALU_CYCLE_1)
	s_mov_b32 s15, exec_lo
	v_cmpx_gt_u32_e64 s43, v72
	s_cbranch_execz .LBB946_572
.LBB946_674:                            ;   in Loop: Header=BB946_566 Depth=2
	global_load_d16_b16 v6, v[24:25], off offset:128
	s_wait_alu 0xfffe
	s_or_b32 exec_lo, exec_lo, s15
	s_delay_alu instid0(SALU_CYCLE_1)
	s_mov_b32 s15, exec_lo
	v_cmpx_gt_u32_e64 s43, v73
	s_cbranch_execz .LBB946_573
.LBB946_675:                            ;   in Loop: Header=BB946_566 Depth=2
	s_wait_loadcnt 0x0
	global_load_d16_hi_b16 v6, v[24:25], off offset:192
	s_wait_alu 0xfffe
	s_or_b32 exec_lo, exec_lo, s15
	s_delay_alu instid0(SALU_CYCLE_1)
	s_mov_b32 s15, exec_lo
	v_cmpx_gt_u32_e64 s43, v74
	s_cbranch_execz .LBB946_574
.LBB946_676:                            ;   in Loop: Header=BB946_566 Depth=2
	global_load_d16_b16 v7, v[24:25], off offset:256
	s_wait_alu 0xfffe
	s_or_b32 exec_lo, exec_lo, s15
	s_delay_alu instid0(SALU_CYCLE_1)
	s_mov_b32 s15, exec_lo
	v_cmpx_gt_u32_e64 s43, v75
	s_cbranch_execz .LBB946_575
.LBB946_677:                            ;   in Loop: Header=BB946_566 Depth=2
	s_wait_loadcnt 0x0
	global_load_d16_hi_b16 v7, v[24:25], off offset:320
	s_wait_alu 0xfffe
	s_or_b32 exec_lo, exec_lo, s15
	s_delay_alu instid0(SALU_CYCLE_1)
	s_mov_b32 s15, exec_lo
	v_cmpx_gt_u32_e64 s43, v76
	s_cbranch_execnz .LBB946_576
	s_branch .LBB946_577
.LBB946_678:
	s_endpgm
	.section	.rodata,"a",@progbits
	.p2align	6, 0x0
	.amdhsa_kernel _ZN7rocprim17ROCPRIM_400000_NS6detail17trampoline_kernelINS0_14default_configENS1_36segmented_radix_sort_config_selectorIslEEZNS1_25segmented_radix_sort_implIS3_Lb1EPKsPsPKlPlN2at6native12_GLOBAL__N_18offset_tEEE10hipError_tPvRmT1_PNSt15iterator_traitsISK_E10value_typeET2_T3_PNSL_ISQ_E10value_typeET4_jRbjT5_SW_jjP12ihipStream_tbEUlT_E2_NS1_11comp_targetILNS1_3genE10ELNS1_11target_archE1201ELNS1_3gpuE5ELNS1_3repE0EEENS1_30default_config_static_selectorELNS0_4arch9wavefront6targetE0EEEvSK_
		.amdhsa_group_segment_fixed_size 17440
		.amdhsa_private_segment_fixed_size 0
		.amdhsa_kernarg_size 336
		.amdhsa_user_sgpr_count 2
		.amdhsa_user_sgpr_dispatch_ptr 0
		.amdhsa_user_sgpr_queue_ptr 0
		.amdhsa_user_sgpr_kernarg_segment_ptr 1
		.amdhsa_user_sgpr_dispatch_id 0
		.amdhsa_user_sgpr_private_segment_size 0
		.amdhsa_wavefront_size32 1
		.amdhsa_uses_dynamic_stack 0
		.amdhsa_enable_private_segment 0
		.amdhsa_system_sgpr_workgroup_id_x 1
		.amdhsa_system_sgpr_workgroup_id_y 1
		.amdhsa_system_sgpr_workgroup_id_z 0
		.amdhsa_system_sgpr_workgroup_info 0
		.amdhsa_system_vgpr_workitem_id 2
		.amdhsa_next_free_vgpr 198
		.amdhsa_next_free_sgpr 50
		.amdhsa_reserve_vcc 1
		.amdhsa_float_round_mode_32 0
		.amdhsa_float_round_mode_16_64 0
		.amdhsa_float_denorm_mode_32 3
		.amdhsa_float_denorm_mode_16_64 3
		.amdhsa_fp16_overflow 0
		.amdhsa_workgroup_processor_mode 1
		.amdhsa_memory_ordered 1
		.amdhsa_forward_progress 1
		.amdhsa_inst_pref_size 255
		.amdhsa_round_robin_scheduling 0
		.amdhsa_exception_fp_ieee_invalid_op 0
		.amdhsa_exception_fp_denorm_src 0
		.amdhsa_exception_fp_ieee_div_zero 0
		.amdhsa_exception_fp_ieee_overflow 0
		.amdhsa_exception_fp_ieee_underflow 0
		.amdhsa_exception_fp_ieee_inexact 0
		.amdhsa_exception_int_div_zero 0
	.end_amdhsa_kernel
	.section	.text._ZN7rocprim17ROCPRIM_400000_NS6detail17trampoline_kernelINS0_14default_configENS1_36segmented_radix_sort_config_selectorIslEEZNS1_25segmented_radix_sort_implIS3_Lb1EPKsPsPKlPlN2at6native12_GLOBAL__N_18offset_tEEE10hipError_tPvRmT1_PNSt15iterator_traitsISK_E10value_typeET2_T3_PNSL_ISQ_E10value_typeET4_jRbjT5_SW_jjP12ihipStream_tbEUlT_E2_NS1_11comp_targetILNS1_3genE10ELNS1_11target_archE1201ELNS1_3gpuE5ELNS1_3repE0EEENS1_30default_config_static_selectorELNS0_4arch9wavefront6targetE0EEEvSK_,"axG",@progbits,_ZN7rocprim17ROCPRIM_400000_NS6detail17trampoline_kernelINS0_14default_configENS1_36segmented_radix_sort_config_selectorIslEEZNS1_25segmented_radix_sort_implIS3_Lb1EPKsPsPKlPlN2at6native12_GLOBAL__N_18offset_tEEE10hipError_tPvRmT1_PNSt15iterator_traitsISK_E10value_typeET2_T3_PNSL_ISQ_E10value_typeET4_jRbjT5_SW_jjP12ihipStream_tbEUlT_E2_NS1_11comp_targetILNS1_3genE10ELNS1_11target_archE1201ELNS1_3gpuE5ELNS1_3repE0EEENS1_30default_config_static_selectorELNS0_4arch9wavefront6targetE0EEEvSK_,comdat
.Lfunc_end946:
	.size	_ZN7rocprim17ROCPRIM_400000_NS6detail17trampoline_kernelINS0_14default_configENS1_36segmented_radix_sort_config_selectorIslEEZNS1_25segmented_radix_sort_implIS3_Lb1EPKsPsPKlPlN2at6native12_GLOBAL__N_18offset_tEEE10hipError_tPvRmT1_PNSt15iterator_traitsISK_E10value_typeET2_T3_PNSL_ISQ_E10value_typeET4_jRbjT5_SW_jjP12ihipStream_tbEUlT_E2_NS1_11comp_targetILNS1_3genE10ELNS1_11target_archE1201ELNS1_3gpuE5ELNS1_3repE0EEENS1_30default_config_static_selectorELNS0_4arch9wavefront6targetE0EEEvSK_, .Lfunc_end946-_ZN7rocprim17ROCPRIM_400000_NS6detail17trampoline_kernelINS0_14default_configENS1_36segmented_radix_sort_config_selectorIslEEZNS1_25segmented_radix_sort_implIS3_Lb1EPKsPsPKlPlN2at6native12_GLOBAL__N_18offset_tEEE10hipError_tPvRmT1_PNSt15iterator_traitsISK_E10value_typeET2_T3_PNSL_ISQ_E10value_typeET4_jRbjT5_SW_jjP12ihipStream_tbEUlT_E2_NS1_11comp_targetILNS1_3genE10ELNS1_11target_archE1201ELNS1_3gpuE5ELNS1_3repE0EEENS1_30default_config_static_selectorELNS0_4arch9wavefront6targetE0EEEvSK_
                                        ; -- End function
	.set _ZN7rocprim17ROCPRIM_400000_NS6detail17trampoline_kernelINS0_14default_configENS1_36segmented_radix_sort_config_selectorIslEEZNS1_25segmented_radix_sort_implIS3_Lb1EPKsPsPKlPlN2at6native12_GLOBAL__N_18offset_tEEE10hipError_tPvRmT1_PNSt15iterator_traitsISK_E10value_typeET2_T3_PNSL_ISQ_E10value_typeET4_jRbjT5_SW_jjP12ihipStream_tbEUlT_E2_NS1_11comp_targetILNS1_3genE10ELNS1_11target_archE1201ELNS1_3gpuE5ELNS1_3repE0EEENS1_30default_config_static_selectorELNS0_4arch9wavefront6targetE0EEEvSK_.num_vgpr, max(136, .L_ZN7rocprim17ROCPRIM_400000_NS6detail26segmented_warp_sort_helperINS1_20WarpSortHelperConfigILj8ELj4ELj256EEEslLi256ELb1EvE4sortIPKsPsPKlPlEEvT_T0_T1_T2_jjjjRNS5_12storage_typeE.num_vgpr, .L_ZN7rocprim17ROCPRIM_400000_NS6detail40segmented_radix_sort_single_block_helperIslLj256ELj8ELb1EE4sortIPKsPsPKlPlEEbT_T0_T1_T2_jjjjRNS3_12storage_typeE.num_vgpr)
	.set _ZN7rocprim17ROCPRIM_400000_NS6detail17trampoline_kernelINS0_14default_configENS1_36segmented_radix_sort_config_selectorIslEEZNS1_25segmented_radix_sort_implIS3_Lb1EPKsPsPKlPlN2at6native12_GLOBAL__N_18offset_tEEE10hipError_tPvRmT1_PNSt15iterator_traitsISK_E10value_typeET2_T3_PNSL_ISQ_E10value_typeET4_jRbjT5_SW_jjP12ihipStream_tbEUlT_E2_NS1_11comp_targetILNS1_3genE10ELNS1_11target_archE1201ELNS1_3gpuE5ELNS1_3repE0EEENS1_30default_config_static_selectorELNS0_4arch9wavefront6targetE0EEEvSK_.num_agpr, max(0, .L_ZN7rocprim17ROCPRIM_400000_NS6detail26segmented_warp_sort_helperINS1_20WarpSortHelperConfigILj8ELj4ELj256EEEslLi256ELb1EvE4sortIPKsPsPKlPlEEvT_T0_T1_T2_jjjjRNS5_12storage_typeE.num_agpr, .L_ZN7rocprim17ROCPRIM_400000_NS6detail40segmented_radix_sort_single_block_helperIslLj256ELj8ELb1EE4sortIPKsPsPKlPlEEbT_T0_T1_T2_jjjjRNS3_12storage_typeE.num_agpr)
	.set _ZN7rocprim17ROCPRIM_400000_NS6detail17trampoline_kernelINS0_14default_configENS1_36segmented_radix_sort_config_selectorIslEEZNS1_25segmented_radix_sort_implIS3_Lb1EPKsPsPKlPlN2at6native12_GLOBAL__N_18offset_tEEE10hipError_tPvRmT1_PNSt15iterator_traitsISK_E10value_typeET2_T3_PNSL_ISQ_E10value_typeET4_jRbjT5_SW_jjP12ihipStream_tbEUlT_E2_NS1_11comp_targetILNS1_3genE10ELNS1_11target_archE1201ELNS1_3gpuE5ELNS1_3repE0EEENS1_30default_config_static_selectorELNS0_4arch9wavefront6targetE0EEEvSK_.numbered_sgpr, max(50, .L_ZN7rocprim17ROCPRIM_400000_NS6detail26segmented_warp_sort_helperINS1_20WarpSortHelperConfigILj8ELj4ELj256EEEslLi256ELb1EvE4sortIPKsPsPKlPlEEvT_T0_T1_T2_jjjjRNS5_12storage_typeE.numbered_sgpr, .L_ZN7rocprim17ROCPRIM_400000_NS6detail40segmented_radix_sort_single_block_helperIslLj256ELj8ELb1EE4sortIPKsPsPKlPlEEbT_T0_T1_T2_jjjjRNS3_12storage_typeE.numbered_sgpr)
	.set _ZN7rocprim17ROCPRIM_400000_NS6detail17trampoline_kernelINS0_14default_configENS1_36segmented_radix_sort_config_selectorIslEEZNS1_25segmented_radix_sort_implIS3_Lb1EPKsPsPKlPlN2at6native12_GLOBAL__N_18offset_tEEE10hipError_tPvRmT1_PNSt15iterator_traitsISK_E10value_typeET2_T3_PNSL_ISQ_E10value_typeET4_jRbjT5_SW_jjP12ihipStream_tbEUlT_E2_NS1_11comp_targetILNS1_3genE10ELNS1_11target_archE1201ELNS1_3gpuE5ELNS1_3repE0EEENS1_30default_config_static_selectorELNS0_4arch9wavefront6targetE0EEEvSK_.num_named_barrier, max(0, .L_ZN7rocprim17ROCPRIM_400000_NS6detail26segmented_warp_sort_helperINS1_20WarpSortHelperConfigILj8ELj4ELj256EEEslLi256ELb1EvE4sortIPKsPsPKlPlEEvT_T0_T1_T2_jjjjRNS5_12storage_typeE.num_named_barrier, .L_ZN7rocprim17ROCPRIM_400000_NS6detail40segmented_radix_sort_single_block_helperIslLj256ELj8ELb1EE4sortIPKsPsPKlPlEEbT_T0_T1_T2_jjjjRNS3_12storage_typeE.num_named_barrier)
	.set _ZN7rocprim17ROCPRIM_400000_NS6detail17trampoline_kernelINS0_14default_configENS1_36segmented_radix_sort_config_selectorIslEEZNS1_25segmented_radix_sort_implIS3_Lb1EPKsPsPKlPlN2at6native12_GLOBAL__N_18offset_tEEE10hipError_tPvRmT1_PNSt15iterator_traitsISK_E10value_typeET2_T3_PNSL_ISQ_E10value_typeET4_jRbjT5_SW_jjP12ihipStream_tbEUlT_E2_NS1_11comp_targetILNS1_3genE10ELNS1_11target_archE1201ELNS1_3gpuE5ELNS1_3repE0EEENS1_30default_config_static_selectorELNS0_4arch9wavefront6targetE0EEEvSK_.private_seg_size, 0+max(.L_ZN7rocprim17ROCPRIM_400000_NS6detail26segmented_warp_sort_helperINS1_20WarpSortHelperConfigILj8ELj4ELj256EEEslLi256ELb1EvE4sortIPKsPsPKlPlEEvT_T0_T1_T2_jjjjRNS5_12storage_typeE.private_seg_size, .L_ZN7rocprim17ROCPRIM_400000_NS6detail40segmented_radix_sort_single_block_helperIslLj256ELj8ELb1EE4sortIPKsPsPKlPlEEbT_T0_T1_T2_jjjjRNS3_12storage_typeE.private_seg_size)
	.set _ZN7rocprim17ROCPRIM_400000_NS6detail17trampoline_kernelINS0_14default_configENS1_36segmented_radix_sort_config_selectorIslEEZNS1_25segmented_radix_sort_implIS3_Lb1EPKsPsPKlPlN2at6native12_GLOBAL__N_18offset_tEEE10hipError_tPvRmT1_PNSt15iterator_traitsISK_E10value_typeET2_T3_PNSL_ISQ_E10value_typeET4_jRbjT5_SW_jjP12ihipStream_tbEUlT_E2_NS1_11comp_targetILNS1_3genE10ELNS1_11target_archE1201ELNS1_3gpuE5ELNS1_3repE0EEENS1_30default_config_static_selectorELNS0_4arch9wavefront6targetE0EEEvSK_.uses_vcc, or(1, .L_ZN7rocprim17ROCPRIM_400000_NS6detail26segmented_warp_sort_helperINS1_20WarpSortHelperConfigILj8ELj4ELj256EEEslLi256ELb1EvE4sortIPKsPsPKlPlEEvT_T0_T1_T2_jjjjRNS5_12storage_typeE.uses_vcc, .L_ZN7rocprim17ROCPRIM_400000_NS6detail40segmented_radix_sort_single_block_helperIslLj256ELj8ELb1EE4sortIPKsPsPKlPlEEbT_T0_T1_T2_jjjjRNS3_12storage_typeE.uses_vcc)
	.set _ZN7rocprim17ROCPRIM_400000_NS6detail17trampoline_kernelINS0_14default_configENS1_36segmented_radix_sort_config_selectorIslEEZNS1_25segmented_radix_sort_implIS3_Lb1EPKsPsPKlPlN2at6native12_GLOBAL__N_18offset_tEEE10hipError_tPvRmT1_PNSt15iterator_traitsISK_E10value_typeET2_T3_PNSL_ISQ_E10value_typeET4_jRbjT5_SW_jjP12ihipStream_tbEUlT_E2_NS1_11comp_targetILNS1_3genE10ELNS1_11target_archE1201ELNS1_3gpuE5ELNS1_3repE0EEENS1_30default_config_static_selectorELNS0_4arch9wavefront6targetE0EEEvSK_.uses_flat_scratch, or(0, .L_ZN7rocprim17ROCPRIM_400000_NS6detail26segmented_warp_sort_helperINS1_20WarpSortHelperConfigILj8ELj4ELj256EEEslLi256ELb1EvE4sortIPKsPsPKlPlEEvT_T0_T1_T2_jjjjRNS5_12storage_typeE.uses_flat_scratch, .L_ZN7rocprim17ROCPRIM_400000_NS6detail40segmented_radix_sort_single_block_helperIslLj256ELj8ELb1EE4sortIPKsPsPKlPlEEbT_T0_T1_T2_jjjjRNS3_12storage_typeE.uses_flat_scratch)
	.set _ZN7rocprim17ROCPRIM_400000_NS6detail17trampoline_kernelINS0_14default_configENS1_36segmented_radix_sort_config_selectorIslEEZNS1_25segmented_radix_sort_implIS3_Lb1EPKsPsPKlPlN2at6native12_GLOBAL__N_18offset_tEEE10hipError_tPvRmT1_PNSt15iterator_traitsISK_E10value_typeET2_T3_PNSL_ISQ_E10value_typeET4_jRbjT5_SW_jjP12ihipStream_tbEUlT_E2_NS1_11comp_targetILNS1_3genE10ELNS1_11target_archE1201ELNS1_3gpuE5ELNS1_3repE0EEENS1_30default_config_static_selectorELNS0_4arch9wavefront6targetE0EEEvSK_.has_dyn_sized_stack, or(0, .L_ZN7rocprim17ROCPRIM_400000_NS6detail26segmented_warp_sort_helperINS1_20WarpSortHelperConfigILj8ELj4ELj256EEEslLi256ELb1EvE4sortIPKsPsPKlPlEEvT_T0_T1_T2_jjjjRNS5_12storage_typeE.has_dyn_sized_stack, .L_ZN7rocprim17ROCPRIM_400000_NS6detail40segmented_radix_sort_single_block_helperIslLj256ELj8ELb1EE4sortIPKsPsPKlPlEEbT_T0_T1_T2_jjjjRNS3_12storage_typeE.has_dyn_sized_stack)
	.set _ZN7rocprim17ROCPRIM_400000_NS6detail17trampoline_kernelINS0_14default_configENS1_36segmented_radix_sort_config_selectorIslEEZNS1_25segmented_radix_sort_implIS3_Lb1EPKsPsPKlPlN2at6native12_GLOBAL__N_18offset_tEEE10hipError_tPvRmT1_PNSt15iterator_traitsISK_E10value_typeET2_T3_PNSL_ISQ_E10value_typeET4_jRbjT5_SW_jjP12ihipStream_tbEUlT_E2_NS1_11comp_targetILNS1_3genE10ELNS1_11target_archE1201ELNS1_3gpuE5ELNS1_3repE0EEENS1_30default_config_static_selectorELNS0_4arch9wavefront6targetE0EEEvSK_.has_recursion, or(0, .L_ZN7rocprim17ROCPRIM_400000_NS6detail26segmented_warp_sort_helperINS1_20WarpSortHelperConfigILj8ELj4ELj256EEEslLi256ELb1EvE4sortIPKsPsPKlPlEEvT_T0_T1_T2_jjjjRNS5_12storage_typeE.has_recursion, .L_ZN7rocprim17ROCPRIM_400000_NS6detail40segmented_radix_sort_single_block_helperIslLj256ELj8ELb1EE4sortIPKsPsPKlPlEEbT_T0_T1_T2_jjjjRNS3_12storage_typeE.has_recursion)
	.set _ZN7rocprim17ROCPRIM_400000_NS6detail17trampoline_kernelINS0_14default_configENS1_36segmented_radix_sort_config_selectorIslEEZNS1_25segmented_radix_sort_implIS3_Lb1EPKsPsPKlPlN2at6native12_GLOBAL__N_18offset_tEEE10hipError_tPvRmT1_PNSt15iterator_traitsISK_E10value_typeET2_T3_PNSL_ISQ_E10value_typeET4_jRbjT5_SW_jjP12ihipStream_tbEUlT_E2_NS1_11comp_targetILNS1_3genE10ELNS1_11target_archE1201ELNS1_3gpuE5ELNS1_3repE0EEENS1_30default_config_static_selectorELNS0_4arch9wavefront6targetE0EEEvSK_.has_indirect_call, or(0, .L_ZN7rocprim17ROCPRIM_400000_NS6detail26segmented_warp_sort_helperINS1_20WarpSortHelperConfigILj8ELj4ELj256EEEslLi256ELb1EvE4sortIPKsPsPKlPlEEvT_T0_T1_T2_jjjjRNS5_12storage_typeE.has_indirect_call, .L_ZN7rocprim17ROCPRIM_400000_NS6detail40segmented_radix_sort_single_block_helperIslLj256ELj8ELb1EE4sortIPKsPsPKlPlEEbT_T0_T1_T2_jjjjRNS3_12storage_typeE.has_indirect_call)
	.section	.AMDGPU.csdata,"",@progbits
; Kernel info:
; codeLenInByte = 44048
; TotalNumSgprs: 52
; NumVgprs: 198
; ScratchSize: 0
; MemoryBound: 0
; FloatMode: 240
; IeeeMode: 1
; LDSByteSize: 17440 bytes/workgroup (compile time only)
; SGPRBlocks: 0
; VGPRBlocks: 24
; NumSGPRsForWavesPerEU: 52
; NumVGPRsForWavesPerEU: 198
; Occupancy: 7
; WaveLimiterHint : 1
; COMPUTE_PGM_RSRC2:SCRATCH_EN: 0
; COMPUTE_PGM_RSRC2:USER_SGPR: 2
; COMPUTE_PGM_RSRC2:TRAP_HANDLER: 0
; COMPUTE_PGM_RSRC2:TGID_X_EN: 1
; COMPUTE_PGM_RSRC2:TGID_Y_EN: 1
; COMPUTE_PGM_RSRC2:TGID_Z_EN: 0
; COMPUTE_PGM_RSRC2:TIDIG_COMP_CNT: 2
	.section	.text._ZN7rocprim17ROCPRIM_400000_NS6detail17trampoline_kernelINS0_14default_configENS1_36segmented_radix_sort_config_selectorIslEEZNS1_25segmented_radix_sort_implIS3_Lb1EPKsPsPKlPlN2at6native12_GLOBAL__N_18offset_tEEE10hipError_tPvRmT1_PNSt15iterator_traitsISK_E10value_typeET2_T3_PNSL_ISQ_E10value_typeET4_jRbjT5_SW_jjP12ihipStream_tbEUlT_E2_NS1_11comp_targetILNS1_3genE10ELNS1_11target_archE1200ELNS1_3gpuE4ELNS1_3repE0EEENS1_30default_config_static_selectorELNS0_4arch9wavefront6targetE0EEEvSK_,"axG",@progbits,_ZN7rocprim17ROCPRIM_400000_NS6detail17trampoline_kernelINS0_14default_configENS1_36segmented_radix_sort_config_selectorIslEEZNS1_25segmented_radix_sort_implIS3_Lb1EPKsPsPKlPlN2at6native12_GLOBAL__N_18offset_tEEE10hipError_tPvRmT1_PNSt15iterator_traitsISK_E10value_typeET2_T3_PNSL_ISQ_E10value_typeET4_jRbjT5_SW_jjP12ihipStream_tbEUlT_E2_NS1_11comp_targetILNS1_3genE10ELNS1_11target_archE1200ELNS1_3gpuE4ELNS1_3repE0EEENS1_30default_config_static_selectorELNS0_4arch9wavefront6targetE0EEEvSK_,comdat
	.globl	_ZN7rocprim17ROCPRIM_400000_NS6detail17trampoline_kernelINS0_14default_configENS1_36segmented_radix_sort_config_selectorIslEEZNS1_25segmented_radix_sort_implIS3_Lb1EPKsPsPKlPlN2at6native12_GLOBAL__N_18offset_tEEE10hipError_tPvRmT1_PNSt15iterator_traitsISK_E10value_typeET2_T3_PNSL_ISQ_E10value_typeET4_jRbjT5_SW_jjP12ihipStream_tbEUlT_E2_NS1_11comp_targetILNS1_3genE10ELNS1_11target_archE1200ELNS1_3gpuE4ELNS1_3repE0EEENS1_30default_config_static_selectorELNS0_4arch9wavefront6targetE0EEEvSK_ ; -- Begin function _ZN7rocprim17ROCPRIM_400000_NS6detail17trampoline_kernelINS0_14default_configENS1_36segmented_radix_sort_config_selectorIslEEZNS1_25segmented_radix_sort_implIS3_Lb1EPKsPsPKlPlN2at6native12_GLOBAL__N_18offset_tEEE10hipError_tPvRmT1_PNSt15iterator_traitsISK_E10value_typeET2_T3_PNSL_ISQ_E10value_typeET4_jRbjT5_SW_jjP12ihipStream_tbEUlT_E2_NS1_11comp_targetILNS1_3genE10ELNS1_11target_archE1200ELNS1_3gpuE4ELNS1_3repE0EEENS1_30default_config_static_selectorELNS0_4arch9wavefront6targetE0EEEvSK_
	.p2align	8
	.type	_ZN7rocprim17ROCPRIM_400000_NS6detail17trampoline_kernelINS0_14default_configENS1_36segmented_radix_sort_config_selectorIslEEZNS1_25segmented_radix_sort_implIS3_Lb1EPKsPsPKlPlN2at6native12_GLOBAL__N_18offset_tEEE10hipError_tPvRmT1_PNSt15iterator_traitsISK_E10value_typeET2_T3_PNSL_ISQ_E10value_typeET4_jRbjT5_SW_jjP12ihipStream_tbEUlT_E2_NS1_11comp_targetILNS1_3genE10ELNS1_11target_archE1200ELNS1_3gpuE4ELNS1_3repE0EEENS1_30default_config_static_selectorELNS0_4arch9wavefront6targetE0EEEvSK_,@function
_ZN7rocprim17ROCPRIM_400000_NS6detail17trampoline_kernelINS0_14default_configENS1_36segmented_radix_sort_config_selectorIslEEZNS1_25segmented_radix_sort_implIS3_Lb1EPKsPsPKlPlN2at6native12_GLOBAL__N_18offset_tEEE10hipError_tPvRmT1_PNSt15iterator_traitsISK_E10value_typeET2_T3_PNSL_ISQ_E10value_typeET4_jRbjT5_SW_jjP12ihipStream_tbEUlT_E2_NS1_11comp_targetILNS1_3genE10ELNS1_11target_archE1200ELNS1_3gpuE4ELNS1_3repE0EEENS1_30default_config_static_selectorELNS0_4arch9wavefront6targetE0EEEvSK_: ; @_ZN7rocprim17ROCPRIM_400000_NS6detail17trampoline_kernelINS0_14default_configENS1_36segmented_radix_sort_config_selectorIslEEZNS1_25segmented_radix_sort_implIS3_Lb1EPKsPsPKlPlN2at6native12_GLOBAL__N_18offset_tEEE10hipError_tPvRmT1_PNSt15iterator_traitsISK_E10value_typeET2_T3_PNSL_ISQ_E10value_typeET4_jRbjT5_SW_jjP12ihipStream_tbEUlT_E2_NS1_11comp_targetILNS1_3genE10ELNS1_11target_archE1200ELNS1_3gpuE4ELNS1_3repE0EEENS1_30default_config_static_selectorELNS0_4arch9wavefront6targetE0EEEvSK_
; %bb.0:
	.section	.rodata,"a",@progbits
	.p2align	6, 0x0
	.amdhsa_kernel _ZN7rocprim17ROCPRIM_400000_NS6detail17trampoline_kernelINS0_14default_configENS1_36segmented_radix_sort_config_selectorIslEEZNS1_25segmented_radix_sort_implIS3_Lb1EPKsPsPKlPlN2at6native12_GLOBAL__N_18offset_tEEE10hipError_tPvRmT1_PNSt15iterator_traitsISK_E10value_typeET2_T3_PNSL_ISQ_E10value_typeET4_jRbjT5_SW_jjP12ihipStream_tbEUlT_E2_NS1_11comp_targetILNS1_3genE10ELNS1_11target_archE1200ELNS1_3gpuE4ELNS1_3repE0EEENS1_30default_config_static_selectorELNS0_4arch9wavefront6targetE0EEEvSK_
		.amdhsa_group_segment_fixed_size 0
		.amdhsa_private_segment_fixed_size 0
		.amdhsa_kernarg_size 80
		.amdhsa_user_sgpr_count 2
		.amdhsa_user_sgpr_dispatch_ptr 0
		.amdhsa_user_sgpr_queue_ptr 0
		.amdhsa_user_sgpr_kernarg_segment_ptr 1
		.amdhsa_user_sgpr_dispatch_id 0
		.amdhsa_user_sgpr_private_segment_size 0
		.amdhsa_wavefront_size32 1
		.amdhsa_uses_dynamic_stack 0
		.amdhsa_enable_private_segment 0
		.amdhsa_system_sgpr_workgroup_id_x 1
		.amdhsa_system_sgpr_workgroup_id_y 0
		.amdhsa_system_sgpr_workgroup_id_z 0
		.amdhsa_system_sgpr_workgroup_info 0
		.amdhsa_system_vgpr_workitem_id 0
		.amdhsa_next_free_vgpr 1
		.amdhsa_next_free_sgpr 1
		.amdhsa_reserve_vcc 0
		.amdhsa_float_round_mode_32 0
		.amdhsa_float_round_mode_16_64 0
		.amdhsa_float_denorm_mode_32 3
		.amdhsa_float_denorm_mode_16_64 3
		.amdhsa_fp16_overflow 0
		.amdhsa_workgroup_processor_mode 1
		.amdhsa_memory_ordered 1
		.amdhsa_forward_progress 1
		.amdhsa_inst_pref_size 0
		.amdhsa_round_robin_scheduling 0
		.amdhsa_exception_fp_ieee_invalid_op 0
		.amdhsa_exception_fp_denorm_src 0
		.amdhsa_exception_fp_ieee_div_zero 0
		.amdhsa_exception_fp_ieee_overflow 0
		.amdhsa_exception_fp_ieee_underflow 0
		.amdhsa_exception_fp_ieee_inexact 0
		.amdhsa_exception_int_div_zero 0
	.end_amdhsa_kernel
	.section	.text._ZN7rocprim17ROCPRIM_400000_NS6detail17trampoline_kernelINS0_14default_configENS1_36segmented_radix_sort_config_selectorIslEEZNS1_25segmented_radix_sort_implIS3_Lb1EPKsPsPKlPlN2at6native12_GLOBAL__N_18offset_tEEE10hipError_tPvRmT1_PNSt15iterator_traitsISK_E10value_typeET2_T3_PNSL_ISQ_E10value_typeET4_jRbjT5_SW_jjP12ihipStream_tbEUlT_E2_NS1_11comp_targetILNS1_3genE10ELNS1_11target_archE1200ELNS1_3gpuE4ELNS1_3repE0EEENS1_30default_config_static_selectorELNS0_4arch9wavefront6targetE0EEEvSK_,"axG",@progbits,_ZN7rocprim17ROCPRIM_400000_NS6detail17trampoline_kernelINS0_14default_configENS1_36segmented_radix_sort_config_selectorIslEEZNS1_25segmented_radix_sort_implIS3_Lb1EPKsPsPKlPlN2at6native12_GLOBAL__N_18offset_tEEE10hipError_tPvRmT1_PNSt15iterator_traitsISK_E10value_typeET2_T3_PNSL_ISQ_E10value_typeET4_jRbjT5_SW_jjP12ihipStream_tbEUlT_E2_NS1_11comp_targetILNS1_3genE10ELNS1_11target_archE1200ELNS1_3gpuE4ELNS1_3repE0EEENS1_30default_config_static_selectorELNS0_4arch9wavefront6targetE0EEEvSK_,comdat
.Lfunc_end947:
	.size	_ZN7rocprim17ROCPRIM_400000_NS6detail17trampoline_kernelINS0_14default_configENS1_36segmented_radix_sort_config_selectorIslEEZNS1_25segmented_radix_sort_implIS3_Lb1EPKsPsPKlPlN2at6native12_GLOBAL__N_18offset_tEEE10hipError_tPvRmT1_PNSt15iterator_traitsISK_E10value_typeET2_T3_PNSL_ISQ_E10value_typeET4_jRbjT5_SW_jjP12ihipStream_tbEUlT_E2_NS1_11comp_targetILNS1_3genE10ELNS1_11target_archE1200ELNS1_3gpuE4ELNS1_3repE0EEENS1_30default_config_static_selectorELNS0_4arch9wavefront6targetE0EEEvSK_, .Lfunc_end947-_ZN7rocprim17ROCPRIM_400000_NS6detail17trampoline_kernelINS0_14default_configENS1_36segmented_radix_sort_config_selectorIslEEZNS1_25segmented_radix_sort_implIS3_Lb1EPKsPsPKlPlN2at6native12_GLOBAL__N_18offset_tEEE10hipError_tPvRmT1_PNSt15iterator_traitsISK_E10value_typeET2_T3_PNSL_ISQ_E10value_typeET4_jRbjT5_SW_jjP12ihipStream_tbEUlT_E2_NS1_11comp_targetILNS1_3genE10ELNS1_11target_archE1200ELNS1_3gpuE4ELNS1_3repE0EEENS1_30default_config_static_selectorELNS0_4arch9wavefront6targetE0EEEvSK_
                                        ; -- End function
	.set _ZN7rocprim17ROCPRIM_400000_NS6detail17trampoline_kernelINS0_14default_configENS1_36segmented_radix_sort_config_selectorIslEEZNS1_25segmented_radix_sort_implIS3_Lb1EPKsPsPKlPlN2at6native12_GLOBAL__N_18offset_tEEE10hipError_tPvRmT1_PNSt15iterator_traitsISK_E10value_typeET2_T3_PNSL_ISQ_E10value_typeET4_jRbjT5_SW_jjP12ihipStream_tbEUlT_E2_NS1_11comp_targetILNS1_3genE10ELNS1_11target_archE1200ELNS1_3gpuE4ELNS1_3repE0EEENS1_30default_config_static_selectorELNS0_4arch9wavefront6targetE0EEEvSK_.num_vgpr, 0
	.set _ZN7rocprim17ROCPRIM_400000_NS6detail17trampoline_kernelINS0_14default_configENS1_36segmented_radix_sort_config_selectorIslEEZNS1_25segmented_radix_sort_implIS3_Lb1EPKsPsPKlPlN2at6native12_GLOBAL__N_18offset_tEEE10hipError_tPvRmT1_PNSt15iterator_traitsISK_E10value_typeET2_T3_PNSL_ISQ_E10value_typeET4_jRbjT5_SW_jjP12ihipStream_tbEUlT_E2_NS1_11comp_targetILNS1_3genE10ELNS1_11target_archE1200ELNS1_3gpuE4ELNS1_3repE0EEENS1_30default_config_static_selectorELNS0_4arch9wavefront6targetE0EEEvSK_.num_agpr, 0
	.set _ZN7rocprim17ROCPRIM_400000_NS6detail17trampoline_kernelINS0_14default_configENS1_36segmented_radix_sort_config_selectorIslEEZNS1_25segmented_radix_sort_implIS3_Lb1EPKsPsPKlPlN2at6native12_GLOBAL__N_18offset_tEEE10hipError_tPvRmT1_PNSt15iterator_traitsISK_E10value_typeET2_T3_PNSL_ISQ_E10value_typeET4_jRbjT5_SW_jjP12ihipStream_tbEUlT_E2_NS1_11comp_targetILNS1_3genE10ELNS1_11target_archE1200ELNS1_3gpuE4ELNS1_3repE0EEENS1_30default_config_static_selectorELNS0_4arch9wavefront6targetE0EEEvSK_.numbered_sgpr, 0
	.set _ZN7rocprim17ROCPRIM_400000_NS6detail17trampoline_kernelINS0_14default_configENS1_36segmented_radix_sort_config_selectorIslEEZNS1_25segmented_radix_sort_implIS3_Lb1EPKsPsPKlPlN2at6native12_GLOBAL__N_18offset_tEEE10hipError_tPvRmT1_PNSt15iterator_traitsISK_E10value_typeET2_T3_PNSL_ISQ_E10value_typeET4_jRbjT5_SW_jjP12ihipStream_tbEUlT_E2_NS1_11comp_targetILNS1_3genE10ELNS1_11target_archE1200ELNS1_3gpuE4ELNS1_3repE0EEENS1_30default_config_static_selectorELNS0_4arch9wavefront6targetE0EEEvSK_.num_named_barrier, 0
	.set _ZN7rocprim17ROCPRIM_400000_NS6detail17trampoline_kernelINS0_14default_configENS1_36segmented_radix_sort_config_selectorIslEEZNS1_25segmented_radix_sort_implIS3_Lb1EPKsPsPKlPlN2at6native12_GLOBAL__N_18offset_tEEE10hipError_tPvRmT1_PNSt15iterator_traitsISK_E10value_typeET2_T3_PNSL_ISQ_E10value_typeET4_jRbjT5_SW_jjP12ihipStream_tbEUlT_E2_NS1_11comp_targetILNS1_3genE10ELNS1_11target_archE1200ELNS1_3gpuE4ELNS1_3repE0EEENS1_30default_config_static_selectorELNS0_4arch9wavefront6targetE0EEEvSK_.private_seg_size, 0
	.set _ZN7rocprim17ROCPRIM_400000_NS6detail17trampoline_kernelINS0_14default_configENS1_36segmented_radix_sort_config_selectorIslEEZNS1_25segmented_radix_sort_implIS3_Lb1EPKsPsPKlPlN2at6native12_GLOBAL__N_18offset_tEEE10hipError_tPvRmT1_PNSt15iterator_traitsISK_E10value_typeET2_T3_PNSL_ISQ_E10value_typeET4_jRbjT5_SW_jjP12ihipStream_tbEUlT_E2_NS1_11comp_targetILNS1_3genE10ELNS1_11target_archE1200ELNS1_3gpuE4ELNS1_3repE0EEENS1_30default_config_static_selectorELNS0_4arch9wavefront6targetE0EEEvSK_.uses_vcc, 0
	.set _ZN7rocprim17ROCPRIM_400000_NS6detail17trampoline_kernelINS0_14default_configENS1_36segmented_radix_sort_config_selectorIslEEZNS1_25segmented_radix_sort_implIS3_Lb1EPKsPsPKlPlN2at6native12_GLOBAL__N_18offset_tEEE10hipError_tPvRmT1_PNSt15iterator_traitsISK_E10value_typeET2_T3_PNSL_ISQ_E10value_typeET4_jRbjT5_SW_jjP12ihipStream_tbEUlT_E2_NS1_11comp_targetILNS1_3genE10ELNS1_11target_archE1200ELNS1_3gpuE4ELNS1_3repE0EEENS1_30default_config_static_selectorELNS0_4arch9wavefront6targetE0EEEvSK_.uses_flat_scratch, 0
	.set _ZN7rocprim17ROCPRIM_400000_NS6detail17trampoline_kernelINS0_14default_configENS1_36segmented_radix_sort_config_selectorIslEEZNS1_25segmented_radix_sort_implIS3_Lb1EPKsPsPKlPlN2at6native12_GLOBAL__N_18offset_tEEE10hipError_tPvRmT1_PNSt15iterator_traitsISK_E10value_typeET2_T3_PNSL_ISQ_E10value_typeET4_jRbjT5_SW_jjP12ihipStream_tbEUlT_E2_NS1_11comp_targetILNS1_3genE10ELNS1_11target_archE1200ELNS1_3gpuE4ELNS1_3repE0EEENS1_30default_config_static_selectorELNS0_4arch9wavefront6targetE0EEEvSK_.has_dyn_sized_stack, 0
	.set _ZN7rocprim17ROCPRIM_400000_NS6detail17trampoline_kernelINS0_14default_configENS1_36segmented_radix_sort_config_selectorIslEEZNS1_25segmented_radix_sort_implIS3_Lb1EPKsPsPKlPlN2at6native12_GLOBAL__N_18offset_tEEE10hipError_tPvRmT1_PNSt15iterator_traitsISK_E10value_typeET2_T3_PNSL_ISQ_E10value_typeET4_jRbjT5_SW_jjP12ihipStream_tbEUlT_E2_NS1_11comp_targetILNS1_3genE10ELNS1_11target_archE1200ELNS1_3gpuE4ELNS1_3repE0EEENS1_30default_config_static_selectorELNS0_4arch9wavefront6targetE0EEEvSK_.has_recursion, 0
	.set _ZN7rocprim17ROCPRIM_400000_NS6detail17trampoline_kernelINS0_14default_configENS1_36segmented_radix_sort_config_selectorIslEEZNS1_25segmented_radix_sort_implIS3_Lb1EPKsPsPKlPlN2at6native12_GLOBAL__N_18offset_tEEE10hipError_tPvRmT1_PNSt15iterator_traitsISK_E10value_typeET2_T3_PNSL_ISQ_E10value_typeET4_jRbjT5_SW_jjP12ihipStream_tbEUlT_E2_NS1_11comp_targetILNS1_3genE10ELNS1_11target_archE1200ELNS1_3gpuE4ELNS1_3repE0EEENS1_30default_config_static_selectorELNS0_4arch9wavefront6targetE0EEEvSK_.has_indirect_call, 0
	.section	.AMDGPU.csdata,"",@progbits
; Kernel info:
; codeLenInByte = 0
; TotalNumSgprs: 0
; NumVgprs: 0
; ScratchSize: 0
; MemoryBound: 0
; FloatMode: 240
; IeeeMode: 1
; LDSByteSize: 0 bytes/workgroup (compile time only)
; SGPRBlocks: 0
; VGPRBlocks: 0
; NumSGPRsForWavesPerEU: 1
; NumVGPRsForWavesPerEU: 1
; Occupancy: 16
; WaveLimiterHint : 0
; COMPUTE_PGM_RSRC2:SCRATCH_EN: 0
; COMPUTE_PGM_RSRC2:USER_SGPR: 2
; COMPUTE_PGM_RSRC2:TRAP_HANDLER: 0
; COMPUTE_PGM_RSRC2:TGID_X_EN: 1
; COMPUTE_PGM_RSRC2:TGID_Y_EN: 0
; COMPUTE_PGM_RSRC2:TGID_Z_EN: 0
; COMPUTE_PGM_RSRC2:TIDIG_COMP_CNT: 0
	.section	.text._ZN7rocprim17ROCPRIM_400000_NS6detail17trampoline_kernelINS0_14default_configENS1_36segmented_radix_sort_config_selectorIslEEZNS1_25segmented_radix_sort_implIS3_Lb1EPKsPsPKlPlN2at6native12_GLOBAL__N_18offset_tEEE10hipError_tPvRmT1_PNSt15iterator_traitsISK_E10value_typeET2_T3_PNSL_ISQ_E10value_typeET4_jRbjT5_SW_jjP12ihipStream_tbEUlT_E2_NS1_11comp_targetILNS1_3genE9ELNS1_11target_archE1100ELNS1_3gpuE3ELNS1_3repE0EEENS1_30default_config_static_selectorELNS0_4arch9wavefront6targetE0EEEvSK_,"axG",@progbits,_ZN7rocprim17ROCPRIM_400000_NS6detail17trampoline_kernelINS0_14default_configENS1_36segmented_radix_sort_config_selectorIslEEZNS1_25segmented_radix_sort_implIS3_Lb1EPKsPsPKlPlN2at6native12_GLOBAL__N_18offset_tEEE10hipError_tPvRmT1_PNSt15iterator_traitsISK_E10value_typeET2_T3_PNSL_ISQ_E10value_typeET4_jRbjT5_SW_jjP12ihipStream_tbEUlT_E2_NS1_11comp_targetILNS1_3genE9ELNS1_11target_archE1100ELNS1_3gpuE3ELNS1_3repE0EEENS1_30default_config_static_selectorELNS0_4arch9wavefront6targetE0EEEvSK_,comdat
	.globl	_ZN7rocprim17ROCPRIM_400000_NS6detail17trampoline_kernelINS0_14default_configENS1_36segmented_radix_sort_config_selectorIslEEZNS1_25segmented_radix_sort_implIS3_Lb1EPKsPsPKlPlN2at6native12_GLOBAL__N_18offset_tEEE10hipError_tPvRmT1_PNSt15iterator_traitsISK_E10value_typeET2_T3_PNSL_ISQ_E10value_typeET4_jRbjT5_SW_jjP12ihipStream_tbEUlT_E2_NS1_11comp_targetILNS1_3genE9ELNS1_11target_archE1100ELNS1_3gpuE3ELNS1_3repE0EEENS1_30default_config_static_selectorELNS0_4arch9wavefront6targetE0EEEvSK_ ; -- Begin function _ZN7rocprim17ROCPRIM_400000_NS6detail17trampoline_kernelINS0_14default_configENS1_36segmented_radix_sort_config_selectorIslEEZNS1_25segmented_radix_sort_implIS3_Lb1EPKsPsPKlPlN2at6native12_GLOBAL__N_18offset_tEEE10hipError_tPvRmT1_PNSt15iterator_traitsISK_E10value_typeET2_T3_PNSL_ISQ_E10value_typeET4_jRbjT5_SW_jjP12ihipStream_tbEUlT_E2_NS1_11comp_targetILNS1_3genE9ELNS1_11target_archE1100ELNS1_3gpuE3ELNS1_3repE0EEENS1_30default_config_static_selectorELNS0_4arch9wavefront6targetE0EEEvSK_
	.p2align	8
	.type	_ZN7rocprim17ROCPRIM_400000_NS6detail17trampoline_kernelINS0_14default_configENS1_36segmented_radix_sort_config_selectorIslEEZNS1_25segmented_radix_sort_implIS3_Lb1EPKsPsPKlPlN2at6native12_GLOBAL__N_18offset_tEEE10hipError_tPvRmT1_PNSt15iterator_traitsISK_E10value_typeET2_T3_PNSL_ISQ_E10value_typeET4_jRbjT5_SW_jjP12ihipStream_tbEUlT_E2_NS1_11comp_targetILNS1_3genE9ELNS1_11target_archE1100ELNS1_3gpuE3ELNS1_3repE0EEENS1_30default_config_static_selectorELNS0_4arch9wavefront6targetE0EEEvSK_,@function
_ZN7rocprim17ROCPRIM_400000_NS6detail17trampoline_kernelINS0_14default_configENS1_36segmented_radix_sort_config_selectorIslEEZNS1_25segmented_radix_sort_implIS3_Lb1EPKsPsPKlPlN2at6native12_GLOBAL__N_18offset_tEEE10hipError_tPvRmT1_PNSt15iterator_traitsISK_E10value_typeET2_T3_PNSL_ISQ_E10value_typeET4_jRbjT5_SW_jjP12ihipStream_tbEUlT_E2_NS1_11comp_targetILNS1_3genE9ELNS1_11target_archE1100ELNS1_3gpuE3ELNS1_3repE0EEENS1_30default_config_static_selectorELNS0_4arch9wavefront6targetE0EEEvSK_: ; @_ZN7rocprim17ROCPRIM_400000_NS6detail17trampoline_kernelINS0_14default_configENS1_36segmented_radix_sort_config_selectorIslEEZNS1_25segmented_radix_sort_implIS3_Lb1EPKsPsPKlPlN2at6native12_GLOBAL__N_18offset_tEEE10hipError_tPvRmT1_PNSt15iterator_traitsISK_E10value_typeET2_T3_PNSL_ISQ_E10value_typeET4_jRbjT5_SW_jjP12ihipStream_tbEUlT_E2_NS1_11comp_targetILNS1_3genE9ELNS1_11target_archE1100ELNS1_3gpuE3ELNS1_3repE0EEENS1_30default_config_static_selectorELNS0_4arch9wavefront6targetE0EEEvSK_
; %bb.0:
	.section	.rodata,"a",@progbits
	.p2align	6, 0x0
	.amdhsa_kernel _ZN7rocprim17ROCPRIM_400000_NS6detail17trampoline_kernelINS0_14default_configENS1_36segmented_radix_sort_config_selectorIslEEZNS1_25segmented_radix_sort_implIS3_Lb1EPKsPsPKlPlN2at6native12_GLOBAL__N_18offset_tEEE10hipError_tPvRmT1_PNSt15iterator_traitsISK_E10value_typeET2_T3_PNSL_ISQ_E10value_typeET4_jRbjT5_SW_jjP12ihipStream_tbEUlT_E2_NS1_11comp_targetILNS1_3genE9ELNS1_11target_archE1100ELNS1_3gpuE3ELNS1_3repE0EEENS1_30default_config_static_selectorELNS0_4arch9wavefront6targetE0EEEvSK_
		.amdhsa_group_segment_fixed_size 0
		.amdhsa_private_segment_fixed_size 0
		.amdhsa_kernarg_size 80
		.amdhsa_user_sgpr_count 2
		.amdhsa_user_sgpr_dispatch_ptr 0
		.amdhsa_user_sgpr_queue_ptr 0
		.amdhsa_user_sgpr_kernarg_segment_ptr 1
		.amdhsa_user_sgpr_dispatch_id 0
		.amdhsa_user_sgpr_private_segment_size 0
		.amdhsa_wavefront_size32 1
		.amdhsa_uses_dynamic_stack 0
		.amdhsa_enable_private_segment 0
		.amdhsa_system_sgpr_workgroup_id_x 1
		.amdhsa_system_sgpr_workgroup_id_y 0
		.amdhsa_system_sgpr_workgroup_id_z 0
		.amdhsa_system_sgpr_workgroup_info 0
		.amdhsa_system_vgpr_workitem_id 0
		.amdhsa_next_free_vgpr 1
		.amdhsa_next_free_sgpr 1
		.amdhsa_reserve_vcc 0
		.amdhsa_float_round_mode_32 0
		.amdhsa_float_round_mode_16_64 0
		.amdhsa_float_denorm_mode_32 3
		.amdhsa_float_denorm_mode_16_64 3
		.amdhsa_fp16_overflow 0
		.amdhsa_workgroup_processor_mode 1
		.amdhsa_memory_ordered 1
		.amdhsa_forward_progress 1
		.amdhsa_inst_pref_size 0
		.amdhsa_round_robin_scheduling 0
		.amdhsa_exception_fp_ieee_invalid_op 0
		.amdhsa_exception_fp_denorm_src 0
		.amdhsa_exception_fp_ieee_div_zero 0
		.amdhsa_exception_fp_ieee_overflow 0
		.amdhsa_exception_fp_ieee_underflow 0
		.amdhsa_exception_fp_ieee_inexact 0
		.amdhsa_exception_int_div_zero 0
	.end_amdhsa_kernel
	.section	.text._ZN7rocprim17ROCPRIM_400000_NS6detail17trampoline_kernelINS0_14default_configENS1_36segmented_radix_sort_config_selectorIslEEZNS1_25segmented_radix_sort_implIS3_Lb1EPKsPsPKlPlN2at6native12_GLOBAL__N_18offset_tEEE10hipError_tPvRmT1_PNSt15iterator_traitsISK_E10value_typeET2_T3_PNSL_ISQ_E10value_typeET4_jRbjT5_SW_jjP12ihipStream_tbEUlT_E2_NS1_11comp_targetILNS1_3genE9ELNS1_11target_archE1100ELNS1_3gpuE3ELNS1_3repE0EEENS1_30default_config_static_selectorELNS0_4arch9wavefront6targetE0EEEvSK_,"axG",@progbits,_ZN7rocprim17ROCPRIM_400000_NS6detail17trampoline_kernelINS0_14default_configENS1_36segmented_radix_sort_config_selectorIslEEZNS1_25segmented_radix_sort_implIS3_Lb1EPKsPsPKlPlN2at6native12_GLOBAL__N_18offset_tEEE10hipError_tPvRmT1_PNSt15iterator_traitsISK_E10value_typeET2_T3_PNSL_ISQ_E10value_typeET4_jRbjT5_SW_jjP12ihipStream_tbEUlT_E2_NS1_11comp_targetILNS1_3genE9ELNS1_11target_archE1100ELNS1_3gpuE3ELNS1_3repE0EEENS1_30default_config_static_selectorELNS0_4arch9wavefront6targetE0EEEvSK_,comdat
.Lfunc_end948:
	.size	_ZN7rocprim17ROCPRIM_400000_NS6detail17trampoline_kernelINS0_14default_configENS1_36segmented_radix_sort_config_selectorIslEEZNS1_25segmented_radix_sort_implIS3_Lb1EPKsPsPKlPlN2at6native12_GLOBAL__N_18offset_tEEE10hipError_tPvRmT1_PNSt15iterator_traitsISK_E10value_typeET2_T3_PNSL_ISQ_E10value_typeET4_jRbjT5_SW_jjP12ihipStream_tbEUlT_E2_NS1_11comp_targetILNS1_3genE9ELNS1_11target_archE1100ELNS1_3gpuE3ELNS1_3repE0EEENS1_30default_config_static_selectorELNS0_4arch9wavefront6targetE0EEEvSK_, .Lfunc_end948-_ZN7rocprim17ROCPRIM_400000_NS6detail17trampoline_kernelINS0_14default_configENS1_36segmented_radix_sort_config_selectorIslEEZNS1_25segmented_radix_sort_implIS3_Lb1EPKsPsPKlPlN2at6native12_GLOBAL__N_18offset_tEEE10hipError_tPvRmT1_PNSt15iterator_traitsISK_E10value_typeET2_T3_PNSL_ISQ_E10value_typeET4_jRbjT5_SW_jjP12ihipStream_tbEUlT_E2_NS1_11comp_targetILNS1_3genE9ELNS1_11target_archE1100ELNS1_3gpuE3ELNS1_3repE0EEENS1_30default_config_static_selectorELNS0_4arch9wavefront6targetE0EEEvSK_
                                        ; -- End function
	.set _ZN7rocprim17ROCPRIM_400000_NS6detail17trampoline_kernelINS0_14default_configENS1_36segmented_radix_sort_config_selectorIslEEZNS1_25segmented_radix_sort_implIS3_Lb1EPKsPsPKlPlN2at6native12_GLOBAL__N_18offset_tEEE10hipError_tPvRmT1_PNSt15iterator_traitsISK_E10value_typeET2_T3_PNSL_ISQ_E10value_typeET4_jRbjT5_SW_jjP12ihipStream_tbEUlT_E2_NS1_11comp_targetILNS1_3genE9ELNS1_11target_archE1100ELNS1_3gpuE3ELNS1_3repE0EEENS1_30default_config_static_selectorELNS0_4arch9wavefront6targetE0EEEvSK_.num_vgpr, 0
	.set _ZN7rocprim17ROCPRIM_400000_NS6detail17trampoline_kernelINS0_14default_configENS1_36segmented_radix_sort_config_selectorIslEEZNS1_25segmented_radix_sort_implIS3_Lb1EPKsPsPKlPlN2at6native12_GLOBAL__N_18offset_tEEE10hipError_tPvRmT1_PNSt15iterator_traitsISK_E10value_typeET2_T3_PNSL_ISQ_E10value_typeET4_jRbjT5_SW_jjP12ihipStream_tbEUlT_E2_NS1_11comp_targetILNS1_3genE9ELNS1_11target_archE1100ELNS1_3gpuE3ELNS1_3repE0EEENS1_30default_config_static_selectorELNS0_4arch9wavefront6targetE0EEEvSK_.num_agpr, 0
	.set _ZN7rocprim17ROCPRIM_400000_NS6detail17trampoline_kernelINS0_14default_configENS1_36segmented_radix_sort_config_selectorIslEEZNS1_25segmented_radix_sort_implIS3_Lb1EPKsPsPKlPlN2at6native12_GLOBAL__N_18offset_tEEE10hipError_tPvRmT1_PNSt15iterator_traitsISK_E10value_typeET2_T3_PNSL_ISQ_E10value_typeET4_jRbjT5_SW_jjP12ihipStream_tbEUlT_E2_NS1_11comp_targetILNS1_3genE9ELNS1_11target_archE1100ELNS1_3gpuE3ELNS1_3repE0EEENS1_30default_config_static_selectorELNS0_4arch9wavefront6targetE0EEEvSK_.numbered_sgpr, 0
	.set _ZN7rocprim17ROCPRIM_400000_NS6detail17trampoline_kernelINS0_14default_configENS1_36segmented_radix_sort_config_selectorIslEEZNS1_25segmented_radix_sort_implIS3_Lb1EPKsPsPKlPlN2at6native12_GLOBAL__N_18offset_tEEE10hipError_tPvRmT1_PNSt15iterator_traitsISK_E10value_typeET2_T3_PNSL_ISQ_E10value_typeET4_jRbjT5_SW_jjP12ihipStream_tbEUlT_E2_NS1_11comp_targetILNS1_3genE9ELNS1_11target_archE1100ELNS1_3gpuE3ELNS1_3repE0EEENS1_30default_config_static_selectorELNS0_4arch9wavefront6targetE0EEEvSK_.num_named_barrier, 0
	.set _ZN7rocprim17ROCPRIM_400000_NS6detail17trampoline_kernelINS0_14default_configENS1_36segmented_radix_sort_config_selectorIslEEZNS1_25segmented_radix_sort_implIS3_Lb1EPKsPsPKlPlN2at6native12_GLOBAL__N_18offset_tEEE10hipError_tPvRmT1_PNSt15iterator_traitsISK_E10value_typeET2_T3_PNSL_ISQ_E10value_typeET4_jRbjT5_SW_jjP12ihipStream_tbEUlT_E2_NS1_11comp_targetILNS1_3genE9ELNS1_11target_archE1100ELNS1_3gpuE3ELNS1_3repE0EEENS1_30default_config_static_selectorELNS0_4arch9wavefront6targetE0EEEvSK_.private_seg_size, 0
	.set _ZN7rocprim17ROCPRIM_400000_NS6detail17trampoline_kernelINS0_14default_configENS1_36segmented_radix_sort_config_selectorIslEEZNS1_25segmented_radix_sort_implIS3_Lb1EPKsPsPKlPlN2at6native12_GLOBAL__N_18offset_tEEE10hipError_tPvRmT1_PNSt15iterator_traitsISK_E10value_typeET2_T3_PNSL_ISQ_E10value_typeET4_jRbjT5_SW_jjP12ihipStream_tbEUlT_E2_NS1_11comp_targetILNS1_3genE9ELNS1_11target_archE1100ELNS1_3gpuE3ELNS1_3repE0EEENS1_30default_config_static_selectorELNS0_4arch9wavefront6targetE0EEEvSK_.uses_vcc, 0
	.set _ZN7rocprim17ROCPRIM_400000_NS6detail17trampoline_kernelINS0_14default_configENS1_36segmented_radix_sort_config_selectorIslEEZNS1_25segmented_radix_sort_implIS3_Lb1EPKsPsPKlPlN2at6native12_GLOBAL__N_18offset_tEEE10hipError_tPvRmT1_PNSt15iterator_traitsISK_E10value_typeET2_T3_PNSL_ISQ_E10value_typeET4_jRbjT5_SW_jjP12ihipStream_tbEUlT_E2_NS1_11comp_targetILNS1_3genE9ELNS1_11target_archE1100ELNS1_3gpuE3ELNS1_3repE0EEENS1_30default_config_static_selectorELNS0_4arch9wavefront6targetE0EEEvSK_.uses_flat_scratch, 0
	.set _ZN7rocprim17ROCPRIM_400000_NS6detail17trampoline_kernelINS0_14default_configENS1_36segmented_radix_sort_config_selectorIslEEZNS1_25segmented_radix_sort_implIS3_Lb1EPKsPsPKlPlN2at6native12_GLOBAL__N_18offset_tEEE10hipError_tPvRmT1_PNSt15iterator_traitsISK_E10value_typeET2_T3_PNSL_ISQ_E10value_typeET4_jRbjT5_SW_jjP12ihipStream_tbEUlT_E2_NS1_11comp_targetILNS1_3genE9ELNS1_11target_archE1100ELNS1_3gpuE3ELNS1_3repE0EEENS1_30default_config_static_selectorELNS0_4arch9wavefront6targetE0EEEvSK_.has_dyn_sized_stack, 0
	.set _ZN7rocprim17ROCPRIM_400000_NS6detail17trampoline_kernelINS0_14default_configENS1_36segmented_radix_sort_config_selectorIslEEZNS1_25segmented_radix_sort_implIS3_Lb1EPKsPsPKlPlN2at6native12_GLOBAL__N_18offset_tEEE10hipError_tPvRmT1_PNSt15iterator_traitsISK_E10value_typeET2_T3_PNSL_ISQ_E10value_typeET4_jRbjT5_SW_jjP12ihipStream_tbEUlT_E2_NS1_11comp_targetILNS1_3genE9ELNS1_11target_archE1100ELNS1_3gpuE3ELNS1_3repE0EEENS1_30default_config_static_selectorELNS0_4arch9wavefront6targetE0EEEvSK_.has_recursion, 0
	.set _ZN7rocprim17ROCPRIM_400000_NS6detail17trampoline_kernelINS0_14default_configENS1_36segmented_radix_sort_config_selectorIslEEZNS1_25segmented_radix_sort_implIS3_Lb1EPKsPsPKlPlN2at6native12_GLOBAL__N_18offset_tEEE10hipError_tPvRmT1_PNSt15iterator_traitsISK_E10value_typeET2_T3_PNSL_ISQ_E10value_typeET4_jRbjT5_SW_jjP12ihipStream_tbEUlT_E2_NS1_11comp_targetILNS1_3genE9ELNS1_11target_archE1100ELNS1_3gpuE3ELNS1_3repE0EEENS1_30default_config_static_selectorELNS0_4arch9wavefront6targetE0EEEvSK_.has_indirect_call, 0
	.section	.AMDGPU.csdata,"",@progbits
; Kernel info:
; codeLenInByte = 0
; TotalNumSgprs: 0
; NumVgprs: 0
; ScratchSize: 0
; MemoryBound: 0
; FloatMode: 240
; IeeeMode: 1
; LDSByteSize: 0 bytes/workgroup (compile time only)
; SGPRBlocks: 0
; VGPRBlocks: 0
; NumSGPRsForWavesPerEU: 1
; NumVGPRsForWavesPerEU: 1
; Occupancy: 16
; WaveLimiterHint : 0
; COMPUTE_PGM_RSRC2:SCRATCH_EN: 0
; COMPUTE_PGM_RSRC2:USER_SGPR: 2
; COMPUTE_PGM_RSRC2:TRAP_HANDLER: 0
; COMPUTE_PGM_RSRC2:TGID_X_EN: 1
; COMPUTE_PGM_RSRC2:TGID_Y_EN: 0
; COMPUTE_PGM_RSRC2:TGID_Z_EN: 0
; COMPUTE_PGM_RSRC2:TIDIG_COMP_CNT: 0
	.section	.text._ZN7rocprim17ROCPRIM_400000_NS6detail17trampoline_kernelINS0_14default_configENS1_36segmented_radix_sort_config_selectorIslEEZNS1_25segmented_radix_sort_implIS3_Lb1EPKsPsPKlPlN2at6native12_GLOBAL__N_18offset_tEEE10hipError_tPvRmT1_PNSt15iterator_traitsISK_E10value_typeET2_T3_PNSL_ISQ_E10value_typeET4_jRbjT5_SW_jjP12ihipStream_tbEUlT_E2_NS1_11comp_targetILNS1_3genE8ELNS1_11target_archE1030ELNS1_3gpuE2ELNS1_3repE0EEENS1_30default_config_static_selectorELNS0_4arch9wavefront6targetE0EEEvSK_,"axG",@progbits,_ZN7rocprim17ROCPRIM_400000_NS6detail17trampoline_kernelINS0_14default_configENS1_36segmented_radix_sort_config_selectorIslEEZNS1_25segmented_radix_sort_implIS3_Lb1EPKsPsPKlPlN2at6native12_GLOBAL__N_18offset_tEEE10hipError_tPvRmT1_PNSt15iterator_traitsISK_E10value_typeET2_T3_PNSL_ISQ_E10value_typeET4_jRbjT5_SW_jjP12ihipStream_tbEUlT_E2_NS1_11comp_targetILNS1_3genE8ELNS1_11target_archE1030ELNS1_3gpuE2ELNS1_3repE0EEENS1_30default_config_static_selectorELNS0_4arch9wavefront6targetE0EEEvSK_,comdat
	.globl	_ZN7rocprim17ROCPRIM_400000_NS6detail17trampoline_kernelINS0_14default_configENS1_36segmented_radix_sort_config_selectorIslEEZNS1_25segmented_radix_sort_implIS3_Lb1EPKsPsPKlPlN2at6native12_GLOBAL__N_18offset_tEEE10hipError_tPvRmT1_PNSt15iterator_traitsISK_E10value_typeET2_T3_PNSL_ISQ_E10value_typeET4_jRbjT5_SW_jjP12ihipStream_tbEUlT_E2_NS1_11comp_targetILNS1_3genE8ELNS1_11target_archE1030ELNS1_3gpuE2ELNS1_3repE0EEENS1_30default_config_static_selectorELNS0_4arch9wavefront6targetE0EEEvSK_ ; -- Begin function _ZN7rocprim17ROCPRIM_400000_NS6detail17trampoline_kernelINS0_14default_configENS1_36segmented_radix_sort_config_selectorIslEEZNS1_25segmented_radix_sort_implIS3_Lb1EPKsPsPKlPlN2at6native12_GLOBAL__N_18offset_tEEE10hipError_tPvRmT1_PNSt15iterator_traitsISK_E10value_typeET2_T3_PNSL_ISQ_E10value_typeET4_jRbjT5_SW_jjP12ihipStream_tbEUlT_E2_NS1_11comp_targetILNS1_3genE8ELNS1_11target_archE1030ELNS1_3gpuE2ELNS1_3repE0EEENS1_30default_config_static_selectorELNS0_4arch9wavefront6targetE0EEEvSK_
	.p2align	8
	.type	_ZN7rocprim17ROCPRIM_400000_NS6detail17trampoline_kernelINS0_14default_configENS1_36segmented_radix_sort_config_selectorIslEEZNS1_25segmented_radix_sort_implIS3_Lb1EPKsPsPKlPlN2at6native12_GLOBAL__N_18offset_tEEE10hipError_tPvRmT1_PNSt15iterator_traitsISK_E10value_typeET2_T3_PNSL_ISQ_E10value_typeET4_jRbjT5_SW_jjP12ihipStream_tbEUlT_E2_NS1_11comp_targetILNS1_3genE8ELNS1_11target_archE1030ELNS1_3gpuE2ELNS1_3repE0EEENS1_30default_config_static_selectorELNS0_4arch9wavefront6targetE0EEEvSK_,@function
_ZN7rocprim17ROCPRIM_400000_NS6detail17trampoline_kernelINS0_14default_configENS1_36segmented_radix_sort_config_selectorIslEEZNS1_25segmented_radix_sort_implIS3_Lb1EPKsPsPKlPlN2at6native12_GLOBAL__N_18offset_tEEE10hipError_tPvRmT1_PNSt15iterator_traitsISK_E10value_typeET2_T3_PNSL_ISQ_E10value_typeET4_jRbjT5_SW_jjP12ihipStream_tbEUlT_E2_NS1_11comp_targetILNS1_3genE8ELNS1_11target_archE1030ELNS1_3gpuE2ELNS1_3repE0EEENS1_30default_config_static_selectorELNS0_4arch9wavefront6targetE0EEEvSK_: ; @_ZN7rocprim17ROCPRIM_400000_NS6detail17trampoline_kernelINS0_14default_configENS1_36segmented_radix_sort_config_selectorIslEEZNS1_25segmented_radix_sort_implIS3_Lb1EPKsPsPKlPlN2at6native12_GLOBAL__N_18offset_tEEE10hipError_tPvRmT1_PNSt15iterator_traitsISK_E10value_typeET2_T3_PNSL_ISQ_E10value_typeET4_jRbjT5_SW_jjP12ihipStream_tbEUlT_E2_NS1_11comp_targetILNS1_3genE8ELNS1_11target_archE1030ELNS1_3gpuE2ELNS1_3repE0EEENS1_30default_config_static_selectorELNS0_4arch9wavefront6targetE0EEEvSK_
; %bb.0:
	.section	.rodata,"a",@progbits
	.p2align	6, 0x0
	.amdhsa_kernel _ZN7rocprim17ROCPRIM_400000_NS6detail17trampoline_kernelINS0_14default_configENS1_36segmented_radix_sort_config_selectorIslEEZNS1_25segmented_radix_sort_implIS3_Lb1EPKsPsPKlPlN2at6native12_GLOBAL__N_18offset_tEEE10hipError_tPvRmT1_PNSt15iterator_traitsISK_E10value_typeET2_T3_PNSL_ISQ_E10value_typeET4_jRbjT5_SW_jjP12ihipStream_tbEUlT_E2_NS1_11comp_targetILNS1_3genE8ELNS1_11target_archE1030ELNS1_3gpuE2ELNS1_3repE0EEENS1_30default_config_static_selectorELNS0_4arch9wavefront6targetE0EEEvSK_
		.amdhsa_group_segment_fixed_size 0
		.amdhsa_private_segment_fixed_size 0
		.amdhsa_kernarg_size 80
		.amdhsa_user_sgpr_count 2
		.amdhsa_user_sgpr_dispatch_ptr 0
		.amdhsa_user_sgpr_queue_ptr 0
		.amdhsa_user_sgpr_kernarg_segment_ptr 1
		.amdhsa_user_sgpr_dispatch_id 0
		.amdhsa_user_sgpr_private_segment_size 0
		.amdhsa_wavefront_size32 1
		.amdhsa_uses_dynamic_stack 0
		.amdhsa_enable_private_segment 0
		.amdhsa_system_sgpr_workgroup_id_x 1
		.amdhsa_system_sgpr_workgroup_id_y 0
		.amdhsa_system_sgpr_workgroup_id_z 0
		.amdhsa_system_sgpr_workgroup_info 0
		.amdhsa_system_vgpr_workitem_id 0
		.amdhsa_next_free_vgpr 1
		.amdhsa_next_free_sgpr 1
		.amdhsa_reserve_vcc 0
		.amdhsa_float_round_mode_32 0
		.amdhsa_float_round_mode_16_64 0
		.amdhsa_float_denorm_mode_32 3
		.amdhsa_float_denorm_mode_16_64 3
		.amdhsa_fp16_overflow 0
		.amdhsa_workgroup_processor_mode 1
		.amdhsa_memory_ordered 1
		.amdhsa_forward_progress 1
		.amdhsa_inst_pref_size 0
		.amdhsa_round_robin_scheduling 0
		.amdhsa_exception_fp_ieee_invalid_op 0
		.amdhsa_exception_fp_denorm_src 0
		.amdhsa_exception_fp_ieee_div_zero 0
		.amdhsa_exception_fp_ieee_overflow 0
		.amdhsa_exception_fp_ieee_underflow 0
		.amdhsa_exception_fp_ieee_inexact 0
		.amdhsa_exception_int_div_zero 0
	.end_amdhsa_kernel
	.section	.text._ZN7rocprim17ROCPRIM_400000_NS6detail17trampoline_kernelINS0_14default_configENS1_36segmented_radix_sort_config_selectorIslEEZNS1_25segmented_radix_sort_implIS3_Lb1EPKsPsPKlPlN2at6native12_GLOBAL__N_18offset_tEEE10hipError_tPvRmT1_PNSt15iterator_traitsISK_E10value_typeET2_T3_PNSL_ISQ_E10value_typeET4_jRbjT5_SW_jjP12ihipStream_tbEUlT_E2_NS1_11comp_targetILNS1_3genE8ELNS1_11target_archE1030ELNS1_3gpuE2ELNS1_3repE0EEENS1_30default_config_static_selectorELNS0_4arch9wavefront6targetE0EEEvSK_,"axG",@progbits,_ZN7rocprim17ROCPRIM_400000_NS6detail17trampoline_kernelINS0_14default_configENS1_36segmented_radix_sort_config_selectorIslEEZNS1_25segmented_radix_sort_implIS3_Lb1EPKsPsPKlPlN2at6native12_GLOBAL__N_18offset_tEEE10hipError_tPvRmT1_PNSt15iterator_traitsISK_E10value_typeET2_T3_PNSL_ISQ_E10value_typeET4_jRbjT5_SW_jjP12ihipStream_tbEUlT_E2_NS1_11comp_targetILNS1_3genE8ELNS1_11target_archE1030ELNS1_3gpuE2ELNS1_3repE0EEENS1_30default_config_static_selectorELNS0_4arch9wavefront6targetE0EEEvSK_,comdat
.Lfunc_end949:
	.size	_ZN7rocprim17ROCPRIM_400000_NS6detail17trampoline_kernelINS0_14default_configENS1_36segmented_radix_sort_config_selectorIslEEZNS1_25segmented_radix_sort_implIS3_Lb1EPKsPsPKlPlN2at6native12_GLOBAL__N_18offset_tEEE10hipError_tPvRmT1_PNSt15iterator_traitsISK_E10value_typeET2_T3_PNSL_ISQ_E10value_typeET4_jRbjT5_SW_jjP12ihipStream_tbEUlT_E2_NS1_11comp_targetILNS1_3genE8ELNS1_11target_archE1030ELNS1_3gpuE2ELNS1_3repE0EEENS1_30default_config_static_selectorELNS0_4arch9wavefront6targetE0EEEvSK_, .Lfunc_end949-_ZN7rocprim17ROCPRIM_400000_NS6detail17trampoline_kernelINS0_14default_configENS1_36segmented_radix_sort_config_selectorIslEEZNS1_25segmented_radix_sort_implIS3_Lb1EPKsPsPKlPlN2at6native12_GLOBAL__N_18offset_tEEE10hipError_tPvRmT1_PNSt15iterator_traitsISK_E10value_typeET2_T3_PNSL_ISQ_E10value_typeET4_jRbjT5_SW_jjP12ihipStream_tbEUlT_E2_NS1_11comp_targetILNS1_3genE8ELNS1_11target_archE1030ELNS1_3gpuE2ELNS1_3repE0EEENS1_30default_config_static_selectorELNS0_4arch9wavefront6targetE0EEEvSK_
                                        ; -- End function
	.set _ZN7rocprim17ROCPRIM_400000_NS6detail17trampoline_kernelINS0_14default_configENS1_36segmented_radix_sort_config_selectorIslEEZNS1_25segmented_radix_sort_implIS3_Lb1EPKsPsPKlPlN2at6native12_GLOBAL__N_18offset_tEEE10hipError_tPvRmT1_PNSt15iterator_traitsISK_E10value_typeET2_T3_PNSL_ISQ_E10value_typeET4_jRbjT5_SW_jjP12ihipStream_tbEUlT_E2_NS1_11comp_targetILNS1_3genE8ELNS1_11target_archE1030ELNS1_3gpuE2ELNS1_3repE0EEENS1_30default_config_static_selectorELNS0_4arch9wavefront6targetE0EEEvSK_.num_vgpr, 0
	.set _ZN7rocprim17ROCPRIM_400000_NS6detail17trampoline_kernelINS0_14default_configENS1_36segmented_radix_sort_config_selectorIslEEZNS1_25segmented_radix_sort_implIS3_Lb1EPKsPsPKlPlN2at6native12_GLOBAL__N_18offset_tEEE10hipError_tPvRmT1_PNSt15iterator_traitsISK_E10value_typeET2_T3_PNSL_ISQ_E10value_typeET4_jRbjT5_SW_jjP12ihipStream_tbEUlT_E2_NS1_11comp_targetILNS1_3genE8ELNS1_11target_archE1030ELNS1_3gpuE2ELNS1_3repE0EEENS1_30default_config_static_selectorELNS0_4arch9wavefront6targetE0EEEvSK_.num_agpr, 0
	.set _ZN7rocprim17ROCPRIM_400000_NS6detail17trampoline_kernelINS0_14default_configENS1_36segmented_radix_sort_config_selectorIslEEZNS1_25segmented_radix_sort_implIS3_Lb1EPKsPsPKlPlN2at6native12_GLOBAL__N_18offset_tEEE10hipError_tPvRmT1_PNSt15iterator_traitsISK_E10value_typeET2_T3_PNSL_ISQ_E10value_typeET4_jRbjT5_SW_jjP12ihipStream_tbEUlT_E2_NS1_11comp_targetILNS1_3genE8ELNS1_11target_archE1030ELNS1_3gpuE2ELNS1_3repE0EEENS1_30default_config_static_selectorELNS0_4arch9wavefront6targetE0EEEvSK_.numbered_sgpr, 0
	.set _ZN7rocprim17ROCPRIM_400000_NS6detail17trampoline_kernelINS0_14default_configENS1_36segmented_radix_sort_config_selectorIslEEZNS1_25segmented_radix_sort_implIS3_Lb1EPKsPsPKlPlN2at6native12_GLOBAL__N_18offset_tEEE10hipError_tPvRmT1_PNSt15iterator_traitsISK_E10value_typeET2_T3_PNSL_ISQ_E10value_typeET4_jRbjT5_SW_jjP12ihipStream_tbEUlT_E2_NS1_11comp_targetILNS1_3genE8ELNS1_11target_archE1030ELNS1_3gpuE2ELNS1_3repE0EEENS1_30default_config_static_selectorELNS0_4arch9wavefront6targetE0EEEvSK_.num_named_barrier, 0
	.set _ZN7rocprim17ROCPRIM_400000_NS6detail17trampoline_kernelINS0_14default_configENS1_36segmented_radix_sort_config_selectorIslEEZNS1_25segmented_radix_sort_implIS3_Lb1EPKsPsPKlPlN2at6native12_GLOBAL__N_18offset_tEEE10hipError_tPvRmT1_PNSt15iterator_traitsISK_E10value_typeET2_T3_PNSL_ISQ_E10value_typeET4_jRbjT5_SW_jjP12ihipStream_tbEUlT_E2_NS1_11comp_targetILNS1_3genE8ELNS1_11target_archE1030ELNS1_3gpuE2ELNS1_3repE0EEENS1_30default_config_static_selectorELNS0_4arch9wavefront6targetE0EEEvSK_.private_seg_size, 0
	.set _ZN7rocprim17ROCPRIM_400000_NS6detail17trampoline_kernelINS0_14default_configENS1_36segmented_radix_sort_config_selectorIslEEZNS1_25segmented_radix_sort_implIS3_Lb1EPKsPsPKlPlN2at6native12_GLOBAL__N_18offset_tEEE10hipError_tPvRmT1_PNSt15iterator_traitsISK_E10value_typeET2_T3_PNSL_ISQ_E10value_typeET4_jRbjT5_SW_jjP12ihipStream_tbEUlT_E2_NS1_11comp_targetILNS1_3genE8ELNS1_11target_archE1030ELNS1_3gpuE2ELNS1_3repE0EEENS1_30default_config_static_selectorELNS0_4arch9wavefront6targetE0EEEvSK_.uses_vcc, 0
	.set _ZN7rocprim17ROCPRIM_400000_NS6detail17trampoline_kernelINS0_14default_configENS1_36segmented_radix_sort_config_selectorIslEEZNS1_25segmented_radix_sort_implIS3_Lb1EPKsPsPKlPlN2at6native12_GLOBAL__N_18offset_tEEE10hipError_tPvRmT1_PNSt15iterator_traitsISK_E10value_typeET2_T3_PNSL_ISQ_E10value_typeET4_jRbjT5_SW_jjP12ihipStream_tbEUlT_E2_NS1_11comp_targetILNS1_3genE8ELNS1_11target_archE1030ELNS1_3gpuE2ELNS1_3repE0EEENS1_30default_config_static_selectorELNS0_4arch9wavefront6targetE0EEEvSK_.uses_flat_scratch, 0
	.set _ZN7rocprim17ROCPRIM_400000_NS6detail17trampoline_kernelINS0_14default_configENS1_36segmented_radix_sort_config_selectorIslEEZNS1_25segmented_radix_sort_implIS3_Lb1EPKsPsPKlPlN2at6native12_GLOBAL__N_18offset_tEEE10hipError_tPvRmT1_PNSt15iterator_traitsISK_E10value_typeET2_T3_PNSL_ISQ_E10value_typeET4_jRbjT5_SW_jjP12ihipStream_tbEUlT_E2_NS1_11comp_targetILNS1_3genE8ELNS1_11target_archE1030ELNS1_3gpuE2ELNS1_3repE0EEENS1_30default_config_static_selectorELNS0_4arch9wavefront6targetE0EEEvSK_.has_dyn_sized_stack, 0
	.set _ZN7rocprim17ROCPRIM_400000_NS6detail17trampoline_kernelINS0_14default_configENS1_36segmented_radix_sort_config_selectorIslEEZNS1_25segmented_radix_sort_implIS3_Lb1EPKsPsPKlPlN2at6native12_GLOBAL__N_18offset_tEEE10hipError_tPvRmT1_PNSt15iterator_traitsISK_E10value_typeET2_T3_PNSL_ISQ_E10value_typeET4_jRbjT5_SW_jjP12ihipStream_tbEUlT_E2_NS1_11comp_targetILNS1_3genE8ELNS1_11target_archE1030ELNS1_3gpuE2ELNS1_3repE0EEENS1_30default_config_static_selectorELNS0_4arch9wavefront6targetE0EEEvSK_.has_recursion, 0
	.set _ZN7rocprim17ROCPRIM_400000_NS6detail17trampoline_kernelINS0_14default_configENS1_36segmented_radix_sort_config_selectorIslEEZNS1_25segmented_radix_sort_implIS3_Lb1EPKsPsPKlPlN2at6native12_GLOBAL__N_18offset_tEEE10hipError_tPvRmT1_PNSt15iterator_traitsISK_E10value_typeET2_T3_PNSL_ISQ_E10value_typeET4_jRbjT5_SW_jjP12ihipStream_tbEUlT_E2_NS1_11comp_targetILNS1_3genE8ELNS1_11target_archE1030ELNS1_3gpuE2ELNS1_3repE0EEENS1_30default_config_static_selectorELNS0_4arch9wavefront6targetE0EEEvSK_.has_indirect_call, 0
	.section	.AMDGPU.csdata,"",@progbits
; Kernel info:
; codeLenInByte = 0
; TotalNumSgprs: 0
; NumVgprs: 0
; ScratchSize: 0
; MemoryBound: 0
; FloatMode: 240
; IeeeMode: 1
; LDSByteSize: 0 bytes/workgroup (compile time only)
; SGPRBlocks: 0
; VGPRBlocks: 0
; NumSGPRsForWavesPerEU: 1
; NumVGPRsForWavesPerEU: 1
; Occupancy: 16
; WaveLimiterHint : 0
; COMPUTE_PGM_RSRC2:SCRATCH_EN: 0
; COMPUTE_PGM_RSRC2:USER_SGPR: 2
; COMPUTE_PGM_RSRC2:TRAP_HANDLER: 0
; COMPUTE_PGM_RSRC2:TGID_X_EN: 1
; COMPUTE_PGM_RSRC2:TGID_Y_EN: 0
; COMPUTE_PGM_RSRC2:TGID_Z_EN: 0
; COMPUTE_PGM_RSRC2:TIDIG_COMP_CNT: 0
	.section	.text._ZN7rocprim17ROCPRIM_400000_NS6detail17trampoline_kernelINS0_13select_configILj256ELj13ELNS0_17block_load_methodE3ELS4_3ELS4_3ELNS0_20block_scan_algorithmE0ELj4294967295EEENS1_25partition_config_selectorILNS1_17partition_subalgoE4EjNS0_10empty_typeEbEEZZNS1_14partition_implILS8_4ELb0ES6_15HIP_vector_typeIjLj2EENS0_17counting_iteratorIjlEEPS9_SG_NS0_5tupleIJPjSI_NS0_16reverse_iteratorISI_EEEEENSH_IJSG_SG_SG_EEES9_SI_JZNS1_25segmented_radix_sort_implINS0_14default_configELb0EPKsPsPKlPlN2at6native12_GLOBAL__N_18offset_tEEE10hipError_tPvRmT1_PNSt15iterator_traitsIS12_E10value_typeET2_T3_PNS13_IS18_E10value_typeET4_jRbjT5_S1E_jjP12ihipStream_tbEUljE_ZNSN_ISO_Lb0ESQ_SR_ST_SU_SY_EESZ_S10_S11_S12_S16_S17_S18_S1B_S1C_jS1D_jS1E_S1E_jjS1G_bEUljE0_EEESZ_S10_S11_S18_S1C_S1E_T6_T7_T9_mT8_S1G_bDpT10_ENKUlT_T0_E_clISt17integral_constantIbLb0EES1U_EEDaS1P_S1Q_EUlS1P_E_NS1_11comp_targetILNS1_3genE0ELNS1_11target_archE4294967295ELNS1_3gpuE0ELNS1_3repE0EEENS1_30default_config_static_selectorELNS0_4arch9wavefront6targetE0EEEvS12_,"axG",@progbits,_ZN7rocprim17ROCPRIM_400000_NS6detail17trampoline_kernelINS0_13select_configILj256ELj13ELNS0_17block_load_methodE3ELS4_3ELS4_3ELNS0_20block_scan_algorithmE0ELj4294967295EEENS1_25partition_config_selectorILNS1_17partition_subalgoE4EjNS0_10empty_typeEbEEZZNS1_14partition_implILS8_4ELb0ES6_15HIP_vector_typeIjLj2EENS0_17counting_iteratorIjlEEPS9_SG_NS0_5tupleIJPjSI_NS0_16reverse_iteratorISI_EEEEENSH_IJSG_SG_SG_EEES9_SI_JZNS1_25segmented_radix_sort_implINS0_14default_configELb0EPKsPsPKlPlN2at6native12_GLOBAL__N_18offset_tEEE10hipError_tPvRmT1_PNSt15iterator_traitsIS12_E10value_typeET2_T3_PNS13_IS18_E10value_typeET4_jRbjT5_S1E_jjP12ihipStream_tbEUljE_ZNSN_ISO_Lb0ESQ_SR_ST_SU_SY_EESZ_S10_S11_S12_S16_S17_S18_S1B_S1C_jS1D_jS1E_S1E_jjS1G_bEUljE0_EEESZ_S10_S11_S18_S1C_S1E_T6_T7_T9_mT8_S1G_bDpT10_ENKUlT_T0_E_clISt17integral_constantIbLb0EES1U_EEDaS1P_S1Q_EUlS1P_E_NS1_11comp_targetILNS1_3genE0ELNS1_11target_archE4294967295ELNS1_3gpuE0ELNS1_3repE0EEENS1_30default_config_static_selectorELNS0_4arch9wavefront6targetE0EEEvS12_,comdat
	.globl	_ZN7rocprim17ROCPRIM_400000_NS6detail17trampoline_kernelINS0_13select_configILj256ELj13ELNS0_17block_load_methodE3ELS4_3ELS4_3ELNS0_20block_scan_algorithmE0ELj4294967295EEENS1_25partition_config_selectorILNS1_17partition_subalgoE4EjNS0_10empty_typeEbEEZZNS1_14partition_implILS8_4ELb0ES6_15HIP_vector_typeIjLj2EENS0_17counting_iteratorIjlEEPS9_SG_NS0_5tupleIJPjSI_NS0_16reverse_iteratorISI_EEEEENSH_IJSG_SG_SG_EEES9_SI_JZNS1_25segmented_radix_sort_implINS0_14default_configELb0EPKsPsPKlPlN2at6native12_GLOBAL__N_18offset_tEEE10hipError_tPvRmT1_PNSt15iterator_traitsIS12_E10value_typeET2_T3_PNS13_IS18_E10value_typeET4_jRbjT5_S1E_jjP12ihipStream_tbEUljE_ZNSN_ISO_Lb0ESQ_SR_ST_SU_SY_EESZ_S10_S11_S12_S16_S17_S18_S1B_S1C_jS1D_jS1E_S1E_jjS1G_bEUljE0_EEESZ_S10_S11_S18_S1C_S1E_T6_T7_T9_mT8_S1G_bDpT10_ENKUlT_T0_E_clISt17integral_constantIbLb0EES1U_EEDaS1P_S1Q_EUlS1P_E_NS1_11comp_targetILNS1_3genE0ELNS1_11target_archE4294967295ELNS1_3gpuE0ELNS1_3repE0EEENS1_30default_config_static_selectorELNS0_4arch9wavefront6targetE0EEEvS12_ ; -- Begin function _ZN7rocprim17ROCPRIM_400000_NS6detail17trampoline_kernelINS0_13select_configILj256ELj13ELNS0_17block_load_methodE3ELS4_3ELS4_3ELNS0_20block_scan_algorithmE0ELj4294967295EEENS1_25partition_config_selectorILNS1_17partition_subalgoE4EjNS0_10empty_typeEbEEZZNS1_14partition_implILS8_4ELb0ES6_15HIP_vector_typeIjLj2EENS0_17counting_iteratorIjlEEPS9_SG_NS0_5tupleIJPjSI_NS0_16reverse_iteratorISI_EEEEENSH_IJSG_SG_SG_EEES9_SI_JZNS1_25segmented_radix_sort_implINS0_14default_configELb0EPKsPsPKlPlN2at6native12_GLOBAL__N_18offset_tEEE10hipError_tPvRmT1_PNSt15iterator_traitsIS12_E10value_typeET2_T3_PNS13_IS18_E10value_typeET4_jRbjT5_S1E_jjP12ihipStream_tbEUljE_ZNSN_ISO_Lb0ESQ_SR_ST_SU_SY_EESZ_S10_S11_S12_S16_S17_S18_S1B_S1C_jS1D_jS1E_S1E_jjS1G_bEUljE0_EEESZ_S10_S11_S18_S1C_S1E_T6_T7_T9_mT8_S1G_bDpT10_ENKUlT_T0_E_clISt17integral_constantIbLb0EES1U_EEDaS1P_S1Q_EUlS1P_E_NS1_11comp_targetILNS1_3genE0ELNS1_11target_archE4294967295ELNS1_3gpuE0ELNS1_3repE0EEENS1_30default_config_static_selectorELNS0_4arch9wavefront6targetE0EEEvS12_
	.p2align	8
	.type	_ZN7rocprim17ROCPRIM_400000_NS6detail17trampoline_kernelINS0_13select_configILj256ELj13ELNS0_17block_load_methodE3ELS4_3ELS4_3ELNS0_20block_scan_algorithmE0ELj4294967295EEENS1_25partition_config_selectorILNS1_17partition_subalgoE4EjNS0_10empty_typeEbEEZZNS1_14partition_implILS8_4ELb0ES6_15HIP_vector_typeIjLj2EENS0_17counting_iteratorIjlEEPS9_SG_NS0_5tupleIJPjSI_NS0_16reverse_iteratorISI_EEEEENSH_IJSG_SG_SG_EEES9_SI_JZNS1_25segmented_radix_sort_implINS0_14default_configELb0EPKsPsPKlPlN2at6native12_GLOBAL__N_18offset_tEEE10hipError_tPvRmT1_PNSt15iterator_traitsIS12_E10value_typeET2_T3_PNS13_IS18_E10value_typeET4_jRbjT5_S1E_jjP12ihipStream_tbEUljE_ZNSN_ISO_Lb0ESQ_SR_ST_SU_SY_EESZ_S10_S11_S12_S16_S17_S18_S1B_S1C_jS1D_jS1E_S1E_jjS1G_bEUljE0_EEESZ_S10_S11_S18_S1C_S1E_T6_T7_T9_mT8_S1G_bDpT10_ENKUlT_T0_E_clISt17integral_constantIbLb0EES1U_EEDaS1P_S1Q_EUlS1P_E_NS1_11comp_targetILNS1_3genE0ELNS1_11target_archE4294967295ELNS1_3gpuE0ELNS1_3repE0EEENS1_30default_config_static_selectorELNS0_4arch9wavefront6targetE0EEEvS12_,@function
_ZN7rocprim17ROCPRIM_400000_NS6detail17trampoline_kernelINS0_13select_configILj256ELj13ELNS0_17block_load_methodE3ELS4_3ELS4_3ELNS0_20block_scan_algorithmE0ELj4294967295EEENS1_25partition_config_selectorILNS1_17partition_subalgoE4EjNS0_10empty_typeEbEEZZNS1_14partition_implILS8_4ELb0ES6_15HIP_vector_typeIjLj2EENS0_17counting_iteratorIjlEEPS9_SG_NS0_5tupleIJPjSI_NS0_16reverse_iteratorISI_EEEEENSH_IJSG_SG_SG_EEES9_SI_JZNS1_25segmented_radix_sort_implINS0_14default_configELb0EPKsPsPKlPlN2at6native12_GLOBAL__N_18offset_tEEE10hipError_tPvRmT1_PNSt15iterator_traitsIS12_E10value_typeET2_T3_PNS13_IS18_E10value_typeET4_jRbjT5_S1E_jjP12ihipStream_tbEUljE_ZNSN_ISO_Lb0ESQ_SR_ST_SU_SY_EESZ_S10_S11_S12_S16_S17_S18_S1B_S1C_jS1D_jS1E_S1E_jjS1G_bEUljE0_EEESZ_S10_S11_S18_S1C_S1E_T6_T7_T9_mT8_S1G_bDpT10_ENKUlT_T0_E_clISt17integral_constantIbLb0EES1U_EEDaS1P_S1Q_EUlS1P_E_NS1_11comp_targetILNS1_3genE0ELNS1_11target_archE4294967295ELNS1_3gpuE0ELNS1_3repE0EEENS1_30default_config_static_selectorELNS0_4arch9wavefront6targetE0EEEvS12_: ; @_ZN7rocprim17ROCPRIM_400000_NS6detail17trampoline_kernelINS0_13select_configILj256ELj13ELNS0_17block_load_methodE3ELS4_3ELS4_3ELNS0_20block_scan_algorithmE0ELj4294967295EEENS1_25partition_config_selectorILNS1_17partition_subalgoE4EjNS0_10empty_typeEbEEZZNS1_14partition_implILS8_4ELb0ES6_15HIP_vector_typeIjLj2EENS0_17counting_iteratorIjlEEPS9_SG_NS0_5tupleIJPjSI_NS0_16reverse_iteratorISI_EEEEENSH_IJSG_SG_SG_EEES9_SI_JZNS1_25segmented_radix_sort_implINS0_14default_configELb0EPKsPsPKlPlN2at6native12_GLOBAL__N_18offset_tEEE10hipError_tPvRmT1_PNSt15iterator_traitsIS12_E10value_typeET2_T3_PNS13_IS18_E10value_typeET4_jRbjT5_S1E_jjP12ihipStream_tbEUljE_ZNSN_ISO_Lb0ESQ_SR_ST_SU_SY_EESZ_S10_S11_S12_S16_S17_S18_S1B_S1C_jS1D_jS1E_S1E_jjS1G_bEUljE0_EEESZ_S10_S11_S18_S1C_S1E_T6_T7_T9_mT8_S1G_bDpT10_ENKUlT_T0_E_clISt17integral_constantIbLb0EES1U_EEDaS1P_S1Q_EUlS1P_E_NS1_11comp_targetILNS1_3genE0ELNS1_11target_archE4294967295ELNS1_3gpuE0ELNS1_3repE0EEENS1_30default_config_static_selectorELNS0_4arch9wavefront6targetE0EEEvS12_
; %bb.0:
	.section	.rodata,"a",@progbits
	.p2align	6, 0x0
	.amdhsa_kernel _ZN7rocprim17ROCPRIM_400000_NS6detail17trampoline_kernelINS0_13select_configILj256ELj13ELNS0_17block_load_methodE3ELS4_3ELS4_3ELNS0_20block_scan_algorithmE0ELj4294967295EEENS1_25partition_config_selectorILNS1_17partition_subalgoE4EjNS0_10empty_typeEbEEZZNS1_14partition_implILS8_4ELb0ES6_15HIP_vector_typeIjLj2EENS0_17counting_iteratorIjlEEPS9_SG_NS0_5tupleIJPjSI_NS0_16reverse_iteratorISI_EEEEENSH_IJSG_SG_SG_EEES9_SI_JZNS1_25segmented_radix_sort_implINS0_14default_configELb0EPKsPsPKlPlN2at6native12_GLOBAL__N_18offset_tEEE10hipError_tPvRmT1_PNSt15iterator_traitsIS12_E10value_typeET2_T3_PNS13_IS18_E10value_typeET4_jRbjT5_S1E_jjP12ihipStream_tbEUljE_ZNSN_ISO_Lb0ESQ_SR_ST_SU_SY_EESZ_S10_S11_S12_S16_S17_S18_S1B_S1C_jS1D_jS1E_S1E_jjS1G_bEUljE0_EEESZ_S10_S11_S18_S1C_S1E_T6_T7_T9_mT8_S1G_bDpT10_ENKUlT_T0_E_clISt17integral_constantIbLb0EES1U_EEDaS1P_S1Q_EUlS1P_E_NS1_11comp_targetILNS1_3genE0ELNS1_11target_archE4294967295ELNS1_3gpuE0ELNS1_3repE0EEENS1_30default_config_static_selectorELNS0_4arch9wavefront6targetE0EEEvS12_
		.amdhsa_group_segment_fixed_size 0
		.amdhsa_private_segment_fixed_size 0
		.amdhsa_kernarg_size 176
		.amdhsa_user_sgpr_count 2
		.amdhsa_user_sgpr_dispatch_ptr 0
		.amdhsa_user_sgpr_queue_ptr 0
		.amdhsa_user_sgpr_kernarg_segment_ptr 1
		.amdhsa_user_sgpr_dispatch_id 0
		.amdhsa_user_sgpr_private_segment_size 0
		.amdhsa_wavefront_size32 1
		.amdhsa_uses_dynamic_stack 0
		.amdhsa_enable_private_segment 0
		.amdhsa_system_sgpr_workgroup_id_x 1
		.amdhsa_system_sgpr_workgroup_id_y 0
		.amdhsa_system_sgpr_workgroup_id_z 0
		.amdhsa_system_sgpr_workgroup_info 0
		.amdhsa_system_vgpr_workitem_id 0
		.amdhsa_next_free_vgpr 1
		.amdhsa_next_free_sgpr 1
		.amdhsa_reserve_vcc 0
		.amdhsa_float_round_mode_32 0
		.amdhsa_float_round_mode_16_64 0
		.amdhsa_float_denorm_mode_32 3
		.amdhsa_float_denorm_mode_16_64 3
		.amdhsa_fp16_overflow 0
		.amdhsa_workgroup_processor_mode 1
		.amdhsa_memory_ordered 1
		.amdhsa_forward_progress 1
		.amdhsa_inst_pref_size 0
		.amdhsa_round_robin_scheduling 0
		.amdhsa_exception_fp_ieee_invalid_op 0
		.amdhsa_exception_fp_denorm_src 0
		.amdhsa_exception_fp_ieee_div_zero 0
		.amdhsa_exception_fp_ieee_overflow 0
		.amdhsa_exception_fp_ieee_underflow 0
		.amdhsa_exception_fp_ieee_inexact 0
		.amdhsa_exception_int_div_zero 0
	.end_amdhsa_kernel
	.section	.text._ZN7rocprim17ROCPRIM_400000_NS6detail17trampoline_kernelINS0_13select_configILj256ELj13ELNS0_17block_load_methodE3ELS4_3ELS4_3ELNS0_20block_scan_algorithmE0ELj4294967295EEENS1_25partition_config_selectorILNS1_17partition_subalgoE4EjNS0_10empty_typeEbEEZZNS1_14partition_implILS8_4ELb0ES6_15HIP_vector_typeIjLj2EENS0_17counting_iteratorIjlEEPS9_SG_NS0_5tupleIJPjSI_NS0_16reverse_iteratorISI_EEEEENSH_IJSG_SG_SG_EEES9_SI_JZNS1_25segmented_radix_sort_implINS0_14default_configELb0EPKsPsPKlPlN2at6native12_GLOBAL__N_18offset_tEEE10hipError_tPvRmT1_PNSt15iterator_traitsIS12_E10value_typeET2_T3_PNS13_IS18_E10value_typeET4_jRbjT5_S1E_jjP12ihipStream_tbEUljE_ZNSN_ISO_Lb0ESQ_SR_ST_SU_SY_EESZ_S10_S11_S12_S16_S17_S18_S1B_S1C_jS1D_jS1E_S1E_jjS1G_bEUljE0_EEESZ_S10_S11_S18_S1C_S1E_T6_T7_T9_mT8_S1G_bDpT10_ENKUlT_T0_E_clISt17integral_constantIbLb0EES1U_EEDaS1P_S1Q_EUlS1P_E_NS1_11comp_targetILNS1_3genE0ELNS1_11target_archE4294967295ELNS1_3gpuE0ELNS1_3repE0EEENS1_30default_config_static_selectorELNS0_4arch9wavefront6targetE0EEEvS12_,"axG",@progbits,_ZN7rocprim17ROCPRIM_400000_NS6detail17trampoline_kernelINS0_13select_configILj256ELj13ELNS0_17block_load_methodE3ELS4_3ELS4_3ELNS0_20block_scan_algorithmE0ELj4294967295EEENS1_25partition_config_selectorILNS1_17partition_subalgoE4EjNS0_10empty_typeEbEEZZNS1_14partition_implILS8_4ELb0ES6_15HIP_vector_typeIjLj2EENS0_17counting_iteratorIjlEEPS9_SG_NS0_5tupleIJPjSI_NS0_16reverse_iteratorISI_EEEEENSH_IJSG_SG_SG_EEES9_SI_JZNS1_25segmented_radix_sort_implINS0_14default_configELb0EPKsPsPKlPlN2at6native12_GLOBAL__N_18offset_tEEE10hipError_tPvRmT1_PNSt15iterator_traitsIS12_E10value_typeET2_T3_PNS13_IS18_E10value_typeET4_jRbjT5_S1E_jjP12ihipStream_tbEUljE_ZNSN_ISO_Lb0ESQ_SR_ST_SU_SY_EESZ_S10_S11_S12_S16_S17_S18_S1B_S1C_jS1D_jS1E_S1E_jjS1G_bEUljE0_EEESZ_S10_S11_S18_S1C_S1E_T6_T7_T9_mT8_S1G_bDpT10_ENKUlT_T0_E_clISt17integral_constantIbLb0EES1U_EEDaS1P_S1Q_EUlS1P_E_NS1_11comp_targetILNS1_3genE0ELNS1_11target_archE4294967295ELNS1_3gpuE0ELNS1_3repE0EEENS1_30default_config_static_selectorELNS0_4arch9wavefront6targetE0EEEvS12_,comdat
.Lfunc_end950:
	.size	_ZN7rocprim17ROCPRIM_400000_NS6detail17trampoline_kernelINS0_13select_configILj256ELj13ELNS0_17block_load_methodE3ELS4_3ELS4_3ELNS0_20block_scan_algorithmE0ELj4294967295EEENS1_25partition_config_selectorILNS1_17partition_subalgoE4EjNS0_10empty_typeEbEEZZNS1_14partition_implILS8_4ELb0ES6_15HIP_vector_typeIjLj2EENS0_17counting_iteratorIjlEEPS9_SG_NS0_5tupleIJPjSI_NS0_16reverse_iteratorISI_EEEEENSH_IJSG_SG_SG_EEES9_SI_JZNS1_25segmented_radix_sort_implINS0_14default_configELb0EPKsPsPKlPlN2at6native12_GLOBAL__N_18offset_tEEE10hipError_tPvRmT1_PNSt15iterator_traitsIS12_E10value_typeET2_T3_PNS13_IS18_E10value_typeET4_jRbjT5_S1E_jjP12ihipStream_tbEUljE_ZNSN_ISO_Lb0ESQ_SR_ST_SU_SY_EESZ_S10_S11_S12_S16_S17_S18_S1B_S1C_jS1D_jS1E_S1E_jjS1G_bEUljE0_EEESZ_S10_S11_S18_S1C_S1E_T6_T7_T9_mT8_S1G_bDpT10_ENKUlT_T0_E_clISt17integral_constantIbLb0EES1U_EEDaS1P_S1Q_EUlS1P_E_NS1_11comp_targetILNS1_3genE0ELNS1_11target_archE4294967295ELNS1_3gpuE0ELNS1_3repE0EEENS1_30default_config_static_selectorELNS0_4arch9wavefront6targetE0EEEvS12_, .Lfunc_end950-_ZN7rocprim17ROCPRIM_400000_NS6detail17trampoline_kernelINS0_13select_configILj256ELj13ELNS0_17block_load_methodE3ELS4_3ELS4_3ELNS0_20block_scan_algorithmE0ELj4294967295EEENS1_25partition_config_selectorILNS1_17partition_subalgoE4EjNS0_10empty_typeEbEEZZNS1_14partition_implILS8_4ELb0ES6_15HIP_vector_typeIjLj2EENS0_17counting_iteratorIjlEEPS9_SG_NS0_5tupleIJPjSI_NS0_16reverse_iteratorISI_EEEEENSH_IJSG_SG_SG_EEES9_SI_JZNS1_25segmented_radix_sort_implINS0_14default_configELb0EPKsPsPKlPlN2at6native12_GLOBAL__N_18offset_tEEE10hipError_tPvRmT1_PNSt15iterator_traitsIS12_E10value_typeET2_T3_PNS13_IS18_E10value_typeET4_jRbjT5_S1E_jjP12ihipStream_tbEUljE_ZNSN_ISO_Lb0ESQ_SR_ST_SU_SY_EESZ_S10_S11_S12_S16_S17_S18_S1B_S1C_jS1D_jS1E_S1E_jjS1G_bEUljE0_EEESZ_S10_S11_S18_S1C_S1E_T6_T7_T9_mT8_S1G_bDpT10_ENKUlT_T0_E_clISt17integral_constantIbLb0EES1U_EEDaS1P_S1Q_EUlS1P_E_NS1_11comp_targetILNS1_3genE0ELNS1_11target_archE4294967295ELNS1_3gpuE0ELNS1_3repE0EEENS1_30default_config_static_selectorELNS0_4arch9wavefront6targetE0EEEvS12_
                                        ; -- End function
	.set _ZN7rocprim17ROCPRIM_400000_NS6detail17trampoline_kernelINS0_13select_configILj256ELj13ELNS0_17block_load_methodE3ELS4_3ELS4_3ELNS0_20block_scan_algorithmE0ELj4294967295EEENS1_25partition_config_selectorILNS1_17partition_subalgoE4EjNS0_10empty_typeEbEEZZNS1_14partition_implILS8_4ELb0ES6_15HIP_vector_typeIjLj2EENS0_17counting_iteratorIjlEEPS9_SG_NS0_5tupleIJPjSI_NS0_16reverse_iteratorISI_EEEEENSH_IJSG_SG_SG_EEES9_SI_JZNS1_25segmented_radix_sort_implINS0_14default_configELb0EPKsPsPKlPlN2at6native12_GLOBAL__N_18offset_tEEE10hipError_tPvRmT1_PNSt15iterator_traitsIS12_E10value_typeET2_T3_PNS13_IS18_E10value_typeET4_jRbjT5_S1E_jjP12ihipStream_tbEUljE_ZNSN_ISO_Lb0ESQ_SR_ST_SU_SY_EESZ_S10_S11_S12_S16_S17_S18_S1B_S1C_jS1D_jS1E_S1E_jjS1G_bEUljE0_EEESZ_S10_S11_S18_S1C_S1E_T6_T7_T9_mT8_S1G_bDpT10_ENKUlT_T0_E_clISt17integral_constantIbLb0EES1U_EEDaS1P_S1Q_EUlS1P_E_NS1_11comp_targetILNS1_3genE0ELNS1_11target_archE4294967295ELNS1_3gpuE0ELNS1_3repE0EEENS1_30default_config_static_selectorELNS0_4arch9wavefront6targetE0EEEvS12_.num_vgpr, 0
	.set _ZN7rocprim17ROCPRIM_400000_NS6detail17trampoline_kernelINS0_13select_configILj256ELj13ELNS0_17block_load_methodE3ELS4_3ELS4_3ELNS0_20block_scan_algorithmE0ELj4294967295EEENS1_25partition_config_selectorILNS1_17partition_subalgoE4EjNS0_10empty_typeEbEEZZNS1_14partition_implILS8_4ELb0ES6_15HIP_vector_typeIjLj2EENS0_17counting_iteratorIjlEEPS9_SG_NS0_5tupleIJPjSI_NS0_16reverse_iteratorISI_EEEEENSH_IJSG_SG_SG_EEES9_SI_JZNS1_25segmented_radix_sort_implINS0_14default_configELb0EPKsPsPKlPlN2at6native12_GLOBAL__N_18offset_tEEE10hipError_tPvRmT1_PNSt15iterator_traitsIS12_E10value_typeET2_T3_PNS13_IS18_E10value_typeET4_jRbjT5_S1E_jjP12ihipStream_tbEUljE_ZNSN_ISO_Lb0ESQ_SR_ST_SU_SY_EESZ_S10_S11_S12_S16_S17_S18_S1B_S1C_jS1D_jS1E_S1E_jjS1G_bEUljE0_EEESZ_S10_S11_S18_S1C_S1E_T6_T7_T9_mT8_S1G_bDpT10_ENKUlT_T0_E_clISt17integral_constantIbLb0EES1U_EEDaS1P_S1Q_EUlS1P_E_NS1_11comp_targetILNS1_3genE0ELNS1_11target_archE4294967295ELNS1_3gpuE0ELNS1_3repE0EEENS1_30default_config_static_selectorELNS0_4arch9wavefront6targetE0EEEvS12_.num_agpr, 0
	.set _ZN7rocprim17ROCPRIM_400000_NS6detail17trampoline_kernelINS0_13select_configILj256ELj13ELNS0_17block_load_methodE3ELS4_3ELS4_3ELNS0_20block_scan_algorithmE0ELj4294967295EEENS1_25partition_config_selectorILNS1_17partition_subalgoE4EjNS0_10empty_typeEbEEZZNS1_14partition_implILS8_4ELb0ES6_15HIP_vector_typeIjLj2EENS0_17counting_iteratorIjlEEPS9_SG_NS0_5tupleIJPjSI_NS0_16reverse_iteratorISI_EEEEENSH_IJSG_SG_SG_EEES9_SI_JZNS1_25segmented_radix_sort_implINS0_14default_configELb0EPKsPsPKlPlN2at6native12_GLOBAL__N_18offset_tEEE10hipError_tPvRmT1_PNSt15iterator_traitsIS12_E10value_typeET2_T3_PNS13_IS18_E10value_typeET4_jRbjT5_S1E_jjP12ihipStream_tbEUljE_ZNSN_ISO_Lb0ESQ_SR_ST_SU_SY_EESZ_S10_S11_S12_S16_S17_S18_S1B_S1C_jS1D_jS1E_S1E_jjS1G_bEUljE0_EEESZ_S10_S11_S18_S1C_S1E_T6_T7_T9_mT8_S1G_bDpT10_ENKUlT_T0_E_clISt17integral_constantIbLb0EES1U_EEDaS1P_S1Q_EUlS1P_E_NS1_11comp_targetILNS1_3genE0ELNS1_11target_archE4294967295ELNS1_3gpuE0ELNS1_3repE0EEENS1_30default_config_static_selectorELNS0_4arch9wavefront6targetE0EEEvS12_.numbered_sgpr, 0
	.set _ZN7rocprim17ROCPRIM_400000_NS6detail17trampoline_kernelINS0_13select_configILj256ELj13ELNS0_17block_load_methodE3ELS4_3ELS4_3ELNS0_20block_scan_algorithmE0ELj4294967295EEENS1_25partition_config_selectorILNS1_17partition_subalgoE4EjNS0_10empty_typeEbEEZZNS1_14partition_implILS8_4ELb0ES6_15HIP_vector_typeIjLj2EENS0_17counting_iteratorIjlEEPS9_SG_NS0_5tupleIJPjSI_NS0_16reverse_iteratorISI_EEEEENSH_IJSG_SG_SG_EEES9_SI_JZNS1_25segmented_radix_sort_implINS0_14default_configELb0EPKsPsPKlPlN2at6native12_GLOBAL__N_18offset_tEEE10hipError_tPvRmT1_PNSt15iterator_traitsIS12_E10value_typeET2_T3_PNS13_IS18_E10value_typeET4_jRbjT5_S1E_jjP12ihipStream_tbEUljE_ZNSN_ISO_Lb0ESQ_SR_ST_SU_SY_EESZ_S10_S11_S12_S16_S17_S18_S1B_S1C_jS1D_jS1E_S1E_jjS1G_bEUljE0_EEESZ_S10_S11_S18_S1C_S1E_T6_T7_T9_mT8_S1G_bDpT10_ENKUlT_T0_E_clISt17integral_constantIbLb0EES1U_EEDaS1P_S1Q_EUlS1P_E_NS1_11comp_targetILNS1_3genE0ELNS1_11target_archE4294967295ELNS1_3gpuE0ELNS1_3repE0EEENS1_30default_config_static_selectorELNS0_4arch9wavefront6targetE0EEEvS12_.num_named_barrier, 0
	.set _ZN7rocprim17ROCPRIM_400000_NS6detail17trampoline_kernelINS0_13select_configILj256ELj13ELNS0_17block_load_methodE3ELS4_3ELS4_3ELNS0_20block_scan_algorithmE0ELj4294967295EEENS1_25partition_config_selectorILNS1_17partition_subalgoE4EjNS0_10empty_typeEbEEZZNS1_14partition_implILS8_4ELb0ES6_15HIP_vector_typeIjLj2EENS0_17counting_iteratorIjlEEPS9_SG_NS0_5tupleIJPjSI_NS0_16reverse_iteratorISI_EEEEENSH_IJSG_SG_SG_EEES9_SI_JZNS1_25segmented_radix_sort_implINS0_14default_configELb0EPKsPsPKlPlN2at6native12_GLOBAL__N_18offset_tEEE10hipError_tPvRmT1_PNSt15iterator_traitsIS12_E10value_typeET2_T3_PNS13_IS18_E10value_typeET4_jRbjT5_S1E_jjP12ihipStream_tbEUljE_ZNSN_ISO_Lb0ESQ_SR_ST_SU_SY_EESZ_S10_S11_S12_S16_S17_S18_S1B_S1C_jS1D_jS1E_S1E_jjS1G_bEUljE0_EEESZ_S10_S11_S18_S1C_S1E_T6_T7_T9_mT8_S1G_bDpT10_ENKUlT_T0_E_clISt17integral_constantIbLb0EES1U_EEDaS1P_S1Q_EUlS1P_E_NS1_11comp_targetILNS1_3genE0ELNS1_11target_archE4294967295ELNS1_3gpuE0ELNS1_3repE0EEENS1_30default_config_static_selectorELNS0_4arch9wavefront6targetE0EEEvS12_.private_seg_size, 0
	.set _ZN7rocprim17ROCPRIM_400000_NS6detail17trampoline_kernelINS0_13select_configILj256ELj13ELNS0_17block_load_methodE3ELS4_3ELS4_3ELNS0_20block_scan_algorithmE0ELj4294967295EEENS1_25partition_config_selectorILNS1_17partition_subalgoE4EjNS0_10empty_typeEbEEZZNS1_14partition_implILS8_4ELb0ES6_15HIP_vector_typeIjLj2EENS0_17counting_iteratorIjlEEPS9_SG_NS0_5tupleIJPjSI_NS0_16reverse_iteratorISI_EEEEENSH_IJSG_SG_SG_EEES9_SI_JZNS1_25segmented_radix_sort_implINS0_14default_configELb0EPKsPsPKlPlN2at6native12_GLOBAL__N_18offset_tEEE10hipError_tPvRmT1_PNSt15iterator_traitsIS12_E10value_typeET2_T3_PNS13_IS18_E10value_typeET4_jRbjT5_S1E_jjP12ihipStream_tbEUljE_ZNSN_ISO_Lb0ESQ_SR_ST_SU_SY_EESZ_S10_S11_S12_S16_S17_S18_S1B_S1C_jS1D_jS1E_S1E_jjS1G_bEUljE0_EEESZ_S10_S11_S18_S1C_S1E_T6_T7_T9_mT8_S1G_bDpT10_ENKUlT_T0_E_clISt17integral_constantIbLb0EES1U_EEDaS1P_S1Q_EUlS1P_E_NS1_11comp_targetILNS1_3genE0ELNS1_11target_archE4294967295ELNS1_3gpuE0ELNS1_3repE0EEENS1_30default_config_static_selectorELNS0_4arch9wavefront6targetE0EEEvS12_.uses_vcc, 0
	.set _ZN7rocprim17ROCPRIM_400000_NS6detail17trampoline_kernelINS0_13select_configILj256ELj13ELNS0_17block_load_methodE3ELS4_3ELS4_3ELNS0_20block_scan_algorithmE0ELj4294967295EEENS1_25partition_config_selectorILNS1_17partition_subalgoE4EjNS0_10empty_typeEbEEZZNS1_14partition_implILS8_4ELb0ES6_15HIP_vector_typeIjLj2EENS0_17counting_iteratorIjlEEPS9_SG_NS0_5tupleIJPjSI_NS0_16reverse_iteratorISI_EEEEENSH_IJSG_SG_SG_EEES9_SI_JZNS1_25segmented_radix_sort_implINS0_14default_configELb0EPKsPsPKlPlN2at6native12_GLOBAL__N_18offset_tEEE10hipError_tPvRmT1_PNSt15iterator_traitsIS12_E10value_typeET2_T3_PNS13_IS18_E10value_typeET4_jRbjT5_S1E_jjP12ihipStream_tbEUljE_ZNSN_ISO_Lb0ESQ_SR_ST_SU_SY_EESZ_S10_S11_S12_S16_S17_S18_S1B_S1C_jS1D_jS1E_S1E_jjS1G_bEUljE0_EEESZ_S10_S11_S18_S1C_S1E_T6_T7_T9_mT8_S1G_bDpT10_ENKUlT_T0_E_clISt17integral_constantIbLb0EES1U_EEDaS1P_S1Q_EUlS1P_E_NS1_11comp_targetILNS1_3genE0ELNS1_11target_archE4294967295ELNS1_3gpuE0ELNS1_3repE0EEENS1_30default_config_static_selectorELNS0_4arch9wavefront6targetE0EEEvS12_.uses_flat_scratch, 0
	.set _ZN7rocprim17ROCPRIM_400000_NS6detail17trampoline_kernelINS0_13select_configILj256ELj13ELNS0_17block_load_methodE3ELS4_3ELS4_3ELNS0_20block_scan_algorithmE0ELj4294967295EEENS1_25partition_config_selectorILNS1_17partition_subalgoE4EjNS0_10empty_typeEbEEZZNS1_14partition_implILS8_4ELb0ES6_15HIP_vector_typeIjLj2EENS0_17counting_iteratorIjlEEPS9_SG_NS0_5tupleIJPjSI_NS0_16reverse_iteratorISI_EEEEENSH_IJSG_SG_SG_EEES9_SI_JZNS1_25segmented_radix_sort_implINS0_14default_configELb0EPKsPsPKlPlN2at6native12_GLOBAL__N_18offset_tEEE10hipError_tPvRmT1_PNSt15iterator_traitsIS12_E10value_typeET2_T3_PNS13_IS18_E10value_typeET4_jRbjT5_S1E_jjP12ihipStream_tbEUljE_ZNSN_ISO_Lb0ESQ_SR_ST_SU_SY_EESZ_S10_S11_S12_S16_S17_S18_S1B_S1C_jS1D_jS1E_S1E_jjS1G_bEUljE0_EEESZ_S10_S11_S18_S1C_S1E_T6_T7_T9_mT8_S1G_bDpT10_ENKUlT_T0_E_clISt17integral_constantIbLb0EES1U_EEDaS1P_S1Q_EUlS1P_E_NS1_11comp_targetILNS1_3genE0ELNS1_11target_archE4294967295ELNS1_3gpuE0ELNS1_3repE0EEENS1_30default_config_static_selectorELNS0_4arch9wavefront6targetE0EEEvS12_.has_dyn_sized_stack, 0
	.set _ZN7rocprim17ROCPRIM_400000_NS6detail17trampoline_kernelINS0_13select_configILj256ELj13ELNS0_17block_load_methodE3ELS4_3ELS4_3ELNS0_20block_scan_algorithmE0ELj4294967295EEENS1_25partition_config_selectorILNS1_17partition_subalgoE4EjNS0_10empty_typeEbEEZZNS1_14partition_implILS8_4ELb0ES6_15HIP_vector_typeIjLj2EENS0_17counting_iteratorIjlEEPS9_SG_NS0_5tupleIJPjSI_NS0_16reverse_iteratorISI_EEEEENSH_IJSG_SG_SG_EEES9_SI_JZNS1_25segmented_radix_sort_implINS0_14default_configELb0EPKsPsPKlPlN2at6native12_GLOBAL__N_18offset_tEEE10hipError_tPvRmT1_PNSt15iterator_traitsIS12_E10value_typeET2_T3_PNS13_IS18_E10value_typeET4_jRbjT5_S1E_jjP12ihipStream_tbEUljE_ZNSN_ISO_Lb0ESQ_SR_ST_SU_SY_EESZ_S10_S11_S12_S16_S17_S18_S1B_S1C_jS1D_jS1E_S1E_jjS1G_bEUljE0_EEESZ_S10_S11_S18_S1C_S1E_T6_T7_T9_mT8_S1G_bDpT10_ENKUlT_T0_E_clISt17integral_constantIbLb0EES1U_EEDaS1P_S1Q_EUlS1P_E_NS1_11comp_targetILNS1_3genE0ELNS1_11target_archE4294967295ELNS1_3gpuE0ELNS1_3repE0EEENS1_30default_config_static_selectorELNS0_4arch9wavefront6targetE0EEEvS12_.has_recursion, 0
	.set _ZN7rocprim17ROCPRIM_400000_NS6detail17trampoline_kernelINS0_13select_configILj256ELj13ELNS0_17block_load_methodE3ELS4_3ELS4_3ELNS0_20block_scan_algorithmE0ELj4294967295EEENS1_25partition_config_selectorILNS1_17partition_subalgoE4EjNS0_10empty_typeEbEEZZNS1_14partition_implILS8_4ELb0ES6_15HIP_vector_typeIjLj2EENS0_17counting_iteratorIjlEEPS9_SG_NS0_5tupleIJPjSI_NS0_16reverse_iteratorISI_EEEEENSH_IJSG_SG_SG_EEES9_SI_JZNS1_25segmented_radix_sort_implINS0_14default_configELb0EPKsPsPKlPlN2at6native12_GLOBAL__N_18offset_tEEE10hipError_tPvRmT1_PNSt15iterator_traitsIS12_E10value_typeET2_T3_PNS13_IS18_E10value_typeET4_jRbjT5_S1E_jjP12ihipStream_tbEUljE_ZNSN_ISO_Lb0ESQ_SR_ST_SU_SY_EESZ_S10_S11_S12_S16_S17_S18_S1B_S1C_jS1D_jS1E_S1E_jjS1G_bEUljE0_EEESZ_S10_S11_S18_S1C_S1E_T6_T7_T9_mT8_S1G_bDpT10_ENKUlT_T0_E_clISt17integral_constantIbLb0EES1U_EEDaS1P_S1Q_EUlS1P_E_NS1_11comp_targetILNS1_3genE0ELNS1_11target_archE4294967295ELNS1_3gpuE0ELNS1_3repE0EEENS1_30default_config_static_selectorELNS0_4arch9wavefront6targetE0EEEvS12_.has_indirect_call, 0
	.section	.AMDGPU.csdata,"",@progbits
; Kernel info:
; codeLenInByte = 0
; TotalNumSgprs: 0
; NumVgprs: 0
; ScratchSize: 0
; MemoryBound: 0
; FloatMode: 240
; IeeeMode: 1
; LDSByteSize: 0 bytes/workgroup (compile time only)
; SGPRBlocks: 0
; VGPRBlocks: 0
; NumSGPRsForWavesPerEU: 1
; NumVGPRsForWavesPerEU: 1
; Occupancy: 16
; WaveLimiterHint : 0
; COMPUTE_PGM_RSRC2:SCRATCH_EN: 0
; COMPUTE_PGM_RSRC2:USER_SGPR: 2
; COMPUTE_PGM_RSRC2:TRAP_HANDLER: 0
; COMPUTE_PGM_RSRC2:TGID_X_EN: 1
; COMPUTE_PGM_RSRC2:TGID_Y_EN: 0
; COMPUTE_PGM_RSRC2:TGID_Z_EN: 0
; COMPUTE_PGM_RSRC2:TIDIG_COMP_CNT: 0
	.section	.text._ZN7rocprim17ROCPRIM_400000_NS6detail17trampoline_kernelINS0_13select_configILj256ELj13ELNS0_17block_load_methodE3ELS4_3ELS4_3ELNS0_20block_scan_algorithmE0ELj4294967295EEENS1_25partition_config_selectorILNS1_17partition_subalgoE4EjNS0_10empty_typeEbEEZZNS1_14partition_implILS8_4ELb0ES6_15HIP_vector_typeIjLj2EENS0_17counting_iteratorIjlEEPS9_SG_NS0_5tupleIJPjSI_NS0_16reverse_iteratorISI_EEEEENSH_IJSG_SG_SG_EEES9_SI_JZNS1_25segmented_radix_sort_implINS0_14default_configELb0EPKsPsPKlPlN2at6native12_GLOBAL__N_18offset_tEEE10hipError_tPvRmT1_PNSt15iterator_traitsIS12_E10value_typeET2_T3_PNS13_IS18_E10value_typeET4_jRbjT5_S1E_jjP12ihipStream_tbEUljE_ZNSN_ISO_Lb0ESQ_SR_ST_SU_SY_EESZ_S10_S11_S12_S16_S17_S18_S1B_S1C_jS1D_jS1E_S1E_jjS1G_bEUljE0_EEESZ_S10_S11_S18_S1C_S1E_T6_T7_T9_mT8_S1G_bDpT10_ENKUlT_T0_E_clISt17integral_constantIbLb0EES1U_EEDaS1P_S1Q_EUlS1P_E_NS1_11comp_targetILNS1_3genE5ELNS1_11target_archE942ELNS1_3gpuE9ELNS1_3repE0EEENS1_30default_config_static_selectorELNS0_4arch9wavefront6targetE0EEEvS12_,"axG",@progbits,_ZN7rocprim17ROCPRIM_400000_NS6detail17trampoline_kernelINS0_13select_configILj256ELj13ELNS0_17block_load_methodE3ELS4_3ELS4_3ELNS0_20block_scan_algorithmE0ELj4294967295EEENS1_25partition_config_selectorILNS1_17partition_subalgoE4EjNS0_10empty_typeEbEEZZNS1_14partition_implILS8_4ELb0ES6_15HIP_vector_typeIjLj2EENS0_17counting_iteratorIjlEEPS9_SG_NS0_5tupleIJPjSI_NS0_16reverse_iteratorISI_EEEEENSH_IJSG_SG_SG_EEES9_SI_JZNS1_25segmented_radix_sort_implINS0_14default_configELb0EPKsPsPKlPlN2at6native12_GLOBAL__N_18offset_tEEE10hipError_tPvRmT1_PNSt15iterator_traitsIS12_E10value_typeET2_T3_PNS13_IS18_E10value_typeET4_jRbjT5_S1E_jjP12ihipStream_tbEUljE_ZNSN_ISO_Lb0ESQ_SR_ST_SU_SY_EESZ_S10_S11_S12_S16_S17_S18_S1B_S1C_jS1D_jS1E_S1E_jjS1G_bEUljE0_EEESZ_S10_S11_S18_S1C_S1E_T6_T7_T9_mT8_S1G_bDpT10_ENKUlT_T0_E_clISt17integral_constantIbLb0EES1U_EEDaS1P_S1Q_EUlS1P_E_NS1_11comp_targetILNS1_3genE5ELNS1_11target_archE942ELNS1_3gpuE9ELNS1_3repE0EEENS1_30default_config_static_selectorELNS0_4arch9wavefront6targetE0EEEvS12_,comdat
	.globl	_ZN7rocprim17ROCPRIM_400000_NS6detail17trampoline_kernelINS0_13select_configILj256ELj13ELNS0_17block_load_methodE3ELS4_3ELS4_3ELNS0_20block_scan_algorithmE0ELj4294967295EEENS1_25partition_config_selectorILNS1_17partition_subalgoE4EjNS0_10empty_typeEbEEZZNS1_14partition_implILS8_4ELb0ES6_15HIP_vector_typeIjLj2EENS0_17counting_iteratorIjlEEPS9_SG_NS0_5tupleIJPjSI_NS0_16reverse_iteratorISI_EEEEENSH_IJSG_SG_SG_EEES9_SI_JZNS1_25segmented_radix_sort_implINS0_14default_configELb0EPKsPsPKlPlN2at6native12_GLOBAL__N_18offset_tEEE10hipError_tPvRmT1_PNSt15iterator_traitsIS12_E10value_typeET2_T3_PNS13_IS18_E10value_typeET4_jRbjT5_S1E_jjP12ihipStream_tbEUljE_ZNSN_ISO_Lb0ESQ_SR_ST_SU_SY_EESZ_S10_S11_S12_S16_S17_S18_S1B_S1C_jS1D_jS1E_S1E_jjS1G_bEUljE0_EEESZ_S10_S11_S18_S1C_S1E_T6_T7_T9_mT8_S1G_bDpT10_ENKUlT_T0_E_clISt17integral_constantIbLb0EES1U_EEDaS1P_S1Q_EUlS1P_E_NS1_11comp_targetILNS1_3genE5ELNS1_11target_archE942ELNS1_3gpuE9ELNS1_3repE0EEENS1_30default_config_static_selectorELNS0_4arch9wavefront6targetE0EEEvS12_ ; -- Begin function _ZN7rocprim17ROCPRIM_400000_NS6detail17trampoline_kernelINS0_13select_configILj256ELj13ELNS0_17block_load_methodE3ELS4_3ELS4_3ELNS0_20block_scan_algorithmE0ELj4294967295EEENS1_25partition_config_selectorILNS1_17partition_subalgoE4EjNS0_10empty_typeEbEEZZNS1_14partition_implILS8_4ELb0ES6_15HIP_vector_typeIjLj2EENS0_17counting_iteratorIjlEEPS9_SG_NS0_5tupleIJPjSI_NS0_16reverse_iteratorISI_EEEEENSH_IJSG_SG_SG_EEES9_SI_JZNS1_25segmented_radix_sort_implINS0_14default_configELb0EPKsPsPKlPlN2at6native12_GLOBAL__N_18offset_tEEE10hipError_tPvRmT1_PNSt15iterator_traitsIS12_E10value_typeET2_T3_PNS13_IS18_E10value_typeET4_jRbjT5_S1E_jjP12ihipStream_tbEUljE_ZNSN_ISO_Lb0ESQ_SR_ST_SU_SY_EESZ_S10_S11_S12_S16_S17_S18_S1B_S1C_jS1D_jS1E_S1E_jjS1G_bEUljE0_EEESZ_S10_S11_S18_S1C_S1E_T6_T7_T9_mT8_S1G_bDpT10_ENKUlT_T0_E_clISt17integral_constantIbLb0EES1U_EEDaS1P_S1Q_EUlS1P_E_NS1_11comp_targetILNS1_3genE5ELNS1_11target_archE942ELNS1_3gpuE9ELNS1_3repE0EEENS1_30default_config_static_selectorELNS0_4arch9wavefront6targetE0EEEvS12_
	.p2align	8
	.type	_ZN7rocprim17ROCPRIM_400000_NS6detail17trampoline_kernelINS0_13select_configILj256ELj13ELNS0_17block_load_methodE3ELS4_3ELS4_3ELNS0_20block_scan_algorithmE0ELj4294967295EEENS1_25partition_config_selectorILNS1_17partition_subalgoE4EjNS0_10empty_typeEbEEZZNS1_14partition_implILS8_4ELb0ES6_15HIP_vector_typeIjLj2EENS0_17counting_iteratorIjlEEPS9_SG_NS0_5tupleIJPjSI_NS0_16reverse_iteratorISI_EEEEENSH_IJSG_SG_SG_EEES9_SI_JZNS1_25segmented_radix_sort_implINS0_14default_configELb0EPKsPsPKlPlN2at6native12_GLOBAL__N_18offset_tEEE10hipError_tPvRmT1_PNSt15iterator_traitsIS12_E10value_typeET2_T3_PNS13_IS18_E10value_typeET4_jRbjT5_S1E_jjP12ihipStream_tbEUljE_ZNSN_ISO_Lb0ESQ_SR_ST_SU_SY_EESZ_S10_S11_S12_S16_S17_S18_S1B_S1C_jS1D_jS1E_S1E_jjS1G_bEUljE0_EEESZ_S10_S11_S18_S1C_S1E_T6_T7_T9_mT8_S1G_bDpT10_ENKUlT_T0_E_clISt17integral_constantIbLb0EES1U_EEDaS1P_S1Q_EUlS1P_E_NS1_11comp_targetILNS1_3genE5ELNS1_11target_archE942ELNS1_3gpuE9ELNS1_3repE0EEENS1_30default_config_static_selectorELNS0_4arch9wavefront6targetE0EEEvS12_,@function
_ZN7rocprim17ROCPRIM_400000_NS6detail17trampoline_kernelINS0_13select_configILj256ELj13ELNS0_17block_load_methodE3ELS4_3ELS4_3ELNS0_20block_scan_algorithmE0ELj4294967295EEENS1_25partition_config_selectorILNS1_17partition_subalgoE4EjNS0_10empty_typeEbEEZZNS1_14partition_implILS8_4ELb0ES6_15HIP_vector_typeIjLj2EENS0_17counting_iteratorIjlEEPS9_SG_NS0_5tupleIJPjSI_NS0_16reverse_iteratorISI_EEEEENSH_IJSG_SG_SG_EEES9_SI_JZNS1_25segmented_radix_sort_implINS0_14default_configELb0EPKsPsPKlPlN2at6native12_GLOBAL__N_18offset_tEEE10hipError_tPvRmT1_PNSt15iterator_traitsIS12_E10value_typeET2_T3_PNS13_IS18_E10value_typeET4_jRbjT5_S1E_jjP12ihipStream_tbEUljE_ZNSN_ISO_Lb0ESQ_SR_ST_SU_SY_EESZ_S10_S11_S12_S16_S17_S18_S1B_S1C_jS1D_jS1E_S1E_jjS1G_bEUljE0_EEESZ_S10_S11_S18_S1C_S1E_T6_T7_T9_mT8_S1G_bDpT10_ENKUlT_T0_E_clISt17integral_constantIbLb0EES1U_EEDaS1P_S1Q_EUlS1P_E_NS1_11comp_targetILNS1_3genE5ELNS1_11target_archE942ELNS1_3gpuE9ELNS1_3repE0EEENS1_30default_config_static_selectorELNS0_4arch9wavefront6targetE0EEEvS12_: ; @_ZN7rocprim17ROCPRIM_400000_NS6detail17trampoline_kernelINS0_13select_configILj256ELj13ELNS0_17block_load_methodE3ELS4_3ELS4_3ELNS0_20block_scan_algorithmE0ELj4294967295EEENS1_25partition_config_selectorILNS1_17partition_subalgoE4EjNS0_10empty_typeEbEEZZNS1_14partition_implILS8_4ELb0ES6_15HIP_vector_typeIjLj2EENS0_17counting_iteratorIjlEEPS9_SG_NS0_5tupleIJPjSI_NS0_16reverse_iteratorISI_EEEEENSH_IJSG_SG_SG_EEES9_SI_JZNS1_25segmented_radix_sort_implINS0_14default_configELb0EPKsPsPKlPlN2at6native12_GLOBAL__N_18offset_tEEE10hipError_tPvRmT1_PNSt15iterator_traitsIS12_E10value_typeET2_T3_PNS13_IS18_E10value_typeET4_jRbjT5_S1E_jjP12ihipStream_tbEUljE_ZNSN_ISO_Lb0ESQ_SR_ST_SU_SY_EESZ_S10_S11_S12_S16_S17_S18_S1B_S1C_jS1D_jS1E_S1E_jjS1G_bEUljE0_EEESZ_S10_S11_S18_S1C_S1E_T6_T7_T9_mT8_S1G_bDpT10_ENKUlT_T0_E_clISt17integral_constantIbLb0EES1U_EEDaS1P_S1Q_EUlS1P_E_NS1_11comp_targetILNS1_3genE5ELNS1_11target_archE942ELNS1_3gpuE9ELNS1_3repE0EEENS1_30default_config_static_selectorELNS0_4arch9wavefront6targetE0EEEvS12_
; %bb.0:
	.section	.rodata,"a",@progbits
	.p2align	6, 0x0
	.amdhsa_kernel _ZN7rocprim17ROCPRIM_400000_NS6detail17trampoline_kernelINS0_13select_configILj256ELj13ELNS0_17block_load_methodE3ELS4_3ELS4_3ELNS0_20block_scan_algorithmE0ELj4294967295EEENS1_25partition_config_selectorILNS1_17partition_subalgoE4EjNS0_10empty_typeEbEEZZNS1_14partition_implILS8_4ELb0ES6_15HIP_vector_typeIjLj2EENS0_17counting_iteratorIjlEEPS9_SG_NS0_5tupleIJPjSI_NS0_16reverse_iteratorISI_EEEEENSH_IJSG_SG_SG_EEES9_SI_JZNS1_25segmented_radix_sort_implINS0_14default_configELb0EPKsPsPKlPlN2at6native12_GLOBAL__N_18offset_tEEE10hipError_tPvRmT1_PNSt15iterator_traitsIS12_E10value_typeET2_T3_PNS13_IS18_E10value_typeET4_jRbjT5_S1E_jjP12ihipStream_tbEUljE_ZNSN_ISO_Lb0ESQ_SR_ST_SU_SY_EESZ_S10_S11_S12_S16_S17_S18_S1B_S1C_jS1D_jS1E_S1E_jjS1G_bEUljE0_EEESZ_S10_S11_S18_S1C_S1E_T6_T7_T9_mT8_S1G_bDpT10_ENKUlT_T0_E_clISt17integral_constantIbLb0EES1U_EEDaS1P_S1Q_EUlS1P_E_NS1_11comp_targetILNS1_3genE5ELNS1_11target_archE942ELNS1_3gpuE9ELNS1_3repE0EEENS1_30default_config_static_selectorELNS0_4arch9wavefront6targetE0EEEvS12_
		.amdhsa_group_segment_fixed_size 0
		.amdhsa_private_segment_fixed_size 0
		.amdhsa_kernarg_size 176
		.amdhsa_user_sgpr_count 2
		.amdhsa_user_sgpr_dispatch_ptr 0
		.amdhsa_user_sgpr_queue_ptr 0
		.amdhsa_user_sgpr_kernarg_segment_ptr 1
		.amdhsa_user_sgpr_dispatch_id 0
		.amdhsa_user_sgpr_private_segment_size 0
		.amdhsa_wavefront_size32 1
		.amdhsa_uses_dynamic_stack 0
		.amdhsa_enable_private_segment 0
		.amdhsa_system_sgpr_workgroup_id_x 1
		.amdhsa_system_sgpr_workgroup_id_y 0
		.amdhsa_system_sgpr_workgroup_id_z 0
		.amdhsa_system_sgpr_workgroup_info 0
		.amdhsa_system_vgpr_workitem_id 0
		.amdhsa_next_free_vgpr 1
		.amdhsa_next_free_sgpr 1
		.amdhsa_reserve_vcc 0
		.amdhsa_float_round_mode_32 0
		.amdhsa_float_round_mode_16_64 0
		.amdhsa_float_denorm_mode_32 3
		.amdhsa_float_denorm_mode_16_64 3
		.amdhsa_fp16_overflow 0
		.amdhsa_workgroup_processor_mode 1
		.amdhsa_memory_ordered 1
		.amdhsa_forward_progress 1
		.amdhsa_inst_pref_size 0
		.amdhsa_round_robin_scheduling 0
		.amdhsa_exception_fp_ieee_invalid_op 0
		.amdhsa_exception_fp_denorm_src 0
		.amdhsa_exception_fp_ieee_div_zero 0
		.amdhsa_exception_fp_ieee_overflow 0
		.amdhsa_exception_fp_ieee_underflow 0
		.amdhsa_exception_fp_ieee_inexact 0
		.amdhsa_exception_int_div_zero 0
	.end_amdhsa_kernel
	.section	.text._ZN7rocprim17ROCPRIM_400000_NS6detail17trampoline_kernelINS0_13select_configILj256ELj13ELNS0_17block_load_methodE3ELS4_3ELS4_3ELNS0_20block_scan_algorithmE0ELj4294967295EEENS1_25partition_config_selectorILNS1_17partition_subalgoE4EjNS0_10empty_typeEbEEZZNS1_14partition_implILS8_4ELb0ES6_15HIP_vector_typeIjLj2EENS0_17counting_iteratorIjlEEPS9_SG_NS0_5tupleIJPjSI_NS0_16reverse_iteratorISI_EEEEENSH_IJSG_SG_SG_EEES9_SI_JZNS1_25segmented_radix_sort_implINS0_14default_configELb0EPKsPsPKlPlN2at6native12_GLOBAL__N_18offset_tEEE10hipError_tPvRmT1_PNSt15iterator_traitsIS12_E10value_typeET2_T3_PNS13_IS18_E10value_typeET4_jRbjT5_S1E_jjP12ihipStream_tbEUljE_ZNSN_ISO_Lb0ESQ_SR_ST_SU_SY_EESZ_S10_S11_S12_S16_S17_S18_S1B_S1C_jS1D_jS1E_S1E_jjS1G_bEUljE0_EEESZ_S10_S11_S18_S1C_S1E_T6_T7_T9_mT8_S1G_bDpT10_ENKUlT_T0_E_clISt17integral_constantIbLb0EES1U_EEDaS1P_S1Q_EUlS1P_E_NS1_11comp_targetILNS1_3genE5ELNS1_11target_archE942ELNS1_3gpuE9ELNS1_3repE0EEENS1_30default_config_static_selectorELNS0_4arch9wavefront6targetE0EEEvS12_,"axG",@progbits,_ZN7rocprim17ROCPRIM_400000_NS6detail17trampoline_kernelINS0_13select_configILj256ELj13ELNS0_17block_load_methodE3ELS4_3ELS4_3ELNS0_20block_scan_algorithmE0ELj4294967295EEENS1_25partition_config_selectorILNS1_17partition_subalgoE4EjNS0_10empty_typeEbEEZZNS1_14partition_implILS8_4ELb0ES6_15HIP_vector_typeIjLj2EENS0_17counting_iteratorIjlEEPS9_SG_NS0_5tupleIJPjSI_NS0_16reverse_iteratorISI_EEEEENSH_IJSG_SG_SG_EEES9_SI_JZNS1_25segmented_radix_sort_implINS0_14default_configELb0EPKsPsPKlPlN2at6native12_GLOBAL__N_18offset_tEEE10hipError_tPvRmT1_PNSt15iterator_traitsIS12_E10value_typeET2_T3_PNS13_IS18_E10value_typeET4_jRbjT5_S1E_jjP12ihipStream_tbEUljE_ZNSN_ISO_Lb0ESQ_SR_ST_SU_SY_EESZ_S10_S11_S12_S16_S17_S18_S1B_S1C_jS1D_jS1E_S1E_jjS1G_bEUljE0_EEESZ_S10_S11_S18_S1C_S1E_T6_T7_T9_mT8_S1G_bDpT10_ENKUlT_T0_E_clISt17integral_constantIbLb0EES1U_EEDaS1P_S1Q_EUlS1P_E_NS1_11comp_targetILNS1_3genE5ELNS1_11target_archE942ELNS1_3gpuE9ELNS1_3repE0EEENS1_30default_config_static_selectorELNS0_4arch9wavefront6targetE0EEEvS12_,comdat
.Lfunc_end951:
	.size	_ZN7rocprim17ROCPRIM_400000_NS6detail17trampoline_kernelINS0_13select_configILj256ELj13ELNS0_17block_load_methodE3ELS4_3ELS4_3ELNS0_20block_scan_algorithmE0ELj4294967295EEENS1_25partition_config_selectorILNS1_17partition_subalgoE4EjNS0_10empty_typeEbEEZZNS1_14partition_implILS8_4ELb0ES6_15HIP_vector_typeIjLj2EENS0_17counting_iteratorIjlEEPS9_SG_NS0_5tupleIJPjSI_NS0_16reverse_iteratorISI_EEEEENSH_IJSG_SG_SG_EEES9_SI_JZNS1_25segmented_radix_sort_implINS0_14default_configELb0EPKsPsPKlPlN2at6native12_GLOBAL__N_18offset_tEEE10hipError_tPvRmT1_PNSt15iterator_traitsIS12_E10value_typeET2_T3_PNS13_IS18_E10value_typeET4_jRbjT5_S1E_jjP12ihipStream_tbEUljE_ZNSN_ISO_Lb0ESQ_SR_ST_SU_SY_EESZ_S10_S11_S12_S16_S17_S18_S1B_S1C_jS1D_jS1E_S1E_jjS1G_bEUljE0_EEESZ_S10_S11_S18_S1C_S1E_T6_T7_T9_mT8_S1G_bDpT10_ENKUlT_T0_E_clISt17integral_constantIbLb0EES1U_EEDaS1P_S1Q_EUlS1P_E_NS1_11comp_targetILNS1_3genE5ELNS1_11target_archE942ELNS1_3gpuE9ELNS1_3repE0EEENS1_30default_config_static_selectorELNS0_4arch9wavefront6targetE0EEEvS12_, .Lfunc_end951-_ZN7rocprim17ROCPRIM_400000_NS6detail17trampoline_kernelINS0_13select_configILj256ELj13ELNS0_17block_load_methodE3ELS4_3ELS4_3ELNS0_20block_scan_algorithmE0ELj4294967295EEENS1_25partition_config_selectorILNS1_17partition_subalgoE4EjNS0_10empty_typeEbEEZZNS1_14partition_implILS8_4ELb0ES6_15HIP_vector_typeIjLj2EENS0_17counting_iteratorIjlEEPS9_SG_NS0_5tupleIJPjSI_NS0_16reverse_iteratorISI_EEEEENSH_IJSG_SG_SG_EEES9_SI_JZNS1_25segmented_radix_sort_implINS0_14default_configELb0EPKsPsPKlPlN2at6native12_GLOBAL__N_18offset_tEEE10hipError_tPvRmT1_PNSt15iterator_traitsIS12_E10value_typeET2_T3_PNS13_IS18_E10value_typeET4_jRbjT5_S1E_jjP12ihipStream_tbEUljE_ZNSN_ISO_Lb0ESQ_SR_ST_SU_SY_EESZ_S10_S11_S12_S16_S17_S18_S1B_S1C_jS1D_jS1E_S1E_jjS1G_bEUljE0_EEESZ_S10_S11_S18_S1C_S1E_T6_T7_T9_mT8_S1G_bDpT10_ENKUlT_T0_E_clISt17integral_constantIbLb0EES1U_EEDaS1P_S1Q_EUlS1P_E_NS1_11comp_targetILNS1_3genE5ELNS1_11target_archE942ELNS1_3gpuE9ELNS1_3repE0EEENS1_30default_config_static_selectorELNS0_4arch9wavefront6targetE0EEEvS12_
                                        ; -- End function
	.set _ZN7rocprim17ROCPRIM_400000_NS6detail17trampoline_kernelINS0_13select_configILj256ELj13ELNS0_17block_load_methodE3ELS4_3ELS4_3ELNS0_20block_scan_algorithmE0ELj4294967295EEENS1_25partition_config_selectorILNS1_17partition_subalgoE4EjNS0_10empty_typeEbEEZZNS1_14partition_implILS8_4ELb0ES6_15HIP_vector_typeIjLj2EENS0_17counting_iteratorIjlEEPS9_SG_NS0_5tupleIJPjSI_NS0_16reverse_iteratorISI_EEEEENSH_IJSG_SG_SG_EEES9_SI_JZNS1_25segmented_radix_sort_implINS0_14default_configELb0EPKsPsPKlPlN2at6native12_GLOBAL__N_18offset_tEEE10hipError_tPvRmT1_PNSt15iterator_traitsIS12_E10value_typeET2_T3_PNS13_IS18_E10value_typeET4_jRbjT5_S1E_jjP12ihipStream_tbEUljE_ZNSN_ISO_Lb0ESQ_SR_ST_SU_SY_EESZ_S10_S11_S12_S16_S17_S18_S1B_S1C_jS1D_jS1E_S1E_jjS1G_bEUljE0_EEESZ_S10_S11_S18_S1C_S1E_T6_T7_T9_mT8_S1G_bDpT10_ENKUlT_T0_E_clISt17integral_constantIbLb0EES1U_EEDaS1P_S1Q_EUlS1P_E_NS1_11comp_targetILNS1_3genE5ELNS1_11target_archE942ELNS1_3gpuE9ELNS1_3repE0EEENS1_30default_config_static_selectorELNS0_4arch9wavefront6targetE0EEEvS12_.num_vgpr, 0
	.set _ZN7rocprim17ROCPRIM_400000_NS6detail17trampoline_kernelINS0_13select_configILj256ELj13ELNS0_17block_load_methodE3ELS4_3ELS4_3ELNS0_20block_scan_algorithmE0ELj4294967295EEENS1_25partition_config_selectorILNS1_17partition_subalgoE4EjNS0_10empty_typeEbEEZZNS1_14partition_implILS8_4ELb0ES6_15HIP_vector_typeIjLj2EENS0_17counting_iteratorIjlEEPS9_SG_NS0_5tupleIJPjSI_NS0_16reverse_iteratorISI_EEEEENSH_IJSG_SG_SG_EEES9_SI_JZNS1_25segmented_radix_sort_implINS0_14default_configELb0EPKsPsPKlPlN2at6native12_GLOBAL__N_18offset_tEEE10hipError_tPvRmT1_PNSt15iterator_traitsIS12_E10value_typeET2_T3_PNS13_IS18_E10value_typeET4_jRbjT5_S1E_jjP12ihipStream_tbEUljE_ZNSN_ISO_Lb0ESQ_SR_ST_SU_SY_EESZ_S10_S11_S12_S16_S17_S18_S1B_S1C_jS1D_jS1E_S1E_jjS1G_bEUljE0_EEESZ_S10_S11_S18_S1C_S1E_T6_T7_T9_mT8_S1G_bDpT10_ENKUlT_T0_E_clISt17integral_constantIbLb0EES1U_EEDaS1P_S1Q_EUlS1P_E_NS1_11comp_targetILNS1_3genE5ELNS1_11target_archE942ELNS1_3gpuE9ELNS1_3repE0EEENS1_30default_config_static_selectorELNS0_4arch9wavefront6targetE0EEEvS12_.num_agpr, 0
	.set _ZN7rocprim17ROCPRIM_400000_NS6detail17trampoline_kernelINS0_13select_configILj256ELj13ELNS0_17block_load_methodE3ELS4_3ELS4_3ELNS0_20block_scan_algorithmE0ELj4294967295EEENS1_25partition_config_selectorILNS1_17partition_subalgoE4EjNS0_10empty_typeEbEEZZNS1_14partition_implILS8_4ELb0ES6_15HIP_vector_typeIjLj2EENS0_17counting_iteratorIjlEEPS9_SG_NS0_5tupleIJPjSI_NS0_16reverse_iteratorISI_EEEEENSH_IJSG_SG_SG_EEES9_SI_JZNS1_25segmented_radix_sort_implINS0_14default_configELb0EPKsPsPKlPlN2at6native12_GLOBAL__N_18offset_tEEE10hipError_tPvRmT1_PNSt15iterator_traitsIS12_E10value_typeET2_T3_PNS13_IS18_E10value_typeET4_jRbjT5_S1E_jjP12ihipStream_tbEUljE_ZNSN_ISO_Lb0ESQ_SR_ST_SU_SY_EESZ_S10_S11_S12_S16_S17_S18_S1B_S1C_jS1D_jS1E_S1E_jjS1G_bEUljE0_EEESZ_S10_S11_S18_S1C_S1E_T6_T7_T9_mT8_S1G_bDpT10_ENKUlT_T0_E_clISt17integral_constantIbLb0EES1U_EEDaS1P_S1Q_EUlS1P_E_NS1_11comp_targetILNS1_3genE5ELNS1_11target_archE942ELNS1_3gpuE9ELNS1_3repE0EEENS1_30default_config_static_selectorELNS0_4arch9wavefront6targetE0EEEvS12_.numbered_sgpr, 0
	.set _ZN7rocprim17ROCPRIM_400000_NS6detail17trampoline_kernelINS0_13select_configILj256ELj13ELNS0_17block_load_methodE3ELS4_3ELS4_3ELNS0_20block_scan_algorithmE0ELj4294967295EEENS1_25partition_config_selectorILNS1_17partition_subalgoE4EjNS0_10empty_typeEbEEZZNS1_14partition_implILS8_4ELb0ES6_15HIP_vector_typeIjLj2EENS0_17counting_iteratorIjlEEPS9_SG_NS0_5tupleIJPjSI_NS0_16reverse_iteratorISI_EEEEENSH_IJSG_SG_SG_EEES9_SI_JZNS1_25segmented_radix_sort_implINS0_14default_configELb0EPKsPsPKlPlN2at6native12_GLOBAL__N_18offset_tEEE10hipError_tPvRmT1_PNSt15iterator_traitsIS12_E10value_typeET2_T3_PNS13_IS18_E10value_typeET4_jRbjT5_S1E_jjP12ihipStream_tbEUljE_ZNSN_ISO_Lb0ESQ_SR_ST_SU_SY_EESZ_S10_S11_S12_S16_S17_S18_S1B_S1C_jS1D_jS1E_S1E_jjS1G_bEUljE0_EEESZ_S10_S11_S18_S1C_S1E_T6_T7_T9_mT8_S1G_bDpT10_ENKUlT_T0_E_clISt17integral_constantIbLb0EES1U_EEDaS1P_S1Q_EUlS1P_E_NS1_11comp_targetILNS1_3genE5ELNS1_11target_archE942ELNS1_3gpuE9ELNS1_3repE0EEENS1_30default_config_static_selectorELNS0_4arch9wavefront6targetE0EEEvS12_.num_named_barrier, 0
	.set _ZN7rocprim17ROCPRIM_400000_NS6detail17trampoline_kernelINS0_13select_configILj256ELj13ELNS0_17block_load_methodE3ELS4_3ELS4_3ELNS0_20block_scan_algorithmE0ELj4294967295EEENS1_25partition_config_selectorILNS1_17partition_subalgoE4EjNS0_10empty_typeEbEEZZNS1_14partition_implILS8_4ELb0ES6_15HIP_vector_typeIjLj2EENS0_17counting_iteratorIjlEEPS9_SG_NS0_5tupleIJPjSI_NS0_16reverse_iteratorISI_EEEEENSH_IJSG_SG_SG_EEES9_SI_JZNS1_25segmented_radix_sort_implINS0_14default_configELb0EPKsPsPKlPlN2at6native12_GLOBAL__N_18offset_tEEE10hipError_tPvRmT1_PNSt15iterator_traitsIS12_E10value_typeET2_T3_PNS13_IS18_E10value_typeET4_jRbjT5_S1E_jjP12ihipStream_tbEUljE_ZNSN_ISO_Lb0ESQ_SR_ST_SU_SY_EESZ_S10_S11_S12_S16_S17_S18_S1B_S1C_jS1D_jS1E_S1E_jjS1G_bEUljE0_EEESZ_S10_S11_S18_S1C_S1E_T6_T7_T9_mT8_S1G_bDpT10_ENKUlT_T0_E_clISt17integral_constantIbLb0EES1U_EEDaS1P_S1Q_EUlS1P_E_NS1_11comp_targetILNS1_3genE5ELNS1_11target_archE942ELNS1_3gpuE9ELNS1_3repE0EEENS1_30default_config_static_selectorELNS0_4arch9wavefront6targetE0EEEvS12_.private_seg_size, 0
	.set _ZN7rocprim17ROCPRIM_400000_NS6detail17trampoline_kernelINS0_13select_configILj256ELj13ELNS0_17block_load_methodE3ELS4_3ELS4_3ELNS0_20block_scan_algorithmE0ELj4294967295EEENS1_25partition_config_selectorILNS1_17partition_subalgoE4EjNS0_10empty_typeEbEEZZNS1_14partition_implILS8_4ELb0ES6_15HIP_vector_typeIjLj2EENS0_17counting_iteratorIjlEEPS9_SG_NS0_5tupleIJPjSI_NS0_16reverse_iteratorISI_EEEEENSH_IJSG_SG_SG_EEES9_SI_JZNS1_25segmented_radix_sort_implINS0_14default_configELb0EPKsPsPKlPlN2at6native12_GLOBAL__N_18offset_tEEE10hipError_tPvRmT1_PNSt15iterator_traitsIS12_E10value_typeET2_T3_PNS13_IS18_E10value_typeET4_jRbjT5_S1E_jjP12ihipStream_tbEUljE_ZNSN_ISO_Lb0ESQ_SR_ST_SU_SY_EESZ_S10_S11_S12_S16_S17_S18_S1B_S1C_jS1D_jS1E_S1E_jjS1G_bEUljE0_EEESZ_S10_S11_S18_S1C_S1E_T6_T7_T9_mT8_S1G_bDpT10_ENKUlT_T0_E_clISt17integral_constantIbLb0EES1U_EEDaS1P_S1Q_EUlS1P_E_NS1_11comp_targetILNS1_3genE5ELNS1_11target_archE942ELNS1_3gpuE9ELNS1_3repE0EEENS1_30default_config_static_selectorELNS0_4arch9wavefront6targetE0EEEvS12_.uses_vcc, 0
	.set _ZN7rocprim17ROCPRIM_400000_NS6detail17trampoline_kernelINS0_13select_configILj256ELj13ELNS0_17block_load_methodE3ELS4_3ELS4_3ELNS0_20block_scan_algorithmE0ELj4294967295EEENS1_25partition_config_selectorILNS1_17partition_subalgoE4EjNS0_10empty_typeEbEEZZNS1_14partition_implILS8_4ELb0ES6_15HIP_vector_typeIjLj2EENS0_17counting_iteratorIjlEEPS9_SG_NS0_5tupleIJPjSI_NS0_16reverse_iteratorISI_EEEEENSH_IJSG_SG_SG_EEES9_SI_JZNS1_25segmented_radix_sort_implINS0_14default_configELb0EPKsPsPKlPlN2at6native12_GLOBAL__N_18offset_tEEE10hipError_tPvRmT1_PNSt15iterator_traitsIS12_E10value_typeET2_T3_PNS13_IS18_E10value_typeET4_jRbjT5_S1E_jjP12ihipStream_tbEUljE_ZNSN_ISO_Lb0ESQ_SR_ST_SU_SY_EESZ_S10_S11_S12_S16_S17_S18_S1B_S1C_jS1D_jS1E_S1E_jjS1G_bEUljE0_EEESZ_S10_S11_S18_S1C_S1E_T6_T7_T9_mT8_S1G_bDpT10_ENKUlT_T0_E_clISt17integral_constantIbLb0EES1U_EEDaS1P_S1Q_EUlS1P_E_NS1_11comp_targetILNS1_3genE5ELNS1_11target_archE942ELNS1_3gpuE9ELNS1_3repE0EEENS1_30default_config_static_selectorELNS0_4arch9wavefront6targetE0EEEvS12_.uses_flat_scratch, 0
	.set _ZN7rocprim17ROCPRIM_400000_NS6detail17trampoline_kernelINS0_13select_configILj256ELj13ELNS0_17block_load_methodE3ELS4_3ELS4_3ELNS0_20block_scan_algorithmE0ELj4294967295EEENS1_25partition_config_selectorILNS1_17partition_subalgoE4EjNS0_10empty_typeEbEEZZNS1_14partition_implILS8_4ELb0ES6_15HIP_vector_typeIjLj2EENS0_17counting_iteratorIjlEEPS9_SG_NS0_5tupleIJPjSI_NS0_16reverse_iteratorISI_EEEEENSH_IJSG_SG_SG_EEES9_SI_JZNS1_25segmented_radix_sort_implINS0_14default_configELb0EPKsPsPKlPlN2at6native12_GLOBAL__N_18offset_tEEE10hipError_tPvRmT1_PNSt15iterator_traitsIS12_E10value_typeET2_T3_PNS13_IS18_E10value_typeET4_jRbjT5_S1E_jjP12ihipStream_tbEUljE_ZNSN_ISO_Lb0ESQ_SR_ST_SU_SY_EESZ_S10_S11_S12_S16_S17_S18_S1B_S1C_jS1D_jS1E_S1E_jjS1G_bEUljE0_EEESZ_S10_S11_S18_S1C_S1E_T6_T7_T9_mT8_S1G_bDpT10_ENKUlT_T0_E_clISt17integral_constantIbLb0EES1U_EEDaS1P_S1Q_EUlS1P_E_NS1_11comp_targetILNS1_3genE5ELNS1_11target_archE942ELNS1_3gpuE9ELNS1_3repE0EEENS1_30default_config_static_selectorELNS0_4arch9wavefront6targetE0EEEvS12_.has_dyn_sized_stack, 0
	.set _ZN7rocprim17ROCPRIM_400000_NS6detail17trampoline_kernelINS0_13select_configILj256ELj13ELNS0_17block_load_methodE3ELS4_3ELS4_3ELNS0_20block_scan_algorithmE0ELj4294967295EEENS1_25partition_config_selectorILNS1_17partition_subalgoE4EjNS0_10empty_typeEbEEZZNS1_14partition_implILS8_4ELb0ES6_15HIP_vector_typeIjLj2EENS0_17counting_iteratorIjlEEPS9_SG_NS0_5tupleIJPjSI_NS0_16reverse_iteratorISI_EEEEENSH_IJSG_SG_SG_EEES9_SI_JZNS1_25segmented_radix_sort_implINS0_14default_configELb0EPKsPsPKlPlN2at6native12_GLOBAL__N_18offset_tEEE10hipError_tPvRmT1_PNSt15iterator_traitsIS12_E10value_typeET2_T3_PNS13_IS18_E10value_typeET4_jRbjT5_S1E_jjP12ihipStream_tbEUljE_ZNSN_ISO_Lb0ESQ_SR_ST_SU_SY_EESZ_S10_S11_S12_S16_S17_S18_S1B_S1C_jS1D_jS1E_S1E_jjS1G_bEUljE0_EEESZ_S10_S11_S18_S1C_S1E_T6_T7_T9_mT8_S1G_bDpT10_ENKUlT_T0_E_clISt17integral_constantIbLb0EES1U_EEDaS1P_S1Q_EUlS1P_E_NS1_11comp_targetILNS1_3genE5ELNS1_11target_archE942ELNS1_3gpuE9ELNS1_3repE0EEENS1_30default_config_static_selectorELNS0_4arch9wavefront6targetE0EEEvS12_.has_recursion, 0
	.set _ZN7rocprim17ROCPRIM_400000_NS6detail17trampoline_kernelINS0_13select_configILj256ELj13ELNS0_17block_load_methodE3ELS4_3ELS4_3ELNS0_20block_scan_algorithmE0ELj4294967295EEENS1_25partition_config_selectorILNS1_17partition_subalgoE4EjNS0_10empty_typeEbEEZZNS1_14partition_implILS8_4ELb0ES6_15HIP_vector_typeIjLj2EENS0_17counting_iteratorIjlEEPS9_SG_NS0_5tupleIJPjSI_NS0_16reverse_iteratorISI_EEEEENSH_IJSG_SG_SG_EEES9_SI_JZNS1_25segmented_radix_sort_implINS0_14default_configELb0EPKsPsPKlPlN2at6native12_GLOBAL__N_18offset_tEEE10hipError_tPvRmT1_PNSt15iterator_traitsIS12_E10value_typeET2_T3_PNS13_IS18_E10value_typeET4_jRbjT5_S1E_jjP12ihipStream_tbEUljE_ZNSN_ISO_Lb0ESQ_SR_ST_SU_SY_EESZ_S10_S11_S12_S16_S17_S18_S1B_S1C_jS1D_jS1E_S1E_jjS1G_bEUljE0_EEESZ_S10_S11_S18_S1C_S1E_T6_T7_T9_mT8_S1G_bDpT10_ENKUlT_T0_E_clISt17integral_constantIbLb0EES1U_EEDaS1P_S1Q_EUlS1P_E_NS1_11comp_targetILNS1_3genE5ELNS1_11target_archE942ELNS1_3gpuE9ELNS1_3repE0EEENS1_30default_config_static_selectorELNS0_4arch9wavefront6targetE0EEEvS12_.has_indirect_call, 0
	.section	.AMDGPU.csdata,"",@progbits
; Kernel info:
; codeLenInByte = 0
; TotalNumSgprs: 0
; NumVgprs: 0
; ScratchSize: 0
; MemoryBound: 0
; FloatMode: 240
; IeeeMode: 1
; LDSByteSize: 0 bytes/workgroup (compile time only)
; SGPRBlocks: 0
; VGPRBlocks: 0
; NumSGPRsForWavesPerEU: 1
; NumVGPRsForWavesPerEU: 1
; Occupancy: 16
; WaveLimiterHint : 0
; COMPUTE_PGM_RSRC2:SCRATCH_EN: 0
; COMPUTE_PGM_RSRC2:USER_SGPR: 2
; COMPUTE_PGM_RSRC2:TRAP_HANDLER: 0
; COMPUTE_PGM_RSRC2:TGID_X_EN: 1
; COMPUTE_PGM_RSRC2:TGID_Y_EN: 0
; COMPUTE_PGM_RSRC2:TGID_Z_EN: 0
; COMPUTE_PGM_RSRC2:TIDIG_COMP_CNT: 0
	.section	.text._ZN7rocprim17ROCPRIM_400000_NS6detail17trampoline_kernelINS0_13select_configILj256ELj13ELNS0_17block_load_methodE3ELS4_3ELS4_3ELNS0_20block_scan_algorithmE0ELj4294967295EEENS1_25partition_config_selectorILNS1_17partition_subalgoE4EjNS0_10empty_typeEbEEZZNS1_14partition_implILS8_4ELb0ES6_15HIP_vector_typeIjLj2EENS0_17counting_iteratorIjlEEPS9_SG_NS0_5tupleIJPjSI_NS0_16reverse_iteratorISI_EEEEENSH_IJSG_SG_SG_EEES9_SI_JZNS1_25segmented_radix_sort_implINS0_14default_configELb0EPKsPsPKlPlN2at6native12_GLOBAL__N_18offset_tEEE10hipError_tPvRmT1_PNSt15iterator_traitsIS12_E10value_typeET2_T3_PNS13_IS18_E10value_typeET4_jRbjT5_S1E_jjP12ihipStream_tbEUljE_ZNSN_ISO_Lb0ESQ_SR_ST_SU_SY_EESZ_S10_S11_S12_S16_S17_S18_S1B_S1C_jS1D_jS1E_S1E_jjS1G_bEUljE0_EEESZ_S10_S11_S18_S1C_S1E_T6_T7_T9_mT8_S1G_bDpT10_ENKUlT_T0_E_clISt17integral_constantIbLb0EES1U_EEDaS1P_S1Q_EUlS1P_E_NS1_11comp_targetILNS1_3genE4ELNS1_11target_archE910ELNS1_3gpuE8ELNS1_3repE0EEENS1_30default_config_static_selectorELNS0_4arch9wavefront6targetE0EEEvS12_,"axG",@progbits,_ZN7rocprim17ROCPRIM_400000_NS6detail17trampoline_kernelINS0_13select_configILj256ELj13ELNS0_17block_load_methodE3ELS4_3ELS4_3ELNS0_20block_scan_algorithmE0ELj4294967295EEENS1_25partition_config_selectorILNS1_17partition_subalgoE4EjNS0_10empty_typeEbEEZZNS1_14partition_implILS8_4ELb0ES6_15HIP_vector_typeIjLj2EENS0_17counting_iteratorIjlEEPS9_SG_NS0_5tupleIJPjSI_NS0_16reverse_iteratorISI_EEEEENSH_IJSG_SG_SG_EEES9_SI_JZNS1_25segmented_radix_sort_implINS0_14default_configELb0EPKsPsPKlPlN2at6native12_GLOBAL__N_18offset_tEEE10hipError_tPvRmT1_PNSt15iterator_traitsIS12_E10value_typeET2_T3_PNS13_IS18_E10value_typeET4_jRbjT5_S1E_jjP12ihipStream_tbEUljE_ZNSN_ISO_Lb0ESQ_SR_ST_SU_SY_EESZ_S10_S11_S12_S16_S17_S18_S1B_S1C_jS1D_jS1E_S1E_jjS1G_bEUljE0_EEESZ_S10_S11_S18_S1C_S1E_T6_T7_T9_mT8_S1G_bDpT10_ENKUlT_T0_E_clISt17integral_constantIbLb0EES1U_EEDaS1P_S1Q_EUlS1P_E_NS1_11comp_targetILNS1_3genE4ELNS1_11target_archE910ELNS1_3gpuE8ELNS1_3repE0EEENS1_30default_config_static_selectorELNS0_4arch9wavefront6targetE0EEEvS12_,comdat
	.globl	_ZN7rocprim17ROCPRIM_400000_NS6detail17trampoline_kernelINS0_13select_configILj256ELj13ELNS0_17block_load_methodE3ELS4_3ELS4_3ELNS0_20block_scan_algorithmE0ELj4294967295EEENS1_25partition_config_selectorILNS1_17partition_subalgoE4EjNS0_10empty_typeEbEEZZNS1_14partition_implILS8_4ELb0ES6_15HIP_vector_typeIjLj2EENS0_17counting_iteratorIjlEEPS9_SG_NS0_5tupleIJPjSI_NS0_16reverse_iteratorISI_EEEEENSH_IJSG_SG_SG_EEES9_SI_JZNS1_25segmented_radix_sort_implINS0_14default_configELb0EPKsPsPKlPlN2at6native12_GLOBAL__N_18offset_tEEE10hipError_tPvRmT1_PNSt15iterator_traitsIS12_E10value_typeET2_T3_PNS13_IS18_E10value_typeET4_jRbjT5_S1E_jjP12ihipStream_tbEUljE_ZNSN_ISO_Lb0ESQ_SR_ST_SU_SY_EESZ_S10_S11_S12_S16_S17_S18_S1B_S1C_jS1D_jS1E_S1E_jjS1G_bEUljE0_EEESZ_S10_S11_S18_S1C_S1E_T6_T7_T9_mT8_S1G_bDpT10_ENKUlT_T0_E_clISt17integral_constantIbLb0EES1U_EEDaS1P_S1Q_EUlS1P_E_NS1_11comp_targetILNS1_3genE4ELNS1_11target_archE910ELNS1_3gpuE8ELNS1_3repE0EEENS1_30default_config_static_selectorELNS0_4arch9wavefront6targetE0EEEvS12_ ; -- Begin function _ZN7rocprim17ROCPRIM_400000_NS6detail17trampoline_kernelINS0_13select_configILj256ELj13ELNS0_17block_load_methodE3ELS4_3ELS4_3ELNS0_20block_scan_algorithmE0ELj4294967295EEENS1_25partition_config_selectorILNS1_17partition_subalgoE4EjNS0_10empty_typeEbEEZZNS1_14partition_implILS8_4ELb0ES6_15HIP_vector_typeIjLj2EENS0_17counting_iteratorIjlEEPS9_SG_NS0_5tupleIJPjSI_NS0_16reverse_iteratorISI_EEEEENSH_IJSG_SG_SG_EEES9_SI_JZNS1_25segmented_radix_sort_implINS0_14default_configELb0EPKsPsPKlPlN2at6native12_GLOBAL__N_18offset_tEEE10hipError_tPvRmT1_PNSt15iterator_traitsIS12_E10value_typeET2_T3_PNS13_IS18_E10value_typeET4_jRbjT5_S1E_jjP12ihipStream_tbEUljE_ZNSN_ISO_Lb0ESQ_SR_ST_SU_SY_EESZ_S10_S11_S12_S16_S17_S18_S1B_S1C_jS1D_jS1E_S1E_jjS1G_bEUljE0_EEESZ_S10_S11_S18_S1C_S1E_T6_T7_T9_mT8_S1G_bDpT10_ENKUlT_T0_E_clISt17integral_constantIbLb0EES1U_EEDaS1P_S1Q_EUlS1P_E_NS1_11comp_targetILNS1_3genE4ELNS1_11target_archE910ELNS1_3gpuE8ELNS1_3repE0EEENS1_30default_config_static_selectorELNS0_4arch9wavefront6targetE0EEEvS12_
	.p2align	8
	.type	_ZN7rocprim17ROCPRIM_400000_NS6detail17trampoline_kernelINS0_13select_configILj256ELj13ELNS0_17block_load_methodE3ELS4_3ELS4_3ELNS0_20block_scan_algorithmE0ELj4294967295EEENS1_25partition_config_selectorILNS1_17partition_subalgoE4EjNS0_10empty_typeEbEEZZNS1_14partition_implILS8_4ELb0ES6_15HIP_vector_typeIjLj2EENS0_17counting_iteratorIjlEEPS9_SG_NS0_5tupleIJPjSI_NS0_16reverse_iteratorISI_EEEEENSH_IJSG_SG_SG_EEES9_SI_JZNS1_25segmented_radix_sort_implINS0_14default_configELb0EPKsPsPKlPlN2at6native12_GLOBAL__N_18offset_tEEE10hipError_tPvRmT1_PNSt15iterator_traitsIS12_E10value_typeET2_T3_PNS13_IS18_E10value_typeET4_jRbjT5_S1E_jjP12ihipStream_tbEUljE_ZNSN_ISO_Lb0ESQ_SR_ST_SU_SY_EESZ_S10_S11_S12_S16_S17_S18_S1B_S1C_jS1D_jS1E_S1E_jjS1G_bEUljE0_EEESZ_S10_S11_S18_S1C_S1E_T6_T7_T9_mT8_S1G_bDpT10_ENKUlT_T0_E_clISt17integral_constantIbLb0EES1U_EEDaS1P_S1Q_EUlS1P_E_NS1_11comp_targetILNS1_3genE4ELNS1_11target_archE910ELNS1_3gpuE8ELNS1_3repE0EEENS1_30default_config_static_selectorELNS0_4arch9wavefront6targetE0EEEvS12_,@function
_ZN7rocprim17ROCPRIM_400000_NS6detail17trampoline_kernelINS0_13select_configILj256ELj13ELNS0_17block_load_methodE3ELS4_3ELS4_3ELNS0_20block_scan_algorithmE0ELj4294967295EEENS1_25partition_config_selectorILNS1_17partition_subalgoE4EjNS0_10empty_typeEbEEZZNS1_14partition_implILS8_4ELb0ES6_15HIP_vector_typeIjLj2EENS0_17counting_iteratorIjlEEPS9_SG_NS0_5tupleIJPjSI_NS0_16reverse_iteratorISI_EEEEENSH_IJSG_SG_SG_EEES9_SI_JZNS1_25segmented_radix_sort_implINS0_14default_configELb0EPKsPsPKlPlN2at6native12_GLOBAL__N_18offset_tEEE10hipError_tPvRmT1_PNSt15iterator_traitsIS12_E10value_typeET2_T3_PNS13_IS18_E10value_typeET4_jRbjT5_S1E_jjP12ihipStream_tbEUljE_ZNSN_ISO_Lb0ESQ_SR_ST_SU_SY_EESZ_S10_S11_S12_S16_S17_S18_S1B_S1C_jS1D_jS1E_S1E_jjS1G_bEUljE0_EEESZ_S10_S11_S18_S1C_S1E_T6_T7_T9_mT8_S1G_bDpT10_ENKUlT_T0_E_clISt17integral_constantIbLb0EES1U_EEDaS1P_S1Q_EUlS1P_E_NS1_11comp_targetILNS1_3genE4ELNS1_11target_archE910ELNS1_3gpuE8ELNS1_3repE0EEENS1_30default_config_static_selectorELNS0_4arch9wavefront6targetE0EEEvS12_: ; @_ZN7rocprim17ROCPRIM_400000_NS6detail17trampoline_kernelINS0_13select_configILj256ELj13ELNS0_17block_load_methodE3ELS4_3ELS4_3ELNS0_20block_scan_algorithmE0ELj4294967295EEENS1_25partition_config_selectorILNS1_17partition_subalgoE4EjNS0_10empty_typeEbEEZZNS1_14partition_implILS8_4ELb0ES6_15HIP_vector_typeIjLj2EENS0_17counting_iteratorIjlEEPS9_SG_NS0_5tupleIJPjSI_NS0_16reverse_iteratorISI_EEEEENSH_IJSG_SG_SG_EEES9_SI_JZNS1_25segmented_radix_sort_implINS0_14default_configELb0EPKsPsPKlPlN2at6native12_GLOBAL__N_18offset_tEEE10hipError_tPvRmT1_PNSt15iterator_traitsIS12_E10value_typeET2_T3_PNS13_IS18_E10value_typeET4_jRbjT5_S1E_jjP12ihipStream_tbEUljE_ZNSN_ISO_Lb0ESQ_SR_ST_SU_SY_EESZ_S10_S11_S12_S16_S17_S18_S1B_S1C_jS1D_jS1E_S1E_jjS1G_bEUljE0_EEESZ_S10_S11_S18_S1C_S1E_T6_T7_T9_mT8_S1G_bDpT10_ENKUlT_T0_E_clISt17integral_constantIbLb0EES1U_EEDaS1P_S1Q_EUlS1P_E_NS1_11comp_targetILNS1_3genE4ELNS1_11target_archE910ELNS1_3gpuE8ELNS1_3repE0EEENS1_30default_config_static_selectorELNS0_4arch9wavefront6targetE0EEEvS12_
; %bb.0:
	.section	.rodata,"a",@progbits
	.p2align	6, 0x0
	.amdhsa_kernel _ZN7rocprim17ROCPRIM_400000_NS6detail17trampoline_kernelINS0_13select_configILj256ELj13ELNS0_17block_load_methodE3ELS4_3ELS4_3ELNS0_20block_scan_algorithmE0ELj4294967295EEENS1_25partition_config_selectorILNS1_17partition_subalgoE4EjNS0_10empty_typeEbEEZZNS1_14partition_implILS8_4ELb0ES6_15HIP_vector_typeIjLj2EENS0_17counting_iteratorIjlEEPS9_SG_NS0_5tupleIJPjSI_NS0_16reverse_iteratorISI_EEEEENSH_IJSG_SG_SG_EEES9_SI_JZNS1_25segmented_radix_sort_implINS0_14default_configELb0EPKsPsPKlPlN2at6native12_GLOBAL__N_18offset_tEEE10hipError_tPvRmT1_PNSt15iterator_traitsIS12_E10value_typeET2_T3_PNS13_IS18_E10value_typeET4_jRbjT5_S1E_jjP12ihipStream_tbEUljE_ZNSN_ISO_Lb0ESQ_SR_ST_SU_SY_EESZ_S10_S11_S12_S16_S17_S18_S1B_S1C_jS1D_jS1E_S1E_jjS1G_bEUljE0_EEESZ_S10_S11_S18_S1C_S1E_T6_T7_T9_mT8_S1G_bDpT10_ENKUlT_T0_E_clISt17integral_constantIbLb0EES1U_EEDaS1P_S1Q_EUlS1P_E_NS1_11comp_targetILNS1_3genE4ELNS1_11target_archE910ELNS1_3gpuE8ELNS1_3repE0EEENS1_30default_config_static_selectorELNS0_4arch9wavefront6targetE0EEEvS12_
		.amdhsa_group_segment_fixed_size 0
		.amdhsa_private_segment_fixed_size 0
		.amdhsa_kernarg_size 176
		.amdhsa_user_sgpr_count 2
		.amdhsa_user_sgpr_dispatch_ptr 0
		.amdhsa_user_sgpr_queue_ptr 0
		.amdhsa_user_sgpr_kernarg_segment_ptr 1
		.amdhsa_user_sgpr_dispatch_id 0
		.amdhsa_user_sgpr_private_segment_size 0
		.amdhsa_wavefront_size32 1
		.amdhsa_uses_dynamic_stack 0
		.amdhsa_enable_private_segment 0
		.amdhsa_system_sgpr_workgroup_id_x 1
		.amdhsa_system_sgpr_workgroup_id_y 0
		.amdhsa_system_sgpr_workgroup_id_z 0
		.amdhsa_system_sgpr_workgroup_info 0
		.amdhsa_system_vgpr_workitem_id 0
		.amdhsa_next_free_vgpr 1
		.amdhsa_next_free_sgpr 1
		.amdhsa_reserve_vcc 0
		.amdhsa_float_round_mode_32 0
		.amdhsa_float_round_mode_16_64 0
		.amdhsa_float_denorm_mode_32 3
		.amdhsa_float_denorm_mode_16_64 3
		.amdhsa_fp16_overflow 0
		.amdhsa_workgroup_processor_mode 1
		.amdhsa_memory_ordered 1
		.amdhsa_forward_progress 1
		.amdhsa_inst_pref_size 0
		.amdhsa_round_robin_scheduling 0
		.amdhsa_exception_fp_ieee_invalid_op 0
		.amdhsa_exception_fp_denorm_src 0
		.amdhsa_exception_fp_ieee_div_zero 0
		.amdhsa_exception_fp_ieee_overflow 0
		.amdhsa_exception_fp_ieee_underflow 0
		.amdhsa_exception_fp_ieee_inexact 0
		.amdhsa_exception_int_div_zero 0
	.end_amdhsa_kernel
	.section	.text._ZN7rocprim17ROCPRIM_400000_NS6detail17trampoline_kernelINS0_13select_configILj256ELj13ELNS0_17block_load_methodE3ELS4_3ELS4_3ELNS0_20block_scan_algorithmE0ELj4294967295EEENS1_25partition_config_selectorILNS1_17partition_subalgoE4EjNS0_10empty_typeEbEEZZNS1_14partition_implILS8_4ELb0ES6_15HIP_vector_typeIjLj2EENS0_17counting_iteratorIjlEEPS9_SG_NS0_5tupleIJPjSI_NS0_16reverse_iteratorISI_EEEEENSH_IJSG_SG_SG_EEES9_SI_JZNS1_25segmented_radix_sort_implINS0_14default_configELb0EPKsPsPKlPlN2at6native12_GLOBAL__N_18offset_tEEE10hipError_tPvRmT1_PNSt15iterator_traitsIS12_E10value_typeET2_T3_PNS13_IS18_E10value_typeET4_jRbjT5_S1E_jjP12ihipStream_tbEUljE_ZNSN_ISO_Lb0ESQ_SR_ST_SU_SY_EESZ_S10_S11_S12_S16_S17_S18_S1B_S1C_jS1D_jS1E_S1E_jjS1G_bEUljE0_EEESZ_S10_S11_S18_S1C_S1E_T6_T7_T9_mT8_S1G_bDpT10_ENKUlT_T0_E_clISt17integral_constantIbLb0EES1U_EEDaS1P_S1Q_EUlS1P_E_NS1_11comp_targetILNS1_3genE4ELNS1_11target_archE910ELNS1_3gpuE8ELNS1_3repE0EEENS1_30default_config_static_selectorELNS0_4arch9wavefront6targetE0EEEvS12_,"axG",@progbits,_ZN7rocprim17ROCPRIM_400000_NS6detail17trampoline_kernelINS0_13select_configILj256ELj13ELNS0_17block_load_methodE3ELS4_3ELS4_3ELNS0_20block_scan_algorithmE0ELj4294967295EEENS1_25partition_config_selectorILNS1_17partition_subalgoE4EjNS0_10empty_typeEbEEZZNS1_14partition_implILS8_4ELb0ES6_15HIP_vector_typeIjLj2EENS0_17counting_iteratorIjlEEPS9_SG_NS0_5tupleIJPjSI_NS0_16reverse_iteratorISI_EEEEENSH_IJSG_SG_SG_EEES9_SI_JZNS1_25segmented_radix_sort_implINS0_14default_configELb0EPKsPsPKlPlN2at6native12_GLOBAL__N_18offset_tEEE10hipError_tPvRmT1_PNSt15iterator_traitsIS12_E10value_typeET2_T3_PNS13_IS18_E10value_typeET4_jRbjT5_S1E_jjP12ihipStream_tbEUljE_ZNSN_ISO_Lb0ESQ_SR_ST_SU_SY_EESZ_S10_S11_S12_S16_S17_S18_S1B_S1C_jS1D_jS1E_S1E_jjS1G_bEUljE0_EEESZ_S10_S11_S18_S1C_S1E_T6_T7_T9_mT8_S1G_bDpT10_ENKUlT_T0_E_clISt17integral_constantIbLb0EES1U_EEDaS1P_S1Q_EUlS1P_E_NS1_11comp_targetILNS1_3genE4ELNS1_11target_archE910ELNS1_3gpuE8ELNS1_3repE0EEENS1_30default_config_static_selectorELNS0_4arch9wavefront6targetE0EEEvS12_,comdat
.Lfunc_end952:
	.size	_ZN7rocprim17ROCPRIM_400000_NS6detail17trampoline_kernelINS0_13select_configILj256ELj13ELNS0_17block_load_methodE3ELS4_3ELS4_3ELNS0_20block_scan_algorithmE0ELj4294967295EEENS1_25partition_config_selectorILNS1_17partition_subalgoE4EjNS0_10empty_typeEbEEZZNS1_14partition_implILS8_4ELb0ES6_15HIP_vector_typeIjLj2EENS0_17counting_iteratorIjlEEPS9_SG_NS0_5tupleIJPjSI_NS0_16reverse_iteratorISI_EEEEENSH_IJSG_SG_SG_EEES9_SI_JZNS1_25segmented_radix_sort_implINS0_14default_configELb0EPKsPsPKlPlN2at6native12_GLOBAL__N_18offset_tEEE10hipError_tPvRmT1_PNSt15iterator_traitsIS12_E10value_typeET2_T3_PNS13_IS18_E10value_typeET4_jRbjT5_S1E_jjP12ihipStream_tbEUljE_ZNSN_ISO_Lb0ESQ_SR_ST_SU_SY_EESZ_S10_S11_S12_S16_S17_S18_S1B_S1C_jS1D_jS1E_S1E_jjS1G_bEUljE0_EEESZ_S10_S11_S18_S1C_S1E_T6_T7_T9_mT8_S1G_bDpT10_ENKUlT_T0_E_clISt17integral_constantIbLb0EES1U_EEDaS1P_S1Q_EUlS1P_E_NS1_11comp_targetILNS1_3genE4ELNS1_11target_archE910ELNS1_3gpuE8ELNS1_3repE0EEENS1_30default_config_static_selectorELNS0_4arch9wavefront6targetE0EEEvS12_, .Lfunc_end952-_ZN7rocprim17ROCPRIM_400000_NS6detail17trampoline_kernelINS0_13select_configILj256ELj13ELNS0_17block_load_methodE3ELS4_3ELS4_3ELNS0_20block_scan_algorithmE0ELj4294967295EEENS1_25partition_config_selectorILNS1_17partition_subalgoE4EjNS0_10empty_typeEbEEZZNS1_14partition_implILS8_4ELb0ES6_15HIP_vector_typeIjLj2EENS0_17counting_iteratorIjlEEPS9_SG_NS0_5tupleIJPjSI_NS0_16reverse_iteratorISI_EEEEENSH_IJSG_SG_SG_EEES9_SI_JZNS1_25segmented_radix_sort_implINS0_14default_configELb0EPKsPsPKlPlN2at6native12_GLOBAL__N_18offset_tEEE10hipError_tPvRmT1_PNSt15iterator_traitsIS12_E10value_typeET2_T3_PNS13_IS18_E10value_typeET4_jRbjT5_S1E_jjP12ihipStream_tbEUljE_ZNSN_ISO_Lb0ESQ_SR_ST_SU_SY_EESZ_S10_S11_S12_S16_S17_S18_S1B_S1C_jS1D_jS1E_S1E_jjS1G_bEUljE0_EEESZ_S10_S11_S18_S1C_S1E_T6_T7_T9_mT8_S1G_bDpT10_ENKUlT_T0_E_clISt17integral_constantIbLb0EES1U_EEDaS1P_S1Q_EUlS1P_E_NS1_11comp_targetILNS1_3genE4ELNS1_11target_archE910ELNS1_3gpuE8ELNS1_3repE0EEENS1_30default_config_static_selectorELNS0_4arch9wavefront6targetE0EEEvS12_
                                        ; -- End function
	.set _ZN7rocprim17ROCPRIM_400000_NS6detail17trampoline_kernelINS0_13select_configILj256ELj13ELNS0_17block_load_methodE3ELS4_3ELS4_3ELNS0_20block_scan_algorithmE0ELj4294967295EEENS1_25partition_config_selectorILNS1_17partition_subalgoE4EjNS0_10empty_typeEbEEZZNS1_14partition_implILS8_4ELb0ES6_15HIP_vector_typeIjLj2EENS0_17counting_iteratorIjlEEPS9_SG_NS0_5tupleIJPjSI_NS0_16reverse_iteratorISI_EEEEENSH_IJSG_SG_SG_EEES9_SI_JZNS1_25segmented_radix_sort_implINS0_14default_configELb0EPKsPsPKlPlN2at6native12_GLOBAL__N_18offset_tEEE10hipError_tPvRmT1_PNSt15iterator_traitsIS12_E10value_typeET2_T3_PNS13_IS18_E10value_typeET4_jRbjT5_S1E_jjP12ihipStream_tbEUljE_ZNSN_ISO_Lb0ESQ_SR_ST_SU_SY_EESZ_S10_S11_S12_S16_S17_S18_S1B_S1C_jS1D_jS1E_S1E_jjS1G_bEUljE0_EEESZ_S10_S11_S18_S1C_S1E_T6_T7_T9_mT8_S1G_bDpT10_ENKUlT_T0_E_clISt17integral_constantIbLb0EES1U_EEDaS1P_S1Q_EUlS1P_E_NS1_11comp_targetILNS1_3genE4ELNS1_11target_archE910ELNS1_3gpuE8ELNS1_3repE0EEENS1_30default_config_static_selectorELNS0_4arch9wavefront6targetE0EEEvS12_.num_vgpr, 0
	.set _ZN7rocprim17ROCPRIM_400000_NS6detail17trampoline_kernelINS0_13select_configILj256ELj13ELNS0_17block_load_methodE3ELS4_3ELS4_3ELNS0_20block_scan_algorithmE0ELj4294967295EEENS1_25partition_config_selectorILNS1_17partition_subalgoE4EjNS0_10empty_typeEbEEZZNS1_14partition_implILS8_4ELb0ES6_15HIP_vector_typeIjLj2EENS0_17counting_iteratorIjlEEPS9_SG_NS0_5tupleIJPjSI_NS0_16reverse_iteratorISI_EEEEENSH_IJSG_SG_SG_EEES9_SI_JZNS1_25segmented_radix_sort_implINS0_14default_configELb0EPKsPsPKlPlN2at6native12_GLOBAL__N_18offset_tEEE10hipError_tPvRmT1_PNSt15iterator_traitsIS12_E10value_typeET2_T3_PNS13_IS18_E10value_typeET4_jRbjT5_S1E_jjP12ihipStream_tbEUljE_ZNSN_ISO_Lb0ESQ_SR_ST_SU_SY_EESZ_S10_S11_S12_S16_S17_S18_S1B_S1C_jS1D_jS1E_S1E_jjS1G_bEUljE0_EEESZ_S10_S11_S18_S1C_S1E_T6_T7_T9_mT8_S1G_bDpT10_ENKUlT_T0_E_clISt17integral_constantIbLb0EES1U_EEDaS1P_S1Q_EUlS1P_E_NS1_11comp_targetILNS1_3genE4ELNS1_11target_archE910ELNS1_3gpuE8ELNS1_3repE0EEENS1_30default_config_static_selectorELNS0_4arch9wavefront6targetE0EEEvS12_.num_agpr, 0
	.set _ZN7rocprim17ROCPRIM_400000_NS6detail17trampoline_kernelINS0_13select_configILj256ELj13ELNS0_17block_load_methodE3ELS4_3ELS4_3ELNS0_20block_scan_algorithmE0ELj4294967295EEENS1_25partition_config_selectorILNS1_17partition_subalgoE4EjNS0_10empty_typeEbEEZZNS1_14partition_implILS8_4ELb0ES6_15HIP_vector_typeIjLj2EENS0_17counting_iteratorIjlEEPS9_SG_NS0_5tupleIJPjSI_NS0_16reverse_iteratorISI_EEEEENSH_IJSG_SG_SG_EEES9_SI_JZNS1_25segmented_radix_sort_implINS0_14default_configELb0EPKsPsPKlPlN2at6native12_GLOBAL__N_18offset_tEEE10hipError_tPvRmT1_PNSt15iterator_traitsIS12_E10value_typeET2_T3_PNS13_IS18_E10value_typeET4_jRbjT5_S1E_jjP12ihipStream_tbEUljE_ZNSN_ISO_Lb0ESQ_SR_ST_SU_SY_EESZ_S10_S11_S12_S16_S17_S18_S1B_S1C_jS1D_jS1E_S1E_jjS1G_bEUljE0_EEESZ_S10_S11_S18_S1C_S1E_T6_T7_T9_mT8_S1G_bDpT10_ENKUlT_T0_E_clISt17integral_constantIbLb0EES1U_EEDaS1P_S1Q_EUlS1P_E_NS1_11comp_targetILNS1_3genE4ELNS1_11target_archE910ELNS1_3gpuE8ELNS1_3repE0EEENS1_30default_config_static_selectorELNS0_4arch9wavefront6targetE0EEEvS12_.numbered_sgpr, 0
	.set _ZN7rocprim17ROCPRIM_400000_NS6detail17trampoline_kernelINS0_13select_configILj256ELj13ELNS0_17block_load_methodE3ELS4_3ELS4_3ELNS0_20block_scan_algorithmE0ELj4294967295EEENS1_25partition_config_selectorILNS1_17partition_subalgoE4EjNS0_10empty_typeEbEEZZNS1_14partition_implILS8_4ELb0ES6_15HIP_vector_typeIjLj2EENS0_17counting_iteratorIjlEEPS9_SG_NS0_5tupleIJPjSI_NS0_16reverse_iteratorISI_EEEEENSH_IJSG_SG_SG_EEES9_SI_JZNS1_25segmented_radix_sort_implINS0_14default_configELb0EPKsPsPKlPlN2at6native12_GLOBAL__N_18offset_tEEE10hipError_tPvRmT1_PNSt15iterator_traitsIS12_E10value_typeET2_T3_PNS13_IS18_E10value_typeET4_jRbjT5_S1E_jjP12ihipStream_tbEUljE_ZNSN_ISO_Lb0ESQ_SR_ST_SU_SY_EESZ_S10_S11_S12_S16_S17_S18_S1B_S1C_jS1D_jS1E_S1E_jjS1G_bEUljE0_EEESZ_S10_S11_S18_S1C_S1E_T6_T7_T9_mT8_S1G_bDpT10_ENKUlT_T0_E_clISt17integral_constantIbLb0EES1U_EEDaS1P_S1Q_EUlS1P_E_NS1_11comp_targetILNS1_3genE4ELNS1_11target_archE910ELNS1_3gpuE8ELNS1_3repE0EEENS1_30default_config_static_selectorELNS0_4arch9wavefront6targetE0EEEvS12_.num_named_barrier, 0
	.set _ZN7rocprim17ROCPRIM_400000_NS6detail17trampoline_kernelINS0_13select_configILj256ELj13ELNS0_17block_load_methodE3ELS4_3ELS4_3ELNS0_20block_scan_algorithmE0ELj4294967295EEENS1_25partition_config_selectorILNS1_17partition_subalgoE4EjNS0_10empty_typeEbEEZZNS1_14partition_implILS8_4ELb0ES6_15HIP_vector_typeIjLj2EENS0_17counting_iteratorIjlEEPS9_SG_NS0_5tupleIJPjSI_NS0_16reverse_iteratorISI_EEEEENSH_IJSG_SG_SG_EEES9_SI_JZNS1_25segmented_radix_sort_implINS0_14default_configELb0EPKsPsPKlPlN2at6native12_GLOBAL__N_18offset_tEEE10hipError_tPvRmT1_PNSt15iterator_traitsIS12_E10value_typeET2_T3_PNS13_IS18_E10value_typeET4_jRbjT5_S1E_jjP12ihipStream_tbEUljE_ZNSN_ISO_Lb0ESQ_SR_ST_SU_SY_EESZ_S10_S11_S12_S16_S17_S18_S1B_S1C_jS1D_jS1E_S1E_jjS1G_bEUljE0_EEESZ_S10_S11_S18_S1C_S1E_T6_T7_T9_mT8_S1G_bDpT10_ENKUlT_T0_E_clISt17integral_constantIbLb0EES1U_EEDaS1P_S1Q_EUlS1P_E_NS1_11comp_targetILNS1_3genE4ELNS1_11target_archE910ELNS1_3gpuE8ELNS1_3repE0EEENS1_30default_config_static_selectorELNS0_4arch9wavefront6targetE0EEEvS12_.private_seg_size, 0
	.set _ZN7rocprim17ROCPRIM_400000_NS6detail17trampoline_kernelINS0_13select_configILj256ELj13ELNS0_17block_load_methodE3ELS4_3ELS4_3ELNS0_20block_scan_algorithmE0ELj4294967295EEENS1_25partition_config_selectorILNS1_17partition_subalgoE4EjNS0_10empty_typeEbEEZZNS1_14partition_implILS8_4ELb0ES6_15HIP_vector_typeIjLj2EENS0_17counting_iteratorIjlEEPS9_SG_NS0_5tupleIJPjSI_NS0_16reverse_iteratorISI_EEEEENSH_IJSG_SG_SG_EEES9_SI_JZNS1_25segmented_radix_sort_implINS0_14default_configELb0EPKsPsPKlPlN2at6native12_GLOBAL__N_18offset_tEEE10hipError_tPvRmT1_PNSt15iterator_traitsIS12_E10value_typeET2_T3_PNS13_IS18_E10value_typeET4_jRbjT5_S1E_jjP12ihipStream_tbEUljE_ZNSN_ISO_Lb0ESQ_SR_ST_SU_SY_EESZ_S10_S11_S12_S16_S17_S18_S1B_S1C_jS1D_jS1E_S1E_jjS1G_bEUljE0_EEESZ_S10_S11_S18_S1C_S1E_T6_T7_T9_mT8_S1G_bDpT10_ENKUlT_T0_E_clISt17integral_constantIbLb0EES1U_EEDaS1P_S1Q_EUlS1P_E_NS1_11comp_targetILNS1_3genE4ELNS1_11target_archE910ELNS1_3gpuE8ELNS1_3repE0EEENS1_30default_config_static_selectorELNS0_4arch9wavefront6targetE0EEEvS12_.uses_vcc, 0
	.set _ZN7rocprim17ROCPRIM_400000_NS6detail17trampoline_kernelINS0_13select_configILj256ELj13ELNS0_17block_load_methodE3ELS4_3ELS4_3ELNS0_20block_scan_algorithmE0ELj4294967295EEENS1_25partition_config_selectorILNS1_17partition_subalgoE4EjNS0_10empty_typeEbEEZZNS1_14partition_implILS8_4ELb0ES6_15HIP_vector_typeIjLj2EENS0_17counting_iteratorIjlEEPS9_SG_NS0_5tupleIJPjSI_NS0_16reverse_iteratorISI_EEEEENSH_IJSG_SG_SG_EEES9_SI_JZNS1_25segmented_radix_sort_implINS0_14default_configELb0EPKsPsPKlPlN2at6native12_GLOBAL__N_18offset_tEEE10hipError_tPvRmT1_PNSt15iterator_traitsIS12_E10value_typeET2_T3_PNS13_IS18_E10value_typeET4_jRbjT5_S1E_jjP12ihipStream_tbEUljE_ZNSN_ISO_Lb0ESQ_SR_ST_SU_SY_EESZ_S10_S11_S12_S16_S17_S18_S1B_S1C_jS1D_jS1E_S1E_jjS1G_bEUljE0_EEESZ_S10_S11_S18_S1C_S1E_T6_T7_T9_mT8_S1G_bDpT10_ENKUlT_T0_E_clISt17integral_constantIbLb0EES1U_EEDaS1P_S1Q_EUlS1P_E_NS1_11comp_targetILNS1_3genE4ELNS1_11target_archE910ELNS1_3gpuE8ELNS1_3repE0EEENS1_30default_config_static_selectorELNS0_4arch9wavefront6targetE0EEEvS12_.uses_flat_scratch, 0
	.set _ZN7rocprim17ROCPRIM_400000_NS6detail17trampoline_kernelINS0_13select_configILj256ELj13ELNS0_17block_load_methodE3ELS4_3ELS4_3ELNS0_20block_scan_algorithmE0ELj4294967295EEENS1_25partition_config_selectorILNS1_17partition_subalgoE4EjNS0_10empty_typeEbEEZZNS1_14partition_implILS8_4ELb0ES6_15HIP_vector_typeIjLj2EENS0_17counting_iteratorIjlEEPS9_SG_NS0_5tupleIJPjSI_NS0_16reverse_iteratorISI_EEEEENSH_IJSG_SG_SG_EEES9_SI_JZNS1_25segmented_radix_sort_implINS0_14default_configELb0EPKsPsPKlPlN2at6native12_GLOBAL__N_18offset_tEEE10hipError_tPvRmT1_PNSt15iterator_traitsIS12_E10value_typeET2_T3_PNS13_IS18_E10value_typeET4_jRbjT5_S1E_jjP12ihipStream_tbEUljE_ZNSN_ISO_Lb0ESQ_SR_ST_SU_SY_EESZ_S10_S11_S12_S16_S17_S18_S1B_S1C_jS1D_jS1E_S1E_jjS1G_bEUljE0_EEESZ_S10_S11_S18_S1C_S1E_T6_T7_T9_mT8_S1G_bDpT10_ENKUlT_T0_E_clISt17integral_constantIbLb0EES1U_EEDaS1P_S1Q_EUlS1P_E_NS1_11comp_targetILNS1_3genE4ELNS1_11target_archE910ELNS1_3gpuE8ELNS1_3repE0EEENS1_30default_config_static_selectorELNS0_4arch9wavefront6targetE0EEEvS12_.has_dyn_sized_stack, 0
	.set _ZN7rocprim17ROCPRIM_400000_NS6detail17trampoline_kernelINS0_13select_configILj256ELj13ELNS0_17block_load_methodE3ELS4_3ELS4_3ELNS0_20block_scan_algorithmE0ELj4294967295EEENS1_25partition_config_selectorILNS1_17partition_subalgoE4EjNS0_10empty_typeEbEEZZNS1_14partition_implILS8_4ELb0ES6_15HIP_vector_typeIjLj2EENS0_17counting_iteratorIjlEEPS9_SG_NS0_5tupleIJPjSI_NS0_16reverse_iteratorISI_EEEEENSH_IJSG_SG_SG_EEES9_SI_JZNS1_25segmented_radix_sort_implINS0_14default_configELb0EPKsPsPKlPlN2at6native12_GLOBAL__N_18offset_tEEE10hipError_tPvRmT1_PNSt15iterator_traitsIS12_E10value_typeET2_T3_PNS13_IS18_E10value_typeET4_jRbjT5_S1E_jjP12ihipStream_tbEUljE_ZNSN_ISO_Lb0ESQ_SR_ST_SU_SY_EESZ_S10_S11_S12_S16_S17_S18_S1B_S1C_jS1D_jS1E_S1E_jjS1G_bEUljE0_EEESZ_S10_S11_S18_S1C_S1E_T6_T7_T9_mT8_S1G_bDpT10_ENKUlT_T0_E_clISt17integral_constantIbLb0EES1U_EEDaS1P_S1Q_EUlS1P_E_NS1_11comp_targetILNS1_3genE4ELNS1_11target_archE910ELNS1_3gpuE8ELNS1_3repE0EEENS1_30default_config_static_selectorELNS0_4arch9wavefront6targetE0EEEvS12_.has_recursion, 0
	.set _ZN7rocprim17ROCPRIM_400000_NS6detail17trampoline_kernelINS0_13select_configILj256ELj13ELNS0_17block_load_methodE3ELS4_3ELS4_3ELNS0_20block_scan_algorithmE0ELj4294967295EEENS1_25partition_config_selectorILNS1_17partition_subalgoE4EjNS0_10empty_typeEbEEZZNS1_14partition_implILS8_4ELb0ES6_15HIP_vector_typeIjLj2EENS0_17counting_iteratorIjlEEPS9_SG_NS0_5tupleIJPjSI_NS0_16reverse_iteratorISI_EEEEENSH_IJSG_SG_SG_EEES9_SI_JZNS1_25segmented_radix_sort_implINS0_14default_configELb0EPKsPsPKlPlN2at6native12_GLOBAL__N_18offset_tEEE10hipError_tPvRmT1_PNSt15iterator_traitsIS12_E10value_typeET2_T3_PNS13_IS18_E10value_typeET4_jRbjT5_S1E_jjP12ihipStream_tbEUljE_ZNSN_ISO_Lb0ESQ_SR_ST_SU_SY_EESZ_S10_S11_S12_S16_S17_S18_S1B_S1C_jS1D_jS1E_S1E_jjS1G_bEUljE0_EEESZ_S10_S11_S18_S1C_S1E_T6_T7_T9_mT8_S1G_bDpT10_ENKUlT_T0_E_clISt17integral_constantIbLb0EES1U_EEDaS1P_S1Q_EUlS1P_E_NS1_11comp_targetILNS1_3genE4ELNS1_11target_archE910ELNS1_3gpuE8ELNS1_3repE0EEENS1_30default_config_static_selectorELNS0_4arch9wavefront6targetE0EEEvS12_.has_indirect_call, 0
	.section	.AMDGPU.csdata,"",@progbits
; Kernel info:
; codeLenInByte = 0
; TotalNumSgprs: 0
; NumVgprs: 0
; ScratchSize: 0
; MemoryBound: 0
; FloatMode: 240
; IeeeMode: 1
; LDSByteSize: 0 bytes/workgroup (compile time only)
; SGPRBlocks: 0
; VGPRBlocks: 0
; NumSGPRsForWavesPerEU: 1
; NumVGPRsForWavesPerEU: 1
; Occupancy: 16
; WaveLimiterHint : 0
; COMPUTE_PGM_RSRC2:SCRATCH_EN: 0
; COMPUTE_PGM_RSRC2:USER_SGPR: 2
; COMPUTE_PGM_RSRC2:TRAP_HANDLER: 0
; COMPUTE_PGM_RSRC2:TGID_X_EN: 1
; COMPUTE_PGM_RSRC2:TGID_Y_EN: 0
; COMPUTE_PGM_RSRC2:TGID_Z_EN: 0
; COMPUTE_PGM_RSRC2:TIDIG_COMP_CNT: 0
	.section	.text._ZN7rocprim17ROCPRIM_400000_NS6detail17trampoline_kernelINS0_13select_configILj256ELj13ELNS0_17block_load_methodE3ELS4_3ELS4_3ELNS0_20block_scan_algorithmE0ELj4294967295EEENS1_25partition_config_selectorILNS1_17partition_subalgoE4EjNS0_10empty_typeEbEEZZNS1_14partition_implILS8_4ELb0ES6_15HIP_vector_typeIjLj2EENS0_17counting_iteratorIjlEEPS9_SG_NS0_5tupleIJPjSI_NS0_16reverse_iteratorISI_EEEEENSH_IJSG_SG_SG_EEES9_SI_JZNS1_25segmented_radix_sort_implINS0_14default_configELb0EPKsPsPKlPlN2at6native12_GLOBAL__N_18offset_tEEE10hipError_tPvRmT1_PNSt15iterator_traitsIS12_E10value_typeET2_T3_PNS13_IS18_E10value_typeET4_jRbjT5_S1E_jjP12ihipStream_tbEUljE_ZNSN_ISO_Lb0ESQ_SR_ST_SU_SY_EESZ_S10_S11_S12_S16_S17_S18_S1B_S1C_jS1D_jS1E_S1E_jjS1G_bEUljE0_EEESZ_S10_S11_S18_S1C_S1E_T6_T7_T9_mT8_S1G_bDpT10_ENKUlT_T0_E_clISt17integral_constantIbLb0EES1U_EEDaS1P_S1Q_EUlS1P_E_NS1_11comp_targetILNS1_3genE3ELNS1_11target_archE908ELNS1_3gpuE7ELNS1_3repE0EEENS1_30default_config_static_selectorELNS0_4arch9wavefront6targetE0EEEvS12_,"axG",@progbits,_ZN7rocprim17ROCPRIM_400000_NS6detail17trampoline_kernelINS0_13select_configILj256ELj13ELNS0_17block_load_methodE3ELS4_3ELS4_3ELNS0_20block_scan_algorithmE0ELj4294967295EEENS1_25partition_config_selectorILNS1_17partition_subalgoE4EjNS0_10empty_typeEbEEZZNS1_14partition_implILS8_4ELb0ES6_15HIP_vector_typeIjLj2EENS0_17counting_iteratorIjlEEPS9_SG_NS0_5tupleIJPjSI_NS0_16reverse_iteratorISI_EEEEENSH_IJSG_SG_SG_EEES9_SI_JZNS1_25segmented_radix_sort_implINS0_14default_configELb0EPKsPsPKlPlN2at6native12_GLOBAL__N_18offset_tEEE10hipError_tPvRmT1_PNSt15iterator_traitsIS12_E10value_typeET2_T3_PNS13_IS18_E10value_typeET4_jRbjT5_S1E_jjP12ihipStream_tbEUljE_ZNSN_ISO_Lb0ESQ_SR_ST_SU_SY_EESZ_S10_S11_S12_S16_S17_S18_S1B_S1C_jS1D_jS1E_S1E_jjS1G_bEUljE0_EEESZ_S10_S11_S18_S1C_S1E_T6_T7_T9_mT8_S1G_bDpT10_ENKUlT_T0_E_clISt17integral_constantIbLb0EES1U_EEDaS1P_S1Q_EUlS1P_E_NS1_11comp_targetILNS1_3genE3ELNS1_11target_archE908ELNS1_3gpuE7ELNS1_3repE0EEENS1_30default_config_static_selectorELNS0_4arch9wavefront6targetE0EEEvS12_,comdat
	.globl	_ZN7rocprim17ROCPRIM_400000_NS6detail17trampoline_kernelINS0_13select_configILj256ELj13ELNS0_17block_load_methodE3ELS4_3ELS4_3ELNS0_20block_scan_algorithmE0ELj4294967295EEENS1_25partition_config_selectorILNS1_17partition_subalgoE4EjNS0_10empty_typeEbEEZZNS1_14partition_implILS8_4ELb0ES6_15HIP_vector_typeIjLj2EENS0_17counting_iteratorIjlEEPS9_SG_NS0_5tupleIJPjSI_NS0_16reverse_iteratorISI_EEEEENSH_IJSG_SG_SG_EEES9_SI_JZNS1_25segmented_radix_sort_implINS0_14default_configELb0EPKsPsPKlPlN2at6native12_GLOBAL__N_18offset_tEEE10hipError_tPvRmT1_PNSt15iterator_traitsIS12_E10value_typeET2_T3_PNS13_IS18_E10value_typeET4_jRbjT5_S1E_jjP12ihipStream_tbEUljE_ZNSN_ISO_Lb0ESQ_SR_ST_SU_SY_EESZ_S10_S11_S12_S16_S17_S18_S1B_S1C_jS1D_jS1E_S1E_jjS1G_bEUljE0_EEESZ_S10_S11_S18_S1C_S1E_T6_T7_T9_mT8_S1G_bDpT10_ENKUlT_T0_E_clISt17integral_constantIbLb0EES1U_EEDaS1P_S1Q_EUlS1P_E_NS1_11comp_targetILNS1_3genE3ELNS1_11target_archE908ELNS1_3gpuE7ELNS1_3repE0EEENS1_30default_config_static_selectorELNS0_4arch9wavefront6targetE0EEEvS12_ ; -- Begin function _ZN7rocprim17ROCPRIM_400000_NS6detail17trampoline_kernelINS0_13select_configILj256ELj13ELNS0_17block_load_methodE3ELS4_3ELS4_3ELNS0_20block_scan_algorithmE0ELj4294967295EEENS1_25partition_config_selectorILNS1_17partition_subalgoE4EjNS0_10empty_typeEbEEZZNS1_14partition_implILS8_4ELb0ES6_15HIP_vector_typeIjLj2EENS0_17counting_iteratorIjlEEPS9_SG_NS0_5tupleIJPjSI_NS0_16reverse_iteratorISI_EEEEENSH_IJSG_SG_SG_EEES9_SI_JZNS1_25segmented_radix_sort_implINS0_14default_configELb0EPKsPsPKlPlN2at6native12_GLOBAL__N_18offset_tEEE10hipError_tPvRmT1_PNSt15iterator_traitsIS12_E10value_typeET2_T3_PNS13_IS18_E10value_typeET4_jRbjT5_S1E_jjP12ihipStream_tbEUljE_ZNSN_ISO_Lb0ESQ_SR_ST_SU_SY_EESZ_S10_S11_S12_S16_S17_S18_S1B_S1C_jS1D_jS1E_S1E_jjS1G_bEUljE0_EEESZ_S10_S11_S18_S1C_S1E_T6_T7_T9_mT8_S1G_bDpT10_ENKUlT_T0_E_clISt17integral_constantIbLb0EES1U_EEDaS1P_S1Q_EUlS1P_E_NS1_11comp_targetILNS1_3genE3ELNS1_11target_archE908ELNS1_3gpuE7ELNS1_3repE0EEENS1_30default_config_static_selectorELNS0_4arch9wavefront6targetE0EEEvS12_
	.p2align	8
	.type	_ZN7rocprim17ROCPRIM_400000_NS6detail17trampoline_kernelINS0_13select_configILj256ELj13ELNS0_17block_load_methodE3ELS4_3ELS4_3ELNS0_20block_scan_algorithmE0ELj4294967295EEENS1_25partition_config_selectorILNS1_17partition_subalgoE4EjNS0_10empty_typeEbEEZZNS1_14partition_implILS8_4ELb0ES6_15HIP_vector_typeIjLj2EENS0_17counting_iteratorIjlEEPS9_SG_NS0_5tupleIJPjSI_NS0_16reverse_iteratorISI_EEEEENSH_IJSG_SG_SG_EEES9_SI_JZNS1_25segmented_radix_sort_implINS0_14default_configELb0EPKsPsPKlPlN2at6native12_GLOBAL__N_18offset_tEEE10hipError_tPvRmT1_PNSt15iterator_traitsIS12_E10value_typeET2_T3_PNS13_IS18_E10value_typeET4_jRbjT5_S1E_jjP12ihipStream_tbEUljE_ZNSN_ISO_Lb0ESQ_SR_ST_SU_SY_EESZ_S10_S11_S12_S16_S17_S18_S1B_S1C_jS1D_jS1E_S1E_jjS1G_bEUljE0_EEESZ_S10_S11_S18_S1C_S1E_T6_T7_T9_mT8_S1G_bDpT10_ENKUlT_T0_E_clISt17integral_constantIbLb0EES1U_EEDaS1P_S1Q_EUlS1P_E_NS1_11comp_targetILNS1_3genE3ELNS1_11target_archE908ELNS1_3gpuE7ELNS1_3repE0EEENS1_30default_config_static_selectorELNS0_4arch9wavefront6targetE0EEEvS12_,@function
_ZN7rocprim17ROCPRIM_400000_NS6detail17trampoline_kernelINS0_13select_configILj256ELj13ELNS0_17block_load_methodE3ELS4_3ELS4_3ELNS0_20block_scan_algorithmE0ELj4294967295EEENS1_25partition_config_selectorILNS1_17partition_subalgoE4EjNS0_10empty_typeEbEEZZNS1_14partition_implILS8_4ELb0ES6_15HIP_vector_typeIjLj2EENS0_17counting_iteratorIjlEEPS9_SG_NS0_5tupleIJPjSI_NS0_16reverse_iteratorISI_EEEEENSH_IJSG_SG_SG_EEES9_SI_JZNS1_25segmented_radix_sort_implINS0_14default_configELb0EPKsPsPKlPlN2at6native12_GLOBAL__N_18offset_tEEE10hipError_tPvRmT1_PNSt15iterator_traitsIS12_E10value_typeET2_T3_PNS13_IS18_E10value_typeET4_jRbjT5_S1E_jjP12ihipStream_tbEUljE_ZNSN_ISO_Lb0ESQ_SR_ST_SU_SY_EESZ_S10_S11_S12_S16_S17_S18_S1B_S1C_jS1D_jS1E_S1E_jjS1G_bEUljE0_EEESZ_S10_S11_S18_S1C_S1E_T6_T7_T9_mT8_S1G_bDpT10_ENKUlT_T0_E_clISt17integral_constantIbLb0EES1U_EEDaS1P_S1Q_EUlS1P_E_NS1_11comp_targetILNS1_3genE3ELNS1_11target_archE908ELNS1_3gpuE7ELNS1_3repE0EEENS1_30default_config_static_selectorELNS0_4arch9wavefront6targetE0EEEvS12_: ; @_ZN7rocprim17ROCPRIM_400000_NS6detail17trampoline_kernelINS0_13select_configILj256ELj13ELNS0_17block_load_methodE3ELS4_3ELS4_3ELNS0_20block_scan_algorithmE0ELj4294967295EEENS1_25partition_config_selectorILNS1_17partition_subalgoE4EjNS0_10empty_typeEbEEZZNS1_14partition_implILS8_4ELb0ES6_15HIP_vector_typeIjLj2EENS0_17counting_iteratorIjlEEPS9_SG_NS0_5tupleIJPjSI_NS0_16reverse_iteratorISI_EEEEENSH_IJSG_SG_SG_EEES9_SI_JZNS1_25segmented_radix_sort_implINS0_14default_configELb0EPKsPsPKlPlN2at6native12_GLOBAL__N_18offset_tEEE10hipError_tPvRmT1_PNSt15iterator_traitsIS12_E10value_typeET2_T3_PNS13_IS18_E10value_typeET4_jRbjT5_S1E_jjP12ihipStream_tbEUljE_ZNSN_ISO_Lb0ESQ_SR_ST_SU_SY_EESZ_S10_S11_S12_S16_S17_S18_S1B_S1C_jS1D_jS1E_S1E_jjS1G_bEUljE0_EEESZ_S10_S11_S18_S1C_S1E_T6_T7_T9_mT8_S1G_bDpT10_ENKUlT_T0_E_clISt17integral_constantIbLb0EES1U_EEDaS1P_S1Q_EUlS1P_E_NS1_11comp_targetILNS1_3genE3ELNS1_11target_archE908ELNS1_3gpuE7ELNS1_3repE0EEENS1_30default_config_static_selectorELNS0_4arch9wavefront6targetE0EEEvS12_
; %bb.0:
	.section	.rodata,"a",@progbits
	.p2align	6, 0x0
	.amdhsa_kernel _ZN7rocprim17ROCPRIM_400000_NS6detail17trampoline_kernelINS0_13select_configILj256ELj13ELNS0_17block_load_methodE3ELS4_3ELS4_3ELNS0_20block_scan_algorithmE0ELj4294967295EEENS1_25partition_config_selectorILNS1_17partition_subalgoE4EjNS0_10empty_typeEbEEZZNS1_14partition_implILS8_4ELb0ES6_15HIP_vector_typeIjLj2EENS0_17counting_iteratorIjlEEPS9_SG_NS0_5tupleIJPjSI_NS0_16reverse_iteratorISI_EEEEENSH_IJSG_SG_SG_EEES9_SI_JZNS1_25segmented_radix_sort_implINS0_14default_configELb0EPKsPsPKlPlN2at6native12_GLOBAL__N_18offset_tEEE10hipError_tPvRmT1_PNSt15iterator_traitsIS12_E10value_typeET2_T3_PNS13_IS18_E10value_typeET4_jRbjT5_S1E_jjP12ihipStream_tbEUljE_ZNSN_ISO_Lb0ESQ_SR_ST_SU_SY_EESZ_S10_S11_S12_S16_S17_S18_S1B_S1C_jS1D_jS1E_S1E_jjS1G_bEUljE0_EEESZ_S10_S11_S18_S1C_S1E_T6_T7_T9_mT8_S1G_bDpT10_ENKUlT_T0_E_clISt17integral_constantIbLb0EES1U_EEDaS1P_S1Q_EUlS1P_E_NS1_11comp_targetILNS1_3genE3ELNS1_11target_archE908ELNS1_3gpuE7ELNS1_3repE0EEENS1_30default_config_static_selectorELNS0_4arch9wavefront6targetE0EEEvS12_
		.amdhsa_group_segment_fixed_size 0
		.amdhsa_private_segment_fixed_size 0
		.amdhsa_kernarg_size 176
		.amdhsa_user_sgpr_count 2
		.amdhsa_user_sgpr_dispatch_ptr 0
		.amdhsa_user_sgpr_queue_ptr 0
		.amdhsa_user_sgpr_kernarg_segment_ptr 1
		.amdhsa_user_sgpr_dispatch_id 0
		.amdhsa_user_sgpr_private_segment_size 0
		.amdhsa_wavefront_size32 1
		.amdhsa_uses_dynamic_stack 0
		.amdhsa_enable_private_segment 0
		.amdhsa_system_sgpr_workgroup_id_x 1
		.amdhsa_system_sgpr_workgroup_id_y 0
		.amdhsa_system_sgpr_workgroup_id_z 0
		.amdhsa_system_sgpr_workgroup_info 0
		.amdhsa_system_vgpr_workitem_id 0
		.amdhsa_next_free_vgpr 1
		.amdhsa_next_free_sgpr 1
		.amdhsa_reserve_vcc 0
		.amdhsa_float_round_mode_32 0
		.amdhsa_float_round_mode_16_64 0
		.amdhsa_float_denorm_mode_32 3
		.amdhsa_float_denorm_mode_16_64 3
		.amdhsa_fp16_overflow 0
		.amdhsa_workgroup_processor_mode 1
		.amdhsa_memory_ordered 1
		.amdhsa_forward_progress 1
		.amdhsa_inst_pref_size 0
		.amdhsa_round_robin_scheduling 0
		.amdhsa_exception_fp_ieee_invalid_op 0
		.amdhsa_exception_fp_denorm_src 0
		.amdhsa_exception_fp_ieee_div_zero 0
		.amdhsa_exception_fp_ieee_overflow 0
		.amdhsa_exception_fp_ieee_underflow 0
		.amdhsa_exception_fp_ieee_inexact 0
		.amdhsa_exception_int_div_zero 0
	.end_amdhsa_kernel
	.section	.text._ZN7rocprim17ROCPRIM_400000_NS6detail17trampoline_kernelINS0_13select_configILj256ELj13ELNS0_17block_load_methodE3ELS4_3ELS4_3ELNS0_20block_scan_algorithmE0ELj4294967295EEENS1_25partition_config_selectorILNS1_17partition_subalgoE4EjNS0_10empty_typeEbEEZZNS1_14partition_implILS8_4ELb0ES6_15HIP_vector_typeIjLj2EENS0_17counting_iteratorIjlEEPS9_SG_NS0_5tupleIJPjSI_NS0_16reverse_iteratorISI_EEEEENSH_IJSG_SG_SG_EEES9_SI_JZNS1_25segmented_radix_sort_implINS0_14default_configELb0EPKsPsPKlPlN2at6native12_GLOBAL__N_18offset_tEEE10hipError_tPvRmT1_PNSt15iterator_traitsIS12_E10value_typeET2_T3_PNS13_IS18_E10value_typeET4_jRbjT5_S1E_jjP12ihipStream_tbEUljE_ZNSN_ISO_Lb0ESQ_SR_ST_SU_SY_EESZ_S10_S11_S12_S16_S17_S18_S1B_S1C_jS1D_jS1E_S1E_jjS1G_bEUljE0_EEESZ_S10_S11_S18_S1C_S1E_T6_T7_T9_mT8_S1G_bDpT10_ENKUlT_T0_E_clISt17integral_constantIbLb0EES1U_EEDaS1P_S1Q_EUlS1P_E_NS1_11comp_targetILNS1_3genE3ELNS1_11target_archE908ELNS1_3gpuE7ELNS1_3repE0EEENS1_30default_config_static_selectorELNS0_4arch9wavefront6targetE0EEEvS12_,"axG",@progbits,_ZN7rocprim17ROCPRIM_400000_NS6detail17trampoline_kernelINS0_13select_configILj256ELj13ELNS0_17block_load_methodE3ELS4_3ELS4_3ELNS0_20block_scan_algorithmE0ELj4294967295EEENS1_25partition_config_selectorILNS1_17partition_subalgoE4EjNS0_10empty_typeEbEEZZNS1_14partition_implILS8_4ELb0ES6_15HIP_vector_typeIjLj2EENS0_17counting_iteratorIjlEEPS9_SG_NS0_5tupleIJPjSI_NS0_16reverse_iteratorISI_EEEEENSH_IJSG_SG_SG_EEES9_SI_JZNS1_25segmented_radix_sort_implINS0_14default_configELb0EPKsPsPKlPlN2at6native12_GLOBAL__N_18offset_tEEE10hipError_tPvRmT1_PNSt15iterator_traitsIS12_E10value_typeET2_T3_PNS13_IS18_E10value_typeET4_jRbjT5_S1E_jjP12ihipStream_tbEUljE_ZNSN_ISO_Lb0ESQ_SR_ST_SU_SY_EESZ_S10_S11_S12_S16_S17_S18_S1B_S1C_jS1D_jS1E_S1E_jjS1G_bEUljE0_EEESZ_S10_S11_S18_S1C_S1E_T6_T7_T9_mT8_S1G_bDpT10_ENKUlT_T0_E_clISt17integral_constantIbLb0EES1U_EEDaS1P_S1Q_EUlS1P_E_NS1_11comp_targetILNS1_3genE3ELNS1_11target_archE908ELNS1_3gpuE7ELNS1_3repE0EEENS1_30default_config_static_selectorELNS0_4arch9wavefront6targetE0EEEvS12_,comdat
.Lfunc_end953:
	.size	_ZN7rocprim17ROCPRIM_400000_NS6detail17trampoline_kernelINS0_13select_configILj256ELj13ELNS0_17block_load_methodE3ELS4_3ELS4_3ELNS0_20block_scan_algorithmE0ELj4294967295EEENS1_25partition_config_selectorILNS1_17partition_subalgoE4EjNS0_10empty_typeEbEEZZNS1_14partition_implILS8_4ELb0ES6_15HIP_vector_typeIjLj2EENS0_17counting_iteratorIjlEEPS9_SG_NS0_5tupleIJPjSI_NS0_16reverse_iteratorISI_EEEEENSH_IJSG_SG_SG_EEES9_SI_JZNS1_25segmented_radix_sort_implINS0_14default_configELb0EPKsPsPKlPlN2at6native12_GLOBAL__N_18offset_tEEE10hipError_tPvRmT1_PNSt15iterator_traitsIS12_E10value_typeET2_T3_PNS13_IS18_E10value_typeET4_jRbjT5_S1E_jjP12ihipStream_tbEUljE_ZNSN_ISO_Lb0ESQ_SR_ST_SU_SY_EESZ_S10_S11_S12_S16_S17_S18_S1B_S1C_jS1D_jS1E_S1E_jjS1G_bEUljE0_EEESZ_S10_S11_S18_S1C_S1E_T6_T7_T9_mT8_S1G_bDpT10_ENKUlT_T0_E_clISt17integral_constantIbLb0EES1U_EEDaS1P_S1Q_EUlS1P_E_NS1_11comp_targetILNS1_3genE3ELNS1_11target_archE908ELNS1_3gpuE7ELNS1_3repE0EEENS1_30default_config_static_selectorELNS0_4arch9wavefront6targetE0EEEvS12_, .Lfunc_end953-_ZN7rocprim17ROCPRIM_400000_NS6detail17trampoline_kernelINS0_13select_configILj256ELj13ELNS0_17block_load_methodE3ELS4_3ELS4_3ELNS0_20block_scan_algorithmE0ELj4294967295EEENS1_25partition_config_selectorILNS1_17partition_subalgoE4EjNS0_10empty_typeEbEEZZNS1_14partition_implILS8_4ELb0ES6_15HIP_vector_typeIjLj2EENS0_17counting_iteratorIjlEEPS9_SG_NS0_5tupleIJPjSI_NS0_16reverse_iteratorISI_EEEEENSH_IJSG_SG_SG_EEES9_SI_JZNS1_25segmented_radix_sort_implINS0_14default_configELb0EPKsPsPKlPlN2at6native12_GLOBAL__N_18offset_tEEE10hipError_tPvRmT1_PNSt15iterator_traitsIS12_E10value_typeET2_T3_PNS13_IS18_E10value_typeET4_jRbjT5_S1E_jjP12ihipStream_tbEUljE_ZNSN_ISO_Lb0ESQ_SR_ST_SU_SY_EESZ_S10_S11_S12_S16_S17_S18_S1B_S1C_jS1D_jS1E_S1E_jjS1G_bEUljE0_EEESZ_S10_S11_S18_S1C_S1E_T6_T7_T9_mT8_S1G_bDpT10_ENKUlT_T0_E_clISt17integral_constantIbLb0EES1U_EEDaS1P_S1Q_EUlS1P_E_NS1_11comp_targetILNS1_3genE3ELNS1_11target_archE908ELNS1_3gpuE7ELNS1_3repE0EEENS1_30default_config_static_selectorELNS0_4arch9wavefront6targetE0EEEvS12_
                                        ; -- End function
	.set _ZN7rocprim17ROCPRIM_400000_NS6detail17trampoline_kernelINS0_13select_configILj256ELj13ELNS0_17block_load_methodE3ELS4_3ELS4_3ELNS0_20block_scan_algorithmE0ELj4294967295EEENS1_25partition_config_selectorILNS1_17partition_subalgoE4EjNS0_10empty_typeEbEEZZNS1_14partition_implILS8_4ELb0ES6_15HIP_vector_typeIjLj2EENS0_17counting_iteratorIjlEEPS9_SG_NS0_5tupleIJPjSI_NS0_16reverse_iteratorISI_EEEEENSH_IJSG_SG_SG_EEES9_SI_JZNS1_25segmented_radix_sort_implINS0_14default_configELb0EPKsPsPKlPlN2at6native12_GLOBAL__N_18offset_tEEE10hipError_tPvRmT1_PNSt15iterator_traitsIS12_E10value_typeET2_T3_PNS13_IS18_E10value_typeET4_jRbjT5_S1E_jjP12ihipStream_tbEUljE_ZNSN_ISO_Lb0ESQ_SR_ST_SU_SY_EESZ_S10_S11_S12_S16_S17_S18_S1B_S1C_jS1D_jS1E_S1E_jjS1G_bEUljE0_EEESZ_S10_S11_S18_S1C_S1E_T6_T7_T9_mT8_S1G_bDpT10_ENKUlT_T0_E_clISt17integral_constantIbLb0EES1U_EEDaS1P_S1Q_EUlS1P_E_NS1_11comp_targetILNS1_3genE3ELNS1_11target_archE908ELNS1_3gpuE7ELNS1_3repE0EEENS1_30default_config_static_selectorELNS0_4arch9wavefront6targetE0EEEvS12_.num_vgpr, 0
	.set _ZN7rocprim17ROCPRIM_400000_NS6detail17trampoline_kernelINS0_13select_configILj256ELj13ELNS0_17block_load_methodE3ELS4_3ELS4_3ELNS0_20block_scan_algorithmE0ELj4294967295EEENS1_25partition_config_selectorILNS1_17partition_subalgoE4EjNS0_10empty_typeEbEEZZNS1_14partition_implILS8_4ELb0ES6_15HIP_vector_typeIjLj2EENS0_17counting_iteratorIjlEEPS9_SG_NS0_5tupleIJPjSI_NS0_16reverse_iteratorISI_EEEEENSH_IJSG_SG_SG_EEES9_SI_JZNS1_25segmented_radix_sort_implINS0_14default_configELb0EPKsPsPKlPlN2at6native12_GLOBAL__N_18offset_tEEE10hipError_tPvRmT1_PNSt15iterator_traitsIS12_E10value_typeET2_T3_PNS13_IS18_E10value_typeET4_jRbjT5_S1E_jjP12ihipStream_tbEUljE_ZNSN_ISO_Lb0ESQ_SR_ST_SU_SY_EESZ_S10_S11_S12_S16_S17_S18_S1B_S1C_jS1D_jS1E_S1E_jjS1G_bEUljE0_EEESZ_S10_S11_S18_S1C_S1E_T6_T7_T9_mT8_S1G_bDpT10_ENKUlT_T0_E_clISt17integral_constantIbLb0EES1U_EEDaS1P_S1Q_EUlS1P_E_NS1_11comp_targetILNS1_3genE3ELNS1_11target_archE908ELNS1_3gpuE7ELNS1_3repE0EEENS1_30default_config_static_selectorELNS0_4arch9wavefront6targetE0EEEvS12_.num_agpr, 0
	.set _ZN7rocprim17ROCPRIM_400000_NS6detail17trampoline_kernelINS0_13select_configILj256ELj13ELNS0_17block_load_methodE3ELS4_3ELS4_3ELNS0_20block_scan_algorithmE0ELj4294967295EEENS1_25partition_config_selectorILNS1_17partition_subalgoE4EjNS0_10empty_typeEbEEZZNS1_14partition_implILS8_4ELb0ES6_15HIP_vector_typeIjLj2EENS0_17counting_iteratorIjlEEPS9_SG_NS0_5tupleIJPjSI_NS0_16reverse_iteratorISI_EEEEENSH_IJSG_SG_SG_EEES9_SI_JZNS1_25segmented_radix_sort_implINS0_14default_configELb0EPKsPsPKlPlN2at6native12_GLOBAL__N_18offset_tEEE10hipError_tPvRmT1_PNSt15iterator_traitsIS12_E10value_typeET2_T3_PNS13_IS18_E10value_typeET4_jRbjT5_S1E_jjP12ihipStream_tbEUljE_ZNSN_ISO_Lb0ESQ_SR_ST_SU_SY_EESZ_S10_S11_S12_S16_S17_S18_S1B_S1C_jS1D_jS1E_S1E_jjS1G_bEUljE0_EEESZ_S10_S11_S18_S1C_S1E_T6_T7_T9_mT8_S1G_bDpT10_ENKUlT_T0_E_clISt17integral_constantIbLb0EES1U_EEDaS1P_S1Q_EUlS1P_E_NS1_11comp_targetILNS1_3genE3ELNS1_11target_archE908ELNS1_3gpuE7ELNS1_3repE0EEENS1_30default_config_static_selectorELNS0_4arch9wavefront6targetE0EEEvS12_.numbered_sgpr, 0
	.set _ZN7rocprim17ROCPRIM_400000_NS6detail17trampoline_kernelINS0_13select_configILj256ELj13ELNS0_17block_load_methodE3ELS4_3ELS4_3ELNS0_20block_scan_algorithmE0ELj4294967295EEENS1_25partition_config_selectorILNS1_17partition_subalgoE4EjNS0_10empty_typeEbEEZZNS1_14partition_implILS8_4ELb0ES6_15HIP_vector_typeIjLj2EENS0_17counting_iteratorIjlEEPS9_SG_NS0_5tupleIJPjSI_NS0_16reverse_iteratorISI_EEEEENSH_IJSG_SG_SG_EEES9_SI_JZNS1_25segmented_radix_sort_implINS0_14default_configELb0EPKsPsPKlPlN2at6native12_GLOBAL__N_18offset_tEEE10hipError_tPvRmT1_PNSt15iterator_traitsIS12_E10value_typeET2_T3_PNS13_IS18_E10value_typeET4_jRbjT5_S1E_jjP12ihipStream_tbEUljE_ZNSN_ISO_Lb0ESQ_SR_ST_SU_SY_EESZ_S10_S11_S12_S16_S17_S18_S1B_S1C_jS1D_jS1E_S1E_jjS1G_bEUljE0_EEESZ_S10_S11_S18_S1C_S1E_T6_T7_T9_mT8_S1G_bDpT10_ENKUlT_T0_E_clISt17integral_constantIbLb0EES1U_EEDaS1P_S1Q_EUlS1P_E_NS1_11comp_targetILNS1_3genE3ELNS1_11target_archE908ELNS1_3gpuE7ELNS1_3repE0EEENS1_30default_config_static_selectorELNS0_4arch9wavefront6targetE0EEEvS12_.num_named_barrier, 0
	.set _ZN7rocprim17ROCPRIM_400000_NS6detail17trampoline_kernelINS0_13select_configILj256ELj13ELNS0_17block_load_methodE3ELS4_3ELS4_3ELNS0_20block_scan_algorithmE0ELj4294967295EEENS1_25partition_config_selectorILNS1_17partition_subalgoE4EjNS0_10empty_typeEbEEZZNS1_14partition_implILS8_4ELb0ES6_15HIP_vector_typeIjLj2EENS0_17counting_iteratorIjlEEPS9_SG_NS0_5tupleIJPjSI_NS0_16reverse_iteratorISI_EEEEENSH_IJSG_SG_SG_EEES9_SI_JZNS1_25segmented_radix_sort_implINS0_14default_configELb0EPKsPsPKlPlN2at6native12_GLOBAL__N_18offset_tEEE10hipError_tPvRmT1_PNSt15iterator_traitsIS12_E10value_typeET2_T3_PNS13_IS18_E10value_typeET4_jRbjT5_S1E_jjP12ihipStream_tbEUljE_ZNSN_ISO_Lb0ESQ_SR_ST_SU_SY_EESZ_S10_S11_S12_S16_S17_S18_S1B_S1C_jS1D_jS1E_S1E_jjS1G_bEUljE0_EEESZ_S10_S11_S18_S1C_S1E_T6_T7_T9_mT8_S1G_bDpT10_ENKUlT_T0_E_clISt17integral_constantIbLb0EES1U_EEDaS1P_S1Q_EUlS1P_E_NS1_11comp_targetILNS1_3genE3ELNS1_11target_archE908ELNS1_3gpuE7ELNS1_3repE0EEENS1_30default_config_static_selectorELNS0_4arch9wavefront6targetE0EEEvS12_.private_seg_size, 0
	.set _ZN7rocprim17ROCPRIM_400000_NS6detail17trampoline_kernelINS0_13select_configILj256ELj13ELNS0_17block_load_methodE3ELS4_3ELS4_3ELNS0_20block_scan_algorithmE0ELj4294967295EEENS1_25partition_config_selectorILNS1_17partition_subalgoE4EjNS0_10empty_typeEbEEZZNS1_14partition_implILS8_4ELb0ES6_15HIP_vector_typeIjLj2EENS0_17counting_iteratorIjlEEPS9_SG_NS0_5tupleIJPjSI_NS0_16reverse_iteratorISI_EEEEENSH_IJSG_SG_SG_EEES9_SI_JZNS1_25segmented_radix_sort_implINS0_14default_configELb0EPKsPsPKlPlN2at6native12_GLOBAL__N_18offset_tEEE10hipError_tPvRmT1_PNSt15iterator_traitsIS12_E10value_typeET2_T3_PNS13_IS18_E10value_typeET4_jRbjT5_S1E_jjP12ihipStream_tbEUljE_ZNSN_ISO_Lb0ESQ_SR_ST_SU_SY_EESZ_S10_S11_S12_S16_S17_S18_S1B_S1C_jS1D_jS1E_S1E_jjS1G_bEUljE0_EEESZ_S10_S11_S18_S1C_S1E_T6_T7_T9_mT8_S1G_bDpT10_ENKUlT_T0_E_clISt17integral_constantIbLb0EES1U_EEDaS1P_S1Q_EUlS1P_E_NS1_11comp_targetILNS1_3genE3ELNS1_11target_archE908ELNS1_3gpuE7ELNS1_3repE0EEENS1_30default_config_static_selectorELNS0_4arch9wavefront6targetE0EEEvS12_.uses_vcc, 0
	.set _ZN7rocprim17ROCPRIM_400000_NS6detail17trampoline_kernelINS0_13select_configILj256ELj13ELNS0_17block_load_methodE3ELS4_3ELS4_3ELNS0_20block_scan_algorithmE0ELj4294967295EEENS1_25partition_config_selectorILNS1_17partition_subalgoE4EjNS0_10empty_typeEbEEZZNS1_14partition_implILS8_4ELb0ES6_15HIP_vector_typeIjLj2EENS0_17counting_iteratorIjlEEPS9_SG_NS0_5tupleIJPjSI_NS0_16reverse_iteratorISI_EEEEENSH_IJSG_SG_SG_EEES9_SI_JZNS1_25segmented_radix_sort_implINS0_14default_configELb0EPKsPsPKlPlN2at6native12_GLOBAL__N_18offset_tEEE10hipError_tPvRmT1_PNSt15iterator_traitsIS12_E10value_typeET2_T3_PNS13_IS18_E10value_typeET4_jRbjT5_S1E_jjP12ihipStream_tbEUljE_ZNSN_ISO_Lb0ESQ_SR_ST_SU_SY_EESZ_S10_S11_S12_S16_S17_S18_S1B_S1C_jS1D_jS1E_S1E_jjS1G_bEUljE0_EEESZ_S10_S11_S18_S1C_S1E_T6_T7_T9_mT8_S1G_bDpT10_ENKUlT_T0_E_clISt17integral_constantIbLb0EES1U_EEDaS1P_S1Q_EUlS1P_E_NS1_11comp_targetILNS1_3genE3ELNS1_11target_archE908ELNS1_3gpuE7ELNS1_3repE0EEENS1_30default_config_static_selectorELNS0_4arch9wavefront6targetE0EEEvS12_.uses_flat_scratch, 0
	.set _ZN7rocprim17ROCPRIM_400000_NS6detail17trampoline_kernelINS0_13select_configILj256ELj13ELNS0_17block_load_methodE3ELS4_3ELS4_3ELNS0_20block_scan_algorithmE0ELj4294967295EEENS1_25partition_config_selectorILNS1_17partition_subalgoE4EjNS0_10empty_typeEbEEZZNS1_14partition_implILS8_4ELb0ES6_15HIP_vector_typeIjLj2EENS0_17counting_iteratorIjlEEPS9_SG_NS0_5tupleIJPjSI_NS0_16reverse_iteratorISI_EEEEENSH_IJSG_SG_SG_EEES9_SI_JZNS1_25segmented_radix_sort_implINS0_14default_configELb0EPKsPsPKlPlN2at6native12_GLOBAL__N_18offset_tEEE10hipError_tPvRmT1_PNSt15iterator_traitsIS12_E10value_typeET2_T3_PNS13_IS18_E10value_typeET4_jRbjT5_S1E_jjP12ihipStream_tbEUljE_ZNSN_ISO_Lb0ESQ_SR_ST_SU_SY_EESZ_S10_S11_S12_S16_S17_S18_S1B_S1C_jS1D_jS1E_S1E_jjS1G_bEUljE0_EEESZ_S10_S11_S18_S1C_S1E_T6_T7_T9_mT8_S1G_bDpT10_ENKUlT_T0_E_clISt17integral_constantIbLb0EES1U_EEDaS1P_S1Q_EUlS1P_E_NS1_11comp_targetILNS1_3genE3ELNS1_11target_archE908ELNS1_3gpuE7ELNS1_3repE0EEENS1_30default_config_static_selectorELNS0_4arch9wavefront6targetE0EEEvS12_.has_dyn_sized_stack, 0
	.set _ZN7rocprim17ROCPRIM_400000_NS6detail17trampoline_kernelINS0_13select_configILj256ELj13ELNS0_17block_load_methodE3ELS4_3ELS4_3ELNS0_20block_scan_algorithmE0ELj4294967295EEENS1_25partition_config_selectorILNS1_17partition_subalgoE4EjNS0_10empty_typeEbEEZZNS1_14partition_implILS8_4ELb0ES6_15HIP_vector_typeIjLj2EENS0_17counting_iteratorIjlEEPS9_SG_NS0_5tupleIJPjSI_NS0_16reverse_iteratorISI_EEEEENSH_IJSG_SG_SG_EEES9_SI_JZNS1_25segmented_radix_sort_implINS0_14default_configELb0EPKsPsPKlPlN2at6native12_GLOBAL__N_18offset_tEEE10hipError_tPvRmT1_PNSt15iterator_traitsIS12_E10value_typeET2_T3_PNS13_IS18_E10value_typeET4_jRbjT5_S1E_jjP12ihipStream_tbEUljE_ZNSN_ISO_Lb0ESQ_SR_ST_SU_SY_EESZ_S10_S11_S12_S16_S17_S18_S1B_S1C_jS1D_jS1E_S1E_jjS1G_bEUljE0_EEESZ_S10_S11_S18_S1C_S1E_T6_T7_T9_mT8_S1G_bDpT10_ENKUlT_T0_E_clISt17integral_constantIbLb0EES1U_EEDaS1P_S1Q_EUlS1P_E_NS1_11comp_targetILNS1_3genE3ELNS1_11target_archE908ELNS1_3gpuE7ELNS1_3repE0EEENS1_30default_config_static_selectorELNS0_4arch9wavefront6targetE0EEEvS12_.has_recursion, 0
	.set _ZN7rocprim17ROCPRIM_400000_NS6detail17trampoline_kernelINS0_13select_configILj256ELj13ELNS0_17block_load_methodE3ELS4_3ELS4_3ELNS0_20block_scan_algorithmE0ELj4294967295EEENS1_25partition_config_selectorILNS1_17partition_subalgoE4EjNS0_10empty_typeEbEEZZNS1_14partition_implILS8_4ELb0ES6_15HIP_vector_typeIjLj2EENS0_17counting_iteratorIjlEEPS9_SG_NS0_5tupleIJPjSI_NS0_16reverse_iteratorISI_EEEEENSH_IJSG_SG_SG_EEES9_SI_JZNS1_25segmented_radix_sort_implINS0_14default_configELb0EPKsPsPKlPlN2at6native12_GLOBAL__N_18offset_tEEE10hipError_tPvRmT1_PNSt15iterator_traitsIS12_E10value_typeET2_T3_PNS13_IS18_E10value_typeET4_jRbjT5_S1E_jjP12ihipStream_tbEUljE_ZNSN_ISO_Lb0ESQ_SR_ST_SU_SY_EESZ_S10_S11_S12_S16_S17_S18_S1B_S1C_jS1D_jS1E_S1E_jjS1G_bEUljE0_EEESZ_S10_S11_S18_S1C_S1E_T6_T7_T9_mT8_S1G_bDpT10_ENKUlT_T0_E_clISt17integral_constantIbLb0EES1U_EEDaS1P_S1Q_EUlS1P_E_NS1_11comp_targetILNS1_3genE3ELNS1_11target_archE908ELNS1_3gpuE7ELNS1_3repE0EEENS1_30default_config_static_selectorELNS0_4arch9wavefront6targetE0EEEvS12_.has_indirect_call, 0
	.section	.AMDGPU.csdata,"",@progbits
; Kernel info:
; codeLenInByte = 0
; TotalNumSgprs: 0
; NumVgprs: 0
; ScratchSize: 0
; MemoryBound: 0
; FloatMode: 240
; IeeeMode: 1
; LDSByteSize: 0 bytes/workgroup (compile time only)
; SGPRBlocks: 0
; VGPRBlocks: 0
; NumSGPRsForWavesPerEU: 1
; NumVGPRsForWavesPerEU: 1
; Occupancy: 16
; WaveLimiterHint : 0
; COMPUTE_PGM_RSRC2:SCRATCH_EN: 0
; COMPUTE_PGM_RSRC2:USER_SGPR: 2
; COMPUTE_PGM_RSRC2:TRAP_HANDLER: 0
; COMPUTE_PGM_RSRC2:TGID_X_EN: 1
; COMPUTE_PGM_RSRC2:TGID_Y_EN: 0
; COMPUTE_PGM_RSRC2:TGID_Z_EN: 0
; COMPUTE_PGM_RSRC2:TIDIG_COMP_CNT: 0
	.section	.text._ZN7rocprim17ROCPRIM_400000_NS6detail17trampoline_kernelINS0_13select_configILj256ELj13ELNS0_17block_load_methodE3ELS4_3ELS4_3ELNS0_20block_scan_algorithmE0ELj4294967295EEENS1_25partition_config_selectorILNS1_17partition_subalgoE4EjNS0_10empty_typeEbEEZZNS1_14partition_implILS8_4ELb0ES6_15HIP_vector_typeIjLj2EENS0_17counting_iteratorIjlEEPS9_SG_NS0_5tupleIJPjSI_NS0_16reverse_iteratorISI_EEEEENSH_IJSG_SG_SG_EEES9_SI_JZNS1_25segmented_radix_sort_implINS0_14default_configELb0EPKsPsPKlPlN2at6native12_GLOBAL__N_18offset_tEEE10hipError_tPvRmT1_PNSt15iterator_traitsIS12_E10value_typeET2_T3_PNS13_IS18_E10value_typeET4_jRbjT5_S1E_jjP12ihipStream_tbEUljE_ZNSN_ISO_Lb0ESQ_SR_ST_SU_SY_EESZ_S10_S11_S12_S16_S17_S18_S1B_S1C_jS1D_jS1E_S1E_jjS1G_bEUljE0_EEESZ_S10_S11_S18_S1C_S1E_T6_T7_T9_mT8_S1G_bDpT10_ENKUlT_T0_E_clISt17integral_constantIbLb0EES1U_EEDaS1P_S1Q_EUlS1P_E_NS1_11comp_targetILNS1_3genE2ELNS1_11target_archE906ELNS1_3gpuE6ELNS1_3repE0EEENS1_30default_config_static_selectorELNS0_4arch9wavefront6targetE0EEEvS12_,"axG",@progbits,_ZN7rocprim17ROCPRIM_400000_NS6detail17trampoline_kernelINS0_13select_configILj256ELj13ELNS0_17block_load_methodE3ELS4_3ELS4_3ELNS0_20block_scan_algorithmE0ELj4294967295EEENS1_25partition_config_selectorILNS1_17partition_subalgoE4EjNS0_10empty_typeEbEEZZNS1_14partition_implILS8_4ELb0ES6_15HIP_vector_typeIjLj2EENS0_17counting_iteratorIjlEEPS9_SG_NS0_5tupleIJPjSI_NS0_16reverse_iteratorISI_EEEEENSH_IJSG_SG_SG_EEES9_SI_JZNS1_25segmented_radix_sort_implINS0_14default_configELb0EPKsPsPKlPlN2at6native12_GLOBAL__N_18offset_tEEE10hipError_tPvRmT1_PNSt15iterator_traitsIS12_E10value_typeET2_T3_PNS13_IS18_E10value_typeET4_jRbjT5_S1E_jjP12ihipStream_tbEUljE_ZNSN_ISO_Lb0ESQ_SR_ST_SU_SY_EESZ_S10_S11_S12_S16_S17_S18_S1B_S1C_jS1D_jS1E_S1E_jjS1G_bEUljE0_EEESZ_S10_S11_S18_S1C_S1E_T6_T7_T9_mT8_S1G_bDpT10_ENKUlT_T0_E_clISt17integral_constantIbLb0EES1U_EEDaS1P_S1Q_EUlS1P_E_NS1_11comp_targetILNS1_3genE2ELNS1_11target_archE906ELNS1_3gpuE6ELNS1_3repE0EEENS1_30default_config_static_selectorELNS0_4arch9wavefront6targetE0EEEvS12_,comdat
	.globl	_ZN7rocprim17ROCPRIM_400000_NS6detail17trampoline_kernelINS0_13select_configILj256ELj13ELNS0_17block_load_methodE3ELS4_3ELS4_3ELNS0_20block_scan_algorithmE0ELj4294967295EEENS1_25partition_config_selectorILNS1_17partition_subalgoE4EjNS0_10empty_typeEbEEZZNS1_14partition_implILS8_4ELb0ES6_15HIP_vector_typeIjLj2EENS0_17counting_iteratorIjlEEPS9_SG_NS0_5tupleIJPjSI_NS0_16reverse_iteratorISI_EEEEENSH_IJSG_SG_SG_EEES9_SI_JZNS1_25segmented_radix_sort_implINS0_14default_configELb0EPKsPsPKlPlN2at6native12_GLOBAL__N_18offset_tEEE10hipError_tPvRmT1_PNSt15iterator_traitsIS12_E10value_typeET2_T3_PNS13_IS18_E10value_typeET4_jRbjT5_S1E_jjP12ihipStream_tbEUljE_ZNSN_ISO_Lb0ESQ_SR_ST_SU_SY_EESZ_S10_S11_S12_S16_S17_S18_S1B_S1C_jS1D_jS1E_S1E_jjS1G_bEUljE0_EEESZ_S10_S11_S18_S1C_S1E_T6_T7_T9_mT8_S1G_bDpT10_ENKUlT_T0_E_clISt17integral_constantIbLb0EES1U_EEDaS1P_S1Q_EUlS1P_E_NS1_11comp_targetILNS1_3genE2ELNS1_11target_archE906ELNS1_3gpuE6ELNS1_3repE0EEENS1_30default_config_static_selectorELNS0_4arch9wavefront6targetE0EEEvS12_ ; -- Begin function _ZN7rocprim17ROCPRIM_400000_NS6detail17trampoline_kernelINS0_13select_configILj256ELj13ELNS0_17block_load_methodE3ELS4_3ELS4_3ELNS0_20block_scan_algorithmE0ELj4294967295EEENS1_25partition_config_selectorILNS1_17partition_subalgoE4EjNS0_10empty_typeEbEEZZNS1_14partition_implILS8_4ELb0ES6_15HIP_vector_typeIjLj2EENS0_17counting_iteratorIjlEEPS9_SG_NS0_5tupleIJPjSI_NS0_16reverse_iteratorISI_EEEEENSH_IJSG_SG_SG_EEES9_SI_JZNS1_25segmented_radix_sort_implINS0_14default_configELb0EPKsPsPKlPlN2at6native12_GLOBAL__N_18offset_tEEE10hipError_tPvRmT1_PNSt15iterator_traitsIS12_E10value_typeET2_T3_PNS13_IS18_E10value_typeET4_jRbjT5_S1E_jjP12ihipStream_tbEUljE_ZNSN_ISO_Lb0ESQ_SR_ST_SU_SY_EESZ_S10_S11_S12_S16_S17_S18_S1B_S1C_jS1D_jS1E_S1E_jjS1G_bEUljE0_EEESZ_S10_S11_S18_S1C_S1E_T6_T7_T9_mT8_S1G_bDpT10_ENKUlT_T0_E_clISt17integral_constantIbLb0EES1U_EEDaS1P_S1Q_EUlS1P_E_NS1_11comp_targetILNS1_3genE2ELNS1_11target_archE906ELNS1_3gpuE6ELNS1_3repE0EEENS1_30default_config_static_selectorELNS0_4arch9wavefront6targetE0EEEvS12_
	.p2align	8
	.type	_ZN7rocprim17ROCPRIM_400000_NS6detail17trampoline_kernelINS0_13select_configILj256ELj13ELNS0_17block_load_methodE3ELS4_3ELS4_3ELNS0_20block_scan_algorithmE0ELj4294967295EEENS1_25partition_config_selectorILNS1_17partition_subalgoE4EjNS0_10empty_typeEbEEZZNS1_14partition_implILS8_4ELb0ES6_15HIP_vector_typeIjLj2EENS0_17counting_iteratorIjlEEPS9_SG_NS0_5tupleIJPjSI_NS0_16reverse_iteratorISI_EEEEENSH_IJSG_SG_SG_EEES9_SI_JZNS1_25segmented_radix_sort_implINS0_14default_configELb0EPKsPsPKlPlN2at6native12_GLOBAL__N_18offset_tEEE10hipError_tPvRmT1_PNSt15iterator_traitsIS12_E10value_typeET2_T3_PNS13_IS18_E10value_typeET4_jRbjT5_S1E_jjP12ihipStream_tbEUljE_ZNSN_ISO_Lb0ESQ_SR_ST_SU_SY_EESZ_S10_S11_S12_S16_S17_S18_S1B_S1C_jS1D_jS1E_S1E_jjS1G_bEUljE0_EEESZ_S10_S11_S18_S1C_S1E_T6_T7_T9_mT8_S1G_bDpT10_ENKUlT_T0_E_clISt17integral_constantIbLb0EES1U_EEDaS1P_S1Q_EUlS1P_E_NS1_11comp_targetILNS1_3genE2ELNS1_11target_archE906ELNS1_3gpuE6ELNS1_3repE0EEENS1_30default_config_static_selectorELNS0_4arch9wavefront6targetE0EEEvS12_,@function
_ZN7rocprim17ROCPRIM_400000_NS6detail17trampoline_kernelINS0_13select_configILj256ELj13ELNS0_17block_load_methodE3ELS4_3ELS4_3ELNS0_20block_scan_algorithmE0ELj4294967295EEENS1_25partition_config_selectorILNS1_17partition_subalgoE4EjNS0_10empty_typeEbEEZZNS1_14partition_implILS8_4ELb0ES6_15HIP_vector_typeIjLj2EENS0_17counting_iteratorIjlEEPS9_SG_NS0_5tupleIJPjSI_NS0_16reverse_iteratorISI_EEEEENSH_IJSG_SG_SG_EEES9_SI_JZNS1_25segmented_radix_sort_implINS0_14default_configELb0EPKsPsPKlPlN2at6native12_GLOBAL__N_18offset_tEEE10hipError_tPvRmT1_PNSt15iterator_traitsIS12_E10value_typeET2_T3_PNS13_IS18_E10value_typeET4_jRbjT5_S1E_jjP12ihipStream_tbEUljE_ZNSN_ISO_Lb0ESQ_SR_ST_SU_SY_EESZ_S10_S11_S12_S16_S17_S18_S1B_S1C_jS1D_jS1E_S1E_jjS1G_bEUljE0_EEESZ_S10_S11_S18_S1C_S1E_T6_T7_T9_mT8_S1G_bDpT10_ENKUlT_T0_E_clISt17integral_constantIbLb0EES1U_EEDaS1P_S1Q_EUlS1P_E_NS1_11comp_targetILNS1_3genE2ELNS1_11target_archE906ELNS1_3gpuE6ELNS1_3repE0EEENS1_30default_config_static_selectorELNS0_4arch9wavefront6targetE0EEEvS12_: ; @_ZN7rocprim17ROCPRIM_400000_NS6detail17trampoline_kernelINS0_13select_configILj256ELj13ELNS0_17block_load_methodE3ELS4_3ELS4_3ELNS0_20block_scan_algorithmE0ELj4294967295EEENS1_25partition_config_selectorILNS1_17partition_subalgoE4EjNS0_10empty_typeEbEEZZNS1_14partition_implILS8_4ELb0ES6_15HIP_vector_typeIjLj2EENS0_17counting_iteratorIjlEEPS9_SG_NS0_5tupleIJPjSI_NS0_16reverse_iteratorISI_EEEEENSH_IJSG_SG_SG_EEES9_SI_JZNS1_25segmented_radix_sort_implINS0_14default_configELb0EPKsPsPKlPlN2at6native12_GLOBAL__N_18offset_tEEE10hipError_tPvRmT1_PNSt15iterator_traitsIS12_E10value_typeET2_T3_PNS13_IS18_E10value_typeET4_jRbjT5_S1E_jjP12ihipStream_tbEUljE_ZNSN_ISO_Lb0ESQ_SR_ST_SU_SY_EESZ_S10_S11_S12_S16_S17_S18_S1B_S1C_jS1D_jS1E_S1E_jjS1G_bEUljE0_EEESZ_S10_S11_S18_S1C_S1E_T6_T7_T9_mT8_S1G_bDpT10_ENKUlT_T0_E_clISt17integral_constantIbLb0EES1U_EEDaS1P_S1Q_EUlS1P_E_NS1_11comp_targetILNS1_3genE2ELNS1_11target_archE906ELNS1_3gpuE6ELNS1_3repE0EEENS1_30default_config_static_selectorELNS0_4arch9wavefront6targetE0EEEvS12_
; %bb.0:
	.section	.rodata,"a",@progbits
	.p2align	6, 0x0
	.amdhsa_kernel _ZN7rocprim17ROCPRIM_400000_NS6detail17trampoline_kernelINS0_13select_configILj256ELj13ELNS0_17block_load_methodE3ELS4_3ELS4_3ELNS0_20block_scan_algorithmE0ELj4294967295EEENS1_25partition_config_selectorILNS1_17partition_subalgoE4EjNS0_10empty_typeEbEEZZNS1_14partition_implILS8_4ELb0ES6_15HIP_vector_typeIjLj2EENS0_17counting_iteratorIjlEEPS9_SG_NS0_5tupleIJPjSI_NS0_16reverse_iteratorISI_EEEEENSH_IJSG_SG_SG_EEES9_SI_JZNS1_25segmented_radix_sort_implINS0_14default_configELb0EPKsPsPKlPlN2at6native12_GLOBAL__N_18offset_tEEE10hipError_tPvRmT1_PNSt15iterator_traitsIS12_E10value_typeET2_T3_PNS13_IS18_E10value_typeET4_jRbjT5_S1E_jjP12ihipStream_tbEUljE_ZNSN_ISO_Lb0ESQ_SR_ST_SU_SY_EESZ_S10_S11_S12_S16_S17_S18_S1B_S1C_jS1D_jS1E_S1E_jjS1G_bEUljE0_EEESZ_S10_S11_S18_S1C_S1E_T6_T7_T9_mT8_S1G_bDpT10_ENKUlT_T0_E_clISt17integral_constantIbLb0EES1U_EEDaS1P_S1Q_EUlS1P_E_NS1_11comp_targetILNS1_3genE2ELNS1_11target_archE906ELNS1_3gpuE6ELNS1_3repE0EEENS1_30default_config_static_selectorELNS0_4arch9wavefront6targetE0EEEvS12_
		.amdhsa_group_segment_fixed_size 0
		.amdhsa_private_segment_fixed_size 0
		.amdhsa_kernarg_size 176
		.amdhsa_user_sgpr_count 2
		.amdhsa_user_sgpr_dispatch_ptr 0
		.amdhsa_user_sgpr_queue_ptr 0
		.amdhsa_user_sgpr_kernarg_segment_ptr 1
		.amdhsa_user_sgpr_dispatch_id 0
		.amdhsa_user_sgpr_private_segment_size 0
		.amdhsa_wavefront_size32 1
		.amdhsa_uses_dynamic_stack 0
		.amdhsa_enable_private_segment 0
		.amdhsa_system_sgpr_workgroup_id_x 1
		.amdhsa_system_sgpr_workgroup_id_y 0
		.amdhsa_system_sgpr_workgroup_id_z 0
		.amdhsa_system_sgpr_workgroup_info 0
		.amdhsa_system_vgpr_workitem_id 0
		.amdhsa_next_free_vgpr 1
		.amdhsa_next_free_sgpr 1
		.amdhsa_reserve_vcc 0
		.amdhsa_float_round_mode_32 0
		.amdhsa_float_round_mode_16_64 0
		.amdhsa_float_denorm_mode_32 3
		.amdhsa_float_denorm_mode_16_64 3
		.amdhsa_fp16_overflow 0
		.amdhsa_workgroup_processor_mode 1
		.amdhsa_memory_ordered 1
		.amdhsa_forward_progress 1
		.amdhsa_inst_pref_size 0
		.amdhsa_round_robin_scheduling 0
		.amdhsa_exception_fp_ieee_invalid_op 0
		.amdhsa_exception_fp_denorm_src 0
		.amdhsa_exception_fp_ieee_div_zero 0
		.amdhsa_exception_fp_ieee_overflow 0
		.amdhsa_exception_fp_ieee_underflow 0
		.amdhsa_exception_fp_ieee_inexact 0
		.amdhsa_exception_int_div_zero 0
	.end_amdhsa_kernel
	.section	.text._ZN7rocprim17ROCPRIM_400000_NS6detail17trampoline_kernelINS0_13select_configILj256ELj13ELNS0_17block_load_methodE3ELS4_3ELS4_3ELNS0_20block_scan_algorithmE0ELj4294967295EEENS1_25partition_config_selectorILNS1_17partition_subalgoE4EjNS0_10empty_typeEbEEZZNS1_14partition_implILS8_4ELb0ES6_15HIP_vector_typeIjLj2EENS0_17counting_iteratorIjlEEPS9_SG_NS0_5tupleIJPjSI_NS0_16reverse_iteratorISI_EEEEENSH_IJSG_SG_SG_EEES9_SI_JZNS1_25segmented_radix_sort_implINS0_14default_configELb0EPKsPsPKlPlN2at6native12_GLOBAL__N_18offset_tEEE10hipError_tPvRmT1_PNSt15iterator_traitsIS12_E10value_typeET2_T3_PNS13_IS18_E10value_typeET4_jRbjT5_S1E_jjP12ihipStream_tbEUljE_ZNSN_ISO_Lb0ESQ_SR_ST_SU_SY_EESZ_S10_S11_S12_S16_S17_S18_S1B_S1C_jS1D_jS1E_S1E_jjS1G_bEUljE0_EEESZ_S10_S11_S18_S1C_S1E_T6_T7_T9_mT8_S1G_bDpT10_ENKUlT_T0_E_clISt17integral_constantIbLb0EES1U_EEDaS1P_S1Q_EUlS1P_E_NS1_11comp_targetILNS1_3genE2ELNS1_11target_archE906ELNS1_3gpuE6ELNS1_3repE0EEENS1_30default_config_static_selectorELNS0_4arch9wavefront6targetE0EEEvS12_,"axG",@progbits,_ZN7rocprim17ROCPRIM_400000_NS6detail17trampoline_kernelINS0_13select_configILj256ELj13ELNS0_17block_load_methodE3ELS4_3ELS4_3ELNS0_20block_scan_algorithmE0ELj4294967295EEENS1_25partition_config_selectorILNS1_17partition_subalgoE4EjNS0_10empty_typeEbEEZZNS1_14partition_implILS8_4ELb0ES6_15HIP_vector_typeIjLj2EENS0_17counting_iteratorIjlEEPS9_SG_NS0_5tupleIJPjSI_NS0_16reverse_iteratorISI_EEEEENSH_IJSG_SG_SG_EEES9_SI_JZNS1_25segmented_radix_sort_implINS0_14default_configELb0EPKsPsPKlPlN2at6native12_GLOBAL__N_18offset_tEEE10hipError_tPvRmT1_PNSt15iterator_traitsIS12_E10value_typeET2_T3_PNS13_IS18_E10value_typeET4_jRbjT5_S1E_jjP12ihipStream_tbEUljE_ZNSN_ISO_Lb0ESQ_SR_ST_SU_SY_EESZ_S10_S11_S12_S16_S17_S18_S1B_S1C_jS1D_jS1E_S1E_jjS1G_bEUljE0_EEESZ_S10_S11_S18_S1C_S1E_T6_T7_T9_mT8_S1G_bDpT10_ENKUlT_T0_E_clISt17integral_constantIbLb0EES1U_EEDaS1P_S1Q_EUlS1P_E_NS1_11comp_targetILNS1_3genE2ELNS1_11target_archE906ELNS1_3gpuE6ELNS1_3repE0EEENS1_30default_config_static_selectorELNS0_4arch9wavefront6targetE0EEEvS12_,comdat
.Lfunc_end954:
	.size	_ZN7rocprim17ROCPRIM_400000_NS6detail17trampoline_kernelINS0_13select_configILj256ELj13ELNS0_17block_load_methodE3ELS4_3ELS4_3ELNS0_20block_scan_algorithmE0ELj4294967295EEENS1_25partition_config_selectorILNS1_17partition_subalgoE4EjNS0_10empty_typeEbEEZZNS1_14partition_implILS8_4ELb0ES6_15HIP_vector_typeIjLj2EENS0_17counting_iteratorIjlEEPS9_SG_NS0_5tupleIJPjSI_NS0_16reverse_iteratorISI_EEEEENSH_IJSG_SG_SG_EEES9_SI_JZNS1_25segmented_radix_sort_implINS0_14default_configELb0EPKsPsPKlPlN2at6native12_GLOBAL__N_18offset_tEEE10hipError_tPvRmT1_PNSt15iterator_traitsIS12_E10value_typeET2_T3_PNS13_IS18_E10value_typeET4_jRbjT5_S1E_jjP12ihipStream_tbEUljE_ZNSN_ISO_Lb0ESQ_SR_ST_SU_SY_EESZ_S10_S11_S12_S16_S17_S18_S1B_S1C_jS1D_jS1E_S1E_jjS1G_bEUljE0_EEESZ_S10_S11_S18_S1C_S1E_T6_T7_T9_mT8_S1G_bDpT10_ENKUlT_T0_E_clISt17integral_constantIbLb0EES1U_EEDaS1P_S1Q_EUlS1P_E_NS1_11comp_targetILNS1_3genE2ELNS1_11target_archE906ELNS1_3gpuE6ELNS1_3repE0EEENS1_30default_config_static_selectorELNS0_4arch9wavefront6targetE0EEEvS12_, .Lfunc_end954-_ZN7rocprim17ROCPRIM_400000_NS6detail17trampoline_kernelINS0_13select_configILj256ELj13ELNS0_17block_load_methodE3ELS4_3ELS4_3ELNS0_20block_scan_algorithmE0ELj4294967295EEENS1_25partition_config_selectorILNS1_17partition_subalgoE4EjNS0_10empty_typeEbEEZZNS1_14partition_implILS8_4ELb0ES6_15HIP_vector_typeIjLj2EENS0_17counting_iteratorIjlEEPS9_SG_NS0_5tupleIJPjSI_NS0_16reverse_iteratorISI_EEEEENSH_IJSG_SG_SG_EEES9_SI_JZNS1_25segmented_radix_sort_implINS0_14default_configELb0EPKsPsPKlPlN2at6native12_GLOBAL__N_18offset_tEEE10hipError_tPvRmT1_PNSt15iterator_traitsIS12_E10value_typeET2_T3_PNS13_IS18_E10value_typeET4_jRbjT5_S1E_jjP12ihipStream_tbEUljE_ZNSN_ISO_Lb0ESQ_SR_ST_SU_SY_EESZ_S10_S11_S12_S16_S17_S18_S1B_S1C_jS1D_jS1E_S1E_jjS1G_bEUljE0_EEESZ_S10_S11_S18_S1C_S1E_T6_T7_T9_mT8_S1G_bDpT10_ENKUlT_T0_E_clISt17integral_constantIbLb0EES1U_EEDaS1P_S1Q_EUlS1P_E_NS1_11comp_targetILNS1_3genE2ELNS1_11target_archE906ELNS1_3gpuE6ELNS1_3repE0EEENS1_30default_config_static_selectorELNS0_4arch9wavefront6targetE0EEEvS12_
                                        ; -- End function
	.set _ZN7rocprim17ROCPRIM_400000_NS6detail17trampoline_kernelINS0_13select_configILj256ELj13ELNS0_17block_load_methodE3ELS4_3ELS4_3ELNS0_20block_scan_algorithmE0ELj4294967295EEENS1_25partition_config_selectorILNS1_17partition_subalgoE4EjNS0_10empty_typeEbEEZZNS1_14partition_implILS8_4ELb0ES6_15HIP_vector_typeIjLj2EENS0_17counting_iteratorIjlEEPS9_SG_NS0_5tupleIJPjSI_NS0_16reverse_iteratorISI_EEEEENSH_IJSG_SG_SG_EEES9_SI_JZNS1_25segmented_radix_sort_implINS0_14default_configELb0EPKsPsPKlPlN2at6native12_GLOBAL__N_18offset_tEEE10hipError_tPvRmT1_PNSt15iterator_traitsIS12_E10value_typeET2_T3_PNS13_IS18_E10value_typeET4_jRbjT5_S1E_jjP12ihipStream_tbEUljE_ZNSN_ISO_Lb0ESQ_SR_ST_SU_SY_EESZ_S10_S11_S12_S16_S17_S18_S1B_S1C_jS1D_jS1E_S1E_jjS1G_bEUljE0_EEESZ_S10_S11_S18_S1C_S1E_T6_T7_T9_mT8_S1G_bDpT10_ENKUlT_T0_E_clISt17integral_constantIbLb0EES1U_EEDaS1P_S1Q_EUlS1P_E_NS1_11comp_targetILNS1_3genE2ELNS1_11target_archE906ELNS1_3gpuE6ELNS1_3repE0EEENS1_30default_config_static_selectorELNS0_4arch9wavefront6targetE0EEEvS12_.num_vgpr, 0
	.set _ZN7rocprim17ROCPRIM_400000_NS6detail17trampoline_kernelINS0_13select_configILj256ELj13ELNS0_17block_load_methodE3ELS4_3ELS4_3ELNS0_20block_scan_algorithmE0ELj4294967295EEENS1_25partition_config_selectorILNS1_17partition_subalgoE4EjNS0_10empty_typeEbEEZZNS1_14partition_implILS8_4ELb0ES6_15HIP_vector_typeIjLj2EENS0_17counting_iteratorIjlEEPS9_SG_NS0_5tupleIJPjSI_NS0_16reverse_iteratorISI_EEEEENSH_IJSG_SG_SG_EEES9_SI_JZNS1_25segmented_radix_sort_implINS0_14default_configELb0EPKsPsPKlPlN2at6native12_GLOBAL__N_18offset_tEEE10hipError_tPvRmT1_PNSt15iterator_traitsIS12_E10value_typeET2_T3_PNS13_IS18_E10value_typeET4_jRbjT5_S1E_jjP12ihipStream_tbEUljE_ZNSN_ISO_Lb0ESQ_SR_ST_SU_SY_EESZ_S10_S11_S12_S16_S17_S18_S1B_S1C_jS1D_jS1E_S1E_jjS1G_bEUljE0_EEESZ_S10_S11_S18_S1C_S1E_T6_T7_T9_mT8_S1G_bDpT10_ENKUlT_T0_E_clISt17integral_constantIbLb0EES1U_EEDaS1P_S1Q_EUlS1P_E_NS1_11comp_targetILNS1_3genE2ELNS1_11target_archE906ELNS1_3gpuE6ELNS1_3repE0EEENS1_30default_config_static_selectorELNS0_4arch9wavefront6targetE0EEEvS12_.num_agpr, 0
	.set _ZN7rocprim17ROCPRIM_400000_NS6detail17trampoline_kernelINS0_13select_configILj256ELj13ELNS0_17block_load_methodE3ELS4_3ELS4_3ELNS0_20block_scan_algorithmE0ELj4294967295EEENS1_25partition_config_selectorILNS1_17partition_subalgoE4EjNS0_10empty_typeEbEEZZNS1_14partition_implILS8_4ELb0ES6_15HIP_vector_typeIjLj2EENS0_17counting_iteratorIjlEEPS9_SG_NS0_5tupleIJPjSI_NS0_16reverse_iteratorISI_EEEEENSH_IJSG_SG_SG_EEES9_SI_JZNS1_25segmented_radix_sort_implINS0_14default_configELb0EPKsPsPKlPlN2at6native12_GLOBAL__N_18offset_tEEE10hipError_tPvRmT1_PNSt15iterator_traitsIS12_E10value_typeET2_T3_PNS13_IS18_E10value_typeET4_jRbjT5_S1E_jjP12ihipStream_tbEUljE_ZNSN_ISO_Lb0ESQ_SR_ST_SU_SY_EESZ_S10_S11_S12_S16_S17_S18_S1B_S1C_jS1D_jS1E_S1E_jjS1G_bEUljE0_EEESZ_S10_S11_S18_S1C_S1E_T6_T7_T9_mT8_S1G_bDpT10_ENKUlT_T0_E_clISt17integral_constantIbLb0EES1U_EEDaS1P_S1Q_EUlS1P_E_NS1_11comp_targetILNS1_3genE2ELNS1_11target_archE906ELNS1_3gpuE6ELNS1_3repE0EEENS1_30default_config_static_selectorELNS0_4arch9wavefront6targetE0EEEvS12_.numbered_sgpr, 0
	.set _ZN7rocprim17ROCPRIM_400000_NS6detail17trampoline_kernelINS0_13select_configILj256ELj13ELNS0_17block_load_methodE3ELS4_3ELS4_3ELNS0_20block_scan_algorithmE0ELj4294967295EEENS1_25partition_config_selectorILNS1_17partition_subalgoE4EjNS0_10empty_typeEbEEZZNS1_14partition_implILS8_4ELb0ES6_15HIP_vector_typeIjLj2EENS0_17counting_iteratorIjlEEPS9_SG_NS0_5tupleIJPjSI_NS0_16reverse_iteratorISI_EEEEENSH_IJSG_SG_SG_EEES9_SI_JZNS1_25segmented_radix_sort_implINS0_14default_configELb0EPKsPsPKlPlN2at6native12_GLOBAL__N_18offset_tEEE10hipError_tPvRmT1_PNSt15iterator_traitsIS12_E10value_typeET2_T3_PNS13_IS18_E10value_typeET4_jRbjT5_S1E_jjP12ihipStream_tbEUljE_ZNSN_ISO_Lb0ESQ_SR_ST_SU_SY_EESZ_S10_S11_S12_S16_S17_S18_S1B_S1C_jS1D_jS1E_S1E_jjS1G_bEUljE0_EEESZ_S10_S11_S18_S1C_S1E_T6_T7_T9_mT8_S1G_bDpT10_ENKUlT_T0_E_clISt17integral_constantIbLb0EES1U_EEDaS1P_S1Q_EUlS1P_E_NS1_11comp_targetILNS1_3genE2ELNS1_11target_archE906ELNS1_3gpuE6ELNS1_3repE0EEENS1_30default_config_static_selectorELNS0_4arch9wavefront6targetE0EEEvS12_.num_named_barrier, 0
	.set _ZN7rocprim17ROCPRIM_400000_NS6detail17trampoline_kernelINS0_13select_configILj256ELj13ELNS0_17block_load_methodE3ELS4_3ELS4_3ELNS0_20block_scan_algorithmE0ELj4294967295EEENS1_25partition_config_selectorILNS1_17partition_subalgoE4EjNS0_10empty_typeEbEEZZNS1_14partition_implILS8_4ELb0ES6_15HIP_vector_typeIjLj2EENS0_17counting_iteratorIjlEEPS9_SG_NS0_5tupleIJPjSI_NS0_16reverse_iteratorISI_EEEEENSH_IJSG_SG_SG_EEES9_SI_JZNS1_25segmented_radix_sort_implINS0_14default_configELb0EPKsPsPKlPlN2at6native12_GLOBAL__N_18offset_tEEE10hipError_tPvRmT1_PNSt15iterator_traitsIS12_E10value_typeET2_T3_PNS13_IS18_E10value_typeET4_jRbjT5_S1E_jjP12ihipStream_tbEUljE_ZNSN_ISO_Lb0ESQ_SR_ST_SU_SY_EESZ_S10_S11_S12_S16_S17_S18_S1B_S1C_jS1D_jS1E_S1E_jjS1G_bEUljE0_EEESZ_S10_S11_S18_S1C_S1E_T6_T7_T9_mT8_S1G_bDpT10_ENKUlT_T0_E_clISt17integral_constantIbLb0EES1U_EEDaS1P_S1Q_EUlS1P_E_NS1_11comp_targetILNS1_3genE2ELNS1_11target_archE906ELNS1_3gpuE6ELNS1_3repE0EEENS1_30default_config_static_selectorELNS0_4arch9wavefront6targetE0EEEvS12_.private_seg_size, 0
	.set _ZN7rocprim17ROCPRIM_400000_NS6detail17trampoline_kernelINS0_13select_configILj256ELj13ELNS0_17block_load_methodE3ELS4_3ELS4_3ELNS0_20block_scan_algorithmE0ELj4294967295EEENS1_25partition_config_selectorILNS1_17partition_subalgoE4EjNS0_10empty_typeEbEEZZNS1_14partition_implILS8_4ELb0ES6_15HIP_vector_typeIjLj2EENS0_17counting_iteratorIjlEEPS9_SG_NS0_5tupleIJPjSI_NS0_16reverse_iteratorISI_EEEEENSH_IJSG_SG_SG_EEES9_SI_JZNS1_25segmented_radix_sort_implINS0_14default_configELb0EPKsPsPKlPlN2at6native12_GLOBAL__N_18offset_tEEE10hipError_tPvRmT1_PNSt15iterator_traitsIS12_E10value_typeET2_T3_PNS13_IS18_E10value_typeET4_jRbjT5_S1E_jjP12ihipStream_tbEUljE_ZNSN_ISO_Lb0ESQ_SR_ST_SU_SY_EESZ_S10_S11_S12_S16_S17_S18_S1B_S1C_jS1D_jS1E_S1E_jjS1G_bEUljE0_EEESZ_S10_S11_S18_S1C_S1E_T6_T7_T9_mT8_S1G_bDpT10_ENKUlT_T0_E_clISt17integral_constantIbLb0EES1U_EEDaS1P_S1Q_EUlS1P_E_NS1_11comp_targetILNS1_3genE2ELNS1_11target_archE906ELNS1_3gpuE6ELNS1_3repE0EEENS1_30default_config_static_selectorELNS0_4arch9wavefront6targetE0EEEvS12_.uses_vcc, 0
	.set _ZN7rocprim17ROCPRIM_400000_NS6detail17trampoline_kernelINS0_13select_configILj256ELj13ELNS0_17block_load_methodE3ELS4_3ELS4_3ELNS0_20block_scan_algorithmE0ELj4294967295EEENS1_25partition_config_selectorILNS1_17partition_subalgoE4EjNS0_10empty_typeEbEEZZNS1_14partition_implILS8_4ELb0ES6_15HIP_vector_typeIjLj2EENS0_17counting_iteratorIjlEEPS9_SG_NS0_5tupleIJPjSI_NS0_16reverse_iteratorISI_EEEEENSH_IJSG_SG_SG_EEES9_SI_JZNS1_25segmented_radix_sort_implINS0_14default_configELb0EPKsPsPKlPlN2at6native12_GLOBAL__N_18offset_tEEE10hipError_tPvRmT1_PNSt15iterator_traitsIS12_E10value_typeET2_T3_PNS13_IS18_E10value_typeET4_jRbjT5_S1E_jjP12ihipStream_tbEUljE_ZNSN_ISO_Lb0ESQ_SR_ST_SU_SY_EESZ_S10_S11_S12_S16_S17_S18_S1B_S1C_jS1D_jS1E_S1E_jjS1G_bEUljE0_EEESZ_S10_S11_S18_S1C_S1E_T6_T7_T9_mT8_S1G_bDpT10_ENKUlT_T0_E_clISt17integral_constantIbLb0EES1U_EEDaS1P_S1Q_EUlS1P_E_NS1_11comp_targetILNS1_3genE2ELNS1_11target_archE906ELNS1_3gpuE6ELNS1_3repE0EEENS1_30default_config_static_selectorELNS0_4arch9wavefront6targetE0EEEvS12_.uses_flat_scratch, 0
	.set _ZN7rocprim17ROCPRIM_400000_NS6detail17trampoline_kernelINS0_13select_configILj256ELj13ELNS0_17block_load_methodE3ELS4_3ELS4_3ELNS0_20block_scan_algorithmE0ELj4294967295EEENS1_25partition_config_selectorILNS1_17partition_subalgoE4EjNS0_10empty_typeEbEEZZNS1_14partition_implILS8_4ELb0ES6_15HIP_vector_typeIjLj2EENS0_17counting_iteratorIjlEEPS9_SG_NS0_5tupleIJPjSI_NS0_16reverse_iteratorISI_EEEEENSH_IJSG_SG_SG_EEES9_SI_JZNS1_25segmented_radix_sort_implINS0_14default_configELb0EPKsPsPKlPlN2at6native12_GLOBAL__N_18offset_tEEE10hipError_tPvRmT1_PNSt15iterator_traitsIS12_E10value_typeET2_T3_PNS13_IS18_E10value_typeET4_jRbjT5_S1E_jjP12ihipStream_tbEUljE_ZNSN_ISO_Lb0ESQ_SR_ST_SU_SY_EESZ_S10_S11_S12_S16_S17_S18_S1B_S1C_jS1D_jS1E_S1E_jjS1G_bEUljE0_EEESZ_S10_S11_S18_S1C_S1E_T6_T7_T9_mT8_S1G_bDpT10_ENKUlT_T0_E_clISt17integral_constantIbLb0EES1U_EEDaS1P_S1Q_EUlS1P_E_NS1_11comp_targetILNS1_3genE2ELNS1_11target_archE906ELNS1_3gpuE6ELNS1_3repE0EEENS1_30default_config_static_selectorELNS0_4arch9wavefront6targetE0EEEvS12_.has_dyn_sized_stack, 0
	.set _ZN7rocprim17ROCPRIM_400000_NS6detail17trampoline_kernelINS0_13select_configILj256ELj13ELNS0_17block_load_methodE3ELS4_3ELS4_3ELNS0_20block_scan_algorithmE0ELj4294967295EEENS1_25partition_config_selectorILNS1_17partition_subalgoE4EjNS0_10empty_typeEbEEZZNS1_14partition_implILS8_4ELb0ES6_15HIP_vector_typeIjLj2EENS0_17counting_iteratorIjlEEPS9_SG_NS0_5tupleIJPjSI_NS0_16reverse_iteratorISI_EEEEENSH_IJSG_SG_SG_EEES9_SI_JZNS1_25segmented_radix_sort_implINS0_14default_configELb0EPKsPsPKlPlN2at6native12_GLOBAL__N_18offset_tEEE10hipError_tPvRmT1_PNSt15iterator_traitsIS12_E10value_typeET2_T3_PNS13_IS18_E10value_typeET4_jRbjT5_S1E_jjP12ihipStream_tbEUljE_ZNSN_ISO_Lb0ESQ_SR_ST_SU_SY_EESZ_S10_S11_S12_S16_S17_S18_S1B_S1C_jS1D_jS1E_S1E_jjS1G_bEUljE0_EEESZ_S10_S11_S18_S1C_S1E_T6_T7_T9_mT8_S1G_bDpT10_ENKUlT_T0_E_clISt17integral_constantIbLb0EES1U_EEDaS1P_S1Q_EUlS1P_E_NS1_11comp_targetILNS1_3genE2ELNS1_11target_archE906ELNS1_3gpuE6ELNS1_3repE0EEENS1_30default_config_static_selectorELNS0_4arch9wavefront6targetE0EEEvS12_.has_recursion, 0
	.set _ZN7rocprim17ROCPRIM_400000_NS6detail17trampoline_kernelINS0_13select_configILj256ELj13ELNS0_17block_load_methodE3ELS4_3ELS4_3ELNS0_20block_scan_algorithmE0ELj4294967295EEENS1_25partition_config_selectorILNS1_17partition_subalgoE4EjNS0_10empty_typeEbEEZZNS1_14partition_implILS8_4ELb0ES6_15HIP_vector_typeIjLj2EENS0_17counting_iteratorIjlEEPS9_SG_NS0_5tupleIJPjSI_NS0_16reverse_iteratorISI_EEEEENSH_IJSG_SG_SG_EEES9_SI_JZNS1_25segmented_radix_sort_implINS0_14default_configELb0EPKsPsPKlPlN2at6native12_GLOBAL__N_18offset_tEEE10hipError_tPvRmT1_PNSt15iterator_traitsIS12_E10value_typeET2_T3_PNS13_IS18_E10value_typeET4_jRbjT5_S1E_jjP12ihipStream_tbEUljE_ZNSN_ISO_Lb0ESQ_SR_ST_SU_SY_EESZ_S10_S11_S12_S16_S17_S18_S1B_S1C_jS1D_jS1E_S1E_jjS1G_bEUljE0_EEESZ_S10_S11_S18_S1C_S1E_T6_T7_T9_mT8_S1G_bDpT10_ENKUlT_T0_E_clISt17integral_constantIbLb0EES1U_EEDaS1P_S1Q_EUlS1P_E_NS1_11comp_targetILNS1_3genE2ELNS1_11target_archE906ELNS1_3gpuE6ELNS1_3repE0EEENS1_30default_config_static_selectorELNS0_4arch9wavefront6targetE0EEEvS12_.has_indirect_call, 0
	.section	.AMDGPU.csdata,"",@progbits
; Kernel info:
; codeLenInByte = 0
; TotalNumSgprs: 0
; NumVgprs: 0
; ScratchSize: 0
; MemoryBound: 0
; FloatMode: 240
; IeeeMode: 1
; LDSByteSize: 0 bytes/workgroup (compile time only)
; SGPRBlocks: 0
; VGPRBlocks: 0
; NumSGPRsForWavesPerEU: 1
; NumVGPRsForWavesPerEU: 1
; Occupancy: 16
; WaveLimiterHint : 0
; COMPUTE_PGM_RSRC2:SCRATCH_EN: 0
; COMPUTE_PGM_RSRC2:USER_SGPR: 2
; COMPUTE_PGM_RSRC2:TRAP_HANDLER: 0
; COMPUTE_PGM_RSRC2:TGID_X_EN: 1
; COMPUTE_PGM_RSRC2:TGID_Y_EN: 0
; COMPUTE_PGM_RSRC2:TGID_Z_EN: 0
; COMPUTE_PGM_RSRC2:TIDIG_COMP_CNT: 0
	.section	.text._ZN7rocprim17ROCPRIM_400000_NS6detail17trampoline_kernelINS0_13select_configILj256ELj13ELNS0_17block_load_methodE3ELS4_3ELS4_3ELNS0_20block_scan_algorithmE0ELj4294967295EEENS1_25partition_config_selectorILNS1_17partition_subalgoE4EjNS0_10empty_typeEbEEZZNS1_14partition_implILS8_4ELb0ES6_15HIP_vector_typeIjLj2EENS0_17counting_iteratorIjlEEPS9_SG_NS0_5tupleIJPjSI_NS0_16reverse_iteratorISI_EEEEENSH_IJSG_SG_SG_EEES9_SI_JZNS1_25segmented_radix_sort_implINS0_14default_configELb0EPKsPsPKlPlN2at6native12_GLOBAL__N_18offset_tEEE10hipError_tPvRmT1_PNSt15iterator_traitsIS12_E10value_typeET2_T3_PNS13_IS18_E10value_typeET4_jRbjT5_S1E_jjP12ihipStream_tbEUljE_ZNSN_ISO_Lb0ESQ_SR_ST_SU_SY_EESZ_S10_S11_S12_S16_S17_S18_S1B_S1C_jS1D_jS1E_S1E_jjS1G_bEUljE0_EEESZ_S10_S11_S18_S1C_S1E_T6_T7_T9_mT8_S1G_bDpT10_ENKUlT_T0_E_clISt17integral_constantIbLb0EES1U_EEDaS1P_S1Q_EUlS1P_E_NS1_11comp_targetILNS1_3genE10ELNS1_11target_archE1200ELNS1_3gpuE4ELNS1_3repE0EEENS1_30default_config_static_selectorELNS0_4arch9wavefront6targetE0EEEvS12_,"axG",@progbits,_ZN7rocprim17ROCPRIM_400000_NS6detail17trampoline_kernelINS0_13select_configILj256ELj13ELNS0_17block_load_methodE3ELS4_3ELS4_3ELNS0_20block_scan_algorithmE0ELj4294967295EEENS1_25partition_config_selectorILNS1_17partition_subalgoE4EjNS0_10empty_typeEbEEZZNS1_14partition_implILS8_4ELb0ES6_15HIP_vector_typeIjLj2EENS0_17counting_iteratorIjlEEPS9_SG_NS0_5tupleIJPjSI_NS0_16reverse_iteratorISI_EEEEENSH_IJSG_SG_SG_EEES9_SI_JZNS1_25segmented_radix_sort_implINS0_14default_configELb0EPKsPsPKlPlN2at6native12_GLOBAL__N_18offset_tEEE10hipError_tPvRmT1_PNSt15iterator_traitsIS12_E10value_typeET2_T3_PNS13_IS18_E10value_typeET4_jRbjT5_S1E_jjP12ihipStream_tbEUljE_ZNSN_ISO_Lb0ESQ_SR_ST_SU_SY_EESZ_S10_S11_S12_S16_S17_S18_S1B_S1C_jS1D_jS1E_S1E_jjS1G_bEUljE0_EEESZ_S10_S11_S18_S1C_S1E_T6_T7_T9_mT8_S1G_bDpT10_ENKUlT_T0_E_clISt17integral_constantIbLb0EES1U_EEDaS1P_S1Q_EUlS1P_E_NS1_11comp_targetILNS1_3genE10ELNS1_11target_archE1200ELNS1_3gpuE4ELNS1_3repE0EEENS1_30default_config_static_selectorELNS0_4arch9wavefront6targetE0EEEvS12_,comdat
	.globl	_ZN7rocprim17ROCPRIM_400000_NS6detail17trampoline_kernelINS0_13select_configILj256ELj13ELNS0_17block_load_methodE3ELS4_3ELS4_3ELNS0_20block_scan_algorithmE0ELj4294967295EEENS1_25partition_config_selectorILNS1_17partition_subalgoE4EjNS0_10empty_typeEbEEZZNS1_14partition_implILS8_4ELb0ES6_15HIP_vector_typeIjLj2EENS0_17counting_iteratorIjlEEPS9_SG_NS0_5tupleIJPjSI_NS0_16reverse_iteratorISI_EEEEENSH_IJSG_SG_SG_EEES9_SI_JZNS1_25segmented_radix_sort_implINS0_14default_configELb0EPKsPsPKlPlN2at6native12_GLOBAL__N_18offset_tEEE10hipError_tPvRmT1_PNSt15iterator_traitsIS12_E10value_typeET2_T3_PNS13_IS18_E10value_typeET4_jRbjT5_S1E_jjP12ihipStream_tbEUljE_ZNSN_ISO_Lb0ESQ_SR_ST_SU_SY_EESZ_S10_S11_S12_S16_S17_S18_S1B_S1C_jS1D_jS1E_S1E_jjS1G_bEUljE0_EEESZ_S10_S11_S18_S1C_S1E_T6_T7_T9_mT8_S1G_bDpT10_ENKUlT_T0_E_clISt17integral_constantIbLb0EES1U_EEDaS1P_S1Q_EUlS1P_E_NS1_11comp_targetILNS1_3genE10ELNS1_11target_archE1200ELNS1_3gpuE4ELNS1_3repE0EEENS1_30default_config_static_selectorELNS0_4arch9wavefront6targetE0EEEvS12_ ; -- Begin function _ZN7rocprim17ROCPRIM_400000_NS6detail17trampoline_kernelINS0_13select_configILj256ELj13ELNS0_17block_load_methodE3ELS4_3ELS4_3ELNS0_20block_scan_algorithmE0ELj4294967295EEENS1_25partition_config_selectorILNS1_17partition_subalgoE4EjNS0_10empty_typeEbEEZZNS1_14partition_implILS8_4ELb0ES6_15HIP_vector_typeIjLj2EENS0_17counting_iteratorIjlEEPS9_SG_NS0_5tupleIJPjSI_NS0_16reverse_iteratorISI_EEEEENSH_IJSG_SG_SG_EEES9_SI_JZNS1_25segmented_radix_sort_implINS0_14default_configELb0EPKsPsPKlPlN2at6native12_GLOBAL__N_18offset_tEEE10hipError_tPvRmT1_PNSt15iterator_traitsIS12_E10value_typeET2_T3_PNS13_IS18_E10value_typeET4_jRbjT5_S1E_jjP12ihipStream_tbEUljE_ZNSN_ISO_Lb0ESQ_SR_ST_SU_SY_EESZ_S10_S11_S12_S16_S17_S18_S1B_S1C_jS1D_jS1E_S1E_jjS1G_bEUljE0_EEESZ_S10_S11_S18_S1C_S1E_T6_T7_T9_mT8_S1G_bDpT10_ENKUlT_T0_E_clISt17integral_constantIbLb0EES1U_EEDaS1P_S1Q_EUlS1P_E_NS1_11comp_targetILNS1_3genE10ELNS1_11target_archE1200ELNS1_3gpuE4ELNS1_3repE0EEENS1_30default_config_static_selectorELNS0_4arch9wavefront6targetE0EEEvS12_
	.p2align	8
	.type	_ZN7rocprim17ROCPRIM_400000_NS6detail17trampoline_kernelINS0_13select_configILj256ELj13ELNS0_17block_load_methodE3ELS4_3ELS4_3ELNS0_20block_scan_algorithmE0ELj4294967295EEENS1_25partition_config_selectorILNS1_17partition_subalgoE4EjNS0_10empty_typeEbEEZZNS1_14partition_implILS8_4ELb0ES6_15HIP_vector_typeIjLj2EENS0_17counting_iteratorIjlEEPS9_SG_NS0_5tupleIJPjSI_NS0_16reverse_iteratorISI_EEEEENSH_IJSG_SG_SG_EEES9_SI_JZNS1_25segmented_radix_sort_implINS0_14default_configELb0EPKsPsPKlPlN2at6native12_GLOBAL__N_18offset_tEEE10hipError_tPvRmT1_PNSt15iterator_traitsIS12_E10value_typeET2_T3_PNS13_IS18_E10value_typeET4_jRbjT5_S1E_jjP12ihipStream_tbEUljE_ZNSN_ISO_Lb0ESQ_SR_ST_SU_SY_EESZ_S10_S11_S12_S16_S17_S18_S1B_S1C_jS1D_jS1E_S1E_jjS1G_bEUljE0_EEESZ_S10_S11_S18_S1C_S1E_T6_T7_T9_mT8_S1G_bDpT10_ENKUlT_T0_E_clISt17integral_constantIbLb0EES1U_EEDaS1P_S1Q_EUlS1P_E_NS1_11comp_targetILNS1_3genE10ELNS1_11target_archE1200ELNS1_3gpuE4ELNS1_3repE0EEENS1_30default_config_static_selectorELNS0_4arch9wavefront6targetE0EEEvS12_,@function
_ZN7rocprim17ROCPRIM_400000_NS6detail17trampoline_kernelINS0_13select_configILj256ELj13ELNS0_17block_load_methodE3ELS4_3ELS4_3ELNS0_20block_scan_algorithmE0ELj4294967295EEENS1_25partition_config_selectorILNS1_17partition_subalgoE4EjNS0_10empty_typeEbEEZZNS1_14partition_implILS8_4ELb0ES6_15HIP_vector_typeIjLj2EENS0_17counting_iteratorIjlEEPS9_SG_NS0_5tupleIJPjSI_NS0_16reverse_iteratorISI_EEEEENSH_IJSG_SG_SG_EEES9_SI_JZNS1_25segmented_radix_sort_implINS0_14default_configELb0EPKsPsPKlPlN2at6native12_GLOBAL__N_18offset_tEEE10hipError_tPvRmT1_PNSt15iterator_traitsIS12_E10value_typeET2_T3_PNS13_IS18_E10value_typeET4_jRbjT5_S1E_jjP12ihipStream_tbEUljE_ZNSN_ISO_Lb0ESQ_SR_ST_SU_SY_EESZ_S10_S11_S12_S16_S17_S18_S1B_S1C_jS1D_jS1E_S1E_jjS1G_bEUljE0_EEESZ_S10_S11_S18_S1C_S1E_T6_T7_T9_mT8_S1G_bDpT10_ENKUlT_T0_E_clISt17integral_constantIbLb0EES1U_EEDaS1P_S1Q_EUlS1P_E_NS1_11comp_targetILNS1_3genE10ELNS1_11target_archE1200ELNS1_3gpuE4ELNS1_3repE0EEENS1_30default_config_static_selectorELNS0_4arch9wavefront6targetE0EEEvS12_: ; @_ZN7rocprim17ROCPRIM_400000_NS6detail17trampoline_kernelINS0_13select_configILj256ELj13ELNS0_17block_load_methodE3ELS4_3ELS4_3ELNS0_20block_scan_algorithmE0ELj4294967295EEENS1_25partition_config_selectorILNS1_17partition_subalgoE4EjNS0_10empty_typeEbEEZZNS1_14partition_implILS8_4ELb0ES6_15HIP_vector_typeIjLj2EENS0_17counting_iteratorIjlEEPS9_SG_NS0_5tupleIJPjSI_NS0_16reverse_iteratorISI_EEEEENSH_IJSG_SG_SG_EEES9_SI_JZNS1_25segmented_radix_sort_implINS0_14default_configELb0EPKsPsPKlPlN2at6native12_GLOBAL__N_18offset_tEEE10hipError_tPvRmT1_PNSt15iterator_traitsIS12_E10value_typeET2_T3_PNS13_IS18_E10value_typeET4_jRbjT5_S1E_jjP12ihipStream_tbEUljE_ZNSN_ISO_Lb0ESQ_SR_ST_SU_SY_EESZ_S10_S11_S12_S16_S17_S18_S1B_S1C_jS1D_jS1E_S1E_jjS1G_bEUljE0_EEESZ_S10_S11_S18_S1C_S1E_T6_T7_T9_mT8_S1G_bDpT10_ENKUlT_T0_E_clISt17integral_constantIbLb0EES1U_EEDaS1P_S1Q_EUlS1P_E_NS1_11comp_targetILNS1_3genE10ELNS1_11target_archE1200ELNS1_3gpuE4ELNS1_3repE0EEENS1_30default_config_static_selectorELNS0_4arch9wavefront6targetE0EEEvS12_
; %bb.0:
	s_clause 0x6
	s_load_b32 s6, s[0:1], 0x80
	s_load_b128 s[24:27], s[0:1], 0x58
	s_load_b64 s[34:35], s[0:1], 0x10
	s_load_b64 s[2:3], s[0:1], 0x68
	s_load_b32 s7, s[0:1], 0x8
	s_load_b64 s[42:43], s[0:1], 0xa8
	s_load_b256 s[16:23], s[0:1], 0x88
	s_mov_b32 s5, 0
	s_mul_i32 s40, ttmp9, 0xd00
	s_wait_kmcnt 0x0
	s_mul_i32 s4, s6, 0xd00
	s_load_b128 s[28:31], s[26:27], 0x0
	s_add_co_i32 s8, s4, s34
	s_add_co_i32 s6, s6, -1
	s_sub_co_i32 s33, s2, s8
	s_add_nc_u64 s[4:5], s[34:35], s[4:5]
	s_addk_co_i32 s33, 0xd00
	s_cmp_eq_u32 ttmp9, s6
	v_cmp_gt_u64_e64 s2, s[2:3], s[4:5]
	s_cselect_b32 s15, -1, 0
	s_cmp_lg_u32 ttmp9, s6
	s_mov_b32 s5, -1
	s_cselect_b32 s3, -1, 0
	s_add_co_i32 s4, s7, s40
	s_wait_alu 0xfffe
	s_or_b32 s3, s3, s2
	s_add_co_i32 s4, s4, s34
	s_wait_alu 0xfffe
	s_and_b32 vcc_lo, exec_lo, s3
	v_add_nc_u32_e32 v1, s4, v0
	s_cbranch_vccz .LBB955_2
; %bb.1:
	s_delay_alu instid0(VALU_DEP_1)
	v_add_nc_u32_e32 v2, 0x100, v1
	v_lshlrev_b32_e32 v10, 2, v0
	v_add_nc_u32_e32 v3, 0x200, v1
	v_add_nc_u32_e32 v4, 0x300, v1
	;; [unrolled: 1-line block ×11, first 2 shown]
	ds_store_2addr_stride64_b32 v10, v1, v2 offset1:4
	ds_store_2addr_stride64_b32 v10, v3, v4 offset0:8 offset1:12
	ds_store_2addr_stride64_b32 v10, v5, v6 offset0:16 offset1:20
	;; [unrolled: 1-line block ×5, first 2 shown]
	ds_store_b32 v10, v14 offset:12288
	s_wait_dscnt 0x0
	s_barrier_signal -1
	s_mov_b32 s5, 0
	s_barrier_wait -1
.LBB955_2:
	v_cmp_gt_u32_e64 s2, s33, v0
	v_or_b32_e32 v38, 0x100, v0
	v_or_b32_e32 v37, 0x200, v0
	;; [unrolled: 1-line block ×12, first 2 shown]
	s_wait_alu 0xfffe
	s_and_not1_b32 vcc_lo, exec_lo, s5
	s_cbranch_vccnz .LBB955_4
; %bb.3:
	v_cmp_gt_u32_e32 vcc_lo, s33, v38
	v_add_nc_u32_e32 v3, s4, v37
	v_add_nc_u32_e32 v2, s4, v38
	v_cndmask_b32_e64 v1, 0, v1, s2
	v_lshlrev_b32_e32 v14, 2, v0
	s_delay_alu instid0(VALU_DEP_3)
	v_cndmask_b32_e32 v2, 0, v2, vcc_lo
	v_cmp_gt_u32_e32 vcc_lo, s33, v37
	s_wait_alu 0xfffd
	v_cndmask_b32_e32 v3, 0, v3, vcc_lo
	v_cmp_gt_u32_e32 vcc_lo, s33, v36
	v_add_nc_u32_e32 v5, s4, v35
	v_add_nc_u32_e32 v4, s4, v36
	s_wait_alu 0xfffd
	s_delay_alu instid0(VALU_DEP_1)
	v_cndmask_b32_e32 v4, 0, v4, vcc_lo
	v_cmp_gt_u32_e32 vcc_lo, s33, v35
	s_wait_alu 0xfffd
	v_cndmask_b32_e32 v5, 0, v5, vcc_lo
	v_cmp_gt_u32_e32 vcc_lo, s33, v34
	v_add_nc_u32_e32 v7, s4, v33
	v_add_nc_u32_e32 v6, s4, v34
	s_wait_alu 0xfffd
	s_delay_alu instid0(VALU_DEP_1)
	v_cndmask_b32_e32 v6, 0, v6, vcc_lo
	v_cmp_gt_u32_e32 vcc_lo, s33, v33
	s_wait_alu 0xfffd
	v_cndmask_b32_e32 v7, 0, v7, vcc_lo
	v_cmp_gt_u32_e32 vcc_lo, s33, v32
	v_add_nc_u32_e32 v9, s4, v31
	v_add_nc_u32_e32 v8, s4, v32
	s_wait_alu 0xfffd
	s_delay_alu instid0(VALU_DEP_1)
	v_cndmask_b32_e32 v8, 0, v8, vcc_lo
	v_cmp_gt_u32_e32 vcc_lo, s33, v31
	s_wait_alu 0xfffd
	v_cndmask_b32_e32 v9, 0, v9, vcc_lo
	v_cmp_gt_u32_e32 vcc_lo, s33, v30
	v_add_nc_u32_e32 v11, s4, v29
	v_add_nc_u32_e32 v10, s4, v30
	s_wait_alu 0xfffd
	s_delay_alu instid0(VALU_DEP_1)
	v_cndmask_b32_e32 v10, 0, v10, vcc_lo
	v_cmp_gt_u32_e32 vcc_lo, s33, v29
	s_wait_alu 0xfffd
	v_cndmask_b32_e32 v11, 0, v11, vcc_lo
	v_cmp_gt_u32_e32 vcc_lo, s33, v28
	v_add_nc_u32_e32 v13, s4, v27
	v_add_nc_u32_e32 v12, s4, v28
	s_wait_alu 0xfffd
	s_delay_alu instid0(VALU_DEP_1)
	v_cndmask_b32_e32 v12, 0, v12, vcc_lo
	v_cmp_gt_u32_e32 vcc_lo, s33, v27
	s_wait_alu 0xfffd
	v_cndmask_b32_e32 v13, 0, v13, vcc_lo
	ds_store_2addr_stride64_b32 v14, v1, v2 offset1:4
	ds_store_2addr_stride64_b32 v14, v3, v4 offset0:8 offset1:12
	ds_store_2addr_stride64_b32 v14, v5, v6 offset0:16 offset1:20
	;; [unrolled: 1-line block ×5, first 2 shown]
	ds_store_b32 v14, v13 offset:12288
	s_wait_dscnt 0x0
	s_barrier_signal -1
	s_barrier_wait -1
.LBB955_4:
	v_mul_u32_u24_e32 v41, 13, v0
	s_clause 0x1
	s_load_b128 s[36:39], s[0:1], 0x28
	s_load_b64 s[26:27], s[0:1], 0x38
	global_inv scope:SCOPE_SE
	v_cndmask_b32_e64 v39, 0, 1, s3
	s_and_not1_b32 vcc_lo, exec_lo, s3
	v_lshlrev_b32_e32 v1, 2, v41
	ds_load_2addr_b32 v[19:20], v1 offset1:1
	ds_load_2addr_b32 v[17:18], v1 offset0:2 offset1:3
	ds_load_2addr_b32 v[15:16], v1 offset0:4 offset1:5
	;; [unrolled: 1-line block ×5, first 2 shown]
	ds_load_b32 v40, v1 offset:48
	s_wait_loadcnt_dscnt 0x0
	s_barrier_signal -1
	s_barrier_wait -1
	global_inv scope:SCOPE_SE
	s_wait_alu 0xfffe
	s_cbranch_vccnz .LBB955_32
; %bb.5:
	v_add_nc_u32_e32 v1, s17, v19
	v_add_nc_u32_e32 v2, s19, v19
	s_mov_b32 s44, 0
	s_mov_b32 s41, 0
	s_mov_b32 s3, exec_lo
	v_mul_lo_u32 v1, v1, s16
	v_mul_lo_u32 v2, v2, s18
	s_delay_alu instid0(VALU_DEP_1) | instskip(NEXT) | instid1(VALU_DEP_1)
	v_sub_nc_u32_e32 v1, v1, v2
	v_cmp_lt_u32_e32 vcc_lo, s20, v1
	v_cmpx_ge_u32_e64 s20, v1
	s_cbranch_execz .LBB955_7
; %bb.6:
	v_add_nc_u32_e32 v1, s22, v19
	v_add_nc_u32_e32 v2, s42, v19
	s_delay_alu instid0(VALU_DEP_2) | instskip(NEXT) | instid1(VALU_DEP_2)
	v_mul_lo_u32 v1, v1, s21
	v_mul_lo_u32 v2, v2, s23
	s_delay_alu instid0(VALU_DEP_1) | instskip(NEXT) | instid1(VALU_DEP_1)
	v_sub_nc_u32_e32 v1, v1, v2
	v_cmp_lt_u32_e64 s2, s43, v1
	s_and_b32 s41, s2, exec_lo
.LBB955_7:
	s_wait_alu 0xfffe
	s_or_b32 exec_lo, exec_lo, s3
	v_add_nc_u32_e32 v1, s17, v20
	v_add_nc_u32_e32 v2, s19, v20
	s_mov_b32 s4, exec_lo
	s_delay_alu instid0(VALU_DEP_2) | instskip(NEXT) | instid1(VALU_DEP_2)
	v_mul_lo_u32 v1, v1, s16
	v_mul_lo_u32 v2, v2, s18
	s_delay_alu instid0(VALU_DEP_1) | instskip(NEXT) | instid1(VALU_DEP_1)
	v_sub_nc_u32_e32 v1, v1, v2
	v_cmp_lt_u32_e64 s2, s20, v1
	v_cmpx_ge_u32_e64 s20, v1
	s_cbranch_execz .LBB955_9
; %bb.8:
	v_add_nc_u32_e32 v1, s22, v20
	v_add_nc_u32_e32 v2, s42, v20
	s_delay_alu instid0(VALU_DEP_2) | instskip(NEXT) | instid1(VALU_DEP_2)
	v_mul_lo_u32 v1, v1, s21
	v_mul_lo_u32 v2, v2, s23
	s_delay_alu instid0(VALU_DEP_1) | instskip(NEXT) | instid1(VALU_DEP_1)
	v_sub_nc_u32_e32 v1, v1, v2
	v_cmp_lt_u32_e64 s3, s43, v1
	s_and_b32 s44, s3, exec_lo
.LBB955_9:
	s_wait_alu 0xfffe
	s_or_b32 exec_lo, exec_lo, s4
	v_add_nc_u32_e32 v1, s17, v17
	v_add_nc_u32_e32 v2, s19, v17
	s_mov_b32 s46, 0
	s_mov_b32 s45, 0
	s_mov_b32 s5, exec_lo
	v_mul_lo_u32 v1, v1, s16
	v_mul_lo_u32 v2, v2, s18
	s_delay_alu instid0(VALU_DEP_1) | instskip(NEXT) | instid1(VALU_DEP_1)
	v_sub_nc_u32_e32 v1, v1, v2
	v_cmp_lt_u32_e64 s3, s20, v1
	v_cmpx_ge_u32_e64 s20, v1
	s_cbranch_execz .LBB955_11
; %bb.10:
	v_add_nc_u32_e32 v1, s22, v17
	v_add_nc_u32_e32 v2, s42, v17
	s_delay_alu instid0(VALU_DEP_2) | instskip(NEXT) | instid1(VALU_DEP_2)
	v_mul_lo_u32 v1, v1, s21
	v_mul_lo_u32 v2, v2, s23
	s_delay_alu instid0(VALU_DEP_1) | instskip(NEXT) | instid1(VALU_DEP_1)
	v_sub_nc_u32_e32 v1, v1, v2
	v_cmp_lt_u32_e64 s4, s43, v1
	s_and_b32 s45, s4, exec_lo
.LBB955_11:
	s_wait_alu 0xfffe
	s_or_b32 exec_lo, exec_lo, s5
	v_add_nc_u32_e32 v1, s17, v18
	v_add_nc_u32_e32 v2, s19, v18
	s_mov_b32 s6, exec_lo
	s_delay_alu instid0(VALU_DEP_2) | instskip(NEXT) | instid1(VALU_DEP_2)
	v_mul_lo_u32 v1, v1, s16
	v_mul_lo_u32 v2, v2, s18
	s_delay_alu instid0(VALU_DEP_1) | instskip(NEXT) | instid1(VALU_DEP_1)
	v_sub_nc_u32_e32 v1, v1, v2
	v_cmp_lt_u32_e64 s4, s20, v1
	v_cmpx_ge_u32_e64 s20, v1
	s_cbranch_execz .LBB955_13
; %bb.12:
	v_add_nc_u32_e32 v1, s22, v18
	v_add_nc_u32_e32 v2, s42, v18
	s_delay_alu instid0(VALU_DEP_2) | instskip(NEXT) | instid1(VALU_DEP_2)
	v_mul_lo_u32 v1, v1, s21
	v_mul_lo_u32 v2, v2, s23
	s_delay_alu instid0(VALU_DEP_1) | instskip(NEXT) | instid1(VALU_DEP_1)
	v_sub_nc_u32_e32 v1, v1, v2
	v_cmp_lt_u32_e64 s5, s43, v1
	s_and_b32 s46, s5, exec_lo
.LBB955_13:
	s_or_b32 exec_lo, exec_lo, s6
	v_add_nc_u32_e32 v1, s17, v15
	v_add_nc_u32_e32 v2, s19, v15
	s_mov_b32 s48, 0
	s_mov_b32 s47, 0
	s_mov_b32 s7, exec_lo
	v_mul_lo_u32 v1, v1, s16
	v_mul_lo_u32 v2, v2, s18
	s_delay_alu instid0(VALU_DEP_1) | instskip(NEXT) | instid1(VALU_DEP_1)
	v_sub_nc_u32_e32 v1, v1, v2
	v_cmp_lt_u32_e64 s5, s20, v1
	v_cmpx_ge_u32_e64 s20, v1
	s_cbranch_execz .LBB955_15
; %bb.14:
	v_add_nc_u32_e32 v1, s22, v15
	v_add_nc_u32_e32 v2, s42, v15
	s_delay_alu instid0(VALU_DEP_2) | instskip(NEXT) | instid1(VALU_DEP_2)
	v_mul_lo_u32 v1, v1, s21
	v_mul_lo_u32 v2, v2, s23
	s_delay_alu instid0(VALU_DEP_1) | instskip(NEXT) | instid1(VALU_DEP_1)
	v_sub_nc_u32_e32 v1, v1, v2
	v_cmp_lt_u32_e64 s6, s43, v1
	s_and_b32 s47, s6, exec_lo
.LBB955_15:
	s_or_b32 exec_lo, exec_lo, s7
	v_add_nc_u32_e32 v1, s17, v16
	v_add_nc_u32_e32 v2, s19, v16
	s_mov_b32 s8, exec_lo
	s_delay_alu instid0(VALU_DEP_2) | instskip(NEXT) | instid1(VALU_DEP_2)
	v_mul_lo_u32 v1, v1, s16
	v_mul_lo_u32 v2, v2, s18
	s_delay_alu instid0(VALU_DEP_1) | instskip(NEXT) | instid1(VALU_DEP_1)
	v_sub_nc_u32_e32 v1, v1, v2
	v_cmp_lt_u32_e64 s6, s20, v1
	v_cmpx_ge_u32_e64 s20, v1
	s_cbranch_execz .LBB955_17
; %bb.16:
	v_add_nc_u32_e32 v1, s22, v16
	v_add_nc_u32_e32 v2, s42, v16
	s_delay_alu instid0(VALU_DEP_2) | instskip(NEXT) | instid1(VALU_DEP_2)
	v_mul_lo_u32 v1, v1, s21
	v_mul_lo_u32 v2, v2, s23
	s_delay_alu instid0(VALU_DEP_1) | instskip(NEXT) | instid1(VALU_DEP_1)
	v_sub_nc_u32_e32 v1, v1, v2
	v_cmp_lt_u32_e64 s7, s43, v1
	s_and_b32 s48, s7, exec_lo
.LBB955_17:
	s_or_b32 exec_lo, exec_lo, s8
	v_add_nc_u32_e32 v1, s17, v13
	v_add_nc_u32_e32 v2, s19, v13
	s_mov_b32 s50, 0
	s_mov_b32 s49, 0
	s_mov_b32 s9, exec_lo
	v_mul_lo_u32 v1, v1, s16
	v_mul_lo_u32 v2, v2, s18
	s_delay_alu instid0(VALU_DEP_1) | instskip(NEXT) | instid1(VALU_DEP_1)
	v_sub_nc_u32_e32 v1, v1, v2
	v_cmp_lt_u32_e64 s7, s20, v1
	v_cmpx_ge_u32_e64 s20, v1
	s_cbranch_execz .LBB955_19
; %bb.18:
	v_add_nc_u32_e32 v1, s22, v13
	v_add_nc_u32_e32 v2, s42, v13
	s_delay_alu instid0(VALU_DEP_2) | instskip(NEXT) | instid1(VALU_DEP_2)
	v_mul_lo_u32 v1, v1, s21
	v_mul_lo_u32 v2, v2, s23
	s_delay_alu instid0(VALU_DEP_1) | instskip(NEXT) | instid1(VALU_DEP_1)
	v_sub_nc_u32_e32 v1, v1, v2
	v_cmp_lt_u32_e64 s8, s43, v1
	s_and_b32 s49, s8, exec_lo
.LBB955_19:
	;; [unrolled: 47-line block ×5, first 2 shown]
	s_or_b32 exec_lo, exec_lo, s57
	v_cndmask_b32_e64 v2, 0, 1, s2
	s_wait_alu 0xf1ff
	v_cndmask_b32_e64 v4, 0, 1, s4
	s_wait_alu 0xfffd
	v_cndmask_b32_e64 v1, 0, 1, vcc_lo
	v_cndmask_b32_e64 v3, 0, 1, s3
	v_cndmask_b32_e64 v6, 0, 1, s6
	v_lshlrev_b16 v2, 8, v2
	v_lshlrev_b16 v4, 8, v4
	v_cndmask_b32_e64 v8, 0, 1, s8
	v_cndmask_b32_e64 v22, 0, 1, s10
	;; [unrolled: 1-line block ×3, first 2 shown]
	v_or_b32_e32 v1, v1, v2
	v_or_b32_e32 v2, v3, v4
	v_cndmask_b32_e64 v51, 0, 1, s41
	v_cndmask_b32_e64 v5, 0, 1, s5
	;; [unrolled: 1-line block ×3, first 2 shown]
	v_and_b32_e32 v1, 0xffff, v1
	v_lshlrev_b32_e32 v2, 16, v2
	v_cndmask_b32_e64 v21, 0, 1, s9
	v_cndmask_b32_e64 v23, 0, 1, s11
	;; [unrolled: 1-line block ×8, first 2 shown]
	v_or_b32_e32 v42, v1, v2
	v_lshlrev_b16 v1, 8, v6
	v_lshlrev_b16 v2, 8, v8
	;; [unrolled: 1-line block ×5, first 2 shown]
	v_cndmask_b32_e64 v26, 0, 1, s53
	v_cndmask_b32_e64 v44, 0, 1, s50
	;; [unrolled: 1-line block ×5, first 2 shown]
	v_or_b32_e32 v1, v5, v1
	v_or_b32_e32 v2, v7, v2
	;; [unrolled: 1-line block ×5, first 2 shown]
	v_lshlrev_b16 v4, 8, v4
	v_lshlrev_b16 v8, 8, v49
	;; [unrolled: 1-line block ×5, first 2 shown]
	v_or_b32_e32 v4, v50, v4
	v_or_b32_e32 v3, v3, v8
	;; [unrolled: 1-line block ×5, first 2 shown]
	v_and_b32_e32 v1, 0xffff, v1
	v_lshlrev_b32_e32 v2, 16, v2
	v_and_b32_e32 v5, 0xffff, v5
	v_lshlrev_b32_e32 v6, 16, v6
	;; [unrolled: 2-line block ×5, first 2 shown]
	v_cndmask_b32_e64 v45, 0, 1, s54
	v_cndmask_b32_e64 v48, 0, 1, s56
	v_or_b32_e32 v44, v1, v2
	v_or_b32_e32 v47, v5, v6
	;; [unrolled: 1-line block ×5, first 2 shown]
	s_load_b64 s[4:5], s[0:1], 0x78
	s_and_b32 vcc_lo, exec_lo, s51
	s_wait_alu 0xfffe
	s_cbranch_vccnz .LBB955_33
	s_branch .LBB955_110
.LBB955_32:
                                        ; implicit-def: $vgpr48
                                        ; implicit-def: $vgpr45
                                        ; implicit-def: $vgpr46
                                        ; implicit-def: $vgpr43
                                        ; implicit-def: $vgpr49
                                        ; implicit-def: $vgpr47
                                        ; implicit-def: $vgpr44
                                        ; implicit-def: $vgpr42
	s_load_b64 s[4:5], s[0:1], 0x78
	s_cbranch_execz .LBB955_110
.LBB955_33:
	v_dual_mov_b32 v2, 0 :: v_dual_mov_b32 v1, 0
	s_mov_b32 s1, exec_lo
	v_cmpx_gt_u32_e64 s33, v41
	s_cbranch_execz .LBB955_37
; %bb.34:
	v_add_nc_u32_e32 v1, s17, v19
	v_add_nc_u32_e32 v2, s19, v19
	s_mov_b32 s3, 0
	s_mov_b32 s2, exec_lo
	s_delay_alu instid0(VALU_DEP_2) | instskip(NEXT) | instid1(VALU_DEP_2)
	v_mul_lo_u32 v1, v1, s16
	v_mul_lo_u32 v2, v2, s18
	s_delay_alu instid0(VALU_DEP_1) | instskip(NEXT) | instid1(VALU_DEP_1)
	v_sub_nc_u32_e32 v1, v1, v2
	v_cmp_lt_u32_e32 vcc_lo, s20, v1
	v_cmpx_ge_u32_e64 s20, v1
	s_cbranch_execz .LBB955_36
; %bb.35:
	v_add_nc_u32_e32 v1, s22, v19
	v_add_nc_u32_e32 v2, s42, v19
	s_delay_alu instid0(VALU_DEP_2) | instskip(NEXT) | instid1(VALU_DEP_2)
	v_mul_lo_u32 v1, v1, s21
	v_mul_lo_u32 v2, v2, s23
	s_delay_alu instid0(VALU_DEP_1) | instskip(NEXT) | instid1(VALU_DEP_1)
	v_sub_nc_u32_e32 v1, v1, v2
	v_cmp_lt_u32_e64 s0, s43, v1
	s_and_b32 s3, s0, exec_lo
.LBB955_36:
	s_wait_alu 0xfffe
	s_or_b32 exec_lo, exec_lo, s2
	v_cndmask_b32_e64 v2, 0, 1, s3
	s_wait_alu 0xfffd
	v_cndmask_b32_e64 v1, 0, 1, vcc_lo
.LBB955_37:
	s_or_b32 exec_lo, exec_lo, s1
	s_delay_alu instid0(VALU_DEP_2) | instskip(SKIP_1) | instid1(VALU_DEP_3)
	v_lshlrev_b16 v2, 8, v2
	v_add_nc_u32_e32 v3, 1, v41
	v_and_b32_e32 v6, 0xff, v1
	v_lshlrev_b16 v1, 8, 0
                                        ; implicit-def: $vgpr5
                                        ; implicit-def: $vgpr8
                                        ; implicit-def: $vgpr4
	s_delay_alu instid0(VALU_DEP_4) | instskip(NEXT) | instid1(VALU_DEP_4)
	v_and_b32_e32 v2, 0xffff, v2
	v_cmp_le_u32_e32 vcc_lo, s33, v3
                                        ; implicit-def: $vgpr3
	s_delay_alu instid0(VALU_DEP_2) | instskip(SKIP_2) | instid1(SALU_CYCLE_1)
	v_lshrrev_b32_e32 v21, 8, v2
	v_and_b32_e32 v7, 0xff, v2
                                        ; implicit-def: $vgpr2
	s_and_saveexec_b32 s0, vcc_lo
	s_xor_b32 s0, exec_lo, s0
	s_cbranch_execz .LBB955_39
; %bb.38:
	v_lshlrev_b16 v2, 8, v21
	v_and_b32_e32 v4, 0xffff, v1
                                        ; implicit-def: $vgpr21
	v_mov_b32_e32 v5, 0
	s_delay_alu instid0(VALU_DEP_3) | instskip(SKIP_1) | instid1(VALU_DEP_2)
	v_or_b32_e32 v3, v7, v2
	v_mov_b32_e32 v2, 0
                                        ; implicit-def: $vgpr7
	v_and_b32_e32 v8, 0xffff, v3
	v_and_b32_e32 v3, 0xffff, v1
                                        ; implicit-def: $vgpr1
.LBB955_39:
	s_and_not1_saveexec_b32 s1, s0
	s_cbranch_execz .LBB955_43
; %bb.40:
	v_add_nc_u32_e32 v2, s17, v20
	v_add_nc_u32_e32 v3, s19, v20
	s_mov_b32 s2, 0
	s_mov_b32 s3, exec_lo
	s_delay_alu instid0(VALU_DEP_2) | instskip(NEXT) | instid1(VALU_DEP_2)
	v_mul_lo_u32 v2, v2, s16
	v_mul_lo_u32 v3, v3, s18
	s_delay_alu instid0(VALU_DEP_1) | instskip(NEXT) | instid1(VALU_DEP_1)
	v_sub_nc_u32_e32 v2, v2, v3
	v_cmp_lt_u32_e32 vcc_lo, s20, v2
	v_cmpx_ge_u32_e64 s20, v2
	s_cbranch_execz .LBB955_42
; %bb.41:
	v_add_nc_u32_e32 v2, s22, v20
	v_add_nc_u32_e32 v3, s42, v20
	s_delay_alu instid0(VALU_DEP_2) | instskip(NEXT) | instid1(VALU_DEP_2)
	v_mul_lo_u32 v2, v2, s21
	v_mul_lo_u32 v3, v3, s23
	s_delay_alu instid0(VALU_DEP_1) | instskip(NEXT) | instid1(VALU_DEP_1)
	v_sub_nc_u32_e32 v2, v2, v3
	v_cmp_lt_u32_e64 s0, s43, v2
	s_and_b32 s2, s0, exec_lo
.LBB955_42:
	s_wait_alu 0xfffe
	s_or_b32 exec_lo, exec_lo, s3
	s_wait_alu 0xfffd
	v_cndmask_b32_e64 v2, 0, 1, vcc_lo
	v_lshlrev_b16 v3, 8, v21
	v_dual_mov_b32 v5, 0 :: v_dual_and_b32 v4, 0xffff, v1
	s_delay_alu instid0(VALU_DEP_3) | instskip(NEXT) | instid1(VALU_DEP_3)
	v_lshlrev_b16 v2, 8, v2
	v_or_b32_e32 v3, v7, v3
	v_cndmask_b32_e64 v7, 0, 1, s2
	s_delay_alu instid0(VALU_DEP_3) | instskip(NEXT) | instid1(VALU_DEP_3)
	v_or_b32_e32 v6, v6, v2
	v_dual_mov_b32 v2, 0 :: v_dual_and_b32 v3, 0xffff, v3
	s_delay_alu instid0(VALU_DEP_2) | instskip(NEXT) | instid1(VALU_DEP_2)
	v_and_b32_e32 v6, 0xffff, v6
	v_lshl_or_b32 v8, v7, 16, v3
	v_and_b32_e32 v3, 0xffff, v1
.LBB955_43:
	s_or_b32 exec_lo, exec_lo, s1
	v_add_nc_u32_e32 v1, 2, v41
	v_and_b32_e32 v21, 0xff, v6
	v_lshrrev_b32_e32 v22, 8, v6
                                        ; implicit-def: $vgpr7
	s_delay_alu instid0(VALU_DEP_3) | instskip(SKIP_1) | instid1(SALU_CYCLE_1)
	v_cmp_le_u32_e32 vcc_lo, s33, v1
                                        ; implicit-def: $vgpr1
	s_and_saveexec_b32 s0, vcc_lo
	s_xor_b32 s0, exec_lo, s0
	s_cbranch_execz .LBB955_45
; %bb.44:
	v_lshlrev_b16 v1, 8, v22
	v_perm_b32 v4, v4, v4, 0x3060504
                                        ; implicit-def: $vgpr22
	s_delay_alu instid0(VALU_DEP_2) | instskip(SKIP_1) | instid1(VALU_DEP_2)
	v_or_b32_e32 v1, v21, v1
	v_and_b32_e32 v21, 0xff0000, v8
	v_and_b32_e32 v1, 0xffff, v1
	s_delay_alu instid0(VALU_DEP_1) | instskip(NEXT) | instid1(VALU_DEP_3)
	v_and_or_b32 v7, 0xff000000, v6, v1
	v_perm_b32 v1, v8, v21, 0x3020504
                                        ; implicit-def: $vgpr21
                                        ; implicit-def: $vgpr6
                                        ; implicit-def: $vgpr8
.LBB955_45:
	s_and_not1_saveexec_b32 s1, s0
	s_cbranch_execz .LBB955_49
; %bb.46:
	v_add_nc_u32_e32 v1, s17, v17
	v_add_nc_u32_e32 v7, s19, v17
	s_mov_b32 s2, 0
	s_mov_b32 s3, exec_lo
	s_delay_alu instid0(VALU_DEP_2) | instskip(NEXT) | instid1(VALU_DEP_2)
	v_mul_lo_u32 v1, v1, s16
	v_mul_lo_u32 v7, v7, s18
	s_delay_alu instid0(VALU_DEP_1) | instskip(NEXT) | instid1(VALU_DEP_1)
	v_sub_nc_u32_e32 v1, v1, v7
	v_cmp_lt_u32_e32 vcc_lo, s20, v1
	v_cmpx_ge_u32_e64 s20, v1
	s_cbranch_execz .LBB955_48
; %bb.47:
	v_add_nc_u32_e32 v1, s22, v17
	v_add_nc_u32_e32 v7, s42, v17
	s_delay_alu instid0(VALU_DEP_2) | instskip(NEXT) | instid1(VALU_DEP_2)
	v_mul_lo_u32 v1, v1, s21
	v_mul_lo_u32 v7, v7, s23
	s_delay_alu instid0(VALU_DEP_1) | instskip(NEXT) | instid1(VALU_DEP_1)
	v_sub_nc_u32_e32 v1, v1, v7
	v_cmp_lt_u32_e64 s0, s43, v1
	s_and_b32 s2, s0, exec_lo
.LBB955_48:
	s_wait_alu 0xfffe
	s_or_b32 exec_lo, exec_lo, s3
	v_lshrrev_b32_e32 v6, 24, v6
	v_cndmask_b32_e64 v7, 0, 1, s2
	v_lshrrev_b32_e32 v23, 8, v8
	v_lshrrev_b32_e32 v24, 16, v8
	s_wait_alu 0xfffd
	v_cndmask_b32_e64 v1, 0, 1, vcc_lo
	v_lshlrev_b16 v22, 8, v22
	v_lshlrev_b16 v6, 8, v6
	v_and_b32_e32 v8, 0xff, v8
	v_lshlrev_b16 v23, 8, v23
	v_lshlrev_b16 v7, 8, v7
	v_and_b32_e32 v24, 0xff, v24
	v_or_b32_e32 v21, v21, v22
	v_or_b32_e32 v1, v1, v6
	;; [unrolled: 1-line block ×3, first 2 shown]
	s_delay_alu instid0(VALU_DEP_4) | instskip(NEXT) | instid1(VALU_DEP_4)
	v_or_b32_e32 v7, v24, v7
	v_and_b32_e32 v8, 0xffff, v21
	s_delay_alu instid0(VALU_DEP_4) | instskip(NEXT) | instid1(VALU_DEP_4)
	v_lshlrev_b32_e32 v1, 16, v1
	v_and_b32_e32 v6, 0xffff, v6
	s_delay_alu instid0(VALU_DEP_4) | instskip(NEXT) | instid1(VALU_DEP_3)
	v_lshlrev_b32_e32 v21, 16, v7
	v_or_b32_e32 v7, v8, v1
	s_delay_alu instid0(VALU_DEP_2)
	v_or_b32_e32 v1, v6, v21
.LBB955_49:
	s_or_b32 exec_lo, exec_lo, s1
	v_add_nc_u32_e32 v6, 3, v41
	v_lshrrev_b32_e32 v8, 24, v5
	v_lshrrev_b32_e32 v21, 16, v5
	;; [unrolled: 1-line block ×3, first 2 shown]
                                        ; implicit-def: $vgpr42
	s_delay_alu instid0(VALU_DEP_4) | instskip(SKIP_1) | instid1(SALU_CYCLE_1)
	v_cmp_le_u32_e32 vcc_lo, s33, v6
                                        ; implicit-def: $vgpr6
	s_and_saveexec_b32 s0, vcc_lo
	s_xor_b32 s0, exec_lo, s0
	s_cbranch_execz .LBB955_51
; %bb.50:
	v_lshlrev_b16 v6, 8, v8
	v_and_b32_e32 v8, 0xff, v21
	v_lshlrev_b16 v5, 8, v5
	v_perm_b32 v4, v4, v4, 0x3060504
	v_perm_b32 v3, v3, v3, 0x3060504
                                        ; implicit-def: $vgpr21
	s_delay_alu instid0(VALU_DEP_4) | instskip(SKIP_2) | instid1(VALU_DEP_3)
	v_or_b32_e32 v6, v8, v6
	v_and_b32_e32 v8, 0xff0000, v7
	v_and_b32_e32 v5, 0xffff, v5
	v_lshlrev_b32_e32 v6, 16, v6
	s_delay_alu instid0(VALU_DEP_3) | instskip(NEXT) | instid1(VALU_DEP_2)
	v_perm_b32 v42, v7, v8, 0x3020504
                                        ; implicit-def: $vgpr7
                                        ; implicit-def: $vgpr8
	v_or_b32_e32 v6, v5, v6
                                        ; implicit-def: $vgpr5
.LBB955_51:
	s_and_not1_saveexec_b32 s1, s0
	s_cbranch_execz .LBB955_55
; %bb.52:
	v_add_nc_u32_e32 v6, s17, v18
	v_add_nc_u32_e32 v22, s19, v18
	s_mov_b32 s2, 0
	s_mov_b32 s3, exec_lo
	s_delay_alu instid0(VALU_DEP_2) | instskip(NEXT) | instid1(VALU_DEP_2)
	v_mul_lo_u32 v6, v6, s16
	v_mul_lo_u32 v22, v22, s18
	s_delay_alu instid0(VALU_DEP_1) | instskip(NEXT) | instid1(VALU_DEP_1)
	v_sub_nc_u32_e32 v6, v6, v22
	v_cmp_lt_u32_e32 vcc_lo, s20, v6
	v_cmpx_ge_u32_e64 s20, v6
	s_cbranch_execz .LBB955_54
; %bb.53:
	v_add_nc_u32_e32 v6, s22, v18
	v_add_nc_u32_e32 v22, s42, v18
	s_delay_alu instid0(VALU_DEP_2) | instskip(NEXT) | instid1(VALU_DEP_2)
	v_mul_lo_u32 v6, v6, s21
	v_mul_lo_u32 v22, v22, s23
	s_delay_alu instid0(VALU_DEP_1) | instskip(NEXT) | instid1(VALU_DEP_1)
	v_sub_nc_u32_e32 v6, v6, v22
	v_cmp_lt_u32_e64 s0, s43, v6
	s_and_b32 s2, s0, exec_lo
.LBB955_54:
	s_wait_alu 0xfffe
	s_or_b32 exec_lo, exec_lo, s3
	v_lshrrev_b32_e32 v6, 8, v7
	s_wait_alu 0xfffd
	v_cndmask_b32_e64 v22, 0, 1, vcc_lo
	v_lshrrev_b32_e32 v23, 16, v7
	v_cndmask_b32_e64 v24, 0, 1, s2
	v_and_b32_e32 v7, 0xff, v7
	v_lshlrev_b16 v6, 8, v6
	v_lshlrev_b16 v22, 8, v22
	v_and_b32_e32 v23, 0xff, v23
	v_lshlrev_b16 v8, 8, v8
	v_and_b32_e32 v21, 0xff, v21
	v_lshlrev_b16 v5, 8, v5
	v_or_b32_e32 v6, v7, v6
	v_or_b32_e32 v7, v23, v22
	s_delay_alu instid0(VALU_DEP_4) | instskip(NEXT) | instid1(VALU_DEP_4)
	v_or_b32_e32 v8, v21, v8
	v_or_b32_e32 v5, v24, v5
	s_delay_alu instid0(VALU_DEP_4) | instskip(NEXT) | instid1(VALU_DEP_4)
	v_and_b32_e32 v6, 0xffff, v6
	v_lshlrev_b32_e32 v7, 16, v7
	s_delay_alu instid0(VALU_DEP_4) | instskip(NEXT) | instid1(VALU_DEP_4)
	v_lshlrev_b32_e32 v8, 16, v8
	v_and_b32_e32 v5, 0xffff, v5
	s_delay_alu instid0(VALU_DEP_3) | instskip(NEXT) | instid1(VALU_DEP_2)
	v_or_b32_e32 v42, v6, v7
	v_or_b32_e32 v6, v5, v8
.LBB955_55:
	s_or_b32 exec_lo, exec_lo, s1
	v_add_nc_u32_e32 v5, 4, v41
	v_lshrrev_b32_e32 v21, 8, v4
	v_lshrrev_b32_e32 v22, 16, v4
	;; [unrolled: 1-line block ×4, first 2 shown]
	v_cmp_le_u32_e32 vcc_lo, s33, v5
	v_lshrrev_b32_e32 v8, 16, v6
                                        ; implicit-def: $vgpr4
                                        ; implicit-def: $vgpr5
	s_and_saveexec_b32 s0, vcc_lo
	s_delay_alu instid0(SALU_CYCLE_1)
	s_xor_b32 s0, exec_lo, s0
	s_cbranch_execz .LBB955_57
; %bb.56:
	v_lshlrev_b16 v4, 8, v23
	v_and_b32_e32 v5, 0xff, v22
	v_lshlrev_b16 v21, 8, v21
	v_lshlrev_b16 v7, 8, v7
	v_and_b32_e32 v8, 0xff, v8
	v_perm_b32 v3, v3, v3, 0x3060504
	v_or_b32_e32 v4, v5, v4
	v_and_b32_e32 v5, 0xffff, v21
                                        ; implicit-def: $vgpr21
                                        ; implicit-def: $vgpr22
                                        ; implicit-def: $vgpr23
	s_delay_alu instid0(VALU_DEP_4) | instskip(NEXT) | instid1(VALU_DEP_3)
	v_or_b32_e32 v7, v8, v7
	v_lshlrev_b32_e32 v8, 16, v4
	s_delay_alu instid0(VALU_DEP_2) | instskip(NEXT) | instid1(VALU_DEP_2)
	v_perm_b32 v4, v7, v6, 0x5040c00
                                        ; implicit-def: $vgpr6
                                        ; implicit-def: $vgpr7
	v_or_b32_e32 v5, v5, v8
                                        ; implicit-def: $vgpr8
.LBB955_57:
	s_and_not1_saveexec_b32 s1, s0
	s_cbranch_execz .LBB955_61
; %bb.58:
	v_add_nc_u32_e32 v4, s17, v15
	v_add_nc_u32_e32 v5, s19, v15
	s_mov_b32 s2, 0
	s_mov_b32 s3, exec_lo
	s_delay_alu instid0(VALU_DEP_2) | instskip(NEXT) | instid1(VALU_DEP_2)
	v_mul_lo_u32 v4, v4, s16
	v_mul_lo_u32 v5, v5, s18
	s_delay_alu instid0(VALU_DEP_1) | instskip(NEXT) | instid1(VALU_DEP_1)
	v_sub_nc_u32_e32 v4, v4, v5
	v_cmp_lt_u32_e32 vcc_lo, s20, v4
	v_cmpx_ge_u32_e64 s20, v4
	s_cbranch_execz .LBB955_60
; %bb.59:
	v_add_nc_u32_e32 v4, s22, v15
	v_add_nc_u32_e32 v5, s42, v15
	s_delay_alu instid0(VALU_DEP_2) | instskip(NEXT) | instid1(VALU_DEP_2)
	v_mul_lo_u32 v4, v4, s21
	v_mul_lo_u32 v5, v5, s23
	s_delay_alu instid0(VALU_DEP_1) | instskip(NEXT) | instid1(VALU_DEP_1)
	v_sub_nc_u32_e32 v4, v4, v5
	v_cmp_lt_u32_e64 s0, s43, v4
	s_and_b32 s2, s0, exec_lo
.LBB955_60:
	s_wait_alu 0xfffe
	s_or_b32 exec_lo, exec_lo, s3
	v_cndmask_b32_e64 v4, 0, 1, s2
	s_wait_alu 0xfffd
	v_cndmask_b32_e64 v5, 0, 1, vcc_lo
	v_lshlrev_b16 v23, 8, v23
	v_and_b32_e32 v22, 0xff, v22
	v_lshlrev_b16 v21, 8, v21
	v_lshlrev_b16 v4, 8, v4
	v_and_b32_e32 v6, 0xff, v6
	v_lshlrev_b16 v7, 8, v7
	v_and_b32_e32 v8, 0xff, v8
	v_or_b32_e32 v22, v22, v23
	v_or_b32_e32 v5, v5, v21
	v_or_b32_e32 v4, v6, v4
	s_delay_alu instid0(VALU_DEP_4) | instskip(NEXT) | instid1(VALU_DEP_4)
	v_or_b32_e32 v6, v8, v7
	v_lshlrev_b32_e32 v7, 16, v22
	s_delay_alu instid0(VALU_DEP_4) | instskip(NEXT) | instid1(VALU_DEP_4)
	v_and_b32_e32 v5, 0xffff, v5
	v_and_b32_e32 v4, 0xffff, v4
	s_delay_alu instid0(VALU_DEP_4) | instskip(NEXT) | instid1(VALU_DEP_3)
	v_lshlrev_b32_e32 v6, 16, v6
	v_or_b32_e32 v5, v5, v7
	s_delay_alu instid0(VALU_DEP_2)
	v_or_b32_e32 v4, v4, v6
.LBB955_61:
	s_or_b32 exec_lo, exec_lo, s1
	v_add_nc_u32_e32 v6, 5, v41
	s_delay_alu instid0(VALU_DEP_2)
	v_lshrrev_b32_e32 v21, 16, v5
	v_lshrrev_b32_e32 v23, 24, v5
	v_and_b32_e32 v8, 0xff, v4
	v_lshrrev_b32_e32 v22, 8, v4
	v_cmp_le_u32_e32 vcc_lo, s33, v6
                                        ; implicit-def: $vgpr6
                                        ; implicit-def: $vgpr7
	s_and_saveexec_b32 s0, vcc_lo
	s_delay_alu instid0(SALU_CYCLE_1)
	s_xor_b32 s0, exec_lo, s0
	s_cbranch_execz .LBB955_63
; %bb.62:
	v_lshlrev_b16 v6, 8, v22
	v_lshlrev_b16 v7, 8, v23
	v_and_b32_e32 v21, 0xff, v21
	v_perm_b32 v3, v3, v3, 0x3060504
                                        ; implicit-def: $vgpr23
                                        ; implicit-def: $vgpr22
	s_delay_alu instid0(VALU_DEP_4) | instskip(NEXT) | instid1(VALU_DEP_3)
	v_or_b32_e32 v6, v8, v6
                                        ; implicit-def: $vgpr8
	v_or_b32_e32 v7, v21, v7
                                        ; implicit-def: $vgpr21
	s_delay_alu instid0(VALU_DEP_2) | instskip(NEXT) | instid1(VALU_DEP_2)
	v_and_b32_e32 v6, 0xffff, v6
	v_perm_b32 v7, v7, v5, 0x5040c00
                                        ; implicit-def: $vgpr5
	s_delay_alu instid0(VALU_DEP_2)
	v_and_or_b32 v6, 0xff000000, v4, v6
                                        ; implicit-def: $vgpr4
.LBB955_63:
	s_and_not1_saveexec_b32 s1, s0
	s_cbranch_execz .LBB955_67
; %bb.64:
	v_add_nc_u32_e32 v6, s17, v16
	v_add_nc_u32_e32 v7, s19, v16
	s_mov_b32 s2, 0
	s_mov_b32 s3, exec_lo
	s_delay_alu instid0(VALU_DEP_2) | instskip(NEXT) | instid1(VALU_DEP_2)
	v_mul_lo_u32 v6, v6, s16
	v_mul_lo_u32 v7, v7, s18
	s_delay_alu instid0(VALU_DEP_1) | instskip(NEXT) | instid1(VALU_DEP_1)
	v_sub_nc_u32_e32 v6, v6, v7
	v_cmp_lt_u32_e32 vcc_lo, s20, v6
	v_cmpx_ge_u32_e64 s20, v6
	s_cbranch_execz .LBB955_66
; %bb.65:
	v_add_nc_u32_e32 v6, s22, v16
	v_add_nc_u32_e32 v7, s42, v16
	s_delay_alu instid0(VALU_DEP_2) | instskip(NEXT) | instid1(VALU_DEP_2)
	v_mul_lo_u32 v6, v6, s21
	v_mul_lo_u32 v7, v7, s23
	s_delay_alu instid0(VALU_DEP_1) | instskip(NEXT) | instid1(VALU_DEP_1)
	v_sub_nc_u32_e32 v6, v6, v7
	v_cmp_lt_u32_e64 s0, s43, v6
	s_and_b32 s2, s0, exec_lo
.LBB955_66:
	s_wait_alu 0xfffe
	s_or_b32 exec_lo, exec_lo, s3
	s_wait_alu 0xfffd
	v_cndmask_b32_e64 v6, 0, 1, vcc_lo
	v_lshrrev_b32_e32 v4, 24, v4
	v_cndmask_b32_e64 v7, 0, 1, s2
	v_lshlrev_b16 v23, 8, v23
	v_and_b32_e32 v21, 0xff, v21
	v_lshlrev_b16 v6, 8, v6
	v_lshlrev_b16 v22, 8, v22
	v_and_b32_e32 v5, 0xff, v5
	v_lshlrev_b16 v4, 8, v4
	v_or_b32_e32 v21, v21, v23
	s_delay_alu instid0(VALU_DEP_4) | instskip(NEXT) | instid1(VALU_DEP_4)
	v_or_b32_e32 v8, v8, v22
	v_or_b32_e32 v5, v5, v6
	s_delay_alu instid0(VALU_DEP_4) | instskip(NEXT) | instid1(VALU_DEP_4)
	v_or_b32_e32 v4, v7, v4
	v_lshlrev_b32_e32 v6, 16, v21
	s_delay_alu instid0(VALU_DEP_4) | instskip(NEXT) | instid1(VALU_DEP_4)
	v_and_b32_e32 v8, 0xffff, v8
	v_and_b32_e32 v5, 0xffff, v5
	s_delay_alu instid0(VALU_DEP_4) | instskip(NEXT) | instid1(VALU_DEP_2)
	v_lshlrev_b32_e32 v4, 16, v4
	v_or_b32_e32 v7, v5, v6
	s_delay_alu instid0(VALU_DEP_2)
	v_or_b32_e32 v6, v8, v4
.LBB955_67:
	s_or_b32 exec_lo, exec_lo, s1
	v_add_nc_u32_e32 v4, 6, v41
	s_delay_alu instid0(VALU_DEP_3) | instskip(NEXT) | instid1(VALU_DEP_2)
	v_lshrrev_b32_e32 v8, 8, v7
                                        ; implicit-def: $vgpr43
                                        ; implicit-def: $vgpr5
	v_cmp_le_u32_e32 vcc_lo, s33, v4
	v_and_b32_e32 v4, 0xff, v7
	s_and_saveexec_b32 s0, vcc_lo
	s_delay_alu instid0(SALU_CYCLE_1)
	s_xor_b32 s0, exec_lo, s0
	s_cbranch_execz .LBB955_69
; %bb.68:
	v_lshlrev_b16 v5, 8, v8
	v_perm_b32 v3, v3, v3, 0x3060504
                                        ; implicit-def: $vgpr8
	s_delay_alu instid0(VALU_DEP_2) | instskip(SKIP_1) | instid1(VALU_DEP_2)
	v_or_b32_e32 v4, v4, v5
	v_and_b32_e32 v5, 0xff0000, v6
	v_and_b32_e32 v4, 0xffff, v4
	s_delay_alu instid0(VALU_DEP_2) | instskip(NEXT) | instid1(VALU_DEP_2)
	v_perm_b32 v43, v6, v5, 0x3020504
                                        ; implicit-def: $vgpr6
	v_and_or_b32 v5, 0xff000000, v7, v4
                                        ; implicit-def: $vgpr4
                                        ; implicit-def: $vgpr7
.LBB955_69:
	s_and_not1_saveexec_b32 s1, s0
	s_cbranch_execz .LBB955_73
; %bb.70:
	v_add_nc_u32_e32 v5, s17, v13
	v_add_nc_u32_e32 v21, s19, v13
	s_mov_b32 s2, 0
	s_mov_b32 s3, exec_lo
	s_delay_alu instid0(VALU_DEP_2) | instskip(NEXT) | instid1(VALU_DEP_2)
	v_mul_lo_u32 v5, v5, s16
	v_mul_lo_u32 v21, v21, s18
	s_delay_alu instid0(VALU_DEP_1) | instskip(NEXT) | instid1(VALU_DEP_1)
	v_sub_nc_u32_e32 v5, v5, v21
	v_cmp_lt_u32_e32 vcc_lo, s20, v5
	v_cmpx_ge_u32_e64 s20, v5
	s_cbranch_execz .LBB955_72
; %bb.71:
	v_add_nc_u32_e32 v5, s22, v13
	v_add_nc_u32_e32 v21, s42, v13
	s_delay_alu instid0(VALU_DEP_2) | instskip(NEXT) | instid1(VALU_DEP_2)
	v_mul_lo_u32 v5, v5, s21
	v_mul_lo_u32 v21, v21, s23
	s_delay_alu instid0(VALU_DEP_1) | instskip(NEXT) | instid1(VALU_DEP_1)
	v_sub_nc_u32_e32 v5, v5, v21
	v_cmp_lt_u32_e64 s0, s43, v5
	s_and_b32 s2, s0, exec_lo
.LBB955_72:
	s_wait_alu 0xfffe
	s_or_b32 exec_lo, exec_lo, s3
	v_lshrrev_b32_e32 v7, 24, v7
	v_cndmask_b32_e64 v21, 0, 1, s2
	v_lshrrev_b32_e32 v22, 8, v6
	v_lshrrev_b32_e32 v23, 16, v6
	s_wait_alu 0xfffd
	v_cndmask_b32_e64 v5, 0, 1, vcc_lo
	v_lshlrev_b16 v8, 8, v8
	v_lshlrev_b16 v7, 8, v7
	v_and_b32_e32 v6, 0xff, v6
	v_lshlrev_b16 v22, 8, v22
	v_lshlrev_b16 v21, 8, v21
	v_and_b32_e32 v23, 0xff, v23
	v_or_b32_e32 v4, v4, v8
	v_or_b32_e32 v5, v5, v7
	;; [unrolled: 1-line block ×3, first 2 shown]
	s_delay_alu instid0(VALU_DEP_4) | instskip(NEXT) | instid1(VALU_DEP_4)
	v_or_b32_e32 v7, v23, v21
	v_and_b32_e32 v4, 0xffff, v4
	s_delay_alu instid0(VALU_DEP_4) | instskip(NEXT) | instid1(VALU_DEP_4)
	v_lshlrev_b32_e32 v5, 16, v5
	v_and_b32_e32 v6, 0xffff, v6
	s_delay_alu instid0(VALU_DEP_4) | instskip(NEXT) | instid1(VALU_DEP_3)
	v_lshlrev_b32_e32 v7, 16, v7
	v_or_b32_e32 v5, v4, v5
	s_delay_alu instid0(VALU_DEP_2)
	v_or_b32_e32 v43, v6, v7
.LBB955_73:
	s_or_b32 exec_lo, exec_lo, s1
	v_add_nc_u32_e32 v4, 7, v41
	v_lshrrev_b32_e32 v6, 8, v3
	v_lshrrev_b32_e32 v7, 16, v3
	;; [unrolled: 1-line block ×3, first 2 shown]
                                        ; implicit-def: $vgpr44
	s_delay_alu instid0(VALU_DEP_4) | instskip(SKIP_1) | instid1(SALU_CYCLE_1)
	v_cmp_le_u32_e32 vcc_lo, s33, v4
                                        ; implicit-def: $vgpr4
	s_and_saveexec_b32 s0, vcc_lo
	s_xor_b32 s0, exec_lo, s0
	s_cbranch_execz .LBB955_75
; %bb.74:
	v_lshlrev_b16 v3, 8, v3
	v_and_b32_e32 v4, 0xff, v7
                                        ; implicit-def: $vgpr7
	s_delay_alu instid0(VALU_DEP_1) | instskip(SKIP_2) | instid1(VALU_DEP_3)
	v_or_b32_e32 v3, v4, v3
	v_lshlrev_b16 v4, 8, v6
	v_and_b32_e32 v6, 0xff0000, v5
	v_lshlrev_b32_e32 v3, 16, v3
	s_delay_alu instid0(VALU_DEP_3) | instskip(NEXT) | instid1(VALU_DEP_3)
	v_and_b32_e32 v4, 0xffff, v4
	v_perm_b32 v44, v5, v6, 0x3020504
                                        ; implicit-def: $vgpr5
                                        ; implicit-def: $vgpr6
	s_delay_alu instid0(VALU_DEP_2)
	v_or_b32_e32 v4, v4, v3
                                        ; implicit-def: $vgpr3
.LBB955_75:
	s_and_not1_saveexec_b32 s1, s0
	s_cbranch_execz .LBB955_79
; %bb.76:
	v_add_nc_u32_e32 v4, s17, v14
	v_add_nc_u32_e32 v8, s19, v14
	s_mov_b32 s2, 0
	s_mov_b32 s3, exec_lo
	s_delay_alu instid0(VALU_DEP_2) | instskip(NEXT) | instid1(VALU_DEP_2)
	v_mul_lo_u32 v4, v4, s16
	v_mul_lo_u32 v8, v8, s18
	s_delay_alu instid0(VALU_DEP_1) | instskip(NEXT) | instid1(VALU_DEP_1)
	v_sub_nc_u32_e32 v4, v4, v8
	v_cmp_lt_u32_e32 vcc_lo, s20, v4
	v_cmpx_ge_u32_e64 s20, v4
	s_cbranch_execz .LBB955_78
; %bb.77:
	v_add_nc_u32_e32 v4, s22, v14
	v_add_nc_u32_e32 v8, s42, v14
	s_delay_alu instid0(VALU_DEP_2) | instskip(NEXT) | instid1(VALU_DEP_2)
	v_mul_lo_u32 v4, v4, s21
	v_mul_lo_u32 v8, v8, s23
	s_delay_alu instid0(VALU_DEP_1) | instskip(NEXT) | instid1(VALU_DEP_1)
	v_sub_nc_u32_e32 v4, v4, v8
	v_cmp_lt_u32_e64 s0, s43, v4
	s_and_b32 s2, s0, exec_lo
.LBB955_78:
	s_wait_alu 0xfffe
	s_or_b32 exec_lo, exec_lo, s3
	v_lshrrev_b32_e32 v4, 8, v5
	s_wait_alu 0xfffd
	v_cndmask_b32_e64 v8, 0, 1, vcc_lo
	v_lshrrev_b32_e32 v21, 16, v5
	v_cndmask_b32_e64 v22, 0, 1, s2
	v_and_b32_e32 v5, 0xff, v5
	v_lshlrev_b16 v4, 8, v4
	v_lshlrev_b16 v8, 8, v8
	v_and_b32_e32 v21, 0xff, v21
	v_lshlrev_b16 v3, 8, v3
	v_and_b32_e32 v7, 0xff, v7
	v_lshlrev_b16 v6, 8, v6
	v_or_b32_e32 v4, v5, v4
	v_or_b32_e32 v5, v21, v8
	s_delay_alu instid0(VALU_DEP_4) | instskip(NEXT) | instid1(VALU_DEP_4)
	v_or_b32_e32 v3, v7, v3
	v_or_b32_e32 v6, v22, v6
	s_delay_alu instid0(VALU_DEP_4) | instskip(NEXT) | instid1(VALU_DEP_4)
	v_and_b32_e32 v4, 0xffff, v4
	v_lshlrev_b32_e32 v5, 16, v5
	s_delay_alu instid0(VALU_DEP_4) | instskip(NEXT) | instid1(VALU_DEP_4)
	v_lshlrev_b32_e32 v3, 16, v3
	v_and_b32_e32 v6, 0xffff, v6
	s_delay_alu instid0(VALU_DEP_3) | instskip(NEXT) | instid1(VALU_DEP_2)
	v_or_b32_e32 v44, v4, v5
	v_or_b32_e32 v4, v6, v3
.LBB955_79:
	s_or_b32 exec_lo, exec_lo, s1
	v_add_nc_u32_e32 v3, 8, v41
	s_delay_alu instid0(VALU_DEP_2)
	v_lshrrev_b32_e32 v5, 16, v4
	v_lshrrev_b32_e32 v6, 24, v4
	v_lshrrev_b32_e32 v8, 24, v2
	v_lshrrev_b32_e32 v21, 16, v2
	v_cmp_le_u32_e32 vcc_lo, s33, v3
	v_lshrrev_b32_e32 v7, 8, v2
                                        ; implicit-def: $vgpr2
                                        ; implicit-def: $vgpr3
	s_and_saveexec_b32 s0, vcc_lo
	s_delay_alu instid0(SALU_CYCLE_1)
	s_xor_b32 s0, exec_lo, s0
	s_cbranch_execz .LBB955_81
; %bb.80:
	v_lshlrev_b16 v2, 8, v8
	v_and_b32_e32 v3, 0xff, v21
	v_lshlrev_b16 v7, 8, v7
	v_lshlrev_b16 v6, 8, v6
	v_perm_b32 v1, v1, v1, 0x3060504
                                        ; implicit-def: $vgpr8
                                        ; implicit-def: $vgpr21
	s_delay_alu instid0(VALU_DEP_4) | instskip(SKIP_2) | instid1(VALU_DEP_3)
	v_or_b32_e32 v2, v3, v2
	v_and_b32_e32 v3, 0xff, v5
	v_and_b32_e32 v5, 0xffff, v7
                                        ; implicit-def: $vgpr7
	v_lshlrev_b32_e32 v2, 16, v2
	s_delay_alu instid0(VALU_DEP_3) | instskip(NEXT) | instid1(VALU_DEP_2)
	v_or_b32_e32 v6, v3, v6
	v_or_b32_e32 v3, v5, v2
	s_delay_alu instid0(VALU_DEP_2)
	v_perm_b32 v2, v6, v4, 0x5040c00
                                        ; implicit-def: $vgpr4
                                        ; implicit-def: $vgpr5
                                        ; implicit-def: $vgpr6
.LBB955_81:
	s_and_not1_saveexec_b32 s1, s0
	s_cbranch_execz .LBB955_85
; %bb.82:
	v_add_nc_u32_e32 v2, s17, v11
	v_add_nc_u32_e32 v3, s19, v11
	s_mov_b32 s2, 0
	s_mov_b32 s3, exec_lo
	s_delay_alu instid0(VALU_DEP_2) | instskip(NEXT) | instid1(VALU_DEP_2)
	v_mul_lo_u32 v2, v2, s16
	v_mul_lo_u32 v3, v3, s18
	s_delay_alu instid0(VALU_DEP_1) | instskip(NEXT) | instid1(VALU_DEP_1)
	v_sub_nc_u32_e32 v2, v2, v3
	v_cmp_lt_u32_e32 vcc_lo, s20, v2
	v_cmpx_ge_u32_e64 s20, v2
	s_cbranch_execz .LBB955_84
; %bb.83:
	v_add_nc_u32_e32 v2, s22, v11
	v_add_nc_u32_e32 v3, s42, v11
	s_delay_alu instid0(VALU_DEP_2) | instskip(NEXT) | instid1(VALU_DEP_2)
	v_mul_lo_u32 v2, v2, s21
	v_mul_lo_u32 v3, v3, s23
	s_delay_alu instid0(VALU_DEP_1) | instskip(NEXT) | instid1(VALU_DEP_1)
	v_sub_nc_u32_e32 v2, v2, v3
	v_cmp_lt_u32_e64 s0, s43, v2
	s_and_b32 s2, s0, exec_lo
.LBB955_84:
	s_wait_alu 0xfffe
	s_or_b32 exec_lo, exec_lo, s3
	v_cndmask_b32_e64 v2, 0, 1, s2
	s_wait_alu 0xfffd
	v_cndmask_b32_e64 v3, 0, 1, vcc_lo
	v_lshlrev_b16 v8, 8, v8
	v_and_b32_e32 v21, 0xff, v21
	v_lshlrev_b16 v7, 8, v7
	v_lshlrev_b16 v2, 8, v2
	v_and_b32_e32 v4, 0xff, v4
	v_lshlrev_b16 v6, 8, v6
	v_and_b32_e32 v5, 0xff, v5
	v_or_b32_e32 v8, v21, v8
	v_or_b32_e32 v3, v3, v7
	;; [unrolled: 1-line block ×3, first 2 shown]
	s_delay_alu instid0(VALU_DEP_4) | instskip(NEXT) | instid1(VALU_DEP_4)
	v_or_b32_e32 v4, v5, v6
	v_lshlrev_b32_e32 v5, 16, v8
	s_delay_alu instid0(VALU_DEP_4) | instskip(NEXT) | instid1(VALU_DEP_4)
	v_and_b32_e32 v3, 0xffff, v3
	v_and_b32_e32 v2, 0xffff, v2
	s_delay_alu instid0(VALU_DEP_4) | instskip(NEXT) | instid1(VALU_DEP_3)
	v_lshlrev_b32_e32 v4, 16, v4
	v_or_b32_e32 v3, v3, v5
	s_delay_alu instid0(VALU_DEP_2)
	v_or_b32_e32 v2, v2, v4
.LBB955_85:
	s_or_b32 exec_lo, exec_lo, s1
	v_add_nc_u32_e32 v4, 9, v41
	s_delay_alu instid0(VALU_DEP_2)
	v_lshrrev_b32_e32 v6, 8, v2
	v_lshrrev_b32_e32 v21, 24, v3
	v_lshrrev_b32_e32 v8, 16, v3
	v_and_b32_e32 v7, 0xff, v2
	v_cmp_le_u32_e32 vcc_lo, s33, v4
                                        ; implicit-def: $vgpr4
                                        ; implicit-def: $vgpr5
	s_and_saveexec_b32 s0, vcc_lo
	s_delay_alu instid0(SALU_CYCLE_1)
	s_xor_b32 s0, exec_lo, s0
	s_cbranch_execz .LBB955_87
; %bb.86:
	v_lshlrev_b16 v4, 8, v6
	v_lshlrev_b16 v5, 8, v21
	v_and_b32_e32 v6, 0xff, v8
	v_perm_b32 v1, v1, v1, 0x3060504
                                        ; implicit-def: $vgpr21
                                        ; implicit-def: $vgpr8
	s_delay_alu instid0(VALU_DEP_4) | instskip(NEXT) | instid1(VALU_DEP_3)
	v_or_b32_e32 v4, v7, v4
                                        ; implicit-def: $vgpr7
	v_or_b32_e32 v5, v6, v5
                                        ; implicit-def: $vgpr6
	s_delay_alu instid0(VALU_DEP_2) | instskip(NEXT) | instid1(VALU_DEP_2)
	v_and_b32_e32 v4, 0xffff, v4
	v_perm_b32 v5, v5, v3, 0x5040c00
                                        ; implicit-def: $vgpr3
	s_delay_alu instid0(VALU_DEP_2)
	v_and_or_b32 v4, 0xff000000, v2, v4
                                        ; implicit-def: $vgpr2
.LBB955_87:
	s_and_not1_saveexec_b32 s1, s0
	s_cbranch_execz .LBB955_91
; %bb.88:
	v_add_nc_u32_e32 v4, s17, v12
	v_add_nc_u32_e32 v5, s19, v12
	s_mov_b32 s2, 0
	s_mov_b32 s3, exec_lo
	s_delay_alu instid0(VALU_DEP_2) | instskip(NEXT) | instid1(VALU_DEP_2)
	v_mul_lo_u32 v4, v4, s16
	v_mul_lo_u32 v5, v5, s18
	s_delay_alu instid0(VALU_DEP_1) | instskip(NEXT) | instid1(VALU_DEP_1)
	v_sub_nc_u32_e32 v4, v4, v5
	v_cmp_lt_u32_e32 vcc_lo, s20, v4
	v_cmpx_ge_u32_e64 s20, v4
	s_cbranch_execz .LBB955_90
; %bb.89:
	v_add_nc_u32_e32 v4, s22, v12
	v_add_nc_u32_e32 v5, s42, v12
	s_delay_alu instid0(VALU_DEP_2) | instskip(NEXT) | instid1(VALU_DEP_2)
	v_mul_lo_u32 v4, v4, s21
	v_mul_lo_u32 v5, v5, s23
	s_delay_alu instid0(VALU_DEP_1) | instskip(NEXT) | instid1(VALU_DEP_1)
	v_sub_nc_u32_e32 v4, v4, v5
	v_cmp_lt_u32_e64 s0, s43, v4
	s_and_b32 s2, s0, exec_lo
.LBB955_90:
	s_wait_alu 0xfffe
	s_or_b32 exec_lo, exec_lo, s3
	s_wait_alu 0xfffd
	v_cndmask_b32_e64 v4, 0, 1, vcc_lo
	v_lshrrev_b32_e32 v2, 24, v2
	v_cndmask_b32_e64 v5, 0, 1, s2
	v_lshlrev_b16 v21, 8, v21
	v_and_b32_e32 v8, 0xff, v8
	v_lshlrev_b16 v4, 8, v4
	v_lshlrev_b16 v6, 8, v6
	v_and_b32_e32 v3, 0xff, v3
	v_lshlrev_b16 v2, 8, v2
	v_or_b32_e32 v8, v8, v21
	s_delay_alu instid0(VALU_DEP_4) | instskip(NEXT) | instid1(VALU_DEP_4)
	v_or_b32_e32 v6, v7, v6
	v_or_b32_e32 v3, v3, v4
	s_delay_alu instid0(VALU_DEP_4) | instskip(NEXT) | instid1(VALU_DEP_4)
	v_or_b32_e32 v2, v5, v2
	v_lshlrev_b32_e32 v4, 16, v8
	s_delay_alu instid0(VALU_DEP_4) | instskip(NEXT) | instid1(VALU_DEP_4)
	v_and_b32_e32 v6, 0xffff, v6
	v_and_b32_e32 v3, 0xffff, v3
	s_delay_alu instid0(VALU_DEP_4) | instskip(NEXT) | instid1(VALU_DEP_2)
	v_lshlrev_b32_e32 v2, 16, v2
	v_or_b32_e32 v5, v3, v4
	s_delay_alu instid0(VALU_DEP_2)
	v_or_b32_e32 v4, v6, v2
.LBB955_91:
	s_or_b32 exec_lo, exec_lo, s1
	v_add_nc_u32_e32 v2, 10, v41
	s_delay_alu instid0(VALU_DEP_3) | instskip(SKIP_1) | instid1(VALU_DEP_3)
	v_and_b32_e32 v3, 0xff, v5
	v_lshrrev_b32_e32 v6, 8, v5
                                        ; implicit-def: $vgpr46
	v_cmp_le_u32_e32 vcc_lo, s33, v2
                                        ; implicit-def: $vgpr2
	s_and_saveexec_b32 s0, vcc_lo
	s_delay_alu instid0(SALU_CYCLE_1)
	s_xor_b32 s0, exec_lo, s0
	s_cbranch_execz .LBB955_93
; %bb.92:
	v_lshlrev_b16 v2, 8, v6
	v_perm_b32 v1, v1, v1, 0x3060504
                                        ; implicit-def: $vgpr6
	s_delay_alu instid0(VALU_DEP_2) | instskip(SKIP_1) | instid1(VALU_DEP_2)
	v_or_b32_e32 v2, v3, v2
	v_and_b32_e32 v3, 0xff0000, v4
	v_and_b32_e32 v2, 0xffff, v2
	s_delay_alu instid0(VALU_DEP_2) | instskip(NEXT) | instid1(VALU_DEP_2)
	v_perm_b32 v46, v4, v3, 0x3020504
                                        ; implicit-def: $vgpr3
                                        ; implicit-def: $vgpr4
	v_and_or_b32 v2, 0xff000000, v5, v2
                                        ; implicit-def: $vgpr5
.LBB955_93:
	s_and_not1_saveexec_b32 s1, s0
	s_cbranch_execz .LBB955_97
; %bb.94:
	v_add_nc_u32_e32 v2, s17, v9
	v_add_nc_u32_e32 v7, s19, v9
	s_mov_b32 s2, 0
	s_mov_b32 s3, exec_lo
	s_delay_alu instid0(VALU_DEP_2) | instskip(NEXT) | instid1(VALU_DEP_2)
	v_mul_lo_u32 v2, v2, s16
	v_mul_lo_u32 v7, v7, s18
	s_delay_alu instid0(VALU_DEP_1) | instskip(NEXT) | instid1(VALU_DEP_1)
	v_sub_nc_u32_e32 v2, v2, v7
	v_cmp_lt_u32_e32 vcc_lo, s20, v2
	v_cmpx_ge_u32_e64 s20, v2
	s_cbranch_execz .LBB955_96
; %bb.95:
	v_add_nc_u32_e32 v2, s22, v9
	v_add_nc_u32_e32 v7, s42, v9
	s_delay_alu instid0(VALU_DEP_2) | instskip(NEXT) | instid1(VALU_DEP_2)
	v_mul_lo_u32 v2, v2, s21
	v_mul_lo_u32 v7, v7, s23
	s_delay_alu instid0(VALU_DEP_1) | instskip(NEXT) | instid1(VALU_DEP_1)
	v_sub_nc_u32_e32 v2, v2, v7
	v_cmp_lt_u32_e64 s0, s43, v2
	s_and_b32 s2, s0, exec_lo
.LBB955_96:
	s_wait_alu 0xfffe
	s_or_b32 exec_lo, exec_lo, s3
	v_lshrrev_b32_e32 v5, 24, v5
	v_cndmask_b32_e64 v7, 0, 1, s2
	v_lshrrev_b32_e32 v8, 8, v4
	v_lshrrev_b32_e32 v21, 16, v4
	s_wait_alu 0xfffd
	v_cndmask_b32_e64 v2, 0, 1, vcc_lo
	v_lshlrev_b16 v6, 8, v6
	v_lshlrev_b16 v5, 8, v5
	v_and_b32_e32 v4, 0xff, v4
	v_lshlrev_b16 v8, 8, v8
	v_lshlrev_b16 v7, 8, v7
	v_and_b32_e32 v21, 0xff, v21
	v_or_b32_e32 v3, v3, v6
	v_or_b32_e32 v2, v2, v5
	;; [unrolled: 1-line block ×3, first 2 shown]
	s_delay_alu instid0(VALU_DEP_4) | instskip(NEXT) | instid1(VALU_DEP_4)
	v_or_b32_e32 v5, v21, v7
	v_and_b32_e32 v3, 0xffff, v3
	s_delay_alu instid0(VALU_DEP_4) | instskip(NEXT) | instid1(VALU_DEP_4)
	v_lshlrev_b32_e32 v2, 16, v2
	v_and_b32_e32 v4, 0xffff, v4
	s_delay_alu instid0(VALU_DEP_4) | instskip(NEXT) | instid1(VALU_DEP_3)
	v_lshlrev_b32_e32 v5, 16, v5
	v_or_b32_e32 v2, v3, v2
	s_delay_alu instid0(VALU_DEP_2)
	v_or_b32_e32 v46, v4, v5
.LBB955_97:
	s_or_b32 exec_lo, exec_lo, s1
	v_add_nc_u32_e32 v3, 11, v41
	v_mov_b32_e32 v45, 0
	s_mov_b32 s0, exec_lo
                                        ; implicit-def: $vgpr47
	s_delay_alu instid0(VALU_DEP_2)
	v_cmpx_le_u32_e64 s33, v3
	s_xor_b32 s0, exec_lo, s0
; %bb.98:
	v_and_b32_e32 v3, 0xff0000, v2
	v_perm_b32 v1, v1, v1, 0x3060504
	s_delay_alu instid0(VALU_DEP_2)
	v_perm_b32 v47, v2, v3, 0x3020504
                                        ; implicit-def: $vgpr2
; %bb.99:
	s_and_not1_saveexec_b32 s1, s0
	s_cbranch_execz .LBB955_103
; %bb.100:
	v_add_nc_u32_e32 v3, s17, v10
	v_add_nc_u32_e32 v4, s19, v10
	s_mov_b32 s2, 0
	s_mov_b32 s3, exec_lo
	s_delay_alu instid0(VALU_DEP_2) | instskip(NEXT) | instid1(VALU_DEP_2)
	v_mul_lo_u32 v3, v3, s16
	v_mul_lo_u32 v4, v4, s18
	s_delay_alu instid0(VALU_DEP_1) | instskip(NEXT) | instid1(VALU_DEP_1)
	v_sub_nc_u32_e32 v3, v3, v4
	v_cmp_lt_u32_e32 vcc_lo, s20, v3
	v_cmpx_ge_u32_e64 s20, v3
	s_cbranch_execz .LBB955_102
; %bb.101:
	v_add_nc_u32_e32 v3, s22, v10
	v_add_nc_u32_e32 v4, s42, v10
	s_delay_alu instid0(VALU_DEP_2) | instskip(NEXT) | instid1(VALU_DEP_2)
	v_mul_lo_u32 v3, v3, s21
	v_mul_lo_u32 v4, v4, s23
	s_delay_alu instid0(VALU_DEP_1) | instskip(NEXT) | instid1(VALU_DEP_1)
	v_sub_nc_u32_e32 v3, v3, v4
	v_cmp_lt_u32_e64 s0, s43, v3
	s_and_b32 s2, s0, exec_lo
.LBB955_102:
	s_wait_alu 0xfffe
	s_or_b32 exec_lo, exec_lo, s3
	v_lshrrev_b32_e32 v3, 8, v2
	s_wait_alu 0xfffd
	v_cndmask_b32_e64 v4, 0, 1, vcc_lo
	v_lshrrev_b32_e32 v5, 16, v2
	v_and_b32_e32 v2, 0xff, v2
	v_cndmask_b32_e64 v45, 0, 1, s2
	v_lshlrev_b16 v3, 8, v3
	v_lshlrev_b16 v4, 8, v4
	v_and_b32_e32 v5, 0xff, v5
	s_delay_alu instid0(VALU_DEP_3) | instskip(NEXT) | instid1(VALU_DEP_2)
	v_or_b32_e32 v2, v2, v3
	v_or_b32_e32 v3, v5, v4
	s_delay_alu instid0(VALU_DEP_2) | instskip(NEXT) | instid1(VALU_DEP_2)
	v_and_b32_e32 v2, 0xffff, v2
	v_lshlrev_b32_e32 v3, 16, v3
	s_delay_alu instid0(VALU_DEP_1)
	v_or_b32_e32 v47, v2, v3
.LBB955_103:
	s_or_b32 exec_lo, exec_lo, s1
	v_add_nc_u32_e32 v4, 12, v41
	v_lshrrev_b32_e32 v2, 8, v1
	v_lshrrev_b32_e32 v3, 16, v1
	;; [unrolled: 1-line block ×3, first 2 shown]
	s_mov_b32 s0, exec_lo
                                        ; implicit-def: $vgpr49
	v_cmpx_le_u32_e64 s33, v4
	s_xor_b32 s0, exec_lo, s0
	s_cbranch_execz .LBB955_105
; %bb.104:
	v_lshlrev_b16 v1, 8, v1
	v_and_b32_e32 v3, 0xff, v3
	v_lshlrev_b16 v2, 8, v2
	s_delay_alu instid0(VALU_DEP_2) | instskip(NEXT) | instid1(VALU_DEP_2)
	v_or_b32_e32 v1, v3, v1
	v_and_b32_e32 v2, 0xffff, v2
                                        ; implicit-def: $vgpr3
	s_delay_alu instid0(VALU_DEP_2) | instskip(NEXT) | instid1(VALU_DEP_1)
	v_lshlrev_b32_e32 v1, 16, v1
	v_or_b32_e32 v49, v2, v1
                                        ; implicit-def: $vgpr1
                                        ; implicit-def: $vgpr2
.LBB955_105:
	s_or_saveexec_b32 s1, s0
	v_mov_b32_e32 v48, 0
	s_xor_b32 exec_lo, exec_lo, s1
	s_cbranch_execz .LBB955_109
; %bb.106:
	v_add_nc_u32_e32 v4, s17, v40
	v_add_nc_u32_e32 v5, s19, v40
	s_mov_b32 s2, 0
	s_mov_b32 s3, exec_lo
	s_delay_alu instid0(VALU_DEP_2) | instskip(NEXT) | instid1(VALU_DEP_2)
	v_mul_lo_u32 v4, v4, s16
	v_mul_lo_u32 v5, v5, s18
	s_delay_alu instid0(VALU_DEP_1) | instskip(NEXT) | instid1(VALU_DEP_1)
	v_sub_nc_u32_e32 v4, v4, v5
	v_cmp_lt_u32_e32 vcc_lo, s20, v4
	v_cmpx_ge_u32_e64 s20, v4
	s_cbranch_execz .LBB955_108
; %bb.107:
	v_add_nc_u32_e32 v4, s22, v40
	v_add_nc_u32_e32 v5, s42, v40
	s_delay_alu instid0(VALU_DEP_2) | instskip(NEXT) | instid1(VALU_DEP_2)
	v_mul_lo_u32 v4, v4, s21
	v_mul_lo_u32 v5, v5, s23
	s_delay_alu instid0(VALU_DEP_1) | instskip(NEXT) | instid1(VALU_DEP_1)
	v_sub_nc_u32_e32 v4, v4, v5
	v_cmp_lt_u32_e64 s0, s43, v4
	s_and_b32 s2, s0, exec_lo
.LBB955_108:
	s_wait_alu 0xfffe
	s_or_b32 exec_lo, exec_lo, s3
	s_wait_alu 0xfffd
	v_cndmask_b32_e64 v4, 0, 1, vcc_lo
	v_lshlrev_b16 v1, 8, v1
	v_and_b32_e32 v3, 0xff, v3
	v_lshlrev_b16 v2, 8, v2
	v_cndmask_b32_e64 v48, 0, 1, s2
	s_delay_alu instid0(VALU_DEP_3) | instskip(NEXT) | instid1(VALU_DEP_3)
	v_or_b32_e32 v1, v3, v1
	v_or_b32_e32 v2, v4, v2
	s_delay_alu instid0(VALU_DEP_2) | instskip(NEXT) | instid1(VALU_DEP_2)
	v_lshlrev_b32_e32 v1, 16, v1
	v_and_b32_e32 v2, 0xffff, v2
	s_delay_alu instid0(VALU_DEP_1)
	v_or_b32_e32 v49, v2, v1
.LBB955_109:
	s_or_b32 exec_lo, exec_lo, s1
.LBB955_110:
	v_and_b32_e32 v72, 0xff, v42
	s_delay_alu instid0(VALU_DEP_2)
	v_bfe_u32 v73, v49, 8, 8
	v_bfe_u32 v70, v42, 8, 8
	;; [unrolled: 1-line block ×4, first 2 shown]
	v_lshrrev_b32_e32 v55, 24, v49
	v_lshrrev_b32_e32 v54, 24, v42
	v_and_b32_e32 v68, 0xff, v43
	v_and_b32_e32 v66, 0xff, v44
	v_bfe_u32 v67, v43, 8, 8
	v_add3_u32 v1, v70, v72, v69
	v_add3_u32 v2, v71, v73, v55
	v_bfe_u32 v64, v44, 8, 8
	v_bfe_u32 v65, v43, 16, 8
	;; [unrolled: 1-line block ×3, first 2 shown]
	v_lshrrev_b32_e32 v53, 24, v43
	v_add3_u32 v1, v1, v54, v66
	v_add3_u32 v2, v2, v68, v67
	v_lshrrev_b32_e32 v52, 24, v44
	v_and_b32_e32 v63, 0xff, v46
	v_and_b32_e32 v61, 0xff, v47
	v_bfe_u32 v62, v46, 8, 8
	v_add3_u32 v1, v1, v64, v59
	v_add3_u32 v2, v2, v65, v53
	v_bfe_u32 v58, v47, 8, 8
	v_bfe_u32 v60, v46, 16, 8
	;; [unrolled: 1-line block ×3, first 2 shown]
	v_lshrrev_b32_e32 v51, 24, v46
	v_add3_u32 v1, v1, v52, v61
	v_add3_u32 v2, v2, v63, v62
	v_mbcnt_lo_u32_b32 v74, -1, 0
	v_lshrrev_b32_e32 v50, 24, v47
	v_and_b32_e32 v57, 0xff, v45
	v_and_b32_e32 v3, 0xff, v49
	;; [unrolled: 1-line block ×3, first 2 shown]
	v_add3_u32 v1, v1, v58, v56
	v_add3_u32 v2, v2, v60, v51
	v_and_b32_e32 v76, 15, v74
	v_and_b32_e32 v78, 16, v74
	v_lshrrev_b32_e32 v75, 5, v0
	v_add3_u32 v79, v1, v50, v3
	v_add3_u32 v80, v2, v57, v4
	v_cmp_eq_u32_e64 s1, 0, v76
	v_cmp_lt_u32_e64 s0, 1, v76
	v_cmp_lt_u32_e64 s2, 3, v76
	v_or_b32_e32 v77, 31, v0
	s_cmp_lg_u32 ttmp9, 0
	s_mov_b32 s3, -1
	v_cmp_lt_u32_e32 vcc_lo, 7, v76
	s_cbranch_scc0 .LBB955_131
; %bb.111:
	v_mov_b32_dpp v2, v79 row_shr:1 row_mask:0xf bank_mask:0xf
	v_mov_b32_dpp v1, v80 row_shr:1 row_mask:0xf bank_mask:0xf
	s_mov_b32 s3, exec_lo
	s_delay_alu instid0(VALU_DEP_2) | instskip(NEXT) | instid1(VALU_DEP_2)
	v_add_nc_u32_e32 v2, v2, v79
	v_add_nc_u32_e32 v1, v1, v80
	s_delay_alu instid0(VALU_DEP_2) | instskip(NEXT) | instid1(VALU_DEP_2)
	v_cndmask_b32_e64 v2, v2, v79, s1
	v_cndmask_b32_e64 v1, v1, v80, s1
	s_delay_alu instid0(VALU_DEP_2) | instskip(NEXT) | instid1(VALU_DEP_2)
	v_mov_b32_dpp v4, v2 row_shr:2 row_mask:0xf bank_mask:0xf
	v_mov_b32_dpp v3, v1 row_shr:2 row_mask:0xf bank_mask:0xf
	s_delay_alu instid0(VALU_DEP_2) | instskip(NEXT) | instid1(VALU_DEP_1)
	v_add_nc_u32_e32 v4, v2, v4
	v_cndmask_b32_e64 v2, v2, v4, s0
	s_delay_alu instid0(VALU_DEP_1) | instskip(NEXT) | instid1(VALU_DEP_1)
	v_mov_b32_dpp v4, v2 row_shr:4 row_mask:0xf bank_mask:0xf
	v_add_nc_u32_e32 v4, v2, v4
	s_wait_alu 0xf1ff
	s_delay_alu instid0(VALU_DEP_1) | instskip(NEXT) | instid1(VALU_DEP_1)
	v_cndmask_b32_e64 v2, v2, v4, s2
	v_mov_b32_dpp v4, v2 row_shr:8 row_mask:0xf bank_mask:0xf
	s_delay_alu instid0(VALU_DEP_1) | instskip(SKIP_1) | instid1(VALU_DEP_1)
	v_add_nc_u32_e32 v4, v2, v4
	s_wait_alu 0xfffd
	v_dual_cndmask_b32 v2, v2, v4 :: v_dual_add_nc_u32 v3, v1, v3
	s_delay_alu instid0(VALU_DEP_1) | instskip(SKIP_2) | instid1(VALU_DEP_1)
	v_cndmask_b32_e64 v1, v1, v3, s0
	ds_swizzle_b32 v4, v2 offset:swizzle(BROADCAST,32,15)
	v_mov_b32_dpp v3, v1 row_shr:4 row_mask:0xf bank_mask:0xf
	v_add_nc_u32_e32 v3, v1, v3
	s_delay_alu instid0(VALU_DEP_1) | instskip(NEXT) | instid1(VALU_DEP_1)
	v_cndmask_b32_e64 v1, v1, v3, s2
	v_mov_b32_dpp v3, v1 row_shr:8 row_mask:0xf bank_mask:0xf
	s_wait_dscnt 0x0
	v_add_nc_u32_e32 v4, v2, v4
	s_delay_alu instid0(VALU_DEP_2) | instskip(NEXT) | instid1(VALU_DEP_1)
	v_add_nc_u32_e32 v3, v1, v3
	v_cndmask_b32_e32 v1, v1, v3, vcc_lo
	v_cmp_eq_u32_e32 vcc_lo, 0, v78
	ds_swizzle_b32 v3, v1 offset:swizzle(BROADCAST,32,15)
	s_wait_dscnt 0x0
	v_add_nc_u32_e32 v3, v1, v3
	v_cmpx_eq_u32_e64 v0, v77
; %bb.112:
	s_wait_alu 0xfffd
	s_delay_alu instid0(VALU_DEP_2)
	v_dual_cndmask_b32 v6, v3, v1 :: v_dual_lshlrev_b32 v7, 3, v75
	v_cndmask_b32_e32 v5, v4, v2, vcc_lo
	ds_store_b64 v7, v[5:6]
; %bb.113:
	s_wait_alu 0xfffe
	s_or_b32 exec_lo, exec_lo, s3
	s_delay_alu instid0(SALU_CYCLE_1)
	s_mov_b32 s3, exec_lo
	s_wait_loadcnt_dscnt 0x0
	s_barrier_signal -1
	s_barrier_wait -1
	global_inv scope:SCOPE_SE
	v_cmpx_gt_u32_e32 8, v0
	s_cbranch_execz .LBB955_115
; %bb.114:
	v_lshlrev_b32_e32 v7, 3, v0
	v_and_b32_e32 v22, 7, v74
	ds_load_b64 v[5:6], v7
	v_cmp_eq_u32_e64 s2, 0, v22
	s_wait_dscnt 0x0
	v_mov_b32_dpp v8, v5 row_shr:1 row_mask:0xf bank_mask:0xf
	v_mov_b32_dpp v21, v6 row_shr:1 row_mask:0xf bank_mask:0xf
	s_delay_alu instid0(VALU_DEP_2) | instskip(NEXT) | instid1(VALU_DEP_2)
	v_add_nc_u32_e32 v8, v8, v5
	v_add_nc_u32_e32 v21, v21, v6
	s_wait_alu 0xf1ff
	s_delay_alu instid0(VALU_DEP_2) | instskip(NEXT) | instid1(VALU_DEP_2)
	v_cndmask_b32_e64 v5, v8, v5, s2
	v_cndmask_b32_e64 v6, v21, v6, s2
	v_cmp_lt_u32_e64 s2, 1, v22
	s_delay_alu instid0(VALU_DEP_3) | instskip(NEXT) | instid1(VALU_DEP_3)
	v_mov_b32_dpp v8, v5 row_shr:2 row_mask:0xf bank_mask:0xf
	v_mov_b32_dpp v21, v6 row_shr:2 row_mask:0xf bank_mask:0xf
	s_delay_alu instid0(VALU_DEP_2) | instskip(NEXT) | instid1(VALU_DEP_2)
	v_add_nc_u32_e32 v8, v5, v8
	v_add_nc_u32_e32 v21, v6, v21
	s_wait_alu 0xf1ff
	s_delay_alu instid0(VALU_DEP_2) | instskip(NEXT) | instid1(VALU_DEP_2)
	v_cndmask_b32_e64 v5, v5, v8, s2
	v_cndmask_b32_e64 v6, v6, v21, s2
	v_cmp_lt_u32_e64 s2, 3, v22
	s_delay_alu instid0(VALU_DEP_3) | instskip(NEXT) | instid1(VALU_DEP_3)
	v_mov_b32_dpp v8, v5 row_shr:4 row_mask:0xf bank_mask:0xf
	v_mov_b32_dpp v21, v6 row_shr:4 row_mask:0xf bank_mask:0xf
	s_wait_alu 0xf1ff
	s_delay_alu instid0(VALU_DEP_2) | instskip(NEXT) | instid1(VALU_DEP_2)
	v_cndmask_b32_e64 v8, 0, v8, s2
	v_cndmask_b32_e64 v21, 0, v21, s2
	s_delay_alu instid0(VALU_DEP_2) | instskip(NEXT) | instid1(VALU_DEP_2)
	v_add_nc_u32_e32 v5, v8, v5
	v_add_nc_u32_e32 v6, v21, v6
	ds_store_b64 v7, v[5:6]
.LBB955_115:
	s_wait_alu 0xfffe
	s_or_b32 exec_lo, exec_lo, s3
	v_dual_cndmask_b32 v1, v3, v1 :: v_dual_cndmask_b32 v2, v4, v2
	s_mov_b32 s3, exec_lo
	v_cmp_gt_u32_e32 vcc_lo, 32, v0
	s_wait_loadcnt_dscnt 0x0
	s_barrier_signal -1
	s_barrier_wait -1
	global_inv scope:SCOPE_SE
                                        ; implicit-def: $vgpr21
	v_cmpx_lt_u32_e32 31, v0
	s_cbranch_execz .LBB955_117
; %bb.116:
	v_lshl_add_u32 v3, v75, 3, -8
	ds_load_b64 v[21:22], v3
	s_wait_dscnt 0x0
	v_add_nc_u32_e32 v1, v22, v1
	v_add_nc_u32_e32 v2, v21, v2
.LBB955_117:
	s_wait_alu 0xfffe
	s_or_b32 exec_lo, exec_lo, s3
	v_sub_co_u32 v3, s2, v74, 1
	s_delay_alu instid0(VALU_DEP_1) | instskip(SKIP_1) | instid1(VALU_DEP_1)
	v_cmp_gt_i32_e64 s3, 0, v3
	s_wait_alu 0xf1ff
	v_cndmask_b32_e64 v3, v3, v74, s3
	s_delay_alu instid0(VALU_DEP_1)
	v_lshlrev_b32_e32 v3, 2, v3
	ds_bpermute_b32 v81, v3, v2
	ds_bpermute_b32 v82, v3, v1
	s_and_saveexec_b32 s3, vcc_lo
	s_cbranch_execz .LBB955_136
; %bb.118:
	v_mov_b32_e32 v4, 0
	ds_load_b64 v[1:2], v4 offset:56
	s_and_saveexec_b32 s6, s2
	s_cbranch_execz .LBB955_120
; %bb.119:
	s_add_co_i32 s8, ttmp9, 32
	s_mov_b32 s9, 0
	s_wait_alu 0xfffe
	s_lshl_b64 s[8:9], s[8:9], 4
	s_wait_kmcnt 0x0
	s_wait_alu 0xfffe
	s_add_nc_u64 s[8:9], s[4:5], s[8:9]
	v_mov_b32_e32 v3, 1
	s_wait_alu 0xfffe
	v_dual_mov_b32 v5, s8 :: v_dual_mov_b32 v6, s9
	s_wait_dscnt 0x0
	;;#ASMSTART
	global_store_b128 v[5:6], v[1:4] off scope:SCOPE_DEV	
s_wait_storecnt 0x0
	;;#ASMEND
.LBB955_120:
	s_wait_alu 0xfffe
	s_or_b32 exec_lo, exec_lo, s6
	v_xad_u32 v23, v74, -1, ttmp9
	s_mov_b32 s7, 0
	s_mov_b32 s6, exec_lo
	s_delay_alu instid0(VALU_DEP_1) | instskip(NEXT) | instid1(VALU_DEP_1)
	v_add_nc_u32_e32 v3, 32, v23
	v_lshlrev_b64_e32 v[3:4], 4, v[3:4]
	s_wait_kmcnt 0x0
	s_delay_alu instid0(VALU_DEP_1) | instskip(SKIP_1) | instid1(VALU_DEP_2)
	v_add_co_u32 v3, vcc_lo, s4, v3
	s_wait_alu 0xfffd
	v_add_co_ci_u32_e64 v4, null, s5, v4, vcc_lo
	;;#ASMSTART
	global_load_b128 v[5:8], v[3:4] off scope:SCOPE_DEV	
s_wait_loadcnt 0x0
	;;#ASMEND
	v_and_b32_e32 v8, 0xff, v7
	s_delay_alu instid0(VALU_DEP_1)
	v_cmpx_eq_u16_e32 0, v8
	s_cbranch_execz .LBB955_123
.LBB955_121:                            ; =>This Inner Loop Header: Depth=1
	;;#ASMSTART
	global_load_b128 v[5:8], v[3:4] off scope:SCOPE_DEV	
s_wait_loadcnt 0x0
	;;#ASMEND
	v_and_b32_e32 v8, 0xff, v7
	s_delay_alu instid0(VALU_DEP_1)
	v_cmp_ne_u16_e32 vcc_lo, 0, v8
	s_wait_alu 0xfffe
	s_or_b32 s7, vcc_lo, s7
	s_wait_alu 0xfffe
	s_and_not1_b32 exec_lo, exec_lo, s7
	s_cbranch_execnz .LBB955_121
; %bb.122:
	s_or_b32 exec_lo, exec_lo, s7
.LBB955_123:
	s_wait_alu 0xfffe
	s_or_b32 exec_lo, exec_lo, s6
	v_cmp_ne_u32_e32 vcc_lo, 31, v74
	v_lshlrev_b32_e64 v84, v74, -1
	v_add_nc_u32_e32 v86, 2, v74
	v_add_nc_u32_e32 v88, 4, v74
	;; [unrolled: 1-line block ×3, first 2 shown]
	s_wait_alu 0xfffd
	v_add_co_ci_u32_e64 v3, null, 0, v74, vcc_lo
	v_lshl_or_b32 v91, v74, 2, 64
	v_add_nc_u32_e32 v92, 16, v74
	s_delay_alu instid0(VALU_DEP_3)
	v_lshlrev_b32_e32 v83, 2, v3
	v_and_b32_e32 v3, 0xff, v7
	ds_bpermute_b32 v4, v83, v6
	v_cmp_eq_u16_e32 vcc_lo, 2, v3
	s_wait_alu 0xfffd
	v_and_b32_e32 v8, vcc_lo, v84
	v_cmp_gt_u32_e32 vcc_lo, 30, v74
	s_delay_alu instid0(VALU_DEP_2) | instskip(SKIP_2) | instid1(VALU_DEP_2)
	v_or_b32_e32 v8, 0x80000000, v8
	s_wait_alu 0xfffd
	v_cndmask_b32_e64 v24, 0, 2, vcc_lo
	v_ctz_i32_b32_e32 v8, v8
	s_delay_alu instid0(VALU_DEP_2) | instskip(SKIP_2) | instid1(VALU_DEP_3)
	v_add_lshl_u32 v85, v24, v74, 2
	s_wait_dscnt 0x0
	v_add_nc_u32_e32 v4, v4, v6
	v_cmp_lt_u32_e32 vcc_lo, v74, v8
	s_wait_alu 0xfffd
	s_delay_alu instid0(VALU_DEP_2) | instskip(SKIP_3) | instid1(VALU_DEP_1)
	v_cndmask_b32_e32 v4, v6, v4, vcc_lo
	ds_bpermute_b32 v3, v83, v5
	s_wait_dscnt 0x0
	v_add_nc_u32_e32 v3, v3, v5
	v_cndmask_b32_e32 v3, v5, v3, vcc_lo
	ds_bpermute_b32 v5, v85, v4
	v_cmp_gt_u32_e32 vcc_lo, 28, v74
	ds_bpermute_b32 v6, v85, v3
	s_wait_alu 0xfffd
	v_cndmask_b32_e64 v24, 0, 4, vcc_lo
	v_cmp_gt_u32_e32 vcc_lo, v86, v8
	s_delay_alu instid0(VALU_DEP_2)
	v_add_lshl_u32 v87, v24, v74, 2
	s_wait_dscnt 0x1
	v_add_nc_u32_e32 v5, v4, v5
	s_wait_dscnt 0x0
	v_add_nc_u32_e32 v6, v3, v6
	s_wait_alu 0xfffd
	s_delay_alu instid0(VALU_DEP_1)
	v_dual_cndmask_b32 v4, v5, v4 :: v_dual_cndmask_b32 v3, v6, v3
	ds_bpermute_b32 v5, v87, v4
	v_cmp_gt_u32_e32 vcc_lo, 24, v74
	ds_bpermute_b32 v6, v87, v3
	s_wait_alu 0xfffd
	v_cndmask_b32_e64 v24, 0, 8, vcc_lo
	v_cmp_gt_u32_e32 vcc_lo, v88, v8
	s_delay_alu instid0(VALU_DEP_2)
	v_add_lshl_u32 v89, v24, v74, 2
	s_wait_dscnt 0x1
	v_dual_mov_b32 v24, 0 :: v_dual_add_nc_u32 v5, v4, v5
	s_wait_dscnt 0x0
	v_add_nc_u32_e32 v6, v3, v6
	s_wait_alu 0xfffd
	s_delay_alu instid0(VALU_DEP_1)
	v_dual_cndmask_b32 v4, v5, v4 :: v_dual_cndmask_b32 v3, v6, v3
	ds_bpermute_b32 v5, v89, v4
	v_cmp_gt_u32_e32 vcc_lo, v90, v8
	ds_bpermute_b32 v6, v89, v3
	s_wait_dscnt 0x1
	v_add_nc_u32_e32 v5, v4, v5
	s_wait_dscnt 0x0
	v_add_nc_u32_e32 v6, v3, v6
	s_wait_alu 0xfffd
	s_delay_alu instid0(VALU_DEP_1)
	v_dual_cndmask_b32 v4, v5, v4 :: v_dual_cndmask_b32 v3, v6, v3
	ds_bpermute_b32 v6, v91, v4
	v_cmp_le_u32_e32 vcc_lo, v92, v8
	ds_bpermute_b32 v5, v91, v3
	s_wait_dscnt 0x0
	s_wait_alu 0xfffd
	v_dual_cndmask_b32 v6, 0, v6 :: v_dual_cndmask_b32 v5, 0, v5
	s_delay_alu instid0(VALU_DEP_1) | instskip(NEXT) | instid1(VALU_DEP_2)
	v_add_nc_u32_e32 v6, v6, v4
	v_add_nc_u32_e32 v5, v5, v3
	s_branch .LBB955_127
.LBB955_124:                            ;   in Loop: Header=BB955_127 Depth=1
	s_or_b32 exec_lo, exec_lo, s7
.LBB955_125:                            ;   in Loop: Header=BB955_127 Depth=1
	s_wait_alu 0xfffe
	s_or_b32 exec_lo, exec_lo, s6
	ds_bpermute_b32 v8, v83, v5
	ds_bpermute_b32 v25, v83, v6
	v_subrev_nc_u32_e32 v23, 32, v23
	s_mov_b32 s6, 0
	s_wait_dscnt 0x1
	v_add_nc_u32_e32 v8, v8, v5
	v_and_b32_e32 v26, 0xff, v7
	s_wait_dscnt 0x0
	v_add_nc_u32_e32 v25, v25, v6
	s_delay_alu instid0(VALU_DEP_2) | instskip(SKIP_2) | instid1(VALU_DEP_1)
	v_cmp_eq_u16_e32 vcc_lo, 2, v26
	s_wait_alu 0xfffd
	v_and_or_b32 v26, vcc_lo, v84, 0x80000000
	v_ctz_i32_b32_e32 v26, v26
	s_delay_alu instid0(VALU_DEP_1)
	v_cmp_lt_u32_e32 vcc_lo, v74, v26
	s_wait_alu 0xfffd
	v_dual_cndmask_b32 v6, v6, v25 :: v_dual_cndmask_b32 v5, v5, v8
	v_cmp_gt_u32_e32 vcc_lo, v86, v26
	ds_bpermute_b32 v25, v85, v6
	ds_bpermute_b32 v8, v85, v5
	s_wait_dscnt 0x1
	v_add_nc_u32_e32 v25, v6, v25
	s_wait_dscnt 0x0
	v_add_nc_u32_e32 v8, v5, v8
	s_wait_alu 0xfffd
	s_delay_alu instid0(VALU_DEP_1)
	v_dual_cndmask_b32 v6, v25, v6 :: v_dual_cndmask_b32 v5, v8, v5
	v_cmp_gt_u32_e32 vcc_lo, v88, v26
	ds_bpermute_b32 v25, v87, v6
	ds_bpermute_b32 v8, v87, v5
	s_wait_dscnt 0x1
	v_add_nc_u32_e32 v25, v6, v25
	s_wait_dscnt 0x0
	v_add_nc_u32_e32 v8, v5, v8
	s_wait_alu 0xfffd
	s_delay_alu instid0(VALU_DEP_1)
	;; [unrolled: 10-line block ×3, first 2 shown]
	v_dual_cndmask_b32 v6, v25, v6 :: v_dual_cndmask_b32 v5, v8, v5
	v_cmp_le_u32_e32 vcc_lo, v92, v26
	ds_bpermute_b32 v25, v91, v6
	ds_bpermute_b32 v8, v91, v5
	s_wait_dscnt 0x0
	s_wait_alu 0xfffd
	v_dual_cndmask_b32 v25, 0, v25 :: v_dual_cndmask_b32 v8, 0, v8
	s_delay_alu instid0(VALU_DEP_1) | instskip(NEXT) | instid1(VALU_DEP_2)
	v_add3_u32 v6, v6, v4, v25
	v_add3_u32 v5, v5, v3, v8
.LBB955_126:                            ;   in Loop: Header=BB955_127 Depth=1
	s_wait_alu 0xfffe
	s_and_b32 vcc_lo, exec_lo, s6
	s_wait_alu 0xfffe
	s_cbranch_vccnz .LBB955_132
.LBB955_127:                            ; =>This Loop Header: Depth=1
                                        ;     Child Loop BB955_130 Depth 2
	v_and_b32_e32 v3, 0xff, v7
	s_mov_b32 s6, -1
                                        ; implicit-def: $vgpr7
	s_delay_alu instid0(VALU_DEP_1)
	v_cmp_ne_u16_e32 vcc_lo, 2, v3
	v_dual_mov_b32 v3, v5 :: v_dual_mov_b32 v4, v6
                                        ; implicit-def: $vgpr5_vgpr6
	s_cmp_lg_u32 vcc_lo, exec_lo
	s_cbranch_scc1 .LBB955_126
; %bb.128:                              ;   in Loop: Header=BB955_127 Depth=1
	v_lshlrev_b64_e32 v[5:6], 4, v[23:24]
	s_mov_b32 s6, exec_lo
	s_delay_alu instid0(VALU_DEP_1) | instskip(SKIP_1) | instid1(VALU_DEP_2)
	v_add_co_u32 v25, vcc_lo, s4, v5
	s_wait_alu 0xfffd
	v_add_co_ci_u32_e64 v26, null, s5, v6, vcc_lo
	;;#ASMSTART
	global_load_b128 v[5:8], v[25:26] off scope:SCOPE_DEV	
s_wait_loadcnt 0x0
	;;#ASMEND
	v_and_b32_e32 v8, 0xff, v7
	s_delay_alu instid0(VALU_DEP_1)
	v_cmpx_eq_u16_e32 0, v8
	s_cbranch_execz .LBB955_125
; %bb.129:                              ;   in Loop: Header=BB955_127 Depth=1
	s_mov_b32 s7, 0
.LBB955_130:                            ;   Parent Loop BB955_127 Depth=1
                                        ; =>  This Inner Loop Header: Depth=2
	;;#ASMSTART
	global_load_b128 v[5:8], v[25:26] off scope:SCOPE_DEV	
s_wait_loadcnt 0x0
	;;#ASMEND
	v_and_b32_e32 v8, 0xff, v7
	s_delay_alu instid0(VALU_DEP_1)
	v_cmp_ne_u16_e32 vcc_lo, 0, v8
	s_wait_alu 0xfffe
	s_or_b32 s7, vcc_lo, s7
	s_wait_alu 0xfffe
	s_and_not1_b32 exec_lo, exec_lo, s7
	s_cbranch_execnz .LBB955_130
	s_branch .LBB955_124
.LBB955_131:
                                        ; implicit-def: $vgpr81
                                        ; implicit-def: $vgpr3
                                        ; implicit-def: $vgpr82
	s_wait_alu 0xfffe
	s_and_b32 vcc_lo, exec_lo, s3
	s_wait_alu 0xfffe
	s_cbranch_vccnz .LBB955_137
	s_branch .LBB955_146
.LBB955_132:
	s_and_saveexec_b32 s6, s2
	s_cbranch_execnz .LBB955_374
; %bb.133:
	s_wait_alu 0xfffe
	s_or_b32 exec_lo, exec_lo, s6
	s_and_saveexec_b32 s6, s2
	s_cbranch_execnz .LBB955_375
.LBB955_134:
	s_wait_alu 0xfffe
	s_or_b32 exec_lo, exec_lo, s6
	v_cmp_eq_u32_e32 vcc_lo, 0, v0
	s_and_b32 exec_lo, exec_lo, vcc_lo
.LBB955_135:
	v_mov_b32_e32 v1, 0
	ds_store_b64 v1, v[3:4] offset:56
.LBB955_136:
	s_wait_alu 0xfffe
	s_or_b32 exec_lo, exec_lo, s3
	s_wait_dscnt 0x0
	v_cndmask_b32_e64 v8, v82, v22, s2
	v_mov_b32_e32 v1, 0
	s_wait_loadcnt 0x0
	s_barrier_signal -1
	s_barrier_wait -1
	global_inv scope:SCOPE_SE
	ds_load_b64 v[5:6], v1 offset:56
	s_wait_loadcnt_dscnt 0x0
	s_barrier_signal -1
	s_barrier_wait -1
	global_inv scope:SCOPE_SE
	v_cndmask_b32_e64 v7, v81, v21, s2
	v_cmp_eq_u32_e32 vcc_lo, 0, v0
	v_add_nc_u32_e32 v8, v6, v8
	ds_load_b128 v[1:4], v1 offset:13312
	v_add_nc_u32_e32 v7, v5, v7
	s_wait_alu 0xfffd
	s_delay_alu instid0(VALU_DEP_1)
	v_dual_cndmask_b32 v81, v8, v6 :: v_dual_cndmask_b32 v82, v7, v5
	s_branch .LBB955_146
.LBB955_137:
	s_wait_dscnt 0x0
	v_mov_b32_dpp v2, v80 row_shr:1 row_mask:0xf bank_mask:0xf
	v_cmp_lt_u32_e32 vcc_lo, 3, v76
	v_mov_b32_dpp v1, v79 row_shr:1 row_mask:0xf bank_mask:0xf
	s_delay_alu instid0(VALU_DEP_3) | instskip(NEXT) | instid1(VALU_DEP_1)
	v_add_nc_u32_e32 v2, v2, v80
	v_cndmask_b32_e64 v2, v2, v80, s1
	s_delay_alu instid0(VALU_DEP_1) | instskip(NEXT) | instid1(VALU_DEP_1)
	v_mov_b32_dpp v4, v2 row_shr:2 row_mask:0xf bank_mask:0xf
	v_add_nc_u32_e32 v4, v2, v4
	s_delay_alu instid0(VALU_DEP_1) | instskip(NEXT) | instid1(VALU_DEP_1)
	v_cndmask_b32_e64 v2, v2, v4, s0
	v_mov_b32_dpp v4, v2 row_shr:4 row_mask:0xf bank_mask:0xf
	s_delay_alu instid0(VALU_DEP_1) | instskip(SKIP_1) | instid1(VALU_DEP_1)
	v_add_nc_u32_e32 v4, v2, v4
	s_wait_alu 0xfffd
	v_dual_cndmask_b32 v2, v2, v4 :: v_dual_add_nc_u32 v1, v1, v79
	s_delay_alu instid0(VALU_DEP_1) | instskip(SKIP_1) | instid1(VALU_DEP_2)
	v_cndmask_b32_e64 v1, v1, v79, s1
	s_mov_b32 s1, exec_lo
	v_mov_b32_dpp v4, v2 row_shr:8 row_mask:0xf bank_mask:0xf
	s_delay_alu instid0(VALU_DEP_2) | instskip(NEXT) | instid1(VALU_DEP_1)
	v_mov_b32_dpp v3, v1 row_shr:2 row_mask:0xf bank_mask:0xf
	v_add_nc_u32_e32 v3, v1, v3
	s_delay_alu instid0(VALU_DEP_1) | instskip(NEXT) | instid1(VALU_DEP_1)
	v_cndmask_b32_e64 v1, v1, v3, s0
	v_mov_b32_dpp v3, v1 row_shr:4 row_mask:0xf bank_mask:0xf
	s_delay_alu instid0(VALU_DEP_1) | instskip(NEXT) | instid1(VALU_DEP_1)
	v_add_nc_u32_e32 v3, v1, v3
	v_cndmask_b32_e32 v3, v1, v3, vcc_lo
	v_cmp_lt_u32_e32 vcc_lo, 7, v76
	s_delay_alu instid0(VALU_DEP_2) | instskip(NEXT) | instid1(VALU_DEP_1)
	v_mov_b32_dpp v1, v3 row_shr:8 row_mask:0xf bank_mask:0xf
	v_add_nc_u32_e32 v5, v3, v1
	v_add_nc_u32_e32 v1, v2, v4
	s_wait_alu 0xfffd
	s_delay_alu instid0(VALU_DEP_1) | instskip(NEXT) | instid1(VALU_DEP_3)
	v_cndmask_b32_e32 v1, v2, v1, vcc_lo
	v_cndmask_b32_e32 v2, v3, v5, vcc_lo
	v_cmp_eq_u32_e32 vcc_lo, 0, v78
	ds_swizzle_b32 v3, v1 offset:swizzle(BROADCAST,32,15)
	ds_swizzle_b32 v4, v2 offset:swizzle(BROADCAST,32,15)
	s_wait_dscnt 0x1
	v_add_nc_u32_e32 v3, v1, v3
	s_wait_dscnt 0x0
	v_add_nc_u32_e32 v4, v2, v4
	v_cmpx_eq_u32_e64 v0, v77
; %bb.138:
	s_wait_alu 0xfffd
	s_delay_alu instid0(VALU_DEP_2)
	v_dual_cndmask_b32 v5, v4, v2 :: v_dual_cndmask_b32 v6, v3, v1
	v_lshlrev_b32_e32 v7, 3, v75
	ds_store_b64 v7, v[5:6]
; %bb.139:
	s_wait_alu 0xfffe
	s_or_b32 exec_lo, exec_lo, s1
	s_delay_alu instid0(SALU_CYCLE_1)
	s_mov_b32 s1, exec_lo
	s_wait_loadcnt_dscnt 0x0
	s_barrier_signal -1
	s_barrier_wait -1
	global_inv scope:SCOPE_SE
	v_cmpx_gt_u32_e32 8, v0
	s_cbranch_execz .LBB955_141
; %bb.140:
	v_lshlrev_b32_e32 v7, 3, v0
	v_and_b32_e32 v22, 7, v74
	ds_load_b64 v[5:6], v7
	v_cmp_eq_u32_e64 s0, 0, v22
	s_wait_dscnt 0x0
	v_mov_b32_dpp v8, v5 row_shr:1 row_mask:0xf bank_mask:0xf
	v_mov_b32_dpp v21, v6 row_shr:1 row_mask:0xf bank_mask:0xf
	s_delay_alu instid0(VALU_DEP_2) | instskip(NEXT) | instid1(VALU_DEP_2)
	v_add_nc_u32_e32 v8, v8, v5
	v_add_nc_u32_e32 v21, v21, v6
	s_wait_alu 0xf1ff
	s_delay_alu instid0(VALU_DEP_2) | instskip(NEXT) | instid1(VALU_DEP_2)
	v_cndmask_b32_e64 v5, v8, v5, s0
	v_cndmask_b32_e64 v6, v21, v6, s0
	v_cmp_lt_u32_e64 s0, 1, v22
	s_delay_alu instid0(VALU_DEP_3) | instskip(NEXT) | instid1(VALU_DEP_3)
	v_mov_b32_dpp v8, v5 row_shr:2 row_mask:0xf bank_mask:0xf
	v_mov_b32_dpp v21, v6 row_shr:2 row_mask:0xf bank_mask:0xf
	s_delay_alu instid0(VALU_DEP_2) | instskip(NEXT) | instid1(VALU_DEP_2)
	v_add_nc_u32_e32 v8, v5, v8
	v_add_nc_u32_e32 v21, v6, v21
	s_wait_alu 0xf1ff
	s_delay_alu instid0(VALU_DEP_2) | instskip(NEXT) | instid1(VALU_DEP_2)
	v_cndmask_b32_e64 v5, v5, v8, s0
	v_cndmask_b32_e64 v6, v6, v21, s0
	v_cmp_lt_u32_e64 s0, 3, v22
	s_delay_alu instid0(VALU_DEP_3) | instskip(NEXT) | instid1(VALU_DEP_3)
	v_mov_b32_dpp v8, v5 row_shr:4 row_mask:0xf bank_mask:0xf
	v_mov_b32_dpp v21, v6 row_shr:4 row_mask:0xf bank_mask:0xf
	s_wait_alu 0xf1ff
	s_delay_alu instid0(VALU_DEP_2) | instskip(NEXT) | instid1(VALU_DEP_2)
	v_cndmask_b32_e64 v8, 0, v8, s0
	v_cndmask_b32_e64 v21, 0, v21, s0
	s_delay_alu instid0(VALU_DEP_2) | instskip(NEXT) | instid1(VALU_DEP_2)
	v_add_nc_u32_e32 v5, v8, v5
	v_add_nc_u32_e32 v6, v21, v6
	ds_store_b64 v7, v[5:6]
.LBB955_141:
	s_wait_alu 0xfffe
	s_or_b32 exec_lo, exec_lo, s1
	v_dual_mov_b32 v7, 0 :: v_dual_mov_b32 v6, 0
	v_mov_b32_e32 v5, 0
	s_mov_b32 s1, exec_lo
	s_wait_loadcnt_dscnt 0x0
	s_barrier_signal -1
	s_barrier_wait -1
	global_inv scope:SCOPE_SE
	v_cmpx_lt_u32_e32 31, v0
; %bb.142:
	v_lshl_add_u32 v5, v75, 3, -8
	ds_load_b64 v[5:6], v5
; %bb.143:
	s_wait_alu 0xfffe
	s_or_b32 exec_lo, exec_lo, s1
	v_sub_co_u32 v8, s0, v74, 1
	v_dual_cndmask_b32 v2, v4, v2 :: v_dual_cndmask_b32 v1, v3, v1
	v_cmp_eq_u32_e32 vcc_lo, 0, v0
	s_delay_alu instid0(VALU_DEP_3) | instskip(SKIP_1) | instid1(VALU_DEP_3)
	v_cmp_gt_i32_e64 s1, 0, v8
	s_wait_dscnt 0x0
	v_add_nc_u32_e32 v2, v5, v2
	v_add_nc_u32_e32 v1, v6, v1
	s_wait_alu 0xf1ff
	v_cndmask_b32_e64 v4, v8, v74, s1
	s_delay_alu instid0(VALU_DEP_1)
	v_lshlrev_b32_e32 v3, 2, v4
	ds_bpermute_b32 v8, v3, v2
	ds_bpermute_b32 v21, v3, v1
	ds_load_b64 v[1:2], v7 offset:56
	s_and_saveexec_b32 s1, vcc_lo
	s_cbranch_execz .LBB955_145
; %bb.144:
	s_wait_kmcnt 0x0
	s_add_nc_u64 s[2:3], s[4:5], 0x200
	v_dual_mov_b32 v3, 2 :: v_dual_mov_b32 v4, 0
	s_wait_alu 0xfffe
	v_dual_mov_b32 v23, s3 :: v_dual_mov_b32 v22, s2
	s_wait_dscnt 0x0
	;;#ASMSTART
	global_store_b128 v[22:23], v[1:4] off scope:SCOPE_DEV	
s_wait_storecnt 0x0
	;;#ASMEND
.LBB955_145:
	s_wait_alu 0xfffe
	s_or_b32 exec_lo, exec_lo, s1
	s_wait_dscnt 0x1
	v_cndmask_b32_e64 v3, v21, v6, s0
	v_cndmask_b32_e64 v5, v8, v5, s0
	v_mov_b32_e32 v4, 0
	s_wait_loadcnt_dscnt 0x0
	s_barrier_signal -1
	v_cndmask_b32_e64 v81, v3, 0, vcc_lo
	v_cndmask_b32_e64 v82, v5, 0, vcc_lo
	v_mov_b32_e32 v3, 0
	s_barrier_wait -1
	global_inv scope:SCOPE_SE
.LBB955_146:
	v_lshrrev_b32_e32 v77, 8, v49
	s_delay_alu instid0(VALU_DEP_2)
	v_add_nc_u32_e32 v73, v81, v73
	s_wait_dscnt 0x0
	v_sub_nc_u32_e32 v81, v81, v4
	v_lshlrev_b32_e32 v84, 1, v1
	v_lshrrev_b32_e32 v75, 16, v49
	v_and_b32_e32 v77, 1, v77
	v_add_nc_u32_e32 v71, v73, v71
	v_add_nc_u32_e32 v81, v81, v1
	v_add3_u32 v87, v84, v2, v41
	v_and_b32_e32 v75, 1, v75
	v_cmp_eq_u32_e32 vcc_lo, 1, v77
	v_add_nc_u32_e32 v72, v82, v72
	v_sub_nc_u32_e32 v82, v82, v3
	v_sub_nc_u32_e32 v73, v73, v4
	v_lshrrev_b32_e32 v76, 8, v42
	v_lshrrev_b32_e32 v74, 16, v42
	v_and_b32_e32 v42, 1, v42
	v_add_nc_u32_e32 v41, v82, v81
	v_add_nc_u32_e32 v73, v73, v1
	v_and_b32_e32 v76, 1, v76
	s_wait_kmcnt 0x0
	v_add_co_u32 v5, s0, s28, v3
	v_sub_nc_u32_e32 v41, v87, v41
	s_wait_alu 0xf1ff
	v_add_co_ci_u32_e64 v6, null, s29, 0, s0
	v_sub_co_u32 v80, s0, s30, v1
	s_wait_alu 0xfffd
	v_cndmask_b32_e32 v41, v41, v81, vcc_lo
	v_cmp_eq_u32_e32 vcc_lo, 1, v75
	v_add_nc_u32_e32 v78, v71, v55
	v_sub_nc_u32_e32 v71, v71, v4
	s_wait_alu 0xf1ff
	v_sub_co_ci_u32_e64 v83, null, s31, 0, s0
	v_and_b32_e32 v55, 1, v55
	v_and_b32_e32 v74, 1, v74
	v_add_nc_u32_e32 v71, v71, v1
	v_add_nc_u32_e32 v70, v72, v70
	v_sub_nc_u32_e32 v72, v72, v3
	v_lshrrev_b32_e32 v26, 8, v43
	v_lshrrev_b32_e32 v25, 16, v43
	v_and_b32_e32 v43, 1, v43
	v_lshrrev_b32_e32 v23, 16, v44
	v_add_nc_u32_e32 v88, v73, v72
	v_and_b32_e32 v26, 1, v26
	v_lshrrev_b32_e32 v24, 8, v44
	v_and_b32_e32 v44, 1, v44
	v_lshrrev_b32_e32 v8, 16, v46
	v_sub_nc_u32_e32 v88, v87, v88
	v_lshrrev_b32_e32 v22, 8, v46
	v_and_b32_e32 v24, 1, v24
	v_lshrrev_b32_e32 v21, 8, v47
	v_and_b32_e32 v8, 1, v8
	v_add_nc_u32_e32 v88, 1, v88
	v_and_b32_e32 v22, 1, v22
	v_lshrrev_b32_e32 v7, 16, v47
	s_mov_b32 s41, 0
	s_wait_alu 0xfffd
	v_cndmask_b32_e32 v73, v88, v73, vcc_lo
	v_cmp_eq_u32_e32 vcc_lo, 1, v42
	v_add_nc_u32_e32 v68, v78, v68
	v_and_b32_e32 v7, 1, v7
	s_wait_alu 0xfffd
	v_cndmask_b32_e32 v81, v41, v82, vcc_lo
	v_cmp_eq_u32_e32 vcc_lo, 1, v76
	v_add_nc_u32_e32 v69, v70, v69
	v_sub_nc_u32_e32 v70, v70, v3
	v_sub_nc_u32_e32 v76, v78, v4
	s_wait_alu 0xfffd
	v_dual_cndmask_b32 v72, v73, v72 :: v_dual_add_nc_u32 v67, v68, v67
	v_add_co_u32 v41, vcc_lo, v80, v4
	v_add_nc_u32_e32 v75, v71, v70
	s_wait_alu 0xfffd
	v_add_co_ci_u32_e64 v42, null, 0, v83, vcc_lo
	v_cmp_eq_u32_e32 vcc_lo, 1, v55
	v_add_nc_u32_e32 v79, v69, v54
	v_sub_nc_u32_e32 v73, v87, v75
	v_sub_nc_u32_e32 v69, v69, v3
	;; [unrolled: 1-line block ×3, first 2 shown]
	v_lshlrev_b32_e32 v75, 2, v81
	v_lshlrev_b32_e32 v72, 2, v72
	v_add_nc_u32_e32 v73, 2, v73
	ds_store_b32 v75, v19
	ds_store_b32 v72, v20
	s_wait_alu 0xfffd
	v_dual_cndmask_b32 v55, v73, v71 :: v_dual_add_nc_u32 v68, v68, v1
	v_add_nc_u32_e32 v71, v76, v1
	v_cmp_eq_u32_e32 vcc_lo, 1, v74
	v_and_b32_e32 v54, 1, v54
	s_delay_alu instid0(VALU_DEP_3) | instskip(SKIP_4) | instid1(VALU_DEP_3)
	v_add_nc_u32_e32 v73, v69, v71
	s_wait_alu 0xfffd
	v_cndmask_b32_e32 v55, v55, v70, vcc_lo
	v_sub_nc_u32_e32 v70, v79, v3
	v_cmp_eq_u32_e32 vcc_lo, 1, v43
	v_lshlrev_b32_e32 v19, 2, v55
	s_delay_alu instid0(VALU_DEP_3)
	v_add_nc_u32_e32 v20, v70, v68
	v_sub_nc_u32_e32 v55, v87, v73
	ds_store_b32 v19, v17
	v_sub_nc_u32_e32 v20, v87, v20
	v_add_nc_u32_e32 v55, 3, v55
	v_and_b32_e32 v19, 1, v25
	s_wait_alu 0xfffd
	s_delay_alu instid0(VALU_DEP_2) | instskip(SKIP_2) | instid1(VALU_DEP_2)
	v_dual_cndmask_b32 v43, v55, v71 :: v_dual_add_nc_u32 v20, 4, v20
	v_cmp_eq_u32_e32 vcc_lo, 1, v26
	s_wait_alu 0xfffd
	v_cndmask_b32_e32 v20, v20, v68, vcc_lo
	v_cmp_eq_u32_e32 vcc_lo, 1, v54
	s_wait_alu 0xfffd
	v_cndmask_b32_e32 v26, v43, v69, vcc_lo
	v_cmp_eq_u32_e32 vcc_lo, 1, v44
	v_add_nc_u32_e32 v65, v67, v65
	v_sub_nc_u32_e32 v67, v67, v4
	s_delay_alu instid0(VALU_DEP_4)
	v_lshlrev_b32_e32 v17, 2, v26
	s_wait_alu 0xfffd
	v_cndmask_b32_e32 v20, v20, v70, vcc_lo
	v_cmp_eq_u32_e32 vcc_lo, 1, v19
	v_add_nc_u32_e32 v67, v67, v1
	v_add_nc_u32_e32 v66, v79, v66
	;; [unrolled: 1-line block ×3, first 2 shown]
	v_sub_nc_u32_e32 v26, v65, v4
	v_lshlrev_b32_e32 v20, 2, v20
	ds_store_b32 v17, v18
	ds_store_b32 v20, v15
	v_add_nc_u32_e32 v64, v66, v64
	v_sub_nc_u32_e32 v66, v66, v3
	v_add_nc_u32_e32 v26, v26, v1
	v_add_nc_u32_e32 v63, v85, v63
	v_and_b32_e32 v20, 1, v53
	s_delay_alu instid0(VALU_DEP_4) | instskip(NEXT) | instid1(VALU_DEP_1)
	v_add_nc_u32_e32 v55, v66, v67
	v_sub_nc_u32_e32 v43, v87, v55
	s_delay_alu instid0(VALU_DEP_1) | instskip(SKIP_2) | instid1(VALU_DEP_2)
	v_add_nc_u32_e32 v25, 5, v43
	v_sub_nc_u32_e32 v43, v85, v4
	s_wait_alu 0xfffd
	v_cndmask_b32_e32 v19, v25, v67, vcc_lo
	v_cmp_eq_u32_e32 vcc_lo, 1, v24
	s_delay_alu instid0(VALU_DEP_3) | instskip(SKIP_1) | instid1(VALU_DEP_3)
	v_add_nc_u32_e32 v43, v43, v1
	s_wait_alu 0xfffd
	v_cndmask_b32_e32 v19, v19, v66, vcc_lo
	v_add_nc_u32_e32 v59, v64, v59
	v_sub_nc_u32_e32 v25, v64, v3
	v_cmp_eq_u32_e32 vcc_lo, 1, v20
	v_and_b32_e32 v20, 1, v52
	v_lshlrev_b32_e32 v15, 2, v19
	v_sub_nc_u32_e32 v24, v59, v3
	v_add_nc_u32_e32 v44, v25, v26
	v_add_nc_u32_e32 v86, v59, v52
	v_and_b32_e32 v19, 1, v23
	v_sub_nc_u32_e32 v23, v63, v4
	v_add_nc_u32_e32 v17, v24, v43
	v_sub_nc_u32_e32 v18, v87, v44
	v_and_b32_e32 v44, 1, v46
	v_sub_nc_u32_e32 v46, v86, v3
	v_add_nc_u32_e32 v23, v23, v1
	v_sub_nc_u32_e32 v17, v87, v17
	v_add_nc_u32_e32 v18, 6, v18
	v_add_nc_u32_e32 v61, v86, v61
	s_wait_alu 0xfffd
	s_delay_alu instid0(VALU_DEP_2)
	v_dual_cndmask_b32 v18, v18, v26 :: v_dual_add_nc_u32 v17, 7, v17
	v_cmp_eq_u32_e32 vcc_lo, 1, v44
	v_add_nc_u32_e32 v26, v46, v23
	v_add_nc_u32_e32 v58, v61, v58
	s_wait_alu 0xfffd
	v_cndmask_b32_e32 v17, v17, v43, vcc_lo
	v_cmp_eq_u32_e32 vcc_lo, 1, v19
	v_sub_nc_u32_e32 v19, v87, v26
	s_wait_alu 0xfffd
	v_cndmask_b32_e32 v18, v18, v25, vcc_lo
	v_cmp_eq_u32_e32 vcc_lo, 1, v20
	v_add_nc_u32_e32 v62, v63, v62
	v_add_nc_u32_e32 v19, 8, v19
	v_sub_nc_u32_e32 v25, v61, v3
	s_wait_alu 0xfffd
	v_dual_cndmask_b32 v17, v17, v24 :: v_dual_lshlrev_b32 v18, 2, v18
	v_sub_nc_u32_e32 v20, v62, v4
	v_and_b32_e32 v24, 1, v47
	v_cmp_eq_u32_e32 vcc_lo, 1, v22
	s_delay_alu instid0(VALU_DEP_4) | instskip(NEXT) | instid1(VALU_DEP_4)
	v_lshlrev_b32_e32 v17, 2, v17
	v_add_nc_u32_e32 v20, v20, v1
	ds_store_b32 v15, v16
	ds_store_b32 v18, v13
	;; [unrolled: 1-line block ×3, first 2 shown]
	s_wait_alu 0xfffd
	v_cndmask_b32_e32 v19, v19, v23, vcc_lo
	v_cmp_eq_u32_e32 vcc_lo, 1, v24
	v_add_nc_u32_e32 v60, v62, v60
	v_add_nc_u32_e32 v22, v25, v20
	v_sub_nc_u32_e32 v17, v58, v3
	v_and_b32_e32 v15, 1, v21
	s_wait_alu 0xfffd
	v_cndmask_b32_e32 v19, v19, v46, vcc_lo
	v_sub_nc_u32_e32 v16, v60, v4
	v_sub_nc_u32_e32 v13, v87, v22
	v_cmp_eq_u32_e32 vcc_lo, 1, v8
	v_add_nc_u32_e32 v89, v60, v51
	v_lshlrev_b32_e32 v14, 2, v19
	v_add_nc_u32_e32 v16, v16, v1
	v_add_nc_u32_e32 v13, 9, v13
	s_delay_alu instid0(VALU_DEP_4)
	v_sub_nc_u32_e32 v18, v89, v4
	ds_store_b32 v14, v11
	v_add_nc_u32_e32 v19, v17, v16
	s_wait_alu 0xfffd
	v_cndmask_b32_e32 v8, v13, v20, vcc_lo
	v_cmp_eq_u32_e32 vcc_lo, 1, v15
	v_and_b32_e32 v15, 1, v51
	v_and_b32_e32 v20, 1, v45
	v_sub_nc_u32_e32 v14, v87, v19
	v_add_nc_u32_e32 v18, v18, v1
	s_wait_alu 0xfffd
	v_cndmask_b32_e32 v8, v8, v25, vcc_lo
	v_cmp_eq_u32_e32 vcc_lo, 1, v15
	v_add_nc_u32_e32 v57, v89, v57
	v_add_nc_u32_e32 v14, 10, v14
	v_and_b32_e32 v15, 1, v50
	v_lshlrev_b32_e32 v8, 2, v8
	s_delay_alu instid0(VALU_DEP_4)
	v_sub_nc_u32_e32 v19, v57, v4
	s_wait_alu 0xfffd
	v_cndmask_b32_e32 v14, v14, v16, vcc_lo
	v_cmp_eq_u32_e32 vcc_lo, 1, v20
	v_add_nc_u32_e32 v56, v58, v56
	v_add_nc_u32_e32 v19, v19, v1
	s_delay_alu instid0(VALU_DEP_2) | instskip(NEXT) | instid1(VALU_DEP_1)
	v_sub_nc_u32_e32 v13, v56, v3
	v_add_nc_u32_e32 v11, v13, v18
	s_delay_alu instid0(VALU_DEP_1) | instskip(NEXT) | instid1(VALU_DEP_1)
	v_sub_nc_u32_e32 v11, v87, v11
	v_add_nc_u32_e32 v11, 11, v11
	s_wait_alu 0xfffd
	s_delay_alu instid0(VALU_DEP_1) | instskip(SKIP_2) | instid1(VALU_DEP_2)
	v_cndmask_b32_e32 v11, v11, v18, vcc_lo
	v_add_nc_u32_e32 v77, v56, v50
	v_cmp_eq_u32_e32 vcc_lo, 1, v7
	v_sub_nc_u32_e32 v3, v77, v3
	s_wait_alu 0xfffd
	v_cndmask_b32_e32 v7, v14, v17, vcc_lo
	v_cmp_eq_u32_e32 vcc_lo, 1, v15
	v_and_b32_e32 v15, 1, v49
	v_add_nc_u32_e32 v16, v3, v19
	s_delay_alu instid0(VALU_DEP_4) | instskip(SKIP_4) | instid1(VALU_DEP_3)
	v_lshlrev_b32_e32 v7, 2, v7
	s_wait_alu 0xfffd
	v_cndmask_b32_e32 v11, v11, v13, vcc_lo
	v_and_b32_e32 v13, 1, v48
	v_sub_nc_u32_e32 v14, v87, v16
	v_lshlrev_b32_e32 v11, 2, v11
	s_delay_alu instid0(VALU_DEP_3)
	v_cmp_eq_u32_e32 vcc_lo, 1, v13
	ds_store_b32 v8, v12
	ds_store_b32 v7, v9
	;; [unrolled: 1-line block ×3, first 2 shown]
	v_add_nc_u32_e32 v14, 12, v14
	v_add_co_u32 v7, s0, v2, v84
	s_wait_alu 0xf1ff
	v_add_co_ci_u32_e64 v8, null, 0, 0, s0
	s_wait_alu 0xfffd
	v_cndmask_b32_e32 v13, v14, v19, vcc_lo
	v_cmp_eq_u32_e32 vcc_lo, 1, v15
	s_wait_alu 0xfffe
	s_add_nc_u64 s[0:1], s[34:35], s[40:41]
	v_lshlrev_b64_e32 v[9:10], 2, v[5:6]
	v_add_nc_u32_e32 v12, v1, v2
	s_wait_alu 0xfffd
	v_cndmask_b32_e32 v3, v13, v3, vcc_lo
	v_add_co_u32 v7, vcc_lo, v7, v41
	s_wait_alu 0xfffd
	v_add_co_ci_u32_e64 v8, null, v8, v42, vcc_lo
	s_delay_alu instid0(VALU_DEP_3)
	v_lshlrev_b32_e32 v3, 2, v3
	ds_store_b32 v3, v40
	v_add_co_u32 v3, vcc_lo, v7, v5
	s_wait_alu 0xfffd
	v_add_co_ci_u32_e64 v7, null, v8, v6, vcc_lo
	s_wait_loadcnt_dscnt 0x0
	s_wait_alu 0xfffe
	v_sub_co_u32 v3, vcc_lo, s0, v3
	s_wait_alu 0xfffd
	v_sub_co_ci_u32_e64 v11, null, s1, v7, vcc_lo
	v_lshlrev_b64_e32 v[7:8], 2, v[41:42]
	v_add_co_u32 v9, s0, s36, v9
	s_wait_alu 0xf1ff
	v_add_co_ci_u32_e64 v10, null, s37, v10, s0
	s_mov_b32 s0, -1
	v_add_co_u32 v7, vcc_lo, s38, v7
	s_wait_alu 0xfffd
	v_add_co_ci_u32_e64 v8, null, s39, v8, vcc_lo
	v_cmp_ne_u32_e32 vcc_lo, 1, v39
	s_barrier_signal -1
	s_barrier_wait -1
	global_inv scope:SCOPE_SE
	s_cbranch_vccz .LBB955_150
; %bb.147:
	s_wait_alu 0xfffe
	s_and_b32 vcc_lo, exec_lo, s0
	s_wait_alu 0xfffe
	s_cbranch_vccnz .LBB955_255
.LBB955_148:
	v_cmp_eq_u32_e32 vcc_lo, 0, v0
	s_and_b32 s0, vcc_lo, s15
	s_wait_alu 0xfffe
	s_and_saveexec_b32 s1, s0
	s_cbranch_execnz .LBB955_373
.LBB955_149:
	s_endpgm
.LBB955_150:
	s_mov_b32 s0, exec_lo
	v_cmpx_ge_u32_e64 v0, v1
	s_wait_alu 0xfffe
	s_xor_b32 s0, exec_lo, s0
	s_cbranch_execz .LBB955_156
; %bb.151:
	s_mov_b32 s1, exec_lo
	v_cmpx_ge_u32_e64 v0, v12
	s_wait_alu 0xfffe
	s_xor_b32 s1, exec_lo, s1
	s_cbranch_execz .LBB955_153
; %bb.152:
	v_lshlrev_b32_e32 v13, 2, v0
	ds_load_b32 v15, v13
	v_add_co_u32 v13, vcc_lo, v3, v0
	s_wait_alu 0xfffd
	v_add_co_ci_u32_e64 v14, null, 0, v11, vcc_lo
	s_delay_alu instid0(VALU_DEP_1) | instskip(NEXT) | instid1(VALU_DEP_1)
	v_lshlrev_b64_e32 v[13:14], 2, v[13:14]
	v_sub_co_u32 v13, vcc_lo, s26, v13
	s_wait_alu 0xfffd
	s_delay_alu instid0(VALU_DEP_2)
	v_sub_co_ci_u32_e64 v14, null, s27, v14, vcc_lo
	s_wait_dscnt 0x0
	global_store_b32 v[13:14], v15, off offset:-4
.LBB955_153:
	s_wait_alu 0xfffe
	s_and_not1_saveexec_b32 s1, s1
	s_cbranch_execz .LBB955_155
; %bb.154:
	v_lshlrev_b32_e32 v13, 2, v0
	v_readfirstlane_b32 s2, v7
	v_readfirstlane_b32 s3, v8
	ds_load_b32 v14, v13
	s_wait_dscnt 0x0
	global_store_b32 v13, v14, s[2:3]
.LBB955_155:
	s_wait_alu 0xfffe
	s_or_b32 exec_lo, exec_lo, s1
.LBB955_156:
	s_wait_alu 0xfffe
	s_and_not1_saveexec_b32 s0, s0
	s_cbranch_execz .LBB955_158
; %bb.157:
	v_lshlrev_b32_e32 v13, 2, v0
	v_readfirstlane_b32 s2, v9
	v_readfirstlane_b32 s3, v10
	ds_load_b32 v14, v13
	s_wait_dscnt 0x0
	global_store_b32 v13, v14, s[2:3]
.LBB955_158:
	s_wait_alu 0xfffe
	s_or_b32 exec_lo, exec_lo, s0
	s_delay_alu instid0(SALU_CYCLE_1)
	s_mov_b32 s0, exec_lo
	v_cmpx_ge_u32_e64 v38, v1
	s_wait_alu 0xfffe
	s_xor_b32 s0, exec_lo, s0
	s_cbranch_execz .LBB955_164
; %bb.159:
	s_mov_b32 s1, exec_lo
	v_cmpx_ge_u32_e64 v38, v12
	s_wait_alu 0xfffe
	s_xor_b32 s1, exec_lo, s1
	s_cbranch_execz .LBB955_161
; %bb.160:
	v_lshlrev_b32_e32 v13, 2, v0
	ds_load_b32 v15, v13 offset:1024
	v_add_co_u32 v13, vcc_lo, v3, v0
	s_wait_alu 0xfffd
	v_add_co_ci_u32_e64 v14, null, 0, v11, vcc_lo
	s_delay_alu instid0(VALU_DEP_1) | instskip(NEXT) | instid1(VALU_DEP_1)
	v_lshlrev_b64_e32 v[13:14], 2, v[13:14]
	v_sub_co_u32 v13, vcc_lo, s26, v13
	s_wait_alu 0xfffd
	s_delay_alu instid0(VALU_DEP_2)
	v_sub_co_ci_u32_e64 v14, null, s27, v14, vcc_lo
	s_wait_dscnt 0x0
	global_store_b32 v[13:14], v15, off offset:-1028
.LBB955_161:
	s_wait_alu 0xfffe
	s_and_not1_saveexec_b32 s1, s1
	s_cbranch_execz .LBB955_163
; %bb.162:
	v_lshlrev_b32_e32 v13, 2, v0
	v_readfirstlane_b32 s2, v7
	v_readfirstlane_b32 s3, v8
	ds_load_b32 v14, v13 offset:1024
	s_wait_dscnt 0x0
	global_store_b32 v13, v14, s[2:3] offset:1024
.LBB955_163:
	s_wait_alu 0xfffe
	s_or_b32 exec_lo, exec_lo, s1
.LBB955_164:
	s_wait_alu 0xfffe
	s_and_not1_saveexec_b32 s0, s0
	s_cbranch_execz .LBB955_166
; %bb.165:
	v_lshlrev_b32_e32 v13, 2, v0
	v_readfirstlane_b32 s2, v9
	v_readfirstlane_b32 s3, v10
	ds_load_b32 v14, v13 offset:1024
	s_wait_dscnt 0x0
	global_store_b32 v13, v14, s[2:3] offset:1024
.LBB955_166:
	s_wait_alu 0xfffe
	s_or_b32 exec_lo, exec_lo, s0
	s_delay_alu instid0(SALU_CYCLE_1)
	s_mov_b32 s0, exec_lo
	v_cmpx_ge_u32_e64 v37, v1
	s_wait_alu 0xfffe
	s_xor_b32 s0, exec_lo, s0
	s_cbranch_execz .LBB955_172
; %bb.167:
	s_mov_b32 s1, exec_lo
	v_cmpx_ge_u32_e64 v37, v12
	s_wait_alu 0xfffe
	s_xor_b32 s1, exec_lo, s1
	s_cbranch_execz .LBB955_169
; %bb.168:
	v_lshlrev_b32_e32 v13, 2, v0
	ds_load_b32 v15, v13 offset:2048
	v_add_co_u32 v13, vcc_lo, v3, v0
	s_wait_alu 0xfffd
	v_add_co_ci_u32_e64 v14, null, 0, v11, vcc_lo
	s_delay_alu instid0(VALU_DEP_1) | instskip(NEXT) | instid1(VALU_DEP_1)
	v_lshlrev_b64_e32 v[13:14], 2, v[13:14]
	v_sub_co_u32 v13, vcc_lo, s26, v13
	s_wait_alu 0xfffd
	s_delay_alu instid0(VALU_DEP_2)
	v_sub_co_ci_u32_e64 v14, null, s27, v14, vcc_lo
	s_wait_dscnt 0x0
	global_store_b32 v[13:14], v15, off offset:-2052
.LBB955_169:
	s_wait_alu 0xfffe
	s_and_not1_saveexec_b32 s1, s1
	s_cbranch_execz .LBB955_171
; %bb.170:
	v_lshlrev_b32_e32 v13, 2, v0
	v_readfirstlane_b32 s2, v7
	v_readfirstlane_b32 s3, v8
	ds_load_b32 v14, v13 offset:2048
	s_wait_dscnt 0x0
	global_store_b32 v13, v14, s[2:3] offset:2048
.LBB955_171:
	s_wait_alu 0xfffe
	s_or_b32 exec_lo, exec_lo, s1
.LBB955_172:
	s_wait_alu 0xfffe
	s_and_not1_saveexec_b32 s0, s0
	s_cbranch_execz .LBB955_174
; %bb.173:
	v_lshlrev_b32_e32 v13, 2, v0
	v_readfirstlane_b32 s2, v9
	v_readfirstlane_b32 s3, v10
	ds_load_b32 v14, v13 offset:2048
	s_wait_dscnt 0x0
	global_store_b32 v13, v14, s[2:3] offset:2048
.LBB955_174:
	;; [unrolled: 54-line block ×12, first 2 shown]
	s_wait_alu 0xfffe
	s_or_b32 exec_lo, exec_lo, s0
	s_branch .LBB955_148
.LBB955_255:
	s_mov_b32 s0, exec_lo
	v_cmpx_gt_u32_e64 s33, v0
	s_cbranch_execz .LBB955_264
; %bb.256:
	s_mov_b32 s1, exec_lo
	v_cmpx_ge_u32_e64 v0, v1
	s_wait_alu 0xfffe
	s_xor_b32 s1, exec_lo, s1
	s_cbranch_execz .LBB955_262
; %bb.257:
	s_mov_b32 s2, exec_lo
	v_cmpx_ge_u32_e64 v0, v12
	s_wait_alu 0xfffe
	s_xor_b32 s2, exec_lo, s2
	s_cbranch_execz .LBB955_259
; %bb.258:
	v_lshlrev_b32_e32 v13, 2, v0
	ds_load_b32 v15, v13
	v_add_co_u32 v13, vcc_lo, v3, v0
	s_wait_alu 0xfffd
	v_add_co_ci_u32_e64 v14, null, 0, v11, vcc_lo
	s_delay_alu instid0(VALU_DEP_1) | instskip(NEXT) | instid1(VALU_DEP_1)
	v_lshlrev_b64_e32 v[13:14], 2, v[13:14]
	v_sub_co_u32 v13, vcc_lo, s26, v13
	s_wait_alu 0xfffd
	s_delay_alu instid0(VALU_DEP_2)
	v_sub_co_ci_u32_e64 v14, null, s27, v14, vcc_lo
	s_wait_dscnt 0x0
	global_store_b32 v[13:14], v15, off offset:-4
.LBB955_259:
	s_wait_alu 0xfffe
	s_and_not1_saveexec_b32 s2, s2
	s_cbranch_execz .LBB955_261
; %bb.260:
	v_lshlrev_b32_e32 v13, 2, v0
	v_readfirstlane_b32 s4, v7
	v_readfirstlane_b32 s5, v8
	ds_load_b32 v14, v13
	s_wait_dscnt 0x0
	global_store_b32 v13, v14, s[4:5]
.LBB955_261:
	s_wait_alu 0xfffe
	s_or_b32 exec_lo, exec_lo, s2
.LBB955_262:
	s_wait_alu 0xfffe
	s_and_not1_saveexec_b32 s1, s1
	s_cbranch_execz .LBB955_264
; %bb.263:
	v_lshlrev_b32_e32 v13, 2, v0
	v_readfirstlane_b32 s2, v9
	v_readfirstlane_b32 s3, v10
	ds_load_b32 v14, v13
	s_wait_dscnt 0x0
	global_store_b32 v13, v14, s[2:3]
.LBB955_264:
	s_wait_alu 0xfffe
	s_or_b32 exec_lo, exec_lo, s0
	s_delay_alu instid0(SALU_CYCLE_1)
	s_mov_b32 s0, exec_lo
	v_cmpx_gt_u32_e64 s33, v38
	s_cbranch_execz .LBB955_273
; %bb.265:
	s_mov_b32 s1, exec_lo
	v_cmpx_ge_u32_e64 v38, v1
	s_wait_alu 0xfffe
	s_xor_b32 s1, exec_lo, s1
	s_cbranch_execz .LBB955_271
; %bb.266:
	s_mov_b32 s2, exec_lo
	v_cmpx_ge_u32_e64 v38, v12
	s_wait_alu 0xfffe
	s_xor_b32 s2, exec_lo, s2
	s_cbranch_execz .LBB955_268
; %bb.267:
	v_lshlrev_b32_e32 v13, 2, v0
	ds_load_b32 v15, v13 offset:1024
	v_add_co_u32 v13, vcc_lo, v3, v0
	s_wait_alu 0xfffd
	v_add_co_ci_u32_e64 v14, null, 0, v11, vcc_lo
	s_delay_alu instid0(VALU_DEP_1) | instskip(NEXT) | instid1(VALU_DEP_1)
	v_lshlrev_b64_e32 v[13:14], 2, v[13:14]
	v_sub_co_u32 v13, vcc_lo, s26, v13
	s_wait_alu 0xfffd
	s_delay_alu instid0(VALU_DEP_2)
	v_sub_co_ci_u32_e64 v14, null, s27, v14, vcc_lo
	s_wait_dscnt 0x0
	global_store_b32 v[13:14], v15, off offset:-1028
.LBB955_268:
	s_wait_alu 0xfffe
	s_and_not1_saveexec_b32 s2, s2
	s_cbranch_execz .LBB955_270
; %bb.269:
	v_lshlrev_b32_e32 v13, 2, v0
	v_readfirstlane_b32 s4, v7
	v_readfirstlane_b32 s5, v8
	ds_load_b32 v14, v13 offset:1024
	s_wait_dscnt 0x0
	global_store_b32 v13, v14, s[4:5] offset:1024
.LBB955_270:
	s_wait_alu 0xfffe
	s_or_b32 exec_lo, exec_lo, s2
.LBB955_271:
	s_wait_alu 0xfffe
	s_and_not1_saveexec_b32 s1, s1
	s_cbranch_execz .LBB955_273
; %bb.272:
	v_lshlrev_b32_e32 v13, 2, v0
	v_readfirstlane_b32 s2, v9
	v_readfirstlane_b32 s3, v10
	ds_load_b32 v14, v13 offset:1024
	s_wait_dscnt 0x0
	global_store_b32 v13, v14, s[2:3] offset:1024
.LBB955_273:
	s_wait_alu 0xfffe
	s_or_b32 exec_lo, exec_lo, s0
	s_delay_alu instid0(SALU_CYCLE_1)
	s_mov_b32 s0, exec_lo
	v_cmpx_gt_u32_e64 s33, v37
	s_cbranch_execz .LBB955_282
; %bb.274:
	s_mov_b32 s1, exec_lo
	v_cmpx_ge_u32_e64 v37, v1
	s_wait_alu 0xfffe
	s_xor_b32 s1, exec_lo, s1
	s_cbranch_execz .LBB955_280
; %bb.275:
	s_mov_b32 s2, exec_lo
	v_cmpx_ge_u32_e64 v37, v12
	s_wait_alu 0xfffe
	s_xor_b32 s2, exec_lo, s2
	s_cbranch_execz .LBB955_277
; %bb.276:
	v_lshlrev_b32_e32 v13, 2, v0
	ds_load_b32 v15, v13 offset:2048
	v_add_co_u32 v13, vcc_lo, v3, v0
	s_wait_alu 0xfffd
	v_add_co_ci_u32_e64 v14, null, 0, v11, vcc_lo
	s_delay_alu instid0(VALU_DEP_1) | instskip(NEXT) | instid1(VALU_DEP_1)
	v_lshlrev_b64_e32 v[13:14], 2, v[13:14]
	v_sub_co_u32 v13, vcc_lo, s26, v13
	s_wait_alu 0xfffd
	s_delay_alu instid0(VALU_DEP_2)
	v_sub_co_ci_u32_e64 v14, null, s27, v14, vcc_lo
	s_wait_dscnt 0x0
	global_store_b32 v[13:14], v15, off offset:-2052
.LBB955_277:
	s_wait_alu 0xfffe
	s_and_not1_saveexec_b32 s2, s2
	s_cbranch_execz .LBB955_279
; %bb.278:
	v_lshlrev_b32_e32 v13, 2, v0
	v_readfirstlane_b32 s4, v7
	v_readfirstlane_b32 s5, v8
	ds_load_b32 v14, v13 offset:2048
	s_wait_dscnt 0x0
	global_store_b32 v13, v14, s[4:5] offset:2048
.LBB955_279:
	s_wait_alu 0xfffe
	s_or_b32 exec_lo, exec_lo, s2
.LBB955_280:
	s_wait_alu 0xfffe
	s_and_not1_saveexec_b32 s1, s1
	s_cbranch_execz .LBB955_282
; %bb.281:
	v_lshlrev_b32_e32 v13, 2, v0
	v_readfirstlane_b32 s2, v9
	v_readfirstlane_b32 s3, v10
	ds_load_b32 v14, v13 offset:2048
	s_wait_dscnt 0x0
	global_store_b32 v13, v14, s[2:3] offset:2048
.LBB955_282:
	;; [unrolled: 58-line block ×11, first 2 shown]
	s_wait_alu 0xfffe
	s_or_b32 exec_lo, exec_lo, s0
	s_delay_alu instid0(SALU_CYCLE_1)
	s_mov_b32 s0, exec_lo
	v_cmpx_gt_u32_e64 s33, v27
	s_cbranch_execz .LBB955_372
; %bb.364:
	s_mov_b32 s1, exec_lo
	v_cmpx_ge_u32_e64 v27, v1
	s_wait_alu 0xfffe
	s_xor_b32 s1, exec_lo, s1
	s_cbranch_execz .LBB955_370
; %bb.365:
	s_mov_b32 s2, exec_lo
	v_cmpx_ge_u32_e64 v27, v12
	s_wait_alu 0xfffe
	s_xor_b32 s2, exec_lo, s2
	s_cbranch_execz .LBB955_367
; %bb.366:
	v_lshlrev_b32_e32 v7, 2, v0
	ds_load_b32 v9, v7 offset:12288
	v_add_co_u32 v7, vcc_lo, v3, v0
	s_wait_alu 0xfffd
	v_add_co_ci_u32_e64 v8, null, 0, v11, vcc_lo
	s_delay_alu instid0(VALU_DEP_1) | instskip(NEXT) | instid1(VALU_DEP_1)
	v_lshlrev_b64_e32 v[7:8], 2, v[7:8]
	v_sub_co_u32 v7, vcc_lo, s26, v7
	s_wait_alu 0xfffd
	s_delay_alu instid0(VALU_DEP_2)
	v_sub_co_ci_u32_e64 v8, null, s27, v8, vcc_lo
	s_wait_dscnt 0x0
	global_store_b32 v[7:8], v9, off offset:-12292
                                        ; implicit-def: $vgpr7_vgpr8
.LBB955_367:
	s_wait_alu 0xfffe
	s_and_not1_saveexec_b32 s2, s2
	s_cbranch_execz .LBB955_369
; %bb.368:
	v_lshlrev_b32_e32 v3, 2, v0
	v_readfirstlane_b32 s4, v7
	v_readfirstlane_b32 s5, v8
	ds_load_b32 v9, v3 offset:12288
	s_wait_dscnt 0x0
	global_store_b32 v3, v9, s[4:5] offset:12288
.LBB955_369:
	s_wait_alu 0xfffe
	s_or_b32 exec_lo, exec_lo, s2
                                        ; implicit-def: $vgpr9_vgpr10
.LBB955_370:
	s_wait_alu 0xfffe
	s_and_not1_saveexec_b32 s1, s1
	s_cbranch_execz .LBB955_372
; %bb.371:
	v_lshlrev_b32_e32 v3, 2, v0
	v_readfirstlane_b32 s2, v9
	v_readfirstlane_b32 s3, v10
	ds_load_b32 v7, v3 offset:12288
	s_wait_dscnt 0x0
	global_store_b32 v3, v7, s[2:3] offset:12288
.LBB955_372:
	s_wait_alu 0xfffe
	s_or_b32 exec_lo, exec_lo, s0
	v_cmp_eq_u32_e32 vcc_lo, 0, v0
	s_and_b32 s0, vcc_lo, s15
	s_wait_alu 0xfffe
	s_and_saveexec_b32 s1, s0
	s_cbranch_execz .LBB955_149
.LBB955_373:
	v_add_co_u32 v0, s0, s30, v2
	s_wait_alu 0xf1ff
	v_add_co_ci_u32_e64 v3, null, s31, 0, s0
	v_mov_b32_e32 v7, 0
	s_delay_alu instid0(VALU_DEP_3) | instskip(SKIP_1) | instid1(VALU_DEP_3)
	v_add_co_u32 v2, vcc_lo, v0, v4
	s_wait_alu 0xfffd
	v_add_co_ci_u32_e64 v3, null, 0, v3, vcc_lo
	v_add_co_u32 v0, vcc_lo, v5, v1
	s_wait_alu 0xfffd
	v_add_co_ci_u32_e64 v1, null, 0, v6, vcc_lo
	global_store_b128 v7, v[0:3], s[24:25]
	s_endpgm
.LBB955_374:
	s_add_co_i32 s8, ttmp9, 32
	s_mov_b32 s9, 0
	v_dual_mov_b32 v7, 2 :: v_dual_add_nc_u32 v6, v4, v2
	s_wait_alu 0xfffe
	s_lshl_b64 s[8:9], s[8:9], 4
	v_dual_mov_b32 v8, 0 :: v_dual_add_nc_u32 v5, v3, v1
	s_wait_alu 0xfffe
	s_add_nc_u64 s[8:9], s[4:5], s[8:9]
	s_wait_alu 0xfffe
	v_dual_mov_b32 v24, s9 :: v_dual_mov_b32 v23, s8
	;;#ASMSTART
	global_store_b128 v[23:24], v[5:8] off scope:SCOPE_DEV	
s_wait_storecnt 0x0
	;;#ASMEND
	s_or_b32 exec_lo, exec_lo, s6
	s_and_saveexec_b32 s6, s2
	s_cbranch_execz .LBB955_134
.LBB955_375:
	v_mov_b32_e32 v5, 0
	ds_store_b128 v5, v[1:4] offset:13312
	s_wait_alu 0xfffe
	s_or_b32 exec_lo, exec_lo, s6
	v_cmp_eq_u32_e32 vcc_lo, 0, v0
	s_and_b32 exec_lo, exec_lo, vcc_lo
	s_cbranch_execnz .LBB955_135
	s_branch .LBB955_136
	.section	.rodata,"a",@progbits
	.p2align	6, 0x0
	.amdhsa_kernel _ZN7rocprim17ROCPRIM_400000_NS6detail17trampoline_kernelINS0_13select_configILj256ELj13ELNS0_17block_load_methodE3ELS4_3ELS4_3ELNS0_20block_scan_algorithmE0ELj4294967295EEENS1_25partition_config_selectorILNS1_17partition_subalgoE4EjNS0_10empty_typeEbEEZZNS1_14partition_implILS8_4ELb0ES6_15HIP_vector_typeIjLj2EENS0_17counting_iteratorIjlEEPS9_SG_NS0_5tupleIJPjSI_NS0_16reverse_iteratorISI_EEEEENSH_IJSG_SG_SG_EEES9_SI_JZNS1_25segmented_radix_sort_implINS0_14default_configELb0EPKsPsPKlPlN2at6native12_GLOBAL__N_18offset_tEEE10hipError_tPvRmT1_PNSt15iterator_traitsIS12_E10value_typeET2_T3_PNS13_IS18_E10value_typeET4_jRbjT5_S1E_jjP12ihipStream_tbEUljE_ZNSN_ISO_Lb0ESQ_SR_ST_SU_SY_EESZ_S10_S11_S12_S16_S17_S18_S1B_S1C_jS1D_jS1E_S1E_jjS1G_bEUljE0_EEESZ_S10_S11_S18_S1C_S1E_T6_T7_T9_mT8_S1G_bDpT10_ENKUlT_T0_E_clISt17integral_constantIbLb0EES1U_EEDaS1P_S1Q_EUlS1P_E_NS1_11comp_targetILNS1_3genE10ELNS1_11target_archE1200ELNS1_3gpuE4ELNS1_3repE0EEENS1_30default_config_static_selectorELNS0_4arch9wavefront6targetE0EEEvS12_
		.amdhsa_group_segment_fixed_size 13328
		.amdhsa_private_segment_fixed_size 0
		.amdhsa_kernarg_size 176
		.amdhsa_user_sgpr_count 2
		.amdhsa_user_sgpr_dispatch_ptr 0
		.amdhsa_user_sgpr_queue_ptr 0
		.amdhsa_user_sgpr_kernarg_segment_ptr 1
		.amdhsa_user_sgpr_dispatch_id 0
		.amdhsa_user_sgpr_private_segment_size 0
		.amdhsa_wavefront_size32 1
		.amdhsa_uses_dynamic_stack 0
		.amdhsa_enable_private_segment 0
		.amdhsa_system_sgpr_workgroup_id_x 1
		.amdhsa_system_sgpr_workgroup_id_y 0
		.amdhsa_system_sgpr_workgroup_id_z 0
		.amdhsa_system_sgpr_workgroup_info 0
		.amdhsa_system_vgpr_workitem_id 0
		.amdhsa_next_free_vgpr 93
		.amdhsa_next_free_sgpr 58
		.amdhsa_reserve_vcc 1
		.amdhsa_float_round_mode_32 0
		.amdhsa_float_round_mode_16_64 0
		.amdhsa_float_denorm_mode_32 3
		.amdhsa_float_denorm_mode_16_64 3
		.amdhsa_fp16_overflow 0
		.amdhsa_workgroup_processor_mode 1
		.amdhsa_memory_ordered 1
		.amdhsa_forward_progress 1
		.amdhsa_inst_pref_size 148
		.amdhsa_round_robin_scheduling 0
		.amdhsa_exception_fp_ieee_invalid_op 0
		.amdhsa_exception_fp_denorm_src 0
		.amdhsa_exception_fp_ieee_div_zero 0
		.amdhsa_exception_fp_ieee_overflow 0
		.amdhsa_exception_fp_ieee_underflow 0
		.amdhsa_exception_fp_ieee_inexact 0
		.amdhsa_exception_int_div_zero 0
	.end_amdhsa_kernel
	.section	.text._ZN7rocprim17ROCPRIM_400000_NS6detail17trampoline_kernelINS0_13select_configILj256ELj13ELNS0_17block_load_methodE3ELS4_3ELS4_3ELNS0_20block_scan_algorithmE0ELj4294967295EEENS1_25partition_config_selectorILNS1_17partition_subalgoE4EjNS0_10empty_typeEbEEZZNS1_14partition_implILS8_4ELb0ES6_15HIP_vector_typeIjLj2EENS0_17counting_iteratorIjlEEPS9_SG_NS0_5tupleIJPjSI_NS0_16reverse_iteratorISI_EEEEENSH_IJSG_SG_SG_EEES9_SI_JZNS1_25segmented_radix_sort_implINS0_14default_configELb0EPKsPsPKlPlN2at6native12_GLOBAL__N_18offset_tEEE10hipError_tPvRmT1_PNSt15iterator_traitsIS12_E10value_typeET2_T3_PNS13_IS18_E10value_typeET4_jRbjT5_S1E_jjP12ihipStream_tbEUljE_ZNSN_ISO_Lb0ESQ_SR_ST_SU_SY_EESZ_S10_S11_S12_S16_S17_S18_S1B_S1C_jS1D_jS1E_S1E_jjS1G_bEUljE0_EEESZ_S10_S11_S18_S1C_S1E_T6_T7_T9_mT8_S1G_bDpT10_ENKUlT_T0_E_clISt17integral_constantIbLb0EES1U_EEDaS1P_S1Q_EUlS1P_E_NS1_11comp_targetILNS1_3genE10ELNS1_11target_archE1200ELNS1_3gpuE4ELNS1_3repE0EEENS1_30default_config_static_selectorELNS0_4arch9wavefront6targetE0EEEvS12_,"axG",@progbits,_ZN7rocprim17ROCPRIM_400000_NS6detail17trampoline_kernelINS0_13select_configILj256ELj13ELNS0_17block_load_methodE3ELS4_3ELS4_3ELNS0_20block_scan_algorithmE0ELj4294967295EEENS1_25partition_config_selectorILNS1_17partition_subalgoE4EjNS0_10empty_typeEbEEZZNS1_14partition_implILS8_4ELb0ES6_15HIP_vector_typeIjLj2EENS0_17counting_iteratorIjlEEPS9_SG_NS0_5tupleIJPjSI_NS0_16reverse_iteratorISI_EEEEENSH_IJSG_SG_SG_EEES9_SI_JZNS1_25segmented_radix_sort_implINS0_14default_configELb0EPKsPsPKlPlN2at6native12_GLOBAL__N_18offset_tEEE10hipError_tPvRmT1_PNSt15iterator_traitsIS12_E10value_typeET2_T3_PNS13_IS18_E10value_typeET4_jRbjT5_S1E_jjP12ihipStream_tbEUljE_ZNSN_ISO_Lb0ESQ_SR_ST_SU_SY_EESZ_S10_S11_S12_S16_S17_S18_S1B_S1C_jS1D_jS1E_S1E_jjS1G_bEUljE0_EEESZ_S10_S11_S18_S1C_S1E_T6_T7_T9_mT8_S1G_bDpT10_ENKUlT_T0_E_clISt17integral_constantIbLb0EES1U_EEDaS1P_S1Q_EUlS1P_E_NS1_11comp_targetILNS1_3genE10ELNS1_11target_archE1200ELNS1_3gpuE4ELNS1_3repE0EEENS1_30default_config_static_selectorELNS0_4arch9wavefront6targetE0EEEvS12_,comdat
.Lfunc_end955:
	.size	_ZN7rocprim17ROCPRIM_400000_NS6detail17trampoline_kernelINS0_13select_configILj256ELj13ELNS0_17block_load_methodE3ELS4_3ELS4_3ELNS0_20block_scan_algorithmE0ELj4294967295EEENS1_25partition_config_selectorILNS1_17partition_subalgoE4EjNS0_10empty_typeEbEEZZNS1_14partition_implILS8_4ELb0ES6_15HIP_vector_typeIjLj2EENS0_17counting_iteratorIjlEEPS9_SG_NS0_5tupleIJPjSI_NS0_16reverse_iteratorISI_EEEEENSH_IJSG_SG_SG_EEES9_SI_JZNS1_25segmented_radix_sort_implINS0_14default_configELb0EPKsPsPKlPlN2at6native12_GLOBAL__N_18offset_tEEE10hipError_tPvRmT1_PNSt15iterator_traitsIS12_E10value_typeET2_T3_PNS13_IS18_E10value_typeET4_jRbjT5_S1E_jjP12ihipStream_tbEUljE_ZNSN_ISO_Lb0ESQ_SR_ST_SU_SY_EESZ_S10_S11_S12_S16_S17_S18_S1B_S1C_jS1D_jS1E_S1E_jjS1G_bEUljE0_EEESZ_S10_S11_S18_S1C_S1E_T6_T7_T9_mT8_S1G_bDpT10_ENKUlT_T0_E_clISt17integral_constantIbLb0EES1U_EEDaS1P_S1Q_EUlS1P_E_NS1_11comp_targetILNS1_3genE10ELNS1_11target_archE1200ELNS1_3gpuE4ELNS1_3repE0EEENS1_30default_config_static_selectorELNS0_4arch9wavefront6targetE0EEEvS12_, .Lfunc_end955-_ZN7rocprim17ROCPRIM_400000_NS6detail17trampoline_kernelINS0_13select_configILj256ELj13ELNS0_17block_load_methodE3ELS4_3ELS4_3ELNS0_20block_scan_algorithmE0ELj4294967295EEENS1_25partition_config_selectorILNS1_17partition_subalgoE4EjNS0_10empty_typeEbEEZZNS1_14partition_implILS8_4ELb0ES6_15HIP_vector_typeIjLj2EENS0_17counting_iteratorIjlEEPS9_SG_NS0_5tupleIJPjSI_NS0_16reverse_iteratorISI_EEEEENSH_IJSG_SG_SG_EEES9_SI_JZNS1_25segmented_radix_sort_implINS0_14default_configELb0EPKsPsPKlPlN2at6native12_GLOBAL__N_18offset_tEEE10hipError_tPvRmT1_PNSt15iterator_traitsIS12_E10value_typeET2_T3_PNS13_IS18_E10value_typeET4_jRbjT5_S1E_jjP12ihipStream_tbEUljE_ZNSN_ISO_Lb0ESQ_SR_ST_SU_SY_EESZ_S10_S11_S12_S16_S17_S18_S1B_S1C_jS1D_jS1E_S1E_jjS1G_bEUljE0_EEESZ_S10_S11_S18_S1C_S1E_T6_T7_T9_mT8_S1G_bDpT10_ENKUlT_T0_E_clISt17integral_constantIbLb0EES1U_EEDaS1P_S1Q_EUlS1P_E_NS1_11comp_targetILNS1_3genE10ELNS1_11target_archE1200ELNS1_3gpuE4ELNS1_3repE0EEENS1_30default_config_static_selectorELNS0_4arch9wavefront6targetE0EEEvS12_
                                        ; -- End function
	.set _ZN7rocprim17ROCPRIM_400000_NS6detail17trampoline_kernelINS0_13select_configILj256ELj13ELNS0_17block_load_methodE3ELS4_3ELS4_3ELNS0_20block_scan_algorithmE0ELj4294967295EEENS1_25partition_config_selectorILNS1_17partition_subalgoE4EjNS0_10empty_typeEbEEZZNS1_14partition_implILS8_4ELb0ES6_15HIP_vector_typeIjLj2EENS0_17counting_iteratorIjlEEPS9_SG_NS0_5tupleIJPjSI_NS0_16reverse_iteratorISI_EEEEENSH_IJSG_SG_SG_EEES9_SI_JZNS1_25segmented_radix_sort_implINS0_14default_configELb0EPKsPsPKlPlN2at6native12_GLOBAL__N_18offset_tEEE10hipError_tPvRmT1_PNSt15iterator_traitsIS12_E10value_typeET2_T3_PNS13_IS18_E10value_typeET4_jRbjT5_S1E_jjP12ihipStream_tbEUljE_ZNSN_ISO_Lb0ESQ_SR_ST_SU_SY_EESZ_S10_S11_S12_S16_S17_S18_S1B_S1C_jS1D_jS1E_S1E_jjS1G_bEUljE0_EEESZ_S10_S11_S18_S1C_S1E_T6_T7_T9_mT8_S1G_bDpT10_ENKUlT_T0_E_clISt17integral_constantIbLb0EES1U_EEDaS1P_S1Q_EUlS1P_E_NS1_11comp_targetILNS1_3genE10ELNS1_11target_archE1200ELNS1_3gpuE4ELNS1_3repE0EEENS1_30default_config_static_selectorELNS0_4arch9wavefront6targetE0EEEvS12_.num_vgpr, 93
	.set _ZN7rocprim17ROCPRIM_400000_NS6detail17trampoline_kernelINS0_13select_configILj256ELj13ELNS0_17block_load_methodE3ELS4_3ELS4_3ELNS0_20block_scan_algorithmE0ELj4294967295EEENS1_25partition_config_selectorILNS1_17partition_subalgoE4EjNS0_10empty_typeEbEEZZNS1_14partition_implILS8_4ELb0ES6_15HIP_vector_typeIjLj2EENS0_17counting_iteratorIjlEEPS9_SG_NS0_5tupleIJPjSI_NS0_16reverse_iteratorISI_EEEEENSH_IJSG_SG_SG_EEES9_SI_JZNS1_25segmented_radix_sort_implINS0_14default_configELb0EPKsPsPKlPlN2at6native12_GLOBAL__N_18offset_tEEE10hipError_tPvRmT1_PNSt15iterator_traitsIS12_E10value_typeET2_T3_PNS13_IS18_E10value_typeET4_jRbjT5_S1E_jjP12ihipStream_tbEUljE_ZNSN_ISO_Lb0ESQ_SR_ST_SU_SY_EESZ_S10_S11_S12_S16_S17_S18_S1B_S1C_jS1D_jS1E_S1E_jjS1G_bEUljE0_EEESZ_S10_S11_S18_S1C_S1E_T6_T7_T9_mT8_S1G_bDpT10_ENKUlT_T0_E_clISt17integral_constantIbLb0EES1U_EEDaS1P_S1Q_EUlS1P_E_NS1_11comp_targetILNS1_3genE10ELNS1_11target_archE1200ELNS1_3gpuE4ELNS1_3repE0EEENS1_30default_config_static_selectorELNS0_4arch9wavefront6targetE0EEEvS12_.num_agpr, 0
	.set _ZN7rocprim17ROCPRIM_400000_NS6detail17trampoline_kernelINS0_13select_configILj256ELj13ELNS0_17block_load_methodE3ELS4_3ELS4_3ELNS0_20block_scan_algorithmE0ELj4294967295EEENS1_25partition_config_selectorILNS1_17partition_subalgoE4EjNS0_10empty_typeEbEEZZNS1_14partition_implILS8_4ELb0ES6_15HIP_vector_typeIjLj2EENS0_17counting_iteratorIjlEEPS9_SG_NS0_5tupleIJPjSI_NS0_16reverse_iteratorISI_EEEEENSH_IJSG_SG_SG_EEES9_SI_JZNS1_25segmented_radix_sort_implINS0_14default_configELb0EPKsPsPKlPlN2at6native12_GLOBAL__N_18offset_tEEE10hipError_tPvRmT1_PNSt15iterator_traitsIS12_E10value_typeET2_T3_PNS13_IS18_E10value_typeET4_jRbjT5_S1E_jjP12ihipStream_tbEUljE_ZNSN_ISO_Lb0ESQ_SR_ST_SU_SY_EESZ_S10_S11_S12_S16_S17_S18_S1B_S1C_jS1D_jS1E_S1E_jjS1G_bEUljE0_EEESZ_S10_S11_S18_S1C_S1E_T6_T7_T9_mT8_S1G_bDpT10_ENKUlT_T0_E_clISt17integral_constantIbLb0EES1U_EEDaS1P_S1Q_EUlS1P_E_NS1_11comp_targetILNS1_3genE10ELNS1_11target_archE1200ELNS1_3gpuE4ELNS1_3repE0EEENS1_30default_config_static_selectorELNS0_4arch9wavefront6targetE0EEEvS12_.numbered_sgpr, 58
	.set _ZN7rocprim17ROCPRIM_400000_NS6detail17trampoline_kernelINS0_13select_configILj256ELj13ELNS0_17block_load_methodE3ELS4_3ELS4_3ELNS0_20block_scan_algorithmE0ELj4294967295EEENS1_25partition_config_selectorILNS1_17partition_subalgoE4EjNS0_10empty_typeEbEEZZNS1_14partition_implILS8_4ELb0ES6_15HIP_vector_typeIjLj2EENS0_17counting_iteratorIjlEEPS9_SG_NS0_5tupleIJPjSI_NS0_16reverse_iteratorISI_EEEEENSH_IJSG_SG_SG_EEES9_SI_JZNS1_25segmented_radix_sort_implINS0_14default_configELb0EPKsPsPKlPlN2at6native12_GLOBAL__N_18offset_tEEE10hipError_tPvRmT1_PNSt15iterator_traitsIS12_E10value_typeET2_T3_PNS13_IS18_E10value_typeET4_jRbjT5_S1E_jjP12ihipStream_tbEUljE_ZNSN_ISO_Lb0ESQ_SR_ST_SU_SY_EESZ_S10_S11_S12_S16_S17_S18_S1B_S1C_jS1D_jS1E_S1E_jjS1G_bEUljE0_EEESZ_S10_S11_S18_S1C_S1E_T6_T7_T9_mT8_S1G_bDpT10_ENKUlT_T0_E_clISt17integral_constantIbLb0EES1U_EEDaS1P_S1Q_EUlS1P_E_NS1_11comp_targetILNS1_3genE10ELNS1_11target_archE1200ELNS1_3gpuE4ELNS1_3repE0EEENS1_30default_config_static_selectorELNS0_4arch9wavefront6targetE0EEEvS12_.num_named_barrier, 0
	.set _ZN7rocprim17ROCPRIM_400000_NS6detail17trampoline_kernelINS0_13select_configILj256ELj13ELNS0_17block_load_methodE3ELS4_3ELS4_3ELNS0_20block_scan_algorithmE0ELj4294967295EEENS1_25partition_config_selectorILNS1_17partition_subalgoE4EjNS0_10empty_typeEbEEZZNS1_14partition_implILS8_4ELb0ES6_15HIP_vector_typeIjLj2EENS0_17counting_iteratorIjlEEPS9_SG_NS0_5tupleIJPjSI_NS0_16reverse_iteratorISI_EEEEENSH_IJSG_SG_SG_EEES9_SI_JZNS1_25segmented_radix_sort_implINS0_14default_configELb0EPKsPsPKlPlN2at6native12_GLOBAL__N_18offset_tEEE10hipError_tPvRmT1_PNSt15iterator_traitsIS12_E10value_typeET2_T3_PNS13_IS18_E10value_typeET4_jRbjT5_S1E_jjP12ihipStream_tbEUljE_ZNSN_ISO_Lb0ESQ_SR_ST_SU_SY_EESZ_S10_S11_S12_S16_S17_S18_S1B_S1C_jS1D_jS1E_S1E_jjS1G_bEUljE0_EEESZ_S10_S11_S18_S1C_S1E_T6_T7_T9_mT8_S1G_bDpT10_ENKUlT_T0_E_clISt17integral_constantIbLb0EES1U_EEDaS1P_S1Q_EUlS1P_E_NS1_11comp_targetILNS1_3genE10ELNS1_11target_archE1200ELNS1_3gpuE4ELNS1_3repE0EEENS1_30default_config_static_selectorELNS0_4arch9wavefront6targetE0EEEvS12_.private_seg_size, 0
	.set _ZN7rocprim17ROCPRIM_400000_NS6detail17trampoline_kernelINS0_13select_configILj256ELj13ELNS0_17block_load_methodE3ELS4_3ELS4_3ELNS0_20block_scan_algorithmE0ELj4294967295EEENS1_25partition_config_selectorILNS1_17partition_subalgoE4EjNS0_10empty_typeEbEEZZNS1_14partition_implILS8_4ELb0ES6_15HIP_vector_typeIjLj2EENS0_17counting_iteratorIjlEEPS9_SG_NS0_5tupleIJPjSI_NS0_16reverse_iteratorISI_EEEEENSH_IJSG_SG_SG_EEES9_SI_JZNS1_25segmented_radix_sort_implINS0_14default_configELb0EPKsPsPKlPlN2at6native12_GLOBAL__N_18offset_tEEE10hipError_tPvRmT1_PNSt15iterator_traitsIS12_E10value_typeET2_T3_PNS13_IS18_E10value_typeET4_jRbjT5_S1E_jjP12ihipStream_tbEUljE_ZNSN_ISO_Lb0ESQ_SR_ST_SU_SY_EESZ_S10_S11_S12_S16_S17_S18_S1B_S1C_jS1D_jS1E_S1E_jjS1G_bEUljE0_EEESZ_S10_S11_S18_S1C_S1E_T6_T7_T9_mT8_S1G_bDpT10_ENKUlT_T0_E_clISt17integral_constantIbLb0EES1U_EEDaS1P_S1Q_EUlS1P_E_NS1_11comp_targetILNS1_3genE10ELNS1_11target_archE1200ELNS1_3gpuE4ELNS1_3repE0EEENS1_30default_config_static_selectorELNS0_4arch9wavefront6targetE0EEEvS12_.uses_vcc, 1
	.set _ZN7rocprim17ROCPRIM_400000_NS6detail17trampoline_kernelINS0_13select_configILj256ELj13ELNS0_17block_load_methodE3ELS4_3ELS4_3ELNS0_20block_scan_algorithmE0ELj4294967295EEENS1_25partition_config_selectorILNS1_17partition_subalgoE4EjNS0_10empty_typeEbEEZZNS1_14partition_implILS8_4ELb0ES6_15HIP_vector_typeIjLj2EENS0_17counting_iteratorIjlEEPS9_SG_NS0_5tupleIJPjSI_NS0_16reverse_iteratorISI_EEEEENSH_IJSG_SG_SG_EEES9_SI_JZNS1_25segmented_radix_sort_implINS0_14default_configELb0EPKsPsPKlPlN2at6native12_GLOBAL__N_18offset_tEEE10hipError_tPvRmT1_PNSt15iterator_traitsIS12_E10value_typeET2_T3_PNS13_IS18_E10value_typeET4_jRbjT5_S1E_jjP12ihipStream_tbEUljE_ZNSN_ISO_Lb0ESQ_SR_ST_SU_SY_EESZ_S10_S11_S12_S16_S17_S18_S1B_S1C_jS1D_jS1E_S1E_jjS1G_bEUljE0_EEESZ_S10_S11_S18_S1C_S1E_T6_T7_T9_mT8_S1G_bDpT10_ENKUlT_T0_E_clISt17integral_constantIbLb0EES1U_EEDaS1P_S1Q_EUlS1P_E_NS1_11comp_targetILNS1_3genE10ELNS1_11target_archE1200ELNS1_3gpuE4ELNS1_3repE0EEENS1_30default_config_static_selectorELNS0_4arch9wavefront6targetE0EEEvS12_.uses_flat_scratch, 0
	.set _ZN7rocprim17ROCPRIM_400000_NS6detail17trampoline_kernelINS0_13select_configILj256ELj13ELNS0_17block_load_methodE3ELS4_3ELS4_3ELNS0_20block_scan_algorithmE0ELj4294967295EEENS1_25partition_config_selectorILNS1_17partition_subalgoE4EjNS0_10empty_typeEbEEZZNS1_14partition_implILS8_4ELb0ES6_15HIP_vector_typeIjLj2EENS0_17counting_iteratorIjlEEPS9_SG_NS0_5tupleIJPjSI_NS0_16reverse_iteratorISI_EEEEENSH_IJSG_SG_SG_EEES9_SI_JZNS1_25segmented_radix_sort_implINS0_14default_configELb0EPKsPsPKlPlN2at6native12_GLOBAL__N_18offset_tEEE10hipError_tPvRmT1_PNSt15iterator_traitsIS12_E10value_typeET2_T3_PNS13_IS18_E10value_typeET4_jRbjT5_S1E_jjP12ihipStream_tbEUljE_ZNSN_ISO_Lb0ESQ_SR_ST_SU_SY_EESZ_S10_S11_S12_S16_S17_S18_S1B_S1C_jS1D_jS1E_S1E_jjS1G_bEUljE0_EEESZ_S10_S11_S18_S1C_S1E_T6_T7_T9_mT8_S1G_bDpT10_ENKUlT_T0_E_clISt17integral_constantIbLb0EES1U_EEDaS1P_S1Q_EUlS1P_E_NS1_11comp_targetILNS1_3genE10ELNS1_11target_archE1200ELNS1_3gpuE4ELNS1_3repE0EEENS1_30default_config_static_selectorELNS0_4arch9wavefront6targetE0EEEvS12_.has_dyn_sized_stack, 0
	.set _ZN7rocprim17ROCPRIM_400000_NS6detail17trampoline_kernelINS0_13select_configILj256ELj13ELNS0_17block_load_methodE3ELS4_3ELS4_3ELNS0_20block_scan_algorithmE0ELj4294967295EEENS1_25partition_config_selectorILNS1_17partition_subalgoE4EjNS0_10empty_typeEbEEZZNS1_14partition_implILS8_4ELb0ES6_15HIP_vector_typeIjLj2EENS0_17counting_iteratorIjlEEPS9_SG_NS0_5tupleIJPjSI_NS0_16reverse_iteratorISI_EEEEENSH_IJSG_SG_SG_EEES9_SI_JZNS1_25segmented_radix_sort_implINS0_14default_configELb0EPKsPsPKlPlN2at6native12_GLOBAL__N_18offset_tEEE10hipError_tPvRmT1_PNSt15iterator_traitsIS12_E10value_typeET2_T3_PNS13_IS18_E10value_typeET4_jRbjT5_S1E_jjP12ihipStream_tbEUljE_ZNSN_ISO_Lb0ESQ_SR_ST_SU_SY_EESZ_S10_S11_S12_S16_S17_S18_S1B_S1C_jS1D_jS1E_S1E_jjS1G_bEUljE0_EEESZ_S10_S11_S18_S1C_S1E_T6_T7_T9_mT8_S1G_bDpT10_ENKUlT_T0_E_clISt17integral_constantIbLb0EES1U_EEDaS1P_S1Q_EUlS1P_E_NS1_11comp_targetILNS1_3genE10ELNS1_11target_archE1200ELNS1_3gpuE4ELNS1_3repE0EEENS1_30default_config_static_selectorELNS0_4arch9wavefront6targetE0EEEvS12_.has_recursion, 0
	.set _ZN7rocprim17ROCPRIM_400000_NS6detail17trampoline_kernelINS0_13select_configILj256ELj13ELNS0_17block_load_methodE3ELS4_3ELS4_3ELNS0_20block_scan_algorithmE0ELj4294967295EEENS1_25partition_config_selectorILNS1_17partition_subalgoE4EjNS0_10empty_typeEbEEZZNS1_14partition_implILS8_4ELb0ES6_15HIP_vector_typeIjLj2EENS0_17counting_iteratorIjlEEPS9_SG_NS0_5tupleIJPjSI_NS0_16reverse_iteratorISI_EEEEENSH_IJSG_SG_SG_EEES9_SI_JZNS1_25segmented_radix_sort_implINS0_14default_configELb0EPKsPsPKlPlN2at6native12_GLOBAL__N_18offset_tEEE10hipError_tPvRmT1_PNSt15iterator_traitsIS12_E10value_typeET2_T3_PNS13_IS18_E10value_typeET4_jRbjT5_S1E_jjP12ihipStream_tbEUljE_ZNSN_ISO_Lb0ESQ_SR_ST_SU_SY_EESZ_S10_S11_S12_S16_S17_S18_S1B_S1C_jS1D_jS1E_S1E_jjS1G_bEUljE0_EEESZ_S10_S11_S18_S1C_S1E_T6_T7_T9_mT8_S1G_bDpT10_ENKUlT_T0_E_clISt17integral_constantIbLb0EES1U_EEDaS1P_S1Q_EUlS1P_E_NS1_11comp_targetILNS1_3genE10ELNS1_11target_archE1200ELNS1_3gpuE4ELNS1_3repE0EEENS1_30default_config_static_selectorELNS0_4arch9wavefront6targetE0EEEvS12_.has_indirect_call, 0
	.section	.AMDGPU.csdata,"",@progbits
; Kernel info:
; codeLenInByte = 18900
; TotalNumSgprs: 60
; NumVgprs: 93
; ScratchSize: 0
; MemoryBound: 0
; FloatMode: 240
; IeeeMode: 1
; LDSByteSize: 13328 bytes/workgroup (compile time only)
; SGPRBlocks: 0
; VGPRBlocks: 11
; NumSGPRsForWavesPerEU: 60
; NumVGPRsForWavesPerEU: 93
; Occupancy: 16
; WaveLimiterHint : 1
; COMPUTE_PGM_RSRC2:SCRATCH_EN: 0
; COMPUTE_PGM_RSRC2:USER_SGPR: 2
; COMPUTE_PGM_RSRC2:TRAP_HANDLER: 0
; COMPUTE_PGM_RSRC2:TGID_X_EN: 1
; COMPUTE_PGM_RSRC2:TGID_Y_EN: 0
; COMPUTE_PGM_RSRC2:TGID_Z_EN: 0
; COMPUTE_PGM_RSRC2:TIDIG_COMP_CNT: 0
	.section	.text._ZN7rocprim17ROCPRIM_400000_NS6detail17trampoline_kernelINS0_13select_configILj256ELj13ELNS0_17block_load_methodE3ELS4_3ELS4_3ELNS0_20block_scan_algorithmE0ELj4294967295EEENS1_25partition_config_selectorILNS1_17partition_subalgoE4EjNS0_10empty_typeEbEEZZNS1_14partition_implILS8_4ELb0ES6_15HIP_vector_typeIjLj2EENS0_17counting_iteratorIjlEEPS9_SG_NS0_5tupleIJPjSI_NS0_16reverse_iteratorISI_EEEEENSH_IJSG_SG_SG_EEES9_SI_JZNS1_25segmented_radix_sort_implINS0_14default_configELb0EPKsPsPKlPlN2at6native12_GLOBAL__N_18offset_tEEE10hipError_tPvRmT1_PNSt15iterator_traitsIS12_E10value_typeET2_T3_PNS13_IS18_E10value_typeET4_jRbjT5_S1E_jjP12ihipStream_tbEUljE_ZNSN_ISO_Lb0ESQ_SR_ST_SU_SY_EESZ_S10_S11_S12_S16_S17_S18_S1B_S1C_jS1D_jS1E_S1E_jjS1G_bEUljE0_EEESZ_S10_S11_S18_S1C_S1E_T6_T7_T9_mT8_S1G_bDpT10_ENKUlT_T0_E_clISt17integral_constantIbLb0EES1U_EEDaS1P_S1Q_EUlS1P_E_NS1_11comp_targetILNS1_3genE9ELNS1_11target_archE1100ELNS1_3gpuE3ELNS1_3repE0EEENS1_30default_config_static_selectorELNS0_4arch9wavefront6targetE0EEEvS12_,"axG",@progbits,_ZN7rocprim17ROCPRIM_400000_NS6detail17trampoline_kernelINS0_13select_configILj256ELj13ELNS0_17block_load_methodE3ELS4_3ELS4_3ELNS0_20block_scan_algorithmE0ELj4294967295EEENS1_25partition_config_selectorILNS1_17partition_subalgoE4EjNS0_10empty_typeEbEEZZNS1_14partition_implILS8_4ELb0ES6_15HIP_vector_typeIjLj2EENS0_17counting_iteratorIjlEEPS9_SG_NS0_5tupleIJPjSI_NS0_16reverse_iteratorISI_EEEEENSH_IJSG_SG_SG_EEES9_SI_JZNS1_25segmented_radix_sort_implINS0_14default_configELb0EPKsPsPKlPlN2at6native12_GLOBAL__N_18offset_tEEE10hipError_tPvRmT1_PNSt15iterator_traitsIS12_E10value_typeET2_T3_PNS13_IS18_E10value_typeET4_jRbjT5_S1E_jjP12ihipStream_tbEUljE_ZNSN_ISO_Lb0ESQ_SR_ST_SU_SY_EESZ_S10_S11_S12_S16_S17_S18_S1B_S1C_jS1D_jS1E_S1E_jjS1G_bEUljE0_EEESZ_S10_S11_S18_S1C_S1E_T6_T7_T9_mT8_S1G_bDpT10_ENKUlT_T0_E_clISt17integral_constantIbLb0EES1U_EEDaS1P_S1Q_EUlS1P_E_NS1_11comp_targetILNS1_3genE9ELNS1_11target_archE1100ELNS1_3gpuE3ELNS1_3repE0EEENS1_30default_config_static_selectorELNS0_4arch9wavefront6targetE0EEEvS12_,comdat
	.globl	_ZN7rocprim17ROCPRIM_400000_NS6detail17trampoline_kernelINS0_13select_configILj256ELj13ELNS0_17block_load_methodE3ELS4_3ELS4_3ELNS0_20block_scan_algorithmE0ELj4294967295EEENS1_25partition_config_selectorILNS1_17partition_subalgoE4EjNS0_10empty_typeEbEEZZNS1_14partition_implILS8_4ELb0ES6_15HIP_vector_typeIjLj2EENS0_17counting_iteratorIjlEEPS9_SG_NS0_5tupleIJPjSI_NS0_16reverse_iteratorISI_EEEEENSH_IJSG_SG_SG_EEES9_SI_JZNS1_25segmented_radix_sort_implINS0_14default_configELb0EPKsPsPKlPlN2at6native12_GLOBAL__N_18offset_tEEE10hipError_tPvRmT1_PNSt15iterator_traitsIS12_E10value_typeET2_T3_PNS13_IS18_E10value_typeET4_jRbjT5_S1E_jjP12ihipStream_tbEUljE_ZNSN_ISO_Lb0ESQ_SR_ST_SU_SY_EESZ_S10_S11_S12_S16_S17_S18_S1B_S1C_jS1D_jS1E_S1E_jjS1G_bEUljE0_EEESZ_S10_S11_S18_S1C_S1E_T6_T7_T9_mT8_S1G_bDpT10_ENKUlT_T0_E_clISt17integral_constantIbLb0EES1U_EEDaS1P_S1Q_EUlS1P_E_NS1_11comp_targetILNS1_3genE9ELNS1_11target_archE1100ELNS1_3gpuE3ELNS1_3repE0EEENS1_30default_config_static_selectorELNS0_4arch9wavefront6targetE0EEEvS12_ ; -- Begin function _ZN7rocprim17ROCPRIM_400000_NS6detail17trampoline_kernelINS0_13select_configILj256ELj13ELNS0_17block_load_methodE3ELS4_3ELS4_3ELNS0_20block_scan_algorithmE0ELj4294967295EEENS1_25partition_config_selectorILNS1_17partition_subalgoE4EjNS0_10empty_typeEbEEZZNS1_14partition_implILS8_4ELb0ES6_15HIP_vector_typeIjLj2EENS0_17counting_iteratorIjlEEPS9_SG_NS0_5tupleIJPjSI_NS0_16reverse_iteratorISI_EEEEENSH_IJSG_SG_SG_EEES9_SI_JZNS1_25segmented_radix_sort_implINS0_14default_configELb0EPKsPsPKlPlN2at6native12_GLOBAL__N_18offset_tEEE10hipError_tPvRmT1_PNSt15iterator_traitsIS12_E10value_typeET2_T3_PNS13_IS18_E10value_typeET4_jRbjT5_S1E_jjP12ihipStream_tbEUljE_ZNSN_ISO_Lb0ESQ_SR_ST_SU_SY_EESZ_S10_S11_S12_S16_S17_S18_S1B_S1C_jS1D_jS1E_S1E_jjS1G_bEUljE0_EEESZ_S10_S11_S18_S1C_S1E_T6_T7_T9_mT8_S1G_bDpT10_ENKUlT_T0_E_clISt17integral_constantIbLb0EES1U_EEDaS1P_S1Q_EUlS1P_E_NS1_11comp_targetILNS1_3genE9ELNS1_11target_archE1100ELNS1_3gpuE3ELNS1_3repE0EEENS1_30default_config_static_selectorELNS0_4arch9wavefront6targetE0EEEvS12_
	.p2align	8
	.type	_ZN7rocprim17ROCPRIM_400000_NS6detail17trampoline_kernelINS0_13select_configILj256ELj13ELNS0_17block_load_methodE3ELS4_3ELS4_3ELNS0_20block_scan_algorithmE0ELj4294967295EEENS1_25partition_config_selectorILNS1_17partition_subalgoE4EjNS0_10empty_typeEbEEZZNS1_14partition_implILS8_4ELb0ES6_15HIP_vector_typeIjLj2EENS0_17counting_iteratorIjlEEPS9_SG_NS0_5tupleIJPjSI_NS0_16reverse_iteratorISI_EEEEENSH_IJSG_SG_SG_EEES9_SI_JZNS1_25segmented_radix_sort_implINS0_14default_configELb0EPKsPsPKlPlN2at6native12_GLOBAL__N_18offset_tEEE10hipError_tPvRmT1_PNSt15iterator_traitsIS12_E10value_typeET2_T3_PNS13_IS18_E10value_typeET4_jRbjT5_S1E_jjP12ihipStream_tbEUljE_ZNSN_ISO_Lb0ESQ_SR_ST_SU_SY_EESZ_S10_S11_S12_S16_S17_S18_S1B_S1C_jS1D_jS1E_S1E_jjS1G_bEUljE0_EEESZ_S10_S11_S18_S1C_S1E_T6_T7_T9_mT8_S1G_bDpT10_ENKUlT_T0_E_clISt17integral_constantIbLb0EES1U_EEDaS1P_S1Q_EUlS1P_E_NS1_11comp_targetILNS1_3genE9ELNS1_11target_archE1100ELNS1_3gpuE3ELNS1_3repE0EEENS1_30default_config_static_selectorELNS0_4arch9wavefront6targetE0EEEvS12_,@function
_ZN7rocprim17ROCPRIM_400000_NS6detail17trampoline_kernelINS0_13select_configILj256ELj13ELNS0_17block_load_methodE3ELS4_3ELS4_3ELNS0_20block_scan_algorithmE0ELj4294967295EEENS1_25partition_config_selectorILNS1_17partition_subalgoE4EjNS0_10empty_typeEbEEZZNS1_14partition_implILS8_4ELb0ES6_15HIP_vector_typeIjLj2EENS0_17counting_iteratorIjlEEPS9_SG_NS0_5tupleIJPjSI_NS0_16reverse_iteratorISI_EEEEENSH_IJSG_SG_SG_EEES9_SI_JZNS1_25segmented_radix_sort_implINS0_14default_configELb0EPKsPsPKlPlN2at6native12_GLOBAL__N_18offset_tEEE10hipError_tPvRmT1_PNSt15iterator_traitsIS12_E10value_typeET2_T3_PNS13_IS18_E10value_typeET4_jRbjT5_S1E_jjP12ihipStream_tbEUljE_ZNSN_ISO_Lb0ESQ_SR_ST_SU_SY_EESZ_S10_S11_S12_S16_S17_S18_S1B_S1C_jS1D_jS1E_S1E_jjS1G_bEUljE0_EEESZ_S10_S11_S18_S1C_S1E_T6_T7_T9_mT8_S1G_bDpT10_ENKUlT_T0_E_clISt17integral_constantIbLb0EES1U_EEDaS1P_S1Q_EUlS1P_E_NS1_11comp_targetILNS1_3genE9ELNS1_11target_archE1100ELNS1_3gpuE3ELNS1_3repE0EEENS1_30default_config_static_selectorELNS0_4arch9wavefront6targetE0EEEvS12_: ; @_ZN7rocprim17ROCPRIM_400000_NS6detail17trampoline_kernelINS0_13select_configILj256ELj13ELNS0_17block_load_methodE3ELS4_3ELS4_3ELNS0_20block_scan_algorithmE0ELj4294967295EEENS1_25partition_config_selectorILNS1_17partition_subalgoE4EjNS0_10empty_typeEbEEZZNS1_14partition_implILS8_4ELb0ES6_15HIP_vector_typeIjLj2EENS0_17counting_iteratorIjlEEPS9_SG_NS0_5tupleIJPjSI_NS0_16reverse_iteratorISI_EEEEENSH_IJSG_SG_SG_EEES9_SI_JZNS1_25segmented_radix_sort_implINS0_14default_configELb0EPKsPsPKlPlN2at6native12_GLOBAL__N_18offset_tEEE10hipError_tPvRmT1_PNSt15iterator_traitsIS12_E10value_typeET2_T3_PNS13_IS18_E10value_typeET4_jRbjT5_S1E_jjP12ihipStream_tbEUljE_ZNSN_ISO_Lb0ESQ_SR_ST_SU_SY_EESZ_S10_S11_S12_S16_S17_S18_S1B_S1C_jS1D_jS1E_S1E_jjS1G_bEUljE0_EEESZ_S10_S11_S18_S1C_S1E_T6_T7_T9_mT8_S1G_bDpT10_ENKUlT_T0_E_clISt17integral_constantIbLb0EES1U_EEDaS1P_S1Q_EUlS1P_E_NS1_11comp_targetILNS1_3genE9ELNS1_11target_archE1100ELNS1_3gpuE3ELNS1_3repE0EEENS1_30default_config_static_selectorELNS0_4arch9wavefront6targetE0EEEvS12_
; %bb.0:
	.section	.rodata,"a",@progbits
	.p2align	6, 0x0
	.amdhsa_kernel _ZN7rocprim17ROCPRIM_400000_NS6detail17trampoline_kernelINS0_13select_configILj256ELj13ELNS0_17block_load_methodE3ELS4_3ELS4_3ELNS0_20block_scan_algorithmE0ELj4294967295EEENS1_25partition_config_selectorILNS1_17partition_subalgoE4EjNS0_10empty_typeEbEEZZNS1_14partition_implILS8_4ELb0ES6_15HIP_vector_typeIjLj2EENS0_17counting_iteratorIjlEEPS9_SG_NS0_5tupleIJPjSI_NS0_16reverse_iteratorISI_EEEEENSH_IJSG_SG_SG_EEES9_SI_JZNS1_25segmented_radix_sort_implINS0_14default_configELb0EPKsPsPKlPlN2at6native12_GLOBAL__N_18offset_tEEE10hipError_tPvRmT1_PNSt15iterator_traitsIS12_E10value_typeET2_T3_PNS13_IS18_E10value_typeET4_jRbjT5_S1E_jjP12ihipStream_tbEUljE_ZNSN_ISO_Lb0ESQ_SR_ST_SU_SY_EESZ_S10_S11_S12_S16_S17_S18_S1B_S1C_jS1D_jS1E_S1E_jjS1G_bEUljE0_EEESZ_S10_S11_S18_S1C_S1E_T6_T7_T9_mT8_S1G_bDpT10_ENKUlT_T0_E_clISt17integral_constantIbLb0EES1U_EEDaS1P_S1Q_EUlS1P_E_NS1_11comp_targetILNS1_3genE9ELNS1_11target_archE1100ELNS1_3gpuE3ELNS1_3repE0EEENS1_30default_config_static_selectorELNS0_4arch9wavefront6targetE0EEEvS12_
		.amdhsa_group_segment_fixed_size 0
		.amdhsa_private_segment_fixed_size 0
		.amdhsa_kernarg_size 176
		.amdhsa_user_sgpr_count 2
		.amdhsa_user_sgpr_dispatch_ptr 0
		.amdhsa_user_sgpr_queue_ptr 0
		.amdhsa_user_sgpr_kernarg_segment_ptr 1
		.amdhsa_user_sgpr_dispatch_id 0
		.amdhsa_user_sgpr_private_segment_size 0
		.amdhsa_wavefront_size32 1
		.amdhsa_uses_dynamic_stack 0
		.amdhsa_enable_private_segment 0
		.amdhsa_system_sgpr_workgroup_id_x 1
		.amdhsa_system_sgpr_workgroup_id_y 0
		.amdhsa_system_sgpr_workgroup_id_z 0
		.amdhsa_system_sgpr_workgroup_info 0
		.amdhsa_system_vgpr_workitem_id 0
		.amdhsa_next_free_vgpr 1
		.amdhsa_next_free_sgpr 1
		.amdhsa_reserve_vcc 0
		.amdhsa_float_round_mode_32 0
		.amdhsa_float_round_mode_16_64 0
		.amdhsa_float_denorm_mode_32 3
		.amdhsa_float_denorm_mode_16_64 3
		.amdhsa_fp16_overflow 0
		.amdhsa_workgroup_processor_mode 1
		.amdhsa_memory_ordered 1
		.amdhsa_forward_progress 1
		.amdhsa_inst_pref_size 0
		.amdhsa_round_robin_scheduling 0
		.amdhsa_exception_fp_ieee_invalid_op 0
		.amdhsa_exception_fp_denorm_src 0
		.amdhsa_exception_fp_ieee_div_zero 0
		.amdhsa_exception_fp_ieee_overflow 0
		.amdhsa_exception_fp_ieee_underflow 0
		.amdhsa_exception_fp_ieee_inexact 0
		.amdhsa_exception_int_div_zero 0
	.end_amdhsa_kernel
	.section	.text._ZN7rocprim17ROCPRIM_400000_NS6detail17trampoline_kernelINS0_13select_configILj256ELj13ELNS0_17block_load_methodE3ELS4_3ELS4_3ELNS0_20block_scan_algorithmE0ELj4294967295EEENS1_25partition_config_selectorILNS1_17partition_subalgoE4EjNS0_10empty_typeEbEEZZNS1_14partition_implILS8_4ELb0ES6_15HIP_vector_typeIjLj2EENS0_17counting_iteratorIjlEEPS9_SG_NS0_5tupleIJPjSI_NS0_16reverse_iteratorISI_EEEEENSH_IJSG_SG_SG_EEES9_SI_JZNS1_25segmented_radix_sort_implINS0_14default_configELb0EPKsPsPKlPlN2at6native12_GLOBAL__N_18offset_tEEE10hipError_tPvRmT1_PNSt15iterator_traitsIS12_E10value_typeET2_T3_PNS13_IS18_E10value_typeET4_jRbjT5_S1E_jjP12ihipStream_tbEUljE_ZNSN_ISO_Lb0ESQ_SR_ST_SU_SY_EESZ_S10_S11_S12_S16_S17_S18_S1B_S1C_jS1D_jS1E_S1E_jjS1G_bEUljE0_EEESZ_S10_S11_S18_S1C_S1E_T6_T7_T9_mT8_S1G_bDpT10_ENKUlT_T0_E_clISt17integral_constantIbLb0EES1U_EEDaS1P_S1Q_EUlS1P_E_NS1_11comp_targetILNS1_3genE9ELNS1_11target_archE1100ELNS1_3gpuE3ELNS1_3repE0EEENS1_30default_config_static_selectorELNS0_4arch9wavefront6targetE0EEEvS12_,"axG",@progbits,_ZN7rocprim17ROCPRIM_400000_NS6detail17trampoline_kernelINS0_13select_configILj256ELj13ELNS0_17block_load_methodE3ELS4_3ELS4_3ELNS0_20block_scan_algorithmE0ELj4294967295EEENS1_25partition_config_selectorILNS1_17partition_subalgoE4EjNS0_10empty_typeEbEEZZNS1_14partition_implILS8_4ELb0ES6_15HIP_vector_typeIjLj2EENS0_17counting_iteratorIjlEEPS9_SG_NS0_5tupleIJPjSI_NS0_16reverse_iteratorISI_EEEEENSH_IJSG_SG_SG_EEES9_SI_JZNS1_25segmented_radix_sort_implINS0_14default_configELb0EPKsPsPKlPlN2at6native12_GLOBAL__N_18offset_tEEE10hipError_tPvRmT1_PNSt15iterator_traitsIS12_E10value_typeET2_T3_PNS13_IS18_E10value_typeET4_jRbjT5_S1E_jjP12ihipStream_tbEUljE_ZNSN_ISO_Lb0ESQ_SR_ST_SU_SY_EESZ_S10_S11_S12_S16_S17_S18_S1B_S1C_jS1D_jS1E_S1E_jjS1G_bEUljE0_EEESZ_S10_S11_S18_S1C_S1E_T6_T7_T9_mT8_S1G_bDpT10_ENKUlT_T0_E_clISt17integral_constantIbLb0EES1U_EEDaS1P_S1Q_EUlS1P_E_NS1_11comp_targetILNS1_3genE9ELNS1_11target_archE1100ELNS1_3gpuE3ELNS1_3repE0EEENS1_30default_config_static_selectorELNS0_4arch9wavefront6targetE0EEEvS12_,comdat
.Lfunc_end956:
	.size	_ZN7rocprim17ROCPRIM_400000_NS6detail17trampoline_kernelINS0_13select_configILj256ELj13ELNS0_17block_load_methodE3ELS4_3ELS4_3ELNS0_20block_scan_algorithmE0ELj4294967295EEENS1_25partition_config_selectorILNS1_17partition_subalgoE4EjNS0_10empty_typeEbEEZZNS1_14partition_implILS8_4ELb0ES6_15HIP_vector_typeIjLj2EENS0_17counting_iteratorIjlEEPS9_SG_NS0_5tupleIJPjSI_NS0_16reverse_iteratorISI_EEEEENSH_IJSG_SG_SG_EEES9_SI_JZNS1_25segmented_radix_sort_implINS0_14default_configELb0EPKsPsPKlPlN2at6native12_GLOBAL__N_18offset_tEEE10hipError_tPvRmT1_PNSt15iterator_traitsIS12_E10value_typeET2_T3_PNS13_IS18_E10value_typeET4_jRbjT5_S1E_jjP12ihipStream_tbEUljE_ZNSN_ISO_Lb0ESQ_SR_ST_SU_SY_EESZ_S10_S11_S12_S16_S17_S18_S1B_S1C_jS1D_jS1E_S1E_jjS1G_bEUljE0_EEESZ_S10_S11_S18_S1C_S1E_T6_T7_T9_mT8_S1G_bDpT10_ENKUlT_T0_E_clISt17integral_constantIbLb0EES1U_EEDaS1P_S1Q_EUlS1P_E_NS1_11comp_targetILNS1_3genE9ELNS1_11target_archE1100ELNS1_3gpuE3ELNS1_3repE0EEENS1_30default_config_static_selectorELNS0_4arch9wavefront6targetE0EEEvS12_, .Lfunc_end956-_ZN7rocprim17ROCPRIM_400000_NS6detail17trampoline_kernelINS0_13select_configILj256ELj13ELNS0_17block_load_methodE3ELS4_3ELS4_3ELNS0_20block_scan_algorithmE0ELj4294967295EEENS1_25partition_config_selectorILNS1_17partition_subalgoE4EjNS0_10empty_typeEbEEZZNS1_14partition_implILS8_4ELb0ES6_15HIP_vector_typeIjLj2EENS0_17counting_iteratorIjlEEPS9_SG_NS0_5tupleIJPjSI_NS0_16reverse_iteratorISI_EEEEENSH_IJSG_SG_SG_EEES9_SI_JZNS1_25segmented_radix_sort_implINS0_14default_configELb0EPKsPsPKlPlN2at6native12_GLOBAL__N_18offset_tEEE10hipError_tPvRmT1_PNSt15iterator_traitsIS12_E10value_typeET2_T3_PNS13_IS18_E10value_typeET4_jRbjT5_S1E_jjP12ihipStream_tbEUljE_ZNSN_ISO_Lb0ESQ_SR_ST_SU_SY_EESZ_S10_S11_S12_S16_S17_S18_S1B_S1C_jS1D_jS1E_S1E_jjS1G_bEUljE0_EEESZ_S10_S11_S18_S1C_S1E_T6_T7_T9_mT8_S1G_bDpT10_ENKUlT_T0_E_clISt17integral_constantIbLb0EES1U_EEDaS1P_S1Q_EUlS1P_E_NS1_11comp_targetILNS1_3genE9ELNS1_11target_archE1100ELNS1_3gpuE3ELNS1_3repE0EEENS1_30default_config_static_selectorELNS0_4arch9wavefront6targetE0EEEvS12_
                                        ; -- End function
	.set _ZN7rocprim17ROCPRIM_400000_NS6detail17trampoline_kernelINS0_13select_configILj256ELj13ELNS0_17block_load_methodE3ELS4_3ELS4_3ELNS0_20block_scan_algorithmE0ELj4294967295EEENS1_25partition_config_selectorILNS1_17partition_subalgoE4EjNS0_10empty_typeEbEEZZNS1_14partition_implILS8_4ELb0ES6_15HIP_vector_typeIjLj2EENS0_17counting_iteratorIjlEEPS9_SG_NS0_5tupleIJPjSI_NS0_16reverse_iteratorISI_EEEEENSH_IJSG_SG_SG_EEES9_SI_JZNS1_25segmented_radix_sort_implINS0_14default_configELb0EPKsPsPKlPlN2at6native12_GLOBAL__N_18offset_tEEE10hipError_tPvRmT1_PNSt15iterator_traitsIS12_E10value_typeET2_T3_PNS13_IS18_E10value_typeET4_jRbjT5_S1E_jjP12ihipStream_tbEUljE_ZNSN_ISO_Lb0ESQ_SR_ST_SU_SY_EESZ_S10_S11_S12_S16_S17_S18_S1B_S1C_jS1D_jS1E_S1E_jjS1G_bEUljE0_EEESZ_S10_S11_S18_S1C_S1E_T6_T7_T9_mT8_S1G_bDpT10_ENKUlT_T0_E_clISt17integral_constantIbLb0EES1U_EEDaS1P_S1Q_EUlS1P_E_NS1_11comp_targetILNS1_3genE9ELNS1_11target_archE1100ELNS1_3gpuE3ELNS1_3repE0EEENS1_30default_config_static_selectorELNS0_4arch9wavefront6targetE0EEEvS12_.num_vgpr, 0
	.set _ZN7rocprim17ROCPRIM_400000_NS6detail17trampoline_kernelINS0_13select_configILj256ELj13ELNS0_17block_load_methodE3ELS4_3ELS4_3ELNS0_20block_scan_algorithmE0ELj4294967295EEENS1_25partition_config_selectorILNS1_17partition_subalgoE4EjNS0_10empty_typeEbEEZZNS1_14partition_implILS8_4ELb0ES6_15HIP_vector_typeIjLj2EENS0_17counting_iteratorIjlEEPS9_SG_NS0_5tupleIJPjSI_NS0_16reverse_iteratorISI_EEEEENSH_IJSG_SG_SG_EEES9_SI_JZNS1_25segmented_radix_sort_implINS0_14default_configELb0EPKsPsPKlPlN2at6native12_GLOBAL__N_18offset_tEEE10hipError_tPvRmT1_PNSt15iterator_traitsIS12_E10value_typeET2_T3_PNS13_IS18_E10value_typeET4_jRbjT5_S1E_jjP12ihipStream_tbEUljE_ZNSN_ISO_Lb0ESQ_SR_ST_SU_SY_EESZ_S10_S11_S12_S16_S17_S18_S1B_S1C_jS1D_jS1E_S1E_jjS1G_bEUljE0_EEESZ_S10_S11_S18_S1C_S1E_T6_T7_T9_mT8_S1G_bDpT10_ENKUlT_T0_E_clISt17integral_constantIbLb0EES1U_EEDaS1P_S1Q_EUlS1P_E_NS1_11comp_targetILNS1_3genE9ELNS1_11target_archE1100ELNS1_3gpuE3ELNS1_3repE0EEENS1_30default_config_static_selectorELNS0_4arch9wavefront6targetE0EEEvS12_.num_agpr, 0
	.set _ZN7rocprim17ROCPRIM_400000_NS6detail17trampoline_kernelINS0_13select_configILj256ELj13ELNS0_17block_load_methodE3ELS4_3ELS4_3ELNS0_20block_scan_algorithmE0ELj4294967295EEENS1_25partition_config_selectorILNS1_17partition_subalgoE4EjNS0_10empty_typeEbEEZZNS1_14partition_implILS8_4ELb0ES6_15HIP_vector_typeIjLj2EENS0_17counting_iteratorIjlEEPS9_SG_NS0_5tupleIJPjSI_NS0_16reverse_iteratorISI_EEEEENSH_IJSG_SG_SG_EEES9_SI_JZNS1_25segmented_radix_sort_implINS0_14default_configELb0EPKsPsPKlPlN2at6native12_GLOBAL__N_18offset_tEEE10hipError_tPvRmT1_PNSt15iterator_traitsIS12_E10value_typeET2_T3_PNS13_IS18_E10value_typeET4_jRbjT5_S1E_jjP12ihipStream_tbEUljE_ZNSN_ISO_Lb0ESQ_SR_ST_SU_SY_EESZ_S10_S11_S12_S16_S17_S18_S1B_S1C_jS1D_jS1E_S1E_jjS1G_bEUljE0_EEESZ_S10_S11_S18_S1C_S1E_T6_T7_T9_mT8_S1G_bDpT10_ENKUlT_T0_E_clISt17integral_constantIbLb0EES1U_EEDaS1P_S1Q_EUlS1P_E_NS1_11comp_targetILNS1_3genE9ELNS1_11target_archE1100ELNS1_3gpuE3ELNS1_3repE0EEENS1_30default_config_static_selectorELNS0_4arch9wavefront6targetE0EEEvS12_.numbered_sgpr, 0
	.set _ZN7rocprim17ROCPRIM_400000_NS6detail17trampoline_kernelINS0_13select_configILj256ELj13ELNS0_17block_load_methodE3ELS4_3ELS4_3ELNS0_20block_scan_algorithmE0ELj4294967295EEENS1_25partition_config_selectorILNS1_17partition_subalgoE4EjNS0_10empty_typeEbEEZZNS1_14partition_implILS8_4ELb0ES6_15HIP_vector_typeIjLj2EENS0_17counting_iteratorIjlEEPS9_SG_NS0_5tupleIJPjSI_NS0_16reverse_iteratorISI_EEEEENSH_IJSG_SG_SG_EEES9_SI_JZNS1_25segmented_radix_sort_implINS0_14default_configELb0EPKsPsPKlPlN2at6native12_GLOBAL__N_18offset_tEEE10hipError_tPvRmT1_PNSt15iterator_traitsIS12_E10value_typeET2_T3_PNS13_IS18_E10value_typeET4_jRbjT5_S1E_jjP12ihipStream_tbEUljE_ZNSN_ISO_Lb0ESQ_SR_ST_SU_SY_EESZ_S10_S11_S12_S16_S17_S18_S1B_S1C_jS1D_jS1E_S1E_jjS1G_bEUljE0_EEESZ_S10_S11_S18_S1C_S1E_T6_T7_T9_mT8_S1G_bDpT10_ENKUlT_T0_E_clISt17integral_constantIbLb0EES1U_EEDaS1P_S1Q_EUlS1P_E_NS1_11comp_targetILNS1_3genE9ELNS1_11target_archE1100ELNS1_3gpuE3ELNS1_3repE0EEENS1_30default_config_static_selectorELNS0_4arch9wavefront6targetE0EEEvS12_.num_named_barrier, 0
	.set _ZN7rocprim17ROCPRIM_400000_NS6detail17trampoline_kernelINS0_13select_configILj256ELj13ELNS0_17block_load_methodE3ELS4_3ELS4_3ELNS0_20block_scan_algorithmE0ELj4294967295EEENS1_25partition_config_selectorILNS1_17partition_subalgoE4EjNS0_10empty_typeEbEEZZNS1_14partition_implILS8_4ELb0ES6_15HIP_vector_typeIjLj2EENS0_17counting_iteratorIjlEEPS9_SG_NS0_5tupleIJPjSI_NS0_16reverse_iteratorISI_EEEEENSH_IJSG_SG_SG_EEES9_SI_JZNS1_25segmented_radix_sort_implINS0_14default_configELb0EPKsPsPKlPlN2at6native12_GLOBAL__N_18offset_tEEE10hipError_tPvRmT1_PNSt15iterator_traitsIS12_E10value_typeET2_T3_PNS13_IS18_E10value_typeET4_jRbjT5_S1E_jjP12ihipStream_tbEUljE_ZNSN_ISO_Lb0ESQ_SR_ST_SU_SY_EESZ_S10_S11_S12_S16_S17_S18_S1B_S1C_jS1D_jS1E_S1E_jjS1G_bEUljE0_EEESZ_S10_S11_S18_S1C_S1E_T6_T7_T9_mT8_S1G_bDpT10_ENKUlT_T0_E_clISt17integral_constantIbLb0EES1U_EEDaS1P_S1Q_EUlS1P_E_NS1_11comp_targetILNS1_3genE9ELNS1_11target_archE1100ELNS1_3gpuE3ELNS1_3repE0EEENS1_30default_config_static_selectorELNS0_4arch9wavefront6targetE0EEEvS12_.private_seg_size, 0
	.set _ZN7rocprim17ROCPRIM_400000_NS6detail17trampoline_kernelINS0_13select_configILj256ELj13ELNS0_17block_load_methodE3ELS4_3ELS4_3ELNS0_20block_scan_algorithmE0ELj4294967295EEENS1_25partition_config_selectorILNS1_17partition_subalgoE4EjNS0_10empty_typeEbEEZZNS1_14partition_implILS8_4ELb0ES6_15HIP_vector_typeIjLj2EENS0_17counting_iteratorIjlEEPS9_SG_NS0_5tupleIJPjSI_NS0_16reverse_iteratorISI_EEEEENSH_IJSG_SG_SG_EEES9_SI_JZNS1_25segmented_radix_sort_implINS0_14default_configELb0EPKsPsPKlPlN2at6native12_GLOBAL__N_18offset_tEEE10hipError_tPvRmT1_PNSt15iterator_traitsIS12_E10value_typeET2_T3_PNS13_IS18_E10value_typeET4_jRbjT5_S1E_jjP12ihipStream_tbEUljE_ZNSN_ISO_Lb0ESQ_SR_ST_SU_SY_EESZ_S10_S11_S12_S16_S17_S18_S1B_S1C_jS1D_jS1E_S1E_jjS1G_bEUljE0_EEESZ_S10_S11_S18_S1C_S1E_T6_T7_T9_mT8_S1G_bDpT10_ENKUlT_T0_E_clISt17integral_constantIbLb0EES1U_EEDaS1P_S1Q_EUlS1P_E_NS1_11comp_targetILNS1_3genE9ELNS1_11target_archE1100ELNS1_3gpuE3ELNS1_3repE0EEENS1_30default_config_static_selectorELNS0_4arch9wavefront6targetE0EEEvS12_.uses_vcc, 0
	.set _ZN7rocprim17ROCPRIM_400000_NS6detail17trampoline_kernelINS0_13select_configILj256ELj13ELNS0_17block_load_methodE3ELS4_3ELS4_3ELNS0_20block_scan_algorithmE0ELj4294967295EEENS1_25partition_config_selectorILNS1_17partition_subalgoE4EjNS0_10empty_typeEbEEZZNS1_14partition_implILS8_4ELb0ES6_15HIP_vector_typeIjLj2EENS0_17counting_iteratorIjlEEPS9_SG_NS0_5tupleIJPjSI_NS0_16reverse_iteratorISI_EEEEENSH_IJSG_SG_SG_EEES9_SI_JZNS1_25segmented_radix_sort_implINS0_14default_configELb0EPKsPsPKlPlN2at6native12_GLOBAL__N_18offset_tEEE10hipError_tPvRmT1_PNSt15iterator_traitsIS12_E10value_typeET2_T3_PNS13_IS18_E10value_typeET4_jRbjT5_S1E_jjP12ihipStream_tbEUljE_ZNSN_ISO_Lb0ESQ_SR_ST_SU_SY_EESZ_S10_S11_S12_S16_S17_S18_S1B_S1C_jS1D_jS1E_S1E_jjS1G_bEUljE0_EEESZ_S10_S11_S18_S1C_S1E_T6_T7_T9_mT8_S1G_bDpT10_ENKUlT_T0_E_clISt17integral_constantIbLb0EES1U_EEDaS1P_S1Q_EUlS1P_E_NS1_11comp_targetILNS1_3genE9ELNS1_11target_archE1100ELNS1_3gpuE3ELNS1_3repE0EEENS1_30default_config_static_selectorELNS0_4arch9wavefront6targetE0EEEvS12_.uses_flat_scratch, 0
	.set _ZN7rocprim17ROCPRIM_400000_NS6detail17trampoline_kernelINS0_13select_configILj256ELj13ELNS0_17block_load_methodE3ELS4_3ELS4_3ELNS0_20block_scan_algorithmE0ELj4294967295EEENS1_25partition_config_selectorILNS1_17partition_subalgoE4EjNS0_10empty_typeEbEEZZNS1_14partition_implILS8_4ELb0ES6_15HIP_vector_typeIjLj2EENS0_17counting_iteratorIjlEEPS9_SG_NS0_5tupleIJPjSI_NS0_16reverse_iteratorISI_EEEEENSH_IJSG_SG_SG_EEES9_SI_JZNS1_25segmented_radix_sort_implINS0_14default_configELb0EPKsPsPKlPlN2at6native12_GLOBAL__N_18offset_tEEE10hipError_tPvRmT1_PNSt15iterator_traitsIS12_E10value_typeET2_T3_PNS13_IS18_E10value_typeET4_jRbjT5_S1E_jjP12ihipStream_tbEUljE_ZNSN_ISO_Lb0ESQ_SR_ST_SU_SY_EESZ_S10_S11_S12_S16_S17_S18_S1B_S1C_jS1D_jS1E_S1E_jjS1G_bEUljE0_EEESZ_S10_S11_S18_S1C_S1E_T6_T7_T9_mT8_S1G_bDpT10_ENKUlT_T0_E_clISt17integral_constantIbLb0EES1U_EEDaS1P_S1Q_EUlS1P_E_NS1_11comp_targetILNS1_3genE9ELNS1_11target_archE1100ELNS1_3gpuE3ELNS1_3repE0EEENS1_30default_config_static_selectorELNS0_4arch9wavefront6targetE0EEEvS12_.has_dyn_sized_stack, 0
	.set _ZN7rocprim17ROCPRIM_400000_NS6detail17trampoline_kernelINS0_13select_configILj256ELj13ELNS0_17block_load_methodE3ELS4_3ELS4_3ELNS0_20block_scan_algorithmE0ELj4294967295EEENS1_25partition_config_selectorILNS1_17partition_subalgoE4EjNS0_10empty_typeEbEEZZNS1_14partition_implILS8_4ELb0ES6_15HIP_vector_typeIjLj2EENS0_17counting_iteratorIjlEEPS9_SG_NS0_5tupleIJPjSI_NS0_16reverse_iteratorISI_EEEEENSH_IJSG_SG_SG_EEES9_SI_JZNS1_25segmented_radix_sort_implINS0_14default_configELb0EPKsPsPKlPlN2at6native12_GLOBAL__N_18offset_tEEE10hipError_tPvRmT1_PNSt15iterator_traitsIS12_E10value_typeET2_T3_PNS13_IS18_E10value_typeET4_jRbjT5_S1E_jjP12ihipStream_tbEUljE_ZNSN_ISO_Lb0ESQ_SR_ST_SU_SY_EESZ_S10_S11_S12_S16_S17_S18_S1B_S1C_jS1D_jS1E_S1E_jjS1G_bEUljE0_EEESZ_S10_S11_S18_S1C_S1E_T6_T7_T9_mT8_S1G_bDpT10_ENKUlT_T0_E_clISt17integral_constantIbLb0EES1U_EEDaS1P_S1Q_EUlS1P_E_NS1_11comp_targetILNS1_3genE9ELNS1_11target_archE1100ELNS1_3gpuE3ELNS1_3repE0EEENS1_30default_config_static_selectorELNS0_4arch9wavefront6targetE0EEEvS12_.has_recursion, 0
	.set _ZN7rocprim17ROCPRIM_400000_NS6detail17trampoline_kernelINS0_13select_configILj256ELj13ELNS0_17block_load_methodE3ELS4_3ELS4_3ELNS0_20block_scan_algorithmE0ELj4294967295EEENS1_25partition_config_selectorILNS1_17partition_subalgoE4EjNS0_10empty_typeEbEEZZNS1_14partition_implILS8_4ELb0ES6_15HIP_vector_typeIjLj2EENS0_17counting_iteratorIjlEEPS9_SG_NS0_5tupleIJPjSI_NS0_16reverse_iteratorISI_EEEEENSH_IJSG_SG_SG_EEES9_SI_JZNS1_25segmented_radix_sort_implINS0_14default_configELb0EPKsPsPKlPlN2at6native12_GLOBAL__N_18offset_tEEE10hipError_tPvRmT1_PNSt15iterator_traitsIS12_E10value_typeET2_T3_PNS13_IS18_E10value_typeET4_jRbjT5_S1E_jjP12ihipStream_tbEUljE_ZNSN_ISO_Lb0ESQ_SR_ST_SU_SY_EESZ_S10_S11_S12_S16_S17_S18_S1B_S1C_jS1D_jS1E_S1E_jjS1G_bEUljE0_EEESZ_S10_S11_S18_S1C_S1E_T6_T7_T9_mT8_S1G_bDpT10_ENKUlT_T0_E_clISt17integral_constantIbLb0EES1U_EEDaS1P_S1Q_EUlS1P_E_NS1_11comp_targetILNS1_3genE9ELNS1_11target_archE1100ELNS1_3gpuE3ELNS1_3repE0EEENS1_30default_config_static_selectorELNS0_4arch9wavefront6targetE0EEEvS12_.has_indirect_call, 0
	.section	.AMDGPU.csdata,"",@progbits
; Kernel info:
; codeLenInByte = 0
; TotalNumSgprs: 0
; NumVgprs: 0
; ScratchSize: 0
; MemoryBound: 0
; FloatMode: 240
; IeeeMode: 1
; LDSByteSize: 0 bytes/workgroup (compile time only)
; SGPRBlocks: 0
; VGPRBlocks: 0
; NumSGPRsForWavesPerEU: 1
; NumVGPRsForWavesPerEU: 1
; Occupancy: 16
; WaveLimiterHint : 0
; COMPUTE_PGM_RSRC2:SCRATCH_EN: 0
; COMPUTE_PGM_RSRC2:USER_SGPR: 2
; COMPUTE_PGM_RSRC2:TRAP_HANDLER: 0
; COMPUTE_PGM_RSRC2:TGID_X_EN: 1
; COMPUTE_PGM_RSRC2:TGID_Y_EN: 0
; COMPUTE_PGM_RSRC2:TGID_Z_EN: 0
; COMPUTE_PGM_RSRC2:TIDIG_COMP_CNT: 0
	.section	.text._ZN7rocprim17ROCPRIM_400000_NS6detail17trampoline_kernelINS0_13select_configILj256ELj13ELNS0_17block_load_methodE3ELS4_3ELS4_3ELNS0_20block_scan_algorithmE0ELj4294967295EEENS1_25partition_config_selectorILNS1_17partition_subalgoE4EjNS0_10empty_typeEbEEZZNS1_14partition_implILS8_4ELb0ES6_15HIP_vector_typeIjLj2EENS0_17counting_iteratorIjlEEPS9_SG_NS0_5tupleIJPjSI_NS0_16reverse_iteratorISI_EEEEENSH_IJSG_SG_SG_EEES9_SI_JZNS1_25segmented_radix_sort_implINS0_14default_configELb0EPKsPsPKlPlN2at6native12_GLOBAL__N_18offset_tEEE10hipError_tPvRmT1_PNSt15iterator_traitsIS12_E10value_typeET2_T3_PNS13_IS18_E10value_typeET4_jRbjT5_S1E_jjP12ihipStream_tbEUljE_ZNSN_ISO_Lb0ESQ_SR_ST_SU_SY_EESZ_S10_S11_S12_S16_S17_S18_S1B_S1C_jS1D_jS1E_S1E_jjS1G_bEUljE0_EEESZ_S10_S11_S18_S1C_S1E_T6_T7_T9_mT8_S1G_bDpT10_ENKUlT_T0_E_clISt17integral_constantIbLb0EES1U_EEDaS1P_S1Q_EUlS1P_E_NS1_11comp_targetILNS1_3genE8ELNS1_11target_archE1030ELNS1_3gpuE2ELNS1_3repE0EEENS1_30default_config_static_selectorELNS0_4arch9wavefront6targetE0EEEvS12_,"axG",@progbits,_ZN7rocprim17ROCPRIM_400000_NS6detail17trampoline_kernelINS0_13select_configILj256ELj13ELNS0_17block_load_methodE3ELS4_3ELS4_3ELNS0_20block_scan_algorithmE0ELj4294967295EEENS1_25partition_config_selectorILNS1_17partition_subalgoE4EjNS0_10empty_typeEbEEZZNS1_14partition_implILS8_4ELb0ES6_15HIP_vector_typeIjLj2EENS0_17counting_iteratorIjlEEPS9_SG_NS0_5tupleIJPjSI_NS0_16reverse_iteratorISI_EEEEENSH_IJSG_SG_SG_EEES9_SI_JZNS1_25segmented_radix_sort_implINS0_14default_configELb0EPKsPsPKlPlN2at6native12_GLOBAL__N_18offset_tEEE10hipError_tPvRmT1_PNSt15iterator_traitsIS12_E10value_typeET2_T3_PNS13_IS18_E10value_typeET4_jRbjT5_S1E_jjP12ihipStream_tbEUljE_ZNSN_ISO_Lb0ESQ_SR_ST_SU_SY_EESZ_S10_S11_S12_S16_S17_S18_S1B_S1C_jS1D_jS1E_S1E_jjS1G_bEUljE0_EEESZ_S10_S11_S18_S1C_S1E_T6_T7_T9_mT8_S1G_bDpT10_ENKUlT_T0_E_clISt17integral_constantIbLb0EES1U_EEDaS1P_S1Q_EUlS1P_E_NS1_11comp_targetILNS1_3genE8ELNS1_11target_archE1030ELNS1_3gpuE2ELNS1_3repE0EEENS1_30default_config_static_selectorELNS0_4arch9wavefront6targetE0EEEvS12_,comdat
	.globl	_ZN7rocprim17ROCPRIM_400000_NS6detail17trampoline_kernelINS0_13select_configILj256ELj13ELNS0_17block_load_methodE3ELS4_3ELS4_3ELNS0_20block_scan_algorithmE0ELj4294967295EEENS1_25partition_config_selectorILNS1_17partition_subalgoE4EjNS0_10empty_typeEbEEZZNS1_14partition_implILS8_4ELb0ES6_15HIP_vector_typeIjLj2EENS0_17counting_iteratorIjlEEPS9_SG_NS0_5tupleIJPjSI_NS0_16reverse_iteratorISI_EEEEENSH_IJSG_SG_SG_EEES9_SI_JZNS1_25segmented_radix_sort_implINS0_14default_configELb0EPKsPsPKlPlN2at6native12_GLOBAL__N_18offset_tEEE10hipError_tPvRmT1_PNSt15iterator_traitsIS12_E10value_typeET2_T3_PNS13_IS18_E10value_typeET4_jRbjT5_S1E_jjP12ihipStream_tbEUljE_ZNSN_ISO_Lb0ESQ_SR_ST_SU_SY_EESZ_S10_S11_S12_S16_S17_S18_S1B_S1C_jS1D_jS1E_S1E_jjS1G_bEUljE0_EEESZ_S10_S11_S18_S1C_S1E_T6_T7_T9_mT8_S1G_bDpT10_ENKUlT_T0_E_clISt17integral_constantIbLb0EES1U_EEDaS1P_S1Q_EUlS1P_E_NS1_11comp_targetILNS1_3genE8ELNS1_11target_archE1030ELNS1_3gpuE2ELNS1_3repE0EEENS1_30default_config_static_selectorELNS0_4arch9wavefront6targetE0EEEvS12_ ; -- Begin function _ZN7rocprim17ROCPRIM_400000_NS6detail17trampoline_kernelINS0_13select_configILj256ELj13ELNS0_17block_load_methodE3ELS4_3ELS4_3ELNS0_20block_scan_algorithmE0ELj4294967295EEENS1_25partition_config_selectorILNS1_17partition_subalgoE4EjNS0_10empty_typeEbEEZZNS1_14partition_implILS8_4ELb0ES6_15HIP_vector_typeIjLj2EENS0_17counting_iteratorIjlEEPS9_SG_NS0_5tupleIJPjSI_NS0_16reverse_iteratorISI_EEEEENSH_IJSG_SG_SG_EEES9_SI_JZNS1_25segmented_radix_sort_implINS0_14default_configELb0EPKsPsPKlPlN2at6native12_GLOBAL__N_18offset_tEEE10hipError_tPvRmT1_PNSt15iterator_traitsIS12_E10value_typeET2_T3_PNS13_IS18_E10value_typeET4_jRbjT5_S1E_jjP12ihipStream_tbEUljE_ZNSN_ISO_Lb0ESQ_SR_ST_SU_SY_EESZ_S10_S11_S12_S16_S17_S18_S1B_S1C_jS1D_jS1E_S1E_jjS1G_bEUljE0_EEESZ_S10_S11_S18_S1C_S1E_T6_T7_T9_mT8_S1G_bDpT10_ENKUlT_T0_E_clISt17integral_constantIbLb0EES1U_EEDaS1P_S1Q_EUlS1P_E_NS1_11comp_targetILNS1_3genE8ELNS1_11target_archE1030ELNS1_3gpuE2ELNS1_3repE0EEENS1_30default_config_static_selectorELNS0_4arch9wavefront6targetE0EEEvS12_
	.p2align	8
	.type	_ZN7rocprim17ROCPRIM_400000_NS6detail17trampoline_kernelINS0_13select_configILj256ELj13ELNS0_17block_load_methodE3ELS4_3ELS4_3ELNS0_20block_scan_algorithmE0ELj4294967295EEENS1_25partition_config_selectorILNS1_17partition_subalgoE4EjNS0_10empty_typeEbEEZZNS1_14partition_implILS8_4ELb0ES6_15HIP_vector_typeIjLj2EENS0_17counting_iteratorIjlEEPS9_SG_NS0_5tupleIJPjSI_NS0_16reverse_iteratorISI_EEEEENSH_IJSG_SG_SG_EEES9_SI_JZNS1_25segmented_radix_sort_implINS0_14default_configELb0EPKsPsPKlPlN2at6native12_GLOBAL__N_18offset_tEEE10hipError_tPvRmT1_PNSt15iterator_traitsIS12_E10value_typeET2_T3_PNS13_IS18_E10value_typeET4_jRbjT5_S1E_jjP12ihipStream_tbEUljE_ZNSN_ISO_Lb0ESQ_SR_ST_SU_SY_EESZ_S10_S11_S12_S16_S17_S18_S1B_S1C_jS1D_jS1E_S1E_jjS1G_bEUljE0_EEESZ_S10_S11_S18_S1C_S1E_T6_T7_T9_mT8_S1G_bDpT10_ENKUlT_T0_E_clISt17integral_constantIbLb0EES1U_EEDaS1P_S1Q_EUlS1P_E_NS1_11comp_targetILNS1_3genE8ELNS1_11target_archE1030ELNS1_3gpuE2ELNS1_3repE0EEENS1_30default_config_static_selectorELNS0_4arch9wavefront6targetE0EEEvS12_,@function
_ZN7rocprim17ROCPRIM_400000_NS6detail17trampoline_kernelINS0_13select_configILj256ELj13ELNS0_17block_load_methodE3ELS4_3ELS4_3ELNS0_20block_scan_algorithmE0ELj4294967295EEENS1_25partition_config_selectorILNS1_17partition_subalgoE4EjNS0_10empty_typeEbEEZZNS1_14partition_implILS8_4ELb0ES6_15HIP_vector_typeIjLj2EENS0_17counting_iteratorIjlEEPS9_SG_NS0_5tupleIJPjSI_NS0_16reverse_iteratorISI_EEEEENSH_IJSG_SG_SG_EEES9_SI_JZNS1_25segmented_radix_sort_implINS0_14default_configELb0EPKsPsPKlPlN2at6native12_GLOBAL__N_18offset_tEEE10hipError_tPvRmT1_PNSt15iterator_traitsIS12_E10value_typeET2_T3_PNS13_IS18_E10value_typeET4_jRbjT5_S1E_jjP12ihipStream_tbEUljE_ZNSN_ISO_Lb0ESQ_SR_ST_SU_SY_EESZ_S10_S11_S12_S16_S17_S18_S1B_S1C_jS1D_jS1E_S1E_jjS1G_bEUljE0_EEESZ_S10_S11_S18_S1C_S1E_T6_T7_T9_mT8_S1G_bDpT10_ENKUlT_T0_E_clISt17integral_constantIbLb0EES1U_EEDaS1P_S1Q_EUlS1P_E_NS1_11comp_targetILNS1_3genE8ELNS1_11target_archE1030ELNS1_3gpuE2ELNS1_3repE0EEENS1_30default_config_static_selectorELNS0_4arch9wavefront6targetE0EEEvS12_: ; @_ZN7rocprim17ROCPRIM_400000_NS6detail17trampoline_kernelINS0_13select_configILj256ELj13ELNS0_17block_load_methodE3ELS4_3ELS4_3ELNS0_20block_scan_algorithmE0ELj4294967295EEENS1_25partition_config_selectorILNS1_17partition_subalgoE4EjNS0_10empty_typeEbEEZZNS1_14partition_implILS8_4ELb0ES6_15HIP_vector_typeIjLj2EENS0_17counting_iteratorIjlEEPS9_SG_NS0_5tupleIJPjSI_NS0_16reverse_iteratorISI_EEEEENSH_IJSG_SG_SG_EEES9_SI_JZNS1_25segmented_radix_sort_implINS0_14default_configELb0EPKsPsPKlPlN2at6native12_GLOBAL__N_18offset_tEEE10hipError_tPvRmT1_PNSt15iterator_traitsIS12_E10value_typeET2_T3_PNS13_IS18_E10value_typeET4_jRbjT5_S1E_jjP12ihipStream_tbEUljE_ZNSN_ISO_Lb0ESQ_SR_ST_SU_SY_EESZ_S10_S11_S12_S16_S17_S18_S1B_S1C_jS1D_jS1E_S1E_jjS1G_bEUljE0_EEESZ_S10_S11_S18_S1C_S1E_T6_T7_T9_mT8_S1G_bDpT10_ENKUlT_T0_E_clISt17integral_constantIbLb0EES1U_EEDaS1P_S1Q_EUlS1P_E_NS1_11comp_targetILNS1_3genE8ELNS1_11target_archE1030ELNS1_3gpuE2ELNS1_3repE0EEENS1_30default_config_static_selectorELNS0_4arch9wavefront6targetE0EEEvS12_
; %bb.0:
	.section	.rodata,"a",@progbits
	.p2align	6, 0x0
	.amdhsa_kernel _ZN7rocprim17ROCPRIM_400000_NS6detail17trampoline_kernelINS0_13select_configILj256ELj13ELNS0_17block_load_methodE3ELS4_3ELS4_3ELNS0_20block_scan_algorithmE0ELj4294967295EEENS1_25partition_config_selectorILNS1_17partition_subalgoE4EjNS0_10empty_typeEbEEZZNS1_14partition_implILS8_4ELb0ES6_15HIP_vector_typeIjLj2EENS0_17counting_iteratorIjlEEPS9_SG_NS0_5tupleIJPjSI_NS0_16reverse_iteratorISI_EEEEENSH_IJSG_SG_SG_EEES9_SI_JZNS1_25segmented_radix_sort_implINS0_14default_configELb0EPKsPsPKlPlN2at6native12_GLOBAL__N_18offset_tEEE10hipError_tPvRmT1_PNSt15iterator_traitsIS12_E10value_typeET2_T3_PNS13_IS18_E10value_typeET4_jRbjT5_S1E_jjP12ihipStream_tbEUljE_ZNSN_ISO_Lb0ESQ_SR_ST_SU_SY_EESZ_S10_S11_S12_S16_S17_S18_S1B_S1C_jS1D_jS1E_S1E_jjS1G_bEUljE0_EEESZ_S10_S11_S18_S1C_S1E_T6_T7_T9_mT8_S1G_bDpT10_ENKUlT_T0_E_clISt17integral_constantIbLb0EES1U_EEDaS1P_S1Q_EUlS1P_E_NS1_11comp_targetILNS1_3genE8ELNS1_11target_archE1030ELNS1_3gpuE2ELNS1_3repE0EEENS1_30default_config_static_selectorELNS0_4arch9wavefront6targetE0EEEvS12_
		.amdhsa_group_segment_fixed_size 0
		.amdhsa_private_segment_fixed_size 0
		.amdhsa_kernarg_size 176
		.amdhsa_user_sgpr_count 2
		.amdhsa_user_sgpr_dispatch_ptr 0
		.amdhsa_user_sgpr_queue_ptr 0
		.amdhsa_user_sgpr_kernarg_segment_ptr 1
		.amdhsa_user_sgpr_dispatch_id 0
		.amdhsa_user_sgpr_private_segment_size 0
		.amdhsa_wavefront_size32 1
		.amdhsa_uses_dynamic_stack 0
		.amdhsa_enable_private_segment 0
		.amdhsa_system_sgpr_workgroup_id_x 1
		.amdhsa_system_sgpr_workgroup_id_y 0
		.amdhsa_system_sgpr_workgroup_id_z 0
		.amdhsa_system_sgpr_workgroup_info 0
		.amdhsa_system_vgpr_workitem_id 0
		.amdhsa_next_free_vgpr 1
		.amdhsa_next_free_sgpr 1
		.amdhsa_reserve_vcc 0
		.amdhsa_float_round_mode_32 0
		.amdhsa_float_round_mode_16_64 0
		.amdhsa_float_denorm_mode_32 3
		.amdhsa_float_denorm_mode_16_64 3
		.amdhsa_fp16_overflow 0
		.amdhsa_workgroup_processor_mode 1
		.amdhsa_memory_ordered 1
		.amdhsa_forward_progress 1
		.amdhsa_inst_pref_size 0
		.amdhsa_round_robin_scheduling 0
		.amdhsa_exception_fp_ieee_invalid_op 0
		.amdhsa_exception_fp_denorm_src 0
		.amdhsa_exception_fp_ieee_div_zero 0
		.amdhsa_exception_fp_ieee_overflow 0
		.amdhsa_exception_fp_ieee_underflow 0
		.amdhsa_exception_fp_ieee_inexact 0
		.amdhsa_exception_int_div_zero 0
	.end_amdhsa_kernel
	.section	.text._ZN7rocprim17ROCPRIM_400000_NS6detail17trampoline_kernelINS0_13select_configILj256ELj13ELNS0_17block_load_methodE3ELS4_3ELS4_3ELNS0_20block_scan_algorithmE0ELj4294967295EEENS1_25partition_config_selectorILNS1_17partition_subalgoE4EjNS0_10empty_typeEbEEZZNS1_14partition_implILS8_4ELb0ES6_15HIP_vector_typeIjLj2EENS0_17counting_iteratorIjlEEPS9_SG_NS0_5tupleIJPjSI_NS0_16reverse_iteratorISI_EEEEENSH_IJSG_SG_SG_EEES9_SI_JZNS1_25segmented_radix_sort_implINS0_14default_configELb0EPKsPsPKlPlN2at6native12_GLOBAL__N_18offset_tEEE10hipError_tPvRmT1_PNSt15iterator_traitsIS12_E10value_typeET2_T3_PNS13_IS18_E10value_typeET4_jRbjT5_S1E_jjP12ihipStream_tbEUljE_ZNSN_ISO_Lb0ESQ_SR_ST_SU_SY_EESZ_S10_S11_S12_S16_S17_S18_S1B_S1C_jS1D_jS1E_S1E_jjS1G_bEUljE0_EEESZ_S10_S11_S18_S1C_S1E_T6_T7_T9_mT8_S1G_bDpT10_ENKUlT_T0_E_clISt17integral_constantIbLb0EES1U_EEDaS1P_S1Q_EUlS1P_E_NS1_11comp_targetILNS1_3genE8ELNS1_11target_archE1030ELNS1_3gpuE2ELNS1_3repE0EEENS1_30default_config_static_selectorELNS0_4arch9wavefront6targetE0EEEvS12_,"axG",@progbits,_ZN7rocprim17ROCPRIM_400000_NS6detail17trampoline_kernelINS0_13select_configILj256ELj13ELNS0_17block_load_methodE3ELS4_3ELS4_3ELNS0_20block_scan_algorithmE0ELj4294967295EEENS1_25partition_config_selectorILNS1_17partition_subalgoE4EjNS0_10empty_typeEbEEZZNS1_14partition_implILS8_4ELb0ES6_15HIP_vector_typeIjLj2EENS0_17counting_iteratorIjlEEPS9_SG_NS0_5tupleIJPjSI_NS0_16reverse_iteratorISI_EEEEENSH_IJSG_SG_SG_EEES9_SI_JZNS1_25segmented_radix_sort_implINS0_14default_configELb0EPKsPsPKlPlN2at6native12_GLOBAL__N_18offset_tEEE10hipError_tPvRmT1_PNSt15iterator_traitsIS12_E10value_typeET2_T3_PNS13_IS18_E10value_typeET4_jRbjT5_S1E_jjP12ihipStream_tbEUljE_ZNSN_ISO_Lb0ESQ_SR_ST_SU_SY_EESZ_S10_S11_S12_S16_S17_S18_S1B_S1C_jS1D_jS1E_S1E_jjS1G_bEUljE0_EEESZ_S10_S11_S18_S1C_S1E_T6_T7_T9_mT8_S1G_bDpT10_ENKUlT_T0_E_clISt17integral_constantIbLb0EES1U_EEDaS1P_S1Q_EUlS1P_E_NS1_11comp_targetILNS1_3genE8ELNS1_11target_archE1030ELNS1_3gpuE2ELNS1_3repE0EEENS1_30default_config_static_selectorELNS0_4arch9wavefront6targetE0EEEvS12_,comdat
.Lfunc_end957:
	.size	_ZN7rocprim17ROCPRIM_400000_NS6detail17trampoline_kernelINS0_13select_configILj256ELj13ELNS0_17block_load_methodE3ELS4_3ELS4_3ELNS0_20block_scan_algorithmE0ELj4294967295EEENS1_25partition_config_selectorILNS1_17partition_subalgoE4EjNS0_10empty_typeEbEEZZNS1_14partition_implILS8_4ELb0ES6_15HIP_vector_typeIjLj2EENS0_17counting_iteratorIjlEEPS9_SG_NS0_5tupleIJPjSI_NS0_16reverse_iteratorISI_EEEEENSH_IJSG_SG_SG_EEES9_SI_JZNS1_25segmented_radix_sort_implINS0_14default_configELb0EPKsPsPKlPlN2at6native12_GLOBAL__N_18offset_tEEE10hipError_tPvRmT1_PNSt15iterator_traitsIS12_E10value_typeET2_T3_PNS13_IS18_E10value_typeET4_jRbjT5_S1E_jjP12ihipStream_tbEUljE_ZNSN_ISO_Lb0ESQ_SR_ST_SU_SY_EESZ_S10_S11_S12_S16_S17_S18_S1B_S1C_jS1D_jS1E_S1E_jjS1G_bEUljE0_EEESZ_S10_S11_S18_S1C_S1E_T6_T7_T9_mT8_S1G_bDpT10_ENKUlT_T0_E_clISt17integral_constantIbLb0EES1U_EEDaS1P_S1Q_EUlS1P_E_NS1_11comp_targetILNS1_3genE8ELNS1_11target_archE1030ELNS1_3gpuE2ELNS1_3repE0EEENS1_30default_config_static_selectorELNS0_4arch9wavefront6targetE0EEEvS12_, .Lfunc_end957-_ZN7rocprim17ROCPRIM_400000_NS6detail17trampoline_kernelINS0_13select_configILj256ELj13ELNS0_17block_load_methodE3ELS4_3ELS4_3ELNS0_20block_scan_algorithmE0ELj4294967295EEENS1_25partition_config_selectorILNS1_17partition_subalgoE4EjNS0_10empty_typeEbEEZZNS1_14partition_implILS8_4ELb0ES6_15HIP_vector_typeIjLj2EENS0_17counting_iteratorIjlEEPS9_SG_NS0_5tupleIJPjSI_NS0_16reverse_iteratorISI_EEEEENSH_IJSG_SG_SG_EEES9_SI_JZNS1_25segmented_radix_sort_implINS0_14default_configELb0EPKsPsPKlPlN2at6native12_GLOBAL__N_18offset_tEEE10hipError_tPvRmT1_PNSt15iterator_traitsIS12_E10value_typeET2_T3_PNS13_IS18_E10value_typeET4_jRbjT5_S1E_jjP12ihipStream_tbEUljE_ZNSN_ISO_Lb0ESQ_SR_ST_SU_SY_EESZ_S10_S11_S12_S16_S17_S18_S1B_S1C_jS1D_jS1E_S1E_jjS1G_bEUljE0_EEESZ_S10_S11_S18_S1C_S1E_T6_T7_T9_mT8_S1G_bDpT10_ENKUlT_T0_E_clISt17integral_constantIbLb0EES1U_EEDaS1P_S1Q_EUlS1P_E_NS1_11comp_targetILNS1_3genE8ELNS1_11target_archE1030ELNS1_3gpuE2ELNS1_3repE0EEENS1_30default_config_static_selectorELNS0_4arch9wavefront6targetE0EEEvS12_
                                        ; -- End function
	.set _ZN7rocprim17ROCPRIM_400000_NS6detail17trampoline_kernelINS0_13select_configILj256ELj13ELNS0_17block_load_methodE3ELS4_3ELS4_3ELNS0_20block_scan_algorithmE0ELj4294967295EEENS1_25partition_config_selectorILNS1_17partition_subalgoE4EjNS0_10empty_typeEbEEZZNS1_14partition_implILS8_4ELb0ES6_15HIP_vector_typeIjLj2EENS0_17counting_iteratorIjlEEPS9_SG_NS0_5tupleIJPjSI_NS0_16reverse_iteratorISI_EEEEENSH_IJSG_SG_SG_EEES9_SI_JZNS1_25segmented_radix_sort_implINS0_14default_configELb0EPKsPsPKlPlN2at6native12_GLOBAL__N_18offset_tEEE10hipError_tPvRmT1_PNSt15iterator_traitsIS12_E10value_typeET2_T3_PNS13_IS18_E10value_typeET4_jRbjT5_S1E_jjP12ihipStream_tbEUljE_ZNSN_ISO_Lb0ESQ_SR_ST_SU_SY_EESZ_S10_S11_S12_S16_S17_S18_S1B_S1C_jS1D_jS1E_S1E_jjS1G_bEUljE0_EEESZ_S10_S11_S18_S1C_S1E_T6_T7_T9_mT8_S1G_bDpT10_ENKUlT_T0_E_clISt17integral_constantIbLb0EES1U_EEDaS1P_S1Q_EUlS1P_E_NS1_11comp_targetILNS1_3genE8ELNS1_11target_archE1030ELNS1_3gpuE2ELNS1_3repE0EEENS1_30default_config_static_selectorELNS0_4arch9wavefront6targetE0EEEvS12_.num_vgpr, 0
	.set _ZN7rocprim17ROCPRIM_400000_NS6detail17trampoline_kernelINS0_13select_configILj256ELj13ELNS0_17block_load_methodE3ELS4_3ELS4_3ELNS0_20block_scan_algorithmE0ELj4294967295EEENS1_25partition_config_selectorILNS1_17partition_subalgoE4EjNS0_10empty_typeEbEEZZNS1_14partition_implILS8_4ELb0ES6_15HIP_vector_typeIjLj2EENS0_17counting_iteratorIjlEEPS9_SG_NS0_5tupleIJPjSI_NS0_16reverse_iteratorISI_EEEEENSH_IJSG_SG_SG_EEES9_SI_JZNS1_25segmented_radix_sort_implINS0_14default_configELb0EPKsPsPKlPlN2at6native12_GLOBAL__N_18offset_tEEE10hipError_tPvRmT1_PNSt15iterator_traitsIS12_E10value_typeET2_T3_PNS13_IS18_E10value_typeET4_jRbjT5_S1E_jjP12ihipStream_tbEUljE_ZNSN_ISO_Lb0ESQ_SR_ST_SU_SY_EESZ_S10_S11_S12_S16_S17_S18_S1B_S1C_jS1D_jS1E_S1E_jjS1G_bEUljE0_EEESZ_S10_S11_S18_S1C_S1E_T6_T7_T9_mT8_S1G_bDpT10_ENKUlT_T0_E_clISt17integral_constantIbLb0EES1U_EEDaS1P_S1Q_EUlS1P_E_NS1_11comp_targetILNS1_3genE8ELNS1_11target_archE1030ELNS1_3gpuE2ELNS1_3repE0EEENS1_30default_config_static_selectorELNS0_4arch9wavefront6targetE0EEEvS12_.num_agpr, 0
	.set _ZN7rocprim17ROCPRIM_400000_NS6detail17trampoline_kernelINS0_13select_configILj256ELj13ELNS0_17block_load_methodE3ELS4_3ELS4_3ELNS0_20block_scan_algorithmE0ELj4294967295EEENS1_25partition_config_selectorILNS1_17partition_subalgoE4EjNS0_10empty_typeEbEEZZNS1_14partition_implILS8_4ELb0ES6_15HIP_vector_typeIjLj2EENS0_17counting_iteratorIjlEEPS9_SG_NS0_5tupleIJPjSI_NS0_16reverse_iteratorISI_EEEEENSH_IJSG_SG_SG_EEES9_SI_JZNS1_25segmented_radix_sort_implINS0_14default_configELb0EPKsPsPKlPlN2at6native12_GLOBAL__N_18offset_tEEE10hipError_tPvRmT1_PNSt15iterator_traitsIS12_E10value_typeET2_T3_PNS13_IS18_E10value_typeET4_jRbjT5_S1E_jjP12ihipStream_tbEUljE_ZNSN_ISO_Lb0ESQ_SR_ST_SU_SY_EESZ_S10_S11_S12_S16_S17_S18_S1B_S1C_jS1D_jS1E_S1E_jjS1G_bEUljE0_EEESZ_S10_S11_S18_S1C_S1E_T6_T7_T9_mT8_S1G_bDpT10_ENKUlT_T0_E_clISt17integral_constantIbLb0EES1U_EEDaS1P_S1Q_EUlS1P_E_NS1_11comp_targetILNS1_3genE8ELNS1_11target_archE1030ELNS1_3gpuE2ELNS1_3repE0EEENS1_30default_config_static_selectorELNS0_4arch9wavefront6targetE0EEEvS12_.numbered_sgpr, 0
	.set _ZN7rocprim17ROCPRIM_400000_NS6detail17trampoline_kernelINS0_13select_configILj256ELj13ELNS0_17block_load_methodE3ELS4_3ELS4_3ELNS0_20block_scan_algorithmE0ELj4294967295EEENS1_25partition_config_selectorILNS1_17partition_subalgoE4EjNS0_10empty_typeEbEEZZNS1_14partition_implILS8_4ELb0ES6_15HIP_vector_typeIjLj2EENS0_17counting_iteratorIjlEEPS9_SG_NS0_5tupleIJPjSI_NS0_16reverse_iteratorISI_EEEEENSH_IJSG_SG_SG_EEES9_SI_JZNS1_25segmented_radix_sort_implINS0_14default_configELb0EPKsPsPKlPlN2at6native12_GLOBAL__N_18offset_tEEE10hipError_tPvRmT1_PNSt15iterator_traitsIS12_E10value_typeET2_T3_PNS13_IS18_E10value_typeET4_jRbjT5_S1E_jjP12ihipStream_tbEUljE_ZNSN_ISO_Lb0ESQ_SR_ST_SU_SY_EESZ_S10_S11_S12_S16_S17_S18_S1B_S1C_jS1D_jS1E_S1E_jjS1G_bEUljE0_EEESZ_S10_S11_S18_S1C_S1E_T6_T7_T9_mT8_S1G_bDpT10_ENKUlT_T0_E_clISt17integral_constantIbLb0EES1U_EEDaS1P_S1Q_EUlS1P_E_NS1_11comp_targetILNS1_3genE8ELNS1_11target_archE1030ELNS1_3gpuE2ELNS1_3repE0EEENS1_30default_config_static_selectorELNS0_4arch9wavefront6targetE0EEEvS12_.num_named_barrier, 0
	.set _ZN7rocprim17ROCPRIM_400000_NS6detail17trampoline_kernelINS0_13select_configILj256ELj13ELNS0_17block_load_methodE3ELS4_3ELS4_3ELNS0_20block_scan_algorithmE0ELj4294967295EEENS1_25partition_config_selectorILNS1_17partition_subalgoE4EjNS0_10empty_typeEbEEZZNS1_14partition_implILS8_4ELb0ES6_15HIP_vector_typeIjLj2EENS0_17counting_iteratorIjlEEPS9_SG_NS0_5tupleIJPjSI_NS0_16reverse_iteratorISI_EEEEENSH_IJSG_SG_SG_EEES9_SI_JZNS1_25segmented_radix_sort_implINS0_14default_configELb0EPKsPsPKlPlN2at6native12_GLOBAL__N_18offset_tEEE10hipError_tPvRmT1_PNSt15iterator_traitsIS12_E10value_typeET2_T3_PNS13_IS18_E10value_typeET4_jRbjT5_S1E_jjP12ihipStream_tbEUljE_ZNSN_ISO_Lb0ESQ_SR_ST_SU_SY_EESZ_S10_S11_S12_S16_S17_S18_S1B_S1C_jS1D_jS1E_S1E_jjS1G_bEUljE0_EEESZ_S10_S11_S18_S1C_S1E_T6_T7_T9_mT8_S1G_bDpT10_ENKUlT_T0_E_clISt17integral_constantIbLb0EES1U_EEDaS1P_S1Q_EUlS1P_E_NS1_11comp_targetILNS1_3genE8ELNS1_11target_archE1030ELNS1_3gpuE2ELNS1_3repE0EEENS1_30default_config_static_selectorELNS0_4arch9wavefront6targetE0EEEvS12_.private_seg_size, 0
	.set _ZN7rocprim17ROCPRIM_400000_NS6detail17trampoline_kernelINS0_13select_configILj256ELj13ELNS0_17block_load_methodE3ELS4_3ELS4_3ELNS0_20block_scan_algorithmE0ELj4294967295EEENS1_25partition_config_selectorILNS1_17partition_subalgoE4EjNS0_10empty_typeEbEEZZNS1_14partition_implILS8_4ELb0ES6_15HIP_vector_typeIjLj2EENS0_17counting_iteratorIjlEEPS9_SG_NS0_5tupleIJPjSI_NS0_16reverse_iteratorISI_EEEEENSH_IJSG_SG_SG_EEES9_SI_JZNS1_25segmented_radix_sort_implINS0_14default_configELb0EPKsPsPKlPlN2at6native12_GLOBAL__N_18offset_tEEE10hipError_tPvRmT1_PNSt15iterator_traitsIS12_E10value_typeET2_T3_PNS13_IS18_E10value_typeET4_jRbjT5_S1E_jjP12ihipStream_tbEUljE_ZNSN_ISO_Lb0ESQ_SR_ST_SU_SY_EESZ_S10_S11_S12_S16_S17_S18_S1B_S1C_jS1D_jS1E_S1E_jjS1G_bEUljE0_EEESZ_S10_S11_S18_S1C_S1E_T6_T7_T9_mT8_S1G_bDpT10_ENKUlT_T0_E_clISt17integral_constantIbLb0EES1U_EEDaS1P_S1Q_EUlS1P_E_NS1_11comp_targetILNS1_3genE8ELNS1_11target_archE1030ELNS1_3gpuE2ELNS1_3repE0EEENS1_30default_config_static_selectorELNS0_4arch9wavefront6targetE0EEEvS12_.uses_vcc, 0
	.set _ZN7rocprim17ROCPRIM_400000_NS6detail17trampoline_kernelINS0_13select_configILj256ELj13ELNS0_17block_load_methodE3ELS4_3ELS4_3ELNS0_20block_scan_algorithmE0ELj4294967295EEENS1_25partition_config_selectorILNS1_17partition_subalgoE4EjNS0_10empty_typeEbEEZZNS1_14partition_implILS8_4ELb0ES6_15HIP_vector_typeIjLj2EENS0_17counting_iteratorIjlEEPS9_SG_NS0_5tupleIJPjSI_NS0_16reverse_iteratorISI_EEEEENSH_IJSG_SG_SG_EEES9_SI_JZNS1_25segmented_radix_sort_implINS0_14default_configELb0EPKsPsPKlPlN2at6native12_GLOBAL__N_18offset_tEEE10hipError_tPvRmT1_PNSt15iterator_traitsIS12_E10value_typeET2_T3_PNS13_IS18_E10value_typeET4_jRbjT5_S1E_jjP12ihipStream_tbEUljE_ZNSN_ISO_Lb0ESQ_SR_ST_SU_SY_EESZ_S10_S11_S12_S16_S17_S18_S1B_S1C_jS1D_jS1E_S1E_jjS1G_bEUljE0_EEESZ_S10_S11_S18_S1C_S1E_T6_T7_T9_mT8_S1G_bDpT10_ENKUlT_T0_E_clISt17integral_constantIbLb0EES1U_EEDaS1P_S1Q_EUlS1P_E_NS1_11comp_targetILNS1_3genE8ELNS1_11target_archE1030ELNS1_3gpuE2ELNS1_3repE0EEENS1_30default_config_static_selectorELNS0_4arch9wavefront6targetE0EEEvS12_.uses_flat_scratch, 0
	.set _ZN7rocprim17ROCPRIM_400000_NS6detail17trampoline_kernelINS0_13select_configILj256ELj13ELNS0_17block_load_methodE3ELS4_3ELS4_3ELNS0_20block_scan_algorithmE0ELj4294967295EEENS1_25partition_config_selectorILNS1_17partition_subalgoE4EjNS0_10empty_typeEbEEZZNS1_14partition_implILS8_4ELb0ES6_15HIP_vector_typeIjLj2EENS0_17counting_iteratorIjlEEPS9_SG_NS0_5tupleIJPjSI_NS0_16reverse_iteratorISI_EEEEENSH_IJSG_SG_SG_EEES9_SI_JZNS1_25segmented_radix_sort_implINS0_14default_configELb0EPKsPsPKlPlN2at6native12_GLOBAL__N_18offset_tEEE10hipError_tPvRmT1_PNSt15iterator_traitsIS12_E10value_typeET2_T3_PNS13_IS18_E10value_typeET4_jRbjT5_S1E_jjP12ihipStream_tbEUljE_ZNSN_ISO_Lb0ESQ_SR_ST_SU_SY_EESZ_S10_S11_S12_S16_S17_S18_S1B_S1C_jS1D_jS1E_S1E_jjS1G_bEUljE0_EEESZ_S10_S11_S18_S1C_S1E_T6_T7_T9_mT8_S1G_bDpT10_ENKUlT_T0_E_clISt17integral_constantIbLb0EES1U_EEDaS1P_S1Q_EUlS1P_E_NS1_11comp_targetILNS1_3genE8ELNS1_11target_archE1030ELNS1_3gpuE2ELNS1_3repE0EEENS1_30default_config_static_selectorELNS0_4arch9wavefront6targetE0EEEvS12_.has_dyn_sized_stack, 0
	.set _ZN7rocprim17ROCPRIM_400000_NS6detail17trampoline_kernelINS0_13select_configILj256ELj13ELNS0_17block_load_methodE3ELS4_3ELS4_3ELNS0_20block_scan_algorithmE0ELj4294967295EEENS1_25partition_config_selectorILNS1_17partition_subalgoE4EjNS0_10empty_typeEbEEZZNS1_14partition_implILS8_4ELb0ES6_15HIP_vector_typeIjLj2EENS0_17counting_iteratorIjlEEPS9_SG_NS0_5tupleIJPjSI_NS0_16reverse_iteratorISI_EEEEENSH_IJSG_SG_SG_EEES9_SI_JZNS1_25segmented_radix_sort_implINS0_14default_configELb0EPKsPsPKlPlN2at6native12_GLOBAL__N_18offset_tEEE10hipError_tPvRmT1_PNSt15iterator_traitsIS12_E10value_typeET2_T3_PNS13_IS18_E10value_typeET4_jRbjT5_S1E_jjP12ihipStream_tbEUljE_ZNSN_ISO_Lb0ESQ_SR_ST_SU_SY_EESZ_S10_S11_S12_S16_S17_S18_S1B_S1C_jS1D_jS1E_S1E_jjS1G_bEUljE0_EEESZ_S10_S11_S18_S1C_S1E_T6_T7_T9_mT8_S1G_bDpT10_ENKUlT_T0_E_clISt17integral_constantIbLb0EES1U_EEDaS1P_S1Q_EUlS1P_E_NS1_11comp_targetILNS1_3genE8ELNS1_11target_archE1030ELNS1_3gpuE2ELNS1_3repE0EEENS1_30default_config_static_selectorELNS0_4arch9wavefront6targetE0EEEvS12_.has_recursion, 0
	.set _ZN7rocprim17ROCPRIM_400000_NS6detail17trampoline_kernelINS0_13select_configILj256ELj13ELNS0_17block_load_methodE3ELS4_3ELS4_3ELNS0_20block_scan_algorithmE0ELj4294967295EEENS1_25partition_config_selectorILNS1_17partition_subalgoE4EjNS0_10empty_typeEbEEZZNS1_14partition_implILS8_4ELb0ES6_15HIP_vector_typeIjLj2EENS0_17counting_iteratorIjlEEPS9_SG_NS0_5tupleIJPjSI_NS0_16reverse_iteratorISI_EEEEENSH_IJSG_SG_SG_EEES9_SI_JZNS1_25segmented_radix_sort_implINS0_14default_configELb0EPKsPsPKlPlN2at6native12_GLOBAL__N_18offset_tEEE10hipError_tPvRmT1_PNSt15iterator_traitsIS12_E10value_typeET2_T3_PNS13_IS18_E10value_typeET4_jRbjT5_S1E_jjP12ihipStream_tbEUljE_ZNSN_ISO_Lb0ESQ_SR_ST_SU_SY_EESZ_S10_S11_S12_S16_S17_S18_S1B_S1C_jS1D_jS1E_S1E_jjS1G_bEUljE0_EEESZ_S10_S11_S18_S1C_S1E_T6_T7_T9_mT8_S1G_bDpT10_ENKUlT_T0_E_clISt17integral_constantIbLb0EES1U_EEDaS1P_S1Q_EUlS1P_E_NS1_11comp_targetILNS1_3genE8ELNS1_11target_archE1030ELNS1_3gpuE2ELNS1_3repE0EEENS1_30default_config_static_selectorELNS0_4arch9wavefront6targetE0EEEvS12_.has_indirect_call, 0
	.section	.AMDGPU.csdata,"",@progbits
; Kernel info:
; codeLenInByte = 0
; TotalNumSgprs: 0
; NumVgprs: 0
; ScratchSize: 0
; MemoryBound: 0
; FloatMode: 240
; IeeeMode: 1
; LDSByteSize: 0 bytes/workgroup (compile time only)
; SGPRBlocks: 0
; VGPRBlocks: 0
; NumSGPRsForWavesPerEU: 1
; NumVGPRsForWavesPerEU: 1
; Occupancy: 16
; WaveLimiterHint : 0
; COMPUTE_PGM_RSRC2:SCRATCH_EN: 0
; COMPUTE_PGM_RSRC2:USER_SGPR: 2
; COMPUTE_PGM_RSRC2:TRAP_HANDLER: 0
; COMPUTE_PGM_RSRC2:TGID_X_EN: 1
; COMPUTE_PGM_RSRC2:TGID_Y_EN: 0
; COMPUTE_PGM_RSRC2:TGID_Z_EN: 0
; COMPUTE_PGM_RSRC2:TIDIG_COMP_CNT: 0
	.section	.text._ZN7rocprim17ROCPRIM_400000_NS6detail17trampoline_kernelINS0_13select_configILj256ELj13ELNS0_17block_load_methodE3ELS4_3ELS4_3ELNS0_20block_scan_algorithmE0ELj4294967295EEENS1_25partition_config_selectorILNS1_17partition_subalgoE4EjNS0_10empty_typeEbEEZZNS1_14partition_implILS8_4ELb0ES6_15HIP_vector_typeIjLj2EENS0_17counting_iteratorIjlEEPS9_SG_NS0_5tupleIJPjSI_NS0_16reverse_iteratorISI_EEEEENSH_IJSG_SG_SG_EEES9_SI_JZNS1_25segmented_radix_sort_implINS0_14default_configELb0EPKsPsPKlPlN2at6native12_GLOBAL__N_18offset_tEEE10hipError_tPvRmT1_PNSt15iterator_traitsIS12_E10value_typeET2_T3_PNS13_IS18_E10value_typeET4_jRbjT5_S1E_jjP12ihipStream_tbEUljE_ZNSN_ISO_Lb0ESQ_SR_ST_SU_SY_EESZ_S10_S11_S12_S16_S17_S18_S1B_S1C_jS1D_jS1E_S1E_jjS1G_bEUljE0_EEESZ_S10_S11_S18_S1C_S1E_T6_T7_T9_mT8_S1G_bDpT10_ENKUlT_T0_E_clISt17integral_constantIbLb1EES1U_EEDaS1P_S1Q_EUlS1P_E_NS1_11comp_targetILNS1_3genE0ELNS1_11target_archE4294967295ELNS1_3gpuE0ELNS1_3repE0EEENS1_30default_config_static_selectorELNS0_4arch9wavefront6targetE0EEEvS12_,"axG",@progbits,_ZN7rocprim17ROCPRIM_400000_NS6detail17trampoline_kernelINS0_13select_configILj256ELj13ELNS0_17block_load_methodE3ELS4_3ELS4_3ELNS0_20block_scan_algorithmE0ELj4294967295EEENS1_25partition_config_selectorILNS1_17partition_subalgoE4EjNS0_10empty_typeEbEEZZNS1_14partition_implILS8_4ELb0ES6_15HIP_vector_typeIjLj2EENS0_17counting_iteratorIjlEEPS9_SG_NS0_5tupleIJPjSI_NS0_16reverse_iteratorISI_EEEEENSH_IJSG_SG_SG_EEES9_SI_JZNS1_25segmented_radix_sort_implINS0_14default_configELb0EPKsPsPKlPlN2at6native12_GLOBAL__N_18offset_tEEE10hipError_tPvRmT1_PNSt15iterator_traitsIS12_E10value_typeET2_T3_PNS13_IS18_E10value_typeET4_jRbjT5_S1E_jjP12ihipStream_tbEUljE_ZNSN_ISO_Lb0ESQ_SR_ST_SU_SY_EESZ_S10_S11_S12_S16_S17_S18_S1B_S1C_jS1D_jS1E_S1E_jjS1G_bEUljE0_EEESZ_S10_S11_S18_S1C_S1E_T6_T7_T9_mT8_S1G_bDpT10_ENKUlT_T0_E_clISt17integral_constantIbLb1EES1U_EEDaS1P_S1Q_EUlS1P_E_NS1_11comp_targetILNS1_3genE0ELNS1_11target_archE4294967295ELNS1_3gpuE0ELNS1_3repE0EEENS1_30default_config_static_selectorELNS0_4arch9wavefront6targetE0EEEvS12_,comdat
	.globl	_ZN7rocprim17ROCPRIM_400000_NS6detail17trampoline_kernelINS0_13select_configILj256ELj13ELNS0_17block_load_methodE3ELS4_3ELS4_3ELNS0_20block_scan_algorithmE0ELj4294967295EEENS1_25partition_config_selectorILNS1_17partition_subalgoE4EjNS0_10empty_typeEbEEZZNS1_14partition_implILS8_4ELb0ES6_15HIP_vector_typeIjLj2EENS0_17counting_iteratorIjlEEPS9_SG_NS0_5tupleIJPjSI_NS0_16reverse_iteratorISI_EEEEENSH_IJSG_SG_SG_EEES9_SI_JZNS1_25segmented_radix_sort_implINS0_14default_configELb0EPKsPsPKlPlN2at6native12_GLOBAL__N_18offset_tEEE10hipError_tPvRmT1_PNSt15iterator_traitsIS12_E10value_typeET2_T3_PNS13_IS18_E10value_typeET4_jRbjT5_S1E_jjP12ihipStream_tbEUljE_ZNSN_ISO_Lb0ESQ_SR_ST_SU_SY_EESZ_S10_S11_S12_S16_S17_S18_S1B_S1C_jS1D_jS1E_S1E_jjS1G_bEUljE0_EEESZ_S10_S11_S18_S1C_S1E_T6_T7_T9_mT8_S1G_bDpT10_ENKUlT_T0_E_clISt17integral_constantIbLb1EES1U_EEDaS1P_S1Q_EUlS1P_E_NS1_11comp_targetILNS1_3genE0ELNS1_11target_archE4294967295ELNS1_3gpuE0ELNS1_3repE0EEENS1_30default_config_static_selectorELNS0_4arch9wavefront6targetE0EEEvS12_ ; -- Begin function _ZN7rocprim17ROCPRIM_400000_NS6detail17trampoline_kernelINS0_13select_configILj256ELj13ELNS0_17block_load_methodE3ELS4_3ELS4_3ELNS0_20block_scan_algorithmE0ELj4294967295EEENS1_25partition_config_selectorILNS1_17partition_subalgoE4EjNS0_10empty_typeEbEEZZNS1_14partition_implILS8_4ELb0ES6_15HIP_vector_typeIjLj2EENS0_17counting_iteratorIjlEEPS9_SG_NS0_5tupleIJPjSI_NS0_16reverse_iteratorISI_EEEEENSH_IJSG_SG_SG_EEES9_SI_JZNS1_25segmented_radix_sort_implINS0_14default_configELb0EPKsPsPKlPlN2at6native12_GLOBAL__N_18offset_tEEE10hipError_tPvRmT1_PNSt15iterator_traitsIS12_E10value_typeET2_T3_PNS13_IS18_E10value_typeET4_jRbjT5_S1E_jjP12ihipStream_tbEUljE_ZNSN_ISO_Lb0ESQ_SR_ST_SU_SY_EESZ_S10_S11_S12_S16_S17_S18_S1B_S1C_jS1D_jS1E_S1E_jjS1G_bEUljE0_EEESZ_S10_S11_S18_S1C_S1E_T6_T7_T9_mT8_S1G_bDpT10_ENKUlT_T0_E_clISt17integral_constantIbLb1EES1U_EEDaS1P_S1Q_EUlS1P_E_NS1_11comp_targetILNS1_3genE0ELNS1_11target_archE4294967295ELNS1_3gpuE0ELNS1_3repE0EEENS1_30default_config_static_selectorELNS0_4arch9wavefront6targetE0EEEvS12_
	.p2align	8
	.type	_ZN7rocprim17ROCPRIM_400000_NS6detail17trampoline_kernelINS0_13select_configILj256ELj13ELNS0_17block_load_methodE3ELS4_3ELS4_3ELNS0_20block_scan_algorithmE0ELj4294967295EEENS1_25partition_config_selectorILNS1_17partition_subalgoE4EjNS0_10empty_typeEbEEZZNS1_14partition_implILS8_4ELb0ES6_15HIP_vector_typeIjLj2EENS0_17counting_iteratorIjlEEPS9_SG_NS0_5tupleIJPjSI_NS0_16reverse_iteratorISI_EEEEENSH_IJSG_SG_SG_EEES9_SI_JZNS1_25segmented_radix_sort_implINS0_14default_configELb0EPKsPsPKlPlN2at6native12_GLOBAL__N_18offset_tEEE10hipError_tPvRmT1_PNSt15iterator_traitsIS12_E10value_typeET2_T3_PNS13_IS18_E10value_typeET4_jRbjT5_S1E_jjP12ihipStream_tbEUljE_ZNSN_ISO_Lb0ESQ_SR_ST_SU_SY_EESZ_S10_S11_S12_S16_S17_S18_S1B_S1C_jS1D_jS1E_S1E_jjS1G_bEUljE0_EEESZ_S10_S11_S18_S1C_S1E_T6_T7_T9_mT8_S1G_bDpT10_ENKUlT_T0_E_clISt17integral_constantIbLb1EES1U_EEDaS1P_S1Q_EUlS1P_E_NS1_11comp_targetILNS1_3genE0ELNS1_11target_archE4294967295ELNS1_3gpuE0ELNS1_3repE0EEENS1_30default_config_static_selectorELNS0_4arch9wavefront6targetE0EEEvS12_,@function
_ZN7rocprim17ROCPRIM_400000_NS6detail17trampoline_kernelINS0_13select_configILj256ELj13ELNS0_17block_load_methodE3ELS4_3ELS4_3ELNS0_20block_scan_algorithmE0ELj4294967295EEENS1_25partition_config_selectorILNS1_17partition_subalgoE4EjNS0_10empty_typeEbEEZZNS1_14partition_implILS8_4ELb0ES6_15HIP_vector_typeIjLj2EENS0_17counting_iteratorIjlEEPS9_SG_NS0_5tupleIJPjSI_NS0_16reverse_iteratorISI_EEEEENSH_IJSG_SG_SG_EEES9_SI_JZNS1_25segmented_radix_sort_implINS0_14default_configELb0EPKsPsPKlPlN2at6native12_GLOBAL__N_18offset_tEEE10hipError_tPvRmT1_PNSt15iterator_traitsIS12_E10value_typeET2_T3_PNS13_IS18_E10value_typeET4_jRbjT5_S1E_jjP12ihipStream_tbEUljE_ZNSN_ISO_Lb0ESQ_SR_ST_SU_SY_EESZ_S10_S11_S12_S16_S17_S18_S1B_S1C_jS1D_jS1E_S1E_jjS1G_bEUljE0_EEESZ_S10_S11_S18_S1C_S1E_T6_T7_T9_mT8_S1G_bDpT10_ENKUlT_T0_E_clISt17integral_constantIbLb1EES1U_EEDaS1P_S1Q_EUlS1P_E_NS1_11comp_targetILNS1_3genE0ELNS1_11target_archE4294967295ELNS1_3gpuE0ELNS1_3repE0EEENS1_30default_config_static_selectorELNS0_4arch9wavefront6targetE0EEEvS12_: ; @_ZN7rocprim17ROCPRIM_400000_NS6detail17trampoline_kernelINS0_13select_configILj256ELj13ELNS0_17block_load_methodE3ELS4_3ELS4_3ELNS0_20block_scan_algorithmE0ELj4294967295EEENS1_25partition_config_selectorILNS1_17partition_subalgoE4EjNS0_10empty_typeEbEEZZNS1_14partition_implILS8_4ELb0ES6_15HIP_vector_typeIjLj2EENS0_17counting_iteratorIjlEEPS9_SG_NS0_5tupleIJPjSI_NS0_16reverse_iteratorISI_EEEEENSH_IJSG_SG_SG_EEES9_SI_JZNS1_25segmented_radix_sort_implINS0_14default_configELb0EPKsPsPKlPlN2at6native12_GLOBAL__N_18offset_tEEE10hipError_tPvRmT1_PNSt15iterator_traitsIS12_E10value_typeET2_T3_PNS13_IS18_E10value_typeET4_jRbjT5_S1E_jjP12ihipStream_tbEUljE_ZNSN_ISO_Lb0ESQ_SR_ST_SU_SY_EESZ_S10_S11_S12_S16_S17_S18_S1B_S1C_jS1D_jS1E_S1E_jjS1G_bEUljE0_EEESZ_S10_S11_S18_S1C_S1E_T6_T7_T9_mT8_S1G_bDpT10_ENKUlT_T0_E_clISt17integral_constantIbLb1EES1U_EEDaS1P_S1Q_EUlS1P_E_NS1_11comp_targetILNS1_3genE0ELNS1_11target_archE4294967295ELNS1_3gpuE0ELNS1_3repE0EEENS1_30default_config_static_selectorELNS0_4arch9wavefront6targetE0EEEvS12_
; %bb.0:
	.section	.rodata,"a",@progbits
	.p2align	6, 0x0
	.amdhsa_kernel _ZN7rocprim17ROCPRIM_400000_NS6detail17trampoline_kernelINS0_13select_configILj256ELj13ELNS0_17block_load_methodE3ELS4_3ELS4_3ELNS0_20block_scan_algorithmE0ELj4294967295EEENS1_25partition_config_selectorILNS1_17partition_subalgoE4EjNS0_10empty_typeEbEEZZNS1_14partition_implILS8_4ELb0ES6_15HIP_vector_typeIjLj2EENS0_17counting_iteratorIjlEEPS9_SG_NS0_5tupleIJPjSI_NS0_16reverse_iteratorISI_EEEEENSH_IJSG_SG_SG_EEES9_SI_JZNS1_25segmented_radix_sort_implINS0_14default_configELb0EPKsPsPKlPlN2at6native12_GLOBAL__N_18offset_tEEE10hipError_tPvRmT1_PNSt15iterator_traitsIS12_E10value_typeET2_T3_PNS13_IS18_E10value_typeET4_jRbjT5_S1E_jjP12ihipStream_tbEUljE_ZNSN_ISO_Lb0ESQ_SR_ST_SU_SY_EESZ_S10_S11_S12_S16_S17_S18_S1B_S1C_jS1D_jS1E_S1E_jjS1G_bEUljE0_EEESZ_S10_S11_S18_S1C_S1E_T6_T7_T9_mT8_S1G_bDpT10_ENKUlT_T0_E_clISt17integral_constantIbLb1EES1U_EEDaS1P_S1Q_EUlS1P_E_NS1_11comp_targetILNS1_3genE0ELNS1_11target_archE4294967295ELNS1_3gpuE0ELNS1_3repE0EEENS1_30default_config_static_selectorELNS0_4arch9wavefront6targetE0EEEvS12_
		.amdhsa_group_segment_fixed_size 0
		.amdhsa_private_segment_fixed_size 0
		.amdhsa_kernarg_size 184
		.amdhsa_user_sgpr_count 2
		.amdhsa_user_sgpr_dispatch_ptr 0
		.amdhsa_user_sgpr_queue_ptr 0
		.amdhsa_user_sgpr_kernarg_segment_ptr 1
		.amdhsa_user_sgpr_dispatch_id 0
		.amdhsa_user_sgpr_private_segment_size 0
		.amdhsa_wavefront_size32 1
		.amdhsa_uses_dynamic_stack 0
		.amdhsa_enable_private_segment 0
		.amdhsa_system_sgpr_workgroup_id_x 1
		.amdhsa_system_sgpr_workgroup_id_y 0
		.amdhsa_system_sgpr_workgroup_id_z 0
		.amdhsa_system_sgpr_workgroup_info 0
		.amdhsa_system_vgpr_workitem_id 0
		.amdhsa_next_free_vgpr 1
		.amdhsa_next_free_sgpr 1
		.amdhsa_reserve_vcc 0
		.amdhsa_float_round_mode_32 0
		.amdhsa_float_round_mode_16_64 0
		.amdhsa_float_denorm_mode_32 3
		.amdhsa_float_denorm_mode_16_64 3
		.amdhsa_fp16_overflow 0
		.amdhsa_workgroup_processor_mode 1
		.amdhsa_memory_ordered 1
		.amdhsa_forward_progress 1
		.amdhsa_inst_pref_size 0
		.amdhsa_round_robin_scheduling 0
		.amdhsa_exception_fp_ieee_invalid_op 0
		.amdhsa_exception_fp_denorm_src 0
		.amdhsa_exception_fp_ieee_div_zero 0
		.amdhsa_exception_fp_ieee_overflow 0
		.amdhsa_exception_fp_ieee_underflow 0
		.amdhsa_exception_fp_ieee_inexact 0
		.amdhsa_exception_int_div_zero 0
	.end_amdhsa_kernel
	.section	.text._ZN7rocprim17ROCPRIM_400000_NS6detail17trampoline_kernelINS0_13select_configILj256ELj13ELNS0_17block_load_methodE3ELS4_3ELS4_3ELNS0_20block_scan_algorithmE0ELj4294967295EEENS1_25partition_config_selectorILNS1_17partition_subalgoE4EjNS0_10empty_typeEbEEZZNS1_14partition_implILS8_4ELb0ES6_15HIP_vector_typeIjLj2EENS0_17counting_iteratorIjlEEPS9_SG_NS0_5tupleIJPjSI_NS0_16reverse_iteratorISI_EEEEENSH_IJSG_SG_SG_EEES9_SI_JZNS1_25segmented_radix_sort_implINS0_14default_configELb0EPKsPsPKlPlN2at6native12_GLOBAL__N_18offset_tEEE10hipError_tPvRmT1_PNSt15iterator_traitsIS12_E10value_typeET2_T3_PNS13_IS18_E10value_typeET4_jRbjT5_S1E_jjP12ihipStream_tbEUljE_ZNSN_ISO_Lb0ESQ_SR_ST_SU_SY_EESZ_S10_S11_S12_S16_S17_S18_S1B_S1C_jS1D_jS1E_S1E_jjS1G_bEUljE0_EEESZ_S10_S11_S18_S1C_S1E_T6_T7_T9_mT8_S1G_bDpT10_ENKUlT_T0_E_clISt17integral_constantIbLb1EES1U_EEDaS1P_S1Q_EUlS1P_E_NS1_11comp_targetILNS1_3genE0ELNS1_11target_archE4294967295ELNS1_3gpuE0ELNS1_3repE0EEENS1_30default_config_static_selectorELNS0_4arch9wavefront6targetE0EEEvS12_,"axG",@progbits,_ZN7rocprim17ROCPRIM_400000_NS6detail17trampoline_kernelINS0_13select_configILj256ELj13ELNS0_17block_load_methodE3ELS4_3ELS4_3ELNS0_20block_scan_algorithmE0ELj4294967295EEENS1_25partition_config_selectorILNS1_17partition_subalgoE4EjNS0_10empty_typeEbEEZZNS1_14partition_implILS8_4ELb0ES6_15HIP_vector_typeIjLj2EENS0_17counting_iteratorIjlEEPS9_SG_NS0_5tupleIJPjSI_NS0_16reverse_iteratorISI_EEEEENSH_IJSG_SG_SG_EEES9_SI_JZNS1_25segmented_radix_sort_implINS0_14default_configELb0EPKsPsPKlPlN2at6native12_GLOBAL__N_18offset_tEEE10hipError_tPvRmT1_PNSt15iterator_traitsIS12_E10value_typeET2_T3_PNS13_IS18_E10value_typeET4_jRbjT5_S1E_jjP12ihipStream_tbEUljE_ZNSN_ISO_Lb0ESQ_SR_ST_SU_SY_EESZ_S10_S11_S12_S16_S17_S18_S1B_S1C_jS1D_jS1E_S1E_jjS1G_bEUljE0_EEESZ_S10_S11_S18_S1C_S1E_T6_T7_T9_mT8_S1G_bDpT10_ENKUlT_T0_E_clISt17integral_constantIbLb1EES1U_EEDaS1P_S1Q_EUlS1P_E_NS1_11comp_targetILNS1_3genE0ELNS1_11target_archE4294967295ELNS1_3gpuE0ELNS1_3repE0EEENS1_30default_config_static_selectorELNS0_4arch9wavefront6targetE0EEEvS12_,comdat
.Lfunc_end958:
	.size	_ZN7rocprim17ROCPRIM_400000_NS6detail17trampoline_kernelINS0_13select_configILj256ELj13ELNS0_17block_load_methodE3ELS4_3ELS4_3ELNS0_20block_scan_algorithmE0ELj4294967295EEENS1_25partition_config_selectorILNS1_17partition_subalgoE4EjNS0_10empty_typeEbEEZZNS1_14partition_implILS8_4ELb0ES6_15HIP_vector_typeIjLj2EENS0_17counting_iteratorIjlEEPS9_SG_NS0_5tupleIJPjSI_NS0_16reverse_iteratorISI_EEEEENSH_IJSG_SG_SG_EEES9_SI_JZNS1_25segmented_radix_sort_implINS0_14default_configELb0EPKsPsPKlPlN2at6native12_GLOBAL__N_18offset_tEEE10hipError_tPvRmT1_PNSt15iterator_traitsIS12_E10value_typeET2_T3_PNS13_IS18_E10value_typeET4_jRbjT5_S1E_jjP12ihipStream_tbEUljE_ZNSN_ISO_Lb0ESQ_SR_ST_SU_SY_EESZ_S10_S11_S12_S16_S17_S18_S1B_S1C_jS1D_jS1E_S1E_jjS1G_bEUljE0_EEESZ_S10_S11_S18_S1C_S1E_T6_T7_T9_mT8_S1G_bDpT10_ENKUlT_T0_E_clISt17integral_constantIbLb1EES1U_EEDaS1P_S1Q_EUlS1P_E_NS1_11comp_targetILNS1_3genE0ELNS1_11target_archE4294967295ELNS1_3gpuE0ELNS1_3repE0EEENS1_30default_config_static_selectorELNS0_4arch9wavefront6targetE0EEEvS12_, .Lfunc_end958-_ZN7rocprim17ROCPRIM_400000_NS6detail17trampoline_kernelINS0_13select_configILj256ELj13ELNS0_17block_load_methodE3ELS4_3ELS4_3ELNS0_20block_scan_algorithmE0ELj4294967295EEENS1_25partition_config_selectorILNS1_17partition_subalgoE4EjNS0_10empty_typeEbEEZZNS1_14partition_implILS8_4ELb0ES6_15HIP_vector_typeIjLj2EENS0_17counting_iteratorIjlEEPS9_SG_NS0_5tupleIJPjSI_NS0_16reverse_iteratorISI_EEEEENSH_IJSG_SG_SG_EEES9_SI_JZNS1_25segmented_radix_sort_implINS0_14default_configELb0EPKsPsPKlPlN2at6native12_GLOBAL__N_18offset_tEEE10hipError_tPvRmT1_PNSt15iterator_traitsIS12_E10value_typeET2_T3_PNS13_IS18_E10value_typeET4_jRbjT5_S1E_jjP12ihipStream_tbEUljE_ZNSN_ISO_Lb0ESQ_SR_ST_SU_SY_EESZ_S10_S11_S12_S16_S17_S18_S1B_S1C_jS1D_jS1E_S1E_jjS1G_bEUljE0_EEESZ_S10_S11_S18_S1C_S1E_T6_T7_T9_mT8_S1G_bDpT10_ENKUlT_T0_E_clISt17integral_constantIbLb1EES1U_EEDaS1P_S1Q_EUlS1P_E_NS1_11comp_targetILNS1_3genE0ELNS1_11target_archE4294967295ELNS1_3gpuE0ELNS1_3repE0EEENS1_30default_config_static_selectorELNS0_4arch9wavefront6targetE0EEEvS12_
                                        ; -- End function
	.set _ZN7rocprim17ROCPRIM_400000_NS6detail17trampoline_kernelINS0_13select_configILj256ELj13ELNS0_17block_load_methodE3ELS4_3ELS4_3ELNS0_20block_scan_algorithmE0ELj4294967295EEENS1_25partition_config_selectorILNS1_17partition_subalgoE4EjNS0_10empty_typeEbEEZZNS1_14partition_implILS8_4ELb0ES6_15HIP_vector_typeIjLj2EENS0_17counting_iteratorIjlEEPS9_SG_NS0_5tupleIJPjSI_NS0_16reverse_iteratorISI_EEEEENSH_IJSG_SG_SG_EEES9_SI_JZNS1_25segmented_radix_sort_implINS0_14default_configELb0EPKsPsPKlPlN2at6native12_GLOBAL__N_18offset_tEEE10hipError_tPvRmT1_PNSt15iterator_traitsIS12_E10value_typeET2_T3_PNS13_IS18_E10value_typeET4_jRbjT5_S1E_jjP12ihipStream_tbEUljE_ZNSN_ISO_Lb0ESQ_SR_ST_SU_SY_EESZ_S10_S11_S12_S16_S17_S18_S1B_S1C_jS1D_jS1E_S1E_jjS1G_bEUljE0_EEESZ_S10_S11_S18_S1C_S1E_T6_T7_T9_mT8_S1G_bDpT10_ENKUlT_T0_E_clISt17integral_constantIbLb1EES1U_EEDaS1P_S1Q_EUlS1P_E_NS1_11comp_targetILNS1_3genE0ELNS1_11target_archE4294967295ELNS1_3gpuE0ELNS1_3repE0EEENS1_30default_config_static_selectorELNS0_4arch9wavefront6targetE0EEEvS12_.num_vgpr, 0
	.set _ZN7rocprim17ROCPRIM_400000_NS6detail17trampoline_kernelINS0_13select_configILj256ELj13ELNS0_17block_load_methodE3ELS4_3ELS4_3ELNS0_20block_scan_algorithmE0ELj4294967295EEENS1_25partition_config_selectorILNS1_17partition_subalgoE4EjNS0_10empty_typeEbEEZZNS1_14partition_implILS8_4ELb0ES6_15HIP_vector_typeIjLj2EENS0_17counting_iteratorIjlEEPS9_SG_NS0_5tupleIJPjSI_NS0_16reverse_iteratorISI_EEEEENSH_IJSG_SG_SG_EEES9_SI_JZNS1_25segmented_radix_sort_implINS0_14default_configELb0EPKsPsPKlPlN2at6native12_GLOBAL__N_18offset_tEEE10hipError_tPvRmT1_PNSt15iterator_traitsIS12_E10value_typeET2_T3_PNS13_IS18_E10value_typeET4_jRbjT5_S1E_jjP12ihipStream_tbEUljE_ZNSN_ISO_Lb0ESQ_SR_ST_SU_SY_EESZ_S10_S11_S12_S16_S17_S18_S1B_S1C_jS1D_jS1E_S1E_jjS1G_bEUljE0_EEESZ_S10_S11_S18_S1C_S1E_T6_T7_T9_mT8_S1G_bDpT10_ENKUlT_T0_E_clISt17integral_constantIbLb1EES1U_EEDaS1P_S1Q_EUlS1P_E_NS1_11comp_targetILNS1_3genE0ELNS1_11target_archE4294967295ELNS1_3gpuE0ELNS1_3repE0EEENS1_30default_config_static_selectorELNS0_4arch9wavefront6targetE0EEEvS12_.num_agpr, 0
	.set _ZN7rocprim17ROCPRIM_400000_NS6detail17trampoline_kernelINS0_13select_configILj256ELj13ELNS0_17block_load_methodE3ELS4_3ELS4_3ELNS0_20block_scan_algorithmE0ELj4294967295EEENS1_25partition_config_selectorILNS1_17partition_subalgoE4EjNS0_10empty_typeEbEEZZNS1_14partition_implILS8_4ELb0ES6_15HIP_vector_typeIjLj2EENS0_17counting_iteratorIjlEEPS9_SG_NS0_5tupleIJPjSI_NS0_16reverse_iteratorISI_EEEEENSH_IJSG_SG_SG_EEES9_SI_JZNS1_25segmented_radix_sort_implINS0_14default_configELb0EPKsPsPKlPlN2at6native12_GLOBAL__N_18offset_tEEE10hipError_tPvRmT1_PNSt15iterator_traitsIS12_E10value_typeET2_T3_PNS13_IS18_E10value_typeET4_jRbjT5_S1E_jjP12ihipStream_tbEUljE_ZNSN_ISO_Lb0ESQ_SR_ST_SU_SY_EESZ_S10_S11_S12_S16_S17_S18_S1B_S1C_jS1D_jS1E_S1E_jjS1G_bEUljE0_EEESZ_S10_S11_S18_S1C_S1E_T6_T7_T9_mT8_S1G_bDpT10_ENKUlT_T0_E_clISt17integral_constantIbLb1EES1U_EEDaS1P_S1Q_EUlS1P_E_NS1_11comp_targetILNS1_3genE0ELNS1_11target_archE4294967295ELNS1_3gpuE0ELNS1_3repE0EEENS1_30default_config_static_selectorELNS0_4arch9wavefront6targetE0EEEvS12_.numbered_sgpr, 0
	.set _ZN7rocprim17ROCPRIM_400000_NS6detail17trampoline_kernelINS0_13select_configILj256ELj13ELNS0_17block_load_methodE3ELS4_3ELS4_3ELNS0_20block_scan_algorithmE0ELj4294967295EEENS1_25partition_config_selectorILNS1_17partition_subalgoE4EjNS0_10empty_typeEbEEZZNS1_14partition_implILS8_4ELb0ES6_15HIP_vector_typeIjLj2EENS0_17counting_iteratorIjlEEPS9_SG_NS0_5tupleIJPjSI_NS0_16reverse_iteratorISI_EEEEENSH_IJSG_SG_SG_EEES9_SI_JZNS1_25segmented_radix_sort_implINS0_14default_configELb0EPKsPsPKlPlN2at6native12_GLOBAL__N_18offset_tEEE10hipError_tPvRmT1_PNSt15iterator_traitsIS12_E10value_typeET2_T3_PNS13_IS18_E10value_typeET4_jRbjT5_S1E_jjP12ihipStream_tbEUljE_ZNSN_ISO_Lb0ESQ_SR_ST_SU_SY_EESZ_S10_S11_S12_S16_S17_S18_S1B_S1C_jS1D_jS1E_S1E_jjS1G_bEUljE0_EEESZ_S10_S11_S18_S1C_S1E_T6_T7_T9_mT8_S1G_bDpT10_ENKUlT_T0_E_clISt17integral_constantIbLb1EES1U_EEDaS1P_S1Q_EUlS1P_E_NS1_11comp_targetILNS1_3genE0ELNS1_11target_archE4294967295ELNS1_3gpuE0ELNS1_3repE0EEENS1_30default_config_static_selectorELNS0_4arch9wavefront6targetE0EEEvS12_.num_named_barrier, 0
	.set _ZN7rocprim17ROCPRIM_400000_NS6detail17trampoline_kernelINS0_13select_configILj256ELj13ELNS0_17block_load_methodE3ELS4_3ELS4_3ELNS0_20block_scan_algorithmE0ELj4294967295EEENS1_25partition_config_selectorILNS1_17partition_subalgoE4EjNS0_10empty_typeEbEEZZNS1_14partition_implILS8_4ELb0ES6_15HIP_vector_typeIjLj2EENS0_17counting_iteratorIjlEEPS9_SG_NS0_5tupleIJPjSI_NS0_16reverse_iteratorISI_EEEEENSH_IJSG_SG_SG_EEES9_SI_JZNS1_25segmented_radix_sort_implINS0_14default_configELb0EPKsPsPKlPlN2at6native12_GLOBAL__N_18offset_tEEE10hipError_tPvRmT1_PNSt15iterator_traitsIS12_E10value_typeET2_T3_PNS13_IS18_E10value_typeET4_jRbjT5_S1E_jjP12ihipStream_tbEUljE_ZNSN_ISO_Lb0ESQ_SR_ST_SU_SY_EESZ_S10_S11_S12_S16_S17_S18_S1B_S1C_jS1D_jS1E_S1E_jjS1G_bEUljE0_EEESZ_S10_S11_S18_S1C_S1E_T6_T7_T9_mT8_S1G_bDpT10_ENKUlT_T0_E_clISt17integral_constantIbLb1EES1U_EEDaS1P_S1Q_EUlS1P_E_NS1_11comp_targetILNS1_3genE0ELNS1_11target_archE4294967295ELNS1_3gpuE0ELNS1_3repE0EEENS1_30default_config_static_selectorELNS0_4arch9wavefront6targetE0EEEvS12_.private_seg_size, 0
	.set _ZN7rocprim17ROCPRIM_400000_NS6detail17trampoline_kernelINS0_13select_configILj256ELj13ELNS0_17block_load_methodE3ELS4_3ELS4_3ELNS0_20block_scan_algorithmE0ELj4294967295EEENS1_25partition_config_selectorILNS1_17partition_subalgoE4EjNS0_10empty_typeEbEEZZNS1_14partition_implILS8_4ELb0ES6_15HIP_vector_typeIjLj2EENS0_17counting_iteratorIjlEEPS9_SG_NS0_5tupleIJPjSI_NS0_16reverse_iteratorISI_EEEEENSH_IJSG_SG_SG_EEES9_SI_JZNS1_25segmented_radix_sort_implINS0_14default_configELb0EPKsPsPKlPlN2at6native12_GLOBAL__N_18offset_tEEE10hipError_tPvRmT1_PNSt15iterator_traitsIS12_E10value_typeET2_T3_PNS13_IS18_E10value_typeET4_jRbjT5_S1E_jjP12ihipStream_tbEUljE_ZNSN_ISO_Lb0ESQ_SR_ST_SU_SY_EESZ_S10_S11_S12_S16_S17_S18_S1B_S1C_jS1D_jS1E_S1E_jjS1G_bEUljE0_EEESZ_S10_S11_S18_S1C_S1E_T6_T7_T9_mT8_S1G_bDpT10_ENKUlT_T0_E_clISt17integral_constantIbLb1EES1U_EEDaS1P_S1Q_EUlS1P_E_NS1_11comp_targetILNS1_3genE0ELNS1_11target_archE4294967295ELNS1_3gpuE0ELNS1_3repE0EEENS1_30default_config_static_selectorELNS0_4arch9wavefront6targetE0EEEvS12_.uses_vcc, 0
	.set _ZN7rocprim17ROCPRIM_400000_NS6detail17trampoline_kernelINS0_13select_configILj256ELj13ELNS0_17block_load_methodE3ELS4_3ELS4_3ELNS0_20block_scan_algorithmE0ELj4294967295EEENS1_25partition_config_selectorILNS1_17partition_subalgoE4EjNS0_10empty_typeEbEEZZNS1_14partition_implILS8_4ELb0ES6_15HIP_vector_typeIjLj2EENS0_17counting_iteratorIjlEEPS9_SG_NS0_5tupleIJPjSI_NS0_16reverse_iteratorISI_EEEEENSH_IJSG_SG_SG_EEES9_SI_JZNS1_25segmented_radix_sort_implINS0_14default_configELb0EPKsPsPKlPlN2at6native12_GLOBAL__N_18offset_tEEE10hipError_tPvRmT1_PNSt15iterator_traitsIS12_E10value_typeET2_T3_PNS13_IS18_E10value_typeET4_jRbjT5_S1E_jjP12ihipStream_tbEUljE_ZNSN_ISO_Lb0ESQ_SR_ST_SU_SY_EESZ_S10_S11_S12_S16_S17_S18_S1B_S1C_jS1D_jS1E_S1E_jjS1G_bEUljE0_EEESZ_S10_S11_S18_S1C_S1E_T6_T7_T9_mT8_S1G_bDpT10_ENKUlT_T0_E_clISt17integral_constantIbLb1EES1U_EEDaS1P_S1Q_EUlS1P_E_NS1_11comp_targetILNS1_3genE0ELNS1_11target_archE4294967295ELNS1_3gpuE0ELNS1_3repE0EEENS1_30default_config_static_selectorELNS0_4arch9wavefront6targetE0EEEvS12_.uses_flat_scratch, 0
	.set _ZN7rocprim17ROCPRIM_400000_NS6detail17trampoline_kernelINS0_13select_configILj256ELj13ELNS0_17block_load_methodE3ELS4_3ELS4_3ELNS0_20block_scan_algorithmE0ELj4294967295EEENS1_25partition_config_selectorILNS1_17partition_subalgoE4EjNS0_10empty_typeEbEEZZNS1_14partition_implILS8_4ELb0ES6_15HIP_vector_typeIjLj2EENS0_17counting_iteratorIjlEEPS9_SG_NS0_5tupleIJPjSI_NS0_16reverse_iteratorISI_EEEEENSH_IJSG_SG_SG_EEES9_SI_JZNS1_25segmented_radix_sort_implINS0_14default_configELb0EPKsPsPKlPlN2at6native12_GLOBAL__N_18offset_tEEE10hipError_tPvRmT1_PNSt15iterator_traitsIS12_E10value_typeET2_T3_PNS13_IS18_E10value_typeET4_jRbjT5_S1E_jjP12ihipStream_tbEUljE_ZNSN_ISO_Lb0ESQ_SR_ST_SU_SY_EESZ_S10_S11_S12_S16_S17_S18_S1B_S1C_jS1D_jS1E_S1E_jjS1G_bEUljE0_EEESZ_S10_S11_S18_S1C_S1E_T6_T7_T9_mT8_S1G_bDpT10_ENKUlT_T0_E_clISt17integral_constantIbLb1EES1U_EEDaS1P_S1Q_EUlS1P_E_NS1_11comp_targetILNS1_3genE0ELNS1_11target_archE4294967295ELNS1_3gpuE0ELNS1_3repE0EEENS1_30default_config_static_selectorELNS0_4arch9wavefront6targetE0EEEvS12_.has_dyn_sized_stack, 0
	.set _ZN7rocprim17ROCPRIM_400000_NS6detail17trampoline_kernelINS0_13select_configILj256ELj13ELNS0_17block_load_methodE3ELS4_3ELS4_3ELNS0_20block_scan_algorithmE0ELj4294967295EEENS1_25partition_config_selectorILNS1_17partition_subalgoE4EjNS0_10empty_typeEbEEZZNS1_14partition_implILS8_4ELb0ES6_15HIP_vector_typeIjLj2EENS0_17counting_iteratorIjlEEPS9_SG_NS0_5tupleIJPjSI_NS0_16reverse_iteratorISI_EEEEENSH_IJSG_SG_SG_EEES9_SI_JZNS1_25segmented_radix_sort_implINS0_14default_configELb0EPKsPsPKlPlN2at6native12_GLOBAL__N_18offset_tEEE10hipError_tPvRmT1_PNSt15iterator_traitsIS12_E10value_typeET2_T3_PNS13_IS18_E10value_typeET4_jRbjT5_S1E_jjP12ihipStream_tbEUljE_ZNSN_ISO_Lb0ESQ_SR_ST_SU_SY_EESZ_S10_S11_S12_S16_S17_S18_S1B_S1C_jS1D_jS1E_S1E_jjS1G_bEUljE0_EEESZ_S10_S11_S18_S1C_S1E_T6_T7_T9_mT8_S1G_bDpT10_ENKUlT_T0_E_clISt17integral_constantIbLb1EES1U_EEDaS1P_S1Q_EUlS1P_E_NS1_11comp_targetILNS1_3genE0ELNS1_11target_archE4294967295ELNS1_3gpuE0ELNS1_3repE0EEENS1_30default_config_static_selectorELNS0_4arch9wavefront6targetE0EEEvS12_.has_recursion, 0
	.set _ZN7rocprim17ROCPRIM_400000_NS6detail17trampoline_kernelINS0_13select_configILj256ELj13ELNS0_17block_load_methodE3ELS4_3ELS4_3ELNS0_20block_scan_algorithmE0ELj4294967295EEENS1_25partition_config_selectorILNS1_17partition_subalgoE4EjNS0_10empty_typeEbEEZZNS1_14partition_implILS8_4ELb0ES6_15HIP_vector_typeIjLj2EENS0_17counting_iteratorIjlEEPS9_SG_NS0_5tupleIJPjSI_NS0_16reverse_iteratorISI_EEEEENSH_IJSG_SG_SG_EEES9_SI_JZNS1_25segmented_radix_sort_implINS0_14default_configELb0EPKsPsPKlPlN2at6native12_GLOBAL__N_18offset_tEEE10hipError_tPvRmT1_PNSt15iterator_traitsIS12_E10value_typeET2_T3_PNS13_IS18_E10value_typeET4_jRbjT5_S1E_jjP12ihipStream_tbEUljE_ZNSN_ISO_Lb0ESQ_SR_ST_SU_SY_EESZ_S10_S11_S12_S16_S17_S18_S1B_S1C_jS1D_jS1E_S1E_jjS1G_bEUljE0_EEESZ_S10_S11_S18_S1C_S1E_T6_T7_T9_mT8_S1G_bDpT10_ENKUlT_T0_E_clISt17integral_constantIbLb1EES1U_EEDaS1P_S1Q_EUlS1P_E_NS1_11comp_targetILNS1_3genE0ELNS1_11target_archE4294967295ELNS1_3gpuE0ELNS1_3repE0EEENS1_30default_config_static_selectorELNS0_4arch9wavefront6targetE0EEEvS12_.has_indirect_call, 0
	.section	.AMDGPU.csdata,"",@progbits
; Kernel info:
; codeLenInByte = 0
; TotalNumSgprs: 0
; NumVgprs: 0
; ScratchSize: 0
; MemoryBound: 0
; FloatMode: 240
; IeeeMode: 1
; LDSByteSize: 0 bytes/workgroup (compile time only)
; SGPRBlocks: 0
; VGPRBlocks: 0
; NumSGPRsForWavesPerEU: 1
; NumVGPRsForWavesPerEU: 1
; Occupancy: 16
; WaveLimiterHint : 0
; COMPUTE_PGM_RSRC2:SCRATCH_EN: 0
; COMPUTE_PGM_RSRC2:USER_SGPR: 2
; COMPUTE_PGM_RSRC2:TRAP_HANDLER: 0
; COMPUTE_PGM_RSRC2:TGID_X_EN: 1
; COMPUTE_PGM_RSRC2:TGID_Y_EN: 0
; COMPUTE_PGM_RSRC2:TGID_Z_EN: 0
; COMPUTE_PGM_RSRC2:TIDIG_COMP_CNT: 0
	.section	.text._ZN7rocprim17ROCPRIM_400000_NS6detail17trampoline_kernelINS0_13select_configILj256ELj13ELNS0_17block_load_methodE3ELS4_3ELS4_3ELNS0_20block_scan_algorithmE0ELj4294967295EEENS1_25partition_config_selectorILNS1_17partition_subalgoE4EjNS0_10empty_typeEbEEZZNS1_14partition_implILS8_4ELb0ES6_15HIP_vector_typeIjLj2EENS0_17counting_iteratorIjlEEPS9_SG_NS0_5tupleIJPjSI_NS0_16reverse_iteratorISI_EEEEENSH_IJSG_SG_SG_EEES9_SI_JZNS1_25segmented_radix_sort_implINS0_14default_configELb0EPKsPsPKlPlN2at6native12_GLOBAL__N_18offset_tEEE10hipError_tPvRmT1_PNSt15iterator_traitsIS12_E10value_typeET2_T3_PNS13_IS18_E10value_typeET4_jRbjT5_S1E_jjP12ihipStream_tbEUljE_ZNSN_ISO_Lb0ESQ_SR_ST_SU_SY_EESZ_S10_S11_S12_S16_S17_S18_S1B_S1C_jS1D_jS1E_S1E_jjS1G_bEUljE0_EEESZ_S10_S11_S18_S1C_S1E_T6_T7_T9_mT8_S1G_bDpT10_ENKUlT_T0_E_clISt17integral_constantIbLb1EES1U_EEDaS1P_S1Q_EUlS1P_E_NS1_11comp_targetILNS1_3genE5ELNS1_11target_archE942ELNS1_3gpuE9ELNS1_3repE0EEENS1_30default_config_static_selectorELNS0_4arch9wavefront6targetE0EEEvS12_,"axG",@progbits,_ZN7rocprim17ROCPRIM_400000_NS6detail17trampoline_kernelINS0_13select_configILj256ELj13ELNS0_17block_load_methodE3ELS4_3ELS4_3ELNS0_20block_scan_algorithmE0ELj4294967295EEENS1_25partition_config_selectorILNS1_17partition_subalgoE4EjNS0_10empty_typeEbEEZZNS1_14partition_implILS8_4ELb0ES6_15HIP_vector_typeIjLj2EENS0_17counting_iteratorIjlEEPS9_SG_NS0_5tupleIJPjSI_NS0_16reverse_iteratorISI_EEEEENSH_IJSG_SG_SG_EEES9_SI_JZNS1_25segmented_radix_sort_implINS0_14default_configELb0EPKsPsPKlPlN2at6native12_GLOBAL__N_18offset_tEEE10hipError_tPvRmT1_PNSt15iterator_traitsIS12_E10value_typeET2_T3_PNS13_IS18_E10value_typeET4_jRbjT5_S1E_jjP12ihipStream_tbEUljE_ZNSN_ISO_Lb0ESQ_SR_ST_SU_SY_EESZ_S10_S11_S12_S16_S17_S18_S1B_S1C_jS1D_jS1E_S1E_jjS1G_bEUljE0_EEESZ_S10_S11_S18_S1C_S1E_T6_T7_T9_mT8_S1G_bDpT10_ENKUlT_T0_E_clISt17integral_constantIbLb1EES1U_EEDaS1P_S1Q_EUlS1P_E_NS1_11comp_targetILNS1_3genE5ELNS1_11target_archE942ELNS1_3gpuE9ELNS1_3repE0EEENS1_30default_config_static_selectorELNS0_4arch9wavefront6targetE0EEEvS12_,comdat
	.globl	_ZN7rocprim17ROCPRIM_400000_NS6detail17trampoline_kernelINS0_13select_configILj256ELj13ELNS0_17block_load_methodE3ELS4_3ELS4_3ELNS0_20block_scan_algorithmE0ELj4294967295EEENS1_25partition_config_selectorILNS1_17partition_subalgoE4EjNS0_10empty_typeEbEEZZNS1_14partition_implILS8_4ELb0ES6_15HIP_vector_typeIjLj2EENS0_17counting_iteratorIjlEEPS9_SG_NS0_5tupleIJPjSI_NS0_16reverse_iteratorISI_EEEEENSH_IJSG_SG_SG_EEES9_SI_JZNS1_25segmented_radix_sort_implINS0_14default_configELb0EPKsPsPKlPlN2at6native12_GLOBAL__N_18offset_tEEE10hipError_tPvRmT1_PNSt15iterator_traitsIS12_E10value_typeET2_T3_PNS13_IS18_E10value_typeET4_jRbjT5_S1E_jjP12ihipStream_tbEUljE_ZNSN_ISO_Lb0ESQ_SR_ST_SU_SY_EESZ_S10_S11_S12_S16_S17_S18_S1B_S1C_jS1D_jS1E_S1E_jjS1G_bEUljE0_EEESZ_S10_S11_S18_S1C_S1E_T6_T7_T9_mT8_S1G_bDpT10_ENKUlT_T0_E_clISt17integral_constantIbLb1EES1U_EEDaS1P_S1Q_EUlS1P_E_NS1_11comp_targetILNS1_3genE5ELNS1_11target_archE942ELNS1_3gpuE9ELNS1_3repE0EEENS1_30default_config_static_selectorELNS0_4arch9wavefront6targetE0EEEvS12_ ; -- Begin function _ZN7rocprim17ROCPRIM_400000_NS6detail17trampoline_kernelINS0_13select_configILj256ELj13ELNS0_17block_load_methodE3ELS4_3ELS4_3ELNS0_20block_scan_algorithmE0ELj4294967295EEENS1_25partition_config_selectorILNS1_17partition_subalgoE4EjNS0_10empty_typeEbEEZZNS1_14partition_implILS8_4ELb0ES6_15HIP_vector_typeIjLj2EENS0_17counting_iteratorIjlEEPS9_SG_NS0_5tupleIJPjSI_NS0_16reverse_iteratorISI_EEEEENSH_IJSG_SG_SG_EEES9_SI_JZNS1_25segmented_radix_sort_implINS0_14default_configELb0EPKsPsPKlPlN2at6native12_GLOBAL__N_18offset_tEEE10hipError_tPvRmT1_PNSt15iterator_traitsIS12_E10value_typeET2_T3_PNS13_IS18_E10value_typeET4_jRbjT5_S1E_jjP12ihipStream_tbEUljE_ZNSN_ISO_Lb0ESQ_SR_ST_SU_SY_EESZ_S10_S11_S12_S16_S17_S18_S1B_S1C_jS1D_jS1E_S1E_jjS1G_bEUljE0_EEESZ_S10_S11_S18_S1C_S1E_T6_T7_T9_mT8_S1G_bDpT10_ENKUlT_T0_E_clISt17integral_constantIbLb1EES1U_EEDaS1P_S1Q_EUlS1P_E_NS1_11comp_targetILNS1_3genE5ELNS1_11target_archE942ELNS1_3gpuE9ELNS1_3repE0EEENS1_30default_config_static_selectorELNS0_4arch9wavefront6targetE0EEEvS12_
	.p2align	8
	.type	_ZN7rocprim17ROCPRIM_400000_NS6detail17trampoline_kernelINS0_13select_configILj256ELj13ELNS0_17block_load_methodE3ELS4_3ELS4_3ELNS0_20block_scan_algorithmE0ELj4294967295EEENS1_25partition_config_selectorILNS1_17partition_subalgoE4EjNS0_10empty_typeEbEEZZNS1_14partition_implILS8_4ELb0ES6_15HIP_vector_typeIjLj2EENS0_17counting_iteratorIjlEEPS9_SG_NS0_5tupleIJPjSI_NS0_16reverse_iteratorISI_EEEEENSH_IJSG_SG_SG_EEES9_SI_JZNS1_25segmented_radix_sort_implINS0_14default_configELb0EPKsPsPKlPlN2at6native12_GLOBAL__N_18offset_tEEE10hipError_tPvRmT1_PNSt15iterator_traitsIS12_E10value_typeET2_T3_PNS13_IS18_E10value_typeET4_jRbjT5_S1E_jjP12ihipStream_tbEUljE_ZNSN_ISO_Lb0ESQ_SR_ST_SU_SY_EESZ_S10_S11_S12_S16_S17_S18_S1B_S1C_jS1D_jS1E_S1E_jjS1G_bEUljE0_EEESZ_S10_S11_S18_S1C_S1E_T6_T7_T9_mT8_S1G_bDpT10_ENKUlT_T0_E_clISt17integral_constantIbLb1EES1U_EEDaS1P_S1Q_EUlS1P_E_NS1_11comp_targetILNS1_3genE5ELNS1_11target_archE942ELNS1_3gpuE9ELNS1_3repE0EEENS1_30default_config_static_selectorELNS0_4arch9wavefront6targetE0EEEvS12_,@function
_ZN7rocprim17ROCPRIM_400000_NS6detail17trampoline_kernelINS0_13select_configILj256ELj13ELNS0_17block_load_methodE3ELS4_3ELS4_3ELNS0_20block_scan_algorithmE0ELj4294967295EEENS1_25partition_config_selectorILNS1_17partition_subalgoE4EjNS0_10empty_typeEbEEZZNS1_14partition_implILS8_4ELb0ES6_15HIP_vector_typeIjLj2EENS0_17counting_iteratorIjlEEPS9_SG_NS0_5tupleIJPjSI_NS0_16reverse_iteratorISI_EEEEENSH_IJSG_SG_SG_EEES9_SI_JZNS1_25segmented_radix_sort_implINS0_14default_configELb0EPKsPsPKlPlN2at6native12_GLOBAL__N_18offset_tEEE10hipError_tPvRmT1_PNSt15iterator_traitsIS12_E10value_typeET2_T3_PNS13_IS18_E10value_typeET4_jRbjT5_S1E_jjP12ihipStream_tbEUljE_ZNSN_ISO_Lb0ESQ_SR_ST_SU_SY_EESZ_S10_S11_S12_S16_S17_S18_S1B_S1C_jS1D_jS1E_S1E_jjS1G_bEUljE0_EEESZ_S10_S11_S18_S1C_S1E_T6_T7_T9_mT8_S1G_bDpT10_ENKUlT_T0_E_clISt17integral_constantIbLb1EES1U_EEDaS1P_S1Q_EUlS1P_E_NS1_11comp_targetILNS1_3genE5ELNS1_11target_archE942ELNS1_3gpuE9ELNS1_3repE0EEENS1_30default_config_static_selectorELNS0_4arch9wavefront6targetE0EEEvS12_: ; @_ZN7rocprim17ROCPRIM_400000_NS6detail17trampoline_kernelINS0_13select_configILj256ELj13ELNS0_17block_load_methodE3ELS4_3ELS4_3ELNS0_20block_scan_algorithmE0ELj4294967295EEENS1_25partition_config_selectorILNS1_17partition_subalgoE4EjNS0_10empty_typeEbEEZZNS1_14partition_implILS8_4ELb0ES6_15HIP_vector_typeIjLj2EENS0_17counting_iteratorIjlEEPS9_SG_NS0_5tupleIJPjSI_NS0_16reverse_iteratorISI_EEEEENSH_IJSG_SG_SG_EEES9_SI_JZNS1_25segmented_radix_sort_implINS0_14default_configELb0EPKsPsPKlPlN2at6native12_GLOBAL__N_18offset_tEEE10hipError_tPvRmT1_PNSt15iterator_traitsIS12_E10value_typeET2_T3_PNS13_IS18_E10value_typeET4_jRbjT5_S1E_jjP12ihipStream_tbEUljE_ZNSN_ISO_Lb0ESQ_SR_ST_SU_SY_EESZ_S10_S11_S12_S16_S17_S18_S1B_S1C_jS1D_jS1E_S1E_jjS1G_bEUljE0_EEESZ_S10_S11_S18_S1C_S1E_T6_T7_T9_mT8_S1G_bDpT10_ENKUlT_T0_E_clISt17integral_constantIbLb1EES1U_EEDaS1P_S1Q_EUlS1P_E_NS1_11comp_targetILNS1_3genE5ELNS1_11target_archE942ELNS1_3gpuE9ELNS1_3repE0EEENS1_30default_config_static_selectorELNS0_4arch9wavefront6targetE0EEEvS12_
; %bb.0:
	.section	.rodata,"a",@progbits
	.p2align	6, 0x0
	.amdhsa_kernel _ZN7rocprim17ROCPRIM_400000_NS6detail17trampoline_kernelINS0_13select_configILj256ELj13ELNS0_17block_load_methodE3ELS4_3ELS4_3ELNS0_20block_scan_algorithmE0ELj4294967295EEENS1_25partition_config_selectorILNS1_17partition_subalgoE4EjNS0_10empty_typeEbEEZZNS1_14partition_implILS8_4ELb0ES6_15HIP_vector_typeIjLj2EENS0_17counting_iteratorIjlEEPS9_SG_NS0_5tupleIJPjSI_NS0_16reverse_iteratorISI_EEEEENSH_IJSG_SG_SG_EEES9_SI_JZNS1_25segmented_radix_sort_implINS0_14default_configELb0EPKsPsPKlPlN2at6native12_GLOBAL__N_18offset_tEEE10hipError_tPvRmT1_PNSt15iterator_traitsIS12_E10value_typeET2_T3_PNS13_IS18_E10value_typeET4_jRbjT5_S1E_jjP12ihipStream_tbEUljE_ZNSN_ISO_Lb0ESQ_SR_ST_SU_SY_EESZ_S10_S11_S12_S16_S17_S18_S1B_S1C_jS1D_jS1E_S1E_jjS1G_bEUljE0_EEESZ_S10_S11_S18_S1C_S1E_T6_T7_T9_mT8_S1G_bDpT10_ENKUlT_T0_E_clISt17integral_constantIbLb1EES1U_EEDaS1P_S1Q_EUlS1P_E_NS1_11comp_targetILNS1_3genE5ELNS1_11target_archE942ELNS1_3gpuE9ELNS1_3repE0EEENS1_30default_config_static_selectorELNS0_4arch9wavefront6targetE0EEEvS12_
		.amdhsa_group_segment_fixed_size 0
		.amdhsa_private_segment_fixed_size 0
		.amdhsa_kernarg_size 184
		.amdhsa_user_sgpr_count 2
		.amdhsa_user_sgpr_dispatch_ptr 0
		.amdhsa_user_sgpr_queue_ptr 0
		.amdhsa_user_sgpr_kernarg_segment_ptr 1
		.amdhsa_user_sgpr_dispatch_id 0
		.amdhsa_user_sgpr_private_segment_size 0
		.amdhsa_wavefront_size32 1
		.amdhsa_uses_dynamic_stack 0
		.amdhsa_enable_private_segment 0
		.amdhsa_system_sgpr_workgroup_id_x 1
		.amdhsa_system_sgpr_workgroup_id_y 0
		.amdhsa_system_sgpr_workgroup_id_z 0
		.amdhsa_system_sgpr_workgroup_info 0
		.amdhsa_system_vgpr_workitem_id 0
		.amdhsa_next_free_vgpr 1
		.amdhsa_next_free_sgpr 1
		.amdhsa_reserve_vcc 0
		.amdhsa_float_round_mode_32 0
		.amdhsa_float_round_mode_16_64 0
		.amdhsa_float_denorm_mode_32 3
		.amdhsa_float_denorm_mode_16_64 3
		.amdhsa_fp16_overflow 0
		.amdhsa_workgroup_processor_mode 1
		.amdhsa_memory_ordered 1
		.amdhsa_forward_progress 1
		.amdhsa_inst_pref_size 0
		.amdhsa_round_robin_scheduling 0
		.amdhsa_exception_fp_ieee_invalid_op 0
		.amdhsa_exception_fp_denorm_src 0
		.amdhsa_exception_fp_ieee_div_zero 0
		.amdhsa_exception_fp_ieee_overflow 0
		.amdhsa_exception_fp_ieee_underflow 0
		.amdhsa_exception_fp_ieee_inexact 0
		.amdhsa_exception_int_div_zero 0
	.end_amdhsa_kernel
	.section	.text._ZN7rocprim17ROCPRIM_400000_NS6detail17trampoline_kernelINS0_13select_configILj256ELj13ELNS0_17block_load_methodE3ELS4_3ELS4_3ELNS0_20block_scan_algorithmE0ELj4294967295EEENS1_25partition_config_selectorILNS1_17partition_subalgoE4EjNS0_10empty_typeEbEEZZNS1_14partition_implILS8_4ELb0ES6_15HIP_vector_typeIjLj2EENS0_17counting_iteratorIjlEEPS9_SG_NS0_5tupleIJPjSI_NS0_16reverse_iteratorISI_EEEEENSH_IJSG_SG_SG_EEES9_SI_JZNS1_25segmented_radix_sort_implINS0_14default_configELb0EPKsPsPKlPlN2at6native12_GLOBAL__N_18offset_tEEE10hipError_tPvRmT1_PNSt15iterator_traitsIS12_E10value_typeET2_T3_PNS13_IS18_E10value_typeET4_jRbjT5_S1E_jjP12ihipStream_tbEUljE_ZNSN_ISO_Lb0ESQ_SR_ST_SU_SY_EESZ_S10_S11_S12_S16_S17_S18_S1B_S1C_jS1D_jS1E_S1E_jjS1G_bEUljE0_EEESZ_S10_S11_S18_S1C_S1E_T6_T7_T9_mT8_S1G_bDpT10_ENKUlT_T0_E_clISt17integral_constantIbLb1EES1U_EEDaS1P_S1Q_EUlS1P_E_NS1_11comp_targetILNS1_3genE5ELNS1_11target_archE942ELNS1_3gpuE9ELNS1_3repE0EEENS1_30default_config_static_selectorELNS0_4arch9wavefront6targetE0EEEvS12_,"axG",@progbits,_ZN7rocprim17ROCPRIM_400000_NS6detail17trampoline_kernelINS0_13select_configILj256ELj13ELNS0_17block_load_methodE3ELS4_3ELS4_3ELNS0_20block_scan_algorithmE0ELj4294967295EEENS1_25partition_config_selectorILNS1_17partition_subalgoE4EjNS0_10empty_typeEbEEZZNS1_14partition_implILS8_4ELb0ES6_15HIP_vector_typeIjLj2EENS0_17counting_iteratorIjlEEPS9_SG_NS0_5tupleIJPjSI_NS0_16reverse_iteratorISI_EEEEENSH_IJSG_SG_SG_EEES9_SI_JZNS1_25segmented_radix_sort_implINS0_14default_configELb0EPKsPsPKlPlN2at6native12_GLOBAL__N_18offset_tEEE10hipError_tPvRmT1_PNSt15iterator_traitsIS12_E10value_typeET2_T3_PNS13_IS18_E10value_typeET4_jRbjT5_S1E_jjP12ihipStream_tbEUljE_ZNSN_ISO_Lb0ESQ_SR_ST_SU_SY_EESZ_S10_S11_S12_S16_S17_S18_S1B_S1C_jS1D_jS1E_S1E_jjS1G_bEUljE0_EEESZ_S10_S11_S18_S1C_S1E_T6_T7_T9_mT8_S1G_bDpT10_ENKUlT_T0_E_clISt17integral_constantIbLb1EES1U_EEDaS1P_S1Q_EUlS1P_E_NS1_11comp_targetILNS1_3genE5ELNS1_11target_archE942ELNS1_3gpuE9ELNS1_3repE0EEENS1_30default_config_static_selectorELNS0_4arch9wavefront6targetE0EEEvS12_,comdat
.Lfunc_end959:
	.size	_ZN7rocprim17ROCPRIM_400000_NS6detail17trampoline_kernelINS0_13select_configILj256ELj13ELNS0_17block_load_methodE3ELS4_3ELS4_3ELNS0_20block_scan_algorithmE0ELj4294967295EEENS1_25partition_config_selectorILNS1_17partition_subalgoE4EjNS0_10empty_typeEbEEZZNS1_14partition_implILS8_4ELb0ES6_15HIP_vector_typeIjLj2EENS0_17counting_iteratorIjlEEPS9_SG_NS0_5tupleIJPjSI_NS0_16reverse_iteratorISI_EEEEENSH_IJSG_SG_SG_EEES9_SI_JZNS1_25segmented_radix_sort_implINS0_14default_configELb0EPKsPsPKlPlN2at6native12_GLOBAL__N_18offset_tEEE10hipError_tPvRmT1_PNSt15iterator_traitsIS12_E10value_typeET2_T3_PNS13_IS18_E10value_typeET4_jRbjT5_S1E_jjP12ihipStream_tbEUljE_ZNSN_ISO_Lb0ESQ_SR_ST_SU_SY_EESZ_S10_S11_S12_S16_S17_S18_S1B_S1C_jS1D_jS1E_S1E_jjS1G_bEUljE0_EEESZ_S10_S11_S18_S1C_S1E_T6_T7_T9_mT8_S1G_bDpT10_ENKUlT_T0_E_clISt17integral_constantIbLb1EES1U_EEDaS1P_S1Q_EUlS1P_E_NS1_11comp_targetILNS1_3genE5ELNS1_11target_archE942ELNS1_3gpuE9ELNS1_3repE0EEENS1_30default_config_static_selectorELNS0_4arch9wavefront6targetE0EEEvS12_, .Lfunc_end959-_ZN7rocprim17ROCPRIM_400000_NS6detail17trampoline_kernelINS0_13select_configILj256ELj13ELNS0_17block_load_methodE3ELS4_3ELS4_3ELNS0_20block_scan_algorithmE0ELj4294967295EEENS1_25partition_config_selectorILNS1_17partition_subalgoE4EjNS0_10empty_typeEbEEZZNS1_14partition_implILS8_4ELb0ES6_15HIP_vector_typeIjLj2EENS0_17counting_iteratorIjlEEPS9_SG_NS0_5tupleIJPjSI_NS0_16reverse_iteratorISI_EEEEENSH_IJSG_SG_SG_EEES9_SI_JZNS1_25segmented_radix_sort_implINS0_14default_configELb0EPKsPsPKlPlN2at6native12_GLOBAL__N_18offset_tEEE10hipError_tPvRmT1_PNSt15iterator_traitsIS12_E10value_typeET2_T3_PNS13_IS18_E10value_typeET4_jRbjT5_S1E_jjP12ihipStream_tbEUljE_ZNSN_ISO_Lb0ESQ_SR_ST_SU_SY_EESZ_S10_S11_S12_S16_S17_S18_S1B_S1C_jS1D_jS1E_S1E_jjS1G_bEUljE0_EEESZ_S10_S11_S18_S1C_S1E_T6_T7_T9_mT8_S1G_bDpT10_ENKUlT_T0_E_clISt17integral_constantIbLb1EES1U_EEDaS1P_S1Q_EUlS1P_E_NS1_11comp_targetILNS1_3genE5ELNS1_11target_archE942ELNS1_3gpuE9ELNS1_3repE0EEENS1_30default_config_static_selectorELNS0_4arch9wavefront6targetE0EEEvS12_
                                        ; -- End function
	.set _ZN7rocprim17ROCPRIM_400000_NS6detail17trampoline_kernelINS0_13select_configILj256ELj13ELNS0_17block_load_methodE3ELS4_3ELS4_3ELNS0_20block_scan_algorithmE0ELj4294967295EEENS1_25partition_config_selectorILNS1_17partition_subalgoE4EjNS0_10empty_typeEbEEZZNS1_14partition_implILS8_4ELb0ES6_15HIP_vector_typeIjLj2EENS0_17counting_iteratorIjlEEPS9_SG_NS0_5tupleIJPjSI_NS0_16reverse_iteratorISI_EEEEENSH_IJSG_SG_SG_EEES9_SI_JZNS1_25segmented_radix_sort_implINS0_14default_configELb0EPKsPsPKlPlN2at6native12_GLOBAL__N_18offset_tEEE10hipError_tPvRmT1_PNSt15iterator_traitsIS12_E10value_typeET2_T3_PNS13_IS18_E10value_typeET4_jRbjT5_S1E_jjP12ihipStream_tbEUljE_ZNSN_ISO_Lb0ESQ_SR_ST_SU_SY_EESZ_S10_S11_S12_S16_S17_S18_S1B_S1C_jS1D_jS1E_S1E_jjS1G_bEUljE0_EEESZ_S10_S11_S18_S1C_S1E_T6_T7_T9_mT8_S1G_bDpT10_ENKUlT_T0_E_clISt17integral_constantIbLb1EES1U_EEDaS1P_S1Q_EUlS1P_E_NS1_11comp_targetILNS1_3genE5ELNS1_11target_archE942ELNS1_3gpuE9ELNS1_3repE0EEENS1_30default_config_static_selectorELNS0_4arch9wavefront6targetE0EEEvS12_.num_vgpr, 0
	.set _ZN7rocprim17ROCPRIM_400000_NS6detail17trampoline_kernelINS0_13select_configILj256ELj13ELNS0_17block_load_methodE3ELS4_3ELS4_3ELNS0_20block_scan_algorithmE0ELj4294967295EEENS1_25partition_config_selectorILNS1_17partition_subalgoE4EjNS0_10empty_typeEbEEZZNS1_14partition_implILS8_4ELb0ES6_15HIP_vector_typeIjLj2EENS0_17counting_iteratorIjlEEPS9_SG_NS0_5tupleIJPjSI_NS0_16reverse_iteratorISI_EEEEENSH_IJSG_SG_SG_EEES9_SI_JZNS1_25segmented_radix_sort_implINS0_14default_configELb0EPKsPsPKlPlN2at6native12_GLOBAL__N_18offset_tEEE10hipError_tPvRmT1_PNSt15iterator_traitsIS12_E10value_typeET2_T3_PNS13_IS18_E10value_typeET4_jRbjT5_S1E_jjP12ihipStream_tbEUljE_ZNSN_ISO_Lb0ESQ_SR_ST_SU_SY_EESZ_S10_S11_S12_S16_S17_S18_S1B_S1C_jS1D_jS1E_S1E_jjS1G_bEUljE0_EEESZ_S10_S11_S18_S1C_S1E_T6_T7_T9_mT8_S1G_bDpT10_ENKUlT_T0_E_clISt17integral_constantIbLb1EES1U_EEDaS1P_S1Q_EUlS1P_E_NS1_11comp_targetILNS1_3genE5ELNS1_11target_archE942ELNS1_3gpuE9ELNS1_3repE0EEENS1_30default_config_static_selectorELNS0_4arch9wavefront6targetE0EEEvS12_.num_agpr, 0
	.set _ZN7rocprim17ROCPRIM_400000_NS6detail17trampoline_kernelINS0_13select_configILj256ELj13ELNS0_17block_load_methodE3ELS4_3ELS4_3ELNS0_20block_scan_algorithmE0ELj4294967295EEENS1_25partition_config_selectorILNS1_17partition_subalgoE4EjNS0_10empty_typeEbEEZZNS1_14partition_implILS8_4ELb0ES6_15HIP_vector_typeIjLj2EENS0_17counting_iteratorIjlEEPS9_SG_NS0_5tupleIJPjSI_NS0_16reverse_iteratorISI_EEEEENSH_IJSG_SG_SG_EEES9_SI_JZNS1_25segmented_radix_sort_implINS0_14default_configELb0EPKsPsPKlPlN2at6native12_GLOBAL__N_18offset_tEEE10hipError_tPvRmT1_PNSt15iterator_traitsIS12_E10value_typeET2_T3_PNS13_IS18_E10value_typeET4_jRbjT5_S1E_jjP12ihipStream_tbEUljE_ZNSN_ISO_Lb0ESQ_SR_ST_SU_SY_EESZ_S10_S11_S12_S16_S17_S18_S1B_S1C_jS1D_jS1E_S1E_jjS1G_bEUljE0_EEESZ_S10_S11_S18_S1C_S1E_T6_T7_T9_mT8_S1G_bDpT10_ENKUlT_T0_E_clISt17integral_constantIbLb1EES1U_EEDaS1P_S1Q_EUlS1P_E_NS1_11comp_targetILNS1_3genE5ELNS1_11target_archE942ELNS1_3gpuE9ELNS1_3repE0EEENS1_30default_config_static_selectorELNS0_4arch9wavefront6targetE0EEEvS12_.numbered_sgpr, 0
	.set _ZN7rocprim17ROCPRIM_400000_NS6detail17trampoline_kernelINS0_13select_configILj256ELj13ELNS0_17block_load_methodE3ELS4_3ELS4_3ELNS0_20block_scan_algorithmE0ELj4294967295EEENS1_25partition_config_selectorILNS1_17partition_subalgoE4EjNS0_10empty_typeEbEEZZNS1_14partition_implILS8_4ELb0ES6_15HIP_vector_typeIjLj2EENS0_17counting_iteratorIjlEEPS9_SG_NS0_5tupleIJPjSI_NS0_16reverse_iteratorISI_EEEEENSH_IJSG_SG_SG_EEES9_SI_JZNS1_25segmented_radix_sort_implINS0_14default_configELb0EPKsPsPKlPlN2at6native12_GLOBAL__N_18offset_tEEE10hipError_tPvRmT1_PNSt15iterator_traitsIS12_E10value_typeET2_T3_PNS13_IS18_E10value_typeET4_jRbjT5_S1E_jjP12ihipStream_tbEUljE_ZNSN_ISO_Lb0ESQ_SR_ST_SU_SY_EESZ_S10_S11_S12_S16_S17_S18_S1B_S1C_jS1D_jS1E_S1E_jjS1G_bEUljE0_EEESZ_S10_S11_S18_S1C_S1E_T6_T7_T9_mT8_S1G_bDpT10_ENKUlT_T0_E_clISt17integral_constantIbLb1EES1U_EEDaS1P_S1Q_EUlS1P_E_NS1_11comp_targetILNS1_3genE5ELNS1_11target_archE942ELNS1_3gpuE9ELNS1_3repE0EEENS1_30default_config_static_selectorELNS0_4arch9wavefront6targetE0EEEvS12_.num_named_barrier, 0
	.set _ZN7rocprim17ROCPRIM_400000_NS6detail17trampoline_kernelINS0_13select_configILj256ELj13ELNS0_17block_load_methodE3ELS4_3ELS4_3ELNS0_20block_scan_algorithmE0ELj4294967295EEENS1_25partition_config_selectorILNS1_17partition_subalgoE4EjNS0_10empty_typeEbEEZZNS1_14partition_implILS8_4ELb0ES6_15HIP_vector_typeIjLj2EENS0_17counting_iteratorIjlEEPS9_SG_NS0_5tupleIJPjSI_NS0_16reverse_iteratorISI_EEEEENSH_IJSG_SG_SG_EEES9_SI_JZNS1_25segmented_radix_sort_implINS0_14default_configELb0EPKsPsPKlPlN2at6native12_GLOBAL__N_18offset_tEEE10hipError_tPvRmT1_PNSt15iterator_traitsIS12_E10value_typeET2_T3_PNS13_IS18_E10value_typeET4_jRbjT5_S1E_jjP12ihipStream_tbEUljE_ZNSN_ISO_Lb0ESQ_SR_ST_SU_SY_EESZ_S10_S11_S12_S16_S17_S18_S1B_S1C_jS1D_jS1E_S1E_jjS1G_bEUljE0_EEESZ_S10_S11_S18_S1C_S1E_T6_T7_T9_mT8_S1G_bDpT10_ENKUlT_T0_E_clISt17integral_constantIbLb1EES1U_EEDaS1P_S1Q_EUlS1P_E_NS1_11comp_targetILNS1_3genE5ELNS1_11target_archE942ELNS1_3gpuE9ELNS1_3repE0EEENS1_30default_config_static_selectorELNS0_4arch9wavefront6targetE0EEEvS12_.private_seg_size, 0
	.set _ZN7rocprim17ROCPRIM_400000_NS6detail17trampoline_kernelINS0_13select_configILj256ELj13ELNS0_17block_load_methodE3ELS4_3ELS4_3ELNS0_20block_scan_algorithmE0ELj4294967295EEENS1_25partition_config_selectorILNS1_17partition_subalgoE4EjNS0_10empty_typeEbEEZZNS1_14partition_implILS8_4ELb0ES6_15HIP_vector_typeIjLj2EENS0_17counting_iteratorIjlEEPS9_SG_NS0_5tupleIJPjSI_NS0_16reverse_iteratorISI_EEEEENSH_IJSG_SG_SG_EEES9_SI_JZNS1_25segmented_radix_sort_implINS0_14default_configELb0EPKsPsPKlPlN2at6native12_GLOBAL__N_18offset_tEEE10hipError_tPvRmT1_PNSt15iterator_traitsIS12_E10value_typeET2_T3_PNS13_IS18_E10value_typeET4_jRbjT5_S1E_jjP12ihipStream_tbEUljE_ZNSN_ISO_Lb0ESQ_SR_ST_SU_SY_EESZ_S10_S11_S12_S16_S17_S18_S1B_S1C_jS1D_jS1E_S1E_jjS1G_bEUljE0_EEESZ_S10_S11_S18_S1C_S1E_T6_T7_T9_mT8_S1G_bDpT10_ENKUlT_T0_E_clISt17integral_constantIbLb1EES1U_EEDaS1P_S1Q_EUlS1P_E_NS1_11comp_targetILNS1_3genE5ELNS1_11target_archE942ELNS1_3gpuE9ELNS1_3repE0EEENS1_30default_config_static_selectorELNS0_4arch9wavefront6targetE0EEEvS12_.uses_vcc, 0
	.set _ZN7rocprim17ROCPRIM_400000_NS6detail17trampoline_kernelINS0_13select_configILj256ELj13ELNS0_17block_load_methodE3ELS4_3ELS4_3ELNS0_20block_scan_algorithmE0ELj4294967295EEENS1_25partition_config_selectorILNS1_17partition_subalgoE4EjNS0_10empty_typeEbEEZZNS1_14partition_implILS8_4ELb0ES6_15HIP_vector_typeIjLj2EENS0_17counting_iteratorIjlEEPS9_SG_NS0_5tupleIJPjSI_NS0_16reverse_iteratorISI_EEEEENSH_IJSG_SG_SG_EEES9_SI_JZNS1_25segmented_radix_sort_implINS0_14default_configELb0EPKsPsPKlPlN2at6native12_GLOBAL__N_18offset_tEEE10hipError_tPvRmT1_PNSt15iterator_traitsIS12_E10value_typeET2_T3_PNS13_IS18_E10value_typeET4_jRbjT5_S1E_jjP12ihipStream_tbEUljE_ZNSN_ISO_Lb0ESQ_SR_ST_SU_SY_EESZ_S10_S11_S12_S16_S17_S18_S1B_S1C_jS1D_jS1E_S1E_jjS1G_bEUljE0_EEESZ_S10_S11_S18_S1C_S1E_T6_T7_T9_mT8_S1G_bDpT10_ENKUlT_T0_E_clISt17integral_constantIbLb1EES1U_EEDaS1P_S1Q_EUlS1P_E_NS1_11comp_targetILNS1_3genE5ELNS1_11target_archE942ELNS1_3gpuE9ELNS1_3repE0EEENS1_30default_config_static_selectorELNS0_4arch9wavefront6targetE0EEEvS12_.uses_flat_scratch, 0
	.set _ZN7rocprim17ROCPRIM_400000_NS6detail17trampoline_kernelINS0_13select_configILj256ELj13ELNS0_17block_load_methodE3ELS4_3ELS4_3ELNS0_20block_scan_algorithmE0ELj4294967295EEENS1_25partition_config_selectorILNS1_17partition_subalgoE4EjNS0_10empty_typeEbEEZZNS1_14partition_implILS8_4ELb0ES6_15HIP_vector_typeIjLj2EENS0_17counting_iteratorIjlEEPS9_SG_NS0_5tupleIJPjSI_NS0_16reverse_iteratorISI_EEEEENSH_IJSG_SG_SG_EEES9_SI_JZNS1_25segmented_radix_sort_implINS0_14default_configELb0EPKsPsPKlPlN2at6native12_GLOBAL__N_18offset_tEEE10hipError_tPvRmT1_PNSt15iterator_traitsIS12_E10value_typeET2_T3_PNS13_IS18_E10value_typeET4_jRbjT5_S1E_jjP12ihipStream_tbEUljE_ZNSN_ISO_Lb0ESQ_SR_ST_SU_SY_EESZ_S10_S11_S12_S16_S17_S18_S1B_S1C_jS1D_jS1E_S1E_jjS1G_bEUljE0_EEESZ_S10_S11_S18_S1C_S1E_T6_T7_T9_mT8_S1G_bDpT10_ENKUlT_T0_E_clISt17integral_constantIbLb1EES1U_EEDaS1P_S1Q_EUlS1P_E_NS1_11comp_targetILNS1_3genE5ELNS1_11target_archE942ELNS1_3gpuE9ELNS1_3repE0EEENS1_30default_config_static_selectorELNS0_4arch9wavefront6targetE0EEEvS12_.has_dyn_sized_stack, 0
	.set _ZN7rocprim17ROCPRIM_400000_NS6detail17trampoline_kernelINS0_13select_configILj256ELj13ELNS0_17block_load_methodE3ELS4_3ELS4_3ELNS0_20block_scan_algorithmE0ELj4294967295EEENS1_25partition_config_selectorILNS1_17partition_subalgoE4EjNS0_10empty_typeEbEEZZNS1_14partition_implILS8_4ELb0ES6_15HIP_vector_typeIjLj2EENS0_17counting_iteratorIjlEEPS9_SG_NS0_5tupleIJPjSI_NS0_16reverse_iteratorISI_EEEEENSH_IJSG_SG_SG_EEES9_SI_JZNS1_25segmented_radix_sort_implINS0_14default_configELb0EPKsPsPKlPlN2at6native12_GLOBAL__N_18offset_tEEE10hipError_tPvRmT1_PNSt15iterator_traitsIS12_E10value_typeET2_T3_PNS13_IS18_E10value_typeET4_jRbjT5_S1E_jjP12ihipStream_tbEUljE_ZNSN_ISO_Lb0ESQ_SR_ST_SU_SY_EESZ_S10_S11_S12_S16_S17_S18_S1B_S1C_jS1D_jS1E_S1E_jjS1G_bEUljE0_EEESZ_S10_S11_S18_S1C_S1E_T6_T7_T9_mT8_S1G_bDpT10_ENKUlT_T0_E_clISt17integral_constantIbLb1EES1U_EEDaS1P_S1Q_EUlS1P_E_NS1_11comp_targetILNS1_3genE5ELNS1_11target_archE942ELNS1_3gpuE9ELNS1_3repE0EEENS1_30default_config_static_selectorELNS0_4arch9wavefront6targetE0EEEvS12_.has_recursion, 0
	.set _ZN7rocprim17ROCPRIM_400000_NS6detail17trampoline_kernelINS0_13select_configILj256ELj13ELNS0_17block_load_methodE3ELS4_3ELS4_3ELNS0_20block_scan_algorithmE0ELj4294967295EEENS1_25partition_config_selectorILNS1_17partition_subalgoE4EjNS0_10empty_typeEbEEZZNS1_14partition_implILS8_4ELb0ES6_15HIP_vector_typeIjLj2EENS0_17counting_iteratorIjlEEPS9_SG_NS0_5tupleIJPjSI_NS0_16reverse_iteratorISI_EEEEENSH_IJSG_SG_SG_EEES9_SI_JZNS1_25segmented_radix_sort_implINS0_14default_configELb0EPKsPsPKlPlN2at6native12_GLOBAL__N_18offset_tEEE10hipError_tPvRmT1_PNSt15iterator_traitsIS12_E10value_typeET2_T3_PNS13_IS18_E10value_typeET4_jRbjT5_S1E_jjP12ihipStream_tbEUljE_ZNSN_ISO_Lb0ESQ_SR_ST_SU_SY_EESZ_S10_S11_S12_S16_S17_S18_S1B_S1C_jS1D_jS1E_S1E_jjS1G_bEUljE0_EEESZ_S10_S11_S18_S1C_S1E_T6_T7_T9_mT8_S1G_bDpT10_ENKUlT_T0_E_clISt17integral_constantIbLb1EES1U_EEDaS1P_S1Q_EUlS1P_E_NS1_11comp_targetILNS1_3genE5ELNS1_11target_archE942ELNS1_3gpuE9ELNS1_3repE0EEENS1_30default_config_static_selectorELNS0_4arch9wavefront6targetE0EEEvS12_.has_indirect_call, 0
	.section	.AMDGPU.csdata,"",@progbits
; Kernel info:
; codeLenInByte = 0
; TotalNumSgprs: 0
; NumVgprs: 0
; ScratchSize: 0
; MemoryBound: 0
; FloatMode: 240
; IeeeMode: 1
; LDSByteSize: 0 bytes/workgroup (compile time only)
; SGPRBlocks: 0
; VGPRBlocks: 0
; NumSGPRsForWavesPerEU: 1
; NumVGPRsForWavesPerEU: 1
; Occupancy: 16
; WaveLimiterHint : 0
; COMPUTE_PGM_RSRC2:SCRATCH_EN: 0
; COMPUTE_PGM_RSRC2:USER_SGPR: 2
; COMPUTE_PGM_RSRC2:TRAP_HANDLER: 0
; COMPUTE_PGM_RSRC2:TGID_X_EN: 1
; COMPUTE_PGM_RSRC2:TGID_Y_EN: 0
; COMPUTE_PGM_RSRC2:TGID_Z_EN: 0
; COMPUTE_PGM_RSRC2:TIDIG_COMP_CNT: 0
	.section	.text._ZN7rocprim17ROCPRIM_400000_NS6detail17trampoline_kernelINS0_13select_configILj256ELj13ELNS0_17block_load_methodE3ELS4_3ELS4_3ELNS0_20block_scan_algorithmE0ELj4294967295EEENS1_25partition_config_selectorILNS1_17partition_subalgoE4EjNS0_10empty_typeEbEEZZNS1_14partition_implILS8_4ELb0ES6_15HIP_vector_typeIjLj2EENS0_17counting_iteratorIjlEEPS9_SG_NS0_5tupleIJPjSI_NS0_16reverse_iteratorISI_EEEEENSH_IJSG_SG_SG_EEES9_SI_JZNS1_25segmented_radix_sort_implINS0_14default_configELb0EPKsPsPKlPlN2at6native12_GLOBAL__N_18offset_tEEE10hipError_tPvRmT1_PNSt15iterator_traitsIS12_E10value_typeET2_T3_PNS13_IS18_E10value_typeET4_jRbjT5_S1E_jjP12ihipStream_tbEUljE_ZNSN_ISO_Lb0ESQ_SR_ST_SU_SY_EESZ_S10_S11_S12_S16_S17_S18_S1B_S1C_jS1D_jS1E_S1E_jjS1G_bEUljE0_EEESZ_S10_S11_S18_S1C_S1E_T6_T7_T9_mT8_S1G_bDpT10_ENKUlT_T0_E_clISt17integral_constantIbLb1EES1U_EEDaS1P_S1Q_EUlS1P_E_NS1_11comp_targetILNS1_3genE4ELNS1_11target_archE910ELNS1_3gpuE8ELNS1_3repE0EEENS1_30default_config_static_selectorELNS0_4arch9wavefront6targetE0EEEvS12_,"axG",@progbits,_ZN7rocprim17ROCPRIM_400000_NS6detail17trampoline_kernelINS0_13select_configILj256ELj13ELNS0_17block_load_methodE3ELS4_3ELS4_3ELNS0_20block_scan_algorithmE0ELj4294967295EEENS1_25partition_config_selectorILNS1_17partition_subalgoE4EjNS0_10empty_typeEbEEZZNS1_14partition_implILS8_4ELb0ES6_15HIP_vector_typeIjLj2EENS0_17counting_iteratorIjlEEPS9_SG_NS0_5tupleIJPjSI_NS0_16reverse_iteratorISI_EEEEENSH_IJSG_SG_SG_EEES9_SI_JZNS1_25segmented_radix_sort_implINS0_14default_configELb0EPKsPsPKlPlN2at6native12_GLOBAL__N_18offset_tEEE10hipError_tPvRmT1_PNSt15iterator_traitsIS12_E10value_typeET2_T3_PNS13_IS18_E10value_typeET4_jRbjT5_S1E_jjP12ihipStream_tbEUljE_ZNSN_ISO_Lb0ESQ_SR_ST_SU_SY_EESZ_S10_S11_S12_S16_S17_S18_S1B_S1C_jS1D_jS1E_S1E_jjS1G_bEUljE0_EEESZ_S10_S11_S18_S1C_S1E_T6_T7_T9_mT8_S1G_bDpT10_ENKUlT_T0_E_clISt17integral_constantIbLb1EES1U_EEDaS1P_S1Q_EUlS1P_E_NS1_11comp_targetILNS1_3genE4ELNS1_11target_archE910ELNS1_3gpuE8ELNS1_3repE0EEENS1_30default_config_static_selectorELNS0_4arch9wavefront6targetE0EEEvS12_,comdat
	.globl	_ZN7rocprim17ROCPRIM_400000_NS6detail17trampoline_kernelINS0_13select_configILj256ELj13ELNS0_17block_load_methodE3ELS4_3ELS4_3ELNS0_20block_scan_algorithmE0ELj4294967295EEENS1_25partition_config_selectorILNS1_17partition_subalgoE4EjNS0_10empty_typeEbEEZZNS1_14partition_implILS8_4ELb0ES6_15HIP_vector_typeIjLj2EENS0_17counting_iteratorIjlEEPS9_SG_NS0_5tupleIJPjSI_NS0_16reverse_iteratorISI_EEEEENSH_IJSG_SG_SG_EEES9_SI_JZNS1_25segmented_radix_sort_implINS0_14default_configELb0EPKsPsPKlPlN2at6native12_GLOBAL__N_18offset_tEEE10hipError_tPvRmT1_PNSt15iterator_traitsIS12_E10value_typeET2_T3_PNS13_IS18_E10value_typeET4_jRbjT5_S1E_jjP12ihipStream_tbEUljE_ZNSN_ISO_Lb0ESQ_SR_ST_SU_SY_EESZ_S10_S11_S12_S16_S17_S18_S1B_S1C_jS1D_jS1E_S1E_jjS1G_bEUljE0_EEESZ_S10_S11_S18_S1C_S1E_T6_T7_T9_mT8_S1G_bDpT10_ENKUlT_T0_E_clISt17integral_constantIbLb1EES1U_EEDaS1P_S1Q_EUlS1P_E_NS1_11comp_targetILNS1_3genE4ELNS1_11target_archE910ELNS1_3gpuE8ELNS1_3repE0EEENS1_30default_config_static_selectorELNS0_4arch9wavefront6targetE0EEEvS12_ ; -- Begin function _ZN7rocprim17ROCPRIM_400000_NS6detail17trampoline_kernelINS0_13select_configILj256ELj13ELNS0_17block_load_methodE3ELS4_3ELS4_3ELNS0_20block_scan_algorithmE0ELj4294967295EEENS1_25partition_config_selectorILNS1_17partition_subalgoE4EjNS0_10empty_typeEbEEZZNS1_14partition_implILS8_4ELb0ES6_15HIP_vector_typeIjLj2EENS0_17counting_iteratorIjlEEPS9_SG_NS0_5tupleIJPjSI_NS0_16reverse_iteratorISI_EEEEENSH_IJSG_SG_SG_EEES9_SI_JZNS1_25segmented_radix_sort_implINS0_14default_configELb0EPKsPsPKlPlN2at6native12_GLOBAL__N_18offset_tEEE10hipError_tPvRmT1_PNSt15iterator_traitsIS12_E10value_typeET2_T3_PNS13_IS18_E10value_typeET4_jRbjT5_S1E_jjP12ihipStream_tbEUljE_ZNSN_ISO_Lb0ESQ_SR_ST_SU_SY_EESZ_S10_S11_S12_S16_S17_S18_S1B_S1C_jS1D_jS1E_S1E_jjS1G_bEUljE0_EEESZ_S10_S11_S18_S1C_S1E_T6_T7_T9_mT8_S1G_bDpT10_ENKUlT_T0_E_clISt17integral_constantIbLb1EES1U_EEDaS1P_S1Q_EUlS1P_E_NS1_11comp_targetILNS1_3genE4ELNS1_11target_archE910ELNS1_3gpuE8ELNS1_3repE0EEENS1_30default_config_static_selectorELNS0_4arch9wavefront6targetE0EEEvS12_
	.p2align	8
	.type	_ZN7rocprim17ROCPRIM_400000_NS6detail17trampoline_kernelINS0_13select_configILj256ELj13ELNS0_17block_load_methodE3ELS4_3ELS4_3ELNS0_20block_scan_algorithmE0ELj4294967295EEENS1_25partition_config_selectorILNS1_17partition_subalgoE4EjNS0_10empty_typeEbEEZZNS1_14partition_implILS8_4ELb0ES6_15HIP_vector_typeIjLj2EENS0_17counting_iteratorIjlEEPS9_SG_NS0_5tupleIJPjSI_NS0_16reverse_iteratorISI_EEEEENSH_IJSG_SG_SG_EEES9_SI_JZNS1_25segmented_radix_sort_implINS0_14default_configELb0EPKsPsPKlPlN2at6native12_GLOBAL__N_18offset_tEEE10hipError_tPvRmT1_PNSt15iterator_traitsIS12_E10value_typeET2_T3_PNS13_IS18_E10value_typeET4_jRbjT5_S1E_jjP12ihipStream_tbEUljE_ZNSN_ISO_Lb0ESQ_SR_ST_SU_SY_EESZ_S10_S11_S12_S16_S17_S18_S1B_S1C_jS1D_jS1E_S1E_jjS1G_bEUljE0_EEESZ_S10_S11_S18_S1C_S1E_T6_T7_T9_mT8_S1G_bDpT10_ENKUlT_T0_E_clISt17integral_constantIbLb1EES1U_EEDaS1P_S1Q_EUlS1P_E_NS1_11comp_targetILNS1_3genE4ELNS1_11target_archE910ELNS1_3gpuE8ELNS1_3repE0EEENS1_30default_config_static_selectorELNS0_4arch9wavefront6targetE0EEEvS12_,@function
_ZN7rocprim17ROCPRIM_400000_NS6detail17trampoline_kernelINS0_13select_configILj256ELj13ELNS0_17block_load_methodE3ELS4_3ELS4_3ELNS0_20block_scan_algorithmE0ELj4294967295EEENS1_25partition_config_selectorILNS1_17partition_subalgoE4EjNS0_10empty_typeEbEEZZNS1_14partition_implILS8_4ELb0ES6_15HIP_vector_typeIjLj2EENS0_17counting_iteratorIjlEEPS9_SG_NS0_5tupleIJPjSI_NS0_16reverse_iteratorISI_EEEEENSH_IJSG_SG_SG_EEES9_SI_JZNS1_25segmented_radix_sort_implINS0_14default_configELb0EPKsPsPKlPlN2at6native12_GLOBAL__N_18offset_tEEE10hipError_tPvRmT1_PNSt15iterator_traitsIS12_E10value_typeET2_T3_PNS13_IS18_E10value_typeET4_jRbjT5_S1E_jjP12ihipStream_tbEUljE_ZNSN_ISO_Lb0ESQ_SR_ST_SU_SY_EESZ_S10_S11_S12_S16_S17_S18_S1B_S1C_jS1D_jS1E_S1E_jjS1G_bEUljE0_EEESZ_S10_S11_S18_S1C_S1E_T6_T7_T9_mT8_S1G_bDpT10_ENKUlT_T0_E_clISt17integral_constantIbLb1EES1U_EEDaS1P_S1Q_EUlS1P_E_NS1_11comp_targetILNS1_3genE4ELNS1_11target_archE910ELNS1_3gpuE8ELNS1_3repE0EEENS1_30default_config_static_selectorELNS0_4arch9wavefront6targetE0EEEvS12_: ; @_ZN7rocprim17ROCPRIM_400000_NS6detail17trampoline_kernelINS0_13select_configILj256ELj13ELNS0_17block_load_methodE3ELS4_3ELS4_3ELNS0_20block_scan_algorithmE0ELj4294967295EEENS1_25partition_config_selectorILNS1_17partition_subalgoE4EjNS0_10empty_typeEbEEZZNS1_14partition_implILS8_4ELb0ES6_15HIP_vector_typeIjLj2EENS0_17counting_iteratorIjlEEPS9_SG_NS0_5tupleIJPjSI_NS0_16reverse_iteratorISI_EEEEENSH_IJSG_SG_SG_EEES9_SI_JZNS1_25segmented_radix_sort_implINS0_14default_configELb0EPKsPsPKlPlN2at6native12_GLOBAL__N_18offset_tEEE10hipError_tPvRmT1_PNSt15iterator_traitsIS12_E10value_typeET2_T3_PNS13_IS18_E10value_typeET4_jRbjT5_S1E_jjP12ihipStream_tbEUljE_ZNSN_ISO_Lb0ESQ_SR_ST_SU_SY_EESZ_S10_S11_S12_S16_S17_S18_S1B_S1C_jS1D_jS1E_S1E_jjS1G_bEUljE0_EEESZ_S10_S11_S18_S1C_S1E_T6_T7_T9_mT8_S1G_bDpT10_ENKUlT_T0_E_clISt17integral_constantIbLb1EES1U_EEDaS1P_S1Q_EUlS1P_E_NS1_11comp_targetILNS1_3genE4ELNS1_11target_archE910ELNS1_3gpuE8ELNS1_3repE0EEENS1_30default_config_static_selectorELNS0_4arch9wavefront6targetE0EEEvS12_
; %bb.0:
	.section	.rodata,"a",@progbits
	.p2align	6, 0x0
	.amdhsa_kernel _ZN7rocprim17ROCPRIM_400000_NS6detail17trampoline_kernelINS0_13select_configILj256ELj13ELNS0_17block_load_methodE3ELS4_3ELS4_3ELNS0_20block_scan_algorithmE0ELj4294967295EEENS1_25partition_config_selectorILNS1_17partition_subalgoE4EjNS0_10empty_typeEbEEZZNS1_14partition_implILS8_4ELb0ES6_15HIP_vector_typeIjLj2EENS0_17counting_iteratorIjlEEPS9_SG_NS0_5tupleIJPjSI_NS0_16reverse_iteratorISI_EEEEENSH_IJSG_SG_SG_EEES9_SI_JZNS1_25segmented_radix_sort_implINS0_14default_configELb0EPKsPsPKlPlN2at6native12_GLOBAL__N_18offset_tEEE10hipError_tPvRmT1_PNSt15iterator_traitsIS12_E10value_typeET2_T3_PNS13_IS18_E10value_typeET4_jRbjT5_S1E_jjP12ihipStream_tbEUljE_ZNSN_ISO_Lb0ESQ_SR_ST_SU_SY_EESZ_S10_S11_S12_S16_S17_S18_S1B_S1C_jS1D_jS1E_S1E_jjS1G_bEUljE0_EEESZ_S10_S11_S18_S1C_S1E_T6_T7_T9_mT8_S1G_bDpT10_ENKUlT_T0_E_clISt17integral_constantIbLb1EES1U_EEDaS1P_S1Q_EUlS1P_E_NS1_11comp_targetILNS1_3genE4ELNS1_11target_archE910ELNS1_3gpuE8ELNS1_3repE0EEENS1_30default_config_static_selectorELNS0_4arch9wavefront6targetE0EEEvS12_
		.amdhsa_group_segment_fixed_size 0
		.amdhsa_private_segment_fixed_size 0
		.amdhsa_kernarg_size 184
		.amdhsa_user_sgpr_count 2
		.amdhsa_user_sgpr_dispatch_ptr 0
		.amdhsa_user_sgpr_queue_ptr 0
		.amdhsa_user_sgpr_kernarg_segment_ptr 1
		.amdhsa_user_sgpr_dispatch_id 0
		.amdhsa_user_sgpr_private_segment_size 0
		.amdhsa_wavefront_size32 1
		.amdhsa_uses_dynamic_stack 0
		.amdhsa_enable_private_segment 0
		.amdhsa_system_sgpr_workgroup_id_x 1
		.amdhsa_system_sgpr_workgroup_id_y 0
		.amdhsa_system_sgpr_workgroup_id_z 0
		.amdhsa_system_sgpr_workgroup_info 0
		.amdhsa_system_vgpr_workitem_id 0
		.amdhsa_next_free_vgpr 1
		.amdhsa_next_free_sgpr 1
		.amdhsa_reserve_vcc 0
		.amdhsa_float_round_mode_32 0
		.amdhsa_float_round_mode_16_64 0
		.amdhsa_float_denorm_mode_32 3
		.amdhsa_float_denorm_mode_16_64 3
		.amdhsa_fp16_overflow 0
		.amdhsa_workgroup_processor_mode 1
		.amdhsa_memory_ordered 1
		.amdhsa_forward_progress 1
		.amdhsa_inst_pref_size 0
		.amdhsa_round_robin_scheduling 0
		.amdhsa_exception_fp_ieee_invalid_op 0
		.amdhsa_exception_fp_denorm_src 0
		.amdhsa_exception_fp_ieee_div_zero 0
		.amdhsa_exception_fp_ieee_overflow 0
		.amdhsa_exception_fp_ieee_underflow 0
		.amdhsa_exception_fp_ieee_inexact 0
		.amdhsa_exception_int_div_zero 0
	.end_amdhsa_kernel
	.section	.text._ZN7rocprim17ROCPRIM_400000_NS6detail17trampoline_kernelINS0_13select_configILj256ELj13ELNS0_17block_load_methodE3ELS4_3ELS4_3ELNS0_20block_scan_algorithmE0ELj4294967295EEENS1_25partition_config_selectorILNS1_17partition_subalgoE4EjNS0_10empty_typeEbEEZZNS1_14partition_implILS8_4ELb0ES6_15HIP_vector_typeIjLj2EENS0_17counting_iteratorIjlEEPS9_SG_NS0_5tupleIJPjSI_NS0_16reverse_iteratorISI_EEEEENSH_IJSG_SG_SG_EEES9_SI_JZNS1_25segmented_radix_sort_implINS0_14default_configELb0EPKsPsPKlPlN2at6native12_GLOBAL__N_18offset_tEEE10hipError_tPvRmT1_PNSt15iterator_traitsIS12_E10value_typeET2_T3_PNS13_IS18_E10value_typeET4_jRbjT5_S1E_jjP12ihipStream_tbEUljE_ZNSN_ISO_Lb0ESQ_SR_ST_SU_SY_EESZ_S10_S11_S12_S16_S17_S18_S1B_S1C_jS1D_jS1E_S1E_jjS1G_bEUljE0_EEESZ_S10_S11_S18_S1C_S1E_T6_T7_T9_mT8_S1G_bDpT10_ENKUlT_T0_E_clISt17integral_constantIbLb1EES1U_EEDaS1P_S1Q_EUlS1P_E_NS1_11comp_targetILNS1_3genE4ELNS1_11target_archE910ELNS1_3gpuE8ELNS1_3repE0EEENS1_30default_config_static_selectorELNS0_4arch9wavefront6targetE0EEEvS12_,"axG",@progbits,_ZN7rocprim17ROCPRIM_400000_NS6detail17trampoline_kernelINS0_13select_configILj256ELj13ELNS0_17block_load_methodE3ELS4_3ELS4_3ELNS0_20block_scan_algorithmE0ELj4294967295EEENS1_25partition_config_selectorILNS1_17partition_subalgoE4EjNS0_10empty_typeEbEEZZNS1_14partition_implILS8_4ELb0ES6_15HIP_vector_typeIjLj2EENS0_17counting_iteratorIjlEEPS9_SG_NS0_5tupleIJPjSI_NS0_16reverse_iteratorISI_EEEEENSH_IJSG_SG_SG_EEES9_SI_JZNS1_25segmented_radix_sort_implINS0_14default_configELb0EPKsPsPKlPlN2at6native12_GLOBAL__N_18offset_tEEE10hipError_tPvRmT1_PNSt15iterator_traitsIS12_E10value_typeET2_T3_PNS13_IS18_E10value_typeET4_jRbjT5_S1E_jjP12ihipStream_tbEUljE_ZNSN_ISO_Lb0ESQ_SR_ST_SU_SY_EESZ_S10_S11_S12_S16_S17_S18_S1B_S1C_jS1D_jS1E_S1E_jjS1G_bEUljE0_EEESZ_S10_S11_S18_S1C_S1E_T6_T7_T9_mT8_S1G_bDpT10_ENKUlT_T0_E_clISt17integral_constantIbLb1EES1U_EEDaS1P_S1Q_EUlS1P_E_NS1_11comp_targetILNS1_3genE4ELNS1_11target_archE910ELNS1_3gpuE8ELNS1_3repE0EEENS1_30default_config_static_selectorELNS0_4arch9wavefront6targetE0EEEvS12_,comdat
.Lfunc_end960:
	.size	_ZN7rocprim17ROCPRIM_400000_NS6detail17trampoline_kernelINS0_13select_configILj256ELj13ELNS0_17block_load_methodE3ELS4_3ELS4_3ELNS0_20block_scan_algorithmE0ELj4294967295EEENS1_25partition_config_selectorILNS1_17partition_subalgoE4EjNS0_10empty_typeEbEEZZNS1_14partition_implILS8_4ELb0ES6_15HIP_vector_typeIjLj2EENS0_17counting_iteratorIjlEEPS9_SG_NS0_5tupleIJPjSI_NS0_16reverse_iteratorISI_EEEEENSH_IJSG_SG_SG_EEES9_SI_JZNS1_25segmented_radix_sort_implINS0_14default_configELb0EPKsPsPKlPlN2at6native12_GLOBAL__N_18offset_tEEE10hipError_tPvRmT1_PNSt15iterator_traitsIS12_E10value_typeET2_T3_PNS13_IS18_E10value_typeET4_jRbjT5_S1E_jjP12ihipStream_tbEUljE_ZNSN_ISO_Lb0ESQ_SR_ST_SU_SY_EESZ_S10_S11_S12_S16_S17_S18_S1B_S1C_jS1D_jS1E_S1E_jjS1G_bEUljE0_EEESZ_S10_S11_S18_S1C_S1E_T6_T7_T9_mT8_S1G_bDpT10_ENKUlT_T0_E_clISt17integral_constantIbLb1EES1U_EEDaS1P_S1Q_EUlS1P_E_NS1_11comp_targetILNS1_3genE4ELNS1_11target_archE910ELNS1_3gpuE8ELNS1_3repE0EEENS1_30default_config_static_selectorELNS0_4arch9wavefront6targetE0EEEvS12_, .Lfunc_end960-_ZN7rocprim17ROCPRIM_400000_NS6detail17trampoline_kernelINS0_13select_configILj256ELj13ELNS0_17block_load_methodE3ELS4_3ELS4_3ELNS0_20block_scan_algorithmE0ELj4294967295EEENS1_25partition_config_selectorILNS1_17partition_subalgoE4EjNS0_10empty_typeEbEEZZNS1_14partition_implILS8_4ELb0ES6_15HIP_vector_typeIjLj2EENS0_17counting_iteratorIjlEEPS9_SG_NS0_5tupleIJPjSI_NS0_16reverse_iteratorISI_EEEEENSH_IJSG_SG_SG_EEES9_SI_JZNS1_25segmented_radix_sort_implINS0_14default_configELb0EPKsPsPKlPlN2at6native12_GLOBAL__N_18offset_tEEE10hipError_tPvRmT1_PNSt15iterator_traitsIS12_E10value_typeET2_T3_PNS13_IS18_E10value_typeET4_jRbjT5_S1E_jjP12ihipStream_tbEUljE_ZNSN_ISO_Lb0ESQ_SR_ST_SU_SY_EESZ_S10_S11_S12_S16_S17_S18_S1B_S1C_jS1D_jS1E_S1E_jjS1G_bEUljE0_EEESZ_S10_S11_S18_S1C_S1E_T6_T7_T9_mT8_S1G_bDpT10_ENKUlT_T0_E_clISt17integral_constantIbLb1EES1U_EEDaS1P_S1Q_EUlS1P_E_NS1_11comp_targetILNS1_3genE4ELNS1_11target_archE910ELNS1_3gpuE8ELNS1_3repE0EEENS1_30default_config_static_selectorELNS0_4arch9wavefront6targetE0EEEvS12_
                                        ; -- End function
	.set _ZN7rocprim17ROCPRIM_400000_NS6detail17trampoline_kernelINS0_13select_configILj256ELj13ELNS0_17block_load_methodE3ELS4_3ELS4_3ELNS0_20block_scan_algorithmE0ELj4294967295EEENS1_25partition_config_selectorILNS1_17partition_subalgoE4EjNS0_10empty_typeEbEEZZNS1_14partition_implILS8_4ELb0ES6_15HIP_vector_typeIjLj2EENS0_17counting_iteratorIjlEEPS9_SG_NS0_5tupleIJPjSI_NS0_16reverse_iteratorISI_EEEEENSH_IJSG_SG_SG_EEES9_SI_JZNS1_25segmented_radix_sort_implINS0_14default_configELb0EPKsPsPKlPlN2at6native12_GLOBAL__N_18offset_tEEE10hipError_tPvRmT1_PNSt15iterator_traitsIS12_E10value_typeET2_T3_PNS13_IS18_E10value_typeET4_jRbjT5_S1E_jjP12ihipStream_tbEUljE_ZNSN_ISO_Lb0ESQ_SR_ST_SU_SY_EESZ_S10_S11_S12_S16_S17_S18_S1B_S1C_jS1D_jS1E_S1E_jjS1G_bEUljE0_EEESZ_S10_S11_S18_S1C_S1E_T6_T7_T9_mT8_S1G_bDpT10_ENKUlT_T0_E_clISt17integral_constantIbLb1EES1U_EEDaS1P_S1Q_EUlS1P_E_NS1_11comp_targetILNS1_3genE4ELNS1_11target_archE910ELNS1_3gpuE8ELNS1_3repE0EEENS1_30default_config_static_selectorELNS0_4arch9wavefront6targetE0EEEvS12_.num_vgpr, 0
	.set _ZN7rocprim17ROCPRIM_400000_NS6detail17trampoline_kernelINS0_13select_configILj256ELj13ELNS0_17block_load_methodE3ELS4_3ELS4_3ELNS0_20block_scan_algorithmE0ELj4294967295EEENS1_25partition_config_selectorILNS1_17partition_subalgoE4EjNS0_10empty_typeEbEEZZNS1_14partition_implILS8_4ELb0ES6_15HIP_vector_typeIjLj2EENS0_17counting_iteratorIjlEEPS9_SG_NS0_5tupleIJPjSI_NS0_16reverse_iteratorISI_EEEEENSH_IJSG_SG_SG_EEES9_SI_JZNS1_25segmented_radix_sort_implINS0_14default_configELb0EPKsPsPKlPlN2at6native12_GLOBAL__N_18offset_tEEE10hipError_tPvRmT1_PNSt15iterator_traitsIS12_E10value_typeET2_T3_PNS13_IS18_E10value_typeET4_jRbjT5_S1E_jjP12ihipStream_tbEUljE_ZNSN_ISO_Lb0ESQ_SR_ST_SU_SY_EESZ_S10_S11_S12_S16_S17_S18_S1B_S1C_jS1D_jS1E_S1E_jjS1G_bEUljE0_EEESZ_S10_S11_S18_S1C_S1E_T6_T7_T9_mT8_S1G_bDpT10_ENKUlT_T0_E_clISt17integral_constantIbLb1EES1U_EEDaS1P_S1Q_EUlS1P_E_NS1_11comp_targetILNS1_3genE4ELNS1_11target_archE910ELNS1_3gpuE8ELNS1_3repE0EEENS1_30default_config_static_selectorELNS0_4arch9wavefront6targetE0EEEvS12_.num_agpr, 0
	.set _ZN7rocprim17ROCPRIM_400000_NS6detail17trampoline_kernelINS0_13select_configILj256ELj13ELNS0_17block_load_methodE3ELS4_3ELS4_3ELNS0_20block_scan_algorithmE0ELj4294967295EEENS1_25partition_config_selectorILNS1_17partition_subalgoE4EjNS0_10empty_typeEbEEZZNS1_14partition_implILS8_4ELb0ES6_15HIP_vector_typeIjLj2EENS0_17counting_iteratorIjlEEPS9_SG_NS0_5tupleIJPjSI_NS0_16reverse_iteratorISI_EEEEENSH_IJSG_SG_SG_EEES9_SI_JZNS1_25segmented_radix_sort_implINS0_14default_configELb0EPKsPsPKlPlN2at6native12_GLOBAL__N_18offset_tEEE10hipError_tPvRmT1_PNSt15iterator_traitsIS12_E10value_typeET2_T3_PNS13_IS18_E10value_typeET4_jRbjT5_S1E_jjP12ihipStream_tbEUljE_ZNSN_ISO_Lb0ESQ_SR_ST_SU_SY_EESZ_S10_S11_S12_S16_S17_S18_S1B_S1C_jS1D_jS1E_S1E_jjS1G_bEUljE0_EEESZ_S10_S11_S18_S1C_S1E_T6_T7_T9_mT8_S1G_bDpT10_ENKUlT_T0_E_clISt17integral_constantIbLb1EES1U_EEDaS1P_S1Q_EUlS1P_E_NS1_11comp_targetILNS1_3genE4ELNS1_11target_archE910ELNS1_3gpuE8ELNS1_3repE0EEENS1_30default_config_static_selectorELNS0_4arch9wavefront6targetE0EEEvS12_.numbered_sgpr, 0
	.set _ZN7rocprim17ROCPRIM_400000_NS6detail17trampoline_kernelINS0_13select_configILj256ELj13ELNS0_17block_load_methodE3ELS4_3ELS4_3ELNS0_20block_scan_algorithmE0ELj4294967295EEENS1_25partition_config_selectorILNS1_17partition_subalgoE4EjNS0_10empty_typeEbEEZZNS1_14partition_implILS8_4ELb0ES6_15HIP_vector_typeIjLj2EENS0_17counting_iteratorIjlEEPS9_SG_NS0_5tupleIJPjSI_NS0_16reverse_iteratorISI_EEEEENSH_IJSG_SG_SG_EEES9_SI_JZNS1_25segmented_radix_sort_implINS0_14default_configELb0EPKsPsPKlPlN2at6native12_GLOBAL__N_18offset_tEEE10hipError_tPvRmT1_PNSt15iterator_traitsIS12_E10value_typeET2_T3_PNS13_IS18_E10value_typeET4_jRbjT5_S1E_jjP12ihipStream_tbEUljE_ZNSN_ISO_Lb0ESQ_SR_ST_SU_SY_EESZ_S10_S11_S12_S16_S17_S18_S1B_S1C_jS1D_jS1E_S1E_jjS1G_bEUljE0_EEESZ_S10_S11_S18_S1C_S1E_T6_T7_T9_mT8_S1G_bDpT10_ENKUlT_T0_E_clISt17integral_constantIbLb1EES1U_EEDaS1P_S1Q_EUlS1P_E_NS1_11comp_targetILNS1_3genE4ELNS1_11target_archE910ELNS1_3gpuE8ELNS1_3repE0EEENS1_30default_config_static_selectorELNS0_4arch9wavefront6targetE0EEEvS12_.num_named_barrier, 0
	.set _ZN7rocprim17ROCPRIM_400000_NS6detail17trampoline_kernelINS0_13select_configILj256ELj13ELNS0_17block_load_methodE3ELS4_3ELS4_3ELNS0_20block_scan_algorithmE0ELj4294967295EEENS1_25partition_config_selectorILNS1_17partition_subalgoE4EjNS0_10empty_typeEbEEZZNS1_14partition_implILS8_4ELb0ES6_15HIP_vector_typeIjLj2EENS0_17counting_iteratorIjlEEPS9_SG_NS0_5tupleIJPjSI_NS0_16reverse_iteratorISI_EEEEENSH_IJSG_SG_SG_EEES9_SI_JZNS1_25segmented_radix_sort_implINS0_14default_configELb0EPKsPsPKlPlN2at6native12_GLOBAL__N_18offset_tEEE10hipError_tPvRmT1_PNSt15iterator_traitsIS12_E10value_typeET2_T3_PNS13_IS18_E10value_typeET4_jRbjT5_S1E_jjP12ihipStream_tbEUljE_ZNSN_ISO_Lb0ESQ_SR_ST_SU_SY_EESZ_S10_S11_S12_S16_S17_S18_S1B_S1C_jS1D_jS1E_S1E_jjS1G_bEUljE0_EEESZ_S10_S11_S18_S1C_S1E_T6_T7_T9_mT8_S1G_bDpT10_ENKUlT_T0_E_clISt17integral_constantIbLb1EES1U_EEDaS1P_S1Q_EUlS1P_E_NS1_11comp_targetILNS1_3genE4ELNS1_11target_archE910ELNS1_3gpuE8ELNS1_3repE0EEENS1_30default_config_static_selectorELNS0_4arch9wavefront6targetE0EEEvS12_.private_seg_size, 0
	.set _ZN7rocprim17ROCPRIM_400000_NS6detail17trampoline_kernelINS0_13select_configILj256ELj13ELNS0_17block_load_methodE3ELS4_3ELS4_3ELNS0_20block_scan_algorithmE0ELj4294967295EEENS1_25partition_config_selectorILNS1_17partition_subalgoE4EjNS0_10empty_typeEbEEZZNS1_14partition_implILS8_4ELb0ES6_15HIP_vector_typeIjLj2EENS0_17counting_iteratorIjlEEPS9_SG_NS0_5tupleIJPjSI_NS0_16reverse_iteratorISI_EEEEENSH_IJSG_SG_SG_EEES9_SI_JZNS1_25segmented_radix_sort_implINS0_14default_configELb0EPKsPsPKlPlN2at6native12_GLOBAL__N_18offset_tEEE10hipError_tPvRmT1_PNSt15iterator_traitsIS12_E10value_typeET2_T3_PNS13_IS18_E10value_typeET4_jRbjT5_S1E_jjP12ihipStream_tbEUljE_ZNSN_ISO_Lb0ESQ_SR_ST_SU_SY_EESZ_S10_S11_S12_S16_S17_S18_S1B_S1C_jS1D_jS1E_S1E_jjS1G_bEUljE0_EEESZ_S10_S11_S18_S1C_S1E_T6_T7_T9_mT8_S1G_bDpT10_ENKUlT_T0_E_clISt17integral_constantIbLb1EES1U_EEDaS1P_S1Q_EUlS1P_E_NS1_11comp_targetILNS1_3genE4ELNS1_11target_archE910ELNS1_3gpuE8ELNS1_3repE0EEENS1_30default_config_static_selectorELNS0_4arch9wavefront6targetE0EEEvS12_.uses_vcc, 0
	.set _ZN7rocprim17ROCPRIM_400000_NS6detail17trampoline_kernelINS0_13select_configILj256ELj13ELNS0_17block_load_methodE3ELS4_3ELS4_3ELNS0_20block_scan_algorithmE0ELj4294967295EEENS1_25partition_config_selectorILNS1_17partition_subalgoE4EjNS0_10empty_typeEbEEZZNS1_14partition_implILS8_4ELb0ES6_15HIP_vector_typeIjLj2EENS0_17counting_iteratorIjlEEPS9_SG_NS0_5tupleIJPjSI_NS0_16reverse_iteratorISI_EEEEENSH_IJSG_SG_SG_EEES9_SI_JZNS1_25segmented_radix_sort_implINS0_14default_configELb0EPKsPsPKlPlN2at6native12_GLOBAL__N_18offset_tEEE10hipError_tPvRmT1_PNSt15iterator_traitsIS12_E10value_typeET2_T3_PNS13_IS18_E10value_typeET4_jRbjT5_S1E_jjP12ihipStream_tbEUljE_ZNSN_ISO_Lb0ESQ_SR_ST_SU_SY_EESZ_S10_S11_S12_S16_S17_S18_S1B_S1C_jS1D_jS1E_S1E_jjS1G_bEUljE0_EEESZ_S10_S11_S18_S1C_S1E_T6_T7_T9_mT8_S1G_bDpT10_ENKUlT_T0_E_clISt17integral_constantIbLb1EES1U_EEDaS1P_S1Q_EUlS1P_E_NS1_11comp_targetILNS1_3genE4ELNS1_11target_archE910ELNS1_3gpuE8ELNS1_3repE0EEENS1_30default_config_static_selectorELNS0_4arch9wavefront6targetE0EEEvS12_.uses_flat_scratch, 0
	.set _ZN7rocprim17ROCPRIM_400000_NS6detail17trampoline_kernelINS0_13select_configILj256ELj13ELNS0_17block_load_methodE3ELS4_3ELS4_3ELNS0_20block_scan_algorithmE0ELj4294967295EEENS1_25partition_config_selectorILNS1_17partition_subalgoE4EjNS0_10empty_typeEbEEZZNS1_14partition_implILS8_4ELb0ES6_15HIP_vector_typeIjLj2EENS0_17counting_iteratorIjlEEPS9_SG_NS0_5tupleIJPjSI_NS0_16reverse_iteratorISI_EEEEENSH_IJSG_SG_SG_EEES9_SI_JZNS1_25segmented_radix_sort_implINS0_14default_configELb0EPKsPsPKlPlN2at6native12_GLOBAL__N_18offset_tEEE10hipError_tPvRmT1_PNSt15iterator_traitsIS12_E10value_typeET2_T3_PNS13_IS18_E10value_typeET4_jRbjT5_S1E_jjP12ihipStream_tbEUljE_ZNSN_ISO_Lb0ESQ_SR_ST_SU_SY_EESZ_S10_S11_S12_S16_S17_S18_S1B_S1C_jS1D_jS1E_S1E_jjS1G_bEUljE0_EEESZ_S10_S11_S18_S1C_S1E_T6_T7_T9_mT8_S1G_bDpT10_ENKUlT_T0_E_clISt17integral_constantIbLb1EES1U_EEDaS1P_S1Q_EUlS1P_E_NS1_11comp_targetILNS1_3genE4ELNS1_11target_archE910ELNS1_3gpuE8ELNS1_3repE0EEENS1_30default_config_static_selectorELNS0_4arch9wavefront6targetE0EEEvS12_.has_dyn_sized_stack, 0
	.set _ZN7rocprim17ROCPRIM_400000_NS6detail17trampoline_kernelINS0_13select_configILj256ELj13ELNS0_17block_load_methodE3ELS4_3ELS4_3ELNS0_20block_scan_algorithmE0ELj4294967295EEENS1_25partition_config_selectorILNS1_17partition_subalgoE4EjNS0_10empty_typeEbEEZZNS1_14partition_implILS8_4ELb0ES6_15HIP_vector_typeIjLj2EENS0_17counting_iteratorIjlEEPS9_SG_NS0_5tupleIJPjSI_NS0_16reverse_iteratorISI_EEEEENSH_IJSG_SG_SG_EEES9_SI_JZNS1_25segmented_radix_sort_implINS0_14default_configELb0EPKsPsPKlPlN2at6native12_GLOBAL__N_18offset_tEEE10hipError_tPvRmT1_PNSt15iterator_traitsIS12_E10value_typeET2_T3_PNS13_IS18_E10value_typeET4_jRbjT5_S1E_jjP12ihipStream_tbEUljE_ZNSN_ISO_Lb0ESQ_SR_ST_SU_SY_EESZ_S10_S11_S12_S16_S17_S18_S1B_S1C_jS1D_jS1E_S1E_jjS1G_bEUljE0_EEESZ_S10_S11_S18_S1C_S1E_T6_T7_T9_mT8_S1G_bDpT10_ENKUlT_T0_E_clISt17integral_constantIbLb1EES1U_EEDaS1P_S1Q_EUlS1P_E_NS1_11comp_targetILNS1_3genE4ELNS1_11target_archE910ELNS1_3gpuE8ELNS1_3repE0EEENS1_30default_config_static_selectorELNS0_4arch9wavefront6targetE0EEEvS12_.has_recursion, 0
	.set _ZN7rocprim17ROCPRIM_400000_NS6detail17trampoline_kernelINS0_13select_configILj256ELj13ELNS0_17block_load_methodE3ELS4_3ELS4_3ELNS0_20block_scan_algorithmE0ELj4294967295EEENS1_25partition_config_selectorILNS1_17partition_subalgoE4EjNS0_10empty_typeEbEEZZNS1_14partition_implILS8_4ELb0ES6_15HIP_vector_typeIjLj2EENS0_17counting_iteratorIjlEEPS9_SG_NS0_5tupleIJPjSI_NS0_16reverse_iteratorISI_EEEEENSH_IJSG_SG_SG_EEES9_SI_JZNS1_25segmented_radix_sort_implINS0_14default_configELb0EPKsPsPKlPlN2at6native12_GLOBAL__N_18offset_tEEE10hipError_tPvRmT1_PNSt15iterator_traitsIS12_E10value_typeET2_T3_PNS13_IS18_E10value_typeET4_jRbjT5_S1E_jjP12ihipStream_tbEUljE_ZNSN_ISO_Lb0ESQ_SR_ST_SU_SY_EESZ_S10_S11_S12_S16_S17_S18_S1B_S1C_jS1D_jS1E_S1E_jjS1G_bEUljE0_EEESZ_S10_S11_S18_S1C_S1E_T6_T7_T9_mT8_S1G_bDpT10_ENKUlT_T0_E_clISt17integral_constantIbLb1EES1U_EEDaS1P_S1Q_EUlS1P_E_NS1_11comp_targetILNS1_3genE4ELNS1_11target_archE910ELNS1_3gpuE8ELNS1_3repE0EEENS1_30default_config_static_selectorELNS0_4arch9wavefront6targetE0EEEvS12_.has_indirect_call, 0
	.section	.AMDGPU.csdata,"",@progbits
; Kernel info:
; codeLenInByte = 0
; TotalNumSgprs: 0
; NumVgprs: 0
; ScratchSize: 0
; MemoryBound: 0
; FloatMode: 240
; IeeeMode: 1
; LDSByteSize: 0 bytes/workgroup (compile time only)
; SGPRBlocks: 0
; VGPRBlocks: 0
; NumSGPRsForWavesPerEU: 1
; NumVGPRsForWavesPerEU: 1
; Occupancy: 16
; WaveLimiterHint : 0
; COMPUTE_PGM_RSRC2:SCRATCH_EN: 0
; COMPUTE_PGM_RSRC2:USER_SGPR: 2
; COMPUTE_PGM_RSRC2:TRAP_HANDLER: 0
; COMPUTE_PGM_RSRC2:TGID_X_EN: 1
; COMPUTE_PGM_RSRC2:TGID_Y_EN: 0
; COMPUTE_PGM_RSRC2:TGID_Z_EN: 0
; COMPUTE_PGM_RSRC2:TIDIG_COMP_CNT: 0
	.section	.text._ZN7rocprim17ROCPRIM_400000_NS6detail17trampoline_kernelINS0_13select_configILj256ELj13ELNS0_17block_load_methodE3ELS4_3ELS4_3ELNS0_20block_scan_algorithmE0ELj4294967295EEENS1_25partition_config_selectorILNS1_17partition_subalgoE4EjNS0_10empty_typeEbEEZZNS1_14partition_implILS8_4ELb0ES6_15HIP_vector_typeIjLj2EENS0_17counting_iteratorIjlEEPS9_SG_NS0_5tupleIJPjSI_NS0_16reverse_iteratorISI_EEEEENSH_IJSG_SG_SG_EEES9_SI_JZNS1_25segmented_radix_sort_implINS0_14default_configELb0EPKsPsPKlPlN2at6native12_GLOBAL__N_18offset_tEEE10hipError_tPvRmT1_PNSt15iterator_traitsIS12_E10value_typeET2_T3_PNS13_IS18_E10value_typeET4_jRbjT5_S1E_jjP12ihipStream_tbEUljE_ZNSN_ISO_Lb0ESQ_SR_ST_SU_SY_EESZ_S10_S11_S12_S16_S17_S18_S1B_S1C_jS1D_jS1E_S1E_jjS1G_bEUljE0_EEESZ_S10_S11_S18_S1C_S1E_T6_T7_T9_mT8_S1G_bDpT10_ENKUlT_T0_E_clISt17integral_constantIbLb1EES1U_EEDaS1P_S1Q_EUlS1P_E_NS1_11comp_targetILNS1_3genE3ELNS1_11target_archE908ELNS1_3gpuE7ELNS1_3repE0EEENS1_30default_config_static_selectorELNS0_4arch9wavefront6targetE0EEEvS12_,"axG",@progbits,_ZN7rocprim17ROCPRIM_400000_NS6detail17trampoline_kernelINS0_13select_configILj256ELj13ELNS0_17block_load_methodE3ELS4_3ELS4_3ELNS0_20block_scan_algorithmE0ELj4294967295EEENS1_25partition_config_selectorILNS1_17partition_subalgoE4EjNS0_10empty_typeEbEEZZNS1_14partition_implILS8_4ELb0ES6_15HIP_vector_typeIjLj2EENS0_17counting_iteratorIjlEEPS9_SG_NS0_5tupleIJPjSI_NS0_16reverse_iteratorISI_EEEEENSH_IJSG_SG_SG_EEES9_SI_JZNS1_25segmented_radix_sort_implINS0_14default_configELb0EPKsPsPKlPlN2at6native12_GLOBAL__N_18offset_tEEE10hipError_tPvRmT1_PNSt15iterator_traitsIS12_E10value_typeET2_T3_PNS13_IS18_E10value_typeET4_jRbjT5_S1E_jjP12ihipStream_tbEUljE_ZNSN_ISO_Lb0ESQ_SR_ST_SU_SY_EESZ_S10_S11_S12_S16_S17_S18_S1B_S1C_jS1D_jS1E_S1E_jjS1G_bEUljE0_EEESZ_S10_S11_S18_S1C_S1E_T6_T7_T9_mT8_S1G_bDpT10_ENKUlT_T0_E_clISt17integral_constantIbLb1EES1U_EEDaS1P_S1Q_EUlS1P_E_NS1_11comp_targetILNS1_3genE3ELNS1_11target_archE908ELNS1_3gpuE7ELNS1_3repE0EEENS1_30default_config_static_selectorELNS0_4arch9wavefront6targetE0EEEvS12_,comdat
	.globl	_ZN7rocprim17ROCPRIM_400000_NS6detail17trampoline_kernelINS0_13select_configILj256ELj13ELNS0_17block_load_methodE3ELS4_3ELS4_3ELNS0_20block_scan_algorithmE0ELj4294967295EEENS1_25partition_config_selectorILNS1_17partition_subalgoE4EjNS0_10empty_typeEbEEZZNS1_14partition_implILS8_4ELb0ES6_15HIP_vector_typeIjLj2EENS0_17counting_iteratorIjlEEPS9_SG_NS0_5tupleIJPjSI_NS0_16reverse_iteratorISI_EEEEENSH_IJSG_SG_SG_EEES9_SI_JZNS1_25segmented_radix_sort_implINS0_14default_configELb0EPKsPsPKlPlN2at6native12_GLOBAL__N_18offset_tEEE10hipError_tPvRmT1_PNSt15iterator_traitsIS12_E10value_typeET2_T3_PNS13_IS18_E10value_typeET4_jRbjT5_S1E_jjP12ihipStream_tbEUljE_ZNSN_ISO_Lb0ESQ_SR_ST_SU_SY_EESZ_S10_S11_S12_S16_S17_S18_S1B_S1C_jS1D_jS1E_S1E_jjS1G_bEUljE0_EEESZ_S10_S11_S18_S1C_S1E_T6_T7_T9_mT8_S1G_bDpT10_ENKUlT_T0_E_clISt17integral_constantIbLb1EES1U_EEDaS1P_S1Q_EUlS1P_E_NS1_11comp_targetILNS1_3genE3ELNS1_11target_archE908ELNS1_3gpuE7ELNS1_3repE0EEENS1_30default_config_static_selectorELNS0_4arch9wavefront6targetE0EEEvS12_ ; -- Begin function _ZN7rocprim17ROCPRIM_400000_NS6detail17trampoline_kernelINS0_13select_configILj256ELj13ELNS0_17block_load_methodE3ELS4_3ELS4_3ELNS0_20block_scan_algorithmE0ELj4294967295EEENS1_25partition_config_selectorILNS1_17partition_subalgoE4EjNS0_10empty_typeEbEEZZNS1_14partition_implILS8_4ELb0ES6_15HIP_vector_typeIjLj2EENS0_17counting_iteratorIjlEEPS9_SG_NS0_5tupleIJPjSI_NS0_16reverse_iteratorISI_EEEEENSH_IJSG_SG_SG_EEES9_SI_JZNS1_25segmented_radix_sort_implINS0_14default_configELb0EPKsPsPKlPlN2at6native12_GLOBAL__N_18offset_tEEE10hipError_tPvRmT1_PNSt15iterator_traitsIS12_E10value_typeET2_T3_PNS13_IS18_E10value_typeET4_jRbjT5_S1E_jjP12ihipStream_tbEUljE_ZNSN_ISO_Lb0ESQ_SR_ST_SU_SY_EESZ_S10_S11_S12_S16_S17_S18_S1B_S1C_jS1D_jS1E_S1E_jjS1G_bEUljE0_EEESZ_S10_S11_S18_S1C_S1E_T6_T7_T9_mT8_S1G_bDpT10_ENKUlT_T0_E_clISt17integral_constantIbLb1EES1U_EEDaS1P_S1Q_EUlS1P_E_NS1_11comp_targetILNS1_3genE3ELNS1_11target_archE908ELNS1_3gpuE7ELNS1_3repE0EEENS1_30default_config_static_selectorELNS0_4arch9wavefront6targetE0EEEvS12_
	.p2align	8
	.type	_ZN7rocprim17ROCPRIM_400000_NS6detail17trampoline_kernelINS0_13select_configILj256ELj13ELNS0_17block_load_methodE3ELS4_3ELS4_3ELNS0_20block_scan_algorithmE0ELj4294967295EEENS1_25partition_config_selectorILNS1_17partition_subalgoE4EjNS0_10empty_typeEbEEZZNS1_14partition_implILS8_4ELb0ES6_15HIP_vector_typeIjLj2EENS0_17counting_iteratorIjlEEPS9_SG_NS0_5tupleIJPjSI_NS0_16reverse_iteratorISI_EEEEENSH_IJSG_SG_SG_EEES9_SI_JZNS1_25segmented_radix_sort_implINS0_14default_configELb0EPKsPsPKlPlN2at6native12_GLOBAL__N_18offset_tEEE10hipError_tPvRmT1_PNSt15iterator_traitsIS12_E10value_typeET2_T3_PNS13_IS18_E10value_typeET4_jRbjT5_S1E_jjP12ihipStream_tbEUljE_ZNSN_ISO_Lb0ESQ_SR_ST_SU_SY_EESZ_S10_S11_S12_S16_S17_S18_S1B_S1C_jS1D_jS1E_S1E_jjS1G_bEUljE0_EEESZ_S10_S11_S18_S1C_S1E_T6_T7_T9_mT8_S1G_bDpT10_ENKUlT_T0_E_clISt17integral_constantIbLb1EES1U_EEDaS1P_S1Q_EUlS1P_E_NS1_11comp_targetILNS1_3genE3ELNS1_11target_archE908ELNS1_3gpuE7ELNS1_3repE0EEENS1_30default_config_static_selectorELNS0_4arch9wavefront6targetE0EEEvS12_,@function
_ZN7rocprim17ROCPRIM_400000_NS6detail17trampoline_kernelINS0_13select_configILj256ELj13ELNS0_17block_load_methodE3ELS4_3ELS4_3ELNS0_20block_scan_algorithmE0ELj4294967295EEENS1_25partition_config_selectorILNS1_17partition_subalgoE4EjNS0_10empty_typeEbEEZZNS1_14partition_implILS8_4ELb0ES6_15HIP_vector_typeIjLj2EENS0_17counting_iteratorIjlEEPS9_SG_NS0_5tupleIJPjSI_NS0_16reverse_iteratorISI_EEEEENSH_IJSG_SG_SG_EEES9_SI_JZNS1_25segmented_radix_sort_implINS0_14default_configELb0EPKsPsPKlPlN2at6native12_GLOBAL__N_18offset_tEEE10hipError_tPvRmT1_PNSt15iterator_traitsIS12_E10value_typeET2_T3_PNS13_IS18_E10value_typeET4_jRbjT5_S1E_jjP12ihipStream_tbEUljE_ZNSN_ISO_Lb0ESQ_SR_ST_SU_SY_EESZ_S10_S11_S12_S16_S17_S18_S1B_S1C_jS1D_jS1E_S1E_jjS1G_bEUljE0_EEESZ_S10_S11_S18_S1C_S1E_T6_T7_T9_mT8_S1G_bDpT10_ENKUlT_T0_E_clISt17integral_constantIbLb1EES1U_EEDaS1P_S1Q_EUlS1P_E_NS1_11comp_targetILNS1_3genE3ELNS1_11target_archE908ELNS1_3gpuE7ELNS1_3repE0EEENS1_30default_config_static_selectorELNS0_4arch9wavefront6targetE0EEEvS12_: ; @_ZN7rocprim17ROCPRIM_400000_NS6detail17trampoline_kernelINS0_13select_configILj256ELj13ELNS0_17block_load_methodE3ELS4_3ELS4_3ELNS0_20block_scan_algorithmE0ELj4294967295EEENS1_25partition_config_selectorILNS1_17partition_subalgoE4EjNS0_10empty_typeEbEEZZNS1_14partition_implILS8_4ELb0ES6_15HIP_vector_typeIjLj2EENS0_17counting_iteratorIjlEEPS9_SG_NS0_5tupleIJPjSI_NS0_16reverse_iteratorISI_EEEEENSH_IJSG_SG_SG_EEES9_SI_JZNS1_25segmented_radix_sort_implINS0_14default_configELb0EPKsPsPKlPlN2at6native12_GLOBAL__N_18offset_tEEE10hipError_tPvRmT1_PNSt15iterator_traitsIS12_E10value_typeET2_T3_PNS13_IS18_E10value_typeET4_jRbjT5_S1E_jjP12ihipStream_tbEUljE_ZNSN_ISO_Lb0ESQ_SR_ST_SU_SY_EESZ_S10_S11_S12_S16_S17_S18_S1B_S1C_jS1D_jS1E_S1E_jjS1G_bEUljE0_EEESZ_S10_S11_S18_S1C_S1E_T6_T7_T9_mT8_S1G_bDpT10_ENKUlT_T0_E_clISt17integral_constantIbLb1EES1U_EEDaS1P_S1Q_EUlS1P_E_NS1_11comp_targetILNS1_3genE3ELNS1_11target_archE908ELNS1_3gpuE7ELNS1_3repE0EEENS1_30default_config_static_selectorELNS0_4arch9wavefront6targetE0EEEvS12_
; %bb.0:
	.section	.rodata,"a",@progbits
	.p2align	6, 0x0
	.amdhsa_kernel _ZN7rocprim17ROCPRIM_400000_NS6detail17trampoline_kernelINS0_13select_configILj256ELj13ELNS0_17block_load_methodE3ELS4_3ELS4_3ELNS0_20block_scan_algorithmE0ELj4294967295EEENS1_25partition_config_selectorILNS1_17partition_subalgoE4EjNS0_10empty_typeEbEEZZNS1_14partition_implILS8_4ELb0ES6_15HIP_vector_typeIjLj2EENS0_17counting_iteratorIjlEEPS9_SG_NS0_5tupleIJPjSI_NS0_16reverse_iteratorISI_EEEEENSH_IJSG_SG_SG_EEES9_SI_JZNS1_25segmented_radix_sort_implINS0_14default_configELb0EPKsPsPKlPlN2at6native12_GLOBAL__N_18offset_tEEE10hipError_tPvRmT1_PNSt15iterator_traitsIS12_E10value_typeET2_T3_PNS13_IS18_E10value_typeET4_jRbjT5_S1E_jjP12ihipStream_tbEUljE_ZNSN_ISO_Lb0ESQ_SR_ST_SU_SY_EESZ_S10_S11_S12_S16_S17_S18_S1B_S1C_jS1D_jS1E_S1E_jjS1G_bEUljE0_EEESZ_S10_S11_S18_S1C_S1E_T6_T7_T9_mT8_S1G_bDpT10_ENKUlT_T0_E_clISt17integral_constantIbLb1EES1U_EEDaS1P_S1Q_EUlS1P_E_NS1_11comp_targetILNS1_3genE3ELNS1_11target_archE908ELNS1_3gpuE7ELNS1_3repE0EEENS1_30default_config_static_selectorELNS0_4arch9wavefront6targetE0EEEvS12_
		.amdhsa_group_segment_fixed_size 0
		.amdhsa_private_segment_fixed_size 0
		.amdhsa_kernarg_size 184
		.amdhsa_user_sgpr_count 2
		.amdhsa_user_sgpr_dispatch_ptr 0
		.amdhsa_user_sgpr_queue_ptr 0
		.amdhsa_user_sgpr_kernarg_segment_ptr 1
		.amdhsa_user_sgpr_dispatch_id 0
		.amdhsa_user_sgpr_private_segment_size 0
		.amdhsa_wavefront_size32 1
		.amdhsa_uses_dynamic_stack 0
		.amdhsa_enable_private_segment 0
		.amdhsa_system_sgpr_workgroup_id_x 1
		.amdhsa_system_sgpr_workgroup_id_y 0
		.amdhsa_system_sgpr_workgroup_id_z 0
		.amdhsa_system_sgpr_workgroup_info 0
		.amdhsa_system_vgpr_workitem_id 0
		.amdhsa_next_free_vgpr 1
		.amdhsa_next_free_sgpr 1
		.amdhsa_reserve_vcc 0
		.amdhsa_float_round_mode_32 0
		.amdhsa_float_round_mode_16_64 0
		.amdhsa_float_denorm_mode_32 3
		.amdhsa_float_denorm_mode_16_64 3
		.amdhsa_fp16_overflow 0
		.amdhsa_workgroup_processor_mode 1
		.amdhsa_memory_ordered 1
		.amdhsa_forward_progress 1
		.amdhsa_inst_pref_size 0
		.amdhsa_round_robin_scheduling 0
		.amdhsa_exception_fp_ieee_invalid_op 0
		.amdhsa_exception_fp_denorm_src 0
		.amdhsa_exception_fp_ieee_div_zero 0
		.amdhsa_exception_fp_ieee_overflow 0
		.amdhsa_exception_fp_ieee_underflow 0
		.amdhsa_exception_fp_ieee_inexact 0
		.amdhsa_exception_int_div_zero 0
	.end_amdhsa_kernel
	.section	.text._ZN7rocprim17ROCPRIM_400000_NS6detail17trampoline_kernelINS0_13select_configILj256ELj13ELNS0_17block_load_methodE3ELS4_3ELS4_3ELNS0_20block_scan_algorithmE0ELj4294967295EEENS1_25partition_config_selectorILNS1_17partition_subalgoE4EjNS0_10empty_typeEbEEZZNS1_14partition_implILS8_4ELb0ES6_15HIP_vector_typeIjLj2EENS0_17counting_iteratorIjlEEPS9_SG_NS0_5tupleIJPjSI_NS0_16reverse_iteratorISI_EEEEENSH_IJSG_SG_SG_EEES9_SI_JZNS1_25segmented_radix_sort_implINS0_14default_configELb0EPKsPsPKlPlN2at6native12_GLOBAL__N_18offset_tEEE10hipError_tPvRmT1_PNSt15iterator_traitsIS12_E10value_typeET2_T3_PNS13_IS18_E10value_typeET4_jRbjT5_S1E_jjP12ihipStream_tbEUljE_ZNSN_ISO_Lb0ESQ_SR_ST_SU_SY_EESZ_S10_S11_S12_S16_S17_S18_S1B_S1C_jS1D_jS1E_S1E_jjS1G_bEUljE0_EEESZ_S10_S11_S18_S1C_S1E_T6_T7_T9_mT8_S1G_bDpT10_ENKUlT_T0_E_clISt17integral_constantIbLb1EES1U_EEDaS1P_S1Q_EUlS1P_E_NS1_11comp_targetILNS1_3genE3ELNS1_11target_archE908ELNS1_3gpuE7ELNS1_3repE0EEENS1_30default_config_static_selectorELNS0_4arch9wavefront6targetE0EEEvS12_,"axG",@progbits,_ZN7rocprim17ROCPRIM_400000_NS6detail17trampoline_kernelINS0_13select_configILj256ELj13ELNS0_17block_load_methodE3ELS4_3ELS4_3ELNS0_20block_scan_algorithmE0ELj4294967295EEENS1_25partition_config_selectorILNS1_17partition_subalgoE4EjNS0_10empty_typeEbEEZZNS1_14partition_implILS8_4ELb0ES6_15HIP_vector_typeIjLj2EENS0_17counting_iteratorIjlEEPS9_SG_NS0_5tupleIJPjSI_NS0_16reverse_iteratorISI_EEEEENSH_IJSG_SG_SG_EEES9_SI_JZNS1_25segmented_radix_sort_implINS0_14default_configELb0EPKsPsPKlPlN2at6native12_GLOBAL__N_18offset_tEEE10hipError_tPvRmT1_PNSt15iterator_traitsIS12_E10value_typeET2_T3_PNS13_IS18_E10value_typeET4_jRbjT5_S1E_jjP12ihipStream_tbEUljE_ZNSN_ISO_Lb0ESQ_SR_ST_SU_SY_EESZ_S10_S11_S12_S16_S17_S18_S1B_S1C_jS1D_jS1E_S1E_jjS1G_bEUljE0_EEESZ_S10_S11_S18_S1C_S1E_T6_T7_T9_mT8_S1G_bDpT10_ENKUlT_T0_E_clISt17integral_constantIbLb1EES1U_EEDaS1P_S1Q_EUlS1P_E_NS1_11comp_targetILNS1_3genE3ELNS1_11target_archE908ELNS1_3gpuE7ELNS1_3repE0EEENS1_30default_config_static_selectorELNS0_4arch9wavefront6targetE0EEEvS12_,comdat
.Lfunc_end961:
	.size	_ZN7rocprim17ROCPRIM_400000_NS6detail17trampoline_kernelINS0_13select_configILj256ELj13ELNS0_17block_load_methodE3ELS4_3ELS4_3ELNS0_20block_scan_algorithmE0ELj4294967295EEENS1_25partition_config_selectorILNS1_17partition_subalgoE4EjNS0_10empty_typeEbEEZZNS1_14partition_implILS8_4ELb0ES6_15HIP_vector_typeIjLj2EENS0_17counting_iteratorIjlEEPS9_SG_NS0_5tupleIJPjSI_NS0_16reverse_iteratorISI_EEEEENSH_IJSG_SG_SG_EEES9_SI_JZNS1_25segmented_radix_sort_implINS0_14default_configELb0EPKsPsPKlPlN2at6native12_GLOBAL__N_18offset_tEEE10hipError_tPvRmT1_PNSt15iterator_traitsIS12_E10value_typeET2_T3_PNS13_IS18_E10value_typeET4_jRbjT5_S1E_jjP12ihipStream_tbEUljE_ZNSN_ISO_Lb0ESQ_SR_ST_SU_SY_EESZ_S10_S11_S12_S16_S17_S18_S1B_S1C_jS1D_jS1E_S1E_jjS1G_bEUljE0_EEESZ_S10_S11_S18_S1C_S1E_T6_T7_T9_mT8_S1G_bDpT10_ENKUlT_T0_E_clISt17integral_constantIbLb1EES1U_EEDaS1P_S1Q_EUlS1P_E_NS1_11comp_targetILNS1_3genE3ELNS1_11target_archE908ELNS1_3gpuE7ELNS1_3repE0EEENS1_30default_config_static_selectorELNS0_4arch9wavefront6targetE0EEEvS12_, .Lfunc_end961-_ZN7rocprim17ROCPRIM_400000_NS6detail17trampoline_kernelINS0_13select_configILj256ELj13ELNS0_17block_load_methodE3ELS4_3ELS4_3ELNS0_20block_scan_algorithmE0ELj4294967295EEENS1_25partition_config_selectorILNS1_17partition_subalgoE4EjNS0_10empty_typeEbEEZZNS1_14partition_implILS8_4ELb0ES6_15HIP_vector_typeIjLj2EENS0_17counting_iteratorIjlEEPS9_SG_NS0_5tupleIJPjSI_NS0_16reverse_iteratorISI_EEEEENSH_IJSG_SG_SG_EEES9_SI_JZNS1_25segmented_radix_sort_implINS0_14default_configELb0EPKsPsPKlPlN2at6native12_GLOBAL__N_18offset_tEEE10hipError_tPvRmT1_PNSt15iterator_traitsIS12_E10value_typeET2_T3_PNS13_IS18_E10value_typeET4_jRbjT5_S1E_jjP12ihipStream_tbEUljE_ZNSN_ISO_Lb0ESQ_SR_ST_SU_SY_EESZ_S10_S11_S12_S16_S17_S18_S1B_S1C_jS1D_jS1E_S1E_jjS1G_bEUljE0_EEESZ_S10_S11_S18_S1C_S1E_T6_T7_T9_mT8_S1G_bDpT10_ENKUlT_T0_E_clISt17integral_constantIbLb1EES1U_EEDaS1P_S1Q_EUlS1P_E_NS1_11comp_targetILNS1_3genE3ELNS1_11target_archE908ELNS1_3gpuE7ELNS1_3repE0EEENS1_30default_config_static_selectorELNS0_4arch9wavefront6targetE0EEEvS12_
                                        ; -- End function
	.set _ZN7rocprim17ROCPRIM_400000_NS6detail17trampoline_kernelINS0_13select_configILj256ELj13ELNS0_17block_load_methodE3ELS4_3ELS4_3ELNS0_20block_scan_algorithmE0ELj4294967295EEENS1_25partition_config_selectorILNS1_17partition_subalgoE4EjNS0_10empty_typeEbEEZZNS1_14partition_implILS8_4ELb0ES6_15HIP_vector_typeIjLj2EENS0_17counting_iteratorIjlEEPS9_SG_NS0_5tupleIJPjSI_NS0_16reverse_iteratorISI_EEEEENSH_IJSG_SG_SG_EEES9_SI_JZNS1_25segmented_radix_sort_implINS0_14default_configELb0EPKsPsPKlPlN2at6native12_GLOBAL__N_18offset_tEEE10hipError_tPvRmT1_PNSt15iterator_traitsIS12_E10value_typeET2_T3_PNS13_IS18_E10value_typeET4_jRbjT5_S1E_jjP12ihipStream_tbEUljE_ZNSN_ISO_Lb0ESQ_SR_ST_SU_SY_EESZ_S10_S11_S12_S16_S17_S18_S1B_S1C_jS1D_jS1E_S1E_jjS1G_bEUljE0_EEESZ_S10_S11_S18_S1C_S1E_T6_T7_T9_mT8_S1G_bDpT10_ENKUlT_T0_E_clISt17integral_constantIbLb1EES1U_EEDaS1P_S1Q_EUlS1P_E_NS1_11comp_targetILNS1_3genE3ELNS1_11target_archE908ELNS1_3gpuE7ELNS1_3repE0EEENS1_30default_config_static_selectorELNS0_4arch9wavefront6targetE0EEEvS12_.num_vgpr, 0
	.set _ZN7rocprim17ROCPRIM_400000_NS6detail17trampoline_kernelINS0_13select_configILj256ELj13ELNS0_17block_load_methodE3ELS4_3ELS4_3ELNS0_20block_scan_algorithmE0ELj4294967295EEENS1_25partition_config_selectorILNS1_17partition_subalgoE4EjNS0_10empty_typeEbEEZZNS1_14partition_implILS8_4ELb0ES6_15HIP_vector_typeIjLj2EENS0_17counting_iteratorIjlEEPS9_SG_NS0_5tupleIJPjSI_NS0_16reverse_iteratorISI_EEEEENSH_IJSG_SG_SG_EEES9_SI_JZNS1_25segmented_radix_sort_implINS0_14default_configELb0EPKsPsPKlPlN2at6native12_GLOBAL__N_18offset_tEEE10hipError_tPvRmT1_PNSt15iterator_traitsIS12_E10value_typeET2_T3_PNS13_IS18_E10value_typeET4_jRbjT5_S1E_jjP12ihipStream_tbEUljE_ZNSN_ISO_Lb0ESQ_SR_ST_SU_SY_EESZ_S10_S11_S12_S16_S17_S18_S1B_S1C_jS1D_jS1E_S1E_jjS1G_bEUljE0_EEESZ_S10_S11_S18_S1C_S1E_T6_T7_T9_mT8_S1G_bDpT10_ENKUlT_T0_E_clISt17integral_constantIbLb1EES1U_EEDaS1P_S1Q_EUlS1P_E_NS1_11comp_targetILNS1_3genE3ELNS1_11target_archE908ELNS1_3gpuE7ELNS1_3repE0EEENS1_30default_config_static_selectorELNS0_4arch9wavefront6targetE0EEEvS12_.num_agpr, 0
	.set _ZN7rocprim17ROCPRIM_400000_NS6detail17trampoline_kernelINS0_13select_configILj256ELj13ELNS0_17block_load_methodE3ELS4_3ELS4_3ELNS0_20block_scan_algorithmE0ELj4294967295EEENS1_25partition_config_selectorILNS1_17partition_subalgoE4EjNS0_10empty_typeEbEEZZNS1_14partition_implILS8_4ELb0ES6_15HIP_vector_typeIjLj2EENS0_17counting_iteratorIjlEEPS9_SG_NS0_5tupleIJPjSI_NS0_16reverse_iteratorISI_EEEEENSH_IJSG_SG_SG_EEES9_SI_JZNS1_25segmented_radix_sort_implINS0_14default_configELb0EPKsPsPKlPlN2at6native12_GLOBAL__N_18offset_tEEE10hipError_tPvRmT1_PNSt15iterator_traitsIS12_E10value_typeET2_T3_PNS13_IS18_E10value_typeET4_jRbjT5_S1E_jjP12ihipStream_tbEUljE_ZNSN_ISO_Lb0ESQ_SR_ST_SU_SY_EESZ_S10_S11_S12_S16_S17_S18_S1B_S1C_jS1D_jS1E_S1E_jjS1G_bEUljE0_EEESZ_S10_S11_S18_S1C_S1E_T6_T7_T9_mT8_S1G_bDpT10_ENKUlT_T0_E_clISt17integral_constantIbLb1EES1U_EEDaS1P_S1Q_EUlS1P_E_NS1_11comp_targetILNS1_3genE3ELNS1_11target_archE908ELNS1_3gpuE7ELNS1_3repE0EEENS1_30default_config_static_selectorELNS0_4arch9wavefront6targetE0EEEvS12_.numbered_sgpr, 0
	.set _ZN7rocprim17ROCPRIM_400000_NS6detail17trampoline_kernelINS0_13select_configILj256ELj13ELNS0_17block_load_methodE3ELS4_3ELS4_3ELNS0_20block_scan_algorithmE0ELj4294967295EEENS1_25partition_config_selectorILNS1_17partition_subalgoE4EjNS0_10empty_typeEbEEZZNS1_14partition_implILS8_4ELb0ES6_15HIP_vector_typeIjLj2EENS0_17counting_iteratorIjlEEPS9_SG_NS0_5tupleIJPjSI_NS0_16reverse_iteratorISI_EEEEENSH_IJSG_SG_SG_EEES9_SI_JZNS1_25segmented_radix_sort_implINS0_14default_configELb0EPKsPsPKlPlN2at6native12_GLOBAL__N_18offset_tEEE10hipError_tPvRmT1_PNSt15iterator_traitsIS12_E10value_typeET2_T3_PNS13_IS18_E10value_typeET4_jRbjT5_S1E_jjP12ihipStream_tbEUljE_ZNSN_ISO_Lb0ESQ_SR_ST_SU_SY_EESZ_S10_S11_S12_S16_S17_S18_S1B_S1C_jS1D_jS1E_S1E_jjS1G_bEUljE0_EEESZ_S10_S11_S18_S1C_S1E_T6_T7_T9_mT8_S1G_bDpT10_ENKUlT_T0_E_clISt17integral_constantIbLb1EES1U_EEDaS1P_S1Q_EUlS1P_E_NS1_11comp_targetILNS1_3genE3ELNS1_11target_archE908ELNS1_3gpuE7ELNS1_3repE0EEENS1_30default_config_static_selectorELNS0_4arch9wavefront6targetE0EEEvS12_.num_named_barrier, 0
	.set _ZN7rocprim17ROCPRIM_400000_NS6detail17trampoline_kernelINS0_13select_configILj256ELj13ELNS0_17block_load_methodE3ELS4_3ELS4_3ELNS0_20block_scan_algorithmE0ELj4294967295EEENS1_25partition_config_selectorILNS1_17partition_subalgoE4EjNS0_10empty_typeEbEEZZNS1_14partition_implILS8_4ELb0ES6_15HIP_vector_typeIjLj2EENS0_17counting_iteratorIjlEEPS9_SG_NS0_5tupleIJPjSI_NS0_16reverse_iteratorISI_EEEEENSH_IJSG_SG_SG_EEES9_SI_JZNS1_25segmented_radix_sort_implINS0_14default_configELb0EPKsPsPKlPlN2at6native12_GLOBAL__N_18offset_tEEE10hipError_tPvRmT1_PNSt15iterator_traitsIS12_E10value_typeET2_T3_PNS13_IS18_E10value_typeET4_jRbjT5_S1E_jjP12ihipStream_tbEUljE_ZNSN_ISO_Lb0ESQ_SR_ST_SU_SY_EESZ_S10_S11_S12_S16_S17_S18_S1B_S1C_jS1D_jS1E_S1E_jjS1G_bEUljE0_EEESZ_S10_S11_S18_S1C_S1E_T6_T7_T9_mT8_S1G_bDpT10_ENKUlT_T0_E_clISt17integral_constantIbLb1EES1U_EEDaS1P_S1Q_EUlS1P_E_NS1_11comp_targetILNS1_3genE3ELNS1_11target_archE908ELNS1_3gpuE7ELNS1_3repE0EEENS1_30default_config_static_selectorELNS0_4arch9wavefront6targetE0EEEvS12_.private_seg_size, 0
	.set _ZN7rocprim17ROCPRIM_400000_NS6detail17trampoline_kernelINS0_13select_configILj256ELj13ELNS0_17block_load_methodE3ELS4_3ELS4_3ELNS0_20block_scan_algorithmE0ELj4294967295EEENS1_25partition_config_selectorILNS1_17partition_subalgoE4EjNS0_10empty_typeEbEEZZNS1_14partition_implILS8_4ELb0ES6_15HIP_vector_typeIjLj2EENS0_17counting_iteratorIjlEEPS9_SG_NS0_5tupleIJPjSI_NS0_16reverse_iteratorISI_EEEEENSH_IJSG_SG_SG_EEES9_SI_JZNS1_25segmented_radix_sort_implINS0_14default_configELb0EPKsPsPKlPlN2at6native12_GLOBAL__N_18offset_tEEE10hipError_tPvRmT1_PNSt15iterator_traitsIS12_E10value_typeET2_T3_PNS13_IS18_E10value_typeET4_jRbjT5_S1E_jjP12ihipStream_tbEUljE_ZNSN_ISO_Lb0ESQ_SR_ST_SU_SY_EESZ_S10_S11_S12_S16_S17_S18_S1B_S1C_jS1D_jS1E_S1E_jjS1G_bEUljE0_EEESZ_S10_S11_S18_S1C_S1E_T6_T7_T9_mT8_S1G_bDpT10_ENKUlT_T0_E_clISt17integral_constantIbLb1EES1U_EEDaS1P_S1Q_EUlS1P_E_NS1_11comp_targetILNS1_3genE3ELNS1_11target_archE908ELNS1_3gpuE7ELNS1_3repE0EEENS1_30default_config_static_selectorELNS0_4arch9wavefront6targetE0EEEvS12_.uses_vcc, 0
	.set _ZN7rocprim17ROCPRIM_400000_NS6detail17trampoline_kernelINS0_13select_configILj256ELj13ELNS0_17block_load_methodE3ELS4_3ELS4_3ELNS0_20block_scan_algorithmE0ELj4294967295EEENS1_25partition_config_selectorILNS1_17partition_subalgoE4EjNS0_10empty_typeEbEEZZNS1_14partition_implILS8_4ELb0ES6_15HIP_vector_typeIjLj2EENS0_17counting_iteratorIjlEEPS9_SG_NS0_5tupleIJPjSI_NS0_16reverse_iteratorISI_EEEEENSH_IJSG_SG_SG_EEES9_SI_JZNS1_25segmented_radix_sort_implINS0_14default_configELb0EPKsPsPKlPlN2at6native12_GLOBAL__N_18offset_tEEE10hipError_tPvRmT1_PNSt15iterator_traitsIS12_E10value_typeET2_T3_PNS13_IS18_E10value_typeET4_jRbjT5_S1E_jjP12ihipStream_tbEUljE_ZNSN_ISO_Lb0ESQ_SR_ST_SU_SY_EESZ_S10_S11_S12_S16_S17_S18_S1B_S1C_jS1D_jS1E_S1E_jjS1G_bEUljE0_EEESZ_S10_S11_S18_S1C_S1E_T6_T7_T9_mT8_S1G_bDpT10_ENKUlT_T0_E_clISt17integral_constantIbLb1EES1U_EEDaS1P_S1Q_EUlS1P_E_NS1_11comp_targetILNS1_3genE3ELNS1_11target_archE908ELNS1_3gpuE7ELNS1_3repE0EEENS1_30default_config_static_selectorELNS0_4arch9wavefront6targetE0EEEvS12_.uses_flat_scratch, 0
	.set _ZN7rocprim17ROCPRIM_400000_NS6detail17trampoline_kernelINS0_13select_configILj256ELj13ELNS0_17block_load_methodE3ELS4_3ELS4_3ELNS0_20block_scan_algorithmE0ELj4294967295EEENS1_25partition_config_selectorILNS1_17partition_subalgoE4EjNS0_10empty_typeEbEEZZNS1_14partition_implILS8_4ELb0ES6_15HIP_vector_typeIjLj2EENS0_17counting_iteratorIjlEEPS9_SG_NS0_5tupleIJPjSI_NS0_16reverse_iteratorISI_EEEEENSH_IJSG_SG_SG_EEES9_SI_JZNS1_25segmented_radix_sort_implINS0_14default_configELb0EPKsPsPKlPlN2at6native12_GLOBAL__N_18offset_tEEE10hipError_tPvRmT1_PNSt15iterator_traitsIS12_E10value_typeET2_T3_PNS13_IS18_E10value_typeET4_jRbjT5_S1E_jjP12ihipStream_tbEUljE_ZNSN_ISO_Lb0ESQ_SR_ST_SU_SY_EESZ_S10_S11_S12_S16_S17_S18_S1B_S1C_jS1D_jS1E_S1E_jjS1G_bEUljE0_EEESZ_S10_S11_S18_S1C_S1E_T6_T7_T9_mT8_S1G_bDpT10_ENKUlT_T0_E_clISt17integral_constantIbLb1EES1U_EEDaS1P_S1Q_EUlS1P_E_NS1_11comp_targetILNS1_3genE3ELNS1_11target_archE908ELNS1_3gpuE7ELNS1_3repE0EEENS1_30default_config_static_selectorELNS0_4arch9wavefront6targetE0EEEvS12_.has_dyn_sized_stack, 0
	.set _ZN7rocprim17ROCPRIM_400000_NS6detail17trampoline_kernelINS0_13select_configILj256ELj13ELNS0_17block_load_methodE3ELS4_3ELS4_3ELNS0_20block_scan_algorithmE0ELj4294967295EEENS1_25partition_config_selectorILNS1_17partition_subalgoE4EjNS0_10empty_typeEbEEZZNS1_14partition_implILS8_4ELb0ES6_15HIP_vector_typeIjLj2EENS0_17counting_iteratorIjlEEPS9_SG_NS0_5tupleIJPjSI_NS0_16reverse_iteratorISI_EEEEENSH_IJSG_SG_SG_EEES9_SI_JZNS1_25segmented_radix_sort_implINS0_14default_configELb0EPKsPsPKlPlN2at6native12_GLOBAL__N_18offset_tEEE10hipError_tPvRmT1_PNSt15iterator_traitsIS12_E10value_typeET2_T3_PNS13_IS18_E10value_typeET4_jRbjT5_S1E_jjP12ihipStream_tbEUljE_ZNSN_ISO_Lb0ESQ_SR_ST_SU_SY_EESZ_S10_S11_S12_S16_S17_S18_S1B_S1C_jS1D_jS1E_S1E_jjS1G_bEUljE0_EEESZ_S10_S11_S18_S1C_S1E_T6_T7_T9_mT8_S1G_bDpT10_ENKUlT_T0_E_clISt17integral_constantIbLb1EES1U_EEDaS1P_S1Q_EUlS1P_E_NS1_11comp_targetILNS1_3genE3ELNS1_11target_archE908ELNS1_3gpuE7ELNS1_3repE0EEENS1_30default_config_static_selectorELNS0_4arch9wavefront6targetE0EEEvS12_.has_recursion, 0
	.set _ZN7rocprim17ROCPRIM_400000_NS6detail17trampoline_kernelINS0_13select_configILj256ELj13ELNS0_17block_load_methodE3ELS4_3ELS4_3ELNS0_20block_scan_algorithmE0ELj4294967295EEENS1_25partition_config_selectorILNS1_17partition_subalgoE4EjNS0_10empty_typeEbEEZZNS1_14partition_implILS8_4ELb0ES6_15HIP_vector_typeIjLj2EENS0_17counting_iteratorIjlEEPS9_SG_NS0_5tupleIJPjSI_NS0_16reverse_iteratorISI_EEEEENSH_IJSG_SG_SG_EEES9_SI_JZNS1_25segmented_radix_sort_implINS0_14default_configELb0EPKsPsPKlPlN2at6native12_GLOBAL__N_18offset_tEEE10hipError_tPvRmT1_PNSt15iterator_traitsIS12_E10value_typeET2_T3_PNS13_IS18_E10value_typeET4_jRbjT5_S1E_jjP12ihipStream_tbEUljE_ZNSN_ISO_Lb0ESQ_SR_ST_SU_SY_EESZ_S10_S11_S12_S16_S17_S18_S1B_S1C_jS1D_jS1E_S1E_jjS1G_bEUljE0_EEESZ_S10_S11_S18_S1C_S1E_T6_T7_T9_mT8_S1G_bDpT10_ENKUlT_T0_E_clISt17integral_constantIbLb1EES1U_EEDaS1P_S1Q_EUlS1P_E_NS1_11comp_targetILNS1_3genE3ELNS1_11target_archE908ELNS1_3gpuE7ELNS1_3repE0EEENS1_30default_config_static_selectorELNS0_4arch9wavefront6targetE0EEEvS12_.has_indirect_call, 0
	.section	.AMDGPU.csdata,"",@progbits
; Kernel info:
; codeLenInByte = 0
; TotalNumSgprs: 0
; NumVgprs: 0
; ScratchSize: 0
; MemoryBound: 0
; FloatMode: 240
; IeeeMode: 1
; LDSByteSize: 0 bytes/workgroup (compile time only)
; SGPRBlocks: 0
; VGPRBlocks: 0
; NumSGPRsForWavesPerEU: 1
; NumVGPRsForWavesPerEU: 1
; Occupancy: 16
; WaveLimiterHint : 0
; COMPUTE_PGM_RSRC2:SCRATCH_EN: 0
; COMPUTE_PGM_RSRC2:USER_SGPR: 2
; COMPUTE_PGM_RSRC2:TRAP_HANDLER: 0
; COMPUTE_PGM_RSRC2:TGID_X_EN: 1
; COMPUTE_PGM_RSRC2:TGID_Y_EN: 0
; COMPUTE_PGM_RSRC2:TGID_Z_EN: 0
; COMPUTE_PGM_RSRC2:TIDIG_COMP_CNT: 0
	.section	.text._ZN7rocprim17ROCPRIM_400000_NS6detail17trampoline_kernelINS0_13select_configILj256ELj13ELNS0_17block_load_methodE3ELS4_3ELS4_3ELNS0_20block_scan_algorithmE0ELj4294967295EEENS1_25partition_config_selectorILNS1_17partition_subalgoE4EjNS0_10empty_typeEbEEZZNS1_14partition_implILS8_4ELb0ES6_15HIP_vector_typeIjLj2EENS0_17counting_iteratorIjlEEPS9_SG_NS0_5tupleIJPjSI_NS0_16reverse_iteratorISI_EEEEENSH_IJSG_SG_SG_EEES9_SI_JZNS1_25segmented_radix_sort_implINS0_14default_configELb0EPKsPsPKlPlN2at6native12_GLOBAL__N_18offset_tEEE10hipError_tPvRmT1_PNSt15iterator_traitsIS12_E10value_typeET2_T3_PNS13_IS18_E10value_typeET4_jRbjT5_S1E_jjP12ihipStream_tbEUljE_ZNSN_ISO_Lb0ESQ_SR_ST_SU_SY_EESZ_S10_S11_S12_S16_S17_S18_S1B_S1C_jS1D_jS1E_S1E_jjS1G_bEUljE0_EEESZ_S10_S11_S18_S1C_S1E_T6_T7_T9_mT8_S1G_bDpT10_ENKUlT_T0_E_clISt17integral_constantIbLb1EES1U_EEDaS1P_S1Q_EUlS1P_E_NS1_11comp_targetILNS1_3genE2ELNS1_11target_archE906ELNS1_3gpuE6ELNS1_3repE0EEENS1_30default_config_static_selectorELNS0_4arch9wavefront6targetE0EEEvS12_,"axG",@progbits,_ZN7rocprim17ROCPRIM_400000_NS6detail17trampoline_kernelINS0_13select_configILj256ELj13ELNS0_17block_load_methodE3ELS4_3ELS4_3ELNS0_20block_scan_algorithmE0ELj4294967295EEENS1_25partition_config_selectorILNS1_17partition_subalgoE4EjNS0_10empty_typeEbEEZZNS1_14partition_implILS8_4ELb0ES6_15HIP_vector_typeIjLj2EENS0_17counting_iteratorIjlEEPS9_SG_NS0_5tupleIJPjSI_NS0_16reverse_iteratorISI_EEEEENSH_IJSG_SG_SG_EEES9_SI_JZNS1_25segmented_radix_sort_implINS0_14default_configELb0EPKsPsPKlPlN2at6native12_GLOBAL__N_18offset_tEEE10hipError_tPvRmT1_PNSt15iterator_traitsIS12_E10value_typeET2_T3_PNS13_IS18_E10value_typeET4_jRbjT5_S1E_jjP12ihipStream_tbEUljE_ZNSN_ISO_Lb0ESQ_SR_ST_SU_SY_EESZ_S10_S11_S12_S16_S17_S18_S1B_S1C_jS1D_jS1E_S1E_jjS1G_bEUljE0_EEESZ_S10_S11_S18_S1C_S1E_T6_T7_T9_mT8_S1G_bDpT10_ENKUlT_T0_E_clISt17integral_constantIbLb1EES1U_EEDaS1P_S1Q_EUlS1P_E_NS1_11comp_targetILNS1_3genE2ELNS1_11target_archE906ELNS1_3gpuE6ELNS1_3repE0EEENS1_30default_config_static_selectorELNS0_4arch9wavefront6targetE0EEEvS12_,comdat
	.globl	_ZN7rocprim17ROCPRIM_400000_NS6detail17trampoline_kernelINS0_13select_configILj256ELj13ELNS0_17block_load_methodE3ELS4_3ELS4_3ELNS0_20block_scan_algorithmE0ELj4294967295EEENS1_25partition_config_selectorILNS1_17partition_subalgoE4EjNS0_10empty_typeEbEEZZNS1_14partition_implILS8_4ELb0ES6_15HIP_vector_typeIjLj2EENS0_17counting_iteratorIjlEEPS9_SG_NS0_5tupleIJPjSI_NS0_16reverse_iteratorISI_EEEEENSH_IJSG_SG_SG_EEES9_SI_JZNS1_25segmented_radix_sort_implINS0_14default_configELb0EPKsPsPKlPlN2at6native12_GLOBAL__N_18offset_tEEE10hipError_tPvRmT1_PNSt15iterator_traitsIS12_E10value_typeET2_T3_PNS13_IS18_E10value_typeET4_jRbjT5_S1E_jjP12ihipStream_tbEUljE_ZNSN_ISO_Lb0ESQ_SR_ST_SU_SY_EESZ_S10_S11_S12_S16_S17_S18_S1B_S1C_jS1D_jS1E_S1E_jjS1G_bEUljE0_EEESZ_S10_S11_S18_S1C_S1E_T6_T7_T9_mT8_S1G_bDpT10_ENKUlT_T0_E_clISt17integral_constantIbLb1EES1U_EEDaS1P_S1Q_EUlS1P_E_NS1_11comp_targetILNS1_3genE2ELNS1_11target_archE906ELNS1_3gpuE6ELNS1_3repE0EEENS1_30default_config_static_selectorELNS0_4arch9wavefront6targetE0EEEvS12_ ; -- Begin function _ZN7rocprim17ROCPRIM_400000_NS6detail17trampoline_kernelINS0_13select_configILj256ELj13ELNS0_17block_load_methodE3ELS4_3ELS4_3ELNS0_20block_scan_algorithmE0ELj4294967295EEENS1_25partition_config_selectorILNS1_17partition_subalgoE4EjNS0_10empty_typeEbEEZZNS1_14partition_implILS8_4ELb0ES6_15HIP_vector_typeIjLj2EENS0_17counting_iteratorIjlEEPS9_SG_NS0_5tupleIJPjSI_NS0_16reverse_iteratorISI_EEEEENSH_IJSG_SG_SG_EEES9_SI_JZNS1_25segmented_radix_sort_implINS0_14default_configELb0EPKsPsPKlPlN2at6native12_GLOBAL__N_18offset_tEEE10hipError_tPvRmT1_PNSt15iterator_traitsIS12_E10value_typeET2_T3_PNS13_IS18_E10value_typeET4_jRbjT5_S1E_jjP12ihipStream_tbEUljE_ZNSN_ISO_Lb0ESQ_SR_ST_SU_SY_EESZ_S10_S11_S12_S16_S17_S18_S1B_S1C_jS1D_jS1E_S1E_jjS1G_bEUljE0_EEESZ_S10_S11_S18_S1C_S1E_T6_T7_T9_mT8_S1G_bDpT10_ENKUlT_T0_E_clISt17integral_constantIbLb1EES1U_EEDaS1P_S1Q_EUlS1P_E_NS1_11comp_targetILNS1_3genE2ELNS1_11target_archE906ELNS1_3gpuE6ELNS1_3repE0EEENS1_30default_config_static_selectorELNS0_4arch9wavefront6targetE0EEEvS12_
	.p2align	8
	.type	_ZN7rocprim17ROCPRIM_400000_NS6detail17trampoline_kernelINS0_13select_configILj256ELj13ELNS0_17block_load_methodE3ELS4_3ELS4_3ELNS0_20block_scan_algorithmE0ELj4294967295EEENS1_25partition_config_selectorILNS1_17partition_subalgoE4EjNS0_10empty_typeEbEEZZNS1_14partition_implILS8_4ELb0ES6_15HIP_vector_typeIjLj2EENS0_17counting_iteratorIjlEEPS9_SG_NS0_5tupleIJPjSI_NS0_16reverse_iteratorISI_EEEEENSH_IJSG_SG_SG_EEES9_SI_JZNS1_25segmented_radix_sort_implINS0_14default_configELb0EPKsPsPKlPlN2at6native12_GLOBAL__N_18offset_tEEE10hipError_tPvRmT1_PNSt15iterator_traitsIS12_E10value_typeET2_T3_PNS13_IS18_E10value_typeET4_jRbjT5_S1E_jjP12ihipStream_tbEUljE_ZNSN_ISO_Lb0ESQ_SR_ST_SU_SY_EESZ_S10_S11_S12_S16_S17_S18_S1B_S1C_jS1D_jS1E_S1E_jjS1G_bEUljE0_EEESZ_S10_S11_S18_S1C_S1E_T6_T7_T9_mT8_S1G_bDpT10_ENKUlT_T0_E_clISt17integral_constantIbLb1EES1U_EEDaS1P_S1Q_EUlS1P_E_NS1_11comp_targetILNS1_3genE2ELNS1_11target_archE906ELNS1_3gpuE6ELNS1_3repE0EEENS1_30default_config_static_selectorELNS0_4arch9wavefront6targetE0EEEvS12_,@function
_ZN7rocprim17ROCPRIM_400000_NS6detail17trampoline_kernelINS0_13select_configILj256ELj13ELNS0_17block_load_methodE3ELS4_3ELS4_3ELNS0_20block_scan_algorithmE0ELj4294967295EEENS1_25partition_config_selectorILNS1_17partition_subalgoE4EjNS0_10empty_typeEbEEZZNS1_14partition_implILS8_4ELb0ES6_15HIP_vector_typeIjLj2EENS0_17counting_iteratorIjlEEPS9_SG_NS0_5tupleIJPjSI_NS0_16reverse_iteratorISI_EEEEENSH_IJSG_SG_SG_EEES9_SI_JZNS1_25segmented_radix_sort_implINS0_14default_configELb0EPKsPsPKlPlN2at6native12_GLOBAL__N_18offset_tEEE10hipError_tPvRmT1_PNSt15iterator_traitsIS12_E10value_typeET2_T3_PNS13_IS18_E10value_typeET4_jRbjT5_S1E_jjP12ihipStream_tbEUljE_ZNSN_ISO_Lb0ESQ_SR_ST_SU_SY_EESZ_S10_S11_S12_S16_S17_S18_S1B_S1C_jS1D_jS1E_S1E_jjS1G_bEUljE0_EEESZ_S10_S11_S18_S1C_S1E_T6_T7_T9_mT8_S1G_bDpT10_ENKUlT_T0_E_clISt17integral_constantIbLb1EES1U_EEDaS1P_S1Q_EUlS1P_E_NS1_11comp_targetILNS1_3genE2ELNS1_11target_archE906ELNS1_3gpuE6ELNS1_3repE0EEENS1_30default_config_static_selectorELNS0_4arch9wavefront6targetE0EEEvS12_: ; @_ZN7rocprim17ROCPRIM_400000_NS6detail17trampoline_kernelINS0_13select_configILj256ELj13ELNS0_17block_load_methodE3ELS4_3ELS4_3ELNS0_20block_scan_algorithmE0ELj4294967295EEENS1_25partition_config_selectorILNS1_17partition_subalgoE4EjNS0_10empty_typeEbEEZZNS1_14partition_implILS8_4ELb0ES6_15HIP_vector_typeIjLj2EENS0_17counting_iteratorIjlEEPS9_SG_NS0_5tupleIJPjSI_NS0_16reverse_iteratorISI_EEEEENSH_IJSG_SG_SG_EEES9_SI_JZNS1_25segmented_radix_sort_implINS0_14default_configELb0EPKsPsPKlPlN2at6native12_GLOBAL__N_18offset_tEEE10hipError_tPvRmT1_PNSt15iterator_traitsIS12_E10value_typeET2_T3_PNS13_IS18_E10value_typeET4_jRbjT5_S1E_jjP12ihipStream_tbEUljE_ZNSN_ISO_Lb0ESQ_SR_ST_SU_SY_EESZ_S10_S11_S12_S16_S17_S18_S1B_S1C_jS1D_jS1E_S1E_jjS1G_bEUljE0_EEESZ_S10_S11_S18_S1C_S1E_T6_T7_T9_mT8_S1G_bDpT10_ENKUlT_T0_E_clISt17integral_constantIbLb1EES1U_EEDaS1P_S1Q_EUlS1P_E_NS1_11comp_targetILNS1_3genE2ELNS1_11target_archE906ELNS1_3gpuE6ELNS1_3repE0EEENS1_30default_config_static_selectorELNS0_4arch9wavefront6targetE0EEEvS12_
; %bb.0:
	.section	.rodata,"a",@progbits
	.p2align	6, 0x0
	.amdhsa_kernel _ZN7rocprim17ROCPRIM_400000_NS6detail17trampoline_kernelINS0_13select_configILj256ELj13ELNS0_17block_load_methodE3ELS4_3ELS4_3ELNS0_20block_scan_algorithmE0ELj4294967295EEENS1_25partition_config_selectorILNS1_17partition_subalgoE4EjNS0_10empty_typeEbEEZZNS1_14partition_implILS8_4ELb0ES6_15HIP_vector_typeIjLj2EENS0_17counting_iteratorIjlEEPS9_SG_NS0_5tupleIJPjSI_NS0_16reverse_iteratorISI_EEEEENSH_IJSG_SG_SG_EEES9_SI_JZNS1_25segmented_radix_sort_implINS0_14default_configELb0EPKsPsPKlPlN2at6native12_GLOBAL__N_18offset_tEEE10hipError_tPvRmT1_PNSt15iterator_traitsIS12_E10value_typeET2_T3_PNS13_IS18_E10value_typeET4_jRbjT5_S1E_jjP12ihipStream_tbEUljE_ZNSN_ISO_Lb0ESQ_SR_ST_SU_SY_EESZ_S10_S11_S12_S16_S17_S18_S1B_S1C_jS1D_jS1E_S1E_jjS1G_bEUljE0_EEESZ_S10_S11_S18_S1C_S1E_T6_T7_T9_mT8_S1G_bDpT10_ENKUlT_T0_E_clISt17integral_constantIbLb1EES1U_EEDaS1P_S1Q_EUlS1P_E_NS1_11comp_targetILNS1_3genE2ELNS1_11target_archE906ELNS1_3gpuE6ELNS1_3repE0EEENS1_30default_config_static_selectorELNS0_4arch9wavefront6targetE0EEEvS12_
		.amdhsa_group_segment_fixed_size 0
		.amdhsa_private_segment_fixed_size 0
		.amdhsa_kernarg_size 184
		.amdhsa_user_sgpr_count 2
		.amdhsa_user_sgpr_dispatch_ptr 0
		.amdhsa_user_sgpr_queue_ptr 0
		.amdhsa_user_sgpr_kernarg_segment_ptr 1
		.amdhsa_user_sgpr_dispatch_id 0
		.amdhsa_user_sgpr_private_segment_size 0
		.amdhsa_wavefront_size32 1
		.amdhsa_uses_dynamic_stack 0
		.amdhsa_enable_private_segment 0
		.amdhsa_system_sgpr_workgroup_id_x 1
		.amdhsa_system_sgpr_workgroup_id_y 0
		.amdhsa_system_sgpr_workgroup_id_z 0
		.amdhsa_system_sgpr_workgroup_info 0
		.amdhsa_system_vgpr_workitem_id 0
		.amdhsa_next_free_vgpr 1
		.amdhsa_next_free_sgpr 1
		.amdhsa_reserve_vcc 0
		.amdhsa_float_round_mode_32 0
		.amdhsa_float_round_mode_16_64 0
		.amdhsa_float_denorm_mode_32 3
		.amdhsa_float_denorm_mode_16_64 3
		.amdhsa_fp16_overflow 0
		.amdhsa_workgroup_processor_mode 1
		.amdhsa_memory_ordered 1
		.amdhsa_forward_progress 1
		.amdhsa_inst_pref_size 0
		.amdhsa_round_robin_scheduling 0
		.amdhsa_exception_fp_ieee_invalid_op 0
		.amdhsa_exception_fp_denorm_src 0
		.amdhsa_exception_fp_ieee_div_zero 0
		.amdhsa_exception_fp_ieee_overflow 0
		.amdhsa_exception_fp_ieee_underflow 0
		.amdhsa_exception_fp_ieee_inexact 0
		.amdhsa_exception_int_div_zero 0
	.end_amdhsa_kernel
	.section	.text._ZN7rocprim17ROCPRIM_400000_NS6detail17trampoline_kernelINS0_13select_configILj256ELj13ELNS0_17block_load_methodE3ELS4_3ELS4_3ELNS0_20block_scan_algorithmE0ELj4294967295EEENS1_25partition_config_selectorILNS1_17partition_subalgoE4EjNS0_10empty_typeEbEEZZNS1_14partition_implILS8_4ELb0ES6_15HIP_vector_typeIjLj2EENS0_17counting_iteratorIjlEEPS9_SG_NS0_5tupleIJPjSI_NS0_16reverse_iteratorISI_EEEEENSH_IJSG_SG_SG_EEES9_SI_JZNS1_25segmented_radix_sort_implINS0_14default_configELb0EPKsPsPKlPlN2at6native12_GLOBAL__N_18offset_tEEE10hipError_tPvRmT1_PNSt15iterator_traitsIS12_E10value_typeET2_T3_PNS13_IS18_E10value_typeET4_jRbjT5_S1E_jjP12ihipStream_tbEUljE_ZNSN_ISO_Lb0ESQ_SR_ST_SU_SY_EESZ_S10_S11_S12_S16_S17_S18_S1B_S1C_jS1D_jS1E_S1E_jjS1G_bEUljE0_EEESZ_S10_S11_S18_S1C_S1E_T6_T7_T9_mT8_S1G_bDpT10_ENKUlT_T0_E_clISt17integral_constantIbLb1EES1U_EEDaS1P_S1Q_EUlS1P_E_NS1_11comp_targetILNS1_3genE2ELNS1_11target_archE906ELNS1_3gpuE6ELNS1_3repE0EEENS1_30default_config_static_selectorELNS0_4arch9wavefront6targetE0EEEvS12_,"axG",@progbits,_ZN7rocprim17ROCPRIM_400000_NS6detail17trampoline_kernelINS0_13select_configILj256ELj13ELNS0_17block_load_methodE3ELS4_3ELS4_3ELNS0_20block_scan_algorithmE0ELj4294967295EEENS1_25partition_config_selectorILNS1_17partition_subalgoE4EjNS0_10empty_typeEbEEZZNS1_14partition_implILS8_4ELb0ES6_15HIP_vector_typeIjLj2EENS0_17counting_iteratorIjlEEPS9_SG_NS0_5tupleIJPjSI_NS0_16reverse_iteratorISI_EEEEENSH_IJSG_SG_SG_EEES9_SI_JZNS1_25segmented_radix_sort_implINS0_14default_configELb0EPKsPsPKlPlN2at6native12_GLOBAL__N_18offset_tEEE10hipError_tPvRmT1_PNSt15iterator_traitsIS12_E10value_typeET2_T3_PNS13_IS18_E10value_typeET4_jRbjT5_S1E_jjP12ihipStream_tbEUljE_ZNSN_ISO_Lb0ESQ_SR_ST_SU_SY_EESZ_S10_S11_S12_S16_S17_S18_S1B_S1C_jS1D_jS1E_S1E_jjS1G_bEUljE0_EEESZ_S10_S11_S18_S1C_S1E_T6_T7_T9_mT8_S1G_bDpT10_ENKUlT_T0_E_clISt17integral_constantIbLb1EES1U_EEDaS1P_S1Q_EUlS1P_E_NS1_11comp_targetILNS1_3genE2ELNS1_11target_archE906ELNS1_3gpuE6ELNS1_3repE0EEENS1_30default_config_static_selectorELNS0_4arch9wavefront6targetE0EEEvS12_,comdat
.Lfunc_end962:
	.size	_ZN7rocprim17ROCPRIM_400000_NS6detail17trampoline_kernelINS0_13select_configILj256ELj13ELNS0_17block_load_methodE3ELS4_3ELS4_3ELNS0_20block_scan_algorithmE0ELj4294967295EEENS1_25partition_config_selectorILNS1_17partition_subalgoE4EjNS0_10empty_typeEbEEZZNS1_14partition_implILS8_4ELb0ES6_15HIP_vector_typeIjLj2EENS0_17counting_iteratorIjlEEPS9_SG_NS0_5tupleIJPjSI_NS0_16reverse_iteratorISI_EEEEENSH_IJSG_SG_SG_EEES9_SI_JZNS1_25segmented_radix_sort_implINS0_14default_configELb0EPKsPsPKlPlN2at6native12_GLOBAL__N_18offset_tEEE10hipError_tPvRmT1_PNSt15iterator_traitsIS12_E10value_typeET2_T3_PNS13_IS18_E10value_typeET4_jRbjT5_S1E_jjP12ihipStream_tbEUljE_ZNSN_ISO_Lb0ESQ_SR_ST_SU_SY_EESZ_S10_S11_S12_S16_S17_S18_S1B_S1C_jS1D_jS1E_S1E_jjS1G_bEUljE0_EEESZ_S10_S11_S18_S1C_S1E_T6_T7_T9_mT8_S1G_bDpT10_ENKUlT_T0_E_clISt17integral_constantIbLb1EES1U_EEDaS1P_S1Q_EUlS1P_E_NS1_11comp_targetILNS1_3genE2ELNS1_11target_archE906ELNS1_3gpuE6ELNS1_3repE0EEENS1_30default_config_static_selectorELNS0_4arch9wavefront6targetE0EEEvS12_, .Lfunc_end962-_ZN7rocprim17ROCPRIM_400000_NS6detail17trampoline_kernelINS0_13select_configILj256ELj13ELNS0_17block_load_methodE3ELS4_3ELS4_3ELNS0_20block_scan_algorithmE0ELj4294967295EEENS1_25partition_config_selectorILNS1_17partition_subalgoE4EjNS0_10empty_typeEbEEZZNS1_14partition_implILS8_4ELb0ES6_15HIP_vector_typeIjLj2EENS0_17counting_iteratorIjlEEPS9_SG_NS0_5tupleIJPjSI_NS0_16reverse_iteratorISI_EEEEENSH_IJSG_SG_SG_EEES9_SI_JZNS1_25segmented_radix_sort_implINS0_14default_configELb0EPKsPsPKlPlN2at6native12_GLOBAL__N_18offset_tEEE10hipError_tPvRmT1_PNSt15iterator_traitsIS12_E10value_typeET2_T3_PNS13_IS18_E10value_typeET4_jRbjT5_S1E_jjP12ihipStream_tbEUljE_ZNSN_ISO_Lb0ESQ_SR_ST_SU_SY_EESZ_S10_S11_S12_S16_S17_S18_S1B_S1C_jS1D_jS1E_S1E_jjS1G_bEUljE0_EEESZ_S10_S11_S18_S1C_S1E_T6_T7_T9_mT8_S1G_bDpT10_ENKUlT_T0_E_clISt17integral_constantIbLb1EES1U_EEDaS1P_S1Q_EUlS1P_E_NS1_11comp_targetILNS1_3genE2ELNS1_11target_archE906ELNS1_3gpuE6ELNS1_3repE0EEENS1_30default_config_static_selectorELNS0_4arch9wavefront6targetE0EEEvS12_
                                        ; -- End function
	.set _ZN7rocprim17ROCPRIM_400000_NS6detail17trampoline_kernelINS0_13select_configILj256ELj13ELNS0_17block_load_methodE3ELS4_3ELS4_3ELNS0_20block_scan_algorithmE0ELj4294967295EEENS1_25partition_config_selectorILNS1_17partition_subalgoE4EjNS0_10empty_typeEbEEZZNS1_14partition_implILS8_4ELb0ES6_15HIP_vector_typeIjLj2EENS0_17counting_iteratorIjlEEPS9_SG_NS0_5tupleIJPjSI_NS0_16reverse_iteratorISI_EEEEENSH_IJSG_SG_SG_EEES9_SI_JZNS1_25segmented_radix_sort_implINS0_14default_configELb0EPKsPsPKlPlN2at6native12_GLOBAL__N_18offset_tEEE10hipError_tPvRmT1_PNSt15iterator_traitsIS12_E10value_typeET2_T3_PNS13_IS18_E10value_typeET4_jRbjT5_S1E_jjP12ihipStream_tbEUljE_ZNSN_ISO_Lb0ESQ_SR_ST_SU_SY_EESZ_S10_S11_S12_S16_S17_S18_S1B_S1C_jS1D_jS1E_S1E_jjS1G_bEUljE0_EEESZ_S10_S11_S18_S1C_S1E_T6_T7_T9_mT8_S1G_bDpT10_ENKUlT_T0_E_clISt17integral_constantIbLb1EES1U_EEDaS1P_S1Q_EUlS1P_E_NS1_11comp_targetILNS1_3genE2ELNS1_11target_archE906ELNS1_3gpuE6ELNS1_3repE0EEENS1_30default_config_static_selectorELNS0_4arch9wavefront6targetE0EEEvS12_.num_vgpr, 0
	.set _ZN7rocprim17ROCPRIM_400000_NS6detail17trampoline_kernelINS0_13select_configILj256ELj13ELNS0_17block_load_methodE3ELS4_3ELS4_3ELNS0_20block_scan_algorithmE0ELj4294967295EEENS1_25partition_config_selectorILNS1_17partition_subalgoE4EjNS0_10empty_typeEbEEZZNS1_14partition_implILS8_4ELb0ES6_15HIP_vector_typeIjLj2EENS0_17counting_iteratorIjlEEPS9_SG_NS0_5tupleIJPjSI_NS0_16reverse_iteratorISI_EEEEENSH_IJSG_SG_SG_EEES9_SI_JZNS1_25segmented_radix_sort_implINS0_14default_configELb0EPKsPsPKlPlN2at6native12_GLOBAL__N_18offset_tEEE10hipError_tPvRmT1_PNSt15iterator_traitsIS12_E10value_typeET2_T3_PNS13_IS18_E10value_typeET4_jRbjT5_S1E_jjP12ihipStream_tbEUljE_ZNSN_ISO_Lb0ESQ_SR_ST_SU_SY_EESZ_S10_S11_S12_S16_S17_S18_S1B_S1C_jS1D_jS1E_S1E_jjS1G_bEUljE0_EEESZ_S10_S11_S18_S1C_S1E_T6_T7_T9_mT8_S1G_bDpT10_ENKUlT_T0_E_clISt17integral_constantIbLb1EES1U_EEDaS1P_S1Q_EUlS1P_E_NS1_11comp_targetILNS1_3genE2ELNS1_11target_archE906ELNS1_3gpuE6ELNS1_3repE0EEENS1_30default_config_static_selectorELNS0_4arch9wavefront6targetE0EEEvS12_.num_agpr, 0
	.set _ZN7rocprim17ROCPRIM_400000_NS6detail17trampoline_kernelINS0_13select_configILj256ELj13ELNS0_17block_load_methodE3ELS4_3ELS4_3ELNS0_20block_scan_algorithmE0ELj4294967295EEENS1_25partition_config_selectorILNS1_17partition_subalgoE4EjNS0_10empty_typeEbEEZZNS1_14partition_implILS8_4ELb0ES6_15HIP_vector_typeIjLj2EENS0_17counting_iteratorIjlEEPS9_SG_NS0_5tupleIJPjSI_NS0_16reverse_iteratorISI_EEEEENSH_IJSG_SG_SG_EEES9_SI_JZNS1_25segmented_radix_sort_implINS0_14default_configELb0EPKsPsPKlPlN2at6native12_GLOBAL__N_18offset_tEEE10hipError_tPvRmT1_PNSt15iterator_traitsIS12_E10value_typeET2_T3_PNS13_IS18_E10value_typeET4_jRbjT5_S1E_jjP12ihipStream_tbEUljE_ZNSN_ISO_Lb0ESQ_SR_ST_SU_SY_EESZ_S10_S11_S12_S16_S17_S18_S1B_S1C_jS1D_jS1E_S1E_jjS1G_bEUljE0_EEESZ_S10_S11_S18_S1C_S1E_T6_T7_T9_mT8_S1G_bDpT10_ENKUlT_T0_E_clISt17integral_constantIbLb1EES1U_EEDaS1P_S1Q_EUlS1P_E_NS1_11comp_targetILNS1_3genE2ELNS1_11target_archE906ELNS1_3gpuE6ELNS1_3repE0EEENS1_30default_config_static_selectorELNS0_4arch9wavefront6targetE0EEEvS12_.numbered_sgpr, 0
	.set _ZN7rocprim17ROCPRIM_400000_NS6detail17trampoline_kernelINS0_13select_configILj256ELj13ELNS0_17block_load_methodE3ELS4_3ELS4_3ELNS0_20block_scan_algorithmE0ELj4294967295EEENS1_25partition_config_selectorILNS1_17partition_subalgoE4EjNS0_10empty_typeEbEEZZNS1_14partition_implILS8_4ELb0ES6_15HIP_vector_typeIjLj2EENS0_17counting_iteratorIjlEEPS9_SG_NS0_5tupleIJPjSI_NS0_16reverse_iteratorISI_EEEEENSH_IJSG_SG_SG_EEES9_SI_JZNS1_25segmented_radix_sort_implINS0_14default_configELb0EPKsPsPKlPlN2at6native12_GLOBAL__N_18offset_tEEE10hipError_tPvRmT1_PNSt15iterator_traitsIS12_E10value_typeET2_T3_PNS13_IS18_E10value_typeET4_jRbjT5_S1E_jjP12ihipStream_tbEUljE_ZNSN_ISO_Lb0ESQ_SR_ST_SU_SY_EESZ_S10_S11_S12_S16_S17_S18_S1B_S1C_jS1D_jS1E_S1E_jjS1G_bEUljE0_EEESZ_S10_S11_S18_S1C_S1E_T6_T7_T9_mT8_S1G_bDpT10_ENKUlT_T0_E_clISt17integral_constantIbLb1EES1U_EEDaS1P_S1Q_EUlS1P_E_NS1_11comp_targetILNS1_3genE2ELNS1_11target_archE906ELNS1_3gpuE6ELNS1_3repE0EEENS1_30default_config_static_selectorELNS0_4arch9wavefront6targetE0EEEvS12_.num_named_barrier, 0
	.set _ZN7rocprim17ROCPRIM_400000_NS6detail17trampoline_kernelINS0_13select_configILj256ELj13ELNS0_17block_load_methodE3ELS4_3ELS4_3ELNS0_20block_scan_algorithmE0ELj4294967295EEENS1_25partition_config_selectorILNS1_17partition_subalgoE4EjNS0_10empty_typeEbEEZZNS1_14partition_implILS8_4ELb0ES6_15HIP_vector_typeIjLj2EENS0_17counting_iteratorIjlEEPS9_SG_NS0_5tupleIJPjSI_NS0_16reverse_iteratorISI_EEEEENSH_IJSG_SG_SG_EEES9_SI_JZNS1_25segmented_radix_sort_implINS0_14default_configELb0EPKsPsPKlPlN2at6native12_GLOBAL__N_18offset_tEEE10hipError_tPvRmT1_PNSt15iterator_traitsIS12_E10value_typeET2_T3_PNS13_IS18_E10value_typeET4_jRbjT5_S1E_jjP12ihipStream_tbEUljE_ZNSN_ISO_Lb0ESQ_SR_ST_SU_SY_EESZ_S10_S11_S12_S16_S17_S18_S1B_S1C_jS1D_jS1E_S1E_jjS1G_bEUljE0_EEESZ_S10_S11_S18_S1C_S1E_T6_T7_T9_mT8_S1G_bDpT10_ENKUlT_T0_E_clISt17integral_constantIbLb1EES1U_EEDaS1P_S1Q_EUlS1P_E_NS1_11comp_targetILNS1_3genE2ELNS1_11target_archE906ELNS1_3gpuE6ELNS1_3repE0EEENS1_30default_config_static_selectorELNS0_4arch9wavefront6targetE0EEEvS12_.private_seg_size, 0
	.set _ZN7rocprim17ROCPRIM_400000_NS6detail17trampoline_kernelINS0_13select_configILj256ELj13ELNS0_17block_load_methodE3ELS4_3ELS4_3ELNS0_20block_scan_algorithmE0ELj4294967295EEENS1_25partition_config_selectorILNS1_17partition_subalgoE4EjNS0_10empty_typeEbEEZZNS1_14partition_implILS8_4ELb0ES6_15HIP_vector_typeIjLj2EENS0_17counting_iteratorIjlEEPS9_SG_NS0_5tupleIJPjSI_NS0_16reverse_iteratorISI_EEEEENSH_IJSG_SG_SG_EEES9_SI_JZNS1_25segmented_radix_sort_implINS0_14default_configELb0EPKsPsPKlPlN2at6native12_GLOBAL__N_18offset_tEEE10hipError_tPvRmT1_PNSt15iterator_traitsIS12_E10value_typeET2_T3_PNS13_IS18_E10value_typeET4_jRbjT5_S1E_jjP12ihipStream_tbEUljE_ZNSN_ISO_Lb0ESQ_SR_ST_SU_SY_EESZ_S10_S11_S12_S16_S17_S18_S1B_S1C_jS1D_jS1E_S1E_jjS1G_bEUljE0_EEESZ_S10_S11_S18_S1C_S1E_T6_T7_T9_mT8_S1G_bDpT10_ENKUlT_T0_E_clISt17integral_constantIbLb1EES1U_EEDaS1P_S1Q_EUlS1P_E_NS1_11comp_targetILNS1_3genE2ELNS1_11target_archE906ELNS1_3gpuE6ELNS1_3repE0EEENS1_30default_config_static_selectorELNS0_4arch9wavefront6targetE0EEEvS12_.uses_vcc, 0
	.set _ZN7rocprim17ROCPRIM_400000_NS6detail17trampoline_kernelINS0_13select_configILj256ELj13ELNS0_17block_load_methodE3ELS4_3ELS4_3ELNS0_20block_scan_algorithmE0ELj4294967295EEENS1_25partition_config_selectorILNS1_17partition_subalgoE4EjNS0_10empty_typeEbEEZZNS1_14partition_implILS8_4ELb0ES6_15HIP_vector_typeIjLj2EENS0_17counting_iteratorIjlEEPS9_SG_NS0_5tupleIJPjSI_NS0_16reverse_iteratorISI_EEEEENSH_IJSG_SG_SG_EEES9_SI_JZNS1_25segmented_radix_sort_implINS0_14default_configELb0EPKsPsPKlPlN2at6native12_GLOBAL__N_18offset_tEEE10hipError_tPvRmT1_PNSt15iterator_traitsIS12_E10value_typeET2_T3_PNS13_IS18_E10value_typeET4_jRbjT5_S1E_jjP12ihipStream_tbEUljE_ZNSN_ISO_Lb0ESQ_SR_ST_SU_SY_EESZ_S10_S11_S12_S16_S17_S18_S1B_S1C_jS1D_jS1E_S1E_jjS1G_bEUljE0_EEESZ_S10_S11_S18_S1C_S1E_T6_T7_T9_mT8_S1G_bDpT10_ENKUlT_T0_E_clISt17integral_constantIbLb1EES1U_EEDaS1P_S1Q_EUlS1P_E_NS1_11comp_targetILNS1_3genE2ELNS1_11target_archE906ELNS1_3gpuE6ELNS1_3repE0EEENS1_30default_config_static_selectorELNS0_4arch9wavefront6targetE0EEEvS12_.uses_flat_scratch, 0
	.set _ZN7rocprim17ROCPRIM_400000_NS6detail17trampoline_kernelINS0_13select_configILj256ELj13ELNS0_17block_load_methodE3ELS4_3ELS4_3ELNS0_20block_scan_algorithmE0ELj4294967295EEENS1_25partition_config_selectorILNS1_17partition_subalgoE4EjNS0_10empty_typeEbEEZZNS1_14partition_implILS8_4ELb0ES6_15HIP_vector_typeIjLj2EENS0_17counting_iteratorIjlEEPS9_SG_NS0_5tupleIJPjSI_NS0_16reverse_iteratorISI_EEEEENSH_IJSG_SG_SG_EEES9_SI_JZNS1_25segmented_radix_sort_implINS0_14default_configELb0EPKsPsPKlPlN2at6native12_GLOBAL__N_18offset_tEEE10hipError_tPvRmT1_PNSt15iterator_traitsIS12_E10value_typeET2_T3_PNS13_IS18_E10value_typeET4_jRbjT5_S1E_jjP12ihipStream_tbEUljE_ZNSN_ISO_Lb0ESQ_SR_ST_SU_SY_EESZ_S10_S11_S12_S16_S17_S18_S1B_S1C_jS1D_jS1E_S1E_jjS1G_bEUljE0_EEESZ_S10_S11_S18_S1C_S1E_T6_T7_T9_mT8_S1G_bDpT10_ENKUlT_T0_E_clISt17integral_constantIbLb1EES1U_EEDaS1P_S1Q_EUlS1P_E_NS1_11comp_targetILNS1_3genE2ELNS1_11target_archE906ELNS1_3gpuE6ELNS1_3repE0EEENS1_30default_config_static_selectorELNS0_4arch9wavefront6targetE0EEEvS12_.has_dyn_sized_stack, 0
	.set _ZN7rocprim17ROCPRIM_400000_NS6detail17trampoline_kernelINS0_13select_configILj256ELj13ELNS0_17block_load_methodE3ELS4_3ELS4_3ELNS0_20block_scan_algorithmE0ELj4294967295EEENS1_25partition_config_selectorILNS1_17partition_subalgoE4EjNS0_10empty_typeEbEEZZNS1_14partition_implILS8_4ELb0ES6_15HIP_vector_typeIjLj2EENS0_17counting_iteratorIjlEEPS9_SG_NS0_5tupleIJPjSI_NS0_16reverse_iteratorISI_EEEEENSH_IJSG_SG_SG_EEES9_SI_JZNS1_25segmented_radix_sort_implINS0_14default_configELb0EPKsPsPKlPlN2at6native12_GLOBAL__N_18offset_tEEE10hipError_tPvRmT1_PNSt15iterator_traitsIS12_E10value_typeET2_T3_PNS13_IS18_E10value_typeET4_jRbjT5_S1E_jjP12ihipStream_tbEUljE_ZNSN_ISO_Lb0ESQ_SR_ST_SU_SY_EESZ_S10_S11_S12_S16_S17_S18_S1B_S1C_jS1D_jS1E_S1E_jjS1G_bEUljE0_EEESZ_S10_S11_S18_S1C_S1E_T6_T7_T9_mT8_S1G_bDpT10_ENKUlT_T0_E_clISt17integral_constantIbLb1EES1U_EEDaS1P_S1Q_EUlS1P_E_NS1_11comp_targetILNS1_3genE2ELNS1_11target_archE906ELNS1_3gpuE6ELNS1_3repE0EEENS1_30default_config_static_selectorELNS0_4arch9wavefront6targetE0EEEvS12_.has_recursion, 0
	.set _ZN7rocprim17ROCPRIM_400000_NS6detail17trampoline_kernelINS0_13select_configILj256ELj13ELNS0_17block_load_methodE3ELS4_3ELS4_3ELNS0_20block_scan_algorithmE0ELj4294967295EEENS1_25partition_config_selectorILNS1_17partition_subalgoE4EjNS0_10empty_typeEbEEZZNS1_14partition_implILS8_4ELb0ES6_15HIP_vector_typeIjLj2EENS0_17counting_iteratorIjlEEPS9_SG_NS0_5tupleIJPjSI_NS0_16reverse_iteratorISI_EEEEENSH_IJSG_SG_SG_EEES9_SI_JZNS1_25segmented_radix_sort_implINS0_14default_configELb0EPKsPsPKlPlN2at6native12_GLOBAL__N_18offset_tEEE10hipError_tPvRmT1_PNSt15iterator_traitsIS12_E10value_typeET2_T3_PNS13_IS18_E10value_typeET4_jRbjT5_S1E_jjP12ihipStream_tbEUljE_ZNSN_ISO_Lb0ESQ_SR_ST_SU_SY_EESZ_S10_S11_S12_S16_S17_S18_S1B_S1C_jS1D_jS1E_S1E_jjS1G_bEUljE0_EEESZ_S10_S11_S18_S1C_S1E_T6_T7_T9_mT8_S1G_bDpT10_ENKUlT_T0_E_clISt17integral_constantIbLb1EES1U_EEDaS1P_S1Q_EUlS1P_E_NS1_11comp_targetILNS1_3genE2ELNS1_11target_archE906ELNS1_3gpuE6ELNS1_3repE0EEENS1_30default_config_static_selectorELNS0_4arch9wavefront6targetE0EEEvS12_.has_indirect_call, 0
	.section	.AMDGPU.csdata,"",@progbits
; Kernel info:
; codeLenInByte = 0
; TotalNumSgprs: 0
; NumVgprs: 0
; ScratchSize: 0
; MemoryBound: 0
; FloatMode: 240
; IeeeMode: 1
; LDSByteSize: 0 bytes/workgroup (compile time only)
; SGPRBlocks: 0
; VGPRBlocks: 0
; NumSGPRsForWavesPerEU: 1
; NumVGPRsForWavesPerEU: 1
; Occupancy: 16
; WaveLimiterHint : 0
; COMPUTE_PGM_RSRC2:SCRATCH_EN: 0
; COMPUTE_PGM_RSRC2:USER_SGPR: 2
; COMPUTE_PGM_RSRC2:TRAP_HANDLER: 0
; COMPUTE_PGM_RSRC2:TGID_X_EN: 1
; COMPUTE_PGM_RSRC2:TGID_Y_EN: 0
; COMPUTE_PGM_RSRC2:TGID_Z_EN: 0
; COMPUTE_PGM_RSRC2:TIDIG_COMP_CNT: 0
	.section	.text._ZN7rocprim17ROCPRIM_400000_NS6detail17trampoline_kernelINS0_13select_configILj256ELj13ELNS0_17block_load_methodE3ELS4_3ELS4_3ELNS0_20block_scan_algorithmE0ELj4294967295EEENS1_25partition_config_selectorILNS1_17partition_subalgoE4EjNS0_10empty_typeEbEEZZNS1_14partition_implILS8_4ELb0ES6_15HIP_vector_typeIjLj2EENS0_17counting_iteratorIjlEEPS9_SG_NS0_5tupleIJPjSI_NS0_16reverse_iteratorISI_EEEEENSH_IJSG_SG_SG_EEES9_SI_JZNS1_25segmented_radix_sort_implINS0_14default_configELb0EPKsPsPKlPlN2at6native12_GLOBAL__N_18offset_tEEE10hipError_tPvRmT1_PNSt15iterator_traitsIS12_E10value_typeET2_T3_PNS13_IS18_E10value_typeET4_jRbjT5_S1E_jjP12ihipStream_tbEUljE_ZNSN_ISO_Lb0ESQ_SR_ST_SU_SY_EESZ_S10_S11_S12_S16_S17_S18_S1B_S1C_jS1D_jS1E_S1E_jjS1G_bEUljE0_EEESZ_S10_S11_S18_S1C_S1E_T6_T7_T9_mT8_S1G_bDpT10_ENKUlT_T0_E_clISt17integral_constantIbLb1EES1U_EEDaS1P_S1Q_EUlS1P_E_NS1_11comp_targetILNS1_3genE10ELNS1_11target_archE1200ELNS1_3gpuE4ELNS1_3repE0EEENS1_30default_config_static_selectorELNS0_4arch9wavefront6targetE0EEEvS12_,"axG",@progbits,_ZN7rocprim17ROCPRIM_400000_NS6detail17trampoline_kernelINS0_13select_configILj256ELj13ELNS0_17block_load_methodE3ELS4_3ELS4_3ELNS0_20block_scan_algorithmE0ELj4294967295EEENS1_25partition_config_selectorILNS1_17partition_subalgoE4EjNS0_10empty_typeEbEEZZNS1_14partition_implILS8_4ELb0ES6_15HIP_vector_typeIjLj2EENS0_17counting_iteratorIjlEEPS9_SG_NS0_5tupleIJPjSI_NS0_16reverse_iteratorISI_EEEEENSH_IJSG_SG_SG_EEES9_SI_JZNS1_25segmented_radix_sort_implINS0_14default_configELb0EPKsPsPKlPlN2at6native12_GLOBAL__N_18offset_tEEE10hipError_tPvRmT1_PNSt15iterator_traitsIS12_E10value_typeET2_T3_PNS13_IS18_E10value_typeET4_jRbjT5_S1E_jjP12ihipStream_tbEUljE_ZNSN_ISO_Lb0ESQ_SR_ST_SU_SY_EESZ_S10_S11_S12_S16_S17_S18_S1B_S1C_jS1D_jS1E_S1E_jjS1G_bEUljE0_EEESZ_S10_S11_S18_S1C_S1E_T6_T7_T9_mT8_S1G_bDpT10_ENKUlT_T0_E_clISt17integral_constantIbLb1EES1U_EEDaS1P_S1Q_EUlS1P_E_NS1_11comp_targetILNS1_3genE10ELNS1_11target_archE1200ELNS1_3gpuE4ELNS1_3repE0EEENS1_30default_config_static_selectorELNS0_4arch9wavefront6targetE0EEEvS12_,comdat
	.globl	_ZN7rocprim17ROCPRIM_400000_NS6detail17trampoline_kernelINS0_13select_configILj256ELj13ELNS0_17block_load_methodE3ELS4_3ELS4_3ELNS0_20block_scan_algorithmE0ELj4294967295EEENS1_25partition_config_selectorILNS1_17partition_subalgoE4EjNS0_10empty_typeEbEEZZNS1_14partition_implILS8_4ELb0ES6_15HIP_vector_typeIjLj2EENS0_17counting_iteratorIjlEEPS9_SG_NS0_5tupleIJPjSI_NS0_16reverse_iteratorISI_EEEEENSH_IJSG_SG_SG_EEES9_SI_JZNS1_25segmented_radix_sort_implINS0_14default_configELb0EPKsPsPKlPlN2at6native12_GLOBAL__N_18offset_tEEE10hipError_tPvRmT1_PNSt15iterator_traitsIS12_E10value_typeET2_T3_PNS13_IS18_E10value_typeET4_jRbjT5_S1E_jjP12ihipStream_tbEUljE_ZNSN_ISO_Lb0ESQ_SR_ST_SU_SY_EESZ_S10_S11_S12_S16_S17_S18_S1B_S1C_jS1D_jS1E_S1E_jjS1G_bEUljE0_EEESZ_S10_S11_S18_S1C_S1E_T6_T7_T9_mT8_S1G_bDpT10_ENKUlT_T0_E_clISt17integral_constantIbLb1EES1U_EEDaS1P_S1Q_EUlS1P_E_NS1_11comp_targetILNS1_3genE10ELNS1_11target_archE1200ELNS1_3gpuE4ELNS1_3repE0EEENS1_30default_config_static_selectorELNS0_4arch9wavefront6targetE0EEEvS12_ ; -- Begin function _ZN7rocprim17ROCPRIM_400000_NS6detail17trampoline_kernelINS0_13select_configILj256ELj13ELNS0_17block_load_methodE3ELS4_3ELS4_3ELNS0_20block_scan_algorithmE0ELj4294967295EEENS1_25partition_config_selectorILNS1_17partition_subalgoE4EjNS0_10empty_typeEbEEZZNS1_14partition_implILS8_4ELb0ES6_15HIP_vector_typeIjLj2EENS0_17counting_iteratorIjlEEPS9_SG_NS0_5tupleIJPjSI_NS0_16reverse_iteratorISI_EEEEENSH_IJSG_SG_SG_EEES9_SI_JZNS1_25segmented_radix_sort_implINS0_14default_configELb0EPKsPsPKlPlN2at6native12_GLOBAL__N_18offset_tEEE10hipError_tPvRmT1_PNSt15iterator_traitsIS12_E10value_typeET2_T3_PNS13_IS18_E10value_typeET4_jRbjT5_S1E_jjP12ihipStream_tbEUljE_ZNSN_ISO_Lb0ESQ_SR_ST_SU_SY_EESZ_S10_S11_S12_S16_S17_S18_S1B_S1C_jS1D_jS1E_S1E_jjS1G_bEUljE0_EEESZ_S10_S11_S18_S1C_S1E_T6_T7_T9_mT8_S1G_bDpT10_ENKUlT_T0_E_clISt17integral_constantIbLb1EES1U_EEDaS1P_S1Q_EUlS1P_E_NS1_11comp_targetILNS1_3genE10ELNS1_11target_archE1200ELNS1_3gpuE4ELNS1_3repE0EEENS1_30default_config_static_selectorELNS0_4arch9wavefront6targetE0EEEvS12_
	.p2align	8
	.type	_ZN7rocprim17ROCPRIM_400000_NS6detail17trampoline_kernelINS0_13select_configILj256ELj13ELNS0_17block_load_methodE3ELS4_3ELS4_3ELNS0_20block_scan_algorithmE0ELj4294967295EEENS1_25partition_config_selectorILNS1_17partition_subalgoE4EjNS0_10empty_typeEbEEZZNS1_14partition_implILS8_4ELb0ES6_15HIP_vector_typeIjLj2EENS0_17counting_iteratorIjlEEPS9_SG_NS0_5tupleIJPjSI_NS0_16reverse_iteratorISI_EEEEENSH_IJSG_SG_SG_EEES9_SI_JZNS1_25segmented_radix_sort_implINS0_14default_configELb0EPKsPsPKlPlN2at6native12_GLOBAL__N_18offset_tEEE10hipError_tPvRmT1_PNSt15iterator_traitsIS12_E10value_typeET2_T3_PNS13_IS18_E10value_typeET4_jRbjT5_S1E_jjP12ihipStream_tbEUljE_ZNSN_ISO_Lb0ESQ_SR_ST_SU_SY_EESZ_S10_S11_S12_S16_S17_S18_S1B_S1C_jS1D_jS1E_S1E_jjS1G_bEUljE0_EEESZ_S10_S11_S18_S1C_S1E_T6_T7_T9_mT8_S1G_bDpT10_ENKUlT_T0_E_clISt17integral_constantIbLb1EES1U_EEDaS1P_S1Q_EUlS1P_E_NS1_11comp_targetILNS1_3genE10ELNS1_11target_archE1200ELNS1_3gpuE4ELNS1_3repE0EEENS1_30default_config_static_selectorELNS0_4arch9wavefront6targetE0EEEvS12_,@function
_ZN7rocprim17ROCPRIM_400000_NS6detail17trampoline_kernelINS0_13select_configILj256ELj13ELNS0_17block_load_methodE3ELS4_3ELS4_3ELNS0_20block_scan_algorithmE0ELj4294967295EEENS1_25partition_config_selectorILNS1_17partition_subalgoE4EjNS0_10empty_typeEbEEZZNS1_14partition_implILS8_4ELb0ES6_15HIP_vector_typeIjLj2EENS0_17counting_iteratorIjlEEPS9_SG_NS0_5tupleIJPjSI_NS0_16reverse_iteratorISI_EEEEENSH_IJSG_SG_SG_EEES9_SI_JZNS1_25segmented_radix_sort_implINS0_14default_configELb0EPKsPsPKlPlN2at6native12_GLOBAL__N_18offset_tEEE10hipError_tPvRmT1_PNSt15iterator_traitsIS12_E10value_typeET2_T3_PNS13_IS18_E10value_typeET4_jRbjT5_S1E_jjP12ihipStream_tbEUljE_ZNSN_ISO_Lb0ESQ_SR_ST_SU_SY_EESZ_S10_S11_S12_S16_S17_S18_S1B_S1C_jS1D_jS1E_S1E_jjS1G_bEUljE0_EEESZ_S10_S11_S18_S1C_S1E_T6_T7_T9_mT8_S1G_bDpT10_ENKUlT_T0_E_clISt17integral_constantIbLb1EES1U_EEDaS1P_S1Q_EUlS1P_E_NS1_11comp_targetILNS1_3genE10ELNS1_11target_archE1200ELNS1_3gpuE4ELNS1_3repE0EEENS1_30default_config_static_selectorELNS0_4arch9wavefront6targetE0EEEvS12_: ; @_ZN7rocprim17ROCPRIM_400000_NS6detail17trampoline_kernelINS0_13select_configILj256ELj13ELNS0_17block_load_methodE3ELS4_3ELS4_3ELNS0_20block_scan_algorithmE0ELj4294967295EEENS1_25partition_config_selectorILNS1_17partition_subalgoE4EjNS0_10empty_typeEbEEZZNS1_14partition_implILS8_4ELb0ES6_15HIP_vector_typeIjLj2EENS0_17counting_iteratorIjlEEPS9_SG_NS0_5tupleIJPjSI_NS0_16reverse_iteratorISI_EEEEENSH_IJSG_SG_SG_EEES9_SI_JZNS1_25segmented_radix_sort_implINS0_14default_configELb0EPKsPsPKlPlN2at6native12_GLOBAL__N_18offset_tEEE10hipError_tPvRmT1_PNSt15iterator_traitsIS12_E10value_typeET2_T3_PNS13_IS18_E10value_typeET4_jRbjT5_S1E_jjP12ihipStream_tbEUljE_ZNSN_ISO_Lb0ESQ_SR_ST_SU_SY_EESZ_S10_S11_S12_S16_S17_S18_S1B_S1C_jS1D_jS1E_S1E_jjS1G_bEUljE0_EEESZ_S10_S11_S18_S1C_S1E_T6_T7_T9_mT8_S1G_bDpT10_ENKUlT_T0_E_clISt17integral_constantIbLb1EES1U_EEDaS1P_S1Q_EUlS1P_E_NS1_11comp_targetILNS1_3genE10ELNS1_11target_archE1200ELNS1_3gpuE4ELNS1_3repE0EEENS1_30default_config_static_selectorELNS0_4arch9wavefront6targetE0EEEvS12_
; %bb.0:
	s_endpgm
	.section	.rodata,"a",@progbits
	.p2align	6, 0x0
	.amdhsa_kernel _ZN7rocprim17ROCPRIM_400000_NS6detail17trampoline_kernelINS0_13select_configILj256ELj13ELNS0_17block_load_methodE3ELS4_3ELS4_3ELNS0_20block_scan_algorithmE0ELj4294967295EEENS1_25partition_config_selectorILNS1_17partition_subalgoE4EjNS0_10empty_typeEbEEZZNS1_14partition_implILS8_4ELb0ES6_15HIP_vector_typeIjLj2EENS0_17counting_iteratorIjlEEPS9_SG_NS0_5tupleIJPjSI_NS0_16reverse_iteratorISI_EEEEENSH_IJSG_SG_SG_EEES9_SI_JZNS1_25segmented_radix_sort_implINS0_14default_configELb0EPKsPsPKlPlN2at6native12_GLOBAL__N_18offset_tEEE10hipError_tPvRmT1_PNSt15iterator_traitsIS12_E10value_typeET2_T3_PNS13_IS18_E10value_typeET4_jRbjT5_S1E_jjP12ihipStream_tbEUljE_ZNSN_ISO_Lb0ESQ_SR_ST_SU_SY_EESZ_S10_S11_S12_S16_S17_S18_S1B_S1C_jS1D_jS1E_S1E_jjS1G_bEUljE0_EEESZ_S10_S11_S18_S1C_S1E_T6_T7_T9_mT8_S1G_bDpT10_ENKUlT_T0_E_clISt17integral_constantIbLb1EES1U_EEDaS1P_S1Q_EUlS1P_E_NS1_11comp_targetILNS1_3genE10ELNS1_11target_archE1200ELNS1_3gpuE4ELNS1_3repE0EEENS1_30default_config_static_selectorELNS0_4arch9wavefront6targetE0EEEvS12_
		.amdhsa_group_segment_fixed_size 0
		.amdhsa_private_segment_fixed_size 0
		.amdhsa_kernarg_size 184
		.amdhsa_user_sgpr_count 2
		.amdhsa_user_sgpr_dispatch_ptr 0
		.amdhsa_user_sgpr_queue_ptr 0
		.amdhsa_user_sgpr_kernarg_segment_ptr 1
		.amdhsa_user_sgpr_dispatch_id 0
		.amdhsa_user_sgpr_private_segment_size 0
		.amdhsa_wavefront_size32 1
		.amdhsa_uses_dynamic_stack 0
		.amdhsa_enable_private_segment 0
		.amdhsa_system_sgpr_workgroup_id_x 1
		.amdhsa_system_sgpr_workgroup_id_y 0
		.amdhsa_system_sgpr_workgroup_id_z 0
		.amdhsa_system_sgpr_workgroup_info 0
		.amdhsa_system_vgpr_workitem_id 0
		.amdhsa_next_free_vgpr 1
		.amdhsa_next_free_sgpr 1
		.amdhsa_reserve_vcc 0
		.amdhsa_float_round_mode_32 0
		.amdhsa_float_round_mode_16_64 0
		.amdhsa_float_denorm_mode_32 3
		.amdhsa_float_denorm_mode_16_64 3
		.amdhsa_fp16_overflow 0
		.amdhsa_workgroup_processor_mode 1
		.amdhsa_memory_ordered 1
		.amdhsa_forward_progress 1
		.amdhsa_inst_pref_size 1
		.amdhsa_round_robin_scheduling 0
		.amdhsa_exception_fp_ieee_invalid_op 0
		.amdhsa_exception_fp_denorm_src 0
		.amdhsa_exception_fp_ieee_div_zero 0
		.amdhsa_exception_fp_ieee_overflow 0
		.amdhsa_exception_fp_ieee_underflow 0
		.amdhsa_exception_fp_ieee_inexact 0
		.amdhsa_exception_int_div_zero 0
	.end_amdhsa_kernel
	.section	.text._ZN7rocprim17ROCPRIM_400000_NS6detail17trampoline_kernelINS0_13select_configILj256ELj13ELNS0_17block_load_methodE3ELS4_3ELS4_3ELNS0_20block_scan_algorithmE0ELj4294967295EEENS1_25partition_config_selectorILNS1_17partition_subalgoE4EjNS0_10empty_typeEbEEZZNS1_14partition_implILS8_4ELb0ES6_15HIP_vector_typeIjLj2EENS0_17counting_iteratorIjlEEPS9_SG_NS0_5tupleIJPjSI_NS0_16reverse_iteratorISI_EEEEENSH_IJSG_SG_SG_EEES9_SI_JZNS1_25segmented_radix_sort_implINS0_14default_configELb0EPKsPsPKlPlN2at6native12_GLOBAL__N_18offset_tEEE10hipError_tPvRmT1_PNSt15iterator_traitsIS12_E10value_typeET2_T3_PNS13_IS18_E10value_typeET4_jRbjT5_S1E_jjP12ihipStream_tbEUljE_ZNSN_ISO_Lb0ESQ_SR_ST_SU_SY_EESZ_S10_S11_S12_S16_S17_S18_S1B_S1C_jS1D_jS1E_S1E_jjS1G_bEUljE0_EEESZ_S10_S11_S18_S1C_S1E_T6_T7_T9_mT8_S1G_bDpT10_ENKUlT_T0_E_clISt17integral_constantIbLb1EES1U_EEDaS1P_S1Q_EUlS1P_E_NS1_11comp_targetILNS1_3genE10ELNS1_11target_archE1200ELNS1_3gpuE4ELNS1_3repE0EEENS1_30default_config_static_selectorELNS0_4arch9wavefront6targetE0EEEvS12_,"axG",@progbits,_ZN7rocprim17ROCPRIM_400000_NS6detail17trampoline_kernelINS0_13select_configILj256ELj13ELNS0_17block_load_methodE3ELS4_3ELS4_3ELNS0_20block_scan_algorithmE0ELj4294967295EEENS1_25partition_config_selectorILNS1_17partition_subalgoE4EjNS0_10empty_typeEbEEZZNS1_14partition_implILS8_4ELb0ES6_15HIP_vector_typeIjLj2EENS0_17counting_iteratorIjlEEPS9_SG_NS0_5tupleIJPjSI_NS0_16reverse_iteratorISI_EEEEENSH_IJSG_SG_SG_EEES9_SI_JZNS1_25segmented_radix_sort_implINS0_14default_configELb0EPKsPsPKlPlN2at6native12_GLOBAL__N_18offset_tEEE10hipError_tPvRmT1_PNSt15iterator_traitsIS12_E10value_typeET2_T3_PNS13_IS18_E10value_typeET4_jRbjT5_S1E_jjP12ihipStream_tbEUljE_ZNSN_ISO_Lb0ESQ_SR_ST_SU_SY_EESZ_S10_S11_S12_S16_S17_S18_S1B_S1C_jS1D_jS1E_S1E_jjS1G_bEUljE0_EEESZ_S10_S11_S18_S1C_S1E_T6_T7_T9_mT8_S1G_bDpT10_ENKUlT_T0_E_clISt17integral_constantIbLb1EES1U_EEDaS1P_S1Q_EUlS1P_E_NS1_11comp_targetILNS1_3genE10ELNS1_11target_archE1200ELNS1_3gpuE4ELNS1_3repE0EEENS1_30default_config_static_selectorELNS0_4arch9wavefront6targetE0EEEvS12_,comdat
.Lfunc_end963:
	.size	_ZN7rocprim17ROCPRIM_400000_NS6detail17trampoline_kernelINS0_13select_configILj256ELj13ELNS0_17block_load_methodE3ELS4_3ELS4_3ELNS0_20block_scan_algorithmE0ELj4294967295EEENS1_25partition_config_selectorILNS1_17partition_subalgoE4EjNS0_10empty_typeEbEEZZNS1_14partition_implILS8_4ELb0ES6_15HIP_vector_typeIjLj2EENS0_17counting_iteratorIjlEEPS9_SG_NS0_5tupleIJPjSI_NS0_16reverse_iteratorISI_EEEEENSH_IJSG_SG_SG_EEES9_SI_JZNS1_25segmented_radix_sort_implINS0_14default_configELb0EPKsPsPKlPlN2at6native12_GLOBAL__N_18offset_tEEE10hipError_tPvRmT1_PNSt15iterator_traitsIS12_E10value_typeET2_T3_PNS13_IS18_E10value_typeET4_jRbjT5_S1E_jjP12ihipStream_tbEUljE_ZNSN_ISO_Lb0ESQ_SR_ST_SU_SY_EESZ_S10_S11_S12_S16_S17_S18_S1B_S1C_jS1D_jS1E_S1E_jjS1G_bEUljE0_EEESZ_S10_S11_S18_S1C_S1E_T6_T7_T9_mT8_S1G_bDpT10_ENKUlT_T0_E_clISt17integral_constantIbLb1EES1U_EEDaS1P_S1Q_EUlS1P_E_NS1_11comp_targetILNS1_3genE10ELNS1_11target_archE1200ELNS1_3gpuE4ELNS1_3repE0EEENS1_30default_config_static_selectorELNS0_4arch9wavefront6targetE0EEEvS12_, .Lfunc_end963-_ZN7rocprim17ROCPRIM_400000_NS6detail17trampoline_kernelINS0_13select_configILj256ELj13ELNS0_17block_load_methodE3ELS4_3ELS4_3ELNS0_20block_scan_algorithmE0ELj4294967295EEENS1_25partition_config_selectorILNS1_17partition_subalgoE4EjNS0_10empty_typeEbEEZZNS1_14partition_implILS8_4ELb0ES6_15HIP_vector_typeIjLj2EENS0_17counting_iteratorIjlEEPS9_SG_NS0_5tupleIJPjSI_NS0_16reverse_iteratorISI_EEEEENSH_IJSG_SG_SG_EEES9_SI_JZNS1_25segmented_radix_sort_implINS0_14default_configELb0EPKsPsPKlPlN2at6native12_GLOBAL__N_18offset_tEEE10hipError_tPvRmT1_PNSt15iterator_traitsIS12_E10value_typeET2_T3_PNS13_IS18_E10value_typeET4_jRbjT5_S1E_jjP12ihipStream_tbEUljE_ZNSN_ISO_Lb0ESQ_SR_ST_SU_SY_EESZ_S10_S11_S12_S16_S17_S18_S1B_S1C_jS1D_jS1E_S1E_jjS1G_bEUljE0_EEESZ_S10_S11_S18_S1C_S1E_T6_T7_T9_mT8_S1G_bDpT10_ENKUlT_T0_E_clISt17integral_constantIbLb1EES1U_EEDaS1P_S1Q_EUlS1P_E_NS1_11comp_targetILNS1_3genE10ELNS1_11target_archE1200ELNS1_3gpuE4ELNS1_3repE0EEENS1_30default_config_static_selectorELNS0_4arch9wavefront6targetE0EEEvS12_
                                        ; -- End function
	.set _ZN7rocprim17ROCPRIM_400000_NS6detail17trampoline_kernelINS0_13select_configILj256ELj13ELNS0_17block_load_methodE3ELS4_3ELS4_3ELNS0_20block_scan_algorithmE0ELj4294967295EEENS1_25partition_config_selectorILNS1_17partition_subalgoE4EjNS0_10empty_typeEbEEZZNS1_14partition_implILS8_4ELb0ES6_15HIP_vector_typeIjLj2EENS0_17counting_iteratorIjlEEPS9_SG_NS0_5tupleIJPjSI_NS0_16reverse_iteratorISI_EEEEENSH_IJSG_SG_SG_EEES9_SI_JZNS1_25segmented_radix_sort_implINS0_14default_configELb0EPKsPsPKlPlN2at6native12_GLOBAL__N_18offset_tEEE10hipError_tPvRmT1_PNSt15iterator_traitsIS12_E10value_typeET2_T3_PNS13_IS18_E10value_typeET4_jRbjT5_S1E_jjP12ihipStream_tbEUljE_ZNSN_ISO_Lb0ESQ_SR_ST_SU_SY_EESZ_S10_S11_S12_S16_S17_S18_S1B_S1C_jS1D_jS1E_S1E_jjS1G_bEUljE0_EEESZ_S10_S11_S18_S1C_S1E_T6_T7_T9_mT8_S1G_bDpT10_ENKUlT_T0_E_clISt17integral_constantIbLb1EES1U_EEDaS1P_S1Q_EUlS1P_E_NS1_11comp_targetILNS1_3genE10ELNS1_11target_archE1200ELNS1_3gpuE4ELNS1_3repE0EEENS1_30default_config_static_selectorELNS0_4arch9wavefront6targetE0EEEvS12_.num_vgpr, 0
	.set _ZN7rocprim17ROCPRIM_400000_NS6detail17trampoline_kernelINS0_13select_configILj256ELj13ELNS0_17block_load_methodE3ELS4_3ELS4_3ELNS0_20block_scan_algorithmE0ELj4294967295EEENS1_25partition_config_selectorILNS1_17partition_subalgoE4EjNS0_10empty_typeEbEEZZNS1_14partition_implILS8_4ELb0ES6_15HIP_vector_typeIjLj2EENS0_17counting_iteratorIjlEEPS9_SG_NS0_5tupleIJPjSI_NS0_16reverse_iteratorISI_EEEEENSH_IJSG_SG_SG_EEES9_SI_JZNS1_25segmented_radix_sort_implINS0_14default_configELb0EPKsPsPKlPlN2at6native12_GLOBAL__N_18offset_tEEE10hipError_tPvRmT1_PNSt15iterator_traitsIS12_E10value_typeET2_T3_PNS13_IS18_E10value_typeET4_jRbjT5_S1E_jjP12ihipStream_tbEUljE_ZNSN_ISO_Lb0ESQ_SR_ST_SU_SY_EESZ_S10_S11_S12_S16_S17_S18_S1B_S1C_jS1D_jS1E_S1E_jjS1G_bEUljE0_EEESZ_S10_S11_S18_S1C_S1E_T6_T7_T9_mT8_S1G_bDpT10_ENKUlT_T0_E_clISt17integral_constantIbLb1EES1U_EEDaS1P_S1Q_EUlS1P_E_NS1_11comp_targetILNS1_3genE10ELNS1_11target_archE1200ELNS1_3gpuE4ELNS1_3repE0EEENS1_30default_config_static_selectorELNS0_4arch9wavefront6targetE0EEEvS12_.num_agpr, 0
	.set _ZN7rocprim17ROCPRIM_400000_NS6detail17trampoline_kernelINS0_13select_configILj256ELj13ELNS0_17block_load_methodE3ELS4_3ELS4_3ELNS0_20block_scan_algorithmE0ELj4294967295EEENS1_25partition_config_selectorILNS1_17partition_subalgoE4EjNS0_10empty_typeEbEEZZNS1_14partition_implILS8_4ELb0ES6_15HIP_vector_typeIjLj2EENS0_17counting_iteratorIjlEEPS9_SG_NS0_5tupleIJPjSI_NS0_16reverse_iteratorISI_EEEEENSH_IJSG_SG_SG_EEES9_SI_JZNS1_25segmented_radix_sort_implINS0_14default_configELb0EPKsPsPKlPlN2at6native12_GLOBAL__N_18offset_tEEE10hipError_tPvRmT1_PNSt15iterator_traitsIS12_E10value_typeET2_T3_PNS13_IS18_E10value_typeET4_jRbjT5_S1E_jjP12ihipStream_tbEUljE_ZNSN_ISO_Lb0ESQ_SR_ST_SU_SY_EESZ_S10_S11_S12_S16_S17_S18_S1B_S1C_jS1D_jS1E_S1E_jjS1G_bEUljE0_EEESZ_S10_S11_S18_S1C_S1E_T6_T7_T9_mT8_S1G_bDpT10_ENKUlT_T0_E_clISt17integral_constantIbLb1EES1U_EEDaS1P_S1Q_EUlS1P_E_NS1_11comp_targetILNS1_3genE10ELNS1_11target_archE1200ELNS1_3gpuE4ELNS1_3repE0EEENS1_30default_config_static_selectorELNS0_4arch9wavefront6targetE0EEEvS12_.numbered_sgpr, 0
	.set _ZN7rocprim17ROCPRIM_400000_NS6detail17trampoline_kernelINS0_13select_configILj256ELj13ELNS0_17block_load_methodE3ELS4_3ELS4_3ELNS0_20block_scan_algorithmE0ELj4294967295EEENS1_25partition_config_selectorILNS1_17partition_subalgoE4EjNS0_10empty_typeEbEEZZNS1_14partition_implILS8_4ELb0ES6_15HIP_vector_typeIjLj2EENS0_17counting_iteratorIjlEEPS9_SG_NS0_5tupleIJPjSI_NS0_16reverse_iteratorISI_EEEEENSH_IJSG_SG_SG_EEES9_SI_JZNS1_25segmented_radix_sort_implINS0_14default_configELb0EPKsPsPKlPlN2at6native12_GLOBAL__N_18offset_tEEE10hipError_tPvRmT1_PNSt15iterator_traitsIS12_E10value_typeET2_T3_PNS13_IS18_E10value_typeET4_jRbjT5_S1E_jjP12ihipStream_tbEUljE_ZNSN_ISO_Lb0ESQ_SR_ST_SU_SY_EESZ_S10_S11_S12_S16_S17_S18_S1B_S1C_jS1D_jS1E_S1E_jjS1G_bEUljE0_EEESZ_S10_S11_S18_S1C_S1E_T6_T7_T9_mT8_S1G_bDpT10_ENKUlT_T0_E_clISt17integral_constantIbLb1EES1U_EEDaS1P_S1Q_EUlS1P_E_NS1_11comp_targetILNS1_3genE10ELNS1_11target_archE1200ELNS1_3gpuE4ELNS1_3repE0EEENS1_30default_config_static_selectorELNS0_4arch9wavefront6targetE0EEEvS12_.num_named_barrier, 0
	.set _ZN7rocprim17ROCPRIM_400000_NS6detail17trampoline_kernelINS0_13select_configILj256ELj13ELNS0_17block_load_methodE3ELS4_3ELS4_3ELNS0_20block_scan_algorithmE0ELj4294967295EEENS1_25partition_config_selectorILNS1_17partition_subalgoE4EjNS0_10empty_typeEbEEZZNS1_14partition_implILS8_4ELb0ES6_15HIP_vector_typeIjLj2EENS0_17counting_iteratorIjlEEPS9_SG_NS0_5tupleIJPjSI_NS0_16reverse_iteratorISI_EEEEENSH_IJSG_SG_SG_EEES9_SI_JZNS1_25segmented_radix_sort_implINS0_14default_configELb0EPKsPsPKlPlN2at6native12_GLOBAL__N_18offset_tEEE10hipError_tPvRmT1_PNSt15iterator_traitsIS12_E10value_typeET2_T3_PNS13_IS18_E10value_typeET4_jRbjT5_S1E_jjP12ihipStream_tbEUljE_ZNSN_ISO_Lb0ESQ_SR_ST_SU_SY_EESZ_S10_S11_S12_S16_S17_S18_S1B_S1C_jS1D_jS1E_S1E_jjS1G_bEUljE0_EEESZ_S10_S11_S18_S1C_S1E_T6_T7_T9_mT8_S1G_bDpT10_ENKUlT_T0_E_clISt17integral_constantIbLb1EES1U_EEDaS1P_S1Q_EUlS1P_E_NS1_11comp_targetILNS1_3genE10ELNS1_11target_archE1200ELNS1_3gpuE4ELNS1_3repE0EEENS1_30default_config_static_selectorELNS0_4arch9wavefront6targetE0EEEvS12_.private_seg_size, 0
	.set _ZN7rocprim17ROCPRIM_400000_NS6detail17trampoline_kernelINS0_13select_configILj256ELj13ELNS0_17block_load_methodE3ELS4_3ELS4_3ELNS0_20block_scan_algorithmE0ELj4294967295EEENS1_25partition_config_selectorILNS1_17partition_subalgoE4EjNS0_10empty_typeEbEEZZNS1_14partition_implILS8_4ELb0ES6_15HIP_vector_typeIjLj2EENS0_17counting_iteratorIjlEEPS9_SG_NS0_5tupleIJPjSI_NS0_16reverse_iteratorISI_EEEEENSH_IJSG_SG_SG_EEES9_SI_JZNS1_25segmented_radix_sort_implINS0_14default_configELb0EPKsPsPKlPlN2at6native12_GLOBAL__N_18offset_tEEE10hipError_tPvRmT1_PNSt15iterator_traitsIS12_E10value_typeET2_T3_PNS13_IS18_E10value_typeET4_jRbjT5_S1E_jjP12ihipStream_tbEUljE_ZNSN_ISO_Lb0ESQ_SR_ST_SU_SY_EESZ_S10_S11_S12_S16_S17_S18_S1B_S1C_jS1D_jS1E_S1E_jjS1G_bEUljE0_EEESZ_S10_S11_S18_S1C_S1E_T6_T7_T9_mT8_S1G_bDpT10_ENKUlT_T0_E_clISt17integral_constantIbLb1EES1U_EEDaS1P_S1Q_EUlS1P_E_NS1_11comp_targetILNS1_3genE10ELNS1_11target_archE1200ELNS1_3gpuE4ELNS1_3repE0EEENS1_30default_config_static_selectorELNS0_4arch9wavefront6targetE0EEEvS12_.uses_vcc, 0
	.set _ZN7rocprim17ROCPRIM_400000_NS6detail17trampoline_kernelINS0_13select_configILj256ELj13ELNS0_17block_load_methodE3ELS4_3ELS4_3ELNS0_20block_scan_algorithmE0ELj4294967295EEENS1_25partition_config_selectorILNS1_17partition_subalgoE4EjNS0_10empty_typeEbEEZZNS1_14partition_implILS8_4ELb0ES6_15HIP_vector_typeIjLj2EENS0_17counting_iteratorIjlEEPS9_SG_NS0_5tupleIJPjSI_NS0_16reverse_iteratorISI_EEEEENSH_IJSG_SG_SG_EEES9_SI_JZNS1_25segmented_radix_sort_implINS0_14default_configELb0EPKsPsPKlPlN2at6native12_GLOBAL__N_18offset_tEEE10hipError_tPvRmT1_PNSt15iterator_traitsIS12_E10value_typeET2_T3_PNS13_IS18_E10value_typeET4_jRbjT5_S1E_jjP12ihipStream_tbEUljE_ZNSN_ISO_Lb0ESQ_SR_ST_SU_SY_EESZ_S10_S11_S12_S16_S17_S18_S1B_S1C_jS1D_jS1E_S1E_jjS1G_bEUljE0_EEESZ_S10_S11_S18_S1C_S1E_T6_T7_T9_mT8_S1G_bDpT10_ENKUlT_T0_E_clISt17integral_constantIbLb1EES1U_EEDaS1P_S1Q_EUlS1P_E_NS1_11comp_targetILNS1_3genE10ELNS1_11target_archE1200ELNS1_3gpuE4ELNS1_3repE0EEENS1_30default_config_static_selectorELNS0_4arch9wavefront6targetE0EEEvS12_.uses_flat_scratch, 0
	.set _ZN7rocprim17ROCPRIM_400000_NS6detail17trampoline_kernelINS0_13select_configILj256ELj13ELNS0_17block_load_methodE3ELS4_3ELS4_3ELNS0_20block_scan_algorithmE0ELj4294967295EEENS1_25partition_config_selectorILNS1_17partition_subalgoE4EjNS0_10empty_typeEbEEZZNS1_14partition_implILS8_4ELb0ES6_15HIP_vector_typeIjLj2EENS0_17counting_iteratorIjlEEPS9_SG_NS0_5tupleIJPjSI_NS0_16reverse_iteratorISI_EEEEENSH_IJSG_SG_SG_EEES9_SI_JZNS1_25segmented_radix_sort_implINS0_14default_configELb0EPKsPsPKlPlN2at6native12_GLOBAL__N_18offset_tEEE10hipError_tPvRmT1_PNSt15iterator_traitsIS12_E10value_typeET2_T3_PNS13_IS18_E10value_typeET4_jRbjT5_S1E_jjP12ihipStream_tbEUljE_ZNSN_ISO_Lb0ESQ_SR_ST_SU_SY_EESZ_S10_S11_S12_S16_S17_S18_S1B_S1C_jS1D_jS1E_S1E_jjS1G_bEUljE0_EEESZ_S10_S11_S18_S1C_S1E_T6_T7_T9_mT8_S1G_bDpT10_ENKUlT_T0_E_clISt17integral_constantIbLb1EES1U_EEDaS1P_S1Q_EUlS1P_E_NS1_11comp_targetILNS1_3genE10ELNS1_11target_archE1200ELNS1_3gpuE4ELNS1_3repE0EEENS1_30default_config_static_selectorELNS0_4arch9wavefront6targetE0EEEvS12_.has_dyn_sized_stack, 0
	.set _ZN7rocprim17ROCPRIM_400000_NS6detail17trampoline_kernelINS0_13select_configILj256ELj13ELNS0_17block_load_methodE3ELS4_3ELS4_3ELNS0_20block_scan_algorithmE0ELj4294967295EEENS1_25partition_config_selectorILNS1_17partition_subalgoE4EjNS0_10empty_typeEbEEZZNS1_14partition_implILS8_4ELb0ES6_15HIP_vector_typeIjLj2EENS0_17counting_iteratorIjlEEPS9_SG_NS0_5tupleIJPjSI_NS0_16reverse_iteratorISI_EEEEENSH_IJSG_SG_SG_EEES9_SI_JZNS1_25segmented_radix_sort_implINS0_14default_configELb0EPKsPsPKlPlN2at6native12_GLOBAL__N_18offset_tEEE10hipError_tPvRmT1_PNSt15iterator_traitsIS12_E10value_typeET2_T3_PNS13_IS18_E10value_typeET4_jRbjT5_S1E_jjP12ihipStream_tbEUljE_ZNSN_ISO_Lb0ESQ_SR_ST_SU_SY_EESZ_S10_S11_S12_S16_S17_S18_S1B_S1C_jS1D_jS1E_S1E_jjS1G_bEUljE0_EEESZ_S10_S11_S18_S1C_S1E_T6_T7_T9_mT8_S1G_bDpT10_ENKUlT_T0_E_clISt17integral_constantIbLb1EES1U_EEDaS1P_S1Q_EUlS1P_E_NS1_11comp_targetILNS1_3genE10ELNS1_11target_archE1200ELNS1_3gpuE4ELNS1_3repE0EEENS1_30default_config_static_selectorELNS0_4arch9wavefront6targetE0EEEvS12_.has_recursion, 0
	.set _ZN7rocprim17ROCPRIM_400000_NS6detail17trampoline_kernelINS0_13select_configILj256ELj13ELNS0_17block_load_methodE3ELS4_3ELS4_3ELNS0_20block_scan_algorithmE0ELj4294967295EEENS1_25partition_config_selectorILNS1_17partition_subalgoE4EjNS0_10empty_typeEbEEZZNS1_14partition_implILS8_4ELb0ES6_15HIP_vector_typeIjLj2EENS0_17counting_iteratorIjlEEPS9_SG_NS0_5tupleIJPjSI_NS0_16reverse_iteratorISI_EEEEENSH_IJSG_SG_SG_EEES9_SI_JZNS1_25segmented_radix_sort_implINS0_14default_configELb0EPKsPsPKlPlN2at6native12_GLOBAL__N_18offset_tEEE10hipError_tPvRmT1_PNSt15iterator_traitsIS12_E10value_typeET2_T3_PNS13_IS18_E10value_typeET4_jRbjT5_S1E_jjP12ihipStream_tbEUljE_ZNSN_ISO_Lb0ESQ_SR_ST_SU_SY_EESZ_S10_S11_S12_S16_S17_S18_S1B_S1C_jS1D_jS1E_S1E_jjS1G_bEUljE0_EEESZ_S10_S11_S18_S1C_S1E_T6_T7_T9_mT8_S1G_bDpT10_ENKUlT_T0_E_clISt17integral_constantIbLb1EES1U_EEDaS1P_S1Q_EUlS1P_E_NS1_11comp_targetILNS1_3genE10ELNS1_11target_archE1200ELNS1_3gpuE4ELNS1_3repE0EEENS1_30default_config_static_selectorELNS0_4arch9wavefront6targetE0EEEvS12_.has_indirect_call, 0
	.section	.AMDGPU.csdata,"",@progbits
; Kernel info:
; codeLenInByte = 4
; TotalNumSgprs: 0
; NumVgprs: 0
; ScratchSize: 0
; MemoryBound: 0
; FloatMode: 240
; IeeeMode: 1
; LDSByteSize: 0 bytes/workgroup (compile time only)
; SGPRBlocks: 0
; VGPRBlocks: 0
; NumSGPRsForWavesPerEU: 1
; NumVGPRsForWavesPerEU: 1
; Occupancy: 16
; WaveLimiterHint : 0
; COMPUTE_PGM_RSRC2:SCRATCH_EN: 0
; COMPUTE_PGM_RSRC2:USER_SGPR: 2
; COMPUTE_PGM_RSRC2:TRAP_HANDLER: 0
; COMPUTE_PGM_RSRC2:TGID_X_EN: 1
; COMPUTE_PGM_RSRC2:TGID_Y_EN: 0
; COMPUTE_PGM_RSRC2:TGID_Z_EN: 0
; COMPUTE_PGM_RSRC2:TIDIG_COMP_CNT: 0
	.section	.text._ZN7rocprim17ROCPRIM_400000_NS6detail17trampoline_kernelINS0_13select_configILj256ELj13ELNS0_17block_load_methodE3ELS4_3ELS4_3ELNS0_20block_scan_algorithmE0ELj4294967295EEENS1_25partition_config_selectorILNS1_17partition_subalgoE4EjNS0_10empty_typeEbEEZZNS1_14partition_implILS8_4ELb0ES6_15HIP_vector_typeIjLj2EENS0_17counting_iteratorIjlEEPS9_SG_NS0_5tupleIJPjSI_NS0_16reverse_iteratorISI_EEEEENSH_IJSG_SG_SG_EEES9_SI_JZNS1_25segmented_radix_sort_implINS0_14default_configELb0EPKsPsPKlPlN2at6native12_GLOBAL__N_18offset_tEEE10hipError_tPvRmT1_PNSt15iterator_traitsIS12_E10value_typeET2_T3_PNS13_IS18_E10value_typeET4_jRbjT5_S1E_jjP12ihipStream_tbEUljE_ZNSN_ISO_Lb0ESQ_SR_ST_SU_SY_EESZ_S10_S11_S12_S16_S17_S18_S1B_S1C_jS1D_jS1E_S1E_jjS1G_bEUljE0_EEESZ_S10_S11_S18_S1C_S1E_T6_T7_T9_mT8_S1G_bDpT10_ENKUlT_T0_E_clISt17integral_constantIbLb1EES1U_EEDaS1P_S1Q_EUlS1P_E_NS1_11comp_targetILNS1_3genE9ELNS1_11target_archE1100ELNS1_3gpuE3ELNS1_3repE0EEENS1_30default_config_static_selectorELNS0_4arch9wavefront6targetE0EEEvS12_,"axG",@progbits,_ZN7rocprim17ROCPRIM_400000_NS6detail17trampoline_kernelINS0_13select_configILj256ELj13ELNS0_17block_load_methodE3ELS4_3ELS4_3ELNS0_20block_scan_algorithmE0ELj4294967295EEENS1_25partition_config_selectorILNS1_17partition_subalgoE4EjNS0_10empty_typeEbEEZZNS1_14partition_implILS8_4ELb0ES6_15HIP_vector_typeIjLj2EENS0_17counting_iteratorIjlEEPS9_SG_NS0_5tupleIJPjSI_NS0_16reverse_iteratorISI_EEEEENSH_IJSG_SG_SG_EEES9_SI_JZNS1_25segmented_radix_sort_implINS0_14default_configELb0EPKsPsPKlPlN2at6native12_GLOBAL__N_18offset_tEEE10hipError_tPvRmT1_PNSt15iterator_traitsIS12_E10value_typeET2_T3_PNS13_IS18_E10value_typeET4_jRbjT5_S1E_jjP12ihipStream_tbEUljE_ZNSN_ISO_Lb0ESQ_SR_ST_SU_SY_EESZ_S10_S11_S12_S16_S17_S18_S1B_S1C_jS1D_jS1E_S1E_jjS1G_bEUljE0_EEESZ_S10_S11_S18_S1C_S1E_T6_T7_T9_mT8_S1G_bDpT10_ENKUlT_T0_E_clISt17integral_constantIbLb1EES1U_EEDaS1P_S1Q_EUlS1P_E_NS1_11comp_targetILNS1_3genE9ELNS1_11target_archE1100ELNS1_3gpuE3ELNS1_3repE0EEENS1_30default_config_static_selectorELNS0_4arch9wavefront6targetE0EEEvS12_,comdat
	.globl	_ZN7rocprim17ROCPRIM_400000_NS6detail17trampoline_kernelINS0_13select_configILj256ELj13ELNS0_17block_load_methodE3ELS4_3ELS4_3ELNS0_20block_scan_algorithmE0ELj4294967295EEENS1_25partition_config_selectorILNS1_17partition_subalgoE4EjNS0_10empty_typeEbEEZZNS1_14partition_implILS8_4ELb0ES6_15HIP_vector_typeIjLj2EENS0_17counting_iteratorIjlEEPS9_SG_NS0_5tupleIJPjSI_NS0_16reverse_iteratorISI_EEEEENSH_IJSG_SG_SG_EEES9_SI_JZNS1_25segmented_radix_sort_implINS0_14default_configELb0EPKsPsPKlPlN2at6native12_GLOBAL__N_18offset_tEEE10hipError_tPvRmT1_PNSt15iterator_traitsIS12_E10value_typeET2_T3_PNS13_IS18_E10value_typeET4_jRbjT5_S1E_jjP12ihipStream_tbEUljE_ZNSN_ISO_Lb0ESQ_SR_ST_SU_SY_EESZ_S10_S11_S12_S16_S17_S18_S1B_S1C_jS1D_jS1E_S1E_jjS1G_bEUljE0_EEESZ_S10_S11_S18_S1C_S1E_T6_T7_T9_mT8_S1G_bDpT10_ENKUlT_T0_E_clISt17integral_constantIbLb1EES1U_EEDaS1P_S1Q_EUlS1P_E_NS1_11comp_targetILNS1_3genE9ELNS1_11target_archE1100ELNS1_3gpuE3ELNS1_3repE0EEENS1_30default_config_static_selectorELNS0_4arch9wavefront6targetE0EEEvS12_ ; -- Begin function _ZN7rocprim17ROCPRIM_400000_NS6detail17trampoline_kernelINS0_13select_configILj256ELj13ELNS0_17block_load_methodE3ELS4_3ELS4_3ELNS0_20block_scan_algorithmE0ELj4294967295EEENS1_25partition_config_selectorILNS1_17partition_subalgoE4EjNS0_10empty_typeEbEEZZNS1_14partition_implILS8_4ELb0ES6_15HIP_vector_typeIjLj2EENS0_17counting_iteratorIjlEEPS9_SG_NS0_5tupleIJPjSI_NS0_16reverse_iteratorISI_EEEEENSH_IJSG_SG_SG_EEES9_SI_JZNS1_25segmented_radix_sort_implINS0_14default_configELb0EPKsPsPKlPlN2at6native12_GLOBAL__N_18offset_tEEE10hipError_tPvRmT1_PNSt15iterator_traitsIS12_E10value_typeET2_T3_PNS13_IS18_E10value_typeET4_jRbjT5_S1E_jjP12ihipStream_tbEUljE_ZNSN_ISO_Lb0ESQ_SR_ST_SU_SY_EESZ_S10_S11_S12_S16_S17_S18_S1B_S1C_jS1D_jS1E_S1E_jjS1G_bEUljE0_EEESZ_S10_S11_S18_S1C_S1E_T6_T7_T9_mT8_S1G_bDpT10_ENKUlT_T0_E_clISt17integral_constantIbLb1EES1U_EEDaS1P_S1Q_EUlS1P_E_NS1_11comp_targetILNS1_3genE9ELNS1_11target_archE1100ELNS1_3gpuE3ELNS1_3repE0EEENS1_30default_config_static_selectorELNS0_4arch9wavefront6targetE0EEEvS12_
	.p2align	8
	.type	_ZN7rocprim17ROCPRIM_400000_NS6detail17trampoline_kernelINS0_13select_configILj256ELj13ELNS0_17block_load_methodE3ELS4_3ELS4_3ELNS0_20block_scan_algorithmE0ELj4294967295EEENS1_25partition_config_selectorILNS1_17partition_subalgoE4EjNS0_10empty_typeEbEEZZNS1_14partition_implILS8_4ELb0ES6_15HIP_vector_typeIjLj2EENS0_17counting_iteratorIjlEEPS9_SG_NS0_5tupleIJPjSI_NS0_16reverse_iteratorISI_EEEEENSH_IJSG_SG_SG_EEES9_SI_JZNS1_25segmented_radix_sort_implINS0_14default_configELb0EPKsPsPKlPlN2at6native12_GLOBAL__N_18offset_tEEE10hipError_tPvRmT1_PNSt15iterator_traitsIS12_E10value_typeET2_T3_PNS13_IS18_E10value_typeET4_jRbjT5_S1E_jjP12ihipStream_tbEUljE_ZNSN_ISO_Lb0ESQ_SR_ST_SU_SY_EESZ_S10_S11_S12_S16_S17_S18_S1B_S1C_jS1D_jS1E_S1E_jjS1G_bEUljE0_EEESZ_S10_S11_S18_S1C_S1E_T6_T7_T9_mT8_S1G_bDpT10_ENKUlT_T0_E_clISt17integral_constantIbLb1EES1U_EEDaS1P_S1Q_EUlS1P_E_NS1_11comp_targetILNS1_3genE9ELNS1_11target_archE1100ELNS1_3gpuE3ELNS1_3repE0EEENS1_30default_config_static_selectorELNS0_4arch9wavefront6targetE0EEEvS12_,@function
_ZN7rocprim17ROCPRIM_400000_NS6detail17trampoline_kernelINS0_13select_configILj256ELj13ELNS0_17block_load_methodE3ELS4_3ELS4_3ELNS0_20block_scan_algorithmE0ELj4294967295EEENS1_25partition_config_selectorILNS1_17partition_subalgoE4EjNS0_10empty_typeEbEEZZNS1_14partition_implILS8_4ELb0ES6_15HIP_vector_typeIjLj2EENS0_17counting_iteratorIjlEEPS9_SG_NS0_5tupleIJPjSI_NS0_16reverse_iteratorISI_EEEEENSH_IJSG_SG_SG_EEES9_SI_JZNS1_25segmented_radix_sort_implINS0_14default_configELb0EPKsPsPKlPlN2at6native12_GLOBAL__N_18offset_tEEE10hipError_tPvRmT1_PNSt15iterator_traitsIS12_E10value_typeET2_T3_PNS13_IS18_E10value_typeET4_jRbjT5_S1E_jjP12ihipStream_tbEUljE_ZNSN_ISO_Lb0ESQ_SR_ST_SU_SY_EESZ_S10_S11_S12_S16_S17_S18_S1B_S1C_jS1D_jS1E_S1E_jjS1G_bEUljE0_EEESZ_S10_S11_S18_S1C_S1E_T6_T7_T9_mT8_S1G_bDpT10_ENKUlT_T0_E_clISt17integral_constantIbLb1EES1U_EEDaS1P_S1Q_EUlS1P_E_NS1_11comp_targetILNS1_3genE9ELNS1_11target_archE1100ELNS1_3gpuE3ELNS1_3repE0EEENS1_30default_config_static_selectorELNS0_4arch9wavefront6targetE0EEEvS12_: ; @_ZN7rocprim17ROCPRIM_400000_NS6detail17trampoline_kernelINS0_13select_configILj256ELj13ELNS0_17block_load_methodE3ELS4_3ELS4_3ELNS0_20block_scan_algorithmE0ELj4294967295EEENS1_25partition_config_selectorILNS1_17partition_subalgoE4EjNS0_10empty_typeEbEEZZNS1_14partition_implILS8_4ELb0ES6_15HIP_vector_typeIjLj2EENS0_17counting_iteratorIjlEEPS9_SG_NS0_5tupleIJPjSI_NS0_16reverse_iteratorISI_EEEEENSH_IJSG_SG_SG_EEES9_SI_JZNS1_25segmented_radix_sort_implINS0_14default_configELb0EPKsPsPKlPlN2at6native12_GLOBAL__N_18offset_tEEE10hipError_tPvRmT1_PNSt15iterator_traitsIS12_E10value_typeET2_T3_PNS13_IS18_E10value_typeET4_jRbjT5_S1E_jjP12ihipStream_tbEUljE_ZNSN_ISO_Lb0ESQ_SR_ST_SU_SY_EESZ_S10_S11_S12_S16_S17_S18_S1B_S1C_jS1D_jS1E_S1E_jjS1G_bEUljE0_EEESZ_S10_S11_S18_S1C_S1E_T6_T7_T9_mT8_S1G_bDpT10_ENKUlT_T0_E_clISt17integral_constantIbLb1EES1U_EEDaS1P_S1Q_EUlS1P_E_NS1_11comp_targetILNS1_3genE9ELNS1_11target_archE1100ELNS1_3gpuE3ELNS1_3repE0EEENS1_30default_config_static_selectorELNS0_4arch9wavefront6targetE0EEEvS12_
; %bb.0:
	.section	.rodata,"a",@progbits
	.p2align	6, 0x0
	.amdhsa_kernel _ZN7rocprim17ROCPRIM_400000_NS6detail17trampoline_kernelINS0_13select_configILj256ELj13ELNS0_17block_load_methodE3ELS4_3ELS4_3ELNS0_20block_scan_algorithmE0ELj4294967295EEENS1_25partition_config_selectorILNS1_17partition_subalgoE4EjNS0_10empty_typeEbEEZZNS1_14partition_implILS8_4ELb0ES6_15HIP_vector_typeIjLj2EENS0_17counting_iteratorIjlEEPS9_SG_NS0_5tupleIJPjSI_NS0_16reverse_iteratorISI_EEEEENSH_IJSG_SG_SG_EEES9_SI_JZNS1_25segmented_radix_sort_implINS0_14default_configELb0EPKsPsPKlPlN2at6native12_GLOBAL__N_18offset_tEEE10hipError_tPvRmT1_PNSt15iterator_traitsIS12_E10value_typeET2_T3_PNS13_IS18_E10value_typeET4_jRbjT5_S1E_jjP12ihipStream_tbEUljE_ZNSN_ISO_Lb0ESQ_SR_ST_SU_SY_EESZ_S10_S11_S12_S16_S17_S18_S1B_S1C_jS1D_jS1E_S1E_jjS1G_bEUljE0_EEESZ_S10_S11_S18_S1C_S1E_T6_T7_T9_mT8_S1G_bDpT10_ENKUlT_T0_E_clISt17integral_constantIbLb1EES1U_EEDaS1P_S1Q_EUlS1P_E_NS1_11comp_targetILNS1_3genE9ELNS1_11target_archE1100ELNS1_3gpuE3ELNS1_3repE0EEENS1_30default_config_static_selectorELNS0_4arch9wavefront6targetE0EEEvS12_
		.amdhsa_group_segment_fixed_size 0
		.amdhsa_private_segment_fixed_size 0
		.amdhsa_kernarg_size 184
		.amdhsa_user_sgpr_count 2
		.amdhsa_user_sgpr_dispatch_ptr 0
		.amdhsa_user_sgpr_queue_ptr 0
		.amdhsa_user_sgpr_kernarg_segment_ptr 1
		.amdhsa_user_sgpr_dispatch_id 0
		.amdhsa_user_sgpr_private_segment_size 0
		.amdhsa_wavefront_size32 1
		.amdhsa_uses_dynamic_stack 0
		.amdhsa_enable_private_segment 0
		.amdhsa_system_sgpr_workgroup_id_x 1
		.amdhsa_system_sgpr_workgroup_id_y 0
		.amdhsa_system_sgpr_workgroup_id_z 0
		.amdhsa_system_sgpr_workgroup_info 0
		.amdhsa_system_vgpr_workitem_id 0
		.amdhsa_next_free_vgpr 1
		.amdhsa_next_free_sgpr 1
		.amdhsa_reserve_vcc 0
		.amdhsa_float_round_mode_32 0
		.amdhsa_float_round_mode_16_64 0
		.amdhsa_float_denorm_mode_32 3
		.amdhsa_float_denorm_mode_16_64 3
		.amdhsa_fp16_overflow 0
		.amdhsa_workgroup_processor_mode 1
		.amdhsa_memory_ordered 1
		.amdhsa_forward_progress 1
		.amdhsa_inst_pref_size 0
		.amdhsa_round_robin_scheduling 0
		.amdhsa_exception_fp_ieee_invalid_op 0
		.amdhsa_exception_fp_denorm_src 0
		.amdhsa_exception_fp_ieee_div_zero 0
		.amdhsa_exception_fp_ieee_overflow 0
		.amdhsa_exception_fp_ieee_underflow 0
		.amdhsa_exception_fp_ieee_inexact 0
		.amdhsa_exception_int_div_zero 0
	.end_amdhsa_kernel
	.section	.text._ZN7rocprim17ROCPRIM_400000_NS6detail17trampoline_kernelINS0_13select_configILj256ELj13ELNS0_17block_load_methodE3ELS4_3ELS4_3ELNS0_20block_scan_algorithmE0ELj4294967295EEENS1_25partition_config_selectorILNS1_17partition_subalgoE4EjNS0_10empty_typeEbEEZZNS1_14partition_implILS8_4ELb0ES6_15HIP_vector_typeIjLj2EENS0_17counting_iteratorIjlEEPS9_SG_NS0_5tupleIJPjSI_NS0_16reverse_iteratorISI_EEEEENSH_IJSG_SG_SG_EEES9_SI_JZNS1_25segmented_radix_sort_implINS0_14default_configELb0EPKsPsPKlPlN2at6native12_GLOBAL__N_18offset_tEEE10hipError_tPvRmT1_PNSt15iterator_traitsIS12_E10value_typeET2_T3_PNS13_IS18_E10value_typeET4_jRbjT5_S1E_jjP12ihipStream_tbEUljE_ZNSN_ISO_Lb0ESQ_SR_ST_SU_SY_EESZ_S10_S11_S12_S16_S17_S18_S1B_S1C_jS1D_jS1E_S1E_jjS1G_bEUljE0_EEESZ_S10_S11_S18_S1C_S1E_T6_T7_T9_mT8_S1G_bDpT10_ENKUlT_T0_E_clISt17integral_constantIbLb1EES1U_EEDaS1P_S1Q_EUlS1P_E_NS1_11comp_targetILNS1_3genE9ELNS1_11target_archE1100ELNS1_3gpuE3ELNS1_3repE0EEENS1_30default_config_static_selectorELNS0_4arch9wavefront6targetE0EEEvS12_,"axG",@progbits,_ZN7rocprim17ROCPRIM_400000_NS6detail17trampoline_kernelINS0_13select_configILj256ELj13ELNS0_17block_load_methodE3ELS4_3ELS4_3ELNS0_20block_scan_algorithmE0ELj4294967295EEENS1_25partition_config_selectorILNS1_17partition_subalgoE4EjNS0_10empty_typeEbEEZZNS1_14partition_implILS8_4ELb0ES6_15HIP_vector_typeIjLj2EENS0_17counting_iteratorIjlEEPS9_SG_NS0_5tupleIJPjSI_NS0_16reverse_iteratorISI_EEEEENSH_IJSG_SG_SG_EEES9_SI_JZNS1_25segmented_radix_sort_implINS0_14default_configELb0EPKsPsPKlPlN2at6native12_GLOBAL__N_18offset_tEEE10hipError_tPvRmT1_PNSt15iterator_traitsIS12_E10value_typeET2_T3_PNS13_IS18_E10value_typeET4_jRbjT5_S1E_jjP12ihipStream_tbEUljE_ZNSN_ISO_Lb0ESQ_SR_ST_SU_SY_EESZ_S10_S11_S12_S16_S17_S18_S1B_S1C_jS1D_jS1E_S1E_jjS1G_bEUljE0_EEESZ_S10_S11_S18_S1C_S1E_T6_T7_T9_mT8_S1G_bDpT10_ENKUlT_T0_E_clISt17integral_constantIbLb1EES1U_EEDaS1P_S1Q_EUlS1P_E_NS1_11comp_targetILNS1_3genE9ELNS1_11target_archE1100ELNS1_3gpuE3ELNS1_3repE0EEENS1_30default_config_static_selectorELNS0_4arch9wavefront6targetE0EEEvS12_,comdat
.Lfunc_end964:
	.size	_ZN7rocprim17ROCPRIM_400000_NS6detail17trampoline_kernelINS0_13select_configILj256ELj13ELNS0_17block_load_methodE3ELS4_3ELS4_3ELNS0_20block_scan_algorithmE0ELj4294967295EEENS1_25partition_config_selectorILNS1_17partition_subalgoE4EjNS0_10empty_typeEbEEZZNS1_14partition_implILS8_4ELb0ES6_15HIP_vector_typeIjLj2EENS0_17counting_iteratorIjlEEPS9_SG_NS0_5tupleIJPjSI_NS0_16reverse_iteratorISI_EEEEENSH_IJSG_SG_SG_EEES9_SI_JZNS1_25segmented_radix_sort_implINS0_14default_configELb0EPKsPsPKlPlN2at6native12_GLOBAL__N_18offset_tEEE10hipError_tPvRmT1_PNSt15iterator_traitsIS12_E10value_typeET2_T3_PNS13_IS18_E10value_typeET4_jRbjT5_S1E_jjP12ihipStream_tbEUljE_ZNSN_ISO_Lb0ESQ_SR_ST_SU_SY_EESZ_S10_S11_S12_S16_S17_S18_S1B_S1C_jS1D_jS1E_S1E_jjS1G_bEUljE0_EEESZ_S10_S11_S18_S1C_S1E_T6_T7_T9_mT8_S1G_bDpT10_ENKUlT_T0_E_clISt17integral_constantIbLb1EES1U_EEDaS1P_S1Q_EUlS1P_E_NS1_11comp_targetILNS1_3genE9ELNS1_11target_archE1100ELNS1_3gpuE3ELNS1_3repE0EEENS1_30default_config_static_selectorELNS0_4arch9wavefront6targetE0EEEvS12_, .Lfunc_end964-_ZN7rocprim17ROCPRIM_400000_NS6detail17trampoline_kernelINS0_13select_configILj256ELj13ELNS0_17block_load_methodE3ELS4_3ELS4_3ELNS0_20block_scan_algorithmE0ELj4294967295EEENS1_25partition_config_selectorILNS1_17partition_subalgoE4EjNS0_10empty_typeEbEEZZNS1_14partition_implILS8_4ELb0ES6_15HIP_vector_typeIjLj2EENS0_17counting_iteratorIjlEEPS9_SG_NS0_5tupleIJPjSI_NS0_16reverse_iteratorISI_EEEEENSH_IJSG_SG_SG_EEES9_SI_JZNS1_25segmented_radix_sort_implINS0_14default_configELb0EPKsPsPKlPlN2at6native12_GLOBAL__N_18offset_tEEE10hipError_tPvRmT1_PNSt15iterator_traitsIS12_E10value_typeET2_T3_PNS13_IS18_E10value_typeET4_jRbjT5_S1E_jjP12ihipStream_tbEUljE_ZNSN_ISO_Lb0ESQ_SR_ST_SU_SY_EESZ_S10_S11_S12_S16_S17_S18_S1B_S1C_jS1D_jS1E_S1E_jjS1G_bEUljE0_EEESZ_S10_S11_S18_S1C_S1E_T6_T7_T9_mT8_S1G_bDpT10_ENKUlT_T0_E_clISt17integral_constantIbLb1EES1U_EEDaS1P_S1Q_EUlS1P_E_NS1_11comp_targetILNS1_3genE9ELNS1_11target_archE1100ELNS1_3gpuE3ELNS1_3repE0EEENS1_30default_config_static_selectorELNS0_4arch9wavefront6targetE0EEEvS12_
                                        ; -- End function
	.set _ZN7rocprim17ROCPRIM_400000_NS6detail17trampoline_kernelINS0_13select_configILj256ELj13ELNS0_17block_load_methodE3ELS4_3ELS4_3ELNS0_20block_scan_algorithmE0ELj4294967295EEENS1_25partition_config_selectorILNS1_17partition_subalgoE4EjNS0_10empty_typeEbEEZZNS1_14partition_implILS8_4ELb0ES6_15HIP_vector_typeIjLj2EENS0_17counting_iteratorIjlEEPS9_SG_NS0_5tupleIJPjSI_NS0_16reverse_iteratorISI_EEEEENSH_IJSG_SG_SG_EEES9_SI_JZNS1_25segmented_radix_sort_implINS0_14default_configELb0EPKsPsPKlPlN2at6native12_GLOBAL__N_18offset_tEEE10hipError_tPvRmT1_PNSt15iterator_traitsIS12_E10value_typeET2_T3_PNS13_IS18_E10value_typeET4_jRbjT5_S1E_jjP12ihipStream_tbEUljE_ZNSN_ISO_Lb0ESQ_SR_ST_SU_SY_EESZ_S10_S11_S12_S16_S17_S18_S1B_S1C_jS1D_jS1E_S1E_jjS1G_bEUljE0_EEESZ_S10_S11_S18_S1C_S1E_T6_T7_T9_mT8_S1G_bDpT10_ENKUlT_T0_E_clISt17integral_constantIbLb1EES1U_EEDaS1P_S1Q_EUlS1P_E_NS1_11comp_targetILNS1_3genE9ELNS1_11target_archE1100ELNS1_3gpuE3ELNS1_3repE0EEENS1_30default_config_static_selectorELNS0_4arch9wavefront6targetE0EEEvS12_.num_vgpr, 0
	.set _ZN7rocprim17ROCPRIM_400000_NS6detail17trampoline_kernelINS0_13select_configILj256ELj13ELNS0_17block_load_methodE3ELS4_3ELS4_3ELNS0_20block_scan_algorithmE0ELj4294967295EEENS1_25partition_config_selectorILNS1_17partition_subalgoE4EjNS0_10empty_typeEbEEZZNS1_14partition_implILS8_4ELb0ES6_15HIP_vector_typeIjLj2EENS0_17counting_iteratorIjlEEPS9_SG_NS0_5tupleIJPjSI_NS0_16reverse_iteratorISI_EEEEENSH_IJSG_SG_SG_EEES9_SI_JZNS1_25segmented_radix_sort_implINS0_14default_configELb0EPKsPsPKlPlN2at6native12_GLOBAL__N_18offset_tEEE10hipError_tPvRmT1_PNSt15iterator_traitsIS12_E10value_typeET2_T3_PNS13_IS18_E10value_typeET4_jRbjT5_S1E_jjP12ihipStream_tbEUljE_ZNSN_ISO_Lb0ESQ_SR_ST_SU_SY_EESZ_S10_S11_S12_S16_S17_S18_S1B_S1C_jS1D_jS1E_S1E_jjS1G_bEUljE0_EEESZ_S10_S11_S18_S1C_S1E_T6_T7_T9_mT8_S1G_bDpT10_ENKUlT_T0_E_clISt17integral_constantIbLb1EES1U_EEDaS1P_S1Q_EUlS1P_E_NS1_11comp_targetILNS1_3genE9ELNS1_11target_archE1100ELNS1_3gpuE3ELNS1_3repE0EEENS1_30default_config_static_selectorELNS0_4arch9wavefront6targetE0EEEvS12_.num_agpr, 0
	.set _ZN7rocprim17ROCPRIM_400000_NS6detail17trampoline_kernelINS0_13select_configILj256ELj13ELNS0_17block_load_methodE3ELS4_3ELS4_3ELNS0_20block_scan_algorithmE0ELj4294967295EEENS1_25partition_config_selectorILNS1_17partition_subalgoE4EjNS0_10empty_typeEbEEZZNS1_14partition_implILS8_4ELb0ES6_15HIP_vector_typeIjLj2EENS0_17counting_iteratorIjlEEPS9_SG_NS0_5tupleIJPjSI_NS0_16reverse_iteratorISI_EEEEENSH_IJSG_SG_SG_EEES9_SI_JZNS1_25segmented_radix_sort_implINS0_14default_configELb0EPKsPsPKlPlN2at6native12_GLOBAL__N_18offset_tEEE10hipError_tPvRmT1_PNSt15iterator_traitsIS12_E10value_typeET2_T3_PNS13_IS18_E10value_typeET4_jRbjT5_S1E_jjP12ihipStream_tbEUljE_ZNSN_ISO_Lb0ESQ_SR_ST_SU_SY_EESZ_S10_S11_S12_S16_S17_S18_S1B_S1C_jS1D_jS1E_S1E_jjS1G_bEUljE0_EEESZ_S10_S11_S18_S1C_S1E_T6_T7_T9_mT8_S1G_bDpT10_ENKUlT_T0_E_clISt17integral_constantIbLb1EES1U_EEDaS1P_S1Q_EUlS1P_E_NS1_11comp_targetILNS1_3genE9ELNS1_11target_archE1100ELNS1_3gpuE3ELNS1_3repE0EEENS1_30default_config_static_selectorELNS0_4arch9wavefront6targetE0EEEvS12_.numbered_sgpr, 0
	.set _ZN7rocprim17ROCPRIM_400000_NS6detail17trampoline_kernelINS0_13select_configILj256ELj13ELNS0_17block_load_methodE3ELS4_3ELS4_3ELNS0_20block_scan_algorithmE0ELj4294967295EEENS1_25partition_config_selectorILNS1_17partition_subalgoE4EjNS0_10empty_typeEbEEZZNS1_14partition_implILS8_4ELb0ES6_15HIP_vector_typeIjLj2EENS0_17counting_iteratorIjlEEPS9_SG_NS0_5tupleIJPjSI_NS0_16reverse_iteratorISI_EEEEENSH_IJSG_SG_SG_EEES9_SI_JZNS1_25segmented_radix_sort_implINS0_14default_configELb0EPKsPsPKlPlN2at6native12_GLOBAL__N_18offset_tEEE10hipError_tPvRmT1_PNSt15iterator_traitsIS12_E10value_typeET2_T3_PNS13_IS18_E10value_typeET4_jRbjT5_S1E_jjP12ihipStream_tbEUljE_ZNSN_ISO_Lb0ESQ_SR_ST_SU_SY_EESZ_S10_S11_S12_S16_S17_S18_S1B_S1C_jS1D_jS1E_S1E_jjS1G_bEUljE0_EEESZ_S10_S11_S18_S1C_S1E_T6_T7_T9_mT8_S1G_bDpT10_ENKUlT_T0_E_clISt17integral_constantIbLb1EES1U_EEDaS1P_S1Q_EUlS1P_E_NS1_11comp_targetILNS1_3genE9ELNS1_11target_archE1100ELNS1_3gpuE3ELNS1_3repE0EEENS1_30default_config_static_selectorELNS0_4arch9wavefront6targetE0EEEvS12_.num_named_barrier, 0
	.set _ZN7rocprim17ROCPRIM_400000_NS6detail17trampoline_kernelINS0_13select_configILj256ELj13ELNS0_17block_load_methodE3ELS4_3ELS4_3ELNS0_20block_scan_algorithmE0ELj4294967295EEENS1_25partition_config_selectorILNS1_17partition_subalgoE4EjNS0_10empty_typeEbEEZZNS1_14partition_implILS8_4ELb0ES6_15HIP_vector_typeIjLj2EENS0_17counting_iteratorIjlEEPS9_SG_NS0_5tupleIJPjSI_NS0_16reverse_iteratorISI_EEEEENSH_IJSG_SG_SG_EEES9_SI_JZNS1_25segmented_radix_sort_implINS0_14default_configELb0EPKsPsPKlPlN2at6native12_GLOBAL__N_18offset_tEEE10hipError_tPvRmT1_PNSt15iterator_traitsIS12_E10value_typeET2_T3_PNS13_IS18_E10value_typeET4_jRbjT5_S1E_jjP12ihipStream_tbEUljE_ZNSN_ISO_Lb0ESQ_SR_ST_SU_SY_EESZ_S10_S11_S12_S16_S17_S18_S1B_S1C_jS1D_jS1E_S1E_jjS1G_bEUljE0_EEESZ_S10_S11_S18_S1C_S1E_T6_T7_T9_mT8_S1G_bDpT10_ENKUlT_T0_E_clISt17integral_constantIbLb1EES1U_EEDaS1P_S1Q_EUlS1P_E_NS1_11comp_targetILNS1_3genE9ELNS1_11target_archE1100ELNS1_3gpuE3ELNS1_3repE0EEENS1_30default_config_static_selectorELNS0_4arch9wavefront6targetE0EEEvS12_.private_seg_size, 0
	.set _ZN7rocprim17ROCPRIM_400000_NS6detail17trampoline_kernelINS0_13select_configILj256ELj13ELNS0_17block_load_methodE3ELS4_3ELS4_3ELNS0_20block_scan_algorithmE0ELj4294967295EEENS1_25partition_config_selectorILNS1_17partition_subalgoE4EjNS0_10empty_typeEbEEZZNS1_14partition_implILS8_4ELb0ES6_15HIP_vector_typeIjLj2EENS0_17counting_iteratorIjlEEPS9_SG_NS0_5tupleIJPjSI_NS0_16reverse_iteratorISI_EEEEENSH_IJSG_SG_SG_EEES9_SI_JZNS1_25segmented_radix_sort_implINS0_14default_configELb0EPKsPsPKlPlN2at6native12_GLOBAL__N_18offset_tEEE10hipError_tPvRmT1_PNSt15iterator_traitsIS12_E10value_typeET2_T3_PNS13_IS18_E10value_typeET4_jRbjT5_S1E_jjP12ihipStream_tbEUljE_ZNSN_ISO_Lb0ESQ_SR_ST_SU_SY_EESZ_S10_S11_S12_S16_S17_S18_S1B_S1C_jS1D_jS1E_S1E_jjS1G_bEUljE0_EEESZ_S10_S11_S18_S1C_S1E_T6_T7_T9_mT8_S1G_bDpT10_ENKUlT_T0_E_clISt17integral_constantIbLb1EES1U_EEDaS1P_S1Q_EUlS1P_E_NS1_11comp_targetILNS1_3genE9ELNS1_11target_archE1100ELNS1_3gpuE3ELNS1_3repE0EEENS1_30default_config_static_selectorELNS0_4arch9wavefront6targetE0EEEvS12_.uses_vcc, 0
	.set _ZN7rocprim17ROCPRIM_400000_NS6detail17trampoline_kernelINS0_13select_configILj256ELj13ELNS0_17block_load_methodE3ELS4_3ELS4_3ELNS0_20block_scan_algorithmE0ELj4294967295EEENS1_25partition_config_selectorILNS1_17partition_subalgoE4EjNS0_10empty_typeEbEEZZNS1_14partition_implILS8_4ELb0ES6_15HIP_vector_typeIjLj2EENS0_17counting_iteratorIjlEEPS9_SG_NS0_5tupleIJPjSI_NS0_16reverse_iteratorISI_EEEEENSH_IJSG_SG_SG_EEES9_SI_JZNS1_25segmented_radix_sort_implINS0_14default_configELb0EPKsPsPKlPlN2at6native12_GLOBAL__N_18offset_tEEE10hipError_tPvRmT1_PNSt15iterator_traitsIS12_E10value_typeET2_T3_PNS13_IS18_E10value_typeET4_jRbjT5_S1E_jjP12ihipStream_tbEUljE_ZNSN_ISO_Lb0ESQ_SR_ST_SU_SY_EESZ_S10_S11_S12_S16_S17_S18_S1B_S1C_jS1D_jS1E_S1E_jjS1G_bEUljE0_EEESZ_S10_S11_S18_S1C_S1E_T6_T7_T9_mT8_S1G_bDpT10_ENKUlT_T0_E_clISt17integral_constantIbLb1EES1U_EEDaS1P_S1Q_EUlS1P_E_NS1_11comp_targetILNS1_3genE9ELNS1_11target_archE1100ELNS1_3gpuE3ELNS1_3repE0EEENS1_30default_config_static_selectorELNS0_4arch9wavefront6targetE0EEEvS12_.uses_flat_scratch, 0
	.set _ZN7rocprim17ROCPRIM_400000_NS6detail17trampoline_kernelINS0_13select_configILj256ELj13ELNS0_17block_load_methodE3ELS4_3ELS4_3ELNS0_20block_scan_algorithmE0ELj4294967295EEENS1_25partition_config_selectorILNS1_17partition_subalgoE4EjNS0_10empty_typeEbEEZZNS1_14partition_implILS8_4ELb0ES6_15HIP_vector_typeIjLj2EENS0_17counting_iteratorIjlEEPS9_SG_NS0_5tupleIJPjSI_NS0_16reverse_iteratorISI_EEEEENSH_IJSG_SG_SG_EEES9_SI_JZNS1_25segmented_radix_sort_implINS0_14default_configELb0EPKsPsPKlPlN2at6native12_GLOBAL__N_18offset_tEEE10hipError_tPvRmT1_PNSt15iterator_traitsIS12_E10value_typeET2_T3_PNS13_IS18_E10value_typeET4_jRbjT5_S1E_jjP12ihipStream_tbEUljE_ZNSN_ISO_Lb0ESQ_SR_ST_SU_SY_EESZ_S10_S11_S12_S16_S17_S18_S1B_S1C_jS1D_jS1E_S1E_jjS1G_bEUljE0_EEESZ_S10_S11_S18_S1C_S1E_T6_T7_T9_mT8_S1G_bDpT10_ENKUlT_T0_E_clISt17integral_constantIbLb1EES1U_EEDaS1P_S1Q_EUlS1P_E_NS1_11comp_targetILNS1_3genE9ELNS1_11target_archE1100ELNS1_3gpuE3ELNS1_3repE0EEENS1_30default_config_static_selectorELNS0_4arch9wavefront6targetE0EEEvS12_.has_dyn_sized_stack, 0
	.set _ZN7rocprim17ROCPRIM_400000_NS6detail17trampoline_kernelINS0_13select_configILj256ELj13ELNS0_17block_load_methodE3ELS4_3ELS4_3ELNS0_20block_scan_algorithmE0ELj4294967295EEENS1_25partition_config_selectorILNS1_17partition_subalgoE4EjNS0_10empty_typeEbEEZZNS1_14partition_implILS8_4ELb0ES6_15HIP_vector_typeIjLj2EENS0_17counting_iteratorIjlEEPS9_SG_NS0_5tupleIJPjSI_NS0_16reverse_iteratorISI_EEEEENSH_IJSG_SG_SG_EEES9_SI_JZNS1_25segmented_radix_sort_implINS0_14default_configELb0EPKsPsPKlPlN2at6native12_GLOBAL__N_18offset_tEEE10hipError_tPvRmT1_PNSt15iterator_traitsIS12_E10value_typeET2_T3_PNS13_IS18_E10value_typeET4_jRbjT5_S1E_jjP12ihipStream_tbEUljE_ZNSN_ISO_Lb0ESQ_SR_ST_SU_SY_EESZ_S10_S11_S12_S16_S17_S18_S1B_S1C_jS1D_jS1E_S1E_jjS1G_bEUljE0_EEESZ_S10_S11_S18_S1C_S1E_T6_T7_T9_mT8_S1G_bDpT10_ENKUlT_T0_E_clISt17integral_constantIbLb1EES1U_EEDaS1P_S1Q_EUlS1P_E_NS1_11comp_targetILNS1_3genE9ELNS1_11target_archE1100ELNS1_3gpuE3ELNS1_3repE0EEENS1_30default_config_static_selectorELNS0_4arch9wavefront6targetE0EEEvS12_.has_recursion, 0
	.set _ZN7rocprim17ROCPRIM_400000_NS6detail17trampoline_kernelINS0_13select_configILj256ELj13ELNS0_17block_load_methodE3ELS4_3ELS4_3ELNS0_20block_scan_algorithmE0ELj4294967295EEENS1_25partition_config_selectorILNS1_17partition_subalgoE4EjNS0_10empty_typeEbEEZZNS1_14partition_implILS8_4ELb0ES6_15HIP_vector_typeIjLj2EENS0_17counting_iteratorIjlEEPS9_SG_NS0_5tupleIJPjSI_NS0_16reverse_iteratorISI_EEEEENSH_IJSG_SG_SG_EEES9_SI_JZNS1_25segmented_radix_sort_implINS0_14default_configELb0EPKsPsPKlPlN2at6native12_GLOBAL__N_18offset_tEEE10hipError_tPvRmT1_PNSt15iterator_traitsIS12_E10value_typeET2_T3_PNS13_IS18_E10value_typeET4_jRbjT5_S1E_jjP12ihipStream_tbEUljE_ZNSN_ISO_Lb0ESQ_SR_ST_SU_SY_EESZ_S10_S11_S12_S16_S17_S18_S1B_S1C_jS1D_jS1E_S1E_jjS1G_bEUljE0_EEESZ_S10_S11_S18_S1C_S1E_T6_T7_T9_mT8_S1G_bDpT10_ENKUlT_T0_E_clISt17integral_constantIbLb1EES1U_EEDaS1P_S1Q_EUlS1P_E_NS1_11comp_targetILNS1_3genE9ELNS1_11target_archE1100ELNS1_3gpuE3ELNS1_3repE0EEENS1_30default_config_static_selectorELNS0_4arch9wavefront6targetE0EEEvS12_.has_indirect_call, 0
	.section	.AMDGPU.csdata,"",@progbits
; Kernel info:
; codeLenInByte = 0
; TotalNumSgprs: 0
; NumVgprs: 0
; ScratchSize: 0
; MemoryBound: 0
; FloatMode: 240
; IeeeMode: 1
; LDSByteSize: 0 bytes/workgroup (compile time only)
; SGPRBlocks: 0
; VGPRBlocks: 0
; NumSGPRsForWavesPerEU: 1
; NumVGPRsForWavesPerEU: 1
; Occupancy: 16
; WaveLimiterHint : 0
; COMPUTE_PGM_RSRC2:SCRATCH_EN: 0
; COMPUTE_PGM_RSRC2:USER_SGPR: 2
; COMPUTE_PGM_RSRC2:TRAP_HANDLER: 0
; COMPUTE_PGM_RSRC2:TGID_X_EN: 1
; COMPUTE_PGM_RSRC2:TGID_Y_EN: 0
; COMPUTE_PGM_RSRC2:TGID_Z_EN: 0
; COMPUTE_PGM_RSRC2:TIDIG_COMP_CNT: 0
	.section	.text._ZN7rocprim17ROCPRIM_400000_NS6detail17trampoline_kernelINS0_13select_configILj256ELj13ELNS0_17block_load_methodE3ELS4_3ELS4_3ELNS0_20block_scan_algorithmE0ELj4294967295EEENS1_25partition_config_selectorILNS1_17partition_subalgoE4EjNS0_10empty_typeEbEEZZNS1_14partition_implILS8_4ELb0ES6_15HIP_vector_typeIjLj2EENS0_17counting_iteratorIjlEEPS9_SG_NS0_5tupleIJPjSI_NS0_16reverse_iteratorISI_EEEEENSH_IJSG_SG_SG_EEES9_SI_JZNS1_25segmented_radix_sort_implINS0_14default_configELb0EPKsPsPKlPlN2at6native12_GLOBAL__N_18offset_tEEE10hipError_tPvRmT1_PNSt15iterator_traitsIS12_E10value_typeET2_T3_PNS13_IS18_E10value_typeET4_jRbjT5_S1E_jjP12ihipStream_tbEUljE_ZNSN_ISO_Lb0ESQ_SR_ST_SU_SY_EESZ_S10_S11_S12_S16_S17_S18_S1B_S1C_jS1D_jS1E_S1E_jjS1G_bEUljE0_EEESZ_S10_S11_S18_S1C_S1E_T6_T7_T9_mT8_S1G_bDpT10_ENKUlT_T0_E_clISt17integral_constantIbLb1EES1U_EEDaS1P_S1Q_EUlS1P_E_NS1_11comp_targetILNS1_3genE8ELNS1_11target_archE1030ELNS1_3gpuE2ELNS1_3repE0EEENS1_30default_config_static_selectorELNS0_4arch9wavefront6targetE0EEEvS12_,"axG",@progbits,_ZN7rocprim17ROCPRIM_400000_NS6detail17trampoline_kernelINS0_13select_configILj256ELj13ELNS0_17block_load_methodE3ELS4_3ELS4_3ELNS0_20block_scan_algorithmE0ELj4294967295EEENS1_25partition_config_selectorILNS1_17partition_subalgoE4EjNS0_10empty_typeEbEEZZNS1_14partition_implILS8_4ELb0ES6_15HIP_vector_typeIjLj2EENS0_17counting_iteratorIjlEEPS9_SG_NS0_5tupleIJPjSI_NS0_16reverse_iteratorISI_EEEEENSH_IJSG_SG_SG_EEES9_SI_JZNS1_25segmented_radix_sort_implINS0_14default_configELb0EPKsPsPKlPlN2at6native12_GLOBAL__N_18offset_tEEE10hipError_tPvRmT1_PNSt15iterator_traitsIS12_E10value_typeET2_T3_PNS13_IS18_E10value_typeET4_jRbjT5_S1E_jjP12ihipStream_tbEUljE_ZNSN_ISO_Lb0ESQ_SR_ST_SU_SY_EESZ_S10_S11_S12_S16_S17_S18_S1B_S1C_jS1D_jS1E_S1E_jjS1G_bEUljE0_EEESZ_S10_S11_S18_S1C_S1E_T6_T7_T9_mT8_S1G_bDpT10_ENKUlT_T0_E_clISt17integral_constantIbLb1EES1U_EEDaS1P_S1Q_EUlS1P_E_NS1_11comp_targetILNS1_3genE8ELNS1_11target_archE1030ELNS1_3gpuE2ELNS1_3repE0EEENS1_30default_config_static_selectorELNS0_4arch9wavefront6targetE0EEEvS12_,comdat
	.globl	_ZN7rocprim17ROCPRIM_400000_NS6detail17trampoline_kernelINS0_13select_configILj256ELj13ELNS0_17block_load_methodE3ELS4_3ELS4_3ELNS0_20block_scan_algorithmE0ELj4294967295EEENS1_25partition_config_selectorILNS1_17partition_subalgoE4EjNS0_10empty_typeEbEEZZNS1_14partition_implILS8_4ELb0ES6_15HIP_vector_typeIjLj2EENS0_17counting_iteratorIjlEEPS9_SG_NS0_5tupleIJPjSI_NS0_16reverse_iteratorISI_EEEEENSH_IJSG_SG_SG_EEES9_SI_JZNS1_25segmented_radix_sort_implINS0_14default_configELb0EPKsPsPKlPlN2at6native12_GLOBAL__N_18offset_tEEE10hipError_tPvRmT1_PNSt15iterator_traitsIS12_E10value_typeET2_T3_PNS13_IS18_E10value_typeET4_jRbjT5_S1E_jjP12ihipStream_tbEUljE_ZNSN_ISO_Lb0ESQ_SR_ST_SU_SY_EESZ_S10_S11_S12_S16_S17_S18_S1B_S1C_jS1D_jS1E_S1E_jjS1G_bEUljE0_EEESZ_S10_S11_S18_S1C_S1E_T6_T7_T9_mT8_S1G_bDpT10_ENKUlT_T0_E_clISt17integral_constantIbLb1EES1U_EEDaS1P_S1Q_EUlS1P_E_NS1_11comp_targetILNS1_3genE8ELNS1_11target_archE1030ELNS1_3gpuE2ELNS1_3repE0EEENS1_30default_config_static_selectorELNS0_4arch9wavefront6targetE0EEEvS12_ ; -- Begin function _ZN7rocprim17ROCPRIM_400000_NS6detail17trampoline_kernelINS0_13select_configILj256ELj13ELNS0_17block_load_methodE3ELS4_3ELS4_3ELNS0_20block_scan_algorithmE0ELj4294967295EEENS1_25partition_config_selectorILNS1_17partition_subalgoE4EjNS0_10empty_typeEbEEZZNS1_14partition_implILS8_4ELb0ES6_15HIP_vector_typeIjLj2EENS0_17counting_iteratorIjlEEPS9_SG_NS0_5tupleIJPjSI_NS0_16reverse_iteratorISI_EEEEENSH_IJSG_SG_SG_EEES9_SI_JZNS1_25segmented_radix_sort_implINS0_14default_configELb0EPKsPsPKlPlN2at6native12_GLOBAL__N_18offset_tEEE10hipError_tPvRmT1_PNSt15iterator_traitsIS12_E10value_typeET2_T3_PNS13_IS18_E10value_typeET4_jRbjT5_S1E_jjP12ihipStream_tbEUljE_ZNSN_ISO_Lb0ESQ_SR_ST_SU_SY_EESZ_S10_S11_S12_S16_S17_S18_S1B_S1C_jS1D_jS1E_S1E_jjS1G_bEUljE0_EEESZ_S10_S11_S18_S1C_S1E_T6_T7_T9_mT8_S1G_bDpT10_ENKUlT_T0_E_clISt17integral_constantIbLb1EES1U_EEDaS1P_S1Q_EUlS1P_E_NS1_11comp_targetILNS1_3genE8ELNS1_11target_archE1030ELNS1_3gpuE2ELNS1_3repE0EEENS1_30default_config_static_selectorELNS0_4arch9wavefront6targetE0EEEvS12_
	.p2align	8
	.type	_ZN7rocprim17ROCPRIM_400000_NS6detail17trampoline_kernelINS0_13select_configILj256ELj13ELNS0_17block_load_methodE3ELS4_3ELS4_3ELNS0_20block_scan_algorithmE0ELj4294967295EEENS1_25partition_config_selectorILNS1_17partition_subalgoE4EjNS0_10empty_typeEbEEZZNS1_14partition_implILS8_4ELb0ES6_15HIP_vector_typeIjLj2EENS0_17counting_iteratorIjlEEPS9_SG_NS0_5tupleIJPjSI_NS0_16reverse_iteratorISI_EEEEENSH_IJSG_SG_SG_EEES9_SI_JZNS1_25segmented_radix_sort_implINS0_14default_configELb0EPKsPsPKlPlN2at6native12_GLOBAL__N_18offset_tEEE10hipError_tPvRmT1_PNSt15iterator_traitsIS12_E10value_typeET2_T3_PNS13_IS18_E10value_typeET4_jRbjT5_S1E_jjP12ihipStream_tbEUljE_ZNSN_ISO_Lb0ESQ_SR_ST_SU_SY_EESZ_S10_S11_S12_S16_S17_S18_S1B_S1C_jS1D_jS1E_S1E_jjS1G_bEUljE0_EEESZ_S10_S11_S18_S1C_S1E_T6_T7_T9_mT8_S1G_bDpT10_ENKUlT_T0_E_clISt17integral_constantIbLb1EES1U_EEDaS1P_S1Q_EUlS1P_E_NS1_11comp_targetILNS1_3genE8ELNS1_11target_archE1030ELNS1_3gpuE2ELNS1_3repE0EEENS1_30default_config_static_selectorELNS0_4arch9wavefront6targetE0EEEvS12_,@function
_ZN7rocprim17ROCPRIM_400000_NS6detail17trampoline_kernelINS0_13select_configILj256ELj13ELNS0_17block_load_methodE3ELS4_3ELS4_3ELNS0_20block_scan_algorithmE0ELj4294967295EEENS1_25partition_config_selectorILNS1_17partition_subalgoE4EjNS0_10empty_typeEbEEZZNS1_14partition_implILS8_4ELb0ES6_15HIP_vector_typeIjLj2EENS0_17counting_iteratorIjlEEPS9_SG_NS0_5tupleIJPjSI_NS0_16reverse_iteratorISI_EEEEENSH_IJSG_SG_SG_EEES9_SI_JZNS1_25segmented_radix_sort_implINS0_14default_configELb0EPKsPsPKlPlN2at6native12_GLOBAL__N_18offset_tEEE10hipError_tPvRmT1_PNSt15iterator_traitsIS12_E10value_typeET2_T3_PNS13_IS18_E10value_typeET4_jRbjT5_S1E_jjP12ihipStream_tbEUljE_ZNSN_ISO_Lb0ESQ_SR_ST_SU_SY_EESZ_S10_S11_S12_S16_S17_S18_S1B_S1C_jS1D_jS1E_S1E_jjS1G_bEUljE0_EEESZ_S10_S11_S18_S1C_S1E_T6_T7_T9_mT8_S1G_bDpT10_ENKUlT_T0_E_clISt17integral_constantIbLb1EES1U_EEDaS1P_S1Q_EUlS1P_E_NS1_11comp_targetILNS1_3genE8ELNS1_11target_archE1030ELNS1_3gpuE2ELNS1_3repE0EEENS1_30default_config_static_selectorELNS0_4arch9wavefront6targetE0EEEvS12_: ; @_ZN7rocprim17ROCPRIM_400000_NS6detail17trampoline_kernelINS0_13select_configILj256ELj13ELNS0_17block_load_methodE3ELS4_3ELS4_3ELNS0_20block_scan_algorithmE0ELj4294967295EEENS1_25partition_config_selectorILNS1_17partition_subalgoE4EjNS0_10empty_typeEbEEZZNS1_14partition_implILS8_4ELb0ES6_15HIP_vector_typeIjLj2EENS0_17counting_iteratorIjlEEPS9_SG_NS0_5tupleIJPjSI_NS0_16reverse_iteratorISI_EEEEENSH_IJSG_SG_SG_EEES9_SI_JZNS1_25segmented_radix_sort_implINS0_14default_configELb0EPKsPsPKlPlN2at6native12_GLOBAL__N_18offset_tEEE10hipError_tPvRmT1_PNSt15iterator_traitsIS12_E10value_typeET2_T3_PNS13_IS18_E10value_typeET4_jRbjT5_S1E_jjP12ihipStream_tbEUljE_ZNSN_ISO_Lb0ESQ_SR_ST_SU_SY_EESZ_S10_S11_S12_S16_S17_S18_S1B_S1C_jS1D_jS1E_S1E_jjS1G_bEUljE0_EEESZ_S10_S11_S18_S1C_S1E_T6_T7_T9_mT8_S1G_bDpT10_ENKUlT_T0_E_clISt17integral_constantIbLb1EES1U_EEDaS1P_S1Q_EUlS1P_E_NS1_11comp_targetILNS1_3genE8ELNS1_11target_archE1030ELNS1_3gpuE2ELNS1_3repE0EEENS1_30default_config_static_selectorELNS0_4arch9wavefront6targetE0EEEvS12_
; %bb.0:
	.section	.rodata,"a",@progbits
	.p2align	6, 0x0
	.amdhsa_kernel _ZN7rocprim17ROCPRIM_400000_NS6detail17trampoline_kernelINS0_13select_configILj256ELj13ELNS0_17block_load_methodE3ELS4_3ELS4_3ELNS0_20block_scan_algorithmE0ELj4294967295EEENS1_25partition_config_selectorILNS1_17partition_subalgoE4EjNS0_10empty_typeEbEEZZNS1_14partition_implILS8_4ELb0ES6_15HIP_vector_typeIjLj2EENS0_17counting_iteratorIjlEEPS9_SG_NS0_5tupleIJPjSI_NS0_16reverse_iteratorISI_EEEEENSH_IJSG_SG_SG_EEES9_SI_JZNS1_25segmented_radix_sort_implINS0_14default_configELb0EPKsPsPKlPlN2at6native12_GLOBAL__N_18offset_tEEE10hipError_tPvRmT1_PNSt15iterator_traitsIS12_E10value_typeET2_T3_PNS13_IS18_E10value_typeET4_jRbjT5_S1E_jjP12ihipStream_tbEUljE_ZNSN_ISO_Lb0ESQ_SR_ST_SU_SY_EESZ_S10_S11_S12_S16_S17_S18_S1B_S1C_jS1D_jS1E_S1E_jjS1G_bEUljE0_EEESZ_S10_S11_S18_S1C_S1E_T6_T7_T9_mT8_S1G_bDpT10_ENKUlT_T0_E_clISt17integral_constantIbLb1EES1U_EEDaS1P_S1Q_EUlS1P_E_NS1_11comp_targetILNS1_3genE8ELNS1_11target_archE1030ELNS1_3gpuE2ELNS1_3repE0EEENS1_30default_config_static_selectorELNS0_4arch9wavefront6targetE0EEEvS12_
		.amdhsa_group_segment_fixed_size 0
		.amdhsa_private_segment_fixed_size 0
		.amdhsa_kernarg_size 184
		.amdhsa_user_sgpr_count 2
		.amdhsa_user_sgpr_dispatch_ptr 0
		.amdhsa_user_sgpr_queue_ptr 0
		.amdhsa_user_sgpr_kernarg_segment_ptr 1
		.amdhsa_user_sgpr_dispatch_id 0
		.amdhsa_user_sgpr_private_segment_size 0
		.amdhsa_wavefront_size32 1
		.amdhsa_uses_dynamic_stack 0
		.amdhsa_enable_private_segment 0
		.amdhsa_system_sgpr_workgroup_id_x 1
		.amdhsa_system_sgpr_workgroup_id_y 0
		.amdhsa_system_sgpr_workgroup_id_z 0
		.amdhsa_system_sgpr_workgroup_info 0
		.amdhsa_system_vgpr_workitem_id 0
		.amdhsa_next_free_vgpr 1
		.amdhsa_next_free_sgpr 1
		.amdhsa_reserve_vcc 0
		.amdhsa_float_round_mode_32 0
		.amdhsa_float_round_mode_16_64 0
		.amdhsa_float_denorm_mode_32 3
		.amdhsa_float_denorm_mode_16_64 3
		.amdhsa_fp16_overflow 0
		.amdhsa_workgroup_processor_mode 1
		.amdhsa_memory_ordered 1
		.amdhsa_forward_progress 1
		.amdhsa_inst_pref_size 0
		.amdhsa_round_robin_scheduling 0
		.amdhsa_exception_fp_ieee_invalid_op 0
		.amdhsa_exception_fp_denorm_src 0
		.amdhsa_exception_fp_ieee_div_zero 0
		.amdhsa_exception_fp_ieee_overflow 0
		.amdhsa_exception_fp_ieee_underflow 0
		.amdhsa_exception_fp_ieee_inexact 0
		.amdhsa_exception_int_div_zero 0
	.end_amdhsa_kernel
	.section	.text._ZN7rocprim17ROCPRIM_400000_NS6detail17trampoline_kernelINS0_13select_configILj256ELj13ELNS0_17block_load_methodE3ELS4_3ELS4_3ELNS0_20block_scan_algorithmE0ELj4294967295EEENS1_25partition_config_selectorILNS1_17partition_subalgoE4EjNS0_10empty_typeEbEEZZNS1_14partition_implILS8_4ELb0ES6_15HIP_vector_typeIjLj2EENS0_17counting_iteratorIjlEEPS9_SG_NS0_5tupleIJPjSI_NS0_16reverse_iteratorISI_EEEEENSH_IJSG_SG_SG_EEES9_SI_JZNS1_25segmented_radix_sort_implINS0_14default_configELb0EPKsPsPKlPlN2at6native12_GLOBAL__N_18offset_tEEE10hipError_tPvRmT1_PNSt15iterator_traitsIS12_E10value_typeET2_T3_PNS13_IS18_E10value_typeET4_jRbjT5_S1E_jjP12ihipStream_tbEUljE_ZNSN_ISO_Lb0ESQ_SR_ST_SU_SY_EESZ_S10_S11_S12_S16_S17_S18_S1B_S1C_jS1D_jS1E_S1E_jjS1G_bEUljE0_EEESZ_S10_S11_S18_S1C_S1E_T6_T7_T9_mT8_S1G_bDpT10_ENKUlT_T0_E_clISt17integral_constantIbLb1EES1U_EEDaS1P_S1Q_EUlS1P_E_NS1_11comp_targetILNS1_3genE8ELNS1_11target_archE1030ELNS1_3gpuE2ELNS1_3repE0EEENS1_30default_config_static_selectorELNS0_4arch9wavefront6targetE0EEEvS12_,"axG",@progbits,_ZN7rocprim17ROCPRIM_400000_NS6detail17trampoline_kernelINS0_13select_configILj256ELj13ELNS0_17block_load_methodE3ELS4_3ELS4_3ELNS0_20block_scan_algorithmE0ELj4294967295EEENS1_25partition_config_selectorILNS1_17partition_subalgoE4EjNS0_10empty_typeEbEEZZNS1_14partition_implILS8_4ELb0ES6_15HIP_vector_typeIjLj2EENS0_17counting_iteratorIjlEEPS9_SG_NS0_5tupleIJPjSI_NS0_16reverse_iteratorISI_EEEEENSH_IJSG_SG_SG_EEES9_SI_JZNS1_25segmented_radix_sort_implINS0_14default_configELb0EPKsPsPKlPlN2at6native12_GLOBAL__N_18offset_tEEE10hipError_tPvRmT1_PNSt15iterator_traitsIS12_E10value_typeET2_T3_PNS13_IS18_E10value_typeET4_jRbjT5_S1E_jjP12ihipStream_tbEUljE_ZNSN_ISO_Lb0ESQ_SR_ST_SU_SY_EESZ_S10_S11_S12_S16_S17_S18_S1B_S1C_jS1D_jS1E_S1E_jjS1G_bEUljE0_EEESZ_S10_S11_S18_S1C_S1E_T6_T7_T9_mT8_S1G_bDpT10_ENKUlT_T0_E_clISt17integral_constantIbLb1EES1U_EEDaS1P_S1Q_EUlS1P_E_NS1_11comp_targetILNS1_3genE8ELNS1_11target_archE1030ELNS1_3gpuE2ELNS1_3repE0EEENS1_30default_config_static_selectorELNS0_4arch9wavefront6targetE0EEEvS12_,comdat
.Lfunc_end965:
	.size	_ZN7rocprim17ROCPRIM_400000_NS6detail17trampoline_kernelINS0_13select_configILj256ELj13ELNS0_17block_load_methodE3ELS4_3ELS4_3ELNS0_20block_scan_algorithmE0ELj4294967295EEENS1_25partition_config_selectorILNS1_17partition_subalgoE4EjNS0_10empty_typeEbEEZZNS1_14partition_implILS8_4ELb0ES6_15HIP_vector_typeIjLj2EENS0_17counting_iteratorIjlEEPS9_SG_NS0_5tupleIJPjSI_NS0_16reverse_iteratorISI_EEEEENSH_IJSG_SG_SG_EEES9_SI_JZNS1_25segmented_radix_sort_implINS0_14default_configELb0EPKsPsPKlPlN2at6native12_GLOBAL__N_18offset_tEEE10hipError_tPvRmT1_PNSt15iterator_traitsIS12_E10value_typeET2_T3_PNS13_IS18_E10value_typeET4_jRbjT5_S1E_jjP12ihipStream_tbEUljE_ZNSN_ISO_Lb0ESQ_SR_ST_SU_SY_EESZ_S10_S11_S12_S16_S17_S18_S1B_S1C_jS1D_jS1E_S1E_jjS1G_bEUljE0_EEESZ_S10_S11_S18_S1C_S1E_T6_T7_T9_mT8_S1G_bDpT10_ENKUlT_T0_E_clISt17integral_constantIbLb1EES1U_EEDaS1P_S1Q_EUlS1P_E_NS1_11comp_targetILNS1_3genE8ELNS1_11target_archE1030ELNS1_3gpuE2ELNS1_3repE0EEENS1_30default_config_static_selectorELNS0_4arch9wavefront6targetE0EEEvS12_, .Lfunc_end965-_ZN7rocprim17ROCPRIM_400000_NS6detail17trampoline_kernelINS0_13select_configILj256ELj13ELNS0_17block_load_methodE3ELS4_3ELS4_3ELNS0_20block_scan_algorithmE0ELj4294967295EEENS1_25partition_config_selectorILNS1_17partition_subalgoE4EjNS0_10empty_typeEbEEZZNS1_14partition_implILS8_4ELb0ES6_15HIP_vector_typeIjLj2EENS0_17counting_iteratorIjlEEPS9_SG_NS0_5tupleIJPjSI_NS0_16reverse_iteratorISI_EEEEENSH_IJSG_SG_SG_EEES9_SI_JZNS1_25segmented_radix_sort_implINS0_14default_configELb0EPKsPsPKlPlN2at6native12_GLOBAL__N_18offset_tEEE10hipError_tPvRmT1_PNSt15iterator_traitsIS12_E10value_typeET2_T3_PNS13_IS18_E10value_typeET4_jRbjT5_S1E_jjP12ihipStream_tbEUljE_ZNSN_ISO_Lb0ESQ_SR_ST_SU_SY_EESZ_S10_S11_S12_S16_S17_S18_S1B_S1C_jS1D_jS1E_S1E_jjS1G_bEUljE0_EEESZ_S10_S11_S18_S1C_S1E_T6_T7_T9_mT8_S1G_bDpT10_ENKUlT_T0_E_clISt17integral_constantIbLb1EES1U_EEDaS1P_S1Q_EUlS1P_E_NS1_11comp_targetILNS1_3genE8ELNS1_11target_archE1030ELNS1_3gpuE2ELNS1_3repE0EEENS1_30default_config_static_selectorELNS0_4arch9wavefront6targetE0EEEvS12_
                                        ; -- End function
	.set _ZN7rocprim17ROCPRIM_400000_NS6detail17trampoline_kernelINS0_13select_configILj256ELj13ELNS0_17block_load_methodE3ELS4_3ELS4_3ELNS0_20block_scan_algorithmE0ELj4294967295EEENS1_25partition_config_selectorILNS1_17partition_subalgoE4EjNS0_10empty_typeEbEEZZNS1_14partition_implILS8_4ELb0ES6_15HIP_vector_typeIjLj2EENS0_17counting_iteratorIjlEEPS9_SG_NS0_5tupleIJPjSI_NS0_16reverse_iteratorISI_EEEEENSH_IJSG_SG_SG_EEES9_SI_JZNS1_25segmented_radix_sort_implINS0_14default_configELb0EPKsPsPKlPlN2at6native12_GLOBAL__N_18offset_tEEE10hipError_tPvRmT1_PNSt15iterator_traitsIS12_E10value_typeET2_T3_PNS13_IS18_E10value_typeET4_jRbjT5_S1E_jjP12ihipStream_tbEUljE_ZNSN_ISO_Lb0ESQ_SR_ST_SU_SY_EESZ_S10_S11_S12_S16_S17_S18_S1B_S1C_jS1D_jS1E_S1E_jjS1G_bEUljE0_EEESZ_S10_S11_S18_S1C_S1E_T6_T7_T9_mT8_S1G_bDpT10_ENKUlT_T0_E_clISt17integral_constantIbLb1EES1U_EEDaS1P_S1Q_EUlS1P_E_NS1_11comp_targetILNS1_3genE8ELNS1_11target_archE1030ELNS1_3gpuE2ELNS1_3repE0EEENS1_30default_config_static_selectorELNS0_4arch9wavefront6targetE0EEEvS12_.num_vgpr, 0
	.set _ZN7rocprim17ROCPRIM_400000_NS6detail17trampoline_kernelINS0_13select_configILj256ELj13ELNS0_17block_load_methodE3ELS4_3ELS4_3ELNS0_20block_scan_algorithmE0ELj4294967295EEENS1_25partition_config_selectorILNS1_17partition_subalgoE4EjNS0_10empty_typeEbEEZZNS1_14partition_implILS8_4ELb0ES6_15HIP_vector_typeIjLj2EENS0_17counting_iteratorIjlEEPS9_SG_NS0_5tupleIJPjSI_NS0_16reverse_iteratorISI_EEEEENSH_IJSG_SG_SG_EEES9_SI_JZNS1_25segmented_radix_sort_implINS0_14default_configELb0EPKsPsPKlPlN2at6native12_GLOBAL__N_18offset_tEEE10hipError_tPvRmT1_PNSt15iterator_traitsIS12_E10value_typeET2_T3_PNS13_IS18_E10value_typeET4_jRbjT5_S1E_jjP12ihipStream_tbEUljE_ZNSN_ISO_Lb0ESQ_SR_ST_SU_SY_EESZ_S10_S11_S12_S16_S17_S18_S1B_S1C_jS1D_jS1E_S1E_jjS1G_bEUljE0_EEESZ_S10_S11_S18_S1C_S1E_T6_T7_T9_mT8_S1G_bDpT10_ENKUlT_T0_E_clISt17integral_constantIbLb1EES1U_EEDaS1P_S1Q_EUlS1P_E_NS1_11comp_targetILNS1_3genE8ELNS1_11target_archE1030ELNS1_3gpuE2ELNS1_3repE0EEENS1_30default_config_static_selectorELNS0_4arch9wavefront6targetE0EEEvS12_.num_agpr, 0
	.set _ZN7rocprim17ROCPRIM_400000_NS6detail17trampoline_kernelINS0_13select_configILj256ELj13ELNS0_17block_load_methodE3ELS4_3ELS4_3ELNS0_20block_scan_algorithmE0ELj4294967295EEENS1_25partition_config_selectorILNS1_17partition_subalgoE4EjNS0_10empty_typeEbEEZZNS1_14partition_implILS8_4ELb0ES6_15HIP_vector_typeIjLj2EENS0_17counting_iteratorIjlEEPS9_SG_NS0_5tupleIJPjSI_NS0_16reverse_iteratorISI_EEEEENSH_IJSG_SG_SG_EEES9_SI_JZNS1_25segmented_radix_sort_implINS0_14default_configELb0EPKsPsPKlPlN2at6native12_GLOBAL__N_18offset_tEEE10hipError_tPvRmT1_PNSt15iterator_traitsIS12_E10value_typeET2_T3_PNS13_IS18_E10value_typeET4_jRbjT5_S1E_jjP12ihipStream_tbEUljE_ZNSN_ISO_Lb0ESQ_SR_ST_SU_SY_EESZ_S10_S11_S12_S16_S17_S18_S1B_S1C_jS1D_jS1E_S1E_jjS1G_bEUljE0_EEESZ_S10_S11_S18_S1C_S1E_T6_T7_T9_mT8_S1G_bDpT10_ENKUlT_T0_E_clISt17integral_constantIbLb1EES1U_EEDaS1P_S1Q_EUlS1P_E_NS1_11comp_targetILNS1_3genE8ELNS1_11target_archE1030ELNS1_3gpuE2ELNS1_3repE0EEENS1_30default_config_static_selectorELNS0_4arch9wavefront6targetE0EEEvS12_.numbered_sgpr, 0
	.set _ZN7rocprim17ROCPRIM_400000_NS6detail17trampoline_kernelINS0_13select_configILj256ELj13ELNS0_17block_load_methodE3ELS4_3ELS4_3ELNS0_20block_scan_algorithmE0ELj4294967295EEENS1_25partition_config_selectorILNS1_17partition_subalgoE4EjNS0_10empty_typeEbEEZZNS1_14partition_implILS8_4ELb0ES6_15HIP_vector_typeIjLj2EENS0_17counting_iteratorIjlEEPS9_SG_NS0_5tupleIJPjSI_NS0_16reverse_iteratorISI_EEEEENSH_IJSG_SG_SG_EEES9_SI_JZNS1_25segmented_radix_sort_implINS0_14default_configELb0EPKsPsPKlPlN2at6native12_GLOBAL__N_18offset_tEEE10hipError_tPvRmT1_PNSt15iterator_traitsIS12_E10value_typeET2_T3_PNS13_IS18_E10value_typeET4_jRbjT5_S1E_jjP12ihipStream_tbEUljE_ZNSN_ISO_Lb0ESQ_SR_ST_SU_SY_EESZ_S10_S11_S12_S16_S17_S18_S1B_S1C_jS1D_jS1E_S1E_jjS1G_bEUljE0_EEESZ_S10_S11_S18_S1C_S1E_T6_T7_T9_mT8_S1G_bDpT10_ENKUlT_T0_E_clISt17integral_constantIbLb1EES1U_EEDaS1P_S1Q_EUlS1P_E_NS1_11comp_targetILNS1_3genE8ELNS1_11target_archE1030ELNS1_3gpuE2ELNS1_3repE0EEENS1_30default_config_static_selectorELNS0_4arch9wavefront6targetE0EEEvS12_.num_named_barrier, 0
	.set _ZN7rocprim17ROCPRIM_400000_NS6detail17trampoline_kernelINS0_13select_configILj256ELj13ELNS0_17block_load_methodE3ELS4_3ELS4_3ELNS0_20block_scan_algorithmE0ELj4294967295EEENS1_25partition_config_selectorILNS1_17partition_subalgoE4EjNS0_10empty_typeEbEEZZNS1_14partition_implILS8_4ELb0ES6_15HIP_vector_typeIjLj2EENS0_17counting_iteratorIjlEEPS9_SG_NS0_5tupleIJPjSI_NS0_16reverse_iteratorISI_EEEEENSH_IJSG_SG_SG_EEES9_SI_JZNS1_25segmented_radix_sort_implINS0_14default_configELb0EPKsPsPKlPlN2at6native12_GLOBAL__N_18offset_tEEE10hipError_tPvRmT1_PNSt15iterator_traitsIS12_E10value_typeET2_T3_PNS13_IS18_E10value_typeET4_jRbjT5_S1E_jjP12ihipStream_tbEUljE_ZNSN_ISO_Lb0ESQ_SR_ST_SU_SY_EESZ_S10_S11_S12_S16_S17_S18_S1B_S1C_jS1D_jS1E_S1E_jjS1G_bEUljE0_EEESZ_S10_S11_S18_S1C_S1E_T6_T7_T9_mT8_S1G_bDpT10_ENKUlT_T0_E_clISt17integral_constantIbLb1EES1U_EEDaS1P_S1Q_EUlS1P_E_NS1_11comp_targetILNS1_3genE8ELNS1_11target_archE1030ELNS1_3gpuE2ELNS1_3repE0EEENS1_30default_config_static_selectorELNS0_4arch9wavefront6targetE0EEEvS12_.private_seg_size, 0
	.set _ZN7rocprim17ROCPRIM_400000_NS6detail17trampoline_kernelINS0_13select_configILj256ELj13ELNS0_17block_load_methodE3ELS4_3ELS4_3ELNS0_20block_scan_algorithmE0ELj4294967295EEENS1_25partition_config_selectorILNS1_17partition_subalgoE4EjNS0_10empty_typeEbEEZZNS1_14partition_implILS8_4ELb0ES6_15HIP_vector_typeIjLj2EENS0_17counting_iteratorIjlEEPS9_SG_NS0_5tupleIJPjSI_NS0_16reverse_iteratorISI_EEEEENSH_IJSG_SG_SG_EEES9_SI_JZNS1_25segmented_radix_sort_implINS0_14default_configELb0EPKsPsPKlPlN2at6native12_GLOBAL__N_18offset_tEEE10hipError_tPvRmT1_PNSt15iterator_traitsIS12_E10value_typeET2_T3_PNS13_IS18_E10value_typeET4_jRbjT5_S1E_jjP12ihipStream_tbEUljE_ZNSN_ISO_Lb0ESQ_SR_ST_SU_SY_EESZ_S10_S11_S12_S16_S17_S18_S1B_S1C_jS1D_jS1E_S1E_jjS1G_bEUljE0_EEESZ_S10_S11_S18_S1C_S1E_T6_T7_T9_mT8_S1G_bDpT10_ENKUlT_T0_E_clISt17integral_constantIbLb1EES1U_EEDaS1P_S1Q_EUlS1P_E_NS1_11comp_targetILNS1_3genE8ELNS1_11target_archE1030ELNS1_3gpuE2ELNS1_3repE0EEENS1_30default_config_static_selectorELNS0_4arch9wavefront6targetE0EEEvS12_.uses_vcc, 0
	.set _ZN7rocprim17ROCPRIM_400000_NS6detail17trampoline_kernelINS0_13select_configILj256ELj13ELNS0_17block_load_methodE3ELS4_3ELS4_3ELNS0_20block_scan_algorithmE0ELj4294967295EEENS1_25partition_config_selectorILNS1_17partition_subalgoE4EjNS0_10empty_typeEbEEZZNS1_14partition_implILS8_4ELb0ES6_15HIP_vector_typeIjLj2EENS0_17counting_iteratorIjlEEPS9_SG_NS0_5tupleIJPjSI_NS0_16reverse_iteratorISI_EEEEENSH_IJSG_SG_SG_EEES9_SI_JZNS1_25segmented_radix_sort_implINS0_14default_configELb0EPKsPsPKlPlN2at6native12_GLOBAL__N_18offset_tEEE10hipError_tPvRmT1_PNSt15iterator_traitsIS12_E10value_typeET2_T3_PNS13_IS18_E10value_typeET4_jRbjT5_S1E_jjP12ihipStream_tbEUljE_ZNSN_ISO_Lb0ESQ_SR_ST_SU_SY_EESZ_S10_S11_S12_S16_S17_S18_S1B_S1C_jS1D_jS1E_S1E_jjS1G_bEUljE0_EEESZ_S10_S11_S18_S1C_S1E_T6_T7_T9_mT8_S1G_bDpT10_ENKUlT_T0_E_clISt17integral_constantIbLb1EES1U_EEDaS1P_S1Q_EUlS1P_E_NS1_11comp_targetILNS1_3genE8ELNS1_11target_archE1030ELNS1_3gpuE2ELNS1_3repE0EEENS1_30default_config_static_selectorELNS0_4arch9wavefront6targetE0EEEvS12_.uses_flat_scratch, 0
	.set _ZN7rocprim17ROCPRIM_400000_NS6detail17trampoline_kernelINS0_13select_configILj256ELj13ELNS0_17block_load_methodE3ELS4_3ELS4_3ELNS0_20block_scan_algorithmE0ELj4294967295EEENS1_25partition_config_selectorILNS1_17partition_subalgoE4EjNS0_10empty_typeEbEEZZNS1_14partition_implILS8_4ELb0ES6_15HIP_vector_typeIjLj2EENS0_17counting_iteratorIjlEEPS9_SG_NS0_5tupleIJPjSI_NS0_16reverse_iteratorISI_EEEEENSH_IJSG_SG_SG_EEES9_SI_JZNS1_25segmented_radix_sort_implINS0_14default_configELb0EPKsPsPKlPlN2at6native12_GLOBAL__N_18offset_tEEE10hipError_tPvRmT1_PNSt15iterator_traitsIS12_E10value_typeET2_T3_PNS13_IS18_E10value_typeET4_jRbjT5_S1E_jjP12ihipStream_tbEUljE_ZNSN_ISO_Lb0ESQ_SR_ST_SU_SY_EESZ_S10_S11_S12_S16_S17_S18_S1B_S1C_jS1D_jS1E_S1E_jjS1G_bEUljE0_EEESZ_S10_S11_S18_S1C_S1E_T6_T7_T9_mT8_S1G_bDpT10_ENKUlT_T0_E_clISt17integral_constantIbLb1EES1U_EEDaS1P_S1Q_EUlS1P_E_NS1_11comp_targetILNS1_3genE8ELNS1_11target_archE1030ELNS1_3gpuE2ELNS1_3repE0EEENS1_30default_config_static_selectorELNS0_4arch9wavefront6targetE0EEEvS12_.has_dyn_sized_stack, 0
	.set _ZN7rocprim17ROCPRIM_400000_NS6detail17trampoline_kernelINS0_13select_configILj256ELj13ELNS0_17block_load_methodE3ELS4_3ELS4_3ELNS0_20block_scan_algorithmE0ELj4294967295EEENS1_25partition_config_selectorILNS1_17partition_subalgoE4EjNS0_10empty_typeEbEEZZNS1_14partition_implILS8_4ELb0ES6_15HIP_vector_typeIjLj2EENS0_17counting_iteratorIjlEEPS9_SG_NS0_5tupleIJPjSI_NS0_16reverse_iteratorISI_EEEEENSH_IJSG_SG_SG_EEES9_SI_JZNS1_25segmented_radix_sort_implINS0_14default_configELb0EPKsPsPKlPlN2at6native12_GLOBAL__N_18offset_tEEE10hipError_tPvRmT1_PNSt15iterator_traitsIS12_E10value_typeET2_T3_PNS13_IS18_E10value_typeET4_jRbjT5_S1E_jjP12ihipStream_tbEUljE_ZNSN_ISO_Lb0ESQ_SR_ST_SU_SY_EESZ_S10_S11_S12_S16_S17_S18_S1B_S1C_jS1D_jS1E_S1E_jjS1G_bEUljE0_EEESZ_S10_S11_S18_S1C_S1E_T6_T7_T9_mT8_S1G_bDpT10_ENKUlT_T0_E_clISt17integral_constantIbLb1EES1U_EEDaS1P_S1Q_EUlS1P_E_NS1_11comp_targetILNS1_3genE8ELNS1_11target_archE1030ELNS1_3gpuE2ELNS1_3repE0EEENS1_30default_config_static_selectorELNS0_4arch9wavefront6targetE0EEEvS12_.has_recursion, 0
	.set _ZN7rocprim17ROCPRIM_400000_NS6detail17trampoline_kernelINS0_13select_configILj256ELj13ELNS0_17block_load_methodE3ELS4_3ELS4_3ELNS0_20block_scan_algorithmE0ELj4294967295EEENS1_25partition_config_selectorILNS1_17partition_subalgoE4EjNS0_10empty_typeEbEEZZNS1_14partition_implILS8_4ELb0ES6_15HIP_vector_typeIjLj2EENS0_17counting_iteratorIjlEEPS9_SG_NS0_5tupleIJPjSI_NS0_16reverse_iteratorISI_EEEEENSH_IJSG_SG_SG_EEES9_SI_JZNS1_25segmented_radix_sort_implINS0_14default_configELb0EPKsPsPKlPlN2at6native12_GLOBAL__N_18offset_tEEE10hipError_tPvRmT1_PNSt15iterator_traitsIS12_E10value_typeET2_T3_PNS13_IS18_E10value_typeET4_jRbjT5_S1E_jjP12ihipStream_tbEUljE_ZNSN_ISO_Lb0ESQ_SR_ST_SU_SY_EESZ_S10_S11_S12_S16_S17_S18_S1B_S1C_jS1D_jS1E_S1E_jjS1G_bEUljE0_EEESZ_S10_S11_S18_S1C_S1E_T6_T7_T9_mT8_S1G_bDpT10_ENKUlT_T0_E_clISt17integral_constantIbLb1EES1U_EEDaS1P_S1Q_EUlS1P_E_NS1_11comp_targetILNS1_3genE8ELNS1_11target_archE1030ELNS1_3gpuE2ELNS1_3repE0EEENS1_30default_config_static_selectorELNS0_4arch9wavefront6targetE0EEEvS12_.has_indirect_call, 0
	.section	.AMDGPU.csdata,"",@progbits
; Kernel info:
; codeLenInByte = 0
; TotalNumSgprs: 0
; NumVgprs: 0
; ScratchSize: 0
; MemoryBound: 0
; FloatMode: 240
; IeeeMode: 1
; LDSByteSize: 0 bytes/workgroup (compile time only)
; SGPRBlocks: 0
; VGPRBlocks: 0
; NumSGPRsForWavesPerEU: 1
; NumVGPRsForWavesPerEU: 1
; Occupancy: 16
; WaveLimiterHint : 0
; COMPUTE_PGM_RSRC2:SCRATCH_EN: 0
; COMPUTE_PGM_RSRC2:USER_SGPR: 2
; COMPUTE_PGM_RSRC2:TRAP_HANDLER: 0
; COMPUTE_PGM_RSRC2:TGID_X_EN: 1
; COMPUTE_PGM_RSRC2:TGID_Y_EN: 0
; COMPUTE_PGM_RSRC2:TGID_Z_EN: 0
; COMPUTE_PGM_RSRC2:TIDIG_COMP_CNT: 0
	.section	.text._ZN7rocprim17ROCPRIM_400000_NS6detail17trampoline_kernelINS0_13select_configILj256ELj13ELNS0_17block_load_methodE3ELS4_3ELS4_3ELNS0_20block_scan_algorithmE0ELj4294967295EEENS1_25partition_config_selectorILNS1_17partition_subalgoE4EjNS0_10empty_typeEbEEZZNS1_14partition_implILS8_4ELb0ES6_15HIP_vector_typeIjLj2EENS0_17counting_iteratorIjlEEPS9_SG_NS0_5tupleIJPjSI_NS0_16reverse_iteratorISI_EEEEENSH_IJSG_SG_SG_EEES9_SI_JZNS1_25segmented_radix_sort_implINS0_14default_configELb0EPKsPsPKlPlN2at6native12_GLOBAL__N_18offset_tEEE10hipError_tPvRmT1_PNSt15iterator_traitsIS12_E10value_typeET2_T3_PNS13_IS18_E10value_typeET4_jRbjT5_S1E_jjP12ihipStream_tbEUljE_ZNSN_ISO_Lb0ESQ_SR_ST_SU_SY_EESZ_S10_S11_S12_S16_S17_S18_S1B_S1C_jS1D_jS1E_S1E_jjS1G_bEUljE0_EEESZ_S10_S11_S18_S1C_S1E_T6_T7_T9_mT8_S1G_bDpT10_ENKUlT_T0_E_clISt17integral_constantIbLb1EES1T_IbLb0EEEEDaS1P_S1Q_EUlS1P_E_NS1_11comp_targetILNS1_3genE0ELNS1_11target_archE4294967295ELNS1_3gpuE0ELNS1_3repE0EEENS1_30default_config_static_selectorELNS0_4arch9wavefront6targetE0EEEvS12_,"axG",@progbits,_ZN7rocprim17ROCPRIM_400000_NS6detail17trampoline_kernelINS0_13select_configILj256ELj13ELNS0_17block_load_methodE3ELS4_3ELS4_3ELNS0_20block_scan_algorithmE0ELj4294967295EEENS1_25partition_config_selectorILNS1_17partition_subalgoE4EjNS0_10empty_typeEbEEZZNS1_14partition_implILS8_4ELb0ES6_15HIP_vector_typeIjLj2EENS0_17counting_iteratorIjlEEPS9_SG_NS0_5tupleIJPjSI_NS0_16reverse_iteratorISI_EEEEENSH_IJSG_SG_SG_EEES9_SI_JZNS1_25segmented_radix_sort_implINS0_14default_configELb0EPKsPsPKlPlN2at6native12_GLOBAL__N_18offset_tEEE10hipError_tPvRmT1_PNSt15iterator_traitsIS12_E10value_typeET2_T3_PNS13_IS18_E10value_typeET4_jRbjT5_S1E_jjP12ihipStream_tbEUljE_ZNSN_ISO_Lb0ESQ_SR_ST_SU_SY_EESZ_S10_S11_S12_S16_S17_S18_S1B_S1C_jS1D_jS1E_S1E_jjS1G_bEUljE0_EEESZ_S10_S11_S18_S1C_S1E_T6_T7_T9_mT8_S1G_bDpT10_ENKUlT_T0_E_clISt17integral_constantIbLb1EES1T_IbLb0EEEEDaS1P_S1Q_EUlS1P_E_NS1_11comp_targetILNS1_3genE0ELNS1_11target_archE4294967295ELNS1_3gpuE0ELNS1_3repE0EEENS1_30default_config_static_selectorELNS0_4arch9wavefront6targetE0EEEvS12_,comdat
	.globl	_ZN7rocprim17ROCPRIM_400000_NS6detail17trampoline_kernelINS0_13select_configILj256ELj13ELNS0_17block_load_methodE3ELS4_3ELS4_3ELNS0_20block_scan_algorithmE0ELj4294967295EEENS1_25partition_config_selectorILNS1_17partition_subalgoE4EjNS0_10empty_typeEbEEZZNS1_14partition_implILS8_4ELb0ES6_15HIP_vector_typeIjLj2EENS0_17counting_iteratorIjlEEPS9_SG_NS0_5tupleIJPjSI_NS0_16reverse_iteratorISI_EEEEENSH_IJSG_SG_SG_EEES9_SI_JZNS1_25segmented_radix_sort_implINS0_14default_configELb0EPKsPsPKlPlN2at6native12_GLOBAL__N_18offset_tEEE10hipError_tPvRmT1_PNSt15iterator_traitsIS12_E10value_typeET2_T3_PNS13_IS18_E10value_typeET4_jRbjT5_S1E_jjP12ihipStream_tbEUljE_ZNSN_ISO_Lb0ESQ_SR_ST_SU_SY_EESZ_S10_S11_S12_S16_S17_S18_S1B_S1C_jS1D_jS1E_S1E_jjS1G_bEUljE0_EEESZ_S10_S11_S18_S1C_S1E_T6_T7_T9_mT8_S1G_bDpT10_ENKUlT_T0_E_clISt17integral_constantIbLb1EES1T_IbLb0EEEEDaS1P_S1Q_EUlS1P_E_NS1_11comp_targetILNS1_3genE0ELNS1_11target_archE4294967295ELNS1_3gpuE0ELNS1_3repE0EEENS1_30default_config_static_selectorELNS0_4arch9wavefront6targetE0EEEvS12_ ; -- Begin function _ZN7rocprim17ROCPRIM_400000_NS6detail17trampoline_kernelINS0_13select_configILj256ELj13ELNS0_17block_load_methodE3ELS4_3ELS4_3ELNS0_20block_scan_algorithmE0ELj4294967295EEENS1_25partition_config_selectorILNS1_17partition_subalgoE4EjNS0_10empty_typeEbEEZZNS1_14partition_implILS8_4ELb0ES6_15HIP_vector_typeIjLj2EENS0_17counting_iteratorIjlEEPS9_SG_NS0_5tupleIJPjSI_NS0_16reverse_iteratorISI_EEEEENSH_IJSG_SG_SG_EEES9_SI_JZNS1_25segmented_radix_sort_implINS0_14default_configELb0EPKsPsPKlPlN2at6native12_GLOBAL__N_18offset_tEEE10hipError_tPvRmT1_PNSt15iterator_traitsIS12_E10value_typeET2_T3_PNS13_IS18_E10value_typeET4_jRbjT5_S1E_jjP12ihipStream_tbEUljE_ZNSN_ISO_Lb0ESQ_SR_ST_SU_SY_EESZ_S10_S11_S12_S16_S17_S18_S1B_S1C_jS1D_jS1E_S1E_jjS1G_bEUljE0_EEESZ_S10_S11_S18_S1C_S1E_T6_T7_T9_mT8_S1G_bDpT10_ENKUlT_T0_E_clISt17integral_constantIbLb1EES1T_IbLb0EEEEDaS1P_S1Q_EUlS1P_E_NS1_11comp_targetILNS1_3genE0ELNS1_11target_archE4294967295ELNS1_3gpuE0ELNS1_3repE0EEENS1_30default_config_static_selectorELNS0_4arch9wavefront6targetE0EEEvS12_
	.p2align	8
	.type	_ZN7rocprim17ROCPRIM_400000_NS6detail17trampoline_kernelINS0_13select_configILj256ELj13ELNS0_17block_load_methodE3ELS4_3ELS4_3ELNS0_20block_scan_algorithmE0ELj4294967295EEENS1_25partition_config_selectorILNS1_17partition_subalgoE4EjNS0_10empty_typeEbEEZZNS1_14partition_implILS8_4ELb0ES6_15HIP_vector_typeIjLj2EENS0_17counting_iteratorIjlEEPS9_SG_NS0_5tupleIJPjSI_NS0_16reverse_iteratorISI_EEEEENSH_IJSG_SG_SG_EEES9_SI_JZNS1_25segmented_radix_sort_implINS0_14default_configELb0EPKsPsPKlPlN2at6native12_GLOBAL__N_18offset_tEEE10hipError_tPvRmT1_PNSt15iterator_traitsIS12_E10value_typeET2_T3_PNS13_IS18_E10value_typeET4_jRbjT5_S1E_jjP12ihipStream_tbEUljE_ZNSN_ISO_Lb0ESQ_SR_ST_SU_SY_EESZ_S10_S11_S12_S16_S17_S18_S1B_S1C_jS1D_jS1E_S1E_jjS1G_bEUljE0_EEESZ_S10_S11_S18_S1C_S1E_T6_T7_T9_mT8_S1G_bDpT10_ENKUlT_T0_E_clISt17integral_constantIbLb1EES1T_IbLb0EEEEDaS1P_S1Q_EUlS1P_E_NS1_11comp_targetILNS1_3genE0ELNS1_11target_archE4294967295ELNS1_3gpuE0ELNS1_3repE0EEENS1_30default_config_static_selectorELNS0_4arch9wavefront6targetE0EEEvS12_,@function
_ZN7rocprim17ROCPRIM_400000_NS6detail17trampoline_kernelINS0_13select_configILj256ELj13ELNS0_17block_load_methodE3ELS4_3ELS4_3ELNS0_20block_scan_algorithmE0ELj4294967295EEENS1_25partition_config_selectorILNS1_17partition_subalgoE4EjNS0_10empty_typeEbEEZZNS1_14partition_implILS8_4ELb0ES6_15HIP_vector_typeIjLj2EENS0_17counting_iteratorIjlEEPS9_SG_NS0_5tupleIJPjSI_NS0_16reverse_iteratorISI_EEEEENSH_IJSG_SG_SG_EEES9_SI_JZNS1_25segmented_radix_sort_implINS0_14default_configELb0EPKsPsPKlPlN2at6native12_GLOBAL__N_18offset_tEEE10hipError_tPvRmT1_PNSt15iterator_traitsIS12_E10value_typeET2_T3_PNS13_IS18_E10value_typeET4_jRbjT5_S1E_jjP12ihipStream_tbEUljE_ZNSN_ISO_Lb0ESQ_SR_ST_SU_SY_EESZ_S10_S11_S12_S16_S17_S18_S1B_S1C_jS1D_jS1E_S1E_jjS1G_bEUljE0_EEESZ_S10_S11_S18_S1C_S1E_T6_T7_T9_mT8_S1G_bDpT10_ENKUlT_T0_E_clISt17integral_constantIbLb1EES1T_IbLb0EEEEDaS1P_S1Q_EUlS1P_E_NS1_11comp_targetILNS1_3genE0ELNS1_11target_archE4294967295ELNS1_3gpuE0ELNS1_3repE0EEENS1_30default_config_static_selectorELNS0_4arch9wavefront6targetE0EEEvS12_: ; @_ZN7rocprim17ROCPRIM_400000_NS6detail17trampoline_kernelINS0_13select_configILj256ELj13ELNS0_17block_load_methodE3ELS4_3ELS4_3ELNS0_20block_scan_algorithmE0ELj4294967295EEENS1_25partition_config_selectorILNS1_17partition_subalgoE4EjNS0_10empty_typeEbEEZZNS1_14partition_implILS8_4ELb0ES6_15HIP_vector_typeIjLj2EENS0_17counting_iteratorIjlEEPS9_SG_NS0_5tupleIJPjSI_NS0_16reverse_iteratorISI_EEEEENSH_IJSG_SG_SG_EEES9_SI_JZNS1_25segmented_radix_sort_implINS0_14default_configELb0EPKsPsPKlPlN2at6native12_GLOBAL__N_18offset_tEEE10hipError_tPvRmT1_PNSt15iterator_traitsIS12_E10value_typeET2_T3_PNS13_IS18_E10value_typeET4_jRbjT5_S1E_jjP12ihipStream_tbEUljE_ZNSN_ISO_Lb0ESQ_SR_ST_SU_SY_EESZ_S10_S11_S12_S16_S17_S18_S1B_S1C_jS1D_jS1E_S1E_jjS1G_bEUljE0_EEESZ_S10_S11_S18_S1C_S1E_T6_T7_T9_mT8_S1G_bDpT10_ENKUlT_T0_E_clISt17integral_constantIbLb1EES1T_IbLb0EEEEDaS1P_S1Q_EUlS1P_E_NS1_11comp_targetILNS1_3genE0ELNS1_11target_archE4294967295ELNS1_3gpuE0ELNS1_3repE0EEENS1_30default_config_static_selectorELNS0_4arch9wavefront6targetE0EEEvS12_
; %bb.0:
	.section	.rodata,"a",@progbits
	.p2align	6, 0x0
	.amdhsa_kernel _ZN7rocprim17ROCPRIM_400000_NS6detail17trampoline_kernelINS0_13select_configILj256ELj13ELNS0_17block_load_methodE3ELS4_3ELS4_3ELNS0_20block_scan_algorithmE0ELj4294967295EEENS1_25partition_config_selectorILNS1_17partition_subalgoE4EjNS0_10empty_typeEbEEZZNS1_14partition_implILS8_4ELb0ES6_15HIP_vector_typeIjLj2EENS0_17counting_iteratorIjlEEPS9_SG_NS0_5tupleIJPjSI_NS0_16reverse_iteratorISI_EEEEENSH_IJSG_SG_SG_EEES9_SI_JZNS1_25segmented_radix_sort_implINS0_14default_configELb0EPKsPsPKlPlN2at6native12_GLOBAL__N_18offset_tEEE10hipError_tPvRmT1_PNSt15iterator_traitsIS12_E10value_typeET2_T3_PNS13_IS18_E10value_typeET4_jRbjT5_S1E_jjP12ihipStream_tbEUljE_ZNSN_ISO_Lb0ESQ_SR_ST_SU_SY_EESZ_S10_S11_S12_S16_S17_S18_S1B_S1C_jS1D_jS1E_S1E_jjS1G_bEUljE0_EEESZ_S10_S11_S18_S1C_S1E_T6_T7_T9_mT8_S1G_bDpT10_ENKUlT_T0_E_clISt17integral_constantIbLb1EES1T_IbLb0EEEEDaS1P_S1Q_EUlS1P_E_NS1_11comp_targetILNS1_3genE0ELNS1_11target_archE4294967295ELNS1_3gpuE0ELNS1_3repE0EEENS1_30default_config_static_selectorELNS0_4arch9wavefront6targetE0EEEvS12_
		.amdhsa_group_segment_fixed_size 0
		.amdhsa_private_segment_fixed_size 0
		.amdhsa_kernarg_size 176
		.amdhsa_user_sgpr_count 2
		.amdhsa_user_sgpr_dispatch_ptr 0
		.amdhsa_user_sgpr_queue_ptr 0
		.amdhsa_user_sgpr_kernarg_segment_ptr 1
		.amdhsa_user_sgpr_dispatch_id 0
		.amdhsa_user_sgpr_private_segment_size 0
		.amdhsa_wavefront_size32 1
		.amdhsa_uses_dynamic_stack 0
		.amdhsa_enable_private_segment 0
		.amdhsa_system_sgpr_workgroup_id_x 1
		.amdhsa_system_sgpr_workgroup_id_y 0
		.amdhsa_system_sgpr_workgroup_id_z 0
		.amdhsa_system_sgpr_workgroup_info 0
		.amdhsa_system_vgpr_workitem_id 0
		.amdhsa_next_free_vgpr 1
		.amdhsa_next_free_sgpr 1
		.amdhsa_reserve_vcc 0
		.amdhsa_float_round_mode_32 0
		.amdhsa_float_round_mode_16_64 0
		.amdhsa_float_denorm_mode_32 3
		.amdhsa_float_denorm_mode_16_64 3
		.amdhsa_fp16_overflow 0
		.amdhsa_workgroup_processor_mode 1
		.amdhsa_memory_ordered 1
		.amdhsa_forward_progress 1
		.amdhsa_inst_pref_size 0
		.amdhsa_round_robin_scheduling 0
		.amdhsa_exception_fp_ieee_invalid_op 0
		.amdhsa_exception_fp_denorm_src 0
		.amdhsa_exception_fp_ieee_div_zero 0
		.amdhsa_exception_fp_ieee_overflow 0
		.amdhsa_exception_fp_ieee_underflow 0
		.amdhsa_exception_fp_ieee_inexact 0
		.amdhsa_exception_int_div_zero 0
	.end_amdhsa_kernel
	.section	.text._ZN7rocprim17ROCPRIM_400000_NS6detail17trampoline_kernelINS0_13select_configILj256ELj13ELNS0_17block_load_methodE3ELS4_3ELS4_3ELNS0_20block_scan_algorithmE0ELj4294967295EEENS1_25partition_config_selectorILNS1_17partition_subalgoE4EjNS0_10empty_typeEbEEZZNS1_14partition_implILS8_4ELb0ES6_15HIP_vector_typeIjLj2EENS0_17counting_iteratorIjlEEPS9_SG_NS0_5tupleIJPjSI_NS0_16reverse_iteratorISI_EEEEENSH_IJSG_SG_SG_EEES9_SI_JZNS1_25segmented_radix_sort_implINS0_14default_configELb0EPKsPsPKlPlN2at6native12_GLOBAL__N_18offset_tEEE10hipError_tPvRmT1_PNSt15iterator_traitsIS12_E10value_typeET2_T3_PNS13_IS18_E10value_typeET4_jRbjT5_S1E_jjP12ihipStream_tbEUljE_ZNSN_ISO_Lb0ESQ_SR_ST_SU_SY_EESZ_S10_S11_S12_S16_S17_S18_S1B_S1C_jS1D_jS1E_S1E_jjS1G_bEUljE0_EEESZ_S10_S11_S18_S1C_S1E_T6_T7_T9_mT8_S1G_bDpT10_ENKUlT_T0_E_clISt17integral_constantIbLb1EES1T_IbLb0EEEEDaS1P_S1Q_EUlS1P_E_NS1_11comp_targetILNS1_3genE0ELNS1_11target_archE4294967295ELNS1_3gpuE0ELNS1_3repE0EEENS1_30default_config_static_selectorELNS0_4arch9wavefront6targetE0EEEvS12_,"axG",@progbits,_ZN7rocprim17ROCPRIM_400000_NS6detail17trampoline_kernelINS0_13select_configILj256ELj13ELNS0_17block_load_methodE3ELS4_3ELS4_3ELNS0_20block_scan_algorithmE0ELj4294967295EEENS1_25partition_config_selectorILNS1_17partition_subalgoE4EjNS0_10empty_typeEbEEZZNS1_14partition_implILS8_4ELb0ES6_15HIP_vector_typeIjLj2EENS0_17counting_iteratorIjlEEPS9_SG_NS0_5tupleIJPjSI_NS0_16reverse_iteratorISI_EEEEENSH_IJSG_SG_SG_EEES9_SI_JZNS1_25segmented_radix_sort_implINS0_14default_configELb0EPKsPsPKlPlN2at6native12_GLOBAL__N_18offset_tEEE10hipError_tPvRmT1_PNSt15iterator_traitsIS12_E10value_typeET2_T3_PNS13_IS18_E10value_typeET4_jRbjT5_S1E_jjP12ihipStream_tbEUljE_ZNSN_ISO_Lb0ESQ_SR_ST_SU_SY_EESZ_S10_S11_S12_S16_S17_S18_S1B_S1C_jS1D_jS1E_S1E_jjS1G_bEUljE0_EEESZ_S10_S11_S18_S1C_S1E_T6_T7_T9_mT8_S1G_bDpT10_ENKUlT_T0_E_clISt17integral_constantIbLb1EES1T_IbLb0EEEEDaS1P_S1Q_EUlS1P_E_NS1_11comp_targetILNS1_3genE0ELNS1_11target_archE4294967295ELNS1_3gpuE0ELNS1_3repE0EEENS1_30default_config_static_selectorELNS0_4arch9wavefront6targetE0EEEvS12_,comdat
.Lfunc_end966:
	.size	_ZN7rocprim17ROCPRIM_400000_NS6detail17trampoline_kernelINS0_13select_configILj256ELj13ELNS0_17block_load_methodE3ELS4_3ELS4_3ELNS0_20block_scan_algorithmE0ELj4294967295EEENS1_25partition_config_selectorILNS1_17partition_subalgoE4EjNS0_10empty_typeEbEEZZNS1_14partition_implILS8_4ELb0ES6_15HIP_vector_typeIjLj2EENS0_17counting_iteratorIjlEEPS9_SG_NS0_5tupleIJPjSI_NS0_16reverse_iteratorISI_EEEEENSH_IJSG_SG_SG_EEES9_SI_JZNS1_25segmented_radix_sort_implINS0_14default_configELb0EPKsPsPKlPlN2at6native12_GLOBAL__N_18offset_tEEE10hipError_tPvRmT1_PNSt15iterator_traitsIS12_E10value_typeET2_T3_PNS13_IS18_E10value_typeET4_jRbjT5_S1E_jjP12ihipStream_tbEUljE_ZNSN_ISO_Lb0ESQ_SR_ST_SU_SY_EESZ_S10_S11_S12_S16_S17_S18_S1B_S1C_jS1D_jS1E_S1E_jjS1G_bEUljE0_EEESZ_S10_S11_S18_S1C_S1E_T6_T7_T9_mT8_S1G_bDpT10_ENKUlT_T0_E_clISt17integral_constantIbLb1EES1T_IbLb0EEEEDaS1P_S1Q_EUlS1P_E_NS1_11comp_targetILNS1_3genE0ELNS1_11target_archE4294967295ELNS1_3gpuE0ELNS1_3repE0EEENS1_30default_config_static_selectorELNS0_4arch9wavefront6targetE0EEEvS12_, .Lfunc_end966-_ZN7rocprim17ROCPRIM_400000_NS6detail17trampoline_kernelINS0_13select_configILj256ELj13ELNS0_17block_load_methodE3ELS4_3ELS4_3ELNS0_20block_scan_algorithmE0ELj4294967295EEENS1_25partition_config_selectorILNS1_17partition_subalgoE4EjNS0_10empty_typeEbEEZZNS1_14partition_implILS8_4ELb0ES6_15HIP_vector_typeIjLj2EENS0_17counting_iteratorIjlEEPS9_SG_NS0_5tupleIJPjSI_NS0_16reverse_iteratorISI_EEEEENSH_IJSG_SG_SG_EEES9_SI_JZNS1_25segmented_radix_sort_implINS0_14default_configELb0EPKsPsPKlPlN2at6native12_GLOBAL__N_18offset_tEEE10hipError_tPvRmT1_PNSt15iterator_traitsIS12_E10value_typeET2_T3_PNS13_IS18_E10value_typeET4_jRbjT5_S1E_jjP12ihipStream_tbEUljE_ZNSN_ISO_Lb0ESQ_SR_ST_SU_SY_EESZ_S10_S11_S12_S16_S17_S18_S1B_S1C_jS1D_jS1E_S1E_jjS1G_bEUljE0_EEESZ_S10_S11_S18_S1C_S1E_T6_T7_T9_mT8_S1G_bDpT10_ENKUlT_T0_E_clISt17integral_constantIbLb1EES1T_IbLb0EEEEDaS1P_S1Q_EUlS1P_E_NS1_11comp_targetILNS1_3genE0ELNS1_11target_archE4294967295ELNS1_3gpuE0ELNS1_3repE0EEENS1_30default_config_static_selectorELNS0_4arch9wavefront6targetE0EEEvS12_
                                        ; -- End function
	.set _ZN7rocprim17ROCPRIM_400000_NS6detail17trampoline_kernelINS0_13select_configILj256ELj13ELNS0_17block_load_methodE3ELS4_3ELS4_3ELNS0_20block_scan_algorithmE0ELj4294967295EEENS1_25partition_config_selectorILNS1_17partition_subalgoE4EjNS0_10empty_typeEbEEZZNS1_14partition_implILS8_4ELb0ES6_15HIP_vector_typeIjLj2EENS0_17counting_iteratorIjlEEPS9_SG_NS0_5tupleIJPjSI_NS0_16reverse_iteratorISI_EEEEENSH_IJSG_SG_SG_EEES9_SI_JZNS1_25segmented_radix_sort_implINS0_14default_configELb0EPKsPsPKlPlN2at6native12_GLOBAL__N_18offset_tEEE10hipError_tPvRmT1_PNSt15iterator_traitsIS12_E10value_typeET2_T3_PNS13_IS18_E10value_typeET4_jRbjT5_S1E_jjP12ihipStream_tbEUljE_ZNSN_ISO_Lb0ESQ_SR_ST_SU_SY_EESZ_S10_S11_S12_S16_S17_S18_S1B_S1C_jS1D_jS1E_S1E_jjS1G_bEUljE0_EEESZ_S10_S11_S18_S1C_S1E_T6_T7_T9_mT8_S1G_bDpT10_ENKUlT_T0_E_clISt17integral_constantIbLb1EES1T_IbLb0EEEEDaS1P_S1Q_EUlS1P_E_NS1_11comp_targetILNS1_3genE0ELNS1_11target_archE4294967295ELNS1_3gpuE0ELNS1_3repE0EEENS1_30default_config_static_selectorELNS0_4arch9wavefront6targetE0EEEvS12_.num_vgpr, 0
	.set _ZN7rocprim17ROCPRIM_400000_NS6detail17trampoline_kernelINS0_13select_configILj256ELj13ELNS0_17block_load_methodE3ELS4_3ELS4_3ELNS0_20block_scan_algorithmE0ELj4294967295EEENS1_25partition_config_selectorILNS1_17partition_subalgoE4EjNS0_10empty_typeEbEEZZNS1_14partition_implILS8_4ELb0ES6_15HIP_vector_typeIjLj2EENS0_17counting_iteratorIjlEEPS9_SG_NS0_5tupleIJPjSI_NS0_16reverse_iteratorISI_EEEEENSH_IJSG_SG_SG_EEES9_SI_JZNS1_25segmented_radix_sort_implINS0_14default_configELb0EPKsPsPKlPlN2at6native12_GLOBAL__N_18offset_tEEE10hipError_tPvRmT1_PNSt15iterator_traitsIS12_E10value_typeET2_T3_PNS13_IS18_E10value_typeET4_jRbjT5_S1E_jjP12ihipStream_tbEUljE_ZNSN_ISO_Lb0ESQ_SR_ST_SU_SY_EESZ_S10_S11_S12_S16_S17_S18_S1B_S1C_jS1D_jS1E_S1E_jjS1G_bEUljE0_EEESZ_S10_S11_S18_S1C_S1E_T6_T7_T9_mT8_S1G_bDpT10_ENKUlT_T0_E_clISt17integral_constantIbLb1EES1T_IbLb0EEEEDaS1P_S1Q_EUlS1P_E_NS1_11comp_targetILNS1_3genE0ELNS1_11target_archE4294967295ELNS1_3gpuE0ELNS1_3repE0EEENS1_30default_config_static_selectorELNS0_4arch9wavefront6targetE0EEEvS12_.num_agpr, 0
	.set _ZN7rocprim17ROCPRIM_400000_NS6detail17trampoline_kernelINS0_13select_configILj256ELj13ELNS0_17block_load_methodE3ELS4_3ELS4_3ELNS0_20block_scan_algorithmE0ELj4294967295EEENS1_25partition_config_selectorILNS1_17partition_subalgoE4EjNS0_10empty_typeEbEEZZNS1_14partition_implILS8_4ELb0ES6_15HIP_vector_typeIjLj2EENS0_17counting_iteratorIjlEEPS9_SG_NS0_5tupleIJPjSI_NS0_16reverse_iteratorISI_EEEEENSH_IJSG_SG_SG_EEES9_SI_JZNS1_25segmented_radix_sort_implINS0_14default_configELb0EPKsPsPKlPlN2at6native12_GLOBAL__N_18offset_tEEE10hipError_tPvRmT1_PNSt15iterator_traitsIS12_E10value_typeET2_T3_PNS13_IS18_E10value_typeET4_jRbjT5_S1E_jjP12ihipStream_tbEUljE_ZNSN_ISO_Lb0ESQ_SR_ST_SU_SY_EESZ_S10_S11_S12_S16_S17_S18_S1B_S1C_jS1D_jS1E_S1E_jjS1G_bEUljE0_EEESZ_S10_S11_S18_S1C_S1E_T6_T7_T9_mT8_S1G_bDpT10_ENKUlT_T0_E_clISt17integral_constantIbLb1EES1T_IbLb0EEEEDaS1P_S1Q_EUlS1P_E_NS1_11comp_targetILNS1_3genE0ELNS1_11target_archE4294967295ELNS1_3gpuE0ELNS1_3repE0EEENS1_30default_config_static_selectorELNS0_4arch9wavefront6targetE0EEEvS12_.numbered_sgpr, 0
	.set _ZN7rocprim17ROCPRIM_400000_NS6detail17trampoline_kernelINS0_13select_configILj256ELj13ELNS0_17block_load_methodE3ELS4_3ELS4_3ELNS0_20block_scan_algorithmE0ELj4294967295EEENS1_25partition_config_selectorILNS1_17partition_subalgoE4EjNS0_10empty_typeEbEEZZNS1_14partition_implILS8_4ELb0ES6_15HIP_vector_typeIjLj2EENS0_17counting_iteratorIjlEEPS9_SG_NS0_5tupleIJPjSI_NS0_16reverse_iteratorISI_EEEEENSH_IJSG_SG_SG_EEES9_SI_JZNS1_25segmented_radix_sort_implINS0_14default_configELb0EPKsPsPKlPlN2at6native12_GLOBAL__N_18offset_tEEE10hipError_tPvRmT1_PNSt15iterator_traitsIS12_E10value_typeET2_T3_PNS13_IS18_E10value_typeET4_jRbjT5_S1E_jjP12ihipStream_tbEUljE_ZNSN_ISO_Lb0ESQ_SR_ST_SU_SY_EESZ_S10_S11_S12_S16_S17_S18_S1B_S1C_jS1D_jS1E_S1E_jjS1G_bEUljE0_EEESZ_S10_S11_S18_S1C_S1E_T6_T7_T9_mT8_S1G_bDpT10_ENKUlT_T0_E_clISt17integral_constantIbLb1EES1T_IbLb0EEEEDaS1P_S1Q_EUlS1P_E_NS1_11comp_targetILNS1_3genE0ELNS1_11target_archE4294967295ELNS1_3gpuE0ELNS1_3repE0EEENS1_30default_config_static_selectorELNS0_4arch9wavefront6targetE0EEEvS12_.num_named_barrier, 0
	.set _ZN7rocprim17ROCPRIM_400000_NS6detail17trampoline_kernelINS0_13select_configILj256ELj13ELNS0_17block_load_methodE3ELS4_3ELS4_3ELNS0_20block_scan_algorithmE0ELj4294967295EEENS1_25partition_config_selectorILNS1_17partition_subalgoE4EjNS0_10empty_typeEbEEZZNS1_14partition_implILS8_4ELb0ES6_15HIP_vector_typeIjLj2EENS0_17counting_iteratorIjlEEPS9_SG_NS0_5tupleIJPjSI_NS0_16reverse_iteratorISI_EEEEENSH_IJSG_SG_SG_EEES9_SI_JZNS1_25segmented_radix_sort_implINS0_14default_configELb0EPKsPsPKlPlN2at6native12_GLOBAL__N_18offset_tEEE10hipError_tPvRmT1_PNSt15iterator_traitsIS12_E10value_typeET2_T3_PNS13_IS18_E10value_typeET4_jRbjT5_S1E_jjP12ihipStream_tbEUljE_ZNSN_ISO_Lb0ESQ_SR_ST_SU_SY_EESZ_S10_S11_S12_S16_S17_S18_S1B_S1C_jS1D_jS1E_S1E_jjS1G_bEUljE0_EEESZ_S10_S11_S18_S1C_S1E_T6_T7_T9_mT8_S1G_bDpT10_ENKUlT_T0_E_clISt17integral_constantIbLb1EES1T_IbLb0EEEEDaS1P_S1Q_EUlS1P_E_NS1_11comp_targetILNS1_3genE0ELNS1_11target_archE4294967295ELNS1_3gpuE0ELNS1_3repE0EEENS1_30default_config_static_selectorELNS0_4arch9wavefront6targetE0EEEvS12_.private_seg_size, 0
	.set _ZN7rocprim17ROCPRIM_400000_NS6detail17trampoline_kernelINS0_13select_configILj256ELj13ELNS0_17block_load_methodE3ELS4_3ELS4_3ELNS0_20block_scan_algorithmE0ELj4294967295EEENS1_25partition_config_selectorILNS1_17partition_subalgoE4EjNS0_10empty_typeEbEEZZNS1_14partition_implILS8_4ELb0ES6_15HIP_vector_typeIjLj2EENS0_17counting_iteratorIjlEEPS9_SG_NS0_5tupleIJPjSI_NS0_16reverse_iteratorISI_EEEEENSH_IJSG_SG_SG_EEES9_SI_JZNS1_25segmented_radix_sort_implINS0_14default_configELb0EPKsPsPKlPlN2at6native12_GLOBAL__N_18offset_tEEE10hipError_tPvRmT1_PNSt15iterator_traitsIS12_E10value_typeET2_T3_PNS13_IS18_E10value_typeET4_jRbjT5_S1E_jjP12ihipStream_tbEUljE_ZNSN_ISO_Lb0ESQ_SR_ST_SU_SY_EESZ_S10_S11_S12_S16_S17_S18_S1B_S1C_jS1D_jS1E_S1E_jjS1G_bEUljE0_EEESZ_S10_S11_S18_S1C_S1E_T6_T7_T9_mT8_S1G_bDpT10_ENKUlT_T0_E_clISt17integral_constantIbLb1EES1T_IbLb0EEEEDaS1P_S1Q_EUlS1P_E_NS1_11comp_targetILNS1_3genE0ELNS1_11target_archE4294967295ELNS1_3gpuE0ELNS1_3repE0EEENS1_30default_config_static_selectorELNS0_4arch9wavefront6targetE0EEEvS12_.uses_vcc, 0
	.set _ZN7rocprim17ROCPRIM_400000_NS6detail17trampoline_kernelINS0_13select_configILj256ELj13ELNS0_17block_load_methodE3ELS4_3ELS4_3ELNS0_20block_scan_algorithmE0ELj4294967295EEENS1_25partition_config_selectorILNS1_17partition_subalgoE4EjNS0_10empty_typeEbEEZZNS1_14partition_implILS8_4ELb0ES6_15HIP_vector_typeIjLj2EENS0_17counting_iteratorIjlEEPS9_SG_NS0_5tupleIJPjSI_NS0_16reverse_iteratorISI_EEEEENSH_IJSG_SG_SG_EEES9_SI_JZNS1_25segmented_radix_sort_implINS0_14default_configELb0EPKsPsPKlPlN2at6native12_GLOBAL__N_18offset_tEEE10hipError_tPvRmT1_PNSt15iterator_traitsIS12_E10value_typeET2_T3_PNS13_IS18_E10value_typeET4_jRbjT5_S1E_jjP12ihipStream_tbEUljE_ZNSN_ISO_Lb0ESQ_SR_ST_SU_SY_EESZ_S10_S11_S12_S16_S17_S18_S1B_S1C_jS1D_jS1E_S1E_jjS1G_bEUljE0_EEESZ_S10_S11_S18_S1C_S1E_T6_T7_T9_mT8_S1G_bDpT10_ENKUlT_T0_E_clISt17integral_constantIbLb1EES1T_IbLb0EEEEDaS1P_S1Q_EUlS1P_E_NS1_11comp_targetILNS1_3genE0ELNS1_11target_archE4294967295ELNS1_3gpuE0ELNS1_3repE0EEENS1_30default_config_static_selectorELNS0_4arch9wavefront6targetE0EEEvS12_.uses_flat_scratch, 0
	.set _ZN7rocprim17ROCPRIM_400000_NS6detail17trampoline_kernelINS0_13select_configILj256ELj13ELNS0_17block_load_methodE3ELS4_3ELS4_3ELNS0_20block_scan_algorithmE0ELj4294967295EEENS1_25partition_config_selectorILNS1_17partition_subalgoE4EjNS0_10empty_typeEbEEZZNS1_14partition_implILS8_4ELb0ES6_15HIP_vector_typeIjLj2EENS0_17counting_iteratorIjlEEPS9_SG_NS0_5tupleIJPjSI_NS0_16reverse_iteratorISI_EEEEENSH_IJSG_SG_SG_EEES9_SI_JZNS1_25segmented_radix_sort_implINS0_14default_configELb0EPKsPsPKlPlN2at6native12_GLOBAL__N_18offset_tEEE10hipError_tPvRmT1_PNSt15iterator_traitsIS12_E10value_typeET2_T3_PNS13_IS18_E10value_typeET4_jRbjT5_S1E_jjP12ihipStream_tbEUljE_ZNSN_ISO_Lb0ESQ_SR_ST_SU_SY_EESZ_S10_S11_S12_S16_S17_S18_S1B_S1C_jS1D_jS1E_S1E_jjS1G_bEUljE0_EEESZ_S10_S11_S18_S1C_S1E_T6_T7_T9_mT8_S1G_bDpT10_ENKUlT_T0_E_clISt17integral_constantIbLb1EES1T_IbLb0EEEEDaS1P_S1Q_EUlS1P_E_NS1_11comp_targetILNS1_3genE0ELNS1_11target_archE4294967295ELNS1_3gpuE0ELNS1_3repE0EEENS1_30default_config_static_selectorELNS0_4arch9wavefront6targetE0EEEvS12_.has_dyn_sized_stack, 0
	.set _ZN7rocprim17ROCPRIM_400000_NS6detail17trampoline_kernelINS0_13select_configILj256ELj13ELNS0_17block_load_methodE3ELS4_3ELS4_3ELNS0_20block_scan_algorithmE0ELj4294967295EEENS1_25partition_config_selectorILNS1_17partition_subalgoE4EjNS0_10empty_typeEbEEZZNS1_14partition_implILS8_4ELb0ES6_15HIP_vector_typeIjLj2EENS0_17counting_iteratorIjlEEPS9_SG_NS0_5tupleIJPjSI_NS0_16reverse_iteratorISI_EEEEENSH_IJSG_SG_SG_EEES9_SI_JZNS1_25segmented_radix_sort_implINS0_14default_configELb0EPKsPsPKlPlN2at6native12_GLOBAL__N_18offset_tEEE10hipError_tPvRmT1_PNSt15iterator_traitsIS12_E10value_typeET2_T3_PNS13_IS18_E10value_typeET4_jRbjT5_S1E_jjP12ihipStream_tbEUljE_ZNSN_ISO_Lb0ESQ_SR_ST_SU_SY_EESZ_S10_S11_S12_S16_S17_S18_S1B_S1C_jS1D_jS1E_S1E_jjS1G_bEUljE0_EEESZ_S10_S11_S18_S1C_S1E_T6_T7_T9_mT8_S1G_bDpT10_ENKUlT_T0_E_clISt17integral_constantIbLb1EES1T_IbLb0EEEEDaS1P_S1Q_EUlS1P_E_NS1_11comp_targetILNS1_3genE0ELNS1_11target_archE4294967295ELNS1_3gpuE0ELNS1_3repE0EEENS1_30default_config_static_selectorELNS0_4arch9wavefront6targetE0EEEvS12_.has_recursion, 0
	.set _ZN7rocprim17ROCPRIM_400000_NS6detail17trampoline_kernelINS0_13select_configILj256ELj13ELNS0_17block_load_methodE3ELS4_3ELS4_3ELNS0_20block_scan_algorithmE0ELj4294967295EEENS1_25partition_config_selectorILNS1_17partition_subalgoE4EjNS0_10empty_typeEbEEZZNS1_14partition_implILS8_4ELb0ES6_15HIP_vector_typeIjLj2EENS0_17counting_iteratorIjlEEPS9_SG_NS0_5tupleIJPjSI_NS0_16reverse_iteratorISI_EEEEENSH_IJSG_SG_SG_EEES9_SI_JZNS1_25segmented_radix_sort_implINS0_14default_configELb0EPKsPsPKlPlN2at6native12_GLOBAL__N_18offset_tEEE10hipError_tPvRmT1_PNSt15iterator_traitsIS12_E10value_typeET2_T3_PNS13_IS18_E10value_typeET4_jRbjT5_S1E_jjP12ihipStream_tbEUljE_ZNSN_ISO_Lb0ESQ_SR_ST_SU_SY_EESZ_S10_S11_S12_S16_S17_S18_S1B_S1C_jS1D_jS1E_S1E_jjS1G_bEUljE0_EEESZ_S10_S11_S18_S1C_S1E_T6_T7_T9_mT8_S1G_bDpT10_ENKUlT_T0_E_clISt17integral_constantIbLb1EES1T_IbLb0EEEEDaS1P_S1Q_EUlS1P_E_NS1_11comp_targetILNS1_3genE0ELNS1_11target_archE4294967295ELNS1_3gpuE0ELNS1_3repE0EEENS1_30default_config_static_selectorELNS0_4arch9wavefront6targetE0EEEvS12_.has_indirect_call, 0
	.section	.AMDGPU.csdata,"",@progbits
; Kernel info:
; codeLenInByte = 0
; TotalNumSgprs: 0
; NumVgprs: 0
; ScratchSize: 0
; MemoryBound: 0
; FloatMode: 240
; IeeeMode: 1
; LDSByteSize: 0 bytes/workgroup (compile time only)
; SGPRBlocks: 0
; VGPRBlocks: 0
; NumSGPRsForWavesPerEU: 1
; NumVGPRsForWavesPerEU: 1
; Occupancy: 16
; WaveLimiterHint : 0
; COMPUTE_PGM_RSRC2:SCRATCH_EN: 0
; COMPUTE_PGM_RSRC2:USER_SGPR: 2
; COMPUTE_PGM_RSRC2:TRAP_HANDLER: 0
; COMPUTE_PGM_RSRC2:TGID_X_EN: 1
; COMPUTE_PGM_RSRC2:TGID_Y_EN: 0
; COMPUTE_PGM_RSRC2:TGID_Z_EN: 0
; COMPUTE_PGM_RSRC2:TIDIG_COMP_CNT: 0
	.section	.text._ZN7rocprim17ROCPRIM_400000_NS6detail17trampoline_kernelINS0_13select_configILj256ELj13ELNS0_17block_load_methodE3ELS4_3ELS4_3ELNS0_20block_scan_algorithmE0ELj4294967295EEENS1_25partition_config_selectorILNS1_17partition_subalgoE4EjNS0_10empty_typeEbEEZZNS1_14partition_implILS8_4ELb0ES6_15HIP_vector_typeIjLj2EENS0_17counting_iteratorIjlEEPS9_SG_NS0_5tupleIJPjSI_NS0_16reverse_iteratorISI_EEEEENSH_IJSG_SG_SG_EEES9_SI_JZNS1_25segmented_radix_sort_implINS0_14default_configELb0EPKsPsPKlPlN2at6native12_GLOBAL__N_18offset_tEEE10hipError_tPvRmT1_PNSt15iterator_traitsIS12_E10value_typeET2_T3_PNS13_IS18_E10value_typeET4_jRbjT5_S1E_jjP12ihipStream_tbEUljE_ZNSN_ISO_Lb0ESQ_SR_ST_SU_SY_EESZ_S10_S11_S12_S16_S17_S18_S1B_S1C_jS1D_jS1E_S1E_jjS1G_bEUljE0_EEESZ_S10_S11_S18_S1C_S1E_T6_T7_T9_mT8_S1G_bDpT10_ENKUlT_T0_E_clISt17integral_constantIbLb1EES1T_IbLb0EEEEDaS1P_S1Q_EUlS1P_E_NS1_11comp_targetILNS1_3genE5ELNS1_11target_archE942ELNS1_3gpuE9ELNS1_3repE0EEENS1_30default_config_static_selectorELNS0_4arch9wavefront6targetE0EEEvS12_,"axG",@progbits,_ZN7rocprim17ROCPRIM_400000_NS6detail17trampoline_kernelINS0_13select_configILj256ELj13ELNS0_17block_load_methodE3ELS4_3ELS4_3ELNS0_20block_scan_algorithmE0ELj4294967295EEENS1_25partition_config_selectorILNS1_17partition_subalgoE4EjNS0_10empty_typeEbEEZZNS1_14partition_implILS8_4ELb0ES6_15HIP_vector_typeIjLj2EENS0_17counting_iteratorIjlEEPS9_SG_NS0_5tupleIJPjSI_NS0_16reverse_iteratorISI_EEEEENSH_IJSG_SG_SG_EEES9_SI_JZNS1_25segmented_radix_sort_implINS0_14default_configELb0EPKsPsPKlPlN2at6native12_GLOBAL__N_18offset_tEEE10hipError_tPvRmT1_PNSt15iterator_traitsIS12_E10value_typeET2_T3_PNS13_IS18_E10value_typeET4_jRbjT5_S1E_jjP12ihipStream_tbEUljE_ZNSN_ISO_Lb0ESQ_SR_ST_SU_SY_EESZ_S10_S11_S12_S16_S17_S18_S1B_S1C_jS1D_jS1E_S1E_jjS1G_bEUljE0_EEESZ_S10_S11_S18_S1C_S1E_T6_T7_T9_mT8_S1G_bDpT10_ENKUlT_T0_E_clISt17integral_constantIbLb1EES1T_IbLb0EEEEDaS1P_S1Q_EUlS1P_E_NS1_11comp_targetILNS1_3genE5ELNS1_11target_archE942ELNS1_3gpuE9ELNS1_3repE0EEENS1_30default_config_static_selectorELNS0_4arch9wavefront6targetE0EEEvS12_,comdat
	.globl	_ZN7rocprim17ROCPRIM_400000_NS6detail17trampoline_kernelINS0_13select_configILj256ELj13ELNS0_17block_load_methodE3ELS4_3ELS4_3ELNS0_20block_scan_algorithmE0ELj4294967295EEENS1_25partition_config_selectorILNS1_17partition_subalgoE4EjNS0_10empty_typeEbEEZZNS1_14partition_implILS8_4ELb0ES6_15HIP_vector_typeIjLj2EENS0_17counting_iteratorIjlEEPS9_SG_NS0_5tupleIJPjSI_NS0_16reverse_iteratorISI_EEEEENSH_IJSG_SG_SG_EEES9_SI_JZNS1_25segmented_radix_sort_implINS0_14default_configELb0EPKsPsPKlPlN2at6native12_GLOBAL__N_18offset_tEEE10hipError_tPvRmT1_PNSt15iterator_traitsIS12_E10value_typeET2_T3_PNS13_IS18_E10value_typeET4_jRbjT5_S1E_jjP12ihipStream_tbEUljE_ZNSN_ISO_Lb0ESQ_SR_ST_SU_SY_EESZ_S10_S11_S12_S16_S17_S18_S1B_S1C_jS1D_jS1E_S1E_jjS1G_bEUljE0_EEESZ_S10_S11_S18_S1C_S1E_T6_T7_T9_mT8_S1G_bDpT10_ENKUlT_T0_E_clISt17integral_constantIbLb1EES1T_IbLb0EEEEDaS1P_S1Q_EUlS1P_E_NS1_11comp_targetILNS1_3genE5ELNS1_11target_archE942ELNS1_3gpuE9ELNS1_3repE0EEENS1_30default_config_static_selectorELNS0_4arch9wavefront6targetE0EEEvS12_ ; -- Begin function _ZN7rocprim17ROCPRIM_400000_NS6detail17trampoline_kernelINS0_13select_configILj256ELj13ELNS0_17block_load_methodE3ELS4_3ELS4_3ELNS0_20block_scan_algorithmE0ELj4294967295EEENS1_25partition_config_selectorILNS1_17partition_subalgoE4EjNS0_10empty_typeEbEEZZNS1_14partition_implILS8_4ELb0ES6_15HIP_vector_typeIjLj2EENS0_17counting_iteratorIjlEEPS9_SG_NS0_5tupleIJPjSI_NS0_16reverse_iteratorISI_EEEEENSH_IJSG_SG_SG_EEES9_SI_JZNS1_25segmented_radix_sort_implINS0_14default_configELb0EPKsPsPKlPlN2at6native12_GLOBAL__N_18offset_tEEE10hipError_tPvRmT1_PNSt15iterator_traitsIS12_E10value_typeET2_T3_PNS13_IS18_E10value_typeET4_jRbjT5_S1E_jjP12ihipStream_tbEUljE_ZNSN_ISO_Lb0ESQ_SR_ST_SU_SY_EESZ_S10_S11_S12_S16_S17_S18_S1B_S1C_jS1D_jS1E_S1E_jjS1G_bEUljE0_EEESZ_S10_S11_S18_S1C_S1E_T6_T7_T9_mT8_S1G_bDpT10_ENKUlT_T0_E_clISt17integral_constantIbLb1EES1T_IbLb0EEEEDaS1P_S1Q_EUlS1P_E_NS1_11comp_targetILNS1_3genE5ELNS1_11target_archE942ELNS1_3gpuE9ELNS1_3repE0EEENS1_30default_config_static_selectorELNS0_4arch9wavefront6targetE0EEEvS12_
	.p2align	8
	.type	_ZN7rocprim17ROCPRIM_400000_NS6detail17trampoline_kernelINS0_13select_configILj256ELj13ELNS0_17block_load_methodE3ELS4_3ELS4_3ELNS0_20block_scan_algorithmE0ELj4294967295EEENS1_25partition_config_selectorILNS1_17partition_subalgoE4EjNS0_10empty_typeEbEEZZNS1_14partition_implILS8_4ELb0ES6_15HIP_vector_typeIjLj2EENS0_17counting_iteratorIjlEEPS9_SG_NS0_5tupleIJPjSI_NS0_16reverse_iteratorISI_EEEEENSH_IJSG_SG_SG_EEES9_SI_JZNS1_25segmented_radix_sort_implINS0_14default_configELb0EPKsPsPKlPlN2at6native12_GLOBAL__N_18offset_tEEE10hipError_tPvRmT1_PNSt15iterator_traitsIS12_E10value_typeET2_T3_PNS13_IS18_E10value_typeET4_jRbjT5_S1E_jjP12ihipStream_tbEUljE_ZNSN_ISO_Lb0ESQ_SR_ST_SU_SY_EESZ_S10_S11_S12_S16_S17_S18_S1B_S1C_jS1D_jS1E_S1E_jjS1G_bEUljE0_EEESZ_S10_S11_S18_S1C_S1E_T6_T7_T9_mT8_S1G_bDpT10_ENKUlT_T0_E_clISt17integral_constantIbLb1EES1T_IbLb0EEEEDaS1P_S1Q_EUlS1P_E_NS1_11comp_targetILNS1_3genE5ELNS1_11target_archE942ELNS1_3gpuE9ELNS1_3repE0EEENS1_30default_config_static_selectorELNS0_4arch9wavefront6targetE0EEEvS12_,@function
_ZN7rocprim17ROCPRIM_400000_NS6detail17trampoline_kernelINS0_13select_configILj256ELj13ELNS0_17block_load_methodE3ELS4_3ELS4_3ELNS0_20block_scan_algorithmE0ELj4294967295EEENS1_25partition_config_selectorILNS1_17partition_subalgoE4EjNS0_10empty_typeEbEEZZNS1_14partition_implILS8_4ELb0ES6_15HIP_vector_typeIjLj2EENS0_17counting_iteratorIjlEEPS9_SG_NS0_5tupleIJPjSI_NS0_16reverse_iteratorISI_EEEEENSH_IJSG_SG_SG_EEES9_SI_JZNS1_25segmented_radix_sort_implINS0_14default_configELb0EPKsPsPKlPlN2at6native12_GLOBAL__N_18offset_tEEE10hipError_tPvRmT1_PNSt15iterator_traitsIS12_E10value_typeET2_T3_PNS13_IS18_E10value_typeET4_jRbjT5_S1E_jjP12ihipStream_tbEUljE_ZNSN_ISO_Lb0ESQ_SR_ST_SU_SY_EESZ_S10_S11_S12_S16_S17_S18_S1B_S1C_jS1D_jS1E_S1E_jjS1G_bEUljE0_EEESZ_S10_S11_S18_S1C_S1E_T6_T7_T9_mT8_S1G_bDpT10_ENKUlT_T0_E_clISt17integral_constantIbLb1EES1T_IbLb0EEEEDaS1P_S1Q_EUlS1P_E_NS1_11comp_targetILNS1_3genE5ELNS1_11target_archE942ELNS1_3gpuE9ELNS1_3repE0EEENS1_30default_config_static_selectorELNS0_4arch9wavefront6targetE0EEEvS12_: ; @_ZN7rocprim17ROCPRIM_400000_NS6detail17trampoline_kernelINS0_13select_configILj256ELj13ELNS0_17block_load_methodE3ELS4_3ELS4_3ELNS0_20block_scan_algorithmE0ELj4294967295EEENS1_25partition_config_selectorILNS1_17partition_subalgoE4EjNS0_10empty_typeEbEEZZNS1_14partition_implILS8_4ELb0ES6_15HIP_vector_typeIjLj2EENS0_17counting_iteratorIjlEEPS9_SG_NS0_5tupleIJPjSI_NS0_16reverse_iteratorISI_EEEEENSH_IJSG_SG_SG_EEES9_SI_JZNS1_25segmented_radix_sort_implINS0_14default_configELb0EPKsPsPKlPlN2at6native12_GLOBAL__N_18offset_tEEE10hipError_tPvRmT1_PNSt15iterator_traitsIS12_E10value_typeET2_T3_PNS13_IS18_E10value_typeET4_jRbjT5_S1E_jjP12ihipStream_tbEUljE_ZNSN_ISO_Lb0ESQ_SR_ST_SU_SY_EESZ_S10_S11_S12_S16_S17_S18_S1B_S1C_jS1D_jS1E_S1E_jjS1G_bEUljE0_EEESZ_S10_S11_S18_S1C_S1E_T6_T7_T9_mT8_S1G_bDpT10_ENKUlT_T0_E_clISt17integral_constantIbLb1EES1T_IbLb0EEEEDaS1P_S1Q_EUlS1P_E_NS1_11comp_targetILNS1_3genE5ELNS1_11target_archE942ELNS1_3gpuE9ELNS1_3repE0EEENS1_30default_config_static_selectorELNS0_4arch9wavefront6targetE0EEEvS12_
; %bb.0:
	.section	.rodata,"a",@progbits
	.p2align	6, 0x0
	.amdhsa_kernel _ZN7rocprim17ROCPRIM_400000_NS6detail17trampoline_kernelINS0_13select_configILj256ELj13ELNS0_17block_load_methodE3ELS4_3ELS4_3ELNS0_20block_scan_algorithmE0ELj4294967295EEENS1_25partition_config_selectorILNS1_17partition_subalgoE4EjNS0_10empty_typeEbEEZZNS1_14partition_implILS8_4ELb0ES6_15HIP_vector_typeIjLj2EENS0_17counting_iteratorIjlEEPS9_SG_NS0_5tupleIJPjSI_NS0_16reverse_iteratorISI_EEEEENSH_IJSG_SG_SG_EEES9_SI_JZNS1_25segmented_radix_sort_implINS0_14default_configELb0EPKsPsPKlPlN2at6native12_GLOBAL__N_18offset_tEEE10hipError_tPvRmT1_PNSt15iterator_traitsIS12_E10value_typeET2_T3_PNS13_IS18_E10value_typeET4_jRbjT5_S1E_jjP12ihipStream_tbEUljE_ZNSN_ISO_Lb0ESQ_SR_ST_SU_SY_EESZ_S10_S11_S12_S16_S17_S18_S1B_S1C_jS1D_jS1E_S1E_jjS1G_bEUljE0_EEESZ_S10_S11_S18_S1C_S1E_T6_T7_T9_mT8_S1G_bDpT10_ENKUlT_T0_E_clISt17integral_constantIbLb1EES1T_IbLb0EEEEDaS1P_S1Q_EUlS1P_E_NS1_11comp_targetILNS1_3genE5ELNS1_11target_archE942ELNS1_3gpuE9ELNS1_3repE0EEENS1_30default_config_static_selectorELNS0_4arch9wavefront6targetE0EEEvS12_
		.amdhsa_group_segment_fixed_size 0
		.amdhsa_private_segment_fixed_size 0
		.amdhsa_kernarg_size 176
		.amdhsa_user_sgpr_count 2
		.amdhsa_user_sgpr_dispatch_ptr 0
		.amdhsa_user_sgpr_queue_ptr 0
		.amdhsa_user_sgpr_kernarg_segment_ptr 1
		.amdhsa_user_sgpr_dispatch_id 0
		.amdhsa_user_sgpr_private_segment_size 0
		.amdhsa_wavefront_size32 1
		.amdhsa_uses_dynamic_stack 0
		.amdhsa_enable_private_segment 0
		.amdhsa_system_sgpr_workgroup_id_x 1
		.amdhsa_system_sgpr_workgroup_id_y 0
		.amdhsa_system_sgpr_workgroup_id_z 0
		.amdhsa_system_sgpr_workgroup_info 0
		.amdhsa_system_vgpr_workitem_id 0
		.amdhsa_next_free_vgpr 1
		.amdhsa_next_free_sgpr 1
		.amdhsa_reserve_vcc 0
		.amdhsa_float_round_mode_32 0
		.amdhsa_float_round_mode_16_64 0
		.amdhsa_float_denorm_mode_32 3
		.amdhsa_float_denorm_mode_16_64 3
		.amdhsa_fp16_overflow 0
		.amdhsa_workgroup_processor_mode 1
		.amdhsa_memory_ordered 1
		.amdhsa_forward_progress 1
		.amdhsa_inst_pref_size 0
		.amdhsa_round_robin_scheduling 0
		.amdhsa_exception_fp_ieee_invalid_op 0
		.amdhsa_exception_fp_denorm_src 0
		.amdhsa_exception_fp_ieee_div_zero 0
		.amdhsa_exception_fp_ieee_overflow 0
		.amdhsa_exception_fp_ieee_underflow 0
		.amdhsa_exception_fp_ieee_inexact 0
		.amdhsa_exception_int_div_zero 0
	.end_amdhsa_kernel
	.section	.text._ZN7rocprim17ROCPRIM_400000_NS6detail17trampoline_kernelINS0_13select_configILj256ELj13ELNS0_17block_load_methodE3ELS4_3ELS4_3ELNS0_20block_scan_algorithmE0ELj4294967295EEENS1_25partition_config_selectorILNS1_17partition_subalgoE4EjNS0_10empty_typeEbEEZZNS1_14partition_implILS8_4ELb0ES6_15HIP_vector_typeIjLj2EENS0_17counting_iteratorIjlEEPS9_SG_NS0_5tupleIJPjSI_NS0_16reverse_iteratorISI_EEEEENSH_IJSG_SG_SG_EEES9_SI_JZNS1_25segmented_radix_sort_implINS0_14default_configELb0EPKsPsPKlPlN2at6native12_GLOBAL__N_18offset_tEEE10hipError_tPvRmT1_PNSt15iterator_traitsIS12_E10value_typeET2_T3_PNS13_IS18_E10value_typeET4_jRbjT5_S1E_jjP12ihipStream_tbEUljE_ZNSN_ISO_Lb0ESQ_SR_ST_SU_SY_EESZ_S10_S11_S12_S16_S17_S18_S1B_S1C_jS1D_jS1E_S1E_jjS1G_bEUljE0_EEESZ_S10_S11_S18_S1C_S1E_T6_T7_T9_mT8_S1G_bDpT10_ENKUlT_T0_E_clISt17integral_constantIbLb1EES1T_IbLb0EEEEDaS1P_S1Q_EUlS1P_E_NS1_11comp_targetILNS1_3genE5ELNS1_11target_archE942ELNS1_3gpuE9ELNS1_3repE0EEENS1_30default_config_static_selectorELNS0_4arch9wavefront6targetE0EEEvS12_,"axG",@progbits,_ZN7rocprim17ROCPRIM_400000_NS6detail17trampoline_kernelINS0_13select_configILj256ELj13ELNS0_17block_load_methodE3ELS4_3ELS4_3ELNS0_20block_scan_algorithmE0ELj4294967295EEENS1_25partition_config_selectorILNS1_17partition_subalgoE4EjNS0_10empty_typeEbEEZZNS1_14partition_implILS8_4ELb0ES6_15HIP_vector_typeIjLj2EENS0_17counting_iteratorIjlEEPS9_SG_NS0_5tupleIJPjSI_NS0_16reverse_iteratorISI_EEEEENSH_IJSG_SG_SG_EEES9_SI_JZNS1_25segmented_radix_sort_implINS0_14default_configELb0EPKsPsPKlPlN2at6native12_GLOBAL__N_18offset_tEEE10hipError_tPvRmT1_PNSt15iterator_traitsIS12_E10value_typeET2_T3_PNS13_IS18_E10value_typeET4_jRbjT5_S1E_jjP12ihipStream_tbEUljE_ZNSN_ISO_Lb0ESQ_SR_ST_SU_SY_EESZ_S10_S11_S12_S16_S17_S18_S1B_S1C_jS1D_jS1E_S1E_jjS1G_bEUljE0_EEESZ_S10_S11_S18_S1C_S1E_T6_T7_T9_mT8_S1G_bDpT10_ENKUlT_T0_E_clISt17integral_constantIbLb1EES1T_IbLb0EEEEDaS1P_S1Q_EUlS1P_E_NS1_11comp_targetILNS1_3genE5ELNS1_11target_archE942ELNS1_3gpuE9ELNS1_3repE0EEENS1_30default_config_static_selectorELNS0_4arch9wavefront6targetE0EEEvS12_,comdat
.Lfunc_end967:
	.size	_ZN7rocprim17ROCPRIM_400000_NS6detail17trampoline_kernelINS0_13select_configILj256ELj13ELNS0_17block_load_methodE3ELS4_3ELS4_3ELNS0_20block_scan_algorithmE0ELj4294967295EEENS1_25partition_config_selectorILNS1_17partition_subalgoE4EjNS0_10empty_typeEbEEZZNS1_14partition_implILS8_4ELb0ES6_15HIP_vector_typeIjLj2EENS0_17counting_iteratorIjlEEPS9_SG_NS0_5tupleIJPjSI_NS0_16reverse_iteratorISI_EEEEENSH_IJSG_SG_SG_EEES9_SI_JZNS1_25segmented_radix_sort_implINS0_14default_configELb0EPKsPsPKlPlN2at6native12_GLOBAL__N_18offset_tEEE10hipError_tPvRmT1_PNSt15iterator_traitsIS12_E10value_typeET2_T3_PNS13_IS18_E10value_typeET4_jRbjT5_S1E_jjP12ihipStream_tbEUljE_ZNSN_ISO_Lb0ESQ_SR_ST_SU_SY_EESZ_S10_S11_S12_S16_S17_S18_S1B_S1C_jS1D_jS1E_S1E_jjS1G_bEUljE0_EEESZ_S10_S11_S18_S1C_S1E_T6_T7_T9_mT8_S1G_bDpT10_ENKUlT_T0_E_clISt17integral_constantIbLb1EES1T_IbLb0EEEEDaS1P_S1Q_EUlS1P_E_NS1_11comp_targetILNS1_3genE5ELNS1_11target_archE942ELNS1_3gpuE9ELNS1_3repE0EEENS1_30default_config_static_selectorELNS0_4arch9wavefront6targetE0EEEvS12_, .Lfunc_end967-_ZN7rocprim17ROCPRIM_400000_NS6detail17trampoline_kernelINS0_13select_configILj256ELj13ELNS0_17block_load_methodE3ELS4_3ELS4_3ELNS0_20block_scan_algorithmE0ELj4294967295EEENS1_25partition_config_selectorILNS1_17partition_subalgoE4EjNS0_10empty_typeEbEEZZNS1_14partition_implILS8_4ELb0ES6_15HIP_vector_typeIjLj2EENS0_17counting_iteratorIjlEEPS9_SG_NS0_5tupleIJPjSI_NS0_16reverse_iteratorISI_EEEEENSH_IJSG_SG_SG_EEES9_SI_JZNS1_25segmented_radix_sort_implINS0_14default_configELb0EPKsPsPKlPlN2at6native12_GLOBAL__N_18offset_tEEE10hipError_tPvRmT1_PNSt15iterator_traitsIS12_E10value_typeET2_T3_PNS13_IS18_E10value_typeET4_jRbjT5_S1E_jjP12ihipStream_tbEUljE_ZNSN_ISO_Lb0ESQ_SR_ST_SU_SY_EESZ_S10_S11_S12_S16_S17_S18_S1B_S1C_jS1D_jS1E_S1E_jjS1G_bEUljE0_EEESZ_S10_S11_S18_S1C_S1E_T6_T7_T9_mT8_S1G_bDpT10_ENKUlT_T0_E_clISt17integral_constantIbLb1EES1T_IbLb0EEEEDaS1P_S1Q_EUlS1P_E_NS1_11comp_targetILNS1_3genE5ELNS1_11target_archE942ELNS1_3gpuE9ELNS1_3repE0EEENS1_30default_config_static_selectorELNS0_4arch9wavefront6targetE0EEEvS12_
                                        ; -- End function
	.set _ZN7rocprim17ROCPRIM_400000_NS6detail17trampoline_kernelINS0_13select_configILj256ELj13ELNS0_17block_load_methodE3ELS4_3ELS4_3ELNS0_20block_scan_algorithmE0ELj4294967295EEENS1_25partition_config_selectorILNS1_17partition_subalgoE4EjNS0_10empty_typeEbEEZZNS1_14partition_implILS8_4ELb0ES6_15HIP_vector_typeIjLj2EENS0_17counting_iteratorIjlEEPS9_SG_NS0_5tupleIJPjSI_NS0_16reverse_iteratorISI_EEEEENSH_IJSG_SG_SG_EEES9_SI_JZNS1_25segmented_radix_sort_implINS0_14default_configELb0EPKsPsPKlPlN2at6native12_GLOBAL__N_18offset_tEEE10hipError_tPvRmT1_PNSt15iterator_traitsIS12_E10value_typeET2_T3_PNS13_IS18_E10value_typeET4_jRbjT5_S1E_jjP12ihipStream_tbEUljE_ZNSN_ISO_Lb0ESQ_SR_ST_SU_SY_EESZ_S10_S11_S12_S16_S17_S18_S1B_S1C_jS1D_jS1E_S1E_jjS1G_bEUljE0_EEESZ_S10_S11_S18_S1C_S1E_T6_T7_T9_mT8_S1G_bDpT10_ENKUlT_T0_E_clISt17integral_constantIbLb1EES1T_IbLb0EEEEDaS1P_S1Q_EUlS1P_E_NS1_11comp_targetILNS1_3genE5ELNS1_11target_archE942ELNS1_3gpuE9ELNS1_3repE0EEENS1_30default_config_static_selectorELNS0_4arch9wavefront6targetE0EEEvS12_.num_vgpr, 0
	.set _ZN7rocprim17ROCPRIM_400000_NS6detail17trampoline_kernelINS0_13select_configILj256ELj13ELNS0_17block_load_methodE3ELS4_3ELS4_3ELNS0_20block_scan_algorithmE0ELj4294967295EEENS1_25partition_config_selectorILNS1_17partition_subalgoE4EjNS0_10empty_typeEbEEZZNS1_14partition_implILS8_4ELb0ES6_15HIP_vector_typeIjLj2EENS0_17counting_iteratorIjlEEPS9_SG_NS0_5tupleIJPjSI_NS0_16reverse_iteratorISI_EEEEENSH_IJSG_SG_SG_EEES9_SI_JZNS1_25segmented_radix_sort_implINS0_14default_configELb0EPKsPsPKlPlN2at6native12_GLOBAL__N_18offset_tEEE10hipError_tPvRmT1_PNSt15iterator_traitsIS12_E10value_typeET2_T3_PNS13_IS18_E10value_typeET4_jRbjT5_S1E_jjP12ihipStream_tbEUljE_ZNSN_ISO_Lb0ESQ_SR_ST_SU_SY_EESZ_S10_S11_S12_S16_S17_S18_S1B_S1C_jS1D_jS1E_S1E_jjS1G_bEUljE0_EEESZ_S10_S11_S18_S1C_S1E_T6_T7_T9_mT8_S1G_bDpT10_ENKUlT_T0_E_clISt17integral_constantIbLb1EES1T_IbLb0EEEEDaS1P_S1Q_EUlS1P_E_NS1_11comp_targetILNS1_3genE5ELNS1_11target_archE942ELNS1_3gpuE9ELNS1_3repE0EEENS1_30default_config_static_selectorELNS0_4arch9wavefront6targetE0EEEvS12_.num_agpr, 0
	.set _ZN7rocprim17ROCPRIM_400000_NS6detail17trampoline_kernelINS0_13select_configILj256ELj13ELNS0_17block_load_methodE3ELS4_3ELS4_3ELNS0_20block_scan_algorithmE0ELj4294967295EEENS1_25partition_config_selectorILNS1_17partition_subalgoE4EjNS0_10empty_typeEbEEZZNS1_14partition_implILS8_4ELb0ES6_15HIP_vector_typeIjLj2EENS0_17counting_iteratorIjlEEPS9_SG_NS0_5tupleIJPjSI_NS0_16reverse_iteratorISI_EEEEENSH_IJSG_SG_SG_EEES9_SI_JZNS1_25segmented_radix_sort_implINS0_14default_configELb0EPKsPsPKlPlN2at6native12_GLOBAL__N_18offset_tEEE10hipError_tPvRmT1_PNSt15iterator_traitsIS12_E10value_typeET2_T3_PNS13_IS18_E10value_typeET4_jRbjT5_S1E_jjP12ihipStream_tbEUljE_ZNSN_ISO_Lb0ESQ_SR_ST_SU_SY_EESZ_S10_S11_S12_S16_S17_S18_S1B_S1C_jS1D_jS1E_S1E_jjS1G_bEUljE0_EEESZ_S10_S11_S18_S1C_S1E_T6_T7_T9_mT8_S1G_bDpT10_ENKUlT_T0_E_clISt17integral_constantIbLb1EES1T_IbLb0EEEEDaS1P_S1Q_EUlS1P_E_NS1_11comp_targetILNS1_3genE5ELNS1_11target_archE942ELNS1_3gpuE9ELNS1_3repE0EEENS1_30default_config_static_selectorELNS0_4arch9wavefront6targetE0EEEvS12_.numbered_sgpr, 0
	.set _ZN7rocprim17ROCPRIM_400000_NS6detail17trampoline_kernelINS0_13select_configILj256ELj13ELNS0_17block_load_methodE3ELS4_3ELS4_3ELNS0_20block_scan_algorithmE0ELj4294967295EEENS1_25partition_config_selectorILNS1_17partition_subalgoE4EjNS0_10empty_typeEbEEZZNS1_14partition_implILS8_4ELb0ES6_15HIP_vector_typeIjLj2EENS0_17counting_iteratorIjlEEPS9_SG_NS0_5tupleIJPjSI_NS0_16reverse_iteratorISI_EEEEENSH_IJSG_SG_SG_EEES9_SI_JZNS1_25segmented_radix_sort_implINS0_14default_configELb0EPKsPsPKlPlN2at6native12_GLOBAL__N_18offset_tEEE10hipError_tPvRmT1_PNSt15iterator_traitsIS12_E10value_typeET2_T3_PNS13_IS18_E10value_typeET4_jRbjT5_S1E_jjP12ihipStream_tbEUljE_ZNSN_ISO_Lb0ESQ_SR_ST_SU_SY_EESZ_S10_S11_S12_S16_S17_S18_S1B_S1C_jS1D_jS1E_S1E_jjS1G_bEUljE0_EEESZ_S10_S11_S18_S1C_S1E_T6_T7_T9_mT8_S1G_bDpT10_ENKUlT_T0_E_clISt17integral_constantIbLb1EES1T_IbLb0EEEEDaS1P_S1Q_EUlS1P_E_NS1_11comp_targetILNS1_3genE5ELNS1_11target_archE942ELNS1_3gpuE9ELNS1_3repE0EEENS1_30default_config_static_selectorELNS0_4arch9wavefront6targetE0EEEvS12_.num_named_barrier, 0
	.set _ZN7rocprim17ROCPRIM_400000_NS6detail17trampoline_kernelINS0_13select_configILj256ELj13ELNS0_17block_load_methodE3ELS4_3ELS4_3ELNS0_20block_scan_algorithmE0ELj4294967295EEENS1_25partition_config_selectorILNS1_17partition_subalgoE4EjNS0_10empty_typeEbEEZZNS1_14partition_implILS8_4ELb0ES6_15HIP_vector_typeIjLj2EENS0_17counting_iteratorIjlEEPS9_SG_NS0_5tupleIJPjSI_NS0_16reverse_iteratorISI_EEEEENSH_IJSG_SG_SG_EEES9_SI_JZNS1_25segmented_radix_sort_implINS0_14default_configELb0EPKsPsPKlPlN2at6native12_GLOBAL__N_18offset_tEEE10hipError_tPvRmT1_PNSt15iterator_traitsIS12_E10value_typeET2_T3_PNS13_IS18_E10value_typeET4_jRbjT5_S1E_jjP12ihipStream_tbEUljE_ZNSN_ISO_Lb0ESQ_SR_ST_SU_SY_EESZ_S10_S11_S12_S16_S17_S18_S1B_S1C_jS1D_jS1E_S1E_jjS1G_bEUljE0_EEESZ_S10_S11_S18_S1C_S1E_T6_T7_T9_mT8_S1G_bDpT10_ENKUlT_T0_E_clISt17integral_constantIbLb1EES1T_IbLb0EEEEDaS1P_S1Q_EUlS1P_E_NS1_11comp_targetILNS1_3genE5ELNS1_11target_archE942ELNS1_3gpuE9ELNS1_3repE0EEENS1_30default_config_static_selectorELNS0_4arch9wavefront6targetE0EEEvS12_.private_seg_size, 0
	.set _ZN7rocprim17ROCPRIM_400000_NS6detail17trampoline_kernelINS0_13select_configILj256ELj13ELNS0_17block_load_methodE3ELS4_3ELS4_3ELNS0_20block_scan_algorithmE0ELj4294967295EEENS1_25partition_config_selectorILNS1_17partition_subalgoE4EjNS0_10empty_typeEbEEZZNS1_14partition_implILS8_4ELb0ES6_15HIP_vector_typeIjLj2EENS0_17counting_iteratorIjlEEPS9_SG_NS0_5tupleIJPjSI_NS0_16reverse_iteratorISI_EEEEENSH_IJSG_SG_SG_EEES9_SI_JZNS1_25segmented_radix_sort_implINS0_14default_configELb0EPKsPsPKlPlN2at6native12_GLOBAL__N_18offset_tEEE10hipError_tPvRmT1_PNSt15iterator_traitsIS12_E10value_typeET2_T3_PNS13_IS18_E10value_typeET4_jRbjT5_S1E_jjP12ihipStream_tbEUljE_ZNSN_ISO_Lb0ESQ_SR_ST_SU_SY_EESZ_S10_S11_S12_S16_S17_S18_S1B_S1C_jS1D_jS1E_S1E_jjS1G_bEUljE0_EEESZ_S10_S11_S18_S1C_S1E_T6_T7_T9_mT8_S1G_bDpT10_ENKUlT_T0_E_clISt17integral_constantIbLb1EES1T_IbLb0EEEEDaS1P_S1Q_EUlS1P_E_NS1_11comp_targetILNS1_3genE5ELNS1_11target_archE942ELNS1_3gpuE9ELNS1_3repE0EEENS1_30default_config_static_selectorELNS0_4arch9wavefront6targetE0EEEvS12_.uses_vcc, 0
	.set _ZN7rocprim17ROCPRIM_400000_NS6detail17trampoline_kernelINS0_13select_configILj256ELj13ELNS0_17block_load_methodE3ELS4_3ELS4_3ELNS0_20block_scan_algorithmE0ELj4294967295EEENS1_25partition_config_selectorILNS1_17partition_subalgoE4EjNS0_10empty_typeEbEEZZNS1_14partition_implILS8_4ELb0ES6_15HIP_vector_typeIjLj2EENS0_17counting_iteratorIjlEEPS9_SG_NS0_5tupleIJPjSI_NS0_16reverse_iteratorISI_EEEEENSH_IJSG_SG_SG_EEES9_SI_JZNS1_25segmented_radix_sort_implINS0_14default_configELb0EPKsPsPKlPlN2at6native12_GLOBAL__N_18offset_tEEE10hipError_tPvRmT1_PNSt15iterator_traitsIS12_E10value_typeET2_T3_PNS13_IS18_E10value_typeET4_jRbjT5_S1E_jjP12ihipStream_tbEUljE_ZNSN_ISO_Lb0ESQ_SR_ST_SU_SY_EESZ_S10_S11_S12_S16_S17_S18_S1B_S1C_jS1D_jS1E_S1E_jjS1G_bEUljE0_EEESZ_S10_S11_S18_S1C_S1E_T6_T7_T9_mT8_S1G_bDpT10_ENKUlT_T0_E_clISt17integral_constantIbLb1EES1T_IbLb0EEEEDaS1P_S1Q_EUlS1P_E_NS1_11comp_targetILNS1_3genE5ELNS1_11target_archE942ELNS1_3gpuE9ELNS1_3repE0EEENS1_30default_config_static_selectorELNS0_4arch9wavefront6targetE0EEEvS12_.uses_flat_scratch, 0
	.set _ZN7rocprim17ROCPRIM_400000_NS6detail17trampoline_kernelINS0_13select_configILj256ELj13ELNS0_17block_load_methodE3ELS4_3ELS4_3ELNS0_20block_scan_algorithmE0ELj4294967295EEENS1_25partition_config_selectorILNS1_17partition_subalgoE4EjNS0_10empty_typeEbEEZZNS1_14partition_implILS8_4ELb0ES6_15HIP_vector_typeIjLj2EENS0_17counting_iteratorIjlEEPS9_SG_NS0_5tupleIJPjSI_NS0_16reverse_iteratorISI_EEEEENSH_IJSG_SG_SG_EEES9_SI_JZNS1_25segmented_radix_sort_implINS0_14default_configELb0EPKsPsPKlPlN2at6native12_GLOBAL__N_18offset_tEEE10hipError_tPvRmT1_PNSt15iterator_traitsIS12_E10value_typeET2_T3_PNS13_IS18_E10value_typeET4_jRbjT5_S1E_jjP12ihipStream_tbEUljE_ZNSN_ISO_Lb0ESQ_SR_ST_SU_SY_EESZ_S10_S11_S12_S16_S17_S18_S1B_S1C_jS1D_jS1E_S1E_jjS1G_bEUljE0_EEESZ_S10_S11_S18_S1C_S1E_T6_T7_T9_mT8_S1G_bDpT10_ENKUlT_T0_E_clISt17integral_constantIbLb1EES1T_IbLb0EEEEDaS1P_S1Q_EUlS1P_E_NS1_11comp_targetILNS1_3genE5ELNS1_11target_archE942ELNS1_3gpuE9ELNS1_3repE0EEENS1_30default_config_static_selectorELNS0_4arch9wavefront6targetE0EEEvS12_.has_dyn_sized_stack, 0
	.set _ZN7rocprim17ROCPRIM_400000_NS6detail17trampoline_kernelINS0_13select_configILj256ELj13ELNS0_17block_load_methodE3ELS4_3ELS4_3ELNS0_20block_scan_algorithmE0ELj4294967295EEENS1_25partition_config_selectorILNS1_17partition_subalgoE4EjNS0_10empty_typeEbEEZZNS1_14partition_implILS8_4ELb0ES6_15HIP_vector_typeIjLj2EENS0_17counting_iteratorIjlEEPS9_SG_NS0_5tupleIJPjSI_NS0_16reverse_iteratorISI_EEEEENSH_IJSG_SG_SG_EEES9_SI_JZNS1_25segmented_radix_sort_implINS0_14default_configELb0EPKsPsPKlPlN2at6native12_GLOBAL__N_18offset_tEEE10hipError_tPvRmT1_PNSt15iterator_traitsIS12_E10value_typeET2_T3_PNS13_IS18_E10value_typeET4_jRbjT5_S1E_jjP12ihipStream_tbEUljE_ZNSN_ISO_Lb0ESQ_SR_ST_SU_SY_EESZ_S10_S11_S12_S16_S17_S18_S1B_S1C_jS1D_jS1E_S1E_jjS1G_bEUljE0_EEESZ_S10_S11_S18_S1C_S1E_T6_T7_T9_mT8_S1G_bDpT10_ENKUlT_T0_E_clISt17integral_constantIbLb1EES1T_IbLb0EEEEDaS1P_S1Q_EUlS1P_E_NS1_11comp_targetILNS1_3genE5ELNS1_11target_archE942ELNS1_3gpuE9ELNS1_3repE0EEENS1_30default_config_static_selectorELNS0_4arch9wavefront6targetE0EEEvS12_.has_recursion, 0
	.set _ZN7rocprim17ROCPRIM_400000_NS6detail17trampoline_kernelINS0_13select_configILj256ELj13ELNS0_17block_load_methodE3ELS4_3ELS4_3ELNS0_20block_scan_algorithmE0ELj4294967295EEENS1_25partition_config_selectorILNS1_17partition_subalgoE4EjNS0_10empty_typeEbEEZZNS1_14partition_implILS8_4ELb0ES6_15HIP_vector_typeIjLj2EENS0_17counting_iteratorIjlEEPS9_SG_NS0_5tupleIJPjSI_NS0_16reverse_iteratorISI_EEEEENSH_IJSG_SG_SG_EEES9_SI_JZNS1_25segmented_radix_sort_implINS0_14default_configELb0EPKsPsPKlPlN2at6native12_GLOBAL__N_18offset_tEEE10hipError_tPvRmT1_PNSt15iterator_traitsIS12_E10value_typeET2_T3_PNS13_IS18_E10value_typeET4_jRbjT5_S1E_jjP12ihipStream_tbEUljE_ZNSN_ISO_Lb0ESQ_SR_ST_SU_SY_EESZ_S10_S11_S12_S16_S17_S18_S1B_S1C_jS1D_jS1E_S1E_jjS1G_bEUljE0_EEESZ_S10_S11_S18_S1C_S1E_T6_T7_T9_mT8_S1G_bDpT10_ENKUlT_T0_E_clISt17integral_constantIbLb1EES1T_IbLb0EEEEDaS1P_S1Q_EUlS1P_E_NS1_11comp_targetILNS1_3genE5ELNS1_11target_archE942ELNS1_3gpuE9ELNS1_3repE0EEENS1_30default_config_static_selectorELNS0_4arch9wavefront6targetE0EEEvS12_.has_indirect_call, 0
	.section	.AMDGPU.csdata,"",@progbits
; Kernel info:
; codeLenInByte = 0
; TotalNumSgprs: 0
; NumVgprs: 0
; ScratchSize: 0
; MemoryBound: 0
; FloatMode: 240
; IeeeMode: 1
; LDSByteSize: 0 bytes/workgroup (compile time only)
; SGPRBlocks: 0
; VGPRBlocks: 0
; NumSGPRsForWavesPerEU: 1
; NumVGPRsForWavesPerEU: 1
; Occupancy: 16
; WaveLimiterHint : 0
; COMPUTE_PGM_RSRC2:SCRATCH_EN: 0
; COMPUTE_PGM_RSRC2:USER_SGPR: 2
; COMPUTE_PGM_RSRC2:TRAP_HANDLER: 0
; COMPUTE_PGM_RSRC2:TGID_X_EN: 1
; COMPUTE_PGM_RSRC2:TGID_Y_EN: 0
; COMPUTE_PGM_RSRC2:TGID_Z_EN: 0
; COMPUTE_PGM_RSRC2:TIDIG_COMP_CNT: 0
	.section	.text._ZN7rocprim17ROCPRIM_400000_NS6detail17trampoline_kernelINS0_13select_configILj256ELj13ELNS0_17block_load_methodE3ELS4_3ELS4_3ELNS0_20block_scan_algorithmE0ELj4294967295EEENS1_25partition_config_selectorILNS1_17partition_subalgoE4EjNS0_10empty_typeEbEEZZNS1_14partition_implILS8_4ELb0ES6_15HIP_vector_typeIjLj2EENS0_17counting_iteratorIjlEEPS9_SG_NS0_5tupleIJPjSI_NS0_16reverse_iteratorISI_EEEEENSH_IJSG_SG_SG_EEES9_SI_JZNS1_25segmented_radix_sort_implINS0_14default_configELb0EPKsPsPKlPlN2at6native12_GLOBAL__N_18offset_tEEE10hipError_tPvRmT1_PNSt15iterator_traitsIS12_E10value_typeET2_T3_PNS13_IS18_E10value_typeET4_jRbjT5_S1E_jjP12ihipStream_tbEUljE_ZNSN_ISO_Lb0ESQ_SR_ST_SU_SY_EESZ_S10_S11_S12_S16_S17_S18_S1B_S1C_jS1D_jS1E_S1E_jjS1G_bEUljE0_EEESZ_S10_S11_S18_S1C_S1E_T6_T7_T9_mT8_S1G_bDpT10_ENKUlT_T0_E_clISt17integral_constantIbLb1EES1T_IbLb0EEEEDaS1P_S1Q_EUlS1P_E_NS1_11comp_targetILNS1_3genE4ELNS1_11target_archE910ELNS1_3gpuE8ELNS1_3repE0EEENS1_30default_config_static_selectorELNS0_4arch9wavefront6targetE0EEEvS12_,"axG",@progbits,_ZN7rocprim17ROCPRIM_400000_NS6detail17trampoline_kernelINS0_13select_configILj256ELj13ELNS0_17block_load_methodE3ELS4_3ELS4_3ELNS0_20block_scan_algorithmE0ELj4294967295EEENS1_25partition_config_selectorILNS1_17partition_subalgoE4EjNS0_10empty_typeEbEEZZNS1_14partition_implILS8_4ELb0ES6_15HIP_vector_typeIjLj2EENS0_17counting_iteratorIjlEEPS9_SG_NS0_5tupleIJPjSI_NS0_16reverse_iteratorISI_EEEEENSH_IJSG_SG_SG_EEES9_SI_JZNS1_25segmented_radix_sort_implINS0_14default_configELb0EPKsPsPKlPlN2at6native12_GLOBAL__N_18offset_tEEE10hipError_tPvRmT1_PNSt15iterator_traitsIS12_E10value_typeET2_T3_PNS13_IS18_E10value_typeET4_jRbjT5_S1E_jjP12ihipStream_tbEUljE_ZNSN_ISO_Lb0ESQ_SR_ST_SU_SY_EESZ_S10_S11_S12_S16_S17_S18_S1B_S1C_jS1D_jS1E_S1E_jjS1G_bEUljE0_EEESZ_S10_S11_S18_S1C_S1E_T6_T7_T9_mT8_S1G_bDpT10_ENKUlT_T0_E_clISt17integral_constantIbLb1EES1T_IbLb0EEEEDaS1P_S1Q_EUlS1P_E_NS1_11comp_targetILNS1_3genE4ELNS1_11target_archE910ELNS1_3gpuE8ELNS1_3repE0EEENS1_30default_config_static_selectorELNS0_4arch9wavefront6targetE0EEEvS12_,comdat
	.globl	_ZN7rocprim17ROCPRIM_400000_NS6detail17trampoline_kernelINS0_13select_configILj256ELj13ELNS0_17block_load_methodE3ELS4_3ELS4_3ELNS0_20block_scan_algorithmE0ELj4294967295EEENS1_25partition_config_selectorILNS1_17partition_subalgoE4EjNS0_10empty_typeEbEEZZNS1_14partition_implILS8_4ELb0ES6_15HIP_vector_typeIjLj2EENS0_17counting_iteratorIjlEEPS9_SG_NS0_5tupleIJPjSI_NS0_16reverse_iteratorISI_EEEEENSH_IJSG_SG_SG_EEES9_SI_JZNS1_25segmented_radix_sort_implINS0_14default_configELb0EPKsPsPKlPlN2at6native12_GLOBAL__N_18offset_tEEE10hipError_tPvRmT1_PNSt15iterator_traitsIS12_E10value_typeET2_T3_PNS13_IS18_E10value_typeET4_jRbjT5_S1E_jjP12ihipStream_tbEUljE_ZNSN_ISO_Lb0ESQ_SR_ST_SU_SY_EESZ_S10_S11_S12_S16_S17_S18_S1B_S1C_jS1D_jS1E_S1E_jjS1G_bEUljE0_EEESZ_S10_S11_S18_S1C_S1E_T6_T7_T9_mT8_S1G_bDpT10_ENKUlT_T0_E_clISt17integral_constantIbLb1EES1T_IbLb0EEEEDaS1P_S1Q_EUlS1P_E_NS1_11comp_targetILNS1_3genE4ELNS1_11target_archE910ELNS1_3gpuE8ELNS1_3repE0EEENS1_30default_config_static_selectorELNS0_4arch9wavefront6targetE0EEEvS12_ ; -- Begin function _ZN7rocprim17ROCPRIM_400000_NS6detail17trampoline_kernelINS0_13select_configILj256ELj13ELNS0_17block_load_methodE3ELS4_3ELS4_3ELNS0_20block_scan_algorithmE0ELj4294967295EEENS1_25partition_config_selectorILNS1_17partition_subalgoE4EjNS0_10empty_typeEbEEZZNS1_14partition_implILS8_4ELb0ES6_15HIP_vector_typeIjLj2EENS0_17counting_iteratorIjlEEPS9_SG_NS0_5tupleIJPjSI_NS0_16reverse_iteratorISI_EEEEENSH_IJSG_SG_SG_EEES9_SI_JZNS1_25segmented_radix_sort_implINS0_14default_configELb0EPKsPsPKlPlN2at6native12_GLOBAL__N_18offset_tEEE10hipError_tPvRmT1_PNSt15iterator_traitsIS12_E10value_typeET2_T3_PNS13_IS18_E10value_typeET4_jRbjT5_S1E_jjP12ihipStream_tbEUljE_ZNSN_ISO_Lb0ESQ_SR_ST_SU_SY_EESZ_S10_S11_S12_S16_S17_S18_S1B_S1C_jS1D_jS1E_S1E_jjS1G_bEUljE0_EEESZ_S10_S11_S18_S1C_S1E_T6_T7_T9_mT8_S1G_bDpT10_ENKUlT_T0_E_clISt17integral_constantIbLb1EES1T_IbLb0EEEEDaS1P_S1Q_EUlS1P_E_NS1_11comp_targetILNS1_3genE4ELNS1_11target_archE910ELNS1_3gpuE8ELNS1_3repE0EEENS1_30default_config_static_selectorELNS0_4arch9wavefront6targetE0EEEvS12_
	.p2align	8
	.type	_ZN7rocprim17ROCPRIM_400000_NS6detail17trampoline_kernelINS0_13select_configILj256ELj13ELNS0_17block_load_methodE3ELS4_3ELS4_3ELNS0_20block_scan_algorithmE0ELj4294967295EEENS1_25partition_config_selectorILNS1_17partition_subalgoE4EjNS0_10empty_typeEbEEZZNS1_14partition_implILS8_4ELb0ES6_15HIP_vector_typeIjLj2EENS0_17counting_iteratorIjlEEPS9_SG_NS0_5tupleIJPjSI_NS0_16reverse_iteratorISI_EEEEENSH_IJSG_SG_SG_EEES9_SI_JZNS1_25segmented_radix_sort_implINS0_14default_configELb0EPKsPsPKlPlN2at6native12_GLOBAL__N_18offset_tEEE10hipError_tPvRmT1_PNSt15iterator_traitsIS12_E10value_typeET2_T3_PNS13_IS18_E10value_typeET4_jRbjT5_S1E_jjP12ihipStream_tbEUljE_ZNSN_ISO_Lb0ESQ_SR_ST_SU_SY_EESZ_S10_S11_S12_S16_S17_S18_S1B_S1C_jS1D_jS1E_S1E_jjS1G_bEUljE0_EEESZ_S10_S11_S18_S1C_S1E_T6_T7_T9_mT8_S1G_bDpT10_ENKUlT_T0_E_clISt17integral_constantIbLb1EES1T_IbLb0EEEEDaS1P_S1Q_EUlS1P_E_NS1_11comp_targetILNS1_3genE4ELNS1_11target_archE910ELNS1_3gpuE8ELNS1_3repE0EEENS1_30default_config_static_selectorELNS0_4arch9wavefront6targetE0EEEvS12_,@function
_ZN7rocprim17ROCPRIM_400000_NS6detail17trampoline_kernelINS0_13select_configILj256ELj13ELNS0_17block_load_methodE3ELS4_3ELS4_3ELNS0_20block_scan_algorithmE0ELj4294967295EEENS1_25partition_config_selectorILNS1_17partition_subalgoE4EjNS0_10empty_typeEbEEZZNS1_14partition_implILS8_4ELb0ES6_15HIP_vector_typeIjLj2EENS0_17counting_iteratorIjlEEPS9_SG_NS0_5tupleIJPjSI_NS0_16reverse_iteratorISI_EEEEENSH_IJSG_SG_SG_EEES9_SI_JZNS1_25segmented_radix_sort_implINS0_14default_configELb0EPKsPsPKlPlN2at6native12_GLOBAL__N_18offset_tEEE10hipError_tPvRmT1_PNSt15iterator_traitsIS12_E10value_typeET2_T3_PNS13_IS18_E10value_typeET4_jRbjT5_S1E_jjP12ihipStream_tbEUljE_ZNSN_ISO_Lb0ESQ_SR_ST_SU_SY_EESZ_S10_S11_S12_S16_S17_S18_S1B_S1C_jS1D_jS1E_S1E_jjS1G_bEUljE0_EEESZ_S10_S11_S18_S1C_S1E_T6_T7_T9_mT8_S1G_bDpT10_ENKUlT_T0_E_clISt17integral_constantIbLb1EES1T_IbLb0EEEEDaS1P_S1Q_EUlS1P_E_NS1_11comp_targetILNS1_3genE4ELNS1_11target_archE910ELNS1_3gpuE8ELNS1_3repE0EEENS1_30default_config_static_selectorELNS0_4arch9wavefront6targetE0EEEvS12_: ; @_ZN7rocprim17ROCPRIM_400000_NS6detail17trampoline_kernelINS0_13select_configILj256ELj13ELNS0_17block_load_methodE3ELS4_3ELS4_3ELNS0_20block_scan_algorithmE0ELj4294967295EEENS1_25partition_config_selectorILNS1_17partition_subalgoE4EjNS0_10empty_typeEbEEZZNS1_14partition_implILS8_4ELb0ES6_15HIP_vector_typeIjLj2EENS0_17counting_iteratorIjlEEPS9_SG_NS0_5tupleIJPjSI_NS0_16reverse_iteratorISI_EEEEENSH_IJSG_SG_SG_EEES9_SI_JZNS1_25segmented_radix_sort_implINS0_14default_configELb0EPKsPsPKlPlN2at6native12_GLOBAL__N_18offset_tEEE10hipError_tPvRmT1_PNSt15iterator_traitsIS12_E10value_typeET2_T3_PNS13_IS18_E10value_typeET4_jRbjT5_S1E_jjP12ihipStream_tbEUljE_ZNSN_ISO_Lb0ESQ_SR_ST_SU_SY_EESZ_S10_S11_S12_S16_S17_S18_S1B_S1C_jS1D_jS1E_S1E_jjS1G_bEUljE0_EEESZ_S10_S11_S18_S1C_S1E_T6_T7_T9_mT8_S1G_bDpT10_ENKUlT_T0_E_clISt17integral_constantIbLb1EES1T_IbLb0EEEEDaS1P_S1Q_EUlS1P_E_NS1_11comp_targetILNS1_3genE4ELNS1_11target_archE910ELNS1_3gpuE8ELNS1_3repE0EEENS1_30default_config_static_selectorELNS0_4arch9wavefront6targetE0EEEvS12_
; %bb.0:
	.section	.rodata,"a",@progbits
	.p2align	6, 0x0
	.amdhsa_kernel _ZN7rocprim17ROCPRIM_400000_NS6detail17trampoline_kernelINS0_13select_configILj256ELj13ELNS0_17block_load_methodE3ELS4_3ELS4_3ELNS0_20block_scan_algorithmE0ELj4294967295EEENS1_25partition_config_selectorILNS1_17partition_subalgoE4EjNS0_10empty_typeEbEEZZNS1_14partition_implILS8_4ELb0ES6_15HIP_vector_typeIjLj2EENS0_17counting_iteratorIjlEEPS9_SG_NS0_5tupleIJPjSI_NS0_16reverse_iteratorISI_EEEEENSH_IJSG_SG_SG_EEES9_SI_JZNS1_25segmented_radix_sort_implINS0_14default_configELb0EPKsPsPKlPlN2at6native12_GLOBAL__N_18offset_tEEE10hipError_tPvRmT1_PNSt15iterator_traitsIS12_E10value_typeET2_T3_PNS13_IS18_E10value_typeET4_jRbjT5_S1E_jjP12ihipStream_tbEUljE_ZNSN_ISO_Lb0ESQ_SR_ST_SU_SY_EESZ_S10_S11_S12_S16_S17_S18_S1B_S1C_jS1D_jS1E_S1E_jjS1G_bEUljE0_EEESZ_S10_S11_S18_S1C_S1E_T6_T7_T9_mT8_S1G_bDpT10_ENKUlT_T0_E_clISt17integral_constantIbLb1EES1T_IbLb0EEEEDaS1P_S1Q_EUlS1P_E_NS1_11comp_targetILNS1_3genE4ELNS1_11target_archE910ELNS1_3gpuE8ELNS1_3repE0EEENS1_30default_config_static_selectorELNS0_4arch9wavefront6targetE0EEEvS12_
		.amdhsa_group_segment_fixed_size 0
		.amdhsa_private_segment_fixed_size 0
		.amdhsa_kernarg_size 176
		.amdhsa_user_sgpr_count 2
		.amdhsa_user_sgpr_dispatch_ptr 0
		.amdhsa_user_sgpr_queue_ptr 0
		.amdhsa_user_sgpr_kernarg_segment_ptr 1
		.amdhsa_user_sgpr_dispatch_id 0
		.amdhsa_user_sgpr_private_segment_size 0
		.amdhsa_wavefront_size32 1
		.amdhsa_uses_dynamic_stack 0
		.amdhsa_enable_private_segment 0
		.amdhsa_system_sgpr_workgroup_id_x 1
		.amdhsa_system_sgpr_workgroup_id_y 0
		.amdhsa_system_sgpr_workgroup_id_z 0
		.amdhsa_system_sgpr_workgroup_info 0
		.amdhsa_system_vgpr_workitem_id 0
		.amdhsa_next_free_vgpr 1
		.amdhsa_next_free_sgpr 1
		.amdhsa_reserve_vcc 0
		.amdhsa_float_round_mode_32 0
		.amdhsa_float_round_mode_16_64 0
		.amdhsa_float_denorm_mode_32 3
		.amdhsa_float_denorm_mode_16_64 3
		.amdhsa_fp16_overflow 0
		.amdhsa_workgroup_processor_mode 1
		.amdhsa_memory_ordered 1
		.amdhsa_forward_progress 1
		.amdhsa_inst_pref_size 0
		.amdhsa_round_robin_scheduling 0
		.amdhsa_exception_fp_ieee_invalid_op 0
		.amdhsa_exception_fp_denorm_src 0
		.amdhsa_exception_fp_ieee_div_zero 0
		.amdhsa_exception_fp_ieee_overflow 0
		.amdhsa_exception_fp_ieee_underflow 0
		.amdhsa_exception_fp_ieee_inexact 0
		.amdhsa_exception_int_div_zero 0
	.end_amdhsa_kernel
	.section	.text._ZN7rocprim17ROCPRIM_400000_NS6detail17trampoline_kernelINS0_13select_configILj256ELj13ELNS0_17block_load_methodE3ELS4_3ELS4_3ELNS0_20block_scan_algorithmE0ELj4294967295EEENS1_25partition_config_selectorILNS1_17partition_subalgoE4EjNS0_10empty_typeEbEEZZNS1_14partition_implILS8_4ELb0ES6_15HIP_vector_typeIjLj2EENS0_17counting_iteratorIjlEEPS9_SG_NS0_5tupleIJPjSI_NS0_16reverse_iteratorISI_EEEEENSH_IJSG_SG_SG_EEES9_SI_JZNS1_25segmented_radix_sort_implINS0_14default_configELb0EPKsPsPKlPlN2at6native12_GLOBAL__N_18offset_tEEE10hipError_tPvRmT1_PNSt15iterator_traitsIS12_E10value_typeET2_T3_PNS13_IS18_E10value_typeET4_jRbjT5_S1E_jjP12ihipStream_tbEUljE_ZNSN_ISO_Lb0ESQ_SR_ST_SU_SY_EESZ_S10_S11_S12_S16_S17_S18_S1B_S1C_jS1D_jS1E_S1E_jjS1G_bEUljE0_EEESZ_S10_S11_S18_S1C_S1E_T6_T7_T9_mT8_S1G_bDpT10_ENKUlT_T0_E_clISt17integral_constantIbLb1EES1T_IbLb0EEEEDaS1P_S1Q_EUlS1P_E_NS1_11comp_targetILNS1_3genE4ELNS1_11target_archE910ELNS1_3gpuE8ELNS1_3repE0EEENS1_30default_config_static_selectorELNS0_4arch9wavefront6targetE0EEEvS12_,"axG",@progbits,_ZN7rocprim17ROCPRIM_400000_NS6detail17trampoline_kernelINS0_13select_configILj256ELj13ELNS0_17block_load_methodE3ELS4_3ELS4_3ELNS0_20block_scan_algorithmE0ELj4294967295EEENS1_25partition_config_selectorILNS1_17partition_subalgoE4EjNS0_10empty_typeEbEEZZNS1_14partition_implILS8_4ELb0ES6_15HIP_vector_typeIjLj2EENS0_17counting_iteratorIjlEEPS9_SG_NS0_5tupleIJPjSI_NS0_16reverse_iteratorISI_EEEEENSH_IJSG_SG_SG_EEES9_SI_JZNS1_25segmented_radix_sort_implINS0_14default_configELb0EPKsPsPKlPlN2at6native12_GLOBAL__N_18offset_tEEE10hipError_tPvRmT1_PNSt15iterator_traitsIS12_E10value_typeET2_T3_PNS13_IS18_E10value_typeET4_jRbjT5_S1E_jjP12ihipStream_tbEUljE_ZNSN_ISO_Lb0ESQ_SR_ST_SU_SY_EESZ_S10_S11_S12_S16_S17_S18_S1B_S1C_jS1D_jS1E_S1E_jjS1G_bEUljE0_EEESZ_S10_S11_S18_S1C_S1E_T6_T7_T9_mT8_S1G_bDpT10_ENKUlT_T0_E_clISt17integral_constantIbLb1EES1T_IbLb0EEEEDaS1P_S1Q_EUlS1P_E_NS1_11comp_targetILNS1_3genE4ELNS1_11target_archE910ELNS1_3gpuE8ELNS1_3repE0EEENS1_30default_config_static_selectorELNS0_4arch9wavefront6targetE0EEEvS12_,comdat
.Lfunc_end968:
	.size	_ZN7rocprim17ROCPRIM_400000_NS6detail17trampoline_kernelINS0_13select_configILj256ELj13ELNS0_17block_load_methodE3ELS4_3ELS4_3ELNS0_20block_scan_algorithmE0ELj4294967295EEENS1_25partition_config_selectorILNS1_17partition_subalgoE4EjNS0_10empty_typeEbEEZZNS1_14partition_implILS8_4ELb0ES6_15HIP_vector_typeIjLj2EENS0_17counting_iteratorIjlEEPS9_SG_NS0_5tupleIJPjSI_NS0_16reverse_iteratorISI_EEEEENSH_IJSG_SG_SG_EEES9_SI_JZNS1_25segmented_radix_sort_implINS0_14default_configELb0EPKsPsPKlPlN2at6native12_GLOBAL__N_18offset_tEEE10hipError_tPvRmT1_PNSt15iterator_traitsIS12_E10value_typeET2_T3_PNS13_IS18_E10value_typeET4_jRbjT5_S1E_jjP12ihipStream_tbEUljE_ZNSN_ISO_Lb0ESQ_SR_ST_SU_SY_EESZ_S10_S11_S12_S16_S17_S18_S1B_S1C_jS1D_jS1E_S1E_jjS1G_bEUljE0_EEESZ_S10_S11_S18_S1C_S1E_T6_T7_T9_mT8_S1G_bDpT10_ENKUlT_T0_E_clISt17integral_constantIbLb1EES1T_IbLb0EEEEDaS1P_S1Q_EUlS1P_E_NS1_11comp_targetILNS1_3genE4ELNS1_11target_archE910ELNS1_3gpuE8ELNS1_3repE0EEENS1_30default_config_static_selectorELNS0_4arch9wavefront6targetE0EEEvS12_, .Lfunc_end968-_ZN7rocprim17ROCPRIM_400000_NS6detail17trampoline_kernelINS0_13select_configILj256ELj13ELNS0_17block_load_methodE3ELS4_3ELS4_3ELNS0_20block_scan_algorithmE0ELj4294967295EEENS1_25partition_config_selectorILNS1_17partition_subalgoE4EjNS0_10empty_typeEbEEZZNS1_14partition_implILS8_4ELb0ES6_15HIP_vector_typeIjLj2EENS0_17counting_iteratorIjlEEPS9_SG_NS0_5tupleIJPjSI_NS0_16reverse_iteratorISI_EEEEENSH_IJSG_SG_SG_EEES9_SI_JZNS1_25segmented_radix_sort_implINS0_14default_configELb0EPKsPsPKlPlN2at6native12_GLOBAL__N_18offset_tEEE10hipError_tPvRmT1_PNSt15iterator_traitsIS12_E10value_typeET2_T3_PNS13_IS18_E10value_typeET4_jRbjT5_S1E_jjP12ihipStream_tbEUljE_ZNSN_ISO_Lb0ESQ_SR_ST_SU_SY_EESZ_S10_S11_S12_S16_S17_S18_S1B_S1C_jS1D_jS1E_S1E_jjS1G_bEUljE0_EEESZ_S10_S11_S18_S1C_S1E_T6_T7_T9_mT8_S1G_bDpT10_ENKUlT_T0_E_clISt17integral_constantIbLb1EES1T_IbLb0EEEEDaS1P_S1Q_EUlS1P_E_NS1_11comp_targetILNS1_3genE4ELNS1_11target_archE910ELNS1_3gpuE8ELNS1_3repE0EEENS1_30default_config_static_selectorELNS0_4arch9wavefront6targetE0EEEvS12_
                                        ; -- End function
	.set _ZN7rocprim17ROCPRIM_400000_NS6detail17trampoline_kernelINS0_13select_configILj256ELj13ELNS0_17block_load_methodE3ELS4_3ELS4_3ELNS0_20block_scan_algorithmE0ELj4294967295EEENS1_25partition_config_selectorILNS1_17partition_subalgoE4EjNS0_10empty_typeEbEEZZNS1_14partition_implILS8_4ELb0ES6_15HIP_vector_typeIjLj2EENS0_17counting_iteratorIjlEEPS9_SG_NS0_5tupleIJPjSI_NS0_16reverse_iteratorISI_EEEEENSH_IJSG_SG_SG_EEES9_SI_JZNS1_25segmented_radix_sort_implINS0_14default_configELb0EPKsPsPKlPlN2at6native12_GLOBAL__N_18offset_tEEE10hipError_tPvRmT1_PNSt15iterator_traitsIS12_E10value_typeET2_T3_PNS13_IS18_E10value_typeET4_jRbjT5_S1E_jjP12ihipStream_tbEUljE_ZNSN_ISO_Lb0ESQ_SR_ST_SU_SY_EESZ_S10_S11_S12_S16_S17_S18_S1B_S1C_jS1D_jS1E_S1E_jjS1G_bEUljE0_EEESZ_S10_S11_S18_S1C_S1E_T6_T7_T9_mT8_S1G_bDpT10_ENKUlT_T0_E_clISt17integral_constantIbLb1EES1T_IbLb0EEEEDaS1P_S1Q_EUlS1P_E_NS1_11comp_targetILNS1_3genE4ELNS1_11target_archE910ELNS1_3gpuE8ELNS1_3repE0EEENS1_30default_config_static_selectorELNS0_4arch9wavefront6targetE0EEEvS12_.num_vgpr, 0
	.set _ZN7rocprim17ROCPRIM_400000_NS6detail17trampoline_kernelINS0_13select_configILj256ELj13ELNS0_17block_load_methodE3ELS4_3ELS4_3ELNS0_20block_scan_algorithmE0ELj4294967295EEENS1_25partition_config_selectorILNS1_17partition_subalgoE4EjNS0_10empty_typeEbEEZZNS1_14partition_implILS8_4ELb0ES6_15HIP_vector_typeIjLj2EENS0_17counting_iteratorIjlEEPS9_SG_NS0_5tupleIJPjSI_NS0_16reverse_iteratorISI_EEEEENSH_IJSG_SG_SG_EEES9_SI_JZNS1_25segmented_radix_sort_implINS0_14default_configELb0EPKsPsPKlPlN2at6native12_GLOBAL__N_18offset_tEEE10hipError_tPvRmT1_PNSt15iterator_traitsIS12_E10value_typeET2_T3_PNS13_IS18_E10value_typeET4_jRbjT5_S1E_jjP12ihipStream_tbEUljE_ZNSN_ISO_Lb0ESQ_SR_ST_SU_SY_EESZ_S10_S11_S12_S16_S17_S18_S1B_S1C_jS1D_jS1E_S1E_jjS1G_bEUljE0_EEESZ_S10_S11_S18_S1C_S1E_T6_T7_T9_mT8_S1G_bDpT10_ENKUlT_T0_E_clISt17integral_constantIbLb1EES1T_IbLb0EEEEDaS1P_S1Q_EUlS1P_E_NS1_11comp_targetILNS1_3genE4ELNS1_11target_archE910ELNS1_3gpuE8ELNS1_3repE0EEENS1_30default_config_static_selectorELNS0_4arch9wavefront6targetE0EEEvS12_.num_agpr, 0
	.set _ZN7rocprim17ROCPRIM_400000_NS6detail17trampoline_kernelINS0_13select_configILj256ELj13ELNS0_17block_load_methodE3ELS4_3ELS4_3ELNS0_20block_scan_algorithmE0ELj4294967295EEENS1_25partition_config_selectorILNS1_17partition_subalgoE4EjNS0_10empty_typeEbEEZZNS1_14partition_implILS8_4ELb0ES6_15HIP_vector_typeIjLj2EENS0_17counting_iteratorIjlEEPS9_SG_NS0_5tupleIJPjSI_NS0_16reverse_iteratorISI_EEEEENSH_IJSG_SG_SG_EEES9_SI_JZNS1_25segmented_radix_sort_implINS0_14default_configELb0EPKsPsPKlPlN2at6native12_GLOBAL__N_18offset_tEEE10hipError_tPvRmT1_PNSt15iterator_traitsIS12_E10value_typeET2_T3_PNS13_IS18_E10value_typeET4_jRbjT5_S1E_jjP12ihipStream_tbEUljE_ZNSN_ISO_Lb0ESQ_SR_ST_SU_SY_EESZ_S10_S11_S12_S16_S17_S18_S1B_S1C_jS1D_jS1E_S1E_jjS1G_bEUljE0_EEESZ_S10_S11_S18_S1C_S1E_T6_T7_T9_mT8_S1G_bDpT10_ENKUlT_T0_E_clISt17integral_constantIbLb1EES1T_IbLb0EEEEDaS1P_S1Q_EUlS1P_E_NS1_11comp_targetILNS1_3genE4ELNS1_11target_archE910ELNS1_3gpuE8ELNS1_3repE0EEENS1_30default_config_static_selectorELNS0_4arch9wavefront6targetE0EEEvS12_.numbered_sgpr, 0
	.set _ZN7rocprim17ROCPRIM_400000_NS6detail17trampoline_kernelINS0_13select_configILj256ELj13ELNS0_17block_load_methodE3ELS4_3ELS4_3ELNS0_20block_scan_algorithmE0ELj4294967295EEENS1_25partition_config_selectorILNS1_17partition_subalgoE4EjNS0_10empty_typeEbEEZZNS1_14partition_implILS8_4ELb0ES6_15HIP_vector_typeIjLj2EENS0_17counting_iteratorIjlEEPS9_SG_NS0_5tupleIJPjSI_NS0_16reverse_iteratorISI_EEEEENSH_IJSG_SG_SG_EEES9_SI_JZNS1_25segmented_radix_sort_implINS0_14default_configELb0EPKsPsPKlPlN2at6native12_GLOBAL__N_18offset_tEEE10hipError_tPvRmT1_PNSt15iterator_traitsIS12_E10value_typeET2_T3_PNS13_IS18_E10value_typeET4_jRbjT5_S1E_jjP12ihipStream_tbEUljE_ZNSN_ISO_Lb0ESQ_SR_ST_SU_SY_EESZ_S10_S11_S12_S16_S17_S18_S1B_S1C_jS1D_jS1E_S1E_jjS1G_bEUljE0_EEESZ_S10_S11_S18_S1C_S1E_T6_T7_T9_mT8_S1G_bDpT10_ENKUlT_T0_E_clISt17integral_constantIbLb1EES1T_IbLb0EEEEDaS1P_S1Q_EUlS1P_E_NS1_11comp_targetILNS1_3genE4ELNS1_11target_archE910ELNS1_3gpuE8ELNS1_3repE0EEENS1_30default_config_static_selectorELNS0_4arch9wavefront6targetE0EEEvS12_.num_named_barrier, 0
	.set _ZN7rocprim17ROCPRIM_400000_NS6detail17trampoline_kernelINS0_13select_configILj256ELj13ELNS0_17block_load_methodE3ELS4_3ELS4_3ELNS0_20block_scan_algorithmE0ELj4294967295EEENS1_25partition_config_selectorILNS1_17partition_subalgoE4EjNS0_10empty_typeEbEEZZNS1_14partition_implILS8_4ELb0ES6_15HIP_vector_typeIjLj2EENS0_17counting_iteratorIjlEEPS9_SG_NS0_5tupleIJPjSI_NS0_16reverse_iteratorISI_EEEEENSH_IJSG_SG_SG_EEES9_SI_JZNS1_25segmented_radix_sort_implINS0_14default_configELb0EPKsPsPKlPlN2at6native12_GLOBAL__N_18offset_tEEE10hipError_tPvRmT1_PNSt15iterator_traitsIS12_E10value_typeET2_T3_PNS13_IS18_E10value_typeET4_jRbjT5_S1E_jjP12ihipStream_tbEUljE_ZNSN_ISO_Lb0ESQ_SR_ST_SU_SY_EESZ_S10_S11_S12_S16_S17_S18_S1B_S1C_jS1D_jS1E_S1E_jjS1G_bEUljE0_EEESZ_S10_S11_S18_S1C_S1E_T6_T7_T9_mT8_S1G_bDpT10_ENKUlT_T0_E_clISt17integral_constantIbLb1EES1T_IbLb0EEEEDaS1P_S1Q_EUlS1P_E_NS1_11comp_targetILNS1_3genE4ELNS1_11target_archE910ELNS1_3gpuE8ELNS1_3repE0EEENS1_30default_config_static_selectorELNS0_4arch9wavefront6targetE0EEEvS12_.private_seg_size, 0
	.set _ZN7rocprim17ROCPRIM_400000_NS6detail17trampoline_kernelINS0_13select_configILj256ELj13ELNS0_17block_load_methodE3ELS4_3ELS4_3ELNS0_20block_scan_algorithmE0ELj4294967295EEENS1_25partition_config_selectorILNS1_17partition_subalgoE4EjNS0_10empty_typeEbEEZZNS1_14partition_implILS8_4ELb0ES6_15HIP_vector_typeIjLj2EENS0_17counting_iteratorIjlEEPS9_SG_NS0_5tupleIJPjSI_NS0_16reverse_iteratorISI_EEEEENSH_IJSG_SG_SG_EEES9_SI_JZNS1_25segmented_radix_sort_implINS0_14default_configELb0EPKsPsPKlPlN2at6native12_GLOBAL__N_18offset_tEEE10hipError_tPvRmT1_PNSt15iterator_traitsIS12_E10value_typeET2_T3_PNS13_IS18_E10value_typeET4_jRbjT5_S1E_jjP12ihipStream_tbEUljE_ZNSN_ISO_Lb0ESQ_SR_ST_SU_SY_EESZ_S10_S11_S12_S16_S17_S18_S1B_S1C_jS1D_jS1E_S1E_jjS1G_bEUljE0_EEESZ_S10_S11_S18_S1C_S1E_T6_T7_T9_mT8_S1G_bDpT10_ENKUlT_T0_E_clISt17integral_constantIbLb1EES1T_IbLb0EEEEDaS1P_S1Q_EUlS1P_E_NS1_11comp_targetILNS1_3genE4ELNS1_11target_archE910ELNS1_3gpuE8ELNS1_3repE0EEENS1_30default_config_static_selectorELNS0_4arch9wavefront6targetE0EEEvS12_.uses_vcc, 0
	.set _ZN7rocprim17ROCPRIM_400000_NS6detail17trampoline_kernelINS0_13select_configILj256ELj13ELNS0_17block_load_methodE3ELS4_3ELS4_3ELNS0_20block_scan_algorithmE0ELj4294967295EEENS1_25partition_config_selectorILNS1_17partition_subalgoE4EjNS0_10empty_typeEbEEZZNS1_14partition_implILS8_4ELb0ES6_15HIP_vector_typeIjLj2EENS0_17counting_iteratorIjlEEPS9_SG_NS0_5tupleIJPjSI_NS0_16reverse_iteratorISI_EEEEENSH_IJSG_SG_SG_EEES9_SI_JZNS1_25segmented_radix_sort_implINS0_14default_configELb0EPKsPsPKlPlN2at6native12_GLOBAL__N_18offset_tEEE10hipError_tPvRmT1_PNSt15iterator_traitsIS12_E10value_typeET2_T3_PNS13_IS18_E10value_typeET4_jRbjT5_S1E_jjP12ihipStream_tbEUljE_ZNSN_ISO_Lb0ESQ_SR_ST_SU_SY_EESZ_S10_S11_S12_S16_S17_S18_S1B_S1C_jS1D_jS1E_S1E_jjS1G_bEUljE0_EEESZ_S10_S11_S18_S1C_S1E_T6_T7_T9_mT8_S1G_bDpT10_ENKUlT_T0_E_clISt17integral_constantIbLb1EES1T_IbLb0EEEEDaS1P_S1Q_EUlS1P_E_NS1_11comp_targetILNS1_3genE4ELNS1_11target_archE910ELNS1_3gpuE8ELNS1_3repE0EEENS1_30default_config_static_selectorELNS0_4arch9wavefront6targetE0EEEvS12_.uses_flat_scratch, 0
	.set _ZN7rocprim17ROCPRIM_400000_NS6detail17trampoline_kernelINS0_13select_configILj256ELj13ELNS0_17block_load_methodE3ELS4_3ELS4_3ELNS0_20block_scan_algorithmE0ELj4294967295EEENS1_25partition_config_selectorILNS1_17partition_subalgoE4EjNS0_10empty_typeEbEEZZNS1_14partition_implILS8_4ELb0ES6_15HIP_vector_typeIjLj2EENS0_17counting_iteratorIjlEEPS9_SG_NS0_5tupleIJPjSI_NS0_16reverse_iteratorISI_EEEEENSH_IJSG_SG_SG_EEES9_SI_JZNS1_25segmented_radix_sort_implINS0_14default_configELb0EPKsPsPKlPlN2at6native12_GLOBAL__N_18offset_tEEE10hipError_tPvRmT1_PNSt15iterator_traitsIS12_E10value_typeET2_T3_PNS13_IS18_E10value_typeET4_jRbjT5_S1E_jjP12ihipStream_tbEUljE_ZNSN_ISO_Lb0ESQ_SR_ST_SU_SY_EESZ_S10_S11_S12_S16_S17_S18_S1B_S1C_jS1D_jS1E_S1E_jjS1G_bEUljE0_EEESZ_S10_S11_S18_S1C_S1E_T6_T7_T9_mT8_S1G_bDpT10_ENKUlT_T0_E_clISt17integral_constantIbLb1EES1T_IbLb0EEEEDaS1P_S1Q_EUlS1P_E_NS1_11comp_targetILNS1_3genE4ELNS1_11target_archE910ELNS1_3gpuE8ELNS1_3repE0EEENS1_30default_config_static_selectorELNS0_4arch9wavefront6targetE0EEEvS12_.has_dyn_sized_stack, 0
	.set _ZN7rocprim17ROCPRIM_400000_NS6detail17trampoline_kernelINS0_13select_configILj256ELj13ELNS0_17block_load_methodE3ELS4_3ELS4_3ELNS0_20block_scan_algorithmE0ELj4294967295EEENS1_25partition_config_selectorILNS1_17partition_subalgoE4EjNS0_10empty_typeEbEEZZNS1_14partition_implILS8_4ELb0ES6_15HIP_vector_typeIjLj2EENS0_17counting_iteratorIjlEEPS9_SG_NS0_5tupleIJPjSI_NS0_16reverse_iteratorISI_EEEEENSH_IJSG_SG_SG_EEES9_SI_JZNS1_25segmented_radix_sort_implINS0_14default_configELb0EPKsPsPKlPlN2at6native12_GLOBAL__N_18offset_tEEE10hipError_tPvRmT1_PNSt15iterator_traitsIS12_E10value_typeET2_T3_PNS13_IS18_E10value_typeET4_jRbjT5_S1E_jjP12ihipStream_tbEUljE_ZNSN_ISO_Lb0ESQ_SR_ST_SU_SY_EESZ_S10_S11_S12_S16_S17_S18_S1B_S1C_jS1D_jS1E_S1E_jjS1G_bEUljE0_EEESZ_S10_S11_S18_S1C_S1E_T6_T7_T9_mT8_S1G_bDpT10_ENKUlT_T0_E_clISt17integral_constantIbLb1EES1T_IbLb0EEEEDaS1P_S1Q_EUlS1P_E_NS1_11comp_targetILNS1_3genE4ELNS1_11target_archE910ELNS1_3gpuE8ELNS1_3repE0EEENS1_30default_config_static_selectorELNS0_4arch9wavefront6targetE0EEEvS12_.has_recursion, 0
	.set _ZN7rocprim17ROCPRIM_400000_NS6detail17trampoline_kernelINS0_13select_configILj256ELj13ELNS0_17block_load_methodE3ELS4_3ELS4_3ELNS0_20block_scan_algorithmE0ELj4294967295EEENS1_25partition_config_selectorILNS1_17partition_subalgoE4EjNS0_10empty_typeEbEEZZNS1_14partition_implILS8_4ELb0ES6_15HIP_vector_typeIjLj2EENS0_17counting_iteratorIjlEEPS9_SG_NS0_5tupleIJPjSI_NS0_16reverse_iteratorISI_EEEEENSH_IJSG_SG_SG_EEES9_SI_JZNS1_25segmented_radix_sort_implINS0_14default_configELb0EPKsPsPKlPlN2at6native12_GLOBAL__N_18offset_tEEE10hipError_tPvRmT1_PNSt15iterator_traitsIS12_E10value_typeET2_T3_PNS13_IS18_E10value_typeET4_jRbjT5_S1E_jjP12ihipStream_tbEUljE_ZNSN_ISO_Lb0ESQ_SR_ST_SU_SY_EESZ_S10_S11_S12_S16_S17_S18_S1B_S1C_jS1D_jS1E_S1E_jjS1G_bEUljE0_EEESZ_S10_S11_S18_S1C_S1E_T6_T7_T9_mT8_S1G_bDpT10_ENKUlT_T0_E_clISt17integral_constantIbLb1EES1T_IbLb0EEEEDaS1P_S1Q_EUlS1P_E_NS1_11comp_targetILNS1_3genE4ELNS1_11target_archE910ELNS1_3gpuE8ELNS1_3repE0EEENS1_30default_config_static_selectorELNS0_4arch9wavefront6targetE0EEEvS12_.has_indirect_call, 0
	.section	.AMDGPU.csdata,"",@progbits
; Kernel info:
; codeLenInByte = 0
; TotalNumSgprs: 0
; NumVgprs: 0
; ScratchSize: 0
; MemoryBound: 0
; FloatMode: 240
; IeeeMode: 1
; LDSByteSize: 0 bytes/workgroup (compile time only)
; SGPRBlocks: 0
; VGPRBlocks: 0
; NumSGPRsForWavesPerEU: 1
; NumVGPRsForWavesPerEU: 1
; Occupancy: 16
; WaveLimiterHint : 0
; COMPUTE_PGM_RSRC2:SCRATCH_EN: 0
; COMPUTE_PGM_RSRC2:USER_SGPR: 2
; COMPUTE_PGM_RSRC2:TRAP_HANDLER: 0
; COMPUTE_PGM_RSRC2:TGID_X_EN: 1
; COMPUTE_PGM_RSRC2:TGID_Y_EN: 0
; COMPUTE_PGM_RSRC2:TGID_Z_EN: 0
; COMPUTE_PGM_RSRC2:TIDIG_COMP_CNT: 0
	.section	.text._ZN7rocprim17ROCPRIM_400000_NS6detail17trampoline_kernelINS0_13select_configILj256ELj13ELNS0_17block_load_methodE3ELS4_3ELS4_3ELNS0_20block_scan_algorithmE0ELj4294967295EEENS1_25partition_config_selectorILNS1_17partition_subalgoE4EjNS0_10empty_typeEbEEZZNS1_14partition_implILS8_4ELb0ES6_15HIP_vector_typeIjLj2EENS0_17counting_iteratorIjlEEPS9_SG_NS0_5tupleIJPjSI_NS0_16reverse_iteratorISI_EEEEENSH_IJSG_SG_SG_EEES9_SI_JZNS1_25segmented_radix_sort_implINS0_14default_configELb0EPKsPsPKlPlN2at6native12_GLOBAL__N_18offset_tEEE10hipError_tPvRmT1_PNSt15iterator_traitsIS12_E10value_typeET2_T3_PNS13_IS18_E10value_typeET4_jRbjT5_S1E_jjP12ihipStream_tbEUljE_ZNSN_ISO_Lb0ESQ_SR_ST_SU_SY_EESZ_S10_S11_S12_S16_S17_S18_S1B_S1C_jS1D_jS1E_S1E_jjS1G_bEUljE0_EEESZ_S10_S11_S18_S1C_S1E_T6_T7_T9_mT8_S1G_bDpT10_ENKUlT_T0_E_clISt17integral_constantIbLb1EES1T_IbLb0EEEEDaS1P_S1Q_EUlS1P_E_NS1_11comp_targetILNS1_3genE3ELNS1_11target_archE908ELNS1_3gpuE7ELNS1_3repE0EEENS1_30default_config_static_selectorELNS0_4arch9wavefront6targetE0EEEvS12_,"axG",@progbits,_ZN7rocprim17ROCPRIM_400000_NS6detail17trampoline_kernelINS0_13select_configILj256ELj13ELNS0_17block_load_methodE3ELS4_3ELS4_3ELNS0_20block_scan_algorithmE0ELj4294967295EEENS1_25partition_config_selectorILNS1_17partition_subalgoE4EjNS0_10empty_typeEbEEZZNS1_14partition_implILS8_4ELb0ES6_15HIP_vector_typeIjLj2EENS0_17counting_iteratorIjlEEPS9_SG_NS0_5tupleIJPjSI_NS0_16reverse_iteratorISI_EEEEENSH_IJSG_SG_SG_EEES9_SI_JZNS1_25segmented_radix_sort_implINS0_14default_configELb0EPKsPsPKlPlN2at6native12_GLOBAL__N_18offset_tEEE10hipError_tPvRmT1_PNSt15iterator_traitsIS12_E10value_typeET2_T3_PNS13_IS18_E10value_typeET4_jRbjT5_S1E_jjP12ihipStream_tbEUljE_ZNSN_ISO_Lb0ESQ_SR_ST_SU_SY_EESZ_S10_S11_S12_S16_S17_S18_S1B_S1C_jS1D_jS1E_S1E_jjS1G_bEUljE0_EEESZ_S10_S11_S18_S1C_S1E_T6_T7_T9_mT8_S1G_bDpT10_ENKUlT_T0_E_clISt17integral_constantIbLb1EES1T_IbLb0EEEEDaS1P_S1Q_EUlS1P_E_NS1_11comp_targetILNS1_3genE3ELNS1_11target_archE908ELNS1_3gpuE7ELNS1_3repE0EEENS1_30default_config_static_selectorELNS0_4arch9wavefront6targetE0EEEvS12_,comdat
	.globl	_ZN7rocprim17ROCPRIM_400000_NS6detail17trampoline_kernelINS0_13select_configILj256ELj13ELNS0_17block_load_methodE3ELS4_3ELS4_3ELNS0_20block_scan_algorithmE0ELj4294967295EEENS1_25partition_config_selectorILNS1_17partition_subalgoE4EjNS0_10empty_typeEbEEZZNS1_14partition_implILS8_4ELb0ES6_15HIP_vector_typeIjLj2EENS0_17counting_iteratorIjlEEPS9_SG_NS0_5tupleIJPjSI_NS0_16reverse_iteratorISI_EEEEENSH_IJSG_SG_SG_EEES9_SI_JZNS1_25segmented_radix_sort_implINS0_14default_configELb0EPKsPsPKlPlN2at6native12_GLOBAL__N_18offset_tEEE10hipError_tPvRmT1_PNSt15iterator_traitsIS12_E10value_typeET2_T3_PNS13_IS18_E10value_typeET4_jRbjT5_S1E_jjP12ihipStream_tbEUljE_ZNSN_ISO_Lb0ESQ_SR_ST_SU_SY_EESZ_S10_S11_S12_S16_S17_S18_S1B_S1C_jS1D_jS1E_S1E_jjS1G_bEUljE0_EEESZ_S10_S11_S18_S1C_S1E_T6_T7_T9_mT8_S1G_bDpT10_ENKUlT_T0_E_clISt17integral_constantIbLb1EES1T_IbLb0EEEEDaS1P_S1Q_EUlS1P_E_NS1_11comp_targetILNS1_3genE3ELNS1_11target_archE908ELNS1_3gpuE7ELNS1_3repE0EEENS1_30default_config_static_selectorELNS0_4arch9wavefront6targetE0EEEvS12_ ; -- Begin function _ZN7rocprim17ROCPRIM_400000_NS6detail17trampoline_kernelINS0_13select_configILj256ELj13ELNS0_17block_load_methodE3ELS4_3ELS4_3ELNS0_20block_scan_algorithmE0ELj4294967295EEENS1_25partition_config_selectorILNS1_17partition_subalgoE4EjNS0_10empty_typeEbEEZZNS1_14partition_implILS8_4ELb0ES6_15HIP_vector_typeIjLj2EENS0_17counting_iteratorIjlEEPS9_SG_NS0_5tupleIJPjSI_NS0_16reverse_iteratorISI_EEEEENSH_IJSG_SG_SG_EEES9_SI_JZNS1_25segmented_radix_sort_implINS0_14default_configELb0EPKsPsPKlPlN2at6native12_GLOBAL__N_18offset_tEEE10hipError_tPvRmT1_PNSt15iterator_traitsIS12_E10value_typeET2_T3_PNS13_IS18_E10value_typeET4_jRbjT5_S1E_jjP12ihipStream_tbEUljE_ZNSN_ISO_Lb0ESQ_SR_ST_SU_SY_EESZ_S10_S11_S12_S16_S17_S18_S1B_S1C_jS1D_jS1E_S1E_jjS1G_bEUljE0_EEESZ_S10_S11_S18_S1C_S1E_T6_T7_T9_mT8_S1G_bDpT10_ENKUlT_T0_E_clISt17integral_constantIbLb1EES1T_IbLb0EEEEDaS1P_S1Q_EUlS1P_E_NS1_11comp_targetILNS1_3genE3ELNS1_11target_archE908ELNS1_3gpuE7ELNS1_3repE0EEENS1_30default_config_static_selectorELNS0_4arch9wavefront6targetE0EEEvS12_
	.p2align	8
	.type	_ZN7rocprim17ROCPRIM_400000_NS6detail17trampoline_kernelINS0_13select_configILj256ELj13ELNS0_17block_load_methodE3ELS4_3ELS4_3ELNS0_20block_scan_algorithmE0ELj4294967295EEENS1_25partition_config_selectorILNS1_17partition_subalgoE4EjNS0_10empty_typeEbEEZZNS1_14partition_implILS8_4ELb0ES6_15HIP_vector_typeIjLj2EENS0_17counting_iteratorIjlEEPS9_SG_NS0_5tupleIJPjSI_NS0_16reverse_iteratorISI_EEEEENSH_IJSG_SG_SG_EEES9_SI_JZNS1_25segmented_radix_sort_implINS0_14default_configELb0EPKsPsPKlPlN2at6native12_GLOBAL__N_18offset_tEEE10hipError_tPvRmT1_PNSt15iterator_traitsIS12_E10value_typeET2_T3_PNS13_IS18_E10value_typeET4_jRbjT5_S1E_jjP12ihipStream_tbEUljE_ZNSN_ISO_Lb0ESQ_SR_ST_SU_SY_EESZ_S10_S11_S12_S16_S17_S18_S1B_S1C_jS1D_jS1E_S1E_jjS1G_bEUljE0_EEESZ_S10_S11_S18_S1C_S1E_T6_T7_T9_mT8_S1G_bDpT10_ENKUlT_T0_E_clISt17integral_constantIbLb1EES1T_IbLb0EEEEDaS1P_S1Q_EUlS1P_E_NS1_11comp_targetILNS1_3genE3ELNS1_11target_archE908ELNS1_3gpuE7ELNS1_3repE0EEENS1_30default_config_static_selectorELNS0_4arch9wavefront6targetE0EEEvS12_,@function
_ZN7rocprim17ROCPRIM_400000_NS6detail17trampoline_kernelINS0_13select_configILj256ELj13ELNS0_17block_load_methodE3ELS4_3ELS4_3ELNS0_20block_scan_algorithmE0ELj4294967295EEENS1_25partition_config_selectorILNS1_17partition_subalgoE4EjNS0_10empty_typeEbEEZZNS1_14partition_implILS8_4ELb0ES6_15HIP_vector_typeIjLj2EENS0_17counting_iteratorIjlEEPS9_SG_NS0_5tupleIJPjSI_NS0_16reverse_iteratorISI_EEEEENSH_IJSG_SG_SG_EEES9_SI_JZNS1_25segmented_radix_sort_implINS0_14default_configELb0EPKsPsPKlPlN2at6native12_GLOBAL__N_18offset_tEEE10hipError_tPvRmT1_PNSt15iterator_traitsIS12_E10value_typeET2_T3_PNS13_IS18_E10value_typeET4_jRbjT5_S1E_jjP12ihipStream_tbEUljE_ZNSN_ISO_Lb0ESQ_SR_ST_SU_SY_EESZ_S10_S11_S12_S16_S17_S18_S1B_S1C_jS1D_jS1E_S1E_jjS1G_bEUljE0_EEESZ_S10_S11_S18_S1C_S1E_T6_T7_T9_mT8_S1G_bDpT10_ENKUlT_T0_E_clISt17integral_constantIbLb1EES1T_IbLb0EEEEDaS1P_S1Q_EUlS1P_E_NS1_11comp_targetILNS1_3genE3ELNS1_11target_archE908ELNS1_3gpuE7ELNS1_3repE0EEENS1_30default_config_static_selectorELNS0_4arch9wavefront6targetE0EEEvS12_: ; @_ZN7rocprim17ROCPRIM_400000_NS6detail17trampoline_kernelINS0_13select_configILj256ELj13ELNS0_17block_load_methodE3ELS4_3ELS4_3ELNS0_20block_scan_algorithmE0ELj4294967295EEENS1_25partition_config_selectorILNS1_17partition_subalgoE4EjNS0_10empty_typeEbEEZZNS1_14partition_implILS8_4ELb0ES6_15HIP_vector_typeIjLj2EENS0_17counting_iteratorIjlEEPS9_SG_NS0_5tupleIJPjSI_NS0_16reverse_iteratorISI_EEEEENSH_IJSG_SG_SG_EEES9_SI_JZNS1_25segmented_radix_sort_implINS0_14default_configELb0EPKsPsPKlPlN2at6native12_GLOBAL__N_18offset_tEEE10hipError_tPvRmT1_PNSt15iterator_traitsIS12_E10value_typeET2_T3_PNS13_IS18_E10value_typeET4_jRbjT5_S1E_jjP12ihipStream_tbEUljE_ZNSN_ISO_Lb0ESQ_SR_ST_SU_SY_EESZ_S10_S11_S12_S16_S17_S18_S1B_S1C_jS1D_jS1E_S1E_jjS1G_bEUljE0_EEESZ_S10_S11_S18_S1C_S1E_T6_T7_T9_mT8_S1G_bDpT10_ENKUlT_T0_E_clISt17integral_constantIbLb1EES1T_IbLb0EEEEDaS1P_S1Q_EUlS1P_E_NS1_11comp_targetILNS1_3genE3ELNS1_11target_archE908ELNS1_3gpuE7ELNS1_3repE0EEENS1_30default_config_static_selectorELNS0_4arch9wavefront6targetE0EEEvS12_
; %bb.0:
	.section	.rodata,"a",@progbits
	.p2align	6, 0x0
	.amdhsa_kernel _ZN7rocprim17ROCPRIM_400000_NS6detail17trampoline_kernelINS0_13select_configILj256ELj13ELNS0_17block_load_methodE3ELS4_3ELS4_3ELNS0_20block_scan_algorithmE0ELj4294967295EEENS1_25partition_config_selectorILNS1_17partition_subalgoE4EjNS0_10empty_typeEbEEZZNS1_14partition_implILS8_4ELb0ES6_15HIP_vector_typeIjLj2EENS0_17counting_iteratorIjlEEPS9_SG_NS0_5tupleIJPjSI_NS0_16reverse_iteratorISI_EEEEENSH_IJSG_SG_SG_EEES9_SI_JZNS1_25segmented_radix_sort_implINS0_14default_configELb0EPKsPsPKlPlN2at6native12_GLOBAL__N_18offset_tEEE10hipError_tPvRmT1_PNSt15iterator_traitsIS12_E10value_typeET2_T3_PNS13_IS18_E10value_typeET4_jRbjT5_S1E_jjP12ihipStream_tbEUljE_ZNSN_ISO_Lb0ESQ_SR_ST_SU_SY_EESZ_S10_S11_S12_S16_S17_S18_S1B_S1C_jS1D_jS1E_S1E_jjS1G_bEUljE0_EEESZ_S10_S11_S18_S1C_S1E_T6_T7_T9_mT8_S1G_bDpT10_ENKUlT_T0_E_clISt17integral_constantIbLb1EES1T_IbLb0EEEEDaS1P_S1Q_EUlS1P_E_NS1_11comp_targetILNS1_3genE3ELNS1_11target_archE908ELNS1_3gpuE7ELNS1_3repE0EEENS1_30default_config_static_selectorELNS0_4arch9wavefront6targetE0EEEvS12_
		.amdhsa_group_segment_fixed_size 0
		.amdhsa_private_segment_fixed_size 0
		.amdhsa_kernarg_size 176
		.amdhsa_user_sgpr_count 2
		.amdhsa_user_sgpr_dispatch_ptr 0
		.amdhsa_user_sgpr_queue_ptr 0
		.amdhsa_user_sgpr_kernarg_segment_ptr 1
		.amdhsa_user_sgpr_dispatch_id 0
		.amdhsa_user_sgpr_private_segment_size 0
		.amdhsa_wavefront_size32 1
		.amdhsa_uses_dynamic_stack 0
		.amdhsa_enable_private_segment 0
		.amdhsa_system_sgpr_workgroup_id_x 1
		.amdhsa_system_sgpr_workgroup_id_y 0
		.amdhsa_system_sgpr_workgroup_id_z 0
		.amdhsa_system_sgpr_workgroup_info 0
		.amdhsa_system_vgpr_workitem_id 0
		.amdhsa_next_free_vgpr 1
		.amdhsa_next_free_sgpr 1
		.amdhsa_reserve_vcc 0
		.amdhsa_float_round_mode_32 0
		.amdhsa_float_round_mode_16_64 0
		.amdhsa_float_denorm_mode_32 3
		.amdhsa_float_denorm_mode_16_64 3
		.amdhsa_fp16_overflow 0
		.amdhsa_workgroup_processor_mode 1
		.amdhsa_memory_ordered 1
		.amdhsa_forward_progress 1
		.amdhsa_inst_pref_size 0
		.amdhsa_round_robin_scheduling 0
		.amdhsa_exception_fp_ieee_invalid_op 0
		.amdhsa_exception_fp_denorm_src 0
		.amdhsa_exception_fp_ieee_div_zero 0
		.amdhsa_exception_fp_ieee_overflow 0
		.amdhsa_exception_fp_ieee_underflow 0
		.amdhsa_exception_fp_ieee_inexact 0
		.amdhsa_exception_int_div_zero 0
	.end_amdhsa_kernel
	.section	.text._ZN7rocprim17ROCPRIM_400000_NS6detail17trampoline_kernelINS0_13select_configILj256ELj13ELNS0_17block_load_methodE3ELS4_3ELS4_3ELNS0_20block_scan_algorithmE0ELj4294967295EEENS1_25partition_config_selectorILNS1_17partition_subalgoE4EjNS0_10empty_typeEbEEZZNS1_14partition_implILS8_4ELb0ES6_15HIP_vector_typeIjLj2EENS0_17counting_iteratorIjlEEPS9_SG_NS0_5tupleIJPjSI_NS0_16reverse_iteratorISI_EEEEENSH_IJSG_SG_SG_EEES9_SI_JZNS1_25segmented_radix_sort_implINS0_14default_configELb0EPKsPsPKlPlN2at6native12_GLOBAL__N_18offset_tEEE10hipError_tPvRmT1_PNSt15iterator_traitsIS12_E10value_typeET2_T3_PNS13_IS18_E10value_typeET4_jRbjT5_S1E_jjP12ihipStream_tbEUljE_ZNSN_ISO_Lb0ESQ_SR_ST_SU_SY_EESZ_S10_S11_S12_S16_S17_S18_S1B_S1C_jS1D_jS1E_S1E_jjS1G_bEUljE0_EEESZ_S10_S11_S18_S1C_S1E_T6_T7_T9_mT8_S1G_bDpT10_ENKUlT_T0_E_clISt17integral_constantIbLb1EES1T_IbLb0EEEEDaS1P_S1Q_EUlS1P_E_NS1_11comp_targetILNS1_3genE3ELNS1_11target_archE908ELNS1_3gpuE7ELNS1_3repE0EEENS1_30default_config_static_selectorELNS0_4arch9wavefront6targetE0EEEvS12_,"axG",@progbits,_ZN7rocprim17ROCPRIM_400000_NS6detail17trampoline_kernelINS0_13select_configILj256ELj13ELNS0_17block_load_methodE3ELS4_3ELS4_3ELNS0_20block_scan_algorithmE0ELj4294967295EEENS1_25partition_config_selectorILNS1_17partition_subalgoE4EjNS0_10empty_typeEbEEZZNS1_14partition_implILS8_4ELb0ES6_15HIP_vector_typeIjLj2EENS0_17counting_iteratorIjlEEPS9_SG_NS0_5tupleIJPjSI_NS0_16reverse_iteratorISI_EEEEENSH_IJSG_SG_SG_EEES9_SI_JZNS1_25segmented_radix_sort_implINS0_14default_configELb0EPKsPsPKlPlN2at6native12_GLOBAL__N_18offset_tEEE10hipError_tPvRmT1_PNSt15iterator_traitsIS12_E10value_typeET2_T3_PNS13_IS18_E10value_typeET4_jRbjT5_S1E_jjP12ihipStream_tbEUljE_ZNSN_ISO_Lb0ESQ_SR_ST_SU_SY_EESZ_S10_S11_S12_S16_S17_S18_S1B_S1C_jS1D_jS1E_S1E_jjS1G_bEUljE0_EEESZ_S10_S11_S18_S1C_S1E_T6_T7_T9_mT8_S1G_bDpT10_ENKUlT_T0_E_clISt17integral_constantIbLb1EES1T_IbLb0EEEEDaS1P_S1Q_EUlS1P_E_NS1_11comp_targetILNS1_3genE3ELNS1_11target_archE908ELNS1_3gpuE7ELNS1_3repE0EEENS1_30default_config_static_selectorELNS0_4arch9wavefront6targetE0EEEvS12_,comdat
.Lfunc_end969:
	.size	_ZN7rocprim17ROCPRIM_400000_NS6detail17trampoline_kernelINS0_13select_configILj256ELj13ELNS0_17block_load_methodE3ELS4_3ELS4_3ELNS0_20block_scan_algorithmE0ELj4294967295EEENS1_25partition_config_selectorILNS1_17partition_subalgoE4EjNS0_10empty_typeEbEEZZNS1_14partition_implILS8_4ELb0ES6_15HIP_vector_typeIjLj2EENS0_17counting_iteratorIjlEEPS9_SG_NS0_5tupleIJPjSI_NS0_16reverse_iteratorISI_EEEEENSH_IJSG_SG_SG_EEES9_SI_JZNS1_25segmented_radix_sort_implINS0_14default_configELb0EPKsPsPKlPlN2at6native12_GLOBAL__N_18offset_tEEE10hipError_tPvRmT1_PNSt15iterator_traitsIS12_E10value_typeET2_T3_PNS13_IS18_E10value_typeET4_jRbjT5_S1E_jjP12ihipStream_tbEUljE_ZNSN_ISO_Lb0ESQ_SR_ST_SU_SY_EESZ_S10_S11_S12_S16_S17_S18_S1B_S1C_jS1D_jS1E_S1E_jjS1G_bEUljE0_EEESZ_S10_S11_S18_S1C_S1E_T6_T7_T9_mT8_S1G_bDpT10_ENKUlT_T0_E_clISt17integral_constantIbLb1EES1T_IbLb0EEEEDaS1P_S1Q_EUlS1P_E_NS1_11comp_targetILNS1_3genE3ELNS1_11target_archE908ELNS1_3gpuE7ELNS1_3repE0EEENS1_30default_config_static_selectorELNS0_4arch9wavefront6targetE0EEEvS12_, .Lfunc_end969-_ZN7rocprim17ROCPRIM_400000_NS6detail17trampoline_kernelINS0_13select_configILj256ELj13ELNS0_17block_load_methodE3ELS4_3ELS4_3ELNS0_20block_scan_algorithmE0ELj4294967295EEENS1_25partition_config_selectorILNS1_17partition_subalgoE4EjNS0_10empty_typeEbEEZZNS1_14partition_implILS8_4ELb0ES6_15HIP_vector_typeIjLj2EENS0_17counting_iteratorIjlEEPS9_SG_NS0_5tupleIJPjSI_NS0_16reverse_iteratorISI_EEEEENSH_IJSG_SG_SG_EEES9_SI_JZNS1_25segmented_radix_sort_implINS0_14default_configELb0EPKsPsPKlPlN2at6native12_GLOBAL__N_18offset_tEEE10hipError_tPvRmT1_PNSt15iterator_traitsIS12_E10value_typeET2_T3_PNS13_IS18_E10value_typeET4_jRbjT5_S1E_jjP12ihipStream_tbEUljE_ZNSN_ISO_Lb0ESQ_SR_ST_SU_SY_EESZ_S10_S11_S12_S16_S17_S18_S1B_S1C_jS1D_jS1E_S1E_jjS1G_bEUljE0_EEESZ_S10_S11_S18_S1C_S1E_T6_T7_T9_mT8_S1G_bDpT10_ENKUlT_T0_E_clISt17integral_constantIbLb1EES1T_IbLb0EEEEDaS1P_S1Q_EUlS1P_E_NS1_11comp_targetILNS1_3genE3ELNS1_11target_archE908ELNS1_3gpuE7ELNS1_3repE0EEENS1_30default_config_static_selectorELNS0_4arch9wavefront6targetE0EEEvS12_
                                        ; -- End function
	.set _ZN7rocprim17ROCPRIM_400000_NS6detail17trampoline_kernelINS0_13select_configILj256ELj13ELNS0_17block_load_methodE3ELS4_3ELS4_3ELNS0_20block_scan_algorithmE0ELj4294967295EEENS1_25partition_config_selectorILNS1_17partition_subalgoE4EjNS0_10empty_typeEbEEZZNS1_14partition_implILS8_4ELb0ES6_15HIP_vector_typeIjLj2EENS0_17counting_iteratorIjlEEPS9_SG_NS0_5tupleIJPjSI_NS0_16reverse_iteratorISI_EEEEENSH_IJSG_SG_SG_EEES9_SI_JZNS1_25segmented_radix_sort_implINS0_14default_configELb0EPKsPsPKlPlN2at6native12_GLOBAL__N_18offset_tEEE10hipError_tPvRmT1_PNSt15iterator_traitsIS12_E10value_typeET2_T3_PNS13_IS18_E10value_typeET4_jRbjT5_S1E_jjP12ihipStream_tbEUljE_ZNSN_ISO_Lb0ESQ_SR_ST_SU_SY_EESZ_S10_S11_S12_S16_S17_S18_S1B_S1C_jS1D_jS1E_S1E_jjS1G_bEUljE0_EEESZ_S10_S11_S18_S1C_S1E_T6_T7_T9_mT8_S1G_bDpT10_ENKUlT_T0_E_clISt17integral_constantIbLb1EES1T_IbLb0EEEEDaS1P_S1Q_EUlS1P_E_NS1_11comp_targetILNS1_3genE3ELNS1_11target_archE908ELNS1_3gpuE7ELNS1_3repE0EEENS1_30default_config_static_selectorELNS0_4arch9wavefront6targetE0EEEvS12_.num_vgpr, 0
	.set _ZN7rocprim17ROCPRIM_400000_NS6detail17trampoline_kernelINS0_13select_configILj256ELj13ELNS0_17block_load_methodE3ELS4_3ELS4_3ELNS0_20block_scan_algorithmE0ELj4294967295EEENS1_25partition_config_selectorILNS1_17partition_subalgoE4EjNS0_10empty_typeEbEEZZNS1_14partition_implILS8_4ELb0ES6_15HIP_vector_typeIjLj2EENS0_17counting_iteratorIjlEEPS9_SG_NS0_5tupleIJPjSI_NS0_16reverse_iteratorISI_EEEEENSH_IJSG_SG_SG_EEES9_SI_JZNS1_25segmented_radix_sort_implINS0_14default_configELb0EPKsPsPKlPlN2at6native12_GLOBAL__N_18offset_tEEE10hipError_tPvRmT1_PNSt15iterator_traitsIS12_E10value_typeET2_T3_PNS13_IS18_E10value_typeET4_jRbjT5_S1E_jjP12ihipStream_tbEUljE_ZNSN_ISO_Lb0ESQ_SR_ST_SU_SY_EESZ_S10_S11_S12_S16_S17_S18_S1B_S1C_jS1D_jS1E_S1E_jjS1G_bEUljE0_EEESZ_S10_S11_S18_S1C_S1E_T6_T7_T9_mT8_S1G_bDpT10_ENKUlT_T0_E_clISt17integral_constantIbLb1EES1T_IbLb0EEEEDaS1P_S1Q_EUlS1P_E_NS1_11comp_targetILNS1_3genE3ELNS1_11target_archE908ELNS1_3gpuE7ELNS1_3repE0EEENS1_30default_config_static_selectorELNS0_4arch9wavefront6targetE0EEEvS12_.num_agpr, 0
	.set _ZN7rocprim17ROCPRIM_400000_NS6detail17trampoline_kernelINS0_13select_configILj256ELj13ELNS0_17block_load_methodE3ELS4_3ELS4_3ELNS0_20block_scan_algorithmE0ELj4294967295EEENS1_25partition_config_selectorILNS1_17partition_subalgoE4EjNS0_10empty_typeEbEEZZNS1_14partition_implILS8_4ELb0ES6_15HIP_vector_typeIjLj2EENS0_17counting_iteratorIjlEEPS9_SG_NS0_5tupleIJPjSI_NS0_16reverse_iteratorISI_EEEEENSH_IJSG_SG_SG_EEES9_SI_JZNS1_25segmented_radix_sort_implINS0_14default_configELb0EPKsPsPKlPlN2at6native12_GLOBAL__N_18offset_tEEE10hipError_tPvRmT1_PNSt15iterator_traitsIS12_E10value_typeET2_T3_PNS13_IS18_E10value_typeET4_jRbjT5_S1E_jjP12ihipStream_tbEUljE_ZNSN_ISO_Lb0ESQ_SR_ST_SU_SY_EESZ_S10_S11_S12_S16_S17_S18_S1B_S1C_jS1D_jS1E_S1E_jjS1G_bEUljE0_EEESZ_S10_S11_S18_S1C_S1E_T6_T7_T9_mT8_S1G_bDpT10_ENKUlT_T0_E_clISt17integral_constantIbLb1EES1T_IbLb0EEEEDaS1P_S1Q_EUlS1P_E_NS1_11comp_targetILNS1_3genE3ELNS1_11target_archE908ELNS1_3gpuE7ELNS1_3repE0EEENS1_30default_config_static_selectorELNS0_4arch9wavefront6targetE0EEEvS12_.numbered_sgpr, 0
	.set _ZN7rocprim17ROCPRIM_400000_NS6detail17trampoline_kernelINS0_13select_configILj256ELj13ELNS0_17block_load_methodE3ELS4_3ELS4_3ELNS0_20block_scan_algorithmE0ELj4294967295EEENS1_25partition_config_selectorILNS1_17partition_subalgoE4EjNS0_10empty_typeEbEEZZNS1_14partition_implILS8_4ELb0ES6_15HIP_vector_typeIjLj2EENS0_17counting_iteratorIjlEEPS9_SG_NS0_5tupleIJPjSI_NS0_16reverse_iteratorISI_EEEEENSH_IJSG_SG_SG_EEES9_SI_JZNS1_25segmented_radix_sort_implINS0_14default_configELb0EPKsPsPKlPlN2at6native12_GLOBAL__N_18offset_tEEE10hipError_tPvRmT1_PNSt15iterator_traitsIS12_E10value_typeET2_T3_PNS13_IS18_E10value_typeET4_jRbjT5_S1E_jjP12ihipStream_tbEUljE_ZNSN_ISO_Lb0ESQ_SR_ST_SU_SY_EESZ_S10_S11_S12_S16_S17_S18_S1B_S1C_jS1D_jS1E_S1E_jjS1G_bEUljE0_EEESZ_S10_S11_S18_S1C_S1E_T6_T7_T9_mT8_S1G_bDpT10_ENKUlT_T0_E_clISt17integral_constantIbLb1EES1T_IbLb0EEEEDaS1P_S1Q_EUlS1P_E_NS1_11comp_targetILNS1_3genE3ELNS1_11target_archE908ELNS1_3gpuE7ELNS1_3repE0EEENS1_30default_config_static_selectorELNS0_4arch9wavefront6targetE0EEEvS12_.num_named_barrier, 0
	.set _ZN7rocprim17ROCPRIM_400000_NS6detail17trampoline_kernelINS0_13select_configILj256ELj13ELNS0_17block_load_methodE3ELS4_3ELS4_3ELNS0_20block_scan_algorithmE0ELj4294967295EEENS1_25partition_config_selectorILNS1_17partition_subalgoE4EjNS0_10empty_typeEbEEZZNS1_14partition_implILS8_4ELb0ES6_15HIP_vector_typeIjLj2EENS0_17counting_iteratorIjlEEPS9_SG_NS0_5tupleIJPjSI_NS0_16reverse_iteratorISI_EEEEENSH_IJSG_SG_SG_EEES9_SI_JZNS1_25segmented_radix_sort_implINS0_14default_configELb0EPKsPsPKlPlN2at6native12_GLOBAL__N_18offset_tEEE10hipError_tPvRmT1_PNSt15iterator_traitsIS12_E10value_typeET2_T3_PNS13_IS18_E10value_typeET4_jRbjT5_S1E_jjP12ihipStream_tbEUljE_ZNSN_ISO_Lb0ESQ_SR_ST_SU_SY_EESZ_S10_S11_S12_S16_S17_S18_S1B_S1C_jS1D_jS1E_S1E_jjS1G_bEUljE0_EEESZ_S10_S11_S18_S1C_S1E_T6_T7_T9_mT8_S1G_bDpT10_ENKUlT_T0_E_clISt17integral_constantIbLb1EES1T_IbLb0EEEEDaS1P_S1Q_EUlS1P_E_NS1_11comp_targetILNS1_3genE3ELNS1_11target_archE908ELNS1_3gpuE7ELNS1_3repE0EEENS1_30default_config_static_selectorELNS0_4arch9wavefront6targetE0EEEvS12_.private_seg_size, 0
	.set _ZN7rocprim17ROCPRIM_400000_NS6detail17trampoline_kernelINS0_13select_configILj256ELj13ELNS0_17block_load_methodE3ELS4_3ELS4_3ELNS0_20block_scan_algorithmE0ELj4294967295EEENS1_25partition_config_selectorILNS1_17partition_subalgoE4EjNS0_10empty_typeEbEEZZNS1_14partition_implILS8_4ELb0ES6_15HIP_vector_typeIjLj2EENS0_17counting_iteratorIjlEEPS9_SG_NS0_5tupleIJPjSI_NS0_16reverse_iteratorISI_EEEEENSH_IJSG_SG_SG_EEES9_SI_JZNS1_25segmented_radix_sort_implINS0_14default_configELb0EPKsPsPKlPlN2at6native12_GLOBAL__N_18offset_tEEE10hipError_tPvRmT1_PNSt15iterator_traitsIS12_E10value_typeET2_T3_PNS13_IS18_E10value_typeET4_jRbjT5_S1E_jjP12ihipStream_tbEUljE_ZNSN_ISO_Lb0ESQ_SR_ST_SU_SY_EESZ_S10_S11_S12_S16_S17_S18_S1B_S1C_jS1D_jS1E_S1E_jjS1G_bEUljE0_EEESZ_S10_S11_S18_S1C_S1E_T6_T7_T9_mT8_S1G_bDpT10_ENKUlT_T0_E_clISt17integral_constantIbLb1EES1T_IbLb0EEEEDaS1P_S1Q_EUlS1P_E_NS1_11comp_targetILNS1_3genE3ELNS1_11target_archE908ELNS1_3gpuE7ELNS1_3repE0EEENS1_30default_config_static_selectorELNS0_4arch9wavefront6targetE0EEEvS12_.uses_vcc, 0
	.set _ZN7rocprim17ROCPRIM_400000_NS6detail17trampoline_kernelINS0_13select_configILj256ELj13ELNS0_17block_load_methodE3ELS4_3ELS4_3ELNS0_20block_scan_algorithmE0ELj4294967295EEENS1_25partition_config_selectorILNS1_17partition_subalgoE4EjNS0_10empty_typeEbEEZZNS1_14partition_implILS8_4ELb0ES6_15HIP_vector_typeIjLj2EENS0_17counting_iteratorIjlEEPS9_SG_NS0_5tupleIJPjSI_NS0_16reverse_iteratorISI_EEEEENSH_IJSG_SG_SG_EEES9_SI_JZNS1_25segmented_radix_sort_implINS0_14default_configELb0EPKsPsPKlPlN2at6native12_GLOBAL__N_18offset_tEEE10hipError_tPvRmT1_PNSt15iterator_traitsIS12_E10value_typeET2_T3_PNS13_IS18_E10value_typeET4_jRbjT5_S1E_jjP12ihipStream_tbEUljE_ZNSN_ISO_Lb0ESQ_SR_ST_SU_SY_EESZ_S10_S11_S12_S16_S17_S18_S1B_S1C_jS1D_jS1E_S1E_jjS1G_bEUljE0_EEESZ_S10_S11_S18_S1C_S1E_T6_T7_T9_mT8_S1G_bDpT10_ENKUlT_T0_E_clISt17integral_constantIbLb1EES1T_IbLb0EEEEDaS1P_S1Q_EUlS1P_E_NS1_11comp_targetILNS1_3genE3ELNS1_11target_archE908ELNS1_3gpuE7ELNS1_3repE0EEENS1_30default_config_static_selectorELNS0_4arch9wavefront6targetE0EEEvS12_.uses_flat_scratch, 0
	.set _ZN7rocprim17ROCPRIM_400000_NS6detail17trampoline_kernelINS0_13select_configILj256ELj13ELNS0_17block_load_methodE3ELS4_3ELS4_3ELNS0_20block_scan_algorithmE0ELj4294967295EEENS1_25partition_config_selectorILNS1_17partition_subalgoE4EjNS0_10empty_typeEbEEZZNS1_14partition_implILS8_4ELb0ES6_15HIP_vector_typeIjLj2EENS0_17counting_iteratorIjlEEPS9_SG_NS0_5tupleIJPjSI_NS0_16reverse_iteratorISI_EEEEENSH_IJSG_SG_SG_EEES9_SI_JZNS1_25segmented_radix_sort_implINS0_14default_configELb0EPKsPsPKlPlN2at6native12_GLOBAL__N_18offset_tEEE10hipError_tPvRmT1_PNSt15iterator_traitsIS12_E10value_typeET2_T3_PNS13_IS18_E10value_typeET4_jRbjT5_S1E_jjP12ihipStream_tbEUljE_ZNSN_ISO_Lb0ESQ_SR_ST_SU_SY_EESZ_S10_S11_S12_S16_S17_S18_S1B_S1C_jS1D_jS1E_S1E_jjS1G_bEUljE0_EEESZ_S10_S11_S18_S1C_S1E_T6_T7_T9_mT8_S1G_bDpT10_ENKUlT_T0_E_clISt17integral_constantIbLb1EES1T_IbLb0EEEEDaS1P_S1Q_EUlS1P_E_NS1_11comp_targetILNS1_3genE3ELNS1_11target_archE908ELNS1_3gpuE7ELNS1_3repE0EEENS1_30default_config_static_selectorELNS0_4arch9wavefront6targetE0EEEvS12_.has_dyn_sized_stack, 0
	.set _ZN7rocprim17ROCPRIM_400000_NS6detail17trampoline_kernelINS0_13select_configILj256ELj13ELNS0_17block_load_methodE3ELS4_3ELS4_3ELNS0_20block_scan_algorithmE0ELj4294967295EEENS1_25partition_config_selectorILNS1_17partition_subalgoE4EjNS0_10empty_typeEbEEZZNS1_14partition_implILS8_4ELb0ES6_15HIP_vector_typeIjLj2EENS0_17counting_iteratorIjlEEPS9_SG_NS0_5tupleIJPjSI_NS0_16reverse_iteratorISI_EEEEENSH_IJSG_SG_SG_EEES9_SI_JZNS1_25segmented_radix_sort_implINS0_14default_configELb0EPKsPsPKlPlN2at6native12_GLOBAL__N_18offset_tEEE10hipError_tPvRmT1_PNSt15iterator_traitsIS12_E10value_typeET2_T3_PNS13_IS18_E10value_typeET4_jRbjT5_S1E_jjP12ihipStream_tbEUljE_ZNSN_ISO_Lb0ESQ_SR_ST_SU_SY_EESZ_S10_S11_S12_S16_S17_S18_S1B_S1C_jS1D_jS1E_S1E_jjS1G_bEUljE0_EEESZ_S10_S11_S18_S1C_S1E_T6_T7_T9_mT8_S1G_bDpT10_ENKUlT_T0_E_clISt17integral_constantIbLb1EES1T_IbLb0EEEEDaS1P_S1Q_EUlS1P_E_NS1_11comp_targetILNS1_3genE3ELNS1_11target_archE908ELNS1_3gpuE7ELNS1_3repE0EEENS1_30default_config_static_selectorELNS0_4arch9wavefront6targetE0EEEvS12_.has_recursion, 0
	.set _ZN7rocprim17ROCPRIM_400000_NS6detail17trampoline_kernelINS0_13select_configILj256ELj13ELNS0_17block_load_methodE3ELS4_3ELS4_3ELNS0_20block_scan_algorithmE0ELj4294967295EEENS1_25partition_config_selectorILNS1_17partition_subalgoE4EjNS0_10empty_typeEbEEZZNS1_14partition_implILS8_4ELb0ES6_15HIP_vector_typeIjLj2EENS0_17counting_iteratorIjlEEPS9_SG_NS0_5tupleIJPjSI_NS0_16reverse_iteratorISI_EEEEENSH_IJSG_SG_SG_EEES9_SI_JZNS1_25segmented_radix_sort_implINS0_14default_configELb0EPKsPsPKlPlN2at6native12_GLOBAL__N_18offset_tEEE10hipError_tPvRmT1_PNSt15iterator_traitsIS12_E10value_typeET2_T3_PNS13_IS18_E10value_typeET4_jRbjT5_S1E_jjP12ihipStream_tbEUljE_ZNSN_ISO_Lb0ESQ_SR_ST_SU_SY_EESZ_S10_S11_S12_S16_S17_S18_S1B_S1C_jS1D_jS1E_S1E_jjS1G_bEUljE0_EEESZ_S10_S11_S18_S1C_S1E_T6_T7_T9_mT8_S1G_bDpT10_ENKUlT_T0_E_clISt17integral_constantIbLb1EES1T_IbLb0EEEEDaS1P_S1Q_EUlS1P_E_NS1_11comp_targetILNS1_3genE3ELNS1_11target_archE908ELNS1_3gpuE7ELNS1_3repE0EEENS1_30default_config_static_selectorELNS0_4arch9wavefront6targetE0EEEvS12_.has_indirect_call, 0
	.section	.AMDGPU.csdata,"",@progbits
; Kernel info:
; codeLenInByte = 0
; TotalNumSgprs: 0
; NumVgprs: 0
; ScratchSize: 0
; MemoryBound: 0
; FloatMode: 240
; IeeeMode: 1
; LDSByteSize: 0 bytes/workgroup (compile time only)
; SGPRBlocks: 0
; VGPRBlocks: 0
; NumSGPRsForWavesPerEU: 1
; NumVGPRsForWavesPerEU: 1
; Occupancy: 16
; WaveLimiterHint : 0
; COMPUTE_PGM_RSRC2:SCRATCH_EN: 0
; COMPUTE_PGM_RSRC2:USER_SGPR: 2
; COMPUTE_PGM_RSRC2:TRAP_HANDLER: 0
; COMPUTE_PGM_RSRC2:TGID_X_EN: 1
; COMPUTE_PGM_RSRC2:TGID_Y_EN: 0
; COMPUTE_PGM_RSRC2:TGID_Z_EN: 0
; COMPUTE_PGM_RSRC2:TIDIG_COMP_CNT: 0
	.section	.text._ZN7rocprim17ROCPRIM_400000_NS6detail17trampoline_kernelINS0_13select_configILj256ELj13ELNS0_17block_load_methodE3ELS4_3ELS4_3ELNS0_20block_scan_algorithmE0ELj4294967295EEENS1_25partition_config_selectorILNS1_17partition_subalgoE4EjNS0_10empty_typeEbEEZZNS1_14partition_implILS8_4ELb0ES6_15HIP_vector_typeIjLj2EENS0_17counting_iteratorIjlEEPS9_SG_NS0_5tupleIJPjSI_NS0_16reverse_iteratorISI_EEEEENSH_IJSG_SG_SG_EEES9_SI_JZNS1_25segmented_radix_sort_implINS0_14default_configELb0EPKsPsPKlPlN2at6native12_GLOBAL__N_18offset_tEEE10hipError_tPvRmT1_PNSt15iterator_traitsIS12_E10value_typeET2_T3_PNS13_IS18_E10value_typeET4_jRbjT5_S1E_jjP12ihipStream_tbEUljE_ZNSN_ISO_Lb0ESQ_SR_ST_SU_SY_EESZ_S10_S11_S12_S16_S17_S18_S1B_S1C_jS1D_jS1E_S1E_jjS1G_bEUljE0_EEESZ_S10_S11_S18_S1C_S1E_T6_T7_T9_mT8_S1G_bDpT10_ENKUlT_T0_E_clISt17integral_constantIbLb1EES1T_IbLb0EEEEDaS1P_S1Q_EUlS1P_E_NS1_11comp_targetILNS1_3genE2ELNS1_11target_archE906ELNS1_3gpuE6ELNS1_3repE0EEENS1_30default_config_static_selectorELNS0_4arch9wavefront6targetE0EEEvS12_,"axG",@progbits,_ZN7rocprim17ROCPRIM_400000_NS6detail17trampoline_kernelINS0_13select_configILj256ELj13ELNS0_17block_load_methodE3ELS4_3ELS4_3ELNS0_20block_scan_algorithmE0ELj4294967295EEENS1_25partition_config_selectorILNS1_17partition_subalgoE4EjNS0_10empty_typeEbEEZZNS1_14partition_implILS8_4ELb0ES6_15HIP_vector_typeIjLj2EENS0_17counting_iteratorIjlEEPS9_SG_NS0_5tupleIJPjSI_NS0_16reverse_iteratorISI_EEEEENSH_IJSG_SG_SG_EEES9_SI_JZNS1_25segmented_radix_sort_implINS0_14default_configELb0EPKsPsPKlPlN2at6native12_GLOBAL__N_18offset_tEEE10hipError_tPvRmT1_PNSt15iterator_traitsIS12_E10value_typeET2_T3_PNS13_IS18_E10value_typeET4_jRbjT5_S1E_jjP12ihipStream_tbEUljE_ZNSN_ISO_Lb0ESQ_SR_ST_SU_SY_EESZ_S10_S11_S12_S16_S17_S18_S1B_S1C_jS1D_jS1E_S1E_jjS1G_bEUljE0_EEESZ_S10_S11_S18_S1C_S1E_T6_T7_T9_mT8_S1G_bDpT10_ENKUlT_T0_E_clISt17integral_constantIbLb1EES1T_IbLb0EEEEDaS1P_S1Q_EUlS1P_E_NS1_11comp_targetILNS1_3genE2ELNS1_11target_archE906ELNS1_3gpuE6ELNS1_3repE0EEENS1_30default_config_static_selectorELNS0_4arch9wavefront6targetE0EEEvS12_,comdat
	.globl	_ZN7rocprim17ROCPRIM_400000_NS6detail17trampoline_kernelINS0_13select_configILj256ELj13ELNS0_17block_load_methodE3ELS4_3ELS4_3ELNS0_20block_scan_algorithmE0ELj4294967295EEENS1_25partition_config_selectorILNS1_17partition_subalgoE4EjNS0_10empty_typeEbEEZZNS1_14partition_implILS8_4ELb0ES6_15HIP_vector_typeIjLj2EENS0_17counting_iteratorIjlEEPS9_SG_NS0_5tupleIJPjSI_NS0_16reverse_iteratorISI_EEEEENSH_IJSG_SG_SG_EEES9_SI_JZNS1_25segmented_radix_sort_implINS0_14default_configELb0EPKsPsPKlPlN2at6native12_GLOBAL__N_18offset_tEEE10hipError_tPvRmT1_PNSt15iterator_traitsIS12_E10value_typeET2_T3_PNS13_IS18_E10value_typeET4_jRbjT5_S1E_jjP12ihipStream_tbEUljE_ZNSN_ISO_Lb0ESQ_SR_ST_SU_SY_EESZ_S10_S11_S12_S16_S17_S18_S1B_S1C_jS1D_jS1E_S1E_jjS1G_bEUljE0_EEESZ_S10_S11_S18_S1C_S1E_T6_T7_T9_mT8_S1G_bDpT10_ENKUlT_T0_E_clISt17integral_constantIbLb1EES1T_IbLb0EEEEDaS1P_S1Q_EUlS1P_E_NS1_11comp_targetILNS1_3genE2ELNS1_11target_archE906ELNS1_3gpuE6ELNS1_3repE0EEENS1_30default_config_static_selectorELNS0_4arch9wavefront6targetE0EEEvS12_ ; -- Begin function _ZN7rocprim17ROCPRIM_400000_NS6detail17trampoline_kernelINS0_13select_configILj256ELj13ELNS0_17block_load_methodE3ELS4_3ELS4_3ELNS0_20block_scan_algorithmE0ELj4294967295EEENS1_25partition_config_selectorILNS1_17partition_subalgoE4EjNS0_10empty_typeEbEEZZNS1_14partition_implILS8_4ELb0ES6_15HIP_vector_typeIjLj2EENS0_17counting_iteratorIjlEEPS9_SG_NS0_5tupleIJPjSI_NS0_16reverse_iteratorISI_EEEEENSH_IJSG_SG_SG_EEES9_SI_JZNS1_25segmented_radix_sort_implINS0_14default_configELb0EPKsPsPKlPlN2at6native12_GLOBAL__N_18offset_tEEE10hipError_tPvRmT1_PNSt15iterator_traitsIS12_E10value_typeET2_T3_PNS13_IS18_E10value_typeET4_jRbjT5_S1E_jjP12ihipStream_tbEUljE_ZNSN_ISO_Lb0ESQ_SR_ST_SU_SY_EESZ_S10_S11_S12_S16_S17_S18_S1B_S1C_jS1D_jS1E_S1E_jjS1G_bEUljE0_EEESZ_S10_S11_S18_S1C_S1E_T6_T7_T9_mT8_S1G_bDpT10_ENKUlT_T0_E_clISt17integral_constantIbLb1EES1T_IbLb0EEEEDaS1P_S1Q_EUlS1P_E_NS1_11comp_targetILNS1_3genE2ELNS1_11target_archE906ELNS1_3gpuE6ELNS1_3repE0EEENS1_30default_config_static_selectorELNS0_4arch9wavefront6targetE0EEEvS12_
	.p2align	8
	.type	_ZN7rocprim17ROCPRIM_400000_NS6detail17trampoline_kernelINS0_13select_configILj256ELj13ELNS0_17block_load_methodE3ELS4_3ELS4_3ELNS0_20block_scan_algorithmE0ELj4294967295EEENS1_25partition_config_selectorILNS1_17partition_subalgoE4EjNS0_10empty_typeEbEEZZNS1_14partition_implILS8_4ELb0ES6_15HIP_vector_typeIjLj2EENS0_17counting_iteratorIjlEEPS9_SG_NS0_5tupleIJPjSI_NS0_16reverse_iteratorISI_EEEEENSH_IJSG_SG_SG_EEES9_SI_JZNS1_25segmented_radix_sort_implINS0_14default_configELb0EPKsPsPKlPlN2at6native12_GLOBAL__N_18offset_tEEE10hipError_tPvRmT1_PNSt15iterator_traitsIS12_E10value_typeET2_T3_PNS13_IS18_E10value_typeET4_jRbjT5_S1E_jjP12ihipStream_tbEUljE_ZNSN_ISO_Lb0ESQ_SR_ST_SU_SY_EESZ_S10_S11_S12_S16_S17_S18_S1B_S1C_jS1D_jS1E_S1E_jjS1G_bEUljE0_EEESZ_S10_S11_S18_S1C_S1E_T6_T7_T9_mT8_S1G_bDpT10_ENKUlT_T0_E_clISt17integral_constantIbLb1EES1T_IbLb0EEEEDaS1P_S1Q_EUlS1P_E_NS1_11comp_targetILNS1_3genE2ELNS1_11target_archE906ELNS1_3gpuE6ELNS1_3repE0EEENS1_30default_config_static_selectorELNS0_4arch9wavefront6targetE0EEEvS12_,@function
_ZN7rocprim17ROCPRIM_400000_NS6detail17trampoline_kernelINS0_13select_configILj256ELj13ELNS0_17block_load_methodE3ELS4_3ELS4_3ELNS0_20block_scan_algorithmE0ELj4294967295EEENS1_25partition_config_selectorILNS1_17partition_subalgoE4EjNS0_10empty_typeEbEEZZNS1_14partition_implILS8_4ELb0ES6_15HIP_vector_typeIjLj2EENS0_17counting_iteratorIjlEEPS9_SG_NS0_5tupleIJPjSI_NS0_16reverse_iteratorISI_EEEEENSH_IJSG_SG_SG_EEES9_SI_JZNS1_25segmented_radix_sort_implINS0_14default_configELb0EPKsPsPKlPlN2at6native12_GLOBAL__N_18offset_tEEE10hipError_tPvRmT1_PNSt15iterator_traitsIS12_E10value_typeET2_T3_PNS13_IS18_E10value_typeET4_jRbjT5_S1E_jjP12ihipStream_tbEUljE_ZNSN_ISO_Lb0ESQ_SR_ST_SU_SY_EESZ_S10_S11_S12_S16_S17_S18_S1B_S1C_jS1D_jS1E_S1E_jjS1G_bEUljE0_EEESZ_S10_S11_S18_S1C_S1E_T6_T7_T9_mT8_S1G_bDpT10_ENKUlT_T0_E_clISt17integral_constantIbLb1EES1T_IbLb0EEEEDaS1P_S1Q_EUlS1P_E_NS1_11comp_targetILNS1_3genE2ELNS1_11target_archE906ELNS1_3gpuE6ELNS1_3repE0EEENS1_30default_config_static_selectorELNS0_4arch9wavefront6targetE0EEEvS12_: ; @_ZN7rocprim17ROCPRIM_400000_NS6detail17trampoline_kernelINS0_13select_configILj256ELj13ELNS0_17block_load_methodE3ELS4_3ELS4_3ELNS0_20block_scan_algorithmE0ELj4294967295EEENS1_25partition_config_selectorILNS1_17partition_subalgoE4EjNS0_10empty_typeEbEEZZNS1_14partition_implILS8_4ELb0ES6_15HIP_vector_typeIjLj2EENS0_17counting_iteratorIjlEEPS9_SG_NS0_5tupleIJPjSI_NS0_16reverse_iteratorISI_EEEEENSH_IJSG_SG_SG_EEES9_SI_JZNS1_25segmented_radix_sort_implINS0_14default_configELb0EPKsPsPKlPlN2at6native12_GLOBAL__N_18offset_tEEE10hipError_tPvRmT1_PNSt15iterator_traitsIS12_E10value_typeET2_T3_PNS13_IS18_E10value_typeET4_jRbjT5_S1E_jjP12ihipStream_tbEUljE_ZNSN_ISO_Lb0ESQ_SR_ST_SU_SY_EESZ_S10_S11_S12_S16_S17_S18_S1B_S1C_jS1D_jS1E_S1E_jjS1G_bEUljE0_EEESZ_S10_S11_S18_S1C_S1E_T6_T7_T9_mT8_S1G_bDpT10_ENKUlT_T0_E_clISt17integral_constantIbLb1EES1T_IbLb0EEEEDaS1P_S1Q_EUlS1P_E_NS1_11comp_targetILNS1_3genE2ELNS1_11target_archE906ELNS1_3gpuE6ELNS1_3repE0EEENS1_30default_config_static_selectorELNS0_4arch9wavefront6targetE0EEEvS12_
; %bb.0:
	.section	.rodata,"a",@progbits
	.p2align	6, 0x0
	.amdhsa_kernel _ZN7rocprim17ROCPRIM_400000_NS6detail17trampoline_kernelINS0_13select_configILj256ELj13ELNS0_17block_load_methodE3ELS4_3ELS4_3ELNS0_20block_scan_algorithmE0ELj4294967295EEENS1_25partition_config_selectorILNS1_17partition_subalgoE4EjNS0_10empty_typeEbEEZZNS1_14partition_implILS8_4ELb0ES6_15HIP_vector_typeIjLj2EENS0_17counting_iteratorIjlEEPS9_SG_NS0_5tupleIJPjSI_NS0_16reverse_iteratorISI_EEEEENSH_IJSG_SG_SG_EEES9_SI_JZNS1_25segmented_radix_sort_implINS0_14default_configELb0EPKsPsPKlPlN2at6native12_GLOBAL__N_18offset_tEEE10hipError_tPvRmT1_PNSt15iterator_traitsIS12_E10value_typeET2_T3_PNS13_IS18_E10value_typeET4_jRbjT5_S1E_jjP12ihipStream_tbEUljE_ZNSN_ISO_Lb0ESQ_SR_ST_SU_SY_EESZ_S10_S11_S12_S16_S17_S18_S1B_S1C_jS1D_jS1E_S1E_jjS1G_bEUljE0_EEESZ_S10_S11_S18_S1C_S1E_T6_T7_T9_mT8_S1G_bDpT10_ENKUlT_T0_E_clISt17integral_constantIbLb1EES1T_IbLb0EEEEDaS1P_S1Q_EUlS1P_E_NS1_11comp_targetILNS1_3genE2ELNS1_11target_archE906ELNS1_3gpuE6ELNS1_3repE0EEENS1_30default_config_static_selectorELNS0_4arch9wavefront6targetE0EEEvS12_
		.amdhsa_group_segment_fixed_size 0
		.amdhsa_private_segment_fixed_size 0
		.amdhsa_kernarg_size 176
		.amdhsa_user_sgpr_count 2
		.amdhsa_user_sgpr_dispatch_ptr 0
		.amdhsa_user_sgpr_queue_ptr 0
		.amdhsa_user_sgpr_kernarg_segment_ptr 1
		.amdhsa_user_sgpr_dispatch_id 0
		.amdhsa_user_sgpr_private_segment_size 0
		.amdhsa_wavefront_size32 1
		.amdhsa_uses_dynamic_stack 0
		.amdhsa_enable_private_segment 0
		.amdhsa_system_sgpr_workgroup_id_x 1
		.amdhsa_system_sgpr_workgroup_id_y 0
		.amdhsa_system_sgpr_workgroup_id_z 0
		.amdhsa_system_sgpr_workgroup_info 0
		.amdhsa_system_vgpr_workitem_id 0
		.amdhsa_next_free_vgpr 1
		.amdhsa_next_free_sgpr 1
		.amdhsa_reserve_vcc 0
		.amdhsa_float_round_mode_32 0
		.amdhsa_float_round_mode_16_64 0
		.amdhsa_float_denorm_mode_32 3
		.amdhsa_float_denorm_mode_16_64 3
		.amdhsa_fp16_overflow 0
		.amdhsa_workgroup_processor_mode 1
		.amdhsa_memory_ordered 1
		.amdhsa_forward_progress 1
		.amdhsa_inst_pref_size 0
		.amdhsa_round_robin_scheduling 0
		.amdhsa_exception_fp_ieee_invalid_op 0
		.amdhsa_exception_fp_denorm_src 0
		.amdhsa_exception_fp_ieee_div_zero 0
		.amdhsa_exception_fp_ieee_overflow 0
		.amdhsa_exception_fp_ieee_underflow 0
		.amdhsa_exception_fp_ieee_inexact 0
		.amdhsa_exception_int_div_zero 0
	.end_amdhsa_kernel
	.section	.text._ZN7rocprim17ROCPRIM_400000_NS6detail17trampoline_kernelINS0_13select_configILj256ELj13ELNS0_17block_load_methodE3ELS4_3ELS4_3ELNS0_20block_scan_algorithmE0ELj4294967295EEENS1_25partition_config_selectorILNS1_17partition_subalgoE4EjNS0_10empty_typeEbEEZZNS1_14partition_implILS8_4ELb0ES6_15HIP_vector_typeIjLj2EENS0_17counting_iteratorIjlEEPS9_SG_NS0_5tupleIJPjSI_NS0_16reverse_iteratorISI_EEEEENSH_IJSG_SG_SG_EEES9_SI_JZNS1_25segmented_radix_sort_implINS0_14default_configELb0EPKsPsPKlPlN2at6native12_GLOBAL__N_18offset_tEEE10hipError_tPvRmT1_PNSt15iterator_traitsIS12_E10value_typeET2_T3_PNS13_IS18_E10value_typeET4_jRbjT5_S1E_jjP12ihipStream_tbEUljE_ZNSN_ISO_Lb0ESQ_SR_ST_SU_SY_EESZ_S10_S11_S12_S16_S17_S18_S1B_S1C_jS1D_jS1E_S1E_jjS1G_bEUljE0_EEESZ_S10_S11_S18_S1C_S1E_T6_T7_T9_mT8_S1G_bDpT10_ENKUlT_T0_E_clISt17integral_constantIbLb1EES1T_IbLb0EEEEDaS1P_S1Q_EUlS1P_E_NS1_11comp_targetILNS1_3genE2ELNS1_11target_archE906ELNS1_3gpuE6ELNS1_3repE0EEENS1_30default_config_static_selectorELNS0_4arch9wavefront6targetE0EEEvS12_,"axG",@progbits,_ZN7rocprim17ROCPRIM_400000_NS6detail17trampoline_kernelINS0_13select_configILj256ELj13ELNS0_17block_load_methodE3ELS4_3ELS4_3ELNS0_20block_scan_algorithmE0ELj4294967295EEENS1_25partition_config_selectorILNS1_17partition_subalgoE4EjNS0_10empty_typeEbEEZZNS1_14partition_implILS8_4ELb0ES6_15HIP_vector_typeIjLj2EENS0_17counting_iteratorIjlEEPS9_SG_NS0_5tupleIJPjSI_NS0_16reverse_iteratorISI_EEEEENSH_IJSG_SG_SG_EEES9_SI_JZNS1_25segmented_radix_sort_implINS0_14default_configELb0EPKsPsPKlPlN2at6native12_GLOBAL__N_18offset_tEEE10hipError_tPvRmT1_PNSt15iterator_traitsIS12_E10value_typeET2_T3_PNS13_IS18_E10value_typeET4_jRbjT5_S1E_jjP12ihipStream_tbEUljE_ZNSN_ISO_Lb0ESQ_SR_ST_SU_SY_EESZ_S10_S11_S12_S16_S17_S18_S1B_S1C_jS1D_jS1E_S1E_jjS1G_bEUljE0_EEESZ_S10_S11_S18_S1C_S1E_T6_T7_T9_mT8_S1G_bDpT10_ENKUlT_T0_E_clISt17integral_constantIbLb1EES1T_IbLb0EEEEDaS1P_S1Q_EUlS1P_E_NS1_11comp_targetILNS1_3genE2ELNS1_11target_archE906ELNS1_3gpuE6ELNS1_3repE0EEENS1_30default_config_static_selectorELNS0_4arch9wavefront6targetE0EEEvS12_,comdat
.Lfunc_end970:
	.size	_ZN7rocprim17ROCPRIM_400000_NS6detail17trampoline_kernelINS0_13select_configILj256ELj13ELNS0_17block_load_methodE3ELS4_3ELS4_3ELNS0_20block_scan_algorithmE0ELj4294967295EEENS1_25partition_config_selectorILNS1_17partition_subalgoE4EjNS0_10empty_typeEbEEZZNS1_14partition_implILS8_4ELb0ES6_15HIP_vector_typeIjLj2EENS0_17counting_iteratorIjlEEPS9_SG_NS0_5tupleIJPjSI_NS0_16reverse_iteratorISI_EEEEENSH_IJSG_SG_SG_EEES9_SI_JZNS1_25segmented_radix_sort_implINS0_14default_configELb0EPKsPsPKlPlN2at6native12_GLOBAL__N_18offset_tEEE10hipError_tPvRmT1_PNSt15iterator_traitsIS12_E10value_typeET2_T3_PNS13_IS18_E10value_typeET4_jRbjT5_S1E_jjP12ihipStream_tbEUljE_ZNSN_ISO_Lb0ESQ_SR_ST_SU_SY_EESZ_S10_S11_S12_S16_S17_S18_S1B_S1C_jS1D_jS1E_S1E_jjS1G_bEUljE0_EEESZ_S10_S11_S18_S1C_S1E_T6_T7_T9_mT8_S1G_bDpT10_ENKUlT_T0_E_clISt17integral_constantIbLb1EES1T_IbLb0EEEEDaS1P_S1Q_EUlS1P_E_NS1_11comp_targetILNS1_3genE2ELNS1_11target_archE906ELNS1_3gpuE6ELNS1_3repE0EEENS1_30default_config_static_selectorELNS0_4arch9wavefront6targetE0EEEvS12_, .Lfunc_end970-_ZN7rocprim17ROCPRIM_400000_NS6detail17trampoline_kernelINS0_13select_configILj256ELj13ELNS0_17block_load_methodE3ELS4_3ELS4_3ELNS0_20block_scan_algorithmE0ELj4294967295EEENS1_25partition_config_selectorILNS1_17partition_subalgoE4EjNS0_10empty_typeEbEEZZNS1_14partition_implILS8_4ELb0ES6_15HIP_vector_typeIjLj2EENS0_17counting_iteratorIjlEEPS9_SG_NS0_5tupleIJPjSI_NS0_16reverse_iteratorISI_EEEEENSH_IJSG_SG_SG_EEES9_SI_JZNS1_25segmented_radix_sort_implINS0_14default_configELb0EPKsPsPKlPlN2at6native12_GLOBAL__N_18offset_tEEE10hipError_tPvRmT1_PNSt15iterator_traitsIS12_E10value_typeET2_T3_PNS13_IS18_E10value_typeET4_jRbjT5_S1E_jjP12ihipStream_tbEUljE_ZNSN_ISO_Lb0ESQ_SR_ST_SU_SY_EESZ_S10_S11_S12_S16_S17_S18_S1B_S1C_jS1D_jS1E_S1E_jjS1G_bEUljE0_EEESZ_S10_S11_S18_S1C_S1E_T6_T7_T9_mT8_S1G_bDpT10_ENKUlT_T0_E_clISt17integral_constantIbLb1EES1T_IbLb0EEEEDaS1P_S1Q_EUlS1P_E_NS1_11comp_targetILNS1_3genE2ELNS1_11target_archE906ELNS1_3gpuE6ELNS1_3repE0EEENS1_30default_config_static_selectorELNS0_4arch9wavefront6targetE0EEEvS12_
                                        ; -- End function
	.set _ZN7rocprim17ROCPRIM_400000_NS6detail17trampoline_kernelINS0_13select_configILj256ELj13ELNS0_17block_load_methodE3ELS4_3ELS4_3ELNS0_20block_scan_algorithmE0ELj4294967295EEENS1_25partition_config_selectorILNS1_17partition_subalgoE4EjNS0_10empty_typeEbEEZZNS1_14partition_implILS8_4ELb0ES6_15HIP_vector_typeIjLj2EENS0_17counting_iteratorIjlEEPS9_SG_NS0_5tupleIJPjSI_NS0_16reverse_iteratorISI_EEEEENSH_IJSG_SG_SG_EEES9_SI_JZNS1_25segmented_radix_sort_implINS0_14default_configELb0EPKsPsPKlPlN2at6native12_GLOBAL__N_18offset_tEEE10hipError_tPvRmT1_PNSt15iterator_traitsIS12_E10value_typeET2_T3_PNS13_IS18_E10value_typeET4_jRbjT5_S1E_jjP12ihipStream_tbEUljE_ZNSN_ISO_Lb0ESQ_SR_ST_SU_SY_EESZ_S10_S11_S12_S16_S17_S18_S1B_S1C_jS1D_jS1E_S1E_jjS1G_bEUljE0_EEESZ_S10_S11_S18_S1C_S1E_T6_T7_T9_mT8_S1G_bDpT10_ENKUlT_T0_E_clISt17integral_constantIbLb1EES1T_IbLb0EEEEDaS1P_S1Q_EUlS1P_E_NS1_11comp_targetILNS1_3genE2ELNS1_11target_archE906ELNS1_3gpuE6ELNS1_3repE0EEENS1_30default_config_static_selectorELNS0_4arch9wavefront6targetE0EEEvS12_.num_vgpr, 0
	.set _ZN7rocprim17ROCPRIM_400000_NS6detail17trampoline_kernelINS0_13select_configILj256ELj13ELNS0_17block_load_methodE3ELS4_3ELS4_3ELNS0_20block_scan_algorithmE0ELj4294967295EEENS1_25partition_config_selectorILNS1_17partition_subalgoE4EjNS0_10empty_typeEbEEZZNS1_14partition_implILS8_4ELb0ES6_15HIP_vector_typeIjLj2EENS0_17counting_iteratorIjlEEPS9_SG_NS0_5tupleIJPjSI_NS0_16reverse_iteratorISI_EEEEENSH_IJSG_SG_SG_EEES9_SI_JZNS1_25segmented_radix_sort_implINS0_14default_configELb0EPKsPsPKlPlN2at6native12_GLOBAL__N_18offset_tEEE10hipError_tPvRmT1_PNSt15iterator_traitsIS12_E10value_typeET2_T3_PNS13_IS18_E10value_typeET4_jRbjT5_S1E_jjP12ihipStream_tbEUljE_ZNSN_ISO_Lb0ESQ_SR_ST_SU_SY_EESZ_S10_S11_S12_S16_S17_S18_S1B_S1C_jS1D_jS1E_S1E_jjS1G_bEUljE0_EEESZ_S10_S11_S18_S1C_S1E_T6_T7_T9_mT8_S1G_bDpT10_ENKUlT_T0_E_clISt17integral_constantIbLb1EES1T_IbLb0EEEEDaS1P_S1Q_EUlS1P_E_NS1_11comp_targetILNS1_3genE2ELNS1_11target_archE906ELNS1_3gpuE6ELNS1_3repE0EEENS1_30default_config_static_selectorELNS0_4arch9wavefront6targetE0EEEvS12_.num_agpr, 0
	.set _ZN7rocprim17ROCPRIM_400000_NS6detail17trampoline_kernelINS0_13select_configILj256ELj13ELNS0_17block_load_methodE3ELS4_3ELS4_3ELNS0_20block_scan_algorithmE0ELj4294967295EEENS1_25partition_config_selectorILNS1_17partition_subalgoE4EjNS0_10empty_typeEbEEZZNS1_14partition_implILS8_4ELb0ES6_15HIP_vector_typeIjLj2EENS0_17counting_iteratorIjlEEPS9_SG_NS0_5tupleIJPjSI_NS0_16reverse_iteratorISI_EEEEENSH_IJSG_SG_SG_EEES9_SI_JZNS1_25segmented_radix_sort_implINS0_14default_configELb0EPKsPsPKlPlN2at6native12_GLOBAL__N_18offset_tEEE10hipError_tPvRmT1_PNSt15iterator_traitsIS12_E10value_typeET2_T3_PNS13_IS18_E10value_typeET4_jRbjT5_S1E_jjP12ihipStream_tbEUljE_ZNSN_ISO_Lb0ESQ_SR_ST_SU_SY_EESZ_S10_S11_S12_S16_S17_S18_S1B_S1C_jS1D_jS1E_S1E_jjS1G_bEUljE0_EEESZ_S10_S11_S18_S1C_S1E_T6_T7_T9_mT8_S1G_bDpT10_ENKUlT_T0_E_clISt17integral_constantIbLb1EES1T_IbLb0EEEEDaS1P_S1Q_EUlS1P_E_NS1_11comp_targetILNS1_3genE2ELNS1_11target_archE906ELNS1_3gpuE6ELNS1_3repE0EEENS1_30default_config_static_selectorELNS0_4arch9wavefront6targetE0EEEvS12_.numbered_sgpr, 0
	.set _ZN7rocprim17ROCPRIM_400000_NS6detail17trampoline_kernelINS0_13select_configILj256ELj13ELNS0_17block_load_methodE3ELS4_3ELS4_3ELNS0_20block_scan_algorithmE0ELj4294967295EEENS1_25partition_config_selectorILNS1_17partition_subalgoE4EjNS0_10empty_typeEbEEZZNS1_14partition_implILS8_4ELb0ES6_15HIP_vector_typeIjLj2EENS0_17counting_iteratorIjlEEPS9_SG_NS0_5tupleIJPjSI_NS0_16reverse_iteratorISI_EEEEENSH_IJSG_SG_SG_EEES9_SI_JZNS1_25segmented_radix_sort_implINS0_14default_configELb0EPKsPsPKlPlN2at6native12_GLOBAL__N_18offset_tEEE10hipError_tPvRmT1_PNSt15iterator_traitsIS12_E10value_typeET2_T3_PNS13_IS18_E10value_typeET4_jRbjT5_S1E_jjP12ihipStream_tbEUljE_ZNSN_ISO_Lb0ESQ_SR_ST_SU_SY_EESZ_S10_S11_S12_S16_S17_S18_S1B_S1C_jS1D_jS1E_S1E_jjS1G_bEUljE0_EEESZ_S10_S11_S18_S1C_S1E_T6_T7_T9_mT8_S1G_bDpT10_ENKUlT_T0_E_clISt17integral_constantIbLb1EES1T_IbLb0EEEEDaS1P_S1Q_EUlS1P_E_NS1_11comp_targetILNS1_3genE2ELNS1_11target_archE906ELNS1_3gpuE6ELNS1_3repE0EEENS1_30default_config_static_selectorELNS0_4arch9wavefront6targetE0EEEvS12_.num_named_barrier, 0
	.set _ZN7rocprim17ROCPRIM_400000_NS6detail17trampoline_kernelINS0_13select_configILj256ELj13ELNS0_17block_load_methodE3ELS4_3ELS4_3ELNS0_20block_scan_algorithmE0ELj4294967295EEENS1_25partition_config_selectorILNS1_17partition_subalgoE4EjNS0_10empty_typeEbEEZZNS1_14partition_implILS8_4ELb0ES6_15HIP_vector_typeIjLj2EENS0_17counting_iteratorIjlEEPS9_SG_NS0_5tupleIJPjSI_NS0_16reverse_iteratorISI_EEEEENSH_IJSG_SG_SG_EEES9_SI_JZNS1_25segmented_radix_sort_implINS0_14default_configELb0EPKsPsPKlPlN2at6native12_GLOBAL__N_18offset_tEEE10hipError_tPvRmT1_PNSt15iterator_traitsIS12_E10value_typeET2_T3_PNS13_IS18_E10value_typeET4_jRbjT5_S1E_jjP12ihipStream_tbEUljE_ZNSN_ISO_Lb0ESQ_SR_ST_SU_SY_EESZ_S10_S11_S12_S16_S17_S18_S1B_S1C_jS1D_jS1E_S1E_jjS1G_bEUljE0_EEESZ_S10_S11_S18_S1C_S1E_T6_T7_T9_mT8_S1G_bDpT10_ENKUlT_T0_E_clISt17integral_constantIbLb1EES1T_IbLb0EEEEDaS1P_S1Q_EUlS1P_E_NS1_11comp_targetILNS1_3genE2ELNS1_11target_archE906ELNS1_3gpuE6ELNS1_3repE0EEENS1_30default_config_static_selectorELNS0_4arch9wavefront6targetE0EEEvS12_.private_seg_size, 0
	.set _ZN7rocprim17ROCPRIM_400000_NS6detail17trampoline_kernelINS0_13select_configILj256ELj13ELNS0_17block_load_methodE3ELS4_3ELS4_3ELNS0_20block_scan_algorithmE0ELj4294967295EEENS1_25partition_config_selectorILNS1_17partition_subalgoE4EjNS0_10empty_typeEbEEZZNS1_14partition_implILS8_4ELb0ES6_15HIP_vector_typeIjLj2EENS0_17counting_iteratorIjlEEPS9_SG_NS0_5tupleIJPjSI_NS0_16reverse_iteratorISI_EEEEENSH_IJSG_SG_SG_EEES9_SI_JZNS1_25segmented_radix_sort_implINS0_14default_configELb0EPKsPsPKlPlN2at6native12_GLOBAL__N_18offset_tEEE10hipError_tPvRmT1_PNSt15iterator_traitsIS12_E10value_typeET2_T3_PNS13_IS18_E10value_typeET4_jRbjT5_S1E_jjP12ihipStream_tbEUljE_ZNSN_ISO_Lb0ESQ_SR_ST_SU_SY_EESZ_S10_S11_S12_S16_S17_S18_S1B_S1C_jS1D_jS1E_S1E_jjS1G_bEUljE0_EEESZ_S10_S11_S18_S1C_S1E_T6_T7_T9_mT8_S1G_bDpT10_ENKUlT_T0_E_clISt17integral_constantIbLb1EES1T_IbLb0EEEEDaS1P_S1Q_EUlS1P_E_NS1_11comp_targetILNS1_3genE2ELNS1_11target_archE906ELNS1_3gpuE6ELNS1_3repE0EEENS1_30default_config_static_selectorELNS0_4arch9wavefront6targetE0EEEvS12_.uses_vcc, 0
	.set _ZN7rocprim17ROCPRIM_400000_NS6detail17trampoline_kernelINS0_13select_configILj256ELj13ELNS0_17block_load_methodE3ELS4_3ELS4_3ELNS0_20block_scan_algorithmE0ELj4294967295EEENS1_25partition_config_selectorILNS1_17partition_subalgoE4EjNS0_10empty_typeEbEEZZNS1_14partition_implILS8_4ELb0ES6_15HIP_vector_typeIjLj2EENS0_17counting_iteratorIjlEEPS9_SG_NS0_5tupleIJPjSI_NS0_16reverse_iteratorISI_EEEEENSH_IJSG_SG_SG_EEES9_SI_JZNS1_25segmented_radix_sort_implINS0_14default_configELb0EPKsPsPKlPlN2at6native12_GLOBAL__N_18offset_tEEE10hipError_tPvRmT1_PNSt15iterator_traitsIS12_E10value_typeET2_T3_PNS13_IS18_E10value_typeET4_jRbjT5_S1E_jjP12ihipStream_tbEUljE_ZNSN_ISO_Lb0ESQ_SR_ST_SU_SY_EESZ_S10_S11_S12_S16_S17_S18_S1B_S1C_jS1D_jS1E_S1E_jjS1G_bEUljE0_EEESZ_S10_S11_S18_S1C_S1E_T6_T7_T9_mT8_S1G_bDpT10_ENKUlT_T0_E_clISt17integral_constantIbLb1EES1T_IbLb0EEEEDaS1P_S1Q_EUlS1P_E_NS1_11comp_targetILNS1_3genE2ELNS1_11target_archE906ELNS1_3gpuE6ELNS1_3repE0EEENS1_30default_config_static_selectorELNS0_4arch9wavefront6targetE0EEEvS12_.uses_flat_scratch, 0
	.set _ZN7rocprim17ROCPRIM_400000_NS6detail17trampoline_kernelINS0_13select_configILj256ELj13ELNS0_17block_load_methodE3ELS4_3ELS4_3ELNS0_20block_scan_algorithmE0ELj4294967295EEENS1_25partition_config_selectorILNS1_17partition_subalgoE4EjNS0_10empty_typeEbEEZZNS1_14partition_implILS8_4ELb0ES6_15HIP_vector_typeIjLj2EENS0_17counting_iteratorIjlEEPS9_SG_NS0_5tupleIJPjSI_NS0_16reverse_iteratorISI_EEEEENSH_IJSG_SG_SG_EEES9_SI_JZNS1_25segmented_radix_sort_implINS0_14default_configELb0EPKsPsPKlPlN2at6native12_GLOBAL__N_18offset_tEEE10hipError_tPvRmT1_PNSt15iterator_traitsIS12_E10value_typeET2_T3_PNS13_IS18_E10value_typeET4_jRbjT5_S1E_jjP12ihipStream_tbEUljE_ZNSN_ISO_Lb0ESQ_SR_ST_SU_SY_EESZ_S10_S11_S12_S16_S17_S18_S1B_S1C_jS1D_jS1E_S1E_jjS1G_bEUljE0_EEESZ_S10_S11_S18_S1C_S1E_T6_T7_T9_mT8_S1G_bDpT10_ENKUlT_T0_E_clISt17integral_constantIbLb1EES1T_IbLb0EEEEDaS1P_S1Q_EUlS1P_E_NS1_11comp_targetILNS1_3genE2ELNS1_11target_archE906ELNS1_3gpuE6ELNS1_3repE0EEENS1_30default_config_static_selectorELNS0_4arch9wavefront6targetE0EEEvS12_.has_dyn_sized_stack, 0
	.set _ZN7rocprim17ROCPRIM_400000_NS6detail17trampoline_kernelINS0_13select_configILj256ELj13ELNS0_17block_load_methodE3ELS4_3ELS4_3ELNS0_20block_scan_algorithmE0ELj4294967295EEENS1_25partition_config_selectorILNS1_17partition_subalgoE4EjNS0_10empty_typeEbEEZZNS1_14partition_implILS8_4ELb0ES6_15HIP_vector_typeIjLj2EENS0_17counting_iteratorIjlEEPS9_SG_NS0_5tupleIJPjSI_NS0_16reverse_iteratorISI_EEEEENSH_IJSG_SG_SG_EEES9_SI_JZNS1_25segmented_radix_sort_implINS0_14default_configELb0EPKsPsPKlPlN2at6native12_GLOBAL__N_18offset_tEEE10hipError_tPvRmT1_PNSt15iterator_traitsIS12_E10value_typeET2_T3_PNS13_IS18_E10value_typeET4_jRbjT5_S1E_jjP12ihipStream_tbEUljE_ZNSN_ISO_Lb0ESQ_SR_ST_SU_SY_EESZ_S10_S11_S12_S16_S17_S18_S1B_S1C_jS1D_jS1E_S1E_jjS1G_bEUljE0_EEESZ_S10_S11_S18_S1C_S1E_T6_T7_T9_mT8_S1G_bDpT10_ENKUlT_T0_E_clISt17integral_constantIbLb1EES1T_IbLb0EEEEDaS1P_S1Q_EUlS1P_E_NS1_11comp_targetILNS1_3genE2ELNS1_11target_archE906ELNS1_3gpuE6ELNS1_3repE0EEENS1_30default_config_static_selectorELNS0_4arch9wavefront6targetE0EEEvS12_.has_recursion, 0
	.set _ZN7rocprim17ROCPRIM_400000_NS6detail17trampoline_kernelINS0_13select_configILj256ELj13ELNS0_17block_load_methodE3ELS4_3ELS4_3ELNS0_20block_scan_algorithmE0ELj4294967295EEENS1_25partition_config_selectorILNS1_17partition_subalgoE4EjNS0_10empty_typeEbEEZZNS1_14partition_implILS8_4ELb0ES6_15HIP_vector_typeIjLj2EENS0_17counting_iteratorIjlEEPS9_SG_NS0_5tupleIJPjSI_NS0_16reverse_iteratorISI_EEEEENSH_IJSG_SG_SG_EEES9_SI_JZNS1_25segmented_radix_sort_implINS0_14default_configELb0EPKsPsPKlPlN2at6native12_GLOBAL__N_18offset_tEEE10hipError_tPvRmT1_PNSt15iterator_traitsIS12_E10value_typeET2_T3_PNS13_IS18_E10value_typeET4_jRbjT5_S1E_jjP12ihipStream_tbEUljE_ZNSN_ISO_Lb0ESQ_SR_ST_SU_SY_EESZ_S10_S11_S12_S16_S17_S18_S1B_S1C_jS1D_jS1E_S1E_jjS1G_bEUljE0_EEESZ_S10_S11_S18_S1C_S1E_T6_T7_T9_mT8_S1G_bDpT10_ENKUlT_T0_E_clISt17integral_constantIbLb1EES1T_IbLb0EEEEDaS1P_S1Q_EUlS1P_E_NS1_11comp_targetILNS1_3genE2ELNS1_11target_archE906ELNS1_3gpuE6ELNS1_3repE0EEENS1_30default_config_static_selectorELNS0_4arch9wavefront6targetE0EEEvS12_.has_indirect_call, 0
	.section	.AMDGPU.csdata,"",@progbits
; Kernel info:
; codeLenInByte = 0
; TotalNumSgprs: 0
; NumVgprs: 0
; ScratchSize: 0
; MemoryBound: 0
; FloatMode: 240
; IeeeMode: 1
; LDSByteSize: 0 bytes/workgroup (compile time only)
; SGPRBlocks: 0
; VGPRBlocks: 0
; NumSGPRsForWavesPerEU: 1
; NumVGPRsForWavesPerEU: 1
; Occupancy: 16
; WaveLimiterHint : 0
; COMPUTE_PGM_RSRC2:SCRATCH_EN: 0
; COMPUTE_PGM_RSRC2:USER_SGPR: 2
; COMPUTE_PGM_RSRC2:TRAP_HANDLER: 0
; COMPUTE_PGM_RSRC2:TGID_X_EN: 1
; COMPUTE_PGM_RSRC2:TGID_Y_EN: 0
; COMPUTE_PGM_RSRC2:TGID_Z_EN: 0
; COMPUTE_PGM_RSRC2:TIDIG_COMP_CNT: 0
	.section	.text._ZN7rocprim17ROCPRIM_400000_NS6detail17trampoline_kernelINS0_13select_configILj256ELj13ELNS0_17block_load_methodE3ELS4_3ELS4_3ELNS0_20block_scan_algorithmE0ELj4294967295EEENS1_25partition_config_selectorILNS1_17partition_subalgoE4EjNS0_10empty_typeEbEEZZNS1_14partition_implILS8_4ELb0ES6_15HIP_vector_typeIjLj2EENS0_17counting_iteratorIjlEEPS9_SG_NS0_5tupleIJPjSI_NS0_16reverse_iteratorISI_EEEEENSH_IJSG_SG_SG_EEES9_SI_JZNS1_25segmented_radix_sort_implINS0_14default_configELb0EPKsPsPKlPlN2at6native12_GLOBAL__N_18offset_tEEE10hipError_tPvRmT1_PNSt15iterator_traitsIS12_E10value_typeET2_T3_PNS13_IS18_E10value_typeET4_jRbjT5_S1E_jjP12ihipStream_tbEUljE_ZNSN_ISO_Lb0ESQ_SR_ST_SU_SY_EESZ_S10_S11_S12_S16_S17_S18_S1B_S1C_jS1D_jS1E_S1E_jjS1G_bEUljE0_EEESZ_S10_S11_S18_S1C_S1E_T6_T7_T9_mT8_S1G_bDpT10_ENKUlT_T0_E_clISt17integral_constantIbLb1EES1T_IbLb0EEEEDaS1P_S1Q_EUlS1P_E_NS1_11comp_targetILNS1_3genE10ELNS1_11target_archE1200ELNS1_3gpuE4ELNS1_3repE0EEENS1_30default_config_static_selectorELNS0_4arch9wavefront6targetE0EEEvS12_,"axG",@progbits,_ZN7rocprim17ROCPRIM_400000_NS6detail17trampoline_kernelINS0_13select_configILj256ELj13ELNS0_17block_load_methodE3ELS4_3ELS4_3ELNS0_20block_scan_algorithmE0ELj4294967295EEENS1_25partition_config_selectorILNS1_17partition_subalgoE4EjNS0_10empty_typeEbEEZZNS1_14partition_implILS8_4ELb0ES6_15HIP_vector_typeIjLj2EENS0_17counting_iteratorIjlEEPS9_SG_NS0_5tupleIJPjSI_NS0_16reverse_iteratorISI_EEEEENSH_IJSG_SG_SG_EEES9_SI_JZNS1_25segmented_radix_sort_implINS0_14default_configELb0EPKsPsPKlPlN2at6native12_GLOBAL__N_18offset_tEEE10hipError_tPvRmT1_PNSt15iterator_traitsIS12_E10value_typeET2_T3_PNS13_IS18_E10value_typeET4_jRbjT5_S1E_jjP12ihipStream_tbEUljE_ZNSN_ISO_Lb0ESQ_SR_ST_SU_SY_EESZ_S10_S11_S12_S16_S17_S18_S1B_S1C_jS1D_jS1E_S1E_jjS1G_bEUljE0_EEESZ_S10_S11_S18_S1C_S1E_T6_T7_T9_mT8_S1G_bDpT10_ENKUlT_T0_E_clISt17integral_constantIbLb1EES1T_IbLb0EEEEDaS1P_S1Q_EUlS1P_E_NS1_11comp_targetILNS1_3genE10ELNS1_11target_archE1200ELNS1_3gpuE4ELNS1_3repE0EEENS1_30default_config_static_selectorELNS0_4arch9wavefront6targetE0EEEvS12_,comdat
	.globl	_ZN7rocprim17ROCPRIM_400000_NS6detail17trampoline_kernelINS0_13select_configILj256ELj13ELNS0_17block_load_methodE3ELS4_3ELS4_3ELNS0_20block_scan_algorithmE0ELj4294967295EEENS1_25partition_config_selectorILNS1_17partition_subalgoE4EjNS0_10empty_typeEbEEZZNS1_14partition_implILS8_4ELb0ES6_15HIP_vector_typeIjLj2EENS0_17counting_iteratorIjlEEPS9_SG_NS0_5tupleIJPjSI_NS0_16reverse_iteratorISI_EEEEENSH_IJSG_SG_SG_EEES9_SI_JZNS1_25segmented_radix_sort_implINS0_14default_configELb0EPKsPsPKlPlN2at6native12_GLOBAL__N_18offset_tEEE10hipError_tPvRmT1_PNSt15iterator_traitsIS12_E10value_typeET2_T3_PNS13_IS18_E10value_typeET4_jRbjT5_S1E_jjP12ihipStream_tbEUljE_ZNSN_ISO_Lb0ESQ_SR_ST_SU_SY_EESZ_S10_S11_S12_S16_S17_S18_S1B_S1C_jS1D_jS1E_S1E_jjS1G_bEUljE0_EEESZ_S10_S11_S18_S1C_S1E_T6_T7_T9_mT8_S1G_bDpT10_ENKUlT_T0_E_clISt17integral_constantIbLb1EES1T_IbLb0EEEEDaS1P_S1Q_EUlS1P_E_NS1_11comp_targetILNS1_3genE10ELNS1_11target_archE1200ELNS1_3gpuE4ELNS1_3repE0EEENS1_30default_config_static_selectorELNS0_4arch9wavefront6targetE0EEEvS12_ ; -- Begin function _ZN7rocprim17ROCPRIM_400000_NS6detail17trampoline_kernelINS0_13select_configILj256ELj13ELNS0_17block_load_methodE3ELS4_3ELS4_3ELNS0_20block_scan_algorithmE0ELj4294967295EEENS1_25partition_config_selectorILNS1_17partition_subalgoE4EjNS0_10empty_typeEbEEZZNS1_14partition_implILS8_4ELb0ES6_15HIP_vector_typeIjLj2EENS0_17counting_iteratorIjlEEPS9_SG_NS0_5tupleIJPjSI_NS0_16reverse_iteratorISI_EEEEENSH_IJSG_SG_SG_EEES9_SI_JZNS1_25segmented_radix_sort_implINS0_14default_configELb0EPKsPsPKlPlN2at6native12_GLOBAL__N_18offset_tEEE10hipError_tPvRmT1_PNSt15iterator_traitsIS12_E10value_typeET2_T3_PNS13_IS18_E10value_typeET4_jRbjT5_S1E_jjP12ihipStream_tbEUljE_ZNSN_ISO_Lb0ESQ_SR_ST_SU_SY_EESZ_S10_S11_S12_S16_S17_S18_S1B_S1C_jS1D_jS1E_S1E_jjS1G_bEUljE0_EEESZ_S10_S11_S18_S1C_S1E_T6_T7_T9_mT8_S1G_bDpT10_ENKUlT_T0_E_clISt17integral_constantIbLb1EES1T_IbLb0EEEEDaS1P_S1Q_EUlS1P_E_NS1_11comp_targetILNS1_3genE10ELNS1_11target_archE1200ELNS1_3gpuE4ELNS1_3repE0EEENS1_30default_config_static_selectorELNS0_4arch9wavefront6targetE0EEEvS12_
	.p2align	8
	.type	_ZN7rocprim17ROCPRIM_400000_NS6detail17trampoline_kernelINS0_13select_configILj256ELj13ELNS0_17block_load_methodE3ELS4_3ELS4_3ELNS0_20block_scan_algorithmE0ELj4294967295EEENS1_25partition_config_selectorILNS1_17partition_subalgoE4EjNS0_10empty_typeEbEEZZNS1_14partition_implILS8_4ELb0ES6_15HIP_vector_typeIjLj2EENS0_17counting_iteratorIjlEEPS9_SG_NS0_5tupleIJPjSI_NS0_16reverse_iteratorISI_EEEEENSH_IJSG_SG_SG_EEES9_SI_JZNS1_25segmented_radix_sort_implINS0_14default_configELb0EPKsPsPKlPlN2at6native12_GLOBAL__N_18offset_tEEE10hipError_tPvRmT1_PNSt15iterator_traitsIS12_E10value_typeET2_T3_PNS13_IS18_E10value_typeET4_jRbjT5_S1E_jjP12ihipStream_tbEUljE_ZNSN_ISO_Lb0ESQ_SR_ST_SU_SY_EESZ_S10_S11_S12_S16_S17_S18_S1B_S1C_jS1D_jS1E_S1E_jjS1G_bEUljE0_EEESZ_S10_S11_S18_S1C_S1E_T6_T7_T9_mT8_S1G_bDpT10_ENKUlT_T0_E_clISt17integral_constantIbLb1EES1T_IbLb0EEEEDaS1P_S1Q_EUlS1P_E_NS1_11comp_targetILNS1_3genE10ELNS1_11target_archE1200ELNS1_3gpuE4ELNS1_3repE0EEENS1_30default_config_static_selectorELNS0_4arch9wavefront6targetE0EEEvS12_,@function
_ZN7rocprim17ROCPRIM_400000_NS6detail17trampoline_kernelINS0_13select_configILj256ELj13ELNS0_17block_load_methodE3ELS4_3ELS4_3ELNS0_20block_scan_algorithmE0ELj4294967295EEENS1_25partition_config_selectorILNS1_17partition_subalgoE4EjNS0_10empty_typeEbEEZZNS1_14partition_implILS8_4ELb0ES6_15HIP_vector_typeIjLj2EENS0_17counting_iteratorIjlEEPS9_SG_NS0_5tupleIJPjSI_NS0_16reverse_iteratorISI_EEEEENSH_IJSG_SG_SG_EEES9_SI_JZNS1_25segmented_radix_sort_implINS0_14default_configELb0EPKsPsPKlPlN2at6native12_GLOBAL__N_18offset_tEEE10hipError_tPvRmT1_PNSt15iterator_traitsIS12_E10value_typeET2_T3_PNS13_IS18_E10value_typeET4_jRbjT5_S1E_jjP12ihipStream_tbEUljE_ZNSN_ISO_Lb0ESQ_SR_ST_SU_SY_EESZ_S10_S11_S12_S16_S17_S18_S1B_S1C_jS1D_jS1E_S1E_jjS1G_bEUljE0_EEESZ_S10_S11_S18_S1C_S1E_T6_T7_T9_mT8_S1G_bDpT10_ENKUlT_T0_E_clISt17integral_constantIbLb1EES1T_IbLb0EEEEDaS1P_S1Q_EUlS1P_E_NS1_11comp_targetILNS1_3genE10ELNS1_11target_archE1200ELNS1_3gpuE4ELNS1_3repE0EEENS1_30default_config_static_selectorELNS0_4arch9wavefront6targetE0EEEvS12_: ; @_ZN7rocprim17ROCPRIM_400000_NS6detail17trampoline_kernelINS0_13select_configILj256ELj13ELNS0_17block_load_methodE3ELS4_3ELS4_3ELNS0_20block_scan_algorithmE0ELj4294967295EEENS1_25partition_config_selectorILNS1_17partition_subalgoE4EjNS0_10empty_typeEbEEZZNS1_14partition_implILS8_4ELb0ES6_15HIP_vector_typeIjLj2EENS0_17counting_iteratorIjlEEPS9_SG_NS0_5tupleIJPjSI_NS0_16reverse_iteratorISI_EEEEENSH_IJSG_SG_SG_EEES9_SI_JZNS1_25segmented_radix_sort_implINS0_14default_configELb0EPKsPsPKlPlN2at6native12_GLOBAL__N_18offset_tEEE10hipError_tPvRmT1_PNSt15iterator_traitsIS12_E10value_typeET2_T3_PNS13_IS18_E10value_typeET4_jRbjT5_S1E_jjP12ihipStream_tbEUljE_ZNSN_ISO_Lb0ESQ_SR_ST_SU_SY_EESZ_S10_S11_S12_S16_S17_S18_S1B_S1C_jS1D_jS1E_S1E_jjS1G_bEUljE0_EEESZ_S10_S11_S18_S1C_S1E_T6_T7_T9_mT8_S1G_bDpT10_ENKUlT_T0_E_clISt17integral_constantIbLb1EES1T_IbLb0EEEEDaS1P_S1Q_EUlS1P_E_NS1_11comp_targetILNS1_3genE10ELNS1_11target_archE1200ELNS1_3gpuE4ELNS1_3repE0EEENS1_30default_config_static_selectorELNS0_4arch9wavefront6targetE0EEEvS12_
; %bb.0:
	s_endpgm
	.section	.rodata,"a",@progbits
	.p2align	6, 0x0
	.amdhsa_kernel _ZN7rocprim17ROCPRIM_400000_NS6detail17trampoline_kernelINS0_13select_configILj256ELj13ELNS0_17block_load_methodE3ELS4_3ELS4_3ELNS0_20block_scan_algorithmE0ELj4294967295EEENS1_25partition_config_selectorILNS1_17partition_subalgoE4EjNS0_10empty_typeEbEEZZNS1_14partition_implILS8_4ELb0ES6_15HIP_vector_typeIjLj2EENS0_17counting_iteratorIjlEEPS9_SG_NS0_5tupleIJPjSI_NS0_16reverse_iteratorISI_EEEEENSH_IJSG_SG_SG_EEES9_SI_JZNS1_25segmented_radix_sort_implINS0_14default_configELb0EPKsPsPKlPlN2at6native12_GLOBAL__N_18offset_tEEE10hipError_tPvRmT1_PNSt15iterator_traitsIS12_E10value_typeET2_T3_PNS13_IS18_E10value_typeET4_jRbjT5_S1E_jjP12ihipStream_tbEUljE_ZNSN_ISO_Lb0ESQ_SR_ST_SU_SY_EESZ_S10_S11_S12_S16_S17_S18_S1B_S1C_jS1D_jS1E_S1E_jjS1G_bEUljE0_EEESZ_S10_S11_S18_S1C_S1E_T6_T7_T9_mT8_S1G_bDpT10_ENKUlT_T0_E_clISt17integral_constantIbLb1EES1T_IbLb0EEEEDaS1P_S1Q_EUlS1P_E_NS1_11comp_targetILNS1_3genE10ELNS1_11target_archE1200ELNS1_3gpuE4ELNS1_3repE0EEENS1_30default_config_static_selectorELNS0_4arch9wavefront6targetE0EEEvS12_
		.amdhsa_group_segment_fixed_size 0
		.amdhsa_private_segment_fixed_size 0
		.amdhsa_kernarg_size 176
		.amdhsa_user_sgpr_count 2
		.amdhsa_user_sgpr_dispatch_ptr 0
		.amdhsa_user_sgpr_queue_ptr 0
		.amdhsa_user_sgpr_kernarg_segment_ptr 1
		.amdhsa_user_sgpr_dispatch_id 0
		.amdhsa_user_sgpr_private_segment_size 0
		.amdhsa_wavefront_size32 1
		.amdhsa_uses_dynamic_stack 0
		.amdhsa_enable_private_segment 0
		.amdhsa_system_sgpr_workgroup_id_x 1
		.amdhsa_system_sgpr_workgroup_id_y 0
		.amdhsa_system_sgpr_workgroup_id_z 0
		.amdhsa_system_sgpr_workgroup_info 0
		.amdhsa_system_vgpr_workitem_id 0
		.amdhsa_next_free_vgpr 1
		.amdhsa_next_free_sgpr 1
		.amdhsa_reserve_vcc 0
		.amdhsa_float_round_mode_32 0
		.amdhsa_float_round_mode_16_64 0
		.amdhsa_float_denorm_mode_32 3
		.amdhsa_float_denorm_mode_16_64 3
		.amdhsa_fp16_overflow 0
		.amdhsa_workgroup_processor_mode 1
		.amdhsa_memory_ordered 1
		.amdhsa_forward_progress 1
		.amdhsa_inst_pref_size 1
		.amdhsa_round_robin_scheduling 0
		.amdhsa_exception_fp_ieee_invalid_op 0
		.amdhsa_exception_fp_denorm_src 0
		.amdhsa_exception_fp_ieee_div_zero 0
		.amdhsa_exception_fp_ieee_overflow 0
		.amdhsa_exception_fp_ieee_underflow 0
		.amdhsa_exception_fp_ieee_inexact 0
		.amdhsa_exception_int_div_zero 0
	.end_amdhsa_kernel
	.section	.text._ZN7rocprim17ROCPRIM_400000_NS6detail17trampoline_kernelINS0_13select_configILj256ELj13ELNS0_17block_load_methodE3ELS4_3ELS4_3ELNS0_20block_scan_algorithmE0ELj4294967295EEENS1_25partition_config_selectorILNS1_17partition_subalgoE4EjNS0_10empty_typeEbEEZZNS1_14partition_implILS8_4ELb0ES6_15HIP_vector_typeIjLj2EENS0_17counting_iteratorIjlEEPS9_SG_NS0_5tupleIJPjSI_NS0_16reverse_iteratorISI_EEEEENSH_IJSG_SG_SG_EEES9_SI_JZNS1_25segmented_radix_sort_implINS0_14default_configELb0EPKsPsPKlPlN2at6native12_GLOBAL__N_18offset_tEEE10hipError_tPvRmT1_PNSt15iterator_traitsIS12_E10value_typeET2_T3_PNS13_IS18_E10value_typeET4_jRbjT5_S1E_jjP12ihipStream_tbEUljE_ZNSN_ISO_Lb0ESQ_SR_ST_SU_SY_EESZ_S10_S11_S12_S16_S17_S18_S1B_S1C_jS1D_jS1E_S1E_jjS1G_bEUljE0_EEESZ_S10_S11_S18_S1C_S1E_T6_T7_T9_mT8_S1G_bDpT10_ENKUlT_T0_E_clISt17integral_constantIbLb1EES1T_IbLb0EEEEDaS1P_S1Q_EUlS1P_E_NS1_11comp_targetILNS1_3genE10ELNS1_11target_archE1200ELNS1_3gpuE4ELNS1_3repE0EEENS1_30default_config_static_selectorELNS0_4arch9wavefront6targetE0EEEvS12_,"axG",@progbits,_ZN7rocprim17ROCPRIM_400000_NS6detail17trampoline_kernelINS0_13select_configILj256ELj13ELNS0_17block_load_methodE3ELS4_3ELS4_3ELNS0_20block_scan_algorithmE0ELj4294967295EEENS1_25partition_config_selectorILNS1_17partition_subalgoE4EjNS0_10empty_typeEbEEZZNS1_14partition_implILS8_4ELb0ES6_15HIP_vector_typeIjLj2EENS0_17counting_iteratorIjlEEPS9_SG_NS0_5tupleIJPjSI_NS0_16reverse_iteratorISI_EEEEENSH_IJSG_SG_SG_EEES9_SI_JZNS1_25segmented_radix_sort_implINS0_14default_configELb0EPKsPsPKlPlN2at6native12_GLOBAL__N_18offset_tEEE10hipError_tPvRmT1_PNSt15iterator_traitsIS12_E10value_typeET2_T3_PNS13_IS18_E10value_typeET4_jRbjT5_S1E_jjP12ihipStream_tbEUljE_ZNSN_ISO_Lb0ESQ_SR_ST_SU_SY_EESZ_S10_S11_S12_S16_S17_S18_S1B_S1C_jS1D_jS1E_S1E_jjS1G_bEUljE0_EEESZ_S10_S11_S18_S1C_S1E_T6_T7_T9_mT8_S1G_bDpT10_ENKUlT_T0_E_clISt17integral_constantIbLb1EES1T_IbLb0EEEEDaS1P_S1Q_EUlS1P_E_NS1_11comp_targetILNS1_3genE10ELNS1_11target_archE1200ELNS1_3gpuE4ELNS1_3repE0EEENS1_30default_config_static_selectorELNS0_4arch9wavefront6targetE0EEEvS12_,comdat
.Lfunc_end971:
	.size	_ZN7rocprim17ROCPRIM_400000_NS6detail17trampoline_kernelINS0_13select_configILj256ELj13ELNS0_17block_load_methodE3ELS4_3ELS4_3ELNS0_20block_scan_algorithmE0ELj4294967295EEENS1_25partition_config_selectorILNS1_17partition_subalgoE4EjNS0_10empty_typeEbEEZZNS1_14partition_implILS8_4ELb0ES6_15HIP_vector_typeIjLj2EENS0_17counting_iteratorIjlEEPS9_SG_NS0_5tupleIJPjSI_NS0_16reverse_iteratorISI_EEEEENSH_IJSG_SG_SG_EEES9_SI_JZNS1_25segmented_radix_sort_implINS0_14default_configELb0EPKsPsPKlPlN2at6native12_GLOBAL__N_18offset_tEEE10hipError_tPvRmT1_PNSt15iterator_traitsIS12_E10value_typeET2_T3_PNS13_IS18_E10value_typeET4_jRbjT5_S1E_jjP12ihipStream_tbEUljE_ZNSN_ISO_Lb0ESQ_SR_ST_SU_SY_EESZ_S10_S11_S12_S16_S17_S18_S1B_S1C_jS1D_jS1E_S1E_jjS1G_bEUljE0_EEESZ_S10_S11_S18_S1C_S1E_T6_T7_T9_mT8_S1G_bDpT10_ENKUlT_T0_E_clISt17integral_constantIbLb1EES1T_IbLb0EEEEDaS1P_S1Q_EUlS1P_E_NS1_11comp_targetILNS1_3genE10ELNS1_11target_archE1200ELNS1_3gpuE4ELNS1_3repE0EEENS1_30default_config_static_selectorELNS0_4arch9wavefront6targetE0EEEvS12_, .Lfunc_end971-_ZN7rocprim17ROCPRIM_400000_NS6detail17trampoline_kernelINS0_13select_configILj256ELj13ELNS0_17block_load_methodE3ELS4_3ELS4_3ELNS0_20block_scan_algorithmE0ELj4294967295EEENS1_25partition_config_selectorILNS1_17partition_subalgoE4EjNS0_10empty_typeEbEEZZNS1_14partition_implILS8_4ELb0ES6_15HIP_vector_typeIjLj2EENS0_17counting_iteratorIjlEEPS9_SG_NS0_5tupleIJPjSI_NS0_16reverse_iteratorISI_EEEEENSH_IJSG_SG_SG_EEES9_SI_JZNS1_25segmented_radix_sort_implINS0_14default_configELb0EPKsPsPKlPlN2at6native12_GLOBAL__N_18offset_tEEE10hipError_tPvRmT1_PNSt15iterator_traitsIS12_E10value_typeET2_T3_PNS13_IS18_E10value_typeET4_jRbjT5_S1E_jjP12ihipStream_tbEUljE_ZNSN_ISO_Lb0ESQ_SR_ST_SU_SY_EESZ_S10_S11_S12_S16_S17_S18_S1B_S1C_jS1D_jS1E_S1E_jjS1G_bEUljE0_EEESZ_S10_S11_S18_S1C_S1E_T6_T7_T9_mT8_S1G_bDpT10_ENKUlT_T0_E_clISt17integral_constantIbLb1EES1T_IbLb0EEEEDaS1P_S1Q_EUlS1P_E_NS1_11comp_targetILNS1_3genE10ELNS1_11target_archE1200ELNS1_3gpuE4ELNS1_3repE0EEENS1_30default_config_static_selectorELNS0_4arch9wavefront6targetE0EEEvS12_
                                        ; -- End function
	.set _ZN7rocprim17ROCPRIM_400000_NS6detail17trampoline_kernelINS0_13select_configILj256ELj13ELNS0_17block_load_methodE3ELS4_3ELS4_3ELNS0_20block_scan_algorithmE0ELj4294967295EEENS1_25partition_config_selectorILNS1_17partition_subalgoE4EjNS0_10empty_typeEbEEZZNS1_14partition_implILS8_4ELb0ES6_15HIP_vector_typeIjLj2EENS0_17counting_iteratorIjlEEPS9_SG_NS0_5tupleIJPjSI_NS0_16reverse_iteratorISI_EEEEENSH_IJSG_SG_SG_EEES9_SI_JZNS1_25segmented_radix_sort_implINS0_14default_configELb0EPKsPsPKlPlN2at6native12_GLOBAL__N_18offset_tEEE10hipError_tPvRmT1_PNSt15iterator_traitsIS12_E10value_typeET2_T3_PNS13_IS18_E10value_typeET4_jRbjT5_S1E_jjP12ihipStream_tbEUljE_ZNSN_ISO_Lb0ESQ_SR_ST_SU_SY_EESZ_S10_S11_S12_S16_S17_S18_S1B_S1C_jS1D_jS1E_S1E_jjS1G_bEUljE0_EEESZ_S10_S11_S18_S1C_S1E_T6_T7_T9_mT8_S1G_bDpT10_ENKUlT_T0_E_clISt17integral_constantIbLb1EES1T_IbLb0EEEEDaS1P_S1Q_EUlS1P_E_NS1_11comp_targetILNS1_3genE10ELNS1_11target_archE1200ELNS1_3gpuE4ELNS1_3repE0EEENS1_30default_config_static_selectorELNS0_4arch9wavefront6targetE0EEEvS12_.num_vgpr, 0
	.set _ZN7rocprim17ROCPRIM_400000_NS6detail17trampoline_kernelINS0_13select_configILj256ELj13ELNS0_17block_load_methodE3ELS4_3ELS4_3ELNS0_20block_scan_algorithmE0ELj4294967295EEENS1_25partition_config_selectorILNS1_17partition_subalgoE4EjNS0_10empty_typeEbEEZZNS1_14partition_implILS8_4ELb0ES6_15HIP_vector_typeIjLj2EENS0_17counting_iteratorIjlEEPS9_SG_NS0_5tupleIJPjSI_NS0_16reverse_iteratorISI_EEEEENSH_IJSG_SG_SG_EEES9_SI_JZNS1_25segmented_radix_sort_implINS0_14default_configELb0EPKsPsPKlPlN2at6native12_GLOBAL__N_18offset_tEEE10hipError_tPvRmT1_PNSt15iterator_traitsIS12_E10value_typeET2_T3_PNS13_IS18_E10value_typeET4_jRbjT5_S1E_jjP12ihipStream_tbEUljE_ZNSN_ISO_Lb0ESQ_SR_ST_SU_SY_EESZ_S10_S11_S12_S16_S17_S18_S1B_S1C_jS1D_jS1E_S1E_jjS1G_bEUljE0_EEESZ_S10_S11_S18_S1C_S1E_T6_T7_T9_mT8_S1G_bDpT10_ENKUlT_T0_E_clISt17integral_constantIbLb1EES1T_IbLb0EEEEDaS1P_S1Q_EUlS1P_E_NS1_11comp_targetILNS1_3genE10ELNS1_11target_archE1200ELNS1_3gpuE4ELNS1_3repE0EEENS1_30default_config_static_selectorELNS0_4arch9wavefront6targetE0EEEvS12_.num_agpr, 0
	.set _ZN7rocprim17ROCPRIM_400000_NS6detail17trampoline_kernelINS0_13select_configILj256ELj13ELNS0_17block_load_methodE3ELS4_3ELS4_3ELNS0_20block_scan_algorithmE0ELj4294967295EEENS1_25partition_config_selectorILNS1_17partition_subalgoE4EjNS0_10empty_typeEbEEZZNS1_14partition_implILS8_4ELb0ES6_15HIP_vector_typeIjLj2EENS0_17counting_iteratorIjlEEPS9_SG_NS0_5tupleIJPjSI_NS0_16reverse_iteratorISI_EEEEENSH_IJSG_SG_SG_EEES9_SI_JZNS1_25segmented_radix_sort_implINS0_14default_configELb0EPKsPsPKlPlN2at6native12_GLOBAL__N_18offset_tEEE10hipError_tPvRmT1_PNSt15iterator_traitsIS12_E10value_typeET2_T3_PNS13_IS18_E10value_typeET4_jRbjT5_S1E_jjP12ihipStream_tbEUljE_ZNSN_ISO_Lb0ESQ_SR_ST_SU_SY_EESZ_S10_S11_S12_S16_S17_S18_S1B_S1C_jS1D_jS1E_S1E_jjS1G_bEUljE0_EEESZ_S10_S11_S18_S1C_S1E_T6_T7_T9_mT8_S1G_bDpT10_ENKUlT_T0_E_clISt17integral_constantIbLb1EES1T_IbLb0EEEEDaS1P_S1Q_EUlS1P_E_NS1_11comp_targetILNS1_3genE10ELNS1_11target_archE1200ELNS1_3gpuE4ELNS1_3repE0EEENS1_30default_config_static_selectorELNS0_4arch9wavefront6targetE0EEEvS12_.numbered_sgpr, 0
	.set _ZN7rocprim17ROCPRIM_400000_NS6detail17trampoline_kernelINS0_13select_configILj256ELj13ELNS0_17block_load_methodE3ELS4_3ELS4_3ELNS0_20block_scan_algorithmE0ELj4294967295EEENS1_25partition_config_selectorILNS1_17partition_subalgoE4EjNS0_10empty_typeEbEEZZNS1_14partition_implILS8_4ELb0ES6_15HIP_vector_typeIjLj2EENS0_17counting_iteratorIjlEEPS9_SG_NS0_5tupleIJPjSI_NS0_16reverse_iteratorISI_EEEEENSH_IJSG_SG_SG_EEES9_SI_JZNS1_25segmented_radix_sort_implINS0_14default_configELb0EPKsPsPKlPlN2at6native12_GLOBAL__N_18offset_tEEE10hipError_tPvRmT1_PNSt15iterator_traitsIS12_E10value_typeET2_T3_PNS13_IS18_E10value_typeET4_jRbjT5_S1E_jjP12ihipStream_tbEUljE_ZNSN_ISO_Lb0ESQ_SR_ST_SU_SY_EESZ_S10_S11_S12_S16_S17_S18_S1B_S1C_jS1D_jS1E_S1E_jjS1G_bEUljE0_EEESZ_S10_S11_S18_S1C_S1E_T6_T7_T9_mT8_S1G_bDpT10_ENKUlT_T0_E_clISt17integral_constantIbLb1EES1T_IbLb0EEEEDaS1P_S1Q_EUlS1P_E_NS1_11comp_targetILNS1_3genE10ELNS1_11target_archE1200ELNS1_3gpuE4ELNS1_3repE0EEENS1_30default_config_static_selectorELNS0_4arch9wavefront6targetE0EEEvS12_.num_named_barrier, 0
	.set _ZN7rocprim17ROCPRIM_400000_NS6detail17trampoline_kernelINS0_13select_configILj256ELj13ELNS0_17block_load_methodE3ELS4_3ELS4_3ELNS0_20block_scan_algorithmE0ELj4294967295EEENS1_25partition_config_selectorILNS1_17partition_subalgoE4EjNS0_10empty_typeEbEEZZNS1_14partition_implILS8_4ELb0ES6_15HIP_vector_typeIjLj2EENS0_17counting_iteratorIjlEEPS9_SG_NS0_5tupleIJPjSI_NS0_16reverse_iteratorISI_EEEEENSH_IJSG_SG_SG_EEES9_SI_JZNS1_25segmented_radix_sort_implINS0_14default_configELb0EPKsPsPKlPlN2at6native12_GLOBAL__N_18offset_tEEE10hipError_tPvRmT1_PNSt15iterator_traitsIS12_E10value_typeET2_T3_PNS13_IS18_E10value_typeET4_jRbjT5_S1E_jjP12ihipStream_tbEUljE_ZNSN_ISO_Lb0ESQ_SR_ST_SU_SY_EESZ_S10_S11_S12_S16_S17_S18_S1B_S1C_jS1D_jS1E_S1E_jjS1G_bEUljE0_EEESZ_S10_S11_S18_S1C_S1E_T6_T7_T9_mT8_S1G_bDpT10_ENKUlT_T0_E_clISt17integral_constantIbLb1EES1T_IbLb0EEEEDaS1P_S1Q_EUlS1P_E_NS1_11comp_targetILNS1_3genE10ELNS1_11target_archE1200ELNS1_3gpuE4ELNS1_3repE0EEENS1_30default_config_static_selectorELNS0_4arch9wavefront6targetE0EEEvS12_.private_seg_size, 0
	.set _ZN7rocprim17ROCPRIM_400000_NS6detail17trampoline_kernelINS0_13select_configILj256ELj13ELNS0_17block_load_methodE3ELS4_3ELS4_3ELNS0_20block_scan_algorithmE0ELj4294967295EEENS1_25partition_config_selectorILNS1_17partition_subalgoE4EjNS0_10empty_typeEbEEZZNS1_14partition_implILS8_4ELb0ES6_15HIP_vector_typeIjLj2EENS0_17counting_iteratorIjlEEPS9_SG_NS0_5tupleIJPjSI_NS0_16reverse_iteratorISI_EEEEENSH_IJSG_SG_SG_EEES9_SI_JZNS1_25segmented_radix_sort_implINS0_14default_configELb0EPKsPsPKlPlN2at6native12_GLOBAL__N_18offset_tEEE10hipError_tPvRmT1_PNSt15iterator_traitsIS12_E10value_typeET2_T3_PNS13_IS18_E10value_typeET4_jRbjT5_S1E_jjP12ihipStream_tbEUljE_ZNSN_ISO_Lb0ESQ_SR_ST_SU_SY_EESZ_S10_S11_S12_S16_S17_S18_S1B_S1C_jS1D_jS1E_S1E_jjS1G_bEUljE0_EEESZ_S10_S11_S18_S1C_S1E_T6_T7_T9_mT8_S1G_bDpT10_ENKUlT_T0_E_clISt17integral_constantIbLb1EES1T_IbLb0EEEEDaS1P_S1Q_EUlS1P_E_NS1_11comp_targetILNS1_3genE10ELNS1_11target_archE1200ELNS1_3gpuE4ELNS1_3repE0EEENS1_30default_config_static_selectorELNS0_4arch9wavefront6targetE0EEEvS12_.uses_vcc, 0
	.set _ZN7rocprim17ROCPRIM_400000_NS6detail17trampoline_kernelINS0_13select_configILj256ELj13ELNS0_17block_load_methodE3ELS4_3ELS4_3ELNS0_20block_scan_algorithmE0ELj4294967295EEENS1_25partition_config_selectorILNS1_17partition_subalgoE4EjNS0_10empty_typeEbEEZZNS1_14partition_implILS8_4ELb0ES6_15HIP_vector_typeIjLj2EENS0_17counting_iteratorIjlEEPS9_SG_NS0_5tupleIJPjSI_NS0_16reverse_iteratorISI_EEEEENSH_IJSG_SG_SG_EEES9_SI_JZNS1_25segmented_radix_sort_implINS0_14default_configELb0EPKsPsPKlPlN2at6native12_GLOBAL__N_18offset_tEEE10hipError_tPvRmT1_PNSt15iterator_traitsIS12_E10value_typeET2_T3_PNS13_IS18_E10value_typeET4_jRbjT5_S1E_jjP12ihipStream_tbEUljE_ZNSN_ISO_Lb0ESQ_SR_ST_SU_SY_EESZ_S10_S11_S12_S16_S17_S18_S1B_S1C_jS1D_jS1E_S1E_jjS1G_bEUljE0_EEESZ_S10_S11_S18_S1C_S1E_T6_T7_T9_mT8_S1G_bDpT10_ENKUlT_T0_E_clISt17integral_constantIbLb1EES1T_IbLb0EEEEDaS1P_S1Q_EUlS1P_E_NS1_11comp_targetILNS1_3genE10ELNS1_11target_archE1200ELNS1_3gpuE4ELNS1_3repE0EEENS1_30default_config_static_selectorELNS0_4arch9wavefront6targetE0EEEvS12_.uses_flat_scratch, 0
	.set _ZN7rocprim17ROCPRIM_400000_NS6detail17trampoline_kernelINS0_13select_configILj256ELj13ELNS0_17block_load_methodE3ELS4_3ELS4_3ELNS0_20block_scan_algorithmE0ELj4294967295EEENS1_25partition_config_selectorILNS1_17partition_subalgoE4EjNS0_10empty_typeEbEEZZNS1_14partition_implILS8_4ELb0ES6_15HIP_vector_typeIjLj2EENS0_17counting_iteratorIjlEEPS9_SG_NS0_5tupleIJPjSI_NS0_16reverse_iteratorISI_EEEEENSH_IJSG_SG_SG_EEES9_SI_JZNS1_25segmented_radix_sort_implINS0_14default_configELb0EPKsPsPKlPlN2at6native12_GLOBAL__N_18offset_tEEE10hipError_tPvRmT1_PNSt15iterator_traitsIS12_E10value_typeET2_T3_PNS13_IS18_E10value_typeET4_jRbjT5_S1E_jjP12ihipStream_tbEUljE_ZNSN_ISO_Lb0ESQ_SR_ST_SU_SY_EESZ_S10_S11_S12_S16_S17_S18_S1B_S1C_jS1D_jS1E_S1E_jjS1G_bEUljE0_EEESZ_S10_S11_S18_S1C_S1E_T6_T7_T9_mT8_S1G_bDpT10_ENKUlT_T0_E_clISt17integral_constantIbLb1EES1T_IbLb0EEEEDaS1P_S1Q_EUlS1P_E_NS1_11comp_targetILNS1_3genE10ELNS1_11target_archE1200ELNS1_3gpuE4ELNS1_3repE0EEENS1_30default_config_static_selectorELNS0_4arch9wavefront6targetE0EEEvS12_.has_dyn_sized_stack, 0
	.set _ZN7rocprim17ROCPRIM_400000_NS6detail17trampoline_kernelINS0_13select_configILj256ELj13ELNS0_17block_load_methodE3ELS4_3ELS4_3ELNS0_20block_scan_algorithmE0ELj4294967295EEENS1_25partition_config_selectorILNS1_17partition_subalgoE4EjNS0_10empty_typeEbEEZZNS1_14partition_implILS8_4ELb0ES6_15HIP_vector_typeIjLj2EENS0_17counting_iteratorIjlEEPS9_SG_NS0_5tupleIJPjSI_NS0_16reverse_iteratorISI_EEEEENSH_IJSG_SG_SG_EEES9_SI_JZNS1_25segmented_radix_sort_implINS0_14default_configELb0EPKsPsPKlPlN2at6native12_GLOBAL__N_18offset_tEEE10hipError_tPvRmT1_PNSt15iterator_traitsIS12_E10value_typeET2_T3_PNS13_IS18_E10value_typeET4_jRbjT5_S1E_jjP12ihipStream_tbEUljE_ZNSN_ISO_Lb0ESQ_SR_ST_SU_SY_EESZ_S10_S11_S12_S16_S17_S18_S1B_S1C_jS1D_jS1E_S1E_jjS1G_bEUljE0_EEESZ_S10_S11_S18_S1C_S1E_T6_T7_T9_mT8_S1G_bDpT10_ENKUlT_T0_E_clISt17integral_constantIbLb1EES1T_IbLb0EEEEDaS1P_S1Q_EUlS1P_E_NS1_11comp_targetILNS1_3genE10ELNS1_11target_archE1200ELNS1_3gpuE4ELNS1_3repE0EEENS1_30default_config_static_selectorELNS0_4arch9wavefront6targetE0EEEvS12_.has_recursion, 0
	.set _ZN7rocprim17ROCPRIM_400000_NS6detail17trampoline_kernelINS0_13select_configILj256ELj13ELNS0_17block_load_methodE3ELS4_3ELS4_3ELNS0_20block_scan_algorithmE0ELj4294967295EEENS1_25partition_config_selectorILNS1_17partition_subalgoE4EjNS0_10empty_typeEbEEZZNS1_14partition_implILS8_4ELb0ES6_15HIP_vector_typeIjLj2EENS0_17counting_iteratorIjlEEPS9_SG_NS0_5tupleIJPjSI_NS0_16reverse_iteratorISI_EEEEENSH_IJSG_SG_SG_EEES9_SI_JZNS1_25segmented_radix_sort_implINS0_14default_configELb0EPKsPsPKlPlN2at6native12_GLOBAL__N_18offset_tEEE10hipError_tPvRmT1_PNSt15iterator_traitsIS12_E10value_typeET2_T3_PNS13_IS18_E10value_typeET4_jRbjT5_S1E_jjP12ihipStream_tbEUljE_ZNSN_ISO_Lb0ESQ_SR_ST_SU_SY_EESZ_S10_S11_S12_S16_S17_S18_S1B_S1C_jS1D_jS1E_S1E_jjS1G_bEUljE0_EEESZ_S10_S11_S18_S1C_S1E_T6_T7_T9_mT8_S1G_bDpT10_ENKUlT_T0_E_clISt17integral_constantIbLb1EES1T_IbLb0EEEEDaS1P_S1Q_EUlS1P_E_NS1_11comp_targetILNS1_3genE10ELNS1_11target_archE1200ELNS1_3gpuE4ELNS1_3repE0EEENS1_30default_config_static_selectorELNS0_4arch9wavefront6targetE0EEEvS12_.has_indirect_call, 0
	.section	.AMDGPU.csdata,"",@progbits
; Kernel info:
; codeLenInByte = 4
; TotalNumSgprs: 0
; NumVgprs: 0
; ScratchSize: 0
; MemoryBound: 0
; FloatMode: 240
; IeeeMode: 1
; LDSByteSize: 0 bytes/workgroup (compile time only)
; SGPRBlocks: 0
; VGPRBlocks: 0
; NumSGPRsForWavesPerEU: 1
; NumVGPRsForWavesPerEU: 1
; Occupancy: 16
; WaveLimiterHint : 0
; COMPUTE_PGM_RSRC2:SCRATCH_EN: 0
; COMPUTE_PGM_RSRC2:USER_SGPR: 2
; COMPUTE_PGM_RSRC2:TRAP_HANDLER: 0
; COMPUTE_PGM_RSRC2:TGID_X_EN: 1
; COMPUTE_PGM_RSRC2:TGID_Y_EN: 0
; COMPUTE_PGM_RSRC2:TGID_Z_EN: 0
; COMPUTE_PGM_RSRC2:TIDIG_COMP_CNT: 0
	.section	.text._ZN7rocprim17ROCPRIM_400000_NS6detail17trampoline_kernelINS0_13select_configILj256ELj13ELNS0_17block_load_methodE3ELS4_3ELS4_3ELNS0_20block_scan_algorithmE0ELj4294967295EEENS1_25partition_config_selectorILNS1_17partition_subalgoE4EjNS0_10empty_typeEbEEZZNS1_14partition_implILS8_4ELb0ES6_15HIP_vector_typeIjLj2EENS0_17counting_iteratorIjlEEPS9_SG_NS0_5tupleIJPjSI_NS0_16reverse_iteratorISI_EEEEENSH_IJSG_SG_SG_EEES9_SI_JZNS1_25segmented_radix_sort_implINS0_14default_configELb0EPKsPsPKlPlN2at6native12_GLOBAL__N_18offset_tEEE10hipError_tPvRmT1_PNSt15iterator_traitsIS12_E10value_typeET2_T3_PNS13_IS18_E10value_typeET4_jRbjT5_S1E_jjP12ihipStream_tbEUljE_ZNSN_ISO_Lb0ESQ_SR_ST_SU_SY_EESZ_S10_S11_S12_S16_S17_S18_S1B_S1C_jS1D_jS1E_S1E_jjS1G_bEUljE0_EEESZ_S10_S11_S18_S1C_S1E_T6_T7_T9_mT8_S1G_bDpT10_ENKUlT_T0_E_clISt17integral_constantIbLb1EES1T_IbLb0EEEEDaS1P_S1Q_EUlS1P_E_NS1_11comp_targetILNS1_3genE9ELNS1_11target_archE1100ELNS1_3gpuE3ELNS1_3repE0EEENS1_30default_config_static_selectorELNS0_4arch9wavefront6targetE0EEEvS12_,"axG",@progbits,_ZN7rocprim17ROCPRIM_400000_NS6detail17trampoline_kernelINS0_13select_configILj256ELj13ELNS0_17block_load_methodE3ELS4_3ELS4_3ELNS0_20block_scan_algorithmE0ELj4294967295EEENS1_25partition_config_selectorILNS1_17partition_subalgoE4EjNS0_10empty_typeEbEEZZNS1_14partition_implILS8_4ELb0ES6_15HIP_vector_typeIjLj2EENS0_17counting_iteratorIjlEEPS9_SG_NS0_5tupleIJPjSI_NS0_16reverse_iteratorISI_EEEEENSH_IJSG_SG_SG_EEES9_SI_JZNS1_25segmented_radix_sort_implINS0_14default_configELb0EPKsPsPKlPlN2at6native12_GLOBAL__N_18offset_tEEE10hipError_tPvRmT1_PNSt15iterator_traitsIS12_E10value_typeET2_T3_PNS13_IS18_E10value_typeET4_jRbjT5_S1E_jjP12ihipStream_tbEUljE_ZNSN_ISO_Lb0ESQ_SR_ST_SU_SY_EESZ_S10_S11_S12_S16_S17_S18_S1B_S1C_jS1D_jS1E_S1E_jjS1G_bEUljE0_EEESZ_S10_S11_S18_S1C_S1E_T6_T7_T9_mT8_S1G_bDpT10_ENKUlT_T0_E_clISt17integral_constantIbLb1EES1T_IbLb0EEEEDaS1P_S1Q_EUlS1P_E_NS1_11comp_targetILNS1_3genE9ELNS1_11target_archE1100ELNS1_3gpuE3ELNS1_3repE0EEENS1_30default_config_static_selectorELNS0_4arch9wavefront6targetE0EEEvS12_,comdat
	.globl	_ZN7rocprim17ROCPRIM_400000_NS6detail17trampoline_kernelINS0_13select_configILj256ELj13ELNS0_17block_load_methodE3ELS4_3ELS4_3ELNS0_20block_scan_algorithmE0ELj4294967295EEENS1_25partition_config_selectorILNS1_17partition_subalgoE4EjNS0_10empty_typeEbEEZZNS1_14partition_implILS8_4ELb0ES6_15HIP_vector_typeIjLj2EENS0_17counting_iteratorIjlEEPS9_SG_NS0_5tupleIJPjSI_NS0_16reverse_iteratorISI_EEEEENSH_IJSG_SG_SG_EEES9_SI_JZNS1_25segmented_radix_sort_implINS0_14default_configELb0EPKsPsPKlPlN2at6native12_GLOBAL__N_18offset_tEEE10hipError_tPvRmT1_PNSt15iterator_traitsIS12_E10value_typeET2_T3_PNS13_IS18_E10value_typeET4_jRbjT5_S1E_jjP12ihipStream_tbEUljE_ZNSN_ISO_Lb0ESQ_SR_ST_SU_SY_EESZ_S10_S11_S12_S16_S17_S18_S1B_S1C_jS1D_jS1E_S1E_jjS1G_bEUljE0_EEESZ_S10_S11_S18_S1C_S1E_T6_T7_T9_mT8_S1G_bDpT10_ENKUlT_T0_E_clISt17integral_constantIbLb1EES1T_IbLb0EEEEDaS1P_S1Q_EUlS1P_E_NS1_11comp_targetILNS1_3genE9ELNS1_11target_archE1100ELNS1_3gpuE3ELNS1_3repE0EEENS1_30default_config_static_selectorELNS0_4arch9wavefront6targetE0EEEvS12_ ; -- Begin function _ZN7rocprim17ROCPRIM_400000_NS6detail17trampoline_kernelINS0_13select_configILj256ELj13ELNS0_17block_load_methodE3ELS4_3ELS4_3ELNS0_20block_scan_algorithmE0ELj4294967295EEENS1_25partition_config_selectorILNS1_17partition_subalgoE4EjNS0_10empty_typeEbEEZZNS1_14partition_implILS8_4ELb0ES6_15HIP_vector_typeIjLj2EENS0_17counting_iteratorIjlEEPS9_SG_NS0_5tupleIJPjSI_NS0_16reverse_iteratorISI_EEEEENSH_IJSG_SG_SG_EEES9_SI_JZNS1_25segmented_radix_sort_implINS0_14default_configELb0EPKsPsPKlPlN2at6native12_GLOBAL__N_18offset_tEEE10hipError_tPvRmT1_PNSt15iterator_traitsIS12_E10value_typeET2_T3_PNS13_IS18_E10value_typeET4_jRbjT5_S1E_jjP12ihipStream_tbEUljE_ZNSN_ISO_Lb0ESQ_SR_ST_SU_SY_EESZ_S10_S11_S12_S16_S17_S18_S1B_S1C_jS1D_jS1E_S1E_jjS1G_bEUljE0_EEESZ_S10_S11_S18_S1C_S1E_T6_T7_T9_mT8_S1G_bDpT10_ENKUlT_T0_E_clISt17integral_constantIbLb1EES1T_IbLb0EEEEDaS1P_S1Q_EUlS1P_E_NS1_11comp_targetILNS1_3genE9ELNS1_11target_archE1100ELNS1_3gpuE3ELNS1_3repE0EEENS1_30default_config_static_selectorELNS0_4arch9wavefront6targetE0EEEvS12_
	.p2align	8
	.type	_ZN7rocprim17ROCPRIM_400000_NS6detail17trampoline_kernelINS0_13select_configILj256ELj13ELNS0_17block_load_methodE3ELS4_3ELS4_3ELNS0_20block_scan_algorithmE0ELj4294967295EEENS1_25partition_config_selectorILNS1_17partition_subalgoE4EjNS0_10empty_typeEbEEZZNS1_14partition_implILS8_4ELb0ES6_15HIP_vector_typeIjLj2EENS0_17counting_iteratorIjlEEPS9_SG_NS0_5tupleIJPjSI_NS0_16reverse_iteratorISI_EEEEENSH_IJSG_SG_SG_EEES9_SI_JZNS1_25segmented_radix_sort_implINS0_14default_configELb0EPKsPsPKlPlN2at6native12_GLOBAL__N_18offset_tEEE10hipError_tPvRmT1_PNSt15iterator_traitsIS12_E10value_typeET2_T3_PNS13_IS18_E10value_typeET4_jRbjT5_S1E_jjP12ihipStream_tbEUljE_ZNSN_ISO_Lb0ESQ_SR_ST_SU_SY_EESZ_S10_S11_S12_S16_S17_S18_S1B_S1C_jS1D_jS1E_S1E_jjS1G_bEUljE0_EEESZ_S10_S11_S18_S1C_S1E_T6_T7_T9_mT8_S1G_bDpT10_ENKUlT_T0_E_clISt17integral_constantIbLb1EES1T_IbLb0EEEEDaS1P_S1Q_EUlS1P_E_NS1_11comp_targetILNS1_3genE9ELNS1_11target_archE1100ELNS1_3gpuE3ELNS1_3repE0EEENS1_30default_config_static_selectorELNS0_4arch9wavefront6targetE0EEEvS12_,@function
_ZN7rocprim17ROCPRIM_400000_NS6detail17trampoline_kernelINS0_13select_configILj256ELj13ELNS0_17block_load_methodE3ELS4_3ELS4_3ELNS0_20block_scan_algorithmE0ELj4294967295EEENS1_25partition_config_selectorILNS1_17partition_subalgoE4EjNS0_10empty_typeEbEEZZNS1_14partition_implILS8_4ELb0ES6_15HIP_vector_typeIjLj2EENS0_17counting_iteratorIjlEEPS9_SG_NS0_5tupleIJPjSI_NS0_16reverse_iteratorISI_EEEEENSH_IJSG_SG_SG_EEES9_SI_JZNS1_25segmented_radix_sort_implINS0_14default_configELb0EPKsPsPKlPlN2at6native12_GLOBAL__N_18offset_tEEE10hipError_tPvRmT1_PNSt15iterator_traitsIS12_E10value_typeET2_T3_PNS13_IS18_E10value_typeET4_jRbjT5_S1E_jjP12ihipStream_tbEUljE_ZNSN_ISO_Lb0ESQ_SR_ST_SU_SY_EESZ_S10_S11_S12_S16_S17_S18_S1B_S1C_jS1D_jS1E_S1E_jjS1G_bEUljE0_EEESZ_S10_S11_S18_S1C_S1E_T6_T7_T9_mT8_S1G_bDpT10_ENKUlT_T0_E_clISt17integral_constantIbLb1EES1T_IbLb0EEEEDaS1P_S1Q_EUlS1P_E_NS1_11comp_targetILNS1_3genE9ELNS1_11target_archE1100ELNS1_3gpuE3ELNS1_3repE0EEENS1_30default_config_static_selectorELNS0_4arch9wavefront6targetE0EEEvS12_: ; @_ZN7rocprim17ROCPRIM_400000_NS6detail17trampoline_kernelINS0_13select_configILj256ELj13ELNS0_17block_load_methodE3ELS4_3ELS4_3ELNS0_20block_scan_algorithmE0ELj4294967295EEENS1_25partition_config_selectorILNS1_17partition_subalgoE4EjNS0_10empty_typeEbEEZZNS1_14partition_implILS8_4ELb0ES6_15HIP_vector_typeIjLj2EENS0_17counting_iteratorIjlEEPS9_SG_NS0_5tupleIJPjSI_NS0_16reverse_iteratorISI_EEEEENSH_IJSG_SG_SG_EEES9_SI_JZNS1_25segmented_radix_sort_implINS0_14default_configELb0EPKsPsPKlPlN2at6native12_GLOBAL__N_18offset_tEEE10hipError_tPvRmT1_PNSt15iterator_traitsIS12_E10value_typeET2_T3_PNS13_IS18_E10value_typeET4_jRbjT5_S1E_jjP12ihipStream_tbEUljE_ZNSN_ISO_Lb0ESQ_SR_ST_SU_SY_EESZ_S10_S11_S12_S16_S17_S18_S1B_S1C_jS1D_jS1E_S1E_jjS1G_bEUljE0_EEESZ_S10_S11_S18_S1C_S1E_T6_T7_T9_mT8_S1G_bDpT10_ENKUlT_T0_E_clISt17integral_constantIbLb1EES1T_IbLb0EEEEDaS1P_S1Q_EUlS1P_E_NS1_11comp_targetILNS1_3genE9ELNS1_11target_archE1100ELNS1_3gpuE3ELNS1_3repE0EEENS1_30default_config_static_selectorELNS0_4arch9wavefront6targetE0EEEvS12_
; %bb.0:
	.section	.rodata,"a",@progbits
	.p2align	6, 0x0
	.amdhsa_kernel _ZN7rocprim17ROCPRIM_400000_NS6detail17trampoline_kernelINS0_13select_configILj256ELj13ELNS0_17block_load_methodE3ELS4_3ELS4_3ELNS0_20block_scan_algorithmE0ELj4294967295EEENS1_25partition_config_selectorILNS1_17partition_subalgoE4EjNS0_10empty_typeEbEEZZNS1_14partition_implILS8_4ELb0ES6_15HIP_vector_typeIjLj2EENS0_17counting_iteratorIjlEEPS9_SG_NS0_5tupleIJPjSI_NS0_16reverse_iteratorISI_EEEEENSH_IJSG_SG_SG_EEES9_SI_JZNS1_25segmented_radix_sort_implINS0_14default_configELb0EPKsPsPKlPlN2at6native12_GLOBAL__N_18offset_tEEE10hipError_tPvRmT1_PNSt15iterator_traitsIS12_E10value_typeET2_T3_PNS13_IS18_E10value_typeET4_jRbjT5_S1E_jjP12ihipStream_tbEUljE_ZNSN_ISO_Lb0ESQ_SR_ST_SU_SY_EESZ_S10_S11_S12_S16_S17_S18_S1B_S1C_jS1D_jS1E_S1E_jjS1G_bEUljE0_EEESZ_S10_S11_S18_S1C_S1E_T6_T7_T9_mT8_S1G_bDpT10_ENKUlT_T0_E_clISt17integral_constantIbLb1EES1T_IbLb0EEEEDaS1P_S1Q_EUlS1P_E_NS1_11comp_targetILNS1_3genE9ELNS1_11target_archE1100ELNS1_3gpuE3ELNS1_3repE0EEENS1_30default_config_static_selectorELNS0_4arch9wavefront6targetE0EEEvS12_
		.amdhsa_group_segment_fixed_size 0
		.amdhsa_private_segment_fixed_size 0
		.amdhsa_kernarg_size 176
		.amdhsa_user_sgpr_count 2
		.amdhsa_user_sgpr_dispatch_ptr 0
		.amdhsa_user_sgpr_queue_ptr 0
		.amdhsa_user_sgpr_kernarg_segment_ptr 1
		.amdhsa_user_sgpr_dispatch_id 0
		.amdhsa_user_sgpr_private_segment_size 0
		.amdhsa_wavefront_size32 1
		.amdhsa_uses_dynamic_stack 0
		.amdhsa_enable_private_segment 0
		.amdhsa_system_sgpr_workgroup_id_x 1
		.amdhsa_system_sgpr_workgroup_id_y 0
		.amdhsa_system_sgpr_workgroup_id_z 0
		.amdhsa_system_sgpr_workgroup_info 0
		.amdhsa_system_vgpr_workitem_id 0
		.amdhsa_next_free_vgpr 1
		.amdhsa_next_free_sgpr 1
		.amdhsa_reserve_vcc 0
		.amdhsa_float_round_mode_32 0
		.amdhsa_float_round_mode_16_64 0
		.amdhsa_float_denorm_mode_32 3
		.amdhsa_float_denorm_mode_16_64 3
		.amdhsa_fp16_overflow 0
		.amdhsa_workgroup_processor_mode 1
		.amdhsa_memory_ordered 1
		.amdhsa_forward_progress 1
		.amdhsa_inst_pref_size 0
		.amdhsa_round_robin_scheduling 0
		.amdhsa_exception_fp_ieee_invalid_op 0
		.amdhsa_exception_fp_denorm_src 0
		.amdhsa_exception_fp_ieee_div_zero 0
		.amdhsa_exception_fp_ieee_overflow 0
		.amdhsa_exception_fp_ieee_underflow 0
		.amdhsa_exception_fp_ieee_inexact 0
		.amdhsa_exception_int_div_zero 0
	.end_amdhsa_kernel
	.section	.text._ZN7rocprim17ROCPRIM_400000_NS6detail17trampoline_kernelINS0_13select_configILj256ELj13ELNS0_17block_load_methodE3ELS4_3ELS4_3ELNS0_20block_scan_algorithmE0ELj4294967295EEENS1_25partition_config_selectorILNS1_17partition_subalgoE4EjNS0_10empty_typeEbEEZZNS1_14partition_implILS8_4ELb0ES6_15HIP_vector_typeIjLj2EENS0_17counting_iteratorIjlEEPS9_SG_NS0_5tupleIJPjSI_NS0_16reverse_iteratorISI_EEEEENSH_IJSG_SG_SG_EEES9_SI_JZNS1_25segmented_radix_sort_implINS0_14default_configELb0EPKsPsPKlPlN2at6native12_GLOBAL__N_18offset_tEEE10hipError_tPvRmT1_PNSt15iterator_traitsIS12_E10value_typeET2_T3_PNS13_IS18_E10value_typeET4_jRbjT5_S1E_jjP12ihipStream_tbEUljE_ZNSN_ISO_Lb0ESQ_SR_ST_SU_SY_EESZ_S10_S11_S12_S16_S17_S18_S1B_S1C_jS1D_jS1E_S1E_jjS1G_bEUljE0_EEESZ_S10_S11_S18_S1C_S1E_T6_T7_T9_mT8_S1G_bDpT10_ENKUlT_T0_E_clISt17integral_constantIbLb1EES1T_IbLb0EEEEDaS1P_S1Q_EUlS1P_E_NS1_11comp_targetILNS1_3genE9ELNS1_11target_archE1100ELNS1_3gpuE3ELNS1_3repE0EEENS1_30default_config_static_selectorELNS0_4arch9wavefront6targetE0EEEvS12_,"axG",@progbits,_ZN7rocprim17ROCPRIM_400000_NS6detail17trampoline_kernelINS0_13select_configILj256ELj13ELNS0_17block_load_methodE3ELS4_3ELS4_3ELNS0_20block_scan_algorithmE0ELj4294967295EEENS1_25partition_config_selectorILNS1_17partition_subalgoE4EjNS0_10empty_typeEbEEZZNS1_14partition_implILS8_4ELb0ES6_15HIP_vector_typeIjLj2EENS0_17counting_iteratorIjlEEPS9_SG_NS0_5tupleIJPjSI_NS0_16reverse_iteratorISI_EEEEENSH_IJSG_SG_SG_EEES9_SI_JZNS1_25segmented_radix_sort_implINS0_14default_configELb0EPKsPsPKlPlN2at6native12_GLOBAL__N_18offset_tEEE10hipError_tPvRmT1_PNSt15iterator_traitsIS12_E10value_typeET2_T3_PNS13_IS18_E10value_typeET4_jRbjT5_S1E_jjP12ihipStream_tbEUljE_ZNSN_ISO_Lb0ESQ_SR_ST_SU_SY_EESZ_S10_S11_S12_S16_S17_S18_S1B_S1C_jS1D_jS1E_S1E_jjS1G_bEUljE0_EEESZ_S10_S11_S18_S1C_S1E_T6_T7_T9_mT8_S1G_bDpT10_ENKUlT_T0_E_clISt17integral_constantIbLb1EES1T_IbLb0EEEEDaS1P_S1Q_EUlS1P_E_NS1_11comp_targetILNS1_3genE9ELNS1_11target_archE1100ELNS1_3gpuE3ELNS1_3repE0EEENS1_30default_config_static_selectorELNS0_4arch9wavefront6targetE0EEEvS12_,comdat
.Lfunc_end972:
	.size	_ZN7rocprim17ROCPRIM_400000_NS6detail17trampoline_kernelINS0_13select_configILj256ELj13ELNS0_17block_load_methodE3ELS4_3ELS4_3ELNS0_20block_scan_algorithmE0ELj4294967295EEENS1_25partition_config_selectorILNS1_17partition_subalgoE4EjNS0_10empty_typeEbEEZZNS1_14partition_implILS8_4ELb0ES6_15HIP_vector_typeIjLj2EENS0_17counting_iteratorIjlEEPS9_SG_NS0_5tupleIJPjSI_NS0_16reverse_iteratorISI_EEEEENSH_IJSG_SG_SG_EEES9_SI_JZNS1_25segmented_radix_sort_implINS0_14default_configELb0EPKsPsPKlPlN2at6native12_GLOBAL__N_18offset_tEEE10hipError_tPvRmT1_PNSt15iterator_traitsIS12_E10value_typeET2_T3_PNS13_IS18_E10value_typeET4_jRbjT5_S1E_jjP12ihipStream_tbEUljE_ZNSN_ISO_Lb0ESQ_SR_ST_SU_SY_EESZ_S10_S11_S12_S16_S17_S18_S1B_S1C_jS1D_jS1E_S1E_jjS1G_bEUljE0_EEESZ_S10_S11_S18_S1C_S1E_T6_T7_T9_mT8_S1G_bDpT10_ENKUlT_T0_E_clISt17integral_constantIbLb1EES1T_IbLb0EEEEDaS1P_S1Q_EUlS1P_E_NS1_11comp_targetILNS1_3genE9ELNS1_11target_archE1100ELNS1_3gpuE3ELNS1_3repE0EEENS1_30default_config_static_selectorELNS0_4arch9wavefront6targetE0EEEvS12_, .Lfunc_end972-_ZN7rocprim17ROCPRIM_400000_NS6detail17trampoline_kernelINS0_13select_configILj256ELj13ELNS0_17block_load_methodE3ELS4_3ELS4_3ELNS0_20block_scan_algorithmE0ELj4294967295EEENS1_25partition_config_selectorILNS1_17partition_subalgoE4EjNS0_10empty_typeEbEEZZNS1_14partition_implILS8_4ELb0ES6_15HIP_vector_typeIjLj2EENS0_17counting_iteratorIjlEEPS9_SG_NS0_5tupleIJPjSI_NS0_16reverse_iteratorISI_EEEEENSH_IJSG_SG_SG_EEES9_SI_JZNS1_25segmented_radix_sort_implINS0_14default_configELb0EPKsPsPKlPlN2at6native12_GLOBAL__N_18offset_tEEE10hipError_tPvRmT1_PNSt15iterator_traitsIS12_E10value_typeET2_T3_PNS13_IS18_E10value_typeET4_jRbjT5_S1E_jjP12ihipStream_tbEUljE_ZNSN_ISO_Lb0ESQ_SR_ST_SU_SY_EESZ_S10_S11_S12_S16_S17_S18_S1B_S1C_jS1D_jS1E_S1E_jjS1G_bEUljE0_EEESZ_S10_S11_S18_S1C_S1E_T6_T7_T9_mT8_S1G_bDpT10_ENKUlT_T0_E_clISt17integral_constantIbLb1EES1T_IbLb0EEEEDaS1P_S1Q_EUlS1P_E_NS1_11comp_targetILNS1_3genE9ELNS1_11target_archE1100ELNS1_3gpuE3ELNS1_3repE0EEENS1_30default_config_static_selectorELNS0_4arch9wavefront6targetE0EEEvS12_
                                        ; -- End function
	.set _ZN7rocprim17ROCPRIM_400000_NS6detail17trampoline_kernelINS0_13select_configILj256ELj13ELNS0_17block_load_methodE3ELS4_3ELS4_3ELNS0_20block_scan_algorithmE0ELj4294967295EEENS1_25partition_config_selectorILNS1_17partition_subalgoE4EjNS0_10empty_typeEbEEZZNS1_14partition_implILS8_4ELb0ES6_15HIP_vector_typeIjLj2EENS0_17counting_iteratorIjlEEPS9_SG_NS0_5tupleIJPjSI_NS0_16reverse_iteratorISI_EEEEENSH_IJSG_SG_SG_EEES9_SI_JZNS1_25segmented_radix_sort_implINS0_14default_configELb0EPKsPsPKlPlN2at6native12_GLOBAL__N_18offset_tEEE10hipError_tPvRmT1_PNSt15iterator_traitsIS12_E10value_typeET2_T3_PNS13_IS18_E10value_typeET4_jRbjT5_S1E_jjP12ihipStream_tbEUljE_ZNSN_ISO_Lb0ESQ_SR_ST_SU_SY_EESZ_S10_S11_S12_S16_S17_S18_S1B_S1C_jS1D_jS1E_S1E_jjS1G_bEUljE0_EEESZ_S10_S11_S18_S1C_S1E_T6_T7_T9_mT8_S1G_bDpT10_ENKUlT_T0_E_clISt17integral_constantIbLb1EES1T_IbLb0EEEEDaS1P_S1Q_EUlS1P_E_NS1_11comp_targetILNS1_3genE9ELNS1_11target_archE1100ELNS1_3gpuE3ELNS1_3repE0EEENS1_30default_config_static_selectorELNS0_4arch9wavefront6targetE0EEEvS12_.num_vgpr, 0
	.set _ZN7rocprim17ROCPRIM_400000_NS6detail17trampoline_kernelINS0_13select_configILj256ELj13ELNS0_17block_load_methodE3ELS4_3ELS4_3ELNS0_20block_scan_algorithmE0ELj4294967295EEENS1_25partition_config_selectorILNS1_17partition_subalgoE4EjNS0_10empty_typeEbEEZZNS1_14partition_implILS8_4ELb0ES6_15HIP_vector_typeIjLj2EENS0_17counting_iteratorIjlEEPS9_SG_NS0_5tupleIJPjSI_NS0_16reverse_iteratorISI_EEEEENSH_IJSG_SG_SG_EEES9_SI_JZNS1_25segmented_radix_sort_implINS0_14default_configELb0EPKsPsPKlPlN2at6native12_GLOBAL__N_18offset_tEEE10hipError_tPvRmT1_PNSt15iterator_traitsIS12_E10value_typeET2_T3_PNS13_IS18_E10value_typeET4_jRbjT5_S1E_jjP12ihipStream_tbEUljE_ZNSN_ISO_Lb0ESQ_SR_ST_SU_SY_EESZ_S10_S11_S12_S16_S17_S18_S1B_S1C_jS1D_jS1E_S1E_jjS1G_bEUljE0_EEESZ_S10_S11_S18_S1C_S1E_T6_T7_T9_mT8_S1G_bDpT10_ENKUlT_T0_E_clISt17integral_constantIbLb1EES1T_IbLb0EEEEDaS1P_S1Q_EUlS1P_E_NS1_11comp_targetILNS1_3genE9ELNS1_11target_archE1100ELNS1_3gpuE3ELNS1_3repE0EEENS1_30default_config_static_selectorELNS0_4arch9wavefront6targetE0EEEvS12_.num_agpr, 0
	.set _ZN7rocprim17ROCPRIM_400000_NS6detail17trampoline_kernelINS0_13select_configILj256ELj13ELNS0_17block_load_methodE3ELS4_3ELS4_3ELNS0_20block_scan_algorithmE0ELj4294967295EEENS1_25partition_config_selectorILNS1_17partition_subalgoE4EjNS0_10empty_typeEbEEZZNS1_14partition_implILS8_4ELb0ES6_15HIP_vector_typeIjLj2EENS0_17counting_iteratorIjlEEPS9_SG_NS0_5tupleIJPjSI_NS0_16reverse_iteratorISI_EEEEENSH_IJSG_SG_SG_EEES9_SI_JZNS1_25segmented_radix_sort_implINS0_14default_configELb0EPKsPsPKlPlN2at6native12_GLOBAL__N_18offset_tEEE10hipError_tPvRmT1_PNSt15iterator_traitsIS12_E10value_typeET2_T3_PNS13_IS18_E10value_typeET4_jRbjT5_S1E_jjP12ihipStream_tbEUljE_ZNSN_ISO_Lb0ESQ_SR_ST_SU_SY_EESZ_S10_S11_S12_S16_S17_S18_S1B_S1C_jS1D_jS1E_S1E_jjS1G_bEUljE0_EEESZ_S10_S11_S18_S1C_S1E_T6_T7_T9_mT8_S1G_bDpT10_ENKUlT_T0_E_clISt17integral_constantIbLb1EES1T_IbLb0EEEEDaS1P_S1Q_EUlS1P_E_NS1_11comp_targetILNS1_3genE9ELNS1_11target_archE1100ELNS1_3gpuE3ELNS1_3repE0EEENS1_30default_config_static_selectorELNS0_4arch9wavefront6targetE0EEEvS12_.numbered_sgpr, 0
	.set _ZN7rocprim17ROCPRIM_400000_NS6detail17trampoline_kernelINS0_13select_configILj256ELj13ELNS0_17block_load_methodE3ELS4_3ELS4_3ELNS0_20block_scan_algorithmE0ELj4294967295EEENS1_25partition_config_selectorILNS1_17partition_subalgoE4EjNS0_10empty_typeEbEEZZNS1_14partition_implILS8_4ELb0ES6_15HIP_vector_typeIjLj2EENS0_17counting_iteratorIjlEEPS9_SG_NS0_5tupleIJPjSI_NS0_16reverse_iteratorISI_EEEEENSH_IJSG_SG_SG_EEES9_SI_JZNS1_25segmented_radix_sort_implINS0_14default_configELb0EPKsPsPKlPlN2at6native12_GLOBAL__N_18offset_tEEE10hipError_tPvRmT1_PNSt15iterator_traitsIS12_E10value_typeET2_T3_PNS13_IS18_E10value_typeET4_jRbjT5_S1E_jjP12ihipStream_tbEUljE_ZNSN_ISO_Lb0ESQ_SR_ST_SU_SY_EESZ_S10_S11_S12_S16_S17_S18_S1B_S1C_jS1D_jS1E_S1E_jjS1G_bEUljE0_EEESZ_S10_S11_S18_S1C_S1E_T6_T7_T9_mT8_S1G_bDpT10_ENKUlT_T0_E_clISt17integral_constantIbLb1EES1T_IbLb0EEEEDaS1P_S1Q_EUlS1P_E_NS1_11comp_targetILNS1_3genE9ELNS1_11target_archE1100ELNS1_3gpuE3ELNS1_3repE0EEENS1_30default_config_static_selectorELNS0_4arch9wavefront6targetE0EEEvS12_.num_named_barrier, 0
	.set _ZN7rocprim17ROCPRIM_400000_NS6detail17trampoline_kernelINS0_13select_configILj256ELj13ELNS0_17block_load_methodE3ELS4_3ELS4_3ELNS0_20block_scan_algorithmE0ELj4294967295EEENS1_25partition_config_selectorILNS1_17partition_subalgoE4EjNS0_10empty_typeEbEEZZNS1_14partition_implILS8_4ELb0ES6_15HIP_vector_typeIjLj2EENS0_17counting_iteratorIjlEEPS9_SG_NS0_5tupleIJPjSI_NS0_16reverse_iteratorISI_EEEEENSH_IJSG_SG_SG_EEES9_SI_JZNS1_25segmented_radix_sort_implINS0_14default_configELb0EPKsPsPKlPlN2at6native12_GLOBAL__N_18offset_tEEE10hipError_tPvRmT1_PNSt15iterator_traitsIS12_E10value_typeET2_T3_PNS13_IS18_E10value_typeET4_jRbjT5_S1E_jjP12ihipStream_tbEUljE_ZNSN_ISO_Lb0ESQ_SR_ST_SU_SY_EESZ_S10_S11_S12_S16_S17_S18_S1B_S1C_jS1D_jS1E_S1E_jjS1G_bEUljE0_EEESZ_S10_S11_S18_S1C_S1E_T6_T7_T9_mT8_S1G_bDpT10_ENKUlT_T0_E_clISt17integral_constantIbLb1EES1T_IbLb0EEEEDaS1P_S1Q_EUlS1P_E_NS1_11comp_targetILNS1_3genE9ELNS1_11target_archE1100ELNS1_3gpuE3ELNS1_3repE0EEENS1_30default_config_static_selectorELNS0_4arch9wavefront6targetE0EEEvS12_.private_seg_size, 0
	.set _ZN7rocprim17ROCPRIM_400000_NS6detail17trampoline_kernelINS0_13select_configILj256ELj13ELNS0_17block_load_methodE3ELS4_3ELS4_3ELNS0_20block_scan_algorithmE0ELj4294967295EEENS1_25partition_config_selectorILNS1_17partition_subalgoE4EjNS0_10empty_typeEbEEZZNS1_14partition_implILS8_4ELb0ES6_15HIP_vector_typeIjLj2EENS0_17counting_iteratorIjlEEPS9_SG_NS0_5tupleIJPjSI_NS0_16reverse_iteratorISI_EEEEENSH_IJSG_SG_SG_EEES9_SI_JZNS1_25segmented_radix_sort_implINS0_14default_configELb0EPKsPsPKlPlN2at6native12_GLOBAL__N_18offset_tEEE10hipError_tPvRmT1_PNSt15iterator_traitsIS12_E10value_typeET2_T3_PNS13_IS18_E10value_typeET4_jRbjT5_S1E_jjP12ihipStream_tbEUljE_ZNSN_ISO_Lb0ESQ_SR_ST_SU_SY_EESZ_S10_S11_S12_S16_S17_S18_S1B_S1C_jS1D_jS1E_S1E_jjS1G_bEUljE0_EEESZ_S10_S11_S18_S1C_S1E_T6_T7_T9_mT8_S1G_bDpT10_ENKUlT_T0_E_clISt17integral_constantIbLb1EES1T_IbLb0EEEEDaS1P_S1Q_EUlS1P_E_NS1_11comp_targetILNS1_3genE9ELNS1_11target_archE1100ELNS1_3gpuE3ELNS1_3repE0EEENS1_30default_config_static_selectorELNS0_4arch9wavefront6targetE0EEEvS12_.uses_vcc, 0
	.set _ZN7rocprim17ROCPRIM_400000_NS6detail17trampoline_kernelINS0_13select_configILj256ELj13ELNS0_17block_load_methodE3ELS4_3ELS4_3ELNS0_20block_scan_algorithmE0ELj4294967295EEENS1_25partition_config_selectorILNS1_17partition_subalgoE4EjNS0_10empty_typeEbEEZZNS1_14partition_implILS8_4ELb0ES6_15HIP_vector_typeIjLj2EENS0_17counting_iteratorIjlEEPS9_SG_NS0_5tupleIJPjSI_NS0_16reverse_iteratorISI_EEEEENSH_IJSG_SG_SG_EEES9_SI_JZNS1_25segmented_radix_sort_implINS0_14default_configELb0EPKsPsPKlPlN2at6native12_GLOBAL__N_18offset_tEEE10hipError_tPvRmT1_PNSt15iterator_traitsIS12_E10value_typeET2_T3_PNS13_IS18_E10value_typeET4_jRbjT5_S1E_jjP12ihipStream_tbEUljE_ZNSN_ISO_Lb0ESQ_SR_ST_SU_SY_EESZ_S10_S11_S12_S16_S17_S18_S1B_S1C_jS1D_jS1E_S1E_jjS1G_bEUljE0_EEESZ_S10_S11_S18_S1C_S1E_T6_T7_T9_mT8_S1G_bDpT10_ENKUlT_T0_E_clISt17integral_constantIbLb1EES1T_IbLb0EEEEDaS1P_S1Q_EUlS1P_E_NS1_11comp_targetILNS1_3genE9ELNS1_11target_archE1100ELNS1_3gpuE3ELNS1_3repE0EEENS1_30default_config_static_selectorELNS0_4arch9wavefront6targetE0EEEvS12_.uses_flat_scratch, 0
	.set _ZN7rocprim17ROCPRIM_400000_NS6detail17trampoline_kernelINS0_13select_configILj256ELj13ELNS0_17block_load_methodE3ELS4_3ELS4_3ELNS0_20block_scan_algorithmE0ELj4294967295EEENS1_25partition_config_selectorILNS1_17partition_subalgoE4EjNS0_10empty_typeEbEEZZNS1_14partition_implILS8_4ELb0ES6_15HIP_vector_typeIjLj2EENS0_17counting_iteratorIjlEEPS9_SG_NS0_5tupleIJPjSI_NS0_16reverse_iteratorISI_EEEEENSH_IJSG_SG_SG_EEES9_SI_JZNS1_25segmented_radix_sort_implINS0_14default_configELb0EPKsPsPKlPlN2at6native12_GLOBAL__N_18offset_tEEE10hipError_tPvRmT1_PNSt15iterator_traitsIS12_E10value_typeET2_T3_PNS13_IS18_E10value_typeET4_jRbjT5_S1E_jjP12ihipStream_tbEUljE_ZNSN_ISO_Lb0ESQ_SR_ST_SU_SY_EESZ_S10_S11_S12_S16_S17_S18_S1B_S1C_jS1D_jS1E_S1E_jjS1G_bEUljE0_EEESZ_S10_S11_S18_S1C_S1E_T6_T7_T9_mT8_S1G_bDpT10_ENKUlT_T0_E_clISt17integral_constantIbLb1EES1T_IbLb0EEEEDaS1P_S1Q_EUlS1P_E_NS1_11comp_targetILNS1_3genE9ELNS1_11target_archE1100ELNS1_3gpuE3ELNS1_3repE0EEENS1_30default_config_static_selectorELNS0_4arch9wavefront6targetE0EEEvS12_.has_dyn_sized_stack, 0
	.set _ZN7rocprim17ROCPRIM_400000_NS6detail17trampoline_kernelINS0_13select_configILj256ELj13ELNS0_17block_load_methodE3ELS4_3ELS4_3ELNS0_20block_scan_algorithmE0ELj4294967295EEENS1_25partition_config_selectorILNS1_17partition_subalgoE4EjNS0_10empty_typeEbEEZZNS1_14partition_implILS8_4ELb0ES6_15HIP_vector_typeIjLj2EENS0_17counting_iteratorIjlEEPS9_SG_NS0_5tupleIJPjSI_NS0_16reverse_iteratorISI_EEEEENSH_IJSG_SG_SG_EEES9_SI_JZNS1_25segmented_radix_sort_implINS0_14default_configELb0EPKsPsPKlPlN2at6native12_GLOBAL__N_18offset_tEEE10hipError_tPvRmT1_PNSt15iterator_traitsIS12_E10value_typeET2_T3_PNS13_IS18_E10value_typeET4_jRbjT5_S1E_jjP12ihipStream_tbEUljE_ZNSN_ISO_Lb0ESQ_SR_ST_SU_SY_EESZ_S10_S11_S12_S16_S17_S18_S1B_S1C_jS1D_jS1E_S1E_jjS1G_bEUljE0_EEESZ_S10_S11_S18_S1C_S1E_T6_T7_T9_mT8_S1G_bDpT10_ENKUlT_T0_E_clISt17integral_constantIbLb1EES1T_IbLb0EEEEDaS1P_S1Q_EUlS1P_E_NS1_11comp_targetILNS1_3genE9ELNS1_11target_archE1100ELNS1_3gpuE3ELNS1_3repE0EEENS1_30default_config_static_selectorELNS0_4arch9wavefront6targetE0EEEvS12_.has_recursion, 0
	.set _ZN7rocprim17ROCPRIM_400000_NS6detail17trampoline_kernelINS0_13select_configILj256ELj13ELNS0_17block_load_methodE3ELS4_3ELS4_3ELNS0_20block_scan_algorithmE0ELj4294967295EEENS1_25partition_config_selectorILNS1_17partition_subalgoE4EjNS0_10empty_typeEbEEZZNS1_14partition_implILS8_4ELb0ES6_15HIP_vector_typeIjLj2EENS0_17counting_iteratorIjlEEPS9_SG_NS0_5tupleIJPjSI_NS0_16reverse_iteratorISI_EEEEENSH_IJSG_SG_SG_EEES9_SI_JZNS1_25segmented_radix_sort_implINS0_14default_configELb0EPKsPsPKlPlN2at6native12_GLOBAL__N_18offset_tEEE10hipError_tPvRmT1_PNSt15iterator_traitsIS12_E10value_typeET2_T3_PNS13_IS18_E10value_typeET4_jRbjT5_S1E_jjP12ihipStream_tbEUljE_ZNSN_ISO_Lb0ESQ_SR_ST_SU_SY_EESZ_S10_S11_S12_S16_S17_S18_S1B_S1C_jS1D_jS1E_S1E_jjS1G_bEUljE0_EEESZ_S10_S11_S18_S1C_S1E_T6_T7_T9_mT8_S1G_bDpT10_ENKUlT_T0_E_clISt17integral_constantIbLb1EES1T_IbLb0EEEEDaS1P_S1Q_EUlS1P_E_NS1_11comp_targetILNS1_3genE9ELNS1_11target_archE1100ELNS1_3gpuE3ELNS1_3repE0EEENS1_30default_config_static_selectorELNS0_4arch9wavefront6targetE0EEEvS12_.has_indirect_call, 0
	.section	.AMDGPU.csdata,"",@progbits
; Kernel info:
; codeLenInByte = 0
; TotalNumSgprs: 0
; NumVgprs: 0
; ScratchSize: 0
; MemoryBound: 0
; FloatMode: 240
; IeeeMode: 1
; LDSByteSize: 0 bytes/workgroup (compile time only)
; SGPRBlocks: 0
; VGPRBlocks: 0
; NumSGPRsForWavesPerEU: 1
; NumVGPRsForWavesPerEU: 1
; Occupancy: 16
; WaveLimiterHint : 0
; COMPUTE_PGM_RSRC2:SCRATCH_EN: 0
; COMPUTE_PGM_RSRC2:USER_SGPR: 2
; COMPUTE_PGM_RSRC2:TRAP_HANDLER: 0
; COMPUTE_PGM_RSRC2:TGID_X_EN: 1
; COMPUTE_PGM_RSRC2:TGID_Y_EN: 0
; COMPUTE_PGM_RSRC2:TGID_Z_EN: 0
; COMPUTE_PGM_RSRC2:TIDIG_COMP_CNT: 0
	.section	.text._ZN7rocprim17ROCPRIM_400000_NS6detail17trampoline_kernelINS0_13select_configILj256ELj13ELNS0_17block_load_methodE3ELS4_3ELS4_3ELNS0_20block_scan_algorithmE0ELj4294967295EEENS1_25partition_config_selectorILNS1_17partition_subalgoE4EjNS0_10empty_typeEbEEZZNS1_14partition_implILS8_4ELb0ES6_15HIP_vector_typeIjLj2EENS0_17counting_iteratorIjlEEPS9_SG_NS0_5tupleIJPjSI_NS0_16reverse_iteratorISI_EEEEENSH_IJSG_SG_SG_EEES9_SI_JZNS1_25segmented_radix_sort_implINS0_14default_configELb0EPKsPsPKlPlN2at6native12_GLOBAL__N_18offset_tEEE10hipError_tPvRmT1_PNSt15iterator_traitsIS12_E10value_typeET2_T3_PNS13_IS18_E10value_typeET4_jRbjT5_S1E_jjP12ihipStream_tbEUljE_ZNSN_ISO_Lb0ESQ_SR_ST_SU_SY_EESZ_S10_S11_S12_S16_S17_S18_S1B_S1C_jS1D_jS1E_S1E_jjS1G_bEUljE0_EEESZ_S10_S11_S18_S1C_S1E_T6_T7_T9_mT8_S1G_bDpT10_ENKUlT_T0_E_clISt17integral_constantIbLb1EES1T_IbLb0EEEEDaS1P_S1Q_EUlS1P_E_NS1_11comp_targetILNS1_3genE8ELNS1_11target_archE1030ELNS1_3gpuE2ELNS1_3repE0EEENS1_30default_config_static_selectorELNS0_4arch9wavefront6targetE0EEEvS12_,"axG",@progbits,_ZN7rocprim17ROCPRIM_400000_NS6detail17trampoline_kernelINS0_13select_configILj256ELj13ELNS0_17block_load_methodE3ELS4_3ELS4_3ELNS0_20block_scan_algorithmE0ELj4294967295EEENS1_25partition_config_selectorILNS1_17partition_subalgoE4EjNS0_10empty_typeEbEEZZNS1_14partition_implILS8_4ELb0ES6_15HIP_vector_typeIjLj2EENS0_17counting_iteratorIjlEEPS9_SG_NS0_5tupleIJPjSI_NS0_16reverse_iteratorISI_EEEEENSH_IJSG_SG_SG_EEES9_SI_JZNS1_25segmented_radix_sort_implINS0_14default_configELb0EPKsPsPKlPlN2at6native12_GLOBAL__N_18offset_tEEE10hipError_tPvRmT1_PNSt15iterator_traitsIS12_E10value_typeET2_T3_PNS13_IS18_E10value_typeET4_jRbjT5_S1E_jjP12ihipStream_tbEUljE_ZNSN_ISO_Lb0ESQ_SR_ST_SU_SY_EESZ_S10_S11_S12_S16_S17_S18_S1B_S1C_jS1D_jS1E_S1E_jjS1G_bEUljE0_EEESZ_S10_S11_S18_S1C_S1E_T6_T7_T9_mT8_S1G_bDpT10_ENKUlT_T0_E_clISt17integral_constantIbLb1EES1T_IbLb0EEEEDaS1P_S1Q_EUlS1P_E_NS1_11comp_targetILNS1_3genE8ELNS1_11target_archE1030ELNS1_3gpuE2ELNS1_3repE0EEENS1_30default_config_static_selectorELNS0_4arch9wavefront6targetE0EEEvS12_,comdat
	.globl	_ZN7rocprim17ROCPRIM_400000_NS6detail17trampoline_kernelINS0_13select_configILj256ELj13ELNS0_17block_load_methodE3ELS4_3ELS4_3ELNS0_20block_scan_algorithmE0ELj4294967295EEENS1_25partition_config_selectorILNS1_17partition_subalgoE4EjNS0_10empty_typeEbEEZZNS1_14partition_implILS8_4ELb0ES6_15HIP_vector_typeIjLj2EENS0_17counting_iteratorIjlEEPS9_SG_NS0_5tupleIJPjSI_NS0_16reverse_iteratorISI_EEEEENSH_IJSG_SG_SG_EEES9_SI_JZNS1_25segmented_radix_sort_implINS0_14default_configELb0EPKsPsPKlPlN2at6native12_GLOBAL__N_18offset_tEEE10hipError_tPvRmT1_PNSt15iterator_traitsIS12_E10value_typeET2_T3_PNS13_IS18_E10value_typeET4_jRbjT5_S1E_jjP12ihipStream_tbEUljE_ZNSN_ISO_Lb0ESQ_SR_ST_SU_SY_EESZ_S10_S11_S12_S16_S17_S18_S1B_S1C_jS1D_jS1E_S1E_jjS1G_bEUljE0_EEESZ_S10_S11_S18_S1C_S1E_T6_T7_T9_mT8_S1G_bDpT10_ENKUlT_T0_E_clISt17integral_constantIbLb1EES1T_IbLb0EEEEDaS1P_S1Q_EUlS1P_E_NS1_11comp_targetILNS1_3genE8ELNS1_11target_archE1030ELNS1_3gpuE2ELNS1_3repE0EEENS1_30default_config_static_selectorELNS0_4arch9wavefront6targetE0EEEvS12_ ; -- Begin function _ZN7rocprim17ROCPRIM_400000_NS6detail17trampoline_kernelINS0_13select_configILj256ELj13ELNS0_17block_load_methodE3ELS4_3ELS4_3ELNS0_20block_scan_algorithmE0ELj4294967295EEENS1_25partition_config_selectorILNS1_17partition_subalgoE4EjNS0_10empty_typeEbEEZZNS1_14partition_implILS8_4ELb0ES6_15HIP_vector_typeIjLj2EENS0_17counting_iteratorIjlEEPS9_SG_NS0_5tupleIJPjSI_NS0_16reverse_iteratorISI_EEEEENSH_IJSG_SG_SG_EEES9_SI_JZNS1_25segmented_radix_sort_implINS0_14default_configELb0EPKsPsPKlPlN2at6native12_GLOBAL__N_18offset_tEEE10hipError_tPvRmT1_PNSt15iterator_traitsIS12_E10value_typeET2_T3_PNS13_IS18_E10value_typeET4_jRbjT5_S1E_jjP12ihipStream_tbEUljE_ZNSN_ISO_Lb0ESQ_SR_ST_SU_SY_EESZ_S10_S11_S12_S16_S17_S18_S1B_S1C_jS1D_jS1E_S1E_jjS1G_bEUljE0_EEESZ_S10_S11_S18_S1C_S1E_T6_T7_T9_mT8_S1G_bDpT10_ENKUlT_T0_E_clISt17integral_constantIbLb1EES1T_IbLb0EEEEDaS1P_S1Q_EUlS1P_E_NS1_11comp_targetILNS1_3genE8ELNS1_11target_archE1030ELNS1_3gpuE2ELNS1_3repE0EEENS1_30default_config_static_selectorELNS0_4arch9wavefront6targetE0EEEvS12_
	.p2align	8
	.type	_ZN7rocprim17ROCPRIM_400000_NS6detail17trampoline_kernelINS0_13select_configILj256ELj13ELNS0_17block_load_methodE3ELS4_3ELS4_3ELNS0_20block_scan_algorithmE0ELj4294967295EEENS1_25partition_config_selectorILNS1_17partition_subalgoE4EjNS0_10empty_typeEbEEZZNS1_14partition_implILS8_4ELb0ES6_15HIP_vector_typeIjLj2EENS0_17counting_iteratorIjlEEPS9_SG_NS0_5tupleIJPjSI_NS0_16reverse_iteratorISI_EEEEENSH_IJSG_SG_SG_EEES9_SI_JZNS1_25segmented_radix_sort_implINS0_14default_configELb0EPKsPsPKlPlN2at6native12_GLOBAL__N_18offset_tEEE10hipError_tPvRmT1_PNSt15iterator_traitsIS12_E10value_typeET2_T3_PNS13_IS18_E10value_typeET4_jRbjT5_S1E_jjP12ihipStream_tbEUljE_ZNSN_ISO_Lb0ESQ_SR_ST_SU_SY_EESZ_S10_S11_S12_S16_S17_S18_S1B_S1C_jS1D_jS1E_S1E_jjS1G_bEUljE0_EEESZ_S10_S11_S18_S1C_S1E_T6_T7_T9_mT8_S1G_bDpT10_ENKUlT_T0_E_clISt17integral_constantIbLb1EES1T_IbLb0EEEEDaS1P_S1Q_EUlS1P_E_NS1_11comp_targetILNS1_3genE8ELNS1_11target_archE1030ELNS1_3gpuE2ELNS1_3repE0EEENS1_30default_config_static_selectorELNS0_4arch9wavefront6targetE0EEEvS12_,@function
_ZN7rocprim17ROCPRIM_400000_NS6detail17trampoline_kernelINS0_13select_configILj256ELj13ELNS0_17block_load_methodE3ELS4_3ELS4_3ELNS0_20block_scan_algorithmE0ELj4294967295EEENS1_25partition_config_selectorILNS1_17partition_subalgoE4EjNS0_10empty_typeEbEEZZNS1_14partition_implILS8_4ELb0ES6_15HIP_vector_typeIjLj2EENS0_17counting_iteratorIjlEEPS9_SG_NS0_5tupleIJPjSI_NS0_16reverse_iteratorISI_EEEEENSH_IJSG_SG_SG_EEES9_SI_JZNS1_25segmented_radix_sort_implINS0_14default_configELb0EPKsPsPKlPlN2at6native12_GLOBAL__N_18offset_tEEE10hipError_tPvRmT1_PNSt15iterator_traitsIS12_E10value_typeET2_T3_PNS13_IS18_E10value_typeET4_jRbjT5_S1E_jjP12ihipStream_tbEUljE_ZNSN_ISO_Lb0ESQ_SR_ST_SU_SY_EESZ_S10_S11_S12_S16_S17_S18_S1B_S1C_jS1D_jS1E_S1E_jjS1G_bEUljE0_EEESZ_S10_S11_S18_S1C_S1E_T6_T7_T9_mT8_S1G_bDpT10_ENKUlT_T0_E_clISt17integral_constantIbLb1EES1T_IbLb0EEEEDaS1P_S1Q_EUlS1P_E_NS1_11comp_targetILNS1_3genE8ELNS1_11target_archE1030ELNS1_3gpuE2ELNS1_3repE0EEENS1_30default_config_static_selectorELNS0_4arch9wavefront6targetE0EEEvS12_: ; @_ZN7rocprim17ROCPRIM_400000_NS6detail17trampoline_kernelINS0_13select_configILj256ELj13ELNS0_17block_load_methodE3ELS4_3ELS4_3ELNS0_20block_scan_algorithmE0ELj4294967295EEENS1_25partition_config_selectorILNS1_17partition_subalgoE4EjNS0_10empty_typeEbEEZZNS1_14partition_implILS8_4ELb0ES6_15HIP_vector_typeIjLj2EENS0_17counting_iteratorIjlEEPS9_SG_NS0_5tupleIJPjSI_NS0_16reverse_iteratorISI_EEEEENSH_IJSG_SG_SG_EEES9_SI_JZNS1_25segmented_radix_sort_implINS0_14default_configELb0EPKsPsPKlPlN2at6native12_GLOBAL__N_18offset_tEEE10hipError_tPvRmT1_PNSt15iterator_traitsIS12_E10value_typeET2_T3_PNS13_IS18_E10value_typeET4_jRbjT5_S1E_jjP12ihipStream_tbEUljE_ZNSN_ISO_Lb0ESQ_SR_ST_SU_SY_EESZ_S10_S11_S12_S16_S17_S18_S1B_S1C_jS1D_jS1E_S1E_jjS1G_bEUljE0_EEESZ_S10_S11_S18_S1C_S1E_T6_T7_T9_mT8_S1G_bDpT10_ENKUlT_T0_E_clISt17integral_constantIbLb1EES1T_IbLb0EEEEDaS1P_S1Q_EUlS1P_E_NS1_11comp_targetILNS1_3genE8ELNS1_11target_archE1030ELNS1_3gpuE2ELNS1_3repE0EEENS1_30default_config_static_selectorELNS0_4arch9wavefront6targetE0EEEvS12_
; %bb.0:
	.section	.rodata,"a",@progbits
	.p2align	6, 0x0
	.amdhsa_kernel _ZN7rocprim17ROCPRIM_400000_NS6detail17trampoline_kernelINS0_13select_configILj256ELj13ELNS0_17block_load_methodE3ELS4_3ELS4_3ELNS0_20block_scan_algorithmE0ELj4294967295EEENS1_25partition_config_selectorILNS1_17partition_subalgoE4EjNS0_10empty_typeEbEEZZNS1_14partition_implILS8_4ELb0ES6_15HIP_vector_typeIjLj2EENS0_17counting_iteratorIjlEEPS9_SG_NS0_5tupleIJPjSI_NS0_16reverse_iteratorISI_EEEEENSH_IJSG_SG_SG_EEES9_SI_JZNS1_25segmented_radix_sort_implINS0_14default_configELb0EPKsPsPKlPlN2at6native12_GLOBAL__N_18offset_tEEE10hipError_tPvRmT1_PNSt15iterator_traitsIS12_E10value_typeET2_T3_PNS13_IS18_E10value_typeET4_jRbjT5_S1E_jjP12ihipStream_tbEUljE_ZNSN_ISO_Lb0ESQ_SR_ST_SU_SY_EESZ_S10_S11_S12_S16_S17_S18_S1B_S1C_jS1D_jS1E_S1E_jjS1G_bEUljE0_EEESZ_S10_S11_S18_S1C_S1E_T6_T7_T9_mT8_S1G_bDpT10_ENKUlT_T0_E_clISt17integral_constantIbLb1EES1T_IbLb0EEEEDaS1P_S1Q_EUlS1P_E_NS1_11comp_targetILNS1_3genE8ELNS1_11target_archE1030ELNS1_3gpuE2ELNS1_3repE0EEENS1_30default_config_static_selectorELNS0_4arch9wavefront6targetE0EEEvS12_
		.amdhsa_group_segment_fixed_size 0
		.amdhsa_private_segment_fixed_size 0
		.amdhsa_kernarg_size 176
		.amdhsa_user_sgpr_count 2
		.amdhsa_user_sgpr_dispatch_ptr 0
		.amdhsa_user_sgpr_queue_ptr 0
		.amdhsa_user_sgpr_kernarg_segment_ptr 1
		.amdhsa_user_sgpr_dispatch_id 0
		.amdhsa_user_sgpr_private_segment_size 0
		.amdhsa_wavefront_size32 1
		.amdhsa_uses_dynamic_stack 0
		.amdhsa_enable_private_segment 0
		.amdhsa_system_sgpr_workgroup_id_x 1
		.amdhsa_system_sgpr_workgroup_id_y 0
		.amdhsa_system_sgpr_workgroup_id_z 0
		.amdhsa_system_sgpr_workgroup_info 0
		.amdhsa_system_vgpr_workitem_id 0
		.amdhsa_next_free_vgpr 1
		.amdhsa_next_free_sgpr 1
		.amdhsa_reserve_vcc 0
		.amdhsa_float_round_mode_32 0
		.amdhsa_float_round_mode_16_64 0
		.amdhsa_float_denorm_mode_32 3
		.amdhsa_float_denorm_mode_16_64 3
		.amdhsa_fp16_overflow 0
		.amdhsa_workgroup_processor_mode 1
		.amdhsa_memory_ordered 1
		.amdhsa_forward_progress 1
		.amdhsa_inst_pref_size 0
		.amdhsa_round_robin_scheduling 0
		.amdhsa_exception_fp_ieee_invalid_op 0
		.amdhsa_exception_fp_denorm_src 0
		.amdhsa_exception_fp_ieee_div_zero 0
		.amdhsa_exception_fp_ieee_overflow 0
		.amdhsa_exception_fp_ieee_underflow 0
		.amdhsa_exception_fp_ieee_inexact 0
		.amdhsa_exception_int_div_zero 0
	.end_amdhsa_kernel
	.section	.text._ZN7rocprim17ROCPRIM_400000_NS6detail17trampoline_kernelINS0_13select_configILj256ELj13ELNS0_17block_load_methodE3ELS4_3ELS4_3ELNS0_20block_scan_algorithmE0ELj4294967295EEENS1_25partition_config_selectorILNS1_17partition_subalgoE4EjNS0_10empty_typeEbEEZZNS1_14partition_implILS8_4ELb0ES6_15HIP_vector_typeIjLj2EENS0_17counting_iteratorIjlEEPS9_SG_NS0_5tupleIJPjSI_NS0_16reverse_iteratorISI_EEEEENSH_IJSG_SG_SG_EEES9_SI_JZNS1_25segmented_radix_sort_implINS0_14default_configELb0EPKsPsPKlPlN2at6native12_GLOBAL__N_18offset_tEEE10hipError_tPvRmT1_PNSt15iterator_traitsIS12_E10value_typeET2_T3_PNS13_IS18_E10value_typeET4_jRbjT5_S1E_jjP12ihipStream_tbEUljE_ZNSN_ISO_Lb0ESQ_SR_ST_SU_SY_EESZ_S10_S11_S12_S16_S17_S18_S1B_S1C_jS1D_jS1E_S1E_jjS1G_bEUljE0_EEESZ_S10_S11_S18_S1C_S1E_T6_T7_T9_mT8_S1G_bDpT10_ENKUlT_T0_E_clISt17integral_constantIbLb1EES1T_IbLb0EEEEDaS1P_S1Q_EUlS1P_E_NS1_11comp_targetILNS1_3genE8ELNS1_11target_archE1030ELNS1_3gpuE2ELNS1_3repE0EEENS1_30default_config_static_selectorELNS0_4arch9wavefront6targetE0EEEvS12_,"axG",@progbits,_ZN7rocprim17ROCPRIM_400000_NS6detail17trampoline_kernelINS0_13select_configILj256ELj13ELNS0_17block_load_methodE3ELS4_3ELS4_3ELNS0_20block_scan_algorithmE0ELj4294967295EEENS1_25partition_config_selectorILNS1_17partition_subalgoE4EjNS0_10empty_typeEbEEZZNS1_14partition_implILS8_4ELb0ES6_15HIP_vector_typeIjLj2EENS0_17counting_iteratorIjlEEPS9_SG_NS0_5tupleIJPjSI_NS0_16reverse_iteratorISI_EEEEENSH_IJSG_SG_SG_EEES9_SI_JZNS1_25segmented_radix_sort_implINS0_14default_configELb0EPKsPsPKlPlN2at6native12_GLOBAL__N_18offset_tEEE10hipError_tPvRmT1_PNSt15iterator_traitsIS12_E10value_typeET2_T3_PNS13_IS18_E10value_typeET4_jRbjT5_S1E_jjP12ihipStream_tbEUljE_ZNSN_ISO_Lb0ESQ_SR_ST_SU_SY_EESZ_S10_S11_S12_S16_S17_S18_S1B_S1C_jS1D_jS1E_S1E_jjS1G_bEUljE0_EEESZ_S10_S11_S18_S1C_S1E_T6_T7_T9_mT8_S1G_bDpT10_ENKUlT_T0_E_clISt17integral_constantIbLb1EES1T_IbLb0EEEEDaS1P_S1Q_EUlS1P_E_NS1_11comp_targetILNS1_3genE8ELNS1_11target_archE1030ELNS1_3gpuE2ELNS1_3repE0EEENS1_30default_config_static_selectorELNS0_4arch9wavefront6targetE0EEEvS12_,comdat
.Lfunc_end973:
	.size	_ZN7rocprim17ROCPRIM_400000_NS6detail17trampoline_kernelINS0_13select_configILj256ELj13ELNS0_17block_load_methodE3ELS4_3ELS4_3ELNS0_20block_scan_algorithmE0ELj4294967295EEENS1_25partition_config_selectorILNS1_17partition_subalgoE4EjNS0_10empty_typeEbEEZZNS1_14partition_implILS8_4ELb0ES6_15HIP_vector_typeIjLj2EENS0_17counting_iteratorIjlEEPS9_SG_NS0_5tupleIJPjSI_NS0_16reverse_iteratorISI_EEEEENSH_IJSG_SG_SG_EEES9_SI_JZNS1_25segmented_radix_sort_implINS0_14default_configELb0EPKsPsPKlPlN2at6native12_GLOBAL__N_18offset_tEEE10hipError_tPvRmT1_PNSt15iterator_traitsIS12_E10value_typeET2_T3_PNS13_IS18_E10value_typeET4_jRbjT5_S1E_jjP12ihipStream_tbEUljE_ZNSN_ISO_Lb0ESQ_SR_ST_SU_SY_EESZ_S10_S11_S12_S16_S17_S18_S1B_S1C_jS1D_jS1E_S1E_jjS1G_bEUljE0_EEESZ_S10_S11_S18_S1C_S1E_T6_T7_T9_mT8_S1G_bDpT10_ENKUlT_T0_E_clISt17integral_constantIbLb1EES1T_IbLb0EEEEDaS1P_S1Q_EUlS1P_E_NS1_11comp_targetILNS1_3genE8ELNS1_11target_archE1030ELNS1_3gpuE2ELNS1_3repE0EEENS1_30default_config_static_selectorELNS0_4arch9wavefront6targetE0EEEvS12_, .Lfunc_end973-_ZN7rocprim17ROCPRIM_400000_NS6detail17trampoline_kernelINS0_13select_configILj256ELj13ELNS0_17block_load_methodE3ELS4_3ELS4_3ELNS0_20block_scan_algorithmE0ELj4294967295EEENS1_25partition_config_selectorILNS1_17partition_subalgoE4EjNS0_10empty_typeEbEEZZNS1_14partition_implILS8_4ELb0ES6_15HIP_vector_typeIjLj2EENS0_17counting_iteratorIjlEEPS9_SG_NS0_5tupleIJPjSI_NS0_16reverse_iteratorISI_EEEEENSH_IJSG_SG_SG_EEES9_SI_JZNS1_25segmented_radix_sort_implINS0_14default_configELb0EPKsPsPKlPlN2at6native12_GLOBAL__N_18offset_tEEE10hipError_tPvRmT1_PNSt15iterator_traitsIS12_E10value_typeET2_T3_PNS13_IS18_E10value_typeET4_jRbjT5_S1E_jjP12ihipStream_tbEUljE_ZNSN_ISO_Lb0ESQ_SR_ST_SU_SY_EESZ_S10_S11_S12_S16_S17_S18_S1B_S1C_jS1D_jS1E_S1E_jjS1G_bEUljE0_EEESZ_S10_S11_S18_S1C_S1E_T6_T7_T9_mT8_S1G_bDpT10_ENKUlT_T0_E_clISt17integral_constantIbLb1EES1T_IbLb0EEEEDaS1P_S1Q_EUlS1P_E_NS1_11comp_targetILNS1_3genE8ELNS1_11target_archE1030ELNS1_3gpuE2ELNS1_3repE0EEENS1_30default_config_static_selectorELNS0_4arch9wavefront6targetE0EEEvS12_
                                        ; -- End function
	.set _ZN7rocprim17ROCPRIM_400000_NS6detail17trampoline_kernelINS0_13select_configILj256ELj13ELNS0_17block_load_methodE3ELS4_3ELS4_3ELNS0_20block_scan_algorithmE0ELj4294967295EEENS1_25partition_config_selectorILNS1_17partition_subalgoE4EjNS0_10empty_typeEbEEZZNS1_14partition_implILS8_4ELb0ES6_15HIP_vector_typeIjLj2EENS0_17counting_iteratorIjlEEPS9_SG_NS0_5tupleIJPjSI_NS0_16reverse_iteratorISI_EEEEENSH_IJSG_SG_SG_EEES9_SI_JZNS1_25segmented_radix_sort_implINS0_14default_configELb0EPKsPsPKlPlN2at6native12_GLOBAL__N_18offset_tEEE10hipError_tPvRmT1_PNSt15iterator_traitsIS12_E10value_typeET2_T3_PNS13_IS18_E10value_typeET4_jRbjT5_S1E_jjP12ihipStream_tbEUljE_ZNSN_ISO_Lb0ESQ_SR_ST_SU_SY_EESZ_S10_S11_S12_S16_S17_S18_S1B_S1C_jS1D_jS1E_S1E_jjS1G_bEUljE0_EEESZ_S10_S11_S18_S1C_S1E_T6_T7_T9_mT8_S1G_bDpT10_ENKUlT_T0_E_clISt17integral_constantIbLb1EES1T_IbLb0EEEEDaS1P_S1Q_EUlS1P_E_NS1_11comp_targetILNS1_3genE8ELNS1_11target_archE1030ELNS1_3gpuE2ELNS1_3repE0EEENS1_30default_config_static_selectorELNS0_4arch9wavefront6targetE0EEEvS12_.num_vgpr, 0
	.set _ZN7rocprim17ROCPRIM_400000_NS6detail17trampoline_kernelINS0_13select_configILj256ELj13ELNS0_17block_load_methodE3ELS4_3ELS4_3ELNS0_20block_scan_algorithmE0ELj4294967295EEENS1_25partition_config_selectorILNS1_17partition_subalgoE4EjNS0_10empty_typeEbEEZZNS1_14partition_implILS8_4ELb0ES6_15HIP_vector_typeIjLj2EENS0_17counting_iteratorIjlEEPS9_SG_NS0_5tupleIJPjSI_NS0_16reverse_iteratorISI_EEEEENSH_IJSG_SG_SG_EEES9_SI_JZNS1_25segmented_radix_sort_implINS0_14default_configELb0EPKsPsPKlPlN2at6native12_GLOBAL__N_18offset_tEEE10hipError_tPvRmT1_PNSt15iterator_traitsIS12_E10value_typeET2_T3_PNS13_IS18_E10value_typeET4_jRbjT5_S1E_jjP12ihipStream_tbEUljE_ZNSN_ISO_Lb0ESQ_SR_ST_SU_SY_EESZ_S10_S11_S12_S16_S17_S18_S1B_S1C_jS1D_jS1E_S1E_jjS1G_bEUljE0_EEESZ_S10_S11_S18_S1C_S1E_T6_T7_T9_mT8_S1G_bDpT10_ENKUlT_T0_E_clISt17integral_constantIbLb1EES1T_IbLb0EEEEDaS1P_S1Q_EUlS1P_E_NS1_11comp_targetILNS1_3genE8ELNS1_11target_archE1030ELNS1_3gpuE2ELNS1_3repE0EEENS1_30default_config_static_selectorELNS0_4arch9wavefront6targetE0EEEvS12_.num_agpr, 0
	.set _ZN7rocprim17ROCPRIM_400000_NS6detail17trampoline_kernelINS0_13select_configILj256ELj13ELNS0_17block_load_methodE3ELS4_3ELS4_3ELNS0_20block_scan_algorithmE0ELj4294967295EEENS1_25partition_config_selectorILNS1_17partition_subalgoE4EjNS0_10empty_typeEbEEZZNS1_14partition_implILS8_4ELb0ES6_15HIP_vector_typeIjLj2EENS0_17counting_iteratorIjlEEPS9_SG_NS0_5tupleIJPjSI_NS0_16reverse_iteratorISI_EEEEENSH_IJSG_SG_SG_EEES9_SI_JZNS1_25segmented_radix_sort_implINS0_14default_configELb0EPKsPsPKlPlN2at6native12_GLOBAL__N_18offset_tEEE10hipError_tPvRmT1_PNSt15iterator_traitsIS12_E10value_typeET2_T3_PNS13_IS18_E10value_typeET4_jRbjT5_S1E_jjP12ihipStream_tbEUljE_ZNSN_ISO_Lb0ESQ_SR_ST_SU_SY_EESZ_S10_S11_S12_S16_S17_S18_S1B_S1C_jS1D_jS1E_S1E_jjS1G_bEUljE0_EEESZ_S10_S11_S18_S1C_S1E_T6_T7_T9_mT8_S1G_bDpT10_ENKUlT_T0_E_clISt17integral_constantIbLb1EES1T_IbLb0EEEEDaS1P_S1Q_EUlS1P_E_NS1_11comp_targetILNS1_3genE8ELNS1_11target_archE1030ELNS1_3gpuE2ELNS1_3repE0EEENS1_30default_config_static_selectorELNS0_4arch9wavefront6targetE0EEEvS12_.numbered_sgpr, 0
	.set _ZN7rocprim17ROCPRIM_400000_NS6detail17trampoline_kernelINS0_13select_configILj256ELj13ELNS0_17block_load_methodE3ELS4_3ELS4_3ELNS0_20block_scan_algorithmE0ELj4294967295EEENS1_25partition_config_selectorILNS1_17partition_subalgoE4EjNS0_10empty_typeEbEEZZNS1_14partition_implILS8_4ELb0ES6_15HIP_vector_typeIjLj2EENS0_17counting_iteratorIjlEEPS9_SG_NS0_5tupleIJPjSI_NS0_16reverse_iteratorISI_EEEEENSH_IJSG_SG_SG_EEES9_SI_JZNS1_25segmented_radix_sort_implINS0_14default_configELb0EPKsPsPKlPlN2at6native12_GLOBAL__N_18offset_tEEE10hipError_tPvRmT1_PNSt15iterator_traitsIS12_E10value_typeET2_T3_PNS13_IS18_E10value_typeET4_jRbjT5_S1E_jjP12ihipStream_tbEUljE_ZNSN_ISO_Lb0ESQ_SR_ST_SU_SY_EESZ_S10_S11_S12_S16_S17_S18_S1B_S1C_jS1D_jS1E_S1E_jjS1G_bEUljE0_EEESZ_S10_S11_S18_S1C_S1E_T6_T7_T9_mT8_S1G_bDpT10_ENKUlT_T0_E_clISt17integral_constantIbLb1EES1T_IbLb0EEEEDaS1P_S1Q_EUlS1P_E_NS1_11comp_targetILNS1_3genE8ELNS1_11target_archE1030ELNS1_3gpuE2ELNS1_3repE0EEENS1_30default_config_static_selectorELNS0_4arch9wavefront6targetE0EEEvS12_.num_named_barrier, 0
	.set _ZN7rocprim17ROCPRIM_400000_NS6detail17trampoline_kernelINS0_13select_configILj256ELj13ELNS0_17block_load_methodE3ELS4_3ELS4_3ELNS0_20block_scan_algorithmE0ELj4294967295EEENS1_25partition_config_selectorILNS1_17partition_subalgoE4EjNS0_10empty_typeEbEEZZNS1_14partition_implILS8_4ELb0ES6_15HIP_vector_typeIjLj2EENS0_17counting_iteratorIjlEEPS9_SG_NS0_5tupleIJPjSI_NS0_16reverse_iteratorISI_EEEEENSH_IJSG_SG_SG_EEES9_SI_JZNS1_25segmented_radix_sort_implINS0_14default_configELb0EPKsPsPKlPlN2at6native12_GLOBAL__N_18offset_tEEE10hipError_tPvRmT1_PNSt15iterator_traitsIS12_E10value_typeET2_T3_PNS13_IS18_E10value_typeET4_jRbjT5_S1E_jjP12ihipStream_tbEUljE_ZNSN_ISO_Lb0ESQ_SR_ST_SU_SY_EESZ_S10_S11_S12_S16_S17_S18_S1B_S1C_jS1D_jS1E_S1E_jjS1G_bEUljE0_EEESZ_S10_S11_S18_S1C_S1E_T6_T7_T9_mT8_S1G_bDpT10_ENKUlT_T0_E_clISt17integral_constantIbLb1EES1T_IbLb0EEEEDaS1P_S1Q_EUlS1P_E_NS1_11comp_targetILNS1_3genE8ELNS1_11target_archE1030ELNS1_3gpuE2ELNS1_3repE0EEENS1_30default_config_static_selectorELNS0_4arch9wavefront6targetE0EEEvS12_.private_seg_size, 0
	.set _ZN7rocprim17ROCPRIM_400000_NS6detail17trampoline_kernelINS0_13select_configILj256ELj13ELNS0_17block_load_methodE3ELS4_3ELS4_3ELNS0_20block_scan_algorithmE0ELj4294967295EEENS1_25partition_config_selectorILNS1_17partition_subalgoE4EjNS0_10empty_typeEbEEZZNS1_14partition_implILS8_4ELb0ES6_15HIP_vector_typeIjLj2EENS0_17counting_iteratorIjlEEPS9_SG_NS0_5tupleIJPjSI_NS0_16reverse_iteratorISI_EEEEENSH_IJSG_SG_SG_EEES9_SI_JZNS1_25segmented_radix_sort_implINS0_14default_configELb0EPKsPsPKlPlN2at6native12_GLOBAL__N_18offset_tEEE10hipError_tPvRmT1_PNSt15iterator_traitsIS12_E10value_typeET2_T3_PNS13_IS18_E10value_typeET4_jRbjT5_S1E_jjP12ihipStream_tbEUljE_ZNSN_ISO_Lb0ESQ_SR_ST_SU_SY_EESZ_S10_S11_S12_S16_S17_S18_S1B_S1C_jS1D_jS1E_S1E_jjS1G_bEUljE0_EEESZ_S10_S11_S18_S1C_S1E_T6_T7_T9_mT8_S1G_bDpT10_ENKUlT_T0_E_clISt17integral_constantIbLb1EES1T_IbLb0EEEEDaS1P_S1Q_EUlS1P_E_NS1_11comp_targetILNS1_3genE8ELNS1_11target_archE1030ELNS1_3gpuE2ELNS1_3repE0EEENS1_30default_config_static_selectorELNS0_4arch9wavefront6targetE0EEEvS12_.uses_vcc, 0
	.set _ZN7rocprim17ROCPRIM_400000_NS6detail17trampoline_kernelINS0_13select_configILj256ELj13ELNS0_17block_load_methodE3ELS4_3ELS4_3ELNS0_20block_scan_algorithmE0ELj4294967295EEENS1_25partition_config_selectorILNS1_17partition_subalgoE4EjNS0_10empty_typeEbEEZZNS1_14partition_implILS8_4ELb0ES6_15HIP_vector_typeIjLj2EENS0_17counting_iteratorIjlEEPS9_SG_NS0_5tupleIJPjSI_NS0_16reverse_iteratorISI_EEEEENSH_IJSG_SG_SG_EEES9_SI_JZNS1_25segmented_radix_sort_implINS0_14default_configELb0EPKsPsPKlPlN2at6native12_GLOBAL__N_18offset_tEEE10hipError_tPvRmT1_PNSt15iterator_traitsIS12_E10value_typeET2_T3_PNS13_IS18_E10value_typeET4_jRbjT5_S1E_jjP12ihipStream_tbEUljE_ZNSN_ISO_Lb0ESQ_SR_ST_SU_SY_EESZ_S10_S11_S12_S16_S17_S18_S1B_S1C_jS1D_jS1E_S1E_jjS1G_bEUljE0_EEESZ_S10_S11_S18_S1C_S1E_T6_T7_T9_mT8_S1G_bDpT10_ENKUlT_T0_E_clISt17integral_constantIbLb1EES1T_IbLb0EEEEDaS1P_S1Q_EUlS1P_E_NS1_11comp_targetILNS1_3genE8ELNS1_11target_archE1030ELNS1_3gpuE2ELNS1_3repE0EEENS1_30default_config_static_selectorELNS0_4arch9wavefront6targetE0EEEvS12_.uses_flat_scratch, 0
	.set _ZN7rocprim17ROCPRIM_400000_NS6detail17trampoline_kernelINS0_13select_configILj256ELj13ELNS0_17block_load_methodE3ELS4_3ELS4_3ELNS0_20block_scan_algorithmE0ELj4294967295EEENS1_25partition_config_selectorILNS1_17partition_subalgoE4EjNS0_10empty_typeEbEEZZNS1_14partition_implILS8_4ELb0ES6_15HIP_vector_typeIjLj2EENS0_17counting_iteratorIjlEEPS9_SG_NS0_5tupleIJPjSI_NS0_16reverse_iteratorISI_EEEEENSH_IJSG_SG_SG_EEES9_SI_JZNS1_25segmented_radix_sort_implINS0_14default_configELb0EPKsPsPKlPlN2at6native12_GLOBAL__N_18offset_tEEE10hipError_tPvRmT1_PNSt15iterator_traitsIS12_E10value_typeET2_T3_PNS13_IS18_E10value_typeET4_jRbjT5_S1E_jjP12ihipStream_tbEUljE_ZNSN_ISO_Lb0ESQ_SR_ST_SU_SY_EESZ_S10_S11_S12_S16_S17_S18_S1B_S1C_jS1D_jS1E_S1E_jjS1G_bEUljE0_EEESZ_S10_S11_S18_S1C_S1E_T6_T7_T9_mT8_S1G_bDpT10_ENKUlT_T0_E_clISt17integral_constantIbLb1EES1T_IbLb0EEEEDaS1P_S1Q_EUlS1P_E_NS1_11comp_targetILNS1_3genE8ELNS1_11target_archE1030ELNS1_3gpuE2ELNS1_3repE0EEENS1_30default_config_static_selectorELNS0_4arch9wavefront6targetE0EEEvS12_.has_dyn_sized_stack, 0
	.set _ZN7rocprim17ROCPRIM_400000_NS6detail17trampoline_kernelINS0_13select_configILj256ELj13ELNS0_17block_load_methodE3ELS4_3ELS4_3ELNS0_20block_scan_algorithmE0ELj4294967295EEENS1_25partition_config_selectorILNS1_17partition_subalgoE4EjNS0_10empty_typeEbEEZZNS1_14partition_implILS8_4ELb0ES6_15HIP_vector_typeIjLj2EENS0_17counting_iteratorIjlEEPS9_SG_NS0_5tupleIJPjSI_NS0_16reverse_iteratorISI_EEEEENSH_IJSG_SG_SG_EEES9_SI_JZNS1_25segmented_radix_sort_implINS0_14default_configELb0EPKsPsPKlPlN2at6native12_GLOBAL__N_18offset_tEEE10hipError_tPvRmT1_PNSt15iterator_traitsIS12_E10value_typeET2_T3_PNS13_IS18_E10value_typeET4_jRbjT5_S1E_jjP12ihipStream_tbEUljE_ZNSN_ISO_Lb0ESQ_SR_ST_SU_SY_EESZ_S10_S11_S12_S16_S17_S18_S1B_S1C_jS1D_jS1E_S1E_jjS1G_bEUljE0_EEESZ_S10_S11_S18_S1C_S1E_T6_T7_T9_mT8_S1G_bDpT10_ENKUlT_T0_E_clISt17integral_constantIbLb1EES1T_IbLb0EEEEDaS1P_S1Q_EUlS1P_E_NS1_11comp_targetILNS1_3genE8ELNS1_11target_archE1030ELNS1_3gpuE2ELNS1_3repE0EEENS1_30default_config_static_selectorELNS0_4arch9wavefront6targetE0EEEvS12_.has_recursion, 0
	.set _ZN7rocprim17ROCPRIM_400000_NS6detail17trampoline_kernelINS0_13select_configILj256ELj13ELNS0_17block_load_methodE3ELS4_3ELS4_3ELNS0_20block_scan_algorithmE0ELj4294967295EEENS1_25partition_config_selectorILNS1_17partition_subalgoE4EjNS0_10empty_typeEbEEZZNS1_14partition_implILS8_4ELb0ES6_15HIP_vector_typeIjLj2EENS0_17counting_iteratorIjlEEPS9_SG_NS0_5tupleIJPjSI_NS0_16reverse_iteratorISI_EEEEENSH_IJSG_SG_SG_EEES9_SI_JZNS1_25segmented_radix_sort_implINS0_14default_configELb0EPKsPsPKlPlN2at6native12_GLOBAL__N_18offset_tEEE10hipError_tPvRmT1_PNSt15iterator_traitsIS12_E10value_typeET2_T3_PNS13_IS18_E10value_typeET4_jRbjT5_S1E_jjP12ihipStream_tbEUljE_ZNSN_ISO_Lb0ESQ_SR_ST_SU_SY_EESZ_S10_S11_S12_S16_S17_S18_S1B_S1C_jS1D_jS1E_S1E_jjS1G_bEUljE0_EEESZ_S10_S11_S18_S1C_S1E_T6_T7_T9_mT8_S1G_bDpT10_ENKUlT_T0_E_clISt17integral_constantIbLb1EES1T_IbLb0EEEEDaS1P_S1Q_EUlS1P_E_NS1_11comp_targetILNS1_3genE8ELNS1_11target_archE1030ELNS1_3gpuE2ELNS1_3repE0EEENS1_30default_config_static_selectorELNS0_4arch9wavefront6targetE0EEEvS12_.has_indirect_call, 0
	.section	.AMDGPU.csdata,"",@progbits
; Kernel info:
; codeLenInByte = 0
; TotalNumSgprs: 0
; NumVgprs: 0
; ScratchSize: 0
; MemoryBound: 0
; FloatMode: 240
; IeeeMode: 1
; LDSByteSize: 0 bytes/workgroup (compile time only)
; SGPRBlocks: 0
; VGPRBlocks: 0
; NumSGPRsForWavesPerEU: 1
; NumVGPRsForWavesPerEU: 1
; Occupancy: 16
; WaveLimiterHint : 0
; COMPUTE_PGM_RSRC2:SCRATCH_EN: 0
; COMPUTE_PGM_RSRC2:USER_SGPR: 2
; COMPUTE_PGM_RSRC2:TRAP_HANDLER: 0
; COMPUTE_PGM_RSRC2:TGID_X_EN: 1
; COMPUTE_PGM_RSRC2:TGID_Y_EN: 0
; COMPUTE_PGM_RSRC2:TGID_Z_EN: 0
; COMPUTE_PGM_RSRC2:TIDIG_COMP_CNT: 0
	.section	.text._ZN7rocprim17ROCPRIM_400000_NS6detail17trampoline_kernelINS0_13select_configILj256ELj13ELNS0_17block_load_methodE3ELS4_3ELS4_3ELNS0_20block_scan_algorithmE0ELj4294967295EEENS1_25partition_config_selectorILNS1_17partition_subalgoE4EjNS0_10empty_typeEbEEZZNS1_14partition_implILS8_4ELb0ES6_15HIP_vector_typeIjLj2EENS0_17counting_iteratorIjlEEPS9_SG_NS0_5tupleIJPjSI_NS0_16reverse_iteratorISI_EEEEENSH_IJSG_SG_SG_EEES9_SI_JZNS1_25segmented_radix_sort_implINS0_14default_configELb0EPKsPsPKlPlN2at6native12_GLOBAL__N_18offset_tEEE10hipError_tPvRmT1_PNSt15iterator_traitsIS12_E10value_typeET2_T3_PNS13_IS18_E10value_typeET4_jRbjT5_S1E_jjP12ihipStream_tbEUljE_ZNSN_ISO_Lb0ESQ_SR_ST_SU_SY_EESZ_S10_S11_S12_S16_S17_S18_S1B_S1C_jS1D_jS1E_S1E_jjS1G_bEUljE0_EEESZ_S10_S11_S18_S1C_S1E_T6_T7_T9_mT8_S1G_bDpT10_ENKUlT_T0_E_clISt17integral_constantIbLb0EES1T_IbLb1EEEEDaS1P_S1Q_EUlS1P_E_NS1_11comp_targetILNS1_3genE0ELNS1_11target_archE4294967295ELNS1_3gpuE0ELNS1_3repE0EEENS1_30default_config_static_selectorELNS0_4arch9wavefront6targetE0EEEvS12_,"axG",@progbits,_ZN7rocprim17ROCPRIM_400000_NS6detail17trampoline_kernelINS0_13select_configILj256ELj13ELNS0_17block_load_methodE3ELS4_3ELS4_3ELNS0_20block_scan_algorithmE0ELj4294967295EEENS1_25partition_config_selectorILNS1_17partition_subalgoE4EjNS0_10empty_typeEbEEZZNS1_14partition_implILS8_4ELb0ES6_15HIP_vector_typeIjLj2EENS0_17counting_iteratorIjlEEPS9_SG_NS0_5tupleIJPjSI_NS0_16reverse_iteratorISI_EEEEENSH_IJSG_SG_SG_EEES9_SI_JZNS1_25segmented_radix_sort_implINS0_14default_configELb0EPKsPsPKlPlN2at6native12_GLOBAL__N_18offset_tEEE10hipError_tPvRmT1_PNSt15iterator_traitsIS12_E10value_typeET2_T3_PNS13_IS18_E10value_typeET4_jRbjT5_S1E_jjP12ihipStream_tbEUljE_ZNSN_ISO_Lb0ESQ_SR_ST_SU_SY_EESZ_S10_S11_S12_S16_S17_S18_S1B_S1C_jS1D_jS1E_S1E_jjS1G_bEUljE0_EEESZ_S10_S11_S18_S1C_S1E_T6_T7_T9_mT8_S1G_bDpT10_ENKUlT_T0_E_clISt17integral_constantIbLb0EES1T_IbLb1EEEEDaS1P_S1Q_EUlS1P_E_NS1_11comp_targetILNS1_3genE0ELNS1_11target_archE4294967295ELNS1_3gpuE0ELNS1_3repE0EEENS1_30default_config_static_selectorELNS0_4arch9wavefront6targetE0EEEvS12_,comdat
	.globl	_ZN7rocprim17ROCPRIM_400000_NS6detail17trampoline_kernelINS0_13select_configILj256ELj13ELNS0_17block_load_methodE3ELS4_3ELS4_3ELNS0_20block_scan_algorithmE0ELj4294967295EEENS1_25partition_config_selectorILNS1_17partition_subalgoE4EjNS0_10empty_typeEbEEZZNS1_14partition_implILS8_4ELb0ES6_15HIP_vector_typeIjLj2EENS0_17counting_iteratorIjlEEPS9_SG_NS0_5tupleIJPjSI_NS0_16reverse_iteratorISI_EEEEENSH_IJSG_SG_SG_EEES9_SI_JZNS1_25segmented_radix_sort_implINS0_14default_configELb0EPKsPsPKlPlN2at6native12_GLOBAL__N_18offset_tEEE10hipError_tPvRmT1_PNSt15iterator_traitsIS12_E10value_typeET2_T3_PNS13_IS18_E10value_typeET4_jRbjT5_S1E_jjP12ihipStream_tbEUljE_ZNSN_ISO_Lb0ESQ_SR_ST_SU_SY_EESZ_S10_S11_S12_S16_S17_S18_S1B_S1C_jS1D_jS1E_S1E_jjS1G_bEUljE0_EEESZ_S10_S11_S18_S1C_S1E_T6_T7_T9_mT8_S1G_bDpT10_ENKUlT_T0_E_clISt17integral_constantIbLb0EES1T_IbLb1EEEEDaS1P_S1Q_EUlS1P_E_NS1_11comp_targetILNS1_3genE0ELNS1_11target_archE4294967295ELNS1_3gpuE0ELNS1_3repE0EEENS1_30default_config_static_selectorELNS0_4arch9wavefront6targetE0EEEvS12_ ; -- Begin function _ZN7rocprim17ROCPRIM_400000_NS6detail17trampoline_kernelINS0_13select_configILj256ELj13ELNS0_17block_load_methodE3ELS4_3ELS4_3ELNS0_20block_scan_algorithmE0ELj4294967295EEENS1_25partition_config_selectorILNS1_17partition_subalgoE4EjNS0_10empty_typeEbEEZZNS1_14partition_implILS8_4ELb0ES6_15HIP_vector_typeIjLj2EENS0_17counting_iteratorIjlEEPS9_SG_NS0_5tupleIJPjSI_NS0_16reverse_iteratorISI_EEEEENSH_IJSG_SG_SG_EEES9_SI_JZNS1_25segmented_radix_sort_implINS0_14default_configELb0EPKsPsPKlPlN2at6native12_GLOBAL__N_18offset_tEEE10hipError_tPvRmT1_PNSt15iterator_traitsIS12_E10value_typeET2_T3_PNS13_IS18_E10value_typeET4_jRbjT5_S1E_jjP12ihipStream_tbEUljE_ZNSN_ISO_Lb0ESQ_SR_ST_SU_SY_EESZ_S10_S11_S12_S16_S17_S18_S1B_S1C_jS1D_jS1E_S1E_jjS1G_bEUljE0_EEESZ_S10_S11_S18_S1C_S1E_T6_T7_T9_mT8_S1G_bDpT10_ENKUlT_T0_E_clISt17integral_constantIbLb0EES1T_IbLb1EEEEDaS1P_S1Q_EUlS1P_E_NS1_11comp_targetILNS1_3genE0ELNS1_11target_archE4294967295ELNS1_3gpuE0ELNS1_3repE0EEENS1_30default_config_static_selectorELNS0_4arch9wavefront6targetE0EEEvS12_
	.p2align	8
	.type	_ZN7rocprim17ROCPRIM_400000_NS6detail17trampoline_kernelINS0_13select_configILj256ELj13ELNS0_17block_load_methodE3ELS4_3ELS4_3ELNS0_20block_scan_algorithmE0ELj4294967295EEENS1_25partition_config_selectorILNS1_17partition_subalgoE4EjNS0_10empty_typeEbEEZZNS1_14partition_implILS8_4ELb0ES6_15HIP_vector_typeIjLj2EENS0_17counting_iteratorIjlEEPS9_SG_NS0_5tupleIJPjSI_NS0_16reverse_iteratorISI_EEEEENSH_IJSG_SG_SG_EEES9_SI_JZNS1_25segmented_radix_sort_implINS0_14default_configELb0EPKsPsPKlPlN2at6native12_GLOBAL__N_18offset_tEEE10hipError_tPvRmT1_PNSt15iterator_traitsIS12_E10value_typeET2_T3_PNS13_IS18_E10value_typeET4_jRbjT5_S1E_jjP12ihipStream_tbEUljE_ZNSN_ISO_Lb0ESQ_SR_ST_SU_SY_EESZ_S10_S11_S12_S16_S17_S18_S1B_S1C_jS1D_jS1E_S1E_jjS1G_bEUljE0_EEESZ_S10_S11_S18_S1C_S1E_T6_T7_T9_mT8_S1G_bDpT10_ENKUlT_T0_E_clISt17integral_constantIbLb0EES1T_IbLb1EEEEDaS1P_S1Q_EUlS1P_E_NS1_11comp_targetILNS1_3genE0ELNS1_11target_archE4294967295ELNS1_3gpuE0ELNS1_3repE0EEENS1_30default_config_static_selectorELNS0_4arch9wavefront6targetE0EEEvS12_,@function
_ZN7rocprim17ROCPRIM_400000_NS6detail17trampoline_kernelINS0_13select_configILj256ELj13ELNS0_17block_load_methodE3ELS4_3ELS4_3ELNS0_20block_scan_algorithmE0ELj4294967295EEENS1_25partition_config_selectorILNS1_17partition_subalgoE4EjNS0_10empty_typeEbEEZZNS1_14partition_implILS8_4ELb0ES6_15HIP_vector_typeIjLj2EENS0_17counting_iteratorIjlEEPS9_SG_NS0_5tupleIJPjSI_NS0_16reverse_iteratorISI_EEEEENSH_IJSG_SG_SG_EEES9_SI_JZNS1_25segmented_radix_sort_implINS0_14default_configELb0EPKsPsPKlPlN2at6native12_GLOBAL__N_18offset_tEEE10hipError_tPvRmT1_PNSt15iterator_traitsIS12_E10value_typeET2_T3_PNS13_IS18_E10value_typeET4_jRbjT5_S1E_jjP12ihipStream_tbEUljE_ZNSN_ISO_Lb0ESQ_SR_ST_SU_SY_EESZ_S10_S11_S12_S16_S17_S18_S1B_S1C_jS1D_jS1E_S1E_jjS1G_bEUljE0_EEESZ_S10_S11_S18_S1C_S1E_T6_T7_T9_mT8_S1G_bDpT10_ENKUlT_T0_E_clISt17integral_constantIbLb0EES1T_IbLb1EEEEDaS1P_S1Q_EUlS1P_E_NS1_11comp_targetILNS1_3genE0ELNS1_11target_archE4294967295ELNS1_3gpuE0ELNS1_3repE0EEENS1_30default_config_static_selectorELNS0_4arch9wavefront6targetE0EEEvS12_: ; @_ZN7rocprim17ROCPRIM_400000_NS6detail17trampoline_kernelINS0_13select_configILj256ELj13ELNS0_17block_load_methodE3ELS4_3ELS4_3ELNS0_20block_scan_algorithmE0ELj4294967295EEENS1_25partition_config_selectorILNS1_17partition_subalgoE4EjNS0_10empty_typeEbEEZZNS1_14partition_implILS8_4ELb0ES6_15HIP_vector_typeIjLj2EENS0_17counting_iteratorIjlEEPS9_SG_NS0_5tupleIJPjSI_NS0_16reverse_iteratorISI_EEEEENSH_IJSG_SG_SG_EEES9_SI_JZNS1_25segmented_radix_sort_implINS0_14default_configELb0EPKsPsPKlPlN2at6native12_GLOBAL__N_18offset_tEEE10hipError_tPvRmT1_PNSt15iterator_traitsIS12_E10value_typeET2_T3_PNS13_IS18_E10value_typeET4_jRbjT5_S1E_jjP12ihipStream_tbEUljE_ZNSN_ISO_Lb0ESQ_SR_ST_SU_SY_EESZ_S10_S11_S12_S16_S17_S18_S1B_S1C_jS1D_jS1E_S1E_jjS1G_bEUljE0_EEESZ_S10_S11_S18_S1C_S1E_T6_T7_T9_mT8_S1G_bDpT10_ENKUlT_T0_E_clISt17integral_constantIbLb0EES1T_IbLb1EEEEDaS1P_S1Q_EUlS1P_E_NS1_11comp_targetILNS1_3genE0ELNS1_11target_archE4294967295ELNS1_3gpuE0ELNS1_3repE0EEENS1_30default_config_static_selectorELNS0_4arch9wavefront6targetE0EEEvS12_
; %bb.0:
	.section	.rodata,"a",@progbits
	.p2align	6, 0x0
	.amdhsa_kernel _ZN7rocprim17ROCPRIM_400000_NS6detail17trampoline_kernelINS0_13select_configILj256ELj13ELNS0_17block_load_methodE3ELS4_3ELS4_3ELNS0_20block_scan_algorithmE0ELj4294967295EEENS1_25partition_config_selectorILNS1_17partition_subalgoE4EjNS0_10empty_typeEbEEZZNS1_14partition_implILS8_4ELb0ES6_15HIP_vector_typeIjLj2EENS0_17counting_iteratorIjlEEPS9_SG_NS0_5tupleIJPjSI_NS0_16reverse_iteratorISI_EEEEENSH_IJSG_SG_SG_EEES9_SI_JZNS1_25segmented_radix_sort_implINS0_14default_configELb0EPKsPsPKlPlN2at6native12_GLOBAL__N_18offset_tEEE10hipError_tPvRmT1_PNSt15iterator_traitsIS12_E10value_typeET2_T3_PNS13_IS18_E10value_typeET4_jRbjT5_S1E_jjP12ihipStream_tbEUljE_ZNSN_ISO_Lb0ESQ_SR_ST_SU_SY_EESZ_S10_S11_S12_S16_S17_S18_S1B_S1C_jS1D_jS1E_S1E_jjS1G_bEUljE0_EEESZ_S10_S11_S18_S1C_S1E_T6_T7_T9_mT8_S1G_bDpT10_ENKUlT_T0_E_clISt17integral_constantIbLb0EES1T_IbLb1EEEEDaS1P_S1Q_EUlS1P_E_NS1_11comp_targetILNS1_3genE0ELNS1_11target_archE4294967295ELNS1_3gpuE0ELNS1_3repE0EEENS1_30default_config_static_selectorELNS0_4arch9wavefront6targetE0EEEvS12_
		.amdhsa_group_segment_fixed_size 0
		.amdhsa_private_segment_fixed_size 0
		.amdhsa_kernarg_size 184
		.amdhsa_user_sgpr_count 2
		.amdhsa_user_sgpr_dispatch_ptr 0
		.amdhsa_user_sgpr_queue_ptr 0
		.amdhsa_user_sgpr_kernarg_segment_ptr 1
		.amdhsa_user_sgpr_dispatch_id 0
		.amdhsa_user_sgpr_private_segment_size 0
		.amdhsa_wavefront_size32 1
		.amdhsa_uses_dynamic_stack 0
		.amdhsa_enable_private_segment 0
		.amdhsa_system_sgpr_workgroup_id_x 1
		.amdhsa_system_sgpr_workgroup_id_y 0
		.amdhsa_system_sgpr_workgroup_id_z 0
		.amdhsa_system_sgpr_workgroup_info 0
		.amdhsa_system_vgpr_workitem_id 0
		.amdhsa_next_free_vgpr 1
		.amdhsa_next_free_sgpr 1
		.amdhsa_reserve_vcc 0
		.amdhsa_float_round_mode_32 0
		.amdhsa_float_round_mode_16_64 0
		.amdhsa_float_denorm_mode_32 3
		.amdhsa_float_denorm_mode_16_64 3
		.amdhsa_fp16_overflow 0
		.amdhsa_workgroup_processor_mode 1
		.amdhsa_memory_ordered 1
		.amdhsa_forward_progress 1
		.amdhsa_inst_pref_size 0
		.amdhsa_round_robin_scheduling 0
		.amdhsa_exception_fp_ieee_invalid_op 0
		.amdhsa_exception_fp_denorm_src 0
		.amdhsa_exception_fp_ieee_div_zero 0
		.amdhsa_exception_fp_ieee_overflow 0
		.amdhsa_exception_fp_ieee_underflow 0
		.amdhsa_exception_fp_ieee_inexact 0
		.amdhsa_exception_int_div_zero 0
	.end_amdhsa_kernel
	.section	.text._ZN7rocprim17ROCPRIM_400000_NS6detail17trampoline_kernelINS0_13select_configILj256ELj13ELNS0_17block_load_methodE3ELS4_3ELS4_3ELNS0_20block_scan_algorithmE0ELj4294967295EEENS1_25partition_config_selectorILNS1_17partition_subalgoE4EjNS0_10empty_typeEbEEZZNS1_14partition_implILS8_4ELb0ES6_15HIP_vector_typeIjLj2EENS0_17counting_iteratorIjlEEPS9_SG_NS0_5tupleIJPjSI_NS0_16reverse_iteratorISI_EEEEENSH_IJSG_SG_SG_EEES9_SI_JZNS1_25segmented_radix_sort_implINS0_14default_configELb0EPKsPsPKlPlN2at6native12_GLOBAL__N_18offset_tEEE10hipError_tPvRmT1_PNSt15iterator_traitsIS12_E10value_typeET2_T3_PNS13_IS18_E10value_typeET4_jRbjT5_S1E_jjP12ihipStream_tbEUljE_ZNSN_ISO_Lb0ESQ_SR_ST_SU_SY_EESZ_S10_S11_S12_S16_S17_S18_S1B_S1C_jS1D_jS1E_S1E_jjS1G_bEUljE0_EEESZ_S10_S11_S18_S1C_S1E_T6_T7_T9_mT8_S1G_bDpT10_ENKUlT_T0_E_clISt17integral_constantIbLb0EES1T_IbLb1EEEEDaS1P_S1Q_EUlS1P_E_NS1_11comp_targetILNS1_3genE0ELNS1_11target_archE4294967295ELNS1_3gpuE0ELNS1_3repE0EEENS1_30default_config_static_selectorELNS0_4arch9wavefront6targetE0EEEvS12_,"axG",@progbits,_ZN7rocprim17ROCPRIM_400000_NS6detail17trampoline_kernelINS0_13select_configILj256ELj13ELNS0_17block_load_methodE3ELS4_3ELS4_3ELNS0_20block_scan_algorithmE0ELj4294967295EEENS1_25partition_config_selectorILNS1_17partition_subalgoE4EjNS0_10empty_typeEbEEZZNS1_14partition_implILS8_4ELb0ES6_15HIP_vector_typeIjLj2EENS0_17counting_iteratorIjlEEPS9_SG_NS0_5tupleIJPjSI_NS0_16reverse_iteratorISI_EEEEENSH_IJSG_SG_SG_EEES9_SI_JZNS1_25segmented_radix_sort_implINS0_14default_configELb0EPKsPsPKlPlN2at6native12_GLOBAL__N_18offset_tEEE10hipError_tPvRmT1_PNSt15iterator_traitsIS12_E10value_typeET2_T3_PNS13_IS18_E10value_typeET4_jRbjT5_S1E_jjP12ihipStream_tbEUljE_ZNSN_ISO_Lb0ESQ_SR_ST_SU_SY_EESZ_S10_S11_S12_S16_S17_S18_S1B_S1C_jS1D_jS1E_S1E_jjS1G_bEUljE0_EEESZ_S10_S11_S18_S1C_S1E_T6_T7_T9_mT8_S1G_bDpT10_ENKUlT_T0_E_clISt17integral_constantIbLb0EES1T_IbLb1EEEEDaS1P_S1Q_EUlS1P_E_NS1_11comp_targetILNS1_3genE0ELNS1_11target_archE4294967295ELNS1_3gpuE0ELNS1_3repE0EEENS1_30default_config_static_selectorELNS0_4arch9wavefront6targetE0EEEvS12_,comdat
.Lfunc_end974:
	.size	_ZN7rocprim17ROCPRIM_400000_NS6detail17trampoline_kernelINS0_13select_configILj256ELj13ELNS0_17block_load_methodE3ELS4_3ELS4_3ELNS0_20block_scan_algorithmE0ELj4294967295EEENS1_25partition_config_selectorILNS1_17partition_subalgoE4EjNS0_10empty_typeEbEEZZNS1_14partition_implILS8_4ELb0ES6_15HIP_vector_typeIjLj2EENS0_17counting_iteratorIjlEEPS9_SG_NS0_5tupleIJPjSI_NS0_16reverse_iteratorISI_EEEEENSH_IJSG_SG_SG_EEES9_SI_JZNS1_25segmented_radix_sort_implINS0_14default_configELb0EPKsPsPKlPlN2at6native12_GLOBAL__N_18offset_tEEE10hipError_tPvRmT1_PNSt15iterator_traitsIS12_E10value_typeET2_T3_PNS13_IS18_E10value_typeET4_jRbjT5_S1E_jjP12ihipStream_tbEUljE_ZNSN_ISO_Lb0ESQ_SR_ST_SU_SY_EESZ_S10_S11_S12_S16_S17_S18_S1B_S1C_jS1D_jS1E_S1E_jjS1G_bEUljE0_EEESZ_S10_S11_S18_S1C_S1E_T6_T7_T9_mT8_S1G_bDpT10_ENKUlT_T0_E_clISt17integral_constantIbLb0EES1T_IbLb1EEEEDaS1P_S1Q_EUlS1P_E_NS1_11comp_targetILNS1_3genE0ELNS1_11target_archE4294967295ELNS1_3gpuE0ELNS1_3repE0EEENS1_30default_config_static_selectorELNS0_4arch9wavefront6targetE0EEEvS12_, .Lfunc_end974-_ZN7rocprim17ROCPRIM_400000_NS6detail17trampoline_kernelINS0_13select_configILj256ELj13ELNS0_17block_load_methodE3ELS4_3ELS4_3ELNS0_20block_scan_algorithmE0ELj4294967295EEENS1_25partition_config_selectorILNS1_17partition_subalgoE4EjNS0_10empty_typeEbEEZZNS1_14partition_implILS8_4ELb0ES6_15HIP_vector_typeIjLj2EENS0_17counting_iteratorIjlEEPS9_SG_NS0_5tupleIJPjSI_NS0_16reverse_iteratorISI_EEEEENSH_IJSG_SG_SG_EEES9_SI_JZNS1_25segmented_radix_sort_implINS0_14default_configELb0EPKsPsPKlPlN2at6native12_GLOBAL__N_18offset_tEEE10hipError_tPvRmT1_PNSt15iterator_traitsIS12_E10value_typeET2_T3_PNS13_IS18_E10value_typeET4_jRbjT5_S1E_jjP12ihipStream_tbEUljE_ZNSN_ISO_Lb0ESQ_SR_ST_SU_SY_EESZ_S10_S11_S12_S16_S17_S18_S1B_S1C_jS1D_jS1E_S1E_jjS1G_bEUljE0_EEESZ_S10_S11_S18_S1C_S1E_T6_T7_T9_mT8_S1G_bDpT10_ENKUlT_T0_E_clISt17integral_constantIbLb0EES1T_IbLb1EEEEDaS1P_S1Q_EUlS1P_E_NS1_11comp_targetILNS1_3genE0ELNS1_11target_archE4294967295ELNS1_3gpuE0ELNS1_3repE0EEENS1_30default_config_static_selectorELNS0_4arch9wavefront6targetE0EEEvS12_
                                        ; -- End function
	.set _ZN7rocprim17ROCPRIM_400000_NS6detail17trampoline_kernelINS0_13select_configILj256ELj13ELNS0_17block_load_methodE3ELS4_3ELS4_3ELNS0_20block_scan_algorithmE0ELj4294967295EEENS1_25partition_config_selectorILNS1_17partition_subalgoE4EjNS0_10empty_typeEbEEZZNS1_14partition_implILS8_4ELb0ES6_15HIP_vector_typeIjLj2EENS0_17counting_iteratorIjlEEPS9_SG_NS0_5tupleIJPjSI_NS0_16reverse_iteratorISI_EEEEENSH_IJSG_SG_SG_EEES9_SI_JZNS1_25segmented_radix_sort_implINS0_14default_configELb0EPKsPsPKlPlN2at6native12_GLOBAL__N_18offset_tEEE10hipError_tPvRmT1_PNSt15iterator_traitsIS12_E10value_typeET2_T3_PNS13_IS18_E10value_typeET4_jRbjT5_S1E_jjP12ihipStream_tbEUljE_ZNSN_ISO_Lb0ESQ_SR_ST_SU_SY_EESZ_S10_S11_S12_S16_S17_S18_S1B_S1C_jS1D_jS1E_S1E_jjS1G_bEUljE0_EEESZ_S10_S11_S18_S1C_S1E_T6_T7_T9_mT8_S1G_bDpT10_ENKUlT_T0_E_clISt17integral_constantIbLb0EES1T_IbLb1EEEEDaS1P_S1Q_EUlS1P_E_NS1_11comp_targetILNS1_3genE0ELNS1_11target_archE4294967295ELNS1_3gpuE0ELNS1_3repE0EEENS1_30default_config_static_selectorELNS0_4arch9wavefront6targetE0EEEvS12_.num_vgpr, 0
	.set _ZN7rocprim17ROCPRIM_400000_NS6detail17trampoline_kernelINS0_13select_configILj256ELj13ELNS0_17block_load_methodE3ELS4_3ELS4_3ELNS0_20block_scan_algorithmE0ELj4294967295EEENS1_25partition_config_selectorILNS1_17partition_subalgoE4EjNS0_10empty_typeEbEEZZNS1_14partition_implILS8_4ELb0ES6_15HIP_vector_typeIjLj2EENS0_17counting_iteratorIjlEEPS9_SG_NS0_5tupleIJPjSI_NS0_16reverse_iteratorISI_EEEEENSH_IJSG_SG_SG_EEES9_SI_JZNS1_25segmented_radix_sort_implINS0_14default_configELb0EPKsPsPKlPlN2at6native12_GLOBAL__N_18offset_tEEE10hipError_tPvRmT1_PNSt15iterator_traitsIS12_E10value_typeET2_T3_PNS13_IS18_E10value_typeET4_jRbjT5_S1E_jjP12ihipStream_tbEUljE_ZNSN_ISO_Lb0ESQ_SR_ST_SU_SY_EESZ_S10_S11_S12_S16_S17_S18_S1B_S1C_jS1D_jS1E_S1E_jjS1G_bEUljE0_EEESZ_S10_S11_S18_S1C_S1E_T6_T7_T9_mT8_S1G_bDpT10_ENKUlT_T0_E_clISt17integral_constantIbLb0EES1T_IbLb1EEEEDaS1P_S1Q_EUlS1P_E_NS1_11comp_targetILNS1_3genE0ELNS1_11target_archE4294967295ELNS1_3gpuE0ELNS1_3repE0EEENS1_30default_config_static_selectorELNS0_4arch9wavefront6targetE0EEEvS12_.num_agpr, 0
	.set _ZN7rocprim17ROCPRIM_400000_NS6detail17trampoline_kernelINS0_13select_configILj256ELj13ELNS0_17block_load_methodE3ELS4_3ELS4_3ELNS0_20block_scan_algorithmE0ELj4294967295EEENS1_25partition_config_selectorILNS1_17partition_subalgoE4EjNS0_10empty_typeEbEEZZNS1_14partition_implILS8_4ELb0ES6_15HIP_vector_typeIjLj2EENS0_17counting_iteratorIjlEEPS9_SG_NS0_5tupleIJPjSI_NS0_16reverse_iteratorISI_EEEEENSH_IJSG_SG_SG_EEES9_SI_JZNS1_25segmented_radix_sort_implINS0_14default_configELb0EPKsPsPKlPlN2at6native12_GLOBAL__N_18offset_tEEE10hipError_tPvRmT1_PNSt15iterator_traitsIS12_E10value_typeET2_T3_PNS13_IS18_E10value_typeET4_jRbjT5_S1E_jjP12ihipStream_tbEUljE_ZNSN_ISO_Lb0ESQ_SR_ST_SU_SY_EESZ_S10_S11_S12_S16_S17_S18_S1B_S1C_jS1D_jS1E_S1E_jjS1G_bEUljE0_EEESZ_S10_S11_S18_S1C_S1E_T6_T7_T9_mT8_S1G_bDpT10_ENKUlT_T0_E_clISt17integral_constantIbLb0EES1T_IbLb1EEEEDaS1P_S1Q_EUlS1P_E_NS1_11comp_targetILNS1_3genE0ELNS1_11target_archE4294967295ELNS1_3gpuE0ELNS1_3repE0EEENS1_30default_config_static_selectorELNS0_4arch9wavefront6targetE0EEEvS12_.numbered_sgpr, 0
	.set _ZN7rocprim17ROCPRIM_400000_NS6detail17trampoline_kernelINS0_13select_configILj256ELj13ELNS0_17block_load_methodE3ELS4_3ELS4_3ELNS0_20block_scan_algorithmE0ELj4294967295EEENS1_25partition_config_selectorILNS1_17partition_subalgoE4EjNS0_10empty_typeEbEEZZNS1_14partition_implILS8_4ELb0ES6_15HIP_vector_typeIjLj2EENS0_17counting_iteratorIjlEEPS9_SG_NS0_5tupleIJPjSI_NS0_16reverse_iteratorISI_EEEEENSH_IJSG_SG_SG_EEES9_SI_JZNS1_25segmented_radix_sort_implINS0_14default_configELb0EPKsPsPKlPlN2at6native12_GLOBAL__N_18offset_tEEE10hipError_tPvRmT1_PNSt15iterator_traitsIS12_E10value_typeET2_T3_PNS13_IS18_E10value_typeET4_jRbjT5_S1E_jjP12ihipStream_tbEUljE_ZNSN_ISO_Lb0ESQ_SR_ST_SU_SY_EESZ_S10_S11_S12_S16_S17_S18_S1B_S1C_jS1D_jS1E_S1E_jjS1G_bEUljE0_EEESZ_S10_S11_S18_S1C_S1E_T6_T7_T9_mT8_S1G_bDpT10_ENKUlT_T0_E_clISt17integral_constantIbLb0EES1T_IbLb1EEEEDaS1P_S1Q_EUlS1P_E_NS1_11comp_targetILNS1_3genE0ELNS1_11target_archE4294967295ELNS1_3gpuE0ELNS1_3repE0EEENS1_30default_config_static_selectorELNS0_4arch9wavefront6targetE0EEEvS12_.num_named_barrier, 0
	.set _ZN7rocprim17ROCPRIM_400000_NS6detail17trampoline_kernelINS0_13select_configILj256ELj13ELNS0_17block_load_methodE3ELS4_3ELS4_3ELNS0_20block_scan_algorithmE0ELj4294967295EEENS1_25partition_config_selectorILNS1_17partition_subalgoE4EjNS0_10empty_typeEbEEZZNS1_14partition_implILS8_4ELb0ES6_15HIP_vector_typeIjLj2EENS0_17counting_iteratorIjlEEPS9_SG_NS0_5tupleIJPjSI_NS0_16reverse_iteratorISI_EEEEENSH_IJSG_SG_SG_EEES9_SI_JZNS1_25segmented_radix_sort_implINS0_14default_configELb0EPKsPsPKlPlN2at6native12_GLOBAL__N_18offset_tEEE10hipError_tPvRmT1_PNSt15iterator_traitsIS12_E10value_typeET2_T3_PNS13_IS18_E10value_typeET4_jRbjT5_S1E_jjP12ihipStream_tbEUljE_ZNSN_ISO_Lb0ESQ_SR_ST_SU_SY_EESZ_S10_S11_S12_S16_S17_S18_S1B_S1C_jS1D_jS1E_S1E_jjS1G_bEUljE0_EEESZ_S10_S11_S18_S1C_S1E_T6_T7_T9_mT8_S1G_bDpT10_ENKUlT_T0_E_clISt17integral_constantIbLb0EES1T_IbLb1EEEEDaS1P_S1Q_EUlS1P_E_NS1_11comp_targetILNS1_3genE0ELNS1_11target_archE4294967295ELNS1_3gpuE0ELNS1_3repE0EEENS1_30default_config_static_selectorELNS0_4arch9wavefront6targetE0EEEvS12_.private_seg_size, 0
	.set _ZN7rocprim17ROCPRIM_400000_NS6detail17trampoline_kernelINS0_13select_configILj256ELj13ELNS0_17block_load_methodE3ELS4_3ELS4_3ELNS0_20block_scan_algorithmE0ELj4294967295EEENS1_25partition_config_selectorILNS1_17partition_subalgoE4EjNS0_10empty_typeEbEEZZNS1_14partition_implILS8_4ELb0ES6_15HIP_vector_typeIjLj2EENS0_17counting_iteratorIjlEEPS9_SG_NS0_5tupleIJPjSI_NS0_16reverse_iteratorISI_EEEEENSH_IJSG_SG_SG_EEES9_SI_JZNS1_25segmented_radix_sort_implINS0_14default_configELb0EPKsPsPKlPlN2at6native12_GLOBAL__N_18offset_tEEE10hipError_tPvRmT1_PNSt15iterator_traitsIS12_E10value_typeET2_T3_PNS13_IS18_E10value_typeET4_jRbjT5_S1E_jjP12ihipStream_tbEUljE_ZNSN_ISO_Lb0ESQ_SR_ST_SU_SY_EESZ_S10_S11_S12_S16_S17_S18_S1B_S1C_jS1D_jS1E_S1E_jjS1G_bEUljE0_EEESZ_S10_S11_S18_S1C_S1E_T6_T7_T9_mT8_S1G_bDpT10_ENKUlT_T0_E_clISt17integral_constantIbLb0EES1T_IbLb1EEEEDaS1P_S1Q_EUlS1P_E_NS1_11comp_targetILNS1_3genE0ELNS1_11target_archE4294967295ELNS1_3gpuE0ELNS1_3repE0EEENS1_30default_config_static_selectorELNS0_4arch9wavefront6targetE0EEEvS12_.uses_vcc, 0
	.set _ZN7rocprim17ROCPRIM_400000_NS6detail17trampoline_kernelINS0_13select_configILj256ELj13ELNS0_17block_load_methodE3ELS4_3ELS4_3ELNS0_20block_scan_algorithmE0ELj4294967295EEENS1_25partition_config_selectorILNS1_17partition_subalgoE4EjNS0_10empty_typeEbEEZZNS1_14partition_implILS8_4ELb0ES6_15HIP_vector_typeIjLj2EENS0_17counting_iteratorIjlEEPS9_SG_NS0_5tupleIJPjSI_NS0_16reverse_iteratorISI_EEEEENSH_IJSG_SG_SG_EEES9_SI_JZNS1_25segmented_radix_sort_implINS0_14default_configELb0EPKsPsPKlPlN2at6native12_GLOBAL__N_18offset_tEEE10hipError_tPvRmT1_PNSt15iterator_traitsIS12_E10value_typeET2_T3_PNS13_IS18_E10value_typeET4_jRbjT5_S1E_jjP12ihipStream_tbEUljE_ZNSN_ISO_Lb0ESQ_SR_ST_SU_SY_EESZ_S10_S11_S12_S16_S17_S18_S1B_S1C_jS1D_jS1E_S1E_jjS1G_bEUljE0_EEESZ_S10_S11_S18_S1C_S1E_T6_T7_T9_mT8_S1G_bDpT10_ENKUlT_T0_E_clISt17integral_constantIbLb0EES1T_IbLb1EEEEDaS1P_S1Q_EUlS1P_E_NS1_11comp_targetILNS1_3genE0ELNS1_11target_archE4294967295ELNS1_3gpuE0ELNS1_3repE0EEENS1_30default_config_static_selectorELNS0_4arch9wavefront6targetE0EEEvS12_.uses_flat_scratch, 0
	.set _ZN7rocprim17ROCPRIM_400000_NS6detail17trampoline_kernelINS0_13select_configILj256ELj13ELNS0_17block_load_methodE3ELS4_3ELS4_3ELNS0_20block_scan_algorithmE0ELj4294967295EEENS1_25partition_config_selectorILNS1_17partition_subalgoE4EjNS0_10empty_typeEbEEZZNS1_14partition_implILS8_4ELb0ES6_15HIP_vector_typeIjLj2EENS0_17counting_iteratorIjlEEPS9_SG_NS0_5tupleIJPjSI_NS0_16reverse_iteratorISI_EEEEENSH_IJSG_SG_SG_EEES9_SI_JZNS1_25segmented_radix_sort_implINS0_14default_configELb0EPKsPsPKlPlN2at6native12_GLOBAL__N_18offset_tEEE10hipError_tPvRmT1_PNSt15iterator_traitsIS12_E10value_typeET2_T3_PNS13_IS18_E10value_typeET4_jRbjT5_S1E_jjP12ihipStream_tbEUljE_ZNSN_ISO_Lb0ESQ_SR_ST_SU_SY_EESZ_S10_S11_S12_S16_S17_S18_S1B_S1C_jS1D_jS1E_S1E_jjS1G_bEUljE0_EEESZ_S10_S11_S18_S1C_S1E_T6_T7_T9_mT8_S1G_bDpT10_ENKUlT_T0_E_clISt17integral_constantIbLb0EES1T_IbLb1EEEEDaS1P_S1Q_EUlS1P_E_NS1_11comp_targetILNS1_3genE0ELNS1_11target_archE4294967295ELNS1_3gpuE0ELNS1_3repE0EEENS1_30default_config_static_selectorELNS0_4arch9wavefront6targetE0EEEvS12_.has_dyn_sized_stack, 0
	.set _ZN7rocprim17ROCPRIM_400000_NS6detail17trampoline_kernelINS0_13select_configILj256ELj13ELNS0_17block_load_methodE3ELS4_3ELS4_3ELNS0_20block_scan_algorithmE0ELj4294967295EEENS1_25partition_config_selectorILNS1_17partition_subalgoE4EjNS0_10empty_typeEbEEZZNS1_14partition_implILS8_4ELb0ES6_15HIP_vector_typeIjLj2EENS0_17counting_iteratorIjlEEPS9_SG_NS0_5tupleIJPjSI_NS0_16reverse_iteratorISI_EEEEENSH_IJSG_SG_SG_EEES9_SI_JZNS1_25segmented_radix_sort_implINS0_14default_configELb0EPKsPsPKlPlN2at6native12_GLOBAL__N_18offset_tEEE10hipError_tPvRmT1_PNSt15iterator_traitsIS12_E10value_typeET2_T3_PNS13_IS18_E10value_typeET4_jRbjT5_S1E_jjP12ihipStream_tbEUljE_ZNSN_ISO_Lb0ESQ_SR_ST_SU_SY_EESZ_S10_S11_S12_S16_S17_S18_S1B_S1C_jS1D_jS1E_S1E_jjS1G_bEUljE0_EEESZ_S10_S11_S18_S1C_S1E_T6_T7_T9_mT8_S1G_bDpT10_ENKUlT_T0_E_clISt17integral_constantIbLb0EES1T_IbLb1EEEEDaS1P_S1Q_EUlS1P_E_NS1_11comp_targetILNS1_3genE0ELNS1_11target_archE4294967295ELNS1_3gpuE0ELNS1_3repE0EEENS1_30default_config_static_selectorELNS0_4arch9wavefront6targetE0EEEvS12_.has_recursion, 0
	.set _ZN7rocprim17ROCPRIM_400000_NS6detail17trampoline_kernelINS0_13select_configILj256ELj13ELNS0_17block_load_methodE3ELS4_3ELS4_3ELNS0_20block_scan_algorithmE0ELj4294967295EEENS1_25partition_config_selectorILNS1_17partition_subalgoE4EjNS0_10empty_typeEbEEZZNS1_14partition_implILS8_4ELb0ES6_15HIP_vector_typeIjLj2EENS0_17counting_iteratorIjlEEPS9_SG_NS0_5tupleIJPjSI_NS0_16reverse_iteratorISI_EEEEENSH_IJSG_SG_SG_EEES9_SI_JZNS1_25segmented_radix_sort_implINS0_14default_configELb0EPKsPsPKlPlN2at6native12_GLOBAL__N_18offset_tEEE10hipError_tPvRmT1_PNSt15iterator_traitsIS12_E10value_typeET2_T3_PNS13_IS18_E10value_typeET4_jRbjT5_S1E_jjP12ihipStream_tbEUljE_ZNSN_ISO_Lb0ESQ_SR_ST_SU_SY_EESZ_S10_S11_S12_S16_S17_S18_S1B_S1C_jS1D_jS1E_S1E_jjS1G_bEUljE0_EEESZ_S10_S11_S18_S1C_S1E_T6_T7_T9_mT8_S1G_bDpT10_ENKUlT_T0_E_clISt17integral_constantIbLb0EES1T_IbLb1EEEEDaS1P_S1Q_EUlS1P_E_NS1_11comp_targetILNS1_3genE0ELNS1_11target_archE4294967295ELNS1_3gpuE0ELNS1_3repE0EEENS1_30default_config_static_selectorELNS0_4arch9wavefront6targetE0EEEvS12_.has_indirect_call, 0
	.section	.AMDGPU.csdata,"",@progbits
; Kernel info:
; codeLenInByte = 0
; TotalNumSgprs: 0
; NumVgprs: 0
; ScratchSize: 0
; MemoryBound: 0
; FloatMode: 240
; IeeeMode: 1
; LDSByteSize: 0 bytes/workgroup (compile time only)
; SGPRBlocks: 0
; VGPRBlocks: 0
; NumSGPRsForWavesPerEU: 1
; NumVGPRsForWavesPerEU: 1
; Occupancy: 16
; WaveLimiterHint : 0
; COMPUTE_PGM_RSRC2:SCRATCH_EN: 0
; COMPUTE_PGM_RSRC2:USER_SGPR: 2
; COMPUTE_PGM_RSRC2:TRAP_HANDLER: 0
; COMPUTE_PGM_RSRC2:TGID_X_EN: 1
; COMPUTE_PGM_RSRC2:TGID_Y_EN: 0
; COMPUTE_PGM_RSRC2:TGID_Z_EN: 0
; COMPUTE_PGM_RSRC2:TIDIG_COMP_CNT: 0
	.section	.text._ZN7rocprim17ROCPRIM_400000_NS6detail17trampoline_kernelINS0_13select_configILj256ELj13ELNS0_17block_load_methodE3ELS4_3ELS4_3ELNS0_20block_scan_algorithmE0ELj4294967295EEENS1_25partition_config_selectorILNS1_17partition_subalgoE4EjNS0_10empty_typeEbEEZZNS1_14partition_implILS8_4ELb0ES6_15HIP_vector_typeIjLj2EENS0_17counting_iteratorIjlEEPS9_SG_NS0_5tupleIJPjSI_NS0_16reverse_iteratorISI_EEEEENSH_IJSG_SG_SG_EEES9_SI_JZNS1_25segmented_radix_sort_implINS0_14default_configELb0EPKsPsPKlPlN2at6native12_GLOBAL__N_18offset_tEEE10hipError_tPvRmT1_PNSt15iterator_traitsIS12_E10value_typeET2_T3_PNS13_IS18_E10value_typeET4_jRbjT5_S1E_jjP12ihipStream_tbEUljE_ZNSN_ISO_Lb0ESQ_SR_ST_SU_SY_EESZ_S10_S11_S12_S16_S17_S18_S1B_S1C_jS1D_jS1E_S1E_jjS1G_bEUljE0_EEESZ_S10_S11_S18_S1C_S1E_T6_T7_T9_mT8_S1G_bDpT10_ENKUlT_T0_E_clISt17integral_constantIbLb0EES1T_IbLb1EEEEDaS1P_S1Q_EUlS1P_E_NS1_11comp_targetILNS1_3genE5ELNS1_11target_archE942ELNS1_3gpuE9ELNS1_3repE0EEENS1_30default_config_static_selectorELNS0_4arch9wavefront6targetE0EEEvS12_,"axG",@progbits,_ZN7rocprim17ROCPRIM_400000_NS6detail17trampoline_kernelINS0_13select_configILj256ELj13ELNS0_17block_load_methodE3ELS4_3ELS4_3ELNS0_20block_scan_algorithmE0ELj4294967295EEENS1_25partition_config_selectorILNS1_17partition_subalgoE4EjNS0_10empty_typeEbEEZZNS1_14partition_implILS8_4ELb0ES6_15HIP_vector_typeIjLj2EENS0_17counting_iteratorIjlEEPS9_SG_NS0_5tupleIJPjSI_NS0_16reverse_iteratorISI_EEEEENSH_IJSG_SG_SG_EEES9_SI_JZNS1_25segmented_radix_sort_implINS0_14default_configELb0EPKsPsPKlPlN2at6native12_GLOBAL__N_18offset_tEEE10hipError_tPvRmT1_PNSt15iterator_traitsIS12_E10value_typeET2_T3_PNS13_IS18_E10value_typeET4_jRbjT5_S1E_jjP12ihipStream_tbEUljE_ZNSN_ISO_Lb0ESQ_SR_ST_SU_SY_EESZ_S10_S11_S12_S16_S17_S18_S1B_S1C_jS1D_jS1E_S1E_jjS1G_bEUljE0_EEESZ_S10_S11_S18_S1C_S1E_T6_T7_T9_mT8_S1G_bDpT10_ENKUlT_T0_E_clISt17integral_constantIbLb0EES1T_IbLb1EEEEDaS1P_S1Q_EUlS1P_E_NS1_11comp_targetILNS1_3genE5ELNS1_11target_archE942ELNS1_3gpuE9ELNS1_3repE0EEENS1_30default_config_static_selectorELNS0_4arch9wavefront6targetE0EEEvS12_,comdat
	.globl	_ZN7rocprim17ROCPRIM_400000_NS6detail17trampoline_kernelINS0_13select_configILj256ELj13ELNS0_17block_load_methodE3ELS4_3ELS4_3ELNS0_20block_scan_algorithmE0ELj4294967295EEENS1_25partition_config_selectorILNS1_17partition_subalgoE4EjNS0_10empty_typeEbEEZZNS1_14partition_implILS8_4ELb0ES6_15HIP_vector_typeIjLj2EENS0_17counting_iteratorIjlEEPS9_SG_NS0_5tupleIJPjSI_NS0_16reverse_iteratorISI_EEEEENSH_IJSG_SG_SG_EEES9_SI_JZNS1_25segmented_radix_sort_implINS0_14default_configELb0EPKsPsPKlPlN2at6native12_GLOBAL__N_18offset_tEEE10hipError_tPvRmT1_PNSt15iterator_traitsIS12_E10value_typeET2_T3_PNS13_IS18_E10value_typeET4_jRbjT5_S1E_jjP12ihipStream_tbEUljE_ZNSN_ISO_Lb0ESQ_SR_ST_SU_SY_EESZ_S10_S11_S12_S16_S17_S18_S1B_S1C_jS1D_jS1E_S1E_jjS1G_bEUljE0_EEESZ_S10_S11_S18_S1C_S1E_T6_T7_T9_mT8_S1G_bDpT10_ENKUlT_T0_E_clISt17integral_constantIbLb0EES1T_IbLb1EEEEDaS1P_S1Q_EUlS1P_E_NS1_11comp_targetILNS1_3genE5ELNS1_11target_archE942ELNS1_3gpuE9ELNS1_3repE0EEENS1_30default_config_static_selectorELNS0_4arch9wavefront6targetE0EEEvS12_ ; -- Begin function _ZN7rocprim17ROCPRIM_400000_NS6detail17trampoline_kernelINS0_13select_configILj256ELj13ELNS0_17block_load_methodE3ELS4_3ELS4_3ELNS0_20block_scan_algorithmE0ELj4294967295EEENS1_25partition_config_selectorILNS1_17partition_subalgoE4EjNS0_10empty_typeEbEEZZNS1_14partition_implILS8_4ELb0ES6_15HIP_vector_typeIjLj2EENS0_17counting_iteratorIjlEEPS9_SG_NS0_5tupleIJPjSI_NS0_16reverse_iteratorISI_EEEEENSH_IJSG_SG_SG_EEES9_SI_JZNS1_25segmented_radix_sort_implINS0_14default_configELb0EPKsPsPKlPlN2at6native12_GLOBAL__N_18offset_tEEE10hipError_tPvRmT1_PNSt15iterator_traitsIS12_E10value_typeET2_T3_PNS13_IS18_E10value_typeET4_jRbjT5_S1E_jjP12ihipStream_tbEUljE_ZNSN_ISO_Lb0ESQ_SR_ST_SU_SY_EESZ_S10_S11_S12_S16_S17_S18_S1B_S1C_jS1D_jS1E_S1E_jjS1G_bEUljE0_EEESZ_S10_S11_S18_S1C_S1E_T6_T7_T9_mT8_S1G_bDpT10_ENKUlT_T0_E_clISt17integral_constantIbLb0EES1T_IbLb1EEEEDaS1P_S1Q_EUlS1P_E_NS1_11comp_targetILNS1_3genE5ELNS1_11target_archE942ELNS1_3gpuE9ELNS1_3repE0EEENS1_30default_config_static_selectorELNS0_4arch9wavefront6targetE0EEEvS12_
	.p2align	8
	.type	_ZN7rocprim17ROCPRIM_400000_NS6detail17trampoline_kernelINS0_13select_configILj256ELj13ELNS0_17block_load_methodE3ELS4_3ELS4_3ELNS0_20block_scan_algorithmE0ELj4294967295EEENS1_25partition_config_selectorILNS1_17partition_subalgoE4EjNS0_10empty_typeEbEEZZNS1_14partition_implILS8_4ELb0ES6_15HIP_vector_typeIjLj2EENS0_17counting_iteratorIjlEEPS9_SG_NS0_5tupleIJPjSI_NS0_16reverse_iteratorISI_EEEEENSH_IJSG_SG_SG_EEES9_SI_JZNS1_25segmented_radix_sort_implINS0_14default_configELb0EPKsPsPKlPlN2at6native12_GLOBAL__N_18offset_tEEE10hipError_tPvRmT1_PNSt15iterator_traitsIS12_E10value_typeET2_T3_PNS13_IS18_E10value_typeET4_jRbjT5_S1E_jjP12ihipStream_tbEUljE_ZNSN_ISO_Lb0ESQ_SR_ST_SU_SY_EESZ_S10_S11_S12_S16_S17_S18_S1B_S1C_jS1D_jS1E_S1E_jjS1G_bEUljE0_EEESZ_S10_S11_S18_S1C_S1E_T6_T7_T9_mT8_S1G_bDpT10_ENKUlT_T0_E_clISt17integral_constantIbLb0EES1T_IbLb1EEEEDaS1P_S1Q_EUlS1P_E_NS1_11comp_targetILNS1_3genE5ELNS1_11target_archE942ELNS1_3gpuE9ELNS1_3repE0EEENS1_30default_config_static_selectorELNS0_4arch9wavefront6targetE0EEEvS12_,@function
_ZN7rocprim17ROCPRIM_400000_NS6detail17trampoline_kernelINS0_13select_configILj256ELj13ELNS0_17block_load_methodE3ELS4_3ELS4_3ELNS0_20block_scan_algorithmE0ELj4294967295EEENS1_25partition_config_selectorILNS1_17partition_subalgoE4EjNS0_10empty_typeEbEEZZNS1_14partition_implILS8_4ELb0ES6_15HIP_vector_typeIjLj2EENS0_17counting_iteratorIjlEEPS9_SG_NS0_5tupleIJPjSI_NS0_16reverse_iteratorISI_EEEEENSH_IJSG_SG_SG_EEES9_SI_JZNS1_25segmented_radix_sort_implINS0_14default_configELb0EPKsPsPKlPlN2at6native12_GLOBAL__N_18offset_tEEE10hipError_tPvRmT1_PNSt15iterator_traitsIS12_E10value_typeET2_T3_PNS13_IS18_E10value_typeET4_jRbjT5_S1E_jjP12ihipStream_tbEUljE_ZNSN_ISO_Lb0ESQ_SR_ST_SU_SY_EESZ_S10_S11_S12_S16_S17_S18_S1B_S1C_jS1D_jS1E_S1E_jjS1G_bEUljE0_EEESZ_S10_S11_S18_S1C_S1E_T6_T7_T9_mT8_S1G_bDpT10_ENKUlT_T0_E_clISt17integral_constantIbLb0EES1T_IbLb1EEEEDaS1P_S1Q_EUlS1P_E_NS1_11comp_targetILNS1_3genE5ELNS1_11target_archE942ELNS1_3gpuE9ELNS1_3repE0EEENS1_30default_config_static_selectorELNS0_4arch9wavefront6targetE0EEEvS12_: ; @_ZN7rocprim17ROCPRIM_400000_NS6detail17trampoline_kernelINS0_13select_configILj256ELj13ELNS0_17block_load_methodE3ELS4_3ELS4_3ELNS0_20block_scan_algorithmE0ELj4294967295EEENS1_25partition_config_selectorILNS1_17partition_subalgoE4EjNS0_10empty_typeEbEEZZNS1_14partition_implILS8_4ELb0ES6_15HIP_vector_typeIjLj2EENS0_17counting_iteratorIjlEEPS9_SG_NS0_5tupleIJPjSI_NS0_16reverse_iteratorISI_EEEEENSH_IJSG_SG_SG_EEES9_SI_JZNS1_25segmented_radix_sort_implINS0_14default_configELb0EPKsPsPKlPlN2at6native12_GLOBAL__N_18offset_tEEE10hipError_tPvRmT1_PNSt15iterator_traitsIS12_E10value_typeET2_T3_PNS13_IS18_E10value_typeET4_jRbjT5_S1E_jjP12ihipStream_tbEUljE_ZNSN_ISO_Lb0ESQ_SR_ST_SU_SY_EESZ_S10_S11_S12_S16_S17_S18_S1B_S1C_jS1D_jS1E_S1E_jjS1G_bEUljE0_EEESZ_S10_S11_S18_S1C_S1E_T6_T7_T9_mT8_S1G_bDpT10_ENKUlT_T0_E_clISt17integral_constantIbLb0EES1T_IbLb1EEEEDaS1P_S1Q_EUlS1P_E_NS1_11comp_targetILNS1_3genE5ELNS1_11target_archE942ELNS1_3gpuE9ELNS1_3repE0EEENS1_30default_config_static_selectorELNS0_4arch9wavefront6targetE0EEEvS12_
; %bb.0:
	.section	.rodata,"a",@progbits
	.p2align	6, 0x0
	.amdhsa_kernel _ZN7rocprim17ROCPRIM_400000_NS6detail17trampoline_kernelINS0_13select_configILj256ELj13ELNS0_17block_load_methodE3ELS4_3ELS4_3ELNS0_20block_scan_algorithmE0ELj4294967295EEENS1_25partition_config_selectorILNS1_17partition_subalgoE4EjNS0_10empty_typeEbEEZZNS1_14partition_implILS8_4ELb0ES6_15HIP_vector_typeIjLj2EENS0_17counting_iteratorIjlEEPS9_SG_NS0_5tupleIJPjSI_NS0_16reverse_iteratorISI_EEEEENSH_IJSG_SG_SG_EEES9_SI_JZNS1_25segmented_radix_sort_implINS0_14default_configELb0EPKsPsPKlPlN2at6native12_GLOBAL__N_18offset_tEEE10hipError_tPvRmT1_PNSt15iterator_traitsIS12_E10value_typeET2_T3_PNS13_IS18_E10value_typeET4_jRbjT5_S1E_jjP12ihipStream_tbEUljE_ZNSN_ISO_Lb0ESQ_SR_ST_SU_SY_EESZ_S10_S11_S12_S16_S17_S18_S1B_S1C_jS1D_jS1E_S1E_jjS1G_bEUljE0_EEESZ_S10_S11_S18_S1C_S1E_T6_T7_T9_mT8_S1G_bDpT10_ENKUlT_T0_E_clISt17integral_constantIbLb0EES1T_IbLb1EEEEDaS1P_S1Q_EUlS1P_E_NS1_11comp_targetILNS1_3genE5ELNS1_11target_archE942ELNS1_3gpuE9ELNS1_3repE0EEENS1_30default_config_static_selectorELNS0_4arch9wavefront6targetE0EEEvS12_
		.amdhsa_group_segment_fixed_size 0
		.amdhsa_private_segment_fixed_size 0
		.amdhsa_kernarg_size 184
		.amdhsa_user_sgpr_count 2
		.amdhsa_user_sgpr_dispatch_ptr 0
		.amdhsa_user_sgpr_queue_ptr 0
		.amdhsa_user_sgpr_kernarg_segment_ptr 1
		.amdhsa_user_sgpr_dispatch_id 0
		.amdhsa_user_sgpr_private_segment_size 0
		.amdhsa_wavefront_size32 1
		.amdhsa_uses_dynamic_stack 0
		.amdhsa_enable_private_segment 0
		.amdhsa_system_sgpr_workgroup_id_x 1
		.amdhsa_system_sgpr_workgroup_id_y 0
		.amdhsa_system_sgpr_workgroup_id_z 0
		.amdhsa_system_sgpr_workgroup_info 0
		.amdhsa_system_vgpr_workitem_id 0
		.amdhsa_next_free_vgpr 1
		.amdhsa_next_free_sgpr 1
		.amdhsa_reserve_vcc 0
		.amdhsa_float_round_mode_32 0
		.amdhsa_float_round_mode_16_64 0
		.amdhsa_float_denorm_mode_32 3
		.amdhsa_float_denorm_mode_16_64 3
		.amdhsa_fp16_overflow 0
		.amdhsa_workgroup_processor_mode 1
		.amdhsa_memory_ordered 1
		.amdhsa_forward_progress 1
		.amdhsa_inst_pref_size 0
		.amdhsa_round_robin_scheduling 0
		.amdhsa_exception_fp_ieee_invalid_op 0
		.amdhsa_exception_fp_denorm_src 0
		.amdhsa_exception_fp_ieee_div_zero 0
		.amdhsa_exception_fp_ieee_overflow 0
		.amdhsa_exception_fp_ieee_underflow 0
		.amdhsa_exception_fp_ieee_inexact 0
		.amdhsa_exception_int_div_zero 0
	.end_amdhsa_kernel
	.section	.text._ZN7rocprim17ROCPRIM_400000_NS6detail17trampoline_kernelINS0_13select_configILj256ELj13ELNS0_17block_load_methodE3ELS4_3ELS4_3ELNS0_20block_scan_algorithmE0ELj4294967295EEENS1_25partition_config_selectorILNS1_17partition_subalgoE4EjNS0_10empty_typeEbEEZZNS1_14partition_implILS8_4ELb0ES6_15HIP_vector_typeIjLj2EENS0_17counting_iteratorIjlEEPS9_SG_NS0_5tupleIJPjSI_NS0_16reverse_iteratorISI_EEEEENSH_IJSG_SG_SG_EEES9_SI_JZNS1_25segmented_radix_sort_implINS0_14default_configELb0EPKsPsPKlPlN2at6native12_GLOBAL__N_18offset_tEEE10hipError_tPvRmT1_PNSt15iterator_traitsIS12_E10value_typeET2_T3_PNS13_IS18_E10value_typeET4_jRbjT5_S1E_jjP12ihipStream_tbEUljE_ZNSN_ISO_Lb0ESQ_SR_ST_SU_SY_EESZ_S10_S11_S12_S16_S17_S18_S1B_S1C_jS1D_jS1E_S1E_jjS1G_bEUljE0_EEESZ_S10_S11_S18_S1C_S1E_T6_T7_T9_mT8_S1G_bDpT10_ENKUlT_T0_E_clISt17integral_constantIbLb0EES1T_IbLb1EEEEDaS1P_S1Q_EUlS1P_E_NS1_11comp_targetILNS1_3genE5ELNS1_11target_archE942ELNS1_3gpuE9ELNS1_3repE0EEENS1_30default_config_static_selectorELNS0_4arch9wavefront6targetE0EEEvS12_,"axG",@progbits,_ZN7rocprim17ROCPRIM_400000_NS6detail17trampoline_kernelINS0_13select_configILj256ELj13ELNS0_17block_load_methodE3ELS4_3ELS4_3ELNS0_20block_scan_algorithmE0ELj4294967295EEENS1_25partition_config_selectorILNS1_17partition_subalgoE4EjNS0_10empty_typeEbEEZZNS1_14partition_implILS8_4ELb0ES6_15HIP_vector_typeIjLj2EENS0_17counting_iteratorIjlEEPS9_SG_NS0_5tupleIJPjSI_NS0_16reverse_iteratorISI_EEEEENSH_IJSG_SG_SG_EEES9_SI_JZNS1_25segmented_radix_sort_implINS0_14default_configELb0EPKsPsPKlPlN2at6native12_GLOBAL__N_18offset_tEEE10hipError_tPvRmT1_PNSt15iterator_traitsIS12_E10value_typeET2_T3_PNS13_IS18_E10value_typeET4_jRbjT5_S1E_jjP12ihipStream_tbEUljE_ZNSN_ISO_Lb0ESQ_SR_ST_SU_SY_EESZ_S10_S11_S12_S16_S17_S18_S1B_S1C_jS1D_jS1E_S1E_jjS1G_bEUljE0_EEESZ_S10_S11_S18_S1C_S1E_T6_T7_T9_mT8_S1G_bDpT10_ENKUlT_T0_E_clISt17integral_constantIbLb0EES1T_IbLb1EEEEDaS1P_S1Q_EUlS1P_E_NS1_11comp_targetILNS1_3genE5ELNS1_11target_archE942ELNS1_3gpuE9ELNS1_3repE0EEENS1_30default_config_static_selectorELNS0_4arch9wavefront6targetE0EEEvS12_,comdat
.Lfunc_end975:
	.size	_ZN7rocprim17ROCPRIM_400000_NS6detail17trampoline_kernelINS0_13select_configILj256ELj13ELNS0_17block_load_methodE3ELS4_3ELS4_3ELNS0_20block_scan_algorithmE0ELj4294967295EEENS1_25partition_config_selectorILNS1_17partition_subalgoE4EjNS0_10empty_typeEbEEZZNS1_14partition_implILS8_4ELb0ES6_15HIP_vector_typeIjLj2EENS0_17counting_iteratorIjlEEPS9_SG_NS0_5tupleIJPjSI_NS0_16reverse_iteratorISI_EEEEENSH_IJSG_SG_SG_EEES9_SI_JZNS1_25segmented_radix_sort_implINS0_14default_configELb0EPKsPsPKlPlN2at6native12_GLOBAL__N_18offset_tEEE10hipError_tPvRmT1_PNSt15iterator_traitsIS12_E10value_typeET2_T3_PNS13_IS18_E10value_typeET4_jRbjT5_S1E_jjP12ihipStream_tbEUljE_ZNSN_ISO_Lb0ESQ_SR_ST_SU_SY_EESZ_S10_S11_S12_S16_S17_S18_S1B_S1C_jS1D_jS1E_S1E_jjS1G_bEUljE0_EEESZ_S10_S11_S18_S1C_S1E_T6_T7_T9_mT8_S1G_bDpT10_ENKUlT_T0_E_clISt17integral_constantIbLb0EES1T_IbLb1EEEEDaS1P_S1Q_EUlS1P_E_NS1_11comp_targetILNS1_3genE5ELNS1_11target_archE942ELNS1_3gpuE9ELNS1_3repE0EEENS1_30default_config_static_selectorELNS0_4arch9wavefront6targetE0EEEvS12_, .Lfunc_end975-_ZN7rocprim17ROCPRIM_400000_NS6detail17trampoline_kernelINS0_13select_configILj256ELj13ELNS0_17block_load_methodE3ELS4_3ELS4_3ELNS0_20block_scan_algorithmE0ELj4294967295EEENS1_25partition_config_selectorILNS1_17partition_subalgoE4EjNS0_10empty_typeEbEEZZNS1_14partition_implILS8_4ELb0ES6_15HIP_vector_typeIjLj2EENS0_17counting_iteratorIjlEEPS9_SG_NS0_5tupleIJPjSI_NS0_16reverse_iteratorISI_EEEEENSH_IJSG_SG_SG_EEES9_SI_JZNS1_25segmented_radix_sort_implINS0_14default_configELb0EPKsPsPKlPlN2at6native12_GLOBAL__N_18offset_tEEE10hipError_tPvRmT1_PNSt15iterator_traitsIS12_E10value_typeET2_T3_PNS13_IS18_E10value_typeET4_jRbjT5_S1E_jjP12ihipStream_tbEUljE_ZNSN_ISO_Lb0ESQ_SR_ST_SU_SY_EESZ_S10_S11_S12_S16_S17_S18_S1B_S1C_jS1D_jS1E_S1E_jjS1G_bEUljE0_EEESZ_S10_S11_S18_S1C_S1E_T6_T7_T9_mT8_S1G_bDpT10_ENKUlT_T0_E_clISt17integral_constantIbLb0EES1T_IbLb1EEEEDaS1P_S1Q_EUlS1P_E_NS1_11comp_targetILNS1_3genE5ELNS1_11target_archE942ELNS1_3gpuE9ELNS1_3repE0EEENS1_30default_config_static_selectorELNS0_4arch9wavefront6targetE0EEEvS12_
                                        ; -- End function
	.set _ZN7rocprim17ROCPRIM_400000_NS6detail17trampoline_kernelINS0_13select_configILj256ELj13ELNS0_17block_load_methodE3ELS4_3ELS4_3ELNS0_20block_scan_algorithmE0ELj4294967295EEENS1_25partition_config_selectorILNS1_17partition_subalgoE4EjNS0_10empty_typeEbEEZZNS1_14partition_implILS8_4ELb0ES6_15HIP_vector_typeIjLj2EENS0_17counting_iteratorIjlEEPS9_SG_NS0_5tupleIJPjSI_NS0_16reverse_iteratorISI_EEEEENSH_IJSG_SG_SG_EEES9_SI_JZNS1_25segmented_radix_sort_implINS0_14default_configELb0EPKsPsPKlPlN2at6native12_GLOBAL__N_18offset_tEEE10hipError_tPvRmT1_PNSt15iterator_traitsIS12_E10value_typeET2_T3_PNS13_IS18_E10value_typeET4_jRbjT5_S1E_jjP12ihipStream_tbEUljE_ZNSN_ISO_Lb0ESQ_SR_ST_SU_SY_EESZ_S10_S11_S12_S16_S17_S18_S1B_S1C_jS1D_jS1E_S1E_jjS1G_bEUljE0_EEESZ_S10_S11_S18_S1C_S1E_T6_T7_T9_mT8_S1G_bDpT10_ENKUlT_T0_E_clISt17integral_constantIbLb0EES1T_IbLb1EEEEDaS1P_S1Q_EUlS1P_E_NS1_11comp_targetILNS1_3genE5ELNS1_11target_archE942ELNS1_3gpuE9ELNS1_3repE0EEENS1_30default_config_static_selectorELNS0_4arch9wavefront6targetE0EEEvS12_.num_vgpr, 0
	.set _ZN7rocprim17ROCPRIM_400000_NS6detail17trampoline_kernelINS0_13select_configILj256ELj13ELNS0_17block_load_methodE3ELS4_3ELS4_3ELNS0_20block_scan_algorithmE0ELj4294967295EEENS1_25partition_config_selectorILNS1_17partition_subalgoE4EjNS0_10empty_typeEbEEZZNS1_14partition_implILS8_4ELb0ES6_15HIP_vector_typeIjLj2EENS0_17counting_iteratorIjlEEPS9_SG_NS0_5tupleIJPjSI_NS0_16reverse_iteratorISI_EEEEENSH_IJSG_SG_SG_EEES9_SI_JZNS1_25segmented_radix_sort_implINS0_14default_configELb0EPKsPsPKlPlN2at6native12_GLOBAL__N_18offset_tEEE10hipError_tPvRmT1_PNSt15iterator_traitsIS12_E10value_typeET2_T3_PNS13_IS18_E10value_typeET4_jRbjT5_S1E_jjP12ihipStream_tbEUljE_ZNSN_ISO_Lb0ESQ_SR_ST_SU_SY_EESZ_S10_S11_S12_S16_S17_S18_S1B_S1C_jS1D_jS1E_S1E_jjS1G_bEUljE0_EEESZ_S10_S11_S18_S1C_S1E_T6_T7_T9_mT8_S1G_bDpT10_ENKUlT_T0_E_clISt17integral_constantIbLb0EES1T_IbLb1EEEEDaS1P_S1Q_EUlS1P_E_NS1_11comp_targetILNS1_3genE5ELNS1_11target_archE942ELNS1_3gpuE9ELNS1_3repE0EEENS1_30default_config_static_selectorELNS0_4arch9wavefront6targetE0EEEvS12_.num_agpr, 0
	.set _ZN7rocprim17ROCPRIM_400000_NS6detail17trampoline_kernelINS0_13select_configILj256ELj13ELNS0_17block_load_methodE3ELS4_3ELS4_3ELNS0_20block_scan_algorithmE0ELj4294967295EEENS1_25partition_config_selectorILNS1_17partition_subalgoE4EjNS0_10empty_typeEbEEZZNS1_14partition_implILS8_4ELb0ES6_15HIP_vector_typeIjLj2EENS0_17counting_iteratorIjlEEPS9_SG_NS0_5tupleIJPjSI_NS0_16reverse_iteratorISI_EEEEENSH_IJSG_SG_SG_EEES9_SI_JZNS1_25segmented_radix_sort_implINS0_14default_configELb0EPKsPsPKlPlN2at6native12_GLOBAL__N_18offset_tEEE10hipError_tPvRmT1_PNSt15iterator_traitsIS12_E10value_typeET2_T3_PNS13_IS18_E10value_typeET4_jRbjT5_S1E_jjP12ihipStream_tbEUljE_ZNSN_ISO_Lb0ESQ_SR_ST_SU_SY_EESZ_S10_S11_S12_S16_S17_S18_S1B_S1C_jS1D_jS1E_S1E_jjS1G_bEUljE0_EEESZ_S10_S11_S18_S1C_S1E_T6_T7_T9_mT8_S1G_bDpT10_ENKUlT_T0_E_clISt17integral_constantIbLb0EES1T_IbLb1EEEEDaS1P_S1Q_EUlS1P_E_NS1_11comp_targetILNS1_3genE5ELNS1_11target_archE942ELNS1_3gpuE9ELNS1_3repE0EEENS1_30default_config_static_selectorELNS0_4arch9wavefront6targetE0EEEvS12_.numbered_sgpr, 0
	.set _ZN7rocprim17ROCPRIM_400000_NS6detail17trampoline_kernelINS0_13select_configILj256ELj13ELNS0_17block_load_methodE3ELS4_3ELS4_3ELNS0_20block_scan_algorithmE0ELj4294967295EEENS1_25partition_config_selectorILNS1_17partition_subalgoE4EjNS0_10empty_typeEbEEZZNS1_14partition_implILS8_4ELb0ES6_15HIP_vector_typeIjLj2EENS0_17counting_iteratorIjlEEPS9_SG_NS0_5tupleIJPjSI_NS0_16reverse_iteratorISI_EEEEENSH_IJSG_SG_SG_EEES9_SI_JZNS1_25segmented_radix_sort_implINS0_14default_configELb0EPKsPsPKlPlN2at6native12_GLOBAL__N_18offset_tEEE10hipError_tPvRmT1_PNSt15iterator_traitsIS12_E10value_typeET2_T3_PNS13_IS18_E10value_typeET4_jRbjT5_S1E_jjP12ihipStream_tbEUljE_ZNSN_ISO_Lb0ESQ_SR_ST_SU_SY_EESZ_S10_S11_S12_S16_S17_S18_S1B_S1C_jS1D_jS1E_S1E_jjS1G_bEUljE0_EEESZ_S10_S11_S18_S1C_S1E_T6_T7_T9_mT8_S1G_bDpT10_ENKUlT_T0_E_clISt17integral_constantIbLb0EES1T_IbLb1EEEEDaS1P_S1Q_EUlS1P_E_NS1_11comp_targetILNS1_3genE5ELNS1_11target_archE942ELNS1_3gpuE9ELNS1_3repE0EEENS1_30default_config_static_selectorELNS0_4arch9wavefront6targetE0EEEvS12_.num_named_barrier, 0
	.set _ZN7rocprim17ROCPRIM_400000_NS6detail17trampoline_kernelINS0_13select_configILj256ELj13ELNS0_17block_load_methodE3ELS4_3ELS4_3ELNS0_20block_scan_algorithmE0ELj4294967295EEENS1_25partition_config_selectorILNS1_17partition_subalgoE4EjNS0_10empty_typeEbEEZZNS1_14partition_implILS8_4ELb0ES6_15HIP_vector_typeIjLj2EENS0_17counting_iteratorIjlEEPS9_SG_NS0_5tupleIJPjSI_NS0_16reverse_iteratorISI_EEEEENSH_IJSG_SG_SG_EEES9_SI_JZNS1_25segmented_radix_sort_implINS0_14default_configELb0EPKsPsPKlPlN2at6native12_GLOBAL__N_18offset_tEEE10hipError_tPvRmT1_PNSt15iterator_traitsIS12_E10value_typeET2_T3_PNS13_IS18_E10value_typeET4_jRbjT5_S1E_jjP12ihipStream_tbEUljE_ZNSN_ISO_Lb0ESQ_SR_ST_SU_SY_EESZ_S10_S11_S12_S16_S17_S18_S1B_S1C_jS1D_jS1E_S1E_jjS1G_bEUljE0_EEESZ_S10_S11_S18_S1C_S1E_T6_T7_T9_mT8_S1G_bDpT10_ENKUlT_T0_E_clISt17integral_constantIbLb0EES1T_IbLb1EEEEDaS1P_S1Q_EUlS1P_E_NS1_11comp_targetILNS1_3genE5ELNS1_11target_archE942ELNS1_3gpuE9ELNS1_3repE0EEENS1_30default_config_static_selectorELNS0_4arch9wavefront6targetE0EEEvS12_.private_seg_size, 0
	.set _ZN7rocprim17ROCPRIM_400000_NS6detail17trampoline_kernelINS0_13select_configILj256ELj13ELNS0_17block_load_methodE3ELS4_3ELS4_3ELNS0_20block_scan_algorithmE0ELj4294967295EEENS1_25partition_config_selectorILNS1_17partition_subalgoE4EjNS0_10empty_typeEbEEZZNS1_14partition_implILS8_4ELb0ES6_15HIP_vector_typeIjLj2EENS0_17counting_iteratorIjlEEPS9_SG_NS0_5tupleIJPjSI_NS0_16reverse_iteratorISI_EEEEENSH_IJSG_SG_SG_EEES9_SI_JZNS1_25segmented_radix_sort_implINS0_14default_configELb0EPKsPsPKlPlN2at6native12_GLOBAL__N_18offset_tEEE10hipError_tPvRmT1_PNSt15iterator_traitsIS12_E10value_typeET2_T3_PNS13_IS18_E10value_typeET4_jRbjT5_S1E_jjP12ihipStream_tbEUljE_ZNSN_ISO_Lb0ESQ_SR_ST_SU_SY_EESZ_S10_S11_S12_S16_S17_S18_S1B_S1C_jS1D_jS1E_S1E_jjS1G_bEUljE0_EEESZ_S10_S11_S18_S1C_S1E_T6_T7_T9_mT8_S1G_bDpT10_ENKUlT_T0_E_clISt17integral_constantIbLb0EES1T_IbLb1EEEEDaS1P_S1Q_EUlS1P_E_NS1_11comp_targetILNS1_3genE5ELNS1_11target_archE942ELNS1_3gpuE9ELNS1_3repE0EEENS1_30default_config_static_selectorELNS0_4arch9wavefront6targetE0EEEvS12_.uses_vcc, 0
	.set _ZN7rocprim17ROCPRIM_400000_NS6detail17trampoline_kernelINS0_13select_configILj256ELj13ELNS0_17block_load_methodE3ELS4_3ELS4_3ELNS0_20block_scan_algorithmE0ELj4294967295EEENS1_25partition_config_selectorILNS1_17partition_subalgoE4EjNS0_10empty_typeEbEEZZNS1_14partition_implILS8_4ELb0ES6_15HIP_vector_typeIjLj2EENS0_17counting_iteratorIjlEEPS9_SG_NS0_5tupleIJPjSI_NS0_16reverse_iteratorISI_EEEEENSH_IJSG_SG_SG_EEES9_SI_JZNS1_25segmented_radix_sort_implINS0_14default_configELb0EPKsPsPKlPlN2at6native12_GLOBAL__N_18offset_tEEE10hipError_tPvRmT1_PNSt15iterator_traitsIS12_E10value_typeET2_T3_PNS13_IS18_E10value_typeET4_jRbjT5_S1E_jjP12ihipStream_tbEUljE_ZNSN_ISO_Lb0ESQ_SR_ST_SU_SY_EESZ_S10_S11_S12_S16_S17_S18_S1B_S1C_jS1D_jS1E_S1E_jjS1G_bEUljE0_EEESZ_S10_S11_S18_S1C_S1E_T6_T7_T9_mT8_S1G_bDpT10_ENKUlT_T0_E_clISt17integral_constantIbLb0EES1T_IbLb1EEEEDaS1P_S1Q_EUlS1P_E_NS1_11comp_targetILNS1_3genE5ELNS1_11target_archE942ELNS1_3gpuE9ELNS1_3repE0EEENS1_30default_config_static_selectorELNS0_4arch9wavefront6targetE0EEEvS12_.uses_flat_scratch, 0
	.set _ZN7rocprim17ROCPRIM_400000_NS6detail17trampoline_kernelINS0_13select_configILj256ELj13ELNS0_17block_load_methodE3ELS4_3ELS4_3ELNS0_20block_scan_algorithmE0ELj4294967295EEENS1_25partition_config_selectorILNS1_17partition_subalgoE4EjNS0_10empty_typeEbEEZZNS1_14partition_implILS8_4ELb0ES6_15HIP_vector_typeIjLj2EENS0_17counting_iteratorIjlEEPS9_SG_NS0_5tupleIJPjSI_NS0_16reverse_iteratorISI_EEEEENSH_IJSG_SG_SG_EEES9_SI_JZNS1_25segmented_radix_sort_implINS0_14default_configELb0EPKsPsPKlPlN2at6native12_GLOBAL__N_18offset_tEEE10hipError_tPvRmT1_PNSt15iterator_traitsIS12_E10value_typeET2_T3_PNS13_IS18_E10value_typeET4_jRbjT5_S1E_jjP12ihipStream_tbEUljE_ZNSN_ISO_Lb0ESQ_SR_ST_SU_SY_EESZ_S10_S11_S12_S16_S17_S18_S1B_S1C_jS1D_jS1E_S1E_jjS1G_bEUljE0_EEESZ_S10_S11_S18_S1C_S1E_T6_T7_T9_mT8_S1G_bDpT10_ENKUlT_T0_E_clISt17integral_constantIbLb0EES1T_IbLb1EEEEDaS1P_S1Q_EUlS1P_E_NS1_11comp_targetILNS1_3genE5ELNS1_11target_archE942ELNS1_3gpuE9ELNS1_3repE0EEENS1_30default_config_static_selectorELNS0_4arch9wavefront6targetE0EEEvS12_.has_dyn_sized_stack, 0
	.set _ZN7rocprim17ROCPRIM_400000_NS6detail17trampoline_kernelINS0_13select_configILj256ELj13ELNS0_17block_load_methodE3ELS4_3ELS4_3ELNS0_20block_scan_algorithmE0ELj4294967295EEENS1_25partition_config_selectorILNS1_17partition_subalgoE4EjNS0_10empty_typeEbEEZZNS1_14partition_implILS8_4ELb0ES6_15HIP_vector_typeIjLj2EENS0_17counting_iteratorIjlEEPS9_SG_NS0_5tupleIJPjSI_NS0_16reverse_iteratorISI_EEEEENSH_IJSG_SG_SG_EEES9_SI_JZNS1_25segmented_radix_sort_implINS0_14default_configELb0EPKsPsPKlPlN2at6native12_GLOBAL__N_18offset_tEEE10hipError_tPvRmT1_PNSt15iterator_traitsIS12_E10value_typeET2_T3_PNS13_IS18_E10value_typeET4_jRbjT5_S1E_jjP12ihipStream_tbEUljE_ZNSN_ISO_Lb0ESQ_SR_ST_SU_SY_EESZ_S10_S11_S12_S16_S17_S18_S1B_S1C_jS1D_jS1E_S1E_jjS1G_bEUljE0_EEESZ_S10_S11_S18_S1C_S1E_T6_T7_T9_mT8_S1G_bDpT10_ENKUlT_T0_E_clISt17integral_constantIbLb0EES1T_IbLb1EEEEDaS1P_S1Q_EUlS1P_E_NS1_11comp_targetILNS1_3genE5ELNS1_11target_archE942ELNS1_3gpuE9ELNS1_3repE0EEENS1_30default_config_static_selectorELNS0_4arch9wavefront6targetE0EEEvS12_.has_recursion, 0
	.set _ZN7rocprim17ROCPRIM_400000_NS6detail17trampoline_kernelINS0_13select_configILj256ELj13ELNS0_17block_load_methodE3ELS4_3ELS4_3ELNS0_20block_scan_algorithmE0ELj4294967295EEENS1_25partition_config_selectorILNS1_17partition_subalgoE4EjNS0_10empty_typeEbEEZZNS1_14partition_implILS8_4ELb0ES6_15HIP_vector_typeIjLj2EENS0_17counting_iteratorIjlEEPS9_SG_NS0_5tupleIJPjSI_NS0_16reverse_iteratorISI_EEEEENSH_IJSG_SG_SG_EEES9_SI_JZNS1_25segmented_radix_sort_implINS0_14default_configELb0EPKsPsPKlPlN2at6native12_GLOBAL__N_18offset_tEEE10hipError_tPvRmT1_PNSt15iterator_traitsIS12_E10value_typeET2_T3_PNS13_IS18_E10value_typeET4_jRbjT5_S1E_jjP12ihipStream_tbEUljE_ZNSN_ISO_Lb0ESQ_SR_ST_SU_SY_EESZ_S10_S11_S12_S16_S17_S18_S1B_S1C_jS1D_jS1E_S1E_jjS1G_bEUljE0_EEESZ_S10_S11_S18_S1C_S1E_T6_T7_T9_mT8_S1G_bDpT10_ENKUlT_T0_E_clISt17integral_constantIbLb0EES1T_IbLb1EEEEDaS1P_S1Q_EUlS1P_E_NS1_11comp_targetILNS1_3genE5ELNS1_11target_archE942ELNS1_3gpuE9ELNS1_3repE0EEENS1_30default_config_static_selectorELNS0_4arch9wavefront6targetE0EEEvS12_.has_indirect_call, 0
	.section	.AMDGPU.csdata,"",@progbits
; Kernel info:
; codeLenInByte = 0
; TotalNumSgprs: 0
; NumVgprs: 0
; ScratchSize: 0
; MemoryBound: 0
; FloatMode: 240
; IeeeMode: 1
; LDSByteSize: 0 bytes/workgroup (compile time only)
; SGPRBlocks: 0
; VGPRBlocks: 0
; NumSGPRsForWavesPerEU: 1
; NumVGPRsForWavesPerEU: 1
; Occupancy: 16
; WaveLimiterHint : 0
; COMPUTE_PGM_RSRC2:SCRATCH_EN: 0
; COMPUTE_PGM_RSRC2:USER_SGPR: 2
; COMPUTE_PGM_RSRC2:TRAP_HANDLER: 0
; COMPUTE_PGM_RSRC2:TGID_X_EN: 1
; COMPUTE_PGM_RSRC2:TGID_Y_EN: 0
; COMPUTE_PGM_RSRC2:TGID_Z_EN: 0
; COMPUTE_PGM_RSRC2:TIDIG_COMP_CNT: 0
	.section	.text._ZN7rocprim17ROCPRIM_400000_NS6detail17trampoline_kernelINS0_13select_configILj256ELj13ELNS0_17block_load_methodE3ELS4_3ELS4_3ELNS0_20block_scan_algorithmE0ELj4294967295EEENS1_25partition_config_selectorILNS1_17partition_subalgoE4EjNS0_10empty_typeEbEEZZNS1_14partition_implILS8_4ELb0ES6_15HIP_vector_typeIjLj2EENS0_17counting_iteratorIjlEEPS9_SG_NS0_5tupleIJPjSI_NS0_16reverse_iteratorISI_EEEEENSH_IJSG_SG_SG_EEES9_SI_JZNS1_25segmented_radix_sort_implINS0_14default_configELb0EPKsPsPKlPlN2at6native12_GLOBAL__N_18offset_tEEE10hipError_tPvRmT1_PNSt15iterator_traitsIS12_E10value_typeET2_T3_PNS13_IS18_E10value_typeET4_jRbjT5_S1E_jjP12ihipStream_tbEUljE_ZNSN_ISO_Lb0ESQ_SR_ST_SU_SY_EESZ_S10_S11_S12_S16_S17_S18_S1B_S1C_jS1D_jS1E_S1E_jjS1G_bEUljE0_EEESZ_S10_S11_S18_S1C_S1E_T6_T7_T9_mT8_S1G_bDpT10_ENKUlT_T0_E_clISt17integral_constantIbLb0EES1T_IbLb1EEEEDaS1P_S1Q_EUlS1P_E_NS1_11comp_targetILNS1_3genE4ELNS1_11target_archE910ELNS1_3gpuE8ELNS1_3repE0EEENS1_30default_config_static_selectorELNS0_4arch9wavefront6targetE0EEEvS12_,"axG",@progbits,_ZN7rocprim17ROCPRIM_400000_NS6detail17trampoline_kernelINS0_13select_configILj256ELj13ELNS0_17block_load_methodE3ELS4_3ELS4_3ELNS0_20block_scan_algorithmE0ELj4294967295EEENS1_25partition_config_selectorILNS1_17partition_subalgoE4EjNS0_10empty_typeEbEEZZNS1_14partition_implILS8_4ELb0ES6_15HIP_vector_typeIjLj2EENS0_17counting_iteratorIjlEEPS9_SG_NS0_5tupleIJPjSI_NS0_16reverse_iteratorISI_EEEEENSH_IJSG_SG_SG_EEES9_SI_JZNS1_25segmented_radix_sort_implINS0_14default_configELb0EPKsPsPKlPlN2at6native12_GLOBAL__N_18offset_tEEE10hipError_tPvRmT1_PNSt15iterator_traitsIS12_E10value_typeET2_T3_PNS13_IS18_E10value_typeET4_jRbjT5_S1E_jjP12ihipStream_tbEUljE_ZNSN_ISO_Lb0ESQ_SR_ST_SU_SY_EESZ_S10_S11_S12_S16_S17_S18_S1B_S1C_jS1D_jS1E_S1E_jjS1G_bEUljE0_EEESZ_S10_S11_S18_S1C_S1E_T6_T7_T9_mT8_S1G_bDpT10_ENKUlT_T0_E_clISt17integral_constantIbLb0EES1T_IbLb1EEEEDaS1P_S1Q_EUlS1P_E_NS1_11comp_targetILNS1_3genE4ELNS1_11target_archE910ELNS1_3gpuE8ELNS1_3repE0EEENS1_30default_config_static_selectorELNS0_4arch9wavefront6targetE0EEEvS12_,comdat
	.globl	_ZN7rocprim17ROCPRIM_400000_NS6detail17trampoline_kernelINS0_13select_configILj256ELj13ELNS0_17block_load_methodE3ELS4_3ELS4_3ELNS0_20block_scan_algorithmE0ELj4294967295EEENS1_25partition_config_selectorILNS1_17partition_subalgoE4EjNS0_10empty_typeEbEEZZNS1_14partition_implILS8_4ELb0ES6_15HIP_vector_typeIjLj2EENS0_17counting_iteratorIjlEEPS9_SG_NS0_5tupleIJPjSI_NS0_16reverse_iteratorISI_EEEEENSH_IJSG_SG_SG_EEES9_SI_JZNS1_25segmented_radix_sort_implINS0_14default_configELb0EPKsPsPKlPlN2at6native12_GLOBAL__N_18offset_tEEE10hipError_tPvRmT1_PNSt15iterator_traitsIS12_E10value_typeET2_T3_PNS13_IS18_E10value_typeET4_jRbjT5_S1E_jjP12ihipStream_tbEUljE_ZNSN_ISO_Lb0ESQ_SR_ST_SU_SY_EESZ_S10_S11_S12_S16_S17_S18_S1B_S1C_jS1D_jS1E_S1E_jjS1G_bEUljE0_EEESZ_S10_S11_S18_S1C_S1E_T6_T7_T9_mT8_S1G_bDpT10_ENKUlT_T0_E_clISt17integral_constantIbLb0EES1T_IbLb1EEEEDaS1P_S1Q_EUlS1P_E_NS1_11comp_targetILNS1_3genE4ELNS1_11target_archE910ELNS1_3gpuE8ELNS1_3repE0EEENS1_30default_config_static_selectorELNS0_4arch9wavefront6targetE0EEEvS12_ ; -- Begin function _ZN7rocprim17ROCPRIM_400000_NS6detail17trampoline_kernelINS0_13select_configILj256ELj13ELNS0_17block_load_methodE3ELS4_3ELS4_3ELNS0_20block_scan_algorithmE0ELj4294967295EEENS1_25partition_config_selectorILNS1_17partition_subalgoE4EjNS0_10empty_typeEbEEZZNS1_14partition_implILS8_4ELb0ES6_15HIP_vector_typeIjLj2EENS0_17counting_iteratorIjlEEPS9_SG_NS0_5tupleIJPjSI_NS0_16reverse_iteratorISI_EEEEENSH_IJSG_SG_SG_EEES9_SI_JZNS1_25segmented_radix_sort_implINS0_14default_configELb0EPKsPsPKlPlN2at6native12_GLOBAL__N_18offset_tEEE10hipError_tPvRmT1_PNSt15iterator_traitsIS12_E10value_typeET2_T3_PNS13_IS18_E10value_typeET4_jRbjT5_S1E_jjP12ihipStream_tbEUljE_ZNSN_ISO_Lb0ESQ_SR_ST_SU_SY_EESZ_S10_S11_S12_S16_S17_S18_S1B_S1C_jS1D_jS1E_S1E_jjS1G_bEUljE0_EEESZ_S10_S11_S18_S1C_S1E_T6_T7_T9_mT8_S1G_bDpT10_ENKUlT_T0_E_clISt17integral_constantIbLb0EES1T_IbLb1EEEEDaS1P_S1Q_EUlS1P_E_NS1_11comp_targetILNS1_3genE4ELNS1_11target_archE910ELNS1_3gpuE8ELNS1_3repE0EEENS1_30default_config_static_selectorELNS0_4arch9wavefront6targetE0EEEvS12_
	.p2align	8
	.type	_ZN7rocprim17ROCPRIM_400000_NS6detail17trampoline_kernelINS0_13select_configILj256ELj13ELNS0_17block_load_methodE3ELS4_3ELS4_3ELNS0_20block_scan_algorithmE0ELj4294967295EEENS1_25partition_config_selectorILNS1_17partition_subalgoE4EjNS0_10empty_typeEbEEZZNS1_14partition_implILS8_4ELb0ES6_15HIP_vector_typeIjLj2EENS0_17counting_iteratorIjlEEPS9_SG_NS0_5tupleIJPjSI_NS0_16reverse_iteratorISI_EEEEENSH_IJSG_SG_SG_EEES9_SI_JZNS1_25segmented_radix_sort_implINS0_14default_configELb0EPKsPsPKlPlN2at6native12_GLOBAL__N_18offset_tEEE10hipError_tPvRmT1_PNSt15iterator_traitsIS12_E10value_typeET2_T3_PNS13_IS18_E10value_typeET4_jRbjT5_S1E_jjP12ihipStream_tbEUljE_ZNSN_ISO_Lb0ESQ_SR_ST_SU_SY_EESZ_S10_S11_S12_S16_S17_S18_S1B_S1C_jS1D_jS1E_S1E_jjS1G_bEUljE0_EEESZ_S10_S11_S18_S1C_S1E_T6_T7_T9_mT8_S1G_bDpT10_ENKUlT_T0_E_clISt17integral_constantIbLb0EES1T_IbLb1EEEEDaS1P_S1Q_EUlS1P_E_NS1_11comp_targetILNS1_3genE4ELNS1_11target_archE910ELNS1_3gpuE8ELNS1_3repE0EEENS1_30default_config_static_selectorELNS0_4arch9wavefront6targetE0EEEvS12_,@function
_ZN7rocprim17ROCPRIM_400000_NS6detail17trampoline_kernelINS0_13select_configILj256ELj13ELNS0_17block_load_methodE3ELS4_3ELS4_3ELNS0_20block_scan_algorithmE0ELj4294967295EEENS1_25partition_config_selectorILNS1_17partition_subalgoE4EjNS0_10empty_typeEbEEZZNS1_14partition_implILS8_4ELb0ES6_15HIP_vector_typeIjLj2EENS0_17counting_iteratorIjlEEPS9_SG_NS0_5tupleIJPjSI_NS0_16reverse_iteratorISI_EEEEENSH_IJSG_SG_SG_EEES9_SI_JZNS1_25segmented_radix_sort_implINS0_14default_configELb0EPKsPsPKlPlN2at6native12_GLOBAL__N_18offset_tEEE10hipError_tPvRmT1_PNSt15iterator_traitsIS12_E10value_typeET2_T3_PNS13_IS18_E10value_typeET4_jRbjT5_S1E_jjP12ihipStream_tbEUljE_ZNSN_ISO_Lb0ESQ_SR_ST_SU_SY_EESZ_S10_S11_S12_S16_S17_S18_S1B_S1C_jS1D_jS1E_S1E_jjS1G_bEUljE0_EEESZ_S10_S11_S18_S1C_S1E_T6_T7_T9_mT8_S1G_bDpT10_ENKUlT_T0_E_clISt17integral_constantIbLb0EES1T_IbLb1EEEEDaS1P_S1Q_EUlS1P_E_NS1_11comp_targetILNS1_3genE4ELNS1_11target_archE910ELNS1_3gpuE8ELNS1_3repE0EEENS1_30default_config_static_selectorELNS0_4arch9wavefront6targetE0EEEvS12_: ; @_ZN7rocprim17ROCPRIM_400000_NS6detail17trampoline_kernelINS0_13select_configILj256ELj13ELNS0_17block_load_methodE3ELS4_3ELS4_3ELNS0_20block_scan_algorithmE0ELj4294967295EEENS1_25partition_config_selectorILNS1_17partition_subalgoE4EjNS0_10empty_typeEbEEZZNS1_14partition_implILS8_4ELb0ES6_15HIP_vector_typeIjLj2EENS0_17counting_iteratorIjlEEPS9_SG_NS0_5tupleIJPjSI_NS0_16reverse_iteratorISI_EEEEENSH_IJSG_SG_SG_EEES9_SI_JZNS1_25segmented_radix_sort_implINS0_14default_configELb0EPKsPsPKlPlN2at6native12_GLOBAL__N_18offset_tEEE10hipError_tPvRmT1_PNSt15iterator_traitsIS12_E10value_typeET2_T3_PNS13_IS18_E10value_typeET4_jRbjT5_S1E_jjP12ihipStream_tbEUljE_ZNSN_ISO_Lb0ESQ_SR_ST_SU_SY_EESZ_S10_S11_S12_S16_S17_S18_S1B_S1C_jS1D_jS1E_S1E_jjS1G_bEUljE0_EEESZ_S10_S11_S18_S1C_S1E_T6_T7_T9_mT8_S1G_bDpT10_ENKUlT_T0_E_clISt17integral_constantIbLb0EES1T_IbLb1EEEEDaS1P_S1Q_EUlS1P_E_NS1_11comp_targetILNS1_3genE4ELNS1_11target_archE910ELNS1_3gpuE8ELNS1_3repE0EEENS1_30default_config_static_selectorELNS0_4arch9wavefront6targetE0EEEvS12_
; %bb.0:
	.section	.rodata,"a",@progbits
	.p2align	6, 0x0
	.amdhsa_kernel _ZN7rocprim17ROCPRIM_400000_NS6detail17trampoline_kernelINS0_13select_configILj256ELj13ELNS0_17block_load_methodE3ELS4_3ELS4_3ELNS0_20block_scan_algorithmE0ELj4294967295EEENS1_25partition_config_selectorILNS1_17partition_subalgoE4EjNS0_10empty_typeEbEEZZNS1_14partition_implILS8_4ELb0ES6_15HIP_vector_typeIjLj2EENS0_17counting_iteratorIjlEEPS9_SG_NS0_5tupleIJPjSI_NS0_16reverse_iteratorISI_EEEEENSH_IJSG_SG_SG_EEES9_SI_JZNS1_25segmented_radix_sort_implINS0_14default_configELb0EPKsPsPKlPlN2at6native12_GLOBAL__N_18offset_tEEE10hipError_tPvRmT1_PNSt15iterator_traitsIS12_E10value_typeET2_T3_PNS13_IS18_E10value_typeET4_jRbjT5_S1E_jjP12ihipStream_tbEUljE_ZNSN_ISO_Lb0ESQ_SR_ST_SU_SY_EESZ_S10_S11_S12_S16_S17_S18_S1B_S1C_jS1D_jS1E_S1E_jjS1G_bEUljE0_EEESZ_S10_S11_S18_S1C_S1E_T6_T7_T9_mT8_S1G_bDpT10_ENKUlT_T0_E_clISt17integral_constantIbLb0EES1T_IbLb1EEEEDaS1P_S1Q_EUlS1P_E_NS1_11comp_targetILNS1_3genE4ELNS1_11target_archE910ELNS1_3gpuE8ELNS1_3repE0EEENS1_30default_config_static_selectorELNS0_4arch9wavefront6targetE0EEEvS12_
		.amdhsa_group_segment_fixed_size 0
		.amdhsa_private_segment_fixed_size 0
		.amdhsa_kernarg_size 184
		.amdhsa_user_sgpr_count 2
		.amdhsa_user_sgpr_dispatch_ptr 0
		.amdhsa_user_sgpr_queue_ptr 0
		.amdhsa_user_sgpr_kernarg_segment_ptr 1
		.amdhsa_user_sgpr_dispatch_id 0
		.amdhsa_user_sgpr_private_segment_size 0
		.amdhsa_wavefront_size32 1
		.amdhsa_uses_dynamic_stack 0
		.amdhsa_enable_private_segment 0
		.amdhsa_system_sgpr_workgroup_id_x 1
		.amdhsa_system_sgpr_workgroup_id_y 0
		.amdhsa_system_sgpr_workgroup_id_z 0
		.amdhsa_system_sgpr_workgroup_info 0
		.amdhsa_system_vgpr_workitem_id 0
		.amdhsa_next_free_vgpr 1
		.amdhsa_next_free_sgpr 1
		.amdhsa_reserve_vcc 0
		.amdhsa_float_round_mode_32 0
		.amdhsa_float_round_mode_16_64 0
		.amdhsa_float_denorm_mode_32 3
		.amdhsa_float_denorm_mode_16_64 3
		.amdhsa_fp16_overflow 0
		.amdhsa_workgroup_processor_mode 1
		.amdhsa_memory_ordered 1
		.amdhsa_forward_progress 1
		.amdhsa_inst_pref_size 0
		.amdhsa_round_robin_scheduling 0
		.amdhsa_exception_fp_ieee_invalid_op 0
		.amdhsa_exception_fp_denorm_src 0
		.amdhsa_exception_fp_ieee_div_zero 0
		.amdhsa_exception_fp_ieee_overflow 0
		.amdhsa_exception_fp_ieee_underflow 0
		.amdhsa_exception_fp_ieee_inexact 0
		.amdhsa_exception_int_div_zero 0
	.end_amdhsa_kernel
	.section	.text._ZN7rocprim17ROCPRIM_400000_NS6detail17trampoline_kernelINS0_13select_configILj256ELj13ELNS0_17block_load_methodE3ELS4_3ELS4_3ELNS0_20block_scan_algorithmE0ELj4294967295EEENS1_25partition_config_selectorILNS1_17partition_subalgoE4EjNS0_10empty_typeEbEEZZNS1_14partition_implILS8_4ELb0ES6_15HIP_vector_typeIjLj2EENS0_17counting_iteratorIjlEEPS9_SG_NS0_5tupleIJPjSI_NS0_16reverse_iteratorISI_EEEEENSH_IJSG_SG_SG_EEES9_SI_JZNS1_25segmented_radix_sort_implINS0_14default_configELb0EPKsPsPKlPlN2at6native12_GLOBAL__N_18offset_tEEE10hipError_tPvRmT1_PNSt15iterator_traitsIS12_E10value_typeET2_T3_PNS13_IS18_E10value_typeET4_jRbjT5_S1E_jjP12ihipStream_tbEUljE_ZNSN_ISO_Lb0ESQ_SR_ST_SU_SY_EESZ_S10_S11_S12_S16_S17_S18_S1B_S1C_jS1D_jS1E_S1E_jjS1G_bEUljE0_EEESZ_S10_S11_S18_S1C_S1E_T6_T7_T9_mT8_S1G_bDpT10_ENKUlT_T0_E_clISt17integral_constantIbLb0EES1T_IbLb1EEEEDaS1P_S1Q_EUlS1P_E_NS1_11comp_targetILNS1_3genE4ELNS1_11target_archE910ELNS1_3gpuE8ELNS1_3repE0EEENS1_30default_config_static_selectorELNS0_4arch9wavefront6targetE0EEEvS12_,"axG",@progbits,_ZN7rocprim17ROCPRIM_400000_NS6detail17trampoline_kernelINS0_13select_configILj256ELj13ELNS0_17block_load_methodE3ELS4_3ELS4_3ELNS0_20block_scan_algorithmE0ELj4294967295EEENS1_25partition_config_selectorILNS1_17partition_subalgoE4EjNS0_10empty_typeEbEEZZNS1_14partition_implILS8_4ELb0ES6_15HIP_vector_typeIjLj2EENS0_17counting_iteratorIjlEEPS9_SG_NS0_5tupleIJPjSI_NS0_16reverse_iteratorISI_EEEEENSH_IJSG_SG_SG_EEES9_SI_JZNS1_25segmented_radix_sort_implINS0_14default_configELb0EPKsPsPKlPlN2at6native12_GLOBAL__N_18offset_tEEE10hipError_tPvRmT1_PNSt15iterator_traitsIS12_E10value_typeET2_T3_PNS13_IS18_E10value_typeET4_jRbjT5_S1E_jjP12ihipStream_tbEUljE_ZNSN_ISO_Lb0ESQ_SR_ST_SU_SY_EESZ_S10_S11_S12_S16_S17_S18_S1B_S1C_jS1D_jS1E_S1E_jjS1G_bEUljE0_EEESZ_S10_S11_S18_S1C_S1E_T6_T7_T9_mT8_S1G_bDpT10_ENKUlT_T0_E_clISt17integral_constantIbLb0EES1T_IbLb1EEEEDaS1P_S1Q_EUlS1P_E_NS1_11comp_targetILNS1_3genE4ELNS1_11target_archE910ELNS1_3gpuE8ELNS1_3repE0EEENS1_30default_config_static_selectorELNS0_4arch9wavefront6targetE0EEEvS12_,comdat
.Lfunc_end976:
	.size	_ZN7rocprim17ROCPRIM_400000_NS6detail17trampoline_kernelINS0_13select_configILj256ELj13ELNS0_17block_load_methodE3ELS4_3ELS4_3ELNS0_20block_scan_algorithmE0ELj4294967295EEENS1_25partition_config_selectorILNS1_17partition_subalgoE4EjNS0_10empty_typeEbEEZZNS1_14partition_implILS8_4ELb0ES6_15HIP_vector_typeIjLj2EENS0_17counting_iteratorIjlEEPS9_SG_NS0_5tupleIJPjSI_NS0_16reverse_iteratorISI_EEEEENSH_IJSG_SG_SG_EEES9_SI_JZNS1_25segmented_radix_sort_implINS0_14default_configELb0EPKsPsPKlPlN2at6native12_GLOBAL__N_18offset_tEEE10hipError_tPvRmT1_PNSt15iterator_traitsIS12_E10value_typeET2_T3_PNS13_IS18_E10value_typeET4_jRbjT5_S1E_jjP12ihipStream_tbEUljE_ZNSN_ISO_Lb0ESQ_SR_ST_SU_SY_EESZ_S10_S11_S12_S16_S17_S18_S1B_S1C_jS1D_jS1E_S1E_jjS1G_bEUljE0_EEESZ_S10_S11_S18_S1C_S1E_T6_T7_T9_mT8_S1G_bDpT10_ENKUlT_T0_E_clISt17integral_constantIbLb0EES1T_IbLb1EEEEDaS1P_S1Q_EUlS1P_E_NS1_11comp_targetILNS1_3genE4ELNS1_11target_archE910ELNS1_3gpuE8ELNS1_3repE0EEENS1_30default_config_static_selectorELNS0_4arch9wavefront6targetE0EEEvS12_, .Lfunc_end976-_ZN7rocprim17ROCPRIM_400000_NS6detail17trampoline_kernelINS0_13select_configILj256ELj13ELNS0_17block_load_methodE3ELS4_3ELS4_3ELNS0_20block_scan_algorithmE0ELj4294967295EEENS1_25partition_config_selectorILNS1_17partition_subalgoE4EjNS0_10empty_typeEbEEZZNS1_14partition_implILS8_4ELb0ES6_15HIP_vector_typeIjLj2EENS0_17counting_iteratorIjlEEPS9_SG_NS0_5tupleIJPjSI_NS0_16reverse_iteratorISI_EEEEENSH_IJSG_SG_SG_EEES9_SI_JZNS1_25segmented_radix_sort_implINS0_14default_configELb0EPKsPsPKlPlN2at6native12_GLOBAL__N_18offset_tEEE10hipError_tPvRmT1_PNSt15iterator_traitsIS12_E10value_typeET2_T3_PNS13_IS18_E10value_typeET4_jRbjT5_S1E_jjP12ihipStream_tbEUljE_ZNSN_ISO_Lb0ESQ_SR_ST_SU_SY_EESZ_S10_S11_S12_S16_S17_S18_S1B_S1C_jS1D_jS1E_S1E_jjS1G_bEUljE0_EEESZ_S10_S11_S18_S1C_S1E_T6_T7_T9_mT8_S1G_bDpT10_ENKUlT_T0_E_clISt17integral_constantIbLb0EES1T_IbLb1EEEEDaS1P_S1Q_EUlS1P_E_NS1_11comp_targetILNS1_3genE4ELNS1_11target_archE910ELNS1_3gpuE8ELNS1_3repE0EEENS1_30default_config_static_selectorELNS0_4arch9wavefront6targetE0EEEvS12_
                                        ; -- End function
	.set _ZN7rocprim17ROCPRIM_400000_NS6detail17trampoline_kernelINS0_13select_configILj256ELj13ELNS0_17block_load_methodE3ELS4_3ELS4_3ELNS0_20block_scan_algorithmE0ELj4294967295EEENS1_25partition_config_selectorILNS1_17partition_subalgoE4EjNS0_10empty_typeEbEEZZNS1_14partition_implILS8_4ELb0ES6_15HIP_vector_typeIjLj2EENS0_17counting_iteratorIjlEEPS9_SG_NS0_5tupleIJPjSI_NS0_16reverse_iteratorISI_EEEEENSH_IJSG_SG_SG_EEES9_SI_JZNS1_25segmented_radix_sort_implINS0_14default_configELb0EPKsPsPKlPlN2at6native12_GLOBAL__N_18offset_tEEE10hipError_tPvRmT1_PNSt15iterator_traitsIS12_E10value_typeET2_T3_PNS13_IS18_E10value_typeET4_jRbjT5_S1E_jjP12ihipStream_tbEUljE_ZNSN_ISO_Lb0ESQ_SR_ST_SU_SY_EESZ_S10_S11_S12_S16_S17_S18_S1B_S1C_jS1D_jS1E_S1E_jjS1G_bEUljE0_EEESZ_S10_S11_S18_S1C_S1E_T6_T7_T9_mT8_S1G_bDpT10_ENKUlT_T0_E_clISt17integral_constantIbLb0EES1T_IbLb1EEEEDaS1P_S1Q_EUlS1P_E_NS1_11comp_targetILNS1_3genE4ELNS1_11target_archE910ELNS1_3gpuE8ELNS1_3repE0EEENS1_30default_config_static_selectorELNS0_4arch9wavefront6targetE0EEEvS12_.num_vgpr, 0
	.set _ZN7rocprim17ROCPRIM_400000_NS6detail17trampoline_kernelINS0_13select_configILj256ELj13ELNS0_17block_load_methodE3ELS4_3ELS4_3ELNS0_20block_scan_algorithmE0ELj4294967295EEENS1_25partition_config_selectorILNS1_17partition_subalgoE4EjNS0_10empty_typeEbEEZZNS1_14partition_implILS8_4ELb0ES6_15HIP_vector_typeIjLj2EENS0_17counting_iteratorIjlEEPS9_SG_NS0_5tupleIJPjSI_NS0_16reverse_iteratorISI_EEEEENSH_IJSG_SG_SG_EEES9_SI_JZNS1_25segmented_radix_sort_implINS0_14default_configELb0EPKsPsPKlPlN2at6native12_GLOBAL__N_18offset_tEEE10hipError_tPvRmT1_PNSt15iterator_traitsIS12_E10value_typeET2_T3_PNS13_IS18_E10value_typeET4_jRbjT5_S1E_jjP12ihipStream_tbEUljE_ZNSN_ISO_Lb0ESQ_SR_ST_SU_SY_EESZ_S10_S11_S12_S16_S17_S18_S1B_S1C_jS1D_jS1E_S1E_jjS1G_bEUljE0_EEESZ_S10_S11_S18_S1C_S1E_T6_T7_T9_mT8_S1G_bDpT10_ENKUlT_T0_E_clISt17integral_constantIbLb0EES1T_IbLb1EEEEDaS1P_S1Q_EUlS1P_E_NS1_11comp_targetILNS1_3genE4ELNS1_11target_archE910ELNS1_3gpuE8ELNS1_3repE0EEENS1_30default_config_static_selectorELNS0_4arch9wavefront6targetE0EEEvS12_.num_agpr, 0
	.set _ZN7rocprim17ROCPRIM_400000_NS6detail17trampoline_kernelINS0_13select_configILj256ELj13ELNS0_17block_load_methodE3ELS4_3ELS4_3ELNS0_20block_scan_algorithmE0ELj4294967295EEENS1_25partition_config_selectorILNS1_17partition_subalgoE4EjNS0_10empty_typeEbEEZZNS1_14partition_implILS8_4ELb0ES6_15HIP_vector_typeIjLj2EENS0_17counting_iteratorIjlEEPS9_SG_NS0_5tupleIJPjSI_NS0_16reverse_iteratorISI_EEEEENSH_IJSG_SG_SG_EEES9_SI_JZNS1_25segmented_radix_sort_implINS0_14default_configELb0EPKsPsPKlPlN2at6native12_GLOBAL__N_18offset_tEEE10hipError_tPvRmT1_PNSt15iterator_traitsIS12_E10value_typeET2_T3_PNS13_IS18_E10value_typeET4_jRbjT5_S1E_jjP12ihipStream_tbEUljE_ZNSN_ISO_Lb0ESQ_SR_ST_SU_SY_EESZ_S10_S11_S12_S16_S17_S18_S1B_S1C_jS1D_jS1E_S1E_jjS1G_bEUljE0_EEESZ_S10_S11_S18_S1C_S1E_T6_T7_T9_mT8_S1G_bDpT10_ENKUlT_T0_E_clISt17integral_constantIbLb0EES1T_IbLb1EEEEDaS1P_S1Q_EUlS1P_E_NS1_11comp_targetILNS1_3genE4ELNS1_11target_archE910ELNS1_3gpuE8ELNS1_3repE0EEENS1_30default_config_static_selectorELNS0_4arch9wavefront6targetE0EEEvS12_.numbered_sgpr, 0
	.set _ZN7rocprim17ROCPRIM_400000_NS6detail17trampoline_kernelINS0_13select_configILj256ELj13ELNS0_17block_load_methodE3ELS4_3ELS4_3ELNS0_20block_scan_algorithmE0ELj4294967295EEENS1_25partition_config_selectorILNS1_17partition_subalgoE4EjNS0_10empty_typeEbEEZZNS1_14partition_implILS8_4ELb0ES6_15HIP_vector_typeIjLj2EENS0_17counting_iteratorIjlEEPS9_SG_NS0_5tupleIJPjSI_NS0_16reverse_iteratorISI_EEEEENSH_IJSG_SG_SG_EEES9_SI_JZNS1_25segmented_radix_sort_implINS0_14default_configELb0EPKsPsPKlPlN2at6native12_GLOBAL__N_18offset_tEEE10hipError_tPvRmT1_PNSt15iterator_traitsIS12_E10value_typeET2_T3_PNS13_IS18_E10value_typeET4_jRbjT5_S1E_jjP12ihipStream_tbEUljE_ZNSN_ISO_Lb0ESQ_SR_ST_SU_SY_EESZ_S10_S11_S12_S16_S17_S18_S1B_S1C_jS1D_jS1E_S1E_jjS1G_bEUljE0_EEESZ_S10_S11_S18_S1C_S1E_T6_T7_T9_mT8_S1G_bDpT10_ENKUlT_T0_E_clISt17integral_constantIbLb0EES1T_IbLb1EEEEDaS1P_S1Q_EUlS1P_E_NS1_11comp_targetILNS1_3genE4ELNS1_11target_archE910ELNS1_3gpuE8ELNS1_3repE0EEENS1_30default_config_static_selectorELNS0_4arch9wavefront6targetE0EEEvS12_.num_named_barrier, 0
	.set _ZN7rocprim17ROCPRIM_400000_NS6detail17trampoline_kernelINS0_13select_configILj256ELj13ELNS0_17block_load_methodE3ELS4_3ELS4_3ELNS0_20block_scan_algorithmE0ELj4294967295EEENS1_25partition_config_selectorILNS1_17partition_subalgoE4EjNS0_10empty_typeEbEEZZNS1_14partition_implILS8_4ELb0ES6_15HIP_vector_typeIjLj2EENS0_17counting_iteratorIjlEEPS9_SG_NS0_5tupleIJPjSI_NS0_16reverse_iteratorISI_EEEEENSH_IJSG_SG_SG_EEES9_SI_JZNS1_25segmented_radix_sort_implINS0_14default_configELb0EPKsPsPKlPlN2at6native12_GLOBAL__N_18offset_tEEE10hipError_tPvRmT1_PNSt15iterator_traitsIS12_E10value_typeET2_T3_PNS13_IS18_E10value_typeET4_jRbjT5_S1E_jjP12ihipStream_tbEUljE_ZNSN_ISO_Lb0ESQ_SR_ST_SU_SY_EESZ_S10_S11_S12_S16_S17_S18_S1B_S1C_jS1D_jS1E_S1E_jjS1G_bEUljE0_EEESZ_S10_S11_S18_S1C_S1E_T6_T7_T9_mT8_S1G_bDpT10_ENKUlT_T0_E_clISt17integral_constantIbLb0EES1T_IbLb1EEEEDaS1P_S1Q_EUlS1P_E_NS1_11comp_targetILNS1_3genE4ELNS1_11target_archE910ELNS1_3gpuE8ELNS1_3repE0EEENS1_30default_config_static_selectorELNS0_4arch9wavefront6targetE0EEEvS12_.private_seg_size, 0
	.set _ZN7rocprim17ROCPRIM_400000_NS6detail17trampoline_kernelINS0_13select_configILj256ELj13ELNS0_17block_load_methodE3ELS4_3ELS4_3ELNS0_20block_scan_algorithmE0ELj4294967295EEENS1_25partition_config_selectorILNS1_17partition_subalgoE4EjNS0_10empty_typeEbEEZZNS1_14partition_implILS8_4ELb0ES6_15HIP_vector_typeIjLj2EENS0_17counting_iteratorIjlEEPS9_SG_NS0_5tupleIJPjSI_NS0_16reverse_iteratorISI_EEEEENSH_IJSG_SG_SG_EEES9_SI_JZNS1_25segmented_radix_sort_implINS0_14default_configELb0EPKsPsPKlPlN2at6native12_GLOBAL__N_18offset_tEEE10hipError_tPvRmT1_PNSt15iterator_traitsIS12_E10value_typeET2_T3_PNS13_IS18_E10value_typeET4_jRbjT5_S1E_jjP12ihipStream_tbEUljE_ZNSN_ISO_Lb0ESQ_SR_ST_SU_SY_EESZ_S10_S11_S12_S16_S17_S18_S1B_S1C_jS1D_jS1E_S1E_jjS1G_bEUljE0_EEESZ_S10_S11_S18_S1C_S1E_T6_T7_T9_mT8_S1G_bDpT10_ENKUlT_T0_E_clISt17integral_constantIbLb0EES1T_IbLb1EEEEDaS1P_S1Q_EUlS1P_E_NS1_11comp_targetILNS1_3genE4ELNS1_11target_archE910ELNS1_3gpuE8ELNS1_3repE0EEENS1_30default_config_static_selectorELNS0_4arch9wavefront6targetE0EEEvS12_.uses_vcc, 0
	.set _ZN7rocprim17ROCPRIM_400000_NS6detail17trampoline_kernelINS0_13select_configILj256ELj13ELNS0_17block_load_methodE3ELS4_3ELS4_3ELNS0_20block_scan_algorithmE0ELj4294967295EEENS1_25partition_config_selectorILNS1_17partition_subalgoE4EjNS0_10empty_typeEbEEZZNS1_14partition_implILS8_4ELb0ES6_15HIP_vector_typeIjLj2EENS0_17counting_iteratorIjlEEPS9_SG_NS0_5tupleIJPjSI_NS0_16reverse_iteratorISI_EEEEENSH_IJSG_SG_SG_EEES9_SI_JZNS1_25segmented_radix_sort_implINS0_14default_configELb0EPKsPsPKlPlN2at6native12_GLOBAL__N_18offset_tEEE10hipError_tPvRmT1_PNSt15iterator_traitsIS12_E10value_typeET2_T3_PNS13_IS18_E10value_typeET4_jRbjT5_S1E_jjP12ihipStream_tbEUljE_ZNSN_ISO_Lb0ESQ_SR_ST_SU_SY_EESZ_S10_S11_S12_S16_S17_S18_S1B_S1C_jS1D_jS1E_S1E_jjS1G_bEUljE0_EEESZ_S10_S11_S18_S1C_S1E_T6_T7_T9_mT8_S1G_bDpT10_ENKUlT_T0_E_clISt17integral_constantIbLb0EES1T_IbLb1EEEEDaS1P_S1Q_EUlS1P_E_NS1_11comp_targetILNS1_3genE4ELNS1_11target_archE910ELNS1_3gpuE8ELNS1_3repE0EEENS1_30default_config_static_selectorELNS0_4arch9wavefront6targetE0EEEvS12_.uses_flat_scratch, 0
	.set _ZN7rocprim17ROCPRIM_400000_NS6detail17trampoline_kernelINS0_13select_configILj256ELj13ELNS0_17block_load_methodE3ELS4_3ELS4_3ELNS0_20block_scan_algorithmE0ELj4294967295EEENS1_25partition_config_selectorILNS1_17partition_subalgoE4EjNS0_10empty_typeEbEEZZNS1_14partition_implILS8_4ELb0ES6_15HIP_vector_typeIjLj2EENS0_17counting_iteratorIjlEEPS9_SG_NS0_5tupleIJPjSI_NS0_16reverse_iteratorISI_EEEEENSH_IJSG_SG_SG_EEES9_SI_JZNS1_25segmented_radix_sort_implINS0_14default_configELb0EPKsPsPKlPlN2at6native12_GLOBAL__N_18offset_tEEE10hipError_tPvRmT1_PNSt15iterator_traitsIS12_E10value_typeET2_T3_PNS13_IS18_E10value_typeET4_jRbjT5_S1E_jjP12ihipStream_tbEUljE_ZNSN_ISO_Lb0ESQ_SR_ST_SU_SY_EESZ_S10_S11_S12_S16_S17_S18_S1B_S1C_jS1D_jS1E_S1E_jjS1G_bEUljE0_EEESZ_S10_S11_S18_S1C_S1E_T6_T7_T9_mT8_S1G_bDpT10_ENKUlT_T0_E_clISt17integral_constantIbLb0EES1T_IbLb1EEEEDaS1P_S1Q_EUlS1P_E_NS1_11comp_targetILNS1_3genE4ELNS1_11target_archE910ELNS1_3gpuE8ELNS1_3repE0EEENS1_30default_config_static_selectorELNS0_4arch9wavefront6targetE0EEEvS12_.has_dyn_sized_stack, 0
	.set _ZN7rocprim17ROCPRIM_400000_NS6detail17trampoline_kernelINS0_13select_configILj256ELj13ELNS0_17block_load_methodE3ELS4_3ELS4_3ELNS0_20block_scan_algorithmE0ELj4294967295EEENS1_25partition_config_selectorILNS1_17partition_subalgoE4EjNS0_10empty_typeEbEEZZNS1_14partition_implILS8_4ELb0ES6_15HIP_vector_typeIjLj2EENS0_17counting_iteratorIjlEEPS9_SG_NS0_5tupleIJPjSI_NS0_16reverse_iteratorISI_EEEEENSH_IJSG_SG_SG_EEES9_SI_JZNS1_25segmented_radix_sort_implINS0_14default_configELb0EPKsPsPKlPlN2at6native12_GLOBAL__N_18offset_tEEE10hipError_tPvRmT1_PNSt15iterator_traitsIS12_E10value_typeET2_T3_PNS13_IS18_E10value_typeET4_jRbjT5_S1E_jjP12ihipStream_tbEUljE_ZNSN_ISO_Lb0ESQ_SR_ST_SU_SY_EESZ_S10_S11_S12_S16_S17_S18_S1B_S1C_jS1D_jS1E_S1E_jjS1G_bEUljE0_EEESZ_S10_S11_S18_S1C_S1E_T6_T7_T9_mT8_S1G_bDpT10_ENKUlT_T0_E_clISt17integral_constantIbLb0EES1T_IbLb1EEEEDaS1P_S1Q_EUlS1P_E_NS1_11comp_targetILNS1_3genE4ELNS1_11target_archE910ELNS1_3gpuE8ELNS1_3repE0EEENS1_30default_config_static_selectorELNS0_4arch9wavefront6targetE0EEEvS12_.has_recursion, 0
	.set _ZN7rocprim17ROCPRIM_400000_NS6detail17trampoline_kernelINS0_13select_configILj256ELj13ELNS0_17block_load_methodE3ELS4_3ELS4_3ELNS0_20block_scan_algorithmE0ELj4294967295EEENS1_25partition_config_selectorILNS1_17partition_subalgoE4EjNS0_10empty_typeEbEEZZNS1_14partition_implILS8_4ELb0ES6_15HIP_vector_typeIjLj2EENS0_17counting_iteratorIjlEEPS9_SG_NS0_5tupleIJPjSI_NS0_16reverse_iteratorISI_EEEEENSH_IJSG_SG_SG_EEES9_SI_JZNS1_25segmented_radix_sort_implINS0_14default_configELb0EPKsPsPKlPlN2at6native12_GLOBAL__N_18offset_tEEE10hipError_tPvRmT1_PNSt15iterator_traitsIS12_E10value_typeET2_T3_PNS13_IS18_E10value_typeET4_jRbjT5_S1E_jjP12ihipStream_tbEUljE_ZNSN_ISO_Lb0ESQ_SR_ST_SU_SY_EESZ_S10_S11_S12_S16_S17_S18_S1B_S1C_jS1D_jS1E_S1E_jjS1G_bEUljE0_EEESZ_S10_S11_S18_S1C_S1E_T6_T7_T9_mT8_S1G_bDpT10_ENKUlT_T0_E_clISt17integral_constantIbLb0EES1T_IbLb1EEEEDaS1P_S1Q_EUlS1P_E_NS1_11comp_targetILNS1_3genE4ELNS1_11target_archE910ELNS1_3gpuE8ELNS1_3repE0EEENS1_30default_config_static_selectorELNS0_4arch9wavefront6targetE0EEEvS12_.has_indirect_call, 0
	.section	.AMDGPU.csdata,"",@progbits
; Kernel info:
; codeLenInByte = 0
; TotalNumSgprs: 0
; NumVgprs: 0
; ScratchSize: 0
; MemoryBound: 0
; FloatMode: 240
; IeeeMode: 1
; LDSByteSize: 0 bytes/workgroup (compile time only)
; SGPRBlocks: 0
; VGPRBlocks: 0
; NumSGPRsForWavesPerEU: 1
; NumVGPRsForWavesPerEU: 1
; Occupancy: 16
; WaveLimiterHint : 0
; COMPUTE_PGM_RSRC2:SCRATCH_EN: 0
; COMPUTE_PGM_RSRC2:USER_SGPR: 2
; COMPUTE_PGM_RSRC2:TRAP_HANDLER: 0
; COMPUTE_PGM_RSRC2:TGID_X_EN: 1
; COMPUTE_PGM_RSRC2:TGID_Y_EN: 0
; COMPUTE_PGM_RSRC2:TGID_Z_EN: 0
; COMPUTE_PGM_RSRC2:TIDIG_COMP_CNT: 0
	.section	.text._ZN7rocprim17ROCPRIM_400000_NS6detail17trampoline_kernelINS0_13select_configILj256ELj13ELNS0_17block_load_methodE3ELS4_3ELS4_3ELNS0_20block_scan_algorithmE0ELj4294967295EEENS1_25partition_config_selectorILNS1_17partition_subalgoE4EjNS0_10empty_typeEbEEZZNS1_14partition_implILS8_4ELb0ES6_15HIP_vector_typeIjLj2EENS0_17counting_iteratorIjlEEPS9_SG_NS0_5tupleIJPjSI_NS0_16reverse_iteratorISI_EEEEENSH_IJSG_SG_SG_EEES9_SI_JZNS1_25segmented_radix_sort_implINS0_14default_configELb0EPKsPsPKlPlN2at6native12_GLOBAL__N_18offset_tEEE10hipError_tPvRmT1_PNSt15iterator_traitsIS12_E10value_typeET2_T3_PNS13_IS18_E10value_typeET4_jRbjT5_S1E_jjP12ihipStream_tbEUljE_ZNSN_ISO_Lb0ESQ_SR_ST_SU_SY_EESZ_S10_S11_S12_S16_S17_S18_S1B_S1C_jS1D_jS1E_S1E_jjS1G_bEUljE0_EEESZ_S10_S11_S18_S1C_S1E_T6_T7_T9_mT8_S1G_bDpT10_ENKUlT_T0_E_clISt17integral_constantIbLb0EES1T_IbLb1EEEEDaS1P_S1Q_EUlS1P_E_NS1_11comp_targetILNS1_3genE3ELNS1_11target_archE908ELNS1_3gpuE7ELNS1_3repE0EEENS1_30default_config_static_selectorELNS0_4arch9wavefront6targetE0EEEvS12_,"axG",@progbits,_ZN7rocprim17ROCPRIM_400000_NS6detail17trampoline_kernelINS0_13select_configILj256ELj13ELNS0_17block_load_methodE3ELS4_3ELS4_3ELNS0_20block_scan_algorithmE0ELj4294967295EEENS1_25partition_config_selectorILNS1_17partition_subalgoE4EjNS0_10empty_typeEbEEZZNS1_14partition_implILS8_4ELb0ES6_15HIP_vector_typeIjLj2EENS0_17counting_iteratorIjlEEPS9_SG_NS0_5tupleIJPjSI_NS0_16reverse_iteratorISI_EEEEENSH_IJSG_SG_SG_EEES9_SI_JZNS1_25segmented_radix_sort_implINS0_14default_configELb0EPKsPsPKlPlN2at6native12_GLOBAL__N_18offset_tEEE10hipError_tPvRmT1_PNSt15iterator_traitsIS12_E10value_typeET2_T3_PNS13_IS18_E10value_typeET4_jRbjT5_S1E_jjP12ihipStream_tbEUljE_ZNSN_ISO_Lb0ESQ_SR_ST_SU_SY_EESZ_S10_S11_S12_S16_S17_S18_S1B_S1C_jS1D_jS1E_S1E_jjS1G_bEUljE0_EEESZ_S10_S11_S18_S1C_S1E_T6_T7_T9_mT8_S1G_bDpT10_ENKUlT_T0_E_clISt17integral_constantIbLb0EES1T_IbLb1EEEEDaS1P_S1Q_EUlS1P_E_NS1_11comp_targetILNS1_3genE3ELNS1_11target_archE908ELNS1_3gpuE7ELNS1_3repE0EEENS1_30default_config_static_selectorELNS0_4arch9wavefront6targetE0EEEvS12_,comdat
	.globl	_ZN7rocprim17ROCPRIM_400000_NS6detail17trampoline_kernelINS0_13select_configILj256ELj13ELNS0_17block_load_methodE3ELS4_3ELS4_3ELNS0_20block_scan_algorithmE0ELj4294967295EEENS1_25partition_config_selectorILNS1_17partition_subalgoE4EjNS0_10empty_typeEbEEZZNS1_14partition_implILS8_4ELb0ES6_15HIP_vector_typeIjLj2EENS0_17counting_iteratorIjlEEPS9_SG_NS0_5tupleIJPjSI_NS0_16reverse_iteratorISI_EEEEENSH_IJSG_SG_SG_EEES9_SI_JZNS1_25segmented_radix_sort_implINS0_14default_configELb0EPKsPsPKlPlN2at6native12_GLOBAL__N_18offset_tEEE10hipError_tPvRmT1_PNSt15iterator_traitsIS12_E10value_typeET2_T3_PNS13_IS18_E10value_typeET4_jRbjT5_S1E_jjP12ihipStream_tbEUljE_ZNSN_ISO_Lb0ESQ_SR_ST_SU_SY_EESZ_S10_S11_S12_S16_S17_S18_S1B_S1C_jS1D_jS1E_S1E_jjS1G_bEUljE0_EEESZ_S10_S11_S18_S1C_S1E_T6_T7_T9_mT8_S1G_bDpT10_ENKUlT_T0_E_clISt17integral_constantIbLb0EES1T_IbLb1EEEEDaS1P_S1Q_EUlS1P_E_NS1_11comp_targetILNS1_3genE3ELNS1_11target_archE908ELNS1_3gpuE7ELNS1_3repE0EEENS1_30default_config_static_selectorELNS0_4arch9wavefront6targetE0EEEvS12_ ; -- Begin function _ZN7rocprim17ROCPRIM_400000_NS6detail17trampoline_kernelINS0_13select_configILj256ELj13ELNS0_17block_load_methodE3ELS4_3ELS4_3ELNS0_20block_scan_algorithmE0ELj4294967295EEENS1_25partition_config_selectorILNS1_17partition_subalgoE4EjNS0_10empty_typeEbEEZZNS1_14partition_implILS8_4ELb0ES6_15HIP_vector_typeIjLj2EENS0_17counting_iteratorIjlEEPS9_SG_NS0_5tupleIJPjSI_NS0_16reverse_iteratorISI_EEEEENSH_IJSG_SG_SG_EEES9_SI_JZNS1_25segmented_radix_sort_implINS0_14default_configELb0EPKsPsPKlPlN2at6native12_GLOBAL__N_18offset_tEEE10hipError_tPvRmT1_PNSt15iterator_traitsIS12_E10value_typeET2_T3_PNS13_IS18_E10value_typeET4_jRbjT5_S1E_jjP12ihipStream_tbEUljE_ZNSN_ISO_Lb0ESQ_SR_ST_SU_SY_EESZ_S10_S11_S12_S16_S17_S18_S1B_S1C_jS1D_jS1E_S1E_jjS1G_bEUljE0_EEESZ_S10_S11_S18_S1C_S1E_T6_T7_T9_mT8_S1G_bDpT10_ENKUlT_T0_E_clISt17integral_constantIbLb0EES1T_IbLb1EEEEDaS1P_S1Q_EUlS1P_E_NS1_11comp_targetILNS1_3genE3ELNS1_11target_archE908ELNS1_3gpuE7ELNS1_3repE0EEENS1_30default_config_static_selectorELNS0_4arch9wavefront6targetE0EEEvS12_
	.p2align	8
	.type	_ZN7rocprim17ROCPRIM_400000_NS6detail17trampoline_kernelINS0_13select_configILj256ELj13ELNS0_17block_load_methodE3ELS4_3ELS4_3ELNS0_20block_scan_algorithmE0ELj4294967295EEENS1_25partition_config_selectorILNS1_17partition_subalgoE4EjNS0_10empty_typeEbEEZZNS1_14partition_implILS8_4ELb0ES6_15HIP_vector_typeIjLj2EENS0_17counting_iteratorIjlEEPS9_SG_NS0_5tupleIJPjSI_NS0_16reverse_iteratorISI_EEEEENSH_IJSG_SG_SG_EEES9_SI_JZNS1_25segmented_radix_sort_implINS0_14default_configELb0EPKsPsPKlPlN2at6native12_GLOBAL__N_18offset_tEEE10hipError_tPvRmT1_PNSt15iterator_traitsIS12_E10value_typeET2_T3_PNS13_IS18_E10value_typeET4_jRbjT5_S1E_jjP12ihipStream_tbEUljE_ZNSN_ISO_Lb0ESQ_SR_ST_SU_SY_EESZ_S10_S11_S12_S16_S17_S18_S1B_S1C_jS1D_jS1E_S1E_jjS1G_bEUljE0_EEESZ_S10_S11_S18_S1C_S1E_T6_T7_T9_mT8_S1G_bDpT10_ENKUlT_T0_E_clISt17integral_constantIbLb0EES1T_IbLb1EEEEDaS1P_S1Q_EUlS1P_E_NS1_11comp_targetILNS1_3genE3ELNS1_11target_archE908ELNS1_3gpuE7ELNS1_3repE0EEENS1_30default_config_static_selectorELNS0_4arch9wavefront6targetE0EEEvS12_,@function
_ZN7rocprim17ROCPRIM_400000_NS6detail17trampoline_kernelINS0_13select_configILj256ELj13ELNS0_17block_load_methodE3ELS4_3ELS4_3ELNS0_20block_scan_algorithmE0ELj4294967295EEENS1_25partition_config_selectorILNS1_17partition_subalgoE4EjNS0_10empty_typeEbEEZZNS1_14partition_implILS8_4ELb0ES6_15HIP_vector_typeIjLj2EENS0_17counting_iteratorIjlEEPS9_SG_NS0_5tupleIJPjSI_NS0_16reverse_iteratorISI_EEEEENSH_IJSG_SG_SG_EEES9_SI_JZNS1_25segmented_radix_sort_implINS0_14default_configELb0EPKsPsPKlPlN2at6native12_GLOBAL__N_18offset_tEEE10hipError_tPvRmT1_PNSt15iterator_traitsIS12_E10value_typeET2_T3_PNS13_IS18_E10value_typeET4_jRbjT5_S1E_jjP12ihipStream_tbEUljE_ZNSN_ISO_Lb0ESQ_SR_ST_SU_SY_EESZ_S10_S11_S12_S16_S17_S18_S1B_S1C_jS1D_jS1E_S1E_jjS1G_bEUljE0_EEESZ_S10_S11_S18_S1C_S1E_T6_T7_T9_mT8_S1G_bDpT10_ENKUlT_T0_E_clISt17integral_constantIbLb0EES1T_IbLb1EEEEDaS1P_S1Q_EUlS1P_E_NS1_11comp_targetILNS1_3genE3ELNS1_11target_archE908ELNS1_3gpuE7ELNS1_3repE0EEENS1_30default_config_static_selectorELNS0_4arch9wavefront6targetE0EEEvS12_: ; @_ZN7rocprim17ROCPRIM_400000_NS6detail17trampoline_kernelINS0_13select_configILj256ELj13ELNS0_17block_load_methodE3ELS4_3ELS4_3ELNS0_20block_scan_algorithmE0ELj4294967295EEENS1_25partition_config_selectorILNS1_17partition_subalgoE4EjNS0_10empty_typeEbEEZZNS1_14partition_implILS8_4ELb0ES6_15HIP_vector_typeIjLj2EENS0_17counting_iteratorIjlEEPS9_SG_NS0_5tupleIJPjSI_NS0_16reverse_iteratorISI_EEEEENSH_IJSG_SG_SG_EEES9_SI_JZNS1_25segmented_radix_sort_implINS0_14default_configELb0EPKsPsPKlPlN2at6native12_GLOBAL__N_18offset_tEEE10hipError_tPvRmT1_PNSt15iterator_traitsIS12_E10value_typeET2_T3_PNS13_IS18_E10value_typeET4_jRbjT5_S1E_jjP12ihipStream_tbEUljE_ZNSN_ISO_Lb0ESQ_SR_ST_SU_SY_EESZ_S10_S11_S12_S16_S17_S18_S1B_S1C_jS1D_jS1E_S1E_jjS1G_bEUljE0_EEESZ_S10_S11_S18_S1C_S1E_T6_T7_T9_mT8_S1G_bDpT10_ENKUlT_T0_E_clISt17integral_constantIbLb0EES1T_IbLb1EEEEDaS1P_S1Q_EUlS1P_E_NS1_11comp_targetILNS1_3genE3ELNS1_11target_archE908ELNS1_3gpuE7ELNS1_3repE0EEENS1_30default_config_static_selectorELNS0_4arch9wavefront6targetE0EEEvS12_
; %bb.0:
	.section	.rodata,"a",@progbits
	.p2align	6, 0x0
	.amdhsa_kernel _ZN7rocprim17ROCPRIM_400000_NS6detail17trampoline_kernelINS0_13select_configILj256ELj13ELNS0_17block_load_methodE3ELS4_3ELS4_3ELNS0_20block_scan_algorithmE0ELj4294967295EEENS1_25partition_config_selectorILNS1_17partition_subalgoE4EjNS0_10empty_typeEbEEZZNS1_14partition_implILS8_4ELb0ES6_15HIP_vector_typeIjLj2EENS0_17counting_iteratorIjlEEPS9_SG_NS0_5tupleIJPjSI_NS0_16reverse_iteratorISI_EEEEENSH_IJSG_SG_SG_EEES9_SI_JZNS1_25segmented_radix_sort_implINS0_14default_configELb0EPKsPsPKlPlN2at6native12_GLOBAL__N_18offset_tEEE10hipError_tPvRmT1_PNSt15iterator_traitsIS12_E10value_typeET2_T3_PNS13_IS18_E10value_typeET4_jRbjT5_S1E_jjP12ihipStream_tbEUljE_ZNSN_ISO_Lb0ESQ_SR_ST_SU_SY_EESZ_S10_S11_S12_S16_S17_S18_S1B_S1C_jS1D_jS1E_S1E_jjS1G_bEUljE0_EEESZ_S10_S11_S18_S1C_S1E_T6_T7_T9_mT8_S1G_bDpT10_ENKUlT_T0_E_clISt17integral_constantIbLb0EES1T_IbLb1EEEEDaS1P_S1Q_EUlS1P_E_NS1_11comp_targetILNS1_3genE3ELNS1_11target_archE908ELNS1_3gpuE7ELNS1_3repE0EEENS1_30default_config_static_selectorELNS0_4arch9wavefront6targetE0EEEvS12_
		.amdhsa_group_segment_fixed_size 0
		.amdhsa_private_segment_fixed_size 0
		.amdhsa_kernarg_size 184
		.amdhsa_user_sgpr_count 2
		.amdhsa_user_sgpr_dispatch_ptr 0
		.amdhsa_user_sgpr_queue_ptr 0
		.amdhsa_user_sgpr_kernarg_segment_ptr 1
		.amdhsa_user_sgpr_dispatch_id 0
		.amdhsa_user_sgpr_private_segment_size 0
		.amdhsa_wavefront_size32 1
		.amdhsa_uses_dynamic_stack 0
		.amdhsa_enable_private_segment 0
		.amdhsa_system_sgpr_workgroup_id_x 1
		.amdhsa_system_sgpr_workgroup_id_y 0
		.amdhsa_system_sgpr_workgroup_id_z 0
		.amdhsa_system_sgpr_workgroup_info 0
		.amdhsa_system_vgpr_workitem_id 0
		.amdhsa_next_free_vgpr 1
		.amdhsa_next_free_sgpr 1
		.amdhsa_reserve_vcc 0
		.amdhsa_float_round_mode_32 0
		.amdhsa_float_round_mode_16_64 0
		.amdhsa_float_denorm_mode_32 3
		.amdhsa_float_denorm_mode_16_64 3
		.amdhsa_fp16_overflow 0
		.amdhsa_workgroup_processor_mode 1
		.amdhsa_memory_ordered 1
		.amdhsa_forward_progress 1
		.amdhsa_inst_pref_size 0
		.amdhsa_round_robin_scheduling 0
		.amdhsa_exception_fp_ieee_invalid_op 0
		.amdhsa_exception_fp_denorm_src 0
		.amdhsa_exception_fp_ieee_div_zero 0
		.amdhsa_exception_fp_ieee_overflow 0
		.amdhsa_exception_fp_ieee_underflow 0
		.amdhsa_exception_fp_ieee_inexact 0
		.amdhsa_exception_int_div_zero 0
	.end_amdhsa_kernel
	.section	.text._ZN7rocprim17ROCPRIM_400000_NS6detail17trampoline_kernelINS0_13select_configILj256ELj13ELNS0_17block_load_methodE3ELS4_3ELS4_3ELNS0_20block_scan_algorithmE0ELj4294967295EEENS1_25partition_config_selectorILNS1_17partition_subalgoE4EjNS0_10empty_typeEbEEZZNS1_14partition_implILS8_4ELb0ES6_15HIP_vector_typeIjLj2EENS0_17counting_iteratorIjlEEPS9_SG_NS0_5tupleIJPjSI_NS0_16reverse_iteratorISI_EEEEENSH_IJSG_SG_SG_EEES9_SI_JZNS1_25segmented_radix_sort_implINS0_14default_configELb0EPKsPsPKlPlN2at6native12_GLOBAL__N_18offset_tEEE10hipError_tPvRmT1_PNSt15iterator_traitsIS12_E10value_typeET2_T3_PNS13_IS18_E10value_typeET4_jRbjT5_S1E_jjP12ihipStream_tbEUljE_ZNSN_ISO_Lb0ESQ_SR_ST_SU_SY_EESZ_S10_S11_S12_S16_S17_S18_S1B_S1C_jS1D_jS1E_S1E_jjS1G_bEUljE0_EEESZ_S10_S11_S18_S1C_S1E_T6_T7_T9_mT8_S1G_bDpT10_ENKUlT_T0_E_clISt17integral_constantIbLb0EES1T_IbLb1EEEEDaS1P_S1Q_EUlS1P_E_NS1_11comp_targetILNS1_3genE3ELNS1_11target_archE908ELNS1_3gpuE7ELNS1_3repE0EEENS1_30default_config_static_selectorELNS0_4arch9wavefront6targetE0EEEvS12_,"axG",@progbits,_ZN7rocprim17ROCPRIM_400000_NS6detail17trampoline_kernelINS0_13select_configILj256ELj13ELNS0_17block_load_methodE3ELS4_3ELS4_3ELNS0_20block_scan_algorithmE0ELj4294967295EEENS1_25partition_config_selectorILNS1_17partition_subalgoE4EjNS0_10empty_typeEbEEZZNS1_14partition_implILS8_4ELb0ES6_15HIP_vector_typeIjLj2EENS0_17counting_iteratorIjlEEPS9_SG_NS0_5tupleIJPjSI_NS0_16reverse_iteratorISI_EEEEENSH_IJSG_SG_SG_EEES9_SI_JZNS1_25segmented_radix_sort_implINS0_14default_configELb0EPKsPsPKlPlN2at6native12_GLOBAL__N_18offset_tEEE10hipError_tPvRmT1_PNSt15iterator_traitsIS12_E10value_typeET2_T3_PNS13_IS18_E10value_typeET4_jRbjT5_S1E_jjP12ihipStream_tbEUljE_ZNSN_ISO_Lb0ESQ_SR_ST_SU_SY_EESZ_S10_S11_S12_S16_S17_S18_S1B_S1C_jS1D_jS1E_S1E_jjS1G_bEUljE0_EEESZ_S10_S11_S18_S1C_S1E_T6_T7_T9_mT8_S1G_bDpT10_ENKUlT_T0_E_clISt17integral_constantIbLb0EES1T_IbLb1EEEEDaS1P_S1Q_EUlS1P_E_NS1_11comp_targetILNS1_3genE3ELNS1_11target_archE908ELNS1_3gpuE7ELNS1_3repE0EEENS1_30default_config_static_selectorELNS0_4arch9wavefront6targetE0EEEvS12_,comdat
.Lfunc_end977:
	.size	_ZN7rocprim17ROCPRIM_400000_NS6detail17trampoline_kernelINS0_13select_configILj256ELj13ELNS0_17block_load_methodE3ELS4_3ELS4_3ELNS0_20block_scan_algorithmE0ELj4294967295EEENS1_25partition_config_selectorILNS1_17partition_subalgoE4EjNS0_10empty_typeEbEEZZNS1_14partition_implILS8_4ELb0ES6_15HIP_vector_typeIjLj2EENS0_17counting_iteratorIjlEEPS9_SG_NS0_5tupleIJPjSI_NS0_16reverse_iteratorISI_EEEEENSH_IJSG_SG_SG_EEES9_SI_JZNS1_25segmented_radix_sort_implINS0_14default_configELb0EPKsPsPKlPlN2at6native12_GLOBAL__N_18offset_tEEE10hipError_tPvRmT1_PNSt15iterator_traitsIS12_E10value_typeET2_T3_PNS13_IS18_E10value_typeET4_jRbjT5_S1E_jjP12ihipStream_tbEUljE_ZNSN_ISO_Lb0ESQ_SR_ST_SU_SY_EESZ_S10_S11_S12_S16_S17_S18_S1B_S1C_jS1D_jS1E_S1E_jjS1G_bEUljE0_EEESZ_S10_S11_S18_S1C_S1E_T6_T7_T9_mT8_S1G_bDpT10_ENKUlT_T0_E_clISt17integral_constantIbLb0EES1T_IbLb1EEEEDaS1P_S1Q_EUlS1P_E_NS1_11comp_targetILNS1_3genE3ELNS1_11target_archE908ELNS1_3gpuE7ELNS1_3repE0EEENS1_30default_config_static_selectorELNS0_4arch9wavefront6targetE0EEEvS12_, .Lfunc_end977-_ZN7rocprim17ROCPRIM_400000_NS6detail17trampoline_kernelINS0_13select_configILj256ELj13ELNS0_17block_load_methodE3ELS4_3ELS4_3ELNS0_20block_scan_algorithmE0ELj4294967295EEENS1_25partition_config_selectorILNS1_17partition_subalgoE4EjNS0_10empty_typeEbEEZZNS1_14partition_implILS8_4ELb0ES6_15HIP_vector_typeIjLj2EENS0_17counting_iteratorIjlEEPS9_SG_NS0_5tupleIJPjSI_NS0_16reverse_iteratorISI_EEEEENSH_IJSG_SG_SG_EEES9_SI_JZNS1_25segmented_radix_sort_implINS0_14default_configELb0EPKsPsPKlPlN2at6native12_GLOBAL__N_18offset_tEEE10hipError_tPvRmT1_PNSt15iterator_traitsIS12_E10value_typeET2_T3_PNS13_IS18_E10value_typeET4_jRbjT5_S1E_jjP12ihipStream_tbEUljE_ZNSN_ISO_Lb0ESQ_SR_ST_SU_SY_EESZ_S10_S11_S12_S16_S17_S18_S1B_S1C_jS1D_jS1E_S1E_jjS1G_bEUljE0_EEESZ_S10_S11_S18_S1C_S1E_T6_T7_T9_mT8_S1G_bDpT10_ENKUlT_T0_E_clISt17integral_constantIbLb0EES1T_IbLb1EEEEDaS1P_S1Q_EUlS1P_E_NS1_11comp_targetILNS1_3genE3ELNS1_11target_archE908ELNS1_3gpuE7ELNS1_3repE0EEENS1_30default_config_static_selectorELNS0_4arch9wavefront6targetE0EEEvS12_
                                        ; -- End function
	.set _ZN7rocprim17ROCPRIM_400000_NS6detail17trampoline_kernelINS0_13select_configILj256ELj13ELNS0_17block_load_methodE3ELS4_3ELS4_3ELNS0_20block_scan_algorithmE0ELj4294967295EEENS1_25partition_config_selectorILNS1_17partition_subalgoE4EjNS0_10empty_typeEbEEZZNS1_14partition_implILS8_4ELb0ES6_15HIP_vector_typeIjLj2EENS0_17counting_iteratorIjlEEPS9_SG_NS0_5tupleIJPjSI_NS0_16reverse_iteratorISI_EEEEENSH_IJSG_SG_SG_EEES9_SI_JZNS1_25segmented_radix_sort_implINS0_14default_configELb0EPKsPsPKlPlN2at6native12_GLOBAL__N_18offset_tEEE10hipError_tPvRmT1_PNSt15iterator_traitsIS12_E10value_typeET2_T3_PNS13_IS18_E10value_typeET4_jRbjT5_S1E_jjP12ihipStream_tbEUljE_ZNSN_ISO_Lb0ESQ_SR_ST_SU_SY_EESZ_S10_S11_S12_S16_S17_S18_S1B_S1C_jS1D_jS1E_S1E_jjS1G_bEUljE0_EEESZ_S10_S11_S18_S1C_S1E_T6_T7_T9_mT8_S1G_bDpT10_ENKUlT_T0_E_clISt17integral_constantIbLb0EES1T_IbLb1EEEEDaS1P_S1Q_EUlS1P_E_NS1_11comp_targetILNS1_3genE3ELNS1_11target_archE908ELNS1_3gpuE7ELNS1_3repE0EEENS1_30default_config_static_selectorELNS0_4arch9wavefront6targetE0EEEvS12_.num_vgpr, 0
	.set _ZN7rocprim17ROCPRIM_400000_NS6detail17trampoline_kernelINS0_13select_configILj256ELj13ELNS0_17block_load_methodE3ELS4_3ELS4_3ELNS0_20block_scan_algorithmE0ELj4294967295EEENS1_25partition_config_selectorILNS1_17partition_subalgoE4EjNS0_10empty_typeEbEEZZNS1_14partition_implILS8_4ELb0ES6_15HIP_vector_typeIjLj2EENS0_17counting_iteratorIjlEEPS9_SG_NS0_5tupleIJPjSI_NS0_16reverse_iteratorISI_EEEEENSH_IJSG_SG_SG_EEES9_SI_JZNS1_25segmented_radix_sort_implINS0_14default_configELb0EPKsPsPKlPlN2at6native12_GLOBAL__N_18offset_tEEE10hipError_tPvRmT1_PNSt15iterator_traitsIS12_E10value_typeET2_T3_PNS13_IS18_E10value_typeET4_jRbjT5_S1E_jjP12ihipStream_tbEUljE_ZNSN_ISO_Lb0ESQ_SR_ST_SU_SY_EESZ_S10_S11_S12_S16_S17_S18_S1B_S1C_jS1D_jS1E_S1E_jjS1G_bEUljE0_EEESZ_S10_S11_S18_S1C_S1E_T6_T7_T9_mT8_S1G_bDpT10_ENKUlT_T0_E_clISt17integral_constantIbLb0EES1T_IbLb1EEEEDaS1P_S1Q_EUlS1P_E_NS1_11comp_targetILNS1_3genE3ELNS1_11target_archE908ELNS1_3gpuE7ELNS1_3repE0EEENS1_30default_config_static_selectorELNS0_4arch9wavefront6targetE0EEEvS12_.num_agpr, 0
	.set _ZN7rocprim17ROCPRIM_400000_NS6detail17trampoline_kernelINS0_13select_configILj256ELj13ELNS0_17block_load_methodE3ELS4_3ELS4_3ELNS0_20block_scan_algorithmE0ELj4294967295EEENS1_25partition_config_selectorILNS1_17partition_subalgoE4EjNS0_10empty_typeEbEEZZNS1_14partition_implILS8_4ELb0ES6_15HIP_vector_typeIjLj2EENS0_17counting_iteratorIjlEEPS9_SG_NS0_5tupleIJPjSI_NS0_16reverse_iteratorISI_EEEEENSH_IJSG_SG_SG_EEES9_SI_JZNS1_25segmented_radix_sort_implINS0_14default_configELb0EPKsPsPKlPlN2at6native12_GLOBAL__N_18offset_tEEE10hipError_tPvRmT1_PNSt15iterator_traitsIS12_E10value_typeET2_T3_PNS13_IS18_E10value_typeET4_jRbjT5_S1E_jjP12ihipStream_tbEUljE_ZNSN_ISO_Lb0ESQ_SR_ST_SU_SY_EESZ_S10_S11_S12_S16_S17_S18_S1B_S1C_jS1D_jS1E_S1E_jjS1G_bEUljE0_EEESZ_S10_S11_S18_S1C_S1E_T6_T7_T9_mT8_S1G_bDpT10_ENKUlT_T0_E_clISt17integral_constantIbLb0EES1T_IbLb1EEEEDaS1P_S1Q_EUlS1P_E_NS1_11comp_targetILNS1_3genE3ELNS1_11target_archE908ELNS1_3gpuE7ELNS1_3repE0EEENS1_30default_config_static_selectorELNS0_4arch9wavefront6targetE0EEEvS12_.numbered_sgpr, 0
	.set _ZN7rocprim17ROCPRIM_400000_NS6detail17trampoline_kernelINS0_13select_configILj256ELj13ELNS0_17block_load_methodE3ELS4_3ELS4_3ELNS0_20block_scan_algorithmE0ELj4294967295EEENS1_25partition_config_selectorILNS1_17partition_subalgoE4EjNS0_10empty_typeEbEEZZNS1_14partition_implILS8_4ELb0ES6_15HIP_vector_typeIjLj2EENS0_17counting_iteratorIjlEEPS9_SG_NS0_5tupleIJPjSI_NS0_16reverse_iteratorISI_EEEEENSH_IJSG_SG_SG_EEES9_SI_JZNS1_25segmented_radix_sort_implINS0_14default_configELb0EPKsPsPKlPlN2at6native12_GLOBAL__N_18offset_tEEE10hipError_tPvRmT1_PNSt15iterator_traitsIS12_E10value_typeET2_T3_PNS13_IS18_E10value_typeET4_jRbjT5_S1E_jjP12ihipStream_tbEUljE_ZNSN_ISO_Lb0ESQ_SR_ST_SU_SY_EESZ_S10_S11_S12_S16_S17_S18_S1B_S1C_jS1D_jS1E_S1E_jjS1G_bEUljE0_EEESZ_S10_S11_S18_S1C_S1E_T6_T7_T9_mT8_S1G_bDpT10_ENKUlT_T0_E_clISt17integral_constantIbLb0EES1T_IbLb1EEEEDaS1P_S1Q_EUlS1P_E_NS1_11comp_targetILNS1_3genE3ELNS1_11target_archE908ELNS1_3gpuE7ELNS1_3repE0EEENS1_30default_config_static_selectorELNS0_4arch9wavefront6targetE0EEEvS12_.num_named_barrier, 0
	.set _ZN7rocprim17ROCPRIM_400000_NS6detail17trampoline_kernelINS0_13select_configILj256ELj13ELNS0_17block_load_methodE3ELS4_3ELS4_3ELNS0_20block_scan_algorithmE0ELj4294967295EEENS1_25partition_config_selectorILNS1_17partition_subalgoE4EjNS0_10empty_typeEbEEZZNS1_14partition_implILS8_4ELb0ES6_15HIP_vector_typeIjLj2EENS0_17counting_iteratorIjlEEPS9_SG_NS0_5tupleIJPjSI_NS0_16reverse_iteratorISI_EEEEENSH_IJSG_SG_SG_EEES9_SI_JZNS1_25segmented_radix_sort_implINS0_14default_configELb0EPKsPsPKlPlN2at6native12_GLOBAL__N_18offset_tEEE10hipError_tPvRmT1_PNSt15iterator_traitsIS12_E10value_typeET2_T3_PNS13_IS18_E10value_typeET4_jRbjT5_S1E_jjP12ihipStream_tbEUljE_ZNSN_ISO_Lb0ESQ_SR_ST_SU_SY_EESZ_S10_S11_S12_S16_S17_S18_S1B_S1C_jS1D_jS1E_S1E_jjS1G_bEUljE0_EEESZ_S10_S11_S18_S1C_S1E_T6_T7_T9_mT8_S1G_bDpT10_ENKUlT_T0_E_clISt17integral_constantIbLb0EES1T_IbLb1EEEEDaS1P_S1Q_EUlS1P_E_NS1_11comp_targetILNS1_3genE3ELNS1_11target_archE908ELNS1_3gpuE7ELNS1_3repE0EEENS1_30default_config_static_selectorELNS0_4arch9wavefront6targetE0EEEvS12_.private_seg_size, 0
	.set _ZN7rocprim17ROCPRIM_400000_NS6detail17trampoline_kernelINS0_13select_configILj256ELj13ELNS0_17block_load_methodE3ELS4_3ELS4_3ELNS0_20block_scan_algorithmE0ELj4294967295EEENS1_25partition_config_selectorILNS1_17partition_subalgoE4EjNS0_10empty_typeEbEEZZNS1_14partition_implILS8_4ELb0ES6_15HIP_vector_typeIjLj2EENS0_17counting_iteratorIjlEEPS9_SG_NS0_5tupleIJPjSI_NS0_16reverse_iteratorISI_EEEEENSH_IJSG_SG_SG_EEES9_SI_JZNS1_25segmented_radix_sort_implINS0_14default_configELb0EPKsPsPKlPlN2at6native12_GLOBAL__N_18offset_tEEE10hipError_tPvRmT1_PNSt15iterator_traitsIS12_E10value_typeET2_T3_PNS13_IS18_E10value_typeET4_jRbjT5_S1E_jjP12ihipStream_tbEUljE_ZNSN_ISO_Lb0ESQ_SR_ST_SU_SY_EESZ_S10_S11_S12_S16_S17_S18_S1B_S1C_jS1D_jS1E_S1E_jjS1G_bEUljE0_EEESZ_S10_S11_S18_S1C_S1E_T6_T7_T9_mT8_S1G_bDpT10_ENKUlT_T0_E_clISt17integral_constantIbLb0EES1T_IbLb1EEEEDaS1P_S1Q_EUlS1P_E_NS1_11comp_targetILNS1_3genE3ELNS1_11target_archE908ELNS1_3gpuE7ELNS1_3repE0EEENS1_30default_config_static_selectorELNS0_4arch9wavefront6targetE0EEEvS12_.uses_vcc, 0
	.set _ZN7rocprim17ROCPRIM_400000_NS6detail17trampoline_kernelINS0_13select_configILj256ELj13ELNS0_17block_load_methodE3ELS4_3ELS4_3ELNS0_20block_scan_algorithmE0ELj4294967295EEENS1_25partition_config_selectorILNS1_17partition_subalgoE4EjNS0_10empty_typeEbEEZZNS1_14partition_implILS8_4ELb0ES6_15HIP_vector_typeIjLj2EENS0_17counting_iteratorIjlEEPS9_SG_NS0_5tupleIJPjSI_NS0_16reverse_iteratorISI_EEEEENSH_IJSG_SG_SG_EEES9_SI_JZNS1_25segmented_radix_sort_implINS0_14default_configELb0EPKsPsPKlPlN2at6native12_GLOBAL__N_18offset_tEEE10hipError_tPvRmT1_PNSt15iterator_traitsIS12_E10value_typeET2_T3_PNS13_IS18_E10value_typeET4_jRbjT5_S1E_jjP12ihipStream_tbEUljE_ZNSN_ISO_Lb0ESQ_SR_ST_SU_SY_EESZ_S10_S11_S12_S16_S17_S18_S1B_S1C_jS1D_jS1E_S1E_jjS1G_bEUljE0_EEESZ_S10_S11_S18_S1C_S1E_T6_T7_T9_mT8_S1G_bDpT10_ENKUlT_T0_E_clISt17integral_constantIbLb0EES1T_IbLb1EEEEDaS1P_S1Q_EUlS1P_E_NS1_11comp_targetILNS1_3genE3ELNS1_11target_archE908ELNS1_3gpuE7ELNS1_3repE0EEENS1_30default_config_static_selectorELNS0_4arch9wavefront6targetE0EEEvS12_.uses_flat_scratch, 0
	.set _ZN7rocprim17ROCPRIM_400000_NS6detail17trampoline_kernelINS0_13select_configILj256ELj13ELNS0_17block_load_methodE3ELS4_3ELS4_3ELNS0_20block_scan_algorithmE0ELj4294967295EEENS1_25partition_config_selectorILNS1_17partition_subalgoE4EjNS0_10empty_typeEbEEZZNS1_14partition_implILS8_4ELb0ES6_15HIP_vector_typeIjLj2EENS0_17counting_iteratorIjlEEPS9_SG_NS0_5tupleIJPjSI_NS0_16reverse_iteratorISI_EEEEENSH_IJSG_SG_SG_EEES9_SI_JZNS1_25segmented_radix_sort_implINS0_14default_configELb0EPKsPsPKlPlN2at6native12_GLOBAL__N_18offset_tEEE10hipError_tPvRmT1_PNSt15iterator_traitsIS12_E10value_typeET2_T3_PNS13_IS18_E10value_typeET4_jRbjT5_S1E_jjP12ihipStream_tbEUljE_ZNSN_ISO_Lb0ESQ_SR_ST_SU_SY_EESZ_S10_S11_S12_S16_S17_S18_S1B_S1C_jS1D_jS1E_S1E_jjS1G_bEUljE0_EEESZ_S10_S11_S18_S1C_S1E_T6_T7_T9_mT8_S1G_bDpT10_ENKUlT_T0_E_clISt17integral_constantIbLb0EES1T_IbLb1EEEEDaS1P_S1Q_EUlS1P_E_NS1_11comp_targetILNS1_3genE3ELNS1_11target_archE908ELNS1_3gpuE7ELNS1_3repE0EEENS1_30default_config_static_selectorELNS0_4arch9wavefront6targetE0EEEvS12_.has_dyn_sized_stack, 0
	.set _ZN7rocprim17ROCPRIM_400000_NS6detail17trampoline_kernelINS0_13select_configILj256ELj13ELNS0_17block_load_methodE3ELS4_3ELS4_3ELNS0_20block_scan_algorithmE0ELj4294967295EEENS1_25partition_config_selectorILNS1_17partition_subalgoE4EjNS0_10empty_typeEbEEZZNS1_14partition_implILS8_4ELb0ES6_15HIP_vector_typeIjLj2EENS0_17counting_iteratorIjlEEPS9_SG_NS0_5tupleIJPjSI_NS0_16reverse_iteratorISI_EEEEENSH_IJSG_SG_SG_EEES9_SI_JZNS1_25segmented_radix_sort_implINS0_14default_configELb0EPKsPsPKlPlN2at6native12_GLOBAL__N_18offset_tEEE10hipError_tPvRmT1_PNSt15iterator_traitsIS12_E10value_typeET2_T3_PNS13_IS18_E10value_typeET4_jRbjT5_S1E_jjP12ihipStream_tbEUljE_ZNSN_ISO_Lb0ESQ_SR_ST_SU_SY_EESZ_S10_S11_S12_S16_S17_S18_S1B_S1C_jS1D_jS1E_S1E_jjS1G_bEUljE0_EEESZ_S10_S11_S18_S1C_S1E_T6_T7_T9_mT8_S1G_bDpT10_ENKUlT_T0_E_clISt17integral_constantIbLb0EES1T_IbLb1EEEEDaS1P_S1Q_EUlS1P_E_NS1_11comp_targetILNS1_3genE3ELNS1_11target_archE908ELNS1_3gpuE7ELNS1_3repE0EEENS1_30default_config_static_selectorELNS0_4arch9wavefront6targetE0EEEvS12_.has_recursion, 0
	.set _ZN7rocprim17ROCPRIM_400000_NS6detail17trampoline_kernelINS0_13select_configILj256ELj13ELNS0_17block_load_methodE3ELS4_3ELS4_3ELNS0_20block_scan_algorithmE0ELj4294967295EEENS1_25partition_config_selectorILNS1_17partition_subalgoE4EjNS0_10empty_typeEbEEZZNS1_14partition_implILS8_4ELb0ES6_15HIP_vector_typeIjLj2EENS0_17counting_iteratorIjlEEPS9_SG_NS0_5tupleIJPjSI_NS0_16reverse_iteratorISI_EEEEENSH_IJSG_SG_SG_EEES9_SI_JZNS1_25segmented_radix_sort_implINS0_14default_configELb0EPKsPsPKlPlN2at6native12_GLOBAL__N_18offset_tEEE10hipError_tPvRmT1_PNSt15iterator_traitsIS12_E10value_typeET2_T3_PNS13_IS18_E10value_typeET4_jRbjT5_S1E_jjP12ihipStream_tbEUljE_ZNSN_ISO_Lb0ESQ_SR_ST_SU_SY_EESZ_S10_S11_S12_S16_S17_S18_S1B_S1C_jS1D_jS1E_S1E_jjS1G_bEUljE0_EEESZ_S10_S11_S18_S1C_S1E_T6_T7_T9_mT8_S1G_bDpT10_ENKUlT_T0_E_clISt17integral_constantIbLb0EES1T_IbLb1EEEEDaS1P_S1Q_EUlS1P_E_NS1_11comp_targetILNS1_3genE3ELNS1_11target_archE908ELNS1_3gpuE7ELNS1_3repE0EEENS1_30default_config_static_selectorELNS0_4arch9wavefront6targetE0EEEvS12_.has_indirect_call, 0
	.section	.AMDGPU.csdata,"",@progbits
; Kernel info:
; codeLenInByte = 0
; TotalNumSgprs: 0
; NumVgprs: 0
; ScratchSize: 0
; MemoryBound: 0
; FloatMode: 240
; IeeeMode: 1
; LDSByteSize: 0 bytes/workgroup (compile time only)
; SGPRBlocks: 0
; VGPRBlocks: 0
; NumSGPRsForWavesPerEU: 1
; NumVGPRsForWavesPerEU: 1
; Occupancy: 16
; WaveLimiterHint : 0
; COMPUTE_PGM_RSRC2:SCRATCH_EN: 0
; COMPUTE_PGM_RSRC2:USER_SGPR: 2
; COMPUTE_PGM_RSRC2:TRAP_HANDLER: 0
; COMPUTE_PGM_RSRC2:TGID_X_EN: 1
; COMPUTE_PGM_RSRC2:TGID_Y_EN: 0
; COMPUTE_PGM_RSRC2:TGID_Z_EN: 0
; COMPUTE_PGM_RSRC2:TIDIG_COMP_CNT: 0
	.section	.text._ZN7rocprim17ROCPRIM_400000_NS6detail17trampoline_kernelINS0_13select_configILj256ELj13ELNS0_17block_load_methodE3ELS4_3ELS4_3ELNS0_20block_scan_algorithmE0ELj4294967295EEENS1_25partition_config_selectorILNS1_17partition_subalgoE4EjNS0_10empty_typeEbEEZZNS1_14partition_implILS8_4ELb0ES6_15HIP_vector_typeIjLj2EENS0_17counting_iteratorIjlEEPS9_SG_NS0_5tupleIJPjSI_NS0_16reverse_iteratorISI_EEEEENSH_IJSG_SG_SG_EEES9_SI_JZNS1_25segmented_radix_sort_implINS0_14default_configELb0EPKsPsPKlPlN2at6native12_GLOBAL__N_18offset_tEEE10hipError_tPvRmT1_PNSt15iterator_traitsIS12_E10value_typeET2_T3_PNS13_IS18_E10value_typeET4_jRbjT5_S1E_jjP12ihipStream_tbEUljE_ZNSN_ISO_Lb0ESQ_SR_ST_SU_SY_EESZ_S10_S11_S12_S16_S17_S18_S1B_S1C_jS1D_jS1E_S1E_jjS1G_bEUljE0_EEESZ_S10_S11_S18_S1C_S1E_T6_T7_T9_mT8_S1G_bDpT10_ENKUlT_T0_E_clISt17integral_constantIbLb0EES1T_IbLb1EEEEDaS1P_S1Q_EUlS1P_E_NS1_11comp_targetILNS1_3genE2ELNS1_11target_archE906ELNS1_3gpuE6ELNS1_3repE0EEENS1_30default_config_static_selectorELNS0_4arch9wavefront6targetE0EEEvS12_,"axG",@progbits,_ZN7rocprim17ROCPRIM_400000_NS6detail17trampoline_kernelINS0_13select_configILj256ELj13ELNS0_17block_load_methodE3ELS4_3ELS4_3ELNS0_20block_scan_algorithmE0ELj4294967295EEENS1_25partition_config_selectorILNS1_17partition_subalgoE4EjNS0_10empty_typeEbEEZZNS1_14partition_implILS8_4ELb0ES6_15HIP_vector_typeIjLj2EENS0_17counting_iteratorIjlEEPS9_SG_NS0_5tupleIJPjSI_NS0_16reverse_iteratorISI_EEEEENSH_IJSG_SG_SG_EEES9_SI_JZNS1_25segmented_radix_sort_implINS0_14default_configELb0EPKsPsPKlPlN2at6native12_GLOBAL__N_18offset_tEEE10hipError_tPvRmT1_PNSt15iterator_traitsIS12_E10value_typeET2_T3_PNS13_IS18_E10value_typeET4_jRbjT5_S1E_jjP12ihipStream_tbEUljE_ZNSN_ISO_Lb0ESQ_SR_ST_SU_SY_EESZ_S10_S11_S12_S16_S17_S18_S1B_S1C_jS1D_jS1E_S1E_jjS1G_bEUljE0_EEESZ_S10_S11_S18_S1C_S1E_T6_T7_T9_mT8_S1G_bDpT10_ENKUlT_T0_E_clISt17integral_constantIbLb0EES1T_IbLb1EEEEDaS1P_S1Q_EUlS1P_E_NS1_11comp_targetILNS1_3genE2ELNS1_11target_archE906ELNS1_3gpuE6ELNS1_3repE0EEENS1_30default_config_static_selectorELNS0_4arch9wavefront6targetE0EEEvS12_,comdat
	.globl	_ZN7rocprim17ROCPRIM_400000_NS6detail17trampoline_kernelINS0_13select_configILj256ELj13ELNS0_17block_load_methodE3ELS4_3ELS4_3ELNS0_20block_scan_algorithmE0ELj4294967295EEENS1_25partition_config_selectorILNS1_17partition_subalgoE4EjNS0_10empty_typeEbEEZZNS1_14partition_implILS8_4ELb0ES6_15HIP_vector_typeIjLj2EENS0_17counting_iteratorIjlEEPS9_SG_NS0_5tupleIJPjSI_NS0_16reverse_iteratorISI_EEEEENSH_IJSG_SG_SG_EEES9_SI_JZNS1_25segmented_radix_sort_implINS0_14default_configELb0EPKsPsPKlPlN2at6native12_GLOBAL__N_18offset_tEEE10hipError_tPvRmT1_PNSt15iterator_traitsIS12_E10value_typeET2_T3_PNS13_IS18_E10value_typeET4_jRbjT5_S1E_jjP12ihipStream_tbEUljE_ZNSN_ISO_Lb0ESQ_SR_ST_SU_SY_EESZ_S10_S11_S12_S16_S17_S18_S1B_S1C_jS1D_jS1E_S1E_jjS1G_bEUljE0_EEESZ_S10_S11_S18_S1C_S1E_T6_T7_T9_mT8_S1G_bDpT10_ENKUlT_T0_E_clISt17integral_constantIbLb0EES1T_IbLb1EEEEDaS1P_S1Q_EUlS1P_E_NS1_11comp_targetILNS1_3genE2ELNS1_11target_archE906ELNS1_3gpuE6ELNS1_3repE0EEENS1_30default_config_static_selectorELNS0_4arch9wavefront6targetE0EEEvS12_ ; -- Begin function _ZN7rocprim17ROCPRIM_400000_NS6detail17trampoline_kernelINS0_13select_configILj256ELj13ELNS0_17block_load_methodE3ELS4_3ELS4_3ELNS0_20block_scan_algorithmE0ELj4294967295EEENS1_25partition_config_selectorILNS1_17partition_subalgoE4EjNS0_10empty_typeEbEEZZNS1_14partition_implILS8_4ELb0ES6_15HIP_vector_typeIjLj2EENS0_17counting_iteratorIjlEEPS9_SG_NS0_5tupleIJPjSI_NS0_16reverse_iteratorISI_EEEEENSH_IJSG_SG_SG_EEES9_SI_JZNS1_25segmented_radix_sort_implINS0_14default_configELb0EPKsPsPKlPlN2at6native12_GLOBAL__N_18offset_tEEE10hipError_tPvRmT1_PNSt15iterator_traitsIS12_E10value_typeET2_T3_PNS13_IS18_E10value_typeET4_jRbjT5_S1E_jjP12ihipStream_tbEUljE_ZNSN_ISO_Lb0ESQ_SR_ST_SU_SY_EESZ_S10_S11_S12_S16_S17_S18_S1B_S1C_jS1D_jS1E_S1E_jjS1G_bEUljE0_EEESZ_S10_S11_S18_S1C_S1E_T6_T7_T9_mT8_S1G_bDpT10_ENKUlT_T0_E_clISt17integral_constantIbLb0EES1T_IbLb1EEEEDaS1P_S1Q_EUlS1P_E_NS1_11comp_targetILNS1_3genE2ELNS1_11target_archE906ELNS1_3gpuE6ELNS1_3repE0EEENS1_30default_config_static_selectorELNS0_4arch9wavefront6targetE0EEEvS12_
	.p2align	8
	.type	_ZN7rocprim17ROCPRIM_400000_NS6detail17trampoline_kernelINS0_13select_configILj256ELj13ELNS0_17block_load_methodE3ELS4_3ELS4_3ELNS0_20block_scan_algorithmE0ELj4294967295EEENS1_25partition_config_selectorILNS1_17partition_subalgoE4EjNS0_10empty_typeEbEEZZNS1_14partition_implILS8_4ELb0ES6_15HIP_vector_typeIjLj2EENS0_17counting_iteratorIjlEEPS9_SG_NS0_5tupleIJPjSI_NS0_16reverse_iteratorISI_EEEEENSH_IJSG_SG_SG_EEES9_SI_JZNS1_25segmented_radix_sort_implINS0_14default_configELb0EPKsPsPKlPlN2at6native12_GLOBAL__N_18offset_tEEE10hipError_tPvRmT1_PNSt15iterator_traitsIS12_E10value_typeET2_T3_PNS13_IS18_E10value_typeET4_jRbjT5_S1E_jjP12ihipStream_tbEUljE_ZNSN_ISO_Lb0ESQ_SR_ST_SU_SY_EESZ_S10_S11_S12_S16_S17_S18_S1B_S1C_jS1D_jS1E_S1E_jjS1G_bEUljE0_EEESZ_S10_S11_S18_S1C_S1E_T6_T7_T9_mT8_S1G_bDpT10_ENKUlT_T0_E_clISt17integral_constantIbLb0EES1T_IbLb1EEEEDaS1P_S1Q_EUlS1P_E_NS1_11comp_targetILNS1_3genE2ELNS1_11target_archE906ELNS1_3gpuE6ELNS1_3repE0EEENS1_30default_config_static_selectorELNS0_4arch9wavefront6targetE0EEEvS12_,@function
_ZN7rocprim17ROCPRIM_400000_NS6detail17trampoline_kernelINS0_13select_configILj256ELj13ELNS0_17block_load_methodE3ELS4_3ELS4_3ELNS0_20block_scan_algorithmE0ELj4294967295EEENS1_25partition_config_selectorILNS1_17partition_subalgoE4EjNS0_10empty_typeEbEEZZNS1_14partition_implILS8_4ELb0ES6_15HIP_vector_typeIjLj2EENS0_17counting_iteratorIjlEEPS9_SG_NS0_5tupleIJPjSI_NS0_16reverse_iteratorISI_EEEEENSH_IJSG_SG_SG_EEES9_SI_JZNS1_25segmented_radix_sort_implINS0_14default_configELb0EPKsPsPKlPlN2at6native12_GLOBAL__N_18offset_tEEE10hipError_tPvRmT1_PNSt15iterator_traitsIS12_E10value_typeET2_T3_PNS13_IS18_E10value_typeET4_jRbjT5_S1E_jjP12ihipStream_tbEUljE_ZNSN_ISO_Lb0ESQ_SR_ST_SU_SY_EESZ_S10_S11_S12_S16_S17_S18_S1B_S1C_jS1D_jS1E_S1E_jjS1G_bEUljE0_EEESZ_S10_S11_S18_S1C_S1E_T6_T7_T9_mT8_S1G_bDpT10_ENKUlT_T0_E_clISt17integral_constantIbLb0EES1T_IbLb1EEEEDaS1P_S1Q_EUlS1P_E_NS1_11comp_targetILNS1_3genE2ELNS1_11target_archE906ELNS1_3gpuE6ELNS1_3repE0EEENS1_30default_config_static_selectorELNS0_4arch9wavefront6targetE0EEEvS12_: ; @_ZN7rocprim17ROCPRIM_400000_NS6detail17trampoline_kernelINS0_13select_configILj256ELj13ELNS0_17block_load_methodE3ELS4_3ELS4_3ELNS0_20block_scan_algorithmE0ELj4294967295EEENS1_25partition_config_selectorILNS1_17partition_subalgoE4EjNS0_10empty_typeEbEEZZNS1_14partition_implILS8_4ELb0ES6_15HIP_vector_typeIjLj2EENS0_17counting_iteratorIjlEEPS9_SG_NS0_5tupleIJPjSI_NS0_16reverse_iteratorISI_EEEEENSH_IJSG_SG_SG_EEES9_SI_JZNS1_25segmented_radix_sort_implINS0_14default_configELb0EPKsPsPKlPlN2at6native12_GLOBAL__N_18offset_tEEE10hipError_tPvRmT1_PNSt15iterator_traitsIS12_E10value_typeET2_T3_PNS13_IS18_E10value_typeET4_jRbjT5_S1E_jjP12ihipStream_tbEUljE_ZNSN_ISO_Lb0ESQ_SR_ST_SU_SY_EESZ_S10_S11_S12_S16_S17_S18_S1B_S1C_jS1D_jS1E_S1E_jjS1G_bEUljE0_EEESZ_S10_S11_S18_S1C_S1E_T6_T7_T9_mT8_S1G_bDpT10_ENKUlT_T0_E_clISt17integral_constantIbLb0EES1T_IbLb1EEEEDaS1P_S1Q_EUlS1P_E_NS1_11comp_targetILNS1_3genE2ELNS1_11target_archE906ELNS1_3gpuE6ELNS1_3repE0EEENS1_30default_config_static_selectorELNS0_4arch9wavefront6targetE0EEEvS12_
; %bb.0:
	.section	.rodata,"a",@progbits
	.p2align	6, 0x0
	.amdhsa_kernel _ZN7rocprim17ROCPRIM_400000_NS6detail17trampoline_kernelINS0_13select_configILj256ELj13ELNS0_17block_load_methodE3ELS4_3ELS4_3ELNS0_20block_scan_algorithmE0ELj4294967295EEENS1_25partition_config_selectorILNS1_17partition_subalgoE4EjNS0_10empty_typeEbEEZZNS1_14partition_implILS8_4ELb0ES6_15HIP_vector_typeIjLj2EENS0_17counting_iteratorIjlEEPS9_SG_NS0_5tupleIJPjSI_NS0_16reverse_iteratorISI_EEEEENSH_IJSG_SG_SG_EEES9_SI_JZNS1_25segmented_radix_sort_implINS0_14default_configELb0EPKsPsPKlPlN2at6native12_GLOBAL__N_18offset_tEEE10hipError_tPvRmT1_PNSt15iterator_traitsIS12_E10value_typeET2_T3_PNS13_IS18_E10value_typeET4_jRbjT5_S1E_jjP12ihipStream_tbEUljE_ZNSN_ISO_Lb0ESQ_SR_ST_SU_SY_EESZ_S10_S11_S12_S16_S17_S18_S1B_S1C_jS1D_jS1E_S1E_jjS1G_bEUljE0_EEESZ_S10_S11_S18_S1C_S1E_T6_T7_T9_mT8_S1G_bDpT10_ENKUlT_T0_E_clISt17integral_constantIbLb0EES1T_IbLb1EEEEDaS1P_S1Q_EUlS1P_E_NS1_11comp_targetILNS1_3genE2ELNS1_11target_archE906ELNS1_3gpuE6ELNS1_3repE0EEENS1_30default_config_static_selectorELNS0_4arch9wavefront6targetE0EEEvS12_
		.amdhsa_group_segment_fixed_size 0
		.amdhsa_private_segment_fixed_size 0
		.amdhsa_kernarg_size 184
		.amdhsa_user_sgpr_count 2
		.amdhsa_user_sgpr_dispatch_ptr 0
		.amdhsa_user_sgpr_queue_ptr 0
		.amdhsa_user_sgpr_kernarg_segment_ptr 1
		.amdhsa_user_sgpr_dispatch_id 0
		.amdhsa_user_sgpr_private_segment_size 0
		.amdhsa_wavefront_size32 1
		.amdhsa_uses_dynamic_stack 0
		.amdhsa_enable_private_segment 0
		.amdhsa_system_sgpr_workgroup_id_x 1
		.amdhsa_system_sgpr_workgroup_id_y 0
		.amdhsa_system_sgpr_workgroup_id_z 0
		.amdhsa_system_sgpr_workgroup_info 0
		.amdhsa_system_vgpr_workitem_id 0
		.amdhsa_next_free_vgpr 1
		.amdhsa_next_free_sgpr 1
		.amdhsa_reserve_vcc 0
		.amdhsa_float_round_mode_32 0
		.amdhsa_float_round_mode_16_64 0
		.amdhsa_float_denorm_mode_32 3
		.amdhsa_float_denorm_mode_16_64 3
		.amdhsa_fp16_overflow 0
		.amdhsa_workgroup_processor_mode 1
		.amdhsa_memory_ordered 1
		.amdhsa_forward_progress 1
		.amdhsa_inst_pref_size 0
		.amdhsa_round_robin_scheduling 0
		.amdhsa_exception_fp_ieee_invalid_op 0
		.amdhsa_exception_fp_denorm_src 0
		.amdhsa_exception_fp_ieee_div_zero 0
		.amdhsa_exception_fp_ieee_overflow 0
		.amdhsa_exception_fp_ieee_underflow 0
		.amdhsa_exception_fp_ieee_inexact 0
		.amdhsa_exception_int_div_zero 0
	.end_amdhsa_kernel
	.section	.text._ZN7rocprim17ROCPRIM_400000_NS6detail17trampoline_kernelINS0_13select_configILj256ELj13ELNS0_17block_load_methodE3ELS4_3ELS4_3ELNS0_20block_scan_algorithmE0ELj4294967295EEENS1_25partition_config_selectorILNS1_17partition_subalgoE4EjNS0_10empty_typeEbEEZZNS1_14partition_implILS8_4ELb0ES6_15HIP_vector_typeIjLj2EENS0_17counting_iteratorIjlEEPS9_SG_NS0_5tupleIJPjSI_NS0_16reverse_iteratorISI_EEEEENSH_IJSG_SG_SG_EEES9_SI_JZNS1_25segmented_radix_sort_implINS0_14default_configELb0EPKsPsPKlPlN2at6native12_GLOBAL__N_18offset_tEEE10hipError_tPvRmT1_PNSt15iterator_traitsIS12_E10value_typeET2_T3_PNS13_IS18_E10value_typeET4_jRbjT5_S1E_jjP12ihipStream_tbEUljE_ZNSN_ISO_Lb0ESQ_SR_ST_SU_SY_EESZ_S10_S11_S12_S16_S17_S18_S1B_S1C_jS1D_jS1E_S1E_jjS1G_bEUljE0_EEESZ_S10_S11_S18_S1C_S1E_T6_T7_T9_mT8_S1G_bDpT10_ENKUlT_T0_E_clISt17integral_constantIbLb0EES1T_IbLb1EEEEDaS1P_S1Q_EUlS1P_E_NS1_11comp_targetILNS1_3genE2ELNS1_11target_archE906ELNS1_3gpuE6ELNS1_3repE0EEENS1_30default_config_static_selectorELNS0_4arch9wavefront6targetE0EEEvS12_,"axG",@progbits,_ZN7rocprim17ROCPRIM_400000_NS6detail17trampoline_kernelINS0_13select_configILj256ELj13ELNS0_17block_load_methodE3ELS4_3ELS4_3ELNS0_20block_scan_algorithmE0ELj4294967295EEENS1_25partition_config_selectorILNS1_17partition_subalgoE4EjNS0_10empty_typeEbEEZZNS1_14partition_implILS8_4ELb0ES6_15HIP_vector_typeIjLj2EENS0_17counting_iteratorIjlEEPS9_SG_NS0_5tupleIJPjSI_NS0_16reverse_iteratorISI_EEEEENSH_IJSG_SG_SG_EEES9_SI_JZNS1_25segmented_radix_sort_implINS0_14default_configELb0EPKsPsPKlPlN2at6native12_GLOBAL__N_18offset_tEEE10hipError_tPvRmT1_PNSt15iterator_traitsIS12_E10value_typeET2_T3_PNS13_IS18_E10value_typeET4_jRbjT5_S1E_jjP12ihipStream_tbEUljE_ZNSN_ISO_Lb0ESQ_SR_ST_SU_SY_EESZ_S10_S11_S12_S16_S17_S18_S1B_S1C_jS1D_jS1E_S1E_jjS1G_bEUljE0_EEESZ_S10_S11_S18_S1C_S1E_T6_T7_T9_mT8_S1G_bDpT10_ENKUlT_T0_E_clISt17integral_constantIbLb0EES1T_IbLb1EEEEDaS1P_S1Q_EUlS1P_E_NS1_11comp_targetILNS1_3genE2ELNS1_11target_archE906ELNS1_3gpuE6ELNS1_3repE0EEENS1_30default_config_static_selectorELNS0_4arch9wavefront6targetE0EEEvS12_,comdat
.Lfunc_end978:
	.size	_ZN7rocprim17ROCPRIM_400000_NS6detail17trampoline_kernelINS0_13select_configILj256ELj13ELNS0_17block_load_methodE3ELS4_3ELS4_3ELNS0_20block_scan_algorithmE0ELj4294967295EEENS1_25partition_config_selectorILNS1_17partition_subalgoE4EjNS0_10empty_typeEbEEZZNS1_14partition_implILS8_4ELb0ES6_15HIP_vector_typeIjLj2EENS0_17counting_iteratorIjlEEPS9_SG_NS0_5tupleIJPjSI_NS0_16reverse_iteratorISI_EEEEENSH_IJSG_SG_SG_EEES9_SI_JZNS1_25segmented_radix_sort_implINS0_14default_configELb0EPKsPsPKlPlN2at6native12_GLOBAL__N_18offset_tEEE10hipError_tPvRmT1_PNSt15iterator_traitsIS12_E10value_typeET2_T3_PNS13_IS18_E10value_typeET4_jRbjT5_S1E_jjP12ihipStream_tbEUljE_ZNSN_ISO_Lb0ESQ_SR_ST_SU_SY_EESZ_S10_S11_S12_S16_S17_S18_S1B_S1C_jS1D_jS1E_S1E_jjS1G_bEUljE0_EEESZ_S10_S11_S18_S1C_S1E_T6_T7_T9_mT8_S1G_bDpT10_ENKUlT_T0_E_clISt17integral_constantIbLb0EES1T_IbLb1EEEEDaS1P_S1Q_EUlS1P_E_NS1_11comp_targetILNS1_3genE2ELNS1_11target_archE906ELNS1_3gpuE6ELNS1_3repE0EEENS1_30default_config_static_selectorELNS0_4arch9wavefront6targetE0EEEvS12_, .Lfunc_end978-_ZN7rocprim17ROCPRIM_400000_NS6detail17trampoline_kernelINS0_13select_configILj256ELj13ELNS0_17block_load_methodE3ELS4_3ELS4_3ELNS0_20block_scan_algorithmE0ELj4294967295EEENS1_25partition_config_selectorILNS1_17partition_subalgoE4EjNS0_10empty_typeEbEEZZNS1_14partition_implILS8_4ELb0ES6_15HIP_vector_typeIjLj2EENS0_17counting_iteratorIjlEEPS9_SG_NS0_5tupleIJPjSI_NS0_16reverse_iteratorISI_EEEEENSH_IJSG_SG_SG_EEES9_SI_JZNS1_25segmented_radix_sort_implINS0_14default_configELb0EPKsPsPKlPlN2at6native12_GLOBAL__N_18offset_tEEE10hipError_tPvRmT1_PNSt15iterator_traitsIS12_E10value_typeET2_T3_PNS13_IS18_E10value_typeET4_jRbjT5_S1E_jjP12ihipStream_tbEUljE_ZNSN_ISO_Lb0ESQ_SR_ST_SU_SY_EESZ_S10_S11_S12_S16_S17_S18_S1B_S1C_jS1D_jS1E_S1E_jjS1G_bEUljE0_EEESZ_S10_S11_S18_S1C_S1E_T6_T7_T9_mT8_S1G_bDpT10_ENKUlT_T0_E_clISt17integral_constantIbLb0EES1T_IbLb1EEEEDaS1P_S1Q_EUlS1P_E_NS1_11comp_targetILNS1_3genE2ELNS1_11target_archE906ELNS1_3gpuE6ELNS1_3repE0EEENS1_30default_config_static_selectorELNS0_4arch9wavefront6targetE0EEEvS12_
                                        ; -- End function
	.set _ZN7rocprim17ROCPRIM_400000_NS6detail17trampoline_kernelINS0_13select_configILj256ELj13ELNS0_17block_load_methodE3ELS4_3ELS4_3ELNS0_20block_scan_algorithmE0ELj4294967295EEENS1_25partition_config_selectorILNS1_17partition_subalgoE4EjNS0_10empty_typeEbEEZZNS1_14partition_implILS8_4ELb0ES6_15HIP_vector_typeIjLj2EENS0_17counting_iteratorIjlEEPS9_SG_NS0_5tupleIJPjSI_NS0_16reverse_iteratorISI_EEEEENSH_IJSG_SG_SG_EEES9_SI_JZNS1_25segmented_radix_sort_implINS0_14default_configELb0EPKsPsPKlPlN2at6native12_GLOBAL__N_18offset_tEEE10hipError_tPvRmT1_PNSt15iterator_traitsIS12_E10value_typeET2_T3_PNS13_IS18_E10value_typeET4_jRbjT5_S1E_jjP12ihipStream_tbEUljE_ZNSN_ISO_Lb0ESQ_SR_ST_SU_SY_EESZ_S10_S11_S12_S16_S17_S18_S1B_S1C_jS1D_jS1E_S1E_jjS1G_bEUljE0_EEESZ_S10_S11_S18_S1C_S1E_T6_T7_T9_mT8_S1G_bDpT10_ENKUlT_T0_E_clISt17integral_constantIbLb0EES1T_IbLb1EEEEDaS1P_S1Q_EUlS1P_E_NS1_11comp_targetILNS1_3genE2ELNS1_11target_archE906ELNS1_3gpuE6ELNS1_3repE0EEENS1_30default_config_static_selectorELNS0_4arch9wavefront6targetE0EEEvS12_.num_vgpr, 0
	.set _ZN7rocprim17ROCPRIM_400000_NS6detail17trampoline_kernelINS0_13select_configILj256ELj13ELNS0_17block_load_methodE3ELS4_3ELS4_3ELNS0_20block_scan_algorithmE0ELj4294967295EEENS1_25partition_config_selectorILNS1_17partition_subalgoE4EjNS0_10empty_typeEbEEZZNS1_14partition_implILS8_4ELb0ES6_15HIP_vector_typeIjLj2EENS0_17counting_iteratorIjlEEPS9_SG_NS0_5tupleIJPjSI_NS0_16reverse_iteratorISI_EEEEENSH_IJSG_SG_SG_EEES9_SI_JZNS1_25segmented_radix_sort_implINS0_14default_configELb0EPKsPsPKlPlN2at6native12_GLOBAL__N_18offset_tEEE10hipError_tPvRmT1_PNSt15iterator_traitsIS12_E10value_typeET2_T3_PNS13_IS18_E10value_typeET4_jRbjT5_S1E_jjP12ihipStream_tbEUljE_ZNSN_ISO_Lb0ESQ_SR_ST_SU_SY_EESZ_S10_S11_S12_S16_S17_S18_S1B_S1C_jS1D_jS1E_S1E_jjS1G_bEUljE0_EEESZ_S10_S11_S18_S1C_S1E_T6_T7_T9_mT8_S1G_bDpT10_ENKUlT_T0_E_clISt17integral_constantIbLb0EES1T_IbLb1EEEEDaS1P_S1Q_EUlS1P_E_NS1_11comp_targetILNS1_3genE2ELNS1_11target_archE906ELNS1_3gpuE6ELNS1_3repE0EEENS1_30default_config_static_selectorELNS0_4arch9wavefront6targetE0EEEvS12_.num_agpr, 0
	.set _ZN7rocprim17ROCPRIM_400000_NS6detail17trampoline_kernelINS0_13select_configILj256ELj13ELNS0_17block_load_methodE3ELS4_3ELS4_3ELNS0_20block_scan_algorithmE0ELj4294967295EEENS1_25partition_config_selectorILNS1_17partition_subalgoE4EjNS0_10empty_typeEbEEZZNS1_14partition_implILS8_4ELb0ES6_15HIP_vector_typeIjLj2EENS0_17counting_iteratorIjlEEPS9_SG_NS0_5tupleIJPjSI_NS0_16reverse_iteratorISI_EEEEENSH_IJSG_SG_SG_EEES9_SI_JZNS1_25segmented_radix_sort_implINS0_14default_configELb0EPKsPsPKlPlN2at6native12_GLOBAL__N_18offset_tEEE10hipError_tPvRmT1_PNSt15iterator_traitsIS12_E10value_typeET2_T3_PNS13_IS18_E10value_typeET4_jRbjT5_S1E_jjP12ihipStream_tbEUljE_ZNSN_ISO_Lb0ESQ_SR_ST_SU_SY_EESZ_S10_S11_S12_S16_S17_S18_S1B_S1C_jS1D_jS1E_S1E_jjS1G_bEUljE0_EEESZ_S10_S11_S18_S1C_S1E_T6_T7_T9_mT8_S1G_bDpT10_ENKUlT_T0_E_clISt17integral_constantIbLb0EES1T_IbLb1EEEEDaS1P_S1Q_EUlS1P_E_NS1_11comp_targetILNS1_3genE2ELNS1_11target_archE906ELNS1_3gpuE6ELNS1_3repE0EEENS1_30default_config_static_selectorELNS0_4arch9wavefront6targetE0EEEvS12_.numbered_sgpr, 0
	.set _ZN7rocprim17ROCPRIM_400000_NS6detail17trampoline_kernelINS0_13select_configILj256ELj13ELNS0_17block_load_methodE3ELS4_3ELS4_3ELNS0_20block_scan_algorithmE0ELj4294967295EEENS1_25partition_config_selectorILNS1_17partition_subalgoE4EjNS0_10empty_typeEbEEZZNS1_14partition_implILS8_4ELb0ES6_15HIP_vector_typeIjLj2EENS0_17counting_iteratorIjlEEPS9_SG_NS0_5tupleIJPjSI_NS0_16reverse_iteratorISI_EEEEENSH_IJSG_SG_SG_EEES9_SI_JZNS1_25segmented_radix_sort_implINS0_14default_configELb0EPKsPsPKlPlN2at6native12_GLOBAL__N_18offset_tEEE10hipError_tPvRmT1_PNSt15iterator_traitsIS12_E10value_typeET2_T3_PNS13_IS18_E10value_typeET4_jRbjT5_S1E_jjP12ihipStream_tbEUljE_ZNSN_ISO_Lb0ESQ_SR_ST_SU_SY_EESZ_S10_S11_S12_S16_S17_S18_S1B_S1C_jS1D_jS1E_S1E_jjS1G_bEUljE0_EEESZ_S10_S11_S18_S1C_S1E_T6_T7_T9_mT8_S1G_bDpT10_ENKUlT_T0_E_clISt17integral_constantIbLb0EES1T_IbLb1EEEEDaS1P_S1Q_EUlS1P_E_NS1_11comp_targetILNS1_3genE2ELNS1_11target_archE906ELNS1_3gpuE6ELNS1_3repE0EEENS1_30default_config_static_selectorELNS0_4arch9wavefront6targetE0EEEvS12_.num_named_barrier, 0
	.set _ZN7rocprim17ROCPRIM_400000_NS6detail17trampoline_kernelINS0_13select_configILj256ELj13ELNS0_17block_load_methodE3ELS4_3ELS4_3ELNS0_20block_scan_algorithmE0ELj4294967295EEENS1_25partition_config_selectorILNS1_17partition_subalgoE4EjNS0_10empty_typeEbEEZZNS1_14partition_implILS8_4ELb0ES6_15HIP_vector_typeIjLj2EENS0_17counting_iteratorIjlEEPS9_SG_NS0_5tupleIJPjSI_NS0_16reverse_iteratorISI_EEEEENSH_IJSG_SG_SG_EEES9_SI_JZNS1_25segmented_radix_sort_implINS0_14default_configELb0EPKsPsPKlPlN2at6native12_GLOBAL__N_18offset_tEEE10hipError_tPvRmT1_PNSt15iterator_traitsIS12_E10value_typeET2_T3_PNS13_IS18_E10value_typeET4_jRbjT5_S1E_jjP12ihipStream_tbEUljE_ZNSN_ISO_Lb0ESQ_SR_ST_SU_SY_EESZ_S10_S11_S12_S16_S17_S18_S1B_S1C_jS1D_jS1E_S1E_jjS1G_bEUljE0_EEESZ_S10_S11_S18_S1C_S1E_T6_T7_T9_mT8_S1G_bDpT10_ENKUlT_T0_E_clISt17integral_constantIbLb0EES1T_IbLb1EEEEDaS1P_S1Q_EUlS1P_E_NS1_11comp_targetILNS1_3genE2ELNS1_11target_archE906ELNS1_3gpuE6ELNS1_3repE0EEENS1_30default_config_static_selectorELNS0_4arch9wavefront6targetE0EEEvS12_.private_seg_size, 0
	.set _ZN7rocprim17ROCPRIM_400000_NS6detail17trampoline_kernelINS0_13select_configILj256ELj13ELNS0_17block_load_methodE3ELS4_3ELS4_3ELNS0_20block_scan_algorithmE0ELj4294967295EEENS1_25partition_config_selectorILNS1_17partition_subalgoE4EjNS0_10empty_typeEbEEZZNS1_14partition_implILS8_4ELb0ES6_15HIP_vector_typeIjLj2EENS0_17counting_iteratorIjlEEPS9_SG_NS0_5tupleIJPjSI_NS0_16reverse_iteratorISI_EEEEENSH_IJSG_SG_SG_EEES9_SI_JZNS1_25segmented_radix_sort_implINS0_14default_configELb0EPKsPsPKlPlN2at6native12_GLOBAL__N_18offset_tEEE10hipError_tPvRmT1_PNSt15iterator_traitsIS12_E10value_typeET2_T3_PNS13_IS18_E10value_typeET4_jRbjT5_S1E_jjP12ihipStream_tbEUljE_ZNSN_ISO_Lb0ESQ_SR_ST_SU_SY_EESZ_S10_S11_S12_S16_S17_S18_S1B_S1C_jS1D_jS1E_S1E_jjS1G_bEUljE0_EEESZ_S10_S11_S18_S1C_S1E_T6_T7_T9_mT8_S1G_bDpT10_ENKUlT_T0_E_clISt17integral_constantIbLb0EES1T_IbLb1EEEEDaS1P_S1Q_EUlS1P_E_NS1_11comp_targetILNS1_3genE2ELNS1_11target_archE906ELNS1_3gpuE6ELNS1_3repE0EEENS1_30default_config_static_selectorELNS0_4arch9wavefront6targetE0EEEvS12_.uses_vcc, 0
	.set _ZN7rocprim17ROCPRIM_400000_NS6detail17trampoline_kernelINS0_13select_configILj256ELj13ELNS0_17block_load_methodE3ELS4_3ELS4_3ELNS0_20block_scan_algorithmE0ELj4294967295EEENS1_25partition_config_selectorILNS1_17partition_subalgoE4EjNS0_10empty_typeEbEEZZNS1_14partition_implILS8_4ELb0ES6_15HIP_vector_typeIjLj2EENS0_17counting_iteratorIjlEEPS9_SG_NS0_5tupleIJPjSI_NS0_16reverse_iteratorISI_EEEEENSH_IJSG_SG_SG_EEES9_SI_JZNS1_25segmented_radix_sort_implINS0_14default_configELb0EPKsPsPKlPlN2at6native12_GLOBAL__N_18offset_tEEE10hipError_tPvRmT1_PNSt15iterator_traitsIS12_E10value_typeET2_T3_PNS13_IS18_E10value_typeET4_jRbjT5_S1E_jjP12ihipStream_tbEUljE_ZNSN_ISO_Lb0ESQ_SR_ST_SU_SY_EESZ_S10_S11_S12_S16_S17_S18_S1B_S1C_jS1D_jS1E_S1E_jjS1G_bEUljE0_EEESZ_S10_S11_S18_S1C_S1E_T6_T7_T9_mT8_S1G_bDpT10_ENKUlT_T0_E_clISt17integral_constantIbLb0EES1T_IbLb1EEEEDaS1P_S1Q_EUlS1P_E_NS1_11comp_targetILNS1_3genE2ELNS1_11target_archE906ELNS1_3gpuE6ELNS1_3repE0EEENS1_30default_config_static_selectorELNS0_4arch9wavefront6targetE0EEEvS12_.uses_flat_scratch, 0
	.set _ZN7rocprim17ROCPRIM_400000_NS6detail17trampoline_kernelINS0_13select_configILj256ELj13ELNS0_17block_load_methodE3ELS4_3ELS4_3ELNS0_20block_scan_algorithmE0ELj4294967295EEENS1_25partition_config_selectorILNS1_17partition_subalgoE4EjNS0_10empty_typeEbEEZZNS1_14partition_implILS8_4ELb0ES6_15HIP_vector_typeIjLj2EENS0_17counting_iteratorIjlEEPS9_SG_NS0_5tupleIJPjSI_NS0_16reverse_iteratorISI_EEEEENSH_IJSG_SG_SG_EEES9_SI_JZNS1_25segmented_radix_sort_implINS0_14default_configELb0EPKsPsPKlPlN2at6native12_GLOBAL__N_18offset_tEEE10hipError_tPvRmT1_PNSt15iterator_traitsIS12_E10value_typeET2_T3_PNS13_IS18_E10value_typeET4_jRbjT5_S1E_jjP12ihipStream_tbEUljE_ZNSN_ISO_Lb0ESQ_SR_ST_SU_SY_EESZ_S10_S11_S12_S16_S17_S18_S1B_S1C_jS1D_jS1E_S1E_jjS1G_bEUljE0_EEESZ_S10_S11_S18_S1C_S1E_T6_T7_T9_mT8_S1G_bDpT10_ENKUlT_T0_E_clISt17integral_constantIbLb0EES1T_IbLb1EEEEDaS1P_S1Q_EUlS1P_E_NS1_11comp_targetILNS1_3genE2ELNS1_11target_archE906ELNS1_3gpuE6ELNS1_3repE0EEENS1_30default_config_static_selectorELNS0_4arch9wavefront6targetE0EEEvS12_.has_dyn_sized_stack, 0
	.set _ZN7rocprim17ROCPRIM_400000_NS6detail17trampoline_kernelINS0_13select_configILj256ELj13ELNS0_17block_load_methodE3ELS4_3ELS4_3ELNS0_20block_scan_algorithmE0ELj4294967295EEENS1_25partition_config_selectorILNS1_17partition_subalgoE4EjNS0_10empty_typeEbEEZZNS1_14partition_implILS8_4ELb0ES6_15HIP_vector_typeIjLj2EENS0_17counting_iteratorIjlEEPS9_SG_NS0_5tupleIJPjSI_NS0_16reverse_iteratorISI_EEEEENSH_IJSG_SG_SG_EEES9_SI_JZNS1_25segmented_radix_sort_implINS0_14default_configELb0EPKsPsPKlPlN2at6native12_GLOBAL__N_18offset_tEEE10hipError_tPvRmT1_PNSt15iterator_traitsIS12_E10value_typeET2_T3_PNS13_IS18_E10value_typeET4_jRbjT5_S1E_jjP12ihipStream_tbEUljE_ZNSN_ISO_Lb0ESQ_SR_ST_SU_SY_EESZ_S10_S11_S12_S16_S17_S18_S1B_S1C_jS1D_jS1E_S1E_jjS1G_bEUljE0_EEESZ_S10_S11_S18_S1C_S1E_T6_T7_T9_mT8_S1G_bDpT10_ENKUlT_T0_E_clISt17integral_constantIbLb0EES1T_IbLb1EEEEDaS1P_S1Q_EUlS1P_E_NS1_11comp_targetILNS1_3genE2ELNS1_11target_archE906ELNS1_3gpuE6ELNS1_3repE0EEENS1_30default_config_static_selectorELNS0_4arch9wavefront6targetE0EEEvS12_.has_recursion, 0
	.set _ZN7rocprim17ROCPRIM_400000_NS6detail17trampoline_kernelINS0_13select_configILj256ELj13ELNS0_17block_load_methodE3ELS4_3ELS4_3ELNS0_20block_scan_algorithmE0ELj4294967295EEENS1_25partition_config_selectorILNS1_17partition_subalgoE4EjNS0_10empty_typeEbEEZZNS1_14partition_implILS8_4ELb0ES6_15HIP_vector_typeIjLj2EENS0_17counting_iteratorIjlEEPS9_SG_NS0_5tupleIJPjSI_NS0_16reverse_iteratorISI_EEEEENSH_IJSG_SG_SG_EEES9_SI_JZNS1_25segmented_radix_sort_implINS0_14default_configELb0EPKsPsPKlPlN2at6native12_GLOBAL__N_18offset_tEEE10hipError_tPvRmT1_PNSt15iterator_traitsIS12_E10value_typeET2_T3_PNS13_IS18_E10value_typeET4_jRbjT5_S1E_jjP12ihipStream_tbEUljE_ZNSN_ISO_Lb0ESQ_SR_ST_SU_SY_EESZ_S10_S11_S12_S16_S17_S18_S1B_S1C_jS1D_jS1E_S1E_jjS1G_bEUljE0_EEESZ_S10_S11_S18_S1C_S1E_T6_T7_T9_mT8_S1G_bDpT10_ENKUlT_T0_E_clISt17integral_constantIbLb0EES1T_IbLb1EEEEDaS1P_S1Q_EUlS1P_E_NS1_11comp_targetILNS1_3genE2ELNS1_11target_archE906ELNS1_3gpuE6ELNS1_3repE0EEENS1_30default_config_static_selectorELNS0_4arch9wavefront6targetE0EEEvS12_.has_indirect_call, 0
	.section	.AMDGPU.csdata,"",@progbits
; Kernel info:
; codeLenInByte = 0
; TotalNumSgprs: 0
; NumVgprs: 0
; ScratchSize: 0
; MemoryBound: 0
; FloatMode: 240
; IeeeMode: 1
; LDSByteSize: 0 bytes/workgroup (compile time only)
; SGPRBlocks: 0
; VGPRBlocks: 0
; NumSGPRsForWavesPerEU: 1
; NumVGPRsForWavesPerEU: 1
; Occupancy: 16
; WaveLimiterHint : 0
; COMPUTE_PGM_RSRC2:SCRATCH_EN: 0
; COMPUTE_PGM_RSRC2:USER_SGPR: 2
; COMPUTE_PGM_RSRC2:TRAP_HANDLER: 0
; COMPUTE_PGM_RSRC2:TGID_X_EN: 1
; COMPUTE_PGM_RSRC2:TGID_Y_EN: 0
; COMPUTE_PGM_RSRC2:TGID_Z_EN: 0
; COMPUTE_PGM_RSRC2:TIDIG_COMP_CNT: 0
	.section	.text._ZN7rocprim17ROCPRIM_400000_NS6detail17trampoline_kernelINS0_13select_configILj256ELj13ELNS0_17block_load_methodE3ELS4_3ELS4_3ELNS0_20block_scan_algorithmE0ELj4294967295EEENS1_25partition_config_selectorILNS1_17partition_subalgoE4EjNS0_10empty_typeEbEEZZNS1_14partition_implILS8_4ELb0ES6_15HIP_vector_typeIjLj2EENS0_17counting_iteratorIjlEEPS9_SG_NS0_5tupleIJPjSI_NS0_16reverse_iteratorISI_EEEEENSH_IJSG_SG_SG_EEES9_SI_JZNS1_25segmented_radix_sort_implINS0_14default_configELb0EPKsPsPKlPlN2at6native12_GLOBAL__N_18offset_tEEE10hipError_tPvRmT1_PNSt15iterator_traitsIS12_E10value_typeET2_T3_PNS13_IS18_E10value_typeET4_jRbjT5_S1E_jjP12ihipStream_tbEUljE_ZNSN_ISO_Lb0ESQ_SR_ST_SU_SY_EESZ_S10_S11_S12_S16_S17_S18_S1B_S1C_jS1D_jS1E_S1E_jjS1G_bEUljE0_EEESZ_S10_S11_S18_S1C_S1E_T6_T7_T9_mT8_S1G_bDpT10_ENKUlT_T0_E_clISt17integral_constantIbLb0EES1T_IbLb1EEEEDaS1P_S1Q_EUlS1P_E_NS1_11comp_targetILNS1_3genE10ELNS1_11target_archE1200ELNS1_3gpuE4ELNS1_3repE0EEENS1_30default_config_static_selectorELNS0_4arch9wavefront6targetE0EEEvS12_,"axG",@progbits,_ZN7rocprim17ROCPRIM_400000_NS6detail17trampoline_kernelINS0_13select_configILj256ELj13ELNS0_17block_load_methodE3ELS4_3ELS4_3ELNS0_20block_scan_algorithmE0ELj4294967295EEENS1_25partition_config_selectorILNS1_17partition_subalgoE4EjNS0_10empty_typeEbEEZZNS1_14partition_implILS8_4ELb0ES6_15HIP_vector_typeIjLj2EENS0_17counting_iteratorIjlEEPS9_SG_NS0_5tupleIJPjSI_NS0_16reverse_iteratorISI_EEEEENSH_IJSG_SG_SG_EEES9_SI_JZNS1_25segmented_radix_sort_implINS0_14default_configELb0EPKsPsPKlPlN2at6native12_GLOBAL__N_18offset_tEEE10hipError_tPvRmT1_PNSt15iterator_traitsIS12_E10value_typeET2_T3_PNS13_IS18_E10value_typeET4_jRbjT5_S1E_jjP12ihipStream_tbEUljE_ZNSN_ISO_Lb0ESQ_SR_ST_SU_SY_EESZ_S10_S11_S12_S16_S17_S18_S1B_S1C_jS1D_jS1E_S1E_jjS1G_bEUljE0_EEESZ_S10_S11_S18_S1C_S1E_T6_T7_T9_mT8_S1G_bDpT10_ENKUlT_T0_E_clISt17integral_constantIbLb0EES1T_IbLb1EEEEDaS1P_S1Q_EUlS1P_E_NS1_11comp_targetILNS1_3genE10ELNS1_11target_archE1200ELNS1_3gpuE4ELNS1_3repE0EEENS1_30default_config_static_selectorELNS0_4arch9wavefront6targetE0EEEvS12_,comdat
	.globl	_ZN7rocprim17ROCPRIM_400000_NS6detail17trampoline_kernelINS0_13select_configILj256ELj13ELNS0_17block_load_methodE3ELS4_3ELS4_3ELNS0_20block_scan_algorithmE0ELj4294967295EEENS1_25partition_config_selectorILNS1_17partition_subalgoE4EjNS0_10empty_typeEbEEZZNS1_14partition_implILS8_4ELb0ES6_15HIP_vector_typeIjLj2EENS0_17counting_iteratorIjlEEPS9_SG_NS0_5tupleIJPjSI_NS0_16reverse_iteratorISI_EEEEENSH_IJSG_SG_SG_EEES9_SI_JZNS1_25segmented_radix_sort_implINS0_14default_configELb0EPKsPsPKlPlN2at6native12_GLOBAL__N_18offset_tEEE10hipError_tPvRmT1_PNSt15iterator_traitsIS12_E10value_typeET2_T3_PNS13_IS18_E10value_typeET4_jRbjT5_S1E_jjP12ihipStream_tbEUljE_ZNSN_ISO_Lb0ESQ_SR_ST_SU_SY_EESZ_S10_S11_S12_S16_S17_S18_S1B_S1C_jS1D_jS1E_S1E_jjS1G_bEUljE0_EEESZ_S10_S11_S18_S1C_S1E_T6_T7_T9_mT8_S1G_bDpT10_ENKUlT_T0_E_clISt17integral_constantIbLb0EES1T_IbLb1EEEEDaS1P_S1Q_EUlS1P_E_NS1_11comp_targetILNS1_3genE10ELNS1_11target_archE1200ELNS1_3gpuE4ELNS1_3repE0EEENS1_30default_config_static_selectorELNS0_4arch9wavefront6targetE0EEEvS12_ ; -- Begin function _ZN7rocprim17ROCPRIM_400000_NS6detail17trampoline_kernelINS0_13select_configILj256ELj13ELNS0_17block_load_methodE3ELS4_3ELS4_3ELNS0_20block_scan_algorithmE0ELj4294967295EEENS1_25partition_config_selectorILNS1_17partition_subalgoE4EjNS0_10empty_typeEbEEZZNS1_14partition_implILS8_4ELb0ES6_15HIP_vector_typeIjLj2EENS0_17counting_iteratorIjlEEPS9_SG_NS0_5tupleIJPjSI_NS0_16reverse_iteratorISI_EEEEENSH_IJSG_SG_SG_EEES9_SI_JZNS1_25segmented_radix_sort_implINS0_14default_configELb0EPKsPsPKlPlN2at6native12_GLOBAL__N_18offset_tEEE10hipError_tPvRmT1_PNSt15iterator_traitsIS12_E10value_typeET2_T3_PNS13_IS18_E10value_typeET4_jRbjT5_S1E_jjP12ihipStream_tbEUljE_ZNSN_ISO_Lb0ESQ_SR_ST_SU_SY_EESZ_S10_S11_S12_S16_S17_S18_S1B_S1C_jS1D_jS1E_S1E_jjS1G_bEUljE0_EEESZ_S10_S11_S18_S1C_S1E_T6_T7_T9_mT8_S1G_bDpT10_ENKUlT_T0_E_clISt17integral_constantIbLb0EES1T_IbLb1EEEEDaS1P_S1Q_EUlS1P_E_NS1_11comp_targetILNS1_3genE10ELNS1_11target_archE1200ELNS1_3gpuE4ELNS1_3repE0EEENS1_30default_config_static_selectorELNS0_4arch9wavefront6targetE0EEEvS12_
	.p2align	8
	.type	_ZN7rocprim17ROCPRIM_400000_NS6detail17trampoline_kernelINS0_13select_configILj256ELj13ELNS0_17block_load_methodE3ELS4_3ELS4_3ELNS0_20block_scan_algorithmE0ELj4294967295EEENS1_25partition_config_selectorILNS1_17partition_subalgoE4EjNS0_10empty_typeEbEEZZNS1_14partition_implILS8_4ELb0ES6_15HIP_vector_typeIjLj2EENS0_17counting_iteratorIjlEEPS9_SG_NS0_5tupleIJPjSI_NS0_16reverse_iteratorISI_EEEEENSH_IJSG_SG_SG_EEES9_SI_JZNS1_25segmented_radix_sort_implINS0_14default_configELb0EPKsPsPKlPlN2at6native12_GLOBAL__N_18offset_tEEE10hipError_tPvRmT1_PNSt15iterator_traitsIS12_E10value_typeET2_T3_PNS13_IS18_E10value_typeET4_jRbjT5_S1E_jjP12ihipStream_tbEUljE_ZNSN_ISO_Lb0ESQ_SR_ST_SU_SY_EESZ_S10_S11_S12_S16_S17_S18_S1B_S1C_jS1D_jS1E_S1E_jjS1G_bEUljE0_EEESZ_S10_S11_S18_S1C_S1E_T6_T7_T9_mT8_S1G_bDpT10_ENKUlT_T0_E_clISt17integral_constantIbLb0EES1T_IbLb1EEEEDaS1P_S1Q_EUlS1P_E_NS1_11comp_targetILNS1_3genE10ELNS1_11target_archE1200ELNS1_3gpuE4ELNS1_3repE0EEENS1_30default_config_static_selectorELNS0_4arch9wavefront6targetE0EEEvS12_,@function
_ZN7rocprim17ROCPRIM_400000_NS6detail17trampoline_kernelINS0_13select_configILj256ELj13ELNS0_17block_load_methodE3ELS4_3ELS4_3ELNS0_20block_scan_algorithmE0ELj4294967295EEENS1_25partition_config_selectorILNS1_17partition_subalgoE4EjNS0_10empty_typeEbEEZZNS1_14partition_implILS8_4ELb0ES6_15HIP_vector_typeIjLj2EENS0_17counting_iteratorIjlEEPS9_SG_NS0_5tupleIJPjSI_NS0_16reverse_iteratorISI_EEEEENSH_IJSG_SG_SG_EEES9_SI_JZNS1_25segmented_radix_sort_implINS0_14default_configELb0EPKsPsPKlPlN2at6native12_GLOBAL__N_18offset_tEEE10hipError_tPvRmT1_PNSt15iterator_traitsIS12_E10value_typeET2_T3_PNS13_IS18_E10value_typeET4_jRbjT5_S1E_jjP12ihipStream_tbEUljE_ZNSN_ISO_Lb0ESQ_SR_ST_SU_SY_EESZ_S10_S11_S12_S16_S17_S18_S1B_S1C_jS1D_jS1E_S1E_jjS1G_bEUljE0_EEESZ_S10_S11_S18_S1C_S1E_T6_T7_T9_mT8_S1G_bDpT10_ENKUlT_T0_E_clISt17integral_constantIbLb0EES1T_IbLb1EEEEDaS1P_S1Q_EUlS1P_E_NS1_11comp_targetILNS1_3genE10ELNS1_11target_archE1200ELNS1_3gpuE4ELNS1_3repE0EEENS1_30default_config_static_selectorELNS0_4arch9wavefront6targetE0EEEvS12_: ; @_ZN7rocprim17ROCPRIM_400000_NS6detail17trampoline_kernelINS0_13select_configILj256ELj13ELNS0_17block_load_methodE3ELS4_3ELS4_3ELNS0_20block_scan_algorithmE0ELj4294967295EEENS1_25partition_config_selectorILNS1_17partition_subalgoE4EjNS0_10empty_typeEbEEZZNS1_14partition_implILS8_4ELb0ES6_15HIP_vector_typeIjLj2EENS0_17counting_iteratorIjlEEPS9_SG_NS0_5tupleIJPjSI_NS0_16reverse_iteratorISI_EEEEENSH_IJSG_SG_SG_EEES9_SI_JZNS1_25segmented_radix_sort_implINS0_14default_configELb0EPKsPsPKlPlN2at6native12_GLOBAL__N_18offset_tEEE10hipError_tPvRmT1_PNSt15iterator_traitsIS12_E10value_typeET2_T3_PNS13_IS18_E10value_typeET4_jRbjT5_S1E_jjP12ihipStream_tbEUljE_ZNSN_ISO_Lb0ESQ_SR_ST_SU_SY_EESZ_S10_S11_S12_S16_S17_S18_S1B_S1C_jS1D_jS1E_S1E_jjS1G_bEUljE0_EEESZ_S10_S11_S18_S1C_S1E_T6_T7_T9_mT8_S1G_bDpT10_ENKUlT_T0_E_clISt17integral_constantIbLb0EES1T_IbLb1EEEEDaS1P_S1Q_EUlS1P_E_NS1_11comp_targetILNS1_3genE10ELNS1_11target_archE1200ELNS1_3gpuE4ELNS1_3repE0EEENS1_30default_config_static_selectorELNS0_4arch9wavefront6targetE0EEEvS12_
; %bb.0:
	s_clause 0x7
	s_load_b64 s[34:35], s[0:1], 0x10
	s_load_b128 s[28:31], s[0:1], 0x28
	s_load_b64 s[14:15], s[0:1], 0x38
	s_load_b128 s[24:27], s[0:1], 0x58
	s_load_b64 s[4:5], s[0:1], 0x68
	s_load_b64 s[36:37], s[0:1], 0x78
	;; [unrolled: 1-line block ×3, first 2 shown]
	s_load_b256 s[16:23], s[0:1], 0x90
	v_cmp_eq_u32_e64 s2, 0, v0
	s_and_saveexec_b32 s3, s2
	s_cbranch_execz .LBB979_4
; %bb.1:
	s_mov_b32 s7, exec_lo
	s_mov_b32 s6, exec_lo
	v_mbcnt_lo_u32_b32 v1, s7, 0
                                        ; implicit-def: $vgpr2
	s_delay_alu instid0(VALU_DEP_1)
	v_cmpx_eq_u32_e32 0, v1
	s_cbranch_execz .LBB979_3
; %bb.2:
	s_load_b64 s[8:9], s[0:1], 0x88
	s_bcnt1_i32_b32 s7, s7
	s_wait_alu 0xfffe
	v_dual_mov_b32 v2, 0 :: v_dual_mov_b32 v3, s7
	s_wait_kmcnt 0x0
	global_atomic_add_u32 v2, v2, v3, s[8:9] th:TH_ATOMIC_RETURN scope:SCOPE_DEV
.LBB979_3:
	s_or_b32 exec_lo, exec_lo, s6
	s_wait_loadcnt 0x0
	v_readfirstlane_b32 s6, v2
	s_wait_alu 0xf1ff
	s_delay_alu instid0(VALU_DEP_1)
	v_dual_mov_b32 v2, 0 :: v_dual_add_nc_u32 v1, s6, v1
	ds_store_b32 v2, v1
.LBB979_4:
	s_or_b32 exec_lo, exec_lo, s3
	v_mov_b32_e32 v1, 0
	s_clause 0x1
	s_load_b32 s3, s[0:1], 0x8
	s_load_b32 s0, s[0:1], 0x80
	s_wait_dscnt 0x0
	s_barrier_signal -1
	s_barrier_wait -1
	global_inv scope:SCOPE_SE
	ds_load_b32 v5, v1
	s_wait_loadcnt_dscnt 0x0
	s_barrier_signal -1
	s_barrier_wait -1
	global_inv scope:SCOPE_SE
	s_wait_kmcnt 0x0
	global_load_b128 v[1:4], v1, s[26:27]
	s_mov_b32 s1, 0
	s_add_co_i32 s3, s3, s34
	s_add_co_i32 s6, s0, -1
	s_mulk_i32 s0, 0xd00
	s_delay_alu instid0(SALU_CYCLE_1)
	s_add_co_i32 s7, s0, s34
	s_add_nc_u64 s[0:1], s[34:35], s[0:1]
	v_readfirstlane_b32 s33, v5
	v_cmp_gt_u64_e64 s0, s[4:5], s[0:1]
	s_wait_alu 0xfffe
	s_sub_co_i32 s27, s4, s7
	v_cmp_ne_u32_e32 vcc_lo, s6, v5
	v_mul_lo_u32 v43, 0xd00, v5
	s_addk_co_i32 s27, 0xd00
	s_cmp_eq_u32 s33, s6
	s_mov_b32 s4, -1
	s_cselect_b32 s26, -1, 0
	s_or_b32 s1, s0, vcc_lo
	s_wait_alu 0xfffe
	s_and_b32 vcc_lo, exec_lo, s1
	s_cbranch_vccz .LBB979_6
; %bb.5:
	v_add3_u32 v5, v43, s3, v0
	v_lshlrev_b32_e32 v14, 2, v0
	s_mov_b32 s4, 0
	s_delay_alu instid0(VALU_DEP_2)
	v_add_nc_u32_e32 v6, 0x100, v5
	v_add_nc_u32_e32 v7, 0x200, v5
	;; [unrolled: 1-line block ×12, first 2 shown]
	ds_store_2addr_stride64_b32 v14, v5, v6 offset1:4
	ds_store_2addr_stride64_b32 v14, v7, v8 offset0:8 offset1:12
	ds_store_2addr_stride64_b32 v14, v9, v10 offset0:16 offset1:20
	;; [unrolled: 1-line block ×5, first 2 shown]
	ds_store_b32 v14, v18 offset:12288
	s_wait_loadcnt_dscnt 0x0
	s_barrier_signal -1
	s_barrier_wait -1
.LBB979_6:
	v_cmp_gt_u32_e64 s0, s27, v0
	v_or_b32_e32 v42, 0x100, v0
	v_or_b32_e32 v41, 0x200, v0
	;; [unrolled: 1-line block ×12, first 2 shown]
	s_wait_alu 0xfffe
	s_and_not1_b32 vcc_lo, exec_lo, s4
	s_cbranch_vccnz .LBB979_8
; %bb.7:
	v_add_nc_u32_e32 v5, s3, v43
	v_cmp_gt_u32_e32 vcc_lo, s27, v42
	s_delay_alu instid0(VALU_DEP_2) | instskip(NEXT) | instid1(VALU_DEP_1)
	v_add_nc_u32_e32 v7, v5, v42
	v_dual_cndmask_b32 v7, 0, v7 :: v_dual_add_nc_u32 v8, v5, v41
	v_cmp_gt_u32_e32 vcc_lo, s27, v41
	s_wait_alu 0xfffd
	s_delay_alu instid0(VALU_DEP_2)
	v_cndmask_b32_e32 v8, 0, v8, vcc_lo
	v_cmp_gt_u32_e32 vcc_lo, s27, v40
	v_add_nc_u32_e32 v17, v5, v32
	v_add_nc_u32_e32 v14, v5, v35
	;; [unrolled: 1-line block ×9, first 2 shown]
	s_wait_alu 0xfffd
	v_cndmask_b32_e32 v9, 0, v9, vcc_lo
	v_cmp_gt_u32_e32 vcc_lo, s27, v39
	v_cndmask_b32_e64 v6, 0, v6, s0
	s_wait_alu 0xfffd
	v_cndmask_b32_e32 v10, 0, v10, vcc_lo
	v_cmp_gt_u32_e32 vcc_lo, s27, v38
	v_add_nc_u32_e32 v12, v5, v37
	v_add_nc_u32_e32 v5, v5, v31
	s_wait_alu 0xfffd
	v_cndmask_b32_e32 v11, 0, v11, vcc_lo
	v_cmp_gt_u32_e32 vcc_lo, s27, v37
	s_wait_alu 0xfffd
	v_cndmask_b32_e32 v12, 0, v12, vcc_lo
	v_cmp_gt_u32_e32 vcc_lo, s27, v36
	;; [unrolled: 3-line block ×7, first 2 shown]
	s_wait_alu 0xfffd
	v_dual_cndmask_b32 v5, 0, v5 :: v_dual_lshlrev_b32 v18, 2, v0
	ds_store_2addr_stride64_b32 v18, v6, v7 offset1:4
	ds_store_2addr_stride64_b32 v18, v8, v9 offset0:8 offset1:12
	ds_store_2addr_stride64_b32 v18, v10, v11 offset0:16 offset1:20
	;; [unrolled: 1-line block ×5, first 2 shown]
	ds_store_b32 v18, v5 offset:12288
	s_wait_loadcnt_dscnt 0x0
	s_barrier_signal -1
	s_barrier_wait -1
.LBB979_8:
	v_mul_u32_u24_e32 v46, 13, v0
	s_wait_loadcnt 0x0
	global_inv scope:SCOPE_SE
	v_cndmask_b32_e64 v44, 0, 1, s1
	s_and_not1_b32 vcc_lo, exec_lo, s1
	v_lshlrev_b32_e32 v5, 2, v46
	ds_load_2addr_b32 v[23:24], v5 offset1:1
	ds_load_2addr_b32 v[21:22], v5 offset0:2 offset1:3
	ds_load_2addr_b32 v[19:20], v5 offset0:4 offset1:5
	;; [unrolled: 1-line block ×5, first 2 shown]
	ds_load_b32 v45, v5 offset:48
	s_wait_loadcnt_dscnt 0x0
	s_barrier_signal -1
	s_barrier_wait -1
	global_inv scope:SCOPE_SE
	s_wait_alu 0xfffe
	s_cbranch_vccnz .LBB979_36
; %bb.9:
	v_add_nc_u32_e32 v5, s17, v23
	v_add_nc_u32_e32 v6, s19, v23
	s_mov_b32 s41, 0
	s_mov_b32 s40, 0
	s_mov_b32 s1, exec_lo
	v_mul_lo_u32 v5, v5, s16
	v_mul_lo_u32 v6, v6, s18
	s_delay_alu instid0(VALU_DEP_1) | instskip(NEXT) | instid1(VALU_DEP_1)
	v_sub_nc_u32_e32 v5, v5, v6
	v_cmp_lt_u32_e32 vcc_lo, s20, v5
	v_cmpx_ge_u32_e64 s20, v5
	s_cbranch_execz .LBB979_11
; %bb.10:
	v_add_nc_u32_e32 v5, s22, v23
	v_add_nc_u32_e32 v6, s38, v23
	s_delay_alu instid0(VALU_DEP_2) | instskip(NEXT) | instid1(VALU_DEP_2)
	v_mul_lo_u32 v5, v5, s21
	v_mul_lo_u32 v6, v6, s23
	s_delay_alu instid0(VALU_DEP_1) | instskip(NEXT) | instid1(VALU_DEP_1)
	v_sub_nc_u32_e32 v5, v5, v6
	v_cmp_lt_u32_e64 s0, s39, v5
	s_and_b32 s40, s0, exec_lo
.LBB979_11:
	s_wait_alu 0xfffe
	s_or_b32 exec_lo, exec_lo, s1
	v_add_nc_u32_e32 v5, s17, v24
	v_add_nc_u32_e32 v6, s19, v24
	s_mov_b32 s3, exec_lo
	s_delay_alu instid0(VALU_DEP_2) | instskip(NEXT) | instid1(VALU_DEP_2)
	v_mul_lo_u32 v5, v5, s16
	v_mul_lo_u32 v6, v6, s18
	s_delay_alu instid0(VALU_DEP_1) | instskip(NEXT) | instid1(VALU_DEP_1)
	v_sub_nc_u32_e32 v5, v5, v6
	v_cmp_lt_u32_e64 s0, s20, v5
	v_cmpx_ge_u32_e64 s20, v5
	s_cbranch_execz .LBB979_13
; %bb.12:
	v_add_nc_u32_e32 v5, s22, v24
	v_add_nc_u32_e32 v6, s38, v24
	s_delay_alu instid0(VALU_DEP_2) | instskip(NEXT) | instid1(VALU_DEP_2)
	v_mul_lo_u32 v5, v5, s21
	v_mul_lo_u32 v6, v6, s23
	s_delay_alu instid0(VALU_DEP_1) | instskip(NEXT) | instid1(VALU_DEP_1)
	v_sub_nc_u32_e32 v5, v5, v6
	v_cmp_lt_u32_e64 s1, s39, v5
	s_and_b32 s41, s1, exec_lo
.LBB979_13:
	s_wait_alu 0xfffe
	s_or_b32 exec_lo, exec_lo, s3
	v_add_nc_u32_e32 v5, s17, v21
	v_add_nc_u32_e32 v6, s19, v21
	s_mov_b32 s43, 0
	s_mov_b32 s42, 0
	s_mov_b32 s4, exec_lo
	v_mul_lo_u32 v5, v5, s16
	v_mul_lo_u32 v6, v6, s18
	s_delay_alu instid0(VALU_DEP_1) | instskip(NEXT) | instid1(VALU_DEP_1)
	v_sub_nc_u32_e32 v5, v5, v6
	v_cmp_lt_u32_e64 s1, s20, v5
	v_cmpx_ge_u32_e64 s20, v5
	s_cbranch_execz .LBB979_15
; %bb.14:
	v_add_nc_u32_e32 v5, s22, v21
	v_add_nc_u32_e32 v6, s38, v21
	s_delay_alu instid0(VALU_DEP_2) | instskip(NEXT) | instid1(VALU_DEP_2)
	v_mul_lo_u32 v5, v5, s21
	v_mul_lo_u32 v6, v6, s23
	s_delay_alu instid0(VALU_DEP_1) | instskip(NEXT) | instid1(VALU_DEP_1)
	v_sub_nc_u32_e32 v5, v5, v6
	v_cmp_lt_u32_e64 s3, s39, v5
	s_and_b32 s42, s3, exec_lo
.LBB979_15:
	s_wait_alu 0xfffe
	s_or_b32 exec_lo, exec_lo, s4
	v_add_nc_u32_e32 v5, s17, v22
	v_add_nc_u32_e32 v6, s19, v22
	s_mov_b32 s5, exec_lo
	s_delay_alu instid0(VALU_DEP_2) | instskip(NEXT) | instid1(VALU_DEP_2)
	v_mul_lo_u32 v5, v5, s16
	v_mul_lo_u32 v6, v6, s18
	s_delay_alu instid0(VALU_DEP_1) | instskip(NEXT) | instid1(VALU_DEP_1)
	v_sub_nc_u32_e32 v5, v5, v6
	v_cmp_lt_u32_e64 s3, s20, v5
	v_cmpx_ge_u32_e64 s20, v5
	s_cbranch_execz .LBB979_17
; %bb.16:
	v_add_nc_u32_e32 v5, s22, v22
	v_add_nc_u32_e32 v6, s38, v22
	s_delay_alu instid0(VALU_DEP_2) | instskip(NEXT) | instid1(VALU_DEP_2)
	v_mul_lo_u32 v5, v5, s21
	v_mul_lo_u32 v6, v6, s23
	s_delay_alu instid0(VALU_DEP_1) | instskip(NEXT) | instid1(VALU_DEP_1)
	v_sub_nc_u32_e32 v5, v5, v6
	v_cmp_lt_u32_e64 s4, s39, v5
	s_and_b32 s43, s4, exec_lo
.LBB979_17:
	s_wait_alu 0xfffe
	s_or_b32 exec_lo, exec_lo, s5
	v_add_nc_u32_e32 v5, s17, v19
	v_add_nc_u32_e32 v6, s19, v19
	s_mov_b32 s45, 0
	s_mov_b32 s44, 0
	s_mov_b32 s6, exec_lo
	v_mul_lo_u32 v5, v5, s16
	v_mul_lo_u32 v6, v6, s18
	s_delay_alu instid0(VALU_DEP_1) | instskip(NEXT) | instid1(VALU_DEP_1)
	v_sub_nc_u32_e32 v5, v5, v6
	v_cmp_lt_u32_e64 s4, s20, v5
	;; [unrolled: 49-line block ×3, first 2 shown]
	v_cmpx_ge_u32_e64 s20, v5
	s_cbranch_execz .LBB979_23
; %bb.22:
	v_add_nc_u32_e32 v5, s22, v17
	v_add_nc_u32_e32 v6, s38, v17
	s_delay_alu instid0(VALU_DEP_2) | instskip(NEXT) | instid1(VALU_DEP_2)
	v_mul_lo_u32 v5, v5, s21
	v_mul_lo_u32 v6, v6, s23
	s_delay_alu instid0(VALU_DEP_1) | instskip(NEXT) | instid1(VALU_DEP_1)
	v_sub_nc_u32_e32 v5, v5, v6
	v_cmp_lt_u32_e64 s7, s39, v5
	s_and_b32 s46, s7, exec_lo
.LBB979_23:
	s_or_b32 exec_lo, exec_lo, s8
	v_add_nc_u32_e32 v5, s17, v18
	v_add_nc_u32_e32 v6, s19, v18
	s_mov_b32 s9, exec_lo
	s_delay_alu instid0(VALU_DEP_2) | instskip(NEXT) | instid1(VALU_DEP_2)
	v_mul_lo_u32 v5, v5, s16
	v_mul_lo_u32 v6, v6, s18
	s_delay_alu instid0(VALU_DEP_1) | instskip(NEXT) | instid1(VALU_DEP_1)
	v_sub_nc_u32_e32 v5, v5, v6
	v_cmp_lt_u32_e64 s7, s20, v5
	v_cmpx_ge_u32_e64 s20, v5
	s_cbranch_execz .LBB979_25
; %bb.24:
	v_add_nc_u32_e32 v5, s22, v18
	v_add_nc_u32_e32 v6, s38, v18
	s_delay_alu instid0(VALU_DEP_2) | instskip(NEXT) | instid1(VALU_DEP_2)
	v_mul_lo_u32 v5, v5, s21
	v_mul_lo_u32 v6, v6, s23
	s_delay_alu instid0(VALU_DEP_1) | instskip(NEXT) | instid1(VALU_DEP_1)
	v_sub_nc_u32_e32 v5, v5, v6
	v_cmp_lt_u32_e64 s8, s39, v5
	s_and_b32 s47, s8, exec_lo
.LBB979_25:
	s_or_b32 exec_lo, exec_lo, s9
	v_add_nc_u32_e32 v5, s17, v15
	v_add_nc_u32_e32 v6, s19, v15
	s_mov_b32 s50, 0
	s_mov_b32 s49, 0
	s_mov_b32 s10, exec_lo
	v_mul_lo_u32 v5, v5, s16
	v_mul_lo_u32 v6, v6, s18
	s_delay_alu instid0(VALU_DEP_1) | instskip(NEXT) | instid1(VALU_DEP_1)
	v_sub_nc_u32_e32 v5, v5, v6
	v_cmp_lt_u32_e64 s8, s20, v5
	v_cmpx_ge_u32_e64 s20, v5
	s_cbranch_execz .LBB979_27
; %bb.26:
	v_add_nc_u32_e32 v5, s22, v15
	v_add_nc_u32_e32 v6, s38, v15
	s_delay_alu instid0(VALU_DEP_2) | instskip(NEXT) | instid1(VALU_DEP_2)
	v_mul_lo_u32 v5, v5, s21
	v_mul_lo_u32 v6, v6, s23
	s_delay_alu instid0(VALU_DEP_1) | instskip(NEXT) | instid1(VALU_DEP_1)
	v_sub_nc_u32_e32 v5, v5, v6
	v_cmp_lt_u32_e64 s9, s39, v5
	s_and_b32 s49, s9, exec_lo
.LBB979_27:
	s_or_b32 exec_lo, exec_lo, s10
	v_add_nc_u32_e32 v5, s17, v16
	v_add_nc_u32_e32 v6, s19, v16
	s_mov_b32 s11, exec_lo
	s_delay_alu instid0(VALU_DEP_2) | instskip(NEXT) | instid1(VALU_DEP_2)
	v_mul_lo_u32 v5, v5, s16
	v_mul_lo_u32 v6, v6, s18
	s_delay_alu instid0(VALU_DEP_1) | instskip(NEXT) | instid1(VALU_DEP_1)
	v_sub_nc_u32_e32 v5, v5, v6
	v_cmp_lt_u32_e64 s9, s20, v5
	v_cmpx_ge_u32_e64 s20, v5
	s_cbranch_execz .LBB979_29
; %bb.28:
	v_add_nc_u32_e32 v5, s22, v16
	v_add_nc_u32_e32 v6, s38, v16
	s_delay_alu instid0(VALU_DEP_2) | instskip(NEXT) | instid1(VALU_DEP_2)
	v_mul_lo_u32 v5, v5, s21
	v_mul_lo_u32 v6, v6, s23
	s_delay_alu instid0(VALU_DEP_1) | instskip(NEXT) | instid1(VALU_DEP_1)
	v_sub_nc_u32_e32 v5, v5, v6
	v_cmp_lt_u32_e64 s10, s39, v5
	s_and_b32 s50, s10, exec_lo
.LBB979_29:
	s_or_b32 exec_lo, exec_lo, s11
	v_add_nc_u32_e32 v5, s17, v13
	v_add_nc_u32_e32 v6, s19, v13
	s_mov_b32 s51, 0
	s_mov_b32 s52, 0
	s_mov_b32 s12, exec_lo
	v_mul_lo_u32 v5, v5, s16
	v_mul_lo_u32 v6, v6, s18
	s_delay_alu instid0(VALU_DEP_1) | instskip(NEXT) | instid1(VALU_DEP_1)
	v_sub_nc_u32_e32 v5, v5, v6
	v_cmp_lt_u32_e64 s10, s20, v5
	v_cmpx_ge_u32_e64 s20, v5
	s_cbranch_execz .LBB979_31
; %bb.30:
	v_add_nc_u32_e32 v5, s22, v13
	v_add_nc_u32_e32 v6, s38, v13
	s_delay_alu instid0(VALU_DEP_2) | instskip(NEXT) | instid1(VALU_DEP_2)
	v_mul_lo_u32 v5, v5, s21
	v_mul_lo_u32 v6, v6, s23
	s_delay_alu instid0(VALU_DEP_1) | instskip(NEXT) | instid1(VALU_DEP_1)
	v_sub_nc_u32_e32 v5, v5, v6
	v_cmp_lt_u32_e64 s11, s39, v5
	s_and_b32 s52, s11, exec_lo
.LBB979_31:
	s_or_b32 exec_lo, exec_lo, s12
	v_add_nc_u32_e32 v5, s17, v14
	v_add_nc_u32_e32 v6, s19, v14
	s_mov_b32 s13, exec_lo
	s_delay_alu instid0(VALU_DEP_2) | instskip(NEXT) | instid1(VALU_DEP_2)
	v_mul_lo_u32 v5, v5, s16
	v_mul_lo_u32 v6, v6, s18
	s_delay_alu instid0(VALU_DEP_1) | instskip(NEXT) | instid1(VALU_DEP_1)
	v_sub_nc_u32_e32 v5, v5, v6
	v_cmp_lt_u32_e64 s12, s20, v5
	v_cmpx_ge_u32_e64 s20, v5
	s_cbranch_execz .LBB979_33
; %bb.32:
	v_add_nc_u32_e32 v5, s22, v14
	v_add_nc_u32_e32 v6, s38, v14
	s_delay_alu instid0(VALU_DEP_2) | instskip(NEXT) | instid1(VALU_DEP_2)
	v_mul_lo_u32 v5, v5, s21
	v_mul_lo_u32 v6, v6, s23
	s_delay_alu instid0(VALU_DEP_1) | instskip(NEXT) | instid1(VALU_DEP_1)
	v_sub_nc_u32_e32 v5, v5, v6
	v_cmp_lt_u32_e64 s11, s39, v5
	s_and_b32 s51, s11, exec_lo
.LBB979_33:
	s_or_b32 exec_lo, exec_lo, s13
	v_add_nc_u32_e32 v5, s17, v45
	v_add_nc_u32_e32 v6, s19, v45
	s_mov_b32 s48, 0
	s_mov_b32 s53, 0
	s_mov_b32 s54, exec_lo
	v_mul_lo_u32 v5, v5, s16
	v_mul_lo_u32 v6, v6, s18
	s_delay_alu instid0(VALU_DEP_1) | instskip(NEXT) | instid1(VALU_DEP_1)
	v_sub_nc_u32_e32 v5, v5, v6
	v_cmp_lt_u32_e64 s11, s20, v5
	v_cmpx_ge_u32_e64 s20, v5
	s_cbranch_execz .LBB979_35
; %bb.34:
	v_add_nc_u32_e32 v5, s22, v45
	v_add_nc_u32_e32 v6, s38, v45
	s_delay_alu instid0(VALU_DEP_2) | instskip(NEXT) | instid1(VALU_DEP_2)
	v_mul_lo_u32 v5, v5, s21
	v_mul_lo_u32 v6, v6, s23
	s_delay_alu instid0(VALU_DEP_1) | instskip(NEXT) | instid1(VALU_DEP_1)
	v_sub_nc_u32_e32 v5, v5, v6
	v_cmp_lt_u32_e64 s13, s39, v5
	s_and_b32 s53, s13, exec_lo
.LBB979_35:
	s_or_b32 exec_lo, exec_lo, s54
	v_cndmask_b32_e64 v6, 0, 1, s0
	v_cndmask_b32_e64 v8, 0, 1, s3
	s_wait_alu 0xfffd
	v_cndmask_b32_e64 v5, 0, 1, vcc_lo
	v_cndmask_b32_e64 v7, 0, 1, s1
	v_cndmask_b32_e64 v10, 0, 1, s5
	v_lshlrev_b16 v6, 8, v6
	v_lshlrev_b16 v8, 8, v8
	s_wait_alu 0xf1ff
	v_cndmask_b32_e64 v12, 0, 1, s7
	v_cndmask_b32_e64 v26, 0, 1, s9
	;; [unrolled: 1-line block ×3, first 2 shown]
	v_or_b32_e32 v5, v5, v6
	v_or_b32_e32 v6, v7, v8
	v_cndmask_b32_e64 v56, 0, 1, s40
	v_cndmask_b32_e64 v9, 0, 1, s4
	;; [unrolled: 1-line block ×3, first 2 shown]
	v_and_b32_e32 v5, 0xffff, v5
	v_lshlrev_b32_e32 v6, 16, v6
	v_cndmask_b32_e64 v25, 0, 1, s8
	v_cndmask_b32_e64 v27, 0, 1, s10
	;; [unrolled: 1-line block ×8, first 2 shown]
	v_or_b32_e32 v47, v5, v6
	v_lshlrev_b16 v5, 8, v10
	v_lshlrev_b16 v6, 8, v12
	;; [unrolled: 1-line block ×5, first 2 shown]
	v_cndmask_b32_e64 v30, 0, 1, s50
	v_cndmask_b32_e64 v49, 0, 1, s47
	;; [unrolled: 1-line block ×5, first 2 shown]
	v_or_b32_e32 v5, v9, v5
	v_or_b32_e32 v6, v11, v6
	;; [unrolled: 1-line block ×5, first 2 shown]
	v_lshlrev_b16 v8, 8, v8
	v_lshlrev_b16 v12, 8, v54
	;; [unrolled: 1-line block ×5, first 2 shown]
	v_or_b32_e32 v8, v55, v8
	v_or_b32_e32 v7, v7, v12
	;; [unrolled: 1-line block ×5, first 2 shown]
	v_and_b32_e32 v5, 0xffff, v5
	v_lshlrev_b32_e32 v6, 16, v6
	v_and_b32_e32 v9, 0xffff, v9
	v_lshlrev_b32_e32 v10, 16, v10
	;; [unrolled: 2-line block ×5, first 2 shown]
	v_cndmask_b32_e64 v50, 0, 1, s51
	v_cndmask_b32_e64 v53, 0, 1, s53
	v_or_b32_e32 v49, v5, v6
	v_or_b32_e32 v52, v9, v10
	;; [unrolled: 1-line block ×5, first 2 shown]
	s_and_b32 vcc_lo, exec_lo, s48
	s_wait_alu 0xfffe
	s_cbranch_vccnz .LBB979_37
	s_branch .LBB979_114
.LBB979_36:
                                        ; implicit-def: $vgpr53
                                        ; implicit-def: $vgpr50
                                        ; implicit-def: $vgpr51
                                        ; implicit-def: $vgpr48
                                        ; implicit-def: $vgpr54
                                        ; implicit-def: $vgpr52
                                        ; implicit-def: $vgpr49
                                        ; implicit-def: $vgpr47
	s_cbranch_execz .LBB979_114
.LBB979_37:
	v_dual_mov_b32 v6, 0 :: v_dual_mov_b32 v5, 0
	s_mov_b32 s1, exec_lo
	v_cmpx_gt_u32_e64 s27, v46
	s_cbranch_execz .LBB979_41
; %bb.38:
	v_add_nc_u32_e32 v5, s17, v23
	v_add_nc_u32_e32 v6, s19, v23
	s_mov_b32 s4, 0
	s_mov_b32 s3, exec_lo
	s_delay_alu instid0(VALU_DEP_2) | instskip(NEXT) | instid1(VALU_DEP_2)
	v_mul_lo_u32 v5, v5, s16
	v_mul_lo_u32 v6, v6, s18
	s_delay_alu instid0(VALU_DEP_1) | instskip(NEXT) | instid1(VALU_DEP_1)
	v_sub_nc_u32_e32 v5, v5, v6
	v_cmp_lt_u32_e32 vcc_lo, s20, v5
	v_cmpx_ge_u32_e64 s20, v5
	s_cbranch_execz .LBB979_40
; %bb.39:
	v_add_nc_u32_e32 v5, s22, v23
	v_add_nc_u32_e32 v6, s38, v23
	s_delay_alu instid0(VALU_DEP_2) | instskip(NEXT) | instid1(VALU_DEP_2)
	v_mul_lo_u32 v5, v5, s21
	v_mul_lo_u32 v6, v6, s23
	s_delay_alu instid0(VALU_DEP_1) | instskip(NEXT) | instid1(VALU_DEP_1)
	v_sub_nc_u32_e32 v5, v5, v6
	v_cmp_lt_u32_e64 s0, s39, v5
	s_and_b32 s4, s0, exec_lo
.LBB979_40:
	s_wait_alu 0xfffe
	s_or_b32 exec_lo, exec_lo, s3
	v_cndmask_b32_e64 v6, 0, 1, s4
	s_wait_alu 0xfffd
	v_cndmask_b32_e64 v5, 0, 1, vcc_lo
.LBB979_41:
	s_wait_alu 0xfffe
	s_or_b32 exec_lo, exec_lo, s1
	v_lshlrev_b16 v6, 8, v6
	v_add_nc_u32_e32 v7, 1, v46
	v_and_b32_e32 v10, 0xff, v5
	v_lshlrev_b16 v5, 8, 0
                                        ; implicit-def: $vgpr9
                                        ; implicit-def: $vgpr12
                                        ; implicit-def: $vgpr8
	s_delay_alu instid0(VALU_DEP_4) | instskip(NEXT) | instid1(VALU_DEP_4)
	v_and_b32_e32 v6, 0xffff, v6
	v_cmp_le_u32_e32 vcc_lo, s27, v7
                                        ; implicit-def: $vgpr7
	s_delay_alu instid0(VALU_DEP_2)
	v_lshrrev_b32_e32 v25, 8, v6
	v_and_b32_e32 v11, 0xff, v6
                                        ; implicit-def: $vgpr6
	s_and_saveexec_b32 s0, vcc_lo
	s_wait_alu 0xfffe
	s_xor_b32 s0, exec_lo, s0
	s_cbranch_execz .LBB979_43
; %bb.42:
	v_lshlrev_b16 v6, 8, v25
	v_and_b32_e32 v8, 0xffff, v5
                                        ; implicit-def: $vgpr25
	v_mov_b32_e32 v9, 0
	s_delay_alu instid0(VALU_DEP_3) | instskip(SKIP_1) | instid1(VALU_DEP_2)
	v_or_b32_e32 v7, v11, v6
	v_mov_b32_e32 v6, 0
                                        ; implicit-def: $vgpr11
	v_and_b32_e32 v12, 0xffff, v7
	v_and_b32_e32 v7, 0xffff, v5
                                        ; implicit-def: $vgpr5
.LBB979_43:
	s_wait_alu 0xfffe
	s_and_not1_saveexec_b32 s1, s0
	s_cbranch_execz .LBB979_47
; %bb.44:
	v_add_nc_u32_e32 v6, s17, v24
	v_add_nc_u32_e32 v7, s19, v24
	s_mov_b32 s3, 0
	s_mov_b32 s4, exec_lo
	s_delay_alu instid0(VALU_DEP_2) | instskip(NEXT) | instid1(VALU_DEP_2)
	v_mul_lo_u32 v6, v6, s16
	v_mul_lo_u32 v7, v7, s18
	s_delay_alu instid0(VALU_DEP_1) | instskip(NEXT) | instid1(VALU_DEP_1)
	v_sub_nc_u32_e32 v6, v6, v7
	v_cmp_lt_u32_e32 vcc_lo, s20, v6
	v_cmpx_ge_u32_e64 s20, v6
	s_cbranch_execz .LBB979_46
; %bb.45:
	v_add_nc_u32_e32 v6, s22, v24
	v_add_nc_u32_e32 v7, s38, v24
	s_delay_alu instid0(VALU_DEP_2) | instskip(NEXT) | instid1(VALU_DEP_2)
	v_mul_lo_u32 v6, v6, s21
	v_mul_lo_u32 v7, v7, s23
	s_delay_alu instid0(VALU_DEP_1) | instskip(NEXT) | instid1(VALU_DEP_1)
	v_sub_nc_u32_e32 v6, v6, v7
	v_cmp_lt_u32_e64 s0, s39, v6
	s_and_b32 s3, s0, exec_lo
.LBB979_46:
	s_wait_alu 0xfffe
	s_or_b32 exec_lo, exec_lo, s4
	s_wait_alu 0xfffd
	v_cndmask_b32_e64 v6, 0, 1, vcc_lo
	v_lshlrev_b16 v7, 8, v25
	v_dual_mov_b32 v9, 0 :: v_dual_and_b32 v8, 0xffff, v5
	s_delay_alu instid0(VALU_DEP_3) | instskip(NEXT) | instid1(VALU_DEP_3)
	v_lshlrev_b16 v6, 8, v6
	v_or_b32_e32 v7, v11, v7
	v_cndmask_b32_e64 v11, 0, 1, s3
	s_delay_alu instid0(VALU_DEP_3) | instskip(NEXT) | instid1(VALU_DEP_3)
	v_or_b32_e32 v10, v10, v6
	v_dual_mov_b32 v6, 0 :: v_dual_and_b32 v7, 0xffff, v7
	s_delay_alu instid0(VALU_DEP_2) | instskip(NEXT) | instid1(VALU_DEP_2)
	v_and_b32_e32 v10, 0xffff, v10
	v_lshl_or_b32 v12, v11, 16, v7
	v_and_b32_e32 v7, 0xffff, v5
.LBB979_47:
	s_wait_alu 0xfffe
	s_or_b32 exec_lo, exec_lo, s1
	v_add_nc_u32_e32 v5, 2, v46
	v_and_b32_e32 v25, 0xff, v10
	v_lshrrev_b32_e32 v26, 8, v10
                                        ; implicit-def: $vgpr11
	s_delay_alu instid0(VALU_DEP_3)
	v_cmp_le_u32_e32 vcc_lo, s27, v5
                                        ; implicit-def: $vgpr5
	s_and_saveexec_b32 s0, vcc_lo
	s_wait_alu 0xfffe
	s_xor_b32 s0, exec_lo, s0
	s_cbranch_execz .LBB979_49
; %bb.48:
	v_lshlrev_b16 v5, 8, v26
	v_perm_b32 v8, v8, v8, 0x3060504
                                        ; implicit-def: $vgpr26
	s_delay_alu instid0(VALU_DEP_2) | instskip(SKIP_1) | instid1(VALU_DEP_2)
	v_or_b32_e32 v5, v25, v5
	v_and_b32_e32 v25, 0xff0000, v12
	v_and_b32_e32 v5, 0xffff, v5
	s_delay_alu instid0(VALU_DEP_1) | instskip(NEXT) | instid1(VALU_DEP_3)
	v_and_or_b32 v11, 0xff000000, v10, v5
	v_perm_b32 v5, v12, v25, 0x3020504
                                        ; implicit-def: $vgpr25
                                        ; implicit-def: $vgpr10
                                        ; implicit-def: $vgpr12
.LBB979_49:
	s_wait_alu 0xfffe
	s_and_not1_saveexec_b32 s1, s0
	s_cbranch_execz .LBB979_53
; %bb.50:
	v_add_nc_u32_e32 v5, s17, v21
	v_add_nc_u32_e32 v11, s19, v21
	s_mov_b32 s3, 0
	s_mov_b32 s4, exec_lo
	s_delay_alu instid0(VALU_DEP_2) | instskip(NEXT) | instid1(VALU_DEP_2)
	v_mul_lo_u32 v5, v5, s16
	v_mul_lo_u32 v11, v11, s18
	s_delay_alu instid0(VALU_DEP_1) | instskip(NEXT) | instid1(VALU_DEP_1)
	v_sub_nc_u32_e32 v5, v5, v11
	v_cmp_lt_u32_e32 vcc_lo, s20, v5
	v_cmpx_ge_u32_e64 s20, v5
	s_cbranch_execz .LBB979_52
; %bb.51:
	v_add_nc_u32_e32 v5, s22, v21
	v_add_nc_u32_e32 v11, s38, v21
	s_delay_alu instid0(VALU_DEP_2) | instskip(NEXT) | instid1(VALU_DEP_2)
	v_mul_lo_u32 v5, v5, s21
	v_mul_lo_u32 v11, v11, s23
	s_delay_alu instid0(VALU_DEP_1) | instskip(NEXT) | instid1(VALU_DEP_1)
	v_sub_nc_u32_e32 v5, v5, v11
	v_cmp_lt_u32_e64 s0, s39, v5
	s_and_b32 s3, s0, exec_lo
.LBB979_52:
	s_wait_alu 0xfffe
	s_or_b32 exec_lo, exec_lo, s4
	v_lshrrev_b32_e32 v10, 24, v10
	v_cndmask_b32_e64 v11, 0, 1, s3
	v_lshrrev_b32_e32 v27, 8, v12
	v_lshrrev_b32_e32 v28, 16, v12
	s_wait_alu 0xfffd
	v_cndmask_b32_e64 v5, 0, 1, vcc_lo
	v_lshlrev_b16 v26, 8, v26
	v_lshlrev_b16 v10, 8, v10
	v_and_b32_e32 v12, 0xff, v12
	v_lshlrev_b16 v27, 8, v27
	v_lshlrev_b16 v11, 8, v11
	v_and_b32_e32 v28, 0xff, v28
	v_or_b32_e32 v25, v25, v26
	v_or_b32_e32 v5, v5, v10
	;; [unrolled: 1-line block ×3, first 2 shown]
	s_delay_alu instid0(VALU_DEP_4) | instskip(NEXT) | instid1(VALU_DEP_4)
	v_or_b32_e32 v11, v28, v11
	v_and_b32_e32 v12, 0xffff, v25
	s_delay_alu instid0(VALU_DEP_4) | instskip(NEXT) | instid1(VALU_DEP_4)
	v_lshlrev_b32_e32 v5, 16, v5
	v_and_b32_e32 v10, 0xffff, v10
	s_delay_alu instid0(VALU_DEP_4) | instskip(NEXT) | instid1(VALU_DEP_3)
	v_lshlrev_b32_e32 v25, 16, v11
	v_or_b32_e32 v11, v12, v5
	s_delay_alu instid0(VALU_DEP_2)
	v_or_b32_e32 v5, v10, v25
.LBB979_53:
	s_wait_alu 0xfffe
	s_or_b32 exec_lo, exec_lo, s1
	v_add_nc_u32_e32 v10, 3, v46
	v_lshrrev_b32_e32 v12, 24, v9
	v_lshrrev_b32_e32 v25, 16, v9
	;; [unrolled: 1-line block ×3, first 2 shown]
                                        ; implicit-def: $vgpr47
	s_delay_alu instid0(VALU_DEP_4)
	v_cmp_le_u32_e32 vcc_lo, s27, v10
                                        ; implicit-def: $vgpr10
	s_and_saveexec_b32 s0, vcc_lo
	s_wait_alu 0xfffe
	s_xor_b32 s0, exec_lo, s0
	s_cbranch_execz .LBB979_55
; %bb.54:
	v_lshlrev_b16 v10, 8, v12
	v_and_b32_e32 v12, 0xff, v25
	v_lshlrev_b16 v9, 8, v9
	v_perm_b32 v8, v8, v8, 0x3060504
	v_perm_b32 v7, v7, v7, 0x3060504
                                        ; implicit-def: $vgpr25
	s_delay_alu instid0(VALU_DEP_4) | instskip(SKIP_2) | instid1(VALU_DEP_3)
	v_or_b32_e32 v10, v12, v10
	v_and_b32_e32 v12, 0xff0000, v11
	v_and_b32_e32 v9, 0xffff, v9
	v_lshlrev_b32_e32 v10, 16, v10
	s_delay_alu instid0(VALU_DEP_3) | instskip(NEXT) | instid1(VALU_DEP_2)
	v_perm_b32 v47, v11, v12, 0x3020504
                                        ; implicit-def: $vgpr11
                                        ; implicit-def: $vgpr12
	v_or_b32_e32 v10, v9, v10
                                        ; implicit-def: $vgpr9
.LBB979_55:
	s_wait_alu 0xfffe
	s_and_not1_saveexec_b32 s1, s0
	s_cbranch_execz .LBB979_59
; %bb.56:
	v_add_nc_u32_e32 v10, s17, v22
	v_add_nc_u32_e32 v26, s19, v22
	s_mov_b32 s3, 0
	s_mov_b32 s4, exec_lo
	s_delay_alu instid0(VALU_DEP_2) | instskip(NEXT) | instid1(VALU_DEP_2)
	v_mul_lo_u32 v10, v10, s16
	v_mul_lo_u32 v26, v26, s18
	s_delay_alu instid0(VALU_DEP_1) | instskip(NEXT) | instid1(VALU_DEP_1)
	v_sub_nc_u32_e32 v10, v10, v26
	v_cmp_lt_u32_e32 vcc_lo, s20, v10
	v_cmpx_ge_u32_e64 s20, v10
	s_cbranch_execz .LBB979_58
; %bb.57:
	v_add_nc_u32_e32 v10, s22, v22
	v_add_nc_u32_e32 v26, s38, v22
	s_delay_alu instid0(VALU_DEP_2) | instskip(NEXT) | instid1(VALU_DEP_2)
	v_mul_lo_u32 v10, v10, s21
	v_mul_lo_u32 v26, v26, s23
	s_delay_alu instid0(VALU_DEP_1) | instskip(NEXT) | instid1(VALU_DEP_1)
	v_sub_nc_u32_e32 v10, v10, v26
	v_cmp_lt_u32_e64 s0, s39, v10
	s_and_b32 s3, s0, exec_lo
.LBB979_58:
	s_wait_alu 0xfffe
	s_or_b32 exec_lo, exec_lo, s4
	v_lshrrev_b32_e32 v10, 8, v11
	s_wait_alu 0xfffd
	v_cndmask_b32_e64 v26, 0, 1, vcc_lo
	v_lshrrev_b32_e32 v27, 16, v11
	v_cndmask_b32_e64 v28, 0, 1, s3
	v_and_b32_e32 v11, 0xff, v11
	v_lshlrev_b16 v10, 8, v10
	v_lshlrev_b16 v26, 8, v26
	v_and_b32_e32 v27, 0xff, v27
	v_lshlrev_b16 v12, 8, v12
	v_and_b32_e32 v25, 0xff, v25
	v_lshlrev_b16 v9, 8, v9
	v_or_b32_e32 v10, v11, v10
	v_or_b32_e32 v11, v27, v26
	s_delay_alu instid0(VALU_DEP_4) | instskip(NEXT) | instid1(VALU_DEP_4)
	v_or_b32_e32 v12, v25, v12
	v_or_b32_e32 v9, v28, v9
	s_delay_alu instid0(VALU_DEP_4) | instskip(NEXT) | instid1(VALU_DEP_4)
	v_and_b32_e32 v10, 0xffff, v10
	v_lshlrev_b32_e32 v11, 16, v11
	s_delay_alu instid0(VALU_DEP_4) | instskip(NEXT) | instid1(VALU_DEP_4)
	v_lshlrev_b32_e32 v12, 16, v12
	v_and_b32_e32 v9, 0xffff, v9
	s_delay_alu instid0(VALU_DEP_3) | instskip(NEXT) | instid1(VALU_DEP_2)
	v_or_b32_e32 v47, v10, v11
	v_or_b32_e32 v10, v9, v12
.LBB979_59:
	s_wait_alu 0xfffe
	s_or_b32 exec_lo, exec_lo, s1
	v_add_nc_u32_e32 v9, 4, v46
	v_lshrrev_b32_e32 v25, 8, v8
	v_lshrrev_b32_e32 v26, 16, v8
	;; [unrolled: 1-line block ×4, first 2 shown]
	v_cmp_le_u32_e32 vcc_lo, s27, v9
	v_lshrrev_b32_e32 v12, 16, v10
                                        ; implicit-def: $vgpr8
                                        ; implicit-def: $vgpr9
	s_and_saveexec_b32 s0, vcc_lo
	s_wait_alu 0xfffe
	s_xor_b32 s0, exec_lo, s0
	s_cbranch_execz .LBB979_61
; %bb.60:
	v_lshlrev_b16 v8, 8, v27
	v_and_b32_e32 v9, 0xff, v26
	v_lshlrev_b16 v25, 8, v25
	v_lshlrev_b16 v11, 8, v11
	v_and_b32_e32 v12, 0xff, v12
	v_perm_b32 v7, v7, v7, 0x3060504
	v_or_b32_e32 v8, v9, v8
	v_and_b32_e32 v9, 0xffff, v25
                                        ; implicit-def: $vgpr25
                                        ; implicit-def: $vgpr26
                                        ; implicit-def: $vgpr27
	s_delay_alu instid0(VALU_DEP_4) | instskip(NEXT) | instid1(VALU_DEP_3)
	v_or_b32_e32 v11, v12, v11
	v_lshlrev_b32_e32 v12, 16, v8
	s_delay_alu instid0(VALU_DEP_2) | instskip(NEXT) | instid1(VALU_DEP_2)
	v_perm_b32 v8, v11, v10, 0x5040c00
                                        ; implicit-def: $vgpr10
                                        ; implicit-def: $vgpr11
	v_or_b32_e32 v9, v9, v12
                                        ; implicit-def: $vgpr12
.LBB979_61:
	s_wait_alu 0xfffe
	s_and_not1_saveexec_b32 s1, s0
	s_cbranch_execz .LBB979_65
; %bb.62:
	v_add_nc_u32_e32 v8, s17, v19
	v_add_nc_u32_e32 v9, s19, v19
	s_mov_b32 s3, 0
	s_mov_b32 s4, exec_lo
	s_delay_alu instid0(VALU_DEP_2) | instskip(NEXT) | instid1(VALU_DEP_2)
	v_mul_lo_u32 v8, v8, s16
	v_mul_lo_u32 v9, v9, s18
	s_delay_alu instid0(VALU_DEP_1) | instskip(NEXT) | instid1(VALU_DEP_1)
	v_sub_nc_u32_e32 v8, v8, v9
	v_cmp_lt_u32_e32 vcc_lo, s20, v8
	v_cmpx_ge_u32_e64 s20, v8
	s_cbranch_execz .LBB979_64
; %bb.63:
	v_add_nc_u32_e32 v8, s22, v19
	v_add_nc_u32_e32 v9, s38, v19
	s_delay_alu instid0(VALU_DEP_2) | instskip(NEXT) | instid1(VALU_DEP_2)
	v_mul_lo_u32 v8, v8, s21
	v_mul_lo_u32 v9, v9, s23
	s_delay_alu instid0(VALU_DEP_1) | instskip(NEXT) | instid1(VALU_DEP_1)
	v_sub_nc_u32_e32 v8, v8, v9
	v_cmp_lt_u32_e64 s0, s39, v8
	s_and_b32 s3, s0, exec_lo
.LBB979_64:
	s_wait_alu 0xfffe
	s_or_b32 exec_lo, exec_lo, s4
	v_cndmask_b32_e64 v8, 0, 1, s3
	s_wait_alu 0xfffd
	v_cndmask_b32_e64 v9, 0, 1, vcc_lo
	v_lshlrev_b16 v27, 8, v27
	v_and_b32_e32 v26, 0xff, v26
	v_lshlrev_b16 v25, 8, v25
	v_lshlrev_b16 v8, 8, v8
	v_and_b32_e32 v10, 0xff, v10
	v_lshlrev_b16 v11, 8, v11
	v_and_b32_e32 v12, 0xff, v12
	v_or_b32_e32 v26, v26, v27
	v_or_b32_e32 v9, v9, v25
	;; [unrolled: 1-line block ×3, first 2 shown]
	s_delay_alu instid0(VALU_DEP_4) | instskip(NEXT) | instid1(VALU_DEP_4)
	v_or_b32_e32 v10, v12, v11
	v_lshlrev_b32_e32 v11, 16, v26
	s_delay_alu instid0(VALU_DEP_4) | instskip(NEXT) | instid1(VALU_DEP_4)
	v_and_b32_e32 v9, 0xffff, v9
	v_and_b32_e32 v8, 0xffff, v8
	s_delay_alu instid0(VALU_DEP_4) | instskip(NEXT) | instid1(VALU_DEP_3)
	v_lshlrev_b32_e32 v10, 16, v10
	v_or_b32_e32 v9, v9, v11
	s_delay_alu instid0(VALU_DEP_2)
	v_or_b32_e32 v8, v8, v10
.LBB979_65:
	s_wait_alu 0xfffe
	s_or_b32 exec_lo, exec_lo, s1
	v_add_nc_u32_e32 v10, 5, v46
	v_lshrrev_b32_e32 v25, 16, v9
	v_lshrrev_b32_e32 v27, 24, v9
	v_and_b32_e32 v12, 0xff, v8
	v_lshrrev_b32_e32 v26, 8, v8
	v_cmp_le_u32_e32 vcc_lo, s27, v10
                                        ; implicit-def: $vgpr10
                                        ; implicit-def: $vgpr11
	s_and_saveexec_b32 s0, vcc_lo
	s_wait_alu 0xfffe
	s_xor_b32 s0, exec_lo, s0
	s_cbranch_execz .LBB979_67
; %bb.66:
	v_lshlrev_b16 v10, 8, v26
	v_lshlrev_b16 v11, 8, v27
	v_and_b32_e32 v25, 0xff, v25
	v_perm_b32 v7, v7, v7, 0x3060504
                                        ; implicit-def: $vgpr27
                                        ; implicit-def: $vgpr26
	s_delay_alu instid0(VALU_DEP_4) | instskip(NEXT) | instid1(VALU_DEP_3)
	v_or_b32_e32 v10, v12, v10
                                        ; implicit-def: $vgpr12
	v_or_b32_e32 v11, v25, v11
                                        ; implicit-def: $vgpr25
	s_delay_alu instid0(VALU_DEP_2) | instskip(NEXT) | instid1(VALU_DEP_2)
	v_and_b32_e32 v10, 0xffff, v10
	v_perm_b32 v11, v11, v9, 0x5040c00
                                        ; implicit-def: $vgpr9
	s_delay_alu instid0(VALU_DEP_2)
	v_and_or_b32 v10, 0xff000000, v8, v10
                                        ; implicit-def: $vgpr8
.LBB979_67:
	s_wait_alu 0xfffe
	s_and_not1_saveexec_b32 s1, s0
	s_cbranch_execz .LBB979_71
; %bb.68:
	v_add_nc_u32_e32 v10, s17, v20
	v_add_nc_u32_e32 v11, s19, v20
	s_mov_b32 s3, 0
	s_mov_b32 s4, exec_lo
	s_delay_alu instid0(VALU_DEP_2) | instskip(NEXT) | instid1(VALU_DEP_2)
	v_mul_lo_u32 v10, v10, s16
	v_mul_lo_u32 v11, v11, s18
	s_delay_alu instid0(VALU_DEP_1) | instskip(NEXT) | instid1(VALU_DEP_1)
	v_sub_nc_u32_e32 v10, v10, v11
	v_cmp_lt_u32_e32 vcc_lo, s20, v10
	v_cmpx_ge_u32_e64 s20, v10
	s_cbranch_execz .LBB979_70
; %bb.69:
	v_add_nc_u32_e32 v10, s22, v20
	v_add_nc_u32_e32 v11, s38, v20
	s_delay_alu instid0(VALU_DEP_2) | instskip(NEXT) | instid1(VALU_DEP_2)
	v_mul_lo_u32 v10, v10, s21
	v_mul_lo_u32 v11, v11, s23
	s_delay_alu instid0(VALU_DEP_1) | instskip(NEXT) | instid1(VALU_DEP_1)
	v_sub_nc_u32_e32 v10, v10, v11
	v_cmp_lt_u32_e64 s0, s39, v10
	s_and_b32 s3, s0, exec_lo
.LBB979_70:
	s_wait_alu 0xfffe
	s_or_b32 exec_lo, exec_lo, s4
	s_wait_alu 0xfffd
	v_cndmask_b32_e64 v10, 0, 1, vcc_lo
	v_lshrrev_b32_e32 v8, 24, v8
	v_cndmask_b32_e64 v11, 0, 1, s3
	v_lshlrev_b16 v27, 8, v27
	v_and_b32_e32 v25, 0xff, v25
	v_lshlrev_b16 v10, 8, v10
	v_lshlrev_b16 v26, 8, v26
	v_and_b32_e32 v9, 0xff, v9
	v_lshlrev_b16 v8, 8, v8
	v_or_b32_e32 v25, v25, v27
	s_delay_alu instid0(VALU_DEP_4) | instskip(NEXT) | instid1(VALU_DEP_4)
	v_or_b32_e32 v12, v12, v26
	v_or_b32_e32 v9, v9, v10
	s_delay_alu instid0(VALU_DEP_4) | instskip(NEXT) | instid1(VALU_DEP_4)
	v_or_b32_e32 v8, v11, v8
	v_lshlrev_b32_e32 v10, 16, v25
	s_delay_alu instid0(VALU_DEP_4) | instskip(NEXT) | instid1(VALU_DEP_4)
	v_and_b32_e32 v12, 0xffff, v12
	v_and_b32_e32 v9, 0xffff, v9
	s_delay_alu instid0(VALU_DEP_4) | instskip(NEXT) | instid1(VALU_DEP_2)
	v_lshlrev_b32_e32 v8, 16, v8
	v_or_b32_e32 v11, v9, v10
	s_delay_alu instid0(VALU_DEP_2)
	v_or_b32_e32 v10, v12, v8
.LBB979_71:
	s_wait_alu 0xfffe
	s_or_b32 exec_lo, exec_lo, s1
	v_add_nc_u32_e32 v8, 6, v46
	v_lshrrev_b32_e32 v12, 8, v11
                                        ; implicit-def: $vgpr48
                                        ; implicit-def: $vgpr9
	s_delay_alu instid0(VALU_DEP_2)
	v_cmp_le_u32_e32 vcc_lo, s27, v8
	v_and_b32_e32 v8, 0xff, v11
	s_and_saveexec_b32 s0, vcc_lo
	s_wait_alu 0xfffe
	s_xor_b32 s0, exec_lo, s0
	s_cbranch_execz .LBB979_73
; %bb.72:
	v_lshlrev_b16 v9, 8, v12
	v_perm_b32 v7, v7, v7, 0x3060504
                                        ; implicit-def: $vgpr12
	s_delay_alu instid0(VALU_DEP_2) | instskip(SKIP_1) | instid1(VALU_DEP_2)
	v_or_b32_e32 v8, v8, v9
	v_and_b32_e32 v9, 0xff0000, v10
	v_and_b32_e32 v8, 0xffff, v8
	s_delay_alu instid0(VALU_DEP_2) | instskip(NEXT) | instid1(VALU_DEP_2)
	v_perm_b32 v48, v10, v9, 0x3020504
                                        ; implicit-def: $vgpr10
	v_and_or_b32 v9, 0xff000000, v11, v8
                                        ; implicit-def: $vgpr8
                                        ; implicit-def: $vgpr11
.LBB979_73:
	s_wait_alu 0xfffe
	s_and_not1_saveexec_b32 s1, s0
	s_cbranch_execz .LBB979_77
; %bb.74:
	v_add_nc_u32_e32 v9, s17, v17
	v_add_nc_u32_e32 v25, s19, v17
	s_mov_b32 s3, 0
	s_mov_b32 s4, exec_lo
	s_delay_alu instid0(VALU_DEP_2) | instskip(NEXT) | instid1(VALU_DEP_2)
	v_mul_lo_u32 v9, v9, s16
	v_mul_lo_u32 v25, v25, s18
	s_delay_alu instid0(VALU_DEP_1) | instskip(NEXT) | instid1(VALU_DEP_1)
	v_sub_nc_u32_e32 v9, v9, v25
	v_cmp_lt_u32_e32 vcc_lo, s20, v9
	v_cmpx_ge_u32_e64 s20, v9
	s_cbranch_execz .LBB979_76
; %bb.75:
	v_add_nc_u32_e32 v9, s22, v17
	v_add_nc_u32_e32 v25, s38, v17
	s_delay_alu instid0(VALU_DEP_2) | instskip(NEXT) | instid1(VALU_DEP_2)
	v_mul_lo_u32 v9, v9, s21
	v_mul_lo_u32 v25, v25, s23
	s_delay_alu instid0(VALU_DEP_1) | instskip(NEXT) | instid1(VALU_DEP_1)
	v_sub_nc_u32_e32 v9, v9, v25
	v_cmp_lt_u32_e64 s0, s39, v9
	s_and_b32 s3, s0, exec_lo
.LBB979_76:
	s_wait_alu 0xfffe
	s_or_b32 exec_lo, exec_lo, s4
	v_lshrrev_b32_e32 v11, 24, v11
	v_cndmask_b32_e64 v25, 0, 1, s3
	v_lshrrev_b32_e32 v26, 8, v10
	v_lshrrev_b32_e32 v27, 16, v10
	s_wait_alu 0xfffd
	v_cndmask_b32_e64 v9, 0, 1, vcc_lo
	v_lshlrev_b16 v12, 8, v12
	v_lshlrev_b16 v11, 8, v11
	v_and_b32_e32 v10, 0xff, v10
	v_lshlrev_b16 v26, 8, v26
	v_lshlrev_b16 v25, 8, v25
	v_and_b32_e32 v27, 0xff, v27
	v_or_b32_e32 v8, v8, v12
	v_or_b32_e32 v9, v9, v11
	;; [unrolled: 1-line block ×3, first 2 shown]
	s_delay_alu instid0(VALU_DEP_4) | instskip(NEXT) | instid1(VALU_DEP_4)
	v_or_b32_e32 v11, v27, v25
	v_and_b32_e32 v8, 0xffff, v8
	s_delay_alu instid0(VALU_DEP_4) | instskip(NEXT) | instid1(VALU_DEP_4)
	v_lshlrev_b32_e32 v9, 16, v9
	v_and_b32_e32 v10, 0xffff, v10
	s_delay_alu instid0(VALU_DEP_4) | instskip(NEXT) | instid1(VALU_DEP_3)
	v_lshlrev_b32_e32 v11, 16, v11
	v_or_b32_e32 v9, v8, v9
	s_delay_alu instid0(VALU_DEP_2)
	v_or_b32_e32 v48, v10, v11
.LBB979_77:
	s_wait_alu 0xfffe
	s_or_b32 exec_lo, exec_lo, s1
	v_add_nc_u32_e32 v8, 7, v46
	v_lshrrev_b32_e32 v10, 8, v7
	v_lshrrev_b32_e32 v11, 16, v7
	v_lshrrev_b32_e32 v7, 24, v7
                                        ; implicit-def: $vgpr49
	s_delay_alu instid0(VALU_DEP_4)
	v_cmp_le_u32_e32 vcc_lo, s27, v8
                                        ; implicit-def: $vgpr8
	s_and_saveexec_b32 s0, vcc_lo
	s_wait_alu 0xfffe
	s_xor_b32 s0, exec_lo, s0
	s_cbranch_execz .LBB979_79
; %bb.78:
	v_lshlrev_b16 v7, 8, v7
	v_and_b32_e32 v8, 0xff, v11
                                        ; implicit-def: $vgpr11
	s_delay_alu instid0(VALU_DEP_1) | instskip(SKIP_2) | instid1(VALU_DEP_3)
	v_or_b32_e32 v7, v8, v7
	v_lshlrev_b16 v8, 8, v10
	v_and_b32_e32 v10, 0xff0000, v9
	v_lshlrev_b32_e32 v7, 16, v7
	s_delay_alu instid0(VALU_DEP_3) | instskip(NEXT) | instid1(VALU_DEP_3)
	v_and_b32_e32 v8, 0xffff, v8
	v_perm_b32 v49, v9, v10, 0x3020504
                                        ; implicit-def: $vgpr9
                                        ; implicit-def: $vgpr10
	s_delay_alu instid0(VALU_DEP_2)
	v_or_b32_e32 v8, v8, v7
                                        ; implicit-def: $vgpr7
.LBB979_79:
	s_wait_alu 0xfffe
	s_and_not1_saveexec_b32 s1, s0
	s_cbranch_execz .LBB979_83
; %bb.80:
	v_add_nc_u32_e32 v8, s17, v18
	v_add_nc_u32_e32 v12, s19, v18
	s_mov_b32 s3, 0
	s_mov_b32 s4, exec_lo
	s_delay_alu instid0(VALU_DEP_2) | instskip(NEXT) | instid1(VALU_DEP_2)
	v_mul_lo_u32 v8, v8, s16
	v_mul_lo_u32 v12, v12, s18
	s_delay_alu instid0(VALU_DEP_1) | instskip(NEXT) | instid1(VALU_DEP_1)
	v_sub_nc_u32_e32 v8, v8, v12
	v_cmp_lt_u32_e32 vcc_lo, s20, v8
	v_cmpx_ge_u32_e64 s20, v8
	s_cbranch_execz .LBB979_82
; %bb.81:
	v_add_nc_u32_e32 v8, s22, v18
	v_add_nc_u32_e32 v12, s38, v18
	s_delay_alu instid0(VALU_DEP_2) | instskip(NEXT) | instid1(VALU_DEP_2)
	v_mul_lo_u32 v8, v8, s21
	v_mul_lo_u32 v12, v12, s23
	s_delay_alu instid0(VALU_DEP_1) | instskip(NEXT) | instid1(VALU_DEP_1)
	v_sub_nc_u32_e32 v8, v8, v12
	v_cmp_lt_u32_e64 s0, s39, v8
	s_and_b32 s3, s0, exec_lo
.LBB979_82:
	s_wait_alu 0xfffe
	s_or_b32 exec_lo, exec_lo, s4
	v_lshrrev_b32_e32 v8, 8, v9
	s_wait_alu 0xfffd
	v_cndmask_b32_e64 v12, 0, 1, vcc_lo
	v_lshrrev_b32_e32 v25, 16, v9
	v_cndmask_b32_e64 v26, 0, 1, s3
	v_and_b32_e32 v9, 0xff, v9
	v_lshlrev_b16 v8, 8, v8
	v_lshlrev_b16 v12, 8, v12
	v_and_b32_e32 v25, 0xff, v25
	v_lshlrev_b16 v7, 8, v7
	v_and_b32_e32 v11, 0xff, v11
	v_lshlrev_b16 v10, 8, v10
	v_or_b32_e32 v8, v9, v8
	v_or_b32_e32 v9, v25, v12
	s_delay_alu instid0(VALU_DEP_4) | instskip(NEXT) | instid1(VALU_DEP_4)
	v_or_b32_e32 v7, v11, v7
	v_or_b32_e32 v10, v26, v10
	s_delay_alu instid0(VALU_DEP_4) | instskip(NEXT) | instid1(VALU_DEP_4)
	v_and_b32_e32 v8, 0xffff, v8
	v_lshlrev_b32_e32 v9, 16, v9
	s_delay_alu instid0(VALU_DEP_4) | instskip(NEXT) | instid1(VALU_DEP_4)
	v_lshlrev_b32_e32 v7, 16, v7
	v_and_b32_e32 v10, 0xffff, v10
	s_delay_alu instid0(VALU_DEP_3) | instskip(NEXT) | instid1(VALU_DEP_2)
	v_or_b32_e32 v49, v8, v9
	v_or_b32_e32 v8, v10, v7
.LBB979_83:
	s_wait_alu 0xfffe
	s_or_b32 exec_lo, exec_lo, s1
	v_add_nc_u32_e32 v7, 8, v46
	s_delay_alu instid0(VALU_DEP_2)
	v_lshrrev_b32_e32 v9, 16, v8
	v_lshrrev_b32_e32 v10, 24, v8
	;; [unrolled: 1-line block ×4, first 2 shown]
	v_cmp_le_u32_e32 vcc_lo, s27, v7
	v_lshrrev_b32_e32 v11, 8, v6
                                        ; implicit-def: $vgpr6
                                        ; implicit-def: $vgpr7
	s_and_saveexec_b32 s0, vcc_lo
	s_wait_alu 0xfffe
	s_xor_b32 s0, exec_lo, s0
	s_cbranch_execz .LBB979_85
; %bb.84:
	v_lshlrev_b16 v6, 8, v12
	v_and_b32_e32 v7, 0xff, v25
	v_lshlrev_b16 v11, 8, v11
	v_lshlrev_b16 v10, 8, v10
	v_perm_b32 v5, v5, v5, 0x3060504
                                        ; implicit-def: $vgpr12
                                        ; implicit-def: $vgpr25
	s_delay_alu instid0(VALU_DEP_4) | instskip(SKIP_2) | instid1(VALU_DEP_3)
	v_or_b32_e32 v6, v7, v6
	v_and_b32_e32 v7, 0xff, v9
	v_and_b32_e32 v9, 0xffff, v11
                                        ; implicit-def: $vgpr11
	v_lshlrev_b32_e32 v6, 16, v6
	s_delay_alu instid0(VALU_DEP_3) | instskip(NEXT) | instid1(VALU_DEP_2)
	v_or_b32_e32 v10, v7, v10
	v_or_b32_e32 v7, v9, v6
	s_delay_alu instid0(VALU_DEP_2)
	v_perm_b32 v6, v10, v8, 0x5040c00
                                        ; implicit-def: $vgpr8
                                        ; implicit-def: $vgpr9
                                        ; implicit-def: $vgpr10
.LBB979_85:
	s_wait_alu 0xfffe
	s_and_not1_saveexec_b32 s1, s0
	s_cbranch_execz .LBB979_89
; %bb.86:
	v_add_nc_u32_e32 v6, s17, v15
	v_add_nc_u32_e32 v7, s19, v15
	s_mov_b32 s3, 0
	s_mov_b32 s4, exec_lo
	s_delay_alu instid0(VALU_DEP_2) | instskip(NEXT) | instid1(VALU_DEP_2)
	v_mul_lo_u32 v6, v6, s16
	v_mul_lo_u32 v7, v7, s18
	s_delay_alu instid0(VALU_DEP_1) | instskip(NEXT) | instid1(VALU_DEP_1)
	v_sub_nc_u32_e32 v6, v6, v7
	v_cmp_lt_u32_e32 vcc_lo, s20, v6
	v_cmpx_ge_u32_e64 s20, v6
	s_cbranch_execz .LBB979_88
; %bb.87:
	v_add_nc_u32_e32 v6, s22, v15
	v_add_nc_u32_e32 v7, s38, v15
	s_delay_alu instid0(VALU_DEP_2) | instskip(NEXT) | instid1(VALU_DEP_2)
	v_mul_lo_u32 v6, v6, s21
	v_mul_lo_u32 v7, v7, s23
	s_delay_alu instid0(VALU_DEP_1) | instskip(NEXT) | instid1(VALU_DEP_1)
	v_sub_nc_u32_e32 v6, v6, v7
	v_cmp_lt_u32_e64 s0, s39, v6
	s_and_b32 s3, s0, exec_lo
.LBB979_88:
	s_wait_alu 0xfffe
	s_or_b32 exec_lo, exec_lo, s4
	v_cndmask_b32_e64 v6, 0, 1, s3
	s_wait_alu 0xfffd
	v_cndmask_b32_e64 v7, 0, 1, vcc_lo
	v_lshlrev_b16 v12, 8, v12
	v_and_b32_e32 v25, 0xff, v25
	v_lshlrev_b16 v11, 8, v11
	v_lshlrev_b16 v6, 8, v6
	v_and_b32_e32 v8, 0xff, v8
	v_lshlrev_b16 v10, 8, v10
	v_and_b32_e32 v9, 0xff, v9
	v_or_b32_e32 v12, v25, v12
	v_or_b32_e32 v7, v7, v11
	;; [unrolled: 1-line block ×3, first 2 shown]
	s_delay_alu instid0(VALU_DEP_4) | instskip(NEXT) | instid1(VALU_DEP_4)
	v_or_b32_e32 v8, v9, v10
	v_lshlrev_b32_e32 v9, 16, v12
	s_delay_alu instid0(VALU_DEP_4) | instskip(NEXT) | instid1(VALU_DEP_4)
	v_and_b32_e32 v7, 0xffff, v7
	v_and_b32_e32 v6, 0xffff, v6
	s_delay_alu instid0(VALU_DEP_4) | instskip(NEXT) | instid1(VALU_DEP_3)
	v_lshlrev_b32_e32 v8, 16, v8
	v_or_b32_e32 v7, v7, v9
	s_delay_alu instid0(VALU_DEP_2)
	v_or_b32_e32 v6, v6, v8
.LBB979_89:
	s_wait_alu 0xfffe
	s_or_b32 exec_lo, exec_lo, s1
	v_add_nc_u32_e32 v8, 9, v46
	s_delay_alu instid0(VALU_DEP_2)
	v_lshrrev_b32_e32 v10, 8, v6
	v_lshrrev_b32_e32 v25, 24, v7
	;; [unrolled: 1-line block ×3, first 2 shown]
	v_and_b32_e32 v11, 0xff, v6
	v_cmp_le_u32_e32 vcc_lo, s27, v8
                                        ; implicit-def: $vgpr8
                                        ; implicit-def: $vgpr9
	s_and_saveexec_b32 s0, vcc_lo
	s_wait_alu 0xfffe
	s_xor_b32 s0, exec_lo, s0
	s_cbranch_execz .LBB979_91
; %bb.90:
	v_lshlrev_b16 v8, 8, v10
	v_lshlrev_b16 v9, 8, v25
	v_and_b32_e32 v10, 0xff, v12
	v_perm_b32 v5, v5, v5, 0x3060504
                                        ; implicit-def: $vgpr25
                                        ; implicit-def: $vgpr12
	s_delay_alu instid0(VALU_DEP_4) | instskip(NEXT) | instid1(VALU_DEP_3)
	v_or_b32_e32 v8, v11, v8
                                        ; implicit-def: $vgpr11
	v_or_b32_e32 v9, v10, v9
                                        ; implicit-def: $vgpr10
	s_delay_alu instid0(VALU_DEP_2) | instskip(NEXT) | instid1(VALU_DEP_2)
	v_and_b32_e32 v8, 0xffff, v8
	v_perm_b32 v9, v9, v7, 0x5040c00
                                        ; implicit-def: $vgpr7
	s_delay_alu instid0(VALU_DEP_2)
	v_and_or_b32 v8, 0xff000000, v6, v8
                                        ; implicit-def: $vgpr6
.LBB979_91:
	s_wait_alu 0xfffe
	s_and_not1_saveexec_b32 s1, s0
	s_cbranch_execz .LBB979_95
; %bb.92:
	v_add_nc_u32_e32 v8, s17, v16
	v_add_nc_u32_e32 v9, s19, v16
	s_mov_b32 s3, 0
	s_mov_b32 s4, exec_lo
	s_delay_alu instid0(VALU_DEP_2) | instskip(NEXT) | instid1(VALU_DEP_2)
	v_mul_lo_u32 v8, v8, s16
	v_mul_lo_u32 v9, v9, s18
	s_delay_alu instid0(VALU_DEP_1) | instskip(NEXT) | instid1(VALU_DEP_1)
	v_sub_nc_u32_e32 v8, v8, v9
	v_cmp_lt_u32_e32 vcc_lo, s20, v8
	v_cmpx_ge_u32_e64 s20, v8
	s_cbranch_execz .LBB979_94
; %bb.93:
	v_add_nc_u32_e32 v8, s22, v16
	v_add_nc_u32_e32 v9, s38, v16
	s_delay_alu instid0(VALU_DEP_2) | instskip(NEXT) | instid1(VALU_DEP_2)
	v_mul_lo_u32 v8, v8, s21
	v_mul_lo_u32 v9, v9, s23
	s_delay_alu instid0(VALU_DEP_1) | instskip(NEXT) | instid1(VALU_DEP_1)
	v_sub_nc_u32_e32 v8, v8, v9
	v_cmp_lt_u32_e64 s0, s39, v8
	s_and_b32 s3, s0, exec_lo
.LBB979_94:
	s_wait_alu 0xfffe
	s_or_b32 exec_lo, exec_lo, s4
	s_wait_alu 0xfffd
	v_cndmask_b32_e64 v8, 0, 1, vcc_lo
	v_lshrrev_b32_e32 v6, 24, v6
	v_cndmask_b32_e64 v9, 0, 1, s3
	v_lshlrev_b16 v25, 8, v25
	v_and_b32_e32 v12, 0xff, v12
	v_lshlrev_b16 v8, 8, v8
	v_lshlrev_b16 v10, 8, v10
	v_and_b32_e32 v7, 0xff, v7
	v_lshlrev_b16 v6, 8, v6
	v_or_b32_e32 v12, v12, v25
	s_delay_alu instid0(VALU_DEP_4) | instskip(NEXT) | instid1(VALU_DEP_4)
	v_or_b32_e32 v10, v11, v10
	v_or_b32_e32 v7, v7, v8
	s_delay_alu instid0(VALU_DEP_4) | instskip(NEXT) | instid1(VALU_DEP_4)
	v_or_b32_e32 v6, v9, v6
	v_lshlrev_b32_e32 v8, 16, v12
	s_delay_alu instid0(VALU_DEP_4) | instskip(NEXT) | instid1(VALU_DEP_4)
	v_and_b32_e32 v10, 0xffff, v10
	v_and_b32_e32 v7, 0xffff, v7
	s_delay_alu instid0(VALU_DEP_4) | instskip(NEXT) | instid1(VALU_DEP_2)
	v_lshlrev_b32_e32 v6, 16, v6
	v_or_b32_e32 v9, v7, v8
	s_delay_alu instid0(VALU_DEP_2)
	v_or_b32_e32 v8, v10, v6
.LBB979_95:
	s_wait_alu 0xfffe
	s_or_b32 exec_lo, exec_lo, s1
	v_add_nc_u32_e32 v6, 10, v46
	v_and_b32_e32 v7, 0xff, v9
	v_lshrrev_b32_e32 v10, 8, v9
                                        ; implicit-def: $vgpr51
	s_delay_alu instid0(VALU_DEP_3)
	v_cmp_le_u32_e32 vcc_lo, s27, v6
                                        ; implicit-def: $vgpr6
	s_and_saveexec_b32 s0, vcc_lo
	s_wait_alu 0xfffe
	s_xor_b32 s0, exec_lo, s0
	s_cbranch_execz .LBB979_97
; %bb.96:
	v_lshlrev_b16 v6, 8, v10
	v_perm_b32 v5, v5, v5, 0x3060504
                                        ; implicit-def: $vgpr10
	s_delay_alu instid0(VALU_DEP_2) | instskip(SKIP_1) | instid1(VALU_DEP_2)
	v_or_b32_e32 v6, v7, v6
	v_and_b32_e32 v7, 0xff0000, v8
	v_and_b32_e32 v6, 0xffff, v6
	s_delay_alu instid0(VALU_DEP_2) | instskip(NEXT) | instid1(VALU_DEP_2)
	v_perm_b32 v51, v8, v7, 0x3020504
                                        ; implicit-def: $vgpr7
                                        ; implicit-def: $vgpr8
	v_and_or_b32 v6, 0xff000000, v9, v6
                                        ; implicit-def: $vgpr9
.LBB979_97:
	s_wait_alu 0xfffe
	s_and_not1_saveexec_b32 s1, s0
	s_cbranch_execz .LBB979_101
; %bb.98:
	v_add_nc_u32_e32 v6, s17, v13
	v_add_nc_u32_e32 v11, s19, v13
	s_mov_b32 s3, 0
	s_mov_b32 s4, exec_lo
	s_delay_alu instid0(VALU_DEP_2) | instskip(NEXT) | instid1(VALU_DEP_2)
	v_mul_lo_u32 v6, v6, s16
	v_mul_lo_u32 v11, v11, s18
	s_delay_alu instid0(VALU_DEP_1) | instskip(NEXT) | instid1(VALU_DEP_1)
	v_sub_nc_u32_e32 v6, v6, v11
	v_cmp_lt_u32_e32 vcc_lo, s20, v6
	v_cmpx_ge_u32_e64 s20, v6
	s_cbranch_execz .LBB979_100
; %bb.99:
	v_add_nc_u32_e32 v6, s22, v13
	v_add_nc_u32_e32 v11, s38, v13
	s_delay_alu instid0(VALU_DEP_2) | instskip(NEXT) | instid1(VALU_DEP_2)
	v_mul_lo_u32 v6, v6, s21
	v_mul_lo_u32 v11, v11, s23
	s_delay_alu instid0(VALU_DEP_1) | instskip(NEXT) | instid1(VALU_DEP_1)
	v_sub_nc_u32_e32 v6, v6, v11
	v_cmp_lt_u32_e64 s0, s39, v6
	s_and_b32 s3, s0, exec_lo
.LBB979_100:
	s_wait_alu 0xfffe
	s_or_b32 exec_lo, exec_lo, s4
	v_lshrrev_b32_e32 v9, 24, v9
	v_cndmask_b32_e64 v11, 0, 1, s3
	v_lshrrev_b32_e32 v12, 8, v8
	v_lshrrev_b32_e32 v25, 16, v8
	s_wait_alu 0xfffd
	v_cndmask_b32_e64 v6, 0, 1, vcc_lo
	v_lshlrev_b16 v10, 8, v10
	v_lshlrev_b16 v9, 8, v9
	v_and_b32_e32 v8, 0xff, v8
	v_lshlrev_b16 v12, 8, v12
	v_lshlrev_b16 v11, 8, v11
	v_and_b32_e32 v25, 0xff, v25
	v_or_b32_e32 v7, v7, v10
	v_or_b32_e32 v6, v6, v9
	v_or_b32_e32 v8, v8, v12
	s_delay_alu instid0(VALU_DEP_4) | instskip(NEXT) | instid1(VALU_DEP_4)
	v_or_b32_e32 v9, v25, v11
	v_and_b32_e32 v7, 0xffff, v7
	s_delay_alu instid0(VALU_DEP_4) | instskip(NEXT) | instid1(VALU_DEP_4)
	v_lshlrev_b32_e32 v6, 16, v6
	v_and_b32_e32 v8, 0xffff, v8
	s_delay_alu instid0(VALU_DEP_4) | instskip(NEXT) | instid1(VALU_DEP_3)
	v_lshlrev_b32_e32 v9, 16, v9
	v_or_b32_e32 v6, v7, v6
	s_delay_alu instid0(VALU_DEP_2)
	v_or_b32_e32 v51, v8, v9
.LBB979_101:
	s_wait_alu 0xfffe
	s_or_b32 exec_lo, exec_lo, s1
	v_dual_mov_b32 v50, 0 :: v_dual_add_nc_u32 v7, 11, v46
	s_mov_b32 s0, exec_lo
                                        ; implicit-def: $vgpr52
	s_delay_alu instid0(VALU_DEP_1)
	v_cmpx_le_u32_e64 s27, v7
	s_wait_alu 0xfffe
	s_xor_b32 s0, exec_lo, s0
; %bb.102:
	v_and_b32_e32 v7, 0xff0000, v6
	v_perm_b32 v5, v5, v5, 0x3060504
	s_delay_alu instid0(VALU_DEP_2)
	v_perm_b32 v52, v6, v7, 0x3020504
                                        ; implicit-def: $vgpr6
; %bb.103:
	s_wait_alu 0xfffe
	s_and_not1_saveexec_b32 s1, s0
	s_cbranch_execz .LBB979_107
; %bb.104:
	v_add_nc_u32_e32 v7, s17, v14
	v_add_nc_u32_e32 v8, s19, v14
	s_mov_b32 s3, 0
	s_mov_b32 s4, exec_lo
	s_delay_alu instid0(VALU_DEP_2) | instskip(NEXT) | instid1(VALU_DEP_2)
	v_mul_lo_u32 v7, v7, s16
	v_mul_lo_u32 v8, v8, s18
	s_delay_alu instid0(VALU_DEP_1) | instskip(NEXT) | instid1(VALU_DEP_1)
	v_sub_nc_u32_e32 v7, v7, v8
	v_cmp_lt_u32_e32 vcc_lo, s20, v7
	v_cmpx_ge_u32_e64 s20, v7
	s_cbranch_execz .LBB979_106
; %bb.105:
	v_add_nc_u32_e32 v7, s22, v14
	v_add_nc_u32_e32 v8, s38, v14
	s_delay_alu instid0(VALU_DEP_2) | instskip(NEXT) | instid1(VALU_DEP_2)
	v_mul_lo_u32 v7, v7, s21
	v_mul_lo_u32 v8, v8, s23
	s_delay_alu instid0(VALU_DEP_1) | instskip(NEXT) | instid1(VALU_DEP_1)
	v_sub_nc_u32_e32 v7, v7, v8
	v_cmp_lt_u32_e64 s0, s39, v7
	s_and_b32 s3, s0, exec_lo
.LBB979_106:
	s_wait_alu 0xfffe
	s_or_b32 exec_lo, exec_lo, s4
	v_lshrrev_b32_e32 v7, 8, v6
	s_wait_alu 0xfffd
	v_cndmask_b32_e64 v8, 0, 1, vcc_lo
	v_lshrrev_b32_e32 v9, 16, v6
	v_and_b32_e32 v6, 0xff, v6
	v_cndmask_b32_e64 v50, 0, 1, s3
	v_lshlrev_b16 v7, 8, v7
	v_lshlrev_b16 v8, 8, v8
	v_and_b32_e32 v9, 0xff, v9
	s_delay_alu instid0(VALU_DEP_3) | instskip(NEXT) | instid1(VALU_DEP_2)
	v_or_b32_e32 v6, v6, v7
	v_or_b32_e32 v7, v9, v8
	s_delay_alu instid0(VALU_DEP_2) | instskip(NEXT) | instid1(VALU_DEP_2)
	v_and_b32_e32 v6, 0xffff, v6
	v_lshlrev_b32_e32 v7, 16, v7
	s_delay_alu instid0(VALU_DEP_1)
	v_or_b32_e32 v52, v6, v7
.LBB979_107:
	s_wait_alu 0xfffe
	s_or_b32 exec_lo, exec_lo, s1
	v_add_nc_u32_e32 v8, 12, v46
	v_lshrrev_b32_e32 v6, 8, v5
	v_lshrrev_b32_e32 v7, 16, v5
	;; [unrolled: 1-line block ×3, first 2 shown]
	s_mov_b32 s0, exec_lo
                                        ; implicit-def: $vgpr54
	v_cmpx_le_u32_e64 s27, v8
	s_wait_alu 0xfffe
	s_xor_b32 s0, exec_lo, s0
	s_cbranch_execz .LBB979_109
; %bb.108:
	v_lshlrev_b16 v5, 8, v5
	v_and_b32_e32 v7, 0xff, v7
	v_lshlrev_b16 v6, 8, v6
	s_delay_alu instid0(VALU_DEP_2) | instskip(NEXT) | instid1(VALU_DEP_2)
	v_or_b32_e32 v5, v7, v5
	v_and_b32_e32 v6, 0xffff, v6
                                        ; implicit-def: $vgpr7
	s_delay_alu instid0(VALU_DEP_2) | instskip(NEXT) | instid1(VALU_DEP_1)
	v_lshlrev_b32_e32 v5, 16, v5
	v_or_b32_e32 v54, v6, v5
                                        ; implicit-def: $vgpr5
                                        ; implicit-def: $vgpr6
.LBB979_109:
	s_wait_alu 0xfffe
	s_or_saveexec_b32 s1, s0
	v_mov_b32_e32 v53, 0
	s_wait_alu 0xfffe
	s_xor_b32 exec_lo, exec_lo, s1
	s_cbranch_execz .LBB979_113
; %bb.110:
	v_add_nc_u32_e32 v8, s17, v45
	v_add_nc_u32_e32 v9, s19, v45
	s_mov_b32 s3, 0
	s_mov_b32 s4, exec_lo
	s_delay_alu instid0(VALU_DEP_2) | instskip(NEXT) | instid1(VALU_DEP_2)
	v_mul_lo_u32 v8, v8, s16
	v_mul_lo_u32 v9, v9, s18
	s_delay_alu instid0(VALU_DEP_1) | instskip(NEXT) | instid1(VALU_DEP_1)
	v_sub_nc_u32_e32 v8, v8, v9
	v_cmp_lt_u32_e32 vcc_lo, s20, v8
	v_cmpx_ge_u32_e64 s20, v8
	s_cbranch_execz .LBB979_112
; %bb.111:
	v_add_nc_u32_e32 v8, s22, v45
	v_add_nc_u32_e32 v9, s38, v45
	s_delay_alu instid0(VALU_DEP_2) | instskip(NEXT) | instid1(VALU_DEP_2)
	v_mul_lo_u32 v8, v8, s21
	v_mul_lo_u32 v9, v9, s23
	s_delay_alu instid0(VALU_DEP_1) | instskip(NEXT) | instid1(VALU_DEP_1)
	v_sub_nc_u32_e32 v8, v8, v9
	v_cmp_lt_u32_e64 s0, s39, v8
	s_and_b32 s3, s0, exec_lo
.LBB979_112:
	s_wait_alu 0xfffe
	s_or_b32 exec_lo, exec_lo, s4
	s_wait_alu 0xfffd
	v_cndmask_b32_e64 v8, 0, 1, vcc_lo
	v_lshlrev_b16 v5, 8, v5
	v_and_b32_e32 v7, 0xff, v7
	v_lshlrev_b16 v6, 8, v6
	v_cndmask_b32_e64 v53, 0, 1, s3
	s_delay_alu instid0(VALU_DEP_3) | instskip(NEXT) | instid1(VALU_DEP_3)
	v_or_b32_e32 v5, v7, v5
	v_or_b32_e32 v6, v8, v6
	s_delay_alu instid0(VALU_DEP_2) | instskip(NEXT) | instid1(VALU_DEP_2)
	v_lshlrev_b32_e32 v5, 16, v5
	v_and_b32_e32 v6, 0xffff, v6
	s_delay_alu instid0(VALU_DEP_1)
	v_or_b32_e32 v54, v6, v5
.LBB979_113:
	s_or_b32 exec_lo, exec_lo, s1
.LBB979_114:
	v_and_b32_e32 v77, 0xff, v47
	s_delay_alu instid0(VALU_DEP_2)
	v_bfe_u32 v78, v54, 8, 8
	v_bfe_u32 v74, v47, 8, 8
	;; [unrolled: 1-line block ×4, first 2 shown]
	v_lshrrev_b32_e32 v60, 24, v54
	v_lshrrev_b32_e32 v59, 24, v47
	v_and_b32_e32 v73, 0xff, v48
	v_and_b32_e32 v71, 0xff, v49
	v_bfe_u32 v72, v48, 8, 8
	v_add3_u32 v5, v74, v77, v76
	v_add3_u32 v6, v75, v78, v60
	v_bfe_u32 v69, v49, 8, 8
	v_bfe_u32 v70, v48, 16, 8
	;; [unrolled: 1-line block ×3, first 2 shown]
	v_lshrrev_b32_e32 v58, 24, v48
	v_add3_u32 v5, v5, v59, v71
	v_add3_u32 v6, v6, v73, v72
	v_lshrrev_b32_e32 v57, 24, v49
	v_and_b32_e32 v68, 0xff, v51
	v_and_b32_e32 v66, 0xff, v52
	v_bfe_u32 v67, v51, 8, 8
	v_add3_u32 v5, v5, v69, v65
	v_add3_u32 v6, v6, v70, v58
	v_bfe_u32 v63, v52, 8, 8
	v_bfe_u32 v64, v51, 16, 8
	v_bfe_u32 v62, v52, 16, 8
	v_lshrrev_b32_e32 v56, 24, v51
	v_add3_u32 v5, v5, v57, v66
	v_add3_u32 v6, v6, v68, v67
	v_mbcnt_lo_u32_b32 v79, -1, 0
	v_lshrrev_b32_e32 v55, 24, v52
	v_and_b32_e32 v61, 0xff, v50
	v_and_b32_e32 v7, 0xff, v54
	;; [unrolled: 1-line block ×3, first 2 shown]
	v_add3_u32 v5, v5, v63, v62
	v_add3_u32 v6, v6, v64, v56
	v_and_b32_e32 v81, 15, v79
	v_and_b32_e32 v83, 16, v79
	v_lshrrev_b32_e32 v80, 5, v0
	v_add3_u32 v84, v5, v55, v7
	v_add3_u32 v85, v6, v61, v8
	v_cmp_eq_u32_e64 s1, 0, v81
	v_cmp_lt_u32_e64 s0, 1, v81
	v_cmp_lt_u32_e64 s3, 3, v81
	v_or_b32_e32 v82, 31, v0
	s_cmp_lg_u32 s33, 0
	s_mov_b32 s4, -1
	v_cmp_lt_u32_e32 vcc_lo, 7, v81
	s_cbranch_scc0 .LBB979_135
; %bb.115:
	v_mov_b32_dpp v6, v84 row_shr:1 row_mask:0xf bank_mask:0xf
	v_mov_b32_dpp v5, v85 row_shr:1 row_mask:0xf bank_mask:0xf
	s_mov_b32 s4, exec_lo
	s_delay_alu instid0(VALU_DEP_2) | instskip(SKIP_1) | instid1(VALU_DEP_1)
	v_add_nc_u32_e32 v6, v6, v84
	s_wait_alu 0xf1ff
	v_cndmask_b32_e64 v6, v6, v84, s1
	s_delay_alu instid0(VALU_DEP_1) | instskip(NEXT) | instid1(VALU_DEP_1)
	v_mov_b32_dpp v8, v6 row_shr:2 row_mask:0xf bank_mask:0xf
	v_add_nc_u32_e32 v8, v6, v8
	s_delay_alu instid0(VALU_DEP_1) | instskip(NEXT) | instid1(VALU_DEP_1)
	v_cndmask_b32_e64 v6, v6, v8, s0
	v_mov_b32_dpp v8, v6 row_shr:4 row_mask:0xf bank_mask:0xf
	s_delay_alu instid0(VALU_DEP_1) | instskip(NEXT) | instid1(VALU_DEP_1)
	v_add_nc_u32_e32 v8, v6, v8
	v_cndmask_b32_e64 v6, v6, v8, s3
	s_delay_alu instid0(VALU_DEP_1) | instskip(NEXT) | instid1(VALU_DEP_1)
	v_mov_b32_dpp v8, v6 row_shr:8 row_mask:0xf bank_mask:0xf
	v_add_nc_u32_e32 v8, v6, v8
	s_wait_alu 0xfffd
	s_delay_alu instid0(VALU_DEP_1) | instskip(NEXT) | instid1(VALU_DEP_1)
	v_dual_cndmask_b32 v6, v6, v8 :: v_dual_add_nc_u32 v5, v5, v85
	v_cndmask_b32_e64 v5, v5, v85, s1
	ds_swizzle_b32 v8, v6 offset:swizzle(BROADCAST,32,15)
	v_mov_b32_dpp v7, v5 row_shr:2 row_mask:0xf bank_mask:0xf
	s_delay_alu instid0(VALU_DEP_1) | instskip(NEXT) | instid1(VALU_DEP_1)
	v_add_nc_u32_e32 v7, v5, v7
	v_cndmask_b32_e64 v5, v5, v7, s0
	s_delay_alu instid0(VALU_DEP_1) | instskip(SKIP_2) | instid1(VALU_DEP_2)
	v_mov_b32_dpp v7, v5 row_shr:4 row_mask:0xf bank_mask:0xf
	s_wait_dscnt 0x0
	v_add_nc_u32_e32 v8, v6, v8
	v_add_nc_u32_e32 v7, v5, v7
	s_delay_alu instid0(VALU_DEP_1) | instskip(NEXT) | instid1(VALU_DEP_1)
	v_cndmask_b32_e64 v5, v5, v7, s3
	v_mov_b32_dpp v7, v5 row_shr:8 row_mask:0xf bank_mask:0xf
	s_delay_alu instid0(VALU_DEP_1) | instskip(NEXT) | instid1(VALU_DEP_1)
	v_add_nc_u32_e32 v7, v5, v7
	v_cndmask_b32_e32 v5, v5, v7, vcc_lo
	v_cmp_eq_u32_e32 vcc_lo, 0, v83
	ds_swizzle_b32 v7, v5 offset:swizzle(BROADCAST,32,15)
	s_wait_dscnt 0x0
	v_add_nc_u32_e32 v7, v5, v7
	v_cmpx_eq_u32_e64 v0, v82
; %bb.116:
	s_wait_alu 0xfffd
	s_delay_alu instid0(VALU_DEP_2)
	v_dual_cndmask_b32 v10, v7, v5 :: v_dual_lshlrev_b32 v11, 3, v80
	v_cndmask_b32_e32 v9, v8, v6, vcc_lo
	ds_store_b64 v11, v[9:10]
; %bb.117:
	s_wait_alu 0xfffe
	s_or_b32 exec_lo, exec_lo, s4
	s_delay_alu instid0(SALU_CYCLE_1)
	s_mov_b32 s4, exec_lo
	s_wait_loadcnt_dscnt 0x0
	s_barrier_signal -1
	s_barrier_wait -1
	global_inv scope:SCOPE_SE
	v_cmpx_gt_u32_e32 8, v0
	s_cbranch_execz .LBB979_119
; %bb.118:
	v_lshlrev_b32_e32 v11, 3, v0
	v_and_b32_e32 v26, 7, v79
	ds_load_b64 v[9:10], v11
	v_cmp_eq_u32_e64 s3, 0, v26
	s_wait_dscnt 0x0
	v_mov_b32_dpp v12, v9 row_shr:1 row_mask:0xf bank_mask:0xf
	v_mov_b32_dpp v25, v10 row_shr:1 row_mask:0xf bank_mask:0xf
	s_delay_alu instid0(VALU_DEP_2) | instskip(NEXT) | instid1(VALU_DEP_2)
	v_add_nc_u32_e32 v12, v12, v9
	v_add_nc_u32_e32 v25, v25, v10
	s_wait_alu 0xf1ff
	s_delay_alu instid0(VALU_DEP_2) | instskip(NEXT) | instid1(VALU_DEP_2)
	v_cndmask_b32_e64 v9, v12, v9, s3
	v_cndmask_b32_e64 v10, v25, v10, s3
	v_cmp_lt_u32_e64 s3, 1, v26
	s_delay_alu instid0(VALU_DEP_3) | instskip(NEXT) | instid1(VALU_DEP_3)
	v_mov_b32_dpp v12, v9 row_shr:2 row_mask:0xf bank_mask:0xf
	v_mov_b32_dpp v25, v10 row_shr:2 row_mask:0xf bank_mask:0xf
	s_delay_alu instid0(VALU_DEP_2) | instskip(NEXT) | instid1(VALU_DEP_2)
	v_add_nc_u32_e32 v12, v9, v12
	v_add_nc_u32_e32 v25, v10, v25
	s_wait_alu 0xf1ff
	s_delay_alu instid0(VALU_DEP_2) | instskip(NEXT) | instid1(VALU_DEP_2)
	v_cndmask_b32_e64 v9, v9, v12, s3
	v_cndmask_b32_e64 v10, v10, v25, s3
	v_cmp_lt_u32_e64 s3, 3, v26
	s_delay_alu instid0(VALU_DEP_3) | instskip(NEXT) | instid1(VALU_DEP_3)
	v_mov_b32_dpp v12, v9 row_shr:4 row_mask:0xf bank_mask:0xf
	v_mov_b32_dpp v25, v10 row_shr:4 row_mask:0xf bank_mask:0xf
	s_wait_alu 0xf1ff
	s_delay_alu instid0(VALU_DEP_2) | instskip(NEXT) | instid1(VALU_DEP_2)
	v_cndmask_b32_e64 v12, 0, v12, s3
	v_cndmask_b32_e64 v25, 0, v25, s3
	s_delay_alu instid0(VALU_DEP_2) | instskip(NEXT) | instid1(VALU_DEP_2)
	v_add_nc_u32_e32 v9, v12, v9
	v_add_nc_u32_e32 v10, v25, v10
	ds_store_b64 v11, v[9:10]
.LBB979_119:
	s_wait_alu 0xfffe
	s_or_b32 exec_lo, exec_lo, s4
	v_dual_cndmask_b32 v5, v7, v5 :: v_dual_cndmask_b32 v6, v8, v6
	s_mov_b32 s4, exec_lo
	v_cmp_gt_u32_e32 vcc_lo, 32, v0
	s_wait_loadcnt_dscnt 0x0
	s_barrier_signal -1
	s_barrier_wait -1
	global_inv scope:SCOPE_SE
                                        ; implicit-def: $vgpr25
	v_cmpx_lt_u32_e32 31, v0
	s_cbranch_execz .LBB979_121
; %bb.120:
	v_lshl_add_u32 v7, v80, 3, -8
	ds_load_b64 v[25:26], v7
	s_wait_dscnt 0x0
	v_add_nc_u32_e32 v5, v26, v5
	v_add_nc_u32_e32 v6, v25, v6
.LBB979_121:
	s_wait_alu 0xfffe
	s_or_b32 exec_lo, exec_lo, s4
	v_sub_co_u32 v7, s3, v79, 1
	s_delay_alu instid0(VALU_DEP_1) | instskip(SKIP_1) | instid1(VALU_DEP_1)
	v_cmp_gt_i32_e64 s4, 0, v7
	s_wait_alu 0xf1ff
	v_cndmask_b32_e64 v7, v7, v79, s4
	s_delay_alu instid0(VALU_DEP_1)
	v_lshlrev_b32_e32 v7, 2, v7
	ds_bpermute_b32 v86, v7, v6
	ds_bpermute_b32 v87, v7, v5
	s_and_saveexec_b32 s4, vcc_lo
	s_cbranch_execz .LBB979_140
; %bb.122:
	v_mov_b32_e32 v8, 0
	ds_load_b64 v[5:6], v8 offset:56
	s_and_saveexec_b32 s5, s3
	s_cbranch_execz .LBB979_124
; %bb.123:
	s_add_co_i32 s6, s33, 32
	s_mov_b32 s7, 0
	s_wait_alu 0xfffe
	s_lshl_b64 s[6:7], s[6:7], 4
	s_wait_alu 0xfffe
	s_add_nc_u64 s[6:7], s[36:37], s[6:7]
	s_wait_alu 0xfffe
	v_dual_mov_b32 v7, 1 :: v_dual_mov_b32 v10, s7
	v_mov_b32_e32 v9, s6
	s_wait_dscnt 0x0
	;;#ASMSTART
	global_store_b128 v[9:10], v[5:8] off scope:SCOPE_DEV	
s_wait_storecnt 0x0
	;;#ASMEND
.LBB979_124:
	s_wait_alu 0xfffe
	s_or_b32 exec_lo, exec_lo, s5
	v_xad_u32 v27, v79, -1, s33
	s_mov_b32 s6, 0
	s_mov_b32 s5, exec_lo
	s_delay_alu instid0(VALU_DEP_1) | instskip(NEXT) | instid1(VALU_DEP_1)
	v_add_nc_u32_e32 v7, 32, v27
	v_lshlrev_b64_e32 v[7:8], 4, v[7:8]
	s_delay_alu instid0(VALU_DEP_1) | instskip(SKIP_1) | instid1(VALU_DEP_2)
	v_add_co_u32 v7, vcc_lo, s36, v7
	s_wait_alu 0xfffd
	v_add_co_ci_u32_e64 v8, null, s37, v8, vcc_lo
	;;#ASMSTART
	global_load_b128 v[9:12], v[7:8] off scope:SCOPE_DEV	
s_wait_loadcnt 0x0
	;;#ASMEND
	v_and_b32_e32 v12, 0xff, v11
	s_delay_alu instid0(VALU_DEP_1)
	v_cmpx_eq_u16_e32 0, v12
	s_cbranch_execz .LBB979_127
.LBB979_125:                            ; =>This Inner Loop Header: Depth=1
	;;#ASMSTART
	global_load_b128 v[9:12], v[7:8] off scope:SCOPE_DEV	
s_wait_loadcnt 0x0
	;;#ASMEND
	v_and_b32_e32 v12, 0xff, v11
	s_delay_alu instid0(VALU_DEP_1)
	v_cmp_ne_u16_e32 vcc_lo, 0, v12
	s_wait_alu 0xfffe
	s_or_b32 s6, vcc_lo, s6
	s_wait_alu 0xfffe
	s_and_not1_b32 exec_lo, exec_lo, s6
	s_cbranch_execnz .LBB979_125
; %bb.126:
	s_or_b32 exec_lo, exec_lo, s6
.LBB979_127:
	s_wait_alu 0xfffe
	s_or_b32 exec_lo, exec_lo, s5
	v_cmp_ne_u32_e32 vcc_lo, 31, v79
	v_lshlrev_b32_e64 v89, v79, -1
	v_add_nc_u32_e32 v91, 2, v79
	v_add_nc_u32_e32 v93, 4, v79
	;; [unrolled: 1-line block ×3, first 2 shown]
	s_wait_alu 0xfffd
	v_add_co_ci_u32_e64 v7, null, 0, v79, vcc_lo
	v_lshl_or_b32 v96, v79, 2, 64
	v_add_nc_u32_e32 v97, 16, v79
	s_delay_alu instid0(VALU_DEP_3) | instskip(SKIP_4) | instid1(VALU_DEP_1)
	v_lshlrev_b32_e32 v88, 2, v7
	ds_bpermute_b32 v8, v88, v10
	s_wait_dscnt 0x0
	v_add_nc_u32_e32 v8, v8, v10
	v_and_b32_e32 v7, 0xff, v11
	v_cmp_eq_u16_e32 vcc_lo, 2, v7
	ds_bpermute_b32 v7, v88, v9
	s_wait_dscnt 0x0
	v_add_nc_u32_e32 v7, v7, v9
	s_wait_alu 0xfffd
	v_and_b32_e32 v12, vcc_lo, v89
	v_cmp_gt_u32_e32 vcc_lo, 30, v79
	s_delay_alu instid0(VALU_DEP_2) | instskip(SKIP_2) | instid1(VALU_DEP_2)
	v_or_b32_e32 v12, 0x80000000, v12
	s_wait_alu 0xfffd
	v_cndmask_b32_e64 v28, 0, 2, vcc_lo
	v_ctz_i32_b32_e32 v12, v12
	s_delay_alu instid0(VALU_DEP_2) | instskip(NEXT) | instid1(VALU_DEP_2)
	v_add_lshl_u32 v90, v28, v79, 2
	v_cmp_lt_u32_e32 vcc_lo, v79, v12
	s_wait_alu 0xfffd
	v_dual_cndmask_b32 v8, v10, v8 :: v_dual_cndmask_b32 v7, v9, v7
	v_cmp_gt_u32_e32 vcc_lo, 28, v79
	ds_bpermute_b32 v9, v90, v8
	ds_bpermute_b32 v10, v90, v7
	s_wait_alu 0xfffd
	v_cndmask_b32_e64 v28, 0, 4, vcc_lo
	v_cmp_gt_u32_e32 vcc_lo, v91, v12
	s_delay_alu instid0(VALU_DEP_2)
	v_add_lshl_u32 v92, v28, v79, 2
	s_wait_dscnt 0x1
	v_add_nc_u32_e32 v9, v8, v9
	s_wait_dscnt 0x0
	v_add_nc_u32_e32 v10, v7, v10
	s_wait_alu 0xfffd
	s_delay_alu instid0(VALU_DEP_1)
	v_dual_cndmask_b32 v8, v9, v8 :: v_dual_cndmask_b32 v7, v10, v7
	v_cmp_gt_u32_e32 vcc_lo, 24, v79
	ds_bpermute_b32 v9, v92, v8
	ds_bpermute_b32 v10, v92, v7
	s_wait_alu 0xfffd
	v_cndmask_b32_e64 v28, 0, 8, vcc_lo
	v_cmp_gt_u32_e32 vcc_lo, v93, v12
	s_delay_alu instid0(VALU_DEP_2)
	v_add_lshl_u32 v94, v28, v79, 2
	s_wait_dscnt 0x1
	v_dual_mov_b32 v28, 0 :: v_dual_add_nc_u32 v9, v8, v9
	s_wait_dscnt 0x0
	v_add_nc_u32_e32 v10, v7, v10
	s_wait_alu 0xfffd
	s_delay_alu instid0(VALU_DEP_1)
	v_dual_cndmask_b32 v8, v9, v8 :: v_dual_cndmask_b32 v7, v10, v7
	v_cmp_gt_u32_e32 vcc_lo, v95, v12
	ds_bpermute_b32 v9, v94, v8
	ds_bpermute_b32 v10, v94, v7
	s_wait_dscnt 0x1
	v_add_nc_u32_e32 v9, v8, v9
	s_wait_dscnt 0x0
	v_add_nc_u32_e32 v10, v7, v10
	s_wait_alu 0xfffd
	s_delay_alu instid0(VALU_DEP_1)
	v_dual_cndmask_b32 v8, v9, v8 :: v_dual_cndmask_b32 v7, v10, v7
	v_cmp_le_u32_e32 vcc_lo, v97, v12
	ds_bpermute_b32 v10, v96, v8
	ds_bpermute_b32 v9, v96, v7
	s_wait_dscnt 0x0
	s_wait_alu 0xfffd
	v_dual_cndmask_b32 v10, 0, v10 :: v_dual_cndmask_b32 v9, 0, v9
	s_delay_alu instid0(VALU_DEP_1) | instskip(NEXT) | instid1(VALU_DEP_2)
	v_add_nc_u32_e32 v10, v10, v8
	v_add_nc_u32_e32 v9, v9, v7
	s_branch .LBB979_131
.LBB979_128:                            ;   in Loop: Header=BB979_131 Depth=1
	s_or_b32 exec_lo, exec_lo, s6
.LBB979_129:                            ;   in Loop: Header=BB979_131 Depth=1
	s_wait_alu 0xfffe
	s_or_b32 exec_lo, exec_lo, s5
	ds_bpermute_b32 v12, v88, v9
	ds_bpermute_b32 v29, v88, v10
	v_subrev_nc_u32_e32 v27, 32, v27
	s_mov_b32 s5, 0
	s_wait_dscnt 0x1
	v_add_nc_u32_e32 v12, v12, v9
	v_and_b32_e32 v30, 0xff, v11
	s_wait_dscnt 0x0
	v_add_nc_u32_e32 v29, v29, v10
	s_delay_alu instid0(VALU_DEP_2) | instskip(SKIP_2) | instid1(VALU_DEP_1)
	v_cmp_eq_u16_e32 vcc_lo, 2, v30
	s_wait_alu 0xfffd
	v_and_or_b32 v30, vcc_lo, v89, 0x80000000
	v_ctz_i32_b32_e32 v30, v30
	s_delay_alu instid0(VALU_DEP_1)
	v_cmp_lt_u32_e32 vcc_lo, v79, v30
	s_wait_alu 0xfffd
	v_dual_cndmask_b32 v10, v10, v29 :: v_dual_cndmask_b32 v9, v9, v12
	v_cmp_gt_u32_e32 vcc_lo, v91, v30
	ds_bpermute_b32 v29, v90, v10
	ds_bpermute_b32 v12, v90, v9
	s_wait_dscnt 0x1
	v_add_nc_u32_e32 v29, v10, v29
	s_wait_dscnt 0x0
	v_add_nc_u32_e32 v12, v9, v12
	s_wait_alu 0xfffd
	s_delay_alu instid0(VALU_DEP_1)
	v_dual_cndmask_b32 v10, v29, v10 :: v_dual_cndmask_b32 v9, v12, v9
	v_cmp_gt_u32_e32 vcc_lo, v93, v30
	ds_bpermute_b32 v29, v92, v10
	ds_bpermute_b32 v12, v92, v9
	s_wait_dscnt 0x1
	v_add_nc_u32_e32 v29, v10, v29
	s_wait_dscnt 0x0
	v_add_nc_u32_e32 v12, v9, v12
	s_wait_alu 0xfffd
	s_delay_alu instid0(VALU_DEP_1)
	;; [unrolled: 10-line block ×3, first 2 shown]
	v_dual_cndmask_b32 v10, v29, v10 :: v_dual_cndmask_b32 v9, v12, v9
	v_cmp_le_u32_e32 vcc_lo, v97, v30
	ds_bpermute_b32 v29, v96, v10
	ds_bpermute_b32 v12, v96, v9
	s_wait_dscnt 0x0
	s_wait_alu 0xfffd
	v_dual_cndmask_b32 v29, 0, v29 :: v_dual_cndmask_b32 v12, 0, v12
	s_delay_alu instid0(VALU_DEP_1) | instskip(NEXT) | instid1(VALU_DEP_2)
	v_add3_u32 v10, v10, v8, v29
	v_add3_u32 v9, v9, v7, v12
.LBB979_130:                            ;   in Loop: Header=BB979_131 Depth=1
	s_wait_alu 0xfffe
	s_and_b32 vcc_lo, exec_lo, s5
	s_wait_alu 0xfffe
	s_cbranch_vccnz .LBB979_136
.LBB979_131:                            ; =>This Loop Header: Depth=1
                                        ;     Child Loop BB979_134 Depth 2
	v_and_b32_e32 v7, 0xff, v11
	s_mov_b32 s5, -1
                                        ; implicit-def: $vgpr11
	s_delay_alu instid0(VALU_DEP_1)
	v_cmp_ne_u16_e32 vcc_lo, 2, v7
	v_dual_mov_b32 v7, v9 :: v_dual_mov_b32 v8, v10
                                        ; implicit-def: $vgpr9_vgpr10
	s_cmp_lg_u32 vcc_lo, exec_lo
	s_cbranch_scc1 .LBB979_130
; %bb.132:                              ;   in Loop: Header=BB979_131 Depth=1
	v_lshlrev_b64_e32 v[9:10], 4, v[27:28]
	s_mov_b32 s5, exec_lo
	s_delay_alu instid0(VALU_DEP_1) | instskip(SKIP_1) | instid1(VALU_DEP_2)
	v_add_co_u32 v29, vcc_lo, s36, v9
	s_wait_alu 0xfffd
	v_add_co_ci_u32_e64 v30, null, s37, v10, vcc_lo
	;;#ASMSTART
	global_load_b128 v[9:12], v[29:30] off scope:SCOPE_DEV	
s_wait_loadcnt 0x0
	;;#ASMEND
	v_and_b32_e32 v12, 0xff, v11
	s_delay_alu instid0(VALU_DEP_1)
	v_cmpx_eq_u16_e32 0, v12
	s_cbranch_execz .LBB979_129
; %bb.133:                              ;   in Loop: Header=BB979_131 Depth=1
	s_mov_b32 s6, 0
.LBB979_134:                            ;   Parent Loop BB979_131 Depth=1
                                        ; =>  This Inner Loop Header: Depth=2
	;;#ASMSTART
	global_load_b128 v[9:12], v[29:30] off scope:SCOPE_DEV	
s_wait_loadcnt 0x0
	;;#ASMEND
	v_and_b32_e32 v12, 0xff, v11
	s_delay_alu instid0(VALU_DEP_1)
	v_cmp_ne_u16_e32 vcc_lo, 0, v12
	s_wait_alu 0xfffe
	s_or_b32 s6, vcc_lo, s6
	s_wait_alu 0xfffe
	s_and_not1_b32 exec_lo, exec_lo, s6
	s_cbranch_execnz .LBB979_134
	s_branch .LBB979_128
.LBB979_135:
                                        ; implicit-def: $vgpr29
                                        ; implicit-def: $vgpr7
                                        ; implicit-def: $vgpr86
	s_wait_alu 0xfffe
	s_and_b32 vcc_lo, exec_lo, s4
	s_wait_alu 0xfffe
	s_cbranch_vccnz .LBB979_141
	s_branch .LBB979_150
.LBB979_136:
	s_and_saveexec_b32 s5, s3
	s_cbranch_execnz .LBB979_378
; %bb.137:
	s_wait_alu 0xfffe
	s_or_b32 exec_lo, exec_lo, s5
	s_and_saveexec_b32 s5, s3
	s_cbranch_execnz .LBB979_379
.LBB979_138:
	s_wait_alu 0xfffe
	s_or_b32 exec_lo, exec_lo, s5
	s_delay_alu instid0(SALU_CYCLE_1)
	s_and_b32 exec_lo, exec_lo, s2
.LBB979_139:
	v_mov_b32_e32 v5, 0
	ds_store_b64 v5, v[7:8] offset:56
.LBB979_140:
	s_wait_alu 0xfffe
	s_or_b32 exec_lo, exec_lo, s4
	s_wait_dscnt 0x1
	v_cndmask_b32_e64 v12, v86, v25, s3
	v_mov_b32_e32 v5, 0
	s_wait_loadcnt_dscnt 0x0
	s_barrier_signal -1
	s_barrier_wait -1
	global_inv scope:SCOPE_SE
	ds_load_b64 v[9:10], v5 offset:56
	s_wait_loadcnt_dscnt 0x0
	s_barrier_signal -1
	s_barrier_wait -1
	global_inv scope:SCOPE_SE
	v_cndmask_b32_e64 v11, v87, v26, s3
	v_add_nc_u32_e32 v12, v9, v12
	ds_load_b128 v[5:8], v5 offset:13312
	v_add_nc_u32_e32 v11, v10, v11
	v_cndmask_b32_e64 v86, v12, v9, s2
	s_delay_alu instid0(VALU_DEP_2)
	v_cndmask_b32_e64 v29, v11, v10, s2
	s_branch .LBB979_150
.LBB979_141:
	s_wait_dscnt 0x0
	v_mov_b32_dpp v5, v84 row_shr:1 row_mask:0xf bank_mask:0xf
	v_cmp_lt_u32_e32 vcc_lo, 3, v81
	v_mov_b32_dpp v6, v85 row_shr:1 row_mask:0xf bank_mask:0xf
	s_delay_alu instid0(VALU_DEP_3) | instskip(NEXT) | instid1(VALU_DEP_1)
	v_add_nc_u32_e32 v5, v5, v84
	v_cndmask_b32_e64 v5, v5, v84, s1
	s_delay_alu instid0(VALU_DEP_1) | instskip(NEXT) | instid1(VALU_DEP_1)
	v_mov_b32_dpp v7, v5 row_shr:2 row_mask:0xf bank_mask:0xf
	v_add_nc_u32_e32 v7, v5, v7
	s_delay_alu instid0(VALU_DEP_1) | instskip(NEXT) | instid1(VALU_DEP_1)
	v_cndmask_b32_e64 v5, v5, v7, s0
	v_mov_b32_dpp v7, v5 row_shr:4 row_mask:0xf bank_mask:0xf
	s_delay_alu instid0(VALU_DEP_1) | instskip(SKIP_1) | instid1(VALU_DEP_1)
	v_add_nc_u32_e32 v7, v5, v7
	s_wait_alu 0xfffd
	v_dual_cndmask_b32 v7, v5, v7 :: v_dual_add_nc_u32 v6, v6, v85
	s_delay_alu instid0(VALU_DEP_1) | instskip(SKIP_1) | instid1(VALU_DEP_2)
	v_cndmask_b32_e64 v6, v6, v85, s1
	s_mov_b32 s1, exec_lo
	v_mov_b32_dpp v5, v7 row_shr:8 row_mask:0xf bank_mask:0xf
	s_delay_alu instid0(VALU_DEP_2) | instskip(NEXT) | instid1(VALU_DEP_2)
	v_mov_b32_dpp v8, v6 row_shr:2 row_mask:0xf bank_mask:0xf
	v_add_nc_u32_e32 v9, v7, v5
	s_delay_alu instid0(VALU_DEP_2) | instskip(NEXT) | instid1(VALU_DEP_1)
	v_add_nc_u32_e32 v8, v6, v8
	v_cndmask_b32_e64 v6, v6, v8, s0
	s_delay_alu instid0(VALU_DEP_1) | instskip(NEXT) | instid1(VALU_DEP_1)
	v_mov_b32_dpp v8, v6 row_shr:4 row_mask:0xf bank_mask:0xf
	v_add_nc_u32_e32 v8, v6, v8
	s_delay_alu instid0(VALU_DEP_1) | instskip(SKIP_1) | instid1(VALU_DEP_2)
	v_cndmask_b32_e32 v6, v6, v8, vcc_lo
	v_cmp_lt_u32_e32 vcc_lo, 7, v81
	v_mov_b32_dpp v8, v6 row_shr:8 row_mask:0xf bank_mask:0xf
	s_delay_alu instid0(VALU_DEP_1) | instskip(SKIP_1) | instid1(VALU_DEP_1)
	v_add_nc_u32_e32 v5, v6, v8
	s_wait_alu 0xfffd
	v_cndmask_b32_e32 v5, v6, v5, vcc_lo
	v_cndmask_b32_e32 v6, v7, v9, vcc_lo
	v_cmp_eq_u32_e32 vcc_lo, 0, v83
	ds_swizzle_b32 v7, v5 offset:swizzle(BROADCAST,32,15)
	ds_swizzle_b32 v8, v6 offset:swizzle(BROADCAST,32,15)
	s_wait_dscnt 0x1
	v_add_nc_u32_e32 v7, v5, v7
	s_wait_dscnt 0x0
	v_add_nc_u32_e32 v8, v6, v8
	v_cmpx_eq_u32_e64 v0, v82
; %bb.142:
	s_wait_alu 0xfffd
	s_delay_alu instid0(VALU_DEP_2)
	v_dual_cndmask_b32 v9, v8, v6 :: v_dual_cndmask_b32 v10, v7, v5
	v_lshlrev_b32_e32 v11, 3, v80
	ds_store_b64 v11, v[9:10]
; %bb.143:
	s_wait_alu 0xfffe
	s_or_b32 exec_lo, exec_lo, s1
	s_delay_alu instid0(SALU_CYCLE_1)
	s_mov_b32 s1, exec_lo
	s_wait_loadcnt_dscnt 0x0
	s_barrier_signal -1
	s_barrier_wait -1
	global_inv scope:SCOPE_SE
	v_cmpx_gt_u32_e32 8, v0
	s_cbranch_execz .LBB979_145
; %bb.144:
	v_lshlrev_b32_e32 v11, 3, v0
	v_and_b32_e32 v26, 7, v79
	ds_load_b64 v[9:10], v11
	v_cmp_eq_u32_e64 s0, 0, v26
	s_wait_dscnt 0x0
	v_mov_b32_dpp v12, v9 row_shr:1 row_mask:0xf bank_mask:0xf
	v_mov_b32_dpp v25, v10 row_shr:1 row_mask:0xf bank_mask:0xf
	s_delay_alu instid0(VALU_DEP_2) | instskip(NEXT) | instid1(VALU_DEP_2)
	v_add_nc_u32_e32 v12, v12, v9
	v_add_nc_u32_e32 v25, v25, v10
	s_wait_alu 0xf1ff
	s_delay_alu instid0(VALU_DEP_2) | instskip(NEXT) | instid1(VALU_DEP_2)
	v_cndmask_b32_e64 v9, v12, v9, s0
	v_cndmask_b32_e64 v10, v25, v10, s0
	v_cmp_lt_u32_e64 s0, 1, v26
	s_delay_alu instid0(VALU_DEP_3) | instskip(NEXT) | instid1(VALU_DEP_3)
	v_mov_b32_dpp v12, v9 row_shr:2 row_mask:0xf bank_mask:0xf
	v_mov_b32_dpp v25, v10 row_shr:2 row_mask:0xf bank_mask:0xf
	s_delay_alu instid0(VALU_DEP_2) | instskip(NEXT) | instid1(VALU_DEP_2)
	v_add_nc_u32_e32 v12, v9, v12
	v_add_nc_u32_e32 v25, v10, v25
	s_wait_alu 0xf1ff
	s_delay_alu instid0(VALU_DEP_2) | instskip(NEXT) | instid1(VALU_DEP_2)
	v_cndmask_b32_e64 v9, v9, v12, s0
	v_cndmask_b32_e64 v10, v10, v25, s0
	v_cmp_lt_u32_e64 s0, 3, v26
	s_delay_alu instid0(VALU_DEP_3) | instskip(NEXT) | instid1(VALU_DEP_3)
	v_mov_b32_dpp v12, v9 row_shr:4 row_mask:0xf bank_mask:0xf
	v_mov_b32_dpp v25, v10 row_shr:4 row_mask:0xf bank_mask:0xf
	s_wait_alu 0xf1ff
	s_delay_alu instid0(VALU_DEP_2) | instskip(NEXT) | instid1(VALU_DEP_2)
	v_cndmask_b32_e64 v12, 0, v12, s0
	v_cndmask_b32_e64 v25, 0, v25, s0
	s_delay_alu instid0(VALU_DEP_2) | instskip(NEXT) | instid1(VALU_DEP_2)
	v_add_nc_u32_e32 v9, v12, v9
	v_add_nc_u32_e32 v10, v25, v10
	ds_store_b64 v11, v[9:10]
.LBB979_145:
	s_wait_alu 0xfffe
	s_or_b32 exec_lo, exec_lo, s1
	v_dual_mov_b32 v11, 0 :: v_dual_mov_b32 v10, 0
	v_mov_b32_e32 v9, 0
	s_mov_b32 s1, exec_lo
	s_wait_loadcnt_dscnt 0x0
	s_barrier_signal -1
	s_barrier_wait -1
	global_inv scope:SCOPE_SE
	v_cmpx_lt_u32_e32 31, v0
; %bb.146:
	v_lshl_add_u32 v9, v80, 3, -8
	ds_load_b64 v[9:10], v9
; %bb.147:
	s_wait_alu 0xfffe
	s_or_b32 exec_lo, exec_lo, s1
	v_sub_co_u32 v12, s0, v79, 1
	v_dual_cndmask_b32 v6, v8, v6 :: v_dual_cndmask_b32 v5, v7, v5
	s_delay_alu instid0(VALU_DEP_2) | instskip(SKIP_1) | instid1(VALU_DEP_2)
	v_cmp_gt_i32_e64 s1, 0, v12
	s_wait_dscnt 0x0
	v_add_nc_u32_e32 v6, v9, v6
	s_delay_alu instid0(VALU_DEP_3) | instskip(SKIP_2) | instid1(VALU_DEP_1)
	v_add_nc_u32_e32 v5, v10, v5
	s_wait_alu 0xf1ff
	v_cndmask_b32_e64 v8, v12, v79, s1
	v_lshlrev_b32_e32 v7, 2, v8
	ds_bpermute_b32 v12, v7, v6
	ds_bpermute_b32 v25, v7, v5
	ds_load_b64 v[5:6], v11 offset:56
	s_and_saveexec_b32 s1, s2
	s_cbranch_execz .LBB979_149
; %bb.148:
	s_add_nc_u64 s[4:5], s[36:37], 0x200
	v_dual_mov_b32 v7, 2 :: v_dual_mov_b32 v8, 0
	s_wait_alu 0xfffe
	v_dual_mov_b32 v27, s5 :: v_dual_mov_b32 v26, s4
	s_wait_dscnt 0x0
	;;#ASMSTART
	global_store_b128 v[26:27], v[5:8] off scope:SCOPE_DEV	
s_wait_storecnt 0x0
	;;#ASMEND
.LBB979_149:
	s_wait_alu 0xfffe
	s_or_b32 exec_lo, exec_lo, s1
	s_wait_dscnt 0x1
	v_cndmask_b32_e64 v7, v25, v10, s0
	v_cndmask_b32_e64 v9, v12, v9, s0
	v_mov_b32_e32 v8, 0
	s_wait_loadcnt_dscnt 0x0
	s_barrier_signal -1
	v_cndmask_b32_e64 v29, v7, 0, s2
	v_cndmask_b32_e64 v86, v9, 0, s2
	v_mov_b32_e32 v7, 0
	s_barrier_wait -1
	global_inv scope:SCOPE_SE
.LBB979_150:
	v_lshrrev_b32_e32 v81, 8, v54
	s_wait_dscnt 0x0
	v_add_co_u32 v1, vcc_lo, v1, v7
	s_wait_alu 0xfffd
	v_add_co_ci_u32_e64 v2, null, 0, v2, vcc_lo
	v_and_b32_e32 v81, 1, v81
	v_sub_co_u32 v84, vcc_lo, v3, v5
	s_wait_alu 0xfffd
	v_subrev_co_ci_u32_e64 v85, null, 0, v4, vcc_lo
	s_delay_alu instid0(VALU_DEP_3)
	v_cmp_eq_u32_e32 vcc_lo, 1, v81
	v_add_nc_u32_e32 v78, v29, v78
	v_sub_nc_u32_e32 v29, v29, v8
	v_lshlrev_b32_e32 v87, 1, v5
	v_lshrrev_b32_e32 v79, 16, v54
	v_lshrrev_b32_e32 v80, 8, v47
	v_add_nc_u32_e32 v75, v78, v75
	v_sub_nc_u32_e32 v78, v78, v8
	v_add_nc_u32_e32 v29, v29, v5
	v_add3_u32 v90, v87, v6, v46
	v_and_b32_e32 v79, 1, v79
	v_lshrrev_b32_e32 v30, 16, v47
	v_add_nc_u32_e32 v78, v78, v5
	v_add_nc_u32_e32 v77, v86, v77
	v_sub_nc_u32_e32 v86, v86, v7
	v_and_b32_e32 v47, 1, v47
	v_and_b32_e32 v80, 1, v80
	;; [unrolled: 1-line block ×3, first 2 shown]
	v_add_nc_u32_e32 v74, v77, v74
	v_sub_nc_u32_e32 v77, v77, v7
	v_add_nc_u32_e32 v46, v86, v29
	v_lshrrev_b32_e32 v28, 8, v48
	v_lshrrev_b32_e32 v27, 16, v48
	v_and_b32_e32 v48, 1, v48
	v_add_nc_u32_e32 v91, v78, v77
	v_sub_nc_u32_e32 v46, v90, v46
	v_and_b32_e32 v28, 1, v28
	v_lshrrev_b32_e32 v25, 16, v49
	v_lshrrev_b32_e32 v26, 8, v49
	v_sub_nc_u32_e32 v91, v90, v91
	s_wait_alu 0xfffd
	v_cndmask_b32_e32 v29, v46, v29, vcc_lo
	v_cmp_eq_u32_e32 vcc_lo, 1, v79
	v_lshrrev_b32_e32 v12, 8, v51
	v_and_b32_e32 v26, 1, v26
	v_add_nc_u32_e32 v91, 1, v91
	v_lshrrev_b32_e32 v10, 16, v51
	v_lshrrev_b32_e32 v11, 8, v52
	v_and_b32_e32 v12, 1, v12
	v_lshrrev_b32_e32 v9, 16, v52
	s_wait_alu 0xfffd
	v_cndmask_b32_e32 v46, v91, v78, vcc_lo
	v_cmp_eq_u32_e32 vcc_lo, 1, v47
	v_add_nc_u32_e32 v82, v75, v60
	v_sub_nc_u32_e32 v75, v75, v8
	v_and_b32_e32 v60, 1, v60
	v_and_b32_e32 v10, 1, v10
	s_wait_alu 0xfffd
	v_cndmask_b32_e32 v29, v29, v86, vcc_lo
	v_cmp_eq_u32_e32 vcc_lo, 1, v80
	v_add_nc_u32_e32 v75, v75, v5
	v_sub_nc_u32_e32 v80, v82, v8
	v_and_b32_e32 v11, 1, v11
	v_lshlrev_b32_e32 v29, 2, v29
	s_wait_alu 0xfffd
	v_cndmask_b32_e32 v77, v46, v77, vcc_lo
	v_add_nc_u32_e32 v76, v74, v76
	v_sub_nc_u32_e32 v74, v74, v7
	v_add_co_u32 v46, vcc_lo, v84, v8
	s_wait_alu 0xfffd
	v_add_co_ci_u32_e64 v47, null, 0, v85, vcc_lo
	s_delay_alu instid0(VALU_DEP_3)
	v_add_nc_u32_e32 v79, v75, v74
	v_cmp_eq_u32_e32 vcc_lo, 1, v60
	v_add_nc_u32_e32 v83, v76, v59
	v_lshlrev_b32_e32 v77, 2, v77
	ds_store_b32 v29, v23
	ds_store_b32 v77, v24
	v_sub_nc_u32_e32 v79, v90, v79
	v_and_b32_e32 v9, 1, v9
	s_delay_alu instid0(VALU_DEP_2) | instskip(SKIP_1) | instid1(VALU_DEP_1)
	v_add_nc_u32_e32 v79, 2, v79
	s_wait_alu 0xfffd
	v_dual_cndmask_b32 v60, v79, v75 :: v_dual_add_nc_u32 v73, v82, v73
	s_delay_alu instid0(VALU_DEP_1)
	v_add_nc_u32_e32 v72, v73, v72
	v_sub_nc_u32_e32 v75, v76, v7
	v_sub_nc_u32_e32 v73, v73, v8
	v_add_nc_u32_e32 v76, v80, v5
	v_cmp_eq_u32_e32 vcc_lo, 1, v30
	s_wait_alu 0xfffd
	s_delay_alu instid0(VALU_DEP_3)
	v_dual_cndmask_b32 v30, v60, v74 :: v_dual_add_nc_u32 v73, v73, v5
	v_sub_nc_u32_e32 v60, v83, v7
	v_add_nc_u32_e32 v74, v75, v76
	v_cmp_eq_u32_e32 vcc_lo, 1, v48
	v_and_b32_e32 v48, 1, v49
	v_lshlrev_b32_e32 v23, 2, v30
	v_add_nc_u32_e32 v24, v60, v73
	v_sub_nc_u32_e32 v29, v90, v74
	v_and_b32_e32 v30, 1, v59
	v_sub_nc_u32_e32 v59, v72, v8
	ds_store_b32 v23, v21
	v_sub_nc_u32_e32 v24, v90, v24
	v_add_nc_u32_e32 v29, 3, v29
	v_and_b32_e32 v23, 1, v27
	v_add_nc_u32_e32 v59, v59, v5
	s_delay_alu instid0(VALU_DEP_4)
	v_add_nc_u32_e32 v24, 4, v24
	s_wait_alu 0xfffd
	v_cndmask_b32_e32 v29, v29, v76, vcc_lo
	v_cmp_eq_u32_e32 vcc_lo, 1, v28
	s_wait_alu 0xfffd
	v_dual_cndmask_b32 v24, v24, v73 :: v_dual_add_nc_u32 v71, v83, v71
	s_delay_alu instid0(VALU_DEP_1) | instskip(SKIP_2) | instid1(VALU_DEP_3)
	v_add_nc_u32_e32 v69, v71, v69
	v_sub_nc_u32_e32 v71, v71, v7
	v_cmp_eq_u32_e32 vcc_lo, 1, v30
	v_add_nc_u32_e32 v65, v69, v65
	s_delay_alu instid0(VALU_DEP_3)
	v_add_nc_u32_e32 v49, v71, v59
	s_wait_alu 0xfffd
	v_cndmask_b32_e32 v28, v29, v75, vcc_lo
	v_cmp_eq_u32_e32 vcc_lo, 1, v48
	v_add_nc_u32_e32 v89, v65, v57
	v_sub_nc_u32_e32 v29, v90, v49
	s_delay_alu instid0(VALU_DEP_4)
	v_lshlrev_b32_e32 v21, 2, v28
	s_wait_alu 0xfffd
	v_cndmask_b32_e32 v24, v24, v60, vcc_lo
	v_cmp_eq_u32_e32 vcc_lo, 1, v23
	v_sub_nc_u32_e32 v48, v89, v7
	v_add_nc_u32_e32 v27, 5, v29
	v_add_nc_u32_e32 v66, v89, v66
	v_lshlrev_b32_e32 v24, 2, v24
	ds_store_b32 v21, v22
	ds_store_b32 v24, v19
	s_wait_alu 0xfffd
	v_cndmask_b32_e32 v23, v27, v59, vcc_lo
	v_cmp_eq_u32_e32 vcc_lo, 1, v26
	v_sub_nc_u32_e32 v27, v69, v7
	v_sub_nc_u32_e32 v26, v65, v7
	v_and_b32_e32 v24, 1, v58
	v_add_nc_u32_e32 v63, v66, v63
	s_wait_alu 0xfffd
	v_dual_cndmask_b32 v23, v23, v71 :: v_dual_add_nc_u32 v70, v72, v70
	s_delay_alu instid0(VALU_DEP_3) | instskip(SKIP_1) | instid1(VALU_DEP_3)
	v_cmp_eq_u32_e32 vcc_lo, 1, v24
	v_and_b32_e32 v24, 1, v57
	v_lshlrev_b32_e32 v19, 2, v23
	s_delay_alu instid0(VALU_DEP_4) | instskip(SKIP_3) | instid1(VALU_DEP_4)
	v_add_nc_u32_e32 v88, v70, v58
	v_sub_nc_u32_e32 v28, v70, v8
	v_and_b32_e32 v23, 1, v25
	v_add_nc_u32_e32 v62, v63, v62
	v_sub_nc_u32_e32 v29, v88, v8
	s_delay_alu instid0(VALU_DEP_4) | instskip(SKIP_1) | instid1(VALU_DEP_4)
	v_add_nc_u32_e32 v28, v28, v5
	v_add_nc_u32_e32 v68, v88, v68
	;; [unrolled: 1-line block ×3, first 2 shown]
	s_delay_alu instid0(VALU_DEP_4) | instskip(NEXT) | instid1(VALU_DEP_4)
	v_add_nc_u32_e32 v29, v29, v5
	v_add_nc_u32_e32 v30, v27, v28
	s_delay_alu instid0(VALU_DEP_4) | instskip(SKIP_1) | instid1(VALU_DEP_4)
	v_sub_nc_u32_e32 v25, v68, v8
	v_add_nc_u32_e32 v67, v68, v67
	v_add_nc_u32_e32 v21, v26, v29
	s_delay_alu instid0(VALU_DEP_4)
	v_sub_nc_u32_e32 v22, v90, v30
	v_and_b32_e32 v30, 1, v51
	v_add_nc_u32_e32 v25, v25, v5
	v_add_nc_u32_e32 v64, v67, v64
	v_sub_nc_u32_e32 v21, v90, v21
	v_add_nc_u32_e32 v22, 6, v22
	s_delay_alu instid0(VALU_DEP_3) | instskip(SKIP_1) | instid1(VALU_DEP_2)
	v_add_nc_u32_e32 v92, v64, v56
	s_wait_alu 0xfffd
	v_dual_cndmask_b32 v22, v22, v28 :: v_dual_add_nc_u32 v21, 7, v21
	v_cmp_eq_u32_e32 vcc_lo, 1, v30
	v_add_nc_u32_e32 v28, v48, v25
	v_add_nc_u32_e32 v61, v92, v61
	s_wait_alu 0xfffd
	v_cndmask_b32_e32 v21, v21, v29, vcc_lo
	v_cmp_eq_u32_e32 vcc_lo, 1, v23
	v_sub_nc_u32_e32 v23, v90, v28
	s_wait_alu 0xfffd
	v_cndmask_b32_e32 v22, v22, v27, vcc_lo
	v_cmp_eq_u32_e32 vcc_lo, 1, v24
	v_sub_nc_u32_e32 v24, v67, v8
	v_add_nc_u32_e32 v23, 8, v23
	v_sub_nc_u32_e32 v27, v66, v7
	v_lshlrev_b32_e32 v22, 2, v22
	s_wait_alu 0xfffd
	v_dual_cndmask_b32 v21, v21, v26 :: v_dual_add_nc_u32 v24, v24, v5
	v_cmp_eq_u32_e32 vcc_lo, 1, v12
	v_and_b32_e32 v26, 1, v52
	s_delay_alu instid0(VALU_DEP_3)
	v_lshlrev_b32_e32 v21, 2, v21
	ds_store_b32 v19, v20
	ds_store_b32 v22, v17
	;; [unrolled: 1-line block ×3, first 2 shown]
	s_wait_alu 0xfffd
	v_cndmask_b32_e32 v12, v23, v25, vcc_lo
	v_add_nc_u32_e32 v23, v27, v24
	v_cmp_eq_u32_e32 vcc_lo, 1, v26
	v_sub_nc_u32_e32 v18, v64, v8
	v_sub_nc_u32_e32 v19, v63, v7
	;; [unrolled: 1-line block ×4, first 2 shown]
	s_wait_alu 0xfffd
	v_cndmask_b32_e32 v12, v12, v48, vcc_lo
	v_add_nc_u32_e32 v18, v18, v5
	v_cmp_eq_u32_e32 vcc_lo, 1, v10
	v_add_nc_u32_e32 v20, v20, v5
	v_add_nc_u32_e32 v17, 9, v17
	v_lshlrev_b32_e32 v12, 2, v12
	v_add_nc_u32_e32 v21, v19, v18
	v_and_b32_e32 v22, 1, v50
	s_wait_alu 0xfffd
	v_cndmask_b32_e32 v10, v17, v24, vcc_lo
	v_sub_nc_u32_e32 v17, v62, v7
	ds_store_b32 v12, v15
	v_cmp_eq_u32_e32 vcc_lo, 1, v11
	v_sub_nc_u32_e32 v12, v90, v21
	v_and_b32_e32 v15, 1, v56
	v_add_nc_u32_e32 v11, v17, v20
	v_sub_nc_u32_e32 v21, v61, v8
	s_wait_alu 0xfffd
	v_cndmask_b32_e32 v10, v10, v27, vcc_lo
	v_add_nc_u32_e32 v12, 10, v12
	v_cmp_eq_u32_e32 vcc_lo, 1, v15
	v_sub_nc_u32_e32 v11, v90, v11
	v_sub_nc_u32_e32 v7, v78, v7
	v_add_nc_u32_e32 v21, v21, v5
	s_wait_alu 0xfffd
	v_dual_cndmask_b32 v12, v12, v18 :: v_dual_and_b32 v15, 1, v55
	v_add_nc_u32_e32 v11, 11, v11
	v_cmp_eq_u32_e32 vcc_lo, 1, v22
	v_add_nc_u32_e32 v18, v7, v21
	s_wait_alu 0xfffd
	s_delay_alu instid0(VALU_DEP_3)
	v_dual_cndmask_b32 v11, v11, v20 :: v_dual_lshlrev_b32 v10, 2, v10
	v_cmp_eq_u32_e32 vcc_lo, 1, v9
	s_wait_alu 0xfffd
	v_cndmask_b32_e32 v9, v12, v19, vcc_lo
	v_cmp_eq_u32_e32 vcc_lo, 1, v15
	v_sub_nc_u32_e32 v12, v90, v18
	v_and_b32_e32 v15, 1, v53
	s_delay_alu instid0(VALU_DEP_4) | instskip(SKIP_1) | instid1(VALU_DEP_3)
	v_lshlrev_b32_e32 v9, 2, v9
	s_wait_alu 0xfffd
	v_dual_cndmask_b32 v11, v11, v17 :: v_dual_add_nc_u32 v12, 12, v12
	v_and_b32_e32 v17, 1, v54
	v_cmp_eq_u32_e32 vcc_lo, 1, v15
	s_delay_alu instid0(VALU_DEP_3)
	v_lshlrev_b32_e32 v11, 2, v11
	ds_store_b32 v10, v16
	ds_store_b32 v9, v13
	;; [unrolled: 1-line block ×3, first 2 shown]
	s_wait_alu 0xfffd
	v_cndmask_b32_e32 v12, v12, v21, vcc_lo
	v_cmp_eq_u32_e32 vcc_lo, 1, v17
	v_add_co_u32 v9, s0, v6, v87
	s_wait_alu 0xf1ff
	v_add_co_ci_u32_e64 v10, null, 0, 0, s0
	s_wait_alu 0xfffd
	v_cndmask_b32_e32 v7, v12, v7, vcc_lo
	v_add_co_u32 v9, vcc_lo, v9, v46
	s_wait_alu 0xfffd
	v_add_co_ci_u32_e64 v10, null, v10, v47, vcc_lo
	s_delay_alu instid0(VALU_DEP_3)
	v_lshlrev_b32_e32 v7, 2, v7
	v_add_co_u32 v11, s0, s34, v43
	v_add_co_u32 v9, vcc_lo, v9, v1
	s_wait_alu 0xf1ff
	v_add_co_ci_u32_e64 v12, null, s35, 0, s0
	s_wait_alu 0xfffd
	v_add_co_ci_u32_e64 v10, null, v10, v2, vcc_lo
	ds_store_b32 v7, v45
	v_sub_co_u32 v7, vcc_lo, v11, v9
	s_wait_alu 0xfffd
	v_sub_co_ci_u32_e64 v13, null, v12, v10, vcc_lo
	v_lshlrev_b64_e32 v[9:10], 2, v[46:47]
	v_lshlrev_b64_e32 v[11:12], 2, v[1:2]
	v_add_nc_u32_e32 v14, v5, v6
	s_wait_loadcnt_dscnt 0x0
	s_barrier_signal -1
	s_barrier_wait -1
	v_add_co_u32 v9, vcc_lo, s30, v9
	s_wait_alu 0xfffd
	v_add_co_ci_u32_e64 v10, null, s31, v10, vcc_lo
	v_cmp_ne_u32_e32 vcc_lo, 1, v44
	v_add_co_u32 v11, s0, s28, v11
	s_wait_alu 0xf1ff
	v_add_co_ci_u32_e64 v12, null, s29, v12, s0
	s_mov_b32 s0, -1
	global_inv scope:SCOPE_SE
	s_cbranch_vccz .LBB979_154
; %bb.151:
	s_wait_alu 0xfffe
	s_and_b32 vcc_lo, exec_lo, s0
	s_wait_alu 0xfffe
	s_cbranch_vccnz .LBB979_259
.LBB979_152:
	s_and_b32 s0, s2, s26
	s_wait_alu 0xfffe
	s_and_saveexec_b32 s1, s0
	s_cbranch_execnz .LBB979_377
.LBB979_153:
	s_nop 0
	s_sendmsg sendmsg(MSG_DEALLOC_VGPRS)
	s_endpgm
.LBB979_154:
	s_mov_b32 s0, exec_lo
	v_cmpx_ge_u32_e64 v0, v5
	s_wait_alu 0xfffe
	s_xor_b32 s0, exec_lo, s0
	s_cbranch_execz .LBB979_160
; %bb.155:
	s_mov_b32 s1, exec_lo
	v_cmpx_ge_u32_e64 v0, v14
	s_wait_alu 0xfffe
	s_xor_b32 s1, exec_lo, s1
	s_cbranch_execz .LBB979_157
; %bb.156:
	v_lshlrev_b32_e32 v15, 2, v0
	ds_load_b32 v17, v15
	v_add_co_u32 v15, vcc_lo, v7, v0
	s_wait_alu 0xfffd
	v_add_co_ci_u32_e64 v16, null, 0, v13, vcc_lo
	s_delay_alu instid0(VALU_DEP_1) | instskip(NEXT) | instid1(VALU_DEP_1)
	v_lshlrev_b64_e32 v[15:16], 2, v[15:16]
	v_sub_co_u32 v15, vcc_lo, s14, v15
	s_wait_alu 0xfffd
	s_delay_alu instid0(VALU_DEP_2)
	v_sub_co_ci_u32_e64 v16, null, s15, v16, vcc_lo
	s_wait_dscnt 0x0
	global_store_b32 v[15:16], v17, off offset:-4
.LBB979_157:
	s_wait_alu 0xfffe
	s_and_not1_saveexec_b32 s1, s1
	s_cbranch_execz .LBB979_159
; %bb.158:
	v_lshlrev_b32_e32 v15, 2, v0
	v_readfirstlane_b32 s4, v9
	v_readfirstlane_b32 s5, v10
	ds_load_b32 v16, v15
	s_wait_dscnt 0x0
	global_store_b32 v15, v16, s[4:5]
.LBB979_159:
	s_wait_alu 0xfffe
	s_or_b32 exec_lo, exec_lo, s1
.LBB979_160:
	s_wait_alu 0xfffe
	s_and_not1_saveexec_b32 s0, s0
	s_cbranch_execz .LBB979_162
; %bb.161:
	v_lshlrev_b32_e32 v15, 2, v0
	v_readfirstlane_b32 s4, v11
	v_readfirstlane_b32 s5, v12
	ds_load_b32 v16, v15
	s_wait_dscnt 0x0
	global_store_b32 v15, v16, s[4:5]
.LBB979_162:
	s_wait_alu 0xfffe
	s_or_b32 exec_lo, exec_lo, s0
	s_delay_alu instid0(SALU_CYCLE_1)
	s_mov_b32 s0, exec_lo
	v_cmpx_ge_u32_e64 v42, v5
	s_wait_alu 0xfffe
	s_xor_b32 s0, exec_lo, s0
	s_cbranch_execz .LBB979_168
; %bb.163:
	s_mov_b32 s1, exec_lo
	v_cmpx_ge_u32_e64 v42, v14
	s_wait_alu 0xfffe
	s_xor_b32 s1, exec_lo, s1
	s_cbranch_execz .LBB979_165
; %bb.164:
	v_lshlrev_b32_e32 v15, 2, v0
	ds_load_b32 v17, v15 offset:1024
	v_add_co_u32 v15, vcc_lo, v7, v0
	s_wait_alu 0xfffd
	v_add_co_ci_u32_e64 v16, null, 0, v13, vcc_lo
	s_delay_alu instid0(VALU_DEP_1) | instskip(NEXT) | instid1(VALU_DEP_1)
	v_lshlrev_b64_e32 v[15:16], 2, v[15:16]
	v_sub_co_u32 v15, vcc_lo, s14, v15
	s_wait_alu 0xfffd
	s_delay_alu instid0(VALU_DEP_2)
	v_sub_co_ci_u32_e64 v16, null, s15, v16, vcc_lo
	s_wait_dscnt 0x0
	global_store_b32 v[15:16], v17, off offset:-1028
.LBB979_165:
	s_wait_alu 0xfffe
	s_and_not1_saveexec_b32 s1, s1
	s_cbranch_execz .LBB979_167
; %bb.166:
	v_lshlrev_b32_e32 v15, 2, v0
	v_readfirstlane_b32 s4, v9
	v_readfirstlane_b32 s5, v10
	ds_load_b32 v16, v15 offset:1024
	s_wait_dscnt 0x0
	global_store_b32 v15, v16, s[4:5] offset:1024
.LBB979_167:
	s_wait_alu 0xfffe
	s_or_b32 exec_lo, exec_lo, s1
.LBB979_168:
	s_wait_alu 0xfffe
	s_and_not1_saveexec_b32 s0, s0
	s_cbranch_execz .LBB979_170
; %bb.169:
	v_lshlrev_b32_e32 v15, 2, v0
	v_readfirstlane_b32 s4, v11
	v_readfirstlane_b32 s5, v12
	ds_load_b32 v16, v15 offset:1024
	s_wait_dscnt 0x0
	global_store_b32 v15, v16, s[4:5] offset:1024
.LBB979_170:
	s_wait_alu 0xfffe
	s_or_b32 exec_lo, exec_lo, s0
	s_delay_alu instid0(SALU_CYCLE_1)
	s_mov_b32 s0, exec_lo
	v_cmpx_ge_u32_e64 v41, v5
	s_wait_alu 0xfffe
	s_xor_b32 s0, exec_lo, s0
	s_cbranch_execz .LBB979_176
; %bb.171:
	s_mov_b32 s1, exec_lo
	v_cmpx_ge_u32_e64 v41, v14
	s_wait_alu 0xfffe
	s_xor_b32 s1, exec_lo, s1
	s_cbranch_execz .LBB979_173
; %bb.172:
	v_lshlrev_b32_e32 v15, 2, v0
	ds_load_b32 v17, v15 offset:2048
	v_add_co_u32 v15, vcc_lo, v7, v0
	s_wait_alu 0xfffd
	v_add_co_ci_u32_e64 v16, null, 0, v13, vcc_lo
	s_delay_alu instid0(VALU_DEP_1) | instskip(NEXT) | instid1(VALU_DEP_1)
	v_lshlrev_b64_e32 v[15:16], 2, v[15:16]
	v_sub_co_u32 v15, vcc_lo, s14, v15
	s_wait_alu 0xfffd
	s_delay_alu instid0(VALU_DEP_2)
	v_sub_co_ci_u32_e64 v16, null, s15, v16, vcc_lo
	s_wait_dscnt 0x0
	global_store_b32 v[15:16], v17, off offset:-2052
.LBB979_173:
	s_wait_alu 0xfffe
	s_and_not1_saveexec_b32 s1, s1
	s_cbranch_execz .LBB979_175
; %bb.174:
	v_lshlrev_b32_e32 v15, 2, v0
	v_readfirstlane_b32 s4, v9
	v_readfirstlane_b32 s5, v10
	ds_load_b32 v16, v15 offset:2048
	s_wait_dscnt 0x0
	global_store_b32 v15, v16, s[4:5] offset:2048
.LBB979_175:
	s_wait_alu 0xfffe
	s_or_b32 exec_lo, exec_lo, s1
.LBB979_176:
	s_wait_alu 0xfffe
	s_and_not1_saveexec_b32 s0, s0
	s_cbranch_execz .LBB979_178
; %bb.177:
	v_lshlrev_b32_e32 v15, 2, v0
	v_readfirstlane_b32 s4, v11
	v_readfirstlane_b32 s5, v12
	ds_load_b32 v16, v15 offset:2048
	s_wait_dscnt 0x0
	global_store_b32 v15, v16, s[4:5] offset:2048
.LBB979_178:
	;; [unrolled: 54-line block ×12, first 2 shown]
	s_wait_alu 0xfffe
	s_or_b32 exec_lo, exec_lo, s0
	s_branch .LBB979_152
.LBB979_259:
	s_mov_b32 s0, exec_lo
	v_cmpx_gt_u32_e64 s27, v0
	s_cbranch_execz .LBB979_268
; %bb.260:
	s_mov_b32 s1, exec_lo
	v_cmpx_ge_u32_e64 v0, v5
	s_wait_alu 0xfffe
	s_xor_b32 s1, exec_lo, s1
	s_cbranch_execz .LBB979_266
; %bb.261:
	s_mov_b32 s3, exec_lo
	v_cmpx_ge_u32_e64 v0, v14
	s_wait_alu 0xfffe
	s_xor_b32 s3, exec_lo, s3
	s_cbranch_execz .LBB979_263
; %bb.262:
	v_lshlrev_b32_e32 v15, 2, v0
	ds_load_b32 v17, v15
	v_add_co_u32 v15, vcc_lo, v7, v0
	s_wait_alu 0xfffd
	v_add_co_ci_u32_e64 v16, null, 0, v13, vcc_lo
	s_delay_alu instid0(VALU_DEP_1) | instskip(NEXT) | instid1(VALU_DEP_1)
	v_lshlrev_b64_e32 v[15:16], 2, v[15:16]
	v_sub_co_u32 v15, vcc_lo, s14, v15
	s_wait_alu 0xfffd
	s_delay_alu instid0(VALU_DEP_2)
	v_sub_co_ci_u32_e64 v16, null, s15, v16, vcc_lo
	s_wait_dscnt 0x0
	global_store_b32 v[15:16], v17, off offset:-4
.LBB979_263:
	s_wait_alu 0xfffe
	s_and_not1_saveexec_b32 s3, s3
	s_cbranch_execz .LBB979_265
; %bb.264:
	v_lshlrev_b32_e32 v15, 2, v0
	v_readfirstlane_b32 s4, v9
	v_readfirstlane_b32 s5, v10
	ds_load_b32 v16, v15
	s_wait_dscnt 0x0
	global_store_b32 v15, v16, s[4:5]
.LBB979_265:
	s_wait_alu 0xfffe
	s_or_b32 exec_lo, exec_lo, s3
.LBB979_266:
	s_wait_alu 0xfffe
	s_and_not1_saveexec_b32 s1, s1
	s_cbranch_execz .LBB979_268
; %bb.267:
	v_lshlrev_b32_e32 v15, 2, v0
	v_readfirstlane_b32 s4, v11
	v_readfirstlane_b32 s5, v12
	ds_load_b32 v16, v15
	s_wait_dscnt 0x0
	global_store_b32 v15, v16, s[4:5]
.LBB979_268:
	s_wait_alu 0xfffe
	s_or_b32 exec_lo, exec_lo, s0
	s_delay_alu instid0(SALU_CYCLE_1)
	s_mov_b32 s0, exec_lo
	v_cmpx_gt_u32_e64 s27, v42
	s_cbranch_execz .LBB979_277
; %bb.269:
	s_mov_b32 s1, exec_lo
	v_cmpx_ge_u32_e64 v42, v5
	s_wait_alu 0xfffe
	s_xor_b32 s1, exec_lo, s1
	s_cbranch_execz .LBB979_275
; %bb.270:
	s_mov_b32 s3, exec_lo
	v_cmpx_ge_u32_e64 v42, v14
	s_wait_alu 0xfffe
	s_xor_b32 s3, exec_lo, s3
	s_cbranch_execz .LBB979_272
; %bb.271:
	v_lshlrev_b32_e32 v15, 2, v0
	ds_load_b32 v17, v15 offset:1024
	v_add_co_u32 v15, vcc_lo, v7, v0
	s_wait_alu 0xfffd
	v_add_co_ci_u32_e64 v16, null, 0, v13, vcc_lo
	s_delay_alu instid0(VALU_DEP_1) | instskip(NEXT) | instid1(VALU_DEP_1)
	v_lshlrev_b64_e32 v[15:16], 2, v[15:16]
	v_sub_co_u32 v15, vcc_lo, s14, v15
	s_wait_alu 0xfffd
	s_delay_alu instid0(VALU_DEP_2)
	v_sub_co_ci_u32_e64 v16, null, s15, v16, vcc_lo
	s_wait_dscnt 0x0
	global_store_b32 v[15:16], v17, off offset:-1028
.LBB979_272:
	s_wait_alu 0xfffe
	s_and_not1_saveexec_b32 s3, s3
	s_cbranch_execz .LBB979_274
; %bb.273:
	v_lshlrev_b32_e32 v15, 2, v0
	v_readfirstlane_b32 s4, v9
	v_readfirstlane_b32 s5, v10
	ds_load_b32 v16, v15 offset:1024
	s_wait_dscnt 0x0
	global_store_b32 v15, v16, s[4:5] offset:1024
.LBB979_274:
	s_wait_alu 0xfffe
	s_or_b32 exec_lo, exec_lo, s3
.LBB979_275:
	s_wait_alu 0xfffe
	s_and_not1_saveexec_b32 s1, s1
	s_cbranch_execz .LBB979_277
; %bb.276:
	v_lshlrev_b32_e32 v15, 2, v0
	v_readfirstlane_b32 s4, v11
	v_readfirstlane_b32 s5, v12
	ds_load_b32 v16, v15 offset:1024
	s_wait_dscnt 0x0
	global_store_b32 v15, v16, s[4:5] offset:1024
.LBB979_277:
	s_wait_alu 0xfffe
	s_or_b32 exec_lo, exec_lo, s0
	s_delay_alu instid0(SALU_CYCLE_1)
	s_mov_b32 s0, exec_lo
	v_cmpx_gt_u32_e64 s27, v41
	s_cbranch_execz .LBB979_286
; %bb.278:
	s_mov_b32 s1, exec_lo
	v_cmpx_ge_u32_e64 v41, v5
	s_wait_alu 0xfffe
	s_xor_b32 s1, exec_lo, s1
	s_cbranch_execz .LBB979_284
; %bb.279:
	s_mov_b32 s3, exec_lo
	v_cmpx_ge_u32_e64 v41, v14
	s_wait_alu 0xfffe
	s_xor_b32 s3, exec_lo, s3
	s_cbranch_execz .LBB979_281
; %bb.280:
	v_lshlrev_b32_e32 v15, 2, v0
	ds_load_b32 v17, v15 offset:2048
	v_add_co_u32 v15, vcc_lo, v7, v0
	s_wait_alu 0xfffd
	v_add_co_ci_u32_e64 v16, null, 0, v13, vcc_lo
	s_delay_alu instid0(VALU_DEP_1) | instskip(NEXT) | instid1(VALU_DEP_1)
	v_lshlrev_b64_e32 v[15:16], 2, v[15:16]
	v_sub_co_u32 v15, vcc_lo, s14, v15
	s_wait_alu 0xfffd
	s_delay_alu instid0(VALU_DEP_2)
	v_sub_co_ci_u32_e64 v16, null, s15, v16, vcc_lo
	s_wait_dscnt 0x0
	global_store_b32 v[15:16], v17, off offset:-2052
.LBB979_281:
	s_wait_alu 0xfffe
	s_and_not1_saveexec_b32 s3, s3
	s_cbranch_execz .LBB979_283
; %bb.282:
	v_lshlrev_b32_e32 v15, 2, v0
	v_readfirstlane_b32 s4, v9
	v_readfirstlane_b32 s5, v10
	ds_load_b32 v16, v15 offset:2048
	s_wait_dscnt 0x0
	global_store_b32 v15, v16, s[4:5] offset:2048
.LBB979_283:
	s_wait_alu 0xfffe
	s_or_b32 exec_lo, exec_lo, s3
.LBB979_284:
	s_wait_alu 0xfffe
	s_and_not1_saveexec_b32 s1, s1
	s_cbranch_execz .LBB979_286
; %bb.285:
	v_lshlrev_b32_e32 v15, 2, v0
	v_readfirstlane_b32 s4, v11
	v_readfirstlane_b32 s5, v12
	ds_load_b32 v16, v15 offset:2048
	s_wait_dscnt 0x0
	global_store_b32 v15, v16, s[4:5] offset:2048
.LBB979_286:
	;; [unrolled: 58-line block ×11, first 2 shown]
	s_wait_alu 0xfffe
	s_or_b32 exec_lo, exec_lo, s0
	s_delay_alu instid0(SALU_CYCLE_1)
	s_mov_b32 s0, exec_lo
	v_cmpx_gt_u32_e64 s27, v31
	s_cbranch_execz .LBB979_376
; %bb.368:
	s_mov_b32 s1, exec_lo
	v_cmpx_ge_u32_e64 v31, v5
	s_wait_alu 0xfffe
	s_xor_b32 s1, exec_lo, s1
	s_cbranch_execz .LBB979_374
; %bb.369:
	s_mov_b32 s3, exec_lo
	v_cmpx_ge_u32_e64 v31, v14
	s_wait_alu 0xfffe
	s_xor_b32 s3, exec_lo, s3
	s_cbranch_execz .LBB979_371
; %bb.370:
	v_lshlrev_b32_e32 v9, 2, v0
	ds_load_b32 v11, v9 offset:12288
	v_add_co_u32 v9, vcc_lo, v7, v0
	s_wait_alu 0xfffd
	v_add_co_ci_u32_e64 v10, null, 0, v13, vcc_lo
                                        ; implicit-def: $vgpr0
	s_delay_alu instid0(VALU_DEP_1) | instskip(NEXT) | instid1(VALU_DEP_1)
	v_lshlrev_b64_e32 v[9:10], 2, v[9:10]
	v_sub_co_u32 v9, vcc_lo, s14, v9
	s_wait_alu 0xfffd
	s_delay_alu instid0(VALU_DEP_2)
	v_sub_co_ci_u32_e64 v10, null, s15, v10, vcc_lo
	s_wait_dscnt 0x0
	global_store_b32 v[9:10], v11, off offset:-12292
                                        ; implicit-def: $vgpr9_vgpr10
.LBB979_371:
	s_wait_alu 0xfffe
	s_and_not1_saveexec_b32 s3, s3
	s_cbranch_execz .LBB979_373
; %bb.372:
	v_lshlrev_b32_e32 v0, 2, v0
	v_readfirstlane_b32 s4, v9
	v_readfirstlane_b32 s5, v10
	ds_load_b32 v7, v0 offset:12288
	s_wait_dscnt 0x0
	global_store_b32 v0, v7, s[4:5] offset:12288
.LBB979_373:
	s_wait_alu 0xfffe
	s_or_b32 exec_lo, exec_lo, s3
                                        ; implicit-def: $vgpr0
                                        ; implicit-def: $vgpr11_vgpr12
.LBB979_374:
	s_wait_alu 0xfffe
	s_and_not1_saveexec_b32 s1, s1
	s_cbranch_execz .LBB979_376
; %bb.375:
	v_lshlrev_b32_e32 v0, 2, v0
	v_readfirstlane_b32 s4, v11
	v_readfirstlane_b32 s5, v12
	ds_load_b32 v7, v0 offset:12288
	s_wait_dscnt 0x0
	global_store_b32 v0, v7, s[4:5] offset:12288
.LBB979_376:
	s_wait_alu 0xfffe
	s_or_b32 exec_lo, exec_lo, s0
	s_and_b32 s0, s2, s26
	s_wait_alu 0xfffe
	s_and_saveexec_b32 s1, s0
	s_cbranch_execz .LBB979_153
.LBB979_377:
	v_add_co_u32 v0, vcc_lo, v3, v6
	s_wait_alu 0xfffd
	v_add_co_ci_u32_e64 v4, null, 0, v4, vcc_lo
	v_mov_b32_e32 v6, 0
	s_delay_alu instid0(VALU_DEP_3) | instskip(SKIP_1) | instid1(VALU_DEP_3)
	v_add_co_u32 v3, vcc_lo, v0, v8
	s_wait_alu 0xfffd
	v_add_co_ci_u32_e64 v4, null, 0, v4, vcc_lo
	v_add_co_u32 v1, vcc_lo, v1, v5
	s_wait_alu 0xfffd
	v_add_co_ci_u32_e64 v2, null, 0, v2, vcc_lo
	global_store_b128 v6, v[1:4], s[24:25]
	s_nop 0
	s_sendmsg sendmsg(MSG_DEALLOC_VGPRS)
	s_endpgm
.LBB979_378:
	s_add_co_i32 s6, s33, 32
	s_mov_b32 s7, 0
	v_dual_mov_b32 v11, 2 :: v_dual_add_nc_u32 v10, v8, v6
	s_wait_alu 0xfffe
	s_lshl_b64 s[6:7], s[6:7], 4
	v_dual_mov_b32 v12, 0 :: v_dual_add_nc_u32 v9, v7, v5
	s_wait_alu 0xfffe
	s_add_nc_u64 s[6:7], s[36:37], s[6:7]
	s_wait_alu 0xfffe
	v_dual_mov_b32 v28, s7 :: v_dual_mov_b32 v27, s6
	;;#ASMSTART
	global_store_b128 v[27:28], v[9:12] off scope:SCOPE_DEV	
s_wait_storecnt 0x0
	;;#ASMEND
	s_or_b32 exec_lo, exec_lo, s5
	s_and_saveexec_b32 s5, s3
	s_cbranch_execz .LBB979_138
.LBB979_379:
	v_mov_b32_e32 v9, 0
	ds_store_b128 v9, v[5:8] offset:13312
	s_wait_alu 0xfffe
	s_or_b32 exec_lo, exec_lo, s5
	s_delay_alu instid0(SALU_CYCLE_1)
	s_and_b32 exec_lo, exec_lo, s2
	s_cbranch_execnz .LBB979_139
	s_branch .LBB979_140
	.section	.rodata,"a",@progbits
	.p2align	6, 0x0
	.amdhsa_kernel _ZN7rocprim17ROCPRIM_400000_NS6detail17trampoline_kernelINS0_13select_configILj256ELj13ELNS0_17block_load_methodE3ELS4_3ELS4_3ELNS0_20block_scan_algorithmE0ELj4294967295EEENS1_25partition_config_selectorILNS1_17partition_subalgoE4EjNS0_10empty_typeEbEEZZNS1_14partition_implILS8_4ELb0ES6_15HIP_vector_typeIjLj2EENS0_17counting_iteratorIjlEEPS9_SG_NS0_5tupleIJPjSI_NS0_16reverse_iteratorISI_EEEEENSH_IJSG_SG_SG_EEES9_SI_JZNS1_25segmented_radix_sort_implINS0_14default_configELb0EPKsPsPKlPlN2at6native12_GLOBAL__N_18offset_tEEE10hipError_tPvRmT1_PNSt15iterator_traitsIS12_E10value_typeET2_T3_PNS13_IS18_E10value_typeET4_jRbjT5_S1E_jjP12ihipStream_tbEUljE_ZNSN_ISO_Lb0ESQ_SR_ST_SU_SY_EESZ_S10_S11_S12_S16_S17_S18_S1B_S1C_jS1D_jS1E_S1E_jjS1G_bEUljE0_EEESZ_S10_S11_S18_S1C_S1E_T6_T7_T9_mT8_S1G_bDpT10_ENKUlT_T0_E_clISt17integral_constantIbLb0EES1T_IbLb1EEEEDaS1P_S1Q_EUlS1P_E_NS1_11comp_targetILNS1_3genE10ELNS1_11target_archE1200ELNS1_3gpuE4ELNS1_3repE0EEENS1_30default_config_static_selectorELNS0_4arch9wavefront6targetE0EEEvS12_
		.amdhsa_group_segment_fixed_size 13328
		.amdhsa_private_segment_fixed_size 0
		.amdhsa_kernarg_size 184
		.amdhsa_user_sgpr_count 2
		.amdhsa_user_sgpr_dispatch_ptr 0
		.amdhsa_user_sgpr_queue_ptr 0
		.amdhsa_user_sgpr_kernarg_segment_ptr 1
		.amdhsa_user_sgpr_dispatch_id 0
		.amdhsa_user_sgpr_private_segment_size 0
		.amdhsa_wavefront_size32 1
		.amdhsa_uses_dynamic_stack 0
		.amdhsa_enable_private_segment 0
		.amdhsa_system_sgpr_workgroup_id_x 1
		.amdhsa_system_sgpr_workgroup_id_y 0
		.amdhsa_system_sgpr_workgroup_id_z 0
		.amdhsa_system_sgpr_workgroup_info 0
		.amdhsa_system_vgpr_workitem_id 0
		.amdhsa_next_free_vgpr 98
		.amdhsa_next_free_sgpr 55
		.amdhsa_reserve_vcc 1
		.amdhsa_float_round_mode_32 0
		.amdhsa_float_round_mode_16_64 0
		.amdhsa_float_denorm_mode_32 3
		.amdhsa_float_denorm_mode_16_64 3
		.amdhsa_fp16_overflow 0
		.amdhsa_workgroup_processor_mode 1
		.amdhsa_memory_ordered 1
		.amdhsa_forward_progress 1
		.amdhsa_inst_pref_size 151
		.amdhsa_round_robin_scheduling 0
		.amdhsa_exception_fp_ieee_invalid_op 0
		.amdhsa_exception_fp_denorm_src 0
		.amdhsa_exception_fp_ieee_div_zero 0
		.amdhsa_exception_fp_ieee_overflow 0
		.amdhsa_exception_fp_ieee_underflow 0
		.amdhsa_exception_fp_ieee_inexact 0
		.amdhsa_exception_int_div_zero 0
	.end_amdhsa_kernel
	.section	.text._ZN7rocprim17ROCPRIM_400000_NS6detail17trampoline_kernelINS0_13select_configILj256ELj13ELNS0_17block_load_methodE3ELS4_3ELS4_3ELNS0_20block_scan_algorithmE0ELj4294967295EEENS1_25partition_config_selectorILNS1_17partition_subalgoE4EjNS0_10empty_typeEbEEZZNS1_14partition_implILS8_4ELb0ES6_15HIP_vector_typeIjLj2EENS0_17counting_iteratorIjlEEPS9_SG_NS0_5tupleIJPjSI_NS0_16reverse_iteratorISI_EEEEENSH_IJSG_SG_SG_EEES9_SI_JZNS1_25segmented_radix_sort_implINS0_14default_configELb0EPKsPsPKlPlN2at6native12_GLOBAL__N_18offset_tEEE10hipError_tPvRmT1_PNSt15iterator_traitsIS12_E10value_typeET2_T3_PNS13_IS18_E10value_typeET4_jRbjT5_S1E_jjP12ihipStream_tbEUljE_ZNSN_ISO_Lb0ESQ_SR_ST_SU_SY_EESZ_S10_S11_S12_S16_S17_S18_S1B_S1C_jS1D_jS1E_S1E_jjS1G_bEUljE0_EEESZ_S10_S11_S18_S1C_S1E_T6_T7_T9_mT8_S1G_bDpT10_ENKUlT_T0_E_clISt17integral_constantIbLb0EES1T_IbLb1EEEEDaS1P_S1Q_EUlS1P_E_NS1_11comp_targetILNS1_3genE10ELNS1_11target_archE1200ELNS1_3gpuE4ELNS1_3repE0EEENS1_30default_config_static_selectorELNS0_4arch9wavefront6targetE0EEEvS12_,"axG",@progbits,_ZN7rocprim17ROCPRIM_400000_NS6detail17trampoline_kernelINS0_13select_configILj256ELj13ELNS0_17block_load_methodE3ELS4_3ELS4_3ELNS0_20block_scan_algorithmE0ELj4294967295EEENS1_25partition_config_selectorILNS1_17partition_subalgoE4EjNS0_10empty_typeEbEEZZNS1_14partition_implILS8_4ELb0ES6_15HIP_vector_typeIjLj2EENS0_17counting_iteratorIjlEEPS9_SG_NS0_5tupleIJPjSI_NS0_16reverse_iteratorISI_EEEEENSH_IJSG_SG_SG_EEES9_SI_JZNS1_25segmented_radix_sort_implINS0_14default_configELb0EPKsPsPKlPlN2at6native12_GLOBAL__N_18offset_tEEE10hipError_tPvRmT1_PNSt15iterator_traitsIS12_E10value_typeET2_T3_PNS13_IS18_E10value_typeET4_jRbjT5_S1E_jjP12ihipStream_tbEUljE_ZNSN_ISO_Lb0ESQ_SR_ST_SU_SY_EESZ_S10_S11_S12_S16_S17_S18_S1B_S1C_jS1D_jS1E_S1E_jjS1G_bEUljE0_EEESZ_S10_S11_S18_S1C_S1E_T6_T7_T9_mT8_S1G_bDpT10_ENKUlT_T0_E_clISt17integral_constantIbLb0EES1T_IbLb1EEEEDaS1P_S1Q_EUlS1P_E_NS1_11comp_targetILNS1_3genE10ELNS1_11target_archE1200ELNS1_3gpuE4ELNS1_3repE0EEENS1_30default_config_static_selectorELNS0_4arch9wavefront6targetE0EEEvS12_,comdat
.Lfunc_end979:
	.size	_ZN7rocprim17ROCPRIM_400000_NS6detail17trampoline_kernelINS0_13select_configILj256ELj13ELNS0_17block_load_methodE3ELS4_3ELS4_3ELNS0_20block_scan_algorithmE0ELj4294967295EEENS1_25partition_config_selectorILNS1_17partition_subalgoE4EjNS0_10empty_typeEbEEZZNS1_14partition_implILS8_4ELb0ES6_15HIP_vector_typeIjLj2EENS0_17counting_iteratorIjlEEPS9_SG_NS0_5tupleIJPjSI_NS0_16reverse_iteratorISI_EEEEENSH_IJSG_SG_SG_EEES9_SI_JZNS1_25segmented_radix_sort_implINS0_14default_configELb0EPKsPsPKlPlN2at6native12_GLOBAL__N_18offset_tEEE10hipError_tPvRmT1_PNSt15iterator_traitsIS12_E10value_typeET2_T3_PNS13_IS18_E10value_typeET4_jRbjT5_S1E_jjP12ihipStream_tbEUljE_ZNSN_ISO_Lb0ESQ_SR_ST_SU_SY_EESZ_S10_S11_S12_S16_S17_S18_S1B_S1C_jS1D_jS1E_S1E_jjS1G_bEUljE0_EEESZ_S10_S11_S18_S1C_S1E_T6_T7_T9_mT8_S1G_bDpT10_ENKUlT_T0_E_clISt17integral_constantIbLb0EES1T_IbLb1EEEEDaS1P_S1Q_EUlS1P_E_NS1_11comp_targetILNS1_3genE10ELNS1_11target_archE1200ELNS1_3gpuE4ELNS1_3repE0EEENS1_30default_config_static_selectorELNS0_4arch9wavefront6targetE0EEEvS12_, .Lfunc_end979-_ZN7rocprim17ROCPRIM_400000_NS6detail17trampoline_kernelINS0_13select_configILj256ELj13ELNS0_17block_load_methodE3ELS4_3ELS4_3ELNS0_20block_scan_algorithmE0ELj4294967295EEENS1_25partition_config_selectorILNS1_17partition_subalgoE4EjNS0_10empty_typeEbEEZZNS1_14partition_implILS8_4ELb0ES6_15HIP_vector_typeIjLj2EENS0_17counting_iteratorIjlEEPS9_SG_NS0_5tupleIJPjSI_NS0_16reverse_iteratorISI_EEEEENSH_IJSG_SG_SG_EEES9_SI_JZNS1_25segmented_radix_sort_implINS0_14default_configELb0EPKsPsPKlPlN2at6native12_GLOBAL__N_18offset_tEEE10hipError_tPvRmT1_PNSt15iterator_traitsIS12_E10value_typeET2_T3_PNS13_IS18_E10value_typeET4_jRbjT5_S1E_jjP12ihipStream_tbEUljE_ZNSN_ISO_Lb0ESQ_SR_ST_SU_SY_EESZ_S10_S11_S12_S16_S17_S18_S1B_S1C_jS1D_jS1E_S1E_jjS1G_bEUljE0_EEESZ_S10_S11_S18_S1C_S1E_T6_T7_T9_mT8_S1G_bDpT10_ENKUlT_T0_E_clISt17integral_constantIbLb0EES1T_IbLb1EEEEDaS1P_S1Q_EUlS1P_E_NS1_11comp_targetILNS1_3genE10ELNS1_11target_archE1200ELNS1_3gpuE4ELNS1_3repE0EEENS1_30default_config_static_selectorELNS0_4arch9wavefront6targetE0EEEvS12_
                                        ; -- End function
	.set _ZN7rocprim17ROCPRIM_400000_NS6detail17trampoline_kernelINS0_13select_configILj256ELj13ELNS0_17block_load_methodE3ELS4_3ELS4_3ELNS0_20block_scan_algorithmE0ELj4294967295EEENS1_25partition_config_selectorILNS1_17partition_subalgoE4EjNS0_10empty_typeEbEEZZNS1_14partition_implILS8_4ELb0ES6_15HIP_vector_typeIjLj2EENS0_17counting_iteratorIjlEEPS9_SG_NS0_5tupleIJPjSI_NS0_16reverse_iteratorISI_EEEEENSH_IJSG_SG_SG_EEES9_SI_JZNS1_25segmented_radix_sort_implINS0_14default_configELb0EPKsPsPKlPlN2at6native12_GLOBAL__N_18offset_tEEE10hipError_tPvRmT1_PNSt15iterator_traitsIS12_E10value_typeET2_T3_PNS13_IS18_E10value_typeET4_jRbjT5_S1E_jjP12ihipStream_tbEUljE_ZNSN_ISO_Lb0ESQ_SR_ST_SU_SY_EESZ_S10_S11_S12_S16_S17_S18_S1B_S1C_jS1D_jS1E_S1E_jjS1G_bEUljE0_EEESZ_S10_S11_S18_S1C_S1E_T6_T7_T9_mT8_S1G_bDpT10_ENKUlT_T0_E_clISt17integral_constantIbLb0EES1T_IbLb1EEEEDaS1P_S1Q_EUlS1P_E_NS1_11comp_targetILNS1_3genE10ELNS1_11target_archE1200ELNS1_3gpuE4ELNS1_3repE0EEENS1_30default_config_static_selectorELNS0_4arch9wavefront6targetE0EEEvS12_.num_vgpr, 98
	.set _ZN7rocprim17ROCPRIM_400000_NS6detail17trampoline_kernelINS0_13select_configILj256ELj13ELNS0_17block_load_methodE3ELS4_3ELS4_3ELNS0_20block_scan_algorithmE0ELj4294967295EEENS1_25partition_config_selectorILNS1_17partition_subalgoE4EjNS0_10empty_typeEbEEZZNS1_14partition_implILS8_4ELb0ES6_15HIP_vector_typeIjLj2EENS0_17counting_iteratorIjlEEPS9_SG_NS0_5tupleIJPjSI_NS0_16reverse_iteratorISI_EEEEENSH_IJSG_SG_SG_EEES9_SI_JZNS1_25segmented_radix_sort_implINS0_14default_configELb0EPKsPsPKlPlN2at6native12_GLOBAL__N_18offset_tEEE10hipError_tPvRmT1_PNSt15iterator_traitsIS12_E10value_typeET2_T3_PNS13_IS18_E10value_typeET4_jRbjT5_S1E_jjP12ihipStream_tbEUljE_ZNSN_ISO_Lb0ESQ_SR_ST_SU_SY_EESZ_S10_S11_S12_S16_S17_S18_S1B_S1C_jS1D_jS1E_S1E_jjS1G_bEUljE0_EEESZ_S10_S11_S18_S1C_S1E_T6_T7_T9_mT8_S1G_bDpT10_ENKUlT_T0_E_clISt17integral_constantIbLb0EES1T_IbLb1EEEEDaS1P_S1Q_EUlS1P_E_NS1_11comp_targetILNS1_3genE10ELNS1_11target_archE1200ELNS1_3gpuE4ELNS1_3repE0EEENS1_30default_config_static_selectorELNS0_4arch9wavefront6targetE0EEEvS12_.num_agpr, 0
	.set _ZN7rocprim17ROCPRIM_400000_NS6detail17trampoline_kernelINS0_13select_configILj256ELj13ELNS0_17block_load_methodE3ELS4_3ELS4_3ELNS0_20block_scan_algorithmE0ELj4294967295EEENS1_25partition_config_selectorILNS1_17partition_subalgoE4EjNS0_10empty_typeEbEEZZNS1_14partition_implILS8_4ELb0ES6_15HIP_vector_typeIjLj2EENS0_17counting_iteratorIjlEEPS9_SG_NS0_5tupleIJPjSI_NS0_16reverse_iteratorISI_EEEEENSH_IJSG_SG_SG_EEES9_SI_JZNS1_25segmented_radix_sort_implINS0_14default_configELb0EPKsPsPKlPlN2at6native12_GLOBAL__N_18offset_tEEE10hipError_tPvRmT1_PNSt15iterator_traitsIS12_E10value_typeET2_T3_PNS13_IS18_E10value_typeET4_jRbjT5_S1E_jjP12ihipStream_tbEUljE_ZNSN_ISO_Lb0ESQ_SR_ST_SU_SY_EESZ_S10_S11_S12_S16_S17_S18_S1B_S1C_jS1D_jS1E_S1E_jjS1G_bEUljE0_EEESZ_S10_S11_S18_S1C_S1E_T6_T7_T9_mT8_S1G_bDpT10_ENKUlT_T0_E_clISt17integral_constantIbLb0EES1T_IbLb1EEEEDaS1P_S1Q_EUlS1P_E_NS1_11comp_targetILNS1_3genE10ELNS1_11target_archE1200ELNS1_3gpuE4ELNS1_3repE0EEENS1_30default_config_static_selectorELNS0_4arch9wavefront6targetE0EEEvS12_.numbered_sgpr, 55
	.set _ZN7rocprim17ROCPRIM_400000_NS6detail17trampoline_kernelINS0_13select_configILj256ELj13ELNS0_17block_load_methodE3ELS4_3ELS4_3ELNS0_20block_scan_algorithmE0ELj4294967295EEENS1_25partition_config_selectorILNS1_17partition_subalgoE4EjNS0_10empty_typeEbEEZZNS1_14partition_implILS8_4ELb0ES6_15HIP_vector_typeIjLj2EENS0_17counting_iteratorIjlEEPS9_SG_NS0_5tupleIJPjSI_NS0_16reverse_iteratorISI_EEEEENSH_IJSG_SG_SG_EEES9_SI_JZNS1_25segmented_radix_sort_implINS0_14default_configELb0EPKsPsPKlPlN2at6native12_GLOBAL__N_18offset_tEEE10hipError_tPvRmT1_PNSt15iterator_traitsIS12_E10value_typeET2_T3_PNS13_IS18_E10value_typeET4_jRbjT5_S1E_jjP12ihipStream_tbEUljE_ZNSN_ISO_Lb0ESQ_SR_ST_SU_SY_EESZ_S10_S11_S12_S16_S17_S18_S1B_S1C_jS1D_jS1E_S1E_jjS1G_bEUljE0_EEESZ_S10_S11_S18_S1C_S1E_T6_T7_T9_mT8_S1G_bDpT10_ENKUlT_T0_E_clISt17integral_constantIbLb0EES1T_IbLb1EEEEDaS1P_S1Q_EUlS1P_E_NS1_11comp_targetILNS1_3genE10ELNS1_11target_archE1200ELNS1_3gpuE4ELNS1_3repE0EEENS1_30default_config_static_selectorELNS0_4arch9wavefront6targetE0EEEvS12_.num_named_barrier, 0
	.set _ZN7rocprim17ROCPRIM_400000_NS6detail17trampoline_kernelINS0_13select_configILj256ELj13ELNS0_17block_load_methodE3ELS4_3ELS4_3ELNS0_20block_scan_algorithmE0ELj4294967295EEENS1_25partition_config_selectorILNS1_17partition_subalgoE4EjNS0_10empty_typeEbEEZZNS1_14partition_implILS8_4ELb0ES6_15HIP_vector_typeIjLj2EENS0_17counting_iteratorIjlEEPS9_SG_NS0_5tupleIJPjSI_NS0_16reverse_iteratorISI_EEEEENSH_IJSG_SG_SG_EEES9_SI_JZNS1_25segmented_radix_sort_implINS0_14default_configELb0EPKsPsPKlPlN2at6native12_GLOBAL__N_18offset_tEEE10hipError_tPvRmT1_PNSt15iterator_traitsIS12_E10value_typeET2_T3_PNS13_IS18_E10value_typeET4_jRbjT5_S1E_jjP12ihipStream_tbEUljE_ZNSN_ISO_Lb0ESQ_SR_ST_SU_SY_EESZ_S10_S11_S12_S16_S17_S18_S1B_S1C_jS1D_jS1E_S1E_jjS1G_bEUljE0_EEESZ_S10_S11_S18_S1C_S1E_T6_T7_T9_mT8_S1G_bDpT10_ENKUlT_T0_E_clISt17integral_constantIbLb0EES1T_IbLb1EEEEDaS1P_S1Q_EUlS1P_E_NS1_11comp_targetILNS1_3genE10ELNS1_11target_archE1200ELNS1_3gpuE4ELNS1_3repE0EEENS1_30default_config_static_selectorELNS0_4arch9wavefront6targetE0EEEvS12_.private_seg_size, 0
	.set _ZN7rocprim17ROCPRIM_400000_NS6detail17trampoline_kernelINS0_13select_configILj256ELj13ELNS0_17block_load_methodE3ELS4_3ELS4_3ELNS0_20block_scan_algorithmE0ELj4294967295EEENS1_25partition_config_selectorILNS1_17partition_subalgoE4EjNS0_10empty_typeEbEEZZNS1_14partition_implILS8_4ELb0ES6_15HIP_vector_typeIjLj2EENS0_17counting_iteratorIjlEEPS9_SG_NS0_5tupleIJPjSI_NS0_16reverse_iteratorISI_EEEEENSH_IJSG_SG_SG_EEES9_SI_JZNS1_25segmented_radix_sort_implINS0_14default_configELb0EPKsPsPKlPlN2at6native12_GLOBAL__N_18offset_tEEE10hipError_tPvRmT1_PNSt15iterator_traitsIS12_E10value_typeET2_T3_PNS13_IS18_E10value_typeET4_jRbjT5_S1E_jjP12ihipStream_tbEUljE_ZNSN_ISO_Lb0ESQ_SR_ST_SU_SY_EESZ_S10_S11_S12_S16_S17_S18_S1B_S1C_jS1D_jS1E_S1E_jjS1G_bEUljE0_EEESZ_S10_S11_S18_S1C_S1E_T6_T7_T9_mT8_S1G_bDpT10_ENKUlT_T0_E_clISt17integral_constantIbLb0EES1T_IbLb1EEEEDaS1P_S1Q_EUlS1P_E_NS1_11comp_targetILNS1_3genE10ELNS1_11target_archE1200ELNS1_3gpuE4ELNS1_3repE0EEENS1_30default_config_static_selectorELNS0_4arch9wavefront6targetE0EEEvS12_.uses_vcc, 1
	.set _ZN7rocprim17ROCPRIM_400000_NS6detail17trampoline_kernelINS0_13select_configILj256ELj13ELNS0_17block_load_methodE3ELS4_3ELS4_3ELNS0_20block_scan_algorithmE0ELj4294967295EEENS1_25partition_config_selectorILNS1_17partition_subalgoE4EjNS0_10empty_typeEbEEZZNS1_14partition_implILS8_4ELb0ES6_15HIP_vector_typeIjLj2EENS0_17counting_iteratorIjlEEPS9_SG_NS0_5tupleIJPjSI_NS0_16reverse_iteratorISI_EEEEENSH_IJSG_SG_SG_EEES9_SI_JZNS1_25segmented_radix_sort_implINS0_14default_configELb0EPKsPsPKlPlN2at6native12_GLOBAL__N_18offset_tEEE10hipError_tPvRmT1_PNSt15iterator_traitsIS12_E10value_typeET2_T3_PNS13_IS18_E10value_typeET4_jRbjT5_S1E_jjP12ihipStream_tbEUljE_ZNSN_ISO_Lb0ESQ_SR_ST_SU_SY_EESZ_S10_S11_S12_S16_S17_S18_S1B_S1C_jS1D_jS1E_S1E_jjS1G_bEUljE0_EEESZ_S10_S11_S18_S1C_S1E_T6_T7_T9_mT8_S1G_bDpT10_ENKUlT_T0_E_clISt17integral_constantIbLb0EES1T_IbLb1EEEEDaS1P_S1Q_EUlS1P_E_NS1_11comp_targetILNS1_3genE10ELNS1_11target_archE1200ELNS1_3gpuE4ELNS1_3repE0EEENS1_30default_config_static_selectorELNS0_4arch9wavefront6targetE0EEEvS12_.uses_flat_scratch, 0
	.set _ZN7rocprim17ROCPRIM_400000_NS6detail17trampoline_kernelINS0_13select_configILj256ELj13ELNS0_17block_load_methodE3ELS4_3ELS4_3ELNS0_20block_scan_algorithmE0ELj4294967295EEENS1_25partition_config_selectorILNS1_17partition_subalgoE4EjNS0_10empty_typeEbEEZZNS1_14partition_implILS8_4ELb0ES6_15HIP_vector_typeIjLj2EENS0_17counting_iteratorIjlEEPS9_SG_NS0_5tupleIJPjSI_NS0_16reverse_iteratorISI_EEEEENSH_IJSG_SG_SG_EEES9_SI_JZNS1_25segmented_radix_sort_implINS0_14default_configELb0EPKsPsPKlPlN2at6native12_GLOBAL__N_18offset_tEEE10hipError_tPvRmT1_PNSt15iterator_traitsIS12_E10value_typeET2_T3_PNS13_IS18_E10value_typeET4_jRbjT5_S1E_jjP12ihipStream_tbEUljE_ZNSN_ISO_Lb0ESQ_SR_ST_SU_SY_EESZ_S10_S11_S12_S16_S17_S18_S1B_S1C_jS1D_jS1E_S1E_jjS1G_bEUljE0_EEESZ_S10_S11_S18_S1C_S1E_T6_T7_T9_mT8_S1G_bDpT10_ENKUlT_T0_E_clISt17integral_constantIbLb0EES1T_IbLb1EEEEDaS1P_S1Q_EUlS1P_E_NS1_11comp_targetILNS1_3genE10ELNS1_11target_archE1200ELNS1_3gpuE4ELNS1_3repE0EEENS1_30default_config_static_selectorELNS0_4arch9wavefront6targetE0EEEvS12_.has_dyn_sized_stack, 0
	.set _ZN7rocprim17ROCPRIM_400000_NS6detail17trampoline_kernelINS0_13select_configILj256ELj13ELNS0_17block_load_methodE3ELS4_3ELS4_3ELNS0_20block_scan_algorithmE0ELj4294967295EEENS1_25partition_config_selectorILNS1_17partition_subalgoE4EjNS0_10empty_typeEbEEZZNS1_14partition_implILS8_4ELb0ES6_15HIP_vector_typeIjLj2EENS0_17counting_iteratorIjlEEPS9_SG_NS0_5tupleIJPjSI_NS0_16reverse_iteratorISI_EEEEENSH_IJSG_SG_SG_EEES9_SI_JZNS1_25segmented_radix_sort_implINS0_14default_configELb0EPKsPsPKlPlN2at6native12_GLOBAL__N_18offset_tEEE10hipError_tPvRmT1_PNSt15iterator_traitsIS12_E10value_typeET2_T3_PNS13_IS18_E10value_typeET4_jRbjT5_S1E_jjP12ihipStream_tbEUljE_ZNSN_ISO_Lb0ESQ_SR_ST_SU_SY_EESZ_S10_S11_S12_S16_S17_S18_S1B_S1C_jS1D_jS1E_S1E_jjS1G_bEUljE0_EEESZ_S10_S11_S18_S1C_S1E_T6_T7_T9_mT8_S1G_bDpT10_ENKUlT_T0_E_clISt17integral_constantIbLb0EES1T_IbLb1EEEEDaS1P_S1Q_EUlS1P_E_NS1_11comp_targetILNS1_3genE10ELNS1_11target_archE1200ELNS1_3gpuE4ELNS1_3repE0EEENS1_30default_config_static_selectorELNS0_4arch9wavefront6targetE0EEEvS12_.has_recursion, 0
	.set _ZN7rocprim17ROCPRIM_400000_NS6detail17trampoline_kernelINS0_13select_configILj256ELj13ELNS0_17block_load_methodE3ELS4_3ELS4_3ELNS0_20block_scan_algorithmE0ELj4294967295EEENS1_25partition_config_selectorILNS1_17partition_subalgoE4EjNS0_10empty_typeEbEEZZNS1_14partition_implILS8_4ELb0ES6_15HIP_vector_typeIjLj2EENS0_17counting_iteratorIjlEEPS9_SG_NS0_5tupleIJPjSI_NS0_16reverse_iteratorISI_EEEEENSH_IJSG_SG_SG_EEES9_SI_JZNS1_25segmented_radix_sort_implINS0_14default_configELb0EPKsPsPKlPlN2at6native12_GLOBAL__N_18offset_tEEE10hipError_tPvRmT1_PNSt15iterator_traitsIS12_E10value_typeET2_T3_PNS13_IS18_E10value_typeET4_jRbjT5_S1E_jjP12ihipStream_tbEUljE_ZNSN_ISO_Lb0ESQ_SR_ST_SU_SY_EESZ_S10_S11_S12_S16_S17_S18_S1B_S1C_jS1D_jS1E_S1E_jjS1G_bEUljE0_EEESZ_S10_S11_S18_S1C_S1E_T6_T7_T9_mT8_S1G_bDpT10_ENKUlT_T0_E_clISt17integral_constantIbLb0EES1T_IbLb1EEEEDaS1P_S1Q_EUlS1P_E_NS1_11comp_targetILNS1_3genE10ELNS1_11target_archE1200ELNS1_3gpuE4ELNS1_3repE0EEENS1_30default_config_static_selectorELNS0_4arch9wavefront6targetE0EEEvS12_.has_indirect_call, 0
	.section	.AMDGPU.csdata,"",@progbits
; Kernel info:
; codeLenInByte = 19208
; TotalNumSgprs: 57
; NumVgprs: 98
; ScratchSize: 0
; MemoryBound: 0
; FloatMode: 240
; IeeeMode: 1
; LDSByteSize: 13328 bytes/workgroup (compile time only)
; SGPRBlocks: 0
; VGPRBlocks: 12
; NumSGPRsForWavesPerEU: 57
; NumVGPRsForWavesPerEU: 98
; Occupancy: 12
; WaveLimiterHint : 1
; COMPUTE_PGM_RSRC2:SCRATCH_EN: 0
; COMPUTE_PGM_RSRC2:USER_SGPR: 2
; COMPUTE_PGM_RSRC2:TRAP_HANDLER: 0
; COMPUTE_PGM_RSRC2:TGID_X_EN: 1
; COMPUTE_PGM_RSRC2:TGID_Y_EN: 0
; COMPUTE_PGM_RSRC2:TGID_Z_EN: 0
; COMPUTE_PGM_RSRC2:TIDIG_COMP_CNT: 0
	.section	.text._ZN7rocprim17ROCPRIM_400000_NS6detail17trampoline_kernelINS0_13select_configILj256ELj13ELNS0_17block_load_methodE3ELS4_3ELS4_3ELNS0_20block_scan_algorithmE0ELj4294967295EEENS1_25partition_config_selectorILNS1_17partition_subalgoE4EjNS0_10empty_typeEbEEZZNS1_14partition_implILS8_4ELb0ES6_15HIP_vector_typeIjLj2EENS0_17counting_iteratorIjlEEPS9_SG_NS0_5tupleIJPjSI_NS0_16reverse_iteratorISI_EEEEENSH_IJSG_SG_SG_EEES9_SI_JZNS1_25segmented_radix_sort_implINS0_14default_configELb0EPKsPsPKlPlN2at6native12_GLOBAL__N_18offset_tEEE10hipError_tPvRmT1_PNSt15iterator_traitsIS12_E10value_typeET2_T3_PNS13_IS18_E10value_typeET4_jRbjT5_S1E_jjP12ihipStream_tbEUljE_ZNSN_ISO_Lb0ESQ_SR_ST_SU_SY_EESZ_S10_S11_S12_S16_S17_S18_S1B_S1C_jS1D_jS1E_S1E_jjS1G_bEUljE0_EEESZ_S10_S11_S18_S1C_S1E_T6_T7_T9_mT8_S1G_bDpT10_ENKUlT_T0_E_clISt17integral_constantIbLb0EES1T_IbLb1EEEEDaS1P_S1Q_EUlS1P_E_NS1_11comp_targetILNS1_3genE9ELNS1_11target_archE1100ELNS1_3gpuE3ELNS1_3repE0EEENS1_30default_config_static_selectorELNS0_4arch9wavefront6targetE0EEEvS12_,"axG",@progbits,_ZN7rocprim17ROCPRIM_400000_NS6detail17trampoline_kernelINS0_13select_configILj256ELj13ELNS0_17block_load_methodE3ELS4_3ELS4_3ELNS0_20block_scan_algorithmE0ELj4294967295EEENS1_25partition_config_selectorILNS1_17partition_subalgoE4EjNS0_10empty_typeEbEEZZNS1_14partition_implILS8_4ELb0ES6_15HIP_vector_typeIjLj2EENS0_17counting_iteratorIjlEEPS9_SG_NS0_5tupleIJPjSI_NS0_16reverse_iteratorISI_EEEEENSH_IJSG_SG_SG_EEES9_SI_JZNS1_25segmented_radix_sort_implINS0_14default_configELb0EPKsPsPKlPlN2at6native12_GLOBAL__N_18offset_tEEE10hipError_tPvRmT1_PNSt15iterator_traitsIS12_E10value_typeET2_T3_PNS13_IS18_E10value_typeET4_jRbjT5_S1E_jjP12ihipStream_tbEUljE_ZNSN_ISO_Lb0ESQ_SR_ST_SU_SY_EESZ_S10_S11_S12_S16_S17_S18_S1B_S1C_jS1D_jS1E_S1E_jjS1G_bEUljE0_EEESZ_S10_S11_S18_S1C_S1E_T6_T7_T9_mT8_S1G_bDpT10_ENKUlT_T0_E_clISt17integral_constantIbLb0EES1T_IbLb1EEEEDaS1P_S1Q_EUlS1P_E_NS1_11comp_targetILNS1_3genE9ELNS1_11target_archE1100ELNS1_3gpuE3ELNS1_3repE0EEENS1_30default_config_static_selectorELNS0_4arch9wavefront6targetE0EEEvS12_,comdat
	.globl	_ZN7rocprim17ROCPRIM_400000_NS6detail17trampoline_kernelINS0_13select_configILj256ELj13ELNS0_17block_load_methodE3ELS4_3ELS4_3ELNS0_20block_scan_algorithmE0ELj4294967295EEENS1_25partition_config_selectorILNS1_17partition_subalgoE4EjNS0_10empty_typeEbEEZZNS1_14partition_implILS8_4ELb0ES6_15HIP_vector_typeIjLj2EENS0_17counting_iteratorIjlEEPS9_SG_NS0_5tupleIJPjSI_NS0_16reverse_iteratorISI_EEEEENSH_IJSG_SG_SG_EEES9_SI_JZNS1_25segmented_radix_sort_implINS0_14default_configELb0EPKsPsPKlPlN2at6native12_GLOBAL__N_18offset_tEEE10hipError_tPvRmT1_PNSt15iterator_traitsIS12_E10value_typeET2_T3_PNS13_IS18_E10value_typeET4_jRbjT5_S1E_jjP12ihipStream_tbEUljE_ZNSN_ISO_Lb0ESQ_SR_ST_SU_SY_EESZ_S10_S11_S12_S16_S17_S18_S1B_S1C_jS1D_jS1E_S1E_jjS1G_bEUljE0_EEESZ_S10_S11_S18_S1C_S1E_T6_T7_T9_mT8_S1G_bDpT10_ENKUlT_T0_E_clISt17integral_constantIbLb0EES1T_IbLb1EEEEDaS1P_S1Q_EUlS1P_E_NS1_11comp_targetILNS1_3genE9ELNS1_11target_archE1100ELNS1_3gpuE3ELNS1_3repE0EEENS1_30default_config_static_selectorELNS0_4arch9wavefront6targetE0EEEvS12_ ; -- Begin function _ZN7rocprim17ROCPRIM_400000_NS6detail17trampoline_kernelINS0_13select_configILj256ELj13ELNS0_17block_load_methodE3ELS4_3ELS4_3ELNS0_20block_scan_algorithmE0ELj4294967295EEENS1_25partition_config_selectorILNS1_17partition_subalgoE4EjNS0_10empty_typeEbEEZZNS1_14partition_implILS8_4ELb0ES6_15HIP_vector_typeIjLj2EENS0_17counting_iteratorIjlEEPS9_SG_NS0_5tupleIJPjSI_NS0_16reverse_iteratorISI_EEEEENSH_IJSG_SG_SG_EEES9_SI_JZNS1_25segmented_radix_sort_implINS0_14default_configELb0EPKsPsPKlPlN2at6native12_GLOBAL__N_18offset_tEEE10hipError_tPvRmT1_PNSt15iterator_traitsIS12_E10value_typeET2_T3_PNS13_IS18_E10value_typeET4_jRbjT5_S1E_jjP12ihipStream_tbEUljE_ZNSN_ISO_Lb0ESQ_SR_ST_SU_SY_EESZ_S10_S11_S12_S16_S17_S18_S1B_S1C_jS1D_jS1E_S1E_jjS1G_bEUljE0_EEESZ_S10_S11_S18_S1C_S1E_T6_T7_T9_mT8_S1G_bDpT10_ENKUlT_T0_E_clISt17integral_constantIbLb0EES1T_IbLb1EEEEDaS1P_S1Q_EUlS1P_E_NS1_11comp_targetILNS1_3genE9ELNS1_11target_archE1100ELNS1_3gpuE3ELNS1_3repE0EEENS1_30default_config_static_selectorELNS0_4arch9wavefront6targetE0EEEvS12_
	.p2align	8
	.type	_ZN7rocprim17ROCPRIM_400000_NS6detail17trampoline_kernelINS0_13select_configILj256ELj13ELNS0_17block_load_methodE3ELS4_3ELS4_3ELNS0_20block_scan_algorithmE0ELj4294967295EEENS1_25partition_config_selectorILNS1_17partition_subalgoE4EjNS0_10empty_typeEbEEZZNS1_14partition_implILS8_4ELb0ES6_15HIP_vector_typeIjLj2EENS0_17counting_iteratorIjlEEPS9_SG_NS0_5tupleIJPjSI_NS0_16reverse_iteratorISI_EEEEENSH_IJSG_SG_SG_EEES9_SI_JZNS1_25segmented_radix_sort_implINS0_14default_configELb0EPKsPsPKlPlN2at6native12_GLOBAL__N_18offset_tEEE10hipError_tPvRmT1_PNSt15iterator_traitsIS12_E10value_typeET2_T3_PNS13_IS18_E10value_typeET4_jRbjT5_S1E_jjP12ihipStream_tbEUljE_ZNSN_ISO_Lb0ESQ_SR_ST_SU_SY_EESZ_S10_S11_S12_S16_S17_S18_S1B_S1C_jS1D_jS1E_S1E_jjS1G_bEUljE0_EEESZ_S10_S11_S18_S1C_S1E_T6_T7_T9_mT8_S1G_bDpT10_ENKUlT_T0_E_clISt17integral_constantIbLb0EES1T_IbLb1EEEEDaS1P_S1Q_EUlS1P_E_NS1_11comp_targetILNS1_3genE9ELNS1_11target_archE1100ELNS1_3gpuE3ELNS1_3repE0EEENS1_30default_config_static_selectorELNS0_4arch9wavefront6targetE0EEEvS12_,@function
_ZN7rocprim17ROCPRIM_400000_NS6detail17trampoline_kernelINS0_13select_configILj256ELj13ELNS0_17block_load_methodE3ELS4_3ELS4_3ELNS0_20block_scan_algorithmE0ELj4294967295EEENS1_25partition_config_selectorILNS1_17partition_subalgoE4EjNS0_10empty_typeEbEEZZNS1_14partition_implILS8_4ELb0ES6_15HIP_vector_typeIjLj2EENS0_17counting_iteratorIjlEEPS9_SG_NS0_5tupleIJPjSI_NS0_16reverse_iteratorISI_EEEEENSH_IJSG_SG_SG_EEES9_SI_JZNS1_25segmented_radix_sort_implINS0_14default_configELb0EPKsPsPKlPlN2at6native12_GLOBAL__N_18offset_tEEE10hipError_tPvRmT1_PNSt15iterator_traitsIS12_E10value_typeET2_T3_PNS13_IS18_E10value_typeET4_jRbjT5_S1E_jjP12ihipStream_tbEUljE_ZNSN_ISO_Lb0ESQ_SR_ST_SU_SY_EESZ_S10_S11_S12_S16_S17_S18_S1B_S1C_jS1D_jS1E_S1E_jjS1G_bEUljE0_EEESZ_S10_S11_S18_S1C_S1E_T6_T7_T9_mT8_S1G_bDpT10_ENKUlT_T0_E_clISt17integral_constantIbLb0EES1T_IbLb1EEEEDaS1P_S1Q_EUlS1P_E_NS1_11comp_targetILNS1_3genE9ELNS1_11target_archE1100ELNS1_3gpuE3ELNS1_3repE0EEENS1_30default_config_static_selectorELNS0_4arch9wavefront6targetE0EEEvS12_: ; @_ZN7rocprim17ROCPRIM_400000_NS6detail17trampoline_kernelINS0_13select_configILj256ELj13ELNS0_17block_load_methodE3ELS4_3ELS4_3ELNS0_20block_scan_algorithmE0ELj4294967295EEENS1_25partition_config_selectorILNS1_17partition_subalgoE4EjNS0_10empty_typeEbEEZZNS1_14partition_implILS8_4ELb0ES6_15HIP_vector_typeIjLj2EENS0_17counting_iteratorIjlEEPS9_SG_NS0_5tupleIJPjSI_NS0_16reverse_iteratorISI_EEEEENSH_IJSG_SG_SG_EEES9_SI_JZNS1_25segmented_radix_sort_implINS0_14default_configELb0EPKsPsPKlPlN2at6native12_GLOBAL__N_18offset_tEEE10hipError_tPvRmT1_PNSt15iterator_traitsIS12_E10value_typeET2_T3_PNS13_IS18_E10value_typeET4_jRbjT5_S1E_jjP12ihipStream_tbEUljE_ZNSN_ISO_Lb0ESQ_SR_ST_SU_SY_EESZ_S10_S11_S12_S16_S17_S18_S1B_S1C_jS1D_jS1E_S1E_jjS1G_bEUljE0_EEESZ_S10_S11_S18_S1C_S1E_T6_T7_T9_mT8_S1G_bDpT10_ENKUlT_T0_E_clISt17integral_constantIbLb0EES1T_IbLb1EEEEDaS1P_S1Q_EUlS1P_E_NS1_11comp_targetILNS1_3genE9ELNS1_11target_archE1100ELNS1_3gpuE3ELNS1_3repE0EEENS1_30default_config_static_selectorELNS0_4arch9wavefront6targetE0EEEvS12_
; %bb.0:
	.section	.rodata,"a",@progbits
	.p2align	6, 0x0
	.amdhsa_kernel _ZN7rocprim17ROCPRIM_400000_NS6detail17trampoline_kernelINS0_13select_configILj256ELj13ELNS0_17block_load_methodE3ELS4_3ELS4_3ELNS0_20block_scan_algorithmE0ELj4294967295EEENS1_25partition_config_selectorILNS1_17partition_subalgoE4EjNS0_10empty_typeEbEEZZNS1_14partition_implILS8_4ELb0ES6_15HIP_vector_typeIjLj2EENS0_17counting_iteratorIjlEEPS9_SG_NS0_5tupleIJPjSI_NS0_16reverse_iteratorISI_EEEEENSH_IJSG_SG_SG_EEES9_SI_JZNS1_25segmented_radix_sort_implINS0_14default_configELb0EPKsPsPKlPlN2at6native12_GLOBAL__N_18offset_tEEE10hipError_tPvRmT1_PNSt15iterator_traitsIS12_E10value_typeET2_T3_PNS13_IS18_E10value_typeET4_jRbjT5_S1E_jjP12ihipStream_tbEUljE_ZNSN_ISO_Lb0ESQ_SR_ST_SU_SY_EESZ_S10_S11_S12_S16_S17_S18_S1B_S1C_jS1D_jS1E_S1E_jjS1G_bEUljE0_EEESZ_S10_S11_S18_S1C_S1E_T6_T7_T9_mT8_S1G_bDpT10_ENKUlT_T0_E_clISt17integral_constantIbLb0EES1T_IbLb1EEEEDaS1P_S1Q_EUlS1P_E_NS1_11comp_targetILNS1_3genE9ELNS1_11target_archE1100ELNS1_3gpuE3ELNS1_3repE0EEENS1_30default_config_static_selectorELNS0_4arch9wavefront6targetE0EEEvS12_
		.amdhsa_group_segment_fixed_size 0
		.amdhsa_private_segment_fixed_size 0
		.amdhsa_kernarg_size 184
		.amdhsa_user_sgpr_count 2
		.amdhsa_user_sgpr_dispatch_ptr 0
		.amdhsa_user_sgpr_queue_ptr 0
		.amdhsa_user_sgpr_kernarg_segment_ptr 1
		.amdhsa_user_sgpr_dispatch_id 0
		.amdhsa_user_sgpr_private_segment_size 0
		.amdhsa_wavefront_size32 1
		.amdhsa_uses_dynamic_stack 0
		.amdhsa_enable_private_segment 0
		.amdhsa_system_sgpr_workgroup_id_x 1
		.amdhsa_system_sgpr_workgroup_id_y 0
		.amdhsa_system_sgpr_workgroup_id_z 0
		.amdhsa_system_sgpr_workgroup_info 0
		.amdhsa_system_vgpr_workitem_id 0
		.amdhsa_next_free_vgpr 1
		.amdhsa_next_free_sgpr 1
		.amdhsa_reserve_vcc 0
		.amdhsa_float_round_mode_32 0
		.amdhsa_float_round_mode_16_64 0
		.amdhsa_float_denorm_mode_32 3
		.amdhsa_float_denorm_mode_16_64 3
		.amdhsa_fp16_overflow 0
		.amdhsa_workgroup_processor_mode 1
		.amdhsa_memory_ordered 1
		.amdhsa_forward_progress 1
		.amdhsa_inst_pref_size 0
		.amdhsa_round_robin_scheduling 0
		.amdhsa_exception_fp_ieee_invalid_op 0
		.amdhsa_exception_fp_denorm_src 0
		.amdhsa_exception_fp_ieee_div_zero 0
		.amdhsa_exception_fp_ieee_overflow 0
		.amdhsa_exception_fp_ieee_underflow 0
		.amdhsa_exception_fp_ieee_inexact 0
		.amdhsa_exception_int_div_zero 0
	.end_amdhsa_kernel
	.section	.text._ZN7rocprim17ROCPRIM_400000_NS6detail17trampoline_kernelINS0_13select_configILj256ELj13ELNS0_17block_load_methodE3ELS4_3ELS4_3ELNS0_20block_scan_algorithmE0ELj4294967295EEENS1_25partition_config_selectorILNS1_17partition_subalgoE4EjNS0_10empty_typeEbEEZZNS1_14partition_implILS8_4ELb0ES6_15HIP_vector_typeIjLj2EENS0_17counting_iteratorIjlEEPS9_SG_NS0_5tupleIJPjSI_NS0_16reverse_iteratorISI_EEEEENSH_IJSG_SG_SG_EEES9_SI_JZNS1_25segmented_radix_sort_implINS0_14default_configELb0EPKsPsPKlPlN2at6native12_GLOBAL__N_18offset_tEEE10hipError_tPvRmT1_PNSt15iterator_traitsIS12_E10value_typeET2_T3_PNS13_IS18_E10value_typeET4_jRbjT5_S1E_jjP12ihipStream_tbEUljE_ZNSN_ISO_Lb0ESQ_SR_ST_SU_SY_EESZ_S10_S11_S12_S16_S17_S18_S1B_S1C_jS1D_jS1E_S1E_jjS1G_bEUljE0_EEESZ_S10_S11_S18_S1C_S1E_T6_T7_T9_mT8_S1G_bDpT10_ENKUlT_T0_E_clISt17integral_constantIbLb0EES1T_IbLb1EEEEDaS1P_S1Q_EUlS1P_E_NS1_11comp_targetILNS1_3genE9ELNS1_11target_archE1100ELNS1_3gpuE3ELNS1_3repE0EEENS1_30default_config_static_selectorELNS0_4arch9wavefront6targetE0EEEvS12_,"axG",@progbits,_ZN7rocprim17ROCPRIM_400000_NS6detail17trampoline_kernelINS0_13select_configILj256ELj13ELNS0_17block_load_methodE3ELS4_3ELS4_3ELNS0_20block_scan_algorithmE0ELj4294967295EEENS1_25partition_config_selectorILNS1_17partition_subalgoE4EjNS0_10empty_typeEbEEZZNS1_14partition_implILS8_4ELb0ES6_15HIP_vector_typeIjLj2EENS0_17counting_iteratorIjlEEPS9_SG_NS0_5tupleIJPjSI_NS0_16reverse_iteratorISI_EEEEENSH_IJSG_SG_SG_EEES9_SI_JZNS1_25segmented_radix_sort_implINS0_14default_configELb0EPKsPsPKlPlN2at6native12_GLOBAL__N_18offset_tEEE10hipError_tPvRmT1_PNSt15iterator_traitsIS12_E10value_typeET2_T3_PNS13_IS18_E10value_typeET4_jRbjT5_S1E_jjP12ihipStream_tbEUljE_ZNSN_ISO_Lb0ESQ_SR_ST_SU_SY_EESZ_S10_S11_S12_S16_S17_S18_S1B_S1C_jS1D_jS1E_S1E_jjS1G_bEUljE0_EEESZ_S10_S11_S18_S1C_S1E_T6_T7_T9_mT8_S1G_bDpT10_ENKUlT_T0_E_clISt17integral_constantIbLb0EES1T_IbLb1EEEEDaS1P_S1Q_EUlS1P_E_NS1_11comp_targetILNS1_3genE9ELNS1_11target_archE1100ELNS1_3gpuE3ELNS1_3repE0EEENS1_30default_config_static_selectorELNS0_4arch9wavefront6targetE0EEEvS12_,comdat
.Lfunc_end980:
	.size	_ZN7rocprim17ROCPRIM_400000_NS6detail17trampoline_kernelINS0_13select_configILj256ELj13ELNS0_17block_load_methodE3ELS4_3ELS4_3ELNS0_20block_scan_algorithmE0ELj4294967295EEENS1_25partition_config_selectorILNS1_17partition_subalgoE4EjNS0_10empty_typeEbEEZZNS1_14partition_implILS8_4ELb0ES6_15HIP_vector_typeIjLj2EENS0_17counting_iteratorIjlEEPS9_SG_NS0_5tupleIJPjSI_NS0_16reverse_iteratorISI_EEEEENSH_IJSG_SG_SG_EEES9_SI_JZNS1_25segmented_radix_sort_implINS0_14default_configELb0EPKsPsPKlPlN2at6native12_GLOBAL__N_18offset_tEEE10hipError_tPvRmT1_PNSt15iterator_traitsIS12_E10value_typeET2_T3_PNS13_IS18_E10value_typeET4_jRbjT5_S1E_jjP12ihipStream_tbEUljE_ZNSN_ISO_Lb0ESQ_SR_ST_SU_SY_EESZ_S10_S11_S12_S16_S17_S18_S1B_S1C_jS1D_jS1E_S1E_jjS1G_bEUljE0_EEESZ_S10_S11_S18_S1C_S1E_T6_T7_T9_mT8_S1G_bDpT10_ENKUlT_T0_E_clISt17integral_constantIbLb0EES1T_IbLb1EEEEDaS1P_S1Q_EUlS1P_E_NS1_11comp_targetILNS1_3genE9ELNS1_11target_archE1100ELNS1_3gpuE3ELNS1_3repE0EEENS1_30default_config_static_selectorELNS0_4arch9wavefront6targetE0EEEvS12_, .Lfunc_end980-_ZN7rocprim17ROCPRIM_400000_NS6detail17trampoline_kernelINS0_13select_configILj256ELj13ELNS0_17block_load_methodE3ELS4_3ELS4_3ELNS0_20block_scan_algorithmE0ELj4294967295EEENS1_25partition_config_selectorILNS1_17partition_subalgoE4EjNS0_10empty_typeEbEEZZNS1_14partition_implILS8_4ELb0ES6_15HIP_vector_typeIjLj2EENS0_17counting_iteratorIjlEEPS9_SG_NS0_5tupleIJPjSI_NS0_16reverse_iteratorISI_EEEEENSH_IJSG_SG_SG_EEES9_SI_JZNS1_25segmented_radix_sort_implINS0_14default_configELb0EPKsPsPKlPlN2at6native12_GLOBAL__N_18offset_tEEE10hipError_tPvRmT1_PNSt15iterator_traitsIS12_E10value_typeET2_T3_PNS13_IS18_E10value_typeET4_jRbjT5_S1E_jjP12ihipStream_tbEUljE_ZNSN_ISO_Lb0ESQ_SR_ST_SU_SY_EESZ_S10_S11_S12_S16_S17_S18_S1B_S1C_jS1D_jS1E_S1E_jjS1G_bEUljE0_EEESZ_S10_S11_S18_S1C_S1E_T6_T7_T9_mT8_S1G_bDpT10_ENKUlT_T0_E_clISt17integral_constantIbLb0EES1T_IbLb1EEEEDaS1P_S1Q_EUlS1P_E_NS1_11comp_targetILNS1_3genE9ELNS1_11target_archE1100ELNS1_3gpuE3ELNS1_3repE0EEENS1_30default_config_static_selectorELNS0_4arch9wavefront6targetE0EEEvS12_
                                        ; -- End function
	.set _ZN7rocprim17ROCPRIM_400000_NS6detail17trampoline_kernelINS0_13select_configILj256ELj13ELNS0_17block_load_methodE3ELS4_3ELS4_3ELNS0_20block_scan_algorithmE0ELj4294967295EEENS1_25partition_config_selectorILNS1_17partition_subalgoE4EjNS0_10empty_typeEbEEZZNS1_14partition_implILS8_4ELb0ES6_15HIP_vector_typeIjLj2EENS0_17counting_iteratorIjlEEPS9_SG_NS0_5tupleIJPjSI_NS0_16reverse_iteratorISI_EEEEENSH_IJSG_SG_SG_EEES9_SI_JZNS1_25segmented_radix_sort_implINS0_14default_configELb0EPKsPsPKlPlN2at6native12_GLOBAL__N_18offset_tEEE10hipError_tPvRmT1_PNSt15iterator_traitsIS12_E10value_typeET2_T3_PNS13_IS18_E10value_typeET4_jRbjT5_S1E_jjP12ihipStream_tbEUljE_ZNSN_ISO_Lb0ESQ_SR_ST_SU_SY_EESZ_S10_S11_S12_S16_S17_S18_S1B_S1C_jS1D_jS1E_S1E_jjS1G_bEUljE0_EEESZ_S10_S11_S18_S1C_S1E_T6_T7_T9_mT8_S1G_bDpT10_ENKUlT_T0_E_clISt17integral_constantIbLb0EES1T_IbLb1EEEEDaS1P_S1Q_EUlS1P_E_NS1_11comp_targetILNS1_3genE9ELNS1_11target_archE1100ELNS1_3gpuE3ELNS1_3repE0EEENS1_30default_config_static_selectorELNS0_4arch9wavefront6targetE0EEEvS12_.num_vgpr, 0
	.set _ZN7rocprim17ROCPRIM_400000_NS6detail17trampoline_kernelINS0_13select_configILj256ELj13ELNS0_17block_load_methodE3ELS4_3ELS4_3ELNS0_20block_scan_algorithmE0ELj4294967295EEENS1_25partition_config_selectorILNS1_17partition_subalgoE4EjNS0_10empty_typeEbEEZZNS1_14partition_implILS8_4ELb0ES6_15HIP_vector_typeIjLj2EENS0_17counting_iteratorIjlEEPS9_SG_NS0_5tupleIJPjSI_NS0_16reverse_iteratorISI_EEEEENSH_IJSG_SG_SG_EEES9_SI_JZNS1_25segmented_radix_sort_implINS0_14default_configELb0EPKsPsPKlPlN2at6native12_GLOBAL__N_18offset_tEEE10hipError_tPvRmT1_PNSt15iterator_traitsIS12_E10value_typeET2_T3_PNS13_IS18_E10value_typeET4_jRbjT5_S1E_jjP12ihipStream_tbEUljE_ZNSN_ISO_Lb0ESQ_SR_ST_SU_SY_EESZ_S10_S11_S12_S16_S17_S18_S1B_S1C_jS1D_jS1E_S1E_jjS1G_bEUljE0_EEESZ_S10_S11_S18_S1C_S1E_T6_T7_T9_mT8_S1G_bDpT10_ENKUlT_T0_E_clISt17integral_constantIbLb0EES1T_IbLb1EEEEDaS1P_S1Q_EUlS1P_E_NS1_11comp_targetILNS1_3genE9ELNS1_11target_archE1100ELNS1_3gpuE3ELNS1_3repE0EEENS1_30default_config_static_selectorELNS0_4arch9wavefront6targetE0EEEvS12_.num_agpr, 0
	.set _ZN7rocprim17ROCPRIM_400000_NS6detail17trampoline_kernelINS0_13select_configILj256ELj13ELNS0_17block_load_methodE3ELS4_3ELS4_3ELNS0_20block_scan_algorithmE0ELj4294967295EEENS1_25partition_config_selectorILNS1_17partition_subalgoE4EjNS0_10empty_typeEbEEZZNS1_14partition_implILS8_4ELb0ES6_15HIP_vector_typeIjLj2EENS0_17counting_iteratorIjlEEPS9_SG_NS0_5tupleIJPjSI_NS0_16reverse_iteratorISI_EEEEENSH_IJSG_SG_SG_EEES9_SI_JZNS1_25segmented_radix_sort_implINS0_14default_configELb0EPKsPsPKlPlN2at6native12_GLOBAL__N_18offset_tEEE10hipError_tPvRmT1_PNSt15iterator_traitsIS12_E10value_typeET2_T3_PNS13_IS18_E10value_typeET4_jRbjT5_S1E_jjP12ihipStream_tbEUljE_ZNSN_ISO_Lb0ESQ_SR_ST_SU_SY_EESZ_S10_S11_S12_S16_S17_S18_S1B_S1C_jS1D_jS1E_S1E_jjS1G_bEUljE0_EEESZ_S10_S11_S18_S1C_S1E_T6_T7_T9_mT8_S1G_bDpT10_ENKUlT_T0_E_clISt17integral_constantIbLb0EES1T_IbLb1EEEEDaS1P_S1Q_EUlS1P_E_NS1_11comp_targetILNS1_3genE9ELNS1_11target_archE1100ELNS1_3gpuE3ELNS1_3repE0EEENS1_30default_config_static_selectorELNS0_4arch9wavefront6targetE0EEEvS12_.numbered_sgpr, 0
	.set _ZN7rocprim17ROCPRIM_400000_NS6detail17trampoline_kernelINS0_13select_configILj256ELj13ELNS0_17block_load_methodE3ELS4_3ELS4_3ELNS0_20block_scan_algorithmE0ELj4294967295EEENS1_25partition_config_selectorILNS1_17partition_subalgoE4EjNS0_10empty_typeEbEEZZNS1_14partition_implILS8_4ELb0ES6_15HIP_vector_typeIjLj2EENS0_17counting_iteratorIjlEEPS9_SG_NS0_5tupleIJPjSI_NS0_16reverse_iteratorISI_EEEEENSH_IJSG_SG_SG_EEES9_SI_JZNS1_25segmented_radix_sort_implINS0_14default_configELb0EPKsPsPKlPlN2at6native12_GLOBAL__N_18offset_tEEE10hipError_tPvRmT1_PNSt15iterator_traitsIS12_E10value_typeET2_T3_PNS13_IS18_E10value_typeET4_jRbjT5_S1E_jjP12ihipStream_tbEUljE_ZNSN_ISO_Lb0ESQ_SR_ST_SU_SY_EESZ_S10_S11_S12_S16_S17_S18_S1B_S1C_jS1D_jS1E_S1E_jjS1G_bEUljE0_EEESZ_S10_S11_S18_S1C_S1E_T6_T7_T9_mT8_S1G_bDpT10_ENKUlT_T0_E_clISt17integral_constantIbLb0EES1T_IbLb1EEEEDaS1P_S1Q_EUlS1P_E_NS1_11comp_targetILNS1_3genE9ELNS1_11target_archE1100ELNS1_3gpuE3ELNS1_3repE0EEENS1_30default_config_static_selectorELNS0_4arch9wavefront6targetE0EEEvS12_.num_named_barrier, 0
	.set _ZN7rocprim17ROCPRIM_400000_NS6detail17trampoline_kernelINS0_13select_configILj256ELj13ELNS0_17block_load_methodE3ELS4_3ELS4_3ELNS0_20block_scan_algorithmE0ELj4294967295EEENS1_25partition_config_selectorILNS1_17partition_subalgoE4EjNS0_10empty_typeEbEEZZNS1_14partition_implILS8_4ELb0ES6_15HIP_vector_typeIjLj2EENS0_17counting_iteratorIjlEEPS9_SG_NS0_5tupleIJPjSI_NS0_16reverse_iteratorISI_EEEEENSH_IJSG_SG_SG_EEES9_SI_JZNS1_25segmented_radix_sort_implINS0_14default_configELb0EPKsPsPKlPlN2at6native12_GLOBAL__N_18offset_tEEE10hipError_tPvRmT1_PNSt15iterator_traitsIS12_E10value_typeET2_T3_PNS13_IS18_E10value_typeET4_jRbjT5_S1E_jjP12ihipStream_tbEUljE_ZNSN_ISO_Lb0ESQ_SR_ST_SU_SY_EESZ_S10_S11_S12_S16_S17_S18_S1B_S1C_jS1D_jS1E_S1E_jjS1G_bEUljE0_EEESZ_S10_S11_S18_S1C_S1E_T6_T7_T9_mT8_S1G_bDpT10_ENKUlT_T0_E_clISt17integral_constantIbLb0EES1T_IbLb1EEEEDaS1P_S1Q_EUlS1P_E_NS1_11comp_targetILNS1_3genE9ELNS1_11target_archE1100ELNS1_3gpuE3ELNS1_3repE0EEENS1_30default_config_static_selectorELNS0_4arch9wavefront6targetE0EEEvS12_.private_seg_size, 0
	.set _ZN7rocprim17ROCPRIM_400000_NS6detail17trampoline_kernelINS0_13select_configILj256ELj13ELNS0_17block_load_methodE3ELS4_3ELS4_3ELNS0_20block_scan_algorithmE0ELj4294967295EEENS1_25partition_config_selectorILNS1_17partition_subalgoE4EjNS0_10empty_typeEbEEZZNS1_14partition_implILS8_4ELb0ES6_15HIP_vector_typeIjLj2EENS0_17counting_iteratorIjlEEPS9_SG_NS0_5tupleIJPjSI_NS0_16reverse_iteratorISI_EEEEENSH_IJSG_SG_SG_EEES9_SI_JZNS1_25segmented_radix_sort_implINS0_14default_configELb0EPKsPsPKlPlN2at6native12_GLOBAL__N_18offset_tEEE10hipError_tPvRmT1_PNSt15iterator_traitsIS12_E10value_typeET2_T3_PNS13_IS18_E10value_typeET4_jRbjT5_S1E_jjP12ihipStream_tbEUljE_ZNSN_ISO_Lb0ESQ_SR_ST_SU_SY_EESZ_S10_S11_S12_S16_S17_S18_S1B_S1C_jS1D_jS1E_S1E_jjS1G_bEUljE0_EEESZ_S10_S11_S18_S1C_S1E_T6_T7_T9_mT8_S1G_bDpT10_ENKUlT_T0_E_clISt17integral_constantIbLb0EES1T_IbLb1EEEEDaS1P_S1Q_EUlS1P_E_NS1_11comp_targetILNS1_3genE9ELNS1_11target_archE1100ELNS1_3gpuE3ELNS1_3repE0EEENS1_30default_config_static_selectorELNS0_4arch9wavefront6targetE0EEEvS12_.uses_vcc, 0
	.set _ZN7rocprim17ROCPRIM_400000_NS6detail17trampoline_kernelINS0_13select_configILj256ELj13ELNS0_17block_load_methodE3ELS4_3ELS4_3ELNS0_20block_scan_algorithmE0ELj4294967295EEENS1_25partition_config_selectorILNS1_17partition_subalgoE4EjNS0_10empty_typeEbEEZZNS1_14partition_implILS8_4ELb0ES6_15HIP_vector_typeIjLj2EENS0_17counting_iteratorIjlEEPS9_SG_NS0_5tupleIJPjSI_NS0_16reverse_iteratorISI_EEEEENSH_IJSG_SG_SG_EEES9_SI_JZNS1_25segmented_radix_sort_implINS0_14default_configELb0EPKsPsPKlPlN2at6native12_GLOBAL__N_18offset_tEEE10hipError_tPvRmT1_PNSt15iterator_traitsIS12_E10value_typeET2_T3_PNS13_IS18_E10value_typeET4_jRbjT5_S1E_jjP12ihipStream_tbEUljE_ZNSN_ISO_Lb0ESQ_SR_ST_SU_SY_EESZ_S10_S11_S12_S16_S17_S18_S1B_S1C_jS1D_jS1E_S1E_jjS1G_bEUljE0_EEESZ_S10_S11_S18_S1C_S1E_T6_T7_T9_mT8_S1G_bDpT10_ENKUlT_T0_E_clISt17integral_constantIbLb0EES1T_IbLb1EEEEDaS1P_S1Q_EUlS1P_E_NS1_11comp_targetILNS1_3genE9ELNS1_11target_archE1100ELNS1_3gpuE3ELNS1_3repE0EEENS1_30default_config_static_selectorELNS0_4arch9wavefront6targetE0EEEvS12_.uses_flat_scratch, 0
	.set _ZN7rocprim17ROCPRIM_400000_NS6detail17trampoline_kernelINS0_13select_configILj256ELj13ELNS0_17block_load_methodE3ELS4_3ELS4_3ELNS0_20block_scan_algorithmE0ELj4294967295EEENS1_25partition_config_selectorILNS1_17partition_subalgoE4EjNS0_10empty_typeEbEEZZNS1_14partition_implILS8_4ELb0ES6_15HIP_vector_typeIjLj2EENS0_17counting_iteratorIjlEEPS9_SG_NS0_5tupleIJPjSI_NS0_16reverse_iteratorISI_EEEEENSH_IJSG_SG_SG_EEES9_SI_JZNS1_25segmented_radix_sort_implINS0_14default_configELb0EPKsPsPKlPlN2at6native12_GLOBAL__N_18offset_tEEE10hipError_tPvRmT1_PNSt15iterator_traitsIS12_E10value_typeET2_T3_PNS13_IS18_E10value_typeET4_jRbjT5_S1E_jjP12ihipStream_tbEUljE_ZNSN_ISO_Lb0ESQ_SR_ST_SU_SY_EESZ_S10_S11_S12_S16_S17_S18_S1B_S1C_jS1D_jS1E_S1E_jjS1G_bEUljE0_EEESZ_S10_S11_S18_S1C_S1E_T6_T7_T9_mT8_S1G_bDpT10_ENKUlT_T0_E_clISt17integral_constantIbLb0EES1T_IbLb1EEEEDaS1P_S1Q_EUlS1P_E_NS1_11comp_targetILNS1_3genE9ELNS1_11target_archE1100ELNS1_3gpuE3ELNS1_3repE0EEENS1_30default_config_static_selectorELNS0_4arch9wavefront6targetE0EEEvS12_.has_dyn_sized_stack, 0
	.set _ZN7rocprim17ROCPRIM_400000_NS6detail17trampoline_kernelINS0_13select_configILj256ELj13ELNS0_17block_load_methodE3ELS4_3ELS4_3ELNS0_20block_scan_algorithmE0ELj4294967295EEENS1_25partition_config_selectorILNS1_17partition_subalgoE4EjNS0_10empty_typeEbEEZZNS1_14partition_implILS8_4ELb0ES6_15HIP_vector_typeIjLj2EENS0_17counting_iteratorIjlEEPS9_SG_NS0_5tupleIJPjSI_NS0_16reverse_iteratorISI_EEEEENSH_IJSG_SG_SG_EEES9_SI_JZNS1_25segmented_radix_sort_implINS0_14default_configELb0EPKsPsPKlPlN2at6native12_GLOBAL__N_18offset_tEEE10hipError_tPvRmT1_PNSt15iterator_traitsIS12_E10value_typeET2_T3_PNS13_IS18_E10value_typeET4_jRbjT5_S1E_jjP12ihipStream_tbEUljE_ZNSN_ISO_Lb0ESQ_SR_ST_SU_SY_EESZ_S10_S11_S12_S16_S17_S18_S1B_S1C_jS1D_jS1E_S1E_jjS1G_bEUljE0_EEESZ_S10_S11_S18_S1C_S1E_T6_T7_T9_mT8_S1G_bDpT10_ENKUlT_T0_E_clISt17integral_constantIbLb0EES1T_IbLb1EEEEDaS1P_S1Q_EUlS1P_E_NS1_11comp_targetILNS1_3genE9ELNS1_11target_archE1100ELNS1_3gpuE3ELNS1_3repE0EEENS1_30default_config_static_selectorELNS0_4arch9wavefront6targetE0EEEvS12_.has_recursion, 0
	.set _ZN7rocprim17ROCPRIM_400000_NS6detail17trampoline_kernelINS0_13select_configILj256ELj13ELNS0_17block_load_methodE3ELS4_3ELS4_3ELNS0_20block_scan_algorithmE0ELj4294967295EEENS1_25partition_config_selectorILNS1_17partition_subalgoE4EjNS0_10empty_typeEbEEZZNS1_14partition_implILS8_4ELb0ES6_15HIP_vector_typeIjLj2EENS0_17counting_iteratorIjlEEPS9_SG_NS0_5tupleIJPjSI_NS0_16reverse_iteratorISI_EEEEENSH_IJSG_SG_SG_EEES9_SI_JZNS1_25segmented_radix_sort_implINS0_14default_configELb0EPKsPsPKlPlN2at6native12_GLOBAL__N_18offset_tEEE10hipError_tPvRmT1_PNSt15iterator_traitsIS12_E10value_typeET2_T3_PNS13_IS18_E10value_typeET4_jRbjT5_S1E_jjP12ihipStream_tbEUljE_ZNSN_ISO_Lb0ESQ_SR_ST_SU_SY_EESZ_S10_S11_S12_S16_S17_S18_S1B_S1C_jS1D_jS1E_S1E_jjS1G_bEUljE0_EEESZ_S10_S11_S18_S1C_S1E_T6_T7_T9_mT8_S1G_bDpT10_ENKUlT_T0_E_clISt17integral_constantIbLb0EES1T_IbLb1EEEEDaS1P_S1Q_EUlS1P_E_NS1_11comp_targetILNS1_3genE9ELNS1_11target_archE1100ELNS1_3gpuE3ELNS1_3repE0EEENS1_30default_config_static_selectorELNS0_4arch9wavefront6targetE0EEEvS12_.has_indirect_call, 0
	.section	.AMDGPU.csdata,"",@progbits
; Kernel info:
; codeLenInByte = 0
; TotalNumSgprs: 0
; NumVgprs: 0
; ScratchSize: 0
; MemoryBound: 0
; FloatMode: 240
; IeeeMode: 1
; LDSByteSize: 0 bytes/workgroup (compile time only)
; SGPRBlocks: 0
; VGPRBlocks: 0
; NumSGPRsForWavesPerEU: 1
; NumVGPRsForWavesPerEU: 1
; Occupancy: 16
; WaveLimiterHint : 0
; COMPUTE_PGM_RSRC2:SCRATCH_EN: 0
; COMPUTE_PGM_RSRC2:USER_SGPR: 2
; COMPUTE_PGM_RSRC2:TRAP_HANDLER: 0
; COMPUTE_PGM_RSRC2:TGID_X_EN: 1
; COMPUTE_PGM_RSRC2:TGID_Y_EN: 0
; COMPUTE_PGM_RSRC2:TGID_Z_EN: 0
; COMPUTE_PGM_RSRC2:TIDIG_COMP_CNT: 0
	.section	.text._ZN7rocprim17ROCPRIM_400000_NS6detail17trampoline_kernelINS0_13select_configILj256ELj13ELNS0_17block_load_methodE3ELS4_3ELS4_3ELNS0_20block_scan_algorithmE0ELj4294967295EEENS1_25partition_config_selectorILNS1_17partition_subalgoE4EjNS0_10empty_typeEbEEZZNS1_14partition_implILS8_4ELb0ES6_15HIP_vector_typeIjLj2EENS0_17counting_iteratorIjlEEPS9_SG_NS0_5tupleIJPjSI_NS0_16reverse_iteratorISI_EEEEENSH_IJSG_SG_SG_EEES9_SI_JZNS1_25segmented_radix_sort_implINS0_14default_configELb0EPKsPsPKlPlN2at6native12_GLOBAL__N_18offset_tEEE10hipError_tPvRmT1_PNSt15iterator_traitsIS12_E10value_typeET2_T3_PNS13_IS18_E10value_typeET4_jRbjT5_S1E_jjP12ihipStream_tbEUljE_ZNSN_ISO_Lb0ESQ_SR_ST_SU_SY_EESZ_S10_S11_S12_S16_S17_S18_S1B_S1C_jS1D_jS1E_S1E_jjS1G_bEUljE0_EEESZ_S10_S11_S18_S1C_S1E_T6_T7_T9_mT8_S1G_bDpT10_ENKUlT_T0_E_clISt17integral_constantIbLb0EES1T_IbLb1EEEEDaS1P_S1Q_EUlS1P_E_NS1_11comp_targetILNS1_3genE8ELNS1_11target_archE1030ELNS1_3gpuE2ELNS1_3repE0EEENS1_30default_config_static_selectorELNS0_4arch9wavefront6targetE0EEEvS12_,"axG",@progbits,_ZN7rocprim17ROCPRIM_400000_NS6detail17trampoline_kernelINS0_13select_configILj256ELj13ELNS0_17block_load_methodE3ELS4_3ELS4_3ELNS0_20block_scan_algorithmE0ELj4294967295EEENS1_25partition_config_selectorILNS1_17partition_subalgoE4EjNS0_10empty_typeEbEEZZNS1_14partition_implILS8_4ELb0ES6_15HIP_vector_typeIjLj2EENS0_17counting_iteratorIjlEEPS9_SG_NS0_5tupleIJPjSI_NS0_16reverse_iteratorISI_EEEEENSH_IJSG_SG_SG_EEES9_SI_JZNS1_25segmented_radix_sort_implINS0_14default_configELb0EPKsPsPKlPlN2at6native12_GLOBAL__N_18offset_tEEE10hipError_tPvRmT1_PNSt15iterator_traitsIS12_E10value_typeET2_T3_PNS13_IS18_E10value_typeET4_jRbjT5_S1E_jjP12ihipStream_tbEUljE_ZNSN_ISO_Lb0ESQ_SR_ST_SU_SY_EESZ_S10_S11_S12_S16_S17_S18_S1B_S1C_jS1D_jS1E_S1E_jjS1G_bEUljE0_EEESZ_S10_S11_S18_S1C_S1E_T6_T7_T9_mT8_S1G_bDpT10_ENKUlT_T0_E_clISt17integral_constantIbLb0EES1T_IbLb1EEEEDaS1P_S1Q_EUlS1P_E_NS1_11comp_targetILNS1_3genE8ELNS1_11target_archE1030ELNS1_3gpuE2ELNS1_3repE0EEENS1_30default_config_static_selectorELNS0_4arch9wavefront6targetE0EEEvS12_,comdat
	.globl	_ZN7rocprim17ROCPRIM_400000_NS6detail17trampoline_kernelINS0_13select_configILj256ELj13ELNS0_17block_load_methodE3ELS4_3ELS4_3ELNS0_20block_scan_algorithmE0ELj4294967295EEENS1_25partition_config_selectorILNS1_17partition_subalgoE4EjNS0_10empty_typeEbEEZZNS1_14partition_implILS8_4ELb0ES6_15HIP_vector_typeIjLj2EENS0_17counting_iteratorIjlEEPS9_SG_NS0_5tupleIJPjSI_NS0_16reverse_iteratorISI_EEEEENSH_IJSG_SG_SG_EEES9_SI_JZNS1_25segmented_radix_sort_implINS0_14default_configELb0EPKsPsPKlPlN2at6native12_GLOBAL__N_18offset_tEEE10hipError_tPvRmT1_PNSt15iterator_traitsIS12_E10value_typeET2_T3_PNS13_IS18_E10value_typeET4_jRbjT5_S1E_jjP12ihipStream_tbEUljE_ZNSN_ISO_Lb0ESQ_SR_ST_SU_SY_EESZ_S10_S11_S12_S16_S17_S18_S1B_S1C_jS1D_jS1E_S1E_jjS1G_bEUljE0_EEESZ_S10_S11_S18_S1C_S1E_T6_T7_T9_mT8_S1G_bDpT10_ENKUlT_T0_E_clISt17integral_constantIbLb0EES1T_IbLb1EEEEDaS1P_S1Q_EUlS1P_E_NS1_11comp_targetILNS1_3genE8ELNS1_11target_archE1030ELNS1_3gpuE2ELNS1_3repE0EEENS1_30default_config_static_selectorELNS0_4arch9wavefront6targetE0EEEvS12_ ; -- Begin function _ZN7rocprim17ROCPRIM_400000_NS6detail17trampoline_kernelINS0_13select_configILj256ELj13ELNS0_17block_load_methodE3ELS4_3ELS4_3ELNS0_20block_scan_algorithmE0ELj4294967295EEENS1_25partition_config_selectorILNS1_17partition_subalgoE4EjNS0_10empty_typeEbEEZZNS1_14partition_implILS8_4ELb0ES6_15HIP_vector_typeIjLj2EENS0_17counting_iteratorIjlEEPS9_SG_NS0_5tupleIJPjSI_NS0_16reverse_iteratorISI_EEEEENSH_IJSG_SG_SG_EEES9_SI_JZNS1_25segmented_radix_sort_implINS0_14default_configELb0EPKsPsPKlPlN2at6native12_GLOBAL__N_18offset_tEEE10hipError_tPvRmT1_PNSt15iterator_traitsIS12_E10value_typeET2_T3_PNS13_IS18_E10value_typeET4_jRbjT5_S1E_jjP12ihipStream_tbEUljE_ZNSN_ISO_Lb0ESQ_SR_ST_SU_SY_EESZ_S10_S11_S12_S16_S17_S18_S1B_S1C_jS1D_jS1E_S1E_jjS1G_bEUljE0_EEESZ_S10_S11_S18_S1C_S1E_T6_T7_T9_mT8_S1G_bDpT10_ENKUlT_T0_E_clISt17integral_constantIbLb0EES1T_IbLb1EEEEDaS1P_S1Q_EUlS1P_E_NS1_11comp_targetILNS1_3genE8ELNS1_11target_archE1030ELNS1_3gpuE2ELNS1_3repE0EEENS1_30default_config_static_selectorELNS0_4arch9wavefront6targetE0EEEvS12_
	.p2align	8
	.type	_ZN7rocprim17ROCPRIM_400000_NS6detail17trampoline_kernelINS0_13select_configILj256ELj13ELNS0_17block_load_methodE3ELS4_3ELS4_3ELNS0_20block_scan_algorithmE0ELj4294967295EEENS1_25partition_config_selectorILNS1_17partition_subalgoE4EjNS0_10empty_typeEbEEZZNS1_14partition_implILS8_4ELb0ES6_15HIP_vector_typeIjLj2EENS0_17counting_iteratorIjlEEPS9_SG_NS0_5tupleIJPjSI_NS0_16reverse_iteratorISI_EEEEENSH_IJSG_SG_SG_EEES9_SI_JZNS1_25segmented_radix_sort_implINS0_14default_configELb0EPKsPsPKlPlN2at6native12_GLOBAL__N_18offset_tEEE10hipError_tPvRmT1_PNSt15iterator_traitsIS12_E10value_typeET2_T3_PNS13_IS18_E10value_typeET4_jRbjT5_S1E_jjP12ihipStream_tbEUljE_ZNSN_ISO_Lb0ESQ_SR_ST_SU_SY_EESZ_S10_S11_S12_S16_S17_S18_S1B_S1C_jS1D_jS1E_S1E_jjS1G_bEUljE0_EEESZ_S10_S11_S18_S1C_S1E_T6_T7_T9_mT8_S1G_bDpT10_ENKUlT_T0_E_clISt17integral_constantIbLb0EES1T_IbLb1EEEEDaS1P_S1Q_EUlS1P_E_NS1_11comp_targetILNS1_3genE8ELNS1_11target_archE1030ELNS1_3gpuE2ELNS1_3repE0EEENS1_30default_config_static_selectorELNS0_4arch9wavefront6targetE0EEEvS12_,@function
_ZN7rocprim17ROCPRIM_400000_NS6detail17trampoline_kernelINS0_13select_configILj256ELj13ELNS0_17block_load_methodE3ELS4_3ELS4_3ELNS0_20block_scan_algorithmE0ELj4294967295EEENS1_25partition_config_selectorILNS1_17partition_subalgoE4EjNS0_10empty_typeEbEEZZNS1_14partition_implILS8_4ELb0ES6_15HIP_vector_typeIjLj2EENS0_17counting_iteratorIjlEEPS9_SG_NS0_5tupleIJPjSI_NS0_16reverse_iteratorISI_EEEEENSH_IJSG_SG_SG_EEES9_SI_JZNS1_25segmented_radix_sort_implINS0_14default_configELb0EPKsPsPKlPlN2at6native12_GLOBAL__N_18offset_tEEE10hipError_tPvRmT1_PNSt15iterator_traitsIS12_E10value_typeET2_T3_PNS13_IS18_E10value_typeET4_jRbjT5_S1E_jjP12ihipStream_tbEUljE_ZNSN_ISO_Lb0ESQ_SR_ST_SU_SY_EESZ_S10_S11_S12_S16_S17_S18_S1B_S1C_jS1D_jS1E_S1E_jjS1G_bEUljE0_EEESZ_S10_S11_S18_S1C_S1E_T6_T7_T9_mT8_S1G_bDpT10_ENKUlT_T0_E_clISt17integral_constantIbLb0EES1T_IbLb1EEEEDaS1P_S1Q_EUlS1P_E_NS1_11comp_targetILNS1_3genE8ELNS1_11target_archE1030ELNS1_3gpuE2ELNS1_3repE0EEENS1_30default_config_static_selectorELNS0_4arch9wavefront6targetE0EEEvS12_: ; @_ZN7rocprim17ROCPRIM_400000_NS6detail17trampoline_kernelINS0_13select_configILj256ELj13ELNS0_17block_load_methodE3ELS4_3ELS4_3ELNS0_20block_scan_algorithmE0ELj4294967295EEENS1_25partition_config_selectorILNS1_17partition_subalgoE4EjNS0_10empty_typeEbEEZZNS1_14partition_implILS8_4ELb0ES6_15HIP_vector_typeIjLj2EENS0_17counting_iteratorIjlEEPS9_SG_NS0_5tupleIJPjSI_NS0_16reverse_iteratorISI_EEEEENSH_IJSG_SG_SG_EEES9_SI_JZNS1_25segmented_radix_sort_implINS0_14default_configELb0EPKsPsPKlPlN2at6native12_GLOBAL__N_18offset_tEEE10hipError_tPvRmT1_PNSt15iterator_traitsIS12_E10value_typeET2_T3_PNS13_IS18_E10value_typeET4_jRbjT5_S1E_jjP12ihipStream_tbEUljE_ZNSN_ISO_Lb0ESQ_SR_ST_SU_SY_EESZ_S10_S11_S12_S16_S17_S18_S1B_S1C_jS1D_jS1E_S1E_jjS1G_bEUljE0_EEESZ_S10_S11_S18_S1C_S1E_T6_T7_T9_mT8_S1G_bDpT10_ENKUlT_T0_E_clISt17integral_constantIbLb0EES1T_IbLb1EEEEDaS1P_S1Q_EUlS1P_E_NS1_11comp_targetILNS1_3genE8ELNS1_11target_archE1030ELNS1_3gpuE2ELNS1_3repE0EEENS1_30default_config_static_selectorELNS0_4arch9wavefront6targetE0EEEvS12_
; %bb.0:
	.section	.rodata,"a",@progbits
	.p2align	6, 0x0
	.amdhsa_kernel _ZN7rocprim17ROCPRIM_400000_NS6detail17trampoline_kernelINS0_13select_configILj256ELj13ELNS0_17block_load_methodE3ELS4_3ELS4_3ELNS0_20block_scan_algorithmE0ELj4294967295EEENS1_25partition_config_selectorILNS1_17partition_subalgoE4EjNS0_10empty_typeEbEEZZNS1_14partition_implILS8_4ELb0ES6_15HIP_vector_typeIjLj2EENS0_17counting_iteratorIjlEEPS9_SG_NS0_5tupleIJPjSI_NS0_16reverse_iteratorISI_EEEEENSH_IJSG_SG_SG_EEES9_SI_JZNS1_25segmented_radix_sort_implINS0_14default_configELb0EPKsPsPKlPlN2at6native12_GLOBAL__N_18offset_tEEE10hipError_tPvRmT1_PNSt15iterator_traitsIS12_E10value_typeET2_T3_PNS13_IS18_E10value_typeET4_jRbjT5_S1E_jjP12ihipStream_tbEUljE_ZNSN_ISO_Lb0ESQ_SR_ST_SU_SY_EESZ_S10_S11_S12_S16_S17_S18_S1B_S1C_jS1D_jS1E_S1E_jjS1G_bEUljE0_EEESZ_S10_S11_S18_S1C_S1E_T6_T7_T9_mT8_S1G_bDpT10_ENKUlT_T0_E_clISt17integral_constantIbLb0EES1T_IbLb1EEEEDaS1P_S1Q_EUlS1P_E_NS1_11comp_targetILNS1_3genE8ELNS1_11target_archE1030ELNS1_3gpuE2ELNS1_3repE0EEENS1_30default_config_static_selectorELNS0_4arch9wavefront6targetE0EEEvS12_
		.amdhsa_group_segment_fixed_size 0
		.amdhsa_private_segment_fixed_size 0
		.amdhsa_kernarg_size 184
		.amdhsa_user_sgpr_count 2
		.amdhsa_user_sgpr_dispatch_ptr 0
		.amdhsa_user_sgpr_queue_ptr 0
		.amdhsa_user_sgpr_kernarg_segment_ptr 1
		.amdhsa_user_sgpr_dispatch_id 0
		.amdhsa_user_sgpr_private_segment_size 0
		.amdhsa_wavefront_size32 1
		.amdhsa_uses_dynamic_stack 0
		.amdhsa_enable_private_segment 0
		.amdhsa_system_sgpr_workgroup_id_x 1
		.amdhsa_system_sgpr_workgroup_id_y 0
		.amdhsa_system_sgpr_workgroup_id_z 0
		.amdhsa_system_sgpr_workgroup_info 0
		.amdhsa_system_vgpr_workitem_id 0
		.amdhsa_next_free_vgpr 1
		.amdhsa_next_free_sgpr 1
		.amdhsa_reserve_vcc 0
		.amdhsa_float_round_mode_32 0
		.amdhsa_float_round_mode_16_64 0
		.amdhsa_float_denorm_mode_32 3
		.amdhsa_float_denorm_mode_16_64 3
		.amdhsa_fp16_overflow 0
		.amdhsa_workgroup_processor_mode 1
		.amdhsa_memory_ordered 1
		.amdhsa_forward_progress 1
		.amdhsa_inst_pref_size 0
		.amdhsa_round_robin_scheduling 0
		.amdhsa_exception_fp_ieee_invalid_op 0
		.amdhsa_exception_fp_denorm_src 0
		.amdhsa_exception_fp_ieee_div_zero 0
		.amdhsa_exception_fp_ieee_overflow 0
		.amdhsa_exception_fp_ieee_underflow 0
		.amdhsa_exception_fp_ieee_inexact 0
		.amdhsa_exception_int_div_zero 0
	.end_amdhsa_kernel
	.section	.text._ZN7rocprim17ROCPRIM_400000_NS6detail17trampoline_kernelINS0_13select_configILj256ELj13ELNS0_17block_load_methodE3ELS4_3ELS4_3ELNS0_20block_scan_algorithmE0ELj4294967295EEENS1_25partition_config_selectorILNS1_17partition_subalgoE4EjNS0_10empty_typeEbEEZZNS1_14partition_implILS8_4ELb0ES6_15HIP_vector_typeIjLj2EENS0_17counting_iteratorIjlEEPS9_SG_NS0_5tupleIJPjSI_NS0_16reverse_iteratorISI_EEEEENSH_IJSG_SG_SG_EEES9_SI_JZNS1_25segmented_radix_sort_implINS0_14default_configELb0EPKsPsPKlPlN2at6native12_GLOBAL__N_18offset_tEEE10hipError_tPvRmT1_PNSt15iterator_traitsIS12_E10value_typeET2_T3_PNS13_IS18_E10value_typeET4_jRbjT5_S1E_jjP12ihipStream_tbEUljE_ZNSN_ISO_Lb0ESQ_SR_ST_SU_SY_EESZ_S10_S11_S12_S16_S17_S18_S1B_S1C_jS1D_jS1E_S1E_jjS1G_bEUljE0_EEESZ_S10_S11_S18_S1C_S1E_T6_T7_T9_mT8_S1G_bDpT10_ENKUlT_T0_E_clISt17integral_constantIbLb0EES1T_IbLb1EEEEDaS1P_S1Q_EUlS1P_E_NS1_11comp_targetILNS1_3genE8ELNS1_11target_archE1030ELNS1_3gpuE2ELNS1_3repE0EEENS1_30default_config_static_selectorELNS0_4arch9wavefront6targetE0EEEvS12_,"axG",@progbits,_ZN7rocprim17ROCPRIM_400000_NS6detail17trampoline_kernelINS0_13select_configILj256ELj13ELNS0_17block_load_methodE3ELS4_3ELS4_3ELNS0_20block_scan_algorithmE0ELj4294967295EEENS1_25partition_config_selectorILNS1_17partition_subalgoE4EjNS0_10empty_typeEbEEZZNS1_14partition_implILS8_4ELb0ES6_15HIP_vector_typeIjLj2EENS0_17counting_iteratorIjlEEPS9_SG_NS0_5tupleIJPjSI_NS0_16reverse_iteratorISI_EEEEENSH_IJSG_SG_SG_EEES9_SI_JZNS1_25segmented_radix_sort_implINS0_14default_configELb0EPKsPsPKlPlN2at6native12_GLOBAL__N_18offset_tEEE10hipError_tPvRmT1_PNSt15iterator_traitsIS12_E10value_typeET2_T3_PNS13_IS18_E10value_typeET4_jRbjT5_S1E_jjP12ihipStream_tbEUljE_ZNSN_ISO_Lb0ESQ_SR_ST_SU_SY_EESZ_S10_S11_S12_S16_S17_S18_S1B_S1C_jS1D_jS1E_S1E_jjS1G_bEUljE0_EEESZ_S10_S11_S18_S1C_S1E_T6_T7_T9_mT8_S1G_bDpT10_ENKUlT_T0_E_clISt17integral_constantIbLb0EES1T_IbLb1EEEEDaS1P_S1Q_EUlS1P_E_NS1_11comp_targetILNS1_3genE8ELNS1_11target_archE1030ELNS1_3gpuE2ELNS1_3repE0EEENS1_30default_config_static_selectorELNS0_4arch9wavefront6targetE0EEEvS12_,comdat
.Lfunc_end981:
	.size	_ZN7rocprim17ROCPRIM_400000_NS6detail17trampoline_kernelINS0_13select_configILj256ELj13ELNS0_17block_load_methodE3ELS4_3ELS4_3ELNS0_20block_scan_algorithmE0ELj4294967295EEENS1_25partition_config_selectorILNS1_17partition_subalgoE4EjNS0_10empty_typeEbEEZZNS1_14partition_implILS8_4ELb0ES6_15HIP_vector_typeIjLj2EENS0_17counting_iteratorIjlEEPS9_SG_NS0_5tupleIJPjSI_NS0_16reverse_iteratorISI_EEEEENSH_IJSG_SG_SG_EEES9_SI_JZNS1_25segmented_radix_sort_implINS0_14default_configELb0EPKsPsPKlPlN2at6native12_GLOBAL__N_18offset_tEEE10hipError_tPvRmT1_PNSt15iterator_traitsIS12_E10value_typeET2_T3_PNS13_IS18_E10value_typeET4_jRbjT5_S1E_jjP12ihipStream_tbEUljE_ZNSN_ISO_Lb0ESQ_SR_ST_SU_SY_EESZ_S10_S11_S12_S16_S17_S18_S1B_S1C_jS1D_jS1E_S1E_jjS1G_bEUljE0_EEESZ_S10_S11_S18_S1C_S1E_T6_T7_T9_mT8_S1G_bDpT10_ENKUlT_T0_E_clISt17integral_constantIbLb0EES1T_IbLb1EEEEDaS1P_S1Q_EUlS1P_E_NS1_11comp_targetILNS1_3genE8ELNS1_11target_archE1030ELNS1_3gpuE2ELNS1_3repE0EEENS1_30default_config_static_selectorELNS0_4arch9wavefront6targetE0EEEvS12_, .Lfunc_end981-_ZN7rocprim17ROCPRIM_400000_NS6detail17trampoline_kernelINS0_13select_configILj256ELj13ELNS0_17block_load_methodE3ELS4_3ELS4_3ELNS0_20block_scan_algorithmE0ELj4294967295EEENS1_25partition_config_selectorILNS1_17partition_subalgoE4EjNS0_10empty_typeEbEEZZNS1_14partition_implILS8_4ELb0ES6_15HIP_vector_typeIjLj2EENS0_17counting_iteratorIjlEEPS9_SG_NS0_5tupleIJPjSI_NS0_16reverse_iteratorISI_EEEEENSH_IJSG_SG_SG_EEES9_SI_JZNS1_25segmented_radix_sort_implINS0_14default_configELb0EPKsPsPKlPlN2at6native12_GLOBAL__N_18offset_tEEE10hipError_tPvRmT1_PNSt15iterator_traitsIS12_E10value_typeET2_T3_PNS13_IS18_E10value_typeET4_jRbjT5_S1E_jjP12ihipStream_tbEUljE_ZNSN_ISO_Lb0ESQ_SR_ST_SU_SY_EESZ_S10_S11_S12_S16_S17_S18_S1B_S1C_jS1D_jS1E_S1E_jjS1G_bEUljE0_EEESZ_S10_S11_S18_S1C_S1E_T6_T7_T9_mT8_S1G_bDpT10_ENKUlT_T0_E_clISt17integral_constantIbLb0EES1T_IbLb1EEEEDaS1P_S1Q_EUlS1P_E_NS1_11comp_targetILNS1_3genE8ELNS1_11target_archE1030ELNS1_3gpuE2ELNS1_3repE0EEENS1_30default_config_static_selectorELNS0_4arch9wavefront6targetE0EEEvS12_
                                        ; -- End function
	.set _ZN7rocprim17ROCPRIM_400000_NS6detail17trampoline_kernelINS0_13select_configILj256ELj13ELNS0_17block_load_methodE3ELS4_3ELS4_3ELNS0_20block_scan_algorithmE0ELj4294967295EEENS1_25partition_config_selectorILNS1_17partition_subalgoE4EjNS0_10empty_typeEbEEZZNS1_14partition_implILS8_4ELb0ES6_15HIP_vector_typeIjLj2EENS0_17counting_iteratorIjlEEPS9_SG_NS0_5tupleIJPjSI_NS0_16reverse_iteratorISI_EEEEENSH_IJSG_SG_SG_EEES9_SI_JZNS1_25segmented_radix_sort_implINS0_14default_configELb0EPKsPsPKlPlN2at6native12_GLOBAL__N_18offset_tEEE10hipError_tPvRmT1_PNSt15iterator_traitsIS12_E10value_typeET2_T3_PNS13_IS18_E10value_typeET4_jRbjT5_S1E_jjP12ihipStream_tbEUljE_ZNSN_ISO_Lb0ESQ_SR_ST_SU_SY_EESZ_S10_S11_S12_S16_S17_S18_S1B_S1C_jS1D_jS1E_S1E_jjS1G_bEUljE0_EEESZ_S10_S11_S18_S1C_S1E_T6_T7_T9_mT8_S1G_bDpT10_ENKUlT_T0_E_clISt17integral_constantIbLb0EES1T_IbLb1EEEEDaS1P_S1Q_EUlS1P_E_NS1_11comp_targetILNS1_3genE8ELNS1_11target_archE1030ELNS1_3gpuE2ELNS1_3repE0EEENS1_30default_config_static_selectorELNS0_4arch9wavefront6targetE0EEEvS12_.num_vgpr, 0
	.set _ZN7rocprim17ROCPRIM_400000_NS6detail17trampoline_kernelINS0_13select_configILj256ELj13ELNS0_17block_load_methodE3ELS4_3ELS4_3ELNS0_20block_scan_algorithmE0ELj4294967295EEENS1_25partition_config_selectorILNS1_17partition_subalgoE4EjNS0_10empty_typeEbEEZZNS1_14partition_implILS8_4ELb0ES6_15HIP_vector_typeIjLj2EENS0_17counting_iteratorIjlEEPS9_SG_NS0_5tupleIJPjSI_NS0_16reverse_iteratorISI_EEEEENSH_IJSG_SG_SG_EEES9_SI_JZNS1_25segmented_radix_sort_implINS0_14default_configELb0EPKsPsPKlPlN2at6native12_GLOBAL__N_18offset_tEEE10hipError_tPvRmT1_PNSt15iterator_traitsIS12_E10value_typeET2_T3_PNS13_IS18_E10value_typeET4_jRbjT5_S1E_jjP12ihipStream_tbEUljE_ZNSN_ISO_Lb0ESQ_SR_ST_SU_SY_EESZ_S10_S11_S12_S16_S17_S18_S1B_S1C_jS1D_jS1E_S1E_jjS1G_bEUljE0_EEESZ_S10_S11_S18_S1C_S1E_T6_T7_T9_mT8_S1G_bDpT10_ENKUlT_T0_E_clISt17integral_constantIbLb0EES1T_IbLb1EEEEDaS1P_S1Q_EUlS1P_E_NS1_11comp_targetILNS1_3genE8ELNS1_11target_archE1030ELNS1_3gpuE2ELNS1_3repE0EEENS1_30default_config_static_selectorELNS0_4arch9wavefront6targetE0EEEvS12_.num_agpr, 0
	.set _ZN7rocprim17ROCPRIM_400000_NS6detail17trampoline_kernelINS0_13select_configILj256ELj13ELNS0_17block_load_methodE3ELS4_3ELS4_3ELNS0_20block_scan_algorithmE0ELj4294967295EEENS1_25partition_config_selectorILNS1_17partition_subalgoE4EjNS0_10empty_typeEbEEZZNS1_14partition_implILS8_4ELb0ES6_15HIP_vector_typeIjLj2EENS0_17counting_iteratorIjlEEPS9_SG_NS0_5tupleIJPjSI_NS0_16reverse_iteratorISI_EEEEENSH_IJSG_SG_SG_EEES9_SI_JZNS1_25segmented_radix_sort_implINS0_14default_configELb0EPKsPsPKlPlN2at6native12_GLOBAL__N_18offset_tEEE10hipError_tPvRmT1_PNSt15iterator_traitsIS12_E10value_typeET2_T3_PNS13_IS18_E10value_typeET4_jRbjT5_S1E_jjP12ihipStream_tbEUljE_ZNSN_ISO_Lb0ESQ_SR_ST_SU_SY_EESZ_S10_S11_S12_S16_S17_S18_S1B_S1C_jS1D_jS1E_S1E_jjS1G_bEUljE0_EEESZ_S10_S11_S18_S1C_S1E_T6_T7_T9_mT8_S1G_bDpT10_ENKUlT_T0_E_clISt17integral_constantIbLb0EES1T_IbLb1EEEEDaS1P_S1Q_EUlS1P_E_NS1_11comp_targetILNS1_3genE8ELNS1_11target_archE1030ELNS1_3gpuE2ELNS1_3repE0EEENS1_30default_config_static_selectorELNS0_4arch9wavefront6targetE0EEEvS12_.numbered_sgpr, 0
	.set _ZN7rocprim17ROCPRIM_400000_NS6detail17trampoline_kernelINS0_13select_configILj256ELj13ELNS0_17block_load_methodE3ELS4_3ELS4_3ELNS0_20block_scan_algorithmE0ELj4294967295EEENS1_25partition_config_selectorILNS1_17partition_subalgoE4EjNS0_10empty_typeEbEEZZNS1_14partition_implILS8_4ELb0ES6_15HIP_vector_typeIjLj2EENS0_17counting_iteratorIjlEEPS9_SG_NS0_5tupleIJPjSI_NS0_16reverse_iteratorISI_EEEEENSH_IJSG_SG_SG_EEES9_SI_JZNS1_25segmented_radix_sort_implINS0_14default_configELb0EPKsPsPKlPlN2at6native12_GLOBAL__N_18offset_tEEE10hipError_tPvRmT1_PNSt15iterator_traitsIS12_E10value_typeET2_T3_PNS13_IS18_E10value_typeET4_jRbjT5_S1E_jjP12ihipStream_tbEUljE_ZNSN_ISO_Lb0ESQ_SR_ST_SU_SY_EESZ_S10_S11_S12_S16_S17_S18_S1B_S1C_jS1D_jS1E_S1E_jjS1G_bEUljE0_EEESZ_S10_S11_S18_S1C_S1E_T6_T7_T9_mT8_S1G_bDpT10_ENKUlT_T0_E_clISt17integral_constantIbLb0EES1T_IbLb1EEEEDaS1P_S1Q_EUlS1P_E_NS1_11comp_targetILNS1_3genE8ELNS1_11target_archE1030ELNS1_3gpuE2ELNS1_3repE0EEENS1_30default_config_static_selectorELNS0_4arch9wavefront6targetE0EEEvS12_.num_named_barrier, 0
	.set _ZN7rocprim17ROCPRIM_400000_NS6detail17trampoline_kernelINS0_13select_configILj256ELj13ELNS0_17block_load_methodE3ELS4_3ELS4_3ELNS0_20block_scan_algorithmE0ELj4294967295EEENS1_25partition_config_selectorILNS1_17partition_subalgoE4EjNS0_10empty_typeEbEEZZNS1_14partition_implILS8_4ELb0ES6_15HIP_vector_typeIjLj2EENS0_17counting_iteratorIjlEEPS9_SG_NS0_5tupleIJPjSI_NS0_16reverse_iteratorISI_EEEEENSH_IJSG_SG_SG_EEES9_SI_JZNS1_25segmented_radix_sort_implINS0_14default_configELb0EPKsPsPKlPlN2at6native12_GLOBAL__N_18offset_tEEE10hipError_tPvRmT1_PNSt15iterator_traitsIS12_E10value_typeET2_T3_PNS13_IS18_E10value_typeET4_jRbjT5_S1E_jjP12ihipStream_tbEUljE_ZNSN_ISO_Lb0ESQ_SR_ST_SU_SY_EESZ_S10_S11_S12_S16_S17_S18_S1B_S1C_jS1D_jS1E_S1E_jjS1G_bEUljE0_EEESZ_S10_S11_S18_S1C_S1E_T6_T7_T9_mT8_S1G_bDpT10_ENKUlT_T0_E_clISt17integral_constantIbLb0EES1T_IbLb1EEEEDaS1P_S1Q_EUlS1P_E_NS1_11comp_targetILNS1_3genE8ELNS1_11target_archE1030ELNS1_3gpuE2ELNS1_3repE0EEENS1_30default_config_static_selectorELNS0_4arch9wavefront6targetE0EEEvS12_.private_seg_size, 0
	.set _ZN7rocprim17ROCPRIM_400000_NS6detail17trampoline_kernelINS0_13select_configILj256ELj13ELNS0_17block_load_methodE3ELS4_3ELS4_3ELNS0_20block_scan_algorithmE0ELj4294967295EEENS1_25partition_config_selectorILNS1_17partition_subalgoE4EjNS0_10empty_typeEbEEZZNS1_14partition_implILS8_4ELb0ES6_15HIP_vector_typeIjLj2EENS0_17counting_iteratorIjlEEPS9_SG_NS0_5tupleIJPjSI_NS0_16reverse_iteratorISI_EEEEENSH_IJSG_SG_SG_EEES9_SI_JZNS1_25segmented_radix_sort_implINS0_14default_configELb0EPKsPsPKlPlN2at6native12_GLOBAL__N_18offset_tEEE10hipError_tPvRmT1_PNSt15iterator_traitsIS12_E10value_typeET2_T3_PNS13_IS18_E10value_typeET4_jRbjT5_S1E_jjP12ihipStream_tbEUljE_ZNSN_ISO_Lb0ESQ_SR_ST_SU_SY_EESZ_S10_S11_S12_S16_S17_S18_S1B_S1C_jS1D_jS1E_S1E_jjS1G_bEUljE0_EEESZ_S10_S11_S18_S1C_S1E_T6_T7_T9_mT8_S1G_bDpT10_ENKUlT_T0_E_clISt17integral_constantIbLb0EES1T_IbLb1EEEEDaS1P_S1Q_EUlS1P_E_NS1_11comp_targetILNS1_3genE8ELNS1_11target_archE1030ELNS1_3gpuE2ELNS1_3repE0EEENS1_30default_config_static_selectorELNS0_4arch9wavefront6targetE0EEEvS12_.uses_vcc, 0
	.set _ZN7rocprim17ROCPRIM_400000_NS6detail17trampoline_kernelINS0_13select_configILj256ELj13ELNS0_17block_load_methodE3ELS4_3ELS4_3ELNS0_20block_scan_algorithmE0ELj4294967295EEENS1_25partition_config_selectorILNS1_17partition_subalgoE4EjNS0_10empty_typeEbEEZZNS1_14partition_implILS8_4ELb0ES6_15HIP_vector_typeIjLj2EENS0_17counting_iteratorIjlEEPS9_SG_NS0_5tupleIJPjSI_NS0_16reverse_iteratorISI_EEEEENSH_IJSG_SG_SG_EEES9_SI_JZNS1_25segmented_radix_sort_implINS0_14default_configELb0EPKsPsPKlPlN2at6native12_GLOBAL__N_18offset_tEEE10hipError_tPvRmT1_PNSt15iterator_traitsIS12_E10value_typeET2_T3_PNS13_IS18_E10value_typeET4_jRbjT5_S1E_jjP12ihipStream_tbEUljE_ZNSN_ISO_Lb0ESQ_SR_ST_SU_SY_EESZ_S10_S11_S12_S16_S17_S18_S1B_S1C_jS1D_jS1E_S1E_jjS1G_bEUljE0_EEESZ_S10_S11_S18_S1C_S1E_T6_T7_T9_mT8_S1G_bDpT10_ENKUlT_T0_E_clISt17integral_constantIbLb0EES1T_IbLb1EEEEDaS1P_S1Q_EUlS1P_E_NS1_11comp_targetILNS1_3genE8ELNS1_11target_archE1030ELNS1_3gpuE2ELNS1_3repE0EEENS1_30default_config_static_selectorELNS0_4arch9wavefront6targetE0EEEvS12_.uses_flat_scratch, 0
	.set _ZN7rocprim17ROCPRIM_400000_NS6detail17trampoline_kernelINS0_13select_configILj256ELj13ELNS0_17block_load_methodE3ELS4_3ELS4_3ELNS0_20block_scan_algorithmE0ELj4294967295EEENS1_25partition_config_selectorILNS1_17partition_subalgoE4EjNS0_10empty_typeEbEEZZNS1_14partition_implILS8_4ELb0ES6_15HIP_vector_typeIjLj2EENS0_17counting_iteratorIjlEEPS9_SG_NS0_5tupleIJPjSI_NS0_16reverse_iteratorISI_EEEEENSH_IJSG_SG_SG_EEES9_SI_JZNS1_25segmented_radix_sort_implINS0_14default_configELb0EPKsPsPKlPlN2at6native12_GLOBAL__N_18offset_tEEE10hipError_tPvRmT1_PNSt15iterator_traitsIS12_E10value_typeET2_T3_PNS13_IS18_E10value_typeET4_jRbjT5_S1E_jjP12ihipStream_tbEUljE_ZNSN_ISO_Lb0ESQ_SR_ST_SU_SY_EESZ_S10_S11_S12_S16_S17_S18_S1B_S1C_jS1D_jS1E_S1E_jjS1G_bEUljE0_EEESZ_S10_S11_S18_S1C_S1E_T6_T7_T9_mT8_S1G_bDpT10_ENKUlT_T0_E_clISt17integral_constantIbLb0EES1T_IbLb1EEEEDaS1P_S1Q_EUlS1P_E_NS1_11comp_targetILNS1_3genE8ELNS1_11target_archE1030ELNS1_3gpuE2ELNS1_3repE0EEENS1_30default_config_static_selectorELNS0_4arch9wavefront6targetE0EEEvS12_.has_dyn_sized_stack, 0
	.set _ZN7rocprim17ROCPRIM_400000_NS6detail17trampoline_kernelINS0_13select_configILj256ELj13ELNS0_17block_load_methodE3ELS4_3ELS4_3ELNS0_20block_scan_algorithmE0ELj4294967295EEENS1_25partition_config_selectorILNS1_17partition_subalgoE4EjNS0_10empty_typeEbEEZZNS1_14partition_implILS8_4ELb0ES6_15HIP_vector_typeIjLj2EENS0_17counting_iteratorIjlEEPS9_SG_NS0_5tupleIJPjSI_NS0_16reverse_iteratorISI_EEEEENSH_IJSG_SG_SG_EEES9_SI_JZNS1_25segmented_radix_sort_implINS0_14default_configELb0EPKsPsPKlPlN2at6native12_GLOBAL__N_18offset_tEEE10hipError_tPvRmT1_PNSt15iterator_traitsIS12_E10value_typeET2_T3_PNS13_IS18_E10value_typeET4_jRbjT5_S1E_jjP12ihipStream_tbEUljE_ZNSN_ISO_Lb0ESQ_SR_ST_SU_SY_EESZ_S10_S11_S12_S16_S17_S18_S1B_S1C_jS1D_jS1E_S1E_jjS1G_bEUljE0_EEESZ_S10_S11_S18_S1C_S1E_T6_T7_T9_mT8_S1G_bDpT10_ENKUlT_T0_E_clISt17integral_constantIbLb0EES1T_IbLb1EEEEDaS1P_S1Q_EUlS1P_E_NS1_11comp_targetILNS1_3genE8ELNS1_11target_archE1030ELNS1_3gpuE2ELNS1_3repE0EEENS1_30default_config_static_selectorELNS0_4arch9wavefront6targetE0EEEvS12_.has_recursion, 0
	.set _ZN7rocprim17ROCPRIM_400000_NS6detail17trampoline_kernelINS0_13select_configILj256ELj13ELNS0_17block_load_methodE3ELS4_3ELS4_3ELNS0_20block_scan_algorithmE0ELj4294967295EEENS1_25partition_config_selectorILNS1_17partition_subalgoE4EjNS0_10empty_typeEbEEZZNS1_14partition_implILS8_4ELb0ES6_15HIP_vector_typeIjLj2EENS0_17counting_iteratorIjlEEPS9_SG_NS0_5tupleIJPjSI_NS0_16reverse_iteratorISI_EEEEENSH_IJSG_SG_SG_EEES9_SI_JZNS1_25segmented_radix_sort_implINS0_14default_configELb0EPKsPsPKlPlN2at6native12_GLOBAL__N_18offset_tEEE10hipError_tPvRmT1_PNSt15iterator_traitsIS12_E10value_typeET2_T3_PNS13_IS18_E10value_typeET4_jRbjT5_S1E_jjP12ihipStream_tbEUljE_ZNSN_ISO_Lb0ESQ_SR_ST_SU_SY_EESZ_S10_S11_S12_S16_S17_S18_S1B_S1C_jS1D_jS1E_S1E_jjS1G_bEUljE0_EEESZ_S10_S11_S18_S1C_S1E_T6_T7_T9_mT8_S1G_bDpT10_ENKUlT_T0_E_clISt17integral_constantIbLb0EES1T_IbLb1EEEEDaS1P_S1Q_EUlS1P_E_NS1_11comp_targetILNS1_3genE8ELNS1_11target_archE1030ELNS1_3gpuE2ELNS1_3repE0EEENS1_30default_config_static_selectorELNS0_4arch9wavefront6targetE0EEEvS12_.has_indirect_call, 0
	.section	.AMDGPU.csdata,"",@progbits
; Kernel info:
; codeLenInByte = 0
; TotalNumSgprs: 0
; NumVgprs: 0
; ScratchSize: 0
; MemoryBound: 0
; FloatMode: 240
; IeeeMode: 1
; LDSByteSize: 0 bytes/workgroup (compile time only)
; SGPRBlocks: 0
; VGPRBlocks: 0
; NumSGPRsForWavesPerEU: 1
; NumVGPRsForWavesPerEU: 1
; Occupancy: 16
; WaveLimiterHint : 0
; COMPUTE_PGM_RSRC2:SCRATCH_EN: 0
; COMPUTE_PGM_RSRC2:USER_SGPR: 2
; COMPUTE_PGM_RSRC2:TRAP_HANDLER: 0
; COMPUTE_PGM_RSRC2:TGID_X_EN: 1
; COMPUTE_PGM_RSRC2:TGID_Y_EN: 0
; COMPUTE_PGM_RSRC2:TGID_Z_EN: 0
; COMPUTE_PGM_RSRC2:TIDIG_COMP_CNT: 0
	.section	.text._ZN7rocprim17ROCPRIM_400000_NS6detail17trampoline_kernelINS0_13select_configILj256ELj13ELNS0_17block_load_methodE3ELS4_3ELS4_3ELNS0_20block_scan_algorithmE0ELj4294967295EEENS1_25partition_config_selectorILNS1_17partition_subalgoE3EjNS0_10empty_typeEbEEZZNS1_14partition_implILS8_3ELb0ES6_jNS0_17counting_iteratorIjlEEPS9_SE_NS0_5tupleIJPjSE_EEENSF_IJSE_SE_EEES9_SG_JZNS1_25segmented_radix_sort_implINS0_14default_configELb0EPKsPsPKlPlN2at6native12_GLOBAL__N_18offset_tEEE10hipError_tPvRmT1_PNSt15iterator_traitsISY_E10value_typeET2_T3_PNSZ_IS14_E10value_typeET4_jRbjT5_S1A_jjP12ihipStream_tbEUljE_EEESV_SW_SX_S14_S18_S1A_T6_T7_T9_mT8_S1C_bDpT10_ENKUlT_T0_E_clISt17integral_constantIbLb0EES1P_EEDaS1K_S1L_EUlS1K_E_NS1_11comp_targetILNS1_3genE0ELNS1_11target_archE4294967295ELNS1_3gpuE0ELNS1_3repE0EEENS1_30default_config_static_selectorELNS0_4arch9wavefront6targetE0EEEvSY_,"axG",@progbits,_ZN7rocprim17ROCPRIM_400000_NS6detail17trampoline_kernelINS0_13select_configILj256ELj13ELNS0_17block_load_methodE3ELS4_3ELS4_3ELNS0_20block_scan_algorithmE0ELj4294967295EEENS1_25partition_config_selectorILNS1_17partition_subalgoE3EjNS0_10empty_typeEbEEZZNS1_14partition_implILS8_3ELb0ES6_jNS0_17counting_iteratorIjlEEPS9_SE_NS0_5tupleIJPjSE_EEENSF_IJSE_SE_EEES9_SG_JZNS1_25segmented_radix_sort_implINS0_14default_configELb0EPKsPsPKlPlN2at6native12_GLOBAL__N_18offset_tEEE10hipError_tPvRmT1_PNSt15iterator_traitsISY_E10value_typeET2_T3_PNSZ_IS14_E10value_typeET4_jRbjT5_S1A_jjP12ihipStream_tbEUljE_EEESV_SW_SX_S14_S18_S1A_T6_T7_T9_mT8_S1C_bDpT10_ENKUlT_T0_E_clISt17integral_constantIbLb0EES1P_EEDaS1K_S1L_EUlS1K_E_NS1_11comp_targetILNS1_3genE0ELNS1_11target_archE4294967295ELNS1_3gpuE0ELNS1_3repE0EEENS1_30default_config_static_selectorELNS0_4arch9wavefront6targetE0EEEvSY_,comdat
	.globl	_ZN7rocprim17ROCPRIM_400000_NS6detail17trampoline_kernelINS0_13select_configILj256ELj13ELNS0_17block_load_methodE3ELS4_3ELS4_3ELNS0_20block_scan_algorithmE0ELj4294967295EEENS1_25partition_config_selectorILNS1_17partition_subalgoE3EjNS0_10empty_typeEbEEZZNS1_14partition_implILS8_3ELb0ES6_jNS0_17counting_iteratorIjlEEPS9_SE_NS0_5tupleIJPjSE_EEENSF_IJSE_SE_EEES9_SG_JZNS1_25segmented_radix_sort_implINS0_14default_configELb0EPKsPsPKlPlN2at6native12_GLOBAL__N_18offset_tEEE10hipError_tPvRmT1_PNSt15iterator_traitsISY_E10value_typeET2_T3_PNSZ_IS14_E10value_typeET4_jRbjT5_S1A_jjP12ihipStream_tbEUljE_EEESV_SW_SX_S14_S18_S1A_T6_T7_T9_mT8_S1C_bDpT10_ENKUlT_T0_E_clISt17integral_constantIbLb0EES1P_EEDaS1K_S1L_EUlS1K_E_NS1_11comp_targetILNS1_3genE0ELNS1_11target_archE4294967295ELNS1_3gpuE0ELNS1_3repE0EEENS1_30default_config_static_selectorELNS0_4arch9wavefront6targetE0EEEvSY_ ; -- Begin function _ZN7rocprim17ROCPRIM_400000_NS6detail17trampoline_kernelINS0_13select_configILj256ELj13ELNS0_17block_load_methodE3ELS4_3ELS4_3ELNS0_20block_scan_algorithmE0ELj4294967295EEENS1_25partition_config_selectorILNS1_17partition_subalgoE3EjNS0_10empty_typeEbEEZZNS1_14partition_implILS8_3ELb0ES6_jNS0_17counting_iteratorIjlEEPS9_SE_NS0_5tupleIJPjSE_EEENSF_IJSE_SE_EEES9_SG_JZNS1_25segmented_radix_sort_implINS0_14default_configELb0EPKsPsPKlPlN2at6native12_GLOBAL__N_18offset_tEEE10hipError_tPvRmT1_PNSt15iterator_traitsISY_E10value_typeET2_T3_PNSZ_IS14_E10value_typeET4_jRbjT5_S1A_jjP12ihipStream_tbEUljE_EEESV_SW_SX_S14_S18_S1A_T6_T7_T9_mT8_S1C_bDpT10_ENKUlT_T0_E_clISt17integral_constantIbLb0EES1P_EEDaS1K_S1L_EUlS1K_E_NS1_11comp_targetILNS1_3genE0ELNS1_11target_archE4294967295ELNS1_3gpuE0ELNS1_3repE0EEENS1_30default_config_static_selectorELNS0_4arch9wavefront6targetE0EEEvSY_
	.p2align	8
	.type	_ZN7rocprim17ROCPRIM_400000_NS6detail17trampoline_kernelINS0_13select_configILj256ELj13ELNS0_17block_load_methodE3ELS4_3ELS4_3ELNS0_20block_scan_algorithmE0ELj4294967295EEENS1_25partition_config_selectorILNS1_17partition_subalgoE3EjNS0_10empty_typeEbEEZZNS1_14partition_implILS8_3ELb0ES6_jNS0_17counting_iteratorIjlEEPS9_SE_NS0_5tupleIJPjSE_EEENSF_IJSE_SE_EEES9_SG_JZNS1_25segmented_radix_sort_implINS0_14default_configELb0EPKsPsPKlPlN2at6native12_GLOBAL__N_18offset_tEEE10hipError_tPvRmT1_PNSt15iterator_traitsISY_E10value_typeET2_T3_PNSZ_IS14_E10value_typeET4_jRbjT5_S1A_jjP12ihipStream_tbEUljE_EEESV_SW_SX_S14_S18_S1A_T6_T7_T9_mT8_S1C_bDpT10_ENKUlT_T0_E_clISt17integral_constantIbLb0EES1P_EEDaS1K_S1L_EUlS1K_E_NS1_11comp_targetILNS1_3genE0ELNS1_11target_archE4294967295ELNS1_3gpuE0ELNS1_3repE0EEENS1_30default_config_static_selectorELNS0_4arch9wavefront6targetE0EEEvSY_,@function
_ZN7rocprim17ROCPRIM_400000_NS6detail17trampoline_kernelINS0_13select_configILj256ELj13ELNS0_17block_load_methodE3ELS4_3ELS4_3ELNS0_20block_scan_algorithmE0ELj4294967295EEENS1_25partition_config_selectorILNS1_17partition_subalgoE3EjNS0_10empty_typeEbEEZZNS1_14partition_implILS8_3ELb0ES6_jNS0_17counting_iteratorIjlEEPS9_SE_NS0_5tupleIJPjSE_EEENSF_IJSE_SE_EEES9_SG_JZNS1_25segmented_radix_sort_implINS0_14default_configELb0EPKsPsPKlPlN2at6native12_GLOBAL__N_18offset_tEEE10hipError_tPvRmT1_PNSt15iterator_traitsISY_E10value_typeET2_T3_PNSZ_IS14_E10value_typeET4_jRbjT5_S1A_jjP12ihipStream_tbEUljE_EEESV_SW_SX_S14_S18_S1A_T6_T7_T9_mT8_S1C_bDpT10_ENKUlT_T0_E_clISt17integral_constantIbLb0EES1P_EEDaS1K_S1L_EUlS1K_E_NS1_11comp_targetILNS1_3genE0ELNS1_11target_archE4294967295ELNS1_3gpuE0ELNS1_3repE0EEENS1_30default_config_static_selectorELNS0_4arch9wavefront6targetE0EEEvSY_: ; @_ZN7rocprim17ROCPRIM_400000_NS6detail17trampoline_kernelINS0_13select_configILj256ELj13ELNS0_17block_load_methodE3ELS4_3ELS4_3ELNS0_20block_scan_algorithmE0ELj4294967295EEENS1_25partition_config_selectorILNS1_17partition_subalgoE3EjNS0_10empty_typeEbEEZZNS1_14partition_implILS8_3ELb0ES6_jNS0_17counting_iteratorIjlEEPS9_SE_NS0_5tupleIJPjSE_EEENSF_IJSE_SE_EEES9_SG_JZNS1_25segmented_radix_sort_implINS0_14default_configELb0EPKsPsPKlPlN2at6native12_GLOBAL__N_18offset_tEEE10hipError_tPvRmT1_PNSt15iterator_traitsISY_E10value_typeET2_T3_PNSZ_IS14_E10value_typeET4_jRbjT5_S1A_jjP12ihipStream_tbEUljE_EEESV_SW_SX_S14_S18_S1A_T6_T7_T9_mT8_S1C_bDpT10_ENKUlT_T0_E_clISt17integral_constantIbLb0EES1P_EEDaS1K_S1L_EUlS1K_E_NS1_11comp_targetILNS1_3genE0ELNS1_11target_archE4294967295ELNS1_3gpuE0ELNS1_3repE0EEENS1_30default_config_static_selectorELNS0_4arch9wavefront6targetE0EEEvSY_
; %bb.0:
	.section	.rodata,"a",@progbits
	.p2align	6, 0x0
	.amdhsa_kernel _ZN7rocprim17ROCPRIM_400000_NS6detail17trampoline_kernelINS0_13select_configILj256ELj13ELNS0_17block_load_methodE3ELS4_3ELS4_3ELNS0_20block_scan_algorithmE0ELj4294967295EEENS1_25partition_config_selectorILNS1_17partition_subalgoE3EjNS0_10empty_typeEbEEZZNS1_14partition_implILS8_3ELb0ES6_jNS0_17counting_iteratorIjlEEPS9_SE_NS0_5tupleIJPjSE_EEENSF_IJSE_SE_EEES9_SG_JZNS1_25segmented_radix_sort_implINS0_14default_configELb0EPKsPsPKlPlN2at6native12_GLOBAL__N_18offset_tEEE10hipError_tPvRmT1_PNSt15iterator_traitsISY_E10value_typeET2_T3_PNSZ_IS14_E10value_typeET4_jRbjT5_S1A_jjP12ihipStream_tbEUljE_EEESV_SW_SX_S14_S18_S1A_T6_T7_T9_mT8_S1C_bDpT10_ENKUlT_T0_E_clISt17integral_constantIbLb0EES1P_EEDaS1K_S1L_EUlS1K_E_NS1_11comp_targetILNS1_3genE0ELNS1_11target_archE4294967295ELNS1_3gpuE0ELNS1_3repE0EEENS1_30default_config_static_selectorELNS0_4arch9wavefront6targetE0EEEvSY_
		.amdhsa_group_segment_fixed_size 0
		.amdhsa_private_segment_fixed_size 0
		.amdhsa_kernarg_size 144
		.amdhsa_user_sgpr_count 2
		.amdhsa_user_sgpr_dispatch_ptr 0
		.amdhsa_user_sgpr_queue_ptr 0
		.amdhsa_user_sgpr_kernarg_segment_ptr 1
		.amdhsa_user_sgpr_dispatch_id 0
		.amdhsa_user_sgpr_private_segment_size 0
		.amdhsa_wavefront_size32 1
		.amdhsa_uses_dynamic_stack 0
		.amdhsa_enable_private_segment 0
		.amdhsa_system_sgpr_workgroup_id_x 1
		.amdhsa_system_sgpr_workgroup_id_y 0
		.amdhsa_system_sgpr_workgroup_id_z 0
		.amdhsa_system_sgpr_workgroup_info 0
		.amdhsa_system_vgpr_workitem_id 0
		.amdhsa_next_free_vgpr 1
		.amdhsa_next_free_sgpr 1
		.amdhsa_reserve_vcc 0
		.amdhsa_float_round_mode_32 0
		.amdhsa_float_round_mode_16_64 0
		.amdhsa_float_denorm_mode_32 3
		.amdhsa_float_denorm_mode_16_64 3
		.amdhsa_fp16_overflow 0
		.amdhsa_workgroup_processor_mode 1
		.amdhsa_memory_ordered 1
		.amdhsa_forward_progress 1
		.amdhsa_inst_pref_size 0
		.amdhsa_round_robin_scheduling 0
		.amdhsa_exception_fp_ieee_invalid_op 0
		.amdhsa_exception_fp_denorm_src 0
		.amdhsa_exception_fp_ieee_div_zero 0
		.amdhsa_exception_fp_ieee_overflow 0
		.amdhsa_exception_fp_ieee_underflow 0
		.amdhsa_exception_fp_ieee_inexact 0
		.amdhsa_exception_int_div_zero 0
	.end_amdhsa_kernel
	.section	.text._ZN7rocprim17ROCPRIM_400000_NS6detail17trampoline_kernelINS0_13select_configILj256ELj13ELNS0_17block_load_methodE3ELS4_3ELS4_3ELNS0_20block_scan_algorithmE0ELj4294967295EEENS1_25partition_config_selectorILNS1_17partition_subalgoE3EjNS0_10empty_typeEbEEZZNS1_14partition_implILS8_3ELb0ES6_jNS0_17counting_iteratorIjlEEPS9_SE_NS0_5tupleIJPjSE_EEENSF_IJSE_SE_EEES9_SG_JZNS1_25segmented_radix_sort_implINS0_14default_configELb0EPKsPsPKlPlN2at6native12_GLOBAL__N_18offset_tEEE10hipError_tPvRmT1_PNSt15iterator_traitsISY_E10value_typeET2_T3_PNSZ_IS14_E10value_typeET4_jRbjT5_S1A_jjP12ihipStream_tbEUljE_EEESV_SW_SX_S14_S18_S1A_T6_T7_T9_mT8_S1C_bDpT10_ENKUlT_T0_E_clISt17integral_constantIbLb0EES1P_EEDaS1K_S1L_EUlS1K_E_NS1_11comp_targetILNS1_3genE0ELNS1_11target_archE4294967295ELNS1_3gpuE0ELNS1_3repE0EEENS1_30default_config_static_selectorELNS0_4arch9wavefront6targetE0EEEvSY_,"axG",@progbits,_ZN7rocprim17ROCPRIM_400000_NS6detail17trampoline_kernelINS0_13select_configILj256ELj13ELNS0_17block_load_methodE3ELS4_3ELS4_3ELNS0_20block_scan_algorithmE0ELj4294967295EEENS1_25partition_config_selectorILNS1_17partition_subalgoE3EjNS0_10empty_typeEbEEZZNS1_14partition_implILS8_3ELb0ES6_jNS0_17counting_iteratorIjlEEPS9_SE_NS0_5tupleIJPjSE_EEENSF_IJSE_SE_EEES9_SG_JZNS1_25segmented_radix_sort_implINS0_14default_configELb0EPKsPsPKlPlN2at6native12_GLOBAL__N_18offset_tEEE10hipError_tPvRmT1_PNSt15iterator_traitsISY_E10value_typeET2_T3_PNSZ_IS14_E10value_typeET4_jRbjT5_S1A_jjP12ihipStream_tbEUljE_EEESV_SW_SX_S14_S18_S1A_T6_T7_T9_mT8_S1C_bDpT10_ENKUlT_T0_E_clISt17integral_constantIbLb0EES1P_EEDaS1K_S1L_EUlS1K_E_NS1_11comp_targetILNS1_3genE0ELNS1_11target_archE4294967295ELNS1_3gpuE0ELNS1_3repE0EEENS1_30default_config_static_selectorELNS0_4arch9wavefront6targetE0EEEvSY_,comdat
.Lfunc_end982:
	.size	_ZN7rocprim17ROCPRIM_400000_NS6detail17trampoline_kernelINS0_13select_configILj256ELj13ELNS0_17block_load_methodE3ELS4_3ELS4_3ELNS0_20block_scan_algorithmE0ELj4294967295EEENS1_25partition_config_selectorILNS1_17partition_subalgoE3EjNS0_10empty_typeEbEEZZNS1_14partition_implILS8_3ELb0ES6_jNS0_17counting_iteratorIjlEEPS9_SE_NS0_5tupleIJPjSE_EEENSF_IJSE_SE_EEES9_SG_JZNS1_25segmented_radix_sort_implINS0_14default_configELb0EPKsPsPKlPlN2at6native12_GLOBAL__N_18offset_tEEE10hipError_tPvRmT1_PNSt15iterator_traitsISY_E10value_typeET2_T3_PNSZ_IS14_E10value_typeET4_jRbjT5_S1A_jjP12ihipStream_tbEUljE_EEESV_SW_SX_S14_S18_S1A_T6_T7_T9_mT8_S1C_bDpT10_ENKUlT_T0_E_clISt17integral_constantIbLb0EES1P_EEDaS1K_S1L_EUlS1K_E_NS1_11comp_targetILNS1_3genE0ELNS1_11target_archE4294967295ELNS1_3gpuE0ELNS1_3repE0EEENS1_30default_config_static_selectorELNS0_4arch9wavefront6targetE0EEEvSY_, .Lfunc_end982-_ZN7rocprim17ROCPRIM_400000_NS6detail17trampoline_kernelINS0_13select_configILj256ELj13ELNS0_17block_load_methodE3ELS4_3ELS4_3ELNS0_20block_scan_algorithmE0ELj4294967295EEENS1_25partition_config_selectorILNS1_17partition_subalgoE3EjNS0_10empty_typeEbEEZZNS1_14partition_implILS8_3ELb0ES6_jNS0_17counting_iteratorIjlEEPS9_SE_NS0_5tupleIJPjSE_EEENSF_IJSE_SE_EEES9_SG_JZNS1_25segmented_radix_sort_implINS0_14default_configELb0EPKsPsPKlPlN2at6native12_GLOBAL__N_18offset_tEEE10hipError_tPvRmT1_PNSt15iterator_traitsISY_E10value_typeET2_T3_PNSZ_IS14_E10value_typeET4_jRbjT5_S1A_jjP12ihipStream_tbEUljE_EEESV_SW_SX_S14_S18_S1A_T6_T7_T9_mT8_S1C_bDpT10_ENKUlT_T0_E_clISt17integral_constantIbLb0EES1P_EEDaS1K_S1L_EUlS1K_E_NS1_11comp_targetILNS1_3genE0ELNS1_11target_archE4294967295ELNS1_3gpuE0ELNS1_3repE0EEENS1_30default_config_static_selectorELNS0_4arch9wavefront6targetE0EEEvSY_
                                        ; -- End function
	.set _ZN7rocprim17ROCPRIM_400000_NS6detail17trampoline_kernelINS0_13select_configILj256ELj13ELNS0_17block_load_methodE3ELS4_3ELS4_3ELNS0_20block_scan_algorithmE0ELj4294967295EEENS1_25partition_config_selectorILNS1_17partition_subalgoE3EjNS0_10empty_typeEbEEZZNS1_14partition_implILS8_3ELb0ES6_jNS0_17counting_iteratorIjlEEPS9_SE_NS0_5tupleIJPjSE_EEENSF_IJSE_SE_EEES9_SG_JZNS1_25segmented_radix_sort_implINS0_14default_configELb0EPKsPsPKlPlN2at6native12_GLOBAL__N_18offset_tEEE10hipError_tPvRmT1_PNSt15iterator_traitsISY_E10value_typeET2_T3_PNSZ_IS14_E10value_typeET4_jRbjT5_S1A_jjP12ihipStream_tbEUljE_EEESV_SW_SX_S14_S18_S1A_T6_T7_T9_mT8_S1C_bDpT10_ENKUlT_T0_E_clISt17integral_constantIbLb0EES1P_EEDaS1K_S1L_EUlS1K_E_NS1_11comp_targetILNS1_3genE0ELNS1_11target_archE4294967295ELNS1_3gpuE0ELNS1_3repE0EEENS1_30default_config_static_selectorELNS0_4arch9wavefront6targetE0EEEvSY_.num_vgpr, 0
	.set _ZN7rocprim17ROCPRIM_400000_NS6detail17trampoline_kernelINS0_13select_configILj256ELj13ELNS0_17block_load_methodE3ELS4_3ELS4_3ELNS0_20block_scan_algorithmE0ELj4294967295EEENS1_25partition_config_selectorILNS1_17partition_subalgoE3EjNS0_10empty_typeEbEEZZNS1_14partition_implILS8_3ELb0ES6_jNS0_17counting_iteratorIjlEEPS9_SE_NS0_5tupleIJPjSE_EEENSF_IJSE_SE_EEES9_SG_JZNS1_25segmented_radix_sort_implINS0_14default_configELb0EPKsPsPKlPlN2at6native12_GLOBAL__N_18offset_tEEE10hipError_tPvRmT1_PNSt15iterator_traitsISY_E10value_typeET2_T3_PNSZ_IS14_E10value_typeET4_jRbjT5_S1A_jjP12ihipStream_tbEUljE_EEESV_SW_SX_S14_S18_S1A_T6_T7_T9_mT8_S1C_bDpT10_ENKUlT_T0_E_clISt17integral_constantIbLb0EES1P_EEDaS1K_S1L_EUlS1K_E_NS1_11comp_targetILNS1_3genE0ELNS1_11target_archE4294967295ELNS1_3gpuE0ELNS1_3repE0EEENS1_30default_config_static_selectorELNS0_4arch9wavefront6targetE0EEEvSY_.num_agpr, 0
	.set _ZN7rocprim17ROCPRIM_400000_NS6detail17trampoline_kernelINS0_13select_configILj256ELj13ELNS0_17block_load_methodE3ELS4_3ELS4_3ELNS0_20block_scan_algorithmE0ELj4294967295EEENS1_25partition_config_selectorILNS1_17partition_subalgoE3EjNS0_10empty_typeEbEEZZNS1_14partition_implILS8_3ELb0ES6_jNS0_17counting_iteratorIjlEEPS9_SE_NS0_5tupleIJPjSE_EEENSF_IJSE_SE_EEES9_SG_JZNS1_25segmented_radix_sort_implINS0_14default_configELb0EPKsPsPKlPlN2at6native12_GLOBAL__N_18offset_tEEE10hipError_tPvRmT1_PNSt15iterator_traitsISY_E10value_typeET2_T3_PNSZ_IS14_E10value_typeET4_jRbjT5_S1A_jjP12ihipStream_tbEUljE_EEESV_SW_SX_S14_S18_S1A_T6_T7_T9_mT8_S1C_bDpT10_ENKUlT_T0_E_clISt17integral_constantIbLb0EES1P_EEDaS1K_S1L_EUlS1K_E_NS1_11comp_targetILNS1_3genE0ELNS1_11target_archE4294967295ELNS1_3gpuE0ELNS1_3repE0EEENS1_30default_config_static_selectorELNS0_4arch9wavefront6targetE0EEEvSY_.numbered_sgpr, 0
	.set _ZN7rocprim17ROCPRIM_400000_NS6detail17trampoline_kernelINS0_13select_configILj256ELj13ELNS0_17block_load_methodE3ELS4_3ELS4_3ELNS0_20block_scan_algorithmE0ELj4294967295EEENS1_25partition_config_selectorILNS1_17partition_subalgoE3EjNS0_10empty_typeEbEEZZNS1_14partition_implILS8_3ELb0ES6_jNS0_17counting_iteratorIjlEEPS9_SE_NS0_5tupleIJPjSE_EEENSF_IJSE_SE_EEES9_SG_JZNS1_25segmented_radix_sort_implINS0_14default_configELb0EPKsPsPKlPlN2at6native12_GLOBAL__N_18offset_tEEE10hipError_tPvRmT1_PNSt15iterator_traitsISY_E10value_typeET2_T3_PNSZ_IS14_E10value_typeET4_jRbjT5_S1A_jjP12ihipStream_tbEUljE_EEESV_SW_SX_S14_S18_S1A_T6_T7_T9_mT8_S1C_bDpT10_ENKUlT_T0_E_clISt17integral_constantIbLb0EES1P_EEDaS1K_S1L_EUlS1K_E_NS1_11comp_targetILNS1_3genE0ELNS1_11target_archE4294967295ELNS1_3gpuE0ELNS1_3repE0EEENS1_30default_config_static_selectorELNS0_4arch9wavefront6targetE0EEEvSY_.num_named_barrier, 0
	.set _ZN7rocprim17ROCPRIM_400000_NS6detail17trampoline_kernelINS0_13select_configILj256ELj13ELNS0_17block_load_methodE3ELS4_3ELS4_3ELNS0_20block_scan_algorithmE0ELj4294967295EEENS1_25partition_config_selectorILNS1_17partition_subalgoE3EjNS0_10empty_typeEbEEZZNS1_14partition_implILS8_3ELb0ES6_jNS0_17counting_iteratorIjlEEPS9_SE_NS0_5tupleIJPjSE_EEENSF_IJSE_SE_EEES9_SG_JZNS1_25segmented_radix_sort_implINS0_14default_configELb0EPKsPsPKlPlN2at6native12_GLOBAL__N_18offset_tEEE10hipError_tPvRmT1_PNSt15iterator_traitsISY_E10value_typeET2_T3_PNSZ_IS14_E10value_typeET4_jRbjT5_S1A_jjP12ihipStream_tbEUljE_EEESV_SW_SX_S14_S18_S1A_T6_T7_T9_mT8_S1C_bDpT10_ENKUlT_T0_E_clISt17integral_constantIbLb0EES1P_EEDaS1K_S1L_EUlS1K_E_NS1_11comp_targetILNS1_3genE0ELNS1_11target_archE4294967295ELNS1_3gpuE0ELNS1_3repE0EEENS1_30default_config_static_selectorELNS0_4arch9wavefront6targetE0EEEvSY_.private_seg_size, 0
	.set _ZN7rocprim17ROCPRIM_400000_NS6detail17trampoline_kernelINS0_13select_configILj256ELj13ELNS0_17block_load_methodE3ELS4_3ELS4_3ELNS0_20block_scan_algorithmE0ELj4294967295EEENS1_25partition_config_selectorILNS1_17partition_subalgoE3EjNS0_10empty_typeEbEEZZNS1_14partition_implILS8_3ELb0ES6_jNS0_17counting_iteratorIjlEEPS9_SE_NS0_5tupleIJPjSE_EEENSF_IJSE_SE_EEES9_SG_JZNS1_25segmented_radix_sort_implINS0_14default_configELb0EPKsPsPKlPlN2at6native12_GLOBAL__N_18offset_tEEE10hipError_tPvRmT1_PNSt15iterator_traitsISY_E10value_typeET2_T3_PNSZ_IS14_E10value_typeET4_jRbjT5_S1A_jjP12ihipStream_tbEUljE_EEESV_SW_SX_S14_S18_S1A_T6_T7_T9_mT8_S1C_bDpT10_ENKUlT_T0_E_clISt17integral_constantIbLb0EES1P_EEDaS1K_S1L_EUlS1K_E_NS1_11comp_targetILNS1_3genE0ELNS1_11target_archE4294967295ELNS1_3gpuE0ELNS1_3repE0EEENS1_30default_config_static_selectorELNS0_4arch9wavefront6targetE0EEEvSY_.uses_vcc, 0
	.set _ZN7rocprim17ROCPRIM_400000_NS6detail17trampoline_kernelINS0_13select_configILj256ELj13ELNS0_17block_load_methodE3ELS4_3ELS4_3ELNS0_20block_scan_algorithmE0ELj4294967295EEENS1_25partition_config_selectorILNS1_17partition_subalgoE3EjNS0_10empty_typeEbEEZZNS1_14partition_implILS8_3ELb0ES6_jNS0_17counting_iteratorIjlEEPS9_SE_NS0_5tupleIJPjSE_EEENSF_IJSE_SE_EEES9_SG_JZNS1_25segmented_radix_sort_implINS0_14default_configELb0EPKsPsPKlPlN2at6native12_GLOBAL__N_18offset_tEEE10hipError_tPvRmT1_PNSt15iterator_traitsISY_E10value_typeET2_T3_PNSZ_IS14_E10value_typeET4_jRbjT5_S1A_jjP12ihipStream_tbEUljE_EEESV_SW_SX_S14_S18_S1A_T6_T7_T9_mT8_S1C_bDpT10_ENKUlT_T0_E_clISt17integral_constantIbLb0EES1P_EEDaS1K_S1L_EUlS1K_E_NS1_11comp_targetILNS1_3genE0ELNS1_11target_archE4294967295ELNS1_3gpuE0ELNS1_3repE0EEENS1_30default_config_static_selectorELNS0_4arch9wavefront6targetE0EEEvSY_.uses_flat_scratch, 0
	.set _ZN7rocprim17ROCPRIM_400000_NS6detail17trampoline_kernelINS0_13select_configILj256ELj13ELNS0_17block_load_methodE3ELS4_3ELS4_3ELNS0_20block_scan_algorithmE0ELj4294967295EEENS1_25partition_config_selectorILNS1_17partition_subalgoE3EjNS0_10empty_typeEbEEZZNS1_14partition_implILS8_3ELb0ES6_jNS0_17counting_iteratorIjlEEPS9_SE_NS0_5tupleIJPjSE_EEENSF_IJSE_SE_EEES9_SG_JZNS1_25segmented_radix_sort_implINS0_14default_configELb0EPKsPsPKlPlN2at6native12_GLOBAL__N_18offset_tEEE10hipError_tPvRmT1_PNSt15iterator_traitsISY_E10value_typeET2_T3_PNSZ_IS14_E10value_typeET4_jRbjT5_S1A_jjP12ihipStream_tbEUljE_EEESV_SW_SX_S14_S18_S1A_T6_T7_T9_mT8_S1C_bDpT10_ENKUlT_T0_E_clISt17integral_constantIbLb0EES1P_EEDaS1K_S1L_EUlS1K_E_NS1_11comp_targetILNS1_3genE0ELNS1_11target_archE4294967295ELNS1_3gpuE0ELNS1_3repE0EEENS1_30default_config_static_selectorELNS0_4arch9wavefront6targetE0EEEvSY_.has_dyn_sized_stack, 0
	.set _ZN7rocprim17ROCPRIM_400000_NS6detail17trampoline_kernelINS0_13select_configILj256ELj13ELNS0_17block_load_methodE3ELS4_3ELS4_3ELNS0_20block_scan_algorithmE0ELj4294967295EEENS1_25partition_config_selectorILNS1_17partition_subalgoE3EjNS0_10empty_typeEbEEZZNS1_14partition_implILS8_3ELb0ES6_jNS0_17counting_iteratorIjlEEPS9_SE_NS0_5tupleIJPjSE_EEENSF_IJSE_SE_EEES9_SG_JZNS1_25segmented_radix_sort_implINS0_14default_configELb0EPKsPsPKlPlN2at6native12_GLOBAL__N_18offset_tEEE10hipError_tPvRmT1_PNSt15iterator_traitsISY_E10value_typeET2_T3_PNSZ_IS14_E10value_typeET4_jRbjT5_S1A_jjP12ihipStream_tbEUljE_EEESV_SW_SX_S14_S18_S1A_T6_T7_T9_mT8_S1C_bDpT10_ENKUlT_T0_E_clISt17integral_constantIbLb0EES1P_EEDaS1K_S1L_EUlS1K_E_NS1_11comp_targetILNS1_3genE0ELNS1_11target_archE4294967295ELNS1_3gpuE0ELNS1_3repE0EEENS1_30default_config_static_selectorELNS0_4arch9wavefront6targetE0EEEvSY_.has_recursion, 0
	.set _ZN7rocprim17ROCPRIM_400000_NS6detail17trampoline_kernelINS0_13select_configILj256ELj13ELNS0_17block_load_methodE3ELS4_3ELS4_3ELNS0_20block_scan_algorithmE0ELj4294967295EEENS1_25partition_config_selectorILNS1_17partition_subalgoE3EjNS0_10empty_typeEbEEZZNS1_14partition_implILS8_3ELb0ES6_jNS0_17counting_iteratorIjlEEPS9_SE_NS0_5tupleIJPjSE_EEENSF_IJSE_SE_EEES9_SG_JZNS1_25segmented_radix_sort_implINS0_14default_configELb0EPKsPsPKlPlN2at6native12_GLOBAL__N_18offset_tEEE10hipError_tPvRmT1_PNSt15iterator_traitsISY_E10value_typeET2_T3_PNSZ_IS14_E10value_typeET4_jRbjT5_S1A_jjP12ihipStream_tbEUljE_EEESV_SW_SX_S14_S18_S1A_T6_T7_T9_mT8_S1C_bDpT10_ENKUlT_T0_E_clISt17integral_constantIbLb0EES1P_EEDaS1K_S1L_EUlS1K_E_NS1_11comp_targetILNS1_3genE0ELNS1_11target_archE4294967295ELNS1_3gpuE0ELNS1_3repE0EEENS1_30default_config_static_selectorELNS0_4arch9wavefront6targetE0EEEvSY_.has_indirect_call, 0
	.section	.AMDGPU.csdata,"",@progbits
; Kernel info:
; codeLenInByte = 0
; TotalNumSgprs: 0
; NumVgprs: 0
; ScratchSize: 0
; MemoryBound: 0
; FloatMode: 240
; IeeeMode: 1
; LDSByteSize: 0 bytes/workgroup (compile time only)
; SGPRBlocks: 0
; VGPRBlocks: 0
; NumSGPRsForWavesPerEU: 1
; NumVGPRsForWavesPerEU: 1
; Occupancy: 16
; WaveLimiterHint : 0
; COMPUTE_PGM_RSRC2:SCRATCH_EN: 0
; COMPUTE_PGM_RSRC2:USER_SGPR: 2
; COMPUTE_PGM_RSRC2:TRAP_HANDLER: 0
; COMPUTE_PGM_RSRC2:TGID_X_EN: 1
; COMPUTE_PGM_RSRC2:TGID_Y_EN: 0
; COMPUTE_PGM_RSRC2:TGID_Z_EN: 0
; COMPUTE_PGM_RSRC2:TIDIG_COMP_CNT: 0
	.section	.text._ZN7rocprim17ROCPRIM_400000_NS6detail17trampoline_kernelINS0_13select_configILj256ELj13ELNS0_17block_load_methodE3ELS4_3ELS4_3ELNS0_20block_scan_algorithmE0ELj4294967295EEENS1_25partition_config_selectorILNS1_17partition_subalgoE3EjNS0_10empty_typeEbEEZZNS1_14partition_implILS8_3ELb0ES6_jNS0_17counting_iteratorIjlEEPS9_SE_NS0_5tupleIJPjSE_EEENSF_IJSE_SE_EEES9_SG_JZNS1_25segmented_radix_sort_implINS0_14default_configELb0EPKsPsPKlPlN2at6native12_GLOBAL__N_18offset_tEEE10hipError_tPvRmT1_PNSt15iterator_traitsISY_E10value_typeET2_T3_PNSZ_IS14_E10value_typeET4_jRbjT5_S1A_jjP12ihipStream_tbEUljE_EEESV_SW_SX_S14_S18_S1A_T6_T7_T9_mT8_S1C_bDpT10_ENKUlT_T0_E_clISt17integral_constantIbLb0EES1P_EEDaS1K_S1L_EUlS1K_E_NS1_11comp_targetILNS1_3genE5ELNS1_11target_archE942ELNS1_3gpuE9ELNS1_3repE0EEENS1_30default_config_static_selectorELNS0_4arch9wavefront6targetE0EEEvSY_,"axG",@progbits,_ZN7rocprim17ROCPRIM_400000_NS6detail17trampoline_kernelINS0_13select_configILj256ELj13ELNS0_17block_load_methodE3ELS4_3ELS4_3ELNS0_20block_scan_algorithmE0ELj4294967295EEENS1_25partition_config_selectorILNS1_17partition_subalgoE3EjNS0_10empty_typeEbEEZZNS1_14partition_implILS8_3ELb0ES6_jNS0_17counting_iteratorIjlEEPS9_SE_NS0_5tupleIJPjSE_EEENSF_IJSE_SE_EEES9_SG_JZNS1_25segmented_radix_sort_implINS0_14default_configELb0EPKsPsPKlPlN2at6native12_GLOBAL__N_18offset_tEEE10hipError_tPvRmT1_PNSt15iterator_traitsISY_E10value_typeET2_T3_PNSZ_IS14_E10value_typeET4_jRbjT5_S1A_jjP12ihipStream_tbEUljE_EEESV_SW_SX_S14_S18_S1A_T6_T7_T9_mT8_S1C_bDpT10_ENKUlT_T0_E_clISt17integral_constantIbLb0EES1P_EEDaS1K_S1L_EUlS1K_E_NS1_11comp_targetILNS1_3genE5ELNS1_11target_archE942ELNS1_3gpuE9ELNS1_3repE0EEENS1_30default_config_static_selectorELNS0_4arch9wavefront6targetE0EEEvSY_,comdat
	.globl	_ZN7rocprim17ROCPRIM_400000_NS6detail17trampoline_kernelINS0_13select_configILj256ELj13ELNS0_17block_load_methodE3ELS4_3ELS4_3ELNS0_20block_scan_algorithmE0ELj4294967295EEENS1_25partition_config_selectorILNS1_17partition_subalgoE3EjNS0_10empty_typeEbEEZZNS1_14partition_implILS8_3ELb0ES6_jNS0_17counting_iteratorIjlEEPS9_SE_NS0_5tupleIJPjSE_EEENSF_IJSE_SE_EEES9_SG_JZNS1_25segmented_radix_sort_implINS0_14default_configELb0EPKsPsPKlPlN2at6native12_GLOBAL__N_18offset_tEEE10hipError_tPvRmT1_PNSt15iterator_traitsISY_E10value_typeET2_T3_PNSZ_IS14_E10value_typeET4_jRbjT5_S1A_jjP12ihipStream_tbEUljE_EEESV_SW_SX_S14_S18_S1A_T6_T7_T9_mT8_S1C_bDpT10_ENKUlT_T0_E_clISt17integral_constantIbLb0EES1P_EEDaS1K_S1L_EUlS1K_E_NS1_11comp_targetILNS1_3genE5ELNS1_11target_archE942ELNS1_3gpuE9ELNS1_3repE0EEENS1_30default_config_static_selectorELNS0_4arch9wavefront6targetE0EEEvSY_ ; -- Begin function _ZN7rocprim17ROCPRIM_400000_NS6detail17trampoline_kernelINS0_13select_configILj256ELj13ELNS0_17block_load_methodE3ELS4_3ELS4_3ELNS0_20block_scan_algorithmE0ELj4294967295EEENS1_25partition_config_selectorILNS1_17partition_subalgoE3EjNS0_10empty_typeEbEEZZNS1_14partition_implILS8_3ELb0ES6_jNS0_17counting_iteratorIjlEEPS9_SE_NS0_5tupleIJPjSE_EEENSF_IJSE_SE_EEES9_SG_JZNS1_25segmented_radix_sort_implINS0_14default_configELb0EPKsPsPKlPlN2at6native12_GLOBAL__N_18offset_tEEE10hipError_tPvRmT1_PNSt15iterator_traitsISY_E10value_typeET2_T3_PNSZ_IS14_E10value_typeET4_jRbjT5_S1A_jjP12ihipStream_tbEUljE_EEESV_SW_SX_S14_S18_S1A_T6_T7_T9_mT8_S1C_bDpT10_ENKUlT_T0_E_clISt17integral_constantIbLb0EES1P_EEDaS1K_S1L_EUlS1K_E_NS1_11comp_targetILNS1_3genE5ELNS1_11target_archE942ELNS1_3gpuE9ELNS1_3repE0EEENS1_30default_config_static_selectorELNS0_4arch9wavefront6targetE0EEEvSY_
	.p2align	8
	.type	_ZN7rocprim17ROCPRIM_400000_NS6detail17trampoline_kernelINS0_13select_configILj256ELj13ELNS0_17block_load_methodE3ELS4_3ELS4_3ELNS0_20block_scan_algorithmE0ELj4294967295EEENS1_25partition_config_selectorILNS1_17partition_subalgoE3EjNS0_10empty_typeEbEEZZNS1_14partition_implILS8_3ELb0ES6_jNS0_17counting_iteratorIjlEEPS9_SE_NS0_5tupleIJPjSE_EEENSF_IJSE_SE_EEES9_SG_JZNS1_25segmented_radix_sort_implINS0_14default_configELb0EPKsPsPKlPlN2at6native12_GLOBAL__N_18offset_tEEE10hipError_tPvRmT1_PNSt15iterator_traitsISY_E10value_typeET2_T3_PNSZ_IS14_E10value_typeET4_jRbjT5_S1A_jjP12ihipStream_tbEUljE_EEESV_SW_SX_S14_S18_S1A_T6_T7_T9_mT8_S1C_bDpT10_ENKUlT_T0_E_clISt17integral_constantIbLb0EES1P_EEDaS1K_S1L_EUlS1K_E_NS1_11comp_targetILNS1_3genE5ELNS1_11target_archE942ELNS1_3gpuE9ELNS1_3repE0EEENS1_30default_config_static_selectorELNS0_4arch9wavefront6targetE0EEEvSY_,@function
_ZN7rocprim17ROCPRIM_400000_NS6detail17trampoline_kernelINS0_13select_configILj256ELj13ELNS0_17block_load_methodE3ELS4_3ELS4_3ELNS0_20block_scan_algorithmE0ELj4294967295EEENS1_25partition_config_selectorILNS1_17partition_subalgoE3EjNS0_10empty_typeEbEEZZNS1_14partition_implILS8_3ELb0ES6_jNS0_17counting_iteratorIjlEEPS9_SE_NS0_5tupleIJPjSE_EEENSF_IJSE_SE_EEES9_SG_JZNS1_25segmented_radix_sort_implINS0_14default_configELb0EPKsPsPKlPlN2at6native12_GLOBAL__N_18offset_tEEE10hipError_tPvRmT1_PNSt15iterator_traitsISY_E10value_typeET2_T3_PNSZ_IS14_E10value_typeET4_jRbjT5_S1A_jjP12ihipStream_tbEUljE_EEESV_SW_SX_S14_S18_S1A_T6_T7_T9_mT8_S1C_bDpT10_ENKUlT_T0_E_clISt17integral_constantIbLb0EES1P_EEDaS1K_S1L_EUlS1K_E_NS1_11comp_targetILNS1_3genE5ELNS1_11target_archE942ELNS1_3gpuE9ELNS1_3repE0EEENS1_30default_config_static_selectorELNS0_4arch9wavefront6targetE0EEEvSY_: ; @_ZN7rocprim17ROCPRIM_400000_NS6detail17trampoline_kernelINS0_13select_configILj256ELj13ELNS0_17block_load_methodE3ELS4_3ELS4_3ELNS0_20block_scan_algorithmE0ELj4294967295EEENS1_25partition_config_selectorILNS1_17partition_subalgoE3EjNS0_10empty_typeEbEEZZNS1_14partition_implILS8_3ELb0ES6_jNS0_17counting_iteratorIjlEEPS9_SE_NS0_5tupleIJPjSE_EEENSF_IJSE_SE_EEES9_SG_JZNS1_25segmented_radix_sort_implINS0_14default_configELb0EPKsPsPKlPlN2at6native12_GLOBAL__N_18offset_tEEE10hipError_tPvRmT1_PNSt15iterator_traitsISY_E10value_typeET2_T3_PNSZ_IS14_E10value_typeET4_jRbjT5_S1A_jjP12ihipStream_tbEUljE_EEESV_SW_SX_S14_S18_S1A_T6_T7_T9_mT8_S1C_bDpT10_ENKUlT_T0_E_clISt17integral_constantIbLb0EES1P_EEDaS1K_S1L_EUlS1K_E_NS1_11comp_targetILNS1_3genE5ELNS1_11target_archE942ELNS1_3gpuE9ELNS1_3repE0EEENS1_30default_config_static_selectorELNS0_4arch9wavefront6targetE0EEEvSY_
; %bb.0:
	.section	.rodata,"a",@progbits
	.p2align	6, 0x0
	.amdhsa_kernel _ZN7rocprim17ROCPRIM_400000_NS6detail17trampoline_kernelINS0_13select_configILj256ELj13ELNS0_17block_load_methodE3ELS4_3ELS4_3ELNS0_20block_scan_algorithmE0ELj4294967295EEENS1_25partition_config_selectorILNS1_17partition_subalgoE3EjNS0_10empty_typeEbEEZZNS1_14partition_implILS8_3ELb0ES6_jNS0_17counting_iteratorIjlEEPS9_SE_NS0_5tupleIJPjSE_EEENSF_IJSE_SE_EEES9_SG_JZNS1_25segmented_radix_sort_implINS0_14default_configELb0EPKsPsPKlPlN2at6native12_GLOBAL__N_18offset_tEEE10hipError_tPvRmT1_PNSt15iterator_traitsISY_E10value_typeET2_T3_PNSZ_IS14_E10value_typeET4_jRbjT5_S1A_jjP12ihipStream_tbEUljE_EEESV_SW_SX_S14_S18_S1A_T6_T7_T9_mT8_S1C_bDpT10_ENKUlT_T0_E_clISt17integral_constantIbLb0EES1P_EEDaS1K_S1L_EUlS1K_E_NS1_11comp_targetILNS1_3genE5ELNS1_11target_archE942ELNS1_3gpuE9ELNS1_3repE0EEENS1_30default_config_static_selectorELNS0_4arch9wavefront6targetE0EEEvSY_
		.amdhsa_group_segment_fixed_size 0
		.amdhsa_private_segment_fixed_size 0
		.amdhsa_kernarg_size 144
		.amdhsa_user_sgpr_count 2
		.amdhsa_user_sgpr_dispatch_ptr 0
		.amdhsa_user_sgpr_queue_ptr 0
		.amdhsa_user_sgpr_kernarg_segment_ptr 1
		.amdhsa_user_sgpr_dispatch_id 0
		.amdhsa_user_sgpr_private_segment_size 0
		.amdhsa_wavefront_size32 1
		.amdhsa_uses_dynamic_stack 0
		.amdhsa_enable_private_segment 0
		.amdhsa_system_sgpr_workgroup_id_x 1
		.amdhsa_system_sgpr_workgroup_id_y 0
		.amdhsa_system_sgpr_workgroup_id_z 0
		.amdhsa_system_sgpr_workgroup_info 0
		.amdhsa_system_vgpr_workitem_id 0
		.amdhsa_next_free_vgpr 1
		.amdhsa_next_free_sgpr 1
		.amdhsa_reserve_vcc 0
		.amdhsa_float_round_mode_32 0
		.amdhsa_float_round_mode_16_64 0
		.amdhsa_float_denorm_mode_32 3
		.amdhsa_float_denorm_mode_16_64 3
		.amdhsa_fp16_overflow 0
		.amdhsa_workgroup_processor_mode 1
		.amdhsa_memory_ordered 1
		.amdhsa_forward_progress 1
		.amdhsa_inst_pref_size 0
		.amdhsa_round_robin_scheduling 0
		.amdhsa_exception_fp_ieee_invalid_op 0
		.amdhsa_exception_fp_denorm_src 0
		.amdhsa_exception_fp_ieee_div_zero 0
		.amdhsa_exception_fp_ieee_overflow 0
		.amdhsa_exception_fp_ieee_underflow 0
		.amdhsa_exception_fp_ieee_inexact 0
		.amdhsa_exception_int_div_zero 0
	.end_amdhsa_kernel
	.section	.text._ZN7rocprim17ROCPRIM_400000_NS6detail17trampoline_kernelINS0_13select_configILj256ELj13ELNS0_17block_load_methodE3ELS4_3ELS4_3ELNS0_20block_scan_algorithmE0ELj4294967295EEENS1_25partition_config_selectorILNS1_17partition_subalgoE3EjNS0_10empty_typeEbEEZZNS1_14partition_implILS8_3ELb0ES6_jNS0_17counting_iteratorIjlEEPS9_SE_NS0_5tupleIJPjSE_EEENSF_IJSE_SE_EEES9_SG_JZNS1_25segmented_radix_sort_implINS0_14default_configELb0EPKsPsPKlPlN2at6native12_GLOBAL__N_18offset_tEEE10hipError_tPvRmT1_PNSt15iterator_traitsISY_E10value_typeET2_T3_PNSZ_IS14_E10value_typeET4_jRbjT5_S1A_jjP12ihipStream_tbEUljE_EEESV_SW_SX_S14_S18_S1A_T6_T7_T9_mT8_S1C_bDpT10_ENKUlT_T0_E_clISt17integral_constantIbLb0EES1P_EEDaS1K_S1L_EUlS1K_E_NS1_11comp_targetILNS1_3genE5ELNS1_11target_archE942ELNS1_3gpuE9ELNS1_3repE0EEENS1_30default_config_static_selectorELNS0_4arch9wavefront6targetE0EEEvSY_,"axG",@progbits,_ZN7rocprim17ROCPRIM_400000_NS6detail17trampoline_kernelINS0_13select_configILj256ELj13ELNS0_17block_load_methodE3ELS4_3ELS4_3ELNS0_20block_scan_algorithmE0ELj4294967295EEENS1_25partition_config_selectorILNS1_17partition_subalgoE3EjNS0_10empty_typeEbEEZZNS1_14partition_implILS8_3ELb0ES6_jNS0_17counting_iteratorIjlEEPS9_SE_NS0_5tupleIJPjSE_EEENSF_IJSE_SE_EEES9_SG_JZNS1_25segmented_radix_sort_implINS0_14default_configELb0EPKsPsPKlPlN2at6native12_GLOBAL__N_18offset_tEEE10hipError_tPvRmT1_PNSt15iterator_traitsISY_E10value_typeET2_T3_PNSZ_IS14_E10value_typeET4_jRbjT5_S1A_jjP12ihipStream_tbEUljE_EEESV_SW_SX_S14_S18_S1A_T6_T7_T9_mT8_S1C_bDpT10_ENKUlT_T0_E_clISt17integral_constantIbLb0EES1P_EEDaS1K_S1L_EUlS1K_E_NS1_11comp_targetILNS1_3genE5ELNS1_11target_archE942ELNS1_3gpuE9ELNS1_3repE0EEENS1_30default_config_static_selectorELNS0_4arch9wavefront6targetE0EEEvSY_,comdat
.Lfunc_end983:
	.size	_ZN7rocprim17ROCPRIM_400000_NS6detail17trampoline_kernelINS0_13select_configILj256ELj13ELNS0_17block_load_methodE3ELS4_3ELS4_3ELNS0_20block_scan_algorithmE0ELj4294967295EEENS1_25partition_config_selectorILNS1_17partition_subalgoE3EjNS0_10empty_typeEbEEZZNS1_14partition_implILS8_3ELb0ES6_jNS0_17counting_iteratorIjlEEPS9_SE_NS0_5tupleIJPjSE_EEENSF_IJSE_SE_EEES9_SG_JZNS1_25segmented_radix_sort_implINS0_14default_configELb0EPKsPsPKlPlN2at6native12_GLOBAL__N_18offset_tEEE10hipError_tPvRmT1_PNSt15iterator_traitsISY_E10value_typeET2_T3_PNSZ_IS14_E10value_typeET4_jRbjT5_S1A_jjP12ihipStream_tbEUljE_EEESV_SW_SX_S14_S18_S1A_T6_T7_T9_mT8_S1C_bDpT10_ENKUlT_T0_E_clISt17integral_constantIbLb0EES1P_EEDaS1K_S1L_EUlS1K_E_NS1_11comp_targetILNS1_3genE5ELNS1_11target_archE942ELNS1_3gpuE9ELNS1_3repE0EEENS1_30default_config_static_selectorELNS0_4arch9wavefront6targetE0EEEvSY_, .Lfunc_end983-_ZN7rocprim17ROCPRIM_400000_NS6detail17trampoline_kernelINS0_13select_configILj256ELj13ELNS0_17block_load_methodE3ELS4_3ELS4_3ELNS0_20block_scan_algorithmE0ELj4294967295EEENS1_25partition_config_selectorILNS1_17partition_subalgoE3EjNS0_10empty_typeEbEEZZNS1_14partition_implILS8_3ELb0ES6_jNS0_17counting_iteratorIjlEEPS9_SE_NS0_5tupleIJPjSE_EEENSF_IJSE_SE_EEES9_SG_JZNS1_25segmented_radix_sort_implINS0_14default_configELb0EPKsPsPKlPlN2at6native12_GLOBAL__N_18offset_tEEE10hipError_tPvRmT1_PNSt15iterator_traitsISY_E10value_typeET2_T3_PNSZ_IS14_E10value_typeET4_jRbjT5_S1A_jjP12ihipStream_tbEUljE_EEESV_SW_SX_S14_S18_S1A_T6_T7_T9_mT8_S1C_bDpT10_ENKUlT_T0_E_clISt17integral_constantIbLb0EES1P_EEDaS1K_S1L_EUlS1K_E_NS1_11comp_targetILNS1_3genE5ELNS1_11target_archE942ELNS1_3gpuE9ELNS1_3repE0EEENS1_30default_config_static_selectorELNS0_4arch9wavefront6targetE0EEEvSY_
                                        ; -- End function
	.set _ZN7rocprim17ROCPRIM_400000_NS6detail17trampoline_kernelINS0_13select_configILj256ELj13ELNS0_17block_load_methodE3ELS4_3ELS4_3ELNS0_20block_scan_algorithmE0ELj4294967295EEENS1_25partition_config_selectorILNS1_17partition_subalgoE3EjNS0_10empty_typeEbEEZZNS1_14partition_implILS8_3ELb0ES6_jNS0_17counting_iteratorIjlEEPS9_SE_NS0_5tupleIJPjSE_EEENSF_IJSE_SE_EEES9_SG_JZNS1_25segmented_radix_sort_implINS0_14default_configELb0EPKsPsPKlPlN2at6native12_GLOBAL__N_18offset_tEEE10hipError_tPvRmT1_PNSt15iterator_traitsISY_E10value_typeET2_T3_PNSZ_IS14_E10value_typeET4_jRbjT5_S1A_jjP12ihipStream_tbEUljE_EEESV_SW_SX_S14_S18_S1A_T6_T7_T9_mT8_S1C_bDpT10_ENKUlT_T0_E_clISt17integral_constantIbLb0EES1P_EEDaS1K_S1L_EUlS1K_E_NS1_11comp_targetILNS1_3genE5ELNS1_11target_archE942ELNS1_3gpuE9ELNS1_3repE0EEENS1_30default_config_static_selectorELNS0_4arch9wavefront6targetE0EEEvSY_.num_vgpr, 0
	.set _ZN7rocprim17ROCPRIM_400000_NS6detail17trampoline_kernelINS0_13select_configILj256ELj13ELNS0_17block_load_methodE3ELS4_3ELS4_3ELNS0_20block_scan_algorithmE0ELj4294967295EEENS1_25partition_config_selectorILNS1_17partition_subalgoE3EjNS0_10empty_typeEbEEZZNS1_14partition_implILS8_3ELb0ES6_jNS0_17counting_iteratorIjlEEPS9_SE_NS0_5tupleIJPjSE_EEENSF_IJSE_SE_EEES9_SG_JZNS1_25segmented_radix_sort_implINS0_14default_configELb0EPKsPsPKlPlN2at6native12_GLOBAL__N_18offset_tEEE10hipError_tPvRmT1_PNSt15iterator_traitsISY_E10value_typeET2_T3_PNSZ_IS14_E10value_typeET4_jRbjT5_S1A_jjP12ihipStream_tbEUljE_EEESV_SW_SX_S14_S18_S1A_T6_T7_T9_mT8_S1C_bDpT10_ENKUlT_T0_E_clISt17integral_constantIbLb0EES1P_EEDaS1K_S1L_EUlS1K_E_NS1_11comp_targetILNS1_3genE5ELNS1_11target_archE942ELNS1_3gpuE9ELNS1_3repE0EEENS1_30default_config_static_selectorELNS0_4arch9wavefront6targetE0EEEvSY_.num_agpr, 0
	.set _ZN7rocprim17ROCPRIM_400000_NS6detail17trampoline_kernelINS0_13select_configILj256ELj13ELNS0_17block_load_methodE3ELS4_3ELS4_3ELNS0_20block_scan_algorithmE0ELj4294967295EEENS1_25partition_config_selectorILNS1_17partition_subalgoE3EjNS0_10empty_typeEbEEZZNS1_14partition_implILS8_3ELb0ES6_jNS0_17counting_iteratorIjlEEPS9_SE_NS0_5tupleIJPjSE_EEENSF_IJSE_SE_EEES9_SG_JZNS1_25segmented_radix_sort_implINS0_14default_configELb0EPKsPsPKlPlN2at6native12_GLOBAL__N_18offset_tEEE10hipError_tPvRmT1_PNSt15iterator_traitsISY_E10value_typeET2_T3_PNSZ_IS14_E10value_typeET4_jRbjT5_S1A_jjP12ihipStream_tbEUljE_EEESV_SW_SX_S14_S18_S1A_T6_T7_T9_mT8_S1C_bDpT10_ENKUlT_T0_E_clISt17integral_constantIbLb0EES1P_EEDaS1K_S1L_EUlS1K_E_NS1_11comp_targetILNS1_3genE5ELNS1_11target_archE942ELNS1_3gpuE9ELNS1_3repE0EEENS1_30default_config_static_selectorELNS0_4arch9wavefront6targetE0EEEvSY_.numbered_sgpr, 0
	.set _ZN7rocprim17ROCPRIM_400000_NS6detail17trampoline_kernelINS0_13select_configILj256ELj13ELNS0_17block_load_methodE3ELS4_3ELS4_3ELNS0_20block_scan_algorithmE0ELj4294967295EEENS1_25partition_config_selectorILNS1_17partition_subalgoE3EjNS0_10empty_typeEbEEZZNS1_14partition_implILS8_3ELb0ES6_jNS0_17counting_iteratorIjlEEPS9_SE_NS0_5tupleIJPjSE_EEENSF_IJSE_SE_EEES9_SG_JZNS1_25segmented_radix_sort_implINS0_14default_configELb0EPKsPsPKlPlN2at6native12_GLOBAL__N_18offset_tEEE10hipError_tPvRmT1_PNSt15iterator_traitsISY_E10value_typeET2_T3_PNSZ_IS14_E10value_typeET4_jRbjT5_S1A_jjP12ihipStream_tbEUljE_EEESV_SW_SX_S14_S18_S1A_T6_T7_T9_mT8_S1C_bDpT10_ENKUlT_T0_E_clISt17integral_constantIbLb0EES1P_EEDaS1K_S1L_EUlS1K_E_NS1_11comp_targetILNS1_3genE5ELNS1_11target_archE942ELNS1_3gpuE9ELNS1_3repE0EEENS1_30default_config_static_selectorELNS0_4arch9wavefront6targetE0EEEvSY_.num_named_barrier, 0
	.set _ZN7rocprim17ROCPRIM_400000_NS6detail17trampoline_kernelINS0_13select_configILj256ELj13ELNS0_17block_load_methodE3ELS4_3ELS4_3ELNS0_20block_scan_algorithmE0ELj4294967295EEENS1_25partition_config_selectorILNS1_17partition_subalgoE3EjNS0_10empty_typeEbEEZZNS1_14partition_implILS8_3ELb0ES6_jNS0_17counting_iteratorIjlEEPS9_SE_NS0_5tupleIJPjSE_EEENSF_IJSE_SE_EEES9_SG_JZNS1_25segmented_radix_sort_implINS0_14default_configELb0EPKsPsPKlPlN2at6native12_GLOBAL__N_18offset_tEEE10hipError_tPvRmT1_PNSt15iterator_traitsISY_E10value_typeET2_T3_PNSZ_IS14_E10value_typeET4_jRbjT5_S1A_jjP12ihipStream_tbEUljE_EEESV_SW_SX_S14_S18_S1A_T6_T7_T9_mT8_S1C_bDpT10_ENKUlT_T0_E_clISt17integral_constantIbLb0EES1P_EEDaS1K_S1L_EUlS1K_E_NS1_11comp_targetILNS1_3genE5ELNS1_11target_archE942ELNS1_3gpuE9ELNS1_3repE0EEENS1_30default_config_static_selectorELNS0_4arch9wavefront6targetE0EEEvSY_.private_seg_size, 0
	.set _ZN7rocprim17ROCPRIM_400000_NS6detail17trampoline_kernelINS0_13select_configILj256ELj13ELNS0_17block_load_methodE3ELS4_3ELS4_3ELNS0_20block_scan_algorithmE0ELj4294967295EEENS1_25partition_config_selectorILNS1_17partition_subalgoE3EjNS0_10empty_typeEbEEZZNS1_14partition_implILS8_3ELb0ES6_jNS0_17counting_iteratorIjlEEPS9_SE_NS0_5tupleIJPjSE_EEENSF_IJSE_SE_EEES9_SG_JZNS1_25segmented_radix_sort_implINS0_14default_configELb0EPKsPsPKlPlN2at6native12_GLOBAL__N_18offset_tEEE10hipError_tPvRmT1_PNSt15iterator_traitsISY_E10value_typeET2_T3_PNSZ_IS14_E10value_typeET4_jRbjT5_S1A_jjP12ihipStream_tbEUljE_EEESV_SW_SX_S14_S18_S1A_T6_T7_T9_mT8_S1C_bDpT10_ENKUlT_T0_E_clISt17integral_constantIbLb0EES1P_EEDaS1K_S1L_EUlS1K_E_NS1_11comp_targetILNS1_3genE5ELNS1_11target_archE942ELNS1_3gpuE9ELNS1_3repE0EEENS1_30default_config_static_selectorELNS0_4arch9wavefront6targetE0EEEvSY_.uses_vcc, 0
	.set _ZN7rocprim17ROCPRIM_400000_NS6detail17trampoline_kernelINS0_13select_configILj256ELj13ELNS0_17block_load_methodE3ELS4_3ELS4_3ELNS0_20block_scan_algorithmE0ELj4294967295EEENS1_25partition_config_selectorILNS1_17partition_subalgoE3EjNS0_10empty_typeEbEEZZNS1_14partition_implILS8_3ELb0ES6_jNS0_17counting_iteratorIjlEEPS9_SE_NS0_5tupleIJPjSE_EEENSF_IJSE_SE_EEES9_SG_JZNS1_25segmented_radix_sort_implINS0_14default_configELb0EPKsPsPKlPlN2at6native12_GLOBAL__N_18offset_tEEE10hipError_tPvRmT1_PNSt15iterator_traitsISY_E10value_typeET2_T3_PNSZ_IS14_E10value_typeET4_jRbjT5_S1A_jjP12ihipStream_tbEUljE_EEESV_SW_SX_S14_S18_S1A_T6_T7_T9_mT8_S1C_bDpT10_ENKUlT_T0_E_clISt17integral_constantIbLb0EES1P_EEDaS1K_S1L_EUlS1K_E_NS1_11comp_targetILNS1_3genE5ELNS1_11target_archE942ELNS1_3gpuE9ELNS1_3repE0EEENS1_30default_config_static_selectorELNS0_4arch9wavefront6targetE0EEEvSY_.uses_flat_scratch, 0
	.set _ZN7rocprim17ROCPRIM_400000_NS6detail17trampoline_kernelINS0_13select_configILj256ELj13ELNS0_17block_load_methodE3ELS4_3ELS4_3ELNS0_20block_scan_algorithmE0ELj4294967295EEENS1_25partition_config_selectorILNS1_17partition_subalgoE3EjNS0_10empty_typeEbEEZZNS1_14partition_implILS8_3ELb0ES6_jNS0_17counting_iteratorIjlEEPS9_SE_NS0_5tupleIJPjSE_EEENSF_IJSE_SE_EEES9_SG_JZNS1_25segmented_radix_sort_implINS0_14default_configELb0EPKsPsPKlPlN2at6native12_GLOBAL__N_18offset_tEEE10hipError_tPvRmT1_PNSt15iterator_traitsISY_E10value_typeET2_T3_PNSZ_IS14_E10value_typeET4_jRbjT5_S1A_jjP12ihipStream_tbEUljE_EEESV_SW_SX_S14_S18_S1A_T6_T7_T9_mT8_S1C_bDpT10_ENKUlT_T0_E_clISt17integral_constantIbLb0EES1P_EEDaS1K_S1L_EUlS1K_E_NS1_11comp_targetILNS1_3genE5ELNS1_11target_archE942ELNS1_3gpuE9ELNS1_3repE0EEENS1_30default_config_static_selectorELNS0_4arch9wavefront6targetE0EEEvSY_.has_dyn_sized_stack, 0
	.set _ZN7rocprim17ROCPRIM_400000_NS6detail17trampoline_kernelINS0_13select_configILj256ELj13ELNS0_17block_load_methodE3ELS4_3ELS4_3ELNS0_20block_scan_algorithmE0ELj4294967295EEENS1_25partition_config_selectorILNS1_17partition_subalgoE3EjNS0_10empty_typeEbEEZZNS1_14partition_implILS8_3ELb0ES6_jNS0_17counting_iteratorIjlEEPS9_SE_NS0_5tupleIJPjSE_EEENSF_IJSE_SE_EEES9_SG_JZNS1_25segmented_radix_sort_implINS0_14default_configELb0EPKsPsPKlPlN2at6native12_GLOBAL__N_18offset_tEEE10hipError_tPvRmT1_PNSt15iterator_traitsISY_E10value_typeET2_T3_PNSZ_IS14_E10value_typeET4_jRbjT5_S1A_jjP12ihipStream_tbEUljE_EEESV_SW_SX_S14_S18_S1A_T6_T7_T9_mT8_S1C_bDpT10_ENKUlT_T0_E_clISt17integral_constantIbLb0EES1P_EEDaS1K_S1L_EUlS1K_E_NS1_11comp_targetILNS1_3genE5ELNS1_11target_archE942ELNS1_3gpuE9ELNS1_3repE0EEENS1_30default_config_static_selectorELNS0_4arch9wavefront6targetE0EEEvSY_.has_recursion, 0
	.set _ZN7rocprim17ROCPRIM_400000_NS6detail17trampoline_kernelINS0_13select_configILj256ELj13ELNS0_17block_load_methodE3ELS4_3ELS4_3ELNS0_20block_scan_algorithmE0ELj4294967295EEENS1_25partition_config_selectorILNS1_17partition_subalgoE3EjNS0_10empty_typeEbEEZZNS1_14partition_implILS8_3ELb0ES6_jNS0_17counting_iteratorIjlEEPS9_SE_NS0_5tupleIJPjSE_EEENSF_IJSE_SE_EEES9_SG_JZNS1_25segmented_radix_sort_implINS0_14default_configELb0EPKsPsPKlPlN2at6native12_GLOBAL__N_18offset_tEEE10hipError_tPvRmT1_PNSt15iterator_traitsISY_E10value_typeET2_T3_PNSZ_IS14_E10value_typeET4_jRbjT5_S1A_jjP12ihipStream_tbEUljE_EEESV_SW_SX_S14_S18_S1A_T6_T7_T9_mT8_S1C_bDpT10_ENKUlT_T0_E_clISt17integral_constantIbLb0EES1P_EEDaS1K_S1L_EUlS1K_E_NS1_11comp_targetILNS1_3genE5ELNS1_11target_archE942ELNS1_3gpuE9ELNS1_3repE0EEENS1_30default_config_static_selectorELNS0_4arch9wavefront6targetE0EEEvSY_.has_indirect_call, 0
	.section	.AMDGPU.csdata,"",@progbits
; Kernel info:
; codeLenInByte = 0
; TotalNumSgprs: 0
; NumVgprs: 0
; ScratchSize: 0
; MemoryBound: 0
; FloatMode: 240
; IeeeMode: 1
; LDSByteSize: 0 bytes/workgroup (compile time only)
; SGPRBlocks: 0
; VGPRBlocks: 0
; NumSGPRsForWavesPerEU: 1
; NumVGPRsForWavesPerEU: 1
; Occupancy: 16
; WaveLimiterHint : 0
; COMPUTE_PGM_RSRC2:SCRATCH_EN: 0
; COMPUTE_PGM_RSRC2:USER_SGPR: 2
; COMPUTE_PGM_RSRC2:TRAP_HANDLER: 0
; COMPUTE_PGM_RSRC2:TGID_X_EN: 1
; COMPUTE_PGM_RSRC2:TGID_Y_EN: 0
; COMPUTE_PGM_RSRC2:TGID_Z_EN: 0
; COMPUTE_PGM_RSRC2:TIDIG_COMP_CNT: 0
	.section	.text._ZN7rocprim17ROCPRIM_400000_NS6detail17trampoline_kernelINS0_13select_configILj256ELj13ELNS0_17block_load_methodE3ELS4_3ELS4_3ELNS0_20block_scan_algorithmE0ELj4294967295EEENS1_25partition_config_selectorILNS1_17partition_subalgoE3EjNS0_10empty_typeEbEEZZNS1_14partition_implILS8_3ELb0ES6_jNS0_17counting_iteratorIjlEEPS9_SE_NS0_5tupleIJPjSE_EEENSF_IJSE_SE_EEES9_SG_JZNS1_25segmented_radix_sort_implINS0_14default_configELb0EPKsPsPKlPlN2at6native12_GLOBAL__N_18offset_tEEE10hipError_tPvRmT1_PNSt15iterator_traitsISY_E10value_typeET2_T3_PNSZ_IS14_E10value_typeET4_jRbjT5_S1A_jjP12ihipStream_tbEUljE_EEESV_SW_SX_S14_S18_S1A_T6_T7_T9_mT8_S1C_bDpT10_ENKUlT_T0_E_clISt17integral_constantIbLb0EES1P_EEDaS1K_S1L_EUlS1K_E_NS1_11comp_targetILNS1_3genE4ELNS1_11target_archE910ELNS1_3gpuE8ELNS1_3repE0EEENS1_30default_config_static_selectorELNS0_4arch9wavefront6targetE0EEEvSY_,"axG",@progbits,_ZN7rocprim17ROCPRIM_400000_NS6detail17trampoline_kernelINS0_13select_configILj256ELj13ELNS0_17block_load_methodE3ELS4_3ELS4_3ELNS0_20block_scan_algorithmE0ELj4294967295EEENS1_25partition_config_selectorILNS1_17partition_subalgoE3EjNS0_10empty_typeEbEEZZNS1_14partition_implILS8_3ELb0ES6_jNS0_17counting_iteratorIjlEEPS9_SE_NS0_5tupleIJPjSE_EEENSF_IJSE_SE_EEES9_SG_JZNS1_25segmented_radix_sort_implINS0_14default_configELb0EPKsPsPKlPlN2at6native12_GLOBAL__N_18offset_tEEE10hipError_tPvRmT1_PNSt15iterator_traitsISY_E10value_typeET2_T3_PNSZ_IS14_E10value_typeET4_jRbjT5_S1A_jjP12ihipStream_tbEUljE_EEESV_SW_SX_S14_S18_S1A_T6_T7_T9_mT8_S1C_bDpT10_ENKUlT_T0_E_clISt17integral_constantIbLb0EES1P_EEDaS1K_S1L_EUlS1K_E_NS1_11comp_targetILNS1_3genE4ELNS1_11target_archE910ELNS1_3gpuE8ELNS1_3repE0EEENS1_30default_config_static_selectorELNS0_4arch9wavefront6targetE0EEEvSY_,comdat
	.globl	_ZN7rocprim17ROCPRIM_400000_NS6detail17trampoline_kernelINS0_13select_configILj256ELj13ELNS0_17block_load_methodE3ELS4_3ELS4_3ELNS0_20block_scan_algorithmE0ELj4294967295EEENS1_25partition_config_selectorILNS1_17partition_subalgoE3EjNS0_10empty_typeEbEEZZNS1_14partition_implILS8_3ELb0ES6_jNS0_17counting_iteratorIjlEEPS9_SE_NS0_5tupleIJPjSE_EEENSF_IJSE_SE_EEES9_SG_JZNS1_25segmented_radix_sort_implINS0_14default_configELb0EPKsPsPKlPlN2at6native12_GLOBAL__N_18offset_tEEE10hipError_tPvRmT1_PNSt15iterator_traitsISY_E10value_typeET2_T3_PNSZ_IS14_E10value_typeET4_jRbjT5_S1A_jjP12ihipStream_tbEUljE_EEESV_SW_SX_S14_S18_S1A_T6_T7_T9_mT8_S1C_bDpT10_ENKUlT_T0_E_clISt17integral_constantIbLb0EES1P_EEDaS1K_S1L_EUlS1K_E_NS1_11comp_targetILNS1_3genE4ELNS1_11target_archE910ELNS1_3gpuE8ELNS1_3repE0EEENS1_30default_config_static_selectorELNS0_4arch9wavefront6targetE0EEEvSY_ ; -- Begin function _ZN7rocprim17ROCPRIM_400000_NS6detail17trampoline_kernelINS0_13select_configILj256ELj13ELNS0_17block_load_methodE3ELS4_3ELS4_3ELNS0_20block_scan_algorithmE0ELj4294967295EEENS1_25partition_config_selectorILNS1_17partition_subalgoE3EjNS0_10empty_typeEbEEZZNS1_14partition_implILS8_3ELb0ES6_jNS0_17counting_iteratorIjlEEPS9_SE_NS0_5tupleIJPjSE_EEENSF_IJSE_SE_EEES9_SG_JZNS1_25segmented_radix_sort_implINS0_14default_configELb0EPKsPsPKlPlN2at6native12_GLOBAL__N_18offset_tEEE10hipError_tPvRmT1_PNSt15iterator_traitsISY_E10value_typeET2_T3_PNSZ_IS14_E10value_typeET4_jRbjT5_S1A_jjP12ihipStream_tbEUljE_EEESV_SW_SX_S14_S18_S1A_T6_T7_T9_mT8_S1C_bDpT10_ENKUlT_T0_E_clISt17integral_constantIbLb0EES1P_EEDaS1K_S1L_EUlS1K_E_NS1_11comp_targetILNS1_3genE4ELNS1_11target_archE910ELNS1_3gpuE8ELNS1_3repE0EEENS1_30default_config_static_selectorELNS0_4arch9wavefront6targetE0EEEvSY_
	.p2align	8
	.type	_ZN7rocprim17ROCPRIM_400000_NS6detail17trampoline_kernelINS0_13select_configILj256ELj13ELNS0_17block_load_methodE3ELS4_3ELS4_3ELNS0_20block_scan_algorithmE0ELj4294967295EEENS1_25partition_config_selectorILNS1_17partition_subalgoE3EjNS0_10empty_typeEbEEZZNS1_14partition_implILS8_3ELb0ES6_jNS0_17counting_iteratorIjlEEPS9_SE_NS0_5tupleIJPjSE_EEENSF_IJSE_SE_EEES9_SG_JZNS1_25segmented_radix_sort_implINS0_14default_configELb0EPKsPsPKlPlN2at6native12_GLOBAL__N_18offset_tEEE10hipError_tPvRmT1_PNSt15iterator_traitsISY_E10value_typeET2_T3_PNSZ_IS14_E10value_typeET4_jRbjT5_S1A_jjP12ihipStream_tbEUljE_EEESV_SW_SX_S14_S18_S1A_T6_T7_T9_mT8_S1C_bDpT10_ENKUlT_T0_E_clISt17integral_constantIbLb0EES1P_EEDaS1K_S1L_EUlS1K_E_NS1_11comp_targetILNS1_3genE4ELNS1_11target_archE910ELNS1_3gpuE8ELNS1_3repE0EEENS1_30default_config_static_selectorELNS0_4arch9wavefront6targetE0EEEvSY_,@function
_ZN7rocprim17ROCPRIM_400000_NS6detail17trampoline_kernelINS0_13select_configILj256ELj13ELNS0_17block_load_methodE3ELS4_3ELS4_3ELNS0_20block_scan_algorithmE0ELj4294967295EEENS1_25partition_config_selectorILNS1_17partition_subalgoE3EjNS0_10empty_typeEbEEZZNS1_14partition_implILS8_3ELb0ES6_jNS0_17counting_iteratorIjlEEPS9_SE_NS0_5tupleIJPjSE_EEENSF_IJSE_SE_EEES9_SG_JZNS1_25segmented_radix_sort_implINS0_14default_configELb0EPKsPsPKlPlN2at6native12_GLOBAL__N_18offset_tEEE10hipError_tPvRmT1_PNSt15iterator_traitsISY_E10value_typeET2_T3_PNSZ_IS14_E10value_typeET4_jRbjT5_S1A_jjP12ihipStream_tbEUljE_EEESV_SW_SX_S14_S18_S1A_T6_T7_T9_mT8_S1C_bDpT10_ENKUlT_T0_E_clISt17integral_constantIbLb0EES1P_EEDaS1K_S1L_EUlS1K_E_NS1_11comp_targetILNS1_3genE4ELNS1_11target_archE910ELNS1_3gpuE8ELNS1_3repE0EEENS1_30default_config_static_selectorELNS0_4arch9wavefront6targetE0EEEvSY_: ; @_ZN7rocprim17ROCPRIM_400000_NS6detail17trampoline_kernelINS0_13select_configILj256ELj13ELNS0_17block_load_methodE3ELS4_3ELS4_3ELNS0_20block_scan_algorithmE0ELj4294967295EEENS1_25partition_config_selectorILNS1_17partition_subalgoE3EjNS0_10empty_typeEbEEZZNS1_14partition_implILS8_3ELb0ES6_jNS0_17counting_iteratorIjlEEPS9_SE_NS0_5tupleIJPjSE_EEENSF_IJSE_SE_EEES9_SG_JZNS1_25segmented_radix_sort_implINS0_14default_configELb0EPKsPsPKlPlN2at6native12_GLOBAL__N_18offset_tEEE10hipError_tPvRmT1_PNSt15iterator_traitsISY_E10value_typeET2_T3_PNSZ_IS14_E10value_typeET4_jRbjT5_S1A_jjP12ihipStream_tbEUljE_EEESV_SW_SX_S14_S18_S1A_T6_T7_T9_mT8_S1C_bDpT10_ENKUlT_T0_E_clISt17integral_constantIbLb0EES1P_EEDaS1K_S1L_EUlS1K_E_NS1_11comp_targetILNS1_3genE4ELNS1_11target_archE910ELNS1_3gpuE8ELNS1_3repE0EEENS1_30default_config_static_selectorELNS0_4arch9wavefront6targetE0EEEvSY_
; %bb.0:
	.section	.rodata,"a",@progbits
	.p2align	6, 0x0
	.amdhsa_kernel _ZN7rocprim17ROCPRIM_400000_NS6detail17trampoline_kernelINS0_13select_configILj256ELj13ELNS0_17block_load_methodE3ELS4_3ELS4_3ELNS0_20block_scan_algorithmE0ELj4294967295EEENS1_25partition_config_selectorILNS1_17partition_subalgoE3EjNS0_10empty_typeEbEEZZNS1_14partition_implILS8_3ELb0ES6_jNS0_17counting_iteratorIjlEEPS9_SE_NS0_5tupleIJPjSE_EEENSF_IJSE_SE_EEES9_SG_JZNS1_25segmented_radix_sort_implINS0_14default_configELb0EPKsPsPKlPlN2at6native12_GLOBAL__N_18offset_tEEE10hipError_tPvRmT1_PNSt15iterator_traitsISY_E10value_typeET2_T3_PNSZ_IS14_E10value_typeET4_jRbjT5_S1A_jjP12ihipStream_tbEUljE_EEESV_SW_SX_S14_S18_S1A_T6_T7_T9_mT8_S1C_bDpT10_ENKUlT_T0_E_clISt17integral_constantIbLb0EES1P_EEDaS1K_S1L_EUlS1K_E_NS1_11comp_targetILNS1_3genE4ELNS1_11target_archE910ELNS1_3gpuE8ELNS1_3repE0EEENS1_30default_config_static_selectorELNS0_4arch9wavefront6targetE0EEEvSY_
		.amdhsa_group_segment_fixed_size 0
		.amdhsa_private_segment_fixed_size 0
		.amdhsa_kernarg_size 144
		.amdhsa_user_sgpr_count 2
		.amdhsa_user_sgpr_dispatch_ptr 0
		.amdhsa_user_sgpr_queue_ptr 0
		.amdhsa_user_sgpr_kernarg_segment_ptr 1
		.amdhsa_user_sgpr_dispatch_id 0
		.amdhsa_user_sgpr_private_segment_size 0
		.amdhsa_wavefront_size32 1
		.amdhsa_uses_dynamic_stack 0
		.amdhsa_enable_private_segment 0
		.amdhsa_system_sgpr_workgroup_id_x 1
		.amdhsa_system_sgpr_workgroup_id_y 0
		.amdhsa_system_sgpr_workgroup_id_z 0
		.amdhsa_system_sgpr_workgroup_info 0
		.amdhsa_system_vgpr_workitem_id 0
		.amdhsa_next_free_vgpr 1
		.amdhsa_next_free_sgpr 1
		.amdhsa_reserve_vcc 0
		.amdhsa_float_round_mode_32 0
		.amdhsa_float_round_mode_16_64 0
		.amdhsa_float_denorm_mode_32 3
		.amdhsa_float_denorm_mode_16_64 3
		.amdhsa_fp16_overflow 0
		.amdhsa_workgroup_processor_mode 1
		.amdhsa_memory_ordered 1
		.amdhsa_forward_progress 1
		.amdhsa_inst_pref_size 0
		.amdhsa_round_robin_scheduling 0
		.amdhsa_exception_fp_ieee_invalid_op 0
		.amdhsa_exception_fp_denorm_src 0
		.amdhsa_exception_fp_ieee_div_zero 0
		.amdhsa_exception_fp_ieee_overflow 0
		.amdhsa_exception_fp_ieee_underflow 0
		.amdhsa_exception_fp_ieee_inexact 0
		.amdhsa_exception_int_div_zero 0
	.end_amdhsa_kernel
	.section	.text._ZN7rocprim17ROCPRIM_400000_NS6detail17trampoline_kernelINS0_13select_configILj256ELj13ELNS0_17block_load_methodE3ELS4_3ELS4_3ELNS0_20block_scan_algorithmE0ELj4294967295EEENS1_25partition_config_selectorILNS1_17partition_subalgoE3EjNS0_10empty_typeEbEEZZNS1_14partition_implILS8_3ELb0ES6_jNS0_17counting_iteratorIjlEEPS9_SE_NS0_5tupleIJPjSE_EEENSF_IJSE_SE_EEES9_SG_JZNS1_25segmented_radix_sort_implINS0_14default_configELb0EPKsPsPKlPlN2at6native12_GLOBAL__N_18offset_tEEE10hipError_tPvRmT1_PNSt15iterator_traitsISY_E10value_typeET2_T3_PNSZ_IS14_E10value_typeET4_jRbjT5_S1A_jjP12ihipStream_tbEUljE_EEESV_SW_SX_S14_S18_S1A_T6_T7_T9_mT8_S1C_bDpT10_ENKUlT_T0_E_clISt17integral_constantIbLb0EES1P_EEDaS1K_S1L_EUlS1K_E_NS1_11comp_targetILNS1_3genE4ELNS1_11target_archE910ELNS1_3gpuE8ELNS1_3repE0EEENS1_30default_config_static_selectorELNS0_4arch9wavefront6targetE0EEEvSY_,"axG",@progbits,_ZN7rocprim17ROCPRIM_400000_NS6detail17trampoline_kernelINS0_13select_configILj256ELj13ELNS0_17block_load_methodE3ELS4_3ELS4_3ELNS0_20block_scan_algorithmE0ELj4294967295EEENS1_25partition_config_selectorILNS1_17partition_subalgoE3EjNS0_10empty_typeEbEEZZNS1_14partition_implILS8_3ELb0ES6_jNS0_17counting_iteratorIjlEEPS9_SE_NS0_5tupleIJPjSE_EEENSF_IJSE_SE_EEES9_SG_JZNS1_25segmented_radix_sort_implINS0_14default_configELb0EPKsPsPKlPlN2at6native12_GLOBAL__N_18offset_tEEE10hipError_tPvRmT1_PNSt15iterator_traitsISY_E10value_typeET2_T3_PNSZ_IS14_E10value_typeET4_jRbjT5_S1A_jjP12ihipStream_tbEUljE_EEESV_SW_SX_S14_S18_S1A_T6_T7_T9_mT8_S1C_bDpT10_ENKUlT_T0_E_clISt17integral_constantIbLb0EES1P_EEDaS1K_S1L_EUlS1K_E_NS1_11comp_targetILNS1_3genE4ELNS1_11target_archE910ELNS1_3gpuE8ELNS1_3repE0EEENS1_30default_config_static_selectorELNS0_4arch9wavefront6targetE0EEEvSY_,comdat
.Lfunc_end984:
	.size	_ZN7rocprim17ROCPRIM_400000_NS6detail17trampoline_kernelINS0_13select_configILj256ELj13ELNS0_17block_load_methodE3ELS4_3ELS4_3ELNS0_20block_scan_algorithmE0ELj4294967295EEENS1_25partition_config_selectorILNS1_17partition_subalgoE3EjNS0_10empty_typeEbEEZZNS1_14partition_implILS8_3ELb0ES6_jNS0_17counting_iteratorIjlEEPS9_SE_NS0_5tupleIJPjSE_EEENSF_IJSE_SE_EEES9_SG_JZNS1_25segmented_radix_sort_implINS0_14default_configELb0EPKsPsPKlPlN2at6native12_GLOBAL__N_18offset_tEEE10hipError_tPvRmT1_PNSt15iterator_traitsISY_E10value_typeET2_T3_PNSZ_IS14_E10value_typeET4_jRbjT5_S1A_jjP12ihipStream_tbEUljE_EEESV_SW_SX_S14_S18_S1A_T6_T7_T9_mT8_S1C_bDpT10_ENKUlT_T0_E_clISt17integral_constantIbLb0EES1P_EEDaS1K_S1L_EUlS1K_E_NS1_11comp_targetILNS1_3genE4ELNS1_11target_archE910ELNS1_3gpuE8ELNS1_3repE0EEENS1_30default_config_static_selectorELNS0_4arch9wavefront6targetE0EEEvSY_, .Lfunc_end984-_ZN7rocprim17ROCPRIM_400000_NS6detail17trampoline_kernelINS0_13select_configILj256ELj13ELNS0_17block_load_methodE3ELS4_3ELS4_3ELNS0_20block_scan_algorithmE0ELj4294967295EEENS1_25partition_config_selectorILNS1_17partition_subalgoE3EjNS0_10empty_typeEbEEZZNS1_14partition_implILS8_3ELb0ES6_jNS0_17counting_iteratorIjlEEPS9_SE_NS0_5tupleIJPjSE_EEENSF_IJSE_SE_EEES9_SG_JZNS1_25segmented_radix_sort_implINS0_14default_configELb0EPKsPsPKlPlN2at6native12_GLOBAL__N_18offset_tEEE10hipError_tPvRmT1_PNSt15iterator_traitsISY_E10value_typeET2_T3_PNSZ_IS14_E10value_typeET4_jRbjT5_S1A_jjP12ihipStream_tbEUljE_EEESV_SW_SX_S14_S18_S1A_T6_T7_T9_mT8_S1C_bDpT10_ENKUlT_T0_E_clISt17integral_constantIbLb0EES1P_EEDaS1K_S1L_EUlS1K_E_NS1_11comp_targetILNS1_3genE4ELNS1_11target_archE910ELNS1_3gpuE8ELNS1_3repE0EEENS1_30default_config_static_selectorELNS0_4arch9wavefront6targetE0EEEvSY_
                                        ; -- End function
	.set _ZN7rocprim17ROCPRIM_400000_NS6detail17trampoline_kernelINS0_13select_configILj256ELj13ELNS0_17block_load_methodE3ELS4_3ELS4_3ELNS0_20block_scan_algorithmE0ELj4294967295EEENS1_25partition_config_selectorILNS1_17partition_subalgoE3EjNS0_10empty_typeEbEEZZNS1_14partition_implILS8_3ELb0ES6_jNS0_17counting_iteratorIjlEEPS9_SE_NS0_5tupleIJPjSE_EEENSF_IJSE_SE_EEES9_SG_JZNS1_25segmented_radix_sort_implINS0_14default_configELb0EPKsPsPKlPlN2at6native12_GLOBAL__N_18offset_tEEE10hipError_tPvRmT1_PNSt15iterator_traitsISY_E10value_typeET2_T3_PNSZ_IS14_E10value_typeET4_jRbjT5_S1A_jjP12ihipStream_tbEUljE_EEESV_SW_SX_S14_S18_S1A_T6_T7_T9_mT8_S1C_bDpT10_ENKUlT_T0_E_clISt17integral_constantIbLb0EES1P_EEDaS1K_S1L_EUlS1K_E_NS1_11comp_targetILNS1_3genE4ELNS1_11target_archE910ELNS1_3gpuE8ELNS1_3repE0EEENS1_30default_config_static_selectorELNS0_4arch9wavefront6targetE0EEEvSY_.num_vgpr, 0
	.set _ZN7rocprim17ROCPRIM_400000_NS6detail17trampoline_kernelINS0_13select_configILj256ELj13ELNS0_17block_load_methodE3ELS4_3ELS4_3ELNS0_20block_scan_algorithmE0ELj4294967295EEENS1_25partition_config_selectorILNS1_17partition_subalgoE3EjNS0_10empty_typeEbEEZZNS1_14partition_implILS8_3ELb0ES6_jNS0_17counting_iteratorIjlEEPS9_SE_NS0_5tupleIJPjSE_EEENSF_IJSE_SE_EEES9_SG_JZNS1_25segmented_radix_sort_implINS0_14default_configELb0EPKsPsPKlPlN2at6native12_GLOBAL__N_18offset_tEEE10hipError_tPvRmT1_PNSt15iterator_traitsISY_E10value_typeET2_T3_PNSZ_IS14_E10value_typeET4_jRbjT5_S1A_jjP12ihipStream_tbEUljE_EEESV_SW_SX_S14_S18_S1A_T6_T7_T9_mT8_S1C_bDpT10_ENKUlT_T0_E_clISt17integral_constantIbLb0EES1P_EEDaS1K_S1L_EUlS1K_E_NS1_11comp_targetILNS1_3genE4ELNS1_11target_archE910ELNS1_3gpuE8ELNS1_3repE0EEENS1_30default_config_static_selectorELNS0_4arch9wavefront6targetE0EEEvSY_.num_agpr, 0
	.set _ZN7rocprim17ROCPRIM_400000_NS6detail17trampoline_kernelINS0_13select_configILj256ELj13ELNS0_17block_load_methodE3ELS4_3ELS4_3ELNS0_20block_scan_algorithmE0ELj4294967295EEENS1_25partition_config_selectorILNS1_17partition_subalgoE3EjNS0_10empty_typeEbEEZZNS1_14partition_implILS8_3ELb0ES6_jNS0_17counting_iteratorIjlEEPS9_SE_NS0_5tupleIJPjSE_EEENSF_IJSE_SE_EEES9_SG_JZNS1_25segmented_radix_sort_implINS0_14default_configELb0EPKsPsPKlPlN2at6native12_GLOBAL__N_18offset_tEEE10hipError_tPvRmT1_PNSt15iterator_traitsISY_E10value_typeET2_T3_PNSZ_IS14_E10value_typeET4_jRbjT5_S1A_jjP12ihipStream_tbEUljE_EEESV_SW_SX_S14_S18_S1A_T6_T7_T9_mT8_S1C_bDpT10_ENKUlT_T0_E_clISt17integral_constantIbLb0EES1P_EEDaS1K_S1L_EUlS1K_E_NS1_11comp_targetILNS1_3genE4ELNS1_11target_archE910ELNS1_3gpuE8ELNS1_3repE0EEENS1_30default_config_static_selectorELNS0_4arch9wavefront6targetE0EEEvSY_.numbered_sgpr, 0
	.set _ZN7rocprim17ROCPRIM_400000_NS6detail17trampoline_kernelINS0_13select_configILj256ELj13ELNS0_17block_load_methodE3ELS4_3ELS4_3ELNS0_20block_scan_algorithmE0ELj4294967295EEENS1_25partition_config_selectorILNS1_17partition_subalgoE3EjNS0_10empty_typeEbEEZZNS1_14partition_implILS8_3ELb0ES6_jNS0_17counting_iteratorIjlEEPS9_SE_NS0_5tupleIJPjSE_EEENSF_IJSE_SE_EEES9_SG_JZNS1_25segmented_radix_sort_implINS0_14default_configELb0EPKsPsPKlPlN2at6native12_GLOBAL__N_18offset_tEEE10hipError_tPvRmT1_PNSt15iterator_traitsISY_E10value_typeET2_T3_PNSZ_IS14_E10value_typeET4_jRbjT5_S1A_jjP12ihipStream_tbEUljE_EEESV_SW_SX_S14_S18_S1A_T6_T7_T9_mT8_S1C_bDpT10_ENKUlT_T0_E_clISt17integral_constantIbLb0EES1P_EEDaS1K_S1L_EUlS1K_E_NS1_11comp_targetILNS1_3genE4ELNS1_11target_archE910ELNS1_3gpuE8ELNS1_3repE0EEENS1_30default_config_static_selectorELNS0_4arch9wavefront6targetE0EEEvSY_.num_named_barrier, 0
	.set _ZN7rocprim17ROCPRIM_400000_NS6detail17trampoline_kernelINS0_13select_configILj256ELj13ELNS0_17block_load_methodE3ELS4_3ELS4_3ELNS0_20block_scan_algorithmE0ELj4294967295EEENS1_25partition_config_selectorILNS1_17partition_subalgoE3EjNS0_10empty_typeEbEEZZNS1_14partition_implILS8_3ELb0ES6_jNS0_17counting_iteratorIjlEEPS9_SE_NS0_5tupleIJPjSE_EEENSF_IJSE_SE_EEES9_SG_JZNS1_25segmented_radix_sort_implINS0_14default_configELb0EPKsPsPKlPlN2at6native12_GLOBAL__N_18offset_tEEE10hipError_tPvRmT1_PNSt15iterator_traitsISY_E10value_typeET2_T3_PNSZ_IS14_E10value_typeET4_jRbjT5_S1A_jjP12ihipStream_tbEUljE_EEESV_SW_SX_S14_S18_S1A_T6_T7_T9_mT8_S1C_bDpT10_ENKUlT_T0_E_clISt17integral_constantIbLb0EES1P_EEDaS1K_S1L_EUlS1K_E_NS1_11comp_targetILNS1_3genE4ELNS1_11target_archE910ELNS1_3gpuE8ELNS1_3repE0EEENS1_30default_config_static_selectorELNS0_4arch9wavefront6targetE0EEEvSY_.private_seg_size, 0
	.set _ZN7rocprim17ROCPRIM_400000_NS6detail17trampoline_kernelINS0_13select_configILj256ELj13ELNS0_17block_load_methodE3ELS4_3ELS4_3ELNS0_20block_scan_algorithmE0ELj4294967295EEENS1_25partition_config_selectorILNS1_17partition_subalgoE3EjNS0_10empty_typeEbEEZZNS1_14partition_implILS8_3ELb0ES6_jNS0_17counting_iteratorIjlEEPS9_SE_NS0_5tupleIJPjSE_EEENSF_IJSE_SE_EEES9_SG_JZNS1_25segmented_radix_sort_implINS0_14default_configELb0EPKsPsPKlPlN2at6native12_GLOBAL__N_18offset_tEEE10hipError_tPvRmT1_PNSt15iterator_traitsISY_E10value_typeET2_T3_PNSZ_IS14_E10value_typeET4_jRbjT5_S1A_jjP12ihipStream_tbEUljE_EEESV_SW_SX_S14_S18_S1A_T6_T7_T9_mT8_S1C_bDpT10_ENKUlT_T0_E_clISt17integral_constantIbLb0EES1P_EEDaS1K_S1L_EUlS1K_E_NS1_11comp_targetILNS1_3genE4ELNS1_11target_archE910ELNS1_3gpuE8ELNS1_3repE0EEENS1_30default_config_static_selectorELNS0_4arch9wavefront6targetE0EEEvSY_.uses_vcc, 0
	.set _ZN7rocprim17ROCPRIM_400000_NS6detail17trampoline_kernelINS0_13select_configILj256ELj13ELNS0_17block_load_methodE3ELS4_3ELS4_3ELNS0_20block_scan_algorithmE0ELj4294967295EEENS1_25partition_config_selectorILNS1_17partition_subalgoE3EjNS0_10empty_typeEbEEZZNS1_14partition_implILS8_3ELb0ES6_jNS0_17counting_iteratorIjlEEPS9_SE_NS0_5tupleIJPjSE_EEENSF_IJSE_SE_EEES9_SG_JZNS1_25segmented_radix_sort_implINS0_14default_configELb0EPKsPsPKlPlN2at6native12_GLOBAL__N_18offset_tEEE10hipError_tPvRmT1_PNSt15iterator_traitsISY_E10value_typeET2_T3_PNSZ_IS14_E10value_typeET4_jRbjT5_S1A_jjP12ihipStream_tbEUljE_EEESV_SW_SX_S14_S18_S1A_T6_T7_T9_mT8_S1C_bDpT10_ENKUlT_T0_E_clISt17integral_constantIbLb0EES1P_EEDaS1K_S1L_EUlS1K_E_NS1_11comp_targetILNS1_3genE4ELNS1_11target_archE910ELNS1_3gpuE8ELNS1_3repE0EEENS1_30default_config_static_selectorELNS0_4arch9wavefront6targetE0EEEvSY_.uses_flat_scratch, 0
	.set _ZN7rocprim17ROCPRIM_400000_NS6detail17trampoline_kernelINS0_13select_configILj256ELj13ELNS0_17block_load_methodE3ELS4_3ELS4_3ELNS0_20block_scan_algorithmE0ELj4294967295EEENS1_25partition_config_selectorILNS1_17partition_subalgoE3EjNS0_10empty_typeEbEEZZNS1_14partition_implILS8_3ELb0ES6_jNS0_17counting_iteratorIjlEEPS9_SE_NS0_5tupleIJPjSE_EEENSF_IJSE_SE_EEES9_SG_JZNS1_25segmented_radix_sort_implINS0_14default_configELb0EPKsPsPKlPlN2at6native12_GLOBAL__N_18offset_tEEE10hipError_tPvRmT1_PNSt15iterator_traitsISY_E10value_typeET2_T3_PNSZ_IS14_E10value_typeET4_jRbjT5_S1A_jjP12ihipStream_tbEUljE_EEESV_SW_SX_S14_S18_S1A_T6_T7_T9_mT8_S1C_bDpT10_ENKUlT_T0_E_clISt17integral_constantIbLb0EES1P_EEDaS1K_S1L_EUlS1K_E_NS1_11comp_targetILNS1_3genE4ELNS1_11target_archE910ELNS1_3gpuE8ELNS1_3repE0EEENS1_30default_config_static_selectorELNS0_4arch9wavefront6targetE0EEEvSY_.has_dyn_sized_stack, 0
	.set _ZN7rocprim17ROCPRIM_400000_NS6detail17trampoline_kernelINS0_13select_configILj256ELj13ELNS0_17block_load_methodE3ELS4_3ELS4_3ELNS0_20block_scan_algorithmE0ELj4294967295EEENS1_25partition_config_selectorILNS1_17partition_subalgoE3EjNS0_10empty_typeEbEEZZNS1_14partition_implILS8_3ELb0ES6_jNS0_17counting_iteratorIjlEEPS9_SE_NS0_5tupleIJPjSE_EEENSF_IJSE_SE_EEES9_SG_JZNS1_25segmented_radix_sort_implINS0_14default_configELb0EPKsPsPKlPlN2at6native12_GLOBAL__N_18offset_tEEE10hipError_tPvRmT1_PNSt15iterator_traitsISY_E10value_typeET2_T3_PNSZ_IS14_E10value_typeET4_jRbjT5_S1A_jjP12ihipStream_tbEUljE_EEESV_SW_SX_S14_S18_S1A_T6_T7_T9_mT8_S1C_bDpT10_ENKUlT_T0_E_clISt17integral_constantIbLb0EES1P_EEDaS1K_S1L_EUlS1K_E_NS1_11comp_targetILNS1_3genE4ELNS1_11target_archE910ELNS1_3gpuE8ELNS1_3repE0EEENS1_30default_config_static_selectorELNS0_4arch9wavefront6targetE0EEEvSY_.has_recursion, 0
	.set _ZN7rocprim17ROCPRIM_400000_NS6detail17trampoline_kernelINS0_13select_configILj256ELj13ELNS0_17block_load_methodE3ELS4_3ELS4_3ELNS0_20block_scan_algorithmE0ELj4294967295EEENS1_25partition_config_selectorILNS1_17partition_subalgoE3EjNS0_10empty_typeEbEEZZNS1_14partition_implILS8_3ELb0ES6_jNS0_17counting_iteratorIjlEEPS9_SE_NS0_5tupleIJPjSE_EEENSF_IJSE_SE_EEES9_SG_JZNS1_25segmented_radix_sort_implINS0_14default_configELb0EPKsPsPKlPlN2at6native12_GLOBAL__N_18offset_tEEE10hipError_tPvRmT1_PNSt15iterator_traitsISY_E10value_typeET2_T3_PNSZ_IS14_E10value_typeET4_jRbjT5_S1A_jjP12ihipStream_tbEUljE_EEESV_SW_SX_S14_S18_S1A_T6_T7_T9_mT8_S1C_bDpT10_ENKUlT_T0_E_clISt17integral_constantIbLb0EES1P_EEDaS1K_S1L_EUlS1K_E_NS1_11comp_targetILNS1_3genE4ELNS1_11target_archE910ELNS1_3gpuE8ELNS1_3repE0EEENS1_30default_config_static_selectorELNS0_4arch9wavefront6targetE0EEEvSY_.has_indirect_call, 0
	.section	.AMDGPU.csdata,"",@progbits
; Kernel info:
; codeLenInByte = 0
; TotalNumSgprs: 0
; NumVgprs: 0
; ScratchSize: 0
; MemoryBound: 0
; FloatMode: 240
; IeeeMode: 1
; LDSByteSize: 0 bytes/workgroup (compile time only)
; SGPRBlocks: 0
; VGPRBlocks: 0
; NumSGPRsForWavesPerEU: 1
; NumVGPRsForWavesPerEU: 1
; Occupancy: 16
; WaveLimiterHint : 0
; COMPUTE_PGM_RSRC2:SCRATCH_EN: 0
; COMPUTE_PGM_RSRC2:USER_SGPR: 2
; COMPUTE_PGM_RSRC2:TRAP_HANDLER: 0
; COMPUTE_PGM_RSRC2:TGID_X_EN: 1
; COMPUTE_PGM_RSRC2:TGID_Y_EN: 0
; COMPUTE_PGM_RSRC2:TGID_Z_EN: 0
; COMPUTE_PGM_RSRC2:TIDIG_COMP_CNT: 0
	.section	.text._ZN7rocprim17ROCPRIM_400000_NS6detail17trampoline_kernelINS0_13select_configILj256ELj13ELNS0_17block_load_methodE3ELS4_3ELS4_3ELNS0_20block_scan_algorithmE0ELj4294967295EEENS1_25partition_config_selectorILNS1_17partition_subalgoE3EjNS0_10empty_typeEbEEZZNS1_14partition_implILS8_3ELb0ES6_jNS0_17counting_iteratorIjlEEPS9_SE_NS0_5tupleIJPjSE_EEENSF_IJSE_SE_EEES9_SG_JZNS1_25segmented_radix_sort_implINS0_14default_configELb0EPKsPsPKlPlN2at6native12_GLOBAL__N_18offset_tEEE10hipError_tPvRmT1_PNSt15iterator_traitsISY_E10value_typeET2_T3_PNSZ_IS14_E10value_typeET4_jRbjT5_S1A_jjP12ihipStream_tbEUljE_EEESV_SW_SX_S14_S18_S1A_T6_T7_T9_mT8_S1C_bDpT10_ENKUlT_T0_E_clISt17integral_constantIbLb0EES1P_EEDaS1K_S1L_EUlS1K_E_NS1_11comp_targetILNS1_3genE3ELNS1_11target_archE908ELNS1_3gpuE7ELNS1_3repE0EEENS1_30default_config_static_selectorELNS0_4arch9wavefront6targetE0EEEvSY_,"axG",@progbits,_ZN7rocprim17ROCPRIM_400000_NS6detail17trampoline_kernelINS0_13select_configILj256ELj13ELNS0_17block_load_methodE3ELS4_3ELS4_3ELNS0_20block_scan_algorithmE0ELj4294967295EEENS1_25partition_config_selectorILNS1_17partition_subalgoE3EjNS0_10empty_typeEbEEZZNS1_14partition_implILS8_3ELb0ES6_jNS0_17counting_iteratorIjlEEPS9_SE_NS0_5tupleIJPjSE_EEENSF_IJSE_SE_EEES9_SG_JZNS1_25segmented_radix_sort_implINS0_14default_configELb0EPKsPsPKlPlN2at6native12_GLOBAL__N_18offset_tEEE10hipError_tPvRmT1_PNSt15iterator_traitsISY_E10value_typeET2_T3_PNSZ_IS14_E10value_typeET4_jRbjT5_S1A_jjP12ihipStream_tbEUljE_EEESV_SW_SX_S14_S18_S1A_T6_T7_T9_mT8_S1C_bDpT10_ENKUlT_T0_E_clISt17integral_constantIbLb0EES1P_EEDaS1K_S1L_EUlS1K_E_NS1_11comp_targetILNS1_3genE3ELNS1_11target_archE908ELNS1_3gpuE7ELNS1_3repE0EEENS1_30default_config_static_selectorELNS0_4arch9wavefront6targetE0EEEvSY_,comdat
	.globl	_ZN7rocprim17ROCPRIM_400000_NS6detail17trampoline_kernelINS0_13select_configILj256ELj13ELNS0_17block_load_methodE3ELS4_3ELS4_3ELNS0_20block_scan_algorithmE0ELj4294967295EEENS1_25partition_config_selectorILNS1_17partition_subalgoE3EjNS0_10empty_typeEbEEZZNS1_14partition_implILS8_3ELb0ES6_jNS0_17counting_iteratorIjlEEPS9_SE_NS0_5tupleIJPjSE_EEENSF_IJSE_SE_EEES9_SG_JZNS1_25segmented_radix_sort_implINS0_14default_configELb0EPKsPsPKlPlN2at6native12_GLOBAL__N_18offset_tEEE10hipError_tPvRmT1_PNSt15iterator_traitsISY_E10value_typeET2_T3_PNSZ_IS14_E10value_typeET4_jRbjT5_S1A_jjP12ihipStream_tbEUljE_EEESV_SW_SX_S14_S18_S1A_T6_T7_T9_mT8_S1C_bDpT10_ENKUlT_T0_E_clISt17integral_constantIbLb0EES1P_EEDaS1K_S1L_EUlS1K_E_NS1_11comp_targetILNS1_3genE3ELNS1_11target_archE908ELNS1_3gpuE7ELNS1_3repE0EEENS1_30default_config_static_selectorELNS0_4arch9wavefront6targetE0EEEvSY_ ; -- Begin function _ZN7rocprim17ROCPRIM_400000_NS6detail17trampoline_kernelINS0_13select_configILj256ELj13ELNS0_17block_load_methodE3ELS4_3ELS4_3ELNS0_20block_scan_algorithmE0ELj4294967295EEENS1_25partition_config_selectorILNS1_17partition_subalgoE3EjNS0_10empty_typeEbEEZZNS1_14partition_implILS8_3ELb0ES6_jNS0_17counting_iteratorIjlEEPS9_SE_NS0_5tupleIJPjSE_EEENSF_IJSE_SE_EEES9_SG_JZNS1_25segmented_radix_sort_implINS0_14default_configELb0EPKsPsPKlPlN2at6native12_GLOBAL__N_18offset_tEEE10hipError_tPvRmT1_PNSt15iterator_traitsISY_E10value_typeET2_T3_PNSZ_IS14_E10value_typeET4_jRbjT5_S1A_jjP12ihipStream_tbEUljE_EEESV_SW_SX_S14_S18_S1A_T6_T7_T9_mT8_S1C_bDpT10_ENKUlT_T0_E_clISt17integral_constantIbLb0EES1P_EEDaS1K_S1L_EUlS1K_E_NS1_11comp_targetILNS1_3genE3ELNS1_11target_archE908ELNS1_3gpuE7ELNS1_3repE0EEENS1_30default_config_static_selectorELNS0_4arch9wavefront6targetE0EEEvSY_
	.p2align	8
	.type	_ZN7rocprim17ROCPRIM_400000_NS6detail17trampoline_kernelINS0_13select_configILj256ELj13ELNS0_17block_load_methodE3ELS4_3ELS4_3ELNS0_20block_scan_algorithmE0ELj4294967295EEENS1_25partition_config_selectorILNS1_17partition_subalgoE3EjNS0_10empty_typeEbEEZZNS1_14partition_implILS8_3ELb0ES6_jNS0_17counting_iteratorIjlEEPS9_SE_NS0_5tupleIJPjSE_EEENSF_IJSE_SE_EEES9_SG_JZNS1_25segmented_radix_sort_implINS0_14default_configELb0EPKsPsPKlPlN2at6native12_GLOBAL__N_18offset_tEEE10hipError_tPvRmT1_PNSt15iterator_traitsISY_E10value_typeET2_T3_PNSZ_IS14_E10value_typeET4_jRbjT5_S1A_jjP12ihipStream_tbEUljE_EEESV_SW_SX_S14_S18_S1A_T6_T7_T9_mT8_S1C_bDpT10_ENKUlT_T0_E_clISt17integral_constantIbLb0EES1P_EEDaS1K_S1L_EUlS1K_E_NS1_11comp_targetILNS1_3genE3ELNS1_11target_archE908ELNS1_3gpuE7ELNS1_3repE0EEENS1_30default_config_static_selectorELNS0_4arch9wavefront6targetE0EEEvSY_,@function
_ZN7rocprim17ROCPRIM_400000_NS6detail17trampoline_kernelINS0_13select_configILj256ELj13ELNS0_17block_load_methodE3ELS4_3ELS4_3ELNS0_20block_scan_algorithmE0ELj4294967295EEENS1_25partition_config_selectorILNS1_17partition_subalgoE3EjNS0_10empty_typeEbEEZZNS1_14partition_implILS8_3ELb0ES6_jNS0_17counting_iteratorIjlEEPS9_SE_NS0_5tupleIJPjSE_EEENSF_IJSE_SE_EEES9_SG_JZNS1_25segmented_radix_sort_implINS0_14default_configELb0EPKsPsPKlPlN2at6native12_GLOBAL__N_18offset_tEEE10hipError_tPvRmT1_PNSt15iterator_traitsISY_E10value_typeET2_T3_PNSZ_IS14_E10value_typeET4_jRbjT5_S1A_jjP12ihipStream_tbEUljE_EEESV_SW_SX_S14_S18_S1A_T6_T7_T9_mT8_S1C_bDpT10_ENKUlT_T0_E_clISt17integral_constantIbLb0EES1P_EEDaS1K_S1L_EUlS1K_E_NS1_11comp_targetILNS1_3genE3ELNS1_11target_archE908ELNS1_3gpuE7ELNS1_3repE0EEENS1_30default_config_static_selectorELNS0_4arch9wavefront6targetE0EEEvSY_: ; @_ZN7rocprim17ROCPRIM_400000_NS6detail17trampoline_kernelINS0_13select_configILj256ELj13ELNS0_17block_load_methodE3ELS4_3ELS4_3ELNS0_20block_scan_algorithmE0ELj4294967295EEENS1_25partition_config_selectorILNS1_17partition_subalgoE3EjNS0_10empty_typeEbEEZZNS1_14partition_implILS8_3ELb0ES6_jNS0_17counting_iteratorIjlEEPS9_SE_NS0_5tupleIJPjSE_EEENSF_IJSE_SE_EEES9_SG_JZNS1_25segmented_radix_sort_implINS0_14default_configELb0EPKsPsPKlPlN2at6native12_GLOBAL__N_18offset_tEEE10hipError_tPvRmT1_PNSt15iterator_traitsISY_E10value_typeET2_T3_PNSZ_IS14_E10value_typeET4_jRbjT5_S1A_jjP12ihipStream_tbEUljE_EEESV_SW_SX_S14_S18_S1A_T6_T7_T9_mT8_S1C_bDpT10_ENKUlT_T0_E_clISt17integral_constantIbLb0EES1P_EEDaS1K_S1L_EUlS1K_E_NS1_11comp_targetILNS1_3genE3ELNS1_11target_archE908ELNS1_3gpuE7ELNS1_3repE0EEENS1_30default_config_static_selectorELNS0_4arch9wavefront6targetE0EEEvSY_
; %bb.0:
	.section	.rodata,"a",@progbits
	.p2align	6, 0x0
	.amdhsa_kernel _ZN7rocprim17ROCPRIM_400000_NS6detail17trampoline_kernelINS0_13select_configILj256ELj13ELNS0_17block_load_methodE3ELS4_3ELS4_3ELNS0_20block_scan_algorithmE0ELj4294967295EEENS1_25partition_config_selectorILNS1_17partition_subalgoE3EjNS0_10empty_typeEbEEZZNS1_14partition_implILS8_3ELb0ES6_jNS0_17counting_iteratorIjlEEPS9_SE_NS0_5tupleIJPjSE_EEENSF_IJSE_SE_EEES9_SG_JZNS1_25segmented_radix_sort_implINS0_14default_configELb0EPKsPsPKlPlN2at6native12_GLOBAL__N_18offset_tEEE10hipError_tPvRmT1_PNSt15iterator_traitsISY_E10value_typeET2_T3_PNSZ_IS14_E10value_typeET4_jRbjT5_S1A_jjP12ihipStream_tbEUljE_EEESV_SW_SX_S14_S18_S1A_T6_T7_T9_mT8_S1C_bDpT10_ENKUlT_T0_E_clISt17integral_constantIbLb0EES1P_EEDaS1K_S1L_EUlS1K_E_NS1_11comp_targetILNS1_3genE3ELNS1_11target_archE908ELNS1_3gpuE7ELNS1_3repE0EEENS1_30default_config_static_selectorELNS0_4arch9wavefront6targetE0EEEvSY_
		.amdhsa_group_segment_fixed_size 0
		.amdhsa_private_segment_fixed_size 0
		.amdhsa_kernarg_size 144
		.amdhsa_user_sgpr_count 2
		.amdhsa_user_sgpr_dispatch_ptr 0
		.amdhsa_user_sgpr_queue_ptr 0
		.amdhsa_user_sgpr_kernarg_segment_ptr 1
		.amdhsa_user_sgpr_dispatch_id 0
		.amdhsa_user_sgpr_private_segment_size 0
		.amdhsa_wavefront_size32 1
		.amdhsa_uses_dynamic_stack 0
		.amdhsa_enable_private_segment 0
		.amdhsa_system_sgpr_workgroup_id_x 1
		.amdhsa_system_sgpr_workgroup_id_y 0
		.amdhsa_system_sgpr_workgroup_id_z 0
		.amdhsa_system_sgpr_workgroup_info 0
		.amdhsa_system_vgpr_workitem_id 0
		.amdhsa_next_free_vgpr 1
		.amdhsa_next_free_sgpr 1
		.amdhsa_reserve_vcc 0
		.amdhsa_float_round_mode_32 0
		.amdhsa_float_round_mode_16_64 0
		.amdhsa_float_denorm_mode_32 3
		.amdhsa_float_denorm_mode_16_64 3
		.amdhsa_fp16_overflow 0
		.amdhsa_workgroup_processor_mode 1
		.amdhsa_memory_ordered 1
		.amdhsa_forward_progress 1
		.amdhsa_inst_pref_size 0
		.amdhsa_round_robin_scheduling 0
		.amdhsa_exception_fp_ieee_invalid_op 0
		.amdhsa_exception_fp_denorm_src 0
		.amdhsa_exception_fp_ieee_div_zero 0
		.amdhsa_exception_fp_ieee_overflow 0
		.amdhsa_exception_fp_ieee_underflow 0
		.amdhsa_exception_fp_ieee_inexact 0
		.amdhsa_exception_int_div_zero 0
	.end_amdhsa_kernel
	.section	.text._ZN7rocprim17ROCPRIM_400000_NS6detail17trampoline_kernelINS0_13select_configILj256ELj13ELNS0_17block_load_methodE3ELS4_3ELS4_3ELNS0_20block_scan_algorithmE0ELj4294967295EEENS1_25partition_config_selectorILNS1_17partition_subalgoE3EjNS0_10empty_typeEbEEZZNS1_14partition_implILS8_3ELb0ES6_jNS0_17counting_iteratorIjlEEPS9_SE_NS0_5tupleIJPjSE_EEENSF_IJSE_SE_EEES9_SG_JZNS1_25segmented_radix_sort_implINS0_14default_configELb0EPKsPsPKlPlN2at6native12_GLOBAL__N_18offset_tEEE10hipError_tPvRmT1_PNSt15iterator_traitsISY_E10value_typeET2_T3_PNSZ_IS14_E10value_typeET4_jRbjT5_S1A_jjP12ihipStream_tbEUljE_EEESV_SW_SX_S14_S18_S1A_T6_T7_T9_mT8_S1C_bDpT10_ENKUlT_T0_E_clISt17integral_constantIbLb0EES1P_EEDaS1K_S1L_EUlS1K_E_NS1_11comp_targetILNS1_3genE3ELNS1_11target_archE908ELNS1_3gpuE7ELNS1_3repE0EEENS1_30default_config_static_selectorELNS0_4arch9wavefront6targetE0EEEvSY_,"axG",@progbits,_ZN7rocprim17ROCPRIM_400000_NS6detail17trampoline_kernelINS0_13select_configILj256ELj13ELNS0_17block_load_methodE3ELS4_3ELS4_3ELNS0_20block_scan_algorithmE0ELj4294967295EEENS1_25partition_config_selectorILNS1_17partition_subalgoE3EjNS0_10empty_typeEbEEZZNS1_14partition_implILS8_3ELb0ES6_jNS0_17counting_iteratorIjlEEPS9_SE_NS0_5tupleIJPjSE_EEENSF_IJSE_SE_EEES9_SG_JZNS1_25segmented_radix_sort_implINS0_14default_configELb0EPKsPsPKlPlN2at6native12_GLOBAL__N_18offset_tEEE10hipError_tPvRmT1_PNSt15iterator_traitsISY_E10value_typeET2_T3_PNSZ_IS14_E10value_typeET4_jRbjT5_S1A_jjP12ihipStream_tbEUljE_EEESV_SW_SX_S14_S18_S1A_T6_T7_T9_mT8_S1C_bDpT10_ENKUlT_T0_E_clISt17integral_constantIbLb0EES1P_EEDaS1K_S1L_EUlS1K_E_NS1_11comp_targetILNS1_3genE3ELNS1_11target_archE908ELNS1_3gpuE7ELNS1_3repE0EEENS1_30default_config_static_selectorELNS0_4arch9wavefront6targetE0EEEvSY_,comdat
.Lfunc_end985:
	.size	_ZN7rocprim17ROCPRIM_400000_NS6detail17trampoline_kernelINS0_13select_configILj256ELj13ELNS0_17block_load_methodE3ELS4_3ELS4_3ELNS0_20block_scan_algorithmE0ELj4294967295EEENS1_25partition_config_selectorILNS1_17partition_subalgoE3EjNS0_10empty_typeEbEEZZNS1_14partition_implILS8_3ELb0ES6_jNS0_17counting_iteratorIjlEEPS9_SE_NS0_5tupleIJPjSE_EEENSF_IJSE_SE_EEES9_SG_JZNS1_25segmented_radix_sort_implINS0_14default_configELb0EPKsPsPKlPlN2at6native12_GLOBAL__N_18offset_tEEE10hipError_tPvRmT1_PNSt15iterator_traitsISY_E10value_typeET2_T3_PNSZ_IS14_E10value_typeET4_jRbjT5_S1A_jjP12ihipStream_tbEUljE_EEESV_SW_SX_S14_S18_S1A_T6_T7_T9_mT8_S1C_bDpT10_ENKUlT_T0_E_clISt17integral_constantIbLb0EES1P_EEDaS1K_S1L_EUlS1K_E_NS1_11comp_targetILNS1_3genE3ELNS1_11target_archE908ELNS1_3gpuE7ELNS1_3repE0EEENS1_30default_config_static_selectorELNS0_4arch9wavefront6targetE0EEEvSY_, .Lfunc_end985-_ZN7rocprim17ROCPRIM_400000_NS6detail17trampoline_kernelINS0_13select_configILj256ELj13ELNS0_17block_load_methodE3ELS4_3ELS4_3ELNS0_20block_scan_algorithmE0ELj4294967295EEENS1_25partition_config_selectorILNS1_17partition_subalgoE3EjNS0_10empty_typeEbEEZZNS1_14partition_implILS8_3ELb0ES6_jNS0_17counting_iteratorIjlEEPS9_SE_NS0_5tupleIJPjSE_EEENSF_IJSE_SE_EEES9_SG_JZNS1_25segmented_radix_sort_implINS0_14default_configELb0EPKsPsPKlPlN2at6native12_GLOBAL__N_18offset_tEEE10hipError_tPvRmT1_PNSt15iterator_traitsISY_E10value_typeET2_T3_PNSZ_IS14_E10value_typeET4_jRbjT5_S1A_jjP12ihipStream_tbEUljE_EEESV_SW_SX_S14_S18_S1A_T6_T7_T9_mT8_S1C_bDpT10_ENKUlT_T0_E_clISt17integral_constantIbLb0EES1P_EEDaS1K_S1L_EUlS1K_E_NS1_11comp_targetILNS1_3genE3ELNS1_11target_archE908ELNS1_3gpuE7ELNS1_3repE0EEENS1_30default_config_static_selectorELNS0_4arch9wavefront6targetE0EEEvSY_
                                        ; -- End function
	.set _ZN7rocprim17ROCPRIM_400000_NS6detail17trampoline_kernelINS0_13select_configILj256ELj13ELNS0_17block_load_methodE3ELS4_3ELS4_3ELNS0_20block_scan_algorithmE0ELj4294967295EEENS1_25partition_config_selectorILNS1_17partition_subalgoE3EjNS0_10empty_typeEbEEZZNS1_14partition_implILS8_3ELb0ES6_jNS0_17counting_iteratorIjlEEPS9_SE_NS0_5tupleIJPjSE_EEENSF_IJSE_SE_EEES9_SG_JZNS1_25segmented_radix_sort_implINS0_14default_configELb0EPKsPsPKlPlN2at6native12_GLOBAL__N_18offset_tEEE10hipError_tPvRmT1_PNSt15iterator_traitsISY_E10value_typeET2_T3_PNSZ_IS14_E10value_typeET4_jRbjT5_S1A_jjP12ihipStream_tbEUljE_EEESV_SW_SX_S14_S18_S1A_T6_T7_T9_mT8_S1C_bDpT10_ENKUlT_T0_E_clISt17integral_constantIbLb0EES1P_EEDaS1K_S1L_EUlS1K_E_NS1_11comp_targetILNS1_3genE3ELNS1_11target_archE908ELNS1_3gpuE7ELNS1_3repE0EEENS1_30default_config_static_selectorELNS0_4arch9wavefront6targetE0EEEvSY_.num_vgpr, 0
	.set _ZN7rocprim17ROCPRIM_400000_NS6detail17trampoline_kernelINS0_13select_configILj256ELj13ELNS0_17block_load_methodE3ELS4_3ELS4_3ELNS0_20block_scan_algorithmE0ELj4294967295EEENS1_25partition_config_selectorILNS1_17partition_subalgoE3EjNS0_10empty_typeEbEEZZNS1_14partition_implILS8_3ELb0ES6_jNS0_17counting_iteratorIjlEEPS9_SE_NS0_5tupleIJPjSE_EEENSF_IJSE_SE_EEES9_SG_JZNS1_25segmented_radix_sort_implINS0_14default_configELb0EPKsPsPKlPlN2at6native12_GLOBAL__N_18offset_tEEE10hipError_tPvRmT1_PNSt15iterator_traitsISY_E10value_typeET2_T3_PNSZ_IS14_E10value_typeET4_jRbjT5_S1A_jjP12ihipStream_tbEUljE_EEESV_SW_SX_S14_S18_S1A_T6_T7_T9_mT8_S1C_bDpT10_ENKUlT_T0_E_clISt17integral_constantIbLb0EES1P_EEDaS1K_S1L_EUlS1K_E_NS1_11comp_targetILNS1_3genE3ELNS1_11target_archE908ELNS1_3gpuE7ELNS1_3repE0EEENS1_30default_config_static_selectorELNS0_4arch9wavefront6targetE0EEEvSY_.num_agpr, 0
	.set _ZN7rocprim17ROCPRIM_400000_NS6detail17trampoline_kernelINS0_13select_configILj256ELj13ELNS0_17block_load_methodE3ELS4_3ELS4_3ELNS0_20block_scan_algorithmE0ELj4294967295EEENS1_25partition_config_selectorILNS1_17partition_subalgoE3EjNS0_10empty_typeEbEEZZNS1_14partition_implILS8_3ELb0ES6_jNS0_17counting_iteratorIjlEEPS9_SE_NS0_5tupleIJPjSE_EEENSF_IJSE_SE_EEES9_SG_JZNS1_25segmented_radix_sort_implINS0_14default_configELb0EPKsPsPKlPlN2at6native12_GLOBAL__N_18offset_tEEE10hipError_tPvRmT1_PNSt15iterator_traitsISY_E10value_typeET2_T3_PNSZ_IS14_E10value_typeET4_jRbjT5_S1A_jjP12ihipStream_tbEUljE_EEESV_SW_SX_S14_S18_S1A_T6_T7_T9_mT8_S1C_bDpT10_ENKUlT_T0_E_clISt17integral_constantIbLb0EES1P_EEDaS1K_S1L_EUlS1K_E_NS1_11comp_targetILNS1_3genE3ELNS1_11target_archE908ELNS1_3gpuE7ELNS1_3repE0EEENS1_30default_config_static_selectorELNS0_4arch9wavefront6targetE0EEEvSY_.numbered_sgpr, 0
	.set _ZN7rocprim17ROCPRIM_400000_NS6detail17trampoline_kernelINS0_13select_configILj256ELj13ELNS0_17block_load_methodE3ELS4_3ELS4_3ELNS0_20block_scan_algorithmE0ELj4294967295EEENS1_25partition_config_selectorILNS1_17partition_subalgoE3EjNS0_10empty_typeEbEEZZNS1_14partition_implILS8_3ELb0ES6_jNS0_17counting_iteratorIjlEEPS9_SE_NS0_5tupleIJPjSE_EEENSF_IJSE_SE_EEES9_SG_JZNS1_25segmented_radix_sort_implINS0_14default_configELb0EPKsPsPKlPlN2at6native12_GLOBAL__N_18offset_tEEE10hipError_tPvRmT1_PNSt15iterator_traitsISY_E10value_typeET2_T3_PNSZ_IS14_E10value_typeET4_jRbjT5_S1A_jjP12ihipStream_tbEUljE_EEESV_SW_SX_S14_S18_S1A_T6_T7_T9_mT8_S1C_bDpT10_ENKUlT_T0_E_clISt17integral_constantIbLb0EES1P_EEDaS1K_S1L_EUlS1K_E_NS1_11comp_targetILNS1_3genE3ELNS1_11target_archE908ELNS1_3gpuE7ELNS1_3repE0EEENS1_30default_config_static_selectorELNS0_4arch9wavefront6targetE0EEEvSY_.num_named_barrier, 0
	.set _ZN7rocprim17ROCPRIM_400000_NS6detail17trampoline_kernelINS0_13select_configILj256ELj13ELNS0_17block_load_methodE3ELS4_3ELS4_3ELNS0_20block_scan_algorithmE0ELj4294967295EEENS1_25partition_config_selectorILNS1_17partition_subalgoE3EjNS0_10empty_typeEbEEZZNS1_14partition_implILS8_3ELb0ES6_jNS0_17counting_iteratorIjlEEPS9_SE_NS0_5tupleIJPjSE_EEENSF_IJSE_SE_EEES9_SG_JZNS1_25segmented_radix_sort_implINS0_14default_configELb0EPKsPsPKlPlN2at6native12_GLOBAL__N_18offset_tEEE10hipError_tPvRmT1_PNSt15iterator_traitsISY_E10value_typeET2_T3_PNSZ_IS14_E10value_typeET4_jRbjT5_S1A_jjP12ihipStream_tbEUljE_EEESV_SW_SX_S14_S18_S1A_T6_T7_T9_mT8_S1C_bDpT10_ENKUlT_T0_E_clISt17integral_constantIbLb0EES1P_EEDaS1K_S1L_EUlS1K_E_NS1_11comp_targetILNS1_3genE3ELNS1_11target_archE908ELNS1_3gpuE7ELNS1_3repE0EEENS1_30default_config_static_selectorELNS0_4arch9wavefront6targetE0EEEvSY_.private_seg_size, 0
	.set _ZN7rocprim17ROCPRIM_400000_NS6detail17trampoline_kernelINS0_13select_configILj256ELj13ELNS0_17block_load_methodE3ELS4_3ELS4_3ELNS0_20block_scan_algorithmE0ELj4294967295EEENS1_25partition_config_selectorILNS1_17partition_subalgoE3EjNS0_10empty_typeEbEEZZNS1_14partition_implILS8_3ELb0ES6_jNS0_17counting_iteratorIjlEEPS9_SE_NS0_5tupleIJPjSE_EEENSF_IJSE_SE_EEES9_SG_JZNS1_25segmented_radix_sort_implINS0_14default_configELb0EPKsPsPKlPlN2at6native12_GLOBAL__N_18offset_tEEE10hipError_tPvRmT1_PNSt15iterator_traitsISY_E10value_typeET2_T3_PNSZ_IS14_E10value_typeET4_jRbjT5_S1A_jjP12ihipStream_tbEUljE_EEESV_SW_SX_S14_S18_S1A_T6_T7_T9_mT8_S1C_bDpT10_ENKUlT_T0_E_clISt17integral_constantIbLb0EES1P_EEDaS1K_S1L_EUlS1K_E_NS1_11comp_targetILNS1_3genE3ELNS1_11target_archE908ELNS1_3gpuE7ELNS1_3repE0EEENS1_30default_config_static_selectorELNS0_4arch9wavefront6targetE0EEEvSY_.uses_vcc, 0
	.set _ZN7rocprim17ROCPRIM_400000_NS6detail17trampoline_kernelINS0_13select_configILj256ELj13ELNS0_17block_load_methodE3ELS4_3ELS4_3ELNS0_20block_scan_algorithmE0ELj4294967295EEENS1_25partition_config_selectorILNS1_17partition_subalgoE3EjNS0_10empty_typeEbEEZZNS1_14partition_implILS8_3ELb0ES6_jNS0_17counting_iteratorIjlEEPS9_SE_NS0_5tupleIJPjSE_EEENSF_IJSE_SE_EEES9_SG_JZNS1_25segmented_radix_sort_implINS0_14default_configELb0EPKsPsPKlPlN2at6native12_GLOBAL__N_18offset_tEEE10hipError_tPvRmT1_PNSt15iterator_traitsISY_E10value_typeET2_T3_PNSZ_IS14_E10value_typeET4_jRbjT5_S1A_jjP12ihipStream_tbEUljE_EEESV_SW_SX_S14_S18_S1A_T6_T7_T9_mT8_S1C_bDpT10_ENKUlT_T0_E_clISt17integral_constantIbLb0EES1P_EEDaS1K_S1L_EUlS1K_E_NS1_11comp_targetILNS1_3genE3ELNS1_11target_archE908ELNS1_3gpuE7ELNS1_3repE0EEENS1_30default_config_static_selectorELNS0_4arch9wavefront6targetE0EEEvSY_.uses_flat_scratch, 0
	.set _ZN7rocprim17ROCPRIM_400000_NS6detail17trampoline_kernelINS0_13select_configILj256ELj13ELNS0_17block_load_methodE3ELS4_3ELS4_3ELNS0_20block_scan_algorithmE0ELj4294967295EEENS1_25partition_config_selectorILNS1_17partition_subalgoE3EjNS0_10empty_typeEbEEZZNS1_14partition_implILS8_3ELb0ES6_jNS0_17counting_iteratorIjlEEPS9_SE_NS0_5tupleIJPjSE_EEENSF_IJSE_SE_EEES9_SG_JZNS1_25segmented_radix_sort_implINS0_14default_configELb0EPKsPsPKlPlN2at6native12_GLOBAL__N_18offset_tEEE10hipError_tPvRmT1_PNSt15iterator_traitsISY_E10value_typeET2_T3_PNSZ_IS14_E10value_typeET4_jRbjT5_S1A_jjP12ihipStream_tbEUljE_EEESV_SW_SX_S14_S18_S1A_T6_T7_T9_mT8_S1C_bDpT10_ENKUlT_T0_E_clISt17integral_constantIbLb0EES1P_EEDaS1K_S1L_EUlS1K_E_NS1_11comp_targetILNS1_3genE3ELNS1_11target_archE908ELNS1_3gpuE7ELNS1_3repE0EEENS1_30default_config_static_selectorELNS0_4arch9wavefront6targetE0EEEvSY_.has_dyn_sized_stack, 0
	.set _ZN7rocprim17ROCPRIM_400000_NS6detail17trampoline_kernelINS0_13select_configILj256ELj13ELNS0_17block_load_methodE3ELS4_3ELS4_3ELNS0_20block_scan_algorithmE0ELj4294967295EEENS1_25partition_config_selectorILNS1_17partition_subalgoE3EjNS0_10empty_typeEbEEZZNS1_14partition_implILS8_3ELb0ES6_jNS0_17counting_iteratorIjlEEPS9_SE_NS0_5tupleIJPjSE_EEENSF_IJSE_SE_EEES9_SG_JZNS1_25segmented_radix_sort_implINS0_14default_configELb0EPKsPsPKlPlN2at6native12_GLOBAL__N_18offset_tEEE10hipError_tPvRmT1_PNSt15iterator_traitsISY_E10value_typeET2_T3_PNSZ_IS14_E10value_typeET4_jRbjT5_S1A_jjP12ihipStream_tbEUljE_EEESV_SW_SX_S14_S18_S1A_T6_T7_T9_mT8_S1C_bDpT10_ENKUlT_T0_E_clISt17integral_constantIbLb0EES1P_EEDaS1K_S1L_EUlS1K_E_NS1_11comp_targetILNS1_3genE3ELNS1_11target_archE908ELNS1_3gpuE7ELNS1_3repE0EEENS1_30default_config_static_selectorELNS0_4arch9wavefront6targetE0EEEvSY_.has_recursion, 0
	.set _ZN7rocprim17ROCPRIM_400000_NS6detail17trampoline_kernelINS0_13select_configILj256ELj13ELNS0_17block_load_methodE3ELS4_3ELS4_3ELNS0_20block_scan_algorithmE0ELj4294967295EEENS1_25partition_config_selectorILNS1_17partition_subalgoE3EjNS0_10empty_typeEbEEZZNS1_14partition_implILS8_3ELb0ES6_jNS0_17counting_iteratorIjlEEPS9_SE_NS0_5tupleIJPjSE_EEENSF_IJSE_SE_EEES9_SG_JZNS1_25segmented_radix_sort_implINS0_14default_configELb0EPKsPsPKlPlN2at6native12_GLOBAL__N_18offset_tEEE10hipError_tPvRmT1_PNSt15iterator_traitsISY_E10value_typeET2_T3_PNSZ_IS14_E10value_typeET4_jRbjT5_S1A_jjP12ihipStream_tbEUljE_EEESV_SW_SX_S14_S18_S1A_T6_T7_T9_mT8_S1C_bDpT10_ENKUlT_T0_E_clISt17integral_constantIbLb0EES1P_EEDaS1K_S1L_EUlS1K_E_NS1_11comp_targetILNS1_3genE3ELNS1_11target_archE908ELNS1_3gpuE7ELNS1_3repE0EEENS1_30default_config_static_selectorELNS0_4arch9wavefront6targetE0EEEvSY_.has_indirect_call, 0
	.section	.AMDGPU.csdata,"",@progbits
; Kernel info:
; codeLenInByte = 0
; TotalNumSgprs: 0
; NumVgprs: 0
; ScratchSize: 0
; MemoryBound: 0
; FloatMode: 240
; IeeeMode: 1
; LDSByteSize: 0 bytes/workgroup (compile time only)
; SGPRBlocks: 0
; VGPRBlocks: 0
; NumSGPRsForWavesPerEU: 1
; NumVGPRsForWavesPerEU: 1
; Occupancy: 16
; WaveLimiterHint : 0
; COMPUTE_PGM_RSRC2:SCRATCH_EN: 0
; COMPUTE_PGM_RSRC2:USER_SGPR: 2
; COMPUTE_PGM_RSRC2:TRAP_HANDLER: 0
; COMPUTE_PGM_RSRC2:TGID_X_EN: 1
; COMPUTE_PGM_RSRC2:TGID_Y_EN: 0
; COMPUTE_PGM_RSRC2:TGID_Z_EN: 0
; COMPUTE_PGM_RSRC2:TIDIG_COMP_CNT: 0
	.section	.text._ZN7rocprim17ROCPRIM_400000_NS6detail17trampoline_kernelINS0_13select_configILj256ELj13ELNS0_17block_load_methodE3ELS4_3ELS4_3ELNS0_20block_scan_algorithmE0ELj4294967295EEENS1_25partition_config_selectorILNS1_17partition_subalgoE3EjNS0_10empty_typeEbEEZZNS1_14partition_implILS8_3ELb0ES6_jNS0_17counting_iteratorIjlEEPS9_SE_NS0_5tupleIJPjSE_EEENSF_IJSE_SE_EEES9_SG_JZNS1_25segmented_radix_sort_implINS0_14default_configELb0EPKsPsPKlPlN2at6native12_GLOBAL__N_18offset_tEEE10hipError_tPvRmT1_PNSt15iterator_traitsISY_E10value_typeET2_T3_PNSZ_IS14_E10value_typeET4_jRbjT5_S1A_jjP12ihipStream_tbEUljE_EEESV_SW_SX_S14_S18_S1A_T6_T7_T9_mT8_S1C_bDpT10_ENKUlT_T0_E_clISt17integral_constantIbLb0EES1P_EEDaS1K_S1L_EUlS1K_E_NS1_11comp_targetILNS1_3genE2ELNS1_11target_archE906ELNS1_3gpuE6ELNS1_3repE0EEENS1_30default_config_static_selectorELNS0_4arch9wavefront6targetE0EEEvSY_,"axG",@progbits,_ZN7rocprim17ROCPRIM_400000_NS6detail17trampoline_kernelINS0_13select_configILj256ELj13ELNS0_17block_load_methodE3ELS4_3ELS4_3ELNS0_20block_scan_algorithmE0ELj4294967295EEENS1_25partition_config_selectorILNS1_17partition_subalgoE3EjNS0_10empty_typeEbEEZZNS1_14partition_implILS8_3ELb0ES6_jNS0_17counting_iteratorIjlEEPS9_SE_NS0_5tupleIJPjSE_EEENSF_IJSE_SE_EEES9_SG_JZNS1_25segmented_radix_sort_implINS0_14default_configELb0EPKsPsPKlPlN2at6native12_GLOBAL__N_18offset_tEEE10hipError_tPvRmT1_PNSt15iterator_traitsISY_E10value_typeET2_T3_PNSZ_IS14_E10value_typeET4_jRbjT5_S1A_jjP12ihipStream_tbEUljE_EEESV_SW_SX_S14_S18_S1A_T6_T7_T9_mT8_S1C_bDpT10_ENKUlT_T0_E_clISt17integral_constantIbLb0EES1P_EEDaS1K_S1L_EUlS1K_E_NS1_11comp_targetILNS1_3genE2ELNS1_11target_archE906ELNS1_3gpuE6ELNS1_3repE0EEENS1_30default_config_static_selectorELNS0_4arch9wavefront6targetE0EEEvSY_,comdat
	.globl	_ZN7rocprim17ROCPRIM_400000_NS6detail17trampoline_kernelINS0_13select_configILj256ELj13ELNS0_17block_load_methodE3ELS4_3ELS4_3ELNS0_20block_scan_algorithmE0ELj4294967295EEENS1_25partition_config_selectorILNS1_17partition_subalgoE3EjNS0_10empty_typeEbEEZZNS1_14partition_implILS8_3ELb0ES6_jNS0_17counting_iteratorIjlEEPS9_SE_NS0_5tupleIJPjSE_EEENSF_IJSE_SE_EEES9_SG_JZNS1_25segmented_radix_sort_implINS0_14default_configELb0EPKsPsPKlPlN2at6native12_GLOBAL__N_18offset_tEEE10hipError_tPvRmT1_PNSt15iterator_traitsISY_E10value_typeET2_T3_PNSZ_IS14_E10value_typeET4_jRbjT5_S1A_jjP12ihipStream_tbEUljE_EEESV_SW_SX_S14_S18_S1A_T6_T7_T9_mT8_S1C_bDpT10_ENKUlT_T0_E_clISt17integral_constantIbLb0EES1P_EEDaS1K_S1L_EUlS1K_E_NS1_11comp_targetILNS1_3genE2ELNS1_11target_archE906ELNS1_3gpuE6ELNS1_3repE0EEENS1_30default_config_static_selectorELNS0_4arch9wavefront6targetE0EEEvSY_ ; -- Begin function _ZN7rocprim17ROCPRIM_400000_NS6detail17trampoline_kernelINS0_13select_configILj256ELj13ELNS0_17block_load_methodE3ELS4_3ELS4_3ELNS0_20block_scan_algorithmE0ELj4294967295EEENS1_25partition_config_selectorILNS1_17partition_subalgoE3EjNS0_10empty_typeEbEEZZNS1_14partition_implILS8_3ELb0ES6_jNS0_17counting_iteratorIjlEEPS9_SE_NS0_5tupleIJPjSE_EEENSF_IJSE_SE_EEES9_SG_JZNS1_25segmented_radix_sort_implINS0_14default_configELb0EPKsPsPKlPlN2at6native12_GLOBAL__N_18offset_tEEE10hipError_tPvRmT1_PNSt15iterator_traitsISY_E10value_typeET2_T3_PNSZ_IS14_E10value_typeET4_jRbjT5_S1A_jjP12ihipStream_tbEUljE_EEESV_SW_SX_S14_S18_S1A_T6_T7_T9_mT8_S1C_bDpT10_ENKUlT_T0_E_clISt17integral_constantIbLb0EES1P_EEDaS1K_S1L_EUlS1K_E_NS1_11comp_targetILNS1_3genE2ELNS1_11target_archE906ELNS1_3gpuE6ELNS1_3repE0EEENS1_30default_config_static_selectorELNS0_4arch9wavefront6targetE0EEEvSY_
	.p2align	8
	.type	_ZN7rocprim17ROCPRIM_400000_NS6detail17trampoline_kernelINS0_13select_configILj256ELj13ELNS0_17block_load_methodE3ELS4_3ELS4_3ELNS0_20block_scan_algorithmE0ELj4294967295EEENS1_25partition_config_selectorILNS1_17partition_subalgoE3EjNS0_10empty_typeEbEEZZNS1_14partition_implILS8_3ELb0ES6_jNS0_17counting_iteratorIjlEEPS9_SE_NS0_5tupleIJPjSE_EEENSF_IJSE_SE_EEES9_SG_JZNS1_25segmented_radix_sort_implINS0_14default_configELb0EPKsPsPKlPlN2at6native12_GLOBAL__N_18offset_tEEE10hipError_tPvRmT1_PNSt15iterator_traitsISY_E10value_typeET2_T3_PNSZ_IS14_E10value_typeET4_jRbjT5_S1A_jjP12ihipStream_tbEUljE_EEESV_SW_SX_S14_S18_S1A_T6_T7_T9_mT8_S1C_bDpT10_ENKUlT_T0_E_clISt17integral_constantIbLb0EES1P_EEDaS1K_S1L_EUlS1K_E_NS1_11comp_targetILNS1_3genE2ELNS1_11target_archE906ELNS1_3gpuE6ELNS1_3repE0EEENS1_30default_config_static_selectorELNS0_4arch9wavefront6targetE0EEEvSY_,@function
_ZN7rocprim17ROCPRIM_400000_NS6detail17trampoline_kernelINS0_13select_configILj256ELj13ELNS0_17block_load_methodE3ELS4_3ELS4_3ELNS0_20block_scan_algorithmE0ELj4294967295EEENS1_25partition_config_selectorILNS1_17partition_subalgoE3EjNS0_10empty_typeEbEEZZNS1_14partition_implILS8_3ELb0ES6_jNS0_17counting_iteratorIjlEEPS9_SE_NS0_5tupleIJPjSE_EEENSF_IJSE_SE_EEES9_SG_JZNS1_25segmented_radix_sort_implINS0_14default_configELb0EPKsPsPKlPlN2at6native12_GLOBAL__N_18offset_tEEE10hipError_tPvRmT1_PNSt15iterator_traitsISY_E10value_typeET2_T3_PNSZ_IS14_E10value_typeET4_jRbjT5_S1A_jjP12ihipStream_tbEUljE_EEESV_SW_SX_S14_S18_S1A_T6_T7_T9_mT8_S1C_bDpT10_ENKUlT_T0_E_clISt17integral_constantIbLb0EES1P_EEDaS1K_S1L_EUlS1K_E_NS1_11comp_targetILNS1_3genE2ELNS1_11target_archE906ELNS1_3gpuE6ELNS1_3repE0EEENS1_30default_config_static_selectorELNS0_4arch9wavefront6targetE0EEEvSY_: ; @_ZN7rocprim17ROCPRIM_400000_NS6detail17trampoline_kernelINS0_13select_configILj256ELj13ELNS0_17block_load_methodE3ELS4_3ELS4_3ELNS0_20block_scan_algorithmE0ELj4294967295EEENS1_25partition_config_selectorILNS1_17partition_subalgoE3EjNS0_10empty_typeEbEEZZNS1_14partition_implILS8_3ELb0ES6_jNS0_17counting_iteratorIjlEEPS9_SE_NS0_5tupleIJPjSE_EEENSF_IJSE_SE_EEES9_SG_JZNS1_25segmented_radix_sort_implINS0_14default_configELb0EPKsPsPKlPlN2at6native12_GLOBAL__N_18offset_tEEE10hipError_tPvRmT1_PNSt15iterator_traitsISY_E10value_typeET2_T3_PNSZ_IS14_E10value_typeET4_jRbjT5_S1A_jjP12ihipStream_tbEUljE_EEESV_SW_SX_S14_S18_S1A_T6_T7_T9_mT8_S1C_bDpT10_ENKUlT_T0_E_clISt17integral_constantIbLb0EES1P_EEDaS1K_S1L_EUlS1K_E_NS1_11comp_targetILNS1_3genE2ELNS1_11target_archE906ELNS1_3gpuE6ELNS1_3repE0EEENS1_30default_config_static_selectorELNS0_4arch9wavefront6targetE0EEEvSY_
; %bb.0:
	.section	.rodata,"a",@progbits
	.p2align	6, 0x0
	.amdhsa_kernel _ZN7rocprim17ROCPRIM_400000_NS6detail17trampoline_kernelINS0_13select_configILj256ELj13ELNS0_17block_load_methodE3ELS4_3ELS4_3ELNS0_20block_scan_algorithmE0ELj4294967295EEENS1_25partition_config_selectorILNS1_17partition_subalgoE3EjNS0_10empty_typeEbEEZZNS1_14partition_implILS8_3ELb0ES6_jNS0_17counting_iteratorIjlEEPS9_SE_NS0_5tupleIJPjSE_EEENSF_IJSE_SE_EEES9_SG_JZNS1_25segmented_radix_sort_implINS0_14default_configELb0EPKsPsPKlPlN2at6native12_GLOBAL__N_18offset_tEEE10hipError_tPvRmT1_PNSt15iterator_traitsISY_E10value_typeET2_T3_PNSZ_IS14_E10value_typeET4_jRbjT5_S1A_jjP12ihipStream_tbEUljE_EEESV_SW_SX_S14_S18_S1A_T6_T7_T9_mT8_S1C_bDpT10_ENKUlT_T0_E_clISt17integral_constantIbLb0EES1P_EEDaS1K_S1L_EUlS1K_E_NS1_11comp_targetILNS1_3genE2ELNS1_11target_archE906ELNS1_3gpuE6ELNS1_3repE0EEENS1_30default_config_static_selectorELNS0_4arch9wavefront6targetE0EEEvSY_
		.amdhsa_group_segment_fixed_size 0
		.amdhsa_private_segment_fixed_size 0
		.amdhsa_kernarg_size 144
		.amdhsa_user_sgpr_count 2
		.amdhsa_user_sgpr_dispatch_ptr 0
		.amdhsa_user_sgpr_queue_ptr 0
		.amdhsa_user_sgpr_kernarg_segment_ptr 1
		.amdhsa_user_sgpr_dispatch_id 0
		.amdhsa_user_sgpr_private_segment_size 0
		.amdhsa_wavefront_size32 1
		.amdhsa_uses_dynamic_stack 0
		.amdhsa_enable_private_segment 0
		.amdhsa_system_sgpr_workgroup_id_x 1
		.amdhsa_system_sgpr_workgroup_id_y 0
		.amdhsa_system_sgpr_workgroup_id_z 0
		.amdhsa_system_sgpr_workgroup_info 0
		.amdhsa_system_vgpr_workitem_id 0
		.amdhsa_next_free_vgpr 1
		.amdhsa_next_free_sgpr 1
		.amdhsa_reserve_vcc 0
		.amdhsa_float_round_mode_32 0
		.amdhsa_float_round_mode_16_64 0
		.amdhsa_float_denorm_mode_32 3
		.amdhsa_float_denorm_mode_16_64 3
		.amdhsa_fp16_overflow 0
		.amdhsa_workgroup_processor_mode 1
		.amdhsa_memory_ordered 1
		.amdhsa_forward_progress 1
		.amdhsa_inst_pref_size 0
		.amdhsa_round_robin_scheduling 0
		.amdhsa_exception_fp_ieee_invalid_op 0
		.amdhsa_exception_fp_denorm_src 0
		.amdhsa_exception_fp_ieee_div_zero 0
		.amdhsa_exception_fp_ieee_overflow 0
		.amdhsa_exception_fp_ieee_underflow 0
		.amdhsa_exception_fp_ieee_inexact 0
		.amdhsa_exception_int_div_zero 0
	.end_amdhsa_kernel
	.section	.text._ZN7rocprim17ROCPRIM_400000_NS6detail17trampoline_kernelINS0_13select_configILj256ELj13ELNS0_17block_load_methodE3ELS4_3ELS4_3ELNS0_20block_scan_algorithmE0ELj4294967295EEENS1_25partition_config_selectorILNS1_17partition_subalgoE3EjNS0_10empty_typeEbEEZZNS1_14partition_implILS8_3ELb0ES6_jNS0_17counting_iteratorIjlEEPS9_SE_NS0_5tupleIJPjSE_EEENSF_IJSE_SE_EEES9_SG_JZNS1_25segmented_radix_sort_implINS0_14default_configELb0EPKsPsPKlPlN2at6native12_GLOBAL__N_18offset_tEEE10hipError_tPvRmT1_PNSt15iterator_traitsISY_E10value_typeET2_T3_PNSZ_IS14_E10value_typeET4_jRbjT5_S1A_jjP12ihipStream_tbEUljE_EEESV_SW_SX_S14_S18_S1A_T6_T7_T9_mT8_S1C_bDpT10_ENKUlT_T0_E_clISt17integral_constantIbLb0EES1P_EEDaS1K_S1L_EUlS1K_E_NS1_11comp_targetILNS1_3genE2ELNS1_11target_archE906ELNS1_3gpuE6ELNS1_3repE0EEENS1_30default_config_static_selectorELNS0_4arch9wavefront6targetE0EEEvSY_,"axG",@progbits,_ZN7rocprim17ROCPRIM_400000_NS6detail17trampoline_kernelINS0_13select_configILj256ELj13ELNS0_17block_load_methodE3ELS4_3ELS4_3ELNS0_20block_scan_algorithmE0ELj4294967295EEENS1_25partition_config_selectorILNS1_17partition_subalgoE3EjNS0_10empty_typeEbEEZZNS1_14partition_implILS8_3ELb0ES6_jNS0_17counting_iteratorIjlEEPS9_SE_NS0_5tupleIJPjSE_EEENSF_IJSE_SE_EEES9_SG_JZNS1_25segmented_radix_sort_implINS0_14default_configELb0EPKsPsPKlPlN2at6native12_GLOBAL__N_18offset_tEEE10hipError_tPvRmT1_PNSt15iterator_traitsISY_E10value_typeET2_T3_PNSZ_IS14_E10value_typeET4_jRbjT5_S1A_jjP12ihipStream_tbEUljE_EEESV_SW_SX_S14_S18_S1A_T6_T7_T9_mT8_S1C_bDpT10_ENKUlT_T0_E_clISt17integral_constantIbLb0EES1P_EEDaS1K_S1L_EUlS1K_E_NS1_11comp_targetILNS1_3genE2ELNS1_11target_archE906ELNS1_3gpuE6ELNS1_3repE0EEENS1_30default_config_static_selectorELNS0_4arch9wavefront6targetE0EEEvSY_,comdat
.Lfunc_end986:
	.size	_ZN7rocprim17ROCPRIM_400000_NS6detail17trampoline_kernelINS0_13select_configILj256ELj13ELNS0_17block_load_methodE3ELS4_3ELS4_3ELNS0_20block_scan_algorithmE0ELj4294967295EEENS1_25partition_config_selectorILNS1_17partition_subalgoE3EjNS0_10empty_typeEbEEZZNS1_14partition_implILS8_3ELb0ES6_jNS0_17counting_iteratorIjlEEPS9_SE_NS0_5tupleIJPjSE_EEENSF_IJSE_SE_EEES9_SG_JZNS1_25segmented_radix_sort_implINS0_14default_configELb0EPKsPsPKlPlN2at6native12_GLOBAL__N_18offset_tEEE10hipError_tPvRmT1_PNSt15iterator_traitsISY_E10value_typeET2_T3_PNSZ_IS14_E10value_typeET4_jRbjT5_S1A_jjP12ihipStream_tbEUljE_EEESV_SW_SX_S14_S18_S1A_T6_T7_T9_mT8_S1C_bDpT10_ENKUlT_T0_E_clISt17integral_constantIbLb0EES1P_EEDaS1K_S1L_EUlS1K_E_NS1_11comp_targetILNS1_3genE2ELNS1_11target_archE906ELNS1_3gpuE6ELNS1_3repE0EEENS1_30default_config_static_selectorELNS0_4arch9wavefront6targetE0EEEvSY_, .Lfunc_end986-_ZN7rocprim17ROCPRIM_400000_NS6detail17trampoline_kernelINS0_13select_configILj256ELj13ELNS0_17block_load_methodE3ELS4_3ELS4_3ELNS0_20block_scan_algorithmE0ELj4294967295EEENS1_25partition_config_selectorILNS1_17partition_subalgoE3EjNS0_10empty_typeEbEEZZNS1_14partition_implILS8_3ELb0ES6_jNS0_17counting_iteratorIjlEEPS9_SE_NS0_5tupleIJPjSE_EEENSF_IJSE_SE_EEES9_SG_JZNS1_25segmented_radix_sort_implINS0_14default_configELb0EPKsPsPKlPlN2at6native12_GLOBAL__N_18offset_tEEE10hipError_tPvRmT1_PNSt15iterator_traitsISY_E10value_typeET2_T3_PNSZ_IS14_E10value_typeET4_jRbjT5_S1A_jjP12ihipStream_tbEUljE_EEESV_SW_SX_S14_S18_S1A_T6_T7_T9_mT8_S1C_bDpT10_ENKUlT_T0_E_clISt17integral_constantIbLb0EES1P_EEDaS1K_S1L_EUlS1K_E_NS1_11comp_targetILNS1_3genE2ELNS1_11target_archE906ELNS1_3gpuE6ELNS1_3repE0EEENS1_30default_config_static_selectorELNS0_4arch9wavefront6targetE0EEEvSY_
                                        ; -- End function
	.set _ZN7rocprim17ROCPRIM_400000_NS6detail17trampoline_kernelINS0_13select_configILj256ELj13ELNS0_17block_load_methodE3ELS4_3ELS4_3ELNS0_20block_scan_algorithmE0ELj4294967295EEENS1_25partition_config_selectorILNS1_17partition_subalgoE3EjNS0_10empty_typeEbEEZZNS1_14partition_implILS8_3ELb0ES6_jNS0_17counting_iteratorIjlEEPS9_SE_NS0_5tupleIJPjSE_EEENSF_IJSE_SE_EEES9_SG_JZNS1_25segmented_radix_sort_implINS0_14default_configELb0EPKsPsPKlPlN2at6native12_GLOBAL__N_18offset_tEEE10hipError_tPvRmT1_PNSt15iterator_traitsISY_E10value_typeET2_T3_PNSZ_IS14_E10value_typeET4_jRbjT5_S1A_jjP12ihipStream_tbEUljE_EEESV_SW_SX_S14_S18_S1A_T6_T7_T9_mT8_S1C_bDpT10_ENKUlT_T0_E_clISt17integral_constantIbLb0EES1P_EEDaS1K_S1L_EUlS1K_E_NS1_11comp_targetILNS1_3genE2ELNS1_11target_archE906ELNS1_3gpuE6ELNS1_3repE0EEENS1_30default_config_static_selectorELNS0_4arch9wavefront6targetE0EEEvSY_.num_vgpr, 0
	.set _ZN7rocprim17ROCPRIM_400000_NS6detail17trampoline_kernelINS0_13select_configILj256ELj13ELNS0_17block_load_methodE3ELS4_3ELS4_3ELNS0_20block_scan_algorithmE0ELj4294967295EEENS1_25partition_config_selectorILNS1_17partition_subalgoE3EjNS0_10empty_typeEbEEZZNS1_14partition_implILS8_3ELb0ES6_jNS0_17counting_iteratorIjlEEPS9_SE_NS0_5tupleIJPjSE_EEENSF_IJSE_SE_EEES9_SG_JZNS1_25segmented_radix_sort_implINS0_14default_configELb0EPKsPsPKlPlN2at6native12_GLOBAL__N_18offset_tEEE10hipError_tPvRmT1_PNSt15iterator_traitsISY_E10value_typeET2_T3_PNSZ_IS14_E10value_typeET4_jRbjT5_S1A_jjP12ihipStream_tbEUljE_EEESV_SW_SX_S14_S18_S1A_T6_T7_T9_mT8_S1C_bDpT10_ENKUlT_T0_E_clISt17integral_constantIbLb0EES1P_EEDaS1K_S1L_EUlS1K_E_NS1_11comp_targetILNS1_3genE2ELNS1_11target_archE906ELNS1_3gpuE6ELNS1_3repE0EEENS1_30default_config_static_selectorELNS0_4arch9wavefront6targetE0EEEvSY_.num_agpr, 0
	.set _ZN7rocprim17ROCPRIM_400000_NS6detail17trampoline_kernelINS0_13select_configILj256ELj13ELNS0_17block_load_methodE3ELS4_3ELS4_3ELNS0_20block_scan_algorithmE0ELj4294967295EEENS1_25partition_config_selectorILNS1_17partition_subalgoE3EjNS0_10empty_typeEbEEZZNS1_14partition_implILS8_3ELb0ES6_jNS0_17counting_iteratorIjlEEPS9_SE_NS0_5tupleIJPjSE_EEENSF_IJSE_SE_EEES9_SG_JZNS1_25segmented_radix_sort_implINS0_14default_configELb0EPKsPsPKlPlN2at6native12_GLOBAL__N_18offset_tEEE10hipError_tPvRmT1_PNSt15iterator_traitsISY_E10value_typeET2_T3_PNSZ_IS14_E10value_typeET4_jRbjT5_S1A_jjP12ihipStream_tbEUljE_EEESV_SW_SX_S14_S18_S1A_T6_T7_T9_mT8_S1C_bDpT10_ENKUlT_T0_E_clISt17integral_constantIbLb0EES1P_EEDaS1K_S1L_EUlS1K_E_NS1_11comp_targetILNS1_3genE2ELNS1_11target_archE906ELNS1_3gpuE6ELNS1_3repE0EEENS1_30default_config_static_selectorELNS0_4arch9wavefront6targetE0EEEvSY_.numbered_sgpr, 0
	.set _ZN7rocprim17ROCPRIM_400000_NS6detail17trampoline_kernelINS0_13select_configILj256ELj13ELNS0_17block_load_methodE3ELS4_3ELS4_3ELNS0_20block_scan_algorithmE0ELj4294967295EEENS1_25partition_config_selectorILNS1_17partition_subalgoE3EjNS0_10empty_typeEbEEZZNS1_14partition_implILS8_3ELb0ES6_jNS0_17counting_iteratorIjlEEPS9_SE_NS0_5tupleIJPjSE_EEENSF_IJSE_SE_EEES9_SG_JZNS1_25segmented_radix_sort_implINS0_14default_configELb0EPKsPsPKlPlN2at6native12_GLOBAL__N_18offset_tEEE10hipError_tPvRmT1_PNSt15iterator_traitsISY_E10value_typeET2_T3_PNSZ_IS14_E10value_typeET4_jRbjT5_S1A_jjP12ihipStream_tbEUljE_EEESV_SW_SX_S14_S18_S1A_T6_T7_T9_mT8_S1C_bDpT10_ENKUlT_T0_E_clISt17integral_constantIbLb0EES1P_EEDaS1K_S1L_EUlS1K_E_NS1_11comp_targetILNS1_3genE2ELNS1_11target_archE906ELNS1_3gpuE6ELNS1_3repE0EEENS1_30default_config_static_selectorELNS0_4arch9wavefront6targetE0EEEvSY_.num_named_barrier, 0
	.set _ZN7rocprim17ROCPRIM_400000_NS6detail17trampoline_kernelINS0_13select_configILj256ELj13ELNS0_17block_load_methodE3ELS4_3ELS4_3ELNS0_20block_scan_algorithmE0ELj4294967295EEENS1_25partition_config_selectorILNS1_17partition_subalgoE3EjNS0_10empty_typeEbEEZZNS1_14partition_implILS8_3ELb0ES6_jNS0_17counting_iteratorIjlEEPS9_SE_NS0_5tupleIJPjSE_EEENSF_IJSE_SE_EEES9_SG_JZNS1_25segmented_radix_sort_implINS0_14default_configELb0EPKsPsPKlPlN2at6native12_GLOBAL__N_18offset_tEEE10hipError_tPvRmT1_PNSt15iterator_traitsISY_E10value_typeET2_T3_PNSZ_IS14_E10value_typeET4_jRbjT5_S1A_jjP12ihipStream_tbEUljE_EEESV_SW_SX_S14_S18_S1A_T6_T7_T9_mT8_S1C_bDpT10_ENKUlT_T0_E_clISt17integral_constantIbLb0EES1P_EEDaS1K_S1L_EUlS1K_E_NS1_11comp_targetILNS1_3genE2ELNS1_11target_archE906ELNS1_3gpuE6ELNS1_3repE0EEENS1_30default_config_static_selectorELNS0_4arch9wavefront6targetE0EEEvSY_.private_seg_size, 0
	.set _ZN7rocprim17ROCPRIM_400000_NS6detail17trampoline_kernelINS0_13select_configILj256ELj13ELNS0_17block_load_methodE3ELS4_3ELS4_3ELNS0_20block_scan_algorithmE0ELj4294967295EEENS1_25partition_config_selectorILNS1_17partition_subalgoE3EjNS0_10empty_typeEbEEZZNS1_14partition_implILS8_3ELb0ES6_jNS0_17counting_iteratorIjlEEPS9_SE_NS0_5tupleIJPjSE_EEENSF_IJSE_SE_EEES9_SG_JZNS1_25segmented_radix_sort_implINS0_14default_configELb0EPKsPsPKlPlN2at6native12_GLOBAL__N_18offset_tEEE10hipError_tPvRmT1_PNSt15iterator_traitsISY_E10value_typeET2_T3_PNSZ_IS14_E10value_typeET4_jRbjT5_S1A_jjP12ihipStream_tbEUljE_EEESV_SW_SX_S14_S18_S1A_T6_T7_T9_mT8_S1C_bDpT10_ENKUlT_T0_E_clISt17integral_constantIbLb0EES1P_EEDaS1K_S1L_EUlS1K_E_NS1_11comp_targetILNS1_3genE2ELNS1_11target_archE906ELNS1_3gpuE6ELNS1_3repE0EEENS1_30default_config_static_selectorELNS0_4arch9wavefront6targetE0EEEvSY_.uses_vcc, 0
	.set _ZN7rocprim17ROCPRIM_400000_NS6detail17trampoline_kernelINS0_13select_configILj256ELj13ELNS0_17block_load_methodE3ELS4_3ELS4_3ELNS0_20block_scan_algorithmE0ELj4294967295EEENS1_25partition_config_selectorILNS1_17partition_subalgoE3EjNS0_10empty_typeEbEEZZNS1_14partition_implILS8_3ELb0ES6_jNS0_17counting_iteratorIjlEEPS9_SE_NS0_5tupleIJPjSE_EEENSF_IJSE_SE_EEES9_SG_JZNS1_25segmented_radix_sort_implINS0_14default_configELb0EPKsPsPKlPlN2at6native12_GLOBAL__N_18offset_tEEE10hipError_tPvRmT1_PNSt15iterator_traitsISY_E10value_typeET2_T3_PNSZ_IS14_E10value_typeET4_jRbjT5_S1A_jjP12ihipStream_tbEUljE_EEESV_SW_SX_S14_S18_S1A_T6_T7_T9_mT8_S1C_bDpT10_ENKUlT_T0_E_clISt17integral_constantIbLb0EES1P_EEDaS1K_S1L_EUlS1K_E_NS1_11comp_targetILNS1_3genE2ELNS1_11target_archE906ELNS1_3gpuE6ELNS1_3repE0EEENS1_30default_config_static_selectorELNS0_4arch9wavefront6targetE0EEEvSY_.uses_flat_scratch, 0
	.set _ZN7rocprim17ROCPRIM_400000_NS6detail17trampoline_kernelINS0_13select_configILj256ELj13ELNS0_17block_load_methodE3ELS4_3ELS4_3ELNS0_20block_scan_algorithmE0ELj4294967295EEENS1_25partition_config_selectorILNS1_17partition_subalgoE3EjNS0_10empty_typeEbEEZZNS1_14partition_implILS8_3ELb0ES6_jNS0_17counting_iteratorIjlEEPS9_SE_NS0_5tupleIJPjSE_EEENSF_IJSE_SE_EEES9_SG_JZNS1_25segmented_radix_sort_implINS0_14default_configELb0EPKsPsPKlPlN2at6native12_GLOBAL__N_18offset_tEEE10hipError_tPvRmT1_PNSt15iterator_traitsISY_E10value_typeET2_T3_PNSZ_IS14_E10value_typeET4_jRbjT5_S1A_jjP12ihipStream_tbEUljE_EEESV_SW_SX_S14_S18_S1A_T6_T7_T9_mT8_S1C_bDpT10_ENKUlT_T0_E_clISt17integral_constantIbLb0EES1P_EEDaS1K_S1L_EUlS1K_E_NS1_11comp_targetILNS1_3genE2ELNS1_11target_archE906ELNS1_3gpuE6ELNS1_3repE0EEENS1_30default_config_static_selectorELNS0_4arch9wavefront6targetE0EEEvSY_.has_dyn_sized_stack, 0
	.set _ZN7rocprim17ROCPRIM_400000_NS6detail17trampoline_kernelINS0_13select_configILj256ELj13ELNS0_17block_load_methodE3ELS4_3ELS4_3ELNS0_20block_scan_algorithmE0ELj4294967295EEENS1_25partition_config_selectorILNS1_17partition_subalgoE3EjNS0_10empty_typeEbEEZZNS1_14partition_implILS8_3ELb0ES6_jNS0_17counting_iteratorIjlEEPS9_SE_NS0_5tupleIJPjSE_EEENSF_IJSE_SE_EEES9_SG_JZNS1_25segmented_radix_sort_implINS0_14default_configELb0EPKsPsPKlPlN2at6native12_GLOBAL__N_18offset_tEEE10hipError_tPvRmT1_PNSt15iterator_traitsISY_E10value_typeET2_T3_PNSZ_IS14_E10value_typeET4_jRbjT5_S1A_jjP12ihipStream_tbEUljE_EEESV_SW_SX_S14_S18_S1A_T6_T7_T9_mT8_S1C_bDpT10_ENKUlT_T0_E_clISt17integral_constantIbLb0EES1P_EEDaS1K_S1L_EUlS1K_E_NS1_11comp_targetILNS1_3genE2ELNS1_11target_archE906ELNS1_3gpuE6ELNS1_3repE0EEENS1_30default_config_static_selectorELNS0_4arch9wavefront6targetE0EEEvSY_.has_recursion, 0
	.set _ZN7rocprim17ROCPRIM_400000_NS6detail17trampoline_kernelINS0_13select_configILj256ELj13ELNS0_17block_load_methodE3ELS4_3ELS4_3ELNS0_20block_scan_algorithmE0ELj4294967295EEENS1_25partition_config_selectorILNS1_17partition_subalgoE3EjNS0_10empty_typeEbEEZZNS1_14partition_implILS8_3ELb0ES6_jNS0_17counting_iteratorIjlEEPS9_SE_NS0_5tupleIJPjSE_EEENSF_IJSE_SE_EEES9_SG_JZNS1_25segmented_radix_sort_implINS0_14default_configELb0EPKsPsPKlPlN2at6native12_GLOBAL__N_18offset_tEEE10hipError_tPvRmT1_PNSt15iterator_traitsISY_E10value_typeET2_T3_PNSZ_IS14_E10value_typeET4_jRbjT5_S1A_jjP12ihipStream_tbEUljE_EEESV_SW_SX_S14_S18_S1A_T6_T7_T9_mT8_S1C_bDpT10_ENKUlT_T0_E_clISt17integral_constantIbLb0EES1P_EEDaS1K_S1L_EUlS1K_E_NS1_11comp_targetILNS1_3genE2ELNS1_11target_archE906ELNS1_3gpuE6ELNS1_3repE0EEENS1_30default_config_static_selectorELNS0_4arch9wavefront6targetE0EEEvSY_.has_indirect_call, 0
	.section	.AMDGPU.csdata,"",@progbits
; Kernel info:
; codeLenInByte = 0
; TotalNumSgprs: 0
; NumVgprs: 0
; ScratchSize: 0
; MemoryBound: 0
; FloatMode: 240
; IeeeMode: 1
; LDSByteSize: 0 bytes/workgroup (compile time only)
; SGPRBlocks: 0
; VGPRBlocks: 0
; NumSGPRsForWavesPerEU: 1
; NumVGPRsForWavesPerEU: 1
; Occupancy: 16
; WaveLimiterHint : 0
; COMPUTE_PGM_RSRC2:SCRATCH_EN: 0
; COMPUTE_PGM_RSRC2:USER_SGPR: 2
; COMPUTE_PGM_RSRC2:TRAP_HANDLER: 0
; COMPUTE_PGM_RSRC2:TGID_X_EN: 1
; COMPUTE_PGM_RSRC2:TGID_Y_EN: 0
; COMPUTE_PGM_RSRC2:TGID_Z_EN: 0
; COMPUTE_PGM_RSRC2:TIDIG_COMP_CNT: 0
	.section	.text._ZN7rocprim17ROCPRIM_400000_NS6detail17trampoline_kernelINS0_13select_configILj256ELj13ELNS0_17block_load_methodE3ELS4_3ELS4_3ELNS0_20block_scan_algorithmE0ELj4294967295EEENS1_25partition_config_selectorILNS1_17partition_subalgoE3EjNS0_10empty_typeEbEEZZNS1_14partition_implILS8_3ELb0ES6_jNS0_17counting_iteratorIjlEEPS9_SE_NS0_5tupleIJPjSE_EEENSF_IJSE_SE_EEES9_SG_JZNS1_25segmented_radix_sort_implINS0_14default_configELb0EPKsPsPKlPlN2at6native12_GLOBAL__N_18offset_tEEE10hipError_tPvRmT1_PNSt15iterator_traitsISY_E10value_typeET2_T3_PNSZ_IS14_E10value_typeET4_jRbjT5_S1A_jjP12ihipStream_tbEUljE_EEESV_SW_SX_S14_S18_S1A_T6_T7_T9_mT8_S1C_bDpT10_ENKUlT_T0_E_clISt17integral_constantIbLb0EES1P_EEDaS1K_S1L_EUlS1K_E_NS1_11comp_targetILNS1_3genE10ELNS1_11target_archE1200ELNS1_3gpuE4ELNS1_3repE0EEENS1_30default_config_static_selectorELNS0_4arch9wavefront6targetE0EEEvSY_,"axG",@progbits,_ZN7rocprim17ROCPRIM_400000_NS6detail17trampoline_kernelINS0_13select_configILj256ELj13ELNS0_17block_load_methodE3ELS4_3ELS4_3ELNS0_20block_scan_algorithmE0ELj4294967295EEENS1_25partition_config_selectorILNS1_17partition_subalgoE3EjNS0_10empty_typeEbEEZZNS1_14partition_implILS8_3ELb0ES6_jNS0_17counting_iteratorIjlEEPS9_SE_NS0_5tupleIJPjSE_EEENSF_IJSE_SE_EEES9_SG_JZNS1_25segmented_radix_sort_implINS0_14default_configELb0EPKsPsPKlPlN2at6native12_GLOBAL__N_18offset_tEEE10hipError_tPvRmT1_PNSt15iterator_traitsISY_E10value_typeET2_T3_PNSZ_IS14_E10value_typeET4_jRbjT5_S1A_jjP12ihipStream_tbEUljE_EEESV_SW_SX_S14_S18_S1A_T6_T7_T9_mT8_S1C_bDpT10_ENKUlT_T0_E_clISt17integral_constantIbLb0EES1P_EEDaS1K_S1L_EUlS1K_E_NS1_11comp_targetILNS1_3genE10ELNS1_11target_archE1200ELNS1_3gpuE4ELNS1_3repE0EEENS1_30default_config_static_selectorELNS0_4arch9wavefront6targetE0EEEvSY_,comdat
	.globl	_ZN7rocprim17ROCPRIM_400000_NS6detail17trampoline_kernelINS0_13select_configILj256ELj13ELNS0_17block_load_methodE3ELS4_3ELS4_3ELNS0_20block_scan_algorithmE0ELj4294967295EEENS1_25partition_config_selectorILNS1_17partition_subalgoE3EjNS0_10empty_typeEbEEZZNS1_14partition_implILS8_3ELb0ES6_jNS0_17counting_iteratorIjlEEPS9_SE_NS0_5tupleIJPjSE_EEENSF_IJSE_SE_EEES9_SG_JZNS1_25segmented_radix_sort_implINS0_14default_configELb0EPKsPsPKlPlN2at6native12_GLOBAL__N_18offset_tEEE10hipError_tPvRmT1_PNSt15iterator_traitsISY_E10value_typeET2_T3_PNSZ_IS14_E10value_typeET4_jRbjT5_S1A_jjP12ihipStream_tbEUljE_EEESV_SW_SX_S14_S18_S1A_T6_T7_T9_mT8_S1C_bDpT10_ENKUlT_T0_E_clISt17integral_constantIbLb0EES1P_EEDaS1K_S1L_EUlS1K_E_NS1_11comp_targetILNS1_3genE10ELNS1_11target_archE1200ELNS1_3gpuE4ELNS1_3repE0EEENS1_30default_config_static_selectorELNS0_4arch9wavefront6targetE0EEEvSY_ ; -- Begin function _ZN7rocprim17ROCPRIM_400000_NS6detail17trampoline_kernelINS0_13select_configILj256ELj13ELNS0_17block_load_methodE3ELS4_3ELS4_3ELNS0_20block_scan_algorithmE0ELj4294967295EEENS1_25partition_config_selectorILNS1_17partition_subalgoE3EjNS0_10empty_typeEbEEZZNS1_14partition_implILS8_3ELb0ES6_jNS0_17counting_iteratorIjlEEPS9_SE_NS0_5tupleIJPjSE_EEENSF_IJSE_SE_EEES9_SG_JZNS1_25segmented_radix_sort_implINS0_14default_configELb0EPKsPsPKlPlN2at6native12_GLOBAL__N_18offset_tEEE10hipError_tPvRmT1_PNSt15iterator_traitsISY_E10value_typeET2_T3_PNSZ_IS14_E10value_typeET4_jRbjT5_S1A_jjP12ihipStream_tbEUljE_EEESV_SW_SX_S14_S18_S1A_T6_T7_T9_mT8_S1C_bDpT10_ENKUlT_T0_E_clISt17integral_constantIbLb0EES1P_EEDaS1K_S1L_EUlS1K_E_NS1_11comp_targetILNS1_3genE10ELNS1_11target_archE1200ELNS1_3gpuE4ELNS1_3repE0EEENS1_30default_config_static_selectorELNS0_4arch9wavefront6targetE0EEEvSY_
	.p2align	8
	.type	_ZN7rocprim17ROCPRIM_400000_NS6detail17trampoline_kernelINS0_13select_configILj256ELj13ELNS0_17block_load_methodE3ELS4_3ELS4_3ELNS0_20block_scan_algorithmE0ELj4294967295EEENS1_25partition_config_selectorILNS1_17partition_subalgoE3EjNS0_10empty_typeEbEEZZNS1_14partition_implILS8_3ELb0ES6_jNS0_17counting_iteratorIjlEEPS9_SE_NS0_5tupleIJPjSE_EEENSF_IJSE_SE_EEES9_SG_JZNS1_25segmented_radix_sort_implINS0_14default_configELb0EPKsPsPKlPlN2at6native12_GLOBAL__N_18offset_tEEE10hipError_tPvRmT1_PNSt15iterator_traitsISY_E10value_typeET2_T3_PNSZ_IS14_E10value_typeET4_jRbjT5_S1A_jjP12ihipStream_tbEUljE_EEESV_SW_SX_S14_S18_S1A_T6_T7_T9_mT8_S1C_bDpT10_ENKUlT_T0_E_clISt17integral_constantIbLb0EES1P_EEDaS1K_S1L_EUlS1K_E_NS1_11comp_targetILNS1_3genE10ELNS1_11target_archE1200ELNS1_3gpuE4ELNS1_3repE0EEENS1_30default_config_static_selectorELNS0_4arch9wavefront6targetE0EEEvSY_,@function
_ZN7rocprim17ROCPRIM_400000_NS6detail17trampoline_kernelINS0_13select_configILj256ELj13ELNS0_17block_load_methodE3ELS4_3ELS4_3ELNS0_20block_scan_algorithmE0ELj4294967295EEENS1_25partition_config_selectorILNS1_17partition_subalgoE3EjNS0_10empty_typeEbEEZZNS1_14partition_implILS8_3ELb0ES6_jNS0_17counting_iteratorIjlEEPS9_SE_NS0_5tupleIJPjSE_EEENSF_IJSE_SE_EEES9_SG_JZNS1_25segmented_radix_sort_implINS0_14default_configELb0EPKsPsPKlPlN2at6native12_GLOBAL__N_18offset_tEEE10hipError_tPvRmT1_PNSt15iterator_traitsISY_E10value_typeET2_T3_PNSZ_IS14_E10value_typeET4_jRbjT5_S1A_jjP12ihipStream_tbEUljE_EEESV_SW_SX_S14_S18_S1A_T6_T7_T9_mT8_S1C_bDpT10_ENKUlT_T0_E_clISt17integral_constantIbLb0EES1P_EEDaS1K_S1L_EUlS1K_E_NS1_11comp_targetILNS1_3genE10ELNS1_11target_archE1200ELNS1_3gpuE4ELNS1_3repE0EEENS1_30default_config_static_selectorELNS0_4arch9wavefront6targetE0EEEvSY_: ; @_ZN7rocprim17ROCPRIM_400000_NS6detail17trampoline_kernelINS0_13select_configILj256ELj13ELNS0_17block_load_methodE3ELS4_3ELS4_3ELNS0_20block_scan_algorithmE0ELj4294967295EEENS1_25partition_config_selectorILNS1_17partition_subalgoE3EjNS0_10empty_typeEbEEZZNS1_14partition_implILS8_3ELb0ES6_jNS0_17counting_iteratorIjlEEPS9_SE_NS0_5tupleIJPjSE_EEENSF_IJSE_SE_EEES9_SG_JZNS1_25segmented_radix_sort_implINS0_14default_configELb0EPKsPsPKlPlN2at6native12_GLOBAL__N_18offset_tEEE10hipError_tPvRmT1_PNSt15iterator_traitsISY_E10value_typeET2_T3_PNSZ_IS14_E10value_typeET4_jRbjT5_S1A_jjP12ihipStream_tbEUljE_EEESV_SW_SX_S14_S18_S1A_T6_T7_T9_mT8_S1C_bDpT10_ENKUlT_T0_E_clISt17integral_constantIbLb0EES1P_EEDaS1K_S1L_EUlS1K_E_NS1_11comp_targetILNS1_3genE10ELNS1_11target_archE1200ELNS1_3gpuE4ELNS1_3repE0EEENS1_30default_config_static_selectorELNS0_4arch9wavefront6targetE0EEEvSY_
; %bb.0:
	s_clause 0x6
	s_load_b32 s2, s[0:1], 0x70
	s_load_b128 s[8:11], s[0:1], 0x48
	s_load_b64 s[12:13], s[0:1], 0x10
	s_load_b64 s[14:15], s[0:1], 0x58
	s_load_b32 s20, s[0:1], 0x8
	s_load_b32 s3, s[0:1], 0x88
	s_load_b128 s[4:7], s[0:1], 0x78
	s_mov_b32 s17, 0
	v_lshlrev_b32_e32 v42, 2, v0
	s_wait_kmcnt 0x0
	s_mul_i32 s16, s2, 0xd00
	s_load_b64 s[18:19], s[10:11], 0x0
	s_add_co_i32 s10, s16, s12
	s_add_co_i32 s2, s2, -1
	s_sub_co_i32 s23, s14, s10
	s_add_nc_u64 s[10:11], s[12:13], s[16:17]
	s_addk_co_i32 s23, 0xd00
	s_cmp_eq_u32 ttmp9, s2
	s_mul_i32 s16, ttmp9, 0xd00
	s_cselect_b32 s22, -1, 0
	s_cmp_lg_u32 ttmp9, s2
	v_cmp_gt_u64_e64 s10, s[14:15], s[10:11]
	s_cselect_b32 s2, -1, 0
	s_add_co_i32 s11, s20, s16
	s_mov_b32 s17, -1
	s_wait_alu 0xfffe
	s_add_co_i32 s11, s11, s12
	s_wait_alu 0xfffe
	v_add_nc_u32_e32 v1, s11, v0
	s_or_b32 s10, s2, s10
	s_wait_alu 0xfffe
	s_and_b32 vcc_lo, exec_lo, s10
	s_cbranch_vccz .LBB987_2
; %bb.1:
	v_add_nc_u32_e32 v2, 0x100, v1
	v_add_nc_u32_e32 v3, 0x200, v1
	;; [unrolled: 1-line block ×12, first 2 shown]
	ds_store_2addr_stride64_b32 v42, v1, v2 offset1:4
	ds_store_2addr_stride64_b32 v42, v3, v4 offset0:8 offset1:12
	ds_store_2addr_stride64_b32 v42, v5, v6 offset0:16 offset1:20
	;; [unrolled: 1-line block ×5, first 2 shown]
	ds_store_b32 v42, v13 offset:12288
	s_wait_dscnt 0x0
	s_barrier_signal -1
	s_mov_b32 s17, 0
	s_barrier_wait -1
.LBB987_2:
	v_cmp_gt_u32_e64 s2, s23, v0
	v_or_b32_e32 v41, 0x100, v0
	v_or_b32_e32 v40, 0x200, v0
	;; [unrolled: 1-line block ×12, first 2 shown]
	s_and_not1_b32 vcc_lo, exec_lo, s17
	s_cbranch_vccnz .LBB987_4
; %bb.3:
	v_cmp_gt_u32_e32 vcc_lo, s23, v41
	v_add_nc_u32_e32 v3, s11, v40
	v_add_nc_u32_e32 v2, s11, v41
	v_cndmask_b32_e64 v1, 0, v1, s2
	s_delay_alu instid0(VALU_DEP_2)
	v_cndmask_b32_e32 v2, 0, v2, vcc_lo
	v_cmp_gt_u32_e32 vcc_lo, s23, v40
	s_wait_alu 0xfffd
	v_cndmask_b32_e32 v3, 0, v3, vcc_lo
	v_cmp_gt_u32_e32 vcc_lo, s23, v39
	v_add_nc_u32_e32 v5, s11, v38
	v_add_nc_u32_e32 v4, s11, v39
	s_wait_alu 0xfffd
	s_delay_alu instid0(VALU_DEP_1)
	v_cndmask_b32_e32 v4, 0, v4, vcc_lo
	v_cmp_gt_u32_e32 vcc_lo, s23, v38
	s_wait_alu 0xfffd
	v_cndmask_b32_e32 v5, 0, v5, vcc_lo
	v_cmp_gt_u32_e32 vcc_lo, s23, v37
	v_add_nc_u32_e32 v7, s11, v36
	v_add_nc_u32_e32 v6, s11, v37
	s_wait_alu 0xfffd
	s_delay_alu instid0(VALU_DEP_1)
	;; [unrolled: 9-line block ×5, first 2 shown]
	v_cndmask_b32_e32 v12, 0, v12, vcc_lo
	v_cmp_gt_u32_e32 vcc_lo, s23, v30
	s_wait_alu 0xfffd
	v_cndmask_b32_e32 v13, 0, v13, vcc_lo
	ds_store_2addr_stride64_b32 v42, v1, v2 offset1:4
	ds_store_2addr_stride64_b32 v42, v3, v4 offset0:8 offset1:12
	ds_store_2addr_stride64_b32 v42, v5, v6 offset0:16 offset1:20
	;; [unrolled: 1-line block ×5, first 2 shown]
	ds_store_b32 v42, v13 offset:12288
	s_wait_dscnt 0x0
	s_barrier_signal -1
	s_barrier_wait -1
.LBB987_4:
	v_mul_u32_u24_e32 v45, 13, v0
	global_inv scope:SCOPE_SE
	v_cndmask_b32_e64 v43, 0, 1, s10
	s_and_not1_b32 vcc_lo, exec_lo, s10
	v_lshlrev_b32_e32 v1, 2, v45
	ds_load_2addr_b32 v[26:27], v1 offset0:2 offset1:3
	ds_load_2addr_b32 v[22:23], v1 offset0:6 offset1:7
	;; [unrolled: 1-line block ×3, first 2 shown]
	ds_load_2addr_b32 v[28:29], v1 offset1:1
	ds_load_2addr_b32 v[18:19], v1 offset0:10 offset1:11
	ds_load_b32 v44, v1 offset:48
	ds_load_2addr_b32 v[20:21], v1 offset0:8 offset1:9
	s_wait_loadcnt_dscnt 0x0
	s_barrier_signal -1
	s_barrier_wait -1
	global_inv scope:SCOPE_SE
	s_wait_alu 0xfffe
	s_cbranch_vccnz .LBB987_6
; %bb.5:
	v_add_nc_u32_e32 v1, s5, v27
	v_add_nc_u32_e32 v2, s7, v27
	;; [unrolled: 1-line block ×5, first 2 shown]
	v_mul_lo_u32 v1, v1, s4
	v_mul_lo_u32 v2, v2, s6
	v_add_nc_u32_e32 v8, s7, v26
	v_add_nc_u32_e32 v3, s5, v29
	;; [unrolled: 1-line block ×3, first 2 shown]
	v_mul_lo_u32 v5, v5, s4
	v_mul_lo_u32 v4, v4, s4
	v_add_nc_u32_e32 v9, s5, v24
	v_mul_lo_u32 v3, v3, s4
	v_sub_nc_u32_e32 v1, v1, v2
	v_mul_lo_u32 v2, v7, s6
	v_mul_lo_u32 v7, v8, s6
	;; [unrolled: 1-line block ×3, first 2 shown]
	v_add_nc_u32_e32 v8, s5, v25
	v_add_nc_u32_e32 v10, s7, v24
	v_mul_lo_u32 v9, v9, s4
	v_cmp_lt_u32_e32 vcc_lo, s3, v1
	v_add_nc_u32_e32 v14, s7, v19
	v_sub_nc_u32_e32 v2, v4, v2
	v_sub_nc_u32_e32 v4, v5, v7
	v_add_nc_u32_e32 v5, s7, v25
	v_sub_nc_u32_e32 v3, v3, v6
	v_add_nc_u32_e32 v6, s5, v23
	v_add_nc_u32_e32 v7, s7, v23
	v_mul_lo_u32 v8, v8, s4
	v_mul_lo_u32 v5, v5, s6
	;; [unrolled: 1-line block ×5, first 2 shown]
	s_wait_alu 0xfffd
	v_cndmask_b32_e64 v1, 0, 1, vcc_lo
	v_cmp_lt_u32_e32 vcc_lo, s3, v3
	v_mul_lo_u32 v14, v14, s6
	v_add_nc_u32_e32 v15, s7, v21
	v_sub_nc_u32_e32 v5, v8, v5
	v_add_nc_u32_e32 v8, s7, v22
	s_wait_alu 0xfffd
	v_cndmask_b32_e64 v3, 0, 1, vcc_lo
	v_sub_nc_u32_e32 v6, v6, v7
	v_mul_lo_u32 v15, v15, s6
	v_cmp_lt_u32_e32 vcc_lo, s3, v5
	v_mul_lo_u32 v7, v8, s6
	v_sub_nc_u32_e32 v8, v9, v10
	v_add_nc_u32_e32 v9, s5, v19
	v_add_nc_u32_e32 v10, s5, v21
	s_wait_alu 0xfffd
	v_cndmask_b32_e64 v5, 0, 1, vcc_lo
	v_cmp_lt_u32_e32 vcc_lo, s3, v6
	v_add_nc_u32_e32 v11, s5, v22
	v_mul_lo_u32 v9, v9, s4
	v_mul_lo_u32 v10, v10, s4
	v_add_nc_u32_e32 v12, s5, v20
	s_wait_alu 0xfffd
	v_cndmask_b32_e64 v6, 0, 1, vcc_lo
	v_mul_lo_u32 v11, v11, s4
	v_add_nc_u32_e32 v16, s7, v20
	v_lshlrev_b16 v3, 8, v3
	v_add_nc_u32_e32 v13, s5, v18
	v_sub_nc_u32_e32 v9, v9, v14
	v_sub_nc_u32_e32 v10, v10, v15
	v_add_nc_u32_e32 v17, s7, v18
	v_mul_lo_u32 v12, v12, s4
	v_mul_lo_u32 v16, v16, s6
	v_cmp_lt_u32_e32 vcc_lo, s3, v9
	v_sub_nc_u32_e32 v7, v11, v7
	v_lshrrev_b32_e32 v3, 8, v3
	v_mul_lo_u32 v11, v13, s4
	v_mul_lo_u32 v13, v17, s6
	s_wait_alu 0xfffd
	v_cndmask_b32_e64 v9, 0, 1, vcc_lo
	v_cmp_lt_u32_e32 vcc_lo, s3, v2
	v_sub_nc_u32_e32 v12, v12, v16
	v_lshlrev_b16 v3, 8, v3
	v_lshlrev_b16 v1, 8, v1
	;; [unrolled: 1-line block ×3, first 2 shown]
	s_wait_alu 0xfffd
	v_cndmask_b32_e64 v2, 0, 1, vcc_lo
	v_cmp_lt_u32_e32 vcc_lo, s3, v10
	v_sub_nc_u32_e32 v11, v11, v13
	v_add_nc_u32_e32 v14, s5, v44
	v_add_nc_u32_e32 v15, s7, v44
	v_or_b32_e32 v2, v2, v3
	s_wait_alu 0xfffd
	v_cndmask_b32_e64 v10, 0, 1, vcc_lo
	v_cmp_lt_u32_e32 vcc_lo, s3, v4
	v_lshlrev_b16 v3, 8, v9
	v_lshrrev_b32_e32 v5, 8, v5
	v_lshrrev_b32_e32 v1, 8, v1
	v_lshlrev_b16 v9, 8, v10
	s_wait_alu 0xfffd
	v_cndmask_b32_e64 v4, 0, 1, vcc_lo
	v_cmp_lt_u32_e32 vcc_lo, s3, v8
	v_lshrrev_b32_e32 v3, 8, v3
	v_mul_lo_u32 v14, v14, s4
	v_lshrrev_b32_e32 v9, 8, v9
	v_mul_lo_u32 v15, v15, s6
	s_wait_alu 0xfffd
	v_cndmask_b32_e64 v8, 0, 1, vcc_lo
	v_cmp_lt_u32_e32 vcc_lo, s3, v7
	v_lshlrev_b16 v6, 8, v6
	v_lshlrev_b16 v1, 8, v1
	;; [unrolled: 1-line block ×4, first 2 shown]
	s_wait_alu 0xfffd
	v_cndmask_b32_e64 v7, 0, 1, vcc_lo
	v_cmp_lt_u32_e32 vcc_lo, s3, v12
	v_lshlrev_b16 v3, 8, v3
	v_sub_nc_u32_e32 v10, v14, v15
	v_or_b32_e32 v1, v4, v1
	v_or_b32_e32 v4, v8, v5
	s_wait_alu 0xfffd
	v_cndmask_b32_e64 v12, 0, 1, vcc_lo
	v_cmp_lt_u32_e32 vcc_lo, s3, v11
	v_or_b32_e32 v5, v7, v6
	v_and_b32_e32 v2, 0xffff, v2
	v_lshlrev_b32_e32 v1, 16, v1
	v_or_b32_e32 v6, v12, v9
	s_wait_alu 0xfffd
	v_cndmask_b32_e64 v11, 0, 1, vcc_lo
	v_and_b32_e32 v4, 0xffff, v4
	v_lshlrev_b32_e32 v5, 16, v5
	v_cmp_lt_u32_e32 vcc_lo, s3, v10
	v_and_b32_e32 v6, 0xffff, v6
	v_or_b32_e32 v3, v11, v3
	v_or_b32_e32 v51, v2, v1
	;; [unrolled: 1-line block ×3, first 2 shown]
	s_wait_alu 0xfffd
	v_cndmask_b32_e64 v46, 0, 1, vcc_lo
	v_lshlrev_b32_e32 v3, 16, v3
	s_delay_alu instid0(VALU_DEP_1)
	v_or_b32_e32 v47, v6, v3
	s_clause 0x1
	s_load_b64 s[10:11], s[0:1], 0x28
	s_load_b64 s[20:21], s[0:1], 0x68
	s_cbranch_execz .LBB987_7
	s_branch .LBB987_34
.LBB987_6:
                                        ; implicit-def: $vgpr46
                                        ; implicit-def: $vgpr47
                                        ; implicit-def: $vgpr49
                                        ; implicit-def: $vgpr51
	s_clause 0x1
	s_load_b64 s[10:11], s[0:1], 0x28
	s_load_b64 s[20:21], s[0:1], 0x68
.LBB987_7:
	v_dual_mov_b32 v2, 0 :: v_dual_mov_b32 v1, 0
	s_mov_b32 s0, exec_lo
	v_cmpx_gt_u32_e64 s23, v45
	s_cbranch_execz .LBB987_9
; %bb.8:
	v_add_nc_u32_e32 v1, s5, v28
	v_add_nc_u32_e32 v3, s7, v28
	s_delay_alu instid0(VALU_DEP_2) | instskip(NEXT) | instid1(VALU_DEP_2)
	v_mul_lo_u32 v1, v1, s4
	v_mul_lo_u32 v3, v3, s6
	s_delay_alu instid0(VALU_DEP_1) | instskip(NEXT) | instid1(VALU_DEP_1)
	v_sub_nc_u32_e32 v1, v1, v3
	v_cmp_lt_u32_e32 vcc_lo, s3, v1
	s_wait_alu 0xfffd
	v_cndmask_b32_e64 v1, 0, 1, vcc_lo
.LBB987_9:
	s_or_b32 exec_lo, exec_lo, s0
	v_add_nc_u32_e32 v3, 1, v45
	s_mov_b32 s0, exec_lo
	s_delay_alu instid0(VALU_DEP_1)
	v_cmpx_gt_u32_e64 s23, v3
	s_cbranch_execz .LBB987_11
; %bb.10:
	v_add_nc_u32_e32 v2, s5, v29
	v_add_nc_u32_e32 v3, s7, v29
	s_delay_alu instid0(VALU_DEP_2) | instskip(NEXT) | instid1(VALU_DEP_2)
	v_mul_lo_u32 v2, v2, s4
	v_mul_lo_u32 v3, v3, s6
	s_delay_alu instid0(VALU_DEP_1) | instskip(NEXT) | instid1(VALU_DEP_1)
	v_sub_nc_u32_e32 v2, v2, v3
	v_cmp_lt_u32_e32 vcc_lo, s3, v2
	s_wait_alu 0xfffd
	v_cndmask_b32_e64 v2, 0, 1, vcc_lo
.LBB987_11:
	s_or_b32 exec_lo, exec_lo, s0
	v_dual_mov_b32 v4, 0 :: v_dual_add_nc_u32 v3, 2, v45
	s_delay_alu instid0(VALU_DEP_1)
	v_cmp_gt_u32_e32 vcc_lo, s23, v3
	v_mov_b32_e32 v3, 0
	s_and_saveexec_b32 s0, vcc_lo
	s_cbranch_execz .LBB987_13
; %bb.12:
	v_add_nc_u32_e32 v3, s5, v26
	v_add_nc_u32_e32 v5, s7, v26
	s_delay_alu instid0(VALU_DEP_2) | instskip(NEXT) | instid1(VALU_DEP_2)
	v_mul_lo_u32 v3, v3, s4
	v_mul_lo_u32 v5, v5, s6
	s_delay_alu instid0(VALU_DEP_1) | instskip(NEXT) | instid1(VALU_DEP_1)
	v_sub_nc_u32_e32 v3, v3, v5
	v_cmp_lt_u32_e32 vcc_lo, s3, v3
	s_wait_alu 0xfffd
	v_cndmask_b32_e64 v3, 0, 1, vcc_lo
.LBB987_13:
	s_or_b32 exec_lo, exec_lo, s0
	v_add_nc_u32_e32 v5, 3, v45
	s_mov_b32 s0, exec_lo
	s_delay_alu instid0(VALU_DEP_1)
	v_cmpx_gt_u32_e64 s23, v5
	s_cbranch_execz .LBB987_15
; %bb.14:
	v_add_nc_u32_e32 v4, s5, v27
	v_add_nc_u32_e32 v5, s7, v27
	s_delay_alu instid0(VALU_DEP_2) | instskip(NEXT) | instid1(VALU_DEP_2)
	v_mul_lo_u32 v4, v4, s4
	v_mul_lo_u32 v5, v5, s6
	s_delay_alu instid0(VALU_DEP_1) | instskip(NEXT) | instid1(VALU_DEP_1)
	v_sub_nc_u32_e32 v4, v4, v5
	v_cmp_lt_u32_e32 vcc_lo, s3, v4
	s_wait_alu 0xfffd
	v_cndmask_b32_e64 v4, 0, 1, vcc_lo
.LBB987_15:
	s_or_b32 exec_lo, exec_lo, s0
	v_dual_mov_b32 v6, 0 :: v_dual_add_nc_u32 v5, 4, v45
	s_delay_alu instid0(VALU_DEP_1)
	v_cmp_gt_u32_e32 vcc_lo, s23, v5
	v_mov_b32_e32 v5, 0
	s_and_saveexec_b32 s0, vcc_lo
	;; [unrolled: 37-line block ×5, first 2 shown]
	s_cbranch_execz .LBB987_29
; %bb.28:
	v_add_nc_u32_e32 v11, s5, v18
	v_add_nc_u32_e32 v13, s7, v18
	s_delay_alu instid0(VALU_DEP_2) | instskip(NEXT) | instid1(VALU_DEP_2)
	v_mul_lo_u32 v11, v11, s4
	v_mul_lo_u32 v13, v13, s6
	s_delay_alu instid0(VALU_DEP_1) | instskip(NEXT) | instid1(VALU_DEP_1)
	v_sub_nc_u32_e32 v11, v11, v13
	v_cmp_lt_u32_e32 vcc_lo, s3, v11
	s_wait_alu 0xfffd
	v_cndmask_b32_e64 v11, 0, 1, vcc_lo
.LBB987_29:
	s_or_b32 exec_lo, exec_lo, s0
	v_add_nc_u32_e32 v13, 11, v45
	s_mov_b32 s0, exec_lo
	s_delay_alu instid0(VALU_DEP_1)
	v_cmpx_gt_u32_e64 s23, v13
	s_cbranch_execz .LBB987_31
; %bb.30:
	v_add_nc_u32_e32 v12, s5, v19
	v_add_nc_u32_e32 v13, s7, v19
	s_delay_alu instid0(VALU_DEP_2) | instskip(NEXT) | instid1(VALU_DEP_2)
	v_mul_lo_u32 v12, v12, s4
	v_mul_lo_u32 v13, v13, s6
	s_delay_alu instid0(VALU_DEP_1) | instskip(NEXT) | instid1(VALU_DEP_1)
	v_sub_nc_u32_e32 v12, v12, v13
	v_cmp_lt_u32_e32 vcc_lo, s3, v12
	s_wait_alu 0xfffd
	v_cndmask_b32_e64 v12, 0, 1, vcc_lo
.LBB987_31:
	s_or_b32 exec_lo, exec_lo, s0
	v_dual_mov_b32 v46, 0 :: v_dual_add_nc_u32 v13, 12, v45
	s_mov_b32 s0, exec_lo
	s_delay_alu instid0(VALU_DEP_1)
	v_cmpx_gt_u32_e64 s23, v13
	s_cbranch_execz .LBB987_33
; %bb.32:
	v_add_nc_u32_e32 v13, s5, v44
	v_add_nc_u32_e32 v14, s7, v44
	s_delay_alu instid0(VALU_DEP_2) | instskip(NEXT) | instid1(VALU_DEP_2)
	v_mul_lo_u32 v13, v13, s4
	v_mul_lo_u32 v14, v14, s6
	s_delay_alu instid0(VALU_DEP_1) | instskip(NEXT) | instid1(VALU_DEP_1)
	v_sub_nc_u32_e32 v13, v13, v14
	v_cmp_lt_u32_e32 vcc_lo, s3, v13
	s_wait_alu 0xfffd
	v_cndmask_b32_e64 v46, 0, 1, vcc_lo
.LBB987_33:
	s_or_b32 exec_lo, exec_lo, s0
	v_lshlrev_b16 v2, 8, v2
	v_lshlrev_b16 v4, 8, v4
	;; [unrolled: 1-line block ×5, first 2 shown]
	v_or_b32_e32 v1, v1, v2
	v_lshlrev_b16 v2, 8, v12
	v_or_b32_e32 v3, v3, v4
	v_or_b32_e32 v4, v5, v6
	;; [unrolled: 1-line block ×5, first 2 shown]
	v_and_b32_e32 v1, 0xffff, v1
	v_lshlrev_b32_e32 v3, 16, v3
	v_and_b32_e32 v4, 0xffff, v4
	v_lshlrev_b32_e32 v5, 16, v5
	;; [unrolled: 2-line block ×3, first 2 shown]
	v_or_b32_e32 v51, v1, v3
	s_delay_alu instid0(VALU_DEP_4) | instskip(NEXT) | instid1(VALU_DEP_3)
	v_or_b32_e32 v49, v4, v5
	v_or_b32_e32 v47, v6, v2
.LBB987_34:
	s_delay_alu instid0(VALU_DEP_3)
	v_and_b32_e32 v53, 0xff, v51
	v_bfe_u32 v54, v51, 8, 8
	v_bfe_u32 v55, v51, 16, 8
	v_lshrrev_b32_e32 v52, 24, v51
	v_and_b32_e32 v56, 0xff, v49
	v_bfe_u32 v57, v49, 8, 8
	v_bfe_u32 v58, v49, 16, 8
	v_add3_u32 v1, v54, v53, v55
	v_lshrrev_b32_e32 v50, 24, v49
	v_and_b32_e32 v59, 0xff, v47
	v_bfe_u32 v60, v47, 8, 8
	v_mbcnt_lo_u32_b32 v62, -1, 0
	v_add3_u32 v1, v1, v52, v56
	v_bfe_u32 v61, v47, 16, 8
	v_lshrrev_b32_e32 v48, 24, v47
	v_and_b32_e32 v2, 0xff, v46
	v_and_b32_e32 v3, 15, v62
	v_add3_u32 v1, v1, v57, v58
	v_or_b32_e32 v4, 31, v0
	v_and_b32_e32 v5, 16, v62
	v_lshrrev_b32_e32 v63, 5, v0
	v_cmp_eq_u32_e64 s5, 0, v3
	v_add3_u32 v1, v1, v50, v59
	v_cmp_lt_u32_e64 s4, 1, v3
	v_cmp_lt_u32_e64 s3, 3, v3
	;; [unrolled: 1-line block ×3, first 2 shown]
	v_cmp_eq_u32_e64 s1, 0, v5
	v_add3_u32 v1, v1, v60, v61
	v_cmp_eq_u32_e64 s0, v0, v4
	s_cmp_lg_u32 ttmp9, 0
	s_mov_b32 s6, -1
	v_add3_u32 v64, v1, v48, v2
	s_cbranch_scc0 .LBB987_55
; %bb.35:
	s_delay_alu instid0(VALU_DEP_1) | instskip(SKIP_1) | instid1(VALU_DEP_1)
	v_mov_b32_dpp v1, v64 row_shr:1 row_mask:0xf bank_mask:0xf
	s_wait_alu 0xf1ff
	v_cndmask_b32_e64 v1, v1, 0, s5
	s_delay_alu instid0(VALU_DEP_1) | instskip(NEXT) | instid1(VALU_DEP_1)
	v_add_nc_u32_e32 v1, v1, v64
	v_mov_b32_dpp v2, v1 row_shr:2 row_mask:0xf bank_mask:0xf
	s_delay_alu instid0(VALU_DEP_1) | instskip(NEXT) | instid1(VALU_DEP_1)
	v_cndmask_b32_e64 v2, 0, v2, s4
	v_add_nc_u32_e32 v1, v1, v2
	s_delay_alu instid0(VALU_DEP_1) | instskip(NEXT) | instid1(VALU_DEP_1)
	v_mov_b32_dpp v2, v1 row_shr:4 row_mask:0xf bank_mask:0xf
	v_cndmask_b32_e64 v2, 0, v2, s3
	s_delay_alu instid0(VALU_DEP_1) | instskip(NEXT) | instid1(VALU_DEP_1)
	v_add_nc_u32_e32 v1, v1, v2
	v_mov_b32_dpp v2, v1 row_shr:8 row_mask:0xf bank_mask:0xf
	s_delay_alu instid0(VALU_DEP_1) | instskip(NEXT) | instid1(VALU_DEP_1)
	v_cndmask_b32_e64 v2, 0, v2, s2
	v_add_nc_u32_e32 v1, v1, v2
	ds_swizzle_b32 v2, v1 offset:swizzle(BROADCAST,32,15)
	s_wait_dscnt 0x0
	v_cndmask_b32_e64 v2, v2, 0, s1
	s_delay_alu instid0(VALU_DEP_1)
	v_add_nc_u32_e32 v1, v1, v2
	s_and_saveexec_b32 s6, s0
; %bb.36:
	v_lshlrev_b32_e32 v2, 2, v63
	ds_store_b32 v2, v1
; %bb.37:
	s_wait_alu 0xfffe
	s_or_b32 exec_lo, exec_lo, s6
	s_delay_alu instid0(SALU_CYCLE_1)
	s_mov_b32 s6, exec_lo
	s_wait_loadcnt_dscnt 0x0
	s_barrier_signal -1
	s_barrier_wait -1
	global_inv scope:SCOPE_SE
	v_cmpx_gt_u32_e32 8, v0
	s_cbranch_execz .LBB987_39
; %bb.38:
	ds_load_b32 v2, v42
	s_wait_dscnt 0x0
	v_mov_b32_dpp v4, v2 row_shr:1 row_mask:0xf bank_mask:0xf
	v_and_b32_e32 v3, 7, v62
	s_delay_alu instid0(VALU_DEP_1) | instskip(SKIP_1) | instid1(VALU_DEP_3)
	v_cmp_ne_u32_e32 vcc_lo, 0, v3
	s_wait_alu 0xfffd
	v_cndmask_b32_e32 v4, 0, v4, vcc_lo
	v_cmp_lt_u32_e32 vcc_lo, 1, v3
	s_delay_alu instid0(VALU_DEP_2) | instskip(NEXT) | instid1(VALU_DEP_1)
	v_add_nc_u32_e32 v2, v4, v2
	v_mov_b32_dpp v4, v2 row_shr:2 row_mask:0xf bank_mask:0xf
	s_wait_alu 0xfffd
	s_delay_alu instid0(VALU_DEP_1) | instskip(SKIP_1) | instid1(VALU_DEP_2)
	v_cndmask_b32_e32 v4, 0, v4, vcc_lo
	v_cmp_lt_u32_e32 vcc_lo, 3, v3
	v_add_nc_u32_e32 v2, v2, v4
	s_delay_alu instid0(VALU_DEP_1) | instskip(SKIP_1) | instid1(VALU_DEP_1)
	v_mov_b32_dpp v4, v2 row_shr:4 row_mask:0xf bank_mask:0xf
	s_wait_alu 0xfffd
	v_cndmask_b32_e32 v3, 0, v4, vcc_lo
	s_delay_alu instid0(VALU_DEP_1)
	v_add_nc_u32_e32 v2, v2, v3
	ds_store_b32 v42, v2
.LBB987_39:
	s_wait_alu 0xfffe
	s_or_b32 exec_lo, exec_lo, s6
	s_delay_alu instid0(SALU_CYCLE_1)
	s_mov_b32 s7, exec_lo
	v_cmp_gt_u32_e32 vcc_lo, 32, v0
	s_wait_loadcnt_dscnt 0x0
	s_barrier_signal -1
	s_barrier_wait -1
	global_inv scope:SCOPE_SE
                                        ; implicit-def: $vgpr9
	v_cmpx_lt_u32_e32 31, v0
	s_cbranch_execz .LBB987_41
; %bb.40:
	v_lshl_add_u32 v2, v63, 2, -4
	ds_load_b32 v9, v2
	s_wait_dscnt 0x0
	v_add_nc_u32_e32 v1, v9, v1
.LBB987_41:
	s_wait_alu 0xfffe
	s_or_b32 exec_lo, exec_lo, s7
	v_sub_co_u32 v2, s6, v62, 1
	s_delay_alu instid0(VALU_DEP_1) | instskip(SKIP_1) | instid1(VALU_DEP_1)
	v_cmp_gt_i32_e64 s7, 0, v2
	s_wait_alu 0xf1ff
	v_cndmask_b32_e64 v2, v2, v62, s7
	s_delay_alu instid0(VALU_DEP_1)
	v_lshlrev_b32_e32 v2, 2, v2
	ds_bpermute_b32 v10, v2, v1
	s_and_saveexec_b32 s7, vcc_lo
	s_cbranch_execz .LBB987_60
; %bb.42:
	v_mov_b32_e32 v5, 0
	ds_load_b32 v1, v5 offset:28
	s_and_saveexec_b32 s17, s6
	s_cbranch_execz .LBB987_44
; %bb.43:
	s_add_co_i32 s24, ttmp9, 32
	s_mov_b32 s25, 0
	v_mov_b32_e32 v2, 1
	s_lshl_b64 s[24:25], s[24:25], 3
	s_wait_kmcnt 0x0
	s_add_nc_u64 s[24:25], s[20:21], s[24:25]
	s_wait_dscnt 0x0
	global_store_b64 v5, v[1:2], s[24:25] scope:SCOPE_DEV
.LBB987_44:
	s_or_b32 exec_lo, exec_lo, s17
	v_xad_u32 v3, v62, -1, ttmp9
	s_mov_b32 s24, 0
	s_mov_b32 s17, exec_lo
	s_delay_alu instid0(VALU_DEP_1) | instskip(NEXT) | instid1(VALU_DEP_1)
	v_add_nc_u32_e32 v4, 32, v3
	v_lshlrev_b64_e32 v[4:5], 3, v[4:5]
	s_wait_kmcnt 0x0
	s_delay_alu instid0(VALU_DEP_1) | instskip(SKIP_1) | instid1(VALU_DEP_2)
	v_add_co_u32 v7, vcc_lo, s20, v4
	s_wait_alu 0xfffd
	v_add_co_ci_u32_e64 v8, null, s21, v5, vcc_lo
	global_load_b64 v[5:6], v[7:8], off scope:SCOPE_DEV
	s_wait_loadcnt 0x0
	v_and_b32_e32 v2, 0xff, v6
	s_delay_alu instid0(VALU_DEP_1)
	v_cmpx_eq_u16_e32 0, v2
	s_cbranch_execz .LBB987_47
.LBB987_45:                             ; =>This Inner Loop Header: Depth=1
	global_load_b64 v[5:6], v[7:8], off scope:SCOPE_DEV
	s_wait_loadcnt 0x0
	v_and_b32_e32 v2, 0xff, v6
	s_delay_alu instid0(VALU_DEP_1) | instskip(SKIP_1) | instid1(SALU_CYCLE_1)
	v_cmp_ne_u16_e32 vcc_lo, 0, v2
	s_or_b32 s24, vcc_lo, s24
	s_and_not1_b32 exec_lo, exec_lo, s24
	s_cbranch_execnz .LBB987_45
; %bb.46:
	s_or_b32 exec_lo, exec_lo, s24
.LBB987_47:
	s_delay_alu instid0(SALU_CYCLE_1)
	s_or_b32 exec_lo, exec_lo, s17
	v_cmp_ne_u32_e32 vcc_lo, 31, v62
	v_lshlrev_b32_e64 v12, v62, -1
	v_add_nc_u32_e32 v14, 2, v62
	v_add_nc_u32_e32 v16, 4, v62
	;; [unrolled: 1-line block ×3, first 2 shown]
	s_wait_alu 0xfffd
	v_add_co_ci_u32_e64 v2, null, 0, v62, vcc_lo
	v_lshl_or_b32 v66, v62, 2, 64
	v_add_nc_u32_e32 v67, 16, v62
	s_delay_alu instid0(VALU_DEP_3)
	v_lshlrev_b32_e32 v11, 2, v2
	v_and_b32_e32 v2, 0xff, v6
	ds_bpermute_b32 v4, v11, v5
	v_cmp_eq_u16_e32 vcc_lo, 2, v2
	s_wait_alu 0xfffd
	v_and_or_b32 v2, vcc_lo, v12, 0x80000000
	v_cmp_gt_u32_e32 vcc_lo, 30, v62
	s_delay_alu instid0(VALU_DEP_2) | instskip(SKIP_2) | instid1(VALU_DEP_2)
	v_ctz_i32_b32_e32 v2, v2
	s_wait_alu 0xfffd
	v_cndmask_b32_e64 v7, 0, 2, vcc_lo
	v_cmp_lt_u32_e32 vcc_lo, v62, v2
	s_delay_alu instid0(VALU_DEP_2) | instskip(SKIP_4) | instid1(VALU_DEP_2)
	v_add_lshl_u32 v13, v7, v62, 2
	s_wait_dscnt 0x0
	s_wait_alu 0xfffd
	v_cndmask_b32_e32 v4, 0, v4, vcc_lo
	v_cmp_gt_u32_e32 vcc_lo, 28, v62
	v_add_nc_u32_e32 v4, v4, v5
	s_wait_alu 0xfffd
	v_cndmask_b32_e64 v7, 0, 4, vcc_lo
	v_cmp_le_u32_e32 vcc_lo, v14, v2
	ds_bpermute_b32 v5, v13, v4
	v_add_lshl_u32 v15, v7, v62, 2
	s_wait_dscnt 0x0
	s_wait_alu 0xfffd
	v_cndmask_b32_e32 v5, 0, v5, vcc_lo
	v_cmp_gt_u32_e32 vcc_lo, 24, v62
	s_delay_alu instid0(VALU_DEP_2)
	v_add_nc_u32_e32 v4, v4, v5
	s_wait_alu 0xfffd
	v_cndmask_b32_e64 v7, 0, 8, vcc_lo
	v_cmp_le_u32_e32 vcc_lo, v16, v2
	ds_bpermute_b32 v5, v15, v4
	v_add_lshl_u32 v17, v7, v62, 2
	s_wait_dscnt 0x0
	s_wait_alu 0xfffd
	v_cndmask_b32_e32 v5, 0, v5, vcc_lo
	v_cmp_le_u32_e32 vcc_lo, v65, v2
	s_delay_alu instid0(VALU_DEP_2)
	v_add_nc_u32_e32 v4, v4, v5
	ds_bpermute_b32 v5, v17, v4
	s_wait_dscnt 0x0
	s_wait_alu 0xfffd
	v_cndmask_b32_e32 v5, 0, v5, vcc_lo
	v_cmp_le_u32_e32 vcc_lo, v67, v2
	s_delay_alu instid0(VALU_DEP_2) | instskip(SKIP_4) | instid1(VALU_DEP_1)
	v_add_nc_u32_e32 v4, v4, v5
	ds_bpermute_b32 v5, v66, v4
	s_wait_dscnt 0x0
	s_wait_alu 0xfffd
	v_cndmask_b32_e32 v2, 0, v5, vcc_lo
	v_dual_mov_b32 v4, 0 :: v_dual_add_nc_u32 v5, v4, v2
	s_branch .LBB987_51
.LBB987_48:                             ;   in Loop: Header=BB987_51 Depth=1
	s_or_b32 exec_lo, exec_lo, s24
.LBB987_49:                             ;   in Loop: Header=BB987_51 Depth=1
	s_delay_alu instid0(SALU_CYCLE_1) | instskip(SKIP_4) | instid1(VALU_DEP_2)
	s_or_b32 exec_lo, exec_lo, s17
	ds_bpermute_b32 v8, v11, v5
	v_and_b32_e32 v7, 0xff, v6
	v_subrev_nc_u32_e32 v3, 32, v3
	s_mov_b32 s17, 0
	v_cmp_eq_u16_e32 vcc_lo, 2, v7
	s_wait_alu 0xfffd
	v_and_or_b32 v7, vcc_lo, v12, 0x80000000
	s_delay_alu instid0(VALU_DEP_1) | instskip(NEXT) | instid1(VALU_DEP_1)
	v_ctz_i32_b32_e32 v7, v7
	v_cmp_lt_u32_e32 vcc_lo, v62, v7
	s_wait_dscnt 0x0
	s_wait_alu 0xfffd
	v_cndmask_b32_e32 v8, 0, v8, vcc_lo
	v_cmp_le_u32_e32 vcc_lo, v14, v7
	s_delay_alu instid0(VALU_DEP_2)
	v_add_nc_u32_e32 v5, v8, v5
	ds_bpermute_b32 v8, v13, v5
	s_wait_dscnt 0x0
	s_wait_alu 0xfffd
	v_cndmask_b32_e32 v8, 0, v8, vcc_lo
	v_cmp_le_u32_e32 vcc_lo, v16, v7
	s_delay_alu instid0(VALU_DEP_2)
	v_add_nc_u32_e32 v5, v5, v8
	ds_bpermute_b32 v8, v15, v5
	;; [unrolled: 7-line block ×3, first 2 shown]
	s_wait_dscnt 0x0
	s_wait_alu 0xfffd
	v_cndmask_b32_e32 v8, 0, v8, vcc_lo
	v_cmp_le_u32_e32 vcc_lo, v67, v7
	s_delay_alu instid0(VALU_DEP_2) | instskip(SKIP_4) | instid1(VALU_DEP_1)
	v_add_nc_u32_e32 v5, v5, v8
	ds_bpermute_b32 v8, v66, v5
	s_wait_dscnt 0x0
	s_wait_alu 0xfffd
	v_cndmask_b32_e32 v7, 0, v8, vcc_lo
	v_add3_u32 v5, v7, v2, v5
.LBB987_50:                             ;   in Loop: Header=BB987_51 Depth=1
	s_and_b32 vcc_lo, exec_lo, s17
	s_wait_alu 0xfffe
	s_cbranch_vccnz .LBB987_56
.LBB987_51:                             ; =>This Loop Header: Depth=1
                                        ;     Child Loop BB987_54 Depth 2
	v_and_b32_e32 v2, 0xff, v6
	s_mov_b32 s17, -1
                                        ; implicit-def: $vgpr6
	s_delay_alu instid0(VALU_DEP_1)
	v_cmp_ne_u16_e32 vcc_lo, 2, v2
	v_mov_b32_e32 v2, v5
                                        ; implicit-def: $vgpr5
	s_cmp_lg_u32 vcc_lo, exec_lo
	s_cbranch_scc1 .LBB987_50
; %bb.52:                               ;   in Loop: Header=BB987_51 Depth=1
	v_lshlrev_b64_e32 v[5:6], 3, v[3:4]
	s_mov_b32 s17, exec_lo
	s_delay_alu instid0(VALU_DEP_1) | instskip(SKIP_1) | instid1(VALU_DEP_2)
	v_add_co_u32 v7, vcc_lo, s20, v5
	s_wait_alu 0xfffd
	v_add_co_ci_u32_e64 v8, null, s21, v6, vcc_lo
	global_load_b64 v[5:6], v[7:8], off scope:SCOPE_DEV
	s_wait_loadcnt 0x0
	v_and_b32_e32 v68, 0xff, v6
	s_delay_alu instid0(VALU_DEP_1)
	v_cmpx_eq_u16_e32 0, v68
	s_cbranch_execz .LBB987_49
; %bb.53:                               ;   in Loop: Header=BB987_51 Depth=1
	s_mov_b32 s24, 0
.LBB987_54:                             ;   Parent Loop BB987_51 Depth=1
                                        ; =>  This Inner Loop Header: Depth=2
	global_load_b64 v[5:6], v[7:8], off scope:SCOPE_DEV
	s_wait_loadcnt 0x0
	v_and_b32_e32 v68, 0xff, v6
	s_delay_alu instid0(VALU_DEP_1) | instskip(SKIP_1) | instid1(SALU_CYCLE_1)
	v_cmp_ne_u16_e32 vcc_lo, 0, v68
	s_or_b32 s24, vcc_lo, s24
	s_and_not1_b32 exec_lo, exec_lo, s24
	s_cbranch_execnz .LBB987_54
	s_branch .LBB987_48
.LBB987_55:
                                        ; implicit-def: $vgpr17
                                        ; implicit-def: $vgpr1_vgpr2_vgpr3_vgpr4_vgpr5_vgpr6_vgpr7_vgpr8_vgpr9_vgpr10_vgpr11_vgpr12_vgpr13_vgpr14_vgpr15_vgpr16
	s_wait_alu 0xfffe
	s_and_b32 vcc_lo, exec_lo, s6
	s_wait_alu 0xfffe
	s_cbranch_vccnz .LBB987_61
	s_branch .LBB987_70
.LBB987_56:
	s_and_saveexec_b32 s17, s6
	s_cbranch_execz .LBB987_58
; %bb.57:
	s_add_co_i32 s24, ttmp9, 32
	s_mov_b32 s25, 0
	v_dual_mov_b32 v4, 2 :: v_dual_add_nc_u32 v3, v2, v1
	v_mov_b32_e32 v5, 0
	s_lshl_b64 s[24:25], s[24:25], 3
	s_delay_alu instid0(SALU_CYCLE_1)
	s_add_nc_u64 s[24:25], s[20:21], s[24:25]
	global_store_b64 v5, v[3:4], s[24:25] scope:SCOPE_DEV
	ds_store_b64 v5, v[1:2] offset:13312
.LBB987_58:
	s_or_b32 exec_lo, exec_lo, s17
	v_cmp_eq_u32_e32 vcc_lo, 0, v0
	s_and_b32 exec_lo, exec_lo, vcc_lo
; %bb.59:
	v_mov_b32_e32 v1, 0
	ds_store_b32 v1, v2 offset:28
.LBB987_60:
	s_wait_alu 0xfffe
	s_or_b32 exec_lo, exec_lo, s7
	s_wait_dscnt 0x0
	v_cndmask_b32_e64 v2, v10, v9, s6
	v_cmp_ne_u32_e32 vcc_lo, 0, v0
	v_mov_b32_e32 v11, 0
	s_wait_loadcnt 0x0
	s_wait_storecnt 0x0
	s_barrier_signal -1
	s_barrier_wait -1
	global_inv scope:SCOPE_SE
	s_wait_alu 0xfffd
	v_cndmask_b32_e32 v2, 0, v2, vcc_lo
	ds_load_b32 v1, v11 offset:28
	s_wait_loadcnt_dscnt 0x0
	s_barrier_signal -1
	s_barrier_wait -1
	global_inv scope:SCOPE_SE
	ds_load_b64 v[16:17], v11 offset:13312
	v_add_nc_u32_e32 v1, v1, v2
	s_delay_alu instid0(VALU_DEP_1) | instskip(NEXT) | instid1(VALU_DEP_1)
	v_add_nc_u32_e32 v2, v1, v53
	v_add_nc_u32_e32 v3, v2, v54
	s_delay_alu instid0(VALU_DEP_1) | instskip(NEXT) | instid1(VALU_DEP_1)
	v_add_nc_u32_e32 v4, v3, v55
	;; [unrolled: 3-line block ×6, first 2 shown]
	v_add_nc_u32_e32 v13, v12, v48
	s_branch .LBB987_70
.LBB987_61:
	v_mov_b32_dpp v1, v64 row_shr:1 row_mask:0xf bank_mask:0xf
	s_delay_alu instid0(VALU_DEP_1) | instskip(NEXT) | instid1(VALU_DEP_1)
	v_cndmask_b32_e64 v1, v1, 0, s5
	v_add_nc_u32_e32 v1, v1, v64
	s_delay_alu instid0(VALU_DEP_1) | instskip(NEXT) | instid1(VALU_DEP_1)
	v_mov_b32_dpp v2, v1 row_shr:2 row_mask:0xf bank_mask:0xf
	v_cndmask_b32_e64 v2, 0, v2, s4
	s_delay_alu instid0(VALU_DEP_1) | instskip(NEXT) | instid1(VALU_DEP_1)
	v_add_nc_u32_e32 v1, v1, v2
	v_mov_b32_dpp v2, v1 row_shr:4 row_mask:0xf bank_mask:0xf
	s_delay_alu instid0(VALU_DEP_1) | instskip(NEXT) | instid1(VALU_DEP_1)
	v_cndmask_b32_e64 v2, 0, v2, s3
	v_add_nc_u32_e32 v1, v1, v2
	s_delay_alu instid0(VALU_DEP_1) | instskip(NEXT) | instid1(VALU_DEP_1)
	v_mov_b32_dpp v2, v1 row_shr:8 row_mask:0xf bank_mask:0xf
	v_cndmask_b32_e64 v2, 0, v2, s2
	s_delay_alu instid0(VALU_DEP_1) | instskip(SKIP_3) | instid1(VALU_DEP_1)
	v_add_nc_u32_e32 v1, v1, v2
	ds_swizzle_b32 v2, v1 offset:swizzle(BROADCAST,32,15)
	s_wait_dscnt 0x0
	v_cndmask_b32_e64 v2, v2, 0, s1
	v_add_nc_u32_e32 v1, v1, v2
	s_and_saveexec_b32 s1, s0
; %bb.62:
	v_lshlrev_b32_e32 v2, 2, v63
	ds_store_b32 v2, v1
; %bb.63:
	s_wait_alu 0xfffe
	s_or_b32 exec_lo, exec_lo, s1
	s_delay_alu instid0(SALU_CYCLE_1)
	s_mov_b32 s0, exec_lo
	s_wait_loadcnt_dscnt 0x0
	s_barrier_signal -1
	s_barrier_wait -1
	global_inv scope:SCOPE_SE
	v_cmpx_gt_u32_e32 8, v0
	s_cbranch_execz .LBB987_65
; %bb.64:
	ds_load_b32 v2, v42
	s_wait_dscnt 0x0
	v_mov_b32_dpp v4, v2 row_shr:1 row_mask:0xf bank_mask:0xf
	v_and_b32_e32 v3, 7, v62
	s_delay_alu instid0(VALU_DEP_1) | instskip(SKIP_1) | instid1(VALU_DEP_3)
	v_cmp_ne_u32_e32 vcc_lo, 0, v3
	s_wait_alu 0xfffd
	v_cndmask_b32_e32 v4, 0, v4, vcc_lo
	v_cmp_lt_u32_e32 vcc_lo, 1, v3
	s_delay_alu instid0(VALU_DEP_2) | instskip(NEXT) | instid1(VALU_DEP_1)
	v_add_nc_u32_e32 v2, v4, v2
	v_mov_b32_dpp v4, v2 row_shr:2 row_mask:0xf bank_mask:0xf
	s_wait_alu 0xfffd
	s_delay_alu instid0(VALU_DEP_1) | instskip(SKIP_1) | instid1(VALU_DEP_2)
	v_cndmask_b32_e32 v4, 0, v4, vcc_lo
	v_cmp_lt_u32_e32 vcc_lo, 3, v3
	v_add_nc_u32_e32 v2, v2, v4
	s_delay_alu instid0(VALU_DEP_1) | instskip(SKIP_1) | instid1(VALU_DEP_1)
	v_mov_b32_dpp v4, v2 row_shr:4 row_mask:0xf bank_mask:0xf
	s_wait_alu 0xfffd
	v_cndmask_b32_e32 v3, 0, v4, vcc_lo
	s_delay_alu instid0(VALU_DEP_1)
	v_add_nc_u32_e32 v2, v2, v3
	ds_store_b32 v42, v2
.LBB987_65:
	s_wait_alu 0xfffe
	s_or_b32 exec_lo, exec_lo, s0
	v_dual_mov_b32 v3, 0 :: v_dual_mov_b32 v2, 0
	s_mov_b32 s0, exec_lo
	s_wait_loadcnt_dscnt 0x0
	s_barrier_signal -1
	s_barrier_wait -1
	global_inv scope:SCOPE_SE
	v_cmpx_lt_u32_e32 31, v0
; %bb.66:
	v_lshl_add_u32 v2, v63, 2, -4
	ds_load_b32 v2, v2
; %bb.67:
	s_wait_alu 0xfffe
	s_or_b32 exec_lo, exec_lo, s0
	v_sub_co_u32 v4, vcc_lo, v62, 1
	s_wait_dscnt 0x0
	v_add_nc_u32_e32 v1, v2, v1
	ds_load_b32 v16, v3 offset:28
	v_cmp_gt_i32_e64 s0, 0, v4
	s_wait_alu 0xf1ff
	s_delay_alu instid0(VALU_DEP_1) | instskip(SKIP_1) | instid1(VALU_DEP_2)
	v_cndmask_b32_e64 v4, v4, v62, s0
	v_cmp_eq_u32_e64 s0, 0, v0
	v_lshlrev_b32_e32 v4, 2, v4
	ds_bpermute_b32 v1, v4, v1
	s_and_saveexec_b32 s1, s0
	s_cbranch_execz .LBB987_69
; %bb.68:
	v_mov_b32_e32 v3, 0
	v_mov_b32_e32 v17, 2
	s_wait_dscnt 0x1
	s_wait_kmcnt 0x0
	global_store_b64 v3, v[16:17], s[20:21] offset:256 scope:SCOPE_DEV
.LBB987_69:
	s_wait_alu 0xfffe
	s_or_b32 exec_lo, exec_lo, s1
	s_wait_dscnt 0x0
	s_wait_alu 0xfffd
	v_cndmask_b32_e32 v1, v1, v2, vcc_lo
	s_wait_loadcnt 0x0
	s_wait_storecnt 0x0
	s_barrier_signal -1
	s_barrier_wait -1
	global_inv scope:SCOPE_SE
	v_cndmask_b32_e64 v1, v1, 0, s0
	s_delay_alu instid0(VALU_DEP_1) | instskip(NEXT) | instid1(VALU_DEP_1)
	v_dual_mov_b32 v17, 0 :: v_dual_add_nc_u32 v2, v1, v53
	v_add_nc_u32_e32 v3, v2, v54
	s_delay_alu instid0(VALU_DEP_1) | instskip(NEXT) | instid1(VALU_DEP_1)
	v_add_nc_u32_e32 v4, v3, v55
	v_add_nc_u32_e32 v5, v4, v52
	s_delay_alu instid0(VALU_DEP_1) | instskip(NEXT) | instid1(VALU_DEP_1)
	v_add_nc_u32_e32 v6, v5, v56
	;; [unrolled: 3-line block ×5, first 2 shown]
	v_add_nc_u32_e32 v13, v12, v48
.LBB987_70:
	v_lshrrev_b32_e32 v56, 8, v51
	v_lshrrev_b32_e32 v55, 16, v51
	s_wait_dscnt 0x0
	v_sub_nc_u32_e32 v1, v1, v17
	v_and_b32_e32 v51, 1, v51
	v_sub_nc_u32_e32 v3, v3, v17
	v_add_nc_u32_e32 v45, v16, v45
	v_sub_nc_u32_e32 v2, v2, v17
	v_sub_nc_u32_e32 v4, v4, v17
	v_cmp_eq_u32_e32 vcc_lo, 1, v51
	v_and_b32_e32 v51, 1, v55
	v_sub_nc_u32_e32 v57, v45, v1
	v_and_b32_e32 v56, 1, v56
	v_sub_nc_u32_e32 v55, v45, v2
	v_lshrrev_b32_e32 v54, 8, v49
	v_lshrrev_b32_e32 v53, 16, v49
	s_wait_alu 0xfffd
	v_cndmask_b32_e32 v1, v57, v1, vcc_lo
	v_sub_nc_u32_e32 v57, v45, v3
	v_add_nc_u32_e32 v55, 1, v55
	v_cmp_eq_u32_e32 vcc_lo, 1, v56
	v_and_b32_e32 v52, 1, v52
	v_lshlrev_b32_e32 v1, 2, v1
	v_add_nc_u32_e32 v57, 2, v57
	v_lshrrev_b32_e32 v15, 8, v47
	v_lshrrev_b32_e32 v14, 16, v47
	ds_store_b32 v1, v28
	s_wait_alu 0xfffd
	v_cndmask_b32_e32 v1, v55, v2, vcc_lo
	v_cmp_eq_u32_e32 vcc_lo, 1, v51
	s_wait_alu 0xfffd
	s_delay_alu instid0(VALU_DEP_2)
	v_dual_cndmask_b32 v2, v57, v3 :: v_dual_lshlrev_b32 v1, 2, v1
	v_sub_nc_u32_e32 v58, v45, v4
	v_cmp_eq_u32_e32 vcc_lo, 1, v52
	ds_store_b32 v1, v29
	v_lshlrev_b32_e32 v2, 2, v2
	v_add_nc_u32_e32 v58, 3, v58
	s_wait_alu 0xfffd
	s_delay_alu instid0(VALU_DEP_1) | instskip(SKIP_2) | instid1(VALU_DEP_3)
	v_cndmask_b32_e32 v3, v58, v4, vcc_lo
	v_sub_nc_u32_e32 v4, v5, v17
	v_sub_nc_u32_e32 v5, v6, v17
	v_lshlrev_b32_e32 v3, 2, v3
	s_delay_alu instid0(VALU_DEP_3) | instskip(NEXT) | instid1(VALU_DEP_3)
	v_sub_nc_u32_e32 v1, v45, v4
	v_sub_nc_u32_e32 v6, v45, v5
	ds_store_b32 v2, v26
	ds_store_b32 v3, v27
	v_and_b32_e32 v2, 1, v49
	v_add_nc_u32_e32 v1, 4, v1
	v_add_nc_u32_e32 v3, 5, v6
	v_sub_nc_u32_e32 v6, v7, v17
	v_and_b32_e32 v7, 1, v54
	v_cmp_eq_u32_e32 vcc_lo, 1, v2
	v_sub_nc_u32_e32 v2, v8, v17
	s_wait_alu 0xfffd
	v_dual_cndmask_b32 v1, v1, v4 :: v_dual_and_b32 v8, 1, v50
	v_sub_nc_u32_e32 v4, v45, v6
	v_cmp_eq_u32_e32 vcc_lo, 1, v7
	v_and_b32_e32 v7, 1, v53
	s_delay_alu instid0(VALU_DEP_4)
	v_lshlrev_b32_e32 v1, 2, v1
	s_wait_alu 0xfffd
	v_dual_cndmask_b32 v3, v3, v5 :: v_dual_add_nc_u32 v4, 6, v4
	v_sub_nc_u32_e32 v5, v45, v2
	v_cmp_eq_u32_e32 vcc_lo, 1, v7
	v_sub_nc_u32_e32 v7, v13, v17
	s_delay_alu instid0(VALU_DEP_4)
	v_lshlrev_b32_e32 v3, 2, v3
	s_wait_alu 0xfffd
	v_dual_cndmask_b32 v4, v4, v6 :: v_dual_add_nc_u32 v5, 7, v5
	v_cmp_eq_u32_e32 vcc_lo, 1, v8
	v_sub_nc_u32_e32 v6, v9, v17
	ds_store_b32 v1, v24
	ds_store_b32 v3, v25
	s_wait_alu 0xfffd
	v_dual_cndmask_b32 v2, v5, v2 :: v_dual_lshlrev_b32 v3, 2, v4
	v_and_b32_e32 v5, 1, v47
	v_sub_nc_u32_e32 v1, v45, v6
	v_sub_nc_u32_e32 v4, v10, v17
	v_and_b32_e32 v10, 1, v48
	s_delay_alu instid0(VALU_DEP_4) | instskip(SKIP_2) | instid1(VALU_DEP_2)
	v_cmp_eq_u32_e32 vcc_lo, 1, v5
	v_sub_nc_u32_e32 v5, v12, v17
	v_add_nc_u32_e32 v1, 8, v1
	v_sub_nc_u32_e32 v9, v45, v5
	s_wait_alu 0xfffd
	s_delay_alu instid0(VALU_DEP_2)
	v_dual_cndmask_b32 v1, v1, v6 :: v_dual_and_b32 v6, 1, v15
	s_wait_kmcnt 0x0
	v_add_co_u32 v15, s0, s18, v17
	v_add_nc_u32_e32 v9, 11, v9
	v_lshlrev_b32_e32 v2, 2, v2
	ds_store_b32 v3, v22
	ds_store_b32 v2, v23
	v_sub_nc_u32_e32 v3, v11, v17
	v_sub_nc_u32_e32 v2, v45, v4
	v_cmp_eq_u32_e32 vcc_lo, 1, v6
	v_and_b32_e32 v11, 1, v46
	v_lshlrev_b32_e32 v1, 2, v1
	v_sub_nc_u32_e32 v8, v45, v3
	v_add_nc_u32_e32 v2, 9, v2
	s_wait_alu 0xf1ff
	v_add_co_ci_u32_e64 v17, null, s19, 0, s0
	s_delay_alu instid0(VALU_DEP_3) | instskip(SKIP_4) | instid1(VALU_DEP_3)
	v_add_nc_u32_e32 v6, 10, v8
	v_and_b32_e32 v8, 1, v14
	s_wait_alu 0xfffd
	v_cndmask_b32_e32 v2, v2, v4, vcc_lo
	v_sub_nc_u32_e32 v4, v45, v7
	v_cmp_eq_u32_e32 vcc_lo, 1, v8
	s_delay_alu instid0(VALU_DEP_3) | instskip(SKIP_1) | instid1(VALU_DEP_3)
	v_lshlrev_b32_e32 v2, 2, v2
	s_wait_alu 0xfffd
	v_dual_cndmask_b32 v3, v6, v3 :: v_dual_add_nc_u32 v4, 12, v4
	v_cmp_eq_u32_e32 vcc_lo, 1, v10
	s_delay_alu instid0(VALU_DEP_2) | instskip(SKIP_4) | instid1(VALU_DEP_2)
	v_lshlrev_b32_e32 v3, 2, v3
	s_wait_alu 0xfffd
	v_cndmask_b32_e32 v5, v9, v5, vcc_lo
	v_cmp_eq_u32_e32 vcc_lo, 1, v11
	s_wait_alu 0xfffd
	v_dual_cndmask_b32 v4, v4, v7 :: v_dual_lshlrev_b32 v5, 2, v5
	v_cmp_ne_u32_e32 vcc_lo, 1, v43
	s_delay_alu instid0(VALU_DEP_2)
	v_lshlrev_b32_e32 v4, 2, v4
	ds_store_b32 v1, v20
	ds_store_b32 v2, v21
	;; [unrolled: 1-line block ×5, first 2 shown]
	s_wait_loadcnt_dscnt 0x0
	s_barrier_signal -1
	s_barrier_wait -1
	global_inv scope:SCOPE_SE
	ds_load_2addr_stride64_b32 v[11:12], v42 offset1:4
	ds_load_2addr_stride64_b32 v[9:10], v42 offset0:8 offset1:12
	ds_load_2addr_stride64_b32 v[7:8], v42 offset0:16 offset1:20
	;; [unrolled: 1-line block ×5, first 2 shown]
	ds_load_b32 v18, v42 offset:12288
	s_cbranch_vccnz .LBB987_124
; %bb.71:
	s_mov_b32 s17, 0
	v_sub_co_u32 v13, vcc_lo, v15, s12
	s_sub_nc_u64 s[0:1], s[14:15], s[16:17]
	s_wait_alu 0xfffd
	v_subrev_co_ci_u32_e64 v14, null, s13, v17, vcc_lo
	s_wait_alu 0xfffe
	v_add_co_u32 v19, s0, s0, v16
	s_wait_alu 0xf1ff
	v_add_co_ci_u32_e64 v20, null, s1, 0, s0
	s_mov_b32 s0, exec_lo
	v_add_co_u32 v19, vcc_lo, v19, v13
	s_wait_alu 0xfffd
	v_add_co_ci_u32_e64 v20, null, v20, v14, vcc_lo
                                        ; implicit-def: $vgpr13_vgpr14
	v_cmpx_ge_u32_e64 v0, v16
	s_wait_alu 0xfffe
	s_xor_b32 s0, exec_lo, s0
; %bb.72:
	v_not_b32_e32 v13, v0
	s_delay_alu instid0(VALU_DEP_1) | instskip(SKIP_2) | instid1(VALU_DEP_2)
	v_ashrrev_i32_e32 v14, 31, v13
	v_add_co_u32 v13, vcc_lo, v19, v13
	s_wait_alu 0xfffd
	v_add_co_ci_u32_e64 v14, null, v20, v14, vcc_lo
; %bb.73:
	s_wait_alu 0xfffe
	s_and_not1_saveexec_b32 s0, s0
; %bb.74:
	v_add_co_u32 v13, vcc_lo, v15, v0
	s_wait_alu 0xfffd
	v_add_co_ci_u32_e64 v14, null, 0, v17, vcc_lo
; %bb.75:
	s_wait_alu 0xfffe
	s_or_b32 exec_lo, exec_lo, s0
	s_delay_alu instid0(VALU_DEP_1) | instskip(SKIP_1) | instid1(VALU_DEP_1)
	v_lshlrev_b64_e32 v[13:14], 2, v[13:14]
	s_mov_b32 s0, exec_lo
	v_add_co_u32 v13, vcc_lo, s10, v13
	s_wait_alu 0xfffd
	s_delay_alu instid0(VALU_DEP_2)
	v_add_co_ci_u32_e64 v14, null, s11, v14, vcc_lo
	s_wait_dscnt 0x6
	global_store_b32 v[13:14], v11, off
                                        ; implicit-def: $vgpr13_vgpr14
	v_cmpx_ge_u32_e64 v41, v16
	s_wait_alu 0xfffe
	s_xor_b32 s0, exec_lo, s0
; %bb.76:
	v_xor_b32_e32 v13, 0xfffffeff, v0
	s_delay_alu instid0(VALU_DEP_1) | instskip(SKIP_2) | instid1(VALU_DEP_2)
	v_ashrrev_i32_e32 v14, 31, v13
	v_add_co_u32 v13, vcc_lo, v19, v13
	s_wait_alu 0xfffd
	v_add_co_ci_u32_e64 v14, null, v20, v14, vcc_lo
; %bb.77:
	s_wait_alu 0xfffe
	s_and_not1_saveexec_b32 s0, s0
; %bb.78:
	v_add_co_u32 v13, vcc_lo, v15, v41
	s_wait_alu 0xfffd
	v_add_co_ci_u32_e64 v14, null, 0, v17, vcc_lo
; %bb.79:
	s_wait_alu 0xfffe
	s_or_b32 exec_lo, exec_lo, s0
	s_delay_alu instid0(VALU_DEP_1) | instskip(SKIP_1) | instid1(VALU_DEP_1)
	v_lshlrev_b64_e32 v[13:14], 2, v[13:14]
	s_mov_b32 s0, exec_lo
	v_add_co_u32 v13, vcc_lo, s10, v13
	s_wait_alu 0xfffd
	s_delay_alu instid0(VALU_DEP_2)
	v_add_co_ci_u32_e64 v14, null, s11, v14, vcc_lo
	global_store_b32 v[13:14], v12, off
                                        ; implicit-def: $vgpr13_vgpr14
	v_cmpx_ge_u32_e64 v40, v16
	s_wait_alu 0xfffe
	s_xor_b32 s0, exec_lo, s0
; %bb.80:
	v_xor_b32_e32 v13, 0xfffffdff, v0
	s_delay_alu instid0(VALU_DEP_1) | instskip(SKIP_2) | instid1(VALU_DEP_2)
	v_ashrrev_i32_e32 v14, 31, v13
	v_add_co_u32 v13, vcc_lo, v19, v13
	s_wait_alu 0xfffd
	v_add_co_ci_u32_e64 v14, null, v20, v14, vcc_lo
; %bb.81:
	s_wait_alu 0xfffe
	s_and_not1_saveexec_b32 s0, s0
; %bb.82:
	v_add_co_u32 v13, vcc_lo, v15, v40
	s_wait_alu 0xfffd
	v_add_co_ci_u32_e64 v14, null, 0, v17, vcc_lo
; %bb.83:
	s_wait_alu 0xfffe
	s_or_b32 exec_lo, exec_lo, s0
	s_delay_alu instid0(VALU_DEP_1) | instskip(SKIP_1) | instid1(VALU_DEP_1)
	v_lshlrev_b64_e32 v[13:14], 2, v[13:14]
	s_mov_b32 s0, exec_lo
	v_add_co_u32 v13, vcc_lo, s10, v13
	s_wait_alu 0xfffd
	s_delay_alu instid0(VALU_DEP_2)
	v_add_co_ci_u32_e64 v14, null, s11, v14, vcc_lo
	s_wait_dscnt 0x5
	global_store_b32 v[13:14], v9, off
                                        ; implicit-def: $vgpr13_vgpr14
	v_cmpx_ge_u32_e64 v39, v16
	s_wait_alu 0xfffe
	s_xor_b32 s0, exec_lo, s0
; %bb.84:
	v_xor_b32_e32 v13, 0xfffffcff, v0
	s_delay_alu instid0(VALU_DEP_1) | instskip(SKIP_2) | instid1(VALU_DEP_2)
	v_ashrrev_i32_e32 v14, 31, v13
	v_add_co_u32 v13, vcc_lo, v19, v13
	s_wait_alu 0xfffd
	v_add_co_ci_u32_e64 v14, null, v20, v14, vcc_lo
; %bb.85:
	s_wait_alu 0xfffe
	s_and_not1_saveexec_b32 s0, s0
; %bb.86:
	v_add_co_u32 v13, vcc_lo, v15, v39
	s_wait_alu 0xfffd
	v_add_co_ci_u32_e64 v14, null, 0, v17, vcc_lo
; %bb.87:
	s_wait_alu 0xfffe
	s_or_b32 exec_lo, exec_lo, s0
	s_delay_alu instid0(VALU_DEP_1) | instskip(SKIP_1) | instid1(VALU_DEP_1)
	v_lshlrev_b64_e32 v[13:14], 2, v[13:14]
	s_mov_b32 s0, exec_lo
	v_add_co_u32 v13, vcc_lo, s10, v13
	s_wait_alu 0xfffd
	s_delay_alu instid0(VALU_DEP_2)
	v_add_co_ci_u32_e64 v14, null, s11, v14, vcc_lo
	global_store_b32 v[13:14], v10, off
                                        ; implicit-def: $vgpr13_vgpr14
	v_cmpx_ge_u32_e64 v38, v16
	s_wait_alu 0xfffe
	s_xor_b32 s0, exec_lo, s0
; %bb.88:
	v_xor_b32_e32 v13, 0xfffffbff, v0
	s_delay_alu instid0(VALU_DEP_1) | instskip(SKIP_2) | instid1(VALU_DEP_2)
	v_ashrrev_i32_e32 v14, 31, v13
	v_add_co_u32 v13, vcc_lo, v19, v13
	s_wait_alu 0xfffd
	v_add_co_ci_u32_e64 v14, null, v20, v14, vcc_lo
; %bb.89:
	s_wait_alu 0xfffe
	s_and_not1_saveexec_b32 s0, s0
; %bb.90:
	v_add_co_u32 v13, vcc_lo, v15, v38
	s_wait_alu 0xfffd
	v_add_co_ci_u32_e64 v14, null, 0, v17, vcc_lo
; %bb.91:
	s_wait_alu 0xfffe
	s_or_b32 exec_lo, exec_lo, s0
	s_delay_alu instid0(VALU_DEP_1) | instskip(SKIP_1) | instid1(VALU_DEP_1)
	v_lshlrev_b64_e32 v[13:14], 2, v[13:14]
	s_mov_b32 s0, exec_lo
	v_add_co_u32 v13, vcc_lo, s10, v13
	s_wait_alu 0xfffd
	s_delay_alu instid0(VALU_DEP_2)
	v_add_co_ci_u32_e64 v14, null, s11, v14, vcc_lo
	s_wait_dscnt 0x4
	global_store_b32 v[13:14], v7, off
                                        ; implicit-def: $vgpr13_vgpr14
	v_cmpx_ge_u32_e64 v37, v16
	s_wait_alu 0xfffe
	s_xor_b32 s0, exec_lo, s0
; %bb.92:
	v_xor_b32_e32 v13, 0xfffffaff, v0
	s_delay_alu instid0(VALU_DEP_1) | instskip(SKIP_2) | instid1(VALU_DEP_2)
	v_ashrrev_i32_e32 v14, 31, v13
	v_add_co_u32 v13, vcc_lo, v19, v13
	s_wait_alu 0xfffd
	v_add_co_ci_u32_e64 v14, null, v20, v14, vcc_lo
; %bb.93:
	s_wait_alu 0xfffe
	s_and_not1_saveexec_b32 s0, s0
; %bb.94:
	v_add_co_u32 v13, vcc_lo, v15, v37
	s_wait_alu 0xfffd
	v_add_co_ci_u32_e64 v14, null, 0, v17, vcc_lo
; %bb.95:
	s_wait_alu 0xfffe
	s_or_b32 exec_lo, exec_lo, s0
	s_delay_alu instid0(VALU_DEP_1) | instskip(SKIP_1) | instid1(VALU_DEP_1)
	v_lshlrev_b64_e32 v[13:14], 2, v[13:14]
	s_mov_b32 s0, exec_lo
	v_add_co_u32 v13, vcc_lo, s10, v13
	s_wait_alu 0xfffd
	s_delay_alu instid0(VALU_DEP_2)
	v_add_co_ci_u32_e64 v14, null, s11, v14, vcc_lo
	global_store_b32 v[13:14], v8, off
                                        ; implicit-def: $vgpr13_vgpr14
	v_cmpx_ge_u32_e64 v36, v16
	s_wait_alu 0xfffe
	s_xor_b32 s0, exec_lo, s0
; %bb.96:
	v_xor_b32_e32 v13, 0xfffff9ff, v0
	s_delay_alu instid0(VALU_DEP_1) | instskip(SKIP_2) | instid1(VALU_DEP_2)
	v_ashrrev_i32_e32 v14, 31, v13
	v_add_co_u32 v13, vcc_lo, v19, v13
	s_wait_alu 0xfffd
	v_add_co_ci_u32_e64 v14, null, v20, v14, vcc_lo
; %bb.97:
	s_wait_alu 0xfffe
	s_and_not1_saveexec_b32 s0, s0
; %bb.98:
	v_add_co_u32 v13, vcc_lo, v15, v36
	s_wait_alu 0xfffd
	v_add_co_ci_u32_e64 v14, null, 0, v17, vcc_lo
; %bb.99:
	s_wait_alu 0xfffe
	s_or_b32 exec_lo, exec_lo, s0
	s_delay_alu instid0(VALU_DEP_1) | instskip(SKIP_1) | instid1(VALU_DEP_1)
	v_lshlrev_b64_e32 v[13:14], 2, v[13:14]
	s_mov_b32 s0, exec_lo
	v_add_co_u32 v13, vcc_lo, s10, v13
	s_wait_alu 0xfffd
	s_delay_alu instid0(VALU_DEP_2)
	v_add_co_ci_u32_e64 v14, null, s11, v14, vcc_lo
	s_wait_dscnt 0x3
	global_store_b32 v[13:14], v5, off
                                        ; implicit-def: $vgpr13_vgpr14
	v_cmpx_ge_u32_e64 v35, v16
	s_wait_alu 0xfffe
	s_xor_b32 s0, exec_lo, s0
; %bb.100:
	v_xor_b32_e32 v13, 0xfffff8ff, v0
	s_delay_alu instid0(VALU_DEP_1) | instskip(SKIP_2) | instid1(VALU_DEP_2)
	v_ashrrev_i32_e32 v14, 31, v13
	v_add_co_u32 v13, vcc_lo, v19, v13
	s_wait_alu 0xfffd
	v_add_co_ci_u32_e64 v14, null, v20, v14, vcc_lo
; %bb.101:
	s_wait_alu 0xfffe
	s_and_not1_saveexec_b32 s0, s0
; %bb.102:
	v_add_co_u32 v13, vcc_lo, v15, v35
	s_wait_alu 0xfffd
	v_add_co_ci_u32_e64 v14, null, 0, v17, vcc_lo
; %bb.103:
	s_wait_alu 0xfffe
	s_or_b32 exec_lo, exec_lo, s0
	s_delay_alu instid0(VALU_DEP_1) | instskip(SKIP_1) | instid1(VALU_DEP_1)
	v_lshlrev_b64_e32 v[13:14], 2, v[13:14]
	s_mov_b32 s0, exec_lo
	v_add_co_u32 v13, vcc_lo, s10, v13
	s_wait_alu 0xfffd
	s_delay_alu instid0(VALU_DEP_2)
	v_add_co_ci_u32_e64 v14, null, s11, v14, vcc_lo
	global_store_b32 v[13:14], v6, off
                                        ; implicit-def: $vgpr13_vgpr14
	v_cmpx_ge_u32_e64 v34, v16
	s_wait_alu 0xfffe
	s_xor_b32 s0, exec_lo, s0
; %bb.104:
	v_xor_b32_e32 v13, 0xfffff7ff, v0
	s_delay_alu instid0(VALU_DEP_1) | instskip(SKIP_2) | instid1(VALU_DEP_2)
	v_ashrrev_i32_e32 v14, 31, v13
	v_add_co_u32 v13, vcc_lo, v19, v13
	s_wait_alu 0xfffd
	v_add_co_ci_u32_e64 v14, null, v20, v14, vcc_lo
; %bb.105:
	s_wait_alu 0xfffe
	s_and_not1_saveexec_b32 s0, s0
; %bb.106:
	v_add_co_u32 v13, vcc_lo, v15, v34
	s_wait_alu 0xfffd
	v_add_co_ci_u32_e64 v14, null, 0, v17, vcc_lo
; %bb.107:
	s_wait_alu 0xfffe
	s_or_b32 exec_lo, exec_lo, s0
	s_delay_alu instid0(VALU_DEP_1) | instskip(SKIP_1) | instid1(VALU_DEP_1)
	v_lshlrev_b64_e32 v[13:14], 2, v[13:14]
	s_mov_b32 s0, exec_lo
	v_add_co_u32 v13, vcc_lo, s10, v13
	s_wait_alu 0xfffd
	s_delay_alu instid0(VALU_DEP_2)
	v_add_co_ci_u32_e64 v14, null, s11, v14, vcc_lo
	s_wait_dscnt 0x2
	global_store_b32 v[13:14], v3, off
                                        ; implicit-def: $vgpr13_vgpr14
	v_cmpx_ge_u32_e64 v33, v16
	s_wait_alu 0xfffe
	s_xor_b32 s0, exec_lo, s0
; %bb.108:
	v_xor_b32_e32 v13, 0xfffff6ff, v0
	s_delay_alu instid0(VALU_DEP_1) | instskip(SKIP_2) | instid1(VALU_DEP_2)
	v_ashrrev_i32_e32 v14, 31, v13
	v_add_co_u32 v13, vcc_lo, v19, v13
	s_wait_alu 0xfffd
	v_add_co_ci_u32_e64 v14, null, v20, v14, vcc_lo
; %bb.109:
	s_wait_alu 0xfffe
	s_and_not1_saveexec_b32 s0, s0
; %bb.110:
	v_add_co_u32 v13, vcc_lo, v15, v33
	s_wait_alu 0xfffd
	v_add_co_ci_u32_e64 v14, null, 0, v17, vcc_lo
; %bb.111:
	s_wait_alu 0xfffe
	s_or_b32 exec_lo, exec_lo, s0
	s_delay_alu instid0(VALU_DEP_1) | instskip(SKIP_1) | instid1(VALU_DEP_1)
	v_lshlrev_b64_e32 v[13:14], 2, v[13:14]
	s_mov_b32 s0, exec_lo
	v_add_co_u32 v13, vcc_lo, s10, v13
	s_wait_alu 0xfffd
	s_delay_alu instid0(VALU_DEP_2)
	v_add_co_ci_u32_e64 v14, null, s11, v14, vcc_lo
	global_store_b32 v[13:14], v4, off
                                        ; implicit-def: $vgpr13_vgpr14
	v_cmpx_ge_u32_e64 v32, v16
	s_wait_alu 0xfffe
	s_xor_b32 s0, exec_lo, s0
; %bb.112:
	v_xor_b32_e32 v13, 0xfffff5ff, v0
	s_delay_alu instid0(VALU_DEP_1) | instskip(SKIP_2) | instid1(VALU_DEP_2)
	v_ashrrev_i32_e32 v14, 31, v13
	v_add_co_u32 v13, vcc_lo, v19, v13
	s_wait_alu 0xfffd
	v_add_co_ci_u32_e64 v14, null, v20, v14, vcc_lo
; %bb.113:
	s_wait_alu 0xfffe
	s_and_not1_saveexec_b32 s0, s0
; %bb.114:
	v_add_co_u32 v13, vcc_lo, v15, v32
	s_wait_alu 0xfffd
	v_add_co_ci_u32_e64 v14, null, 0, v17, vcc_lo
; %bb.115:
	s_wait_alu 0xfffe
	s_or_b32 exec_lo, exec_lo, s0
	s_delay_alu instid0(VALU_DEP_1) | instskip(SKIP_1) | instid1(VALU_DEP_1)
	v_lshlrev_b64_e32 v[13:14], 2, v[13:14]
	s_mov_b32 s0, exec_lo
	v_add_co_u32 v13, vcc_lo, s10, v13
	s_wait_alu 0xfffd
	s_delay_alu instid0(VALU_DEP_2)
	v_add_co_ci_u32_e64 v14, null, s11, v14, vcc_lo
	s_wait_dscnt 0x1
	global_store_b32 v[13:14], v1, off
                                        ; implicit-def: $vgpr13_vgpr14
	v_cmpx_ge_u32_e64 v31, v16
	s_wait_alu 0xfffe
	s_xor_b32 s0, exec_lo, s0
; %bb.116:
	v_xor_b32_e32 v13, 0xfffff4ff, v0
	s_delay_alu instid0(VALU_DEP_1) | instskip(SKIP_2) | instid1(VALU_DEP_2)
	v_ashrrev_i32_e32 v14, 31, v13
	v_add_co_u32 v13, vcc_lo, v19, v13
	s_wait_alu 0xfffd
	v_add_co_ci_u32_e64 v14, null, v20, v14, vcc_lo
; %bb.117:
	s_wait_alu 0xfffe
	s_and_not1_saveexec_b32 s0, s0
; %bb.118:
	v_add_co_u32 v13, vcc_lo, v15, v31
	s_wait_alu 0xfffd
	v_add_co_ci_u32_e64 v14, null, 0, v17, vcc_lo
; %bb.119:
	s_wait_alu 0xfffe
	s_or_b32 exec_lo, exec_lo, s0
	s_delay_alu instid0(VALU_DEP_1) | instskip(SKIP_1) | instid1(VALU_DEP_1)
	v_lshlrev_b64_e32 v[13:14], 2, v[13:14]
	s_mov_b32 s0, exec_lo
	v_add_co_u32 v13, vcc_lo, s10, v13
	s_wait_alu 0xfffd
	s_delay_alu instid0(VALU_DEP_2)
	v_add_co_ci_u32_e64 v14, null, s11, v14, vcc_lo
	global_store_b32 v[13:14], v2, off
                                        ; implicit-def: $vgpr13_vgpr14
	v_cmpx_ge_u32_e64 v30, v16
	s_wait_alu 0xfffe
	s_xor_b32 s0, exec_lo, s0
; %bb.120:
	v_xor_b32_e32 v13, 0xfffff3ff, v0
	s_delay_alu instid0(VALU_DEP_1) | instskip(SKIP_2) | instid1(VALU_DEP_2)
	v_ashrrev_i32_e32 v14, 31, v13
	v_add_co_u32 v13, vcc_lo, v19, v13
	s_wait_alu 0xfffd
	v_add_co_ci_u32_e64 v14, null, v20, v14, vcc_lo
; %bb.121:
	s_wait_alu 0xfffe
	s_and_not1_saveexec_b32 s0, s0
; %bb.122:
	v_add_co_u32 v13, vcc_lo, v15, v30
	s_wait_alu 0xfffd
	v_add_co_ci_u32_e64 v14, null, 0, v17, vcc_lo
; %bb.123:
	s_wait_alu 0xfffe
	s_or_b32 exec_lo, exec_lo, s0
	s_mov_b32 s0, -1
	s_branch .LBB987_204
.LBB987_124:
	s_mov_b32 s0, 0
                                        ; implicit-def: $vgpr13_vgpr14
	s_cbranch_execz .LBB987_204
; %bb.125:
	s_mov_b32 s17, 0
	s_delay_alu instid0(SALU_CYCLE_1)
	s_add_nc_u64 s[2:3], s[12:13], s[16:17]
	s_wait_alu 0xfffe
	s_sub_nc_u64 s[2:3], s[14:15], s[2:3]
	s_wait_alu 0xfffe
	v_add_co_u32 v13, s1, s2, v16
	s_wait_alu 0xf1ff
	v_add_co_ci_u32_e64 v14, null, s3, 0, s1
	s_mov_b32 s1, exec_lo
	v_add_co_u32 v19, vcc_lo, v13, v15
	s_wait_alu 0xfffd
	v_add_co_ci_u32_e64 v20, null, v14, v17, vcc_lo
	v_cmpx_gt_u32_e64 s23, v0
	s_cbranch_execz .LBB987_161
; %bb.126:
	s_mov_b32 s2, exec_lo
                                        ; implicit-def: $vgpr13_vgpr14
	v_cmpx_ge_u32_e64 v0, v16
	s_wait_alu 0xfffe
	s_xor_b32 s2, exec_lo, s2
; %bb.127:
	v_not_b32_e32 v13, v0
	s_delay_alu instid0(VALU_DEP_1) | instskip(SKIP_2) | instid1(VALU_DEP_2)
	v_ashrrev_i32_e32 v14, 31, v13
	v_add_co_u32 v13, vcc_lo, v19, v13
	s_wait_alu 0xfffd
	v_add_co_ci_u32_e64 v14, null, v20, v14, vcc_lo
; %bb.128:
	s_wait_alu 0xfffe
	s_and_not1_saveexec_b32 s2, s2
; %bb.129:
	v_add_co_u32 v13, vcc_lo, v15, v0
	s_wait_alu 0xfffd
	v_add_co_ci_u32_e64 v14, null, 0, v17, vcc_lo
; %bb.130:
	s_wait_alu 0xfffe
	s_or_b32 exec_lo, exec_lo, s2
	s_delay_alu instid0(VALU_DEP_1) | instskip(NEXT) | instid1(VALU_DEP_1)
	v_lshlrev_b64_e32 v[13:14], 2, v[13:14]
	v_add_co_u32 v13, vcc_lo, s10, v13
	s_wait_alu 0xfffd
	s_delay_alu instid0(VALU_DEP_2) | instskip(SKIP_3) | instid1(SALU_CYCLE_1)
	v_add_co_ci_u32_e64 v14, null, s11, v14, vcc_lo
	s_wait_dscnt 0x6
	global_store_b32 v[13:14], v11, off
	s_or_b32 exec_lo, exec_lo, s1
	s_mov_b32 s1, exec_lo
	v_cmpx_gt_u32_e64 s23, v41
	s_cbranch_execnz .LBB987_162
.LBB987_131:
	s_wait_alu 0xfffe
	s_or_b32 exec_lo, exec_lo, s1
	s_delay_alu instid0(SALU_CYCLE_1)
	s_mov_b32 s1, exec_lo
	v_cmpx_gt_u32_e64 s23, v40
	s_cbranch_execz .LBB987_167
.LBB987_132:
	s_mov_b32 s2, exec_lo
                                        ; implicit-def: $vgpr11_vgpr12
	v_cmpx_ge_u32_e64 v40, v16
	s_wait_alu 0xfffe
	s_xor_b32 s2, exec_lo, s2
	s_cbranch_execz .LBB987_134
; %bb.133:
	s_wait_dscnt 0x6
	v_xor_b32_e32 v11, 0xfffffdff, v0
                                        ; implicit-def: $vgpr40
	s_delay_alu instid0(VALU_DEP_1) | instskip(SKIP_2) | instid1(VALU_DEP_2)
	v_ashrrev_i32_e32 v12, 31, v11
	v_add_co_u32 v11, vcc_lo, v19, v11
	s_wait_alu 0xfffd
	v_add_co_ci_u32_e64 v12, null, v20, v12, vcc_lo
.LBB987_134:
	s_wait_alu 0xfffe
	s_and_not1_saveexec_b32 s2, s2
	s_cbranch_execz .LBB987_136
; %bb.135:
	s_wait_dscnt 0x6
	v_add_co_u32 v11, vcc_lo, v15, v40
	s_wait_alu 0xfffd
	v_add_co_ci_u32_e64 v12, null, 0, v17, vcc_lo
.LBB987_136:
	s_wait_alu 0xfffe
	s_or_b32 exec_lo, exec_lo, s2
	s_wait_dscnt 0x6
	s_delay_alu instid0(VALU_DEP_1) | instskip(NEXT) | instid1(VALU_DEP_1)
	v_lshlrev_b64_e32 v[11:12], 2, v[11:12]
	v_add_co_u32 v11, vcc_lo, s10, v11
	s_wait_alu 0xfffd
	s_delay_alu instid0(VALU_DEP_2) | instskip(SKIP_3) | instid1(SALU_CYCLE_1)
	v_add_co_ci_u32_e64 v12, null, s11, v12, vcc_lo
	s_wait_dscnt 0x5
	global_store_b32 v[11:12], v9, off
	s_or_b32 exec_lo, exec_lo, s1
	s_mov_b32 s1, exec_lo
	v_cmpx_gt_u32_e64 s23, v39
	s_cbranch_execnz .LBB987_168
.LBB987_137:
	s_wait_alu 0xfffe
	s_or_b32 exec_lo, exec_lo, s1
	s_delay_alu instid0(SALU_CYCLE_1)
	s_mov_b32 s1, exec_lo
	v_cmpx_gt_u32_e64 s23, v38
	s_cbranch_execz .LBB987_173
.LBB987_138:
	s_mov_b32 s2, exec_lo
                                        ; implicit-def: $vgpr9_vgpr10
	v_cmpx_ge_u32_e64 v38, v16
	s_wait_alu 0xfffe
	s_xor_b32 s2, exec_lo, s2
	s_cbranch_execz .LBB987_140
; %bb.139:
	s_wait_dscnt 0x5
	v_xor_b32_e32 v9, 0xfffffbff, v0
                                        ; implicit-def: $vgpr38
	s_delay_alu instid0(VALU_DEP_1) | instskip(SKIP_2) | instid1(VALU_DEP_2)
	v_ashrrev_i32_e32 v10, 31, v9
	v_add_co_u32 v9, vcc_lo, v19, v9
	s_wait_alu 0xfffd
	v_add_co_ci_u32_e64 v10, null, v20, v10, vcc_lo
.LBB987_140:
	s_wait_alu 0xfffe
	s_and_not1_saveexec_b32 s2, s2
	s_cbranch_execz .LBB987_142
; %bb.141:
	s_wait_dscnt 0x5
	v_add_co_u32 v9, vcc_lo, v15, v38
	s_wait_alu 0xfffd
	v_add_co_ci_u32_e64 v10, null, 0, v17, vcc_lo
.LBB987_142:
	s_wait_alu 0xfffe
	s_or_b32 exec_lo, exec_lo, s2
	s_wait_dscnt 0x5
	s_delay_alu instid0(VALU_DEP_1) | instskip(NEXT) | instid1(VALU_DEP_1)
	v_lshlrev_b64_e32 v[9:10], 2, v[9:10]
	v_add_co_u32 v9, vcc_lo, s10, v9
	s_wait_alu 0xfffd
	s_delay_alu instid0(VALU_DEP_2) | instskip(SKIP_3) | instid1(SALU_CYCLE_1)
	v_add_co_ci_u32_e64 v10, null, s11, v10, vcc_lo
	s_wait_dscnt 0x4
	global_store_b32 v[9:10], v7, off
	s_or_b32 exec_lo, exec_lo, s1
	s_mov_b32 s1, exec_lo
	v_cmpx_gt_u32_e64 s23, v37
	s_cbranch_execnz .LBB987_174
.LBB987_143:
	s_wait_alu 0xfffe
	s_or_b32 exec_lo, exec_lo, s1
	s_delay_alu instid0(SALU_CYCLE_1)
	s_mov_b32 s1, exec_lo
	v_cmpx_gt_u32_e64 s23, v36
	s_cbranch_execz .LBB987_179
.LBB987_144:
	s_mov_b32 s2, exec_lo
                                        ; implicit-def: $vgpr7_vgpr8
	v_cmpx_ge_u32_e64 v36, v16
	s_wait_alu 0xfffe
	s_xor_b32 s2, exec_lo, s2
	s_cbranch_execz .LBB987_146
; %bb.145:
	s_wait_dscnt 0x4
	v_xor_b32_e32 v7, 0xfffff9ff, v0
                                        ; implicit-def: $vgpr36
	s_delay_alu instid0(VALU_DEP_1) | instskip(SKIP_2) | instid1(VALU_DEP_2)
	v_ashrrev_i32_e32 v8, 31, v7
	v_add_co_u32 v7, vcc_lo, v19, v7
	s_wait_alu 0xfffd
	v_add_co_ci_u32_e64 v8, null, v20, v8, vcc_lo
.LBB987_146:
	s_wait_alu 0xfffe
	s_and_not1_saveexec_b32 s2, s2
	s_cbranch_execz .LBB987_148
; %bb.147:
	s_wait_dscnt 0x4
	v_add_co_u32 v7, vcc_lo, v15, v36
	s_wait_alu 0xfffd
	v_add_co_ci_u32_e64 v8, null, 0, v17, vcc_lo
.LBB987_148:
	s_wait_alu 0xfffe
	s_or_b32 exec_lo, exec_lo, s2
	s_wait_dscnt 0x4
	s_delay_alu instid0(VALU_DEP_1) | instskip(NEXT) | instid1(VALU_DEP_1)
	v_lshlrev_b64_e32 v[7:8], 2, v[7:8]
	v_add_co_u32 v7, vcc_lo, s10, v7
	s_wait_alu 0xfffd
	s_delay_alu instid0(VALU_DEP_2) | instskip(SKIP_3) | instid1(SALU_CYCLE_1)
	v_add_co_ci_u32_e64 v8, null, s11, v8, vcc_lo
	s_wait_dscnt 0x3
	global_store_b32 v[7:8], v5, off
	s_or_b32 exec_lo, exec_lo, s1
	s_mov_b32 s1, exec_lo
	v_cmpx_gt_u32_e64 s23, v35
	s_cbranch_execnz .LBB987_180
.LBB987_149:
	s_wait_alu 0xfffe
	s_or_b32 exec_lo, exec_lo, s1
	s_delay_alu instid0(SALU_CYCLE_1)
	s_mov_b32 s1, exec_lo
	v_cmpx_gt_u32_e64 s23, v34
	s_cbranch_execz .LBB987_185
.LBB987_150:
	s_mov_b32 s2, exec_lo
                                        ; implicit-def: $vgpr5_vgpr6
	v_cmpx_ge_u32_e64 v34, v16
	s_wait_alu 0xfffe
	s_xor_b32 s2, exec_lo, s2
	s_cbranch_execz .LBB987_152
; %bb.151:
	s_wait_dscnt 0x3
	v_xor_b32_e32 v5, 0xfffff7ff, v0
                                        ; implicit-def: $vgpr34
	s_delay_alu instid0(VALU_DEP_1) | instskip(SKIP_2) | instid1(VALU_DEP_2)
	v_ashrrev_i32_e32 v6, 31, v5
	v_add_co_u32 v5, vcc_lo, v19, v5
	s_wait_alu 0xfffd
	v_add_co_ci_u32_e64 v6, null, v20, v6, vcc_lo
.LBB987_152:
	s_wait_alu 0xfffe
	s_and_not1_saveexec_b32 s2, s2
	s_cbranch_execz .LBB987_154
; %bb.153:
	s_wait_dscnt 0x3
	v_add_co_u32 v5, vcc_lo, v15, v34
	s_wait_alu 0xfffd
	v_add_co_ci_u32_e64 v6, null, 0, v17, vcc_lo
.LBB987_154:
	s_wait_alu 0xfffe
	s_or_b32 exec_lo, exec_lo, s2
	s_wait_dscnt 0x3
	s_delay_alu instid0(VALU_DEP_1) | instskip(NEXT) | instid1(VALU_DEP_1)
	v_lshlrev_b64_e32 v[5:6], 2, v[5:6]
	v_add_co_u32 v5, vcc_lo, s10, v5
	s_wait_alu 0xfffd
	s_delay_alu instid0(VALU_DEP_2) | instskip(SKIP_3) | instid1(SALU_CYCLE_1)
	v_add_co_ci_u32_e64 v6, null, s11, v6, vcc_lo
	s_wait_dscnt 0x2
	global_store_b32 v[5:6], v3, off
	s_or_b32 exec_lo, exec_lo, s1
	s_mov_b32 s1, exec_lo
	v_cmpx_gt_u32_e64 s23, v33
	s_cbranch_execnz .LBB987_186
.LBB987_155:
	s_wait_alu 0xfffe
	s_or_b32 exec_lo, exec_lo, s1
	s_delay_alu instid0(SALU_CYCLE_1)
	s_mov_b32 s1, exec_lo
	v_cmpx_gt_u32_e64 s23, v32
	s_cbranch_execz .LBB987_191
.LBB987_156:
	s_mov_b32 s2, exec_lo
                                        ; implicit-def: $vgpr3_vgpr4
	v_cmpx_ge_u32_e64 v32, v16
	s_wait_alu 0xfffe
	s_xor_b32 s2, exec_lo, s2
	s_cbranch_execz .LBB987_158
; %bb.157:
	s_wait_dscnt 0x2
	v_xor_b32_e32 v3, 0xfffff5ff, v0
                                        ; implicit-def: $vgpr32
	s_delay_alu instid0(VALU_DEP_1) | instskip(SKIP_2) | instid1(VALU_DEP_2)
	v_ashrrev_i32_e32 v4, 31, v3
	v_add_co_u32 v3, vcc_lo, v19, v3
	s_wait_alu 0xfffd
	v_add_co_ci_u32_e64 v4, null, v20, v4, vcc_lo
.LBB987_158:
	s_wait_alu 0xfffe
	s_and_not1_saveexec_b32 s2, s2
	s_cbranch_execz .LBB987_160
; %bb.159:
	s_wait_dscnt 0x2
	v_add_co_u32 v3, vcc_lo, v15, v32
	s_wait_alu 0xfffd
	v_add_co_ci_u32_e64 v4, null, 0, v17, vcc_lo
.LBB987_160:
	s_wait_alu 0xfffe
	s_or_b32 exec_lo, exec_lo, s2
	s_wait_dscnt 0x2
	s_delay_alu instid0(VALU_DEP_1) | instskip(NEXT) | instid1(VALU_DEP_1)
	v_lshlrev_b64_e32 v[3:4], 2, v[3:4]
	v_add_co_u32 v3, vcc_lo, s10, v3
	s_wait_alu 0xfffd
	s_delay_alu instid0(VALU_DEP_2) | instskip(SKIP_3) | instid1(SALU_CYCLE_1)
	v_add_co_ci_u32_e64 v4, null, s11, v4, vcc_lo
	s_wait_dscnt 0x1
	global_store_b32 v[3:4], v1, off
	s_or_b32 exec_lo, exec_lo, s1
	s_mov_b32 s1, exec_lo
	v_cmpx_gt_u32_e64 s23, v31
	s_cbranch_execz .LBB987_197
	s_branch .LBB987_192
.LBB987_161:
	s_wait_alu 0xfffe
	s_or_b32 exec_lo, exec_lo, s1
	s_delay_alu instid0(SALU_CYCLE_1)
	s_mov_b32 s1, exec_lo
	v_cmpx_gt_u32_e64 s23, v41
	s_cbranch_execz .LBB987_131
.LBB987_162:
	s_mov_b32 s2, exec_lo
                                        ; implicit-def: $vgpr13_vgpr14
	v_cmpx_ge_u32_e64 v41, v16
	s_wait_alu 0xfffe
	s_xor_b32 s2, exec_lo, s2
	s_cbranch_execz .LBB987_164
; %bb.163:
	s_wait_dscnt 0x6
	v_xor_b32_e32 v11, 0xfffffeff, v0
                                        ; implicit-def: $vgpr41
	s_delay_alu instid0(VALU_DEP_1) | instskip(SKIP_2) | instid1(VALU_DEP_2)
	v_ashrrev_i32_e32 v14, 31, v11
	v_add_co_u32 v13, vcc_lo, v19, v11
	s_wait_alu 0xfffd
	v_add_co_ci_u32_e64 v14, null, v20, v14, vcc_lo
.LBB987_164:
	s_wait_alu 0xfffe
	s_and_not1_saveexec_b32 s2, s2
; %bb.165:
	v_add_co_u32 v13, vcc_lo, v15, v41
	s_wait_alu 0xfffd
	v_add_co_ci_u32_e64 v14, null, 0, v17, vcc_lo
; %bb.166:
	s_wait_alu 0xfffe
	s_or_b32 exec_lo, exec_lo, s2
	s_delay_alu instid0(VALU_DEP_1) | instskip(NEXT) | instid1(VALU_DEP_1)
	v_lshlrev_b64_e32 v[13:14], 2, v[13:14]
	v_add_co_u32 v13, vcc_lo, s10, v13
	s_wait_alu 0xfffd
	s_delay_alu instid0(VALU_DEP_2) | instskip(SKIP_3) | instid1(SALU_CYCLE_1)
	v_add_co_ci_u32_e64 v14, null, s11, v14, vcc_lo
	s_wait_dscnt 0x6
	global_store_b32 v[13:14], v12, off
	s_or_b32 exec_lo, exec_lo, s1
	s_mov_b32 s1, exec_lo
	v_cmpx_gt_u32_e64 s23, v40
	s_cbranch_execnz .LBB987_132
.LBB987_167:
	s_wait_alu 0xfffe
	s_or_b32 exec_lo, exec_lo, s1
	s_delay_alu instid0(SALU_CYCLE_1)
	s_mov_b32 s1, exec_lo
	v_cmpx_gt_u32_e64 s23, v39
	s_cbranch_execz .LBB987_137
.LBB987_168:
	s_mov_b32 s2, exec_lo
                                        ; implicit-def: $vgpr11_vgpr12
	v_cmpx_ge_u32_e64 v39, v16
	s_wait_alu 0xfffe
	s_xor_b32 s2, exec_lo, s2
	s_cbranch_execz .LBB987_170
; %bb.169:
	s_wait_dscnt 0x5
	v_xor_b32_e32 v9, 0xfffffcff, v0
                                        ; implicit-def: $vgpr39
	s_delay_alu instid0(VALU_DEP_1) | instskip(SKIP_2) | instid1(VALU_DEP_2)
	v_ashrrev_i32_e32 v12, 31, v9
	v_add_co_u32 v11, vcc_lo, v19, v9
	s_wait_alu 0xfffd
	v_add_co_ci_u32_e64 v12, null, v20, v12, vcc_lo
.LBB987_170:
	s_wait_alu 0xfffe
	s_and_not1_saveexec_b32 s2, s2
	s_cbranch_execz .LBB987_172
; %bb.171:
	s_wait_dscnt 0x6
	v_add_co_u32 v11, vcc_lo, v15, v39
	s_wait_alu 0xfffd
	v_add_co_ci_u32_e64 v12, null, 0, v17, vcc_lo
.LBB987_172:
	s_wait_alu 0xfffe
	s_or_b32 exec_lo, exec_lo, s2
	s_wait_dscnt 0x6
	s_delay_alu instid0(VALU_DEP_1) | instskip(NEXT) | instid1(VALU_DEP_1)
	v_lshlrev_b64_e32 v[11:12], 2, v[11:12]
	v_add_co_u32 v11, vcc_lo, s10, v11
	s_wait_alu 0xfffd
	s_delay_alu instid0(VALU_DEP_2) | instskip(SKIP_3) | instid1(SALU_CYCLE_1)
	v_add_co_ci_u32_e64 v12, null, s11, v12, vcc_lo
	s_wait_dscnt 0x5
	global_store_b32 v[11:12], v10, off
	s_or_b32 exec_lo, exec_lo, s1
	s_mov_b32 s1, exec_lo
	v_cmpx_gt_u32_e64 s23, v38
	s_cbranch_execnz .LBB987_138
.LBB987_173:
	s_wait_alu 0xfffe
	s_or_b32 exec_lo, exec_lo, s1
	s_delay_alu instid0(SALU_CYCLE_1)
	s_mov_b32 s1, exec_lo
	v_cmpx_gt_u32_e64 s23, v37
	s_cbranch_execz .LBB987_143
.LBB987_174:
	s_mov_b32 s2, exec_lo
                                        ; implicit-def: $vgpr9_vgpr10
	v_cmpx_ge_u32_e64 v37, v16
	s_wait_alu 0xfffe
	s_xor_b32 s2, exec_lo, s2
	s_cbranch_execz .LBB987_176
; %bb.175:
	s_wait_dscnt 0x4
	v_xor_b32_e32 v7, 0xfffffaff, v0
                                        ; implicit-def: $vgpr37
	s_delay_alu instid0(VALU_DEP_1) | instskip(SKIP_2) | instid1(VALU_DEP_2)
	v_ashrrev_i32_e32 v10, 31, v7
	v_add_co_u32 v9, vcc_lo, v19, v7
	s_wait_alu 0xfffd
	v_add_co_ci_u32_e64 v10, null, v20, v10, vcc_lo
.LBB987_176:
	s_wait_alu 0xfffe
	s_and_not1_saveexec_b32 s2, s2
	s_cbranch_execz .LBB987_178
; %bb.177:
	s_wait_dscnt 0x5
	v_add_co_u32 v9, vcc_lo, v15, v37
	s_wait_alu 0xfffd
	v_add_co_ci_u32_e64 v10, null, 0, v17, vcc_lo
.LBB987_178:
	s_wait_alu 0xfffe
	s_or_b32 exec_lo, exec_lo, s2
	s_wait_dscnt 0x5
	s_delay_alu instid0(VALU_DEP_1) | instskip(NEXT) | instid1(VALU_DEP_1)
	v_lshlrev_b64_e32 v[9:10], 2, v[9:10]
	v_add_co_u32 v9, vcc_lo, s10, v9
	s_wait_alu 0xfffd
	s_delay_alu instid0(VALU_DEP_2) | instskip(SKIP_3) | instid1(SALU_CYCLE_1)
	v_add_co_ci_u32_e64 v10, null, s11, v10, vcc_lo
	s_wait_dscnt 0x4
	global_store_b32 v[9:10], v8, off
	s_or_b32 exec_lo, exec_lo, s1
	s_mov_b32 s1, exec_lo
	v_cmpx_gt_u32_e64 s23, v36
	s_cbranch_execnz .LBB987_144
.LBB987_179:
	s_wait_alu 0xfffe
	s_or_b32 exec_lo, exec_lo, s1
	s_delay_alu instid0(SALU_CYCLE_1)
	s_mov_b32 s1, exec_lo
	v_cmpx_gt_u32_e64 s23, v35
	s_cbranch_execz .LBB987_149
.LBB987_180:
	s_mov_b32 s2, exec_lo
                                        ; implicit-def: $vgpr7_vgpr8
	v_cmpx_ge_u32_e64 v35, v16
	s_wait_alu 0xfffe
	s_xor_b32 s2, exec_lo, s2
	s_cbranch_execz .LBB987_182
; %bb.181:
	s_wait_dscnt 0x3
	v_xor_b32_e32 v5, 0xfffff8ff, v0
                                        ; implicit-def: $vgpr35
	s_delay_alu instid0(VALU_DEP_1) | instskip(SKIP_2) | instid1(VALU_DEP_2)
	v_ashrrev_i32_e32 v8, 31, v5
	v_add_co_u32 v7, vcc_lo, v19, v5
	s_wait_alu 0xfffd
	v_add_co_ci_u32_e64 v8, null, v20, v8, vcc_lo
.LBB987_182:
	s_wait_alu 0xfffe
	s_and_not1_saveexec_b32 s2, s2
	s_cbranch_execz .LBB987_184
; %bb.183:
	s_wait_dscnt 0x4
	v_add_co_u32 v7, vcc_lo, v15, v35
	s_wait_alu 0xfffd
	v_add_co_ci_u32_e64 v8, null, 0, v17, vcc_lo
.LBB987_184:
	s_wait_alu 0xfffe
	s_or_b32 exec_lo, exec_lo, s2
	s_wait_dscnt 0x4
	s_delay_alu instid0(VALU_DEP_1) | instskip(NEXT) | instid1(VALU_DEP_1)
	v_lshlrev_b64_e32 v[7:8], 2, v[7:8]
	v_add_co_u32 v7, vcc_lo, s10, v7
	s_wait_alu 0xfffd
	s_delay_alu instid0(VALU_DEP_2) | instskip(SKIP_3) | instid1(SALU_CYCLE_1)
	v_add_co_ci_u32_e64 v8, null, s11, v8, vcc_lo
	s_wait_dscnt 0x3
	global_store_b32 v[7:8], v6, off
	s_or_b32 exec_lo, exec_lo, s1
	s_mov_b32 s1, exec_lo
	v_cmpx_gt_u32_e64 s23, v34
	s_cbranch_execnz .LBB987_150
.LBB987_185:
	s_wait_alu 0xfffe
	s_or_b32 exec_lo, exec_lo, s1
	s_delay_alu instid0(SALU_CYCLE_1)
	s_mov_b32 s1, exec_lo
	v_cmpx_gt_u32_e64 s23, v33
	s_cbranch_execz .LBB987_155
.LBB987_186:
	s_mov_b32 s2, exec_lo
                                        ; implicit-def: $vgpr5_vgpr6
	v_cmpx_ge_u32_e64 v33, v16
	s_wait_alu 0xfffe
	s_xor_b32 s2, exec_lo, s2
	s_cbranch_execz .LBB987_188
; %bb.187:
	s_wait_dscnt 0x2
	v_xor_b32_e32 v3, 0xfffff6ff, v0
                                        ; implicit-def: $vgpr33
	s_delay_alu instid0(VALU_DEP_1) | instskip(SKIP_2) | instid1(VALU_DEP_2)
	v_ashrrev_i32_e32 v6, 31, v3
	v_add_co_u32 v5, vcc_lo, v19, v3
	s_wait_alu 0xfffd
	v_add_co_ci_u32_e64 v6, null, v20, v6, vcc_lo
.LBB987_188:
	s_wait_alu 0xfffe
	s_and_not1_saveexec_b32 s2, s2
	s_cbranch_execz .LBB987_190
; %bb.189:
	s_wait_dscnt 0x3
	v_add_co_u32 v5, vcc_lo, v15, v33
	s_wait_alu 0xfffd
	v_add_co_ci_u32_e64 v6, null, 0, v17, vcc_lo
.LBB987_190:
	s_wait_alu 0xfffe
	s_or_b32 exec_lo, exec_lo, s2
	s_wait_dscnt 0x3
	s_delay_alu instid0(VALU_DEP_1) | instskip(NEXT) | instid1(VALU_DEP_1)
	v_lshlrev_b64_e32 v[5:6], 2, v[5:6]
	v_add_co_u32 v5, vcc_lo, s10, v5
	s_wait_alu 0xfffd
	s_delay_alu instid0(VALU_DEP_2) | instskip(SKIP_3) | instid1(SALU_CYCLE_1)
	v_add_co_ci_u32_e64 v6, null, s11, v6, vcc_lo
	s_wait_dscnt 0x2
	global_store_b32 v[5:6], v4, off
	s_or_b32 exec_lo, exec_lo, s1
	s_mov_b32 s1, exec_lo
	v_cmpx_gt_u32_e64 s23, v32
	s_cbranch_execnz .LBB987_156
.LBB987_191:
	s_wait_alu 0xfffe
	s_or_b32 exec_lo, exec_lo, s1
	s_delay_alu instid0(SALU_CYCLE_1)
	s_mov_b32 s1, exec_lo
	v_cmpx_gt_u32_e64 s23, v31
	s_cbranch_execz .LBB987_197
.LBB987_192:
	s_mov_b32 s2, exec_lo
                                        ; implicit-def: $vgpr3_vgpr4
	v_cmpx_ge_u32_e64 v31, v16
	s_wait_alu 0xfffe
	s_xor_b32 s2, exec_lo, s2
	s_cbranch_execz .LBB987_194
; %bb.193:
	s_wait_dscnt 0x1
	v_xor_b32_e32 v1, 0xfffff4ff, v0
                                        ; implicit-def: $vgpr31
	s_delay_alu instid0(VALU_DEP_1) | instskip(SKIP_2) | instid1(VALU_DEP_2)
	v_ashrrev_i32_e32 v4, 31, v1
	v_add_co_u32 v3, vcc_lo, v19, v1
	s_wait_alu 0xfffd
	v_add_co_ci_u32_e64 v4, null, v20, v4, vcc_lo
.LBB987_194:
	s_wait_alu 0xfffe
	s_and_not1_saveexec_b32 s2, s2
	s_cbranch_execz .LBB987_196
; %bb.195:
	s_wait_dscnt 0x2
	v_add_co_u32 v3, vcc_lo, v15, v31
	s_wait_alu 0xfffd
	v_add_co_ci_u32_e64 v4, null, 0, v17, vcc_lo
.LBB987_196:
	s_wait_alu 0xfffe
	s_or_b32 exec_lo, exec_lo, s2
	s_wait_dscnt 0x2
	s_delay_alu instid0(VALU_DEP_1) | instskip(NEXT) | instid1(VALU_DEP_1)
	v_lshlrev_b64_e32 v[3:4], 2, v[3:4]
	v_add_co_u32 v3, vcc_lo, s10, v3
	s_wait_alu 0xfffd
	s_delay_alu instid0(VALU_DEP_2)
	v_add_co_ci_u32_e64 v4, null, s11, v4, vcc_lo
	s_wait_dscnt 0x1
	global_store_b32 v[3:4], v2, off
.LBB987_197:
	s_wait_alu 0xfffe
	s_or_b32 exec_lo, exec_lo, s1
	s_delay_alu instid0(SALU_CYCLE_1)
	s_mov_b32 s1, exec_lo
                                        ; implicit-def: $vgpr13_vgpr14
	v_cmpx_gt_u32_e64 s23, v30
	s_cbranch_execz .LBB987_203
; %bb.198:
	s_mov_b32 s2, exec_lo
                                        ; implicit-def: $vgpr13_vgpr14
	v_cmpx_ge_u32_e64 v30, v16
	s_wait_alu 0xfffe
	s_xor_b32 s2, exec_lo, s2
	s_cbranch_execz .LBB987_200
; %bb.199:
	s_wait_dscnt 0x1
	v_xor_b32_e32 v1, 0xfffff3ff, v0
                                        ; implicit-def: $vgpr30
	s_delay_alu instid0(VALU_DEP_1) | instskip(SKIP_2) | instid1(VALU_DEP_2)
	v_ashrrev_i32_e32 v2, 31, v1
	v_add_co_u32 v13, vcc_lo, v19, v1
	s_wait_alu 0xfffd
	v_add_co_ci_u32_e64 v14, null, v20, v2, vcc_lo
.LBB987_200:
	s_wait_alu 0xfffe
	s_and_not1_saveexec_b32 s2, s2
; %bb.201:
	v_add_co_u32 v13, vcc_lo, v15, v30
	s_wait_alu 0xfffd
	v_add_co_ci_u32_e64 v14, null, 0, v17, vcc_lo
; %bb.202:
	s_wait_alu 0xfffe
	s_or_b32 exec_lo, exec_lo, s2
	s_delay_alu instid0(SALU_CYCLE_1)
	s_or_b32 s0, s0, exec_lo
.LBB987_203:
	s_wait_alu 0xfffe
	s_or_b32 exec_lo, exec_lo, s1
.LBB987_204:
	s_wait_alu 0xfffe
	s_and_saveexec_b32 s1, s0
	s_cbranch_execz .LBB987_206
; %bb.205:
	s_wait_dscnt 0x1
	v_lshlrev_b64_e32 v[1:2], 2, v[13:14]
	s_delay_alu instid0(VALU_DEP_1) | instskip(SKIP_1) | instid1(VALU_DEP_2)
	v_add_co_u32 v1, vcc_lo, s10, v1
	s_wait_alu 0xfffd
	v_add_co_ci_u32_e64 v2, null, s11, v2, vcc_lo
	s_wait_dscnt 0x0
	global_store_b32 v[1:2], v18, off
.LBB987_206:
	s_wait_alu 0xfffe
	s_or_b32 exec_lo, exec_lo, s1
	v_cmp_eq_u32_e32 vcc_lo, 0, v0
	s_and_b32 s0, vcc_lo, s22
	s_wait_alu 0xfffe
	s_and_saveexec_b32 s1, s0
	s_cbranch_execz .LBB987_208
; %bb.207:
	v_add_co_u32 v0, vcc_lo, v15, v16
	s_wait_dscnt 0x1
	v_mov_b32_e32 v2, 0
	s_wait_alu 0xfffd
	v_add_co_ci_u32_e64 v1, null, 0, v17, vcc_lo
	global_store_b64 v2, v[0:1], s[8:9]
.LBB987_208:
	s_endpgm
	.section	.rodata,"a",@progbits
	.p2align	6, 0x0
	.amdhsa_kernel _ZN7rocprim17ROCPRIM_400000_NS6detail17trampoline_kernelINS0_13select_configILj256ELj13ELNS0_17block_load_methodE3ELS4_3ELS4_3ELNS0_20block_scan_algorithmE0ELj4294967295EEENS1_25partition_config_selectorILNS1_17partition_subalgoE3EjNS0_10empty_typeEbEEZZNS1_14partition_implILS8_3ELb0ES6_jNS0_17counting_iteratorIjlEEPS9_SE_NS0_5tupleIJPjSE_EEENSF_IJSE_SE_EEES9_SG_JZNS1_25segmented_radix_sort_implINS0_14default_configELb0EPKsPsPKlPlN2at6native12_GLOBAL__N_18offset_tEEE10hipError_tPvRmT1_PNSt15iterator_traitsISY_E10value_typeET2_T3_PNSZ_IS14_E10value_typeET4_jRbjT5_S1A_jjP12ihipStream_tbEUljE_EEESV_SW_SX_S14_S18_S1A_T6_T7_T9_mT8_S1C_bDpT10_ENKUlT_T0_E_clISt17integral_constantIbLb0EES1P_EEDaS1K_S1L_EUlS1K_E_NS1_11comp_targetILNS1_3genE10ELNS1_11target_archE1200ELNS1_3gpuE4ELNS1_3repE0EEENS1_30default_config_static_selectorELNS0_4arch9wavefront6targetE0EEEvSY_
		.amdhsa_group_segment_fixed_size 13320
		.amdhsa_private_segment_fixed_size 0
		.amdhsa_kernarg_size 144
		.amdhsa_user_sgpr_count 2
		.amdhsa_user_sgpr_dispatch_ptr 0
		.amdhsa_user_sgpr_queue_ptr 0
		.amdhsa_user_sgpr_kernarg_segment_ptr 1
		.amdhsa_user_sgpr_dispatch_id 0
		.amdhsa_user_sgpr_private_segment_size 0
		.amdhsa_wavefront_size32 1
		.amdhsa_uses_dynamic_stack 0
		.amdhsa_enable_private_segment 0
		.amdhsa_system_sgpr_workgroup_id_x 1
		.amdhsa_system_sgpr_workgroup_id_y 0
		.amdhsa_system_sgpr_workgroup_id_z 0
		.amdhsa_system_sgpr_workgroup_info 0
		.amdhsa_system_vgpr_workitem_id 0
		.amdhsa_next_free_vgpr 69
		.amdhsa_next_free_sgpr 26
		.amdhsa_reserve_vcc 1
		.amdhsa_float_round_mode_32 0
		.amdhsa_float_round_mode_16_64 0
		.amdhsa_float_denorm_mode_32 3
		.amdhsa_float_denorm_mode_16_64 3
		.amdhsa_fp16_overflow 0
		.amdhsa_workgroup_processor_mode 1
		.amdhsa_memory_ordered 1
		.amdhsa_forward_progress 1
		.amdhsa_inst_pref_size 84
		.amdhsa_round_robin_scheduling 0
		.amdhsa_exception_fp_ieee_invalid_op 0
		.amdhsa_exception_fp_denorm_src 0
		.amdhsa_exception_fp_ieee_div_zero 0
		.amdhsa_exception_fp_ieee_overflow 0
		.amdhsa_exception_fp_ieee_underflow 0
		.amdhsa_exception_fp_ieee_inexact 0
		.amdhsa_exception_int_div_zero 0
	.end_amdhsa_kernel
	.section	.text._ZN7rocprim17ROCPRIM_400000_NS6detail17trampoline_kernelINS0_13select_configILj256ELj13ELNS0_17block_load_methodE3ELS4_3ELS4_3ELNS0_20block_scan_algorithmE0ELj4294967295EEENS1_25partition_config_selectorILNS1_17partition_subalgoE3EjNS0_10empty_typeEbEEZZNS1_14partition_implILS8_3ELb0ES6_jNS0_17counting_iteratorIjlEEPS9_SE_NS0_5tupleIJPjSE_EEENSF_IJSE_SE_EEES9_SG_JZNS1_25segmented_radix_sort_implINS0_14default_configELb0EPKsPsPKlPlN2at6native12_GLOBAL__N_18offset_tEEE10hipError_tPvRmT1_PNSt15iterator_traitsISY_E10value_typeET2_T3_PNSZ_IS14_E10value_typeET4_jRbjT5_S1A_jjP12ihipStream_tbEUljE_EEESV_SW_SX_S14_S18_S1A_T6_T7_T9_mT8_S1C_bDpT10_ENKUlT_T0_E_clISt17integral_constantIbLb0EES1P_EEDaS1K_S1L_EUlS1K_E_NS1_11comp_targetILNS1_3genE10ELNS1_11target_archE1200ELNS1_3gpuE4ELNS1_3repE0EEENS1_30default_config_static_selectorELNS0_4arch9wavefront6targetE0EEEvSY_,"axG",@progbits,_ZN7rocprim17ROCPRIM_400000_NS6detail17trampoline_kernelINS0_13select_configILj256ELj13ELNS0_17block_load_methodE3ELS4_3ELS4_3ELNS0_20block_scan_algorithmE0ELj4294967295EEENS1_25partition_config_selectorILNS1_17partition_subalgoE3EjNS0_10empty_typeEbEEZZNS1_14partition_implILS8_3ELb0ES6_jNS0_17counting_iteratorIjlEEPS9_SE_NS0_5tupleIJPjSE_EEENSF_IJSE_SE_EEES9_SG_JZNS1_25segmented_radix_sort_implINS0_14default_configELb0EPKsPsPKlPlN2at6native12_GLOBAL__N_18offset_tEEE10hipError_tPvRmT1_PNSt15iterator_traitsISY_E10value_typeET2_T3_PNSZ_IS14_E10value_typeET4_jRbjT5_S1A_jjP12ihipStream_tbEUljE_EEESV_SW_SX_S14_S18_S1A_T6_T7_T9_mT8_S1C_bDpT10_ENKUlT_T0_E_clISt17integral_constantIbLb0EES1P_EEDaS1K_S1L_EUlS1K_E_NS1_11comp_targetILNS1_3genE10ELNS1_11target_archE1200ELNS1_3gpuE4ELNS1_3repE0EEENS1_30default_config_static_selectorELNS0_4arch9wavefront6targetE0EEEvSY_,comdat
.Lfunc_end987:
	.size	_ZN7rocprim17ROCPRIM_400000_NS6detail17trampoline_kernelINS0_13select_configILj256ELj13ELNS0_17block_load_methodE3ELS4_3ELS4_3ELNS0_20block_scan_algorithmE0ELj4294967295EEENS1_25partition_config_selectorILNS1_17partition_subalgoE3EjNS0_10empty_typeEbEEZZNS1_14partition_implILS8_3ELb0ES6_jNS0_17counting_iteratorIjlEEPS9_SE_NS0_5tupleIJPjSE_EEENSF_IJSE_SE_EEES9_SG_JZNS1_25segmented_radix_sort_implINS0_14default_configELb0EPKsPsPKlPlN2at6native12_GLOBAL__N_18offset_tEEE10hipError_tPvRmT1_PNSt15iterator_traitsISY_E10value_typeET2_T3_PNSZ_IS14_E10value_typeET4_jRbjT5_S1A_jjP12ihipStream_tbEUljE_EEESV_SW_SX_S14_S18_S1A_T6_T7_T9_mT8_S1C_bDpT10_ENKUlT_T0_E_clISt17integral_constantIbLb0EES1P_EEDaS1K_S1L_EUlS1K_E_NS1_11comp_targetILNS1_3genE10ELNS1_11target_archE1200ELNS1_3gpuE4ELNS1_3repE0EEENS1_30default_config_static_selectorELNS0_4arch9wavefront6targetE0EEEvSY_, .Lfunc_end987-_ZN7rocprim17ROCPRIM_400000_NS6detail17trampoline_kernelINS0_13select_configILj256ELj13ELNS0_17block_load_methodE3ELS4_3ELS4_3ELNS0_20block_scan_algorithmE0ELj4294967295EEENS1_25partition_config_selectorILNS1_17partition_subalgoE3EjNS0_10empty_typeEbEEZZNS1_14partition_implILS8_3ELb0ES6_jNS0_17counting_iteratorIjlEEPS9_SE_NS0_5tupleIJPjSE_EEENSF_IJSE_SE_EEES9_SG_JZNS1_25segmented_radix_sort_implINS0_14default_configELb0EPKsPsPKlPlN2at6native12_GLOBAL__N_18offset_tEEE10hipError_tPvRmT1_PNSt15iterator_traitsISY_E10value_typeET2_T3_PNSZ_IS14_E10value_typeET4_jRbjT5_S1A_jjP12ihipStream_tbEUljE_EEESV_SW_SX_S14_S18_S1A_T6_T7_T9_mT8_S1C_bDpT10_ENKUlT_T0_E_clISt17integral_constantIbLb0EES1P_EEDaS1K_S1L_EUlS1K_E_NS1_11comp_targetILNS1_3genE10ELNS1_11target_archE1200ELNS1_3gpuE4ELNS1_3repE0EEENS1_30default_config_static_selectorELNS0_4arch9wavefront6targetE0EEEvSY_
                                        ; -- End function
	.set _ZN7rocprim17ROCPRIM_400000_NS6detail17trampoline_kernelINS0_13select_configILj256ELj13ELNS0_17block_load_methodE3ELS4_3ELS4_3ELNS0_20block_scan_algorithmE0ELj4294967295EEENS1_25partition_config_selectorILNS1_17partition_subalgoE3EjNS0_10empty_typeEbEEZZNS1_14partition_implILS8_3ELb0ES6_jNS0_17counting_iteratorIjlEEPS9_SE_NS0_5tupleIJPjSE_EEENSF_IJSE_SE_EEES9_SG_JZNS1_25segmented_radix_sort_implINS0_14default_configELb0EPKsPsPKlPlN2at6native12_GLOBAL__N_18offset_tEEE10hipError_tPvRmT1_PNSt15iterator_traitsISY_E10value_typeET2_T3_PNSZ_IS14_E10value_typeET4_jRbjT5_S1A_jjP12ihipStream_tbEUljE_EEESV_SW_SX_S14_S18_S1A_T6_T7_T9_mT8_S1C_bDpT10_ENKUlT_T0_E_clISt17integral_constantIbLb0EES1P_EEDaS1K_S1L_EUlS1K_E_NS1_11comp_targetILNS1_3genE10ELNS1_11target_archE1200ELNS1_3gpuE4ELNS1_3repE0EEENS1_30default_config_static_selectorELNS0_4arch9wavefront6targetE0EEEvSY_.num_vgpr, 69
	.set _ZN7rocprim17ROCPRIM_400000_NS6detail17trampoline_kernelINS0_13select_configILj256ELj13ELNS0_17block_load_methodE3ELS4_3ELS4_3ELNS0_20block_scan_algorithmE0ELj4294967295EEENS1_25partition_config_selectorILNS1_17partition_subalgoE3EjNS0_10empty_typeEbEEZZNS1_14partition_implILS8_3ELb0ES6_jNS0_17counting_iteratorIjlEEPS9_SE_NS0_5tupleIJPjSE_EEENSF_IJSE_SE_EEES9_SG_JZNS1_25segmented_radix_sort_implINS0_14default_configELb0EPKsPsPKlPlN2at6native12_GLOBAL__N_18offset_tEEE10hipError_tPvRmT1_PNSt15iterator_traitsISY_E10value_typeET2_T3_PNSZ_IS14_E10value_typeET4_jRbjT5_S1A_jjP12ihipStream_tbEUljE_EEESV_SW_SX_S14_S18_S1A_T6_T7_T9_mT8_S1C_bDpT10_ENKUlT_T0_E_clISt17integral_constantIbLb0EES1P_EEDaS1K_S1L_EUlS1K_E_NS1_11comp_targetILNS1_3genE10ELNS1_11target_archE1200ELNS1_3gpuE4ELNS1_3repE0EEENS1_30default_config_static_selectorELNS0_4arch9wavefront6targetE0EEEvSY_.num_agpr, 0
	.set _ZN7rocprim17ROCPRIM_400000_NS6detail17trampoline_kernelINS0_13select_configILj256ELj13ELNS0_17block_load_methodE3ELS4_3ELS4_3ELNS0_20block_scan_algorithmE0ELj4294967295EEENS1_25partition_config_selectorILNS1_17partition_subalgoE3EjNS0_10empty_typeEbEEZZNS1_14partition_implILS8_3ELb0ES6_jNS0_17counting_iteratorIjlEEPS9_SE_NS0_5tupleIJPjSE_EEENSF_IJSE_SE_EEES9_SG_JZNS1_25segmented_radix_sort_implINS0_14default_configELb0EPKsPsPKlPlN2at6native12_GLOBAL__N_18offset_tEEE10hipError_tPvRmT1_PNSt15iterator_traitsISY_E10value_typeET2_T3_PNSZ_IS14_E10value_typeET4_jRbjT5_S1A_jjP12ihipStream_tbEUljE_EEESV_SW_SX_S14_S18_S1A_T6_T7_T9_mT8_S1C_bDpT10_ENKUlT_T0_E_clISt17integral_constantIbLb0EES1P_EEDaS1K_S1L_EUlS1K_E_NS1_11comp_targetILNS1_3genE10ELNS1_11target_archE1200ELNS1_3gpuE4ELNS1_3repE0EEENS1_30default_config_static_selectorELNS0_4arch9wavefront6targetE0EEEvSY_.numbered_sgpr, 26
	.set _ZN7rocprim17ROCPRIM_400000_NS6detail17trampoline_kernelINS0_13select_configILj256ELj13ELNS0_17block_load_methodE3ELS4_3ELS4_3ELNS0_20block_scan_algorithmE0ELj4294967295EEENS1_25partition_config_selectorILNS1_17partition_subalgoE3EjNS0_10empty_typeEbEEZZNS1_14partition_implILS8_3ELb0ES6_jNS0_17counting_iteratorIjlEEPS9_SE_NS0_5tupleIJPjSE_EEENSF_IJSE_SE_EEES9_SG_JZNS1_25segmented_radix_sort_implINS0_14default_configELb0EPKsPsPKlPlN2at6native12_GLOBAL__N_18offset_tEEE10hipError_tPvRmT1_PNSt15iterator_traitsISY_E10value_typeET2_T3_PNSZ_IS14_E10value_typeET4_jRbjT5_S1A_jjP12ihipStream_tbEUljE_EEESV_SW_SX_S14_S18_S1A_T6_T7_T9_mT8_S1C_bDpT10_ENKUlT_T0_E_clISt17integral_constantIbLb0EES1P_EEDaS1K_S1L_EUlS1K_E_NS1_11comp_targetILNS1_3genE10ELNS1_11target_archE1200ELNS1_3gpuE4ELNS1_3repE0EEENS1_30default_config_static_selectorELNS0_4arch9wavefront6targetE0EEEvSY_.num_named_barrier, 0
	.set _ZN7rocprim17ROCPRIM_400000_NS6detail17trampoline_kernelINS0_13select_configILj256ELj13ELNS0_17block_load_methodE3ELS4_3ELS4_3ELNS0_20block_scan_algorithmE0ELj4294967295EEENS1_25partition_config_selectorILNS1_17partition_subalgoE3EjNS0_10empty_typeEbEEZZNS1_14partition_implILS8_3ELb0ES6_jNS0_17counting_iteratorIjlEEPS9_SE_NS0_5tupleIJPjSE_EEENSF_IJSE_SE_EEES9_SG_JZNS1_25segmented_radix_sort_implINS0_14default_configELb0EPKsPsPKlPlN2at6native12_GLOBAL__N_18offset_tEEE10hipError_tPvRmT1_PNSt15iterator_traitsISY_E10value_typeET2_T3_PNSZ_IS14_E10value_typeET4_jRbjT5_S1A_jjP12ihipStream_tbEUljE_EEESV_SW_SX_S14_S18_S1A_T6_T7_T9_mT8_S1C_bDpT10_ENKUlT_T0_E_clISt17integral_constantIbLb0EES1P_EEDaS1K_S1L_EUlS1K_E_NS1_11comp_targetILNS1_3genE10ELNS1_11target_archE1200ELNS1_3gpuE4ELNS1_3repE0EEENS1_30default_config_static_selectorELNS0_4arch9wavefront6targetE0EEEvSY_.private_seg_size, 0
	.set _ZN7rocprim17ROCPRIM_400000_NS6detail17trampoline_kernelINS0_13select_configILj256ELj13ELNS0_17block_load_methodE3ELS4_3ELS4_3ELNS0_20block_scan_algorithmE0ELj4294967295EEENS1_25partition_config_selectorILNS1_17partition_subalgoE3EjNS0_10empty_typeEbEEZZNS1_14partition_implILS8_3ELb0ES6_jNS0_17counting_iteratorIjlEEPS9_SE_NS0_5tupleIJPjSE_EEENSF_IJSE_SE_EEES9_SG_JZNS1_25segmented_radix_sort_implINS0_14default_configELb0EPKsPsPKlPlN2at6native12_GLOBAL__N_18offset_tEEE10hipError_tPvRmT1_PNSt15iterator_traitsISY_E10value_typeET2_T3_PNSZ_IS14_E10value_typeET4_jRbjT5_S1A_jjP12ihipStream_tbEUljE_EEESV_SW_SX_S14_S18_S1A_T6_T7_T9_mT8_S1C_bDpT10_ENKUlT_T0_E_clISt17integral_constantIbLb0EES1P_EEDaS1K_S1L_EUlS1K_E_NS1_11comp_targetILNS1_3genE10ELNS1_11target_archE1200ELNS1_3gpuE4ELNS1_3repE0EEENS1_30default_config_static_selectorELNS0_4arch9wavefront6targetE0EEEvSY_.uses_vcc, 1
	.set _ZN7rocprim17ROCPRIM_400000_NS6detail17trampoline_kernelINS0_13select_configILj256ELj13ELNS0_17block_load_methodE3ELS4_3ELS4_3ELNS0_20block_scan_algorithmE0ELj4294967295EEENS1_25partition_config_selectorILNS1_17partition_subalgoE3EjNS0_10empty_typeEbEEZZNS1_14partition_implILS8_3ELb0ES6_jNS0_17counting_iteratorIjlEEPS9_SE_NS0_5tupleIJPjSE_EEENSF_IJSE_SE_EEES9_SG_JZNS1_25segmented_radix_sort_implINS0_14default_configELb0EPKsPsPKlPlN2at6native12_GLOBAL__N_18offset_tEEE10hipError_tPvRmT1_PNSt15iterator_traitsISY_E10value_typeET2_T3_PNSZ_IS14_E10value_typeET4_jRbjT5_S1A_jjP12ihipStream_tbEUljE_EEESV_SW_SX_S14_S18_S1A_T6_T7_T9_mT8_S1C_bDpT10_ENKUlT_T0_E_clISt17integral_constantIbLb0EES1P_EEDaS1K_S1L_EUlS1K_E_NS1_11comp_targetILNS1_3genE10ELNS1_11target_archE1200ELNS1_3gpuE4ELNS1_3repE0EEENS1_30default_config_static_selectorELNS0_4arch9wavefront6targetE0EEEvSY_.uses_flat_scratch, 0
	.set _ZN7rocprim17ROCPRIM_400000_NS6detail17trampoline_kernelINS0_13select_configILj256ELj13ELNS0_17block_load_methodE3ELS4_3ELS4_3ELNS0_20block_scan_algorithmE0ELj4294967295EEENS1_25partition_config_selectorILNS1_17partition_subalgoE3EjNS0_10empty_typeEbEEZZNS1_14partition_implILS8_3ELb0ES6_jNS0_17counting_iteratorIjlEEPS9_SE_NS0_5tupleIJPjSE_EEENSF_IJSE_SE_EEES9_SG_JZNS1_25segmented_radix_sort_implINS0_14default_configELb0EPKsPsPKlPlN2at6native12_GLOBAL__N_18offset_tEEE10hipError_tPvRmT1_PNSt15iterator_traitsISY_E10value_typeET2_T3_PNSZ_IS14_E10value_typeET4_jRbjT5_S1A_jjP12ihipStream_tbEUljE_EEESV_SW_SX_S14_S18_S1A_T6_T7_T9_mT8_S1C_bDpT10_ENKUlT_T0_E_clISt17integral_constantIbLb0EES1P_EEDaS1K_S1L_EUlS1K_E_NS1_11comp_targetILNS1_3genE10ELNS1_11target_archE1200ELNS1_3gpuE4ELNS1_3repE0EEENS1_30default_config_static_selectorELNS0_4arch9wavefront6targetE0EEEvSY_.has_dyn_sized_stack, 0
	.set _ZN7rocprim17ROCPRIM_400000_NS6detail17trampoline_kernelINS0_13select_configILj256ELj13ELNS0_17block_load_methodE3ELS4_3ELS4_3ELNS0_20block_scan_algorithmE0ELj4294967295EEENS1_25partition_config_selectorILNS1_17partition_subalgoE3EjNS0_10empty_typeEbEEZZNS1_14partition_implILS8_3ELb0ES6_jNS0_17counting_iteratorIjlEEPS9_SE_NS0_5tupleIJPjSE_EEENSF_IJSE_SE_EEES9_SG_JZNS1_25segmented_radix_sort_implINS0_14default_configELb0EPKsPsPKlPlN2at6native12_GLOBAL__N_18offset_tEEE10hipError_tPvRmT1_PNSt15iterator_traitsISY_E10value_typeET2_T3_PNSZ_IS14_E10value_typeET4_jRbjT5_S1A_jjP12ihipStream_tbEUljE_EEESV_SW_SX_S14_S18_S1A_T6_T7_T9_mT8_S1C_bDpT10_ENKUlT_T0_E_clISt17integral_constantIbLb0EES1P_EEDaS1K_S1L_EUlS1K_E_NS1_11comp_targetILNS1_3genE10ELNS1_11target_archE1200ELNS1_3gpuE4ELNS1_3repE0EEENS1_30default_config_static_selectorELNS0_4arch9wavefront6targetE0EEEvSY_.has_recursion, 0
	.set _ZN7rocprim17ROCPRIM_400000_NS6detail17trampoline_kernelINS0_13select_configILj256ELj13ELNS0_17block_load_methodE3ELS4_3ELS4_3ELNS0_20block_scan_algorithmE0ELj4294967295EEENS1_25partition_config_selectorILNS1_17partition_subalgoE3EjNS0_10empty_typeEbEEZZNS1_14partition_implILS8_3ELb0ES6_jNS0_17counting_iteratorIjlEEPS9_SE_NS0_5tupleIJPjSE_EEENSF_IJSE_SE_EEES9_SG_JZNS1_25segmented_radix_sort_implINS0_14default_configELb0EPKsPsPKlPlN2at6native12_GLOBAL__N_18offset_tEEE10hipError_tPvRmT1_PNSt15iterator_traitsISY_E10value_typeET2_T3_PNSZ_IS14_E10value_typeET4_jRbjT5_S1A_jjP12ihipStream_tbEUljE_EEESV_SW_SX_S14_S18_S1A_T6_T7_T9_mT8_S1C_bDpT10_ENKUlT_T0_E_clISt17integral_constantIbLb0EES1P_EEDaS1K_S1L_EUlS1K_E_NS1_11comp_targetILNS1_3genE10ELNS1_11target_archE1200ELNS1_3gpuE4ELNS1_3repE0EEENS1_30default_config_static_selectorELNS0_4arch9wavefront6targetE0EEEvSY_.has_indirect_call, 0
	.section	.AMDGPU.csdata,"",@progbits
; Kernel info:
; codeLenInByte = 10676
; TotalNumSgprs: 28
; NumVgprs: 69
; ScratchSize: 0
; MemoryBound: 0
; FloatMode: 240
; IeeeMode: 1
; LDSByteSize: 13320 bytes/workgroup (compile time only)
; SGPRBlocks: 0
; VGPRBlocks: 8
; NumSGPRsForWavesPerEU: 28
; NumVGPRsForWavesPerEU: 69
; Occupancy: 16
; WaveLimiterHint : 0
; COMPUTE_PGM_RSRC2:SCRATCH_EN: 0
; COMPUTE_PGM_RSRC2:USER_SGPR: 2
; COMPUTE_PGM_RSRC2:TRAP_HANDLER: 0
; COMPUTE_PGM_RSRC2:TGID_X_EN: 1
; COMPUTE_PGM_RSRC2:TGID_Y_EN: 0
; COMPUTE_PGM_RSRC2:TGID_Z_EN: 0
; COMPUTE_PGM_RSRC2:TIDIG_COMP_CNT: 0
	.section	.text._ZN7rocprim17ROCPRIM_400000_NS6detail17trampoline_kernelINS0_13select_configILj256ELj13ELNS0_17block_load_methodE3ELS4_3ELS4_3ELNS0_20block_scan_algorithmE0ELj4294967295EEENS1_25partition_config_selectorILNS1_17partition_subalgoE3EjNS0_10empty_typeEbEEZZNS1_14partition_implILS8_3ELb0ES6_jNS0_17counting_iteratorIjlEEPS9_SE_NS0_5tupleIJPjSE_EEENSF_IJSE_SE_EEES9_SG_JZNS1_25segmented_radix_sort_implINS0_14default_configELb0EPKsPsPKlPlN2at6native12_GLOBAL__N_18offset_tEEE10hipError_tPvRmT1_PNSt15iterator_traitsISY_E10value_typeET2_T3_PNSZ_IS14_E10value_typeET4_jRbjT5_S1A_jjP12ihipStream_tbEUljE_EEESV_SW_SX_S14_S18_S1A_T6_T7_T9_mT8_S1C_bDpT10_ENKUlT_T0_E_clISt17integral_constantIbLb0EES1P_EEDaS1K_S1L_EUlS1K_E_NS1_11comp_targetILNS1_3genE9ELNS1_11target_archE1100ELNS1_3gpuE3ELNS1_3repE0EEENS1_30default_config_static_selectorELNS0_4arch9wavefront6targetE0EEEvSY_,"axG",@progbits,_ZN7rocprim17ROCPRIM_400000_NS6detail17trampoline_kernelINS0_13select_configILj256ELj13ELNS0_17block_load_methodE3ELS4_3ELS4_3ELNS0_20block_scan_algorithmE0ELj4294967295EEENS1_25partition_config_selectorILNS1_17partition_subalgoE3EjNS0_10empty_typeEbEEZZNS1_14partition_implILS8_3ELb0ES6_jNS0_17counting_iteratorIjlEEPS9_SE_NS0_5tupleIJPjSE_EEENSF_IJSE_SE_EEES9_SG_JZNS1_25segmented_radix_sort_implINS0_14default_configELb0EPKsPsPKlPlN2at6native12_GLOBAL__N_18offset_tEEE10hipError_tPvRmT1_PNSt15iterator_traitsISY_E10value_typeET2_T3_PNSZ_IS14_E10value_typeET4_jRbjT5_S1A_jjP12ihipStream_tbEUljE_EEESV_SW_SX_S14_S18_S1A_T6_T7_T9_mT8_S1C_bDpT10_ENKUlT_T0_E_clISt17integral_constantIbLb0EES1P_EEDaS1K_S1L_EUlS1K_E_NS1_11comp_targetILNS1_3genE9ELNS1_11target_archE1100ELNS1_3gpuE3ELNS1_3repE0EEENS1_30default_config_static_selectorELNS0_4arch9wavefront6targetE0EEEvSY_,comdat
	.globl	_ZN7rocprim17ROCPRIM_400000_NS6detail17trampoline_kernelINS0_13select_configILj256ELj13ELNS0_17block_load_methodE3ELS4_3ELS4_3ELNS0_20block_scan_algorithmE0ELj4294967295EEENS1_25partition_config_selectorILNS1_17partition_subalgoE3EjNS0_10empty_typeEbEEZZNS1_14partition_implILS8_3ELb0ES6_jNS0_17counting_iteratorIjlEEPS9_SE_NS0_5tupleIJPjSE_EEENSF_IJSE_SE_EEES9_SG_JZNS1_25segmented_radix_sort_implINS0_14default_configELb0EPKsPsPKlPlN2at6native12_GLOBAL__N_18offset_tEEE10hipError_tPvRmT1_PNSt15iterator_traitsISY_E10value_typeET2_T3_PNSZ_IS14_E10value_typeET4_jRbjT5_S1A_jjP12ihipStream_tbEUljE_EEESV_SW_SX_S14_S18_S1A_T6_T7_T9_mT8_S1C_bDpT10_ENKUlT_T0_E_clISt17integral_constantIbLb0EES1P_EEDaS1K_S1L_EUlS1K_E_NS1_11comp_targetILNS1_3genE9ELNS1_11target_archE1100ELNS1_3gpuE3ELNS1_3repE0EEENS1_30default_config_static_selectorELNS0_4arch9wavefront6targetE0EEEvSY_ ; -- Begin function _ZN7rocprim17ROCPRIM_400000_NS6detail17trampoline_kernelINS0_13select_configILj256ELj13ELNS0_17block_load_methodE3ELS4_3ELS4_3ELNS0_20block_scan_algorithmE0ELj4294967295EEENS1_25partition_config_selectorILNS1_17partition_subalgoE3EjNS0_10empty_typeEbEEZZNS1_14partition_implILS8_3ELb0ES6_jNS0_17counting_iteratorIjlEEPS9_SE_NS0_5tupleIJPjSE_EEENSF_IJSE_SE_EEES9_SG_JZNS1_25segmented_radix_sort_implINS0_14default_configELb0EPKsPsPKlPlN2at6native12_GLOBAL__N_18offset_tEEE10hipError_tPvRmT1_PNSt15iterator_traitsISY_E10value_typeET2_T3_PNSZ_IS14_E10value_typeET4_jRbjT5_S1A_jjP12ihipStream_tbEUljE_EEESV_SW_SX_S14_S18_S1A_T6_T7_T9_mT8_S1C_bDpT10_ENKUlT_T0_E_clISt17integral_constantIbLb0EES1P_EEDaS1K_S1L_EUlS1K_E_NS1_11comp_targetILNS1_3genE9ELNS1_11target_archE1100ELNS1_3gpuE3ELNS1_3repE0EEENS1_30default_config_static_selectorELNS0_4arch9wavefront6targetE0EEEvSY_
	.p2align	8
	.type	_ZN7rocprim17ROCPRIM_400000_NS6detail17trampoline_kernelINS0_13select_configILj256ELj13ELNS0_17block_load_methodE3ELS4_3ELS4_3ELNS0_20block_scan_algorithmE0ELj4294967295EEENS1_25partition_config_selectorILNS1_17partition_subalgoE3EjNS0_10empty_typeEbEEZZNS1_14partition_implILS8_3ELb0ES6_jNS0_17counting_iteratorIjlEEPS9_SE_NS0_5tupleIJPjSE_EEENSF_IJSE_SE_EEES9_SG_JZNS1_25segmented_radix_sort_implINS0_14default_configELb0EPKsPsPKlPlN2at6native12_GLOBAL__N_18offset_tEEE10hipError_tPvRmT1_PNSt15iterator_traitsISY_E10value_typeET2_T3_PNSZ_IS14_E10value_typeET4_jRbjT5_S1A_jjP12ihipStream_tbEUljE_EEESV_SW_SX_S14_S18_S1A_T6_T7_T9_mT8_S1C_bDpT10_ENKUlT_T0_E_clISt17integral_constantIbLb0EES1P_EEDaS1K_S1L_EUlS1K_E_NS1_11comp_targetILNS1_3genE9ELNS1_11target_archE1100ELNS1_3gpuE3ELNS1_3repE0EEENS1_30default_config_static_selectorELNS0_4arch9wavefront6targetE0EEEvSY_,@function
_ZN7rocprim17ROCPRIM_400000_NS6detail17trampoline_kernelINS0_13select_configILj256ELj13ELNS0_17block_load_methodE3ELS4_3ELS4_3ELNS0_20block_scan_algorithmE0ELj4294967295EEENS1_25partition_config_selectorILNS1_17partition_subalgoE3EjNS0_10empty_typeEbEEZZNS1_14partition_implILS8_3ELb0ES6_jNS0_17counting_iteratorIjlEEPS9_SE_NS0_5tupleIJPjSE_EEENSF_IJSE_SE_EEES9_SG_JZNS1_25segmented_radix_sort_implINS0_14default_configELb0EPKsPsPKlPlN2at6native12_GLOBAL__N_18offset_tEEE10hipError_tPvRmT1_PNSt15iterator_traitsISY_E10value_typeET2_T3_PNSZ_IS14_E10value_typeET4_jRbjT5_S1A_jjP12ihipStream_tbEUljE_EEESV_SW_SX_S14_S18_S1A_T6_T7_T9_mT8_S1C_bDpT10_ENKUlT_T0_E_clISt17integral_constantIbLb0EES1P_EEDaS1K_S1L_EUlS1K_E_NS1_11comp_targetILNS1_3genE9ELNS1_11target_archE1100ELNS1_3gpuE3ELNS1_3repE0EEENS1_30default_config_static_selectorELNS0_4arch9wavefront6targetE0EEEvSY_: ; @_ZN7rocprim17ROCPRIM_400000_NS6detail17trampoline_kernelINS0_13select_configILj256ELj13ELNS0_17block_load_methodE3ELS4_3ELS4_3ELNS0_20block_scan_algorithmE0ELj4294967295EEENS1_25partition_config_selectorILNS1_17partition_subalgoE3EjNS0_10empty_typeEbEEZZNS1_14partition_implILS8_3ELb0ES6_jNS0_17counting_iteratorIjlEEPS9_SE_NS0_5tupleIJPjSE_EEENSF_IJSE_SE_EEES9_SG_JZNS1_25segmented_radix_sort_implINS0_14default_configELb0EPKsPsPKlPlN2at6native12_GLOBAL__N_18offset_tEEE10hipError_tPvRmT1_PNSt15iterator_traitsISY_E10value_typeET2_T3_PNSZ_IS14_E10value_typeET4_jRbjT5_S1A_jjP12ihipStream_tbEUljE_EEESV_SW_SX_S14_S18_S1A_T6_T7_T9_mT8_S1C_bDpT10_ENKUlT_T0_E_clISt17integral_constantIbLb0EES1P_EEDaS1K_S1L_EUlS1K_E_NS1_11comp_targetILNS1_3genE9ELNS1_11target_archE1100ELNS1_3gpuE3ELNS1_3repE0EEENS1_30default_config_static_selectorELNS0_4arch9wavefront6targetE0EEEvSY_
; %bb.0:
	.section	.rodata,"a",@progbits
	.p2align	6, 0x0
	.amdhsa_kernel _ZN7rocprim17ROCPRIM_400000_NS6detail17trampoline_kernelINS0_13select_configILj256ELj13ELNS0_17block_load_methodE3ELS4_3ELS4_3ELNS0_20block_scan_algorithmE0ELj4294967295EEENS1_25partition_config_selectorILNS1_17partition_subalgoE3EjNS0_10empty_typeEbEEZZNS1_14partition_implILS8_3ELb0ES6_jNS0_17counting_iteratorIjlEEPS9_SE_NS0_5tupleIJPjSE_EEENSF_IJSE_SE_EEES9_SG_JZNS1_25segmented_radix_sort_implINS0_14default_configELb0EPKsPsPKlPlN2at6native12_GLOBAL__N_18offset_tEEE10hipError_tPvRmT1_PNSt15iterator_traitsISY_E10value_typeET2_T3_PNSZ_IS14_E10value_typeET4_jRbjT5_S1A_jjP12ihipStream_tbEUljE_EEESV_SW_SX_S14_S18_S1A_T6_T7_T9_mT8_S1C_bDpT10_ENKUlT_T0_E_clISt17integral_constantIbLb0EES1P_EEDaS1K_S1L_EUlS1K_E_NS1_11comp_targetILNS1_3genE9ELNS1_11target_archE1100ELNS1_3gpuE3ELNS1_3repE0EEENS1_30default_config_static_selectorELNS0_4arch9wavefront6targetE0EEEvSY_
		.amdhsa_group_segment_fixed_size 0
		.amdhsa_private_segment_fixed_size 0
		.amdhsa_kernarg_size 144
		.amdhsa_user_sgpr_count 2
		.amdhsa_user_sgpr_dispatch_ptr 0
		.amdhsa_user_sgpr_queue_ptr 0
		.amdhsa_user_sgpr_kernarg_segment_ptr 1
		.amdhsa_user_sgpr_dispatch_id 0
		.amdhsa_user_sgpr_private_segment_size 0
		.amdhsa_wavefront_size32 1
		.amdhsa_uses_dynamic_stack 0
		.amdhsa_enable_private_segment 0
		.amdhsa_system_sgpr_workgroup_id_x 1
		.amdhsa_system_sgpr_workgroup_id_y 0
		.amdhsa_system_sgpr_workgroup_id_z 0
		.amdhsa_system_sgpr_workgroup_info 0
		.amdhsa_system_vgpr_workitem_id 0
		.amdhsa_next_free_vgpr 1
		.amdhsa_next_free_sgpr 1
		.amdhsa_reserve_vcc 0
		.amdhsa_float_round_mode_32 0
		.amdhsa_float_round_mode_16_64 0
		.amdhsa_float_denorm_mode_32 3
		.amdhsa_float_denorm_mode_16_64 3
		.amdhsa_fp16_overflow 0
		.amdhsa_workgroup_processor_mode 1
		.amdhsa_memory_ordered 1
		.amdhsa_forward_progress 1
		.amdhsa_inst_pref_size 0
		.amdhsa_round_robin_scheduling 0
		.amdhsa_exception_fp_ieee_invalid_op 0
		.amdhsa_exception_fp_denorm_src 0
		.amdhsa_exception_fp_ieee_div_zero 0
		.amdhsa_exception_fp_ieee_overflow 0
		.amdhsa_exception_fp_ieee_underflow 0
		.amdhsa_exception_fp_ieee_inexact 0
		.amdhsa_exception_int_div_zero 0
	.end_amdhsa_kernel
	.section	.text._ZN7rocprim17ROCPRIM_400000_NS6detail17trampoline_kernelINS0_13select_configILj256ELj13ELNS0_17block_load_methodE3ELS4_3ELS4_3ELNS0_20block_scan_algorithmE0ELj4294967295EEENS1_25partition_config_selectorILNS1_17partition_subalgoE3EjNS0_10empty_typeEbEEZZNS1_14partition_implILS8_3ELb0ES6_jNS0_17counting_iteratorIjlEEPS9_SE_NS0_5tupleIJPjSE_EEENSF_IJSE_SE_EEES9_SG_JZNS1_25segmented_radix_sort_implINS0_14default_configELb0EPKsPsPKlPlN2at6native12_GLOBAL__N_18offset_tEEE10hipError_tPvRmT1_PNSt15iterator_traitsISY_E10value_typeET2_T3_PNSZ_IS14_E10value_typeET4_jRbjT5_S1A_jjP12ihipStream_tbEUljE_EEESV_SW_SX_S14_S18_S1A_T6_T7_T9_mT8_S1C_bDpT10_ENKUlT_T0_E_clISt17integral_constantIbLb0EES1P_EEDaS1K_S1L_EUlS1K_E_NS1_11comp_targetILNS1_3genE9ELNS1_11target_archE1100ELNS1_3gpuE3ELNS1_3repE0EEENS1_30default_config_static_selectorELNS0_4arch9wavefront6targetE0EEEvSY_,"axG",@progbits,_ZN7rocprim17ROCPRIM_400000_NS6detail17trampoline_kernelINS0_13select_configILj256ELj13ELNS0_17block_load_methodE3ELS4_3ELS4_3ELNS0_20block_scan_algorithmE0ELj4294967295EEENS1_25partition_config_selectorILNS1_17partition_subalgoE3EjNS0_10empty_typeEbEEZZNS1_14partition_implILS8_3ELb0ES6_jNS0_17counting_iteratorIjlEEPS9_SE_NS0_5tupleIJPjSE_EEENSF_IJSE_SE_EEES9_SG_JZNS1_25segmented_radix_sort_implINS0_14default_configELb0EPKsPsPKlPlN2at6native12_GLOBAL__N_18offset_tEEE10hipError_tPvRmT1_PNSt15iterator_traitsISY_E10value_typeET2_T3_PNSZ_IS14_E10value_typeET4_jRbjT5_S1A_jjP12ihipStream_tbEUljE_EEESV_SW_SX_S14_S18_S1A_T6_T7_T9_mT8_S1C_bDpT10_ENKUlT_T0_E_clISt17integral_constantIbLb0EES1P_EEDaS1K_S1L_EUlS1K_E_NS1_11comp_targetILNS1_3genE9ELNS1_11target_archE1100ELNS1_3gpuE3ELNS1_3repE0EEENS1_30default_config_static_selectorELNS0_4arch9wavefront6targetE0EEEvSY_,comdat
.Lfunc_end988:
	.size	_ZN7rocprim17ROCPRIM_400000_NS6detail17trampoline_kernelINS0_13select_configILj256ELj13ELNS0_17block_load_methodE3ELS4_3ELS4_3ELNS0_20block_scan_algorithmE0ELj4294967295EEENS1_25partition_config_selectorILNS1_17partition_subalgoE3EjNS0_10empty_typeEbEEZZNS1_14partition_implILS8_3ELb0ES6_jNS0_17counting_iteratorIjlEEPS9_SE_NS0_5tupleIJPjSE_EEENSF_IJSE_SE_EEES9_SG_JZNS1_25segmented_radix_sort_implINS0_14default_configELb0EPKsPsPKlPlN2at6native12_GLOBAL__N_18offset_tEEE10hipError_tPvRmT1_PNSt15iterator_traitsISY_E10value_typeET2_T3_PNSZ_IS14_E10value_typeET4_jRbjT5_S1A_jjP12ihipStream_tbEUljE_EEESV_SW_SX_S14_S18_S1A_T6_T7_T9_mT8_S1C_bDpT10_ENKUlT_T0_E_clISt17integral_constantIbLb0EES1P_EEDaS1K_S1L_EUlS1K_E_NS1_11comp_targetILNS1_3genE9ELNS1_11target_archE1100ELNS1_3gpuE3ELNS1_3repE0EEENS1_30default_config_static_selectorELNS0_4arch9wavefront6targetE0EEEvSY_, .Lfunc_end988-_ZN7rocprim17ROCPRIM_400000_NS6detail17trampoline_kernelINS0_13select_configILj256ELj13ELNS0_17block_load_methodE3ELS4_3ELS4_3ELNS0_20block_scan_algorithmE0ELj4294967295EEENS1_25partition_config_selectorILNS1_17partition_subalgoE3EjNS0_10empty_typeEbEEZZNS1_14partition_implILS8_3ELb0ES6_jNS0_17counting_iteratorIjlEEPS9_SE_NS0_5tupleIJPjSE_EEENSF_IJSE_SE_EEES9_SG_JZNS1_25segmented_radix_sort_implINS0_14default_configELb0EPKsPsPKlPlN2at6native12_GLOBAL__N_18offset_tEEE10hipError_tPvRmT1_PNSt15iterator_traitsISY_E10value_typeET2_T3_PNSZ_IS14_E10value_typeET4_jRbjT5_S1A_jjP12ihipStream_tbEUljE_EEESV_SW_SX_S14_S18_S1A_T6_T7_T9_mT8_S1C_bDpT10_ENKUlT_T0_E_clISt17integral_constantIbLb0EES1P_EEDaS1K_S1L_EUlS1K_E_NS1_11comp_targetILNS1_3genE9ELNS1_11target_archE1100ELNS1_3gpuE3ELNS1_3repE0EEENS1_30default_config_static_selectorELNS0_4arch9wavefront6targetE0EEEvSY_
                                        ; -- End function
	.set _ZN7rocprim17ROCPRIM_400000_NS6detail17trampoline_kernelINS0_13select_configILj256ELj13ELNS0_17block_load_methodE3ELS4_3ELS4_3ELNS0_20block_scan_algorithmE0ELj4294967295EEENS1_25partition_config_selectorILNS1_17partition_subalgoE3EjNS0_10empty_typeEbEEZZNS1_14partition_implILS8_3ELb0ES6_jNS0_17counting_iteratorIjlEEPS9_SE_NS0_5tupleIJPjSE_EEENSF_IJSE_SE_EEES9_SG_JZNS1_25segmented_radix_sort_implINS0_14default_configELb0EPKsPsPKlPlN2at6native12_GLOBAL__N_18offset_tEEE10hipError_tPvRmT1_PNSt15iterator_traitsISY_E10value_typeET2_T3_PNSZ_IS14_E10value_typeET4_jRbjT5_S1A_jjP12ihipStream_tbEUljE_EEESV_SW_SX_S14_S18_S1A_T6_T7_T9_mT8_S1C_bDpT10_ENKUlT_T0_E_clISt17integral_constantIbLb0EES1P_EEDaS1K_S1L_EUlS1K_E_NS1_11comp_targetILNS1_3genE9ELNS1_11target_archE1100ELNS1_3gpuE3ELNS1_3repE0EEENS1_30default_config_static_selectorELNS0_4arch9wavefront6targetE0EEEvSY_.num_vgpr, 0
	.set _ZN7rocprim17ROCPRIM_400000_NS6detail17trampoline_kernelINS0_13select_configILj256ELj13ELNS0_17block_load_methodE3ELS4_3ELS4_3ELNS0_20block_scan_algorithmE0ELj4294967295EEENS1_25partition_config_selectorILNS1_17partition_subalgoE3EjNS0_10empty_typeEbEEZZNS1_14partition_implILS8_3ELb0ES6_jNS0_17counting_iteratorIjlEEPS9_SE_NS0_5tupleIJPjSE_EEENSF_IJSE_SE_EEES9_SG_JZNS1_25segmented_radix_sort_implINS0_14default_configELb0EPKsPsPKlPlN2at6native12_GLOBAL__N_18offset_tEEE10hipError_tPvRmT1_PNSt15iterator_traitsISY_E10value_typeET2_T3_PNSZ_IS14_E10value_typeET4_jRbjT5_S1A_jjP12ihipStream_tbEUljE_EEESV_SW_SX_S14_S18_S1A_T6_T7_T9_mT8_S1C_bDpT10_ENKUlT_T0_E_clISt17integral_constantIbLb0EES1P_EEDaS1K_S1L_EUlS1K_E_NS1_11comp_targetILNS1_3genE9ELNS1_11target_archE1100ELNS1_3gpuE3ELNS1_3repE0EEENS1_30default_config_static_selectorELNS0_4arch9wavefront6targetE0EEEvSY_.num_agpr, 0
	.set _ZN7rocprim17ROCPRIM_400000_NS6detail17trampoline_kernelINS0_13select_configILj256ELj13ELNS0_17block_load_methodE3ELS4_3ELS4_3ELNS0_20block_scan_algorithmE0ELj4294967295EEENS1_25partition_config_selectorILNS1_17partition_subalgoE3EjNS0_10empty_typeEbEEZZNS1_14partition_implILS8_3ELb0ES6_jNS0_17counting_iteratorIjlEEPS9_SE_NS0_5tupleIJPjSE_EEENSF_IJSE_SE_EEES9_SG_JZNS1_25segmented_radix_sort_implINS0_14default_configELb0EPKsPsPKlPlN2at6native12_GLOBAL__N_18offset_tEEE10hipError_tPvRmT1_PNSt15iterator_traitsISY_E10value_typeET2_T3_PNSZ_IS14_E10value_typeET4_jRbjT5_S1A_jjP12ihipStream_tbEUljE_EEESV_SW_SX_S14_S18_S1A_T6_T7_T9_mT8_S1C_bDpT10_ENKUlT_T0_E_clISt17integral_constantIbLb0EES1P_EEDaS1K_S1L_EUlS1K_E_NS1_11comp_targetILNS1_3genE9ELNS1_11target_archE1100ELNS1_3gpuE3ELNS1_3repE0EEENS1_30default_config_static_selectorELNS0_4arch9wavefront6targetE0EEEvSY_.numbered_sgpr, 0
	.set _ZN7rocprim17ROCPRIM_400000_NS6detail17trampoline_kernelINS0_13select_configILj256ELj13ELNS0_17block_load_methodE3ELS4_3ELS4_3ELNS0_20block_scan_algorithmE0ELj4294967295EEENS1_25partition_config_selectorILNS1_17partition_subalgoE3EjNS0_10empty_typeEbEEZZNS1_14partition_implILS8_3ELb0ES6_jNS0_17counting_iteratorIjlEEPS9_SE_NS0_5tupleIJPjSE_EEENSF_IJSE_SE_EEES9_SG_JZNS1_25segmented_radix_sort_implINS0_14default_configELb0EPKsPsPKlPlN2at6native12_GLOBAL__N_18offset_tEEE10hipError_tPvRmT1_PNSt15iterator_traitsISY_E10value_typeET2_T3_PNSZ_IS14_E10value_typeET4_jRbjT5_S1A_jjP12ihipStream_tbEUljE_EEESV_SW_SX_S14_S18_S1A_T6_T7_T9_mT8_S1C_bDpT10_ENKUlT_T0_E_clISt17integral_constantIbLb0EES1P_EEDaS1K_S1L_EUlS1K_E_NS1_11comp_targetILNS1_3genE9ELNS1_11target_archE1100ELNS1_3gpuE3ELNS1_3repE0EEENS1_30default_config_static_selectorELNS0_4arch9wavefront6targetE0EEEvSY_.num_named_barrier, 0
	.set _ZN7rocprim17ROCPRIM_400000_NS6detail17trampoline_kernelINS0_13select_configILj256ELj13ELNS0_17block_load_methodE3ELS4_3ELS4_3ELNS0_20block_scan_algorithmE0ELj4294967295EEENS1_25partition_config_selectorILNS1_17partition_subalgoE3EjNS0_10empty_typeEbEEZZNS1_14partition_implILS8_3ELb0ES6_jNS0_17counting_iteratorIjlEEPS9_SE_NS0_5tupleIJPjSE_EEENSF_IJSE_SE_EEES9_SG_JZNS1_25segmented_radix_sort_implINS0_14default_configELb0EPKsPsPKlPlN2at6native12_GLOBAL__N_18offset_tEEE10hipError_tPvRmT1_PNSt15iterator_traitsISY_E10value_typeET2_T3_PNSZ_IS14_E10value_typeET4_jRbjT5_S1A_jjP12ihipStream_tbEUljE_EEESV_SW_SX_S14_S18_S1A_T6_T7_T9_mT8_S1C_bDpT10_ENKUlT_T0_E_clISt17integral_constantIbLb0EES1P_EEDaS1K_S1L_EUlS1K_E_NS1_11comp_targetILNS1_3genE9ELNS1_11target_archE1100ELNS1_3gpuE3ELNS1_3repE0EEENS1_30default_config_static_selectorELNS0_4arch9wavefront6targetE0EEEvSY_.private_seg_size, 0
	.set _ZN7rocprim17ROCPRIM_400000_NS6detail17trampoline_kernelINS0_13select_configILj256ELj13ELNS0_17block_load_methodE3ELS4_3ELS4_3ELNS0_20block_scan_algorithmE0ELj4294967295EEENS1_25partition_config_selectorILNS1_17partition_subalgoE3EjNS0_10empty_typeEbEEZZNS1_14partition_implILS8_3ELb0ES6_jNS0_17counting_iteratorIjlEEPS9_SE_NS0_5tupleIJPjSE_EEENSF_IJSE_SE_EEES9_SG_JZNS1_25segmented_radix_sort_implINS0_14default_configELb0EPKsPsPKlPlN2at6native12_GLOBAL__N_18offset_tEEE10hipError_tPvRmT1_PNSt15iterator_traitsISY_E10value_typeET2_T3_PNSZ_IS14_E10value_typeET4_jRbjT5_S1A_jjP12ihipStream_tbEUljE_EEESV_SW_SX_S14_S18_S1A_T6_T7_T9_mT8_S1C_bDpT10_ENKUlT_T0_E_clISt17integral_constantIbLb0EES1P_EEDaS1K_S1L_EUlS1K_E_NS1_11comp_targetILNS1_3genE9ELNS1_11target_archE1100ELNS1_3gpuE3ELNS1_3repE0EEENS1_30default_config_static_selectorELNS0_4arch9wavefront6targetE0EEEvSY_.uses_vcc, 0
	.set _ZN7rocprim17ROCPRIM_400000_NS6detail17trampoline_kernelINS0_13select_configILj256ELj13ELNS0_17block_load_methodE3ELS4_3ELS4_3ELNS0_20block_scan_algorithmE0ELj4294967295EEENS1_25partition_config_selectorILNS1_17partition_subalgoE3EjNS0_10empty_typeEbEEZZNS1_14partition_implILS8_3ELb0ES6_jNS0_17counting_iteratorIjlEEPS9_SE_NS0_5tupleIJPjSE_EEENSF_IJSE_SE_EEES9_SG_JZNS1_25segmented_radix_sort_implINS0_14default_configELb0EPKsPsPKlPlN2at6native12_GLOBAL__N_18offset_tEEE10hipError_tPvRmT1_PNSt15iterator_traitsISY_E10value_typeET2_T3_PNSZ_IS14_E10value_typeET4_jRbjT5_S1A_jjP12ihipStream_tbEUljE_EEESV_SW_SX_S14_S18_S1A_T6_T7_T9_mT8_S1C_bDpT10_ENKUlT_T0_E_clISt17integral_constantIbLb0EES1P_EEDaS1K_S1L_EUlS1K_E_NS1_11comp_targetILNS1_3genE9ELNS1_11target_archE1100ELNS1_3gpuE3ELNS1_3repE0EEENS1_30default_config_static_selectorELNS0_4arch9wavefront6targetE0EEEvSY_.uses_flat_scratch, 0
	.set _ZN7rocprim17ROCPRIM_400000_NS6detail17trampoline_kernelINS0_13select_configILj256ELj13ELNS0_17block_load_methodE3ELS4_3ELS4_3ELNS0_20block_scan_algorithmE0ELj4294967295EEENS1_25partition_config_selectorILNS1_17partition_subalgoE3EjNS0_10empty_typeEbEEZZNS1_14partition_implILS8_3ELb0ES6_jNS0_17counting_iteratorIjlEEPS9_SE_NS0_5tupleIJPjSE_EEENSF_IJSE_SE_EEES9_SG_JZNS1_25segmented_radix_sort_implINS0_14default_configELb0EPKsPsPKlPlN2at6native12_GLOBAL__N_18offset_tEEE10hipError_tPvRmT1_PNSt15iterator_traitsISY_E10value_typeET2_T3_PNSZ_IS14_E10value_typeET4_jRbjT5_S1A_jjP12ihipStream_tbEUljE_EEESV_SW_SX_S14_S18_S1A_T6_T7_T9_mT8_S1C_bDpT10_ENKUlT_T0_E_clISt17integral_constantIbLb0EES1P_EEDaS1K_S1L_EUlS1K_E_NS1_11comp_targetILNS1_3genE9ELNS1_11target_archE1100ELNS1_3gpuE3ELNS1_3repE0EEENS1_30default_config_static_selectorELNS0_4arch9wavefront6targetE0EEEvSY_.has_dyn_sized_stack, 0
	.set _ZN7rocprim17ROCPRIM_400000_NS6detail17trampoline_kernelINS0_13select_configILj256ELj13ELNS0_17block_load_methodE3ELS4_3ELS4_3ELNS0_20block_scan_algorithmE0ELj4294967295EEENS1_25partition_config_selectorILNS1_17partition_subalgoE3EjNS0_10empty_typeEbEEZZNS1_14partition_implILS8_3ELb0ES6_jNS0_17counting_iteratorIjlEEPS9_SE_NS0_5tupleIJPjSE_EEENSF_IJSE_SE_EEES9_SG_JZNS1_25segmented_radix_sort_implINS0_14default_configELb0EPKsPsPKlPlN2at6native12_GLOBAL__N_18offset_tEEE10hipError_tPvRmT1_PNSt15iterator_traitsISY_E10value_typeET2_T3_PNSZ_IS14_E10value_typeET4_jRbjT5_S1A_jjP12ihipStream_tbEUljE_EEESV_SW_SX_S14_S18_S1A_T6_T7_T9_mT8_S1C_bDpT10_ENKUlT_T0_E_clISt17integral_constantIbLb0EES1P_EEDaS1K_S1L_EUlS1K_E_NS1_11comp_targetILNS1_3genE9ELNS1_11target_archE1100ELNS1_3gpuE3ELNS1_3repE0EEENS1_30default_config_static_selectorELNS0_4arch9wavefront6targetE0EEEvSY_.has_recursion, 0
	.set _ZN7rocprim17ROCPRIM_400000_NS6detail17trampoline_kernelINS0_13select_configILj256ELj13ELNS0_17block_load_methodE3ELS4_3ELS4_3ELNS0_20block_scan_algorithmE0ELj4294967295EEENS1_25partition_config_selectorILNS1_17partition_subalgoE3EjNS0_10empty_typeEbEEZZNS1_14partition_implILS8_3ELb0ES6_jNS0_17counting_iteratorIjlEEPS9_SE_NS0_5tupleIJPjSE_EEENSF_IJSE_SE_EEES9_SG_JZNS1_25segmented_radix_sort_implINS0_14default_configELb0EPKsPsPKlPlN2at6native12_GLOBAL__N_18offset_tEEE10hipError_tPvRmT1_PNSt15iterator_traitsISY_E10value_typeET2_T3_PNSZ_IS14_E10value_typeET4_jRbjT5_S1A_jjP12ihipStream_tbEUljE_EEESV_SW_SX_S14_S18_S1A_T6_T7_T9_mT8_S1C_bDpT10_ENKUlT_T0_E_clISt17integral_constantIbLb0EES1P_EEDaS1K_S1L_EUlS1K_E_NS1_11comp_targetILNS1_3genE9ELNS1_11target_archE1100ELNS1_3gpuE3ELNS1_3repE0EEENS1_30default_config_static_selectorELNS0_4arch9wavefront6targetE0EEEvSY_.has_indirect_call, 0
	.section	.AMDGPU.csdata,"",@progbits
; Kernel info:
; codeLenInByte = 0
; TotalNumSgprs: 0
; NumVgprs: 0
; ScratchSize: 0
; MemoryBound: 0
; FloatMode: 240
; IeeeMode: 1
; LDSByteSize: 0 bytes/workgroup (compile time only)
; SGPRBlocks: 0
; VGPRBlocks: 0
; NumSGPRsForWavesPerEU: 1
; NumVGPRsForWavesPerEU: 1
; Occupancy: 16
; WaveLimiterHint : 0
; COMPUTE_PGM_RSRC2:SCRATCH_EN: 0
; COMPUTE_PGM_RSRC2:USER_SGPR: 2
; COMPUTE_PGM_RSRC2:TRAP_HANDLER: 0
; COMPUTE_PGM_RSRC2:TGID_X_EN: 1
; COMPUTE_PGM_RSRC2:TGID_Y_EN: 0
; COMPUTE_PGM_RSRC2:TGID_Z_EN: 0
; COMPUTE_PGM_RSRC2:TIDIG_COMP_CNT: 0
	.section	.text._ZN7rocprim17ROCPRIM_400000_NS6detail17trampoline_kernelINS0_13select_configILj256ELj13ELNS0_17block_load_methodE3ELS4_3ELS4_3ELNS0_20block_scan_algorithmE0ELj4294967295EEENS1_25partition_config_selectorILNS1_17partition_subalgoE3EjNS0_10empty_typeEbEEZZNS1_14partition_implILS8_3ELb0ES6_jNS0_17counting_iteratorIjlEEPS9_SE_NS0_5tupleIJPjSE_EEENSF_IJSE_SE_EEES9_SG_JZNS1_25segmented_radix_sort_implINS0_14default_configELb0EPKsPsPKlPlN2at6native12_GLOBAL__N_18offset_tEEE10hipError_tPvRmT1_PNSt15iterator_traitsISY_E10value_typeET2_T3_PNSZ_IS14_E10value_typeET4_jRbjT5_S1A_jjP12ihipStream_tbEUljE_EEESV_SW_SX_S14_S18_S1A_T6_T7_T9_mT8_S1C_bDpT10_ENKUlT_T0_E_clISt17integral_constantIbLb0EES1P_EEDaS1K_S1L_EUlS1K_E_NS1_11comp_targetILNS1_3genE8ELNS1_11target_archE1030ELNS1_3gpuE2ELNS1_3repE0EEENS1_30default_config_static_selectorELNS0_4arch9wavefront6targetE0EEEvSY_,"axG",@progbits,_ZN7rocprim17ROCPRIM_400000_NS6detail17trampoline_kernelINS0_13select_configILj256ELj13ELNS0_17block_load_methodE3ELS4_3ELS4_3ELNS0_20block_scan_algorithmE0ELj4294967295EEENS1_25partition_config_selectorILNS1_17partition_subalgoE3EjNS0_10empty_typeEbEEZZNS1_14partition_implILS8_3ELb0ES6_jNS0_17counting_iteratorIjlEEPS9_SE_NS0_5tupleIJPjSE_EEENSF_IJSE_SE_EEES9_SG_JZNS1_25segmented_radix_sort_implINS0_14default_configELb0EPKsPsPKlPlN2at6native12_GLOBAL__N_18offset_tEEE10hipError_tPvRmT1_PNSt15iterator_traitsISY_E10value_typeET2_T3_PNSZ_IS14_E10value_typeET4_jRbjT5_S1A_jjP12ihipStream_tbEUljE_EEESV_SW_SX_S14_S18_S1A_T6_T7_T9_mT8_S1C_bDpT10_ENKUlT_T0_E_clISt17integral_constantIbLb0EES1P_EEDaS1K_S1L_EUlS1K_E_NS1_11comp_targetILNS1_3genE8ELNS1_11target_archE1030ELNS1_3gpuE2ELNS1_3repE0EEENS1_30default_config_static_selectorELNS0_4arch9wavefront6targetE0EEEvSY_,comdat
	.globl	_ZN7rocprim17ROCPRIM_400000_NS6detail17trampoline_kernelINS0_13select_configILj256ELj13ELNS0_17block_load_methodE3ELS4_3ELS4_3ELNS0_20block_scan_algorithmE0ELj4294967295EEENS1_25partition_config_selectorILNS1_17partition_subalgoE3EjNS0_10empty_typeEbEEZZNS1_14partition_implILS8_3ELb0ES6_jNS0_17counting_iteratorIjlEEPS9_SE_NS0_5tupleIJPjSE_EEENSF_IJSE_SE_EEES9_SG_JZNS1_25segmented_radix_sort_implINS0_14default_configELb0EPKsPsPKlPlN2at6native12_GLOBAL__N_18offset_tEEE10hipError_tPvRmT1_PNSt15iterator_traitsISY_E10value_typeET2_T3_PNSZ_IS14_E10value_typeET4_jRbjT5_S1A_jjP12ihipStream_tbEUljE_EEESV_SW_SX_S14_S18_S1A_T6_T7_T9_mT8_S1C_bDpT10_ENKUlT_T0_E_clISt17integral_constantIbLb0EES1P_EEDaS1K_S1L_EUlS1K_E_NS1_11comp_targetILNS1_3genE8ELNS1_11target_archE1030ELNS1_3gpuE2ELNS1_3repE0EEENS1_30default_config_static_selectorELNS0_4arch9wavefront6targetE0EEEvSY_ ; -- Begin function _ZN7rocprim17ROCPRIM_400000_NS6detail17trampoline_kernelINS0_13select_configILj256ELj13ELNS0_17block_load_methodE3ELS4_3ELS4_3ELNS0_20block_scan_algorithmE0ELj4294967295EEENS1_25partition_config_selectorILNS1_17partition_subalgoE3EjNS0_10empty_typeEbEEZZNS1_14partition_implILS8_3ELb0ES6_jNS0_17counting_iteratorIjlEEPS9_SE_NS0_5tupleIJPjSE_EEENSF_IJSE_SE_EEES9_SG_JZNS1_25segmented_radix_sort_implINS0_14default_configELb0EPKsPsPKlPlN2at6native12_GLOBAL__N_18offset_tEEE10hipError_tPvRmT1_PNSt15iterator_traitsISY_E10value_typeET2_T3_PNSZ_IS14_E10value_typeET4_jRbjT5_S1A_jjP12ihipStream_tbEUljE_EEESV_SW_SX_S14_S18_S1A_T6_T7_T9_mT8_S1C_bDpT10_ENKUlT_T0_E_clISt17integral_constantIbLb0EES1P_EEDaS1K_S1L_EUlS1K_E_NS1_11comp_targetILNS1_3genE8ELNS1_11target_archE1030ELNS1_3gpuE2ELNS1_3repE0EEENS1_30default_config_static_selectorELNS0_4arch9wavefront6targetE0EEEvSY_
	.p2align	8
	.type	_ZN7rocprim17ROCPRIM_400000_NS6detail17trampoline_kernelINS0_13select_configILj256ELj13ELNS0_17block_load_methodE3ELS4_3ELS4_3ELNS0_20block_scan_algorithmE0ELj4294967295EEENS1_25partition_config_selectorILNS1_17partition_subalgoE3EjNS0_10empty_typeEbEEZZNS1_14partition_implILS8_3ELb0ES6_jNS0_17counting_iteratorIjlEEPS9_SE_NS0_5tupleIJPjSE_EEENSF_IJSE_SE_EEES9_SG_JZNS1_25segmented_radix_sort_implINS0_14default_configELb0EPKsPsPKlPlN2at6native12_GLOBAL__N_18offset_tEEE10hipError_tPvRmT1_PNSt15iterator_traitsISY_E10value_typeET2_T3_PNSZ_IS14_E10value_typeET4_jRbjT5_S1A_jjP12ihipStream_tbEUljE_EEESV_SW_SX_S14_S18_S1A_T6_T7_T9_mT8_S1C_bDpT10_ENKUlT_T0_E_clISt17integral_constantIbLb0EES1P_EEDaS1K_S1L_EUlS1K_E_NS1_11comp_targetILNS1_3genE8ELNS1_11target_archE1030ELNS1_3gpuE2ELNS1_3repE0EEENS1_30default_config_static_selectorELNS0_4arch9wavefront6targetE0EEEvSY_,@function
_ZN7rocprim17ROCPRIM_400000_NS6detail17trampoline_kernelINS0_13select_configILj256ELj13ELNS0_17block_load_methodE3ELS4_3ELS4_3ELNS0_20block_scan_algorithmE0ELj4294967295EEENS1_25partition_config_selectorILNS1_17partition_subalgoE3EjNS0_10empty_typeEbEEZZNS1_14partition_implILS8_3ELb0ES6_jNS0_17counting_iteratorIjlEEPS9_SE_NS0_5tupleIJPjSE_EEENSF_IJSE_SE_EEES9_SG_JZNS1_25segmented_radix_sort_implINS0_14default_configELb0EPKsPsPKlPlN2at6native12_GLOBAL__N_18offset_tEEE10hipError_tPvRmT1_PNSt15iterator_traitsISY_E10value_typeET2_T3_PNSZ_IS14_E10value_typeET4_jRbjT5_S1A_jjP12ihipStream_tbEUljE_EEESV_SW_SX_S14_S18_S1A_T6_T7_T9_mT8_S1C_bDpT10_ENKUlT_T0_E_clISt17integral_constantIbLb0EES1P_EEDaS1K_S1L_EUlS1K_E_NS1_11comp_targetILNS1_3genE8ELNS1_11target_archE1030ELNS1_3gpuE2ELNS1_3repE0EEENS1_30default_config_static_selectorELNS0_4arch9wavefront6targetE0EEEvSY_: ; @_ZN7rocprim17ROCPRIM_400000_NS6detail17trampoline_kernelINS0_13select_configILj256ELj13ELNS0_17block_load_methodE3ELS4_3ELS4_3ELNS0_20block_scan_algorithmE0ELj4294967295EEENS1_25partition_config_selectorILNS1_17partition_subalgoE3EjNS0_10empty_typeEbEEZZNS1_14partition_implILS8_3ELb0ES6_jNS0_17counting_iteratorIjlEEPS9_SE_NS0_5tupleIJPjSE_EEENSF_IJSE_SE_EEES9_SG_JZNS1_25segmented_radix_sort_implINS0_14default_configELb0EPKsPsPKlPlN2at6native12_GLOBAL__N_18offset_tEEE10hipError_tPvRmT1_PNSt15iterator_traitsISY_E10value_typeET2_T3_PNSZ_IS14_E10value_typeET4_jRbjT5_S1A_jjP12ihipStream_tbEUljE_EEESV_SW_SX_S14_S18_S1A_T6_T7_T9_mT8_S1C_bDpT10_ENKUlT_T0_E_clISt17integral_constantIbLb0EES1P_EEDaS1K_S1L_EUlS1K_E_NS1_11comp_targetILNS1_3genE8ELNS1_11target_archE1030ELNS1_3gpuE2ELNS1_3repE0EEENS1_30default_config_static_selectorELNS0_4arch9wavefront6targetE0EEEvSY_
; %bb.0:
	.section	.rodata,"a",@progbits
	.p2align	6, 0x0
	.amdhsa_kernel _ZN7rocprim17ROCPRIM_400000_NS6detail17trampoline_kernelINS0_13select_configILj256ELj13ELNS0_17block_load_methodE3ELS4_3ELS4_3ELNS0_20block_scan_algorithmE0ELj4294967295EEENS1_25partition_config_selectorILNS1_17partition_subalgoE3EjNS0_10empty_typeEbEEZZNS1_14partition_implILS8_3ELb0ES6_jNS0_17counting_iteratorIjlEEPS9_SE_NS0_5tupleIJPjSE_EEENSF_IJSE_SE_EEES9_SG_JZNS1_25segmented_radix_sort_implINS0_14default_configELb0EPKsPsPKlPlN2at6native12_GLOBAL__N_18offset_tEEE10hipError_tPvRmT1_PNSt15iterator_traitsISY_E10value_typeET2_T3_PNSZ_IS14_E10value_typeET4_jRbjT5_S1A_jjP12ihipStream_tbEUljE_EEESV_SW_SX_S14_S18_S1A_T6_T7_T9_mT8_S1C_bDpT10_ENKUlT_T0_E_clISt17integral_constantIbLb0EES1P_EEDaS1K_S1L_EUlS1K_E_NS1_11comp_targetILNS1_3genE8ELNS1_11target_archE1030ELNS1_3gpuE2ELNS1_3repE0EEENS1_30default_config_static_selectorELNS0_4arch9wavefront6targetE0EEEvSY_
		.amdhsa_group_segment_fixed_size 0
		.amdhsa_private_segment_fixed_size 0
		.amdhsa_kernarg_size 144
		.amdhsa_user_sgpr_count 2
		.amdhsa_user_sgpr_dispatch_ptr 0
		.amdhsa_user_sgpr_queue_ptr 0
		.amdhsa_user_sgpr_kernarg_segment_ptr 1
		.amdhsa_user_sgpr_dispatch_id 0
		.amdhsa_user_sgpr_private_segment_size 0
		.amdhsa_wavefront_size32 1
		.amdhsa_uses_dynamic_stack 0
		.amdhsa_enable_private_segment 0
		.amdhsa_system_sgpr_workgroup_id_x 1
		.amdhsa_system_sgpr_workgroup_id_y 0
		.amdhsa_system_sgpr_workgroup_id_z 0
		.amdhsa_system_sgpr_workgroup_info 0
		.amdhsa_system_vgpr_workitem_id 0
		.amdhsa_next_free_vgpr 1
		.amdhsa_next_free_sgpr 1
		.amdhsa_reserve_vcc 0
		.amdhsa_float_round_mode_32 0
		.amdhsa_float_round_mode_16_64 0
		.amdhsa_float_denorm_mode_32 3
		.amdhsa_float_denorm_mode_16_64 3
		.amdhsa_fp16_overflow 0
		.amdhsa_workgroup_processor_mode 1
		.amdhsa_memory_ordered 1
		.amdhsa_forward_progress 1
		.amdhsa_inst_pref_size 0
		.amdhsa_round_robin_scheduling 0
		.amdhsa_exception_fp_ieee_invalid_op 0
		.amdhsa_exception_fp_denorm_src 0
		.amdhsa_exception_fp_ieee_div_zero 0
		.amdhsa_exception_fp_ieee_overflow 0
		.amdhsa_exception_fp_ieee_underflow 0
		.amdhsa_exception_fp_ieee_inexact 0
		.amdhsa_exception_int_div_zero 0
	.end_amdhsa_kernel
	.section	.text._ZN7rocprim17ROCPRIM_400000_NS6detail17trampoline_kernelINS0_13select_configILj256ELj13ELNS0_17block_load_methodE3ELS4_3ELS4_3ELNS0_20block_scan_algorithmE0ELj4294967295EEENS1_25partition_config_selectorILNS1_17partition_subalgoE3EjNS0_10empty_typeEbEEZZNS1_14partition_implILS8_3ELb0ES6_jNS0_17counting_iteratorIjlEEPS9_SE_NS0_5tupleIJPjSE_EEENSF_IJSE_SE_EEES9_SG_JZNS1_25segmented_radix_sort_implINS0_14default_configELb0EPKsPsPKlPlN2at6native12_GLOBAL__N_18offset_tEEE10hipError_tPvRmT1_PNSt15iterator_traitsISY_E10value_typeET2_T3_PNSZ_IS14_E10value_typeET4_jRbjT5_S1A_jjP12ihipStream_tbEUljE_EEESV_SW_SX_S14_S18_S1A_T6_T7_T9_mT8_S1C_bDpT10_ENKUlT_T0_E_clISt17integral_constantIbLb0EES1P_EEDaS1K_S1L_EUlS1K_E_NS1_11comp_targetILNS1_3genE8ELNS1_11target_archE1030ELNS1_3gpuE2ELNS1_3repE0EEENS1_30default_config_static_selectorELNS0_4arch9wavefront6targetE0EEEvSY_,"axG",@progbits,_ZN7rocprim17ROCPRIM_400000_NS6detail17trampoline_kernelINS0_13select_configILj256ELj13ELNS0_17block_load_methodE3ELS4_3ELS4_3ELNS0_20block_scan_algorithmE0ELj4294967295EEENS1_25partition_config_selectorILNS1_17partition_subalgoE3EjNS0_10empty_typeEbEEZZNS1_14partition_implILS8_3ELb0ES6_jNS0_17counting_iteratorIjlEEPS9_SE_NS0_5tupleIJPjSE_EEENSF_IJSE_SE_EEES9_SG_JZNS1_25segmented_radix_sort_implINS0_14default_configELb0EPKsPsPKlPlN2at6native12_GLOBAL__N_18offset_tEEE10hipError_tPvRmT1_PNSt15iterator_traitsISY_E10value_typeET2_T3_PNSZ_IS14_E10value_typeET4_jRbjT5_S1A_jjP12ihipStream_tbEUljE_EEESV_SW_SX_S14_S18_S1A_T6_T7_T9_mT8_S1C_bDpT10_ENKUlT_T0_E_clISt17integral_constantIbLb0EES1P_EEDaS1K_S1L_EUlS1K_E_NS1_11comp_targetILNS1_3genE8ELNS1_11target_archE1030ELNS1_3gpuE2ELNS1_3repE0EEENS1_30default_config_static_selectorELNS0_4arch9wavefront6targetE0EEEvSY_,comdat
.Lfunc_end989:
	.size	_ZN7rocprim17ROCPRIM_400000_NS6detail17trampoline_kernelINS0_13select_configILj256ELj13ELNS0_17block_load_methodE3ELS4_3ELS4_3ELNS0_20block_scan_algorithmE0ELj4294967295EEENS1_25partition_config_selectorILNS1_17partition_subalgoE3EjNS0_10empty_typeEbEEZZNS1_14partition_implILS8_3ELb0ES6_jNS0_17counting_iteratorIjlEEPS9_SE_NS0_5tupleIJPjSE_EEENSF_IJSE_SE_EEES9_SG_JZNS1_25segmented_radix_sort_implINS0_14default_configELb0EPKsPsPKlPlN2at6native12_GLOBAL__N_18offset_tEEE10hipError_tPvRmT1_PNSt15iterator_traitsISY_E10value_typeET2_T3_PNSZ_IS14_E10value_typeET4_jRbjT5_S1A_jjP12ihipStream_tbEUljE_EEESV_SW_SX_S14_S18_S1A_T6_T7_T9_mT8_S1C_bDpT10_ENKUlT_T0_E_clISt17integral_constantIbLb0EES1P_EEDaS1K_S1L_EUlS1K_E_NS1_11comp_targetILNS1_3genE8ELNS1_11target_archE1030ELNS1_3gpuE2ELNS1_3repE0EEENS1_30default_config_static_selectorELNS0_4arch9wavefront6targetE0EEEvSY_, .Lfunc_end989-_ZN7rocprim17ROCPRIM_400000_NS6detail17trampoline_kernelINS0_13select_configILj256ELj13ELNS0_17block_load_methodE3ELS4_3ELS4_3ELNS0_20block_scan_algorithmE0ELj4294967295EEENS1_25partition_config_selectorILNS1_17partition_subalgoE3EjNS0_10empty_typeEbEEZZNS1_14partition_implILS8_3ELb0ES6_jNS0_17counting_iteratorIjlEEPS9_SE_NS0_5tupleIJPjSE_EEENSF_IJSE_SE_EEES9_SG_JZNS1_25segmented_radix_sort_implINS0_14default_configELb0EPKsPsPKlPlN2at6native12_GLOBAL__N_18offset_tEEE10hipError_tPvRmT1_PNSt15iterator_traitsISY_E10value_typeET2_T3_PNSZ_IS14_E10value_typeET4_jRbjT5_S1A_jjP12ihipStream_tbEUljE_EEESV_SW_SX_S14_S18_S1A_T6_T7_T9_mT8_S1C_bDpT10_ENKUlT_T0_E_clISt17integral_constantIbLb0EES1P_EEDaS1K_S1L_EUlS1K_E_NS1_11comp_targetILNS1_3genE8ELNS1_11target_archE1030ELNS1_3gpuE2ELNS1_3repE0EEENS1_30default_config_static_selectorELNS0_4arch9wavefront6targetE0EEEvSY_
                                        ; -- End function
	.set _ZN7rocprim17ROCPRIM_400000_NS6detail17trampoline_kernelINS0_13select_configILj256ELj13ELNS0_17block_load_methodE3ELS4_3ELS4_3ELNS0_20block_scan_algorithmE0ELj4294967295EEENS1_25partition_config_selectorILNS1_17partition_subalgoE3EjNS0_10empty_typeEbEEZZNS1_14partition_implILS8_3ELb0ES6_jNS0_17counting_iteratorIjlEEPS9_SE_NS0_5tupleIJPjSE_EEENSF_IJSE_SE_EEES9_SG_JZNS1_25segmented_radix_sort_implINS0_14default_configELb0EPKsPsPKlPlN2at6native12_GLOBAL__N_18offset_tEEE10hipError_tPvRmT1_PNSt15iterator_traitsISY_E10value_typeET2_T3_PNSZ_IS14_E10value_typeET4_jRbjT5_S1A_jjP12ihipStream_tbEUljE_EEESV_SW_SX_S14_S18_S1A_T6_T7_T9_mT8_S1C_bDpT10_ENKUlT_T0_E_clISt17integral_constantIbLb0EES1P_EEDaS1K_S1L_EUlS1K_E_NS1_11comp_targetILNS1_3genE8ELNS1_11target_archE1030ELNS1_3gpuE2ELNS1_3repE0EEENS1_30default_config_static_selectorELNS0_4arch9wavefront6targetE0EEEvSY_.num_vgpr, 0
	.set _ZN7rocprim17ROCPRIM_400000_NS6detail17trampoline_kernelINS0_13select_configILj256ELj13ELNS0_17block_load_methodE3ELS4_3ELS4_3ELNS0_20block_scan_algorithmE0ELj4294967295EEENS1_25partition_config_selectorILNS1_17partition_subalgoE3EjNS0_10empty_typeEbEEZZNS1_14partition_implILS8_3ELb0ES6_jNS0_17counting_iteratorIjlEEPS9_SE_NS0_5tupleIJPjSE_EEENSF_IJSE_SE_EEES9_SG_JZNS1_25segmented_radix_sort_implINS0_14default_configELb0EPKsPsPKlPlN2at6native12_GLOBAL__N_18offset_tEEE10hipError_tPvRmT1_PNSt15iterator_traitsISY_E10value_typeET2_T3_PNSZ_IS14_E10value_typeET4_jRbjT5_S1A_jjP12ihipStream_tbEUljE_EEESV_SW_SX_S14_S18_S1A_T6_T7_T9_mT8_S1C_bDpT10_ENKUlT_T0_E_clISt17integral_constantIbLb0EES1P_EEDaS1K_S1L_EUlS1K_E_NS1_11comp_targetILNS1_3genE8ELNS1_11target_archE1030ELNS1_3gpuE2ELNS1_3repE0EEENS1_30default_config_static_selectorELNS0_4arch9wavefront6targetE0EEEvSY_.num_agpr, 0
	.set _ZN7rocprim17ROCPRIM_400000_NS6detail17trampoline_kernelINS0_13select_configILj256ELj13ELNS0_17block_load_methodE3ELS4_3ELS4_3ELNS0_20block_scan_algorithmE0ELj4294967295EEENS1_25partition_config_selectorILNS1_17partition_subalgoE3EjNS0_10empty_typeEbEEZZNS1_14partition_implILS8_3ELb0ES6_jNS0_17counting_iteratorIjlEEPS9_SE_NS0_5tupleIJPjSE_EEENSF_IJSE_SE_EEES9_SG_JZNS1_25segmented_radix_sort_implINS0_14default_configELb0EPKsPsPKlPlN2at6native12_GLOBAL__N_18offset_tEEE10hipError_tPvRmT1_PNSt15iterator_traitsISY_E10value_typeET2_T3_PNSZ_IS14_E10value_typeET4_jRbjT5_S1A_jjP12ihipStream_tbEUljE_EEESV_SW_SX_S14_S18_S1A_T6_T7_T9_mT8_S1C_bDpT10_ENKUlT_T0_E_clISt17integral_constantIbLb0EES1P_EEDaS1K_S1L_EUlS1K_E_NS1_11comp_targetILNS1_3genE8ELNS1_11target_archE1030ELNS1_3gpuE2ELNS1_3repE0EEENS1_30default_config_static_selectorELNS0_4arch9wavefront6targetE0EEEvSY_.numbered_sgpr, 0
	.set _ZN7rocprim17ROCPRIM_400000_NS6detail17trampoline_kernelINS0_13select_configILj256ELj13ELNS0_17block_load_methodE3ELS4_3ELS4_3ELNS0_20block_scan_algorithmE0ELj4294967295EEENS1_25partition_config_selectorILNS1_17partition_subalgoE3EjNS0_10empty_typeEbEEZZNS1_14partition_implILS8_3ELb0ES6_jNS0_17counting_iteratorIjlEEPS9_SE_NS0_5tupleIJPjSE_EEENSF_IJSE_SE_EEES9_SG_JZNS1_25segmented_radix_sort_implINS0_14default_configELb0EPKsPsPKlPlN2at6native12_GLOBAL__N_18offset_tEEE10hipError_tPvRmT1_PNSt15iterator_traitsISY_E10value_typeET2_T3_PNSZ_IS14_E10value_typeET4_jRbjT5_S1A_jjP12ihipStream_tbEUljE_EEESV_SW_SX_S14_S18_S1A_T6_T7_T9_mT8_S1C_bDpT10_ENKUlT_T0_E_clISt17integral_constantIbLb0EES1P_EEDaS1K_S1L_EUlS1K_E_NS1_11comp_targetILNS1_3genE8ELNS1_11target_archE1030ELNS1_3gpuE2ELNS1_3repE0EEENS1_30default_config_static_selectorELNS0_4arch9wavefront6targetE0EEEvSY_.num_named_barrier, 0
	.set _ZN7rocprim17ROCPRIM_400000_NS6detail17trampoline_kernelINS0_13select_configILj256ELj13ELNS0_17block_load_methodE3ELS4_3ELS4_3ELNS0_20block_scan_algorithmE0ELj4294967295EEENS1_25partition_config_selectorILNS1_17partition_subalgoE3EjNS0_10empty_typeEbEEZZNS1_14partition_implILS8_3ELb0ES6_jNS0_17counting_iteratorIjlEEPS9_SE_NS0_5tupleIJPjSE_EEENSF_IJSE_SE_EEES9_SG_JZNS1_25segmented_radix_sort_implINS0_14default_configELb0EPKsPsPKlPlN2at6native12_GLOBAL__N_18offset_tEEE10hipError_tPvRmT1_PNSt15iterator_traitsISY_E10value_typeET2_T3_PNSZ_IS14_E10value_typeET4_jRbjT5_S1A_jjP12ihipStream_tbEUljE_EEESV_SW_SX_S14_S18_S1A_T6_T7_T9_mT8_S1C_bDpT10_ENKUlT_T0_E_clISt17integral_constantIbLb0EES1P_EEDaS1K_S1L_EUlS1K_E_NS1_11comp_targetILNS1_3genE8ELNS1_11target_archE1030ELNS1_3gpuE2ELNS1_3repE0EEENS1_30default_config_static_selectorELNS0_4arch9wavefront6targetE0EEEvSY_.private_seg_size, 0
	.set _ZN7rocprim17ROCPRIM_400000_NS6detail17trampoline_kernelINS0_13select_configILj256ELj13ELNS0_17block_load_methodE3ELS4_3ELS4_3ELNS0_20block_scan_algorithmE0ELj4294967295EEENS1_25partition_config_selectorILNS1_17partition_subalgoE3EjNS0_10empty_typeEbEEZZNS1_14partition_implILS8_3ELb0ES6_jNS0_17counting_iteratorIjlEEPS9_SE_NS0_5tupleIJPjSE_EEENSF_IJSE_SE_EEES9_SG_JZNS1_25segmented_radix_sort_implINS0_14default_configELb0EPKsPsPKlPlN2at6native12_GLOBAL__N_18offset_tEEE10hipError_tPvRmT1_PNSt15iterator_traitsISY_E10value_typeET2_T3_PNSZ_IS14_E10value_typeET4_jRbjT5_S1A_jjP12ihipStream_tbEUljE_EEESV_SW_SX_S14_S18_S1A_T6_T7_T9_mT8_S1C_bDpT10_ENKUlT_T0_E_clISt17integral_constantIbLb0EES1P_EEDaS1K_S1L_EUlS1K_E_NS1_11comp_targetILNS1_3genE8ELNS1_11target_archE1030ELNS1_3gpuE2ELNS1_3repE0EEENS1_30default_config_static_selectorELNS0_4arch9wavefront6targetE0EEEvSY_.uses_vcc, 0
	.set _ZN7rocprim17ROCPRIM_400000_NS6detail17trampoline_kernelINS0_13select_configILj256ELj13ELNS0_17block_load_methodE3ELS4_3ELS4_3ELNS0_20block_scan_algorithmE0ELj4294967295EEENS1_25partition_config_selectorILNS1_17partition_subalgoE3EjNS0_10empty_typeEbEEZZNS1_14partition_implILS8_3ELb0ES6_jNS0_17counting_iteratorIjlEEPS9_SE_NS0_5tupleIJPjSE_EEENSF_IJSE_SE_EEES9_SG_JZNS1_25segmented_radix_sort_implINS0_14default_configELb0EPKsPsPKlPlN2at6native12_GLOBAL__N_18offset_tEEE10hipError_tPvRmT1_PNSt15iterator_traitsISY_E10value_typeET2_T3_PNSZ_IS14_E10value_typeET4_jRbjT5_S1A_jjP12ihipStream_tbEUljE_EEESV_SW_SX_S14_S18_S1A_T6_T7_T9_mT8_S1C_bDpT10_ENKUlT_T0_E_clISt17integral_constantIbLb0EES1P_EEDaS1K_S1L_EUlS1K_E_NS1_11comp_targetILNS1_3genE8ELNS1_11target_archE1030ELNS1_3gpuE2ELNS1_3repE0EEENS1_30default_config_static_selectorELNS0_4arch9wavefront6targetE0EEEvSY_.uses_flat_scratch, 0
	.set _ZN7rocprim17ROCPRIM_400000_NS6detail17trampoline_kernelINS0_13select_configILj256ELj13ELNS0_17block_load_methodE3ELS4_3ELS4_3ELNS0_20block_scan_algorithmE0ELj4294967295EEENS1_25partition_config_selectorILNS1_17partition_subalgoE3EjNS0_10empty_typeEbEEZZNS1_14partition_implILS8_3ELb0ES6_jNS0_17counting_iteratorIjlEEPS9_SE_NS0_5tupleIJPjSE_EEENSF_IJSE_SE_EEES9_SG_JZNS1_25segmented_radix_sort_implINS0_14default_configELb0EPKsPsPKlPlN2at6native12_GLOBAL__N_18offset_tEEE10hipError_tPvRmT1_PNSt15iterator_traitsISY_E10value_typeET2_T3_PNSZ_IS14_E10value_typeET4_jRbjT5_S1A_jjP12ihipStream_tbEUljE_EEESV_SW_SX_S14_S18_S1A_T6_T7_T9_mT8_S1C_bDpT10_ENKUlT_T0_E_clISt17integral_constantIbLb0EES1P_EEDaS1K_S1L_EUlS1K_E_NS1_11comp_targetILNS1_3genE8ELNS1_11target_archE1030ELNS1_3gpuE2ELNS1_3repE0EEENS1_30default_config_static_selectorELNS0_4arch9wavefront6targetE0EEEvSY_.has_dyn_sized_stack, 0
	.set _ZN7rocprim17ROCPRIM_400000_NS6detail17trampoline_kernelINS0_13select_configILj256ELj13ELNS0_17block_load_methodE3ELS4_3ELS4_3ELNS0_20block_scan_algorithmE0ELj4294967295EEENS1_25partition_config_selectorILNS1_17partition_subalgoE3EjNS0_10empty_typeEbEEZZNS1_14partition_implILS8_3ELb0ES6_jNS0_17counting_iteratorIjlEEPS9_SE_NS0_5tupleIJPjSE_EEENSF_IJSE_SE_EEES9_SG_JZNS1_25segmented_radix_sort_implINS0_14default_configELb0EPKsPsPKlPlN2at6native12_GLOBAL__N_18offset_tEEE10hipError_tPvRmT1_PNSt15iterator_traitsISY_E10value_typeET2_T3_PNSZ_IS14_E10value_typeET4_jRbjT5_S1A_jjP12ihipStream_tbEUljE_EEESV_SW_SX_S14_S18_S1A_T6_T7_T9_mT8_S1C_bDpT10_ENKUlT_T0_E_clISt17integral_constantIbLb0EES1P_EEDaS1K_S1L_EUlS1K_E_NS1_11comp_targetILNS1_3genE8ELNS1_11target_archE1030ELNS1_3gpuE2ELNS1_3repE0EEENS1_30default_config_static_selectorELNS0_4arch9wavefront6targetE0EEEvSY_.has_recursion, 0
	.set _ZN7rocprim17ROCPRIM_400000_NS6detail17trampoline_kernelINS0_13select_configILj256ELj13ELNS0_17block_load_methodE3ELS4_3ELS4_3ELNS0_20block_scan_algorithmE0ELj4294967295EEENS1_25partition_config_selectorILNS1_17partition_subalgoE3EjNS0_10empty_typeEbEEZZNS1_14partition_implILS8_3ELb0ES6_jNS0_17counting_iteratorIjlEEPS9_SE_NS0_5tupleIJPjSE_EEENSF_IJSE_SE_EEES9_SG_JZNS1_25segmented_radix_sort_implINS0_14default_configELb0EPKsPsPKlPlN2at6native12_GLOBAL__N_18offset_tEEE10hipError_tPvRmT1_PNSt15iterator_traitsISY_E10value_typeET2_T3_PNSZ_IS14_E10value_typeET4_jRbjT5_S1A_jjP12ihipStream_tbEUljE_EEESV_SW_SX_S14_S18_S1A_T6_T7_T9_mT8_S1C_bDpT10_ENKUlT_T0_E_clISt17integral_constantIbLb0EES1P_EEDaS1K_S1L_EUlS1K_E_NS1_11comp_targetILNS1_3genE8ELNS1_11target_archE1030ELNS1_3gpuE2ELNS1_3repE0EEENS1_30default_config_static_selectorELNS0_4arch9wavefront6targetE0EEEvSY_.has_indirect_call, 0
	.section	.AMDGPU.csdata,"",@progbits
; Kernel info:
; codeLenInByte = 0
; TotalNumSgprs: 0
; NumVgprs: 0
; ScratchSize: 0
; MemoryBound: 0
; FloatMode: 240
; IeeeMode: 1
; LDSByteSize: 0 bytes/workgroup (compile time only)
; SGPRBlocks: 0
; VGPRBlocks: 0
; NumSGPRsForWavesPerEU: 1
; NumVGPRsForWavesPerEU: 1
; Occupancy: 16
; WaveLimiterHint : 0
; COMPUTE_PGM_RSRC2:SCRATCH_EN: 0
; COMPUTE_PGM_RSRC2:USER_SGPR: 2
; COMPUTE_PGM_RSRC2:TRAP_HANDLER: 0
; COMPUTE_PGM_RSRC2:TGID_X_EN: 1
; COMPUTE_PGM_RSRC2:TGID_Y_EN: 0
; COMPUTE_PGM_RSRC2:TGID_Z_EN: 0
; COMPUTE_PGM_RSRC2:TIDIG_COMP_CNT: 0
	.section	.text._ZN7rocprim17ROCPRIM_400000_NS6detail17trampoline_kernelINS0_13select_configILj256ELj13ELNS0_17block_load_methodE3ELS4_3ELS4_3ELNS0_20block_scan_algorithmE0ELj4294967295EEENS1_25partition_config_selectorILNS1_17partition_subalgoE3EjNS0_10empty_typeEbEEZZNS1_14partition_implILS8_3ELb0ES6_jNS0_17counting_iteratorIjlEEPS9_SE_NS0_5tupleIJPjSE_EEENSF_IJSE_SE_EEES9_SG_JZNS1_25segmented_radix_sort_implINS0_14default_configELb0EPKsPsPKlPlN2at6native12_GLOBAL__N_18offset_tEEE10hipError_tPvRmT1_PNSt15iterator_traitsISY_E10value_typeET2_T3_PNSZ_IS14_E10value_typeET4_jRbjT5_S1A_jjP12ihipStream_tbEUljE_EEESV_SW_SX_S14_S18_S1A_T6_T7_T9_mT8_S1C_bDpT10_ENKUlT_T0_E_clISt17integral_constantIbLb1EES1P_EEDaS1K_S1L_EUlS1K_E_NS1_11comp_targetILNS1_3genE0ELNS1_11target_archE4294967295ELNS1_3gpuE0ELNS1_3repE0EEENS1_30default_config_static_selectorELNS0_4arch9wavefront6targetE0EEEvSY_,"axG",@progbits,_ZN7rocprim17ROCPRIM_400000_NS6detail17trampoline_kernelINS0_13select_configILj256ELj13ELNS0_17block_load_methodE3ELS4_3ELS4_3ELNS0_20block_scan_algorithmE0ELj4294967295EEENS1_25partition_config_selectorILNS1_17partition_subalgoE3EjNS0_10empty_typeEbEEZZNS1_14partition_implILS8_3ELb0ES6_jNS0_17counting_iteratorIjlEEPS9_SE_NS0_5tupleIJPjSE_EEENSF_IJSE_SE_EEES9_SG_JZNS1_25segmented_radix_sort_implINS0_14default_configELb0EPKsPsPKlPlN2at6native12_GLOBAL__N_18offset_tEEE10hipError_tPvRmT1_PNSt15iterator_traitsISY_E10value_typeET2_T3_PNSZ_IS14_E10value_typeET4_jRbjT5_S1A_jjP12ihipStream_tbEUljE_EEESV_SW_SX_S14_S18_S1A_T6_T7_T9_mT8_S1C_bDpT10_ENKUlT_T0_E_clISt17integral_constantIbLb1EES1P_EEDaS1K_S1L_EUlS1K_E_NS1_11comp_targetILNS1_3genE0ELNS1_11target_archE4294967295ELNS1_3gpuE0ELNS1_3repE0EEENS1_30default_config_static_selectorELNS0_4arch9wavefront6targetE0EEEvSY_,comdat
	.globl	_ZN7rocprim17ROCPRIM_400000_NS6detail17trampoline_kernelINS0_13select_configILj256ELj13ELNS0_17block_load_methodE3ELS4_3ELS4_3ELNS0_20block_scan_algorithmE0ELj4294967295EEENS1_25partition_config_selectorILNS1_17partition_subalgoE3EjNS0_10empty_typeEbEEZZNS1_14partition_implILS8_3ELb0ES6_jNS0_17counting_iteratorIjlEEPS9_SE_NS0_5tupleIJPjSE_EEENSF_IJSE_SE_EEES9_SG_JZNS1_25segmented_radix_sort_implINS0_14default_configELb0EPKsPsPKlPlN2at6native12_GLOBAL__N_18offset_tEEE10hipError_tPvRmT1_PNSt15iterator_traitsISY_E10value_typeET2_T3_PNSZ_IS14_E10value_typeET4_jRbjT5_S1A_jjP12ihipStream_tbEUljE_EEESV_SW_SX_S14_S18_S1A_T6_T7_T9_mT8_S1C_bDpT10_ENKUlT_T0_E_clISt17integral_constantIbLb1EES1P_EEDaS1K_S1L_EUlS1K_E_NS1_11comp_targetILNS1_3genE0ELNS1_11target_archE4294967295ELNS1_3gpuE0ELNS1_3repE0EEENS1_30default_config_static_selectorELNS0_4arch9wavefront6targetE0EEEvSY_ ; -- Begin function _ZN7rocprim17ROCPRIM_400000_NS6detail17trampoline_kernelINS0_13select_configILj256ELj13ELNS0_17block_load_methodE3ELS4_3ELS4_3ELNS0_20block_scan_algorithmE0ELj4294967295EEENS1_25partition_config_selectorILNS1_17partition_subalgoE3EjNS0_10empty_typeEbEEZZNS1_14partition_implILS8_3ELb0ES6_jNS0_17counting_iteratorIjlEEPS9_SE_NS0_5tupleIJPjSE_EEENSF_IJSE_SE_EEES9_SG_JZNS1_25segmented_radix_sort_implINS0_14default_configELb0EPKsPsPKlPlN2at6native12_GLOBAL__N_18offset_tEEE10hipError_tPvRmT1_PNSt15iterator_traitsISY_E10value_typeET2_T3_PNSZ_IS14_E10value_typeET4_jRbjT5_S1A_jjP12ihipStream_tbEUljE_EEESV_SW_SX_S14_S18_S1A_T6_T7_T9_mT8_S1C_bDpT10_ENKUlT_T0_E_clISt17integral_constantIbLb1EES1P_EEDaS1K_S1L_EUlS1K_E_NS1_11comp_targetILNS1_3genE0ELNS1_11target_archE4294967295ELNS1_3gpuE0ELNS1_3repE0EEENS1_30default_config_static_selectorELNS0_4arch9wavefront6targetE0EEEvSY_
	.p2align	8
	.type	_ZN7rocprim17ROCPRIM_400000_NS6detail17trampoline_kernelINS0_13select_configILj256ELj13ELNS0_17block_load_methodE3ELS4_3ELS4_3ELNS0_20block_scan_algorithmE0ELj4294967295EEENS1_25partition_config_selectorILNS1_17partition_subalgoE3EjNS0_10empty_typeEbEEZZNS1_14partition_implILS8_3ELb0ES6_jNS0_17counting_iteratorIjlEEPS9_SE_NS0_5tupleIJPjSE_EEENSF_IJSE_SE_EEES9_SG_JZNS1_25segmented_radix_sort_implINS0_14default_configELb0EPKsPsPKlPlN2at6native12_GLOBAL__N_18offset_tEEE10hipError_tPvRmT1_PNSt15iterator_traitsISY_E10value_typeET2_T3_PNSZ_IS14_E10value_typeET4_jRbjT5_S1A_jjP12ihipStream_tbEUljE_EEESV_SW_SX_S14_S18_S1A_T6_T7_T9_mT8_S1C_bDpT10_ENKUlT_T0_E_clISt17integral_constantIbLb1EES1P_EEDaS1K_S1L_EUlS1K_E_NS1_11comp_targetILNS1_3genE0ELNS1_11target_archE4294967295ELNS1_3gpuE0ELNS1_3repE0EEENS1_30default_config_static_selectorELNS0_4arch9wavefront6targetE0EEEvSY_,@function
_ZN7rocprim17ROCPRIM_400000_NS6detail17trampoline_kernelINS0_13select_configILj256ELj13ELNS0_17block_load_methodE3ELS4_3ELS4_3ELNS0_20block_scan_algorithmE0ELj4294967295EEENS1_25partition_config_selectorILNS1_17partition_subalgoE3EjNS0_10empty_typeEbEEZZNS1_14partition_implILS8_3ELb0ES6_jNS0_17counting_iteratorIjlEEPS9_SE_NS0_5tupleIJPjSE_EEENSF_IJSE_SE_EEES9_SG_JZNS1_25segmented_radix_sort_implINS0_14default_configELb0EPKsPsPKlPlN2at6native12_GLOBAL__N_18offset_tEEE10hipError_tPvRmT1_PNSt15iterator_traitsISY_E10value_typeET2_T3_PNSZ_IS14_E10value_typeET4_jRbjT5_S1A_jjP12ihipStream_tbEUljE_EEESV_SW_SX_S14_S18_S1A_T6_T7_T9_mT8_S1C_bDpT10_ENKUlT_T0_E_clISt17integral_constantIbLb1EES1P_EEDaS1K_S1L_EUlS1K_E_NS1_11comp_targetILNS1_3genE0ELNS1_11target_archE4294967295ELNS1_3gpuE0ELNS1_3repE0EEENS1_30default_config_static_selectorELNS0_4arch9wavefront6targetE0EEEvSY_: ; @_ZN7rocprim17ROCPRIM_400000_NS6detail17trampoline_kernelINS0_13select_configILj256ELj13ELNS0_17block_load_methodE3ELS4_3ELS4_3ELNS0_20block_scan_algorithmE0ELj4294967295EEENS1_25partition_config_selectorILNS1_17partition_subalgoE3EjNS0_10empty_typeEbEEZZNS1_14partition_implILS8_3ELb0ES6_jNS0_17counting_iteratorIjlEEPS9_SE_NS0_5tupleIJPjSE_EEENSF_IJSE_SE_EEES9_SG_JZNS1_25segmented_radix_sort_implINS0_14default_configELb0EPKsPsPKlPlN2at6native12_GLOBAL__N_18offset_tEEE10hipError_tPvRmT1_PNSt15iterator_traitsISY_E10value_typeET2_T3_PNSZ_IS14_E10value_typeET4_jRbjT5_S1A_jjP12ihipStream_tbEUljE_EEESV_SW_SX_S14_S18_S1A_T6_T7_T9_mT8_S1C_bDpT10_ENKUlT_T0_E_clISt17integral_constantIbLb1EES1P_EEDaS1K_S1L_EUlS1K_E_NS1_11comp_targetILNS1_3genE0ELNS1_11target_archE4294967295ELNS1_3gpuE0ELNS1_3repE0EEENS1_30default_config_static_selectorELNS0_4arch9wavefront6targetE0EEEvSY_
; %bb.0:
	.section	.rodata,"a",@progbits
	.p2align	6, 0x0
	.amdhsa_kernel _ZN7rocprim17ROCPRIM_400000_NS6detail17trampoline_kernelINS0_13select_configILj256ELj13ELNS0_17block_load_methodE3ELS4_3ELS4_3ELNS0_20block_scan_algorithmE0ELj4294967295EEENS1_25partition_config_selectorILNS1_17partition_subalgoE3EjNS0_10empty_typeEbEEZZNS1_14partition_implILS8_3ELb0ES6_jNS0_17counting_iteratorIjlEEPS9_SE_NS0_5tupleIJPjSE_EEENSF_IJSE_SE_EEES9_SG_JZNS1_25segmented_radix_sort_implINS0_14default_configELb0EPKsPsPKlPlN2at6native12_GLOBAL__N_18offset_tEEE10hipError_tPvRmT1_PNSt15iterator_traitsISY_E10value_typeET2_T3_PNSZ_IS14_E10value_typeET4_jRbjT5_S1A_jjP12ihipStream_tbEUljE_EEESV_SW_SX_S14_S18_S1A_T6_T7_T9_mT8_S1C_bDpT10_ENKUlT_T0_E_clISt17integral_constantIbLb1EES1P_EEDaS1K_S1L_EUlS1K_E_NS1_11comp_targetILNS1_3genE0ELNS1_11target_archE4294967295ELNS1_3gpuE0ELNS1_3repE0EEENS1_30default_config_static_selectorELNS0_4arch9wavefront6targetE0EEEvSY_
		.amdhsa_group_segment_fixed_size 0
		.amdhsa_private_segment_fixed_size 0
		.amdhsa_kernarg_size 152
		.amdhsa_user_sgpr_count 2
		.amdhsa_user_sgpr_dispatch_ptr 0
		.amdhsa_user_sgpr_queue_ptr 0
		.amdhsa_user_sgpr_kernarg_segment_ptr 1
		.amdhsa_user_sgpr_dispatch_id 0
		.amdhsa_user_sgpr_private_segment_size 0
		.amdhsa_wavefront_size32 1
		.amdhsa_uses_dynamic_stack 0
		.amdhsa_enable_private_segment 0
		.amdhsa_system_sgpr_workgroup_id_x 1
		.amdhsa_system_sgpr_workgroup_id_y 0
		.amdhsa_system_sgpr_workgroup_id_z 0
		.amdhsa_system_sgpr_workgroup_info 0
		.amdhsa_system_vgpr_workitem_id 0
		.amdhsa_next_free_vgpr 1
		.amdhsa_next_free_sgpr 1
		.amdhsa_reserve_vcc 0
		.amdhsa_float_round_mode_32 0
		.amdhsa_float_round_mode_16_64 0
		.amdhsa_float_denorm_mode_32 3
		.amdhsa_float_denorm_mode_16_64 3
		.amdhsa_fp16_overflow 0
		.amdhsa_workgroup_processor_mode 1
		.amdhsa_memory_ordered 1
		.amdhsa_forward_progress 1
		.amdhsa_inst_pref_size 0
		.amdhsa_round_robin_scheduling 0
		.amdhsa_exception_fp_ieee_invalid_op 0
		.amdhsa_exception_fp_denorm_src 0
		.amdhsa_exception_fp_ieee_div_zero 0
		.amdhsa_exception_fp_ieee_overflow 0
		.amdhsa_exception_fp_ieee_underflow 0
		.amdhsa_exception_fp_ieee_inexact 0
		.amdhsa_exception_int_div_zero 0
	.end_amdhsa_kernel
	.section	.text._ZN7rocprim17ROCPRIM_400000_NS6detail17trampoline_kernelINS0_13select_configILj256ELj13ELNS0_17block_load_methodE3ELS4_3ELS4_3ELNS0_20block_scan_algorithmE0ELj4294967295EEENS1_25partition_config_selectorILNS1_17partition_subalgoE3EjNS0_10empty_typeEbEEZZNS1_14partition_implILS8_3ELb0ES6_jNS0_17counting_iteratorIjlEEPS9_SE_NS0_5tupleIJPjSE_EEENSF_IJSE_SE_EEES9_SG_JZNS1_25segmented_radix_sort_implINS0_14default_configELb0EPKsPsPKlPlN2at6native12_GLOBAL__N_18offset_tEEE10hipError_tPvRmT1_PNSt15iterator_traitsISY_E10value_typeET2_T3_PNSZ_IS14_E10value_typeET4_jRbjT5_S1A_jjP12ihipStream_tbEUljE_EEESV_SW_SX_S14_S18_S1A_T6_T7_T9_mT8_S1C_bDpT10_ENKUlT_T0_E_clISt17integral_constantIbLb1EES1P_EEDaS1K_S1L_EUlS1K_E_NS1_11comp_targetILNS1_3genE0ELNS1_11target_archE4294967295ELNS1_3gpuE0ELNS1_3repE0EEENS1_30default_config_static_selectorELNS0_4arch9wavefront6targetE0EEEvSY_,"axG",@progbits,_ZN7rocprim17ROCPRIM_400000_NS6detail17trampoline_kernelINS0_13select_configILj256ELj13ELNS0_17block_load_methodE3ELS4_3ELS4_3ELNS0_20block_scan_algorithmE0ELj4294967295EEENS1_25partition_config_selectorILNS1_17partition_subalgoE3EjNS0_10empty_typeEbEEZZNS1_14partition_implILS8_3ELb0ES6_jNS0_17counting_iteratorIjlEEPS9_SE_NS0_5tupleIJPjSE_EEENSF_IJSE_SE_EEES9_SG_JZNS1_25segmented_radix_sort_implINS0_14default_configELb0EPKsPsPKlPlN2at6native12_GLOBAL__N_18offset_tEEE10hipError_tPvRmT1_PNSt15iterator_traitsISY_E10value_typeET2_T3_PNSZ_IS14_E10value_typeET4_jRbjT5_S1A_jjP12ihipStream_tbEUljE_EEESV_SW_SX_S14_S18_S1A_T6_T7_T9_mT8_S1C_bDpT10_ENKUlT_T0_E_clISt17integral_constantIbLb1EES1P_EEDaS1K_S1L_EUlS1K_E_NS1_11comp_targetILNS1_3genE0ELNS1_11target_archE4294967295ELNS1_3gpuE0ELNS1_3repE0EEENS1_30default_config_static_selectorELNS0_4arch9wavefront6targetE0EEEvSY_,comdat
.Lfunc_end990:
	.size	_ZN7rocprim17ROCPRIM_400000_NS6detail17trampoline_kernelINS0_13select_configILj256ELj13ELNS0_17block_load_methodE3ELS4_3ELS4_3ELNS0_20block_scan_algorithmE0ELj4294967295EEENS1_25partition_config_selectorILNS1_17partition_subalgoE3EjNS0_10empty_typeEbEEZZNS1_14partition_implILS8_3ELb0ES6_jNS0_17counting_iteratorIjlEEPS9_SE_NS0_5tupleIJPjSE_EEENSF_IJSE_SE_EEES9_SG_JZNS1_25segmented_radix_sort_implINS0_14default_configELb0EPKsPsPKlPlN2at6native12_GLOBAL__N_18offset_tEEE10hipError_tPvRmT1_PNSt15iterator_traitsISY_E10value_typeET2_T3_PNSZ_IS14_E10value_typeET4_jRbjT5_S1A_jjP12ihipStream_tbEUljE_EEESV_SW_SX_S14_S18_S1A_T6_T7_T9_mT8_S1C_bDpT10_ENKUlT_T0_E_clISt17integral_constantIbLb1EES1P_EEDaS1K_S1L_EUlS1K_E_NS1_11comp_targetILNS1_3genE0ELNS1_11target_archE4294967295ELNS1_3gpuE0ELNS1_3repE0EEENS1_30default_config_static_selectorELNS0_4arch9wavefront6targetE0EEEvSY_, .Lfunc_end990-_ZN7rocprim17ROCPRIM_400000_NS6detail17trampoline_kernelINS0_13select_configILj256ELj13ELNS0_17block_load_methodE3ELS4_3ELS4_3ELNS0_20block_scan_algorithmE0ELj4294967295EEENS1_25partition_config_selectorILNS1_17partition_subalgoE3EjNS0_10empty_typeEbEEZZNS1_14partition_implILS8_3ELb0ES6_jNS0_17counting_iteratorIjlEEPS9_SE_NS0_5tupleIJPjSE_EEENSF_IJSE_SE_EEES9_SG_JZNS1_25segmented_radix_sort_implINS0_14default_configELb0EPKsPsPKlPlN2at6native12_GLOBAL__N_18offset_tEEE10hipError_tPvRmT1_PNSt15iterator_traitsISY_E10value_typeET2_T3_PNSZ_IS14_E10value_typeET4_jRbjT5_S1A_jjP12ihipStream_tbEUljE_EEESV_SW_SX_S14_S18_S1A_T6_T7_T9_mT8_S1C_bDpT10_ENKUlT_T0_E_clISt17integral_constantIbLb1EES1P_EEDaS1K_S1L_EUlS1K_E_NS1_11comp_targetILNS1_3genE0ELNS1_11target_archE4294967295ELNS1_3gpuE0ELNS1_3repE0EEENS1_30default_config_static_selectorELNS0_4arch9wavefront6targetE0EEEvSY_
                                        ; -- End function
	.set _ZN7rocprim17ROCPRIM_400000_NS6detail17trampoline_kernelINS0_13select_configILj256ELj13ELNS0_17block_load_methodE3ELS4_3ELS4_3ELNS0_20block_scan_algorithmE0ELj4294967295EEENS1_25partition_config_selectorILNS1_17partition_subalgoE3EjNS0_10empty_typeEbEEZZNS1_14partition_implILS8_3ELb0ES6_jNS0_17counting_iteratorIjlEEPS9_SE_NS0_5tupleIJPjSE_EEENSF_IJSE_SE_EEES9_SG_JZNS1_25segmented_radix_sort_implINS0_14default_configELb0EPKsPsPKlPlN2at6native12_GLOBAL__N_18offset_tEEE10hipError_tPvRmT1_PNSt15iterator_traitsISY_E10value_typeET2_T3_PNSZ_IS14_E10value_typeET4_jRbjT5_S1A_jjP12ihipStream_tbEUljE_EEESV_SW_SX_S14_S18_S1A_T6_T7_T9_mT8_S1C_bDpT10_ENKUlT_T0_E_clISt17integral_constantIbLb1EES1P_EEDaS1K_S1L_EUlS1K_E_NS1_11comp_targetILNS1_3genE0ELNS1_11target_archE4294967295ELNS1_3gpuE0ELNS1_3repE0EEENS1_30default_config_static_selectorELNS0_4arch9wavefront6targetE0EEEvSY_.num_vgpr, 0
	.set _ZN7rocprim17ROCPRIM_400000_NS6detail17trampoline_kernelINS0_13select_configILj256ELj13ELNS0_17block_load_methodE3ELS4_3ELS4_3ELNS0_20block_scan_algorithmE0ELj4294967295EEENS1_25partition_config_selectorILNS1_17partition_subalgoE3EjNS0_10empty_typeEbEEZZNS1_14partition_implILS8_3ELb0ES6_jNS0_17counting_iteratorIjlEEPS9_SE_NS0_5tupleIJPjSE_EEENSF_IJSE_SE_EEES9_SG_JZNS1_25segmented_radix_sort_implINS0_14default_configELb0EPKsPsPKlPlN2at6native12_GLOBAL__N_18offset_tEEE10hipError_tPvRmT1_PNSt15iterator_traitsISY_E10value_typeET2_T3_PNSZ_IS14_E10value_typeET4_jRbjT5_S1A_jjP12ihipStream_tbEUljE_EEESV_SW_SX_S14_S18_S1A_T6_T7_T9_mT8_S1C_bDpT10_ENKUlT_T0_E_clISt17integral_constantIbLb1EES1P_EEDaS1K_S1L_EUlS1K_E_NS1_11comp_targetILNS1_3genE0ELNS1_11target_archE4294967295ELNS1_3gpuE0ELNS1_3repE0EEENS1_30default_config_static_selectorELNS0_4arch9wavefront6targetE0EEEvSY_.num_agpr, 0
	.set _ZN7rocprim17ROCPRIM_400000_NS6detail17trampoline_kernelINS0_13select_configILj256ELj13ELNS0_17block_load_methodE3ELS4_3ELS4_3ELNS0_20block_scan_algorithmE0ELj4294967295EEENS1_25partition_config_selectorILNS1_17partition_subalgoE3EjNS0_10empty_typeEbEEZZNS1_14partition_implILS8_3ELb0ES6_jNS0_17counting_iteratorIjlEEPS9_SE_NS0_5tupleIJPjSE_EEENSF_IJSE_SE_EEES9_SG_JZNS1_25segmented_radix_sort_implINS0_14default_configELb0EPKsPsPKlPlN2at6native12_GLOBAL__N_18offset_tEEE10hipError_tPvRmT1_PNSt15iterator_traitsISY_E10value_typeET2_T3_PNSZ_IS14_E10value_typeET4_jRbjT5_S1A_jjP12ihipStream_tbEUljE_EEESV_SW_SX_S14_S18_S1A_T6_T7_T9_mT8_S1C_bDpT10_ENKUlT_T0_E_clISt17integral_constantIbLb1EES1P_EEDaS1K_S1L_EUlS1K_E_NS1_11comp_targetILNS1_3genE0ELNS1_11target_archE4294967295ELNS1_3gpuE0ELNS1_3repE0EEENS1_30default_config_static_selectorELNS0_4arch9wavefront6targetE0EEEvSY_.numbered_sgpr, 0
	.set _ZN7rocprim17ROCPRIM_400000_NS6detail17trampoline_kernelINS0_13select_configILj256ELj13ELNS0_17block_load_methodE3ELS4_3ELS4_3ELNS0_20block_scan_algorithmE0ELj4294967295EEENS1_25partition_config_selectorILNS1_17partition_subalgoE3EjNS0_10empty_typeEbEEZZNS1_14partition_implILS8_3ELb0ES6_jNS0_17counting_iteratorIjlEEPS9_SE_NS0_5tupleIJPjSE_EEENSF_IJSE_SE_EEES9_SG_JZNS1_25segmented_radix_sort_implINS0_14default_configELb0EPKsPsPKlPlN2at6native12_GLOBAL__N_18offset_tEEE10hipError_tPvRmT1_PNSt15iterator_traitsISY_E10value_typeET2_T3_PNSZ_IS14_E10value_typeET4_jRbjT5_S1A_jjP12ihipStream_tbEUljE_EEESV_SW_SX_S14_S18_S1A_T6_T7_T9_mT8_S1C_bDpT10_ENKUlT_T0_E_clISt17integral_constantIbLb1EES1P_EEDaS1K_S1L_EUlS1K_E_NS1_11comp_targetILNS1_3genE0ELNS1_11target_archE4294967295ELNS1_3gpuE0ELNS1_3repE0EEENS1_30default_config_static_selectorELNS0_4arch9wavefront6targetE0EEEvSY_.num_named_barrier, 0
	.set _ZN7rocprim17ROCPRIM_400000_NS6detail17trampoline_kernelINS0_13select_configILj256ELj13ELNS0_17block_load_methodE3ELS4_3ELS4_3ELNS0_20block_scan_algorithmE0ELj4294967295EEENS1_25partition_config_selectorILNS1_17partition_subalgoE3EjNS0_10empty_typeEbEEZZNS1_14partition_implILS8_3ELb0ES6_jNS0_17counting_iteratorIjlEEPS9_SE_NS0_5tupleIJPjSE_EEENSF_IJSE_SE_EEES9_SG_JZNS1_25segmented_radix_sort_implINS0_14default_configELb0EPKsPsPKlPlN2at6native12_GLOBAL__N_18offset_tEEE10hipError_tPvRmT1_PNSt15iterator_traitsISY_E10value_typeET2_T3_PNSZ_IS14_E10value_typeET4_jRbjT5_S1A_jjP12ihipStream_tbEUljE_EEESV_SW_SX_S14_S18_S1A_T6_T7_T9_mT8_S1C_bDpT10_ENKUlT_T0_E_clISt17integral_constantIbLb1EES1P_EEDaS1K_S1L_EUlS1K_E_NS1_11comp_targetILNS1_3genE0ELNS1_11target_archE4294967295ELNS1_3gpuE0ELNS1_3repE0EEENS1_30default_config_static_selectorELNS0_4arch9wavefront6targetE0EEEvSY_.private_seg_size, 0
	.set _ZN7rocprim17ROCPRIM_400000_NS6detail17trampoline_kernelINS0_13select_configILj256ELj13ELNS0_17block_load_methodE3ELS4_3ELS4_3ELNS0_20block_scan_algorithmE0ELj4294967295EEENS1_25partition_config_selectorILNS1_17partition_subalgoE3EjNS0_10empty_typeEbEEZZNS1_14partition_implILS8_3ELb0ES6_jNS0_17counting_iteratorIjlEEPS9_SE_NS0_5tupleIJPjSE_EEENSF_IJSE_SE_EEES9_SG_JZNS1_25segmented_radix_sort_implINS0_14default_configELb0EPKsPsPKlPlN2at6native12_GLOBAL__N_18offset_tEEE10hipError_tPvRmT1_PNSt15iterator_traitsISY_E10value_typeET2_T3_PNSZ_IS14_E10value_typeET4_jRbjT5_S1A_jjP12ihipStream_tbEUljE_EEESV_SW_SX_S14_S18_S1A_T6_T7_T9_mT8_S1C_bDpT10_ENKUlT_T0_E_clISt17integral_constantIbLb1EES1P_EEDaS1K_S1L_EUlS1K_E_NS1_11comp_targetILNS1_3genE0ELNS1_11target_archE4294967295ELNS1_3gpuE0ELNS1_3repE0EEENS1_30default_config_static_selectorELNS0_4arch9wavefront6targetE0EEEvSY_.uses_vcc, 0
	.set _ZN7rocprim17ROCPRIM_400000_NS6detail17trampoline_kernelINS0_13select_configILj256ELj13ELNS0_17block_load_methodE3ELS4_3ELS4_3ELNS0_20block_scan_algorithmE0ELj4294967295EEENS1_25partition_config_selectorILNS1_17partition_subalgoE3EjNS0_10empty_typeEbEEZZNS1_14partition_implILS8_3ELb0ES6_jNS0_17counting_iteratorIjlEEPS9_SE_NS0_5tupleIJPjSE_EEENSF_IJSE_SE_EEES9_SG_JZNS1_25segmented_radix_sort_implINS0_14default_configELb0EPKsPsPKlPlN2at6native12_GLOBAL__N_18offset_tEEE10hipError_tPvRmT1_PNSt15iterator_traitsISY_E10value_typeET2_T3_PNSZ_IS14_E10value_typeET4_jRbjT5_S1A_jjP12ihipStream_tbEUljE_EEESV_SW_SX_S14_S18_S1A_T6_T7_T9_mT8_S1C_bDpT10_ENKUlT_T0_E_clISt17integral_constantIbLb1EES1P_EEDaS1K_S1L_EUlS1K_E_NS1_11comp_targetILNS1_3genE0ELNS1_11target_archE4294967295ELNS1_3gpuE0ELNS1_3repE0EEENS1_30default_config_static_selectorELNS0_4arch9wavefront6targetE0EEEvSY_.uses_flat_scratch, 0
	.set _ZN7rocprim17ROCPRIM_400000_NS6detail17trampoline_kernelINS0_13select_configILj256ELj13ELNS0_17block_load_methodE3ELS4_3ELS4_3ELNS0_20block_scan_algorithmE0ELj4294967295EEENS1_25partition_config_selectorILNS1_17partition_subalgoE3EjNS0_10empty_typeEbEEZZNS1_14partition_implILS8_3ELb0ES6_jNS0_17counting_iteratorIjlEEPS9_SE_NS0_5tupleIJPjSE_EEENSF_IJSE_SE_EEES9_SG_JZNS1_25segmented_radix_sort_implINS0_14default_configELb0EPKsPsPKlPlN2at6native12_GLOBAL__N_18offset_tEEE10hipError_tPvRmT1_PNSt15iterator_traitsISY_E10value_typeET2_T3_PNSZ_IS14_E10value_typeET4_jRbjT5_S1A_jjP12ihipStream_tbEUljE_EEESV_SW_SX_S14_S18_S1A_T6_T7_T9_mT8_S1C_bDpT10_ENKUlT_T0_E_clISt17integral_constantIbLb1EES1P_EEDaS1K_S1L_EUlS1K_E_NS1_11comp_targetILNS1_3genE0ELNS1_11target_archE4294967295ELNS1_3gpuE0ELNS1_3repE0EEENS1_30default_config_static_selectorELNS0_4arch9wavefront6targetE0EEEvSY_.has_dyn_sized_stack, 0
	.set _ZN7rocprim17ROCPRIM_400000_NS6detail17trampoline_kernelINS0_13select_configILj256ELj13ELNS0_17block_load_methodE3ELS4_3ELS4_3ELNS0_20block_scan_algorithmE0ELj4294967295EEENS1_25partition_config_selectorILNS1_17partition_subalgoE3EjNS0_10empty_typeEbEEZZNS1_14partition_implILS8_3ELb0ES6_jNS0_17counting_iteratorIjlEEPS9_SE_NS0_5tupleIJPjSE_EEENSF_IJSE_SE_EEES9_SG_JZNS1_25segmented_radix_sort_implINS0_14default_configELb0EPKsPsPKlPlN2at6native12_GLOBAL__N_18offset_tEEE10hipError_tPvRmT1_PNSt15iterator_traitsISY_E10value_typeET2_T3_PNSZ_IS14_E10value_typeET4_jRbjT5_S1A_jjP12ihipStream_tbEUljE_EEESV_SW_SX_S14_S18_S1A_T6_T7_T9_mT8_S1C_bDpT10_ENKUlT_T0_E_clISt17integral_constantIbLb1EES1P_EEDaS1K_S1L_EUlS1K_E_NS1_11comp_targetILNS1_3genE0ELNS1_11target_archE4294967295ELNS1_3gpuE0ELNS1_3repE0EEENS1_30default_config_static_selectorELNS0_4arch9wavefront6targetE0EEEvSY_.has_recursion, 0
	.set _ZN7rocprim17ROCPRIM_400000_NS6detail17trampoline_kernelINS0_13select_configILj256ELj13ELNS0_17block_load_methodE3ELS4_3ELS4_3ELNS0_20block_scan_algorithmE0ELj4294967295EEENS1_25partition_config_selectorILNS1_17partition_subalgoE3EjNS0_10empty_typeEbEEZZNS1_14partition_implILS8_3ELb0ES6_jNS0_17counting_iteratorIjlEEPS9_SE_NS0_5tupleIJPjSE_EEENSF_IJSE_SE_EEES9_SG_JZNS1_25segmented_radix_sort_implINS0_14default_configELb0EPKsPsPKlPlN2at6native12_GLOBAL__N_18offset_tEEE10hipError_tPvRmT1_PNSt15iterator_traitsISY_E10value_typeET2_T3_PNSZ_IS14_E10value_typeET4_jRbjT5_S1A_jjP12ihipStream_tbEUljE_EEESV_SW_SX_S14_S18_S1A_T6_T7_T9_mT8_S1C_bDpT10_ENKUlT_T0_E_clISt17integral_constantIbLb1EES1P_EEDaS1K_S1L_EUlS1K_E_NS1_11comp_targetILNS1_3genE0ELNS1_11target_archE4294967295ELNS1_3gpuE0ELNS1_3repE0EEENS1_30default_config_static_selectorELNS0_4arch9wavefront6targetE0EEEvSY_.has_indirect_call, 0
	.section	.AMDGPU.csdata,"",@progbits
; Kernel info:
; codeLenInByte = 0
; TotalNumSgprs: 0
; NumVgprs: 0
; ScratchSize: 0
; MemoryBound: 0
; FloatMode: 240
; IeeeMode: 1
; LDSByteSize: 0 bytes/workgroup (compile time only)
; SGPRBlocks: 0
; VGPRBlocks: 0
; NumSGPRsForWavesPerEU: 1
; NumVGPRsForWavesPerEU: 1
; Occupancy: 16
; WaveLimiterHint : 0
; COMPUTE_PGM_RSRC2:SCRATCH_EN: 0
; COMPUTE_PGM_RSRC2:USER_SGPR: 2
; COMPUTE_PGM_RSRC2:TRAP_HANDLER: 0
; COMPUTE_PGM_RSRC2:TGID_X_EN: 1
; COMPUTE_PGM_RSRC2:TGID_Y_EN: 0
; COMPUTE_PGM_RSRC2:TGID_Z_EN: 0
; COMPUTE_PGM_RSRC2:TIDIG_COMP_CNT: 0
	.section	.text._ZN7rocprim17ROCPRIM_400000_NS6detail17trampoline_kernelINS0_13select_configILj256ELj13ELNS0_17block_load_methodE3ELS4_3ELS4_3ELNS0_20block_scan_algorithmE0ELj4294967295EEENS1_25partition_config_selectorILNS1_17partition_subalgoE3EjNS0_10empty_typeEbEEZZNS1_14partition_implILS8_3ELb0ES6_jNS0_17counting_iteratorIjlEEPS9_SE_NS0_5tupleIJPjSE_EEENSF_IJSE_SE_EEES9_SG_JZNS1_25segmented_radix_sort_implINS0_14default_configELb0EPKsPsPKlPlN2at6native12_GLOBAL__N_18offset_tEEE10hipError_tPvRmT1_PNSt15iterator_traitsISY_E10value_typeET2_T3_PNSZ_IS14_E10value_typeET4_jRbjT5_S1A_jjP12ihipStream_tbEUljE_EEESV_SW_SX_S14_S18_S1A_T6_T7_T9_mT8_S1C_bDpT10_ENKUlT_T0_E_clISt17integral_constantIbLb1EES1P_EEDaS1K_S1L_EUlS1K_E_NS1_11comp_targetILNS1_3genE5ELNS1_11target_archE942ELNS1_3gpuE9ELNS1_3repE0EEENS1_30default_config_static_selectorELNS0_4arch9wavefront6targetE0EEEvSY_,"axG",@progbits,_ZN7rocprim17ROCPRIM_400000_NS6detail17trampoline_kernelINS0_13select_configILj256ELj13ELNS0_17block_load_methodE3ELS4_3ELS4_3ELNS0_20block_scan_algorithmE0ELj4294967295EEENS1_25partition_config_selectorILNS1_17partition_subalgoE3EjNS0_10empty_typeEbEEZZNS1_14partition_implILS8_3ELb0ES6_jNS0_17counting_iteratorIjlEEPS9_SE_NS0_5tupleIJPjSE_EEENSF_IJSE_SE_EEES9_SG_JZNS1_25segmented_radix_sort_implINS0_14default_configELb0EPKsPsPKlPlN2at6native12_GLOBAL__N_18offset_tEEE10hipError_tPvRmT1_PNSt15iterator_traitsISY_E10value_typeET2_T3_PNSZ_IS14_E10value_typeET4_jRbjT5_S1A_jjP12ihipStream_tbEUljE_EEESV_SW_SX_S14_S18_S1A_T6_T7_T9_mT8_S1C_bDpT10_ENKUlT_T0_E_clISt17integral_constantIbLb1EES1P_EEDaS1K_S1L_EUlS1K_E_NS1_11comp_targetILNS1_3genE5ELNS1_11target_archE942ELNS1_3gpuE9ELNS1_3repE0EEENS1_30default_config_static_selectorELNS0_4arch9wavefront6targetE0EEEvSY_,comdat
	.globl	_ZN7rocprim17ROCPRIM_400000_NS6detail17trampoline_kernelINS0_13select_configILj256ELj13ELNS0_17block_load_methodE3ELS4_3ELS4_3ELNS0_20block_scan_algorithmE0ELj4294967295EEENS1_25partition_config_selectorILNS1_17partition_subalgoE3EjNS0_10empty_typeEbEEZZNS1_14partition_implILS8_3ELb0ES6_jNS0_17counting_iteratorIjlEEPS9_SE_NS0_5tupleIJPjSE_EEENSF_IJSE_SE_EEES9_SG_JZNS1_25segmented_radix_sort_implINS0_14default_configELb0EPKsPsPKlPlN2at6native12_GLOBAL__N_18offset_tEEE10hipError_tPvRmT1_PNSt15iterator_traitsISY_E10value_typeET2_T3_PNSZ_IS14_E10value_typeET4_jRbjT5_S1A_jjP12ihipStream_tbEUljE_EEESV_SW_SX_S14_S18_S1A_T6_T7_T9_mT8_S1C_bDpT10_ENKUlT_T0_E_clISt17integral_constantIbLb1EES1P_EEDaS1K_S1L_EUlS1K_E_NS1_11comp_targetILNS1_3genE5ELNS1_11target_archE942ELNS1_3gpuE9ELNS1_3repE0EEENS1_30default_config_static_selectorELNS0_4arch9wavefront6targetE0EEEvSY_ ; -- Begin function _ZN7rocprim17ROCPRIM_400000_NS6detail17trampoline_kernelINS0_13select_configILj256ELj13ELNS0_17block_load_methodE3ELS4_3ELS4_3ELNS0_20block_scan_algorithmE0ELj4294967295EEENS1_25partition_config_selectorILNS1_17partition_subalgoE3EjNS0_10empty_typeEbEEZZNS1_14partition_implILS8_3ELb0ES6_jNS0_17counting_iteratorIjlEEPS9_SE_NS0_5tupleIJPjSE_EEENSF_IJSE_SE_EEES9_SG_JZNS1_25segmented_radix_sort_implINS0_14default_configELb0EPKsPsPKlPlN2at6native12_GLOBAL__N_18offset_tEEE10hipError_tPvRmT1_PNSt15iterator_traitsISY_E10value_typeET2_T3_PNSZ_IS14_E10value_typeET4_jRbjT5_S1A_jjP12ihipStream_tbEUljE_EEESV_SW_SX_S14_S18_S1A_T6_T7_T9_mT8_S1C_bDpT10_ENKUlT_T0_E_clISt17integral_constantIbLb1EES1P_EEDaS1K_S1L_EUlS1K_E_NS1_11comp_targetILNS1_3genE5ELNS1_11target_archE942ELNS1_3gpuE9ELNS1_3repE0EEENS1_30default_config_static_selectorELNS0_4arch9wavefront6targetE0EEEvSY_
	.p2align	8
	.type	_ZN7rocprim17ROCPRIM_400000_NS6detail17trampoline_kernelINS0_13select_configILj256ELj13ELNS0_17block_load_methodE3ELS4_3ELS4_3ELNS0_20block_scan_algorithmE0ELj4294967295EEENS1_25partition_config_selectorILNS1_17partition_subalgoE3EjNS0_10empty_typeEbEEZZNS1_14partition_implILS8_3ELb0ES6_jNS0_17counting_iteratorIjlEEPS9_SE_NS0_5tupleIJPjSE_EEENSF_IJSE_SE_EEES9_SG_JZNS1_25segmented_radix_sort_implINS0_14default_configELb0EPKsPsPKlPlN2at6native12_GLOBAL__N_18offset_tEEE10hipError_tPvRmT1_PNSt15iterator_traitsISY_E10value_typeET2_T3_PNSZ_IS14_E10value_typeET4_jRbjT5_S1A_jjP12ihipStream_tbEUljE_EEESV_SW_SX_S14_S18_S1A_T6_T7_T9_mT8_S1C_bDpT10_ENKUlT_T0_E_clISt17integral_constantIbLb1EES1P_EEDaS1K_S1L_EUlS1K_E_NS1_11comp_targetILNS1_3genE5ELNS1_11target_archE942ELNS1_3gpuE9ELNS1_3repE0EEENS1_30default_config_static_selectorELNS0_4arch9wavefront6targetE0EEEvSY_,@function
_ZN7rocprim17ROCPRIM_400000_NS6detail17trampoline_kernelINS0_13select_configILj256ELj13ELNS0_17block_load_methodE3ELS4_3ELS4_3ELNS0_20block_scan_algorithmE0ELj4294967295EEENS1_25partition_config_selectorILNS1_17partition_subalgoE3EjNS0_10empty_typeEbEEZZNS1_14partition_implILS8_3ELb0ES6_jNS0_17counting_iteratorIjlEEPS9_SE_NS0_5tupleIJPjSE_EEENSF_IJSE_SE_EEES9_SG_JZNS1_25segmented_radix_sort_implINS0_14default_configELb0EPKsPsPKlPlN2at6native12_GLOBAL__N_18offset_tEEE10hipError_tPvRmT1_PNSt15iterator_traitsISY_E10value_typeET2_T3_PNSZ_IS14_E10value_typeET4_jRbjT5_S1A_jjP12ihipStream_tbEUljE_EEESV_SW_SX_S14_S18_S1A_T6_T7_T9_mT8_S1C_bDpT10_ENKUlT_T0_E_clISt17integral_constantIbLb1EES1P_EEDaS1K_S1L_EUlS1K_E_NS1_11comp_targetILNS1_3genE5ELNS1_11target_archE942ELNS1_3gpuE9ELNS1_3repE0EEENS1_30default_config_static_selectorELNS0_4arch9wavefront6targetE0EEEvSY_: ; @_ZN7rocprim17ROCPRIM_400000_NS6detail17trampoline_kernelINS0_13select_configILj256ELj13ELNS0_17block_load_methodE3ELS4_3ELS4_3ELNS0_20block_scan_algorithmE0ELj4294967295EEENS1_25partition_config_selectorILNS1_17partition_subalgoE3EjNS0_10empty_typeEbEEZZNS1_14partition_implILS8_3ELb0ES6_jNS0_17counting_iteratorIjlEEPS9_SE_NS0_5tupleIJPjSE_EEENSF_IJSE_SE_EEES9_SG_JZNS1_25segmented_radix_sort_implINS0_14default_configELb0EPKsPsPKlPlN2at6native12_GLOBAL__N_18offset_tEEE10hipError_tPvRmT1_PNSt15iterator_traitsISY_E10value_typeET2_T3_PNSZ_IS14_E10value_typeET4_jRbjT5_S1A_jjP12ihipStream_tbEUljE_EEESV_SW_SX_S14_S18_S1A_T6_T7_T9_mT8_S1C_bDpT10_ENKUlT_T0_E_clISt17integral_constantIbLb1EES1P_EEDaS1K_S1L_EUlS1K_E_NS1_11comp_targetILNS1_3genE5ELNS1_11target_archE942ELNS1_3gpuE9ELNS1_3repE0EEENS1_30default_config_static_selectorELNS0_4arch9wavefront6targetE0EEEvSY_
; %bb.0:
	.section	.rodata,"a",@progbits
	.p2align	6, 0x0
	.amdhsa_kernel _ZN7rocprim17ROCPRIM_400000_NS6detail17trampoline_kernelINS0_13select_configILj256ELj13ELNS0_17block_load_methodE3ELS4_3ELS4_3ELNS0_20block_scan_algorithmE0ELj4294967295EEENS1_25partition_config_selectorILNS1_17partition_subalgoE3EjNS0_10empty_typeEbEEZZNS1_14partition_implILS8_3ELb0ES6_jNS0_17counting_iteratorIjlEEPS9_SE_NS0_5tupleIJPjSE_EEENSF_IJSE_SE_EEES9_SG_JZNS1_25segmented_radix_sort_implINS0_14default_configELb0EPKsPsPKlPlN2at6native12_GLOBAL__N_18offset_tEEE10hipError_tPvRmT1_PNSt15iterator_traitsISY_E10value_typeET2_T3_PNSZ_IS14_E10value_typeET4_jRbjT5_S1A_jjP12ihipStream_tbEUljE_EEESV_SW_SX_S14_S18_S1A_T6_T7_T9_mT8_S1C_bDpT10_ENKUlT_T0_E_clISt17integral_constantIbLb1EES1P_EEDaS1K_S1L_EUlS1K_E_NS1_11comp_targetILNS1_3genE5ELNS1_11target_archE942ELNS1_3gpuE9ELNS1_3repE0EEENS1_30default_config_static_selectorELNS0_4arch9wavefront6targetE0EEEvSY_
		.amdhsa_group_segment_fixed_size 0
		.amdhsa_private_segment_fixed_size 0
		.amdhsa_kernarg_size 152
		.amdhsa_user_sgpr_count 2
		.amdhsa_user_sgpr_dispatch_ptr 0
		.amdhsa_user_sgpr_queue_ptr 0
		.amdhsa_user_sgpr_kernarg_segment_ptr 1
		.amdhsa_user_sgpr_dispatch_id 0
		.amdhsa_user_sgpr_private_segment_size 0
		.amdhsa_wavefront_size32 1
		.amdhsa_uses_dynamic_stack 0
		.amdhsa_enable_private_segment 0
		.amdhsa_system_sgpr_workgroup_id_x 1
		.amdhsa_system_sgpr_workgroup_id_y 0
		.amdhsa_system_sgpr_workgroup_id_z 0
		.amdhsa_system_sgpr_workgroup_info 0
		.amdhsa_system_vgpr_workitem_id 0
		.amdhsa_next_free_vgpr 1
		.amdhsa_next_free_sgpr 1
		.amdhsa_reserve_vcc 0
		.amdhsa_float_round_mode_32 0
		.amdhsa_float_round_mode_16_64 0
		.amdhsa_float_denorm_mode_32 3
		.amdhsa_float_denorm_mode_16_64 3
		.amdhsa_fp16_overflow 0
		.amdhsa_workgroup_processor_mode 1
		.amdhsa_memory_ordered 1
		.amdhsa_forward_progress 1
		.amdhsa_inst_pref_size 0
		.amdhsa_round_robin_scheduling 0
		.amdhsa_exception_fp_ieee_invalid_op 0
		.amdhsa_exception_fp_denorm_src 0
		.amdhsa_exception_fp_ieee_div_zero 0
		.amdhsa_exception_fp_ieee_overflow 0
		.amdhsa_exception_fp_ieee_underflow 0
		.amdhsa_exception_fp_ieee_inexact 0
		.amdhsa_exception_int_div_zero 0
	.end_amdhsa_kernel
	.section	.text._ZN7rocprim17ROCPRIM_400000_NS6detail17trampoline_kernelINS0_13select_configILj256ELj13ELNS0_17block_load_methodE3ELS4_3ELS4_3ELNS0_20block_scan_algorithmE0ELj4294967295EEENS1_25partition_config_selectorILNS1_17partition_subalgoE3EjNS0_10empty_typeEbEEZZNS1_14partition_implILS8_3ELb0ES6_jNS0_17counting_iteratorIjlEEPS9_SE_NS0_5tupleIJPjSE_EEENSF_IJSE_SE_EEES9_SG_JZNS1_25segmented_radix_sort_implINS0_14default_configELb0EPKsPsPKlPlN2at6native12_GLOBAL__N_18offset_tEEE10hipError_tPvRmT1_PNSt15iterator_traitsISY_E10value_typeET2_T3_PNSZ_IS14_E10value_typeET4_jRbjT5_S1A_jjP12ihipStream_tbEUljE_EEESV_SW_SX_S14_S18_S1A_T6_T7_T9_mT8_S1C_bDpT10_ENKUlT_T0_E_clISt17integral_constantIbLb1EES1P_EEDaS1K_S1L_EUlS1K_E_NS1_11comp_targetILNS1_3genE5ELNS1_11target_archE942ELNS1_3gpuE9ELNS1_3repE0EEENS1_30default_config_static_selectorELNS0_4arch9wavefront6targetE0EEEvSY_,"axG",@progbits,_ZN7rocprim17ROCPRIM_400000_NS6detail17trampoline_kernelINS0_13select_configILj256ELj13ELNS0_17block_load_methodE3ELS4_3ELS4_3ELNS0_20block_scan_algorithmE0ELj4294967295EEENS1_25partition_config_selectorILNS1_17partition_subalgoE3EjNS0_10empty_typeEbEEZZNS1_14partition_implILS8_3ELb0ES6_jNS0_17counting_iteratorIjlEEPS9_SE_NS0_5tupleIJPjSE_EEENSF_IJSE_SE_EEES9_SG_JZNS1_25segmented_radix_sort_implINS0_14default_configELb0EPKsPsPKlPlN2at6native12_GLOBAL__N_18offset_tEEE10hipError_tPvRmT1_PNSt15iterator_traitsISY_E10value_typeET2_T3_PNSZ_IS14_E10value_typeET4_jRbjT5_S1A_jjP12ihipStream_tbEUljE_EEESV_SW_SX_S14_S18_S1A_T6_T7_T9_mT8_S1C_bDpT10_ENKUlT_T0_E_clISt17integral_constantIbLb1EES1P_EEDaS1K_S1L_EUlS1K_E_NS1_11comp_targetILNS1_3genE5ELNS1_11target_archE942ELNS1_3gpuE9ELNS1_3repE0EEENS1_30default_config_static_selectorELNS0_4arch9wavefront6targetE0EEEvSY_,comdat
.Lfunc_end991:
	.size	_ZN7rocprim17ROCPRIM_400000_NS6detail17trampoline_kernelINS0_13select_configILj256ELj13ELNS0_17block_load_methodE3ELS4_3ELS4_3ELNS0_20block_scan_algorithmE0ELj4294967295EEENS1_25partition_config_selectorILNS1_17partition_subalgoE3EjNS0_10empty_typeEbEEZZNS1_14partition_implILS8_3ELb0ES6_jNS0_17counting_iteratorIjlEEPS9_SE_NS0_5tupleIJPjSE_EEENSF_IJSE_SE_EEES9_SG_JZNS1_25segmented_radix_sort_implINS0_14default_configELb0EPKsPsPKlPlN2at6native12_GLOBAL__N_18offset_tEEE10hipError_tPvRmT1_PNSt15iterator_traitsISY_E10value_typeET2_T3_PNSZ_IS14_E10value_typeET4_jRbjT5_S1A_jjP12ihipStream_tbEUljE_EEESV_SW_SX_S14_S18_S1A_T6_T7_T9_mT8_S1C_bDpT10_ENKUlT_T0_E_clISt17integral_constantIbLb1EES1P_EEDaS1K_S1L_EUlS1K_E_NS1_11comp_targetILNS1_3genE5ELNS1_11target_archE942ELNS1_3gpuE9ELNS1_3repE0EEENS1_30default_config_static_selectorELNS0_4arch9wavefront6targetE0EEEvSY_, .Lfunc_end991-_ZN7rocprim17ROCPRIM_400000_NS6detail17trampoline_kernelINS0_13select_configILj256ELj13ELNS0_17block_load_methodE3ELS4_3ELS4_3ELNS0_20block_scan_algorithmE0ELj4294967295EEENS1_25partition_config_selectorILNS1_17partition_subalgoE3EjNS0_10empty_typeEbEEZZNS1_14partition_implILS8_3ELb0ES6_jNS0_17counting_iteratorIjlEEPS9_SE_NS0_5tupleIJPjSE_EEENSF_IJSE_SE_EEES9_SG_JZNS1_25segmented_radix_sort_implINS0_14default_configELb0EPKsPsPKlPlN2at6native12_GLOBAL__N_18offset_tEEE10hipError_tPvRmT1_PNSt15iterator_traitsISY_E10value_typeET2_T3_PNSZ_IS14_E10value_typeET4_jRbjT5_S1A_jjP12ihipStream_tbEUljE_EEESV_SW_SX_S14_S18_S1A_T6_T7_T9_mT8_S1C_bDpT10_ENKUlT_T0_E_clISt17integral_constantIbLb1EES1P_EEDaS1K_S1L_EUlS1K_E_NS1_11comp_targetILNS1_3genE5ELNS1_11target_archE942ELNS1_3gpuE9ELNS1_3repE0EEENS1_30default_config_static_selectorELNS0_4arch9wavefront6targetE0EEEvSY_
                                        ; -- End function
	.set _ZN7rocprim17ROCPRIM_400000_NS6detail17trampoline_kernelINS0_13select_configILj256ELj13ELNS0_17block_load_methodE3ELS4_3ELS4_3ELNS0_20block_scan_algorithmE0ELj4294967295EEENS1_25partition_config_selectorILNS1_17partition_subalgoE3EjNS0_10empty_typeEbEEZZNS1_14partition_implILS8_3ELb0ES6_jNS0_17counting_iteratorIjlEEPS9_SE_NS0_5tupleIJPjSE_EEENSF_IJSE_SE_EEES9_SG_JZNS1_25segmented_radix_sort_implINS0_14default_configELb0EPKsPsPKlPlN2at6native12_GLOBAL__N_18offset_tEEE10hipError_tPvRmT1_PNSt15iterator_traitsISY_E10value_typeET2_T3_PNSZ_IS14_E10value_typeET4_jRbjT5_S1A_jjP12ihipStream_tbEUljE_EEESV_SW_SX_S14_S18_S1A_T6_T7_T9_mT8_S1C_bDpT10_ENKUlT_T0_E_clISt17integral_constantIbLb1EES1P_EEDaS1K_S1L_EUlS1K_E_NS1_11comp_targetILNS1_3genE5ELNS1_11target_archE942ELNS1_3gpuE9ELNS1_3repE0EEENS1_30default_config_static_selectorELNS0_4arch9wavefront6targetE0EEEvSY_.num_vgpr, 0
	.set _ZN7rocprim17ROCPRIM_400000_NS6detail17trampoline_kernelINS0_13select_configILj256ELj13ELNS0_17block_load_methodE3ELS4_3ELS4_3ELNS0_20block_scan_algorithmE0ELj4294967295EEENS1_25partition_config_selectorILNS1_17partition_subalgoE3EjNS0_10empty_typeEbEEZZNS1_14partition_implILS8_3ELb0ES6_jNS0_17counting_iteratorIjlEEPS9_SE_NS0_5tupleIJPjSE_EEENSF_IJSE_SE_EEES9_SG_JZNS1_25segmented_radix_sort_implINS0_14default_configELb0EPKsPsPKlPlN2at6native12_GLOBAL__N_18offset_tEEE10hipError_tPvRmT1_PNSt15iterator_traitsISY_E10value_typeET2_T3_PNSZ_IS14_E10value_typeET4_jRbjT5_S1A_jjP12ihipStream_tbEUljE_EEESV_SW_SX_S14_S18_S1A_T6_T7_T9_mT8_S1C_bDpT10_ENKUlT_T0_E_clISt17integral_constantIbLb1EES1P_EEDaS1K_S1L_EUlS1K_E_NS1_11comp_targetILNS1_3genE5ELNS1_11target_archE942ELNS1_3gpuE9ELNS1_3repE0EEENS1_30default_config_static_selectorELNS0_4arch9wavefront6targetE0EEEvSY_.num_agpr, 0
	.set _ZN7rocprim17ROCPRIM_400000_NS6detail17trampoline_kernelINS0_13select_configILj256ELj13ELNS0_17block_load_methodE3ELS4_3ELS4_3ELNS0_20block_scan_algorithmE0ELj4294967295EEENS1_25partition_config_selectorILNS1_17partition_subalgoE3EjNS0_10empty_typeEbEEZZNS1_14partition_implILS8_3ELb0ES6_jNS0_17counting_iteratorIjlEEPS9_SE_NS0_5tupleIJPjSE_EEENSF_IJSE_SE_EEES9_SG_JZNS1_25segmented_radix_sort_implINS0_14default_configELb0EPKsPsPKlPlN2at6native12_GLOBAL__N_18offset_tEEE10hipError_tPvRmT1_PNSt15iterator_traitsISY_E10value_typeET2_T3_PNSZ_IS14_E10value_typeET4_jRbjT5_S1A_jjP12ihipStream_tbEUljE_EEESV_SW_SX_S14_S18_S1A_T6_T7_T9_mT8_S1C_bDpT10_ENKUlT_T0_E_clISt17integral_constantIbLb1EES1P_EEDaS1K_S1L_EUlS1K_E_NS1_11comp_targetILNS1_3genE5ELNS1_11target_archE942ELNS1_3gpuE9ELNS1_3repE0EEENS1_30default_config_static_selectorELNS0_4arch9wavefront6targetE0EEEvSY_.numbered_sgpr, 0
	.set _ZN7rocprim17ROCPRIM_400000_NS6detail17trampoline_kernelINS0_13select_configILj256ELj13ELNS0_17block_load_methodE3ELS4_3ELS4_3ELNS0_20block_scan_algorithmE0ELj4294967295EEENS1_25partition_config_selectorILNS1_17partition_subalgoE3EjNS0_10empty_typeEbEEZZNS1_14partition_implILS8_3ELb0ES6_jNS0_17counting_iteratorIjlEEPS9_SE_NS0_5tupleIJPjSE_EEENSF_IJSE_SE_EEES9_SG_JZNS1_25segmented_radix_sort_implINS0_14default_configELb0EPKsPsPKlPlN2at6native12_GLOBAL__N_18offset_tEEE10hipError_tPvRmT1_PNSt15iterator_traitsISY_E10value_typeET2_T3_PNSZ_IS14_E10value_typeET4_jRbjT5_S1A_jjP12ihipStream_tbEUljE_EEESV_SW_SX_S14_S18_S1A_T6_T7_T9_mT8_S1C_bDpT10_ENKUlT_T0_E_clISt17integral_constantIbLb1EES1P_EEDaS1K_S1L_EUlS1K_E_NS1_11comp_targetILNS1_3genE5ELNS1_11target_archE942ELNS1_3gpuE9ELNS1_3repE0EEENS1_30default_config_static_selectorELNS0_4arch9wavefront6targetE0EEEvSY_.num_named_barrier, 0
	.set _ZN7rocprim17ROCPRIM_400000_NS6detail17trampoline_kernelINS0_13select_configILj256ELj13ELNS0_17block_load_methodE3ELS4_3ELS4_3ELNS0_20block_scan_algorithmE0ELj4294967295EEENS1_25partition_config_selectorILNS1_17partition_subalgoE3EjNS0_10empty_typeEbEEZZNS1_14partition_implILS8_3ELb0ES6_jNS0_17counting_iteratorIjlEEPS9_SE_NS0_5tupleIJPjSE_EEENSF_IJSE_SE_EEES9_SG_JZNS1_25segmented_radix_sort_implINS0_14default_configELb0EPKsPsPKlPlN2at6native12_GLOBAL__N_18offset_tEEE10hipError_tPvRmT1_PNSt15iterator_traitsISY_E10value_typeET2_T3_PNSZ_IS14_E10value_typeET4_jRbjT5_S1A_jjP12ihipStream_tbEUljE_EEESV_SW_SX_S14_S18_S1A_T6_T7_T9_mT8_S1C_bDpT10_ENKUlT_T0_E_clISt17integral_constantIbLb1EES1P_EEDaS1K_S1L_EUlS1K_E_NS1_11comp_targetILNS1_3genE5ELNS1_11target_archE942ELNS1_3gpuE9ELNS1_3repE0EEENS1_30default_config_static_selectorELNS0_4arch9wavefront6targetE0EEEvSY_.private_seg_size, 0
	.set _ZN7rocprim17ROCPRIM_400000_NS6detail17trampoline_kernelINS0_13select_configILj256ELj13ELNS0_17block_load_methodE3ELS4_3ELS4_3ELNS0_20block_scan_algorithmE0ELj4294967295EEENS1_25partition_config_selectorILNS1_17partition_subalgoE3EjNS0_10empty_typeEbEEZZNS1_14partition_implILS8_3ELb0ES6_jNS0_17counting_iteratorIjlEEPS9_SE_NS0_5tupleIJPjSE_EEENSF_IJSE_SE_EEES9_SG_JZNS1_25segmented_radix_sort_implINS0_14default_configELb0EPKsPsPKlPlN2at6native12_GLOBAL__N_18offset_tEEE10hipError_tPvRmT1_PNSt15iterator_traitsISY_E10value_typeET2_T3_PNSZ_IS14_E10value_typeET4_jRbjT5_S1A_jjP12ihipStream_tbEUljE_EEESV_SW_SX_S14_S18_S1A_T6_T7_T9_mT8_S1C_bDpT10_ENKUlT_T0_E_clISt17integral_constantIbLb1EES1P_EEDaS1K_S1L_EUlS1K_E_NS1_11comp_targetILNS1_3genE5ELNS1_11target_archE942ELNS1_3gpuE9ELNS1_3repE0EEENS1_30default_config_static_selectorELNS0_4arch9wavefront6targetE0EEEvSY_.uses_vcc, 0
	.set _ZN7rocprim17ROCPRIM_400000_NS6detail17trampoline_kernelINS0_13select_configILj256ELj13ELNS0_17block_load_methodE3ELS4_3ELS4_3ELNS0_20block_scan_algorithmE0ELj4294967295EEENS1_25partition_config_selectorILNS1_17partition_subalgoE3EjNS0_10empty_typeEbEEZZNS1_14partition_implILS8_3ELb0ES6_jNS0_17counting_iteratorIjlEEPS9_SE_NS0_5tupleIJPjSE_EEENSF_IJSE_SE_EEES9_SG_JZNS1_25segmented_radix_sort_implINS0_14default_configELb0EPKsPsPKlPlN2at6native12_GLOBAL__N_18offset_tEEE10hipError_tPvRmT1_PNSt15iterator_traitsISY_E10value_typeET2_T3_PNSZ_IS14_E10value_typeET4_jRbjT5_S1A_jjP12ihipStream_tbEUljE_EEESV_SW_SX_S14_S18_S1A_T6_T7_T9_mT8_S1C_bDpT10_ENKUlT_T0_E_clISt17integral_constantIbLb1EES1P_EEDaS1K_S1L_EUlS1K_E_NS1_11comp_targetILNS1_3genE5ELNS1_11target_archE942ELNS1_3gpuE9ELNS1_3repE0EEENS1_30default_config_static_selectorELNS0_4arch9wavefront6targetE0EEEvSY_.uses_flat_scratch, 0
	.set _ZN7rocprim17ROCPRIM_400000_NS6detail17trampoline_kernelINS0_13select_configILj256ELj13ELNS0_17block_load_methodE3ELS4_3ELS4_3ELNS0_20block_scan_algorithmE0ELj4294967295EEENS1_25partition_config_selectorILNS1_17partition_subalgoE3EjNS0_10empty_typeEbEEZZNS1_14partition_implILS8_3ELb0ES6_jNS0_17counting_iteratorIjlEEPS9_SE_NS0_5tupleIJPjSE_EEENSF_IJSE_SE_EEES9_SG_JZNS1_25segmented_radix_sort_implINS0_14default_configELb0EPKsPsPKlPlN2at6native12_GLOBAL__N_18offset_tEEE10hipError_tPvRmT1_PNSt15iterator_traitsISY_E10value_typeET2_T3_PNSZ_IS14_E10value_typeET4_jRbjT5_S1A_jjP12ihipStream_tbEUljE_EEESV_SW_SX_S14_S18_S1A_T6_T7_T9_mT8_S1C_bDpT10_ENKUlT_T0_E_clISt17integral_constantIbLb1EES1P_EEDaS1K_S1L_EUlS1K_E_NS1_11comp_targetILNS1_3genE5ELNS1_11target_archE942ELNS1_3gpuE9ELNS1_3repE0EEENS1_30default_config_static_selectorELNS0_4arch9wavefront6targetE0EEEvSY_.has_dyn_sized_stack, 0
	.set _ZN7rocprim17ROCPRIM_400000_NS6detail17trampoline_kernelINS0_13select_configILj256ELj13ELNS0_17block_load_methodE3ELS4_3ELS4_3ELNS0_20block_scan_algorithmE0ELj4294967295EEENS1_25partition_config_selectorILNS1_17partition_subalgoE3EjNS0_10empty_typeEbEEZZNS1_14partition_implILS8_3ELb0ES6_jNS0_17counting_iteratorIjlEEPS9_SE_NS0_5tupleIJPjSE_EEENSF_IJSE_SE_EEES9_SG_JZNS1_25segmented_radix_sort_implINS0_14default_configELb0EPKsPsPKlPlN2at6native12_GLOBAL__N_18offset_tEEE10hipError_tPvRmT1_PNSt15iterator_traitsISY_E10value_typeET2_T3_PNSZ_IS14_E10value_typeET4_jRbjT5_S1A_jjP12ihipStream_tbEUljE_EEESV_SW_SX_S14_S18_S1A_T6_T7_T9_mT8_S1C_bDpT10_ENKUlT_T0_E_clISt17integral_constantIbLb1EES1P_EEDaS1K_S1L_EUlS1K_E_NS1_11comp_targetILNS1_3genE5ELNS1_11target_archE942ELNS1_3gpuE9ELNS1_3repE0EEENS1_30default_config_static_selectorELNS0_4arch9wavefront6targetE0EEEvSY_.has_recursion, 0
	.set _ZN7rocprim17ROCPRIM_400000_NS6detail17trampoline_kernelINS0_13select_configILj256ELj13ELNS0_17block_load_methodE3ELS4_3ELS4_3ELNS0_20block_scan_algorithmE0ELj4294967295EEENS1_25partition_config_selectorILNS1_17partition_subalgoE3EjNS0_10empty_typeEbEEZZNS1_14partition_implILS8_3ELb0ES6_jNS0_17counting_iteratorIjlEEPS9_SE_NS0_5tupleIJPjSE_EEENSF_IJSE_SE_EEES9_SG_JZNS1_25segmented_radix_sort_implINS0_14default_configELb0EPKsPsPKlPlN2at6native12_GLOBAL__N_18offset_tEEE10hipError_tPvRmT1_PNSt15iterator_traitsISY_E10value_typeET2_T3_PNSZ_IS14_E10value_typeET4_jRbjT5_S1A_jjP12ihipStream_tbEUljE_EEESV_SW_SX_S14_S18_S1A_T6_T7_T9_mT8_S1C_bDpT10_ENKUlT_T0_E_clISt17integral_constantIbLb1EES1P_EEDaS1K_S1L_EUlS1K_E_NS1_11comp_targetILNS1_3genE5ELNS1_11target_archE942ELNS1_3gpuE9ELNS1_3repE0EEENS1_30default_config_static_selectorELNS0_4arch9wavefront6targetE0EEEvSY_.has_indirect_call, 0
	.section	.AMDGPU.csdata,"",@progbits
; Kernel info:
; codeLenInByte = 0
; TotalNumSgprs: 0
; NumVgprs: 0
; ScratchSize: 0
; MemoryBound: 0
; FloatMode: 240
; IeeeMode: 1
; LDSByteSize: 0 bytes/workgroup (compile time only)
; SGPRBlocks: 0
; VGPRBlocks: 0
; NumSGPRsForWavesPerEU: 1
; NumVGPRsForWavesPerEU: 1
; Occupancy: 16
; WaveLimiterHint : 0
; COMPUTE_PGM_RSRC2:SCRATCH_EN: 0
; COMPUTE_PGM_RSRC2:USER_SGPR: 2
; COMPUTE_PGM_RSRC2:TRAP_HANDLER: 0
; COMPUTE_PGM_RSRC2:TGID_X_EN: 1
; COMPUTE_PGM_RSRC2:TGID_Y_EN: 0
; COMPUTE_PGM_RSRC2:TGID_Z_EN: 0
; COMPUTE_PGM_RSRC2:TIDIG_COMP_CNT: 0
	.section	.text._ZN7rocprim17ROCPRIM_400000_NS6detail17trampoline_kernelINS0_13select_configILj256ELj13ELNS0_17block_load_methodE3ELS4_3ELS4_3ELNS0_20block_scan_algorithmE0ELj4294967295EEENS1_25partition_config_selectorILNS1_17partition_subalgoE3EjNS0_10empty_typeEbEEZZNS1_14partition_implILS8_3ELb0ES6_jNS0_17counting_iteratorIjlEEPS9_SE_NS0_5tupleIJPjSE_EEENSF_IJSE_SE_EEES9_SG_JZNS1_25segmented_radix_sort_implINS0_14default_configELb0EPKsPsPKlPlN2at6native12_GLOBAL__N_18offset_tEEE10hipError_tPvRmT1_PNSt15iterator_traitsISY_E10value_typeET2_T3_PNSZ_IS14_E10value_typeET4_jRbjT5_S1A_jjP12ihipStream_tbEUljE_EEESV_SW_SX_S14_S18_S1A_T6_T7_T9_mT8_S1C_bDpT10_ENKUlT_T0_E_clISt17integral_constantIbLb1EES1P_EEDaS1K_S1L_EUlS1K_E_NS1_11comp_targetILNS1_3genE4ELNS1_11target_archE910ELNS1_3gpuE8ELNS1_3repE0EEENS1_30default_config_static_selectorELNS0_4arch9wavefront6targetE0EEEvSY_,"axG",@progbits,_ZN7rocprim17ROCPRIM_400000_NS6detail17trampoline_kernelINS0_13select_configILj256ELj13ELNS0_17block_load_methodE3ELS4_3ELS4_3ELNS0_20block_scan_algorithmE0ELj4294967295EEENS1_25partition_config_selectorILNS1_17partition_subalgoE3EjNS0_10empty_typeEbEEZZNS1_14partition_implILS8_3ELb0ES6_jNS0_17counting_iteratorIjlEEPS9_SE_NS0_5tupleIJPjSE_EEENSF_IJSE_SE_EEES9_SG_JZNS1_25segmented_radix_sort_implINS0_14default_configELb0EPKsPsPKlPlN2at6native12_GLOBAL__N_18offset_tEEE10hipError_tPvRmT1_PNSt15iterator_traitsISY_E10value_typeET2_T3_PNSZ_IS14_E10value_typeET4_jRbjT5_S1A_jjP12ihipStream_tbEUljE_EEESV_SW_SX_S14_S18_S1A_T6_T7_T9_mT8_S1C_bDpT10_ENKUlT_T0_E_clISt17integral_constantIbLb1EES1P_EEDaS1K_S1L_EUlS1K_E_NS1_11comp_targetILNS1_3genE4ELNS1_11target_archE910ELNS1_3gpuE8ELNS1_3repE0EEENS1_30default_config_static_selectorELNS0_4arch9wavefront6targetE0EEEvSY_,comdat
	.globl	_ZN7rocprim17ROCPRIM_400000_NS6detail17trampoline_kernelINS0_13select_configILj256ELj13ELNS0_17block_load_methodE3ELS4_3ELS4_3ELNS0_20block_scan_algorithmE0ELj4294967295EEENS1_25partition_config_selectorILNS1_17partition_subalgoE3EjNS0_10empty_typeEbEEZZNS1_14partition_implILS8_3ELb0ES6_jNS0_17counting_iteratorIjlEEPS9_SE_NS0_5tupleIJPjSE_EEENSF_IJSE_SE_EEES9_SG_JZNS1_25segmented_radix_sort_implINS0_14default_configELb0EPKsPsPKlPlN2at6native12_GLOBAL__N_18offset_tEEE10hipError_tPvRmT1_PNSt15iterator_traitsISY_E10value_typeET2_T3_PNSZ_IS14_E10value_typeET4_jRbjT5_S1A_jjP12ihipStream_tbEUljE_EEESV_SW_SX_S14_S18_S1A_T6_T7_T9_mT8_S1C_bDpT10_ENKUlT_T0_E_clISt17integral_constantIbLb1EES1P_EEDaS1K_S1L_EUlS1K_E_NS1_11comp_targetILNS1_3genE4ELNS1_11target_archE910ELNS1_3gpuE8ELNS1_3repE0EEENS1_30default_config_static_selectorELNS0_4arch9wavefront6targetE0EEEvSY_ ; -- Begin function _ZN7rocprim17ROCPRIM_400000_NS6detail17trampoline_kernelINS0_13select_configILj256ELj13ELNS0_17block_load_methodE3ELS4_3ELS4_3ELNS0_20block_scan_algorithmE0ELj4294967295EEENS1_25partition_config_selectorILNS1_17partition_subalgoE3EjNS0_10empty_typeEbEEZZNS1_14partition_implILS8_3ELb0ES6_jNS0_17counting_iteratorIjlEEPS9_SE_NS0_5tupleIJPjSE_EEENSF_IJSE_SE_EEES9_SG_JZNS1_25segmented_radix_sort_implINS0_14default_configELb0EPKsPsPKlPlN2at6native12_GLOBAL__N_18offset_tEEE10hipError_tPvRmT1_PNSt15iterator_traitsISY_E10value_typeET2_T3_PNSZ_IS14_E10value_typeET4_jRbjT5_S1A_jjP12ihipStream_tbEUljE_EEESV_SW_SX_S14_S18_S1A_T6_T7_T9_mT8_S1C_bDpT10_ENKUlT_T0_E_clISt17integral_constantIbLb1EES1P_EEDaS1K_S1L_EUlS1K_E_NS1_11comp_targetILNS1_3genE4ELNS1_11target_archE910ELNS1_3gpuE8ELNS1_3repE0EEENS1_30default_config_static_selectorELNS0_4arch9wavefront6targetE0EEEvSY_
	.p2align	8
	.type	_ZN7rocprim17ROCPRIM_400000_NS6detail17trampoline_kernelINS0_13select_configILj256ELj13ELNS0_17block_load_methodE3ELS4_3ELS4_3ELNS0_20block_scan_algorithmE0ELj4294967295EEENS1_25partition_config_selectorILNS1_17partition_subalgoE3EjNS0_10empty_typeEbEEZZNS1_14partition_implILS8_3ELb0ES6_jNS0_17counting_iteratorIjlEEPS9_SE_NS0_5tupleIJPjSE_EEENSF_IJSE_SE_EEES9_SG_JZNS1_25segmented_radix_sort_implINS0_14default_configELb0EPKsPsPKlPlN2at6native12_GLOBAL__N_18offset_tEEE10hipError_tPvRmT1_PNSt15iterator_traitsISY_E10value_typeET2_T3_PNSZ_IS14_E10value_typeET4_jRbjT5_S1A_jjP12ihipStream_tbEUljE_EEESV_SW_SX_S14_S18_S1A_T6_T7_T9_mT8_S1C_bDpT10_ENKUlT_T0_E_clISt17integral_constantIbLb1EES1P_EEDaS1K_S1L_EUlS1K_E_NS1_11comp_targetILNS1_3genE4ELNS1_11target_archE910ELNS1_3gpuE8ELNS1_3repE0EEENS1_30default_config_static_selectorELNS0_4arch9wavefront6targetE0EEEvSY_,@function
_ZN7rocprim17ROCPRIM_400000_NS6detail17trampoline_kernelINS0_13select_configILj256ELj13ELNS0_17block_load_methodE3ELS4_3ELS4_3ELNS0_20block_scan_algorithmE0ELj4294967295EEENS1_25partition_config_selectorILNS1_17partition_subalgoE3EjNS0_10empty_typeEbEEZZNS1_14partition_implILS8_3ELb0ES6_jNS0_17counting_iteratorIjlEEPS9_SE_NS0_5tupleIJPjSE_EEENSF_IJSE_SE_EEES9_SG_JZNS1_25segmented_radix_sort_implINS0_14default_configELb0EPKsPsPKlPlN2at6native12_GLOBAL__N_18offset_tEEE10hipError_tPvRmT1_PNSt15iterator_traitsISY_E10value_typeET2_T3_PNSZ_IS14_E10value_typeET4_jRbjT5_S1A_jjP12ihipStream_tbEUljE_EEESV_SW_SX_S14_S18_S1A_T6_T7_T9_mT8_S1C_bDpT10_ENKUlT_T0_E_clISt17integral_constantIbLb1EES1P_EEDaS1K_S1L_EUlS1K_E_NS1_11comp_targetILNS1_3genE4ELNS1_11target_archE910ELNS1_3gpuE8ELNS1_3repE0EEENS1_30default_config_static_selectorELNS0_4arch9wavefront6targetE0EEEvSY_: ; @_ZN7rocprim17ROCPRIM_400000_NS6detail17trampoline_kernelINS0_13select_configILj256ELj13ELNS0_17block_load_methodE3ELS4_3ELS4_3ELNS0_20block_scan_algorithmE0ELj4294967295EEENS1_25partition_config_selectorILNS1_17partition_subalgoE3EjNS0_10empty_typeEbEEZZNS1_14partition_implILS8_3ELb0ES6_jNS0_17counting_iteratorIjlEEPS9_SE_NS0_5tupleIJPjSE_EEENSF_IJSE_SE_EEES9_SG_JZNS1_25segmented_radix_sort_implINS0_14default_configELb0EPKsPsPKlPlN2at6native12_GLOBAL__N_18offset_tEEE10hipError_tPvRmT1_PNSt15iterator_traitsISY_E10value_typeET2_T3_PNSZ_IS14_E10value_typeET4_jRbjT5_S1A_jjP12ihipStream_tbEUljE_EEESV_SW_SX_S14_S18_S1A_T6_T7_T9_mT8_S1C_bDpT10_ENKUlT_T0_E_clISt17integral_constantIbLb1EES1P_EEDaS1K_S1L_EUlS1K_E_NS1_11comp_targetILNS1_3genE4ELNS1_11target_archE910ELNS1_3gpuE8ELNS1_3repE0EEENS1_30default_config_static_selectorELNS0_4arch9wavefront6targetE0EEEvSY_
; %bb.0:
	.section	.rodata,"a",@progbits
	.p2align	6, 0x0
	.amdhsa_kernel _ZN7rocprim17ROCPRIM_400000_NS6detail17trampoline_kernelINS0_13select_configILj256ELj13ELNS0_17block_load_methodE3ELS4_3ELS4_3ELNS0_20block_scan_algorithmE0ELj4294967295EEENS1_25partition_config_selectorILNS1_17partition_subalgoE3EjNS0_10empty_typeEbEEZZNS1_14partition_implILS8_3ELb0ES6_jNS0_17counting_iteratorIjlEEPS9_SE_NS0_5tupleIJPjSE_EEENSF_IJSE_SE_EEES9_SG_JZNS1_25segmented_radix_sort_implINS0_14default_configELb0EPKsPsPKlPlN2at6native12_GLOBAL__N_18offset_tEEE10hipError_tPvRmT1_PNSt15iterator_traitsISY_E10value_typeET2_T3_PNSZ_IS14_E10value_typeET4_jRbjT5_S1A_jjP12ihipStream_tbEUljE_EEESV_SW_SX_S14_S18_S1A_T6_T7_T9_mT8_S1C_bDpT10_ENKUlT_T0_E_clISt17integral_constantIbLb1EES1P_EEDaS1K_S1L_EUlS1K_E_NS1_11comp_targetILNS1_3genE4ELNS1_11target_archE910ELNS1_3gpuE8ELNS1_3repE0EEENS1_30default_config_static_selectorELNS0_4arch9wavefront6targetE0EEEvSY_
		.amdhsa_group_segment_fixed_size 0
		.amdhsa_private_segment_fixed_size 0
		.amdhsa_kernarg_size 152
		.amdhsa_user_sgpr_count 2
		.amdhsa_user_sgpr_dispatch_ptr 0
		.amdhsa_user_sgpr_queue_ptr 0
		.amdhsa_user_sgpr_kernarg_segment_ptr 1
		.amdhsa_user_sgpr_dispatch_id 0
		.amdhsa_user_sgpr_private_segment_size 0
		.amdhsa_wavefront_size32 1
		.amdhsa_uses_dynamic_stack 0
		.amdhsa_enable_private_segment 0
		.amdhsa_system_sgpr_workgroup_id_x 1
		.amdhsa_system_sgpr_workgroup_id_y 0
		.amdhsa_system_sgpr_workgroup_id_z 0
		.amdhsa_system_sgpr_workgroup_info 0
		.amdhsa_system_vgpr_workitem_id 0
		.amdhsa_next_free_vgpr 1
		.amdhsa_next_free_sgpr 1
		.amdhsa_reserve_vcc 0
		.amdhsa_float_round_mode_32 0
		.amdhsa_float_round_mode_16_64 0
		.amdhsa_float_denorm_mode_32 3
		.amdhsa_float_denorm_mode_16_64 3
		.amdhsa_fp16_overflow 0
		.amdhsa_workgroup_processor_mode 1
		.amdhsa_memory_ordered 1
		.amdhsa_forward_progress 1
		.amdhsa_inst_pref_size 0
		.amdhsa_round_robin_scheduling 0
		.amdhsa_exception_fp_ieee_invalid_op 0
		.amdhsa_exception_fp_denorm_src 0
		.amdhsa_exception_fp_ieee_div_zero 0
		.amdhsa_exception_fp_ieee_overflow 0
		.amdhsa_exception_fp_ieee_underflow 0
		.amdhsa_exception_fp_ieee_inexact 0
		.amdhsa_exception_int_div_zero 0
	.end_amdhsa_kernel
	.section	.text._ZN7rocprim17ROCPRIM_400000_NS6detail17trampoline_kernelINS0_13select_configILj256ELj13ELNS0_17block_load_methodE3ELS4_3ELS4_3ELNS0_20block_scan_algorithmE0ELj4294967295EEENS1_25partition_config_selectorILNS1_17partition_subalgoE3EjNS0_10empty_typeEbEEZZNS1_14partition_implILS8_3ELb0ES6_jNS0_17counting_iteratorIjlEEPS9_SE_NS0_5tupleIJPjSE_EEENSF_IJSE_SE_EEES9_SG_JZNS1_25segmented_radix_sort_implINS0_14default_configELb0EPKsPsPKlPlN2at6native12_GLOBAL__N_18offset_tEEE10hipError_tPvRmT1_PNSt15iterator_traitsISY_E10value_typeET2_T3_PNSZ_IS14_E10value_typeET4_jRbjT5_S1A_jjP12ihipStream_tbEUljE_EEESV_SW_SX_S14_S18_S1A_T6_T7_T9_mT8_S1C_bDpT10_ENKUlT_T0_E_clISt17integral_constantIbLb1EES1P_EEDaS1K_S1L_EUlS1K_E_NS1_11comp_targetILNS1_3genE4ELNS1_11target_archE910ELNS1_3gpuE8ELNS1_3repE0EEENS1_30default_config_static_selectorELNS0_4arch9wavefront6targetE0EEEvSY_,"axG",@progbits,_ZN7rocprim17ROCPRIM_400000_NS6detail17trampoline_kernelINS0_13select_configILj256ELj13ELNS0_17block_load_methodE3ELS4_3ELS4_3ELNS0_20block_scan_algorithmE0ELj4294967295EEENS1_25partition_config_selectorILNS1_17partition_subalgoE3EjNS0_10empty_typeEbEEZZNS1_14partition_implILS8_3ELb0ES6_jNS0_17counting_iteratorIjlEEPS9_SE_NS0_5tupleIJPjSE_EEENSF_IJSE_SE_EEES9_SG_JZNS1_25segmented_radix_sort_implINS0_14default_configELb0EPKsPsPKlPlN2at6native12_GLOBAL__N_18offset_tEEE10hipError_tPvRmT1_PNSt15iterator_traitsISY_E10value_typeET2_T3_PNSZ_IS14_E10value_typeET4_jRbjT5_S1A_jjP12ihipStream_tbEUljE_EEESV_SW_SX_S14_S18_S1A_T6_T7_T9_mT8_S1C_bDpT10_ENKUlT_T0_E_clISt17integral_constantIbLb1EES1P_EEDaS1K_S1L_EUlS1K_E_NS1_11comp_targetILNS1_3genE4ELNS1_11target_archE910ELNS1_3gpuE8ELNS1_3repE0EEENS1_30default_config_static_selectorELNS0_4arch9wavefront6targetE0EEEvSY_,comdat
.Lfunc_end992:
	.size	_ZN7rocprim17ROCPRIM_400000_NS6detail17trampoline_kernelINS0_13select_configILj256ELj13ELNS0_17block_load_methodE3ELS4_3ELS4_3ELNS0_20block_scan_algorithmE0ELj4294967295EEENS1_25partition_config_selectorILNS1_17partition_subalgoE3EjNS0_10empty_typeEbEEZZNS1_14partition_implILS8_3ELb0ES6_jNS0_17counting_iteratorIjlEEPS9_SE_NS0_5tupleIJPjSE_EEENSF_IJSE_SE_EEES9_SG_JZNS1_25segmented_radix_sort_implINS0_14default_configELb0EPKsPsPKlPlN2at6native12_GLOBAL__N_18offset_tEEE10hipError_tPvRmT1_PNSt15iterator_traitsISY_E10value_typeET2_T3_PNSZ_IS14_E10value_typeET4_jRbjT5_S1A_jjP12ihipStream_tbEUljE_EEESV_SW_SX_S14_S18_S1A_T6_T7_T9_mT8_S1C_bDpT10_ENKUlT_T0_E_clISt17integral_constantIbLb1EES1P_EEDaS1K_S1L_EUlS1K_E_NS1_11comp_targetILNS1_3genE4ELNS1_11target_archE910ELNS1_3gpuE8ELNS1_3repE0EEENS1_30default_config_static_selectorELNS0_4arch9wavefront6targetE0EEEvSY_, .Lfunc_end992-_ZN7rocprim17ROCPRIM_400000_NS6detail17trampoline_kernelINS0_13select_configILj256ELj13ELNS0_17block_load_methodE3ELS4_3ELS4_3ELNS0_20block_scan_algorithmE0ELj4294967295EEENS1_25partition_config_selectorILNS1_17partition_subalgoE3EjNS0_10empty_typeEbEEZZNS1_14partition_implILS8_3ELb0ES6_jNS0_17counting_iteratorIjlEEPS9_SE_NS0_5tupleIJPjSE_EEENSF_IJSE_SE_EEES9_SG_JZNS1_25segmented_radix_sort_implINS0_14default_configELb0EPKsPsPKlPlN2at6native12_GLOBAL__N_18offset_tEEE10hipError_tPvRmT1_PNSt15iterator_traitsISY_E10value_typeET2_T3_PNSZ_IS14_E10value_typeET4_jRbjT5_S1A_jjP12ihipStream_tbEUljE_EEESV_SW_SX_S14_S18_S1A_T6_T7_T9_mT8_S1C_bDpT10_ENKUlT_T0_E_clISt17integral_constantIbLb1EES1P_EEDaS1K_S1L_EUlS1K_E_NS1_11comp_targetILNS1_3genE4ELNS1_11target_archE910ELNS1_3gpuE8ELNS1_3repE0EEENS1_30default_config_static_selectorELNS0_4arch9wavefront6targetE0EEEvSY_
                                        ; -- End function
	.set _ZN7rocprim17ROCPRIM_400000_NS6detail17trampoline_kernelINS0_13select_configILj256ELj13ELNS0_17block_load_methodE3ELS4_3ELS4_3ELNS0_20block_scan_algorithmE0ELj4294967295EEENS1_25partition_config_selectorILNS1_17partition_subalgoE3EjNS0_10empty_typeEbEEZZNS1_14partition_implILS8_3ELb0ES6_jNS0_17counting_iteratorIjlEEPS9_SE_NS0_5tupleIJPjSE_EEENSF_IJSE_SE_EEES9_SG_JZNS1_25segmented_radix_sort_implINS0_14default_configELb0EPKsPsPKlPlN2at6native12_GLOBAL__N_18offset_tEEE10hipError_tPvRmT1_PNSt15iterator_traitsISY_E10value_typeET2_T3_PNSZ_IS14_E10value_typeET4_jRbjT5_S1A_jjP12ihipStream_tbEUljE_EEESV_SW_SX_S14_S18_S1A_T6_T7_T9_mT8_S1C_bDpT10_ENKUlT_T0_E_clISt17integral_constantIbLb1EES1P_EEDaS1K_S1L_EUlS1K_E_NS1_11comp_targetILNS1_3genE4ELNS1_11target_archE910ELNS1_3gpuE8ELNS1_3repE0EEENS1_30default_config_static_selectorELNS0_4arch9wavefront6targetE0EEEvSY_.num_vgpr, 0
	.set _ZN7rocprim17ROCPRIM_400000_NS6detail17trampoline_kernelINS0_13select_configILj256ELj13ELNS0_17block_load_methodE3ELS4_3ELS4_3ELNS0_20block_scan_algorithmE0ELj4294967295EEENS1_25partition_config_selectorILNS1_17partition_subalgoE3EjNS0_10empty_typeEbEEZZNS1_14partition_implILS8_3ELb0ES6_jNS0_17counting_iteratorIjlEEPS9_SE_NS0_5tupleIJPjSE_EEENSF_IJSE_SE_EEES9_SG_JZNS1_25segmented_radix_sort_implINS0_14default_configELb0EPKsPsPKlPlN2at6native12_GLOBAL__N_18offset_tEEE10hipError_tPvRmT1_PNSt15iterator_traitsISY_E10value_typeET2_T3_PNSZ_IS14_E10value_typeET4_jRbjT5_S1A_jjP12ihipStream_tbEUljE_EEESV_SW_SX_S14_S18_S1A_T6_T7_T9_mT8_S1C_bDpT10_ENKUlT_T0_E_clISt17integral_constantIbLb1EES1P_EEDaS1K_S1L_EUlS1K_E_NS1_11comp_targetILNS1_3genE4ELNS1_11target_archE910ELNS1_3gpuE8ELNS1_3repE0EEENS1_30default_config_static_selectorELNS0_4arch9wavefront6targetE0EEEvSY_.num_agpr, 0
	.set _ZN7rocprim17ROCPRIM_400000_NS6detail17trampoline_kernelINS0_13select_configILj256ELj13ELNS0_17block_load_methodE3ELS4_3ELS4_3ELNS0_20block_scan_algorithmE0ELj4294967295EEENS1_25partition_config_selectorILNS1_17partition_subalgoE3EjNS0_10empty_typeEbEEZZNS1_14partition_implILS8_3ELb0ES6_jNS0_17counting_iteratorIjlEEPS9_SE_NS0_5tupleIJPjSE_EEENSF_IJSE_SE_EEES9_SG_JZNS1_25segmented_radix_sort_implINS0_14default_configELb0EPKsPsPKlPlN2at6native12_GLOBAL__N_18offset_tEEE10hipError_tPvRmT1_PNSt15iterator_traitsISY_E10value_typeET2_T3_PNSZ_IS14_E10value_typeET4_jRbjT5_S1A_jjP12ihipStream_tbEUljE_EEESV_SW_SX_S14_S18_S1A_T6_T7_T9_mT8_S1C_bDpT10_ENKUlT_T0_E_clISt17integral_constantIbLb1EES1P_EEDaS1K_S1L_EUlS1K_E_NS1_11comp_targetILNS1_3genE4ELNS1_11target_archE910ELNS1_3gpuE8ELNS1_3repE0EEENS1_30default_config_static_selectorELNS0_4arch9wavefront6targetE0EEEvSY_.numbered_sgpr, 0
	.set _ZN7rocprim17ROCPRIM_400000_NS6detail17trampoline_kernelINS0_13select_configILj256ELj13ELNS0_17block_load_methodE3ELS4_3ELS4_3ELNS0_20block_scan_algorithmE0ELj4294967295EEENS1_25partition_config_selectorILNS1_17partition_subalgoE3EjNS0_10empty_typeEbEEZZNS1_14partition_implILS8_3ELb0ES6_jNS0_17counting_iteratorIjlEEPS9_SE_NS0_5tupleIJPjSE_EEENSF_IJSE_SE_EEES9_SG_JZNS1_25segmented_radix_sort_implINS0_14default_configELb0EPKsPsPKlPlN2at6native12_GLOBAL__N_18offset_tEEE10hipError_tPvRmT1_PNSt15iterator_traitsISY_E10value_typeET2_T3_PNSZ_IS14_E10value_typeET4_jRbjT5_S1A_jjP12ihipStream_tbEUljE_EEESV_SW_SX_S14_S18_S1A_T6_T7_T9_mT8_S1C_bDpT10_ENKUlT_T0_E_clISt17integral_constantIbLb1EES1P_EEDaS1K_S1L_EUlS1K_E_NS1_11comp_targetILNS1_3genE4ELNS1_11target_archE910ELNS1_3gpuE8ELNS1_3repE0EEENS1_30default_config_static_selectorELNS0_4arch9wavefront6targetE0EEEvSY_.num_named_barrier, 0
	.set _ZN7rocprim17ROCPRIM_400000_NS6detail17trampoline_kernelINS0_13select_configILj256ELj13ELNS0_17block_load_methodE3ELS4_3ELS4_3ELNS0_20block_scan_algorithmE0ELj4294967295EEENS1_25partition_config_selectorILNS1_17partition_subalgoE3EjNS0_10empty_typeEbEEZZNS1_14partition_implILS8_3ELb0ES6_jNS0_17counting_iteratorIjlEEPS9_SE_NS0_5tupleIJPjSE_EEENSF_IJSE_SE_EEES9_SG_JZNS1_25segmented_radix_sort_implINS0_14default_configELb0EPKsPsPKlPlN2at6native12_GLOBAL__N_18offset_tEEE10hipError_tPvRmT1_PNSt15iterator_traitsISY_E10value_typeET2_T3_PNSZ_IS14_E10value_typeET4_jRbjT5_S1A_jjP12ihipStream_tbEUljE_EEESV_SW_SX_S14_S18_S1A_T6_T7_T9_mT8_S1C_bDpT10_ENKUlT_T0_E_clISt17integral_constantIbLb1EES1P_EEDaS1K_S1L_EUlS1K_E_NS1_11comp_targetILNS1_3genE4ELNS1_11target_archE910ELNS1_3gpuE8ELNS1_3repE0EEENS1_30default_config_static_selectorELNS0_4arch9wavefront6targetE0EEEvSY_.private_seg_size, 0
	.set _ZN7rocprim17ROCPRIM_400000_NS6detail17trampoline_kernelINS0_13select_configILj256ELj13ELNS0_17block_load_methodE3ELS4_3ELS4_3ELNS0_20block_scan_algorithmE0ELj4294967295EEENS1_25partition_config_selectorILNS1_17partition_subalgoE3EjNS0_10empty_typeEbEEZZNS1_14partition_implILS8_3ELb0ES6_jNS0_17counting_iteratorIjlEEPS9_SE_NS0_5tupleIJPjSE_EEENSF_IJSE_SE_EEES9_SG_JZNS1_25segmented_radix_sort_implINS0_14default_configELb0EPKsPsPKlPlN2at6native12_GLOBAL__N_18offset_tEEE10hipError_tPvRmT1_PNSt15iterator_traitsISY_E10value_typeET2_T3_PNSZ_IS14_E10value_typeET4_jRbjT5_S1A_jjP12ihipStream_tbEUljE_EEESV_SW_SX_S14_S18_S1A_T6_T7_T9_mT8_S1C_bDpT10_ENKUlT_T0_E_clISt17integral_constantIbLb1EES1P_EEDaS1K_S1L_EUlS1K_E_NS1_11comp_targetILNS1_3genE4ELNS1_11target_archE910ELNS1_3gpuE8ELNS1_3repE0EEENS1_30default_config_static_selectorELNS0_4arch9wavefront6targetE0EEEvSY_.uses_vcc, 0
	.set _ZN7rocprim17ROCPRIM_400000_NS6detail17trampoline_kernelINS0_13select_configILj256ELj13ELNS0_17block_load_methodE3ELS4_3ELS4_3ELNS0_20block_scan_algorithmE0ELj4294967295EEENS1_25partition_config_selectorILNS1_17partition_subalgoE3EjNS0_10empty_typeEbEEZZNS1_14partition_implILS8_3ELb0ES6_jNS0_17counting_iteratorIjlEEPS9_SE_NS0_5tupleIJPjSE_EEENSF_IJSE_SE_EEES9_SG_JZNS1_25segmented_radix_sort_implINS0_14default_configELb0EPKsPsPKlPlN2at6native12_GLOBAL__N_18offset_tEEE10hipError_tPvRmT1_PNSt15iterator_traitsISY_E10value_typeET2_T3_PNSZ_IS14_E10value_typeET4_jRbjT5_S1A_jjP12ihipStream_tbEUljE_EEESV_SW_SX_S14_S18_S1A_T6_T7_T9_mT8_S1C_bDpT10_ENKUlT_T0_E_clISt17integral_constantIbLb1EES1P_EEDaS1K_S1L_EUlS1K_E_NS1_11comp_targetILNS1_3genE4ELNS1_11target_archE910ELNS1_3gpuE8ELNS1_3repE0EEENS1_30default_config_static_selectorELNS0_4arch9wavefront6targetE0EEEvSY_.uses_flat_scratch, 0
	.set _ZN7rocprim17ROCPRIM_400000_NS6detail17trampoline_kernelINS0_13select_configILj256ELj13ELNS0_17block_load_methodE3ELS4_3ELS4_3ELNS0_20block_scan_algorithmE0ELj4294967295EEENS1_25partition_config_selectorILNS1_17partition_subalgoE3EjNS0_10empty_typeEbEEZZNS1_14partition_implILS8_3ELb0ES6_jNS0_17counting_iteratorIjlEEPS9_SE_NS0_5tupleIJPjSE_EEENSF_IJSE_SE_EEES9_SG_JZNS1_25segmented_radix_sort_implINS0_14default_configELb0EPKsPsPKlPlN2at6native12_GLOBAL__N_18offset_tEEE10hipError_tPvRmT1_PNSt15iterator_traitsISY_E10value_typeET2_T3_PNSZ_IS14_E10value_typeET4_jRbjT5_S1A_jjP12ihipStream_tbEUljE_EEESV_SW_SX_S14_S18_S1A_T6_T7_T9_mT8_S1C_bDpT10_ENKUlT_T0_E_clISt17integral_constantIbLb1EES1P_EEDaS1K_S1L_EUlS1K_E_NS1_11comp_targetILNS1_3genE4ELNS1_11target_archE910ELNS1_3gpuE8ELNS1_3repE0EEENS1_30default_config_static_selectorELNS0_4arch9wavefront6targetE0EEEvSY_.has_dyn_sized_stack, 0
	.set _ZN7rocprim17ROCPRIM_400000_NS6detail17trampoline_kernelINS0_13select_configILj256ELj13ELNS0_17block_load_methodE3ELS4_3ELS4_3ELNS0_20block_scan_algorithmE0ELj4294967295EEENS1_25partition_config_selectorILNS1_17partition_subalgoE3EjNS0_10empty_typeEbEEZZNS1_14partition_implILS8_3ELb0ES6_jNS0_17counting_iteratorIjlEEPS9_SE_NS0_5tupleIJPjSE_EEENSF_IJSE_SE_EEES9_SG_JZNS1_25segmented_radix_sort_implINS0_14default_configELb0EPKsPsPKlPlN2at6native12_GLOBAL__N_18offset_tEEE10hipError_tPvRmT1_PNSt15iterator_traitsISY_E10value_typeET2_T3_PNSZ_IS14_E10value_typeET4_jRbjT5_S1A_jjP12ihipStream_tbEUljE_EEESV_SW_SX_S14_S18_S1A_T6_T7_T9_mT8_S1C_bDpT10_ENKUlT_T0_E_clISt17integral_constantIbLb1EES1P_EEDaS1K_S1L_EUlS1K_E_NS1_11comp_targetILNS1_3genE4ELNS1_11target_archE910ELNS1_3gpuE8ELNS1_3repE0EEENS1_30default_config_static_selectorELNS0_4arch9wavefront6targetE0EEEvSY_.has_recursion, 0
	.set _ZN7rocprim17ROCPRIM_400000_NS6detail17trampoline_kernelINS0_13select_configILj256ELj13ELNS0_17block_load_methodE3ELS4_3ELS4_3ELNS0_20block_scan_algorithmE0ELj4294967295EEENS1_25partition_config_selectorILNS1_17partition_subalgoE3EjNS0_10empty_typeEbEEZZNS1_14partition_implILS8_3ELb0ES6_jNS0_17counting_iteratorIjlEEPS9_SE_NS0_5tupleIJPjSE_EEENSF_IJSE_SE_EEES9_SG_JZNS1_25segmented_radix_sort_implINS0_14default_configELb0EPKsPsPKlPlN2at6native12_GLOBAL__N_18offset_tEEE10hipError_tPvRmT1_PNSt15iterator_traitsISY_E10value_typeET2_T3_PNSZ_IS14_E10value_typeET4_jRbjT5_S1A_jjP12ihipStream_tbEUljE_EEESV_SW_SX_S14_S18_S1A_T6_T7_T9_mT8_S1C_bDpT10_ENKUlT_T0_E_clISt17integral_constantIbLb1EES1P_EEDaS1K_S1L_EUlS1K_E_NS1_11comp_targetILNS1_3genE4ELNS1_11target_archE910ELNS1_3gpuE8ELNS1_3repE0EEENS1_30default_config_static_selectorELNS0_4arch9wavefront6targetE0EEEvSY_.has_indirect_call, 0
	.section	.AMDGPU.csdata,"",@progbits
; Kernel info:
; codeLenInByte = 0
; TotalNumSgprs: 0
; NumVgprs: 0
; ScratchSize: 0
; MemoryBound: 0
; FloatMode: 240
; IeeeMode: 1
; LDSByteSize: 0 bytes/workgroup (compile time only)
; SGPRBlocks: 0
; VGPRBlocks: 0
; NumSGPRsForWavesPerEU: 1
; NumVGPRsForWavesPerEU: 1
; Occupancy: 16
; WaveLimiterHint : 0
; COMPUTE_PGM_RSRC2:SCRATCH_EN: 0
; COMPUTE_PGM_RSRC2:USER_SGPR: 2
; COMPUTE_PGM_RSRC2:TRAP_HANDLER: 0
; COMPUTE_PGM_RSRC2:TGID_X_EN: 1
; COMPUTE_PGM_RSRC2:TGID_Y_EN: 0
; COMPUTE_PGM_RSRC2:TGID_Z_EN: 0
; COMPUTE_PGM_RSRC2:TIDIG_COMP_CNT: 0
	.section	.text._ZN7rocprim17ROCPRIM_400000_NS6detail17trampoline_kernelINS0_13select_configILj256ELj13ELNS0_17block_load_methodE3ELS4_3ELS4_3ELNS0_20block_scan_algorithmE0ELj4294967295EEENS1_25partition_config_selectorILNS1_17partition_subalgoE3EjNS0_10empty_typeEbEEZZNS1_14partition_implILS8_3ELb0ES6_jNS0_17counting_iteratorIjlEEPS9_SE_NS0_5tupleIJPjSE_EEENSF_IJSE_SE_EEES9_SG_JZNS1_25segmented_radix_sort_implINS0_14default_configELb0EPKsPsPKlPlN2at6native12_GLOBAL__N_18offset_tEEE10hipError_tPvRmT1_PNSt15iterator_traitsISY_E10value_typeET2_T3_PNSZ_IS14_E10value_typeET4_jRbjT5_S1A_jjP12ihipStream_tbEUljE_EEESV_SW_SX_S14_S18_S1A_T6_T7_T9_mT8_S1C_bDpT10_ENKUlT_T0_E_clISt17integral_constantIbLb1EES1P_EEDaS1K_S1L_EUlS1K_E_NS1_11comp_targetILNS1_3genE3ELNS1_11target_archE908ELNS1_3gpuE7ELNS1_3repE0EEENS1_30default_config_static_selectorELNS0_4arch9wavefront6targetE0EEEvSY_,"axG",@progbits,_ZN7rocprim17ROCPRIM_400000_NS6detail17trampoline_kernelINS0_13select_configILj256ELj13ELNS0_17block_load_methodE3ELS4_3ELS4_3ELNS0_20block_scan_algorithmE0ELj4294967295EEENS1_25partition_config_selectorILNS1_17partition_subalgoE3EjNS0_10empty_typeEbEEZZNS1_14partition_implILS8_3ELb0ES6_jNS0_17counting_iteratorIjlEEPS9_SE_NS0_5tupleIJPjSE_EEENSF_IJSE_SE_EEES9_SG_JZNS1_25segmented_radix_sort_implINS0_14default_configELb0EPKsPsPKlPlN2at6native12_GLOBAL__N_18offset_tEEE10hipError_tPvRmT1_PNSt15iterator_traitsISY_E10value_typeET2_T3_PNSZ_IS14_E10value_typeET4_jRbjT5_S1A_jjP12ihipStream_tbEUljE_EEESV_SW_SX_S14_S18_S1A_T6_T7_T9_mT8_S1C_bDpT10_ENKUlT_T0_E_clISt17integral_constantIbLb1EES1P_EEDaS1K_S1L_EUlS1K_E_NS1_11comp_targetILNS1_3genE3ELNS1_11target_archE908ELNS1_3gpuE7ELNS1_3repE0EEENS1_30default_config_static_selectorELNS0_4arch9wavefront6targetE0EEEvSY_,comdat
	.globl	_ZN7rocprim17ROCPRIM_400000_NS6detail17trampoline_kernelINS0_13select_configILj256ELj13ELNS0_17block_load_methodE3ELS4_3ELS4_3ELNS0_20block_scan_algorithmE0ELj4294967295EEENS1_25partition_config_selectorILNS1_17partition_subalgoE3EjNS0_10empty_typeEbEEZZNS1_14partition_implILS8_3ELb0ES6_jNS0_17counting_iteratorIjlEEPS9_SE_NS0_5tupleIJPjSE_EEENSF_IJSE_SE_EEES9_SG_JZNS1_25segmented_radix_sort_implINS0_14default_configELb0EPKsPsPKlPlN2at6native12_GLOBAL__N_18offset_tEEE10hipError_tPvRmT1_PNSt15iterator_traitsISY_E10value_typeET2_T3_PNSZ_IS14_E10value_typeET4_jRbjT5_S1A_jjP12ihipStream_tbEUljE_EEESV_SW_SX_S14_S18_S1A_T6_T7_T9_mT8_S1C_bDpT10_ENKUlT_T0_E_clISt17integral_constantIbLb1EES1P_EEDaS1K_S1L_EUlS1K_E_NS1_11comp_targetILNS1_3genE3ELNS1_11target_archE908ELNS1_3gpuE7ELNS1_3repE0EEENS1_30default_config_static_selectorELNS0_4arch9wavefront6targetE0EEEvSY_ ; -- Begin function _ZN7rocprim17ROCPRIM_400000_NS6detail17trampoline_kernelINS0_13select_configILj256ELj13ELNS0_17block_load_methodE3ELS4_3ELS4_3ELNS0_20block_scan_algorithmE0ELj4294967295EEENS1_25partition_config_selectorILNS1_17partition_subalgoE3EjNS0_10empty_typeEbEEZZNS1_14partition_implILS8_3ELb0ES6_jNS0_17counting_iteratorIjlEEPS9_SE_NS0_5tupleIJPjSE_EEENSF_IJSE_SE_EEES9_SG_JZNS1_25segmented_radix_sort_implINS0_14default_configELb0EPKsPsPKlPlN2at6native12_GLOBAL__N_18offset_tEEE10hipError_tPvRmT1_PNSt15iterator_traitsISY_E10value_typeET2_T3_PNSZ_IS14_E10value_typeET4_jRbjT5_S1A_jjP12ihipStream_tbEUljE_EEESV_SW_SX_S14_S18_S1A_T6_T7_T9_mT8_S1C_bDpT10_ENKUlT_T0_E_clISt17integral_constantIbLb1EES1P_EEDaS1K_S1L_EUlS1K_E_NS1_11comp_targetILNS1_3genE3ELNS1_11target_archE908ELNS1_3gpuE7ELNS1_3repE0EEENS1_30default_config_static_selectorELNS0_4arch9wavefront6targetE0EEEvSY_
	.p2align	8
	.type	_ZN7rocprim17ROCPRIM_400000_NS6detail17trampoline_kernelINS0_13select_configILj256ELj13ELNS0_17block_load_methodE3ELS4_3ELS4_3ELNS0_20block_scan_algorithmE0ELj4294967295EEENS1_25partition_config_selectorILNS1_17partition_subalgoE3EjNS0_10empty_typeEbEEZZNS1_14partition_implILS8_3ELb0ES6_jNS0_17counting_iteratorIjlEEPS9_SE_NS0_5tupleIJPjSE_EEENSF_IJSE_SE_EEES9_SG_JZNS1_25segmented_radix_sort_implINS0_14default_configELb0EPKsPsPKlPlN2at6native12_GLOBAL__N_18offset_tEEE10hipError_tPvRmT1_PNSt15iterator_traitsISY_E10value_typeET2_T3_PNSZ_IS14_E10value_typeET4_jRbjT5_S1A_jjP12ihipStream_tbEUljE_EEESV_SW_SX_S14_S18_S1A_T6_T7_T9_mT8_S1C_bDpT10_ENKUlT_T0_E_clISt17integral_constantIbLb1EES1P_EEDaS1K_S1L_EUlS1K_E_NS1_11comp_targetILNS1_3genE3ELNS1_11target_archE908ELNS1_3gpuE7ELNS1_3repE0EEENS1_30default_config_static_selectorELNS0_4arch9wavefront6targetE0EEEvSY_,@function
_ZN7rocprim17ROCPRIM_400000_NS6detail17trampoline_kernelINS0_13select_configILj256ELj13ELNS0_17block_load_methodE3ELS4_3ELS4_3ELNS0_20block_scan_algorithmE0ELj4294967295EEENS1_25partition_config_selectorILNS1_17partition_subalgoE3EjNS0_10empty_typeEbEEZZNS1_14partition_implILS8_3ELb0ES6_jNS0_17counting_iteratorIjlEEPS9_SE_NS0_5tupleIJPjSE_EEENSF_IJSE_SE_EEES9_SG_JZNS1_25segmented_radix_sort_implINS0_14default_configELb0EPKsPsPKlPlN2at6native12_GLOBAL__N_18offset_tEEE10hipError_tPvRmT1_PNSt15iterator_traitsISY_E10value_typeET2_T3_PNSZ_IS14_E10value_typeET4_jRbjT5_S1A_jjP12ihipStream_tbEUljE_EEESV_SW_SX_S14_S18_S1A_T6_T7_T9_mT8_S1C_bDpT10_ENKUlT_T0_E_clISt17integral_constantIbLb1EES1P_EEDaS1K_S1L_EUlS1K_E_NS1_11comp_targetILNS1_3genE3ELNS1_11target_archE908ELNS1_3gpuE7ELNS1_3repE0EEENS1_30default_config_static_selectorELNS0_4arch9wavefront6targetE0EEEvSY_: ; @_ZN7rocprim17ROCPRIM_400000_NS6detail17trampoline_kernelINS0_13select_configILj256ELj13ELNS0_17block_load_methodE3ELS4_3ELS4_3ELNS0_20block_scan_algorithmE0ELj4294967295EEENS1_25partition_config_selectorILNS1_17partition_subalgoE3EjNS0_10empty_typeEbEEZZNS1_14partition_implILS8_3ELb0ES6_jNS0_17counting_iteratorIjlEEPS9_SE_NS0_5tupleIJPjSE_EEENSF_IJSE_SE_EEES9_SG_JZNS1_25segmented_radix_sort_implINS0_14default_configELb0EPKsPsPKlPlN2at6native12_GLOBAL__N_18offset_tEEE10hipError_tPvRmT1_PNSt15iterator_traitsISY_E10value_typeET2_T3_PNSZ_IS14_E10value_typeET4_jRbjT5_S1A_jjP12ihipStream_tbEUljE_EEESV_SW_SX_S14_S18_S1A_T6_T7_T9_mT8_S1C_bDpT10_ENKUlT_T0_E_clISt17integral_constantIbLb1EES1P_EEDaS1K_S1L_EUlS1K_E_NS1_11comp_targetILNS1_3genE3ELNS1_11target_archE908ELNS1_3gpuE7ELNS1_3repE0EEENS1_30default_config_static_selectorELNS0_4arch9wavefront6targetE0EEEvSY_
; %bb.0:
	.section	.rodata,"a",@progbits
	.p2align	6, 0x0
	.amdhsa_kernel _ZN7rocprim17ROCPRIM_400000_NS6detail17trampoline_kernelINS0_13select_configILj256ELj13ELNS0_17block_load_methodE3ELS4_3ELS4_3ELNS0_20block_scan_algorithmE0ELj4294967295EEENS1_25partition_config_selectorILNS1_17partition_subalgoE3EjNS0_10empty_typeEbEEZZNS1_14partition_implILS8_3ELb0ES6_jNS0_17counting_iteratorIjlEEPS9_SE_NS0_5tupleIJPjSE_EEENSF_IJSE_SE_EEES9_SG_JZNS1_25segmented_radix_sort_implINS0_14default_configELb0EPKsPsPKlPlN2at6native12_GLOBAL__N_18offset_tEEE10hipError_tPvRmT1_PNSt15iterator_traitsISY_E10value_typeET2_T3_PNSZ_IS14_E10value_typeET4_jRbjT5_S1A_jjP12ihipStream_tbEUljE_EEESV_SW_SX_S14_S18_S1A_T6_T7_T9_mT8_S1C_bDpT10_ENKUlT_T0_E_clISt17integral_constantIbLb1EES1P_EEDaS1K_S1L_EUlS1K_E_NS1_11comp_targetILNS1_3genE3ELNS1_11target_archE908ELNS1_3gpuE7ELNS1_3repE0EEENS1_30default_config_static_selectorELNS0_4arch9wavefront6targetE0EEEvSY_
		.amdhsa_group_segment_fixed_size 0
		.amdhsa_private_segment_fixed_size 0
		.amdhsa_kernarg_size 152
		.amdhsa_user_sgpr_count 2
		.amdhsa_user_sgpr_dispatch_ptr 0
		.amdhsa_user_sgpr_queue_ptr 0
		.amdhsa_user_sgpr_kernarg_segment_ptr 1
		.amdhsa_user_sgpr_dispatch_id 0
		.amdhsa_user_sgpr_private_segment_size 0
		.amdhsa_wavefront_size32 1
		.amdhsa_uses_dynamic_stack 0
		.amdhsa_enable_private_segment 0
		.amdhsa_system_sgpr_workgroup_id_x 1
		.amdhsa_system_sgpr_workgroup_id_y 0
		.amdhsa_system_sgpr_workgroup_id_z 0
		.amdhsa_system_sgpr_workgroup_info 0
		.amdhsa_system_vgpr_workitem_id 0
		.amdhsa_next_free_vgpr 1
		.amdhsa_next_free_sgpr 1
		.amdhsa_reserve_vcc 0
		.amdhsa_float_round_mode_32 0
		.amdhsa_float_round_mode_16_64 0
		.amdhsa_float_denorm_mode_32 3
		.amdhsa_float_denorm_mode_16_64 3
		.amdhsa_fp16_overflow 0
		.amdhsa_workgroup_processor_mode 1
		.amdhsa_memory_ordered 1
		.amdhsa_forward_progress 1
		.amdhsa_inst_pref_size 0
		.amdhsa_round_robin_scheduling 0
		.amdhsa_exception_fp_ieee_invalid_op 0
		.amdhsa_exception_fp_denorm_src 0
		.amdhsa_exception_fp_ieee_div_zero 0
		.amdhsa_exception_fp_ieee_overflow 0
		.amdhsa_exception_fp_ieee_underflow 0
		.amdhsa_exception_fp_ieee_inexact 0
		.amdhsa_exception_int_div_zero 0
	.end_amdhsa_kernel
	.section	.text._ZN7rocprim17ROCPRIM_400000_NS6detail17trampoline_kernelINS0_13select_configILj256ELj13ELNS0_17block_load_methodE3ELS4_3ELS4_3ELNS0_20block_scan_algorithmE0ELj4294967295EEENS1_25partition_config_selectorILNS1_17partition_subalgoE3EjNS0_10empty_typeEbEEZZNS1_14partition_implILS8_3ELb0ES6_jNS0_17counting_iteratorIjlEEPS9_SE_NS0_5tupleIJPjSE_EEENSF_IJSE_SE_EEES9_SG_JZNS1_25segmented_radix_sort_implINS0_14default_configELb0EPKsPsPKlPlN2at6native12_GLOBAL__N_18offset_tEEE10hipError_tPvRmT1_PNSt15iterator_traitsISY_E10value_typeET2_T3_PNSZ_IS14_E10value_typeET4_jRbjT5_S1A_jjP12ihipStream_tbEUljE_EEESV_SW_SX_S14_S18_S1A_T6_T7_T9_mT8_S1C_bDpT10_ENKUlT_T0_E_clISt17integral_constantIbLb1EES1P_EEDaS1K_S1L_EUlS1K_E_NS1_11comp_targetILNS1_3genE3ELNS1_11target_archE908ELNS1_3gpuE7ELNS1_3repE0EEENS1_30default_config_static_selectorELNS0_4arch9wavefront6targetE0EEEvSY_,"axG",@progbits,_ZN7rocprim17ROCPRIM_400000_NS6detail17trampoline_kernelINS0_13select_configILj256ELj13ELNS0_17block_load_methodE3ELS4_3ELS4_3ELNS0_20block_scan_algorithmE0ELj4294967295EEENS1_25partition_config_selectorILNS1_17partition_subalgoE3EjNS0_10empty_typeEbEEZZNS1_14partition_implILS8_3ELb0ES6_jNS0_17counting_iteratorIjlEEPS9_SE_NS0_5tupleIJPjSE_EEENSF_IJSE_SE_EEES9_SG_JZNS1_25segmented_radix_sort_implINS0_14default_configELb0EPKsPsPKlPlN2at6native12_GLOBAL__N_18offset_tEEE10hipError_tPvRmT1_PNSt15iterator_traitsISY_E10value_typeET2_T3_PNSZ_IS14_E10value_typeET4_jRbjT5_S1A_jjP12ihipStream_tbEUljE_EEESV_SW_SX_S14_S18_S1A_T6_T7_T9_mT8_S1C_bDpT10_ENKUlT_T0_E_clISt17integral_constantIbLb1EES1P_EEDaS1K_S1L_EUlS1K_E_NS1_11comp_targetILNS1_3genE3ELNS1_11target_archE908ELNS1_3gpuE7ELNS1_3repE0EEENS1_30default_config_static_selectorELNS0_4arch9wavefront6targetE0EEEvSY_,comdat
.Lfunc_end993:
	.size	_ZN7rocprim17ROCPRIM_400000_NS6detail17trampoline_kernelINS0_13select_configILj256ELj13ELNS0_17block_load_methodE3ELS4_3ELS4_3ELNS0_20block_scan_algorithmE0ELj4294967295EEENS1_25partition_config_selectorILNS1_17partition_subalgoE3EjNS0_10empty_typeEbEEZZNS1_14partition_implILS8_3ELb0ES6_jNS0_17counting_iteratorIjlEEPS9_SE_NS0_5tupleIJPjSE_EEENSF_IJSE_SE_EEES9_SG_JZNS1_25segmented_radix_sort_implINS0_14default_configELb0EPKsPsPKlPlN2at6native12_GLOBAL__N_18offset_tEEE10hipError_tPvRmT1_PNSt15iterator_traitsISY_E10value_typeET2_T3_PNSZ_IS14_E10value_typeET4_jRbjT5_S1A_jjP12ihipStream_tbEUljE_EEESV_SW_SX_S14_S18_S1A_T6_T7_T9_mT8_S1C_bDpT10_ENKUlT_T0_E_clISt17integral_constantIbLb1EES1P_EEDaS1K_S1L_EUlS1K_E_NS1_11comp_targetILNS1_3genE3ELNS1_11target_archE908ELNS1_3gpuE7ELNS1_3repE0EEENS1_30default_config_static_selectorELNS0_4arch9wavefront6targetE0EEEvSY_, .Lfunc_end993-_ZN7rocprim17ROCPRIM_400000_NS6detail17trampoline_kernelINS0_13select_configILj256ELj13ELNS0_17block_load_methodE3ELS4_3ELS4_3ELNS0_20block_scan_algorithmE0ELj4294967295EEENS1_25partition_config_selectorILNS1_17partition_subalgoE3EjNS0_10empty_typeEbEEZZNS1_14partition_implILS8_3ELb0ES6_jNS0_17counting_iteratorIjlEEPS9_SE_NS0_5tupleIJPjSE_EEENSF_IJSE_SE_EEES9_SG_JZNS1_25segmented_radix_sort_implINS0_14default_configELb0EPKsPsPKlPlN2at6native12_GLOBAL__N_18offset_tEEE10hipError_tPvRmT1_PNSt15iterator_traitsISY_E10value_typeET2_T3_PNSZ_IS14_E10value_typeET4_jRbjT5_S1A_jjP12ihipStream_tbEUljE_EEESV_SW_SX_S14_S18_S1A_T6_T7_T9_mT8_S1C_bDpT10_ENKUlT_T0_E_clISt17integral_constantIbLb1EES1P_EEDaS1K_S1L_EUlS1K_E_NS1_11comp_targetILNS1_3genE3ELNS1_11target_archE908ELNS1_3gpuE7ELNS1_3repE0EEENS1_30default_config_static_selectorELNS0_4arch9wavefront6targetE0EEEvSY_
                                        ; -- End function
	.set _ZN7rocprim17ROCPRIM_400000_NS6detail17trampoline_kernelINS0_13select_configILj256ELj13ELNS0_17block_load_methodE3ELS4_3ELS4_3ELNS0_20block_scan_algorithmE0ELj4294967295EEENS1_25partition_config_selectorILNS1_17partition_subalgoE3EjNS0_10empty_typeEbEEZZNS1_14partition_implILS8_3ELb0ES6_jNS0_17counting_iteratorIjlEEPS9_SE_NS0_5tupleIJPjSE_EEENSF_IJSE_SE_EEES9_SG_JZNS1_25segmented_radix_sort_implINS0_14default_configELb0EPKsPsPKlPlN2at6native12_GLOBAL__N_18offset_tEEE10hipError_tPvRmT1_PNSt15iterator_traitsISY_E10value_typeET2_T3_PNSZ_IS14_E10value_typeET4_jRbjT5_S1A_jjP12ihipStream_tbEUljE_EEESV_SW_SX_S14_S18_S1A_T6_T7_T9_mT8_S1C_bDpT10_ENKUlT_T0_E_clISt17integral_constantIbLb1EES1P_EEDaS1K_S1L_EUlS1K_E_NS1_11comp_targetILNS1_3genE3ELNS1_11target_archE908ELNS1_3gpuE7ELNS1_3repE0EEENS1_30default_config_static_selectorELNS0_4arch9wavefront6targetE0EEEvSY_.num_vgpr, 0
	.set _ZN7rocprim17ROCPRIM_400000_NS6detail17trampoline_kernelINS0_13select_configILj256ELj13ELNS0_17block_load_methodE3ELS4_3ELS4_3ELNS0_20block_scan_algorithmE0ELj4294967295EEENS1_25partition_config_selectorILNS1_17partition_subalgoE3EjNS0_10empty_typeEbEEZZNS1_14partition_implILS8_3ELb0ES6_jNS0_17counting_iteratorIjlEEPS9_SE_NS0_5tupleIJPjSE_EEENSF_IJSE_SE_EEES9_SG_JZNS1_25segmented_radix_sort_implINS0_14default_configELb0EPKsPsPKlPlN2at6native12_GLOBAL__N_18offset_tEEE10hipError_tPvRmT1_PNSt15iterator_traitsISY_E10value_typeET2_T3_PNSZ_IS14_E10value_typeET4_jRbjT5_S1A_jjP12ihipStream_tbEUljE_EEESV_SW_SX_S14_S18_S1A_T6_T7_T9_mT8_S1C_bDpT10_ENKUlT_T0_E_clISt17integral_constantIbLb1EES1P_EEDaS1K_S1L_EUlS1K_E_NS1_11comp_targetILNS1_3genE3ELNS1_11target_archE908ELNS1_3gpuE7ELNS1_3repE0EEENS1_30default_config_static_selectorELNS0_4arch9wavefront6targetE0EEEvSY_.num_agpr, 0
	.set _ZN7rocprim17ROCPRIM_400000_NS6detail17trampoline_kernelINS0_13select_configILj256ELj13ELNS0_17block_load_methodE3ELS4_3ELS4_3ELNS0_20block_scan_algorithmE0ELj4294967295EEENS1_25partition_config_selectorILNS1_17partition_subalgoE3EjNS0_10empty_typeEbEEZZNS1_14partition_implILS8_3ELb0ES6_jNS0_17counting_iteratorIjlEEPS9_SE_NS0_5tupleIJPjSE_EEENSF_IJSE_SE_EEES9_SG_JZNS1_25segmented_radix_sort_implINS0_14default_configELb0EPKsPsPKlPlN2at6native12_GLOBAL__N_18offset_tEEE10hipError_tPvRmT1_PNSt15iterator_traitsISY_E10value_typeET2_T3_PNSZ_IS14_E10value_typeET4_jRbjT5_S1A_jjP12ihipStream_tbEUljE_EEESV_SW_SX_S14_S18_S1A_T6_T7_T9_mT8_S1C_bDpT10_ENKUlT_T0_E_clISt17integral_constantIbLb1EES1P_EEDaS1K_S1L_EUlS1K_E_NS1_11comp_targetILNS1_3genE3ELNS1_11target_archE908ELNS1_3gpuE7ELNS1_3repE0EEENS1_30default_config_static_selectorELNS0_4arch9wavefront6targetE0EEEvSY_.numbered_sgpr, 0
	.set _ZN7rocprim17ROCPRIM_400000_NS6detail17trampoline_kernelINS0_13select_configILj256ELj13ELNS0_17block_load_methodE3ELS4_3ELS4_3ELNS0_20block_scan_algorithmE0ELj4294967295EEENS1_25partition_config_selectorILNS1_17partition_subalgoE3EjNS0_10empty_typeEbEEZZNS1_14partition_implILS8_3ELb0ES6_jNS0_17counting_iteratorIjlEEPS9_SE_NS0_5tupleIJPjSE_EEENSF_IJSE_SE_EEES9_SG_JZNS1_25segmented_radix_sort_implINS0_14default_configELb0EPKsPsPKlPlN2at6native12_GLOBAL__N_18offset_tEEE10hipError_tPvRmT1_PNSt15iterator_traitsISY_E10value_typeET2_T3_PNSZ_IS14_E10value_typeET4_jRbjT5_S1A_jjP12ihipStream_tbEUljE_EEESV_SW_SX_S14_S18_S1A_T6_T7_T9_mT8_S1C_bDpT10_ENKUlT_T0_E_clISt17integral_constantIbLb1EES1P_EEDaS1K_S1L_EUlS1K_E_NS1_11comp_targetILNS1_3genE3ELNS1_11target_archE908ELNS1_3gpuE7ELNS1_3repE0EEENS1_30default_config_static_selectorELNS0_4arch9wavefront6targetE0EEEvSY_.num_named_barrier, 0
	.set _ZN7rocprim17ROCPRIM_400000_NS6detail17trampoline_kernelINS0_13select_configILj256ELj13ELNS0_17block_load_methodE3ELS4_3ELS4_3ELNS0_20block_scan_algorithmE0ELj4294967295EEENS1_25partition_config_selectorILNS1_17partition_subalgoE3EjNS0_10empty_typeEbEEZZNS1_14partition_implILS8_3ELb0ES6_jNS0_17counting_iteratorIjlEEPS9_SE_NS0_5tupleIJPjSE_EEENSF_IJSE_SE_EEES9_SG_JZNS1_25segmented_radix_sort_implINS0_14default_configELb0EPKsPsPKlPlN2at6native12_GLOBAL__N_18offset_tEEE10hipError_tPvRmT1_PNSt15iterator_traitsISY_E10value_typeET2_T3_PNSZ_IS14_E10value_typeET4_jRbjT5_S1A_jjP12ihipStream_tbEUljE_EEESV_SW_SX_S14_S18_S1A_T6_T7_T9_mT8_S1C_bDpT10_ENKUlT_T0_E_clISt17integral_constantIbLb1EES1P_EEDaS1K_S1L_EUlS1K_E_NS1_11comp_targetILNS1_3genE3ELNS1_11target_archE908ELNS1_3gpuE7ELNS1_3repE0EEENS1_30default_config_static_selectorELNS0_4arch9wavefront6targetE0EEEvSY_.private_seg_size, 0
	.set _ZN7rocprim17ROCPRIM_400000_NS6detail17trampoline_kernelINS0_13select_configILj256ELj13ELNS0_17block_load_methodE3ELS4_3ELS4_3ELNS0_20block_scan_algorithmE0ELj4294967295EEENS1_25partition_config_selectorILNS1_17partition_subalgoE3EjNS0_10empty_typeEbEEZZNS1_14partition_implILS8_3ELb0ES6_jNS0_17counting_iteratorIjlEEPS9_SE_NS0_5tupleIJPjSE_EEENSF_IJSE_SE_EEES9_SG_JZNS1_25segmented_radix_sort_implINS0_14default_configELb0EPKsPsPKlPlN2at6native12_GLOBAL__N_18offset_tEEE10hipError_tPvRmT1_PNSt15iterator_traitsISY_E10value_typeET2_T3_PNSZ_IS14_E10value_typeET4_jRbjT5_S1A_jjP12ihipStream_tbEUljE_EEESV_SW_SX_S14_S18_S1A_T6_T7_T9_mT8_S1C_bDpT10_ENKUlT_T0_E_clISt17integral_constantIbLb1EES1P_EEDaS1K_S1L_EUlS1K_E_NS1_11comp_targetILNS1_3genE3ELNS1_11target_archE908ELNS1_3gpuE7ELNS1_3repE0EEENS1_30default_config_static_selectorELNS0_4arch9wavefront6targetE0EEEvSY_.uses_vcc, 0
	.set _ZN7rocprim17ROCPRIM_400000_NS6detail17trampoline_kernelINS0_13select_configILj256ELj13ELNS0_17block_load_methodE3ELS4_3ELS4_3ELNS0_20block_scan_algorithmE0ELj4294967295EEENS1_25partition_config_selectorILNS1_17partition_subalgoE3EjNS0_10empty_typeEbEEZZNS1_14partition_implILS8_3ELb0ES6_jNS0_17counting_iteratorIjlEEPS9_SE_NS0_5tupleIJPjSE_EEENSF_IJSE_SE_EEES9_SG_JZNS1_25segmented_radix_sort_implINS0_14default_configELb0EPKsPsPKlPlN2at6native12_GLOBAL__N_18offset_tEEE10hipError_tPvRmT1_PNSt15iterator_traitsISY_E10value_typeET2_T3_PNSZ_IS14_E10value_typeET4_jRbjT5_S1A_jjP12ihipStream_tbEUljE_EEESV_SW_SX_S14_S18_S1A_T6_T7_T9_mT8_S1C_bDpT10_ENKUlT_T0_E_clISt17integral_constantIbLb1EES1P_EEDaS1K_S1L_EUlS1K_E_NS1_11comp_targetILNS1_3genE3ELNS1_11target_archE908ELNS1_3gpuE7ELNS1_3repE0EEENS1_30default_config_static_selectorELNS0_4arch9wavefront6targetE0EEEvSY_.uses_flat_scratch, 0
	.set _ZN7rocprim17ROCPRIM_400000_NS6detail17trampoline_kernelINS0_13select_configILj256ELj13ELNS0_17block_load_methodE3ELS4_3ELS4_3ELNS0_20block_scan_algorithmE0ELj4294967295EEENS1_25partition_config_selectorILNS1_17partition_subalgoE3EjNS0_10empty_typeEbEEZZNS1_14partition_implILS8_3ELb0ES6_jNS0_17counting_iteratorIjlEEPS9_SE_NS0_5tupleIJPjSE_EEENSF_IJSE_SE_EEES9_SG_JZNS1_25segmented_radix_sort_implINS0_14default_configELb0EPKsPsPKlPlN2at6native12_GLOBAL__N_18offset_tEEE10hipError_tPvRmT1_PNSt15iterator_traitsISY_E10value_typeET2_T3_PNSZ_IS14_E10value_typeET4_jRbjT5_S1A_jjP12ihipStream_tbEUljE_EEESV_SW_SX_S14_S18_S1A_T6_T7_T9_mT8_S1C_bDpT10_ENKUlT_T0_E_clISt17integral_constantIbLb1EES1P_EEDaS1K_S1L_EUlS1K_E_NS1_11comp_targetILNS1_3genE3ELNS1_11target_archE908ELNS1_3gpuE7ELNS1_3repE0EEENS1_30default_config_static_selectorELNS0_4arch9wavefront6targetE0EEEvSY_.has_dyn_sized_stack, 0
	.set _ZN7rocprim17ROCPRIM_400000_NS6detail17trampoline_kernelINS0_13select_configILj256ELj13ELNS0_17block_load_methodE3ELS4_3ELS4_3ELNS0_20block_scan_algorithmE0ELj4294967295EEENS1_25partition_config_selectorILNS1_17partition_subalgoE3EjNS0_10empty_typeEbEEZZNS1_14partition_implILS8_3ELb0ES6_jNS0_17counting_iteratorIjlEEPS9_SE_NS0_5tupleIJPjSE_EEENSF_IJSE_SE_EEES9_SG_JZNS1_25segmented_radix_sort_implINS0_14default_configELb0EPKsPsPKlPlN2at6native12_GLOBAL__N_18offset_tEEE10hipError_tPvRmT1_PNSt15iterator_traitsISY_E10value_typeET2_T3_PNSZ_IS14_E10value_typeET4_jRbjT5_S1A_jjP12ihipStream_tbEUljE_EEESV_SW_SX_S14_S18_S1A_T6_T7_T9_mT8_S1C_bDpT10_ENKUlT_T0_E_clISt17integral_constantIbLb1EES1P_EEDaS1K_S1L_EUlS1K_E_NS1_11comp_targetILNS1_3genE3ELNS1_11target_archE908ELNS1_3gpuE7ELNS1_3repE0EEENS1_30default_config_static_selectorELNS0_4arch9wavefront6targetE0EEEvSY_.has_recursion, 0
	.set _ZN7rocprim17ROCPRIM_400000_NS6detail17trampoline_kernelINS0_13select_configILj256ELj13ELNS0_17block_load_methodE3ELS4_3ELS4_3ELNS0_20block_scan_algorithmE0ELj4294967295EEENS1_25partition_config_selectorILNS1_17partition_subalgoE3EjNS0_10empty_typeEbEEZZNS1_14partition_implILS8_3ELb0ES6_jNS0_17counting_iteratorIjlEEPS9_SE_NS0_5tupleIJPjSE_EEENSF_IJSE_SE_EEES9_SG_JZNS1_25segmented_radix_sort_implINS0_14default_configELb0EPKsPsPKlPlN2at6native12_GLOBAL__N_18offset_tEEE10hipError_tPvRmT1_PNSt15iterator_traitsISY_E10value_typeET2_T3_PNSZ_IS14_E10value_typeET4_jRbjT5_S1A_jjP12ihipStream_tbEUljE_EEESV_SW_SX_S14_S18_S1A_T6_T7_T9_mT8_S1C_bDpT10_ENKUlT_T0_E_clISt17integral_constantIbLb1EES1P_EEDaS1K_S1L_EUlS1K_E_NS1_11comp_targetILNS1_3genE3ELNS1_11target_archE908ELNS1_3gpuE7ELNS1_3repE0EEENS1_30default_config_static_selectorELNS0_4arch9wavefront6targetE0EEEvSY_.has_indirect_call, 0
	.section	.AMDGPU.csdata,"",@progbits
; Kernel info:
; codeLenInByte = 0
; TotalNumSgprs: 0
; NumVgprs: 0
; ScratchSize: 0
; MemoryBound: 0
; FloatMode: 240
; IeeeMode: 1
; LDSByteSize: 0 bytes/workgroup (compile time only)
; SGPRBlocks: 0
; VGPRBlocks: 0
; NumSGPRsForWavesPerEU: 1
; NumVGPRsForWavesPerEU: 1
; Occupancy: 16
; WaveLimiterHint : 0
; COMPUTE_PGM_RSRC2:SCRATCH_EN: 0
; COMPUTE_PGM_RSRC2:USER_SGPR: 2
; COMPUTE_PGM_RSRC2:TRAP_HANDLER: 0
; COMPUTE_PGM_RSRC2:TGID_X_EN: 1
; COMPUTE_PGM_RSRC2:TGID_Y_EN: 0
; COMPUTE_PGM_RSRC2:TGID_Z_EN: 0
; COMPUTE_PGM_RSRC2:TIDIG_COMP_CNT: 0
	.section	.text._ZN7rocprim17ROCPRIM_400000_NS6detail17trampoline_kernelINS0_13select_configILj256ELj13ELNS0_17block_load_methodE3ELS4_3ELS4_3ELNS0_20block_scan_algorithmE0ELj4294967295EEENS1_25partition_config_selectorILNS1_17partition_subalgoE3EjNS0_10empty_typeEbEEZZNS1_14partition_implILS8_3ELb0ES6_jNS0_17counting_iteratorIjlEEPS9_SE_NS0_5tupleIJPjSE_EEENSF_IJSE_SE_EEES9_SG_JZNS1_25segmented_radix_sort_implINS0_14default_configELb0EPKsPsPKlPlN2at6native12_GLOBAL__N_18offset_tEEE10hipError_tPvRmT1_PNSt15iterator_traitsISY_E10value_typeET2_T3_PNSZ_IS14_E10value_typeET4_jRbjT5_S1A_jjP12ihipStream_tbEUljE_EEESV_SW_SX_S14_S18_S1A_T6_T7_T9_mT8_S1C_bDpT10_ENKUlT_T0_E_clISt17integral_constantIbLb1EES1P_EEDaS1K_S1L_EUlS1K_E_NS1_11comp_targetILNS1_3genE2ELNS1_11target_archE906ELNS1_3gpuE6ELNS1_3repE0EEENS1_30default_config_static_selectorELNS0_4arch9wavefront6targetE0EEEvSY_,"axG",@progbits,_ZN7rocprim17ROCPRIM_400000_NS6detail17trampoline_kernelINS0_13select_configILj256ELj13ELNS0_17block_load_methodE3ELS4_3ELS4_3ELNS0_20block_scan_algorithmE0ELj4294967295EEENS1_25partition_config_selectorILNS1_17partition_subalgoE3EjNS0_10empty_typeEbEEZZNS1_14partition_implILS8_3ELb0ES6_jNS0_17counting_iteratorIjlEEPS9_SE_NS0_5tupleIJPjSE_EEENSF_IJSE_SE_EEES9_SG_JZNS1_25segmented_radix_sort_implINS0_14default_configELb0EPKsPsPKlPlN2at6native12_GLOBAL__N_18offset_tEEE10hipError_tPvRmT1_PNSt15iterator_traitsISY_E10value_typeET2_T3_PNSZ_IS14_E10value_typeET4_jRbjT5_S1A_jjP12ihipStream_tbEUljE_EEESV_SW_SX_S14_S18_S1A_T6_T7_T9_mT8_S1C_bDpT10_ENKUlT_T0_E_clISt17integral_constantIbLb1EES1P_EEDaS1K_S1L_EUlS1K_E_NS1_11comp_targetILNS1_3genE2ELNS1_11target_archE906ELNS1_3gpuE6ELNS1_3repE0EEENS1_30default_config_static_selectorELNS0_4arch9wavefront6targetE0EEEvSY_,comdat
	.globl	_ZN7rocprim17ROCPRIM_400000_NS6detail17trampoline_kernelINS0_13select_configILj256ELj13ELNS0_17block_load_methodE3ELS4_3ELS4_3ELNS0_20block_scan_algorithmE0ELj4294967295EEENS1_25partition_config_selectorILNS1_17partition_subalgoE3EjNS0_10empty_typeEbEEZZNS1_14partition_implILS8_3ELb0ES6_jNS0_17counting_iteratorIjlEEPS9_SE_NS0_5tupleIJPjSE_EEENSF_IJSE_SE_EEES9_SG_JZNS1_25segmented_radix_sort_implINS0_14default_configELb0EPKsPsPKlPlN2at6native12_GLOBAL__N_18offset_tEEE10hipError_tPvRmT1_PNSt15iterator_traitsISY_E10value_typeET2_T3_PNSZ_IS14_E10value_typeET4_jRbjT5_S1A_jjP12ihipStream_tbEUljE_EEESV_SW_SX_S14_S18_S1A_T6_T7_T9_mT8_S1C_bDpT10_ENKUlT_T0_E_clISt17integral_constantIbLb1EES1P_EEDaS1K_S1L_EUlS1K_E_NS1_11comp_targetILNS1_3genE2ELNS1_11target_archE906ELNS1_3gpuE6ELNS1_3repE0EEENS1_30default_config_static_selectorELNS0_4arch9wavefront6targetE0EEEvSY_ ; -- Begin function _ZN7rocprim17ROCPRIM_400000_NS6detail17trampoline_kernelINS0_13select_configILj256ELj13ELNS0_17block_load_methodE3ELS4_3ELS4_3ELNS0_20block_scan_algorithmE0ELj4294967295EEENS1_25partition_config_selectorILNS1_17partition_subalgoE3EjNS0_10empty_typeEbEEZZNS1_14partition_implILS8_3ELb0ES6_jNS0_17counting_iteratorIjlEEPS9_SE_NS0_5tupleIJPjSE_EEENSF_IJSE_SE_EEES9_SG_JZNS1_25segmented_radix_sort_implINS0_14default_configELb0EPKsPsPKlPlN2at6native12_GLOBAL__N_18offset_tEEE10hipError_tPvRmT1_PNSt15iterator_traitsISY_E10value_typeET2_T3_PNSZ_IS14_E10value_typeET4_jRbjT5_S1A_jjP12ihipStream_tbEUljE_EEESV_SW_SX_S14_S18_S1A_T6_T7_T9_mT8_S1C_bDpT10_ENKUlT_T0_E_clISt17integral_constantIbLb1EES1P_EEDaS1K_S1L_EUlS1K_E_NS1_11comp_targetILNS1_3genE2ELNS1_11target_archE906ELNS1_3gpuE6ELNS1_3repE0EEENS1_30default_config_static_selectorELNS0_4arch9wavefront6targetE0EEEvSY_
	.p2align	8
	.type	_ZN7rocprim17ROCPRIM_400000_NS6detail17trampoline_kernelINS0_13select_configILj256ELj13ELNS0_17block_load_methodE3ELS4_3ELS4_3ELNS0_20block_scan_algorithmE0ELj4294967295EEENS1_25partition_config_selectorILNS1_17partition_subalgoE3EjNS0_10empty_typeEbEEZZNS1_14partition_implILS8_3ELb0ES6_jNS0_17counting_iteratorIjlEEPS9_SE_NS0_5tupleIJPjSE_EEENSF_IJSE_SE_EEES9_SG_JZNS1_25segmented_radix_sort_implINS0_14default_configELb0EPKsPsPKlPlN2at6native12_GLOBAL__N_18offset_tEEE10hipError_tPvRmT1_PNSt15iterator_traitsISY_E10value_typeET2_T3_PNSZ_IS14_E10value_typeET4_jRbjT5_S1A_jjP12ihipStream_tbEUljE_EEESV_SW_SX_S14_S18_S1A_T6_T7_T9_mT8_S1C_bDpT10_ENKUlT_T0_E_clISt17integral_constantIbLb1EES1P_EEDaS1K_S1L_EUlS1K_E_NS1_11comp_targetILNS1_3genE2ELNS1_11target_archE906ELNS1_3gpuE6ELNS1_3repE0EEENS1_30default_config_static_selectorELNS0_4arch9wavefront6targetE0EEEvSY_,@function
_ZN7rocprim17ROCPRIM_400000_NS6detail17trampoline_kernelINS0_13select_configILj256ELj13ELNS0_17block_load_methodE3ELS4_3ELS4_3ELNS0_20block_scan_algorithmE0ELj4294967295EEENS1_25partition_config_selectorILNS1_17partition_subalgoE3EjNS0_10empty_typeEbEEZZNS1_14partition_implILS8_3ELb0ES6_jNS0_17counting_iteratorIjlEEPS9_SE_NS0_5tupleIJPjSE_EEENSF_IJSE_SE_EEES9_SG_JZNS1_25segmented_radix_sort_implINS0_14default_configELb0EPKsPsPKlPlN2at6native12_GLOBAL__N_18offset_tEEE10hipError_tPvRmT1_PNSt15iterator_traitsISY_E10value_typeET2_T3_PNSZ_IS14_E10value_typeET4_jRbjT5_S1A_jjP12ihipStream_tbEUljE_EEESV_SW_SX_S14_S18_S1A_T6_T7_T9_mT8_S1C_bDpT10_ENKUlT_T0_E_clISt17integral_constantIbLb1EES1P_EEDaS1K_S1L_EUlS1K_E_NS1_11comp_targetILNS1_3genE2ELNS1_11target_archE906ELNS1_3gpuE6ELNS1_3repE0EEENS1_30default_config_static_selectorELNS0_4arch9wavefront6targetE0EEEvSY_: ; @_ZN7rocprim17ROCPRIM_400000_NS6detail17trampoline_kernelINS0_13select_configILj256ELj13ELNS0_17block_load_methodE3ELS4_3ELS4_3ELNS0_20block_scan_algorithmE0ELj4294967295EEENS1_25partition_config_selectorILNS1_17partition_subalgoE3EjNS0_10empty_typeEbEEZZNS1_14partition_implILS8_3ELb0ES6_jNS0_17counting_iteratorIjlEEPS9_SE_NS0_5tupleIJPjSE_EEENSF_IJSE_SE_EEES9_SG_JZNS1_25segmented_radix_sort_implINS0_14default_configELb0EPKsPsPKlPlN2at6native12_GLOBAL__N_18offset_tEEE10hipError_tPvRmT1_PNSt15iterator_traitsISY_E10value_typeET2_T3_PNSZ_IS14_E10value_typeET4_jRbjT5_S1A_jjP12ihipStream_tbEUljE_EEESV_SW_SX_S14_S18_S1A_T6_T7_T9_mT8_S1C_bDpT10_ENKUlT_T0_E_clISt17integral_constantIbLb1EES1P_EEDaS1K_S1L_EUlS1K_E_NS1_11comp_targetILNS1_3genE2ELNS1_11target_archE906ELNS1_3gpuE6ELNS1_3repE0EEENS1_30default_config_static_selectorELNS0_4arch9wavefront6targetE0EEEvSY_
; %bb.0:
	.section	.rodata,"a",@progbits
	.p2align	6, 0x0
	.amdhsa_kernel _ZN7rocprim17ROCPRIM_400000_NS6detail17trampoline_kernelINS0_13select_configILj256ELj13ELNS0_17block_load_methodE3ELS4_3ELS4_3ELNS0_20block_scan_algorithmE0ELj4294967295EEENS1_25partition_config_selectorILNS1_17partition_subalgoE3EjNS0_10empty_typeEbEEZZNS1_14partition_implILS8_3ELb0ES6_jNS0_17counting_iteratorIjlEEPS9_SE_NS0_5tupleIJPjSE_EEENSF_IJSE_SE_EEES9_SG_JZNS1_25segmented_radix_sort_implINS0_14default_configELb0EPKsPsPKlPlN2at6native12_GLOBAL__N_18offset_tEEE10hipError_tPvRmT1_PNSt15iterator_traitsISY_E10value_typeET2_T3_PNSZ_IS14_E10value_typeET4_jRbjT5_S1A_jjP12ihipStream_tbEUljE_EEESV_SW_SX_S14_S18_S1A_T6_T7_T9_mT8_S1C_bDpT10_ENKUlT_T0_E_clISt17integral_constantIbLb1EES1P_EEDaS1K_S1L_EUlS1K_E_NS1_11comp_targetILNS1_3genE2ELNS1_11target_archE906ELNS1_3gpuE6ELNS1_3repE0EEENS1_30default_config_static_selectorELNS0_4arch9wavefront6targetE0EEEvSY_
		.amdhsa_group_segment_fixed_size 0
		.amdhsa_private_segment_fixed_size 0
		.amdhsa_kernarg_size 152
		.amdhsa_user_sgpr_count 2
		.amdhsa_user_sgpr_dispatch_ptr 0
		.amdhsa_user_sgpr_queue_ptr 0
		.amdhsa_user_sgpr_kernarg_segment_ptr 1
		.amdhsa_user_sgpr_dispatch_id 0
		.amdhsa_user_sgpr_private_segment_size 0
		.amdhsa_wavefront_size32 1
		.amdhsa_uses_dynamic_stack 0
		.amdhsa_enable_private_segment 0
		.amdhsa_system_sgpr_workgroup_id_x 1
		.amdhsa_system_sgpr_workgroup_id_y 0
		.amdhsa_system_sgpr_workgroup_id_z 0
		.amdhsa_system_sgpr_workgroup_info 0
		.amdhsa_system_vgpr_workitem_id 0
		.amdhsa_next_free_vgpr 1
		.amdhsa_next_free_sgpr 1
		.amdhsa_reserve_vcc 0
		.amdhsa_float_round_mode_32 0
		.amdhsa_float_round_mode_16_64 0
		.amdhsa_float_denorm_mode_32 3
		.amdhsa_float_denorm_mode_16_64 3
		.amdhsa_fp16_overflow 0
		.amdhsa_workgroup_processor_mode 1
		.amdhsa_memory_ordered 1
		.amdhsa_forward_progress 1
		.amdhsa_inst_pref_size 0
		.amdhsa_round_robin_scheduling 0
		.amdhsa_exception_fp_ieee_invalid_op 0
		.amdhsa_exception_fp_denorm_src 0
		.amdhsa_exception_fp_ieee_div_zero 0
		.amdhsa_exception_fp_ieee_overflow 0
		.amdhsa_exception_fp_ieee_underflow 0
		.amdhsa_exception_fp_ieee_inexact 0
		.amdhsa_exception_int_div_zero 0
	.end_amdhsa_kernel
	.section	.text._ZN7rocprim17ROCPRIM_400000_NS6detail17trampoline_kernelINS0_13select_configILj256ELj13ELNS0_17block_load_methodE3ELS4_3ELS4_3ELNS0_20block_scan_algorithmE0ELj4294967295EEENS1_25partition_config_selectorILNS1_17partition_subalgoE3EjNS0_10empty_typeEbEEZZNS1_14partition_implILS8_3ELb0ES6_jNS0_17counting_iteratorIjlEEPS9_SE_NS0_5tupleIJPjSE_EEENSF_IJSE_SE_EEES9_SG_JZNS1_25segmented_radix_sort_implINS0_14default_configELb0EPKsPsPKlPlN2at6native12_GLOBAL__N_18offset_tEEE10hipError_tPvRmT1_PNSt15iterator_traitsISY_E10value_typeET2_T3_PNSZ_IS14_E10value_typeET4_jRbjT5_S1A_jjP12ihipStream_tbEUljE_EEESV_SW_SX_S14_S18_S1A_T6_T7_T9_mT8_S1C_bDpT10_ENKUlT_T0_E_clISt17integral_constantIbLb1EES1P_EEDaS1K_S1L_EUlS1K_E_NS1_11comp_targetILNS1_3genE2ELNS1_11target_archE906ELNS1_3gpuE6ELNS1_3repE0EEENS1_30default_config_static_selectorELNS0_4arch9wavefront6targetE0EEEvSY_,"axG",@progbits,_ZN7rocprim17ROCPRIM_400000_NS6detail17trampoline_kernelINS0_13select_configILj256ELj13ELNS0_17block_load_methodE3ELS4_3ELS4_3ELNS0_20block_scan_algorithmE0ELj4294967295EEENS1_25partition_config_selectorILNS1_17partition_subalgoE3EjNS0_10empty_typeEbEEZZNS1_14partition_implILS8_3ELb0ES6_jNS0_17counting_iteratorIjlEEPS9_SE_NS0_5tupleIJPjSE_EEENSF_IJSE_SE_EEES9_SG_JZNS1_25segmented_radix_sort_implINS0_14default_configELb0EPKsPsPKlPlN2at6native12_GLOBAL__N_18offset_tEEE10hipError_tPvRmT1_PNSt15iterator_traitsISY_E10value_typeET2_T3_PNSZ_IS14_E10value_typeET4_jRbjT5_S1A_jjP12ihipStream_tbEUljE_EEESV_SW_SX_S14_S18_S1A_T6_T7_T9_mT8_S1C_bDpT10_ENKUlT_T0_E_clISt17integral_constantIbLb1EES1P_EEDaS1K_S1L_EUlS1K_E_NS1_11comp_targetILNS1_3genE2ELNS1_11target_archE906ELNS1_3gpuE6ELNS1_3repE0EEENS1_30default_config_static_selectorELNS0_4arch9wavefront6targetE0EEEvSY_,comdat
.Lfunc_end994:
	.size	_ZN7rocprim17ROCPRIM_400000_NS6detail17trampoline_kernelINS0_13select_configILj256ELj13ELNS0_17block_load_methodE3ELS4_3ELS4_3ELNS0_20block_scan_algorithmE0ELj4294967295EEENS1_25partition_config_selectorILNS1_17partition_subalgoE3EjNS0_10empty_typeEbEEZZNS1_14partition_implILS8_3ELb0ES6_jNS0_17counting_iteratorIjlEEPS9_SE_NS0_5tupleIJPjSE_EEENSF_IJSE_SE_EEES9_SG_JZNS1_25segmented_radix_sort_implINS0_14default_configELb0EPKsPsPKlPlN2at6native12_GLOBAL__N_18offset_tEEE10hipError_tPvRmT1_PNSt15iterator_traitsISY_E10value_typeET2_T3_PNSZ_IS14_E10value_typeET4_jRbjT5_S1A_jjP12ihipStream_tbEUljE_EEESV_SW_SX_S14_S18_S1A_T6_T7_T9_mT8_S1C_bDpT10_ENKUlT_T0_E_clISt17integral_constantIbLb1EES1P_EEDaS1K_S1L_EUlS1K_E_NS1_11comp_targetILNS1_3genE2ELNS1_11target_archE906ELNS1_3gpuE6ELNS1_3repE0EEENS1_30default_config_static_selectorELNS0_4arch9wavefront6targetE0EEEvSY_, .Lfunc_end994-_ZN7rocprim17ROCPRIM_400000_NS6detail17trampoline_kernelINS0_13select_configILj256ELj13ELNS0_17block_load_methodE3ELS4_3ELS4_3ELNS0_20block_scan_algorithmE0ELj4294967295EEENS1_25partition_config_selectorILNS1_17partition_subalgoE3EjNS0_10empty_typeEbEEZZNS1_14partition_implILS8_3ELb0ES6_jNS0_17counting_iteratorIjlEEPS9_SE_NS0_5tupleIJPjSE_EEENSF_IJSE_SE_EEES9_SG_JZNS1_25segmented_radix_sort_implINS0_14default_configELb0EPKsPsPKlPlN2at6native12_GLOBAL__N_18offset_tEEE10hipError_tPvRmT1_PNSt15iterator_traitsISY_E10value_typeET2_T3_PNSZ_IS14_E10value_typeET4_jRbjT5_S1A_jjP12ihipStream_tbEUljE_EEESV_SW_SX_S14_S18_S1A_T6_T7_T9_mT8_S1C_bDpT10_ENKUlT_T0_E_clISt17integral_constantIbLb1EES1P_EEDaS1K_S1L_EUlS1K_E_NS1_11comp_targetILNS1_3genE2ELNS1_11target_archE906ELNS1_3gpuE6ELNS1_3repE0EEENS1_30default_config_static_selectorELNS0_4arch9wavefront6targetE0EEEvSY_
                                        ; -- End function
	.set _ZN7rocprim17ROCPRIM_400000_NS6detail17trampoline_kernelINS0_13select_configILj256ELj13ELNS0_17block_load_methodE3ELS4_3ELS4_3ELNS0_20block_scan_algorithmE0ELj4294967295EEENS1_25partition_config_selectorILNS1_17partition_subalgoE3EjNS0_10empty_typeEbEEZZNS1_14partition_implILS8_3ELb0ES6_jNS0_17counting_iteratorIjlEEPS9_SE_NS0_5tupleIJPjSE_EEENSF_IJSE_SE_EEES9_SG_JZNS1_25segmented_radix_sort_implINS0_14default_configELb0EPKsPsPKlPlN2at6native12_GLOBAL__N_18offset_tEEE10hipError_tPvRmT1_PNSt15iterator_traitsISY_E10value_typeET2_T3_PNSZ_IS14_E10value_typeET4_jRbjT5_S1A_jjP12ihipStream_tbEUljE_EEESV_SW_SX_S14_S18_S1A_T6_T7_T9_mT8_S1C_bDpT10_ENKUlT_T0_E_clISt17integral_constantIbLb1EES1P_EEDaS1K_S1L_EUlS1K_E_NS1_11comp_targetILNS1_3genE2ELNS1_11target_archE906ELNS1_3gpuE6ELNS1_3repE0EEENS1_30default_config_static_selectorELNS0_4arch9wavefront6targetE0EEEvSY_.num_vgpr, 0
	.set _ZN7rocprim17ROCPRIM_400000_NS6detail17trampoline_kernelINS0_13select_configILj256ELj13ELNS0_17block_load_methodE3ELS4_3ELS4_3ELNS0_20block_scan_algorithmE0ELj4294967295EEENS1_25partition_config_selectorILNS1_17partition_subalgoE3EjNS0_10empty_typeEbEEZZNS1_14partition_implILS8_3ELb0ES6_jNS0_17counting_iteratorIjlEEPS9_SE_NS0_5tupleIJPjSE_EEENSF_IJSE_SE_EEES9_SG_JZNS1_25segmented_radix_sort_implINS0_14default_configELb0EPKsPsPKlPlN2at6native12_GLOBAL__N_18offset_tEEE10hipError_tPvRmT1_PNSt15iterator_traitsISY_E10value_typeET2_T3_PNSZ_IS14_E10value_typeET4_jRbjT5_S1A_jjP12ihipStream_tbEUljE_EEESV_SW_SX_S14_S18_S1A_T6_T7_T9_mT8_S1C_bDpT10_ENKUlT_T0_E_clISt17integral_constantIbLb1EES1P_EEDaS1K_S1L_EUlS1K_E_NS1_11comp_targetILNS1_3genE2ELNS1_11target_archE906ELNS1_3gpuE6ELNS1_3repE0EEENS1_30default_config_static_selectorELNS0_4arch9wavefront6targetE0EEEvSY_.num_agpr, 0
	.set _ZN7rocprim17ROCPRIM_400000_NS6detail17trampoline_kernelINS0_13select_configILj256ELj13ELNS0_17block_load_methodE3ELS4_3ELS4_3ELNS0_20block_scan_algorithmE0ELj4294967295EEENS1_25partition_config_selectorILNS1_17partition_subalgoE3EjNS0_10empty_typeEbEEZZNS1_14partition_implILS8_3ELb0ES6_jNS0_17counting_iteratorIjlEEPS9_SE_NS0_5tupleIJPjSE_EEENSF_IJSE_SE_EEES9_SG_JZNS1_25segmented_radix_sort_implINS0_14default_configELb0EPKsPsPKlPlN2at6native12_GLOBAL__N_18offset_tEEE10hipError_tPvRmT1_PNSt15iterator_traitsISY_E10value_typeET2_T3_PNSZ_IS14_E10value_typeET4_jRbjT5_S1A_jjP12ihipStream_tbEUljE_EEESV_SW_SX_S14_S18_S1A_T6_T7_T9_mT8_S1C_bDpT10_ENKUlT_T0_E_clISt17integral_constantIbLb1EES1P_EEDaS1K_S1L_EUlS1K_E_NS1_11comp_targetILNS1_3genE2ELNS1_11target_archE906ELNS1_3gpuE6ELNS1_3repE0EEENS1_30default_config_static_selectorELNS0_4arch9wavefront6targetE0EEEvSY_.numbered_sgpr, 0
	.set _ZN7rocprim17ROCPRIM_400000_NS6detail17trampoline_kernelINS0_13select_configILj256ELj13ELNS0_17block_load_methodE3ELS4_3ELS4_3ELNS0_20block_scan_algorithmE0ELj4294967295EEENS1_25partition_config_selectorILNS1_17partition_subalgoE3EjNS0_10empty_typeEbEEZZNS1_14partition_implILS8_3ELb0ES6_jNS0_17counting_iteratorIjlEEPS9_SE_NS0_5tupleIJPjSE_EEENSF_IJSE_SE_EEES9_SG_JZNS1_25segmented_radix_sort_implINS0_14default_configELb0EPKsPsPKlPlN2at6native12_GLOBAL__N_18offset_tEEE10hipError_tPvRmT1_PNSt15iterator_traitsISY_E10value_typeET2_T3_PNSZ_IS14_E10value_typeET4_jRbjT5_S1A_jjP12ihipStream_tbEUljE_EEESV_SW_SX_S14_S18_S1A_T6_T7_T9_mT8_S1C_bDpT10_ENKUlT_T0_E_clISt17integral_constantIbLb1EES1P_EEDaS1K_S1L_EUlS1K_E_NS1_11comp_targetILNS1_3genE2ELNS1_11target_archE906ELNS1_3gpuE6ELNS1_3repE0EEENS1_30default_config_static_selectorELNS0_4arch9wavefront6targetE0EEEvSY_.num_named_barrier, 0
	.set _ZN7rocprim17ROCPRIM_400000_NS6detail17trampoline_kernelINS0_13select_configILj256ELj13ELNS0_17block_load_methodE3ELS4_3ELS4_3ELNS0_20block_scan_algorithmE0ELj4294967295EEENS1_25partition_config_selectorILNS1_17partition_subalgoE3EjNS0_10empty_typeEbEEZZNS1_14partition_implILS8_3ELb0ES6_jNS0_17counting_iteratorIjlEEPS9_SE_NS0_5tupleIJPjSE_EEENSF_IJSE_SE_EEES9_SG_JZNS1_25segmented_radix_sort_implINS0_14default_configELb0EPKsPsPKlPlN2at6native12_GLOBAL__N_18offset_tEEE10hipError_tPvRmT1_PNSt15iterator_traitsISY_E10value_typeET2_T3_PNSZ_IS14_E10value_typeET4_jRbjT5_S1A_jjP12ihipStream_tbEUljE_EEESV_SW_SX_S14_S18_S1A_T6_T7_T9_mT8_S1C_bDpT10_ENKUlT_T0_E_clISt17integral_constantIbLb1EES1P_EEDaS1K_S1L_EUlS1K_E_NS1_11comp_targetILNS1_3genE2ELNS1_11target_archE906ELNS1_3gpuE6ELNS1_3repE0EEENS1_30default_config_static_selectorELNS0_4arch9wavefront6targetE0EEEvSY_.private_seg_size, 0
	.set _ZN7rocprim17ROCPRIM_400000_NS6detail17trampoline_kernelINS0_13select_configILj256ELj13ELNS0_17block_load_methodE3ELS4_3ELS4_3ELNS0_20block_scan_algorithmE0ELj4294967295EEENS1_25partition_config_selectorILNS1_17partition_subalgoE3EjNS0_10empty_typeEbEEZZNS1_14partition_implILS8_3ELb0ES6_jNS0_17counting_iteratorIjlEEPS9_SE_NS0_5tupleIJPjSE_EEENSF_IJSE_SE_EEES9_SG_JZNS1_25segmented_radix_sort_implINS0_14default_configELb0EPKsPsPKlPlN2at6native12_GLOBAL__N_18offset_tEEE10hipError_tPvRmT1_PNSt15iterator_traitsISY_E10value_typeET2_T3_PNSZ_IS14_E10value_typeET4_jRbjT5_S1A_jjP12ihipStream_tbEUljE_EEESV_SW_SX_S14_S18_S1A_T6_T7_T9_mT8_S1C_bDpT10_ENKUlT_T0_E_clISt17integral_constantIbLb1EES1P_EEDaS1K_S1L_EUlS1K_E_NS1_11comp_targetILNS1_3genE2ELNS1_11target_archE906ELNS1_3gpuE6ELNS1_3repE0EEENS1_30default_config_static_selectorELNS0_4arch9wavefront6targetE0EEEvSY_.uses_vcc, 0
	.set _ZN7rocprim17ROCPRIM_400000_NS6detail17trampoline_kernelINS0_13select_configILj256ELj13ELNS0_17block_load_methodE3ELS4_3ELS4_3ELNS0_20block_scan_algorithmE0ELj4294967295EEENS1_25partition_config_selectorILNS1_17partition_subalgoE3EjNS0_10empty_typeEbEEZZNS1_14partition_implILS8_3ELb0ES6_jNS0_17counting_iteratorIjlEEPS9_SE_NS0_5tupleIJPjSE_EEENSF_IJSE_SE_EEES9_SG_JZNS1_25segmented_radix_sort_implINS0_14default_configELb0EPKsPsPKlPlN2at6native12_GLOBAL__N_18offset_tEEE10hipError_tPvRmT1_PNSt15iterator_traitsISY_E10value_typeET2_T3_PNSZ_IS14_E10value_typeET4_jRbjT5_S1A_jjP12ihipStream_tbEUljE_EEESV_SW_SX_S14_S18_S1A_T6_T7_T9_mT8_S1C_bDpT10_ENKUlT_T0_E_clISt17integral_constantIbLb1EES1P_EEDaS1K_S1L_EUlS1K_E_NS1_11comp_targetILNS1_3genE2ELNS1_11target_archE906ELNS1_3gpuE6ELNS1_3repE0EEENS1_30default_config_static_selectorELNS0_4arch9wavefront6targetE0EEEvSY_.uses_flat_scratch, 0
	.set _ZN7rocprim17ROCPRIM_400000_NS6detail17trampoline_kernelINS0_13select_configILj256ELj13ELNS0_17block_load_methodE3ELS4_3ELS4_3ELNS0_20block_scan_algorithmE0ELj4294967295EEENS1_25partition_config_selectorILNS1_17partition_subalgoE3EjNS0_10empty_typeEbEEZZNS1_14partition_implILS8_3ELb0ES6_jNS0_17counting_iteratorIjlEEPS9_SE_NS0_5tupleIJPjSE_EEENSF_IJSE_SE_EEES9_SG_JZNS1_25segmented_radix_sort_implINS0_14default_configELb0EPKsPsPKlPlN2at6native12_GLOBAL__N_18offset_tEEE10hipError_tPvRmT1_PNSt15iterator_traitsISY_E10value_typeET2_T3_PNSZ_IS14_E10value_typeET4_jRbjT5_S1A_jjP12ihipStream_tbEUljE_EEESV_SW_SX_S14_S18_S1A_T6_T7_T9_mT8_S1C_bDpT10_ENKUlT_T0_E_clISt17integral_constantIbLb1EES1P_EEDaS1K_S1L_EUlS1K_E_NS1_11comp_targetILNS1_3genE2ELNS1_11target_archE906ELNS1_3gpuE6ELNS1_3repE0EEENS1_30default_config_static_selectorELNS0_4arch9wavefront6targetE0EEEvSY_.has_dyn_sized_stack, 0
	.set _ZN7rocprim17ROCPRIM_400000_NS6detail17trampoline_kernelINS0_13select_configILj256ELj13ELNS0_17block_load_methodE3ELS4_3ELS4_3ELNS0_20block_scan_algorithmE0ELj4294967295EEENS1_25partition_config_selectorILNS1_17partition_subalgoE3EjNS0_10empty_typeEbEEZZNS1_14partition_implILS8_3ELb0ES6_jNS0_17counting_iteratorIjlEEPS9_SE_NS0_5tupleIJPjSE_EEENSF_IJSE_SE_EEES9_SG_JZNS1_25segmented_radix_sort_implINS0_14default_configELb0EPKsPsPKlPlN2at6native12_GLOBAL__N_18offset_tEEE10hipError_tPvRmT1_PNSt15iterator_traitsISY_E10value_typeET2_T3_PNSZ_IS14_E10value_typeET4_jRbjT5_S1A_jjP12ihipStream_tbEUljE_EEESV_SW_SX_S14_S18_S1A_T6_T7_T9_mT8_S1C_bDpT10_ENKUlT_T0_E_clISt17integral_constantIbLb1EES1P_EEDaS1K_S1L_EUlS1K_E_NS1_11comp_targetILNS1_3genE2ELNS1_11target_archE906ELNS1_3gpuE6ELNS1_3repE0EEENS1_30default_config_static_selectorELNS0_4arch9wavefront6targetE0EEEvSY_.has_recursion, 0
	.set _ZN7rocprim17ROCPRIM_400000_NS6detail17trampoline_kernelINS0_13select_configILj256ELj13ELNS0_17block_load_methodE3ELS4_3ELS4_3ELNS0_20block_scan_algorithmE0ELj4294967295EEENS1_25partition_config_selectorILNS1_17partition_subalgoE3EjNS0_10empty_typeEbEEZZNS1_14partition_implILS8_3ELb0ES6_jNS0_17counting_iteratorIjlEEPS9_SE_NS0_5tupleIJPjSE_EEENSF_IJSE_SE_EEES9_SG_JZNS1_25segmented_radix_sort_implINS0_14default_configELb0EPKsPsPKlPlN2at6native12_GLOBAL__N_18offset_tEEE10hipError_tPvRmT1_PNSt15iterator_traitsISY_E10value_typeET2_T3_PNSZ_IS14_E10value_typeET4_jRbjT5_S1A_jjP12ihipStream_tbEUljE_EEESV_SW_SX_S14_S18_S1A_T6_T7_T9_mT8_S1C_bDpT10_ENKUlT_T0_E_clISt17integral_constantIbLb1EES1P_EEDaS1K_S1L_EUlS1K_E_NS1_11comp_targetILNS1_3genE2ELNS1_11target_archE906ELNS1_3gpuE6ELNS1_3repE0EEENS1_30default_config_static_selectorELNS0_4arch9wavefront6targetE0EEEvSY_.has_indirect_call, 0
	.section	.AMDGPU.csdata,"",@progbits
; Kernel info:
; codeLenInByte = 0
; TotalNumSgprs: 0
; NumVgprs: 0
; ScratchSize: 0
; MemoryBound: 0
; FloatMode: 240
; IeeeMode: 1
; LDSByteSize: 0 bytes/workgroup (compile time only)
; SGPRBlocks: 0
; VGPRBlocks: 0
; NumSGPRsForWavesPerEU: 1
; NumVGPRsForWavesPerEU: 1
; Occupancy: 16
; WaveLimiterHint : 0
; COMPUTE_PGM_RSRC2:SCRATCH_EN: 0
; COMPUTE_PGM_RSRC2:USER_SGPR: 2
; COMPUTE_PGM_RSRC2:TRAP_HANDLER: 0
; COMPUTE_PGM_RSRC2:TGID_X_EN: 1
; COMPUTE_PGM_RSRC2:TGID_Y_EN: 0
; COMPUTE_PGM_RSRC2:TGID_Z_EN: 0
; COMPUTE_PGM_RSRC2:TIDIG_COMP_CNT: 0
	.section	.text._ZN7rocprim17ROCPRIM_400000_NS6detail17trampoline_kernelINS0_13select_configILj256ELj13ELNS0_17block_load_methodE3ELS4_3ELS4_3ELNS0_20block_scan_algorithmE0ELj4294967295EEENS1_25partition_config_selectorILNS1_17partition_subalgoE3EjNS0_10empty_typeEbEEZZNS1_14partition_implILS8_3ELb0ES6_jNS0_17counting_iteratorIjlEEPS9_SE_NS0_5tupleIJPjSE_EEENSF_IJSE_SE_EEES9_SG_JZNS1_25segmented_radix_sort_implINS0_14default_configELb0EPKsPsPKlPlN2at6native12_GLOBAL__N_18offset_tEEE10hipError_tPvRmT1_PNSt15iterator_traitsISY_E10value_typeET2_T3_PNSZ_IS14_E10value_typeET4_jRbjT5_S1A_jjP12ihipStream_tbEUljE_EEESV_SW_SX_S14_S18_S1A_T6_T7_T9_mT8_S1C_bDpT10_ENKUlT_T0_E_clISt17integral_constantIbLb1EES1P_EEDaS1K_S1L_EUlS1K_E_NS1_11comp_targetILNS1_3genE10ELNS1_11target_archE1200ELNS1_3gpuE4ELNS1_3repE0EEENS1_30default_config_static_selectorELNS0_4arch9wavefront6targetE0EEEvSY_,"axG",@progbits,_ZN7rocprim17ROCPRIM_400000_NS6detail17trampoline_kernelINS0_13select_configILj256ELj13ELNS0_17block_load_methodE3ELS4_3ELS4_3ELNS0_20block_scan_algorithmE0ELj4294967295EEENS1_25partition_config_selectorILNS1_17partition_subalgoE3EjNS0_10empty_typeEbEEZZNS1_14partition_implILS8_3ELb0ES6_jNS0_17counting_iteratorIjlEEPS9_SE_NS0_5tupleIJPjSE_EEENSF_IJSE_SE_EEES9_SG_JZNS1_25segmented_radix_sort_implINS0_14default_configELb0EPKsPsPKlPlN2at6native12_GLOBAL__N_18offset_tEEE10hipError_tPvRmT1_PNSt15iterator_traitsISY_E10value_typeET2_T3_PNSZ_IS14_E10value_typeET4_jRbjT5_S1A_jjP12ihipStream_tbEUljE_EEESV_SW_SX_S14_S18_S1A_T6_T7_T9_mT8_S1C_bDpT10_ENKUlT_T0_E_clISt17integral_constantIbLb1EES1P_EEDaS1K_S1L_EUlS1K_E_NS1_11comp_targetILNS1_3genE10ELNS1_11target_archE1200ELNS1_3gpuE4ELNS1_3repE0EEENS1_30default_config_static_selectorELNS0_4arch9wavefront6targetE0EEEvSY_,comdat
	.globl	_ZN7rocprim17ROCPRIM_400000_NS6detail17trampoline_kernelINS0_13select_configILj256ELj13ELNS0_17block_load_methodE3ELS4_3ELS4_3ELNS0_20block_scan_algorithmE0ELj4294967295EEENS1_25partition_config_selectorILNS1_17partition_subalgoE3EjNS0_10empty_typeEbEEZZNS1_14partition_implILS8_3ELb0ES6_jNS0_17counting_iteratorIjlEEPS9_SE_NS0_5tupleIJPjSE_EEENSF_IJSE_SE_EEES9_SG_JZNS1_25segmented_radix_sort_implINS0_14default_configELb0EPKsPsPKlPlN2at6native12_GLOBAL__N_18offset_tEEE10hipError_tPvRmT1_PNSt15iterator_traitsISY_E10value_typeET2_T3_PNSZ_IS14_E10value_typeET4_jRbjT5_S1A_jjP12ihipStream_tbEUljE_EEESV_SW_SX_S14_S18_S1A_T6_T7_T9_mT8_S1C_bDpT10_ENKUlT_T0_E_clISt17integral_constantIbLb1EES1P_EEDaS1K_S1L_EUlS1K_E_NS1_11comp_targetILNS1_3genE10ELNS1_11target_archE1200ELNS1_3gpuE4ELNS1_3repE0EEENS1_30default_config_static_selectorELNS0_4arch9wavefront6targetE0EEEvSY_ ; -- Begin function _ZN7rocprim17ROCPRIM_400000_NS6detail17trampoline_kernelINS0_13select_configILj256ELj13ELNS0_17block_load_methodE3ELS4_3ELS4_3ELNS0_20block_scan_algorithmE0ELj4294967295EEENS1_25partition_config_selectorILNS1_17partition_subalgoE3EjNS0_10empty_typeEbEEZZNS1_14partition_implILS8_3ELb0ES6_jNS0_17counting_iteratorIjlEEPS9_SE_NS0_5tupleIJPjSE_EEENSF_IJSE_SE_EEES9_SG_JZNS1_25segmented_radix_sort_implINS0_14default_configELb0EPKsPsPKlPlN2at6native12_GLOBAL__N_18offset_tEEE10hipError_tPvRmT1_PNSt15iterator_traitsISY_E10value_typeET2_T3_PNSZ_IS14_E10value_typeET4_jRbjT5_S1A_jjP12ihipStream_tbEUljE_EEESV_SW_SX_S14_S18_S1A_T6_T7_T9_mT8_S1C_bDpT10_ENKUlT_T0_E_clISt17integral_constantIbLb1EES1P_EEDaS1K_S1L_EUlS1K_E_NS1_11comp_targetILNS1_3genE10ELNS1_11target_archE1200ELNS1_3gpuE4ELNS1_3repE0EEENS1_30default_config_static_selectorELNS0_4arch9wavefront6targetE0EEEvSY_
	.p2align	8
	.type	_ZN7rocprim17ROCPRIM_400000_NS6detail17trampoline_kernelINS0_13select_configILj256ELj13ELNS0_17block_load_methodE3ELS4_3ELS4_3ELNS0_20block_scan_algorithmE0ELj4294967295EEENS1_25partition_config_selectorILNS1_17partition_subalgoE3EjNS0_10empty_typeEbEEZZNS1_14partition_implILS8_3ELb0ES6_jNS0_17counting_iteratorIjlEEPS9_SE_NS0_5tupleIJPjSE_EEENSF_IJSE_SE_EEES9_SG_JZNS1_25segmented_radix_sort_implINS0_14default_configELb0EPKsPsPKlPlN2at6native12_GLOBAL__N_18offset_tEEE10hipError_tPvRmT1_PNSt15iterator_traitsISY_E10value_typeET2_T3_PNSZ_IS14_E10value_typeET4_jRbjT5_S1A_jjP12ihipStream_tbEUljE_EEESV_SW_SX_S14_S18_S1A_T6_T7_T9_mT8_S1C_bDpT10_ENKUlT_T0_E_clISt17integral_constantIbLb1EES1P_EEDaS1K_S1L_EUlS1K_E_NS1_11comp_targetILNS1_3genE10ELNS1_11target_archE1200ELNS1_3gpuE4ELNS1_3repE0EEENS1_30default_config_static_selectorELNS0_4arch9wavefront6targetE0EEEvSY_,@function
_ZN7rocprim17ROCPRIM_400000_NS6detail17trampoline_kernelINS0_13select_configILj256ELj13ELNS0_17block_load_methodE3ELS4_3ELS4_3ELNS0_20block_scan_algorithmE0ELj4294967295EEENS1_25partition_config_selectorILNS1_17partition_subalgoE3EjNS0_10empty_typeEbEEZZNS1_14partition_implILS8_3ELb0ES6_jNS0_17counting_iteratorIjlEEPS9_SE_NS0_5tupleIJPjSE_EEENSF_IJSE_SE_EEES9_SG_JZNS1_25segmented_radix_sort_implINS0_14default_configELb0EPKsPsPKlPlN2at6native12_GLOBAL__N_18offset_tEEE10hipError_tPvRmT1_PNSt15iterator_traitsISY_E10value_typeET2_T3_PNSZ_IS14_E10value_typeET4_jRbjT5_S1A_jjP12ihipStream_tbEUljE_EEESV_SW_SX_S14_S18_S1A_T6_T7_T9_mT8_S1C_bDpT10_ENKUlT_T0_E_clISt17integral_constantIbLb1EES1P_EEDaS1K_S1L_EUlS1K_E_NS1_11comp_targetILNS1_3genE10ELNS1_11target_archE1200ELNS1_3gpuE4ELNS1_3repE0EEENS1_30default_config_static_selectorELNS0_4arch9wavefront6targetE0EEEvSY_: ; @_ZN7rocprim17ROCPRIM_400000_NS6detail17trampoline_kernelINS0_13select_configILj256ELj13ELNS0_17block_load_methodE3ELS4_3ELS4_3ELNS0_20block_scan_algorithmE0ELj4294967295EEENS1_25partition_config_selectorILNS1_17partition_subalgoE3EjNS0_10empty_typeEbEEZZNS1_14partition_implILS8_3ELb0ES6_jNS0_17counting_iteratorIjlEEPS9_SE_NS0_5tupleIJPjSE_EEENSF_IJSE_SE_EEES9_SG_JZNS1_25segmented_radix_sort_implINS0_14default_configELb0EPKsPsPKlPlN2at6native12_GLOBAL__N_18offset_tEEE10hipError_tPvRmT1_PNSt15iterator_traitsISY_E10value_typeET2_T3_PNSZ_IS14_E10value_typeET4_jRbjT5_S1A_jjP12ihipStream_tbEUljE_EEESV_SW_SX_S14_S18_S1A_T6_T7_T9_mT8_S1C_bDpT10_ENKUlT_T0_E_clISt17integral_constantIbLb1EES1P_EEDaS1K_S1L_EUlS1K_E_NS1_11comp_targetILNS1_3genE10ELNS1_11target_archE1200ELNS1_3gpuE4ELNS1_3repE0EEENS1_30default_config_static_selectorELNS0_4arch9wavefront6targetE0EEEvSY_
; %bb.0:
	s_endpgm
	.section	.rodata,"a",@progbits
	.p2align	6, 0x0
	.amdhsa_kernel _ZN7rocprim17ROCPRIM_400000_NS6detail17trampoline_kernelINS0_13select_configILj256ELj13ELNS0_17block_load_methodE3ELS4_3ELS4_3ELNS0_20block_scan_algorithmE0ELj4294967295EEENS1_25partition_config_selectorILNS1_17partition_subalgoE3EjNS0_10empty_typeEbEEZZNS1_14partition_implILS8_3ELb0ES6_jNS0_17counting_iteratorIjlEEPS9_SE_NS0_5tupleIJPjSE_EEENSF_IJSE_SE_EEES9_SG_JZNS1_25segmented_radix_sort_implINS0_14default_configELb0EPKsPsPKlPlN2at6native12_GLOBAL__N_18offset_tEEE10hipError_tPvRmT1_PNSt15iterator_traitsISY_E10value_typeET2_T3_PNSZ_IS14_E10value_typeET4_jRbjT5_S1A_jjP12ihipStream_tbEUljE_EEESV_SW_SX_S14_S18_S1A_T6_T7_T9_mT8_S1C_bDpT10_ENKUlT_T0_E_clISt17integral_constantIbLb1EES1P_EEDaS1K_S1L_EUlS1K_E_NS1_11comp_targetILNS1_3genE10ELNS1_11target_archE1200ELNS1_3gpuE4ELNS1_3repE0EEENS1_30default_config_static_selectorELNS0_4arch9wavefront6targetE0EEEvSY_
		.amdhsa_group_segment_fixed_size 0
		.amdhsa_private_segment_fixed_size 0
		.amdhsa_kernarg_size 152
		.amdhsa_user_sgpr_count 2
		.amdhsa_user_sgpr_dispatch_ptr 0
		.amdhsa_user_sgpr_queue_ptr 0
		.amdhsa_user_sgpr_kernarg_segment_ptr 1
		.amdhsa_user_sgpr_dispatch_id 0
		.amdhsa_user_sgpr_private_segment_size 0
		.amdhsa_wavefront_size32 1
		.amdhsa_uses_dynamic_stack 0
		.amdhsa_enable_private_segment 0
		.amdhsa_system_sgpr_workgroup_id_x 1
		.amdhsa_system_sgpr_workgroup_id_y 0
		.amdhsa_system_sgpr_workgroup_id_z 0
		.amdhsa_system_sgpr_workgroup_info 0
		.amdhsa_system_vgpr_workitem_id 0
		.amdhsa_next_free_vgpr 1
		.amdhsa_next_free_sgpr 1
		.amdhsa_reserve_vcc 0
		.amdhsa_float_round_mode_32 0
		.amdhsa_float_round_mode_16_64 0
		.amdhsa_float_denorm_mode_32 3
		.amdhsa_float_denorm_mode_16_64 3
		.amdhsa_fp16_overflow 0
		.amdhsa_workgroup_processor_mode 1
		.amdhsa_memory_ordered 1
		.amdhsa_forward_progress 1
		.amdhsa_inst_pref_size 1
		.amdhsa_round_robin_scheduling 0
		.amdhsa_exception_fp_ieee_invalid_op 0
		.amdhsa_exception_fp_denorm_src 0
		.amdhsa_exception_fp_ieee_div_zero 0
		.amdhsa_exception_fp_ieee_overflow 0
		.amdhsa_exception_fp_ieee_underflow 0
		.amdhsa_exception_fp_ieee_inexact 0
		.amdhsa_exception_int_div_zero 0
	.end_amdhsa_kernel
	.section	.text._ZN7rocprim17ROCPRIM_400000_NS6detail17trampoline_kernelINS0_13select_configILj256ELj13ELNS0_17block_load_methodE3ELS4_3ELS4_3ELNS0_20block_scan_algorithmE0ELj4294967295EEENS1_25partition_config_selectorILNS1_17partition_subalgoE3EjNS0_10empty_typeEbEEZZNS1_14partition_implILS8_3ELb0ES6_jNS0_17counting_iteratorIjlEEPS9_SE_NS0_5tupleIJPjSE_EEENSF_IJSE_SE_EEES9_SG_JZNS1_25segmented_radix_sort_implINS0_14default_configELb0EPKsPsPKlPlN2at6native12_GLOBAL__N_18offset_tEEE10hipError_tPvRmT1_PNSt15iterator_traitsISY_E10value_typeET2_T3_PNSZ_IS14_E10value_typeET4_jRbjT5_S1A_jjP12ihipStream_tbEUljE_EEESV_SW_SX_S14_S18_S1A_T6_T7_T9_mT8_S1C_bDpT10_ENKUlT_T0_E_clISt17integral_constantIbLb1EES1P_EEDaS1K_S1L_EUlS1K_E_NS1_11comp_targetILNS1_3genE10ELNS1_11target_archE1200ELNS1_3gpuE4ELNS1_3repE0EEENS1_30default_config_static_selectorELNS0_4arch9wavefront6targetE0EEEvSY_,"axG",@progbits,_ZN7rocprim17ROCPRIM_400000_NS6detail17trampoline_kernelINS0_13select_configILj256ELj13ELNS0_17block_load_methodE3ELS4_3ELS4_3ELNS0_20block_scan_algorithmE0ELj4294967295EEENS1_25partition_config_selectorILNS1_17partition_subalgoE3EjNS0_10empty_typeEbEEZZNS1_14partition_implILS8_3ELb0ES6_jNS0_17counting_iteratorIjlEEPS9_SE_NS0_5tupleIJPjSE_EEENSF_IJSE_SE_EEES9_SG_JZNS1_25segmented_radix_sort_implINS0_14default_configELb0EPKsPsPKlPlN2at6native12_GLOBAL__N_18offset_tEEE10hipError_tPvRmT1_PNSt15iterator_traitsISY_E10value_typeET2_T3_PNSZ_IS14_E10value_typeET4_jRbjT5_S1A_jjP12ihipStream_tbEUljE_EEESV_SW_SX_S14_S18_S1A_T6_T7_T9_mT8_S1C_bDpT10_ENKUlT_T0_E_clISt17integral_constantIbLb1EES1P_EEDaS1K_S1L_EUlS1K_E_NS1_11comp_targetILNS1_3genE10ELNS1_11target_archE1200ELNS1_3gpuE4ELNS1_3repE0EEENS1_30default_config_static_selectorELNS0_4arch9wavefront6targetE0EEEvSY_,comdat
.Lfunc_end995:
	.size	_ZN7rocprim17ROCPRIM_400000_NS6detail17trampoline_kernelINS0_13select_configILj256ELj13ELNS0_17block_load_methodE3ELS4_3ELS4_3ELNS0_20block_scan_algorithmE0ELj4294967295EEENS1_25partition_config_selectorILNS1_17partition_subalgoE3EjNS0_10empty_typeEbEEZZNS1_14partition_implILS8_3ELb0ES6_jNS0_17counting_iteratorIjlEEPS9_SE_NS0_5tupleIJPjSE_EEENSF_IJSE_SE_EEES9_SG_JZNS1_25segmented_radix_sort_implINS0_14default_configELb0EPKsPsPKlPlN2at6native12_GLOBAL__N_18offset_tEEE10hipError_tPvRmT1_PNSt15iterator_traitsISY_E10value_typeET2_T3_PNSZ_IS14_E10value_typeET4_jRbjT5_S1A_jjP12ihipStream_tbEUljE_EEESV_SW_SX_S14_S18_S1A_T6_T7_T9_mT8_S1C_bDpT10_ENKUlT_T0_E_clISt17integral_constantIbLb1EES1P_EEDaS1K_S1L_EUlS1K_E_NS1_11comp_targetILNS1_3genE10ELNS1_11target_archE1200ELNS1_3gpuE4ELNS1_3repE0EEENS1_30default_config_static_selectorELNS0_4arch9wavefront6targetE0EEEvSY_, .Lfunc_end995-_ZN7rocprim17ROCPRIM_400000_NS6detail17trampoline_kernelINS0_13select_configILj256ELj13ELNS0_17block_load_methodE3ELS4_3ELS4_3ELNS0_20block_scan_algorithmE0ELj4294967295EEENS1_25partition_config_selectorILNS1_17partition_subalgoE3EjNS0_10empty_typeEbEEZZNS1_14partition_implILS8_3ELb0ES6_jNS0_17counting_iteratorIjlEEPS9_SE_NS0_5tupleIJPjSE_EEENSF_IJSE_SE_EEES9_SG_JZNS1_25segmented_radix_sort_implINS0_14default_configELb0EPKsPsPKlPlN2at6native12_GLOBAL__N_18offset_tEEE10hipError_tPvRmT1_PNSt15iterator_traitsISY_E10value_typeET2_T3_PNSZ_IS14_E10value_typeET4_jRbjT5_S1A_jjP12ihipStream_tbEUljE_EEESV_SW_SX_S14_S18_S1A_T6_T7_T9_mT8_S1C_bDpT10_ENKUlT_T0_E_clISt17integral_constantIbLb1EES1P_EEDaS1K_S1L_EUlS1K_E_NS1_11comp_targetILNS1_3genE10ELNS1_11target_archE1200ELNS1_3gpuE4ELNS1_3repE0EEENS1_30default_config_static_selectorELNS0_4arch9wavefront6targetE0EEEvSY_
                                        ; -- End function
	.set _ZN7rocprim17ROCPRIM_400000_NS6detail17trampoline_kernelINS0_13select_configILj256ELj13ELNS0_17block_load_methodE3ELS4_3ELS4_3ELNS0_20block_scan_algorithmE0ELj4294967295EEENS1_25partition_config_selectorILNS1_17partition_subalgoE3EjNS0_10empty_typeEbEEZZNS1_14partition_implILS8_3ELb0ES6_jNS0_17counting_iteratorIjlEEPS9_SE_NS0_5tupleIJPjSE_EEENSF_IJSE_SE_EEES9_SG_JZNS1_25segmented_radix_sort_implINS0_14default_configELb0EPKsPsPKlPlN2at6native12_GLOBAL__N_18offset_tEEE10hipError_tPvRmT1_PNSt15iterator_traitsISY_E10value_typeET2_T3_PNSZ_IS14_E10value_typeET4_jRbjT5_S1A_jjP12ihipStream_tbEUljE_EEESV_SW_SX_S14_S18_S1A_T6_T7_T9_mT8_S1C_bDpT10_ENKUlT_T0_E_clISt17integral_constantIbLb1EES1P_EEDaS1K_S1L_EUlS1K_E_NS1_11comp_targetILNS1_3genE10ELNS1_11target_archE1200ELNS1_3gpuE4ELNS1_3repE0EEENS1_30default_config_static_selectorELNS0_4arch9wavefront6targetE0EEEvSY_.num_vgpr, 0
	.set _ZN7rocprim17ROCPRIM_400000_NS6detail17trampoline_kernelINS0_13select_configILj256ELj13ELNS0_17block_load_methodE3ELS4_3ELS4_3ELNS0_20block_scan_algorithmE0ELj4294967295EEENS1_25partition_config_selectorILNS1_17partition_subalgoE3EjNS0_10empty_typeEbEEZZNS1_14partition_implILS8_3ELb0ES6_jNS0_17counting_iteratorIjlEEPS9_SE_NS0_5tupleIJPjSE_EEENSF_IJSE_SE_EEES9_SG_JZNS1_25segmented_radix_sort_implINS0_14default_configELb0EPKsPsPKlPlN2at6native12_GLOBAL__N_18offset_tEEE10hipError_tPvRmT1_PNSt15iterator_traitsISY_E10value_typeET2_T3_PNSZ_IS14_E10value_typeET4_jRbjT5_S1A_jjP12ihipStream_tbEUljE_EEESV_SW_SX_S14_S18_S1A_T6_T7_T9_mT8_S1C_bDpT10_ENKUlT_T0_E_clISt17integral_constantIbLb1EES1P_EEDaS1K_S1L_EUlS1K_E_NS1_11comp_targetILNS1_3genE10ELNS1_11target_archE1200ELNS1_3gpuE4ELNS1_3repE0EEENS1_30default_config_static_selectorELNS0_4arch9wavefront6targetE0EEEvSY_.num_agpr, 0
	.set _ZN7rocprim17ROCPRIM_400000_NS6detail17trampoline_kernelINS0_13select_configILj256ELj13ELNS0_17block_load_methodE3ELS4_3ELS4_3ELNS0_20block_scan_algorithmE0ELj4294967295EEENS1_25partition_config_selectorILNS1_17partition_subalgoE3EjNS0_10empty_typeEbEEZZNS1_14partition_implILS8_3ELb0ES6_jNS0_17counting_iteratorIjlEEPS9_SE_NS0_5tupleIJPjSE_EEENSF_IJSE_SE_EEES9_SG_JZNS1_25segmented_radix_sort_implINS0_14default_configELb0EPKsPsPKlPlN2at6native12_GLOBAL__N_18offset_tEEE10hipError_tPvRmT1_PNSt15iterator_traitsISY_E10value_typeET2_T3_PNSZ_IS14_E10value_typeET4_jRbjT5_S1A_jjP12ihipStream_tbEUljE_EEESV_SW_SX_S14_S18_S1A_T6_T7_T9_mT8_S1C_bDpT10_ENKUlT_T0_E_clISt17integral_constantIbLb1EES1P_EEDaS1K_S1L_EUlS1K_E_NS1_11comp_targetILNS1_3genE10ELNS1_11target_archE1200ELNS1_3gpuE4ELNS1_3repE0EEENS1_30default_config_static_selectorELNS0_4arch9wavefront6targetE0EEEvSY_.numbered_sgpr, 0
	.set _ZN7rocprim17ROCPRIM_400000_NS6detail17trampoline_kernelINS0_13select_configILj256ELj13ELNS0_17block_load_methodE3ELS4_3ELS4_3ELNS0_20block_scan_algorithmE0ELj4294967295EEENS1_25partition_config_selectorILNS1_17partition_subalgoE3EjNS0_10empty_typeEbEEZZNS1_14partition_implILS8_3ELb0ES6_jNS0_17counting_iteratorIjlEEPS9_SE_NS0_5tupleIJPjSE_EEENSF_IJSE_SE_EEES9_SG_JZNS1_25segmented_radix_sort_implINS0_14default_configELb0EPKsPsPKlPlN2at6native12_GLOBAL__N_18offset_tEEE10hipError_tPvRmT1_PNSt15iterator_traitsISY_E10value_typeET2_T3_PNSZ_IS14_E10value_typeET4_jRbjT5_S1A_jjP12ihipStream_tbEUljE_EEESV_SW_SX_S14_S18_S1A_T6_T7_T9_mT8_S1C_bDpT10_ENKUlT_T0_E_clISt17integral_constantIbLb1EES1P_EEDaS1K_S1L_EUlS1K_E_NS1_11comp_targetILNS1_3genE10ELNS1_11target_archE1200ELNS1_3gpuE4ELNS1_3repE0EEENS1_30default_config_static_selectorELNS0_4arch9wavefront6targetE0EEEvSY_.num_named_barrier, 0
	.set _ZN7rocprim17ROCPRIM_400000_NS6detail17trampoline_kernelINS0_13select_configILj256ELj13ELNS0_17block_load_methodE3ELS4_3ELS4_3ELNS0_20block_scan_algorithmE0ELj4294967295EEENS1_25partition_config_selectorILNS1_17partition_subalgoE3EjNS0_10empty_typeEbEEZZNS1_14partition_implILS8_3ELb0ES6_jNS0_17counting_iteratorIjlEEPS9_SE_NS0_5tupleIJPjSE_EEENSF_IJSE_SE_EEES9_SG_JZNS1_25segmented_radix_sort_implINS0_14default_configELb0EPKsPsPKlPlN2at6native12_GLOBAL__N_18offset_tEEE10hipError_tPvRmT1_PNSt15iterator_traitsISY_E10value_typeET2_T3_PNSZ_IS14_E10value_typeET4_jRbjT5_S1A_jjP12ihipStream_tbEUljE_EEESV_SW_SX_S14_S18_S1A_T6_T7_T9_mT8_S1C_bDpT10_ENKUlT_T0_E_clISt17integral_constantIbLb1EES1P_EEDaS1K_S1L_EUlS1K_E_NS1_11comp_targetILNS1_3genE10ELNS1_11target_archE1200ELNS1_3gpuE4ELNS1_3repE0EEENS1_30default_config_static_selectorELNS0_4arch9wavefront6targetE0EEEvSY_.private_seg_size, 0
	.set _ZN7rocprim17ROCPRIM_400000_NS6detail17trampoline_kernelINS0_13select_configILj256ELj13ELNS0_17block_load_methodE3ELS4_3ELS4_3ELNS0_20block_scan_algorithmE0ELj4294967295EEENS1_25partition_config_selectorILNS1_17partition_subalgoE3EjNS0_10empty_typeEbEEZZNS1_14partition_implILS8_3ELb0ES6_jNS0_17counting_iteratorIjlEEPS9_SE_NS0_5tupleIJPjSE_EEENSF_IJSE_SE_EEES9_SG_JZNS1_25segmented_radix_sort_implINS0_14default_configELb0EPKsPsPKlPlN2at6native12_GLOBAL__N_18offset_tEEE10hipError_tPvRmT1_PNSt15iterator_traitsISY_E10value_typeET2_T3_PNSZ_IS14_E10value_typeET4_jRbjT5_S1A_jjP12ihipStream_tbEUljE_EEESV_SW_SX_S14_S18_S1A_T6_T7_T9_mT8_S1C_bDpT10_ENKUlT_T0_E_clISt17integral_constantIbLb1EES1P_EEDaS1K_S1L_EUlS1K_E_NS1_11comp_targetILNS1_3genE10ELNS1_11target_archE1200ELNS1_3gpuE4ELNS1_3repE0EEENS1_30default_config_static_selectorELNS0_4arch9wavefront6targetE0EEEvSY_.uses_vcc, 0
	.set _ZN7rocprim17ROCPRIM_400000_NS6detail17trampoline_kernelINS0_13select_configILj256ELj13ELNS0_17block_load_methodE3ELS4_3ELS4_3ELNS0_20block_scan_algorithmE0ELj4294967295EEENS1_25partition_config_selectorILNS1_17partition_subalgoE3EjNS0_10empty_typeEbEEZZNS1_14partition_implILS8_3ELb0ES6_jNS0_17counting_iteratorIjlEEPS9_SE_NS0_5tupleIJPjSE_EEENSF_IJSE_SE_EEES9_SG_JZNS1_25segmented_radix_sort_implINS0_14default_configELb0EPKsPsPKlPlN2at6native12_GLOBAL__N_18offset_tEEE10hipError_tPvRmT1_PNSt15iterator_traitsISY_E10value_typeET2_T3_PNSZ_IS14_E10value_typeET4_jRbjT5_S1A_jjP12ihipStream_tbEUljE_EEESV_SW_SX_S14_S18_S1A_T6_T7_T9_mT8_S1C_bDpT10_ENKUlT_T0_E_clISt17integral_constantIbLb1EES1P_EEDaS1K_S1L_EUlS1K_E_NS1_11comp_targetILNS1_3genE10ELNS1_11target_archE1200ELNS1_3gpuE4ELNS1_3repE0EEENS1_30default_config_static_selectorELNS0_4arch9wavefront6targetE0EEEvSY_.uses_flat_scratch, 0
	.set _ZN7rocprim17ROCPRIM_400000_NS6detail17trampoline_kernelINS0_13select_configILj256ELj13ELNS0_17block_load_methodE3ELS4_3ELS4_3ELNS0_20block_scan_algorithmE0ELj4294967295EEENS1_25partition_config_selectorILNS1_17partition_subalgoE3EjNS0_10empty_typeEbEEZZNS1_14partition_implILS8_3ELb0ES6_jNS0_17counting_iteratorIjlEEPS9_SE_NS0_5tupleIJPjSE_EEENSF_IJSE_SE_EEES9_SG_JZNS1_25segmented_radix_sort_implINS0_14default_configELb0EPKsPsPKlPlN2at6native12_GLOBAL__N_18offset_tEEE10hipError_tPvRmT1_PNSt15iterator_traitsISY_E10value_typeET2_T3_PNSZ_IS14_E10value_typeET4_jRbjT5_S1A_jjP12ihipStream_tbEUljE_EEESV_SW_SX_S14_S18_S1A_T6_T7_T9_mT8_S1C_bDpT10_ENKUlT_T0_E_clISt17integral_constantIbLb1EES1P_EEDaS1K_S1L_EUlS1K_E_NS1_11comp_targetILNS1_3genE10ELNS1_11target_archE1200ELNS1_3gpuE4ELNS1_3repE0EEENS1_30default_config_static_selectorELNS0_4arch9wavefront6targetE0EEEvSY_.has_dyn_sized_stack, 0
	.set _ZN7rocprim17ROCPRIM_400000_NS6detail17trampoline_kernelINS0_13select_configILj256ELj13ELNS0_17block_load_methodE3ELS4_3ELS4_3ELNS0_20block_scan_algorithmE0ELj4294967295EEENS1_25partition_config_selectorILNS1_17partition_subalgoE3EjNS0_10empty_typeEbEEZZNS1_14partition_implILS8_3ELb0ES6_jNS0_17counting_iteratorIjlEEPS9_SE_NS0_5tupleIJPjSE_EEENSF_IJSE_SE_EEES9_SG_JZNS1_25segmented_radix_sort_implINS0_14default_configELb0EPKsPsPKlPlN2at6native12_GLOBAL__N_18offset_tEEE10hipError_tPvRmT1_PNSt15iterator_traitsISY_E10value_typeET2_T3_PNSZ_IS14_E10value_typeET4_jRbjT5_S1A_jjP12ihipStream_tbEUljE_EEESV_SW_SX_S14_S18_S1A_T6_T7_T9_mT8_S1C_bDpT10_ENKUlT_T0_E_clISt17integral_constantIbLb1EES1P_EEDaS1K_S1L_EUlS1K_E_NS1_11comp_targetILNS1_3genE10ELNS1_11target_archE1200ELNS1_3gpuE4ELNS1_3repE0EEENS1_30default_config_static_selectorELNS0_4arch9wavefront6targetE0EEEvSY_.has_recursion, 0
	.set _ZN7rocprim17ROCPRIM_400000_NS6detail17trampoline_kernelINS0_13select_configILj256ELj13ELNS0_17block_load_methodE3ELS4_3ELS4_3ELNS0_20block_scan_algorithmE0ELj4294967295EEENS1_25partition_config_selectorILNS1_17partition_subalgoE3EjNS0_10empty_typeEbEEZZNS1_14partition_implILS8_3ELb0ES6_jNS0_17counting_iteratorIjlEEPS9_SE_NS0_5tupleIJPjSE_EEENSF_IJSE_SE_EEES9_SG_JZNS1_25segmented_radix_sort_implINS0_14default_configELb0EPKsPsPKlPlN2at6native12_GLOBAL__N_18offset_tEEE10hipError_tPvRmT1_PNSt15iterator_traitsISY_E10value_typeET2_T3_PNSZ_IS14_E10value_typeET4_jRbjT5_S1A_jjP12ihipStream_tbEUljE_EEESV_SW_SX_S14_S18_S1A_T6_T7_T9_mT8_S1C_bDpT10_ENKUlT_T0_E_clISt17integral_constantIbLb1EES1P_EEDaS1K_S1L_EUlS1K_E_NS1_11comp_targetILNS1_3genE10ELNS1_11target_archE1200ELNS1_3gpuE4ELNS1_3repE0EEENS1_30default_config_static_selectorELNS0_4arch9wavefront6targetE0EEEvSY_.has_indirect_call, 0
	.section	.AMDGPU.csdata,"",@progbits
; Kernel info:
; codeLenInByte = 4
; TotalNumSgprs: 0
; NumVgprs: 0
; ScratchSize: 0
; MemoryBound: 0
; FloatMode: 240
; IeeeMode: 1
; LDSByteSize: 0 bytes/workgroup (compile time only)
; SGPRBlocks: 0
; VGPRBlocks: 0
; NumSGPRsForWavesPerEU: 1
; NumVGPRsForWavesPerEU: 1
; Occupancy: 16
; WaveLimiterHint : 0
; COMPUTE_PGM_RSRC2:SCRATCH_EN: 0
; COMPUTE_PGM_RSRC2:USER_SGPR: 2
; COMPUTE_PGM_RSRC2:TRAP_HANDLER: 0
; COMPUTE_PGM_RSRC2:TGID_X_EN: 1
; COMPUTE_PGM_RSRC2:TGID_Y_EN: 0
; COMPUTE_PGM_RSRC2:TGID_Z_EN: 0
; COMPUTE_PGM_RSRC2:TIDIG_COMP_CNT: 0
	.section	.text._ZN7rocprim17ROCPRIM_400000_NS6detail17trampoline_kernelINS0_13select_configILj256ELj13ELNS0_17block_load_methodE3ELS4_3ELS4_3ELNS0_20block_scan_algorithmE0ELj4294967295EEENS1_25partition_config_selectorILNS1_17partition_subalgoE3EjNS0_10empty_typeEbEEZZNS1_14partition_implILS8_3ELb0ES6_jNS0_17counting_iteratorIjlEEPS9_SE_NS0_5tupleIJPjSE_EEENSF_IJSE_SE_EEES9_SG_JZNS1_25segmented_radix_sort_implINS0_14default_configELb0EPKsPsPKlPlN2at6native12_GLOBAL__N_18offset_tEEE10hipError_tPvRmT1_PNSt15iterator_traitsISY_E10value_typeET2_T3_PNSZ_IS14_E10value_typeET4_jRbjT5_S1A_jjP12ihipStream_tbEUljE_EEESV_SW_SX_S14_S18_S1A_T6_T7_T9_mT8_S1C_bDpT10_ENKUlT_T0_E_clISt17integral_constantIbLb1EES1P_EEDaS1K_S1L_EUlS1K_E_NS1_11comp_targetILNS1_3genE9ELNS1_11target_archE1100ELNS1_3gpuE3ELNS1_3repE0EEENS1_30default_config_static_selectorELNS0_4arch9wavefront6targetE0EEEvSY_,"axG",@progbits,_ZN7rocprim17ROCPRIM_400000_NS6detail17trampoline_kernelINS0_13select_configILj256ELj13ELNS0_17block_load_methodE3ELS4_3ELS4_3ELNS0_20block_scan_algorithmE0ELj4294967295EEENS1_25partition_config_selectorILNS1_17partition_subalgoE3EjNS0_10empty_typeEbEEZZNS1_14partition_implILS8_3ELb0ES6_jNS0_17counting_iteratorIjlEEPS9_SE_NS0_5tupleIJPjSE_EEENSF_IJSE_SE_EEES9_SG_JZNS1_25segmented_radix_sort_implINS0_14default_configELb0EPKsPsPKlPlN2at6native12_GLOBAL__N_18offset_tEEE10hipError_tPvRmT1_PNSt15iterator_traitsISY_E10value_typeET2_T3_PNSZ_IS14_E10value_typeET4_jRbjT5_S1A_jjP12ihipStream_tbEUljE_EEESV_SW_SX_S14_S18_S1A_T6_T7_T9_mT8_S1C_bDpT10_ENKUlT_T0_E_clISt17integral_constantIbLb1EES1P_EEDaS1K_S1L_EUlS1K_E_NS1_11comp_targetILNS1_3genE9ELNS1_11target_archE1100ELNS1_3gpuE3ELNS1_3repE0EEENS1_30default_config_static_selectorELNS0_4arch9wavefront6targetE0EEEvSY_,comdat
	.globl	_ZN7rocprim17ROCPRIM_400000_NS6detail17trampoline_kernelINS0_13select_configILj256ELj13ELNS0_17block_load_methodE3ELS4_3ELS4_3ELNS0_20block_scan_algorithmE0ELj4294967295EEENS1_25partition_config_selectorILNS1_17partition_subalgoE3EjNS0_10empty_typeEbEEZZNS1_14partition_implILS8_3ELb0ES6_jNS0_17counting_iteratorIjlEEPS9_SE_NS0_5tupleIJPjSE_EEENSF_IJSE_SE_EEES9_SG_JZNS1_25segmented_radix_sort_implINS0_14default_configELb0EPKsPsPKlPlN2at6native12_GLOBAL__N_18offset_tEEE10hipError_tPvRmT1_PNSt15iterator_traitsISY_E10value_typeET2_T3_PNSZ_IS14_E10value_typeET4_jRbjT5_S1A_jjP12ihipStream_tbEUljE_EEESV_SW_SX_S14_S18_S1A_T6_T7_T9_mT8_S1C_bDpT10_ENKUlT_T0_E_clISt17integral_constantIbLb1EES1P_EEDaS1K_S1L_EUlS1K_E_NS1_11comp_targetILNS1_3genE9ELNS1_11target_archE1100ELNS1_3gpuE3ELNS1_3repE0EEENS1_30default_config_static_selectorELNS0_4arch9wavefront6targetE0EEEvSY_ ; -- Begin function _ZN7rocprim17ROCPRIM_400000_NS6detail17trampoline_kernelINS0_13select_configILj256ELj13ELNS0_17block_load_methodE3ELS4_3ELS4_3ELNS0_20block_scan_algorithmE0ELj4294967295EEENS1_25partition_config_selectorILNS1_17partition_subalgoE3EjNS0_10empty_typeEbEEZZNS1_14partition_implILS8_3ELb0ES6_jNS0_17counting_iteratorIjlEEPS9_SE_NS0_5tupleIJPjSE_EEENSF_IJSE_SE_EEES9_SG_JZNS1_25segmented_radix_sort_implINS0_14default_configELb0EPKsPsPKlPlN2at6native12_GLOBAL__N_18offset_tEEE10hipError_tPvRmT1_PNSt15iterator_traitsISY_E10value_typeET2_T3_PNSZ_IS14_E10value_typeET4_jRbjT5_S1A_jjP12ihipStream_tbEUljE_EEESV_SW_SX_S14_S18_S1A_T6_T7_T9_mT8_S1C_bDpT10_ENKUlT_T0_E_clISt17integral_constantIbLb1EES1P_EEDaS1K_S1L_EUlS1K_E_NS1_11comp_targetILNS1_3genE9ELNS1_11target_archE1100ELNS1_3gpuE3ELNS1_3repE0EEENS1_30default_config_static_selectorELNS0_4arch9wavefront6targetE0EEEvSY_
	.p2align	8
	.type	_ZN7rocprim17ROCPRIM_400000_NS6detail17trampoline_kernelINS0_13select_configILj256ELj13ELNS0_17block_load_methodE3ELS4_3ELS4_3ELNS0_20block_scan_algorithmE0ELj4294967295EEENS1_25partition_config_selectorILNS1_17partition_subalgoE3EjNS0_10empty_typeEbEEZZNS1_14partition_implILS8_3ELb0ES6_jNS0_17counting_iteratorIjlEEPS9_SE_NS0_5tupleIJPjSE_EEENSF_IJSE_SE_EEES9_SG_JZNS1_25segmented_radix_sort_implINS0_14default_configELb0EPKsPsPKlPlN2at6native12_GLOBAL__N_18offset_tEEE10hipError_tPvRmT1_PNSt15iterator_traitsISY_E10value_typeET2_T3_PNSZ_IS14_E10value_typeET4_jRbjT5_S1A_jjP12ihipStream_tbEUljE_EEESV_SW_SX_S14_S18_S1A_T6_T7_T9_mT8_S1C_bDpT10_ENKUlT_T0_E_clISt17integral_constantIbLb1EES1P_EEDaS1K_S1L_EUlS1K_E_NS1_11comp_targetILNS1_3genE9ELNS1_11target_archE1100ELNS1_3gpuE3ELNS1_3repE0EEENS1_30default_config_static_selectorELNS0_4arch9wavefront6targetE0EEEvSY_,@function
_ZN7rocprim17ROCPRIM_400000_NS6detail17trampoline_kernelINS0_13select_configILj256ELj13ELNS0_17block_load_methodE3ELS4_3ELS4_3ELNS0_20block_scan_algorithmE0ELj4294967295EEENS1_25partition_config_selectorILNS1_17partition_subalgoE3EjNS0_10empty_typeEbEEZZNS1_14partition_implILS8_3ELb0ES6_jNS0_17counting_iteratorIjlEEPS9_SE_NS0_5tupleIJPjSE_EEENSF_IJSE_SE_EEES9_SG_JZNS1_25segmented_radix_sort_implINS0_14default_configELb0EPKsPsPKlPlN2at6native12_GLOBAL__N_18offset_tEEE10hipError_tPvRmT1_PNSt15iterator_traitsISY_E10value_typeET2_T3_PNSZ_IS14_E10value_typeET4_jRbjT5_S1A_jjP12ihipStream_tbEUljE_EEESV_SW_SX_S14_S18_S1A_T6_T7_T9_mT8_S1C_bDpT10_ENKUlT_T0_E_clISt17integral_constantIbLb1EES1P_EEDaS1K_S1L_EUlS1K_E_NS1_11comp_targetILNS1_3genE9ELNS1_11target_archE1100ELNS1_3gpuE3ELNS1_3repE0EEENS1_30default_config_static_selectorELNS0_4arch9wavefront6targetE0EEEvSY_: ; @_ZN7rocprim17ROCPRIM_400000_NS6detail17trampoline_kernelINS0_13select_configILj256ELj13ELNS0_17block_load_methodE3ELS4_3ELS4_3ELNS0_20block_scan_algorithmE0ELj4294967295EEENS1_25partition_config_selectorILNS1_17partition_subalgoE3EjNS0_10empty_typeEbEEZZNS1_14partition_implILS8_3ELb0ES6_jNS0_17counting_iteratorIjlEEPS9_SE_NS0_5tupleIJPjSE_EEENSF_IJSE_SE_EEES9_SG_JZNS1_25segmented_radix_sort_implINS0_14default_configELb0EPKsPsPKlPlN2at6native12_GLOBAL__N_18offset_tEEE10hipError_tPvRmT1_PNSt15iterator_traitsISY_E10value_typeET2_T3_PNSZ_IS14_E10value_typeET4_jRbjT5_S1A_jjP12ihipStream_tbEUljE_EEESV_SW_SX_S14_S18_S1A_T6_T7_T9_mT8_S1C_bDpT10_ENKUlT_T0_E_clISt17integral_constantIbLb1EES1P_EEDaS1K_S1L_EUlS1K_E_NS1_11comp_targetILNS1_3genE9ELNS1_11target_archE1100ELNS1_3gpuE3ELNS1_3repE0EEENS1_30default_config_static_selectorELNS0_4arch9wavefront6targetE0EEEvSY_
; %bb.0:
	.section	.rodata,"a",@progbits
	.p2align	6, 0x0
	.amdhsa_kernel _ZN7rocprim17ROCPRIM_400000_NS6detail17trampoline_kernelINS0_13select_configILj256ELj13ELNS0_17block_load_methodE3ELS4_3ELS4_3ELNS0_20block_scan_algorithmE0ELj4294967295EEENS1_25partition_config_selectorILNS1_17partition_subalgoE3EjNS0_10empty_typeEbEEZZNS1_14partition_implILS8_3ELb0ES6_jNS0_17counting_iteratorIjlEEPS9_SE_NS0_5tupleIJPjSE_EEENSF_IJSE_SE_EEES9_SG_JZNS1_25segmented_radix_sort_implINS0_14default_configELb0EPKsPsPKlPlN2at6native12_GLOBAL__N_18offset_tEEE10hipError_tPvRmT1_PNSt15iterator_traitsISY_E10value_typeET2_T3_PNSZ_IS14_E10value_typeET4_jRbjT5_S1A_jjP12ihipStream_tbEUljE_EEESV_SW_SX_S14_S18_S1A_T6_T7_T9_mT8_S1C_bDpT10_ENKUlT_T0_E_clISt17integral_constantIbLb1EES1P_EEDaS1K_S1L_EUlS1K_E_NS1_11comp_targetILNS1_3genE9ELNS1_11target_archE1100ELNS1_3gpuE3ELNS1_3repE0EEENS1_30default_config_static_selectorELNS0_4arch9wavefront6targetE0EEEvSY_
		.amdhsa_group_segment_fixed_size 0
		.amdhsa_private_segment_fixed_size 0
		.amdhsa_kernarg_size 152
		.amdhsa_user_sgpr_count 2
		.amdhsa_user_sgpr_dispatch_ptr 0
		.amdhsa_user_sgpr_queue_ptr 0
		.amdhsa_user_sgpr_kernarg_segment_ptr 1
		.amdhsa_user_sgpr_dispatch_id 0
		.amdhsa_user_sgpr_private_segment_size 0
		.amdhsa_wavefront_size32 1
		.amdhsa_uses_dynamic_stack 0
		.amdhsa_enable_private_segment 0
		.amdhsa_system_sgpr_workgroup_id_x 1
		.amdhsa_system_sgpr_workgroup_id_y 0
		.amdhsa_system_sgpr_workgroup_id_z 0
		.amdhsa_system_sgpr_workgroup_info 0
		.amdhsa_system_vgpr_workitem_id 0
		.amdhsa_next_free_vgpr 1
		.amdhsa_next_free_sgpr 1
		.amdhsa_reserve_vcc 0
		.amdhsa_float_round_mode_32 0
		.amdhsa_float_round_mode_16_64 0
		.amdhsa_float_denorm_mode_32 3
		.amdhsa_float_denorm_mode_16_64 3
		.amdhsa_fp16_overflow 0
		.amdhsa_workgroup_processor_mode 1
		.amdhsa_memory_ordered 1
		.amdhsa_forward_progress 1
		.amdhsa_inst_pref_size 0
		.amdhsa_round_robin_scheduling 0
		.amdhsa_exception_fp_ieee_invalid_op 0
		.amdhsa_exception_fp_denorm_src 0
		.amdhsa_exception_fp_ieee_div_zero 0
		.amdhsa_exception_fp_ieee_overflow 0
		.amdhsa_exception_fp_ieee_underflow 0
		.amdhsa_exception_fp_ieee_inexact 0
		.amdhsa_exception_int_div_zero 0
	.end_amdhsa_kernel
	.section	.text._ZN7rocprim17ROCPRIM_400000_NS6detail17trampoline_kernelINS0_13select_configILj256ELj13ELNS0_17block_load_methodE3ELS4_3ELS4_3ELNS0_20block_scan_algorithmE0ELj4294967295EEENS1_25partition_config_selectorILNS1_17partition_subalgoE3EjNS0_10empty_typeEbEEZZNS1_14partition_implILS8_3ELb0ES6_jNS0_17counting_iteratorIjlEEPS9_SE_NS0_5tupleIJPjSE_EEENSF_IJSE_SE_EEES9_SG_JZNS1_25segmented_radix_sort_implINS0_14default_configELb0EPKsPsPKlPlN2at6native12_GLOBAL__N_18offset_tEEE10hipError_tPvRmT1_PNSt15iterator_traitsISY_E10value_typeET2_T3_PNSZ_IS14_E10value_typeET4_jRbjT5_S1A_jjP12ihipStream_tbEUljE_EEESV_SW_SX_S14_S18_S1A_T6_T7_T9_mT8_S1C_bDpT10_ENKUlT_T0_E_clISt17integral_constantIbLb1EES1P_EEDaS1K_S1L_EUlS1K_E_NS1_11comp_targetILNS1_3genE9ELNS1_11target_archE1100ELNS1_3gpuE3ELNS1_3repE0EEENS1_30default_config_static_selectorELNS0_4arch9wavefront6targetE0EEEvSY_,"axG",@progbits,_ZN7rocprim17ROCPRIM_400000_NS6detail17trampoline_kernelINS0_13select_configILj256ELj13ELNS0_17block_load_methodE3ELS4_3ELS4_3ELNS0_20block_scan_algorithmE0ELj4294967295EEENS1_25partition_config_selectorILNS1_17partition_subalgoE3EjNS0_10empty_typeEbEEZZNS1_14partition_implILS8_3ELb0ES6_jNS0_17counting_iteratorIjlEEPS9_SE_NS0_5tupleIJPjSE_EEENSF_IJSE_SE_EEES9_SG_JZNS1_25segmented_radix_sort_implINS0_14default_configELb0EPKsPsPKlPlN2at6native12_GLOBAL__N_18offset_tEEE10hipError_tPvRmT1_PNSt15iterator_traitsISY_E10value_typeET2_T3_PNSZ_IS14_E10value_typeET4_jRbjT5_S1A_jjP12ihipStream_tbEUljE_EEESV_SW_SX_S14_S18_S1A_T6_T7_T9_mT8_S1C_bDpT10_ENKUlT_T0_E_clISt17integral_constantIbLb1EES1P_EEDaS1K_S1L_EUlS1K_E_NS1_11comp_targetILNS1_3genE9ELNS1_11target_archE1100ELNS1_3gpuE3ELNS1_3repE0EEENS1_30default_config_static_selectorELNS0_4arch9wavefront6targetE0EEEvSY_,comdat
.Lfunc_end996:
	.size	_ZN7rocprim17ROCPRIM_400000_NS6detail17trampoline_kernelINS0_13select_configILj256ELj13ELNS0_17block_load_methodE3ELS4_3ELS4_3ELNS0_20block_scan_algorithmE0ELj4294967295EEENS1_25partition_config_selectorILNS1_17partition_subalgoE3EjNS0_10empty_typeEbEEZZNS1_14partition_implILS8_3ELb0ES6_jNS0_17counting_iteratorIjlEEPS9_SE_NS0_5tupleIJPjSE_EEENSF_IJSE_SE_EEES9_SG_JZNS1_25segmented_radix_sort_implINS0_14default_configELb0EPKsPsPKlPlN2at6native12_GLOBAL__N_18offset_tEEE10hipError_tPvRmT1_PNSt15iterator_traitsISY_E10value_typeET2_T3_PNSZ_IS14_E10value_typeET4_jRbjT5_S1A_jjP12ihipStream_tbEUljE_EEESV_SW_SX_S14_S18_S1A_T6_T7_T9_mT8_S1C_bDpT10_ENKUlT_T0_E_clISt17integral_constantIbLb1EES1P_EEDaS1K_S1L_EUlS1K_E_NS1_11comp_targetILNS1_3genE9ELNS1_11target_archE1100ELNS1_3gpuE3ELNS1_3repE0EEENS1_30default_config_static_selectorELNS0_4arch9wavefront6targetE0EEEvSY_, .Lfunc_end996-_ZN7rocprim17ROCPRIM_400000_NS6detail17trampoline_kernelINS0_13select_configILj256ELj13ELNS0_17block_load_methodE3ELS4_3ELS4_3ELNS0_20block_scan_algorithmE0ELj4294967295EEENS1_25partition_config_selectorILNS1_17partition_subalgoE3EjNS0_10empty_typeEbEEZZNS1_14partition_implILS8_3ELb0ES6_jNS0_17counting_iteratorIjlEEPS9_SE_NS0_5tupleIJPjSE_EEENSF_IJSE_SE_EEES9_SG_JZNS1_25segmented_radix_sort_implINS0_14default_configELb0EPKsPsPKlPlN2at6native12_GLOBAL__N_18offset_tEEE10hipError_tPvRmT1_PNSt15iterator_traitsISY_E10value_typeET2_T3_PNSZ_IS14_E10value_typeET4_jRbjT5_S1A_jjP12ihipStream_tbEUljE_EEESV_SW_SX_S14_S18_S1A_T6_T7_T9_mT8_S1C_bDpT10_ENKUlT_T0_E_clISt17integral_constantIbLb1EES1P_EEDaS1K_S1L_EUlS1K_E_NS1_11comp_targetILNS1_3genE9ELNS1_11target_archE1100ELNS1_3gpuE3ELNS1_3repE0EEENS1_30default_config_static_selectorELNS0_4arch9wavefront6targetE0EEEvSY_
                                        ; -- End function
	.set _ZN7rocprim17ROCPRIM_400000_NS6detail17trampoline_kernelINS0_13select_configILj256ELj13ELNS0_17block_load_methodE3ELS4_3ELS4_3ELNS0_20block_scan_algorithmE0ELj4294967295EEENS1_25partition_config_selectorILNS1_17partition_subalgoE3EjNS0_10empty_typeEbEEZZNS1_14partition_implILS8_3ELb0ES6_jNS0_17counting_iteratorIjlEEPS9_SE_NS0_5tupleIJPjSE_EEENSF_IJSE_SE_EEES9_SG_JZNS1_25segmented_radix_sort_implINS0_14default_configELb0EPKsPsPKlPlN2at6native12_GLOBAL__N_18offset_tEEE10hipError_tPvRmT1_PNSt15iterator_traitsISY_E10value_typeET2_T3_PNSZ_IS14_E10value_typeET4_jRbjT5_S1A_jjP12ihipStream_tbEUljE_EEESV_SW_SX_S14_S18_S1A_T6_T7_T9_mT8_S1C_bDpT10_ENKUlT_T0_E_clISt17integral_constantIbLb1EES1P_EEDaS1K_S1L_EUlS1K_E_NS1_11comp_targetILNS1_3genE9ELNS1_11target_archE1100ELNS1_3gpuE3ELNS1_3repE0EEENS1_30default_config_static_selectorELNS0_4arch9wavefront6targetE0EEEvSY_.num_vgpr, 0
	.set _ZN7rocprim17ROCPRIM_400000_NS6detail17trampoline_kernelINS0_13select_configILj256ELj13ELNS0_17block_load_methodE3ELS4_3ELS4_3ELNS0_20block_scan_algorithmE0ELj4294967295EEENS1_25partition_config_selectorILNS1_17partition_subalgoE3EjNS0_10empty_typeEbEEZZNS1_14partition_implILS8_3ELb0ES6_jNS0_17counting_iteratorIjlEEPS9_SE_NS0_5tupleIJPjSE_EEENSF_IJSE_SE_EEES9_SG_JZNS1_25segmented_radix_sort_implINS0_14default_configELb0EPKsPsPKlPlN2at6native12_GLOBAL__N_18offset_tEEE10hipError_tPvRmT1_PNSt15iterator_traitsISY_E10value_typeET2_T3_PNSZ_IS14_E10value_typeET4_jRbjT5_S1A_jjP12ihipStream_tbEUljE_EEESV_SW_SX_S14_S18_S1A_T6_T7_T9_mT8_S1C_bDpT10_ENKUlT_T0_E_clISt17integral_constantIbLb1EES1P_EEDaS1K_S1L_EUlS1K_E_NS1_11comp_targetILNS1_3genE9ELNS1_11target_archE1100ELNS1_3gpuE3ELNS1_3repE0EEENS1_30default_config_static_selectorELNS0_4arch9wavefront6targetE0EEEvSY_.num_agpr, 0
	.set _ZN7rocprim17ROCPRIM_400000_NS6detail17trampoline_kernelINS0_13select_configILj256ELj13ELNS0_17block_load_methodE3ELS4_3ELS4_3ELNS0_20block_scan_algorithmE0ELj4294967295EEENS1_25partition_config_selectorILNS1_17partition_subalgoE3EjNS0_10empty_typeEbEEZZNS1_14partition_implILS8_3ELb0ES6_jNS0_17counting_iteratorIjlEEPS9_SE_NS0_5tupleIJPjSE_EEENSF_IJSE_SE_EEES9_SG_JZNS1_25segmented_radix_sort_implINS0_14default_configELb0EPKsPsPKlPlN2at6native12_GLOBAL__N_18offset_tEEE10hipError_tPvRmT1_PNSt15iterator_traitsISY_E10value_typeET2_T3_PNSZ_IS14_E10value_typeET4_jRbjT5_S1A_jjP12ihipStream_tbEUljE_EEESV_SW_SX_S14_S18_S1A_T6_T7_T9_mT8_S1C_bDpT10_ENKUlT_T0_E_clISt17integral_constantIbLb1EES1P_EEDaS1K_S1L_EUlS1K_E_NS1_11comp_targetILNS1_3genE9ELNS1_11target_archE1100ELNS1_3gpuE3ELNS1_3repE0EEENS1_30default_config_static_selectorELNS0_4arch9wavefront6targetE0EEEvSY_.numbered_sgpr, 0
	.set _ZN7rocprim17ROCPRIM_400000_NS6detail17trampoline_kernelINS0_13select_configILj256ELj13ELNS0_17block_load_methodE3ELS4_3ELS4_3ELNS0_20block_scan_algorithmE0ELj4294967295EEENS1_25partition_config_selectorILNS1_17partition_subalgoE3EjNS0_10empty_typeEbEEZZNS1_14partition_implILS8_3ELb0ES6_jNS0_17counting_iteratorIjlEEPS9_SE_NS0_5tupleIJPjSE_EEENSF_IJSE_SE_EEES9_SG_JZNS1_25segmented_radix_sort_implINS0_14default_configELb0EPKsPsPKlPlN2at6native12_GLOBAL__N_18offset_tEEE10hipError_tPvRmT1_PNSt15iterator_traitsISY_E10value_typeET2_T3_PNSZ_IS14_E10value_typeET4_jRbjT5_S1A_jjP12ihipStream_tbEUljE_EEESV_SW_SX_S14_S18_S1A_T6_T7_T9_mT8_S1C_bDpT10_ENKUlT_T0_E_clISt17integral_constantIbLb1EES1P_EEDaS1K_S1L_EUlS1K_E_NS1_11comp_targetILNS1_3genE9ELNS1_11target_archE1100ELNS1_3gpuE3ELNS1_3repE0EEENS1_30default_config_static_selectorELNS0_4arch9wavefront6targetE0EEEvSY_.num_named_barrier, 0
	.set _ZN7rocprim17ROCPRIM_400000_NS6detail17trampoline_kernelINS0_13select_configILj256ELj13ELNS0_17block_load_methodE3ELS4_3ELS4_3ELNS0_20block_scan_algorithmE0ELj4294967295EEENS1_25partition_config_selectorILNS1_17partition_subalgoE3EjNS0_10empty_typeEbEEZZNS1_14partition_implILS8_3ELb0ES6_jNS0_17counting_iteratorIjlEEPS9_SE_NS0_5tupleIJPjSE_EEENSF_IJSE_SE_EEES9_SG_JZNS1_25segmented_radix_sort_implINS0_14default_configELb0EPKsPsPKlPlN2at6native12_GLOBAL__N_18offset_tEEE10hipError_tPvRmT1_PNSt15iterator_traitsISY_E10value_typeET2_T3_PNSZ_IS14_E10value_typeET4_jRbjT5_S1A_jjP12ihipStream_tbEUljE_EEESV_SW_SX_S14_S18_S1A_T6_T7_T9_mT8_S1C_bDpT10_ENKUlT_T0_E_clISt17integral_constantIbLb1EES1P_EEDaS1K_S1L_EUlS1K_E_NS1_11comp_targetILNS1_3genE9ELNS1_11target_archE1100ELNS1_3gpuE3ELNS1_3repE0EEENS1_30default_config_static_selectorELNS0_4arch9wavefront6targetE0EEEvSY_.private_seg_size, 0
	.set _ZN7rocprim17ROCPRIM_400000_NS6detail17trampoline_kernelINS0_13select_configILj256ELj13ELNS0_17block_load_methodE3ELS4_3ELS4_3ELNS0_20block_scan_algorithmE0ELj4294967295EEENS1_25partition_config_selectorILNS1_17partition_subalgoE3EjNS0_10empty_typeEbEEZZNS1_14partition_implILS8_3ELb0ES6_jNS0_17counting_iteratorIjlEEPS9_SE_NS0_5tupleIJPjSE_EEENSF_IJSE_SE_EEES9_SG_JZNS1_25segmented_radix_sort_implINS0_14default_configELb0EPKsPsPKlPlN2at6native12_GLOBAL__N_18offset_tEEE10hipError_tPvRmT1_PNSt15iterator_traitsISY_E10value_typeET2_T3_PNSZ_IS14_E10value_typeET4_jRbjT5_S1A_jjP12ihipStream_tbEUljE_EEESV_SW_SX_S14_S18_S1A_T6_T7_T9_mT8_S1C_bDpT10_ENKUlT_T0_E_clISt17integral_constantIbLb1EES1P_EEDaS1K_S1L_EUlS1K_E_NS1_11comp_targetILNS1_3genE9ELNS1_11target_archE1100ELNS1_3gpuE3ELNS1_3repE0EEENS1_30default_config_static_selectorELNS0_4arch9wavefront6targetE0EEEvSY_.uses_vcc, 0
	.set _ZN7rocprim17ROCPRIM_400000_NS6detail17trampoline_kernelINS0_13select_configILj256ELj13ELNS0_17block_load_methodE3ELS4_3ELS4_3ELNS0_20block_scan_algorithmE0ELj4294967295EEENS1_25partition_config_selectorILNS1_17partition_subalgoE3EjNS0_10empty_typeEbEEZZNS1_14partition_implILS8_3ELb0ES6_jNS0_17counting_iteratorIjlEEPS9_SE_NS0_5tupleIJPjSE_EEENSF_IJSE_SE_EEES9_SG_JZNS1_25segmented_radix_sort_implINS0_14default_configELb0EPKsPsPKlPlN2at6native12_GLOBAL__N_18offset_tEEE10hipError_tPvRmT1_PNSt15iterator_traitsISY_E10value_typeET2_T3_PNSZ_IS14_E10value_typeET4_jRbjT5_S1A_jjP12ihipStream_tbEUljE_EEESV_SW_SX_S14_S18_S1A_T6_T7_T9_mT8_S1C_bDpT10_ENKUlT_T0_E_clISt17integral_constantIbLb1EES1P_EEDaS1K_S1L_EUlS1K_E_NS1_11comp_targetILNS1_3genE9ELNS1_11target_archE1100ELNS1_3gpuE3ELNS1_3repE0EEENS1_30default_config_static_selectorELNS0_4arch9wavefront6targetE0EEEvSY_.uses_flat_scratch, 0
	.set _ZN7rocprim17ROCPRIM_400000_NS6detail17trampoline_kernelINS0_13select_configILj256ELj13ELNS0_17block_load_methodE3ELS4_3ELS4_3ELNS0_20block_scan_algorithmE0ELj4294967295EEENS1_25partition_config_selectorILNS1_17partition_subalgoE3EjNS0_10empty_typeEbEEZZNS1_14partition_implILS8_3ELb0ES6_jNS0_17counting_iteratorIjlEEPS9_SE_NS0_5tupleIJPjSE_EEENSF_IJSE_SE_EEES9_SG_JZNS1_25segmented_radix_sort_implINS0_14default_configELb0EPKsPsPKlPlN2at6native12_GLOBAL__N_18offset_tEEE10hipError_tPvRmT1_PNSt15iterator_traitsISY_E10value_typeET2_T3_PNSZ_IS14_E10value_typeET4_jRbjT5_S1A_jjP12ihipStream_tbEUljE_EEESV_SW_SX_S14_S18_S1A_T6_T7_T9_mT8_S1C_bDpT10_ENKUlT_T0_E_clISt17integral_constantIbLb1EES1P_EEDaS1K_S1L_EUlS1K_E_NS1_11comp_targetILNS1_3genE9ELNS1_11target_archE1100ELNS1_3gpuE3ELNS1_3repE0EEENS1_30default_config_static_selectorELNS0_4arch9wavefront6targetE0EEEvSY_.has_dyn_sized_stack, 0
	.set _ZN7rocprim17ROCPRIM_400000_NS6detail17trampoline_kernelINS0_13select_configILj256ELj13ELNS0_17block_load_methodE3ELS4_3ELS4_3ELNS0_20block_scan_algorithmE0ELj4294967295EEENS1_25partition_config_selectorILNS1_17partition_subalgoE3EjNS0_10empty_typeEbEEZZNS1_14partition_implILS8_3ELb0ES6_jNS0_17counting_iteratorIjlEEPS9_SE_NS0_5tupleIJPjSE_EEENSF_IJSE_SE_EEES9_SG_JZNS1_25segmented_radix_sort_implINS0_14default_configELb0EPKsPsPKlPlN2at6native12_GLOBAL__N_18offset_tEEE10hipError_tPvRmT1_PNSt15iterator_traitsISY_E10value_typeET2_T3_PNSZ_IS14_E10value_typeET4_jRbjT5_S1A_jjP12ihipStream_tbEUljE_EEESV_SW_SX_S14_S18_S1A_T6_T7_T9_mT8_S1C_bDpT10_ENKUlT_T0_E_clISt17integral_constantIbLb1EES1P_EEDaS1K_S1L_EUlS1K_E_NS1_11comp_targetILNS1_3genE9ELNS1_11target_archE1100ELNS1_3gpuE3ELNS1_3repE0EEENS1_30default_config_static_selectorELNS0_4arch9wavefront6targetE0EEEvSY_.has_recursion, 0
	.set _ZN7rocprim17ROCPRIM_400000_NS6detail17trampoline_kernelINS0_13select_configILj256ELj13ELNS0_17block_load_methodE3ELS4_3ELS4_3ELNS0_20block_scan_algorithmE0ELj4294967295EEENS1_25partition_config_selectorILNS1_17partition_subalgoE3EjNS0_10empty_typeEbEEZZNS1_14partition_implILS8_3ELb0ES6_jNS0_17counting_iteratorIjlEEPS9_SE_NS0_5tupleIJPjSE_EEENSF_IJSE_SE_EEES9_SG_JZNS1_25segmented_radix_sort_implINS0_14default_configELb0EPKsPsPKlPlN2at6native12_GLOBAL__N_18offset_tEEE10hipError_tPvRmT1_PNSt15iterator_traitsISY_E10value_typeET2_T3_PNSZ_IS14_E10value_typeET4_jRbjT5_S1A_jjP12ihipStream_tbEUljE_EEESV_SW_SX_S14_S18_S1A_T6_T7_T9_mT8_S1C_bDpT10_ENKUlT_T0_E_clISt17integral_constantIbLb1EES1P_EEDaS1K_S1L_EUlS1K_E_NS1_11comp_targetILNS1_3genE9ELNS1_11target_archE1100ELNS1_3gpuE3ELNS1_3repE0EEENS1_30default_config_static_selectorELNS0_4arch9wavefront6targetE0EEEvSY_.has_indirect_call, 0
	.section	.AMDGPU.csdata,"",@progbits
; Kernel info:
; codeLenInByte = 0
; TotalNumSgprs: 0
; NumVgprs: 0
; ScratchSize: 0
; MemoryBound: 0
; FloatMode: 240
; IeeeMode: 1
; LDSByteSize: 0 bytes/workgroup (compile time only)
; SGPRBlocks: 0
; VGPRBlocks: 0
; NumSGPRsForWavesPerEU: 1
; NumVGPRsForWavesPerEU: 1
; Occupancy: 16
; WaveLimiterHint : 0
; COMPUTE_PGM_RSRC2:SCRATCH_EN: 0
; COMPUTE_PGM_RSRC2:USER_SGPR: 2
; COMPUTE_PGM_RSRC2:TRAP_HANDLER: 0
; COMPUTE_PGM_RSRC2:TGID_X_EN: 1
; COMPUTE_PGM_RSRC2:TGID_Y_EN: 0
; COMPUTE_PGM_RSRC2:TGID_Z_EN: 0
; COMPUTE_PGM_RSRC2:TIDIG_COMP_CNT: 0
	.section	.text._ZN7rocprim17ROCPRIM_400000_NS6detail17trampoline_kernelINS0_13select_configILj256ELj13ELNS0_17block_load_methodE3ELS4_3ELS4_3ELNS0_20block_scan_algorithmE0ELj4294967295EEENS1_25partition_config_selectorILNS1_17partition_subalgoE3EjNS0_10empty_typeEbEEZZNS1_14partition_implILS8_3ELb0ES6_jNS0_17counting_iteratorIjlEEPS9_SE_NS0_5tupleIJPjSE_EEENSF_IJSE_SE_EEES9_SG_JZNS1_25segmented_radix_sort_implINS0_14default_configELb0EPKsPsPKlPlN2at6native12_GLOBAL__N_18offset_tEEE10hipError_tPvRmT1_PNSt15iterator_traitsISY_E10value_typeET2_T3_PNSZ_IS14_E10value_typeET4_jRbjT5_S1A_jjP12ihipStream_tbEUljE_EEESV_SW_SX_S14_S18_S1A_T6_T7_T9_mT8_S1C_bDpT10_ENKUlT_T0_E_clISt17integral_constantIbLb1EES1P_EEDaS1K_S1L_EUlS1K_E_NS1_11comp_targetILNS1_3genE8ELNS1_11target_archE1030ELNS1_3gpuE2ELNS1_3repE0EEENS1_30default_config_static_selectorELNS0_4arch9wavefront6targetE0EEEvSY_,"axG",@progbits,_ZN7rocprim17ROCPRIM_400000_NS6detail17trampoline_kernelINS0_13select_configILj256ELj13ELNS0_17block_load_methodE3ELS4_3ELS4_3ELNS0_20block_scan_algorithmE0ELj4294967295EEENS1_25partition_config_selectorILNS1_17partition_subalgoE3EjNS0_10empty_typeEbEEZZNS1_14partition_implILS8_3ELb0ES6_jNS0_17counting_iteratorIjlEEPS9_SE_NS0_5tupleIJPjSE_EEENSF_IJSE_SE_EEES9_SG_JZNS1_25segmented_radix_sort_implINS0_14default_configELb0EPKsPsPKlPlN2at6native12_GLOBAL__N_18offset_tEEE10hipError_tPvRmT1_PNSt15iterator_traitsISY_E10value_typeET2_T3_PNSZ_IS14_E10value_typeET4_jRbjT5_S1A_jjP12ihipStream_tbEUljE_EEESV_SW_SX_S14_S18_S1A_T6_T7_T9_mT8_S1C_bDpT10_ENKUlT_T0_E_clISt17integral_constantIbLb1EES1P_EEDaS1K_S1L_EUlS1K_E_NS1_11comp_targetILNS1_3genE8ELNS1_11target_archE1030ELNS1_3gpuE2ELNS1_3repE0EEENS1_30default_config_static_selectorELNS0_4arch9wavefront6targetE0EEEvSY_,comdat
	.globl	_ZN7rocprim17ROCPRIM_400000_NS6detail17trampoline_kernelINS0_13select_configILj256ELj13ELNS0_17block_load_methodE3ELS4_3ELS4_3ELNS0_20block_scan_algorithmE0ELj4294967295EEENS1_25partition_config_selectorILNS1_17partition_subalgoE3EjNS0_10empty_typeEbEEZZNS1_14partition_implILS8_3ELb0ES6_jNS0_17counting_iteratorIjlEEPS9_SE_NS0_5tupleIJPjSE_EEENSF_IJSE_SE_EEES9_SG_JZNS1_25segmented_radix_sort_implINS0_14default_configELb0EPKsPsPKlPlN2at6native12_GLOBAL__N_18offset_tEEE10hipError_tPvRmT1_PNSt15iterator_traitsISY_E10value_typeET2_T3_PNSZ_IS14_E10value_typeET4_jRbjT5_S1A_jjP12ihipStream_tbEUljE_EEESV_SW_SX_S14_S18_S1A_T6_T7_T9_mT8_S1C_bDpT10_ENKUlT_T0_E_clISt17integral_constantIbLb1EES1P_EEDaS1K_S1L_EUlS1K_E_NS1_11comp_targetILNS1_3genE8ELNS1_11target_archE1030ELNS1_3gpuE2ELNS1_3repE0EEENS1_30default_config_static_selectorELNS0_4arch9wavefront6targetE0EEEvSY_ ; -- Begin function _ZN7rocprim17ROCPRIM_400000_NS6detail17trampoline_kernelINS0_13select_configILj256ELj13ELNS0_17block_load_methodE3ELS4_3ELS4_3ELNS0_20block_scan_algorithmE0ELj4294967295EEENS1_25partition_config_selectorILNS1_17partition_subalgoE3EjNS0_10empty_typeEbEEZZNS1_14partition_implILS8_3ELb0ES6_jNS0_17counting_iteratorIjlEEPS9_SE_NS0_5tupleIJPjSE_EEENSF_IJSE_SE_EEES9_SG_JZNS1_25segmented_radix_sort_implINS0_14default_configELb0EPKsPsPKlPlN2at6native12_GLOBAL__N_18offset_tEEE10hipError_tPvRmT1_PNSt15iterator_traitsISY_E10value_typeET2_T3_PNSZ_IS14_E10value_typeET4_jRbjT5_S1A_jjP12ihipStream_tbEUljE_EEESV_SW_SX_S14_S18_S1A_T6_T7_T9_mT8_S1C_bDpT10_ENKUlT_T0_E_clISt17integral_constantIbLb1EES1P_EEDaS1K_S1L_EUlS1K_E_NS1_11comp_targetILNS1_3genE8ELNS1_11target_archE1030ELNS1_3gpuE2ELNS1_3repE0EEENS1_30default_config_static_selectorELNS0_4arch9wavefront6targetE0EEEvSY_
	.p2align	8
	.type	_ZN7rocprim17ROCPRIM_400000_NS6detail17trampoline_kernelINS0_13select_configILj256ELj13ELNS0_17block_load_methodE3ELS4_3ELS4_3ELNS0_20block_scan_algorithmE0ELj4294967295EEENS1_25partition_config_selectorILNS1_17partition_subalgoE3EjNS0_10empty_typeEbEEZZNS1_14partition_implILS8_3ELb0ES6_jNS0_17counting_iteratorIjlEEPS9_SE_NS0_5tupleIJPjSE_EEENSF_IJSE_SE_EEES9_SG_JZNS1_25segmented_radix_sort_implINS0_14default_configELb0EPKsPsPKlPlN2at6native12_GLOBAL__N_18offset_tEEE10hipError_tPvRmT1_PNSt15iterator_traitsISY_E10value_typeET2_T3_PNSZ_IS14_E10value_typeET4_jRbjT5_S1A_jjP12ihipStream_tbEUljE_EEESV_SW_SX_S14_S18_S1A_T6_T7_T9_mT8_S1C_bDpT10_ENKUlT_T0_E_clISt17integral_constantIbLb1EES1P_EEDaS1K_S1L_EUlS1K_E_NS1_11comp_targetILNS1_3genE8ELNS1_11target_archE1030ELNS1_3gpuE2ELNS1_3repE0EEENS1_30default_config_static_selectorELNS0_4arch9wavefront6targetE0EEEvSY_,@function
_ZN7rocprim17ROCPRIM_400000_NS6detail17trampoline_kernelINS0_13select_configILj256ELj13ELNS0_17block_load_methodE3ELS4_3ELS4_3ELNS0_20block_scan_algorithmE0ELj4294967295EEENS1_25partition_config_selectorILNS1_17partition_subalgoE3EjNS0_10empty_typeEbEEZZNS1_14partition_implILS8_3ELb0ES6_jNS0_17counting_iteratorIjlEEPS9_SE_NS0_5tupleIJPjSE_EEENSF_IJSE_SE_EEES9_SG_JZNS1_25segmented_radix_sort_implINS0_14default_configELb0EPKsPsPKlPlN2at6native12_GLOBAL__N_18offset_tEEE10hipError_tPvRmT1_PNSt15iterator_traitsISY_E10value_typeET2_T3_PNSZ_IS14_E10value_typeET4_jRbjT5_S1A_jjP12ihipStream_tbEUljE_EEESV_SW_SX_S14_S18_S1A_T6_T7_T9_mT8_S1C_bDpT10_ENKUlT_T0_E_clISt17integral_constantIbLb1EES1P_EEDaS1K_S1L_EUlS1K_E_NS1_11comp_targetILNS1_3genE8ELNS1_11target_archE1030ELNS1_3gpuE2ELNS1_3repE0EEENS1_30default_config_static_selectorELNS0_4arch9wavefront6targetE0EEEvSY_: ; @_ZN7rocprim17ROCPRIM_400000_NS6detail17trampoline_kernelINS0_13select_configILj256ELj13ELNS0_17block_load_methodE3ELS4_3ELS4_3ELNS0_20block_scan_algorithmE0ELj4294967295EEENS1_25partition_config_selectorILNS1_17partition_subalgoE3EjNS0_10empty_typeEbEEZZNS1_14partition_implILS8_3ELb0ES6_jNS0_17counting_iteratorIjlEEPS9_SE_NS0_5tupleIJPjSE_EEENSF_IJSE_SE_EEES9_SG_JZNS1_25segmented_radix_sort_implINS0_14default_configELb0EPKsPsPKlPlN2at6native12_GLOBAL__N_18offset_tEEE10hipError_tPvRmT1_PNSt15iterator_traitsISY_E10value_typeET2_T3_PNSZ_IS14_E10value_typeET4_jRbjT5_S1A_jjP12ihipStream_tbEUljE_EEESV_SW_SX_S14_S18_S1A_T6_T7_T9_mT8_S1C_bDpT10_ENKUlT_T0_E_clISt17integral_constantIbLb1EES1P_EEDaS1K_S1L_EUlS1K_E_NS1_11comp_targetILNS1_3genE8ELNS1_11target_archE1030ELNS1_3gpuE2ELNS1_3repE0EEENS1_30default_config_static_selectorELNS0_4arch9wavefront6targetE0EEEvSY_
; %bb.0:
	.section	.rodata,"a",@progbits
	.p2align	6, 0x0
	.amdhsa_kernel _ZN7rocprim17ROCPRIM_400000_NS6detail17trampoline_kernelINS0_13select_configILj256ELj13ELNS0_17block_load_methodE3ELS4_3ELS4_3ELNS0_20block_scan_algorithmE0ELj4294967295EEENS1_25partition_config_selectorILNS1_17partition_subalgoE3EjNS0_10empty_typeEbEEZZNS1_14partition_implILS8_3ELb0ES6_jNS0_17counting_iteratorIjlEEPS9_SE_NS0_5tupleIJPjSE_EEENSF_IJSE_SE_EEES9_SG_JZNS1_25segmented_radix_sort_implINS0_14default_configELb0EPKsPsPKlPlN2at6native12_GLOBAL__N_18offset_tEEE10hipError_tPvRmT1_PNSt15iterator_traitsISY_E10value_typeET2_T3_PNSZ_IS14_E10value_typeET4_jRbjT5_S1A_jjP12ihipStream_tbEUljE_EEESV_SW_SX_S14_S18_S1A_T6_T7_T9_mT8_S1C_bDpT10_ENKUlT_T0_E_clISt17integral_constantIbLb1EES1P_EEDaS1K_S1L_EUlS1K_E_NS1_11comp_targetILNS1_3genE8ELNS1_11target_archE1030ELNS1_3gpuE2ELNS1_3repE0EEENS1_30default_config_static_selectorELNS0_4arch9wavefront6targetE0EEEvSY_
		.amdhsa_group_segment_fixed_size 0
		.amdhsa_private_segment_fixed_size 0
		.amdhsa_kernarg_size 152
		.amdhsa_user_sgpr_count 2
		.amdhsa_user_sgpr_dispatch_ptr 0
		.amdhsa_user_sgpr_queue_ptr 0
		.amdhsa_user_sgpr_kernarg_segment_ptr 1
		.amdhsa_user_sgpr_dispatch_id 0
		.amdhsa_user_sgpr_private_segment_size 0
		.amdhsa_wavefront_size32 1
		.amdhsa_uses_dynamic_stack 0
		.amdhsa_enable_private_segment 0
		.amdhsa_system_sgpr_workgroup_id_x 1
		.amdhsa_system_sgpr_workgroup_id_y 0
		.amdhsa_system_sgpr_workgroup_id_z 0
		.amdhsa_system_sgpr_workgroup_info 0
		.amdhsa_system_vgpr_workitem_id 0
		.amdhsa_next_free_vgpr 1
		.amdhsa_next_free_sgpr 1
		.amdhsa_reserve_vcc 0
		.amdhsa_float_round_mode_32 0
		.amdhsa_float_round_mode_16_64 0
		.amdhsa_float_denorm_mode_32 3
		.amdhsa_float_denorm_mode_16_64 3
		.amdhsa_fp16_overflow 0
		.amdhsa_workgroup_processor_mode 1
		.amdhsa_memory_ordered 1
		.amdhsa_forward_progress 1
		.amdhsa_inst_pref_size 0
		.amdhsa_round_robin_scheduling 0
		.amdhsa_exception_fp_ieee_invalid_op 0
		.amdhsa_exception_fp_denorm_src 0
		.amdhsa_exception_fp_ieee_div_zero 0
		.amdhsa_exception_fp_ieee_overflow 0
		.amdhsa_exception_fp_ieee_underflow 0
		.amdhsa_exception_fp_ieee_inexact 0
		.amdhsa_exception_int_div_zero 0
	.end_amdhsa_kernel
	.section	.text._ZN7rocprim17ROCPRIM_400000_NS6detail17trampoline_kernelINS0_13select_configILj256ELj13ELNS0_17block_load_methodE3ELS4_3ELS4_3ELNS0_20block_scan_algorithmE0ELj4294967295EEENS1_25partition_config_selectorILNS1_17partition_subalgoE3EjNS0_10empty_typeEbEEZZNS1_14partition_implILS8_3ELb0ES6_jNS0_17counting_iteratorIjlEEPS9_SE_NS0_5tupleIJPjSE_EEENSF_IJSE_SE_EEES9_SG_JZNS1_25segmented_radix_sort_implINS0_14default_configELb0EPKsPsPKlPlN2at6native12_GLOBAL__N_18offset_tEEE10hipError_tPvRmT1_PNSt15iterator_traitsISY_E10value_typeET2_T3_PNSZ_IS14_E10value_typeET4_jRbjT5_S1A_jjP12ihipStream_tbEUljE_EEESV_SW_SX_S14_S18_S1A_T6_T7_T9_mT8_S1C_bDpT10_ENKUlT_T0_E_clISt17integral_constantIbLb1EES1P_EEDaS1K_S1L_EUlS1K_E_NS1_11comp_targetILNS1_3genE8ELNS1_11target_archE1030ELNS1_3gpuE2ELNS1_3repE0EEENS1_30default_config_static_selectorELNS0_4arch9wavefront6targetE0EEEvSY_,"axG",@progbits,_ZN7rocprim17ROCPRIM_400000_NS6detail17trampoline_kernelINS0_13select_configILj256ELj13ELNS0_17block_load_methodE3ELS4_3ELS4_3ELNS0_20block_scan_algorithmE0ELj4294967295EEENS1_25partition_config_selectorILNS1_17partition_subalgoE3EjNS0_10empty_typeEbEEZZNS1_14partition_implILS8_3ELb0ES6_jNS0_17counting_iteratorIjlEEPS9_SE_NS0_5tupleIJPjSE_EEENSF_IJSE_SE_EEES9_SG_JZNS1_25segmented_radix_sort_implINS0_14default_configELb0EPKsPsPKlPlN2at6native12_GLOBAL__N_18offset_tEEE10hipError_tPvRmT1_PNSt15iterator_traitsISY_E10value_typeET2_T3_PNSZ_IS14_E10value_typeET4_jRbjT5_S1A_jjP12ihipStream_tbEUljE_EEESV_SW_SX_S14_S18_S1A_T6_T7_T9_mT8_S1C_bDpT10_ENKUlT_T0_E_clISt17integral_constantIbLb1EES1P_EEDaS1K_S1L_EUlS1K_E_NS1_11comp_targetILNS1_3genE8ELNS1_11target_archE1030ELNS1_3gpuE2ELNS1_3repE0EEENS1_30default_config_static_selectorELNS0_4arch9wavefront6targetE0EEEvSY_,comdat
.Lfunc_end997:
	.size	_ZN7rocprim17ROCPRIM_400000_NS6detail17trampoline_kernelINS0_13select_configILj256ELj13ELNS0_17block_load_methodE3ELS4_3ELS4_3ELNS0_20block_scan_algorithmE0ELj4294967295EEENS1_25partition_config_selectorILNS1_17partition_subalgoE3EjNS0_10empty_typeEbEEZZNS1_14partition_implILS8_3ELb0ES6_jNS0_17counting_iteratorIjlEEPS9_SE_NS0_5tupleIJPjSE_EEENSF_IJSE_SE_EEES9_SG_JZNS1_25segmented_radix_sort_implINS0_14default_configELb0EPKsPsPKlPlN2at6native12_GLOBAL__N_18offset_tEEE10hipError_tPvRmT1_PNSt15iterator_traitsISY_E10value_typeET2_T3_PNSZ_IS14_E10value_typeET4_jRbjT5_S1A_jjP12ihipStream_tbEUljE_EEESV_SW_SX_S14_S18_S1A_T6_T7_T9_mT8_S1C_bDpT10_ENKUlT_T0_E_clISt17integral_constantIbLb1EES1P_EEDaS1K_S1L_EUlS1K_E_NS1_11comp_targetILNS1_3genE8ELNS1_11target_archE1030ELNS1_3gpuE2ELNS1_3repE0EEENS1_30default_config_static_selectorELNS0_4arch9wavefront6targetE0EEEvSY_, .Lfunc_end997-_ZN7rocprim17ROCPRIM_400000_NS6detail17trampoline_kernelINS0_13select_configILj256ELj13ELNS0_17block_load_methodE3ELS4_3ELS4_3ELNS0_20block_scan_algorithmE0ELj4294967295EEENS1_25partition_config_selectorILNS1_17partition_subalgoE3EjNS0_10empty_typeEbEEZZNS1_14partition_implILS8_3ELb0ES6_jNS0_17counting_iteratorIjlEEPS9_SE_NS0_5tupleIJPjSE_EEENSF_IJSE_SE_EEES9_SG_JZNS1_25segmented_radix_sort_implINS0_14default_configELb0EPKsPsPKlPlN2at6native12_GLOBAL__N_18offset_tEEE10hipError_tPvRmT1_PNSt15iterator_traitsISY_E10value_typeET2_T3_PNSZ_IS14_E10value_typeET4_jRbjT5_S1A_jjP12ihipStream_tbEUljE_EEESV_SW_SX_S14_S18_S1A_T6_T7_T9_mT8_S1C_bDpT10_ENKUlT_T0_E_clISt17integral_constantIbLb1EES1P_EEDaS1K_S1L_EUlS1K_E_NS1_11comp_targetILNS1_3genE8ELNS1_11target_archE1030ELNS1_3gpuE2ELNS1_3repE0EEENS1_30default_config_static_selectorELNS0_4arch9wavefront6targetE0EEEvSY_
                                        ; -- End function
	.set _ZN7rocprim17ROCPRIM_400000_NS6detail17trampoline_kernelINS0_13select_configILj256ELj13ELNS0_17block_load_methodE3ELS4_3ELS4_3ELNS0_20block_scan_algorithmE0ELj4294967295EEENS1_25partition_config_selectorILNS1_17partition_subalgoE3EjNS0_10empty_typeEbEEZZNS1_14partition_implILS8_3ELb0ES6_jNS0_17counting_iteratorIjlEEPS9_SE_NS0_5tupleIJPjSE_EEENSF_IJSE_SE_EEES9_SG_JZNS1_25segmented_radix_sort_implINS0_14default_configELb0EPKsPsPKlPlN2at6native12_GLOBAL__N_18offset_tEEE10hipError_tPvRmT1_PNSt15iterator_traitsISY_E10value_typeET2_T3_PNSZ_IS14_E10value_typeET4_jRbjT5_S1A_jjP12ihipStream_tbEUljE_EEESV_SW_SX_S14_S18_S1A_T6_T7_T9_mT8_S1C_bDpT10_ENKUlT_T0_E_clISt17integral_constantIbLb1EES1P_EEDaS1K_S1L_EUlS1K_E_NS1_11comp_targetILNS1_3genE8ELNS1_11target_archE1030ELNS1_3gpuE2ELNS1_3repE0EEENS1_30default_config_static_selectorELNS0_4arch9wavefront6targetE0EEEvSY_.num_vgpr, 0
	.set _ZN7rocprim17ROCPRIM_400000_NS6detail17trampoline_kernelINS0_13select_configILj256ELj13ELNS0_17block_load_methodE3ELS4_3ELS4_3ELNS0_20block_scan_algorithmE0ELj4294967295EEENS1_25partition_config_selectorILNS1_17partition_subalgoE3EjNS0_10empty_typeEbEEZZNS1_14partition_implILS8_3ELb0ES6_jNS0_17counting_iteratorIjlEEPS9_SE_NS0_5tupleIJPjSE_EEENSF_IJSE_SE_EEES9_SG_JZNS1_25segmented_radix_sort_implINS0_14default_configELb0EPKsPsPKlPlN2at6native12_GLOBAL__N_18offset_tEEE10hipError_tPvRmT1_PNSt15iterator_traitsISY_E10value_typeET2_T3_PNSZ_IS14_E10value_typeET4_jRbjT5_S1A_jjP12ihipStream_tbEUljE_EEESV_SW_SX_S14_S18_S1A_T6_T7_T9_mT8_S1C_bDpT10_ENKUlT_T0_E_clISt17integral_constantIbLb1EES1P_EEDaS1K_S1L_EUlS1K_E_NS1_11comp_targetILNS1_3genE8ELNS1_11target_archE1030ELNS1_3gpuE2ELNS1_3repE0EEENS1_30default_config_static_selectorELNS0_4arch9wavefront6targetE0EEEvSY_.num_agpr, 0
	.set _ZN7rocprim17ROCPRIM_400000_NS6detail17trampoline_kernelINS0_13select_configILj256ELj13ELNS0_17block_load_methodE3ELS4_3ELS4_3ELNS0_20block_scan_algorithmE0ELj4294967295EEENS1_25partition_config_selectorILNS1_17partition_subalgoE3EjNS0_10empty_typeEbEEZZNS1_14partition_implILS8_3ELb0ES6_jNS0_17counting_iteratorIjlEEPS9_SE_NS0_5tupleIJPjSE_EEENSF_IJSE_SE_EEES9_SG_JZNS1_25segmented_radix_sort_implINS0_14default_configELb0EPKsPsPKlPlN2at6native12_GLOBAL__N_18offset_tEEE10hipError_tPvRmT1_PNSt15iterator_traitsISY_E10value_typeET2_T3_PNSZ_IS14_E10value_typeET4_jRbjT5_S1A_jjP12ihipStream_tbEUljE_EEESV_SW_SX_S14_S18_S1A_T6_T7_T9_mT8_S1C_bDpT10_ENKUlT_T0_E_clISt17integral_constantIbLb1EES1P_EEDaS1K_S1L_EUlS1K_E_NS1_11comp_targetILNS1_3genE8ELNS1_11target_archE1030ELNS1_3gpuE2ELNS1_3repE0EEENS1_30default_config_static_selectorELNS0_4arch9wavefront6targetE0EEEvSY_.numbered_sgpr, 0
	.set _ZN7rocprim17ROCPRIM_400000_NS6detail17trampoline_kernelINS0_13select_configILj256ELj13ELNS0_17block_load_methodE3ELS4_3ELS4_3ELNS0_20block_scan_algorithmE0ELj4294967295EEENS1_25partition_config_selectorILNS1_17partition_subalgoE3EjNS0_10empty_typeEbEEZZNS1_14partition_implILS8_3ELb0ES6_jNS0_17counting_iteratorIjlEEPS9_SE_NS0_5tupleIJPjSE_EEENSF_IJSE_SE_EEES9_SG_JZNS1_25segmented_radix_sort_implINS0_14default_configELb0EPKsPsPKlPlN2at6native12_GLOBAL__N_18offset_tEEE10hipError_tPvRmT1_PNSt15iterator_traitsISY_E10value_typeET2_T3_PNSZ_IS14_E10value_typeET4_jRbjT5_S1A_jjP12ihipStream_tbEUljE_EEESV_SW_SX_S14_S18_S1A_T6_T7_T9_mT8_S1C_bDpT10_ENKUlT_T0_E_clISt17integral_constantIbLb1EES1P_EEDaS1K_S1L_EUlS1K_E_NS1_11comp_targetILNS1_3genE8ELNS1_11target_archE1030ELNS1_3gpuE2ELNS1_3repE0EEENS1_30default_config_static_selectorELNS0_4arch9wavefront6targetE0EEEvSY_.num_named_barrier, 0
	.set _ZN7rocprim17ROCPRIM_400000_NS6detail17trampoline_kernelINS0_13select_configILj256ELj13ELNS0_17block_load_methodE3ELS4_3ELS4_3ELNS0_20block_scan_algorithmE0ELj4294967295EEENS1_25partition_config_selectorILNS1_17partition_subalgoE3EjNS0_10empty_typeEbEEZZNS1_14partition_implILS8_3ELb0ES6_jNS0_17counting_iteratorIjlEEPS9_SE_NS0_5tupleIJPjSE_EEENSF_IJSE_SE_EEES9_SG_JZNS1_25segmented_radix_sort_implINS0_14default_configELb0EPKsPsPKlPlN2at6native12_GLOBAL__N_18offset_tEEE10hipError_tPvRmT1_PNSt15iterator_traitsISY_E10value_typeET2_T3_PNSZ_IS14_E10value_typeET4_jRbjT5_S1A_jjP12ihipStream_tbEUljE_EEESV_SW_SX_S14_S18_S1A_T6_T7_T9_mT8_S1C_bDpT10_ENKUlT_T0_E_clISt17integral_constantIbLb1EES1P_EEDaS1K_S1L_EUlS1K_E_NS1_11comp_targetILNS1_3genE8ELNS1_11target_archE1030ELNS1_3gpuE2ELNS1_3repE0EEENS1_30default_config_static_selectorELNS0_4arch9wavefront6targetE0EEEvSY_.private_seg_size, 0
	.set _ZN7rocprim17ROCPRIM_400000_NS6detail17trampoline_kernelINS0_13select_configILj256ELj13ELNS0_17block_load_methodE3ELS4_3ELS4_3ELNS0_20block_scan_algorithmE0ELj4294967295EEENS1_25partition_config_selectorILNS1_17partition_subalgoE3EjNS0_10empty_typeEbEEZZNS1_14partition_implILS8_3ELb0ES6_jNS0_17counting_iteratorIjlEEPS9_SE_NS0_5tupleIJPjSE_EEENSF_IJSE_SE_EEES9_SG_JZNS1_25segmented_radix_sort_implINS0_14default_configELb0EPKsPsPKlPlN2at6native12_GLOBAL__N_18offset_tEEE10hipError_tPvRmT1_PNSt15iterator_traitsISY_E10value_typeET2_T3_PNSZ_IS14_E10value_typeET4_jRbjT5_S1A_jjP12ihipStream_tbEUljE_EEESV_SW_SX_S14_S18_S1A_T6_T7_T9_mT8_S1C_bDpT10_ENKUlT_T0_E_clISt17integral_constantIbLb1EES1P_EEDaS1K_S1L_EUlS1K_E_NS1_11comp_targetILNS1_3genE8ELNS1_11target_archE1030ELNS1_3gpuE2ELNS1_3repE0EEENS1_30default_config_static_selectorELNS0_4arch9wavefront6targetE0EEEvSY_.uses_vcc, 0
	.set _ZN7rocprim17ROCPRIM_400000_NS6detail17trampoline_kernelINS0_13select_configILj256ELj13ELNS0_17block_load_methodE3ELS4_3ELS4_3ELNS0_20block_scan_algorithmE0ELj4294967295EEENS1_25partition_config_selectorILNS1_17partition_subalgoE3EjNS0_10empty_typeEbEEZZNS1_14partition_implILS8_3ELb0ES6_jNS0_17counting_iteratorIjlEEPS9_SE_NS0_5tupleIJPjSE_EEENSF_IJSE_SE_EEES9_SG_JZNS1_25segmented_radix_sort_implINS0_14default_configELb0EPKsPsPKlPlN2at6native12_GLOBAL__N_18offset_tEEE10hipError_tPvRmT1_PNSt15iterator_traitsISY_E10value_typeET2_T3_PNSZ_IS14_E10value_typeET4_jRbjT5_S1A_jjP12ihipStream_tbEUljE_EEESV_SW_SX_S14_S18_S1A_T6_T7_T9_mT8_S1C_bDpT10_ENKUlT_T0_E_clISt17integral_constantIbLb1EES1P_EEDaS1K_S1L_EUlS1K_E_NS1_11comp_targetILNS1_3genE8ELNS1_11target_archE1030ELNS1_3gpuE2ELNS1_3repE0EEENS1_30default_config_static_selectorELNS0_4arch9wavefront6targetE0EEEvSY_.uses_flat_scratch, 0
	.set _ZN7rocprim17ROCPRIM_400000_NS6detail17trampoline_kernelINS0_13select_configILj256ELj13ELNS0_17block_load_methodE3ELS4_3ELS4_3ELNS0_20block_scan_algorithmE0ELj4294967295EEENS1_25partition_config_selectorILNS1_17partition_subalgoE3EjNS0_10empty_typeEbEEZZNS1_14partition_implILS8_3ELb0ES6_jNS0_17counting_iteratorIjlEEPS9_SE_NS0_5tupleIJPjSE_EEENSF_IJSE_SE_EEES9_SG_JZNS1_25segmented_radix_sort_implINS0_14default_configELb0EPKsPsPKlPlN2at6native12_GLOBAL__N_18offset_tEEE10hipError_tPvRmT1_PNSt15iterator_traitsISY_E10value_typeET2_T3_PNSZ_IS14_E10value_typeET4_jRbjT5_S1A_jjP12ihipStream_tbEUljE_EEESV_SW_SX_S14_S18_S1A_T6_T7_T9_mT8_S1C_bDpT10_ENKUlT_T0_E_clISt17integral_constantIbLb1EES1P_EEDaS1K_S1L_EUlS1K_E_NS1_11comp_targetILNS1_3genE8ELNS1_11target_archE1030ELNS1_3gpuE2ELNS1_3repE0EEENS1_30default_config_static_selectorELNS0_4arch9wavefront6targetE0EEEvSY_.has_dyn_sized_stack, 0
	.set _ZN7rocprim17ROCPRIM_400000_NS6detail17trampoline_kernelINS0_13select_configILj256ELj13ELNS0_17block_load_methodE3ELS4_3ELS4_3ELNS0_20block_scan_algorithmE0ELj4294967295EEENS1_25partition_config_selectorILNS1_17partition_subalgoE3EjNS0_10empty_typeEbEEZZNS1_14partition_implILS8_3ELb0ES6_jNS0_17counting_iteratorIjlEEPS9_SE_NS0_5tupleIJPjSE_EEENSF_IJSE_SE_EEES9_SG_JZNS1_25segmented_radix_sort_implINS0_14default_configELb0EPKsPsPKlPlN2at6native12_GLOBAL__N_18offset_tEEE10hipError_tPvRmT1_PNSt15iterator_traitsISY_E10value_typeET2_T3_PNSZ_IS14_E10value_typeET4_jRbjT5_S1A_jjP12ihipStream_tbEUljE_EEESV_SW_SX_S14_S18_S1A_T6_T7_T9_mT8_S1C_bDpT10_ENKUlT_T0_E_clISt17integral_constantIbLb1EES1P_EEDaS1K_S1L_EUlS1K_E_NS1_11comp_targetILNS1_3genE8ELNS1_11target_archE1030ELNS1_3gpuE2ELNS1_3repE0EEENS1_30default_config_static_selectorELNS0_4arch9wavefront6targetE0EEEvSY_.has_recursion, 0
	.set _ZN7rocprim17ROCPRIM_400000_NS6detail17trampoline_kernelINS0_13select_configILj256ELj13ELNS0_17block_load_methodE3ELS4_3ELS4_3ELNS0_20block_scan_algorithmE0ELj4294967295EEENS1_25partition_config_selectorILNS1_17partition_subalgoE3EjNS0_10empty_typeEbEEZZNS1_14partition_implILS8_3ELb0ES6_jNS0_17counting_iteratorIjlEEPS9_SE_NS0_5tupleIJPjSE_EEENSF_IJSE_SE_EEES9_SG_JZNS1_25segmented_radix_sort_implINS0_14default_configELb0EPKsPsPKlPlN2at6native12_GLOBAL__N_18offset_tEEE10hipError_tPvRmT1_PNSt15iterator_traitsISY_E10value_typeET2_T3_PNSZ_IS14_E10value_typeET4_jRbjT5_S1A_jjP12ihipStream_tbEUljE_EEESV_SW_SX_S14_S18_S1A_T6_T7_T9_mT8_S1C_bDpT10_ENKUlT_T0_E_clISt17integral_constantIbLb1EES1P_EEDaS1K_S1L_EUlS1K_E_NS1_11comp_targetILNS1_3genE8ELNS1_11target_archE1030ELNS1_3gpuE2ELNS1_3repE0EEENS1_30default_config_static_selectorELNS0_4arch9wavefront6targetE0EEEvSY_.has_indirect_call, 0
	.section	.AMDGPU.csdata,"",@progbits
; Kernel info:
; codeLenInByte = 0
; TotalNumSgprs: 0
; NumVgprs: 0
; ScratchSize: 0
; MemoryBound: 0
; FloatMode: 240
; IeeeMode: 1
; LDSByteSize: 0 bytes/workgroup (compile time only)
; SGPRBlocks: 0
; VGPRBlocks: 0
; NumSGPRsForWavesPerEU: 1
; NumVGPRsForWavesPerEU: 1
; Occupancy: 16
; WaveLimiterHint : 0
; COMPUTE_PGM_RSRC2:SCRATCH_EN: 0
; COMPUTE_PGM_RSRC2:USER_SGPR: 2
; COMPUTE_PGM_RSRC2:TRAP_HANDLER: 0
; COMPUTE_PGM_RSRC2:TGID_X_EN: 1
; COMPUTE_PGM_RSRC2:TGID_Y_EN: 0
; COMPUTE_PGM_RSRC2:TGID_Z_EN: 0
; COMPUTE_PGM_RSRC2:TIDIG_COMP_CNT: 0
	.section	.text._ZN7rocprim17ROCPRIM_400000_NS6detail17trampoline_kernelINS0_13select_configILj256ELj13ELNS0_17block_load_methodE3ELS4_3ELS4_3ELNS0_20block_scan_algorithmE0ELj4294967295EEENS1_25partition_config_selectorILNS1_17partition_subalgoE3EjNS0_10empty_typeEbEEZZNS1_14partition_implILS8_3ELb0ES6_jNS0_17counting_iteratorIjlEEPS9_SE_NS0_5tupleIJPjSE_EEENSF_IJSE_SE_EEES9_SG_JZNS1_25segmented_radix_sort_implINS0_14default_configELb0EPKsPsPKlPlN2at6native12_GLOBAL__N_18offset_tEEE10hipError_tPvRmT1_PNSt15iterator_traitsISY_E10value_typeET2_T3_PNSZ_IS14_E10value_typeET4_jRbjT5_S1A_jjP12ihipStream_tbEUljE_EEESV_SW_SX_S14_S18_S1A_T6_T7_T9_mT8_S1C_bDpT10_ENKUlT_T0_E_clISt17integral_constantIbLb1EES1O_IbLb0EEEEDaS1K_S1L_EUlS1K_E_NS1_11comp_targetILNS1_3genE0ELNS1_11target_archE4294967295ELNS1_3gpuE0ELNS1_3repE0EEENS1_30default_config_static_selectorELNS0_4arch9wavefront6targetE0EEEvSY_,"axG",@progbits,_ZN7rocprim17ROCPRIM_400000_NS6detail17trampoline_kernelINS0_13select_configILj256ELj13ELNS0_17block_load_methodE3ELS4_3ELS4_3ELNS0_20block_scan_algorithmE0ELj4294967295EEENS1_25partition_config_selectorILNS1_17partition_subalgoE3EjNS0_10empty_typeEbEEZZNS1_14partition_implILS8_3ELb0ES6_jNS0_17counting_iteratorIjlEEPS9_SE_NS0_5tupleIJPjSE_EEENSF_IJSE_SE_EEES9_SG_JZNS1_25segmented_radix_sort_implINS0_14default_configELb0EPKsPsPKlPlN2at6native12_GLOBAL__N_18offset_tEEE10hipError_tPvRmT1_PNSt15iterator_traitsISY_E10value_typeET2_T3_PNSZ_IS14_E10value_typeET4_jRbjT5_S1A_jjP12ihipStream_tbEUljE_EEESV_SW_SX_S14_S18_S1A_T6_T7_T9_mT8_S1C_bDpT10_ENKUlT_T0_E_clISt17integral_constantIbLb1EES1O_IbLb0EEEEDaS1K_S1L_EUlS1K_E_NS1_11comp_targetILNS1_3genE0ELNS1_11target_archE4294967295ELNS1_3gpuE0ELNS1_3repE0EEENS1_30default_config_static_selectorELNS0_4arch9wavefront6targetE0EEEvSY_,comdat
	.globl	_ZN7rocprim17ROCPRIM_400000_NS6detail17trampoline_kernelINS0_13select_configILj256ELj13ELNS0_17block_load_methodE3ELS4_3ELS4_3ELNS0_20block_scan_algorithmE0ELj4294967295EEENS1_25partition_config_selectorILNS1_17partition_subalgoE3EjNS0_10empty_typeEbEEZZNS1_14partition_implILS8_3ELb0ES6_jNS0_17counting_iteratorIjlEEPS9_SE_NS0_5tupleIJPjSE_EEENSF_IJSE_SE_EEES9_SG_JZNS1_25segmented_radix_sort_implINS0_14default_configELb0EPKsPsPKlPlN2at6native12_GLOBAL__N_18offset_tEEE10hipError_tPvRmT1_PNSt15iterator_traitsISY_E10value_typeET2_T3_PNSZ_IS14_E10value_typeET4_jRbjT5_S1A_jjP12ihipStream_tbEUljE_EEESV_SW_SX_S14_S18_S1A_T6_T7_T9_mT8_S1C_bDpT10_ENKUlT_T0_E_clISt17integral_constantIbLb1EES1O_IbLb0EEEEDaS1K_S1L_EUlS1K_E_NS1_11comp_targetILNS1_3genE0ELNS1_11target_archE4294967295ELNS1_3gpuE0ELNS1_3repE0EEENS1_30default_config_static_selectorELNS0_4arch9wavefront6targetE0EEEvSY_ ; -- Begin function _ZN7rocprim17ROCPRIM_400000_NS6detail17trampoline_kernelINS0_13select_configILj256ELj13ELNS0_17block_load_methodE3ELS4_3ELS4_3ELNS0_20block_scan_algorithmE0ELj4294967295EEENS1_25partition_config_selectorILNS1_17partition_subalgoE3EjNS0_10empty_typeEbEEZZNS1_14partition_implILS8_3ELb0ES6_jNS0_17counting_iteratorIjlEEPS9_SE_NS0_5tupleIJPjSE_EEENSF_IJSE_SE_EEES9_SG_JZNS1_25segmented_radix_sort_implINS0_14default_configELb0EPKsPsPKlPlN2at6native12_GLOBAL__N_18offset_tEEE10hipError_tPvRmT1_PNSt15iterator_traitsISY_E10value_typeET2_T3_PNSZ_IS14_E10value_typeET4_jRbjT5_S1A_jjP12ihipStream_tbEUljE_EEESV_SW_SX_S14_S18_S1A_T6_T7_T9_mT8_S1C_bDpT10_ENKUlT_T0_E_clISt17integral_constantIbLb1EES1O_IbLb0EEEEDaS1K_S1L_EUlS1K_E_NS1_11comp_targetILNS1_3genE0ELNS1_11target_archE4294967295ELNS1_3gpuE0ELNS1_3repE0EEENS1_30default_config_static_selectorELNS0_4arch9wavefront6targetE0EEEvSY_
	.p2align	8
	.type	_ZN7rocprim17ROCPRIM_400000_NS6detail17trampoline_kernelINS0_13select_configILj256ELj13ELNS0_17block_load_methodE3ELS4_3ELS4_3ELNS0_20block_scan_algorithmE0ELj4294967295EEENS1_25partition_config_selectorILNS1_17partition_subalgoE3EjNS0_10empty_typeEbEEZZNS1_14partition_implILS8_3ELb0ES6_jNS0_17counting_iteratorIjlEEPS9_SE_NS0_5tupleIJPjSE_EEENSF_IJSE_SE_EEES9_SG_JZNS1_25segmented_radix_sort_implINS0_14default_configELb0EPKsPsPKlPlN2at6native12_GLOBAL__N_18offset_tEEE10hipError_tPvRmT1_PNSt15iterator_traitsISY_E10value_typeET2_T3_PNSZ_IS14_E10value_typeET4_jRbjT5_S1A_jjP12ihipStream_tbEUljE_EEESV_SW_SX_S14_S18_S1A_T6_T7_T9_mT8_S1C_bDpT10_ENKUlT_T0_E_clISt17integral_constantIbLb1EES1O_IbLb0EEEEDaS1K_S1L_EUlS1K_E_NS1_11comp_targetILNS1_3genE0ELNS1_11target_archE4294967295ELNS1_3gpuE0ELNS1_3repE0EEENS1_30default_config_static_selectorELNS0_4arch9wavefront6targetE0EEEvSY_,@function
_ZN7rocprim17ROCPRIM_400000_NS6detail17trampoline_kernelINS0_13select_configILj256ELj13ELNS0_17block_load_methodE3ELS4_3ELS4_3ELNS0_20block_scan_algorithmE0ELj4294967295EEENS1_25partition_config_selectorILNS1_17partition_subalgoE3EjNS0_10empty_typeEbEEZZNS1_14partition_implILS8_3ELb0ES6_jNS0_17counting_iteratorIjlEEPS9_SE_NS0_5tupleIJPjSE_EEENSF_IJSE_SE_EEES9_SG_JZNS1_25segmented_radix_sort_implINS0_14default_configELb0EPKsPsPKlPlN2at6native12_GLOBAL__N_18offset_tEEE10hipError_tPvRmT1_PNSt15iterator_traitsISY_E10value_typeET2_T3_PNSZ_IS14_E10value_typeET4_jRbjT5_S1A_jjP12ihipStream_tbEUljE_EEESV_SW_SX_S14_S18_S1A_T6_T7_T9_mT8_S1C_bDpT10_ENKUlT_T0_E_clISt17integral_constantIbLb1EES1O_IbLb0EEEEDaS1K_S1L_EUlS1K_E_NS1_11comp_targetILNS1_3genE0ELNS1_11target_archE4294967295ELNS1_3gpuE0ELNS1_3repE0EEENS1_30default_config_static_selectorELNS0_4arch9wavefront6targetE0EEEvSY_: ; @_ZN7rocprim17ROCPRIM_400000_NS6detail17trampoline_kernelINS0_13select_configILj256ELj13ELNS0_17block_load_methodE3ELS4_3ELS4_3ELNS0_20block_scan_algorithmE0ELj4294967295EEENS1_25partition_config_selectorILNS1_17partition_subalgoE3EjNS0_10empty_typeEbEEZZNS1_14partition_implILS8_3ELb0ES6_jNS0_17counting_iteratorIjlEEPS9_SE_NS0_5tupleIJPjSE_EEENSF_IJSE_SE_EEES9_SG_JZNS1_25segmented_radix_sort_implINS0_14default_configELb0EPKsPsPKlPlN2at6native12_GLOBAL__N_18offset_tEEE10hipError_tPvRmT1_PNSt15iterator_traitsISY_E10value_typeET2_T3_PNSZ_IS14_E10value_typeET4_jRbjT5_S1A_jjP12ihipStream_tbEUljE_EEESV_SW_SX_S14_S18_S1A_T6_T7_T9_mT8_S1C_bDpT10_ENKUlT_T0_E_clISt17integral_constantIbLb1EES1O_IbLb0EEEEDaS1K_S1L_EUlS1K_E_NS1_11comp_targetILNS1_3genE0ELNS1_11target_archE4294967295ELNS1_3gpuE0ELNS1_3repE0EEENS1_30default_config_static_selectorELNS0_4arch9wavefront6targetE0EEEvSY_
; %bb.0:
	.section	.rodata,"a",@progbits
	.p2align	6, 0x0
	.amdhsa_kernel _ZN7rocprim17ROCPRIM_400000_NS6detail17trampoline_kernelINS0_13select_configILj256ELj13ELNS0_17block_load_methodE3ELS4_3ELS4_3ELNS0_20block_scan_algorithmE0ELj4294967295EEENS1_25partition_config_selectorILNS1_17partition_subalgoE3EjNS0_10empty_typeEbEEZZNS1_14partition_implILS8_3ELb0ES6_jNS0_17counting_iteratorIjlEEPS9_SE_NS0_5tupleIJPjSE_EEENSF_IJSE_SE_EEES9_SG_JZNS1_25segmented_radix_sort_implINS0_14default_configELb0EPKsPsPKlPlN2at6native12_GLOBAL__N_18offset_tEEE10hipError_tPvRmT1_PNSt15iterator_traitsISY_E10value_typeET2_T3_PNSZ_IS14_E10value_typeET4_jRbjT5_S1A_jjP12ihipStream_tbEUljE_EEESV_SW_SX_S14_S18_S1A_T6_T7_T9_mT8_S1C_bDpT10_ENKUlT_T0_E_clISt17integral_constantIbLb1EES1O_IbLb0EEEEDaS1K_S1L_EUlS1K_E_NS1_11comp_targetILNS1_3genE0ELNS1_11target_archE4294967295ELNS1_3gpuE0ELNS1_3repE0EEENS1_30default_config_static_selectorELNS0_4arch9wavefront6targetE0EEEvSY_
		.amdhsa_group_segment_fixed_size 0
		.amdhsa_private_segment_fixed_size 0
		.amdhsa_kernarg_size 144
		.amdhsa_user_sgpr_count 2
		.amdhsa_user_sgpr_dispatch_ptr 0
		.amdhsa_user_sgpr_queue_ptr 0
		.amdhsa_user_sgpr_kernarg_segment_ptr 1
		.amdhsa_user_sgpr_dispatch_id 0
		.amdhsa_user_sgpr_private_segment_size 0
		.amdhsa_wavefront_size32 1
		.amdhsa_uses_dynamic_stack 0
		.amdhsa_enable_private_segment 0
		.amdhsa_system_sgpr_workgroup_id_x 1
		.amdhsa_system_sgpr_workgroup_id_y 0
		.amdhsa_system_sgpr_workgroup_id_z 0
		.amdhsa_system_sgpr_workgroup_info 0
		.amdhsa_system_vgpr_workitem_id 0
		.amdhsa_next_free_vgpr 1
		.amdhsa_next_free_sgpr 1
		.amdhsa_reserve_vcc 0
		.amdhsa_float_round_mode_32 0
		.amdhsa_float_round_mode_16_64 0
		.amdhsa_float_denorm_mode_32 3
		.amdhsa_float_denorm_mode_16_64 3
		.amdhsa_fp16_overflow 0
		.amdhsa_workgroup_processor_mode 1
		.amdhsa_memory_ordered 1
		.amdhsa_forward_progress 1
		.amdhsa_inst_pref_size 0
		.amdhsa_round_robin_scheduling 0
		.amdhsa_exception_fp_ieee_invalid_op 0
		.amdhsa_exception_fp_denorm_src 0
		.amdhsa_exception_fp_ieee_div_zero 0
		.amdhsa_exception_fp_ieee_overflow 0
		.amdhsa_exception_fp_ieee_underflow 0
		.amdhsa_exception_fp_ieee_inexact 0
		.amdhsa_exception_int_div_zero 0
	.end_amdhsa_kernel
	.section	.text._ZN7rocprim17ROCPRIM_400000_NS6detail17trampoline_kernelINS0_13select_configILj256ELj13ELNS0_17block_load_methodE3ELS4_3ELS4_3ELNS0_20block_scan_algorithmE0ELj4294967295EEENS1_25partition_config_selectorILNS1_17partition_subalgoE3EjNS0_10empty_typeEbEEZZNS1_14partition_implILS8_3ELb0ES6_jNS0_17counting_iteratorIjlEEPS9_SE_NS0_5tupleIJPjSE_EEENSF_IJSE_SE_EEES9_SG_JZNS1_25segmented_radix_sort_implINS0_14default_configELb0EPKsPsPKlPlN2at6native12_GLOBAL__N_18offset_tEEE10hipError_tPvRmT1_PNSt15iterator_traitsISY_E10value_typeET2_T3_PNSZ_IS14_E10value_typeET4_jRbjT5_S1A_jjP12ihipStream_tbEUljE_EEESV_SW_SX_S14_S18_S1A_T6_T7_T9_mT8_S1C_bDpT10_ENKUlT_T0_E_clISt17integral_constantIbLb1EES1O_IbLb0EEEEDaS1K_S1L_EUlS1K_E_NS1_11comp_targetILNS1_3genE0ELNS1_11target_archE4294967295ELNS1_3gpuE0ELNS1_3repE0EEENS1_30default_config_static_selectorELNS0_4arch9wavefront6targetE0EEEvSY_,"axG",@progbits,_ZN7rocprim17ROCPRIM_400000_NS6detail17trampoline_kernelINS0_13select_configILj256ELj13ELNS0_17block_load_methodE3ELS4_3ELS4_3ELNS0_20block_scan_algorithmE0ELj4294967295EEENS1_25partition_config_selectorILNS1_17partition_subalgoE3EjNS0_10empty_typeEbEEZZNS1_14partition_implILS8_3ELb0ES6_jNS0_17counting_iteratorIjlEEPS9_SE_NS0_5tupleIJPjSE_EEENSF_IJSE_SE_EEES9_SG_JZNS1_25segmented_radix_sort_implINS0_14default_configELb0EPKsPsPKlPlN2at6native12_GLOBAL__N_18offset_tEEE10hipError_tPvRmT1_PNSt15iterator_traitsISY_E10value_typeET2_T3_PNSZ_IS14_E10value_typeET4_jRbjT5_S1A_jjP12ihipStream_tbEUljE_EEESV_SW_SX_S14_S18_S1A_T6_T7_T9_mT8_S1C_bDpT10_ENKUlT_T0_E_clISt17integral_constantIbLb1EES1O_IbLb0EEEEDaS1K_S1L_EUlS1K_E_NS1_11comp_targetILNS1_3genE0ELNS1_11target_archE4294967295ELNS1_3gpuE0ELNS1_3repE0EEENS1_30default_config_static_selectorELNS0_4arch9wavefront6targetE0EEEvSY_,comdat
.Lfunc_end998:
	.size	_ZN7rocprim17ROCPRIM_400000_NS6detail17trampoline_kernelINS0_13select_configILj256ELj13ELNS0_17block_load_methodE3ELS4_3ELS4_3ELNS0_20block_scan_algorithmE0ELj4294967295EEENS1_25partition_config_selectorILNS1_17partition_subalgoE3EjNS0_10empty_typeEbEEZZNS1_14partition_implILS8_3ELb0ES6_jNS0_17counting_iteratorIjlEEPS9_SE_NS0_5tupleIJPjSE_EEENSF_IJSE_SE_EEES9_SG_JZNS1_25segmented_radix_sort_implINS0_14default_configELb0EPKsPsPKlPlN2at6native12_GLOBAL__N_18offset_tEEE10hipError_tPvRmT1_PNSt15iterator_traitsISY_E10value_typeET2_T3_PNSZ_IS14_E10value_typeET4_jRbjT5_S1A_jjP12ihipStream_tbEUljE_EEESV_SW_SX_S14_S18_S1A_T6_T7_T9_mT8_S1C_bDpT10_ENKUlT_T0_E_clISt17integral_constantIbLb1EES1O_IbLb0EEEEDaS1K_S1L_EUlS1K_E_NS1_11comp_targetILNS1_3genE0ELNS1_11target_archE4294967295ELNS1_3gpuE0ELNS1_3repE0EEENS1_30default_config_static_selectorELNS0_4arch9wavefront6targetE0EEEvSY_, .Lfunc_end998-_ZN7rocprim17ROCPRIM_400000_NS6detail17trampoline_kernelINS0_13select_configILj256ELj13ELNS0_17block_load_methodE3ELS4_3ELS4_3ELNS0_20block_scan_algorithmE0ELj4294967295EEENS1_25partition_config_selectorILNS1_17partition_subalgoE3EjNS0_10empty_typeEbEEZZNS1_14partition_implILS8_3ELb0ES6_jNS0_17counting_iteratorIjlEEPS9_SE_NS0_5tupleIJPjSE_EEENSF_IJSE_SE_EEES9_SG_JZNS1_25segmented_radix_sort_implINS0_14default_configELb0EPKsPsPKlPlN2at6native12_GLOBAL__N_18offset_tEEE10hipError_tPvRmT1_PNSt15iterator_traitsISY_E10value_typeET2_T3_PNSZ_IS14_E10value_typeET4_jRbjT5_S1A_jjP12ihipStream_tbEUljE_EEESV_SW_SX_S14_S18_S1A_T6_T7_T9_mT8_S1C_bDpT10_ENKUlT_T0_E_clISt17integral_constantIbLb1EES1O_IbLb0EEEEDaS1K_S1L_EUlS1K_E_NS1_11comp_targetILNS1_3genE0ELNS1_11target_archE4294967295ELNS1_3gpuE0ELNS1_3repE0EEENS1_30default_config_static_selectorELNS0_4arch9wavefront6targetE0EEEvSY_
                                        ; -- End function
	.set _ZN7rocprim17ROCPRIM_400000_NS6detail17trampoline_kernelINS0_13select_configILj256ELj13ELNS0_17block_load_methodE3ELS4_3ELS4_3ELNS0_20block_scan_algorithmE0ELj4294967295EEENS1_25partition_config_selectorILNS1_17partition_subalgoE3EjNS0_10empty_typeEbEEZZNS1_14partition_implILS8_3ELb0ES6_jNS0_17counting_iteratorIjlEEPS9_SE_NS0_5tupleIJPjSE_EEENSF_IJSE_SE_EEES9_SG_JZNS1_25segmented_radix_sort_implINS0_14default_configELb0EPKsPsPKlPlN2at6native12_GLOBAL__N_18offset_tEEE10hipError_tPvRmT1_PNSt15iterator_traitsISY_E10value_typeET2_T3_PNSZ_IS14_E10value_typeET4_jRbjT5_S1A_jjP12ihipStream_tbEUljE_EEESV_SW_SX_S14_S18_S1A_T6_T7_T9_mT8_S1C_bDpT10_ENKUlT_T0_E_clISt17integral_constantIbLb1EES1O_IbLb0EEEEDaS1K_S1L_EUlS1K_E_NS1_11comp_targetILNS1_3genE0ELNS1_11target_archE4294967295ELNS1_3gpuE0ELNS1_3repE0EEENS1_30default_config_static_selectorELNS0_4arch9wavefront6targetE0EEEvSY_.num_vgpr, 0
	.set _ZN7rocprim17ROCPRIM_400000_NS6detail17trampoline_kernelINS0_13select_configILj256ELj13ELNS0_17block_load_methodE3ELS4_3ELS4_3ELNS0_20block_scan_algorithmE0ELj4294967295EEENS1_25partition_config_selectorILNS1_17partition_subalgoE3EjNS0_10empty_typeEbEEZZNS1_14partition_implILS8_3ELb0ES6_jNS0_17counting_iteratorIjlEEPS9_SE_NS0_5tupleIJPjSE_EEENSF_IJSE_SE_EEES9_SG_JZNS1_25segmented_radix_sort_implINS0_14default_configELb0EPKsPsPKlPlN2at6native12_GLOBAL__N_18offset_tEEE10hipError_tPvRmT1_PNSt15iterator_traitsISY_E10value_typeET2_T3_PNSZ_IS14_E10value_typeET4_jRbjT5_S1A_jjP12ihipStream_tbEUljE_EEESV_SW_SX_S14_S18_S1A_T6_T7_T9_mT8_S1C_bDpT10_ENKUlT_T0_E_clISt17integral_constantIbLb1EES1O_IbLb0EEEEDaS1K_S1L_EUlS1K_E_NS1_11comp_targetILNS1_3genE0ELNS1_11target_archE4294967295ELNS1_3gpuE0ELNS1_3repE0EEENS1_30default_config_static_selectorELNS0_4arch9wavefront6targetE0EEEvSY_.num_agpr, 0
	.set _ZN7rocprim17ROCPRIM_400000_NS6detail17trampoline_kernelINS0_13select_configILj256ELj13ELNS0_17block_load_methodE3ELS4_3ELS4_3ELNS0_20block_scan_algorithmE0ELj4294967295EEENS1_25partition_config_selectorILNS1_17partition_subalgoE3EjNS0_10empty_typeEbEEZZNS1_14partition_implILS8_3ELb0ES6_jNS0_17counting_iteratorIjlEEPS9_SE_NS0_5tupleIJPjSE_EEENSF_IJSE_SE_EEES9_SG_JZNS1_25segmented_radix_sort_implINS0_14default_configELb0EPKsPsPKlPlN2at6native12_GLOBAL__N_18offset_tEEE10hipError_tPvRmT1_PNSt15iterator_traitsISY_E10value_typeET2_T3_PNSZ_IS14_E10value_typeET4_jRbjT5_S1A_jjP12ihipStream_tbEUljE_EEESV_SW_SX_S14_S18_S1A_T6_T7_T9_mT8_S1C_bDpT10_ENKUlT_T0_E_clISt17integral_constantIbLb1EES1O_IbLb0EEEEDaS1K_S1L_EUlS1K_E_NS1_11comp_targetILNS1_3genE0ELNS1_11target_archE4294967295ELNS1_3gpuE0ELNS1_3repE0EEENS1_30default_config_static_selectorELNS0_4arch9wavefront6targetE0EEEvSY_.numbered_sgpr, 0
	.set _ZN7rocprim17ROCPRIM_400000_NS6detail17trampoline_kernelINS0_13select_configILj256ELj13ELNS0_17block_load_methodE3ELS4_3ELS4_3ELNS0_20block_scan_algorithmE0ELj4294967295EEENS1_25partition_config_selectorILNS1_17partition_subalgoE3EjNS0_10empty_typeEbEEZZNS1_14partition_implILS8_3ELb0ES6_jNS0_17counting_iteratorIjlEEPS9_SE_NS0_5tupleIJPjSE_EEENSF_IJSE_SE_EEES9_SG_JZNS1_25segmented_radix_sort_implINS0_14default_configELb0EPKsPsPKlPlN2at6native12_GLOBAL__N_18offset_tEEE10hipError_tPvRmT1_PNSt15iterator_traitsISY_E10value_typeET2_T3_PNSZ_IS14_E10value_typeET4_jRbjT5_S1A_jjP12ihipStream_tbEUljE_EEESV_SW_SX_S14_S18_S1A_T6_T7_T9_mT8_S1C_bDpT10_ENKUlT_T0_E_clISt17integral_constantIbLb1EES1O_IbLb0EEEEDaS1K_S1L_EUlS1K_E_NS1_11comp_targetILNS1_3genE0ELNS1_11target_archE4294967295ELNS1_3gpuE0ELNS1_3repE0EEENS1_30default_config_static_selectorELNS0_4arch9wavefront6targetE0EEEvSY_.num_named_barrier, 0
	.set _ZN7rocprim17ROCPRIM_400000_NS6detail17trampoline_kernelINS0_13select_configILj256ELj13ELNS0_17block_load_methodE3ELS4_3ELS4_3ELNS0_20block_scan_algorithmE0ELj4294967295EEENS1_25partition_config_selectorILNS1_17partition_subalgoE3EjNS0_10empty_typeEbEEZZNS1_14partition_implILS8_3ELb0ES6_jNS0_17counting_iteratorIjlEEPS9_SE_NS0_5tupleIJPjSE_EEENSF_IJSE_SE_EEES9_SG_JZNS1_25segmented_radix_sort_implINS0_14default_configELb0EPKsPsPKlPlN2at6native12_GLOBAL__N_18offset_tEEE10hipError_tPvRmT1_PNSt15iterator_traitsISY_E10value_typeET2_T3_PNSZ_IS14_E10value_typeET4_jRbjT5_S1A_jjP12ihipStream_tbEUljE_EEESV_SW_SX_S14_S18_S1A_T6_T7_T9_mT8_S1C_bDpT10_ENKUlT_T0_E_clISt17integral_constantIbLb1EES1O_IbLb0EEEEDaS1K_S1L_EUlS1K_E_NS1_11comp_targetILNS1_3genE0ELNS1_11target_archE4294967295ELNS1_3gpuE0ELNS1_3repE0EEENS1_30default_config_static_selectorELNS0_4arch9wavefront6targetE0EEEvSY_.private_seg_size, 0
	.set _ZN7rocprim17ROCPRIM_400000_NS6detail17trampoline_kernelINS0_13select_configILj256ELj13ELNS0_17block_load_methodE3ELS4_3ELS4_3ELNS0_20block_scan_algorithmE0ELj4294967295EEENS1_25partition_config_selectorILNS1_17partition_subalgoE3EjNS0_10empty_typeEbEEZZNS1_14partition_implILS8_3ELb0ES6_jNS0_17counting_iteratorIjlEEPS9_SE_NS0_5tupleIJPjSE_EEENSF_IJSE_SE_EEES9_SG_JZNS1_25segmented_radix_sort_implINS0_14default_configELb0EPKsPsPKlPlN2at6native12_GLOBAL__N_18offset_tEEE10hipError_tPvRmT1_PNSt15iterator_traitsISY_E10value_typeET2_T3_PNSZ_IS14_E10value_typeET4_jRbjT5_S1A_jjP12ihipStream_tbEUljE_EEESV_SW_SX_S14_S18_S1A_T6_T7_T9_mT8_S1C_bDpT10_ENKUlT_T0_E_clISt17integral_constantIbLb1EES1O_IbLb0EEEEDaS1K_S1L_EUlS1K_E_NS1_11comp_targetILNS1_3genE0ELNS1_11target_archE4294967295ELNS1_3gpuE0ELNS1_3repE0EEENS1_30default_config_static_selectorELNS0_4arch9wavefront6targetE0EEEvSY_.uses_vcc, 0
	.set _ZN7rocprim17ROCPRIM_400000_NS6detail17trampoline_kernelINS0_13select_configILj256ELj13ELNS0_17block_load_methodE3ELS4_3ELS4_3ELNS0_20block_scan_algorithmE0ELj4294967295EEENS1_25partition_config_selectorILNS1_17partition_subalgoE3EjNS0_10empty_typeEbEEZZNS1_14partition_implILS8_3ELb0ES6_jNS0_17counting_iteratorIjlEEPS9_SE_NS0_5tupleIJPjSE_EEENSF_IJSE_SE_EEES9_SG_JZNS1_25segmented_radix_sort_implINS0_14default_configELb0EPKsPsPKlPlN2at6native12_GLOBAL__N_18offset_tEEE10hipError_tPvRmT1_PNSt15iterator_traitsISY_E10value_typeET2_T3_PNSZ_IS14_E10value_typeET4_jRbjT5_S1A_jjP12ihipStream_tbEUljE_EEESV_SW_SX_S14_S18_S1A_T6_T7_T9_mT8_S1C_bDpT10_ENKUlT_T0_E_clISt17integral_constantIbLb1EES1O_IbLb0EEEEDaS1K_S1L_EUlS1K_E_NS1_11comp_targetILNS1_3genE0ELNS1_11target_archE4294967295ELNS1_3gpuE0ELNS1_3repE0EEENS1_30default_config_static_selectorELNS0_4arch9wavefront6targetE0EEEvSY_.uses_flat_scratch, 0
	.set _ZN7rocprim17ROCPRIM_400000_NS6detail17trampoline_kernelINS0_13select_configILj256ELj13ELNS0_17block_load_methodE3ELS4_3ELS4_3ELNS0_20block_scan_algorithmE0ELj4294967295EEENS1_25partition_config_selectorILNS1_17partition_subalgoE3EjNS0_10empty_typeEbEEZZNS1_14partition_implILS8_3ELb0ES6_jNS0_17counting_iteratorIjlEEPS9_SE_NS0_5tupleIJPjSE_EEENSF_IJSE_SE_EEES9_SG_JZNS1_25segmented_radix_sort_implINS0_14default_configELb0EPKsPsPKlPlN2at6native12_GLOBAL__N_18offset_tEEE10hipError_tPvRmT1_PNSt15iterator_traitsISY_E10value_typeET2_T3_PNSZ_IS14_E10value_typeET4_jRbjT5_S1A_jjP12ihipStream_tbEUljE_EEESV_SW_SX_S14_S18_S1A_T6_T7_T9_mT8_S1C_bDpT10_ENKUlT_T0_E_clISt17integral_constantIbLb1EES1O_IbLb0EEEEDaS1K_S1L_EUlS1K_E_NS1_11comp_targetILNS1_3genE0ELNS1_11target_archE4294967295ELNS1_3gpuE0ELNS1_3repE0EEENS1_30default_config_static_selectorELNS0_4arch9wavefront6targetE0EEEvSY_.has_dyn_sized_stack, 0
	.set _ZN7rocprim17ROCPRIM_400000_NS6detail17trampoline_kernelINS0_13select_configILj256ELj13ELNS0_17block_load_methodE3ELS4_3ELS4_3ELNS0_20block_scan_algorithmE0ELj4294967295EEENS1_25partition_config_selectorILNS1_17partition_subalgoE3EjNS0_10empty_typeEbEEZZNS1_14partition_implILS8_3ELb0ES6_jNS0_17counting_iteratorIjlEEPS9_SE_NS0_5tupleIJPjSE_EEENSF_IJSE_SE_EEES9_SG_JZNS1_25segmented_radix_sort_implINS0_14default_configELb0EPKsPsPKlPlN2at6native12_GLOBAL__N_18offset_tEEE10hipError_tPvRmT1_PNSt15iterator_traitsISY_E10value_typeET2_T3_PNSZ_IS14_E10value_typeET4_jRbjT5_S1A_jjP12ihipStream_tbEUljE_EEESV_SW_SX_S14_S18_S1A_T6_T7_T9_mT8_S1C_bDpT10_ENKUlT_T0_E_clISt17integral_constantIbLb1EES1O_IbLb0EEEEDaS1K_S1L_EUlS1K_E_NS1_11comp_targetILNS1_3genE0ELNS1_11target_archE4294967295ELNS1_3gpuE0ELNS1_3repE0EEENS1_30default_config_static_selectorELNS0_4arch9wavefront6targetE0EEEvSY_.has_recursion, 0
	.set _ZN7rocprim17ROCPRIM_400000_NS6detail17trampoline_kernelINS0_13select_configILj256ELj13ELNS0_17block_load_methodE3ELS4_3ELS4_3ELNS0_20block_scan_algorithmE0ELj4294967295EEENS1_25partition_config_selectorILNS1_17partition_subalgoE3EjNS0_10empty_typeEbEEZZNS1_14partition_implILS8_3ELb0ES6_jNS0_17counting_iteratorIjlEEPS9_SE_NS0_5tupleIJPjSE_EEENSF_IJSE_SE_EEES9_SG_JZNS1_25segmented_radix_sort_implINS0_14default_configELb0EPKsPsPKlPlN2at6native12_GLOBAL__N_18offset_tEEE10hipError_tPvRmT1_PNSt15iterator_traitsISY_E10value_typeET2_T3_PNSZ_IS14_E10value_typeET4_jRbjT5_S1A_jjP12ihipStream_tbEUljE_EEESV_SW_SX_S14_S18_S1A_T6_T7_T9_mT8_S1C_bDpT10_ENKUlT_T0_E_clISt17integral_constantIbLb1EES1O_IbLb0EEEEDaS1K_S1L_EUlS1K_E_NS1_11comp_targetILNS1_3genE0ELNS1_11target_archE4294967295ELNS1_3gpuE0ELNS1_3repE0EEENS1_30default_config_static_selectorELNS0_4arch9wavefront6targetE0EEEvSY_.has_indirect_call, 0
	.section	.AMDGPU.csdata,"",@progbits
; Kernel info:
; codeLenInByte = 0
; TotalNumSgprs: 0
; NumVgprs: 0
; ScratchSize: 0
; MemoryBound: 0
; FloatMode: 240
; IeeeMode: 1
; LDSByteSize: 0 bytes/workgroup (compile time only)
; SGPRBlocks: 0
; VGPRBlocks: 0
; NumSGPRsForWavesPerEU: 1
; NumVGPRsForWavesPerEU: 1
; Occupancy: 16
; WaveLimiterHint : 0
; COMPUTE_PGM_RSRC2:SCRATCH_EN: 0
; COMPUTE_PGM_RSRC2:USER_SGPR: 2
; COMPUTE_PGM_RSRC2:TRAP_HANDLER: 0
; COMPUTE_PGM_RSRC2:TGID_X_EN: 1
; COMPUTE_PGM_RSRC2:TGID_Y_EN: 0
; COMPUTE_PGM_RSRC2:TGID_Z_EN: 0
; COMPUTE_PGM_RSRC2:TIDIG_COMP_CNT: 0
	.section	.text._ZN7rocprim17ROCPRIM_400000_NS6detail17trampoline_kernelINS0_13select_configILj256ELj13ELNS0_17block_load_methodE3ELS4_3ELS4_3ELNS0_20block_scan_algorithmE0ELj4294967295EEENS1_25partition_config_selectorILNS1_17partition_subalgoE3EjNS0_10empty_typeEbEEZZNS1_14partition_implILS8_3ELb0ES6_jNS0_17counting_iteratorIjlEEPS9_SE_NS0_5tupleIJPjSE_EEENSF_IJSE_SE_EEES9_SG_JZNS1_25segmented_radix_sort_implINS0_14default_configELb0EPKsPsPKlPlN2at6native12_GLOBAL__N_18offset_tEEE10hipError_tPvRmT1_PNSt15iterator_traitsISY_E10value_typeET2_T3_PNSZ_IS14_E10value_typeET4_jRbjT5_S1A_jjP12ihipStream_tbEUljE_EEESV_SW_SX_S14_S18_S1A_T6_T7_T9_mT8_S1C_bDpT10_ENKUlT_T0_E_clISt17integral_constantIbLb1EES1O_IbLb0EEEEDaS1K_S1L_EUlS1K_E_NS1_11comp_targetILNS1_3genE5ELNS1_11target_archE942ELNS1_3gpuE9ELNS1_3repE0EEENS1_30default_config_static_selectorELNS0_4arch9wavefront6targetE0EEEvSY_,"axG",@progbits,_ZN7rocprim17ROCPRIM_400000_NS6detail17trampoline_kernelINS0_13select_configILj256ELj13ELNS0_17block_load_methodE3ELS4_3ELS4_3ELNS0_20block_scan_algorithmE0ELj4294967295EEENS1_25partition_config_selectorILNS1_17partition_subalgoE3EjNS0_10empty_typeEbEEZZNS1_14partition_implILS8_3ELb0ES6_jNS0_17counting_iteratorIjlEEPS9_SE_NS0_5tupleIJPjSE_EEENSF_IJSE_SE_EEES9_SG_JZNS1_25segmented_radix_sort_implINS0_14default_configELb0EPKsPsPKlPlN2at6native12_GLOBAL__N_18offset_tEEE10hipError_tPvRmT1_PNSt15iterator_traitsISY_E10value_typeET2_T3_PNSZ_IS14_E10value_typeET4_jRbjT5_S1A_jjP12ihipStream_tbEUljE_EEESV_SW_SX_S14_S18_S1A_T6_T7_T9_mT8_S1C_bDpT10_ENKUlT_T0_E_clISt17integral_constantIbLb1EES1O_IbLb0EEEEDaS1K_S1L_EUlS1K_E_NS1_11comp_targetILNS1_3genE5ELNS1_11target_archE942ELNS1_3gpuE9ELNS1_3repE0EEENS1_30default_config_static_selectorELNS0_4arch9wavefront6targetE0EEEvSY_,comdat
	.globl	_ZN7rocprim17ROCPRIM_400000_NS6detail17trampoline_kernelINS0_13select_configILj256ELj13ELNS0_17block_load_methodE3ELS4_3ELS4_3ELNS0_20block_scan_algorithmE0ELj4294967295EEENS1_25partition_config_selectorILNS1_17partition_subalgoE3EjNS0_10empty_typeEbEEZZNS1_14partition_implILS8_3ELb0ES6_jNS0_17counting_iteratorIjlEEPS9_SE_NS0_5tupleIJPjSE_EEENSF_IJSE_SE_EEES9_SG_JZNS1_25segmented_radix_sort_implINS0_14default_configELb0EPKsPsPKlPlN2at6native12_GLOBAL__N_18offset_tEEE10hipError_tPvRmT1_PNSt15iterator_traitsISY_E10value_typeET2_T3_PNSZ_IS14_E10value_typeET4_jRbjT5_S1A_jjP12ihipStream_tbEUljE_EEESV_SW_SX_S14_S18_S1A_T6_T7_T9_mT8_S1C_bDpT10_ENKUlT_T0_E_clISt17integral_constantIbLb1EES1O_IbLb0EEEEDaS1K_S1L_EUlS1K_E_NS1_11comp_targetILNS1_3genE5ELNS1_11target_archE942ELNS1_3gpuE9ELNS1_3repE0EEENS1_30default_config_static_selectorELNS0_4arch9wavefront6targetE0EEEvSY_ ; -- Begin function _ZN7rocprim17ROCPRIM_400000_NS6detail17trampoline_kernelINS0_13select_configILj256ELj13ELNS0_17block_load_methodE3ELS4_3ELS4_3ELNS0_20block_scan_algorithmE0ELj4294967295EEENS1_25partition_config_selectorILNS1_17partition_subalgoE3EjNS0_10empty_typeEbEEZZNS1_14partition_implILS8_3ELb0ES6_jNS0_17counting_iteratorIjlEEPS9_SE_NS0_5tupleIJPjSE_EEENSF_IJSE_SE_EEES9_SG_JZNS1_25segmented_radix_sort_implINS0_14default_configELb0EPKsPsPKlPlN2at6native12_GLOBAL__N_18offset_tEEE10hipError_tPvRmT1_PNSt15iterator_traitsISY_E10value_typeET2_T3_PNSZ_IS14_E10value_typeET4_jRbjT5_S1A_jjP12ihipStream_tbEUljE_EEESV_SW_SX_S14_S18_S1A_T6_T7_T9_mT8_S1C_bDpT10_ENKUlT_T0_E_clISt17integral_constantIbLb1EES1O_IbLb0EEEEDaS1K_S1L_EUlS1K_E_NS1_11comp_targetILNS1_3genE5ELNS1_11target_archE942ELNS1_3gpuE9ELNS1_3repE0EEENS1_30default_config_static_selectorELNS0_4arch9wavefront6targetE0EEEvSY_
	.p2align	8
	.type	_ZN7rocprim17ROCPRIM_400000_NS6detail17trampoline_kernelINS0_13select_configILj256ELj13ELNS0_17block_load_methodE3ELS4_3ELS4_3ELNS0_20block_scan_algorithmE0ELj4294967295EEENS1_25partition_config_selectorILNS1_17partition_subalgoE3EjNS0_10empty_typeEbEEZZNS1_14partition_implILS8_3ELb0ES6_jNS0_17counting_iteratorIjlEEPS9_SE_NS0_5tupleIJPjSE_EEENSF_IJSE_SE_EEES9_SG_JZNS1_25segmented_radix_sort_implINS0_14default_configELb0EPKsPsPKlPlN2at6native12_GLOBAL__N_18offset_tEEE10hipError_tPvRmT1_PNSt15iterator_traitsISY_E10value_typeET2_T3_PNSZ_IS14_E10value_typeET4_jRbjT5_S1A_jjP12ihipStream_tbEUljE_EEESV_SW_SX_S14_S18_S1A_T6_T7_T9_mT8_S1C_bDpT10_ENKUlT_T0_E_clISt17integral_constantIbLb1EES1O_IbLb0EEEEDaS1K_S1L_EUlS1K_E_NS1_11comp_targetILNS1_3genE5ELNS1_11target_archE942ELNS1_3gpuE9ELNS1_3repE0EEENS1_30default_config_static_selectorELNS0_4arch9wavefront6targetE0EEEvSY_,@function
_ZN7rocprim17ROCPRIM_400000_NS6detail17trampoline_kernelINS0_13select_configILj256ELj13ELNS0_17block_load_methodE3ELS4_3ELS4_3ELNS0_20block_scan_algorithmE0ELj4294967295EEENS1_25partition_config_selectorILNS1_17partition_subalgoE3EjNS0_10empty_typeEbEEZZNS1_14partition_implILS8_3ELb0ES6_jNS0_17counting_iteratorIjlEEPS9_SE_NS0_5tupleIJPjSE_EEENSF_IJSE_SE_EEES9_SG_JZNS1_25segmented_radix_sort_implINS0_14default_configELb0EPKsPsPKlPlN2at6native12_GLOBAL__N_18offset_tEEE10hipError_tPvRmT1_PNSt15iterator_traitsISY_E10value_typeET2_T3_PNSZ_IS14_E10value_typeET4_jRbjT5_S1A_jjP12ihipStream_tbEUljE_EEESV_SW_SX_S14_S18_S1A_T6_T7_T9_mT8_S1C_bDpT10_ENKUlT_T0_E_clISt17integral_constantIbLb1EES1O_IbLb0EEEEDaS1K_S1L_EUlS1K_E_NS1_11comp_targetILNS1_3genE5ELNS1_11target_archE942ELNS1_3gpuE9ELNS1_3repE0EEENS1_30default_config_static_selectorELNS0_4arch9wavefront6targetE0EEEvSY_: ; @_ZN7rocprim17ROCPRIM_400000_NS6detail17trampoline_kernelINS0_13select_configILj256ELj13ELNS0_17block_load_methodE3ELS4_3ELS4_3ELNS0_20block_scan_algorithmE0ELj4294967295EEENS1_25partition_config_selectorILNS1_17partition_subalgoE3EjNS0_10empty_typeEbEEZZNS1_14partition_implILS8_3ELb0ES6_jNS0_17counting_iteratorIjlEEPS9_SE_NS0_5tupleIJPjSE_EEENSF_IJSE_SE_EEES9_SG_JZNS1_25segmented_radix_sort_implINS0_14default_configELb0EPKsPsPKlPlN2at6native12_GLOBAL__N_18offset_tEEE10hipError_tPvRmT1_PNSt15iterator_traitsISY_E10value_typeET2_T3_PNSZ_IS14_E10value_typeET4_jRbjT5_S1A_jjP12ihipStream_tbEUljE_EEESV_SW_SX_S14_S18_S1A_T6_T7_T9_mT8_S1C_bDpT10_ENKUlT_T0_E_clISt17integral_constantIbLb1EES1O_IbLb0EEEEDaS1K_S1L_EUlS1K_E_NS1_11comp_targetILNS1_3genE5ELNS1_11target_archE942ELNS1_3gpuE9ELNS1_3repE0EEENS1_30default_config_static_selectorELNS0_4arch9wavefront6targetE0EEEvSY_
; %bb.0:
	.section	.rodata,"a",@progbits
	.p2align	6, 0x0
	.amdhsa_kernel _ZN7rocprim17ROCPRIM_400000_NS6detail17trampoline_kernelINS0_13select_configILj256ELj13ELNS0_17block_load_methodE3ELS4_3ELS4_3ELNS0_20block_scan_algorithmE0ELj4294967295EEENS1_25partition_config_selectorILNS1_17partition_subalgoE3EjNS0_10empty_typeEbEEZZNS1_14partition_implILS8_3ELb0ES6_jNS0_17counting_iteratorIjlEEPS9_SE_NS0_5tupleIJPjSE_EEENSF_IJSE_SE_EEES9_SG_JZNS1_25segmented_radix_sort_implINS0_14default_configELb0EPKsPsPKlPlN2at6native12_GLOBAL__N_18offset_tEEE10hipError_tPvRmT1_PNSt15iterator_traitsISY_E10value_typeET2_T3_PNSZ_IS14_E10value_typeET4_jRbjT5_S1A_jjP12ihipStream_tbEUljE_EEESV_SW_SX_S14_S18_S1A_T6_T7_T9_mT8_S1C_bDpT10_ENKUlT_T0_E_clISt17integral_constantIbLb1EES1O_IbLb0EEEEDaS1K_S1L_EUlS1K_E_NS1_11comp_targetILNS1_3genE5ELNS1_11target_archE942ELNS1_3gpuE9ELNS1_3repE0EEENS1_30default_config_static_selectorELNS0_4arch9wavefront6targetE0EEEvSY_
		.amdhsa_group_segment_fixed_size 0
		.amdhsa_private_segment_fixed_size 0
		.amdhsa_kernarg_size 144
		.amdhsa_user_sgpr_count 2
		.amdhsa_user_sgpr_dispatch_ptr 0
		.amdhsa_user_sgpr_queue_ptr 0
		.amdhsa_user_sgpr_kernarg_segment_ptr 1
		.amdhsa_user_sgpr_dispatch_id 0
		.amdhsa_user_sgpr_private_segment_size 0
		.amdhsa_wavefront_size32 1
		.amdhsa_uses_dynamic_stack 0
		.amdhsa_enable_private_segment 0
		.amdhsa_system_sgpr_workgroup_id_x 1
		.amdhsa_system_sgpr_workgroup_id_y 0
		.amdhsa_system_sgpr_workgroup_id_z 0
		.amdhsa_system_sgpr_workgroup_info 0
		.amdhsa_system_vgpr_workitem_id 0
		.amdhsa_next_free_vgpr 1
		.amdhsa_next_free_sgpr 1
		.amdhsa_reserve_vcc 0
		.amdhsa_float_round_mode_32 0
		.amdhsa_float_round_mode_16_64 0
		.amdhsa_float_denorm_mode_32 3
		.amdhsa_float_denorm_mode_16_64 3
		.amdhsa_fp16_overflow 0
		.amdhsa_workgroup_processor_mode 1
		.amdhsa_memory_ordered 1
		.amdhsa_forward_progress 1
		.amdhsa_inst_pref_size 0
		.amdhsa_round_robin_scheduling 0
		.amdhsa_exception_fp_ieee_invalid_op 0
		.amdhsa_exception_fp_denorm_src 0
		.amdhsa_exception_fp_ieee_div_zero 0
		.amdhsa_exception_fp_ieee_overflow 0
		.amdhsa_exception_fp_ieee_underflow 0
		.amdhsa_exception_fp_ieee_inexact 0
		.amdhsa_exception_int_div_zero 0
	.end_amdhsa_kernel
	.section	.text._ZN7rocprim17ROCPRIM_400000_NS6detail17trampoline_kernelINS0_13select_configILj256ELj13ELNS0_17block_load_methodE3ELS4_3ELS4_3ELNS0_20block_scan_algorithmE0ELj4294967295EEENS1_25partition_config_selectorILNS1_17partition_subalgoE3EjNS0_10empty_typeEbEEZZNS1_14partition_implILS8_3ELb0ES6_jNS0_17counting_iteratorIjlEEPS9_SE_NS0_5tupleIJPjSE_EEENSF_IJSE_SE_EEES9_SG_JZNS1_25segmented_radix_sort_implINS0_14default_configELb0EPKsPsPKlPlN2at6native12_GLOBAL__N_18offset_tEEE10hipError_tPvRmT1_PNSt15iterator_traitsISY_E10value_typeET2_T3_PNSZ_IS14_E10value_typeET4_jRbjT5_S1A_jjP12ihipStream_tbEUljE_EEESV_SW_SX_S14_S18_S1A_T6_T7_T9_mT8_S1C_bDpT10_ENKUlT_T0_E_clISt17integral_constantIbLb1EES1O_IbLb0EEEEDaS1K_S1L_EUlS1K_E_NS1_11comp_targetILNS1_3genE5ELNS1_11target_archE942ELNS1_3gpuE9ELNS1_3repE0EEENS1_30default_config_static_selectorELNS0_4arch9wavefront6targetE0EEEvSY_,"axG",@progbits,_ZN7rocprim17ROCPRIM_400000_NS6detail17trampoline_kernelINS0_13select_configILj256ELj13ELNS0_17block_load_methodE3ELS4_3ELS4_3ELNS0_20block_scan_algorithmE0ELj4294967295EEENS1_25partition_config_selectorILNS1_17partition_subalgoE3EjNS0_10empty_typeEbEEZZNS1_14partition_implILS8_3ELb0ES6_jNS0_17counting_iteratorIjlEEPS9_SE_NS0_5tupleIJPjSE_EEENSF_IJSE_SE_EEES9_SG_JZNS1_25segmented_radix_sort_implINS0_14default_configELb0EPKsPsPKlPlN2at6native12_GLOBAL__N_18offset_tEEE10hipError_tPvRmT1_PNSt15iterator_traitsISY_E10value_typeET2_T3_PNSZ_IS14_E10value_typeET4_jRbjT5_S1A_jjP12ihipStream_tbEUljE_EEESV_SW_SX_S14_S18_S1A_T6_T7_T9_mT8_S1C_bDpT10_ENKUlT_T0_E_clISt17integral_constantIbLb1EES1O_IbLb0EEEEDaS1K_S1L_EUlS1K_E_NS1_11comp_targetILNS1_3genE5ELNS1_11target_archE942ELNS1_3gpuE9ELNS1_3repE0EEENS1_30default_config_static_selectorELNS0_4arch9wavefront6targetE0EEEvSY_,comdat
.Lfunc_end999:
	.size	_ZN7rocprim17ROCPRIM_400000_NS6detail17trampoline_kernelINS0_13select_configILj256ELj13ELNS0_17block_load_methodE3ELS4_3ELS4_3ELNS0_20block_scan_algorithmE0ELj4294967295EEENS1_25partition_config_selectorILNS1_17partition_subalgoE3EjNS0_10empty_typeEbEEZZNS1_14partition_implILS8_3ELb0ES6_jNS0_17counting_iteratorIjlEEPS9_SE_NS0_5tupleIJPjSE_EEENSF_IJSE_SE_EEES9_SG_JZNS1_25segmented_radix_sort_implINS0_14default_configELb0EPKsPsPKlPlN2at6native12_GLOBAL__N_18offset_tEEE10hipError_tPvRmT1_PNSt15iterator_traitsISY_E10value_typeET2_T3_PNSZ_IS14_E10value_typeET4_jRbjT5_S1A_jjP12ihipStream_tbEUljE_EEESV_SW_SX_S14_S18_S1A_T6_T7_T9_mT8_S1C_bDpT10_ENKUlT_T0_E_clISt17integral_constantIbLb1EES1O_IbLb0EEEEDaS1K_S1L_EUlS1K_E_NS1_11comp_targetILNS1_3genE5ELNS1_11target_archE942ELNS1_3gpuE9ELNS1_3repE0EEENS1_30default_config_static_selectorELNS0_4arch9wavefront6targetE0EEEvSY_, .Lfunc_end999-_ZN7rocprim17ROCPRIM_400000_NS6detail17trampoline_kernelINS0_13select_configILj256ELj13ELNS0_17block_load_methodE3ELS4_3ELS4_3ELNS0_20block_scan_algorithmE0ELj4294967295EEENS1_25partition_config_selectorILNS1_17partition_subalgoE3EjNS0_10empty_typeEbEEZZNS1_14partition_implILS8_3ELb0ES6_jNS0_17counting_iteratorIjlEEPS9_SE_NS0_5tupleIJPjSE_EEENSF_IJSE_SE_EEES9_SG_JZNS1_25segmented_radix_sort_implINS0_14default_configELb0EPKsPsPKlPlN2at6native12_GLOBAL__N_18offset_tEEE10hipError_tPvRmT1_PNSt15iterator_traitsISY_E10value_typeET2_T3_PNSZ_IS14_E10value_typeET4_jRbjT5_S1A_jjP12ihipStream_tbEUljE_EEESV_SW_SX_S14_S18_S1A_T6_T7_T9_mT8_S1C_bDpT10_ENKUlT_T0_E_clISt17integral_constantIbLb1EES1O_IbLb0EEEEDaS1K_S1L_EUlS1K_E_NS1_11comp_targetILNS1_3genE5ELNS1_11target_archE942ELNS1_3gpuE9ELNS1_3repE0EEENS1_30default_config_static_selectorELNS0_4arch9wavefront6targetE0EEEvSY_
                                        ; -- End function
	.set _ZN7rocprim17ROCPRIM_400000_NS6detail17trampoline_kernelINS0_13select_configILj256ELj13ELNS0_17block_load_methodE3ELS4_3ELS4_3ELNS0_20block_scan_algorithmE0ELj4294967295EEENS1_25partition_config_selectorILNS1_17partition_subalgoE3EjNS0_10empty_typeEbEEZZNS1_14partition_implILS8_3ELb0ES6_jNS0_17counting_iteratorIjlEEPS9_SE_NS0_5tupleIJPjSE_EEENSF_IJSE_SE_EEES9_SG_JZNS1_25segmented_radix_sort_implINS0_14default_configELb0EPKsPsPKlPlN2at6native12_GLOBAL__N_18offset_tEEE10hipError_tPvRmT1_PNSt15iterator_traitsISY_E10value_typeET2_T3_PNSZ_IS14_E10value_typeET4_jRbjT5_S1A_jjP12ihipStream_tbEUljE_EEESV_SW_SX_S14_S18_S1A_T6_T7_T9_mT8_S1C_bDpT10_ENKUlT_T0_E_clISt17integral_constantIbLb1EES1O_IbLb0EEEEDaS1K_S1L_EUlS1K_E_NS1_11comp_targetILNS1_3genE5ELNS1_11target_archE942ELNS1_3gpuE9ELNS1_3repE0EEENS1_30default_config_static_selectorELNS0_4arch9wavefront6targetE0EEEvSY_.num_vgpr, 0
	.set _ZN7rocprim17ROCPRIM_400000_NS6detail17trampoline_kernelINS0_13select_configILj256ELj13ELNS0_17block_load_methodE3ELS4_3ELS4_3ELNS0_20block_scan_algorithmE0ELj4294967295EEENS1_25partition_config_selectorILNS1_17partition_subalgoE3EjNS0_10empty_typeEbEEZZNS1_14partition_implILS8_3ELb0ES6_jNS0_17counting_iteratorIjlEEPS9_SE_NS0_5tupleIJPjSE_EEENSF_IJSE_SE_EEES9_SG_JZNS1_25segmented_radix_sort_implINS0_14default_configELb0EPKsPsPKlPlN2at6native12_GLOBAL__N_18offset_tEEE10hipError_tPvRmT1_PNSt15iterator_traitsISY_E10value_typeET2_T3_PNSZ_IS14_E10value_typeET4_jRbjT5_S1A_jjP12ihipStream_tbEUljE_EEESV_SW_SX_S14_S18_S1A_T6_T7_T9_mT8_S1C_bDpT10_ENKUlT_T0_E_clISt17integral_constantIbLb1EES1O_IbLb0EEEEDaS1K_S1L_EUlS1K_E_NS1_11comp_targetILNS1_3genE5ELNS1_11target_archE942ELNS1_3gpuE9ELNS1_3repE0EEENS1_30default_config_static_selectorELNS0_4arch9wavefront6targetE0EEEvSY_.num_agpr, 0
	.set _ZN7rocprim17ROCPRIM_400000_NS6detail17trampoline_kernelINS0_13select_configILj256ELj13ELNS0_17block_load_methodE3ELS4_3ELS4_3ELNS0_20block_scan_algorithmE0ELj4294967295EEENS1_25partition_config_selectorILNS1_17partition_subalgoE3EjNS0_10empty_typeEbEEZZNS1_14partition_implILS8_3ELb0ES6_jNS0_17counting_iteratorIjlEEPS9_SE_NS0_5tupleIJPjSE_EEENSF_IJSE_SE_EEES9_SG_JZNS1_25segmented_radix_sort_implINS0_14default_configELb0EPKsPsPKlPlN2at6native12_GLOBAL__N_18offset_tEEE10hipError_tPvRmT1_PNSt15iterator_traitsISY_E10value_typeET2_T3_PNSZ_IS14_E10value_typeET4_jRbjT5_S1A_jjP12ihipStream_tbEUljE_EEESV_SW_SX_S14_S18_S1A_T6_T7_T9_mT8_S1C_bDpT10_ENKUlT_T0_E_clISt17integral_constantIbLb1EES1O_IbLb0EEEEDaS1K_S1L_EUlS1K_E_NS1_11comp_targetILNS1_3genE5ELNS1_11target_archE942ELNS1_3gpuE9ELNS1_3repE0EEENS1_30default_config_static_selectorELNS0_4arch9wavefront6targetE0EEEvSY_.numbered_sgpr, 0
	.set _ZN7rocprim17ROCPRIM_400000_NS6detail17trampoline_kernelINS0_13select_configILj256ELj13ELNS0_17block_load_methodE3ELS4_3ELS4_3ELNS0_20block_scan_algorithmE0ELj4294967295EEENS1_25partition_config_selectorILNS1_17partition_subalgoE3EjNS0_10empty_typeEbEEZZNS1_14partition_implILS8_3ELb0ES6_jNS0_17counting_iteratorIjlEEPS9_SE_NS0_5tupleIJPjSE_EEENSF_IJSE_SE_EEES9_SG_JZNS1_25segmented_radix_sort_implINS0_14default_configELb0EPKsPsPKlPlN2at6native12_GLOBAL__N_18offset_tEEE10hipError_tPvRmT1_PNSt15iterator_traitsISY_E10value_typeET2_T3_PNSZ_IS14_E10value_typeET4_jRbjT5_S1A_jjP12ihipStream_tbEUljE_EEESV_SW_SX_S14_S18_S1A_T6_T7_T9_mT8_S1C_bDpT10_ENKUlT_T0_E_clISt17integral_constantIbLb1EES1O_IbLb0EEEEDaS1K_S1L_EUlS1K_E_NS1_11comp_targetILNS1_3genE5ELNS1_11target_archE942ELNS1_3gpuE9ELNS1_3repE0EEENS1_30default_config_static_selectorELNS0_4arch9wavefront6targetE0EEEvSY_.num_named_barrier, 0
	.set _ZN7rocprim17ROCPRIM_400000_NS6detail17trampoline_kernelINS0_13select_configILj256ELj13ELNS0_17block_load_methodE3ELS4_3ELS4_3ELNS0_20block_scan_algorithmE0ELj4294967295EEENS1_25partition_config_selectorILNS1_17partition_subalgoE3EjNS0_10empty_typeEbEEZZNS1_14partition_implILS8_3ELb0ES6_jNS0_17counting_iteratorIjlEEPS9_SE_NS0_5tupleIJPjSE_EEENSF_IJSE_SE_EEES9_SG_JZNS1_25segmented_radix_sort_implINS0_14default_configELb0EPKsPsPKlPlN2at6native12_GLOBAL__N_18offset_tEEE10hipError_tPvRmT1_PNSt15iterator_traitsISY_E10value_typeET2_T3_PNSZ_IS14_E10value_typeET4_jRbjT5_S1A_jjP12ihipStream_tbEUljE_EEESV_SW_SX_S14_S18_S1A_T6_T7_T9_mT8_S1C_bDpT10_ENKUlT_T0_E_clISt17integral_constantIbLb1EES1O_IbLb0EEEEDaS1K_S1L_EUlS1K_E_NS1_11comp_targetILNS1_3genE5ELNS1_11target_archE942ELNS1_3gpuE9ELNS1_3repE0EEENS1_30default_config_static_selectorELNS0_4arch9wavefront6targetE0EEEvSY_.private_seg_size, 0
	.set _ZN7rocprim17ROCPRIM_400000_NS6detail17trampoline_kernelINS0_13select_configILj256ELj13ELNS0_17block_load_methodE3ELS4_3ELS4_3ELNS0_20block_scan_algorithmE0ELj4294967295EEENS1_25partition_config_selectorILNS1_17partition_subalgoE3EjNS0_10empty_typeEbEEZZNS1_14partition_implILS8_3ELb0ES6_jNS0_17counting_iteratorIjlEEPS9_SE_NS0_5tupleIJPjSE_EEENSF_IJSE_SE_EEES9_SG_JZNS1_25segmented_radix_sort_implINS0_14default_configELb0EPKsPsPKlPlN2at6native12_GLOBAL__N_18offset_tEEE10hipError_tPvRmT1_PNSt15iterator_traitsISY_E10value_typeET2_T3_PNSZ_IS14_E10value_typeET4_jRbjT5_S1A_jjP12ihipStream_tbEUljE_EEESV_SW_SX_S14_S18_S1A_T6_T7_T9_mT8_S1C_bDpT10_ENKUlT_T0_E_clISt17integral_constantIbLb1EES1O_IbLb0EEEEDaS1K_S1L_EUlS1K_E_NS1_11comp_targetILNS1_3genE5ELNS1_11target_archE942ELNS1_3gpuE9ELNS1_3repE0EEENS1_30default_config_static_selectorELNS0_4arch9wavefront6targetE0EEEvSY_.uses_vcc, 0
	.set _ZN7rocprim17ROCPRIM_400000_NS6detail17trampoline_kernelINS0_13select_configILj256ELj13ELNS0_17block_load_methodE3ELS4_3ELS4_3ELNS0_20block_scan_algorithmE0ELj4294967295EEENS1_25partition_config_selectorILNS1_17partition_subalgoE3EjNS0_10empty_typeEbEEZZNS1_14partition_implILS8_3ELb0ES6_jNS0_17counting_iteratorIjlEEPS9_SE_NS0_5tupleIJPjSE_EEENSF_IJSE_SE_EEES9_SG_JZNS1_25segmented_radix_sort_implINS0_14default_configELb0EPKsPsPKlPlN2at6native12_GLOBAL__N_18offset_tEEE10hipError_tPvRmT1_PNSt15iterator_traitsISY_E10value_typeET2_T3_PNSZ_IS14_E10value_typeET4_jRbjT5_S1A_jjP12ihipStream_tbEUljE_EEESV_SW_SX_S14_S18_S1A_T6_T7_T9_mT8_S1C_bDpT10_ENKUlT_T0_E_clISt17integral_constantIbLb1EES1O_IbLb0EEEEDaS1K_S1L_EUlS1K_E_NS1_11comp_targetILNS1_3genE5ELNS1_11target_archE942ELNS1_3gpuE9ELNS1_3repE0EEENS1_30default_config_static_selectorELNS0_4arch9wavefront6targetE0EEEvSY_.uses_flat_scratch, 0
	.set _ZN7rocprim17ROCPRIM_400000_NS6detail17trampoline_kernelINS0_13select_configILj256ELj13ELNS0_17block_load_methodE3ELS4_3ELS4_3ELNS0_20block_scan_algorithmE0ELj4294967295EEENS1_25partition_config_selectorILNS1_17partition_subalgoE3EjNS0_10empty_typeEbEEZZNS1_14partition_implILS8_3ELb0ES6_jNS0_17counting_iteratorIjlEEPS9_SE_NS0_5tupleIJPjSE_EEENSF_IJSE_SE_EEES9_SG_JZNS1_25segmented_radix_sort_implINS0_14default_configELb0EPKsPsPKlPlN2at6native12_GLOBAL__N_18offset_tEEE10hipError_tPvRmT1_PNSt15iterator_traitsISY_E10value_typeET2_T3_PNSZ_IS14_E10value_typeET4_jRbjT5_S1A_jjP12ihipStream_tbEUljE_EEESV_SW_SX_S14_S18_S1A_T6_T7_T9_mT8_S1C_bDpT10_ENKUlT_T0_E_clISt17integral_constantIbLb1EES1O_IbLb0EEEEDaS1K_S1L_EUlS1K_E_NS1_11comp_targetILNS1_3genE5ELNS1_11target_archE942ELNS1_3gpuE9ELNS1_3repE0EEENS1_30default_config_static_selectorELNS0_4arch9wavefront6targetE0EEEvSY_.has_dyn_sized_stack, 0
	.set _ZN7rocprim17ROCPRIM_400000_NS6detail17trampoline_kernelINS0_13select_configILj256ELj13ELNS0_17block_load_methodE3ELS4_3ELS4_3ELNS0_20block_scan_algorithmE0ELj4294967295EEENS1_25partition_config_selectorILNS1_17partition_subalgoE3EjNS0_10empty_typeEbEEZZNS1_14partition_implILS8_3ELb0ES6_jNS0_17counting_iteratorIjlEEPS9_SE_NS0_5tupleIJPjSE_EEENSF_IJSE_SE_EEES9_SG_JZNS1_25segmented_radix_sort_implINS0_14default_configELb0EPKsPsPKlPlN2at6native12_GLOBAL__N_18offset_tEEE10hipError_tPvRmT1_PNSt15iterator_traitsISY_E10value_typeET2_T3_PNSZ_IS14_E10value_typeET4_jRbjT5_S1A_jjP12ihipStream_tbEUljE_EEESV_SW_SX_S14_S18_S1A_T6_T7_T9_mT8_S1C_bDpT10_ENKUlT_T0_E_clISt17integral_constantIbLb1EES1O_IbLb0EEEEDaS1K_S1L_EUlS1K_E_NS1_11comp_targetILNS1_3genE5ELNS1_11target_archE942ELNS1_3gpuE9ELNS1_3repE0EEENS1_30default_config_static_selectorELNS0_4arch9wavefront6targetE0EEEvSY_.has_recursion, 0
	.set _ZN7rocprim17ROCPRIM_400000_NS6detail17trampoline_kernelINS0_13select_configILj256ELj13ELNS0_17block_load_methodE3ELS4_3ELS4_3ELNS0_20block_scan_algorithmE0ELj4294967295EEENS1_25partition_config_selectorILNS1_17partition_subalgoE3EjNS0_10empty_typeEbEEZZNS1_14partition_implILS8_3ELb0ES6_jNS0_17counting_iteratorIjlEEPS9_SE_NS0_5tupleIJPjSE_EEENSF_IJSE_SE_EEES9_SG_JZNS1_25segmented_radix_sort_implINS0_14default_configELb0EPKsPsPKlPlN2at6native12_GLOBAL__N_18offset_tEEE10hipError_tPvRmT1_PNSt15iterator_traitsISY_E10value_typeET2_T3_PNSZ_IS14_E10value_typeET4_jRbjT5_S1A_jjP12ihipStream_tbEUljE_EEESV_SW_SX_S14_S18_S1A_T6_T7_T9_mT8_S1C_bDpT10_ENKUlT_T0_E_clISt17integral_constantIbLb1EES1O_IbLb0EEEEDaS1K_S1L_EUlS1K_E_NS1_11comp_targetILNS1_3genE5ELNS1_11target_archE942ELNS1_3gpuE9ELNS1_3repE0EEENS1_30default_config_static_selectorELNS0_4arch9wavefront6targetE0EEEvSY_.has_indirect_call, 0
	.section	.AMDGPU.csdata,"",@progbits
; Kernel info:
; codeLenInByte = 0
; TotalNumSgprs: 0
; NumVgprs: 0
; ScratchSize: 0
; MemoryBound: 0
; FloatMode: 240
; IeeeMode: 1
; LDSByteSize: 0 bytes/workgroup (compile time only)
; SGPRBlocks: 0
; VGPRBlocks: 0
; NumSGPRsForWavesPerEU: 1
; NumVGPRsForWavesPerEU: 1
; Occupancy: 16
; WaveLimiterHint : 0
; COMPUTE_PGM_RSRC2:SCRATCH_EN: 0
; COMPUTE_PGM_RSRC2:USER_SGPR: 2
; COMPUTE_PGM_RSRC2:TRAP_HANDLER: 0
; COMPUTE_PGM_RSRC2:TGID_X_EN: 1
; COMPUTE_PGM_RSRC2:TGID_Y_EN: 0
; COMPUTE_PGM_RSRC2:TGID_Z_EN: 0
; COMPUTE_PGM_RSRC2:TIDIG_COMP_CNT: 0
	.section	.text._ZN7rocprim17ROCPRIM_400000_NS6detail17trampoline_kernelINS0_13select_configILj256ELj13ELNS0_17block_load_methodE3ELS4_3ELS4_3ELNS0_20block_scan_algorithmE0ELj4294967295EEENS1_25partition_config_selectorILNS1_17partition_subalgoE3EjNS0_10empty_typeEbEEZZNS1_14partition_implILS8_3ELb0ES6_jNS0_17counting_iteratorIjlEEPS9_SE_NS0_5tupleIJPjSE_EEENSF_IJSE_SE_EEES9_SG_JZNS1_25segmented_radix_sort_implINS0_14default_configELb0EPKsPsPKlPlN2at6native12_GLOBAL__N_18offset_tEEE10hipError_tPvRmT1_PNSt15iterator_traitsISY_E10value_typeET2_T3_PNSZ_IS14_E10value_typeET4_jRbjT5_S1A_jjP12ihipStream_tbEUljE_EEESV_SW_SX_S14_S18_S1A_T6_T7_T9_mT8_S1C_bDpT10_ENKUlT_T0_E_clISt17integral_constantIbLb1EES1O_IbLb0EEEEDaS1K_S1L_EUlS1K_E_NS1_11comp_targetILNS1_3genE4ELNS1_11target_archE910ELNS1_3gpuE8ELNS1_3repE0EEENS1_30default_config_static_selectorELNS0_4arch9wavefront6targetE0EEEvSY_,"axG",@progbits,_ZN7rocprim17ROCPRIM_400000_NS6detail17trampoline_kernelINS0_13select_configILj256ELj13ELNS0_17block_load_methodE3ELS4_3ELS4_3ELNS0_20block_scan_algorithmE0ELj4294967295EEENS1_25partition_config_selectorILNS1_17partition_subalgoE3EjNS0_10empty_typeEbEEZZNS1_14partition_implILS8_3ELb0ES6_jNS0_17counting_iteratorIjlEEPS9_SE_NS0_5tupleIJPjSE_EEENSF_IJSE_SE_EEES9_SG_JZNS1_25segmented_radix_sort_implINS0_14default_configELb0EPKsPsPKlPlN2at6native12_GLOBAL__N_18offset_tEEE10hipError_tPvRmT1_PNSt15iterator_traitsISY_E10value_typeET2_T3_PNSZ_IS14_E10value_typeET4_jRbjT5_S1A_jjP12ihipStream_tbEUljE_EEESV_SW_SX_S14_S18_S1A_T6_T7_T9_mT8_S1C_bDpT10_ENKUlT_T0_E_clISt17integral_constantIbLb1EES1O_IbLb0EEEEDaS1K_S1L_EUlS1K_E_NS1_11comp_targetILNS1_3genE4ELNS1_11target_archE910ELNS1_3gpuE8ELNS1_3repE0EEENS1_30default_config_static_selectorELNS0_4arch9wavefront6targetE0EEEvSY_,comdat
	.globl	_ZN7rocprim17ROCPRIM_400000_NS6detail17trampoline_kernelINS0_13select_configILj256ELj13ELNS0_17block_load_methodE3ELS4_3ELS4_3ELNS0_20block_scan_algorithmE0ELj4294967295EEENS1_25partition_config_selectorILNS1_17partition_subalgoE3EjNS0_10empty_typeEbEEZZNS1_14partition_implILS8_3ELb0ES6_jNS0_17counting_iteratorIjlEEPS9_SE_NS0_5tupleIJPjSE_EEENSF_IJSE_SE_EEES9_SG_JZNS1_25segmented_radix_sort_implINS0_14default_configELb0EPKsPsPKlPlN2at6native12_GLOBAL__N_18offset_tEEE10hipError_tPvRmT1_PNSt15iterator_traitsISY_E10value_typeET2_T3_PNSZ_IS14_E10value_typeET4_jRbjT5_S1A_jjP12ihipStream_tbEUljE_EEESV_SW_SX_S14_S18_S1A_T6_T7_T9_mT8_S1C_bDpT10_ENKUlT_T0_E_clISt17integral_constantIbLb1EES1O_IbLb0EEEEDaS1K_S1L_EUlS1K_E_NS1_11comp_targetILNS1_3genE4ELNS1_11target_archE910ELNS1_3gpuE8ELNS1_3repE0EEENS1_30default_config_static_selectorELNS0_4arch9wavefront6targetE0EEEvSY_ ; -- Begin function _ZN7rocprim17ROCPRIM_400000_NS6detail17trampoline_kernelINS0_13select_configILj256ELj13ELNS0_17block_load_methodE3ELS4_3ELS4_3ELNS0_20block_scan_algorithmE0ELj4294967295EEENS1_25partition_config_selectorILNS1_17partition_subalgoE3EjNS0_10empty_typeEbEEZZNS1_14partition_implILS8_3ELb0ES6_jNS0_17counting_iteratorIjlEEPS9_SE_NS0_5tupleIJPjSE_EEENSF_IJSE_SE_EEES9_SG_JZNS1_25segmented_radix_sort_implINS0_14default_configELb0EPKsPsPKlPlN2at6native12_GLOBAL__N_18offset_tEEE10hipError_tPvRmT1_PNSt15iterator_traitsISY_E10value_typeET2_T3_PNSZ_IS14_E10value_typeET4_jRbjT5_S1A_jjP12ihipStream_tbEUljE_EEESV_SW_SX_S14_S18_S1A_T6_T7_T9_mT8_S1C_bDpT10_ENKUlT_T0_E_clISt17integral_constantIbLb1EES1O_IbLb0EEEEDaS1K_S1L_EUlS1K_E_NS1_11comp_targetILNS1_3genE4ELNS1_11target_archE910ELNS1_3gpuE8ELNS1_3repE0EEENS1_30default_config_static_selectorELNS0_4arch9wavefront6targetE0EEEvSY_
	.p2align	8
	.type	_ZN7rocprim17ROCPRIM_400000_NS6detail17trampoline_kernelINS0_13select_configILj256ELj13ELNS0_17block_load_methodE3ELS4_3ELS4_3ELNS0_20block_scan_algorithmE0ELj4294967295EEENS1_25partition_config_selectorILNS1_17partition_subalgoE3EjNS0_10empty_typeEbEEZZNS1_14partition_implILS8_3ELb0ES6_jNS0_17counting_iteratorIjlEEPS9_SE_NS0_5tupleIJPjSE_EEENSF_IJSE_SE_EEES9_SG_JZNS1_25segmented_radix_sort_implINS0_14default_configELb0EPKsPsPKlPlN2at6native12_GLOBAL__N_18offset_tEEE10hipError_tPvRmT1_PNSt15iterator_traitsISY_E10value_typeET2_T3_PNSZ_IS14_E10value_typeET4_jRbjT5_S1A_jjP12ihipStream_tbEUljE_EEESV_SW_SX_S14_S18_S1A_T6_T7_T9_mT8_S1C_bDpT10_ENKUlT_T0_E_clISt17integral_constantIbLb1EES1O_IbLb0EEEEDaS1K_S1L_EUlS1K_E_NS1_11comp_targetILNS1_3genE4ELNS1_11target_archE910ELNS1_3gpuE8ELNS1_3repE0EEENS1_30default_config_static_selectorELNS0_4arch9wavefront6targetE0EEEvSY_,@function
_ZN7rocprim17ROCPRIM_400000_NS6detail17trampoline_kernelINS0_13select_configILj256ELj13ELNS0_17block_load_methodE3ELS4_3ELS4_3ELNS0_20block_scan_algorithmE0ELj4294967295EEENS1_25partition_config_selectorILNS1_17partition_subalgoE3EjNS0_10empty_typeEbEEZZNS1_14partition_implILS8_3ELb0ES6_jNS0_17counting_iteratorIjlEEPS9_SE_NS0_5tupleIJPjSE_EEENSF_IJSE_SE_EEES9_SG_JZNS1_25segmented_radix_sort_implINS0_14default_configELb0EPKsPsPKlPlN2at6native12_GLOBAL__N_18offset_tEEE10hipError_tPvRmT1_PNSt15iterator_traitsISY_E10value_typeET2_T3_PNSZ_IS14_E10value_typeET4_jRbjT5_S1A_jjP12ihipStream_tbEUljE_EEESV_SW_SX_S14_S18_S1A_T6_T7_T9_mT8_S1C_bDpT10_ENKUlT_T0_E_clISt17integral_constantIbLb1EES1O_IbLb0EEEEDaS1K_S1L_EUlS1K_E_NS1_11comp_targetILNS1_3genE4ELNS1_11target_archE910ELNS1_3gpuE8ELNS1_3repE0EEENS1_30default_config_static_selectorELNS0_4arch9wavefront6targetE0EEEvSY_: ; @_ZN7rocprim17ROCPRIM_400000_NS6detail17trampoline_kernelINS0_13select_configILj256ELj13ELNS0_17block_load_methodE3ELS4_3ELS4_3ELNS0_20block_scan_algorithmE0ELj4294967295EEENS1_25partition_config_selectorILNS1_17partition_subalgoE3EjNS0_10empty_typeEbEEZZNS1_14partition_implILS8_3ELb0ES6_jNS0_17counting_iteratorIjlEEPS9_SE_NS0_5tupleIJPjSE_EEENSF_IJSE_SE_EEES9_SG_JZNS1_25segmented_radix_sort_implINS0_14default_configELb0EPKsPsPKlPlN2at6native12_GLOBAL__N_18offset_tEEE10hipError_tPvRmT1_PNSt15iterator_traitsISY_E10value_typeET2_T3_PNSZ_IS14_E10value_typeET4_jRbjT5_S1A_jjP12ihipStream_tbEUljE_EEESV_SW_SX_S14_S18_S1A_T6_T7_T9_mT8_S1C_bDpT10_ENKUlT_T0_E_clISt17integral_constantIbLb1EES1O_IbLb0EEEEDaS1K_S1L_EUlS1K_E_NS1_11comp_targetILNS1_3genE4ELNS1_11target_archE910ELNS1_3gpuE8ELNS1_3repE0EEENS1_30default_config_static_selectorELNS0_4arch9wavefront6targetE0EEEvSY_
; %bb.0:
	.section	.rodata,"a",@progbits
	.p2align	6, 0x0
	.amdhsa_kernel _ZN7rocprim17ROCPRIM_400000_NS6detail17trampoline_kernelINS0_13select_configILj256ELj13ELNS0_17block_load_methodE3ELS4_3ELS4_3ELNS0_20block_scan_algorithmE0ELj4294967295EEENS1_25partition_config_selectorILNS1_17partition_subalgoE3EjNS0_10empty_typeEbEEZZNS1_14partition_implILS8_3ELb0ES6_jNS0_17counting_iteratorIjlEEPS9_SE_NS0_5tupleIJPjSE_EEENSF_IJSE_SE_EEES9_SG_JZNS1_25segmented_radix_sort_implINS0_14default_configELb0EPKsPsPKlPlN2at6native12_GLOBAL__N_18offset_tEEE10hipError_tPvRmT1_PNSt15iterator_traitsISY_E10value_typeET2_T3_PNSZ_IS14_E10value_typeET4_jRbjT5_S1A_jjP12ihipStream_tbEUljE_EEESV_SW_SX_S14_S18_S1A_T6_T7_T9_mT8_S1C_bDpT10_ENKUlT_T0_E_clISt17integral_constantIbLb1EES1O_IbLb0EEEEDaS1K_S1L_EUlS1K_E_NS1_11comp_targetILNS1_3genE4ELNS1_11target_archE910ELNS1_3gpuE8ELNS1_3repE0EEENS1_30default_config_static_selectorELNS0_4arch9wavefront6targetE0EEEvSY_
		.amdhsa_group_segment_fixed_size 0
		.amdhsa_private_segment_fixed_size 0
		.amdhsa_kernarg_size 144
		.amdhsa_user_sgpr_count 2
		.amdhsa_user_sgpr_dispatch_ptr 0
		.amdhsa_user_sgpr_queue_ptr 0
		.amdhsa_user_sgpr_kernarg_segment_ptr 1
		.amdhsa_user_sgpr_dispatch_id 0
		.amdhsa_user_sgpr_private_segment_size 0
		.amdhsa_wavefront_size32 1
		.amdhsa_uses_dynamic_stack 0
		.amdhsa_enable_private_segment 0
		.amdhsa_system_sgpr_workgroup_id_x 1
		.amdhsa_system_sgpr_workgroup_id_y 0
		.amdhsa_system_sgpr_workgroup_id_z 0
		.amdhsa_system_sgpr_workgroup_info 0
		.amdhsa_system_vgpr_workitem_id 0
		.amdhsa_next_free_vgpr 1
		.amdhsa_next_free_sgpr 1
		.amdhsa_reserve_vcc 0
		.amdhsa_float_round_mode_32 0
		.amdhsa_float_round_mode_16_64 0
		.amdhsa_float_denorm_mode_32 3
		.amdhsa_float_denorm_mode_16_64 3
		.amdhsa_fp16_overflow 0
		.amdhsa_workgroup_processor_mode 1
		.amdhsa_memory_ordered 1
		.amdhsa_forward_progress 1
		.amdhsa_inst_pref_size 0
		.amdhsa_round_robin_scheduling 0
		.amdhsa_exception_fp_ieee_invalid_op 0
		.amdhsa_exception_fp_denorm_src 0
		.amdhsa_exception_fp_ieee_div_zero 0
		.amdhsa_exception_fp_ieee_overflow 0
		.amdhsa_exception_fp_ieee_underflow 0
		.amdhsa_exception_fp_ieee_inexact 0
		.amdhsa_exception_int_div_zero 0
	.end_amdhsa_kernel
	.section	.text._ZN7rocprim17ROCPRIM_400000_NS6detail17trampoline_kernelINS0_13select_configILj256ELj13ELNS0_17block_load_methodE3ELS4_3ELS4_3ELNS0_20block_scan_algorithmE0ELj4294967295EEENS1_25partition_config_selectorILNS1_17partition_subalgoE3EjNS0_10empty_typeEbEEZZNS1_14partition_implILS8_3ELb0ES6_jNS0_17counting_iteratorIjlEEPS9_SE_NS0_5tupleIJPjSE_EEENSF_IJSE_SE_EEES9_SG_JZNS1_25segmented_radix_sort_implINS0_14default_configELb0EPKsPsPKlPlN2at6native12_GLOBAL__N_18offset_tEEE10hipError_tPvRmT1_PNSt15iterator_traitsISY_E10value_typeET2_T3_PNSZ_IS14_E10value_typeET4_jRbjT5_S1A_jjP12ihipStream_tbEUljE_EEESV_SW_SX_S14_S18_S1A_T6_T7_T9_mT8_S1C_bDpT10_ENKUlT_T0_E_clISt17integral_constantIbLb1EES1O_IbLb0EEEEDaS1K_S1L_EUlS1K_E_NS1_11comp_targetILNS1_3genE4ELNS1_11target_archE910ELNS1_3gpuE8ELNS1_3repE0EEENS1_30default_config_static_selectorELNS0_4arch9wavefront6targetE0EEEvSY_,"axG",@progbits,_ZN7rocprim17ROCPRIM_400000_NS6detail17trampoline_kernelINS0_13select_configILj256ELj13ELNS0_17block_load_methodE3ELS4_3ELS4_3ELNS0_20block_scan_algorithmE0ELj4294967295EEENS1_25partition_config_selectorILNS1_17partition_subalgoE3EjNS0_10empty_typeEbEEZZNS1_14partition_implILS8_3ELb0ES6_jNS0_17counting_iteratorIjlEEPS9_SE_NS0_5tupleIJPjSE_EEENSF_IJSE_SE_EEES9_SG_JZNS1_25segmented_radix_sort_implINS0_14default_configELb0EPKsPsPKlPlN2at6native12_GLOBAL__N_18offset_tEEE10hipError_tPvRmT1_PNSt15iterator_traitsISY_E10value_typeET2_T3_PNSZ_IS14_E10value_typeET4_jRbjT5_S1A_jjP12ihipStream_tbEUljE_EEESV_SW_SX_S14_S18_S1A_T6_T7_T9_mT8_S1C_bDpT10_ENKUlT_T0_E_clISt17integral_constantIbLb1EES1O_IbLb0EEEEDaS1K_S1L_EUlS1K_E_NS1_11comp_targetILNS1_3genE4ELNS1_11target_archE910ELNS1_3gpuE8ELNS1_3repE0EEENS1_30default_config_static_selectorELNS0_4arch9wavefront6targetE0EEEvSY_,comdat
.Lfunc_end1000:
	.size	_ZN7rocprim17ROCPRIM_400000_NS6detail17trampoline_kernelINS0_13select_configILj256ELj13ELNS0_17block_load_methodE3ELS4_3ELS4_3ELNS0_20block_scan_algorithmE0ELj4294967295EEENS1_25partition_config_selectorILNS1_17partition_subalgoE3EjNS0_10empty_typeEbEEZZNS1_14partition_implILS8_3ELb0ES6_jNS0_17counting_iteratorIjlEEPS9_SE_NS0_5tupleIJPjSE_EEENSF_IJSE_SE_EEES9_SG_JZNS1_25segmented_radix_sort_implINS0_14default_configELb0EPKsPsPKlPlN2at6native12_GLOBAL__N_18offset_tEEE10hipError_tPvRmT1_PNSt15iterator_traitsISY_E10value_typeET2_T3_PNSZ_IS14_E10value_typeET4_jRbjT5_S1A_jjP12ihipStream_tbEUljE_EEESV_SW_SX_S14_S18_S1A_T6_T7_T9_mT8_S1C_bDpT10_ENKUlT_T0_E_clISt17integral_constantIbLb1EES1O_IbLb0EEEEDaS1K_S1L_EUlS1K_E_NS1_11comp_targetILNS1_3genE4ELNS1_11target_archE910ELNS1_3gpuE8ELNS1_3repE0EEENS1_30default_config_static_selectorELNS0_4arch9wavefront6targetE0EEEvSY_, .Lfunc_end1000-_ZN7rocprim17ROCPRIM_400000_NS6detail17trampoline_kernelINS0_13select_configILj256ELj13ELNS0_17block_load_methodE3ELS4_3ELS4_3ELNS0_20block_scan_algorithmE0ELj4294967295EEENS1_25partition_config_selectorILNS1_17partition_subalgoE3EjNS0_10empty_typeEbEEZZNS1_14partition_implILS8_3ELb0ES6_jNS0_17counting_iteratorIjlEEPS9_SE_NS0_5tupleIJPjSE_EEENSF_IJSE_SE_EEES9_SG_JZNS1_25segmented_radix_sort_implINS0_14default_configELb0EPKsPsPKlPlN2at6native12_GLOBAL__N_18offset_tEEE10hipError_tPvRmT1_PNSt15iterator_traitsISY_E10value_typeET2_T3_PNSZ_IS14_E10value_typeET4_jRbjT5_S1A_jjP12ihipStream_tbEUljE_EEESV_SW_SX_S14_S18_S1A_T6_T7_T9_mT8_S1C_bDpT10_ENKUlT_T0_E_clISt17integral_constantIbLb1EES1O_IbLb0EEEEDaS1K_S1L_EUlS1K_E_NS1_11comp_targetILNS1_3genE4ELNS1_11target_archE910ELNS1_3gpuE8ELNS1_3repE0EEENS1_30default_config_static_selectorELNS0_4arch9wavefront6targetE0EEEvSY_
                                        ; -- End function
	.set _ZN7rocprim17ROCPRIM_400000_NS6detail17trampoline_kernelINS0_13select_configILj256ELj13ELNS0_17block_load_methodE3ELS4_3ELS4_3ELNS0_20block_scan_algorithmE0ELj4294967295EEENS1_25partition_config_selectorILNS1_17partition_subalgoE3EjNS0_10empty_typeEbEEZZNS1_14partition_implILS8_3ELb0ES6_jNS0_17counting_iteratorIjlEEPS9_SE_NS0_5tupleIJPjSE_EEENSF_IJSE_SE_EEES9_SG_JZNS1_25segmented_radix_sort_implINS0_14default_configELb0EPKsPsPKlPlN2at6native12_GLOBAL__N_18offset_tEEE10hipError_tPvRmT1_PNSt15iterator_traitsISY_E10value_typeET2_T3_PNSZ_IS14_E10value_typeET4_jRbjT5_S1A_jjP12ihipStream_tbEUljE_EEESV_SW_SX_S14_S18_S1A_T6_T7_T9_mT8_S1C_bDpT10_ENKUlT_T0_E_clISt17integral_constantIbLb1EES1O_IbLb0EEEEDaS1K_S1L_EUlS1K_E_NS1_11comp_targetILNS1_3genE4ELNS1_11target_archE910ELNS1_3gpuE8ELNS1_3repE0EEENS1_30default_config_static_selectorELNS0_4arch9wavefront6targetE0EEEvSY_.num_vgpr, 0
	.set _ZN7rocprim17ROCPRIM_400000_NS6detail17trampoline_kernelINS0_13select_configILj256ELj13ELNS0_17block_load_methodE3ELS4_3ELS4_3ELNS0_20block_scan_algorithmE0ELj4294967295EEENS1_25partition_config_selectorILNS1_17partition_subalgoE3EjNS0_10empty_typeEbEEZZNS1_14partition_implILS8_3ELb0ES6_jNS0_17counting_iteratorIjlEEPS9_SE_NS0_5tupleIJPjSE_EEENSF_IJSE_SE_EEES9_SG_JZNS1_25segmented_radix_sort_implINS0_14default_configELb0EPKsPsPKlPlN2at6native12_GLOBAL__N_18offset_tEEE10hipError_tPvRmT1_PNSt15iterator_traitsISY_E10value_typeET2_T3_PNSZ_IS14_E10value_typeET4_jRbjT5_S1A_jjP12ihipStream_tbEUljE_EEESV_SW_SX_S14_S18_S1A_T6_T7_T9_mT8_S1C_bDpT10_ENKUlT_T0_E_clISt17integral_constantIbLb1EES1O_IbLb0EEEEDaS1K_S1L_EUlS1K_E_NS1_11comp_targetILNS1_3genE4ELNS1_11target_archE910ELNS1_3gpuE8ELNS1_3repE0EEENS1_30default_config_static_selectorELNS0_4arch9wavefront6targetE0EEEvSY_.num_agpr, 0
	.set _ZN7rocprim17ROCPRIM_400000_NS6detail17trampoline_kernelINS0_13select_configILj256ELj13ELNS0_17block_load_methodE3ELS4_3ELS4_3ELNS0_20block_scan_algorithmE0ELj4294967295EEENS1_25partition_config_selectorILNS1_17partition_subalgoE3EjNS0_10empty_typeEbEEZZNS1_14partition_implILS8_3ELb0ES6_jNS0_17counting_iteratorIjlEEPS9_SE_NS0_5tupleIJPjSE_EEENSF_IJSE_SE_EEES9_SG_JZNS1_25segmented_radix_sort_implINS0_14default_configELb0EPKsPsPKlPlN2at6native12_GLOBAL__N_18offset_tEEE10hipError_tPvRmT1_PNSt15iterator_traitsISY_E10value_typeET2_T3_PNSZ_IS14_E10value_typeET4_jRbjT5_S1A_jjP12ihipStream_tbEUljE_EEESV_SW_SX_S14_S18_S1A_T6_T7_T9_mT8_S1C_bDpT10_ENKUlT_T0_E_clISt17integral_constantIbLb1EES1O_IbLb0EEEEDaS1K_S1L_EUlS1K_E_NS1_11comp_targetILNS1_3genE4ELNS1_11target_archE910ELNS1_3gpuE8ELNS1_3repE0EEENS1_30default_config_static_selectorELNS0_4arch9wavefront6targetE0EEEvSY_.numbered_sgpr, 0
	.set _ZN7rocprim17ROCPRIM_400000_NS6detail17trampoline_kernelINS0_13select_configILj256ELj13ELNS0_17block_load_methodE3ELS4_3ELS4_3ELNS0_20block_scan_algorithmE0ELj4294967295EEENS1_25partition_config_selectorILNS1_17partition_subalgoE3EjNS0_10empty_typeEbEEZZNS1_14partition_implILS8_3ELb0ES6_jNS0_17counting_iteratorIjlEEPS9_SE_NS0_5tupleIJPjSE_EEENSF_IJSE_SE_EEES9_SG_JZNS1_25segmented_radix_sort_implINS0_14default_configELb0EPKsPsPKlPlN2at6native12_GLOBAL__N_18offset_tEEE10hipError_tPvRmT1_PNSt15iterator_traitsISY_E10value_typeET2_T3_PNSZ_IS14_E10value_typeET4_jRbjT5_S1A_jjP12ihipStream_tbEUljE_EEESV_SW_SX_S14_S18_S1A_T6_T7_T9_mT8_S1C_bDpT10_ENKUlT_T0_E_clISt17integral_constantIbLb1EES1O_IbLb0EEEEDaS1K_S1L_EUlS1K_E_NS1_11comp_targetILNS1_3genE4ELNS1_11target_archE910ELNS1_3gpuE8ELNS1_3repE0EEENS1_30default_config_static_selectorELNS0_4arch9wavefront6targetE0EEEvSY_.num_named_barrier, 0
	.set _ZN7rocprim17ROCPRIM_400000_NS6detail17trampoline_kernelINS0_13select_configILj256ELj13ELNS0_17block_load_methodE3ELS4_3ELS4_3ELNS0_20block_scan_algorithmE0ELj4294967295EEENS1_25partition_config_selectorILNS1_17partition_subalgoE3EjNS0_10empty_typeEbEEZZNS1_14partition_implILS8_3ELb0ES6_jNS0_17counting_iteratorIjlEEPS9_SE_NS0_5tupleIJPjSE_EEENSF_IJSE_SE_EEES9_SG_JZNS1_25segmented_radix_sort_implINS0_14default_configELb0EPKsPsPKlPlN2at6native12_GLOBAL__N_18offset_tEEE10hipError_tPvRmT1_PNSt15iterator_traitsISY_E10value_typeET2_T3_PNSZ_IS14_E10value_typeET4_jRbjT5_S1A_jjP12ihipStream_tbEUljE_EEESV_SW_SX_S14_S18_S1A_T6_T7_T9_mT8_S1C_bDpT10_ENKUlT_T0_E_clISt17integral_constantIbLb1EES1O_IbLb0EEEEDaS1K_S1L_EUlS1K_E_NS1_11comp_targetILNS1_3genE4ELNS1_11target_archE910ELNS1_3gpuE8ELNS1_3repE0EEENS1_30default_config_static_selectorELNS0_4arch9wavefront6targetE0EEEvSY_.private_seg_size, 0
	.set _ZN7rocprim17ROCPRIM_400000_NS6detail17trampoline_kernelINS0_13select_configILj256ELj13ELNS0_17block_load_methodE3ELS4_3ELS4_3ELNS0_20block_scan_algorithmE0ELj4294967295EEENS1_25partition_config_selectorILNS1_17partition_subalgoE3EjNS0_10empty_typeEbEEZZNS1_14partition_implILS8_3ELb0ES6_jNS0_17counting_iteratorIjlEEPS9_SE_NS0_5tupleIJPjSE_EEENSF_IJSE_SE_EEES9_SG_JZNS1_25segmented_radix_sort_implINS0_14default_configELb0EPKsPsPKlPlN2at6native12_GLOBAL__N_18offset_tEEE10hipError_tPvRmT1_PNSt15iterator_traitsISY_E10value_typeET2_T3_PNSZ_IS14_E10value_typeET4_jRbjT5_S1A_jjP12ihipStream_tbEUljE_EEESV_SW_SX_S14_S18_S1A_T6_T7_T9_mT8_S1C_bDpT10_ENKUlT_T0_E_clISt17integral_constantIbLb1EES1O_IbLb0EEEEDaS1K_S1L_EUlS1K_E_NS1_11comp_targetILNS1_3genE4ELNS1_11target_archE910ELNS1_3gpuE8ELNS1_3repE0EEENS1_30default_config_static_selectorELNS0_4arch9wavefront6targetE0EEEvSY_.uses_vcc, 0
	.set _ZN7rocprim17ROCPRIM_400000_NS6detail17trampoline_kernelINS0_13select_configILj256ELj13ELNS0_17block_load_methodE3ELS4_3ELS4_3ELNS0_20block_scan_algorithmE0ELj4294967295EEENS1_25partition_config_selectorILNS1_17partition_subalgoE3EjNS0_10empty_typeEbEEZZNS1_14partition_implILS8_3ELb0ES6_jNS0_17counting_iteratorIjlEEPS9_SE_NS0_5tupleIJPjSE_EEENSF_IJSE_SE_EEES9_SG_JZNS1_25segmented_radix_sort_implINS0_14default_configELb0EPKsPsPKlPlN2at6native12_GLOBAL__N_18offset_tEEE10hipError_tPvRmT1_PNSt15iterator_traitsISY_E10value_typeET2_T3_PNSZ_IS14_E10value_typeET4_jRbjT5_S1A_jjP12ihipStream_tbEUljE_EEESV_SW_SX_S14_S18_S1A_T6_T7_T9_mT8_S1C_bDpT10_ENKUlT_T0_E_clISt17integral_constantIbLb1EES1O_IbLb0EEEEDaS1K_S1L_EUlS1K_E_NS1_11comp_targetILNS1_3genE4ELNS1_11target_archE910ELNS1_3gpuE8ELNS1_3repE0EEENS1_30default_config_static_selectorELNS0_4arch9wavefront6targetE0EEEvSY_.uses_flat_scratch, 0
	.set _ZN7rocprim17ROCPRIM_400000_NS6detail17trampoline_kernelINS0_13select_configILj256ELj13ELNS0_17block_load_methodE3ELS4_3ELS4_3ELNS0_20block_scan_algorithmE0ELj4294967295EEENS1_25partition_config_selectorILNS1_17partition_subalgoE3EjNS0_10empty_typeEbEEZZNS1_14partition_implILS8_3ELb0ES6_jNS0_17counting_iteratorIjlEEPS9_SE_NS0_5tupleIJPjSE_EEENSF_IJSE_SE_EEES9_SG_JZNS1_25segmented_radix_sort_implINS0_14default_configELb0EPKsPsPKlPlN2at6native12_GLOBAL__N_18offset_tEEE10hipError_tPvRmT1_PNSt15iterator_traitsISY_E10value_typeET2_T3_PNSZ_IS14_E10value_typeET4_jRbjT5_S1A_jjP12ihipStream_tbEUljE_EEESV_SW_SX_S14_S18_S1A_T6_T7_T9_mT8_S1C_bDpT10_ENKUlT_T0_E_clISt17integral_constantIbLb1EES1O_IbLb0EEEEDaS1K_S1L_EUlS1K_E_NS1_11comp_targetILNS1_3genE4ELNS1_11target_archE910ELNS1_3gpuE8ELNS1_3repE0EEENS1_30default_config_static_selectorELNS0_4arch9wavefront6targetE0EEEvSY_.has_dyn_sized_stack, 0
	.set _ZN7rocprim17ROCPRIM_400000_NS6detail17trampoline_kernelINS0_13select_configILj256ELj13ELNS0_17block_load_methodE3ELS4_3ELS4_3ELNS0_20block_scan_algorithmE0ELj4294967295EEENS1_25partition_config_selectorILNS1_17partition_subalgoE3EjNS0_10empty_typeEbEEZZNS1_14partition_implILS8_3ELb0ES6_jNS0_17counting_iteratorIjlEEPS9_SE_NS0_5tupleIJPjSE_EEENSF_IJSE_SE_EEES9_SG_JZNS1_25segmented_radix_sort_implINS0_14default_configELb0EPKsPsPKlPlN2at6native12_GLOBAL__N_18offset_tEEE10hipError_tPvRmT1_PNSt15iterator_traitsISY_E10value_typeET2_T3_PNSZ_IS14_E10value_typeET4_jRbjT5_S1A_jjP12ihipStream_tbEUljE_EEESV_SW_SX_S14_S18_S1A_T6_T7_T9_mT8_S1C_bDpT10_ENKUlT_T0_E_clISt17integral_constantIbLb1EES1O_IbLb0EEEEDaS1K_S1L_EUlS1K_E_NS1_11comp_targetILNS1_3genE4ELNS1_11target_archE910ELNS1_3gpuE8ELNS1_3repE0EEENS1_30default_config_static_selectorELNS0_4arch9wavefront6targetE0EEEvSY_.has_recursion, 0
	.set _ZN7rocprim17ROCPRIM_400000_NS6detail17trampoline_kernelINS0_13select_configILj256ELj13ELNS0_17block_load_methodE3ELS4_3ELS4_3ELNS0_20block_scan_algorithmE0ELj4294967295EEENS1_25partition_config_selectorILNS1_17partition_subalgoE3EjNS0_10empty_typeEbEEZZNS1_14partition_implILS8_3ELb0ES6_jNS0_17counting_iteratorIjlEEPS9_SE_NS0_5tupleIJPjSE_EEENSF_IJSE_SE_EEES9_SG_JZNS1_25segmented_radix_sort_implINS0_14default_configELb0EPKsPsPKlPlN2at6native12_GLOBAL__N_18offset_tEEE10hipError_tPvRmT1_PNSt15iterator_traitsISY_E10value_typeET2_T3_PNSZ_IS14_E10value_typeET4_jRbjT5_S1A_jjP12ihipStream_tbEUljE_EEESV_SW_SX_S14_S18_S1A_T6_T7_T9_mT8_S1C_bDpT10_ENKUlT_T0_E_clISt17integral_constantIbLb1EES1O_IbLb0EEEEDaS1K_S1L_EUlS1K_E_NS1_11comp_targetILNS1_3genE4ELNS1_11target_archE910ELNS1_3gpuE8ELNS1_3repE0EEENS1_30default_config_static_selectorELNS0_4arch9wavefront6targetE0EEEvSY_.has_indirect_call, 0
	.section	.AMDGPU.csdata,"",@progbits
; Kernel info:
; codeLenInByte = 0
; TotalNumSgprs: 0
; NumVgprs: 0
; ScratchSize: 0
; MemoryBound: 0
; FloatMode: 240
; IeeeMode: 1
; LDSByteSize: 0 bytes/workgroup (compile time only)
; SGPRBlocks: 0
; VGPRBlocks: 0
; NumSGPRsForWavesPerEU: 1
; NumVGPRsForWavesPerEU: 1
; Occupancy: 16
; WaveLimiterHint : 0
; COMPUTE_PGM_RSRC2:SCRATCH_EN: 0
; COMPUTE_PGM_RSRC2:USER_SGPR: 2
; COMPUTE_PGM_RSRC2:TRAP_HANDLER: 0
; COMPUTE_PGM_RSRC2:TGID_X_EN: 1
; COMPUTE_PGM_RSRC2:TGID_Y_EN: 0
; COMPUTE_PGM_RSRC2:TGID_Z_EN: 0
; COMPUTE_PGM_RSRC2:TIDIG_COMP_CNT: 0
	.section	.text._ZN7rocprim17ROCPRIM_400000_NS6detail17trampoline_kernelINS0_13select_configILj256ELj13ELNS0_17block_load_methodE3ELS4_3ELS4_3ELNS0_20block_scan_algorithmE0ELj4294967295EEENS1_25partition_config_selectorILNS1_17partition_subalgoE3EjNS0_10empty_typeEbEEZZNS1_14partition_implILS8_3ELb0ES6_jNS0_17counting_iteratorIjlEEPS9_SE_NS0_5tupleIJPjSE_EEENSF_IJSE_SE_EEES9_SG_JZNS1_25segmented_radix_sort_implINS0_14default_configELb0EPKsPsPKlPlN2at6native12_GLOBAL__N_18offset_tEEE10hipError_tPvRmT1_PNSt15iterator_traitsISY_E10value_typeET2_T3_PNSZ_IS14_E10value_typeET4_jRbjT5_S1A_jjP12ihipStream_tbEUljE_EEESV_SW_SX_S14_S18_S1A_T6_T7_T9_mT8_S1C_bDpT10_ENKUlT_T0_E_clISt17integral_constantIbLb1EES1O_IbLb0EEEEDaS1K_S1L_EUlS1K_E_NS1_11comp_targetILNS1_3genE3ELNS1_11target_archE908ELNS1_3gpuE7ELNS1_3repE0EEENS1_30default_config_static_selectorELNS0_4arch9wavefront6targetE0EEEvSY_,"axG",@progbits,_ZN7rocprim17ROCPRIM_400000_NS6detail17trampoline_kernelINS0_13select_configILj256ELj13ELNS0_17block_load_methodE3ELS4_3ELS4_3ELNS0_20block_scan_algorithmE0ELj4294967295EEENS1_25partition_config_selectorILNS1_17partition_subalgoE3EjNS0_10empty_typeEbEEZZNS1_14partition_implILS8_3ELb0ES6_jNS0_17counting_iteratorIjlEEPS9_SE_NS0_5tupleIJPjSE_EEENSF_IJSE_SE_EEES9_SG_JZNS1_25segmented_radix_sort_implINS0_14default_configELb0EPKsPsPKlPlN2at6native12_GLOBAL__N_18offset_tEEE10hipError_tPvRmT1_PNSt15iterator_traitsISY_E10value_typeET2_T3_PNSZ_IS14_E10value_typeET4_jRbjT5_S1A_jjP12ihipStream_tbEUljE_EEESV_SW_SX_S14_S18_S1A_T6_T7_T9_mT8_S1C_bDpT10_ENKUlT_T0_E_clISt17integral_constantIbLb1EES1O_IbLb0EEEEDaS1K_S1L_EUlS1K_E_NS1_11comp_targetILNS1_3genE3ELNS1_11target_archE908ELNS1_3gpuE7ELNS1_3repE0EEENS1_30default_config_static_selectorELNS0_4arch9wavefront6targetE0EEEvSY_,comdat
	.globl	_ZN7rocprim17ROCPRIM_400000_NS6detail17trampoline_kernelINS0_13select_configILj256ELj13ELNS0_17block_load_methodE3ELS4_3ELS4_3ELNS0_20block_scan_algorithmE0ELj4294967295EEENS1_25partition_config_selectorILNS1_17partition_subalgoE3EjNS0_10empty_typeEbEEZZNS1_14partition_implILS8_3ELb0ES6_jNS0_17counting_iteratorIjlEEPS9_SE_NS0_5tupleIJPjSE_EEENSF_IJSE_SE_EEES9_SG_JZNS1_25segmented_radix_sort_implINS0_14default_configELb0EPKsPsPKlPlN2at6native12_GLOBAL__N_18offset_tEEE10hipError_tPvRmT1_PNSt15iterator_traitsISY_E10value_typeET2_T3_PNSZ_IS14_E10value_typeET4_jRbjT5_S1A_jjP12ihipStream_tbEUljE_EEESV_SW_SX_S14_S18_S1A_T6_T7_T9_mT8_S1C_bDpT10_ENKUlT_T0_E_clISt17integral_constantIbLb1EES1O_IbLb0EEEEDaS1K_S1L_EUlS1K_E_NS1_11comp_targetILNS1_3genE3ELNS1_11target_archE908ELNS1_3gpuE7ELNS1_3repE0EEENS1_30default_config_static_selectorELNS0_4arch9wavefront6targetE0EEEvSY_ ; -- Begin function _ZN7rocprim17ROCPRIM_400000_NS6detail17trampoline_kernelINS0_13select_configILj256ELj13ELNS0_17block_load_methodE3ELS4_3ELS4_3ELNS0_20block_scan_algorithmE0ELj4294967295EEENS1_25partition_config_selectorILNS1_17partition_subalgoE3EjNS0_10empty_typeEbEEZZNS1_14partition_implILS8_3ELb0ES6_jNS0_17counting_iteratorIjlEEPS9_SE_NS0_5tupleIJPjSE_EEENSF_IJSE_SE_EEES9_SG_JZNS1_25segmented_radix_sort_implINS0_14default_configELb0EPKsPsPKlPlN2at6native12_GLOBAL__N_18offset_tEEE10hipError_tPvRmT1_PNSt15iterator_traitsISY_E10value_typeET2_T3_PNSZ_IS14_E10value_typeET4_jRbjT5_S1A_jjP12ihipStream_tbEUljE_EEESV_SW_SX_S14_S18_S1A_T6_T7_T9_mT8_S1C_bDpT10_ENKUlT_T0_E_clISt17integral_constantIbLb1EES1O_IbLb0EEEEDaS1K_S1L_EUlS1K_E_NS1_11comp_targetILNS1_3genE3ELNS1_11target_archE908ELNS1_3gpuE7ELNS1_3repE0EEENS1_30default_config_static_selectorELNS0_4arch9wavefront6targetE0EEEvSY_
	.p2align	8
	.type	_ZN7rocprim17ROCPRIM_400000_NS6detail17trampoline_kernelINS0_13select_configILj256ELj13ELNS0_17block_load_methodE3ELS4_3ELS4_3ELNS0_20block_scan_algorithmE0ELj4294967295EEENS1_25partition_config_selectorILNS1_17partition_subalgoE3EjNS0_10empty_typeEbEEZZNS1_14partition_implILS8_3ELb0ES6_jNS0_17counting_iteratorIjlEEPS9_SE_NS0_5tupleIJPjSE_EEENSF_IJSE_SE_EEES9_SG_JZNS1_25segmented_radix_sort_implINS0_14default_configELb0EPKsPsPKlPlN2at6native12_GLOBAL__N_18offset_tEEE10hipError_tPvRmT1_PNSt15iterator_traitsISY_E10value_typeET2_T3_PNSZ_IS14_E10value_typeET4_jRbjT5_S1A_jjP12ihipStream_tbEUljE_EEESV_SW_SX_S14_S18_S1A_T6_T7_T9_mT8_S1C_bDpT10_ENKUlT_T0_E_clISt17integral_constantIbLb1EES1O_IbLb0EEEEDaS1K_S1L_EUlS1K_E_NS1_11comp_targetILNS1_3genE3ELNS1_11target_archE908ELNS1_3gpuE7ELNS1_3repE0EEENS1_30default_config_static_selectorELNS0_4arch9wavefront6targetE0EEEvSY_,@function
_ZN7rocprim17ROCPRIM_400000_NS6detail17trampoline_kernelINS0_13select_configILj256ELj13ELNS0_17block_load_methodE3ELS4_3ELS4_3ELNS0_20block_scan_algorithmE0ELj4294967295EEENS1_25partition_config_selectorILNS1_17partition_subalgoE3EjNS0_10empty_typeEbEEZZNS1_14partition_implILS8_3ELb0ES6_jNS0_17counting_iteratorIjlEEPS9_SE_NS0_5tupleIJPjSE_EEENSF_IJSE_SE_EEES9_SG_JZNS1_25segmented_radix_sort_implINS0_14default_configELb0EPKsPsPKlPlN2at6native12_GLOBAL__N_18offset_tEEE10hipError_tPvRmT1_PNSt15iterator_traitsISY_E10value_typeET2_T3_PNSZ_IS14_E10value_typeET4_jRbjT5_S1A_jjP12ihipStream_tbEUljE_EEESV_SW_SX_S14_S18_S1A_T6_T7_T9_mT8_S1C_bDpT10_ENKUlT_T0_E_clISt17integral_constantIbLb1EES1O_IbLb0EEEEDaS1K_S1L_EUlS1K_E_NS1_11comp_targetILNS1_3genE3ELNS1_11target_archE908ELNS1_3gpuE7ELNS1_3repE0EEENS1_30default_config_static_selectorELNS0_4arch9wavefront6targetE0EEEvSY_: ; @_ZN7rocprim17ROCPRIM_400000_NS6detail17trampoline_kernelINS0_13select_configILj256ELj13ELNS0_17block_load_methodE3ELS4_3ELS4_3ELNS0_20block_scan_algorithmE0ELj4294967295EEENS1_25partition_config_selectorILNS1_17partition_subalgoE3EjNS0_10empty_typeEbEEZZNS1_14partition_implILS8_3ELb0ES6_jNS0_17counting_iteratorIjlEEPS9_SE_NS0_5tupleIJPjSE_EEENSF_IJSE_SE_EEES9_SG_JZNS1_25segmented_radix_sort_implINS0_14default_configELb0EPKsPsPKlPlN2at6native12_GLOBAL__N_18offset_tEEE10hipError_tPvRmT1_PNSt15iterator_traitsISY_E10value_typeET2_T3_PNSZ_IS14_E10value_typeET4_jRbjT5_S1A_jjP12ihipStream_tbEUljE_EEESV_SW_SX_S14_S18_S1A_T6_T7_T9_mT8_S1C_bDpT10_ENKUlT_T0_E_clISt17integral_constantIbLb1EES1O_IbLb0EEEEDaS1K_S1L_EUlS1K_E_NS1_11comp_targetILNS1_3genE3ELNS1_11target_archE908ELNS1_3gpuE7ELNS1_3repE0EEENS1_30default_config_static_selectorELNS0_4arch9wavefront6targetE0EEEvSY_
; %bb.0:
	.section	.rodata,"a",@progbits
	.p2align	6, 0x0
	.amdhsa_kernel _ZN7rocprim17ROCPRIM_400000_NS6detail17trampoline_kernelINS0_13select_configILj256ELj13ELNS0_17block_load_methodE3ELS4_3ELS4_3ELNS0_20block_scan_algorithmE0ELj4294967295EEENS1_25partition_config_selectorILNS1_17partition_subalgoE3EjNS0_10empty_typeEbEEZZNS1_14partition_implILS8_3ELb0ES6_jNS0_17counting_iteratorIjlEEPS9_SE_NS0_5tupleIJPjSE_EEENSF_IJSE_SE_EEES9_SG_JZNS1_25segmented_radix_sort_implINS0_14default_configELb0EPKsPsPKlPlN2at6native12_GLOBAL__N_18offset_tEEE10hipError_tPvRmT1_PNSt15iterator_traitsISY_E10value_typeET2_T3_PNSZ_IS14_E10value_typeET4_jRbjT5_S1A_jjP12ihipStream_tbEUljE_EEESV_SW_SX_S14_S18_S1A_T6_T7_T9_mT8_S1C_bDpT10_ENKUlT_T0_E_clISt17integral_constantIbLb1EES1O_IbLb0EEEEDaS1K_S1L_EUlS1K_E_NS1_11comp_targetILNS1_3genE3ELNS1_11target_archE908ELNS1_3gpuE7ELNS1_3repE0EEENS1_30default_config_static_selectorELNS0_4arch9wavefront6targetE0EEEvSY_
		.amdhsa_group_segment_fixed_size 0
		.amdhsa_private_segment_fixed_size 0
		.amdhsa_kernarg_size 144
		.amdhsa_user_sgpr_count 2
		.amdhsa_user_sgpr_dispatch_ptr 0
		.amdhsa_user_sgpr_queue_ptr 0
		.amdhsa_user_sgpr_kernarg_segment_ptr 1
		.amdhsa_user_sgpr_dispatch_id 0
		.amdhsa_user_sgpr_private_segment_size 0
		.amdhsa_wavefront_size32 1
		.amdhsa_uses_dynamic_stack 0
		.amdhsa_enable_private_segment 0
		.amdhsa_system_sgpr_workgroup_id_x 1
		.amdhsa_system_sgpr_workgroup_id_y 0
		.amdhsa_system_sgpr_workgroup_id_z 0
		.amdhsa_system_sgpr_workgroup_info 0
		.amdhsa_system_vgpr_workitem_id 0
		.amdhsa_next_free_vgpr 1
		.amdhsa_next_free_sgpr 1
		.amdhsa_reserve_vcc 0
		.amdhsa_float_round_mode_32 0
		.amdhsa_float_round_mode_16_64 0
		.amdhsa_float_denorm_mode_32 3
		.amdhsa_float_denorm_mode_16_64 3
		.amdhsa_fp16_overflow 0
		.amdhsa_workgroup_processor_mode 1
		.amdhsa_memory_ordered 1
		.amdhsa_forward_progress 1
		.amdhsa_inst_pref_size 0
		.amdhsa_round_robin_scheduling 0
		.amdhsa_exception_fp_ieee_invalid_op 0
		.amdhsa_exception_fp_denorm_src 0
		.amdhsa_exception_fp_ieee_div_zero 0
		.amdhsa_exception_fp_ieee_overflow 0
		.amdhsa_exception_fp_ieee_underflow 0
		.amdhsa_exception_fp_ieee_inexact 0
		.amdhsa_exception_int_div_zero 0
	.end_amdhsa_kernel
	.section	.text._ZN7rocprim17ROCPRIM_400000_NS6detail17trampoline_kernelINS0_13select_configILj256ELj13ELNS0_17block_load_methodE3ELS4_3ELS4_3ELNS0_20block_scan_algorithmE0ELj4294967295EEENS1_25partition_config_selectorILNS1_17partition_subalgoE3EjNS0_10empty_typeEbEEZZNS1_14partition_implILS8_3ELb0ES6_jNS0_17counting_iteratorIjlEEPS9_SE_NS0_5tupleIJPjSE_EEENSF_IJSE_SE_EEES9_SG_JZNS1_25segmented_radix_sort_implINS0_14default_configELb0EPKsPsPKlPlN2at6native12_GLOBAL__N_18offset_tEEE10hipError_tPvRmT1_PNSt15iterator_traitsISY_E10value_typeET2_T3_PNSZ_IS14_E10value_typeET4_jRbjT5_S1A_jjP12ihipStream_tbEUljE_EEESV_SW_SX_S14_S18_S1A_T6_T7_T9_mT8_S1C_bDpT10_ENKUlT_T0_E_clISt17integral_constantIbLb1EES1O_IbLb0EEEEDaS1K_S1L_EUlS1K_E_NS1_11comp_targetILNS1_3genE3ELNS1_11target_archE908ELNS1_3gpuE7ELNS1_3repE0EEENS1_30default_config_static_selectorELNS0_4arch9wavefront6targetE0EEEvSY_,"axG",@progbits,_ZN7rocprim17ROCPRIM_400000_NS6detail17trampoline_kernelINS0_13select_configILj256ELj13ELNS0_17block_load_methodE3ELS4_3ELS4_3ELNS0_20block_scan_algorithmE0ELj4294967295EEENS1_25partition_config_selectorILNS1_17partition_subalgoE3EjNS0_10empty_typeEbEEZZNS1_14partition_implILS8_3ELb0ES6_jNS0_17counting_iteratorIjlEEPS9_SE_NS0_5tupleIJPjSE_EEENSF_IJSE_SE_EEES9_SG_JZNS1_25segmented_radix_sort_implINS0_14default_configELb0EPKsPsPKlPlN2at6native12_GLOBAL__N_18offset_tEEE10hipError_tPvRmT1_PNSt15iterator_traitsISY_E10value_typeET2_T3_PNSZ_IS14_E10value_typeET4_jRbjT5_S1A_jjP12ihipStream_tbEUljE_EEESV_SW_SX_S14_S18_S1A_T6_T7_T9_mT8_S1C_bDpT10_ENKUlT_T0_E_clISt17integral_constantIbLb1EES1O_IbLb0EEEEDaS1K_S1L_EUlS1K_E_NS1_11comp_targetILNS1_3genE3ELNS1_11target_archE908ELNS1_3gpuE7ELNS1_3repE0EEENS1_30default_config_static_selectorELNS0_4arch9wavefront6targetE0EEEvSY_,comdat
.Lfunc_end1001:
	.size	_ZN7rocprim17ROCPRIM_400000_NS6detail17trampoline_kernelINS0_13select_configILj256ELj13ELNS0_17block_load_methodE3ELS4_3ELS4_3ELNS0_20block_scan_algorithmE0ELj4294967295EEENS1_25partition_config_selectorILNS1_17partition_subalgoE3EjNS0_10empty_typeEbEEZZNS1_14partition_implILS8_3ELb0ES6_jNS0_17counting_iteratorIjlEEPS9_SE_NS0_5tupleIJPjSE_EEENSF_IJSE_SE_EEES9_SG_JZNS1_25segmented_radix_sort_implINS0_14default_configELb0EPKsPsPKlPlN2at6native12_GLOBAL__N_18offset_tEEE10hipError_tPvRmT1_PNSt15iterator_traitsISY_E10value_typeET2_T3_PNSZ_IS14_E10value_typeET4_jRbjT5_S1A_jjP12ihipStream_tbEUljE_EEESV_SW_SX_S14_S18_S1A_T6_T7_T9_mT8_S1C_bDpT10_ENKUlT_T0_E_clISt17integral_constantIbLb1EES1O_IbLb0EEEEDaS1K_S1L_EUlS1K_E_NS1_11comp_targetILNS1_3genE3ELNS1_11target_archE908ELNS1_3gpuE7ELNS1_3repE0EEENS1_30default_config_static_selectorELNS0_4arch9wavefront6targetE0EEEvSY_, .Lfunc_end1001-_ZN7rocprim17ROCPRIM_400000_NS6detail17trampoline_kernelINS0_13select_configILj256ELj13ELNS0_17block_load_methodE3ELS4_3ELS4_3ELNS0_20block_scan_algorithmE0ELj4294967295EEENS1_25partition_config_selectorILNS1_17partition_subalgoE3EjNS0_10empty_typeEbEEZZNS1_14partition_implILS8_3ELb0ES6_jNS0_17counting_iteratorIjlEEPS9_SE_NS0_5tupleIJPjSE_EEENSF_IJSE_SE_EEES9_SG_JZNS1_25segmented_radix_sort_implINS0_14default_configELb0EPKsPsPKlPlN2at6native12_GLOBAL__N_18offset_tEEE10hipError_tPvRmT1_PNSt15iterator_traitsISY_E10value_typeET2_T3_PNSZ_IS14_E10value_typeET4_jRbjT5_S1A_jjP12ihipStream_tbEUljE_EEESV_SW_SX_S14_S18_S1A_T6_T7_T9_mT8_S1C_bDpT10_ENKUlT_T0_E_clISt17integral_constantIbLb1EES1O_IbLb0EEEEDaS1K_S1L_EUlS1K_E_NS1_11comp_targetILNS1_3genE3ELNS1_11target_archE908ELNS1_3gpuE7ELNS1_3repE0EEENS1_30default_config_static_selectorELNS0_4arch9wavefront6targetE0EEEvSY_
                                        ; -- End function
	.set _ZN7rocprim17ROCPRIM_400000_NS6detail17trampoline_kernelINS0_13select_configILj256ELj13ELNS0_17block_load_methodE3ELS4_3ELS4_3ELNS0_20block_scan_algorithmE0ELj4294967295EEENS1_25partition_config_selectorILNS1_17partition_subalgoE3EjNS0_10empty_typeEbEEZZNS1_14partition_implILS8_3ELb0ES6_jNS0_17counting_iteratorIjlEEPS9_SE_NS0_5tupleIJPjSE_EEENSF_IJSE_SE_EEES9_SG_JZNS1_25segmented_radix_sort_implINS0_14default_configELb0EPKsPsPKlPlN2at6native12_GLOBAL__N_18offset_tEEE10hipError_tPvRmT1_PNSt15iterator_traitsISY_E10value_typeET2_T3_PNSZ_IS14_E10value_typeET4_jRbjT5_S1A_jjP12ihipStream_tbEUljE_EEESV_SW_SX_S14_S18_S1A_T6_T7_T9_mT8_S1C_bDpT10_ENKUlT_T0_E_clISt17integral_constantIbLb1EES1O_IbLb0EEEEDaS1K_S1L_EUlS1K_E_NS1_11comp_targetILNS1_3genE3ELNS1_11target_archE908ELNS1_3gpuE7ELNS1_3repE0EEENS1_30default_config_static_selectorELNS0_4arch9wavefront6targetE0EEEvSY_.num_vgpr, 0
	.set _ZN7rocprim17ROCPRIM_400000_NS6detail17trampoline_kernelINS0_13select_configILj256ELj13ELNS0_17block_load_methodE3ELS4_3ELS4_3ELNS0_20block_scan_algorithmE0ELj4294967295EEENS1_25partition_config_selectorILNS1_17partition_subalgoE3EjNS0_10empty_typeEbEEZZNS1_14partition_implILS8_3ELb0ES6_jNS0_17counting_iteratorIjlEEPS9_SE_NS0_5tupleIJPjSE_EEENSF_IJSE_SE_EEES9_SG_JZNS1_25segmented_radix_sort_implINS0_14default_configELb0EPKsPsPKlPlN2at6native12_GLOBAL__N_18offset_tEEE10hipError_tPvRmT1_PNSt15iterator_traitsISY_E10value_typeET2_T3_PNSZ_IS14_E10value_typeET4_jRbjT5_S1A_jjP12ihipStream_tbEUljE_EEESV_SW_SX_S14_S18_S1A_T6_T7_T9_mT8_S1C_bDpT10_ENKUlT_T0_E_clISt17integral_constantIbLb1EES1O_IbLb0EEEEDaS1K_S1L_EUlS1K_E_NS1_11comp_targetILNS1_3genE3ELNS1_11target_archE908ELNS1_3gpuE7ELNS1_3repE0EEENS1_30default_config_static_selectorELNS0_4arch9wavefront6targetE0EEEvSY_.num_agpr, 0
	.set _ZN7rocprim17ROCPRIM_400000_NS6detail17trampoline_kernelINS0_13select_configILj256ELj13ELNS0_17block_load_methodE3ELS4_3ELS4_3ELNS0_20block_scan_algorithmE0ELj4294967295EEENS1_25partition_config_selectorILNS1_17partition_subalgoE3EjNS0_10empty_typeEbEEZZNS1_14partition_implILS8_3ELb0ES6_jNS0_17counting_iteratorIjlEEPS9_SE_NS0_5tupleIJPjSE_EEENSF_IJSE_SE_EEES9_SG_JZNS1_25segmented_radix_sort_implINS0_14default_configELb0EPKsPsPKlPlN2at6native12_GLOBAL__N_18offset_tEEE10hipError_tPvRmT1_PNSt15iterator_traitsISY_E10value_typeET2_T3_PNSZ_IS14_E10value_typeET4_jRbjT5_S1A_jjP12ihipStream_tbEUljE_EEESV_SW_SX_S14_S18_S1A_T6_T7_T9_mT8_S1C_bDpT10_ENKUlT_T0_E_clISt17integral_constantIbLb1EES1O_IbLb0EEEEDaS1K_S1L_EUlS1K_E_NS1_11comp_targetILNS1_3genE3ELNS1_11target_archE908ELNS1_3gpuE7ELNS1_3repE0EEENS1_30default_config_static_selectorELNS0_4arch9wavefront6targetE0EEEvSY_.numbered_sgpr, 0
	.set _ZN7rocprim17ROCPRIM_400000_NS6detail17trampoline_kernelINS0_13select_configILj256ELj13ELNS0_17block_load_methodE3ELS4_3ELS4_3ELNS0_20block_scan_algorithmE0ELj4294967295EEENS1_25partition_config_selectorILNS1_17partition_subalgoE3EjNS0_10empty_typeEbEEZZNS1_14partition_implILS8_3ELb0ES6_jNS0_17counting_iteratorIjlEEPS9_SE_NS0_5tupleIJPjSE_EEENSF_IJSE_SE_EEES9_SG_JZNS1_25segmented_radix_sort_implINS0_14default_configELb0EPKsPsPKlPlN2at6native12_GLOBAL__N_18offset_tEEE10hipError_tPvRmT1_PNSt15iterator_traitsISY_E10value_typeET2_T3_PNSZ_IS14_E10value_typeET4_jRbjT5_S1A_jjP12ihipStream_tbEUljE_EEESV_SW_SX_S14_S18_S1A_T6_T7_T9_mT8_S1C_bDpT10_ENKUlT_T0_E_clISt17integral_constantIbLb1EES1O_IbLb0EEEEDaS1K_S1L_EUlS1K_E_NS1_11comp_targetILNS1_3genE3ELNS1_11target_archE908ELNS1_3gpuE7ELNS1_3repE0EEENS1_30default_config_static_selectorELNS0_4arch9wavefront6targetE0EEEvSY_.num_named_barrier, 0
	.set _ZN7rocprim17ROCPRIM_400000_NS6detail17trampoline_kernelINS0_13select_configILj256ELj13ELNS0_17block_load_methodE3ELS4_3ELS4_3ELNS0_20block_scan_algorithmE0ELj4294967295EEENS1_25partition_config_selectorILNS1_17partition_subalgoE3EjNS0_10empty_typeEbEEZZNS1_14partition_implILS8_3ELb0ES6_jNS0_17counting_iteratorIjlEEPS9_SE_NS0_5tupleIJPjSE_EEENSF_IJSE_SE_EEES9_SG_JZNS1_25segmented_radix_sort_implINS0_14default_configELb0EPKsPsPKlPlN2at6native12_GLOBAL__N_18offset_tEEE10hipError_tPvRmT1_PNSt15iterator_traitsISY_E10value_typeET2_T3_PNSZ_IS14_E10value_typeET4_jRbjT5_S1A_jjP12ihipStream_tbEUljE_EEESV_SW_SX_S14_S18_S1A_T6_T7_T9_mT8_S1C_bDpT10_ENKUlT_T0_E_clISt17integral_constantIbLb1EES1O_IbLb0EEEEDaS1K_S1L_EUlS1K_E_NS1_11comp_targetILNS1_3genE3ELNS1_11target_archE908ELNS1_3gpuE7ELNS1_3repE0EEENS1_30default_config_static_selectorELNS0_4arch9wavefront6targetE0EEEvSY_.private_seg_size, 0
	.set _ZN7rocprim17ROCPRIM_400000_NS6detail17trampoline_kernelINS0_13select_configILj256ELj13ELNS0_17block_load_methodE3ELS4_3ELS4_3ELNS0_20block_scan_algorithmE0ELj4294967295EEENS1_25partition_config_selectorILNS1_17partition_subalgoE3EjNS0_10empty_typeEbEEZZNS1_14partition_implILS8_3ELb0ES6_jNS0_17counting_iteratorIjlEEPS9_SE_NS0_5tupleIJPjSE_EEENSF_IJSE_SE_EEES9_SG_JZNS1_25segmented_radix_sort_implINS0_14default_configELb0EPKsPsPKlPlN2at6native12_GLOBAL__N_18offset_tEEE10hipError_tPvRmT1_PNSt15iterator_traitsISY_E10value_typeET2_T3_PNSZ_IS14_E10value_typeET4_jRbjT5_S1A_jjP12ihipStream_tbEUljE_EEESV_SW_SX_S14_S18_S1A_T6_T7_T9_mT8_S1C_bDpT10_ENKUlT_T0_E_clISt17integral_constantIbLb1EES1O_IbLb0EEEEDaS1K_S1L_EUlS1K_E_NS1_11comp_targetILNS1_3genE3ELNS1_11target_archE908ELNS1_3gpuE7ELNS1_3repE0EEENS1_30default_config_static_selectorELNS0_4arch9wavefront6targetE0EEEvSY_.uses_vcc, 0
	.set _ZN7rocprim17ROCPRIM_400000_NS6detail17trampoline_kernelINS0_13select_configILj256ELj13ELNS0_17block_load_methodE3ELS4_3ELS4_3ELNS0_20block_scan_algorithmE0ELj4294967295EEENS1_25partition_config_selectorILNS1_17partition_subalgoE3EjNS0_10empty_typeEbEEZZNS1_14partition_implILS8_3ELb0ES6_jNS0_17counting_iteratorIjlEEPS9_SE_NS0_5tupleIJPjSE_EEENSF_IJSE_SE_EEES9_SG_JZNS1_25segmented_radix_sort_implINS0_14default_configELb0EPKsPsPKlPlN2at6native12_GLOBAL__N_18offset_tEEE10hipError_tPvRmT1_PNSt15iterator_traitsISY_E10value_typeET2_T3_PNSZ_IS14_E10value_typeET4_jRbjT5_S1A_jjP12ihipStream_tbEUljE_EEESV_SW_SX_S14_S18_S1A_T6_T7_T9_mT8_S1C_bDpT10_ENKUlT_T0_E_clISt17integral_constantIbLb1EES1O_IbLb0EEEEDaS1K_S1L_EUlS1K_E_NS1_11comp_targetILNS1_3genE3ELNS1_11target_archE908ELNS1_3gpuE7ELNS1_3repE0EEENS1_30default_config_static_selectorELNS0_4arch9wavefront6targetE0EEEvSY_.uses_flat_scratch, 0
	.set _ZN7rocprim17ROCPRIM_400000_NS6detail17trampoline_kernelINS0_13select_configILj256ELj13ELNS0_17block_load_methodE3ELS4_3ELS4_3ELNS0_20block_scan_algorithmE0ELj4294967295EEENS1_25partition_config_selectorILNS1_17partition_subalgoE3EjNS0_10empty_typeEbEEZZNS1_14partition_implILS8_3ELb0ES6_jNS0_17counting_iteratorIjlEEPS9_SE_NS0_5tupleIJPjSE_EEENSF_IJSE_SE_EEES9_SG_JZNS1_25segmented_radix_sort_implINS0_14default_configELb0EPKsPsPKlPlN2at6native12_GLOBAL__N_18offset_tEEE10hipError_tPvRmT1_PNSt15iterator_traitsISY_E10value_typeET2_T3_PNSZ_IS14_E10value_typeET4_jRbjT5_S1A_jjP12ihipStream_tbEUljE_EEESV_SW_SX_S14_S18_S1A_T6_T7_T9_mT8_S1C_bDpT10_ENKUlT_T0_E_clISt17integral_constantIbLb1EES1O_IbLb0EEEEDaS1K_S1L_EUlS1K_E_NS1_11comp_targetILNS1_3genE3ELNS1_11target_archE908ELNS1_3gpuE7ELNS1_3repE0EEENS1_30default_config_static_selectorELNS0_4arch9wavefront6targetE0EEEvSY_.has_dyn_sized_stack, 0
	.set _ZN7rocprim17ROCPRIM_400000_NS6detail17trampoline_kernelINS0_13select_configILj256ELj13ELNS0_17block_load_methodE3ELS4_3ELS4_3ELNS0_20block_scan_algorithmE0ELj4294967295EEENS1_25partition_config_selectorILNS1_17partition_subalgoE3EjNS0_10empty_typeEbEEZZNS1_14partition_implILS8_3ELb0ES6_jNS0_17counting_iteratorIjlEEPS9_SE_NS0_5tupleIJPjSE_EEENSF_IJSE_SE_EEES9_SG_JZNS1_25segmented_radix_sort_implINS0_14default_configELb0EPKsPsPKlPlN2at6native12_GLOBAL__N_18offset_tEEE10hipError_tPvRmT1_PNSt15iterator_traitsISY_E10value_typeET2_T3_PNSZ_IS14_E10value_typeET4_jRbjT5_S1A_jjP12ihipStream_tbEUljE_EEESV_SW_SX_S14_S18_S1A_T6_T7_T9_mT8_S1C_bDpT10_ENKUlT_T0_E_clISt17integral_constantIbLb1EES1O_IbLb0EEEEDaS1K_S1L_EUlS1K_E_NS1_11comp_targetILNS1_3genE3ELNS1_11target_archE908ELNS1_3gpuE7ELNS1_3repE0EEENS1_30default_config_static_selectorELNS0_4arch9wavefront6targetE0EEEvSY_.has_recursion, 0
	.set _ZN7rocprim17ROCPRIM_400000_NS6detail17trampoline_kernelINS0_13select_configILj256ELj13ELNS0_17block_load_methodE3ELS4_3ELS4_3ELNS0_20block_scan_algorithmE0ELj4294967295EEENS1_25partition_config_selectorILNS1_17partition_subalgoE3EjNS0_10empty_typeEbEEZZNS1_14partition_implILS8_3ELb0ES6_jNS0_17counting_iteratorIjlEEPS9_SE_NS0_5tupleIJPjSE_EEENSF_IJSE_SE_EEES9_SG_JZNS1_25segmented_radix_sort_implINS0_14default_configELb0EPKsPsPKlPlN2at6native12_GLOBAL__N_18offset_tEEE10hipError_tPvRmT1_PNSt15iterator_traitsISY_E10value_typeET2_T3_PNSZ_IS14_E10value_typeET4_jRbjT5_S1A_jjP12ihipStream_tbEUljE_EEESV_SW_SX_S14_S18_S1A_T6_T7_T9_mT8_S1C_bDpT10_ENKUlT_T0_E_clISt17integral_constantIbLb1EES1O_IbLb0EEEEDaS1K_S1L_EUlS1K_E_NS1_11comp_targetILNS1_3genE3ELNS1_11target_archE908ELNS1_3gpuE7ELNS1_3repE0EEENS1_30default_config_static_selectorELNS0_4arch9wavefront6targetE0EEEvSY_.has_indirect_call, 0
	.section	.AMDGPU.csdata,"",@progbits
; Kernel info:
; codeLenInByte = 0
; TotalNumSgprs: 0
; NumVgprs: 0
; ScratchSize: 0
; MemoryBound: 0
; FloatMode: 240
; IeeeMode: 1
; LDSByteSize: 0 bytes/workgroup (compile time only)
; SGPRBlocks: 0
; VGPRBlocks: 0
; NumSGPRsForWavesPerEU: 1
; NumVGPRsForWavesPerEU: 1
; Occupancy: 16
; WaveLimiterHint : 0
; COMPUTE_PGM_RSRC2:SCRATCH_EN: 0
; COMPUTE_PGM_RSRC2:USER_SGPR: 2
; COMPUTE_PGM_RSRC2:TRAP_HANDLER: 0
; COMPUTE_PGM_RSRC2:TGID_X_EN: 1
; COMPUTE_PGM_RSRC2:TGID_Y_EN: 0
; COMPUTE_PGM_RSRC2:TGID_Z_EN: 0
; COMPUTE_PGM_RSRC2:TIDIG_COMP_CNT: 0
	.section	.text._ZN7rocprim17ROCPRIM_400000_NS6detail17trampoline_kernelINS0_13select_configILj256ELj13ELNS0_17block_load_methodE3ELS4_3ELS4_3ELNS0_20block_scan_algorithmE0ELj4294967295EEENS1_25partition_config_selectorILNS1_17partition_subalgoE3EjNS0_10empty_typeEbEEZZNS1_14partition_implILS8_3ELb0ES6_jNS0_17counting_iteratorIjlEEPS9_SE_NS0_5tupleIJPjSE_EEENSF_IJSE_SE_EEES9_SG_JZNS1_25segmented_radix_sort_implINS0_14default_configELb0EPKsPsPKlPlN2at6native12_GLOBAL__N_18offset_tEEE10hipError_tPvRmT1_PNSt15iterator_traitsISY_E10value_typeET2_T3_PNSZ_IS14_E10value_typeET4_jRbjT5_S1A_jjP12ihipStream_tbEUljE_EEESV_SW_SX_S14_S18_S1A_T6_T7_T9_mT8_S1C_bDpT10_ENKUlT_T0_E_clISt17integral_constantIbLb1EES1O_IbLb0EEEEDaS1K_S1L_EUlS1K_E_NS1_11comp_targetILNS1_3genE2ELNS1_11target_archE906ELNS1_3gpuE6ELNS1_3repE0EEENS1_30default_config_static_selectorELNS0_4arch9wavefront6targetE0EEEvSY_,"axG",@progbits,_ZN7rocprim17ROCPRIM_400000_NS6detail17trampoline_kernelINS0_13select_configILj256ELj13ELNS0_17block_load_methodE3ELS4_3ELS4_3ELNS0_20block_scan_algorithmE0ELj4294967295EEENS1_25partition_config_selectorILNS1_17partition_subalgoE3EjNS0_10empty_typeEbEEZZNS1_14partition_implILS8_3ELb0ES6_jNS0_17counting_iteratorIjlEEPS9_SE_NS0_5tupleIJPjSE_EEENSF_IJSE_SE_EEES9_SG_JZNS1_25segmented_radix_sort_implINS0_14default_configELb0EPKsPsPKlPlN2at6native12_GLOBAL__N_18offset_tEEE10hipError_tPvRmT1_PNSt15iterator_traitsISY_E10value_typeET2_T3_PNSZ_IS14_E10value_typeET4_jRbjT5_S1A_jjP12ihipStream_tbEUljE_EEESV_SW_SX_S14_S18_S1A_T6_T7_T9_mT8_S1C_bDpT10_ENKUlT_T0_E_clISt17integral_constantIbLb1EES1O_IbLb0EEEEDaS1K_S1L_EUlS1K_E_NS1_11comp_targetILNS1_3genE2ELNS1_11target_archE906ELNS1_3gpuE6ELNS1_3repE0EEENS1_30default_config_static_selectorELNS0_4arch9wavefront6targetE0EEEvSY_,comdat
	.globl	_ZN7rocprim17ROCPRIM_400000_NS6detail17trampoline_kernelINS0_13select_configILj256ELj13ELNS0_17block_load_methodE3ELS4_3ELS4_3ELNS0_20block_scan_algorithmE0ELj4294967295EEENS1_25partition_config_selectorILNS1_17partition_subalgoE3EjNS0_10empty_typeEbEEZZNS1_14partition_implILS8_3ELb0ES6_jNS0_17counting_iteratorIjlEEPS9_SE_NS0_5tupleIJPjSE_EEENSF_IJSE_SE_EEES9_SG_JZNS1_25segmented_radix_sort_implINS0_14default_configELb0EPKsPsPKlPlN2at6native12_GLOBAL__N_18offset_tEEE10hipError_tPvRmT1_PNSt15iterator_traitsISY_E10value_typeET2_T3_PNSZ_IS14_E10value_typeET4_jRbjT5_S1A_jjP12ihipStream_tbEUljE_EEESV_SW_SX_S14_S18_S1A_T6_T7_T9_mT8_S1C_bDpT10_ENKUlT_T0_E_clISt17integral_constantIbLb1EES1O_IbLb0EEEEDaS1K_S1L_EUlS1K_E_NS1_11comp_targetILNS1_3genE2ELNS1_11target_archE906ELNS1_3gpuE6ELNS1_3repE0EEENS1_30default_config_static_selectorELNS0_4arch9wavefront6targetE0EEEvSY_ ; -- Begin function _ZN7rocprim17ROCPRIM_400000_NS6detail17trampoline_kernelINS0_13select_configILj256ELj13ELNS0_17block_load_methodE3ELS4_3ELS4_3ELNS0_20block_scan_algorithmE0ELj4294967295EEENS1_25partition_config_selectorILNS1_17partition_subalgoE3EjNS0_10empty_typeEbEEZZNS1_14partition_implILS8_3ELb0ES6_jNS0_17counting_iteratorIjlEEPS9_SE_NS0_5tupleIJPjSE_EEENSF_IJSE_SE_EEES9_SG_JZNS1_25segmented_radix_sort_implINS0_14default_configELb0EPKsPsPKlPlN2at6native12_GLOBAL__N_18offset_tEEE10hipError_tPvRmT1_PNSt15iterator_traitsISY_E10value_typeET2_T3_PNSZ_IS14_E10value_typeET4_jRbjT5_S1A_jjP12ihipStream_tbEUljE_EEESV_SW_SX_S14_S18_S1A_T6_T7_T9_mT8_S1C_bDpT10_ENKUlT_T0_E_clISt17integral_constantIbLb1EES1O_IbLb0EEEEDaS1K_S1L_EUlS1K_E_NS1_11comp_targetILNS1_3genE2ELNS1_11target_archE906ELNS1_3gpuE6ELNS1_3repE0EEENS1_30default_config_static_selectorELNS0_4arch9wavefront6targetE0EEEvSY_
	.p2align	8
	.type	_ZN7rocprim17ROCPRIM_400000_NS6detail17trampoline_kernelINS0_13select_configILj256ELj13ELNS0_17block_load_methodE3ELS4_3ELS4_3ELNS0_20block_scan_algorithmE0ELj4294967295EEENS1_25partition_config_selectorILNS1_17partition_subalgoE3EjNS0_10empty_typeEbEEZZNS1_14partition_implILS8_3ELb0ES6_jNS0_17counting_iteratorIjlEEPS9_SE_NS0_5tupleIJPjSE_EEENSF_IJSE_SE_EEES9_SG_JZNS1_25segmented_radix_sort_implINS0_14default_configELb0EPKsPsPKlPlN2at6native12_GLOBAL__N_18offset_tEEE10hipError_tPvRmT1_PNSt15iterator_traitsISY_E10value_typeET2_T3_PNSZ_IS14_E10value_typeET4_jRbjT5_S1A_jjP12ihipStream_tbEUljE_EEESV_SW_SX_S14_S18_S1A_T6_T7_T9_mT8_S1C_bDpT10_ENKUlT_T0_E_clISt17integral_constantIbLb1EES1O_IbLb0EEEEDaS1K_S1L_EUlS1K_E_NS1_11comp_targetILNS1_3genE2ELNS1_11target_archE906ELNS1_3gpuE6ELNS1_3repE0EEENS1_30default_config_static_selectorELNS0_4arch9wavefront6targetE0EEEvSY_,@function
_ZN7rocprim17ROCPRIM_400000_NS6detail17trampoline_kernelINS0_13select_configILj256ELj13ELNS0_17block_load_methodE3ELS4_3ELS4_3ELNS0_20block_scan_algorithmE0ELj4294967295EEENS1_25partition_config_selectorILNS1_17partition_subalgoE3EjNS0_10empty_typeEbEEZZNS1_14partition_implILS8_3ELb0ES6_jNS0_17counting_iteratorIjlEEPS9_SE_NS0_5tupleIJPjSE_EEENSF_IJSE_SE_EEES9_SG_JZNS1_25segmented_radix_sort_implINS0_14default_configELb0EPKsPsPKlPlN2at6native12_GLOBAL__N_18offset_tEEE10hipError_tPvRmT1_PNSt15iterator_traitsISY_E10value_typeET2_T3_PNSZ_IS14_E10value_typeET4_jRbjT5_S1A_jjP12ihipStream_tbEUljE_EEESV_SW_SX_S14_S18_S1A_T6_T7_T9_mT8_S1C_bDpT10_ENKUlT_T0_E_clISt17integral_constantIbLb1EES1O_IbLb0EEEEDaS1K_S1L_EUlS1K_E_NS1_11comp_targetILNS1_3genE2ELNS1_11target_archE906ELNS1_3gpuE6ELNS1_3repE0EEENS1_30default_config_static_selectorELNS0_4arch9wavefront6targetE0EEEvSY_: ; @_ZN7rocprim17ROCPRIM_400000_NS6detail17trampoline_kernelINS0_13select_configILj256ELj13ELNS0_17block_load_methodE3ELS4_3ELS4_3ELNS0_20block_scan_algorithmE0ELj4294967295EEENS1_25partition_config_selectorILNS1_17partition_subalgoE3EjNS0_10empty_typeEbEEZZNS1_14partition_implILS8_3ELb0ES6_jNS0_17counting_iteratorIjlEEPS9_SE_NS0_5tupleIJPjSE_EEENSF_IJSE_SE_EEES9_SG_JZNS1_25segmented_radix_sort_implINS0_14default_configELb0EPKsPsPKlPlN2at6native12_GLOBAL__N_18offset_tEEE10hipError_tPvRmT1_PNSt15iterator_traitsISY_E10value_typeET2_T3_PNSZ_IS14_E10value_typeET4_jRbjT5_S1A_jjP12ihipStream_tbEUljE_EEESV_SW_SX_S14_S18_S1A_T6_T7_T9_mT8_S1C_bDpT10_ENKUlT_T0_E_clISt17integral_constantIbLb1EES1O_IbLb0EEEEDaS1K_S1L_EUlS1K_E_NS1_11comp_targetILNS1_3genE2ELNS1_11target_archE906ELNS1_3gpuE6ELNS1_3repE0EEENS1_30default_config_static_selectorELNS0_4arch9wavefront6targetE0EEEvSY_
; %bb.0:
	.section	.rodata,"a",@progbits
	.p2align	6, 0x0
	.amdhsa_kernel _ZN7rocprim17ROCPRIM_400000_NS6detail17trampoline_kernelINS0_13select_configILj256ELj13ELNS0_17block_load_methodE3ELS4_3ELS4_3ELNS0_20block_scan_algorithmE0ELj4294967295EEENS1_25partition_config_selectorILNS1_17partition_subalgoE3EjNS0_10empty_typeEbEEZZNS1_14partition_implILS8_3ELb0ES6_jNS0_17counting_iteratorIjlEEPS9_SE_NS0_5tupleIJPjSE_EEENSF_IJSE_SE_EEES9_SG_JZNS1_25segmented_radix_sort_implINS0_14default_configELb0EPKsPsPKlPlN2at6native12_GLOBAL__N_18offset_tEEE10hipError_tPvRmT1_PNSt15iterator_traitsISY_E10value_typeET2_T3_PNSZ_IS14_E10value_typeET4_jRbjT5_S1A_jjP12ihipStream_tbEUljE_EEESV_SW_SX_S14_S18_S1A_T6_T7_T9_mT8_S1C_bDpT10_ENKUlT_T0_E_clISt17integral_constantIbLb1EES1O_IbLb0EEEEDaS1K_S1L_EUlS1K_E_NS1_11comp_targetILNS1_3genE2ELNS1_11target_archE906ELNS1_3gpuE6ELNS1_3repE0EEENS1_30default_config_static_selectorELNS0_4arch9wavefront6targetE0EEEvSY_
		.amdhsa_group_segment_fixed_size 0
		.amdhsa_private_segment_fixed_size 0
		.amdhsa_kernarg_size 144
		.amdhsa_user_sgpr_count 2
		.amdhsa_user_sgpr_dispatch_ptr 0
		.amdhsa_user_sgpr_queue_ptr 0
		.amdhsa_user_sgpr_kernarg_segment_ptr 1
		.amdhsa_user_sgpr_dispatch_id 0
		.amdhsa_user_sgpr_private_segment_size 0
		.amdhsa_wavefront_size32 1
		.amdhsa_uses_dynamic_stack 0
		.amdhsa_enable_private_segment 0
		.amdhsa_system_sgpr_workgroup_id_x 1
		.amdhsa_system_sgpr_workgroup_id_y 0
		.amdhsa_system_sgpr_workgroup_id_z 0
		.amdhsa_system_sgpr_workgroup_info 0
		.amdhsa_system_vgpr_workitem_id 0
		.amdhsa_next_free_vgpr 1
		.amdhsa_next_free_sgpr 1
		.amdhsa_reserve_vcc 0
		.amdhsa_float_round_mode_32 0
		.amdhsa_float_round_mode_16_64 0
		.amdhsa_float_denorm_mode_32 3
		.amdhsa_float_denorm_mode_16_64 3
		.amdhsa_fp16_overflow 0
		.amdhsa_workgroup_processor_mode 1
		.amdhsa_memory_ordered 1
		.amdhsa_forward_progress 1
		.amdhsa_inst_pref_size 0
		.amdhsa_round_robin_scheduling 0
		.amdhsa_exception_fp_ieee_invalid_op 0
		.amdhsa_exception_fp_denorm_src 0
		.amdhsa_exception_fp_ieee_div_zero 0
		.amdhsa_exception_fp_ieee_overflow 0
		.amdhsa_exception_fp_ieee_underflow 0
		.amdhsa_exception_fp_ieee_inexact 0
		.amdhsa_exception_int_div_zero 0
	.end_amdhsa_kernel
	.section	.text._ZN7rocprim17ROCPRIM_400000_NS6detail17trampoline_kernelINS0_13select_configILj256ELj13ELNS0_17block_load_methodE3ELS4_3ELS4_3ELNS0_20block_scan_algorithmE0ELj4294967295EEENS1_25partition_config_selectorILNS1_17partition_subalgoE3EjNS0_10empty_typeEbEEZZNS1_14partition_implILS8_3ELb0ES6_jNS0_17counting_iteratorIjlEEPS9_SE_NS0_5tupleIJPjSE_EEENSF_IJSE_SE_EEES9_SG_JZNS1_25segmented_radix_sort_implINS0_14default_configELb0EPKsPsPKlPlN2at6native12_GLOBAL__N_18offset_tEEE10hipError_tPvRmT1_PNSt15iterator_traitsISY_E10value_typeET2_T3_PNSZ_IS14_E10value_typeET4_jRbjT5_S1A_jjP12ihipStream_tbEUljE_EEESV_SW_SX_S14_S18_S1A_T6_T7_T9_mT8_S1C_bDpT10_ENKUlT_T0_E_clISt17integral_constantIbLb1EES1O_IbLb0EEEEDaS1K_S1L_EUlS1K_E_NS1_11comp_targetILNS1_3genE2ELNS1_11target_archE906ELNS1_3gpuE6ELNS1_3repE0EEENS1_30default_config_static_selectorELNS0_4arch9wavefront6targetE0EEEvSY_,"axG",@progbits,_ZN7rocprim17ROCPRIM_400000_NS6detail17trampoline_kernelINS0_13select_configILj256ELj13ELNS0_17block_load_methodE3ELS4_3ELS4_3ELNS0_20block_scan_algorithmE0ELj4294967295EEENS1_25partition_config_selectorILNS1_17partition_subalgoE3EjNS0_10empty_typeEbEEZZNS1_14partition_implILS8_3ELb0ES6_jNS0_17counting_iteratorIjlEEPS9_SE_NS0_5tupleIJPjSE_EEENSF_IJSE_SE_EEES9_SG_JZNS1_25segmented_radix_sort_implINS0_14default_configELb0EPKsPsPKlPlN2at6native12_GLOBAL__N_18offset_tEEE10hipError_tPvRmT1_PNSt15iterator_traitsISY_E10value_typeET2_T3_PNSZ_IS14_E10value_typeET4_jRbjT5_S1A_jjP12ihipStream_tbEUljE_EEESV_SW_SX_S14_S18_S1A_T6_T7_T9_mT8_S1C_bDpT10_ENKUlT_T0_E_clISt17integral_constantIbLb1EES1O_IbLb0EEEEDaS1K_S1L_EUlS1K_E_NS1_11comp_targetILNS1_3genE2ELNS1_11target_archE906ELNS1_3gpuE6ELNS1_3repE0EEENS1_30default_config_static_selectorELNS0_4arch9wavefront6targetE0EEEvSY_,comdat
.Lfunc_end1002:
	.size	_ZN7rocprim17ROCPRIM_400000_NS6detail17trampoline_kernelINS0_13select_configILj256ELj13ELNS0_17block_load_methodE3ELS4_3ELS4_3ELNS0_20block_scan_algorithmE0ELj4294967295EEENS1_25partition_config_selectorILNS1_17partition_subalgoE3EjNS0_10empty_typeEbEEZZNS1_14partition_implILS8_3ELb0ES6_jNS0_17counting_iteratorIjlEEPS9_SE_NS0_5tupleIJPjSE_EEENSF_IJSE_SE_EEES9_SG_JZNS1_25segmented_radix_sort_implINS0_14default_configELb0EPKsPsPKlPlN2at6native12_GLOBAL__N_18offset_tEEE10hipError_tPvRmT1_PNSt15iterator_traitsISY_E10value_typeET2_T3_PNSZ_IS14_E10value_typeET4_jRbjT5_S1A_jjP12ihipStream_tbEUljE_EEESV_SW_SX_S14_S18_S1A_T6_T7_T9_mT8_S1C_bDpT10_ENKUlT_T0_E_clISt17integral_constantIbLb1EES1O_IbLb0EEEEDaS1K_S1L_EUlS1K_E_NS1_11comp_targetILNS1_3genE2ELNS1_11target_archE906ELNS1_3gpuE6ELNS1_3repE0EEENS1_30default_config_static_selectorELNS0_4arch9wavefront6targetE0EEEvSY_, .Lfunc_end1002-_ZN7rocprim17ROCPRIM_400000_NS6detail17trampoline_kernelINS0_13select_configILj256ELj13ELNS0_17block_load_methodE3ELS4_3ELS4_3ELNS0_20block_scan_algorithmE0ELj4294967295EEENS1_25partition_config_selectorILNS1_17partition_subalgoE3EjNS0_10empty_typeEbEEZZNS1_14partition_implILS8_3ELb0ES6_jNS0_17counting_iteratorIjlEEPS9_SE_NS0_5tupleIJPjSE_EEENSF_IJSE_SE_EEES9_SG_JZNS1_25segmented_radix_sort_implINS0_14default_configELb0EPKsPsPKlPlN2at6native12_GLOBAL__N_18offset_tEEE10hipError_tPvRmT1_PNSt15iterator_traitsISY_E10value_typeET2_T3_PNSZ_IS14_E10value_typeET4_jRbjT5_S1A_jjP12ihipStream_tbEUljE_EEESV_SW_SX_S14_S18_S1A_T6_T7_T9_mT8_S1C_bDpT10_ENKUlT_T0_E_clISt17integral_constantIbLb1EES1O_IbLb0EEEEDaS1K_S1L_EUlS1K_E_NS1_11comp_targetILNS1_3genE2ELNS1_11target_archE906ELNS1_3gpuE6ELNS1_3repE0EEENS1_30default_config_static_selectorELNS0_4arch9wavefront6targetE0EEEvSY_
                                        ; -- End function
	.set _ZN7rocprim17ROCPRIM_400000_NS6detail17trampoline_kernelINS0_13select_configILj256ELj13ELNS0_17block_load_methodE3ELS4_3ELS4_3ELNS0_20block_scan_algorithmE0ELj4294967295EEENS1_25partition_config_selectorILNS1_17partition_subalgoE3EjNS0_10empty_typeEbEEZZNS1_14partition_implILS8_3ELb0ES6_jNS0_17counting_iteratorIjlEEPS9_SE_NS0_5tupleIJPjSE_EEENSF_IJSE_SE_EEES9_SG_JZNS1_25segmented_radix_sort_implINS0_14default_configELb0EPKsPsPKlPlN2at6native12_GLOBAL__N_18offset_tEEE10hipError_tPvRmT1_PNSt15iterator_traitsISY_E10value_typeET2_T3_PNSZ_IS14_E10value_typeET4_jRbjT5_S1A_jjP12ihipStream_tbEUljE_EEESV_SW_SX_S14_S18_S1A_T6_T7_T9_mT8_S1C_bDpT10_ENKUlT_T0_E_clISt17integral_constantIbLb1EES1O_IbLb0EEEEDaS1K_S1L_EUlS1K_E_NS1_11comp_targetILNS1_3genE2ELNS1_11target_archE906ELNS1_3gpuE6ELNS1_3repE0EEENS1_30default_config_static_selectorELNS0_4arch9wavefront6targetE0EEEvSY_.num_vgpr, 0
	.set _ZN7rocprim17ROCPRIM_400000_NS6detail17trampoline_kernelINS0_13select_configILj256ELj13ELNS0_17block_load_methodE3ELS4_3ELS4_3ELNS0_20block_scan_algorithmE0ELj4294967295EEENS1_25partition_config_selectorILNS1_17partition_subalgoE3EjNS0_10empty_typeEbEEZZNS1_14partition_implILS8_3ELb0ES6_jNS0_17counting_iteratorIjlEEPS9_SE_NS0_5tupleIJPjSE_EEENSF_IJSE_SE_EEES9_SG_JZNS1_25segmented_radix_sort_implINS0_14default_configELb0EPKsPsPKlPlN2at6native12_GLOBAL__N_18offset_tEEE10hipError_tPvRmT1_PNSt15iterator_traitsISY_E10value_typeET2_T3_PNSZ_IS14_E10value_typeET4_jRbjT5_S1A_jjP12ihipStream_tbEUljE_EEESV_SW_SX_S14_S18_S1A_T6_T7_T9_mT8_S1C_bDpT10_ENKUlT_T0_E_clISt17integral_constantIbLb1EES1O_IbLb0EEEEDaS1K_S1L_EUlS1K_E_NS1_11comp_targetILNS1_3genE2ELNS1_11target_archE906ELNS1_3gpuE6ELNS1_3repE0EEENS1_30default_config_static_selectorELNS0_4arch9wavefront6targetE0EEEvSY_.num_agpr, 0
	.set _ZN7rocprim17ROCPRIM_400000_NS6detail17trampoline_kernelINS0_13select_configILj256ELj13ELNS0_17block_load_methodE3ELS4_3ELS4_3ELNS0_20block_scan_algorithmE0ELj4294967295EEENS1_25partition_config_selectorILNS1_17partition_subalgoE3EjNS0_10empty_typeEbEEZZNS1_14partition_implILS8_3ELb0ES6_jNS0_17counting_iteratorIjlEEPS9_SE_NS0_5tupleIJPjSE_EEENSF_IJSE_SE_EEES9_SG_JZNS1_25segmented_radix_sort_implINS0_14default_configELb0EPKsPsPKlPlN2at6native12_GLOBAL__N_18offset_tEEE10hipError_tPvRmT1_PNSt15iterator_traitsISY_E10value_typeET2_T3_PNSZ_IS14_E10value_typeET4_jRbjT5_S1A_jjP12ihipStream_tbEUljE_EEESV_SW_SX_S14_S18_S1A_T6_T7_T9_mT8_S1C_bDpT10_ENKUlT_T0_E_clISt17integral_constantIbLb1EES1O_IbLb0EEEEDaS1K_S1L_EUlS1K_E_NS1_11comp_targetILNS1_3genE2ELNS1_11target_archE906ELNS1_3gpuE6ELNS1_3repE0EEENS1_30default_config_static_selectorELNS0_4arch9wavefront6targetE0EEEvSY_.numbered_sgpr, 0
	.set _ZN7rocprim17ROCPRIM_400000_NS6detail17trampoline_kernelINS0_13select_configILj256ELj13ELNS0_17block_load_methodE3ELS4_3ELS4_3ELNS0_20block_scan_algorithmE0ELj4294967295EEENS1_25partition_config_selectorILNS1_17partition_subalgoE3EjNS0_10empty_typeEbEEZZNS1_14partition_implILS8_3ELb0ES6_jNS0_17counting_iteratorIjlEEPS9_SE_NS0_5tupleIJPjSE_EEENSF_IJSE_SE_EEES9_SG_JZNS1_25segmented_radix_sort_implINS0_14default_configELb0EPKsPsPKlPlN2at6native12_GLOBAL__N_18offset_tEEE10hipError_tPvRmT1_PNSt15iterator_traitsISY_E10value_typeET2_T3_PNSZ_IS14_E10value_typeET4_jRbjT5_S1A_jjP12ihipStream_tbEUljE_EEESV_SW_SX_S14_S18_S1A_T6_T7_T9_mT8_S1C_bDpT10_ENKUlT_T0_E_clISt17integral_constantIbLb1EES1O_IbLb0EEEEDaS1K_S1L_EUlS1K_E_NS1_11comp_targetILNS1_3genE2ELNS1_11target_archE906ELNS1_3gpuE6ELNS1_3repE0EEENS1_30default_config_static_selectorELNS0_4arch9wavefront6targetE0EEEvSY_.num_named_barrier, 0
	.set _ZN7rocprim17ROCPRIM_400000_NS6detail17trampoline_kernelINS0_13select_configILj256ELj13ELNS0_17block_load_methodE3ELS4_3ELS4_3ELNS0_20block_scan_algorithmE0ELj4294967295EEENS1_25partition_config_selectorILNS1_17partition_subalgoE3EjNS0_10empty_typeEbEEZZNS1_14partition_implILS8_3ELb0ES6_jNS0_17counting_iteratorIjlEEPS9_SE_NS0_5tupleIJPjSE_EEENSF_IJSE_SE_EEES9_SG_JZNS1_25segmented_radix_sort_implINS0_14default_configELb0EPKsPsPKlPlN2at6native12_GLOBAL__N_18offset_tEEE10hipError_tPvRmT1_PNSt15iterator_traitsISY_E10value_typeET2_T3_PNSZ_IS14_E10value_typeET4_jRbjT5_S1A_jjP12ihipStream_tbEUljE_EEESV_SW_SX_S14_S18_S1A_T6_T7_T9_mT8_S1C_bDpT10_ENKUlT_T0_E_clISt17integral_constantIbLb1EES1O_IbLb0EEEEDaS1K_S1L_EUlS1K_E_NS1_11comp_targetILNS1_3genE2ELNS1_11target_archE906ELNS1_3gpuE6ELNS1_3repE0EEENS1_30default_config_static_selectorELNS0_4arch9wavefront6targetE0EEEvSY_.private_seg_size, 0
	.set _ZN7rocprim17ROCPRIM_400000_NS6detail17trampoline_kernelINS0_13select_configILj256ELj13ELNS0_17block_load_methodE3ELS4_3ELS4_3ELNS0_20block_scan_algorithmE0ELj4294967295EEENS1_25partition_config_selectorILNS1_17partition_subalgoE3EjNS0_10empty_typeEbEEZZNS1_14partition_implILS8_3ELb0ES6_jNS0_17counting_iteratorIjlEEPS9_SE_NS0_5tupleIJPjSE_EEENSF_IJSE_SE_EEES9_SG_JZNS1_25segmented_radix_sort_implINS0_14default_configELb0EPKsPsPKlPlN2at6native12_GLOBAL__N_18offset_tEEE10hipError_tPvRmT1_PNSt15iterator_traitsISY_E10value_typeET2_T3_PNSZ_IS14_E10value_typeET4_jRbjT5_S1A_jjP12ihipStream_tbEUljE_EEESV_SW_SX_S14_S18_S1A_T6_T7_T9_mT8_S1C_bDpT10_ENKUlT_T0_E_clISt17integral_constantIbLb1EES1O_IbLb0EEEEDaS1K_S1L_EUlS1K_E_NS1_11comp_targetILNS1_3genE2ELNS1_11target_archE906ELNS1_3gpuE6ELNS1_3repE0EEENS1_30default_config_static_selectorELNS0_4arch9wavefront6targetE0EEEvSY_.uses_vcc, 0
	.set _ZN7rocprim17ROCPRIM_400000_NS6detail17trampoline_kernelINS0_13select_configILj256ELj13ELNS0_17block_load_methodE3ELS4_3ELS4_3ELNS0_20block_scan_algorithmE0ELj4294967295EEENS1_25partition_config_selectorILNS1_17partition_subalgoE3EjNS0_10empty_typeEbEEZZNS1_14partition_implILS8_3ELb0ES6_jNS0_17counting_iteratorIjlEEPS9_SE_NS0_5tupleIJPjSE_EEENSF_IJSE_SE_EEES9_SG_JZNS1_25segmented_radix_sort_implINS0_14default_configELb0EPKsPsPKlPlN2at6native12_GLOBAL__N_18offset_tEEE10hipError_tPvRmT1_PNSt15iterator_traitsISY_E10value_typeET2_T3_PNSZ_IS14_E10value_typeET4_jRbjT5_S1A_jjP12ihipStream_tbEUljE_EEESV_SW_SX_S14_S18_S1A_T6_T7_T9_mT8_S1C_bDpT10_ENKUlT_T0_E_clISt17integral_constantIbLb1EES1O_IbLb0EEEEDaS1K_S1L_EUlS1K_E_NS1_11comp_targetILNS1_3genE2ELNS1_11target_archE906ELNS1_3gpuE6ELNS1_3repE0EEENS1_30default_config_static_selectorELNS0_4arch9wavefront6targetE0EEEvSY_.uses_flat_scratch, 0
	.set _ZN7rocprim17ROCPRIM_400000_NS6detail17trampoline_kernelINS0_13select_configILj256ELj13ELNS0_17block_load_methodE3ELS4_3ELS4_3ELNS0_20block_scan_algorithmE0ELj4294967295EEENS1_25partition_config_selectorILNS1_17partition_subalgoE3EjNS0_10empty_typeEbEEZZNS1_14partition_implILS8_3ELb0ES6_jNS0_17counting_iteratorIjlEEPS9_SE_NS0_5tupleIJPjSE_EEENSF_IJSE_SE_EEES9_SG_JZNS1_25segmented_radix_sort_implINS0_14default_configELb0EPKsPsPKlPlN2at6native12_GLOBAL__N_18offset_tEEE10hipError_tPvRmT1_PNSt15iterator_traitsISY_E10value_typeET2_T3_PNSZ_IS14_E10value_typeET4_jRbjT5_S1A_jjP12ihipStream_tbEUljE_EEESV_SW_SX_S14_S18_S1A_T6_T7_T9_mT8_S1C_bDpT10_ENKUlT_T0_E_clISt17integral_constantIbLb1EES1O_IbLb0EEEEDaS1K_S1L_EUlS1K_E_NS1_11comp_targetILNS1_3genE2ELNS1_11target_archE906ELNS1_3gpuE6ELNS1_3repE0EEENS1_30default_config_static_selectorELNS0_4arch9wavefront6targetE0EEEvSY_.has_dyn_sized_stack, 0
	.set _ZN7rocprim17ROCPRIM_400000_NS6detail17trampoline_kernelINS0_13select_configILj256ELj13ELNS0_17block_load_methodE3ELS4_3ELS4_3ELNS0_20block_scan_algorithmE0ELj4294967295EEENS1_25partition_config_selectorILNS1_17partition_subalgoE3EjNS0_10empty_typeEbEEZZNS1_14partition_implILS8_3ELb0ES6_jNS0_17counting_iteratorIjlEEPS9_SE_NS0_5tupleIJPjSE_EEENSF_IJSE_SE_EEES9_SG_JZNS1_25segmented_radix_sort_implINS0_14default_configELb0EPKsPsPKlPlN2at6native12_GLOBAL__N_18offset_tEEE10hipError_tPvRmT1_PNSt15iterator_traitsISY_E10value_typeET2_T3_PNSZ_IS14_E10value_typeET4_jRbjT5_S1A_jjP12ihipStream_tbEUljE_EEESV_SW_SX_S14_S18_S1A_T6_T7_T9_mT8_S1C_bDpT10_ENKUlT_T0_E_clISt17integral_constantIbLb1EES1O_IbLb0EEEEDaS1K_S1L_EUlS1K_E_NS1_11comp_targetILNS1_3genE2ELNS1_11target_archE906ELNS1_3gpuE6ELNS1_3repE0EEENS1_30default_config_static_selectorELNS0_4arch9wavefront6targetE0EEEvSY_.has_recursion, 0
	.set _ZN7rocprim17ROCPRIM_400000_NS6detail17trampoline_kernelINS0_13select_configILj256ELj13ELNS0_17block_load_methodE3ELS4_3ELS4_3ELNS0_20block_scan_algorithmE0ELj4294967295EEENS1_25partition_config_selectorILNS1_17partition_subalgoE3EjNS0_10empty_typeEbEEZZNS1_14partition_implILS8_3ELb0ES6_jNS0_17counting_iteratorIjlEEPS9_SE_NS0_5tupleIJPjSE_EEENSF_IJSE_SE_EEES9_SG_JZNS1_25segmented_radix_sort_implINS0_14default_configELb0EPKsPsPKlPlN2at6native12_GLOBAL__N_18offset_tEEE10hipError_tPvRmT1_PNSt15iterator_traitsISY_E10value_typeET2_T3_PNSZ_IS14_E10value_typeET4_jRbjT5_S1A_jjP12ihipStream_tbEUljE_EEESV_SW_SX_S14_S18_S1A_T6_T7_T9_mT8_S1C_bDpT10_ENKUlT_T0_E_clISt17integral_constantIbLb1EES1O_IbLb0EEEEDaS1K_S1L_EUlS1K_E_NS1_11comp_targetILNS1_3genE2ELNS1_11target_archE906ELNS1_3gpuE6ELNS1_3repE0EEENS1_30default_config_static_selectorELNS0_4arch9wavefront6targetE0EEEvSY_.has_indirect_call, 0
	.section	.AMDGPU.csdata,"",@progbits
; Kernel info:
; codeLenInByte = 0
; TotalNumSgprs: 0
; NumVgprs: 0
; ScratchSize: 0
; MemoryBound: 0
; FloatMode: 240
; IeeeMode: 1
; LDSByteSize: 0 bytes/workgroup (compile time only)
; SGPRBlocks: 0
; VGPRBlocks: 0
; NumSGPRsForWavesPerEU: 1
; NumVGPRsForWavesPerEU: 1
; Occupancy: 16
; WaveLimiterHint : 0
; COMPUTE_PGM_RSRC2:SCRATCH_EN: 0
; COMPUTE_PGM_RSRC2:USER_SGPR: 2
; COMPUTE_PGM_RSRC2:TRAP_HANDLER: 0
; COMPUTE_PGM_RSRC2:TGID_X_EN: 1
; COMPUTE_PGM_RSRC2:TGID_Y_EN: 0
; COMPUTE_PGM_RSRC2:TGID_Z_EN: 0
; COMPUTE_PGM_RSRC2:TIDIG_COMP_CNT: 0
	.section	.text._ZN7rocprim17ROCPRIM_400000_NS6detail17trampoline_kernelINS0_13select_configILj256ELj13ELNS0_17block_load_methodE3ELS4_3ELS4_3ELNS0_20block_scan_algorithmE0ELj4294967295EEENS1_25partition_config_selectorILNS1_17partition_subalgoE3EjNS0_10empty_typeEbEEZZNS1_14partition_implILS8_3ELb0ES6_jNS0_17counting_iteratorIjlEEPS9_SE_NS0_5tupleIJPjSE_EEENSF_IJSE_SE_EEES9_SG_JZNS1_25segmented_radix_sort_implINS0_14default_configELb0EPKsPsPKlPlN2at6native12_GLOBAL__N_18offset_tEEE10hipError_tPvRmT1_PNSt15iterator_traitsISY_E10value_typeET2_T3_PNSZ_IS14_E10value_typeET4_jRbjT5_S1A_jjP12ihipStream_tbEUljE_EEESV_SW_SX_S14_S18_S1A_T6_T7_T9_mT8_S1C_bDpT10_ENKUlT_T0_E_clISt17integral_constantIbLb1EES1O_IbLb0EEEEDaS1K_S1L_EUlS1K_E_NS1_11comp_targetILNS1_3genE10ELNS1_11target_archE1200ELNS1_3gpuE4ELNS1_3repE0EEENS1_30default_config_static_selectorELNS0_4arch9wavefront6targetE0EEEvSY_,"axG",@progbits,_ZN7rocprim17ROCPRIM_400000_NS6detail17trampoline_kernelINS0_13select_configILj256ELj13ELNS0_17block_load_methodE3ELS4_3ELS4_3ELNS0_20block_scan_algorithmE0ELj4294967295EEENS1_25partition_config_selectorILNS1_17partition_subalgoE3EjNS0_10empty_typeEbEEZZNS1_14partition_implILS8_3ELb0ES6_jNS0_17counting_iteratorIjlEEPS9_SE_NS0_5tupleIJPjSE_EEENSF_IJSE_SE_EEES9_SG_JZNS1_25segmented_radix_sort_implINS0_14default_configELb0EPKsPsPKlPlN2at6native12_GLOBAL__N_18offset_tEEE10hipError_tPvRmT1_PNSt15iterator_traitsISY_E10value_typeET2_T3_PNSZ_IS14_E10value_typeET4_jRbjT5_S1A_jjP12ihipStream_tbEUljE_EEESV_SW_SX_S14_S18_S1A_T6_T7_T9_mT8_S1C_bDpT10_ENKUlT_T0_E_clISt17integral_constantIbLb1EES1O_IbLb0EEEEDaS1K_S1L_EUlS1K_E_NS1_11comp_targetILNS1_3genE10ELNS1_11target_archE1200ELNS1_3gpuE4ELNS1_3repE0EEENS1_30default_config_static_selectorELNS0_4arch9wavefront6targetE0EEEvSY_,comdat
	.globl	_ZN7rocprim17ROCPRIM_400000_NS6detail17trampoline_kernelINS0_13select_configILj256ELj13ELNS0_17block_load_methodE3ELS4_3ELS4_3ELNS0_20block_scan_algorithmE0ELj4294967295EEENS1_25partition_config_selectorILNS1_17partition_subalgoE3EjNS0_10empty_typeEbEEZZNS1_14partition_implILS8_3ELb0ES6_jNS0_17counting_iteratorIjlEEPS9_SE_NS0_5tupleIJPjSE_EEENSF_IJSE_SE_EEES9_SG_JZNS1_25segmented_radix_sort_implINS0_14default_configELb0EPKsPsPKlPlN2at6native12_GLOBAL__N_18offset_tEEE10hipError_tPvRmT1_PNSt15iterator_traitsISY_E10value_typeET2_T3_PNSZ_IS14_E10value_typeET4_jRbjT5_S1A_jjP12ihipStream_tbEUljE_EEESV_SW_SX_S14_S18_S1A_T6_T7_T9_mT8_S1C_bDpT10_ENKUlT_T0_E_clISt17integral_constantIbLb1EES1O_IbLb0EEEEDaS1K_S1L_EUlS1K_E_NS1_11comp_targetILNS1_3genE10ELNS1_11target_archE1200ELNS1_3gpuE4ELNS1_3repE0EEENS1_30default_config_static_selectorELNS0_4arch9wavefront6targetE0EEEvSY_ ; -- Begin function _ZN7rocprim17ROCPRIM_400000_NS6detail17trampoline_kernelINS0_13select_configILj256ELj13ELNS0_17block_load_methodE3ELS4_3ELS4_3ELNS0_20block_scan_algorithmE0ELj4294967295EEENS1_25partition_config_selectorILNS1_17partition_subalgoE3EjNS0_10empty_typeEbEEZZNS1_14partition_implILS8_3ELb0ES6_jNS0_17counting_iteratorIjlEEPS9_SE_NS0_5tupleIJPjSE_EEENSF_IJSE_SE_EEES9_SG_JZNS1_25segmented_radix_sort_implINS0_14default_configELb0EPKsPsPKlPlN2at6native12_GLOBAL__N_18offset_tEEE10hipError_tPvRmT1_PNSt15iterator_traitsISY_E10value_typeET2_T3_PNSZ_IS14_E10value_typeET4_jRbjT5_S1A_jjP12ihipStream_tbEUljE_EEESV_SW_SX_S14_S18_S1A_T6_T7_T9_mT8_S1C_bDpT10_ENKUlT_T0_E_clISt17integral_constantIbLb1EES1O_IbLb0EEEEDaS1K_S1L_EUlS1K_E_NS1_11comp_targetILNS1_3genE10ELNS1_11target_archE1200ELNS1_3gpuE4ELNS1_3repE0EEENS1_30default_config_static_selectorELNS0_4arch9wavefront6targetE0EEEvSY_
	.p2align	8
	.type	_ZN7rocprim17ROCPRIM_400000_NS6detail17trampoline_kernelINS0_13select_configILj256ELj13ELNS0_17block_load_methodE3ELS4_3ELS4_3ELNS0_20block_scan_algorithmE0ELj4294967295EEENS1_25partition_config_selectorILNS1_17partition_subalgoE3EjNS0_10empty_typeEbEEZZNS1_14partition_implILS8_3ELb0ES6_jNS0_17counting_iteratorIjlEEPS9_SE_NS0_5tupleIJPjSE_EEENSF_IJSE_SE_EEES9_SG_JZNS1_25segmented_radix_sort_implINS0_14default_configELb0EPKsPsPKlPlN2at6native12_GLOBAL__N_18offset_tEEE10hipError_tPvRmT1_PNSt15iterator_traitsISY_E10value_typeET2_T3_PNSZ_IS14_E10value_typeET4_jRbjT5_S1A_jjP12ihipStream_tbEUljE_EEESV_SW_SX_S14_S18_S1A_T6_T7_T9_mT8_S1C_bDpT10_ENKUlT_T0_E_clISt17integral_constantIbLb1EES1O_IbLb0EEEEDaS1K_S1L_EUlS1K_E_NS1_11comp_targetILNS1_3genE10ELNS1_11target_archE1200ELNS1_3gpuE4ELNS1_3repE0EEENS1_30default_config_static_selectorELNS0_4arch9wavefront6targetE0EEEvSY_,@function
_ZN7rocprim17ROCPRIM_400000_NS6detail17trampoline_kernelINS0_13select_configILj256ELj13ELNS0_17block_load_methodE3ELS4_3ELS4_3ELNS0_20block_scan_algorithmE0ELj4294967295EEENS1_25partition_config_selectorILNS1_17partition_subalgoE3EjNS0_10empty_typeEbEEZZNS1_14partition_implILS8_3ELb0ES6_jNS0_17counting_iteratorIjlEEPS9_SE_NS0_5tupleIJPjSE_EEENSF_IJSE_SE_EEES9_SG_JZNS1_25segmented_radix_sort_implINS0_14default_configELb0EPKsPsPKlPlN2at6native12_GLOBAL__N_18offset_tEEE10hipError_tPvRmT1_PNSt15iterator_traitsISY_E10value_typeET2_T3_PNSZ_IS14_E10value_typeET4_jRbjT5_S1A_jjP12ihipStream_tbEUljE_EEESV_SW_SX_S14_S18_S1A_T6_T7_T9_mT8_S1C_bDpT10_ENKUlT_T0_E_clISt17integral_constantIbLb1EES1O_IbLb0EEEEDaS1K_S1L_EUlS1K_E_NS1_11comp_targetILNS1_3genE10ELNS1_11target_archE1200ELNS1_3gpuE4ELNS1_3repE0EEENS1_30default_config_static_selectorELNS0_4arch9wavefront6targetE0EEEvSY_: ; @_ZN7rocprim17ROCPRIM_400000_NS6detail17trampoline_kernelINS0_13select_configILj256ELj13ELNS0_17block_load_methodE3ELS4_3ELS4_3ELNS0_20block_scan_algorithmE0ELj4294967295EEENS1_25partition_config_selectorILNS1_17partition_subalgoE3EjNS0_10empty_typeEbEEZZNS1_14partition_implILS8_3ELb0ES6_jNS0_17counting_iteratorIjlEEPS9_SE_NS0_5tupleIJPjSE_EEENSF_IJSE_SE_EEES9_SG_JZNS1_25segmented_radix_sort_implINS0_14default_configELb0EPKsPsPKlPlN2at6native12_GLOBAL__N_18offset_tEEE10hipError_tPvRmT1_PNSt15iterator_traitsISY_E10value_typeET2_T3_PNSZ_IS14_E10value_typeET4_jRbjT5_S1A_jjP12ihipStream_tbEUljE_EEESV_SW_SX_S14_S18_S1A_T6_T7_T9_mT8_S1C_bDpT10_ENKUlT_T0_E_clISt17integral_constantIbLb1EES1O_IbLb0EEEEDaS1K_S1L_EUlS1K_E_NS1_11comp_targetILNS1_3genE10ELNS1_11target_archE1200ELNS1_3gpuE4ELNS1_3repE0EEENS1_30default_config_static_selectorELNS0_4arch9wavefront6targetE0EEEvSY_
; %bb.0:
	s_endpgm
	.section	.rodata,"a",@progbits
	.p2align	6, 0x0
	.amdhsa_kernel _ZN7rocprim17ROCPRIM_400000_NS6detail17trampoline_kernelINS0_13select_configILj256ELj13ELNS0_17block_load_methodE3ELS4_3ELS4_3ELNS0_20block_scan_algorithmE0ELj4294967295EEENS1_25partition_config_selectorILNS1_17partition_subalgoE3EjNS0_10empty_typeEbEEZZNS1_14partition_implILS8_3ELb0ES6_jNS0_17counting_iteratorIjlEEPS9_SE_NS0_5tupleIJPjSE_EEENSF_IJSE_SE_EEES9_SG_JZNS1_25segmented_radix_sort_implINS0_14default_configELb0EPKsPsPKlPlN2at6native12_GLOBAL__N_18offset_tEEE10hipError_tPvRmT1_PNSt15iterator_traitsISY_E10value_typeET2_T3_PNSZ_IS14_E10value_typeET4_jRbjT5_S1A_jjP12ihipStream_tbEUljE_EEESV_SW_SX_S14_S18_S1A_T6_T7_T9_mT8_S1C_bDpT10_ENKUlT_T0_E_clISt17integral_constantIbLb1EES1O_IbLb0EEEEDaS1K_S1L_EUlS1K_E_NS1_11comp_targetILNS1_3genE10ELNS1_11target_archE1200ELNS1_3gpuE4ELNS1_3repE0EEENS1_30default_config_static_selectorELNS0_4arch9wavefront6targetE0EEEvSY_
		.amdhsa_group_segment_fixed_size 0
		.amdhsa_private_segment_fixed_size 0
		.amdhsa_kernarg_size 144
		.amdhsa_user_sgpr_count 2
		.amdhsa_user_sgpr_dispatch_ptr 0
		.amdhsa_user_sgpr_queue_ptr 0
		.amdhsa_user_sgpr_kernarg_segment_ptr 1
		.amdhsa_user_sgpr_dispatch_id 0
		.amdhsa_user_sgpr_private_segment_size 0
		.amdhsa_wavefront_size32 1
		.amdhsa_uses_dynamic_stack 0
		.amdhsa_enable_private_segment 0
		.amdhsa_system_sgpr_workgroup_id_x 1
		.amdhsa_system_sgpr_workgroup_id_y 0
		.amdhsa_system_sgpr_workgroup_id_z 0
		.amdhsa_system_sgpr_workgroup_info 0
		.amdhsa_system_vgpr_workitem_id 0
		.amdhsa_next_free_vgpr 1
		.amdhsa_next_free_sgpr 1
		.amdhsa_reserve_vcc 0
		.amdhsa_float_round_mode_32 0
		.amdhsa_float_round_mode_16_64 0
		.amdhsa_float_denorm_mode_32 3
		.amdhsa_float_denorm_mode_16_64 3
		.amdhsa_fp16_overflow 0
		.amdhsa_workgroup_processor_mode 1
		.amdhsa_memory_ordered 1
		.amdhsa_forward_progress 1
		.amdhsa_inst_pref_size 1
		.amdhsa_round_robin_scheduling 0
		.amdhsa_exception_fp_ieee_invalid_op 0
		.amdhsa_exception_fp_denorm_src 0
		.amdhsa_exception_fp_ieee_div_zero 0
		.amdhsa_exception_fp_ieee_overflow 0
		.amdhsa_exception_fp_ieee_underflow 0
		.amdhsa_exception_fp_ieee_inexact 0
		.amdhsa_exception_int_div_zero 0
	.end_amdhsa_kernel
	.section	.text._ZN7rocprim17ROCPRIM_400000_NS6detail17trampoline_kernelINS0_13select_configILj256ELj13ELNS0_17block_load_methodE3ELS4_3ELS4_3ELNS0_20block_scan_algorithmE0ELj4294967295EEENS1_25partition_config_selectorILNS1_17partition_subalgoE3EjNS0_10empty_typeEbEEZZNS1_14partition_implILS8_3ELb0ES6_jNS0_17counting_iteratorIjlEEPS9_SE_NS0_5tupleIJPjSE_EEENSF_IJSE_SE_EEES9_SG_JZNS1_25segmented_radix_sort_implINS0_14default_configELb0EPKsPsPKlPlN2at6native12_GLOBAL__N_18offset_tEEE10hipError_tPvRmT1_PNSt15iterator_traitsISY_E10value_typeET2_T3_PNSZ_IS14_E10value_typeET4_jRbjT5_S1A_jjP12ihipStream_tbEUljE_EEESV_SW_SX_S14_S18_S1A_T6_T7_T9_mT8_S1C_bDpT10_ENKUlT_T0_E_clISt17integral_constantIbLb1EES1O_IbLb0EEEEDaS1K_S1L_EUlS1K_E_NS1_11comp_targetILNS1_3genE10ELNS1_11target_archE1200ELNS1_3gpuE4ELNS1_3repE0EEENS1_30default_config_static_selectorELNS0_4arch9wavefront6targetE0EEEvSY_,"axG",@progbits,_ZN7rocprim17ROCPRIM_400000_NS6detail17trampoline_kernelINS0_13select_configILj256ELj13ELNS0_17block_load_methodE3ELS4_3ELS4_3ELNS0_20block_scan_algorithmE0ELj4294967295EEENS1_25partition_config_selectorILNS1_17partition_subalgoE3EjNS0_10empty_typeEbEEZZNS1_14partition_implILS8_3ELb0ES6_jNS0_17counting_iteratorIjlEEPS9_SE_NS0_5tupleIJPjSE_EEENSF_IJSE_SE_EEES9_SG_JZNS1_25segmented_radix_sort_implINS0_14default_configELb0EPKsPsPKlPlN2at6native12_GLOBAL__N_18offset_tEEE10hipError_tPvRmT1_PNSt15iterator_traitsISY_E10value_typeET2_T3_PNSZ_IS14_E10value_typeET4_jRbjT5_S1A_jjP12ihipStream_tbEUljE_EEESV_SW_SX_S14_S18_S1A_T6_T7_T9_mT8_S1C_bDpT10_ENKUlT_T0_E_clISt17integral_constantIbLb1EES1O_IbLb0EEEEDaS1K_S1L_EUlS1K_E_NS1_11comp_targetILNS1_3genE10ELNS1_11target_archE1200ELNS1_3gpuE4ELNS1_3repE0EEENS1_30default_config_static_selectorELNS0_4arch9wavefront6targetE0EEEvSY_,comdat
.Lfunc_end1003:
	.size	_ZN7rocprim17ROCPRIM_400000_NS6detail17trampoline_kernelINS0_13select_configILj256ELj13ELNS0_17block_load_methodE3ELS4_3ELS4_3ELNS0_20block_scan_algorithmE0ELj4294967295EEENS1_25partition_config_selectorILNS1_17partition_subalgoE3EjNS0_10empty_typeEbEEZZNS1_14partition_implILS8_3ELb0ES6_jNS0_17counting_iteratorIjlEEPS9_SE_NS0_5tupleIJPjSE_EEENSF_IJSE_SE_EEES9_SG_JZNS1_25segmented_radix_sort_implINS0_14default_configELb0EPKsPsPKlPlN2at6native12_GLOBAL__N_18offset_tEEE10hipError_tPvRmT1_PNSt15iterator_traitsISY_E10value_typeET2_T3_PNSZ_IS14_E10value_typeET4_jRbjT5_S1A_jjP12ihipStream_tbEUljE_EEESV_SW_SX_S14_S18_S1A_T6_T7_T9_mT8_S1C_bDpT10_ENKUlT_T0_E_clISt17integral_constantIbLb1EES1O_IbLb0EEEEDaS1K_S1L_EUlS1K_E_NS1_11comp_targetILNS1_3genE10ELNS1_11target_archE1200ELNS1_3gpuE4ELNS1_3repE0EEENS1_30default_config_static_selectorELNS0_4arch9wavefront6targetE0EEEvSY_, .Lfunc_end1003-_ZN7rocprim17ROCPRIM_400000_NS6detail17trampoline_kernelINS0_13select_configILj256ELj13ELNS0_17block_load_methodE3ELS4_3ELS4_3ELNS0_20block_scan_algorithmE0ELj4294967295EEENS1_25partition_config_selectorILNS1_17partition_subalgoE3EjNS0_10empty_typeEbEEZZNS1_14partition_implILS8_3ELb0ES6_jNS0_17counting_iteratorIjlEEPS9_SE_NS0_5tupleIJPjSE_EEENSF_IJSE_SE_EEES9_SG_JZNS1_25segmented_radix_sort_implINS0_14default_configELb0EPKsPsPKlPlN2at6native12_GLOBAL__N_18offset_tEEE10hipError_tPvRmT1_PNSt15iterator_traitsISY_E10value_typeET2_T3_PNSZ_IS14_E10value_typeET4_jRbjT5_S1A_jjP12ihipStream_tbEUljE_EEESV_SW_SX_S14_S18_S1A_T6_T7_T9_mT8_S1C_bDpT10_ENKUlT_T0_E_clISt17integral_constantIbLb1EES1O_IbLb0EEEEDaS1K_S1L_EUlS1K_E_NS1_11comp_targetILNS1_3genE10ELNS1_11target_archE1200ELNS1_3gpuE4ELNS1_3repE0EEENS1_30default_config_static_selectorELNS0_4arch9wavefront6targetE0EEEvSY_
                                        ; -- End function
	.set _ZN7rocprim17ROCPRIM_400000_NS6detail17trampoline_kernelINS0_13select_configILj256ELj13ELNS0_17block_load_methodE3ELS4_3ELS4_3ELNS0_20block_scan_algorithmE0ELj4294967295EEENS1_25partition_config_selectorILNS1_17partition_subalgoE3EjNS0_10empty_typeEbEEZZNS1_14partition_implILS8_3ELb0ES6_jNS0_17counting_iteratorIjlEEPS9_SE_NS0_5tupleIJPjSE_EEENSF_IJSE_SE_EEES9_SG_JZNS1_25segmented_radix_sort_implINS0_14default_configELb0EPKsPsPKlPlN2at6native12_GLOBAL__N_18offset_tEEE10hipError_tPvRmT1_PNSt15iterator_traitsISY_E10value_typeET2_T3_PNSZ_IS14_E10value_typeET4_jRbjT5_S1A_jjP12ihipStream_tbEUljE_EEESV_SW_SX_S14_S18_S1A_T6_T7_T9_mT8_S1C_bDpT10_ENKUlT_T0_E_clISt17integral_constantIbLb1EES1O_IbLb0EEEEDaS1K_S1L_EUlS1K_E_NS1_11comp_targetILNS1_3genE10ELNS1_11target_archE1200ELNS1_3gpuE4ELNS1_3repE0EEENS1_30default_config_static_selectorELNS0_4arch9wavefront6targetE0EEEvSY_.num_vgpr, 0
	.set _ZN7rocprim17ROCPRIM_400000_NS6detail17trampoline_kernelINS0_13select_configILj256ELj13ELNS0_17block_load_methodE3ELS4_3ELS4_3ELNS0_20block_scan_algorithmE0ELj4294967295EEENS1_25partition_config_selectorILNS1_17partition_subalgoE3EjNS0_10empty_typeEbEEZZNS1_14partition_implILS8_3ELb0ES6_jNS0_17counting_iteratorIjlEEPS9_SE_NS0_5tupleIJPjSE_EEENSF_IJSE_SE_EEES9_SG_JZNS1_25segmented_radix_sort_implINS0_14default_configELb0EPKsPsPKlPlN2at6native12_GLOBAL__N_18offset_tEEE10hipError_tPvRmT1_PNSt15iterator_traitsISY_E10value_typeET2_T3_PNSZ_IS14_E10value_typeET4_jRbjT5_S1A_jjP12ihipStream_tbEUljE_EEESV_SW_SX_S14_S18_S1A_T6_T7_T9_mT8_S1C_bDpT10_ENKUlT_T0_E_clISt17integral_constantIbLb1EES1O_IbLb0EEEEDaS1K_S1L_EUlS1K_E_NS1_11comp_targetILNS1_3genE10ELNS1_11target_archE1200ELNS1_3gpuE4ELNS1_3repE0EEENS1_30default_config_static_selectorELNS0_4arch9wavefront6targetE0EEEvSY_.num_agpr, 0
	.set _ZN7rocprim17ROCPRIM_400000_NS6detail17trampoline_kernelINS0_13select_configILj256ELj13ELNS0_17block_load_methodE3ELS4_3ELS4_3ELNS0_20block_scan_algorithmE0ELj4294967295EEENS1_25partition_config_selectorILNS1_17partition_subalgoE3EjNS0_10empty_typeEbEEZZNS1_14partition_implILS8_3ELb0ES6_jNS0_17counting_iteratorIjlEEPS9_SE_NS0_5tupleIJPjSE_EEENSF_IJSE_SE_EEES9_SG_JZNS1_25segmented_radix_sort_implINS0_14default_configELb0EPKsPsPKlPlN2at6native12_GLOBAL__N_18offset_tEEE10hipError_tPvRmT1_PNSt15iterator_traitsISY_E10value_typeET2_T3_PNSZ_IS14_E10value_typeET4_jRbjT5_S1A_jjP12ihipStream_tbEUljE_EEESV_SW_SX_S14_S18_S1A_T6_T7_T9_mT8_S1C_bDpT10_ENKUlT_T0_E_clISt17integral_constantIbLb1EES1O_IbLb0EEEEDaS1K_S1L_EUlS1K_E_NS1_11comp_targetILNS1_3genE10ELNS1_11target_archE1200ELNS1_3gpuE4ELNS1_3repE0EEENS1_30default_config_static_selectorELNS0_4arch9wavefront6targetE0EEEvSY_.numbered_sgpr, 0
	.set _ZN7rocprim17ROCPRIM_400000_NS6detail17trampoline_kernelINS0_13select_configILj256ELj13ELNS0_17block_load_methodE3ELS4_3ELS4_3ELNS0_20block_scan_algorithmE0ELj4294967295EEENS1_25partition_config_selectorILNS1_17partition_subalgoE3EjNS0_10empty_typeEbEEZZNS1_14partition_implILS8_3ELb0ES6_jNS0_17counting_iteratorIjlEEPS9_SE_NS0_5tupleIJPjSE_EEENSF_IJSE_SE_EEES9_SG_JZNS1_25segmented_radix_sort_implINS0_14default_configELb0EPKsPsPKlPlN2at6native12_GLOBAL__N_18offset_tEEE10hipError_tPvRmT1_PNSt15iterator_traitsISY_E10value_typeET2_T3_PNSZ_IS14_E10value_typeET4_jRbjT5_S1A_jjP12ihipStream_tbEUljE_EEESV_SW_SX_S14_S18_S1A_T6_T7_T9_mT8_S1C_bDpT10_ENKUlT_T0_E_clISt17integral_constantIbLb1EES1O_IbLb0EEEEDaS1K_S1L_EUlS1K_E_NS1_11comp_targetILNS1_3genE10ELNS1_11target_archE1200ELNS1_3gpuE4ELNS1_3repE0EEENS1_30default_config_static_selectorELNS0_4arch9wavefront6targetE0EEEvSY_.num_named_barrier, 0
	.set _ZN7rocprim17ROCPRIM_400000_NS6detail17trampoline_kernelINS0_13select_configILj256ELj13ELNS0_17block_load_methodE3ELS4_3ELS4_3ELNS0_20block_scan_algorithmE0ELj4294967295EEENS1_25partition_config_selectorILNS1_17partition_subalgoE3EjNS0_10empty_typeEbEEZZNS1_14partition_implILS8_3ELb0ES6_jNS0_17counting_iteratorIjlEEPS9_SE_NS0_5tupleIJPjSE_EEENSF_IJSE_SE_EEES9_SG_JZNS1_25segmented_radix_sort_implINS0_14default_configELb0EPKsPsPKlPlN2at6native12_GLOBAL__N_18offset_tEEE10hipError_tPvRmT1_PNSt15iterator_traitsISY_E10value_typeET2_T3_PNSZ_IS14_E10value_typeET4_jRbjT5_S1A_jjP12ihipStream_tbEUljE_EEESV_SW_SX_S14_S18_S1A_T6_T7_T9_mT8_S1C_bDpT10_ENKUlT_T0_E_clISt17integral_constantIbLb1EES1O_IbLb0EEEEDaS1K_S1L_EUlS1K_E_NS1_11comp_targetILNS1_3genE10ELNS1_11target_archE1200ELNS1_3gpuE4ELNS1_3repE0EEENS1_30default_config_static_selectorELNS0_4arch9wavefront6targetE0EEEvSY_.private_seg_size, 0
	.set _ZN7rocprim17ROCPRIM_400000_NS6detail17trampoline_kernelINS0_13select_configILj256ELj13ELNS0_17block_load_methodE3ELS4_3ELS4_3ELNS0_20block_scan_algorithmE0ELj4294967295EEENS1_25partition_config_selectorILNS1_17partition_subalgoE3EjNS0_10empty_typeEbEEZZNS1_14partition_implILS8_3ELb0ES6_jNS0_17counting_iteratorIjlEEPS9_SE_NS0_5tupleIJPjSE_EEENSF_IJSE_SE_EEES9_SG_JZNS1_25segmented_radix_sort_implINS0_14default_configELb0EPKsPsPKlPlN2at6native12_GLOBAL__N_18offset_tEEE10hipError_tPvRmT1_PNSt15iterator_traitsISY_E10value_typeET2_T3_PNSZ_IS14_E10value_typeET4_jRbjT5_S1A_jjP12ihipStream_tbEUljE_EEESV_SW_SX_S14_S18_S1A_T6_T7_T9_mT8_S1C_bDpT10_ENKUlT_T0_E_clISt17integral_constantIbLb1EES1O_IbLb0EEEEDaS1K_S1L_EUlS1K_E_NS1_11comp_targetILNS1_3genE10ELNS1_11target_archE1200ELNS1_3gpuE4ELNS1_3repE0EEENS1_30default_config_static_selectorELNS0_4arch9wavefront6targetE0EEEvSY_.uses_vcc, 0
	.set _ZN7rocprim17ROCPRIM_400000_NS6detail17trampoline_kernelINS0_13select_configILj256ELj13ELNS0_17block_load_methodE3ELS4_3ELS4_3ELNS0_20block_scan_algorithmE0ELj4294967295EEENS1_25partition_config_selectorILNS1_17partition_subalgoE3EjNS0_10empty_typeEbEEZZNS1_14partition_implILS8_3ELb0ES6_jNS0_17counting_iteratorIjlEEPS9_SE_NS0_5tupleIJPjSE_EEENSF_IJSE_SE_EEES9_SG_JZNS1_25segmented_radix_sort_implINS0_14default_configELb0EPKsPsPKlPlN2at6native12_GLOBAL__N_18offset_tEEE10hipError_tPvRmT1_PNSt15iterator_traitsISY_E10value_typeET2_T3_PNSZ_IS14_E10value_typeET4_jRbjT5_S1A_jjP12ihipStream_tbEUljE_EEESV_SW_SX_S14_S18_S1A_T6_T7_T9_mT8_S1C_bDpT10_ENKUlT_T0_E_clISt17integral_constantIbLb1EES1O_IbLb0EEEEDaS1K_S1L_EUlS1K_E_NS1_11comp_targetILNS1_3genE10ELNS1_11target_archE1200ELNS1_3gpuE4ELNS1_3repE0EEENS1_30default_config_static_selectorELNS0_4arch9wavefront6targetE0EEEvSY_.uses_flat_scratch, 0
	.set _ZN7rocprim17ROCPRIM_400000_NS6detail17trampoline_kernelINS0_13select_configILj256ELj13ELNS0_17block_load_methodE3ELS4_3ELS4_3ELNS0_20block_scan_algorithmE0ELj4294967295EEENS1_25partition_config_selectorILNS1_17partition_subalgoE3EjNS0_10empty_typeEbEEZZNS1_14partition_implILS8_3ELb0ES6_jNS0_17counting_iteratorIjlEEPS9_SE_NS0_5tupleIJPjSE_EEENSF_IJSE_SE_EEES9_SG_JZNS1_25segmented_radix_sort_implINS0_14default_configELb0EPKsPsPKlPlN2at6native12_GLOBAL__N_18offset_tEEE10hipError_tPvRmT1_PNSt15iterator_traitsISY_E10value_typeET2_T3_PNSZ_IS14_E10value_typeET4_jRbjT5_S1A_jjP12ihipStream_tbEUljE_EEESV_SW_SX_S14_S18_S1A_T6_T7_T9_mT8_S1C_bDpT10_ENKUlT_T0_E_clISt17integral_constantIbLb1EES1O_IbLb0EEEEDaS1K_S1L_EUlS1K_E_NS1_11comp_targetILNS1_3genE10ELNS1_11target_archE1200ELNS1_3gpuE4ELNS1_3repE0EEENS1_30default_config_static_selectorELNS0_4arch9wavefront6targetE0EEEvSY_.has_dyn_sized_stack, 0
	.set _ZN7rocprim17ROCPRIM_400000_NS6detail17trampoline_kernelINS0_13select_configILj256ELj13ELNS0_17block_load_methodE3ELS4_3ELS4_3ELNS0_20block_scan_algorithmE0ELj4294967295EEENS1_25partition_config_selectorILNS1_17partition_subalgoE3EjNS0_10empty_typeEbEEZZNS1_14partition_implILS8_3ELb0ES6_jNS0_17counting_iteratorIjlEEPS9_SE_NS0_5tupleIJPjSE_EEENSF_IJSE_SE_EEES9_SG_JZNS1_25segmented_radix_sort_implINS0_14default_configELb0EPKsPsPKlPlN2at6native12_GLOBAL__N_18offset_tEEE10hipError_tPvRmT1_PNSt15iterator_traitsISY_E10value_typeET2_T3_PNSZ_IS14_E10value_typeET4_jRbjT5_S1A_jjP12ihipStream_tbEUljE_EEESV_SW_SX_S14_S18_S1A_T6_T7_T9_mT8_S1C_bDpT10_ENKUlT_T0_E_clISt17integral_constantIbLb1EES1O_IbLb0EEEEDaS1K_S1L_EUlS1K_E_NS1_11comp_targetILNS1_3genE10ELNS1_11target_archE1200ELNS1_3gpuE4ELNS1_3repE0EEENS1_30default_config_static_selectorELNS0_4arch9wavefront6targetE0EEEvSY_.has_recursion, 0
	.set _ZN7rocprim17ROCPRIM_400000_NS6detail17trampoline_kernelINS0_13select_configILj256ELj13ELNS0_17block_load_methodE3ELS4_3ELS4_3ELNS0_20block_scan_algorithmE0ELj4294967295EEENS1_25partition_config_selectorILNS1_17partition_subalgoE3EjNS0_10empty_typeEbEEZZNS1_14partition_implILS8_3ELb0ES6_jNS0_17counting_iteratorIjlEEPS9_SE_NS0_5tupleIJPjSE_EEENSF_IJSE_SE_EEES9_SG_JZNS1_25segmented_radix_sort_implINS0_14default_configELb0EPKsPsPKlPlN2at6native12_GLOBAL__N_18offset_tEEE10hipError_tPvRmT1_PNSt15iterator_traitsISY_E10value_typeET2_T3_PNSZ_IS14_E10value_typeET4_jRbjT5_S1A_jjP12ihipStream_tbEUljE_EEESV_SW_SX_S14_S18_S1A_T6_T7_T9_mT8_S1C_bDpT10_ENKUlT_T0_E_clISt17integral_constantIbLb1EES1O_IbLb0EEEEDaS1K_S1L_EUlS1K_E_NS1_11comp_targetILNS1_3genE10ELNS1_11target_archE1200ELNS1_3gpuE4ELNS1_3repE0EEENS1_30default_config_static_selectorELNS0_4arch9wavefront6targetE0EEEvSY_.has_indirect_call, 0
	.section	.AMDGPU.csdata,"",@progbits
; Kernel info:
; codeLenInByte = 4
; TotalNumSgprs: 0
; NumVgprs: 0
; ScratchSize: 0
; MemoryBound: 0
; FloatMode: 240
; IeeeMode: 1
; LDSByteSize: 0 bytes/workgroup (compile time only)
; SGPRBlocks: 0
; VGPRBlocks: 0
; NumSGPRsForWavesPerEU: 1
; NumVGPRsForWavesPerEU: 1
; Occupancy: 16
; WaveLimiterHint : 0
; COMPUTE_PGM_RSRC2:SCRATCH_EN: 0
; COMPUTE_PGM_RSRC2:USER_SGPR: 2
; COMPUTE_PGM_RSRC2:TRAP_HANDLER: 0
; COMPUTE_PGM_RSRC2:TGID_X_EN: 1
; COMPUTE_PGM_RSRC2:TGID_Y_EN: 0
; COMPUTE_PGM_RSRC2:TGID_Z_EN: 0
; COMPUTE_PGM_RSRC2:TIDIG_COMP_CNT: 0
	.section	.text._ZN7rocprim17ROCPRIM_400000_NS6detail17trampoline_kernelINS0_13select_configILj256ELj13ELNS0_17block_load_methodE3ELS4_3ELS4_3ELNS0_20block_scan_algorithmE0ELj4294967295EEENS1_25partition_config_selectorILNS1_17partition_subalgoE3EjNS0_10empty_typeEbEEZZNS1_14partition_implILS8_3ELb0ES6_jNS0_17counting_iteratorIjlEEPS9_SE_NS0_5tupleIJPjSE_EEENSF_IJSE_SE_EEES9_SG_JZNS1_25segmented_radix_sort_implINS0_14default_configELb0EPKsPsPKlPlN2at6native12_GLOBAL__N_18offset_tEEE10hipError_tPvRmT1_PNSt15iterator_traitsISY_E10value_typeET2_T3_PNSZ_IS14_E10value_typeET4_jRbjT5_S1A_jjP12ihipStream_tbEUljE_EEESV_SW_SX_S14_S18_S1A_T6_T7_T9_mT8_S1C_bDpT10_ENKUlT_T0_E_clISt17integral_constantIbLb1EES1O_IbLb0EEEEDaS1K_S1L_EUlS1K_E_NS1_11comp_targetILNS1_3genE9ELNS1_11target_archE1100ELNS1_3gpuE3ELNS1_3repE0EEENS1_30default_config_static_selectorELNS0_4arch9wavefront6targetE0EEEvSY_,"axG",@progbits,_ZN7rocprim17ROCPRIM_400000_NS6detail17trampoline_kernelINS0_13select_configILj256ELj13ELNS0_17block_load_methodE3ELS4_3ELS4_3ELNS0_20block_scan_algorithmE0ELj4294967295EEENS1_25partition_config_selectorILNS1_17partition_subalgoE3EjNS0_10empty_typeEbEEZZNS1_14partition_implILS8_3ELb0ES6_jNS0_17counting_iteratorIjlEEPS9_SE_NS0_5tupleIJPjSE_EEENSF_IJSE_SE_EEES9_SG_JZNS1_25segmented_radix_sort_implINS0_14default_configELb0EPKsPsPKlPlN2at6native12_GLOBAL__N_18offset_tEEE10hipError_tPvRmT1_PNSt15iterator_traitsISY_E10value_typeET2_T3_PNSZ_IS14_E10value_typeET4_jRbjT5_S1A_jjP12ihipStream_tbEUljE_EEESV_SW_SX_S14_S18_S1A_T6_T7_T9_mT8_S1C_bDpT10_ENKUlT_T0_E_clISt17integral_constantIbLb1EES1O_IbLb0EEEEDaS1K_S1L_EUlS1K_E_NS1_11comp_targetILNS1_3genE9ELNS1_11target_archE1100ELNS1_3gpuE3ELNS1_3repE0EEENS1_30default_config_static_selectorELNS0_4arch9wavefront6targetE0EEEvSY_,comdat
	.globl	_ZN7rocprim17ROCPRIM_400000_NS6detail17trampoline_kernelINS0_13select_configILj256ELj13ELNS0_17block_load_methodE3ELS4_3ELS4_3ELNS0_20block_scan_algorithmE0ELj4294967295EEENS1_25partition_config_selectorILNS1_17partition_subalgoE3EjNS0_10empty_typeEbEEZZNS1_14partition_implILS8_3ELb0ES6_jNS0_17counting_iteratorIjlEEPS9_SE_NS0_5tupleIJPjSE_EEENSF_IJSE_SE_EEES9_SG_JZNS1_25segmented_radix_sort_implINS0_14default_configELb0EPKsPsPKlPlN2at6native12_GLOBAL__N_18offset_tEEE10hipError_tPvRmT1_PNSt15iterator_traitsISY_E10value_typeET2_T3_PNSZ_IS14_E10value_typeET4_jRbjT5_S1A_jjP12ihipStream_tbEUljE_EEESV_SW_SX_S14_S18_S1A_T6_T7_T9_mT8_S1C_bDpT10_ENKUlT_T0_E_clISt17integral_constantIbLb1EES1O_IbLb0EEEEDaS1K_S1L_EUlS1K_E_NS1_11comp_targetILNS1_3genE9ELNS1_11target_archE1100ELNS1_3gpuE3ELNS1_3repE0EEENS1_30default_config_static_selectorELNS0_4arch9wavefront6targetE0EEEvSY_ ; -- Begin function _ZN7rocprim17ROCPRIM_400000_NS6detail17trampoline_kernelINS0_13select_configILj256ELj13ELNS0_17block_load_methodE3ELS4_3ELS4_3ELNS0_20block_scan_algorithmE0ELj4294967295EEENS1_25partition_config_selectorILNS1_17partition_subalgoE3EjNS0_10empty_typeEbEEZZNS1_14partition_implILS8_3ELb0ES6_jNS0_17counting_iteratorIjlEEPS9_SE_NS0_5tupleIJPjSE_EEENSF_IJSE_SE_EEES9_SG_JZNS1_25segmented_radix_sort_implINS0_14default_configELb0EPKsPsPKlPlN2at6native12_GLOBAL__N_18offset_tEEE10hipError_tPvRmT1_PNSt15iterator_traitsISY_E10value_typeET2_T3_PNSZ_IS14_E10value_typeET4_jRbjT5_S1A_jjP12ihipStream_tbEUljE_EEESV_SW_SX_S14_S18_S1A_T6_T7_T9_mT8_S1C_bDpT10_ENKUlT_T0_E_clISt17integral_constantIbLb1EES1O_IbLb0EEEEDaS1K_S1L_EUlS1K_E_NS1_11comp_targetILNS1_3genE9ELNS1_11target_archE1100ELNS1_3gpuE3ELNS1_3repE0EEENS1_30default_config_static_selectorELNS0_4arch9wavefront6targetE0EEEvSY_
	.p2align	8
	.type	_ZN7rocprim17ROCPRIM_400000_NS6detail17trampoline_kernelINS0_13select_configILj256ELj13ELNS0_17block_load_methodE3ELS4_3ELS4_3ELNS0_20block_scan_algorithmE0ELj4294967295EEENS1_25partition_config_selectorILNS1_17partition_subalgoE3EjNS0_10empty_typeEbEEZZNS1_14partition_implILS8_3ELb0ES6_jNS0_17counting_iteratorIjlEEPS9_SE_NS0_5tupleIJPjSE_EEENSF_IJSE_SE_EEES9_SG_JZNS1_25segmented_radix_sort_implINS0_14default_configELb0EPKsPsPKlPlN2at6native12_GLOBAL__N_18offset_tEEE10hipError_tPvRmT1_PNSt15iterator_traitsISY_E10value_typeET2_T3_PNSZ_IS14_E10value_typeET4_jRbjT5_S1A_jjP12ihipStream_tbEUljE_EEESV_SW_SX_S14_S18_S1A_T6_T7_T9_mT8_S1C_bDpT10_ENKUlT_T0_E_clISt17integral_constantIbLb1EES1O_IbLb0EEEEDaS1K_S1L_EUlS1K_E_NS1_11comp_targetILNS1_3genE9ELNS1_11target_archE1100ELNS1_3gpuE3ELNS1_3repE0EEENS1_30default_config_static_selectorELNS0_4arch9wavefront6targetE0EEEvSY_,@function
_ZN7rocprim17ROCPRIM_400000_NS6detail17trampoline_kernelINS0_13select_configILj256ELj13ELNS0_17block_load_methodE3ELS4_3ELS4_3ELNS0_20block_scan_algorithmE0ELj4294967295EEENS1_25partition_config_selectorILNS1_17partition_subalgoE3EjNS0_10empty_typeEbEEZZNS1_14partition_implILS8_3ELb0ES6_jNS0_17counting_iteratorIjlEEPS9_SE_NS0_5tupleIJPjSE_EEENSF_IJSE_SE_EEES9_SG_JZNS1_25segmented_radix_sort_implINS0_14default_configELb0EPKsPsPKlPlN2at6native12_GLOBAL__N_18offset_tEEE10hipError_tPvRmT1_PNSt15iterator_traitsISY_E10value_typeET2_T3_PNSZ_IS14_E10value_typeET4_jRbjT5_S1A_jjP12ihipStream_tbEUljE_EEESV_SW_SX_S14_S18_S1A_T6_T7_T9_mT8_S1C_bDpT10_ENKUlT_T0_E_clISt17integral_constantIbLb1EES1O_IbLb0EEEEDaS1K_S1L_EUlS1K_E_NS1_11comp_targetILNS1_3genE9ELNS1_11target_archE1100ELNS1_3gpuE3ELNS1_3repE0EEENS1_30default_config_static_selectorELNS0_4arch9wavefront6targetE0EEEvSY_: ; @_ZN7rocprim17ROCPRIM_400000_NS6detail17trampoline_kernelINS0_13select_configILj256ELj13ELNS0_17block_load_methodE3ELS4_3ELS4_3ELNS0_20block_scan_algorithmE0ELj4294967295EEENS1_25partition_config_selectorILNS1_17partition_subalgoE3EjNS0_10empty_typeEbEEZZNS1_14partition_implILS8_3ELb0ES6_jNS0_17counting_iteratorIjlEEPS9_SE_NS0_5tupleIJPjSE_EEENSF_IJSE_SE_EEES9_SG_JZNS1_25segmented_radix_sort_implINS0_14default_configELb0EPKsPsPKlPlN2at6native12_GLOBAL__N_18offset_tEEE10hipError_tPvRmT1_PNSt15iterator_traitsISY_E10value_typeET2_T3_PNSZ_IS14_E10value_typeET4_jRbjT5_S1A_jjP12ihipStream_tbEUljE_EEESV_SW_SX_S14_S18_S1A_T6_T7_T9_mT8_S1C_bDpT10_ENKUlT_T0_E_clISt17integral_constantIbLb1EES1O_IbLb0EEEEDaS1K_S1L_EUlS1K_E_NS1_11comp_targetILNS1_3genE9ELNS1_11target_archE1100ELNS1_3gpuE3ELNS1_3repE0EEENS1_30default_config_static_selectorELNS0_4arch9wavefront6targetE0EEEvSY_
; %bb.0:
	.section	.rodata,"a",@progbits
	.p2align	6, 0x0
	.amdhsa_kernel _ZN7rocprim17ROCPRIM_400000_NS6detail17trampoline_kernelINS0_13select_configILj256ELj13ELNS0_17block_load_methodE3ELS4_3ELS4_3ELNS0_20block_scan_algorithmE0ELj4294967295EEENS1_25partition_config_selectorILNS1_17partition_subalgoE3EjNS0_10empty_typeEbEEZZNS1_14partition_implILS8_3ELb0ES6_jNS0_17counting_iteratorIjlEEPS9_SE_NS0_5tupleIJPjSE_EEENSF_IJSE_SE_EEES9_SG_JZNS1_25segmented_radix_sort_implINS0_14default_configELb0EPKsPsPKlPlN2at6native12_GLOBAL__N_18offset_tEEE10hipError_tPvRmT1_PNSt15iterator_traitsISY_E10value_typeET2_T3_PNSZ_IS14_E10value_typeET4_jRbjT5_S1A_jjP12ihipStream_tbEUljE_EEESV_SW_SX_S14_S18_S1A_T6_T7_T9_mT8_S1C_bDpT10_ENKUlT_T0_E_clISt17integral_constantIbLb1EES1O_IbLb0EEEEDaS1K_S1L_EUlS1K_E_NS1_11comp_targetILNS1_3genE9ELNS1_11target_archE1100ELNS1_3gpuE3ELNS1_3repE0EEENS1_30default_config_static_selectorELNS0_4arch9wavefront6targetE0EEEvSY_
		.amdhsa_group_segment_fixed_size 0
		.amdhsa_private_segment_fixed_size 0
		.amdhsa_kernarg_size 144
		.amdhsa_user_sgpr_count 2
		.amdhsa_user_sgpr_dispatch_ptr 0
		.amdhsa_user_sgpr_queue_ptr 0
		.amdhsa_user_sgpr_kernarg_segment_ptr 1
		.amdhsa_user_sgpr_dispatch_id 0
		.amdhsa_user_sgpr_private_segment_size 0
		.amdhsa_wavefront_size32 1
		.amdhsa_uses_dynamic_stack 0
		.amdhsa_enable_private_segment 0
		.amdhsa_system_sgpr_workgroup_id_x 1
		.amdhsa_system_sgpr_workgroup_id_y 0
		.amdhsa_system_sgpr_workgroup_id_z 0
		.amdhsa_system_sgpr_workgroup_info 0
		.amdhsa_system_vgpr_workitem_id 0
		.amdhsa_next_free_vgpr 1
		.amdhsa_next_free_sgpr 1
		.amdhsa_reserve_vcc 0
		.amdhsa_float_round_mode_32 0
		.amdhsa_float_round_mode_16_64 0
		.amdhsa_float_denorm_mode_32 3
		.amdhsa_float_denorm_mode_16_64 3
		.amdhsa_fp16_overflow 0
		.amdhsa_workgroup_processor_mode 1
		.amdhsa_memory_ordered 1
		.amdhsa_forward_progress 1
		.amdhsa_inst_pref_size 0
		.amdhsa_round_robin_scheduling 0
		.amdhsa_exception_fp_ieee_invalid_op 0
		.amdhsa_exception_fp_denorm_src 0
		.amdhsa_exception_fp_ieee_div_zero 0
		.amdhsa_exception_fp_ieee_overflow 0
		.amdhsa_exception_fp_ieee_underflow 0
		.amdhsa_exception_fp_ieee_inexact 0
		.amdhsa_exception_int_div_zero 0
	.end_amdhsa_kernel
	.section	.text._ZN7rocprim17ROCPRIM_400000_NS6detail17trampoline_kernelINS0_13select_configILj256ELj13ELNS0_17block_load_methodE3ELS4_3ELS4_3ELNS0_20block_scan_algorithmE0ELj4294967295EEENS1_25partition_config_selectorILNS1_17partition_subalgoE3EjNS0_10empty_typeEbEEZZNS1_14partition_implILS8_3ELb0ES6_jNS0_17counting_iteratorIjlEEPS9_SE_NS0_5tupleIJPjSE_EEENSF_IJSE_SE_EEES9_SG_JZNS1_25segmented_radix_sort_implINS0_14default_configELb0EPKsPsPKlPlN2at6native12_GLOBAL__N_18offset_tEEE10hipError_tPvRmT1_PNSt15iterator_traitsISY_E10value_typeET2_T3_PNSZ_IS14_E10value_typeET4_jRbjT5_S1A_jjP12ihipStream_tbEUljE_EEESV_SW_SX_S14_S18_S1A_T6_T7_T9_mT8_S1C_bDpT10_ENKUlT_T0_E_clISt17integral_constantIbLb1EES1O_IbLb0EEEEDaS1K_S1L_EUlS1K_E_NS1_11comp_targetILNS1_3genE9ELNS1_11target_archE1100ELNS1_3gpuE3ELNS1_3repE0EEENS1_30default_config_static_selectorELNS0_4arch9wavefront6targetE0EEEvSY_,"axG",@progbits,_ZN7rocprim17ROCPRIM_400000_NS6detail17trampoline_kernelINS0_13select_configILj256ELj13ELNS0_17block_load_methodE3ELS4_3ELS4_3ELNS0_20block_scan_algorithmE0ELj4294967295EEENS1_25partition_config_selectorILNS1_17partition_subalgoE3EjNS0_10empty_typeEbEEZZNS1_14partition_implILS8_3ELb0ES6_jNS0_17counting_iteratorIjlEEPS9_SE_NS0_5tupleIJPjSE_EEENSF_IJSE_SE_EEES9_SG_JZNS1_25segmented_radix_sort_implINS0_14default_configELb0EPKsPsPKlPlN2at6native12_GLOBAL__N_18offset_tEEE10hipError_tPvRmT1_PNSt15iterator_traitsISY_E10value_typeET2_T3_PNSZ_IS14_E10value_typeET4_jRbjT5_S1A_jjP12ihipStream_tbEUljE_EEESV_SW_SX_S14_S18_S1A_T6_T7_T9_mT8_S1C_bDpT10_ENKUlT_T0_E_clISt17integral_constantIbLb1EES1O_IbLb0EEEEDaS1K_S1L_EUlS1K_E_NS1_11comp_targetILNS1_3genE9ELNS1_11target_archE1100ELNS1_3gpuE3ELNS1_3repE0EEENS1_30default_config_static_selectorELNS0_4arch9wavefront6targetE0EEEvSY_,comdat
.Lfunc_end1004:
	.size	_ZN7rocprim17ROCPRIM_400000_NS6detail17trampoline_kernelINS0_13select_configILj256ELj13ELNS0_17block_load_methodE3ELS4_3ELS4_3ELNS0_20block_scan_algorithmE0ELj4294967295EEENS1_25partition_config_selectorILNS1_17partition_subalgoE3EjNS0_10empty_typeEbEEZZNS1_14partition_implILS8_3ELb0ES6_jNS0_17counting_iteratorIjlEEPS9_SE_NS0_5tupleIJPjSE_EEENSF_IJSE_SE_EEES9_SG_JZNS1_25segmented_radix_sort_implINS0_14default_configELb0EPKsPsPKlPlN2at6native12_GLOBAL__N_18offset_tEEE10hipError_tPvRmT1_PNSt15iterator_traitsISY_E10value_typeET2_T3_PNSZ_IS14_E10value_typeET4_jRbjT5_S1A_jjP12ihipStream_tbEUljE_EEESV_SW_SX_S14_S18_S1A_T6_T7_T9_mT8_S1C_bDpT10_ENKUlT_T0_E_clISt17integral_constantIbLb1EES1O_IbLb0EEEEDaS1K_S1L_EUlS1K_E_NS1_11comp_targetILNS1_3genE9ELNS1_11target_archE1100ELNS1_3gpuE3ELNS1_3repE0EEENS1_30default_config_static_selectorELNS0_4arch9wavefront6targetE0EEEvSY_, .Lfunc_end1004-_ZN7rocprim17ROCPRIM_400000_NS6detail17trampoline_kernelINS0_13select_configILj256ELj13ELNS0_17block_load_methodE3ELS4_3ELS4_3ELNS0_20block_scan_algorithmE0ELj4294967295EEENS1_25partition_config_selectorILNS1_17partition_subalgoE3EjNS0_10empty_typeEbEEZZNS1_14partition_implILS8_3ELb0ES6_jNS0_17counting_iteratorIjlEEPS9_SE_NS0_5tupleIJPjSE_EEENSF_IJSE_SE_EEES9_SG_JZNS1_25segmented_radix_sort_implINS0_14default_configELb0EPKsPsPKlPlN2at6native12_GLOBAL__N_18offset_tEEE10hipError_tPvRmT1_PNSt15iterator_traitsISY_E10value_typeET2_T3_PNSZ_IS14_E10value_typeET4_jRbjT5_S1A_jjP12ihipStream_tbEUljE_EEESV_SW_SX_S14_S18_S1A_T6_T7_T9_mT8_S1C_bDpT10_ENKUlT_T0_E_clISt17integral_constantIbLb1EES1O_IbLb0EEEEDaS1K_S1L_EUlS1K_E_NS1_11comp_targetILNS1_3genE9ELNS1_11target_archE1100ELNS1_3gpuE3ELNS1_3repE0EEENS1_30default_config_static_selectorELNS0_4arch9wavefront6targetE0EEEvSY_
                                        ; -- End function
	.set _ZN7rocprim17ROCPRIM_400000_NS6detail17trampoline_kernelINS0_13select_configILj256ELj13ELNS0_17block_load_methodE3ELS4_3ELS4_3ELNS0_20block_scan_algorithmE0ELj4294967295EEENS1_25partition_config_selectorILNS1_17partition_subalgoE3EjNS0_10empty_typeEbEEZZNS1_14partition_implILS8_3ELb0ES6_jNS0_17counting_iteratorIjlEEPS9_SE_NS0_5tupleIJPjSE_EEENSF_IJSE_SE_EEES9_SG_JZNS1_25segmented_radix_sort_implINS0_14default_configELb0EPKsPsPKlPlN2at6native12_GLOBAL__N_18offset_tEEE10hipError_tPvRmT1_PNSt15iterator_traitsISY_E10value_typeET2_T3_PNSZ_IS14_E10value_typeET4_jRbjT5_S1A_jjP12ihipStream_tbEUljE_EEESV_SW_SX_S14_S18_S1A_T6_T7_T9_mT8_S1C_bDpT10_ENKUlT_T0_E_clISt17integral_constantIbLb1EES1O_IbLb0EEEEDaS1K_S1L_EUlS1K_E_NS1_11comp_targetILNS1_3genE9ELNS1_11target_archE1100ELNS1_3gpuE3ELNS1_3repE0EEENS1_30default_config_static_selectorELNS0_4arch9wavefront6targetE0EEEvSY_.num_vgpr, 0
	.set _ZN7rocprim17ROCPRIM_400000_NS6detail17trampoline_kernelINS0_13select_configILj256ELj13ELNS0_17block_load_methodE3ELS4_3ELS4_3ELNS0_20block_scan_algorithmE0ELj4294967295EEENS1_25partition_config_selectorILNS1_17partition_subalgoE3EjNS0_10empty_typeEbEEZZNS1_14partition_implILS8_3ELb0ES6_jNS0_17counting_iteratorIjlEEPS9_SE_NS0_5tupleIJPjSE_EEENSF_IJSE_SE_EEES9_SG_JZNS1_25segmented_radix_sort_implINS0_14default_configELb0EPKsPsPKlPlN2at6native12_GLOBAL__N_18offset_tEEE10hipError_tPvRmT1_PNSt15iterator_traitsISY_E10value_typeET2_T3_PNSZ_IS14_E10value_typeET4_jRbjT5_S1A_jjP12ihipStream_tbEUljE_EEESV_SW_SX_S14_S18_S1A_T6_T7_T9_mT8_S1C_bDpT10_ENKUlT_T0_E_clISt17integral_constantIbLb1EES1O_IbLb0EEEEDaS1K_S1L_EUlS1K_E_NS1_11comp_targetILNS1_3genE9ELNS1_11target_archE1100ELNS1_3gpuE3ELNS1_3repE0EEENS1_30default_config_static_selectorELNS0_4arch9wavefront6targetE0EEEvSY_.num_agpr, 0
	.set _ZN7rocprim17ROCPRIM_400000_NS6detail17trampoline_kernelINS0_13select_configILj256ELj13ELNS0_17block_load_methodE3ELS4_3ELS4_3ELNS0_20block_scan_algorithmE0ELj4294967295EEENS1_25partition_config_selectorILNS1_17partition_subalgoE3EjNS0_10empty_typeEbEEZZNS1_14partition_implILS8_3ELb0ES6_jNS0_17counting_iteratorIjlEEPS9_SE_NS0_5tupleIJPjSE_EEENSF_IJSE_SE_EEES9_SG_JZNS1_25segmented_radix_sort_implINS0_14default_configELb0EPKsPsPKlPlN2at6native12_GLOBAL__N_18offset_tEEE10hipError_tPvRmT1_PNSt15iterator_traitsISY_E10value_typeET2_T3_PNSZ_IS14_E10value_typeET4_jRbjT5_S1A_jjP12ihipStream_tbEUljE_EEESV_SW_SX_S14_S18_S1A_T6_T7_T9_mT8_S1C_bDpT10_ENKUlT_T0_E_clISt17integral_constantIbLb1EES1O_IbLb0EEEEDaS1K_S1L_EUlS1K_E_NS1_11comp_targetILNS1_3genE9ELNS1_11target_archE1100ELNS1_3gpuE3ELNS1_3repE0EEENS1_30default_config_static_selectorELNS0_4arch9wavefront6targetE0EEEvSY_.numbered_sgpr, 0
	.set _ZN7rocprim17ROCPRIM_400000_NS6detail17trampoline_kernelINS0_13select_configILj256ELj13ELNS0_17block_load_methodE3ELS4_3ELS4_3ELNS0_20block_scan_algorithmE0ELj4294967295EEENS1_25partition_config_selectorILNS1_17partition_subalgoE3EjNS0_10empty_typeEbEEZZNS1_14partition_implILS8_3ELb0ES6_jNS0_17counting_iteratorIjlEEPS9_SE_NS0_5tupleIJPjSE_EEENSF_IJSE_SE_EEES9_SG_JZNS1_25segmented_radix_sort_implINS0_14default_configELb0EPKsPsPKlPlN2at6native12_GLOBAL__N_18offset_tEEE10hipError_tPvRmT1_PNSt15iterator_traitsISY_E10value_typeET2_T3_PNSZ_IS14_E10value_typeET4_jRbjT5_S1A_jjP12ihipStream_tbEUljE_EEESV_SW_SX_S14_S18_S1A_T6_T7_T9_mT8_S1C_bDpT10_ENKUlT_T0_E_clISt17integral_constantIbLb1EES1O_IbLb0EEEEDaS1K_S1L_EUlS1K_E_NS1_11comp_targetILNS1_3genE9ELNS1_11target_archE1100ELNS1_3gpuE3ELNS1_3repE0EEENS1_30default_config_static_selectorELNS0_4arch9wavefront6targetE0EEEvSY_.num_named_barrier, 0
	.set _ZN7rocprim17ROCPRIM_400000_NS6detail17trampoline_kernelINS0_13select_configILj256ELj13ELNS0_17block_load_methodE3ELS4_3ELS4_3ELNS0_20block_scan_algorithmE0ELj4294967295EEENS1_25partition_config_selectorILNS1_17partition_subalgoE3EjNS0_10empty_typeEbEEZZNS1_14partition_implILS8_3ELb0ES6_jNS0_17counting_iteratorIjlEEPS9_SE_NS0_5tupleIJPjSE_EEENSF_IJSE_SE_EEES9_SG_JZNS1_25segmented_radix_sort_implINS0_14default_configELb0EPKsPsPKlPlN2at6native12_GLOBAL__N_18offset_tEEE10hipError_tPvRmT1_PNSt15iterator_traitsISY_E10value_typeET2_T3_PNSZ_IS14_E10value_typeET4_jRbjT5_S1A_jjP12ihipStream_tbEUljE_EEESV_SW_SX_S14_S18_S1A_T6_T7_T9_mT8_S1C_bDpT10_ENKUlT_T0_E_clISt17integral_constantIbLb1EES1O_IbLb0EEEEDaS1K_S1L_EUlS1K_E_NS1_11comp_targetILNS1_3genE9ELNS1_11target_archE1100ELNS1_3gpuE3ELNS1_3repE0EEENS1_30default_config_static_selectorELNS0_4arch9wavefront6targetE0EEEvSY_.private_seg_size, 0
	.set _ZN7rocprim17ROCPRIM_400000_NS6detail17trampoline_kernelINS0_13select_configILj256ELj13ELNS0_17block_load_methodE3ELS4_3ELS4_3ELNS0_20block_scan_algorithmE0ELj4294967295EEENS1_25partition_config_selectorILNS1_17partition_subalgoE3EjNS0_10empty_typeEbEEZZNS1_14partition_implILS8_3ELb0ES6_jNS0_17counting_iteratorIjlEEPS9_SE_NS0_5tupleIJPjSE_EEENSF_IJSE_SE_EEES9_SG_JZNS1_25segmented_radix_sort_implINS0_14default_configELb0EPKsPsPKlPlN2at6native12_GLOBAL__N_18offset_tEEE10hipError_tPvRmT1_PNSt15iterator_traitsISY_E10value_typeET2_T3_PNSZ_IS14_E10value_typeET4_jRbjT5_S1A_jjP12ihipStream_tbEUljE_EEESV_SW_SX_S14_S18_S1A_T6_T7_T9_mT8_S1C_bDpT10_ENKUlT_T0_E_clISt17integral_constantIbLb1EES1O_IbLb0EEEEDaS1K_S1L_EUlS1K_E_NS1_11comp_targetILNS1_3genE9ELNS1_11target_archE1100ELNS1_3gpuE3ELNS1_3repE0EEENS1_30default_config_static_selectorELNS0_4arch9wavefront6targetE0EEEvSY_.uses_vcc, 0
	.set _ZN7rocprim17ROCPRIM_400000_NS6detail17trampoline_kernelINS0_13select_configILj256ELj13ELNS0_17block_load_methodE3ELS4_3ELS4_3ELNS0_20block_scan_algorithmE0ELj4294967295EEENS1_25partition_config_selectorILNS1_17partition_subalgoE3EjNS0_10empty_typeEbEEZZNS1_14partition_implILS8_3ELb0ES6_jNS0_17counting_iteratorIjlEEPS9_SE_NS0_5tupleIJPjSE_EEENSF_IJSE_SE_EEES9_SG_JZNS1_25segmented_radix_sort_implINS0_14default_configELb0EPKsPsPKlPlN2at6native12_GLOBAL__N_18offset_tEEE10hipError_tPvRmT1_PNSt15iterator_traitsISY_E10value_typeET2_T3_PNSZ_IS14_E10value_typeET4_jRbjT5_S1A_jjP12ihipStream_tbEUljE_EEESV_SW_SX_S14_S18_S1A_T6_T7_T9_mT8_S1C_bDpT10_ENKUlT_T0_E_clISt17integral_constantIbLb1EES1O_IbLb0EEEEDaS1K_S1L_EUlS1K_E_NS1_11comp_targetILNS1_3genE9ELNS1_11target_archE1100ELNS1_3gpuE3ELNS1_3repE0EEENS1_30default_config_static_selectorELNS0_4arch9wavefront6targetE0EEEvSY_.uses_flat_scratch, 0
	.set _ZN7rocprim17ROCPRIM_400000_NS6detail17trampoline_kernelINS0_13select_configILj256ELj13ELNS0_17block_load_methodE3ELS4_3ELS4_3ELNS0_20block_scan_algorithmE0ELj4294967295EEENS1_25partition_config_selectorILNS1_17partition_subalgoE3EjNS0_10empty_typeEbEEZZNS1_14partition_implILS8_3ELb0ES6_jNS0_17counting_iteratorIjlEEPS9_SE_NS0_5tupleIJPjSE_EEENSF_IJSE_SE_EEES9_SG_JZNS1_25segmented_radix_sort_implINS0_14default_configELb0EPKsPsPKlPlN2at6native12_GLOBAL__N_18offset_tEEE10hipError_tPvRmT1_PNSt15iterator_traitsISY_E10value_typeET2_T3_PNSZ_IS14_E10value_typeET4_jRbjT5_S1A_jjP12ihipStream_tbEUljE_EEESV_SW_SX_S14_S18_S1A_T6_T7_T9_mT8_S1C_bDpT10_ENKUlT_T0_E_clISt17integral_constantIbLb1EES1O_IbLb0EEEEDaS1K_S1L_EUlS1K_E_NS1_11comp_targetILNS1_3genE9ELNS1_11target_archE1100ELNS1_3gpuE3ELNS1_3repE0EEENS1_30default_config_static_selectorELNS0_4arch9wavefront6targetE0EEEvSY_.has_dyn_sized_stack, 0
	.set _ZN7rocprim17ROCPRIM_400000_NS6detail17trampoline_kernelINS0_13select_configILj256ELj13ELNS0_17block_load_methodE3ELS4_3ELS4_3ELNS0_20block_scan_algorithmE0ELj4294967295EEENS1_25partition_config_selectorILNS1_17partition_subalgoE3EjNS0_10empty_typeEbEEZZNS1_14partition_implILS8_3ELb0ES6_jNS0_17counting_iteratorIjlEEPS9_SE_NS0_5tupleIJPjSE_EEENSF_IJSE_SE_EEES9_SG_JZNS1_25segmented_radix_sort_implINS0_14default_configELb0EPKsPsPKlPlN2at6native12_GLOBAL__N_18offset_tEEE10hipError_tPvRmT1_PNSt15iterator_traitsISY_E10value_typeET2_T3_PNSZ_IS14_E10value_typeET4_jRbjT5_S1A_jjP12ihipStream_tbEUljE_EEESV_SW_SX_S14_S18_S1A_T6_T7_T9_mT8_S1C_bDpT10_ENKUlT_T0_E_clISt17integral_constantIbLb1EES1O_IbLb0EEEEDaS1K_S1L_EUlS1K_E_NS1_11comp_targetILNS1_3genE9ELNS1_11target_archE1100ELNS1_3gpuE3ELNS1_3repE0EEENS1_30default_config_static_selectorELNS0_4arch9wavefront6targetE0EEEvSY_.has_recursion, 0
	.set _ZN7rocprim17ROCPRIM_400000_NS6detail17trampoline_kernelINS0_13select_configILj256ELj13ELNS0_17block_load_methodE3ELS4_3ELS4_3ELNS0_20block_scan_algorithmE0ELj4294967295EEENS1_25partition_config_selectorILNS1_17partition_subalgoE3EjNS0_10empty_typeEbEEZZNS1_14partition_implILS8_3ELb0ES6_jNS0_17counting_iteratorIjlEEPS9_SE_NS0_5tupleIJPjSE_EEENSF_IJSE_SE_EEES9_SG_JZNS1_25segmented_radix_sort_implINS0_14default_configELb0EPKsPsPKlPlN2at6native12_GLOBAL__N_18offset_tEEE10hipError_tPvRmT1_PNSt15iterator_traitsISY_E10value_typeET2_T3_PNSZ_IS14_E10value_typeET4_jRbjT5_S1A_jjP12ihipStream_tbEUljE_EEESV_SW_SX_S14_S18_S1A_T6_T7_T9_mT8_S1C_bDpT10_ENKUlT_T0_E_clISt17integral_constantIbLb1EES1O_IbLb0EEEEDaS1K_S1L_EUlS1K_E_NS1_11comp_targetILNS1_3genE9ELNS1_11target_archE1100ELNS1_3gpuE3ELNS1_3repE0EEENS1_30default_config_static_selectorELNS0_4arch9wavefront6targetE0EEEvSY_.has_indirect_call, 0
	.section	.AMDGPU.csdata,"",@progbits
; Kernel info:
; codeLenInByte = 0
; TotalNumSgprs: 0
; NumVgprs: 0
; ScratchSize: 0
; MemoryBound: 0
; FloatMode: 240
; IeeeMode: 1
; LDSByteSize: 0 bytes/workgroup (compile time only)
; SGPRBlocks: 0
; VGPRBlocks: 0
; NumSGPRsForWavesPerEU: 1
; NumVGPRsForWavesPerEU: 1
; Occupancy: 16
; WaveLimiterHint : 0
; COMPUTE_PGM_RSRC2:SCRATCH_EN: 0
; COMPUTE_PGM_RSRC2:USER_SGPR: 2
; COMPUTE_PGM_RSRC2:TRAP_HANDLER: 0
; COMPUTE_PGM_RSRC2:TGID_X_EN: 1
; COMPUTE_PGM_RSRC2:TGID_Y_EN: 0
; COMPUTE_PGM_RSRC2:TGID_Z_EN: 0
; COMPUTE_PGM_RSRC2:TIDIG_COMP_CNT: 0
	.section	.text._ZN7rocprim17ROCPRIM_400000_NS6detail17trampoline_kernelINS0_13select_configILj256ELj13ELNS0_17block_load_methodE3ELS4_3ELS4_3ELNS0_20block_scan_algorithmE0ELj4294967295EEENS1_25partition_config_selectorILNS1_17partition_subalgoE3EjNS0_10empty_typeEbEEZZNS1_14partition_implILS8_3ELb0ES6_jNS0_17counting_iteratorIjlEEPS9_SE_NS0_5tupleIJPjSE_EEENSF_IJSE_SE_EEES9_SG_JZNS1_25segmented_radix_sort_implINS0_14default_configELb0EPKsPsPKlPlN2at6native12_GLOBAL__N_18offset_tEEE10hipError_tPvRmT1_PNSt15iterator_traitsISY_E10value_typeET2_T3_PNSZ_IS14_E10value_typeET4_jRbjT5_S1A_jjP12ihipStream_tbEUljE_EEESV_SW_SX_S14_S18_S1A_T6_T7_T9_mT8_S1C_bDpT10_ENKUlT_T0_E_clISt17integral_constantIbLb1EES1O_IbLb0EEEEDaS1K_S1L_EUlS1K_E_NS1_11comp_targetILNS1_3genE8ELNS1_11target_archE1030ELNS1_3gpuE2ELNS1_3repE0EEENS1_30default_config_static_selectorELNS0_4arch9wavefront6targetE0EEEvSY_,"axG",@progbits,_ZN7rocprim17ROCPRIM_400000_NS6detail17trampoline_kernelINS0_13select_configILj256ELj13ELNS0_17block_load_methodE3ELS4_3ELS4_3ELNS0_20block_scan_algorithmE0ELj4294967295EEENS1_25partition_config_selectorILNS1_17partition_subalgoE3EjNS0_10empty_typeEbEEZZNS1_14partition_implILS8_3ELb0ES6_jNS0_17counting_iteratorIjlEEPS9_SE_NS0_5tupleIJPjSE_EEENSF_IJSE_SE_EEES9_SG_JZNS1_25segmented_radix_sort_implINS0_14default_configELb0EPKsPsPKlPlN2at6native12_GLOBAL__N_18offset_tEEE10hipError_tPvRmT1_PNSt15iterator_traitsISY_E10value_typeET2_T3_PNSZ_IS14_E10value_typeET4_jRbjT5_S1A_jjP12ihipStream_tbEUljE_EEESV_SW_SX_S14_S18_S1A_T6_T7_T9_mT8_S1C_bDpT10_ENKUlT_T0_E_clISt17integral_constantIbLb1EES1O_IbLb0EEEEDaS1K_S1L_EUlS1K_E_NS1_11comp_targetILNS1_3genE8ELNS1_11target_archE1030ELNS1_3gpuE2ELNS1_3repE0EEENS1_30default_config_static_selectorELNS0_4arch9wavefront6targetE0EEEvSY_,comdat
	.globl	_ZN7rocprim17ROCPRIM_400000_NS6detail17trampoline_kernelINS0_13select_configILj256ELj13ELNS0_17block_load_methodE3ELS4_3ELS4_3ELNS0_20block_scan_algorithmE0ELj4294967295EEENS1_25partition_config_selectorILNS1_17partition_subalgoE3EjNS0_10empty_typeEbEEZZNS1_14partition_implILS8_3ELb0ES6_jNS0_17counting_iteratorIjlEEPS9_SE_NS0_5tupleIJPjSE_EEENSF_IJSE_SE_EEES9_SG_JZNS1_25segmented_radix_sort_implINS0_14default_configELb0EPKsPsPKlPlN2at6native12_GLOBAL__N_18offset_tEEE10hipError_tPvRmT1_PNSt15iterator_traitsISY_E10value_typeET2_T3_PNSZ_IS14_E10value_typeET4_jRbjT5_S1A_jjP12ihipStream_tbEUljE_EEESV_SW_SX_S14_S18_S1A_T6_T7_T9_mT8_S1C_bDpT10_ENKUlT_T0_E_clISt17integral_constantIbLb1EES1O_IbLb0EEEEDaS1K_S1L_EUlS1K_E_NS1_11comp_targetILNS1_3genE8ELNS1_11target_archE1030ELNS1_3gpuE2ELNS1_3repE0EEENS1_30default_config_static_selectorELNS0_4arch9wavefront6targetE0EEEvSY_ ; -- Begin function _ZN7rocprim17ROCPRIM_400000_NS6detail17trampoline_kernelINS0_13select_configILj256ELj13ELNS0_17block_load_methodE3ELS4_3ELS4_3ELNS0_20block_scan_algorithmE0ELj4294967295EEENS1_25partition_config_selectorILNS1_17partition_subalgoE3EjNS0_10empty_typeEbEEZZNS1_14partition_implILS8_3ELb0ES6_jNS0_17counting_iteratorIjlEEPS9_SE_NS0_5tupleIJPjSE_EEENSF_IJSE_SE_EEES9_SG_JZNS1_25segmented_radix_sort_implINS0_14default_configELb0EPKsPsPKlPlN2at6native12_GLOBAL__N_18offset_tEEE10hipError_tPvRmT1_PNSt15iterator_traitsISY_E10value_typeET2_T3_PNSZ_IS14_E10value_typeET4_jRbjT5_S1A_jjP12ihipStream_tbEUljE_EEESV_SW_SX_S14_S18_S1A_T6_T7_T9_mT8_S1C_bDpT10_ENKUlT_T0_E_clISt17integral_constantIbLb1EES1O_IbLb0EEEEDaS1K_S1L_EUlS1K_E_NS1_11comp_targetILNS1_3genE8ELNS1_11target_archE1030ELNS1_3gpuE2ELNS1_3repE0EEENS1_30default_config_static_selectorELNS0_4arch9wavefront6targetE0EEEvSY_
	.p2align	8
	.type	_ZN7rocprim17ROCPRIM_400000_NS6detail17trampoline_kernelINS0_13select_configILj256ELj13ELNS0_17block_load_methodE3ELS4_3ELS4_3ELNS0_20block_scan_algorithmE0ELj4294967295EEENS1_25partition_config_selectorILNS1_17partition_subalgoE3EjNS0_10empty_typeEbEEZZNS1_14partition_implILS8_3ELb0ES6_jNS0_17counting_iteratorIjlEEPS9_SE_NS0_5tupleIJPjSE_EEENSF_IJSE_SE_EEES9_SG_JZNS1_25segmented_radix_sort_implINS0_14default_configELb0EPKsPsPKlPlN2at6native12_GLOBAL__N_18offset_tEEE10hipError_tPvRmT1_PNSt15iterator_traitsISY_E10value_typeET2_T3_PNSZ_IS14_E10value_typeET4_jRbjT5_S1A_jjP12ihipStream_tbEUljE_EEESV_SW_SX_S14_S18_S1A_T6_T7_T9_mT8_S1C_bDpT10_ENKUlT_T0_E_clISt17integral_constantIbLb1EES1O_IbLb0EEEEDaS1K_S1L_EUlS1K_E_NS1_11comp_targetILNS1_3genE8ELNS1_11target_archE1030ELNS1_3gpuE2ELNS1_3repE0EEENS1_30default_config_static_selectorELNS0_4arch9wavefront6targetE0EEEvSY_,@function
_ZN7rocprim17ROCPRIM_400000_NS6detail17trampoline_kernelINS0_13select_configILj256ELj13ELNS0_17block_load_methodE3ELS4_3ELS4_3ELNS0_20block_scan_algorithmE0ELj4294967295EEENS1_25partition_config_selectorILNS1_17partition_subalgoE3EjNS0_10empty_typeEbEEZZNS1_14partition_implILS8_3ELb0ES6_jNS0_17counting_iteratorIjlEEPS9_SE_NS0_5tupleIJPjSE_EEENSF_IJSE_SE_EEES9_SG_JZNS1_25segmented_radix_sort_implINS0_14default_configELb0EPKsPsPKlPlN2at6native12_GLOBAL__N_18offset_tEEE10hipError_tPvRmT1_PNSt15iterator_traitsISY_E10value_typeET2_T3_PNSZ_IS14_E10value_typeET4_jRbjT5_S1A_jjP12ihipStream_tbEUljE_EEESV_SW_SX_S14_S18_S1A_T6_T7_T9_mT8_S1C_bDpT10_ENKUlT_T0_E_clISt17integral_constantIbLb1EES1O_IbLb0EEEEDaS1K_S1L_EUlS1K_E_NS1_11comp_targetILNS1_3genE8ELNS1_11target_archE1030ELNS1_3gpuE2ELNS1_3repE0EEENS1_30default_config_static_selectorELNS0_4arch9wavefront6targetE0EEEvSY_: ; @_ZN7rocprim17ROCPRIM_400000_NS6detail17trampoline_kernelINS0_13select_configILj256ELj13ELNS0_17block_load_methodE3ELS4_3ELS4_3ELNS0_20block_scan_algorithmE0ELj4294967295EEENS1_25partition_config_selectorILNS1_17partition_subalgoE3EjNS0_10empty_typeEbEEZZNS1_14partition_implILS8_3ELb0ES6_jNS0_17counting_iteratorIjlEEPS9_SE_NS0_5tupleIJPjSE_EEENSF_IJSE_SE_EEES9_SG_JZNS1_25segmented_radix_sort_implINS0_14default_configELb0EPKsPsPKlPlN2at6native12_GLOBAL__N_18offset_tEEE10hipError_tPvRmT1_PNSt15iterator_traitsISY_E10value_typeET2_T3_PNSZ_IS14_E10value_typeET4_jRbjT5_S1A_jjP12ihipStream_tbEUljE_EEESV_SW_SX_S14_S18_S1A_T6_T7_T9_mT8_S1C_bDpT10_ENKUlT_T0_E_clISt17integral_constantIbLb1EES1O_IbLb0EEEEDaS1K_S1L_EUlS1K_E_NS1_11comp_targetILNS1_3genE8ELNS1_11target_archE1030ELNS1_3gpuE2ELNS1_3repE0EEENS1_30default_config_static_selectorELNS0_4arch9wavefront6targetE0EEEvSY_
; %bb.0:
	.section	.rodata,"a",@progbits
	.p2align	6, 0x0
	.amdhsa_kernel _ZN7rocprim17ROCPRIM_400000_NS6detail17trampoline_kernelINS0_13select_configILj256ELj13ELNS0_17block_load_methodE3ELS4_3ELS4_3ELNS0_20block_scan_algorithmE0ELj4294967295EEENS1_25partition_config_selectorILNS1_17partition_subalgoE3EjNS0_10empty_typeEbEEZZNS1_14partition_implILS8_3ELb0ES6_jNS0_17counting_iteratorIjlEEPS9_SE_NS0_5tupleIJPjSE_EEENSF_IJSE_SE_EEES9_SG_JZNS1_25segmented_radix_sort_implINS0_14default_configELb0EPKsPsPKlPlN2at6native12_GLOBAL__N_18offset_tEEE10hipError_tPvRmT1_PNSt15iterator_traitsISY_E10value_typeET2_T3_PNSZ_IS14_E10value_typeET4_jRbjT5_S1A_jjP12ihipStream_tbEUljE_EEESV_SW_SX_S14_S18_S1A_T6_T7_T9_mT8_S1C_bDpT10_ENKUlT_T0_E_clISt17integral_constantIbLb1EES1O_IbLb0EEEEDaS1K_S1L_EUlS1K_E_NS1_11comp_targetILNS1_3genE8ELNS1_11target_archE1030ELNS1_3gpuE2ELNS1_3repE0EEENS1_30default_config_static_selectorELNS0_4arch9wavefront6targetE0EEEvSY_
		.amdhsa_group_segment_fixed_size 0
		.amdhsa_private_segment_fixed_size 0
		.amdhsa_kernarg_size 144
		.amdhsa_user_sgpr_count 2
		.amdhsa_user_sgpr_dispatch_ptr 0
		.amdhsa_user_sgpr_queue_ptr 0
		.amdhsa_user_sgpr_kernarg_segment_ptr 1
		.amdhsa_user_sgpr_dispatch_id 0
		.amdhsa_user_sgpr_private_segment_size 0
		.amdhsa_wavefront_size32 1
		.amdhsa_uses_dynamic_stack 0
		.amdhsa_enable_private_segment 0
		.amdhsa_system_sgpr_workgroup_id_x 1
		.amdhsa_system_sgpr_workgroup_id_y 0
		.amdhsa_system_sgpr_workgroup_id_z 0
		.amdhsa_system_sgpr_workgroup_info 0
		.amdhsa_system_vgpr_workitem_id 0
		.amdhsa_next_free_vgpr 1
		.amdhsa_next_free_sgpr 1
		.amdhsa_reserve_vcc 0
		.amdhsa_float_round_mode_32 0
		.amdhsa_float_round_mode_16_64 0
		.amdhsa_float_denorm_mode_32 3
		.amdhsa_float_denorm_mode_16_64 3
		.amdhsa_fp16_overflow 0
		.amdhsa_workgroup_processor_mode 1
		.amdhsa_memory_ordered 1
		.amdhsa_forward_progress 1
		.amdhsa_inst_pref_size 0
		.amdhsa_round_robin_scheduling 0
		.amdhsa_exception_fp_ieee_invalid_op 0
		.amdhsa_exception_fp_denorm_src 0
		.amdhsa_exception_fp_ieee_div_zero 0
		.amdhsa_exception_fp_ieee_overflow 0
		.amdhsa_exception_fp_ieee_underflow 0
		.amdhsa_exception_fp_ieee_inexact 0
		.amdhsa_exception_int_div_zero 0
	.end_amdhsa_kernel
	.section	.text._ZN7rocprim17ROCPRIM_400000_NS6detail17trampoline_kernelINS0_13select_configILj256ELj13ELNS0_17block_load_methodE3ELS4_3ELS4_3ELNS0_20block_scan_algorithmE0ELj4294967295EEENS1_25partition_config_selectorILNS1_17partition_subalgoE3EjNS0_10empty_typeEbEEZZNS1_14partition_implILS8_3ELb0ES6_jNS0_17counting_iteratorIjlEEPS9_SE_NS0_5tupleIJPjSE_EEENSF_IJSE_SE_EEES9_SG_JZNS1_25segmented_radix_sort_implINS0_14default_configELb0EPKsPsPKlPlN2at6native12_GLOBAL__N_18offset_tEEE10hipError_tPvRmT1_PNSt15iterator_traitsISY_E10value_typeET2_T3_PNSZ_IS14_E10value_typeET4_jRbjT5_S1A_jjP12ihipStream_tbEUljE_EEESV_SW_SX_S14_S18_S1A_T6_T7_T9_mT8_S1C_bDpT10_ENKUlT_T0_E_clISt17integral_constantIbLb1EES1O_IbLb0EEEEDaS1K_S1L_EUlS1K_E_NS1_11comp_targetILNS1_3genE8ELNS1_11target_archE1030ELNS1_3gpuE2ELNS1_3repE0EEENS1_30default_config_static_selectorELNS0_4arch9wavefront6targetE0EEEvSY_,"axG",@progbits,_ZN7rocprim17ROCPRIM_400000_NS6detail17trampoline_kernelINS0_13select_configILj256ELj13ELNS0_17block_load_methodE3ELS4_3ELS4_3ELNS0_20block_scan_algorithmE0ELj4294967295EEENS1_25partition_config_selectorILNS1_17partition_subalgoE3EjNS0_10empty_typeEbEEZZNS1_14partition_implILS8_3ELb0ES6_jNS0_17counting_iteratorIjlEEPS9_SE_NS0_5tupleIJPjSE_EEENSF_IJSE_SE_EEES9_SG_JZNS1_25segmented_radix_sort_implINS0_14default_configELb0EPKsPsPKlPlN2at6native12_GLOBAL__N_18offset_tEEE10hipError_tPvRmT1_PNSt15iterator_traitsISY_E10value_typeET2_T3_PNSZ_IS14_E10value_typeET4_jRbjT5_S1A_jjP12ihipStream_tbEUljE_EEESV_SW_SX_S14_S18_S1A_T6_T7_T9_mT8_S1C_bDpT10_ENKUlT_T0_E_clISt17integral_constantIbLb1EES1O_IbLb0EEEEDaS1K_S1L_EUlS1K_E_NS1_11comp_targetILNS1_3genE8ELNS1_11target_archE1030ELNS1_3gpuE2ELNS1_3repE0EEENS1_30default_config_static_selectorELNS0_4arch9wavefront6targetE0EEEvSY_,comdat
.Lfunc_end1005:
	.size	_ZN7rocprim17ROCPRIM_400000_NS6detail17trampoline_kernelINS0_13select_configILj256ELj13ELNS0_17block_load_methodE3ELS4_3ELS4_3ELNS0_20block_scan_algorithmE0ELj4294967295EEENS1_25partition_config_selectorILNS1_17partition_subalgoE3EjNS0_10empty_typeEbEEZZNS1_14partition_implILS8_3ELb0ES6_jNS0_17counting_iteratorIjlEEPS9_SE_NS0_5tupleIJPjSE_EEENSF_IJSE_SE_EEES9_SG_JZNS1_25segmented_radix_sort_implINS0_14default_configELb0EPKsPsPKlPlN2at6native12_GLOBAL__N_18offset_tEEE10hipError_tPvRmT1_PNSt15iterator_traitsISY_E10value_typeET2_T3_PNSZ_IS14_E10value_typeET4_jRbjT5_S1A_jjP12ihipStream_tbEUljE_EEESV_SW_SX_S14_S18_S1A_T6_T7_T9_mT8_S1C_bDpT10_ENKUlT_T0_E_clISt17integral_constantIbLb1EES1O_IbLb0EEEEDaS1K_S1L_EUlS1K_E_NS1_11comp_targetILNS1_3genE8ELNS1_11target_archE1030ELNS1_3gpuE2ELNS1_3repE0EEENS1_30default_config_static_selectorELNS0_4arch9wavefront6targetE0EEEvSY_, .Lfunc_end1005-_ZN7rocprim17ROCPRIM_400000_NS6detail17trampoline_kernelINS0_13select_configILj256ELj13ELNS0_17block_load_methodE3ELS4_3ELS4_3ELNS0_20block_scan_algorithmE0ELj4294967295EEENS1_25partition_config_selectorILNS1_17partition_subalgoE3EjNS0_10empty_typeEbEEZZNS1_14partition_implILS8_3ELb0ES6_jNS0_17counting_iteratorIjlEEPS9_SE_NS0_5tupleIJPjSE_EEENSF_IJSE_SE_EEES9_SG_JZNS1_25segmented_radix_sort_implINS0_14default_configELb0EPKsPsPKlPlN2at6native12_GLOBAL__N_18offset_tEEE10hipError_tPvRmT1_PNSt15iterator_traitsISY_E10value_typeET2_T3_PNSZ_IS14_E10value_typeET4_jRbjT5_S1A_jjP12ihipStream_tbEUljE_EEESV_SW_SX_S14_S18_S1A_T6_T7_T9_mT8_S1C_bDpT10_ENKUlT_T0_E_clISt17integral_constantIbLb1EES1O_IbLb0EEEEDaS1K_S1L_EUlS1K_E_NS1_11comp_targetILNS1_3genE8ELNS1_11target_archE1030ELNS1_3gpuE2ELNS1_3repE0EEENS1_30default_config_static_selectorELNS0_4arch9wavefront6targetE0EEEvSY_
                                        ; -- End function
	.set _ZN7rocprim17ROCPRIM_400000_NS6detail17trampoline_kernelINS0_13select_configILj256ELj13ELNS0_17block_load_methodE3ELS4_3ELS4_3ELNS0_20block_scan_algorithmE0ELj4294967295EEENS1_25partition_config_selectorILNS1_17partition_subalgoE3EjNS0_10empty_typeEbEEZZNS1_14partition_implILS8_3ELb0ES6_jNS0_17counting_iteratorIjlEEPS9_SE_NS0_5tupleIJPjSE_EEENSF_IJSE_SE_EEES9_SG_JZNS1_25segmented_radix_sort_implINS0_14default_configELb0EPKsPsPKlPlN2at6native12_GLOBAL__N_18offset_tEEE10hipError_tPvRmT1_PNSt15iterator_traitsISY_E10value_typeET2_T3_PNSZ_IS14_E10value_typeET4_jRbjT5_S1A_jjP12ihipStream_tbEUljE_EEESV_SW_SX_S14_S18_S1A_T6_T7_T9_mT8_S1C_bDpT10_ENKUlT_T0_E_clISt17integral_constantIbLb1EES1O_IbLb0EEEEDaS1K_S1L_EUlS1K_E_NS1_11comp_targetILNS1_3genE8ELNS1_11target_archE1030ELNS1_3gpuE2ELNS1_3repE0EEENS1_30default_config_static_selectorELNS0_4arch9wavefront6targetE0EEEvSY_.num_vgpr, 0
	.set _ZN7rocprim17ROCPRIM_400000_NS6detail17trampoline_kernelINS0_13select_configILj256ELj13ELNS0_17block_load_methodE3ELS4_3ELS4_3ELNS0_20block_scan_algorithmE0ELj4294967295EEENS1_25partition_config_selectorILNS1_17partition_subalgoE3EjNS0_10empty_typeEbEEZZNS1_14partition_implILS8_3ELb0ES6_jNS0_17counting_iteratorIjlEEPS9_SE_NS0_5tupleIJPjSE_EEENSF_IJSE_SE_EEES9_SG_JZNS1_25segmented_radix_sort_implINS0_14default_configELb0EPKsPsPKlPlN2at6native12_GLOBAL__N_18offset_tEEE10hipError_tPvRmT1_PNSt15iterator_traitsISY_E10value_typeET2_T3_PNSZ_IS14_E10value_typeET4_jRbjT5_S1A_jjP12ihipStream_tbEUljE_EEESV_SW_SX_S14_S18_S1A_T6_T7_T9_mT8_S1C_bDpT10_ENKUlT_T0_E_clISt17integral_constantIbLb1EES1O_IbLb0EEEEDaS1K_S1L_EUlS1K_E_NS1_11comp_targetILNS1_3genE8ELNS1_11target_archE1030ELNS1_3gpuE2ELNS1_3repE0EEENS1_30default_config_static_selectorELNS0_4arch9wavefront6targetE0EEEvSY_.num_agpr, 0
	.set _ZN7rocprim17ROCPRIM_400000_NS6detail17trampoline_kernelINS0_13select_configILj256ELj13ELNS0_17block_load_methodE3ELS4_3ELS4_3ELNS0_20block_scan_algorithmE0ELj4294967295EEENS1_25partition_config_selectorILNS1_17partition_subalgoE3EjNS0_10empty_typeEbEEZZNS1_14partition_implILS8_3ELb0ES6_jNS0_17counting_iteratorIjlEEPS9_SE_NS0_5tupleIJPjSE_EEENSF_IJSE_SE_EEES9_SG_JZNS1_25segmented_radix_sort_implINS0_14default_configELb0EPKsPsPKlPlN2at6native12_GLOBAL__N_18offset_tEEE10hipError_tPvRmT1_PNSt15iterator_traitsISY_E10value_typeET2_T3_PNSZ_IS14_E10value_typeET4_jRbjT5_S1A_jjP12ihipStream_tbEUljE_EEESV_SW_SX_S14_S18_S1A_T6_T7_T9_mT8_S1C_bDpT10_ENKUlT_T0_E_clISt17integral_constantIbLb1EES1O_IbLb0EEEEDaS1K_S1L_EUlS1K_E_NS1_11comp_targetILNS1_3genE8ELNS1_11target_archE1030ELNS1_3gpuE2ELNS1_3repE0EEENS1_30default_config_static_selectorELNS0_4arch9wavefront6targetE0EEEvSY_.numbered_sgpr, 0
	.set _ZN7rocprim17ROCPRIM_400000_NS6detail17trampoline_kernelINS0_13select_configILj256ELj13ELNS0_17block_load_methodE3ELS4_3ELS4_3ELNS0_20block_scan_algorithmE0ELj4294967295EEENS1_25partition_config_selectorILNS1_17partition_subalgoE3EjNS0_10empty_typeEbEEZZNS1_14partition_implILS8_3ELb0ES6_jNS0_17counting_iteratorIjlEEPS9_SE_NS0_5tupleIJPjSE_EEENSF_IJSE_SE_EEES9_SG_JZNS1_25segmented_radix_sort_implINS0_14default_configELb0EPKsPsPKlPlN2at6native12_GLOBAL__N_18offset_tEEE10hipError_tPvRmT1_PNSt15iterator_traitsISY_E10value_typeET2_T3_PNSZ_IS14_E10value_typeET4_jRbjT5_S1A_jjP12ihipStream_tbEUljE_EEESV_SW_SX_S14_S18_S1A_T6_T7_T9_mT8_S1C_bDpT10_ENKUlT_T0_E_clISt17integral_constantIbLb1EES1O_IbLb0EEEEDaS1K_S1L_EUlS1K_E_NS1_11comp_targetILNS1_3genE8ELNS1_11target_archE1030ELNS1_3gpuE2ELNS1_3repE0EEENS1_30default_config_static_selectorELNS0_4arch9wavefront6targetE0EEEvSY_.num_named_barrier, 0
	.set _ZN7rocprim17ROCPRIM_400000_NS6detail17trampoline_kernelINS0_13select_configILj256ELj13ELNS0_17block_load_methodE3ELS4_3ELS4_3ELNS0_20block_scan_algorithmE0ELj4294967295EEENS1_25partition_config_selectorILNS1_17partition_subalgoE3EjNS0_10empty_typeEbEEZZNS1_14partition_implILS8_3ELb0ES6_jNS0_17counting_iteratorIjlEEPS9_SE_NS0_5tupleIJPjSE_EEENSF_IJSE_SE_EEES9_SG_JZNS1_25segmented_radix_sort_implINS0_14default_configELb0EPKsPsPKlPlN2at6native12_GLOBAL__N_18offset_tEEE10hipError_tPvRmT1_PNSt15iterator_traitsISY_E10value_typeET2_T3_PNSZ_IS14_E10value_typeET4_jRbjT5_S1A_jjP12ihipStream_tbEUljE_EEESV_SW_SX_S14_S18_S1A_T6_T7_T9_mT8_S1C_bDpT10_ENKUlT_T0_E_clISt17integral_constantIbLb1EES1O_IbLb0EEEEDaS1K_S1L_EUlS1K_E_NS1_11comp_targetILNS1_3genE8ELNS1_11target_archE1030ELNS1_3gpuE2ELNS1_3repE0EEENS1_30default_config_static_selectorELNS0_4arch9wavefront6targetE0EEEvSY_.private_seg_size, 0
	.set _ZN7rocprim17ROCPRIM_400000_NS6detail17trampoline_kernelINS0_13select_configILj256ELj13ELNS0_17block_load_methodE3ELS4_3ELS4_3ELNS0_20block_scan_algorithmE0ELj4294967295EEENS1_25partition_config_selectorILNS1_17partition_subalgoE3EjNS0_10empty_typeEbEEZZNS1_14partition_implILS8_3ELb0ES6_jNS0_17counting_iteratorIjlEEPS9_SE_NS0_5tupleIJPjSE_EEENSF_IJSE_SE_EEES9_SG_JZNS1_25segmented_radix_sort_implINS0_14default_configELb0EPKsPsPKlPlN2at6native12_GLOBAL__N_18offset_tEEE10hipError_tPvRmT1_PNSt15iterator_traitsISY_E10value_typeET2_T3_PNSZ_IS14_E10value_typeET4_jRbjT5_S1A_jjP12ihipStream_tbEUljE_EEESV_SW_SX_S14_S18_S1A_T6_T7_T9_mT8_S1C_bDpT10_ENKUlT_T0_E_clISt17integral_constantIbLb1EES1O_IbLb0EEEEDaS1K_S1L_EUlS1K_E_NS1_11comp_targetILNS1_3genE8ELNS1_11target_archE1030ELNS1_3gpuE2ELNS1_3repE0EEENS1_30default_config_static_selectorELNS0_4arch9wavefront6targetE0EEEvSY_.uses_vcc, 0
	.set _ZN7rocprim17ROCPRIM_400000_NS6detail17trampoline_kernelINS0_13select_configILj256ELj13ELNS0_17block_load_methodE3ELS4_3ELS4_3ELNS0_20block_scan_algorithmE0ELj4294967295EEENS1_25partition_config_selectorILNS1_17partition_subalgoE3EjNS0_10empty_typeEbEEZZNS1_14partition_implILS8_3ELb0ES6_jNS0_17counting_iteratorIjlEEPS9_SE_NS0_5tupleIJPjSE_EEENSF_IJSE_SE_EEES9_SG_JZNS1_25segmented_radix_sort_implINS0_14default_configELb0EPKsPsPKlPlN2at6native12_GLOBAL__N_18offset_tEEE10hipError_tPvRmT1_PNSt15iterator_traitsISY_E10value_typeET2_T3_PNSZ_IS14_E10value_typeET4_jRbjT5_S1A_jjP12ihipStream_tbEUljE_EEESV_SW_SX_S14_S18_S1A_T6_T7_T9_mT8_S1C_bDpT10_ENKUlT_T0_E_clISt17integral_constantIbLb1EES1O_IbLb0EEEEDaS1K_S1L_EUlS1K_E_NS1_11comp_targetILNS1_3genE8ELNS1_11target_archE1030ELNS1_3gpuE2ELNS1_3repE0EEENS1_30default_config_static_selectorELNS0_4arch9wavefront6targetE0EEEvSY_.uses_flat_scratch, 0
	.set _ZN7rocprim17ROCPRIM_400000_NS6detail17trampoline_kernelINS0_13select_configILj256ELj13ELNS0_17block_load_methodE3ELS4_3ELS4_3ELNS0_20block_scan_algorithmE0ELj4294967295EEENS1_25partition_config_selectorILNS1_17partition_subalgoE3EjNS0_10empty_typeEbEEZZNS1_14partition_implILS8_3ELb0ES6_jNS0_17counting_iteratorIjlEEPS9_SE_NS0_5tupleIJPjSE_EEENSF_IJSE_SE_EEES9_SG_JZNS1_25segmented_radix_sort_implINS0_14default_configELb0EPKsPsPKlPlN2at6native12_GLOBAL__N_18offset_tEEE10hipError_tPvRmT1_PNSt15iterator_traitsISY_E10value_typeET2_T3_PNSZ_IS14_E10value_typeET4_jRbjT5_S1A_jjP12ihipStream_tbEUljE_EEESV_SW_SX_S14_S18_S1A_T6_T7_T9_mT8_S1C_bDpT10_ENKUlT_T0_E_clISt17integral_constantIbLb1EES1O_IbLb0EEEEDaS1K_S1L_EUlS1K_E_NS1_11comp_targetILNS1_3genE8ELNS1_11target_archE1030ELNS1_3gpuE2ELNS1_3repE0EEENS1_30default_config_static_selectorELNS0_4arch9wavefront6targetE0EEEvSY_.has_dyn_sized_stack, 0
	.set _ZN7rocprim17ROCPRIM_400000_NS6detail17trampoline_kernelINS0_13select_configILj256ELj13ELNS0_17block_load_methodE3ELS4_3ELS4_3ELNS0_20block_scan_algorithmE0ELj4294967295EEENS1_25partition_config_selectorILNS1_17partition_subalgoE3EjNS0_10empty_typeEbEEZZNS1_14partition_implILS8_3ELb0ES6_jNS0_17counting_iteratorIjlEEPS9_SE_NS0_5tupleIJPjSE_EEENSF_IJSE_SE_EEES9_SG_JZNS1_25segmented_radix_sort_implINS0_14default_configELb0EPKsPsPKlPlN2at6native12_GLOBAL__N_18offset_tEEE10hipError_tPvRmT1_PNSt15iterator_traitsISY_E10value_typeET2_T3_PNSZ_IS14_E10value_typeET4_jRbjT5_S1A_jjP12ihipStream_tbEUljE_EEESV_SW_SX_S14_S18_S1A_T6_T7_T9_mT8_S1C_bDpT10_ENKUlT_T0_E_clISt17integral_constantIbLb1EES1O_IbLb0EEEEDaS1K_S1L_EUlS1K_E_NS1_11comp_targetILNS1_3genE8ELNS1_11target_archE1030ELNS1_3gpuE2ELNS1_3repE0EEENS1_30default_config_static_selectorELNS0_4arch9wavefront6targetE0EEEvSY_.has_recursion, 0
	.set _ZN7rocprim17ROCPRIM_400000_NS6detail17trampoline_kernelINS0_13select_configILj256ELj13ELNS0_17block_load_methodE3ELS4_3ELS4_3ELNS0_20block_scan_algorithmE0ELj4294967295EEENS1_25partition_config_selectorILNS1_17partition_subalgoE3EjNS0_10empty_typeEbEEZZNS1_14partition_implILS8_3ELb0ES6_jNS0_17counting_iteratorIjlEEPS9_SE_NS0_5tupleIJPjSE_EEENSF_IJSE_SE_EEES9_SG_JZNS1_25segmented_radix_sort_implINS0_14default_configELb0EPKsPsPKlPlN2at6native12_GLOBAL__N_18offset_tEEE10hipError_tPvRmT1_PNSt15iterator_traitsISY_E10value_typeET2_T3_PNSZ_IS14_E10value_typeET4_jRbjT5_S1A_jjP12ihipStream_tbEUljE_EEESV_SW_SX_S14_S18_S1A_T6_T7_T9_mT8_S1C_bDpT10_ENKUlT_T0_E_clISt17integral_constantIbLb1EES1O_IbLb0EEEEDaS1K_S1L_EUlS1K_E_NS1_11comp_targetILNS1_3genE8ELNS1_11target_archE1030ELNS1_3gpuE2ELNS1_3repE0EEENS1_30default_config_static_selectorELNS0_4arch9wavefront6targetE0EEEvSY_.has_indirect_call, 0
	.section	.AMDGPU.csdata,"",@progbits
; Kernel info:
; codeLenInByte = 0
; TotalNumSgprs: 0
; NumVgprs: 0
; ScratchSize: 0
; MemoryBound: 0
; FloatMode: 240
; IeeeMode: 1
; LDSByteSize: 0 bytes/workgroup (compile time only)
; SGPRBlocks: 0
; VGPRBlocks: 0
; NumSGPRsForWavesPerEU: 1
; NumVGPRsForWavesPerEU: 1
; Occupancy: 16
; WaveLimiterHint : 0
; COMPUTE_PGM_RSRC2:SCRATCH_EN: 0
; COMPUTE_PGM_RSRC2:USER_SGPR: 2
; COMPUTE_PGM_RSRC2:TRAP_HANDLER: 0
; COMPUTE_PGM_RSRC2:TGID_X_EN: 1
; COMPUTE_PGM_RSRC2:TGID_Y_EN: 0
; COMPUTE_PGM_RSRC2:TGID_Z_EN: 0
; COMPUTE_PGM_RSRC2:TIDIG_COMP_CNT: 0
	.section	.text._ZN7rocprim17ROCPRIM_400000_NS6detail17trampoline_kernelINS0_13select_configILj256ELj13ELNS0_17block_load_methodE3ELS4_3ELS4_3ELNS0_20block_scan_algorithmE0ELj4294967295EEENS1_25partition_config_selectorILNS1_17partition_subalgoE3EjNS0_10empty_typeEbEEZZNS1_14partition_implILS8_3ELb0ES6_jNS0_17counting_iteratorIjlEEPS9_SE_NS0_5tupleIJPjSE_EEENSF_IJSE_SE_EEES9_SG_JZNS1_25segmented_radix_sort_implINS0_14default_configELb0EPKsPsPKlPlN2at6native12_GLOBAL__N_18offset_tEEE10hipError_tPvRmT1_PNSt15iterator_traitsISY_E10value_typeET2_T3_PNSZ_IS14_E10value_typeET4_jRbjT5_S1A_jjP12ihipStream_tbEUljE_EEESV_SW_SX_S14_S18_S1A_T6_T7_T9_mT8_S1C_bDpT10_ENKUlT_T0_E_clISt17integral_constantIbLb0EES1O_IbLb1EEEEDaS1K_S1L_EUlS1K_E_NS1_11comp_targetILNS1_3genE0ELNS1_11target_archE4294967295ELNS1_3gpuE0ELNS1_3repE0EEENS1_30default_config_static_selectorELNS0_4arch9wavefront6targetE0EEEvSY_,"axG",@progbits,_ZN7rocprim17ROCPRIM_400000_NS6detail17trampoline_kernelINS0_13select_configILj256ELj13ELNS0_17block_load_methodE3ELS4_3ELS4_3ELNS0_20block_scan_algorithmE0ELj4294967295EEENS1_25partition_config_selectorILNS1_17partition_subalgoE3EjNS0_10empty_typeEbEEZZNS1_14partition_implILS8_3ELb0ES6_jNS0_17counting_iteratorIjlEEPS9_SE_NS0_5tupleIJPjSE_EEENSF_IJSE_SE_EEES9_SG_JZNS1_25segmented_radix_sort_implINS0_14default_configELb0EPKsPsPKlPlN2at6native12_GLOBAL__N_18offset_tEEE10hipError_tPvRmT1_PNSt15iterator_traitsISY_E10value_typeET2_T3_PNSZ_IS14_E10value_typeET4_jRbjT5_S1A_jjP12ihipStream_tbEUljE_EEESV_SW_SX_S14_S18_S1A_T6_T7_T9_mT8_S1C_bDpT10_ENKUlT_T0_E_clISt17integral_constantIbLb0EES1O_IbLb1EEEEDaS1K_S1L_EUlS1K_E_NS1_11comp_targetILNS1_3genE0ELNS1_11target_archE4294967295ELNS1_3gpuE0ELNS1_3repE0EEENS1_30default_config_static_selectorELNS0_4arch9wavefront6targetE0EEEvSY_,comdat
	.globl	_ZN7rocprim17ROCPRIM_400000_NS6detail17trampoline_kernelINS0_13select_configILj256ELj13ELNS0_17block_load_methodE3ELS4_3ELS4_3ELNS0_20block_scan_algorithmE0ELj4294967295EEENS1_25partition_config_selectorILNS1_17partition_subalgoE3EjNS0_10empty_typeEbEEZZNS1_14partition_implILS8_3ELb0ES6_jNS0_17counting_iteratorIjlEEPS9_SE_NS0_5tupleIJPjSE_EEENSF_IJSE_SE_EEES9_SG_JZNS1_25segmented_radix_sort_implINS0_14default_configELb0EPKsPsPKlPlN2at6native12_GLOBAL__N_18offset_tEEE10hipError_tPvRmT1_PNSt15iterator_traitsISY_E10value_typeET2_T3_PNSZ_IS14_E10value_typeET4_jRbjT5_S1A_jjP12ihipStream_tbEUljE_EEESV_SW_SX_S14_S18_S1A_T6_T7_T9_mT8_S1C_bDpT10_ENKUlT_T0_E_clISt17integral_constantIbLb0EES1O_IbLb1EEEEDaS1K_S1L_EUlS1K_E_NS1_11comp_targetILNS1_3genE0ELNS1_11target_archE4294967295ELNS1_3gpuE0ELNS1_3repE0EEENS1_30default_config_static_selectorELNS0_4arch9wavefront6targetE0EEEvSY_ ; -- Begin function _ZN7rocprim17ROCPRIM_400000_NS6detail17trampoline_kernelINS0_13select_configILj256ELj13ELNS0_17block_load_methodE3ELS4_3ELS4_3ELNS0_20block_scan_algorithmE0ELj4294967295EEENS1_25partition_config_selectorILNS1_17partition_subalgoE3EjNS0_10empty_typeEbEEZZNS1_14partition_implILS8_3ELb0ES6_jNS0_17counting_iteratorIjlEEPS9_SE_NS0_5tupleIJPjSE_EEENSF_IJSE_SE_EEES9_SG_JZNS1_25segmented_radix_sort_implINS0_14default_configELb0EPKsPsPKlPlN2at6native12_GLOBAL__N_18offset_tEEE10hipError_tPvRmT1_PNSt15iterator_traitsISY_E10value_typeET2_T3_PNSZ_IS14_E10value_typeET4_jRbjT5_S1A_jjP12ihipStream_tbEUljE_EEESV_SW_SX_S14_S18_S1A_T6_T7_T9_mT8_S1C_bDpT10_ENKUlT_T0_E_clISt17integral_constantIbLb0EES1O_IbLb1EEEEDaS1K_S1L_EUlS1K_E_NS1_11comp_targetILNS1_3genE0ELNS1_11target_archE4294967295ELNS1_3gpuE0ELNS1_3repE0EEENS1_30default_config_static_selectorELNS0_4arch9wavefront6targetE0EEEvSY_
	.p2align	8
	.type	_ZN7rocprim17ROCPRIM_400000_NS6detail17trampoline_kernelINS0_13select_configILj256ELj13ELNS0_17block_load_methodE3ELS4_3ELS4_3ELNS0_20block_scan_algorithmE0ELj4294967295EEENS1_25partition_config_selectorILNS1_17partition_subalgoE3EjNS0_10empty_typeEbEEZZNS1_14partition_implILS8_3ELb0ES6_jNS0_17counting_iteratorIjlEEPS9_SE_NS0_5tupleIJPjSE_EEENSF_IJSE_SE_EEES9_SG_JZNS1_25segmented_radix_sort_implINS0_14default_configELb0EPKsPsPKlPlN2at6native12_GLOBAL__N_18offset_tEEE10hipError_tPvRmT1_PNSt15iterator_traitsISY_E10value_typeET2_T3_PNSZ_IS14_E10value_typeET4_jRbjT5_S1A_jjP12ihipStream_tbEUljE_EEESV_SW_SX_S14_S18_S1A_T6_T7_T9_mT8_S1C_bDpT10_ENKUlT_T0_E_clISt17integral_constantIbLb0EES1O_IbLb1EEEEDaS1K_S1L_EUlS1K_E_NS1_11comp_targetILNS1_3genE0ELNS1_11target_archE4294967295ELNS1_3gpuE0ELNS1_3repE0EEENS1_30default_config_static_selectorELNS0_4arch9wavefront6targetE0EEEvSY_,@function
_ZN7rocprim17ROCPRIM_400000_NS6detail17trampoline_kernelINS0_13select_configILj256ELj13ELNS0_17block_load_methodE3ELS4_3ELS4_3ELNS0_20block_scan_algorithmE0ELj4294967295EEENS1_25partition_config_selectorILNS1_17partition_subalgoE3EjNS0_10empty_typeEbEEZZNS1_14partition_implILS8_3ELb0ES6_jNS0_17counting_iteratorIjlEEPS9_SE_NS0_5tupleIJPjSE_EEENSF_IJSE_SE_EEES9_SG_JZNS1_25segmented_radix_sort_implINS0_14default_configELb0EPKsPsPKlPlN2at6native12_GLOBAL__N_18offset_tEEE10hipError_tPvRmT1_PNSt15iterator_traitsISY_E10value_typeET2_T3_PNSZ_IS14_E10value_typeET4_jRbjT5_S1A_jjP12ihipStream_tbEUljE_EEESV_SW_SX_S14_S18_S1A_T6_T7_T9_mT8_S1C_bDpT10_ENKUlT_T0_E_clISt17integral_constantIbLb0EES1O_IbLb1EEEEDaS1K_S1L_EUlS1K_E_NS1_11comp_targetILNS1_3genE0ELNS1_11target_archE4294967295ELNS1_3gpuE0ELNS1_3repE0EEENS1_30default_config_static_selectorELNS0_4arch9wavefront6targetE0EEEvSY_: ; @_ZN7rocprim17ROCPRIM_400000_NS6detail17trampoline_kernelINS0_13select_configILj256ELj13ELNS0_17block_load_methodE3ELS4_3ELS4_3ELNS0_20block_scan_algorithmE0ELj4294967295EEENS1_25partition_config_selectorILNS1_17partition_subalgoE3EjNS0_10empty_typeEbEEZZNS1_14partition_implILS8_3ELb0ES6_jNS0_17counting_iteratorIjlEEPS9_SE_NS0_5tupleIJPjSE_EEENSF_IJSE_SE_EEES9_SG_JZNS1_25segmented_radix_sort_implINS0_14default_configELb0EPKsPsPKlPlN2at6native12_GLOBAL__N_18offset_tEEE10hipError_tPvRmT1_PNSt15iterator_traitsISY_E10value_typeET2_T3_PNSZ_IS14_E10value_typeET4_jRbjT5_S1A_jjP12ihipStream_tbEUljE_EEESV_SW_SX_S14_S18_S1A_T6_T7_T9_mT8_S1C_bDpT10_ENKUlT_T0_E_clISt17integral_constantIbLb0EES1O_IbLb1EEEEDaS1K_S1L_EUlS1K_E_NS1_11comp_targetILNS1_3genE0ELNS1_11target_archE4294967295ELNS1_3gpuE0ELNS1_3repE0EEENS1_30default_config_static_selectorELNS0_4arch9wavefront6targetE0EEEvSY_
; %bb.0:
	.section	.rodata,"a",@progbits
	.p2align	6, 0x0
	.amdhsa_kernel _ZN7rocprim17ROCPRIM_400000_NS6detail17trampoline_kernelINS0_13select_configILj256ELj13ELNS0_17block_load_methodE3ELS4_3ELS4_3ELNS0_20block_scan_algorithmE0ELj4294967295EEENS1_25partition_config_selectorILNS1_17partition_subalgoE3EjNS0_10empty_typeEbEEZZNS1_14partition_implILS8_3ELb0ES6_jNS0_17counting_iteratorIjlEEPS9_SE_NS0_5tupleIJPjSE_EEENSF_IJSE_SE_EEES9_SG_JZNS1_25segmented_radix_sort_implINS0_14default_configELb0EPKsPsPKlPlN2at6native12_GLOBAL__N_18offset_tEEE10hipError_tPvRmT1_PNSt15iterator_traitsISY_E10value_typeET2_T3_PNSZ_IS14_E10value_typeET4_jRbjT5_S1A_jjP12ihipStream_tbEUljE_EEESV_SW_SX_S14_S18_S1A_T6_T7_T9_mT8_S1C_bDpT10_ENKUlT_T0_E_clISt17integral_constantIbLb0EES1O_IbLb1EEEEDaS1K_S1L_EUlS1K_E_NS1_11comp_targetILNS1_3genE0ELNS1_11target_archE4294967295ELNS1_3gpuE0ELNS1_3repE0EEENS1_30default_config_static_selectorELNS0_4arch9wavefront6targetE0EEEvSY_
		.amdhsa_group_segment_fixed_size 0
		.amdhsa_private_segment_fixed_size 0
		.amdhsa_kernarg_size 152
		.amdhsa_user_sgpr_count 2
		.amdhsa_user_sgpr_dispatch_ptr 0
		.amdhsa_user_sgpr_queue_ptr 0
		.amdhsa_user_sgpr_kernarg_segment_ptr 1
		.amdhsa_user_sgpr_dispatch_id 0
		.amdhsa_user_sgpr_private_segment_size 0
		.amdhsa_wavefront_size32 1
		.amdhsa_uses_dynamic_stack 0
		.amdhsa_enable_private_segment 0
		.amdhsa_system_sgpr_workgroup_id_x 1
		.amdhsa_system_sgpr_workgroup_id_y 0
		.amdhsa_system_sgpr_workgroup_id_z 0
		.amdhsa_system_sgpr_workgroup_info 0
		.amdhsa_system_vgpr_workitem_id 0
		.amdhsa_next_free_vgpr 1
		.amdhsa_next_free_sgpr 1
		.amdhsa_reserve_vcc 0
		.amdhsa_float_round_mode_32 0
		.amdhsa_float_round_mode_16_64 0
		.amdhsa_float_denorm_mode_32 3
		.amdhsa_float_denorm_mode_16_64 3
		.amdhsa_fp16_overflow 0
		.amdhsa_workgroup_processor_mode 1
		.amdhsa_memory_ordered 1
		.amdhsa_forward_progress 1
		.amdhsa_inst_pref_size 0
		.amdhsa_round_robin_scheduling 0
		.amdhsa_exception_fp_ieee_invalid_op 0
		.amdhsa_exception_fp_denorm_src 0
		.amdhsa_exception_fp_ieee_div_zero 0
		.amdhsa_exception_fp_ieee_overflow 0
		.amdhsa_exception_fp_ieee_underflow 0
		.amdhsa_exception_fp_ieee_inexact 0
		.amdhsa_exception_int_div_zero 0
	.end_amdhsa_kernel
	.section	.text._ZN7rocprim17ROCPRIM_400000_NS6detail17trampoline_kernelINS0_13select_configILj256ELj13ELNS0_17block_load_methodE3ELS4_3ELS4_3ELNS0_20block_scan_algorithmE0ELj4294967295EEENS1_25partition_config_selectorILNS1_17partition_subalgoE3EjNS0_10empty_typeEbEEZZNS1_14partition_implILS8_3ELb0ES6_jNS0_17counting_iteratorIjlEEPS9_SE_NS0_5tupleIJPjSE_EEENSF_IJSE_SE_EEES9_SG_JZNS1_25segmented_radix_sort_implINS0_14default_configELb0EPKsPsPKlPlN2at6native12_GLOBAL__N_18offset_tEEE10hipError_tPvRmT1_PNSt15iterator_traitsISY_E10value_typeET2_T3_PNSZ_IS14_E10value_typeET4_jRbjT5_S1A_jjP12ihipStream_tbEUljE_EEESV_SW_SX_S14_S18_S1A_T6_T7_T9_mT8_S1C_bDpT10_ENKUlT_T0_E_clISt17integral_constantIbLb0EES1O_IbLb1EEEEDaS1K_S1L_EUlS1K_E_NS1_11comp_targetILNS1_3genE0ELNS1_11target_archE4294967295ELNS1_3gpuE0ELNS1_3repE0EEENS1_30default_config_static_selectorELNS0_4arch9wavefront6targetE0EEEvSY_,"axG",@progbits,_ZN7rocprim17ROCPRIM_400000_NS6detail17trampoline_kernelINS0_13select_configILj256ELj13ELNS0_17block_load_methodE3ELS4_3ELS4_3ELNS0_20block_scan_algorithmE0ELj4294967295EEENS1_25partition_config_selectorILNS1_17partition_subalgoE3EjNS0_10empty_typeEbEEZZNS1_14partition_implILS8_3ELb0ES6_jNS0_17counting_iteratorIjlEEPS9_SE_NS0_5tupleIJPjSE_EEENSF_IJSE_SE_EEES9_SG_JZNS1_25segmented_radix_sort_implINS0_14default_configELb0EPKsPsPKlPlN2at6native12_GLOBAL__N_18offset_tEEE10hipError_tPvRmT1_PNSt15iterator_traitsISY_E10value_typeET2_T3_PNSZ_IS14_E10value_typeET4_jRbjT5_S1A_jjP12ihipStream_tbEUljE_EEESV_SW_SX_S14_S18_S1A_T6_T7_T9_mT8_S1C_bDpT10_ENKUlT_T0_E_clISt17integral_constantIbLb0EES1O_IbLb1EEEEDaS1K_S1L_EUlS1K_E_NS1_11comp_targetILNS1_3genE0ELNS1_11target_archE4294967295ELNS1_3gpuE0ELNS1_3repE0EEENS1_30default_config_static_selectorELNS0_4arch9wavefront6targetE0EEEvSY_,comdat
.Lfunc_end1006:
	.size	_ZN7rocprim17ROCPRIM_400000_NS6detail17trampoline_kernelINS0_13select_configILj256ELj13ELNS0_17block_load_methodE3ELS4_3ELS4_3ELNS0_20block_scan_algorithmE0ELj4294967295EEENS1_25partition_config_selectorILNS1_17partition_subalgoE3EjNS0_10empty_typeEbEEZZNS1_14partition_implILS8_3ELb0ES6_jNS0_17counting_iteratorIjlEEPS9_SE_NS0_5tupleIJPjSE_EEENSF_IJSE_SE_EEES9_SG_JZNS1_25segmented_radix_sort_implINS0_14default_configELb0EPKsPsPKlPlN2at6native12_GLOBAL__N_18offset_tEEE10hipError_tPvRmT1_PNSt15iterator_traitsISY_E10value_typeET2_T3_PNSZ_IS14_E10value_typeET4_jRbjT5_S1A_jjP12ihipStream_tbEUljE_EEESV_SW_SX_S14_S18_S1A_T6_T7_T9_mT8_S1C_bDpT10_ENKUlT_T0_E_clISt17integral_constantIbLb0EES1O_IbLb1EEEEDaS1K_S1L_EUlS1K_E_NS1_11comp_targetILNS1_3genE0ELNS1_11target_archE4294967295ELNS1_3gpuE0ELNS1_3repE0EEENS1_30default_config_static_selectorELNS0_4arch9wavefront6targetE0EEEvSY_, .Lfunc_end1006-_ZN7rocprim17ROCPRIM_400000_NS6detail17trampoline_kernelINS0_13select_configILj256ELj13ELNS0_17block_load_methodE3ELS4_3ELS4_3ELNS0_20block_scan_algorithmE0ELj4294967295EEENS1_25partition_config_selectorILNS1_17partition_subalgoE3EjNS0_10empty_typeEbEEZZNS1_14partition_implILS8_3ELb0ES6_jNS0_17counting_iteratorIjlEEPS9_SE_NS0_5tupleIJPjSE_EEENSF_IJSE_SE_EEES9_SG_JZNS1_25segmented_radix_sort_implINS0_14default_configELb0EPKsPsPKlPlN2at6native12_GLOBAL__N_18offset_tEEE10hipError_tPvRmT1_PNSt15iterator_traitsISY_E10value_typeET2_T3_PNSZ_IS14_E10value_typeET4_jRbjT5_S1A_jjP12ihipStream_tbEUljE_EEESV_SW_SX_S14_S18_S1A_T6_T7_T9_mT8_S1C_bDpT10_ENKUlT_T0_E_clISt17integral_constantIbLb0EES1O_IbLb1EEEEDaS1K_S1L_EUlS1K_E_NS1_11comp_targetILNS1_3genE0ELNS1_11target_archE4294967295ELNS1_3gpuE0ELNS1_3repE0EEENS1_30default_config_static_selectorELNS0_4arch9wavefront6targetE0EEEvSY_
                                        ; -- End function
	.set _ZN7rocprim17ROCPRIM_400000_NS6detail17trampoline_kernelINS0_13select_configILj256ELj13ELNS0_17block_load_methodE3ELS4_3ELS4_3ELNS0_20block_scan_algorithmE0ELj4294967295EEENS1_25partition_config_selectorILNS1_17partition_subalgoE3EjNS0_10empty_typeEbEEZZNS1_14partition_implILS8_3ELb0ES6_jNS0_17counting_iteratorIjlEEPS9_SE_NS0_5tupleIJPjSE_EEENSF_IJSE_SE_EEES9_SG_JZNS1_25segmented_radix_sort_implINS0_14default_configELb0EPKsPsPKlPlN2at6native12_GLOBAL__N_18offset_tEEE10hipError_tPvRmT1_PNSt15iterator_traitsISY_E10value_typeET2_T3_PNSZ_IS14_E10value_typeET4_jRbjT5_S1A_jjP12ihipStream_tbEUljE_EEESV_SW_SX_S14_S18_S1A_T6_T7_T9_mT8_S1C_bDpT10_ENKUlT_T0_E_clISt17integral_constantIbLb0EES1O_IbLb1EEEEDaS1K_S1L_EUlS1K_E_NS1_11comp_targetILNS1_3genE0ELNS1_11target_archE4294967295ELNS1_3gpuE0ELNS1_3repE0EEENS1_30default_config_static_selectorELNS0_4arch9wavefront6targetE0EEEvSY_.num_vgpr, 0
	.set _ZN7rocprim17ROCPRIM_400000_NS6detail17trampoline_kernelINS0_13select_configILj256ELj13ELNS0_17block_load_methodE3ELS4_3ELS4_3ELNS0_20block_scan_algorithmE0ELj4294967295EEENS1_25partition_config_selectorILNS1_17partition_subalgoE3EjNS0_10empty_typeEbEEZZNS1_14partition_implILS8_3ELb0ES6_jNS0_17counting_iteratorIjlEEPS9_SE_NS0_5tupleIJPjSE_EEENSF_IJSE_SE_EEES9_SG_JZNS1_25segmented_radix_sort_implINS0_14default_configELb0EPKsPsPKlPlN2at6native12_GLOBAL__N_18offset_tEEE10hipError_tPvRmT1_PNSt15iterator_traitsISY_E10value_typeET2_T3_PNSZ_IS14_E10value_typeET4_jRbjT5_S1A_jjP12ihipStream_tbEUljE_EEESV_SW_SX_S14_S18_S1A_T6_T7_T9_mT8_S1C_bDpT10_ENKUlT_T0_E_clISt17integral_constantIbLb0EES1O_IbLb1EEEEDaS1K_S1L_EUlS1K_E_NS1_11comp_targetILNS1_3genE0ELNS1_11target_archE4294967295ELNS1_3gpuE0ELNS1_3repE0EEENS1_30default_config_static_selectorELNS0_4arch9wavefront6targetE0EEEvSY_.num_agpr, 0
	.set _ZN7rocprim17ROCPRIM_400000_NS6detail17trampoline_kernelINS0_13select_configILj256ELj13ELNS0_17block_load_methodE3ELS4_3ELS4_3ELNS0_20block_scan_algorithmE0ELj4294967295EEENS1_25partition_config_selectorILNS1_17partition_subalgoE3EjNS0_10empty_typeEbEEZZNS1_14partition_implILS8_3ELb0ES6_jNS0_17counting_iteratorIjlEEPS9_SE_NS0_5tupleIJPjSE_EEENSF_IJSE_SE_EEES9_SG_JZNS1_25segmented_radix_sort_implINS0_14default_configELb0EPKsPsPKlPlN2at6native12_GLOBAL__N_18offset_tEEE10hipError_tPvRmT1_PNSt15iterator_traitsISY_E10value_typeET2_T3_PNSZ_IS14_E10value_typeET4_jRbjT5_S1A_jjP12ihipStream_tbEUljE_EEESV_SW_SX_S14_S18_S1A_T6_T7_T9_mT8_S1C_bDpT10_ENKUlT_T0_E_clISt17integral_constantIbLb0EES1O_IbLb1EEEEDaS1K_S1L_EUlS1K_E_NS1_11comp_targetILNS1_3genE0ELNS1_11target_archE4294967295ELNS1_3gpuE0ELNS1_3repE0EEENS1_30default_config_static_selectorELNS0_4arch9wavefront6targetE0EEEvSY_.numbered_sgpr, 0
	.set _ZN7rocprim17ROCPRIM_400000_NS6detail17trampoline_kernelINS0_13select_configILj256ELj13ELNS0_17block_load_methodE3ELS4_3ELS4_3ELNS0_20block_scan_algorithmE0ELj4294967295EEENS1_25partition_config_selectorILNS1_17partition_subalgoE3EjNS0_10empty_typeEbEEZZNS1_14partition_implILS8_3ELb0ES6_jNS0_17counting_iteratorIjlEEPS9_SE_NS0_5tupleIJPjSE_EEENSF_IJSE_SE_EEES9_SG_JZNS1_25segmented_radix_sort_implINS0_14default_configELb0EPKsPsPKlPlN2at6native12_GLOBAL__N_18offset_tEEE10hipError_tPvRmT1_PNSt15iterator_traitsISY_E10value_typeET2_T3_PNSZ_IS14_E10value_typeET4_jRbjT5_S1A_jjP12ihipStream_tbEUljE_EEESV_SW_SX_S14_S18_S1A_T6_T7_T9_mT8_S1C_bDpT10_ENKUlT_T0_E_clISt17integral_constantIbLb0EES1O_IbLb1EEEEDaS1K_S1L_EUlS1K_E_NS1_11comp_targetILNS1_3genE0ELNS1_11target_archE4294967295ELNS1_3gpuE0ELNS1_3repE0EEENS1_30default_config_static_selectorELNS0_4arch9wavefront6targetE0EEEvSY_.num_named_barrier, 0
	.set _ZN7rocprim17ROCPRIM_400000_NS6detail17trampoline_kernelINS0_13select_configILj256ELj13ELNS0_17block_load_methodE3ELS4_3ELS4_3ELNS0_20block_scan_algorithmE0ELj4294967295EEENS1_25partition_config_selectorILNS1_17partition_subalgoE3EjNS0_10empty_typeEbEEZZNS1_14partition_implILS8_3ELb0ES6_jNS0_17counting_iteratorIjlEEPS9_SE_NS0_5tupleIJPjSE_EEENSF_IJSE_SE_EEES9_SG_JZNS1_25segmented_radix_sort_implINS0_14default_configELb0EPKsPsPKlPlN2at6native12_GLOBAL__N_18offset_tEEE10hipError_tPvRmT1_PNSt15iterator_traitsISY_E10value_typeET2_T3_PNSZ_IS14_E10value_typeET4_jRbjT5_S1A_jjP12ihipStream_tbEUljE_EEESV_SW_SX_S14_S18_S1A_T6_T7_T9_mT8_S1C_bDpT10_ENKUlT_T0_E_clISt17integral_constantIbLb0EES1O_IbLb1EEEEDaS1K_S1L_EUlS1K_E_NS1_11comp_targetILNS1_3genE0ELNS1_11target_archE4294967295ELNS1_3gpuE0ELNS1_3repE0EEENS1_30default_config_static_selectorELNS0_4arch9wavefront6targetE0EEEvSY_.private_seg_size, 0
	.set _ZN7rocprim17ROCPRIM_400000_NS6detail17trampoline_kernelINS0_13select_configILj256ELj13ELNS0_17block_load_methodE3ELS4_3ELS4_3ELNS0_20block_scan_algorithmE0ELj4294967295EEENS1_25partition_config_selectorILNS1_17partition_subalgoE3EjNS0_10empty_typeEbEEZZNS1_14partition_implILS8_3ELb0ES6_jNS0_17counting_iteratorIjlEEPS9_SE_NS0_5tupleIJPjSE_EEENSF_IJSE_SE_EEES9_SG_JZNS1_25segmented_radix_sort_implINS0_14default_configELb0EPKsPsPKlPlN2at6native12_GLOBAL__N_18offset_tEEE10hipError_tPvRmT1_PNSt15iterator_traitsISY_E10value_typeET2_T3_PNSZ_IS14_E10value_typeET4_jRbjT5_S1A_jjP12ihipStream_tbEUljE_EEESV_SW_SX_S14_S18_S1A_T6_T7_T9_mT8_S1C_bDpT10_ENKUlT_T0_E_clISt17integral_constantIbLb0EES1O_IbLb1EEEEDaS1K_S1L_EUlS1K_E_NS1_11comp_targetILNS1_3genE0ELNS1_11target_archE4294967295ELNS1_3gpuE0ELNS1_3repE0EEENS1_30default_config_static_selectorELNS0_4arch9wavefront6targetE0EEEvSY_.uses_vcc, 0
	.set _ZN7rocprim17ROCPRIM_400000_NS6detail17trampoline_kernelINS0_13select_configILj256ELj13ELNS0_17block_load_methodE3ELS4_3ELS4_3ELNS0_20block_scan_algorithmE0ELj4294967295EEENS1_25partition_config_selectorILNS1_17partition_subalgoE3EjNS0_10empty_typeEbEEZZNS1_14partition_implILS8_3ELb0ES6_jNS0_17counting_iteratorIjlEEPS9_SE_NS0_5tupleIJPjSE_EEENSF_IJSE_SE_EEES9_SG_JZNS1_25segmented_radix_sort_implINS0_14default_configELb0EPKsPsPKlPlN2at6native12_GLOBAL__N_18offset_tEEE10hipError_tPvRmT1_PNSt15iterator_traitsISY_E10value_typeET2_T3_PNSZ_IS14_E10value_typeET4_jRbjT5_S1A_jjP12ihipStream_tbEUljE_EEESV_SW_SX_S14_S18_S1A_T6_T7_T9_mT8_S1C_bDpT10_ENKUlT_T0_E_clISt17integral_constantIbLb0EES1O_IbLb1EEEEDaS1K_S1L_EUlS1K_E_NS1_11comp_targetILNS1_3genE0ELNS1_11target_archE4294967295ELNS1_3gpuE0ELNS1_3repE0EEENS1_30default_config_static_selectorELNS0_4arch9wavefront6targetE0EEEvSY_.uses_flat_scratch, 0
	.set _ZN7rocprim17ROCPRIM_400000_NS6detail17trampoline_kernelINS0_13select_configILj256ELj13ELNS0_17block_load_methodE3ELS4_3ELS4_3ELNS0_20block_scan_algorithmE0ELj4294967295EEENS1_25partition_config_selectorILNS1_17partition_subalgoE3EjNS0_10empty_typeEbEEZZNS1_14partition_implILS8_3ELb0ES6_jNS0_17counting_iteratorIjlEEPS9_SE_NS0_5tupleIJPjSE_EEENSF_IJSE_SE_EEES9_SG_JZNS1_25segmented_radix_sort_implINS0_14default_configELb0EPKsPsPKlPlN2at6native12_GLOBAL__N_18offset_tEEE10hipError_tPvRmT1_PNSt15iterator_traitsISY_E10value_typeET2_T3_PNSZ_IS14_E10value_typeET4_jRbjT5_S1A_jjP12ihipStream_tbEUljE_EEESV_SW_SX_S14_S18_S1A_T6_T7_T9_mT8_S1C_bDpT10_ENKUlT_T0_E_clISt17integral_constantIbLb0EES1O_IbLb1EEEEDaS1K_S1L_EUlS1K_E_NS1_11comp_targetILNS1_3genE0ELNS1_11target_archE4294967295ELNS1_3gpuE0ELNS1_3repE0EEENS1_30default_config_static_selectorELNS0_4arch9wavefront6targetE0EEEvSY_.has_dyn_sized_stack, 0
	.set _ZN7rocprim17ROCPRIM_400000_NS6detail17trampoline_kernelINS0_13select_configILj256ELj13ELNS0_17block_load_methodE3ELS4_3ELS4_3ELNS0_20block_scan_algorithmE0ELj4294967295EEENS1_25partition_config_selectorILNS1_17partition_subalgoE3EjNS0_10empty_typeEbEEZZNS1_14partition_implILS8_3ELb0ES6_jNS0_17counting_iteratorIjlEEPS9_SE_NS0_5tupleIJPjSE_EEENSF_IJSE_SE_EEES9_SG_JZNS1_25segmented_radix_sort_implINS0_14default_configELb0EPKsPsPKlPlN2at6native12_GLOBAL__N_18offset_tEEE10hipError_tPvRmT1_PNSt15iterator_traitsISY_E10value_typeET2_T3_PNSZ_IS14_E10value_typeET4_jRbjT5_S1A_jjP12ihipStream_tbEUljE_EEESV_SW_SX_S14_S18_S1A_T6_T7_T9_mT8_S1C_bDpT10_ENKUlT_T0_E_clISt17integral_constantIbLb0EES1O_IbLb1EEEEDaS1K_S1L_EUlS1K_E_NS1_11comp_targetILNS1_3genE0ELNS1_11target_archE4294967295ELNS1_3gpuE0ELNS1_3repE0EEENS1_30default_config_static_selectorELNS0_4arch9wavefront6targetE0EEEvSY_.has_recursion, 0
	.set _ZN7rocprim17ROCPRIM_400000_NS6detail17trampoline_kernelINS0_13select_configILj256ELj13ELNS0_17block_load_methodE3ELS4_3ELS4_3ELNS0_20block_scan_algorithmE0ELj4294967295EEENS1_25partition_config_selectorILNS1_17partition_subalgoE3EjNS0_10empty_typeEbEEZZNS1_14partition_implILS8_3ELb0ES6_jNS0_17counting_iteratorIjlEEPS9_SE_NS0_5tupleIJPjSE_EEENSF_IJSE_SE_EEES9_SG_JZNS1_25segmented_radix_sort_implINS0_14default_configELb0EPKsPsPKlPlN2at6native12_GLOBAL__N_18offset_tEEE10hipError_tPvRmT1_PNSt15iterator_traitsISY_E10value_typeET2_T3_PNSZ_IS14_E10value_typeET4_jRbjT5_S1A_jjP12ihipStream_tbEUljE_EEESV_SW_SX_S14_S18_S1A_T6_T7_T9_mT8_S1C_bDpT10_ENKUlT_T0_E_clISt17integral_constantIbLb0EES1O_IbLb1EEEEDaS1K_S1L_EUlS1K_E_NS1_11comp_targetILNS1_3genE0ELNS1_11target_archE4294967295ELNS1_3gpuE0ELNS1_3repE0EEENS1_30default_config_static_selectorELNS0_4arch9wavefront6targetE0EEEvSY_.has_indirect_call, 0
	.section	.AMDGPU.csdata,"",@progbits
; Kernel info:
; codeLenInByte = 0
; TotalNumSgprs: 0
; NumVgprs: 0
; ScratchSize: 0
; MemoryBound: 0
; FloatMode: 240
; IeeeMode: 1
; LDSByteSize: 0 bytes/workgroup (compile time only)
; SGPRBlocks: 0
; VGPRBlocks: 0
; NumSGPRsForWavesPerEU: 1
; NumVGPRsForWavesPerEU: 1
; Occupancy: 16
; WaveLimiterHint : 0
; COMPUTE_PGM_RSRC2:SCRATCH_EN: 0
; COMPUTE_PGM_RSRC2:USER_SGPR: 2
; COMPUTE_PGM_RSRC2:TRAP_HANDLER: 0
; COMPUTE_PGM_RSRC2:TGID_X_EN: 1
; COMPUTE_PGM_RSRC2:TGID_Y_EN: 0
; COMPUTE_PGM_RSRC2:TGID_Z_EN: 0
; COMPUTE_PGM_RSRC2:TIDIG_COMP_CNT: 0
	.section	.text._ZN7rocprim17ROCPRIM_400000_NS6detail17trampoline_kernelINS0_13select_configILj256ELj13ELNS0_17block_load_methodE3ELS4_3ELS4_3ELNS0_20block_scan_algorithmE0ELj4294967295EEENS1_25partition_config_selectorILNS1_17partition_subalgoE3EjNS0_10empty_typeEbEEZZNS1_14partition_implILS8_3ELb0ES6_jNS0_17counting_iteratorIjlEEPS9_SE_NS0_5tupleIJPjSE_EEENSF_IJSE_SE_EEES9_SG_JZNS1_25segmented_radix_sort_implINS0_14default_configELb0EPKsPsPKlPlN2at6native12_GLOBAL__N_18offset_tEEE10hipError_tPvRmT1_PNSt15iterator_traitsISY_E10value_typeET2_T3_PNSZ_IS14_E10value_typeET4_jRbjT5_S1A_jjP12ihipStream_tbEUljE_EEESV_SW_SX_S14_S18_S1A_T6_T7_T9_mT8_S1C_bDpT10_ENKUlT_T0_E_clISt17integral_constantIbLb0EES1O_IbLb1EEEEDaS1K_S1L_EUlS1K_E_NS1_11comp_targetILNS1_3genE5ELNS1_11target_archE942ELNS1_3gpuE9ELNS1_3repE0EEENS1_30default_config_static_selectorELNS0_4arch9wavefront6targetE0EEEvSY_,"axG",@progbits,_ZN7rocprim17ROCPRIM_400000_NS6detail17trampoline_kernelINS0_13select_configILj256ELj13ELNS0_17block_load_methodE3ELS4_3ELS4_3ELNS0_20block_scan_algorithmE0ELj4294967295EEENS1_25partition_config_selectorILNS1_17partition_subalgoE3EjNS0_10empty_typeEbEEZZNS1_14partition_implILS8_3ELb0ES6_jNS0_17counting_iteratorIjlEEPS9_SE_NS0_5tupleIJPjSE_EEENSF_IJSE_SE_EEES9_SG_JZNS1_25segmented_radix_sort_implINS0_14default_configELb0EPKsPsPKlPlN2at6native12_GLOBAL__N_18offset_tEEE10hipError_tPvRmT1_PNSt15iterator_traitsISY_E10value_typeET2_T3_PNSZ_IS14_E10value_typeET4_jRbjT5_S1A_jjP12ihipStream_tbEUljE_EEESV_SW_SX_S14_S18_S1A_T6_T7_T9_mT8_S1C_bDpT10_ENKUlT_T0_E_clISt17integral_constantIbLb0EES1O_IbLb1EEEEDaS1K_S1L_EUlS1K_E_NS1_11comp_targetILNS1_3genE5ELNS1_11target_archE942ELNS1_3gpuE9ELNS1_3repE0EEENS1_30default_config_static_selectorELNS0_4arch9wavefront6targetE0EEEvSY_,comdat
	.globl	_ZN7rocprim17ROCPRIM_400000_NS6detail17trampoline_kernelINS0_13select_configILj256ELj13ELNS0_17block_load_methodE3ELS4_3ELS4_3ELNS0_20block_scan_algorithmE0ELj4294967295EEENS1_25partition_config_selectorILNS1_17partition_subalgoE3EjNS0_10empty_typeEbEEZZNS1_14partition_implILS8_3ELb0ES6_jNS0_17counting_iteratorIjlEEPS9_SE_NS0_5tupleIJPjSE_EEENSF_IJSE_SE_EEES9_SG_JZNS1_25segmented_radix_sort_implINS0_14default_configELb0EPKsPsPKlPlN2at6native12_GLOBAL__N_18offset_tEEE10hipError_tPvRmT1_PNSt15iterator_traitsISY_E10value_typeET2_T3_PNSZ_IS14_E10value_typeET4_jRbjT5_S1A_jjP12ihipStream_tbEUljE_EEESV_SW_SX_S14_S18_S1A_T6_T7_T9_mT8_S1C_bDpT10_ENKUlT_T0_E_clISt17integral_constantIbLb0EES1O_IbLb1EEEEDaS1K_S1L_EUlS1K_E_NS1_11comp_targetILNS1_3genE5ELNS1_11target_archE942ELNS1_3gpuE9ELNS1_3repE0EEENS1_30default_config_static_selectorELNS0_4arch9wavefront6targetE0EEEvSY_ ; -- Begin function _ZN7rocprim17ROCPRIM_400000_NS6detail17trampoline_kernelINS0_13select_configILj256ELj13ELNS0_17block_load_methodE3ELS4_3ELS4_3ELNS0_20block_scan_algorithmE0ELj4294967295EEENS1_25partition_config_selectorILNS1_17partition_subalgoE3EjNS0_10empty_typeEbEEZZNS1_14partition_implILS8_3ELb0ES6_jNS0_17counting_iteratorIjlEEPS9_SE_NS0_5tupleIJPjSE_EEENSF_IJSE_SE_EEES9_SG_JZNS1_25segmented_radix_sort_implINS0_14default_configELb0EPKsPsPKlPlN2at6native12_GLOBAL__N_18offset_tEEE10hipError_tPvRmT1_PNSt15iterator_traitsISY_E10value_typeET2_T3_PNSZ_IS14_E10value_typeET4_jRbjT5_S1A_jjP12ihipStream_tbEUljE_EEESV_SW_SX_S14_S18_S1A_T6_T7_T9_mT8_S1C_bDpT10_ENKUlT_T0_E_clISt17integral_constantIbLb0EES1O_IbLb1EEEEDaS1K_S1L_EUlS1K_E_NS1_11comp_targetILNS1_3genE5ELNS1_11target_archE942ELNS1_3gpuE9ELNS1_3repE0EEENS1_30default_config_static_selectorELNS0_4arch9wavefront6targetE0EEEvSY_
	.p2align	8
	.type	_ZN7rocprim17ROCPRIM_400000_NS6detail17trampoline_kernelINS0_13select_configILj256ELj13ELNS0_17block_load_methodE3ELS4_3ELS4_3ELNS0_20block_scan_algorithmE0ELj4294967295EEENS1_25partition_config_selectorILNS1_17partition_subalgoE3EjNS0_10empty_typeEbEEZZNS1_14partition_implILS8_3ELb0ES6_jNS0_17counting_iteratorIjlEEPS9_SE_NS0_5tupleIJPjSE_EEENSF_IJSE_SE_EEES9_SG_JZNS1_25segmented_radix_sort_implINS0_14default_configELb0EPKsPsPKlPlN2at6native12_GLOBAL__N_18offset_tEEE10hipError_tPvRmT1_PNSt15iterator_traitsISY_E10value_typeET2_T3_PNSZ_IS14_E10value_typeET4_jRbjT5_S1A_jjP12ihipStream_tbEUljE_EEESV_SW_SX_S14_S18_S1A_T6_T7_T9_mT8_S1C_bDpT10_ENKUlT_T0_E_clISt17integral_constantIbLb0EES1O_IbLb1EEEEDaS1K_S1L_EUlS1K_E_NS1_11comp_targetILNS1_3genE5ELNS1_11target_archE942ELNS1_3gpuE9ELNS1_3repE0EEENS1_30default_config_static_selectorELNS0_4arch9wavefront6targetE0EEEvSY_,@function
_ZN7rocprim17ROCPRIM_400000_NS6detail17trampoline_kernelINS0_13select_configILj256ELj13ELNS0_17block_load_methodE3ELS4_3ELS4_3ELNS0_20block_scan_algorithmE0ELj4294967295EEENS1_25partition_config_selectorILNS1_17partition_subalgoE3EjNS0_10empty_typeEbEEZZNS1_14partition_implILS8_3ELb0ES6_jNS0_17counting_iteratorIjlEEPS9_SE_NS0_5tupleIJPjSE_EEENSF_IJSE_SE_EEES9_SG_JZNS1_25segmented_radix_sort_implINS0_14default_configELb0EPKsPsPKlPlN2at6native12_GLOBAL__N_18offset_tEEE10hipError_tPvRmT1_PNSt15iterator_traitsISY_E10value_typeET2_T3_PNSZ_IS14_E10value_typeET4_jRbjT5_S1A_jjP12ihipStream_tbEUljE_EEESV_SW_SX_S14_S18_S1A_T6_T7_T9_mT8_S1C_bDpT10_ENKUlT_T0_E_clISt17integral_constantIbLb0EES1O_IbLb1EEEEDaS1K_S1L_EUlS1K_E_NS1_11comp_targetILNS1_3genE5ELNS1_11target_archE942ELNS1_3gpuE9ELNS1_3repE0EEENS1_30default_config_static_selectorELNS0_4arch9wavefront6targetE0EEEvSY_: ; @_ZN7rocprim17ROCPRIM_400000_NS6detail17trampoline_kernelINS0_13select_configILj256ELj13ELNS0_17block_load_methodE3ELS4_3ELS4_3ELNS0_20block_scan_algorithmE0ELj4294967295EEENS1_25partition_config_selectorILNS1_17partition_subalgoE3EjNS0_10empty_typeEbEEZZNS1_14partition_implILS8_3ELb0ES6_jNS0_17counting_iteratorIjlEEPS9_SE_NS0_5tupleIJPjSE_EEENSF_IJSE_SE_EEES9_SG_JZNS1_25segmented_radix_sort_implINS0_14default_configELb0EPKsPsPKlPlN2at6native12_GLOBAL__N_18offset_tEEE10hipError_tPvRmT1_PNSt15iterator_traitsISY_E10value_typeET2_T3_PNSZ_IS14_E10value_typeET4_jRbjT5_S1A_jjP12ihipStream_tbEUljE_EEESV_SW_SX_S14_S18_S1A_T6_T7_T9_mT8_S1C_bDpT10_ENKUlT_T0_E_clISt17integral_constantIbLb0EES1O_IbLb1EEEEDaS1K_S1L_EUlS1K_E_NS1_11comp_targetILNS1_3genE5ELNS1_11target_archE942ELNS1_3gpuE9ELNS1_3repE0EEENS1_30default_config_static_selectorELNS0_4arch9wavefront6targetE0EEEvSY_
; %bb.0:
	.section	.rodata,"a",@progbits
	.p2align	6, 0x0
	.amdhsa_kernel _ZN7rocprim17ROCPRIM_400000_NS6detail17trampoline_kernelINS0_13select_configILj256ELj13ELNS0_17block_load_methodE3ELS4_3ELS4_3ELNS0_20block_scan_algorithmE0ELj4294967295EEENS1_25partition_config_selectorILNS1_17partition_subalgoE3EjNS0_10empty_typeEbEEZZNS1_14partition_implILS8_3ELb0ES6_jNS0_17counting_iteratorIjlEEPS9_SE_NS0_5tupleIJPjSE_EEENSF_IJSE_SE_EEES9_SG_JZNS1_25segmented_radix_sort_implINS0_14default_configELb0EPKsPsPKlPlN2at6native12_GLOBAL__N_18offset_tEEE10hipError_tPvRmT1_PNSt15iterator_traitsISY_E10value_typeET2_T3_PNSZ_IS14_E10value_typeET4_jRbjT5_S1A_jjP12ihipStream_tbEUljE_EEESV_SW_SX_S14_S18_S1A_T6_T7_T9_mT8_S1C_bDpT10_ENKUlT_T0_E_clISt17integral_constantIbLb0EES1O_IbLb1EEEEDaS1K_S1L_EUlS1K_E_NS1_11comp_targetILNS1_3genE5ELNS1_11target_archE942ELNS1_3gpuE9ELNS1_3repE0EEENS1_30default_config_static_selectorELNS0_4arch9wavefront6targetE0EEEvSY_
		.amdhsa_group_segment_fixed_size 0
		.amdhsa_private_segment_fixed_size 0
		.amdhsa_kernarg_size 152
		.amdhsa_user_sgpr_count 2
		.amdhsa_user_sgpr_dispatch_ptr 0
		.amdhsa_user_sgpr_queue_ptr 0
		.amdhsa_user_sgpr_kernarg_segment_ptr 1
		.amdhsa_user_sgpr_dispatch_id 0
		.amdhsa_user_sgpr_private_segment_size 0
		.amdhsa_wavefront_size32 1
		.amdhsa_uses_dynamic_stack 0
		.amdhsa_enable_private_segment 0
		.amdhsa_system_sgpr_workgroup_id_x 1
		.amdhsa_system_sgpr_workgroup_id_y 0
		.amdhsa_system_sgpr_workgroup_id_z 0
		.amdhsa_system_sgpr_workgroup_info 0
		.amdhsa_system_vgpr_workitem_id 0
		.amdhsa_next_free_vgpr 1
		.amdhsa_next_free_sgpr 1
		.amdhsa_reserve_vcc 0
		.amdhsa_float_round_mode_32 0
		.amdhsa_float_round_mode_16_64 0
		.amdhsa_float_denorm_mode_32 3
		.amdhsa_float_denorm_mode_16_64 3
		.amdhsa_fp16_overflow 0
		.amdhsa_workgroup_processor_mode 1
		.amdhsa_memory_ordered 1
		.amdhsa_forward_progress 1
		.amdhsa_inst_pref_size 0
		.amdhsa_round_robin_scheduling 0
		.amdhsa_exception_fp_ieee_invalid_op 0
		.amdhsa_exception_fp_denorm_src 0
		.amdhsa_exception_fp_ieee_div_zero 0
		.amdhsa_exception_fp_ieee_overflow 0
		.amdhsa_exception_fp_ieee_underflow 0
		.amdhsa_exception_fp_ieee_inexact 0
		.amdhsa_exception_int_div_zero 0
	.end_amdhsa_kernel
	.section	.text._ZN7rocprim17ROCPRIM_400000_NS6detail17trampoline_kernelINS0_13select_configILj256ELj13ELNS0_17block_load_methodE3ELS4_3ELS4_3ELNS0_20block_scan_algorithmE0ELj4294967295EEENS1_25partition_config_selectorILNS1_17partition_subalgoE3EjNS0_10empty_typeEbEEZZNS1_14partition_implILS8_3ELb0ES6_jNS0_17counting_iteratorIjlEEPS9_SE_NS0_5tupleIJPjSE_EEENSF_IJSE_SE_EEES9_SG_JZNS1_25segmented_radix_sort_implINS0_14default_configELb0EPKsPsPKlPlN2at6native12_GLOBAL__N_18offset_tEEE10hipError_tPvRmT1_PNSt15iterator_traitsISY_E10value_typeET2_T3_PNSZ_IS14_E10value_typeET4_jRbjT5_S1A_jjP12ihipStream_tbEUljE_EEESV_SW_SX_S14_S18_S1A_T6_T7_T9_mT8_S1C_bDpT10_ENKUlT_T0_E_clISt17integral_constantIbLb0EES1O_IbLb1EEEEDaS1K_S1L_EUlS1K_E_NS1_11comp_targetILNS1_3genE5ELNS1_11target_archE942ELNS1_3gpuE9ELNS1_3repE0EEENS1_30default_config_static_selectorELNS0_4arch9wavefront6targetE0EEEvSY_,"axG",@progbits,_ZN7rocprim17ROCPRIM_400000_NS6detail17trampoline_kernelINS0_13select_configILj256ELj13ELNS0_17block_load_methodE3ELS4_3ELS4_3ELNS0_20block_scan_algorithmE0ELj4294967295EEENS1_25partition_config_selectorILNS1_17partition_subalgoE3EjNS0_10empty_typeEbEEZZNS1_14partition_implILS8_3ELb0ES6_jNS0_17counting_iteratorIjlEEPS9_SE_NS0_5tupleIJPjSE_EEENSF_IJSE_SE_EEES9_SG_JZNS1_25segmented_radix_sort_implINS0_14default_configELb0EPKsPsPKlPlN2at6native12_GLOBAL__N_18offset_tEEE10hipError_tPvRmT1_PNSt15iterator_traitsISY_E10value_typeET2_T3_PNSZ_IS14_E10value_typeET4_jRbjT5_S1A_jjP12ihipStream_tbEUljE_EEESV_SW_SX_S14_S18_S1A_T6_T7_T9_mT8_S1C_bDpT10_ENKUlT_T0_E_clISt17integral_constantIbLb0EES1O_IbLb1EEEEDaS1K_S1L_EUlS1K_E_NS1_11comp_targetILNS1_3genE5ELNS1_11target_archE942ELNS1_3gpuE9ELNS1_3repE0EEENS1_30default_config_static_selectorELNS0_4arch9wavefront6targetE0EEEvSY_,comdat
.Lfunc_end1007:
	.size	_ZN7rocprim17ROCPRIM_400000_NS6detail17trampoline_kernelINS0_13select_configILj256ELj13ELNS0_17block_load_methodE3ELS4_3ELS4_3ELNS0_20block_scan_algorithmE0ELj4294967295EEENS1_25partition_config_selectorILNS1_17partition_subalgoE3EjNS0_10empty_typeEbEEZZNS1_14partition_implILS8_3ELb0ES6_jNS0_17counting_iteratorIjlEEPS9_SE_NS0_5tupleIJPjSE_EEENSF_IJSE_SE_EEES9_SG_JZNS1_25segmented_radix_sort_implINS0_14default_configELb0EPKsPsPKlPlN2at6native12_GLOBAL__N_18offset_tEEE10hipError_tPvRmT1_PNSt15iterator_traitsISY_E10value_typeET2_T3_PNSZ_IS14_E10value_typeET4_jRbjT5_S1A_jjP12ihipStream_tbEUljE_EEESV_SW_SX_S14_S18_S1A_T6_T7_T9_mT8_S1C_bDpT10_ENKUlT_T0_E_clISt17integral_constantIbLb0EES1O_IbLb1EEEEDaS1K_S1L_EUlS1K_E_NS1_11comp_targetILNS1_3genE5ELNS1_11target_archE942ELNS1_3gpuE9ELNS1_3repE0EEENS1_30default_config_static_selectorELNS0_4arch9wavefront6targetE0EEEvSY_, .Lfunc_end1007-_ZN7rocprim17ROCPRIM_400000_NS6detail17trampoline_kernelINS0_13select_configILj256ELj13ELNS0_17block_load_methodE3ELS4_3ELS4_3ELNS0_20block_scan_algorithmE0ELj4294967295EEENS1_25partition_config_selectorILNS1_17partition_subalgoE3EjNS0_10empty_typeEbEEZZNS1_14partition_implILS8_3ELb0ES6_jNS0_17counting_iteratorIjlEEPS9_SE_NS0_5tupleIJPjSE_EEENSF_IJSE_SE_EEES9_SG_JZNS1_25segmented_radix_sort_implINS0_14default_configELb0EPKsPsPKlPlN2at6native12_GLOBAL__N_18offset_tEEE10hipError_tPvRmT1_PNSt15iterator_traitsISY_E10value_typeET2_T3_PNSZ_IS14_E10value_typeET4_jRbjT5_S1A_jjP12ihipStream_tbEUljE_EEESV_SW_SX_S14_S18_S1A_T6_T7_T9_mT8_S1C_bDpT10_ENKUlT_T0_E_clISt17integral_constantIbLb0EES1O_IbLb1EEEEDaS1K_S1L_EUlS1K_E_NS1_11comp_targetILNS1_3genE5ELNS1_11target_archE942ELNS1_3gpuE9ELNS1_3repE0EEENS1_30default_config_static_selectorELNS0_4arch9wavefront6targetE0EEEvSY_
                                        ; -- End function
	.set _ZN7rocprim17ROCPRIM_400000_NS6detail17trampoline_kernelINS0_13select_configILj256ELj13ELNS0_17block_load_methodE3ELS4_3ELS4_3ELNS0_20block_scan_algorithmE0ELj4294967295EEENS1_25partition_config_selectorILNS1_17partition_subalgoE3EjNS0_10empty_typeEbEEZZNS1_14partition_implILS8_3ELb0ES6_jNS0_17counting_iteratorIjlEEPS9_SE_NS0_5tupleIJPjSE_EEENSF_IJSE_SE_EEES9_SG_JZNS1_25segmented_radix_sort_implINS0_14default_configELb0EPKsPsPKlPlN2at6native12_GLOBAL__N_18offset_tEEE10hipError_tPvRmT1_PNSt15iterator_traitsISY_E10value_typeET2_T3_PNSZ_IS14_E10value_typeET4_jRbjT5_S1A_jjP12ihipStream_tbEUljE_EEESV_SW_SX_S14_S18_S1A_T6_T7_T9_mT8_S1C_bDpT10_ENKUlT_T0_E_clISt17integral_constantIbLb0EES1O_IbLb1EEEEDaS1K_S1L_EUlS1K_E_NS1_11comp_targetILNS1_3genE5ELNS1_11target_archE942ELNS1_3gpuE9ELNS1_3repE0EEENS1_30default_config_static_selectorELNS0_4arch9wavefront6targetE0EEEvSY_.num_vgpr, 0
	.set _ZN7rocprim17ROCPRIM_400000_NS6detail17trampoline_kernelINS0_13select_configILj256ELj13ELNS0_17block_load_methodE3ELS4_3ELS4_3ELNS0_20block_scan_algorithmE0ELj4294967295EEENS1_25partition_config_selectorILNS1_17partition_subalgoE3EjNS0_10empty_typeEbEEZZNS1_14partition_implILS8_3ELb0ES6_jNS0_17counting_iteratorIjlEEPS9_SE_NS0_5tupleIJPjSE_EEENSF_IJSE_SE_EEES9_SG_JZNS1_25segmented_radix_sort_implINS0_14default_configELb0EPKsPsPKlPlN2at6native12_GLOBAL__N_18offset_tEEE10hipError_tPvRmT1_PNSt15iterator_traitsISY_E10value_typeET2_T3_PNSZ_IS14_E10value_typeET4_jRbjT5_S1A_jjP12ihipStream_tbEUljE_EEESV_SW_SX_S14_S18_S1A_T6_T7_T9_mT8_S1C_bDpT10_ENKUlT_T0_E_clISt17integral_constantIbLb0EES1O_IbLb1EEEEDaS1K_S1L_EUlS1K_E_NS1_11comp_targetILNS1_3genE5ELNS1_11target_archE942ELNS1_3gpuE9ELNS1_3repE0EEENS1_30default_config_static_selectorELNS0_4arch9wavefront6targetE0EEEvSY_.num_agpr, 0
	.set _ZN7rocprim17ROCPRIM_400000_NS6detail17trampoline_kernelINS0_13select_configILj256ELj13ELNS0_17block_load_methodE3ELS4_3ELS4_3ELNS0_20block_scan_algorithmE0ELj4294967295EEENS1_25partition_config_selectorILNS1_17partition_subalgoE3EjNS0_10empty_typeEbEEZZNS1_14partition_implILS8_3ELb0ES6_jNS0_17counting_iteratorIjlEEPS9_SE_NS0_5tupleIJPjSE_EEENSF_IJSE_SE_EEES9_SG_JZNS1_25segmented_radix_sort_implINS0_14default_configELb0EPKsPsPKlPlN2at6native12_GLOBAL__N_18offset_tEEE10hipError_tPvRmT1_PNSt15iterator_traitsISY_E10value_typeET2_T3_PNSZ_IS14_E10value_typeET4_jRbjT5_S1A_jjP12ihipStream_tbEUljE_EEESV_SW_SX_S14_S18_S1A_T6_T7_T9_mT8_S1C_bDpT10_ENKUlT_T0_E_clISt17integral_constantIbLb0EES1O_IbLb1EEEEDaS1K_S1L_EUlS1K_E_NS1_11comp_targetILNS1_3genE5ELNS1_11target_archE942ELNS1_3gpuE9ELNS1_3repE0EEENS1_30default_config_static_selectorELNS0_4arch9wavefront6targetE0EEEvSY_.numbered_sgpr, 0
	.set _ZN7rocprim17ROCPRIM_400000_NS6detail17trampoline_kernelINS0_13select_configILj256ELj13ELNS0_17block_load_methodE3ELS4_3ELS4_3ELNS0_20block_scan_algorithmE0ELj4294967295EEENS1_25partition_config_selectorILNS1_17partition_subalgoE3EjNS0_10empty_typeEbEEZZNS1_14partition_implILS8_3ELb0ES6_jNS0_17counting_iteratorIjlEEPS9_SE_NS0_5tupleIJPjSE_EEENSF_IJSE_SE_EEES9_SG_JZNS1_25segmented_radix_sort_implINS0_14default_configELb0EPKsPsPKlPlN2at6native12_GLOBAL__N_18offset_tEEE10hipError_tPvRmT1_PNSt15iterator_traitsISY_E10value_typeET2_T3_PNSZ_IS14_E10value_typeET4_jRbjT5_S1A_jjP12ihipStream_tbEUljE_EEESV_SW_SX_S14_S18_S1A_T6_T7_T9_mT8_S1C_bDpT10_ENKUlT_T0_E_clISt17integral_constantIbLb0EES1O_IbLb1EEEEDaS1K_S1L_EUlS1K_E_NS1_11comp_targetILNS1_3genE5ELNS1_11target_archE942ELNS1_3gpuE9ELNS1_3repE0EEENS1_30default_config_static_selectorELNS0_4arch9wavefront6targetE0EEEvSY_.num_named_barrier, 0
	.set _ZN7rocprim17ROCPRIM_400000_NS6detail17trampoline_kernelINS0_13select_configILj256ELj13ELNS0_17block_load_methodE3ELS4_3ELS4_3ELNS0_20block_scan_algorithmE0ELj4294967295EEENS1_25partition_config_selectorILNS1_17partition_subalgoE3EjNS0_10empty_typeEbEEZZNS1_14partition_implILS8_3ELb0ES6_jNS0_17counting_iteratorIjlEEPS9_SE_NS0_5tupleIJPjSE_EEENSF_IJSE_SE_EEES9_SG_JZNS1_25segmented_radix_sort_implINS0_14default_configELb0EPKsPsPKlPlN2at6native12_GLOBAL__N_18offset_tEEE10hipError_tPvRmT1_PNSt15iterator_traitsISY_E10value_typeET2_T3_PNSZ_IS14_E10value_typeET4_jRbjT5_S1A_jjP12ihipStream_tbEUljE_EEESV_SW_SX_S14_S18_S1A_T6_T7_T9_mT8_S1C_bDpT10_ENKUlT_T0_E_clISt17integral_constantIbLb0EES1O_IbLb1EEEEDaS1K_S1L_EUlS1K_E_NS1_11comp_targetILNS1_3genE5ELNS1_11target_archE942ELNS1_3gpuE9ELNS1_3repE0EEENS1_30default_config_static_selectorELNS0_4arch9wavefront6targetE0EEEvSY_.private_seg_size, 0
	.set _ZN7rocprim17ROCPRIM_400000_NS6detail17trampoline_kernelINS0_13select_configILj256ELj13ELNS0_17block_load_methodE3ELS4_3ELS4_3ELNS0_20block_scan_algorithmE0ELj4294967295EEENS1_25partition_config_selectorILNS1_17partition_subalgoE3EjNS0_10empty_typeEbEEZZNS1_14partition_implILS8_3ELb0ES6_jNS0_17counting_iteratorIjlEEPS9_SE_NS0_5tupleIJPjSE_EEENSF_IJSE_SE_EEES9_SG_JZNS1_25segmented_radix_sort_implINS0_14default_configELb0EPKsPsPKlPlN2at6native12_GLOBAL__N_18offset_tEEE10hipError_tPvRmT1_PNSt15iterator_traitsISY_E10value_typeET2_T3_PNSZ_IS14_E10value_typeET4_jRbjT5_S1A_jjP12ihipStream_tbEUljE_EEESV_SW_SX_S14_S18_S1A_T6_T7_T9_mT8_S1C_bDpT10_ENKUlT_T0_E_clISt17integral_constantIbLb0EES1O_IbLb1EEEEDaS1K_S1L_EUlS1K_E_NS1_11comp_targetILNS1_3genE5ELNS1_11target_archE942ELNS1_3gpuE9ELNS1_3repE0EEENS1_30default_config_static_selectorELNS0_4arch9wavefront6targetE0EEEvSY_.uses_vcc, 0
	.set _ZN7rocprim17ROCPRIM_400000_NS6detail17trampoline_kernelINS0_13select_configILj256ELj13ELNS0_17block_load_methodE3ELS4_3ELS4_3ELNS0_20block_scan_algorithmE0ELj4294967295EEENS1_25partition_config_selectorILNS1_17partition_subalgoE3EjNS0_10empty_typeEbEEZZNS1_14partition_implILS8_3ELb0ES6_jNS0_17counting_iteratorIjlEEPS9_SE_NS0_5tupleIJPjSE_EEENSF_IJSE_SE_EEES9_SG_JZNS1_25segmented_radix_sort_implINS0_14default_configELb0EPKsPsPKlPlN2at6native12_GLOBAL__N_18offset_tEEE10hipError_tPvRmT1_PNSt15iterator_traitsISY_E10value_typeET2_T3_PNSZ_IS14_E10value_typeET4_jRbjT5_S1A_jjP12ihipStream_tbEUljE_EEESV_SW_SX_S14_S18_S1A_T6_T7_T9_mT8_S1C_bDpT10_ENKUlT_T0_E_clISt17integral_constantIbLb0EES1O_IbLb1EEEEDaS1K_S1L_EUlS1K_E_NS1_11comp_targetILNS1_3genE5ELNS1_11target_archE942ELNS1_3gpuE9ELNS1_3repE0EEENS1_30default_config_static_selectorELNS0_4arch9wavefront6targetE0EEEvSY_.uses_flat_scratch, 0
	.set _ZN7rocprim17ROCPRIM_400000_NS6detail17trampoline_kernelINS0_13select_configILj256ELj13ELNS0_17block_load_methodE3ELS4_3ELS4_3ELNS0_20block_scan_algorithmE0ELj4294967295EEENS1_25partition_config_selectorILNS1_17partition_subalgoE3EjNS0_10empty_typeEbEEZZNS1_14partition_implILS8_3ELb0ES6_jNS0_17counting_iteratorIjlEEPS9_SE_NS0_5tupleIJPjSE_EEENSF_IJSE_SE_EEES9_SG_JZNS1_25segmented_radix_sort_implINS0_14default_configELb0EPKsPsPKlPlN2at6native12_GLOBAL__N_18offset_tEEE10hipError_tPvRmT1_PNSt15iterator_traitsISY_E10value_typeET2_T3_PNSZ_IS14_E10value_typeET4_jRbjT5_S1A_jjP12ihipStream_tbEUljE_EEESV_SW_SX_S14_S18_S1A_T6_T7_T9_mT8_S1C_bDpT10_ENKUlT_T0_E_clISt17integral_constantIbLb0EES1O_IbLb1EEEEDaS1K_S1L_EUlS1K_E_NS1_11comp_targetILNS1_3genE5ELNS1_11target_archE942ELNS1_3gpuE9ELNS1_3repE0EEENS1_30default_config_static_selectorELNS0_4arch9wavefront6targetE0EEEvSY_.has_dyn_sized_stack, 0
	.set _ZN7rocprim17ROCPRIM_400000_NS6detail17trampoline_kernelINS0_13select_configILj256ELj13ELNS0_17block_load_methodE3ELS4_3ELS4_3ELNS0_20block_scan_algorithmE0ELj4294967295EEENS1_25partition_config_selectorILNS1_17partition_subalgoE3EjNS0_10empty_typeEbEEZZNS1_14partition_implILS8_3ELb0ES6_jNS0_17counting_iteratorIjlEEPS9_SE_NS0_5tupleIJPjSE_EEENSF_IJSE_SE_EEES9_SG_JZNS1_25segmented_radix_sort_implINS0_14default_configELb0EPKsPsPKlPlN2at6native12_GLOBAL__N_18offset_tEEE10hipError_tPvRmT1_PNSt15iterator_traitsISY_E10value_typeET2_T3_PNSZ_IS14_E10value_typeET4_jRbjT5_S1A_jjP12ihipStream_tbEUljE_EEESV_SW_SX_S14_S18_S1A_T6_T7_T9_mT8_S1C_bDpT10_ENKUlT_T0_E_clISt17integral_constantIbLb0EES1O_IbLb1EEEEDaS1K_S1L_EUlS1K_E_NS1_11comp_targetILNS1_3genE5ELNS1_11target_archE942ELNS1_3gpuE9ELNS1_3repE0EEENS1_30default_config_static_selectorELNS0_4arch9wavefront6targetE0EEEvSY_.has_recursion, 0
	.set _ZN7rocprim17ROCPRIM_400000_NS6detail17trampoline_kernelINS0_13select_configILj256ELj13ELNS0_17block_load_methodE3ELS4_3ELS4_3ELNS0_20block_scan_algorithmE0ELj4294967295EEENS1_25partition_config_selectorILNS1_17partition_subalgoE3EjNS0_10empty_typeEbEEZZNS1_14partition_implILS8_3ELb0ES6_jNS0_17counting_iteratorIjlEEPS9_SE_NS0_5tupleIJPjSE_EEENSF_IJSE_SE_EEES9_SG_JZNS1_25segmented_radix_sort_implINS0_14default_configELb0EPKsPsPKlPlN2at6native12_GLOBAL__N_18offset_tEEE10hipError_tPvRmT1_PNSt15iterator_traitsISY_E10value_typeET2_T3_PNSZ_IS14_E10value_typeET4_jRbjT5_S1A_jjP12ihipStream_tbEUljE_EEESV_SW_SX_S14_S18_S1A_T6_T7_T9_mT8_S1C_bDpT10_ENKUlT_T0_E_clISt17integral_constantIbLb0EES1O_IbLb1EEEEDaS1K_S1L_EUlS1K_E_NS1_11comp_targetILNS1_3genE5ELNS1_11target_archE942ELNS1_3gpuE9ELNS1_3repE0EEENS1_30default_config_static_selectorELNS0_4arch9wavefront6targetE0EEEvSY_.has_indirect_call, 0
	.section	.AMDGPU.csdata,"",@progbits
; Kernel info:
; codeLenInByte = 0
; TotalNumSgprs: 0
; NumVgprs: 0
; ScratchSize: 0
; MemoryBound: 0
; FloatMode: 240
; IeeeMode: 1
; LDSByteSize: 0 bytes/workgroup (compile time only)
; SGPRBlocks: 0
; VGPRBlocks: 0
; NumSGPRsForWavesPerEU: 1
; NumVGPRsForWavesPerEU: 1
; Occupancy: 16
; WaveLimiterHint : 0
; COMPUTE_PGM_RSRC2:SCRATCH_EN: 0
; COMPUTE_PGM_RSRC2:USER_SGPR: 2
; COMPUTE_PGM_RSRC2:TRAP_HANDLER: 0
; COMPUTE_PGM_RSRC2:TGID_X_EN: 1
; COMPUTE_PGM_RSRC2:TGID_Y_EN: 0
; COMPUTE_PGM_RSRC2:TGID_Z_EN: 0
; COMPUTE_PGM_RSRC2:TIDIG_COMP_CNT: 0
	.section	.text._ZN7rocprim17ROCPRIM_400000_NS6detail17trampoline_kernelINS0_13select_configILj256ELj13ELNS0_17block_load_methodE3ELS4_3ELS4_3ELNS0_20block_scan_algorithmE0ELj4294967295EEENS1_25partition_config_selectorILNS1_17partition_subalgoE3EjNS0_10empty_typeEbEEZZNS1_14partition_implILS8_3ELb0ES6_jNS0_17counting_iteratorIjlEEPS9_SE_NS0_5tupleIJPjSE_EEENSF_IJSE_SE_EEES9_SG_JZNS1_25segmented_radix_sort_implINS0_14default_configELb0EPKsPsPKlPlN2at6native12_GLOBAL__N_18offset_tEEE10hipError_tPvRmT1_PNSt15iterator_traitsISY_E10value_typeET2_T3_PNSZ_IS14_E10value_typeET4_jRbjT5_S1A_jjP12ihipStream_tbEUljE_EEESV_SW_SX_S14_S18_S1A_T6_T7_T9_mT8_S1C_bDpT10_ENKUlT_T0_E_clISt17integral_constantIbLb0EES1O_IbLb1EEEEDaS1K_S1L_EUlS1K_E_NS1_11comp_targetILNS1_3genE4ELNS1_11target_archE910ELNS1_3gpuE8ELNS1_3repE0EEENS1_30default_config_static_selectorELNS0_4arch9wavefront6targetE0EEEvSY_,"axG",@progbits,_ZN7rocprim17ROCPRIM_400000_NS6detail17trampoline_kernelINS0_13select_configILj256ELj13ELNS0_17block_load_methodE3ELS4_3ELS4_3ELNS0_20block_scan_algorithmE0ELj4294967295EEENS1_25partition_config_selectorILNS1_17partition_subalgoE3EjNS0_10empty_typeEbEEZZNS1_14partition_implILS8_3ELb0ES6_jNS0_17counting_iteratorIjlEEPS9_SE_NS0_5tupleIJPjSE_EEENSF_IJSE_SE_EEES9_SG_JZNS1_25segmented_radix_sort_implINS0_14default_configELb0EPKsPsPKlPlN2at6native12_GLOBAL__N_18offset_tEEE10hipError_tPvRmT1_PNSt15iterator_traitsISY_E10value_typeET2_T3_PNSZ_IS14_E10value_typeET4_jRbjT5_S1A_jjP12ihipStream_tbEUljE_EEESV_SW_SX_S14_S18_S1A_T6_T7_T9_mT8_S1C_bDpT10_ENKUlT_T0_E_clISt17integral_constantIbLb0EES1O_IbLb1EEEEDaS1K_S1L_EUlS1K_E_NS1_11comp_targetILNS1_3genE4ELNS1_11target_archE910ELNS1_3gpuE8ELNS1_3repE0EEENS1_30default_config_static_selectorELNS0_4arch9wavefront6targetE0EEEvSY_,comdat
	.globl	_ZN7rocprim17ROCPRIM_400000_NS6detail17trampoline_kernelINS0_13select_configILj256ELj13ELNS0_17block_load_methodE3ELS4_3ELS4_3ELNS0_20block_scan_algorithmE0ELj4294967295EEENS1_25partition_config_selectorILNS1_17partition_subalgoE3EjNS0_10empty_typeEbEEZZNS1_14partition_implILS8_3ELb0ES6_jNS0_17counting_iteratorIjlEEPS9_SE_NS0_5tupleIJPjSE_EEENSF_IJSE_SE_EEES9_SG_JZNS1_25segmented_radix_sort_implINS0_14default_configELb0EPKsPsPKlPlN2at6native12_GLOBAL__N_18offset_tEEE10hipError_tPvRmT1_PNSt15iterator_traitsISY_E10value_typeET2_T3_PNSZ_IS14_E10value_typeET4_jRbjT5_S1A_jjP12ihipStream_tbEUljE_EEESV_SW_SX_S14_S18_S1A_T6_T7_T9_mT8_S1C_bDpT10_ENKUlT_T0_E_clISt17integral_constantIbLb0EES1O_IbLb1EEEEDaS1K_S1L_EUlS1K_E_NS1_11comp_targetILNS1_3genE4ELNS1_11target_archE910ELNS1_3gpuE8ELNS1_3repE0EEENS1_30default_config_static_selectorELNS0_4arch9wavefront6targetE0EEEvSY_ ; -- Begin function _ZN7rocprim17ROCPRIM_400000_NS6detail17trampoline_kernelINS0_13select_configILj256ELj13ELNS0_17block_load_methodE3ELS4_3ELS4_3ELNS0_20block_scan_algorithmE0ELj4294967295EEENS1_25partition_config_selectorILNS1_17partition_subalgoE3EjNS0_10empty_typeEbEEZZNS1_14partition_implILS8_3ELb0ES6_jNS0_17counting_iteratorIjlEEPS9_SE_NS0_5tupleIJPjSE_EEENSF_IJSE_SE_EEES9_SG_JZNS1_25segmented_radix_sort_implINS0_14default_configELb0EPKsPsPKlPlN2at6native12_GLOBAL__N_18offset_tEEE10hipError_tPvRmT1_PNSt15iterator_traitsISY_E10value_typeET2_T3_PNSZ_IS14_E10value_typeET4_jRbjT5_S1A_jjP12ihipStream_tbEUljE_EEESV_SW_SX_S14_S18_S1A_T6_T7_T9_mT8_S1C_bDpT10_ENKUlT_T0_E_clISt17integral_constantIbLb0EES1O_IbLb1EEEEDaS1K_S1L_EUlS1K_E_NS1_11comp_targetILNS1_3genE4ELNS1_11target_archE910ELNS1_3gpuE8ELNS1_3repE0EEENS1_30default_config_static_selectorELNS0_4arch9wavefront6targetE0EEEvSY_
	.p2align	8
	.type	_ZN7rocprim17ROCPRIM_400000_NS6detail17trampoline_kernelINS0_13select_configILj256ELj13ELNS0_17block_load_methodE3ELS4_3ELS4_3ELNS0_20block_scan_algorithmE0ELj4294967295EEENS1_25partition_config_selectorILNS1_17partition_subalgoE3EjNS0_10empty_typeEbEEZZNS1_14partition_implILS8_3ELb0ES6_jNS0_17counting_iteratorIjlEEPS9_SE_NS0_5tupleIJPjSE_EEENSF_IJSE_SE_EEES9_SG_JZNS1_25segmented_radix_sort_implINS0_14default_configELb0EPKsPsPKlPlN2at6native12_GLOBAL__N_18offset_tEEE10hipError_tPvRmT1_PNSt15iterator_traitsISY_E10value_typeET2_T3_PNSZ_IS14_E10value_typeET4_jRbjT5_S1A_jjP12ihipStream_tbEUljE_EEESV_SW_SX_S14_S18_S1A_T6_T7_T9_mT8_S1C_bDpT10_ENKUlT_T0_E_clISt17integral_constantIbLb0EES1O_IbLb1EEEEDaS1K_S1L_EUlS1K_E_NS1_11comp_targetILNS1_3genE4ELNS1_11target_archE910ELNS1_3gpuE8ELNS1_3repE0EEENS1_30default_config_static_selectorELNS0_4arch9wavefront6targetE0EEEvSY_,@function
_ZN7rocprim17ROCPRIM_400000_NS6detail17trampoline_kernelINS0_13select_configILj256ELj13ELNS0_17block_load_methodE3ELS4_3ELS4_3ELNS0_20block_scan_algorithmE0ELj4294967295EEENS1_25partition_config_selectorILNS1_17partition_subalgoE3EjNS0_10empty_typeEbEEZZNS1_14partition_implILS8_3ELb0ES6_jNS0_17counting_iteratorIjlEEPS9_SE_NS0_5tupleIJPjSE_EEENSF_IJSE_SE_EEES9_SG_JZNS1_25segmented_radix_sort_implINS0_14default_configELb0EPKsPsPKlPlN2at6native12_GLOBAL__N_18offset_tEEE10hipError_tPvRmT1_PNSt15iterator_traitsISY_E10value_typeET2_T3_PNSZ_IS14_E10value_typeET4_jRbjT5_S1A_jjP12ihipStream_tbEUljE_EEESV_SW_SX_S14_S18_S1A_T6_T7_T9_mT8_S1C_bDpT10_ENKUlT_T0_E_clISt17integral_constantIbLb0EES1O_IbLb1EEEEDaS1K_S1L_EUlS1K_E_NS1_11comp_targetILNS1_3genE4ELNS1_11target_archE910ELNS1_3gpuE8ELNS1_3repE0EEENS1_30default_config_static_selectorELNS0_4arch9wavefront6targetE0EEEvSY_: ; @_ZN7rocprim17ROCPRIM_400000_NS6detail17trampoline_kernelINS0_13select_configILj256ELj13ELNS0_17block_load_methodE3ELS4_3ELS4_3ELNS0_20block_scan_algorithmE0ELj4294967295EEENS1_25partition_config_selectorILNS1_17partition_subalgoE3EjNS0_10empty_typeEbEEZZNS1_14partition_implILS8_3ELb0ES6_jNS0_17counting_iteratorIjlEEPS9_SE_NS0_5tupleIJPjSE_EEENSF_IJSE_SE_EEES9_SG_JZNS1_25segmented_radix_sort_implINS0_14default_configELb0EPKsPsPKlPlN2at6native12_GLOBAL__N_18offset_tEEE10hipError_tPvRmT1_PNSt15iterator_traitsISY_E10value_typeET2_T3_PNSZ_IS14_E10value_typeET4_jRbjT5_S1A_jjP12ihipStream_tbEUljE_EEESV_SW_SX_S14_S18_S1A_T6_T7_T9_mT8_S1C_bDpT10_ENKUlT_T0_E_clISt17integral_constantIbLb0EES1O_IbLb1EEEEDaS1K_S1L_EUlS1K_E_NS1_11comp_targetILNS1_3genE4ELNS1_11target_archE910ELNS1_3gpuE8ELNS1_3repE0EEENS1_30default_config_static_selectorELNS0_4arch9wavefront6targetE0EEEvSY_
; %bb.0:
	.section	.rodata,"a",@progbits
	.p2align	6, 0x0
	.amdhsa_kernel _ZN7rocprim17ROCPRIM_400000_NS6detail17trampoline_kernelINS0_13select_configILj256ELj13ELNS0_17block_load_methodE3ELS4_3ELS4_3ELNS0_20block_scan_algorithmE0ELj4294967295EEENS1_25partition_config_selectorILNS1_17partition_subalgoE3EjNS0_10empty_typeEbEEZZNS1_14partition_implILS8_3ELb0ES6_jNS0_17counting_iteratorIjlEEPS9_SE_NS0_5tupleIJPjSE_EEENSF_IJSE_SE_EEES9_SG_JZNS1_25segmented_radix_sort_implINS0_14default_configELb0EPKsPsPKlPlN2at6native12_GLOBAL__N_18offset_tEEE10hipError_tPvRmT1_PNSt15iterator_traitsISY_E10value_typeET2_T3_PNSZ_IS14_E10value_typeET4_jRbjT5_S1A_jjP12ihipStream_tbEUljE_EEESV_SW_SX_S14_S18_S1A_T6_T7_T9_mT8_S1C_bDpT10_ENKUlT_T0_E_clISt17integral_constantIbLb0EES1O_IbLb1EEEEDaS1K_S1L_EUlS1K_E_NS1_11comp_targetILNS1_3genE4ELNS1_11target_archE910ELNS1_3gpuE8ELNS1_3repE0EEENS1_30default_config_static_selectorELNS0_4arch9wavefront6targetE0EEEvSY_
		.amdhsa_group_segment_fixed_size 0
		.amdhsa_private_segment_fixed_size 0
		.amdhsa_kernarg_size 152
		.amdhsa_user_sgpr_count 2
		.amdhsa_user_sgpr_dispatch_ptr 0
		.amdhsa_user_sgpr_queue_ptr 0
		.amdhsa_user_sgpr_kernarg_segment_ptr 1
		.amdhsa_user_sgpr_dispatch_id 0
		.amdhsa_user_sgpr_private_segment_size 0
		.amdhsa_wavefront_size32 1
		.amdhsa_uses_dynamic_stack 0
		.amdhsa_enable_private_segment 0
		.amdhsa_system_sgpr_workgroup_id_x 1
		.amdhsa_system_sgpr_workgroup_id_y 0
		.amdhsa_system_sgpr_workgroup_id_z 0
		.amdhsa_system_sgpr_workgroup_info 0
		.amdhsa_system_vgpr_workitem_id 0
		.amdhsa_next_free_vgpr 1
		.amdhsa_next_free_sgpr 1
		.amdhsa_reserve_vcc 0
		.amdhsa_float_round_mode_32 0
		.amdhsa_float_round_mode_16_64 0
		.amdhsa_float_denorm_mode_32 3
		.amdhsa_float_denorm_mode_16_64 3
		.amdhsa_fp16_overflow 0
		.amdhsa_workgroup_processor_mode 1
		.amdhsa_memory_ordered 1
		.amdhsa_forward_progress 1
		.amdhsa_inst_pref_size 0
		.amdhsa_round_robin_scheduling 0
		.amdhsa_exception_fp_ieee_invalid_op 0
		.amdhsa_exception_fp_denorm_src 0
		.amdhsa_exception_fp_ieee_div_zero 0
		.amdhsa_exception_fp_ieee_overflow 0
		.amdhsa_exception_fp_ieee_underflow 0
		.amdhsa_exception_fp_ieee_inexact 0
		.amdhsa_exception_int_div_zero 0
	.end_amdhsa_kernel
	.section	.text._ZN7rocprim17ROCPRIM_400000_NS6detail17trampoline_kernelINS0_13select_configILj256ELj13ELNS0_17block_load_methodE3ELS4_3ELS4_3ELNS0_20block_scan_algorithmE0ELj4294967295EEENS1_25partition_config_selectorILNS1_17partition_subalgoE3EjNS0_10empty_typeEbEEZZNS1_14partition_implILS8_3ELb0ES6_jNS0_17counting_iteratorIjlEEPS9_SE_NS0_5tupleIJPjSE_EEENSF_IJSE_SE_EEES9_SG_JZNS1_25segmented_radix_sort_implINS0_14default_configELb0EPKsPsPKlPlN2at6native12_GLOBAL__N_18offset_tEEE10hipError_tPvRmT1_PNSt15iterator_traitsISY_E10value_typeET2_T3_PNSZ_IS14_E10value_typeET4_jRbjT5_S1A_jjP12ihipStream_tbEUljE_EEESV_SW_SX_S14_S18_S1A_T6_T7_T9_mT8_S1C_bDpT10_ENKUlT_T0_E_clISt17integral_constantIbLb0EES1O_IbLb1EEEEDaS1K_S1L_EUlS1K_E_NS1_11comp_targetILNS1_3genE4ELNS1_11target_archE910ELNS1_3gpuE8ELNS1_3repE0EEENS1_30default_config_static_selectorELNS0_4arch9wavefront6targetE0EEEvSY_,"axG",@progbits,_ZN7rocprim17ROCPRIM_400000_NS6detail17trampoline_kernelINS0_13select_configILj256ELj13ELNS0_17block_load_methodE3ELS4_3ELS4_3ELNS0_20block_scan_algorithmE0ELj4294967295EEENS1_25partition_config_selectorILNS1_17partition_subalgoE3EjNS0_10empty_typeEbEEZZNS1_14partition_implILS8_3ELb0ES6_jNS0_17counting_iteratorIjlEEPS9_SE_NS0_5tupleIJPjSE_EEENSF_IJSE_SE_EEES9_SG_JZNS1_25segmented_radix_sort_implINS0_14default_configELb0EPKsPsPKlPlN2at6native12_GLOBAL__N_18offset_tEEE10hipError_tPvRmT1_PNSt15iterator_traitsISY_E10value_typeET2_T3_PNSZ_IS14_E10value_typeET4_jRbjT5_S1A_jjP12ihipStream_tbEUljE_EEESV_SW_SX_S14_S18_S1A_T6_T7_T9_mT8_S1C_bDpT10_ENKUlT_T0_E_clISt17integral_constantIbLb0EES1O_IbLb1EEEEDaS1K_S1L_EUlS1K_E_NS1_11comp_targetILNS1_3genE4ELNS1_11target_archE910ELNS1_3gpuE8ELNS1_3repE0EEENS1_30default_config_static_selectorELNS0_4arch9wavefront6targetE0EEEvSY_,comdat
.Lfunc_end1008:
	.size	_ZN7rocprim17ROCPRIM_400000_NS6detail17trampoline_kernelINS0_13select_configILj256ELj13ELNS0_17block_load_methodE3ELS4_3ELS4_3ELNS0_20block_scan_algorithmE0ELj4294967295EEENS1_25partition_config_selectorILNS1_17partition_subalgoE3EjNS0_10empty_typeEbEEZZNS1_14partition_implILS8_3ELb0ES6_jNS0_17counting_iteratorIjlEEPS9_SE_NS0_5tupleIJPjSE_EEENSF_IJSE_SE_EEES9_SG_JZNS1_25segmented_radix_sort_implINS0_14default_configELb0EPKsPsPKlPlN2at6native12_GLOBAL__N_18offset_tEEE10hipError_tPvRmT1_PNSt15iterator_traitsISY_E10value_typeET2_T3_PNSZ_IS14_E10value_typeET4_jRbjT5_S1A_jjP12ihipStream_tbEUljE_EEESV_SW_SX_S14_S18_S1A_T6_T7_T9_mT8_S1C_bDpT10_ENKUlT_T0_E_clISt17integral_constantIbLb0EES1O_IbLb1EEEEDaS1K_S1L_EUlS1K_E_NS1_11comp_targetILNS1_3genE4ELNS1_11target_archE910ELNS1_3gpuE8ELNS1_3repE0EEENS1_30default_config_static_selectorELNS0_4arch9wavefront6targetE0EEEvSY_, .Lfunc_end1008-_ZN7rocprim17ROCPRIM_400000_NS6detail17trampoline_kernelINS0_13select_configILj256ELj13ELNS0_17block_load_methodE3ELS4_3ELS4_3ELNS0_20block_scan_algorithmE0ELj4294967295EEENS1_25partition_config_selectorILNS1_17partition_subalgoE3EjNS0_10empty_typeEbEEZZNS1_14partition_implILS8_3ELb0ES6_jNS0_17counting_iteratorIjlEEPS9_SE_NS0_5tupleIJPjSE_EEENSF_IJSE_SE_EEES9_SG_JZNS1_25segmented_radix_sort_implINS0_14default_configELb0EPKsPsPKlPlN2at6native12_GLOBAL__N_18offset_tEEE10hipError_tPvRmT1_PNSt15iterator_traitsISY_E10value_typeET2_T3_PNSZ_IS14_E10value_typeET4_jRbjT5_S1A_jjP12ihipStream_tbEUljE_EEESV_SW_SX_S14_S18_S1A_T6_T7_T9_mT8_S1C_bDpT10_ENKUlT_T0_E_clISt17integral_constantIbLb0EES1O_IbLb1EEEEDaS1K_S1L_EUlS1K_E_NS1_11comp_targetILNS1_3genE4ELNS1_11target_archE910ELNS1_3gpuE8ELNS1_3repE0EEENS1_30default_config_static_selectorELNS0_4arch9wavefront6targetE0EEEvSY_
                                        ; -- End function
	.set _ZN7rocprim17ROCPRIM_400000_NS6detail17trampoline_kernelINS0_13select_configILj256ELj13ELNS0_17block_load_methodE3ELS4_3ELS4_3ELNS0_20block_scan_algorithmE0ELj4294967295EEENS1_25partition_config_selectorILNS1_17partition_subalgoE3EjNS0_10empty_typeEbEEZZNS1_14partition_implILS8_3ELb0ES6_jNS0_17counting_iteratorIjlEEPS9_SE_NS0_5tupleIJPjSE_EEENSF_IJSE_SE_EEES9_SG_JZNS1_25segmented_radix_sort_implINS0_14default_configELb0EPKsPsPKlPlN2at6native12_GLOBAL__N_18offset_tEEE10hipError_tPvRmT1_PNSt15iterator_traitsISY_E10value_typeET2_T3_PNSZ_IS14_E10value_typeET4_jRbjT5_S1A_jjP12ihipStream_tbEUljE_EEESV_SW_SX_S14_S18_S1A_T6_T7_T9_mT8_S1C_bDpT10_ENKUlT_T0_E_clISt17integral_constantIbLb0EES1O_IbLb1EEEEDaS1K_S1L_EUlS1K_E_NS1_11comp_targetILNS1_3genE4ELNS1_11target_archE910ELNS1_3gpuE8ELNS1_3repE0EEENS1_30default_config_static_selectorELNS0_4arch9wavefront6targetE0EEEvSY_.num_vgpr, 0
	.set _ZN7rocprim17ROCPRIM_400000_NS6detail17trampoline_kernelINS0_13select_configILj256ELj13ELNS0_17block_load_methodE3ELS4_3ELS4_3ELNS0_20block_scan_algorithmE0ELj4294967295EEENS1_25partition_config_selectorILNS1_17partition_subalgoE3EjNS0_10empty_typeEbEEZZNS1_14partition_implILS8_3ELb0ES6_jNS0_17counting_iteratorIjlEEPS9_SE_NS0_5tupleIJPjSE_EEENSF_IJSE_SE_EEES9_SG_JZNS1_25segmented_radix_sort_implINS0_14default_configELb0EPKsPsPKlPlN2at6native12_GLOBAL__N_18offset_tEEE10hipError_tPvRmT1_PNSt15iterator_traitsISY_E10value_typeET2_T3_PNSZ_IS14_E10value_typeET4_jRbjT5_S1A_jjP12ihipStream_tbEUljE_EEESV_SW_SX_S14_S18_S1A_T6_T7_T9_mT8_S1C_bDpT10_ENKUlT_T0_E_clISt17integral_constantIbLb0EES1O_IbLb1EEEEDaS1K_S1L_EUlS1K_E_NS1_11comp_targetILNS1_3genE4ELNS1_11target_archE910ELNS1_3gpuE8ELNS1_3repE0EEENS1_30default_config_static_selectorELNS0_4arch9wavefront6targetE0EEEvSY_.num_agpr, 0
	.set _ZN7rocprim17ROCPRIM_400000_NS6detail17trampoline_kernelINS0_13select_configILj256ELj13ELNS0_17block_load_methodE3ELS4_3ELS4_3ELNS0_20block_scan_algorithmE0ELj4294967295EEENS1_25partition_config_selectorILNS1_17partition_subalgoE3EjNS0_10empty_typeEbEEZZNS1_14partition_implILS8_3ELb0ES6_jNS0_17counting_iteratorIjlEEPS9_SE_NS0_5tupleIJPjSE_EEENSF_IJSE_SE_EEES9_SG_JZNS1_25segmented_radix_sort_implINS0_14default_configELb0EPKsPsPKlPlN2at6native12_GLOBAL__N_18offset_tEEE10hipError_tPvRmT1_PNSt15iterator_traitsISY_E10value_typeET2_T3_PNSZ_IS14_E10value_typeET4_jRbjT5_S1A_jjP12ihipStream_tbEUljE_EEESV_SW_SX_S14_S18_S1A_T6_T7_T9_mT8_S1C_bDpT10_ENKUlT_T0_E_clISt17integral_constantIbLb0EES1O_IbLb1EEEEDaS1K_S1L_EUlS1K_E_NS1_11comp_targetILNS1_3genE4ELNS1_11target_archE910ELNS1_3gpuE8ELNS1_3repE0EEENS1_30default_config_static_selectorELNS0_4arch9wavefront6targetE0EEEvSY_.numbered_sgpr, 0
	.set _ZN7rocprim17ROCPRIM_400000_NS6detail17trampoline_kernelINS0_13select_configILj256ELj13ELNS0_17block_load_methodE3ELS4_3ELS4_3ELNS0_20block_scan_algorithmE0ELj4294967295EEENS1_25partition_config_selectorILNS1_17partition_subalgoE3EjNS0_10empty_typeEbEEZZNS1_14partition_implILS8_3ELb0ES6_jNS0_17counting_iteratorIjlEEPS9_SE_NS0_5tupleIJPjSE_EEENSF_IJSE_SE_EEES9_SG_JZNS1_25segmented_radix_sort_implINS0_14default_configELb0EPKsPsPKlPlN2at6native12_GLOBAL__N_18offset_tEEE10hipError_tPvRmT1_PNSt15iterator_traitsISY_E10value_typeET2_T3_PNSZ_IS14_E10value_typeET4_jRbjT5_S1A_jjP12ihipStream_tbEUljE_EEESV_SW_SX_S14_S18_S1A_T6_T7_T9_mT8_S1C_bDpT10_ENKUlT_T0_E_clISt17integral_constantIbLb0EES1O_IbLb1EEEEDaS1K_S1L_EUlS1K_E_NS1_11comp_targetILNS1_3genE4ELNS1_11target_archE910ELNS1_3gpuE8ELNS1_3repE0EEENS1_30default_config_static_selectorELNS0_4arch9wavefront6targetE0EEEvSY_.num_named_barrier, 0
	.set _ZN7rocprim17ROCPRIM_400000_NS6detail17trampoline_kernelINS0_13select_configILj256ELj13ELNS0_17block_load_methodE3ELS4_3ELS4_3ELNS0_20block_scan_algorithmE0ELj4294967295EEENS1_25partition_config_selectorILNS1_17partition_subalgoE3EjNS0_10empty_typeEbEEZZNS1_14partition_implILS8_3ELb0ES6_jNS0_17counting_iteratorIjlEEPS9_SE_NS0_5tupleIJPjSE_EEENSF_IJSE_SE_EEES9_SG_JZNS1_25segmented_radix_sort_implINS0_14default_configELb0EPKsPsPKlPlN2at6native12_GLOBAL__N_18offset_tEEE10hipError_tPvRmT1_PNSt15iterator_traitsISY_E10value_typeET2_T3_PNSZ_IS14_E10value_typeET4_jRbjT5_S1A_jjP12ihipStream_tbEUljE_EEESV_SW_SX_S14_S18_S1A_T6_T7_T9_mT8_S1C_bDpT10_ENKUlT_T0_E_clISt17integral_constantIbLb0EES1O_IbLb1EEEEDaS1K_S1L_EUlS1K_E_NS1_11comp_targetILNS1_3genE4ELNS1_11target_archE910ELNS1_3gpuE8ELNS1_3repE0EEENS1_30default_config_static_selectorELNS0_4arch9wavefront6targetE0EEEvSY_.private_seg_size, 0
	.set _ZN7rocprim17ROCPRIM_400000_NS6detail17trampoline_kernelINS0_13select_configILj256ELj13ELNS0_17block_load_methodE3ELS4_3ELS4_3ELNS0_20block_scan_algorithmE0ELj4294967295EEENS1_25partition_config_selectorILNS1_17partition_subalgoE3EjNS0_10empty_typeEbEEZZNS1_14partition_implILS8_3ELb0ES6_jNS0_17counting_iteratorIjlEEPS9_SE_NS0_5tupleIJPjSE_EEENSF_IJSE_SE_EEES9_SG_JZNS1_25segmented_radix_sort_implINS0_14default_configELb0EPKsPsPKlPlN2at6native12_GLOBAL__N_18offset_tEEE10hipError_tPvRmT1_PNSt15iterator_traitsISY_E10value_typeET2_T3_PNSZ_IS14_E10value_typeET4_jRbjT5_S1A_jjP12ihipStream_tbEUljE_EEESV_SW_SX_S14_S18_S1A_T6_T7_T9_mT8_S1C_bDpT10_ENKUlT_T0_E_clISt17integral_constantIbLb0EES1O_IbLb1EEEEDaS1K_S1L_EUlS1K_E_NS1_11comp_targetILNS1_3genE4ELNS1_11target_archE910ELNS1_3gpuE8ELNS1_3repE0EEENS1_30default_config_static_selectorELNS0_4arch9wavefront6targetE0EEEvSY_.uses_vcc, 0
	.set _ZN7rocprim17ROCPRIM_400000_NS6detail17trampoline_kernelINS0_13select_configILj256ELj13ELNS0_17block_load_methodE3ELS4_3ELS4_3ELNS0_20block_scan_algorithmE0ELj4294967295EEENS1_25partition_config_selectorILNS1_17partition_subalgoE3EjNS0_10empty_typeEbEEZZNS1_14partition_implILS8_3ELb0ES6_jNS0_17counting_iteratorIjlEEPS9_SE_NS0_5tupleIJPjSE_EEENSF_IJSE_SE_EEES9_SG_JZNS1_25segmented_radix_sort_implINS0_14default_configELb0EPKsPsPKlPlN2at6native12_GLOBAL__N_18offset_tEEE10hipError_tPvRmT1_PNSt15iterator_traitsISY_E10value_typeET2_T3_PNSZ_IS14_E10value_typeET4_jRbjT5_S1A_jjP12ihipStream_tbEUljE_EEESV_SW_SX_S14_S18_S1A_T6_T7_T9_mT8_S1C_bDpT10_ENKUlT_T0_E_clISt17integral_constantIbLb0EES1O_IbLb1EEEEDaS1K_S1L_EUlS1K_E_NS1_11comp_targetILNS1_3genE4ELNS1_11target_archE910ELNS1_3gpuE8ELNS1_3repE0EEENS1_30default_config_static_selectorELNS0_4arch9wavefront6targetE0EEEvSY_.uses_flat_scratch, 0
	.set _ZN7rocprim17ROCPRIM_400000_NS6detail17trampoline_kernelINS0_13select_configILj256ELj13ELNS0_17block_load_methodE3ELS4_3ELS4_3ELNS0_20block_scan_algorithmE0ELj4294967295EEENS1_25partition_config_selectorILNS1_17partition_subalgoE3EjNS0_10empty_typeEbEEZZNS1_14partition_implILS8_3ELb0ES6_jNS0_17counting_iteratorIjlEEPS9_SE_NS0_5tupleIJPjSE_EEENSF_IJSE_SE_EEES9_SG_JZNS1_25segmented_radix_sort_implINS0_14default_configELb0EPKsPsPKlPlN2at6native12_GLOBAL__N_18offset_tEEE10hipError_tPvRmT1_PNSt15iterator_traitsISY_E10value_typeET2_T3_PNSZ_IS14_E10value_typeET4_jRbjT5_S1A_jjP12ihipStream_tbEUljE_EEESV_SW_SX_S14_S18_S1A_T6_T7_T9_mT8_S1C_bDpT10_ENKUlT_T0_E_clISt17integral_constantIbLb0EES1O_IbLb1EEEEDaS1K_S1L_EUlS1K_E_NS1_11comp_targetILNS1_3genE4ELNS1_11target_archE910ELNS1_3gpuE8ELNS1_3repE0EEENS1_30default_config_static_selectorELNS0_4arch9wavefront6targetE0EEEvSY_.has_dyn_sized_stack, 0
	.set _ZN7rocprim17ROCPRIM_400000_NS6detail17trampoline_kernelINS0_13select_configILj256ELj13ELNS0_17block_load_methodE3ELS4_3ELS4_3ELNS0_20block_scan_algorithmE0ELj4294967295EEENS1_25partition_config_selectorILNS1_17partition_subalgoE3EjNS0_10empty_typeEbEEZZNS1_14partition_implILS8_3ELb0ES6_jNS0_17counting_iteratorIjlEEPS9_SE_NS0_5tupleIJPjSE_EEENSF_IJSE_SE_EEES9_SG_JZNS1_25segmented_radix_sort_implINS0_14default_configELb0EPKsPsPKlPlN2at6native12_GLOBAL__N_18offset_tEEE10hipError_tPvRmT1_PNSt15iterator_traitsISY_E10value_typeET2_T3_PNSZ_IS14_E10value_typeET4_jRbjT5_S1A_jjP12ihipStream_tbEUljE_EEESV_SW_SX_S14_S18_S1A_T6_T7_T9_mT8_S1C_bDpT10_ENKUlT_T0_E_clISt17integral_constantIbLb0EES1O_IbLb1EEEEDaS1K_S1L_EUlS1K_E_NS1_11comp_targetILNS1_3genE4ELNS1_11target_archE910ELNS1_3gpuE8ELNS1_3repE0EEENS1_30default_config_static_selectorELNS0_4arch9wavefront6targetE0EEEvSY_.has_recursion, 0
	.set _ZN7rocprim17ROCPRIM_400000_NS6detail17trampoline_kernelINS0_13select_configILj256ELj13ELNS0_17block_load_methodE3ELS4_3ELS4_3ELNS0_20block_scan_algorithmE0ELj4294967295EEENS1_25partition_config_selectorILNS1_17partition_subalgoE3EjNS0_10empty_typeEbEEZZNS1_14partition_implILS8_3ELb0ES6_jNS0_17counting_iteratorIjlEEPS9_SE_NS0_5tupleIJPjSE_EEENSF_IJSE_SE_EEES9_SG_JZNS1_25segmented_radix_sort_implINS0_14default_configELb0EPKsPsPKlPlN2at6native12_GLOBAL__N_18offset_tEEE10hipError_tPvRmT1_PNSt15iterator_traitsISY_E10value_typeET2_T3_PNSZ_IS14_E10value_typeET4_jRbjT5_S1A_jjP12ihipStream_tbEUljE_EEESV_SW_SX_S14_S18_S1A_T6_T7_T9_mT8_S1C_bDpT10_ENKUlT_T0_E_clISt17integral_constantIbLb0EES1O_IbLb1EEEEDaS1K_S1L_EUlS1K_E_NS1_11comp_targetILNS1_3genE4ELNS1_11target_archE910ELNS1_3gpuE8ELNS1_3repE0EEENS1_30default_config_static_selectorELNS0_4arch9wavefront6targetE0EEEvSY_.has_indirect_call, 0
	.section	.AMDGPU.csdata,"",@progbits
; Kernel info:
; codeLenInByte = 0
; TotalNumSgprs: 0
; NumVgprs: 0
; ScratchSize: 0
; MemoryBound: 0
; FloatMode: 240
; IeeeMode: 1
; LDSByteSize: 0 bytes/workgroup (compile time only)
; SGPRBlocks: 0
; VGPRBlocks: 0
; NumSGPRsForWavesPerEU: 1
; NumVGPRsForWavesPerEU: 1
; Occupancy: 16
; WaveLimiterHint : 0
; COMPUTE_PGM_RSRC2:SCRATCH_EN: 0
; COMPUTE_PGM_RSRC2:USER_SGPR: 2
; COMPUTE_PGM_RSRC2:TRAP_HANDLER: 0
; COMPUTE_PGM_RSRC2:TGID_X_EN: 1
; COMPUTE_PGM_RSRC2:TGID_Y_EN: 0
; COMPUTE_PGM_RSRC2:TGID_Z_EN: 0
; COMPUTE_PGM_RSRC2:TIDIG_COMP_CNT: 0
	.section	.text._ZN7rocprim17ROCPRIM_400000_NS6detail17trampoline_kernelINS0_13select_configILj256ELj13ELNS0_17block_load_methodE3ELS4_3ELS4_3ELNS0_20block_scan_algorithmE0ELj4294967295EEENS1_25partition_config_selectorILNS1_17partition_subalgoE3EjNS0_10empty_typeEbEEZZNS1_14partition_implILS8_3ELb0ES6_jNS0_17counting_iteratorIjlEEPS9_SE_NS0_5tupleIJPjSE_EEENSF_IJSE_SE_EEES9_SG_JZNS1_25segmented_radix_sort_implINS0_14default_configELb0EPKsPsPKlPlN2at6native12_GLOBAL__N_18offset_tEEE10hipError_tPvRmT1_PNSt15iterator_traitsISY_E10value_typeET2_T3_PNSZ_IS14_E10value_typeET4_jRbjT5_S1A_jjP12ihipStream_tbEUljE_EEESV_SW_SX_S14_S18_S1A_T6_T7_T9_mT8_S1C_bDpT10_ENKUlT_T0_E_clISt17integral_constantIbLb0EES1O_IbLb1EEEEDaS1K_S1L_EUlS1K_E_NS1_11comp_targetILNS1_3genE3ELNS1_11target_archE908ELNS1_3gpuE7ELNS1_3repE0EEENS1_30default_config_static_selectorELNS0_4arch9wavefront6targetE0EEEvSY_,"axG",@progbits,_ZN7rocprim17ROCPRIM_400000_NS6detail17trampoline_kernelINS0_13select_configILj256ELj13ELNS0_17block_load_methodE3ELS4_3ELS4_3ELNS0_20block_scan_algorithmE0ELj4294967295EEENS1_25partition_config_selectorILNS1_17partition_subalgoE3EjNS0_10empty_typeEbEEZZNS1_14partition_implILS8_3ELb0ES6_jNS0_17counting_iteratorIjlEEPS9_SE_NS0_5tupleIJPjSE_EEENSF_IJSE_SE_EEES9_SG_JZNS1_25segmented_radix_sort_implINS0_14default_configELb0EPKsPsPKlPlN2at6native12_GLOBAL__N_18offset_tEEE10hipError_tPvRmT1_PNSt15iterator_traitsISY_E10value_typeET2_T3_PNSZ_IS14_E10value_typeET4_jRbjT5_S1A_jjP12ihipStream_tbEUljE_EEESV_SW_SX_S14_S18_S1A_T6_T7_T9_mT8_S1C_bDpT10_ENKUlT_T0_E_clISt17integral_constantIbLb0EES1O_IbLb1EEEEDaS1K_S1L_EUlS1K_E_NS1_11comp_targetILNS1_3genE3ELNS1_11target_archE908ELNS1_3gpuE7ELNS1_3repE0EEENS1_30default_config_static_selectorELNS0_4arch9wavefront6targetE0EEEvSY_,comdat
	.globl	_ZN7rocprim17ROCPRIM_400000_NS6detail17trampoline_kernelINS0_13select_configILj256ELj13ELNS0_17block_load_methodE3ELS4_3ELS4_3ELNS0_20block_scan_algorithmE0ELj4294967295EEENS1_25partition_config_selectorILNS1_17partition_subalgoE3EjNS0_10empty_typeEbEEZZNS1_14partition_implILS8_3ELb0ES6_jNS0_17counting_iteratorIjlEEPS9_SE_NS0_5tupleIJPjSE_EEENSF_IJSE_SE_EEES9_SG_JZNS1_25segmented_radix_sort_implINS0_14default_configELb0EPKsPsPKlPlN2at6native12_GLOBAL__N_18offset_tEEE10hipError_tPvRmT1_PNSt15iterator_traitsISY_E10value_typeET2_T3_PNSZ_IS14_E10value_typeET4_jRbjT5_S1A_jjP12ihipStream_tbEUljE_EEESV_SW_SX_S14_S18_S1A_T6_T7_T9_mT8_S1C_bDpT10_ENKUlT_T0_E_clISt17integral_constantIbLb0EES1O_IbLb1EEEEDaS1K_S1L_EUlS1K_E_NS1_11comp_targetILNS1_3genE3ELNS1_11target_archE908ELNS1_3gpuE7ELNS1_3repE0EEENS1_30default_config_static_selectorELNS0_4arch9wavefront6targetE0EEEvSY_ ; -- Begin function _ZN7rocprim17ROCPRIM_400000_NS6detail17trampoline_kernelINS0_13select_configILj256ELj13ELNS0_17block_load_methodE3ELS4_3ELS4_3ELNS0_20block_scan_algorithmE0ELj4294967295EEENS1_25partition_config_selectorILNS1_17partition_subalgoE3EjNS0_10empty_typeEbEEZZNS1_14partition_implILS8_3ELb0ES6_jNS0_17counting_iteratorIjlEEPS9_SE_NS0_5tupleIJPjSE_EEENSF_IJSE_SE_EEES9_SG_JZNS1_25segmented_radix_sort_implINS0_14default_configELb0EPKsPsPKlPlN2at6native12_GLOBAL__N_18offset_tEEE10hipError_tPvRmT1_PNSt15iterator_traitsISY_E10value_typeET2_T3_PNSZ_IS14_E10value_typeET4_jRbjT5_S1A_jjP12ihipStream_tbEUljE_EEESV_SW_SX_S14_S18_S1A_T6_T7_T9_mT8_S1C_bDpT10_ENKUlT_T0_E_clISt17integral_constantIbLb0EES1O_IbLb1EEEEDaS1K_S1L_EUlS1K_E_NS1_11comp_targetILNS1_3genE3ELNS1_11target_archE908ELNS1_3gpuE7ELNS1_3repE0EEENS1_30default_config_static_selectorELNS0_4arch9wavefront6targetE0EEEvSY_
	.p2align	8
	.type	_ZN7rocprim17ROCPRIM_400000_NS6detail17trampoline_kernelINS0_13select_configILj256ELj13ELNS0_17block_load_methodE3ELS4_3ELS4_3ELNS0_20block_scan_algorithmE0ELj4294967295EEENS1_25partition_config_selectorILNS1_17partition_subalgoE3EjNS0_10empty_typeEbEEZZNS1_14partition_implILS8_3ELb0ES6_jNS0_17counting_iteratorIjlEEPS9_SE_NS0_5tupleIJPjSE_EEENSF_IJSE_SE_EEES9_SG_JZNS1_25segmented_radix_sort_implINS0_14default_configELb0EPKsPsPKlPlN2at6native12_GLOBAL__N_18offset_tEEE10hipError_tPvRmT1_PNSt15iterator_traitsISY_E10value_typeET2_T3_PNSZ_IS14_E10value_typeET4_jRbjT5_S1A_jjP12ihipStream_tbEUljE_EEESV_SW_SX_S14_S18_S1A_T6_T7_T9_mT8_S1C_bDpT10_ENKUlT_T0_E_clISt17integral_constantIbLb0EES1O_IbLb1EEEEDaS1K_S1L_EUlS1K_E_NS1_11comp_targetILNS1_3genE3ELNS1_11target_archE908ELNS1_3gpuE7ELNS1_3repE0EEENS1_30default_config_static_selectorELNS0_4arch9wavefront6targetE0EEEvSY_,@function
_ZN7rocprim17ROCPRIM_400000_NS6detail17trampoline_kernelINS0_13select_configILj256ELj13ELNS0_17block_load_methodE3ELS4_3ELS4_3ELNS0_20block_scan_algorithmE0ELj4294967295EEENS1_25partition_config_selectorILNS1_17partition_subalgoE3EjNS0_10empty_typeEbEEZZNS1_14partition_implILS8_3ELb0ES6_jNS0_17counting_iteratorIjlEEPS9_SE_NS0_5tupleIJPjSE_EEENSF_IJSE_SE_EEES9_SG_JZNS1_25segmented_radix_sort_implINS0_14default_configELb0EPKsPsPKlPlN2at6native12_GLOBAL__N_18offset_tEEE10hipError_tPvRmT1_PNSt15iterator_traitsISY_E10value_typeET2_T3_PNSZ_IS14_E10value_typeET4_jRbjT5_S1A_jjP12ihipStream_tbEUljE_EEESV_SW_SX_S14_S18_S1A_T6_T7_T9_mT8_S1C_bDpT10_ENKUlT_T0_E_clISt17integral_constantIbLb0EES1O_IbLb1EEEEDaS1K_S1L_EUlS1K_E_NS1_11comp_targetILNS1_3genE3ELNS1_11target_archE908ELNS1_3gpuE7ELNS1_3repE0EEENS1_30default_config_static_selectorELNS0_4arch9wavefront6targetE0EEEvSY_: ; @_ZN7rocprim17ROCPRIM_400000_NS6detail17trampoline_kernelINS0_13select_configILj256ELj13ELNS0_17block_load_methodE3ELS4_3ELS4_3ELNS0_20block_scan_algorithmE0ELj4294967295EEENS1_25partition_config_selectorILNS1_17partition_subalgoE3EjNS0_10empty_typeEbEEZZNS1_14partition_implILS8_3ELb0ES6_jNS0_17counting_iteratorIjlEEPS9_SE_NS0_5tupleIJPjSE_EEENSF_IJSE_SE_EEES9_SG_JZNS1_25segmented_radix_sort_implINS0_14default_configELb0EPKsPsPKlPlN2at6native12_GLOBAL__N_18offset_tEEE10hipError_tPvRmT1_PNSt15iterator_traitsISY_E10value_typeET2_T3_PNSZ_IS14_E10value_typeET4_jRbjT5_S1A_jjP12ihipStream_tbEUljE_EEESV_SW_SX_S14_S18_S1A_T6_T7_T9_mT8_S1C_bDpT10_ENKUlT_T0_E_clISt17integral_constantIbLb0EES1O_IbLb1EEEEDaS1K_S1L_EUlS1K_E_NS1_11comp_targetILNS1_3genE3ELNS1_11target_archE908ELNS1_3gpuE7ELNS1_3repE0EEENS1_30default_config_static_selectorELNS0_4arch9wavefront6targetE0EEEvSY_
; %bb.0:
	.section	.rodata,"a",@progbits
	.p2align	6, 0x0
	.amdhsa_kernel _ZN7rocprim17ROCPRIM_400000_NS6detail17trampoline_kernelINS0_13select_configILj256ELj13ELNS0_17block_load_methodE3ELS4_3ELS4_3ELNS0_20block_scan_algorithmE0ELj4294967295EEENS1_25partition_config_selectorILNS1_17partition_subalgoE3EjNS0_10empty_typeEbEEZZNS1_14partition_implILS8_3ELb0ES6_jNS0_17counting_iteratorIjlEEPS9_SE_NS0_5tupleIJPjSE_EEENSF_IJSE_SE_EEES9_SG_JZNS1_25segmented_radix_sort_implINS0_14default_configELb0EPKsPsPKlPlN2at6native12_GLOBAL__N_18offset_tEEE10hipError_tPvRmT1_PNSt15iterator_traitsISY_E10value_typeET2_T3_PNSZ_IS14_E10value_typeET4_jRbjT5_S1A_jjP12ihipStream_tbEUljE_EEESV_SW_SX_S14_S18_S1A_T6_T7_T9_mT8_S1C_bDpT10_ENKUlT_T0_E_clISt17integral_constantIbLb0EES1O_IbLb1EEEEDaS1K_S1L_EUlS1K_E_NS1_11comp_targetILNS1_3genE3ELNS1_11target_archE908ELNS1_3gpuE7ELNS1_3repE0EEENS1_30default_config_static_selectorELNS0_4arch9wavefront6targetE0EEEvSY_
		.amdhsa_group_segment_fixed_size 0
		.amdhsa_private_segment_fixed_size 0
		.amdhsa_kernarg_size 152
		.amdhsa_user_sgpr_count 2
		.amdhsa_user_sgpr_dispatch_ptr 0
		.amdhsa_user_sgpr_queue_ptr 0
		.amdhsa_user_sgpr_kernarg_segment_ptr 1
		.amdhsa_user_sgpr_dispatch_id 0
		.amdhsa_user_sgpr_private_segment_size 0
		.amdhsa_wavefront_size32 1
		.amdhsa_uses_dynamic_stack 0
		.amdhsa_enable_private_segment 0
		.amdhsa_system_sgpr_workgroup_id_x 1
		.amdhsa_system_sgpr_workgroup_id_y 0
		.amdhsa_system_sgpr_workgroup_id_z 0
		.amdhsa_system_sgpr_workgroup_info 0
		.amdhsa_system_vgpr_workitem_id 0
		.amdhsa_next_free_vgpr 1
		.amdhsa_next_free_sgpr 1
		.amdhsa_reserve_vcc 0
		.amdhsa_float_round_mode_32 0
		.amdhsa_float_round_mode_16_64 0
		.amdhsa_float_denorm_mode_32 3
		.amdhsa_float_denorm_mode_16_64 3
		.amdhsa_fp16_overflow 0
		.amdhsa_workgroup_processor_mode 1
		.amdhsa_memory_ordered 1
		.amdhsa_forward_progress 1
		.amdhsa_inst_pref_size 0
		.amdhsa_round_robin_scheduling 0
		.amdhsa_exception_fp_ieee_invalid_op 0
		.amdhsa_exception_fp_denorm_src 0
		.amdhsa_exception_fp_ieee_div_zero 0
		.amdhsa_exception_fp_ieee_overflow 0
		.amdhsa_exception_fp_ieee_underflow 0
		.amdhsa_exception_fp_ieee_inexact 0
		.amdhsa_exception_int_div_zero 0
	.end_amdhsa_kernel
	.section	.text._ZN7rocprim17ROCPRIM_400000_NS6detail17trampoline_kernelINS0_13select_configILj256ELj13ELNS0_17block_load_methodE3ELS4_3ELS4_3ELNS0_20block_scan_algorithmE0ELj4294967295EEENS1_25partition_config_selectorILNS1_17partition_subalgoE3EjNS0_10empty_typeEbEEZZNS1_14partition_implILS8_3ELb0ES6_jNS0_17counting_iteratorIjlEEPS9_SE_NS0_5tupleIJPjSE_EEENSF_IJSE_SE_EEES9_SG_JZNS1_25segmented_radix_sort_implINS0_14default_configELb0EPKsPsPKlPlN2at6native12_GLOBAL__N_18offset_tEEE10hipError_tPvRmT1_PNSt15iterator_traitsISY_E10value_typeET2_T3_PNSZ_IS14_E10value_typeET4_jRbjT5_S1A_jjP12ihipStream_tbEUljE_EEESV_SW_SX_S14_S18_S1A_T6_T7_T9_mT8_S1C_bDpT10_ENKUlT_T0_E_clISt17integral_constantIbLb0EES1O_IbLb1EEEEDaS1K_S1L_EUlS1K_E_NS1_11comp_targetILNS1_3genE3ELNS1_11target_archE908ELNS1_3gpuE7ELNS1_3repE0EEENS1_30default_config_static_selectorELNS0_4arch9wavefront6targetE0EEEvSY_,"axG",@progbits,_ZN7rocprim17ROCPRIM_400000_NS6detail17trampoline_kernelINS0_13select_configILj256ELj13ELNS0_17block_load_methodE3ELS4_3ELS4_3ELNS0_20block_scan_algorithmE0ELj4294967295EEENS1_25partition_config_selectorILNS1_17partition_subalgoE3EjNS0_10empty_typeEbEEZZNS1_14partition_implILS8_3ELb0ES6_jNS0_17counting_iteratorIjlEEPS9_SE_NS0_5tupleIJPjSE_EEENSF_IJSE_SE_EEES9_SG_JZNS1_25segmented_radix_sort_implINS0_14default_configELb0EPKsPsPKlPlN2at6native12_GLOBAL__N_18offset_tEEE10hipError_tPvRmT1_PNSt15iterator_traitsISY_E10value_typeET2_T3_PNSZ_IS14_E10value_typeET4_jRbjT5_S1A_jjP12ihipStream_tbEUljE_EEESV_SW_SX_S14_S18_S1A_T6_T7_T9_mT8_S1C_bDpT10_ENKUlT_T0_E_clISt17integral_constantIbLb0EES1O_IbLb1EEEEDaS1K_S1L_EUlS1K_E_NS1_11comp_targetILNS1_3genE3ELNS1_11target_archE908ELNS1_3gpuE7ELNS1_3repE0EEENS1_30default_config_static_selectorELNS0_4arch9wavefront6targetE0EEEvSY_,comdat
.Lfunc_end1009:
	.size	_ZN7rocprim17ROCPRIM_400000_NS6detail17trampoline_kernelINS0_13select_configILj256ELj13ELNS0_17block_load_methodE3ELS4_3ELS4_3ELNS0_20block_scan_algorithmE0ELj4294967295EEENS1_25partition_config_selectorILNS1_17partition_subalgoE3EjNS0_10empty_typeEbEEZZNS1_14partition_implILS8_3ELb0ES6_jNS0_17counting_iteratorIjlEEPS9_SE_NS0_5tupleIJPjSE_EEENSF_IJSE_SE_EEES9_SG_JZNS1_25segmented_radix_sort_implINS0_14default_configELb0EPKsPsPKlPlN2at6native12_GLOBAL__N_18offset_tEEE10hipError_tPvRmT1_PNSt15iterator_traitsISY_E10value_typeET2_T3_PNSZ_IS14_E10value_typeET4_jRbjT5_S1A_jjP12ihipStream_tbEUljE_EEESV_SW_SX_S14_S18_S1A_T6_T7_T9_mT8_S1C_bDpT10_ENKUlT_T0_E_clISt17integral_constantIbLb0EES1O_IbLb1EEEEDaS1K_S1L_EUlS1K_E_NS1_11comp_targetILNS1_3genE3ELNS1_11target_archE908ELNS1_3gpuE7ELNS1_3repE0EEENS1_30default_config_static_selectorELNS0_4arch9wavefront6targetE0EEEvSY_, .Lfunc_end1009-_ZN7rocprim17ROCPRIM_400000_NS6detail17trampoline_kernelINS0_13select_configILj256ELj13ELNS0_17block_load_methodE3ELS4_3ELS4_3ELNS0_20block_scan_algorithmE0ELj4294967295EEENS1_25partition_config_selectorILNS1_17partition_subalgoE3EjNS0_10empty_typeEbEEZZNS1_14partition_implILS8_3ELb0ES6_jNS0_17counting_iteratorIjlEEPS9_SE_NS0_5tupleIJPjSE_EEENSF_IJSE_SE_EEES9_SG_JZNS1_25segmented_radix_sort_implINS0_14default_configELb0EPKsPsPKlPlN2at6native12_GLOBAL__N_18offset_tEEE10hipError_tPvRmT1_PNSt15iterator_traitsISY_E10value_typeET2_T3_PNSZ_IS14_E10value_typeET4_jRbjT5_S1A_jjP12ihipStream_tbEUljE_EEESV_SW_SX_S14_S18_S1A_T6_T7_T9_mT8_S1C_bDpT10_ENKUlT_T0_E_clISt17integral_constantIbLb0EES1O_IbLb1EEEEDaS1K_S1L_EUlS1K_E_NS1_11comp_targetILNS1_3genE3ELNS1_11target_archE908ELNS1_3gpuE7ELNS1_3repE0EEENS1_30default_config_static_selectorELNS0_4arch9wavefront6targetE0EEEvSY_
                                        ; -- End function
	.set _ZN7rocprim17ROCPRIM_400000_NS6detail17trampoline_kernelINS0_13select_configILj256ELj13ELNS0_17block_load_methodE3ELS4_3ELS4_3ELNS0_20block_scan_algorithmE0ELj4294967295EEENS1_25partition_config_selectorILNS1_17partition_subalgoE3EjNS0_10empty_typeEbEEZZNS1_14partition_implILS8_3ELb0ES6_jNS0_17counting_iteratorIjlEEPS9_SE_NS0_5tupleIJPjSE_EEENSF_IJSE_SE_EEES9_SG_JZNS1_25segmented_radix_sort_implINS0_14default_configELb0EPKsPsPKlPlN2at6native12_GLOBAL__N_18offset_tEEE10hipError_tPvRmT1_PNSt15iterator_traitsISY_E10value_typeET2_T3_PNSZ_IS14_E10value_typeET4_jRbjT5_S1A_jjP12ihipStream_tbEUljE_EEESV_SW_SX_S14_S18_S1A_T6_T7_T9_mT8_S1C_bDpT10_ENKUlT_T0_E_clISt17integral_constantIbLb0EES1O_IbLb1EEEEDaS1K_S1L_EUlS1K_E_NS1_11comp_targetILNS1_3genE3ELNS1_11target_archE908ELNS1_3gpuE7ELNS1_3repE0EEENS1_30default_config_static_selectorELNS0_4arch9wavefront6targetE0EEEvSY_.num_vgpr, 0
	.set _ZN7rocprim17ROCPRIM_400000_NS6detail17trampoline_kernelINS0_13select_configILj256ELj13ELNS0_17block_load_methodE3ELS4_3ELS4_3ELNS0_20block_scan_algorithmE0ELj4294967295EEENS1_25partition_config_selectorILNS1_17partition_subalgoE3EjNS0_10empty_typeEbEEZZNS1_14partition_implILS8_3ELb0ES6_jNS0_17counting_iteratorIjlEEPS9_SE_NS0_5tupleIJPjSE_EEENSF_IJSE_SE_EEES9_SG_JZNS1_25segmented_radix_sort_implINS0_14default_configELb0EPKsPsPKlPlN2at6native12_GLOBAL__N_18offset_tEEE10hipError_tPvRmT1_PNSt15iterator_traitsISY_E10value_typeET2_T3_PNSZ_IS14_E10value_typeET4_jRbjT5_S1A_jjP12ihipStream_tbEUljE_EEESV_SW_SX_S14_S18_S1A_T6_T7_T9_mT8_S1C_bDpT10_ENKUlT_T0_E_clISt17integral_constantIbLb0EES1O_IbLb1EEEEDaS1K_S1L_EUlS1K_E_NS1_11comp_targetILNS1_3genE3ELNS1_11target_archE908ELNS1_3gpuE7ELNS1_3repE0EEENS1_30default_config_static_selectorELNS0_4arch9wavefront6targetE0EEEvSY_.num_agpr, 0
	.set _ZN7rocprim17ROCPRIM_400000_NS6detail17trampoline_kernelINS0_13select_configILj256ELj13ELNS0_17block_load_methodE3ELS4_3ELS4_3ELNS0_20block_scan_algorithmE0ELj4294967295EEENS1_25partition_config_selectorILNS1_17partition_subalgoE3EjNS0_10empty_typeEbEEZZNS1_14partition_implILS8_3ELb0ES6_jNS0_17counting_iteratorIjlEEPS9_SE_NS0_5tupleIJPjSE_EEENSF_IJSE_SE_EEES9_SG_JZNS1_25segmented_radix_sort_implINS0_14default_configELb0EPKsPsPKlPlN2at6native12_GLOBAL__N_18offset_tEEE10hipError_tPvRmT1_PNSt15iterator_traitsISY_E10value_typeET2_T3_PNSZ_IS14_E10value_typeET4_jRbjT5_S1A_jjP12ihipStream_tbEUljE_EEESV_SW_SX_S14_S18_S1A_T6_T7_T9_mT8_S1C_bDpT10_ENKUlT_T0_E_clISt17integral_constantIbLb0EES1O_IbLb1EEEEDaS1K_S1L_EUlS1K_E_NS1_11comp_targetILNS1_3genE3ELNS1_11target_archE908ELNS1_3gpuE7ELNS1_3repE0EEENS1_30default_config_static_selectorELNS0_4arch9wavefront6targetE0EEEvSY_.numbered_sgpr, 0
	.set _ZN7rocprim17ROCPRIM_400000_NS6detail17trampoline_kernelINS0_13select_configILj256ELj13ELNS0_17block_load_methodE3ELS4_3ELS4_3ELNS0_20block_scan_algorithmE0ELj4294967295EEENS1_25partition_config_selectorILNS1_17partition_subalgoE3EjNS0_10empty_typeEbEEZZNS1_14partition_implILS8_3ELb0ES6_jNS0_17counting_iteratorIjlEEPS9_SE_NS0_5tupleIJPjSE_EEENSF_IJSE_SE_EEES9_SG_JZNS1_25segmented_radix_sort_implINS0_14default_configELb0EPKsPsPKlPlN2at6native12_GLOBAL__N_18offset_tEEE10hipError_tPvRmT1_PNSt15iterator_traitsISY_E10value_typeET2_T3_PNSZ_IS14_E10value_typeET4_jRbjT5_S1A_jjP12ihipStream_tbEUljE_EEESV_SW_SX_S14_S18_S1A_T6_T7_T9_mT8_S1C_bDpT10_ENKUlT_T0_E_clISt17integral_constantIbLb0EES1O_IbLb1EEEEDaS1K_S1L_EUlS1K_E_NS1_11comp_targetILNS1_3genE3ELNS1_11target_archE908ELNS1_3gpuE7ELNS1_3repE0EEENS1_30default_config_static_selectorELNS0_4arch9wavefront6targetE0EEEvSY_.num_named_barrier, 0
	.set _ZN7rocprim17ROCPRIM_400000_NS6detail17trampoline_kernelINS0_13select_configILj256ELj13ELNS0_17block_load_methodE3ELS4_3ELS4_3ELNS0_20block_scan_algorithmE0ELj4294967295EEENS1_25partition_config_selectorILNS1_17partition_subalgoE3EjNS0_10empty_typeEbEEZZNS1_14partition_implILS8_3ELb0ES6_jNS0_17counting_iteratorIjlEEPS9_SE_NS0_5tupleIJPjSE_EEENSF_IJSE_SE_EEES9_SG_JZNS1_25segmented_radix_sort_implINS0_14default_configELb0EPKsPsPKlPlN2at6native12_GLOBAL__N_18offset_tEEE10hipError_tPvRmT1_PNSt15iterator_traitsISY_E10value_typeET2_T3_PNSZ_IS14_E10value_typeET4_jRbjT5_S1A_jjP12ihipStream_tbEUljE_EEESV_SW_SX_S14_S18_S1A_T6_T7_T9_mT8_S1C_bDpT10_ENKUlT_T0_E_clISt17integral_constantIbLb0EES1O_IbLb1EEEEDaS1K_S1L_EUlS1K_E_NS1_11comp_targetILNS1_3genE3ELNS1_11target_archE908ELNS1_3gpuE7ELNS1_3repE0EEENS1_30default_config_static_selectorELNS0_4arch9wavefront6targetE0EEEvSY_.private_seg_size, 0
	.set _ZN7rocprim17ROCPRIM_400000_NS6detail17trampoline_kernelINS0_13select_configILj256ELj13ELNS0_17block_load_methodE3ELS4_3ELS4_3ELNS0_20block_scan_algorithmE0ELj4294967295EEENS1_25partition_config_selectorILNS1_17partition_subalgoE3EjNS0_10empty_typeEbEEZZNS1_14partition_implILS8_3ELb0ES6_jNS0_17counting_iteratorIjlEEPS9_SE_NS0_5tupleIJPjSE_EEENSF_IJSE_SE_EEES9_SG_JZNS1_25segmented_radix_sort_implINS0_14default_configELb0EPKsPsPKlPlN2at6native12_GLOBAL__N_18offset_tEEE10hipError_tPvRmT1_PNSt15iterator_traitsISY_E10value_typeET2_T3_PNSZ_IS14_E10value_typeET4_jRbjT5_S1A_jjP12ihipStream_tbEUljE_EEESV_SW_SX_S14_S18_S1A_T6_T7_T9_mT8_S1C_bDpT10_ENKUlT_T0_E_clISt17integral_constantIbLb0EES1O_IbLb1EEEEDaS1K_S1L_EUlS1K_E_NS1_11comp_targetILNS1_3genE3ELNS1_11target_archE908ELNS1_3gpuE7ELNS1_3repE0EEENS1_30default_config_static_selectorELNS0_4arch9wavefront6targetE0EEEvSY_.uses_vcc, 0
	.set _ZN7rocprim17ROCPRIM_400000_NS6detail17trampoline_kernelINS0_13select_configILj256ELj13ELNS0_17block_load_methodE3ELS4_3ELS4_3ELNS0_20block_scan_algorithmE0ELj4294967295EEENS1_25partition_config_selectorILNS1_17partition_subalgoE3EjNS0_10empty_typeEbEEZZNS1_14partition_implILS8_3ELb0ES6_jNS0_17counting_iteratorIjlEEPS9_SE_NS0_5tupleIJPjSE_EEENSF_IJSE_SE_EEES9_SG_JZNS1_25segmented_radix_sort_implINS0_14default_configELb0EPKsPsPKlPlN2at6native12_GLOBAL__N_18offset_tEEE10hipError_tPvRmT1_PNSt15iterator_traitsISY_E10value_typeET2_T3_PNSZ_IS14_E10value_typeET4_jRbjT5_S1A_jjP12ihipStream_tbEUljE_EEESV_SW_SX_S14_S18_S1A_T6_T7_T9_mT8_S1C_bDpT10_ENKUlT_T0_E_clISt17integral_constantIbLb0EES1O_IbLb1EEEEDaS1K_S1L_EUlS1K_E_NS1_11comp_targetILNS1_3genE3ELNS1_11target_archE908ELNS1_3gpuE7ELNS1_3repE0EEENS1_30default_config_static_selectorELNS0_4arch9wavefront6targetE0EEEvSY_.uses_flat_scratch, 0
	.set _ZN7rocprim17ROCPRIM_400000_NS6detail17trampoline_kernelINS0_13select_configILj256ELj13ELNS0_17block_load_methodE3ELS4_3ELS4_3ELNS0_20block_scan_algorithmE0ELj4294967295EEENS1_25partition_config_selectorILNS1_17partition_subalgoE3EjNS0_10empty_typeEbEEZZNS1_14partition_implILS8_3ELb0ES6_jNS0_17counting_iteratorIjlEEPS9_SE_NS0_5tupleIJPjSE_EEENSF_IJSE_SE_EEES9_SG_JZNS1_25segmented_radix_sort_implINS0_14default_configELb0EPKsPsPKlPlN2at6native12_GLOBAL__N_18offset_tEEE10hipError_tPvRmT1_PNSt15iterator_traitsISY_E10value_typeET2_T3_PNSZ_IS14_E10value_typeET4_jRbjT5_S1A_jjP12ihipStream_tbEUljE_EEESV_SW_SX_S14_S18_S1A_T6_T7_T9_mT8_S1C_bDpT10_ENKUlT_T0_E_clISt17integral_constantIbLb0EES1O_IbLb1EEEEDaS1K_S1L_EUlS1K_E_NS1_11comp_targetILNS1_3genE3ELNS1_11target_archE908ELNS1_3gpuE7ELNS1_3repE0EEENS1_30default_config_static_selectorELNS0_4arch9wavefront6targetE0EEEvSY_.has_dyn_sized_stack, 0
	.set _ZN7rocprim17ROCPRIM_400000_NS6detail17trampoline_kernelINS0_13select_configILj256ELj13ELNS0_17block_load_methodE3ELS4_3ELS4_3ELNS0_20block_scan_algorithmE0ELj4294967295EEENS1_25partition_config_selectorILNS1_17partition_subalgoE3EjNS0_10empty_typeEbEEZZNS1_14partition_implILS8_3ELb0ES6_jNS0_17counting_iteratorIjlEEPS9_SE_NS0_5tupleIJPjSE_EEENSF_IJSE_SE_EEES9_SG_JZNS1_25segmented_radix_sort_implINS0_14default_configELb0EPKsPsPKlPlN2at6native12_GLOBAL__N_18offset_tEEE10hipError_tPvRmT1_PNSt15iterator_traitsISY_E10value_typeET2_T3_PNSZ_IS14_E10value_typeET4_jRbjT5_S1A_jjP12ihipStream_tbEUljE_EEESV_SW_SX_S14_S18_S1A_T6_T7_T9_mT8_S1C_bDpT10_ENKUlT_T0_E_clISt17integral_constantIbLb0EES1O_IbLb1EEEEDaS1K_S1L_EUlS1K_E_NS1_11comp_targetILNS1_3genE3ELNS1_11target_archE908ELNS1_3gpuE7ELNS1_3repE0EEENS1_30default_config_static_selectorELNS0_4arch9wavefront6targetE0EEEvSY_.has_recursion, 0
	.set _ZN7rocprim17ROCPRIM_400000_NS6detail17trampoline_kernelINS0_13select_configILj256ELj13ELNS0_17block_load_methodE3ELS4_3ELS4_3ELNS0_20block_scan_algorithmE0ELj4294967295EEENS1_25partition_config_selectorILNS1_17partition_subalgoE3EjNS0_10empty_typeEbEEZZNS1_14partition_implILS8_3ELb0ES6_jNS0_17counting_iteratorIjlEEPS9_SE_NS0_5tupleIJPjSE_EEENSF_IJSE_SE_EEES9_SG_JZNS1_25segmented_radix_sort_implINS0_14default_configELb0EPKsPsPKlPlN2at6native12_GLOBAL__N_18offset_tEEE10hipError_tPvRmT1_PNSt15iterator_traitsISY_E10value_typeET2_T3_PNSZ_IS14_E10value_typeET4_jRbjT5_S1A_jjP12ihipStream_tbEUljE_EEESV_SW_SX_S14_S18_S1A_T6_T7_T9_mT8_S1C_bDpT10_ENKUlT_T0_E_clISt17integral_constantIbLb0EES1O_IbLb1EEEEDaS1K_S1L_EUlS1K_E_NS1_11comp_targetILNS1_3genE3ELNS1_11target_archE908ELNS1_3gpuE7ELNS1_3repE0EEENS1_30default_config_static_selectorELNS0_4arch9wavefront6targetE0EEEvSY_.has_indirect_call, 0
	.section	.AMDGPU.csdata,"",@progbits
; Kernel info:
; codeLenInByte = 0
; TotalNumSgprs: 0
; NumVgprs: 0
; ScratchSize: 0
; MemoryBound: 0
; FloatMode: 240
; IeeeMode: 1
; LDSByteSize: 0 bytes/workgroup (compile time only)
; SGPRBlocks: 0
; VGPRBlocks: 0
; NumSGPRsForWavesPerEU: 1
; NumVGPRsForWavesPerEU: 1
; Occupancy: 16
; WaveLimiterHint : 0
; COMPUTE_PGM_RSRC2:SCRATCH_EN: 0
; COMPUTE_PGM_RSRC2:USER_SGPR: 2
; COMPUTE_PGM_RSRC2:TRAP_HANDLER: 0
; COMPUTE_PGM_RSRC2:TGID_X_EN: 1
; COMPUTE_PGM_RSRC2:TGID_Y_EN: 0
; COMPUTE_PGM_RSRC2:TGID_Z_EN: 0
; COMPUTE_PGM_RSRC2:TIDIG_COMP_CNT: 0
	.section	.text._ZN7rocprim17ROCPRIM_400000_NS6detail17trampoline_kernelINS0_13select_configILj256ELj13ELNS0_17block_load_methodE3ELS4_3ELS4_3ELNS0_20block_scan_algorithmE0ELj4294967295EEENS1_25partition_config_selectorILNS1_17partition_subalgoE3EjNS0_10empty_typeEbEEZZNS1_14partition_implILS8_3ELb0ES6_jNS0_17counting_iteratorIjlEEPS9_SE_NS0_5tupleIJPjSE_EEENSF_IJSE_SE_EEES9_SG_JZNS1_25segmented_radix_sort_implINS0_14default_configELb0EPKsPsPKlPlN2at6native12_GLOBAL__N_18offset_tEEE10hipError_tPvRmT1_PNSt15iterator_traitsISY_E10value_typeET2_T3_PNSZ_IS14_E10value_typeET4_jRbjT5_S1A_jjP12ihipStream_tbEUljE_EEESV_SW_SX_S14_S18_S1A_T6_T7_T9_mT8_S1C_bDpT10_ENKUlT_T0_E_clISt17integral_constantIbLb0EES1O_IbLb1EEEEDaS1K_S1L_EUlS1K_E_NS1_11comp_targetILNS1_3genE2ELNS1_11target_archE906ELNS1_3gpuE6ELNS1_3repE0EEENS1_30default_config_static_selectorELNS0_4arch9wavefront6targetE0EEEvSY_,"axG",@progbits,_ZN7rocprim17ROCPRIM_400000_NS6detail17trampoline_kernelINS0_13select_configILj256ELj13ELNS0_17block_load_methodE3ELS4_3ELS4_3ELNS0_20block_scan_algorithmE0ELj4294967295EEENS1_25partition_config_selectorILNS1_17partition_subalgoE3EjNS0_10empty_typeEbEEZZNS1_14partition_implILS8_3ELb0ES6_jNS0_17counting_iteratorIjlEEPS9_SE_NS0_5tupleIJPjSE_EEENSF_IJSE_SE_EEES9_SG_JZNS1_25segmented_radix_sort_implINS0_14default_configELb0EPKsPsPKlPlN2at6native12_GLOBAL__N_18offset_tEEE10hipError_tPvRmT1_PNSt15iterator_traitsISY_E10value_typeET2_T3_PNSZ_IS14_E10value_typeET4_jRbjT5_S1A_jjP12ihipStream_tbEUljE_EEESV_SW_SX_S14_S18_S1A_T6_T7_T9_mT8_S1C_bDpT10_ENKUlT_T0_E_clISt17integral_constantIbLb0EES1O_IbLb1EEEEDaS1K_S1L_EUlS1K_E_NS1_11comp_targetILNS1_3genE2ELNS1_11target_archE906ELNS1_3gpuE6ELNS1_3repE0EEENS1_30default_config_static_selectorELNS0_4arch9wavefront6targetE0EEEvSY_,comdat
	.globl	_ZN7rocprim17ROCPRIM_400000_NS6detail17trampoline_kernelINS0_13select_configILj256ELj13ELNS0_17block_load_methodE3ELS4_3ELS4_3ELNS0_20block_scan_algorithmE0ELj4294967295EEENS1_25partition_config_selectorILNS1_17partition_subalgoE3EjNS0_10empty_typeEbEEZZNS1_14partition_implILS8_3ELb0ES6_jNS0_17counting_iteratorIjlEEPS9_SE_NS0_5tupleIJPjSE_EEENSF_IJSE_SE_EEES9_SG_JZNS1_25segmented_radix_sort_implINS0_14default_configELb0EPKsPsPKlPlN2at6native12_GLOBAL__N_18offset_tEEE10hipError_tPvRmT1_PNSt15iterator_traitsISY_E10value_typeET2_T3_PNSZ_IS14_E10value_typeET4_jRbjT5_S1A_jjP12ihipStream_tbEUljE_EEESV_SW_SX_S14_S18_S1A_T6_T7_T9_mT8_S1C_bDpT10_ENKUlT_T0_E_clISt17integral_constantIbLb0EES1O_IbLb1EEEEDaS1K_S1L_EUlS1K_E_NS1_11comp_targetILNS1_3genE2ELNS1_11target_archE906ELNS1_3gpuE6ELNS1_3repE0EEENS1_30default_config_static_selectorELNS0_4arch9wavefront6targetE0EEEvSY_ ; -- Begin function _ZN7rocprim17ROCPRIM_400000_NS6detail17trampoline_kernelINS0_13select_configILj256ELj13ELNS0_17block_load_methodE3ELS4_3ELS4_3ELNS0_20block_scan_algorithmE0ELj4294967295EEENS1_25partition_config_selectorILNS1_17partition_subalgoE3EjNS0_10empty_typeEbEEZZNS1_14partition_implILS8_3ELb0ES6_jNS0_17counting_iteratorIjlEEPS9_SE_NS0_5tupleIJPjSE_EEENSF_IJSE_SE_EEES9_SG_JZNS1_25segmented_radix_sort_implINS0_14default_configELb0EPKsPsPKlPlN2at6native12_GLOBAL__N_18offset_tEEE10hipError_tPvRmT1_PNSt15iterator_traitsISY_E10value_typeET2_T3_PNSZ_IS14_E10value_typeET4_jRbjT5_S1A_jjP12ihipStream_tbEUljE_EEESV_SW_SX_S14_S18_S1A_T6_T7_T9_mT8_S1C_bDpT10_ENKUlT_T0_E_clISt17integral_constantIbLb0EES1O_IbLb1EEEEDaS1K_S1L_EUlS1K_E_NS1_11comp_targetILNS1_3genE2ELNS1_11target_archE906ELNS1_3gpuE6ELNS1_3repE0EEENS1_30default_config_static_selectorELNS0_4arch9wavefront6targetE0EEEvSY_
	.p2align	8
	.type	_ZN7rocprim17ROCPRIM_400000_NS6detail17trampoline_kernelINS0_13select_configILj256ELj13ELNS0_17block_load_methodE3ELS4_3ELS4_3ELNS0_20block_scan_algorithmE0ELj4294967295EEENS1_25partition_config_selectorILNS1_17partition_subalgoE3EjNS0_10empty_typeEbEEZZNS1_14partition_implILS8_3ELb0ES6_jNS0_17counting_iteratorIjlEEPS9_SE_NS0_5tupleIJPjSE_EEENSF_IJSE_SE_EEES9_SG_JZNS1_25segmented_radix_sort_implINS0_14default_configELb0EPKsPsPKlPlN2at6native12_GLOBAL__N_18offset_tEEE10hipError_tPvRmT1_PNSt15iterator_traitsISY_E10value_typeET2_T3_PNSZ_IS14_E10value_typeET4_jRbjT5_S1A_jjP12ihipStream_tbEUljE_EEESV_SW_SX_S14_S18_S1A_T6_T7_T9_mT8_S1C_bDpT10_ENKUlT_T0_E_clISt17integral_constantIbLb0EES1O_IbLb1EEEEDaS1K_S1L_EUlS1K_E_NS1_11comp_targetILNS1_3genE2ELNS1_11target_archE906ELNS1_3gpuE6ELNS1_3repE0EEENS1_30default_config_static_selectorELNS0_4arch9wavefront6targetE0EEEvSY_,@function
_ZN7rocprim17ROCPRIM_400000_NS6detail17trampoline_kernelINS0_13select_configILj256ELj13ELNS0_17block_load_methodE3ELS4_3ELS4_3ELNS0_20block_scan_algorithmE0ELj4294967295EEENS1_25partition_config_selectorILNS1_17partition_subalgoE3EjNS0_10empty_typeEbEEZZNS1_14partition_implILS8_3ELb0ES6_jNS0_17counting_iteratorIjlEEPS9_SE_NS0_5tupleIJPjSE_EEENSF_IJSE_SE_EEES9_SG_JZNS1_25segmented_radix_sort_implINS0_14default_configELb0EPKsPsPKlPlN2at6native12_GLOBAL__N_18offset_tEEE10hipError_tPvRmT1_PNSt15iterator_traitsISY_E10value_typeET2_T3_PNSZ_IS14_E10value_typeET4_jRbjT5_S1A_jjP12ihipStream_tbEUljE_EEESV_SW_SX_S14_S18_S1A_T6_T7_T9_mT8_S1C_bDpT10_ENKUlT_T0_E_clISt17integral_constantIbLb0EES1O_IbLb1EEEEDaS1K_S1L_EUlS1K_E_NS1_11comp_targetILNS1_3genE2ELNS1_11target_archE906ELNS1_3gpuE6ELNS1_3repE0EEENS1_30default_config_static_selectorELNS0_4arch9wavefront6targetE0EEEvSY_: ; @_ZN7rocprim17ROCPRIM_400000_NS6detail17trampoline_kernelINS0_13select_configILj256ELj13ELNS0_17block_load_methodE3ELS4_3ELS4_3ELNS0_20block_scan_algorithmE0ELj4294967295EEENS1_25partition_config_selectorILNS1_17partition_subalgoE3EjNS0_10empty_typeEbEEZZNS1_14partition_implILS8_3ELb0ES6_jNS0_17counting_iteratorIjlEEPS9_SE_NS0_5tupleIJPjSE_EEENSF_IJSE_SE_EEES9_SG_JZNS1_25segmented_radix_sort_implINS0_14default_configELb0EPKsPsPKlPlN2at6native12_GLOBAL__N_18offset_tEEE10hipError_tPvRmT1_PNSt15iterator_traitsISY_E10value_typeET2_T3_PNSZ_IS14_E10value_typeET4_jRbjT5_S1A_jjP12ihipStream_tbEUljE_EEESV_SW_SX_S14_S18_S1A_T6_T7_T9_mT8_S1C_bDpT10_ENKUlT_T0_E_clISt17integral_constantIbLb0EES1O_IbLb1EEEEDaS1K_S1L_EUlS1K_E_NS1_11comp_targetILNS1_3genE2ELNS1_11target_archE906ELNS1_3gpuE6ELNS1_3repE0EEENS1_30default_config_static_selectorELNS0_4arch9wavefront6targetE0EEEvSY_
; %bb.0:
	.section	.rodata,"a",@progbits
	.p2align	6, 0x0
	.amdhsa_kernel _ZN7rocprim17ROCPRIM_400000_NS6detail17trampoline_kernelINS0_13select_configILj256ELj13ELNS0_17block_load_methodE3ELS4_3ELS4_3ELNS0_20block_scan_algorithmE0ELj4294967295EEENS1_25partition_config_selectorILNS1_17partition_subalgoE3EjNS0_10empty_typeEbEEZZNS1_14partition_implILS8_3ELb0ES6_jNS0_17counting_iteratorIjlEEPS9_SE_NS0_5tupleIJPjSE_EEENSF_IJSE_SE_EEES9_SG_JZNS1_25segmented_radix_sort_implINS0_14default_configELb0EPKsPsPKlPlN2at6native12_GLOBAL__N_18offset_tEEE10hipError_tPvRmT1_PNSt15iterator_traitsISY_E10value_typeET2_T3_PNSZ_IS14_E10value_typeET4_jRbjT5_S1A_jjP12ihipStream_tbEUljE_EEESV_SW_SX_S14_S18_S1A_T6_T7_T9_mT8_S1C_bDpT10_ENKUlT_T0_E_clISt17integral_constantIbLb0EES1O_IbLb1EEEEDaS1K_S1L_EUlS1K_E_NS1_11comp_targetILNS1_3genE2ELNS1_11target_archE906ELNS1_3gpuE6ELNS1_3repE0EEENS1_30default_config_static_selectorELNS0_4arch9wavefront6targetE0EEEvSY_
		.amdhsa_group_segment_fixed_size 0
		.amdhsa_private_segment_fixed_size 0
		.amdhsa_kernarg_size 152
		.amdhsa_user_sgpr_count 2
		.amdhsa_user_sgpr_dispatch_ptr 0
		.amdhsa_user_sgpr_queue_ptr 0
		.amdhsa_user_sgpr_kernarg_segment_ptr 1
		.amdhsa_user_sgpr_dispatch_id 0
		.amdhsa_user_sgpr_private_segment_size 0
		.amdhsa_wavefront_size32 1
		.amdhsa_uses_dynamic_stack 0
		.amdhsa_enable_private_segment 0
		.amdhsa_system_sgpr_workgroup_id_x 1
		.amdhsa_system_sgpr_workgroup_id_y 0
		.amdhsa_system_sgpr_workgroup_id_z 0
		.amdhsa_system_sgpr_workgroup_info 0
		.amdhsa_system_vgpr_workitem_id 0
		.amdhsa_next_free_vgpr 1
		.amdhsa_next_free_sgpr 1
		.amdhsa_reserve_vcc 0
		.amdhsa_float_round_mode_32 0
		.amdhsa_float_round_mode_16_64 0
		.amdhsa_float_denorm_mode_32 3
		.amdhsa_float_denorm_mode_16_64 3
		.amdhsa_fp16_overflow 0
		.amdhsa_workgroup_processor_mode 1
		.amdhsa_memory_ordered 1
		.amdhsa_forward_progress 1
		.amdhsa_inst_pref_size 0
		.amdhsa_round_robin_scheduling 0
		.amdhsa_exception_fp_ieee_invalid_op 0
		.amdhsa_exception_fp_denorm_src 0
		.amdhsa_exception_fp_ieee_div_zero 0
		.amdhsa_exception_fp_ieee_overflow 0
		.amdhsa_exception_fp_ieee_underflow 0
		.amdhsa_exception_fp_ieee_inexact 0
		.amdhsa_exception_int_div_zero 0
	.end_amdhsa_kernel
	.section	.text._ZN7rocprim17ROCPRIM_400000_NS6detail17trampoline_kernelINS0_13select_configILj256ELj13ELNS0_17block_load_methodE3ELS4_3ELS4_3ELNS0_20block_scan_algorithmE0ELj4294967295EEENS1_25partition_config_selectorILNS1_17partition_subalgoE3EjNS0_10empty_typeEbEEZZNS1_14partition_implILS8_3ELb0ES6_jNS0_17counting_iteratorIjlEEPS9_SE_NS0_5tupleIJPjSE_EEENSF_IJSE_SE_EEES9_SG_JZNS1_25segmented_radix_sort_implINS0_14default_configELb0EPKsPsPKlPlN2at6native12_GLOBAL__N_18offset_tEEE10hipError_tPvRmT1_PNSt15iterator_traitsISY_E10value_typeET2_T3_PNSZ_IS14_E10value_typeET4_jRbjT5_S1A_jjP12ihipStream_tbEUljE_EEESV_SW_SX_S14_S18_S1A_T6_T7_T9_mT8_S1C_bDpT10_ENKUlT_T0_E_clISt17integral_constantIbLb0EES1O_IbLb1EEEEDaS1K_S1L_EUlS1K_E_NS1_11comp_targetILNS1_3genE2ELNS1_11target_archE906ELNS1_3gpuE6ELNS1_3repE0EEENS1_30default_config_static_selectorELNS0_4arch9wavefront6targetE0EEEvSY_,"axG",@progbits,_ZN7rocprim17ROCPRIM_400000_NS6detail17trampoline_kernelINS0_13select_configILj256ELj13ELNS0_17block_load_methodE3ELS4_3ELS4_3ELNS0_20block_scan_algorithmE0ELj4294967295EEENS1_25partition_config_selectorILNS1_17partition_subalgoE3EjNS0_10empty_typeEbEEZZNS1_14partition_implILS8_3ELb0ES6_jNS0_17counting_iteratorIjlEEPS9_SE_NS0_5tupleIJPjSE_EEENSF_IJSE_SE_EEES9_SG_JZNS1_25segmented_radix_sort_implINS0_14default_configELb0EPKsPsPKlPlN2at6native12_GLOBAL__N_18offset_tEEE10hipError_tPvRmT1_PNSt15iterator_traitsISY_E10value_typeET2_T3_PNSZ_IS14_E10value_typeET4_jRbjT5_S1A_jjP12ihipStream_tbEUljE_EEESV_SW_SX_S14_S18_S1A_T6_T7_T9_mT8_S1C_bDpT10_ENKUlT_T0_E_clISt17integral_constantIbLb0EES1O_IbLb1EEEEDaS1K_S1L_EUlS1K_E_NS1_11comp_targetILNS1_3genE2ELNS1_11target_archE906ELNS1_3gpuE6ELNS1_3repE0EEENS1_30default_config_static_selectorELNS0_4arch9wavefront6targetE0EEEvSY_,comdat
.Lfunc_end1010:
	.size	_ZN7rocprim17ROCPRIM_400000_NS6detail17trampoline_kernelINS0_13select_configILj256ELj13ELNS0_17block_load_methodE3ELS4_3ELS4_3ELNS0_20block_scan_algorithmE0ELj4294967295EEENS1_25partition_config_selectorILNS1_17partition_subalgoE3EjNS0_10empty_typeEbEEZZNS1_14partition_implILS8_3ELb0ES6_jNS0_17counting_iteratorIjlEEPS9_SE_NS0_5tupleIJPjSE_EEENSF_IJSE_SE_EEES9_SG_JZNS1_25segmented_radix_sort_implINS0_14default_configELb0EPKsPsPKlPlN2at6native12_GLOBAL__N_18offset_tEEE10hipError_tPvRmT1_PNSt15iterator_traitsISY_E10value_typeET2_T3_PNSZ_IS14_E10value_typeET4_jRbjT5_S1A_jjP12ihipStream_tbEUljE_EEESV_SW_SX_S14_S18_S1A_T6_T7_T9_mT8_S1C_bDpT10_ENKUlT_T0_E_clISt17integral_constantIbLb0EES1O_IbLb1EEEEDaS1K_S1L_EUlS1K_E_NS1_11comp_targetILNS1_3genE2ELNS1_11target_archE906ELNS1_3gpuE6ELNS1_3repE0EEENS1_30default_config_static_selectorELNS0_4arch9wavefront6targetE0EEEvSY_, .Lfunc_end1010-_ZN7rocprim17ROCPRIM_400000_NS6detail17trampoline_kernelINS0_13select_configILj256ELj13ELNS0_17block_load_methodE3ELS4_3ELS4_3ELNS0_20block_scan_algorithmE0ELj4294967295EEENS1_25partition_config_selectorILNS1_17partition_subalgoE3EjNS0_10empty_typeEbEEZZNS1_14partition_implILS8_3ELb0ES6_jNS0_17counting_iteratorIjlEEPS9_SE_NS0_5tupleIJPjSE_EEENSF_IJSE_SE_EEES9_SG_JZNS1_25segmented_radix_sort_implINS0_14default_configELb0EPKsPsPKlPlN2at6native12_GLOBAL__N_18offset_tEEE10hipError_tPvRmT1_PNSt15iterator_traitsISY_E10value_typeET2_T3_PNSZ_IS14_E10value_typeET4_jRbjT5_S1A_jjP12ihipStream_tbEUljE_EEESV_SW_SX_S14_S18_S1A_T6_T7_T9_mT8_S1C_bDpT10_ENKUlT_T0_E_clISt17integral_constantIbLb0EES1O_IbLb1EEEEDaS1K_S1L_EUlS1K_E_NS1_11comp_targetILNS1_3genE2ELNS1_11target_archE906ELNS1_3gpuE6ELNS1_3repE0EEENS1_30default_config_static_selectorELNS0_4arch9wavefront6targetE0EEEvSY_
                                        ; -- End function
	.set _ZN7rocprim17ROCPRIM_400000_NS6detail17trampoline_kernelINS0_13select_configILj256ELj13ELNS0_17block_load_methodE3ELS4_3ELS4_3ELNS0_20block_scan_algorithmE0ELj4294967295EEENS1_25partition_config_selectorILNS1_17partition_subalgoE3EjNS0_10empty_typeEbEEZZNS1_14partition_implILS8_3ELb0ES6_jNS0_17counting_iteratorIjlEEPS9_SE_NS0_5tupleIJPjSE_EEENSF_IJSE_SE_EEES9_SG_JZNS1_25segmented_radix_sort_implINS0_14default_configELb0EPKsPsPKlPlN2at6native12_GLOBAL__N_18offset_tEEE10hipError_tPvRmT1_PNSt15iterator_traitsISY_E10value_typeET2_T3_PNSZ_IS14_E10value_typeET4_jRbjT5_S1A_jjP12ihipStream_tbEUljE_EEESV_SW_SX_S14_S18_S1A_T6_T7_T9_mT8_S1C_bDpT10_ENKUlT_T0_E_clISt17integral_constantIbLb0EES1O_IbLb1EEEEDaS1K_S1L_EUlS1K_E_NS1_11comp_targetILNS1_3genE2ELNS1_11target_archE906ELNS1_3gpuE6ELNS1_3repE0EEENS1_30default_config_static_selectorELNS0_4arch9wavefront6targetE0EEEvSY_.num_vgpr, 0
	.set _ZN7rocprim17ROCPRIM_400000_NS6detail17trampoline_kernelINS0_13select_configILj256ELj13ELNS0_17block_load_methodE3ELS4_3ELS4_3ELNS0_20block_scan_algorithmE0ELj4294967295EEENS1_25partition_config_selectorILNS1_17partition_subalgoE3EjNS0_10empty_typeEbEEZZNS1_14partition_implILS8_3ELb0ES6_jNS0_17counting_iteratorIjlEEPS9_SE_NS0_5tupleIJPjSE_EEENSF_IJSE_SE_EEES9_SG_JZNS1_25segmented_radix_sort_implINS0_14default_configELb0EPKsPsPKlPlN2at6native12_GLOBAL__N_18offset_tEEE10hipError_tPvRmT1_PNSt15iterator_traitsISY_E10value_typeET2_T3_PNSZ_IS14_E10value_typeET4_jRbjT5_S1A_jjP12ihipStream_tbEUljE_EEESV_SW_SX_S14_S18_S1A_T6_T7_T9_mT8_S1C_bDpT10_ENKUlT_T0_E_clISt17integral_constantIbLb0EES1O_IbLb1EEEEDaS1K_S1L_EUlS1K_E_NS1_11comp_targetILNS1_3genE2ELNS1_11target_archE906ELNS1_3gpuE6ELNS1_3repE0EEENS1_30default_config_static_selectorELNS0_4arch9wavefront6targetE0EEEvSY_.num_agpr, 0
	.set _ZN7rocprim17ROCPRIM_400000_NS6detail17trampoline_kernelINS0_13select_configILj256ELj13ELNS0_17block_load_methodE3ELS4_3ELS4_3ELNS0_20block_scan_algorithmE0ELj4294967295EEENS1_25partition_config_selectorILNS1_17partition_subalgoE3EjNS0_10empty_typeEbEEZZNS1_14partition_implILS8_3ELb0ES6_jNS0_17counting_iteratorIjlEEPS9_SE_NS0_5tupleIJPjSE_EEENSF_IJSE_SE_EEES9_SG_JZNS1_25segmented_radix_sort_implINS0_14default_configELb0EPKsPsPKlPlN2at6native12_GLOBAL__N_18offset_tEEE10hipError_tPvRmT1_PNSt15iterator_traitsISY_E10value_typeET2_T3_PNSZ_IS14_E10value_typeET4_jRbjT5_S1A_jjP12ihipStream_tbEUljE_EEESV_SW_SX_S14_S18_S1A_T6_T7_T9_mT8_S1C_bDpT10_ENKUlT_T0_E_clISt17integral_constantIbLb0EES1O_IbLb1EEEEDaS1K_S1L_EUlS1K_E_NS1_11comp_targetILNS1_3genE2ELNS1_11target_archE906ELNS1_3gpuE6ELNS1_3repE0EEENS1_30default_config_static_selectorELNS0_4arch9wavefront6targetE0EEEvSY_.numbered_sgpr, 0
	.set _ZN7rocprim17ROCPRIM_400000_NS6detail17trampoline_kernelINS0_13select_configILj256ELj13ELNS0_17block_load_methodE3ELS4_3ELS4_3ELNS0_20block_scan_algorithmE0ELj4294967295EEENS1_25partition_config_selectorILNS1_17partition_subalgoE3EjNS0_10empty_typeEbEEZZNS1_14partition_implILS8_3ELb0ES6_jNS0_17counting_iteratorIjlEEPS9_SE_NS0_5tupleIJPjSE_EEENSF_IJSE_SE_EEES9_SG_JZNS1_25segmented_radix_sort_implINS0_14default_configELb0EPKsPsPKlPlN2at6native12_GLOBAL__N_18offset_tEEE10hipError_tPvRmT1_PNSt15iterator_traitsISY_E10value_typeET2_T3_PNSZ_IS14_E10value_typeET4_jRbjT5_S1A_jjP12ihipStream_tbEUljE_EEESV_SW_SX_S14_S18_S1A_T6_T7_T9_mT8_S1C_bDpT10_ENKUlT_T0_E_clISt17integral_constantIbLb0EES1O_IbLb1EEEEDaS1K_S1L_EUlS1K_E_NS1_11comp_targetILNS1_3genE2ELNS1_11target_archE906ELNS1_3gpuE6ELNS1_3repE0EEENS1_30default_config_static_selectorELNS0_4arch9wavefront6targetE0EEEvSY_.num_named_barrier, 0
	.set _ZN7rocprim17ROCPRIM_400000_NS6detail17trampoline_kernelINS0_13select_configILj256ELj13ELNS0_17block_load_methodE3ELS4_3ELS4_3ELNS0_20block_scan_algorithmE0ELj4294967295EEENS1_25partition_config_selectorILNS1_17partition_subalgoE3EjNS0_10empty_typeEbEEZZNS1_14partition_implILS8_3ELb0ES6_jNS0_17counting_iteratorIjlEEPS9_SE_NS0_5tupleIJPjSE_EEENSF_IJSE_SE_EEES9_SG_JZNS1_25segmented_radix_sort_implINS0_14default_configELb0EPKsPsPKlPlN2at6native12_GLOBAL__N_18offset_tEEE10hipError_tPvRmT1_PNSt15iterator_traitsISY_E10value_typeET2_T3_PNSZ_IS14_E10value_typeET4_jRbjT5_S1A_jjP12ihipStream_tbEUljE_EEESV_SW_SX_S14_S18_S1A_T6_T7_T9_mT8_S1C_bDpT10_ENKUlT_T0_E_clISt17integral_constantIbLb0EES1O_IbLb1EEEEDaS1K_S1L_EUlS1K_E_NS1_11comp_targetILNS1_3genE2ELNS1_11target_archE906ELNS1_3gpuE6ELNS1_3repE0EEENS1_30default_config_static_selectorELNS0_4arch9wavefront6targetE0EEEvSY_.private_seg_size, 0
	.set _ZN7rocprim17ROCPRIM_400000_NS6detail17trampoline_kernelINS0_13select_configILj256ELj13ELNS0_17block_load_methodE3ELS4_3ELS4_3ELNS0_20block_scan_algorithmE0ELj4294967295EEENS1_25partition_config_selectorILNS1_17partition_subalgoE3EjNS0_10empty_typeEbEEZZNS1_14partition_implILS8_3ELb0ES6_jNS0_17counting_iteratorIjlEEPS9_SE_NS0_5tupleIJPjSE_EEENSF_IJSE_SE_EEES9_SG_JZNS1_25segmented_radix_sort_implINS0_14default_configELb0EPKsPsPKlPlN2at6native12_GLOBAL__N_18offset_tEEE10hipError_tPvRmT1_PNSt15iterator_traitsISY_E10value_typeET2_T3_PNSZ_IS14_E10value_typeET4_jRbjT5_S1A_jjP12ihipStream_tbEUljE_EEESV_SW_SX_S14_S18_S1A_T6_T7_T9_mT8_S1C_bDpT10_ENKUlT_T0_E_clISt17integral_constantIbLb0EES1O_IbLb1EEEEDaS1K_S1L_EUlS1K_E_NS1_11comp_targetILNS1_3genE2ELNS1_11target_archE906ELNS1_3gpuE6ELNS1_3repE0EEENS1_30default_config_static_selectorELNS0_4arch9wavefront6targetE0EEEvSY_.uses_vcc, 0
	.set _ZN7rocprim17ROCPRIM_400000_NS6detail17trampoline_kernelINS0_13select_configILj256ELj13ELNS0_17block_load_methodE3ELS4_3ELS4_3ELNS0_20block_scan_algorithmE0ELj4294967295EEENS1_25partition_config_selectorILNS1_17partition_subalgoE3EjNS0_10empty_typeEbEEZZNS1_14partition_implILS8_3ELb0ES6_jNS0_17counting_iteratorIjlEEPS9_SE_NS0_5tupleIJPjSE_EEENSF_IJSE_SE_EEES9_SG_JZNS1_25segmented_radix_sort_implINS0_14default_configELb0EPKsPsPKlPlN2at6native12_GLOBAL__N_18offset_tEEE10hipError_tPvRmT1_PNSt15iterator_traitsISY_E10value_typeET2_T3_PNSZ_IS14_E10value_typeET4_jRbjT5_S1A_jjP12ihipStream_tbEUljE_EEESV_SW_SX_S14_S18_S1A_T6_T7_T9_mT8_S1C_bDpT10_ENKUlT_T0_E_clISt17integral_constantIbLb0EES1O_IbLb1EEEEDaS1K_S1L_EUlS1K_E_NS1_11comp_targetILNS1_3genE2ELNS1_11target_archE906ELNS1_3gpuE6ELNS1_3repE0EEENS1_30default_config_static_selectorELNS0_4arch9wavefront6targetE0EEEvSY_.uses_flat_scratch, 0
	.set _ZN7rocprim17ROCPRIM_400000_NS6detail17trampoline_kernelINS0_13select_configILj256ELj13ELNS0_17block_load_methodE3ELS4_3ELS4_3ELNS0_20block_scan_algorithmE0ELj4294967295EEENS1_25partition_config_selectorILNS1_17partition_subalgoE3EjNS0_10empty_typeEbEEZZNS1_14partition_implILS8_3ELb0ES6_jNS0_17counting_iteratorIjlEEPS9_SE_NS0_5tupleIJPjSE_EEENSF_IJSE_SE_EEES9_SG_JZNS1_25segmented_radix_sort_implINS0_14default_configELb0EPKsPsPKlPlN2at6native12_GLOBAL__N_18offset_tEEE10hipError_tPvRmT1_PNSt15iterator_traitsISY_E10value_typeET2_T3_PNSZ_IS14_E10value_typeET4_jRbjT5_S1A_jjP12ihipStream_tbEUljE_EEESV_SW_SX_S14_S18_S1A_T6_T7_T9_mT8_S1C_bDpT10_ENKUlT_T0_E_clISt17integral_constantIbLb0EES1O_IbLb1EEEEDaS1K_S1L_EUlS1K_E_NS1_11comp_targetILNS1_3genE2ELNS1_11target_archE906ELNS1_3gpuE6ELNS1_3repE0EEENS1_30default_config_static_selectorELNS0_4arch9wavefront6targetE0EEEvSY_.has_dyn_sized_stack, 0
	.set _ZN7rocprim17ROCPRIM_400000_NS6detail17trampoline_kernelINS0_13select_configILj256ELj13ELNS0_17block_load_methodE3ELS4_3ELS4_3ELNS0_20block_scan_algorithmE0ELj4294967295EEENS1_25partition_config_selectorILNS1_17partition_subalgoE3EjNS0_10empty_typeEbEEZZNS1_14partition_implILS8_3ELb0ES6_jNS0_17counting_iteratorIjlEEPS9_SE_NS0_5tupleIJPjSE_EEENSF_IJSE_SE_EEES9_SG_JZNS1_25segmented_radix_sort_implINS0_14default_configELb0EPKsPsPKlPlN2at6native12_GLOBAL__N_18offset_tEEE10hipError_tPvRmT1_PNSt15iterator_traitsISY_E10value_typeET2_T3_PNSZ_IS14_E10value_typeET4_jRbjT5_S1A_jjP12ihipStream_tbEUljE_EEESV_SW_SX_S14_S18_S1A_T6_T7_T9_mT8_S1C_bDpT10_ENKUlT_T0_E_clISt17integral_constantIbLb0EES1O_IbLb1EEEEDaS1K_S1L_EUlS1K_E_NS1_11comp_targetILNS1_3genE2ELNS1_11target_archE906ELNS1_3gpuE6ELNS1_3repE0EEENS1_30default_config_static_selectorELNS0_4arch9wavefront6targetE0EEEvSY_.has_recursion, 0
	.set _ZN7rocprim17ROCPRIM_400000_NS6detail17trampoline_kernelINS0_13select_configILj256ELj13ELNS0_17block_load_methodE3ELS4_3ELS4_3ELNS0_20block_scan_algorithmE0ELj4294967295EEENS1_25partition_config_selectorILNS1_17partition_subalgoE3EjNS0_10empty_typeEbEEZZNS1_14partition_implILS8_3ELb0ES6_jNS0_17counting_iteratorIjlEEPS9_SE_NS0_5tupleIJPjSE_EEENSF_IJSE_SE_EEES9_SG_JZNS1_25segmented_radix_sort_implINS0_14default_configELb0EPKsPsPKlPlN2at6native12_GLOBAL__N_18offset_tEEE10hipError_tPvRmT1_PNSt15iterator_traitsISY_E10value_typeET2_T3_PNSZ_IS14_E10value_typeET4_jRbjT5_S1A_jjP12ihipStream_tbEUljE_EEESV_SW_SX_S14_S18_S1A_T6_T7_T9_mT8_S1C_bDpT10_ENKUlT_T0_E_clISt17integral_constantIbLb0EES1O_IbLb1EEEEDaS1K_S1L_EUlS1K_E_NS1_11comp_targetILNS1_3genE2ELNS1_11target_archE906ELNS1_3gpuE6ELNS1_3repE0EEENS1_30default_config_static_selectorELNS0_4arch9wavefront6targetE0EEEvSY_.has_indirect_call, 0
	.section	.AMDGPU.csdata,"",@progbits
; Kernel info:
; codeLenInByte = 0
; TotalNumSgprs: 0
; NumVgprs: 0
; ScratchSize: 0
; MemoryBound: 0
; FloatMode: 240
; IeeeMode: 1
; LDSByteSize: 0 bytes/workgroup (compile time only)
; SGPRBlocks: 0
; VGPRBlocks: 0
; NumSGPRsForWavesPerEU: 1
; NumVGPRsForWavesPerEU: 1
; Occupancy: 16
; WaveLimiterHint : 0
; COMPUTE_PGM_RSRC2:SCRATCH_EN: 0
; COMPUTE_PGM_RSRC2:USER_SGPR: 2
; COMPUTE_PGM_RSRC2:TRAP_HANDLER: 0
; COMPUTE_PGM_RSRC2:TGID_X_EN: 1
; COMPUTE_PGM_RSRC2:TGID_Y_EN: 0
; COMPUTE_PGM_RSRC2:TGID_Z_EN: 0
; COMPUTE_PGM_RSRC2:TIDIG_COMP_CNT: 0
	.section	.text._ZN7rocprim17ROCPRIM_400000_NS6detail17trampoline_kernelINS0_13select_configILj256ELj13ELNS0_17block_load_methodE3ELS4_3ELS4_3ELNS0_20block_scan_algorithmE0ELj4294967295EEENS1_25partition_config_selectorILNS1_17partition_subalgoE3EjNS0_10empty_typeEbEEZZNS1_14partition_implILS8_3ELb0ES6_jNS0_17counting_iteratorIjlEEPS9_SE_NS0_5tupleIJPjSE_EEENSF_IJSE_SE_EEES9_SG_JZNS1_25segmented_radix_sort_implINS0_14default_configELb0EPKsPsPKlPlN2at6native12_GLOBAL__N_18offset_tEEE10hipError_tPvRmT1_PNSt15iterator_traitsISY_E10value_typeET2_T3_PNSZ_IS14_E10value_typeET4_jRbjT5_S1A_jjP12ihipStream_tbEUljE_EEESV_SW_SX_S14_S18_S1A_T6_T7_T9_mT8_S1C_bDpT10_ENKUlT_T0_E_clISt17integral_constantIbLb0EES1O_IbLb1EEEEDaS1K_S1L_EUlS1K_E_NS1_11comp_targetILNS1_3genE10ELNS1_11target_archE1200ELNS1_3gpuE4ELNS1_3repE0EEENS1_30default_config_static_selectorELNS0_4arch9wavefront6targetE0EEEvSY_,"axG",@progbits,_ZN7rocprim17ROCPRIM_400000_NS6detail17trampoline_kernelINS0_13select_configILj256ELj13ELNS0_17block_load_methodE3ELS4_3ELS4_3ELNS0_20block_scan_algorithmE0ELj4294967295EEENS1_25partition_config_selectorILNS1_17partition_subalgoE3EjNS0_10empty_typeEbEEZZNS1_14partition_implILS8_3ELb0ES6_jNS0_17counting_iteratorIjlEEPS9_SE_NS0_5tupleIJPjSE_EEENSF_IJSE_SE_EEES9_SG_JZNS1_25segmented_radix_sort_implINS0_14default_configELb0EPKsPsPKlPlN2at6native12_GLOBAL__N_18offset_tEEE10hipError_tPvRmT1_PNSt15iterator_traitsISY_E10value_typeET2_T3_PNSZ_IS14_E10value_typeET4_jRbjT5_S1A_jjP12ihipStream_tbEUljE_EEESV_SW_SX_S14_S18_S1A_T6_T7_T9_mT8_S1C_bDpT10_ENKUlT_T0_E_clISt17integral_constantIbLb0EES1O_IbLb1EEEEDaS1K_S1L_EUlS1K_E_NS1_11comp_targetILNS1_3genE10ELNS1_11target_archE1200ELNS1_3gpuE4ELNS1_3repE0EEENS1_30default_config_static_selectorELNS0_4arch9wavefront6targetE0EEEvSY_,comdat
	.globl	_ZN7rocprim17ROCPRIM_400000_NS6detail17trampoline_kernelINS0_13select_configILj256ELj13ELNS0_17block_load_methodE3ELS4_3ELS4_3ELNS0_20block_scan_algorithmE0ELj4294967295EEENS1_25partition_config_selectorILNS1_17partition_subalgoE3EjNS0_10empty_typeEbEEZZNS1_14partition_implILS8_3ELb0ES6_jNS0_17counting_iteratorIjlEEPS9_SE_NS0_5tupleIJPjSE_EEENSF_IJSE_SE_EEES9_SG_JZNS1_25segmented_radix_sort_implINS0_14default_configELb0EPKsPsPKlPlN2at6native12_GLOBAL__N_18offset_tEEE10hipError_tPvRmT1_PNSt15iterator_traitsISY_E10value_typeET2_T3_PNSZ_IS14_E10value_typeET4_jRbjT5_S1A_jjP12ihipStream_tbEUljE_EEESV_SW_SX_S14_S18_S1A_T6_T7_T9_mT8_S1C_bDpT10_ENKUlT_T0_E_clISt17integral_constantIbLb0EES1O_IbLb1EEEEDaS1K_S1L_EUlS1K_E_NS1_11comp_targetILNS1_3genE10ELNS1_11target_archE1200ELNS1_3gpuE4ELNS1_3repE0EEENS1_30default_config_static_selectorELNS0_4arch9wavefront6targetE0EEEvSY_ ; -- Begin function _ZN7rocprim17ROCPRIM_400000_NS6detail17trampoline_kernelINS0_13select_configILj256ELj13ELNS0_17block_load_methodE3ELS4_3ELS4_3ELNS0_20block_scan_algorithmE0ELj4294967295EEENS1_25partition_config_selectorILNS1_17partition_subalgoE3EjNS0_10empty_typeEbEEZZNS1_14partition_implILS8_3ELb0ES6_jNS0_17counting_iteratorIjlEEPS9_SE_NS0_5tupleIJPjSE_EEENSF_IJSE_SE_EEES9_SG_JZNS1_25segmented_radix_sort_implINS0_14default_configELb0EPKsPsPKlPlN2at6native12_GLOBAL__N_18offset_tEEE10hipError_tPvRmT1_PNSt15iterator_traitsISY_E10value_typeET2_T3_PNSZ_IS14_E10value_typeET4_jRbjT5_S1A_jjP12ihipStream_tbEUljE_EEESV_SW_SX_S14_S18_S1A_T6_T7_T9_mT8_S1C_bDpT10_ENKUlT_T0_E_clISt17integral_constantIbLb0EES1O_IbLb1EEEEDaS1K_S1L_EUlS1K_E_NS1_11comp_targetILNS1_3genE10ELNS1_11target_archE1200ELNS1_3gpuE4ELNS1_3repE0EEENS1_30default_config_static_selectorELNS0_4arch9wavefront6targetE0EEEvSY_
	.p2align	8
	.type	_ZN7rocprim17ROCPRIM_400000_NS6detail17trampoline_kernelINS0_13select_configILj256ELj13ELNS0_17block_load_methodE3ELS4_3ELS4_3ELNS0_20block_scan_algorithmE0ELj4294967295EEENS1_25partition_config_selectorILNS1_17partition_subalgoE3EjNS0_10empty_typeEbEEZZNS1_14partition_implILS8_3ELb0ES6_jNS0_17counting_iteratorIjlEEPS9_SE_NS0_5tupleIJPjSE_EEENSF_IJSE_SE_EEES9_SG_JZNS1_25segmented_radix_sort_implINS0_14default_configELb0EPKsPsPKlPlN2at6native12_GLOBAL__N_18offset_tEEE10hipError_tPvRmT1_PNSt15iterator_traitsISY_E10value_typeET2_T3_PNSZ_IS14_E10value_typeET4_jRbjT5_S1A_jjP12ihipStream_tbEUljE_EEESV_SW_SX_S14_S18_S1A_T6_T7_T9_mT8_S1C_bDpT10_ENKUlT_T0_E_clISt17integral_constantIbLb0EES1O_IbLb1EEEEDaS1K_S1L_EUlS1K_E_NS1_11comp_targetILNS1_3genE10ELNS1_11target_archE1200ELNS1_3gpuE4ELNS1_3repE0EEENS1_30default_config_static_selectorELNS0_4arch9wavefront6targetE0EEEvSY_,@function
_ZN7rocprim17ROCPRIM_400000_NS6detail17trampoline_kernelINS0_13select_configILj256ELj13ELNS0_17block_load_methodE3ELS4_3ELS4_3ELNS0_20block_scan_algorithmE0ELj4294967295EEENS1_25partition_config_selectorILNS1_17partition_subalgoE3EjNS0_10empty_typeEbEEZZNS1_14partition_implILS8_3ELb0ES6_jNS0_17counting_iteratorIjlEEPS9_SE_NS0_5tupleIJPjSE_EEENSF_IJSE_SE_EEES9_SG_JZNS1_25segmented_radix_sort_implINS0_14default_configELb0EPKsPsPKlPlN2at6native12_GLOBAL__N_18offset_tEEE10hipError_tPvRmT1_PNSt15iterator_traitsISY_E10value_typeET2_T3_PNSZ_IS14_E10value_typeET4_jRbjT5_S1A_jjP12ihipStream_tbEUljE_EEESV_SW_SX_S14_S18_S1A_T6_T7_T9_mT8_S1C_bDpT10_ENKUlT_T0_E_clISt17integral_constantIbLb0EES1O_IbLb1EEEEDaS1K_S1L_EUlS1K_E_NS1_11comp_targetILNS1_3genE10ELNS1_11target_archE1200ELNS1_3gpuE4ELNS1_3repE0EEENS1_30default_config_static_selectorELNS0_4arch9wavefront6targetE0EEEvSY_: ; @_ZN7rocprim17ROCPRIM_400000_NS6detail17trampoline_kernelINS0_13select_configILj256ELj13ELNS0_17block_load_methodE3ELS4_3ELS4_3ELNS0_20block_scan_algorithmE0ELj4294967295EEENS1_25partition_config_selectorILNS1_17partition_subalgoE3EjNS0_10empty_typeEbEEZZNS1_14partition_implILS8_3ELb0ES6_jNS0_17counting_iteratorIjlEEPS9_SE_NS0_5tupleIJPjSE_EEENSF_IJSE_SE_EEES9_SG_JZNS1_25segmented_radix_sort_implINS0_14default_configELb0EPKsPsPKlPlN2at6native12_GLOBAL__N_18offset_tEEE10hipError_tPvRmT1_PNSt15iterator_traitsISY_E10value_typeET2_T3_PNSZ_IS14_E10value_typeET4_jRbjT5_S1A_jjP12ihipStream_tbEUljE_EEESV_SW_SX_S14_S18_S1A_T6_T7_T9_mT8_S1C_bDpT10_ENKUlT_T0_E_clISt17integral_constantIbLb0EES1O_IbLb1EEEEDaS1K_S1L_EUlS1K_E_NS1_11comp_targetILNS1_3genE10ELNS1_11target_archE1200ELNS1_3gpuE4ELNS1_3repE0EEENS1_30default_config_static_selectorELNS0_4arch9wavefront6targetE0EEEvSY_
; %bb.0:
	s_clause 0x6
	s_load_b64 s[16:17], s[0:1], 0x10
	s_load_b64 s[10:11], s[0:1], 0x28
	;; [unrolled: 1-line block ×3, first 2 shown]
	s_load_b128 s[12:15], s[0:1], 0x48
	s_load_b32 s3, s[0:1], 0x90
	s_load_b64 s[20:21], s[0:1], 0x68
	s_load_b128 s[4:7], s[0:1], 0x80
	v_cmp_eq_u32_e64 s2, 0, v0
	s_and_saveexec_b32 s8, s2
	s_cbranch_execz .LBB1011_4
; %bb.1:
	s_mov_b32 s22, exec_lo
	s_mov_b32 s9, exec_lo
	v_mbcnt_lo_u32_b32 v1, s22, 0
                                        ; implicit-def: $vgpr2
	s_delay_alu instid0(VALU_DEP_1)
	v_cmpx_eq_u32_e32 0, v1
	s_cbranch_execz .LBB1011_3
; %bb.2:
	s_load_b64 s[24:25], s[0:1], 0x78
	s_bcnt1_i32_b32 s22, s22
	s_wait_alu 0xfffe
	v_dual_mov_b32 v2, 0 :: v_dual_mov_b32 v3, s22
	s_wait_kmcnt 0x0
	global_atomic_add_u32 v2, v2, v3, s[24:25] th:TH_ATOMIC_RETURN scope:SCOPE_DEV
.LBB1011_3:
	s_or_b32 exec_lo, exec_lo, s9
	s_wait_loadcnt 0x0
	v_readfirstlane_b32 s9, v2
	s_delay_alu instid0(VALU_DEP_1)
	v_dual_mov_b32 v2, 0 :: v_dual_add_nc_u32 v1, s9, v1
	ds_store_b32 v2, v1
.LBB1011_4:
	s_or_b32 exec_lo, exec_lo, s8
	v_mov_b32_e32 v1, 0
	s_clause 0x1
	s_load_b32 s8, s[0:1], 0x8
	s_load_b32 s0, s[0:1], 0x70
	s_wait_dscnt 0x0
	s_barrier_signal -1
	s_barrier_wait -1
	global_inv scope:SCOPE_SE
	ds_load_b32 v2, v1
	s_wait_loadcnt_dscnt 0x0
	s_barrier_signal -1
	s_barrier_wait -1
	global_inv scope:SCOPE_SE
	s_wait_kmcnt 0x0
	global_load_b64 v[17:18], v1, s[14:15]
	s_mov_b32 s1, 0
	v_lshlrev_b32_e32 v45, 2, v0
	s_mov_b32 s23, -1
	s_add_co_i32 s8, s8, s16
	s_add_co_i32 s9, s0, -1
	s_mulk_i32 s0, 0xd00
	s_delay_alu instid0(SALU_CYCLE_1)
	s_add_co_i32 s14, s0, s16
	s_add_nc_u64 s[0:1], s[16:17], s[0:1]
	v_readfirstlane_b32 s15, v2
	v_cmp_gt_u64_e64 s0, s[18:19], s[0:1]
	s_sub_co_i32 s22, s18, s14
	s_wait_alu 0xfffe
	v_cmp_ne_u32_e32 vcc_lo, s9, v2
	s_addk_co_i32 s22, 0xd00
	s_cmp_eq_u32 s15, s9
	s_mul_i32 s14, s15, 0xd00
	s_cselect_b32 s9, -1, 0
	s_or_b32 s1, s0, vcc_lo
	s_wait_alu 0xfffe
	s_and_b32 vcc_lo, exec_lo, s1
	s_cbranch_vccz .LBB1011_6
; %bb.5:
	v_add3_u32 v1, s14, s8, v0
	s_mov_b32 s23, 0
	s_delay_alu instid0(VALU_DEP_1)
	v_add_nc_u32_e32 v2, 0x100, v1
	v_add_nc_u32_e32 v3, 0x200, v1
	v_add_nc_u32_e32 v4, 0x300, v1
	v_add_nc_u32_e32 v5, 0x400, v1
	v_add_nc_u32_e32 v6, 0x500, v1
	v_add_nc_u32_e32 v7, 0x600, v1
	v_add_nc_u32_e32 v8, 0x700, v1
	v_add_nc_u32_e32 v9, 0x800, v1
	v_add_nc_u32_e32 v10, 0x900, v1
	v_add_nc_u32_e32 v11, 0xa00, v1
	v_add_nc_u32_e32 v12, 0xb00, v1
	v_add_nc_u32_e32 v13, 0xc00, v1
	ds_store_2addr_stride64_b32 v45, v1, v2 offset1:4
	ds_store_2addr_stride64_b32 v45, v3, v4 offset0:8 offset1:12
	ds_store_2addr_stride64_b32 v45, v5, v6 offset0:16 offset1:20
	;; [unrolled: 1-line block ×5, first 2 shown]
	ds_store_b32 v45, v13 offset:12288
	s_wait_loadcnt_dscnt 0x0
	s_barrier_signal -1
	s_barrier_wait -1
.LBB1011_6:
	v_cmp_gt_u32_e64 s0, s22, v0
	v_or_b32_e32 v44, 0x100, v0
	v_or_b32_e32 v43, 0x200, v0
	;; [unrolled: 1-line block ×12, first 2 shown]
	s_wait_alu 0xfffe
	s_and_not1_b32 vcc_lo, exec_lo, s23
	s_cbranch_vccnz .LBB1011_8
; %bb.7:
	s_add_co_i32 s8, s14, s8
	v_cmp_gt_u32_e32 vcc_lo, s22, v44
	s_wait_alu 0xfffe
	v_add_nc_u32_e32 v13, s8, v33
	v_add_nc_u32_e32 v12, s8, v34
	;; [unrolled: 1-line block ×12, first 2 shown]
	s_delay_alu instid0(VALU_DEP_1) | instskip(SKIP_1) | instid1(VALU_DEP_2)
	v_dual_cndmask_b32 v2, 0, v2 :: v_dual_add_nc_u32 v1, s8, v0
	v_cmp_gt_u32_e32 vcc_lo, s22, v43
	v_cndmask_b32_e64 v1, 0, v1, s0
	s_wait_alu 0xfffd
	v_cndmask_b32_e32 v3, 0, v3, vcc_lo
	v_cmp_gt_u32_e32 vcc_lo, s22, v42
	s_wait_alu 0xfffd
	v_cndmask_b32_e32 v4, 0, v4, vcc_lo
	v_cmp_gt_u32_e32 vcc_lo, s22, v41
	;; [unrolled: 3-line block ×10, first 2 shown]
	s_wait_alu 0xfffd
	v_cndmask_b32_e32 v13, 0, v13, vcc_lo
	ds_store_2addr_stride64_b32 v45, v1, v2 offset1:4
	ds_store_2addr_stride64_b32 v45, v3, v4 offset0:8 offset1:12
	ds_store_2addr_stride64_b32 v45, v5, v6 offset0:16 offset1:20
	;; [unrolled: 1-line block ×5, first 2 shown]
	ds_store_b32 v45, v13 offset:12288
	s_wait_loadcnt_dscnt 0x0
	s_barrier_signal -1
	s_barrier_wait -1
.LBB1011_8:
	v_mul_u32_u24_e32 v48, 13, v0
	s_wait_loadcnt 0x0
	global_inv scope:SCOPE_SE
	v_cndmask_b32_e64 v46, 0, 1, s1
	s_and_not1_b32 vcc_lo, exec_lo, s1
	v_lshlrev_b32_e32 v1, 2, v48
	ds_load_2addr_b32 v[29:30], v1 offset0:2 offset1:3
	ds_load_2addr_b32 v[25:26], v1 offset0:6 offset1:7
	ds_load_2addr_b32 v[27:28], v1 offset0:4 offset1:5
	ds_load_2addr_b32 v[31:32], v1 offset1:1
	ds_load_2addr_b32 v[21:22], v1 offset0:10 offset1:11
	ds_load_b32 v47, v1 offset:48
	ds_load_2addr_b32 v[23:24], v1 offset0:8 offset1:9
	s_wait_loadcnt_dscnt 0x0
	s_barrier_signal -1
	s_barrier_wait -1
	global_inv scope:SCOPE_SE
	s_wait_alu 0xfffe
	s_cbranch_vccnz .LBB1011_10
; %bb.9:
	v_add_nc_u32_e32 v1, s5, v30
	v_add_nc_u32_e32 v2, s7, v30
	;; [unrolled: 1-line block ×5, first 2 shown]
	v_mul_lo_u32 v1, v1, s4
	v_mul_lo_u32 v2, v2, s6
	v_add_nc_u32_e32 v8, s7, v29
	v_add_nc_u32_e32 v3, s5, v32
	v_add_nc_u32_e32 v6, s7, v32
	v_mul_lo_u32 v5, v5, s4
	v_mul_lo_u32 v4, v4, s4
	v_add_nc_u32_e32 v9, s5, v27
	v_mul_lo_u32 v3, v3, s4
	v_sub_nc_u32_e32 v1, v1, v2
	v_mul_lo_u32 v2, v7, s6
	v_mul_lo_u32 v7, v8, s6
	;; [unrolled: 1-line block ×3, first 2 shown]
	v_add_nc_u32_e32 v8, s5, v28
	v_add_nc_u32_e32 v10, s7, v27
	v_mul_lo_u32 v9, v9, s4
	v_cmp_lt_u32_e32 vcc_lo, s3, v1
	v_add_nc_u32_e32 v14, s7, v22
	v_sub_nc_u32_e32 v2, v4, v2
	v_sub_nc_u32_e32 v4, v5, v7
	v_add_nc_u32_e32 v5, s7, v28
	v_sub_nc_u32_e32 v3, v3, v6
	v_add_nc_u32_e32 v6, s5, v26
	v_add_nc_u32_e32 v7, s7, v26
	v_mul_lo_u32 v8, v8, s4
	v_mul_lo_u32 v5, v5, s6
	;; [unrolled: 1-line block ×5, first 2 shown]
	s_wait_alu 0xfffd
	v_cndmask_b32_e64 v1, 0, 1, vcc_lo
	v_cmp_lt_u32_e32 vcc_lo, s3, v3
	v_mul_lo_u32 v14, v14, s6
	v_add_nc_u32_e32 v15, s7, v24
	v_sub_nc_u32_e32 v5, v8, v5
	v_add_nc_u32_e32 v8, s7, v25
	s_wait_alu 0xfffd
	v_cndmask_b32_e64 v3, 0, 1, vcc_lo
	v_sub_nc_u32_e32 v6, v6, v7
	v_mul_lo_u32 v15, v15, s6
	v_cmp_lt_u32_e32 vcc_lo, s3, v5
	v_mul_lo_u32 v7, v8, s6
	v_sub_nc_u32_e32 v8, v9, v10
	v_add_nc_u32_e32 v9, s5, v22
	v_add_nc_u32_e32 v10, s5, v24
	s_wait_alu 0xfffd
	v_cndmask_b32_e64 v5, 0, 1, vcc_lo
	v_cmp_lt_u32_e32 vcc_lo, s3, v6
	v_add_nc_u32_e32 v11, s5, v25
	v_mul_lo_u32 v9, v9, s4
	v_mul_lo_u32 v10, v10, s4
	v_add_nc_u32_e32 v12, s5, v23
	s_wait_alu 0xfffd
	v_cndmask_b32_e64 v6, 0, 1, vcc_lo
	v_mul_lo_u32 v11, v11, s4
	v_add_nc_u32_e32 v16, s7, v23
	v_lshlrev_b16 v3, 8, v3
	v_add_nc_u32_e32 v13, s5, v21
	v_sub_nc_u32_e32 v9, v9, v14
	v_sub_nc_u32_e32 v10, v10, v15
	v_add_nc_u32_e32 v19, s7, v21
	v_mul_lo_u32 v12, v12, s4
	v_mul_lo_u32 v16, v16, s6
	v_cmp_lt_u32_e32 vcc_lo, s3, v9
	v_sub_nc_u32_e32 v7, v11, v7
	v_lshrrev_b32_e32 v3, 8, v3
	v_mul_lo_u32 v11, v13, s4
	v_mul_lo_u32 v13, v19, s6
	s_wait_alu 0xfffd
	v_cndmask_b32_e64 v9, 0, 1, vcc_lo
	v_cmp_lt_u32_e32 vcc_lo, s3, v2
	v_sub_nc_u32_e32 v12, v12, v16
	v_lshlrev_b16 v3, 8, v3
	v_lshlrev_b16 v1, 8, v1
	;; [unrolled: 1-line block ×3, first 2 shown]
	s_wait_alu 0xfffd
	v_cndmask_b32_e64 v2, 0, 1, vcc_lo
	v_cmp_lt_u32_e32 vcc_lo, s3, v10
	v_sub_nc_u32_e32 v11, v11, v13
	v_add_nc_u32_e32 v14, s5, v47
	v_add_nc_u32_e32 v15, s7, v47
	v_or_b32_e32 v2, v2, v3
	s_wait_alu 0xfffd
	v_cndmask_b32_e64 v10, 0, 1, vcc_lo
	v_cmp_lt_u32_e32 vcc_lo, s3, v4
	v_lshlrev_b16 v3, 8, v9
	v_lshrrev_b32_e32 v5, 8, v5
	v_lshrrev_b32_e32 v1, 8, v1
	v_lshlrev_b16 v9, 8, v10
	s_wait_alu 0xfffd
	v_cndmask_b32_e64 v4, 0, 1, vcc_lo
	v_cmp_lt_u32_e32 vcc_lo, s3, v8
	v_lshrrev_b32_e32 v3, 8, v3
	v_mul_lo_u32 v14, v14, s4
	v_lshrrev_b32_e32 v9, 8, v9
	v_mul_lo_u32 v15, v15, s6
	s_wait_alu 0xfffd
	v_cndmask_b32_e64 v8, 0, 1, vcc_lo
	v_cmp_lt_u32_e32 vcc_lo, s3, v7
	v_lshlrev_b16 v6, 8, v6
	v_lshlrev_b16 v1, 8, v1
	;; [unrolled: 1-line block ×4, first 2 shown]
	s_wait_alu 0xfffd
	v_cndmask_b32_e64 v7, 0, 1, vcc_lo
	v_cmp_lt_u32_e32 vcc_lo, s3, v12
	v_lshlrev_b16 v3, 8, v3
	v_sub_nc_u32_e32 v10, v14, v15
	v_or_b32_e32 v1, v4, v1
	v_or_b32_e32 v4, v8, v5
	s_wait_alu 0xfffd
	v_cndmask_b32_e64 v12, 0, 1, vcc_lo
	v_cmp_lt_u32_e32 vcc_lo, s3, v11
	v_or_b32_e32 v5, v7, v6
	v_and_b32_e32 v2, 0xffff, v2
	v_lshlrev_b32_e32 v1, 16, v1
	v_or_b32_e32 v6, v12, v9
	s_wait_alu 0xfffd
	v_cndmask_b32_e64 v11, 0, 1, vcc_lo
	v_and_b32_e32 v4, 0xffff, v4
	v_lshlrev_b32_e32 v5, 16, v5
	v_cmp_lt_u32_e32 vcc_lo, s3, v10
	v_and_b32_e32 v6, 0xffff, v6
	v_or_b32_e32 v3, v11, v3
	v_or_b32_e32 v54, v2, v1
	;; [unrolled: 1-line block ×3, first 2 shown]
	s_wait_alu 0xfffd
	v_cndmask_b32_e64 v49, 0, 1, vcc_lo
	v_lshlrev_b32_e32 v3, 16, v3
	s_delay_alu instid0(VALU_DEP_1)
	v_or_b32_e32 v50, v6, v3
	s_cbranch_execz .LBB1011_11
	s_branch .LBB1011_38
.LBB1011_10:
                                        ; implicit-def: $vgpr49
                                        ; implicit-def: $vgpr50
                                        ; implicit-def: $vgpr52
                                        ; implicit-def: $vgpr54
.LBB1011_11:
	v_dual_mov_b32 v2, 0 :: v_dual_mov_b32 v1, 0
	s_mov_b32 s0, exec_lo
	v_cmpx_gt_u32_e64 s22, v48
	s_cbranch_execz .LBB1011_13
; %bb.12:
	v_add_nc_u32_e32 v1, s5, v31
	v_add_nc_u32_e32 v3, s7, v31
	s_delay_alu instid0(VALU_DEP_2) | instskip(NEXT) | instid1(VALU_DEP_2)
	v_mul_lo_u32 v1, v1, s4
	v_mul_lo_u32 v3, v3, s6
	s_delay_alu instid0(VALU_DEP_1) | instskip(NEXT) | instid1(VALU_DEP_1)
	v_sub_nc_u32_e32 v1, v1, v3
	v_cmp_lt_u32_e32 vcc_lo, s3, v1
	s_wait_alu 0xfffd
	v_cndmask_b32_e64 v1, 0, 1, vcc_lo
.LBB1011_13:
	s_wait_alu 0xfffe
	s_or_b32 exec_lo, exec_lo, s0
	v_add_nc_u32_e32 v3, 1, v48
	s_mov_b32 s0, exec_lo
	s_delay_alu instid0(VALU_DEP_1)
	v_cmpx_gt_u32_e64 s22, v3
	s_cbranch_execz .LBB1011_15
; %bb.14:
	v_add_nc_u32_e32 v2, s5, v32
	v_add_nc_u32_e32 v3, s7, v32
	s_delay_alu instid0(VALU_DEP_2) | instskip(NEXT) | instid1(VALU_DEP_2)
	v_mul_lo_u32 v2, v2, s4
	v_mul_lo_u32 v3, v3, s6
	s_delay_alu instid0(VALU_DEP_1) | instskip(NEXT) | instid1(VALU_DEP_1)
	v_sub_nc_u32_e32 v2, v2, v3
	v_cmp_lt_u32_e32 vcc_lo, s3, v2
	s_wait_alu 0xfffd
	v_cndmask_b32_e64 v2, 0, 1, vcc_lo
.LBB1011_15:
	s_wait_alu 0xfffe
	s_or_b32 exec_lo, exec_lo, s0
	v_dual_mov_b32 v4, 0 :: v_dual_add_nc_u32 v3, 2, v48
	s_delay_alu instid0(VALU_DEP_1)
	v_cmp_gt_u32_e32 vcc_lo, s22, v3
	v_mov_b32_e32 v3, 0
	s_and_saveexec_b32 s0, vcc_lo
	s_cbranch_execz .LBB1011_17
; %bb.16:
	v_add_nc_u32_e32 v3, s5, v29
	v_add_nc_u32_e32 v5, s7, v29
	s_delay_alu instid0(VALU_DEP_2) | instskip(NEXT) | instid1(VALU_DEP_2)
	v_mul_lo_u32 v3, v3, s4
	v_mul_lo_u32 v5, v5, s6
	s_delay_alu instid0(VALU_DEP_1) | instskip(NEXT) | instid1(VALU_DEP_1)
	v_sub_nc_u32_e32 v3, v3, v5
	v_cmp_lt_u32_e32 vcc_lo, s3, v3
	s_wait_alu 0xfffd
	v_cndmask_b32_e64 v3, 0, 1, vcc_lo
.LBB1011_17:
	s_wait_alu 0xfffe
	s_or_b32 exec_lo, exec_lo, s0
	v_add_nc_u32_e32 v5, 3, v48
	s_mov_b32 s0, exec_lo
	s_delay_alu instid0(VALU_DEP_1)
	v_cmpx_gt_u32_e64 s22, v5
	s_cbranch_execz .LBB1011_19
; %bb.18:
	v_add_nc_u32_e32 v4, s5, v30
	v_add_nc_u32_e32 v5, s7, v30
	s_delay_alu instid0(VALU_DEP_2) | instskip(NEXT) | instid1(VALU_DEP_2)
	v_mul_lo_u32 v4, v4, s4
	v_mul_lo_u32 v5, v5, s6
	s_delay_alu instid0(VALU_DEP_1) | instskip(NEXT) | instid1(VALU_DEP_1)
	v_sub_nc_u32_e32 v4, v4, v5
	v_cmp_lt_u32_e32 vcc_lo, s3, v4
	s_wait_alu 0xfffd
	v_cndmask_b32_e64 v4, 0, 1, vcc_lo
.LBB1011_19:
	s_wait_alu 0xfffe
	s_or_b32 exec_lo, exec_lo, s0
	v_dual_mov_b32 v6, 0 :: v_dual_add_nc_u32 v5, 4, v48
	s_delay_alu instid0(VALU_DEP_1)
	v_cmp_gt_u32_e32 vcc_lo, s22, v5
	v_mov_b32_e32 v5, 0
	s_and_saveexec_b32 s0, vcc_lo
	;; [unrolled: 39-line block ×5, first 2 shown]
	s_cbranch_execz .LBB1011_33
; %bb.32:
	v_add_nc_u32_e32 v11, s5, v21
	v_add_nc_u32_e32 v13, s7, v21
	s_delay_alu instid0(VALU_DEP_2) | instskip(NEXT) | instid1(VALU_DEP_2)
	v_mul_lo_u32 v11, v11, s4
	v_mul_lo_u32 v13, v13, s6
	s_delay_alu instid0(VALU_DEP_1) | instskip(NEXT) | instid1(VALU_DEP_1)
	v_sub_nc_u32_e32 v11, v11, v13
	v_cmp_lt_u32_e32 vcc_lo, s3, v11
	s_wait_alu 0xfffd
	v_cndmask_b32_e64 v11, 0, 1, vcc_lo
.LBB1011_33:
	s_wait_alu 0xfffe
	s_or_b32 exec_lo, exec_lo, s0
	v_add_nc_u32_e32 v13, 11, v48
	s_mov_b32 s0, exec_lo
	s_delay_alu instid0(VALU_DEP_1)
	v_cmpx_gt_u32_e64 s22, v13
	s_cbranch_execz .LBB1011_35
; %bb.34:
	v_add_nc_u32_e32 v12, s5, v22
	v_add_nc_u32_e32 v13, s7, v22
	s_delay_alu instid0(VALU_DEP_2) | instskip(NEXT) | instid1(VALU_DEP_2)
	v_mul_lo_u32 v12, v12, s4
	v_mul_lo_u32 v13, v13, s6
	s_delay_alu instid0(VALU_DEP_1) | instskip(NEXT) | instid1(VALU_DEP_1)
	v_sub_nc_u32_e32 v12, v12, v13
	v_cmp_lt_u32_e32 vcc_lo, s3, v12
	s_wait_alu 0xfffd
	v_cndmask_b32_e64 v12, 0, 1, vcc_lo
.LBB1011_35:
	s_wait_alu 0xfffe
	s_or_b32 exec_lo, exec_lo, s0
	v_add_nc_u32_e32 v13, 12, v48
	v_mov_b32_e32 v49, 0
	s_mov_b32 s0, exec_lo
	s_delay_alu instid0(VALU_DEP_2)
	v_cmpx_gt_u32_e64 s22, v13
	s_cbranch_execz .LBB1011_37
; %bb.36:
	v_add_nc_u32_e32 v13, s5, v47
	v_add_nc_u32_e32 v14, s7, v47
	s_delay_alu instid0(VALU_DEP_2) | instskip(NEXT) | instid1(VALU_DEP_2)
	v_mul_lo_u32 v13, v13, s4
	v_mul_lo_u32 v14, v14, s6
	s_delay_alu instid0(VALU_DEP_1) | instskip(NEXT) | instid1(VALU_DEP_1)
	v_sub_nc_u32_e32 v13, v13, v14
	v_cmp_lt_u32_e32 vcc_lo, s3, v13
	s_wait_alu 0xfffd
	v_cndmask_b32_e64 v49, 0, 1, vcc_lo
.LBB1011_37:
	s_wait_alu 0xfffe
	s_or_b32 exec_lo, exec_lo, s0
	v_lshlrev_b16 v2, 8, v2
	v_lshlrev_b16 v4, 8, v4
	;; [unrolled: 1-line block ×5, first 2 shown]
	v_or_b32_e32 v1, v1, v2
	v_lshlrev_b16 v2, 8, v12
	v_or_b32_e32 v3, v3, v4
	v_or_b32_e32 v4, v5, v6
	;; [unrolled: 1-line block ×5, first 2 shown]
	v_and_b32_e32 v1, 0xffff, v1
	v_lshlrev_b32_e32 v3, 16, v3
	v_and_b32_e32 v4, 0xffff, v4
	v_lshlrev_b32_e32 v5, 16, v5
	;; [unrolled: 2-line block ×3, first 2 shown]
	v_or_b32_e32 v54, v1, v3
	s_delay_alu instid0(VALU_DEP_4) | instskip(NEXT) | instid1(VALU_DEP_3)
	v_or_b32_e32 v52, v4, v5
	v_or_b32_e32 v50, v6, v2
.LBB1011_38:
	s_delay_alu instid0(VALU_DEP_3)
	v_and_b32_e32 v56, 0xff, v54
	v_bfe_u32 v57, v54, 8, 8
	v_bfe_u32 v58, v54, 16, 8
	v_lshrrev_b32_e32 v55, 24, v54
	v_and_b32_e32 v59, 0xff, v52
	v_bfe_u32 v60, v52, 8, 8
	v_bfe_u32 v61, v52, 16, 8
	v_add3_u32 v1, v57, v56, v58
	v_lshrrev_b32_e32 v53, 24, v52
	v_and_b32_e32 v62, 0xff, v50
	v_bfe_u32 v63, v50, 8, 8
	v_mbcnt_lo_u32_b32 v65, -1, 0
	v_add3_u32 v1, v1, v55, v59
	v_bfe_u32 v64, v50, 16, 8
	v_lshrrev_b32_e32 v51, 24, v50
	v_and_b32_e32 v2, 0xff, v49
	v_and_b32_e32 v3, 15, v65
	v_add3_u32 v1, v1, v60, v61
	v_or_b32_e32 v4, 31, v0
	v_and_b32_e32 v5, 16, v65
	v_lshrrev_b32_e32 v66, 5, v0
	v_cmp_eq_u32_e64 s6, 0, v3
	v_add3_u32 v1, v1, v53, v62
	v_cmp_lt_u32_e64 s5, 1, v3
	v_cmp_lt_u32_e64 s4, 3, v3
	;; [unrolled: 1-line block ×3, first 2 shown]
	v_cmp_eq_u32_e64 s1, 0, v5
	v_add3_u32 v1, v1, v63, v64
	v_cmp_eq_u32_e64 s0, v0, v4
	s_cmp_lg_u32 s15, 0
	s_mov_b32 s7, -1
	v_add3_u32 v67, v1, v51, v2
	s_cbranch_scc0 .LBB1011_59
; %bb.39:
	s_delay_alu instid0(VALU_DEP_1) | instskip(NEXT) | instid1(VALU_DEP_1)
	v_mov_b32_dpp v1, v67 row_shr:1 row_mask:0xf bank_mask:0xf
	v_cndmask_b32_e64 v1, v1, 0, s6
	s_delay_alu instid0(VALU_DEP_1) | instskip(NEXT) | instid1(VALU_DEP_1)
	v_add_nc_u32_e32 v1, v1, v67
	v_mov_b32_dpp v2, v1 row_shr:2 row_mask:0xf bank_mask:0xf
	s_delay_alu instid0(VALU_DEP_1) | instskip(NEXT) | instid1(VALU_DEP_1)
	v_cndmask_b32_e64 v2, 0, v2, s5
	v_add_nc_u32_e32 v1, v1, v2
	s_delay_alu instid0(VALU_DEP_1) | instskip(NEXT) | instid1(VALU_DEP_1)
	v_mov_b32_dpp v2, v1 row_shr:4 row_mask:0xf bank_mask:0xf
	v_cndmask_b32_e64 v2, 0, v2, s4
	s_delay_alu instid0(VALU_DEP_1) | instskip(NEXT) | instid1(VALU_DEP_1)
	v_add_nc_u32_e32 v1, v1, v2
	v_mov_b32_dpp v2, v1 row_shr:8 row_mask:0xf bank_mask:0xf
	s_delay_alu instid0(VALU_DEP_1) | instskip(NEXT) | instid1(VALU_DEP_1)
	v_cndmask_b32_e64 v2, 0, v2, s3
	v_add_nc_u32_e32 v1, v1, v2
	ds_swizzle_b32 v2, v1 offset:swizzle(BROADCAST,32,15)
	s_wait_dscnt 0x0
	v_cndmask_b32_e64 v2, v2, 0, s1
	s_delay_alu instid0(VALU_DEP_1)
	v_add_nc_u32_e32 v1, v1, v2
	s_and_saveexec_b32 s7, s0
; %bb.40:
	v_lshlrev_b32_e32 v2, 2, v66
	ds_store_b32 v2, v1
; %bb.41:
	s_wait_alu 0xfffe
	s_or_b32 exec_lo, exec_lo, s7
	s_delay_alu instid0(SALU_CYCLE_1)
	s_mov_b32 s7, exec_lo
	s_wait_loadcnt_dscnt 0x0
	s_barrier_signal -1
	s_barrier_wait -1
	global_inv scope:SCOPE_SE
	v_cmpx_gt_u32_e32 8, v0
	s_cbranch_execz .LBB1011_43
; %bb.42:
	ds_load_b32 v2, v45
	s_wait_dscnt 0x0
	v_mov_b32_dpp v4, v2 row_shr:1 row_mask:0xf bank_mask:0xf
	v_and_b32_e32 v3, 7, v65
	s_delay_alu instid0(VALU_DEP_1) | instskip(SKIP_1) | instid1(VALU_DEP_3)
	v_cmp_ne_u32_e32 vcc_lo, 0, v3
	s_wait_alu 0xfffd
	v_cndmask_b32_e32 v4, 0, v4, vcc_lo
	v_cmp_lt_u32_e32 vcc_lo, 1, v3
	s_delay_alu instid0(VALU_DEP_2) | instskip(NEXT) | instid1(VALU_DEP_1)
	v_add_nc_u32_e32 v2, v4, v2
	v_mov_b32_dpp v4, v2 row_shr:2 row_mask:0xf bank_mask:0xf
	s_wait_alu 0xfffd
	s_delay_alu instid0(VALU_DEP_1) | instskip(SKIP_1) | instid1(VALU_DEP_2)
	v_cndmask_b32_e32 v4, 0, v4, vcc_lo
	v_cmp_lt_u32_e32 vcc_lo, 3, v3
	v_add_nc_u32_e32 v2, v2, v4
	s_delay_alu instid0(VALU_DEP_1) | instskip(SKIP_1) | instid1(VALU_DEP_1)
	v_mov_b32_dpp v4, v2 row_shr:4 row_mask:0xf bank_mask:0xf
	s_wait_alu 0xfffd
	v_cndmask_b32_e32 v3, 0, v4, vcc_lo
	s_delay_alu instid0(VALU_DEP_1)
	v_add_nc_u32_e32 v2, v2, v3
	ds_store_b32 v45, v2
.LBB1011_43:
	s_wait_alu 0xfffe
	s_or_b32 exec_lo, exec_lo, s7
	s_delay_alu instid0(SALU_CYCLE_1)
	s_mov_b32 s8, exec_lo
	v_cmp_gt_u32_e32 vcc_lo, 32, v0
	s_wait_loadcnt_dscnt 0x0
	s_barrier_signal -1
	s_barrier_wait -1
	global_inv scope:SCOPE_SE
                                        ; implicit-def: $vgpr9
	v_cmpx_lt_u32_e32 31, v0
	s_cbranch_execz .LBB1011_45
; %bb.44:
	v_lshl_add_u32 v2, v66, 2, -4
	ds_load_b32 v9, v2
	s_wait_dscnt 0x0
	v_add_nc_u32_e32 v1, v9, v1
.LBB1011_45:
	s_wait_alu 0xfffe
	s_or_b32 exec_lo, exec_lo, s8
	v_sub_co_u32 v2, s7, v65, 1
	s_delay_alu instid0(VALU_DEP_1) | instskip(SKIP_1) | instid1(VALU_DEP_1)
	v_cmp_gt_i32_e64 s8, 0, v2
	s_wait_alu 0xf1ff
	v_cndmask_b32_e64 v2, v2, v65, s8
	s_delay_alu instid0(VALU_DEP_1)
	v_lshlrev_b32_e32 v2, 2, v2
	ds_bpermute_b32 v10, v2, v1
	s_and_saveexec_b32 s8, vcc_lo
	s_cbranch_execz .LBB1011_64
; %bb.46:
	v_mov_b32_e32 v5, 0
	ds_load_b32 v1, v5 offset:28
	s_and_saveexec_b32 s23, s7
	s_cbranch_execz .LBB1011_48
; %bb.47:
	s_add_co_i32 s24, s15, 32
	s_mov_b32 s25, 0
	v_mov_b32_e32 v2, 1
	s_lshl_b64 s[24:25], s[24:25], 3
	s_delay_alu instid0(SALU_CYCLE_1)
	s_add_nc_u64 s[24:25], s[20:21], s[24:25]
	s_wait_dscnt 0x0
	global_store_b64 v5, v[1:2], s[24:25] scope:SCOPE_DEV
.LBB1011_48:
	s_wait_alu 0xfffe
	s_or_b32 exec_lo, exec_lo, s23
	v_xad_u32 v3, v65, -1, s15
	s_mov_b32 s24, 0
	s_mov_b32 s23, exec_lo
	s_delay_alu instid0(VALU_DEP_1) | instskip(NEXT) | instid1(VALU_DEP_1)
	v_add_nc_u32_e32 v4, 32, v3
	v_lshlrev_b64_e32 v[4:5], 3, v[4:5]
	s_delay_alu instid0(VALU_DEP_1) | instskip(SKIP_1) | instid1(VALU_DEP_2)
	v_add_co_u32 v7, vcc_lo, s20, v4
	s_wait_alu 0xfffd
	v_add_co_ci_u32_e64 v8, null, s21, v5, vcc_lo
	global_load_b64 v[5:6], v[7:8], off scope:SCOPE_DEV
	s_wait_loadcnt 0x0
	v_and_b32_e32 v2, 0xff, v6
	s_delay_alu instid0(VALU_DEP_1)
	v_cmpx_eq_u16_e32 0, v2
	s_cbranch_execz .LBB1011_51
.LBB1011_49:                            ; =>This Inner Loop Header: Depth=1
	global_load_b64 v[5:6], v[7:8], off scope:SCOPE_DEV
	s_wait_loadcnt 0x0
	v_and_b32_e32 v2, 0xff, v6
	s_delay_alu instid0(VALU_DEP_1) | instskip(SKIP_1) | instid1(SALU_CYCLE_1)
	v_cmp_ne_u16_e32 vcc_lo, 0, v2
	s_or_b32 s24, vcc_lo, s24
	s_and_not1_b32 exec_lo, exec_lo, s24
	s_cbranch_execnz .LBB1011_49
; %bb.50:
	s_or_b32 exec_lo, exec_lo, s24
.LBB1011_51:
	s_wait_alu 0xfffe
	s_or_b32 exec_lo, exec_lo, s23
	v_cmp_ne_u32_e32 vcc_lo, 31, v65
	v_lshlrev_b32_e64 v12, v65, -1
	v_add_nc_u32_e32 v14, 2, v65
	v_add_nc_u32_e32 v16, 4, v65
	;; [unrolled: 1-line block ×3, first 2 shown]
	s_wait_alu 0xfffd
	v_add_co_ci_u32_e64 v2, null, 0, v65, vcc_lo
	v_lshl_or_b32 v68, v65, 2, 64
	v_add_nc_u32_e32 v69, 16, v65
	s_delay_alu instid0(VALU_DEP_3)
	v_lshlrev_b32_e32 v11, 2, v2
	v_and_b32_e32 v2, 0xff, v6
	ds_bpermute_b32 v4, v11, v5
	v_cmp_eq_u16_e32 vcc_lo, 2, v2
	s_wait_alu 0xfffd
	v_and_or_b32 v2, vcc_lo, v12, 0x80000000
	v_cmp_gt_u32_e32 vcc_lo, 30, v65
	s_delay_alu instid0(VALU_DEP_2) | instskip(SKIP_2) | instid1(VALU_DEP_2)
	v_ctz_i32_b32_e32 v2, v2
	s_wait_alu 0xfffd
	v_cndmask_b32_e64 v7, 0, 2, vcc_lo
	v_cmp_lt_u32_e32 vcc_lo, v65, v2
	s_delay_alu instid0(VALU_DEP_2) | instskip(SKIP_4) | instid1(VALU_DEP_2)
	v_add_lshl_u32 v13, v7, v65, 2
	s_wait_dscnt 0x0
	s_wait_alu 0xfffd
	v_cndmask_b32_e32 v4, 0, v4, vcc_lo
	v_cmp_gt_u32_e32 vcc_lo, 28, v65
	v_add_nc_u32_e32 v4, v4, v5
	s_wait_alu 0xfffd
	v_cndmask_b32_e64 v7, 0, 4, vcc_lo
	v_cmp_le_u32_e32 vcc_lo, v14, v2
	ds_bpermute_b32 v5, v13, v4
	v_add_lshl_u32 v15, v7, v65, 2
	s_wait_dscnt 0x0
	s_wait_alu 0xfffd
	v_cndmask_b32_e32 v5, 0, v5, vcc_lo
	v_cmp_gt_u32_e32 vcc_lo, 24, v65
	s_delay_alu instid0(VALU_DEP_2)
	v_add_nc_u32_e32 v4, v4, v5
	s_wait_alu 0xfffd
	v_cndmask_b32_e64 v7, 0, 8, vcc_lo
	v_cmp_le_u32_e32 vcc_lo, v16, v2
	ds_bpermute_b32 v5, v15, v4
	v_add_lshl_u32 v19, v7, v65, 2
	s_wait_dscnt 0x0
	s_wait_alu 0xfffd
	v_cndmask_b32_e32 v5, 0, v5, vcc_lo
	v_cmp_le_u32_e32 vcc_lo, v20, v2
	s_delay_alu instid0(VALU_DEP_2)
	v_add_nc_u32_e32 v4, v4, v5
	ds_bpermute_b32 v5, v19, v4
	s_wait_dscnt 0x0
	s_wait_alu 0xfffd
	v_cndmask_b32_e32 v5, 0, v5, vcc_lo
	v_cmp_le_u32_e32 vcc_lo, v69, v2
	s_delay_alu instid0(VALU_DEP_2) | instskip(SKIP_4) | instid1(VALU_DEP_1)
	v_add_nc_u32_e32 v4, v4, v5
	ds_bpermute_b32 v5, v68, v4
	s_wait_dscnt 0x0
	s_wait_alu 0xfffd
	v_cndmask_b32_e32 v2, 0, v5, vcc_lo
	v_dual_mov_b32 v4, 0 :: v_dual_add_nc_u32 v5, v4, v2
	s_branch .LBB1011_55
.LBB1011_52:                            ;   in Loop: Header=BB1011_55 Depth=1
	s_or_b32 exec_lo, exec_lo, s24
.LBB1011_53:                            ;   in Loop: Header=BB1011_55 Depth=1
	s_wait_alu 0xfffe
	s_or_b32 exec_lo, exec_lo, s23
	ds_bpermute_b32 v8, v11, v5
	v_and_b32_e32 v7, 0xff, v6
	v_subrev_nc_u32_e32 v3, 32, v3
	s_mov_b32 s23, 0
	s_delay_alu instid0(VALU_DEP_2) | instskip(SKIP_2) | instid1(VALU_DEP_1)
	v_cmp_eq_u16_e32 vcc_lo, 2, v7
	s_wait_alu 0xfffd
	v_and_or_b32 v7, vcc_lo, v12, 0x80000000
	v_ctz_i32_b32_e32 v7, v7
	s_delay_alu instid0(VALU_DEP_1) | instskip(SKIP_4) | instid1(VALU_DEP_2)
	v_cmp_lt_u32_e32 vcc_lo, v65, v7
	s_wait_dscnt 0x0
	s_wait_alu 0xfffd
	v_cndmask_b32_e32 v8, 0, v8, vcc_lo
	v_cmp_le_u32_e32 vcc_lo, v14, v7
	v_add_nc_u32_e32 v5, v8, v5
	ds_bpermute_b32 v8, v13, v5
	s_wait_dscnt 0x0
	s_wait_alu 0xfffd
	v_cndmask_b32_e32 v8, 0, v8, vcc_lo
	v_cmp_le_u32_e32 vcc_lo, v16, v7
	s_delay_alu instid0(VALU_DEP_2)
	v_add_nc_u32_e32 v5, v5, v8
	ds_bpermute_b32 v8, v15, v5
	s_wait_dscnt 0x0
	s_wait_alu 0xfffd
	v_cndmask_b32_e32 v8, 0, v8, vcc_lo
	v_cmp_le_u32_e32 vcc_lo, v20, v7
	s_delay_alu instid0(VALU_DEP_2)
	v_add_nc_u32_e32 v5, v5, v8
	ds_bpermute_b32 v8, v19, v5
	s_wait_dscnt 0x0
	s_wait_alu 0xfffd
	v_cndmask_b32_e32 v8, 0, v8, vcc_lo
	v_cmp_le_u32_e32 vcc_lo, v69, v7
	s_delay_alu instid0(VALU_DEP_2) | instskip(SKIP_4) | instid1(VALU_DEP_1)
	v_add_nc_u32_e32 v5, v5, v8
	ds_bpermute_b32 v8, v68, v5
	s_wait_dscnt 0x0
	s_wait_alu 0xfffd
	v_cndmask_b32_e32 v7, 0, v8, vcc_lo
	v_add3_u32 v5, v7, v2, v5
.LBB1011_54:                            ;   in Loop: Header=BB1011_55 Depth=1
	s_wait_alu 0xfffe
	s_and_b32 vcc_lo, exec_lo, s23
	s_wait_alu 0xfffe
	s_cbranch_vccnz .LBB1011_60
.LBB1011_55:                            ; =>This Loop Header: Depth=1
                                        ;     Child Loop BB1011_58 Depth 2
	v_and_b32_e32 v2, 0xff, v6
	s_mov_b32 s23, -1
                                        ; implicit-def: $vgpr6
	s_delay_alu instid0(VALU_DEP_1)
	v_cmp_ne_u16_e32 vcc_lo, 2, v2
	v_mov_b32_e32 v2, v5
                                        ; implicit-def: $vgpr5
	s_cmp_lg_u32 vcc_lo, exec_lo
	s_cbranch_scc1 .LBB1011_54
; %bb.56:                               ;   in Loop: Header=BB1011_55 Depth=1
	v_lshlrev_b64_e32 v[5:6], 3, v[3:4]
	s_mov_b32 s23, exec_lo
	s_delay_alu instid0(VALU_DEP_1) | instskip(SKIP_1) | instid1(VALU_DEP_2)
	v_add_co_u32 v7, vcc_lo, s20, v5
	s_wait_alu 0xfffd
	v_add_co_ci_u32_e64 v8, null, s21, v6, vcc_lo
	global_load_b64 v[5:6], v[7:8], off scope:SCOPE_DEV
	s_wait_loadcnt 0x0
	v_and_b32_e32 v70, 0xff, v6
	s_delay_alu instid0(VALU_DEP_1)
	v_cmpx_eq_u16_e32 0, v70
	s_cbranch_execz .LBB1011_53
; %bb.57:                               ;   in Loop: Header=BB1011_55 Depth=1
	s_mov_b32 s24, 0
.LBB1011_58:                            ;   Parent Loop BB1011_55 Depth=1
                                        ; =>  This Inner Loop Header: Depth=2
	global_load_b64 v[5:6], v[7:8], off scope:SCOPE_DEV
	s_wait_loadcnt 0x0
	v_and_b32_e32 v70, 0xff, v6
	s_delay_alu instid0(VALU_DEP_1) | instskip(SKIP_1) | instid1(SALU_CYCLE_1)
	v_cmp_ne_u16_e32 vcc_lo, 0, v70
	s_or_b32 s24, vcc_lo, s24
	s_and_not1_b32 exec_lo, exec_lo, s24
	s_cbranch_execnz .LBB1011_58
	s_branch .LBB1011_52
.LBB1011_59:
                                        ; implicit-def: $vgpr20
                                        ; implicit-def: $vgpr1_vgpr2_vgpr3_vgpr4_vgpr5_vgpr6_vgpr7_vgpr8_vgpr9_vgpr10_vgpr11_vgpr12_vgpr13_vgpr14_vgpr15_vgpr16
	s_wait_alu 0xfffe
	s_and_b32 vcc_lo, exec_lo, s7
	s_wait_alu 0xfffe
	s_cbranch_vccnz .LBB1011_65
	s_branch .LBB1011_74
.LBB1011_60:
	s_and_saveexec_b32 s23, s7
	s_cbranch_execz .LBB1011_62
; %bb.61:
	s_add_co_i32 s24, s15, 32
	s_mov_b32 s25, 0
	v_dual_mov_b32 v4, 2 :: v_dual_add_nc_u32 v3, v2, v1
	v_mov_b32_e32 v5, 0
	s_lshl_b64 s[24:25], s[24:25], 3
	s_delay_alu instid0(SALU_CYCLE_1)
	s_add_nc_u64 s[24:25], s[20:21], s[24:25]
	global_store_b64 v5, v[3:4], s[24:25] scope:SCOPE_DEV
	ds_store_b64 v5, v[1:2] offset:13312
.LBB1011_62:
	s_wait_alu 0xfffe
	s_or_b32 exec_lo, exec_lo, s23
	s_delay_alu instid0(SALU_CYCLE_1)
	s_and_b32 exec_lo, exec_lo, s2
; %bb.63:
	v_mov_b32_e32 v1, 0
	ds_store_b32 v1, v2 offset:28
.LBB1011_64:
	s_wait_alu 0xfffe
	s_or_b32 exec_lo, exec_lo, s8
	v_mov_b32_e32 v11, 0
	s_wait_storecnt 0x0
	s_wait_loadcnt_dscnt 0x0
	s_barrier_signal -1
	s_barrier_wait -1
	global_inv scope:SCOPE_SE
	ds_load_b32 v1, v11 offset:28
	v_cndmask_b32_e64 v2, v10, v9, s7
	s_wait_loadcnt_dscnt 0x0
	s_barrier_signal -1
	s_barrier_wait -1
	global_inv scope:SCOPE_SE
	v_cndmask_b32_e64 v2, v2, 0, s2
	s_delay_alu instid0(VALU_DEP_1) | instskip(NEXT) | instid1(VALU_DEP_1)
	v_add_nc_u32_e32 v1, v1, v2
	v_add_nc_u32_e32 v2, v1, v56
	ds_load_b64 v[19:20], v11 offset:13312
	v_add_nc_u32_e32 v3, v2, v57
	s_delay_alu instid0(VALU_DEP_1) | instskip(NEXT) | instid1(VALU_DEP_1)
	v_add_nc_u32_e32 v4, v3, v58
	v_add_nc_u32_e32 v5, v4, v55
	s_delay_alu instid0(VALU_DEP_1) | instskip(NEXT) | instid1(VALU_DEP_1)
	v_add_nc_u32_e32 v6, v5, v59
	;; [unrolled: 3-line block ×5, first 2 shown]
	v_add_nc_u32_e32 v13, v12, v51
	s_branch .LBB1011_74
.LBB1011_65:
	v_mov_b32_dpp v1, v67 row_shr:1 row_mask:0xf bank_mask:0xf
	s_delay_alu instid0(VALU_DEP_1) | instskip(NEXT) | instid1(VALU_DEP_1)
	v_cndmask_b32_e64 v1, v1, 0, s6
	v_add_nc_u32_e32 v1, v1, v67
	s_delay_alu instid0(VALU_DEP_1) | instskip(NEXT) | instid1(VALU_DEP_1)
	v_mov_b32_dpp v2, v1 row_shr:2 row_mask:0xf bank_mask:0xf
	v_cndmask_b32_e64 v2, 0, v2, s5
	s_delay_alu instid0(VALU_DEP_1) | instskip(NEXT) | instid1(VALU_DEP_1)
	v_add_nc_u32_e32 v1, v1, v2
	v_mov_b32_dpp v2, v1 row_shr:4 row_mask:0xf bank_mask:0xf
	s_delay_alu instid0(VALU_DEP_1) | instskip(NEXT) | instid1(VALU_DEP_1)
	v_cndmask_b32_e64 v2, 0, v2, s4
	v_add_nc_u32_e32 v1, v1, v2
	s_delay_alu instid0(VALU_DEP_1) | instskip(NEXT) | instid1(VALU_DEP_1)
	v_mov_b32_dpp v2, v1 row_shr:8 row_mask:0xf bank_mask:0xf
	v_cndmask_b32_e64 v2, 0, v2, s3
	s_delay_alu instid0(VALU_DEP_1) | instskip(SKIP_3) | instid1(VALU_DEP_1)
	v_add_nc_u32_e32 v1, v1, v2
	ds_swizzle_b32 v2, v1 offset:swizzle(BROADCAST,32,15)
	s_wait_dscnt 0x0
	v_cndmask_b32_e64 v2, v2, 0, s1
	v_add_nc_u32_e32 v1, v1, v2
	s_and_saveexec_b32 s1, s0
; %bb.66:
	v_lshlrev_b32_e32 v2, 2, v66
	ds_store_b32 v2, v1
; %bb.67:
	s_wait_alu 0xfffe
	s_or_b32 exec_lo, exec_lo, s1
	s_delay_alu instid0(SALU_CYCLE_1)
	s_mov_b32 s0, exec_lo
	s_wait_loadcnt_dscnt 0x0
	s_barrier_signal -1
	s_barrier_wait -1
	global_inv scope:SCOPE_SE
	v_cmpx_gt_u32_e32 8, v0
	s_cbranch_execz .LBB1011_69
; %bb.68:
	ds_load_b32 v2, v45
	s_wait_dscnt 0x0
	v_mov_b32_dpp v4, v2 row_shr:1 row_mask:0xf bank_mask:0xf
	v_and_b32_e32 v3, 7, v65
	s_delay_alu instid0(VALU_DEP_1) | instskip(SKIP_1) | instid1(VALU_DEP_3)
	v_cmp_ne_u32_e32 vcc_lo, 0, v3
	s_wait_alu 0xfffd
	v_cndmask_b32_e32 v4, 0, v4, vcc_lo
	v_cmp_lt_u32_e32 vcc_lo, 1, v3
	s_delay_alu instid0(VALU_DEP_2) | instskip(NEXT) | instid1(VALU_DEP_1)
	v_add_nc_u32_e32 v2, v4, v2
	v_mov_b32_dpp v4, v2 row_shr:2 row_mask:0xf bank_mask:0xf
	s_wait_alu 0xfffd
	s_delay_alu instid0(VALU_DEP_1) | instskip(SKIP_1) | instid1(VALU_DEP_2)
	v_cndmask_b32_e32 v4, 0, v4, vcc_lo
	v_cmp_lt_u32_e32 vcc_lo, 3, v3
	v_add_nc_u32_e32 v2, v2, v4
	s_delay_alu instid0(VALU_DEP_1) | instskip(SKIP_1) | instid1(VALU_DEP_1)
	v_mov_b32_dpp v4, v2 row_shr:4 row_mask:0xf bank_mask:0xf
	s_wait_alu 0xfffd
	v_cndmask_b32_e32 v3, 0, v4, vcc_lo
	s_delay_alu instid0(VALU_DEP_1)
	v_add_nc_u32_e32 v2, v2, v3
	ds_store_b32 v45, v2
.LBB1011_69:
	s_wait_alu 0xfffe
	s_or_b32 exec_lo, exec_lo, s0
	v_dual_mov_b32 v3, 0 :: v_dual_mov_b32 v2, 0
	s_mov_b32 s0, exec_lo
	s_wait_loadcnt_dscnt 0x0
	s_barrier_signal -1
	s_barrier_wait -1
	global_inv scope:SCOPE_SE
	v_cmpx_lt_u32_e32 31, v0
; %bb.70:
	v_lshl_add_u32 v2, v66, 2, -4
	ds_load_b32 v2, v2
; %bb.71:
	s_wait_alu 0xfffe
	s_or_b32 exec_lo, exec_lo, s0
	v_sub_co_u32 v4, vcc_lo, v65, 1
	s_wait_dscnt 0x0
	v_add_nc_u32_e32 v1, v2, v1
	ds_load_b32 v19, v3 offset:28
	v_cmp_gt_i32_e64 s0, 0, v4
	s_wait_alu 0xf1ff
	s_delay_alu instid0(VALU_DEP_1) | instskip(NEXT) | instid1(VALU_DEP_1)
	v_cndmask_b32_e64 v4, v4, v65, s0
	v_lshlrev_b32_e32 v4, 2, v4
	ds_bpermute_b32 v1, v4, v1
	s_and_saveexec_b32 s0, s2
	s_cbranch_execz .LBB1011_73
; %bb.72:
	v_dual_mov_b32 v3, 0 :: v_dual_mov_b32 v20, 2
	s_wait_dscnt 0x1
	global_store_b64 v3, v[19:20], s[20:21] offset:256 scope:SCOPE_DEV
.LBB1011_73:
	s_wait_alu 0xfffe
	s_or_b32 exec_lo, exec_lo, s0
	s_wait_dscnt 0x0
	s_wait_alu 0xfffd
	v_cndmask_b32_e32 v1, v1, v2, vcc_lo
	s_wait_loadcnt 0x0
	s_wait_storecnt 0x0
	s_barrier_signal -1
	s_barrier_wait -1
	global_inv scope:SCOPE_SE
	v_cndmask_b32_e64 v1, v1, 0, s2
	v_mov_b32_e32 v20, 0
	s_delay_alu instid0(VALU_DEP_2) | instskip(NEXT) | instid1(VALU_DEP_1)
	v_add_nc_u32_e32 v2, v1, v56
	v_add_nc_u32_e32 v3, v2, v57
	s_delay_alu instid0(VALU_DEP_1) | instskip(NEXT) | instid1(VALU_DEP_1)
	v_add_nc_u32_e32 v4, v3, v58
	v_add_nc_u32_e32 v5, v4, v55
	s_delay_alu instid0(VALU_DEP_1) | instskip(NEXT) | instid1(VALU_DEP_1)
	;; [unrolled: 3-line block ×5, first 2 shown]
	v_add_nc_u32_e32 v12, v11, v64
	v_add_nc_u32_e32 v13, v12, v51
.LBB1011_74:
	s_wait_dscnt 0x0
	v_sub_nc_u32_e32 v1, v1, v20
	v_sub_nc_u32_e32 v2, v2, v20
	v_add_nc_u32_e32 v48, v19, v48
	v_lshrrev_b32_e32 v58, 8, v54
	v_lshrrev_b32_e32 v57, 16, v54
	v_sub_nc_u32_e32 v4, v4, v20
	v_sub_nc_u32_e32 v3, v3, v20
	;; [unrolled: 1-line block ×3, first 2 shown]
	v_and_b32_e32 v54, 1, v54
	v_and_b32_e32 v58, 1, v58
	;; [unrolled: 1-line block ×3, first 2 shown]
	v_lshrrev_b32_e32 v56, 8, v52
	v_lshrrev_b32_e32 v16, 16, v52
	v_cmp_eq_u32_e32 vcc_lo, 1, v54
	v_and_b32_e32 v54, 1, v57
	v_sub_nc_u32_e32 v57, v48, v2
	v_lshrrev_b32_e32 v15, 8, v50
	v_lshrrev_b32_e32 v14, 16, v50
	s_wait_alu 0xfffd
	v_cndmask_b32_e32 v1, v59, v1, vcc_lo
	v_cmp_eq_u32_e32 vcc_lo, 1, v58
	v_add_nc_u32_e32 v57, 1, v57
	s_delay_alu instid0(VALU_DEP_3)
	v_lshlrev_b32_e32 v1, 2, v1
	ds_store_b32 v1, v31
	s_wait_alu 0xfffd
	v_cndmask_b32_e32 v1, v57, v2, vcc_lo
	v_sub_nc_u32_e32 v59, v48, v3
	v_sub_nc_u32_e32 v60, v48, v4
	v_cmp_eq_u32_e32 vcc_lo, 1, v54
	s_delay_alu instid0(VALU_DEP_4) | instskip(NEXT) | instid1(VALU_DEP_4)
	v_lshlrev_b32_e32 v1, 2, v1
	v_add_nc_u32_e32 v59, 2, v59
	s_delay_alu instid0(VALU_DEP_4)
	v_add_nc_u32_e32 v60, 3, v60
	ds_store_b32 v1, v32
	s_wait_alu 0xfffd
	v_cndmask_b32_e32 v2, v59, v3, vcc_lo
	v_cmp_eq_u32_e32 vcc_lo, 1, v55
	s_wait_alu 0xfffd
	s_delay_alu instid0(VALU_DEP_2) | instskip(SKIP_2) | instid1(VALU_DEP_3)
	v_dual_cndmask_b32 v3, v60, v4 :: v_dual_lshlrev_b32 v2, 2, v2
	v_sub_nc_u32_e32 v4, v5, v20
	v_sub_nc_u32_e32 v5, v6, v20
	v_lshlrev_b32_e32 v3, 2, v3
	s_delay_alu instid0(VALU_DEP_3) | instskip(NEXT) | instid1(VALU_DEP_3)
	v_sub_nc_u32_e32 v1, v48, v4
	v_sub_nc_u32_e32 v6, v48, v5
	ds_store_b32 v2, v29
	ds_store_b32 v3, v30
	v_and_b32_e32 v2, 1, v52
	v_add_nc_u32_e32 v1, 4, v1
	v_add_nc_u32_e32 v3, 5, v6
	v_sub_nc_u32_e32 v6, v7, v20
	v_and_b32_e32 v7, 1, v56
	v_cmp_eq_u32_e32 vcc_lo, 1, v2
	v_sub_nc_u32_e32 v2, v8, v20
	s_wait_alu 0xfffd
	v_dual_cndmask_b32 v1, v1, v4 :: v_dual_and_b32 v8, 1, v53
	v_sub_nc_u32_e32 v4, v48, v6
	v_cmp_eq_u32_e32 vcc_lo, 1, v7
	v_and_b32_e32 v7, 1, v16
	s_delay_alu instid0(VALU_DEP_4)
	v_lshlrev_b32_e32 v1, 2, v1
	s_wait_alu 0xfffd
	v_dual_cndmask_b32 v3, v3, v5 :: v_dual_add_nc_u32 v4, 6, v4
	v_sub_nc_u32_e32 v5, v48, v2
	v_cmp_eq_u32_e32 vcc_lo, 1, v7
	v_sub_nc_u32_e32 v7, v13, v20
	s_delay_alu instid0(VALU_DEP_4)
	v_lshlrev_b32_e32 v3, 2, v3
	s_wait_alu 0xfffd
	v_dual_cndmask_b32 v4, v4, v6 :: v_dual_add_nc_u32 v5, 7, v5
	v_cmp_eq_u32_e32 vcc_lo, 1, v8
	v_sub_nc_u32_e32 v6, v9, v20
	ds_store_b32 v1, v27
	ds_store_b32 v3, v28
	s_wait_alu 0xfffd
	v_dual_cndmask_b32 v2, v5, v2 :: v_dual_lshlrev_b32 v3, 2, v4
	v_sub_nc_u32_e32 v1, v48, v6
	v_and_b32_e32 v5, 1, v50
	v_sub_nc_u32_e32 v4, v10, v20
	v_and_b32_e32 v10, 1, v51
	v_lshlrev_b32_e32 v2, 2, v2
	v_add_nc_u32_e32 v1, 8, v1
	ds_store_b32 v3, v25
	ds_store_b32 v2, v26
	v_cmp_eq_u32_e32 vcc_lo, 1, v5
	v_sub_nc_u32_e32 v3, v11, v20
	v_sub_nc_u32_e32 v2, v48, v4
	;; [unrolled: 1-line block ×3, first 2 shown]
	v_and_b32_e32 v11, 1, v49
	s_wait_alu 0xfffd
	v_dual_cndmask_b32 v1, v1, v6 :: v_dual_and_b32 v6, 1, v15
	v_sub_nc_u32_e32 v8, v48, v3
	v_add_nc_u32_e32 v2, 9, v2
	v_sub_nc_u32_e32 v9, v48, v5
	s_delay_alu instid0(VALU_DEP_4)
	v_lshlrev_b32_e32 v1, 2, v1
	v_cmp_eq_u32_e32 vcc_lo, 1, v6
	v_add_nc_u32_e32 v6, 10, v8
	v_and_b32_e32 v8, 1, v14
	v_add_nc_u32_e32 v9, 11, v9
	v_add_co_u32 v15, s0, v17, v20
	s_wait_alu 0xfffd
	v_cndmask_b32_e32 v2, v2, v4, vcc_lo
	v_cmp_eq_u32_e32 vcc_lo, 1, v8
	v_sub_nc_u32_e32 v4, v48, v7
	s_wait_alu 0xf1ff
	v_add_co_ci_u32_e64 v16, null, 0, v18, s0
	s_wait_alu 0xfffd
	v_dual_cndmask_b32 v3, v6, v3 :: v_dual_lshlrev_b32 v2, 2, v2
	v_cmp_eq_u32_e32 vcc_lo, 1, v10
	v_add_nc_u32_e32 v4, 12, v4
	s_delay_alu instid0(VALU_DEP_3) | instskip(SKIP_4) | instid1(VALU_DEP_2)
	v_lshlrev_b32_e32 v3, 2, v3
	s_wait_alu 0xfffd
	v_cndmask_b32_e32 v5, v9, v5, vcc_lo
	v_cmp_eq_u32_e32 vcc_lo, 1, v11
	s_wait_alu 0xfffd
	v_dual_cndmask_b32 v4, v4, v7 :: v_dual_lshlrev_b32 v5, 2, v5
	v_cmp_ne_u32_e32 vcc_lo, 1, v46
	s_delay_alu instid0(VALU_DEP_2)
	v_lshlrev_b32_e32 v4, 2, v4
	ds_store_b32 v1, v23
	ds_store_b32 v2, v24
	;; [unrolled: 1-line block ×5, first 2 shown]
	s_wait_loadcnt_dscnt 0x0
	s_barrier_signal -1
	s_barrier_wait -1
	global_inv scope:SCOPE_SE
	ds_load_2addr_stride64_b32 v[11:12], v45 offset1:4
	ds_load_2addr_stride64_b32 v[9:10], v45 offset0:8 offset1:12
	ds_load_2addr_stride64_b32 v[7:8], v45 offset0:16 offset1:20
	;; [unrolled: 1-line block ×5, first 2 shown]
	ds_load_b32 v21, v45 offset:12288
	s_cbranch_vccnz .LBB1011_131
; %bb.75:
	s_mov_b32 s15, 0
	v_sub_co_u32 v13, vcc_lo, v15, s16
	s_wait_alu 0xfffe
	s_sub_nc_u64 s[0:1], s[18:19], s[14:15]
	s_wait_alu 0xfffd
	v_subrev_co_ci_u32_e64 v14, null, s17, v16, vcc_lo
	s_wait_alu 0xfffe
	v_add_co_u32 v17, s0, s0, v19
	s_wait_alu 0xf1ff
	v_add_co_ci_u32_e64 v18, null, s1, 0, s0
	s_mov_b32 s0, exec_lo
	v_add_co_u32 v17, vcc_lo, v17, v13
	s_wait_alu 0xfffd
	v_add_co_ci_u32_e64 v18, null, v18, v14, vcc_lo
                                        ; implicit-def: $vgpr13_vgpr14
	v_cmpx_ge_u32_e64 v0, v19
	s_wait_alu 0xfffe
	s_xor_b32 s0, exec_lo, s0
; %bb.76:
	v_not_b32_e32 v13, v0
	s_delay_alu instid0(VALU_DEP_1) | instskip(SKIP_2) | instid1(VALU_DEP_2)
	v_ashrrev_i32_e32 v14, 31, v13
	v_add_co_u32 v13, vcc_lo, v17, v13
	s_wait_alu 0xfffd
	v_add_co_ci_u32_e64 v14, null, v18, v14, vcc_lo
; %bb.77:
	s_wait_alu 0xfffe
	s_and_not1_saveexec_b32 s0, s0
; %bb.78:
	v_add_co_u32 v13, vcc_lo, v15, v0
	s_wait_alu 0xfffd
	v_add_co_ci_u32_e64 v14, null, 0, v16, vcc_lo
; %bb.79:
	s_wait_alu 0xfffe
	s_or_b32 exec_lo, exec_lo, s0
	s_delay_alu instid0(VALU_DEP_1) | instskip(SKIP_1) | instid1(VALU_DEP_1)
	v_lshlrev_b64_e32 v[13:14], 2, v[13:14]
	s_mov_b32 s0, exec_lo
	v_add_co_u32 v13, vcc_lo, s10, v13
	s_wait_alu 0xfffd
	s_delay_alu instid0(VALU_DEP_2)
	v_add_co_ci_u32_e64 v14, null, s11, v14, vcc_lo
	s_wait_dscnt 0x6
	global_store_b32 v[13:14], v11, off
                                        ; implicit-def: $vgpr13_vgpr14
	v_cmpx_ge_u32_e64 v44, v19
	s_wait_alu 0xfffe
	s_xor_b32 s0, exec_lo, s0
; %bb.80:
	v_xor_b32_e32 v13, 0xfffffeff, v0
	s_delay_alu instid0(VALU_DEP_1) | instskip(SKIP_2) | instid1(VALU_DEP_2)
	v_ashrrev_i32_e32 v14, 31, v13
	v_add_co_u32 v13, vcc_lo, v17, v13
	s_wait_alu 0xfffd
	v_add_co_ci_u32_e64 v14, null, v18, v14, vcc_lo
; %bb.81:
	s_wait_alu 0xfffe
	s_and_not1_saveexec_b32 s0, s0
; %bb.82:
	v_add_co_u32 v13, vcc_lo, v15, v44
	s_wait_alu 0xfffd
	v_add_co_ci_u32_e64 v14, null, 0, v16, vcc_lo
; %bb.83:
	s_wait_alu 0xfffe
	s_or_b32 exec_lo, exec_lo, s0
	s_delay_alu instid0(VALU_DEP_1) | instskip(SKIP_1) | instid1(VALU_DEP_1)
	v_lshlrev_b64_e32 v[13:14], 2, v[13:14]
	s_mov_b32 s0, exec_lo
	v_add_co_u32 v13, vcc_lo, s10, v13
	s_wait_alu 0xfffd
	s_delay_alu instid0(VALU_DEP_2)
	v_add_co_ci_u32_e64 v14, null, s11, v14, vcc_lo
	global_store_b32 v[13:14], v12, off
                                        ; implicit-def: $vgpr13_vgpr14
	v_cmpx_ge_u32_e64 v43, v19
	s_wait_alu 0xfffe
	s_xor_b32 s0, exec_lo, s0
; %bb.84:
	v_xor_b32_e32 v13, 0xfffffdff, v0
	s_delay_alu instid0(VALU_DEP_1) | instskip(SKIP_2) | instid1(VALU_DEP_2)
	v_ashrrev_i32_e32 v14, 31, v13
	v_add_co_u32 v13, vcc_lo, v17, v13
	s_wait_alu 0xfffd
	v_add_co_ci_u32_e64 v14, null, v18, v14, vcc_lo
; %bb.85:
	s_wait_alu 0xfffe
	s_and_not1_saveexec_b32 s0, s0
; %bb.86:
	v_add_co_u32 v13, vcc_lo, v15, v43
	s_wait_alu 0xfffd
	v_add_co_ci_u32_e64 v14, null, 0, v16, vcc_lo
; %bb.87:
	s_wait_alu 0xfffe
	s_or_b32 exec_lo, exec_lo, s0
	s_delay_alu instid0(VALU_DEP_1) | instskip(SKIP_1) | instid1(VALU_DEP_1)
	v_lshlrev_b64_e32 v[13:14], 2, v[13:14]
	s_mov_b32 s0, exec_lo
	v_add_co_u32 v13, vcc_lo, s10, v13
	s_wait_alu 0xfffd
	s_delay_alu instid0(VALU_DEP_2)
	v_add_co_ci_u32_e64 v14, null, s11, v14, vcc_lo
	s_wait_dscnt 0x5
	global_store_b32 v[13:14], v9, off
                                        ; implicit-def: $vgpr13_vgpr14
	v_cmpx_ge_u32_e64 v42, v19
	s_wait_alu 0xfffe
	s_xor_b32 s0, exec_lo, s0
; %bb.88:
	v_xor_b32_e32 v13, 0xfffffcff, v0
	s_delay_alu instid0(VALU_DEP_1) | instskip(SKIP_2) | instid1(VALU_DEP_2)
	v_ashrrev_i32_e32 v14, 31, v13
	v_add_co_u32 v13, vcc_lo, v17, v13
	s_wait_alu 0xfffd
	v_add_co_ci_u32_e64 v14, null, v18, v14, vcc_lo
; %bb.89:
	s_wait_alu 0xfffe
	s_and_not1_saveexec_b32 s0, s0
; %bb.90:
	v_add_co_u32 v13, vcc_lo, v15, v42
	s_wait_alu 0xfffd
	v_add_co_ci_u32_e64 v14, null, 0, v16, vcc_lo
; %bb.91:
	s_wait_alu 0xfffe
	s_or_b32 exec_lo, exec_lo, s0
	s_delay_alu instid0(VALU_DEP_1) | instskip(SKIP_1) | instid1(VALU_DEP_1)
	v_lshlrev_b64_e32 v[13:14], 2, v[13:14]
	s_mov_b32 s0, exec_lo
	v_add_co_u32 v13, vcc_lo, s10, v13
	s_wait_alu 0xfffd
	s_delay_alu instid0(VALU_DEP_2)
	v_add_co_ci_u32_e64 v14, null, s11, v14, vcc_lo
	global_store_b32 v[13:14], v10, off
                                        ; implicit-def: $vgpr13_vgpr14
	v_cmpx_ge_u32_e64 v41, v19
	s_wait_alu 0xfffe
	s_xor_b32 s0, exec_lo, s0
; %bb.92:
	v_xor_b32_e32 v13, 0xfffffbff, v0
	;; [unrolled: 59-line block ×6, first 2 shown]
	s_delay_alu instid0(VALU_DEP_1) | instskip(SKIP_2) | instid1(VALU_DEP_2)
	v_ashrrev_i32_e32 v14, 31, v13
	v_add_co_u32 v13, vcc_lo, v17, v13
	s_wait_alu 0xfffd
	v_add_co_ci_u32_e64 v14, null, v18, v14, vcc_lo
; %bb.125:
	s_wait_alu 0xfffe
	s_and_not1_saveexec_b32 s0, s0
; %bb.126:
	v_add_co_u32 v13, vcc_lo, v15, v33
	s_wait_alu 0xfffd
	v_add_co_ci_u32_e64 v14, null, 0, v16, vcc_lo
; %bb.127:
	s_wait_alu 0xfffe
	s_or_b32 exec_lo, exec_lo, s0
	s_mov_b32 s0, -1
.LBB1011_128:
	s_wait_alu 0xfffe
	s_and_saveexec_b32 s1, s0
	s_cbranch_execz .LBB1011_211
.LBB1011_129:
	s_wait_dscnt 0x1
	v_lshlrev_b64_e32 v[0:1], 2, v[13:14]
	s_delay_alu instid0(VALU_DEP_1) | instskip(SKIP_1) | instid1(VALU_DEP_2)
	v_add_co_u32 v0, vcc_lo, s10, v0
	s_wait_alu 0xfffd
	v_add_co_ci_u32_e64 v1, null, s11, v1, vcc_lo
	s_wait_dscnt 0x0
	global_store_b32 v[0:1], v21, off
	s_wait_alu 0xfffe
	s_or_b32 exec_lo, exec_lo, s1
	s_and_b32 s0, s2, s9
	s_wait_alu 0xfffe
	s_and_saveexec_b32 s1, s0
	s_cbranch_execnz .LBB1011_212
.LBB1011_130:
	s_endpgm
.LBB1011_131:
	s_mov_b32 s0, 0
                                        ; implicit-def: $vgpr13_vgpr14
	s_cbranch_execz .LBB1011_128
; %bb.132:
	s_mov_b32 s15, 0
	s_wait_alu 0xfffe
	s_add_nc_u64 s[4:5], s[16:17], s[14:15]
	s_wait_alu 0xfffe
	s_sub_nc_u64 s[4:5], s[18:19], s[4:5]
	s_wait_alu 0xfffe
	v_add_co_u32 v13, s1, s4, v19
	s_wait_alu 0xf1ff
	v_add_co_ci_u32_e64 v14, null, s5, 0, s1
	s_mov_b32 s1, exec_lo
	v_add_co_u32 v17, vcc_lo, v13, v15
	s_wait_alu 0xfffd
	v_add_co_ci_u32_e64 v18, null, v14, v16, vcc_lo
	v_cmpx_gt_u32_e64 s22, v0
	s_cbranch_execz .LBB1011_168
; %bb.133:
	s_mov_b32 s3, exec_lo
                                        ; implicit-def: $vgpr13_vgpr14
	v_cmpx_ge_u32_e64 v0, v19
	s_wait_alu 0xfffe
	s_xor_b32 s3, exec_lo, s3
; %bb.134:
	v_not_b32_e32 v13, v0
	s_delay_alu instid0(VALU_DEP_1) | instskip(SKIP_2) | instid1(VALU_DEP_2)
	v_ashrrev_i32_e32 v14, 31, v13
	v_add_co_u32 v13, vcc_lo, v17, v13
	s_wait_alu 0xfffd
	v_add_co_ci_u32_e64 v14, null, v18, v14, vcc_lo
; %bb.135:
	s_wait_alu 0xfffe
	s_and_not1_saveexec_b32 s3, s3
; %bb.136:
	v_add_co_u32 v13, vcc_lo, v15, v0
	s_wait_alu 0xfffd
	v_add_co_ci_u32_e64 v14, null, 0, v16, vcc_lo
; %bb.137:
	s_wait_alu 0xfffe
	s_or_b32 exec_lo, exec_lo, s3
	s_delay_alu instid0(VALU_DEP_1) | instskip(NEXT) | instid1(VALU_DEP_1)
	v_lshlrev_b64_e32 v[13:14], 2, v[13:14]
	v_add_co_u32 v13, vcc_lo, s10, v13
	s_wait_alu 0xfffd
	s_delay_alu instid0(VALU_DEP_2) | instskip(SKIP_3) | instid1(SALU_CYCLE_1)
	v_add_co_ci_u32_e64 v14, null, s11, v14, vcc_lo
	s_wait_dscnt 0x6
	global_store_b32 v[13:14], v11, off
	s_or_b32 exec_lo, exec_lo, s1
	s_mov_b32 s1, exec_lo
	v_cmpx_gt_u32_e64 s22, v44
	s_cbranch_execnz .LBB1011_169
.LBB1011_138:
	s_wait_alu 0xfffe
	s_or_b32 exec_lo, exec_lo, s1
	s_delay_alu instid0(SALU_CYCLE_1)
	s_mov_b32 s1, exec_lo
	v_cmpx_gt_u32_e64 s22, v43
	s_cbranch_execz .LBB1011_174
.LBB1011_139:
	s_mov_b32 s3, exec_lo
                                        ; implicit-def: $vgpr11_vgpr12
	v_cmpx_ge_u32_e64 v43, v19
	s_wait_alu 0xfffe
	s_xor_b32 s3, exec_lo, s3
	s_cbranch_execz .LBB1011_141
; %bb.140:
	s_wait_dscnt 0x6
	v_xor_b32_e32 v11, 0xfffffdff, v0
                                        ; implicit-def: $vgpr43
	s_delay_alu instid0(VALU_DEP_1) | instskip(SKIP_2) | instid1(VALU_DEP_2)
	v_ashrrev_i32_e32 v12, 31, v11
	v_add_co_u32 v11, vcc_lo, v17, v11
	s_wait_alu 0xfffd
	v_add_co_ci_u32_e64 v12, null, v18, v12, vcc_lo
.LBB1011_141:
	s_wait_alu 0xfffe
	s_and_not1_saveexec_b32 s3, s3
	s_cbranch_execz .LBB1011_143
; %bb.142:
	s_wait_dscnt 0x6
	v_add_co_u32 v11, vcc_lo, v15, v43
	s_wait_alu 0xfffd
	v_add_co_ci_u32_e64 v12, null, 0, v16, vcc_lo
.LBB1011_143:
	s_wait_alu 0xfffe
	s_or_b32 exec_lo, exec_lo, s3
	s_wait_dscnt 0x6
	s_delay_alu instid0(VALU_DEP_1) | instskip(NEXT) | instid1(VALU_DEP_1)
	v_lshlrev_b64_e32 v[11:12], 2, v[11:12]
	v_add_co_u32 v11, vcc_lo, s10, v11
	s_wait_alu 0xfffd
	s_delay_alu instid0(VALU_DEP_2) | instskip(SKIP_3) | instid1(SALU_CYCLE_1)
	v_add_co_ci_u32_e64 v12, null, s11, v12, vcc_lo
	s_wait_dscnt 0x5
	global_store_b32 v[11:12], v9, off
	s_or_b32 exec_lo, exec_lo, s1
	s_mov_b32 s1, exec_lo
	v_cmpx_gt_u32_e64 s22, v42
	s_cbranch_execnz .LBB1011_175
.LBB1011_144:
	s_wait_alu 0xfffe
	s_or_b32 exec_lo, exec_lo, s1
	s_delay_alu instid0(SALU_CYCLE_1)
	s_mov_b32 s1, exec_lo
	v_cmpx_gt_u32_e64 s22, v41
	s_cbranch_execz .LBB1011_180
.LBB1011_145:
	s_mov_b32 s3, exec_lo
                                        ; implicit-def: $vgpr9_vgpr10
	v_cmpx_ge_u32_e64 v41, v19
	s_wait_alu 0xfffe
	s_xor_b32 s3, exec_lo, s3
	s_cbranch_execz .LBB1011_147
; %bb.146:
	s_wait_dscnt 0x5
	v_xor_b32_e32 v9, 0xfffffbff, v0
                                        ; implicit-def: $vgpr41
	s_delay_alu instid0(VALU_DEP_1) | instskip(SKIP_2) | instid1(VALU_DEP_2)
	v_ashrrev_i32_e32 v10, 31, v9
	v_add_co_u32 v9, vcc_lo, v17, v9
	s_wait_alu 0xfffd
	v_add_co_ci_u32_e64 v10, null, v18, v10, vcc_lo
.LBB1011_147:
	s_wait_alu 0xfffe
	s_and_not1_saveexec_b32 s3, s3
	s_cbranch_execz .LBB1011_149
; %bb.148:
	s_wait_dscnt 0x5
	v_add_co_u32 v9, vcc_lo, v15, v41
	s_wait_alu 0xfffd
	v_add_co_ci_u32_e64 v10, null, 0, v16, vcc_lo
.LBB1011_149:
	s_wait_alu 0xfffe
	s_or_b32 exec_lo, exec_lo, s3
	s_wait_dscnt 0x5
	s_delay_alu instid0(VALU_DEP_1) | instskip(NEXT) | instid1(VALU_DEP_1)
	v_lshlrev_b64_e32 v[9:10], 2, v[9:10]
	v_add_co_u32 v9, vcc_lo, s10, v9
	s_wait_alu 0xfffd
	s_delay_alu instid0(VALU_DEP_2) | instskip(SKIP_3) | instid1(SALU_CYCLE_1)
	v_add_co_ci_u32_e64 v10, null, s11, v10, vcc_lo
	s_wait_dscnt 0x4
	global_store_b32 v[9:10], v7, off
	s_or_b32 exec_lo, exec_lo, s1
	s_mov_b32 s1, exec_lo
	v_cmpx_gt_u32_e64 s22, v40
	s_cbranch_execnz .LBB1011_181
.LBB1011_150:
	s_wait_alu 0xfffe
	s_or_b32 exec_lo, exec_lo, s1
	s_delay_alu instid0(SALU_CYCLE_1)
	s_mov_b32 s1, exec_lo
	v_cmpx_gt_u32_e64 s22, v39
	s_cbranch_execz .LBB1011_186
.LBB1011_151:
	s_mov_b32 s3, exec_lo
                                        ; implicit-def: $vgpr7_vgpr8
	v_cmpx_ge_u32_e64 v39, v19
	s_wait_alu 0xfffe
	s_xor_b32 s3, exec_lo, s3
	s_cbranch_execz .LBB1011_153
; %bb.152:
	s_wait_dscnt 0x4
	v_xor_b32_e32 v7, 0xfffff9ff, v0
                                        ; implicit-def: $vgpr39
	s_delay_alu instid0(VALU_DEP_1) | instskip(SKIP_2) | instid1(VALU_DEP_2)
	v_ashrrev_i32_e32 v8, 31, v7
	v_add_co_u32 v7, vcc_lo, v17, v7
	s_wait_alu 0xfffd
	v_add_co_ci_u32_e64 v8, null, v18, v8, vcc_lo
.LBB1011_153:
	s_wait_alu 0xfffe
	s_and_not1_saveexec_b32 s3, s3
	s_cbranch_execz .LBB1011_155
; %bb.154:
	s_wait_dscnt 0x4
	v_add_co_u32 v7, vcc_lo, v15, v39
	s_wait_alu 0xfffd
	v_add_co_ci_u32_e64 v8, null, 0, v16, vcc_lo
.LBB1011_155:
	s_wait_alu 0xfffe
	s_or_b32 exec_lo, exec_lo, s3
	s_wait_dscnt 0x4
	s_delay_alu instid0(VALU_DEP_1) | instskip(NEXT) | instid1(VALU_DEP_1)
	v_lshlrev_b64_e32 v[7:8], 2, v[7:8]
	v_add_co_u32 v7, vcc_lo, s10, v7
	s_wait_alu 0xfffd
	s_delay_alu instid0(VALU_DEP_2) | instskip(SKIP_3) | instid1(SALU_CYCLE_1)
	v_add_co_ci_u32_e64 v8, null, s11, v8, vcc_lo
	s_wait_dscnt 0x3
	global_store_b32 v[7:8], v5, off
	s_or_b32 exec_lo, exec_lo, s1
	s_mov_b32 s1, exec_lo
	v_cmpx_gt_u32_e64 s22, v38
	s_cbranch_execnz .LBB1011_187
.LBB1011_156:
	s_wait_alu 0xfffe
	s_or_b32 exec_lo, exec_lo, s1
	s_delay_alu instid0(SALU_CYCLE_1)
	s_mov_b32 s1, exec_lo
	v_cmpx_gt_u32_e64 s22, v37
	s_cbranch_execz .LBB1011_192
.LBB1011_157:
	s_mov_b32 s3, exec_lo
                                        ; implicit-def: $vgpr5_vgpr6
	v_cmpx_ge_u32_e64 v37, v19
	s_wait_alu 0xfffe
	s_xor_b32 s3, exec_lo, s3
	s_cbranch_execz .LBB1011_159
; %bb.158:
	s_wait_dscnt 0x3
	v_xor_b32_e32 v5, 0xfffff7ff, v0
                                        ; implicit-def: $vgpr37
	s_delay_alu instid0(VALU_DEP_1) | instskip(SKIP_2) | instid1(VALU_DEP_2)
	v_ashrrev_i32_e32 v6, 31, v5
	v_add_co_u32 v5, vcc_lo, v17, v5
	s_wait_alu 0xfffd
	v_add_co_ci_u32_e64 v6, null, v18, v6, vcc_lo
.LBB1011_159:
	s_wait_alu 0xfffe
	s_and_not1_saveexec_b32 s3, s3
	s_cbranch_execz .LBB1011_161
; %bb.160:
	s_wait_dscnt 0x3
	v_add_co_u32 v5, vcc_lo, v15, v37
	s_wait_alu 0xfffd
	v_add_co_ci_u32_e64 v6, null, 0, v16, vcc_lo
.LBB1011_161:
	s_wait_alu 0xfffe
	s_or_b32 exec_lo, exec_lo, s3
	s_wait_dscnt 0x3
	s_delay_alu instid0(VALU_DEP_1) | instskip(NEXT) | instid1(VALU_DEP_1)
	v_lshlrev_b64_e32 v[5:6], 2, v[5:6]
	v_add_co_u32 v5, vcc_lo, s10, v5
	s_wait_alu 0xfffd
	s_delay_alu instid0(VALU_DEP_2) | instskip(SKIP_3) | instid1(SALU_CYCLE_1)
	v_add_co_ci_u32_e64 v6, null, s11, v6, vcc_lo
	s_wait_dscnt 0x2
	global_store_b32 v[5:6], v3, off
	s_or_b32 exec_lo, exec_lo, s1
	s_mov_b32 s1, exec_lo
	v_cmpx_gt_u32_e64 s22, v36
	s_cbranch_execnz .LBB1011_193
.LBB1011_162:
	s_wait_alu 0xfffe
	s_or_b32 exec_lo, exec_lo, s1
	s_delay_alu instid0(SALU_CYCLE_1)
	s_mov_b32 s1, exec_lo
	v_cmpx_gt_u32_e64 s22, v35
	s_cbranch_execz .LBB1011_198
.LBB1011_163:
	s_mov_b32 s3, exec_lo
                                        ; implicit-def: $vgpr3_vgpr4
	v_cmpx_ge_u32_e64 v35, v19
	s_wait_alu 0xfffe
	s_xor_b32 s3, exec_lo, s3
	s_cbranch_execz .LBB1011_165
; %bb.164:
	s_wait_dscnt 0x2
	v_xor_b32_e32 v3, 0xfffff5ff, v0
                                        ; implicit-def: $vgpr35
	s_delay_alu instid0(VALU_DEP_1) | instskip(SKIP_2) | instid1(VALU_DEP_2)
	v_ashrrev_i32_e32 v4, 31, v3
	v_add_co_u32 v3, vcc_lo, v17, v3
	s_wait_alu 0xfffd
	v_add_co_ci_u32_e64 v4, null, v18, v4, vcc_lo
.LBB1011_165:
	s_wait_alu 0xfffe
	s_and_not1_saveexec_b32 s3, s3
	s_cbranch_execz .LBB1011_167
; %bb.166:
	s_wait_dscnt 0x2
	v_add_co_u32 v3, vcc_lo, v15, v35
	s_wait_alu 0xfffd
	v_add_co_ci_u32_e64 v4, null, 0, v16, vcc_lo
.LBB1011_167:
	s_wait_alu 0xfffe
	s_or_b32 exec_lo, exec_lo, s3
	s_wait_dscnt 0x2
	s_delay_alu instid0(VALU_DEP_1) | instskip(NEXT) | instid1(VALU_DEP_1)
	v_lshlrev_b64_e32 v[3:4], 2, v[3:4]
	v_add_co_u32 v3, vcc_lo, s10, v3
	s_wait_alu 0xfffd
	s_delay_alu instid0(VALU_DEP_2) | instskip(SKIP_3) | instid1(SALU_CYCLE_1)
	v_add_co_ci_u32_e64 v4, null, s11, v4, vcc_lo
	s_wait_dscnt 0x1
	global_store_b32 v[3:4], v1, off
	s_or_b32 exec_lo, exec_lo, s1
	s_mov_b32 s1, exec_lo
	v_cmpx_gt_u32_e64 s22, v34
	s_cbranch_execz .LBB1011_204
	s_branch .LBB1011_199
.LBB1011_168:
	s_wait_alu 0xfffe
	s_or_b32 exec_lo, exec_lo, s1
	s_delay_alu instid0(SALU_CYCLE_1)
	s_mov_b32 s1, exec_lo
	v_cmpx_gt_u32_e64 s22, v44
	s_cbranch_execz .LBB1011_138
.LBB1011_169:
	s_mov_b32 s3, exec_lo
                                        ; implicit-def: $vgpr13_vgpr14
	v_cmpx_ge_u32_e64 v44, v19
	s_wait_alu 0xfffe
	s_xor_b32 s3, exec_lo, s3
	s_cbranch_execz .LBB1011_171
; %bb.170:
	s_wait_dscnt 0x6
	v_xor_b32_e32 v11, 0xfffffeff, v0
                                        ; implicit-def: $vgpr44
	s_delay_alu instid0(VALU_DEP_1) | instskip(SKIP_2) | instid1(VALU_DEP_2)
	v_ashrrev_i32_e32 v14, 31, v11
	v_add_co_u32 v13, vcc_lo, v17, v11
	s_wait_alu 0xfffd
	v_add_co_ci_u32_e64 v14, null, v18, v14, vcc_lo
.LBB1011_171:
	s_wait_alu 0xfffe
	s_and_not1_saveexec_b32 s3, s3
; %bb.172:
	v_add_co_u32 v13, vcc_lo, v15, v44
	s_wait_alu 0xfffd
	v_add_co_ci_u32_e64 v14, null, 0, v16, vcc_lo
; %bb.173:
	s_wait_alu 0xfffe
	s_or_b32 exec_lo, exec_lo, s3
	s_delay_alu instid0(VALU_DEP_1) | instskip(NEXT) | instid1(VALU_DEP_1)
	v_lshlrev_b64_e32 v[13:14], 2, v[13:14]
	v_add_co_u32 v13, vcc_lo, s10, v13
	s_wait_alu 0xfffd
	s_delay_alu instid0(VALU_DEP_2) | instskip(SKIP_3) | instid1(SALU_CYCLE_1)
	v_add_co_ci_u32_e64 v14, null, s11, v14, vcc_lo
	s_wait_dscnt 0x6
	global_store_b32 v[13:14], v12, off
	s_or_b32 exec_lo, exec_lo, s1
	s_mov_b32 s1, exec_lo
	v_cmpx_gt_u32_e64 s22, v43
	s_cbranch_execnz .LBB1011_139
.LBB1011_174:
	s_wait_alu 0xfffe
	s_or_b32 exec_lo, exec_lo, s1
	s_delay_alu instid0(SALU_CYCLE_1)
	s_mov_b32 s1, exec_lo
	v_cmpx_gt_u32_e64 s22, v42
	s_cbranch_execz .LBB1011_144
.LBB1011_175:
	s_mov_b32 s3, exec_lo
                                        ; implicit-def: $vgpr11_vgpr12
	v_cmpx_ge_u32_e64 v42, v19
	s_wait_alu 0xfffe
	s_xor_b32 s3, exec_lo, s3
	s_cbranch_execz .LBB1011_177
; %bb.176:
	s_wait_dscnt 0x5
	v_xor_b32_e32 v9, 0xfffffcff, v0
                                        ; implicit-def: $vgpr42
	s_delay_alu instid0(VALU_DEP_1) | instskip(SKIP_2) | instid1(VALU_DEP_2)
	v_ashrrev_i32_e32 v12, 31, v9
	v_add_co_u32 v11, vcc_lo, v17, v9
	s_wait_alu 0xfffd
	v_add_co_ci_u32_e64 v12, null, v18, v12, vcc_lo
.LBB1011_177:
	s_wait_alu 0xfffe
	s_and_not1_saveexec_b32 s3, s3
	s_cbranch_execz .LBB1011_179
; %bb.178:
	s_wait_dscnt 0x6
	v_add_co_u32 v11, vcc_lo, v15, v42
	s_wait_alu 0xfffd
	v_add_co_ci_u32_e64 v12, null, 0, v16, vcc_lo
.LBB1011_179:
	s_wait_alu 0xfffe
	s_or_b32 exec_lo, exec_lo, s3
	s_wait_dscnt 0x6
	s_delay_alu instid0(VALU_DEP_1) | instskip(NEXT) | instid1(VALU_DEP_1)
	v_lshlrev_b64_e32 v[11:12], 2, v[11:12]
	v_add_co_u32 v11, vcc_lo, s10, v11
	s_wait_alu 0xfffd
	s_delay_alu instid0(VALU_DEP_2) | instskip(SKIP_3) | instid1(SALU_CYCLE_1)
	v_add_co_ci_u32_e64 v12, null, s11, v12, vcc_lo
	s_wait_dscnt 0x5
	global_store_b32 v[11:12], v10, off
	s_or_b32 exec_lo, exec_lo, s1
	s_mov_b32 s1, exec_lo
	v_cmpx_gt_u32_e64 s22, v41
	s_cbranch_execnz .LBB1011_145
.LBB1011_180:
	s_wait_alu 0xfffe
	s_or_b32 exec_lo, exec_lo, s1
	s_delay_alu instid0(SALU_CYCLE_1)
	s_mov_b32 s1, exec_lo
	v_cmpx_gt_u32_e64 s22, v40
	s_cbranch_execz .LBB1011_150
.LBB1011_181:
	s_mov_b32 s3, exec_lo
                                        ; implicit-def: $vgpr9_vgpr10
	v_cmpx_ge_u32_e64 v40, v19
	s_wait_alu 0xfffe
	s_xor_b32 s3, exec_lo, s3
	s_cbranch_execz .LBB1011_183
; %bb.182:
	s_wait_dscnt 0x4
	v_xor_b32_e32 v7, 0xfffffaff, v0
                                        ; implicit-def: $vgpr40
	s_delay_alu instid0(VALU_DEP_1) | instskip(SKIP_2) | instid1(VALU_DEP_2)
	v_ashrrev_i32_e32 v10, 31, v7
	v_add_co_u32 v9, vcc_lo, v17, v7
	s_wait_alu 0xfffd
	v_add_co_ci_u32_e64 v10, null, v18, v10, vcc_lo
.LBB1011_183:
	s_wait_alu 0xfffe
	s_and_not1_saveexec_b32 s3, s3
	s_cbranch_execz .LBB1011_185
; %bb.184:
	s_wait_dscnt 0x5
	v_add_co_u32 v9, vcc_lo, v15, v40
	s_wait_alu 0xfffd
	v_add_co_ci_u32_e64 v10, null, 0, v16, vcc_lo
.LBB1011_185:
	s_wait_alu 0xfffe
	s_or_b32 exec_lo, exec_lo, s3
	s_wait_dscnt 0x5
	s_delay_alu instid0(VALU_DEP_1) | instskip(NEXT) | instid1(VALU_DEP_1)
	v_lshlrev_b64_e32 v[9:10], 2, v[9:10]
	v_add_co_u32 v9, vcc_lo, s10, v9
	s_wait_alu 0xfffd
	s_delay_alu instid0(VALU_DEP_2) | instskip(SKIP_3) | instid1(SALU_CYCLE_1)
	v_add_co_ci_u32_e64 v10, null, s11, v10, vcc_lo
	s_wait_dscnt 0x4
	global_store_b32 v[9:10], v8, off
	s_or_b32 exec_lo, exec_lo, s1
	s_mov_b32 s1, exec_lo
	v_cmpx_gt_u32_e64 s22, v39
	s_cbranch_execnz .LBB1011_151
.LBB1011_186:
	s_wait_alu 0xfffe
	s_or_b32 exec_lo, exec_lo, s1
	s_delay_alu instid0(SALU_CYCLE_1)
	s_mov_b32 s1, exec_lo
	v_cmpx_gt_u32_e64 s22, v38
	s_cbranch_execz .LBB1011_156
.LBB1011_187:
	s_mov_b32 s3, exec_lo
                                        ; implicit-def: $vgpr7_vgpr8
	v_cmpx_ge_u32_e64 v38, v19
	s_wait_alu 0xfffe
	s_xor_b32 s3, exec_lo, s3
	s_cbranch_execz .LBB1011_189
; %bb.188:
	s_wait_dscnt 0x3
	v_xor_b32_e32 v5, 0xfffff8ff, v0
                                        ; implicit-def: $vgpr38
	s_delay_alu instid0(VALU_DEP_1) | instskip(SKIP_2) | instid1(VALU_DEP_2)
	v_ashrrev_i32_e32 v8, 31, v5
	v_add_co_u32 v7, vcc_lo, v17, v5
	s_wait_alu 0xfffd
	v_add_co_ci_u32_e64 v8, null, v18, v8, vcc_lo
.LBB1011_189:
	s_wait_alu 0xfffe
	s_and_not1_saveexec_b32 s3, s3
	s_cbranch_execz .LBB1011_191
; %bb.190:
	s_wait_dscnt 0x4
	v_add_co_u32 v7, vcc_lo, v15, v38
	s_wait_alu 0xfffd
	v_add_co_ci_u32_e64 v8, null, 0, v16, vcc_lo
.LBB1011_191:
	s_wait_alu 0xfffe
	s_or_b32 exec_lo, exec_lo, s3
	s_wait_dscnt 0x4
	s_delay_alu instid0(VALU_DEP_1) | instskip(NEXT) | instid1(VALU_DEP_1)
	v_lshlrev_b64_e32 v[7:8], 2, v[7:8]
	v_add_co_u32 v7, vcc_lo, s10, v7
	s_wait_alu 0xfffd
	s_delay_alu instid0(VALU_DEP_2) | instskip(SKIP_3) | instid1(SALU_CYCLE_1)
	v_add_co_ci_u32_e64 v8, null, s11, v8, vcc_lo
	s_wait_dscnt 0x3
	global_store_b32 v[7:8], v6, off
	s_or_b32 exec_lo, exec_lo, s1
	s_mov_b32 s1, exec_lo
	v_cmpx_gt_u32_e64 s22, v37
	s_cbranch_execnz .LBB1011_157
.LBB1011_192:
	s_wait_alu 0xfffe
	s_or_b32 exec_lo, exec_lo, s1
	s_delay_alu instid0(SALU_CYCLE_1)
	s_mov_b32 s1, exec_lo
	v_cmpx_gt_u32_e64 s22, v36
	s_cbranch_execz .LBB1011_162
.LBB1011_193:
	s_mov_b32 s3, exec_lo
                                        ; implicit-def: $vgpr5_vgpr6
	v_cmpx_ge_u32_e64 v36, v19
	s_wait_alu 0xfffe
	s_xor_b32 s3, exec_lo, s3
	s_cbranch_execz .LBB1011_195
; %bb.194:
	s_wait_dscnt 0x2
	v_xor_b32_e32 v3, 0xfffff6ff, v0
                                        ; implicit-def: $vgpr36
	s_delay_alu instid0(VALU_DEP_1) | instskip(SKIP_2) | instid1(VALU_DEP_2)
	v_ashrrev_i32_e32 v6, 31, v3
	v_add_co_u32 v5, vcc_lo, v17, v3
	s_wait_alu 0xfffd
	v_add_co_ci_u32_e64 v6, null, v18, v6, vcc_lo
.LBB1011_195:
	s_wait_alu 0xfffe
	s_and_not1_saveexec_b32 s3, s3
	s_cbranch_execz .LBB1011_197
; %bb.196:
	s_wait_dscnt 0x3
	v_add_co_u32 v5, vcc_lo, v15, v36
	s_wait_alu 0xfffd
	v_add_co_ci_u32_e64 v6, null, 0, v16, vcc_lo
.LBB1011_197:
	s_wait_alu 0xfffe
	s_or_b32 exec_lo, exec_lo, s3
	s_wait_dscnt 0x3
	s_delay_alu instid0(VALU_DEP_1) | instskip(NEXT) | instid1(VALU_DEP_1)
	v_lshlrev_b64_e32 v[5:6], 2, v[5:6]
	v_add_co_u32 v5, vcc_lo, s10, v5
	s_wait_alu 0xfffd
	s_delay_alu instid0(VALU_DEP_2) | instskip(SKIP_3) | instid1(SALU_CYCLE_1)
	v_add_co_ci_u32_e64 v6, null, s11, v6, vcc_lo
	s_wait_dscnt 0x2
	global_store_b32 v[5:6], v4, off
	s_or_b32 exec_lo, exec_lo, s1
	s_mov_b32 s1, exec_lo
	v_cmpx_gt_u32_e64 s22, v35
	s_cbranch_execnz .LBB1011_163
.LBB1011_198:
	s_wait_alu 0xfffe
	s_or_b32 exec_lo, exec_lo, s1
	s_delay_alu instid0(SALU_CYCLE_1)
	s_mov_b32 s1, exec_lo
	v_cmpx_gt_u32_e64 s22, v34
	s_cbranch_execz .LBB1011_204
.LBB1011_199:
	s_mov_b32 s3, exec_lo
                                        ; implicit-def: $vgpr3_vgpr4
	v_cmpx_ge_u32_e64 v34, v19
	s_wait_alu 0xfffe
	s_xor_b32 s3, exec_lo, s3
	s_cbranch_execz .LBB1011_201
; %bb.200:
	s_wait_dscnt 0x1
	v_xor_b32_e32 v1, 0xfffff4ff, v0
                                        ; implicit-def: $vgpr34
	s_delay_alu instid0(VALU_DEP_1) | instskip(SKIP_2) | instid1(VALU_DEP_2)
	v_ashrrev_i32_e32 v4, 31, v1
	v_add_co_u32 v3, vcc_lo, v17, v1
	s_wait_alu 0xfffd
	v_add_co_ci_u32_e64 v4, null, v18, v4, vcc_lo
.LBB1011_201:
	s_wait_alu 0xfffe
	s_and_not1_saveexec_b32 s3, s3
	s_cbranch_execz .LBB1011_203
; %bb.202:
	s_wait_dscnt 0x2
	v_add_co_u32 v3, vcc_lo, v15, v34
	s_wait_alu 0xfffd
	v_add_co_ci_u32_e64 v4, null, 0, v16, vcc_lo
.LBB1011_203:
	s_wait_alu 0xfffe
	s_or_b32 exec_lo, exec_lo, s3
	s_wait_dscnt 0x2
	s_delay_alu instid0(VALU_DEP_1) | instskip(NEXT) | instid1(VALU_DEP_1)
	v_lshlrev_b64_e32 v[3:4], 2, v[3:4]
	v_add_co_u32 v3, vcc_lo, s10, v3
	s_wait_alu 0xfffd
	s_delay_alu instid0(VALU_DEP_2)
	v_add_co_ci_u32_e64 v4, null, s11, v4, vcc_lo
	s_wait_dscnt 0x1
	global_store_b32 v[3:4], v2, off
.LBB1011_204:
	s_wait_alu 0xfffe
	s_or_b32 exec_lo, exec_lo, s1
	s_delay_alu instid0(SALU_CYCLE_1)
	s_mov_b32 s1, exec_lo
                                        ; implicit-def: $vgpr13_vgpr14
	v_cmpx_gt_u32_e64 s22, v33
	s_cbranch_execz .LBB1011_210
; %bb.205:
	s_mov_b32 s3, exec_lo
                                        ; implicit-def: $vgpr13_vgpr14
	v_cmpx_ge_u32_e64 v33, v19
	s_wait_alu 0xfffe
	s_xor_b32 s3, exec_lo, s3
	s_cbranch_execz .LBB1011_207
; %bb.206:
	v_xor_b32_e32 v0, 0xfffff3ff, v0
                                        ; implicit-def: $vgpr33
	s_wait_dscnt 0x1
	s_delay_alu instid0(VALU_DEP_1) | instskip(SKIP_2) | instid1(VALU_DEP_2)
	v_ashrrev_i32_e32 v1, 31, v0
	v_add_co_u32 v13, vcc_lo, v17, v0
	s_wait_alu 0xfffd
	v_add_co_ci_u32_e64 v14, null, v18, v1, vcc_lo
.LBB1011_207:
	s_wait_alu 0xfffe
	s_and_not1_saveexec_b32 s3, s3
; %bb.208:
	v_add_co_u32 v13, vcc_lo, v15, v33
	s_wait_alu 0xfffd
	v_add_co_ci_u32_e64 v14, null, 0, v16, vcc_lo
; %bb.209:
	s_wait_alu 0xfffe
	s_or_b32 exec_lo, exec_lo, s3
	s_delay_alu instid0(SALU_CYCLE_1)
	s_or_b32 s0, s0, exec_lo
.LBB1011_210:
	s_wait_alu 0xfffe
	s_or_b32 exec_lo, exec_lo, s1
	s_and_saveexec_b32 s1, s0
	s_cbranch_execnz .LBB1011_129
.LBB1011_211:
	s_wait_alu 0xfffe
	s_or_b32 exec_lo, exec_lo, s1
	s_and_b32 s0, s2, s9
	s_wait_alu 0xfffe
	s_and_saveexec_b32 s1, s0
	s_cbranch_execz .LBB1011_130
.LBB1011_212:
	v_add_co_u32 v0, vcc_lo, v15, v19
	s_wait_dscnt 0x1
	v_mov_b32_e32 v2, 0
	s_wait_alu 0xfffd
	v_add_co_ci_u32_e64 v1, null, 0, v16, vcc_lo
	global_store_b64 v2, v[0:1], s[12:13]
	s_endpgm
	.section	.rodata,"a",@progbits
	.p2align	6, 0x0
	.amdhsa_kernel _ZN7rocprim17ROCPRIM_400000_NS6detail17trampoline_kernelINS0_13select_configILj256ELj13ELNS0_17block_load_methodE3ELS4_3ELS4_3ELNS0_20block_scan_algorithmE0ELj4294967295EEENS1_25partition_config_selectorILNS1_17partition_subalgoE3EjNS0_10empty_typeEbEEZZNS1_14partition_implILS8_3ELb0ES6_jNS0_17counting_iteratorIjlEEPS9_SE_NS0_5tupleIJPjSE_EEENSF_IJSE_SE_EEES9_SG_JZNS1_25segmented_radix_sort_implINS0_14default_configELb0EPKsPsPKlPlN2at6native12_GLOBAL__N_18offset_tEEE10hipError_tPvRmT1_PNSt15iterator_traitsISY_E10value_typeET2_T3_PNSZ_IS14_E10value_typeET4_jRbjT5_S1A_jjP12ihipStream_tbEUljE_EEESV_SW_SX_S14_S18_S1A_T6_T7_T9_mT8_S1C_bDpT10_ENKUlT_T0_E_clISt17integral_constantIbLb0EES1O_IbLb1EEEEDaS1K_S1L_EUlS1K_E_NS1_11comp_targetILNS1_3genE10ELNS1_11target_archE1200ELNS1_3gpuE4ELNS1_3repE0EEENS1_30default_config_static_selectorELNS0_4arch9wavefront6targetE0EEEvSY_
		.amdhsa_group_segment_fixed_size 13320
		.amdhsa_private_segment_fixed_size 0
		.amdhsa_kernarg_size 152
		.amdhsa_user_sgpr_count 2
		.amdhsa_user_sgpr_dispatch_ptr 0
		.amdhsa_user_sgpr_queue_ptr 0
		.amdhsa_user_sgpr_kernarg_segment_ptr 1
		.amdhsa_user_sgpr_dispatch_id 0
		.amdhsa_user_sgpr_private_segment_size 0
		.amdhsa_wavefront_size32 1
		.amdhsa_uses_dynamic_stack 0
		.amdhsa_enable_private_segment 0
		.amdhsa_system_sgpr_workgroup_id_x 1
		.amdhsa_system_sgpr_workgroup_id_y 0
		.amdhsa_system_sgpr_workgroup_id_z 0
		.amdhsa_system_sgpr_workgroup_info 0
		.amdhsa_system_vgpr_workitem_id 0
		.amdhsa_next_free_vgpr 71
		.amdhsa_next_free_sgpr 26
		.amdhsa_reserve_vcc 1
		.amdhsa_float_round_mode_32 0
		.amdhsa_float_round_mode_16_64 0
		.amdhsa_float_denorm_mode_32 3
		.amdhsa_float_denorm_mode_16_64 3
		.amdhsa_fp16_overflow 0
		.amdhsa_workgroup_processor_mode 1
		.amdhsa_memory_ordered 1
		.amdhsa_forward_progress 1
		.amdhsa_inst_pref_size 86
		.amdhsa_round_robin_scheduling 0
		.amdhsa_exception_fp_ieee_invalid_op 0
		.amdhsa_exception_fp_denorm_src 0
		.amdhsa_exception_fp_ieee_div_zero 0
		.amdhsa_exception_fp_ieee_overflow 0
		.amdhsa_exception_fp_ieee_underflow 0
		.amdhsa_exception_fp_ieee_inexact 0
		.amdhsa_exception_int_div_zero 0
	.end_amdhsa_kernel
	.section	.text._ZN7rocprim17ROCPRIM_400000_NS6detail17trampoline_kernelINS0_13select_configILj256ELj13ELNS0_17block_load_methodE3ELS4_3ELS4_3ELNS0_20block_scan_algorithmE0ELj4294967295EEENS1_25partition_config_selectorILNS1_17partition_subalgoE3EjNS0_10empty_typeEbEEZZNS1_14partition_implILS8_3ELb0ES6_jNS0_17counting_iteratorIjlEEPS9_SE_NS0_5tupleIJPjSE_EEENSF_IJSE_SE_EEES9_SG_JZNS1_25segmented_radix_sort_implINS0_14default_configELb0EPKsPsPKlPlN2at6native12_GLOBAL__N_18offset_tEEE10hipError_tPvRmT1_PNSt15iterator_traitsISY_E10value_typeET2_T3_PNSZ_IS14_E10value_typeET4_jRbjT5_S1A_jjP12ihipStream_tbEUljE_EEESV_SW_SX_S14_S18_S1A_T6_T7_T9_mT8_S1C_bDpT10_ENKUlT_T0_E_clISt17integral_constantIbLb0EES1O_IbLb1EEEEDaS1K_S1L_EUlS1K_E_NS1_11comp_targetILNS1_3genE10ELNS1_11target_archE1200ELNS1_3gpuE4ELNS1_3repE0EEENS1_30default_config_static_selectorELNS0_4arch9wavefront6targetE0EEEvSY_,"axG",@progbits,_ZN7rocprim17ROCPRIM_400000_NS6detail17trampoline_kernelINS0_13select_configILj256ELj13ELNS0_17block_load_methodE3ELS4_3ELS4_3ELNS0_20block_scan_algorithmE0ELj4294967295EEENS1_25partition_config_selectorILNS1_17partition_subalgoE3EjNS0_10empty_typeEbEEZZNS1_14partition_implILS8_3ELb0ES6_jNS0_17counting_iteratorIjlEEPS9_SE_NS0_5tupleIJPjSE_EEENSF_IJSE_SE_EEES9_SG_JZNS1_25segmented_radix_sort_implINS0_14default_configELb0EPKsPsPKlPlN2at6native12_GLOBAL__N_18offset_tEEE10hipError_tPvRmT1_PNSt15iterator_traitsISY_E10value_typeET2_T3_PNSZ_IS14_E10value_typeET4_jRbjT5_S1A_jjP12ihipStream_tbEUljE_EEESV_SW_SX_S14_S18_S1A_T6_T7_T9_mT8_S1C_bDpT10_ENKUlT_T0_E_clISt17integral_constantIbLb0EES1O_IbLb1EEEEDaS1K_S1L_EUlS1K_E_NS1_11comp_targetILNS1_3genE10ELNS1_11target_archE1200ELNS1_3gpuE4ELNS1_3repE0EEENS1_30default_config_static_selectorELNS0_4arch9wavefront6targetE0EEEvSY_,comdat
.Lfunc_end1011:
	.size	_ZN7rocprim17ROCPRIM_400000_NS6detail17trampoline_kernelINS0_13select_configILj256ELj13ELNS0_17block_load_methodE3ELS4_3ELS4_3ELNS0_20block_scan_algorithmE0ELj4294967295EEENS1_25partition_config_selectorILNS1_17partition_subalgoE3EjNS0_10empty_typeEbEEZZNS1_14partition_implILS8_3ELb0ES6_jNS0_17counting_iteratorIjlEEPS9_SE_NS0_5tupleIJPjSE_EEENSF_IJSE_SE_EEES9_SG_JZNS1_25segmented_radix_sort_implINS0_14default_configELb0EPKsPsPKlPlN2at6native12_GLOBAL__N_18offset_tEEE10hipError_tPvRmT1_PNSt15iterator_traitsISY_E10value_typeET2_T3_PNSZ_IS14_E10value_typeET4_jRbjT5_S1A_jjP12ihipStream_tbEUljE_EEESV_SW_SX_S14_S18_S1A_T6_T7_T9_mT8_S1C_bDpT10_ENKUlT_T0_E_clISt17integral_constantIbLb0EES1O_IbLb1EEEEDaS1K_S1L_EUlS1K_E_NS1_11comp_targetILNS1_3genE10ELNS1_11target_archE1200ELNS1_3gpuE4ELNS1_3repE0EEENS1_30default_config_static_selectorELNS0_4arch9wavefront6targetE0EEEvSY_, .Lfunc_end1011-_ZN7rocprim17ROCPRIM_400000_NS6detail17trampoline_kernelINS0_13select_configILj256ELj13ELNS0_17block_load_methodE3ELS4_3ELS4_3ELNS0_20block_scan_algorithmE0ELj4294967295EEENS1_25partition_config_selectorILNS1_17partition_subalgoE3EjNS0_10empty_typeEbEEZZNS1_14partition_implILS8_3ELb0ES6_jNS0_17counting_iteratorIjlEEPS9_SE_NS0_5tupleIJPjSE_EEENSF_IJSE_SE_EEES9_SG_JZNS1_25segmented_radix_sort_implINS0_14default_configELb0EPKsPsPKlPlN2at6native12_GLOBAL__N_18offset_tEEE10hipError_tPvRmT1_PNSt15iterator_traitsISY_E10value_typeET2_T3_PNSZ_IS14_E10value_typeET4_jRbjT5_S1A_jjP12ihipStream_tbEUljE_EEESV_SW_SX_S14_S18_S1A_T6_T7_T9_mT8_S1C_bDpT10_ENKUlT_T0_E_clISt17integral_constantIbLb0EES1O_IbLb1EEEEDaS1K_S1L_EUlS1K_E_NS1_11comp_targetILNS1_3genE10ELNS1_11target_archE1200ELNS1_3gpuE4ELNS1_3repE0EEENS1_30default_config_static_selectorELNS0_4arch9wavefront6targetE0EEEvSY_
                                        ; -- End function
	.set _ZN7rocprim17ROCPRIM_400000_NS6detail17trampoline_kernelINS0_13select_configILj256ELj13ELNS0_17block_load_methodE3ELS4_3ELS4_3ELNS0_20block_scan_algorithmE0ELj4294967295EEENS1_25partition_config_selectorILNS1_17partition_subalgoE3EjNS0_10empty_typeEbEEZZNS1_14partition_implILS8_3ELb0ES6_jNS0_17counting_iteratorIjlEEPS9_SE_NS0_5tupleIJPjSE_EEENSF_IJSE_SE_EEES9_SG_JZNS1_25segmented_radix_sort_implINS0_14default_configELb0EPKsPsPKlPlN2at6native12_GLOBAL__N_18offset_tEEE10hipError_tPvRmT1_PNSt15iterator_traitsISY_E10value_typeET2_T3_PNSZ_IS14_E10value_typeET4_jRbjT5_S1A_jjP12ihipStream_tbEUljE_EEESV_SW_SX_S14_S18_S1A_T6_T7_T9_mT8_S1C_bDpT10_ENKUlT_T0_E_clISt17integral_constantIbLb0EES1O_IbLb1EEEEDaS1K_S1L_EUlS1K_E_NS1_11comp_targetILNS1_3genE10ELNS1_11target_archE1200ELNS1_3gpuE4ELNS1_3repE0EEENS1_30default_config_static_selectorELNS0_4arch9wavefront6targetE0EEEvSY_.num_vgpr, 71
	.set _ZN7rocprim17ROCPRIM_400000_NS6detail17trampoline_kernelINS0_13select_configILj256ELj13ELNS0_17block_load_methodE3ELS4_3ELS4_3ELNS0_20block_scan_algorithmE0ELj4294967295EEENS1_25partition_config_selectorILNS1_17partition_subalgoE3EjNS0_10empty_typeEbEEZZNS1_14partition_implILS8_3ELb0ES6_jNS0_17counting_iteratorIjlEEPS9_SE_NS0_5tupleIJPjSE_EEENSF_IJSE_SE_EEES9_SG_JZNS1_25segmented_radix_sort_implINS0_14default_configELb0EPKsPsPKlPlN2at6native12_GLOBAL__N_18offset_tEEE10hipError_tPvRmT1_PNSt15iterator_traitsISY_E10value_typeET2_T3_PNSZ_IS14_E10value_typeET4_jRbjT5_S1A_jjP12ihipStream_tbEUljE_EEESV_SW_SX_S14_S18_S1A_T6_T7_T9_mT8_S1C_bDpT10_ENKUlT_T0_E_clISt17integral_constantIbLb0EES1O_IbLb1EEEEDaS1K_S1L_EUlS1K_E_NS1_11comp_targetILNS1_3genE10ELNS1_11target_archE1200ELNS1_3gpuE4ELNS1_3repE0EEENS1_30default_config_static_selectorELNS0_4arch9wavefront6targetE0EEEvSY_.num_agpr, 0
	.set _ZN7rocprim17ROCPRIM_400000_NS6detail17trampoline_kernelINS0_13select_configILj256ELj13ELNS0_17block_load_methodE3ELS4_3ELS4_3ELNS0_20block_scan_algorithmE0ELj4294967295EEENS1_25partition_config_selectorILNS1_17partition_subalgoE3EjNS0_10empty_typeEbEEZZNS1_14partition_implILS8_3ELb0ES6_jNS0_17counting_iteratorIjlEEPS9_SE_NS0_5tupleIJPjSE_EEENSF_IJSE_SE_EEES9_SG_JZNS1_25segmented_radix_sort_implINS0_14default_configELb0EPKsPsPKlPlN2at6native12_GLOBAL__N_18offset_tEEE10hipError_tPvRmT1_PNSt15iterator_traitsISY_E10value_typeET2_T3_PNSZ_IS14_E10value_typeET4_jRbjT5_S1A_jjP12ihipStream_tbEUljE_EEESV_SW_SX_S14_S18_S1A_T6_T7_T9_mT8_S1C_bDpT10_ENKUlT_T0_E_clISt17integral_constantIbLb0EES1O_IbLb1EEEEDaS1K_S1L_EUlS1K_E_NS1_11comp_targetILNS1_3genE10ELNS1_11target_archE1200ELNS1_3gpuE4ELNS1_3repE0EEENS1_30default_config_static_selectorELNS0_4arch9wavefront6targetE0EEEvSY_.numbered_sgpr, 26
	.set _ZN7rocprim17ROCPRIM_400000_NS6detail17trampoline_kernelINS0_13select_configILj256ELj13ELNS0_17block_load_methodE3ELS4_3ELS4_3ELNS0_20block_scan_algorithmE0ELj4294967295EEENS1_25partition_config_selectorILNS1_17partition_subalgoE3EjNS0_10empty_typeEbEEZZNS1_14partition_implILS8_3ELb0ES6_jNS0_17counting_iteratorIjlEEPS9_SE_NS0_5tupleIJPjSE_EEENSF_IJSE_SE_EEES9_SG_JZNS1_25segmented_radix_sort_implINS0_14default_configELb0EPKsPsPKlPlN2at6native12_GLOBAL__N_18offset_tEEE10hipError_tPvRmT1_PNSt15iterator_traitsISY_E10value_typeET2_T3_PNSZ_IS14_E10value_typeET4_jRbjT5_S1A_jjP12ihipStream_tbEUljE_EEESV_SW_SX_S14_S18_S1A_T6_T7_T9_mT8_S1C_bDpT10_ENKUlT_T0_E_clISt17integral_constantIbLb0EES1O_IbLb1EEEEDaS1K_S1L_EUlS1K_E_NS1_11comp_targetILNS1_3genE10ELNS1_11target_archE1200ELNS1_3gpuE4ELNS1_3repE0EEENS1_30default_config_static_selectorELNS0_4arch9wavefront6targetE0EEEvSY_.num_named_barrier, 0
	.set _ZN7rocprim17ROCPRIM_400000_NS6detail17trampoline_kernelINS0_13select_configILj256ELj13ELNS0_17block_load_methodE3ELS4_3ELS4_3ELNS0_20block_scan_algorithmE0ELj4294967295EEENS1_25partition_config_selectorILNS1_17partition_subalgoE3EjNS0_10empty_typeEbEEZZNS1_14partition_implILS8_3ELb0ES6_jNS0_17counting_iteratorIjlEEPS9_SE_NS0_5tupleIJPjSE_EEENSF_IJSE_SE_EEES9_SG_JZNS1_25segmented_radix_sort_implINS0_14default_configELb0EPKsPsPKlPlN2at6native12_GLOBAL__N_18offset_tEEE10hipError_tPvRmT1_PNSt15iterator_traitsISY_E10value_typeET2_T3_PNSZ_IS14_E10value_typeET4_jRbjT5_S1A_jjP12ihipStream_tbEUljE_EEESV_SW_SX_S14_S18_S1A_T6_T7_T9_mT8_S1C_bDpT10_ENKUlT_T0_E_clISt17integral_constantIbLb0EES1O_IbLb1EEEEDaS1K_S1L_EUlS1K_E_NS1_11comp_targetILNS1_3genE10ELNS1_11target_archE1200ELNS1_3gpuE4ELNS1_3repE0EEENS1_30default_config_static_selectorELNS0_4arch9wavefront6targetE0EEEvSY_.private_seg_size, 0
	.set _ZN7rocprim17ROCPRIM_400000_NS6detail17trampoline_kernelINS0_13select_configILj256ELj13ELNS0_17block_load_methodE3ELS4_3ELS4_3ELNS0_20block_scan_algorithmE0ELj4294967295EEENS1_25partition_config_selectorILNS1_17partition_subalgoE3EjNS0_10empty_typeEbEEZZNS1_14partition_implILS8_3ELb0ES6_jNS0_17counting_iteratorIjlEEPS9_SE_NS0_5tupleIJPjSE_EEENSF_IJSE_SE_EEES9_SG_JZNS1_25segmented_radix_sort_implINS0_14default_configELb0EPKsPsPKlPlN2at6native12_GLOBAL__N_18offset_tEEE10hipError_tPvRmT1_PNSt15iterator_traitsISY_E10value_typeET2_T3_PNSZ_IS14_E10value_typeET4_jRbjT5_S1A_jjP12ihipStream_tbEUljE_EEESV_SW_SX_S14_S18_S1A_T6_T7_T9_mT8_S1C_bDpT10_ENKUlT_T0_E_clISt17integral_constantIbLb0EES1O_IbLb1EEEEDaS1K_S1L_EUlS1K_E_NS1_11comp_targetILNS1_3genE10ELNS1_11target_archE1200ELNS1_3gpuE4ELNS1_3repE0EEENS1_30default_config_static_selectorELNS0_4arch9wavefront6targetE0EEEvSY_.uses_vcc, 1
	.set _ZN7rocprim17ROCPRIM_400000_NS6detail17trampoline_kernelINS0_13select_configILj256ELj13ELNS0_17block_load_methodE3ELS4_3ELS4_3ELNS0_20block_scan_algorithmE0ELj4294967295EEENS1_25partition_config_selectorILNS1_17partition_subalgoE3EjNS0_10empty_typeEbEEZZNS1_14partition_implILS8_3ELb0ES6_jNS0_17counting_iteratorIjlEEPS9_SE_NS0_5tupleIJPjSE_EEENSF_IJSE_SE_EEES9_SG_JZNS1_25segmented_radix_sort_implINS0_14default_configELb0EPKsPsPKlPlN2at6native12_GLOBAL__N_18offset_tEEE10hipError_tPvRmT1_PNSt15iterator_traitsISY_E10value_typeET2_T3_PNSZ_IS14_E10value_typeET4_jRbjT5_S1A_jjP12ihipStream_tbEUljE_EEESV_SW_SX_S14_S18_S1A_T6_T7_T9_mT8_S1C_bDpT10_ENKUlT_T0_E_clISt17integral_constantIbLb0EES1O_IbLb1EEEEDaS1K_S1L_EUlS1K_E_NS1_11comp_targetILNS1_3genE10ELNS1_11target_archE1200ELNS1_3gpuE4ELNS1_3repE0EEENS1_30default_config_static_selectorELNS0_4arch9wavefront6targetE0EEEvSY_.uses_flat_scratch, 0
	.set _ZN7rocprim17ROCPRIM_400000_NS6detail17trampoline_kernelINS0_13select_configILj256ELj13ELNS0_17block_load_methodE3ELS4_3ELS4_3ELNS0_20block_scan_algorithmE0ELj4294967295EEENS1_25partition_config_selectorILNS1_17partition_subalgoE3EjNS0_10empty_typeEbEEZZNS1_14partition_implILS8_3ELb0ES6_jNS0_17counting_iteratorIjlEEPS9_SE_NS0_5tupleIJPjSE_EEENSF_IJSE_SE_EEES9_SG_JZNS1_25segmented_radix_sort_implINS0_14default_configELb0EPKsPsPKlPlN2at6native12_GLOBAL__N_18offset_tEEE10hipError_tPvRmT1_PNSt15iterator_traitsISY_E10value_typeET2_T3_PNSZ_IS14_E10value_typeET4_jRbjT5_S1A_jjP12ihipStream_tbEUljE_EEESV_SW_SX_S14_S18_S1A_T6_T7_T9_mT8_S1C_bDpT10_ENKUlT_T0_E_clISt17integral_constantIbLb0EES1O_IbLb1EEEEDaS1K_S1L_EUlS1K_E_NS1_11comp_targetILNS1_3genE10ELNS1_11target_archE1200ELNS1_3gpuE4ELNS1_3repE0EEENS1_30default_config_static_selectorELNS0_4arch9wavefront6targetE0EEEvSY_.has_dyn_sized_stack, 0
	.set _ZN7rocprim17ROCPRIM_400000_NS6detail17trampoline_kernelINS0_13select_configILj256ELj13ELNS0_17block_load_methodE3ELS4_3ELS4_3ELNS0_20block_scan_algorithmE0ELj4294967295EEENS1_25partition_config_selectorILNS1_17partition_subalgoE3EjNS0_10empty_typeEbEEZZNS1_14partition_implILS8_3ELb0ES6_jNS0_17counting_iteratorIjlEEPS9_SE_NS0_5tupleIJPjSE_EEENSF_IJSE_SE_EEES9_SG_JZNS1_25segmented_radix_sort_implINS0_14default_configELb0EPKsPsPKlPlN2at6native12_GLOBAL__N_18offset_tEEE10hipError_tPvRmT1_PNSt15iterator_traitsISY_E10value_typeET2_T3_PNSZ_IS14_E10value_typeET4_jRbjT5_S1A_jjP12ihipStream_tbEUljE_EEESV_SW_SX_S14_S18_S1A_T6_T7_T9_mT8_S1C_bDpT10_ENKUlT_T0_E_clISt17integral_constantIbLb0EES1O_IbLb1EEEEDaS1K_S1L_EUlS1K_E_NS1_11comp_targetILNS1_3genE10ELNS1_11target_archE1200ELNS1_3gpuE4ELNS1_3repE0EEENS1_30default_config_static_selectorELNS0_4arch9wavefront6targetE0EEEvSY_.has_recursion, 0
	.set _ZN7rocprim17ROCPRIM_400000_NS6detail17trampoline_kernelINS0_13select_configILj256ELj13ELNS0_17block_load_methodE3ELS4_3ELS4_3ELNS0_20block_scan_algorithmE0ELj4294967295EEENS1_25partition_config_selectorILNS1_17partition_subalgoE3EjNS0_10empty_typeEbEEZZNS1_14partition_implILS8_3ELb0ES6_jNS0_17counting_iteratorIjlEEPS9_SE_NS0_5tupleIJPjSE_EEENSF_IJSE_SE_EEES9_SG_JZNS1_25segmented_radix_sort_implINS0_14default_configELb0EPKsPsPKlPlN2at6native12_GLOBAL__N_18offset_tEEE10hipError_tPvRmT1_PNSt15iterator_traitsISY_E10value_typeET2_T3_PNSZ_IS14_E10value_typeET4_jRbjT5_S1A_jjP12ihipStream_tbEUljE_EEESV_SW_SX_S14_S18_S1A_T6_T7_T9_mT8_S1C_bDpT10_ENKUlT_T0_E_clISt17integral_constantIbLb0EES1O_IbLb1EEEEDaS1K_S1L_EUlS1K_E_NS1_11comp_targetILNS1_3genE10ELNS1_11target_archE1200ELNS1_3gpuE4ELNS1_3repE0EEENS1_30default_config_static_selectorELNS0_4arch9wavefront6targetE0EEEvSY_.has_indirect_call, 0
	.section	.AMDGPU.csdata,"",@progbits
; Kernel info:
; codeLenInByte = 10900
; TotalNumSgprs: 28
; NumVgprs: 71
; ScratchSize: 0
; MemoryBound: 0
; FloatMode: 240
; IeeeMode: 1
; LDSByteSize: 13320 bytes/workgroup (compile time only)
; SGPRBlocks: 0
; VGPRBlocks: 8
; NumSGPRsForWavesPerEU: 28
; NumVGPRsForWavesPerEU: 71
; Occupancy: 16
; WaveLimiterHint : 0
; COMPUTE_PGM_RSRC2:SCRATCH_EN: 0
; COMPUTE_PGM_RSRC2:USER_SGPR: 2
; COMPUTE_PGM_RSRC2:TRAP_HANDLER: 0
; COMPUTE_PGM_RSRC2:TGID_X_EN: 1
; COMPUTE_PGM_RSRC2:TGID_Y_EN: 0
; COMPUTE_PGM_RSRC2:TGID_Z_EN: 0
; COMPUTE_PGM_RSRC2:TIDIG_COMP_CNT: 0
	.section	.text._ZN7rocprim17ROCPRIM_400000_NS6detail17trampoline_kernelINS0_13select_configILj256ELj13ELNS0_17block_load_methodE3ELS4_3ELS4_3ELNS0_20block_scan_algorithmE0ELj4294967295EEENS1_25partition_config_selectorILNS1_17partition_subalgoE3EjNS0_10empty_typeEbEEZZNS1_14partition_implILS8_3ELb0ES6_jNS0_17counting_iteratorIjlEEPS9_SE_NS0_5tupleIJPjSE_EEENSF_IJSE_SE_EEES9_SG_JZNS1_25segmented_radix_sort_implINS0_14default_configELb0EPKsPsPKlPlN2at6native12_GLOBAL__N_18offset_tEEE10hipError_tPvRmT1_PNSt15iterator_traitsISY_E10value_typeET2_T3_PNSZ_IS14_E10value_typeET4_jRbjT5_S1A_jjP12ihipStream_tbEUljE_EEESV_SW_SX_S14_S18_S1A_T6_T7_T9_mT8_S1C_bDpT10_ENKUlT_T0_E_clISt17integral_constantIbLb0EES1O_IbLb1EEEEDaS1K_S1L_EUlS1K_E_NS1_11comp_targetILNS1_3genE9ELNS1_11target_archE1100ELNS1_3gpuE3ELNS1_3repE0EEENS1_30default_config_static_selectorELNS0_4arch9wavefront6targetE0EEEvSY_,"axG",@progbits,_ZN7rocprim17ROCPRIM_400000_NS6detail17trampoline_kernelINS0_13select_configILj256ELj13ELNS0_17block_load_methodE3ELS4_3ELS4_3ELNS0_20block_scan_algorithmE0ELj4294967295EEENS1_25partition_config_selectorILNS1_17partition_subalgoE3EjNS0_10empty_typeEbEEZZNS1_14partition_implILS8_3ELb0ES6_jNS0_17counting_iteratorIjlEEPS9_SE_NS0_5tupleIJPjSE_EEENSF_IJSE_SE_EEES9_SG_JZNS1_25segmented_radix_sort_implINS0_14default_configELb0EPKsPsPKlPlN2at6native12_GLOBAL__N_18offset_tEEE10hipError_tPvRmT1_PNSt15iterator_traitsISY_E10value_typeET2_T3_PNSZ_IS14_E10value_typeET4_jRbjT5_S1A_jjP12ihipStream_tbEUljE_EEESV_SW_SX_S14_S18_S1A_T6_T7_T9_mT8_S1C_bDpT10_ENKUlT_T0_E_clISt17integral_constantIbLb0EES1O_IbLb1EEEEDaS1K_S1L_EUlS1K_E_NS1_11comp_targetILNS1_3genE9ELNS1_11target_archE1100ELNS1_3gpuE3ELNS1_3repE0EEENS1_30default_config_static_selectorELNS0_4arch9wavefront6targetE0EEEvSY_,comdat
	.globl	_ZN7rocprim17ROCPRIM_400000_NS6detail17trampoline_kernelINS0_13select_configILj256ELj13ELNS0_17block_load_methodE3ELS4_3ELS4_3ELNS0_20block_scan_algorithmE0ELj4294967295EEENS1_25partition_config_selectorILNS1_17partition_subalgoE3EjNS0_10empty_typeEbEEZZNS1_14partition_implILS8_3ELb0ES6_jNS0_17counting_iteratorIjlEEPS9_SE_NS0_5tupleIJPjSE_EEENSF_IJSE_SE_EEES9_SG_JZNS1_25segmented_radix_sort_implINS0_14default_configELb0EPKsPsPKlPlN2at6native12_GLOBAL__N_18offset_tEEE10hipError_tPvRmT1_PNSt15iterator_traitsISY_E10value_typeET2_T3_PNSZ_IS14_E10value_typeET4_jRbjT5_S1A_jjP12ihipStream_tbEUljE_EEESV_SW_SX_S14_S18_S1A_T6_T7_T9_mT8_S1C_bDpT10_ENKUlT_T0_E_clISt17integral_constantIbLb0EES1O_IbLb1EEEEDaS1K_S1L_EUlS1K_E_NS1_11comp_targetILNS1_3genE9ELNS1_11target_archE1100ELNS1_3gpuE3ELNS1_3repE0EEENS1_30default_config_static_selectorELNS0_4arch9wavefront6targetE0EEEvSY_ ; -- Begin function _ZN7rocprim17ROCPRIM_400000_NS6detail17trampoline_kernelINS0_13select_configILj256ELj13ELNS0_17block_load_methodE3ELS4_3ELS4_3ELNS0_20block_scan_algorithmE0ELj4294967295EEENS1_25partition_config_selectorILNS1_17partition_subalgoE3EjNS0_10empty_typeEbEEZZNS1_14partition_implILS8_3ELb0ES6_jNS0_17counting_iteratorIjlEEPS9_SE_NS0_5tupleIJPjSE_EEENSF_IJSE_SE_EEES9_SG_JZNS1_25segmented_radix_sort_implINS0_14default_configELb0EPKsPsPKlPlN2at6native12_GLOBAL__N_18offset_tEEE10hipError_tPvRmT1_PNSt15iterator_traitsISY_E10value_typeET2_T3_PNSZ_IS14_E10value_typeET4_jRbjT5_S1A_jjP12ihipStream_tbEUljE_EEESV_SW_SX_S14_S18_S1A_T6_T7_T9_mT8_S1C_bDpT10_ENKUlT_T0_E_clISt17integral_constantIbLb0EES1O_IbLb1EEEEDaS1K_S1L_EUlS1K_E_NS1_11comp_targetILNS1_3genE9ELNS1_11target_archE1100ELNS1_3gpuE3ELNS1_3repE0EEENS1_30default_config_static_selectorELNS0_4arch9wavefront6targetE0EEEvSY_
	.p2align	8
	.type	_ZN7rocprim17ROCPRIM_400000_NS6detail17trampoline_kernelINS0_13select_configILj256ELj13ELNS0_17block_load_methodE3ELS4_3ELS4_3ELNS0_20block_scan_algorithmE0ELj4294967295EEENS1_25partition_config_selectorILNS1_17partition_subalgoE3EjNS0_10empty_typeEbEEZZNS1_14partition_implILS8_3ELb0ES6_jNS0_17counting_iteratorIjlEEPS9_SE_NS0_5tupleIJPjSE_EEENSF_IJSE_SE_EEES9_SG_JZNS1_25segmented_radix_sort_implINS0_14default_configELb0EPKsPsPKlPlN2at6native12_GLOBAL__N_18offset_tEEE10hipError_tPvRmT1_PNSt15iterator_traitsISY_E10value_typeET2_T3_PNSZ_IS14_E10value_typeET4_jRbjT5_S1A_jjP12ihipStream_tbEUljE_EEESV_SW_SX_S14_S18_S1A_T6_T7_T9_mT8_S1C_bDpT10_ENKUlT_T0_E_clISt17integral_constantIbLb0EES1O_IbLb1EEEEDaS1K_S1L_EUlS1K_E_NS1_11comp_targetILNS1_3genE9ELNS1_11target_archE1100ELNS1_3gpuE3ELNS1_3repE0EEENS1_30default_config_static_selectorELNS0_4arch9wavefront6targetE0EEEvSY_,@function
_ZN7rocprim17ROCPRIM_400000_NS6detail17trampoline_kernelINS0_13select_configILj256ELj13ELNS0_17block_load_methodE3ELS4_3ELS4_3ELNS0_20block_scan_algorithmE0ELj4294967295EEENS1_25partition_config_selectorILNS1_17partition_subalgoE3EjNS0_10empty_typeEbEEZZNS1_14partition_implILS8_3ELb0ES6_jNS0_17counting_iteratorIjlEEPS9_SE_NS0_5tupleIJPjSE_EEENSF_IJSE_SE_EEES9_SG_JZNS1_25segmented_radix_sort_implINS0_14default_configELb0EPKsPsPKlPlN2at6native12_GLOBAL__N_18offset_tEEE10hipError_tPvRmT1_PNSt15iterator_traitsISY_E10value_typeET2_T3_PNSZ_IS14_E10value_typeET4_jRbjT5_S1A_jjP12ihipStream_tbEUljE_EEESV_SW_SX_S14_S18_S1A_T6_T7_T9_mT8_S1C_bDpT10_ENKUlT_T0_E_clISt17integral_constantIbLb0EES1O_IbLb1EEEEDaS1K_S1L_EUlS1K_E_NS1_11comp_targetILNS1_3genE9ELNS1_11target_archE1100ELNS1_3gpuE3ELNS1_3repE0EEENS1_30default_config_static_selectorELNS0_4arch9wavefront6targetE0EEEvSY_: ; @_ZN7rocprim17ROCPRIM_400000_NS6detail17trampoline_kernelINS0_13select_configILj256ELj13ELNS0_17block_load_methodE3ELS4_3ELS4_3ELNS0_20block_scan_algorithmE0ELj4294967295EEENS1_25partition_config_selectorILNS1_17partition_subalgoE3EjNS0_10empty_typeEbEEZZNS1_14partition_implILS8_3ELb0ES6_jNS0_17counting_iteratorIjlEEPS9_SE_NS0_5tupleIJPjSE_EEENSF_IJSE_SE_EEES9_SG_JZNS1_25segmented_radix_sort_implINS0_14default_configELb0EPKsPsPKlPlN2at6native12_GLOBAL__N_18offset_tEEE10hipError_tPvRmT1_PNSt15iterator_traitsISY_E10value_typeET2_T3_PNSZ_IS14_E10value_typeET4_jRbjT5_S1A_jjP12ihipStream_tbEUljE_EEESV_SW_SX_S14_S18_S1A_T6_T7_T9_mT8_S1C_bDpT10_ENKUlT_T0_E_clISt17integral_constantIbLb0EES1O_IbLb1EEEEDaS1K_S1L_EUlS1K_E_NS1_11comp_targetILNS1_3genE9ELNS1_11target_archE1100ELNS1_3gpuE3ELNS1_3repE0EEENS1_30default_config_static_selectorELNS0_4arch9wavefront6targetE0EEEvSY_
; %bb.0:
	.section	.rodata,"a",@progbits
	.p2align	6, 0x0
	.amdhsa_kernel _ZN7rocprim17ROCPRIM_400000_NS6detail17trampoline_kernelINS0_13select_configILj256ELj13ELNS0_17block_load_methodE3ELS4_3ELS4_3ELNS0_20block_scan_algorithmE0ELj4294967295EEENS1_25partition_config_selectorILNS1_17partition_subalgoE3EjNS0_10empty_typeEbEEZZNS1_14partition_implILS8_3ELb0ES6_jNS0_17counting_iteratorIjlEEPS9_SE_NS0_5tupleIJPjSE_EEENSF_IJSE_SE_EEES9_SG_JZNS1_25segmented_radix_sort_implINS0_14default_configELb0EPKsPsPKlPlN2at6native12_GLOBAL__N_18offset_tEEE10hipError_tPvRmT1_PNSt15iterator_traitsISY_E10value_typeET2_T3_PNSZ_IS14_E10value_typeET4_jRbjT5_S1A_jjP12ihipStream_tbEUljE_EEESV_SW_SX_S14_S18_S1A_T6_T7_T9_mT8_S1C_bDpT10_ENKUlT_T0_E_clISt17integral_constantIbLb0EES1O_IbLb1EEEEDaS1K_S1L_EUlS1K_E_NS1_11comp_targetILNS1_3genE9ELNS1_11target_archE1100ELNS1_3gpuE3ELNS1_3repE0EEENS1_30default_config_static_selectorELNS0_4arch9wavefront6targetE0EEEvSY_
		.amdhsa_group_segment_fixed_size 0
		.amdhsa_private_segment_fixed_size 0
		.amdhsa_kernarg_size 152
		.amdhsa_user_sgpr_count 2
		.amdhsa_user_sgpr_dispatch_ptr 0
		.amdhsa_user_sgpr_queue_ptr 0
		.amdhsa_user_sgpr_kernarg_segment_ptr 1
		.amdhsa_user_sgpr_dispatch_id 0
		.amdhsa_user_sgpr_private_segment_size 0
		.amdhsa_wavefront_size32 1
		.amdhsa_uses_dynamic_stack 0
		.amdhsa_enable_private_segment 0
		.amdhsa_system_sgpr_workgroup_id_x 1
		.amdhsa_system_sgpr_workgroup_id_y 0
		.amdhsa_system_sgpr_workgroup_id_z 0
		.amdhsa_system_sgpr_workgroup_info 0
		.amdhsa_system_vgpr_workitem_id 0
		.amdhsa_next_free_vgpr 1
		.amdhsa_next_free_sgpr 1
		.amdhsa_reserve_vcc 0
		.amdhsa_float_round_mode_32 0
		.amdhsa_float_round_mode_16_64 0
		.amdhsa_float_denorm_mode_32 3
		.amdhsa_float_denorm_mode_16_64 3
		.amdhsa_fp16_overflow 0
		.amdhsa_workgroup_processor_mode 1
		.amdhsa_memory_ordered 1
		.amdhsa_forward_progress 1
		.amdhsa_inst_pref_size 0
		.amdhsa_round_robin_scheduling 0
		.amdhsa_exception_fp_ieee_invalid_op 0
		.amdhsa_exception_fp_denorm_src 0
		.amdhsa_exception_fp_ieee_div_zero 0
		.amdhsa_exception_fp_ieee_overflow 0
		.amdhsa_exception_fp_ieee_underflow 0
		.amdhsa_exception_fp_ieee_inexact 0
		.amdhsa_exception_int_div_zero 0
	.end_amdhsa_kernel
	.section	.text._ZN7rocprim17ROCPRIM_400000_NS6detail17trampoline_kernelINS0_13select_configILj256ELj13ELNS0_17block_load_methodE3ELS4_3ELS4_3ELNS0_20block_scan_algorithmE0ELj4294967295EEENS1_25partition_config_selectorILNS1_17partition_subalgoE3EjNS0_10empty_typeEbEEZZNS1_14partition_implILS8_3ELb0ES6_jNS0_17counting_iteratorIjlEEPS9_SE_NS0_5tupleIJPjSE_EEENSF_IJSE_SE_EEES9_SG_JZNS1_25segmented_radix_sort_implINS0_14default_configELb0EPKsPsPKlPlN2at6native12_GLOBAL__N_18offset_tEEE10hipError_tPvRmT1_PNSt15iterator_traitsISY_E10value_typeET2_T3_PNSZ_IS14_E10value_typeET4_jRbjT5_S1A_jjP12ihipStream_tbEUljE_EEESV_SW_SX_S14_S18_S1A_T6_T7_T9_mT8_S1C_bDpT10_ENKUlT_T0_E_clISt17integral_constantIbLb0EES1O_IbLb1EEEEDaS1K_S1L_EUlS1K_E_NS1_11comp_targetILNS1_3genE9ELNS1_11target_archE1100ELNS1_3gpuE3ELNS1_3repE0EEENS1_30default_config_static_selectorELNS0_4arch9wavefront6targetE0EEEvSY_,"axG",@progbits,_ZN7rocprim17ROCPRIM_400000_NS6detail17trampoline_kernelINS0_13select_configILj256ELj13ELNS0_17block_load_methodE3ELS4_3ELS4_3ELNS0_20block_scan_algorithmE0ELj4294967295EEENS1_25partition_config_selectorILNS1_17partition_subalgoE3EjNS0_10empty_typeEbEEZZNS1_14partition_implILS8_3ELb0ES6_jNS0_17counting_iteratorIjlEEPS9_SE_NS0_5tupleIJPjSE_EEENSF_IJSE_SE_EEES9_SG_JZNS1_25segmented_radix_sort_implINS0_14default_configELb0EPKsPsPKlPlN2at6native12_GLOBAL__N_18offset_tEEE10hipError_tPvRmT1_PNSt15iterator_traitsISY_E10value_typeET2_T3_PNSZ_IS14_E10value_typeET4_jRbjT5_S1A_jjP12ihipStream_tbEUljE_EEESV_SW_SX_S14_S18_S1A_T6_T7_T9_mT8_S1C_bDpT10_ENKUlT_T0_E_clISt17integral_constantIbLb0EES1O_IbLb1EEEEDaS1K_S1L_EUlS1K_E_NS1_11comp_targetILNS1_3genE9ELNS1_11target_archE1100ELNS1_3gpuE3ELNS1_3repE0EEENS1_30default_config_static_selectorELNS0_4arch9wavefront6targetE0EEEvSY_,comdat
.Lfunc_end1012:
	.size	_ZN7rocprim17ROCPRIM_400000_NS6detail17trampoline_kernelINS0_13select_configILj256ELj13ELNS0_17block_load_methodE3ELS4_3ELS4_3ELNS0_20block_scan_algorithmE0ELj4294967295EEENS1_25partition_config_selectorILNS1_17partition_subalgoE3EjNS0_10empty_typeEbEEZZNS1_14partition_implILS8_3ELb0ES6_jNS0_17counting_iteratorIjlEEPS9_SE_NS0_5tupleIJPjSE_EEENSF_IJSE_SE_EEES9_SG_JZNS1_25segmented_radix_sort_implINS0_14default_configELb0EPKsPsPKlPlN2at6native12_GLOBAL__N_18offset_tEEE10hipError_tPvRmT1_PNSt15iterator_traitsISY_E10value_typeET2_T3_PNSZ_IS14_E10value_typeET4_jRbjT5_S1A_jjP12ihipStream_tbEUljE_EEESV_SW_SX_S14_S18_S1A_T6_T7_T9_mT8_S1C_bDpT10_ENKUlT_T0_E_clISt17integral_constantIbLb0EES1O_IbLb1EEEEDaS1K_S1L_EUlS1K_E_NS1_11comp_targetILNS1_3genE9ELNS1_11target_archE1100ELNS1_3gpuE3ELNS1_3repE0EEENS1_30default_config_static_selectorELNS0_4arch9wavefront6targetE0EEEvSY_, .Lfunc_end1012-_ZN7rocprim17ROCPRIM_400000_NS6detail17trampoline_kernelINS0_13select_configILj256ELj13ELNS0_17block_load_methodE3ELS4_3ELS4_3ELNS0_20block_scan_algorithmE0ELj4294967295EEENS1_25partition_config_selectorILNS1_17partition_subalgoE3EjNS0_10empty_typeEbEEZZNS1_14partition_implILS8_3ELb0ES6_jNS0_17counting_iteratorIjlEEPS9_SE_NS0_5tupleIJPjSE_EEENSF_IJSE_SE_EEES9_SG_JZNS1_25segmented_radix_sort_implINS0_14default_configELb0EPKsPsPKlPlN2at6native12_GLOBAL__N_18offset_tEEE10hipError_tPvRmT1_PNSt15iterator_traitsISY_E10value_typeET2_T3_PNSZ_IS14_E10value_typeET4_jRbjT5_S1A_jjP12ihipStream_tbEUljE_EEESV_SW_SX_S14_S18_S1A_T6_T7_T9_mT8_S1C_bDpT10_ENKUlT_T0_E_clISt17integral_constantIbLb0EES1O_IbLb1EEEEDaS1K_S1L_EUlS1K_E_NS1_11comp_targetILNS1_3genE9ELNS1_11target_archE1100ELNS1_3gpuE3ELNS1_3repE0EEENS1_30default_config_static_selectorELNS0_4arch9wavefront6targetE0EEEvSY_
                                        ; -- End function
	.set _ZN7rocprim17ROCPRIM_400000_NS6detail17trampoline_kernelINS0_13select_configILj256ELj13ELNS0_17block_load_methodE3ELS4_3ELS4_3ELNS0_20block_scan_algorithmE0ELj4294967295EEENS1_25partition_config_selectorILNS1_17partition_subalgoE3EjNS0_10empty_typeEbEEZZNS1_14partition_implILS8_3ELb0ES6_jNS0_17counting_iteratorIjlEEPS9_SE_NS0_5tupleIJPjSE_EEENSF_IJSE_SE_EEES9_SG_JZNS1_25segmented_radix_sort_implINS0_14default_configELb0EPKsPsPKlPlN2at6native12_GLOBAL__N_18offset_tEEE10hipError_tPvRmT1_PNSt15iterator_traitsISY_E10value_typeET2_T3_PNSZ_IS14_E10value_typeET4_jRbjT5_S1A_jjP12ihipStream_tbEUljE_EEESV_SW_SX_S14_S18_S1A_T6_T7_T9_mT8_S1C_bDpT10_ENKUlT_T0_E_clISt17integral_constantIbLb0EES1O_IbLb1EEEEDaS1K_S1L_EUlS1K_E_NS1_11comp_targetILNS1_3genE9ELNS1_11target_archE1100ELNS1_3gpuE3ELNS1_3repE0EEENS1_30default_config_static_selectorELNS0_4arch9wavefront6targetE0EEEvSY_.num_vgpr, 0
	.set _ZN7rocprim17ROCPRIM_400000_NS6detail17trampoline_kernelINS0_13select_configILj256ELj13ELNS0_17block_load_methodE3ELS4_3ELS4_3ELNS0_20block_scan_algorithmE0ELj4294967295EEENS1_25partition_config_selectorILNS1_17partition_subalgoE3EjNS0_10empty_typeEbEEZZNS1_14partition_implILS8_3ELb0ES6_jNS0_17counting_iteratorIjlEEPS9_SE_NS0_5tupleIJPjSE_EEENSF_IJSE_SE_EEES9_SG_JZNS1_25segmented_radix_sort_implINS0_14default_configELb0EPKsPsPKlPlN2at6native12_GLOBAL__N_18offset_tEEE10hipError_tPvRmT1_PNSt15iterator_traitsISY_E10value_typeET2_T3_PNSZ_IS14_E10value_typeET4_jRbjT5_S1A_jjP12ihipStream_tbEUljE_EEESV_SW_SX_S14_S18_S1A_T6_T7_T9_mT8_S1C_bDpT10_ENKUlT_T0_E_clISt17integral_constantIbLb0EES1O_IbLb1EEEEDaS1K_S1L_EUlS1K_E_NS1_11comp_targetILNS1_3genE9ELNS1_11target_archE1100ELNS1_3gpuE3ELNS1_3repE0EEENS1_30default_config_static_selectorELNS0_4arch9wavefront6targetE0EEEvSY_.num_agpr, 0
	.set _ZN7rocprim17ROCPRIM_400000_NS6detail17trampoline_kernelINS0_13select_configILj256ELj13ELNS0_17block_load_methodE3ELS4_3ELS4_3ELNS0_20block_scan_algorithmE0ELj4294967295EEENS1_25partition_config_selectorILNS1_17partition_subalgoE3EjNS0_10empty_typeEbEEZZNS1_14partition_implILS8_3ELb0ES6_jNS0_17counting_iteratorIjlEEPS9_SE_NS0_5tupleIJPjSE_EEENSF_IJSE_SE_EEES9_SG_JZNS1_25segmented_radix_sort_implINS0_14default_configELb0EPKsPsPKlPlN2at6native12_GLOBAL__N_18offset_tEEE10hipError_tPvRmT1_PNSt15iterator_traitsISY_E10value_typeET2_T3_PNSZ_IS14_E10value_typeET4_jRbjT5_S1A_jjP12ihipStream_tbEUljE_EEESV_SW_SX_S14_S18_S1A_T6_T7_T9_mT8_S1C_bDpT10_ENKUlT_T0_E_clISt17integral_constantIbLb0EES1O_IbLb1EEEEDaS1K_S1L_EUlS1K_E_NS1_11comp_targetILNS1_3genE9ELNS1_11target_archE1100ELNS1_3gpuE3ELNS1_3repE0EEENS1_30default_config_static_selectorELNS0_4arch9wavefront6targetE0EEEvSY_.numbered_sgpr, 0
	.set _ZN7rocprim17ROCPRIM_400000_NS6detail17trampoline_kernelINS0_13select_configILj256ELj13ELNS0_17block_load_methodE3ELS4_3ELS4_3ELNS0_20block_scan_algorithmE0ELj4294967295EEENS1_25partition_config_selectorILNS1_17partition_subalgoE3EjNS0_10empty_typeEbEEZZNS1_14partition_implILS8_3ELb0ES6_jNS0_17counting_iteratorIjlEEPS9_SE_NS0_5tupleIJPjSE_EEENSF_IJSE_SE_EEES9_SG_JZNS1_25segmented_radix_sort_implINS0_14default_configELb0EPKsPsPKlPlN2at6native12_GLOBAL__N_18offset_tEEE10hipError_tPvRmT1_PNSt15iterator_traitsISY_E10value_typeET2_T3_PNSZ_IS14_E10value_typeET4_jRbjT5_S1A_jjP12ihipStream_tbEUljE_EEESV_SW_SX_S14_S18_S1A_T6_T7_T9_mT8_S1C_bDpT10_ENKUlT_T0_E_clISt17integral_constantIbLb0EES1O_IbLb1EEEEDaS1K_S1L_EUlS1K_E_NS1_11comp_targetILNS1_3genE9ELNS1_11target_archE1100ELNS1_3gpuE3ELNS1_3repE0EEENS1_30default_config_static_selectorELNS0_4arch9wavefront6targetE0EEEvSY_.num_named_barrier, 0
	.set _ZN7rocprim17ROCPRIM_400000_NS6detail17trampoline_kernelINS0_13select_configILj256ELj13ELNS0_17block_load_methodE3ELS4_3ELS4_3ELNS0_20block_scan_algorithmE0ELj4294967295EEENS1_25partition_config_selectorILNS1_17partition_subalgoE3EjNS0_10empty_typeEbEEZZNS1_14partition_implILS8_3ELb0ES6_jNS0_17counting_iteratorIjlEEPS9_SE_NS0_5tupleIJPjSE_EEENSF_IJSE_SE_EEES9_SG_JZNS1_25segmented_radix_sort_implINS0_14default_configELb0EPKsPsPKlPlN2at6native12_GLOBAL__N_18offset_tEEE10hipError_tPvRmT1_PNSt15iterator_traitsISY_E10value_typeET2_T3_PNSZ_IS14_E10value_typeET4_jRbjT5_S1A_jjP12ihipStream_tbEUljE_EEESV_SW_SX_S14_S18_S1A_T6_T7_T9_mT8_S1C_bDpT10_ENKUlT_T0_E_clISt17integral_constantIbLb0EES1O_IbLb1EEEEDaS1K_S1L_EUlS1K_E_NS1_11comp_targetILNS1_3genE9ELNS1_11target_archE1100ELNS1_3gpuE3ELNS1_3repE0EEENS1_30default_config_static_selectorELNS0_4arch9wavefront6targetE0EEEvSY_.private_seg_size, 0
	.set _ZN7rocprim17ROCPRIM_400000_NS6detail17trampoline_kernelINS0_13select_configILj256ELj13ELNS0_17block_load_methodE3ELS4_3ELS4_3ELNS0_20block_scan_algorithmE0ELj4294967295EEENS1_25partition_config_selectorILNS1_17partition_subalgoE3EjNS0_10empty_typeEbEEZZNS1_14partition_implILS8_3ELb0ES6_jNS0_17counting_iteratorIjlEEPS9_SE_NS0_5tupleIJPjSE_EEENSF_IJSE_SE_EEES9_SG_JZNS1_25segmented_radix_sort_implINS0_14default_configELb0EPKsPsPKlPlN2at6native12_GLOBAL__N_18offset_tEEE10hipError_tPvRmT1_PNSt15iterator_traitsISY_E10value_typeET2_T3_PNSZ_IS14_E10value_typeET4_jRbjT5_S1A_jjP12ihipStream_tbEUljE_EEESV_SW_SX_S14_S18_S1A_T6_T7_T9_mT8_S1C_bDpT10_ENKUlT_T0_E_clISt17integral_constantIbLb0EES1O_IbLb1EEEEDaS1K_S1L_EUlS1K_E_NS1_11comp_targetILNS1_3genE9ELNS1_11target_archE1100ELNS1_3gpuE3ELNS1_3repE0EEENS1_30default_config_static_selectorELNS0_4arch9wavefront6targetE0EEEvSY_.uses_vcc, 0
	.set _ZN7rocprim17ROCPRIM_400000_NS6detail17trampoline_kernelINS0_13select_configILj256ELj13ELNS0_17block_load_methodE3ELS4_3ELS4_3ELNS0_20block_scan_algorithmE0ELj4294967295EEENS1_25partition_config_selectorILNS1_17partition_subalgoE3EjNS0_10empty_typeEbEEZZNS1_14partition_implILS8_3ELb0ES6_jNS0_17counting_iteratorIjlEEPS9_SE_NS0_5tupleIJPjSE_EEENSF_IJSE_SE_EEES9_SG_JZNS1_25segmented_radix_sort_implINS0_14default_configELb0EPKsPsPKlPlN2at6native12_GLOBAL__N_18offset_tEEE10hipError_tPvRmT1_PNSt15iterator_traitsISY_E10value_typeET2_T3_PNSZ_IS14_E10value_typeET4_jRbjT5_S1A_jjP12ihipStream_tbEUljE_EEESV_SW_SX_S14_S18_S1A_T6_T7_T9_mT8_S1C_bDpT10_ENKUlT_T0_E_clISt17integral_constantIbLb0EES1O_IbLb1EEEEDaS1K_S1L_EUlS1K_E_NS1_11comp_targetILNS1_3genE9ELNS1_11target_archE1100ELNS1_3gpuE3ELNS1_3repE0EEENS1_30default_config_static_selectorELNS0_4arch9wavefront6targetE0EEEvSY_.uses_flat_scratch, 0
	.set _ZN7rocprim17ROCPRIM_400000_NS6detail17trampoline_kernelINS0_13select_configILj256ELj13ELNS0_17block_load_methodE3ELS4_3ELS4_3ELNS0_20block_scan_algorithmE0ELj4294967295EEENS1_25partition_config_selectorILNS1_17partition_subalgoE3EjNS0_10empty_typeEbEEZZNS1_14partition_implILS8_3ELb0ES6_jNS0_17counting_iteratorIjlEEPS9_SE_NS0_5tupleIJPjSE_EEENSF_IJSE_SE_EEES9_SG_JZNS1_25segmented_radix_sort_implINS0_14default_configELb0EPKsPsPKlPlN2at6native12_GLOBAL__N_18offset_tEEE10hipError_tPvRmT1_PNSt15iterator_traitsISY_E10value_typeET2_T3_PNSZ_IS14_E10value_typeET4_jRbjT5_S1A_jjP12ihipStream_tbEUljE_EEESV_SW_SX_S14_S18_S1A_T6_T7_T9_mT8_S1C_bDpT10_ENKUlT_T0_E_clISt17integral_constantIbLb0EES1O_IbLb1EEEEDaS1K_S1L_EUlS1K_E_NS1_11comp_targetILNS1_3genE9ELNS1_11target_archE1100ELNS1_3gpuE3ELNS1_3repE0EEENS1_30default_config_static_selectorELNS0_4arch9wavefront6targetE0EEEvSY_.has_dyn_sized_stack, 0
	.set _ZN7rocprim17ROCPRIM_400000_NS6detail17trampoline_kernelINS0_13select_configILj256ELj13ELNS0_17block_load_methodE3ELS4_3ELS4_3ELNS0_20block_scan_algorithmE0ELj4294967295EEENS1_25partition_config_selectorILNS1_17partition_subalgoE3EjNS0_10empty_typeEbEEZZNS1_14partition_implILS8_3ELb0ES6_jNS0_17counting_iteratorIjlEEPS9_SE_NS0_5tupleIJPjSE_EEENSF_IJSE_SE_EEES9_SG_JZNS1_25segmented_radix_sort_implINS0_14default_configELb0EPKsPsPKlPlN2at6native12_GLOBAL__N_18offset_tEEE10hipError_tPvRmT1_PNSt15iterator_traitsISY_E10value_typeET2_T3_PNSZ_IS14_E10value_typeET4_jRbjT5_S1A_jjP12ihipStream_tbEUljE_EEESV_SW_SX_S14_S18_S1A_T6_T7_T9_mT8_S1C_bDpT10_ENKUlT_T0_E_clISt17integral_constantIbLb0EES1O_IbLb1EEEEDaS1K_S1L_EUlS1K_E_NS1_11comp_targetILNS1_3genE9ELNS1_11target_archE1100ELNS1_3gpuE3ELNS1_3repE0EEENS1_30default_config_static_selectorELNS0_4arch9wavefront6targetE0EEEvSY_.has_recursion, 0
	.set _ZN7rocprim17ROCPRIM_400000_NS6detail17trampoline_kernelINS0_13select_configILj256ELj13ELNS0_17block_load_methodE3ELS4_3ELS4_3ELNS0_20block_scan_algorithmE0ELj4294967295EEENS1_25partition_config_selectorILNS1_17partition_subalgoE3EjNS0_10empty_typeEbEEZZNS1_14partition_implILS8_3ELb0ES6_jNS0_17counting_iteratorIjlEEPS9_SE_NS0_5tupleIJPjSE_EEENSF_IJSE_SE_EEES9_SG_JZNS1_25segmented_radix_sort_implINS0_14default_configELb0EPKsPsPKlPlN2at6native12_GLOBAL__N_18offset_tEEE10hipError_tPvRmT1_PNSt15iterator_traitsISY_E10value_typeET2_T3_PNSZ_IS14_E10value_typeET4_jRbjT5_S1A_jjP12ihipStream_tbEUljE_EEESV_SW_SX_S14_S18_S1A_T6_T7_T9_mT8_S1C_bDpT10_ENKUlT_T0_E_clISt17integral_constantIbLb0EES1O_IbLb1EEEEDaS1K_S1L_EUlS1K_E_NS1_11comp_targetILNS1_3genE9ELNS1_11target_archE1100ELNS1_3gpuE3ELNS1_3repE0EEENS1_30default_config_static_selectorELNS0_4arch9wavefront6targetE0EEEvSY_.has_indirect_call, 0
	.section	.AMDGPU.csdata,"",@progbits
; Kernel info:
; codeLenInByte = 0
; TotalNumSgprs: 0
; NumVgprs: 0
; ScratchSize: 0
; MemoryBound: 0
; FloatMode: 240
; IeeeMode: 1
; LDSByteSize: 0 bytes/workgroup (compile time only)
; SGPRBlocks: 0
; VGPRBlocks: 0
; NumSGPRsForWavesPerEU: 1
; NumVGPRsForWavesPerEU: 1
; Occupancy: 16
; WaveLimiterHint : 0
; COMPUTE_PGM_RSRC2:SCRATCH_EN: 0
; COMPUTE_PGM_RSRC2:USER_SGPR: 2
; COMPUTE_PGM_RSRC2:TRAP_HANDLER: 0
; COMPUTE_PGM_RSRC2:TGID_X_EN: 1
; COMPUTE_PGM_RSRC2:TGID_Y_EN: 0
; COMPUTE_PGM_RSRC2:TGID_Z_EN: 0
; COMPUTE_PGM_RSRC2:TIDIG_COMP_CNT: 0
	.section	.text._ZN7rocprim17ROCPRIM_400000_NS6detail17trampoline_kernelINS0_13select_configILj256ELj13ELNS0_17block_load_methodE3ELS4_3ELS4_3ELNS0_20block_scan_algorithmE0ELj4294967295EEENS1_25partition_config_selectorILNS1_17partition_subalgoE3EjNS0_10empty_typeEbEEZZNS1_14partition_implILS8_3ELb0ES6_jNS0_17counting_iteratorIjlEEPS9_SE_NS0_5tupleIJPjSE_EEENSF_IJSE_SE_EEES9_SG_JZNS1_25segmented_radix_sort_implINS0_14default_configELb0EPKsPsPKlPlN2at6native12_GLOBAL__N_18offset_tEEE10hipError_tPvRmT1_PNSt15iterator_traitsISY_E10value_typeET2_T3_PNSZ_IS14_E10value_typeET4_jRbjT5_S1A_jjP12ihipStream_tbEUljE_EEESV_SW_SX_S14_S18_S1A_T6_T7_T9_mT8_S1C_bDpT10_ENKUlT_T0_E_clISt17integral_constantIbLb0EES1O_IbLb1EEEEDaS1K_S1L_EUlS1K_E_NS1_11comp_targetILNS1_3genE8ELNS1_11target_archE1030ELNS1_3gpuE2ELNS1_3repE0EEENS1_30default_config_static_selectorELNS0_4arch9wavefront6targetE0EEEvSY_,"axG",@progbits,_ZN7rocprim17ROCPRIM_400000_NS6detail17trampoline_kernelINS0_13select_configILj256ELj13ELNS0_17block_load_methodE3ELS4_3ELS4_3ELNS0_20block_scan_algorithmE0ELj4294967295EEENS1_25partition_config_selectorILNS1_17partition_subalgoE3EjNS0_10empty_typeEbEEZZNS1_14partition_implILS8_3ELb0ES6_jNS0_17counting_iteratorIjlEEPS9_SE_NS0_5tupleIJPjSE_EEENSF_IJSE_SE_EEES9_SG_JZNS1_25segmented_radix_sort_implINS0_14default_configELb0EPKsPsPKlPlN2at6native12_GLOBAL__N_18offset_tEEE10hipError_tPvRmT1_PNSt15iterator_traitsISY_E10value_typeET2_T3_PNSZ_IS14_E10value_typeET4_jRbjT5_S1A_jjP12ihipStream_tbEUljE_EEESV_SW_SX_S14_S18_S1A_T6_T7_T9_mT8_S1C_bDpT10_ENKUlT_T0_E_clISt17integral_constantIbLb0EES1O_IbLb1EEEEDaS1K_S1L_EUlS1K_E_NS1_11comp_targetILNS1_3genE8ELNS1_11target_archE1030ELNS1_3gpuE2ELNS1_3repE0EEENS1_30default_config_static_selectorELNS0_4arch9wavefront6targetE0EEEvSY_,comdat
	.globl	_ZN7rocprim17ROCPRIM_400000_NS6detail17trampoline_kernelINS0_13select_configILj256ELj13ELNS0_17block_load_methodE3ELS4_3ELS4_3ELNS0_20block_scan_algorithmE0ELj4294967295EEENS1_25partition_config_selectorILNS1_17partition_subalgoE3EjNS0_10empty_typeEbEEZZNS1_14partition_implILS8_3ELb0ES6_jNS0_17counting_iteratorIjlEEPS9_SE_NS0_5tupleIJPjSE_EEENSF_IJSE_SE_EEES9_SG_JZNS1_25segmented_radix_sort_implINS0_14default_configELb0EPKsPsPKlPlN2at6native12_GLOBAL__N_18offset_tEEE10hipError_tPvRmT1_PNSt15iterator_traitsISY_E10value_typeET2_T3_PNSZ_IS14_E10value_typeET4_jRbjT5_S1A_jjP12ihipStream_tbEUljE_EEESV_SW_SX_S14_S18_S1A_T6_T7_T9_mT8_S1C_bDpT10_ENKUlT_T0_E_clISt17integral_constantIbLb0EES1O_IbLb1EEEEDaS1K_S1L_EUlS1K_E_NS1_11comp_targetILNS1_3genE8ELNS1_11target_archE1030ELNS1_3gpuE2ELNS1_3repE0EEENS1_30default_config_static_selectorELNS0_4arch9wavefront6targetE0EEEvSY_ ; -- Begin function _ZN7rocprim17ROCPRIM_400000_NS6detail17trampoline_kernelINS0_13select_configILj256ELj13ELNS0_17block_load_methodE3ELS4_3ELS4_3ELNS0_20block_scan_algorithmE0ELj4294967295EEENS1_25partition_config_selectorILNS1_17partition_subalgoE3EjNS0_10empty_typeEbEEZZNS1_14partition_implILS8_3ELb0ES6_jNS0_17counting_iteratorIjlEEPS9_SE_NS0_5tupleIJPjSE_EEENSF_IJSE_SE_EEES9_SG_JZNS1_25segmented_radix_sort_implINS0_14default_configELb0EPKsPsPKlPlN2at6native12_GLOBAL__N_18offset_tEEE10hipError_tPvRmT1_PNSt15iterator_traitsISY_E10value_typeET2_T3_PNSZ_IS14_E10value_typeET4_jRbjT5_S1A_jjP12ihipStream_tbEUljE_EEESV_SW_SX_S14_S18_S1A_T6_T7_T9_mT8_S1C_bDpT10_ENKUlT_T0_E_clISt17integral_constantIbLb0EES1O_IbLb1EEEEDaS1K_S1L_EUlS1K_E_NS1_11comp_targetILNS1_3genE8ELNS1_11target_archE1030ELNS1_3gpuE2ELNS1_3repE0EEENS1_30default_config_static_selectorELNS0_4arch9wavefront6targetE0EEEvSY_
	.p2align	8
	.type	_ZN7rocprim17ROCPRIM_400000_NS6detail17trampoline_kernelINS0_13select_configILj256ELj13ELNS0_17block_load_methodE3ELS4_3ELS4_3ELNS0_20block_scan_algorithmE0ELj4294967295EEENS1_25partition_config_selectorILNS1_17partition_subalgoE3EjNS0_10empty_typeEbEEZZNS1_14partition_implILS8_3ELb0ES6_jNS0_17counting_iteratorIjlEEPS9_SE_NS0_5tupleIJPjSE_EEENSF_IJSE_SE_EEES9_SG_JZNS1_25segmented_radix_sort_implINS0_14default_configELb0EPKsPsPKlPlN2at6native12_GLOBAL__N_18offset_tEEE10hipError_tPvRmT1_PNSt15iterator_traitsISY_E10value_typeET2_T3_PNSZ_IS14_E10value_typeET4_jRbjT5_S1A_jjP12ihipStream_tbEUljE_EEESV_SW_SX_S14_S18_S1A_T6_T7_T9_mT8_S1C_bDpT10_ENKUlT_T0_E_clISt17integral_constantIbLb0EES1O_IbLb1EEEEDaS1K_S1L_EUlS1K_E_NS1_11comp_targetILNS1_3genE8ELNS1_11target_archE1030ELNS1_3gpuE2ELNS1_3repE0EEENS1_30default_config_static_selectorELNS0_4arch9wavefront6targetE0EEEvSY_,@function
_ZN7rocprim17ROCPRIM_400000_NS6detail17trampoline_kernelINS0_13select_configILj256ELj13ELNS0_17block_load_methodE3ELS4_3ELS4_3ELNS0_20block_scan_algorithmE0ELj4294967295EEENS1_25partition_config_selectorILNS1_17partition_subalgoE3EjNS0_10empty_typeEbEEZZNS1_14partition_implILS8_3ELb0ES6_jNS0_17counting_iteratorIjlEEPS9_SE_NS0_5tupleIJPjSE_EEENSF_IJSE_SE_EEES9_SG_JZNS1_25segmented_radix_sort_implINS0_14default_configELb0EPKsPsPKlPlN2at6native12_GLOBAL__N_18offset_tEEE10hipError_tPvRmT1_PNSt15iterator_traitsISY_E10value_typeET2_T3_PNSZ_IS14_E10value_typeET4_jRbjT5_S1A_jjP12ihipStream_tbEUljE_EEESV_SW_SX_S14_S18_S1A_T6_T7_T9_mT8_S1C_bDpT10_ENKUlT_T0_E_clISt17integral_constantIbLb0EES1O_IbLb1EEEEDaS1K_S1L_EUlS1K_E_NS1_11comp_targetILNS1_3genE8ELNS1_11target_archE1030ELNS1_3gpuE2ELNS1_3repE0EEENS1_30default_config_static_selectorELNS0_4arch9wavefront6targetE0EEEvSY_: ; @_ZN7rocprim17ROCPRIM_400000_NS6detail17trampoline_kernelINS0_13select_configILj256ELj13ELNS0_17block_load_methodE3ELS4_3ELS4_3ELNS0_20block_scan_algorithmE0ELj4294967295EEENS1_25partition_config_selectorILNS1_17partition_subalgoE3EjNS0_10empty_typeEbEEZZNS1_14partition_implILS8_3ELb0ES6_jNS0_17counting_iteratorIjlEEPS9_SE_NS0_5tupleIJPjSE_EEENSF_IJSE_SE_EEES9_SG_JZNS1_25segmented_radix_sort_implINS0_14default_configELb0EPKsPsPKlPlN2at6native12_GLOBAL__N_18offset_tEEE10hipError_tPvRmT1_PNSt15iterator_traitsISY_E10value_typeET2_T3_PNSZ_IS14_E10value_typeET4_jRbjT5_S1A_jjP12ihipStream_tbEUljE_EEESV_SW_SX_S14_S18_S1A_T6_T7_T9_mT8_S1C_bDpT10_ENKUlT_T0_E_clISt17integral_constantIbLb0EES1O_IbLb1EEEEDaS1K_S1L_EUlS1K_E_NS1_11comp_targetILNS1_3genE8ELNS1_11target_archE1030ELNS1_3gpuE2ELNS1_3repE0EEENS1_30default_config_static_selectorELNS0_4arch9wavefront6targetE0EEEvSY_
; %bb.0:
	.section	.rodata,"a",@progbits
	.p2align	6, 0x0
	.amdhsa_kernel _ZN7rocprim17ROCPRIM_400000_NS6detail17trampoline_kernelINS0_13select_configILj256ELj13ELNS0_17block_load_methodE3ELS4_3ELS4_3ELNS0_20block_scan_algorithmE0ELj4294967295EEENS1_25partition_config_selectorILNS1_17partition_subalgoE3EjNS0_10empty_typeEbEEZZNS1_14partition_implILS8_3ELb0ES6_jNS0_17counting_iteratorIjlEEPS9_SE_NS0_5tupleIJPjSE_EEENSF_IJSE_SE_EEES9_SG_JZNS1_25segmented_radix_sort_implINS0_14default_configELb0EPKsPsPKlPlN2at6native12_GLOBAL__N_18offset_tEEE10hipError_tPvRmT1_PNSt15iterator_traitsISY_E10value_typeET2_T3_PNSZ_IS14_E10value_typeET4_jRbjT5_S1A_jjP12ihipStream_tbEUljE_EEESV_SW_SX_S14_S18_S1A_T6_T7_T9_mT8_S1C_bDpT10_ENKUlT_T0_E_clISt17integral_constantIbLb0EES1O_IbLb1EEEEDaS1K_S1L_EUlS1K_E_NS1_11comp_targetILNS1_3genE8ELNS1_11target_archE1030ELNS1_3gpuE2ELNS1_3repE0EEENS1_30default_config_static_selectorELNS0_4arch9wavefront6targetE0EEEvSY_
		.amdhsa_group_segment_fixed_size 0
		.amdhsa_private_segment_fixed_size 0
		.amdhsa_kernarg_size 152
		.amdhsa_user_sgpr_count 2
		.amdhsa_user_sgpr_dispatch_ptr 0
		.amdhsa_user_sgpr_queue_ptr 0
		.amdhsa_user_sgpr_kernarg_segment_ptr 1
		.amdhsa_user_sgpr_dispatch_id 0
		.amdhsa_user_sgpr_private_segment_size 0
		.amdhsa_wavefront_size32 1
		.amdhsa_uses_dynamic_stack 0
		.amdhsa_enable_private_segment 0
		.amdhsa_system_sgpr_workgroup_id_x 1
		.amdhsa_system_sgpr_workgroup_id_y 0
		.amdhsa_system_sgpr_workgroup_id_z 0
		.amdhsa_system_sgpr_workgroup_info 0
		.amdhsa_system_vgpr_workitem_id 0
		.amdhsa_next_free_vgpr 1
		.amdhsa_next_free_sgpr 1
		.amdhsa_reserve_vcc 0
		.amdhsa_float_round_mode_32 0
		.amdhsa_float_round_mode_16_64 0
		.amdhsa_float_denorm_mode_32 3
		.amdhsa_float_denorm_mode_16_64 3
		.amdhsa_fp16_overflow 0
		.amdhsa_workgroup_processor_mode 1
		.amdhsa_memory_ordered 1
		.amdhsa_forward_progress 1
		.amdhsa_inst_pref_size 0
		.amdhsa_round_robin_scheduling 0
		.amdhsa_exception_fp_ieee_invalid_op 0
		.amdhsa_exception_fp_denorm_src 0
		.amdhsa_exception_fp_ieee_div_zero 0
		.amdhsa_exception_fp_ieee_overflow 0
		.amdhsa_exception_fp_ieee_underflow 0
		.amdhsa_exception_fp_ieee_inexact 0
		.amdhsa_exception_int_div_zero 0
	.end_amdhsa_kernel
	.section	.text._ZN7rocprim17ROCPRIM_400000_NS6detail17trampoline_kernelINS0_13select_configILj256ELj13ELNS0_17block_load_methodE3ELS4_3ELS4_3ELNS0_20block_scan_algorithmE0ELj4294967295EEENS1_25partition_config_selectorILNS1_17partition_subalgoE3EjNS0_10empty_typeEbEEZZNS1_14partition_implILS8_3ELb0ES6_jNS0_17counting_iteratorIjlEEPS9_SE_NS0_5tupleIJPjSE_EEENSF_IJSE_SE_EEES9_SG_JZNS1_25segmented_radix_sort_implINS0_14default_configELb0EPKsPsPKlPlN2at6native12_GLOBAL__N_18offset_tEEE10hipError_tPvRmT1_PNSt15iterator_traitsISY_E10value_typeET2_T3_PNSZ_IS14_E10value_typeET4_jRbjT5_S1A_jjP12ihipStream_tbEUljE_EEESV_SW_SX_S14_S18_S1A_T6_T7_T9_mT8_S1C_bDpT10_ENKUlT_T0_E_clISt17integral_constantIbLb0EES1O_IbLb1EEEEDaS1K_S1L_EUlS1K_E_NS1_11comp_targetILNS1_3genE8ELNS1_11target_archE1030ELNS1_3gpuE2ELNS1_3repE0EEENS1_30default_config_static_selectorELNS0_4arch9wavefront6targetE0EEEvSY_,"axG",@progbits,_ZN7rocprim17ROCPRIM_400000_NS6detail17trampoline_kernelINS0_13select_configILj256ELj13ELNS0_17block_load_methodE3ELS4_3ELS4_3ELNS0_20block_scan_algorithmE0ELj4294967295EEENS1_25partition_config_selectorILNS1_17partition_subalgoE3EjNS0_10empty_typeEbEEZZNS1_14partition_implILS8_3ELb0ES6_jNS0_17counting_iteratorIjlEEPS9_SE_NS0_5tupleIJPjSE_EEENSF_IJSE_SE_EEES9_SG_JZNS1_25segmented_radix_sort_implINS0_14default_configELb0EPKsPsPKlPlN2at6native12_GLOBAL__N_18offset_tEEE10hipError_tPvRmT1_PNSt15iterator_traitsISY_E10value_typeET2_T3_PNSZ_IS14_E10value_typeET4_jRbjT5_S1A_jjP12ihipStream_tbEUljE_EEESV_SW_SX_S14_S18_S1A_T6_T7_T9_mT8_S1C_bDpT10_ENKUlT_T0_E_clISt17integral_constantIbLb0EES1O_IbLb1EEEEDaS1K_S1L_EUlS1K_E_NS1_11comp_targetILNS1_3genE8ELNS1_11target_archE1030ELNS1_3gpuE2ELNS1_3repE0EEENS1_30default_config_static_selectorELNS0_4arch9wavefront6targetE0EEEvSY_,comdat
.Lfunc_end1013:
	.size	_ZN7rocprim17ROCPRIM_400000_NS6detail17trampoline_kernelINS0_13select_configILj256ELj13ELNS0_17block_load_methodE3ELS4_3ELS4_3ELNS0_20block_scan_algorithmE0ELj4294967295EEENS1_25partition_config_selectorILNS1_17partition_subalgoE3EjNS0_10empty_typeEbEEZZNS1_14partition_implILS8_3ELb0ES6_jNS0_17counting_iteratorIjlEEPS9_SE_NS0_5tupleIJPjSE_EEENSF_IJSE_SE_EEES9_SG_JZNS1_25segmented_radix_sort_implINS0_14default_configELb0EPKsPsPKlPlN2at6native12_GLOBAL__N_18offset_tEEE10hipError_tPvRmT1_PNSt15iterator_traitsISY_E10value_typeET2_T3_PNSZ_IS14_E10value_typeET4_jRbjT5_S1A_jjP12ihipStream_tbEUljE_EEESV_SW_SX_S14_S18_S1A_T6_T7_T9_mT8_S1C_bDpT10_ENKUlT_T0_E_clISt17integral_constantIbLb0EES1O_IbLb1EEEEDaS1K_S1L_EUlS1K_E_NS1_11comp_targetILNS1_3genE8ELNS1_11target_archE1030ELNS1_3gpuE2ELNS1_3repE0EEENS1_30default_config_static_selectorELNS0_4arch9wavefront6targetE0EEEvSY_, .Lfunc_end1013-_ZN7rocprim17ROCPRIM_400000_NS6detail17trampoline_kernelINS0_13select_configILj256ELj13ELNS0_17block_load_methodE3ELS4_3ELS4_3ELNS0_20block_scan_algorithmE0ELj4294967295EEENS1_25partition_config_selectorILNS1_17partition_subalgoE3EjNS0_10empty_typeEbEEZZNS1_14partition_implILS8_3ELb0ES6_jNS0_17counting_iteratorIjlEEPS9_SE_NS0_5tupleIJPjSE_EEENSF_IJSE_SE_EEES9_SG_JZNS1_25segmented_radix_sort_implINS0_14default_configELb0EPKsPsPKlPlN2at6native12_GLOBAL__N_18offset_tEEE10hipError_tPvRmT1_PNSt15iterator_traitsISY_E10value_typeET2_T3_PNSZ_IS14_E10value_typeET4_jRbjT5_S1A_jjP12ihipStream_tbEUljE_EEESV_SW_SX_S14_S18_S1A_T6_T7_T9_mT8_S1C_bDpT10_ENKUlT_T0_E_clISt17integral_constantIbLb0EES1O_IbLb1EEEEDaS1K_S1L_EUlS1K_E_NS1_11comp_targetILNS1_3genE8ELNS1_11target_archE1030ELNS1_3gpuE2ELNS1_3repE0EEENS1_30default_config_static_selectorELNS0_4arch9wavefront6targetE0EEEvSY_
                                        ; -- End function
	.set _ZN7rocprim17ROCPRIM_400000_NS6detail17trampoline_kernelINS0_13select_configILj256ELj13ELNS0_17block_load_methodE3ELS4_3ELS4_3ELNS0_20block_scan_algorithmE0ELj4294967295EEENS1_25partition_config_selectorILNS1_17partition_subalgoE3EjNS0_10empty_typeEbEEZZNS1_14partition_implILS8_3ELb0ES6_jNS0_17counting_iteratorIjlEEPS9_SE_NS0_5tupleIJPjSE_EEENSF_IJSE_SE_EEES9_SG_JZNS1_25segmented_radix_sort_implINS0_14default_configELb0EPKsPsPKlPlN2at6native12_GLOBAL__N_18offset_tEEE10hipError_tPvRmT1_PNSt15iterator_traitsISY_E10value_typeET2_T3_PNSZ_IS14_E10value_typeET4_jRbjT5_S1A_jjP12ihipStream_tbEUljE_EEESV_SW_SX_S14_S18_S1A_T6_T7_T9_mT8_S1C_bDpT10_ENKUlT_T0_E_clISt17integral_constantIbLb0EES1O_IbLb1EEEEDaS1K_S1L_EUlS1K_E_NS1_11comp_targetILNS1_3genE8ELNS1_11target_archE1030ELNS1_3gpuE2ELNS1_3repE0EEENS1_30default_config_static_selectorELNS0_4arch9wavefront6targetE0EEEvSY_.num_vgpr, 0
	.set _ZN7rocprim17ROCPRIM_400000_NS6detail17trampoline_kernelINS0_13select_configILj256ELj13ELNS0_17block_load_methodE3ELS4_3ELS4_3ELNS0_20block_scan_algorithmE0ELj4294967295EEENS1_25partition_config_selectorILNS1_17partition_subalgoE3EjNS0_10empty_typeEbEEZZNS1_14partition_implILS8_3ELb0ES6_jNS0_17counting_iteratorIjlEEPS9_SE_NS0_5tupleIJPjSE_EEENSF_IJSE_SE_EEES9_SG_JZNS1_25segmented_radix_sort_implINS0_14default_configELb0EPKsPsPKlPlN2at6native12_GLOBAL__N_18offset_tEEE10hipError_tPvRmT1_PNSt15iterator_traitsISY_E10value_typeET2_T3_PNSZ_IS14_E10value_typeET4_jRbjT5_S1A_jjP12ihipStream_tbEUljE_EEESV_SW_SX_S14_S18_S1A_T6_T7_T9_mT8_S1C_bDpT10_ENKUlT_T0_E_clISt17integral_constantIbLb0EES1O_IbLb1EEEEDaS1K_S1L_EUlS1K_E_NS1_11comp_targetILNS1_3genE8ELNS1_11target_archE1030ELNS1_3gpuE2ELNS1_3repE0EEENS1_30default_config_static_selectorELNS0_4arch9wavefront6targetE0EEEvSY_.num_agpr, 0
	.set _ZN7rocprim17ROCPRIM_400000_NS6detail17trampoline_kernelINS0_13select_configILj256ELj13ELNS0_17block_load_methodE3ELS4_3ELS4_3ELNS0_20block_scan_algorithmE0ELj4294967295EEENS1_25partition_config_selectorILNS1_17partition_subalgoE3EjNS0_10empty_typeEbEEZZNS1_14partition_implILS8_3ELb0ES6_jNS0_17counting_iteratorIjlEEPS9_SE_NS0_5tupleIJPjSE_EEENSF_IJSE_SE_EEES9_SG_JZNS1_25segmented_radix_sort_implINS0_14default_configELb0EPKsPsPKlPlN2at6native12_GLOBAL__N_18offset_tEEE10hipError_tPvRmT1_PNSt15iterator_traitsISY_E10value_typeET2_T3_PNSZ_IS14_E10value_typeET4_jRbjT5_S1A_jjP12ihipStream_tbEUljE_EEESV_SW_SX_S14_S18_S1A_T6_T7_T9_mT8_S1C_bDpT10_ENKUlT_T0_E_clISt17integral_constantIbLb0EES1O_IbLb1EEEEDaS1K_S1L_EUlS1K_E_NS1_11comp_targetILNS1_3genE8ELNS1_11target_archE1030ELNS1_3gpuE2ELNS1_3repE0EEENS1_30default_config_static_selectorELNS0_4arch9wavefront6targetE0EEEvSY_.numbered_sgpr, 0
	.set _ZN7rocprim17ROCPRIM_400000_NS6detail17trampoline_kernelINS0_13select_configILj256ELj13ELNS0_17block_load_methodE3ELS4_3ELS4_3ELNS0_20block_scan_algorithmE0ELj4294967295EEENS1_25partition_config_selectorILNS1_17partition_subalgoE3EjNS0_10empty_typeEbEEZZNS1_14partition_implILS8_3ELb0ES6_jNS0_17counting_iteratorIjlEEPS9_SE_NS0_5tupleIJPjSE_EEENSF_IJSE_SE_EEES9_SG_JZNS1_25segmented_radix_sort_implINS0_14default_configELb0EPKsPsPKlPlN2at6native12_GLOBAL__N_18offset_tEEE10hipError_tPvRmT1_PNSt15iterator_traitsISY_E10value_typeET2_T3_PNSZ_IS14_E10value_typeET4_jRbjT5_S1A_jjP12ihipStream_tbEUljE_EEESV_SW_SX_S14_S18_S1A_T6_T7_T9_mT8_S1C_bDpT10_ENKUlT_T0_E_clISt17integral_constantIbLb0EES1O_IbLb1EEEEDaS1K_S1L_EUlS1K_E_NS1_11comp_targetILNS1_3genE8ELNS1_11target_archE1030ELNS1_3gpuE2ELNS1_3repE0EEENS1_30default_config_static_selectorELNS0_4arch9wavefront6targetE0EEEvSY_.num_named_barrier, 0
	.set _ZN7rocprim17ROCPRIM_400000_NS6detail17trampoline_kernelINS0_13select_configILj256ELj13ELNS0_17block_load_methodE3ELS4_3ELS4_3ELNS0_20block_scan_algorithmE0ELj4294967295EEENS1_25partition_config_selectorILNS1_17partition_subalgoE3EjNS0_10empty_typeEbEEZZNS1_14partition_implILS8_3ELb0ES6_jNS0_17counting_iteratorIjlEEPS9_SE_NS0_5tupleIJPjSE_EEENSF_IJSE_SE_EEES9_SG_JZNS1_25segmented_radix_sort_implINS0_14default_configELb0EPKsPsPKlPlN2at6native12_GLOBAL__N_18offset_tEEE10hipError_tPvRmT1_PNSt15iterator_traitsISY_E10value_typeET2_T3_PNSZ_IS14_E10value_typeET4_jRbjT5_S1A_jjP12ihipStream_tbEUljE_EEESV_SW_SX_S14_S18_S1A_T6_T7_T9_mT8_S1C_bDpT10_ENKUlT_T0_E_clISt17integral_constantIbLb0EES1O_IbLb1EEEEDaS1K_S1L_EUlS1K_E_NS1_11comp_targetILNS1_3genE8ELNS1_11target_archE1030ELNS1_3gpuE2ELNS1_3repE0EEENS1_30default_config_static_selectorELNS0_4arch9wavefront6targetE0EEEvSY_.private_seg_size, 0
	.set _ZN7rocprim17ROCPRIM_400000_NS6detail17trampoline_kernelINS0_13select_configILj256ELj13ELNS0_17block_load_methodE3ELS4_3ELS4_3ELNS0_20block_scan_algorithmE0ELj4294967295EEENS1_25partition_config_selectorILNS1_17partition_subalgoE3EjNS0_10empty_typeEbEEZZNS1_14partition_implILS8_3ELb0ES6_jNS0_17counting_iteratorIjlEEPS9_SE_NS0_5tupleIJPjSE_EEENSF_IJSE_SE_EEES9_SG_JZNS1_25segmented_radix_sort_implINS0_14default_configELb0EPKsPsPKlPlN2at6native12_GLOBAL__N_18offset_tEEE10hipError_tPvRmT1_PNSt15iterator_traitsISY_E10value_typeET2_T3_PNSZ_IS14_E10value_typeET4_jRbjT5_S1A_jjP12ihipStream_tbEUljE_EEESV_SW_SX_S14_S18_S1A_T6_T7_T9_mT8_S1C_bDpT10_ENKUlT_T0_E_clISt17integral_constantIbLb0EES1O_IbLb1EEEEDaS1K_S1L_EUlS1K_E_NS1_11comp_targetILNS1_3genE8ELNS1_11target_archE1030ELNS1_3gpuE2ELNS1_3repE0EEENS1_30default_config_static_selectorELNS0_4arch9wavefront6targetE0EEEvSY_.uses_vcc, 0
	.set _ZN7rocprim17ROCPRIM_400000_NS6detail17trampoline_kernelINS0_13select_configILj256ELj13ELNS0_17block_load_methodE3ELS4_3ELS4_3ELNS0_20block_scan_algorithmE0ELj4294967295EEENS1_25partition_config_selectorILNS1_17partition_subalgoE3EjNS0_10empty_typeEbEEZZNS1_14partition_implILS8_3ELb0ES6_jNS0_17counting_iteratorIjlEEPS9_SE_NS0_5tupleIJPjSE_EEENSF_IJSE_SE_EEES9_SG_JZNS1_25segmented_radix_sort_implINS0_14default_configELb0EPKsPsPKlPlN2at6native12_GLOBAL__N_18offset_tEEE10hipError_tPvRmT1_PNSt15iterator_traitsISY_E10value_typeET2_T3_PNSZ_IS14_E10value_typeET4_jRbjT5_S1A_jjP12ihipStream_tbEUljE_EEESV_SW_SX_S14_S18_S1A_T6_T7_T9_mT8_S1C_bDpT10_ENKUlT_T0_E_clISt17integral_constantIbLb0EES1O_IbLb1EEEEDaS1K_S1L_EUlS1K_E_NS1_11comp_targetILNS1_3genE8ELNS1_11target_archE1030ELNS1_3gpuE2ELNS1_3repE0EEENS1_30default_config_static_selectorELNS0_4arch9wavefront6targetE0EEEvSY_.uses_flat_scratch, 0
	.set _ZN7rocprim17ROCPRIM_400000_NS6detail17trampoline_kernelINS0_13select_configILj256ELj13ELNS0_17block_load_methodE3ELS4_3ELS4_3ELNS0_20block_scan_algorithmE0ELj4294967295EEENS1_25partition_config_selectorILNS1_17partition_subalgoE3EjNS0_10empty_typeEbEEZZNS1_14partition_implILS8_3ELb0ES6_jNS0_17counting_iteratorIjlEEPS9_SE_NS0_5tupleIJPjSE_EEENSF_IJSE_SE_EEES9_SG_JZNS1_25segmented_radix_sort_implINS0_14default_configELb0EPKsPsPKlPlN2at6native12_GLOBAL__N_18offset_tEEE10hipError_tPvRmT1_PNSt15iterator_traitsISY_E10value_typeET2_T3_PNSZ_IS14_E10value_typeET4_jRbjT5_S1A_jjP12ihipStream_tbEUljE_EEESV_SW_SX_S14_S18_S1A_T6_T7_T9_mT8_S1C_bDpT10_ENKUlT_T0_E_clISt17integral_constantIbLb0EES1O_IbLb1EEEEDaS1K_S1L_EUlS1K_E_NS1_11comp_targetILNS1_3genE8ELNS1_11target_archE1030ELNS1_3gpuE2ELNS1_3repE0EEENS1_30default_config_static_selectorELNS0_4arch9wavefront6targetE0EEEvSY_.has_dyn_sized_stack, 0
	.set _ZN7rocprim17ROCPRIM_400000_NS6detail17trampoline_kernelINS0_13select_configILj256ELj13ELNS0_17block_load_methodE3ELS4_3ELS4_3ELNS0_20block_scan_algorithmE0ELj4294967295EEENS1_25partition_config_selectorILNS1_17partition_subalgoE3EjNS0_10empty_typeEbEEZZNS1_14partition_implILS8_3ELb0ES6_jNS0_17counting_iteratorIjlEEPS9_SE_NS0_5tupleIJPjSE_EEENSF_IJSE_SE_EEES9_SG_JZNS1_25segmented_radix_sort_implINS0_14default_configELb0EPKsPsPKlPlN2at6native12_GLOBAL__N_18offset_tEEE10hipError_tPvRmT1_PNSt15iterator_traitsISY_E10value_typeET2_T3_PNSZ_IS14_E10value_typeET4_jRbjT5_S1A_jjP12ihipStream_tbEUljE_EEESV_SW_SX_S14_S18_S1A_T6_T7_T9_mT8_S1C_bDpT10_ENKUlT_T0_E_clISt17integral_constantIbLb0EES1O_IbLb1EEEEDaS1K_S1L_EUlS1K_E_NS1_11comp_targetILNS1_3genE8ELNS1_11target_archE1030ELNS1_3gpuE2ELNS1_3repE0EEENS1_30default_config_static_selectorELNS0_4arch9wavefront6targetE0EEEvSY_.has_recursion, 0
	.set _ZN7rocprim17ROCPRIM_400000_NS6detail17trampoline_kernelINS0_13select_configILj256ELj13ELNS0_17block_load_methodE3ELS4_3ELS4_3ELNS0_20block_scan_algorithmE0ELj4294967295EEENS1_25partition_config_selectorILNS1_17partition_subalgoE3EjNS0_10empty_typeEbEEZZNS1_14partition_implILS8_3ELb0ES6_jNS0_17counting_iteratorIjlEEPS9_SE_NS0_5tupleIJPjSE_EEENSF_IJSE_SE_EEES9_SG_JZNS1_25segmented_radix_sort_implINS0_14default_configELb0EPKsPsPKlPlN2at6native12_GLOBAL__N_18offset_tEEE10hipError_tPvRmT1_PNSt15iterator_traitsISY_E10value_typeET2_T3_PNSZ_IS14_E10value_typeET4_jRbjT5_S1A_jjP12ihipStream_tbEUljE_EEESV_SW_SX_S14_S18_S1A_T6_T7_T9_mT8_S1C_bDpT10_ENKUlT_T0_E_clISt17integral_constantIbLb0EES1O_IbLb1EEEEDaS1K_S1L_EUlS1K_E_NS1_11comp_targetILNS1_3genE8ELNS1_11target_archE1030ELNS1_3gpuE2ELNS1_3repE0EEENS1_30default_config_static_selectorELNS0_4arch9wavefront6targetE0EEEvSY_.has_indirect_call, 0
	.section	.AMDGPU.csdata,"",@progbits
; Kernel info:
; codeLenInByte = 0
; TotalNumSgprs: 0
; NumVgprs: 0
; ScratchSize: 0
; MemoryBound: 0
; FloatMode: 240
; IeeeMode: 1
; LDSByteSize: 0 bytes/workgroup (compile time only)
; SGPRBlocks: 0
; VGPRBlocks: 0
; NumSGPRsForWavesPerEU: 1
; NumVGPRsForWavesPerEU: 1
; Occupancy: 16
; WaveLimiterHint : 0
; COMPUTE_PGM_RSRC2:SCRATCH_EN: 0
; COMPUTE_PGM_RSRC2:USER_SGPR: 2
; COMPUTE_PGM_RSRC2:TRAP_HANDLER: 0
; COMPUTE_PGM_RSRC2:TGID_X_EN: 1
; COMPUTE_PGM_RSRC2:TGID_Y_EN: 0
; COMPUTE_PGM_RSRC2:TGID_Z_EN: 0
; COMPUTE_PGM_RSRC2:TIDIG_COMP_CNT: 0
	.section	.text._ZN7rocprim17ROCPRIM_400000_NS6detail17trampoline_kernelINS0_14default_configENS1_36segmented_radix_sort_config_selectorIslEEZNS1_25segmented_radix_sort_implIS3_Lb0EPKsPsPKlPlN2at6native12_GLOBAL__N_18offset_tEEE10hipError_tPvRmT1_PNSt15iterator_traitsISK_E10value_typeET2_T3_PNSL_ISQ_E10value_typeET4_jRbjT5_SW_jjP12ihipStream_tbEUlT_E_NS1_11comp_targetILNS1_3genE0ELNS1_11target_archE4294967295ELNS1_3gpuE0ELNS1_3repE0EEENS1_30default_config_static_selectorELNS0_4arch9wavefront6targetE0EEEvSK_,"axG",@progbits,_ZN7rocprim17ROCPRIM_400000_NS6detail17trampoline_kernelINS0_14default_configENS1_36segmented_radix_sort_config_selectorIslEEZNS1_25segmented_radix_sort_implIS3_Lb0EPKsPsPKlPlN2at6native12_GLOBAL__N_18offset_tEEE10hipError_tPvRmT1_PNSt15iterator_traitsISK_E10value_typeET2_T3_PNSL_ISQ_E10value_typeET4_jRbjT5_SW_jjP12ihipStream_tbEUlT_E_NS1_11comp_targetILNS1_3genE0ELNS1_11target_archE4294967295ELNS1_3gpuE0ELNS1_3repE0EEENS1_30default_config_static_selectorELNS0_4arch9wavefront6targetE0EEEvSK_,comdat
	.globl	_ZN7rocprim17ROCPRIM_400000_NS6detail17trampoline_kernelINS0_14default_configENS1_36segmented_radix_sort_config_selectorIslEEZNS1_25segmented_radix_sort_implIS3_Lb0EPKsPsPKlPlN2at6native12_GLOBAL__N_18offset_tEEE10hipError_tPvRmT1_PNSt15iterator_traitsISK_E10value_typeET2_T3_PNSL_ISQ_E10value_typeET4_jRbjT5_SW_jjP12ihipStream_tbEUlT_E_NS1_11comp_targetILNS1_3genE0ELNS1_11target_archE4294967295ELNS1_3gpuE0ELNS1_3repE0EEENS1_30default_config_static_selectorELNS0_4arch9wavefront6targetE0EEEvSK_ ; -- Begin function _ZN7rocprim17ROCPRIM_400000_NS6detail17trampoline_kernelINS0_14default_configENS1_36segmented_radix_sort_config_selectorIslEEZNS1_25segmented_radix_sort_implIS3_Lb0EPKsPsPKlPlN2at6native12_GLOBAL__N_18offset_tEEE10hipError_tPvRmT1_PNSt15iterator_traitsISK_E10value_typeET2_T3_PNSL_ISQ_E10value_typeET4_jRbjT5_SW_jjP12ihipStream_tbEUlT_E_NS1_11comp_targetILNS1_3genE0ELNS1_11target_archE4294967295ELNS1_3gpuE0ELNS1_3repE0EEENS1_30default_config_static_selectorELNS0_4arch9wavefront6targetE0EEEvSK_
	.p2align	8
	.type	_ZN7rocprim17ROCPRIM_400000_NS6detail17trampoline_kernelINS0_14default_configENS1_36segmented_radix_sort_config_selectorIslEEZNS1_25segmented_radix_sort_implIS3_Lb0EPKsPsPKlPlN2at6native12_GLOBAL__N_18offset_tEEE10hipError_tPvRmT1_PNSt15iterator_traitsISK_E10value_typeET2_T3_PNSL_ISQ_E10value_typeET4_jRbjT5_SW_jjP12ihipStream_tbEUlT_E_NS1_11comp_targetILNS1_3genE0ELNS1_11target_archE4294967295ELNS1_3gpuE0ELNS1_3repE0EEENS1_30default_config_static_selectorELNS0_4arch9wavefront6targetE0EEEvSK_,@function
_ZN7rocprim17ROCPRIM_400000_NS6detail17trampoline_kernelINS0_14default_configENS1_36segmented_radix_sort_config_selectorIslEEZNS1_25segmented_radix_sort_implIS3_Lb0EPKsPsPKlPlN2at6native12_GLOBAL__N_18offset_tEEE10hipError_tPvRmT1_PNSt15iterator_traitsISK_E10value_typeET2_T3_PNSL_ISQ_E10value_typeET4_jRbjT5_SW_jjP12ihipStream_tbEUlT_E_NS1_11comp_targetILNS1_3genE0ELNS1_11target_archE4294967295ELNS1_3gpuE0ELNS1_3repE0EEENS1_30default_config_static_selectorELNS0_4arch9wavefront6targetE0EEEvSK_: ; @_ZN7rocprim17ROCPRIM_400000_NS6detail17trampoline_kernelINS0_14default_configENS1_36segmented_radix_sort_config_selectorIslEEZNS1_25segmented_radix_sort_implIS3_Lb0EPKsPsPKlPlN2at6native12_GLOBAL__N_18offset_tEEE10hipError_tPvRmT1_PNSt15iterator_traitsISK_E10value_typeET2_T3_PNSL_ISQ_E10value_typeET4_jRbjT5_SW_jjP12ihipStream_tbEUlT_E_NS1_11comp_targetILNS1_3genE0ELNS1_11target_archE4294967295ELNS1_3gpuE0ELNS1_3repE0EEENS1_30default_config_static_selectorELNS0_4arch9wavefront6targetE0EEEvSK_
; %bb.0:
	.section	.rodata,"a",@progbits
	.p2align	6, 0x0
	.amdhsa_kernel _ZN7rocprim17ROCPRIM_400000_NS6detail17trampoline_kernelINS0_14default_configENS1_36segmented_radix_sort_config_selectorIslEEZNS1_25segmented_radix_sort_implIS3_Lb0EPKsPsPKlPlN2at6native12_GLOBAL__N_18offset_tEEE10hipError_tPvRmT1_PNSt15iterator_traitsISK_E10value_typeET2_T3_PNSL_ISQ_E10value_typeET4_jRbjT5_SW_jjP12ihipStream_tbEUlT_E_NS1_11comp_targetILNS1_3genE0ELNS1_11target_archE4294967295ELNS1_3gpuE0ELNS1_3repE0EEENS1_30default_config_static_selectorELNS0_4arch9wavefront6targetE0EEEvSK_
		.amdhsa_group_segment_fixed_size 0
		.amdhsa_private_segment_fixed_size 0
		.amdhsa_kernarg_size 96
		.amdhsa_user_sgpr_count 2
		.amdhsa_user_sgpr_dispatch_ptr 0
		.amdhsa_user_sgpr_queue_ptr 0
		.amdhsa_user_sgpr_kernarg_segment_ptr 1
		.amdhsa_user_sgpr_dispatch_id 0
		.amdhsa_user_sgpr_private_segment_size 0
		.amdhsa_wavefront_size32 1
		.amdhsa_uses_dynamic_stack 0
		.amdhsa_enable_private_segment 0
		.amdhsa_system_sgpr_workgroup_id_x 1
		.amdhsa_system_sgpr_workgroup_id_y 0
		.amdhsa_system_sgpr_workgroup_id_z 0
		.amdhsa_system_sgpr_workgroup_info 0
		.amdhsa_system_vgpr_workitem_id 0
		.amdhsa_next_free_vgpr 1
		.amdhsa_next_free_sgpr 1
		.amdhsa_reserve_vcc 0
		.amdhsa_float_round_mode_32 0
		.amdhsa_float_round_mode_16_64 0
		.amdhsa_float_denorm_mode_32 3
		.amdhsa_float_denorm_mode_16_64 3
		.amdhsa_fp16_overflow 0
		.amdhsa_workgroup_processor_mode 1
		.amdhsa_memory_ordered 1
		.amdhsa_forward_progress 1
		.amdhsa_inst_pref_size 0
		.amdhsa_round_robin_scheduling 0
		.amdhsa_exception_fp_ieee_invalid_op 0
		.amdhsa_exception_fp_denorm_src 0
		.amdhsa_exception_fp_ieee_div_zero 0
		.amdhsa_exception_fp_ieee_overflow 0
		.amdhsa_exception_fp_ieee_underflow 0
		.amdhsa_exception_fp_ieee_inexact 0
		.amdhsa_exception_int_div_zero 0
	.end_amdhsa_kernel
	.section	.text._ZN7rocprim17ROCPRIM_400000_NS6detail17trampoline_kernelINS0_14default_configENS1_36segmented_radix_sort_config_selectorIslEEZNS1_25segmented_radix_sort_implIS3_Lb0EPKsPsPKlPlN2at6native12_GLOBAL__N_18offset_tEEE10hipError_tPvRmT1_PNSt15iterator_traitsISK_E10value_typeET2_T3_PNSL_ISQ_E10value_typeET4_jRbjT5_SW_jjP12ihipStream_tbEUlT_E_NS1_11comp_targetILNS1_3genE0ELNS1_11target_archE4294967295ELNS1_3gpuE0ELNS1_3repE0EEENS1_30default_config_static_selectorELNS0_4arch9wavefront6targetE0EEEvSK_,"axG",@progbits,_ZN7rocprim17ROCPRIM_400000_NS6detail17trampoline_kernelINS0_14default_configENS1_36segmented_radix_sort_config_selectorIslEEZNS1_25segmented_radix_sort_implIS3_Lb0EPKsPsPKlPlN2at6native12_GLOBAL__N_18offset_tEEE10hipError_tPvRmT1_PNSt15iterator_traitsISK_E10value_typeET2_T3_PNSL_ISQ_E10value_typeET4_jRbjT5_SW_jjP12ihipStream_tbEUlT_E_NS1_11comp_targetILNS1_3genE0ELNS1_11target_archE4294967295ELNS1_3gpuE0ELNS1_3repE0EEENS1_30default_config_static_selectorELNS0_4arch9wavefront6targetE0EEEvSK_,comdat
.Lfunc_end1014:
	.size	_ZN7rocprim17ROCPRIM_400000_NS6detail17trampoline_kernelINS0_14default_configENS1_36segmented_radix_sort_config_selectorIslEEZNS1_25segmented_radix_sort_implIS3_Lb0EPKsPsPKlPlN2at6native12_GLOBAL__N_18offset_tEEE10hipError_tPvRmT1_PNSt15iterator_traitsISK_E10value_typeET2_T3_PNSL_ISQ_E10value_typeET4_jRbjT5_SW_jjP12ihipStream_tbEUlT_E_NS1_11comp_targetILNS1_3genE0ELNS1_11target_archE4294967295ELNS1_3gpuE0ELNS1_3repE0EEENS1_30default_config_static_selectorELNS0_4arch9wavefront6targetE0EEEvSK_, .Lfunc_end1014-_ZN7rocprim17ROCPRIM_400000_NS6detail17trampoline_kernelINS0_14default_configENS1_36segmented_radix_sort_config_selectorIslEEZNS1_25segmented_radix_sort_implIS3_Lb0EPKsPsPKlPlN2at6native12_GLOBAL__N_18offset_tEEE10hipError_tPvRmT1_PNSt15iterator_traitsISK_E10value_typeET2_T3_PNSL_ISQ_E10value_typeET4_jRbjT5_SW_jjP12ihipStream_tbEUlT_E_NS1_11comp_targetILNS1_3genE0ELNS1_11target_archE4294967295ELNS1_3gpuE0ELNS1_3repE0EEENS1_30default_config_static_selectorELNS0_4arch9wavefront6targetE0EEEvSK_
                                        ; -- End function
	.set _ZN7rocprim17ROCPRIM_400000_NS6detail17trampoline_kernelINS0_14default_configENS1_36segmented_radix_sort_config_selectorIslEEZNS1_25segmented_radix_sort_implIS3_Lb0EPKsPsPKlPlN2at6native12_GLOBAL__N_18offset_tEEE10hipError_tPvRmT1_PNSt15iterator_traitsISK_E10value_typeET2_T3_PNSL_ISQ_E10value_typeET4_jRbjT5_SW_jjP12ihipStream_tbEUlT_E_NS1_11comp_targetILNS1_3genE0ELNS1_11target_archE4294967295ELNS1_3gpuE0ELNS1_3repE0EEENS1_30default_config_static_selectorELNS0_4arch9wavefront6targetE0EEEvSK_.num_vgpr, 0
	.set _ZN7rocprim17ROCPRIM_400000_NS6detail17trampoline_kernelINS0_14default_configENS1_36segmented_radix_sort_config_selectorIslEEZNS1_25segmented_radix_sort_implIS3_Lb0EPKsPsPKlPlN2at6native12_GLOBAL__N_18offset_tEEE10hipError_tPvRmT1_PNSt15iterator_traitsISK_E10value_typeET2_T3_PNSL_ISQ_E10value_typeET4_jRbjT5_SW_jjP12ihipStream_tbEUlT_E_NS1_11comp_targetILNS1_3genE0ELNS1_11target_archE4294967295ELNS1_3gpuE0ELNS1_3repE0EEENS1_30default_config_static_selectorELNS0_4arch9wavefront6targetE0EEEvSK_.num_agpr, 0
	.set _ZN7rocprim17ROCPRIM_400000_NS6detail17trampoline_kernelINS0_14default_configENS1_36segmented_radix_sort_config_selectorIslEEZNS1_25segmented_radix_sort_implIS3_Lb0EPKsPsPKlPlN2at6native12_GLOBAL__N_18offset_tEEE10hipError_tPvRmT1_PNSt15iterator_traitsISK_E10value_typeET2_T3_PNSL_ISQ_E10value_typeET4_jRbjT5_SW_jjP12ihipStream_tbEUlT_E_NS1_11comp_targetILNS1_3genE0ELNS1_11target_archE4294967295ELNS1_3gpuE0ELNS1_3repE0EEENS1_30default_config_static_selectorELNS0_4arch9wavefront6targetE0EEEvSK_.numbered_sgpr, 0
	.set _ZN7rocprim17ROCPRIM_400000_NS6detail17trampoline_kernelINS0_14default_configENS1_36segmented_radix_sort_config_selectorIslEEZNS1_25segmented_radix_sort_implIS3_Lb0EPKsPsPKlPlN2at6native12_GLOBAL__N_18offset_tEEE10hipError_tPvRmT1_PNSt15iterator_traitsISK_E10value_typeET2_T3_PNSL_ISQ_E10value_typeET4_jRbjT5_SW_jjP12ihipStream_tbEUlT_E_NS1_11comp_targetILNS1_3genE0ELNS1_11target_archE4294967295ELNS1_3gpuE0ELNS1_3repE0EEENS1_30default_config_static_selectorELNS0_4arch9wavefront6targetE0EEEvSK_.num_named_barrier, 0
	.set _ZN7rocprim17ROCPRIM_400000_NS6detail17trampoline_kernelINS0_14default_configENS1_36segmented_radix_sort_config_selectorIslEEZNS1_25segmented_radix_sort_implIS3_Lb0EPKsPsPKlPlN2at6native12_GLOBAL__N_18offset_tEEE10hipError_tPvRmT1_PNSt15iterator_traitsISK_E10value_typeET2_T3_PNSL_ISQ_E10value_typeET4_jRbjT5_SW_jjP12ihipStream_tbEUlT_E_NS1_11comp_targetILNS1_3genE0ELNS1_11target_archE4294967295ELNS1_3gpuE0ELNS1_3repE0EEENS1_30default_config_static_selectorELNS0_4arch9wavefront6targetE0EEEvSK_.private_seg_size, 0
	.set _ZN7rocprim17ROCPRIM_400000_NS6detail17trampoline_kernelINS0_14default_configENS1_36segmented_radix_sort_config_selectorIslEEZNS1_25segmented_radix_sort_implIS3_Lb0EPKsPsPKlPlN2at6native12_GLOBAL__N_18offset_tEEE10hipError_tPvRmT1_PNSt15iterator_traitsISK_E10value_typeET2_T3_PNSL_ISQ_E10value_typeET4_jRbjT5_SW_jjP12ihipStream_tbEUlT_E_NS1_11comp_targetILNS1_3genE0ELNS1_11target_archE4294967295ELNS1_3gpuE0ELNS1_3repE0EEENS1_30default_config_static_selectorELNS0_4arch9wavefront6targetE0EEEvSK_.uses_vcc, 0
	.set _ZN7rocprim17ROCPRIM_400000_NS6detail17trampoline_kernelINS0_14default_configENS1_36segmented_radix_sort_config_selectorIslEEZNS1_25segmented_radix_sort_implIS3_Lb0EPKsPsPKlPlN2at6native12_GLOBAL__N_18offset_tEEE10hipError_tPvRmT1_PNSt15iterator_traitsISK_E10value_typeET2_T3_PNSL_ISQ_E10value_typeET4_jRbjT5_SW_jjP12ihipStream_tbEUlT_E_NS1_11comp_targetILNS1_3genE0ELNS1_11target_archE4294967295ELNS1_3gpuE0ELNS1_3repE0EEENS1_30default_config_static_selectorELNS0_4arch9wavefront6targetE0EEEvSK_.uses_flat_scratch, 0
	.set _ZN7rocprim17ROCPRIM_400000_NS6detail17trampoline_kernelINS0_14default_configENS1_36segmented_radix_sort_config_selectorIslEEZNS1_25segmented_radix_sort_implIS3_Lb0EPKsPsPKlPlN2at6native12_GLOBAL__N_18offset_tEEE10hipError_tPvRmT1_PNSt15iterator_traitsISK_E10value_typeET2_T3_PNSL_ISQ_E10value_typeET4_jRbjT5_SW_jjP12ihipStream_tbEUlT_E_NS1_11comp_targetILNS1_3genE0ELNS1_11target_archE4294967295ELNS1_3gpuE0ELNS1_3repE0EEENS1_30default_config_static_selectorELNS0_4arch9wavefront6targetE0EEEvSK_.has_dyn_sized_stack, 0
	.set _ZN7rocprim17ROCPRIM_400000_NS6detail17trampoline_kernelINS0_14default_configENS1_36segmented_radix_sort_config_selectorIslEEZNS1_25segmented_radix_sort_implIS3_Lb0EPKsPsPKlPlN2at6native12_GLOBAL__N_18offset_tEEE10hipError_tPvRmT1_PNSt15iterator_traitsISK_E10value_typeET2_T3_PNSL_ISQ_E10value_typeET4_jRbjT5_SW_jjP12ihipStream_tbEUlT_E_NS1_11comp_targetILNS1_3genE0ELNS1_11target_archE4294967295ELNS1_3gpuE0ELNS1_3repE0EEENS1_30default_config_static_selectorELNS0_4arch9wavefront6targetE0EEEvSK_.has_recursion, 0
	.set _ZN7rocprim17ROCPRIM_400000_NS6detail17trampoline_kernelINS0_14default_configENS1_36segmented_radix_sort_config_selectorIslEEZNS1_25segmented_radix_sort_implIS3_Lb0EPKsPsPKlPlN2at6native12_GLOBAL__N_18offset_tEEE10hipError_tPvRmT1_PNSt15iterator_traitsISK_E10value_typeET2_T3_PNSL_ISQ_E10value_typeET4_jRbjT5_SW_jjP12ihipStream_tbEUlT_E_NS1_11comp_targetILNS1_3genE0ELNS1_11target_archE4294967295ELNS1_3gpuE0ELNS1_3repE0EEENS1_30default_config_static_selectorELNS0_4arch9wavefront6targetE0EEEvSK_.has_indirect_call, 0
	.section	.AMDGPU.csdata,"",@progbits
; Kernel info:
; codeLenInByte = 0
; TotalNumSgprs: 0
; NumVgprs: 0
; ScratchSize: 0
; MemoryBound: 0
; FloatMode: 240
; IeeeMode: 1
; LDSByteSize: 0 bytes/workgroup (compile time only)
; SGPRBlocks: 0
; VGPRBlocks: 0
; NumSGPRsForWavesPerEU: 1
; NumVGPRsForWavesPerEU: 1
; Occupancy: 16
; WaveLimiterHint : 0
; COMPUTE_PGM_RSRC2:SCRATCH_EN: 0
; COMPUTE_PGM_RSRC2:USER_SGPR: 2
; COMPUTE_PGM_RSRC2:TRAP_HANDLER: 0
; COMPUTE_PGM_RSRC2:TGID_X_EN: 1
; COMPUTE_PGM_RSRC2:TGID_Y_EN: 0
; COMPUTE_PGM_RSRC2:TGID_Z_EN: 0
; COMPUTE_PGM_RSRC2:TIDIG_COMP_CNT: 0
	.section	.text._ZN7rocprim17ROCPRIM_400000_NS6detail17trampoline_kernelINS0_14default_configENS1_36segmented_radix_sort_config_selectorIslEEZNS1_25segmented_radix_sort_implIS3_Lb0EPKsPsPKlPlN2at6native12_GLOBAL__N_18offset_tEEE10hipError_tPvRmT1_PNSt15iterator_traitsISK_E10value_typeET2_T3_PNSL_ISQ_E10value_typeET4_jRbjT5_SW_jjP12ihipStream_tbEUlT_E_NS1_11comp_targetILNS1_3genE5ELNS1_11target_archE942ELNS1_3gpuE9ELNS1_3repE0EEENS1_30default_config_static_selectorELNS0_4arch9wavefront6targetE0EEEvSK_,"axG",@progbits,_ZN7rocprim17ROCPRIM_400000_NS6detail17trampoline_kernelINS0_14default_configENS1_36segmented_radix_sort_config_selectorIslEEZNS1_25segmented_radix_sort_implIS3_Lb0EPKsPsPKlPlN2at6native12_GLOBAL__N_18offset_tEEE10hipError_tPvRmT1_PNSt15iterator_traitsISK_E10value_typeET2_T3_PNSL_ISQ_E10value_typeET4_jRbjT5_SW_jjP12ihipStream_tbEUlT_E_NS1_11comp_targetILNS1_3genE5ELNS1_11target_archE942ELNS1_3gpuE9ELNS1_3repE0EEENS1_30default_config_static_selectorELNS0_4arch9wavefront6targetE0EEEvSK_,comdat
	.globl	_ZN7rocprim17ROCPRIM_400000_NS6detail17trampoline_kernelINS0_14default_configENS1_36segmented_radix_sort_config_selectorIslEEZNS1_25segmented_radix_sort_implIS3_Lb0EPKsPsPKlPlN2at6native12_GLOBAL__N_18offset_tEEE10hipError_tPvRmT1_PNSt15iterator_traitsISK_E10value_typeET2_T3_PNSL_ISQ_E10value_typeET4_jRbjT5_SW_jjP12ihipStream_tbEUlT_E_NS1_11comp_targetILNS1_3genE5ELNS1_11target_archE942ELNS1_3gpuE9ELNS1_3repE0EEENS1_30default_config_static_selectorELNS0_4arch9wavefront6targetE0EEEvSK_ ; -- Begin function _ZN7rocprim17ROCPRIM_400000_NS6detail17trampoline_kernelINS0_14default_configENS1_36segmented_radix_sort_config_selectorIslEEZNS1_25segmented_radix_sort_implIS3_Lb0EPKsPsPKlPlN2at6native12_GLOBAL__N_18offset_tEEE10hipError_tPvRmT1_PNSt15iterator_traitsISK_E10value_typeET2_T3_PNSL_ISQ_E10value_typeET4_jRbjT5_SW_jjP12ihipStream_tbEUlT_E_NS1_11comp_targetILNS1_3genE5ELNS1_11target_archE942ELNS1_3gpuE9ELNS1_3repE0EEENS1_30default_config_static_selectorELNS0_4arch9wavefront6targetE0EEEvSK_
	.p2align	8
	.type	_ZN7rocprim17ROCPRIM_400000_NS6detail17trampoline_kernelINS0_14default_configENS1_36segmented_radix_sort_config_selectorIslEEZNS1_25segmented_radix_sort_implIS3_Lb0EPKsPsPKlPlN2at6native12_GLOBAL__N_18offset_tEEE10hipError_tPvRmT1_PNSt15iterator_traitsISK_E10value_typeET2_T3_PNSL_ISQ_E10value_typeET4_jRbjT5_SW_jjP12ihipStream_tbEUlT_E_NS1_11comp_targetILNS1_3genE5ELNS1_11target_archE942ELNS1_3gpuE9ELNS1_3repE0EEENS1_30default_config_static_selectorELNS0_4arch9wavefront6targetE0EEEvSK_,@function
_ZN7rocprim17ROCPRIM_400000_NS6detail17trampoline_kernelINS0_14default_configENS1_36segmented_radix_sort_config_selectorIslEEZNS1_25segmented_radix_sort_implIS3_Lb0EPKsPsPKlPlN2at6native12_GLOBAL__N_18offset_tEEE10hipError_tPvRmT1_PNSt15iterator_traitsISK_E10value_typeET2_T3_PNSL_ISQ_E10value_typeET4_jRbjT5_SW_jjP12ihipStream_tbEUlT_E_NS1_11comp_targetILNS1_3genE5ELNS1_11target_archE942ELNS1_3gpuE9ELNS1_3repE0EEENS1_30default_config_static_selectorELNS0_4arch9wavefront6targetE0EEEvSK_: ; @_ZN7rocprim17ROCPRIM_400000_NS6detail17trampoline_kernelINS0_14default_configENS1_36segmented_radix_sort_config_selectorIslEEZNS1_25segmented_radix_sort_implIS3_Lb0EPKsPsPKlPlN2at6native12_GLOBAL__N_18offset_tEEE10hipError_tPvRmT1_PNSt15iterator_traitsISK_E10value_typeET2_T3_PNSL_ISQ_E10value_typeET4_jRbjT5_SW_jjP12ihipStream_tbEUlT_E_NS1_11comp_targetILNS1_3genE5ELNS1_11target_archE942ELNS1_3gpuE9ELNS1_3repE0EEENS1_30default_config_static_selectorELNS0_4arch9wavefront6targetE0EEEvSK_
; %bb.0:
	.section	.rodata,"a",@progbits
	.p2align	6, 0x0
	.amdhsa_kernel _ZN7rocprim17ROCPRIM_400000_NS6detail17trampoline_kernelINS0_14default_configENS1_36segmented_radix_sort_config_selectorIslEEZNS1_25segmented_radix_sort_implIS3_Lb0EPKsPsPKlPlN2at6native12_GLOBAL__N_18offset_tEEE10hipError_tPvRmT1_PNSt15iterator_traitsISK_E10value_typeET2_T3_PNSL_ISQ_E10value_typeET4_jRbjT5_SW_jjP12ihipStream_tbEUlT_E_NS1_11comp_targetILNS1_3genE5ELNS1_11target_archE942ELNS1_3gpuE9ELNS1_3repE0EEENS1_30default_config_static_selectorELNS0_4arch9wavefront6targetE0EEEvSK_
		.amdhsa_group_segment_fixed_size 0
		.amdhsa_private_segment_fixed_size 0
		.amdhsa_kernarg_size 96
		.amdhsa_user_sgpr_count 2
		.amdhsa_user_sgpr_dispatch_ptr 0
		.amdhsa_user_sgpr_queue_ptr 0
		.amdhsa_user_sgpr_kernarg_segment_ptr 1
		.amdhsa_user_sgpr_dispatch_id 0
		.amdhsa_user_sgpr_private_segment_size 0
		.amdhsa_wavefront_size32 1
		.amdhsa_uses_dynamic_stack 0
		.amdhsa_enable_private_segment 0
		.amdhsa_system_sgpr_workgroup_id_x 1
		.amdhsa_system_sgpr_workgroup_id_y 0
		.amdhsa_system_sgpr_workgroup_id_z 0
		.amdhsa_system_sgpr_workgroup_info 0
		.amdhsa_system_vgpr_workitem_id 0
		.amdhsa_next_free_vgpr 1
		.amdhsa_next_free_sgpr 1
		.amdhsa_reserve_vcc 0
		.amdhsa_float_round_mode_32 0
		.amdhsa_float_round_mode_16_64 0
		.amdhsa_float_denorm_mode_32 3
		.amdhsa_float_denorm_mode_16_64 3
		.amdhsa_fp16_overflow 0
		.amdhsa_workgroup_processor_mode 1
		.amdhsa_memory_ordered 1
		.amdhsa_forward_progress 1
		.amdhsa_inst_pref_size 0
		.amdhsa_round_robin_scheduling 0
		.amdhsa_exception_fp_ieee_invalid_op 0
		.amdhsa_exception_fp_denorm_src 0
		.amdhsa_exception_fp_ieee_div_zero 0
		.amdhsa_exception_fp_ieee_overflow 0
		.amdhsa_exception_fp_ieee_underflow 0
		.amdhsa_exception_fp_ieee_inexact 0
		.amdhsa_exception_int_div_zero 0
	.end_amdhsa_kernel
	.section	.text._ZN7rocprim17ROCPRIM_400000_NS6detail17trampoline_kernelINS0_14default_configENS1_36segmented_radix_sort_config_selectorIslEEZNS1_25segmented_radix_sort_implIS3_Lb0EPKsPsPKlPlN2at6native12_GLOBAL__N_18offset_tEEE10hipError_tPvRmT1_PNSt15iterator_traitsISK_E10value_typeET2_T3_PNSL_ISQ_E10value_typeET4_jRbjT5_SW_jjP12ihipStream_tbEUlT_E_NS1_11comp_targetILNS1_3genE5ELNS1_11target_archE942ELNS1_3gpuE9ELNS1_3repE0EEENS1_30default_config_static_selectorELNS0_4arch9wavefront6targetE0EEEvSK_,"axG",@progbits,_ZN7rocprim17ROCPRIM_400000_NS6detail17trampoline_kernelINS0_14default_configENS1_36segmented_radix_sort_config_selectorIslEEZNS1_25segmented_radix_sort_implIS3_Lb0EPKsPsPKlPlN2at6native12_GLOBAL__N_18offset_tEEE10hipError_tPvRmT1_PNSt15iterator_traitsISK_E10value_typeET2_T3_PNSL_ISQ_E10value_typeET4_jRbjT5_SW_jjP12ihipStream_tbEUlT_E_NS1_11comp_targetILNS1_3genE5ELNS1_11target_archE942ELNS1_3gpuE9ELNS1_3repE0EEENS1_30default_config_static_selectorELNS0_4arch9wavefront6targetE0EEEvSK_,comdat
.Lfunc_end1015:
	.size	_ZN7rocprim17ROCPRIM_400000_NS6detail17trampoline_kernelINS0_14default_configENS1_36segmented_radix_sort_config_selectorIslEEZNS1_25segmented_radix_sort_implIS3_Lb0EPKsPsPKlPlN2at6native12_GLOBAL__N_18offset_tEEE10hipError_tPvRmT1_PNSt15iterator_traitsISK_E10value_typeET2_T3_PNSL_ISQ_E10value_typeET4_jRbjT5_SW_jjP12ihipStream_tbEUlT_E_NS1_11comp_targetILNS1_3genE5ELNS1_11target_archE942ELNS1_3gpuE9ELNS1_3repE0EEENS1_30default_config_static_selectorELNS0_4arch9wavefront6targetE0EEEvSK_, .Lfunc_end1015-_ZN7rocprim17ROCPRIM_400000_NS6detail17trampoline_kernelINS0_14default_configENS1_36segmented_radix_sort_config_selectorIslEEZNS1_25segmented_radix_sort_implIS3_Lb0EPKsPsPKlPlN2at6native12_GLOBAL__N_18offset_tEEE10hipError_tPvRmT1_PNSt15iterator_traitsISK_E10value_typeET2_T3_PNSL_ISQ_E10value_typeET4_jRbjT5_SW_jjP12ihipStream_tbEUlT_E_NS1_11comp_targetILNS1_3genE5ELNS1_11target_archE942ELNS1_3gpuE9ELNS1_3repE0EEENS1_30default_config_static_selectorELNS0_4arch9wavefront6targetE0EEEvSK_
                                        ; -- End function
	.set _ZN7rocprim17ROCPRIM_400000_NS6detail17trampoline_kernelINS0_14default_configENS1_36segmented_radix_sort_config_selectorIslEEZNS1_25segmented_radix_sort_implIS3_Lb0EPKsPsPKlPlN2at6native12_GLOBAL__N_18offset_tEEE10hipError_tPvRmT1_PNSt15iterator_traitsISK_E10value_typeET2_T3_PNSL_ISQ_E10value_typeET4_jRbjT5_SW_jjP12ihipStream_tbEUlT_E_NS1_11comp_targetILNS1_3genE5ELNS1_11target_archE942ELNS1_3gpuE9ELNS1_3repE0EEENS1_30default_config_static_selectorELNS0_4arch9wavefront6targetE0EEEvSK_.num_vgpr, 0
	.set _ZN7rocprim17ROCPRIM_400000_NS6detail17trampoline_kernelINS0_14default_configENS1_36segmented_radix_sort_config_selectorIslEEZNS1_25segmented_radix_sort_implIS3_Lb0EPKsPsPKlPlN2at6native12_GLOBAL__N_18offset_tEEE10hipError_tPvRmT1_PNSt15iterator_traitsISK_E10value_typeET2_T3_PNSL_ISQ_E10value_typeET4_jRbjT5_SW_jjP12ihipStream_tbEUlT_E_NS1_11comp_targetILNS1_3genE5ELNS1_11target_archE942ELNS1_3gpuE9ELNS1_3repE0EEENS1_30default_config_static_selectorELNS0_4arch9wavefront6targetE0EEEvSK_.num_agpr, 0
	.set _ZN7rocprim17ROCPRIM_400000_NS6detail17trampoline_kernelINS0_14default_configENS1_36segmented_radix_sort_config_selectorIslEEZNS1_25segmented_radix_sort_implIS3_Lb0EPKsPsPKlPlN2at6native12_GLOBAL__N_18offset_tEEE10hipError_tPvRmT1_PNSt15iterator_traitsISK_E10value_typeET2_T3_PNSL_ISQ_E10value_typeET4_jRbjT5_SW_jjP12ihipStream_tbEUlT_E_NS1_11comp_targetILNS1_3genE5ELNS1_11target_archE942ELNS1_3gpuE9ELNS1_3repE0EEENS1_30default_config_static_selectorELNS0_4arch9wavefront6targetE0EEEvSK_.numbered_sgpr, 0
	.set _ZN7rocprim17ROCPRIM_400000_NS6detail17trampoline_kernelINS0_14default_configENS1_36segmented_radix_sort_config_selectorIslEEZNS1_25segmented_radix_sort_implIS3_Lb0EPKsPsPKlPlN2at6native12_GLOBAL__N_18offset_tEEE10hipError_tPvRmT1_PNSt15iterator_traitsISK_E10value_typeET2_T3_PNSL_ISQ_E10value_typeET4_jRbjT5_SW_jjP12ihipStream_tbEUlT_E_NS1_11comp_targetILNS1_3genE5ELNS1_11target_archE942ELNS1_3gpuE9ELNS1_3repE0EEENS1_30default_config_static_selectorELNS0_4arch9wavefront6targetE0EEEvSK_.num_named_barrier, 0
	.set _ZN7rocprim17ROCPRIM_400000_NS6detail17trampoline_kernelINS0_14default_configENS1_36segmented_radix_sort_config_selectorIslEEZNS1_25segmented_radix_sort_implIS3_Lb0EPKsPsPKlPlN2at6native12_GLOBAL__N_18offset_tEEE10hipError_tPvRmT1_PNSt15iterator_traitsISK_E10value_typeET2_T3_PNSL_ISQ_E10value_typeET4_jRbjT5_SW_jjP12ihipStream_tbEUlT_E_NS1_11comp_targetILNS1_3genE5ELNS1_11target_archE942ELNS1_3gpuE9ELNS1_3repE0EEENS1_30default_config_static_selectorELNS0_4arch9wavefront6targetE0EEEvSK_.private_seg_size, 0
	.set _ZN7rocprim17ROCPRIM_400000_NS6detail17trampoline_kernelINS0_14default_configENS1_36segmented_radix_sort_config_selectorIslEEZNS1_25segmented_radix_sort_implIS3_Lb0EPKsPsPKlPlN2at6native12_GLOBAL__N_18offset_tEEE10hipError_tPvRmT1_PNSt15iterator_traitsISK_E10value_typeET2_T3_PNSL_ISQ_E10value_typeET4_jRbjT5_SW_jjP12ihipStream_tbEUlT_E_NS1_11comp_targetILNS1_3genE5ELNS1_11target_archE942ELNS1_3gpuE9ELNS1_3repE0EEENS1_30default_config_static_selectorELNS0_4arch9wavefront6targetE0EEEvSK_.uses_vcc, 0
	.set _ZN7rocprim17ROCPRIM_400000_NS6detail17trampoline_kernelINS0_14default_configENS1_36segmented_radix_sort_config_selectorIslEEZNS1_25segmented_radix_sort_implIS3_Lb0EPKsPsPKlPlN2at6native12_GLOBAL__N_18offset_tEEE10hipError_tPvRmT1_PNSt15iterator_traitsISK_E10value_typeET2_T3_PNSL_ISQ_E10value_typeET4_jRbjT5_SW_jjP12ihipStream_tbEUlT_E_NS1_11comp_targetILNS1_3genE5ELNS1_11target_archE942ELNS1_3gpuE9ELNS1_3repE0EEENS1_30default_config_static_selectorELNS0_4arch9wavefront6targetE0EEEvSK_.uses_flat_scratch, 0
	.set _ZN7rocprim17ROCPRIM_400000_NS6detail17trampoline_kernelINS0_14default_configENS1_36segmented_radix_sort_config_selectorIslEEZNS1_25segmented_radix_sort_implIS3_Lb0EPKsPsPKlPlN2at6native12_GLOBAL__N_18offset_tEEE10hipError_tPvRmT1_PNSt15iterator_traitsISK_E10value_typeET2_T3_PNSL_ISQ_E10value_typeET4_jRbjT5_SW_jjP12ihipStream_tbEUlT_E_NS1_11comp_targetILNS1_3genE5ELNS1_11target_archE942ELNS1_3gpuE9ELNS1_3repE0EEENS1_30default_config_static_selectorELNS0_4arch9wavefront6targetE0EEEvSK_.has_dyn_sized_stack, 0
	.set _ZN7rocprim17ROCPRIM_400000_NS6detail17trampoline_kernelINS0_14default_configENS1_36segmented_radix_sort_config_selectorIslEEZNS1_25segmented_radix_sort_implIS3_Lb0EPKsPsPKlPlN2at6native12_GLOBAL__N_18offset_tEEE10hipError_tPvRmT1_PNSt15iterator_traitsISK_E10value_typeET2_T3_PNSL_ISQ_E10value_typeET4_jRbjT5_SW_jjP12ihipStream_tbEUlT_E_NS1_11comp_targetILNS1_3genE5ELNS1_11target_archE942ELNS1_3gpuE9ELNS1_3repE0EEENS1_30default_config_static_selectorELNS0_4arch9wavefront6targetE0EEEvSK_.has_recursion, 0
	.set _ZN7rocprim17ROCPRIM_400000_NS6detail17trampoline_kernelINS0_14default_configENS1_36segmented_radix_sort_config_selectorIslEEZNS1_25segmented_radix_sort_implIS3_Lb0EPKsPsPKlPlN2at6native12_GLOBAL__N_18offset_tEEE10hipError_tPvRmT1_PNSt15iterator_traitsISK_E10value_typeET2_T3_PNSL_ISQ_E10value_typeET4_jRbjT5_SW_jjP12ihipStream_tbEUlT_E_NS1_11comp_targetILNS1_3genE5ELNS1_11target_archE942ELNS1_3gpuE9ELNS1_3repE0EEENS1_30default_config_static_selectorELNS0_4arch9wavefront6targetE0EEEvSK_.has_indirect_call, 0
	.section	.AMDGPU.csdata,"",@progbits
; Kernel info:
; codeLenInByte = 0
; TotalNumSgprs: 0
; NumVgprs: 0
; ScratchSize: 0
; MemoryBound: 0
; FloatMode: 240
; IeeeMode: 1
; LDSByteSize: 0 bytes/workgroup (compile time only)
; SGPRBlocks: 0
; VGPRBlocks: 0
; NumSGPRsForWavesPerEU: 1
; NumVGPRsForWavesPerEU: 1
; Occupancy: 16
; WaveLimiterHint : 0
; COMPUTE_PGM_RSRC2:SCRATCH_EN: 0
; COMPUTE_PGM_RSRC2:USER_SGPR: 2
; COMPUTE_PGM_RSRC2:TRAP_HANDLER: 0
; COMPUTE_PGM_RSRC2:TGID_X_EN: 1
; COMPUTE_PGM_RSRC2:TGID_Y_EN: 0
; COMPUTE_PGM_RSRC2:TGID_Z_EN: 0
; COMPUTE_PGM_RSRC2:TIDIG_COMP_CNT: 0
	.section	.text._ZN7rocprim17ROCPRIM_400000_NS6detail17trampoline_kernelINS0_14default_configENS1_36segmented_radix_sort_config_selectorIslEEZNS1_25segmented_radix_sort_implIS3_Lb0EPKsPsPKlPlN2at6native12_GLOBAL__N_18offset_tEEE10hipError_tPvRmT1_PNSt15iterator_traitsISK_E10value_typeET2_T3_PNSL_ISQ_E10value_typeET4_jRbjT5_SW_jjP12ihipStream_tbEUlT_E_NS1_11comp_targetILNS1_3genE4ELNS1_11target_archE910ELNS1_3gpuE8ELNS1_3repE0EEENS1_30default_config_static_selectorELNS0_4arch9wavefront6targetE0EEEvSK_,"axG",@progbits,_ZN7rocprim17ROCPRIM_400000_NS6detail17trampoline_kernelINS0_14default_configENS1_36segmented_radix_sort_config_selectorIslEEZNS1_25segmented_radix_sort_implIS3_Lb0EPKsPsPKlPlN2at6native12_GLOBAL__N_18offset_tEEE10hipError_tPvRmT1_PNSt15iterator_traitsISK_E10value_typeET2_T3_PNSL_ISQ_E10value_typeET4_jRbjT5_SW_jjP12ihipStream_tbEUlT_E_NS1_11comp_targetILNS1_3genE4ELNS1_11target_archE910ELNS1_3gpuE8ELNS1_3repE0EEENS1_30default_config_static_selectorELNS0_4arch9wavefront6targetE0EEEvSK_,comdat
	.globl	_ZN7rocprim17ROCPRIM_400000_NS6detail17trampoline_kernelINS0_14default_configENS1_36segmented_radix_sort_config_selectorIslEEZNS1_25segmented_radix_sort_implIS3_Lb0EPKsPsPKlPlN2at6native12_GLOBAL__N_18offset_tEEE10hipError_tPvRmT1_PNSt15iterator_traitsISK_E10value_typeET2_T3_PNSL_ISQ_E10value_typeET4_jRbjT5_SW_jjP12ihipStream_tbEUlT_E_NS1_11comp_targetILNS1_3genE4ELNS1_11target_archE910ELNS1_3gpuE8ELNS1_3repE0EEENS1_30default_config_static_selectorELNS0_4arch9wavefront6targetE0EEEvSK_ ; -- Begin function _ZN7rocprim17ROCPRIM_400000_NS6detail17trampoline_kernelINS0_14default_configENS1_36segmented_radix_sort_config_selectorIslEEZNS1_25segmented_radix_sort_implIS3_Lb0EPKsPsPKlPlN2at6native12_GLOBAL__N_18offset_tEEE10hipError_tPvRmT1_PNSt15iterator_traitsISK_E10value_typeET2_T3_PNSL_ISQ_E10value_typeET4_jRbjT5_SW_jjP12ihipStream_tbEUlT_E_NS1_11comp_targetILNS1_3genE4ELNS1_11target_archE910ELNS1_3gpuE8ELNS1_3repE0EEENS1_30default_config_static_selectorELNS0_4arch9wavefront6targetE0EEEvSK_
	.p2align	8
	.type	_ZN7rocprim17ROCPRIM_400000_NS6detail17trampoline_kernelINS0_14default_configENS1_36segmented_radix_sort_config_selectorIslEEZNS1_25segmented_radix_sort_implIS3_Lb0EPKsPsPKlPlN2at6native12_GLOBAL__N_18offset_tEEE10hipError_tPvRmT1_PNSt15iterator_traitsISK_E10value_typeET2_T3_PNSL_ISQ_E10value_typeET4_jRbjT5_SW_jjP12ihipStream_tbEUlT_E_NS1_11comp_targetILNS1_3genE4ELNS1_11target_archE910ELNS1_3gpuE8ELNS1_3repE0EEENS1_30default_config_static_selectorELNS0_4arch9wavefront6targetE0EEEvSK_,@function
_ZN7rocprim17ROCPRIM_400000_NS6detail17trampoline_kernelINS0_14default_configENS1_36segmented_radix_sort_config_selectorIslEEZNS1_25segmented_radix_sort_implIS3_Lb0EPKsPsPKlPlN2at6native12_GLOBAL__N_18offset_tEEE10hipError_tPvRmT1_PNSt15iterator_traitsISK_E10value_typeET2_T3_PNSL_ISQ_E10value_typeET4_jRbjT5_SW_jjP12ihipStream_tbEUlT_E_NS1_11comp_targetILNS1_3genE4ELNS1_11target_archE910ELNS1_3gpuE8ELNS1_3repE0EEENS1_30default_config_static_selectorELNS0_4arch9wavefront6targetE0EEEvSK_: ; @_ZN7rocprim17ROCPRIM_400000_NS6detail17trampoline_kernelINS0_14default_configENS1_36segmented_radix_sort_config_selectorIslEEZNS1_25segmented_radix_sort_implIS3_Lb0EPKsPsPKlPlN2at6native12_GLOBAL__N_18offset_tEEE10hipError_tPvRmT1_PNSt15iterator_traitsISK_E10value_typeET2_T3_PNSL_ISQ_E10value_typeET4_jRbjT5_SW_jjP12ihipStream_tbEUlT_E_NS1_11comp_targetILNS1_3genE4ELNS1_11target_archE910ELNS1_3gpuE8ELNS1_3repE0EEENS1_30default_config_static_selectorELNS0_4arch9wavefront6targetE0EEEvSK_
; %bb.0:
	.section	.rodata,"a",@progbits
	.p2align	6, 0x0
	.amdhsa_kernel _ZN7rocprim17ROCPRIM_400000_NS6detail17trampoline_kernelINS0_14default_configENS1_36segmented_radix_sort_config_selectorIslEEZNS1_25segmented_radix_sort_implIS3_Lb0EPKsPsPKlPlN2at6native12_GLOBAL__N_18offset_tEEE10hipError_tPvRmT1_PNSt15iterator_traitsISK_E10value_typeET2_T3_PNSL_ISQ_E10value_typeET4_jRbjT5_SW_jjP12ihipStream_tbEUlT_E_NS1_11comp_targetILNS1_3genE4ELNS1_11target_archE910ELNS1_3gpuE8ELNS1_3repE0EEENS1_30default_config_static_selectorELNS0_4arch9wavefront6targetE0EEEvSK_
		.amdhsa_group_segment_fixed_size 0
		.amdhsa_private_segment_fixed_size 0
		.amdhsa_kernarg_size 96
		.amdhsa_user_sgpr_count 2
		.amdhsa_user_sgpr_dispatch_ptr 0
		.amdhsa_user_sgpr_queue_ptr 0
		.amdhsa_user_sgpr_kernarg_segment_ptr 1
		.amdhsa_user_sgpr_dispatch_id 0
		.amdhsa_user_sgpr_private_segment_size 0
		.amdhsa_wavefront_size32 1
		.amdhsa_uses_dynamic_stack 0
		.amdhsa_enable_private_segment 0
		.amdhsa_system_sgpr_workgroup_id_x 1
		.amdhsa_system_sgpr_workgroup_id_y 0
		.amdhsa_system_sgpr_workgroup_id_z 0
		.amdhsa_system_sgpr_workgroup_info 0
		.amdhsa_system_vgpr_workitem_id 0
		.amdhsa_next_free_vgpr 1
		.amdhsa_next_free_sgpr 1
		.amdhsa_reserve_vcc 0
		.amdhsa_float_round_mode_32 0
		.amdhsa_float_round_mode_16_64 0
		.amdhsa_float_denorm_mode_32 3
		.amdhsa_float_denorm_mode_16_64 3
		.amdhsa_fp16_overflow 0
		.amdhsa_workgroup_processor_mode 1
		.amdhsa_memory_ordered 1
		.amdhsa_forward_progress 1
		.amdhsa_inst_pref_size 0
		.amdhsa_round_robin_scheduling 0
		.amdhsa_exception_fp_ieee_invalid_op 0
		.amdhsa_exception_fp_denorm_src 0
		.amdhsa_exception_fp_ieee_div_zero 0
		.amdhsa_exception_fp_ieee_overflow 0
		.amdhsa_exception_fp_ieee_underflow 0
		.amdhsa_exception_fp_ieee_inexact 0
		.amdhsa_exception_int_div_zero 0
	.end_amdhsa_kernel
	.section	.text._ZN7rocprim17ROCPRIM_400000_NS6detail17trampoline_kernelINS0_14default_configENS1_36segmented_radix_sort_config_selectorIslEEZNS1_25segmented_radix_sort_implIS3_Lb0EPKsPsPKlPlN2at6native12_GLOBAL__N_18offset_tEEE10hipError_tPvRmT1_PNSt15iterator_traitsISK_E10value_typeET2_T3_PNSL_ISQ_E10value_typeET4_jRbjT5_SW_jjP12ihipStream_tbEUlT_E_NS1_11comp_targetILNS1_3genE4ELNS1_11target_archE910ELNS1_3gpuE8ELNS1_3repE0EEENS1_30default_config_static_selectorELNS0_4arch9wavefront6targetE0EEEvSK_,"axG",@progbits,_ZN7rocprim17ROCPRIM_400000_NS6detail17trampoline_kernelINS0_14default_configENS1_36segmented_radix_sort_config_selectorIslEEZNS1_25segmented_radix_sort_implIS3_Lb0EPKsPsPKlPlN2at6native12_GLOBAL__N_18offset_tEEE10hipError_tPvRmT1_PNSt15iterator_traitsISK_E10value_typeET2_T3_PNSL_ISQ_E10value_typeET4_jRbjT5_SW_jjP12ihipStream_tbEUlT_E_NS1_11comp_targetILNS1_3genE4ELNS1_11target_archE910ELNS1_3gpuE8ELNS1_3repE0EEENS1_30default_config_static_selectorELNS0_4arch9wavefront6targetE0EEEvSK_,comdat
.Lfunc_end1016:
	.size	_ZN7rocprim17ROCPRIM_400000_NS6detail17trampoline_kernelINS0_14default_configENS1_36segmented_radix_sort_config_selectorIslEEZNS1_25segmented_radix_sort_implIS3_Lb0EPKsPsPKlPlN2at6native12_GLOBAL__N_18offset_tEEE10hipError_tPvRmT1_PNSt15iterator_traitsISK_E10value_typeET2_T3_PNSL_ISQ_E10value_typeET4_jRbjT5_SW_jjP12ihipStream_tbEUlT_E_NS1_11comp_targetILNS1_3genE4ELNS1_11target_archE910ELNS1_3gpuE8ELNS1_3repE0EEENS1_30default_config_static_selectorELNS0_4arch9wavefront6targetE0EEEvSK_, .Lfunc_end1016-_ZN7rocprim17ROCPRIM_400000_NS6detail17trampoline_kernelINS0_14default_configENS1_36segmented_radix_sort_config_selectorIslEEZNS1_25segmented_radix_sort_implIS3_Lb0EPKsPsPKlPlN2at6native12_GLOBAL__N_18offset_tEEE10hipError_tPvRmT1_PNSt15iterator_traitsISK_E10value_typeET2_T3_PNSL_ISQ_E10value_typeET4_jRbjT5_SW_jjP12ihipStream_tbEUlT_E_NS1_11comp_targetILNS1_3genE4ELNS1_11target_archE910ELNS1_3gpuE8ELNS1_3repE0EEENS1_30default_config_static_selectorELNS0_4arch9wavefront6targetE0EEEvSK_
                                        ; -- End function
	.set _ZN7rocprim17ROCPRIM_400000_NS6detail17trampoline_kernelINS0_14default_configENS1_36segmented_radix_sort_config_selectorIslEEZNS1_25segmented_radix_sort_implIS3_Lb0EPKsPsPKlPlN2at6native12_GLOBAL__N_18offset_tEEE10hipError_tPvRmT1_PNSt15iterator_traitsISK_E10value_typeET2_T3_PNSL_ISQ_E10value_typeET4_jRbjT5_SW_jjP12ihipStream_tbEUlT_E_NS1_11comp_targetILNS1_3genE4ELNS1_11target_archE910ELNS1_3gpuE8ELNS1_3repE0EEENS1_30default_config_static_selectorELNS0_4arch9wavefront6targetE0EEEvSK_.num_vgpr, 0
	.set _ZN7rocprim17ROCPRIM_400000_NS6detail17trampoline_kernelINS0_14default_configENS1_36segmented_radix_sort_config_selectorIslEEZNS1_25segmented_radix_sort_implIS3_Lb0EPKsPsPKlPlN2at6native12_GLOBAL__N_18offset_tEEE10hipError_tPvRmT1_PNSt15iterator_traitsISK_E10value_typeET2_T3_PNSL_ISQ_E10value_typeET4_jRbjT5_SW_jjP12ihipStream_tbEUlT_E_NS1_11comp_targetILNS1_3genE4ELNS1_11target_archE910ELNS1_3gpuE8ELNS1_3repE0EEENS1_30default_config_static_selectorELNS0_4arch9wavefront6targetE0EEEvSK_.num_agpr, 0
	.set _ZN7rocprim17ROCPRIM_400000_NS6detail17trampoline_kernelINS0_14default_configENS1_36segmented_radix_sort_config_selectorIslEEZNS1_25segmented_radix_sort_implIS3_Lb0EPKsPsPKlPlN2at6native12_GLOBAL__N_18offset_tEEE10hipError_tPvRmT1_PNSt15iterator_traitsISK_E10value_typeET2_T3_PNSL_ISQ_E10value_typeET4_jRbjT5_SW_jjP12ihipStream_tbEUlT_E_NS1_11comp_targetILNS1_3genE4ELNS1_11target_archE910ELNS1_3gpuE8ELNS1_3repE0EEENS1_30default_config_static_selectorELNS0_4arch9wavefront6targetE0EEEvSK_.numbered_sgpr, 0
	.set _ZN7rocprim17ROCPRIM_400000_NS6detail17trampoline_kernelINS0_14default_configENS1_36segmented_radix_sort_config_selectorIslEEZNS1_25segmented_radix_sort_implIS3_Lb0EPKsPsPKlPlN2at6native12_GLOBAL__N_18offset_tEEE10hipError_tPvRmT1_PNSt15iterator_traitsISK_E10value_typeET2_T3_PNSL_ISQ_E10value_typeET4_jRbjT5_SW_jjP12ihipStream_tbEUlT_E_NS1_11comp_targetILNS1_3genE4ELNS1_11target_archE910ELNS1_3gpuE8ELNS1_3repE0EEENS1_30default_config_static_selectorELNS0_4arch9wavefront6targetE0EEEvSK_.num_named_barrier, 0
	.set _ZN7rocprim17ROCPRIM_400000_NS6detail17trampoline_kernelINS0_14default_configENS1_36segmented_radix_sort_config_selectorIslEEZNS1_25segmented_radix_sort_implIS3_Lb0EPKsPsPKlPlN2at6native12_GLOBAL__N_18offset_tEEE10hipError_tPvRmT1_PNSt15iterator_traitsISK_E10value_typeET2_T3_PNSL_ISQ_E10value_typeET4_jRbjT5_SW_jjP12ihipStream_tbEUlT_E_NS1_11comp_targetILNS1_3genE4ELNS1_11target_archE910ELNS1_3gpuE8ELNS1_3repE0EEENS1_30default_config_static_selectorELNS0_4arch9wavefront6targetE0EEEvSK_.private_seg_size, 0
	.set _ZN7rocprim17ROCPRIM_400000_NS6detail17trampoline_kernelINS0_14default_configENS1_36segmented_radix_sort_config_selectorIslEEZNS1_25segmented_radix_sort_implIS3_Lb0EPKsPsPKlPlN2at6native12_GLOBAL__N_18offset_tEEE10hipError_tPvRmT1_PNSt15iterator_traitsISK_E10value_typeET2_T3_PNSL_ISQ_E10value_typeET4_jRbjT5_SW_jjP12ihipStream_tbEUlT_E_NS1_11comp_targetILNS1_3genE4ELNS1_11target_archE910ELNS1_3gpuE8ELNS1_3repE0EEENS1_30default_config_static_selectorELNS0_4arch9wavefront6targetE0EEEvSK_.uses_vcc, 0
	.set _ZN7rocprim17ROCPRIM_400000_NS6detail17trampoline_kernelINS0_14default_configENS1_36segmented_radix_sort_config_selectorIslEEZNS1_25segmented_radix_sort_implIS3_Lb0EPKsPsPKlPlN2at6native12_GLOBAL__N_18offset_tEEE10hipError_tPvRmT1_PNSt15iterator_traitsISK_E10value_typeET2_T3_PNSL_ISQ_E10value_typeET4_jRbjT5_SW_jjP12ihipStream_tbEUlT_E_NS1_11comp_targetILNS1_3genE4ELNS1_11target_archE910ELNS1_3gpuE8ELNS1_3repE0EEENS1_30default_config_static_selectorELNS0_4arch9wavefront6targetE0EEEvSK_.uses_flat_scratch, 0
	.set _ZN7rocprim17ROCPRIM_400000_NS6detail17trampoline_kernelINS0_14default_configENS1_36segmented_radix_sort_config_selectorIslEEZNS1_25segmented_radix_sort_implIS3_Lb0EPKsPsPKlPlN2at6native12_GLOBAL__N_18offset_tEEE10hipError_tPvRmT1_PNSt15iterator_traitsISK_E10value_typeET2_T3_PNSL_ISQ_E10value_typeET4_jRbjT5_SW_jjP12ihipStream_tbEUlT_E_NS1_11comp_targetILNS1_3genE4ELNS1_11target_archE910ELNS1_3gpuE8ELNS1_3repE0EEENS1_30default_config_static_selectorELNS0_4arch9wavefront6targetE0EEEvSK_.has_dyn_sized_stack, 0
	.set _ZN7rocprim17ROCPRIM_400000_NS6detail17trampoline_kernelINS0_14default_configENS1_36segmented_radix_sort_config_selectorIslEEZNS1_25segmented_radix_sort_implIS3_Lb0EPKsPsPKlPlN2at6native12_GLOBAL__N_18offset_tEEE10hipError_tPvRmT1_PNSt15iterator_traitsISK_E10value_typeET2_T3_PNSL_ISQ_E10value_typeET4_jRbjT5_SW_jjP12ihipStream_tbEUlT_E_NS1_11comp_targetILNS1_3genE4ELNS1_11target_archE910ELNS1_3gpuE8ELNS1_3repE0EEENS1_30default_config_static_selectorELNS0_4arch9wavefront6targetE0EEEvSK_.has_recursion, 0
	.set _ZN7rocprim17ROCPRIM_400000_NS6detail17trampoline_kernelINS0_14default_configENS1_36segmented_radix_sort_config_selectorIslEEZNS1_25segmented_radix_sort_implIS3_Lb0EPKsPsPKlPlN2at6native12_GLOBAL__N_18offset_tEEE10hipError_tPvRmT1_PNSt15iterator_traitsISK_E10value_typeET2_T3_PNSL_ISQ_E10value_typeET4_jRbjT5_SW_jjP12ihipStream_tbEUlT_E_NS1_11comp_targetILNS1_3genE4ELNS1_11target_archE910ELNS1_3gpuE8ELNS1_3repE0EEENS1_30default_config_static_selectorELNS0_4arch9wavefront6targetE0EEEvSK_.has_indirect_call, 0
	.section	.AMDGPU.csdata,"",@progbits
; Kernel info:
; codeLenInByte = 0
; TotalNumSgprs: 0
; NumVgprs: 0
; ScratchSize: 0
; MemoryBound: 0
; FloatMode: 240
; IeeeMode: 1
; LDSByteSize: 0 bytes/workgroup (compile time only)
; SGPRBlocks: 0
; VGPRBlocks: 0
; NumSGPRsForWavesPerEU: 1
; NumVGPRsForWavesPerEU: 1
; Occupancy: 16
; WaveLimiterHint : 0
; COMPUTE_PGM_RSRC2:SCRATCH_EN: 0
; COMPUTE_PGM_RSRC2:USER_SGPR: 2
; COMPUTE_PGM_RSRC2:TRAP_HANDLER: 0
; COMPUTE_PGM_RSRC2:TGID_X_EN: 1
; COMPUTE_PGM_RSRC2:TGID_Y_EN: 0
; COMPUTE_PGM_RSRC2:TGID_Z_EN: 0
; COMPUTE_PGM_RSRC2:TIDIG_COMP_CNT: 0
	.section	.text._ZN7rocprim17ROCPRIM_400000_NS6detail17trampoline_kernelINS0_14default_configENS1_36segmented_radix_sort_config_selectorIslEEZNS1_25segmented_radix_sort_implIS3_Lb0EPKsPsPKlPlN2at6native12_GLOBAL__N_18offset_tEEE10hipError_tPvRmT1_PNSt15iterator_traitsISK_E10value_typeET2_T3_PNSL_ISQ_E10value_typeET4_jRbjT5_SW_jjP12ihipStream_tbEUlT_E_NS1_11comp_targetILNS1_3genE3ELNS1_11target_archE908ELNS1_3gpuE7ELNS1_3repE0EEENS1_30default_config_static_selectorELNS0_4arch9wavefront6targetE0EEEvSK_,"axG",@progbits,_ZN7rocprim17ROCPRIM_400000_NS6detail17trampoline_kernelINS0_14default_configENS1_36segmented_radix_sort_config_selectorIslEEZNS1_25segmented_radix_sort_implIS3_Lb0EPKsPsPKlPlN2at6native12_GLOBAL__N_18offset_tEEE10hipError_tPvRmT1_PNSt15iterator_traitsISK_E10value_typeET2_T3_PNSL_ISQ_E10value_typeET4_jRbjT5_SW_jjP12ihipStream_tbEUlT_E_NS1_11comp_targetILNS1_3genE3ELNS1_11target_archE908ELNS1_3gpuE7ELNS1_3repE0EEENS1_30default_config_static_selectorELNS0_4arch9wavefront6targetE0EEEvSK_,comdat
	.globl	_ZN7rocprim17ROCPRIM_400000_NS6detail17trampoline_kernelINS0_14default_configENS1_36segmented_radix_sort_config_selectorIslEEZNS1_25segmented_radix_sort_implIS3_Lb0EPKsPsPKlPlN2at6native12_GLOBAL__N_18offset_tEEE10hipError_tPvRmT1_PNSt15iterator_traitsISK_E10value_typeET2_T3_PNSL_ISQ_E10value_typeET4_jRbjT5_SW_jjP12ihipStream_tbEUlT_E_NS1_11comp_targetILNS1_3genE3ELNS1_11target_archE908ELNS1_3gpuE7ELNS1_3repE0EEENS1_30default_config_static_selectorELNS0_4arch9wavefront6targetE0EEEvSK_ ; -- Begin function _ZN7rocprim17ROCPRIM_400000_NS6detail17trampoline_kernelINS0_14default_configENS1_36segmented_radix_sort_config_selectorIslEEZNS1_25segmented_radix_sort_implIS3_Lb0EPKsPsPKlPlN2at6native12_GLOBAL__N_18offset_tEEE10hipError_tPvRmT1_PNSt15iterator_traitsISK_E10value_typeET2_T3_PNSL_ISQ_E10value_typeET4_jRbjT5_SW_jjP12ihipStream_tbEUlT_E_NS1_11comp_targetILNS1_3genE3ELNS1_11target_archE908ELNS1_3gpuE7ELNS1_3repE0EEENS1_30default_config_static_selectorELNS0_4arch9wavefront6targetE0EEEvSK_
	.p2align	8
	.type	_ZN7rocprim17ROCPRIM_400000_NS6detail17trampoline_kernelINS0_14default_configENS1_36segmented_radix_sort_config_selectorIslEEZNS1_25segmented_radix_sort_implIS3_Lb0EPKsPsPKlPlN2at6native12_GLOBAL__N_18offset_tEEE10hipError_tPvRmT1_PNSt15iterator_traitsISK_E10value_typeET2_T3_PNSL_ISQ_E10value_typeET4_jRbjT5_SW_jjP12ihipStream_tbEUlT_E_NS1_11comp_targetILNS1_3genE3ELNS1_11target_archE908ELNS1_3gpuE7ELNS1_3repE0EEENS1_30default_config_static_selectorELNS0_4arch9wavefront6targetE0EEEvSK_,@function
_ZN7rocprim17ROCPRIM_400000_NS6detail17trampoline_kernelINS0_14default_configENS1_36segmented_radix_sort_config_selectorIslEEZNS1_25segmented_radix_sort_implIS3_Lb0EPKsPsPKlPlN2at6native12_GLOBAL__N_18offset_tEEE10hipError_tPvRmT1_PNSt15iterator_traitsISK_E10value_typeET2_T3_PNSL_ISQ_E10value_typeET4_jRbjT5_SW_jjP12ihipStream_tbEUlT_E_NS1_11comp_targetILNS1_3genE3ELNS1_11target_archE908ELNS1_3gpuE7ELNS1_3repE0EEENS1_30default_config_static_selectorELNS0_4arch9wavefront6targetE0EEEvSK_: ; @_ZN7rocprim17ROCPRIM_400000_NS6detail17trampoline_kernelINS0_14default_configENS1_36segmented_radix_sort_config_selectorIslEEZNS1_25segmented_radix_sort_implIS3_Lb0EPKsPsPKlPlN2at6native12_GLOBAL__N_18offset_tEEE10hipError_tPvRmT1_PNSt15iterator_traitsISK_E10value_typeET2_T3_PNSL_ISQ_E10value_typeET4_jRbjT5_SW_jjP12ihipStream_tbEUlT_E_NS1_11comp_targetILNS1_3genE3ELNS1_11target_archE908ELNS1_3gpuE7ELNS1_3repE0EEENS1_30default_config_static_selectorELNS0_4arch9wavefront6targetE0EEEvSK_
; %bb.0:
	.section	.rodata,"a",@progbits
	.p2align	6, 0x0
	.amdhsa_kernel _ZN7rocprim17ROCPRIM_400000_NS6detail17trampoline_kernelINS0_14default_configENS1_36segmented_radix_sort_config_selectorIslEEZNS1_25segmented_radix_sort_implIS3_Lb0EPKsPsPKlPlN2at6native12_GLOBAL__N_18offset_tEEE10hipError_tPvRmT1_PNSt15iterator_traitsISK_E10value_typeET2_T3_PNSL_ISQ_E10value_typeET4_jRbjT5_SW_jjP12ihipStream_tbEUlT_E_NS1_11comp_targetILNS1_3genE3ELNS1_11target_archE908ELNS1_3gpuE7ELNS1_3repE0EEENS1_30default_config_static_selectorELNS0_4arch9wavefront6targetE0EEEvSK_
		.amdhsa_group_segment_fixed_size 0
		.amdhsa_private_segment_fixed_size 0
		.amdhsa_kernarg_size 96
		.amdhsa_user_sgpr_count 2
		.amdhsa_user_sgpr_dispatch_ptr 0
		.amdhsa_user_sgpr_queue_ptr 0
		.amdhsa_user_sgpr_kernarg_segment_ptr 1
		.amdhsa_user_sgpr_dispatch_id 0
		.amdhsa_user_sgpr_private_segment_size 0
		.amdhsa_wavefront_size32 1
		.amdhsa_uses_dynamic_stack 0
		.amdhsa_enable_private_segment 0
		.amdhsa_system_sgpr_workgroup_id_x 1
		.amdhsa_system_sgpr_workgroup_id_y 0
		.amdhsa_system_sgpr_workgroup_id_z 0
		.amdhsa_system_sgpr_workgroup_info 0
		.amdhsa_system_vgpr_workitem_id 0
		.amdhsa_next_free_vgpr 1
		.amdhsa_next_free_sgpr 1
		.amdhsa_reserve_vcc 0
		.amdhsa_float_round_mode_32 0
		.amdhsa_float_round_mode_16_64 0
		.amdhsa_float_denorm_mode_32 3
		.amdhsa_float_denorm_mode_16_64 3
		.amdhsa_fp16_overflow 0
		.amdhsa_workgroup_processor_mode 1
		.amdhsa_memory_ordered 1
		.amdhsa_forward_progress 1
		.amdhsa_inst_pref_size 0
		.amdhsa_round_robin_scheduling 0
		.amdhsa_exception_fp_ieee_invalid_op 0
		.amdhsa_exception_fp_denorm_src 0
		.amdhsa_exception_fp_ieee_div_zero 0
		.amdhsa_exception_fp_ieee_overflow 0
		.amdhsa_exception_fp_ieee_underflow 0
		.amdhsa_exception_fp_ieee_inexact 0
		.amdhsa_exception_int_div_zero 0
	.end_amdhsa_kernel
	.section	.text._ZN7rocprim17ROCPRIM_400000_NS6detail17trampoline_kernelINS0_14default_configENS1_36segmented_radix_sort_config_selectorIslEEZNS1_25segmented_radix_sort_implIS3_Lb0EPKsPsPKlPlN2at6native12_GLOBAL__N_18offset_tEEE10hipError_tPvRmT1_PNSt15iterator_traitsISK_E10value_typeET2_T3_PNSL_ISQ_E10value_typeET4_jRbjT5_SW_jjP12ihipStream_tbEUlT_E_NS1_11comp_targetILNS1_3genE3ELNS1_11target_archE908ELNS1_3gpuE7ELNS1_3repE0EEENS1_30default_config_static_selectorELNS0_4arch9wavefront6targetE0EEEvSK_,"axG",@progbits,_ZN7rocprim17ROCPRIM_400000_NS6detail17trampoline_kernelINS0_14default_configENS1_36segmented_radix_sort_config_selectorIslEEZNS1_25segmented_radix_sort_implIS3_Lb0EPKsPsPKlPlN2at6native12_GLOBAL__N_18offset_tEEE10hipError_tPvRmT1_PNSt15iterator_traitsISK_E10value_typeET2_T3_PNSL_ISQ_E10value_typeET4_jRbjT5_SW_jjP12ihipStream_tbEUlT_E_NS1_11comp_targetILNS1_3genE3ELNS1_11target_archE908ELNS1_3gpuE7ELNS1_3repE0EEENS1_30default_config_static_selectorELNS0_4arch9wavefront6targetE0EEEvSK_,comdat
.Lfunc_end1017:
	.size	_ZN7rocprim17ROCPRIM_400000_NS6detail17trampoline_kernelINS0_14default_configENS1_36segmented_radix_sort_config_selectorIslEEZNS1_25segmented_radix_sort_implIS3_Lb0EPKsPsPKlPlN2at6native12_GLOBAL__N_18offset_tEEE10hipError_tPvRmT1_PNSt15iterator_traitsISK_E10value_typeET2_T3_PNSL_ISQ_E10value_typeET4_jRbjT5_SW_jjP12ihipStream_tbEUlT_E_NS1_11comp_targetILNS1_3genE3ELNS1_11target_archE908ELNS1_3gpuE7ELNS1_3repE0EEENS1_30default_config_static_selectorELNS0_4arch9wavefront6targetE0EEEvSK_, .Lfunc_end1017-_ZN7rocprim17ROCPRIM_400000_NS6detail17trampoline_kernelINS0_14default_configENS1_36segmented_radix_sort_config_selectorIslEEZNS1_25segmented_radix_sort_implIS3_Lb0EPKsPsPKlPlN2at6native12_GLOBAL__N_18offset_tEEE10hipError_tPvRmT1_PNSt15iterator_traitsISK_E10value_typeET2_T3_PNSL_ISQ_E10value_typeET4_jRbjT5_SW_jjP12ihipStream_tbEUlT_E_NS1_11comp_targetILNS1_3genE3ELNS1_11target_archE908ELNS1_3gpuE7ELNS1_3repE0EEENS1_30default_config_static_selectorELNS0_4arch9wavefront6targetE0EEEvSK_
                                        ; -- End function
	.set _ZN7rocprim17ROCPRIM_400000_NS6detail17trampoline_kernelINS0_14default_configENS1_36segmented_radix_sort_config_selectorIslEEZNS1_25segmented_radix_sort_implIS3_Lb0EPKsPsPKlPlN2at6native12_GLOBAL__N_18offset_tEEE10hipError_tPvRmT1_PNSt15iterator_traitsISK_E10value_typeET2_T3_PNSL_ISQ_E10value_typeET4_jRbjT5_SW_jjP12ihipStream_tbEUlT_E_NS1_11comp_targetILNS1_3genE3ELNS1_11target_archE908ELNS1_3gpuE7ELNS1_3repE0EEENS1_30default_config_static_selectorELNS0_4arch9wavefront6targetE0EEEvSK_.num_vgpr, 0
	.set _ZN7rocprim17ROCPRIM_400000_NS6detail17trampoline_kernelINS0_14default_configENS1_36segmented_radix_sort_config_selectorIslEEZNS1_25segmented_radix_sort_implIS3_Lb0EPKsPsPKlPlN2at6native12_GLOBAL__N_18offset_tEEE10hipError_tPvRmT1_PNSt15iterator_traitsISK_E10value_typeET2_T3_PNSL_ISQ_E10value_typeET4_jRbjT5_SW_jjP12ihipStream_tbEUlT_E_NS1_11comp_targetILNS1_3genE3ELNS1_11target_archE908ELNS1_3gpuE7ELNS1_3repE0EEENS1_30default_config_static_selectorELNS0_4arch9wavefront6targetE0EEEvSK_.num_agpr, 0
	.set _ZN7rocprim17ROCPRIM_400000_NS6detail17trampoline_kernelINS0_14default_configENS1_36segmented_radix_sort_config_selectorIslEEZNS1_25segmented_radix_sort_implIS3_Lb0EPKsPsPKlPlN2at6native12_GLOBAL__N_18offset_tEEE10hipError_tPvRmT1_PNSt15iterator_traitsISK_E10value_typeET2_T3_PNSL_ISQ_E10value_typeET4_jRbjT5_SW_jjP12ihipStream_tbEUlT_E_NS1_11comp_targetILNS1_3genE3ELNS1_11target_archE908ELNS1_3gpuE7ELNS1_3repE0EEENS1_30default_config_static_selectorELNS0_4arch9wavefront6targetE0EEEvSK_.numbered_sgpr, 0
	.set _ZN7rocprim17ROCPRIM_400000_NS6detail17trampoline_kernelINS0_14default_configENS1_36segmented_radix_sort_config_selectorIslEEZNS1_25segmented_radix_sort_implIS3_Lb0EPKsPsPKlPlN2at6native12_GLOBAL__N_18offset_tEEE10hipError_tPvRmT1_PNSt15iterator_traitsISK_E10value_typeET2_T3_PNSL_ISQ_E10value_typeET4_jRbjT5_SW_jjP12ihipStream_tbEUlT_E_NS1_11comp_targetILNS1_3genE3ELNS1_11target_archE908ELNS1_3gpuE7ELNS1_3repE0EEENS1_30default_config_static_selectorELNS0_4arch9wavefront6targetE0EEEvSK_.num_named_barrier, 0
	.set _ZN7rocprim17ROCPRIM_400000_NS6detail17trampoline_kernelINS0_14default_configENS1_36segmented_radix_sort_config_selectorIslEEZNS1_25segmented_radix_sort_implIS3_Lb0EPKsPsPKlPlN2at6native12_GLOBAL__N_18offset_tEEE10hipError_tPvRmT1_PNSt15iterator_traitsISK_E10value_typeET2_T3_PNSL_ISQ_E10value_typeET4_jRbjT5_SW_jjP12ihipStream_tbEUlT_E_NS1_11comp_targetILNS1_3genE3ELNS1_11target_archE908ELNS1_3gpuE7ELNS1_3repE0EEENS1_30default_config_static_selectorELNS0_4arch9wavefront6targetE0EEEvSK_.private_seg_size, 0
	.set _ZN7rocprim17ROCPRIM_400000_NS6detail17trampoline_kernelINS0_14default_configENS1_36segmented_radix_sort_config_selectorIslEEZNS1_25segmented_radix_sort_implIS3_Lb0EPKsPsPKlPlN2at6native12_GLOBAL__N_18offset_tEEE10hipError_tPvRmT1_PNSt15iterator_traitsISK_E10value_typeET2_T3_PNSL_ISQ_E10value_typeET4_jRbjT5_SW_jjP12ihipStream_tbEUlT_E_NS1_11comp_targetILNS1_3genE3ELNS1_11target_archE908ELNS1_3gpuE7ELNS1_3repE0EEENS1_30default_config_static_selectorELNS0_4arch9wavefront6targetE0EEEvSK_.uses_vcc, 0
	.set _ZN7rocprim17ROCPRIM_400000_NS6detail17trampoline_kernelINS0_14default_configENS1_36segmented_radix_sort_config_selectorIslEEZNS1_25segmented_radix_sort_implIS3_Lb0EPKsPsPKlPlN2at6native12_GLOBAL__N_18offset_tEEE10hipError_tPvRmT1_PNSt15iterator_traitsISK_E10value_typeET2_T3_PNSL_ISQ_E10value_typeET4_jRbjT5_SW_jjP12ihipStream_tbEUlT_E_NS1_11comp_targetILNS1_3genE3ELNS1_11target_archE908ELNS1_3gpuE7ELNS1_3repE0EEENS1_30default_config_static_selectorELNS0_4arch9wavefront6targetE0EEEvSK_.uses_flat_scratch, 0
	.set _ZN7rocprim17ROCPRIM_400000_NS6detail17trampoline_kernelINS0_14default_configENS1_36segmented_radix_sort_config_selectorIslEEZNS1_25segmented_radix_sort_implIS3_Lb0EPKsPsPKlPlN2at6native12_GLOBAL__N_18offset_tEEE10hipError_tPvRmT1_PNSt15iterator_traitsISK_E10value_typeET2_T3_PNSL_ISQ_E10value_typeET4_jRbjT5_SW_jjP12ihipStream_tbEUlT_E_NS1_11comp_targetILNS1_3genE3ELNS1_11target_archE908ELNS1_3gpuE7ELNS1_3repE0EEENS1_30default_config_static_selectorELNS0_4arch9wavefront6targetE0EEEvSK_.has_dyn_sized_stack, 0
	.set _ZN7rocprim17ROCPRIM_400000_NS6detail17trampoline_kernelINS0_14default_configENS1_36segmented_radix_sort_config_selectorIslEEZNS1_25segmented_radix_sort_implIS3_Lb0EPKsPsPKlPlN2at6native12_GLOBAL__N_18offset_tEEE10hipError_tPvRmT1_PNSt15iterator_traitsISK_E10value_typeET2_T3_PNSL_ISQ_E10value_typeET4_jRbjT5_SW_jjP12ihipStream_tbEUlT_E_NS1_11comp_targetILNS1_3genE3ELNS1_11target_archE908ELNS1_3gpuE7ELNS1_3repE0EEENS1_30default_config_static_selectorELNS0_4arch9wavefront6targetE0EEEvSK_.has_recursion, 0
	.set _ZN7rocprim17ROCPRIM_400000_NS6detail17trampoline_kernelINS0_14default_configENS1_36segmented_radix_sort_config_selectorIslEEZNS1_25segmented_radix_sort_implIS3_Lb0EPKsPsPKlPlN2at6native12_GLOBAL__N_18offset_tEEE10hipError_tPvRmT1_PNSt15iterator_traitsISK_E10value_typeET2_T3_PNSL_ISQ_E10value_typeET4_jRbjT5_SW_jjP12ihipStream_tbEUlT_E_NS1_11comp_targetILNS1_3genE3ELNS1_11target_archE908ELNS1_3gpuE7ELNS1_3repE0EEENS1_30default_config_static_selectorELNS0_4arch9wavefront6targetE0EEEvSK_.has_indirect_call, 0
	.section	.AMDGPU.csdata,"",@progbits
; Kernel info:
; codeLenInByte = 0
; TotalNumSgprs: 0
; NumVgprs: 0
; ScratchSize: 0
; MemoryBound: 0
; FloatMode: 240
; IeeeMode: 1
; LDSByteSize: 0 bytes/workgroup (compile time only)
; SGPRBlocks: 0
; VGPRBlocks: 0
; NumSGPRsForWavesPerEU: 1
; NumVGPRsForWavesPerEU: 1
; Occupancy: 16
; WaveLimiterHint : 0
; COMPUTE_PGM_RSRC2:SCRATCH_EN: 0
; COMPUTE_PGM_RSRC2:USER_SGPR: 2
; COMPUTE_PGM_RSRC2:TRAP_HANDLER: 0
; COMPUTE_PGM_RSRC2:TGID_X_EN: 1
; COMPUTE_PGM_RSRC2:TGID_Y_EN: 0
; COMPUTE_PGM_RSRC2:TGID_Z_EN: 0
; COMPUTE_PGM_RSRC2:TIDIG_COMP_CNT: 0
	.section	.text._ZN7rocprim17ROCPRIM_400000_NS6detail17trampoline_kernelINS0_14default_configENS1_36segmented_radix_sort_config_selectorIslEEZNS1_25segmented_radix_sort_implIS3_Lb0EPKsPsPKlPlN2at6native12_GLOBAL__N_18offset_tEEE10hipError_tPvRmT1_PNSt15iterator_traitsISK_E10value_typeET2_T3_PNSL_ISQ_E10value_typeET4_jRbjT5_SW_jjP12ihipStream_tbEUlT_E_NS1_11comp_targetILNS1_3genE2ELNS1_11target_archE906ELNS1_3gpuE6ELNS1_3repE0EEENS1_30default_config_static_selectorELNS0_4arch9wavefront6targetE0EEEvSK_,"axG",@progbits,_ZN7rocprim17ROCPRIM_400000_NS6detail17trampoline_kernelINS0_14default_configENS1_36segmented_radix_sort_config_selectorIslEEZNS1_25segmented_radix_sort_implIS3_Lb0EPKsPsPKlPlN2at6native12_GLOBAL__N_18offset_tEEE10hipError_tPvRmT1_PNSt15iterator_traitsISK_E10value_typeET2_T3_PNSL_ISQ_E10value_typeET4_jRbjT5_SW_jjP12ihipStream_tbEUlT_E_NS1_11comp_targetILNS1_3genE2ELNS1_11target_archE906ELNS1_3gpuE6ELNS1_3repE0EEENS1_30default_config_static_selectorELNS0_4arch9wavefront6targetE0EEEvSK_,comdat
	.globl	_ZN7rocprim17ROCPRIM_400000_NS6detail17trampoline_kernelINS0_14default_configENS1_36segmented_radix_sort_config_selectorIslEEZNS1_25segmented_radix_sort_implIS3_Lb0EPKsPsPKlPlN2at6native12_GLOBAL__N_18offset_tEEE10hipError_tPvRmT1_PNSt15iterator_traitsISK_E10value_typeET2_T3_PNSL_ISQ_E10value_typeET4_jRbjT5_SW_jjP12ihipStream_tbEUlT_E_NS1_11comp_targetILNS1_3genE2ELNS1_11target_archE906ELNS1_3gpuE6ELNS1_3repE0EEENS1_30default_config_static_selectorELNS0_4arch9wavefront6targetE0EEEvSK_ ; -- Begin function _ZN7rocprim17ROCPRIM_400000_NS6detail17trampoline_kernelINS0_14default_configENS1_36segmented_radix_sort_config_selectorIslEEZNS1_25segmented_radix_sort_implIS3_Lb0EPKsPsPKlPlN2at6native12_GLOBAL__N_18offset_tEEE10hipError_tPvRmT1_PNSt15iterator_traitsISK_E10value_typeET2_T3_PNSL_ISQ_E10value_typeET4_jRbjT5_SW_jjP12ihipStream_tbEUlT_E_NS1_11comp_targetILNS1_3genE2ELNS1_11target_archE906ELNS1_3gpuE6ELNS1_3repE0EEENS1_30default_config_static_selectorELNS0_4arch9wavefront6targetE0EEEvSK_
	.p2align	8
	.type	_ZN7rocprim17ROCPRIM_400000_NS6detail17trampoline_kernelINS0_14default_configENS1_36segmented_radix_sort_config_selectorIslEEZNS1_25segmented_radix_sort_implIS3_Lb0EPKsPsPKlPlN2at6native12_GLOBAL__N_18offset_tEEE10hipError_tPvRmT1_PNSt15iterator_traitsISK_E10value_typeET2_T3_PNSL_ISQ_E10value_typeET4_jRbjT5_SW_jjP12ihipStream_tbEUlT_E_NS1_11comp_targetILNS1_3genE2ELNS1_11target_archE906ELNS1_3gpuE6ELNS1_3repE0EEENS1_30default_config_static_selectorELNS0_4arch9wavefront6targetE0EEEvSK_,@function
_ZN7rocprim17ROCPRIM_400000_NS6detail17trampoline_kernelINS0_14default_configENS1_36segmented_radix_sort_config_selectorIslEEZNS1_25segmented_radix_sort_implIS3_Lb0EPKsPsPKlPlN2at6native12_GLOBAL__N_18offset_tEEE10hipError_tPvRmT1_PNSt15iterator_traitsISK_E10value_typeET2_T3_PNSL_ISQ_E10value_typeET4_jRbjT5_SW_jjP12ihipStream_tbEUlT_E_NS1_11comp_targetILNS1_3genE2ELNS1_11target_archE906ELNS1_3gpuE6ELNS1_3repE0EEENS1_30default_config_static_selectorELNS0_4arch9wavefront6targetE0EEEvSK_: ; @_ZN7rocprim17ROCPRIM_400000_NS6detail17trampoline_kernelINS0_14default_configENS1_36segmented_radix_sort_config_selectorIslEEZNS1_25segmented_radix_sort_implIS3_Lb0EPKsPsPKlPlN2at6native12_GLOBAL__N_18offset_tEEE10hipError_tPvRmT1_PNSt15iterator_traitsISK_E10value_typeET2_T3_PNSL_ISQ_E10value_typeET4_jRbjT5_SW_jjP12ihipStream_tbEUlT_E_NS1_11comp_targetILNS1_3genE2ELNS1_11target_archE906ELNS1_3gpuE6ELNS1_3repE0EEENS1_30default_config_static_selectorELNS0_4arch9wavefront6targetE0EEEvSK_
; %bb.0:
	.section	.rodata,"a",@progbits
	.p2align	6, 0x0
	.amdhsa_kernel _ZN7rocprim17ROCPRIM_400000_NS6detail17trampoline_kernelINS0_14default_configENS1_36segmented_radix_sort_config_selectorIslEEZNS1_25segmented_radix_sort_implIS3_Lb0EPKsPsPKlPlN2at6native12_GLOBAL__N_18offset_tEEE10hipError_tPvRmT1_PNSt15iterator_traitsISK_E10value_typeET2_T3_PNSL_ISQ_E10value_typeET4_jRbjT5_SW_jjP12ihipStream_tbEUlT_E_NS1_11comp_targetILNS1_3genE2ELNS1_11target_archE906ELNS1_3gpuE6ELNS1_3repE0EEENS1_30default_config_static_selectorELNS0_4arch9wavefront6targetE0EEEvSK_
		.amdhsa_group_segment_fixed_size 0
		.amdhsa_private_segment_fixed_size 0
		.amdhsa_kernarg_size 96
		.amdhsa_user_sgpr_count 2
		.amdhsa_user_sgpr_dispatch_ptr 0
		.amdhsa_user_sgpr_queue_ptr 0
		.amdhsa_user_sgpr_kernarg_segment_ptr 1
		.amdhsa_user_sgpr_dispatch_id 0
		.amdhsa_user_sgpr_private_segment_size 0
		.amdhsa_wavefront_size32 1
		.amdhsa_uses_dynamic_stack 0
		.amdhsa_enable_private_segment 0
		.amdhsa_system_sgpr_workgroup_id_x 1
		.amdhsa_system_sgpr_workgroup_id_y 0
		.amdhsa_system_sgpr_workgroup_id_z 0
		.amdhsa_system_sgpr_workgroup_info 0
		.amdhsa_system_vgpr_workitem_id 0
		.amdhsa_next_free_vgpr 1
		.amdhsa_next_free_sgpr 1
		.amdhsa_reserve_vcc 0
		.amdhsa_float_round_mode_32 0
		.amdhsa_float_round_mode_16_64 0
		.amdhsa_float_denorm_mode_32 3
		.amdhsa_float_denorm_mode_16_64 3
		.amdhsa_fp16_overflow 0
		.amdhsa_workgroup_processor_mode 1
		.amdhsa_memory_ordered 1
		.amdhsa_forward_progress 1
		.amdhsa_inst_pref_size 0
		.amdhsa_round_robin_scheduling 0
		.amdhsa_exception_fp_ieee_invalid_op 0
		.amdhsa_exception_fp_denorm_src 0
		.amdhsa_exception_fp_ieee_div_zero 0
		.amdhsa_exception_fp_ieee_overflow 0
		.amdhsa_exception_fp_ieee_underflow 0
		.amdhsa_exception_fp_ieee_inexact 0
		.amdhsa_exception_int_div_zero 0
	.end_amdhsa_kernel
	.section	.text._ZN7rocprim17ROCPRIM_400000_NS6detail17trampoline_kernelINS0_14default_configENS1_36segmented_radix_sort_config_selectorIslEEZNS1_25segmented_radix_sort_implIS3_Lb0EPKsPsPKlPlN2at6native12_GLOBAL__N_18offset_tEEE10hipError_tPvRmT1_PNSt15iterator_traitsISK_E10value_typeET2_T3_PNSL_ISQ_E10value_typeET4_jRbjT5_SW_jjP12ihipStream_tbEUlT_E_NS1_11comp_targetILNS1_3genE2ELNS1_11target_archE906ELNS1_3gpuE6ELNS1_3repE0EEENS1_30default_config_static_selectorELNS0_4arch9wavefront6targetE0EEEvSK_,"axG",@progbits,_ZN7rocprim17ROCPRIM_400000_NS6detail17trampoline_kernelINS0_14default_configENS1_36segmented_radix_sort_config_selectorIslEEZNS1_25segmented_radix_sort_implIS3_Lb0EPKsPsPKlPlN2at6native12_GLOBAL__N_18offset_tEEE10hipError_tPvRmT1_PNSt15iterator_traitsISK_E10value_typeET2_T3_PNSL_ISQ_E10value_typeET4_jRbjT5_SW_jjP12ihipStream_tbEUlT_E_NS1_11comp_targetILNS1_3genE2ELNS1_11target_archE906ELNS1_3gpuE6ELNS1_3repE0EEENS1_30default_config_static_selectorELNS0_4arch9wavefront6targetE0EEEvSK_,comdat
.Lfunc_end1018:
	.size	_ZN7rocprim17ROCPRIM_400000_NS6detail17trampoline_kernelINS0_14default_configENS1_36segmented_radix_sort_config_selectorIslEEZNS1_25segmented_radix_sort_implIS3_Lb0EPKsPsPKlPlN2at6native12_GLOBAL__N_18offset_tEEE10hipError_tPvRmT1_PNSt15iterator_traitsISK_E10value_typeET2_T3_PNSL_ISQ_E10value_typeET4_jRbjT5_SW_jjP12ihipStream_tbEUlT_E_NS1_11comp_targetILNS1_3genE2ELNS1_11target_archE906ELNS1_3gpuE6ELNS1_3repE0EEENS1_30default_config_static_selectorELNS0_4arch9wavefront6targetE0EEEvSK_, .Lfunc_end1018-_ZN7rocprim17ROCPRIM_400000_NS6detail17trampoline_kernelINS0_14default_configENS1_36segmented_radix_sort_config_selectorIslEEZNS1_25segmented_radix_sort_implIS3_Lb0EPKsPsPKlPlN2at6native12_GLOBAL__N_18offset_tEEE10hipError_tPvRmT1_PNSt15iterator_traitsISK_E10value_typeET2_T3_PNSL_ISQ_E10value_typeET4_jRbjT5_SW_jjP12ihipStream_tbEUlT_E_NS1_11comp_targetILNS1_3genE2ELNS1_11target_archE906ELNS1_3gpuE6ELNS1_3repE0EEENS1_30default_config_static_selectorELNS0_4arch9wavefront6targetE0EEEvSK_
                                        ; -- End function
	.set _ZN7rocprim17ROCPRIM_400000_NS6detail17trampoline_kernelINS0_14default_configENS1_36segmented_radix_sort_config_selectorIslEEZNS1_25segmented_radix_sort_implIS3_Lb0EPKsPsPKlPlN2at6native12_GLOBAL__N_18offset_tEEE10hipError_tPvRmT1_PNSt15iterator_traitsISK_E10value_typeET2_T3_PNSL_ISQ_E10value_typeET4_jRbjT5_SW_jjP12ihipStream_tbEUlT_E_NS1_11comp_targetILNS1_3genE2ELNS1_11target_archE906ELNS1_3gpuE6ELNS1_3repE0EEENS1_30default_config_static_selectorELNS0_4arch9wavefront6targetE0EEEvSK_.num_vgpr, 0
	.set _ZN7rocprim17ROCPRIM_400000_NS6detail17trampoline_kernelINS0_14default_configENS1_36segmented_radix_sort_config_selectorIslEEZNS1_25segmented_radix_sort_implIS3_Lb0EPKsPsPKlPlN2at6native12_GLOBAL__N_18offset_tEEE10hipError_tPvRmT1_PNSt15iterator_traitsISK_E10value_typeET2_T3_PNSL_ISQ_E10value_typeET4_jRbjT5_SW_jjP12ihipStream_tbEUlT_E_NS1_11comp_targetILNS1_3genE2ELNS1_11target_archE906ELNS1_3gpuE6ELNS1_3repE0EEENS1_30default_config_static_selectorELNS0_4arch9wavefront6targetE0EEEvSK_.num_agpr, 0
	.set _ZN7rocprim17ROCPRIM_400000_NS6detail17trampoline_kernelINS0_14default_configENS1_36segmented_radix_sort_config_selectorIslEEZNS1_25segmented_radix_sort_implIS3_Lb0EPKsPsPKlPlN2at6native12_GLOBAL__N_18offset_tEEE10hipError_tPvRmT1_PNSt15iterator_traitsISK_E10value_typeET2_T3_PNSL_ISQ_E10value_typeET4_jRbjT5_SW_jjP12ihipStream_tbEUlT_E_NS1_11comp_targetILNS1_3genE2ELNS1_11target_archE906ELNS1_3gpuE6ELNS1_3repE0EEENS1_30default_config_static_selectorELNS0_4arch9wavefront6targetE0EEEvSK_.numbered_sgpr, 0
	.set _ZN7rocprim17ROCPRIM_400000_NS6detail17trampoline_kernelINS0_14default_configENS1_36segmented_radix_sort_config_selectorIslEEZNS1_25segmented_radix_sort_implIS3_Lb0EPKsPsPKlPlN2at6native12_GLOBAL__N_18offset_tEEE10hipError_tPvRmT1_PNSt15iterator_traitsISK_E10value_typeET2_T3_PNSL_ISQ_E10value_typeET4_jRbjT5_SW_jjP12ihipStream_tbEUlT_E_NS1_11comp_targetILNS1_3genE2ELNS1_11target_archE906ELNS1_3gpuE6ELNS1_3repE0EEENS1_30default_config_static_selectorELNS0_4arch9wavefront6targetE0EEEvSK_.num_named_barrier, 0
	.set _ZN7rocprim17ROCPRIM_400000_NS6detail17trampoline_kernelINS0_14default_configENS1_36segmented_radix_sort_config_selectorIslEEZNS1_25segmented_radix_sort_implIS3_Lb0EPKsPsPKlPlN2at6native12_GLOBAL__N_18offset_tEEE10hipError_tPvRmT1_PNSt15iterator_traitsISK_E10value_typeET2_T3_PNSL_ISQ_E10value_typeET4_jRbjT5_SW_jjP12ihipStream_tbEUlT_E_NS1_11comp_targetILNS1_3genE2ELNS1_11target_archE906ELNS1_3gpuE6ELNS1_3repE0EEENS1_30default_config_static_selectorELNS0_4arch9wavefront6targetE0EEEvSK_.private_seg_size, 0
	.set _ZN7rocprim17ROCPRIM_400000_NS6detail17trampoline_kernelINS0_14default_configENS1_36segmented_radix_sort_config_selectorIslEEZNS1_25segmented_radix_sort_implIS3_Lb0EPKsPsPKlPlN2at6native12_GLOBAL__N_18offset_tEEE10hipError_tPvRmT1_PNSt15iterator_traitsISK_E10value_typeET2_T3_PNSL_ISQ_E10value_typeET4_jRbjT5_SW_jjP12ihipStream_tbEUlT_E_NS1_11comp_targetILNS1_3genE2ELNS1_11target_archE906ELNS1_3gpuE6ELNS1_3repE0EEENS1_30default_config_static_selectorELNS0_4arch9wavefront6targetE0EEEvSK_.uses_vcc, 0
	.set _ZN7rocprim17ROCPRIM_400000_NS6detail17trampoline_kernelINS0_14default_configENS1_36segmented_radix_sort_config_selectorIslEEZNS1_25segmented_radix_sort_implIS3_Lb0EPKsPsPKlPlN2at6native12_GLOBAL__N_18offset_tEEE10hipError_tPvRmT1_PNSt15iterator_traitsISK_E10value_typeET2_T3_PNSL_ISQ_E10value_typeET4_jRbjT5_SW_jjP12ihipStream_tbEUlT_E_NS1_11comp_targetILNS1_3genE2ELNS1_11target_archE906ELNS1_3gpuE6ELNS1_3repE0EEENS1_30default_config_static_selectorELNS0_4arch9wavefront6targetE0EEEvSK_.uses_flat_scratch, 0
	.set _ZN7rocprim17ROCPRIM_400000_NS6detail17trampoline_kernelINS0_14default_configENS1_36segmented_radix_sort_config_selectorIslEEZNS1_25segmented_radix_sort_implIS3_Lb0EPKsPsPKlPlN2at6native12_GLOBAL__N_18offset_tEEE10hipError_tPvRmT1_PNSt15iterator_traitsISK_E10value_typeET2_T3_PNSL_ISQ_E10value_typeET4_jRbjT5_SW_jjP12ihipStream_tbEUlT_E_NS1_11comp_targetILNS1_3genE2ELNS1_11target_archE906ELNS1_3gpuE6ELNS1_3repE0EEENS1_30default_config_static_selectorELNS0_4arch9wavefront6targetE0EEEvSK_.has_dyn_sized_stack, 0
	.set _ZN7rocprim17ROCPRIM_400000_NS6detail17trampoline_kernelINS0_14default_configENS1_36segmented_radix_sort_config_selectorIslEEZNS1_25segmented_radix_sort_implIS3_Lb0EPKsPsPKlPlN2at6native12_GLOBAL__N_18offset_tEEE10hipError_tPvRmT1_PNSt15iterator_traitsISK_E10value_typeET2_T3_PNSL_ISQ_E10value_typeET4_jRbjT5_SW_jjP12ihipStream_tbEUlT_E_NS1_11comp_targetILNS1_3genE2ELNS1_11target_archE906ELNS1_3gpuE6ELNS1_3repE0EEENS1_30default_config_static_selectorELNS0_4arch9wavefront6targetE0EEEvSK_.has_recursion, 0
	.set _ZN7rocprim17ROCPRIM_400000_NS6detail17trampoline_kernelINS0_14default_configENS1_36segmented_radix_sort_config_selectorIslEEZNS1_25segmented_radix_sort_implIS3_Lb0EPKsPsPKlPlN2at6native12_GLOBAL__N_18offset_tEEE10hipError_tPvRmT1_PNSt15iterator_traitsISK_E10value_typeET2_T3_PNSL_ISQ_E10value_typeET4_jRbjT5_SW_jjP12ihipStream_tbEUlT_E_NS1_11comp_targetILNS1_3genE2ELNS1_11target_archE906ELNS1_3gpuE6ELNS1_3repE0EEENS1_30default_config_static_selectorELNS0_4arch9wavefront6targetE0EEEvSK_.has_indirect_call, 0
	.section	.AMDGPU.csdata,"",@progbits
; Kernel info:
; codeLenInByte = 0
; TotalNumSgprs: 0
; NumVgprs: 0
; ScratchSize: 0
; MemoryBound: 0
; FloatMode: 240
; IeeeMode: 1
; LDSByteSize: 0 bytes/workgroup (compile time only)
; SGPRBlocks: 0
; VGPRBlocks: 0
; NumSGPRsForWavesPerEU: 1
; NumVGPRsForWavesPerEU: 1
; Occupancy: 16
; WaveLimiterHint : 0
; COMPUTE_PGM_RSRC2:SCRATCH_EN: 0
; COMPUTE_PGM_RSRC2:USER_SGPR: 2
; COMPUTE_PGM_RSRC2:TRAP_HANDLER: 0
; COMPUTE_PGM_RSRC2:TGID_X_EN: 1
; COMPUTE_PGM_RSRC2:TGID_Y_EN: 0
; COMPUTE_PGM_RSRC2:TGID_Z_EN: 0
; COMPUTE_PGM_RSRC2:TIDIG_COMP_CNT: 0
	.text
	.p2align	2                               ; -- Begin function _ZN7rocprim17ROCPRIM_400000_NS6detail40segmented_radix_sort_single_block_helperIslLj256ELj8ELb0EE4sortIPKsPsPKlPlEEbT_T0_T1_T2_jjjjRNS3_12storage_typeE
	.type	_ZN7rocprim17ROCPRIM_400000_NS6detail40segmented_radix_sort_single_block_helperIslLj256ELj8ELb0EE4sortIPKsPsPKlPlEEbT_T0_T1_T2_jjjjRNS3_12storage_typeE,@function
_ZN7rocprim17ROCPRIM_400000_NS6detail40segmented_radix_sort_single_block_helperIslLj256ELj8ELb0EE4sortIPKsPsPKlPlEEbT_T0_T1_T2_jjjjRNS3_12storage_typeE: ; @_ZN7rocprim17ROCPRIM_400000_NS6detail40segmented_radix_sort_single_block_helperIslLj256ELj8ELb0EE4sortIPKsPsPKlPlEEbT_T0_T1_T2_jjjjRNS3_12storage_typeE
; %bb.0:
	s_wait_loadcnt_dscnt 0x0
	s_wait_expcnt 0x0
	s_wait_samplecnt 0x0
	s_wait_bvhcnt 0x0
	s_wait_kmcnt 0x0
	v_sub_nc_u32_e32 v128, v9, v8
	s_mov_b32 s16, exec_lo
	s_delay_alu instid0(VALU_DEP_1)
	v_cmpx_gt_u32_e32 0x801, v128
	s_cbranch_execz .LBB1019_199
; %bb.1:
	v_bfe_u32 v9, v31, 10, 10
	v_bfe_u32 v14, v31, 20, 10
	v_and_b32_e32 v18, 0x3ff, v31
	v_mbcnt_lo_u32_b32 v33, -1, 0
	s_mov_b32 s0, exec_lo
	v_cmpx_lt_u32_e32 0x400, v128
	s_wait_alu 0xfffe
	s_xor_b32 s17, exec_lo, s0
	s_cbranch_execz .LBB1019_79
; %bb.2:
	s_load_b64 s[0:1], s[8:9], 0x0
	s_and_b32 s2, ttmp7, 0xffff
	s_mov_b32 s3, 0
	s_wait_kmcnt 0x0
	s_wait_alu 0xfffe
	s_cmp_lt_u32 s2, s1
	s_cselect_b32 s2, 14, 20
	s_cmp_lt_u32 ttmp9, s0
	s_wait_alu 0xfffe
	s_add_nc_u64 s[4:5], s[8:9], s[2:3]
	s_cselect_b32 s2, 12, 18
	s_load_u16 s4, s[4:5], 0x0
	s_add_nc_u64 s[0:1], s[8:9], s[2:3]
	s_load_u16 s0, s[0:1], 0x0
	s_wait_kmcnt 0x0
	v_mad_u32_u24 v9, v14, s4, v9
	v_mov_b32_e32 v14, 0x7fff7fff
	s_delay_alu instid0(VALU_DEP_2) | instskip(SKIP_2) | instid1(VALU_DEP_4)
	v_mad_co_u64_u32 v[24:25], null, v9, s0, v[18:19]
	v_mov_b32_e32 v9, 0
	v_lshlrev_b32_e32 v17, 1, v33
	v_dual_mov_b32 v15, v14 :: v_dual_mov_b32 v16, v14
	s_delay_alu instid0(VALU_DEP_3) | instskip(SKIP_1) | instid1(VALU_DEP_2)
	v_lshlrev_b64_e32 v[26:27], 1, v[8:9]
	v_dual_mov_b32 v20, v9 :: v_dual_lshlrev_b32 v19, 3, v24
	v_add_co_u32 v22, vcc_lo, v0, v26
	s_delay_alu instid0(VALU_DEP_2) | instskip(SKIP_1) | instid1(VALU_DEP_4)
	v_and_b32_e32 v19, 0xffffff00, v19
	s_wait_alu 0xfffd
	v_add_co_ci_u32_e64 v23, null, v1, v27, vcc_lo
	s_delay_alu instid0(VALU_DEP_3) | instskip(NEXT) | instid1(VALU_DEP_3)
	v_add_co_u32 v17, vcc_lo, v22, v17
	v_lshlrev_b64_e32 v[0:1], 1, v[19:20]
	v_or_b32_e32 v21, v19, v33
	s_wait_alu 0xfffd
	v_add_co_ci_u32_e64 v22, null, 0, v23, vcc_lo
	s_delay_alu instid0(VALU_DEP_3) | instskip(NEXT) | instid1(VALU_DEP_3)
	v_add_co_u32 v0, s0, v17, v0
	v_cmp_lt_u32_e32 vcc_lo, v21, v128
	s_wait_alu 0xf1ff
	s_delay_alu instid0(VALU_DEP_3)
	v_add_co_ci_u32_e64 v1, null, v22, v1, s0
	v_mov_b32_e32 v17, v14
	s_and_saveexec_b32 s0, vcc_lo
	s_cbranch_execz .LBB1019_4
; %bb.3:
	v_dual_mov_b32 v28, 0x7fff0000 :: v_dual_mov_b32 v29, v14
	v_dual_mov_b32 v30, v14 :: v_dual_mov_b32 v31, v14
	flat_load_d16_b16 v28, v[0:1]
	s_wait_loadcnt_dscnt 0x0
	v_dual_mov_b32 v14, v28 :: v_dual_mov_b32 v15, v29
	v_dual_mov_b32 v16, v30 :: v_dual_mov_b32 v17, v31
.LBB1019_4:
	s_wait_alu 0xfffe
	s_or_b32 exec_lo, exec_lo, s0
	v_or_b32_e32 v22, 32, v21
	s_delay_alu instid0(VALU_DEP_1)
	v_cmp_lt_u32_e64 s0, v22, v128
	s_and_saveexec_b32 s1, s0
	s_cbranch_execz .LBB1019_6
; %bb.5:
	flat_load_d16_hi_b16 v14, v[0:1] offset:64
.LBB1019_6:
	s_wait_alu 0xfffe
	s_or_b32 exec_lo, exec_lo, s1
	v_or_b32_e32 v22, 64, v21
	s_delay_alu instid0(VALU_DEP_1)
	v_cmp_lt_u32_e64 s1, v22, v128
	s_and_saveexec_b32 s2, s1
	s_cbranch_execz .LBB1019_8
; %bb.7:
	flat_load_d16_b16 v15, v[0:1] offset:128
.LBB1019_8:
	s_wait_alu 0xfffe
	s_or_b32 exec_lo, exec_lo, s2
	v_or_b32_e32 v22, 0x60, v21
	s_delay_alu instid0(VALU_DEP_1)
	v_cmp_lt_u32_e64 s2, v22, v128
	s_and_saveexec_b32 s3, s2
	s_cbranch_execz .LBB1019_10
; %bb.9:
	s_wait_loadcnt_dscnt 0x0
	flat_load_d16_hi_b16 v15, v[0:1] offset:192
.LBB1019_10:
	s_wait_alu 0xfffe
	s_or_b32 exec_lo, exec_lo, s3
	v_or_b32_e32 v22, 0x80, v21
	s_delay_alu instid0(VALU_DEP_1)
	v_cmp_lt_u32_e64 s3, v22, v128
	s_and_saveexec_b32 s4, s3
	s_cbranch_execz .LBB1019_12
; %bb.11:
	flat_load_d16_b16 v16, v[0:1] offset:256
.LBB1019_12:
	s_wait_alu 0xfffe
	s_or_b32 exec_lo, exec_lo, s4
	v_or_b32_e32 v22, 0xa0, v21
	s_delay_alu instid0(VALU_DEP_1)
	v_cmp_lt_u32_e64 s4, v22, v128
	s_and_saveexec_b32 s5, s4
	s_cbranch_execz .LBB1019_14
; %bb.13:
	s_wait_loadcnt_dscnt 0x0
	flat_load_d16_hi_b16 v16, v[0:1] offset:320
.LBB1019_14:
	;; [unrolled: 21-line block ×3, first 2 shown]
	s_wait_alu 0xfffe
	s_or_b32 exec_lo, exec_lo, s7
	v_lshlrev_b64_e32 v[0:1], 3, v[8:9]
	v_lshlrev_b32_e32 v8, 3, v33
                                        ; implicit-def: $vgpr34_vgpr35
	s_delay_alu instid0(VALU_DEP_2) | instskip(SKIP_1) | instid1(VALU_DEP_3)
	v_add_co_u32 v9, s7, v4, v0
	s_wait_alu 0xf1ff
	v_add_co_ci_u32_e64 v21, null, v5, v1, s7
	v_lshlrev_b64_e32 v[4:5], 3, v[19:20]
	s_delay_alu instid0(VALU_DEP_3) | instskip(SKIP_1) | instid1(VALU_DEP_3)
	v_add_co_u32 v8, s7, v9, v8
	s_wait_alu 0xf1ff
	v_add_co_ci_u32_e64 v9, null, 0, v21, s7
	s_delay_alu instid0(VALU_DEP_2) | instskip(SKIP_1) | instid1(VALU_DEP_2)
	v_add_co_u32 v4, s7, v8, v4
	s_wait_alu 0xf1ff
	v_add_co_ci_u32_e64 v5, null, v9, v5, s7
	s_and_saveexec_b32 s7, vcc_lo
	s_cbranch_execnz .LBB1019_112
; %bb.19:
	s_wait_alu 0xfffe
	s_or_b32 exec_lo, exec_lo, s7
                                        ; implicit-def: $vgpr38_vgpr39
	s_and_saveexec_b32 s7, s0
	s_cbranch_execnz .LBB1019_113
.LBB1019_20:
	s_wait_alu 0xfffe
	s_or_b32 exec_lo, exec_lo, s7
                                        ; implicit-def: $vgpr48_vgpr49
	s_and_saveexec_b32 s0, s1
	s_cbranch_execnz .LBB1019_114
.LBB1019_21:
	s_wait_alu 0xfffe
	s_or_b32 exec_lo, exec_lo, s0
                                        ; implicit-def: $vgpr50_vgpr51
	s_and_saveexec_b32 s0, s2
	s_cbranch_execnz .LBB1019_115
.LBB1019_22:
	s_wait_alu 0xfffe
	s_or_b32 exec_lo, exec_lo, s0
                                        ; implicit-def: $vgpr52_vgpr53
	s_and_saveexec_b32 s0, s3
	s_cbranch_execnz .LBB1019_116
.LBB1019_23:
	s_wait_alu 0xfffe
	s_or_b32 exec_lo, exec_lo, s0
                                        ; implicit-def: $vgpr54_vgpr55
	s_and_saveexec_b32 s0, s4
	s_cbranch_execnz .LBB1019_117
.LBB1019_24:
	s_wait_alu 0xfffe
	s_or_b32 exec_lo, exec_lo, s0
                                        ; implicit-def: $vgpr64_vgpr65
	s_and_saveexec_b32 s0, s5
	s_cbranch_execnz .LBB1019_118
.LBB1019_25:
	s_wait_alu 0xfffe
	s_or_b32 exec_lo, exec_lo, s0
                                        ; implicit-def: $vgpr36_vgpr37
	s_and_saveexec_b32 s0, s6
	s_cbranch_execz .LBB1019_27
.LBB1019_26:
	flat_load_b64 v[36:37], v[4:5] offset:1792
.LBB1019_27:
	s_wait_alu 0xfffe
	s_or_b32 exec_lo, exec_lo, s0
	v_lshl_add_u32 v19, v18, 5, v12
	s_wait_loadcnt_dscnt 0x0
	v_lshrrev_b32_e32 v5, 16, v16
	v_sub_co_u32 v28, s2, v33, 1
	v_lshrrev_b32_e32 v4, 16, v17
	v_add_nc_u32_e32 v23, 32, v19
	v_add_nc_u32_e32 v25, 36, v19
	;; [unrolled: 1-line block ×8, first 2 shown]
	v_and_b32_e32 v19, 0x3e0, v18
	v_xor_b32_e32 v8, 0xffff8000, v17
	v_xor_b32_e32 v17, 0xffff8000, v5
	v_lshrrev_b32_e32 v5, 16, v14
	v_and_b32_e32 v21, 15, v33
	v_min_u32_e32 v19, 0xe0, v19
	v_and_b32_e32 v22, 16, v33
	v_cmp_gt_i32_e64 s5, 0, v28
	s_getpc_b64 s[0:1]
	s_wait_alu 0xfffe
	s_sext_i32_i16 s1, s1
	s_add_co_u32 s0, s0, _ZN7rocprim17ROCPRIM_400000_NS16block_radix_sortIsLj256ELj8ElLj1ELj1ELj8ELNS0_26block_radix_rank_algorithmE2ELNS0_18block_padding_hintE2ELNS0_4arch9wavefront6targetE0EE19radix_bits_per_passE@rel32@lo+12
	s_wait_alu 0xfffe
	s_add_co_ci_u32 s1, s1, _ZN7rocprim17ROCPRIM_400000_NS16block_radix_sortIsLj256ELj8ElLj1ELj1ELj8ELNS0_26block_radix_rank_algorithmE2ELNS0_18block_padding_hintE2ELNS0_4arch9wavefront6targetE0EE19radix_bits_per_passE@rel32@hi+24
	v_xor_b32_e32 v20, 0xffff8000, v5
	s_load_b32 s18, s[0:1], 0x0
	v_lshlrev_b32_e32 v5, 3, v18
	v_cmp_eq_u32_e32 vcc_lo, 0, v21
	v_cmp_lt_u32_e64 s0, 1, v21
	v_cmp_lt_u32_e64 s1, 3, v21
	;; [unrolled: 1-line block ×3, first 2 shown]
	v_or_b32_e32 v19, 31, v19
	v_cmp_eq_u32_e64 s4, 0, v22
	v_lshrrev_b32_e32 v21, 3, v18
	v_cndmask_b32_e64 v22, v28, v33, s5
	v_xor_b32_e32 v9, 0xffff8000, v16
	v_cmp_eq_u32_e64 s5, v18, v19
	v_lshrrev_b32_e32 v16, 16, v15
	v_and_b32_e32 v19, 0x7c, v21
	v_lshlrev_b32_e32 v144, 2, v22
	v_and_or_b32 v22, 0x1f00, v5, v33
	v_xor_b32_e32 v4, 0xffff8000, v4
	v_xor_b32_e32 v15, 0xffff8000, v15
	v_add_nc_u32_e32 v145, v12, v19
	v_xor_b32_e32 v16, 0xffff8000, v16
	v_lshl_add_u32 v147, v22, 1, v12
	v_mul_u32_u24_e32 v19, 6, v22
	v_xor_b32_e32 v14, 0xffff8000, v14
	v_and_b32_e32 v21, 7, v33
	v_lshrrev_b32_e32 v135, 5, v24
	v_cmp_gt_u32_e64 s6, 8, v18
	v_add_nc_u32_e32 v160, v147, v19
	v_cmp_lt_u32_e64 s7, 31, v18
	v_cmp_eq_u32_e64 s10, 0, v18
	v_mov_b32_e32 v5, 0
	v_lshl_add_u32 v146, v18, 2, v12
	v_cmp_eq_u32_e64 s11, 0, v21
	v_cmp_lt_u32_e64 s12, 1, v21
	v_cmp_lt_u32_e64 s13, 3, v21
	v_add_nc_u32_e32 v148, -4, v145
	v_add_nc_u32_e32 v149, 64, v147
	v_add_nc_u32_e32 v150, 0x80, v147
	;; [unrolled: 1-line block ×14, first 2 shown]
	v_perm_b32 v181, v20, v14, 0x5040100
	v_perm_b32 v67, v16, v15, 0x5040100
	;; [unrolled: 1-line block ×4, first 2 shown]
	v_sub_nc_u32_e32 v180, v11, v10
	s_mov_b32 s19, 0
	s_wait_storecnt 0x0
	s_barrier_signal -1
	s_barrier_wait -1
	global_inv scope:SCOPE_SE
	s_branch .LBB1019_29
.LBB1019_28:                            ;   in Loop: Header=BB1019_29 Depth=1
	s_wait_alu 0xfffe
	s_or_b32 exec_lo, exec_lo, s15
	s_delay_alu instid0(SALU_CYCLE_1)
	s_and_b32 s14, exec_lo, s20
	s_wait_alu 0xfffe
	s_or_b32 s19, s14, s19
	s_wait_alu 0xfffe
	s_and_not1_b32 exec_lo, exec_lo, s19
	s_cbranch_execz .LBB1019_53
.LBB1019_29:                            ; =>This Inner Loop Header: Depth=1
	s_wait_kmcnt 0x0
	v_min_u32_e32 v4, s18, v180
	v_dual_mov_b32 v183, v69 :: v_dual_and_b32 v8, 0xffff, v181
	v_dual_mov_b32 v192, v67 :: v_dual_mov_b32 v21, v38
	s_delay_alu instid0(VALU_DEP_3) | instskip(NEXT) | instid1(VALU_DEP_3)
	v_lshlrev_b32_e64 v4, v4, -1
	v_lshrrev_b32_e32 v8, v10, v8
	v_mov_b32_e32 v22, v39
	v_dual_mov_b32 v30, v34 :: v_dual_mov_b32 v19, v48
	s_delay_alu instid0(VALU_DEP_4) | instskip(SKIP_2) | instid1(VALU_DEP_3)
	v_not_b32_e32 v66, v4
	v_mov_b32_e32 v28, v50
	v_dual_mov_b32 v182, v71 :: v_dual_mov_b32 v31, v35
	v_dual_mov_b32 v29, v51 :: v_dual_and_b32 v4, v8, v66
	v_dual_mov_b32 v14, v54 :: v_dual_mov_b32 v15, v55
	v_mov_b32_e32 v16, v52
	s_delay_alu instid0(VALU_DEP_3)
	v_dual_mov_b32 v8, v64 :: v_dual_lshlrev_b32 v39, 27, v4
	v_and_b32_e32 v32, 1, v4
	v_lshlrev_b32_e32 v33, 30, v4
	v_lshlrev_b32_e32 v34, 29, v4
	v_dual_mov_b32 v20, v49 :: v_dual_lshlrev_b32 v35, 28, v4
	v_mov_b32_e32 v17, v53
	v_add_co_u32 v32, s14, v32, -1
	s_wait_alu 0xf1ff
	v_cndmask_b32_e64 v38, 0, 1, s14
	v_not_b32_e32 v50, v33
	v_cmp_gt_i32_e64 s15, 0, v33
	v_not_b32_e32 v33, v34
	v_lshlrev_b32_e32 v48, 26, v4
	v_cmp_ne_u32_e64 s14, 0, v38
	v_ashrrev_i32_e32 v50, 31, v50
	v_lshlrev_b32_e32 v49, 25, v4
	v_ashrrev_i32_e32 v33, 31, v33
	v_lshlrev_b32_e32 v38, 24, v4
	s_wait_alu 0xf1ff
	v_xor_b32_e32 v32, s14, v32
	v_cmp_gt_i32_e64 s14, 0, v34
	v_not_b32_e32 v34, v35
	v_xor_b32_e32 v50, s15, v50
	v_cmp_gt_i32_e64 s15, 0, v35
	v_and_b32_e32 v32, exec_lo, v32
	v_not_b32_e32 v35, v39
	v_ashrrev_i32_e32 v34, 31, v34
	s_wait_alu 0xf1ff
	v_xor_b32_e32 v33, s14, v33
	v_cmp_gt_i32_e64 s14, 0, v39
	v_and_b32_e32 v32, v32, v50
	v_not_b32_e32 v39, v48
	v_ashrrev_i32_e32 v35, 31, v35
	v_xor_b32_e32 v34, s15, v34
	v_cmp_gt_i32_e64 s15, 0, v48
	v_and_b32_e32 v32, v32, v33
	v_not_b32_e32 v33, v49
	v_ashrrev_i32_e32 v39, 31, v39
	s_wait_alu 0xf1ff
	v_xor_b32_e32 v35, s14, v35
	v_lshlrev_b32_e32 v4, 3, v4
	v_and_b32_e32 v32, v32, v34
	v_not_b32_e32 v34, v38
	v_ashrrev_i32_e32 v48, 31, v33
	v_xor_b32_e32 v39, s15, v39
	v_cmp_gt_i32_e64 s15, 0, v38
	v_and_b32_e32 v35, v32, v35
	v_mov_b32_e32 v32, v36
	v_cmp_gt_i32_e64 s14, 0, v49
	v_mov_b32_e32 v33, v37
	v_ashrrev_i32_e32 v34, 31, v34
	v_and_b32_e32 v35, v35, v39
	v_mov_b32_e32 v9, v65
	s_wait_alu 0xf1ff
	v_xor_b32_e32 v36, s14, v48
	ds_store_b32 v23, v5
	ds_store_b32 v25, v5
	;; [unrolled: 1-line block ×3, first 2 shown]
	v_xor_b32_e32 v34, s15, v34
	ds_store_b32 v130, v5
	ds_store_b32 v131, v5
	;; [unrolled: 1-line block ×3, first 2 shown]
	v_and_b32_e32 v35, v35, v36
	ds_store_b32 v133, v5
	ds_store_b32 v134, v5
	s_wait_loadcnt_dscnt 0x0
	s_barrier_signal -1
	s_barrier_wait -1
	v_and_b32_e32 v35, v35, v34
	v_add_lshl_u32 v34, v4, v135, 2
	global_inv scope:SCOPE_SE
	; wave barrier
	v_mbcnt_lo_u32_b32 v4, v35, 0
	v_add_co_u32 v34, null, v12, v34
	v_cmp_ne_u32_e64 s15, 0, v35
	s_delay_alu instid0(VALU_DEP_3) | instskip(NEXT) | instid1(VALU_DEP_3)
	v_cmp_eq_u32_e64 s14, 0, v4
	v_add_co_u32 v34, null, v34, 32
	s_and_b32 s15, s15, s14
	s_wait_alu 0xfffe
	s_and_saveexec_b32 s14, s15
; %bb.30:                               ;   in Loop: Header=BB1019_29 Depth=1
	v_bcnt_u32_b32 v35, v35, 0
	ds_store_b32 v34, v35
; %bb.31:                               ;   in Loop: Header=BB1019_29 Depth=1
	s_wait_alu 0xfffe
	s_or_b32 exec_lo, exec_lo, s14
	v_lshrrev_b32_e32 v193, 16, v181
	; wave barrier
	s_delay_alu instid0(VALU_DEP_1) | instskip(NEXT) | instid1(VALU_DEP_1)
	v_lshrrev_b32_e32 v35, v10, v193
	v_and_b32_e32 v35, v35, v66
	s_delay_alu instid0(VALU_DEP_1)
	v_and_b32_e32 v36, 1, v35
	v_lshlrev_b32_e32 v37, 30, v35
	v_lshlrev_b32_e32 v38, 29, v35
	;; [unrolled: 1-line block ×4, first 2 shown]
	v_add_co_u32 v36, s14, v36, -1
	s_wait_alu 0xf1ff
	v_cndmask_b32_e64 v48, 0, 1, s14
	v_not_b32_e32 v52, v37
	v_cmp_gt_i32_e64 s15, 0, v37
	v_not_b32_e32 v37, v38
	v_lshlrev_b32_e32 v50, 26, v35
	v_cmp_ne_u32_e64 s14, 0, v48
	v_ashrrev_i32_e32 v52, 31, v52
	v_lshlrev_b32_e32 v51, 25, v35
	v_ashrrev_i32_e32 v37, 31, v37
	v_lshlrev_b32_e32 v48, 24, v35
	s_wait_alu 0xf1ff
	v_xor_b32_e32 v36, s14, v36
	v_cmp_gt_i32_e64 s14, 0, v38
	v_not_b32_e32 v38, v39
	v_xor_b32_e32 v52, s15, v52
	v_cmp_gt_i32_e64 s15, 0, v39
	v_and_b32_e32 v36, exec_lo, v36
	v_not_b32_e32 v39, v49
	v_ashrrev_i32_e32 v38, 31, v38
	s_wait_alu 0xf1ff
	v_xor_b32_e32 v37, s14, v37
	v_cmp_gt_i32_e64 s14, 0, v49
	v_and_b32_e32 v36, v36, v52
	v_not_b32_e32 v49, v50
	v_ashrrev_i32_e32 v39, 31, v39
	v_xor_b32_e32 v38, s15, v38
	v_cmp_gt_i32_e64 s15, 0, v50
	v_and_b32_e32 v36, v36, v37
	v_not_b32_e32 v37, v51
	v_ashrrev_i32_e32 v49, 31, v49
	s_wait_alu 0xf1ff
	v_xor_b32_e32 v39, s14, v39
	v_cmp_gt_i32_e64 s14, 0, v51
	v_and_b32_e32 v36, v36, v38
	v_not_b32_e32 v38, v48
	v_ashrrev_i32_e32 v37, 31, v37
	v_xor_b32_e32 v49, s15, v49
	v_lshl_add_u32 v35, v35, 3, v135
	v_and_b32_e32 v36, v36, v39
	v_cmp_gt_i32_e64 s15, 0, v48
	v_ashrrev_i32_e32 v38, 31, v38
	s_wait_alu 0xf1ff
	v_xor_b32_e32 v37, s14, v37
	v_lshl_add_u32 v39, v35, 2, v12
	v_and_b32_e32 v36, v36, v49
	v_xor_b32_e32 v38, s15, v38
	ds_load_b32 v35, v39 offset:32
	v_and_b32_e32 v36, v36, v37
	v_add_nc_u32_e32 v37, 32, v39
	; wave barrier
	s_delay_alu instid0(VALU_DEP_2) | instskip(NEXT) | instid1(VALU_DEP_1)
	v_and_b32_e32 v38, v36, v38
	v_mbcnt_lo_u32_b32 v36, v38, 0
	v_cmp_ne_u32_e64 s15, 0, v38
	s_delay_alu instid0(VALU_DEP_2)
	v_cmp_eq_u32_e64 s14, 0, v36
	s_and_b32 s15, s15, s14
	s_wait_alu 0xfffe
	s_and_saveexec_b32 s14, s15
	s_cbranch_execz .LBB1019_33
; %bb.32:                               ;   in Loop: Header=BB1019_29 Depth=1
	s_wait_dscnt 0x0
	v_bcnt_u32_b32 v38, v38, v35
	ds_store_b32 v37, v38
.LBB1019_33:                            ;   in Loop: Header=BB1019_29 Depth=1
	s_wait_alu 0xfffe
	s_or_b32 exec_lo, exec_lo, s14
	v_and_b32_e32 v38, 0xffff, v192
	; wave barrier
	s_delay_alu instid0(VALU_DEP_1) | instskip(NEXT) | instid1(VALU_DEP_1)
	v_lshrrev_b32_e32 v38, v10, v38
	v_and_b32_e32 v38, v38, v66
	s_delay_alu instid0(VALU_DEP_1)
	v_and_b32_e32 v39, 1, v38
	v_lshlrev_b32_e32 v48, 30, v38
	v_lshlrev_b32_e32 v49, 29, v38
	;; [unrolled: 1-line block ×4, first 2 shown]
	v_add_co_u32 v39, s14, v39, -1
	s_wait_alu 0xf1ff
	v_cndmask_b32_e64 v51, 0, 1, s14
	v_not_b32_e32 v55, v48
	v_cmp_gt_i32_e64 s15, 0, v48
	v_not_b32_e32 v48, v49
	v_lshlrev_b32_e32 v53, 26, v38
	v_cmp_ne_u32_e64 s14, 0, v51
	v_ashrrev_i32_e32 v55, 31, v55
	v_lshlrev_b32_e32 v54, 25, v38
	v_ashrrev_i32_e32 v48, 31, v48
	v_lshlrev_b32_e32 v51, 24, v38
	s_wait_alu 0xf1ff
	v_xor_b32_e32 v39, s14, v39
	v_cmp_gt_i32_e64 s14, 0, v49
	v_not_b32_e32 v49, v50
	v_xor_b32_e32 v55, s15, v55
	v_cmp_gt_i32_e64 s15, 0, v50
	v_and_b32_e32 v39, exec_lo, v39
	v_not_b32_e32 v50, v52
	v_ashrrev_i32_e32 v49, 31, v49
	s_wait_alu 0xf1ff
	v_xor_b32_e32 v48, s14, v48
	v_cmp_gt_i32_e64 s14, 0, v52
	v_and_b32_e32 v39, v39, v55
	v_not_b32_e32 v52, v53
	v_ashrrev_i32_e32 v50, 31, v50
	v_xor_b32_e32 v49, s15, v49
	v_cmp_gt_i32_e64 s15, 0, v53
	v_and_b32_e32 v39, v39, v48
	v_not_b32_e32 v48, v54
	v_ashrrev_i32_e32 v52, 31, v52
	s_wait_alu 0xf1ff
	v_xor_b32_e32 v50, s14, v50
	v_cmp_gt_i32_e64 s14, 0, v54
	v_and_b32_e32 v39, v39, v49
	v_not_b32_e32 v49, v51
	v_ashrrev_i32_e32 v48, 31, v48
	v_xor_b32_e32 v52, s15, v52
	v_lshl_add_u32 v38, v38, 3, v135
	v_and_b32_e32 v39, v39, v50
	v_cmp_gt_i32_e64 s15, 0, v51
	v_ashrrev_i32_e32 v49, 31, v49
	s_wait_alu 0xf1ff
	v_xor_b32_e32 v48, s14, v48
	v_lshl_add_u32 v50, v38, 2, v12
	v_and_b32_e32 v39, v39, v52
	v_xor_b32_e32 v49, s15, v49
	ds_load_b32 v38, v50 offset:32
	v_and_b32_e32 v39, v39, v48
	v_add_nc_u32_e32 v48, 32, v50
	; wave barrier
	s_delay_alu instid0(VALU_DEP_2) | instskip(NEXT) | instid1(VALU_DEP_1)
	v_and_b32_e32 v49, v39, v49
	v_mbcnt_lo_u32_b32 v39, v49, 0
	v_cmp_ne_u32_e64 s15, 0, v49
	s_delay_alu instid0(VALU_DEP_2)
	v_cmp_eq_u32_e64 s14, 0, v39
	s_and_b32 s15, s15, s14
	s_wait_alu 0xfffe
	s_and_saveexec_b32 s14, s15
	s_cbranch_execz .LBB1019_35
; %bb.34:                               ;   in Loop: Header=BB1019_29 Depth=1
	s_wait_dscnt 0x0
	v_bcnt_u32_b32 v49, v49, v38
	ds_store_b32 v48, v49
.LBB1019_35:                            ;   in Loop: Header=BB1019_29 Depth=1
	s_wait_alu 0xfffe
	s_or_b32 exec_lo, exec_lo, s14
	v_lshrrev_b32_e32 v194, 16, v192
	; wave barrier
	s_delay_alu instid0(VALU_DEP_1) | instskip(NEXT) | instid1(VALU_DEP_1)
	v_lshrrev_b32_e32 v49, v10, v194
	v_and_b32_e32 v49, v49, v66
	s_delay_alu instid0(VALU_DEP_1)
	v_and_b32_e32 v50, 1, v49
	v_lshlrev_b32_e32 v51, 30, v49
	v_lshlrev_b32_e32 v52, 29, v49
	;; [unrolled: 1-line block ×4, first 2 shown]
	v_add_co_u32 v50, s14, v50, -1
	s_wait_alu 0xf1ff
	v_cndmask_b32_e64 v54, 0, 1, s14
	v_not_b32_e32 v67, v51
	v_cmp_gt_i32_e64 s15, 0, v51
	v_not_b32_e32 v51, v52
	v_lshlrev_b32_e32 v64, 26, v49
	v_cmp_ne_u32_e64 s14, 0, v54
	v_ashrrev_i32_e32 v67, 31, v67
	v_lshlrev_b32_e32 v65, 25, v49
	v_ashrrev_i32_e32 v51, 31, v51
	v_lshlrev_b32_e32 v54, 24, v49
	s_wait_alu 0xf1ff
	v_xor_b32_e32 v50, s14, v50
	v_cmp_gt_i32_e64 s14, 0, v52
	v_not_b32_e32 v52, v53
	v_xor_b32_e32 v67, s15, v67
	v_cmp_gt_i32_e64 s15, 0, v53
	v_and_b32_e32 v50, exec_lo, v50
	v_not_b32_e32 v53, v55
	v_ashrrev_i32_e32 v52, 31, v52
	s_wait_alu 0xf1ff
	v_xor_b32_e32 v51, s14, v51
	v_cmp_gt_i32_e64 s14, 0, v55
	v_and_b32_e32 v50, v50, v67
	v_not_b32_e32 v55, v64
	v_ashrrev_i32_e32 v53, 31, v53
	v_xor_b32_e32 v52, s15, v52
	v_cmp_gt_i32_e64 s15, 0, v64
	v_and_b32_e32 v50, v50, v51
	v_not_b32_e32 v51, v65
	v_ashrrev_i32_e32 v55, 31, v55
	s_wait_alu 0xf1ff
	v_xor_b32_e32 v53, s14, v53
	v_cmp_gt_i32_e64 s14, 0, v65
	v_and_b32_e32 v50, v50, v52
	v_not_b32_e32 v52, v54
	v_ashrrev_i32_e32 v51, 31, v51
	v_xor_b32_e32 v55, s15, v55
	v_lshl_add_u32 v49, v49, 3, v135
	v_and_b32_e32 v50, v50, v53
	v_cmp_gt_i32_e64 s15, 0, v54
	v_ashrrev_i32_e32 v52, 31, v52
	s_wait_alu 0xf1ff
	v_xor_b32_e32 v51, s14, v51
	v_lshl_add_u32 v53, v49, 2, v12
	v_and_b32_e32 v50, v50, v55
	v_xor_b32_e32 v52, s15, v52
	ds_load_b32 v49, v53 offset:32
	v_and_b32_e32 v50, v50, v51
	v_add_nc_u32_e32 v51, 32, v53
	; wave barrier
	s_delay_alu instid0(VALU_DEP_2) | instskip(NEXT) | instid1(VALU_DEP_1)
	v_and_b32_e32 v52, v50, v52
	v_mbcnt_lo_u32_b32 v50, v52, 0
	v_cmp_ne_u32_e64 s15, 0, v52
	s_delay_alu instid0(VALU_DEP_2)
	v_cmp_eq_u32_e64 s14, 0, v50
	s_and_b32 s15, s15, s14
	s_wait_alu 0xfffe
	s_and_saveexec_b32 s14, s15
	s_cbranch_execz .LBB1019_37
; %bb.36:                               ;   in Loop: Header=BB1019_29 Depth=1
	s_wait_dscnt 0x0
	v_bcnt_u32_b32 v52, v52, v49
	ds_store_b32 v51, v52
.LBB1019_37:                            ;   in Loop: Header=BB1019_29 Depth=1
	s_wait_alu 0xfffe
	s_or_b32 exec_lo, exec_lo, s14
	v_and_b32_e32 v52, 0xffff, v183
	; wave barrier
	s_delay_alu instid0(VALU_DEP_1) | instskip(NEXT) | instid1(VALU_DEP_1)
	v_lshrrev_b32_e32 v52, v10, v52
	v_and_b32_e32 v52, v52, v66
	s_delay_alu instid0(VALU_DEP_1)
	v_and_b32_e32 v53, 1, v52
	v_lshlrev_b32_e32 v54, 30, v52
	v_lshlrev_b32_e32 v55, 29, v52
	;; [unrolled: 1-line block ×4, first 2 shown]
	v_add_co_u32 v53, s14, v53, -1
	s_wait_alu 0xf1ff
	v_cndmask_b32_e64 v65, 0, 1, s14
	v_not_b32_e32 v70, v54
	v_cmp_gt_i32_e64 s15, 0, v54
	v_not_b32_e32 v54, v55
	v_lshlrev_b32_e32 v68, 26, v52
	v_cmp_ne_u32_e64 s14, 0, v65
	v_ashrrev_i32_e32 v70, 31, v70
	v_lshlrev_b32_e32 v69, 25, v52
	v_ashrrev_i32_e32 v54, 31, v54
	v_lshlrev_b32_e32 v65, 24, v52
	s_wait_alu 0xf1ff
	v_xor_b32_e32 v53, s14, v53
	v_cmp_gt_i32_e64 s14, 0, v55
	v_not_b32_e32 v55, v64
	v_xor_b32_e32 v70, s15, v70
	v_cmp_gt_i32_e64 s15, 0, v64
	v_and_b32_e32 v53, exec_lo, v53
	v_not_b32_e32 v64, v67
	v_ashrrev_i32_e32 v55, 31, v55
	s_wait_alu 0xf1ff
	v_xor_b32_e32 v54, s14, v54
	v_cmp_gt_i32_e64 s14, 0, v67
	v_and_b32_e32 v53, v53, v70
	v_not_b32_e32 v67, v68
	v_ashrrev_i32_e32 v64, 31, v64
	v_xor_b32_e32 v55, s15, v55
	v_cmp_gt_i32_e64 s15, 0, v68
	v_and_b32_e32 v53, v53, v54
	v_not_b32_e32 v54, v69
	v_ashrrev_i32_e32 v67, 31, v67
	s_wait_alu 0xf1ff
	v_xor_b32_e32 v64, s14, v64
	v_cmp_gt_i32_e64 s14, 0, v69
	v_and_b32_e32 v53, v53, v55
	v_not_b32_e32 v55, v65
	v_ashrrev_i32_e32 v54, 31, v54
	v_xor_b32_e32 v67, s15, v67
	v_lshl_add_u32 v52, v52, 3, v135
	v_and_b32_e32 v53, v53, v64
	v_cmp_gt_i32_e64 s15, 0, v65
	v_ashrrev_i32_e32 v55, 31, v55
	s_wait_alu 0xf1ff
	v_xor_b32_e32 v54, s14, v54
	v_lshl_add_u32 v64, v52, 2, v12
	v_and_b32_e32 v53, v53, v67
	v_xor_b32_e32 v55, s15, v55
	ds_load_b32 v52, v64 offset:32
	v_and_b32_e32 v53, v53, v54
	v_add_nc_u32_e32 v54, 32, v64
	; wave barrier
	s_delay_alu instid0(VALU_DEP_2) | instskip(NEXT) | instid1(VALU_DEP_1)
	v_and_b32_e32 v55, v53, v55
	v_mbcnt_lo_u32_b32 v53, v55, 0
	v_cmp_ne_u32_e64 s15, 0, v55
	s_delay_alu instid0(VALU_DEP_2)
	v_cmp_eq_u32_e64 s14, 0, v53
	s_and_b32 s15, s15, s14
	s_wait_alu 0xfffe
	s_and_saveexec_b32 s14, s15
	s_cbranch_execz .LBB1019_39
; %bb.38:                               ;   in Loop: Header=BB1019_29 Depth=1
	s_wait_dscnt 0x0
	v_bcnt_u32_b32 v55, v55, v52
	ds_store_b32 v54, v55
.LBB1019_39:                            ;   in Loop: Header=BB1019_29 Depth=1
	s_wait_alu 0xfffe
	s_or_b32 exec_lo, exec_lo, s14
	v_lshrrev_b32_e32 v195, 16, v183
	; wave barrier
	s_delay_alu instid0(VALU_DEP_1) | instskip(NEXT) | instid1(VALU_DEP_1)
	v_lshrrev_b32_e32 v55, v10, v195
	v_and_b32_e32 v55, v55, v66
	s_delay_alu instid0(VALU_DEP_1)
	v_and_b32_e32 v64, 1, v55
	v_lshlrev_b32_e32 v65, 30, v55
	v_lshlrev_b32_e32 v67, 29, v55
	;; [unrolled: 1-line block ×4, first 2 shown]
	v_add_co_u32 v64, s14, v64, -1
	s_wait_alu 0xf1ff
	v_cndmask_b32_e64 v69, 0, 1, s14
	v_not_b32_e32 v81, v65
	v_cmp_gt_i32_e64 s15, 0, v65
	v_not_b32_e32 v65, v67
	v_lshlrev_b32_e32 v71, 26, v55
	v_cmp_ne_u32_e64 s14, 0, v69
	v_ashrrev_i32_e32 v81, 31, v81
	v_lshlrev_b32_e32 v80, 25, v55
	v_ashrrev_i32_e32 v65, 31, v65
	v_lshlrev_b32_e32 v69, 24, v55
	s_wait_alu 0xf1ff
	v_xor_b32_e32 v64, s14, v64
	v_cmp_gt_i32_e64 s14, 0, v67
	v_not_b32_e32 v67, v68
	v_xor_b32_e32 v81, s15, v81
	v_cmp_gt_i32_e64 s15, 0, v68
	v_and_b32_e32 v64, exec_lo, v64
	v_not_b32_e32 v68, v70
	v_ashrrev_i32_e32 v67, 31, v67
	s_wait_alu 0xf1ff
	v_xor_b32_e32 v65, s14, v65
	v_cmp_gt_i32_e64 s14, 0, v70
	v_and_b32_e32 v64, v64, v81
	v_not_b32_e32 v70, v71
	v_ashrrev_i32_e32 v68, 31, v68
	v_xor_b32_e32 v67, s15, v67
	v_cmp_gt_i32_e64 s15, 0, v71
	v_and_b32_e32 v64, v64, v65
	v_not_b32_e32 v65, v80
	v_ashrrev_i32_e32 v70, 31, v70
	s_wait_alu 0xf1ff
	v_xor_b32_e32 v68, s14, v68
	v_cmp_gt_i32_e64 s14, 0, v80
	v_and_b32_e32 v64, v64, v67
	v_not_b32_e32 v67, v69
	v_ashrrev_i32_e32 v65, 31, v65
	v_xor_b32_e32 v70, s15, v70
	v_lshl_add_u32 v55, v55, 3, v135
	v_and_b32_e32 v64, v64, v68
	v_cmp_gt_i32_e64 s15, 0, v69
	v_ashrrev_i32_e32 v67, 31, v67
	s_wait_alu 0xf1ff
	v_xor_b32_e32 v65, s14, v65
	v_lshl_add_u32 v68, v55, 2, v12
	v_and_b32_e32 v64, v64, v70
	v_xor_b32_e32 v67, s15, v67
	ds_load_b32 v55, v68 offset:32
	v_and_b32_e32 v64, v64, v65
	v_add_nc_u32_e32 v65, 32, v68
	; wave barrier
	s_delay_alu instid0(VALU_DEP_2) | instskip(NEXT) | instid1(VALU_DEP_1)
	v_and_b32_e32 v67, v64, v67
	v_mbcnt_lo_u32_b32 v64, v67, 0
	v_cmp_ne_u32_e64 s15, 0, v67
	s_delay_alu instid0(VALU_DEP_2)
	v_cmp_eq_u32_e64 s14, 0, v64
	s_and_b32 s15, s15, s14
	s_wait_alu 0xfffe
	s_and_saveexec_b32 s14, s15
	s_cbranch_execz .LBB1019_41
; %bb.40:                               ;   in Loop: Header=BB1019_29 Depth=1
	s_wait_dscnt 0x0
	v_bcnt_u32_b32 v67, v67, v55
	ds_store_b32 v65, v67
.LBB1019_41:                            ;   in Loop: Header=BB1019_29 Depth=1
	s_wait_alu 0xfffe
	s_or_b32 exec_lo, exec_lo, s14
	v_and_b32_e32 v67, 0xffff, v182
	; wave barrier
	s_delay_alu instid0(VALU_DEP_1) | instskip(NEXT) | instid1(VALU_DEP_1)
	v_lshrrev_b32_e32 v67, v10, v67
	v_and_b32_e32 v67, v67, v66
	s_delay_alu instid0(VALU_DEP_1)
	v_and_b32_e32 v68, 1, v67
	v_lshlrev_b32_e32 v69, 30, v67
	v_lshlrev_b32_e32 v70, 29, v67
	v_lshlrev_b32_e32 v71, 28, v67
	v_lshlrev_b32_e32 v81, 27, v67
	v_add_co_u32 v68, s14, v68, -1
	s_wait_alu 0xf1ff
	v_cndmask_b32_e64 v80, 0, 1, s14
	v_not_b32_e32 v84, v69
	v_cmp_gt_i32_e64 s15, 0, v69
	v_not_b32_e32 v69, v70
	v_lshlrev_b32_e32 v82, 26, v67
	v_cmp_ne_u32_e64 s14, 0, v80
	v_ashrrev_i32_e32 v84, 31, v84
	v_lshlrev_b32_e32 v83, 25, v67
	v_ashrrev_i32_e32 v69, 31, v69
	v_lshlrev_b32_e32 v80, 24, v67
	s_wait_alu 0xf1ff
	v_xor_b32_e32 v68, s14, v68
	v_cmp_gt_i32_e64 s14, 0, v70
	v_not_b32_e32 v70, v71
	v_xor_b32_e32 v84, s15, v84
	v_cmp_gt_i32_e64 s15, 0, v71
	v_and_b32_e32 v68, exec_lo, v68
	v_not_b32_e32 v71, v81
	v_ashrrev_i32_e32 v70, 31, v70
	s_wait_alu 0xf1ff
	v_xor_b32_e32 v69, s14, v69
	v_cmp_gt_i32_e64 s14, 0, v81
	v_and_b32_e32 v68, v68, v84
	v_not_b32_e32 v81, v82
	v_ashrrev_i32_e32 v71, 31, v71
	v_xor_b32_e32 v70, s15, v70
	v_cmp_gt_i32_e64 s15, 0, v82
	v_and_b32_e32 v68, v68, v69
	v_not_b32_e32 v69, v83
	v_ashrrev_i32_e32 v81, 31, v81
	s_wait_alu 0xf1ff
	v_xor_b32_e32 v71, s14, v71
	v_cmp_gt_i32_e64 s14, 0, v83
	v_and_b32_e32 v68, v68, v70
	v_not_b32_e32 v70, v80
	v_ashrrev_i32_e32 v69, 31, v69
	v_xor_b32_e32 v81, s15, v81
	v_lshl_add_u32 v67, v67, 3, v135
	v_and_b32_e32 v68, v68, v71
	v_cmp_gt_i32_e64 s15, 0, v80
	v_ashrrev_i32_e32 v70, 31, v70
	s_wait_alu 0xf1ff
	v_xor_b32_e32 v69, s14, v69
	v_lshl_add_u32 v67, v67, 2, v12
	v_and_b32_e32 v68, v68, v81
	v_xor_b32_e32 v70, s15, v70
	ds_load_b32 v84, v67 offset:32
	v_and_b32_e32 v68, v68, v69
	v_add_nc_u32_e32 v67, 32, v67
	; wave barrier
	s_delay_alu instid0(VALU_DEP_2) | instskip(NEXT) | instid1(VALU_DEP_1)
	v_and_b32_e32 v68, v68, v70
	v_mbcnt_lo_u32_b32 v86, v68, 0
	v_cmp_ne_u32_e64 s15, 0, v68
	s_delay_alu instid0(VALU_DEP_2)
	v_cmp_eq_u32_e64 s14, 0, v86
	s_and_b32 s15, s15, s14
	s_wait_alu 0xfffe
	s_and_saveexec_b32 s14, s15
	s_cbranch_execz .LBB1019_43
; %bb.42:                               ;   in Loop: Header=BB1019_29 Depth=1
	s_wait_dscnt 0x0
	v_bcnt_u32_b32 v68, v68, v84
	ds_store_b32 v67, v68
.LBB1019_43:                            ;   in Loop: Header=BB1019_29 Depth=1
	s_wait_alu 0xfffe
	s_or_b32 exec_lo, exec_lo, s14
	v_lshrrev_b32_e32 v196, 16, v182
	; wave barrier
	s_delay_alu instid0(VALU_DEP_1) | instskip(NEXT) | instid1(VALU_DEP_1)
	v_lshrrev_b32_e32 v68, v10, v196
	v_and_b32_e32 v66, v68, v66
	s_delay_alu instid0(VALU_DEP_1)
	v_and_b32_e32 v68, 1, v66
	v_lshlrev_b32_e32 v69, 30, v66
	v_lshlrev_b32_e32 v70, 29, v66
	v_lshlrev_b32_e32 v71, 28, v66
	v_lshlrev_b32_e32 v81, 27, v66
	v_add_co_u32 v68, s14, v68, -1
	s_wait_alu 0xf1ff
	v_cndmask_b32_e64 v80, 0, 1, s14
	v_not_b32_e32 v85, v69
	v_cmp_gt_i32_e64 s15, 0, v69
	v_not_b32_e32 v69, v70
	v_lshlrev_b32_e32 v82, 26, v66
	v_cmp_ne_u32_e64 s14, 0, v80
	v_ashrrev_i32_e32 v85, 31, v85
	v_lshlrev_b32_e32 v83, 25, v66
	v_ashrrev_i32_e32 v69, 31, v69
	v_lshlrev_b32_e32 v80, 24, v66
	s_wait_alu 0xf1ff
	v_xor_b32_e32 v68, s14, v68
	v_cmp_gt_i32_e64 s14, 0, v70
	v_not_b32_e32 v70, v71
	v_xor_b32_e32 v85, s15, v85
	v_cmp_gt_i32_e64 s15, 0, v71
	v_and_b32_e32 v68, exec_lo, v68
	v_not_b32_e32 v71, v81
	v_ashrrev_i32_e32 v70, 31, v70
	s_wait_alu 0xf1ff
	v_xor_b32_e32 v69, s14, v69
	v_cmp_gt_i32_e64 s14, 0, v81
	v_and_b32_e32 v68, v68, v85
	v_not_b32_e32 v81, v82
	v_ashrrev_i32_e32 v71, 31, v71
	v_xor_b32_e32 v70, s15, v70
	v_cmp_gt_i32_e64 s15, 0, v82
	v_and_b32_e32 v68, v68, v69
	v_not_b32_e32 v69, v83
	v_ashrrev_i32_e32 v81, 31, v81
	s_wait_alu 0xf1ff
	v_xor_b32_e32 v71, s14, v71
	v_cmp_gt_i32_e64 s14, 0, v83
	v_and_b32_e32 v68, v68, v70
	v_not_b32_e32 v70, v80
	v_ashrrev_i32_e32 v69, 31, v69
	v_xor_b32_e32 v81, s15, v81
	v_lshl_add_u32 v66, v66, 3, v135
	v_and_b32_e32 v68, v68, v71
	v_cmp_gt_i32_e64 s15, 0, v80
	v_ashrrev_i32_e32 v70, 31, v70
	s_wait_alu 0xf1ff
	v_xor_b32_e32 v69, s14, v69
	v_lshl_add_u32 v66, v66, 2, v12
	v_and_b32_e32 v68, v68, v81
	v_xor_b32_e32 v70, s15, v70
	ds_load_b32 v96, v66 offset:32
	v_and_b32_e32 v68, v68, v69
	v_add_nc_u32_e32 v66, 32, v66
	; wave barrier
	s_delay_alu instid0(VALU_DEP_2) | instskip(NEXT) | instid1(VALU_DEP_1)
	v_and_b32_e32 v68, v68, v70
	v_mbcnt_lo_u32_b32 v97, v68, 0
	v_cmp_ne_u32_e64 s15, 0, v68
	s_delay_alu instid0(VALU_DEP_2)
	v_cmp_eq_u32_e64 s14, 0, v97
	s_and_b32 s15, s15, s14
	s_wait_alu 0xfffe
	s_and_saveexec_b32 s14, s15
	s_cbranch_execz .LBB1019_45
; %bb.44:                               ;   in Loop: Header=BB1019_29 Depth=1
	s_wait_dscnt 0x0
	v_bcnt_u32_b32 v68, v68, v96
	ds_store_b32 v66, v68
.LBB1019_45:                            ;   in Loop: Header=BB1019_29 Depth=1
	s_wait_alu 0xfffe
	s_or_b32 exec_lo, exec_lo, s14
	; wave barrier
	s_wait_loadcnt_dscnt 0x0
	s_barrier_signal -1
	s_barrier_wait -1
	global_inv scope:SCOPE_SE
	ds_load_b32 v69, v23
	ds_load_b32 v70, v25
	;; [unrolled: 1-line block ×8, first 2 shown]
	s_wait_dscnt 0x6
	v_add_nc_u32_e32 v85, v70, v69
	s_wait_dscnt 0x4
	s_delay_alu instid0(VALU_DEP_1) | instskip(SKIP_1) | instid1(VALU_DEP_1)
	v_add3_u32 v85, v85, v71, v80
	s_wait_dscnt 0x2
	v_add3_u32 v85, v85, v81, v82
	s_wait_dscnt 0x0
	s_delay_alu instid0(VALU_DEP_1) | instskip(NEXT) | instid1(VALU_DEP_1)
	v_add3_u32 v83, v85, v68, v83
	v_mov_b32_dpp v85, v83 row_shr:1 row_mask:0xf bank_mask:0xf
	s_wait_alu 0xfffd
	s_delay_alu instid0(VALU_DEP_1) | instskip(NEXT) | instid1(VALU_DEP_1)
	v_cndmask_b32_e64 v85, v85, 0, vcc_lo
	v_add_nc_u32_e32 v83, v85, v83
	s_delay_alu instid0(VALU_DEP_1) | instskip(NEXT) | instid1(VALU_DEP_1)
	v_mov_b32_dpp v85, v83 row_shr:2 row_mask:0xf bank_mask:0xf
	v_cndmask_b32_e64 v85, 0, v85, s0
	s_delay_alu instid0(VALU_DEP_1) | instskip(NEXT) | instid1(VALU_DEP_1)
	v_add_nc_u32_e32 v83, v83, v85
	v_mov_b32_dpp v85, v83 row_shr:4 row_mask:0xf bank_mask:0xf
	s_delay_alu instid0(VALU_DEP_1) | instskip(NEXT) | instid1(VALU_DEP_1)
	v_cndmask_b32_e64 v85, 0, v85, s1
	v_add_nc_u32_e32 v83, v83, v85
	s_delay_alu instid0(VALU_DEP_1) | instskip(NEXT) | instid1(VALU_DEP_1)
	v_mov_b32_dpp v85, v83 row_shr:8 row_mask:0xf bank_mask:0xf
	v_cndmask_b32_e64 v85, 0, v85, s3
	s_delay_alu instid0(VALU_DEP_1) | instskip(SKIP_3) | instid1(VALU_DEP_1)
	v_add_nc_u32_e32 v83, v83, v85
	ds_swizzle_b32 v85, v83 offset:swizzle(BROADCAST,32,15)
	s_wait_dscnt 0x0
	v_cndmask_b32_e64 v85, v85, 0, s4
	v_add_nc_u32_e32 v83, v83, v85
	s_and_saveexec_b32 s14, s5
; %bb.46:                               ;   in Loop: Header=BB1019_29 Depth=1
	ds_store_b32 v145, v83
; %bb.47:                               ;   in Loop: Header=BB1019_29 Depth=1
	s_wait_alu 0xfffe
	s_or_b32 exec_lo, exec_lo, s14
	s_wait_loadcnt_dscnt 0x0
	s_barrier_signal -1
	s_barrier_wait -1
	global_inv scope:SCOPE_SE
	s_and_saveexec_b32 s14, s6
	s_cbranch_execz .LBB1019_49
; %bb.48:                               ;   in Loop: Header=BB1019_29 Depth=1
	ds_load_b32 v85, v146
	s_wait_dscnt 0x0
	v_mov_b32_dpp v87, v85 row_shr:1 row_mask:0xf bank_mask:0xf
	s_delay_alu instid0(VALU_DEP_1) | instskip(NEXT) | instid1(VALU_DEP_1)
	v_cndmask_b32_e64 v87, v87, 0, s11
	v_add_nc_u32_e32 v85, v87, v85
	s_delay_alu instid0(VALU_DEP_1) | instskip(NEXT) | instid1(VALU_DEP_1)
	v_mov_b32_dpp v87, v85 row_shr:2 row_mask:0xf bank_mask:0xf
	v_cndmask_b32_e64 v87, 0, v87, s12
	s_delay_alu instid0(VALU_DEP_1) | instskip(NEXT) | instid1(VALU_DEP_1)
	v_add_nc_u32_e32 v85, v85, v87
	v_mov_b32_dpp v87, v85 row_shr:4 row_mask:0xf bank_mask:0xf
	s_delay_alu instid0(VALU_DEP_1) | instskip(NEXT) | instid1(VALU_DEP_1)
	v_cndmask_b32_e64 v87, 0, v87, s13
	v_add_nc_u32_e32 v85, v85, v87
	ds_store_b32 v146, v85
.LBB1019_49:                            ;   in Loop: Header=BB1019_29 Depth=1
	s_wait_alu 0xfffe
	s_or_b32 exec_lo, exec_lo, s14
	v_mov_b32_e32 v85, 0
	s_wait_loadcnt_dscnt 0x0
	s_barrier_signal -1
	s_barrier_wait -1
	global_inv scope:SCOPE_SE
	s_and_saveexec_b32 s14, s7
; %bb.50:                               ;   in Loop: Header=BB1019_29 Depth=1
	ds_load_b32 v85, v148
; %bb.51:                               ;   in Loop: Header=BB1019_29 Depth=1
	s_wait_alu 0xfffe
	s_or_b32 exec_lo, exec_lo, s14
	s_wait_dscnt 0x0
	v_add_nc_u32_e32 v83, v85, v83
	v_dual_mov_b32 v87, v5 :: v_dual_add_nc_u32 v10, 8, v10
	s_mov_b32 s20, -1
	v_mov_b32_e32 v197, v181
	ds_bpermute_b32 v83, v144, v83
	s_wait_dscnt 0x0
	v_cndmask_b32_e64 v83, v83, v85, s2
	v_mov_b32_e32 v85, v5
	s_delay_alu instid0(VALU_DEP_2) | instskip(NEXT) | instid1(VALU_DEP_1)
	v_cndmask_b32_e64 v83, v83, 0, s10
	v_add_nc_u32_e32 v69, v83, v69
	s_delay_alu instid0(VALU_DEP_1)
	v_add_nc_u32_e32 v70, v69, v70
	ds_store_b32 v23, v83
	ds_store_b32 v25, v69
	;; [unrolled: 1-line block ×3, first 2 shown]
	v_mov_b32_e32 v69, v5
	v_add_nc_u32_e32 v71, v70, v71
	v_mov_b32_e32 v83, v5
	v_cmp_lt_u32_e64 s14, v10, v11
	s_delay_alu instid0(VALU_DEP_3) | instskip(NEXT) | instid1(VALU_DEP_1)
	v_add_nc_u32_e32 v80, v71, v80
	v_add_nc_u32_e32 v81, v80, v81
	s_delay_alu instid0(VALU_DEP_1) | instskip(NEXT) | instid1(VALU_DEP_1)
	v_add_nc_u32_e32 v82, v81, v82
	v_add_nc_u32_e32 v68, v82, v68
	ds_store_b32 v130, v71
	ds_store_b32 v131, v80
	;; [unrolled: 1-line block ×5, first 2 shown]
	s_wait_loadcnt_dscnt 0x0
	s_barrier_signal -1
	s_barrier_wait -1
	global_inv scope:SCOPE_SE
	ds_load_b32 v34, v34
	ds_load_b32 v37, v37
	;; [unrolled: 1-line block ×8, first 2 shown]
	v_mov_b32_e32 v71, v5
	v_mov_b32_e32 v67, v5
	;; [unrolled: 1-line block ×3, first 2 shown]
	s_wait_loadcnt_dscnt 0x0
	v_add_nc_u32_e32 v4, v34, v4
	v_add3_u32 v66, v36, v35, v37
	v_add3_u32 v68, v39, v38, v48
	;; [unrolled: 1-line block ×4, first 2 shown]
	v_lshlrev_b64_e32 v[34:35], 1, v[4:5]
	v_lshlrev_b64_e32 v[36:37], 1, v[66:67]
	;; [unrolled: 1-line block ×3, first 2 shown]
	v_add3_u32 v82, v64, v55, v65
	v_lshlrev_b64_e32 v[48:49], 1, v[70:71]
	v_add3_u32 v84, v86, v84, v98
	v_add_co_u32 v118, s15, v12, v34
	v_add3_u32 v86, v97, v96, v99
	v_lshlrev_b64_e32 v[50:51], 1, v[80:81]
	s_wait_alu 0xf1ff
	v_add_co_ci_u32_e64 v119, null, v13, v35, s15
	v_add_co_u32 v96, s15, v12, v36
	v_lshlrev_b64_e32 v[52:53], 1, v[82:83]
	s_wait_alu 0xf1ff
	v_add_co_ci_u32_e64 v97, null, v13, v37, s15
	v_add_co_u32 v98, s15, v12, v38
	;; [unrolled: 4-line block ×4, first 2 shown]
	s_wait_alu 0xf1ff
	v_add_co_ci_u32_e64 v103, null, v13, v51, s15
	v_add_co_u32 v112, s15, v12, v52
	s_wait_alu 0xf1ff
	v_add_co_ci_u32_e64 v113, null, v13, v53, s15
	v_add_co_u32 v114, s15, v12, v54
	;; [unrolled: 3-line block ×3, first 2 shown]
	s_wait_alu 0xf1ff
	v_add_co_ci_u32_e64 v117, null, v13, v65, s15
                                        ; implicit-def: $vgpr71
                                        ; implicit-def: $vgpr69
                                        ; implicit-def: $vgpr67
                                        ; implicit-def: $vgpr34_vgpr35
                                        ; implicit-def: $vgpr38_vgpr39
                                        ; implicit-def: $vgpr48_vgpr49
                                        ; implicit-def: $vgpr50_vgpr51
                                        ; implicit-def: $vgpr52_vgpr53
                                        ; implicit-def: $vgpr54_vgpr55
                                        ; implicit-def: $vgpr64_vgpr65
                                        ; implicit-def: $vgpr36_vgpr37
	s_and_saveexec_b32 s15, s14
	s_cbranch_execz .LBB1019_28
; %bb.52:                               ;   in Loop: Header=BB1019_29 Depth=1
	s_barrier_signal -1
	s_barrier_wait -1
	global_inv scope:SCOPE_SE
	ds_store_b16 v118, v181
	ds_store_b16 v96, v193
	;; [unrolled: 1-line block ×8, first 2 shown]
	s_wait_loadcnt_dscnt 0x0
	s_barrier_signal -1
	s_barrier_wait -1
	global_inv scope:SCOPE_SE
	ds_load_u16 v181, v147
	ds_load_u16 v67, v150
	;; [unrolled: 1-line block ×4, first 2 shown]
	v_mad_co_u64_u32 v[34:35], null, v4, 6, v[118:119]
	v_mad_co_u64_u32 v[35:36], null, v66, 6, v[96:97]
	;; [unrolled: 1-line block ×8, first 2 shown]
	s_wait_dscnt 0x3
	ds_load_u16_d16_hi v181, v149
	s_wait_dscnt 0x3
	ds_load_u16_d16_hi v67, v151
	;; [unrolled: 2-line block ×4, first 2 shown]
	s_wait_loadcnt_dscnt 0x0
	s_barrier_signal -1
	s_barrier_wait -1
	global_inv scope:SCOPE_SE
	ds_store_b64 v34, v[30:31]
	ds_store_b64 v35, v[21:22]
	;; [unrolled: 1-line block ×8, first 2 shown]
	s_wait_loadcnt_dscnt 0x0
	s_barrier_signal -1
	s_barrier_wait -1
	global_inv scope:SCOPE_SE
	ds_load_b64 v[34:35], v160
	ds_load_b64 v[38:39], v165
	;; [unrolled: 1-line block ×8, first 2 shown]
	v_add_nc_u32_e32 v180, -8, v180
	s_xor_b32 s20, exec_lo, -1
	s_wait_loadcnt_dscnt 0x0
	s_barrier_signal -1
	s_barrier_wait -1
	global_inv scope:SCOPE_SE
	s_branch .LBB1019_28
.LBB1019_53:
	s_or_b32 exec_lo, exec_lo, s19
	v_mad_co_u64_u32 v[10:11], null, v4, 6, v[118:119]
	v_lshl_add_u32 v23, v18, 1, v12
	s_barrier_signal -1
	s_barrier_wait -1
	s_wait_loadcnt 0x0
	global_inv scope:SCOPE_SE
	ds_store_b16 v118, v197
	ds_store_b16 v96, v193
	;; [unrolled: 1-line block ×8, first 2 shown]
	s_wait_loadcnt_dscnt 0x0
	s_barrier_signal -1
	s_barrier_wait -1
	global_inv scope:SCOPE_SE
	ds_load_u16 v39, v23
	ds_load_u16 v38, v23 offset:512
	ds_load_u16 v37, v23 offset:1024
	;; [unrolled: 1-line block ×7, first 2 shown]
	s_wait_loadcnt_dscnt 0x0
	s_barrier_signal -1
	s_barrier_wait -1
	global_inv scope:SCOPE_SE
	ds_store_b64 v10, v[30:31]
	v_mad_co_u64_u32 v[10:11], null, v66, 6, v[96:97]
	v_mad_co_u64_u32 v[11:12], null, v68, 6, v[98:99]
	;; [unrolled: 1-line block ×7, first 2 shown]
	ds_store_b64 v10, v[21:22]
	ds_store_b64 v11, v[19:20]
	;; [unrolled: 1-line block ×3, first 2 shown]
	v_mul_u32_u24_e32 v10, 6, v18
	ds_store_b64 v30, v[16:17]
	ds_store_b64 v48, v[14:15]
	;; [unrolled: 1-line block ×4, first 2 shown]
	s_wait_loadcnt_dscnt 0x0
	s_barrier_signal -1
	v_dual_mov_b32 v25, 0 :: v_dual_add_nc_u32 v8, v23, v10
	s_barrier_wait -1
	global_inv scope:SCOPE_SE
	ds_load_2addr_stride64_b64 v[20:23], v8 offset1:4
	ds_load_2addr_stride64_b64 v[16:19], v8 offset0:8 offset1:12
	ds_load_2addr_stride64_b64 v[12:15], v8 offset0:16 offset1:20
	;; [unrolled: 1-line block ×3, first 2 shown]
	v_lshlrev_b64_e32 v[28:29], 1, v[24:25]
	v_add_co_u32 v2, vcc_lo, v2, v26
	s_wait_alu 0xfffd
	v_add_co_ci_u32_e64 v3, null, v3, v27, vcc_lo
	s_wait_loadcnt_dscnt 0x0
	s_delay_alu instid0(VALU_DEP_2) | instskip(SKIP_1) | instid1(VALU_DEP_2)
	v_add_co_u32 v2, vcc_lo, v2, v28
	s_wait_alu 0xfffd
	v_add_co_ci_u32_e64 v3, null, v3, v29, vcc_lo
	v_cmp_lt_u32_e32 vcc_lo, v24, v128
	s_barrier_signal -1
	s_barrier_wait -1
	global_inv scope:SCOPE_SE
	s_and_saveexec_b32 s0, vcc_lo
	s_cbranch_execz .LBB1019_55
; %bb.54:
	v_xor_b32_e32 v26, 0xffff8000, v39
	flat_store_b16 v[2:3], v26
.LBB1019_55:
	s_wait_alu 0xfffe
	s_or_b32 exec_lo, exec_lo, s0
	v_add_nc_u32_e32 v26, 0x100, v24
	s_delay_alu instid0(VALU_DEP_1)
	v_cmp_lt_u32_e64 s0, v26, v128
	s_and_saveexec_b32 s1, s0
	s_cbranch_execz .LBB1019_57
; %bb.56:
	v_xor_b32_e32 v26, 0xffff8000, v38
	flat_store_b16 v[2:3], v26 offset:512
.LBB1019_57:
	s_wait_alu 0xfffe
	s_or_b32 exec_lo, exec_lo, s1
	v_add_nc_u32_e32 v26, 0x200, v24
	s_delay_alu instid0(VALU_DEP_1)
	v_cmp_lt_u32_e64 s1, v26, v128
	s_and_saveexec_b32 s2, s1
	s_cbranch_execz .LBB1019_59
; %bb.58:
	v_xor_b32_e32 v26, 0xffff8000, v37
	flat_store_b16 v[2:3], v26 offset:1024
.LBB1019_59:
	;; [unrolled: 11-line block ×7, first 2 shown]
	s_wait_alu 0xfffe
	s_or_b32 exec_lo, exec_lo, s7
	v_lshlrev_b64_e32 v[2:3], 3, v[24:25]
	v_add_co_u32 v0, s7, v6, v0
	s_wait_alu 0xf1ff
	v_add_co_ci_u32_e64 v1, null, v7, v1, s7
	s_delay_alu instid0(VALU_DEP_2) | instskip(SKIP_1) | instid1(VALU_DEP_2)
	v_add_co_u32 v0, s7, v0, v2
	s_wait_alu 0xf1ff
	v_add_co_ci_u32_e64 v1, null, v1, v3, s7
	s_and_saveexec_b32 s7, vcc_lo
	s_cbranch_execnz .LBB1019_119
; %bb.70:
	s_wait_alu 0xfffe
	s_or_b32 exec_lo, exec_lo, s7
	s_and_saveexec_b32 s7, s0
	s_cbranch_execnz .LBB1019_120
.LBB1019_71:
	s_wait_alu 0xfffe
	s_or_b32 exec_lo, exec_lo, s7
	s_and_saveexec_b32 s0, s1
	s_cbranch_execnz .LBB1019_121
.LBB1019_72:
	s_wait_alu 0xfffe
	s_or_b32 exec_lo, exec_lo, s0
	s_and_saveexec_b32 s0, s2
	s_cbranch_execnz .LBB1019_122
.LBB1019_73:
	s_wait_alu 0xfffe
	s_or_b32 exec_lo, exec_lo, s0
	s_and_saveexec_b32 s0, s3
	s_cbranch_execnz .LBB1019_123
.LBB1019_74:
	s_wait_alu 0xfffe
	s_or_b32 exec_lo, exec_lo, s0
	s_and_saveexec_b32 s0, s4
	s_cbranch_execnz .LBB1019_124
.LBB1019_75:
	s_wait_alu 0xfffe
	s_or_b32 exec_lo, exec_lo, s0
	s_and_saveexec_b32 s0, s5
	s_cbranch_execnz .LBB1019_125
.LBB1019_76:
	s_wait_alu 0xfffe
	s_or_b32 exec_lo, exec_lo, s0
	s_and_saveexec_b32 s0, s6
	s_cbranch_execz .LBB1019_78
.LBB1019_77:
	flat_store_b64 v[0:1], v[10:11] offset:14336
.LBB1019_78:
	s_wait_alu 0xfffe
	s_or_b32 exec_lo, exec_lo, s0
                                        ; implicit-def: $vgpr128
                                        ; implicit-def: $vgpr0
                                        ; implicit-def: $vgpr1
                                        ; implicit-def: $vgpr2
                                        ; implicit-def: $vgpr3
                                        ; implicit-def: $vgpr4
                                        ; implicit-def: $vgpr5
                                        ; implicit-def: $vgpr6
                                        ; implicit-def: $vgpr7
                                        ; implicit-def: $vgpr8
                                        ; implicit-def: $vgpr10
                                        ; implicit-def: $vgpr11
                                        ; implicit-def: $vgpr12
                                        ; implicit-def: $vgpr13
                                        ; implicit-def: $vgpr9
                                        ; implicit-def: $vgpr14
                                        ; implicit-def: $vgpr18
                                        ; implicit-def: $vgpr33
.LBB1019_79:
	s_wait_alu 0xfffe
	s_and_not1_saveexec_b32 s0, s17
	s_cbranch_execz .LBB1019_199
; %bb.80:
	s_mov_b32 s0, exec_lo
	v_cmpx_lt_u32_e32 0x200, v128
	s_wait_alu 0xfffe
	s_xor_b32 s17, exec_lo, s0
	s_cbranch_execz .LBB1019_140
; %bb.81:
	s_load_b64 s[0:1], s[8:9], 0x0
	s_and_b32 s2, ttmp7, 0xffff
	s_mov_b32 s3, 0
	v_lshlrev_b32_e32 v23, 1, v33
	s_wait_kmcnt 0x0
	s_wait_alu 0xfffe
	s_cmp_lt_u32 s2, s1
	s_cselect_b32 s2, 14, 20
	s_cmp_lt_u32 ttmp9, s0
	s_wait_alu 0xfffe
	s_add_nc_u64 s[4:5], s[8:9], s[2:3]
	s_cselect_b32 s2, 12, 18
	s_load_u16 s4, s[4:5], 0x0
	s_add_nc_u64 s[0:1], s[8:9], s[2:3]
	s_load_u16 s0, s[0:1], 0x0
	s_wait_kmcnt 0x0
	v_mad_u32_u24 v9, v14, s4, v9
	v_mov_b32_e32 v14, 0x7fff7fff
	s_delay_alu instid0(VALU_DEP_2) | instskip(SKIP_1) | instid1(VALU_DEP_1)
	v_mad_co_u64_u32 v[16:17], null, v9, s0, v[18:19]
	v_mov_b32_e32 v9, 0
	v_lshlrev_b64_e32 v[19:20], 1, v[8:9]
	s_delay_alu instid0(VALU_DEP_3) | instskip(NEXT) | instid1(VALU_DEP_1)
	v_dual_mov_b32 v22, v9 :: v_dual_lshlrev_b32 v15, 2, v16
	v_and_b32_e32 v21, 0xffffff80, v15
	s_delay_alu instid0(VALU_DEP_3) | instskip(SKIP_1) | instid1(VALU_DEP_4)
	v_add_co_u32 v15, vcc_lo, v0, v19
	s_wait_alu 0xfffd
	v_add_co_ci_u32_e64 v24, null, v1, v20, vcc_lo
	s_delay_alu instid0(VALU_DEP_3) | instskip(NEXT) | instid1(VALU_DEP_3)
	v_lshlrev_b64_e32 v[0:1], 1, v[21:22]
	v_add_co_u32 v15, vcc_lo, v15, v23
	v_or_b32_e32 v17, v21, v33
	s_wait_alu 0xfffd
	v_add_co_ci_u32_e64 v23, null, 0, v24, vcc_lo
	s_delay_alu instid0(VALU_DEP_3) | instskip(NEXT) | instid1(VALU_DEP_3)
	v_add_co_u32 v0, s0, v15, v0
	v_cmp_lt_u32_e32 vcc_lo, v17, v128
	s_wait_alu 0xf1ff
	s_delay_alu instid0(VALU_DEP_3)
	v_add_co_ci_u32_e64 v1, null, v23, v1, s0
	v_mov_b32_e32 v15, v14
	s_and_saveexec_b32 s0, vcc_lo
	s_cbranch_execz .LBB1019_83
; %bb.82:
	v_dual_mov_b32 v23, 0x7fff0000 :: v_dual_mov_b32 v24, v14
	flat_load_d16_b16 v23, v[0:1]
	s_wait_loadcnt_dscnt 0x0
	v_dual_mov_b32 v14, v23 :: v_dual_mov_b32 v15, v24
.LBB1019_83:
	s_wait_alu 0xfffe
	s_or_b32 exec_lo, exec_lo, s0
	v_or_b32_e32 v23, 32, v17
	s_delay_alu instid0(VALU_DEP_1)
	v_cmp_lt_u32_e64 s0, v23, v128
	s_and_saveexec_b32 s1, s0
	s_cbranch_execz .LBB1019_85
; %bb.84:
	flat_load_d16_hi_b16 v14, v[0:1] offset:64
.LBB1019_85:
	s_wait_alu 0xfffe
	s_or_b32 exec_lo, exec_lo, s1
	v_or_b32_e32 v23, 64, v17
	s_delay_alu instid0(VALU_DEP_1)
	v_cmp_lt_u32_e64 s1, v23, v128
	s_and_saveexec_b32 s2, s1
	s_cbranch_execz .LBB1019_87
; %bb.86:
	flat_load_d16_b16 v15, v[0:1] offset:128
.LBB1019_87:
	s_wait_alu 0xfffe
	s_or_b32 exec_lo, exec_lo, s2
	v_or_b32_e32 v17, 0x60, v17
	s_delay_alu instid0(VALU_DEP_1)
	v_cmp_lt_u32_e64 s2, v17, v128
	s_and_saveexec_b32 s3, s2
	s_cbranch_execz .LBB1019_89
; %bb.88:
	s_wait_loadcnt_dscnt 0x0
	flat_load_d16_hi_b16 v15, v[0:1] offset:192
.LBB1019_89:
	s_wait_alu 0xfffe
	s_or_b32 exec_lo, exec_lo, s3
	v_lshlrev_b64_e32 v[0:1], 3, v[8:9]
	v_lshlrev_b32_e32 v8, 3, v33
                                        ; implicit-def: $vgpr27_vgpr28
	s_delay_alu instid0(VALU_DEP_2) | instskip(SKIP_1) | instid1(VALU_DEP_3)
	v_add_co_u32 v9, s3, v4, v0
	s_wait_alu 0xf1ff
	v_add_co_ci_u32_e64 v17, null, v5, v1, s3
	v_lshlrev_b64_e32 v[4:5], 3, v[21:22]
	s_delay_alu instid0(VALU_DEP_3) | instskip(SKIP_1) | instid1(VALU_DEP_3)
	v_add_co_u32 v8, s3, v9, v8
	s_wait_alu 0xf1ff
	v_add_co_ci_u32_e64 v9, null, 0, v17, s3
	s_delay_alu instid0(VALU_DEP_2) | instskip(SKIP_1) | instid1(VALU_DEP_2)
	v_add_co_u32 v4, s3, v8, v4
	s_wait_alu 0xf1ff
	v_add_co_ci_u32_e64 v5, null, v9, v5, s3
	s_and_saveexec_b32 s3, vcc_lo
	s_cbranch_execnz .LBB1019_164
; %bb.90:
	s_wait_alu 0xfffe
	s_or_b32 exec_lo, exec_lo, s3
                                        ; implicit-def: $vgpr29_vgpr30
	s_and_saveexec_b32 s3, s0
	s_cbranch_execnz .LBB1019_165
.LBB1019_91:
	s_wait_alu 0xfffe
	s_or_b32 exec_lo, exec_lo, s3
                                        ; implicit-def: $vgpr31_vgpr32
	s_and_saveexec_b32 s0, s1
	s_cbranch_execnz .LBB1019_166
.LBB1019_92:
	s_wait_alu 0xfffe
	s_or_b32 exec_lo, exec_lo, s0
                                        ; implicit-def: $vgpr25_vgpr26
	s_and_saveexec_b32 s0, s2
	s_cbranch_execz .LBB1019_94
.LBB1019_93:
	flat_load_b64 v[25:26], v[4:5] offset:768
.LBB1019_94:
	s_wait_alu 0xfffe
	s_or_b32 exec_lo, exec_lo, s0
	s_wait_loadcnt_dscnt 0x0
	v_lshrrev_b32_e32 v5, 16, v14
	v_lshrrev_b32_e32 v4, 16, v15
	v_xor_b32_e32 v8, 0xffff8000, v15
	v_lshl_add_u32 v9, v18, 5, v12
	v_sub_co_u32 v22, s2, v33, 1
	v_xor_b32_e32 v15, 0xffff8000, v5
	v_and_b32_e32 v5, 0x3e0, v18
	s_delay_alu instid0(VALU_DEP_4)
	v_add_nc_u32_e32 v17, 32, v9
	v_add_nc_u32_e32 v54, 36, v9
	;; [unrolled: 1-line block ×6, first 2 shown]
	v_and_b32_e32 v21, 15, v33
	v_add_nc_u32_e32 v67, 56, v9
	v_add_nc_u32_e32 v68, 60, v9
	v_min_u32_e32 v5, 0xe0, v5
	v_and_b32_e32 v9, 16, v33
	v_cmp_gt_i32_e64 s6, 0, v22
	s_getpc_b64 s[0:1]
	s_wait_alu 0xfffe
	s_sext_i32_i16 s1, s1
	s_add_co_u32 s0, s0, _ZN7rocprim17ROCPRIM_400000_NS16block_radix_sortIsLj256ELj4ElLj1ELj1ELj8ELNS0_26block_radix_rank_algorithmE2ELNS0_18block_padding_hintE2ELNS0_4arch9wavefront6targetE0EE19radix_bits_per_passE@rel32@lo+12
	s_wait_alu 0xfffe
	s_add_co_ci_u32 s1, s1, _ZN7rocprim17ROCPRIM_400000_NS16block_radix_sortIsLj256ELj4ElLj1ELj1ELj8ELNS0_26block_radix_rank_algorithmE2ELNS0_18block_padding_hintE2ELNS0_4arch9wavefront6targetE0EE19radix_bits_per_passE@rel32@hi+24
	v_cmp_eq_u32_e32 vcc_lo, 0, v21
	s_load_b32 s18, s[0:1], 0x0
	v_cmp_lt_u32_e64 s0, 1, v21
	v_cmp_lt_u32_e64 s1, 3, v21
	v_or_b32_e32 v5, 31, v5
	v_cmp_lt_u32_e64 s3, 7, v21
	v_cmp_eq_u32_e64 s4, 0, v9
	v_cndmask_b32_e64 v9, v22, v33, s6
	v_lshlrev_b32_e32 v21, 2, v18
	v_cmp_eq_u32_e64 s5, v18, v5
	v_lshrrev_b32_e32 v5, 3, v18
	v_xor_b32_e32 v4, 0xffff8000, v4
	v_lshlrev_b32_e32 v70, 2, v9
	v_and_or_b32 v9, 0xf80, v21, v33
	v_xor_b32_e32 v14, 0xffff8000, v14
	v_and_b32_e32 v5, 0x7c, v5
	v_and_b32_e32 v22, 7, v33
	v_lshrrev_b32_e32 v69, 5, v16
	v_lshl_add_u32 v80, v9, 1, v12
	v_mul_u32_u24_e32 v9, 6, v9
	v_add_nc_u32_e32 v71, v12, v5
	v_cmp_gt_u32_e64 s6, 8, v18
	v_cmp_lt_u32_e64 s7, 31, v18
	v_cmp_eq_u32_e64 s10, 0, v18
	v_dual_mov_b32 v5, 0 :: v_dual_add_nc_u32 v82, v80, v9
	v_add_nc_u32_e32 v81, v12, v21
	v_cmp_eq_u32_e64 s11, 0, v22
	v_cmp_lt_u32_e64 s12, 1, v22
	v_cmp_lt_u32_e64 s13, 3, v22
	v_add_nc_u32_e32 v83, -4, v71
	v_add_nc_u32_e32 v84, 64, v80
	v_add_nc_u32_e32 v85, 0x80, v80
	;; [unrolled: 1-line block ×6, first 2 shown]
	v_perm_b32 v99, v15, v14, 0x5040100
	v_perm_b32 v34, v4, v8, 0x5040100
	v_sub_nc_u32_e32 v98, v11, v10
	s_mov_b32 s19, 0
	s_wait_storecnt 0x0
	s_barrier_signal -1
	s_barrier_wait -1
	global_inv scope:SCOPE_SE
	s_branch .LBB1019_96
.LBB1019_95:                            ;   in Loop: Header=BB1019_96 Depth=1
	s_wait_alu 0xfffe
	s_or_b32 exec_lo, exec_lo, s15
	s_delay_alu instid0(SALU_CYCLE_1)
	s_and_b32 s14, exec_lo, s20
	s_wait_alu 0xfffe
	s_or_b32 s19, s14, s19
	s_wait_alu 0xfffe
	s_and_not1_b32 exec_lo, exec_lo, s19
	s_cbranch_execz .LBB1019_126
.LBB1019_96:                            ; =>This Inner Loop Header: Depth=1
	s_wait_kmcnt 0x0
	v_min_u32_e32 v4, s18, v98
	v_dual_mov_b32 v21, v27 :: v_dual_and_b32 v8, 0xffff, v99
	v_mov_b32_e32 v100, v34
	ds_store_b32 v17, v5
	ds_store_b32 v54, v5
	;; [unrolled: 1-line block ×3, first 2 shown]
	v_lshlrev_b32_e64 v4, v4, -1
	v_lshrrev_b32_e32 v8, v10, v8
	ds_store_b32 v64, v5
	ds_store_b32 v65, v5
	;; [unrolled: 1-line block ×5, first 2 shown]
	v_not_b32_e32 v33, v4
	s_wait_loadcnt_dscnt 0x0
	s_barrier_signal -1
	s_barrier_wait -1
	global_inv scope:SCOPE_SE
	v_and_b32_e32 v4, v8, v33
	v_dual_mov_b32 v14, v29 :: v_dual_mov_b32 v15, v30
	v_mov_b32_e32 v22, v28
	s_delay_alu instid0(VALU_DEP_3)
	v_dual_mov_b32 v8, v31 :: v_dual_and_b32 v23, 1, v4
	v_lshlrev_b32_e32 v24, 30, v4
	v_lshlrev_b32_e32 v27, 29, v4
	;; [unrolled: 1-line block ×4, first 2 shown]
	v_add_co_u32 v23, s14, v23, -1
	s_wait_alu 0xf1ff
	v_cndmask_b32_e64 v29, 0, 1, s14
	v_not_b32_e32 v34, v24
	v_cmp_gt_i32_e64 s15, 0, v24
	v_not_b32_e32 v24, v27
	v_mov_b32_e32 v9, v32
	v_cmp_ne_u32_e64 s14, 0, v29
	v_ashrrev_i32_e32 v34, 31, v34
	v_lshlrev_b32_e32 v31, 26, v4
	v_ashrrev_i32_e32 v24, 31, v24
	v_lshlrev_b32_e32 v32, 25, v4
	s_wait_alu 0xf1ff
	v_xor_b32_e32 v23, s14, v23
	v_cmp_gt_i32_e64 s14, 0, v27
	v_not_b32_e32 v27, v28
	v_xor_b32_e32 v34, s15, v34
	v_cmp_gt_i32_e64 s15, 0, v28
	v_and_b32_e32 v23, exec_lo, v23
	v_not_b32_e32 v28, v30
	v_ashrrev_i32_e32 v27, 31, v27
	s_wait_alu 0xf1ff
	v_xor_b32_e32 v24, s14, v24
	v_cmp_gt_i32_e64 s14, 0, v30
	v_and_b32_e32 v23, v23, v34
	v_ashrrev_i32_e32 v28, 31, v28
	v_xor_b32_e32 v27, s15, v27
	v_not_b32_e32 v30, v31
	v_lshlrev_b32_e32 v29, 24, v4
	v_and_b32_e32 v23, v23, v24
	v_not_b32_e32 v24, v32
	s_wait_alu 0xf1ff
	v_xor_b32_e32 v28, s14, v28
	v_cmp_gt_i32_e64 s15, 0, v31
	v_ashrrev_i32_e32 v30, 31, v30
	v_and_b32_e32 v23, v23, v27
	v_ashrrev_i32_e32 v31, 31, v24
	v_cmp_gt_i32_e64 s14, 0, v32
	v_lshlrev_b32_e32 v4, 3, v4
	s_wait_alu 0xf1ff
	v_xor_b32_e32 v30, s15, v30
	v_dual_mov_b32 v23, v25 :: v_dual_and_b32 v28, v23, v28
	v_mov_b32_e32 v24, v26
	v_not_b32_e32 v27, v29
	v_cmp_gt_i32_e64 s15, 0, v29
	v_xor_b32_e32 v26, s14, v31
	; wave barrier
	s_delay_alu instid0(VALU_DEP_3) | instskip(SKIP_2) | instid1(VALU_DEP_2)
	v_ashrrev_i32_e32 v25, 31, v27
	v_and_b32_e32 v27, v28, v30
	s_wait_alu 0xf1ff
	v_xor_b32_e32 v25, s15, v25
	s_delay_alu instid0(VALU_DEP_2) | instskip(NEXT) | instid1(VALU_DEP_1)
	v_and_b32_e32 v26, v27, v26
	v_and_b32_e32 v26, v26, v25
	v_add_lshl_u32 v25, v4, v69, 2
	s_delay_alu instid0(VALU_DEP_2) | instskip(NEXT) | instid1(VALU_DEP_2)
	v_mbcnt_lo_u32_b32 v4, v26, 0
	v_add_co_u32 v25, null, v12, v25
	v_cmp_ne_u32_e64 s15, 0, v26
	s_delay_alu instid0(VALU_DEP_3) | instskip(NEXT) | instid1(VALU_DEP_3)
	v_cmp_eq_u32_e64 s14, 0, v4
	v_add_co_u32 v25, null, v25, 32
	s_and_b32 s15, s15, s14
	s_wait_alu 0xfffe
	s_and_saveexec_b32 s14, s15
; %bb.97:                               ;   in Loop: Header=BB1019_96 Depth=1
	v_bcnt_u32_b32 v26, v26, 0
	ds_store_b32 v25, v26
; %bb.98:                               ;   in Loop: Header=BB1019_96 Depth=1
	s_wait_alu 0xfffe
	s_or_b32 exec_lo, exec_lo, s14
	v_lshrrev_b32_e32 v101, 16, v99
	; wave barrier
	s_delay_alu instid0(VALU_DEP_1) | instskip(NEXT) | instid1(VALU_DEP_1)
	v_lshrrev_b32_e32 v26, v10, v101
	v_and_b32_e32 v26, v26, v33
	s_delay_alu instid0(VALU_DEP_1)
	v_and_b32_e32 v27, 1, v26
	v_lshlrev_b32_e32 v28, 30, v26
	v_lshlrev_b32_e32 v29, 29, v26
	;; [unrolled: 1-line block ×4, first 2 shown]
	v_add_co_u32 v27, s14, v27, -1
	s_wait_alu 0xf1ff
	v_cndmask_b32_e64 v31, 0, 1, s14
	v_not_b32_e32 v36, v28
	v_cmp_gt_i32_e64 s15, 0, v28
	v_not_b32_e32 v28, v29
	v_lshlrev_b32_e32 v34, 26, v26
	v_cmp_ne_u32_e64 s14, 0, v31
	v_ashrrev_i32_e32 v36, 31, v36
	v_lshlrev_b32_e32 v35, 25, v26
	v_ashrrev_i32_e32 v28, 31, v28
	v_lshlrev_b32_e32 v31, 24, v26
	s_wait_alu 0xf1ff
	v_xor_b32_e32 v27, s14, v27
	v_cmp_gt_i32_e64 s14, 0, v29
	v_not_b32_e32 v29, v30
	v_xor_b32_e32 v36, s15, v36
	v_cmp_gt_i32_e64 s15, 0, v30
	v_and_b32_e32 v27, exec_lo, v27
	v_not_b32_e32 v30, v32
	v_ashrrev_i32_e32 v29, 31, v29
	s_wait_alu 0xf1ff
	v_xor_b32_e32 v28, s14, v28
	v_cmp_gt_i32_e64 s14, 0, v32
	v_and_b32_e32 v27, v27, v36
	v_not_b32_e32 v32, v34
	v_ashrrev_i32_e32 v30, 31, v30
	v_xor_b32_e32 v29, s15, v29
	v_cmp_gt_i32_e64 s15, 0, v34
	v_and_b32_e32 v27, v27, v28
	v_not_b32_e32 v28, v35
	v_ashrrev_i32_e32 v32, 31, v32
	s_wait_alu 0xf1ff
	v_xor_b32_e32 v30, s14, v30
	v_cmp_gt_i32_e64 s14, 0, v35
	v_and_b32_e32 v27, v27, v29
	v_not_b32_e32 v29, v31
	v_ashrrev_i32_e32 v28, 31, v28
	v_xor_b32_e32 v32, s15, v32
	v_lshl_add_u32 v26, v26, 3, v69
	v_and_b32_e32 v27, v27, v30
	v_cmp_gt_i32_e64 s15, 0, v31
	v_ashrrev_i32_e32 v29, 31, v29
	s_wait_alu 0xf1ff
	v_xor_b32_e32 v28, s14, v28
	v_lshl_add_u32 v30, v26, 2, v12
	v_and_b32_e32 v27, v27, v32
	v_xor_b32_e32 v29, s15, v29
	ds_load_b32 v26, v30 offset:32
	v_and_b32_e32 v27, v27, v28
	v_add_nc_u32_e32 v28, 32, v30
	; wave barrier
	s_delay_alu instid0(VALU_DEP_2) | instskip(NEXT) | instid1(VALU_DEP_1)
	v_and_b32_e32 v29, v27, v29
	v_mbcnt_lo_u32_b32 v27, v29, 0
	v_cmp_ne_u32_e64 s15, 0, v29
	s_delay_alu instid0(VALU_DEP_2)
	v_cmp_eq_u32_e64 s14, 0, v27
	s_and_b32 s15, s15, s14
	s_wait_alu 0xfffe
	s_and_saveexec_b32 s14, s15
	s_cbranch_execz .LBB1019_100
; %bb.99:                               ;   in Loop: Header=BB1019_96 Depth=1
	s_wait_dscnt 0x0
	v_bcnt_u32_b32 v29, v29, v26
	ds_store_b32 v28, v29
.LBB1019_100:                           ;   in Loop: Header=BB1019_96 Depth=1
	s_wait_alu 0xfffe
	s_or_b32 exec_lo, exec_lo, s14
	v_and_b32_e32 v29, 0xffff, v100
	; wave barrier
	s_delay_alu instid0(VALU_DEP_1) | instskip(NEXT) | instid1(VALU_DEP_1)
	v_lshrrev_b32_e32 v29, v10, v29
	v_and_b32_e32 v29, v29, v33
	s_delay_alu instid0(VALU_DEP_1)
	v_and_b32_e32 v30, 1, v29
	v_lshlrev_b32_e32 v31, 30, v29
	v_lshlrev_b32_e32 v32, 29, v29
	;; [unrolled: 1-line block ×4, first 2 shown]
	v_add_co_u32 v30, s14, v30, -1
	s_wait_alu 0xf1ff
	v_cndmask_b32_e64 v35, 0, 1, s14
	v_not_b32_e32 v39, v31
	v_cmp_gt_i32_e64 s15, 0, v31
	v_not_b32_e32 v31, v32
	v_lshlrev_b32_e32 v37, 26, v29
	v_cmp_ne_u32_e64 s14, 0, v35
	v_ashrrev_i32_e32 v39, 31, v39
	v_lshlrev_b32_e32 v38, 25, v29
	v_ashrrev_i32_e32 v31, 31, v31
	v_lshlrev_b32_e32 v35, 24, v29
	s_wait_alu 0xf1ff
	v_xor_b32_e32 v30, s14, v30
	v_cmp_gt_i32_e64 s14, 0, v32
	v_not_b32_e32 v32, v34
	v_xor_b32_e32 v39, s15, v39
	v_cmp_gt_i32_e64 s15, 0, v34
	v_and_b32_e32 v30, exec_lo, v30
	v_not_b32_e32 v34, v36
	v_ashrrev_i32_e32 v32, 31, v32
	s_wait_alu 0xf1ff
	v_xor_b32_e32 v31, s14, v31
	v_cmp_gt_i32_e64 s14, 0, v36
	v_and_b32_e32 v30, v30, v39
	v_not_b32_e32 v36, v37
	v_ashrrev_i32_e32 v34, 31, v34
	v_xor_b32_e32 v32, s15, v32
	v_cmp_gt_i32_e64 s15, 0, v37
	v_and_b32_e32 v30, v30, v31
	v_not_b32_e32 v31, v38
	v_ashrrev_i32_e32 v36, 31, v36
	s_wait_alu 0xf1ff
	v_xor_b32_e32 v34, s14, v34
	v_cmp_gt_i32_e64 s14, 0, v38
	v_and_b32_e32 v30, v30, v32
	v_not_b32_e32 v32, v35
	v_ashrrev_i32_e32 v31, 31, v31
	v_xor_b32_e32 v36, s15, v36
	v_lshl_add_u32 v29, v29, 3, v69
	v_and_b32_e32 v30, v30, v34
	v_cmp_gt_i32_e64 s15, 0, v35
	v_ashrrev_i32_e32 v32, 31, v32
	s_wait_alu 0xf1ff
	v_xor_b32_e32 v31, s14, v31
	v_lshl_add_u32 v34, v29, 2, v12
	v_and_b32_e32 v30, v30, v36
	v_xor_b32_e32 v32, s15, v32
	ds_load_b32 v29, v34 offset:32
	v_and_b32_e32 v30, v30, v31
	v_add_nc_u32_e32 v31, 32, v34
	; wave barrier
	s_delay_alu instid0(VALU_DEP_2) | instskip(NEXT) | instid1(VALU_DEP_1)
	v_and_b32_e32 v32, v30, v32
	v_mbcnt_lo_u32_b32 v30, v32, 0
	v_cmp_ne_u32_e64 s15, 0, v32
	s_delay_alu instid0(VALU_DEP_2)
	v_cmp_eq_u32_e64 s14, 0, v30
	s_and_b32 s15, s15, s14
	s_wait_alu 0xfffe
	s_and_saveexec_b32 s14, s15
	s_cbranch_execz .LBB1019_102
; %bb.101:                              ;   in Loop: Header=BB1019_96 Depth=1
	s_wait_dscnt 0x0
	v_bcnt_u32_b32 v32, v32, v29
	ds_store_b32 v31, v32
.LBB1019_102:                           ;   in Loop: Header=BB1019_96 Depth=1
	s_wait_alu 0xfffe
	s_or_b32 exec_lo, exec_lo, s14
	v_lshrrev_b32_e32 v102, 16, v100
	; wave barrier
	s_delay_alu instid0(VALU_DEP_1) | instskip(NEXT) | instid1(VALU_DEP_1)
	v_lshrrev_b32_e32 v32, v10, v102
	v_and_b32_e32 v32, v32, v33
	s_delay_alu instid0(VALU_DEP_1)
	v_and_b32_e32 v33, 1, v32
	v_lshlrev_b32_e32 v34, 30, v32
	v_lshlrev_b32_e32 v35, 29, v32
	;; [unrolled: 1-line block ×4, first 2 shown]
	v_add_co_u32 v33, s14, v33, -1
	s_wait_alu 0xf1ff
	v_cndmask_b32_e64 v37, 0, 1, s14
	v_not_b32_e32 v49, v34
	v_cmp_gt_i32_e64 s15, 0, v34
	v_not_b32_e32 v34, v35
	v_lshlrev_b32_e32 v39, 26, v32
	v_cmp_ne_u32_e64 s14, 0, v37
	v_ashrrev_i32_e32 v49, 31, v49
	v_lshlrev_b32_e32 v48, 25, v32
	v_ashrrev_i32_e32 v34, 31, v34
	v_lshlrev_b32_e32 v37, 24, v32
	s_wait_alu 0xf1ff
	v_xor_b32_e32 v33, s14, v33
	v_cmp_gt_i32_e64 s14, 0, v35
	v_not_b32_e32 v35, v36
	v_xor_b32_e32 v49, s15, v49
	v_cmp_gt_i32_e64 s15, 0, v36
	v_and_b32_e32 v33, exec_lo, v33
	v_not_b32_e32 v36, v38
	v_ashrrev_i32_e32 v35, 31, v35
	s_wait_alu 0xf1ff
	v_xor_b32_e32 v34, s14, v34
	v_cmp_gt_i32_e64 s14, 0, v38
	v_and_b32_e32 v33, v33, v49
	v_not_b32_e32 v38, v39
	v_ashrrev_i32_e32 v36, 31, v36
	v_xor_b32_e32 v35, s15, v35
	v_cmp_gt_i32_e64 s15, 0, v39
	v_and_b32_e32 v33, v33, v34
	v_not_b32_e32 v34, v48
	v_ashrrev_i32_e32 v38, 31, v38
	s_wait_alu 0xf1ff
	v_xor_b32_e32 v36, s14, v36
	v_cmp_gt_i32_e64 s14, 0, v48
	v_and_b32_e32 v33, v33, v35
	v_not_b32_e32 v35, v37
	v_ashrrev_i32_e32 v34, 31, v34
	v_xor_b32_e32 v38, s15, v38
	v_lshl_add_u32 v32, v32, 3, v69
	v_and_b32_e32 v33, v33, v36
	v_cmp_gt_i32_e64 s15, 0, v37
	v_ashrrev_i32_e32 v35, 31, v35
	s_wait_alu 0xf1ff
	v_xor_b32_e32 v34, s14, v34
	v_lshl_add_u32 v36, v32, 2, v12
	v_and_b32_e32 v33, v33, v38
	v_xor_b32_e32 v35, s15, v35
	ds_load_b32 v32, v36 offset:32
	v_and_b32_e32 v33, v33, v34
	; wave barrier
	s_delay_alu instid0(VALU_DEP_1) | instskip(SKIP_1) | instid1(VALU_DEP_2)
	v_and_b32_e32 v34, v33, v35
	v_add_nc_u32_e32 v33, 32, v36
	v_mbcnt_lo_u32_b32 v35, v34, 0
	v_cmp_ne_u32_e64 s15, 0, v34
	s_delay_alu instid0(VALU_DEP_2)
	v_cmp_eq_u32_e64 s14, 0, v35
	s_and_b32 s15, s15, s14
	s_wait_alu 0xfffe
	s_and_saveexec_b32 s14, s15
	s_cbranch_execz .LBB1019_104
; %bb.103:                              ;   in Loop: Header=BB1019_96 Depth=1
	s_wait_dscnt 0x0
	v_bcnt_u32_b32 v34, v34, v32
	ds_store_b32 v33, v34
.LBB1019_104:                           ;   in Loop: Header=BB1019_96 Depth=1
	s_wait_alu 0xfffe
	s_or_b32 exec_lo, exec_lo, s14
	; wave barrier
	s_wait_loadcnt_dscnt 0x0
	s_barrier_signal -1
	s_barrier_wait -1
	global_inv scope:SCOPE_SE
	ds_load_b32 v36, v17
	ds_load_b32 v37, v54
	;; [unrolled: 1-line block ×8, first 2 shown]
	s_wait_dscnt 0x6
	v_add_nc_u32_e32 v51, v37, v36
	s_wait_dscnt 0x4
	s_delay_alu instid0(VALU_DEP_1) | instskip(SKIP_1) | instid1(VALU_DEP_1)
	v_add3_u32 v51, v51, v38, v39
	s_wait_dscnt 0x2
	v_add3_u32 v51, v51, v48, v49
	s_wait_dscnt 0x0
	s_delay_alu instid0(VALU_DEP_1) | instskip(NEXT) | instid1(VALU_DEP_1)
	v_add3_u32 v50, v51, v34, v50
	v_mov_b32_dpp v51, v50 row_shr:1 row_mask:0xf bank_mask:0xf
	s_delay_alu instid0(VALU_DEP_1) | instskip(NEXT) | instid1(VALU_DEP_1)
	v_cndmask_b32_e64 v51, v51, 0, vcc_lo
	v_add_nc_u32_e32 v50, v51, v50
	s_delay_alu instid0(VALU_DEP_1) | instskip(NEXT) | instid1(VALU_DEP_1)
	v_mov_b32_dpp v51, v50 row_shr:2 row_mask:0xf bank_mask:0xf
	v_cndmask_b32_e64 v51, 0, v51, s0
	s_delay_alu instid0(VALU_DEP_1) | instskip(NEXT) | instid1(VALU_DEP_1)
	v_add_nc_u32_e32 v50, v50, v51
	v_mov_b32_dpp v51, v50 row_shr:4 row_mask:0xf bank_mask:0xf
	s_delay_alu instid0(VALU_DEP_1) | instskip(NEXT) | instid1(VALU_DEP_1)
	v_cndmask_b32_e64 v51, 0, v51, s1
	v_add_nc_u32_e32 v50, v50, v51
	s_delay_alu instid0(VALU_DEP_1) | instskip(NEXT) | instid1(VALU_DEP_1)
	v_mov_b32_dpp v51, v50 row_shr:8 row_mask:0xf bank_mask:0xf
	v_cndmask_b32_e64 v51, 0, v51, s3
	s_delay_alu instid0(VALU_DEP_1) | instskip(SKIP_3) | instid1(VALU_DEP_1)
	v_add_nc_u32_e32 v50, v50, v51
	ds_swizzle_b32 v51, v50 offset:swizzle(BROADCAST,32,15)
	s_wait_dscnt 0x0
	v_cndmask_b32_e64 v51, v51, 0, s4
	v_add_nc_u32_e32 v50, v50, v51
	s_and_saveexec_b32 s14, s5
; %bb.105:                              ;   in Loop: Header=BB1019_96 Depth=1
	ds_store_b32 v71, v50
; %bb.106:                              ;   in Loop: Header=BB1019_96 Depth=1
	s_wait_alu 0xfffe
	s_or_b32 exec_lo, exec_lo, s14
	s_wait_loadcnt_dscnt 0x0
	s_barrier_signal -1
	s_barrier_wait -1
	global_inv scope:SCOPE_SE
	s_and_saveexec_b32 s14, s6
	s_cbranch_execz .LBB1019_108
; %bb.107:                              ;   in Loop: Header=BB1019_96 Depth=1
	ds_load_b32 v51, v81
	s_wait_dscnt 0x0
	v_mov_b32_dpp v52, v51 row_shr:1 row_mask:0xf bank_mask:0xf
	s_delay_alu instid0(VALU_DEP_1) | instskip(NEXT) | instid1(VALU_DEP_1)
	v_cndmask_b32_e64 v52, v52, 0, s11
	v_add_nc_u32_e32 v51, v52, v51
	s_delay_alu instid0(VALU_DEP_1) | instskip(NEXT) | instid1(VALU_DEP_1)
	v_mov_b32_dpp v52, v51 row_shr:2 row_mask:0xf bank_mask:0xf
	v_cndmask_b32_e64 v52, 0, v52, s12
	s_delay_alu instid0(VALU_DEP_1) | instskip(NEXT) | instid1(VALU_DEP_1)
	v_add_nc_u32_e32 v51, v51, v52
	v_mov_b32_dpp v52, v51 row_shr:4 row_mask:0xf bank_mask:0xf
	s_delay_alu instid0(VALU_DEP_1) | instskip(NEXT) | instid1(VALU_DEP_1)
	v_cndmask_b32_e64 v52, 0, v52, s13
	v_add_nc_u32_e32 v51, v51, v52
	ds_store_b32 v81, v51
.LBB1019_108:                           ;   in Loop: Header=BB1019_96 Depth=1
	s_wait_alu 0xfffe
	s_or_b32 exec_lo, exec_lo, s14
	v_mov_b32_e32 v51, 0
	s_wait_loadcnt_dscnt 0x0
	s_barrier_signal -1
	s_barrier_wait -1
	global_inv scope:SCOPE_SE
	s_and_saveexec_b32 s14, s7
; %bb.109:                              ;   in Loop: Header=BB1019_96 Depth=1
	ds_load_b32 v51, v83
; %bb.110:                              ;   in Loop: Header=BB1019_96 Depth=1
	s_wait_alu 0xfffe
	s_or_b32 exec_lo, exec_lo, s14
	s_wait_dscnt 0x0
	v_add_nc_u32_e32 v50, v51, v50
	v_add_nc_u32_e32 v10, 8, v10
	s_mov_b32 s20, -1
	v_mov_b32_e32 v103, v99
	ds_bpermute_b32 v50, v70, v50
	s_wait_dscnt 0x0
	v_cndmask_b32_e64 v50, v50, v51, s2
	s_delay_alu instid0(VALU_DEP_1) | instskip(NEXT) | instid1(VALU_DEP_1)
	v_cndmask_b32_e64 v50, v50, 0, s10
	v_add_nc_u32_e32 v36, v50, v36
	s_delay_alu instid0(VALU_DEP_1)
	v_add_nc_u32_e32 v37, v36, v37
	ds_store_b32 v17, v50
	ds_store_b32 v54, v36
	;; [unrolled: 1-line block ×3, first 2 shown]
	v_mov_b32_e32 v36, v5
	v_add_nc_u32_e32 v38, v37, v38
	s_delay_alu instid0(VALU_DEP_1) | instskip(NEXT) | instid1(VALU_DEP_1)
	v_add_nc_u32_e32 v39, v38, v39
	v_add_nc_u32_e32 v48, v39, v48
	s_delay_alu instid0(VALU_DEP_1) | instskip(NEXT) | instid1(VALU_DEP_1)
	v_add_nc_u32_e32 v49, v48, v49
	v_add_nc_u32_e32 v34, v49, v34
	ds_store_b32 v64, v38
	ds_store_b32 v65, v39
	;; [unrolled: 1-line block ×5, first 2 shown]
	s_wait_loadcnt_dscnt 0x0
	s_barrier_signal -1
	s_barrier_wait -1
	global_inv scope:SCOPE_SE
	ds_load_b32 v25, v25
	ds_load_b32 v28, v28
	ds_load_b32 v31, v31
	ds_load_b32 v39, v33
	v_mov_b32_e32 v38, v5
	v_mov_b32_e32 v34, v5
	s_wait_loadcnt_dscnt 0x0
	v_add_nc_u32_e32 v37, v25, v4
	v_add3_u32 v4, v27, v26, v28
	v_add3_u32 v33, v30, v29, v31
	;; [unrolled: 1-line block ×3, first 2 shown]
	s_delay_alu instid0(VALU_DEP_4) | instskip(NEXT) | instid1(VALU_DEP_4)
	v_lshlrev_b64_e32 v[25:26], 1, v[37:38]
	v_lshlrev_b64_e32 v[27:28], 1, v[4:5]
	s_delay_alu instid0(VALU_DEP_4) | instskip(NEXT) | instid1(VALU_DEP_4)
	v_lshlrev_b64_e32 v[29:30], 1, v[33:34]
	v_lshlrev_b64_e32 v[31:32], 1, v[35:36]
                                        ; implicit-def: $vgpr34
	s_delay_alu instid0(VALU_DEP_4)
	v_add_co_u32 v52, s15, v12, v25
	s_wait_alu 0xf1ff
	v_add_co_ci_u32_e64 v53, null, v13, v26, s15
	v_add_co_u32 v38, s15, v12, v27
	s_wait_alu 0xf1ff
	v_add_co_ci_u32_e64 v39, null, v13, v28, s15
	v_add_co_u32 v48, s15, v12, v29
	v_mad_co_u64_u32 v[36:37], null, v37, 6, v[52:53]
	s_wait_alu 0xf1ff
	v_add_co_ci_u32_e64 v49, null, v13, v30, s15
	v_add_co_u32 v50, s15, v12, v31
	s_wait_alu 0xf1ff
	v_add_co_ci_u32_e64 v51, null, v13, v32, s15
	s_mov_b32 s15, exec_lo
                                        ; implicit-def: $vgpr27_vgpr28
                                        ; implicit-def: $vgpr29_vgpr30
                                        ; implicit-def: $vgpr31_vgpr32
                                        ; implicit-def: $vgpr25_vgpr26
	v_cmpx_lt_u32_e64 v10, v11
	s_cbranch_execz .LBB1019_95
; %bb.111:                              ;   in Loop: Header=BB1019_96 Depth=1
	s_barrier_signal -1
	s_barrier_wait -1
	global_inv scope:SCOPE_SE
	ds_store_b16 v52, v99
	ds_store_b16 v38, v101
	;; [unrolled: 1-line block ×4, first 2 shown]
	s_wait_loadcnt_dscnt 0x0
	s_barrier_signal -1
	s_barrier_wait -1
	global_inv scope:SCOPE_SE
	ds_load_u16 v99, v80
	ds_load_u16 v34, v85
	v_mad_co_u64_u32 v[25:26], null, v4, 6, v[38:39]
	v_mad_co_u64_u32 v[26:27], null, v33, 6, v[48:49]
	;; [unrolled: 1-line block ×3, first 2 shown]
	v_add_nc_u32_e32 v98, -8, v98
	s_xor_b32 s20, exec_lo, -1
	s_wait_dscnt 0x1
	ds_load_u16_d16_hi v99, v84
	s_wait_dscnt 0x1
	ds_load_u16_d16_hi v34, v86
	s_wait_loadcnt_dscnt 0x0
	s_barrier_signal -1
	s_barrier_wait -1
	global_inv scope:SCOPE_SE
	ds_store_b64 v36, v[21:22]
	ds_store_b64 v25, v[14:15]
	;; [unrolled: 1-line block ×4, first 2 shown]
	s_wait_loadcnt_dscnt 0x0
	s_barrier_signal -1
	s_barrier_wait -1
	global_inv scope:SCOPE_SE
	ds_load_b64 v[27:28], v82
	ds_load_b64 v[29:30], v87
	;; [unrolled: 1-line block ×4, first 2 shown]
	s_wait_loadcnt_dscnt 0x0
	s_barrier_signal -1
	s_barrier_wait -1
	global_inv scope:SCOPE_SE
	s_branch .LBB1019_95
.LBB1019_112:
	flat_load_b64 v[34:35], v[4:5]
	s_wait_alu 0xfffe
	s_or_b32 exec_lo, exec_lo, s7
                                        ; implicit-def: $vgpr38_vgpr39
	s_and_saveexec_b32 s7, s0
	s_cbranch_execz .LBB1019_20
.LBB1019_113:
	flat_load_b64 v[38:39], v[4:5] offset:256
	s_wait_alu 0xfffe
	s_or_b32 exec_lo, exec_lo, s7
                                        ; implicit-def: $vgpr48_vgpr49
	s_and_saveexec_b32 s0, s1
	s_cbranch_execz .LBB1019_21
.LBB1019_114:
	flat_load_b64 v[48:49], v[4:5] offset:512
	s_wait_alu 0xfffe
	s_or_b32 exec_lo, exec_lo, s0
                                        ; implicit-def: $vgpr50_vgpr51
	s_and_saveexec_b32 s0, s2
	s_cbranch_execz .LBB1019_22
.LBB1019_115:
	flat_load_b64 v[50:51], v[4:5] offset:768
	s_wait_alu 0xfffe
	s_or_b32 exec_lo, exec_lo, s0
                                        ; implicit-def: $vgpr52_vgpr53
	s_and_saveexec_b32 s0, s3
	s_cbranch_execz .LBB1019_23
.LBB1019_116:
	flat_load_b64 v[52:53], v[4:5] offset:1024
	s_wait_alu 0xfffe
	s_or_b32 exec_lo, exec_lo, s0
                                        ; implicit-def: $vgpr54_vgpr55
	s_and_saveexec_b32 s0, s4
	s_cbranch_execz .LBB1019_24
.LBB1019_117:
	flat_load_b64 v[54:55], v[4:5] offset:1280
	s_wait_alu 0xfffe
	s_or_b32 exec_lo, exec_lo, s0
                                        ; implicit-def: $vgpr64_vgpr65
	s_and_saveexec_b32 s0, s5
	s_cbranch_execz .LBB1019_25
.LBB1019_118:
	flat_load_b64 v[64:65], v[4:5] offset:1536
	s_wait_alu 0xfffe
	s_or_b32 exec_lo, exec_lo, s0
                                        ; implicit-def: $vgpr36_vgpr37
	s_and_saveexec_b32 s0, s6
	s_cbranch_execnz .LBB1019_26
	s_branch .LBB1019_27
.LBB1019_119:
	flat_store_b64 v[0:1], v[20:21]
	s_wait_alu 0xfffe
	s_or_b32 exec_lo, exec_lo, s7
	s_and_saveexec_b32 s7, s0
	s_cbranch_execz .LBB1019_71
.LBB1019_120:
	flat_store_b64 v[0:1], v[22:23] offset:2048
	s_wait_alu 0xfffe
	s_or_b32 exec_lo, exec_lo, s7
	s_and_saveexec_b32 s0, s1
	s_cbranch_execz .LBB1019_72
.LBB1019_121:
	flat_store_b64 v[0:1], v[16:17] offset:4096
	s_wait_alu 0xfffe
	s_or_b32 exec_lo, exec_lo, s0
	s_and_saveexec_b32 s0, s2
	s_cbranch_execz .LBB1019_73
.LBB1019_122:
	flat_store_b64 v[0:1], v[18:19] offset:6144
	s_wait_alu 0xfffe
	s_or_b32 exec_lo, exec_lo, s0
	s_and_saveexec_b32 s0, s3
	s_cbranch_execz .LBB1019_74
.LBB1019_123:
	flat_store_b64 v[0:1], v[12:13] offset:8192
	s_wait_alu 0xfffe
	s_or_b32 exec_lo, exec_lo, s0
	s_and_saveexec_b32 s0, s4
	s_cbranch_execz .LBB1019_75
.LBB1019_124:
	flat_store_b64 v[0:1], v[14:15] offset:10240
	s_wait_alu 0xfffe
	s_or_b32 exec_lo, exec_lo, s0
	s_and_saveexec_b32 s0, s5
	s_cbranch_execz .LBB1019_76
.LBB1019_125:
	flat_store_b64 v[0:1], v[8:9] offset:12288
	s_wait_alu 0xfffe
	s_or_b32 exec_lo, exec_lo, s0
	s_and_saveexec_b32 s0, s6
	s_cbranch_execnz .LBB1019_77
	s_branch .LBB1019_78
.LBB1019_126:
	s_or_b32 exec_lo, exec_lo, s19
	v_lshl_add_u32 v17, v18, 1, v12
	v_mad_co_u64_u32 v[10:11], null, v4, 6, v[38:39]
	v_mul_u32_u24_e32 v4, 6, v18
	v_mad_co_u64_u32 v[11:12], null, v33, 6, v[48:49]
	v_mad_co_u64_u32 v[12:13], null, v35, 6, v[50:51]
	s_delay_alu instid0(VALU_DEP_3)
	v_add_nc_u32_e32 v4, v17, v4
	s_barrier_signal -1
	s_barrier_wait -1
	s_wait_loadcnt 0x0
	global_inv scope:SCOPE_SE
	ds_store_b16 v52, v103
	ds_store_b16 v38, v101
	;; [unrolled: 1-line block ×4, first 2 shown]
	s_wait_loadcnt_dscnt 0x0
	s_barrier_signal -1
	s_barrier_wait -1
	global_inv scope:SCOPE_SE
	ds_load_u16 v27, v17
	ds_load_u16 v26, v17 offset:512
	ds_load_u16 v25, v17 offset:1024
	;; [unrolled: 1-line block ×3, first 2 shown]
	s_wait_loadcnt_dscnt 0x0
	s_barrier_signal -1
	s_barrier_wait -1
	global_inv scope:SCOPE_SE
	ds_store_b64 v36, v[21:22]
	ds_store_b64 v10, v[14:15]
	;; [unrolled: 1-line block ×4, first 2 shown]
	s_wait_loadcnt_dscnt 0x0
	s_barrier_signal -1
	s_barrier_wait -1
	global_inv scope:SCOPE_SE
	v_mov_b32_e32 v17, 0
	ds_load_2addr_stride64_b64 v[12:15], v4 offset1:4
	ds_load_2addr_stride64_b64 v[8:11], v4 offset0:8 offset1:12
	v_add_co_u32 v2, vcc_lo, v2, v19
	s_wait_alu 0xfffd
	v_add_co_ci_u32_e64 v3, null, v3, v20, vcc_lo
	v_lshlrev_b64_e32 v[21:22], 1, v[16:17]
	s_wait_loadcnt_dscnt 0x0
	s_barrier_signal -1
	s_barrier_wait -1
	global_inv scope:SCOPE_SE
	v_add_co_u32 v2, vcc_lo, v2, v21
	s_wait_alu 0xfffd
	v_add_co_ci_u32_e64 v3, null, v3, v22, vcc_lo
	v_cmp_lt_u32_e32 vcc_lo, v16, v128
	s_and_saveexec_b32 s0, vcc_lo
	s_cbranch_execz .LBB1019_128
; %bb.127:
	v_xor_b32_e32 v4, 0xffff8000, v27
	flat_store_b16 v[2:3], v4
.LBB1019_128:
	s_wait_alu 0xfffe
	s_or_b32 exec_lo, exec_lo, s0
	v_add_nc_u32_e32 v4, 0x100, v16
	s_delay_alu instid0(VALU_DEP_1)
	v_cmp_lt_u32_e64 s0, v4, v128
	s_and_saveexec_b32 s1, s0
	s_cbranch_execz .LBB1019_130
; %bb.129:
	v_xor_b32_e32 v4, 0xffff8000, v26
	flat_store_b16 v[2:3], v4 offset:512
.LBB1019_130:
	s_wait_alu 0xfffe
	s_or_b32 exec_lo, exec_lo, s1
	v_add_nc_u32_e32 v4, 0x200, v16
	s_delay_alu instid0(VALU_DEP_1)
	v_cmp_lt_u32_e64 s1, v4, v128
	s_and_saveexec_b32 s2, s1
	s_cbranch_execz .LBB1019_132
; %bb.131:
	v_xor_b32_e32 v4, 0xffff8000, v25
	flat_store_b16 v[2:3], v4 offset:1024
.LBB1019_132:
	;; [unrolled: 11-line block ×3, first 2 shown]
	s_wait_alu 0xfffe
	s_or_b32 exec_lo, exec_lo, s3
	v_lshlrev_b64_e32 v[2:3], 3, v[16:17]
	v_add_co_u32 v0, s3, v6, v0
	s_wait_alu 0xf1ff
	v_add_co_ci_u32_e64 v1, null, v7, v1, s3
	s_delay_alu instid0(VALU_DEP_2) | instskip(SKIP_1) | instid1(VALU_DEP_2)
	v_add_co_u32 v0, s3, v0, v2
	s_wait_alu 0xf1ff
	v_add_co_ci_u32_e64 v1, null, v1, v3, s3
	s_and_saveexec_b32 s3, vcc_lo
	s_cbranch_execnz .LBB1019_167
; %bb.135:
	s_wait_alu 0xfffe
	s_or_b32 exec_lo, exec_lo, s3
	s_and_saveexec_b32 s3, s0
	s_cbranch_execnz .LBB1019_168
.LBB1019_136:
	s_wait_alu 0xfffe
	s_or_b32 exec_lo, exec_lo, s3
	s_and_saveexec_b32 s0, s1
	s_cbranch_execnz .LBB1019_169
.LBB1019_137:
	s_wait_alu 0xfffe
	s_or_b32 exec_lo, exec_lo, s0
	s_and_saveexec_b32 s0, s2
	s_cbranch_execz .LBB1019_139
.LBB1019_138:
	flat_store_b64 v[0:1], v[10:11] offset:6144
.LBB1019_139:
	s_wait_alu 0xfffe
	s_or_b32 exec_lo, exec_lo, s0
                                        ; implicit-def: $vgpr128
                                        ; implicit-def: $vgpr0
                                        ; implicit-def: $vgpr1
                                        ; implicit-def: $vgpr2
                                        ; implicit-def: $vgpr3
                                        ; implicit-def: $vgpr4
                                        ; implicit-def: $vgpr5
                                        ; implicit-def: $vgpr6
                                        ; implicit-def: $vgpr7
                                        ; implicit-def: $vgpr8
                                        ; implicit-def: $vgpr10
                                        ; implicit-def: $vgpr11
                                        ; implicit-def: $vgpr12
                                        ; implicit-def: $vgpr13
                                        ; implicit-def: $vgpr9
                                        ; implicit-def: $vgpr14
                                        ; implicit-def: $vgpr18
                                        ; implicit-def: $vgpr33
.LBB1019_140:
	s_wait_alu 0xfffe
	s_and_not1_saveexec_b32 s0, s17
	s_cbranch_execz .LBB1019_199
; %bb.141:
	s_load_b64 s[0:1], s[8:9], 0x0
	s_and_b32 s2, ttmp7, 0xffff
	s_mov_b32 s3, 0
	s_wait_kmcnt 0x0
	s_wait_alu 0xfffe
	s_cmp_lt_u32 s2, s1
	s_cselect_b32 s2, 14, 20
	s_cmp_lt_u32 ttmp9, s0
	s_wait_alu 0xfffe
	s_add_nc_u64 s[4:5], s[8:9], s[2:3]
	s_cselect_b32 s2, 12, 18
	s_load_u16 s4, s[4:5], 0x0
	s_add_nc_u64 s[0:1], s[8:9], s[2:3]
	s_load_u16 s0, s[0:1], 0x0
	s_wait_kmcnt 0x0
	v_mad_u32_u24 v14, v14, s4, v9
	v_mov_b32_e32 v9, 0
	s_delay_alu instid0(VALU_DEP_2) | instskip(NEXT) | instid1(VALU_DEP_2)
	v_mad_co_u64_u32 v[14:15], null, v14, s0, v[18:19]
	v_lshlrev_b64_e32 v[16:17], 1, v[8:9]
	s_mov_b32 s0, exec_lo
	v_cmpx_lt_u32_e32 0x100, v128
	s_wait_alu 0xfffe
	s_xor_b32 s14, exec_lo, s0
	s_cbranch_execz .LBB1019_179
; %bb.142:
	s_delay_alu instid0(VALU_DEP_3) | instskip(SKIP_1) | instid1(VALU_DEP_2)
	v_dual_mov_b32 v20, v9 :: v_dual_lshlrev_b32 v15, 1, v14
	v_lshlrev_b32_e32 v21, 1, v33
	v_and_b32_e32 v19, 0xffffffc0, v15
	v_add_co_u32 v15, vcc_lo, v0, v16
	s_wait_alu 0xfffd
	v_add_co_ci_u32_e64 v22, null, v1, v17, vcc_lo
	s_delay_alu instid0(VALU_DEP_3) | instskip(NEXT) | instid1(VALU_DEP_3)
	v_lshlrev_b64_e32 v[0:1], 1, v[19:20]
	v_add_co_u32 v15, vcc_lo, v15, v21
	s_wait_alu 0xfffd
	s_delay_alu instid0(VALU_DEP_3) | instskip(SKIP_1) | instid1(VALU_DEP_3)
	v_add_co_ci_u32_e64 v22, null, 0, v22, vcc_lo
	v_or_b32_e32 v21, v33, v19
	v_add_co_u32 v0, vcc_lo, v15, v0
	s_wait_alu 0xfffd
	s_delay_alu instid0(VALU_DEP_3) | instskip(NEXT) | instid1(VALU_DEP_3)
	v_add_co_ci_u32_e64 v1, null, v22, v1, vcc_lo
	v_cmp_lt_u32_e32 vcc_lo, v21, v128
	v_mov_b32_e32 v15, 0x7fff7fff
	s_and_saveexec_b32 s0, vcc_lo
	s_cbranch_execz .LBB1019_144
; %bb.143:
	v_mov_b32_e32 v15, 0x7fff0000
	flat_load_d16_b16 v15, v[0:1]
.LBB1019_144:
	s_wait_alu 0xfffe
	s_or_b32 exec_lo, exec_lo, s0
	v_or_b32_e32 v21, 32, v21
	s_delay_alu instid0(VALU_DEP_1)
	v_cmp_lt_u32_e64 s0, v21, v128
	s_and_saveexec_b32 s1, s0
	s_cbranch_execz .LBB1019_146
; %bb.145:
	s_wait_loadcnt_dscnt 0x0
	flat_load_d16_hi_b16 v15, v[0:1] offset:64
.LBB1019_146:
	s_wait_alu 0xfffe
	s_or_b32 exec_lo, exec_lo, s1
	v_lshlrev_b64_e32 v[0:1], 3, v[8:9]
	v_lshlrev_b32_e32 v21, 3, v33
	v_lshlrev_b64_e32 v[8:9], 3, v[19:20]
	v_mov_b32_e32 v23, 0
	v_mov_b32_e32 v24, 0
	v_add_co_u32 v4, s1, v4, v0
	s_wait_alu 0xf1ff
	v_add_co_ci_u32_e64 v5, null, v5, v1, s1
	s_delay_alu instid0(VALU_DEP_2) | instskip(SKIP_1) | instid1(VALU_DEP_2)
	v_add_co_u32 v4, s1, v4, v21
	s_wait_alu 0xf1ff
	v_add_co_ci_u32_e64 v5, null, 0, v5, s1
	v_mov_b32_e32 v21, 0
	s_delay_alu instid0(VALU_DEP_3)
	v_add_co_u32 v4, s1, v4, v8
	v_mov_b32_e32 v22, 0
	s_wait_alu 0xf1ff
	v_add_co_ci_u32_e64 v5, null, v5, v9, s1
	s_and_saveexec_b32 s1, vcc_lo
	s_cbranch_execz .LBB1019_148
; %bb.147:
	flat_load_b64 v[21:22], v[4:5]
.LBB1019_148:
	s_wait_alu 0xfffe
	s_or_b32 exec_lo, exec_lo, s1
	s_and_saveexec_b32 s1, s0
	s_cbranch_execz .LBB1019_150
; %bb.149:
	flat_load_b64 v[23:24], v[4:5] offset:256
.LBB1019_150:
	s_wait_alu 0xfffe
	s_or_b32 exec_lo, exec_lo, s1
	v_lshl_add_u32 v4, v18, 5, v12
	v_and_b32_e32 v5, 0x3e0, v18
	s_wait_loadcnt_dscnt 0x0
	v_xor_b32_e32 v37, 0x80008000, v15
	v_sub_co_u32 v9, s2, v33, 1
	v_add_nc_u32_e32 v15, 32, v4
	v_add_nc_u32_e32 v32, 36, v4
	;; [unrolled: 1-line block ×8, first 2 shown]
	v_min_u32_e32 v4, 0xe0, v5
	v_and_b32_e32 v8, 15, v33
	v_and_b32_e32 v5, 16, v33
	v_cmp_gt_i32_e64 s6, 0, v9
	s_getpc_b64 s[0:1]
	s_wait_alu 0xfffe
	s_sext_i32_i16 s1, s1
	s_add_co_u32 s0, s0, _ZN7rocprim17ROCPRIM_400000_NS16block_radix_sortIsLj256ELj2ElLj1ELj1ELj8ELNS0_26block_radix_rank_algorithmE2ELNS0_18block_padding_hintE2ELNS0_4arch9wavefront6targetE0EE19radix_bits_per_passE@rel32@lo+12
	s_wait_alu 0xfffe
	s_add_co_ci_u32 s1, s1, _ZN7rocprim17ROCPRIM_400000_NS16block_radix_sortIsLj256ELj2ElLj1ELj1ELj8ELNS0_26block_radix_rank_algorithmE2ELNS0_18block_padding_hintE2ELNS0_4arch9wavefront6targetE0EE19radix_bits_per_passE@rel32@hi+24
	v_or_b32_e32 v4, 31, v4
	s_load_b32 s15, s[0:1], 0x0
	v_cmp_eq_u32_e32 vcc_lo, 0, v8
	v_cmp_lt_u32_e64 s0, 1, v8
	v_cmp_lt_u32_e64 s1, 3, v8
	v_cmp_eq_u32_e64 s5, v18, v4
	v_lshlrev_b32_e32 v4, 1, v18
	v_cmp_lt_u32_e64 s3, 7, v8
	v_cmp_eq_u32_e64 s4, 0, v5
	v_cndmask_b32_e64 v5, v9, v33, s6
	v_lshrrev_b32_e32 v8, 3, v18
	v_and_or_b32 v4, 0x7c0, v4, v33
	v_lshrrev_b32_e32 v49, 5, v14
	v_cmp_gt_u32_e64 s6, 8, v18
	v_lshlrev_b32_e32 v50, 2, v5
	v_and_b32_e32 v5, 0x7c, v8
	v_and_b32_e32 v8, 7, v33
	v_lshl_add_u32 v33, v4, 1, v12
	v_mul_u32_u24_e32 v4, 6, v4
	v_cmp_lt_u32_e64 s7, 31, v18
	v_add_nc_u32_e32 v51, v12, v5
	v_cmp_eq_u32_e64 s8, 0, v18
	v_mov_b32_e32 v5, 0
	v_add_nc_u32_e32 v53, v33, v4
	v_lshl_add_u32 v52, v18, 2, v12
	v_cmp_eq_u32_e64 s9, 0, v8
	v_cmp_lt_u32_e64 s10, 1, v8
	v_cmp_lt_u32_e64 s11, 3, v8
	v_add_nc_u32_e32 v54, -4, v51
	v_add_nc_u32_e32 v55, 64, v33
	v_add_nc_u32_e32 v64, 0x100, v53
	v_sub_nc_u32_e32 v65, v11, v10
	s_mov_b32 s17, 0
	s_wait_storecnt 0x0
	s_barrier_signal -1
	s_barrier_wait -1
	global_inv scope:SCOPE_SE
	s_branch .LBB1019_152
.LBB1019_151:                           ;   in Loop: Header=BB1019_152 Depth=1
	s_wait_alu 0xfffe
	s_or_b32 exec_lo, exec_lo, s13
	s_delay_alu instid0(SALU_CYCLE_1)
	s_and_b32 s12, exec_lo, s18
	s_wait_alu 0xfffe
	s_or_b32 s17, s12, s17
	s_wait_alu 0xfffe
	s_and_not1_b32 exec_lo, exec_lo, s17
	s_cbranch_execz .LBB1019_170
.LBB1019_152:                           ; =>This Inner Loop Header: Depth=1
	s_wait_kmcnt 0x0
	v_min_u32_e32 v4, s15, v65
	v_and_b32_e32 v8, 0xffff, v37
	ds_store_b32 v15, v5
	ds_store_b32 v32, v5
	;; [unrolled: 1-line block ×6, first 2 shown]
	v_lshlrev_b32_e64 v4, v4, -1
	v_lshrrev_b32_e32 v8, v10, v8
	ds_store_b32 v39, v5
	ds_store_b32 v48, v5
	s_wait_loadcnt_dscnt 0x0
	s_barrier_signal -1
	v_not_b32_e32 v25, v4
	s_barrier_wait -1
	global_inv scope:SCOPE_SE
	; wave barrier
	v_and_b32_e32 v4, v8, v25
	v_dual_mov_b32 v8, v23 :: v_dual_mov_b32 v9, v24
	s_delay_alu instid0(VALU_DEP_2)
	v_and_b32_e32 v19, 1, v4
	v_lshlrev_b32_e32 v20, 30, v4
	v_lshlrev_b32_e32 v23, 29, v4
	;; [unrolled: 1-line block ×4, first 2 shown]
	v_add_co_u32 v19, s12, v19, -1
	s_wait_alu 0xf1ff
	v_cndmask_b32_e64 v26, 0, 1, s12
	v_not_b32_e32 v30, v20
	v_cmp_gt_i32_e64 s13, 0, v20
	v_not_b32_e32 v20, v23
	v_lshlrev_b32_e32 v28, 26, v4
	v_cmp_ne_u32_e64 s12, 0, v26
	v_ashrrev_i32_e32 v30, 31, v30
	v_lshlrev_b32_e32 v29, 25, v4
	v_ashrrev_i32_e32 v20, 31, v20
	s_wait_alu 0xf1ff
	v_xor_b32_e32 v19, s12, v19
	v_cmp_gt_i32_e64 s12, 0, v23
	v_not_b32_e32 v23, v24
	v_xor_b32_e32 v30, s13, v30
	v_cmp_gt_i32_e64 s13, 0, v24
	v_and_b32_e32 v19, exec_lo, v19
	v_not_b32_e32 v24, v27
	v_ashrrev_i32_e32 v23, 31, v23
	s_wait_alu 0xf1ff
	v_xor_b32_e32 v20, s12, v20
	v_cmp_gt_i32_e64 s12, 0, v27
	v_and_b32_e32 v19, v19, v30
	v_ashrrev_i32_e32 v24, 31, v24
	v_xor_b32_e32 v23, s13, v23
	v_not_b32_e32 v27, v28
	v_cmp_gt_i32_e64 s13, 0, v28
	v_and_b32_e32 v19, v19, v20
	v_not_b32_e32 v20, v29
	s_wait_alu 0xf1ff
	v_xor_b32_e32 v24, s12, v24
	v_ashrrev_i32_e32 v27, 31, v27
	v_cmp_gt_i32_e64 s12, 0, v29
	v_and_b32_e32 v19, v19, v23
	v_ashrrev_i32_e32 v28, 31, v20
	s_delay_alu instid0(VALU_DEP_4) | instskip(NEXT) | instid1(VALU_DEP_3)
	v_xor_b32_e32 v27, s13, v27
	v_dual_mov_b32 v19, v21 :: v_dual_and_b32 v24, v19, v24
	v_lshlrev_b32_e32 v26, 24, v4
	v_mov_b32_e32 v20, v22
	s_wait_alu 0xf1ff
	v_xor_b32_e32 v22, s12, v28
	v_lshlrev_b32_e32 v4, 3, v4
	v_not_b32_e32 v23, v26
	v_cmp_gt_i32_e64 s13, 0, v26
	s_delay_alu instid0(VALU_DEP_2) | instskip(SKIP_2) | instid1(VALU_DEP_2)
	v_ashrrev_i32_e32 v21, 31, v23
	v_and_b32_e32 v23, v24, v27
	s_wait_alu 0xf1ff
	v_xor_b32_e32 v21, s13, v21
	s_delay_alu instid0(VALU_DEP_2) | instskip(NEXT) | instid1(VALU_DEP_1)
	v_and_b32_e32 v22, v23, v22
	v_and_b32_e32 v22, v22, v21
	v_add_lshl_u32 v21, v4, v49, 2
	s_delay_alu instid0(VALU_DEP_2) | instskip(NEXT) | instid1(VALU_DEP_2)
	v_mbcnt_lo_u32_b32 v4, v22, 0
	v_add_co_u32 v21, null, v12, v21
	v_cmp_ne_u32_e64 s13, 0, v22
	s_delay_alu instid0(VALU_DEP_3) | instskip(NEXT) | instid1(VALU_DEP_3)
	v_cmp_eq_u32_e64 s12, 0, v4
	v_add_co_u32 v21, null, v21, 32
	s_and_b32 s13, s13, s12
	s_wait_alu 0xfffe
	s_and_saveexec_b32 s12, s13
; %bb.153:                              ;   in Loop: Header=BB1019_152 Depth=1
	v_bcnt_u32_b32 v22, v22, 0
	ds_store_b32 v21, v22
; %bb.154:                              ;   in Loop: Header=BB1019_152 Depth=1
	s_wait_alu 0xfffe
	s_or_b32 exec_lo, exec_lo, s12
	v_lshrrev_b32_e32 v66, 16, v37
	; wave barrier
	s_delay_alu instid0(VALU_DEP_1) | instskip(NEXT) | instid1(VALU_DEP_1)
	v_lshrrev_b32_e32 v22, v10, v66
	v_and_b32_e32 v22, v22, v25
	s_delay_alu instid0(VALU_DEP_1)
	v_and_b32_e32 v23, 1, v22
	v_lshlrev_b32_e32 v24, 30, v22
	v_lshlrev_b32_e32 v25, 29, v22
	v_lshlrev_b32_e32 v26, 28, v22
	v_lshlrev_b32_e32 v28, 27, v22
	v_add_co_u32 v23, s12, v23, -1
	s_wait_alu 0xf1ff
	v_cndmask_b32_e64 v27, 0, 1, s12
	v_not_b32_e32 v31, v24
	v_cmp_gt_i32_e64 s13, 0, v24
	v_not_b32_e32 v24, v25
	v_lshlrev_b32_e32 v29, 26, v22
	v_cmp_ne_u32_e64 s12, 0, v27
	v_ashrrev_i32_e32 v31, 31, v31
	v_lshlrev_b32_e32 v30, 25, v22
	v_ashrrev_i32_e32 v24, 31, v24
	v_lshlrev_b32_e32 v27, 24, v22
	s_wait_alu 0xf1ff
	v_xor_b32_e32 v23, s12, v23
	v_cmp_gt_i32_e64 s12, 0, v25
	v_not_b32_e32 v25, v26
	v_xor_b32_e32 v31, s13, v31
	v_cmp_gt_i32_e64 s13, 0, v26
	v_and_b32_e32 v23, exec_lo, v23
	v_not_b32_e32 v26, v28
	v_ashrrev_i32_e32 v25, 31, v25
	s_wait_alu 0xf1ff
	v_xor_b32_e32 v24, s12, v24
	v_cmp_gt_i32_e64 s12, 0, v28
	v_and_b32_e32 v23, v23, v31
	v_not_b32_e32 v28, v29
	v_ashrrev_i32_e32 v26, 31, v26
	v_xor_b32_e32 v25, s13, v25
	v_cmp_gt_i32_e64 s13, 0, v29
	v_and_b32_e32 v23, v23, v24
	v_not_b32_e32 v24, v30
	v_ashrrev_i32_e32 v28, 31, v28
	s_wait_alu 0xf1ff
	v_xor_b32_e32 v26, s12, v26
	v_cmp_gt_i32_e64 s12, 0, v30
	v_and_b32_e32 v23, v23, v25
	v_not_b32_e32 v25, v27
	v_ashrrev_i32_e32 v24, 31, v24
	v_xor_b32_e32 v28, s13, v28
	v_lshl_add_u32 v22, v22, 3, v49
	v_and_b32_e32 v23, v23, v26
	v_cmp_gt_i32_e64 s13, 0, v27
	v_ashrrev_i32_e32 v25, 31, v25
	s_wait_alu 0xf1ff
	v_xor_b32_e32 v24, s12, v24
	v_lshl_add_u32 v26, v22, 2, v12
	v_and_b32_e32 v23, v23, v28
	v_xor_b32_e32 v25, s13, v25
	ds_load_b32 v22, v26 offset:32
	v_and_b32_e32 v23, v23, v24
	v_add_nc_u32_e32 v24, 32, v26
	; wave barrier
	s_delay_alu instid0(VALU_DEP_2) | instskip(NEXT) | instid1(VALU_DEP_1)
	v_and_b32_e32 v25, v23, v25
	v_mbcnt_lo_u32_b32 v23, v25, 0
	v_cmp_ne_u32_e64 s13, 0, v25
	s_delay_alu instid0(VALU_DEP_2)
	v_cmp_eq_u32_e64 s12, 0, v23
	s_and_b32 s13, s13, s12
	s_wait_alu 0xfffe
	s_and_saveexec_b32 s12, s13
	s_cbranch_execz .LBB1019_156
; %bb.155:                              ;   in Loop: Header=BB1019_152 Depth=1
	s_wait_dscnt 0x0
	v_bcnt_u32_b32 v25, v25, v22
	ds_store_b32 v24, v25
.LBB1019_156:                           ;   in Loop: Header=BB1019_152 Depth=1
	s_wait_alu 0xfffe
	s_or_b32 exec_lo, exec_lo, s12
	; wave barrier
	s_wait_loadcnt_dscnt 0x0
	s_barrier_signal -1
	s_barrier_wait -1
	global_inv scope:SCOPE_SE
	ds_load_b32 v26, v15
	ds_load_b32 v27, v32
	ds_load_b32 v28, v34
	ds_load_b32 v29, v35
	ds_load_b32 v30, v36
	ds_load_b32 v31, v38
	ds_load_b32 v25, v39
	ds_load_b32 v67, v48
	s_wait_dscnt 0x6
	v_add_nc_u32_e32 v68, v27, v26
	s_wait_dscnt 0x4
	s_delay_alu instid0(VALU_DEP_1) | instskip(SKIP_1) | instid1(VALU_DEP_1)
	v_add3_u32 v68, v68, v28, v29
	s_wait_dscnt 0x2
	v_add3_u32 v68, v68, v30, v31
	s_wait_dscnt 0x0
	s_delay_alu instid0(VALU_DEP_1) | instskip(NEXT) | instid1(VALU_DEP_1)
	v_add3_u32 v67, v68, v25, v67
	v_mov_b32_dpp v68, v67 row_shr:1 row_mask:0xf bank_mask:0xf
	s_wait_alu 0xfffd
	s_delay_alu instid0(VALU_DEP_1) | instskip(NEXT) | instid1(VALU_DEP_1)
	v_cndmask_b32_e64 v68, v68, 0, vcc_lo
	v_add_nc_u32_e32 v67, v68, v67
	s_delay_alu instid0(VALU_DEP_1) | instskip(NEXT) | instid1(VALU_DEP_1)
	v_mov_b32_dpp v68, v67 row_shr:2 row_mask:0xf bank_mask:0xf
	v_cndmask_b32_e64 v68, 0, v68, s0
	s_delay_alu instid0(VALU_DEP_1) | instskip(NEXT) | instid1(VALU_DEP_1)
	v_add_nc_u32_e32 v67, v67, v68
	v_mov_b32_dpp v68, v67 row_shr:4 row_mask:0xf bank_mask:0xf
	s_delay_alu instid0(VALU_DEP_1) | instskip(NEXT) | instid1(VALU_DEP_1)
	v_cndmask_b32_e64 v68, 0, v68, s1
	v_add_nc_u32_e32 v67, v67, v68
	s_delay_alu instid0(VALU_DEP_1) | instskip(NEXT) | instid1(VALU_DEP_1)
	v_mov_b32_dpp v68, v67 row_shr:8 row_mask:0xf bank_mask:0xf
	v_cndmask_b32_e64 v68, 0, v68, s3
	s_delay_alu instid0(VALU_DEP_1) | instskip(SKIP_3) | instid1(VALU_DEP_1)
	v_add_nc_u32_e32 v67, v67, v68
	ds_swizzle_b32 v68, v67 offset:swizzle(BROADCAST,32,15)
	s_wait_dscnt 0x0
	v_cndmask_b32_e64 v68, v68, 0, s4
	v_add_nc_u32_e32 v67, v67, v68
	s_and_saveexec_b32 s12, s5
; %bb.157:                              ;   in Loop: Header=BB1019_152 Depth=1
	ds_store_b32 v51, v67
; %bb.158:                              ;   in Loop: Header=BB1019_152 Depth=1
	s_wait_alu 0xfffe
	s_or_b32 exec_lo, exec_lo, s12
	s_wait_loadcnt_dscnt 0x0
	s_barrier_signal -1
	s_barrier_wait -1
	global_inv scope:SCOPE_SE
	s_and_saveexec_b32 s12, s6
	s_cbranch_execz .LBB1019_160
; %bb.159:                              ;   in Loop: Header=BB1019_152 Depth=1
	ds_load_b32 v68, v52
	s_wait_dscnt 0x0
	v_mov_b32_dpp v69, v68 row_shr:1 row_mask:0xf bank_mask:0xf
	s_delay_alu instid0(VALU_DEP_1) | instskip(NEXT) | instid1(VALU_DEP_1)
	v_cndmask_b32_e64 v69, v69, 0, s9
	v_add_nc_u32_e32 v68, v69, v68
	s_delay_alu instid0(VALU_DEP_1) | instskip(NEXT) | instid1(VALU_DEP_1)
	v_mov_b32_dpp v69, v68 row_shr:2 row_mask:0xf bank_mask:0xf
	v_cndmask_b32_e64 v69, 0, v69, s10
	s_delay_alu instid0(VALU_DEP_1) | instskip(NEXT) | instid1(VALU_DEP_1)
	v_add_nc_u32_e32 v68, v68, v69
	v_mov_b32_dpp v69, v68 row_shr:4 row_mask:0xf bank_mask:0xf
	s_delay_alu instid0(VALU_DEP_1) | instskip(NEXT) | instid1(VALU_DEP_1)
	v_cndmask_b32_e64 v69, 0, v69, s11
	v_add_nc_u32_e32 v68, v68, v69
	ds_store_b32 v52, v68
.LBB1019_160:                           ;   in Loop: Header=BB1019_152 Depth=1
	s_wait_alu 0xfffe
	s_or_b32 exec_lo, exec_lo, s12
	v_mov_b32_e32 v68, 0
	s_wait_loadcnt_dscnt 0x0
	s_barrier_signal -1
	s_barrier_wait -1
	global_inv scope:SCOPE_SE
	s_and_saveexec_b32 s12, s7
; %bb.161:                              ;   in Loop: Header=BB1019_152 Depth=1
	ds_load_b32 v68, v54
; %bb.162:                              ;   in Loop: Header=BB1019_152 Depth=1
	s_wait_alu 0xfffe
	s_or_b32 exec_lo, exec_lo, s12
	s_wait_dscnt 0x0
	v_add_nc_u32_e32 v67, v68, v67
	v_add_nc_u32_e32 v10, 8, v10
	s_mov_b32 s18, -1
	s_mov_b32 s13, exec_lo
	ds_bpermute_b32 v67, v50, v67
	s_wait_dscnt 0x0
	v_cndmask_b32_e64 v67, v67, v68, s2
	s_delay_alu instid0(VALU_DEP_1) | instskip(NEXT) | instid1(VALU_DEP_1)
	v_cndmask_b32_e64 v67, v67, 0, s8
	v_add_nc_u32_e32 v26, v67, v26
	s_delay_alu instid0(VALU_DEP_1) | instskip(SKIP_4) | instid1(VALU_DEP_1)
	v_add_nc_u32_e32 v27, v26, v27
	ds_store_b32 v15, v67
	ds_store_b32 v32, v26
	;; [unrolled: 1-line block ×3, first 2 shown]
	v_add_nc_u32_e32 v28, v27, v28
	v_add_nc_u32_e32 v29, v28, v29
	s_delay_alu instid0(VALU_DEP_1) | instskip(NEXT) | instid1(VALU_DEP_1)
	v_add_nc_u32_e32 v30, v29, v30
	v_add_nc_u32_e32 v31, v30, v31
	s_delay_alu instid0(VALU_DEP_1)
	v_add_nc_u32_e32 v25, v31, v25
	ds_store_b32 v35, v28
	ds_store_b32 v36, v29
	;; [unrolled: 1-line block ×5, first 2 shown]
	s_wait_loadcnt_dscnt 0x0
	s_barrier_signal -1
	s_barrier_wait -1
	global_inv scope:SCOPE_SE
	ds_load_b32 v21, v21
	ds_load_b32 v25, v24
	v_mov_b32_e32 v24, v5
	s_wait_loadcnt_dscnt 0x0
	v_add_nc_u32_e32 v4, v21, v4
	v_add3_u32 v23, v23, v22, v25
	s_delay_alu instid0(VALU_DEP_2) | instskip(NEXT) | instid1(VALU_DEP_2)
	v_lshlrev_b64_e32 v[21:22], 1, v[4:5]
	v_lshlrev_b64_e32 v[24:25], 1, v[23:24]
	s_delay_alu instid0(VALU_DEP_2) | instskip(SKIP_1) | instid1(VALU_DEP_3)
	v_add_co_u32 v28, s12, v12, v21
	s_wait_alu 0xf1ff
	v_add_co_ci_u32_e64 v29, null, v13, v22, s12
	s_delay_alu instid0(VALU_DEP_3) | instskip(SKIP_2) | instid1(VALU_DEP_3)
	v_add_co_u32 v30, s12, v12, v24
	s_wait_alu 0xf1ff
	v_add_co_ci_u32_e64 v31, null, v13, v25, s12
	v_mad_co_u64_u32 v[25:26], null, v4, 6, v[28:29]
	v_mov_b32_e32 v4, v37
	s_delay_alu instid0(VALU_DEP_3)
	v_mad_co_u64_u32 v[26:27], null, v23, 6, v[30:31]
                                        ; implicit-def: $vgpr23_vgpr24
                                        ; implicit-def: $vgpr21_vgpr22
	v_cmpx_lt_u32_e64 v10, v11
	s_cbranch_execz .LBB1019_151
; %bb.163:                              ;   in Loop: Header=BB1019_152 Depth=1
	s_barrier_signal -1
	s_barrier_wait -1
	global_inv scope:SCOPE_SE
	ds_store_b16 v28, v37
	ds_store_b16 v30, v66
	s_wait_loadcnt_dscnt 0x0
	s_barrier_signal -1
	s_barrier_wait -1
	global_inv scope:SCOPE_SE
	ds_load_u16 v37, v33
	v_add_nc_u32_e32 v65, -8, v65
	s_xor_b32 s18, exec_lo, -1
	s_wait_dscnt 0x0
	ds_load_u16_d16_hi v37, v55
	s_wait_loadcnt_dscnt 0x0
	s_barrier_signal -1
	s_barrier_wait -1
	global_inv scope:SCOPE_SE
	ds_store_b64 v25, v[19:20]
	ds_store_b64 v26, v[8:9]
	s_wait_loadcnt_dscnt 0x0
	s_barrier_signal -1
	s_barrier_wait -1
	global_inv scope:SCOPE_SE
	ds_load_b64 v[21:22], v53
	ds_load_b64 v[23:24], v64
	s_wait_loadcnt_dscnt 0x0
	s_barrier_signal -1
	s_barrier_wait -1
	global_inv scope:SCOPE_SE
	s_branch .LBB1019_151
.LBB1019_164:
	flat_load_b64 v[27:28], v[4:5]
	s_wait_alu 0xfffe
	s_or_b32 exec_lo, exec_lo, s3
                                        ; implicit-def: $vgpr29_vgpr30
	s_and_saveexec_b32 s3, s0
	s_cbranch_execz .LBB1019_91
.LBB1019_165:
	flat_load_b64 v[29:30], v[4:5] offset:256
	s_wait_alu 0xfffe
	s_or_b32 exec_lo, exec_lo, s3
                                        ; implicit-def: $vgpr31_vgpr32
	s_and_saveexec_b32 s0, s1
	s_cbranch_execz .LBB1019_92
.LBB1019_166:
	flat_load_b64 v[31:32], v[4:5] offset:512
	s_wait_alu 0xfffe
	s_or_b32 exec_lo, exec_lo, s0
                                        ; implicit-def: $vgpr25_vgpr26
	s_and_saveexec_b32 s0, s2
	s_cbranch_execnz .LBB1019_93
	s_branch .LBB1019_94
.LBB1019_167:
	flat_store_b64 v[0:1], v[12:13]
	s_wait_alu 0xfffe
	s_or_b32 exec_lo, exec_lo, s3
	s_and_saveexec_b32 s3, s0
	s_cbranch_execz .LBB1019_136
.LBB1019_168:
	flat_store_b64 v[0:1], v[14:15] offset:2048
	s_wait_alu 0xfffe
	s_or_b32 exec_lo, exec_lo, s3
	s_and_saveexec_b32 s0, s1
	s_cbranch_execz .LBB1019_137
.LBB1019_169:
	flat_store_b64 v[0:1], v[8:9] offset:4096
	s_wait_alu 0xfffe
	s_or_b32 exec_lo, exec_lo, s0
	s_and_saveexec_b32 s0, s2
	s_cbranch_execnz .LBB1019_138
	s_branch .LBB1019_139
.LBB1019_170:
	s_or_b32 exec_lo, exec_lo, s17
	v_lshl_add_u32 v10, v18, 1, v12
	v_mul_u32_u24_e32 v11, 6, v18
	s_barrier_signal -1
	s_barrier_wait -1
	s_wait_loadcnt 0x0
	global_inv scope:SCOPE_SE
	ds_store_b16 v28, v4
	ds_store_b16 v30, v66
	s_wait_loadcnt_dscnt 0x0
	s_barrier_signal -1
	s_barrier_wait -1
	global_inv scope:SCOPE_SE
	ds_load_u16 v5, v10
	ds_load_u16 v4, v10 offset:512
	s_wait_loadcnt_dscnt 0x0
	s_barrier_signal -1
	s_barrier_wait -1
	global_inv scope:SCOPE_SE
	ds_store_b64 v25, v[19:20]
	ds_store_b64 v26, v[8:9]
	v_dual_mov_b32 v15, 0 :: v_dual_add_nc_u32 v8, v10, v11
	s_wait_loadcnt_dscnt 0x0
	s_barrier_signal -1
	s_barrier_wait -1
	global_inv scope:SCOPE_SE
	ds_load_2addr_stride64_b64 v[8:11], v8 offset1:4
	v_lshlrev_b64_e32 v[12:13], 1, v[14:15]
	v_add_co_u32 v2, vcc_lo, v2, v16
	s_wait_alu 0xfffd
	v_add_co_ci_u32_e64 v3, null, v3, v17, vcc_lo
	s_wait_loadcnt_dscnt 0x0
	s_delay_alu instid0(VALU_DEP_2) | instskip(SKIP_1) | instid1(VALU_DEP_2)
	v_add_co_u32 v2, vcc_lo, v2, v12
	s_wait_alu 0xfffd
	v_add_co_ci_u32_e64 v3, null, v3, v13, vcc_lo
	v_cmp_lt_u32_e32 vcc_lo, v14, v128
	s_barrier_signal -1
	s_barrier_wait -1
	global_inv scope:SCOPE_SE
	s_and_saveexec_b32 s0, vcc_lo
	s_cbranch_execz .LBB1019_172
; %bb.171:
	v_xor_b32_e32 v5, 0xffff8000, v5
	flat_store_b16 v[2:3], v5
.LBB1019_172:
	s_wait_alu 0xfffe
	s_or_b32 exec_lo, exec_lo, s0
	v_add_nc_u32_e32 v5, 0x100, v14
	s_delay_alu instid0(VALU_DEP_1)
	v_cmp_lt_u32_e64 s0, v5, v128
	s_and_saveexec_b32 s1, s0
	s_cbranch_execz .LBB1019_174
; %bb.173:
	v_xor_b32_e32 v4, 0xffff8000, v4
	flat_store_b16 v[2:3], v4 offset:512
.LBB1019_174:
	s_wait_alu 0xfffe
	s_or_b32 exec_lo, exec_lo, s1
	v_lshlrev_b64_e32 v[2:3], 3, v[14:15]
	v_add_co_u32 v0, s1, v6, v0
	s_wait_alu 0xf1ff
	v_add_co_ci_u32_e64 v1, null, v7, v1, s1
	s_delay_alu instid0(VALU_DEP_2) | instskip(SKIP_1) | instid1(VALU_DEP_2)
	v_add_co_u32 v0, s1, v0, v2
	s_wait_alu 0xf1ff
	v_add_co_ci_u32_e64 v1, null, v1, v3, s1
	s_and_saveexec_b32 s1, vcc_lo
	s_cbranch_execz .LBB1019_176
; %bb.175:
	flat_store_b64 v[0:1], v[8:9]
.LBB1019_176:
	s_wait_alu 0xfffe
	s_or_b32 exec_lo, exec_lo, s1
	s_and_saveexec_b32 s1, s0
	s_cbranch_execz .LBB1019_178
; %bb.177:
	flat_store_b64 v[0:1], v[10:11] offset:2048
.LBB1019_178:
	s_wait_alu 0xfffe
	s_or_b32 exec_lo, exec_lo, s1
                                        ; implicit-def: $vgpr14_vgpr15
                                        ; implicit-def: $vgpr8_vgpr9
                                        ; implicit-def: $vgpr16_vgpr17
                                        ; implicit-def: $vgpr128
                                        ; implicit-def: $vgpr0
                                        ; implicit-def: $vgpr1
                                        ; implicit-def: $vgpr2
                                        ; implicit-def: $vgpr3
                                        ; implicit-def: $vgpr4
                                        ; implicit-def: $vgpr5
                                        ; implicit-def: $vgpr6
                                        ; implicit-def: $vgpr7
                                        ; implicit-def: $vgpr10
                                        ; implicit-def: $vgpr11
                                        ; implicit-def: $vgpr12
                                        ; implicit-def: $vgpr13
                                        ; implicit-def: $vgpr18
                                        ; implicit-def: $vgpr33
.LBB1019_179:
	s_wait_alu 0xfffe
	s_and_not1_saveexec_b32 s0, s14
	s_cbranch_execz .LBB1019_199
; %bb.180:
	v_and_b32_e32 v21, 0xffffffe0, v14
	v_mov_b32_e32 v39, -1
	s_delay_alu instid0(VALU_DEP_2) | instskip(NEXT) | instid1(VALU_DEP_1)
	v_or_b32_e32 v15, v33, v21
	v_cmp_lt_u32_e32 vcc_lo, v15, v128
	s_and_saveexec_b32 s1, vcc_lo
	s_cbranch_execz .LBB1019_182
; %bb.181:
	v_dual_mov_b32 v22, 0 :: v_dual_lshlrev_b32 v15, 1, v33
	v_add_co_u32 v19, s0, v0, v16
	s_wait_alu 0xf1fe
	v_add_co_ci_u32_e64 v20, null, v1, v17, s0
	s_delay_alu instid0(VALU_DEP_3) | instskip(NEXT) | instid1(VALU_DEP_3)
	v_lshlrev_b64_e32 v[0:1], 1, v[21:22]
	v_add_co_u32 v15, s0, v19, v15
	s_wait_alu 0xf1ff
	s_delay_alu instid0(VALU_DEP_3) | instskip(NEXT) | instid1(VALU_DEP_2)
	v_add_co_ci_u32_e64 v19, null, 0, v20, s0
	v_add_co_u32 v0, s0, v15, v0
	s_wait_alu 0xf1ff
	s_delay_alu instid0(VALU_DEP_2)
	v_add_co_ci_u32_e64 v1, null, v19, v1, s0
	flat_load_u16 v0, v[0:1]
	s_wait_loadcnt_dscnt 0x0
	v_xor_b32_e32 v39, 0xffff8000, v0
.LBB1019_182:
	s_wait_alu 0xfffe
	s_or_b32 exec_lo, exec_lo, s1
	v_lshlrev_b64_e32 v[0:1], 3, v[8:9]
                                        ; implicit-def: $vgpr19_vgpr20
	s_and_saveexec_b32 s0, vcc_lo
	s_cbranch_execz .LBB1019_184
; %bb.183:
	v_mov_b32_e32 v22, 0
	v_lshlrev_b32_e32 v8, 3, v33
	s_delay_alu instid0(VALU_DEP_3) | instskip(SKIP_3) | instid1(VALU_DEP_3)
	v_add_co_u32 v9, vcc_lo, v4, v0
	s_wait_alu 0xfffd
	v_add_co_ci_u32_e64 v15, null, v5, v1, vcc_lo
	v_lshlrev_b64_e32 v[4:5], 3, v[21:22]
	v_add_co_u32 v8, vcc_lo, v9, v8
	s_wait_alu 0xfffd
	s_delay_alu instid0(VALU_DEP_3) | instskip(NEXT) | instid1(VALU_DEP_2)
	v_add_co_ci_u32_e64 v9, null, 0, v15, vcc_lo
	v_add_co_u32 v4, vcc_lo, v8, v4
	s_wait_alu 0xfffd
	s_delay_alu instid0(VALU_DEP_2)
	v_add_co_ci_u32_e64 v5, null, v9, v5, vcc_lo
	flat_load_b64 v[19:20], v[4:5]
.LBB1019_184:
	s_wait_alu 0xfffe
	s_or_b32 exec_lo, exec_lo, s0
	v_lshl_add_u32 v4, v18, 5, v12
	v_and_b32_e32 v5, 15, v33
	v_sub_co_u32 v21, s2, v33, 1
	s_getpc_b64 s[0:1]
	s_wait_alu 0xfffe
	s_sext_i32_i16 s1, s1
	s_add_co_u32 s0, s0, _ZN7rocprim17ROCPRIM_400000_NS16block_radix_sortIsLj256ELj1ElLj1ELj1ELj8ELNS0_26block_radix_rank_algorithmE2ELNS0_18block_padding_hintE2ELNS0_4arch9wavefront6targetE0EE19radix_bits_per_passE@rel32@lo+12
	s_wait_alu 0xfffe
	s_add_co_ci_u32 s1, s1, _ZN7rocprim17ROCPRIM_400000_NS16block_radix_sortIsLj256ELj1ElLj1ELj1ELj8ELNS0_26block_radix_rank_algorithmE2ELNS0_18block_padding_hintE2ELNS0_4arch9wavefront6targetE0EE19radix_bits_per_passE@rel32@hi+24
	v_add_nc_u32_e32 v15, 32, v4
	v_add_nc_u32_e32 v23, 36, v4
	v_add_nc_u32_e32 v24, 40, v4
	v_add_nc_u32_e32 v25, 44, v4
	v_add_nc_u32_e32 v26, 48, v4
	v_add_nc_u32_e32 v27, 52, v4
	v_add_nc_u32_e32 v28, 56, v4
	v_add_nc_u32_e32 v29, 60, v4
	v_and_b32_e32 v4, 0x3e0, v18
	s_load_b32 s14, s[0:1], 0x0
	v_cmp_eq_u32_e32 vcc_lo, 0, v5
	v_cmp_lt_u32_e64 s0, 1, v5
	v_cmp_lt_u32_e64 s1, 3, v5
	v_min_u32_e32 v8, 0xe0, v4
	v_and_b32_e32 v9, 16, v33
	v_cmp_lt_u32_e64 s3, 7, v5
	v_cmp_gt_i32_e64 s5, 0, v21
	v_or_b32_e32 v4, v33, v4
	v_or_b32_e32 v5, 31, v8
	v_lshrrev_b32_e32 v8, 3, v18
	v_cmp_eq_u32_e64 s4, 0, v9
	s_wait_alu 0xf1ff
	v_cndmask_b32_e64 v9, v21, v33, s5
	v_lshl_add_u32 v34, v4, 1, v12
	v_cmp_eq_u32_e64 s5, v18, v5
	v_and_b32_e32 v5, 0x7c, v8
	v_and_b32_e32 v8, 7, v33
	v_mul_u32_u24_e32 v4, 6, v4
	v_lshrrev_b32_e32 v30, 5, v14
	v_cmp_gt_u32_e64 s6, 8, v18
	v_add_nc_u32_e32 v32, v12, v5
	v_cmp_lt_u32_e64 s7, 31, v18
	v_lshlrev_b32_e32 v31, 2, v9
	v_cmp_eq_u32_e64 s8, 0, v18
	v_mov_b32_e32 v5, 0
	v_lshl_add_u32 v33, v18, 2, v12
	v_cmp_eq_u32_e64 s9, 0, v8
	v_cmp_lt_u32_e64 s10, 1, v8
	v_cmp_lt_u32_e64 s11, 3, v8
	v_add_nc_u32_e32 v35, -4, v32
	v_add_nc_u32_e32 v36, v34, v4
	v_sub_nc_u32_e32 v37, v11, v10
	s_mov_b32 s15, 0
	s_wait_storecnt 0x0
	s_wait_loadcnt_dscnt 0x0
	s_barrier_signal -1
	s_barrier_wait -1
	global_inv scope:SCOPE_SE
	s_branch .LBB1019_186
.LBB1019_185:                           ;   in Loop: Header=BB1019_186 Depth=1
	s_wait_alu 0xfffe
	s_or_b32 exec_lo, exec_lo, s13
	s_delay_alu instid0(SALU_CYCLE_1)
	s_and_b32 s12, exec_lo, s17
	s_wait_alu 0xfffe
	s_or_b32 s15, s12, s15
	s_wait_alu 0xfffe
	s_and_not1_b32 exec_lo, exec_lo, s15
	s_cbranch_execz .LBB1019_196
.LBB1019_186:                           ; =>This Inner Loop Header: Depth=1
	v_mov_b32_e32 v38, v39
	s_wait_kmcnt 0x0
	v_min_u32_e32 v8, s14, v37
	ds_store_b32 v15, v5
	ds_store_b32 v23, v5
	;; [unrolled: 1-line block ×6, first 2 shown]
	v_and_b32_e32 v4, 0xffff, v38
	ds_store_b32 v28, v5
	ds_store_b32 v29, v5
	s_wait_loadcnt_dscnt 0x0
	s_barrier_signal -1
	s_barrier_wait -1
	v_lshrrev_b32_e32 v4, v10, v4
	global_inv scope:SCOPE_SE
	; wave barrier
	v_bfe_u32 v4, v4, 0, v8
	s_delay_alu instid0(VALU_DEP_1)
	v_and_b32_e32 v8, 1, v4
	v_lshlrev_b32_e32 v9, 30, v4
	v_lshlrev_b32_e32 v21, 29, v4
	v_lshlrev_b32_e32 v22, 28, v4
	v_lshlrev_b32_e32 v48, 27, v4
	v_add_co_u32 v8, s12, v8, -1
	s_wait_alu 0xf1ff
	v_cndmask_b32_e64 v39, 0, 1, s12
	v_not_b32_e32 v51, v9
	v_cmp_gt_i32_e64 s13, 0, v9
	v_not_b32_e32 v9, v21
	v_lshlrev_b32_e32 v49, 26, v4
	v_cmp_ne_u32_e64 s12, 0, v39
	v_ashrrev_i32_e32 v51, 31, v51
	v_lshlrev_b32_e32 v50, 25, v4
	v_ashrrev_i32_e32 v9, 31, v9
	v_lshlrev_b32_e32 v39, 24, v4
	s_wait_alu 0xf1ff
	v_xor_b32_e32 v8, s12, v8
	v_cmp_gt_i32_e64 s12, 0, v21
	v_not_b32_e32 v21, v22
	v_xor_b32_e32 v51, s13, v51
	v_cmp_gt_i32_e64 s13, 0, v22
	v_and_b32_e32 v8, exec_lo, v8
	v_not_b32_e32 v22, v48
	v_ashrrev_i32_e32 v21, 31, v21
	s_wait_alu 0xf1ff
	v_xor_b32_e32 v9, s12, v9
	v_cmp_gt_i32_e64 s12, 0, v48
	v_and_b32_e32 v8, v8, v51
	v_not_b32_e32 v48, v49
	v_ashrrev_i32_e32 v22, 31, v22
	v_xor_b32_e32 v21, s13, v21
	v_cmp_gt_i32_e64 s13, 0, v49
	v_and_b32_e32 v8, v8, v9
	v_not_b32_e32 v9, v50
	v_ashrrev_i32_e32 v48, 31, v48
	s_wait_alu 0xf1ff
	v_xor_b32_e32 v22, s12, v22
	v_cmp_gt_i32_e64 s12, 0, v50
	v_and_b32_e32 v8, v8, v21
	v_not_b32_e32 v21, v39
	v_ashrrev_i32_e32 v49, 31, v9
	v_xor_b32_e32 v48, s13, v48
	v_cmp_gt_i32_e64 s13, 0, v39
	v_and_b32_e32 v22, v8, v22
	v_dual_mov_b32 v8, v19 :: v_dual_mov_b32 v9, v20
	v_ashrrev_i32_e32 v19, 31, v21
	s_wait_alu 0xf1ff
	v_xor_b32_e32 v20, s12, v49
	v_and_b32_e32 v21, v22, v48
	v_lshlrev_b32_e32 v4, 3, v4
	v_xor_b32_e32 v19, s13, v19
	s_delay_alu instid0(VALU_DEP_3) | instskip(NEXT) | instid1(VALU_DEP_1)
	v_and_b32_e32 v20, v21, v20
	v_and_b32_e32 v20, v20, v19
	s_delay_alu instid0(VALU_DEP_4) | instskip(NEXT) | instid1(VALU_DEP_2)
	v_add_lshl_u32 v19, v4, v30, 2
	v_mbcnt_lo_u32_b32 v4, v20, 0
	s_delay_alu instid0(VALU_DEP_2) | instskip(SKIP_1) | instid1(VALU_DEP_3)
	v_add_co_u32 v19, null, v12, v19
	v_cmp_ne_u32_e64 s13, 0, v20
	v_cmp_eq_u32_e64 s12, 0, v4
	s_delay_alu instid0(VALU_DEP_3)
	v_add_co_u32 v19, null, v19, 32
	s_and_b32 s13, s13, s12
	s_wait_alu 0xfffe
	s_and_saveexec_b32 s12, s13
; %bb.187:                              ;   in Loop: Header=BB1019_186 Depth=1
	v_bcnt_u32_b32 v20, v20, 0
	ds_store_b32 v19, v20
; %bb.188:                              ;   in Loop: Header=BB1019_186 Depth=1
	s_wait_alu 0xfffe
	s_or_b32 exec_lo, exec_lo, s12
	; wave barrier
	s_wait_loadcnt_dscnt 0x0
	s_barrier_signal -1
	s_barrier_wait -1
	global_inv scope:SCOPE_SE
	ds_load_b32 v21, v15
	ds_load_b32 v22, v23
	ds_load_b32 v39, v24
	ds_load_b32 v48, v25
	ds_load_b32 v49, v26
	ds_load_b32 v50, v27
	ds_load_b32 v20, v28
	ds_load_b32 v51, v29
	s_wait_dscnt 0x6
	v_add_nc_u32_e32 v52, v22, v21
	s_wait_dscnt 0x4
	s_delay_alu instid0(VALU_DEP_1) | instskip(SKIP_1) | instid1(VALU_DEP_1)
	v_add3_u32 v52, v52, v39, v48
	s_wait_dscnt 0x2
	v_add3_u32 v52, v52, v49, v50
	s_wait_dscnt 0x0
	s_delay_alu instid0(VALU_DEP_1) | instskip(NEXT) | instid1(VALU_DEP_1)
	v_add3_u32 v51, v52, v20, v51
	v_mov_b32_dpp v52, v51 row_shr:1 row_mask:0xf bank_mask:0xf
	s_wait_alu 0xfffd
	s_delay_alu instid0(VALU_DEP_1) | instskip(NEXT) | instid1(VALU_DEP_1)
	v_cndmask_b32_e64 v52, v52, 0, vcc_lo
	v_add_nc_u32_e32 v51, v52, v51
	s_delay_alu instid0(VALU_DEP_1) | instskip(NEXT) | instid1(VALU_DEP_1)
	v_mov_b32_dpp v52, v51 row_shr:2 row_mask:0xf bank_mask:0xf
	v_cndmask_b32_e64 v52, 0, v52, s0
	s_delay_alu instid0(VALU_DEP_1) | instskip(NEXT) | instid1(VALU_DEP_1)
	v_add_nc_u32_e32 v51, v51, v52
	v_mov_b32_dpp v52, v51 row_shr:4 row_mask:0xf bank_mask:0xf
	s_delay_alu instid0(VALU_DEP_1) | instskip(NEXT) | instid1(VALU_DEP_1)
	v_cndmask_b32_e64 v52, 0, v52, s1
	v_add_nc_u32_e32 v51, v51, v52
	s_delay_alu instid0(VALU_DEP_1) | instskip(NEXT) | instid1(VALU_DEP_1)
	v_mov_b32_dpp v52, v51 row_shr:8 row_mask:0xf bank_mask:0xf
	v_cndmask_b32_e64 v52, 0, v52, s3
	s_delay_alu instid0(VALU_DEP_1) | instskip(SKIP_3) | instid1(VALU_DEP_1)
	v_add_nc_u32_e32 v51, v51, v52
	ds_swizzle_b32 v52, v51 offset:swizzle(BROADCAST,32,15)
	s_wait_dscnt 0x0
	v_cndmask_b32_e64 v52, v52, 0, s4
	v_add_nc_u32_e32 v51, v51, v52
	s_and_saveexec_b32 s12, s5
; %bb.189:                              ;   in Loop: Header=BB1019_186 Depth=1
	ds_store_b32 v32, v51
; %bb.190:                              ;   in Loop: Header=BB1019_186 Depth=1
	s_wait_alu 0xfffe
	s_or_b32 exec_lo, exec_lo, s12
	s_wait_loadcnt_dscnt 0x0
	s_barrier_signal -1
	s_barrier_wait -1
	global_inv scope:SCOPE_SE
	s_and_saveexec_b32 s12, s6
	s_cbranch_execz .LBB1019_192
; %bb.191:                              ;   in Loop: Header=BB1019_186 Depth=1
	ds_load_b32 v52, v33
	s_wait_dscnt 0x0
	v_mov_b32_dpp v53, v52 row_shr:1 row_mask:0xf bank_mask:0xf
	s_delay_alu instid0(VALU_DEP_1) | instskip(NEXT) | instid1(VALU_DEP_1)
	v_cndmask_b32_e64 v53, v53, 0, s9
	v_add_nc_u32_e32 v52, v53, v52
	s_delay_alu instid0(VALU_DEP_1) | instskip(NEXT) | instid1(VALU_DEP_1)
	v_mov_b32_dpp v53, v52 row_shr:2 row_mask:0xf bank_mask:0xf
	v_cndmask_b32_e64 v53, 0, v53, s10
	s_delay_alu instid0(VALU_DEP_1) | instskip(NEXT) | instid1(VALU_DEP_1)
	v_add_nc_u32_e32 v52, v52, v53
	v_mov_b32_dpp v53, v52 row_shr:4 row_mask:0xf bank_mask:0xf
	s_delay_alu instid0(VALU_DEP_1) | instskip(NEXT) | instid1(VALU_DEP_1)
	v_cndmask_b32_e64 v53, 0, v53, s11
	v_add_nc_u32_e32 v52, v52, v53
	ds_store_b32 v33, v52
.LBB1019_192:                           ;   in Loop: Header=BB1019_186 Depth=1
	s_wait_alu 0xfffe
	s_or_b32 exec_lo, exec_lo, s12
	v_mov_b32_e32 v52, 0
	s_wait_loadcnt_dscnt 0x0
	s_barrier_signal -1
	s_barrier_wait -1
	global_inv scope:SCOPE_SE
	s_and_saveexec_b32 s12, s7
; %bb.193:                              ;   in Loop: Header=BB1019_186 Depth=1
	ds_load_b32 v52, v35
; %bb.194:                              ;   in Loop: Header=BB1019_186 Depth=1
	s_wait_alu 0xfffe
	s_or_b32 exec_lo, exec_lo, s12
	s_wait_dscnt 0x0
	v_add_nc_u32_e32 v51, v52, v51
	v_add_nc_u32_e32 v10, 8, v10
	s_mov_b32 s17, -1
	ds_bpermute_b32 v51, v31, v51
	s_wait_dscnt 0x0
	v_cndmask_b32_e64 v51, v51, v52, s2
	s_delay_alu instid0(VALU_DEP_1) | instskip(NEXT) | instid1(VALU_DEP_1)
	v_cndmask_b32_e64 v51, v51, 0, s8
	v_add_nc_u32_e32 v21, v51, v21
	s_delay_alu instid0(VALU_DEP_1) | instskip(SKIP_4) | instid1(VALU_DEP_1)
	v_add_nc_u32_e32 v22, v21, v22
	ds_store_b32 v15, v51
	ds_store_b32 v23, v21
	;; [unrolled: 1-line block ×3, first 2 shown]
	v_add_nc_u32_e32 v39, v22, v39
	v_add_nc_u32_e32 v48, v39, v48
	s_delay_alu instid0(VALU_DEP_1) | instskip(NEXT) | instid1(VALU_DEP_1)
	v_add_nc_u32_e32 v49, v48, v49
	v_add_nc_u32_e32 v50, v49, v50
	s_delay_alu instid0(VALU_DEP_1)
	v_add_nc_u32_e32 v20, v50, v20
	ds_store_b32 v25, v39
	ds_store_b32 v26, v48
	;; [unrolled: 1-line block ×5, first 2 shown]
	s_wait_loadcnt_dscnt 0x0
	s_barrier_signal -1
	s_barrier_wait -1
	global_inv scope:SCOPE_SE
	ds_load_b32 v19, v19
                                        ; implicit-def: $vgpr39
	s_wait_loadcnt_dscnt 0x0
	v_add_nc_u32_e32 v4, v19, v4
	s_delay_alu instid0(VALU_DEP_1) | instskip(NEXT) | instid1(VALU_DEP_1)
	v_lshlrev_b64_e32 v[19:20], 1, v[4:5]
	v_add_co_u32 v21, s13, v12, v19
	s_wait_alu 0xf1ff
	s_delay_alu instid0(VALU_DEP_2)
	v_add_co_ci_u32_e64 v22, null, v13, v20, s13
	s_mov_b32 s13, exec_lo
                                        ; implicit-def: $vgpr19_vgpr20
	v_cmpx_lt_u32_e64 v10, v11
	s_cbranch_execz .LBB1019_185
; %bb.195:                              ;   in Loop: Header=BB1019_186 Depth=1
	v_mad_co_u64_u32 v[19:20], null, v4, 6, v[21:22]
	s_barrier_signal -1
	s_barrier_wait -1
	global_inv scope:SCOPE_SE
	ds_store_b16 v21, v38
	s_wait_loadcnt_dscnt 0x0
	s_barrier_signal -1
	s_barrier_wait -1
	global_inv scope:SCOPE_SE
	ds_load_u16 v39, v34
	s_wait_loadcnt_dscnt 0x0
	s_barrier_signal -1
	s_barrier_wait -1
	global_inv scope:SCOPE_SE
	ds_store_b64 v19, v[8:9]
	s_wait_loadcnt_dscnt 0x0
	s_barrier_signal -1
	s_barrier_wait -1
	global_inv scope:SCOPE_SE
	ds_load_b64 v[19:20], v36
	v_add_nc_u32_e32 v37, -8, v37
	s_xor_b32 s17, exec_lo, -1
	s_wait_loadcnt_dscnt 0x0
	s_barrier_signal -1
	s_barrier_wait -1
	global_inv scope:SCOPE_SE
	s_branch .LBB1019_185
.LBB1019_196:
	s_or_b32 exec_lo, exec_lo, s15
	v_mad_co_u64_u32 v[4:5], null, v4, 6, v[21:22]
	v_lshl_add_u32 v11, v18, 1, v12
	v_mul_u32_u24_e32 v5, 6, v18
	s_barrier_signal -1
	s_barrier_wait -1
	s_wait_loadcnt 0x0
	global_inv scope:SCOPE_SE
	ds_store_b16 v21, v38
	s_wait_loadcnt_dscnt 0x0
	s_barrier_signal -1
	s_barrier_wait -1
	global_inv scope:SCOPE_SE
	ds_load_u16 v10, v11
	s_wait_loadcnt_dscnt 0x0
	s_barrier_signal -1
	s_barrier_wait -1
	global_inv scope:SCOPE_SE
	ds_store_b64 v4, v[8:9]
	v_add_nc_u32_e32 v4, v11, v5
	s_wait_loadcnt_dscnt 0x0
	s_barrier_signal -1
	s_barrier_wait -1
	global_inv scope:SCOPE_SE
	ds_load_b64 v[4:5], v4
	s_mov_b32 s0, exec_lo
	s_wait_loadcnt_dscnt 0x0
	s_barrier_signal -1
	s_barrier_wait -1
	global_inv scope:SCOPE_SE
	v_cmpx_lt_u32_e64 v14, v128
	s_cbranch_execz .LBB1019_198
; %bb.197:
	v_mov_b32_e32 v15, 0
	v_add_co_u32 v8, vcc_lo, v6, v0
	s_wait_alu 0xfffd
	v_add_co_ci_u32_e64 v9, null, v7, v1, vcc_lo
	s_delay_alu instid0(VALU_DEP_3) | instskip(SKIP_4) | instid1(VALU_DEP_3)
	v_lshlrev_b64_e32 v[6:7], 1, v[14:15]
	v_add_co_u32 v2, vcc_lo, v2, v16
	v_lshlrev_b64_e32 v[0:1], 3, v[14:15]
	s_wait_alu 0xfffd
	v_add_co_ci_u32_e64 v3, null, v3, v17, vcc_lo
	v_add_co_u32 v2, vcc_lo, v2, v6
	v_xor_b32_e32 v10, 0xffff8000, v10
	s_wait_alu 0xfffd
	s_delay_alu instid0(VALU_DEP_3)
	v_add_co_ci_u32_e64 v3, null, v3, v7, vcc_lo
	v_add_co_u32 v0, vcc_lo, v8, v0
	s_wait_alu 0xfffd
	v_add_co_ci_u32_e64 v1, null, v9, v1, vcc_lo
	flat_store_b16 v[2:3], v10
	flat_store_b64 v[0:1], v[4:5]
.LBB1019_198:
	s_wait_alu 0xfffe
	s_or_b32 exec_lo, exec_lo, s0
.LBB1019_199:
	s_wait_alu 0xfffe
	s_or_b32 exec_lo, exec_lo, s16
	s_wait_loadcnt_dscnt 0x0
	s_setpc_b64 s[30:31]
.Lfunc_end1019:
	.size	_ZN7rocprim17ROCPRIM_400000_NS6detail40segmented_radix_sort_single_block_helperIslLj256ELj8ELb0EE4sortIPKsPsPKlPlEEbT_T0_T1_T2_jjjjRNS3_12storage_typeE, .Lfunc_end1019-_ZN7rocprim17ROCPRIM_400000_NS6detail40segmented_radix_sort_single_block_helperIslLj256ELj8ELb0EE4sortIPKsPsPKlPlEEbT_T0_T1_T2_jjjjRNS3_12storage_typeE
                                        ; -- End function
	.set .L_ZN7rocprim17ROCPRIM_400000_NS6detail40segmented_radix_sort_single_block_helperIslLj256ELj8ELb0EE4sortIPKsPsPKlPlEEbT_T0_T1_T2_jjjjRNS3_12storage_typeE.num_vgpr, 198
	.set .L_ZN7rocprim17ROCPRIM_400000_NS6detail40segmented_radix_sort_single_block_helperIslLj256ELj8ELb0EE4sortIPKsPsPKlPlEEbT_T0_T1_T2_jjjjRNS3_12storage_typeE.num_agpr, 0
	.set .L_ZN7rocprim17ROCPRIM_400000_NS6detail40segmented_radix_sort_single_block_helperIslLj256ELj8ELb0EE4sortIPKsPsPKlPlEEbT_T0_T1_T2_jjjjRNS3_12storage_typeE.numbered_sgpr, 32
	.set .L_ZN7rocprim17ROCPRIM_400000_NS6detail40segmented_radix_sort_single_block_helperIslLj256ELj8ELb0EE4sortIPKsPsPKlPlEEbT_T0_T1_T2_jjjjRNS3_12storage_typeE.num_named_barrier, 0
	.set .L_ZN7rocprim17ROCPRIM_400000_NS6detail40segmented_radix_sort_single_block_helperIslLj256ELj8ELb0EE4sortIPKsPsPKlPlEEbT_T0_T1_T2_jjjjRNS3_12storage_typeE.private_seg_size, 0
	.set .L_ZN7rocprim17ROCPRIM_400000_NS6detail40segmented_radix_sort_single_block_helperIslLj256ELj8ELb0EE4sortIPKsPsPKlPlEEbT_T0_T1_T2_jjjjRNS3_12storage_typeE.uses_vcc, 1
	.set .L_ZN7rocprim17ROCPRIM_400000_NS6detail40segmented_radix_sort_single_block_helperIslLj256ELj8ELb0EE4sortIPKsPsPKlPlEEbT_T0_T1_T2_jjjjRNS3_12storage_typeE.uses_flat_scratch, 0
	.set .L_ZN7rocprim17ROCPRIM_400000_NS6detail40segmented_radix_sort_single_block_helperIslLj256ELj8ELb0EE4sortIPKsPsPKlPlEEbT_T0_T1_T2_jjjjRNS3_12storage_typeE.has_dyn_sized_stack, 0
	.set .L_ZN7rocprim17ROCPRIM_400000_NS6detail40segmented_radix_sort_single_block_helperIslLj256ELj8ELb0EE4sortIPKsPsPKlPlEEbT_T0_T1_T2_jjjjRNS3_12storage_typeE.has_recursion, 0
	.set .L_ZN7rocprim17ROCPRIM_400000_NS6detail40segmented_radix_sort_single_block_helperIslLj256ELj8ELb0EE4sortIPKsPsPKlPlEEbT_T0_T1_T2_jjjjRNS3_12storage_typeE.has_indirect_call, 0
	.section	.AMDGPU.csdata,"",@progbits
; Function info:
; codeLenInByte = 18076
; TotalNumSgprs: 34
; NumVgprs: 198
; ScratchSize: 0
; MemoryBound: 1
	.section	.text._ZN7rocprim17ROCPRIM_400000_NS6detail17trampoline_kernelINS0_14default_configENS1_36segmented_radix_sort_config_selectorIslEEZNS1_25segmented_radix_sort_implIS3_Lb0EPKsPsPKlPlN2at6native12_GLOBAL__N_18offset_tEEE10hipError_tPvRmT1_PNSt15iterator_traitsISK_E10value_typeET2_T3_PNSL_ISQ_E10value_typeET4_jRbjT5_SW_jjP12ihipStream_tbEUlT_E_NS1_11comp_targetILNS1_3genE10ELNS1_11target_archE1201ELNS1_3gpuE5ELNS1_3repE0EEENS1_30default_config_static_selectorELNS0_4arch9wavefront6targetE0EEEvSK_,"axG",@progbits,_ZN7rocprim17ROCPRIM_400000_NS6detail17trampoline_kernelINS0_14default_configENS1_36segmented_radix_sort_config_selectorIslEEZNS1_25segmented_radix_sort_implIS3_Lb0EPKsPsPKlPlN2at6native12_GLOBAL__N_18offset_tEEE10hipError_tPvRmT1_PNSt15iterator_traitsISK_E10value_typeET2_T3_PNSL_ISQ_E10value_typeET4_jRbjT5_SW_jjP12ihipStream_tbEUlT_E_NS1_11comp_targetILNS1_3genE10ELNS1_11target_archE1201ELNS1_3gpuE5ELNS1_3repE0EEENS1_30default_config_static_selectorELNS0_4arch9wavefront6targetE0EEEvSK_,comdat
	.globl	_ZN7rocprim17ROCPRIM_400000_NS6detail17trampoline_kernelINS0_14default_configENS1_36segmented_radix_sort_config_selectorIslEEZNS1_25segmented_radix_sort_implIS3_Lb0EPKsPsPKlPlN2at6native12_GLOBAL__N_18offset_tEEE10hipError_tPvRmT1_PNSt15iterator_traitsISK_E10value_typeET2_T3_PNSL_ISQ_E10value_typeET4_jRbjT5_SW_jjP12ihipStream_tbEUlT_E_NS1_11comp_targetILNS1_3genE10ELNS1_11target_archE1201ELNS1_3gpuE5ELNS1_3repE0EEENS1_30default_config_static_selectorELNS0_4arch9wavefront6targetE0EEEvSK_ ; -- Begin function _ZN7rocprim17ROCPRIM_400000_NS6detail17trampoline_kernelINS0_14default_configENS1_36segmented_radix_sort_config_selectorIslEEZNS1_25segmented_radix_sort_implIS3_Lb0EPKsPsPKlPlN2at6native12_GLOBAL__N_18offset_tEEE10hipError_tPvRmT1_PNSt15iterator_traitsISK_E10value_typeET2_T3_PNSL_ISQ_E10value_typeET4_jRbjT5_SW_jjP12ihipStream_tbEUlT_E_NS1_11comp_targetILNS1_3genE10ELNS1_11target_archE1201ELNS1_3gpuE5ELNS1_3repE0EEENS1_30default_config_static_selectorELNS0_4arch9wavefront6targetE0EEEvSK_
	.p2align	8
	.type	_ZN7rocprim17ROCPRIM_400000_NS6detail17trampoline_kernelINS0_14default_configENS1_36segmented_radix_sort_config_selectorIslEEZNS1_25segmented_radix_sort_implIS3_Lb0EPKsPsPKlPlN2at6native12_GLOBAL__N_18offset_tEEE10hipError_tPvRmT1_PNSt15iterator_traitsISK_E10value_typeET2_T3_PNSL_ISQ_E10value_typeET4_jRbjT5_SW_jjP12ihipStream_tbEUlT_E_NS1_11comp_targetILNS1_3genE10ELNS1_11target_archE1201ELNS1_3gpuE5ELNS1_3repE0EEENS1_30default_config_static_selectorELNS0_4arch9wavefront6targetE0EEEvSK_,@function
_ZN7rocprim17ROCPRIM_400000_NS6detail17trampoline_kernelINS0_14default_configENS1_36segmented_radix_sort_config_selectorIslEEZNS1_25segmented_radix_sort_implIS3_Lb0EPKsPsPKlPlN2at6native12_GLOBAL__N_18offset_tEEE10hipError_tPvRmT1_PNSt15iterator_traitsISK_E10value_typeET2_T3_PNSL_ISQ_E10value_typeET4_jRbjT5_SW_jjP12ihipStream_tbEUlT_E_NS1_11comp_targetILNS1_3genE10ELNS1_11target_archE1201ELNS1_3gpuE5ELNS1_3repE0EEENS1_30default_config_static_selectorELNS0_4arch9wavefront6targetE0EEEvSK_: ; @_ZN7rocprim17ROCPRIM_400000_NS6detail17trampoline_kernelINS0_14default_configENS1_36segmented_radix_sort_config_selectorIslEEZNS1_25segmented_radix_sort_implIS3_Lb0EPKsPsPKlPlN2at6native12_GLOBAL__N_18offset_tEEE10hipError_tPvRmT1_PNSt15iterator_traitsISK_E10value_typeET2_T3_PNSL_ISQ_E10value_typeET4_jRbjT5_SW_jjP12ihipStream_tbEUlT_E_NS1_11comp_targetILNS1_3genE10ELNS1_11target_archE1201ELNS1_3gpuE5ELNS1_3repE0EEENS1_30default_config_static_selectorELNS0_4arch9wavefront6targetE0EEEvSK_
; %bb.0:
	s_clause 0x1
	s_load_b64 s[8:9], s[0:1], 0x38
	s_load_b128 s[4:7], s[0:1], 0x40
	s_mov_b32 s2, ttmp9
	s_mov_b32 s3, 0
	s_mov_b32 s32, 0
	s_lshl_b64 s[2:3], s[2:3], 2
	s_wait_kmcnt 0x0
	s_add_nc_u64 s[2:3], s[8:9], s[2:3]
	s_load_b32 s2, s[2:3], 0x0
	s_wait_kmcnt 0x0
	s_add_co_i32 s33, s2, s5
	s_add_co_i32 s34, s2, s7
	s_mul_i32 s33, s33, s4
	s_mul_i32 s34, s34, s6
	s_delay_alu instid0(SALU_CYCLE_1)
	s_cmp_le_u32 s34, s33
	s_cbranch_scc1 .LBB1020_670
; %bb.1:
	s_clause 0x3
	s_load_b32 s2, s[0:1], 0x30
	s_load_b128 s[24:27], s[0:1], 0x20
	s_load_b96 s[44:46], s[0:1], 0x50
	s_load_b256 s[36:43], s[0:1], 0x0
	s_wait_kmcnt 0x0
	s_bitcmp1_b32 s2, 0
	s_mov_b32 s2, -1
	s_cselect_b32 s35, -1, 0
	s_sub_co_i32 s47, s34, s33
	s_delay_alu instid0(SALU_CYCLE_1)
	s_cmp_lt_u32 s47, 0x801
	s_cbranch_scc0 .LBB1020_7
; %bb.2:
	v_cndmask_b32_e64 v1, 0, 1, s35
	s_and_b32 s2, s44, 1
	s_delay_alu instid0(VALU_DEP_1) | instid1(SALU_CYCLE_1)
	v_cmp_ne_u32_e32 vcc_lo, s2, v1
	s_mov_b32 s2, -1
	s_cbranch_vccnz .LBB1020_4
; %bb.3:
	s_mov_b64 s[2:3], src_shared_base
	v_dual_mov_b32 v31, v0 :: v_dual_mov_b32 v40, v0
	v_dual_mov_b32 v0, s36 :: v_dual_mov_b32 v1, s37
	;; [unrolled: 1-line block ×7, first 2 shown]
	s_wait_alu 0xfffe
	v_dual_mov_b32 v12, 0 :: v_dual_mov_b32 v13, s3
	s_add_nc_u64 s[8:9], s[0:1], 0x60
	s_getpc_b64 s[4:5]
	s_sext_i32_i16 s5, s5
	s_add_co_u32 s4, s4, _ZN7rocprim17ROCPRIM_400000_NS6detail40segmented_radix_sort_single_block_helperIslLj256ELj8ELb0EE4sortIPKsPsPKlPlEEbT_T0_T1_T2_jjjjRNS3_12storage_typeE@rel32@lo+8
	s_add_co_ci_u32 s5, s5, _ZN7rocprim17ROCPRIM_400000_NS6detail40segmented_radix_sort_single_block_helperIslLj256ELj8ELb0EE4sortIPKsPsPKlPlEEbT_T0_T1_T2_jjjjRNS3_12storage_typeE@rel32@hi+16
	s_mov_b64 s[22:23], s[0:1]
	s_swappc_b64 s[30:31], s[4:5]
	v_mov_b32_e32 v0, v40
	s_mov_b64 s[0:1], s[22:23]
	s_mov_b32 s2, 0
.LBB1020_4:
	s_wait_alu 0xfffe
	s_and_not1_b32 vcc_lo, exec_lo, s2
	s_wait_alu 0xfffe
	s_cbranch_vccnz .LBB1020_6
; %bb.5:
	s_mov_b64 s[2:3], src_shared_base
	v_dual_mov_b32 v31, v0 :: v_dual_mov_b32 v40, v0
	v_dual_mov_b32 v0, s36 :: v_dual_mov_b32 v1, s37
	v_dual_mov_b32 v2, s38 :: v_dual_mov_b32 v3, s39
	v_dual_mov_b32 v4, s42 :: v_dual_mov_b32 v5, s43
	v_dual_mov_b32 v6, s24 :: v_dual_mov_b32 v7, s25
	v_dual_mov_b32 v8, s33 :: v_dual_mov_b32 v9, s34
	v_dual_mov_b32 v10, s45 :: v_dual_mov_b32 v11, s46
	s_wait_alu 0xfffe
	v_dual_mov_b32 v12, 0 :: v_dual_mov_b32 v13, s3
	s_add_nc_u64 s[8:9], s[0:1], 0x60
	s_getpc_b64 s[4:5]
	s_wait_alu 0xfffe
	s_sext_i32_i16 s5, s5
	s_add_co_u32 s4, s4, _ZN7rocprim17ROCPRIM_400000_NS6detail40segmented_radix_sort_single_block_helperIslLj256ELj8ELb0EE4sortIPKsPsPKlPlEEbT_T0_T1_T2_jjjjRNS3_12storage_typeE@rel32@lo+12
	s_wait_alu 0xfffe
	s_add_co_ci_u32 s5, s5, _ZN7rocprim17ROCPRIM_400000_NS6detail40segmented_radix_sort_single_block_helperIslLj256ELj8ELb0EE4sortIPKsPsPKlPlEEbT_T0_T1_T2_jjjjRNS3_12storage_typeE@rel32@hi+24
	s_mov_b64 s[22:23], s[0:1]
	s_wait_alu 0xfffe
	s_swappc_b64 s[30:31], s[4:5]
	v_mov_b32_e32 v0, v40
	s_mov_b64 s[0:1], s[22:23]
.LBB1020_6:
	s_mov_b32 s2, 0
.LBB1020_7:
	s_wait_alu 0xfffe
	s_and_not1_b32 vcc_lo, exec_lo, s2
	s_wait_alu 0xfffe
	s_cbranch_vccnz .LBB1020_670
; %bb.8:
	s_cmp_ge_u32 s45, s46
	s_cbranch_scc1 .LBB1020_670
; %bb.9:
	v_and_b32_e32 v13, 0x3ff, v0
	v_dual_mov_b32 v1, 0 :: v_dual_and_b32 v2, 3, v0
	v_lshrrev_b32_e32 v4, 3, v0
	v_bfe_u32 v45, v0, 20, 10
	s_delay_alu instid0(VALU_DEP_4) | instskip(NEXT) | instid1(VALU_DEP_4)
	v_dual_mov_b32 v63, 1 :: v_dual_lshlrev_b32 v28, 2, v13
	v_lshlrev_b32_e32 v39, 2, v2
	v_lshlrev_b32_e32 v2, 3, v13
	v_and_b32_e32 v38, 28, v4
	s_delay_alu instid0(VALU_DEP_4)
	v_mad_u32_u24 v40, v13, 12, v28
	v_lshlrev_b32_e32 v4, 5, v13
	v_or_b32_e32 v5, 31, v13
	v_and_b32_e32 v2, 0x700, v2
	v_bfe_u32 v46, v0, 10, 10
	v_mad_u32_u24 v43, v13, 20, v40
	v_lshlrev_b32_e32 v3, 1, v13
	v_cmp_eq_u32_e64 s3, v13, v5
	v_lshlrev_b32_e32 v0, 3, v2
	v_mbcnt_lo_u32_b32 v60, -1, 0
	v_sub_nc_u32_e32 v47, v43, v4
	v_lshlrev_b32_e32 v4, 1, v2
	v_or_b32_e32 v29, 0x100, v13
	v_add_co_u32 v5, s8, s26, v0
	s_wait_alu 0xf1ff
	v_add_co_ci_u32_e64 v6, null, s27, 0, s8
	v_add_co_u32 v7, s8, s40, v4
	s_wait_alu 0xf1ff
	v_add_co_ci_u32_e64 v8, null, s41, 0, s8
	;; [unrolled: 3-line block ×3, first 2 shown]
	v_add_co_u32 v52, s8, s24, v0
	v_lshlrev_b32_e32 v70, 3, v60
	s_wait_alu 0xf1ff
	v_add_co_ci_u32_e64 v53, null, s25, 0, s8
	v_add_co_u32 v54, s8, s38, v4
	v_lshlrev_b32_e32 v78, 1, v60
	s_wait_alu 0xf1ff
	v_add_co_ci_u32_e64 v55, null, s39, 0, s8
	v_add_co_u32 v56, s8, s36, v3
	v_or_b32_e32 v67, v60, v2
	s_wait_alu 0xf1ff
	v_add_co_ci_u32_e64 v57, null, s37, 0, s8
	v_add_co_u32 v58, s8, s42, v0
	v_add_co_u32 v80, vcc_lo, v5, v70
	s_wait_alu 0xf1ff
	v_add_co_ci_u32_e64 v59, null, s43, 0, s8
	v_add_co_u32 v61, s8, s36, v4
	s_wait_alu 0xfffd
	v_add_co_ci_u32_e64 v81, null, 0, v6, vcc_lo
	v_add_co_u32 v82, vcc_lo, v7, v78
	v_mov_b32_e32 v4, 0x7fff7fff
	v_add_co_u32 v32, s2, s40, v3
	v_or_b32_e32 v30, 0x200, v13
	v_or_b32_e32 v31, 0x300, v13
	s_wait_alu 0xf1ff
	v_add_co_ci_u32_e64 v33, null, s41, 0, s2
	v_or_b32_e32 v34, 0x400, v13
	v_or_b32_e32 v35, 0x500, v13
	;; [unrolled: 1-line block ×4, first 2 shown]
	v_cmp_gt_u32_e64 s2, 0x100, v13
	v_or_b32_e32 v41, 0x4400, v38
	v_cmp_gt_u32_e64 s4, 8, v13
	v_add_nc_u32_e32 v42, 0x4400, v28
	v_cmp_lt_u32_e64 s5, 31, v13
	v_add_nc_u32_e32 v44, 0x43fc, v38
	v_cmp_eq_u32_e64 s6, 0, v13
	v_cmp_ne_u32_e64 s7, 0xff, v13
	v_sub_nc_u32_e32 v48, v47, v3
	v_mul_u32_u24_e32 v49, 6, v13
	v_add_co_ci_u32_e64 v62, null, s37, 0, s8
	v_and_b32_e32 v64, 15, v60
	v_bfe_i32 v65, v60, 4, 1
	v_and_b32_e32 v66, 16, v60
	v_and_b32_e32 v68, 7, v60
	v_sub_co_u32 v69, s8, v60, 1
	v_or_b32_e32 v71, 32, v67
	v_or_b32_e32 v72, 64, v67
	;; [unrolled: 1-line block ×7, first 2 shown]
	v_lshlrev_b32_e32 v79, 1, v13
	s_wait_alu 0xfffd
	v_add_co_ci_u32_e64 v83, null, 0, v8, vcc_lo
	s_add_nc_u64 s[28:29], s[0:1], 0x60
	s_mov_b32 s31, 0
	s_mov_b32 s23, s45
	s_branch .LBB1020_12
.LBB1020_10:                            ;   in Loop: Header=BB1020_12 Depth=1
	s_wait_loadcnt_dscnt 0x0
	s_barrier_signal -1
	s_barrier_wait -1
.LBB1020_11:                            ;   in Loop: Header=BB1020_12 Depth=1
	s_add_co_i32 s23, s23, 8
	global_inv scope:SCOPE_SE
	s_wait_alu 0xfffe
	s_cmp_ge_u32 s23, s46
	s_cbranch_scc1 .LBB1020_670
.LBB1020_12:                            ; =>This Loop Header: Depth=1
                                        ;     Child Loop BB1020_16 Depth 2
                                        ;     Child Loop BB1020_64 Depth 2
	;; [unrolled: 1-line block ×8, first 2 shown]
	s_wait_alu 0xfffe
	s_sub_co_i32 s0, s46, s23
	s_xor_b32 s35, s35, -1
	s_wait_alu 0xfffe
	s_min_u32 s0, s0, 8
	ds_store_2addr_stride64_b32 v28, v1, v1 offset1:4
	s_wait_alu 0xfffe
	s_lshl_b32 s0, -1, s0
	ds_store_2addr_stride64_b32 v28, v1, v1 offset0:8 offset1:12
	s_wait_alu 0xfffe
	s_not_b32 s42, s0
	s_cmp_lg_u32 s23, s45
	s_mov_b32 s0, -1
	s_wait_storecnt_dscnt 0x0
	s_cbranch_scc0 .LBB1020_342
; %bb.13:                               ;   in Loop: Header=BB1020_12 Depth=1
	s_and_b32 vcc_lo, exec_lo, s35
	s_wait_alu 0xfffe
	s_cbranch_vccz .LBB1020_177
; %bb.14:                               ;   in Loop: Header=BB1020_12 Depth=1
	v_dual_mov_b32 v0, v1 :: v_dual_mov_b32 v3, v1
	v_mov_b32_e32 v2, v1
	s_mov_b32 s9, s47
	s_mov_b32 s30, s33
	s_barrier_signal -1
	s_delay_alu instid0(VALU_DEP_1)
	v_dual_mov_b32 v8, v3 :: v_dual_mov_b32 v7, v2
	v_dual_mov_b32 v6, v1 :: v_dual_mov_b32 v5, v0
	s_barrier_wait -1
	global_inv scope:SCOPE_SE
	s_branch .LBB1020_16
.LBB1020_15:                            ;   in Loop: Header=BB1020_16 Depth=2
	s_wait_alu 0xfffe
	s_or_b32 exec_lo, exec_lo, s0
	s_addk_co_i32 s9, 0xf800
	s_cmp_ge_u32 s10, s34
	s_mov_b32 s30, s10
	s_cbranch_scc1 .LBB1020_52
.LBB1020_16:                            ;   Parent Loop BB1020_12 Depth=1
                                        ; =>  This Inner Loop Header: Depth=2
	s_wait_alu 0xfffe
	s_add_co_i32 s10, s30, 0x800
	s_mov_b32 s0, -1
	s_wait_alu 0xfffe
	s_cmp_gt_u32 s10, s34
                                        ; implicit-def: $vgpr9_vgpr10_vgpr11_vgpr12
	s_cbranch_scc1 .LBB1020_18
; %bb.17:                               ;   in Loop: Header=BB1020_16 Depth=2
	s_lshl_b64 s[0:1], s[30:31], 1
	s_wait_alu 0xfffe
	v_add_co_u32 v2, vcc_lo, v32, s0
	s_wait_alu 0xfffd
	v_add_co_ci_u32_e64 v3, null, s1, v33, vcc_lo
	s_mov_b32 s0, 0
	s_clause 0x3
	global_load_u16 v9, v[2:3], off
	global_load_u16 v10, v[2:3], off offset:1024
	global_load_u16 v11, v[2:3], off offset:2048
	;; [unrolled: 1-line block ×3, first 2 shown]
	s_wait_loadcnt 0x3
	global_load_d16_hi_b16 v9, v[2:3], off offset:512
	s_wait_loadcnt 0x3
	global_load_d16_hi_b16 v10, v[2:3], off offset:1536
	;; [unrolled: 2-line block ×4, first 2 shown]
.LBB1020_18:                            ;   in Loop: Header=BB1020_16 Depth=2
	s_wait_alu 0xfffe
	s_and_not1_b32 vcc_lo, exec_lo, s0
	s_movk_i32 s0, 0x800
	s_wait_alu 0xfffe
	s_cbranch_vccnz .LBB1020_29
; %bb.19:                               ;   in Loop: Header=BB1020_16 Depth=2
	s_lshl_b64 s[0:1], s[30:31], 1
	s_mov_b32 s11, exec_lo
	s_wait_alu 0xfffe
	s_add_nc_u64 s[0:1], s[40:41], s[0:1]
	v_cmpx_gt_u32_e64 s9, v13
	s_cbranch_execnz .LBB1020_45
; %bb.20:                               ;   in Loop: Header=BB1020_16 Depth=2
	s_or_b32 exec_lo, exec_lo, s11
	s_delay_alu instid0(SALU_CYCLE_1)
	s_mov_b32 s11, exec_lo
	v_cmpx_gt_u32_e64 s9, v29
	s_cbranch_execnz .LBB1020_46
.LBB1020_21:                            ;   in Loop: Header=BB1020_16 Depth=2
	s_wait_alu 0xfffe
	s_or_b32 exec_lo, exec_lo, s11
	s_delay_alu instid0(SALU_CYCLE_1)
	s_mov_b32 s11, exec_lo
	v_cmpx_gt_u32_e64 s9, v30
	s_cbranch_execnz .LBB1020_47
.LBB1020_22:                            ;   in Loop: Header=BB1020_16 Depth=2
	s_wait_alu 0xfffe
	s_or_b32 exec_lo, exec_lo, s11
	s_delay_alu instid0(SALU_CYCLE_1)
	s_mov_b32 s11, exec_lo
	v_cmpx_gt_u32_e64 s9, v31
	s_cbranch_execnz .LBB1020_48
.LBB1020_23:                            ;   in Loop: Header=BB1020_16 Depth=2
	s_wait_alu 0xfffe
	s_or_b32 exec_lo, exec_lo, s11
	s_delay_alu instid0(SALU_CYCLE_1)
	s_mov_b32 s11, exec_lo
	v_cmpx_gt_u32_e64 s9, v34
	s_cbranch_execnz .LBB1020_49
.LBB1020_24:                            ;   in Loop: Header=BB1020_16 Depth=2
	s_wait_alu 0xfffe
	s_or_b32 exec_lo, exec_lo, s11
	s_delay_alu instid0(SALU_CYCLE_1)
	s_mov_b32 s11, exec_lo
	v_cmpx_gt_u32_e64 s9, v35
	s_cbranch_execnz .LBB1020_50
.LBB1020_25:                            ;   in Loop: Header=BB1020_16 Depth=2
	s_wait_alu 0xfffe
	s_or_b32 exec_lo, exec_lo, s11
	s_delay_alu instid0(SALU_CYCLE_1)
	s_mov_b32 s11, exec_lo
	v_cmpx_gt_u32_e64 s9, v36
	s_cbranch_execnz .LBB1020_51
.LBB1020_26:                            ;   in Loop: Header=BB1020_16 Depth=2
	s_wait_alu 0xfffe
	s_or_b32 exec_lo, exec_lo, s11
	s_delay_alu instid0(SALU_CYCLE_1)
	s_mov_b32 s11, exec_lo
	v_cmpx_gt_u32_e64 s9, v37
	s_cbranch_execz .LBB1020_28
.LBB1020_27:                            ;   in Loop: Header=BB1020_16 Depth=2
	s_wait_loadcnt 0x0
	global_load_d16_hi_b16 v8, v79, s[0:1] offset:3584
.LBB1020_28:                            ;   in Loop: Header=BB1020_16 Depth=2
	s_wait_alu 0xfffe
	s_or_b32 exec_lo, exec_lo, s11
	s_wait_loadcnt 0x0
	v_dual_mov_b32 v12, v8 :: v_dual_mov_b32 v11, v7
	v_dual_mov_b32 v10, v6 :: v_dual_mov_b32 v9, v5
	s_mov_b32 s0, s9
.LBB1020_29:                            ;   in Loop: Header=BB1020_16 Depth=2
	s_wait_loadcnt 0x0
	s_delay_alu instid0(VALU_DEP_1)
	v_dual_mov_b32 v5, v9 :: v_dual_mov_b32 v6, v10
	v_dual_mov_b32 v7, v11 :: v_dual_mov_b32 v8, v12
	s_mov_b32 s1, exec_lo
	s_wait_alu 0xfffe
	v_cmpx_gt_u32_e64 s0, v13
	s_cbranch_execnz .LBB1020_37
; %bb.30:                               ;   in Loop: Header=BB1020_16 Depth=2
	s_or_b32 exec_lo, exec_lo, s1
	s_delay_alu instid0(SALU_CYCLE_1)
	s_mov_b32 s1, exec_lo
	v_cmpx_gt_u32_e64 s0, v29
	s_cbranch_execnz .LBB1020_38
.LBB1020_31:                            ;   in Loop: Header=BB1020_16 Depth=2
	s_wait_alu 0xfffe
	s_or_b32 exec_lo, exec_lo, s1
	s_delay_alu instid0(SALU_CYCLE_1)
	s_mov_b32 s1, exec_lo
	v_cmpx_gt_u32_e64 s0, v30
	s_cbranch_execnz .LBB1020_39
.LBB1020_32:                            ;   in Loop: Header=BB1020_16 Depth=2
	s_wait_alu 0xfffe
	s_or_b32 exec_lo, exec_lo, s1
	s_delay_alu instid0(SALU_CYCLE_1)
	s_mov_b32 s1, exec_lo
	v_cmpx_gt_u32_e64 s0, v31
	s_cbranch_execnz .LBB1020_40
.LBB1020_33:                            ;   in Loop: Header=BB1020_16 Depth=2
	s_wait_alu 0xfffe
	s_or_b32 exec_lo, exec_lo, s1
	s_delay_alu instid0(SALU_CYCLE_1)
	s_mov_b32 s1, exec_lo
	v_cmpx_gt_u32_e64 s0, v34
	s_cbranch_execnz .LBB1020_41
.LBB1020_34:                            ;   in Loop: Header=BB1020_16 Depth=2
	s_wait_alu 0xfffe
	s_or_b32 exec_lo, exec_lo, s1
	s_delay_alu instid0(SALU_CYCLE_1)
	s_mov_b32 s1, exec_lo
	v_cmpx_gt_u32_e64 s0, v35
	s_cbranch_execnz .LBB1020_42
.LBB1020_35:                            ;   in Loop: Header=BB1020_16 Depth=2
	s_wait_alu 0xfffe
	s_or_b32 exec_lo, exec_lo, s1
	s_delay_alu instid0(SALU_CYCLE_1)
	s_mov_b32 s1, exec_lo
	v_cmpx_gt_u32_e64 s0, v36
	s_cbranch_execnz .LBB1020_43
.LBB1020_36:                            ;   in Loop: Header=BB1020_16 Depth=2
	s_wait_alu 0xfffe
	s_or_b32 exec_lo, exec_lo, s1
	v_cmp_gt_u32_e32 vcc_lo, s0, v37
	s_and_saveexec_b32 s0, vcc_lo
	s_cbranch_execz .LBB1020_15
	s_branch .LBB1020_44
.LBB1020_37:                            ;   in Loop: Header=BB1020_16 Depth=2
	v_xor_b32_e32 v0, 0xffff8000, v5
	s_delay_alu instid0(VALU_DEP_1) | instskip(NEXT) | instid1(VALU_DEP_1)
	v_and_b32_e32 v0, 0xffff, v0
	v_lshrrev_b32_e32 v0, s23, v0
	s_delay_alu instid0(VALU_DEP_1) | instskip(NEXT) | instid1(VALU_DEP_1)
	v_and_b32_e32 v0, s42, v0
	v_lshl_or_b32 v0, v0, 4, v39
	ds_add_u32 v0, v63
	s_or_b32 exec_lo, exec_lo, s1
	s_delay_alu instid0(SALU_CYCLE_1)
	s_mov_b32 s1, exec_lo
	v_cmpx_gt_u32_e64 s0, v29
	s_cbranch_execz .LBB1020_31
.LBB1020_38:                            ;   in Loop: Header=BB1020_16 Depth=2
	v_lshrrev_b32_e32 v0, 16, v5
	s_delay_alu instid0(VALU_DEP_1) | instskip(NEXT) | instid1(VALU_DEP_1)
	v_xor_b32_e32 v0, 0xffff8000, v0
	v_and_b32_e32 v0, 0xffff, v0
	s_delay_alu instid0(VALU_DEP_1) | instskip(NEXT) | instid1(VALU_DEP_1)
	v_lshrrev_b32_e32 v0, s23, v0
	v_and_b32_e32 v0, s42, v0
	s_delay_alu instid0(VALU_DEP_1) | instskip(SKIP_3) | instid1(SALU_CYCLE_1)
	v_lshl_or_b32 v0, v0, 4, v39
	ds_add_u32 v0, v63
	s_wait_alu 0xfffe
	s_or_b32 exec_lo, exec_lo, s1
	s_mov_b32 s1, exec_lo
	v_cmpx_gt_u32_e64 s0, v30
	s_cbranch_execz .LBB1020_32
.LBB1020_39:                            ;   in Loop: Header=BB1020_16 Depth=2
	v_xor_b32_e32 v0, 0xffff8000, v6
	s_delay_alu instid0(VALU_DEP_1) | instskip(NEXT) | instid1(VALU_DEP_1)
	v_and_b32_e32 v0, 0xffff, v0
	v_lshrrev_b32_e32 v0, s23, v0
	s_delay_alu instid0(VALU_DEP_1) | instskip(NEXT) | instid1(VALU_DEP_1)
	v_and_b32_e32 v0, s42, v0
	v_lshl_or_b32 v0, v0, 4, v39
	ds_add_u32 v0, v63
	s_wait_alu 0xfffe
	s_or_b32 exec_lo, exec_lo, s1
	s_delay_alu instid0(SALU_CYCLE_1)
	s_mov_b32 s1, exec_lo
	v_cmpx_gt_u32_e64 s0, v31
	s_cbranch_execz .LBB1020_33
.LBB1020_40:                            ;   in Loop: Header=BB1020_16 Depth=2
	v_lshrrev_b32_e32 v0, 16, v6
	s_delay_alu instid0(VALU_DEP_1) | instskip(NEXT) | instid1(VALU_DEP_1)
	v_xor_b32_e32 v0, 0xffff8000, v0
	v_and_b32_e32 v0, 0xffff, v0
	s_delay_alu instid0(VALU_DEP_1) | instskip(NEXT) | instid1(VALU_DEP_1)
	v_lshrrev_b32_e32 v0, s23, v0
	v_and_b32_e32 v0, s42, v0
	s_delay_alu instid0(VALU_DEP_1) | instskip(SKIP_3) | instid1(SALU_CYCLE_1)
	v_lshl_or_b32 v0, v0, 4, v39
	ds_add_u32 v0, v63
	s_wait_alu 0xfffe
	s_or_b32 exec_lo, exec_lo, s1
	s_mov_b32 s1, exec_lo
	v_cmpx_gt_u32_e64 s0, v34
	s_cbranch_execz .LBB1020_34
.LBB1020_41:                            ;   in Loop: Header=BB1020_16 Depth=2
	v_xor_b32_e32 v0, 0xffff8000, v7
	s_delay_alu instid0(VALU_DEP_1) | instskip(NEXT) | instid1(VALU_DEP_1)
	v_and_b32_e32 v0, 0xffff, v0
	v_lshrrev_b32_e32 v0, s23, v0
	s_delay_alu instid0(VALU_DEP_1) | instskip(NEXT) | instid1(VALU_DEP_1)
	v_and_b32_e32 v0, s42, v0
	v_lshl_or_b32 v0, v0, 4, v39
	ds_add_u32 v0, v63
	s_wait_alu 0xfffe
	s_or_b32 exec_lo, exec_lo, s1
	s_delay_alu instid0(SALU_CYCLE_1)
	s_mov_b32 s1, exec_lo
	v_cmpx_gt_u32_e64 s0, v35
	s_cbranch_execz .LBB1020_35
.LBB1020_42:                            ;   in Loop: Header=BB1020_16 Depth=2
	v_lshrrev_b32_e32 v0, 16, v7
	s_delay_alu instid0(VALU_DEP_1) | instskip(NEXT) | instid1(VALU_DEP_1)
	v_xor_b32_e32 v0, 0xffff8000, v0
	v_and_b32_e32 v0, 0xffff, v0
	s_delay_alu instid0(VALU_DEP_1) | instskip(NEXT) | instid1(VALU_DEP_1)
	v_lshrrev_b32_e32 v0, s23, v0
	v_and_b32_e32 v0, s42, v0
	s_delay_alu instid0(VALU_DEP_1) | instskip(SKIP_3) | instid1(SALU_CYCLE_1)
	v_lshl_or_b32 v0, v0, 4, v39
	ds_add_u32 v0, v63
	s_wait_alu 0xfffe
	s_or_b32 exec_lo, exec_lo, s1
	s_mov_b32 s1, exec_lo
	v_cmpx_gt_u32_e64 s0, v36
	s_cbranch_execz .LBB1020_36
.LBB1020_43:                            ;   in Loop: Header=BB1020_16 Depth=2
	v_xor_b32_e32 v0, 0xffff8000, v8
	s_delay_alu instid0(VALU_DEP_1) | instskip(NEXT) | instid1(VALU_DEP_1)
	v_and_b32_e32 v0, 0xffff, v0
	v_lshrrev_b32_e32 v0, s23, v0
	s_delay_alu instid0(VALU_DEP_1) | instskip(NEXT) | instid1(VALU_DEP_1)
	v_and_b32_e32 v0, s42, v0
	v_lshl_or_b32 v0, v0, 4, v39
	ds_add_u32 v0, v63
	s_wait_alu 0xfffe
	s_or_b32 exec_lo, exec_lo, s1
	v_cmp_gt_u32_e32 vcc_lo, s0, v37
	s_and_saveexec_b32 s0, vcc_lo
	s_cbranch_execz .LBB1020_15
.LBB1020_44:                            ;   in Loop: Header=BB1020_16 Depth=2
	v_lshrrev_b32_e32 v0, 16, v8
	s_delay_alu instid0(VALU_DEP_1) | instskip(NEXT) | instid1(VALU_DEP_1)
	v_xor_b32_e32 v0, 0xffff8000, v0
	v_and_b32_e32 v0, 0xffff, v0
	s_delay_alu instid0(VALU_DEP_1) | instskip(NEXT) | instid1(VALU_DEP_1)
	v_lshrrev_b32_e32 v0, s23, v0
	v_and_b32_e32 v0, s42, v0
	s_delay_alu instid0(VALU_DEP_1)
	v_lshl_or_b32 v0, v0, 4, v39
	ds_add_u32 v0, v63
	s_branch .LBB1020_15
.LBB1020_45:                            ;   in Loop: Header=BB1020_16 Depth=2
	global_load_d16_b16 v5, v79, s[0:1]
	s_or_b32 exec_lo, exec_lo, s11
	s_delay_alu instid0(SALU_CYCLE_1)
	s_mov_b32 s11, exec_lo
	v_cmpx_gt_u32_e64 s9, v29
	s_cbranch_execz .LBB1020_21
.LBB1020_46:                            ;   in Loop: Header=BB1020_16 Depth=2
	s_wait_loadcnt 0x0
	global_load_d16_hi_b16 v5, v79, s[0:1] offset:512
	s_wait_alu 0xfffe
	s_or_b32 exec_lo, exec_lo, s11
	s_delay_alu instid0(SALU_CYCLE_1)
	s_mov_b32 s11, exec_lo
	v_cmpx_gt_u32_e64 s9, v30
	s_cbranch_execz .LBB1020_22
.LBB1020_47:                            ;   in Loop: Header=BB1020_16 Depth=2
	global_load_d16_b16 v6, v79, s[0:1] offset:1024
	s_wait_alu 0xfffe
	s_or_b32 exec_lo, exec_lo, s11
	s_delay_alu instid0(SALU_CYCLE_1)
	s_mov_b32 s11, exec_lo
	v_cmpx_gt_u32_e64 s9, v31
	s_cbranch_execz .LBB1020_23
.LBB1020_48:                            ;   in Loop: Header=BB1020_16 Depth=2
	s_wait_loadcnt 0x0
	global_load_d16_hi_b16 v6, v79, s[0:1] offset:1536
	s_wait_alu 0xfffe
	s_or_b32 exec_lo, exec_lo, s11
	s_delay_alu instid0(SALU_CYCLE_1)
	s_mov_b32 s11, exec_lo
	v_cmpx_gt_u32_e64 s9, v34
	s_cbranch_execz .LBB1020_24
.LBB1020_49:                            ;   in Loop: Header=BB1020_16 Depth=2
	global_load_d16_b16 v7, v79, s[0:1] offset:2048
	s_wait_alu 0xfffe
	s_or_b32 exec_lo, exec_lo, s11
	s_delay_alu instid0(SALU_CYCLE_1)
	s_mov_b32 s11, exec_lo
	v_cmpx_gt_u32_e64 s9, v35
	s_cbranch_execz .LBB1020_25
.LBB1020_50:                            ;   in Loop: Header=BB1020_16 Depth=2
	s_wait_loadcnt 0x0
	global_load_d16_hi_b16 v7, v79, s[0:1] offset:2560
	s_wait_alu 0xfffe
	s_or_b32 exec_lo, exec_lo, s11
	s_delay_alu instid0(SALU_CYCLE_1)
	s_mov_b32 s11, exec_lo
	v_cmpx_gt_u32_e64 s9, v36
	s_cbranch_execz .LBB1020_26
.LBB1020_51:                            ;   in Loop: Header=BB1020_16 Depth=2
	global_load_d16_b16 v8, v79, s[0:1] offset:3072
	s_wait_alu 0xfffe
	s_or_b32 exec_lo, exec_lo, s11
	s_delay_alu instid0(SALU_CYCLE_1)
	s_mov_b32 s11, exec_lo
	v_cmpx_gt_u32_e64 s9, v37
	s_cbranch_execnz .LBB1020_27
	s_branch .LBB1020_28
.LBB1020_52:                            ;   in Loop: Header=BB1020_12 Depth=1
	v_mov_b32_e32 v0, 0
	s_wait_dscnt 0x0
	s_barrier_signal -1
	s_barrier_wait -1
	global_inv scope:SCOPE_SE
	s_and_saveexec_b32 s0, s2
	s_cbranch_execz .LBB1020_54
; %bb.53:                               ;   in Loop: Header=BB1020_12 Depth=1
	ds_load_2addr_b64 v[5:8], v40 offset1:1
	s_wait_dscnt 0x0
	v_add_nc_u32_e32 v0, v6, v5
	s_delay_alu instid0(VALU_DEP_1)
	v_add3_u32 v0, v0, v7, v8
.LBB1020_54:                            ;   in Loop: Header=BB1020_12 Depth=1
	s_wait_alu 0xfffe
	s_or_b32 exec_lo, exec_lo, s0
	s_delay_alu instid0(VALU_DEP_1)
	v_mov_b32_dpp v2, v0 row_shr:1 row_mask:0xf bank_mask:0xf
	v_cmp_eq_u32_e64 s0, 0, v64
	v_cmp_lt_u32_e64 s1, 1, v64
	v_cmp_lt_u32_e64 s9, 3, v64
	;; [unrolled: 1-line block ×3, first 2 shown]
	v_cmp_eq_u32_e64 s11, 0, v66
	s_wait_alu 0xf1ff
	v_cndmask_b32_e64 v2, v2, 0, s0
	s_delay_alu instid0(VALU_DEP_1) | instskip(NEXT) | instid1(VALU_DEP_1)
	v_add_nc_u32_e32 v0, v2, v0
	v_mov_b32_dpp v2, v0 row_shr:2 row_mask:0xf bank_mask:0xf
	s_delay_alu instid0(VALU_DEP_1) | instskip(NEXT) | instid1(VALU_DEP_1)
	v_cndmask_b32_e64 v2, 0, v2, s1
	v_add_nc_u32_e32 v0, v0, v2
	s_delay_alu instid0(VALU_DEP_1) | instskip(NEXT) | instid1(VALU_DEP_1)
	v_mov_b32_dpp v2, v0 row_shr:4 row_mask:0xf bank_mask:0xf
	v_cndmask_b32_e64 v2, 0, v2, s9
	s_delay_alu instid0(VALU_DEP_1) | instskip(NEXT) | instid1(VALU_DEP_1)
	v_add_nc_u32_e32 v0, v0, v2
	v_mov_b32_dpp v2, v0 row_shr:8 row_mask:0xf bank_mask:0xf
	s_delay_alu instid0(VALU_DEP_1) | instskip(NEXT) | instid1(VALU_DEP_1)
	v_cndmask_b32_e64 v2, 0, v2, s10
	v_add_nc_u32_e32 v0, v0, v2
	ds_swizzle_b32 v2, v0 offset:swizzle(BROADCAST,32,15)
	s_wait_dscnt 0x0
	v_and_b32_e32 v2, v65, v2
	s_delay_alu instid0(VALU_DEP_1)
	v_add_nc_u32_e32 v0, v0, v2
	s_and_saveexec_b32 s12, s3
; %bb.55:                               ;   in Loop: Header=BB1020_12 Depth=1
	ds_store_b32 v41, v0
; %bb.56:                               ;   in Loop: Header=BB1020_12 Depth=1
	s_wait_alu 0xfffe
	s_or_b32 exec_lo, exec_lo, s12
	s_wait_loadcnt_dscnt 0x0
	s_barrier_signal -1
	s_barrier_wait -1
	global_inv scope:SCOPE_SE
	s_and_saveexec_b32 s12, s4
	s_cbranch_execz .LBB1020_58
; %bb.57:                               ;   in Loop: Header=BB1020_12 Depth=1
	ds_load_b32 v2, v42
	v_cmp_ne_u32_e32 vcc_lo, 0, v68
	s_wait_dscnt 0x0
	v_mov_b32_dpp v3, v2 row_shr:1 row_mask:0xf bank_mask:0xf
	s_wait_alu 0xfffd
	s_delay_alu instid0(VALU_DEP_1) | instskip(SKIP_1) | instid1(VALU_DEP_2)
	v_cndmask_b32_e32 v3, 0, v3, vcc_lo
	v_cmp_lt_u32_e32 vcc_lo, 1, v68
	v_add_nc_u32_e32 v2, v3, v2
	s_delay_alu instid0(VALU_DEP_1) | instskip(SKIP_1) | instid1(VALU_DEP_1)
	v_mov_b32_dpp v3, v2 row_shr:2 row_mask:0xf bank_mask:0xf
	s_wait_alu 0xfffd
	v_cndmask_b32_e32 v3, 0, v3, vcc_lo
	v_cmp_lt_u32_e32 vcc_lo, 3, v68
	s_delay_alu instid0(VALU_DEP_2) | instskip(NEXT) | instid1(VALU_DEP_1)
	v_add_nc_u32_e32 v2, v2, v3
	v_mov_b32_dpp v3, v2 row_shr:4 row_mask:0xf bank_mask:0xf
	s_wait_alu 0xfffd
	s_delay_alu instid0(VALU_DEP_1) | instskip(NEXT) | instid1(VALU_DEP_1)
	v_cndmask_b32_e32 v3, 0, v3, vcc_lo
	v_add_nc_u32_e32 v2, v2, v3
	ds_store_b32 v42, v2
.LBB1020_58:                            ;   in Loop: Header=BB1020_12 Depth=1
	s_wait_alu 0xfffe
	s_or_b32 exec_lo, exec_lo, s12
	v_mov_b32_e32 v2, 0
	s_wait_loadcnt_dscnt 0x0
	s_barrier_signal -1
	s_barrier_wait -1
	global_inv scope:SCOPE_SE
	s_and_saveexec_b32 s12, s5
; %bb.59:                               ;   in Loop: Header=BB1020_12 Depth=1
	ds_load_b32 v2, v44
; %bb.60:                               ;   in Loop: Header=BB1020_12 Depth=1
	s_wait_alu 0xfffe
	s_or_b32 exec_lo, exec_lo, s12
	v_cmp_gt_i32_e32 vcc_lo, 0, v69
	s_wait_dscnt 0x0
	v_add_nc_u32_e32 v0, v2, v0
	s_wait_loadcnt 0x0
	s_barrier_signal -1
	s_barrier_wait -1
	s_wait_alu 0xfffd
	v_cndmask_b32_e32 v3, v69, v60, vcc_lo
	global_inv scope:SCOPE_SE
	v_lshlrev_b32_e32 v84, 2, v3
	ds_bpermute_b32 v0, v84, v0
	s_and_saveexec_b32 s12, s2
	s_cbranch_execz .LBB1020_62
; %bb.61:                               ;   in Loop: Header=BB1020_12 Depth=1
	s_wait_dscnt 0x0
	v_cndmask_b32_e64 v0, v0, v2, s8
	s_delay_alu instid0(VALU_DEP_1)
	v_add_nc_u32_e32 v0, s33, v0
	ds_store_b32 v28, v0
.LBB1020_62:                            ;   in Loop: Header=BB1020_12 Depth=1
	s_wait_alu 0xfffe
	s_or_b32 exec_lo, exec_lo, s12
	s_clause 0x1
	s_load_b32 s12, s[28:29], 0x4
	s_load_b32 s14, s[28:29], 0xc
	s_mov_b32 s43, s47
                                        ; implicit-def: $vgpr9_vgpr10
                                        ; implicit-def: $vgpr11_vgpr12
                                        ; implicit-def: $vgpr16_vgpr17
                                        ; implicit-def: $vgpr18_vgpr19
                                        ; implicit-def: $vgpr20_vgpr21
                                        ; implicit-def: $vgpr22_vgpr23
                                        ; implicit-def: $vgpr86
                                        ; implicit-def: $vgpr87
                                        ; implicit-def: $vgpr88
                                        ; implicit-def: $vgpr89
                                        ; implicit-def: $vgpr90
                                        ; implicit-def: $vgpr91
                                        ; implicit-def: $vgpr92
                                        ; implicit-def: $vgpr93
	s_wait_kmcnt 0x0
	s_cmp_lt_u32 ttmp7, s12
	s_cselect_b32 s30, 14, 20
	s_wait_alu 0xfffe
	s_add_nc_u64 s[12:13], s[28:29], s[30:31]
	s_mov_b32 s30, s33
	s_load_u16 s12, s[12:13], 0x0
	v_cmp_lt_u32_e64 s13, 1, v68
	s_wait_dscnt 0x0
	s_wait_kmcnt 0x0
	v_mad_u32_u24 v0, v45, s12, v46
	s_and_b32 s12, s14, 0xffff
	v_cmp_lt_u32_e64 s14, 3, v68
	s_wait_alu 0xfffe
	s_delay_alu instid0(VALU_DEP_2) | instskip(SKIP_1) | instid1(VALU_DEP_2)
	v_mad_co_u64_u32 v[2:3], null, v0, s12, v[13:14]
	v_cmp_eq_u32_e64 s12, 0, v68
                                        ; implicit-def: $vgpr14_vgpr15
	v_lshrrev_b32_e32 v0, 3, v2
                                        ; implicit-def: $vgpr2_vgpr3
	s_delay_alu instid0(VALU_DEP_1)
	v_and_b32_e32 v85, 0x1ffffffc, v0
	s_branch .LBB1020_64
.LBB1020_63:                            ;   in Loop: Header=BB1020_64 Depth=2
	s_wait_alu 0xfffe
	s_or_b32 exec_lo, exec_lo, s15
	s_addk_co_i32 s43, 0xf800
	s_cmp_lt_u32 s44, s34
	s_mov_b32 s30, s44
	s_cbranch_scc0 .LBB1020_176
.LBB1020_64:                            ;   Parent Loop BB1020_12 Depth=1
                                        ; =>  This Inner Loop Header: Depth=2
	s_wait_alu 0xfffe
	s_add_co_i32 s44, s30, 0x800
	s_wait_alu 0xfffe
	s_cmp_gt_u32 s44, s34
	s_cbranch_scc1 .LBB1020_66
; %bb.65:                               ;   in Loop: Header=BB1020_64 Depth=2
	s_lshl_b64 s[16:17], s[30:31], 1
	s_mov_b32 s15, -1
	s_wait_alu 0xfffe
	v_add_co_u32 v24, vcc_lo, v82, s16
	s_wait_alu 0xfffd
	v_add_co_ci_u32_e64 v25, null, s17, v83, vcc_lo
	s_clause 0x3
	global_load_u16 v5, v[24:25], off
	global_load_u16 v6, v[24:25], off offset:128
	global_load_u16 v7, v[24:25], off offset:256
	global_load_d16_b16 v8, v[24:25], off offset:384
	s_wait_loadcnt 0x3
	global_load_d16_hi_b16 v5, v[24:25], off offset:64
	s_wait_loadcnt 0x3
	global_load_d16_hi_b16 v6, v[24:25], off offset:192
	;; [unrolled: 2-line block ×3, first 2 shown]
	s_movk_i32 s16, 0x800
	s_cbranch_execz .LBB1020_67
	s_branch .LBB1020_76
.LBB1020_66:                            ;   in Loop: Header=BB1020_64 Depth=2
	s_mov_b32 s15, 0
                                        ; implicit-def: $vgpr5_vgpr6_vgpr7_vgpr8
	s_movk_i32 s16, 0x800
.LBB1020_67:                            ;   in Loop: Header=BB1020_64 Depth=2
	s_wait_loadcnt 0x0
	v_mov_b32_e32 v7, v4
	s_lshl_b64 s[16:17], s[30:31], 1
	v_dual_mov_b32 v5, v4 :: v_dual_mov_b32 v6, v4
	s_wait_alu 0xfffe
	v_add_co_u32 v24, vcc_lo, v82, s16
	v_mov_b32_e32 v8, v7
	s_wait_alu 0xfffd
	v_add_co_ci_u32_e64 v25, null, s17, v83, vcc_lo
	v_mov_b32_e32 v7, v6
	v_mov_b32_e32 v6, v5
	;; [unrolled: 1-line block ×3, first 2 shown]
	s_mov_b32 s15, exec_lo
	v_cmpx_gt_u32_e64 s43, v67
	s_cbranch_execnz .LBB1020_170
; %bb.68:                               ;   in Loop: Header=BB1020_64 Depth=2
	s_wait_alu 0xfffe
	s_or_b32 exec_lo, exec_lo, s15
	s_delay_alu instid0(SALU_CYCLE_1)
	s_mov_b32 s15, exec_lo
	v_cmpx_gt_u32_e64 s43, v71
	s_cbranch_execnz .LBB1020_171
.LBB1020_69:                            ;   in Loop: Header=BB1020_64 Depth=2
	s_wait_alu 0xfffe
	s_or_b32 exec_lo, exec_lo, s15
	s_delay_alu instid0(SALU_CYCLE_1)
	s_mov_b32 s15, exec_lo
	v_cmpx_gt_u32_e64 s43, v72
	s_cbranch_execnz .LBB1020_172
.LBB1020_70:                            ;   in Loop: Header=BB1020_64 Depth=2
	s_wait_alu 0xfffe
	s_or_b32 exec_lo, exec_lo, s15
	s_delay_alu instid0(SALU_CYCLE_1)
	s_mov_b32 s15, exec_lo
	v_cmpx_gt_u32_e64 s43, v73
	s_cbranch_execnz .LBB1020_173
.LBB1020_71:                            ;   in Loop: Header=BB1020_64 Depth=2
	s_wait_alu 0xfffe
	s_or_b32 exec_lo, exec_lo, s15
	s_delay_alu instid0(SALU_CYCLE_1)
	s_mov_b32 s15, exec_lo
	v_cmpx_gt_u32_e64 s43, v74
	s_cbranch_execnz .LBB1020_174
.LBB1020_72:                            ;   in Loop: Header=BB1020_64 Depth=2
	s_wait_alu 0xfffe
	s_or_b32 exec_lo, exec_lo, s15
	s_delay_alu instid0(SALU_CYCLE_1)
	s_mov_b32 s15, exec_lo
	v_cmpx_gt_u32_e64 s43, v75
	s_cbranch_execnz .LBB1020_175
.LBB1020_73:                            ;   in Loop: Header=BB1020_64 Depth=2
	s_wait_alu 0xfffe
	s_or_b32 exec_lo, exec_lo, s15
	s_delay_alu instid0(SALU_CYCLE_1)
	s_mov_b32 s15, exec_lo
	v_cmpx_gt_u32_e64 s43, v76
	s_cbranch_execz .LBB1020_75
.LBB1020_74:                            ;   in Loop: Header=BB1020_64 Depth=2
	global_load_d16_b16 v8, v[24:25], off offset:384
.LBB1020_75:                            ;   in Loop: Header=BB1020_64 Depth=2
	s_wait_alu 0xfffe
	s_or_b32 exec_lo, exec_lo, s15
	v_cmp_gt_u32_e64 s15, s43, v77
	s_sub_co_i32 s16, s34, s30
.LBB1020_76:                            ;   in Loop: Header=BB1020_64 Depth=2
	v_mov_b32_e32 v94, s43
	s_and_saveexec_b32 s17, s15
	s_cbranch_execz .LBB1020_78
; %bb.77:                               ;   in Loop: Header=BB1020_64 Depth=2
	s_lshl_b64 s[18:19], s[30:31], 1
	s_wait_alu 0xfffe
	v_mov_b32_e32 v94, s16
	v_add_co_u32 v24, vcc_lo, v82, s18
	s_wait_alu 0xfffd
	v_add_co_ci_u32_e64 v25, null, s19, v83, vcc_lo
	s_wait_loadcnt 0x0
	global_load_d16_hi_b16 v8, v[24:25], off offset:448
.LBB1020_78:                            ;   in Loop: Header=BB1020_64 Depth=2
	s_wait_alu 0xfffe
	s_or_b32 exec_lo, exec_lo, s17
	s_wait_loadcnt 0x0
	v_xor_b32_e32 v0, 0xffff8000, v5
	s_delay_alu instid0(VALU_DEP_1) | instskip(NEXT) | instid1(VALU_DEP_1)
	v_and_b32_e32 v24, 0xffff, v0
	v_lshrrev_b32_e32 v24, s23, v24
	s_delay_alu instid0(VALU_DEP_1) | instskip(NEXT) | instid1(VALU_DEP_1)
	v_and_b32_e32 v25, s42, v24
	v_and_b32_e32 v24, 1, v25
	v_lshlrev_b32_e32 v26, 30, v25
	v_lshlrev_b32_e32 v27, 29, v25
	;; [unrolled: 1-line block ×4, first 2 shown]
	v_add_co_u32 v24, s15, v24, -1
	s_wait_alu 0xf1ff
	v_cndmask_b32_e64 v96, 0, 1, s15
	v_not_b32_e32 v100, v26
	v_cmp_gt_i32_e64 s15, 0, v26
	v_not_b32_e32 v26, v27
	v_lshlrev_b32_e32 v98, 26, v25
	v_cmp_ne_u32_e32 vcc_lo, 0, v96
	v_ashrrev_i32_e32 v100, 31, v100
	v_lshlrev_b32_e32 v99, 25, v25
	v_ashrrev_i32_e32 v26, 31, v26
	v_lshlrev_b32_e32 v96, 24, v25
	s_wait_alu 0xfffd
	v_xor_b32_e32 v24, vcc_lo, v24
	v_cmp_gt_i32_e32 vcc_lo, 0, v27
	v_not_b32_e32 v27, v95
	s_wait_alu 0xf1ff
	v_xor_b32_e32 v100, s15, v100
	v_cmp_gt_i32_e64 s15, 0, v95
	v_and_b32_e32 v24, exec_lo, v24
	v_not_b32_e32 v95, v97
	v_ashrrev_i32_e32 v27, 31, v27
	s_wait_alu 0xfffd
	v_xor_b32_e32 v26, vcc_lo, v26
	v_cmp_gt_i32_e32 vcc_lo, 0, v97
	v_and_b32_e32 v24, v24, v100
	v_not_b32_e32 v97, v98
	v_ashrrev_i32_e32 v95, 31, v95
	s_wait_alu 0xf1ff
	v_xor_b32_e32 v27, s15, v27
	v_cmp_gt_i32_e64 s15, 0, v98
	v_and_b32_e32 v24, v24, v26
	v_not_b32_e32 v26, v99
	v_ashrrev_i32_e32 v97, 31, v97
	s_wait_alu 0xfffd
	v_xor_b32_e32 v95, vcc_lo, v95
	v_cmp_gt_i32_e32 vcc_lo, 0, v99
	v_and_b32_e32 v24, v24, v27
	v_not_b32_e32 v27, v96
	v_ashrrev_i32_e32 v26, 31, v26
	s_wait_alu 0xf1ff
	v_xor_b32_e32 v97, s15, v97
	v_cmp_gt_i32_e64 s15, 0, v96
	v_and_b32_e32 v24, v24, v95
	v_ashrrev_i32_e32 v27, 31, v27
	s_wait_alu 0xfffd
	v_xor_b32_e32 v26, vcc_lo, v26
	v_mul_u32_u24_e32 v25, 36, v25
	v_add_nc_u32_e32 v98, 0x420, v43
	v_and_b32_e32 v24, v24, v97
	s_wait_alu 0xf1ff
	v_xor_b32_e32 v27, s15, v27
	v_add_nc_u32_e32 v97, 0x438, v43
	v_add_nc_u32_e32 v99, 0x428, v43
	;; [unrolled: 1-line block ×3, first 2 shown]
	v_and_b32_e32 v24, v24, v26
	v_add_nc_u32_e32 v101, v85, v25
	ds_store_2addr_b32 v97, v1, v1 offset1:1
	ds_store_2addr_b32 v98, v1, v1 offset1:1
	;; [unrolled: 1-line block ×4, first 2 shown]
	ds_store_b32 v43, v1 offset:1088
	s_wait_dscnt 0x0
	v_and_b32_e32 v24, v24, v27
	s_barrier_signal -1
	s_barrier_wait -1
	global_inv scope:SCOPE_SE
	v_mbcnt_lo_u32_b32 v95, v24, 0
	v_cmp_ne_u32_e64 s15, 0, v24
	; wave barrier
	s_delay_alu instid0(VALU_DEP_2)
	v_cmp_eq_u32_e32 vcc_lo, 0, v95
	s_and_b32 s16, s15, vcc_lo
	s_wait_alu 0xfffe
	s_and_saveexec_b32 s15, s16
; %bb.79:                               ;   in Loop: Header=BB1020_64 Depth=2
	v_bcnt_u32_b32 v24, v24, 0
	ds_store_b32 v101, v24 offset:1056
; %bb.80:                               ;   in Loop: Header=BB1020_64 Depth=2
	s_wait_alu 0xfffe
	s_or_b32 exec_lo, exec_lo, s15
	v_lshrrev_b32_e32 v5, 16, v5
	; wave barrier
	s_delay_alu instid0(VALU_DEP_1) | instskip(NEXT) | instid1(VALU_DEP_1)
	v_xor_b32_e32 v96, 0xffff8000, v5
	v_and_b32_e32 v5, 0xffff, v96
	s_delay_alu instid0(VALU_DEP_1) | instskip(NEXT) | instid1(VALU_DEP_1)
	v_lshrrev_b32_e32 v5, s23, v5
	v_and_b32_e32 v24, s42, v5
	s_delay_alu instid0(VALU_DEP_1)
	v_and_b32_e32 v5, 1, v24
	v_lshlrev_b32_e32 v25, 30, v24
	v_lshlrev_b32_e32 v26, 29, v24
	;; [unrolled: 1-line block ×4, first 2 shown]
	v_add_co_u32 v5, s15, v5, -1
	s_wait_alu 0xf1ff
	v_cndmask_b32_e64 v102, 0, 1, s15
	v_not_b32_e32 v106, v25
	v_cmp_gt_i32_e64 s15, 0, v25
	v_not_b32_e32 v25, v26
	v_lshlrev_b32_e32 v104, 26, v24
	v_cmp_ne_u32_e32 vcc_lo, 0, v102
	v_ashrrev_i32_e32 v106, 31, v106
	v_lshlrev_b32_e32 v105, 25, v24
	v_ashrrev_i32_e32 v25, 31, v25
	v_lshlrev_b32_e32 v102, 24, v24
	s_wait_alu 0xfffd
	v_xor_b32_e32 v5, vcc_lo, v5
	v_cmp_gt_i32_e32 vcc_lo, 0, v26
	v_not_b32_e32 v26, v27
	s_wait_alu 0xf1ff
	v_xor_b32_e32 v106, s15, v106
	v_cmp_gt_i32_e64 s15, 0, v27
	v_and_b32_e32 v5, exec_lo, v5
	v_not_b32_e32 v27, v103
	v_ashrrev_i32_e32 v26, 31, v26
	s_wait_alu 0xfffd
	v_xor_b32_e32 v25, vcc_lo, v25
	v_cmp_gt_i32_e32 vcc_lo, 0, v103
	v_and_b32_e32 v5, v5, v106
	v_not_b32_e32 v103, v104
	v_ashrrev_i32_e32 v27, 31, v27
	s_wait_alu 0xf1ff
	v_xor_b32_e32 v26, s15, v26
	v_cmp_gt_i32_e64 s15, 0, v104
	v_and_b32_e32 v5, v5, v25
	v_not_b32_e32 v25, v105
	v_ashrrev_i32_e32 v103, 31, v103
	s_wait_alu 0xfffd
	v_xor_b32_e32 v27, vcc_lo, v27
	v_cmp_gt_i32_e32 vcc_lo, 0, v105
	v_and_b32_e32 v5, v5, v26
	v_not_b32_e32 v26, v102
	v_ashrrev_i32_e32 v25, 31, v25
	s_wait_alu 0xf1ff
	v_xor_b32_e32 v103, s15, v103
	v_cmp_gt_i32_e64 s15, 0, v102
	v_and_b32_e32 v5, v5, v27
	v_ashrrev_i32_e32 v26, 31, v26
	s_wait_alu 0xfffd
	v_xor_b32_e32 v25, vcc_lo, v25
	v_mad_u32_u24 v27, v24, 36, v85
	v_mul_u32_u24_e32 v24, 36, v24
	v_and_b32_e32 v5, v5, v103
	s_wait_alu 0xf1ff
	v_xor_b32_e32 v26, s15, v26
	ds_load_b32 v102, v27 offset:1056
	v_add_nc_u32_e32 v105, v85, v24
	v_and_b32_e32 v5, v5, v25
	; wave barrier
	s_delay_alu instid0(VALU_DEP_1) | instskip(NEXT) | instid1(VALU_DEP_1)
	v_and_b32_e32 v5, v5, v26
	v_mbcnt_lo_u32_b32 v103, v5, 0
	v_cmp_ne_u32_e64 s15, 0, v5
	s_delay_alu instid0(VALU_DEP_2)
	v_cmp_eq_u32_e32 vcc_lo, 0, v103
	s_and_b32 s16, s15, vcc_lo
	s_wait_alu 0xfffe
	s_and_saveexec_b32 s15, s16
	s_cbranch_execz .LBB1020_82
; %bb.81:                               ;   in Loop: Header=BB1020_64 Depth=2
	s_wait_dscnt 0x0
	v_bcnt_u32_b32 v5, v5, v102
	ds_store_b32 v105, v5 offset:1056
.LBB1020_82:                            ;   in Loop: Header=BB1020_64 Depth=2
	s_wait_alu 0xfffe
	s_or_b32 exec_lo, exec_lo, s15
	v_xor_b32_e32 v104, 0xffff8000, v6
	; wave barrier
	s_delay_alu instid0(VALU_DEP_1) | instskip(NEXT) | instid1(VALU_DEP_1)
	v_and_b32_e32 v5, 0xffff, v104
	v_lshrrev_b32_e32 v5, s23, v5
	s_delay_alu instid0(VALU_DEP_1) | instskip(NEXT) | instid1(VALU_DEP_1)
	v_and_b32_e32 v24, s42, v5
	v_and_b32_e32 v5, 1, v24
	v_lshlrev_b32_e32 v25, 30, v24
	v_lshlrev_b32_e32 v26, 29, v24
	;; [unrolled: 1-line block ×4, first 2 shown]
	v_add_co_u32 v5, s15, v5, -1
	s_wait_alu 0xf1ff
	v_cndmask_b32_e64 v106, 0, 1, s15
	v_not_b32_e32 v110, v25
	v_cmp_gt_i32_e64 s15, 0, v25
	v_not_b32_e32 v25, v26
	v_lshlrev_b32_e32 v108, 26, v24
	v_cmp_ne_u32_e32 vcc_lo, 0, v106
	v_ashrrev_i32_e32 v110, 31, v110
	v_lshlrev_b32_e32 v109, 25, v24
	v_ashrrev_i32_e32 v25, 31, v25
	v_lshlrev_b32_e32 v106, 24, v24
	s_wait_alu 0xfffd
	v_xor_b32_e32 v5, vcc_lo, v5
	v_cmp_gt_i32_e32 vcc_lo, 0, v26
	v_not_b32_e32 v26, v27
	s_wait_alu 0xf1ff
	v_xor_b32_e32 v110, s15, v110
	v_cmp_gt_i32_e64 s15, 0, v27
	v_and_b32_e32 v5, exec_lo, v5
	v_not_b32_e32 v27, v107
	v_ashrrev_i32_e32 v26, 31, v26
	s_wait_alu 0xfffd
	v_xor_b32_e32 v25, vcc_lo, v25
	v_cmp_gt_i32_e32 vcc_lo, 0, v107
	v_and_b32_e32 v5, v5, v110
	v_not_b32_e32 v107, v108
	v_ashrrev_i32_e32 v27, 31, v27
	s_wait_alu 0xf1ff
	v_xor_b32_e32 v26, s15, v26
	v_cmp_gt_i32_e64 s15, 0, v108
	v_and_b32_e32 v5, v5, v25
	v_not_b32_e32 v25, v109
	v_ashrrev_i32_e32 v107, 31, v107
	s_wait_alu 0xfffd
	v_xor_b32_e32 v27, vcc_lo, v27
	v_cmp_gt_i32_e32 vcc_lo, 0, v109
	v_and_b32_e32 v5, v5, v26
	v_not_b32_e32 v26, v106
	v_ashrrev_i32_e32 v25, 31, v25
	s_wait_alu 0xf1ff
	v_xor_b32_e32 v107, s15, v107
	v_cmp_gt_i32_e64 s15, 0, v106
	v_and_b32_e32 v5, v5, v27
	v_ashrrev_i32_e32 v26, 31, v26
	s_wait_alu 0xfffd
	v_xor_b32_e32 v25, vcc_lo, v25
	v_mad_u32_u24 v27, v24, 36, v85
	v_mul_u32_u24_e32 v24, 36, v24
	v_and_b32_e32 v5, v5, v107
	s_wait_alu 0xf1ff
	v_xor_b32_e32 v26, s15, v26
	ds_load_b32 v106, v27 offset:1056
	v_add_nc_u32_e32 v109, v85, v24
	v_and_b32_e32 v5, v5, v25
	; wave barrier
	s_delay_alu instid0(VALU_DEP_1) | instskip(NEXT) | instid1(VALU_DEP_1)
	v_and_b32_e32 v5, v5, v26
	v_mbcnt_lo_u32_b32 v108, v5, 0
	v_cmp_ne_u32_e64 s15, 0, v5
	s_delay_alu instid0(VALU_DEP_2)
	v_cmp_eq_u32_e32 vcc_lo, 0, v108
	s_and_b32 s16, s15, vcc_lo
	s_wait_alu 0xfffe
	s_and_saveexec_b32 s15, s16
	s_cbranch_execz .LBB1020_84
; %bb.83:                               ;   in Loop: Header=BB1020_64 Depth=2
	s_wait_dscnt 0x0
	v_bcnt_u32_b32 v5, v5, v106
	ds_store_b32 v109, v5 offset:1056
.LBB1020_84:                            ;   in Loop: Header=BB1020_64 Depth=2
	s_wait_alu 0xfffe
	s_or_b32 exec_lo, exec_lo, s15
	v_lshrrev_b32_e32 v5, 16, v6
	; wave barrier
	s_delay_alu instid0(VALU_DEP_1) | instskip(NEXT) | instid1(VALU_DEP_1)
	v_xor_b32_e32 v107, 0xffff8000, v5
	v_and_b32_e32 v5, 0xffff, v107
	s_delay_alu instid0(VALU_DEP_1) | instskip(NEXT) | instid1(VALU_DEP_1)
	v_lshrrev_b32_e32 v5, s23, v5
	v_and_b32_e32 v6, s42, v5
	s_delay_alu instid0(VALU_DEP_1)
	v_and_b32_e32 v5, 1, v6
	v_lshlrev_b32_e32 v24, 30, v6
	v_lshlrev_b32_e32 v25, 29, v6
	;; [unrolled: 1-line block ×4, first 2 shown]
	v_add_co_u32 v5, s15, v5, -1
	s_wait_alu 0xf1ff
	v_cndmask_b32_e64 v27, 0, 1, s15
	v_not_b32_e32 v113, v24
	v_cmp_gt_i32_e64 s15, 0, v24
	v_not_b32_e32 v24, v25
	v_lshlrev_b32_e32 v111, 26, v6
	v_cmp_ne_u32_e32 vcc_lo, 0, v27
	v_ashrrev_i32_e32 v113, 31, v113
	v_lshlrev_b32_e32 v112, 25, v6
	v_ashrrev_i32_e32 v24, 31, v24
	v_lshlrev_b32_e32 v27, 24, v6
	s_wait_alu 0xfffd
	v_xor_b32_e32 v5, vcc_lo, v5
	v_cmp_gt_i32_e32 vcc_lo, 0, v25
	v_not_b32_e32 v25, v26
	s_wait_alu 0xf1ff
	v_xor_b32_e32 v113, s15, v113
	v_cmp_gt_i32_e64 s15, 0, v26
	v_and_b32_e32 v5, exec_lo, v5
	v_not_b32_e32 v26, v110
	v_ashrrev_i32_e32 v25, 31, v25
	s_wait_alu 0xfffd
	v_xor_b32_e32 v24, vcc_lo, v24
	v_cmp_gt_i32_e32 vcc_lo, 0, v110
	v_and_b32_e32 v5, v5, v113
	v_not_b32_e32 v110, v111
	v_ashrrev_i32_e32 v26, 31, v26
	s_wait_alu 0xf1ff
	v_xor_b32_e32 v25, s15, v25
	v_cmp_gt_i32_e64 s15, 0, v111
	v_and_b32_e32 v5, v5, v24
	v_not_b32_e32 v24, v112
	v_ashrrev_i32_e32 v110, 31, v110
	s_wait_alu 0xfffd
	v_xor_b32_e32 v26, vcc_lo, v26
	v_cmp_gt_i32_e32 vcc_lo, 0, v112
	v_and_b32_e32 v5, v5, v25
	v_not_b32_e32 v25, v27
	v_ashrrev_i32_e32 v24, 31, v24
	s_wait_alu 0xf1ff
	v_xor_b32_e32 v110, s15, v110
	v_cmp_gt_i32_e64 s15, 0, v27
	v_and_b32_e32 v5, v5, v26
	v_ashrrev_i32_e32 v25, 31, v25
	s_wait_alu 0xfffd
	v_xor_b32_e32 v24, vcc_lo, v24
	v_mad_u32_u24 v26, v6, 36, v85
	v_mul_u32_u24_e32 v6, 36, v6
	v_and_b32_e32 v5, v5, v110
	s_wait_alu 0xf1ff
	v_xor_b32_e32 v25, s15, v25
	ds_load_b32 v110, v26 offset:1056
	v_add_nc_u32_e32 v113, v85, v6
	v_and_b32_e32 v5, v5, v24
	; wave barrier
	s_delay_alu instid0(VALU_DEP_1) | instskip(NEXT) | instid1(VALU_DEP_1)
	v_and_b32_e32 v5, v5, v25
	v_mbcnt_lo_u32_b32 v112, v5, 0
	v_cmp_ne_u32_e64 s15, 0, v5
	s_delay_alu instid0(VALU_DEP_2)
	v_cmp_eq_u32_e32 vcc_lo, 0, v112
	s_and_b32 s16, s15, vcc_lo
	s_wait_alu 0xfffe
	s_and_saveexec_b32 s15, s16
	s_cbranch_execz .LBB1020_86
; %bb.85:                               ;   in Loop: Header=BB1020_64 Depth=2
	s_wait_dscnt 0x0
	v_bcnt_u32_b32 v5, v5, v110
	ds_store_b32 v113, v5 offset:1056
.LBB1020_86:                            ;   in Loop: Header=BB1020_64 Depth=2
	s_wait_alu 0xfffe
	s_or_b32 exec_lo, exec_lo, s15
	v_xor_b32_e32 v111, 0xffff8000, v7
	; wave barrier
	s_delay_alu instid0(VALU_DEP_1) | instskip(NEXT) | instid1(VALU_DEP_1)
	v_and_b32_e32 v5, 0xffff, v111
	v_lshrrev_b32_e32 v5, s23, v5
	s_delay_alu instid0(VALU_DEP_1) | instskip(NEXT) | instid1(VALU_DEP_1)
	v_and_b32_e32 v6, s42, v5
	v_and_b32_e32 v5, 1, v6
	v_lshlrev_b32_e32 v24, 30, v6
	v_lshlrev_b32_e32 v25, 29, v6
	;; [unrolled: 1-line block ×4, first 2 shown]
	v_add_co_u32 v5, s15, v5, -1
	s_wait_alu 0xf1ff
	v_cndmask_b32_e64 v27, 0, 1, s15
	v_not_b32_e32 v117, v24
	v_cmp_gt_i32_e64 s15, 0, v24
	v_not_b32_e32 v24, v25
	v_lshlrev_b32_e32 v115, 26, v6
	v_cmp_ne_u32_e32 vcc_lo, 0, v27
	v_ashrrev_i32_e32 v117, 31, v117
	v_lshlrev_b32_e32 v116, 25, v6
	v_ashrrev_i32_e32 v24, 31, v24
	v_lshlrev_b32_e32 v27, 24, v6
	s_wait_alu 0xfffd
	v_xor_b32_e32 v5, vcc_lo, v5
	v_cmp_gt_i32_e32 vcc_lo, 0, v25
	v_not_b32_e32 v25, v26
	s_wait_alu 0xf1ff
	v_xor_b32_e32 v117, s15, v117
	v_cmp_gt_i32_e64 s15, 0, v26
	v_and_b32_e32 v5, exec_lo, v5
	v_not_b32_e32 v26, v114
	v_ashrrev_i32_e32 v25, 31, v25
	s_wait_alu 0xfffd
	v_xor_b32_e32 v24, vcc_lo, v24
	v_cmp_gt_i32_e32 vcc_lo, 0, v114
	v_and_b32_e32 v5, v5, v117
	v_not_b32_e32 v114, v115
	v_ashrrev_i32_e32 v26, 31, v26
	s_wait_alu 0xf1ff
	v_xor_b32_e32 v25, s15, v25
	v_cmp_gt_i32_e64 s15, 0, v115
	v_and_b32_e32 v5, v5, v24
	v_not_b32_e32 v24, v116
	v_ashrrev_i32_e32 v114, 31, v114
	s_wait_alu 0xfffd
	v_xor_b32_e32 v26, vcc_lo, v26
	v_cmp_gt_i32_e32 vcc_lo, 0, v116
	v_and_b32_e32 v5, v5, v25
	v_not_b32_e32 v25, v27
	v_ashrrev_i32_e32 v24, 31, v24
	s_wait_alu 0xf1ff
	v_xor_b32_e32 v114, s15, v114
	v_cmp_gt_i32_e64 s15, 0, v27
	v_and_b32_e32 v5, v5, v26
	v_ashrrev_i32_e32 v25, 31, v25
	s_wait_alu 0xfffd
	v_xor_b32_e32 v24, vcc_lo, v24
	v_mad_u32_u24 v26, v6, 36, v85
	v_mul_u32_u24_e32 v6, 36, v6
	v_and_b32_e32 v5, v5, v114
	s_wait_alu 0xf1ff
	v_xor_b32_e32 v25, s15, v25
	ds_load_b32 v114, v26 offset:1056
	v_add_nc_u32_e32 v117, v85, v6
	v_and_b32_e32 v5, v5, v24
	; wave barrier
	s_delay_alu instid0(VALU_DEP_1) | instskip(NEXT) | instid1(VALU_DEP_1)
	v_and_b32_e32 v5, v5, v25
	v_mbcnt_lo_u32_b32 v116, v5, 0
	v_cmp_ne_u32_e64 s15, 0, v5
	s_delay_alu instid0(VALU_DEP_2)
	v_cmp_eq_u32_e32 vcc_lo, 0, v116
	s_and_b32 s16, s15, vcc_lo
	s_wait_alu 0xfffe
	s_and_saveexec_b32 s15, s16
	s_cbranch_execz .LBB1020_88
; %bb.87:                               ;   in Loop: Header=BB1020_64 Depth=2
	s_wait_dscnt 0x0
	v_bcnt_u32_b32 v5, v5, v114
	ds_store_b32 v117, v5 offset:1056
.LBB1020_88:                            ;   in Loop: Header=BB1020_64 Depth=2
	s_wait_alu 0xfffe
	s_or_b32 exec_lo, exec_lo, s15
	v_lshrrev_b32_e32 v5, 16, v7
	; wave barrier
	s_delay_alu instid0(VALU_DEP_1) | instskip(NEXT) | instid1(VALU_DEP_1)
	v_xor_b32_e32 v115, 0xffff8000, v5
	v_and_b32_e32 v5, 0xffff, v115
	s_delay_alu instid0(VALU_DEP_1) | instskip(NEXT) | instid1(VALU_DEP_1)
	v_lshrrev_b32_e32 v5, s23, v5
	v_and_b32_e32 v6, s42, v5
	s_delay_alu instid0(VALU_DEP_1)
	v_and_b32_e32 v5, 1, v6
	v_lshlrev_b32_e32 v7, 30, v6
	v_lshlrev_b32_e32 v24, 29, v6
	;; [unrolled: 1-line block ×4, first 2 shown]
	v_add_co_u32 v5, s15, v5, -1
	s_wait_alu 0xf1ff
	v_cndmask_b32_e64 v26, 0, 1, s15
	v_not_b32_e32 v120, v7
	v_cmp_gt_i32_e64 s15, 0, v7
	v_not_b32_e32 v7, v24
	v_lshlrev_b32_e32 v118, 26, v6
	v_cmp_ne_u32_e32 vcc_lo, 0, v26
	v_ashrrev_i32_e32 v120, 31, v120
	v_lshlrev_b32_e32 v119, 25, v6
	v_ashrrev_i32_e32 v7, 31, v7
	v_lshlrev_b32_e32 v26, 24, v6
	s_wait_alu 0xfffd
	v_xor_b32_e32 v5, vcc_lo, v5
	v_cmp_gt_i32_e32 vcc_lo, 0, v24
	v_not_b32_e32 v24, v25
	s_wait_alu 0xf1ff
	v_xor_b32_e32 v120, s15, v120
	v_cmp_gt_i32_e64 s15, 0, v25
	v_and_b32_e32 v5, exec_lo, v5
	v_not_b32_e32 v25, v27
	v_ashrrev_i32_e32 v24, 31, v24
	s_wait_alu 0xfffd
	v_xor_b32_e32 v7, vcc_lo, v7
	v_cmp_gt_i32_e32 vcc_lo, 0, v27
	v_and_b32_e32 v5, v5, v120
	v_not_b32_e32 v27, v118
	v_ashrrev_i32_e32 v25, 31, v25
	s_wait_alu 0xf1ff
	v_xor_b32_e32 v24, s15, v24
	v_cmp_gt_i32_e64 s15, 0, v118
	v_and_b32_e32 v5, v5, v7
	v_not_b32_e32 v7, v119
	v_ashrrev_i32_e32 v27, 31, v27
	s_wait_alu 0xfffd
	v_xor_b32_e32 v25, vcc_lo, v25
	v_cmp_gt_i32_e32 vcc_lo, 0, v119
	v_and_b32_e32 v5, v5, v24
	v_not_b32_e32 v24, v26
	v_ashrrev_i32_e32 v7, 31, v7
	s_wait_alu 0xf1ff
	v_xor_b32_e32 v27, s15, v27
	v_cmp_gt_i32_e64 s15, 0, v26
	v_and_b32_e32 v5, v5, v25
	v_ashrrev_i32_e32 v24, 31, v24
	s_wait_alu 0xfffd
	v_xor_b32_e32 v7, vcc_lo, v7
	v_mad_u32_u24 v25, v6, 36, v85
	v_mul_u32_u24_e32 v6, 36, v6
	v_and_b32_e32 v5, v5, v27
	s_wait_alu 0xf1ff
	v_xor_b32_e32 v24, s15, v24
	ds_load_b32 v118, v25 offset:1056
	v_add_nc_u32_e32 v121, v85, v6
	v_and_b32_e32 v5, v5, v7
	; wave barrier
	s_delay_alu instid0(VALU_DEP_1) | instskip(NEXT) | instid1(VALU_DEP_1)
	v_and_b32_e32 v5, v5, v24
	v_mbcnt_lo_u32_b32 v120, v5, 0
	v_cmp_ne_u32_e64 s15, 0, v5
	s_delay_alu instid0(VALU_DEP_2)
	v_cmp_eq_u32_e32 vcc_lo, 0, v120
	s_and_b32 s16, s15, vcc_lo
	s_wait_alu 0xfffe
	s_and_saveexec_b32 s15, s16
	s_cbranch_execz .LBB1020_90
; %bb.89:                               ;   in Loop: Header=BB1020_64 Depth=2
	s_wait_dscnt 0x0
	v_bcnt_u32_b32 v5, v5, v118
	ds_store_b32 v121, v5 offset:1056
.LBB1020_90:                            ;   in Loop: Header=BB1020_64 Depth=2
	s_wait_alu 0xfffe
	s_or_b32 exec_lo, exec_lo, s15
	v_xor_b32_e32 v119, 0xffff8000, v8
	; wave barrier
	s_delay_alu instid0(VALU_DEP_1) | instskip(NEXT) | instid1(VALU_DEP_1)
	v_and_b32_e32 v5, 0xffff, v119
	v_lshrrev_b32_e32 v5, s23, v5
	s_delay_alu instid0(VALU_DEP_1) | instskip(NEXT) | instid1(VALU_DEP_1)
	v_and_b32_e32 v6, s42, v5
	v_and_b32_e32 v5, 1, v6
	v_lshlrev_b32_e32 v7, 30, v6
	v_lshlrev_b32_e32 v24, 29, v6
	;; [unrolled: 1-line block ×4, first 2 shown]
	v_add_co_u32 v5, s15, v5, -1
	s_wait_alu 0xf1ff
	v_cndmask_b32_e64 v26, 0, 1, s15
	v_not_b32_e32 v124, v7
	v_cmp_gt_i32_e64 s15, 0, v7
	v_not_b32_e32 v7, v24
	v_lshlrev_b32_e32 v122, 26, v6
	v_cmp_ne_u32_e32 vcc_lo, 0, v26
	v_ashrrev_i32_e32 v124, 31, v124
	v_lshlrev_b32_e32 v123, 25, v6
	v_ashrrev_i32_e32 v7, 31, v7
	v_lshlrev_b32_e32 v26, 24, v6
	s_wait_alu 0xfffd
	v_xor_b32_e32 v5, vcc_lo, v5
	v_cmp_gt_i32_e32 vcc_lo, 0, v24
	v_not_b32_e32 v24, v25
	s_wait_alu 0xf1ff
	v_xor_b32_e32 v124, s15, v124
	v_cmp_gt_i32_e64 s15, 0, v25
	v_and_b32_e32 v5, exec_lo, v5
	v_not_b32_e32 v25, v27
	v_ashrrev_i32_e32 v24, 31, v24
	s_wait_alu 0xfffd
	v_xor_b32_e32 v7, vcc_lo, v7
	v_cmp_gt_i32_e32 vcc_lo, 0, v27
	v_and_b32_e32 v5, v5, v124
	v_not_b32_e32 v27, v122
	v_ashrrev_i32_e32 v25, 31, v25
	s_wait_alu 0xf1ff
	v_xor_b32_e32 v24, s15, v24
	v_cmp_gt_i32_e64 s15, 0, v122
	v_and_b32_e32 v5, v5, v7
	v_not_b32_e32 v7, v123
	v_ashrrev_i32_e32 v27, 31, v27
	s_wait_alu 0xfffd
	v_xor_b32_e32 v25, vcc_lo, v25
	v_cmp_gt_i32_e32 vcc_lo, 0, v123
	v_and_b32_e32 v5, v5, v24
	v_not_b32_e32 v24, v26
	v_ashrrev_i32_e32 v7, 31, v7
	s_wait_alu 0xf1ff
	v_xor_b32_e32 v27, s15, v27
	v_cmp_gt_i32_e64 s15, 0, v26
	v_and_b32_e32 v5, v5, v25
	v_ashrrev_i32_e32 v24, 31, v24
	s_wait_alu 0xfffd
	v_xor_b32_e32 v7, vcc_lo, v7
	v_mad_u32_u24 v25, v6, 36, v85
	v_mul_u32_u24_e32 v6, 36, v6
	v_and_b32_e32 v5, v5, v27
	s_wait_alu 0xf1ff
	v_xor_b32_e32 v24, s15, v24
	ds_load_b32 v122, v25 offset:1056
	v_add_nc_u32_e32 v125, v85, v6
	v_and_b32_e32 v5, v5, v7
	; wave barrier
	s_delay_alu instid0(VALU_DEP_1) | instskip(NEXT) | instid1(VALU_DEP_1)
	v_and_b32_e32 v5, v5, v24
	v_mbcnt_lo_u32_b32 v123, v5, 0
	v_cmp_ne_u32_e64 s15, 0, v5
	s_delay_alu instid0(VALU_DEP_2)
	v_cmp_eq_u32_e32 vcc_lo, 0, v123
	s_and_b32 s16, s15, vcc_lo
	s_wait_alu 0xfffe
	s_and_saveexec_b32 s15, s16
	s_cbranch_execz .LBB1020_92
; %bb.91:                               ;   in Loop: Header=BB1020_64 Depth=2
	s_wait_dscnt 0x0
	v_bcnt_u32_b32 v5, v5, v122
	ds_store_b32 v125, v5 offset:1056
.LBB1020_92:                            ;   in Loop: Header=BB1020_64 Depth=2
	s_wait_alu 0xfffe
	s_or_b32 exec_lo, exec_lo, s15
	v_lshrrev_b32_e32 v5, 16, v8
	; wave barrier
	s_delay_alu instid0(VALU_DEP_1) | instskip(NEXT) | instid1(VALU_DEP_1)
	v_xor_b32_e32 v124, 0xffff8000, v5
	v_and_b32_e32 v5, 0xffff, v124
	s_delay_alu instid0(VALU_DEP_1) | instskip(NEXT) | instid1(VALU_DEP_1)
	v_lshrrev_b32_e32 v5, s23, v5
	v_and_b32_e32 v6, s42, v5
	s_delay_alu instid0(VALU_DEP_1)
	v_and_b32_e32 v5, 1, v6
	v_lshlrev_b32_e32 v7, 30, v6
	v_lshlrev_b32_e32 v8, 29, v6
	;; [unrolled: 1-line block ×4, first 2 shown]
	v_add_co_u32 v5, s15, v5, -1
	s_wait_alu 0xf1ff
	v_cndmask_b32_e64 v25, 0, 1, s15
	v_not_b32_e32 v127, v7
	v_cmp_gt_i32_e64 s15, 0, v7
	v_not_b32_e32 v7, v8
	v_lshlrev_b32_e32 v27, 26, v6
	v_cmp_ne_u32_e32 vcc_lo, 0, v25
	v_ashrrev_i32_e32 v127, 31, v127
	v_lshlrev_b32_e32 v126, 25, v6
	v_ashrrev_i32_e32 v7, 31, v7
	v_lshlrev_b32_e32 v25, 24, v6
	s_wait_alu 0xfffd
	v_xor_b32_e32 v5, vcc_lo, v5
	v_cmp_gt_i32_e32 vcc_lo, 0, v8
	v_not_b32_e32 v8, v24
	s_wait_alu 0xf1ff
	v_xor_b32_e32 v127, s15, v127
	v_cmp_gt_i32_e64 s15, 0, v24
	v_and_b32_e32 v5, exec_lo, v5
	v_not_b32_e32 v24, v26
	v_ashrrev_i32_e32 v8, 31, v8
	s_wait_alu 0xfffd
	v_xor_b32_e32 v7, vcc_lo, v7
	v_cmp_gt_i32_e32 vcc_lo, 0, v26
	v_and_b32_e32 v5, v5, v127
	v_not_b32_e32 v26, v27
	v_ashrrev_i32_e32 v24, 31, v24
	s_wait_alu 0xf1ff
	v_xor_b32_e32 v8, s15, v8
	v_cmp_gt_i32_e64 s15, 0, v27
	v_and_b32_e32 v5, v5, v7
	v_not_b32_e32 v7, v126
	v_ashrrev_i32_e32 v26, 31, v26
	s_wait_alu 0xfffd
	v_xor_b32_e32 v24, vcc_lo, v24
	v_cmp_gt_i32_e32 vcc_lo, 0, v126
	v_and_b32_e32 v5, v5, v8
	v_not_b32_e32 v8, v25
	v_ashrrev_i32_e32 v7, 31, v7
	s_wait_alu 0xf1ff
	v_xor_b32_e32 v26, s15, v26
	v_cmp_gt_i32_e64 s15, 0, v25
	v_and_b32_e32 v5, v5, v24
	v_ashrrev_i32_e32 v8, 31, v8
	s_wait_alu 0xfffd
	v_xor_b32_e32 v7, vcc_lo, v7
	v_mad_u32_u24 v24, v6, 36, v85
	v_mul_u32_u24_e32 v6, 36, v6
	v_and_b32_e32 v5, v5, v26
	s_wait_alu 0xf1ff
	v_xor_b32_e32 v8, s15, v8
	ds_load_b32 v126, v24 offset:1056
	v_add_nc_u32_e32 v128, v85, v6
	v_and_b32_e32 v5, v5, v7
	; wave barrier
	s_delay_alu instid0(VALU_DEP_1) | instskip(NEXT) | instid1(VALU_DEP_1)
	v_and_b32_e32 v5, v5, v8
	v_mbcnt_lo_u32_b32 v127, v5, 0
	v_cmp_ne_u32_e64 s15, 0, v5
	s_delay_alu instid0(VALU_DEP_2)
	v_cmp_eq_u32_e32 vcc_lo, 0, v127
	s_and_b32 s16, s15, vcc_lo
	s_wait_alu 0xfffe
	s_and_saveexec_b32 s15, s16
	s_cbranch_execz .LBB1020_94
; %bb.93:                               ;   in Loop: Header=BB1020_64 Depth=2
	s_wait_dscnt 0x0
	v_bcnt_u32_b32 v5, v5, v126
	ds_store_b32 v128, v5 offset:1056
.LBB1020_94:                            ;   in Loop: Header=BB1020_64 Depth=2
	s_wait_alu 0xfffe
	s_or_b32 exec_lo, exec_lo, s15
	; wave barrier
	s_wait_loadcnt_dscnt 0x0
	s_barrier_signal -1
	s_barrier_wait -1
	global_inv scope:SCOPE_SE
	ds_load_2addr_b32 v[26:27], v98 offset1:1
	ds_load_2addr_b32 v[24:25], v99 offset1:1
	;; [unrolled: 1-line block ×4, first 2 shown]
	ds_load_b32 v129, v43 offset:1088
	s_wait_dscnt 0x3
	v_add3_u32 v130, v27, v26, v24
	s_wait_dscnt 0x2
	s_delay_alu instid0(VALU_DEP_1) | instskip(SKIP_1) | instid1(VALU_DEP_1)
	v_add3_u32 v130, v130, v25, v7
	s_wait_dscnt 0x1
	v_add3_u32 v130, v130, v8, v5
	s_wait_dscnt 0x0
	s_delay_alu instid0(VALU_DEP_1) | instskip(NEXT) | instid1(VALU_DEP_1)
	v_add3_u32 v129, v130, v6, v129
	v_mov_b32_dpp v130, v129 row_shr:1 row_mask:0xf bank_mask:0xf
	s_delay_alu instid0(VALU_DEP_1) | instskip(NEXT) | instid1(VALU_DEP_1)
	v_cndmask_b32_e64 v130, v130, 0, s0
	v_add_nc_u32_e32 v129, v130, v129
	s_delay_alu instid0(VALU_DEP_1) | instskip(NEXT) | instid1(VALU_DEP_1)
	v_mov_b32_dpp v130, v129 row_shr:2 row_mask:0xf bank_mask:0xf
	v_cndmask_b32_e64 v130, 0, v130, s1
	s_delay_alu instid0(VALU_DEP_1) | instskip(NEXT) | instid1(VALU_DEP_1)
	v_add_nc_u32_e32 v129, v129, v130
	v_mov_b32_dpp v130, v129 row_shr:4 row_mask:0xf bank_mask:0xf
	s_delay_alu instid0(VALU_DEP_1) | instskip(NEXT) | instid1(VALU_DEP_1)
	v_cndmask_b32_e64 v130, 0, v130, s9
	v_add_nc_u32_e32 v129, v129, v130
	s_delay_alu instid0(VALU_DEP_1) | instskip(NEXT) | instid1(VALU_DEP_1)
	v_mov_b32_dpp v130, v129 row_shr:8 row_mask:0xf bank_mask:0xf
	v_cndmask_b32_e64 v130, 0, v130, s10
	s_delay_alu instid0(VALU_DEP_1) | instskip(SKIP_3) | instid1(VALU_DEP_1)
	v_add_nc_u32_e32 v129, v129, v130
	ds_swizzle_b32 v130, v129 offset:swizzle(BROADCAST,32,15)
	s_wait_dscnt 0x0
	v_cndmask_b32_e64 v130, v130, 0, s11
	v_add_nc_u32_e32 v129, v129, v130
	s_and_saveexec_b32 s15, s3
; %bb.95:                               ;   in Loop: Header=BB1020_64 Depth=2
	ds_store_b32 v38, v129 offset:1024
; %bb.96:                               ;   in Loop: Header=BB1020_64 Depth=2
	s_wait_alu 0xfffe
	s_or_b32 exec_lo, exec_lo, s15
	s_wait_loadcnt_dscnt 0x0
	s_barrier_signal -1
	s_barrier_wait -1
	global_inv scope:SCOPE_SE
	s_and_saveexec_b32 s15, s4
	s_cbranch_execz .LBB1020_98
; %bb.97:                               ;   in Loop: Header=BB1020_64 Depth=2
	ds_load_b32 v130, v47 offset:1024
	s_wait_dscnt 0x0
	v_mov_b32_dpp v131, v130 row_shr:1 row_mask:0xf bank_mask:0xf
	s_delay_alu instid0(VALU_DEP_1) | instskip(NEXT) | instid1(VALU_DEP_1)
	v_cndmask_b32_e64 v131, v131, 0, s12
	v_add_nc_u32_e32 v130, v131, v130
	s_delay_alu instid0(VALU_DEP_1) | instskip(NEXT) | instid1(VALU_DEP_1)
	v_mov_b32_dpp v131, v130 row_shr:2 row_mask:0xf bank_mask:0xf
	v_cndmask_b32_e64 v131, 0, v131, s13
	s_delay_alu instid0(VALU_DEP_1) | instskip(NEXT) | instid1(VALU_DEP_1)
	v_add_nc_u32_e32 v130, v130, v131
	v_mov_b32_dpp v131, v130 row_shr:4 row_mask:0xf bank_mask:0xf
	s_delay_alu instid0(VALU_DEP_1) | instskip(NEXT) | instid1(VALU_DEP_1)
	v_cndmask_b32_e64 v131, 0, v131, s14
	v_add_nc_u32_e32 v130, v130, v131
	ds_store_b32 v47, v130 offset:1024
.LBB1020_98:                            ;   in Loop: Header=BB1020_64 Depth=2
	s_wait_alu 0xfffe
	s_or_b32 exec_lo, exec_lo, s15
	v_mov_b32_e32 v130, 0
	s_wait_loadcnt_dscnt 0x0
	s_barrier_signal -1
	s_barrier_wait -1
	global_inv scope:SCOPE_SE
	s_and_saveexec_b32 s15, s5
; %bb.99:                               ;   in Loop: Header=BB1020_64 Depth=2
	ds_load_b32 v130, v38 offset:1020
; %bb.100:                              ;   in Loop: Header=BB1020_64 Depth=2
	s_wait_alu 0xfffe
	s_or_b32 exec_lo, exec_lo, s15
	s_wait_dscnt 0x0
	v_add_nc_u32_e32 v129, v130, v129
	ds_bpermute_b32 v129, v84, v129
	s_wait_dscnt 0x0
	v_cndmask_b32_e64 v129, v129, v130, s8
	s_delay_alu instid0(VALU_DEP_1) | instskip(NEXT) | instid1(VALU_DEP_1)
	v_cndmask_b32_e64 v129, v129, 0, s6
	v_add_nc_u32_e32 v26, v129, v26
	s_delay_alu instid0(VALU_DEP_1) | instskip(NEXT) | instid1(VALU_DEP_1)
	v_add_nc_u32_e32 v27, v26, v27
	v_add_nc_u32_e32 v24, v27, v24
	s_delay_alu instid0(VALU_DEP_1) | instskip(NEXT) | instid1(VALU_DEP_1)
	v_add_nc_u32_e32 v25, v24, v25
	;; [unrolled: 3-line block ×3, first 2 shown]
	v_add_nc_u32_e32 v5, v8, v5
	s_delay_alu instid0(VALU_DEP_1)
	v_add_nc_u32_e32 v6, v5, v6
	ds_store_2addr_b32 v97, v8, v5 offset1:1
	ds_store_2addr_b32 v98, v129, v26 offset1:1
	;; [unrolled: 1-line block ×4, first 2 shown]
	ds_store_b32 v43, v6 offset:1088
	s_wait_loadcnt_dscnt 0x0
	s_barrier_signal -1
	s_barrier_wait -1
	global_inv scope:SCOPE_SE
	ds_load_b32 v8, v101 offset:1056
	ds_load_b32 v24, v105 offset:1056
	;; [unrolled: 1-line block ×9, first 2 shown]
	v_mov_b32_e32 v7, 0x800
	s_and_saveexec_b32 s15, s7
; %bb.101:                              ;   in Loop: Header=BB1020_64 Depth=2
	ds_load_b32 v7, v43 offset:1092
; %bb.102:                              ;   in Loop: Header=BB1020_64 Depth=2
	s_wait_alu 0xfffe
	s_or_b32 exec_lo, exec_lo, s15
	s_wait_loadcnt_dscnt 0x0
	s_barrier_signal -1
	s_barrier_wait -1
	global_inv scope:SCOPE_SE
	s_and_saveexec_b32 s15, s2
	s_cbranch_execz .LBB1020_104
; %bb.103:                              ;   in Loop: Header=BB1020_64 Depth=2
	ds_load_b32 v98, v28
	s_wait_dscnt 0x0
	v_sub_nc_u32_e32 v97, v98, v97
	ds_store_b32 v28, v97
.LBB1020_104:                           ;   in Loop: Header=BB1020_64 Depth=2
	s_wait_alu 0xfffe
	s_or_b32 exec_lo, exec_lo, s15
	v_add_nc_u32_e32 v98, v8, v95
	v_add3_u32 v97, v103, v102, v24
	v_add3_u32 v95, v108, v106, v25
	;; [unrolled: 1-line block ×4, first 2 shown]
	v_lshlrev_b32_e32 v99, 1, v98
	v_add3_u32 v24, v116, v114, v27
	v_lshlrev_b32_e32 v100, 1, v97
	v_lshlrev_b32_e32 v101, 1, v95
	v_add3_u32 v27, v123, v122, v5
	v_add3_u32 v26, v127, v126, v6
	ds_store_b16 v99, v0 offset:1024
	ds_store_b16 v100, v96 offset:1024
	;; [unrolled: 1-line block ×3, first 2 shown]
	v_lshlrev_b32_e32 v0, 1, v25
	v_cmp_lt_u32_e32 vcc_lo, v13, v94
	v_lshlrev_b32_e32 v5, 1, v24
	v_lshlrev_b32_e32 v6, 1, v8
	;; [unrolled: 1-line block ×4, first 2 shown]
	ds_store_b16 v0, v107 offset:1024
	ds_store_b16 v5, v111 offset:1024
	;; [unrolled: 1-line block ×5, first 2 shown]
	s_wait_loadcnt_dscnt 0x0
	s_barrier_signal -1
	s_barrier_wait -1
	global_inv scope:SCOPE_SE
	s_and_saveexec_b32 s16, vcc_lo
	s_cbranch_execnz .LBB1020_141
; %bb.105:                              ;   in Loop: Header=BB1020_64 Depth=2
	s_wait_alu 0xfffe
	s_or_b32 exec_lo, exec_lo, s16
	v_cmp_lt_u32_e64 s15, v29, v94
	s_and_saveexec_b32 s17, s15
	s_cbranch_execnz .LBB1020_142
.LBB1020_106:                           ;   in Loop: Header=BB1020_64 Depth=2
	s_wait_alu 0xfffe
	s_or_b32 exec_lo, exec_lo, s17
	v_cmp_lt_u32_e64 s16, v30, v94
	s_and_saveexec_b32 s18, s16
	s_cbranch_execnz .LBB1020_143
.LBB1020_107:                           ;   in Loop: Header=BB1020_64 Depth=2
	s_wait_alu 0xfffe
	s_or_b32 exec_lo, exec_lo, s18
	v_cmp_lt_u32_e64 s17, v31, v94
	s_and_saveexec_b32 s19, s17
	s_cbranch_execnz .LBB1020_144
.LBB1020_108:                           ;   in Loop: Header=BB1020_64 Depth=2
	s_wait_alu 0xfffe
	s_or_b32 exec_lo, exec_lo, s19
	v_cmp_lt_u32_e64 s18, v34, v94
	s_and_saveexec_b32 s20, s18
	s_cbranch_execnz .LBB1020_145
.LBB1020_109:                           ;   in Loop: Header=BB1020_64 Depth=2
	s_wait_alu 0xfffe
	s_or_b32 exec_lo, exec_lo, s20
	v_cmp_lt_u32_e64 s19, v35, v94
	s_and_saveexec_b32 s21, s19
	s_cbranch_execnz .LBB1020_146
.LBB1020_110:                           ;   in Loop: Header=BB1020_64 Depth=2
	s_wait_alu 0xfffe
	s_or_b32 exec_lo, exec_lo, s21
	v_cmp_lt_u32_e64 s20, v36, v94
	s_and_saveexec_b32 s22, s20
	s_cbranch_execnz .LBB1020_147
.LBB1020_111:                           ;   in Loop: Header=BB1020_64 Depth=2
	s_wait_alu 0xfffe
	s_or_b32 exec_lo, exec_lo, s22
	v_cmp_lt_u32_e64 s21, v37, v94
	s_and_saveexec_b32 s48, s21
	s_cbranch_execz .LBB1020_113
.LBB1020_112:                           ;   in Loop: Header=BB1020_64 Depth=2
	ds_load_u16 v96, v48 offset:4608
	s_wait_dscnt 0x0
	v_and_b32_e32 v0, 0xffff, v96
	s_delay_alu instid0(VALU_DEP_1) | instskip(NEXT) | instid1(VALU_DEP_1)
	v_lshrrev_b32_e32 v0, s23, v0
	v_and_b32_e32 v0, s42, v0
	s_delay_alu instid0(VALU_DEP_1) | instskip(SKIP_3) | instid1(VALU_DEP_1)
	v_lshlrev_b32_e32 v0, 2, v0
	ds_load_b32 v0, v0
	s_wait_dscnt 0x0
	v_add_nc_u32_e32 v0, v0, v37
	v_lshlrev_b64_e32 v[5:6], 1, v[0:1]
	v_xor_b32_e32 v0, 0xffff8000, v96
	s_delay_alu instid0(VALU_DEP_2) | instskip(SKIP_1) | instid1(VALU_DEP_3)
	v_add_co_u32 v5, s22, s38, v5
	s_wait_alu 0xf1ff
	v_add_co_ci_u32_e64 v6, null, s39, v6, s22
	global_store_b16 v[5:6], v0, off
.LBB1020_113:                           ;   in Loop: Header=BB1020_64 Depth=2
	s_wait_alu 0xfffe
	s_or_b32 exec_lo, exec_lo, s48
	s_lshl_b64 s[48:49], s[30:31], 3
	s_wait_alu 0xfffe
	v_add_co_u32 v5, s22, v80, s48
	s_wait_alu 0xf1ff
	v_add_co_ci_u32_e64 v6, null, s49, v81, s22
	v_cmp_lt_u32_e64 s22, v67, v94
	s_and_saveexec_b32 s30, s22
	s_wait_alu 0xfffe
	s_xor_b32 s22, exec_lo, s30
	s_cbranch_execnz .LBB1020_148
; %bb.114:                              ;   in Loop: Header=BB1020_64 Depth=2
	s_wait_alu 0xfffe
	s_or_b32 exec_lo, exec_lo, s22
	s_delay_alu instid0(SALU_CYCLE_1)
	s_mov_b32 s30, exec_lo
	v_cmpx_lt_u32_e64 v71, v94
	s_cbranch_execnz .LBB1020_149
.LBB1020_115:                           ;   in Loop: Header=BB1020_64 Depth=2
	s_wait_alu 0xfffe
	s_or_b32 exec_lo, exec_lo, s30
	s_delay_alu instid0(SALU_CYCLE_1)
	s_mov_b32 s30, exec_lo
	v_cmpx_lt_u32_e64 v72, v94
	s_cbranch_execnz .LBB1020_150
.LBB1020_116:                           ;   in Loop: Header=BB1020_64 Depth=2
	s_wait_alu 0xfffe
	s_or_b32 exec_lo, exec_lo, s30
	s_delay_alu instid0(SALU_CYCLE_1)
	s_mov_b32 s30, exec_lo
	v_cmpx_lt_u32_e64 v73, v94
	s_cbranch_execnz .LBB1020_151
.LBB1020_117:                           ;   in Loop: Header=BB1020_64 Depth=2
	s_wait_alu 0xfffe
	s_or_b32 exec_lo, exec_lo, s30
	s_delay_alu instid0(SALU_CYCLE_1)
	s_mov_b32 s30, exec_lo
	v_cmpx_lt_u32_e64 v74, v94
	s_cbranch_execnz .LBB1020_152
.LBB1020_118:                           ;   in Loop: Header=BB1020_64 Depth=2
	s_wait_alu 0xfffe
	s_or_b32 exec_lo, exec_lo, s30
	s_delay_alu instid0(SALU_CYCLE_1)
	s_mov_b32 s30, exec_lo
	v_cmpx_lt_u32_e64 v75, v94
	s_cbranch_execnz .LBB1020_153
.LBB1020_119:                           ;   in Loop: Header=BB1020_64 Depth=2
	s_wait_alu 0xfffe
	s_or_b32 exec_lo, exec_lo, s30
	s_delay_alu instid0(SALU_CYCLE_1)
	s_mov_b32 s30, exec_lo
	v_cmpx_lt_u32_e64 v76, v94
	s_cbranch_execnz .LBB1020_154
.LBB1020_120:                           ;   in Loop: Header=BB1020_64 Depth=2
	s_wait_alu 0xfffe
	s_or_b32 exec_lo, exec_lo, s30
	s_delay_alu instid0(SALU_CYCLE_1)
	s_mov_b32 s30, exec_lo
	v_cmpx_lt_u32_e64 v77, v94
	s_cbranch_execnz .LBB1020_155
.LBB1020_121:                           ;   in Loop: Header=BB1020_64 Depth=2
	s_wait_alu 0xfffe
	s_or_b32 exec_lo, exec_lo, s30
	s_and_saveexec_b32 s22, vcc_lo
	s_cbranch_execnz .LBB1020_156
.LBB1020_122:                           ;   in Loop: Header=BB1020_64 Depth=2
	s_wait_alu 0xfffe
	s_or_b32 exec_lo, exec_lo, s22
	s_and_saveexec_b32 s22, s15
	s_cbranch_execnz .LBB1020_157
.LBB1020_123:                           ;   in Loop: Header=BB1020_64 Depth=2
	s_wait_alu 0xfffe
	s_or_b32 exec_lo, exec_lo, s22
	s_and_saveexec_b32 s22, s16
	s_cbranch_execnz .LBB1020_158
.LBB1020_124:                           ;   in Loop: Header=BB1020_64 Depth=2
	s_wait_alu 0xfffe
	s_or_b32 exec_lo, exec_lo, s22
	s_and_saveexec_b32 s22, s17
	s_cbranch_execnz .LBB1020_159
.LBB1020_125:                           ;   in Loop: Header=BB1020_64 Depth=2
	s_wait_alu 0xfffe
	s_or_b32 exec_lo, exec_lo, s22
	s_and_saveexec_b32 s22, s18
	s_cbranch_execnz .LBB1020_160
.LBB1020_126:                           ;   in Loop: Header=BB1020_64 Depth=2
	s_wait_alu 0xfffe
	s_or_b32 exec_lo, exec_lo, s22
	s_and_saveexec_b32 s22, s19
	s_cbranch_execnz .LBB1020_161
.LBB1020_127:                           ;   in Loop: Header=BB1020_64 Depth=2
	s_wait_alu 0xfffe
	s_or_b32 exec_lo, exec_lo, s22
	s_and_saveexec_b32 s22, s20
	s_cbranch_execnz .LBB1020_162
.LBB1020_128:                           ;   in Loop: Header=BB1020_64 Depth=2
	s_wait_alu 0xfffe
	s_or_b32 exec_lo, exec_lo, s22
	s_and_saveexec_b32 s22, s21
	s_cbranch_execz .LBB1020_130
.LBB1020_129:                           ;   in Loop: Header=BB1020_64 Depth=2
	ds_load_u16 v0, v48 offset:4608
	s_wait_dscnt 0x0
	v_lshrrev_b32_e32 v0, s23, v0
	s_delay_alu instid0(VALU_DEP_1)
	v_and_b32_e32 v86, s42, v0
.LBB1020_130:                           ;   in Loop: Header=BB1020_64 Depth=2
	s_wait_alu 0xfffe
	s_or_b32 exec_lo, exec_lo, s22
	v_lshlrev_b32_e32 v0, 3, v98
	v_lshlrev_b32_e32 v5, 3, v97
	;; [unrolled: 1-line block ×3, first 2 shown]
	s_wait_loadcnt 0x0
	s_wait_storecnt 0x0
	s_barrier_signal -1
	s_barrier_wait -1
	global_inv scope:SCOPE_SE
	ds_store_b64 v0, v[22:23] offset:1024
	ds_store_b64 v5, v[20:21] offset:1024
	ds_store_b64 v6, v[18:19] offset:1024
	v_lshlrev_b32_e32 v0, 3, v25
	v_lshlrev_b32_e32 v5, 3, v24
	;; [unrolled: 1-line block ×5, first 2 shown]
	ds_store_b64 v0, v[16:17] offset:1024
	ds_store_b64 v5, v[14:15] offset:1024
	;; [unrolled: 1-line block ×5, first 2 shown]
	s_wait_loadcnt_dscnt 0x0
	s_barrier_signal -1
	s_barrier_wait -1
	global_inv scope:SCOPE_SE
	s_and_saveexec_b32 s22, vcc_lo
	s_cbranch_execnz .LBB1020_163
; %bb.131:                              ;   in Loop: Header=BB1020_64 Depth=2
	s_wait_alu 0xfffe
	s_or_b32 exec_lo, exec_lo, s22
	s_and_saveexec_b32 s22, s15
	s_cbranch_execnz .LBB1020_164
.LBB1020_132:                           ;   in Loop: Header=BB1020_64 Depth=2
	s_wait_alu 0xfffe
	s_or_b32 exec_lo, exec_lo, s22
	s_and_saveexec_b32 s15, s16
	s_cbranch_execnz .LBB1020_165
.LBB1020_133:                           ;   in Loop: Header=BB1020_64 Depth=2
	s_wait_alu 0xfffe
	s_or_b32 exec_lo, exec_lo, s15
	s_and_saveexec_b32 s15, s17
	s_cbranch_execnz .LBB1020_166
.LBB1020_134:                           ;   in Loop: Header=BB1020_64 Depth=2
	s_wait_alu 0xfffe
	s_or_b32 exec_lo, exec_lo, s15
	s_and_saveexec_b32 s15, s18
	s_cbranch_execnz .LBB1020_167
.LBB1020_135:                           ;   in Loop: Header=BB1020_64 Depth=2
	s_wait_alu 0xfffe
	s_or_b32 exec_lo, exec_lo, s15
	s_and_saveexec_b32 s15, s19
	s_cbranch_execnz .LBB1020_168
.LBB1020_136:                           ;   in Loop: Header=BB1020_64 Depth=2
	s_wait_alu 0xfffe
	s_or_b32 exec_lo, exec_lo, s15
	s_and_saveexec_b32 s15, s20
	s_cbranch_execnz .LBB1020_169
.LBB1020_137:                           ;   in Loop: Header=BB1020_64 Depth=2
	s_wait_alu 0xfffe
	s_or_b32 exec_lo, exec_lo, s15
	s_and_saveexec_b32 s15, s21
	s_cbranch_execz .LBB1020_139
.LBB1020_138:                           ;   in Loop: Header=BB1020_64 Depth=2
	v_lshlrev_b32_e32 v0, 2, v86
	v_add_nc_u32_e32 v5, v48, v49
	ds_load_b32 v0, v0
	ds_load_b64 v[5:6], v5 offset:15360
	s_wait_dscnt 0x1
	v_add_nc_u32_e32 v0, v0, v37
	s_delay_alu instid0(VALU_DEP_1) | instskip(NEXT) | instid1(VALU_DEP_1)
	v_lshlrev_b64_e32 v[24:25], 3, v[0:1]
	v_add_co_u32 v24, vcc_lo, s24, v24
	s_wait_alu 0xfffd
	s_delay_alu instid0(VALU_DEP_2)
	v_add_co_ci_u32_e64 v25, null, s25, v25, vcc_lo
	s_wait_dscnt 0x0
	global_store_b64 v[24:25], v[5:6], off
.LBB1020_139:                           ;   in Loop: Header=BB1020_64 Depth=2
	s_wait_alu 0xfffe
	s_or_b32 exec_lo, exec_lo, s15
	s_wait_loadcnt 0x0
	s_wait_storecnt 0x0
	s_barrier_signal -1
	s_barrier_wait -1
	global_inv scope:SCOPE_SE
	s_and_saveexec_b32 s15, s2
	s_cbranch_execz .LBB1020_63
; %bb.140:                              ;   in Loop: Header=BB1020_64 Depth=2
	ds_load_b32 v0, v28
	s_wait_dscnt 0x0
	v_add_nc_u32_e32 v0, v0, v7
	ds_store_b32 v28, v0
	s_branch .LBB1020_63
.LBB1020_141:                           ;   in Loop: Header=BB1020_64 Depth=2
	ds_load_u16 v96, v48 offset:1024
	s_wait_dscnt 0x0
	v_and_b32_e32 v0, 0xffff, v96
	s_delay_alu instid0(VALU_DEP_1) | instskip(NEXT) | instid1(VALU_DEP_1)
	v_lshrrev_b32_e32 v0, s23, v0
	v_and_b32_e32 v0, s42, v0
	s_delay_alu instid0(VALU_DEP_1) | instskip(SKIP_3) | instid1(VALU_DEP_1)
	v_lshlrev_b32_e32 v0, 2, v0
	ds_load_b32 v0, v0
	s_wait_dscnt 0x0
	v_add_nc_u32_e32 v0, v0, v13
	v_lshlrev_b64_e32 v[5:6], 1, v[0:1]
	v_xor_b32_e32 v0, 0xffff8000, v96
	s_delay_alu instid0(VALU_DEP_2) | instskip(SKIP_1) | instid1(VALU_DEP_3)
	v_add_co_u32 v5, s15, s38, v5
	s_wait_alu 0xf1ff
	v_add_co_ci_u32_e64 v6, null, s39, v6, s15
	global_store_b16 v[5:6], v0, off
	s_wait_alu 0xfffe
	s_or_b32 exec_lo, exec_lo, s16
	v_cmp_lt_u32_e64 s15, v29, v94
	s_and_saveexec_b32 s17, s15
	s_cbranch_execz .LBB1020_106
.LBB1020_142:                           ;   in Loop: Header=BB1020_64 Depth=2
	ds_load_u16 v96, v48 offset:1536
	s_wait_dscnt 0x0
	v_and_b32_e32 v0, 0xffff, v96
	s_delay_alu instid0(VALU_DEP_1) | instskip(NEXT) | instid1(VALU_DEP_1)
	v_lshrrev_b32_e32 v0, s23, v0
	v_and_b32_e32 v0, s42, v0
	s_delay_alu instid0(VALU_DEP_1) | instskip(SKIP_3) | instid1(VALU_DEP_1)
	v_lshlrev_b32_e32 v0, 2, v0
	ds_load_b32 v0, v0
	s_wait_dscnt 0x0
	v_add_nc_u32_e32 v0, v0, v29
	v_lshlrev_b64_e32 v[5:6], 1, v[0:1]
	v_xor_b32_e32 v0, 0xffff8000, v96
	s_delay_alu instid0(VALU_DEP_2) | instskip(SKIP_1) | instid1(VALU_DEP_3)
	v_add_co_u32 v5, s16, s38, v5
	s_wait_alu 0xf1ff
	v_add_co_ci_u32_e64 v6, null, s39, v6, s16
	global_store_b16 v[5:6], v0, off
	s_wait_alu 0xfffe
	s_or_b32 exec_lo, exec_lo, s17
	v_cmp_lt_u32_e64 s16, v30, v94
	s_and_saveexec_b32 s18, s16
	s_cbranch_execz .LBB1020_107
.LBB1020_143:                           ;   in Loop: Header=BB1020_64 Depth=2
	ds_load_u16 v96, v48 offset:2048
	s_wait_dscnt 0x0
	v_and_b32_e32 v0, 0xffff, v96
	s_delay_alu instid0(VALU_DEP_1) | instskip(NEXT) | instid1(VALU_DEP_1)
	v_lshrrev_b32_e32 v0, s23, v0
	v_and_b32_e32 v0, s42, v0
	s_delay_alu instid0(VALU_DEP_1) | instskip(SKIP_3) | instid1(VALU_DEP_1)
	v_lshlrev_b32_e32 v0, 2, v0
	ds_load_b32 v0, v0
	s_wait_dscnt 0x0
	v_add_nc_u32_e32 v0, v0, v30
	v_lshlrev_b64_e32 v[5:6], 1, v[0:1]
	v_xor_b32_e32 v0, 0xffff8000, v96
	s_delay_alu instid0(VALU_DEP_2) | instskip(SKIP_1) | instid1(VALU_DEP_3)
	v_add_co_u32 v5, s17, s38, v5
	s_wait_alu 0xf1ff
	v_add_co_ci_u32_e64 v6, null, s39, v6, s17
	global_store_b16 v[5:6], v0, off
	s_wait_alu 0xfffe
	s_or_b32 exec_lo, exec_lo, s18
	v_cmp_lt_u32_e64 s17, v31, v94
	s_and_saveexec_b32 s19, s17
	s_cbranch_execz .LBB1020_108
.LBB1020_144:                           ;   in Loop: Header=BB1020_64 Depth=2
	ds_load_u16 v96, v48 offset:2560
	s_wait_dscnt 0x0
	v_and_b32_e32 v0, 0xffff, v96
	s_delay_alu instid0(VALU_DEP_1) | instskip(NEXT) | instid1(VALU_DEP_1)
	v_lshrrev_b32_e32 v0, s23, v0
	v_and_b32_e32 v0, s42, v0
	s_delay_alu instid0(VALU_DEP_1) | instskip(SKIP_3) | instid1(VALU_DEP_1)
	v_lshlrev_b32_e32 v0, 2, v0
	ds_load_b32 v0, v0
	s_wait_dscnt 0x0
	v_add_nc_u32_e32 v0, v0, v31
	v_lshlrev_b64_e32 v[5:6], 1, v[0:1]
	v_xor_b32_e32 v0, 0xffff8000, v96
	s_delay_alu instid0(VALU_DEP_2) | instskip(SKIP_1) | instid1(VALU_DEP_3)
	v_add_co_u32 v5, s18, s38, v5
	s_wait_alu 0xf1ff
	v_add_co_ci_u32_e64 v6, null, s39, v6, s18
	global_store_b16 v[5:6], v0, off
	s_wait_alu 0xfffe
	s_or_b32 exec_lo, exec_lo, s19
	v_cmp_lt_u32_e64 s18, v34, v94
	s_and_saveexec_b32 s20, s18
	s_cbranch_execz .LBB1020_109
.LBB1020_145:                           ;   in Loop: Header=BB1020_64 Depth=2
	ds_load_u16 v96, v48 offset:3072
	s_wait_dscnt 0x0
	v_and_b32_e32 v0, 0xffff, v96
	s_delay_alu instid0(VALU_DEP_1) | instskip(NEXT) | instid1(VALU_DEP_1)
	v_lshrrev_b32_e32 v0, s23, v0
	v_and_b32_e32 v0, s42, v0
	s_delay_alu instid0(VALU_DEP_1) | instskip(SKIP_3) | instid1(VALU_DEP_1)
	v_lshlrev_b32_e32 v0, 2, v0
	ds_load_b32 v0, v0
	s_wait_dscnt 0x0
	v_add_nc_u32_e32 v0, v0, v34
	v_lshlrev_b64_e32 v[5:6], 1, v[0:1]
	v_xor_b32_e32 v0, 0xffff8000, v96
	s_delay_alu instid0(VALU_DEP_2) | instskip(SKIP_1) | instid1(VALU_DEP_3)
	v_add_co_u32 v5, s19, s38, v5
	s_wait_alu 0xf1ff
	v_add_co_ci_u32_e64 v6, null, s39, v6, s19
	global_store_b16 v[5:6], v0, off
	s_wait_alu 0xfffe
	s_or_b32 exec_lo, exec_lo, s20
	v_cmp_lt_u32_e64 s19, v35, v94
	s_and_saveexec_b32 s21, s19
	s_cbranch_execz .LBB1020_110
.LBB1020_146:                           ;   in Loop: Header=BB1020_64 Depth=2
	ds_load_u16 v96, v48 offset:3584
	s_wait_dscnt 0x0
	v_and_b32_e32 v0, 0xffff, v96
	s_delay_alu instid0(VALU_DEP_1) | instskip(NEXT) | instid1(VALU_DEP_1)
	v_lshrrev_b32_e32 v0, s23, v0
	v_and_b32_e32 v0, s42, v0
	s_delay_alu instid0(VALU_DEP_1) | instskip(SKIP_3) | instid1(VALU_DEP_1)
	v_lshlrev_b32_e32 v0, 2, v0
	ds_load_b32 v0, v0
	s_wait_dscnt 0x0
	v_add_nc_u32_e32 v0, v0, v35
	v_lshlrev_b64_e32 v[5:6], 1, v[0:1]
	v_xor_b32_e32 v0, 0xffff8000, v96
	s_delay_alu instid0(VALU_DEP_2) | instskip(SKIP_1) | instid1(VALU_DEP_3)
	v_add_co_u32 v5, s20, s38, v5
	s_wait_alu 0xf1ff
	v_add_co_ci_u32_e64 v6, null, s39, v6, s20
	global_store_b16 v[5:6], v0, off
	s_wait_alu 0xfffe
	s_or_b32 exec_lo, exec_lo, s21
	v_cmp_lt_u32_e64 s20, v36, v94
	s_and_saveexec_b32 s22, s20
	s_cbranch_execz .LBB1020_111
.LBB1020_147:                           ;   in Loop: Header=BB1020_64 Depth=2
	ds_load_u16 v96, v48 offset:4096
	s_wait_dscnt 0x0
	v_and_b32_e32 v0, 0xffff, v96
	s_delay_alu instid0(VALU_DEP_1) | instskip(NEXT) | instid1(VALU_DEP_1)
	v_lshrrev_b32_e32 v0, s23, v0
	v_and_b32_e32 v0, s42, v0
	s_delay_alu instid0(VALU_DEP_1) | instskip(SKIP_3) | instid1(VALU_DEP_1)
	v_lshlrev_b32_e32 v0, 2, v0
	ds_load_b32 v0, v0
	s_wait_dscnt 0x0
	v_add_nc_u32_e32 v0, v0, v36
	v_lshlrev_b64_e32 v[5:6], 1, v[0:1]
	v_xor_b32_e32 v0, 0xffff8000, v96
	s_delay_alu instid0(VALU_DEP_2) | instskip(SKIP_1) | instid1(VALU_DEP_3)
	v_add_co_u32 v5, s21, s38, v5
	s_wait_alu 0xf1ff
	v_add_co_ci_u32_e64 v6, null, s39, v6, s21
	global_store_b16 v[5:6], v0, off
	s_wait_alu 0xfffe
	s_or_b32 exec_lo, exec_lo, s22
	v_cmp_lt_u32_e64 s21, v37, v94
	s_and_saveexec_b32 s48, s21
	s_cbranch_execnz .LBB1020_112
	s_branch .LBB1020_113
.LBB1020_148:                           ;   in Loop: Header=BB1020_64 Depth=2
	global_load_b64 v[22:23], v[5:6], off
	s_wait_alu 0xfffe
	s_or_b32 exec_lo, exec_lo, s22
	s_delay_alu instid0(SALU_CYCLE_1)
	s_mov_b32 s30, exec_lo
	v_cmpx_lt_u32_e64 v71, v94
	s_cbranch_execz .LBB1020_115
.LBB1020_149:                           ;   in Loop: Header=BB1020_64 Depth=2
	global_load_b64 v[20:21], v[5:6], off offset:256
	s_wait_alu 0xfffe
	s_or_b32 exec_lo, exec_lo, s30
	s_delay_alu instid0(SALU_CYCLE_1)
	s_mov_b32 s30, exec_lo
	v_cmpx_lt_u32_e64 v72, v94
	s_cbranch_execz .LBB1020_116
.LBB1020_150:                           ;   in Loop: Header=BB1020_64 Depth=2
	global_load_b64 v[18:19], v[5:6], off offset:512
	s_wait_alu 0xfffe
	s_or_b32 exec_lo, exec_lo, s30
	s_delay_alu instid0(SALU_CYCLE_1)
	s_mov_b32 s30, exec_lo
	v_cmpx_lt_u32_e64 v73, v94
	s_cbranch_execz .LBB1020_117
.LBB1020_151:                           ;   in Loop: Header=BB1020_64 Depth=2
	global_load_b64 v[16:17], v[5:6], off offset:768
	s_wait_alu 0xfffe
	s_or_b32 exec_lo, exec_lo, s30
	s_delay_alu instid0(SALU_CYCLE_1)
	s_mov_b32 s30, exec_lo
	v_cmpx_lt_u32_e64 v74, v94
	s_cbranch_execz .LBB1020_118
.LBB1020_152:                           ;   in Loop: Header=BB1020_64 Depth=2
	global_load_b64 v[14:15], v[5:6], off offset:1024
	s_wait_alu 0xfffe
	s_or_b32 exec_lo, exec_lo, s30
	s_delay_alu instid0(SALU_CYCLE_1)
	s_mov_b32 s30, exec_lo
	v_cmpx_lt_u32_e64 v75, v94
	s_cbranch_execz .LBB1020_119
.LBB1020_153:                           ;   in Loop: Header=BB1020_64 Depth=2
	global_load_b64 v[11:12], v[5:6], off offset:1280
	s_wait_alu 0xfffe
	s_or_b32 exec_lo, exec_lo, s30
	s_delay_alu instid0(SALU_CYCLE_1)
	s_mov_b32 s30, exec_lo
	v_cmpx_lt_u32_e64 v76, v94
	s_cbranch_execz .LBB1020_120
.LBB1020_154:                           ;   in Loop: Header=BB1020_64 Depth=2
	global_load_b64 v[9:10], v[5:6], off offset:1536
	s_wait_alu 0xfffe
	s_or_b32 exec_lo, exec_lo, s30
	s_delay_alu instid0(SALU_CYCLE_1)
	s_mov_b32 s30, exec_lo
	v_cmpx_lt_u32_e64 v77, v94
	s_cbranch_execz .LBB1020_121
.LBB1020_155:                           ;   in Loop: Header=BB1020_64 Depth=2
	global_load_b64 v[2:3], v[5:6], off offset:1792
	s_wait_alu 0xfffe
	s_or_b32 exec_lo, exec_lo, s30
	s_and_saveexec_b32 s22, vcc_lo
	s_cbranch_execz .LBB1020_122
.LBB1020_156:                           ;   in Loop: Header=BB1020_64 Depth=2
	ds_load_u16 v0, v48 offset:1024
	s_wait_dscnt 0x0
	v_lshrrev_b32_e32 v0, s23, v0
	s_delay_alu instid0(VALU_DEP_1)
	v_and_b32_e32 v93, s42, v0
	s_wait_alu 0xfffe
	s_or_b32 exec_lo, exec_lo, s22
	s_and_saveexec_b32 s22, s15
	s_cbranch_execz .LBB1020_123
.LBB1020_157:                           ;   in Loop: Header=BB1020_64 Depth=2
	ds_load_u16 v0, v48 offset:1536
	s_wait_dscnt 0x0
	v_lshrrev_b32_e32 v0, s23, v0
	s_delay_alu instid0(VALU_DEP_1)
	v_and_b32_e32 v92, s42, v0
	s_wait_alu 0xfffe
	s_or_b32 exec_lo, exec_lo, s22
	s_and_saveexec_b32 s22, s16
	s_cbranch_execz .LBB1020_124
.LBB1020_158:                           ;   in Loop: Header=BB1020_64 Depth=2
	ds_load_u16 v0, v48 offset:2048
	s_wait_dscnt 0x0
	v_lshrrev_b32_e32 v0, s23, v0
	s_delay_alu instid0(VALU_DEP_1)
	v_and_b32_e32 v91, s42, v0
	s_wait_alu 0xfffe
	s_or_b32 exec_lo, exec_lo, s22
	s_and_saveexec_b32 s22, s17
	s_cbranch_execz .LBB1020_125
.LBB1020_159:                           ;   in Loop: Header=BB1020_64 Depth=2
	ds_load_u16 v0, v48 offset:2560
	s_wait_dscnt 0x0
	v_lshrrev_b32_e32 v0, s23, v0
	s_delay_alu instid0(VALU_DEP_1)
	v_and_b32_e32 v90, s42, v0
	s_wait_alu 0xfffe
	s_or_b32 exec_lo, exec_lo, s22
	s_and_saveexec_b32 s22, s18
	s_cbranch_execz .LBB1020_126
.LBB1020_160:                           ;   in Loop: Header=BB1020_64 Depth=2
	ds_load_u16 v0, v48 offset:3072
	s_wait_dscnt 0x0
	v_lshrrev_b32_e32 v0, s23, v0
	s_delay_alu instid0(VALU_DEP_1)
	v_and_b32_e32 v89, s42, v0
	s_wait_alu 0xfffe
	s_or_b32 exec_lo, exec_lo, s22
	s_and_saveexec_b32 s22, s19
	s_cbranch_execz .LBB1020_127
.LBB1020_161:                           ;   in Loop: Header=BB1020_64 Depth=2
	ds_load_u16 v0, v48 offset:3584
	s_wait_dscnt 0x0
	v_lshrrev_b32_e32 v0, s23, v0
	s_delay_alu instid0(VALU_DEP_1)
	v_and_b32_e32 v88, s42, v0
	s_wait_alu 0xfffe
	s_or_b32 exec_lo, exec_lo, s22
	s_and_saveexec_b32 s22, s20
	s_cbranch_execz .LBB1020_128
.LBB1020_162:                           ;   in Loop: Header=BB1020_64 Depth=2
	ds_load_u16 v0, v48 offset:4096
	s_wait_dscnt 0x0
	v_lshrrev_b32_e32 v0, s23, v0
	s_delay_alu instid0(VALU_DEP_1)
	v_and_b32_e32 v87, s42, v0
	s_wait_alu 0xfffe
	s_or_b32 exec_lo, exec_lo, s22
	s_and_saveexec_b32 s22, s21
	s_cbranch_execnz .LBB1020_129
	s_branch .LBB1020_130
.LBB1020_163:                           ;   in Loop: Header=BB1020_64 Depth=2
	v_lshlrev_b32_e32 v0, 2, v93
	v_add_nc_u32_e32 v5, v48, v49
	ds_load_b32 v0, v0
	ds_load_b64 v[5:6], v5 offset:1024
	s_wait_dscnt 0x1
	v_add_nc_u32_e32 v0, v0, v13
	s_delay_alu instid0(VALU_DEP_1) | instskip(NEXT) | instid1(VALU_DEP_1)
	v_lshlrev_b64_e32 v[24:25], 3, v[0:1]
	v_add_co_u32 v24, vcc_lo, s24, v24
	s_wait_alu 0xfffd
	s_delay_alu instid0(VALU_DEP_2)
	v_add_co_ci_u32_e64 v25, null, s25, v25, vcc_lo
	s_wait_dscnt 0x0
	global_store_b64 v[24:25], v[5:6], off
	s_wait_alu 0xfffe
	s_or_b32 exec_lo, exec_lo, s22
	s_and_saveexec_b32 s22, s15
	s_cbranch_execz .LBB1020_132
.LBB1020_164:                           ;   in Loop: Header=BB1020_64 Depth=2
	v_lshlrev_b32_e32 v0, 2, v92
	v_add_nc_u32_e32 v5, v48, v49
	ds_load_b32 v0, v0
	ds_load_b64 v[5:6], v5 offset:3072
	s_wait_dscnt 0x1
	v_add_nc_u32_e32 v0, v0, v29
	s_delay_alu instid0(VALU_DEP_1) | instskip(NEXT) | instid1(VALU_DEP_1)
	v_lshlrev_b64_e32 v[24:25], 3, v[0:1]
	v_add_co_u32 v24, vcc_lo, s24, v24
	s_wait_alu 0xfffd
	s_delay_alu instid0(VALU_DEP_2)
	v_add_co_ci_u32_e64 v25, null, s25, v25, vcc_lo
	s_wait_dscnt 0x0
	global_store_b64 v[24:25], v[5:6], off
	s_wait_alu 0xfffe
	s_or_b32 exec_lo, exec_lo, s22
	s_and_saveexec_b32 s15, s16
	s_cbranch_execz .LBB1020_133
.LBB1020_165:                           ;   in Loop: Header=BB1020_64 Depth=2
	v_lshlrev_b32_e32 v0, 2, v91
	v_add_nc_u32_e32 v5, v48, v49
	ds_load_b32 v0, v0
	ds_load_b64 v[5:6], v5 offset:5120
	s_wait_dscnt 0x1
	v_add_nc_u32_e32 v0, v0, v30
	s_delay_alu instid0(VALU_DEP_1) | instskip(NEXT) | instid1(VALU_DEP_1)
	v_lshlrev_b64_e32 v[24:25], 3, v[0:1]
	v_add_co_u32 v24, vcc_lo, s24, v24
	s_wait_alu 0xfffd
	s_delay_alu instid0(VALU_DEP_2)
	v_add_co_ci_u32_e64 v25, null, s25, v25, vcc_lo
	s_wait_dscnt 0x0
	global_store_b64 v[24:25], v[5:6], off
	s_wait_alu 0xfffe
	s_or_b32 exec_lo, exec_lo, s15
	s_and_saveexec_b32 s15, s17
	s_cbranch_execz .LBB1020_134
.LBB1020_166:                           ;   in Loop: Header=BB1020_64 Depth=2
	v_lshlrev_b32_e32 v0, 2, v90
	v_add_nc_u32_e32 v5, v48, v49
	ds_load_b32 v0, v0
	ds_load_b64 v[5:6], v5 offset:7168
	s_wait_dscnt 0x1
	v_add_nc_u32_e32 v0, v0, v31
	s_delay_alu instid0(VALU_DEP_1) | instskip(NEXT) | instid1(VALU_DEP_1)
	v_lshlrev_b64_e32 v[24:25], 3, v[0:1]
	v_add_co_u32 v24, vcc_lo, s24, v24
	s_wait_alu 0xfffd
	s_delay_alu instid0(VALU_DEP_2)
	v_add_co_ci_u32_e64 v25, null, s25, v25, vcc_lo
	s_wait_dscnt 0x0
	global_store_b64 v[24:25], v[5:6], off
	s_wait_alu 0xfffe
	s_or_b32 exec_lo, exec_lo, s15
	s_and_saveexec_b32 s15, s18
	s_cbranch_execz .LBB1020_135
.LBB1020_167:                           ;   in Loop: Header=BB1020_64 Depth=2
	v_lshlrev_b32_e32 v0, 2, v89
	v_add_nc_u32_e32 v5, v48, v49
	ds_load_b32 v0, v0
	ds_load_b64 v[5:6], v5 offset:9216
	s_wait_dscnt 0x1
	v_add_nc_u32_e32 v0, v0, v34
	s_delay_alu instid0(VALU_DEP_1) | instskip(NEXT) | instid1(VALU_DEP_1)
	v_lshlrev_b64_e32 v[24:25], 3, v[0:1]
	v_add_co_u32 v24, vcc_lo, s24, v24
	s_wait_alu 0xfffd
	s_delay_alu instid0(VALU_DEP_2)
	v_add_co_ci_u32_e64 v25, null, s25, v25, vcc_lo
	s_wait_dscnt 0x0
	global_store_b64 v[24:25], v[5:6], off
	s_wait_alu 0xfffe
	s_or_b32 exec_lo, exec_lo, s15
	s_and_saveexec_b32 s15, s19
	s_cbranch_execz .LBB1020_136
.LBB1020_168:                           ;   in Loop: Header=BB1020_64 Depth=2
	v_lshlrev_b32_e32 v0, 2, v88
	v_add_nc_u32_e32 v5, v48, v49
	ds_load_b32 v0, v0
	ds_load_b64 v[5:6], v5 offset:11264
	s_wait_dscnt 0x1
	v_add_nc_u32_e32 v0, v0, v35
	s_delay_alu instid0(VALU_DEP_1) | instskip(NEXT) | instid1(VALU_DEP_1)
	v_lshlrev_b64_e32 v[24:25], 3, v[0:1]
	v_add_co_u32 v24, vcc_lo, s24, v24
	s_wait_alu 0xfffd
	s_delay_alu instid0(VALU_DEP_2)
	v_add_co_ci_u32_e64 v25, null, s25, v25, vcc_lo
	s_wait_dscnt 0x0
	global_store_b64 v[24:25], v[5:6], off
	s_wait_alu 0xfffe
	s_or_b32 exec_lo, exec_lo, s15
	s_and_saveexec_b32 s15, s20
	s_cbranch_execz .LBB1020_137
.LBB1020_169:                           ;   in Loop: Header=BB1020_64 Depth=2
	v_lshlrev_b32_e32 v0, 2, v87
	v_add_nc_u32_e32 v5, v48, v49
	ds_load_b32 v0, v0
	ds_load_b64 v[5:6], v5 offset:13312
	s_wait_dscnt 0x1
	v_add_nc_u32_e32 v0, v0, v36
	s_delay_alu instid0(VALU_DEP_1) | instskip(NEXT) | instid1(VALU_DEP_1)
	v_lshlrev_b64_e32 v[24:25], 3, v[0:1]
	v_add_co_u32 v24, vcc_lo, s24, v24
	s_wait_alu 0xfffd
	s_delay_alu instid0(VALU_DEP_2)
	v_add_co_ci_u32_e64 v25, null, s25, v25, vcc_lo
	s_wait_dscnt 0x0
	global_store_b64 v[24:25], v[5:6], off
	s_wait_alu 0xfffe
	s_or_b32 exec_lo, exec_lo, s15
	s_and_saveexec_b32 s15, s21
	s_cbranch_execnz .LBB1020_138
	s_branch .LBB1020_139
.LBB1020_170:                           ;   in Loop: Header=BB1020_64 Depth=2
	v_dual_mov_b32 v5, 0x7fff0000 :: v_dual_mov_b32 v6, v4
	v_dual_mov_b32 v7, v4 :: v_dual_mov_b32 v8, v4
	global_load_d16_b16 v5, v[24:25], off
	s_wait_alu 0xfffe
	s_or_b32 exec_lo, exec_lo, s15
	s_delay_alu instid0(SALU_CYCLE_1)
	s_mov_b32 s15, exec_lo
	v_cmpx_gt_u32_e64 s43, v71
	s_cbranch_execz .LBB1020_69
.LBB1020_171:                           ;   in Loop: Header=BB1020_64 Depth=2
	s_wait_loadcnt 0x0
	global_load_d16_hi_b16 v5, v[24:25], off offset:64
	s_wait_alu 0xfffe
	s_or_b32 exec_lo, exec_lo, s15
	s_delay_alu instid0(SALU_CYCLE_1)
	s_mov_b32 s15, exec_lo
	v_cmpx_gt_u32_e64 s43, v72
	s_cbranch_execz .LBB1020_70
.LBB1020_172:                           ;   in Loop: Header=BB1020_64 Depth=2
	global_load_d16_b16 v6, v[24:25], off offset:128
	s_wait_alu 0xfffe
	s_or_b32 exec_lo, exec_lo, s15
	s_delay_alu instid0(SALU_CYCLE_1)
	s_mov_b32 s15, exec_lo
	v_cmpx_gt_u32_e64 s43, v73
	s_cbranch_execz .LBB1020_71
.LBB1020_173:                           ;   in Loop: Header=BB1020_64 Depth=2
	s_wait_loadcnt 0x0
	global_load_d16_hi_b16 v6, v[24:25], off offset:192
	s_wait_alu 0xfffe
	s_or_b32 exec_lo, exec_lo, s15
	s_delay_alu instid0(SALU_CYCLE_1)
	s_mov_b32 s15, exec_lo
	v_cmpx_gt_u32_e64 s43, v74
	s_cbranch_execz .LBB1020_72
.LBB1020_174:                           ;   in Loop: Header=BB1020_64 Depth=2
	global_load_d16_b16 v7, v[24:25], off offset:256
	s_wait_alu 0xfffe
	s_or_b32 exec_lo, exec_lo, s15
	s_delay_alu instid0(SALU_CYCLE_1)
	s_mov_b32 s15, exec_lo
	v_cmpx_gt_u32_e64 s43, v75
	s_cbranch_execz .LBB1020_73
.LBB1020_175:                           ;   in Loop: Header=BB1020_64 Depth=2
	s_wait_loadcnt 0x0
	global_load_d16_hi_b16 v7, v[24:25], off offset:320
	s_wait_alu 0xfffe
	s_or_b32 exec_lo, exec_lo, s15
	s_delay_alu instid0(SALU_CYCLE_1)
	s_mov_b32 s15, exec_lo
	v_cmpx_gt_u32_e64 s43, v76
	s_cbranch_execnz .LBB1020_74
	s_branch .LBB1020_75
.LBB1020_176:                           ;   in Loop: Header=BB1020_12 Depth=1
	s_wait_loadcnt_dscnt 0x0
	s_barrier_signal -1
	s_mov_b32 s0, 0
	s_barrier_wait -1
.LBB1020_177:                           ;   in Loop: Header=BB1020_12 Depth=1
	s_wait_alu 0xfffe
	s_and_b32 vcc_lo, exec_lo, s0
	s_wait_alu 0xfffe
	s_cbranch_vccz .LBB1020_341
; %bb.178:                              ;   in Loop: Header=BB1020_12 Depth=1
	v_dual_mov_b32 v0, v1 :: v_dual_mov_b32 v3, v1
	v_mov_b32_e32 v2, v1
	s_mov_b32 s9, s47
	s_mov_b32 s30, s33
	s_barrier_signal -1
	s_delay_alu instid0(VALU_DEP_1)
	v_dual_mov_b32 v8, v3 :: v_dual_mov_b32 v7, v2
	v_dual_mov_b32 v6, v1 :: v_dual_mov_b32 v5, v0
	s_barrier_wait -1
	global_inv scope:SCOPE_SE
	s_branch .LBB1020_180
.LBB1020_179:                           ;   in Loop: Header=BB1020_180 Depth=2
	s_wait_alu 0xfffe
	s_or_b32 exec_lo, exec_lo, s0
	s_addk_co_i32 s9, 0xf800
	s_cmp_ge_u32 s10, s34
	s_mov_b32 s30, s10
	s_cbranch_scc1 .LBB1020_216
.LBB1020_180:                           ;   Parent Loop BB1020_12 Depth=1
                                        ; =>  This Inner Loop Header: Depth=2
	s_wait_alu 0xfffe
	s_add_co_i32 s10, s30, 0x800
	s_mov_b32 s0, -1
	s_wait_alu 0xfffe
	s_cmp_gt_u32 s10, s34
                                        ; implicit-def: $vgpr9_vgpr10_vgpr11_vgpr12
	s_cbranch_scc1 .LBB1020_182
; %bb.181:                              ;   in Loop: Header=BB1020_180 Depth=2
	s_lshl_b64 s[0:1], s[30:31], 1
	s_wait_alu 0xfffe
	v_add_co_u32 v2, vcc_lo, v50, s0
	s_wait_alu 0xfffd
	v_add_co_ci_u32_e64 v3, null, s1, v51, vcc_lo
	s_mov_b32 s0, 0
	s_clause 0x3
	global_load_u16 v9, v[2:3], off
	global_load_u16 v10, v[2:3], off offset:1024
	global_load_u16 v11, v[2:3], off offset:2048
	;; [unrolled: 1-line block ×3, first 2 shown]
	s_wait_loadcnt 0x3
	global_load_d16_hi_b16 v9, v[2:3], off offset:512
	s_wait_loadcnt 0x3
	global_load_d16_hi_b16 v10, v[2:3], off offset:1536
	;; [unrolled: 2-line block ×4, first 2 shown]
.LBB1020_182:                           ;   in Loop: Header=BB1020_180 Depth=2
	s_wait_alu 0xfffe
	s_and_not1_b32 vcc_lo, exec_lo, s0
	s_movk_i32 s0, 0x800
	s_wait_alu 0xfffe
	s_cbranch_vccnz .LBB1020_193
; %bb.183:                              ;   in Loop: Header=BB1020_180 Depth=2
	s_lshl_b64 s[0:1], s[30:31], 1
	s_mov_b32 s11, exec_lo
	s_wait_alu 0xfffe
	s_add_nc_u64 s[0:1], s[38:39], s[0:1]
	v_cmpx_gt_u32_e64 s9, v13
	s_cbranch_execnz .LBB1020_209
; %bb.184:                              ;   in Loop: Header=BB1020_180 Depth=2
	s_or_b32 exec_lo, exec_lo, s11
	s_delay_alu instid0(SALU_CYCLE_1)
	s_mov_b32 s11, exec_lo
	v_cmpx_gt_u32_e64 s9, v29
	s_cbranch_execnz .LBB1020_210
.LBB1020_185:                           ;   in Loop: Header=BB1020_180 Depth=2
	s_wait_alu 0xfffe
	s_or_b32 exec_lo, exec_lo, s11
	s_delay_alu instid0(SALU_CYCLE_1)
	s_mov_b32 s11, exec_lo
	v_cmpx_gt_u32_e64 s9, v30
	s_cbranch_execnz .LBB1020_211
.LBB1020_186:                           ;   in Loop: Header=BB1020_180 Depth=2
	s_wait_alu 0xfffe
	s_or_b32 exec_lo, exec_lo, s11
	s_delay_alu instid0(SALU_CYCLE_1)
	s_mov_b32 s11, exec_lo
	v_cmpx_gt_u32_e64 s9, v31
	s_cbranch_execnz .LBB1020_212
.LBB1020_187:                           ;   in Loop: Header=BB1020_180 Depth=2
	s_wait_alu 0xfffe
	s_or_b32 exec_lo, exec_lo, s11
	s_delay_alu instid0(SALU_CYCLE_1)
	s_mov_b32 s11, exec_lo
	v_cmpx_gt_u32_e64 s9, v34
	s_cbranch_execnz .LBB1020_213
.LBB1020_188:                           ;   in Loop: Header=BB1020_180 Depth=2
	s_wait_alu 0xfffe
	s_or_b32 exec_lo, exec_lo, s11
	s_delay_alu instid0(SALU_CYCLE_1)
	s_mov_b32 s11, exec_lo
	v_cmpx_gt_u32_e64 s9, v35
	s_cbranch_execnz .LBB1020_214
.LBB1020_189:                           ;   in Loop: Header=BB1020_180 Depth=2
	s_wait_alu 0xfffe
	s_or_b32 exec_lo, exec_lo, s11
	s_delay_alu instid0(SALU_CYCLE_1)
	s_mov_b32 s11, exec_lo
	v_cmpx_gt_u32_e64 s9, v36
	s_cbranch_execnz .LBB1020_215
.LBB1020_190:                           ;   in Loop: Header=BB1020_180 Depth=2
	s_wait_alu 0xfffe
	s_or_b32 exec_lo, exec_lo, s11
	s_delay_alu instid0(SALU_CYCLE_1)
	s_mov_b32 s11, exec_lo
	v_cmpx_gt_u32_e64 s9, v37
	s_cbranch_execz .LBB1020_192
.LBB1020_191:                           ;   in Loop: Header=BB1020_180 Depth=2
	s_wait_loadcnt 0x0
	global_load_d16_hi_b16 v8, v79, s[0:1] offset:3584
.LBB1020_192:                           ;   in Loop: Header=BB1020_180 Depth=2
	s_wait_alu 0xfffe
	s_or_b32 exec_lo, exec_lo, s11
	s_wait_loadcnt 0x0
	v_dual_mov_b32 v12, v8 :: v_dual_mov_b32 v11, v7
	v_dual_mov_b32 v10, v6 :: v_dual_mov_b32 v9, v5
	s_mov_b32 s0, s9
.LBB1020_193:                           ;   in Loop: Header=BB1020_180 Depth=2
	s_wait_loadcnt 0x0
	s_delay_alu instid0(VALU_DEP_1)
	v_dual_mov_b32 v5, v9 :: v_dual_mov_b32 v6, v10
	v_dual_mov_b32 v7, v11 :: v_dual_mov_b32 v8, v12
	s_mov_b32 s1, exec_lo
	s_wait_alu 0xfffe
	v_cmpx_gt_u32_e64 s0, v13
	s_cbranch_execnz .LBB1020_201
; %bb.194:                              ;   in Loop: Header=BB1020_180 Depth=2
	s_or_b32 exec_lo, exec_lo, s1
	s_delay_alu instid0(SALU_CYCLE_1)
	s_mov_b32 s1, exec_lo
	v_cmpx_gt_u32_e64 s0, v29
	s_cbranch_execnz .LBB1020_202
.LBB1020_195:                           ;   in Loop: Header=BB1020_180 Depth=2
	s_wait_alu 0xfffe
	s_or_b32 exec_lo, exec_lo, s1
	s_delay_alu instid0(SALU_CYCLE_1)
	s_mov_b32 s1, exec_lo
	v_cmpx_gt_u32_e64 s0, v30
	s_cbranch_execnz .LBB1020_203
.LBB1020_196:                           ;   in Loop: Header=BB1020_180 Depth=2
	s_wait_alu 0xfffe
	s_or_b32 exec_lo, exec_lo, s1
	s_delay_alu instid0(SALU_CYCLE_1)
	s_mov_b32 s1, exec_lo
	v_cmpx_gt_u32_e64 s0, v31
	s_cbranch_execnz .LBB1020_204
.LBB1020_197:                           ;   in Loop: Header=BB1020_180 Depth=2
	s_wait_alu 0xfffe
	s_or_b32 exec_lo, exec_lo, s1
	s_delay_alu instid0(SALU_CYCLE_1)
	s_mov_b32 s1, exec_lo
	v_cmpx_gt_u32_e64 s0, v34
	s_cbranch_execnz .LBB1020_205
.LBB1020_198:                           ;   in Loop: Header=BB1020_180 Depth=2
	s_wait_alu 0xfffe
	s_or_b32 exec_lo, exec_lo, s1
	s_delay_alu instid0(SALU_CYCLE_1)
	s_mov_b32 s1, exec_lo
	v_cmpx_gt_u32_e64 s0, v35
	s_cbranch_execnz .LBB1020_206
.LBB1020_199:                           ;   in Loop: Header=BB1020_180 Depth=2
	s_wait_alu 0xfffe
	s_or_b32 exec_lo, exec_lo, s1
	s_delay_alu instid0(SALU_CYCLE_1)
	s_mov_b32 s1, exec_lo
	v_cmpx_gt_u32_e64 s0, v36
	s_cbranch_execnz .LBB1020_207
.LBB1020_200:                           ;   in Loop: Header=BB1020_180 Depth=2
	s_wait_alu 0xfffe
	s_or_b32 exec_lo, exec_lo, s1
	v_cmp_gt_u32_e32 vcc_lo, s0, v37
	s_and_saveexec_b32 s0, vcc_lo
	s_cbranch_execz .LBB1020_179
	s_branch .LBB1020_208
.LBB1020_201:                           ;   in Loop: Header=BB1020_180 Depth=2
	v_xor_b32_e32 v0, 0xffff8000, v5
	s_delay_alu instid0(VALU_DEP_1) | instskip(NEXT) | instid1(VALU_DEP_1)
	v_and_b32_e32 v0, 0xffff, v0
	v_lshrrev_b32_e32 v0, s23, v0
	s_delay_alu instid0(VALU_DEP_1) | instskip(NEXT) | instid1(VALU_DEP_1)
	v_and_b32_e32 v0, s42, v0
	v_lshl_or_b32 v0, v0, 4, v39
	ds_add_u32 v0, v63
	s_or_b32 exec_lo, exec_lo, s1
	s_delay_alu instid0(SALU_CYCLE_1)
	s_mov_b32 s1, exec_lo
	v_cmpx_gt_u32_e64 s0, v29
	s_cbranch_execz .LBB1020_195
.LBB1020_202:                           ;   in Loop: Header=BB1020_180 Depth=2
	v_lshrrev_b32_e32 v0, 16, v5
	s_delay_alu instid0(VALU_DEP_1) | instskip(NEXT) | instid1(VALU_DEP_1)
	v_xor_b32_e32 v0, 0xffff8000, v0
	v_and_b32_e32 v0, 0xffff, v0
	s_delay_alu instid0(VALU_DEP_1) | instskip(NEXT) | instid1(VALU_DEP_1)
	v_lshrrev_b32_e32 v0, s23, v0
	v_and_b32_e32 v0, s42, v0
	s_delay_alu instid0(VALU_DEP_1) | instskip(SKIP_3) | instid1(SALU_CYCLE_1)
	v_lshl_or_b32 v0, v0, 4, v39
	ds_add_u32 v0, v63
	s_wait_alu 0xfffe
	s_or_b32 exec_lo, exec_lo, s1
	s_mov_b32 s1, exec_lo
	v_cmpx_gt_u32_e64 s0, v30
	s_cbranch_execz .LBB1020_196
.LBB1020_203:                           ;   in Loop: Header=BB1020_180 Depth=2
	v_xor_b32_e32 v0, 0xffff8000, v6
	s_delay_alu instid0(VALU_DEP_1) | instskip(NEXT) | instid1(VALU_DEP_1)
	v_and_b32_e32 v0, 0xffff, v0
	v_lshrrev_b32_e32 v0, s23, v0
	s_delay_alu instid0(VALU_DEP_1) | instskip(NEXT) | instid1(VALU_DEP_1)
	v_and_b32_e32 v0, s42, v0
	v_lshl_or_b32 v0, v0, 4, v39
	ds_add_u32 v0, v63
	s_wait_alu 0xfffe
	s_or_b32 exec_lo, exec_lo, s1
	s_delay_alu instid0(SALU_CYCLE_1)
	s_mov_b32 s1, exec_lo
	v_cmpx_gt_u32_e64 s0, v31
	s_cbranch_execz .LBB1020_197
.LBB1020_204:                           ;   in Loop: Header=BB1020_180 Depth=2
	v_lshrrev_b32_e32 v0, 16, v6
	s_delay_alu instid0(VALU_DEP_1) | instskip(NEXT) | instid1(VALU_DEP_1)
	v_xor_b32_e32 v0, 0xffff8000, v0
	v_and_b32_e32 v0, 0xffff, v0
	s_delay_alu instid0(VALU_DEP_1) | instskip(NEXT) | instid1(VALU_DEP_1)
	v_lshrrev_b32_e32 v0, s23, v0
	v_and_b32_e32 v0, s42, v0
	s_delay_alu instid0(VALU_DEP_1) | instskip(SKIP_3) | instid1(SALU_CYCLE_1)
	v_lshl_or_b32 v0, v0, 4, v39
	ds_add_u32 v0, v63
	s_wait_alu 0xfffe
	s_or_b32 exec_lo, exec_lo, s1
	s_mov_b32 s1, exec_lo
	v_cmpx_gt_u32_e64 s0, v34
	s_cbranch_execz .LBB1020_198
.LBB1020_205:                           ;   in Loop: Header=BB1020_180 Depth=2
	v_xor_b32_e32 v0, 0xffff8000, v7
	s_delay_alu instid0(VALU_DEP_1) | instskip(NEXT) | instid1(VALU_DEP_1)
	v_and_b32_e32 v0, 0xffff, v0
	v_lshrrev_b32_e32 v0, s23, v0
	s_delay_alu instid0(VALU_DEP_1) | instskip(NEXT) | instid1(VALU_DEP_1)
	v_and_b32_e32 v0, s42, v0
	v_lshl_or_b32 v0, v0, 4, v39
	ds_add_u32 v0, v63
	s_wait_alu 0xfffe
	s_or_b32 exec_lo, exec_lo, s1
	s_delay_alu instid0(SALU_CYCLE_1)
	s_mov_b32 s1, exec_lo
	v_cmpx_gt_u32_e64 s0, v35
	s_cbranch_execz .LBB1020_199
.LBB1020_206:                           ;   in Loop: Header=BB1020_180 Depth=2
	v_lshrrev_b32_e32 v0, 16, v7
	s_delay_alu instid0(VALU_DEP_1) | instskip(NEXT) | instid1(VALU_DEP_1)
	v_xor_b32_e32 v0, 0xffff8000, v0
	v_and_b32_e32 v0, 0xffff, v0
	s_delay_alu instid0(VALU_DEP_1) | instskip(NEXT) | instid1(VALU_DEP_1)
	v_lshrrev_b32_e32 v0, s23, v0
	v_and_b32_e32 v0, s42, v0
	s_delay_alu instid0(VALU_DEP_1) | instskip(SKIP_3) | instid1(SALU_CYCLE_1)
	v_lshl_or_b32 v0, v0, 4, v39
	ds_add_u32 v0, v63
	s_wait_alu 0xfffe
	s_or_b32 exec_lo, exec_lo, s1
	s_mov_b32 s1, exec_lo
	v_cmpx_gt_u32_e64 s0, v36
	s_cbranch_execz .LBB1020_200
.LBB1020_207:                           ;   in Loop: Header=BB1020_180 Depth=2
	v_xor_b32_e32 v0, 0xffff8000, v8
	s_delay_alu instid0(VALU_DEP_1) | instskip(NEXT) | instid1(VALU_DEP_1)
	v_and_b32_e32 v0, 0xffff, v0
	v_lshrrev_b32_e32 v0, s23, v0
	s_delay_alu instid0(VALU_DEP_1) | instskip(NEXT) | instid1(VALU_DEP_1)
	v_and_b32_e32 v0, s42, v0
	v_lshl_or_b32 v0, v0, 4, v39
	ds_add_u32 v0, v63
	s_wait_alu 0xfffe
	s_or_b32 exec_lo, exec_lo, s1
	v_cmp_gt_u32_e32 vcc_lo, s0, v37
	s_and_saveexec_b32 s0, vcc_lo
	s_cbranch_execz .LBB1020_179
.LBB1020_208:                           ;   in Loop: Header=BB1020_180 Depth=2
	v_lshrrev_b32_e32 v0, 16, v8
	s_delay_alu instid0(VALU_DEP_1) | instskip(NEXT) | instid1(VALU_DEP_1)
	v_xor_b32_e32 v0, 0xffff8000, v0
	v_and_b32_e32 v0, 0xffff, v0
	s_delay_alu instid0(VALU_DEP_1) | instskip(NEXT) | instid1(VALU_DEP_1)
	v_lshrrev_b32_e32 v0, s23, v0
	v_and_b32_e32 v0, s42, v0
	s_delay_alu instid0(VALU_DEP_1)
	v_lshl_or_b32 v0, v0, 4, v39
	ds_add_u32 v0, v63
	s_branch .LBB1020_179
.LBB1020_209:                           ;   in Loop: Header=BB1020_180 Depth=2
	global_load_d16_b16 v5, v79, s[0:1]
	s_or_b32 exec_lo, exec_lo, s11
	s_delay_alu instid0(SALU_CYCLE_1)
	s_mov_b32 s11, exec_lo
	v_cmpx_gt_u32_e64 s9, v29
	s_cbranch_execz .LBB1020_185
.LBB1020_210:                           ;   in Loop: Header=BB1020_180 Depth=2
	s_wait_loadcnt 0x0
	global_load_d16_hi_b16 v5, v79, s[0:1] offset:512
	s_wait_alu 0xfffe
	s_or_b32 exec_lo, exec_lo, s11
	s_delay_alu instid0(SALU_CYCLE_1)
	s_mov_b32 s11, exec_lo
	v_cmpx_gt_u32_e64 s9, v30
	s_cbranch_execz .LBB1020_186
.LBB1020_211:                           ;   in Loop: Header=BB1020_180 Depth=2
	global_load_d16_b16 v6, v79, s[0:1] offset:1024
	s_wait_alu 0xfffe
	s_or_b32 exec_lo, exec_lo, s11
	s_delay_alu instid0(SALU_CYCLE_1)
	s_mov_b32 s11, exec_lo
	v_cmpx_gt_u32_e64 s9, v31
	s_cbranch_execz .LBB1020_187
.LBB1020_212:                           ;   in Loop: Header=BB1020_180 Depth=2
	s_wait_loadcnt 0x0
	global_load_d16_hi_b16 v6, v79, s[0:1] offset:1536
	s_wait_alu 0xfffe
	s_or_b32 exec_lo, exec_lo, s11
	s_delay_alu instid0(SALU_CYCLE_1)
	s_mov_b32 s11, exec_lo
	v_cmpx_gt_u32_e64 s9, v34
	s_cbranch_execz .LBB1020_188
.LBB1020_213:                           ;   in Loop: Header=BB1020_180 Depth=2
	global_load_d16_b16 v7, v79, s[0:1] offset:2048
	s_wait_alu 0xfffe
	s_or_b32 exec_lo, exec_lo, s11
	s_delay_alu instid0(SALU_CYCLE_1)
	s_mov_b32 s11, exec_lo
	v_cmpx_gt_u32_e64 s9, v35
	s_cbranch_execz .LBB1020_189
.LBB1020_214:                           ;   in Loop: Header=BB1020_180 Depth=2
	s_wait_loadcnt 0x0
	global_load_d16_hi_b16 v7, v79, s[0:1] offset:2560
	s_wait_alu 0xfffe
	s_or_b32 exec_lo, exec_lo, s11
	s_delay_alu instid0(SALU_CYCLE_1)
	s_mov_b32 s11, exec_lo
	v_cmpx_gt_u32_e64 s9, v36
	s_cbranch_execz .LBB1020_190
.LBB1020_215:                           ;   in Loop: Header=BB1020_180 Depth=2
	global_load_d16_b16 v8, v79, s[0:1] offset:3072
	s_wait_alu 0xfffe
	s_or_b32 exec_lo, exec_lo, s11
	s_delay_alu instid0(SALU_CYCLE_1)
	s_mov_b32 s11, exec_lo
	v_cmpx_gt_u32_e64 s9, v37
	s_cbranch_execnz .LBB1020_191
	s_branch .LBB1020_192
.LBB1020_216:                           ;   in Loop: Header=BB1020_12 Depth=1
	v_mov_b32_e32 v0, 0
	s_wait_dscnt 0x0
	s_barrier_signal -1
	s_barrier_wait -1
	global_inv scope:SCOPE_SE
	s_and_saveexec_b32 s0, s2
	s_cbranch_execz .LBB1020_218
; %bb.217:                              ;   in Loop: Header=BB1020_12 Depth=1
	ds_load_2addr_b64 v[5:8], v40 offset1:1
	s_wait_dscnt 0x0
	v_add_nc_u32_e32 v0, v6, v5
	s_delay_alu instid0(VALU_DEP_1)
	v_add3_u32 v0, v0, v7, v8
.LBB1020_218:                           ;   in Loop: Header=BB1020_12 Depth=1
	s_wait_alu 0xfffe
	s_or_b32 exec_lo, exec_lo, s0
	s_delay_alu instid0(VALU_DEP_1)
	v_mov_b32_dpp v2, v0 row_shr:1 row_mask:0xf bank_mask:0xf
	v_cmp_eq_u32_e64 s0, 0, v64
	v_cmp_lt_u32_e64 s1, 1, v64
	v_cmp_lt_u32_e64 s9, 3, v64
	;; [unrolled: 1-line block ×3, first 2 shown]
	v_cmp_eq_u32_e64 s11, 0, v66
	s_wait_alu 0xf1ff
	v_cndmask_b32_e64 v2, v2, 0, s0
	s_delay_alu instid0(VALU_DEP_1) | instskip(NEXT) | instid1(VALU_DEP_1)
	v_add_nc_u32_e32 v0, v2, v0
	v_mov_b32_dpp v2, v0 row_shr:2 row_mask:0xf bank_mask:0xf
	s_delay_alu instid0(VALU_DEP_1) | instskip(NEXT) | instid1(VALU_DEP_1)
	v_cndmask_b32_e64 v2, 0, v2, s1
	v_add_nc_u32_e32 v0, v0, v2
	s_delay_alu instid0(VALU_DEP_1) | instskip(NEXT) | instid1(VALU_DEP_1)
	v_mov_b32_dpp v2, v0 row_shr:4 row_mask:0xf bank_mask:0xf
	v_cndmask_b32_e64 v2, 0, v2, s9
	s_delay_alu instid0(VALU_DEP_1) | instskip(NEXT) | instid1(VALU_DEP_1)
	v_add_nc_u32_e32 v0, v0, v2
	v_mov_b32_dpp v2, v0 row_shr:8 row_mask:0xf bank_mask:0xf
	s_delay_alu instid0(VALU_DEP_1) | instskip(NEXT) | instid1(VALU_DEP_1)
	v_cndmask_b32_e64 v2, 0, v2, s10
	v_add_nc_u32_e32 v0, v0, v2
	ds_swizzle_b32 v2, v0 offset:swizzle(BROADCAST,32,15)
	s_wait_dscnt 0x0
	v_and_b32_e32 v2, v65, v2
	s_delay_alu instid0(VALU_DEP_1)
	v_add_nc_u32_e32 v0, v0, v2
	s_and_saveexec_b32 s12, s3
; %bb.219:                              ;   in Loop: Header=BB1020_12 Depth=1
	ds_store_b32 v41, v0
; %bb.220:                              ;   in Loop: Header=BB1020_12 Depth=1
	s_wait_alu 0xfffe
	s_or_b32 exec_lo, exec_lo, s12
	s_wait_loadcnt_dscnt 0x0
	s_barrier_signal -1
	s_barrier_wait -1
	global_inv scope:SCOPE_SE
	s_and_saveexec_b32 s12, s4
	s_cbranch_execz .LBB1020_222
; %bb.221:                              ;   in Loop: Header=BB1020_12 Depth=1
	ds_load_b32 v2, v42
	v_cmp_ne_u32_e32 vcc_lo, 0, v68
	s_wait_dscnt 0x0
	v_mov_b32_dpp v3, v2 row_shr:1 row_mask:0xf bank_mask:0xf
	s_wait_alu 0xfffd
	s_delay_alu instid0(VALU_DEP_1) | instskip(SKIP_1) | instid1(VALU_DEP_2)
	v_cndmask_b32_e32 v3, 0, v3, vcc_lo
	v_cmp_lt_u32_e32 vcc_lo, 1, v68
	v_add_nc_u32_e32 v2, v3, v2
	s_delay_alu instid0(VALU_DEP_1) | instskip(SKIP_1) | instid1(VALU_DEP_1)
	v_mov_b32_dpp v3, v2 row_shr:2 row_mask:0xf bank_mask:0xf
	s_wait_alu 0xfffd
	v_cndmask_b32_e32 v3, 0, v3, vcc_lo
	v_cmp_lt_u32_e32 vcc_lo, 3, v68
	s_delay_alu instid0(VALU_DEP_2) | instskip(NEXT) | instid1(VALU_DEP_1)
	v_add_nc_u32_e32 v2, v2, v3
	v_mov_b32_dpp v3, v2 row_shr:4 row_mask:0xf bank_mask:0xf
	s_wait_alu 0xfffd
	s_delay_alu instid0(VALU_DEP_1) | instskip(NEXT) | instid1(VALU_DEP_1)
	v_cndmask_b32_e32 v3, 0, v3, vcc_lo
	v_add_nc_u32_e32 v2, v2, v3
	ds_store_b32 v42, v2
.LBB1020_222:                           ;   in Loop: Header=BB1020_12 Depth=1
	s_wait_alu 0xfffe
	s_or_b32 exec_lo, exec_lo, s12
	v_mov_b32_e32 v2, 0
	s_wait_loadcnt_dscnt 0x0
	s_barrier_signal -1
	s_barrier_wait -1
	global_inv scope:SCOPE_SE
	s_and_saveexec_b32 s12, s5
; %bb.223:                              ;   in Loop: Header=BB1020_12 Depth=1
	ds_load_b32 v2, v44
; %bb.224:                              ;   in Loop: Header=BB1020_12 Depth=1
	s_wait_alu 0xfffe
	s_or_b32 exec_lo, exec_lo, s12
	v_cmp_gt_i32_e32 vcc_lo, 0, v69
	s_wait_dscnt 0x0
	v_add_nc_u32_e32 v0, v2, v0
	s_wait_loadcnt 0x0
	s_barrier_signal -1
	s_barrier_wait -1
	s_wait_alu 0xfffd
	v_cndmask_b32_e32 v3, v69, v60, vcc_lo
	global_inv scope:SCOPE_SE
	v_lshlrev_b32_e32 v84, 2, v3
	ds_bpermute_b32 v0, v84, v0
	s_and_saveexec_b32 s12, s2
	s_cbranch_execz .LBB1020_226
; %bb.225:                              ;   in Loop: Header=BB1020_12 Depth=1
	s_wait_dscnt 0x0
	v_cndmask_b32_e64 v0, v0, v2, s8
	s_delay_alu instid0(VALU_DEP_1)
	v_add_nc_u32_e32 v0, s33, v0
	ds_store_b32 v28, v0
.LBB1020_226:                           ;   in Loop: Header=BB1020_12 Depth=1
	s_wait_alu 0xfffe
	s_or_b32 exec_lo, exec_lo, s12
	s_load_b64 s[12:13], s[28:29], 0x0
	v_add_co_u32 v85, vcc_lo, v52, v70
	s_wait_alu 0xfffd
	v_add_co_ci_u32_e64 v86, null, 0, v53, vcc_lo
	v_add_co_u32 v87, vcc_lo, v54, v78
	s_wait_alu 0xfffd
	v_add_co_ci_u32_e64 v88, null, 0, v55, vcc_lo
	s_mov_b32 s43, s47
                                        ; implicit-def: $vgpr9_vgpr10
                                        ; implicit-def: $vgpr11_vgpr12
                                        ; implicit-def: $vgpr16_vgpr17
                                        ; implicit-def: $vgpr18_vgpr19
                                        ; implicit-def: $vgpr20_vgpr21
                                        ; implicit-def: $vgpr22_vgpr23
                                        ; implicit-def: $vgpr90
                                        ; implicit-def: $vgpr91
                                        ; implicit-def: $vgpr92
                                        ; implicit-def: $vgpr93
                                        ; implicit-def: $vgpr94
                                        ; implicit-def: $vgpr95
                                        ; implicit-def: $vgpr96
                                        ; implicit-def: $vgpr97
	s_wait_kmcnt 0x0
	s_cmp_lt_u32 ttmp7, s13
	s_cselect_b32 s30, 14, 20
	s_cmp_lt_u32 ttmp9, s12
	s_wait_alu 0xfffe
	s_add_nc_u64 s[14:15], s[28:29], s[30:31]
	s_cselect_b32 s30, 12, 18
	s_load_u16 s14, s[14:15], 0x0
	s_add_nc_u64 s[12:13], s[28:29], s[30:31]
	s_mov_b32 s30, s33
	s_load_u16 s12, s[12:13], 0x0
	v_cmp_lt_u32_e64 s13, 1, v68
	s_wait_dscnt 0x0
	s_wait_kmcnt 0x0
	v_mad_u32_u24 v0, v45, s14, v46
	v_cmp_lt_u32_e64 s14, 3, v68
	s_delay_alu instid0(VALU_DEP_2) | instskip(SKIP_1) | instid1(VALU_DEP_2)
	v_mad_co_u64_u32 v[2:3], null, v0, s12, v[13:14]
	v_cmp_eq_u32_e64 s12, 0, v68
                                        ; implicit-def: $vgpr14_vgpr15
	v_lshrrev_b32_e32 v0, 3, v2
                                        ; implicit-def: $vgpr2_vgpr3
	s_delay_alu instid0(VALU_DEP_1)
	v_and_b32_e32 v89, 0x1ffffffc, v0
	s_branch .LBB1020_228
.LBB1020_227:                           ;   in Loop: Header=BB1020_228 Depth=2
	s_wait_alu 0xfffe
	s_or_b32 exec_lo, exec_lo, s15
	s_addk_co_i32 s43, 0xf800
	s_cmp_lt_u32 s44, s34
	s_mov_b32 s30, s44
	s_cbranch_scc0 .LBB1020_340
.LBB1020_228:                           ;   Parent Loop BB1020_12 Depth=1
                                        ; =>  This Inner Loop Header: Depth=2
	s_wait_alu 0xfffe
	s_add_co_i32 s44, s30, 0x800
	s_wait_alu 0xfffe
	s_cmp_gt_u32 s44, s34
	s_cbranch_scc1 .LBB1020_230
; %bb.229:                              ;   in Loop: Header=BB1020_228 Depth=2
	s_lshl_b64 s[16:17], s[30:31], 1
	s_mov_b32 s15, -1
	s_wait_alu 0xfffe
	v_add_co_u32 v24, vcc_lo, v87, s16
	s_wait_alu 0xfffd
	v_add_co_ci_u32_e64 v25, null, s17, v88, vcc_lo
	s_clause 0x3
	global_load_u16 v5, v[24:25], off
	global_load_u16 v6, v[24:25], off offset:128
	global_load_u16 v7, v[24:25], off offset:256
	global_load_d16_b16 v8, v[24:25], off offset:384
	s_wait_loadcnt 0x3
	global_load_d16_hi_b16 v5, v[24:25], off offset:64
	s_wait_loadcnt 0x3
	global_load_d16_hi_b16 v6, v[24:25], off offset:192
	;; [unrolled: 2-line block ×3, first 2 shown]
	s_movk_i32 s16, 0x800
	s_cbranch_execz .LBB1020_231
	s_branch .LBB1020_240
.LBB1020_230:                           ;   in Loop: Header=BB1020_228 Depth=2
	s_mov_b32 s15, 0
                                        ; implicit-def: $vgpr5_vgpr6_vgpr7_vgpr8
	s_movk_i32 s16, 0x800
.LBB1020_231:                           ;   in Loop: Header=BB1020_228 Depth=2
	s_wait_loadcnt 0x0
	v_mov_b32_e32 v7, v4
	s_lshl_b64 s[16:17], s[30:31], 1
	v_dual_mov_b32 v5, v4 :: v_dual_mov_b32 v6, v4
	s_wait_alu 0xfffe
	v_add_co_u32 v24, vcc_lo, v87, s16
	v_mov_b32_e32 v8, v7
	s_wait_alu 0xfffd
	v_add_co_ci_u32_e64 v25, null, s17, v88, vcc_lo
	v_mov_b32_e32 v7, v6
	v_mov_b32_e32 v6, v5
	;; [unrolled: 1-line block ×3, first 2 shown]
	s_mov_b32 s15, exec_lo
	v_cmpx_gt_u32_e64 s43, v67
	s_cbranch_execnz .LBB1020_334
; %bb.232:                              ;   in Loop: Header=BB1020_228 Depth=2
	s_wait_alu 0xfffe
	s_or_b32 exec_lo, exec_lo, s15
	s_delay_alu instid0(SALU_CYCLE_1)
	s_mov_b32 s15, exec_lo
	v_cmpx_gt_u32_e64 s43, v71
	s_cbranch_execnz .LBB1020_335
.LBB1020_233:                           ;   in Loop: Header=BB1020_228 Depth=2
	s_wait_alu 0xfffe
	s_or_b32 exec_lo, exec_lo, s15
	s_delay_alu instid0(SALU_CYCLE_1)
	s_mov_b32 s15, exec_lo
	v_cmpx_gt_u32_e64 s43, v72
	s_cbranch_execnz .LBB1020_336
.LBB1020_234:                           ;   in Loop: Header=BB1020_228 Depth=2
	s_wait_alu 0xfffe
	s_or_b32 exec_lo, exec_lo, s15
	s_delay_alu instid0(SALU_CYCLE_1)
	s_mov_b32 s15, exec_lo
	v_cmpx_gt_u32_e64 s43, v73
	s_cbranch_execnz .LBB1020_337
.LBB1020_235:                           ;   in Loop: Header=BB1020_228 Depth=2
	s_wait_alu 0xfffe
	s_or_b32 exec_lo, exec_lo, s15
	s_delay_alu instid0(SALU_CYCLE_1)
	s_mov_b32 s15, exec_lo
	v_cmpx_gt_u32_e64 s43, v74
	s_cbranch_execnz .LBB1020_338
.LBB1020_236:                           ;   in Loop: Header=BB1020_228 Depth=2
	s_wait_alu 0xfffe
	s_or_b32 exec_lo, exec_lo, s15
	s_delay_alu instid0(SALU_CYCLE_1)
	s_mov_b32 s15, exec_lo
	v_cmpx_gt_u32_e64 s43, v75
	s_cbranch_execnz .LBB1020_339
.LBB1020_237:                           ;   in Loop: Header=BB1020_228 Depth=2
	s_wait_alu 0xfffe
	s_or_b32 exec_lo, exec_lo, s15
	s_delay_alu instid0(SALU_CYCLE_1)
	s_mov_b32 s15, exec_lo
	v_cmpx_gt_u32_e64 s43, v76
	s_cbranch_execz .LBB1020_239
.LBB1020_238:                           ;   in Loop: Header=BB1020_228 Depth=2
	global_load_d16_b16 v8, v[24:25], off offset:384
.LBB1020_239:                           ;   in Loop: Header=BB1020_228 Depth=2
	s_wait_alu 0xfffe
	s_or_b32 exec_lo, exec_lo, s15
	v_cmp_gt_u32_e64 s15, s43, v77
	s_sub_co_i32 s16, s34, s30
.LBB1020_240:                           ;   in Loop: Header=BB1020_228 Depth=2
	v_mov_b32_e32 v98, s43
	s_and_saveexec_b32 s17, s15
	s_cbranch_execz .LBB1020_242
; %bb.241:                              ;   in Loop: Header=BB1020_228 Depth=2
	s_lshl_b64 s[18:19], s[30:31], 1
	s_wait_alu 0xfffe
	v_mov_b32_e32 v98, s16
	v_add_co_u32 v24, vcc_lo, v87, s18
	s_wait_alu 0xfffd
	v_add_co_ci_u32_e64 v25, null, s19, v88, vcc_lo
	s_wait_loadcnt 0x0
	global_load_d16_hi_b16 v8, v[24:25], off offset:448
.LBB1020_242:                           ;   in Loop: Header=BB1020_228 Depth=2
	s_wait_alu 0xfffe
	s_or_b32 exec_lo, exec_lo, s17
	s_wait_loadcnt 0x0
	v_xor_b32_e32 v0, 0xffff8000, v5
	s_delay_alu instid0(VALU_DEP_1) | instskip(NEXT) | instid1(VALU_DEP_1)
	v_and_b32_e32 v24, 0xffff, v0
	v_lshrrev_b32_e32 v24, s23, v24
	s_delay_alu instid0(VALU_DEP_1) | instskip(NEXT) | instid1(VALU_DEP_1)
	v_and_b32_e32 v25, s42, v24
	v_and_b32_e32 v24, 1, v25
	v_lshlrev_b32_e32 v26, 30, v25
	v_lshlrev_b32_e32 v27, 29, v25
	;; [unrolled: 1-line block ×4, first 2 shown]
	v_add_co_u32 v24, s15, v24, -1
	s_wait_alu 0xf1ff
	v_cndmask_b32_e64 v100, 0, 1, s15
	v_not_b32_e32 v104, v26
	v_cmp_gt_i32_e64 s15, 0, v26
	v_not_b32_e32 v26, v27
	v_lshlrev_b32_e32 v102, 26, v25
	v_cmp_ne_u32_e32 vcc_lo, 0, v100
	v_ashrrev_i32_e32 v104, 31, v104
	v_lshlrev_b32_e32 v103, 25, v25
	v_ashrrev_i32_e32 v26, 31, v26
	v_lshlrev_b32_e32 v100, 24, v25
	s_wait_alu 0xfffd
	v_xor_b32_e32 v24, vcc_lo, v24
	v_cmp_gt_i32_e32 vcc_lo, 0, v27
	v_not_b32_e32 v27, v99
	s_wait_alu 0xf1ff
	v_xor_b32_e32 v104, s15, v104
	v_cmp_gt_i32_e64 s15, 0, v99
	v_and_b32_e32 v24, exec_lo, v24
	v_not_b32_e32 v99, v101
	v_ashrrev_i32_e32 v27, 31, v27
	s_wait_alu 0xfffd
	v_xor_b32_e32 v26, vcc_lo, v26
	v_cmp_gt_i32_e32 vcc_lo, 0, v101
	v_and_b32_e32 v24, v24, v104
	v_not_b32_e32 v101, v102
	v_ashrrev_i32_e32 v99, 31, v99
	s_wait_alu 0xf1ff
	v_xor_b32_e32 v27, s15, v27
	v_cmp_gt_i32_e64 s15, 0, v102
	v_and_b32_e32 v24, v24, v26
	v_not_b32_e32 v26, v103
	v_ashrrev_i32_e32 v101, 31, v101
	s_wait_alu 0xfffd
	v_xor_b32_e32 v99, vcc_lo, v99
	v_cmp_gt_i32_e32 vcc_lo, 0, v103
	v_and_b32_e32 v24, v24, v27
	v_not_b32_e32 v27, v100
	v_ashrrev_i32_e32 v26, 31, v26
	s_wait_alu 0xf1ff
	v_xor_b32_e32 v101, s15, v101
	v_cmp_gt_i32_e64 s15, 0, v100
	v_and_b32_e32 v24, v24, v99
	v_ashrrev_i32_e32 v27, 31, v27
	s_wait_alu 0xfffd
	v_xor_b32_e32 v26, vcc_lo, v26
	v_mul_u32_u24_e32 v25, 36, v25
	v_add_nc_u32_e32 v102, 0x420, v43
	v_and_b32_e32 v24, v24, v101
	s_wait_alu 0xf1ff
	v_xor_b32_e32 v27, s15, v27
	v_add_nc_u32_e32 v101, 0x438, v43
	v_add_nc_u32_e32 v103, 0x428, v43
	;; [unrolled: 1-line block ×3, first 2 shown]
	v_and_b32_e32 v24, v24, v26
	v_add_nc_u32_e32 v105, v89, v25
	ds_store_2addr_b32 v101, v1, v1 offset1:1
	ds_store_2addr_b32 v102, v1, v1 offset1:1
	ds_store_2addr_b32 v103, v1, v1 offset1:1
	ds_store_2addr_b32 v104, v1, v1 offset1:1
	ds_store_b32 v43, v1 offset:1088
	s_wait_dscnt 0x0
	v_and_b32_e32 v24, v24, v27
	s_barrier_signal -1
	s_barrier_wait -1
	global_inv scope:SCOPE_SE
	v_mbcnt_lo_u32_b32 v99, v24, 0
	v_cmp_ne_u32_e64 s15, 0, v24
	; wave barrier
	s_delay_alu instid0(VALU_DEP_2)
	v_cmp_eq_u32_e32 vcc_lo, 0, v99
	s_and_b32 s16, s15, vcc_lo
	s_wait_alu 0xfffe
	s_and_saveexec_b32 s15, s16
; %bb.243:                              ;   in Loop: Header=BB1020_228 Depth=2
	v_bcnt_u32_b32 v24, v24, 0
	ds_store_b32 v105, v24 offset:1056
; %bb.244:                              ;   in Loop: Header=BB1020_228 Depth=2
	s_wait_alu 0xfffe
	s_or_b32 exec_lo, exec_lo, s15
	v_lshrrev_b32_e32 v5, 16, v5
	; wave barrier
	s_delay_alu instid0(VALU_DEP_1) | instskip(NEXT) | instid1(VALU_DEP_1)
	v_xor_b32_e32 v100, 0xffff8000, v5
	v_and_b32_e32 v5, 0xffff, v100
	s_delay_alu instid0(VALU_DEP_1) | instskip(NEXT) | instid1(VALU_DEP_1)
	v_lshrrev_b32_e32 v5, s23, v5
	v_and_b32_e32 v24, s42, v5
	s_delay_alu instid0(VALU_DEP_1)
	v_and_b32_e32 v5, 1, v24
	v_lshlrev_b32_e32 v25, 30, v24
	v_lshlrev_b32_e32 v26, 29, v24
	;; [unrolled: 1-line block ×4, first 2 shown]
	v_add_co_u32 v5, s15, v5, -1
	s_wait_alu 0xf1ff
	v_cndmask_b32_e64 v106, 0, 1, s15
	v_not_b32_e32 v110, v25
	v_cmp_gt_i32_e64 s15, 0, v25
	v_not_b32_e32 v25, v26
	v_lshlrev_b32_e32 v108, 26, v24
	v_cmp_ne_u32_e32 vcc_lo, 0, v106
	v_ashrrev_i32_e32 v110, 31, v110
	v_lshlrev_b32_e32 v109, 25, v24
	v_ashrrev_i32_e32 v25, 31, v25
	v_lshlrev_b32_e32 v106, 24, v24
	s_wait_alu 0xfffd
	v_xor_b32_e32 v5, vcc_lo, v5
	v_cmp_gt_i32_e32 vcc_lo, 0, v26
	v_not_b32_e32 v26, v27
	s_wait_alu 0xf1ff
	v_xor_b32_e32 v110, s15, v110
	v_cmp_gt_i32_e64 s15, 0, v27
	v_and_b32_e32 v5, exec_lo, v5
	v_not_b32_e32 v27, v107
	v_ashrrev_i32_e32 v26, 31, v26
	s_wait_alu 0xfffd
	v_xor_b32_e32 v25, vcc_lo, v25
	v_cmp_gt_i32_e32 vcc_lo, 0, v107
	v_and_b32_e32 v5, v5, v110
	v_not_b32_e32 v107, v108
	v_ashrrev_i32_e32 v27, 31, v27
	s_wait_alu 0xf1ff
	v_xor_b32_e32 v26, s15, v26
	v_cmp_gt_i32_e64 s15, 0, v108
	v_and_b32_e32 v5, v5, v25
	v_not_b32_e32 v25, v109
	v_ashrrev_i32_e32 v107, 31, v107
	s_wait_alu 0xfffd
	v_xor_b32_e32 v27, vcc_lo, v27
	v_cmp_gt_i32_e32 vcc_lo, 0, v109
	v_and_b32_e32 v5, v5, v26
	v_not_b32_e32 v26, v106
	v_ashrrev_i32_e32 v25, 31, v25
	s_wait_alu 0xf1ff
	v_xor_b32_e32 v107, s15, v107
	v_cmp_gt_i32_e64 s15, 0, v106
	v_and_b32_e32 v5, v5, v27
	v_ashrrev_i32_e32 v26, 31, v26
	s_wait_alu 0xfffd
	v_xor_b32_e32 v25, vcc_lo, v25
	v_mad_u32_u24 v27, v24, 36, v89
	v_mul_u32_u24_e32 v24, 36, v24
	v_and_b32_e32 v5, v5, v107
	s_wait_alu 0xf1ff
	v_xor_b32_e32 v26, s15, v26
	ds_load_b32 v106, v27 offset:1056
	v_add_nc_u32_e32 v109, v89, v24
	v_and_b32_e32 v5, v5, v25
	; wave barrier
	s_delay_alu instid0(VALU_DEP_1) | instskip(NEXT) | instid1(VALU_DEP_1)
	v_and_b32_e32 v5, v5, v26
	v_mbcnt_lo_u32_b32 v107, v5, 0
	v_cmp_ne_u32_e64 s15, 0, v5
	s_delay_alu instid0(VALU_DEP_2)
	v_cmp_eq_u32_e32 vcc_lo, 0, v107
	s_and_b32 s16, s15, vcc_lo
	s_wait_alu 0xfffe
	s_and_saveexec_b32 s15, s16
	s_cbranch_execz .LBB1020_246
; %bb.245:                              ;   in Loop: Header=BB1020_228 Depth=2
	s_wait_dscnt 0x0
	v_bcnt_u32_b32 v5, v5, v106
	ds_store_b32 v109, v5 offset:1056
.LBB1020_246:                           ;   in Loop: Header=BB1020_228 Depth=2
	s_wait_alu 0xfffe
	s_or_b32 exec_lo, exec_lo, s15
	v_xor_b32_e32 v108, 0xffff8000, v6
	; wave barrier
	s_delay_alu instid0(VALU_DEP_1) | instskip(NEXT) | instid1(VALU_DEP_1)
	v_and_b32_e32 v5, 0xffff, v108
	v_lshrrev_b32_e32 v5, s23, v5
	s_delay_alu instid0(VALU_DEP_1) | instskip(NEXT) | instid1(VALU_DEP_1)
	v_and_b32_e32 v24, s42, v5
	v_and_b32_e32 v5, 1, v24
	v_lshlrev_b32_e32 v25, 30, v24
	v_lshlrev_b32_e32 v26, 29, v24
	;; [unrolled: 1-line block ×4, first 2 shown]
	v_add_co_u32 v5, s15, v5, -1
	s_wait_alu 0xf1ff
	v_cndmask_b32_e64 v110, 0, 1, s15
	v_not_b32_e32 v114, v25
	v_cmp_gt_i32_e64 s15, 0, v25
	v_not_b32_e32 v25, v26
	v_lshlrev_b32_e32 v112, 26, v24
	v_cmp_ne_u32_e32 vcc_lo, 0, v110
	v_ashrrev_i32_e32 v114, 31, v114
	v_lshlrev_b32_e32 v113, 25, v24
	v_ashrrev_i32_e32 v25, 31, v25
	v_lshlrev_b32_e32 v110, 24, v24
	s_wait_alu 0xfffd
	v_xor_b32_e32 v5, vcc_lo, v5
	v_cmp_gt_i32_e32 vcc_lo, 0, v26
	v_not_b32_e32 v26, v27
	s_wait_alu 0xf1ff
	v_xor_b32_e32 v114, s15, v114
	v_cmp_gt_i32_e64 s15, 0, v27
	v_and_b32_e32 v5, exec_lo, v5
	v_not_b32_e32 v27, v111
	v_ashrrev_i32_e32 v26, 31, v26
	s_wait_alu 0xfffd
	v_xor_b32_e32 v25, vcc_lo, v25
	v_cmp_gt_i32_e32 vcc_lo, 0, v111
	v_and_b32_e32 v5, v5, v114
	v_not_b32_e32 v111, v112
	v_ashrrev_i32_e32 v27, 31, v27
	s_wait_alu 0xf1ff
	v_xor_b32_e32 v26, s15, v26
	v_cmp_gt_i32_e64 s15, 0, v112
	v_and_b32_e32 v5, v5, v25
	v_not_b32_e32 v25, v113
	v_ashrrev_i32_e32 v111, 31, v111
	s_wait_alu 0xfffd
	v_xor_b32_e32 v27, vcc_lo, v27
	v_cmp_gt_i32_e32 vcc_lo, 0, v113
	v_and_b32_e32 v5, v5, v26
	v_not_b32_e32 v26, v110
	v_ashrrev_i32_e32 v25, 31, v25
	s_wait_alu 0xf1ff
	v_xor_b32_e32 v111, s15, v111
	v_cmp_gt_i32_e64 s15, 0, v110
	v_and_b32_e32 v5, v5, v27
	v_ashrrev_i32_e32 v26, 31, v26
	s_wait_alu 0xfffd
	v_xor_b32_e32 v25, vcc_lo, v25
	v_mad_u32_u24 v27, v24, 36, v89
	v_mul_u32_u24_e32 v24, 36, v24
	v_and_b32_e32 v5, v5, v111
	s_wait_alu 0xf1ff
	v_xor_b32_e32 v26, s15, v26
	ds_load_b32 v110, v27 offset:1056
	v_add_nc_u32_e32 v113, v89, v24
	v_and_b32_e32 v5, v5, v25
	; wave barrier
	s_delay_alu instid0(VALU_DEP_1) | instskip(NEXT) | instid1(VALU_DEP_1)
	v_and_b32_e32 v5, v5, v26
	v_mbcnt_lo_u32_b32 v112, v5, 0
	v_cmp_ne_u32_e64 s15, 0, v5
	s_delay_alu instid0(VALU_DEP_2)
	v_cmp_eq_u32_e32 vcc_lo, 0, v112
	s_and_b32 s16, s15, vcc_lo
	s_wait_alu 0xfffe
	s_and_saveexec_b32 s15, s16
	s_cbranch_execz .LBB1020_248
; %bb.247:                              ;   in Loop: Header=BB1020_228 Depth=2
	s_wait_dscnt 0x0
	v_bcnt_u32_b32 v5, v5, v110
	ds_store_b32 v113, v5 offset:1056
.LBB1020_248:                           ;   in Loop: Header=BB1020_228 Depth=2
	s_wait_alu 0xfffe
	s_or_b32 exec_lo, exec_lo, s15
	v_lshrrev_b32_e32 v5, 16, v6
	; wave barrier
	s_delay_alu instid0(VALU_DEP_1) | instskip(NEXT) | instid1(VALU_DEP_1)
	v_xor_b32_e32 v111, 0xffff8000, v5
	v_and_b32_e32 v5, 0xffff, v111
	s_delay_alu instid0(VALU_DEP_1) | instskip(NEXT) | instid1(VALU_DEP_1)
	v_lshrrev_b32_e32 v5, s23, v5
	v_and_b32_e32 v6, s42, v5
	s_delay_alu instid0(VALU_DEP_1)
	v_and_b32_e32 v5, 1, v6
	v_lshlrev_b32_e32 v24, 30, v6
	v_lshlrev_b32_e32 v25, 29, v6
	v_lshlrev_b32_e32 v26, 28, v6
	v_lshlrev_b32_e32 v114, 27, v6
	v_add_co_u32 v5, s15, v5, -1
	s_wait_alu 0xf1ff
	v_cndmask_b32_e64 v27, 0, 1, s15
	v_not_b32_e32 v117, v24
	v_cmp_gt_i32_e64 s15, 0, v24
	v_not_b32_e32 v24, v25
	v_lshlrev_b32_e32 v115, 26, v6
	v_cmp_ne_u32_e32 vcc_lo, 0, v27
	v_ashrrev_i32_e32 v117, 31, v117
	v_lshlrev_b32_e32 v116, 25, v6
	v_ashrrev_i32_e32 v24, 31, v24
	v_lshlrev_b32_e32 v27, 24, v6
	s_wait_alu 0xfffd
	v_xor_b32_e32 v5, vcc_lo, v5
	v_cmp_gt_i32_e32 vcc_lo, 0, v25
	v_not_b32_e32 v25, v26
	s_wait_alu 0xf1ff
	v_xor_b32_e32 v117, s15, v117
	v_cmp_gt_i32_e64 s15, 0, v26
	v_and_b32_e32 v5, exec_lo, v5
	v_not_b32_e32 v26, v114
	v_ashrrev_i32_e32 v25, 31, v25
	s_wait_alu 0xfffd
	v_xor_b32_e32 v24, vcc_lo, v24
	v_cmp_gt_i32_e32 vcc_lo, 0, v114
	v_and_b32_e32 v5, v5, v117
	v_not_b32_e32 v114, v115
	v_ashrrev_i32_e32 v26, 31, v26
	s_wait_alu 0xf1ff
	v_xor_b32_e32 v25, s15, v25
	v_cmp_gt_i32_e64 s15, 0, v115
	v_and_b32_e32 v5, v5, v24
	v_not_b32_e32 v24, v116
	v_ashrrev_i32_e32 v114, 31, v114
	s_wait_alu 0xfffd
	v_xor_b32_e32 v26, vcc_lo, v26
	v_cmp_gt_i32_e32 vcc_lo, 0, v116
	v_and_b32_e32 v5, v5, v25
	v_not_b32_e32 v25, v27
	v_ashrrev_i32_e32 v24, 31, v24
	s_wait_alu 0xf1ff
	v_xor_b32_e32 v114, s15, v114
	v_cmp_gt_i32_e64 s15, 0, v27
	v_and_b32_e32 v5, v5, v26
	v_ashrrev_i32_e32 v25, 31, v25
	s_wait_alu 0xfffd
	v_xor_b32_e32 v24, vcc_lo, v24
	v_mad_u32_u24 v26, v6, 36, v89
	v_mul_u32_u24_e32 v6, 36, v6
	v_and_b32_e32 v5, v5, v114
	s_wait_alu 0xf1ff
	v_xor_b32_e32 v25, s15, v25
	ds_load_b32 v114, v26 offset:1056
	v_add_nc_u32_e32 v117, v89, v6
	v_and_b32_e32 v5, v5, v24
	; wave barrier
	s_delay_alu instid0(VALU_DEP_1) | instskip(NEXT) | instid1(VALU_DEP_1)
	v_and_b32_e32 v5, v5, v25
	v_mbcnt_lo_u32_b32 v116, v5, 0
	v_cmp_ne_u32_e64 s15, 0, v5
	s_delay_alu instid0(VALU_DEP_2)
	v_cmp_eq_u32_e32 vcc_lo, 0, v116
	s_and_b32 s16, s15, vcc_lo
	s_wait_alu 0xfffe
	s_and_saveexec_b32 s15, s16
	s_cbranch_execz .LBB1020_250
; %bb.249:                              ;   in Loop: Header=BB1020_228 Depth=2
	s_wait_dscnt 0x0
	v_bcnt_u32_b32 v5, v5, v114
	ds_store_b32 v117, v5 offset:1056
.LBB1020_250:                           ;   in Loop: Header=BB1020_228 Depth=2
	s_wait_alu 0xfffe
	s_or_b32 exec_lo, exec_lo, s15
	v_xor_b32_e32 v115, 0xffff8000, v7
	; wave barrier
	s_delay_alu instid0(VALU_DEP_1) | instskip(NEXT) | instid1(VALU_DEP_1)
	v_and_b32_e32 v5, 0xffff, v115
	v_lshrrev_b32_e32 v5, s23, v5
	s_delay_alu instid0(VALU_DEP_1) | instskip(NEXT) | instid1(VALU_DEP_1)
	v_and_b32_e32 v6, s42, v5
	v_and_b32_e32 v5, 1, v6
	v_lshlrev_b32_e32 v24, 30, v6
	v_lshlrev_b32_e32 v25, 29, v6
	;; [unrolled: 1-line block ×4, first 2 shown]
	v_add_co_u32 v5, s15, v5, -1
	s_wait_alu 0xf1ff
	v_cndmask_b32_e64 v27, 0, 1, s15
	v_not_b32_e32 v121, v24
	v_cmp_gt_i32_e64 s15, 0, v24
	v_not_b32_e32 v24, v25
	v_lshlrev_b32_e32 v119, 26, v6
	v_cmp_ne_u32_e32 vcc_lo, 0, v27
	v_ashrrev_i32_e32 v121, 31, v121
	v_lshlrev_b32_e32 v120, 25, v6
	v_ashrrev_i32_e32 v24, 31, v24
	v_lshlrev_b32_e32 v27, 24, v6
	s_wait_alu 0xfffd
	v_xor_b32_e32 v5, vcc_lo, v5
	v_cmp_gt_i32_e32 vcc_lo, 0, v25
	v_not_b32_e32 v25, v26
	s_wait_alu 0xf1ff
	v_xor_b32_e32 v121, s15, v121
	v_cmp_gt_i32_e64 s15, 0, v26
	v_and_b32_e32 v5, exec_lo, v5
	v_not_b32_e32 v26, v118
	v_ashrrev_i32_e32 v25, 31, v25
	s_wait_alu 0xfffd
	v_xor_b32_e32 v24, vcc_lo, v24
	v_cmp_gt_i32_e32 vcc_lo, 0, v118
	v_and_b32_e32 v5, v5, v121
	v_not_b32_e32 v118, v119
	v_ashrrev_i32_e32 v26, 31, v26
	s_wait_alu 0xf1ff
	v_xor_b32_e32 v25, s15, v25
	v_cmp_gt_i32_e64 s15, 0, v119
	v_and_b32_e32 v5, v5, v24
	v_not_b32_e32 v24, v120
	v_ashrrev_i32_e32 v118, 31, v118
	s_wait_alu 0xfffd
	v_xor_b32_e32 v26, vcc_lo, v26
	v_cmp_gt_i32_e32 vcc_lo, 0, v120
	v_and_b32_e32 v5, v5, v25
	v_not_b32_e32 v25, v27
	v_ashrrev_i32_e32 v24, 31, v24
	s_wait_alu 0xf1ff
	v_xor_b32_e32 v118, s15, v118
	v_cmp_gt_i32_e64 s15, 0, v27
	v_and_b32_e32 v5, v5, v26
	v_ashrrev_i32_e32 v25, 31, v25
	s_wait_alu 0xfffd
	v_xor_b32_e32 v24, vcc_lo, v24
	v_mad_u32_u24 v26, v6, 36, v89
	v_mul_u32_u24_e32 v6, 36, v6
	v_and_b32_e32 v5, v5, v118
	s_wait_alu 0xf1ff
	v_xor_b32_e32 v25, s15, v25
	ds_load_b32 v118, v26 offset:1056
	v_add_nc_u32_e32 v121, v89, v6
	v_and_b32_e32 v5, v5, v24
	; wave barrier
	s_delay_alu instid0(VALU_DEP_1) | instskip(NEXT) | instid1(VALU_DEP_1)
	v_and_b32_e32 v5, v5, v25
	v_mbcnt_lo_u32_b32 v120, v5, 0
	v_cmp_ne_u32_e64 s15, 0, v5
	s_delay_alu instid0(VALU_DEP_2)
	v_cmp_eq_u32_e32 vcc_lo, 0, v120
	s_and_b32 s16, s15, vcc_lo
	s_wait_alu 0xfffe
	s_and_saveexec_b32 s15, s16
	s_cbranch_execz .LBB1020_252
; %bb.251:                              ;   in Loop: Header=BB1020_228 Depth=2
	s_wait_dscnt 0x0
	v_bcnt_u32_b32 v5, v5, v118
	ds_store_b32 v121, v5 offset:1056
.LBB1020_252:                           ;   in Loop: Header=BB1020_228 Depth=2
	s_wait_alu 0xfffe
	s_or_b32 exec_lo, exec_lo, s15
	v_lshrrev_b32_e32 v5, 16, v7
	; wave barrier
	s_delay_alu instid0(VALU_DEP_1) | instskip(NEXT) | instid1(VALU_DEP_1)
	v_xor_b32_e32 v119, 0xffff8000, v5
	v_and_b32_e32 v5, 0xffff, v119
	s_delay_alu instid0(VALU_DEP_1) | instskip(NEXT) | instid1(VALU_DEP_1)
	v_lshrrev_b32_e32 v5, s23, v5
	v_and_b32_e32 v6, s42, v5
	s_delay_alu instid0(VALU_DEP_1)
	v_and_b32_e32 v5, 1, v6
	v_lshlrev_b32_e32 v7, 30, v6
	v_lshlrev_b32_e32 v24, 29, v6
	;; [unrolled: 1-line block ×4, first 2 shown]
	v_add_co_u32 v5, s15, v5, -1
	s_wait_alu 0xf1ff
	v_cndmask_b32_e64 v26, 0, 1, s15
	v_not_b32_e32 v124, v7
	v_cmp_gt_i32_e64 s15, 0, v7
	v_not_b32_e32 v7, v24
	v_lshlrev_b32_e32 v122, 26, v6
	v_cmp_ne_u32_e32 vcc_lo, 0, v26
	v_ashrrev_i32_e32 v124, 31, v124
	v_lshlrev_b32_e32 v123, 25, v6
	v_ashrrev_i32_e32 v7, 31, v7
	v_lshlrev_b32_e32 v26, 24, v6
	s_wait_alu 0xfffd
	v_xor_b32_e32 v5, vcc_lo, v5
	v_cmp_gt_i32_e32 vcc_lo, 0, v24
	v_not_b32_e32 v24, v25
	s_wait_alu 0xf1ff
	v_xor_b32_e32 v124, s15, v124
	v_cmp_gt_i32_e64 s15, 0, v25
	v_and_b32_e32 v5, exec_lo, v5
	v_not_b32_e32 v25, v27
	v_ashrrev_i32_e32 v24, 31, v24
	s_wait_alu 0xfffd
	v_xor_b32_e32 v7, vcc_lo, v7
	v_cmp_gt_i32_e32 vcc_lo, 0, v27
	v_and_b32_e32 v5, v5, v124
	v_not_b32_e32 v27, v122
	v_ashrrev_i32_e32 v25, 31, v25
	s_wait_alu 0xf1ff
	v_xor_b32_e32 v24, s15, v24
	v_cmp_gt_i32_e64 s15, 0, v122
	v_and_b32_e32 v5, v5, v7
	v_not_b32_e32 v7, v123
	v_ashrrev_i32_e32 v27, 31, v27
	s_wait_alu 0xfffd
	v_xor_b32_e32 v25, vcc_lo, v25
	v_cmp_gt_i32_e32 vcc_lo, 0, v123
	v_and_b32_e32 v5, v5, v24
	v_not_b32_e32 v24, v26
	v_ashrrev_i32_e32 v7, 31, v7
	s_wait_alu 0xf1ff
	v_xor_b32_e32 v27, s15, v27
	v_cmp_gt_i32_e64 s15, 0, v26
	v_and_b32_e32 v5, v5, v25
	v_ashrrev_i32_e32 v24, 31, v24
	s_wait_alu 0xfffd
	v_xor_b32_e32 v7, vcc_lo, v7
	v_mad_u32_u24 v25, v6, 36, v89
	v_mul_u32_u24_e32 v6, 36, v6
	v_and_b32_e32 v5, v5, v27
	s_wait_alu 0xf1ff
	v_xor_b32_e32 v24, s15, v24
	ds_load_b32 v122, v25 offset:1056
	v_add_nc_u32_e32 v125, v89, v6
	v_and_b32_e32 v5, v5, v7
	; wave barrier
	s_delay_alu instid0(VALU_DEP_1) | instskip(NEXT) | instid1(VALU_DEP_1)
	v_and_b32_e32 v5, v5, v24
	v_mbcnt_lo_u32_b32 v124, v5, 0
	v_cmp_ne_u32_e64 s15, 0, v5
	s_delay_alu instid0(VALU_DEP_2)
	v_cmp_eq_u32_e32 vcc_lo, 0, v124
	s_and_b32 s16, s15, vcc_lo
	s_wait_alu 0xfffe
	s_and_saveexec_b32 s15, s16
	s_cbranch_execz .LBB1020_254
; %bb.253:                              ;   in Loop: Header=BB1020_228 Depth=2
	s_wait_dscnt 0x0
	v_bcnt_u32_b32 v5, v5, v122
	ds_store_b32 v125, v5 offset:1056
.LBB1020_254:                           ;   in Loop: Header=BB1020_228 Depth=2
	s_wait_alu 0xfffe
	s_or_b32 exec_lo, exec_lo, s15
	v_xor_b32_e32 v123, 0xffff8000, v8
	; wave barrier
	s_delay_alu instid0(VALU_DEP_1) | instskip(NEXT) | instid1(VALU_DEP_1)
	v_and_b32_e32 v5, 0xffff, v123
	v_lshrrev_b32_e32 v5, s23, v5
	s_delay_alu instid0(VALU_DEP_1) | instskip(NEXT) | instid1(VALU_DEP_1)
	v_and_b32_e32 v6, s42, v5
	v_and_b32_e32 v5, 1, v6
	v_lshlrev_b32_e32 v7, 30, v6
	v_lshlrev_b32_e32 v24, 29, v6
	;; [unrolled: 1-line block ×4, first 2 shown]
	v_add_co_u32 v5, s15, v5, -1
	s_wait_alu 0xf1ff
	v_cndmask_b32_e64 v26, 0, 1, s15
	v_not_b32_e32 v128, v7
	v_cmp_gt_i32_e64 s15, 0, v7
	v_not_b32_e32 v7, v24
	v_lshlrev_b32_e32 v126, 26, v6
	v_cmp_ne_u32_e32 vcc_lo, 0, v26
	v_ashrrev_i32_e32 v128, 31, v128
	v_lshlrev_b32_e32 v127, 25, v6
	v_ashrrev_i32_e32 v7, 31, v7
	v_lshlrev_b32_e32 v26, 24, v6
	s_wait_alu 0xfffd
	v_xor_b32_e32 v5, vcc_lo, v5
	v_cmp_gt_i32_e32 vcc_lo, 0, v24
	v_not_b32_e32 v24, v25
	s_wait_alu 0xf1ff
	v_xor_b32_e32 v128, s15, v128
	v_cmp_gt_i32_e64 s15, 0, v25
	v_and_b32_e32 v5, exec_lo, v5
	v_not_b32_e32 v25, v27
	v_ashrrev_i32_e32 v24, 31, v24
	s_wait_alu 0xfffd
	v_xor_b32_e32 v7, vcc_lo, v7
	v_cmp_gt_i32_e32 vcc_lo, 0, v27
	v_and_b32_e32 v5, v5, v128
	v_not_b32_e32 v27, v126
	v_ashrrev_i32_e32 v25, 31, v25
	s_wait_alu 0xf1ff
	v_xor_b32_e32 v24, s15, v24
	v_cmp_gt_i32_e64 s15, 0, v126
	v_and_b32_e32 v5, v5, v7
	v_not_b32_e32 v7, v127
	v_ashrrev_i32_e32 v27, 31, v27
	s_wait_alu 0xfffd
	v_xor_b32_e32 v25, vcc_lo, v25
	v_cmp_gt_i32_e32 vcc_lo, 0, v127
	v_and_b32_e32 v5, v5, v24
	v_not_b32_e32 v24, v26
	v_ashrrev_i32_e32 v7, 31, v7
	s_wait_alu 0xf1ff
	v_xor_b32_e32 v27, s15, v27
	v_cmp_gt_i32_e64 s15, 0, v26
	v_and_b32_e32 v5, v5, v25
	v_ashrrev_i32_e32 v24, 31, v24
	s_wait_alu 0xfffd
	v_xor_b32_e32 v7, vcc_lo, v7
	v_mad_u32_u24 v25, v6, 36, v89
	v_mul_u32_u24_e32 v6, 36, v6
	v_and_b32_e32 v5, v5, v27
	s_wait_alu 0xf1ff
	v_xor_b32_e32 v24, s15, v24
	ds_load_b32 v126, v25 offset:1056
	v_add_nc_u32_e32 v129, v89, v6
	v_and_b32_e32 v5, v5, v7
	; wave barrier
	s_delay_alu instid0(VALU_DEP_1) | instskip(NEXT) | instid1(VALU_DEP_1)
	v_and_b32_e32 v5, v5, v24
	v_mbcnt_lo_u32_b32 v127, v5, 0
	v_cmp_ne_u32_e64 s15, 0, v5
	s_delay_alu instid0(VALU_DEP_2)
	v_cmp_eq_u32_e32 vcc_lo, 0, v127
	s_and_b32 s16, s15, vcc_lo
	s_wait_alu 0xfffe
	s_and_saveexec_b32 s15, s16
	s_cbranch_execz .LBB1020_256
; %bb.255:                              ;   in Loop: Header=BB1020_228 Depth=2
	s_wait_dscnt 0x0
	v_bcnt_u32_b32 v5, v5, v126
	ds_store_b32 v129, v5 offset:1056
.LBB1020_256:                           ;   in Loop: Header=BB1020_228 Depth=2
	s_wait_alu 0xfffe
	s_or_b32 exec_lo, exec_lo, s15
	v_lshrrev_b32_e32 v5, 16, v8
	; wave barrier
	s_delay_alu instid0(VALU_DEP_1) | instskip(NEXT) | instid1(VALU_DEP_1)
	v_xor_b32_e32 v128, 0xffff8000, v5
	v_and_b32_e32 v5, 0xffff, v128
	s_delay_alu instid0(VALU_DEP_1) | instskip(NEXT) | instid1(VALU_DEP_1)
	v_lshrrev_b32_e32 v5, s23, v5
	v_and_b32_e32 v6, s42, v5
	s_delay_alu instid0(VALU_DEP_1)
	v_and_b32_e32 v5, 1, v6
	v_lshlrev_b32_e32 v7, 30, v6
	v_lshlrev_b32_e32 v8, 29, v6
	;; [unrolled: 1-line block ×4, first 2 shown]
	v_add_co_u32 v5, s15, v5, -1
	s_wait_alu 0xf1ff
	v_cndmask_b32_e64 v25, 0, 1, s15
	v_not_b32_e32 v131, v7
	v_cmp_gt_i32_e64 s15, 0, v7
	v_not_b32_e32 v7, v8
	v_lshlrev_b32_e32 v27, 26, v6
	v_cmp_ne_u32_e32 vcc_lo, 0, v25
	v_ashrrev_i32_e32 v131, 31, v131
	v_lshlrev_b32_e32 v130, 25, v6
	v_ashrrev_i32_e32 v7, 31, v7
	v_lshlrev_b32_e32 v25, 24, v6
	s_wait_alu 0xfffd
	v_xor_b32_e32 v5, vcc_lo, v5
	v_cmp_gt_i32_e32 vcc_lo, 0, v8
	v_not_b32_e32 v8, v24
	s_wait_alu 0xf1ff
	v_xor_b32_e32 v131, s15, v131
	v_cmp_gt_i32_e64 s15, 0, v24
	v_and_b32_e32 v5, exec_lo, v5
	v_not_b32_e32 v24, v26
	v_ashrrev_i32_e32 v8, 31, v8
	s_wait_alu 0xfffd
	v_xor_b32_e32 v7, vcc_lo, v7
	v_cmp_gt_i32_e32 vcc_lo, 0, v26
	v_and_b32_e32 v5, v5, v131
	v_not_b32_e32 v26, v27
	v_ashrrev_i32_e32 v24, 31, v24
	s_wait_alu 0xf1ff
	v_xor_b32_e32 v8, s15, v8
	v_cmp_gt_i32_e64 s15, 0, v27
	v_and_b32_e32 v5, v5, v7
	v_not_b32_e32 v7, v130
	v_ashrrev_i32_e32 v26, 31, v26
	s_wait_alu 0xfffd
	v_xor_b32_e32 v24, vcc_lo, v24
	v_cmp_gt_i32_e32 vcc_lo, 0, v130
	v_and_b32_e32 v5, v5, v8
	v_not_b32_e32 v8, v25
	v_ashrrev_i32_e32 v7, 31, v7
	s_wait_alu 0xf1ff
	v_xor_b32_e32 v26, s15, v26
	v_cmp_gt_i32_e64 s15, 0, v25
	v_and_b32_e32 v5, v5, v24
	v_ashrrev_i32_e32 v8, 31, v8
	s_wait_alu 0xfffd
	v_xor_b32_e32 v7, vcc_lo, v7
	v_mad_u32_u24 v24, v6, 36, v89
	v_mul_u32_u24_e32 v6, 36, v6
	v_and_b32_e32 v5, v5, v26
	s_wait_alu 0xf1ff
	v_xor_b32_e32 v8, s15, v8
	ds_load_b32 v130, v24 offset:1056
	v_add_nc_u32_e32 v132, v89, v6
	v_and_b32_e32 v5, v5, v7
	; wave barrier
	s_delay_alu instid0(VALU_DEP_1) | instskip(NEXT) | instid1(VALU_DEP_1)
	v_and_b32_e32 v5, v5, v8
	v_mbcnt_lo_u32_b32 v131, v5, 0
	v_cmp_ne_u32_e64 s15, 0, v5
	s_delay_alu instid0(VALU_DEP_2)
	v_cmp_eq_u32_e32 vcc_lo, 0, v131
	s_and_b32 s16, s15, vcc_lo
	s_wait_alu 0xfffe
	s_and_saveexec_b32 s15, s16
	s_cbranch_execz .LBB1020_258
; %bb.257:                              ;   in Loop: Header=BB1020_228 Depth=2
	s_wait_dscnt 0x0
	v_bcnt_u32_b32 v5, v5, v130
	ds_store_b32 v132, v5 offset:1056
.LBB1020_258:                           ;   in Loop: Header=BB1020_228 Depth=2
	s_wait_alu 0xfffe
	s_or_b32 exec_lo, exec_lo, s15
	; wave barrier
	s_wait_loadcnt_dscnt 0x0
	s_barrier_signal -1
	s_barrier_wait -1
	global_inv scope:SCOPE_SE
	ds_load_2addr_b32 v[26:27], v102 offset1:1
	ds_load_2addr_b32 v[24:25], v103 offset1:1
	;; [unrolled: 1-line block ×4, first 2 shown]
	ds_load_b32 v133, v43 offset:1088
	s_wait_dscnt 0x3
	v_add3_u32 v134, v27, v26, v24
	s_wait_dscnt 0x2
	s_delay_alu instid0(VALU_DEP_1) | instskip(SKIP_1) | instid1(VALU_DEP_1)
	v_add3_u32 v134, v134, v25, v7
	s_wait_dscnt 0x1
	v_add3_u32 v134, v134, v8, v5
	s_wait_dscnt 0x0
	s_delay_alu instid0(VALU_DEP_1) | instskip(NEXT) | instid1(VALU_DEP_1)
	v_add3_u32 v133, v134, v6, v133
	v_mov_b32_dpp v134, v133 row_shr:1 row_mask:0xf bank_mask:0xf
	s_delay_alu instid0(VALU_DEP_1) | instskip(NEXT) | instid1(VALU_DEP_1)
	v_cndmask_b32_e64 v134, v134, 0, s0
	v_add_nc_u32_e32 v133, v134, v133
	s_delay_alu instid0(VALU_DEP_1) | instskip(NEXT) | instid1(VALU_DEP_1)
	v_mov_b32_dpp v134, v133 row_shr:2 row_mask:0xf bank_mask:0xf
	v_cndmask_b32_e64 v134, 0, v134, s1
	s_delay_alu instid0(VALU_DEP_1) | instskip(NEXT) | instid1(VALU_DEP_1)
	v_add_nc_u32_e32 v133, v133, v134
	v_mov_b32_dpp v134, v133 row_shr:4 row_mask:0xf bank_mask:0xf
	s_delay_alu instid0(VALU_DEP_1) | instskip(NEXT) | instid1(VALU_DEP_1)
	v_cndmask_b32_e64 v134, 0, v134, s9
	v_add_nc_u32_e32 v133, v133, v134
	s_delay_alu instid0(VALU_DEP_1) | instskip(NEXT) | instid1(VALU_DEP_1)
	v_mov_b32_dpp v134, v133 row_shr:8 row_mask:0xf bank_mask:0xf
	v_cndmask_b32_e64 v134, 0, v134, s10
	s_delay_alu instid0(VALU_DEP_1) | instskip(SKIP_3) | instid1(VALU_DEP_1)
	v_add_nc_u32_e32 v133, v133, v134
	ds_swizzle_b32 v134, v133 offset:swizzle(BROADCAST,32,15)
	s_wait_dscnt 0x0
	v_cndmask_b32_e64 v134, v134, 0, s11
	v_add_nc_u32_e32 v133, v133, v134
	s_and_saveexec_b32 s15, s3
; %bb.259:                              ;   in Loop: Header=BB1020_228 Depth=2
	ds_store_b32 v38, v133 offset:1024
; %bb.260:                              ;   in Loop: Header=BB1020_228 Depth=2
	s_wait_alu 0xfffe
	s_or_b32 exec_lo, exec_lo, s15
	s_wait_loadcnt_dscnt 0x0
	s_barrier_signal -1
	s_barrier_wait -1
	global_inv scope:SCOPE_SE
	s_and_saveexec_b32 s15, s4
	s_cbranch_execz .LBB1020_262
; %bb.261:                              ;   in Loop: Header=BB1020_228 Depth=2
	ds_load_b32 v134, v47 offset:1024
	s_wait_dscnt 0x0
	v_mov_b32_dpp v135, v134 row_shr:1 row_mask:0xf bank_mask:0xf
	s_delay_alu instid0(VALU_DEP_1) | instskip(NEXT) | instid1(VALU_DEP_1)
	v_cndmask_b32_e64 v135, v135, 0, s12
	v_add_nc_u32_e32 v134, v135, v134
	s_delay_alu instid0(VALU_DEP_1) | instskip(NEXT) | instid1(VALU_DEP_1)
	v_mov_b32_dpp v135, v134 row_shr:2 row_mask:0xf bank_mask:0xf
	v_cndmask_b32_e64 v135, 0, v135, s13
	s_delay_alu instid0(VALU_DEP_1) | instskip(NEXT) | instid1(VALU_DEP_1)
	v_add_nc_u32_e32 v134, v134, v135
	v_mov_b32_dpp v135, v134 row_shr:4 row_mask:0xf bank_mask:0xf
	s_delay_alu instid0(VALU_DEP_1) | instskip(NEXT) | instid1(VALU_DEP_1)
	v_cndmask_b32_e64 v135, 0, v135, s14
	v_add_nc_u32_e32 v134, v134, v135
	ds_store_b32 v47, v134 offset:1024
.LBB1020_262:                           ;   in Loop: Header=BB1020_228 Depth=2
	s_wait_alu 0xfffe
	s_or_b32 exec_lo, exec_lo, s15
	v_mov_b32_e32 v134, 0
	s_wait_loadcnt_dscnt 0x0
	s_barrier_signal -1
	s_barrier_wait -1
	global_inv scope:SCOPE_SE
	s_and_saveexec_b32 s15, s5
; %bb.263:                              ;   in Loop: Header=BB1020_228 Depth=2
	ds_load_b32 v134, v38 offset:1020
; %bb.264:                              ;   in Loop: Header=BB1020_228 Depth=2
	s_wait_alu 0xfffe
	s_or_b32 exec_lo, exec_lo, s15
	s_wait_dscnt 0x0
	v_add_nc_u32_e32 v133, v134, v133
	ds_bpermute_b32 v133, v84, v133
	s_wait_dscnt 0x0
	v_cndmask_b32_e64 v133, v133, v134, s8
	s_delay_alu instid0(VALU_DEP_1) | instskip(NEXT) | instid1(VALU_DEP_1)
	v_cndmask_b32_e64 v133, v133, 0, s6
	v_add_nc_u32_e32 v26, v133, v26
	s_delay_alu instid0(VALU_DEP_1) | instskip(NEXT) | instid1(VALU_DEP_1)
	v_add_nc_u32_e32 v27, v26, v27
	v_add_nc_u32_e32 v24, v27, v24
	s_delay_alu instid0(VALU_DEP_1) | instskip(NEXT) | instid1(VALU_DEP_1)
	v_add_nc_u32_e32 v25, v24, v25
	;; [unrolled: 3-line block ×3, first 2 shown]
	v_add_nc_u32_e32 v5, v8, v5
	s_delay_alu instid0(VALU_DEP_1)
	v_add_nc_u32_e32 v6, v5, v6
	ds_store_2addr_b32 v101, v8, v5 offset1:1
	ds_store_2addr_b32 v102, v133, v26 offset1:1
	;; [unrolled: 1-line block ×4, first 2 shown]
	ds_store_b32 v43, v6 offset:1088
	s_wait_loadcnt_dscnt 0x0
	s_barrier_signal -1
	s_barrier_wait -1
	global_inv scope:SCOPE_SE
	ds_load_b32 v8, v105 offset:1056
	ds_load_b32 v24, v109 offset:1056
	;; [unrolled: 1-line block ×9, first 2 shown]
	v_mov_b32_e32 v7, 0x800
	s_and_saveexec_b32 s15, s7
; %bb.265:                              ;   in Loop: Header=BB1020_228 Depth=2
	ds_load_b32 v7, v43 offset:1092
; %bb.266:                              ;   in Loop: Header=BB1020_228 Depth=2
	s_wait_alu 0xfffe
	s_or_b32 exec_lo, exec_lo, s15
	s_wait_loadcnt_dscnt 0x0
	s_barrier_signal -1
	s_barrier_wait -1
	global_inv scope:SCOPE_SE
	s_and_saveexec_b32 s15, s2
	s_cbranch_execz .LBB1020_268
; %bb.267:                              ;   in Loop: Header=BB1020_228 Depth=2
	ds_load_b32 v102, v28
	s_wait_dscnt 0x0
	v_sub_nc_u32_e32 v101, v102, v101
	ds_store_b32 v28, v101
.LBB1020_268:                           ;   in Loop: Header=BB1020_228 Depth=2
	s_wait_alu 0xfffe
	s_or_b32 exec_lo, exec_lo, s15
	v_add_nc_u32_e32 v102, v8, v99
	v_add3_u32 v101, v107, v106, v24
	v_add3_u32 v99, v112, v110, v25
	;; [unrolled: 1-line block ×4, first 2 shown]
	v_lshlrev_b32_e32 v103, 1, v102
	v_add3_u32 v24, v120, v118, v27
	v_lshlrev_b32_e32 v104, 1, v101
	v_lshlrev_b32_e32 v105, 1, v99
	v_add3_u32 v27, v127, v126, v5
	v_add3_u32 v26, v131, v130, v6
	ds_store_b16 v103, v0 offset:1024
	ds_store_b16 v104, v100 offset:1024
	;; [unrolled: 1-line block ×3, first 2 shown]
	v_lshlrev_b32_e32 v0, 1, v25
	v_cmp_lt_u32_e32 vcc_lo, v13, v98
	v_lshlrev_b32_e32 v5, 1, v24
	v_lshlrev_b32_e32 v6, 1, v8
	;; [unrolled: 1-line block ×4, first 2 shown]
	ds_store_b16 v0, v111 offset:1024
	ds_store_b16 v5, v115 offset:1024
	ds_store_b16 v6, v119 offset:1024
	ds_store_b16 v100, v123 offset:1024
	ds_store_b16 v103, v128 offset:1024
	s_wait_loadcnt_dscnt 0x0
	s_barrier_signal -1
	s_barrier_wait -1
	global_inv scope:SCOPE_SE
	s_and_saveexec_b32 s16, vcc_lo
	s_cbranch_execnz .LBB1020_305
; %bb.269:                              ;   in Loop: Header=BB1020_228 Depth=2
	s_wait_alu 0xfffe
	s_or_b32 exec_lo, exec_lo, s16
	v_cmp_lt_u32_e64 s15, v29, v98
	s_and_saveexec_b32 s17, s15
	s_cbranch_execnz .LBB1020_306
.LBB1020_270:                           ;   in Loop: Header=BB1020_228 Depth=2
	s_wait_alu 0xfffe
	s_or_b32 exec_lo, exec_lo, s17
	v_cmp_lt_u32_e64 s16, v30, v98
	s_and_saveexec_b32 s18, s16
	s_cbranch_execnz .LBB1020_307
.LBB1020_271:                           ;   in Loop: Header=BB1020_228 Depth=2
	s_wait_alu 0xfffe
	s_or_b32 exec_lo, exec_lo, s18
	v_cmp_lt_u32_e64 s17, v31, v98
	s_and_saveexec_b32 s19, s17
	s_cbranch_execnz .LBB1020_308
.LBB1020_272:                           ;   in Loop: Header=BB1020_228 Depth=2
	s_wait_alu 0xfffe
	s_or_b32 exec_lo, exec_lo, s19
	v_cmp_lt_u32_e64 s18, v34, v98
	s_and_saveexec_b32 s20, s18
	s_cbranch_execnz .LBB1020_309
.LBB1020_273:                           ;   in Loop: Header=BB1020_228 Depth=2
	s_wait_alu 0xfffe
	s_or_b32 exec_lo, exec_lo, s20
	v_cmp_lt_u32_e64 s19, v35, v98
	s_and_saveexec_b32 s21, s19
	s_cbranch_execnz .LBB1020_310
.LBB1020_274:                           ;   in Loop: Header=BB1020_228 Depth=2
	s_wait_alu 0xfffe
	s_or_b32 exec_lo, exec_lo, s21
	v_cmp_lt_u32_e64 s20, v36, v98
	s_and_saveexec_b32 s22, s20
	s_cbranch_execnz .LBB1020_311
.LBB1020_275:                           ;   in Loop: Header=BB1020_228 Depth=2
	s_wait_alu 0xfffe
	s_or_b32 exec_lo, exec_lo, s22
	v_cmp_lt_u32_e64 s21, v37, v98
	s_and_saveexec_b32 s48, s21
	s_cbranch_execz .LBB1020_277
.LBB1020_276:                           ;   in Loop: Header=BB1020_228 Depth=2
	ds_load_u16 v100, v48 offset:4608
	s_wait_dscnt 0x0
	v_and_b32_e32 v0, 0xffff, v100
	s_delay_alu instid0(VALU_DEP_1) | instskip(NEXT) | instid1(VALU_DEP_1)
	v_lshrrev_b32_e32 v0, s23, v0
	v_and_b32_e32 v0, s42, v0
	s_delay_alu instid0(VALU_DEP_1) | instskip(SKIP_3) | instid1(VALU_DEP_1)
	v_lshlrev_b32_e32 v0, 2, v0
	ds_load_b32 v0, v0
	s_wait_dscnt 0x0
	v_add_nc_u32_e32 v0, v0, v37
	v_lshlrev_b64_e32 v[5:6], 1, v[0:1]
	v_xor_b32_e32 v0, 0xffff8000, v100
	s_delay_alu instid0(VALU_DEP_2) | instskip(SKIP_1) | instid1(VALU_DEP_3)
	v_add_co_u32 v5, s22, s40, v5
	s_wait_alu 0xf1ff
	v_add_co_ci_u32_e64 v6, null, s41, v6, s22
	global_store_b16 v[5:6], v0, off
.LBB1020_277:                           ;   in Loop: Header=BB1020_228 Depth=2
	s_wait_alu 0xfffe
	s_or_b32 exec_lo, exec_lo, s48
	s_lshl_b64 s[48:49], s[30:31], 3
	s_wait_alu 0xfffe
	v_add_co_u32 v5, s22, v85, s48
	s_wait_alu 0xf1ff
	v_add_co_ci_u32_e64 v6, null, s49, v86, s22
	v_cmp_lt_u32_e64 s22, v67, v98
	s_and_saveexec_b32 s30, s22
	s_wait_alu 0xfffe
	s_xor_b32 s22, exec_lo, s30
	s_cbranch_execnz .LBB1020_312
; %bb.278:                              ;   in Loop: Header=BB1020_228 Depth=2
	s_wait_alu 0xfffe
	s_or_b32 exec_lo, exec_lo, s22
	s_delay_alu instid0(SALU_CYCLE_1)
	s_mov_b32 s30, exec_lo
	v_cmpx_lt_u32_e64 v71, v98
	s_cbranch_execnz .LBB1020_313
.LBB1020_279:                           ;   in Loop: Header=BB1020_228 Depth=2
	s_wait_alu 0xfffe
	s_or_b32 exec_lo, exec_lo, s30
	s_delay_alu instid0(SALU_CYCLE_1)
	s_mov_b32 s30, exec_lo
	v_cmpx_lt_u32_e64 v72, v98
	s_cbranch_execnz .LBB1020_314
.LBB1020_280:                           ;   in Loop: Header=BB1020_228 Depth=2
	s_wait_alu 0xfffe
	s_or_b32 exec_lo, exec_lo, s30
	s_delay_alu instid0(SALU_CYCLE_1)
	s_mov_b32 s30, exec_lo
	v_cmpx_lt_u32_e64 v73, v98
	s_cbranch_execnz .LBB1020_315
.LBB1020_281:                           ;   in Loop: Header=BB1020_228 Depth=2
	s_wait_alu 0xfffe
	s_or_b32 exec_lo, exec_lo, s30
	s_delay_alu instid0(SALU_CYCLE_1)
	s_mov_b32 s30, exec_lo
	v_cmpx_lt_u32_e64 v74, v98
	s_cbranch_execnz .LBB1020_316
.LBB1020_282:                           ;   in Loop: Header=BB1020_228 Depth=2
	s_wait_alu 0xfffe
	s_or_b32 exec_lo, exec_lo, s30
	s_delay_alu instid0(SALU_CYCLE_1)
	s_mov_b32 s30, exec_lo
	v_cmpx_lt_u32_e64 v75, v98
	s_cbranch_execnz .LBB1020_317
.LBB1020_283:                           ;   in Loop: Header=BB1020_228 Depth=2
	s_wait_alu 0xfffe
	s_or_b32 exec_lo, exec_lo, s30
	s_delay_alu instid0(SALU_CYCLE_1)
	s_mov_b32 s30, exec_lo
	v_cmpx_lt_u32_e64 v76, v98
	s_cbranch_execnz .LBB1020_318
.LBB1020_284:                           ;   in Loop: Header=BB1020_228 Depth=2
	s_wait_alu 0xfffe
	s_or_b32 exec_lo, exec_lo, s30
	s_delay_alu instid0(SALU_CYCLE_1)
	s_mov_b32 s30, exec_lo
	v_cmpx_lt_u32_e64 v77, v98
	s_cbranch_execnz .LBB1020_319
.LBB1020_285:                           ;   in Loop: Header=BB1020_228 Depth=2
	s_wait_alu 0xfffe
	s_or_b32 exec_lo, exec_lo, s30
	s_and_saveexec_b32 s22, vcc_lo
	s_cbranch_execnz .LBB1020_320
.LBB1020_286:                           ;   in Loop: Header=BB1020_228 Depth=2
	s_wait_alu 0xfffe
	s_or_b32 exec_lo, exec_lo, s22
	s_and_saveexec_b32 s22, s15
	s_cbranch_execnz .LBB1020_321
.LBB1020_287:                           ;   in Loop: Header=BB1020_228 Depth=2
	s_wait_alu 0xfffe
	s_or_b32 exec_lo, exec_lo, s22
	s_and_saveexec_b32 s22, s16
	s_cbranch_execnz .LBB1020_322
.LBB1020_288:                           ;   in Loop: Header=BB1020_228 Depth=2
	s_wait_alu 0xfffe
	s_or_b32 exec_lo, exec_lo, s22
	s_and_saveexec_b32 s22, s17
	s_cbranch_execnz .LBB1020_323
.LBB1020_289:                           ;   in Loop: Header=BB1020_228 Depth=2
	s_wait_alu 0xfffe
	s_or_b32 exec_lo, exec_lo, s22
	s_and_saveexec_b32 s22, s18
	s_cbranch_execnz .LBB1020_324
.LBB1020_290:                           ;   in Loop: Header=BB1020_228 Depth=2
	s_wait_alu 0xfffe
	s_or_b32 exec_lo, exec_lo, s22
	s_and_saveexec_b32 s22, s19
	s_cbranch_execnz .LBB1020_325
.LBB1020_291:                           ;   in Loop: Header=BB1020_228 Depth=2
	s_wait_alu 0xfffe
	s_or_b32 exec_lo, exec_lo, s22
	s_and_saveexec_b32 s22, s20
	s_cbranch_execnz .LBB1020_326
.LBB1020_292:                           ;   in Loop: Header=BB1020_228 Depth=2
	s_wait_alu 0xfffe
	s_or_b32 exec_lo, exec_lo, s22
	s_and_saveexec_b32 s22, s21
	s_cbranch_execz .LBB1020_294
.LBB1020_293:                           ;   in Loop: Header=BB1020_228 Depth=2
	ds_load_u16 v0, v48 offset:4608
	s_wait_dscnt 0x0
	v_lshrrev_b32_e32 v0, s23, v0
	s_delay_alu instid0(VALU_DEP_1)
	v_and_b32_e32 v90, s42, v0
.LBB1020_294:                           ;   in Loop: Header=BB1020_228 Depth=2
	s_wait_alu 0xfffe
	s_or_b32 exec_lo, exec_lo, s22
	v_lshlrev_b32_e32 v0, 3, v102
	v_lshlrev_b32_e32 v5, 3, v101
	;; [unrolled: 1-line block ×3, first 2 shown]
	s_wait_loadcnt 0x0
	s_wait_storecnt 0x0
	s_barrier_signal -1
	s_barrier_wait -1
	global_inv scope:SCOPE_SE
	ds_store_b64 v0, v[22:23] offset:1024
	ds_store_b64 v5, v[20:21] offset:1024
	;; [unrolled: 1-line block ×3, first 2 shown]
	v_lshlrev_b32_e32 v0, 3, v25
	v_lshlrev_b32_e32 v5, 3, v24
	;; [unrolled: 1-line block ×5, first 2 shown]
	ds_store_b64 v0, v[16:17] offset:1024
	ds_store_b64 v5, v[14:15] offset:1024
	;; [unrolled: 1-line block ×5, first 2 shown]
	s_wait_loadcnt_dscnt 0x0
	s_barrier_signal -1
	s_barrier_wait -1
	global_inv scope:SCOPE_SE
	s_and_saveexec_b32 s22, vcc_lo
	s_cbranch_execnz .LBB1020_327
; %bb.295:                              ;   in Loop: Header=BB1020_228 Depth=2
	s_wait_alu 0xfffe
	s_or_b32 exec_lo, exec_lo, s22
	s_and_saveexec_b32 s22, s15
	s_cbranch_execnz .LBB1020_328
.LBB1020_296:                           ;   in Loop: Header=BB1020_228 Depth=2
	s_wait_alu 0xfffe
	s_or_b32 exec_lo, exec_lo, s22
	s_and_saveexec_b32 s15, s16
	s_cbranch_execnz .LBB1020_329
.LBB1020_297:                           ;   in Loop: Header=BB1020_228 Depth=2
	s_wait_alu 0xfffe
	s_or_b32 exec_lo, exec_lo, s15
	s_and_saveexec_b32 s15, s17
	s_cbranch_execnz .LBB1020_330
.LBB1020_298:                           ;   in Loop: Header=BB1020_228 Depth=2
	s_wait_alu 0xfffe
	s_or_b32 exec_lo, exec_lo, s15
	s_and_saveexec_b32 s15, s18
	s_cbranch_execnz .LBB1020_331
.LBB1020_299:                           ;   in Loop: Header=BB1020_228 Depth=2
	s_wait_alu 0xfffe
	s_or_b32 exec_lo, exec_lo, s15
	s_and_saveexec_b32 s15, s19
	s_cbranch_execnz .LBB1020_332
.LBB1020_300:                           ;   in Loop: Header=BB1020_228 Depth=2
	s_wait_alu 0xfffe
	s_or_b32 exec_lo, exec_lo, s15
	s_and_saveexec_b32 s15, s20
	s_cbranch_execnz .LBB1020_333
.LBB1020_301:                           ;   in Loop: Header=BB1020_228 Depth=2
	s_wait_alu 0xfffe
	s_or_b32 exec_lo, exec_lo, s15
	s_and_saveexec_b32 s15, s21
	s_cbranch_execz .LBB1020_303
.LBB1020_302:                           ;   in Loop: Header=BB1020_228 Depth=2
	v_lshlrev_b32_e32 v0, 2, v90
	v_add_nc_u32_e32 v5, v48, v49
	ds_load_b32 v0, v0
	ds_load_b64 v[5:6], v5 offset:15360
	s_wait_dscnt 0x1
	v_add_nc_u32_e32 v0, v0, v37
	s_delay_alu instid0(VALU_DEP_1) | instskip(NEXT) | instid1(VALU_DEP_1)
	v_lshlrev_b64_e32 v[24:25], 3, v[0:1]
	v_add_co_u32 v24, vcc_lo, s26, v24
	s_wait_alu 0xfffd
	s_delay_alu instid0(VALU_DEP_2)
	v_add_co_ci_u32_e64 v25, null, s27, v25, vcc_lo
	s_wait_dscnt 0x0
	global_store_b64 v[24:25], v[5:6], off
.LBB1020_303:                           ;   in Loop: Header=BB1020_228 Depth=2
	s_wait_alu 0xfffe
	s_or_b32 exec_lo, exec_lo, s15
	s_wait_loadcnt 0x0
	s_wait_storecnt 0x0
	s_barrier_signal -1
	s_barrier_wait -1
	global_inv scope:SCOPE_SE
	s_and_saveexec_b32 s15, s2
	s_cbranch_execz .LBB1020_227
; %bb.304:                              ;   in Loop: Header=BB1020_228 Depth=2
	ds_load_b32 v0, v28
	s_wait_dscnt 0x0
	v_add_nc_u32_e32 v0, v0, v7
	ds_store_b32 v28, v0
	s_branch .LBB1020_227
.LBB1020_305:                           ;   in Loop: Header=BB1020_228 Depth=2
	ds_load_u16 v100, v48 offset:1024
	s_wait_dscnt 0x0
	v_and_b32_e32 v0, 0xffff, v100
	s_delay_alu instid0(VALU_DEP_1) | instskip(NEXT) | instid1(VALU_DEP_1)
	v_lshrrev_b32_e32 v0, s23, v0
	v_and_b32_e32 v0, s42, v0
	s_delay_alu instid0(VALU_DEP_1) | instskip(SKIP_3) | instid1(VALU_DEP_1)
	v_lshlrev_b32_e32 v0, 2, v0
	ds_load_b32 v0, v0
	s_wait_dscnt 0x0
	v_add_nc_u32_e32 v0, v0, v13
	v_lshlrev_b64_e32 v[5:6], 1, v[0:1]
	v_xor_b32_e32 v0, 0xffff8000, v100
	s_delay_alu instid0(VALU_DEP_2) | instskip(SKIP_1) | instid1(VALU_DEP_3)
	v_add_co_u32 v5, s15, s40, v5
	s_wait_alu 0xf1ff
	v_add_co_ci_u32_e64 v6, null, s41, v6, s15
	global_store_b16 v[5:6], v0, off
	s_wait_alu 0xfffe
	s_or_b32 exec_lo, exec_lo, s16
	v_cmp_lt_u32_e64 s15, v29, v98
	s_and_saveexec_b32 s17, s15
	s_cbranch_execz .LBB1020_270
.LBB1020_306:                           ;   in Loop: Header=BB1020_228 Depth=2
	ds_load_u16 v100, v48 offset:1536
	s_wait_dscnt 0x0
	v_and_b32_e32 v0, 0xffff, v100
	s_delay_alu instid0(VALU_DEP_1) | instskip(NEXT) | instid1(VALU_DEP_1)
	v_lshrrev_b32_e32 v0, s23, v0
	v_and_b32_e32 v0, s42, v0
	s_delay_alu instid0(VALU_DEP_1) | instskip(SKIP_3) | instid1(VALU_DEP_1)
	v_lshlrev_b32_e32 v0, 2, v0
	ds_load_b32 v0, v0
	s_wait_dscnt 0x0
	v_add_nc_u32_e32 v0, v0, v29
	v_lshlrev_b64_e32 v[5:6], 1, v[0:1]
	v_xor_b32_e32 v0, 0xffff8000, v100
	s_delay_alu instid0(VALU_DEP_2) | instskip(SKIP_1) | instid1(VALU_DEP_3)
	v_add_co_u32 v5, s16, s40, v5
	s_wait_alu 0xf1ff
	v_add_co_ci_u32_e64 v6, null, s41, v6, s16
	global_store_b16 v[5:6], v0, off
	s_wait_alu 0xfffe
	s_or_b32 exec_lo, exec_lo, s17
	v_cmp_lt_u32_e64 s16, v30, v98
	s_and_saveexec_b32 s18, s16
	s_cbranch_execz .LBB1020_271
.LBB1020_307:                           ;   in Loop: Header=BB1020_228 Depth=2
	ds_load_u16 v100, v48 offset:2048
	s_wait_dscnt 0x0
	v_and_b32_e32 v0, 0xffff, v100
	s_delay_alu instid0(VALU_DEP_1) | instskip(NEXT) | instid1(VALU_DEP_1)
	v_lshrrev_b32_e32 v0, s23, v0
	v_and_b32_e32 v0, s42, v0
	s_delay_alu instid0(VALU_DEP_1) | instskip(SKIP_3) | instid1(VALU_DEP_1)
	v_lshlrev_b32_e32 v0, 2, v0
	ds_load_b32 v0, v0
	s_wait_dscnt 0x0
	v_add_nc_u32_e32 v0, v0, v30
	v_lshlrev_b64_e32 v[5:6], 1, v[0:1]
	v_xor_b32_e32 v0, 0xffff8000, v100
	s_delay_alu instid0(VALU_DEP_2) | instskip(SKIP_1) | instid1(VALU_DEP_3)
	v_add_co_u32 v5, s17, s40, v5
	s_wait_alu 0xf1ff
	v_add_co_ci_u32_e64 v6, null, s41, v6, s17
	global_store_b16 v[5:6], v0, off
	s_wait_alu 0xfffe
	s_or_b32 exec_lo, exec_lo, s18
	v_cmp_lt_u32_e64 s17, v31, v98
	s_and_saveexec_b32 s19, s17
	s_cbranch_execz .LBB1020_272
.LBB1020_308:                           ;   in Loop: Header=BB1020_228 Depth=2
	ds_load_u16 v100, v48 offset:2560
	s_wait_dscnt 0x0
	v_and_b32_e32 v0, 0xffff, v100
	s_delay_alu instid0(VALU_DEP_1) | instskip(NEXT) | instid1(VALU_DEP_1)
	v_lshrrev_b32_e32 v0, s23, v0
	v_and_b32_e32 v0, s42, v0
	s_delay_alu instid0(VALU_DEP_1) | instskip(SKIP_3) | instid1(VALU_DEP_1)
	v_lshlrev_b32_e32 v0, 2, v0
	ds_load_b32 v0, v0
	s_wait_dscnt 0x0
	v_add_nc_u32_e32 v0, v0, v31
	v_lshlrev_b64_e32 v[5:6], 1, v[0:1]
	v_xor_b32_e32 v0, 0xffff8000, v100
	s_delay_alu instid0(VALU_DEP_2) | instskip(SKIP_1) | instid1(VALU_DEP_3)
	v_add_co_u32 v5, s18, s40, v5
	s_wait_alu 0xf1ff
	v_add_co_ci_u32_e64 v6, null, s41, v6, s18
	global_store_b16 v[5:6], v0, off
	s_wait_alu 0xfffe
	s_or_b32 exec_lo, exec_lo, s19
	v_cmp_lt_u32_e64 s18, v34, v98
	s_and_saveexec_b32 s20, s18
	s_cbranch_execz .LBB1020_273
.LBB1020_309:                           ;   in Loop: Header=BB1020_228 Depth=2
	ds_load_u16 v100, v48 offset:3072
	s_wait_dscnt 0x0
	v_and_b32_e32 v0, 0xffff, v100
	s_delay_alu instid0(VALU_DEP_1) | instskip(NEXT) | instid1(VALU_DEP_1)
	v_lshrrev_b32_e32 v0, s23, v0
	v_and_b32_e32 v0, s42, v0
	s_delay_alu instid0(VALU_DEP_1) | instskip(SKIP_3) | instid1(VALU_DEP_1)
	v_lshlrev_b32_e32 v0, 2, v0
	ds_load_b32 v0, v0
	s_wait_dscnt 0x0
	v_add_nc_u32_e32 v0, v0, v34
	v_lshlrev_b64_e32 v[5:6], 1, v[0:1]
	v_xor_b32_e32 v0, 0xffff8000, v100
	s_delay_alu instid0(VALU_DEP_2) | instskip(SKIP_1) | instid1(VALU_DEP_3)
	v_add_co_u32 v5, s19, s40, v5
	s_wait_alu 0xf1ff
	v_add_co_ci_u32_e64 v6, null, s41, v6, s19
	global_store_b16 v[5:6], v0, off
	s_wait_alu 0xfffe
	s_or_b32 exec_lo, exec_lo, s20
	v_cmp_lt_u32_e64 s19, v35, v98
	s_and_saveexec_b32 s21, s19
	s_cbranch_execz .LBB1020_274
.LBB1020_310:                           ;   in Loop: Header=BB1020_228 Depth=2
	ds_load_u16 v100, v48 offset:3584
	s_wait_dscnt 0x0
	v_and_b32_e32 v0, 0xffff, v100
	s_delay_alu instid0(VALU_DEP_1) | instskip(NEXT) | instid1(VALU_DEP_1)
	v_lshrrev_b32_e32 v0, s23, v0
	v_and_b32_e32 v0, s42, v0
	s_delay_alu instid0(VALU_DEP_1) | instskip(SKIP_3) | instid1(VALU_DEP_1)
	v_lshlrev_b32_e32 v0, 2, v0
	ds_load_b32 v0, v0
	s_wait_dscnt 0x0
	v_add_nc_u32_e32 v0, v0, v35
	v_lshlrev_b64_e32 v[5:6], 1, v[0:1]
	v_xor_b32_e32 v0, 0xffff8000, v100
	s_delay_alu instid0(VALU_DEP_2) | instskip(SKIP_1) | instid1(VALU_DEP_3)
	v_add_co_u32 v5, s20, s40, v5
	s_wait_alu 0xf1ff
	v_add_co_ci_u32_e64 v6, null, s41, v6, s20
	global_store_b16 v[5:6], v0, off
	s_wait_alu 0xfffe
	s_or_b32 exec_lo, exec_lo, s21
	v_cmp_lt_u32_e64 s20, v36, v98
	s_and_saveexec_b32 s22, s20
	s_cbranch_execz .LBB1020_275
.LBB1020_311:                           ;   in Loop: Header=BB1020_228 Depth=2
	ds_load_u16 v100, v48 offset:4096
	s_wait_dscnt 0x0
	v_and_b32_e32 v0, 0xffff, v100
	s_delay_alu instid0(VALU_DEP_1) | instskip(NEXT) | instid1(VALU_DEP_1)
	v_lshrrev_b32_e32 v0, s23, v0
	v_and_b32_e32 v0, s42, v0
	s_delay_alu instid0(VALU_DEP_1) | instskip(SKIP_3) | instid1(VALU_DEP_1)
	v_lshlrev_b32_e32 v0, 2, v0
	ds_load_b32 v0, v0
	s_wait_dscnt 0x0
	v_add_nc_u32_e32 v0, v0, v36
	v_lshlrev_b64_e32 v[5:6], 1, v[0:1]
	v_xor_b32_e32 v0, 0xffff8000, v100
	s_delay_alu instid0(VALU_DEP_2) | instskip(SKIP_1) | instid1(VALU_DEP_3)
	v_add_co_u32 v5, s21, s40, v5
	s_wait_alu 0xf1ff
	v_add_co_ci_u32_e64 v6, null, s41, v6, s21
	global_store_b16 v[5:6], v0, off
	s_wait_alu 0xfffe
	s_or_b32 exec_lo, exec_lo, s22
	v_cmp_lt_u32_e64 s21, v37, v98
	s_and_saveexec_b32 s48, s21
	s_cbranch_execnz .LBB1020_276
	s_branch .LBB1020_277
.LBB1020_312:                           ;   in Loop: Header=BB1020_228 Depth=2
	global_load_b64 v[22:23], v[5:6], off
	s_wait_alu 0xfffe
	s_or_b32 exec_lo, exec_lo, s22
	s_delay_alu instid0(SALU_CYCLE_1)
	s_mov_b32 s30, exec_lo
	v_cmpx_lt_u32_e64 v71, v98
	s_cbranch_execz .LBB1020_279
.LBB1020_313:                           ;   in Loop: Header=BB1020_228 Depth=2
	global_load_b64 v[20:21], v[5:6], off offset:256
	s_wait_alu 0xfffe
	s_or_b32 exec_lo, exec_lo, s30
	s_delay_alu instid0(SALU_CYCLE_1)
	s_mov_b32 s30, exec_lo
	v_cmpx_lt_u32_e64 v72, v98
	s_cbranch_execz .LBB1020_280
.LBB1020_314:                           ;   in Loop: Header=BB1020_228 Depth=2
	global_load_b64 v[18:19], v[5:6], off offset:512
	s_wait_alu 0xfffe
	s_or_b32 exec_lo, exec_lo, s30
	s_delay_alu instid0(SALU_CYCLE_1)
	s_mov_b32 s30, exec_lo
	v_cmpx_lt_u32_e64 v73, v98
	s_cbranch_execz .LBB1020_281
.LBB1020_315:                           ;   in Loop: Header=BB1020_228 Depth=2
	global_load_b64 v[16:17], v[5:6], off offset:768
	s_wait_alu 0xfffe
	s_or_b32 exec_lo, exec_lo, s30
	s_delay_alu instid0(SALU_CYCLE_1)
	s_mov_b32 s30, exec_lo
	v_cmpx_lt_u32_e64 v74, v98
	s_cbranch_execz .LBB1020_282
.LBB1020_316:                           ;   in Loop: Header=BB1020_228 Depth=2
	global_load_b64 v[14:15], v[5:6], off offset:1024
	s_wait_alu 0xfffe
	s_or_b32 exec_lo, exec_lo, s30
	s_delay_alu instid0(SALU_CYCLE_1)
	s_mov_b32 s30, exec_lo
	v_cmpx_lt_u32_e64 v75, v98
	s_cbranch_execz .LBB1020_283
.LBB1020_317:                           ;   in Loop: Header=BB1020_228 Depth=2
	global_load_b64 v[11:12], v[5:6], off offset:1280
	s_wait_alu 0xfffe
	s_or_b32 exec_lo, exec_lo, s30
	s_delay_alu instid0(SALU_CYCLE_1)
	s_mov_b32 s30, exec_lo
	v_cmpx_lt_u32_e64 v76, v98
	s_cbranch_execz .LBB1020_284
.LBB1020_318:                           ;   in Loop: Header=BB1020_228 Depth=2
	global_load_b64 v[9:10], v[5:6], off offset:1536
	s_wait_alu 0xfffe
	s_or_b32 exec_lo, exec_lo, s30
	s_delay_alu instid0(SALU_CYCLE_1)
	s_mov_b32 s30, exec_lo
	v_cmpx_lt_u32_e64 v77, v98
	s_cbranch_execz .LBB1020_285
.LBB1020_319:                           ;   in Loop: Header=BB1020_228 Depth=2
	global_load_b64 v[2:3], v[5:6], off offset:1792
	s_wait_alu 0xfffe
	s_or_b32 exec_lo, exec_lo, s30
	s_and_saveexec_b32 s22, vcc_lo
	s_cbranch_execz .LBB1020_286
.LBB1020_320:                           ;   in Loop: Header=BB1020_228 Depth=2
	ds_load_u16 v0, v48 offset:1024
	s_wait_dscnt 0x0
	v_lshrrev_b32_e32 v0, s23, v0
	s_delay_alu instid0(VALU_DEP_1)
	v_and_b32_e32 v97, s42, v0
	s_wait_alu 0xfffe
	s_or_b32 exec_lo, exec_lo, s22
	s_and_saveexec_b32 s22, s15
	s_cbranch_execz .LBB1020_287
.LBB1020_321:                           ;   in Loop: Header=BB1020_228 Depth=2
	ds_load_u16 v0, v48 offset:1536
	s_wait_dscnt 0x0
	v_lshrrev_b32_e32 v0, s23, v0
	s_delay_alu instid0(VALU_DEP_1)
	v_and_b32_e32 v96, s42, v0
	s_wait_alu 0xfffe
	s_or_b32 exec_lo, exec_lo, s22
	s_and_saveexec_b32 s22, s16
	s_cbranch_execz .LBB1020_288
.LBB1020_322:                           ;   in Loop: Header=BB1020_228 Depth=2
	ds_load_u16 v0, v48 offset:2048
	s_wait_dscnt 0x0
	v_lshrrev_b32_e32 v0, s23, v0
	s_delay_alu instid0(VALU_DEP_1)
	v_and_b32_e32 v95, s42, v0
	s_wait_alu 0xfffe
	s_or_b32 exec_lo, exec_lo, s22
	s_and_saveexec_b32 s22, s17
	s_cbranch_execz .LBB1020_289
.LBB1020_323:                           ;   in Loop: Header=BB1020_228 Depth=2
	ds_load_u16 v0, v48 offset:2560
	s_wait_dscnt 0x0
	v_lshrrev_b32_e32 v0, s23, v0
	s_delay_alu instid0(VALU_DEP_1)
	v_and_b32_e32 v94, s42, v0
	s_wait_alu 0xfffe
	s_or_b32 exec_lo, exec_lo, s22
	s_and_saveexec_b32 s22, s18
	s_cbranch_execz .LBB1020_290
.LBB1020_324:                           ;   in Loop: Header=BB1020_228 Depth=2
	ds_load_u16 v0, v48 offset:3072
	s_wait_dscnt 0x0
	v_lshrrev_b32_e32 v0, s23, v0
	s_delay_alu instid0(VALU_DEP_1)
	v_and_b32_e32 v93, s42, v0
	s_wait_alu 0xfffe
	s_or_b32 exec_lo, exec_lo, s22
	s_and_saveexec_b32 s22, s19
	s_cbranch_execz .LBB1020_291
.LBB1020_325:                           ;   in Loop: Header=BB1020_228 Depth=2
	ds_load_u16 v0, v48 offset:3584
	s_wait_dscnt 0x0
	v_lshrrev_b32_e32 v0, s23, v0
	s_delay_alu instid0(VALU_DEP_1)
	v_and_b32_e32 v92, s42, v0
	s_wait_alu 0xfffe
	s_or_b32 exec_lo, exec_lo, s22
	s_and_saveexec_b32 s22, s20
	s_cbranch_execz .LBB1020_292
.LBB1020_326:                           ;   in Loop: Header=BB1020_228 Depth=2
	ds_load_u16 v0, v48 offset:4096
	s_wait_dscnt 0x0
	v_lshrrev_b32_e32 v0, s23, v0
	s_delay_alu instid0(VALU_DEP_1)
	v_and_b32_e32 v91, s42, v0
	s_wait_alu 0xfffe
	s_or_b32 exec_lo, exec_lo, s22
	s_and_saveexec_b32 s22, s21
	s_cbranch_execnz .LBB1020_293
	s_branch .LBB1020_294
.LBB1020_327:                           ;   in Loop: Header=BB1020_228 Depth=2
	v_lshlrev_b32_e32 v0, 2, v97
	v_add_nc_u32_e32 v5, v48, v49
	ds_load_b32 v0, v0
	ds_load_b64 v[5:6], v5 offset:1024
	s_wait_dscnt 0x1
	v_add_nc_u32_e32 v0, v0, v13
	s_delay_alu instid0(VALU_DEP_1) | instskip(NEXT) | instid1(VALU_DEP_1)
	v_lshlrev_b64_e32 v[24:25], 3, v[0:1]
	v_add_co_u32 v24, vcc_lo, s26, v24
	s_wait_alu 0xfffd
	s_delay_alu instid0(VALU_DEP_2)
	v_add_co_ci_u32_e64 v25, null, s27, v25, vcc_lo
	s_wait_dscnt 0x0
	global_store_b64 v[24:25], v[5:6], off
	s_wait_alu 0xfffe
	s_or_b32 exec_lo, exec_lo, s22
	s_and_saveexec_b32 s22, s15
	s_cbranch_execz .LBB1020_296
.LBB1020_328:                           ;   in Loop: Header=BB1020_228 Depth=2
	v_lshlrev_b32_e32 v0, 2, v96
	v_add_nc_u32_e32 v5, v48, v49
	ds_load_b32 v0, v0
	ds_load_b64 v[5:6], v5 offset:3072
	s_wait_dscnt 0x1
	v_add_nc_u32_e32 v0, v0, v29
	s_delay_alu instid0(VALU_DEP_1) | instskip(NEXT) | instid1(VALU_DEP_1)
	v_lshlrev_b64_e32 v[24:25], 3, v[0:1]
	v_add_co_u32 v24, vcc_lo, s26, v24
	s_wait_alu 0xfffd
	s_delay_alu instid0(VALU_DEP_2)
	v_add_co_ci_u32_e64 v25, null, s27, v25, vcc_lo
	s_wait_dscnt 0x0
	global_store_b64 v[24:25], v[5:6], off
	s_wait_alu 0xfffe
	s_or_b32 exec_lo, exec_lo, s22
	s_and_saveexec_b32 s15, s16
	s_cbranch_execz .LBB1020_297
.LBB1020_329:                           ;   in Loop: Header=BB1020_228 Depth=2
	v_lshlrev_b32_e32 v0, 2, v95
	v_add_nc_u32_e32 v5, v48, v49
	ds_load_b32 v0, v0
	ds_load_b64 v[5:6], v5 offset:5120
	s_wait_dscnt 0x1
	v_add_nc_u32_e32 v0, v0, v30
	s_delay_alu instid0(VALU_DEP_1) | instskip(NEXT) | instid1(VALU_DEP_1)
	v_lshlrev_b64_e32 v[24:25], 3, v[0:1]
	v_add_co_u32 v24, vcc_lo, s26, v24
	s_wait_alu 0xfffd
	s_delay_alu instid0(VALU_DEP_2)
	v_add_co_ci_u32_e64 v25, null, s27, v25, vcc_lo
	s_wait_dscnt 0x0
	global_store_b64 v[24:25], v[5:6], off
	s_wait_alu 0xfffe
	s_or_b32 exec_lo, exec_lo, s15
	s_and_saveexec_b32 s15, s17
	s_cbranch_execz .LBB1020_298
.LBB1020_330:                           ;   in Loop: Header=BB1020_228 Depth=2
	v_lshlrev_b32_e32 v0, 2, v94
	v_add_nc_u32_e32 v5, v48, v49
	ds_load_b32 v0, v0
	ds_load_b64 v[5:6], v5 offset:7168
	s_wait_dscnt 0x1
	v_add_nc_u32_e32 v0, v0, v31
	s_delay_alu instid0(VALU_DEP_1) | instskip(NEXT) | instid1(VALU_DEP_1)
	v_lshlrev_b64_e32 v[24:25], 3, v[0:1]
	v_add_co_u32 v24, vcc_lo, s26, v24
	s_wait_alu 0xfffd
	s_delay_alu instid0(VALU_DEP_2)
	v_add_co_ci_u32_e64 v25, null, s27, v25, vcc_lo
	s_wait_dscnt 0x0
	global_store_b64 v[24:25], v[5:6], off
	s_wait_alu 0xfffe
	s_or_b32 exec_lo, exec_lo, s15
	s_and_saveexec_b32 s15, s18
	s_cbranch_execz .LBB1020_299
.LBB1020_331:                           ;   in Loop: Header=BB1020_228 Depth=2
	v_lshlrev_b32_e32 v0, 2, v93
	v_add_nc_u32_e32 v5, v48, v49
	ds_load_b32 v0, v0
	ds_load_b64 v[5:6], v5 offset:9216
	s_wait_dscnt 0x1
	v_add_nc_u32_e32 v0, v0, v34
	s_delay_alu instid0(VALU_DEP_1) | instskip(NEXT) | instid1(VALU_DEP_1)
	v_lshlrev_b64_e32 v[24:25], 3, v[0:1]
	v_add_co_u32 v24, vcc_lo, s26, v24
	s_wait_alu 0xfffd
	s_delay_alu instid0(VALU_DEP_2)
	v_add_co_ci_u32_e64 v25, null, s27, v25, vcc_lo
	s_wait_dscnt 0x0
	global_store_b64 v[24:25], v[5:6], off
	s_wait_alu 0xfffe
	s_or_b32 exec_lo, exec_lo, s15
	s_and_saveexec_b32 s15, s19
	s_cbranch_execz .LBB1020_300
.LBB1020_332:                           ;   in Loop: Header=BB1020_228 Depth=2
	v_lshlrev_b32_e32 v0, 2, v92
	v_add_nc_u32_e32 v5, v48, v49
	ds_load_b32 v0, v0
	ds_load_b64 v[5:6], v5 offset:11264
	s_wait_dscnt 0x1
	v_add_nc_u32_e32 v0, v0, v35
	s_delay_alu instid0(VALU_DEP_1) | instskip(NEXT) | instid1(VALU_DEP_1)
	v_lshlrev_b64_e32 v[24:25], 3, v[0:1]
	v_add_co_u32 v24, vcc_lo, s26, v24
	s_wait_alu 0xfffd
	s_delay_alu instid0(VALU_DEP_2)
	v_add_co_ci_u32_e64 v25, null, s27, v25, vcc_lo
	s_wait_dscnt 0x0
	global_store_b64 v[24:25], v[5:6], off
	s_wait_alu 0xfffe
	s_or_b32 exec_lo, exec_lo, s15
	s_and_saveexec_b32 s15, s20
	s_cbranch_execz .LBB1020_301
.LBB1020_333:                           ;   in Loop: Header=BB1020_228 Depth=2
	v_lshlrev_b32_e32 v0, 2, v91
	v_add_nc_u32_e32 v5, v48, v49
	ds_load_b32 v0, v0
	ds_load_b64 v[5:6], v5 offset:13312
	s_wait_dscnt 0x1
	v_add_nc_u32_e32 v0, v0, v36
	s_delay_alu instid0(VALU_DEP_1) | instskip(NEXT) | instid1(VALU_DEP_1)
	v_lshlrev_b64_e32 v[24:25], 3, v[0:1]
	v_add_co_u32 v24, vcc_lo, s26, v24
	s_wait_alu 0xfffd
	s_delay_alu instid0(VALU_DEP_2)
	v_add_co_ci_u32_e64 v25, null, s27, v25, vcc_lo
	s_wait_dscnt 0x0
	global_store_b64 v[24:25], v[5:6], off
	s_wait_alu 0xfffe
	s_or_b32 exec_lo, exec_lo, s15
	s_and_saveexec_b32 s15, s21
	s_cbranch_execnz .LBB1020_302
	s_branch .LBB1020_303
.LBB1020_334:                           ;   in Loop: Header=BB1020_228 Depth=2
	v_dual_mov_b32 v5, 0x7fff0000 :: v_dual_mov_b32 v6, v4
	v_dual_mov_b32 v7, v4 :: v_dual_mov_b32 v8, v4
	global_load_d16_b16 v5, v[24:25], off
	s_wait_alu 0xfffe
	s_or_b32 exec_lo, exec_lo, s15
	s_delay_alu instid0(SALU_CYCLE_1)
	s_mov_b32 s15, exec_lo
	v_cmpx_gt_u32_e64 s43, v71
	s_cbranch_execz .LBB1020_233
.LBB1020_335:                           ;   in Loop: Header=BB1020_228 Depth=2
	s_wait_loadcnt 0x0
	global_load_d16_hi_b16 v5, v[24:25], off offset:64
	s_wait_alu 0xfffe
	s_or_b32 exec_lo, exec_lo, s15
	s_delay_alu instid0(SALU_CYCLE_1)
	s_mov_b32 s15, exec_lo
	v_cmpx_gt_u32_e64 s43, v72
	s_cbranch_execz .LBB1020_234
.LBB1020_336:                           ;   in Loop: Header=BB1020_228 Depth=2
	global_load_d16_b16 v6, v[24:25], off offset:128
	s_wait_alu 0xfffe
	s_or_b32 exec_lo, exec_lo, s15
	s_delay_alu instid0(SALU_CYCLE_1)
	s_mov_b32 s15, exec_lo
	v_cmpx_gt_u32_e64 s43, v73
	s_cbranch_execz .LBB1020_235
.LBB1020_337:                           ;   in Loop: Header=BB1020_228 Depth=2
	s_wait_loadcnt 0x0
	global_load_d16_hi_b16 v6, v[24:25], off offset:192
	s_wait_alu 0xfffe
	s_or_b32 exec_lo, exec_lo, s15
	s_delay_alu instid0(SALU_CYCLE_1)
	s_mov_b32 s15, exec_lo
	v_cmpx_gt_u32_e64 s43, v74
	s_cbranch_execz .LBB1020_236
.LBB1020_338:                           ;   in Loop: Header=BB1020_228 Depth=2
	global_load_d16_b16 v7, v[24:25], off offset:256
	s_wait_alu 0xfffe
	s_or_b32 exec_lo, exec_lo, s15
	s_delay_alu instid0(SALU_CYCLE_1)
	s_mov_b32 s15, exec_lo
	v_cmpx_gt_u32_e64 s43, v75
	s_cbranch_execz .LBB1020_237
.LBB1020_339:                           ;   in Loop: Header=BB1020_228 Depth=2
	s_wait_loadcnt 0x0
	global_load_d16_hi_b16 v7, v[24:25], off offset:320
	s_wait_alu 0xfffe
	s_or_b32 exec_lo, exec_lo, s15
	s_delay_alu instid0(SALU_CYCLE_1)
	s_mov_b32 s15, exec_lo
	v_cmpx_gt_u32_e64 s43, v76
	s_cbranch_execnz .LBB1020_238
	s_branch .LBB1020_239
.LBB1020_340:                           ;   in Loop: Header=BB1020_12 Depth=1
	s_wait_loadcnt_dscnt 0x0
	s_barrier_signal -1
	s_barrier_wait -1
.LBB1020_341:                           ;   in Loop: Header=BB1020_12 Depth=1
	s_mov_b32 s0, 0
.LBB1020_342:                           ;   in Loop: Header=BB1020_12 Depth=1
	s_wait_alu 0xfffe
	s_and_not1_b32 vcc_lo, exec_lo, s0
	s_wait_alu 0xfffe
	s_cbranch_vccnz .LBB1020_11
; %bb.343:                              ;   in Loop: Header=BB1020_12 Depth=1
	s_and_b32 vcc_lo, exec_lo, s35
	s_mov_b32 s0, -1
	s_wait_alu 0xfffe
	s_cbranch_vccz .LBB1020_507
; %bb.344:                              ;   in Loop: Header=BB1020_12 Depth=1
	v_dual_mov_b32 v0, v1 :: v_dual_mov_b32 v3, v1
	v_mov_b32_e32 v2, v1
	s_mov_b32 s9, s47
	s_mov_b32 s30, s33
	s_barrier_signal -1
	s_delay_alu instid0(VALU_DEP_1)
	v_dual_mov_b32 v8, v3 :: v_dual_mov_b32 v7, v2
	v_dual_mov_b32 v6, v1 :: v_dual_mov_b32 v5, v0
	s_barrier_wait -1
	global_inv scope:SCOPE_SE
	s_branch .LBB1020_346
.LBB1020_345:                           ;   in Loop: Header=BB1020_346 Depth=2
	s_wait_alu 0xfffe
	s_or_b32 exec_lo, exec_lo, s0
	s_addk_co_i32 s9, 0xf800
	s_cmp_ge_u32 s10, s34
	s_mov_b32 s30, s10
	s_cbranch_scc1 .LBB1020_382
.LBB1020_346:                           ;   Parent Loop BB1020_12 Depth=1
                                        ; =>  This Inner Loop Header: Depth=2
	s_wait_alu 0xfffe
	s_add_co_i32 s10, s30, 0x800
	s_mov_b32 s0, -1
	s_wait_alu 0xfffe
	s_cmp_gt_u32 s10, s34
                                        ; implicit-def: $vgpr9_vgpr10_vgpr11_vgpr12
	s_cbranch_scc1 .LBB1020_348
; %bb.347:                              ;   in Loop: Header=BB1020_346 Depth=2
	s_lshl_b64 s[0:1], s[30:31], 1
	s_wait_alu 0xfffe
	v_add_co_u32 v2, vcc_lo, v56, s0
	s_wait_alu 0xfffd
	v_add_co_ci_u32_e64 v3, null, s1, v57, vcc_lo
	s_mov_b32 s0, 0
	s_clause 0x3
	global_load_u16 v9, v[2:3], off
	global_load_u16 v10, v[2:3], off offset:1024
	global_load_u16 v11, v[2:3], off offset:2048
	;; [unrolled: 1-line block ×3, first 2 shown]
	s_wait_loadcnt 0x3
	global_load_d16_hi_b16 v9, v[2:3], off offset:512
	s_wait_loadcnt 0x3
	global_load_d16_hi_b16 v10, v[2:3], off offset:1536
	;; [unrolled: 2-line block ×4, first 2 shown]
.LBB1020_348:                           ;   in Loop: Header=BB1020_346 Depth=2
	s_wait_alu 0xfffe
	s_and_not1_b32 vcc_lo, exec_lo, s0
	s_movk_i32 s0, 0x800
	s_wait_alu 0xfffe
	s_cbranch_vccnz .LBB1020_359
; %bb.349:                              ;   in Loop: Header=BB1020_346 Depth=2
	s_lshl_b64 s[0:1], s[30:31], 1
	s_mov_b32 s11, exec_lo
	s_wait_alu 0xfffe
	s_add_nc_u64 s[0:1], s[36:37], s[0:1]
	v_cmpx_gt_u32_e64 s9, v13
	s_cbranch_execnz .LBB1020_375
; %bb.350:                              ;   in Loop: Header=BB1020_346 Depth=2
	s_or_b32 exec_lo, exec_lo, s11
	s_delay_alu instid0(SALU_CYCLE_1)
	s_mov_b32 s11, exec_lo
	v_cmpx_gt_u32_e64 s9, v29
	s_cbranch_execnz .LBB1020_376
.LBB1020_351:                           ;   in Loop: Header=BB1020_346 Depth=2
	s_wait_alu 0xfffe
	s_or_b32 exec_lo, exec_lo, s11
	s_delay_alu instid0(SALU_CYCLE_1)
	s_mov_b32 s11, exec_lo
	v_cmpx_gt_u32_e64 s9, v30
	s_cbranch_execnz .LBB1020_377
.LBB1020_352:                           ;   in Loop: Header=BB1020_346 Depth=2
	s_wait_alu 0xfffe
	s_or_b32 exec_lo, exec_lo, s11
	s_delay_alu instid0(SALU_CYCLE_1)
	s_mov_b32 s11, exec_lo
	v_cmpx_gt_u32_e64 s9, v31
	s_cbranch_execnz .LBB1020_378
.LBB1020_353:                           ;   in Loop: Header=BB1020_346 Depth=2
	s_wait_alu 0xfffe
	s_or_b32 exec_lo, exec_lo, s11
	s_delay_alu instid0(SALU_CYCLE_1)
	s_mov_b32 s11, exec_lo
	v_cmpx_gt_u32_e64 s9, v34
	s_cbranch_execnz .LBB1020_379
.LBB1020_354:                           ;   in Loop: Header=BB1020_346 Depth=2
	s_wait_alu 0xfffe
	s_or_b32 exec_lo, exec_lo, s11
	s_delay_alu instid0(SALU_CYCLE_1)
	s_mov_b32 s11, exec_lo
	v_cmpx_gt_u32_e64 s9, v35
	s_cbranch_execnz .LBB1020_380
.LBB1020_355:                           ;   in Loop: Header=BB1020_346 Depth=2
	s_wait_alu 0xfffe
	s_or_b32 exec_lo, exec_lo, s11
	s_delay_alu instid0(SALU_CYCLE_1)
	s_mov_b32 s11, exec_lo
	v_cmpx_gt_u32_e64 s9, v36
	s_cbranch_execnz .LBB1020_381
.LBB1020_356:                           ;   in Loop: Header=BB1020_346 Depth=2
	s_wait_alu 0xfffe
	s_or_b32 exec_lo, exec_lo, s11
	s_delay_alu instid0(SALU_CYCLE_1)
	s_mov_b32 s11, exec_lo
	v_cmpx_gt_u32_e64 s9, v37
	s_cbranch_execz .LBB1020_358
.LBB1020_357:                           ;   in Loop: Header=BB1020_346 Depth=2
	s_wait_loadcnt 0x0
	global_load_d16_hi_b16 v8, v79, s[0:1] offset:3584
.LBB1020_358:                           ;   in Loop: Header=BB1020_346 Depth=2
	s_wait_alu 0xfffe
	s_or_b32 exec_lo, exec_lo, s11
	s_wait_loadcnt 0x0
	v_dual_mov_b32 v12, v8 :: v_dual_mov_b32 v11, v7
	v_dual_mov_b32 v10, v6 :: v_dual_mov_b32 v9, v5
	s_mov_b32 s0, s9
.LBB1020_359:                           ;   in Loop: Header=BB1020_346 Depth=2
	s_wait_loadcnt 0x0
	s_delay_alu instid0(VALU_DEP_1)
	v_dual_mov_b32 v5, v9 :: v_dual_mov_b32 v6, v10
	v_dual_mov_b32 v7, v11 :: v_dual_mov_b32 v8, v12
	s_mov_b32 s1, exec_lo
	s_wait_alu 0xfffe
	v_cmpx_gt_u32_e64 s0, v13
	s_cbranch_execnz .LBB1020_367
; %bb.360:                              ;   in Loop: Header=BB1020_346 Depth=2
	s_or_b32 exec_lo, exec_lo, s1
	s_delay_alu instid0(SALU_CYCLE_1)
	s_mov_b32 s1, exec_lo
	v_cmpx_gt_u32_e64 s0, v29
	s_cbranch_execnz .LBB1020_368
.LBB1020_361:                           ;   in Loop: Header=BB1020_346 Depth=2
	s_wait_alu 0xfffe
	s_or_b32 exec_lo, exec_lo, s1
	s_delay_alu instid0(SALU_CYCLE_1)
	s_mov_b32 s1, exec_lo
	v_cmpx_gt_u32_e64 s0, v30
	s_cbranch_execnz .LBB1020_369
.LBB1020_362:                           ;   in Loop: Header=BB1020_346 Depth=2
	s_wait_alu 0xfffe
	s_or_b32 exec_lo, exec_lo, s1
	s_delay_alu instid0(SALU_CYCLE_1)
	s_mov_b32 s1, exec_lo
	v_cmpx_gt_u32_e64 s0, v31
	s_cbranch_execnz .LBB1020_370
.LBB1020_363:                           ;   in Loop: Header=BB1020_346 Depth=2
	s_wait_alu 0xfffe
	s_or_b32 exec_lo, exec_lo, s1
	s_delay_alu instid0(SALU_CYCLE_1)
	s_mov_b32 s1, exec_lo
	v_cmpx_gt_u32_e64 s0, v34
	s_cbranch_execnz .LBB1020_371
.LBB1020_364:                           ;   in Loop: Header=BB1020_346 Depth=2
	s_wait_alu 0xfffe
	s_or_b32 exec_lo, exec_lo, s1
	s_delay_alu instid0(SALU_CYCLE_1)
	s_mov_b32 s1, exec_lo
	v_cmpx_gt_u32_e64 s0, v35
	s_cbranch_execnz .LBB1020_372
.LBB1020_365:                           ;   in Loop: Header=BB1020_346 Depth=2
	s_wait_alu 0xfffe
	s_or_b32 exec_lo, exec_lo, s1
	s_delay_alu instid0(SALU_CYCLE_1)
	s_mov_b32 s1, exec_lo
	v_cmpx_gt_u32_e64 s0, v36
	s_cbranch_execnz .LBB1020_373
.LBB1020_366:                           ;   in Loop: Header=BB1020_346 Depth=2
	s_wait_alu 0xfffe
	s_or_b32 exec_lo, exec_lo, s1
	v_cmp_gt_u32_e32 vcc_lo, s0, v37
	s_and_saveexec_b32 s0, vcc_lo
	s_cbranch_execz .LBB1020_345
	s_branch .LBB1020_374
.LBB1020_367:                           ;   in Loop: Header=BB1020_346 Depth=2
	v_xor_b32_e32 v0, 0xffff8000, v5
	s_delay_alu instid0(VALU_DEP_1) | instskip(NEXT) | instid1(VALU_DEP_1)
	v_and_b32_e32 v0, 0xffff, v0
	v_lshrrev_b32_e32 v0, s45, v0
	s_delay_alu instid0(VALU_DEP_1) | instskip(NEXT) | instid1(VALU_DEP_1)
	v_and_b32_e32 v0, s42, v0
	v_lshl_or_b32 v0, v0, 4, v39
	ds_add_u32 v0, v63
	s_or_b32 exec_lo, exec_lo, s1
	s_delay_alu instid0(SALU_CYCLE_1)
	s_mov_b32 s1, exec_lo
	v_cmpx_gt_u32_e64 s0, v29
	s_cbranch_execz .LBB1020_361
.LBB1020_368:                           ;   in Loop: Header=BB1020_346 Depth=2
	v_lshrrev_b32_e32 v0, 16, v5
	s_delay_alu instid0(VALU_DEP_1) | instskip(NEXT) | instid1(VALU_DEP_1)
	v_xor_b32_e32 v0, 0xffff8000, v0
	v_and_b32_e32 v0, 0xffff, v0
	s_delay_alu instid0(VALU_DEP_1) | instskip(NEXT) | instid1(VALU_DEP_1)
	v_lshrrev_b32_e32 v0, s45, v0
	v_and_b32_e32 v0, s42, v0
	s_delay_alu instid0(VALU_DEP_1) | instskip(SKIP_3) | instid1(SALU_CYCLE_1)
	v_lshl_or_b32 v0, v0, 4, v39
	ds_add_u32 v0, v63
	s_wait_alu 0xfffe
	s_or_b32 exec_lo, exec_lo, s1
	s_mov_b32 s1, exec_lo
	v_cmpx_gt_u32_e64 s0, v30
	s_cbranch_execz .LBB1020_362
.LBB1020_369:                           ;   in Loop: Header=BB1020_346 Depth=2
	v_xor_b32_e32 v0, 0xffff8000, v6
	s_delay_alu instid0(VALU_DEP_1) | instskip(NEXT) | instid1(VALU_DEP_1)
	v_and_b32_e32 v0, 0xffff, v0
	v_lshrrev_b32_e32 v0, s45, v0
	s_delay_alu instid0(VALU_DEP_1) | instskip(NEXT) | instid1(VALU_DEP_1)
	v_and_b32_e32 v0, s42, v0
	v_lshl_or_b32 v0, v0, 4, v39
	ds_add_u32 v0, v63
	s_wait_alu 0xfffe
	s_or_b32 exec_lo, exec_lo, s1
	s_delay_alu instid0(SALU_CYCLE_1)
	s_mov_b32 s1, exec_lo
	v_cmpx_gt_u32_e64 s0, v31
	s_cbranch_execz .LBB1020_363
.LBB1020_370:                           ;   in Loop: Header=BB1020_346 Depth=2
	v_lshrrev_b32_e32 v0, 16, v6
	s_delay_alu instid0(VALU_DEP_1) | instskip(NEXT) | instid1(VALU_DEP_1)
	v_xor_b32_e32 v0, 0xffff8000, v0
	v_and_b32_e32 v0, 0xffff, v0
	s_delay_alu instid0(VALU_DEP_1) | instskip(NEXT) | instid1(VALU_DEP_1)
	v_lshrrev_b32_e32 v0, s45, v0
	v_and_b32_e32 v0, s42, v0
	s_delay_alu instid0(VALU_DEP_1) | instskip(SKIP_3) | instid1(SALU_CYCLE_1)
	v_lshl_or_b32 v0, v0, 4, v39
	ds_add_u32 v0, v63
	s_wait_alu 0xfffe
	s_or_b32 exec_lo, exec_lo, s1
	s_mov_b32 s1, exec_lo
	v_cmpx_gt_u32_e64 s0, v34
	s_cbranch_execz .LBB1020_364
.LBB1020_371:                           ;   in Loop: Header=BB1020_346 Depth=2
	v_xor_b32_e32 v0, 0xffff8000, v7
	s_delay_alu instid0(VALU_DEP_1) | instskip(NEXT) | instid1(VALU_DEP_1)
	v_and_b32_e32 v0, 0xffff, v0
	v_lshrrev_b32_e32 v0, s45, v0
	s_delay_alu instid0(VALU_DEP_1) | instskip(NEXT) | instid1(VALU_DEP_1)
	v_and_b32_e32 v0, s42, v0
	v_lshl_or_b32 v0, v0, 4, v39
	ds_add_u32 v0, v63
	s_wait_alu 0xfffe
	s_or_b32 exec_lo, exec_lo, s1
	s_delay_alu instid0(SALU_CYCLE_1)
	s_mov_b32 s1, exec_lo
	v_cmpx_gt_u32_e64 s0, v35
	s_cbranch_execz .LBB1020_365
.LBB1020_372:                           ;   in Loop: Header=BB1020_346 Depth=2
	v_lshrrev_b32_e32 v0, 16, v7
	s_delay_alu instid0(VALU_DEP_1) | instskip(NEXT) | instid1(VALU_DEP_1)
	v_xor_b32_e32 v0, 0xffff8000, v0
	v_and_b32_e32 v0, 0xffff, v0
	s_delay_alu instid0(VALU_DEP_1) | instskip(NEXT) | instid1(VALU_DEP_1)
	v_lshrrev_b32_e32 v0, s45, v0
	v_and_b32_e32 v0, s42, v0
	s_delay_alu instid0(VALU_DEP_1) | instskip(SKIP_3) | instid1(SALU_CYCLE_1)
	v_lshl_or_b32 v0, v0, 4, v39
	ds_add_u32 v0, v63
	s_wait_alu 0xfffe
	s_or_b32 exec_lo, exec_lo, s1
	s_mov_b32 s1, exec_lo
	v_cmpx_gt_u32_e64 s0, v36
	s_cbranch_execz .LBB1020_366
.LBB1020_373:                           ;   in Loop: Header=BB1020_346 Depth=2
	v_xor_b32_e32 v0, 0xffff8000, v8
	s_delay_alu instid0(VALU_DEP_1) | instskip(NEXT) | instid1(VALU_DEP_1)
	v_and_b32_e32 v0, 0xffff, v0
	v_lshrrev_b32_e32 v0, s45, v0
	s_delay_alu instid0(VALU_DEP_1) | instskip(NEXT) | instid1(VALU_DEP_1)
	v_and_b32_e32 v0, s42, v0
	v_lshl_or_b32 v0, v0, 4, v39
	ds_add_u32 v0, v63
	s_wait_alu 0xfffe
	s_or_b32 exec_lo, exec_lo, s1
	v_cmp_gt_u32_e32 vcc_lo, s0, v37
	s_and_saveexec_b32 s0, vcc_lo
	s_cbranch_execz .LBB1020_345
.LBB1020_374:                           ;   in Loop: Header=BB1020_346 Depth=2
	v_lshrrev_b32_e32 v0, 16, v8
	s_delay_alu instid0(VALU_DEP_1) | instskip(NEXT) | instid1(VALU_DEP_1)
	v_xor_b32_e32 v0, 0xffff8000, v0
	v_and_b32_e32 v0, 0xffff, v0
	s_delay_alu instid0(VALU_DEP_1) | instskip(NEXT) | instid1(VALU_DEP_1)
	v_lshrrev_b32_e32 v0, s45, v0
	v_and_b32_e32 v0, s42, v0
	s_delay_alu instid0(VALU_DEP_1)
	v_lshl_or_b32 v0, v0, 4, v39
	ds_add_u32 v0, v63
	s_branch .LBB1020_345
.LBB1020_375:                           ;   in Loop: Header=BB1020_346 Depth=2
	global_load_d16_b16 v5, v79, s[0:1]
	s_or_b32 exec_lo, exec_lo, s11
	s_delay_alu instid0(SALU_CYCLE_1)
	s_mov_b32 s11, exec_lo
	v_cmpx_gt_u32_e64 s9, v29
	s_cbranch_execz .LBB1020_351
.LBB1020_376:                           ;   in Loop: Header=BB1020_346 Depth=2
	s_wait_loadcnt 0x0
	global_load_d16_hi_b16 v5, v79, s[0:1] offset:512
	s_wait_alu 0xfffe
	s_or_b32 exec_lo, exec_lo, s11
	s_delay_alu instid0(SALU_CYCLE_1)
	s_mov_b32 s11, exec_lo
	v_cmpx_gt_u32_e64 s9, v30
	s_cbranch_execz .LBB1020_352
.LBB1020_377:                           ;   in Loop: Header=BB1020_346 Depth=2
	global_load_d16_b16 v6, v79, s[0:1] offset:1024
	s_wait_alu 0xfffe
	s_or_b32 exec_lo, exec_lo, s11
	s_delay_alu instid0(SALU_CYCLE_1)
	s_mov_b32 s11, exec_lo
	v_cmpx_gt_u32_e64 s9, v31
	s_cbranch_execz .LBB1020_353
.LBB1020_378:                           ;   in Loop: Header=BB1020_346 Depth=2
	s_wait_loadcnt 0x0
	global_load_d16_hi_b16 v6, v79, s[0:1] offset:1536
	s_wait_alu 0xfffe
	s_or_b32 exec_lo, exec_lo, s11
	s_delay_alu instid0(SALU_CYCLE_1)
	s_mov_b32 s11, exec_lo
	v_cmpx_gt_u32_e64 s9, v34
	s_cbranch_execz .LBB1020_354
.LBB1020_379:                           ;   in Loop: Header=BB1020_346 Depth=2
	global_load_d16_b16 v7, v79, s[0:1] offset:2048
	s_wait_alu 0xfffe
	s_or_b32 exec_lo, exec_lo, s11
	s_delay_alu instid0(SALU_CYCLE_1)
	s_mov_b32 s11, exec_lo
	v_cmpx_gt_u32_e64 s9, v35
	s_cbranch_execz .LBB1020_355
.LBB1020_380:                           ;   in Loop: Header=BB1020_346 Depth=2
	s_wait_loadcnt 0x0
	global_load_d16_hi_b16 v7, v79, s[0:1] offset:2560
	s_wait_alu 0xfffe
	s_or_b32 exec_lo, exec_lo, s11
	s_delay_alu instid0(SALU_CYCLE_1)
	s_mov_b32 s11, exec_lo
	v_cmpx_gt_u32_e64 s9, v36
	s_cbranch_execz .LBB1020_356
.LBB1020_381:                           ;   in Loop: Header=BB1020_346 Depth=2
	global_load_d16_b16 v8, v79, s[0:1] offset:3072
	s_wait_alu 0xfffe
	s_or_b32 exec_lo, exec_lo, s11
	s_delay_alu instid0(SALU_CYCLE_1)
	s_mov_b32 s11, exec_lo
	v_cmpx_gt_u32_e64 s9, v37
	s_cbranch_execnz .LBB1020_357
	s_branch .LBB1020_358
.LBB1020_382:                           ;   in Loop: Header=BB1020_12 Depth=1
	v_mov_b32_e32 v0, 0
	s_wait_dscnt 0x0
	s_barrier_signal -1
	s_barrier_wait -1
	global_inv scope:SCOPE_SE
	s_and_saveexec_b32 s0, s2
	s_cbranch_execz .LBB1020_384
; %bb.383:                              ;   in Loop: Header=BB1020_12 Depth=1
	ds_load_2addr_b64 v[5:8], v40 offset1:1
	s_wait_dscnt 0x0
	v_add_nc_u32_e32 v0, v6, v5
	s_delay_alu instid0(VALU_DEP_1)
	v_add3_u32 v0, v0, v7, v8
.LBB1020_384:                           ;   in Loop: Header=BB1020_12 Depth=1
	s_wait_alu 0xfffe
	s_or_b32 exec_lo, exec_lo, s0
	s_delay_alu instid0(VALU_DEP_1)
	v_mov_b32_dpp v2, v0 row_shr:1 row_mask:0xf bank_mask:0xf
	v_cmp_eq_u32_e64 s0, 0, v64
	v_cmp_lt_u32_e64 s1, 1, v64
	v_cmp_lt_u32_e64 s9, 3, v64
	;; [unrolled: 1-line block ×3, first 2 shown]
	v_cmp_eq_u32_e64 s11, 0, v66
	s_wait_alu 0xf1ff
	v_cndmask_b32_e64 v2, v2, 0, s0
	s_delay_alu instid0(VALU_DEP_1) | instskip(NEXT) | instid1(VALU_DEP_1)
	v_add_nc_u32_e32 v0, v2, v0
	v_mov_b32_dpp v2, v0 row_shr:2 row_mask:0xf bank_mask:0xf
	s_delay_alu instid0(VALU_DEP_1) | instskip(NEXT) | instid1(VALU_DEP_1)
	v_cndmask_b32_e64 v2, 0, v2, s1
	v_add_nc_u32_e32 v0, v0, v2
	s_delay_alu instid0(VALU_DEP_1) | instskip(NEXT) | instid1(VALU_DEP_1)
	v_mov_b32_dpp v2, v0 row_shr:4 row_mask:0xf bank_mask:0xf
	v_cndmask_b32_e64 v2, 0, v2, s9
	s_delay_alu instid0(VALU_DEP_1) | instskip(NEXT) | instid1(VALU_DEP_1)
	v_add_nc_u32_e32 v0, v0, v2
	v_mov_b32_dpp v2, v0 row_shr:8 row_mask:0xf bank_mask:0xf
	s_delay_alu instid0(VALU_DEP_1) | instskip(NEXT) | instid1(VALU_DEP_1)
	v_cndmask_b32_e64 v2, 0, v2, s10
	v_add_nc_u32_e32 v0, v0, v2
	ds_swizzle_b32 v2, v0 offset:swizzle(BROADCAST,32,15)
	s_wait_dscnt 0x0
	v_and_b32_e32 v2, v65, v2
	s_delay_alu instid0(VALU_DEP_1)
	v_add_nc_u32_e32 v0, v0, v2
	s_and_saveexec_b32 s12, s3
; %bb.385:                              ;   in Loop: Header=BB1020_12 Depth=1
	ds_store_b32 v41, v0
; %bb.386:                              ;   in Loop: Header=BB1020_12 Depth=1
	s_wait_alu 0xfffe
	s_or_b32 exec_lo, exec_lo, s12
	s_wait_loadcnt_dscnt 0x0
	s_barrier_signal -1
	s_barrier_wait -1
	global_inv scope:SCOPE_SE
	s_and_saveexec_b32 s12, s4
	s_cbranch_execz .LBB1020_388
; %bb.387:                              ;   in Loop: Header=BB1020_12 Depth=1
	ds_load_b32 v2, v42
	v_cmp_ne_u32_e32 vcc_lo, 0, v68
	s_wait_dscnt 0x0
	v_mov_b32_dpp v3, v2 row_shr:1 row_mask:0xf bank_mask:0xf
	s_wait_alu 0xfffd
	s_delay_alu instid0(VALU_DEP_1) | instskip(SKIP_1) | instid1(VALU_DEP_2)
	v_cndmask_b32_e32 v3, 0, v3, vcc_lo
	v_cmp_lt_u32_e32 vcc_lo, 1, v68
	v_add_nc_u32_e32 v2, v3, v2
	s_delay_alu instid0(VALU_DEP_1) | instskip(SKIP_1) | instid1(VALU_DEP_1)
	v_mov_b32_dpp v3, v2 row_shr:2 row_mask:0xf bank_mask:0xf
	s_wait_alu 0xfffd
	v_cndmask_b32_e32 v3, 0, v3, vcc_lo
	v_cmp_lt_u32_e32 vcc_lo, 3, v68
	s_delay_alu instid0(VALU_DEP_2) | instskip(NEXT) | instid1(VALU_DEP_1)
	v_add_nc_u32_e32 v2, v2, v3
	v_mov_b32_dpp v3, v2 row_shr:4 row_mask:0xf bank_mask:0xf
	s_wait_alu 0xfffd
	s_delay_alu instid0(VALU_DEP_1) | instskip(NEXT) | instid1(VALU_DEP_1)
	v_cndmask_b32_e32 v3, 0, v3, vcc_lo
	v_add_nc_u32_e32 v2, v2, v3
	ds_store_b32 v42, v2
.LBB1020_388:                           ;   in Loop: Header=BB1020_12 Depth=1
	s_wait_alu 0xfffe
	s_or_b32 exec_lo, exec_lo, s12
	v_mov_b32_e32 v2, 0
	s_wait_loadcnt_dscnt 0x0
	s_barrier_signal -1
	s_barrier_wait -1
	global_inv scope:SCOPE_SE
	s_and_saveexec_b32 s12, s5
; %bb.389:                              ;   in Loop: Header=BB1020_12 Depth=1
	ds_load_b32 v2, v44
; %bb.390:                              ;   in Loop: Header=BB1020_12 Depth=1
	s_wait_alu 0xfffe
	s_or_b32 exec_lo, exec_lo, s12
	v_cmp_gt_i32_e32 vcc_lo, 0, v69
	s_wait_dscnt 0x0
	v_add_nc_u32_e32 v0, v2, v0
	s_wait_loadcnt 0x0
	s_barrier_signal -1
	s_barrier_wait -1
	s_wait_alu 0xfffd
	v_cndmask_b32_e32 v3, v69, v60, vcc_lo
	global_inv scope:SCOPE_SE
	v_lshlrev_b32_e32 v84, 2, v3
	ds_bpermute_b32 v0, v84, v0
	s_and_saveexec_b32 s12, s2
	s_cbranch_execz .LBB1020_392
; %bb.391:                              ;   in Loop: Header=BB1020_12 Depth=1
	s_wait_dscnt 0x0
	v_cndmask_b32_e64 v0, v0, v2, s8
	s_delay_alu instid0(VALU_DEP_1)
	v_add_nc_u32_e32 v0, s33, v0
	ds_store_b32 v28, v0
.LBB1020_392:                           ;   in Loop: Header=BB1020_12 Depth=1
	s_wait_alu 0xfffe
	s_or_b32 exec_lo, exec_lo, s12
	s_load_b64 s[12:13], s[28:29], 0x0
	v_add_co_u32 v85, vcc_lo, v58, v70
	s_wait_alu 0xfffd
	v_add_co_ci_u32_e64 v86, null, 0, v59, vcc_lo
	v_add_co_u32 v87, vcc_lo, v61, v78
	s_wait_alu 0xfffd
	v_add_co_ci_u32_e64 v88, null, 0, v62, vcc_lo
	s_mov_b32 s43, s47
                                        ; implicit-def: $vgpr9_vgpr10
                                        ; implicit-def: $vgpr11_vgpr12
                                        ; implicit-def: $vgpr16_vgpr17
                                        ; implicit-def: $vgpr18_vgpr19
                                        ; implicit-def: $vgpr20_vgpr21
                                        ; implicit-def: $vgpr22_vgpr23
                                        ; implicit-def: $vgpr90
                                        ; implicit-def: $vgpr91
                                        ; implicit-def: $vgpr92
                                        ; implicit-def: $vgpr93
                                        ; implicit-def: $vgpr94
                                        ; implicit-def: $vgpr95
                                        ; implicit-def: $vgpr96
                                        ; implicit-def: $vgpr97
	s_wait_kmcnt 0x0
	s_cmp_lt_u32 ttmp7, s13
	s_cselect_b32 s30, 14, 20
	s_cmp_lt_u32 ttmp9, s12
	s_wait_alu 0xfffe
	s_add_nc_u64 s[14:15], s[28:29], s[30:31]
	s_cselect_b32 s30, 12, 18
	s_load_u16 s14, s[14:15], 0x0
	s_add_nc_u64 s[12:13], s[28:29], s[30:31]
	s_mov_b32 s30, s33
	s_load_u16 s12, s[12:13], 0x0
	v_cmp_lt_u32_e64 s13, 1, v68
	s_wait_dscnt 0x0
	s_wait_kmcnt 0x0
	v_mad_u32_u24 v0, v45, s14, v46
	v_cmp_lt_u32_e64 s14, 3, v68
	s_delay_alu instid0(VALU_DEP_2) | instskip(SKIP_1) | instid1(VALU_DEP_2)
	v_mad_co_u64_u32 v[2:3], null, v0, s12, v[13:14]
	v_cmp_eq_u32_e64 s12, 0, v68
                                        ; implicit-def: $vgpr14_vgpr15
	v_lshrrev_b32_e32 v0, 3, v2
                                        ; implicit-def: $vgpr2_vgpr3
	s_delay_alu instid0(VALU_DEP_1)
	v_and_b32_e32 v89, 0x1ffffffc, v0
	s_branch .LBB1020_394
.LBB1020_393:                           ;   in Loop: Header=BB1020_394 Depth=2
	s_wait_alu 0xfffe
	s_or_b32 exec_lo, exec_lo, s15
	s_addk_co_i32 s43, 0xf800
	s_cmp_lt_u32 s44, s34
	s_mov_b32 s30, s44
	s_cbranch_scc0 .LBB1020_506
.LBB1020_394:                           ;   Parent Loop BB1020_12 Depth=1
                                        ; =>  This Inner Loop Header: Depth=2
	s_wait_alu 0xfffe
	s_add_co_i32 s44, s30, 0x800
	s_wait_alu 0xfffe
	s_cmp_gt_u32 s44, s34
	s_cbranch_scc1 .LBB1020_396
; %bb.395:                              ;   in Loop: Header=BB1020_394 Depth=2
	s_lshl_b64 s[16:17], s[30:31], 1
	s_mov_b32 s15, -1
	s_wait_alu 0xfffe
	v_add_co_u32 v24, vcc_lo, v87, s16
	s_wait_alu 0xfffd
	v_add_co_ci_u32_e64 v25, null, s17, v88, vcc_lo
	s_clause 0x3
	global_load_u16 v5, v[24:25], off
	global_load_u16 v6, v[24:25], off offset:128
	global_load_u16 v7, v[24:25], off offset:256
	global_load_d16_b16 v8, v[24:25], off offset:384
	s_wait_loadcnt 0x3
	global_load_d16_hi_b16 v5, v[24:25], off offset:64
	s_wait_loadcnt 0x3
	global_load_d16_hi_b16 v6, v[24:25], off offset:192
	;; [unrolled: 2-line block ×3, first 2 shown]
	s_movk_i32 s16, 0x800
	s_cbranch_execz .LBB1020_397
	s_branch .LBB1020_406
.LBB1020_396:                           ;   in Loop: Header=BB1020_394 Depth=2
	s_mov_b32 s15, 0
                                        ; implicit-def: $vgpr5_vgpr6_vgpr7_vgpr8
	s_movk_i32 s16, 0x800
.LBB1020_397:                           ;   in Loop: Header=BB1020_394 Depth=2
	s_wait_loadcnt 0x0
	v_mov_b32_e32 v7, v4
	s_lshl_b64 s[16:17], s[30:31], 1
	v_dual_mov_b32 v5, v4 :: v_dual_mov_b32 v6, v4
	s_wait_alu 0xfffe
	v_add_co_u32 v24, vcc_lo, v87, s16
	v_mov_b32_e32 v8, v7
	s_wait_alu 0xfffd
	v_add_co_ci_u32_e64 v25, null, s17, v88, vcc_lo
	v_mov_b32_e32 v7, v6
	v_mov_b32_e32 v6, v5
	;; [unrolled: 1-line block ×3, first 2 shown]
	s_mov_b32 s15, exec_lo
	v_cmpx_gt_u32_e64 s43, v67
	s_cbranch_execnz .LBB1020_500
; %bb.398:                              ;   in Loop: Header=BB1020_394 Depth=2
	s_wait_alu 0xfffe
	s_or_b32 exec_lo, exec_lo, s15
	s_delay_alu instid0(SALU_CYCLE_1)
	s_mov_b32 s15, exec_lo
	v_cmpx_gt_u32_e64 s43, v71
	s_cbranch_execnz .LBB1020_501
.LBB1020_399:                           ;   in Loop: Header=BB1020_394 Depth=2
	s_wait_alu 0xfffe
	s_or_b32 exec_lo, exec_lo, s15
	s_delay_alu instid0(SALU_CYCLE_1)
	s_mov_b32 s15, exec_lo
	v_cmpx_gt_u32_e64 s43, v72
	s_cbranch_execnz .LBB1020_502
.LBB1020_400:                           ;   in Loop: Header=BB1020_394 Depth=2
	s_wait_alu 0xfffe
	s_or_b32 exec_lo, exec_lo, s15
	s_delay_alu instid0(SALU_CYCLE_1)
	s_mov_b32 s15, exec_lo
	v_cmpx_gt_u32_e64 s43, v73
	s_cbranch_execnz .LBB1020_503
.LBB1020_401:                           ;   in Loop: Header=BB1020_394 Depth=2
	s_wait_alu 0xfffe
	s_or_b32 exec_lo, exec_lo, s15
	s_delay_alu instid0(SALU_CYCLE_1)
	s_mov_b32 s15, exec_lo
	v_cmpx_gt_u32_e64 s43, v74
	s_cbranch_execnz .LBB1020_504
.LBB1020_402:                           ;   in Loop: Header=BB1020_394 Depth=2
	s_wait_alu 0xfffe
	s_or_b32 exec_lo, exec_lo, s15
	s_delay_alu instid0(SALU_CYCLE_1)
	s_mov_b32 s15, exec_lo
	v_cmpx_gt_u32_e64 s43, v75
	s_cbranch_execnz .LBB1020_505
.LBB1020_403:                           ;   in Loop: Header=BB1020_394 Depth=2
	s_wait_alu 0xfffe
	s_or_b32 exec_lo, exec_lo, s15
	s_delay_alu instid0(SALU_CYCLE_1)
	s_mov_b32 s15, exec_lo
	v_cmpx_gt_u32_e64 s43, v76
	s_cbranch_execz .LBB1020_405
.LBB1020_404:                           ;   in Loop: Header=BB1020_394 Depth=2
	global_load_d16_b16 v8, v[24:25], off offset:384
.LBB1020_405:                           ;   in Loop: Header=BB1020_394 Depth=2
	s_wait_alu 0xfffe
	s_or_b32 exec_lo, exec_lo, s15
	v_cmp_gt_u32_e64 s15, s43, v77
	s_sub_co_i32 s16, s34, s30
.LBB1020_406:                           ;   in Loop: Header=BB1020_394 Depth=2
	v_mov_b32_e32 v98, s43
	s_and_saveexec_b32 s17, s15
	s_cbranch_execz .LBB1020_408
; %bb.407:                              ;   in Loop: Header=BB1020_394 Depth=2
	s_lshl_b64 s[18:19], s[30:31], 1
	s_wait_alu 0xfffe
	v_mov_b32_e32 v98, s16
	v_add_co_u32 v24, vcc_lo, v87, s18
	s_wait_alu 0xfffd
	v_add_co_ci_u32_e64 v25, null, s19, v88, vcc_lo
	s_wait_loadcnt 0x0
	global_load_d16_hi_b16 v8, v[24:25], off offset:448
.LBB1020_408:                           ;   in Loop: Header=BB1020_394 Depth=2
	s_wait_alu 0xfffe
	s_or_b32 exec_lo, exec_lo, s17
	s_wait_loadcnt 0x0
	v_xor_b32_e32 v0, 0xffff8000, v5
	s_delay_alu instid0(VALU_DEP_1) | instskip(NEXT) | instid1(VALU_DEP_1)
	v_and_b32_e32 v24, 0xffff, v0
	v_lshrrev_b32_e32 v24, s45, v24
	s_delay_alu instid0(VALU_DEP_1) | instskip(NEXT) | instid1(VALU_DEP_1)
	v_and_b32_e32 v25, s42, v24
	v_and_b32_e32 v24, 1, v25
	v_lshlrev_b32_e32 v26, 30, v25
	v_lshlrev_b32_e32 v27, 29, v25
	v_lshlrev_b32_e32 v99, 28, v25
	v_lshlrev_b32_e32 v101, 27, v25
	v_add_co_u32 v24, s15, v24, -1
	s_wait_alu 0xf1ff
	v_cndmask_b32_e64 v100, 0, 1, s15
	v_not_b32_e32 v104, v26
	v_cmp_gt_i32_e64 s15, 0, v26
	v_not_b32_e32 v26, v27
	v_lshlrev_b32_e32 v102, 26, v25
	v_cmp_ne_u32_e32 vcc_lo, 0, v100
	v_ashrrev_i32_e32 v104, 31, v104
	v_lshlrev_b32_e32 v103, 25, v25
	v_ashrrev_i32_e32 v26, 31, v26
	v_lshlrev_b32_e32 v100, 24, v25
	s_wait_alu 0xfffd
	v_xor_b32_e32 v24, vcc_lo, v24
	v_cmp_gt_i32_e32 vcc_lo, 0, v27
	v_not_b32_e32 v27, v99
	s_wait_alu 0xf1ff
	v_xor_b32_e32 v104, s15, v104
	v_cmp_gt_i32_e64 s15, 0, v99
	v_and_b32_e32 v24, exec_lo, v24
	v_not_b32_e32 v99, v101
	v_ashrrev_i32_e32 v27, 31, v27
	s_wait_alu 0xfffd
	v_xor_b32_e32 v26, vcc_lo, v26
	v_cmp_gt_i32_e32 vcc_lo, 0, v101
	v_and_b32_e32 v24, v24, v104
	v_not_b32_e32 v101, v102
	v_ashrrev_i32_e32 v99, 31, v99
	s_wait_alu 0xf1ff
	v_xor_b32_e32 v27, s15, v27
	v_cmp_gt_i32_e64 s15, 0, v102
	v_and_b32_e32 v24, v24, v26
	v_not_b32_e32 v26, v103
	v_ashrrev_i32_e32 v101, 31, v101
	s_wait_alu 0xfffd
	v_xor_b32_e32 v99, vcc_lo, v99
	v_cmp_gt_i32_e32 vcc_lo, 0, v103
	v_and_b32_e32 v24, v24, v27
	v_not_b32_e32 v27, v100
	v_ashrrev_i32_e32 v26, 31, v26
	s_wait_alu 0xf1ff
	v_xor_b32_e32 v101, s15, v101
	v_cmp_gt_i32_e64 s15, 0, v100
	v_and_b32_e32 v24, v24, v99
	v_ashrrev_i32_e32 v27, 31, v27
	s_wait_alu 0xfffd
	v_xor_b32_e32 v26, vcc_lo, v26
	v_mul_u32_u24_e32 v25, 36, v25
	v_add_nc_u32_e32 v102, 0x420, v43
	v_and_b32_e32 v24, v24, v101
	s_wait_alu 0xf1ff
	v_xor_b32_e32 v27, s15, v27
	v_add_nc_u32_e32 v101, 0x438, v43
	v_add_nc_u32_e32 v103, 0x428, v43
	;; [unrolled: 1-line block ×3, first 2 shown]
	v_and_b32_e32 v24, v24, v26
	v_add_nc_u32_e32 v105, v89, v25
	ds_store_2addr_b32 v101, v1, v1 offset1:1
	ds_store_2addr_b32 v102, v1, v1 offset1:1
	;; [unrolled: 1-line block ×4, first 2 shown]
	ds_store_b32 v43, v1 offset:1088
	s_wait_dscnt 0x0
	v_and_b32_e32 v24, v24, v27
	s_barrier_signal -1
	s_barrier_wait -1
	global_inv scope:SCOPE_SE
	v_mbcnt_lo_u32_b32 v99, v24, 0
	v_cmp_ne_u32_e64 s15, 0, v24
	; wave barrier
	s_delay_alu instid0(VALU_DEP_2)
	v_cmp_eq_u32_e32 vcc_lo, 0, v99
	s_and_b32 s16, s15, vcc_lo
	s_wait_alu 0xfffe
	s_and_saveexec_b32 s15, s16
; %bb.409:                              ;   in Loop: Header=BB1020_394 Depth=2
	v_bcnt_u32_b32 v24, v24, 0
	ds_store_b32 v105, v24 offset:1056
; %bb.410:                              ;   in Loop: Header=BB1020_394 Depth=2
	s_wait_alu 0xfffe
	s_or_b32 exec_lo, exec_lo, s15
	v_lshrrev_b32_e32 v5, 16, v5
	; wave barrier
	s_delay_alu instid0(VALU_DEP_1) | instskip(NEXT) | instid1(VALU_DEP_1)
	v_xor_b32_e32 v100, 0xffff8000, v5
	v_and_b32_e32 v5, 0xffff, v100
	s_delay_alu instid0(VALU_DEP_1) | instskip(NEXT) | instid1(VALU_DEP_1)
	v_lshrrev_b32_e32 v5, s45, v5
	v_and_b32_e32 v24, s42, v5
	s_delay_alu instid0(VALU_DEP_1)
	v_and_b32_e32 v5, 1, v24
	v_lshlrev_b32_e32 v25, 30, v24
	v_lshlrev_b32_e32 v26, 29, v24
	;; [unrolled: 1-line block ×4, first 2 shown]
	v_add_co_u32 v5, s15, v5, -1
	s_wait_alu 0xf1ff
	v_cndmask_b32_e64 v106, 0, 1, s15
	v_not_b32_e32 v110, v25
	v_cmp_gt_i32_e64 s15, 0, v25
	v_not_b32_e32 v25, v26
	v_lshlrev_b32_e32 v108, 26, v24
	v_cmp_ne_u32_e32 vcc_lo, 0, v106
	v_ashrrev_i32_e32 v110, 31, v110
	v_lshlrev_b32_e32 v109, 25, v24
	v_ashrrev_i32_e32 v25, 31, v25
	v_lshlrev_b32_e32 v106, 24, v24
	s_wait_alu 0xfffd
	v_xor_b32_e32 v5, vcc_lo, v5
	v_cmp_gt_i32_e32 vcc_lo, 0, v26
	v_not_b32_e32 v26, v27
	s_wait_alu 0xf1ff
	v_xor_b32_e32 v110, s15, v110
	v_cmp_gt_i32_e64 s15, 0, v27
	v_and_b32_e32 v5, exec_lo, v5
	v_not_b32_e32 v27, v107
	v_ashrrev_i32_e32 v26, 31, v26
	s_wait_alu 0xfffd
	v_xor_b32_e32 v25, vcc_lo, v25
	v_cmp_gt_i32_e32 vcc_lo, 0, v107
	v_and_b32_e32 v5, v5, v110
	v_not_b32_e32 v107, v108
	v_ashrrev_i32_e32 v27, 31, v27
	s_wait_alu 0xf1ff
	v_xor_b32_e32 v26, s15, v26
	v_cmp_gt_i32_e64 s15, 0, v108
	v_and_b32_e32 v5, v5, v25
	v_not_b32_e32 v25, v109
	v_ashrrev_i32_e32 v107, 31, v107
	s_wait_alu 0xfffd
	v_xor_b32_e32 v27, vcc_lo, v27
	v_cmp_gt_i32_e32 vcc_lo, 0, v109
	v_and_b32_e32 v5, v5, v26
	v_not_b32_e32 v26, v106
	v_ashrrev_i32_e32 v25, 31, v25
	s_wait_alu 0xf1ff
	v_xor_b32_e32 v107, s15, v107
	v_cmp_gt_i32_e64 s15, 0, v106
	v_and_b32_e32 v5, v5, v27
	v_ashrrev_i32_e32 v26, 31, v26
	s_wait_alu 0xfffd
	v_xor_b32_e32 v25, vcc_lo, v25
	v_mad_u32_u24 v27, v24, 36, v89
	v_mul_u32_u24_e32 v24, 36, v24
	v_and_b32_e32 v5, v5, v107
	s_wait_alu 0xf1ff
	v_xor_b32_e32 v26, s15, v26
	ds_load_b32 v106, v27 offset:1056
	v_add_nc_u32_e32 v109, v89, v24
	v_and_b32_e32 v5, v5, v25
	; wave barrier
	s_delay_alu instid0(VALU_DEP_1) | instskip(NEXT) | instid1(VALU_DEP_1)
	v_and_b32_e32 v5, v5, v26
	v_mbcnt_lo_u32_b32 v107, v5, 0
	v_cmp_ne_u32_e64 s15, 0, v5
	s_delay_alu instid0(VALU_DEP_2)
	v_cmp_eq_u32_e32 vcc_lo, 0, v107
	s_and_b32 s16, s15, vcc_lo
	s_wait_alu 0xfffe
	s_and_saveexec_b32 s15, s16
	s_cbranch_execz .LBB1020_412
; %bb.411:                              ;   in Loop: Header=BB1020_394 Depth=2
	s_wait_dscnt 0x0
	v_bcnt_u32_b32 v5, v5, v106
	ds_store_b32 v109, v5 offset:1056
.LBB1020_412:                           ;   in Loop: Header=BB1020_394 Depth=2
	s_wait_alu 0xfffe
	s_or_b32 exec_lo, exec_lo, s15
	v_xor_b32_e32 v108, 0xffff8000, v6
	; wave barrier
	s_delay_alu instid0(VALU_DEP_1) | instskip(NEXT) | instid1(VALU_DEP_1)
	v_and_b32_e32 v5, 0xffff, v108
	v_lshrrev_b32_e32 v5, s45, v5
	s_delay_alu instid0(VALU_DEP_1) | instskip(NEXT) | instid1(VALU_DEP_1)
	v_and_b32_e32 v24, s42, v5
	v_and_b32_e32 v5, 1, v24
	v_lshlrev_b32_e32 v25, 30, v24
	v_lshlrev_b32_e32 v26, 29, v24
	;; [unrolled: 1-line block ×4, first 2 shown]
	v_add_co_u32 v5, s15, v5, -1
	s_wait_alu 0xf1ff
	v_cndmask_b32_e64 v110, 0, 1, s15
	v_not_b32_e32 v114, v25
	v_cmp_gt_i32_e64 s15, 0, v25
	v_not_b32_e32 v25, v26
	v_lshlrev_b32_e32 v112, 26, v24
	v_cmp_ne_u32_e32 vcc_lo, 0, v110
	v_ashrrev_i32_e32 v114, 31, v114
	v_lshlrev_b32_e32 v113, 25, v24
	v_ashrrev_i32_e32 v25, 31, v25
	v_lshlrev_b32_e32 v110, 24, v24
	s_wait_alu 0xfffd
	v_xor_b32_e32 v5, vcc_lo, v5
	v_cmp_gt_i32_e32 vcc_lo, 0, v26
	v_not_b32_e32 v26, v27
	s_wait_alu 0xf1ff
	v_xor_b32_e32 v114, s15, v114
	v_cmp_gt_i32_e64 s15, 0, v27
	v_and_b32_e32 v5, exec_lo, v5
	v_not_b32_e32 v27, v111
	v_ashrrev_i32_e32 v26, 31, v26
	s_wait_alu 0xfffd
	v_xor_b32_e32 v25, vcc_lo, v25
	v_cmp_gt_i32_e32 vcc_lo, 0, v111
	v_and_b32_e32 v5, v5, v114
	v_not_b32_e32 v111, v112
	v_ashrrev_i32_e32 v27, 31, v27
	s_wait_alu 0xf1ff
	v_xor_b32_e32 v26, s15, v26
	v_cmp_gt_i32_e64 s15, 0, v112
	v_and_b32_e32 v5, v5, v25
	v_not_b32_e32 v25, v113
	v_ashrrev_i32_e32 v111, 31, v111
	s_wait_alu 0xfffd
	v_xor_b32_e32 v27, vcc_lo, v27
	v_cmp_gt_i32_e32 vcc_lo, 0, v113
	v_and_b32_e32 v5, v5, v26
	v_not_b32_e32 v26, v110
	v_ashrrev_i32_e32 v25, 31, v25
	s_wait_alu 0xf1ff
	v_xor_b32_e32 v111, s15, v111
	v_cmp_gt_i32_e64 s15, 0, v110
	v_and_b32_e32 v5, v5, v27
	v_ashrrev_i32_e32 v26, 31, v26
	s_wait_alu 0xfffd
	v_xor_b32_e32 v25, vcc_lo, v25
	v_mad_u32_u24 v27, v24, 36, v89
	v_mul_u32_u24_e32 v24, 36, v24
	v_and_b32_e32 v5, v5, v111
	s_wait_alu 0xf1ff
	v_xor_b32_e32 v26, s15, v26
	ds_load_b32 v110, v27 offset:1056
	v_add_nc_u32_e32 v113, v89, v24
	v_and_b32_e32 v5, v5, v25
	; wave barrier
	s_delay_alu instid0(VALU_DEP_1) | instskip(NEXT) | instid1(VALU_DEP_1)
	v_and_b32_e32 v5, v5, v26
	v_mbcnt_lo_u32_b32 v112, v5, 0
	v_cmp_ne_u32_e64 s15, 0, v5
	s_delay_alu instid0(VALU_DEP_2)
	v_cmp_eq_u32_e32 vcc_lo, 0, v112
	s_and_b32 s16, s15, vcc_lo
	s_wait_alu 0xfffe
	s_and_saveexec_b32 s15, s16
	s_cbranch_execz .LBB1020_414
; %bb.413:                              ;   in Loop: Header=BB1020_394 Depth=2
	s_wait_dscnt 0x0
	v_bcnt_u32_b32 v5, v5, v110
	ds_store_b32 v113, v5 offset:1056
.LBB1020_414:                           ;   in Loop: Header=BB1020_394 Depth=2
	s_wait_alu 0xfffe
	s_or_b32 exec_lo, exec_lo, s15
	v_lshrrev_b32_e32 v5, 16, v6
	; wave barrier
	s_delay_alu instid0(VALU_DEP_1) | instskip(NEXT) | instid1(VALU_DEP_1)
	v_xor_b32_e32 v111, 0xffff8000, v5
	v_and_b32_e32 v5, 0xffff, v111
	s_delay_alu instid0(VALU_DEP_1) | instskip(NEXT) | instid1(VALU_DEP_1)
	v_lshrrev_b32_e32 v5, s45, v5
	v_and_b32_e32 v6, s42, v5
	s_delay_alu instid0(VALU_DEP_1)
	v_and_b32_e32 v5, 1, v6
	v_lshlrev_b32_e32 v24, 30, v6
	v_lshlrev_b32_e32 v25, 29, v6
	;; [unrolled: 1-line block ×4, first 2 shown]
	v_add_co_u32 v5, s15, v5, -1
	s_wait_alu 0xf1ff
	v_cndmask_b32_e64 v27, 0, 1, s15
	v_not_b32_e32 v117, v24
	v_cmp_gt_i32_e64 s15, 0, v24
	v_not_b32_e32 v24, v25
	v_lshlrev_b32_e32 v115, 26, v6
	v_cmp_ne_u32_e32 vcc_lo, 0, v27
	v_ashrrev_i32_e32 v117, 31, v117
	v_lshlrev_b32_e32 v116, 25, v6
	v_ashrrev_i32_e32 v24, 31, v24
	v_lshlrev_b32_e32 v27, 24, v6
	s_wait_alu 0xfffd
	v_xor_b32_e32 v5, vcc_lo, v5
	v_cmp_gt_i32_e32 vcc_lo, 0, v25
	v_not_b32_e32 v25, v26
	s_wait_alu 0xf1ff
	v_xor_b32_e32 v117, s15, v117
	v_cmp_gt_i32_e64 s15, 0, v26
	v_and_b32_e32 v5, exec_lo, v5
	v_not_b32_e32 v26, v114
	v_ashrrev_i32_e32 v25, 31, v25
	s_wait_alu 0xfffd
	v_xor_b32_e32 v24, vcc_lo, v24
	v_cmp_gt_i32_e32 vcc_lo, 0, v114
	v_and_b32_e32 v5, v5, v117
	v_not_b32_e32 v114, v115
	v_ashrrev_i32_e32 v26, 31, v26
	s_wait_alu 0xf1ff
	v_xor_b32_e32 v25, s15, v25
	v_cmp_gt_i32_e64 s15, 0, v115
	v_and_b32_e32 v5, v5, v24
	v_not_b32_e32 v24, v116
	v_ashrrev_i32_e32 v114, 31, v114
	s_wait_alu 0xfffd
	v_xor_b32_e32 v26, vcc_lo, v26
	v_cmp_gt_i32_e32 vcc_lo, 0, v116
	v_and_b32_e32 v5, v5, v25
	v_not_b32_e32 v25, v27
	v_ashrrev_i32_e32 v24, 31, v24
	s_wait_alu 0xf1ff
	v_xor_b32_e32 v114, s15, v114
	v_cmp_gt_i32_e64 s15, 0, v27
	v_and_b32_e32 v5, v5, v26
	v_ashrrev_i32_e32 v25, 31, v25
	s_wait_alu 0xfffd
	v_xor_b32_e32 v24, vcc_lo, v24
	v_mad_u32_u24 v26, v6, 36, v89
	v_mul_u32_u24_e32 v6, 36, v6
	v_and_b32_e32 v5, v5, v114
	s_wait_alu 0xf1ff
	v_xor_b32_e32 v25, s15, v25
	ds_load_b32 v114, v26 offset:1056
	v_add_nc_u32_e32 v117, v89, v6
	v_and_b32_e32 v5, v5, v24
	; wave barrier
	s_delay_alu instid0(VALU_DEP_1) | instskip(NEXT) | instid1(VALU_DEP_1)
	v_and_b32_e32 v5, v5, v25
	v_mbcnt_lo_u32_b32 v116, v5, 0
	v_cmp_ne_u32_e64 s15, 0, v5
	s_delay_alu instid0(VALU_DEP_2)
	v_cmp_eq_u32_e32 vcc_lo, 0, v116
	s_and_b32 s16, s15, vcc_lo
	s_wait_alu 0xfffe
	s_and_saveexec_b32 s15, s16
	s_cbranch_execz .LBB1020_416
; %bb.415:                              ;   in Loop: Header=BB1020_394 Depth=2
	s_wait_dscnt 0x0
	v_bcnt_u32_b32 v5, v5, v114
	ds_store_b32 v117, v5 offset:1056
.LBB1020_416:                           ;   in Loop: Header=BB1020_394 Depth=2
	s_wait_alu 0xfffe
	s_or_b32 exec_lo, exec_lo, s15
	v_xor_b32_e32 v115, 0xffff8000, v7
	; wave barrier
	s_delay_alu instid0(VALU_DEP_1) | instskip(NEXT) | instid1(VALU_DEP_1)
	v_and_b32_e32 v5, 0xffff, v115
	v_lshrrev_b32_e32 v5, s45, v5
	s_delay_alu instid0(VALU_DEP_1) | instskip(NEXT) | instid1(VALU_DEP_1)
	v_and_b32_e32 v6, s42, v5
	v_and_b32_e32 v5, 1, v6
	v_lshlrev_b32_e32 v24, 30, v6
	v_lshlrev_b32_e32 v25, 29, v6
	;; [unrolled: 1-line block ×4, first 2 shown]
	v_add_co_u32 v5, s15, v5, -1
	s_wait_alu 0xf1ff
	v_cndmask_b32_e64 v27, 0, 1, s15
	v_not_b32_e32 v121, v24
	v_cmp_gt_i32_e64 s15, 0, v24
	v_not_b32_e32 v24, v25
	v_lshlrev_b32_e32 v119, 26, v6
	v_cmp_ne_u32_e32 vcc_lo, 0, v27
	v_ashrrev_i32_e32 v121, 31, v121
	v_lshlrev_b32_e32 v120, 25, v6
	v_ashrrev_i32_e32 v24, 31, v24
	v_lshlrev_b32_e32 v27, 24, v6
	s_wait_alu 0xfffd
	v_xor_b32_e32 v5, vcc_lo, v5
	v_cmp_gt_i32_e32 vcc_lo, 0, v25
	v_not_b32_e32 v25, v26
	s_wait_alu 0xf1ff
	v_xor_b32_e32 v121, s15, v121
	v_cmp_gt_i32_e64 s15, 0, v26
	v_and_b32_e32 v5, exec_lo, v5
	v_not_b32_e32 v26, v118
	v_ashrrev_i32_e32 v25, 31, v25
	s_wait_alu 0xfffd
	v_xor_b32_e32 v24, vcc_lo, v24
	v_cmp_gt_i32_e32 vcc_lo, 0, v118
	v_and_b32_e32 v5, v5, v121
	v_not_b32_e32 v118, v119
	v_ashrrev_i32_e32 v26, 31, v26
	s_wait_alu 0xf1ff
	v_xor_b32_e32 v25, s15, v25
	v_cmp_gt_i32_e64 s15, 0, v119
	v_and_b32_e32 v5, v5, v24
	v_not_b32_e32 v24, v120
	v_ashrrev_i32_e32 v118, 31, v118
	s_wait_alu 0xfffd
	v_xor_b32_e32 v26, vcc_lo, v26
	v_cmp_gt_i32_e32 vcc_lo, 0, v120
	v_and_b32_e32 v5, v5, v25
	v_not_b32_e32 v25, v27
	v_ashrrev_i32_e32 v24, 31, v24
	s_wait_alu 0xf1ff
	v_xor_b32_e32 v118, s15, v118
	v_cmp_gt_i32_e64 s15, 0, v27
	v_and_b32_e32 v5, v5, v26
	v_ashrrev_i32_e32 v25, 31, v25
	s_wait_alu 0xfffd
	v_xor_b32_e32 v24, vcc_lo, v24
	v_mad_u32_u24 v26, v6, 36, v89
	v_mul_u32_u24_e32 v6, 36, v6
	v_and_b32_e32 v5, v5, v118
	s_wait_alu 0xf1ff
	v_xor_b32_e32 v25, s15, v25
	ds_load_b32 v118, v26 offset:1056
	v_add_nc_u32_e32 v121, v89, v6
	v_and_b32_e32 v5, v5, v24
	; wave barrier
	s_delay_alu instid0(VALU_DEP_1) | instskip(NEXT) | instid1(VALU_DEP_1)
	v_and_b32_e32 v5, v5, v25
	v_mbcnt_lo_u32_b32 v120, v5, 0
	v_cmp_ne_u32_e64 s15, 0, v5
	s_delay_alu instid0(VALU_DEP_2)
	v_cmp_eq_u32_e32 vcc_lo, 0, v120
	s_and_b32 s16, s15, vcc_lo
	s_wait_alu 0xfffe
	s_and_saveexec_b32 s15, s16
	s_cbranch_execz .LBB1020_418
; %bb.417:                              ;   in Loop: Header=BB1020_394 Depth=2
	s_wait_dscnt 0x0
	v_bcnt_u32_b32 v5, v5, v118
	ds_store_b32 v121, v5 offset:1056
.LBB1020_418:                           ;   in Loop: Header=BB1020_394 Depth=2
	s_wait_alu 0xfffe
	s_or_b32 exec_lo, exec_lo, s15
	v_lshrrev_b32_e32 v5, 16, v7
	; wave barrier
	s_delay_alu instid0(VALU_DEP_1) | instskip(NEXT) | instid1(VALU_DEP_1)
	v_xor_b32_e32 v119, 0xffff8000, v5
	v_and_b32_e32 v5, 0xffff, v119
	s_delay_alu instid0(VALU_DEP_1) | instskip(NEXT) | instid1(VALU_DEP_1)
	v_lshrrev_b32_e32 v5, s45, v5
	v_and_b32_e32 v6, s42, v5
	s_delay_alu instid0(VALU_DEP_1)
	v_and_b32_e32 v5, 1, v6
	v_lshlrev_b32_e32 v7, 30, v6
	v_lshlrev_b32_e32 v24, 29, v6
	;; [unrolled: 1-line block ×4, first 2 shown]
	v_add_co_u32 v5, s15, v5, -1
	s_wait_alu 0xf1ff
	v_cndmask_b32_e64 v26, 0, 1, s15
	v_not_b32_e32 v124, v7
	v_cmp_gt_i32_e64 s15, 0, v7
	v_not_b32_e32 v7, v24
	v_lshlrev_b32_e32 v122, 26, v6
	v_cmp_ne_u32_e32 vcc_lo, 0, v26
	v_ashrrev_i32_e32 v124, 31, v124
	v_lshlrev_b32_e32 v123, 25, v6
	v_ashrrev_i32_e32 v7, 31, v7
	v_lshlrev_b32_e32 v26, 24, v6
	s_wait_alu 0xfffd
	v_xor_b32_e32 v5, vcc_lo, v5
	v_cmp_gt_i32_e32 vcc_lo, 0, v24
	v_not_b32_e32 v24, v25
	s_wait_alu 0xf1ff
	v_xor_b32_e32 v124, s15, v124
	v_cmp_gt_i32_e64 s15, 0, v25
	v_and_b32_e32 v5, exec_lo, v5
	v_not_b32_e32 v25, v27
	v_ashrrev_i32_e32 v24, 31, v24
	s_wait_alu 0xfffd
	v_xor_b32_e32 v7, vcc_lo, v7
	v_cmp_gt_i32_e32 vcc_lo, 0, v27
	v_and_b32_e32 v5, v5, v124
	v_not_b32_e32 v27, v122
	v_ashrrev_i32_e32 v25, 31, v25
	s_wait_alu 0xf1ff
	v_xor_b32_e32 v24, s15, v24
	v_cmp_gt_i32_e64 s15, 0, v122
	v_and_b32_e32 v5, v5, v7
	v_not_b32_e32 v7, v123
	v_ashrrev_i32_e32 v27, 31, v27
	s_wait_alu 0xfffd
	v_xor_b32_e32 v25, vcc_lo, v25
	v_cmp_gt_i32_e32 vcc_lo, 0, v123
	v_and_b32_e32 v5, v5, v24
	v_not_b32_e32 v24, v26
	v_ashrrev_i32_e32 v7, 31, v7
	s_wait_alu 0xf1ff
	v_xor_b32_e32 v27, s15, v27
	v_cmp_gt_i32_e64 s15, 0, v26
	v_and_b32_e32 v5, v5, v25
	v_ashrrev_i32_e32 v24, 31, v24
	s_wait_alu 0xfffd
	v_xor_b32_e32 v7, vcc_lo, v7
	v_mad_u32_u24 v25, v6, 36, v89
	v_mul_u32_u24_e32 v6, 36, v6
	v_and_b32_e32 v5, v5, v27
	s_wait_alu 0xf1ff
	v_xor_b32_e32 v24, s15, v24
	ds_load_b32 v122, v25 offset:1056
	v_add_nc_u32_e32 v125, v89, v6
	v_and_b32_e32 v5, v5, v7
	; wave barrier
	s_delay_alu instid0(VALU_DEP_1) | instskip(NEXT) | instid1(VALU_DEP_1)
	v_and_b32_e32 v5, v5, v24
	v_mbcnt_lo_u32_b32 v124, v5, 0
	v_cmp_ne_u32_e64 s15, 0, v5
	s_delay_alu instid0(VALU_DEP_2)
	v_cmp_eq_u32_e32 vcc_lo, 0, v124
	s_and_b32 s16, s15, vcc_lo
	s_wait_alu 0xfffe
	s_and_saveexec_b32 s15, s16
	s_cbranch_execz .LBB1020_420
; %bb.419:                              ;   in Loop: Header=BB1020_394 Depth=2
	s_wait_dscnt 0x0
	v_bcnt_u32_b32 v5, v5, v122
	ds_store_b32 v125, v5 offset:1056
.LBB1020_420:                           ;   in Loop: Header=BB1020_394 Depth=2
	s_wait_alu 0xfffe
	s_or_b32 exec_lo, exec_lo, s15
	v_xor_b32_e32 v123, 0xffff8000, v8
	; wave barrier
	s_delay_alu instid0(VALU_DEP_1) | instskip(NEXT) | instid1(VALU_DEP_1)
	v_and_b32_e32 v5, 0xffff, v123
	v_lshrrev_b32_e32 v5, s45, v5
	s_delay_alu instid0(VALU_DEP_1) | instskip(NEXT) | instid1(VALU_DEP_1)
	v_and_b32_e32 v6, s42, v5
	v_and_b32_e32 v5, 1, v6
	v_lshlrev_b32_e32 v7, 30, v6
	v_lshlrev_b32_e32 v24, 29, v6
	v_lshlrev_b32_e32 v25, 28, v6
	v_lshlrev_b32_e32 v27, 27, v6
	v_add_co_u32 v5, s15, v5, -1
	s_wait_alu 0xf1ff
	v_cndmask_b32_e64 v26, 0, 1, s15
	v_not_b32_e32 v128, v7
	v_cmp_gt_i32_e64 s15, 0, v7
	v_not_b32_e32 v7, v24
	v_lshlrev_b32_e32 v126, 26, v6
	v_cmp_ne_u32_e32 vcc_lo, 0, v26
	v_ashrrev_i32_e32 v128, 31, v128
	v_lshlrev_b32_e32 v127, 25, v6
	v_ashrrev_i32_e32 v7, 31, v7
	v_lshlrev_b32_e32 v26, 24, v6
	s_wait_alu 0xfffd
	v_xor_b32_e32 v5, vcc_lo, v5
	v_cmp_gt_i32_e32 vcc_lo, 0, v24
	v_not_b32_e32 v24, v25
	s_wait_alu 0xf1ff
	v_xor_b32_e32 v128, s15, v128
	v_cmp_gt_i32_e64 s15, 0, v25
	v_and_b32_e32 v5, exec_lo, v5
	v_not_b32_e32 v25, v27
	v_ashrrev_i32_e32 v24, 31, v24
	s_wait_alu 0xfffd
	v_xor_b32_e32 v7, vcc_lo, v7
	v_cmp_gt_i32_e32 vcc_lo, 0, v27
	v_and_b32_e32 v5, v5, v128
	v_not_b32_e32 v27, v126
	v_ashrrev_i32_e32 v25, 31, v25
	s_wait_alu 0xf1ff
	v_xor_b32_e32 v24, s15, v24
	v_cmp_gt_i32_e64 s15, 0, v126
	v_and_b32_e32 v5, v5, v7
	v_not_b32_e32 v7, v127
	v_ashrrev_i32_e32 v27, 31, v27
	s_wait_alu 0xfffd
	v_xor_b32_e32 v25, vcc_lo, v25
	v_cmp_gt_i32_e32 vcc_lo, 0, v127
	v_and_b32_e32 v5, v5, v24
	v_not_b32_e32 v24, v26
	v_ashrrev_i32_e32 v7, 31, v7
	s_wait_alu 0xf1ff
	v_xor_b32_e32 v27, s15, v27
	v_cmp_gt_i32_e64 s15, 0, v26
	v_and_b32_e32 v5, v5, v25
	v_ashrrev_i32_e32 v24, 31, v24
	s_wait_alu 0xfffd
	v_xor_b32_e32 v7, vcc_lo, v7
	v_mad_u32_u24 v25, v6, 36, v89
	v_mul_u32_u24_e32 v6, 36, v6
	v_and_b32_e32 v5, v5, v27
	s_wait_alu 0xf1ff
	v_xor_b32_e32 v24, s15, v24
	ds_load_b32 v126, v25 offset:1056
	v_add_nc_u32_e32 v129, v89, v6
	v_and_b32_e32 v5, v5, v7
	; wave barrier
	s_delay_alu instid0(VALU_DEP_1) | instskip(NEXT) | instid1(VALU_DEP_1)
	v_and_b32_e32 v5, v5, v24
	v_mbcnt_lo_u32_b32 v127, v5, 0
	v_cmp_ne_u32_e64 s15, 0, v5
	s_delay_alu instid0(VALU_DEP_2)
	v_cmp_eq_u32_e32 vcc_lo, 0, v127
	s_and_b32 s16, s15, vcc_lo
	s_wait_alu 0xfffe
	s_and_saveexec_b32 s15, s16
	s_cbranch_execz .LBB1020_422
; %bb.421:                              ;   in Loop: Header=BB1020_394 Depth=2
	s_wait_dscnt 0x0
	v_bcnt_u32_b32 v5, v5, v126
	ds_store_b32 v129, v5 offset:1056
.LBB1020_422:                           ;   in Loop: Header=BB1020_394 Depth=2
	s_wait_alu 0xfffe
	s_or_b32 exec_lo, exec_lo, s15
	v_lshrrev_b32_e32 v5, 16, v8
	; wave barrier
	s_delay_alu instid0(VALU_DEP_1) | instskip(NEXT) | instid1(VALU_DEP_1)
	v_xor_b32_e32 v128, 0xffff8000, v5
	v_and_b32_e32 v5, 0xffff, v128
	s_delay_alu instid0(VALU_DEP_1) | instskip(NEXT) | instid1(VALU_DEP_1)
	v_lshrrev_b32_e32 v5, s45, v5
	v_and_b32_e32 v6, s42, v5
	s_delay_alu instid0(VALU_DEP_1)
	v_and_b32_e32 v5, 1, v6
	v_lshlrev_b32_e32 v7, 30, v6
	v_lshlrev_b32_e32 v8, 29, v6
	;; [unrolled: 1-line block ×4, first 2 shown]
	v_add_co_u32 v5, s15, v5, -1
	s_wait_alu 0xf1ff
	v_cndmask_b32_e64 v25, 0, 1, s15
	v_not_b32_e32 v131, v7
	v_cmp_gt_i32_e64 s15, 0, v7
	v_not_b32_e32 v7, v8
	v_lshlrev_b32_e32 v27, 26, v6
	v_cmp_ne_u32_e32 vcc_lo, 0, v25
	v_ashrrev_i32_e32 v131, 31, v131
	v_lshlrev_b32_e32 v130, 25, v6
	v_ashrrev_i32_e32 v7, 31, v7
	v_lshlrev_b32_e32 v25, 24, v6
	s_wait_alu 0xfffd
	v_xor_b32_e32 v5, vcc_lo, v5
	v_cmp_gt_i32_e32 vcc_lo, 0, v8
	v_not_b32_e32 v8, v24
	s_wait_alu 0xf1ff
	v_xor_b32_e32 v131, s15, v131
	v_cmp_gt_i32_e64 s15, 0, v24
	v_and_b32_e32 v5, exec_lo, v5
	v_not_b32_e32 v24, v26
	v_ashrrev_i32_e32 v8, 31, v8
	s_wait_alu 0xfffd
	v_xor_b32_e32 v7, vcc_lo, v7
	v_cmp_gt_i32_e32 vcc_lo, 0, v26
	v_and_b32_e32 v5, v5, v131
	v_not_b32_e32 v26, v27
	v_ashrrev_i32_e32 v24, 31, v24
	s_wait_alu 0xf1ff
	v_xor_b32_e32 v8, s15, v8
	v_cmp_gt_i32_e64 s15, 0, v27
	v_and_b32_e32 v5, v5, v7
	v_not_b32_e32 v7, v130
	v_ashrrev_i32_e32 v26, 31, v26
	s_wait_alu 0xfffd
	v_xor_b32_e32 v24, vcc_lo, v24
	v_cmp_gt_i32_e32 vcc_lo, 0, v130
	v_and_b32_e32 v5, v5, v8
	v_not_b32_e32 v8, v25
	v_ashrrev_i32_e32 v7, 31, v7
	s_wait_alu 0xf1ff
	v_xor_b32_e32 v26, s15, v26
	v_cmp_gt_i32_e64 s15, 0, v25
	v_and_b32_e32 v5, v5, v24
	v_ashrrev_i32_e32 v8, 31, v8
	s_wait_alu 0xfffd
	v_xor_b32_e32 v7, vcc_lo, v7
	v_mad_u32_u24 v24, v6, 36, v89
	v_mul_u32_u24_e32 v6, 36, v6
	v_and_b32_e32 v5, v5, v26
	s_wait_alu 0xf1ff
	v_xor_b32_e32 v8, s15, v8
	ds_load_b32 v130, v24 offset:1056
	v_add_nc_u32_e32 v132, v89, v6
	v_and_b32_e32 v5, v5, v7
	; wave barrier
	s_delay_alu instid0(VALU_DEP_1) | instskip(NEXT) | instid1(VALU_DEP_1)
	v_and_b32_e32 v5, v5, v8
	v_mbcnt_lo_u32_b32 v131, v5, 0
	v_cmp_ne_u32_e64 s15, 0, v5
	s_delay_alu instid0(VALU_DEP_2)
	v_cmp_eq_u32_e32 vcc_lo, 0, v131
	s_and_b32 s16, s15, vcc_lo
	s_wait_alu 0xfffe
	s_and_saveexec_b32 s15, s16
	s_cbranch_execz .LBB1020_424
; %bb.423:                              ;   in Loop: Header=BB1020_394 Depth=2
	s_wait_dscnt 0x0
	v_bcnt_u32_b32 v5, v5, v130
	ds_store_b32 v132, v5 offset:1056
.LBB1020_424:                           ;   in Loop: Header=BB1020_394 Depth=2
	s_wait_alu 0xfffe
	s_or_b32 exec_lo, exec_lo, s15
	; wave barrier
	s_wait_loadcnt_dscnt 0x0
	s_barrier_signal -1
	s_barrier_wait -1
	global_inv scope:SCOPE_SE
	ds_load_2addr_b32 v[26:27], v102 offset1:1
	ds_load_2addr_b32 v[24:25], v103 offset1:1
	;; [unrolled: 1-line block ×4, first 2 shown]
	ds_load_b32 v133, v43 offset:1088
	s_wait_dscnt 0x3
	v_add3_u32 v134, v27, v26, v24
	s_wait_dscnt 0x2
	s_delay_alu instid0(VALU_DEP_1) | instskip(SKIP_1) | instid1(VALU_DEP_1)
	v_add3_u32 v134, v134, v25, v7
	s_wait_dscnt 0x1
	v_add3_u32 v134, v134, v8, v5
	s_wait_dscnt 0x0
	s_delay_alu instid0(VALU_DEP_1) | instskip(NEXT) | instid1(VALU_DEP_1)
	v_add3_u32 v133, v134, v6, v133
	v_mov_b32_dpp v134, v133 row_shr:1 row_mask:0xf bank_mask:0xf
	s_delay_alu instid0(VALU_DEP_1) | instskip(NEXT) | instid1(VALU_DEP_1)
	v_cndmask_b32_e64 v134, v134, 0, s0
	v_add_nc_u32_e32 v133, v134, v133
	s_delay_alu instid0(VALU_DEP_1) | instskip(NEXT) | instid1(VALU_DEP_1)
	v_mov_b32_dpp v134, v133 row_shr:2 row_mask:0xf bank_mask:0xf
	v_cndmask_b32_e64 v134, 0, v134, s1
	s_delay_alu instid0(VALU_DEP_1) | instskip(NEXT) | instid1(VALU_DEP_1)
	v_add_nc_u32_e32 v133, v133, v134
	v_mov_b32_dpp v134, v133 row_shr:4 row_mask:0xf bank_mask:0xf
	s_delay_alu instid0(VALU_DEP_1) | instskip(NEXT) | instid1(VALU_DEP_1)
	v_cndmask_b32_e64 v134, 0, v134, s9
	v_add_nc_u32_e32 v133, v133, v134
	s_delay_alu instid0(VALU_DEP_1) | instskip(NEXT) | instid1(VALU_DEP_1)
	v_mov_b32_dpp v134, v133 row_shr:8 row_mask:0xf bank_mask:0xf
	v_cndmask_b32_e64 v134, 0, v134, s10
	s_delay_alu instid0(VALU_DEP_1) | instskip(SKIP_3) | instid1(VALU_DEP_1)
	v_add_nc_u32_e32 v133, v133, v134
	ds_swizzle_b32 v134, v133 offset:swizzle(BROADCAST,32,15)
	s_wait_dscnt 0x0
	v_cndmask_b32_e64 v134, v134, 0, s11
	v_add_nc_u32_e32 v133, v133, v134
	s_and_saveexec_b32 s15, s3
; %bb.425:                              ;   in Loop: Header=BB1020_394 Depth=2
	ds_store_b32 v38, v133 offset:1024
; %bb.426:                              ;   in Loop: Header=BB1020_394 Depth=2
	s_wait_alu 0xfffe
	s_or_b32 exec_lo, exec_lo, s15
	s_wait_loadcnt_dscnt 0x0
	s_barrier_signal -1
	s_barrier_wait -1
	global_inv scope:SCOPE_SE
	s_and_saveexec_b32 s15, s4
	s_cbranch_execz .LBB1020_428
; %bb.427:                              ;   in Loop: Header=BB1020_394 Depth=2
	ds_load_b32 v134, v47 offset:1024
	s_wait_dscnt 0x0
	v_mov_b32_dpp v135, v134 row_shr:1 row_mask:0xf bank_mask:0xf
	s_delay_alu instid0(VALU_DEP_1) | instskip(NEXT) | instid1(VALU_DEP_1)
	v_cndmask_b32_e64 v135, v135, 0, s12
	v_add_nc_u32_e32 v134, v135, v134
	s_delay_alu instid0(VALU_DEP_1) | instskip(NEXT) | instid1(VALU_DEP_1)
	v_mov_b32_dpp v135, v134 row_shr:2 row_mask:0xf bank_mask:0xf
	v_cndmask_b32_e64 v135, 0, v135, s13
	s_delay_alu instid0(VALU_DEP_1) | instskip(NEXT) | instid1(VALU_DEP_1)
	v_add_nc_u32_e32 v134, v134, v135
	v_mov_b32_dpp v135, v134 row_shr:4 row_mask:0xf bank_mask:0xf
	s_delay_alu instid0(VALU_DEP_1) | instskip(NEXT) | instid1(VALU_DEP_1)
	v_cndmask_b32_e64 v135, 0, v135, s14
	v_add_nc_u32_e32 v134, v134, v135
	ds_store_b32 v47, v134 offset:1024
.LBB1020_428:                           ;   in Loop: Header=BB1020_394 Depth=2
	s_wait_alu 0xfffe
	s_or_b32 exec_lo, exec_lo, s15
	v_mov_b32_e32 v134, 0
	s_wait_loadcnt_dscnt 0x0
	s_barrier_signal -1
	s_barrier_wait -1
	global_inv scope:SCOPE_SE
	s_and_saveexec_b32 s15, s5
; %bb.429:                              ;   in Loop: Header=BB1020_394 Depth=2
	ds_load_b32 v134, v38 offset:1020
; %bb.430:                              ;   in Loop: Header=BB1020_394 Depth=2
	s_wait_alu 0xfffe
	s_or_b32 exec_lo, exec_lo, s15
	s_wait_dscnt 0x0
	v_add_nc_u32_e32 v133, v134, v133
	ds_bpermute_b32 v133, v84, v133
	s_wait_dscnt 0x0
	v_cndmask_b32_e64 v133, v133, v134, s8
	s_delay_alu instid0(VALU_DEP_1) | instskip(NEXT) | instid1(VALU_DEP_1)
	v_cndmask_b32_e64 v133, v133, 0, s6
	v_add_nc_u32_e32 v26, v133, v26
	s_delay_alu instid0(VALU_DEP_1) | instskip(NEXT) | instid1(VALU_DEP_1)
	v_add_nc_u32_e32 v27, v26, v27
	v_add_nc_u32_e32 v24, v27, v24
	s_delay_alu instid0(VALU_DEP_1) | instskip(NEXT) | instid1(VALU_DEP_1)
	v_add_nc_u32_e32 v25, v24, v25
	;; [unrolled: 3-line block ×3, first 2 shown]
	v_add_nc_u32_e32 v5, v8, v5
	s_delay_alu instid0(VALU_DEP_1)
	v_add_nc_u32_e32 v6, v5, v6
	ds_store_2addr_b32 v101, v8, v5 offset1:1
	ds_store_2addr_b32 v102, v133, v26 offset1:1
	;; [unrolled: 1-line block ×4, first 2 shown]
	ds_store_b32 v43, v6 offset:1088
	s_wait_loadcnt_dscnt 0x0
	s_barrier_signal -1
	s_barrier_wait -1
	global_inv scope:SCOPE_SE
	ds_load_b32 v8, v105 offset:1056
	ds_load_b32 v24, v109 offset:1056
	;; [unrolled: 1-line block ×9, first 2 shown]
	v_mov_b32_e32 v7, 0x800
	s_and_saveexec_b32 s15, s7
; %bb.431:                              ;   in Loop: Header=BB1020_394 Depth=2
	ds_load_b32 v7, v43 offset:1092
; %bb.432:                              ;   in Loop: Header=BB1020_394 Depth=2
	s_wait_alu 0xfffe
	s_or_b32 exec_lo, exec_lo, s15
	s_wait_loadcnt_dscnt 0x0
	s_barrier_signal -1
	s_barrier_wait -1
	global_inv scope:SCOPE_SE
	s_and_saveexec_b32 s15, s2
	s_cbranch_execz .LBB1020_434
; %bb.433:                              ;   in Loop: Header=BB1020_394 Depth=2
	ds_load_b32 v102, v28
	s_wait_dscnt 0x0
	v_sub_nc_u32_e32 v101, v102, v101
	ds_store_b32 v28, v101
.LBB1020_434:                           ;   in Loop: Header=BB1020_394 Depth=2
	s_wait_alu 0xfffe
	s_or_b32 exec_lo, exec_lo, s15
	v_add_nc_u32_e32 v102, v8, v99
	v_add3_u32 v101, v107, v106, v24
	v_add3_u32 v99, v112, v110, v25
	v_add3_u32 v25, v116, v114, v26
	v_add3_u32 v8, v124, v122, v103
	v_lshlrev_b32_e32 v103, 1, v102
	v_add3_u32 v24, v120, v118, v27
	v_lshlrev_b32_e32 v104, 1, v101
	v_lshlrev_b32_e32 v105, 1, v99
	v_add3_u32 v27, v127, v126, v5
	v_add3_u32 v26, v131, v130, v6
	ds_store_b16 v103, v0 offset:1024
	ds_store_b16 v104, v100 offset:1024
	;; [unrolled: 1-line block ×3, first 2 shown]
	v_lshlrev_b32_e32 v0, 1, v25
	v_cmp_lt_u32_e32 vcc_lo, v13, v98
	v_lshlrev_b32_e32 v5, 1, v24
	v_lshlrev_b32_e32 v6, 1, v8
	;; [unrolled: 1-line block ×4, first 2 shown]
	ds_store_b16 v0, v111 offset:1024
	ds_store_b16 v5, v115 offset:1024
	;; [unrolled: 1-line block ×5, first 2 shown]
	s_wait_loadcnt_dscnt 0x0
	s_barrier_signal -1
	s_barrier_wait -1
	global_inv scope:SCOPE_SE
	s_and_saveexec_b32 s16, vcc_lo
	s_cbranch_execnz .LBB1020_471
; %bb.435:                              ;   in Loop: Header=BB1020_394 Depth=2
	s_wait_alu 0xfffe
	s_or_b32 exec_lo, exec_lo, s16
	v_cmp_lt_u32_e64 s15, v29, v98
	s_and_saveexec_b32 s17, s15
	s_cbranch_execnz .LBB1020_472
.LBB1020_436:                           ;   in Loop: Header=BB1020_394 Depth=2
	s_wait_alu 0xfffe
	s_or_b32 exec_lo, exec_lo, s17
	v_cmp_lt_u32_e64 s16, v30, v98
	s_and_saveexec_b32 s18, s16
	s_cbranch_execnz .LBB1020_473
.LBB1020_437:                           ;   in Loop: Header=BB1020_394 Depth=2
	s_wait_alu 0xfffe
	s_or_b32 exec_lo, exec_lo, s18
	v_cmp_lt_u32_e64 s17, v31, v98
	s_and_saveexec_b32 s19, s17
	s_cbranch_execnz .LBB1020_474
.LBB1020_438:                           ;   in Loop: Header=BB1020_394 Depth=2
	s_wait_alu 0xfffe
	s_or_b32 exec_lo, exec_lo, s19
	v_cmp_lt_u32_e64 s18, v34, v98
	s_and_saveexec_b32 s20, s18
	s_cbranch_execnz .LBB1020_475
.LBB1020_439:                           ;   in Loop: Header=BB1020_394 Depth=2
	s_wait_alu 0xfffe
	s_or_b32 exec_lo, exec_lo, s20
	v_cmp_lt_u32_e64 s19, v35, v98
	s_and_saveexec_b32 s21, s19
	s_cbranch_execnz .LBB1020_476
.LBB1020_440:                           ;   in Loop: Header=BB1020_394 Depth=2
	s_wait_alu 0xfffe
	s_or_b32 exec_lo, exec_lo, s21
	v_cmp_lt_u32_e64 s20, v36, v98
	s_and_saveexec_b32 s22, s20
	s_cbranch_execnz .LBB1020_477
.LBB1020_441:                           ;   in Loop: Header=BB1020_394 Depth=2
	s_wait_alu 0xfffe
	s_or_b32 exec_lo, exec_lo, s22
	v_cmp_lt_u32_e64 s21, v37, v98
	s_and_saveexec_b32 s48, s21
	s_cbranch_execz .LBB1020_443
.LBB1020_442:                           ;   in Loop: Header=BB1020_394 Depth=2
	ds_load_u16 v100, v48 offset:4608
	s_wait_dscnt 0x0
	v_and_b32_e32 v0, 0xffff, v100
	s_delay_alu instid0(VALU_DEP_1) | instskip(NEXT) | instid1(VALU_DEP_1)
	v_lshrrev_b32_e32 v0, s45, v0
	v_and_b32_e32 v0, s42, v0
	s_delay_alu instid0(VALU_DEP_1) | instskip(SKIP_3) | instid1(VALU_DEP_1)
	v_lshlrev_b32_e32 v0, 2, v0
	ds_load_b32 v0, v0
	s_wait_dscnt 0x0
	v_add_nc_u32_e32 v0, v0, v37
	v_lshlrev_b64_e32 v[5:6], 1, v[0:1]
	v_xor_b32_e32 v0, 0xffff8000, v100
	s_delay_alu instid0(VALU_DEP_2) | instskip(SKIP_1) | instid1(VALU_DEP_3)
	v_add_co_u32 v5, s22, s38, v5
	s_wait_alu 0xf1ff
	v_add_co_ci_u32_e64 v6, null, s39, v6, s22
	global_store_b16 v[5:6], v0, off
.LBB1020_443:                           ;   in Loop: Header=BB1020_394 Depth=2
	s_wait_alu 0xfffe
	s_or_b32 exec_lo, exec_lo, s48
	s_lshl_b64 s[48:49], s[30:31], 3
	s_wait_alu 0xfffe
	v_add_co_u32 v5, s22, v85, s48
	s_wait_alu 0xf1ff
	v_add_co_ci_u32_e64 v6, null, s49, v86, s22
	v_cmp_lt_u32_e64 s22, v67, v98
	s_and_saveexec_b32 s30, s22
	s_wait_alu 0xfffe
	s_xor_b32 s22, exec_lo, s30
	s_cbranch_execnz .LBB1020_478
; %bb.444:                              ;   in Loop: Header=BB1020_394 Depth=2
	s_wait_alu 0xfffe
	s_or_b32 exec_lo, exec_lo, s22
	s_delay_alu instid0(SALU_CYCLE_1)
	s_mov_b32 s30, exec_lo
	v_cmpx_lt_u32_e64 v71, v98
	s_cbranch_execnz .LBB1020_479
.LBB1020_445:                           ;   in Loop: Header=BB1020_394 Depth=2
	s_wait_alu 0xfffe
	s_or_b32 exec_lo, exec_lo, s30
	s_delay_alu instid0(SALU_CYCLE_1)
	s_mov_b32 s30, exec_lo
	v_cmpx_lt_u32_e64 v72, v98
	s_cbranch_execnz .LBB1020_480
.LBB1020_446:                           ;   in Loop: Header=BB1020_394 Depth=2
	s_wait_alu 0xfffe
	s_or_b32 exec_lo, exec_lo, s30
	s_delay_alu instid0(SALU_CYCLE_1)
	s_mov_b32 s30, exec_lo
	v_cmpx_lt_u32_e64 v73, v98
	s_cbranch_execnz .LBB1020_481
.LBB1020_447:                           ;   in Loop: Header=BB1020_394 Depth=2
	s_wait_alu 0xfffe
	s_or_b32 exec_lo, exec_lo, s30
	s_delay_alu instid0(SALU_CYCLE_1)
	s_mov_b32 s30, exec_lo
	v_cmpx_lt_u32_e64 v74, v98
	s_cbranch_execnz .LBB1020_482
.LBB1020_448:                           ;   in Loop: Header=BB1020_394 Depth=2
	s_wait_alu 0xfffe
	s_or_b32 exec_lo, exec_lo, s30
	s_delay_alu instid0(SALU_CYCLE_1)
	s_mov_b32 s30, exec_lo
	v_cmpx_lt_u32_e64 v75, v98
	s_cbranch_execnz .LBB1020_483
.LBB1020_449:                           ;   in Loop: Header=BB1020_394 Depth=2
	s_wait_alu 0xfffe
	s_or_b32 exec_lo, exec_lo, s30
	s_delay_alu instid0(SALU_CYCLE_1)
	s_mov_b32 s30, exec_lo
	v_cmpx_lt_u32_e64 v76, v98
	s_cbranch_execnz .LBB1020_484
.LBB1020_450:                           ;   in Loop: Header=BB1020_394 Depth=2
	s_wait_alu 0xfffe
	s_or_b32 exec_lo, exec_lo, s30
	s_delay_alu instid0(SALU_CYCLE_1)
	s_mov_b32 s30, exec_lo
	v_cmpx_lt_u32_e64 v77, v98
	s_cbranch_execnz .LBB1020_485
.LBB1020_451:                           ;   in Loop: Header=BB1020_394 Depth=2
	s_wait_alu 0xfffe
	s_or_b32 exec_lo, exec_lo, s30
	s_and_saveexec_b32 s22, vcc_lo
	s_cbranch_execnz .LBB1020_486
.LBB1020_452:                           ;   in Loop: Header=BB1020_394 Depth=2
	s_wait_alu 0xfffe
	s_or_b32 exec_lo, exec_lo, s22
	s_and_saveexec_b32 s22, s15
	s_cbranch_execnz .LBB1020_487
.LBB1020_453:                           ;   in Loop: Header=BB1020_394 Depth=2
	s_wait_alu 0xfffe
	s_or_b32 exec_lo, exec_lo, s22
	s_and_saveexec_b32 s22, s16
	s_cbranch_execnz .LBB1020_488
.LBB1020_454:                           ;   in Loop: Header=BB1020_394 Depth=2
	s_wait_alu 0xfffe
	s_or_b32 exec_lo, exec_lo, s22
	s_and_saveexec_b32 s22, s17
	s_cbranch_execnz .LBB1020_489
.LBB1020_455:                           ;   in Loop: Header=BB1020_394 Depth=2
	s_wait_alu 0xfffe
	s_or_b32 exec_lo, exec_lo, s22
	s_and_saveexec_b32 s22, s18
	s_cbranch_execnz .LBB1020_490
.LBB1020_456:                           ;   in Loop: Header=BB1020_394 Depth=2
	s_wait_alu 0xfffe
	s_or_b32 exec_lo, exec_lo, s22
	s_and_saveexec_b32 s22, s19
	s_cbranch_execnz .LBB1020_491
.LBB1020_457:                           ;   in Loop: Header=BB1020_394 Depth=2
	s_wait_alu 0xfffe
	s_or_b32 exec_lo, exec_lo, s22
	s_and_saveexec_b32 s22, s20
	s_cbranch_execnz .LBB1020_492
.LBB1020_458:                           ;   in Loop: Header=BB1020_394 Depth=2
	s_wait_alu 0xfffe
	s_or_b32 exec_lo, exec_lo, s22
	s_and_saveexec_b32 s22, s21
	s_cbranch_execz .LBB1020_460
.LBB1020_459:                           ;   in Loop: Header=BB1020_394 Depth=2
	ds_load_u16 v0, v48 offset:4608
	s_wait_dscnt 0x0
	v_lshrrev_b32_e32 v0, s45, v0
	s_delay_alu instid0(VALU_DEP_1)
	v_and_b32_e32 v90, s42, v0
.LBB1020_460:                           ;   in Loop: Header=BB1020_394 Depth=2
	s_wait_alu 0xfffe
	s_or_b32 exec_lo, exec_lo, s22
	v_lshlrev_b32_e32 v0, 3, v102
	v_lshlrev_b32_e32 v5, 3, v101
	;; [unrolled: 1-line block ×3, first 2 shown]
	s_wait_loadcnt 0x0
	s_wait_storecnt 0x0
	s_barrier_signal -1
	s_barrier_wait -1
	global_inv scope:SCOPE_SE
	ds_store_b64 v0, v[22:23] offset:1024
	ds_store_b64 v5, v[20:21] offset:1024
	;; [unrolled: 1-line block ×3, first 2 shown]
	v_lshlrev_b32_e32 v0, 3, v25
	v_lshlrev_b32_e32 v5, 3, v24
	v_lshlrev_b32_e32 v6, 3, v8
	v_lshlrev_b32_e32 v8, 3, v27
	v_lshlrev_b32_e32 v24, 3, v26
	ds_store_b64 v0, v[16:17] offset:1024
	ds_store_b64 v5, v[14:15] offset:1024
	;; [unrolled: 1-line block ×5, first 2 shown]
	s_wait_loadcnt_dscnt 0x0
	s_barrier_signal -1
	s_barrier_wait -1
	global_inv scope:SCOPE_SE
	s_and_saveexec_b32 s22, vcc_lo
	s_cbranch_execnz .LBB1020_493
; %bb.461:                              ;   in Loop: Header=BB1020_394 Depth=2
	s_wait_alu 0xfffe
	s_or_b32 exec_lo, exec_lo, s22
	s_and_saveexec_b32 s22, s15
	s_cbranch_execnz .LBB1020_494
.LBB1020_462:                           ;   in Loop: Header=BB1020_394 Depth=2
	s_wait_alu 0xfffe
	s_or_b32 exec_lo, exec_lo, s22
	s_and_saveexec_b32 s15, s16
	s_cbranch_execnz .LBB1020_495
.LBB1020_463:                           ;   in Loop: Header=BB1020_394 Depth=2
	s_wait_alu 0xfffe
	s_or_b32 exec_lo, exec_lo, s15
	s_and_saveexec_b32 s15, s17
	s_cbranch_execnz .LBB1020_496
.LBB1020_464:                           ;   in Loop: Header=BB1020_394 Depth=2
	s_wait_alu 0xfffe
	s_or_b32 exec_lo, exec_lo, s15
	s_and_saveexec_b32 s15, s18
	s_cbranch_execnz .LBB1020_497
.LBB1020_465:                           ;   in Loop: Header=BB1020_394 Depth=2
	s_wait_alu 0xfffe
	s_or_b32 exec_lo, exec_lo, s15
	s_and_saveexec_b32 s15, s19
	s_cbranch_execnz .LBB1020_498
.LBB1020_466:                           ;   in Loop: Header=BB1020_394 Depth=2
	s_wait_alu 0xfffe
	s_or_b32 exec_lo, exec_lo, s15
	s_and_saveexec_b32 s15, s20
	s_cbranch_execnz .LBB1020_499
.LBB1020_467:                           ;   in Loop: Header=BB1020_394 Depth=2
	s_wait_alu 0xfffe
	s_or_b32 exec_lo, exec_lo, s15
	s_and_saveexec_b32 s15, s21
	s_cbranch_execz .LBB1020_469
.LBB1020_468:                           ;   in Loop: Header=BB1020_394 Depth=2
	v_lshlrev_b32_e32 v0, 2, v90
	v_add_nc_u32_e32 v5, v48, v49
	ds_load_b32 v0, v0
	ds_load_b64 v[5:6], v5 offset:15360
	s_wait_dscnt 0x1
	v_add_nc_u32_e32 v0, v0, v37
	s_delay_alu instid0(VALU_DEP_1) | instskip(NEXT) | instid1(VALU_DEP_1)
	v_lshlrev_b64_e32 v[24:25], 3, v[0:1]
	v_add_co_u32 v24, vcc_lo, s24, v24
	s_wait_alu 0xfffd
	s_delay_alu instid0(VALU_DEP_2)
	v_add_co_ci_u32_e64 v25, null, s25, v25, vcc_lo
	s_wait_dscnt 0x0
	global_store_b64 v[24:25], v[5:6], off
.LBB1020_469:                           ;   in Loop: Header=BB1020_394 Depth=2
	s_wait_alu 0xfffe
	s_or_b32 exec_lo, exec_lo, s15
	s_wait_loadcnt 0x0
	s_wait_storecnt 0x0
	s_barrier_signal -1
	s_barrier_wait -1
	global_inv scope:SCOPE_SE
	s_and_saveexec_b32 s15, s2
	s_cbranch_execz .LBB1020_393
; %bb.470:                              ;   in Loop: Header=BB1020_394 Depth=2
	ds_load_b32 v0, v28
	s_wait_dscnt 0x0
	v_add_nc_u32_e32 v0, v0, v7
	ds_store_b32 v28, v0
	s_branch .LBB1020_393
.LBB1020_471:                           ;   in Loop: Header=BB1020_394 Depth=2
	ds_load_u16 v100, v48 offset:1024
	s_wait_dscnt 0x0
	v_and_b32_e32 v0, 0xffff, v100
	s_delay_alu instid0(VALU_DEP_1) | instskip(NEXT) | instid1(VALU_DEP_1)
	v_lshrrev_b32_e32 v0, s45, v0
	v_and_b32_e32 v0, s42, v0
	s_delay_alu instid0(VALU_DEP_1) | instskip(SKIP_3) | instid1(VALU_DEP_1)
	v_lshlrev_b32_e32 v0, 2, v0
	ds_load_b32 v0, v0
	s_wait_dscnt 0x0
	v_add_nc_u32_e32 v0, v0, v13
	v_lshlrev_b64_e32 v[5:6], 1, v[0:1]
	v_xor_b32_e32 v0, 0xffff8000, v100
	s_delay_alu instid0(VALU_DEP_2) | instskip(SKIP_1) | instid1(VALU_DEP_3)
	v_add_co_u32 v5, s15, s38, v5
	s_wait_alu 0xf1ff
	v_add_co_ci_u32_e64 v6, null, s39, v6, s15
	global_store_b16 v[5:6], v0, off
	s_wait_alu 0xfffe
	s_or_b32 exec_lo, exec_lo, s16
	v_cmp_lt_u32_e64 s15, v29, v98
	s_and_saveexec_b32 s17, s15
	s_cbranch_execz .LBB1020_436
.LBB1020_472:                           ;   in Loop: Header=BB1020_394 Depth=2
	ds_load_u16 v100, v48 offset:1536
	s_wait_dscnt 0x0
	v_and_b32_e32 v0, 0xffff, v100
	s_delay_alu instid0(VALU_DEP_1) | instskip(NEXT) | instid1(VALU_DEP_1)
	v_lshrrev_b32_e32 v0, s45, v0
	v_and_b32_e32 v0, s42, v0
	s_delay_alu instid0(VALU_DEP_1) | instskip(SKIP_3) | instid1(VALU_DEP_1)
	v_lshlrev_b32_e32 v0, 2, v0
	ds_load_b32 v0, v0
	s_wait_dscnt 0x0
	v_add_nc_u32_e32 v0, v0, v29
	v_lshlrev_b64_e32 v[5:6], 1, v[0:1]
	v_xor_b32_e32 v0, 0xffff8000, v100
	s_delay_alu instid0(VALU_DEP_2) | instskip(SKIP_1) | instid1(VALU_DEP_3)
	v_add_co_u32 v5, s16, s38, v5
	s_wait_alu 0xf1ff
	v_add_co_ci_u32_e64 v6, null, s39, v6, s16
	global_store_b16 v[5:6], v0, off
	s_wait_alu 0xfffe
	s_or_b32 exec_lo, exec_lo, s17
	v_cmp_lt_u32_e64 s16, v30, v98
	s_and_saveexec_b32 s18, s16
	s_cbranch_execz .LBB1020_437
.LBB1020_473:                           ;   in Loop: Header=BB1020_394 Depth=2
	ds_load_u16 v100, v48 offset:2048
	s_wait_dscnt 0x0
	v_and_b32_e32 v0, 0xffff, v100
	s_delay_alu instid0(VALU_DEP_1) | instskip(NEXT) | instid1(VALU_DEP_1)
	v_lshrrev_b32_e32 v0, s45, v0
	v_and_b32_e32 v0, s42, v0
	s_delay_alu instid0(VALU_DEP_1) | instskip(SKIP_3) | instid1(VALU_DEP_1)
	v_lshlrev_b32_e32 v0, 2, v0
	ds_load_b32 v0, v0
	s_wait_dscnt 0x0
	v_add_nc_u32_e32 v0, v0, v30
	v_lshlrev_b64_e32 v[5:6], 1, v[0:1]
	v_xor_b32_e32 v0, 0xffff8000, v100
	s_delay_alu instid0(VALU_DEP_2) | instskip(SKIP_1) | instid1(VALU_DEP_3)
	v_add_co_u32 v5, s17, s38, v5
	s_wait_alu 0xf1ff
	v_add_co_ci_u32_e64 v6, null, s39, v6, s17
	global_store_b16 v[5:6], v0, off
	s_wait_alu 0xfffe
	s_or_b32 exec_lo, exec_lo, s18
	v_cmp_lt_u32_e64 s17, v31, v98
	s_and_saveexec_b32 s19, s17
	s_cbranch_execz .LBB1020_438
.LBB1020_474:                           ;   in Loop: Header=BB1020_394 Depth=2
	ds_load_u16 v100, v48 offset:2560
	s_wait_dscnt 0x0
	v_and_b32_e32 v0, 0xffff, v100
	s_delay_alu instid0(VALU_DEP_1) | instskip(NEXT) | instid1(VALU_DEP_1)
	v_lshrrev_b32_e32 v0, s45, v0
	v_and_b32_e32 v0, s42, v0
	s_delay_alu instid0(VALU_DEP_1) | instskip(SKIP_3) | instid1(VALU_DEP_1)
	v_lshlrev_b32_e32 v0, 2, v0
	ds_load_b32 v0, v0
	s_wait_dscnt 0x0
	v_add_nc_u32_e32 v0, v0, v31
	v_lshlrev_b64_e32 v[5:6], 1, v[0:1]
	v_xor_b32_e32 v0, 0xffff8000, v100
	s_delay_alu instid0(VALU_DEP_2) | instskip(SKIP_1) | instid1(VALU_DEP_3)
	v_add_co_u32 v5, s18, s38, v5
	s_wait_alu 0xf1ff
	v_add_co_ci_u32_e64 v6, null, s39, v6, s18
	global_store_b16 v[5:6], v0, off
	s_wait_alu 0xfffe
	s_or_b32 exec_lo, exec_lo, s19
	v_cmp_lt_u32_e64 s18, v34, v98
	s_and_saveexec_b32 s20, s18
	s_cbranch_execz .LBB1020_439
.LBB1020_475:                           ;   in Loop: Header=BB1020_394 Depth=2
	ds_load_u16 v100, v48 offset:3072
	s_wait_dscnt 0x0
	v_and_b32_e32 v0, 0xffff, v100
	s_delay_alu instid0(VALU_DEP_1) | instskip(NEXT) | instid1(VALU_DEP_1)
	v_lshrrev_b32_e32 v0, s45, v0
	v_and_b32_e32 v0, s42, v0
	s_delay_alu instid0(VALU_DEP_1) | instskip(SKIP_3) | instid1(VALU_DEP_1)
	v_lshlrev_b32_e32 v0, 2, v0
	ds_load_b32 v0, v0
	s_wait_dscnt 0x0
	v_add_nc_u32_e32 v0, v0, v34
	v_lshlrev_b64_e32 v[5:6], 1, v[0:1]
	v_xor_b32_e32 v0, 0xffff8000, v100
	s_delay_alu instid0(VALU_DEP_2) | instskip(SKIP_1) | instid1(VALU_DEP_3)
	v_add_co_u32 v5, s19, s38, v5
	s_wait_alu 0xf1ff
	v_add_co_ci_u32_e64 v6, null, s39, v6, s19
	global_store_b16 v[5:6], v0, off
	s_wait_alu 0xfffe
	s_or_b32 exec_lo, exec_lo, s20
	v_cmp_lt_u32_e64 s19, v35, v98
	s_and_saveexec_b32 s21, s19
	s_cbranch_execz .LBB1020_440
.LBB1020_476:                           ;   in Loop: Header=BB1020_394 Depth=2
	ds_load_u16 v100, v48 offset:3584
	s_wait_dscnt 0x0
	v_and_b32_e32 v0, 0xffff, v100
	s_delay_alu instid0(VALU_DEP_1) | instskip(NEXT) | instid1(VALU_DEP_1)
	v_lshrrev_b32_e32 v0, s45, v0
	v_and_b32_e32 v0, s42, v0
	s_delay_alu instid0(VALU_DEP_1) | instskip(SKIP_3) | instid1(VALU_DEP_1)
	v_lshlrev_b32_e32 v0, 2, v0
	ds_load_b32 v0, v0
	s_wait_dscnt 0x0
	v_add_nc_u32_e32 v0, v0, v35
	v_lshlrev_b64_e32 v[5:6], 1, v[0:1]
	v_xor_b32_e32 v0, 0xffff8000, v100
	s_delay_alu instid0(VALU_DEP_2) | instskip(SKIP_1) | instid1(VALU_DEP_3)
	v_add_co_u32 v5, s20, s38, v5
	s_wait_alu 0xf1ff
	v_add_co_ci_u32_e64 v6, null, s39, v6, s20
	global_store_b16 v[5:6], v0, off
	s_wait_alu 0xfffe
	s_or_b32 exec_lo, exec_lo, s21
	v_cmp_lt_u32_e64 s20, v36, v98
	s_and_saveexec_b32 s22, s20
	s_cbranch_execz .LBB1020_441
.LBB1020_477:                           ;   in Loop: Header=BB1020_394 Depth=2
	ds_load_u16 v100, v48 offset:4096
	s_wait_dscnt 0x0
	v_and_b32_e32 v0, 0xffff, v100
	s_delay_alu instid0(VALU_DEP_1) | instskip(NEXT) | instid1(VALU_DEP_1)
	v_lshrrev_b32_e32 v0, s45, v0
	v_and_b32_e32 v0, s42, v0
	s_delay_alu instid0(VALU_DEP_1) | instskip(SKIP_3) | instid1(VALU_DEP_1)
	v_lshlrev_b32_e32 v0, 2, v0
	ds_load_b32 v0, v0
	s_wait_dscnt 0x0
	v_add_nc_u32_e32 v0, v0, v36
	v_lshlrev_b64_e32 v[5:6], 1, v[0:1]
	v_xor_b32_e32 v0, 0xffff8000, v100
	s_delay_alu instid0(VALU_DEP_2) | instskip(SKIP_1) | instid1(VALU_DEP_3)
	v_add_co_u32 v5, s21, s38, v5
	s_wait_alu 0xf1ff
	v_add_co_ci_u32_e64 v6, null, s39, v6, s21
	global_store_b16 v[5:6], v0, off
	s_wait_alu 0xfffe
	s_or_b32 exec_lo, exec_lo, s22
	v_cmp_lt_u32_e64 s21, v37, v98
	s_and_saveexec_b32 s48, s21
	s_cbranch_execnz .LBB1020_442
	s_branch .LBB1020_443
.LBB1020_478:                           ;   in Loop: Header=BB1020_394 Depth=2
	global_load_b64 v[22:23], v[5:6], off
	s_wait_alu 0xfffe
	s_or_b32 exec_lo, exec_lo, s22
	s_delay_alu instid0(SALU_CYCLE_1)
	s_mov_b32 s30, exec_lo
	v_cmpx_lt_u32_e64 v71, v98
	s_cbranch_execz .LBB1020_445
.LBB1020_479:                           ;   in Loop: Header=BB1020_394 Depth=2
	global_load_b64 v[20:21], v[5:6], off offset:256
	s_wait_alu 0xfffe
	s_or_b32 exec_lo, exec_lo, s30
	s_delay_alu instid0(SALU_CYCLE_1)
	s_mov_b32 s30, exec_lo
	v_cmpx_lt_u32_e64 v72, v98
	s_cbranch_execz .LBB1020_446
.LBB1020_480:                           ;   in Loop: Header=BB1020_394 Depth=2
	global_load_b64 v[18:19], v[5:6], off offset:512
	s_wait_alu 0xfffe
	s_or_b32 exec_lo, exec_lo, s30
	s_delay_alu instid0(SALU_CYCLE_1)
	s_mov_b32 s30, exec_lo
	v_cmpx_lt_u32_e64 v73, v98
	s_cbranch_execz .LBB1020_447
.LBB1020_481:                           ;   in Loop: Header=BB1020_394 Depth=2
	global_load_b64 v[16:17], v[5:6], off offset:768
	s_wait_alu 0xfffe
	s_or_b32 exec_lo, exec_lo, s30
	s_delay_alu instid0(SALU_CYCLE_1)
	s_mov_b32 s30, exec_lo
	v_cmpx_lt_u32_e64 v74, v98
	s_cbranch_execz .LBB1020_448
.LBB1020_482:                           ;   in Loop: Header=BB1020_394 Depth=2
	global_load_b64 v[14:15], v[5:6], off offset:1024
	s_wait_alu 0xfffe
	s_or_b32 exec_lo, exec_lo, s30
	s_delay_alu instid0(SALU_CYCLE_1)
	s_mov_b32 s30, exec_lo
	v_cmpx_lt_u32_e64 v75, v98
	s_cbranch_execz .LBB1020_449
.LBB1020_483:                           ;   in Loop: Header=BB1020_394 Depth=2
	global_load_b64 v[11:12], v[5:6], off offset:1280
	s_wait_alu 0xfffe
	s_or_b32 exec_lo, exec_lo, s30
	s_delay_alu instid0(SALU_CYCLE_1)
	s_mov_b32 s30, exec_lo
	v_cmpx_lt_u32_e64 v76, v98
	s_cbranch_execz .LBB1020_450
.LBB1020_484:                           ;   in Loop: Header=BB1020_394 Depth=2
	global_load_b64 v[9:10], v[5:6], off offset:1536
	s_wait_alu 0xfffe
	s_or_b32 exec_lo, exec_lo, s30
	s_delay_alu instid0(SALU_CYCLE_1)
	s_mov_b32 s30, exec_lo
	v_cmpx_lt_u32_e64 v77, v98
	s_cbranch_execz .LBB1020_451
.LBB1020_485:                           ;   in Loop: Header=BB1020_394 Depth=2
	global_load_b64 v[2:3], v[5:6], off offset:1792
	s_wait_alu 0xfffe
	s_or_b32 exec_lo, exec_lo, s30
	s_and_saveexec_b32 s22, vcc_lo
	s_cbranch_execz .LBB1020_452
.LBB1020_486:                           ;   in Loop: Header=BB1020_394 Depth=2
	ds_load_u16 v0, v48 offset:1024
	s_wait_dscnt 0x0
	v_lshrrev_b32_e32 v0, s45, v0
	s_delay_alu instid0(VALU_DEP_1)
	v_and_b32_e32 v97, s42, v0
	s_wait_alu 0xfffe
	s_or_b32 exec_lo, exec_lo, s22
	s_and_saveexec_b32 s22, s15
	s_cbranch_execz .LBB1020_453
.LBB1020_487:                           ;   in Loop: Header=BB1020_394 Depth=2
	ds_load_u16 v0, v48 offset:1536
	s_wait_dscnt 0x0
	v_lshrrev_b32_e32 v0, s45, v0
	s_delay_alu instid0(VALU_DEP_1)
	v_and_b32_e32 v96, s42, v0
	s_wait_alu 0xfffe
	s_or_b32 exec_lo, exec_lo, s22
	s_and_saveexec_b32 s22, s16
	s_cbranch_execz .LBB1020_454
.LBB1020_488:                           ;   in Loop: Header=BB1020_394 Depth=2
	ds_load_u16 v0, v48 offset:2048
	s_wait_dscnt 0x0
	v_lshrrev_b32_e32 v0, s45, v0
	s_delay_alu instid0(VALU_DEP_1)
	v_and_b32_e32 v95, s42, v0
	s_wait_alu 0xfffe
	s_or_b32 exec_lo, exec_lo, s22
	s_and_saveexec_b32 s22, s17
	s_cbranch_execz .LBB1020_455
.LBB1020_489:                           ;   in Loop: Header=BB1020_394 Depth=2
	ds_load_u16 v0, v48 offset:2560
	s_wait_dscnt 0x0
	v_lshrrev_b32_e32 v0, s45, v0
	s_delay_alu instid0(VALU_DEP_1)
	v_and_b32_e32 v94, s42, v0
	s_wait_alu 0xfffe
	s_or_b32 exec_lo, exec_lo, s22
	s_and_saveexec_b32 s22, s18
	s_cbranch_execz .LBB1020_456
.LBB1020_490:                           ;   in Loop: Header=BB1020_394 Depth=2
	ds_load_u16 v0, v48 offset:3072
	s_wait_dscnt 0x0
	v_lshrrev_b32_e32 v0, s45, v0
	s_delay_alu instid0(VALU_DEP_1)
	v_and_b32_e32 v93, s42, v0
	s_wait_alu 0xfffe
	s_or_b32 exec_lo, exec_lo, s22
	s_and_saveexec_b32 s22, s19
	s_cbranch_execz .LBB1020_457
.LBB1020_491:                           ;   in Loop: Header=BB1020_394 Depth=2
	ds_load_u16 v0, v48 offset:3584
	s_wait_dscnt 0x0
	v_lshrrev_b32_e32 v0, s45, v0
	s_delay_alu instid0(VALU_DEP_1)
	v_and_b32_e32 v92, s42, v0
	s_wait_alu 0xfffe
	s_or_b32 exec_lo, exec_lo, s22
	s_and_saveexec_b32 s22, s20
	s_cbranch_execz .LBB1020_458
.LBB1020_492:                           ;   in Loop: Header=BB1020_394 Depth=2
	ds_load_u16 v0, v48 offset:4096
	s_wait_dscnt 0x0
	v_lshrrev_b32_e32 v0, s45, v0
	s_delay_alu instid0(VALU_DEP_1)
	v_and_b32_e32 v91, s42, v0
	s_wait_alu 0xfffe
	s_or_b32 exec_lo, exec_lo, s22
	s_and_saveexec_b32 s22, s21
	s_cbranch_execnz .LBB1020_459
	s_branch .LBB1020_460
.LBB1020_493:                           ;   in Loop: Header=BB1020_394 Depth=2
	v_lshlrev_b32_e32 v0, 2, v97
	v_add_nc_u32_e32 v5, v48, v49
	ds_load_b32 v0, v0
	ds_load_b64 v[5:6], v5 offset:1024
	s_wait_dscnt 0x1
	v_add_nc_u32_e32 v0, v0, v13
	s_delay_alu instid0(VALU_DEP_1) | instskip(NEXT) | instid1(VALU_DEP_1)
	v_lshlrev_b64_e32 v[24:25], 3, v[0:1]
	v_add_co_u32 v24, vcc_lo, s24, v24
	s_wait_alu 0xfffd
	s_delay_alu instid0(VALU_DEP_2)
	v_add_co_ci_u32_e64 v25, null, s25, v25, vcc_lo
	s_wait_dscnt 0x0
	global_store_b64 v[24:25], v[5:6], off
	s_wait_alu 0xfffe
	s_or_b32 exec_lo, exec_lo, s22
	s_and_saveexec_b32 s22, s15
	s_cbranch_execz .LBB1020_462
.LBB1020_494:                           ;   in Loop: Header=BB1020_394 Depth=2
	v_lshlrev_b32_e32 v0, 2, v96
	v_add_nc_u32_e32 v5, v48, v49
	ds_load_b32 v0, v0
	ds_load_b64 v[5:6], v5 offset:3072
	s_wait_dscnt 0x1
	v_add_nc_u32_e32 v0, v0, v29
	s_delay_alu instid0(VALU_DEP_1) | instskip(NEXT) | instid1(VALU_DEP_1)
	v_lshlrev_b64_e32 v[24:25], 3, v[0:1]
	v_add_co_u32 v24, vcc_lo, s24, v24
	s_wait_alu 0xfffd
	s_delay_alu instid0(VALU_DEP_2)
	v_add_co_ci_u32_e64 v25, null, s25, v25, vcc_lo
	s_wait_dscnt 0x0
	global_store_b64 v[24:25], v[5:6], off
	s_wait_alu 0xfffe
	s_or_b32 exec_lo, exec_lo, s22
	s_and_saveexec_b32 s15, s16
	s_cbranch_execz .LBB1020_463
.LBB1020_495:                           ;   in Loop: Header=BB1020_394 Depth=2
	v_lshlrev_b32_e32 v0, 2, v95
	v_add_nc_u32_e32 v5, v48, v49
	ds_load_b32 v0, v0
	ds_load_b64 v[5:6], v5 offset:5120
	s_wait_dscnt 0x1
	v_add_nc_u32_e32 v0, v0, v30
	s_delay_alu instid0(VALU_DEP_1) | instskip(NEXT) | instid1(VALU_DEP_1)
	v_lshlrev_b64_e32 v[24:25], 3, v[0:1]
	v_add_co_u32 v24, vcc_lo, s24, v24
	s_wait_alu 0xfffd
	s_delay_alu instid0(VALU_DEP_2)
	v_add_co_ci_u32_e64 v25, null, s25, v25, vcc_lo
	s_wait_dscnt 0x0
	global_store_b64 v[24:25], v[5:6], off
	s_wait_alu 0xfffe
	s_or_b32 exec_lo, exec_lo, s15
	s_and_saveexec_b32 s15, s17
	s_cbranch_execz .LBB1020_464
.LBB1020_496:                           ;   in Loop: Header=BB1020_394 Depth=2
	v_lshlrev_b32_e32 v0, 2, v94
	v_add_nc_u32_e32 v5, v48, v49
	ds_load_b32 v0, v0
	ds_load_b64 v[5:6], v5 offset:7168
	s_wait_dscnt 0x1
	v_add_nc_u32_e32 v0, v0, v31
	s_delay_alu instid0(VALU_DEP_1) | instskip(NEXT) | instid1(VALU_DEP_1)
	v_lshlrev_b64_e32 v[24:25], 3, v[0:1]
	v_add_co_u32 v24, vcc_lo, s24, v24
	s_wait_alu 0xfffd
	s_delay_alu instid0(VALU_DEP_2)
	v_add_co_ci_u32_e64 v25, null, s25, v25, vcc_lo
	s_wait_dscnt 0x0
	global_store_b64 v[24:25], v[5:6], off
	s_wait_alu 0xfffe
	s_or_b32 exec_lo, exec_lo, s15
	s_and_saveexec_b32 s15, s18
	s_cbranch_execz .LBB1020_465
.LBB1020_497:                           ;   in Loop: Header=BB1020_394 Depth=2
	v_lshlrev_b32_e32 v0, 2, v93
	v_add_nc_u32_e32 v5, v48, v49
	ds_load_b32 v0, v0
	ds_load_b64 v[5:6], v5 offset:9216
	s_wait_dscnt 0x1
	v_add_nc_u32_e32 v0, v0, v34
	s_delay_alu instid0(VALU_DEP_1) | instskip(NEXT) | instid1(VALU_DEP_1)
	v_lshlrev_b64_e32 v[24:25], 3, v[0:1]
	v_add_co_u32 v24, vcc_lo, s24, v24
	s_wait_alu 0xfffd
	s_delay_alu instid0(VALU_DEP_2)
	v_add_co_ci_u32_e64 v25, null, s25, v25, vcc_lo
	s_wait_dscnt 0x0
	global_store_b64 v[24:25], v[5:6], off
	s_wait_alu 0xfffe
	s_or_b32 exec_lo, exec_lo, s15
	s_and_saveexec_b32 s15, s19
	s_cbranch_execz .LBB1020_466
.LBB1020_498:                           ;   in Loop: Header=BB1020_394 Depth=2
	v_lshlrev_b32_e32 v0, 2, v92
	v_add_nc_u32_e32 v5, v48, v49
	ds_load_b32 v0, v0
	ds_load_b64 v[5:6], v5 offset:11264
	s_wait_dscnt 0x1
	v_add_nc_u32_e32 v0, v0, v35
	s_delay_alu instid0(VALU_DEP_1) | instskip(NEXT) | instid1(VALU_DEP_1)
	v_lshlrev_b64_e32 v[24:25], 3, v[0:1]
	v_add_co_u32 v24, vcc_lo, s24, v24
	s_wait_alu 0xfffd
	s_delay_alu instid0(VALU_DEP_2)
	v_add_co_ci_u32_e64 v25, null, s25, v25, vcc_lo
	s_wait_dscnt 0x0
	global_store_b64 v[24:25], v[5:6], off
	s_wait_alu 0xfffe
	s_or_b32 exec_lo, exec_lo, s15
	s_and_saveexec_b32 s15, s20
	s_cbranch_execz .LBB1020_467
.LBB1020_499:                           ;   in Loop: Header=BB1020_394 Depth=2
	v_lshlrev_b32_e32 v0, 2, v91
	v_add_nc_u32_e32 v5, v48, v49
	ds_load_b32 v0, v0
	ds_load_b64 v[5:6], v5 offset:13312
	s_wait_dscnt 0x1
	v_add_nc_u32_e32 v0, v0, v36
	s_delay_alu instid0(VALU_DEP_1) | instskip(NEXT) | instid1(VALU_DEP_1)
	v_lshlrev_b64_e32 v[24:25], 3, v[0:1]
	v_add_co_u32 v24, vcc_lo, s24, v24
	s_wait_alu 0xfffd
	s_delay_alu instid0(VALU_DEP_2)
	v_add_co_ci_u32_e64 v25, null, s25, v25, vcc_lo
	s_wait_dscnt 0x0
	global_store_b64 v[24:25], v[5:6], off
	s_wait_alu 0xfffe
	s_or_b32 exec_lo, exec_lo, s15
	s_and_saveexec_b32 s15, s21
	s_cbranch_execnz .LBB1020_468
	s_branch .LBB1020_469
.LBB1020_500:                           ;   in Loop: Header=BB1020_394 Depth=2
	v_dual_mov_b32 v5, 0x7fff0000 :: v_dual_mov_b32 v6, v4
	v_dual_mov_b32 v7, v4 :: v_dual_mov_b32 v8, v4
	global_load_d16_b16 v5, v[24:25], off
	s_wait_alu 0xfffe
	s_or_b32 exec_lo, exec_lo, s15
	s_delay_alu instid0(SALU_CYCLE_1)
	s_mov_b32 s15, exec_lo
	v_cmpx_gt_u32_e64 s43, v71
	s_cbranch_execz .LBB1020_399
.LBB1020_501:                           ;   in Loop: Header=BB1020_394 Depth=2
	s_wait_loadcnt 0x0
	global_load_d16_hi_b16 v5, v[24:25], off offset:64
	s_wait_alu 0xfffe
	s_or_b32 exec_lo, exec_lo, s15
	s_delay_alu instid0(SALU_CYCLE_1)
	s_mov_b32 s15, exec_lo
	v_cmpx_gt_u32_e64 s43, v72
	s_cbranch_execz .LBB1020_400
.LBB1020_502:                           ;   in Loop: Header=BB1020_394 Depth=2
	global_load_d16_b16 v6, v[24:25], off offset:128
	s_wait_alu 0xfffe
	s_or_b32 exec_lo, exec_lo, s15
	s_delay_alu instid0(SALU_CYCLE_1)
	s_mov_b32 s15, exec_lo
	v_cmpx_gt_u32_e64 s43, v73
	s_cbranch_execz .LBB1020_401
.LBB1020_503:                           ;   in Loop: Header=BB1020_394 Depth=2
	s_wait_loadcnt 0x0
	global_load_d16_hi_b16 v6, v[24:25], off offset:192
	s_wait_alu 0xfffe
	s_or_b32 exec_lo, exec_lo, s15
	s_delay_alu instid0(SALU_CYCLE_1)
	s_mov_b32 s15, exec_lo
	v_cmpx_gt_u32_e64 s43, v74
	s_cbranch_execz .LBB1020_402
.LBB1020_504:                           ;   in Loop: Header=BB1020_394 Depth=2
	global_load_d16_b16 v7, v[24:25], off offset:256
	s_wait_alu 0xfffe
	s_or_b32 exec_lo, exec_lo, s15
	s_delay_alu instid0(SALU_CYCLE_1)
	s_mov_b32 s15, exec_lo
	v_cmpx_gt_u32_e64 s43, v75
	s_cbranch_execz .LBB1020_403
.LBB1020_505:                           ;   in Loop: Header=BB1020_394 Depth=2
	s_wait_loadcnt 0x0
	global_load_d16_hi_b16 v7, v[24:25], off offset:320
	s_wait_alu 0xfffe
	s_or_b32 exec_lo, exec_lo, s15
	s_delay_alu instid0(SALU_CYCLE_1)
	s_mov_b32 s15, exec_lo
	v_cmpx_gt_u32_e64 s43, v76
	s_cbranch_execnz .LBB1020_404
	s_branch .LBB1020_405
.LBB1020_506:                           ;   in Loop: Header=BB1020_12 Depth=1
	s_wait_loadcnt_dscnt 0x0
	s_barrier_signal -1
	s_mov_b32 s0, 0
	s_barrier_wait -1
.LBB1020_507:                           ;   in Loop: Header=BB1020_12 Depth=1
	s_wait_alu 0xfffe
	s_and_b32 vcc_lo, exec_lo, s0
	s_wait_alu 0xfffe
	s_cbranch_vccz .LBB1020_11
; %bb.508:                              ;   in Loop: Header=BB1020_12 Depth=1
	v_dual_mov_b32 v0, v1 :: v_dual_mov_b32 v3, v1
	v_mov_b32_e32 v2, v1
	s_mov_b32 s9, s47
	s_mov_b32 s30, s33
	s_barrier_signal -1
	s_delay_alu instid0(VALU_DEP_1)
	v_dual_mov_b32 v8, v3 :: v_dual_mov_b32 v7, v2
	v_dual_mov_b32 v6, v1 :: v_dual_mov_b32 v5, v0
	s_barrier_wait -1
	global_inv scope:SCOPE_SE
	s_branch .LBB1020_510
.LBB1020_509:                           ;   in Loop: Header=BB1020_510 Depth=2
	s_wait_alu 0xfffe
	s_or_b32 exec_lo, exec_lo, s0
	s_addk_co_i32 s9, 0xf800
	s_cmp_ge_u32 s10, s34
	s_mov_b32 s30, s10
	s_cbranch_scc1 .LBB1020_546
.LBB1020_510:                           ;   Parent Loop BB1020_12 Depth=1
                                        ; =>  This Inner Loop Header: Depth=2
	s_wait_alu 0xfffe
	s_add_co_i32 s10, s30, 0x800
	s_mov_b32 s0, -1
	s_wait_alu 0xfffe
	s_cmp_gt_u32 s10, s34
                                        ; implicit-def: $vgpr9_vgpr10_vgpr11_vgpr12
	s_cbranch_scc1 .LBB1020_512
; %bb.511:                              ;   in Loop: Header=BB1020_510 Depth=2
	s_lshl_b64 s[0:1], s[30:31], 1
	s_wait_alu 0xfffe
	v_add_co_u32 v2, vcc_lo, v56, s0
	s_wait_alu 0xfffd
	v_add_co_ci_u32_e64 v3, null, s1, v57, vcc_lo
	s_mov_b32 s0, 0
	s_clause 0x3
	global_load_u16 v9, v[2:3], off
	global_load_u16 v10, v[2:3], off offset:1024
	global_load_u16 v11, v[2:3], off offset:2048
	;; [unrolled: 1-line block ×3, first 2 shown]
	s_wait_loadcnt 0x3
	global_load_d16_hi_b16 v9, v[2:3], off offset:512
	s_wait_loadcnt 0x3
	global_load_d16_hi_b16 v10, v[2:3], off offset:1536
	;; [unrolled: 2-line block ×4, first 2 shown]
.LBB1020_512:                           ;   in Loop: Header=BB1020_510 Depth=2
	s_wait_alu 0xfffe
	s_and_not1_b32 vcc_lo, exec_lo, s0
	s_movk_i32 s0, 0x800
	s_wait_alu 0xfffe
	s_cbranch_vccnz .LBB1020_523
; %bb.513:                              ;   in Loop: Header=BB1020_510 Depth=2
	s_lshl_b64 s[0:1], s[30:31], 1
	s_mov_b32 s11, exec_lo
	s_wait_alu 0xfffe
	s_add_nc_u64 s[0:1], s[36:37], s[0:1]
	v_cmpx_gt_u32_e64 s9, v13
	s_cbranch_execnz .LBB1020_539
; %bb.514:                              ;   in Loop: Header=BB1020_510 Depth=2
	s_or_b32 exec_lo, exec_lo, s11
	s_delay_alu instid0(SALU_CYCLE_1)
	s_mov_b32 s11, exec_lo
	v_cmpx_gt_u32_e64 s9, v29
	s_cbranch_execnz .LBB1020_540
.LBB1020_515:                           ;   in Loop: Header=BB1020_510 Depth=2
	s_wait_alu 0xfffe
	s_or_b32 exec_lo, exec_lo, s11
	s_delay_alu instid0(SALU_CYCLE_1)
	s_mov_b32 s11, exec_lo
	v_cmpx_gt_u32_e64 s9, v30
	s_cbranch_execnz .LBB1020_541
.LBB1020_516:                           ;   in Loop: Header=BB1020_510 Depth=2
	s_wait_alu 0xfffe
	s_or_b32 exec_lo, exec_lo, s11
	s_delay_alu instid0(SALU_CYCLE_1)
	s_mov_b32 s11, exec_lo
	v_cmpx_gt_u32_e64 s9, v31
	s_cbranch_execnz .LBB1020_542
.LBB1020_517:                           ;   in Loop: Header=BB1020_510 Depth=2
	s_wait_alu 0xfffe
	s_or_b32 exec_lo, exec_lo, s11
	s_delay_alu instid0(SALU_CYCLE_1)
	s_mov_b32 s11, exec_lo
	v_cmpx_gt_u32_e64 s9, v34
	s_cbranch_execnz .LBB1020_543
.LBB1020_518:                           ;   in Loop: Header=BB1020_510 Depth=2
	s_wait_alu 0xfffe
	s_or_b32 exec_lo, exec_lo, s11
	s_delay_alu instid0(SALU_CYCLE_1)
	s_mov_b32 s11, exec_lo
	v_cmpx_gt_u32_e64 s9, v35
	s_cbranch_execnz .LBB1020_544
.LBB1020_519:                           ;   in Loop: Header=BB1020_510 Depth=2
	s_wait_alu 0xfffe
	s_or_b32 exec_lo, exec_lo, s11
	s_delay_alu instid0(SALU_CYCLE_1)
	s_mov_b32 s11, exec_lo
	v_cmpx_gt_u32_e64 s9, v36
	s_cbranch_execnz .LBB1020_545
.LBB1020_520:                           ;   in Loop: Header=BB1020_510 Depth=2
	s_wait_alu 0xfffe
	s_or_b32 exec_lo, exec_lo, s11
	s_delay_alu instid0(SALU_CYCLE_1)
	s_mov_b32 s11, exec_lo
	v_cmpx_gt_u32_e64 s9, v37
	s_cbranch_execz .LBB1020_522
.LBB1020_521:                           ;   in Loop: Header=BB1020_510 Depth=2
	s_wait_loadcnt 0x0
	global_load_d16_hi_b16 v8, v79, s[0:1] offset:3584
.LBB1020_522:                           ;   in Loop: Header=BB1020_510 Depth=2
	s_wait_alu 0xfffe
	s_or_b32 exec_lo, exec_lo, s11
	s_wait_loadcnt 0x0
	v_dual_mov_b32 v12, v8 :: v_dual_mov_b32 v11, v7
	v_dual_mov_b32 v10, v6 :: v_dual_mov_b32 v9, v5
	s_mov_b32 s0, s9
.LBB1020_523:                           ;   in Loop: Header=BB1020_510 Depth=2
	s_wait_loadcnt 0x0
	s_delay_alu instid0(VALU_DEP_1)
	v_dual_mov_b32 v5, v9 :: v_dual_mov_b32 v6, v10
	v_dual_mov_b32 v7, v11 :: v_dual_mov_b32 v8, v12
	s_mov_b32 s1, exec_lo
	s_wait_alu 0xfffe
	v_cmpx_gt_u32_e64 s0, v13
	s_cbranch_execnz .LBB1020_531
; %bb.524:                              ;   in Loop: Header=BB1020_510 Depth=2
	s_or_b32 exec_lo, exec_lo, s1
	s_delay_alu instid0(SALU_CYCLE_1)
	s_mov_b32 s1, exec_lo
	v_cmpx_gt_u32_e64 s0, v29
	s_cbranch_execnz .LBB1020_532
.LBB1020_525:                           ;   in Loop: Header=BB1020_510 Depth=2
	s_wait_alu 0xfffe
	s_or_b32 exec_lo, exec_lo, s1
	s_delay_alu instid0(SALU_CYCLE_1)
	s_mov_b32 s1, exec_lo
	v_cmpx_gt_u32_e64 s0, v30
	s_cbranch_execnz .LBB1020_533
.LBB1020_526:                           ;   in Loop: Header=BB1020_510 Depth=2
	s_wait_alu 0xfffe
	s_or_b32 exec_lo, exec_lo, s1
	s_delay_alu instid0(SALU_CYCLE_1)
	s_mov_b32 s1, exec_lo
	v_cmpx_gt_u32_e64 s0, v31
	s_cbranch_execnz .LBB1020_534
.LBB1020_527:                           ;   in Loop: Header=BB1020_510 Depth=2
	s_wait_alu 0xfffe
	s_or_b32 exec_lo, exec_lo, s1
	s_delay_alu instid0(SALU_CYCLE_1)
	s_mov_b32 s1, exec_lo
	v_cmpx_gt_u32_e64 s0, v34
	s_cbranch_execnz .LBB1020_535
.LBB1020_528:                           ;   in Loop: Header=BB1020_510 Depth=2
	s_wait_alu 0xfffe
	s_or_b32 exec_lo, exec_lo, s1
	s_delay_alu instid0(SALU_CYCLE_1)
	s_mov_b32 s1, exec_lo
	v_cmpx_gt_u32_e64 s0, v35
	s_cbranch_execnz .LBB1020_536
.LBB1020_529:                           ;   in Loop: Header=BB1020_510 Depth=2
	s_wait_alu 0xfffe
	s_or_b32 exec_lo, exec_lo, s1
	s_delay_alu instid0(SALU_CYCLE_1)
	s_mov_b32 s1, exec_lo
	v_cmpx_gt_u32_e64 s0, v36
	s_cbranch_execnz .LBB1020_537
.LBB1020_530:                           ;   in Loop: Header=BB1020_510 Depth=2
	s_wait_alu 0xfffe
	s_or_b32 exec_lo, exec_lo, s1
	v_cmp_gt_u32_e32 vcc_lo, s0, v37
	s_and_saveexec_b32 s0, vcc_lo
	s_cbranch_execz .LBB1020_509
	s_branch .LBB1020_538
.LBB1020_531:                           ;   in Loop: Header=BB1020_510 Depth=2
	v_xor_b32_e32 v0, 0xffff8000, v5
	s_delay_alu instid0(VALU_DEP_1) | instskip(NEXT) | instid1(VALU_DEP_1)
	v_and_b32_e32 v0, 0xffff, v0
	v_lshrrev_b32_e32 v0, s45, v0
	s_delay_alu instid0(VALU_DEP_1) | instskip(NEXT) | instid1(VALU_DEP_1)
	v_and_b32_e32 v0, s42, v0
	v_lshl_or_b32 v0, v0, 4, v39
	ds_add_u32 v0, v63
	s_or_b32 exec_lo, exec_lo, s1
	s_delay_alu instid0(SALU_CYCLE_1)
	s_mov_b32 s1, exec_lo
	v_cmpx_gt_u32_e64 s0, v29
	s_cbranch_execz .LBB1020_525
.LBB1020_532:                           ;   in Loop: Header=BB1020_510 Depth=2
	v_lshrrev_b32_e32 v0, 16, v5
	s_delay_alu instid0(VALU_DEP_1) | instskip(NEXT) | instid1(VALU_DEP_1)
	v_xor_b32_e32 v0, 0xffff8000, v0
	v_and_b32_e32 v0, 0xffff, v0
	s_delay_alu instid0(VALU_DEP_1) | instskip(NEXT) | instid1(VALU_DEP_1)
	v_lshrrev_b32_e32 v0, s45, v0
	v_and_b32_e32 v0, s42, v0
	s_delay_alu instid0(VALU_DEP_1) | instskip(SKIP_3) | instid1(SALU_CYCLE_1)
	v_lshl_or_b32 v0, v0, 4, v39
	ds_add_u32 v0, v63
	s_wait_alu 0xfffe
	s_or_b32 exec_lo, exec_lo, s1
	s_mov_b32 s1, exec_lo
	v_cmpx_gt_u32_e64 s0, v30
	s_cbranch_execz .LBB1020_526
.LBB1020_533:                           ;   in Loop: Header=BB1020_510 Depth=2
	v_xor_b32_e32 v0, 0xffff8000, v6
	s_delay_alu instid0(VALU_DEP_1) | instskip(NEXT) | instid1(VALU_DEP_1)
	v_and_b32_e32 v0, 0xffff, v0
	v_lshrrev_b32_e32 v0, s45, v0
	s_delay_alu instid0(VALU_DEP_1) | instskip(NEXT) | instid1(VALU_DEP_1)
	v_and_b32_e32 v0, s42, v0
	v_lshl_or_b32 v0, v0, 4, v39
	ds_add_u32 v0, v63
	s_wait_alu 0xfffe
	s_or_b32 exec_lo, exec_lo, s1
	s_delay_alu instid0(SALU_CYCLE_1)
	s_mov_b32 s1, exec_lo
	v_cmpx_gt_u32_e64 s0, v31
	s_cbranch_execz .LBB1020_527
.LBB1020_534:                           ;   in Loop: Header=BB1020_510 Depth=2
	v_lshrrev_b32_e32 v0, 16, v6
	s_delay_alu instid0(VALU_DEP_1) | instskip(NEXT) | instid1(VALU_DEP_1)
	v_xor_b32_e32 v0, 0xffff8000, v0
	v_and_b32_e32 v0, 0xffff, v0
	s_delay_alu instid0(VALU_DEP_1) | instskip(NEXT) | instid1(VALU_DEP_1)
	v_lshrrev_b32_e32 v0, s45, v0
	v_and_b32_e32 v0, s42, v0
	s_delay_alu instid0(VALU_DEP_1) | instskip(SKIP_3) | instid1(SALU_CYCLE_1)
	v_lshl_or_b32 v0, v0, 4, v39
	ds_add_u32 v0, v63
	s_wait_alu 0xfffe
	s_or_b32 exec_lo, exec_lo, s1
	s_mov_b32 s1, exec_lo
	v_cmpx_gt_u32_e64 s0, v34
	s_cbranch_execz .LBB1020_528
.LBB1020_535:                           ;   in Loop: Header=BB1020_510 Depth=2
	v_xor_b32_e32 v0, 0xffff8000, v7
	s_delay_alu instid0(VALU_DEP_1) | instskip(NEXT) | instid1(VALU_DEP_1)
	v_and_b32_e32 v0, 0xffff, v0
	v_lshrrev_b32_e32 v0, s45, v0
	s_delay_alu instid0(VALU_DEP_1) | instskip(NEXT) | instid1(VALU_DEP_1)
	v_and_b32_e32 v0, s42, v0
	v_lshl_or_b32 v0, v0, 4, v39
	ds_add_u32 v0, v63
	s_wait_alu 0xfffe
	s_or_b32 exec_lo, exec_lo, s1
	s_delay_alu instid0(SALU_CYCLE_1)
	s_mov_b32 s1, exec_lo
	v_cmpx_gt_u32_e64 s0, v35
	s_cbranch_execz .LBB1020_529
.LBB1020_536:                           ;   in Loop: Header=BB1020_510 Depth=2
	v_lshrrev_b32_e32 v0, 16, v7
	s_delay_alu instid0(VALU_DEP_1) | instskip(NEXT) | instid1(VALU_DEP_1)
	v_xor_b32_e32 v0, 0xffff8000, v0
	v_and_b32_e32 v0, 0xffff, v0
	s_delay_alu instid0(VALU_DEP_1) | instskip(NEXT) | instid1(VALU_DEP_1)
	v_lshrrev_b32_e32 v0, s45, v0
	v_and_b32_e32 v0, s42, v0
	s_delay_alu instid0(VALU_DEP_1) | instskip(SKIP_3) | instid1(SALU_CYCLE_1)
	v_lshl_or_b32 v0, v0, 4, v39
	ds_add_u32 v0, v63
	s_wait_alu 0xfffe
	s_or_b32 exec_lo, exec_lo, s1
	s_mov_b32 s1, exec_lo
	v_cmpx_gt_u32_e64 s0, v36
	s_cbranch_execz .LBB1020_530
.LBB1020_537:                           ;   in Loop: Header=BB1020_510 Depth=2
	v_xor_b32_e32 v0, 0xffff8000, v8
	s_delay_alu instid0(VALU_DEP_1) | instskip(NEXT) | instid1(VALU_DEP_1)
	v_and_b32_e32 v0, 0xffff, v0
	v_lshrrev_b32_e32 v0, s45, v0
	s_delay_alu instid0(VALU_DEP_1) | instskip(NEXT) | instid1(VALU_DEP_1)
	v_and_b32_e32 v0, s42, v0
	v_lshl_or_b32 v0, v0, 4, v39
	ds_add_u32 v0, v63
	s_wait_alu 0xfffe
	s_or_b32 exec_lo, exec_lo, s1
	v_cmp_gt_u32_e32 vcc_lo, s0, v37
	s_and_saveexec_b32 s0, vcc_lo
	s_cbranch_execz .LBB1020_509
.LBB1020_538:                           ;   in Loop: Header=BB1020_510 Depth=2
	v_lshrrev_b32_e32 v0, 16, v8
	s_delay_alu instid0(VALU_DEP_1) | instskip(NEXT) | instid1(VALU_DEP_1)
	v_xor_b32_e32 v0, 0xffff8000, v0
	v_and_b32_e32 v0, 0xffff, v0
	s_delay_alu instid0(VALU_DEP_1) | instskip(NEXT) | instid1(VALU_DEP_1)
	v_lshrrev_b32_e32 v0, s45, v0
	v_and_b32_e32 v0, s42, v0
	s_delay_alu instid0(VALU_DEP_1)
	v_lshl_or_b32 v0, v0, 4, v39
	ds_add_u32 v0, v63
	s_branch .LBB1020_509
.LBB1020_539:                           ;   in Loop: Header=BB1020_510 Depth=2
	global_load_d16_b16 v5, v79, s[0:1]
	s_or_b32 exec_lo, exec_lo, s11
	s_delay_alu instid0(SALU_CYCLE_1)
	s_mov_b32 s11, exec_lo
	v_cmpx_gt_u32_e64 s9, v29
	s_cbranch_execz .LBB1020_515
.LBB1020_540:                           ;   in Loop: Header=BB1020_510 Depth=2
	s_wait_loadcnt 0x0
	global_load_d16_hi_b16 v5, v79, s[0:1] offset:512
	s_wait_alu 0xfffe
	s_or_b32 exec_lo, exec_lo, s11
	s_delay_alu instid0(SALU_CYCLE_1)
	s_mov_b32 s11, exec_lo
	v_cmpx_gt_u32_e64 s9, v30
	s_cbranch_execz .LBB1020_516
.LBB1020_541:                           ;   in Loop: Header=BB1020_510 Depth=2
	global_load_d16_b16 v6, v79, s[0:1] offset:1024
	s_wait_alu 0xfffe
	s_or_b32 exec_lo, exec_lo, s11
	s_delay_alu instid0(SALU_CYCLE_1)
	s_mov_b32 s11, exec_lo
	v_cmpx_gt_u32_e64 s9, v31
	s_cbranch_execz .LBB1020_517
.LBB1020_542:                           ;   in Loop: Header=BB1020_510 Depth=2
	s_wait_loadcnt 0x0
	global_load_d16_hi_b16 v6, v79, s[0:1] offset:1536
	s_wait_alu 0xfffe
	s_or_b32 exec_lo, exec_lo, s11
	s_delay_alu instid0(SALU_CYCLE_1)
	s_mov_b32 s11, exec_lo
	v_cmpx_gt_u32_e64 s9, v34
	s_cbranch_execz .LBB1020_518
.LBB1020_543:                           ;   in Loop: Header=BB1020_510 Depth=2
	global_load_d16_b16 v7, v79, s[0:1] offset:2048
	s_wait_alu 0xfffe
	s_or_b32 exec_lo, exec_lo, s11
	s_delay_alu instid0(SALU_CYCLE_1)
	s_mov_b32 s11, exec_lo
	v_cmpx_gt_u32_e64 s9, v35
	s_cbranch_execz .LBB1020_519
.LBB1020_544:                           ;   in Loop: Header=BB1020_510 Depth=2
	s_wait_loadcnt 0x0
	global_load_d16_hi_b16 v7, v79, s[0:1] offset:2560
	s_wait_alu 0xfffe
	s_or_b32 exec_lo, exec_lo, s11
	s_delay_alu instid0(SALU_CYCLE_1)
	s_mov_b32 s11, exec_lo
	v_cmpx_gt_u32_e64 s9, v36
	s_cbranch_execz .LBB1020_520
.LBB1020_545:                           ;   in Loop: Header=BB1020_510 Depth=2
	global_load_d16_b16 v8, v79, s[0:1] offset:3072
	s_wait_alu 0xfffe
	s_or_b32 exec_lo, exec_lo, s11
	s_delay_alu instid0(SALU_CYCLE_1)
	s_mov_b32 s11, exec_lo
	v_cmpx_gt_u32_e64 s9, v37
	s_cbranch_execnz .LBB1020_521
	s_branch .LBB1020_522
.LBB1020_546:                           ;   in Loop: Header=BB1020_12 Depth=1
	v_mov_b32_e32 v0, 0
	s_wait_dscnt 0x0
	s_barrier_signal -1
	s_barrier_wait -1
	global_inv scope:SCOPE_SE
	s_and_saveexec_b32 s0, s2
	s_cbranch_execz .LBB1020_548
; %bb.547:                              ;   in Loop: Header=BB1020_12 Depth=1
	ds_load_2addr_b64 v[5:8], v40 offset1:1
	s_wait_dscnt 0x0
	v_add_nc_u32_e32 v0, v6, v5
	s_delay_alu instid0(VALU_DEP_1)
	v_add3_u32 v0, v0, v7, v8
.LBB1020_548:                           ;   in Loop: Header=BB1020_12 Depth=1
	s_wait_alu 0xfffe
	s_or_b32 exec_lo, exec_lo, s0
	s_delay_alu instid0(VALU_DEP_1)
	v_mov_b32_dpp v2, v0 row_shr:1 row_mask:0xf bank_mask:0xf
	v_cmp_eq_u32_e64 s0, 0, v64
	v_cmp_lt_u32_e64 s1, 1, v64
	v_cmp_lt_u32_e64 s9, 3, v64
	;; [unrolled: 1-line block ×3, first 2 shown]
	v_cmp_eq_u32_e64 s11, 0, v66
	s_wait_alu 0xf1ff
	v_cndmask_b32_e64 v2, v2, 0, s0
	s_delay_alu instid0(VALU_DEP_1) | instskip(NEXT) | instid1(VALU_DEP_1)
	v_add_nc_u32_e32 v0, v2, v0
	v_mov_b32_dpp v2, v0 row_shr:2 row_mask:0xf bank_mask:0xf
	s_delay_alu instid0(VALU_DEP_1) | instskip(NEXT) | instid1(VALU_DEP_1)
	v_cndmask_b32_e64 v2, 0, v2, s1
	v_add_nc_u32_e32 v0, v0, v2
	s_delay_alu instid0(VALU_DEP_1) | instskip(NEXT) | instid1(VALU_DEP_1)
	v_mov_b32_dpp v2, v0 row_shr:4 row_mask:0xf bank_mask:0xf
	v_cndmask_b32_e64 v2, 0, v2, s9
	s_delay_alu instid0(VALU_DEP_1) | instskip(NEXT) | instid1(VALU_DEP_1)
	v_add_nc_u32_e32 v0, v0, v2
	v_mov_b32_dpp v2, v0 row_shr:8 row_mask:0xf bank_mask:0xf
	s_delay_alu instid0(VALU_DEP_1) | instskip(NEXT) | instid1(VALU_DEP_1)
	v_cndmask_b32_e64 v2, 0, v2, s10
	v_add_nc_u32_e32 v0, v0, v2
	ds_swizzle_b32 v2, v0 offset:swizzle(BROADCAST,32,15)
	s_wait_dscnt 0x0
	v_and_b32_e32 v2, v65, v2
	s_delay_alu instid0(VALU_DEP_1)
	v_add_nc_u32_e32 v0, v0, v2
	s_and_saveexec_b32 s12, s3
; %bb.549:                              ;   in Loop: Header=BB1020_12 Depth=1
	ds_store_b32 v41, v0
; %bb.550:                              ;   in Loop: Header=BB1020_12 Depth=1
	s_wait_alu 0xfffe
	s_or_b32 exec_lo, exec_lo, s12
	s_wait_loadcnt_dscnt 0x0
	s_barrier_signal -1
	s_barrier_wait -1
	global_inv scope:SCOPE_SE
	s_and_saveexec_b32 s12, s4
	s_cbranch_execz .LBB1020_552
; %bb.551:                              ;   in Loop: Header=BB1020_12 Depth=1
	ds_load_b32 v2, v42
	v_cmp_ne_u32_e32 vcc_lo, 0, v68
	s_wait_dscnt 0x0
	v_mov_b32_dpp v3, v2 row_shr:1 row_mask:0xf bank_mask:0xf
	s_wait_alu 0xfffd
	s_delay_alu instid0(VALU_DEP_1) | instskip(SKIP_1) | instid1(VALU_DEP_2)
	v_cndmask_b32_e32 v3, 0, v3, vcc_lo
	v_cmp_lt_u32_e32 vcc_lo, 1, v68
	v_add_nc_u32_e32 v2, v3, v2
	s_delay_alu instid0(VALU_DEP_1) | instskip(SKIP_1) | instid1(VALU_DEP_1)
	v_mov_b32_dpp v3, v2 row_shr:2 row_mask:0xf bank_mask:0xf
	s_wait_alu 0xfffd
	v_cndmask_b32_e32 v3, 0, v3, vcc_lo
	v_cmp_lt_u32_e32 vcc_lo, 3, v68
	s_delay_alu instid0(VALU_DEP_2) | instskip(NEXT) | instid1(VALU_DEP_1)
	v_add_nc_u32_e32 v2, v2, v3
	v_mov_b32_dpp v3, v2 row_shr:4 row_mask:0xf bank_mask:0xf
	s_wait_alu 0xfffd
	s_delay_alu instid0(VALU_DEP_1) | instskip(NEXT) | instid1(VALU_DEP_1)
	v_cndmask_b32_e32 v3, 0, v3, vcc_lo
	v_add_nc_u32_e32 v2, v2, v3
	ds_store_b32 v42, v2
.LBB1020_552:                           ;   in Loop: Header=BB1020_12 Depth=1
	s_wait_alu 0xfffe
	s_or_b32 exec_lo, exec_lo, s12
	v_mov_b32_e32 v2, 0
	s_wait_loadcnt_dscnt 0x0
	s_barrier_signal -1
	s_barrier_wait -1
	global_inv scope:SCOPE_SE
	s_and_saveexec_b32 s12, s5
; %bb.553:                              ;   in Loop: Header=BB1020_12 Depth=1
	ds_load_b32 v2, v44
; %bb.554:                              ;   in Loop: Header=BB1020_12 Depth=1
	s_wait_alu 0xfffe
	s_or_b32 exec_lo, exec_lo, s12
	v_cmp_gt_i32_e32 vcc_lo, 0, v69
	s_wait_dscnt 0x0
	v_add_nc_u32_e32 v0, v2, v0
	s_wait_loadcnt 0x0
	s_barrier_signal -1
	s_barrier_wait -1
	s_wait_alu 0xfffd
	v_cndmask_b32_e32 v3, v69, v60, vcc_lo
	global_inv scope:SCOPE_SE
	v_lshlrev_b32_e32 v84, 2, v3
	ds_bpermute_b32 v0, v84, v0
	s_and_saveexec_b32 s12, s2
	s_cbranch_execz .LBB1020_556
; %bb.555:                              ;   in Loop: Header=BB1020_12 Depth=1
	s_wait_dscnt 0x0
	v_cndmask_b32_e64 v0, v0, v2, s8
	s_delay_alu instid0(VALU_DEP_1)
	v_add_nc_u32_e32 v0, s33, v0
	ds_store_b32 v28, v0
.LBB1020_556:                           ;   in Loop: Header=BB1020_12 Depth=1
	s_wait_alu 0xfffe
	s_or_b32 exec_lo, exec_lo, s12
	s_load_b64 s[12:13], s[28:29], 0x0
	v_add_co_u32 v85, vcc_lo, v58, v70
	s_wait_alu 0xfffd
	v_add_co_ci_u32_e64 v86, null, 0, v59, vcc_lo
	v_add_co_u32 v87, vcc_lo, v61, v78
	s_wait_alu 0xfffd
	v_add_co_ci_u32_e64 v88, null, 0, v62, vcc_lo
	s_mov_b32 s43, s47
                                        ; implicit-def: $vgpr9_vgpr10
                                        ; implicit-def: $vgpr11_vgpr12
                                        ; implicit-def: $vgpr16_vgpr17
                                        ; implicit-def: $vgpr18_vgpr19
                                        ; implicit-def: $vgpr20_vgpr21
                                        ; implicit-def: $vgpr22_vgpr23
                                        ; implicit-def: $vgpr90
                                        ; implicit-def: $vgpr91
                                        ; implicit-def: $vgpr92
                                        ; implicit-def: $vgpr93
                                        ; implicit-def: $vgpr94
                                        ; implicit-def: $vgpr95
                                        ; implicit-def: $vgpr96
                                        ; implicit-def: $vgpr97
	s_wait_kmcnt 0x0
	s_cmp_lt_u32 ttmp7, s13
	s_cselect_b32 s30, 14, 20
	s_cmp_lt_u32 ttmp9, s12
	s_wait_alu 0xfffe
	s_add_nc_u64 s[14:15], s[28:29], s[30:31]
	s_cselect_b32 s30, 12, 18
	s_load_u16 s14, s[14:15], 0x0
	s_add_nc_u64 s[12:13], s[28:29], s[30:31]
	s_mov_b32 s30, s33
	s_load_u16 s12, s[12:13], 0x0
	v_cmp_lt_u32_e64 s13, 1, v68
	s_wait_dscnt 0x0
	s_wait_kmcnt 0x0
	v_mad_u32_u24 v0, v45, s14, v46
	v_cmp_lt_u32_e64 s14, 3, v68
	s_delay_alu instid0(VALU_DEP_2) | instskip(SKIP_1) | instid1(VALU_DEP_2)
	v_mad_co_u64_u32 v[2:3], null, v0, s12, v[13:14]
	v_cmp_eq_u32_e64 s12, 0, v68
                                        ; implicit-def: $vgpr14_vgpr15
	v_lshrrev_b32_e32 v0, 3, v2
                                        ; implicit-def: $vgpr2_vgpr3
	s_delay_alu instid0(VALU_DEP_1)
	v_and_b32_e32 v89, 0x1ffffffc, v0
	s_branch .LBB1020_558
.LBB1020_557:                           ;   in Loop: Header=BB1020_558 Depth=2
	s_wait_alu 0xfffe
	s_or_b32 exec_lo, exec_lo, s15
	s_addk_co_i32 s43, 0xf800
	s_cmp_lt_u32 s44, s34
	s_mov_b32 s30, s44
	s_cbranch_scc0 .LBB1020_10
.LBB1020_558:                           ;   Parent Loop BB1020_12 Depth=1
                                        ; =>  This Inner Loop Header: Depth=2
	s_wait_alu 0xfffe
	s_add_co_i32 s44, s30, 0x800
	s_wait_alu 0xfffe
	s_cmp_gt_u32 s44, s34
	s_cbranch_scc1 .LBB1020_560
; %bb.559:                              ;   in Loop: Header=BB1020_558 Depth=2
	s_lshl_b64 s[16:17], s[30:31], 1
	s_mov_b32 s15, -1
	s_wait_alu 0xfffe
	v_add_co_u32 v24, vcc_lo, v87, s16
	s_wait_alu 0xfffd
	v_add_co_ci_u32_e64 v25, null, s17, v88, vcc_lo
	s_clause 0x3
	global_load_u16 v5, v[24:25], off
	global_load_u16 v6, v[24:25], off offset:128
	global_load_u16 v7, v[24:25], off offset:256
	global_load_d16_b16 v8, v[24:25], off offset:384
	s_wait_loadcnt 0x3
	global_load_d16_hi_b16 v5, v[24:25], off offset:64
	s_wait_loadcnt 0x3
	global_load_d16_hi_b16 v6, v[24:25], off offset:192
	;; [unrolled: 2-line block ×3, first 2 shown]
	s_movk_i32 s16, 0x800
	s_cbranch_execz .LBB1020_561
	s_branch .LBB1020_570
.LBB1020_560:                           ;   in Loop: Header=BB1020_558 Depth=2
	s_mov_b32 s15, 0
                                        ; implicit-def: $vgpr5_vgpr6_vgpr7_vgpr8
	s_movk_i32 s16, 0x800
.LBB1020_561:                           ;   in Loop: Header=BB1020_558 Depth=2
	s_wait_loadcnt 0x0
	v_mov_b32_e32 v7, v4
	s_lshl_b64 s[16:17], s[30:31], 1
	v_dual_mov_b32 v5, v4 :: v_dual_mov_b32 v6, v4
	s_wait_alu 0xfffe
	v_add_co_u32 v24, vcc_lo, v87, s16
	v_mov_b32_e32 v8, v7
	s_wait_alu 0xfffd
	v_add_co_ci_u32_e64 v25, null, s17, v88, vcc_lo
	v_mov_b32_e32 v7, v6
	v_mov_b32_e32 v6, v5
	;; [unrolled: 1-line block ×3, first 2 shown]
	s_mov_b32 s15, exec_lo
	v_cmpx_gt_u32_e64 s43, v67
	s_cbranch_execnz .LBB1020_664
; %bb.562:                              ;   in Loop: Header=BB1020_558 Depth=2
	s_wait_alu 0xfffe
	s_or_b32 exec_lo, exec_lo, s15
	s_delay_alu instid0(SALU_CYCLE_1)
	s_mov_b32 s15, exec_lo
	v_cmpx_gt_u32_e64 s43, v71
	s_cbranch_execnz .LBB1020_665
.LBB1020_563:                           ;   in Loop: Header=BB1020_558 Depth=2
	s_wait_alu 0xfffe
	s_or_b32 exec_lo, exec_lo, s15
	s_delay_alu instid0(SALU_CYCLE_1)
	s_mov_b32 s15, exec_lo
	v_cmpx_gt_u32_e64 s43, v72
	s_cbranch_execnz .LBB1020_666
.LBB1020_564:                           ;   in Loop: Header=BB1020_558 Depth=2
	s_wait_alu 0xfffe
	s_or_b32 exec_lo, exec_lo, s15
	s_delay_alu instid0(SALU_CYCLE_1)
	s_mov_b32 s15, exec_lo
	v_cmpx_gt_u32_e64 s43, v73
	s_cbranch_execnz .LBB1020_667
.LBB1020_565:                           ;   in Loop: Header=BB1020_558 Depth=2
	s_wait_alu 0xfffe
	s_or_b32 exec_lo, exec_lo, s15
	s_delay_alu instid0(SALU_CYCLE_1)
	s_mov_b32 s15, exec_lo
	v_cmpx_gt_u32_e64 s43, v74
	s_cbranch_execnz .LBB1020_668
.LBB1020_566:                           ;   in Loop: Header=BB1020_558 Depth=2
	s_wait_alu 0xfffe
	s_or_b32 exec_lo, exec_lo, s15
	s_delay_alu instid0(SALU_CYCLE_1)
	s_mov_b32 s15, exec_lo
	v_cmpx_gt_u32_e64 s43, v75
	s_cbranch_execnz .LBB1020_669
.LBB1020_567:                           ;   in Loop: Header=BB1020_558 Depth=2
	s_wait_alu 0xfffe
	s_or_b32 exec_lo, exec_lo, s15
	s_delay_alu instid0(SALU_CYCLE_1)
	s_mov_b32 s15, exec_lo
	v_cmpx_gt_u32_e64 s43, v76
	s_cbranch_execz .LBB1020_569
.LBB1020_568:                           ;   in Loop: Header=BB1020_558 Depth=2
	global_load_d16_b16 v8, v[24:25], off offset:384
.LBB1020_569:                           ;   in Loop: Header=BB1020_558 Depth=2
	s_wait_alu 0xfffe
	s_or_b32 exec_lo, exec_lo, s15
	v_cmp_gt_u32_e64 s15, s43, v77
	s_sub_co_i32 s16, s34, s30
.LBB1020_570:                           ;   in Loop: Header=BB1020_558 Depth=2
	v_mov_b32_e32 v98, s43
	s_and_saveexec_b32 s17, s15
	s_cbranch_execz .LBB1020_572
; %bb.571:                              ;   in Loop: Header=BB1020_558 Depth=2
	s_lshl_b64 s[18:19], s[30:31], 1
	s_wait_alu 0xfffe
	v_mov_b32_e32 v98, s16
	v_add_co_u32 v24, vcc_lo, v87, s18
	s_wait_alu 0xfffd
	v_add_co_ci_u32_e64 v25, null, s19, v88, vcc_lo
	s_wait_loadcnt 0x0
	global_load_d16_hi_b16 v8, v[24:25], off offset:448
.LBB1020_572:                           ;   in Loop: Header=BB1020_558 Depth=2
	s_wait_alu 0xfffe
	s_or_b32 exec_lo, exec_lo, s17
	s_wait_loadcnt 0x0
	v_xor_b32_e32 v0, 0xffff8000, v5
	s_delay_alu instid0(VALU_DEP_1) | instskip(NEXT) | instid1(VALU_DEP_1)
	v_and_b32_e32 v24, 0xffff, v0
	v_lshrrev_b32_e32 v24, s45, v24
	s_delay_alu instid0(VALU_DEP_1) | instskip(NEXT) | instid1(VALU_DEP_1)
	v_and_b32_e32 v25, s42, v24
	v_and_b32_e32 v24, 1, v25
	v_lshlrev_b32_e32 v26, 30, v25
	v_lshlrev_b32_e32 v27, 29, v25
	;; [unrolled: 1-line block ×4, first 2 shown]
	v_add_co_u32 v24, s15, v24, -1
	s_wait_alu 0xf1ff
	v_cndmask_b32_e64 v100, 0, 1, s15
	v_not_b32_e32 v104, v26
	v_cmp_gt_i32_e64 s15, 0, v26
	v_not_b32_e32 v26, v27
	v_lshlrev_b32_e32 v102, 26, v25
	v_cmp_ne_u32_e32 vcc_lo, 0, v100
	v_ashrrev_i32_e32 v104, 31, v104
	v_lshlrev_b32_e32 v103, 25, v25
	v_ashrrev_i32_e32 v26, 31, v26
	v_lshlrev_b32_e32 v100, 24, v25
	s_wait_alu 0xfffd
	v_xor_b32_e32 v24, vcc_lo, v24
	v_cmp_gt_i32_e32 vcc_lo, 0, v27
	v_not_b32_e32 v27, v99
	s_wait_alu 0xf1ff
	v_xor_b32_e32 v104, s15, v104
	v_cmp_gt_i32_e64 s15, 0, v99
	v_and_b32_e32 v24, exec_lo, v24
	v_not_b32_e32 v99, v101
	v_ashrrev_i32_e32 v27, 31, v27
	s_wait_alu 0xfffd
	v_xor_b32_e32 v26, vcc_lo, v26
	v_cmp_gt_i32_e32 vcc_lo, 0, v101
	v_and_b32_e32 v24, v24, v104
	v_not_b32_e32 v101, v102
	v_ashrrev_i32_e32 v99, 31, v99
	s_wait_alu 0xf1ff
	v_xor_b32_e32 v27, s15, v27
	v_cmp_gt_i32_e64 s15, 0, v102
	v_and_b32_e32 v24, v24, v26
	v_not_b32_e32 v26, v103
	v_ashrrev_i32_e32 v101, 31, v101
	s_wait_alu 0xfffd
	v_xor_b32_e32 v99, vcc_lo, v99
	v_cmp_gt_i32_e32 vcc_lo, 0, v103
	v_and_b32_e32 v24, v24, v27
	v_not_b32_e32 v27, v100
	v_ashrrev_i32_e32 v26, 31, v26
	s_wait_alu 0xf1ff
	v_xor_b32_e32 v101, s15, v101
	v_cmp_gt_i32_e64 s15, 0, v100
	v_and_b32_e32 v24, v24, v99
	v_ashrrev_i32_e32 v27, 31, v27
	s_wait_alu 0xfffd
	v_xor_b32_e32 v26, vcc_lo, v26
	v_mul_u32_u24_e32 v25, 36, v25
	v_add_nc_u32_e32 v102, 0x420, v43
	v_and_b32_e32 v24, v24, v101
	s_wait_alu 0xf1ff
	v_xor_b32_e32 v27, s15, v27
	v_add_nc_u32_e32 v101, 0x438, v43
	v_add_nc_u32_e32 v103, 0x428, v43
	;; [unrolled: 1-line block ×3, first 2 shown]
	v_and_b32_e32 v24, v24, v26
	v_add_nc_u32_e32 v105, v89, v25
	ds_store_2addr_b32 v101, v1, v1 offset1:1
	ds_store_2addr_b32 v102, v1, v1 offset1:1
	;; [unrolled: 1-line block ×4, first 2 shown]
	ds_store_b32 v43, v1 offset:1088
	s_wait_dscnt 0x0
	v_and_b32_e32 v24, v24, v27
	s_barrier_signal -1
	s_barrier_wait -1
	global_inv scope:SCOPE_SE
	v_mbcnt_lo_u32_b32 v99, v24, 0
	v_cmp_ne_u32_e64 s15, 0, v24
	; wave barrier
	s_delay_alu instid0(VALU_DEP_2)
	v_cmp_eq_u32_e32 vcc_lo, 0, v99
	s_and_b32 s16, s15, vcc_lo
	s_wait_alu 0xfffe
	s_and_saveexec_b32 s15, s16
; %bb.573:                              ;   in Loop: Header=BB1020_558 Depth=2
	v_bcnt_u32_b32 v24, v24, 0
	ds_store_b32 v105, v24 offset:1056
; %bb.574:                              ;   in Loop: Header=BB1020_558 Depth=2
	s_wait_alu 0xfffe
	s_or_b32 exec_lo, exec_lo, s15
	v_lshrrev_b32_e32 v5, 16, v5
	; wave barrier
	s_delay_alu instid0(VALU_DEP_1) | instskip(NEXT) | instid1(VALU_DEP_1)
	v_xor_b32_e32 v100, 0xffff8000, v5
	v_and_b32_e32 v5, 0xffff, v100
	s_delay_alu instid0(VALU_DEP_1) | instskip(NEXT) | instid1(VALU_DEP_1)
	v_lshrrev_b32_e32 v5, s45, v5
	v_and_b32_e32 v24, s42, v5
	s_delay_alu instid0(VALU_DEP_1)
	v_and_b32_e32 v5, 1, v24
	v_lshlrev_b32_e32 v25, 30, v24
	v_lshlrev_b32_e32 v26, 29, v24
	;; [unrolled: 1-line block ×4, first 2 shown]
	v_add_co_u32 v5, s15, v5, -1
	s_wait_alu 0xf1ff
	v_cndmask_b32_e64 v106, 0, 1, s15
	v_not_b32_e32 v110, v25
	v_cmp_gt_i32_e64 s15, 0, v25
	v_not_b32_e32 v25, v26
	v_lshlrev_b32_e32 v108, 26, v24
	v_cmp_ne_u32_e32 vcc_lo, 0, v106
	v_ashrrev_i32_e32 v110, 31, v110
	v_lshlrev_b32_e32 v109, 25, v24
	v_ashrrev_i32_e32 v25, 31, v25
	v_lshlrev_b32_e32 v106, 24, v24
	s_wait_alu 0xfffd
	v_xor_b32_e32 v5, vcc_lo, v5
	v_cmp_gt_i32_e32 vcc_lo, 0, v26
	v_not_b32_e32 v26, v27
	s_wait_alu 0xf1ff
	v_xor_b32_e32 v110, s15, v110
	v_cmp_gt_i32_e64 s15, 0, v27
	v_and_b32_e32 v5, exec_lo, v5
	v_not_b32_e32 v27, v107
	v_ashrrev_i32_e32 v26, 31, v26
	s_wait_alu 0xfffd
	v_xor_b32_e32 v25, vcc_lo, v25
	v_cmp_gt_i32_e32 vcc_lo, 0, v107
	v_and_b32_e32 v5, v5, v110
	v_not_b32_e32 v107, v108
	v_ashrrev_i32_e32 v27, 31, v27
	s_wait_alu 0xf1ff
	v_xor_b32_e32 v26, s15, v26
	v_cmp_gt_i32_e64 s15, 0, v108
	v_and_b32_e32 v5, v5, v25
	v_not_b32_e32 v25, v109
	v_ashrrev_i32_e32 v107, 31, v107
	s_wait_alu 0xfffd
	v_xor_b32_e32 v27, vcc_lo, v27
	v_cmp_gt_i32_e32 vcc_lo, 0, v109
	v_and_b32_e32 v5, v5, v26
	v_not_b32_e32 v26, v106
	v_ashrrev_i32_e32 v25, 31, v25
	s_wait_alu 0xf1ff
	v_xor_b32_e32 v107, s15, v107
	v_cmp_gt_i32_e64 s15, 0, v106
	v_and_b32_e32 v5, v5, v27
	v_ashrrev_i32_e32 v26, 31, v26
	s_wait_alu 0xfffd
	v_xor_b32_e32 v25, vcc_lo, v25
	v_mad_u32_u24 v27, v24, 36, v89
	v_mul_u32_u24_e32 v24, 36, v24
	v_and_b32_e32 v5, v5, v107
	s_wait_alu 0xf1ff
	v_xor_b32_e32 v26, s15, v26
	ds_load_b32 v106, v27 offset:1056
	v_add_nc_u32_e32 v109, v89, v24
	v_and_b32_e32 v5, v5, v25
	; wave barrier
	s_delay_alu instid0(VALU_DEP_1) | instskip(NEXT) | instid1(VALU_DEP_1)
	v_and_b32_e32 v5, v5, v26
	v_mbcnt_lo_u32_b32 v107, v5, 0
	v_cmp_ne_u32_e64 s15, 0, v5
	s_delay_alu instid0(VALU_DEP_2)
	v_cmp_eq_u32_e32 vcc_lo, 0, v107
	s_and_b32 s16, s15, vcc_lo
	s_wait_alu 0xfffe
	s_and_saveexec_b32 s15, s16
	s_cbranch_execz .LBB1020_576
; %bb.575:                              ;   in Loop: Header=BB1020_558 Depth=2
	s_wait_dscnt 0x0
	v_bcnt_u32_b32 v5, v5, v106
	ds_store_b32 v109, v5 offset:1056
.LBB1020_576:                           ;   in Loop: Header=BB1020_558 Depth=2
	s_wait_alu 0xfffe
	s_or_b32 exec_lo, exec_lo, s15
	v_xor_b32_e32 v108, 0xffff8000, v6
	; wave barrier
	s_delay_alu instid0(VALU_DEP_1) | instskip(NEXT) | instid1(VALU_DEP_1)
	v_and_b32_e32 v5, 0xffff, v108
	v_lshrrev_b32_e32 v5, s45, v5
	s_delay_alu instid0(VALU_DEP_1) | instskip(NEXT) | instid1(VALU_DEP_1)
	v_and_b32_e32 v24, s42, v5
	v_and_b32_e32 v5, 1, v24
	v_lshlrev_b32_e32 v25, 30, v24
	v_lshlrev_b32_e32 v26, 29, v24
	v_lshlrev_b32_e32 v27, 28, v24
	v_lshlrev_b32_e32 v111, 27, v24
	v_add_co_u32 v5, s15, v5, -1
	s_wait_alu 0xf1ff
	v_cndmask_b32_e64 v110, 0, 1, s15
	v_not_b32_e32 v114, v25
	v_cmp_gt_i32_e64 s15, 0, v25
	v_not_b32_e32 v25, v26
	v_lshlrev_b32_e32 v112, 26, v24
	v_cmp_ne_u32_e32 vcc_lo, 0, v110
	v_ashrrev_i32_e32 v114, 31, v114
	v_lshlrev_b32_e32 v113, 25, v24
	v_ashrrev_i32_e32 v25, 31, v25
	v_lshlrev_b32_e32 v110, 24, v24
	s_wait_alu 0xfffd
	v_xor_b32_e32 v5, vcc_lo, v5
	v_cmp_gt_i32_e32 vcc_lo, 0, v26
	v_not_b32_e32 v26, v27
	s_wait_alu 0xf1ff
	v_xor_b32_e32 v114, s15, v114
	v_cmp_gt_i32_e64 s15, 0, v27
	v_and_b32_e32 v5, exec_lo, v5
	v_not_b32_e32 v27, v111
	v_ashrrev_i32_e32 v26, 31, v26
	s_wait_alu 0xfffd
	v_xor_b32_e32 v25, vcc_lo, v25
	v_cmp_gt_i32_e32 vcc_lo, 0, v111
	v_and_b32_e32 v5, v5, v114
	v_not_b32_e32 v111, v112
	v_ashrrev_i32_e32 v27, 31, v27
	s_wait_alu 0xf1ff
	v_xor_b32_e32 v26, s15, v26
	v_cmp_gt_i32_e64 s15, 0, v112
	v_and_b32_e32 v5, v5, v25
	v_not_b32_e32 v25, v113
	v_ashrrev_i32_e32 v111, 31, v111
	s_wait_alu 0xfffd
	v_xor_b32_e32 v27, vcc_lo, v27
	v_cmp_gt_i32_e32 vcc_lo, 0, v113
	v_and_b32_e32 v5, v5, v26
	v_not_b32_e32 v26, v110
	v_ashrrev_i32_e32 v25, 31, v25
	s_wait_alu 0xf1ff
	v_xor_b32_e32 v111, s15, v111
	v_cmp_gt_i32_e64 s15, 0, v110
	v_and_b32_e32 v5, v5, v27
	v_ashrrev_i32_e32 v26, 31, v26
	s_wait_alu 0xfffd
	v_xor_b32_e32 v25, vcc_lo, v25
	v_mad_u32_u24 v27, v24, 36, v89
	v_mul_u32_u24_e32 v24, 36, v24
	v_and_b32_e32 v5, v5, v111
	s_wait_alu 0xf1ff
	v_xor_b32_e32 v26, s15, v26
	ds_load_b32 v110, v27 offset:1056
	v_add_nc_u32_e32 v113, v89, v24
	v_and_b32_e32 v5, v5, v25
	; wave barrier
	s_delay_alu instid0(VALU_DEP_1) | instskip(NEXT) | instid1(VALU_DEP_1)
	v_and_b32_e32 v5, v5, v26
	v_mbcnt_lo_u32_b32 v112, v5, 0
	v_cmp_ne_u32_e64 s15, 0, v5
	s_delay_alu instid0(VALU_DEP_2)
	v_cmp_eq_u32_e32 vcc_lo, 0, v112
	s_and_b32 s16, s15, vcc_lo
	s_wait_alu 0xfffe
	s_and_saveexec_b32 s15, s16
	s_cbranch_execz .LBB1020_578
; %bb.577:                              ;   in Loop: Header=BB1020_558 Depth=2
	s_wait_dscnt 0x0
	v_bcnt_u32_b32 v5, v5, v110
	ds_store_b32 v113, v5 offset:1056
.LBB1020_578:                           ;   in Loop: Header=BB1020_558 Depth=2
	s_wait_alu 0xfffe
	s_or_b32 exec_lo, exec_lo, s15
	v_lshrrev_b32_e32 v5, 16, v6
	; wave barrier
	s_delay_alu instid0(VALU_DEP_1) | instskip(NEXT) | instid1(VALU_DEP_1)
	v_xor_b32_e32 v111, 0xffff8000, v5
	v_and_b32_e32 v5, 0xffff, v111
	s_delay_alu instid0(VALU_DEP_1) | instskip(NEXT) | instid1(VALU_DEP_1)
	v_lshrrev_b32_e32 v5, s45, v5
	v_and_b32_e32 v6, s42, v5
	s_delay_alu instid0(VALU_DEP_1)
	v_and_b32_e32 v5, 1, v6
	v_lshlrev_b32_e32 v24, 30, v6
	v_lshlrev_b32_e32 v25, 29, v6
	;; [unrolled: 1-line block ×4, first 2 shown]
	v_add_co_u32 v5, s15, v5, -1
	s_wait_alu 0xf1ff
	v_cndmask_b32_e64 v27, 0, 1, s15
	v_not_b32_e32 v117, v24
	v_cmp_gt_i32_e64 s15, 0, v24
	v_not_b32_e32 v24, v25
	v_lshlrev_b32_e32 v115, 26, v6
	v_cmp_ne_u32_e32 vcc_lo, 0, v27
	v_ashrrev_i32_e32 v117, 31, v117
	v_lshlrev_b32_e32 v116, 25, v6
	v_ashrrev_i32_e32 v24, 31, v24
	v_lshlrev_b32_e32 v27, 24, v6
	s_wait_alu 0xfffd
	v_xor_b32_e32 v5, vcc_lo, v5
	v_cmp_gt_i32_e32 vcc_lo, 0, v25
	v_not_b32_e32 v25, v26
	s_wait_alu 0xf1ff
	v_xor_b32_e32 v117, s15, v117
	v_cmp_gt_i32_e64 s15, 0, v26
	v_and_b32_e32 v5, exec_lo, v5
	v_not_b32_e32 v26, v114
	v_ashrrev_i32_e32 v25, 31, v25
	s_wait_alu 0xfffd
	v_xor_b32_e32 v24, vcc_lo, v24
	v_cmp_gt_i32_e32 vcc_lo, 0, v114
	v_and_b32_e32 v5, v5, v117
	v_not_b32_e32 v114, v115
	v_ashrrev_i32_e32 v26, 31, v26
	s_wait_alu 0xf1ff
	v_xor_b32_e32 v25, s15, v25
	v_cmp_gt_i32_e64 s15, 0, v115
	v_and_b32_e32 v5, v5, v24
	v_not_b32_e32 v24, v116
	v_ashrrev_i32_e32 v114, 31, v114
	s_wait_alu 0xfffd
	v_xor_b32_e32 v26, vcc_lo, v26
	v_cmp_gt_i32_e32 vcc_lo, 0, v116
	v_and_b32_e32 v5, v5, v25
	v_not_b32_e32 v25, v27
	v_ashrrev_i32_e32 v24, 31, v24
	s_wait_alu 0xf1ff
	v_xor_b32_e32 v114, s15, v114
	v_cmp_gt_i32_e64 s15, 0, v27
	v_and_b32_e32 v5, v5, v26
	v_ashrrev_i32_e32 v25, 31, v25
	s_wait_alu 0xfffd
	v_xor_b32_e32 v24, vcc_lo, v24
	v_mad_u32_u24 v26, v6, 36, v89
	v_mul_u32_u24_e32 v6, 36, v6
	v_and_b32_e32 v5, v5, v114
	s_wait_alu 0xf1ff
	v_xor_b32_e32 v25, s15, v25
	ds_load_b32 v114, v26 offset:1056
	v_add_nc_u32_e32 v117, v89, v6
	v_and_b32_e32 v5, v5, v24
	; wave barrier
	s_delay_alu instid0(VALU_DEP_1) | instskip(NEXT) | instid1(VALU_DEP_1)
	v_and_b32_e32 v5, v5, v25
	v_mbcnt_lo_u32_b32 v116, v5, 0
	v_cmp_ne_u32_e64 s15, 0, v5
	s_delay_alu instid0(VALU_DEP_2)
	v_cmp_eq_u32_e32 vcc_lo, 0, v116
	s_and_b32 s16, s15, vcc_lo
	s_wait_alu 0xfffe
	s_and_saveexec_b32 s15, s16
	s_cbranch_execz .LBB1020_580
; %bb.579:                              ;   in Loop: Header=BB1020_558 Depth=2
	s_wait_dscnt 0x0
	v_bcnt_u32_b32 v5, v5, v114
	ds_store_b32 v117, v5 offset:1056
.LBB1020_580:                           ;   in Loop: Header=BB1020_558 Depth=2
	s_wait_alu 0xfffe
	s_or_b32 exec_lo, exec_lo, s15
	v_xor_b32_e32 v115, 0xffff8000, v7
	; wave barrier
	s_delay_alu instid0(VALU_DEP_1) | instskip(NEXT) | instid1(VALU_DEP_1)
	v_and_b32_e32 v5, 0xffff, v115
	v_lshrrev_b32_e32 v5, s45, v5
	s_delay_alu instid0(VALU_DEP_1) | instskip(NEXT) | instid1(VALU_DEP_1)
	v_and_b32_e32 v6, s42, v5
	v_and_b32_e32 v5, 1, v6
	v_lshlrev_b32_e32 v24, 30, v6
	v_lshlrev_b32_e32 v25, 29, v6
	;; [unrolled: 1-line block ×4, first 2 shown]
	v_add_co_u32 v5, s15, v5, -1
	s_wait_alu 0xf1ff
	v_cndmask_b32_e64 v27, 0, 1, s15
	v_not_b32_e32 v121, v24
	v_cmp_gt_i32_e64 s15, 0, v24
	v_not_b32_e32 v24, v25
	v_lshlrev_b32_e32 v119, 26, v6
	v_cmp_ne_u32_e32 vcc_lo, 0, v27
	v_ashrrev_i32_e32 v121, 31, v121
	v_lshlrev_b32_e32 v120, 25, v6
	v_ashrrev_i32_e32 v24, 31, v24
	v_lshlrev_b32_e32 v27, 24, v6
	s_wait_alu 0xfffd
	v_xor_b32_e32 v5, vcc_lo, v5
	v_cmp_gt_i32_e32 vcc_lo, 0, v25
	v_not_b32_e32 v25, v26
	s_wait_alu 0xf1ff
	v_xor_b32_e32 v121, s15, v121
	v_cmp_gt_i32_e64 s15, 0, v26
	v_and_b32_e32 v5, exec_lo, v5
	v_not_b32_e32 v26, v118
	v_ashrrev_i32_e32 v25, 31, v25
	s_wait_alu 0xfffd
	v_xor_b32_e32 v24, vcc_lo, v24
	v_cmp_gt_i32_e32 vcc_lo, 0, v118
	v_and_b32_e32 v5, v5, v121
	v_not_b32_e32 v118, v119
	v_ashrrev_i32_e32 v26, 31, v26
	s_wait_alu 0xf1ff
	v_xor_b32_e32 v25, s15, v25
	v_cmp_gt_i32_e64 s15, 0, v119
	v_and_b32_e32 v5, v5, v24
	v_not_b32_e32 v24, v120
	v_ashrrev_i32_e32 v118, 31, v118
	s_wait_alu 0xfffd
	v_xor_b32_e32 v26, vcc_lo, v26
	v_cmp_gt_i32_e32 vcc_lo, 0, v120
	v_and_b32_e32 v5, v5, v25
	v_not_b32_e32 v25, v27
	v_ashrrev_i32_e32 v24, 31, v24
	s_wait_alu 0xf1ff
	v_xor_b32_e32 v118, s15, v118
	v_cmp_gt_i32_e64 s15, 0, v27
	v_and_b32_e32 v5, v5, v26
	v_ashrrev_i32_e32 v25, 31, v25
	s_wait_alu 0xfffd
	v_xor_b32_e32 v24, vcc_lo, v24
	v_mad_u32_u24 v26, v6, 36, v89
	v_mul_u32_u24_e32 v6, 36, v6
	v_and_b32_e32 v5, v5, v118
	s_wait_alu 0xf1ff
	v_xor_b32_e32 v25, s15, v25
	ds_load_b32 v118, v26 offset:1056
	v_add_nc_u32_e32 v121, v89, v6
	v_and_b32_e32 v5, v5, v24
	; wave barrier
	s_delay_alu instid0(VALU_DEP_1) | instskip(NEXT) | instid1(VALU_DEP_1)
	v_and_b32_e32 v5, v5, v25
	v_mbcnt_lo_u32_b32 v120, v5, 0
	v_cmp_ne_u32_e64 s15, 0, v5
	s_delay_alu instid0(VALU_DEP_2)
	v_cmp_eq_u32_e32 vcc_lo, 0, v120
	s_and_b32 s16, s15, vcc_lo
	s_wait_alu 0xfffe
	s_and_saveexec_b32 s15, s16
	s_cbranch_execz .LBB1020_582
; %bb.581:                              ;   in Loop: Header=BB1020_558 Depth=2
	s_wait_dscnt 0x0
	v_bcnt_u32_b32 v5, v5, v118
	ds_store_b32 v121, v5 offset:1056
.LBB1020_582:                           ;   in Loop: Header=BB1020_558 Depth=2
	s_wait_alu 0xfffe
	s_or_b32 exec_lo, exec_lo, s15
	v_lshrrev_b32_e32 v5, 16, v7
	; wave barrier
	s_delay_alu instid0(VALU_DEP_1) | instskip(NEXT) | instid1(VALU_DEP_1)
	v_xor_b32_e32 v119, 0xffff8000, v5
	v_and_b32_e32 v5, 0xffff, v119
	s_delay_alu instid0(VALU_DEP_1) | instskip(NEXT) | instid1(VALU_DEP_1)
	v_lshrrev_b32_e32 v5, s45, v5
	v_and_b32_e32 v6, s42, v5
	s_delay_alu instid0(VALU_DEP_1)
	v_and_b32_e32 v5, 1, v6
	v_lshlrev_b32_e32 v7, 30, v6
	v_lshlrev_b32_e32 v24, 29, v6
	;; [unrolled: 1-line block ×4, first 2 shown]
	v_add_co_u32 v5, s15, v5, -1
	s_wait_alu 0xf1ff
	v_cndmask_b32_e64 v26, 0, 1, s15
	v_not_b32_e32 v124, v7
	v_cmp_gt_i32_e64 s15, 0, v7
	v_not_b32_e32 v7, v24
	v_lshlrev_b32_e32 v122, 26, v6
	v_cmp_ne_u32_e32 vcc_lo, 0, v26
	v_ashrrev_i32_e32 v124, 31, v124
	v_lshlrev_b32_e32 v123, 25, v6
	v_ashrrev_i32_e32 v7, 31, v7
	v_lshlrev_b32_e32 v26, 24, v6
	s_wait_alu 0xfffd
	v_xor_b32_e32 v5, vcc_lo, v5
	v_cmp_gt_i32_e32 vcc_lo, 0, v24
	v_not_b32_e32 v24, v25
	s_wait_alu 0xf1ff
	v_xor_b32_e32 v124, s15, v124
	v_cmp_gt_i32_e64 s15, 0, v25
	v_and_b32_e32 v5, exec_lo, v5
	v_not_b32_e32 v25, v27
	v_ashrrev_i32_e32 v24, 31, v24
	s_wait_alu 0xfffd
	v_xor_b32_e32 v7, vcc_lo, v7
	v_cmp_gt_i32_e32 vcc_lo, 0, v27
	v_and_b32_e32 v5, v5, v124
	v_not_b32_e32 v27, v122
	v_ashrrev_i32_e32 v25, 31, v25
	s_wait_alu 0xf1ff
	v_xor_b32_e32 v24, s15, v24
	v_cmp_gt_i32_e64 s15, 0, v122
	v_and_b32_e32 v5, v5, v7
	v_not_b32_e32 v7, v123
	v_ashrrev_i32_e32 v27, 31, v27
	s_wait_alu 0xfffd
	v_xor_b32_e32 v25, vcc_lo, v25
	v_cmp_gt_i32_e32 vcc_lo, 0, v123
	v_and_b32_e32 v5, v5, v24
	v_not_b32_e32 v24, v26
	v_ashrrev_i32_e32 v7, 31, v7
	s_wait_alu 0xf1ff
	v_xor_b32_e32 v27, s15, v27
	v_cmp_gt_i32_e64 s15, 0, v26
	v_and_b32_e32 v5, v5, v25
	v_ashrrev_i32_e32 v24, 31, v24
	s_wait_alu 0xfffd
	v_xor_b32_e32 v7, vcc_lo, v7
	v_mad_u32_u24 v25, v6, 36, v89
	v_mul_u32_u24_e32 v6, 36, v6
	v_and_b32_e32 v5, v5, v27
	s_wait_alu 0xf1ff
	v_xor_b32_e32 v24, s15, v24
	ds_load_b32 v122, v25 offset:1056
	v_add_nc_u32_e32 v125, v89, v6
	v_and_b32_e32 v5, v5, v7
	; wave barrier
	s_delay_alu instid0(VALU_DEP_1) | instskip(NEXT) | instid1(VALU_DEP_1)
	v_and_b32_e32 v5, v5, v24
	v_mbcnt_lo_u32_b32 v124, v5, 0
	v_cmp_ne_u32_e64 s15, 0, v5
	s_delay_alu instid0(VALU_DEP_2)
	v_cmp_eq_u32_e32 vcc_lo, 0, v124
	s_and_b32 s16, s15, vcc_lo
	s_wait_alu 0xfffe
	s_and_saveexec_b32 s15, s16
	s_cbranch_execz .LBB1020_584
; %bb.583:                              ;   in Loop: Header=BB1020_558 Depth=2
	s_wait_dscnt 0x0
	v_bcnt_u32_b32 v5, v5, v122
	ds_store_b32 v125, v5 offset:1056
.LBB1020_584:                           ;   in Loop: Header=BB1020_558 Depth=2
	s_wait_alu 0xfffe
	s_or_b32 exec_lo, exec_lo, s15
	v_xor_b32_e32 v123, 0xffff8000, v8
	; wave barrier
	s_delay_alu instid0(VALU_DEP_1) | instskip(NEXT) | instid1(VALU_DEP_1)
	v_and_b32_e32 v5, 0xffff, v123
	v_lshrrev_b32_e32 v5, s45, v5
	s_delay_alu instid0(VALU_DEP_1) | instskip(NEXT) | instid1(VALU_DEP_1)
	v_and_b32_e32 v6, s42, v5
	v_and_b32_e32 v5, 1, v6
	v_lshlrev_b32_e32 v7, 30, v6
	v_lshlrev_b32_e32 v24, 29, v6
	;; [unrolled: 1-line block ×4, first 2 shown]
	v_add_co_u32 v5, s15, v5, -1
	s_wait_alu 0xf1ff
	v_cndmask_b32_e64 v26, 0, 1, s15
	v_not_b32_e32 v128, v7
	v_cmp_gt_i32_e64 s15, 0, v7
	v_not_b32_e32 v7, v24
	v_lshlrev_b32_e32 v126, 26, v6
	v_cmp_ne_u32_e32 vcc_lo, 0, v26
	v_ashrrev_i32_e32 v128, 31, v128
	v_lshlrev_b32_e32 v127, 25, v6
	v_ashrrev_i32_e32 v7, 31, v7
	v_lshlrev_b32_e32 v26, 24, v6
	s_wait_alu 0xfffd
	v_xor_b32_e32 v5, vcc_lo, v5
	v_cmp_gt_i32_e32 vcc_lo, 0, v24
	v_not_b32_e32 v24, v25
	s_wait_alu 0xf1ff
	v_xor_b32_e32 v128, s15, v128
	v_cmp_gt_i32_e64 s15, 0, v25
	v_and_b32_e32 v5, exec_lo, v5
	v_not_b32_e32 v25, v27
	v_ashrrev_i32_e32 v24, 31, v24
	s_wait_alu 0xfffd
	v_xor_b32_e32 v7, vcc_lo, v7
	v_cmp_gt_i32_e32 vcc_lo, 0, v27
	v_and_b32_e32 v5, v5, v128
	v_not_b32_e32 v27, v126
	v_ashrrev_i32_e32 v25, 31, v25
	s_wait_alu 0xf1ff
	v_xor_b32_e32 v24, s15, v24
	v_cmp_gt_i32_e64 s15, 0, v126
	v_and_b32_e32 v5, v5, v7
	v_not_b32_e32 v7, v127
	v_ashrrev_i32_e32 v27, 31, v27
	s_wait_alu 0xfffd
	v_xor_b32_e32 v25, vcc_lo, v25
	v_cmp_gt_i32_e32 vcc_lo, 0, v127
	v_and_b32_e32 v5, v5, v24
	v_not_b32_e32 v24, v26
	v_ashrrev_i32_e32 v7, 31, v7
	s_wait_alu 0xf1ff
	v_xor_b32_e32 v27, s15, v27
	v_cmp_gt_i32_e64 s15, 0, v26
	v_and_b32_e32 v5, v5, v25
	v_ashrrev_i32_e32 v24, 31, v24
	s_wait_alu 0xfffd
	v_xor_b32_e32 v7, vcc_lo, v7
	v_mad_u32_u24 v25, v6, 36, v89
	v_mul_u32_u24_e32 v6, 36, v6
	v_and_b32_e32 v5, v5, v27
	s_wait_alu 0xf1ff
	v_xor_b32_e32 v24, s15, v24
	ds_load_b32 v126, v25 offset:1056
	v_add_nc_u32_e32 v129, v89, v6
	v_and_b32_e32 v5, v5, v7
	; wave barrier
	s_delay_alu instid0(VALU_DEP_1) | instskip(NEXT) | instid1(VALU_DEP_1)
	v_and_b32_e32 v5, v5, v24
	v_mbcnt_lo_u32_b32 v127, v5, 0
	v_cmp_ne_u32_e64 s15, 0, v5
	s_delay_alu instid0(VALU_DEP_2)
	v_cmp_eq_u32_e32 vcc_lo, 0, v127
	s_and_b32 s16, s15, vcc_lo
	s_wait_alu 0xfffe
	s_and_saveexec_b32 s15, s16
	s_cbranch_execz .LBB1020_586
; %bb.585:                              ;   in Loop: Header=BB1020_558 Depth=2
	s_wait_dscnt 0x0
	v_bcnt_u32_b32 v5, v5, v126
	ds_store_b32 v129, v5 offset:1056
.LBB1020_586:                           ;   in Loop: Header=BB1020_558 Depth=2
	s_wait_alu 0xfffe
	s_or_b32 exec_lo, exec_lo, s15
	v_lshrrev_b32_e32 v5, 16, v8
	; wave barrier
	s_delay_alu instid0(VALU_DEP_1) | instskip(NEXT) | instid1(VALU_DEP_1)
	v_xor_b32_e32 v128, 0xffff8000, v5
	v_and_b32_e32 v5, 0xffff, v128
	s_delay_alu instid0(VALU_DEP_1) | instskip(NEXT) | instid1(VALU_DEP_1)
	v_lshrrev_b32_e32 v5, s45, v5
	v_and_b32_e32 v6, s42, v5
	s_delay_alu instid0(VALU_DEP_1)
	v_and_b32_e32 v5, 1, v6
	v_lshlrev_b32_e32 v7, 30, v6
	v_lshlrev_b32_e32 v8, 29, v6
	;; [unrolled: 1-line block ×4, first 2 shown]
	v_add_co_u32 v5, s15, v5, -1
	s_wait_alu 0xf1ff
	v_cndmask_b32_e64 v25, 0, 1, s15
	v_not_b32_e32 v131, v7
	v_cmp_gt_i32_e64 s15, 0, v7
	v_not_b32_e32 v7, v8
	v_lshlrev_b32_e32 v27, 26, v6
	v_cmp_ne_u32_e32 vcc_lo, 0, v25
	v_ashrrev_i32_e32 v131, 31, v131
	v_lshlrev_b32_e32 v130, 25, v6
	v_ashrrev_i32_e32 v7, 31, v7
	v_lshlrev_b32_e32 v25, 24, v6
	s_wait_alu 0xfffd
	v_xor_b32_e32 v5, vcc_lo, v5
	v_cmp_gt_i32_e32 vcc_lo, 0, v8
	v_not_b32_e32 v8, v24
	s_wait_alu 0xf1ff
	v_xor_b32_e32 v131, s15, v131
	v_cmp_gt_i32_e64 s15, 0, v24
	v_and_b32_e32 v5, exec_lo, v5
	v_not_b32_e32 v24, v26
	v_ashrrev_i32_e32 v8, 31, v8
	s_wait_alu 0xfffd
	v_xor_b32_e32 v7, vcc_lo, v7
	v_cmp_gt_i32_e32 vcc_lo, 0, v26
	v_and_b32_e32 v5, v5, v131
	v_not_b32_e32 v26, v27
	v_ashrrev_i32_e32 v24, 31, v24
	s_wait_alu 0xf1ff
	v_xor_b32_e32 v8, s15, v8
	v_cmp_gt_i32_e64 s15, 0, v27
	v_and_b32_e32 v5, v5, v7
	v_not_b32_e32 v7, v130
	v_ashrrev_i32_e32 v26, 31, v26
	s_wait_alu 0xfffd
	v_xor_b32_e32 v24, vcc_lo, v24
	v_cmp_gt_i32_e32 vcc_lo, 0, v130
	v_and_b32_e32 v5, v5, v8
	v_not_b32_e32 v8, v25
	v_ashrrev_i32_e32 v7, 31, v7
	s_wait_alu 0xf1ff
	v_xor_b32_e32 v26, s15, v26
	v_cmp_gt_i32_e64 s15, 0, v25
	v_and_b32_e32 v5, v5, v24
	v_ashrrev_i32_e32 v8, 31, v8
	s_wait_alu 0xfffd
	v_xor_b32_e32 v7, vcc_lo, v7
	v_mad_u32_u24 v24, v6, 36, v89
	v_mul_u32_u24_e32 v6, 36, v6
	v_and_b32_e32 v5, v5, v26
	s_wait_alu 0xf1ff
	v_xor_b32_e32 v8, s15, v8
	ds_load_b32 v130, v24 offset:1056
	v_add_nc_u32_e32 v132, v89, v6
	v_and_b32_e32 v5, v5, v7
	; wave barrier
	s_delay_alu instid0(VALU_DEP_1) | instskip(NEXT) | instid1(VALU_DEP_1)
	v_and_b32_e32 v5, v5, v8
	v_mbcnt_lo_u32_b32 v131, v5, 0
	v_cmp_ne_u32_e64 s15, 0, v5
	s_delay_alu instid0(VALU_DEP_2)
	v_cmp_eq_u32_e32 vcc_lo, 0, v131
	s_and_b32 s16, s15, vcc_lo
	s_wait_alu 0xfffe
	s_and_saveexec_b32 s15, s16
	s_cbranch_execz .LBB1020_588
; %bb.587:                              ;   in Loop: Header=BB1020_558 Depth=2
	s_wait_dscnt 0x0
	v_bcnt_u32_b32 v5, v5, v130
	ds_store_b32 v132, v5 offset:1056
.LBB1020_588:                           ;   in Loop: Header=BB1020_558 Depth=2
	s_wait_alu 0xfffe
	s_or_b32 exec_lo, exec_lo, s15
	; wave barrier
	s_wait_loadcnt_dscnt 0x0
	s_barrier_signal -1
	s_barrier_wait -1
	global_inv scope:SCOPE_SE
	ds_load_2addr_b32 v[26:27], v102 offset1:1
	ds_load_2addr_b32 v[24:25], v103 offset1:1
	;; [unrolled: 1-line block ×4, first 2 shown]
	ds_load_b32 v133, v43 offset:1088
	s_wait_dscnt 0x3
	v_add3_u32 v134, v27, v26, v24
	s_wait_dscnt 0x2
	s_delay_alu instid0(VALU_DEP_1) | instskip(SKIP_1) | instid1(VALU_DEP_1)
	v_add3_u32 v134, v134, v25, v7
	s_wait_dscnt 0x1
	v_add3_u32 v134, v134, v8, v5
	s_wait_dscnt 0x0
	s_delay_alu instid0(VALU_DEP_1) | instskip(NEXT) | instid1(VALU_DEP_1)
	v_add3_u32 v133, v134, v6, v133
	v_mov_b32_dpp v134, v133 row_shr:1 row_mask:0xf bank_mask:0xf
	s_delay_alu instid0(VALU_DEP_1) | instskip(NEXT) | instid1(VALU_DEP_1)
	v_cndmask_b32_e64 v134, v134, 0, s0
	v_add_nc_u32_e32 v133, v134, v133
	s_delay_alu instid0(VALU_DEP_1) | instskip(NEXT) | instid1(VALU_DEP_1)
	v_mov_b32_dpp v134, v133 row_shr:2 row_mask:0xf bank_mask:0xf
	v_cndmask_b32_e64 v134, 0, v134, s1
	s_delay_alu instid0(VALU_DEP_1) | instskip(NEXT) | instid1(VALU_DEP_1)
	v_add_nc_u32_e32 v133, v133, v134
	v_mov_b32_dpp v134, v133 row_shr:4 row_mask:0xf bank_mask:0xf
	s_delay_alu instid0(VALU_DEP_1) | instskip(NEXT) | instid1(VALU_DEP_1)
	v_cndmask_b32_e64 v134, 0, v134, s9
	v_add_nc_u32_e32 v133, v133, v134
	s_delay_alu instid0(VALU_DEP_1) | instskip(NEXT) | instid1(VALU_DEP_1)
	v_mov_b32_dpp v134, v133 row_shr:8 row_mask:0xf bank_mask:0xf
	v_cndmask_b32_e64 v134, 0, v134, s10
	s_delay_alu instid0(VALU_DEP_1) | instskip(SKIP_3) | instid1(VALU_DEP_1)
	v_add_nc_u32_e32 v133, v133, v134
	ds_swizzle_b32 v134, v133 offset:swizzle(BROADCAST,32,15)
	s_wait_dscnt 0x0
	v_cndmask_b32_e64 v134, v134, 0, s11
	v_add_nc_u32_e32 v133, v133, v134
	s_and_saveexec_b32 s15, s3
; %bb.589:                              ;   in Loop: Header=BB1020_558 Depth=2
	ds_store_b32 v38, v133 offset:1024
; %bb.590:                              ;   in Loop: Header=BB1020_558 Depth=2
	s_wait_alu 0xfffe
	s_or_b32 exec_lo, exec_lo, s15
	s_wait_loadcnt_dscnt 0x0
	s_barrier_signal -1
	s_barrier_wait -1
	global_inv scope:SCOPE_SE
	s_and_saveexec_b32 s15, s4
	s_cbranch_execz .LBB1020_592
; %bb.591:                              ;   in Loop: Header=BB1020_558 Depth=2
	ds_load_b32 v134, v47 offset:1024
	s_wait_dscnt 0x0
	v_mov_b32_dpp v135, v134 row_shr:1 row_mask:0xf bank_mask:0xf
	s_delay_alu instid0(VALU_DEP_1) | instskip(NEXT) | instid1(VALU_DEP_1)
	v_cndmask_b32_e64 v135, v135, 0, s12
	v_add_nc_u32_e32 v134, v135, v134
	s_delay_alu instid0(VALU_DEP_1) | instskip(NEXT) | instid1(VALU_DEP_1)
	v_mov_b32_dpp v135, v134 row_shr:2 row_mask:0xf bank_mask:0xf
	v_cndmask_b32_e64 v135, 0, v135, s13
	s_delay_alu instid0(VALU_DEP_1) | instskip(NEXT) | instid1(VALU_DEP_1)
	v_add_nc_u32_e32 v134, v134, v135
	v_mov_b32_dpp v135, v134 row_shr:4 row_mask:0xf bank_mask:0xf
	s_delay_alu instid0(VALU_DEP_1) | instskip(NEXT) | instid1(VALU_DEP_1)
	v_cndmask_b32_e64 v135, 0, v135, s14
	v_add_nc_u32_e32 v134, v134, v135
	ds_store_b32 v47, v134 offset:1024
.LBB1020_592:                           ;   in Loop: Header=BB1020_558 Depth=2
	s_wait_alu 0xfffe
	s_or_b32 exec_lo, exec_lo, s15
	v_mov_b32_e32 v134, 0
	s_wait_loadcnt_dscnt 0x0
	s_barrier_signal -1
	s_barrier_wait -1
	global_inv scope:SCOPE_SE
	s_and_saveexec_b32 s15, s5
; %bb.593:                              ;   in Loop: Header=BB1020_558 Depth=2
	ds_load_b32 v134, v38 offset:1020
; %bb.594:                              ;   in Loop: Header=BB1020_558 Depth=2
	s_wait_alu 0xfffe
	s_or_b32 exec_lo, exec_lo, s15
	s_wait_dscnt 0x0
	v_add_nc_u32_e32 v133, v134, v133
	ds_bpermute_b32 v133, v84, v133
	s_wait_dscnt 0x0
	v_cndmask_b32_e64 v133, v133, v134, s8
	s_delay_alu instid0(VALU_DEP_1) | instskip(NEXT) | instid1(VALU_DEP_1)
	v_cndmask_b32_e64 v133, v133, 0, s6
	v_add_nc_u32_e32 v26, v133, v26
	s_delay_alu instid0(VALU_DEP_1) | instskip(NEXT) | instid1(VALU_DEP_1)
	v_add_nc_u32_e32 v27, v26, v27
	v_add_nc_u32_e32 v24, v27, v24
	s_delay_alu instid0(VALU_DEP_1) | instskip(NEXT) | instid1(VALU_DEP_1)
	v_add_nc_u32_e32 v25, v24, v25
	;; [unrolled: 3-line block ×3, first 2 shown]
	v_add_nc_u32_e32 v5, v8, v5
	s_delay_alu instid0(VALU_DEP_1)
	v_add_nc_u32_e32 v6, v5, v6
	ds_store_2addr_b32 v101, v8, v5 offset1:1
	ds_store_2addr_b32 v102, v133, v26 offset1:1
	;; [unrolled: 1-line block ×4, first 2 shown]
	ds_store_b32 v43, v6 offset:1088
	s_wait_loadcnt_dscnt 0x0
	s_barrier_signal -1
	s_barrier_wait -1
	global_inv scope:SCOPE_SE
	ds_load_b32 v8, v105 offset:1056
	ds_load_b32 v24, v109 offset:1056
	;; [unrolled: 1-line block ×9, first 2 shown]
	v_mov_b32_e32 v7, 0x800
	s_and_saveexec_b32 s15, s7
; %bb.595:                              ;   in Loop: Header=BB1020_558 Depth=2
	ds_load_b32 v7, v43 offset:1092
; %bb.596:                              ;   in Loop: Header=BB1020_558 Depth=2
	s_wait_alu 0xfffe
	s_or_b32 exec_lo, exec_lo, s15
	s_wait_loadcnt_dscnt 0x0
	s_barrier_signal -1
	s_barrier_wait -1
	global_inv scope:SCOPE_SE
	s_and_saveexec_b32 s15, s2
	s_cbranch_execz .LBB1020_598
; %bb.597:                              ;   in Loop: Header=BB1020_558 Depth=2
	ds_load_b32 v102, v28
	s_wait_dscnt 0x0
	v_sub_nc_u32_e32 v101, v102, v101
	ds_store_b32 v28, v101
.LBB1020_598:                           ;   in Loop: Header=BB1020_558 Depth=2
	s_wait_alu 0xfffe
	s_or_b32 exec_lo, exec_lo, s15
	v_add_nc_u32_e32 v102, v8, v99
	v_add3_u32 v101, v107, v106, v24
	v_add3_u32 v99, v112, v110, v25
	;; [unrolled: 1-line block ×4, first 2 shown]
	v_lshlrev_b32_e32 v103, 1, v102
	v_add3_u32 v24, v120, v118, v27
	v_lshlrev_b32_e32 v104, 1, v101
	v_lshlrev_b32_e32 v105, 1, v99
	v_add3_u32 v27, v127, v126, v5
	v_add3_u32 v26, v131, v130, v6
	ds_store_b16 v103, v0 offset:1024
	ds_store_b16 v104, v100 offset:1024
	;; [unrolled: 1-line block ×3, first 2 shown]
	v_lshlrev_b32_e32 v0, 1, v25
	v_cmp_lt_u32_e32 vcc_lo, v13, v98
	v_lshlrev_b32_e32 v5, 1, v24
	v_lshlrev_b32_e32 v6, 1, v8
	;; [unrolled: 1-line block ×4, first 2 shown]
	ds_store_b16 v0, v111 offset:1024
	ds_store_b16 v5, v115 offset:1024
	ds_store_b16 v6, v119 offset:1024
	ds_store_b16 v100, v123 offset:1024
	ds_store_b16 v103, v128 offset:1024
	s_wait_loadcnt_dscnt 0x0
	s_barrier_signal -1
	s_barrier_wait -1
	global_inv scope:SCOPE_SE
	s_and_saveexec_b32 s16, vcc_lo
	s_cbranch_execnz .LBB1020_635
; %bb.599:                              ;   in Loop: Header=BB1020_558 Depth=2
	s_wait_alu 0xfffe
	s_or_b32 exec_lo, exec_lo, s16
	v_cmp_lt_u32_e64 s15, v29, v98
	s_and_saveexec_b32 s17, s15
	s_cbranch_execnz .LBB1020_636
.LBB1020_600:                           ;   in Loop: Header=BB1020_558 Depth=2
	s_wait_alu 0xfffe
	s_or_b32 exec_lo, exec_lo, s17
	v_cmp_lt_u32_e64 s16, v30, v98
	s_and_saveexec_b32 s18, s16
	s_cbranch_execnz .LBB1020_637
.LBB1020_601:                           ;   in Loop: Header=BB1020_558 Depth=2
	s_wait_alu 0xfffe
	s_or_b32 exec_lo, exec_lo, s18
	v_cmp_lt_u32_e64 s17, v31, v98
	s_and_saveexec_b32 s19, s17
	s_cbranch_execnz .LBB1020_638
.LBB1020_602:                           ;   in Loop: Header=BB1020_558 Depth=2
	s_wait_alu 0xfffe
	s_or_b32 exec_lo, exec_lo, s19
	v_cmp_lt_u32_e64 s18, v34, v98
	s_and_saveexec_b32 s20, s18
	s_cbranch_execnz .LBB1020_639
.LBB1020_603:                           ;   in Loop: Header=BB1020_558 Depth=2
	s_wait_alu 0xfffe
	s_or_b32 exec_lo, exec_lo, s20
	v_cmp_lt_u32_e64 s19, v35, v98
	s_and_saveexec_b32 s21, s19
	s_cbranch_execnz .LBB1020_640
.LBB1020_604:                           ;   in Loop: Header=BB1020_558 Depth=2
	s_wait_alu 0xfffe
	s_or_b32 exec_lo, exec_lo, s21
	v_cmp_lt_u32_e64 s20, v36, v98
	s_and_saveexec_b32 s22, s20
	s_cbranch_execnz .LBB1020_641
.LBB1020_605:                           ;   in Loop: Header=BB1020_558 Depth=2
	s_wait_alu 0xfffe
	s_or_b32 exec_lo, exec_lo, s22
	v_cmp_lt_u32_e64 s21, v37, v98
	s_and_saveexec_b32 s48, s21
	s_cbranch_execz .LBB1020_607
.LBB1020_606:                           ;   in Loop: Header=BB1020_558 Depth=2
	ds_load_u16 v100, v48 offset:4608
	s_wait_dscnt 0x0
	v_and_b32_e32 v0, 0xffff, v100
	s_delay_alu instid0(VALU_DEP_1) | instskip(NEXT) | instid1(VALU_DEP_1)
	v_lshrrev_b32_e32 v0, s45, v0
	v_and_b32_e32 v0, s42, v0
	s_delay_alu instid0(VALU_DEP_1) | instskip(SKIP_3) | instid1(VALU_DEP_1)
	v_lshlrev_b32_e32 v0, 2, v0
	ds_load_b32 v0, v0
	s_wait_dscnt 0x0
	v_add_nc_u32_e32 v0, v0, v37
	v_lshlrev_b64_e32 v[5:6], 1, v[0:1]
	v_xor_b32_e32 v0, 0xffff8000, v100
	s_delay_alu instid0(VALU_DEP_2) | instskip(SKIP_1) | instid1(VALU_DEP_3)
	v_add_co_u32 v5, s22, s40, v5
	s_wait_alu 0xf1ff
	v_add_co_ci_u32_e64 v6, null, s41, v6, s22
	global_store_b16 v[5:6], v0, off
.LBB1020_607:                           ;   in Loop: Header=BB1020_558 Depth=2
	s_wait_alu 0xfffe
	s_or_b32 exec_lo, exec_lo, s48
	s_lshl_b64 s[48:49], s[30:31], 3
	s_wait_alu 0xfffe
	v_add_co_u32 v5, s22, v85, s48
	s_wait_alu 0xf1ff
	v_add_co_ci_u32_e64 v6, null, s49, v86, s22
	v_cmp_lt_u32_e64 s22, v67, v98
	s_and_saveexec_b32 s30, s22
	s_wait_alu 0xfffe
	s_xor_b32 s22, exec_lo, s30
	s_cbranch_execnz .LBB1020_642
; %bb.608:                              ;   in Loop: Header=BB1020_558 Depth=2
	s_wait_alu 0xfffe
	s_or_b32 exec_lo, exec_lo, s22
	s_delay_alu instid0(SALU_CYCLE_1)
	s_mov_b32 s30, exec_lo
	v_cmpx_lt_u32_e64 v71, v98
	s_cbranch_execnz .LBB1020_643
.LBB1020_609:                           ;   in Loop: Header=BB1020_558 Depth=2
	s_wait_alu 0xfffe
	s_or_b32 exec_lo, exec_lo, s30
	s_delay_alu instid0(SALU_CYCLE_1)
	s_mov_b32 s30, exec_lo
	v_cmpx_lt_u32_e64 v72, v98
	s_cbranch_execnz .LBB1020_644
.LBB1020_610:                           ;   in Loop: Header=BB1020_558 Depth=2
	s_wait_alu 0xfffe
	s_or_b32 exec_lo, exec_lo, s30
	s_delay_alu instid0(SALU_CYCLE_1)
	s_mov_b32 s30, exec_lo
	v_cmpx_lt_u32_e64 v73, v98
	s_cbranch_execnz .LBB1020_645
.LBB1020_611:                           ;   in Loop: Header=BB1020_558 Depth=2
	s_wait_alu 0xfffe
	s_or_b32 exec_lo, exec_lo, s30
	s_delay_alu instid0(SALU_CYCLE_1)
	s_mov_b32 s30, exec_lo
	v_cmpx_lt_u32_e64 v74, v98
	s_cbranch_execnz .LBB1020_646
.LBB1020_612:                           ;   in Loop: Header=BB1020_558 Depth=2
	s_wait_alu 0xfffe
	s_or_b32 exec_lo, exec_lo, s30
	s_delay_alu instid0(SALU_CYCLE_1)
	s_mov_b32 s30, exec_lo
	v_cmpx_lt_u32_e64 v75, v98
	s_cbranch_execnz .LBB1020_647
.LBB1020_613:                           ;   in Loop: Header=BB1020_558 Depth=2
	s_wait_alu 0xfffe
	s_or_b32 exec_lo, exec_lo, s30
	s_delay_alu instid0(SALU_CYCLE_1)
	s_mov_b32 s30, exec_lo
	v_cmpx_lt_u32_e64 v76, v98
	s_cbranch_execnz .LBB1020_648
.LBB1020_614:                           ;   in Loop: Header=BB1020_558 Depth=2
	s_wait_alu 0xfffe
	s_or_b32 exec_lo, exec_lo, s30
	s_delay_alu instid0(SALU_CYCLE_1)
	s_mov_b32 s30, exec_lo
	v_cmpx_lt_u32_e64 v77, v98
	s_cbranch_execnz .LBB1020_649
.LBB1020_615:                           ;   in Loop: Header=BB1020_558 Depth=2
	s_wait_alu 0xfffe
	s_or_b32 exec_lo, exec_lo, s30
	s_and_saveexec_b32 s22, vcc_lo
	s_cbranch_execnz .LBB1020_650
.LBB1020_616:                           ;   in Loop: Header=BB1020_558 Depth=2
	s_wait_alu 0xfffe
	s_or_b32 exec_lo, exec_lo, s22
	s_and_saveexec_b32 s22, s15
	s_cbranch_execnz .LBB1020_651
.LBB1020_617:                           ;   in Loop: Header=BB1020_558 Depth=2
	s_wait_alu 0xfffe
	s_or_b32 exec_lo, exec_lo, s22
	s_and_saveexec_b32 s22, s16
	s_cbranch_execnz .LBB1020_652
.LBB1020_618:                           ;   in Loop: Header=BB1020_558 Depth=2
	s_wait_alu 0xfffe
	s_or_b32 exec_lo, exec_lo, s22
	s_and_saveexec_b32 s22, s17
	s_cbranch_execnz .LBB1020_653
.LBB1020_619:                           ;   in Loop: Header=BB1020_558 Depth=2
	s_wait_alu 0xfffe
	s_or_b32 exec_lo, exec_lo, s22
	s_and_saveexec_b32 s22, s18
	s_cbranch_execnz .LBB1020_654
.LBB1020_620:                           ;   in Loop: Header=BB1020_558 Depth=2
	s_wait_alu 0xfffe
	s_or_b32 exec_lo, exec_lo, s22
	s_and_saveexec_b32 s22, s19
	s_cbranch_execnz .LBB1020_655
.LBB1020_621:                           ;   in Loop: Header=BB1020_558 Depth=2
	s_wait_alu 0xfffe
	s_or_b32 exec_lo, exec_lo, s22
	s_and_saveexec_b32 s22, s20
	s_cbranch_execnz .LBB1020_656
.LBB1020_622:                           ;   in Loop: Header=BB1020_558 Depth=2
	s_wait_alu 0xfffe
	s_or_b32 exec_lo, exec_lo, s22
	s_and_saveexec_b32 s22, s21
	s_cbranch_execz .LBB1020_624
.LBB1020_623:                           ;   in Loop: Header=BB1020_558 Depth=2
	ds_load_u16 v0, v48 offset:4608
	s_wait_dscnt 0x0
	v_lshrrev_b32_e32 v0, s45, v0
	s_delay_alu instid0(VALU_DEP_1)
	v_and_b32_e32 v90, s42, v0
.LBB1020_624:                           ;   in Loop: Header=BB1020_558 Depth=2
	s_wait_alu 0xfffe
	s_or_b32 exec_lo, exec_lo, s22
	v_lshlrev_b32_e32 v0, 3, v102
	v_lshlrev_b32_e32 v5, 3, v101
	;; [unrolled: 1-line block ×3, first 2 shown]
	s_wait_loadcnt 0x0
	s_wait_storecnt 0x0
	s_barrier_signal -1
	s_barrier_wait -1
	global_inv scope:SCOPE_SE
	ds_store_b64 v0, v[22:23] offset:1024
	ds_store_b64 v5, v[20:21] offset:1024
	;; [unrolled: 1-line block ×3, first 2 shown]
	v_lshlrev_b32_e32 v0, 3, v25
	v_lshlrev_b32_e32 v5, 3, v24
	;; [unrolled: 1-line block ×5, first 2 shown]
	ds_store_b64 v0, v[16:17] offset:1024
	ds_store_b64 v5, v[14:15] offset:1024
	;; [unrolled: 1-line block ×5, first 2 shown]
	v_add_nc_u32_e32 v5, v48, v49
	s_wait_loadcnt_dscnt 0x0
	s_barrier_signal -1
	s_barrier_wait -1
	global_inv scope:SCOPE_SE
	s_and_saveexec_b32 s22, vcc_lo
	s_cbranch_execnz .LBB1020_657
; %bb.625:                              ;   in Loop: Header=BB1020_558 Depth=2
	s_wait_alu 0xfffe
	s_or_b32 exec_lo, exec_lo, s22
	s_and_saveexec_b32 s22, s15
	s_cbranch_execnz .LBB1020_658
.LBB1020_626:                           ;   in Loop: Header=BB1020_558 Depth=2
	s_wait_alu 0xfffe
	s_or_b32 exec_lo, exec_lo, s22
	s_and_saveexec_b32 s15, s16
	s_cbranch_execnz .LBB1020_659
.LBB1020_627:                           ;   in Loop: Header=BB1020_558 Depth=2
	s_wait_alu 0xfffe
	s_or_b32 exec_lo, exec_lo, s15
	s_and_saveexec_b32 s15, s17
	s_cbranch_execnz .LBB1020_660
.LBB1020_628:                           ;   in Loop: Header=BB1020_558 Depth=2
	s_wait_alu 0xfffe
	s_or_b32 exec_lo, exec_lo, s15
	s_and_saveexec_b32 s15, s18
	s_cbranch_execnz .LBB1020_661
.LBB1020_629:                           ;   in Loop: Header=BB1020_558 Depth=2
	s_wait_alu 0xfffe
	s_or_b32 exec_lo, exec_lo, s15
	s_and_saveexec_b32 s15, s19
	s_cbranch_execnz .LBB1020_662
.LBB1020_630:                           ;   in Loop: Header=BB1020_558 Depth=2
	s_wait_alu 0xfffe
	s_or_b32 exec_lo, exec_lo, s15
	s_and_saveexec_b32 s15, s20
	s_cbranch_execnz .LBB1020_663
.LBB1020_631:                           ;   in Loop: Header=BB1020_558 Depth=2
	s_wait_alu 0xfffe
	s_or_b32 exec_lo, exec_lo, s15
	s_and_saveexec_b32 s15, s21
	s_cbranch_execz .LBB1020_633
.LBB1020_632:                           ;   in Loop: Header=BB1020_558 Depth=2
	v_lshlrev_b32_e32 v0, 2, v90
	ds_load_b32 v0, v0
	ds_load_b64 v[5:6], v5 offset:15360
	s_wait_dscnt 0x1
	v_add_nc_u32_e32 v0, v0, v37
	s_delay_alu instid0(VALU_DEP_1) | instskip(NEXT) | instid1(VALU_DEP_1)
	v_lshlrev_b64_e32 v[24:25], 3, v[0:1]
	v_add_co_u32 v24, vcc_lo, s26, v24
	s_wait_alu 0xfffd
	s_delay_alu instid0(VALU_DEP_2)
	v_add_co_ci_u32_e64 v25, null, s27, v25, vcc_lo
	s_wait_dscnt 0x0
	global_store_b64 v[24:25], v[5:6], off
.LBB1020_633:                           ;   in Loop: Header=BB1020_558 Depth=2
	s_wait_alu 0xfffe
	s_or_b32 exec_lo, exec_lo, s15
	s_wait_loadcnt 0x0
	s_wait_storecnt 0x0
	s_barrier_signal -1
	s_barrier_wait -1
	global_inv scope:SCOPE_SE
	s_and_saveexec_b32 s15, s2
	s_cbranch_execz .LBB1020_557
; %bb.634:                              ;   in Loop: Header=BB1020_558 Depth=2
	ds_load_b32 v0, v28
	s_wait_dscnt 0x0
	v_add_nc_u32_e32 v0, v0, v7
	ds_store_b32 v28, v0
	s_branch .LBB1020_557
.LBB1020_635:                           ;   in Loop: Header=BB1020_558 Depth=2
	ds_load_u16 v100, v48 offset:1024
	s_wait_dscnt 0x0
	v_and_b32_e32 v0, 0xffff, v100
	s_delay_alu instid0(VALU_DEP_1) | instskip(NEXT) | instid1(VALU_DEP_1)
	v_lshrrev_b32_e32 v0, s45, v0
	v_and_b32_e32 v0, s42, v0
	s_delay_alu instid0(VALU_DEP_1) | instskip(SKIP_3) | instid1(VALU_DEP_1)
	v_lshlrev_b32_e32 v0, 2, v0
	ds_load_b32 v0, v0
	s_wait_dscnt 0x0
	v_add_nc_u32_e32 v0, v0, v13
	v_lshlrev_b64_e32 v[5:6], 1, v[0:1]
	v_xor_b32_e32 v0, 0xffff8000, v100
	s_delay_alu instid0(VALU_DEP_2) | instskip(SKIP_1) | instid1(VALU_DEP_3)
	v_add_co_u32 v5, s15, s40, v5
	s_wait_alu 0xf1ff
	v_add_co_ci_u32_e64 v6, null, s41, v6, s15
	global_store_b16 v[5:6], v0, off
	s_wait_alu 0xfffe
	s_or_b32 exec_lo, exec_lo, s16
	v_cmp_lt_u32_e64 s15, v29, v98
	s_and_saveexec_b32 s17, s15
	s_cbranch_execz .LBB1020_600
.LBB1020_636:                           ;   in Loop: Header=BB1020_558 Depth=2
	ds_load_u16 v100, v48 offset:1536
	s_wait_dscnt 0x0
	v_and_b32_e32 v0, 0xffff, v100
	s_delay_alu instid0(VALU_DEP_1) | instskip(NEXT) | instid1(VALU_DEP_1)
	v_lshrrev_b32_e32 v0, s45, v0
	v_and_b32_e32 v0, s42, v0
	s_delay_alu instid0(VALU_DEP_1) | instskip(SKIP_3) | instid1(VALU_DEP_1)
	v_lshlrev_b32_e32 v0, 2, v0
	ds_load_b32 v0, v0
	s_wait_dscnt 0x0
	v_add_nc_u32_e32 v0, v0, v29
	v_lshlrev_b64_e32 v[5:6], 1, v[0:1]
	v_xor_b32_e32 v0, 0xffff8000, v100
	s_delay_alu instid0(VALU_DEP_2) | instskip(SKIP_1) | instid1(VALU_DEP_3)
	v_add_co_u32 v5, s16, s40, v5
	s_wait_alu 0xf1ff
	v_add_co_ci_u32_e64 v6, null, s41, v6, s16
	global_store_b16 v[5:6], v0, off
	s_wait_alu 0xfffe
	s_or_b32 exec_lo, exec_lo, s17
	v_cmp_lt_u32_e64 s16, v30, v98
	s_and_saveexec_b32 s18, s16
	s_cbranch_execz .LBB1020_601
.LBB1020_637:                           ;   in Loop: Header=BB1020_558 Depth=2
	ds_load_u16 v100, v48 offset:2048
	s_wait_dscnt 0x0
	v_and_b32_e32 v0, 0xffff, v100
	s_delay_alu instid0(VALU_DEP_1) | instskip(NEXT) | instid1(VALU_DEP_1)
	v_lshrrev_b32_e32 v0, s45, v0
	v_and_b32_e32 v0, s42, v0
	s_delay_alu instid0(VALU_DEP_1) | instskip(SKIP_3) | instid1(VALU_DEP_1)
	v_lshlrev_b32_e32 v0, 2, v0
	ds_load_b32 v0, v0
	s_wait_dscnt 0x0
	v_add_nc_u32_e32 v0, v0, v30
	v_lshlrev_b64_e32 v[5:6], 1, v[0:1]
	v_xor_b32_e32 v0, 0xffff8000, v100
	s_delay_alu instid0(VALU_DEP_2) | instskip(SKIP_1) | instid1(VALU_DEP_3)
	v_add_co_u32 v5, s17, s40, v5
	s_wait_alu 0xf1ff
	v_add_co_ci_u32_e64 v6, null, s41, v6, s17
	global_store_b16 v[5:6], v0, off
	s_wait_alu 0xfffe
	s_or_b32 exec_lo, exec_lo, s18
	v_cmp_lt_u32_e64 s17, v31, v98
	s_and_saveexec_b32 s19, s17
	s_cbranch_execz .LBB1020_602
.LBB1020_638:                           ;   in Loop: Header=BB1020_558 Depth=2
	ds_load_u16 v100, v48 offset:2560
	s_wait_dscnt 0x0
	v_and_b32_e32 v0, 0xffff, v100
	s_delay_alu instid0(VALU_DEP_1) | instskip(NEXT) | instid1(VALU_DEP_1)
	v_lshrrev_b32_e32 v0, s45, v0
	v_and_b32_e32 v0, s42, v0
	s_delay_alu instid0(VALU_DEP_1) | instskip(SKIP_3) | instid1(VALU_DEP_1)
	v_lshlrev_b32_e32 v0, 2, v0
	ds_load_b32 v0, v0
	s_wait_dscnt 0x0
	v_add_nc_u32_e32 v0, v0, v31
	v_lshlrev_b64_e32 v[5:6], 1, v[0:1]
	v_xor_b32_e32 v0, 0xffff8000, v100
	s_delay_alu instid0(VALU_DEP_2) | instskip(SKIP_1) | instid1(VALU_DEP_3)
	v_add_co_u32 v5, s18, s40, v5
	s_wait_alu 0xf1ff
	v_add_co_ci_u32_e64 v6, null, s41, v6, s18
	global_store_b16 v[5:6], v0, off
	s_wait_alu 0xfffe
	s_or_b32 exec_lo, exec_lo, s19
	v_cmp_lt_u32_e64 s18, v34, v98
	s_and_saveexec_b32 s20, s18
	s_cbranch_execz .LBB1020_603
.LBB1020_639:                           ;   in Loop: Header=BB1020_558 Depth=2
	ds_load_u16 v100, v48 offset:3072
	s_wait_dscnt 0x0
	v_and_b32_e32 v0, 0xffff, v100
	s_delay_alu instid0(VALU_DEP_1) | instskip(NEXT) | instid1(VALU_DEP_1)
	v_lshrrev_b32_e32 v0, s45, v0
	v_and_b32_e32 v0, s42, v0
	s_delay_alu instid0(VALU_DEP_1) | instskip(SKIP_3) | instid1(VALU_DEP_1)
	v_lshlrev_b32_e32 v0, 2, v0
	ds_load_b32 v0, v0
	s_wait_dscnt 0x0
	v_add_nc_u32_e32 v0, v0, v34
	v_lshlrev_b64_e32 v[5:6], 1, v[0:1]
	v_xor_b32_e32 v0, 0xffff8000, v100
	s_delay_alu instid0(VALU_DEP_2) | instskip(SKIP_1) | instid1(VALU_DEP_3)
	v_add_co_u32 v5, s19, s40, v5
	s_wait_alu 0xf1ff
	v_add_co_ci_u32_e64 v6, null, s41, v6, s19
	global_store_b16 v[5:6], v0, off
	s_wait_alu 0xfffe
	s_or_b32 exec_lo, exec_lo, s20
	v_cmp_lt_u32_e64 s19, v35, v98
	s_and_saveexec_b32 s21, s19
	s_cbranch_execz .LBB1020_604
.LBB1020_640:                           ;   in Loop: Header=BB1020_558 Depth=2
	ds_load_u16 v100, v48 offset:3584
	s_wait_dscnt 0x0
	v_and_b32_e32 v0, 0xffff, v100
	s_delay_alu instid0(VALU_DEP_1) | instskip(NEXT) | instid1(VALU_DEP_1)
	v_lshrrev_b32_e32 v0, s45, v0
	v_and_b32_e32 v0, s42, v0
	s_delay_alu instid0(VALU_DEP_1) | instskip(SKIP_3) | instid1(VALU_DEP_1)
	v_lshlrev_b32_e32 v0, 2, v0
	ds_load_b32 v0, v0
	s_wait_dscnt 0x0
	v_add_nc_u32_e32 v0, v0, v35
	v_lshlrev_b64_e32 v[5:6], 1, v[0:1]
	v_xor_b32_e32 v0, 0xffff8000, v100
	s_delay_alu instid0(VALU_DEP_2) | instskip(SKIP_1) | instid1(VALU_DEP_3)
	v_add_co_u32 v5, s20, s40, v5
	s_wait_alu 0xf1ff
	v_add_co_ci_u32_e64 v6, null, s41, v6, s20
	global_store_b16 v[5:6], v0, off
	s_wait_alu 0xfffe
	s_or_b32 exec_lo, exec_lo, s21
	v_cmp_lt_u32_e64 s20, v36, v98
	s_and_saveexec_b32 s22, s20
	s_cbranch_execz .LBB1020_605
.LBB1020_641:                           ;   in Loop: Header=BB1020_558 Depth=2
	ds_load_u16 v100, v48 offset:4096
	s_wait_dscnt 0x0
	v_and_b32_e32 v0, 0xffff, v100
	s_delay_alu instid0(VALU_DEP_1) | instskip(NEXT) | instid1(VALU_DEP_1)
	v_lshrrev_b32_e32 v0, s45, v0
	v_and_b32_e32 v0, s42, v0
	s_delay_alu instid0(VALU_DEP_1) | instskip(SKIP_3) | instid1(VALU_DEP_1)
	v_lshlrev_b32_e32 v0, 2, v0
	ds_load_b32 v0, v0
	s_wait_dscnt 0x0
	v_add_nc_u32_e32 v0, v0, v36
	v_lshlrev_b64_e32 v[5:6], 1, v[0:1]
	v_xor_b32_e32 v0, 0xffff8000, v100
	s_delay_alu instid0(VALU_DEP_2) | instskip(SKIP_1) | instid1(VALU_DEP_3)
	v_add_co_u32 v5, s21, s40, v5
	s_wait_alu 0xf1ff
	v_add_co_ci_u32_e64 v6, null, s41, v6, s21
	global_store_b16 v[5:6], v0, off
	s_wait_alu 0xfffe
	s_or_b32 exec_lo, exec_lo, s22
	v_cmp_lt_u32_e64 s21, v37, v98
	s_and_saveexec_b32 s48, s21
	s_cbranch_execnz .LBB1020_606
	s_branch .LBB1020_607
.LBB1020_642:                           ;   in Loop: Header=BB1020_558 Depth=2
	global_load_b64 v[22:23], v[5:6], off
	s_wait_alu 0xfffe
	s_or_b32 exec_lo, exec_lo, s22
	s_delay_alu instid0(SALU_CYCLE_1)
	s_mov_b32 s30, exec_lo
	v_cmpx_lt_u32_e64 v71, v98
	s_cbranch_execz .LBB1020_609
.LBB1020_643:                           ;   in Loop: Header=BB1020_558 Depth=2
	global_load_b64 v[20:21], v[5:6], off offset:256
	s_wait_alu 0xfffe
	s_or_b32 exec_lo, exec_lo, s30
	s_delay_alu instid0(SALU_CYCLE_1)
	s_mov_b32 s30, exec_lo
	v_cmpx_lt_u32_e64 v72, v98
	s_cbranch_execz .LBB1020_610
.LBB1020_644:                           ;   in Loop: Header=BB1020_558 Depth=2
	global_load_b64 v[18:19], v[5:6], off offset:512
	s_wait_alu 0xfffe
	s_or_b32 exec_lo, exec_lo, s30
	s_delay_alu instid0(SALU_CYCLE_1)
	s_mov_b32 s30, exec_lo
	v_cmpx_lt_u32_e64 v73, v98
	s_cbranch_execz .LBB1020_611
.LBB1020_645:                           ;   in Loop: Header=BB1020_558 Depth=2
	global_load_b64 v[16:17], v[5:6], off offset:768
	s_wait_alu 0xfffe
	s_or_b32 exec_lo, exec_lo, s30
	s_delay_alu instid0(SALU_CYCLE_1)
	s_mov_b32 s30, exec_lo
	v_cmpx_lt_u32_e64 v74, v98
	s_cbranch_execz .LBB1020_612
.LBB1020_646:                           ;   in Loop: Header=BB1020_558 Depth=2
	global_load_b64 v[14:15], v[5:6], off offset:1024
	s_wait_alu 0xfffe
	s_or_b32 exec_lo, exec_lo, s30
	s_delay_alu instid0(SALU_CYCLE_1)
	s_mov_b32 s30, exec_lo
	v_cmpx_lt_u32_e64 v75, v98
	s_cbranch_execz .LBB1020_613
.LBB1020_647:                           ;   in Loop: Header=BB1020_558 Depth=2
	global_load_b64 v[11:12], v[5:6], off offset:1280
	s_wait_alu 0xfffe
	s_or_b32 exec_lo, exec_lo, s30
	s_delay_alu instid0(SALU_CYCLE_1)
	s_mov_b32 s30, exec_lo
	v_cmpx_lt_u32_e64 v76, v98
	s_cbranch_execz .LBB1020_614
.LBB1020_648:                           ;   in Loop: Header=BB1020_558 Depth=2
	global_load_b64 v[9:10], v[5:6], off offset:1536
	s_wait_alu 0xfffe
	s_or_b32 exec_lo, exec_lo, s30
	s_delay_alu instid0(SALU_CYCLE_1)
	s_mov_b32 s30, exec_lo
	v_cmpx_lt_u32_e64 v77, v98
	s_cbranch_execz .LBB1020_615
.LBB1020_649:                           ;   in Loop: Header=BB1020_558 Depth=2
	global_load_b64 v[2:3], v[5:6], off offset:1792
	s_wait_alu 0xfffe
	s_or_b32 exec_lo, exec_lo, s30
	s_and_saveexec_b32 s22, vcc_lo
	s_cbranch_execz .LBB1020_616
.LBB1020_650:                           ;   in Loop: Header=BB1020_558 Depth=2
	ds_load_u16 v0, v48 offset:1024
	s_wait_dscnt 0x0
	v_lshrrev_b32_e32 v0, s45, v0
	s_delay_alu instid0(VALU_DEP_1)
	v_and_b32_e32 v97, s42, v0
	s_wait_alu 0xfffe
	s_or_b32 exec_lo, exec_lo, s22
	s_and_saveexec_b32 s22, s15
	s_cbranch_execz .LBB1020_617
.LBB1020_651:                           ;   in Loop: Header=BB1020_558 Depth=2
	ds_load_u16 v0, v48 offset:1536
	s_wait_dscnt 0x0
	v_lshrrev_b32_e32 v0, s45, v0
	s_delay_alu instid0(VALU_DEP_1)
	v_and_b32_e32 v96, s42, v0
	s_wait_alu 0xfffe
	s_or_b32 exec_lo, exec_lo, s22
	s_and_saveexec_b32 s22, s16
	s_cbranch_execz .LBB1020_618
.LBB1020_652:                           ;   in Loop: Header=BB1020_558 Depth=2
	ds_load_u16 v0, v48 offset:2048
	s_wait_dscnt 0x0
	v_lshrrev_b32_e32 v0, s45, v0
	s_delay_alu instid0(VALU_DEP_1)
	v_and_b32_e32 v95, s42, v0
	s_wait_alu 0xfffe
	s_or_b32 exec_lo, exec_lo, s22
	s_and_saveexec_b32 s22, s17
	s_cbranch_execz .LBB1020_619
.LBB1020_653:                           ;   in Loop: Header=BB1020_558 Depth=2
	ds_load_u16 v0, v48 offset:2560
	s_wait_dscnt 0x0
	v_lshrrev_b32_e32 v0, s45, v0
	s_delay_alu instid0(VALU_DEP_1)
	v_and_b32_e32 v94, s42, v0
	s_wait_alu 0xfffe
	s_or_b32 exec_lo, exec_lo, s22
	s_and_saveexec_b32 s22, s18
	s_cbranch_execz .LBB1020_620
.LBB1020_654:                           ;   in Loop: Header=BB1020_558 Depth=2
	ds_load_u16 v0, v48 offset:3072
	s_wait_dscnt 0x0
	v_lshrrev_b32_e32 v0, s45, v0
	s_delay_alu instid0(VALU_DEP_1)
	v_and_b32_e32 v93, s42, v0
	s_wait_alu 0xfffe
	s_or_b32 exec_lo, exec_lo, s22
	s_and_saveexec_b32 s22, s19
	s_cbranch_execz .LBB1020_621
.LBB1020_655:                           ;   in Loop: Header=BB1020_558 Depth=2
	ds_load_u16 v0, v48 offset:3584
	s_wait_dscnt 0x0
	v_lshrrev_b32_e32 v0, s45, v0
	s_delay_alu instid0(VALU_DEP_1)
	v_and_b32_e32 v92, s42, v0
	s_wait_alu 0xfffe
	s_or_b32 exec_lo, exec_lo, s22
	s_and_saveexec_b32 s22, s20
	s_cbranch_execz .LBB1020_622
.LBB1020_656:                           ;   in Loop: Header=BB1020_558 Depth=2
	ds_load_u16 v0, v48 offset:4096
	s_wait_dscnt 0x0
	v_lshrrev_b32_e32 v0, s45, v0
	s_delay_alu instid0(VALU_DEP_1)
	v_and_b32_e32 v91, s42, v0
	s_wait_alu 0xfffe
	s_or_b32 exec_lo, exec_lo, s22
	s_and_saveexec_b32 s22, s21
	s_cbranch_execnz .LBB1020_623
	s_branch .LBB1020_624
.LBB1020_657:                           ;   in Loop: Header=BB1020_558 Depth=2
	v_lshlrev_b32_e32 v0, 2, v97
	ds_load_b32 v0, v0
	ds_load_b64 v[24:25], v5 offset:1024
	s_wait_dscnt 0x1
	v_add_nc_u32_e32 v0, v0, v13
	s_delay_alu instid0(VALU_DEP_1) | instskip(NEXT) | instid1(VALU_DEP_1)
	v_lshlrev_b64_e32 v[26:27], 3, v[0:1]
	v_add_co_u32 v26, vcc_lo, s26, v26
	s_wait_alu 0xfffd
	s_delay_alu instid0(VALU_DEP_2)
	v_add_co_ci_u32_e64 v27, null, s27, v27, vcc_lo
	s_wait_dscnt 0x0
	global_store_b64 v[26:27], v[24:25], off
	s_wait_alu 0xfffe
	s_or_b32 exec_lo, exec_lo, s22
	s_and_saveexec_b32 s22, s15
	s_cbranch_execz .LBB1020_626
.LBB1020_658:                           ;   in Loop: Header=BB1020_558 Depth=2
	v_lshlrev_b32_e32 v0, 2, v96
	ds_load_b32 v0, v0
	ds_load_b64 v[24:25], v5 offset:3072
	s_wait_dscnt 0x1
	v_add_nc_u32_e32 v0, v0, v29
	s_delay_alu instid0(VALU_DEP_1) | instskip(NEXT) | instid1(VALU_DEP_1)
	v_lshlrev_b64_e32 v[26:27], 3, v[0:1]
	v_add_co_u32 v26, vcc_lo, s26, v26
	s_wait_alu 0xfffd
	s_delay_alu instid0(VALU_DEP_2)
	v_add_co_ci_u32_e64 v27, null, s27, v27, vcc_lo
	s_wait_dscnt 0x0
	global_store_b64 v[26:27], v[24:25], off
	s_wait_alu 0xfffe
	s_or_b32 exec_lo, exec_lo, s22
	s_and_saveexec_b32 s15, s16
	s_cbranch_execz .LBB1020_627
.LBB1020_659:                           ;   in Loop: Header=BB1020_558 Depth=2
	v_lshlrev_b32_e32 v0, 2, v95
	ds_load_b32 v0, v0
	ds_load_b64 v[24:25], v5 offset:5120
	s_wait_dscnt 0x1
	v_add_nc_u32_e32 v0, v0, v30
	s_delay_alu instid0(VALU_DEP_1) | instskip(NEXT) | instid1(VALU_DEP_1)
	v_lshlrev_b64_e32 v[26:27], 3, v[0:1]
	v_add_co_u32 v26, vcc_lo, s26, v26
	s_wait_alu 0xfffd
	s_delay_alu instid0(VALU_DEP_2)
	v_add_co_ci_u32_e64 v27, null, s27, v27, vcc_lo
	s_wait_dscnt 0x0
	global_store_b64 v[26:27], v[24:25], off
	s_wait_alu 0xfffe
	s_or_b32 exec_lo, exec_lo, s15
	s_and_saveexec_b32 s15, s17
	s_cbranch_execz .LBB1020_628
.LBB1020_660:                           ;   in Loop: Header=BB1020_558 Depth=2
	v_lshlrev_b32_e32 v0, 2, v94
	ds_load_b32 v0, v0
	ds_load_b64 v[24:25], v5 offset:7168
	s_wait_dscnt 0x1
	v_add_nc_u32_e32 v0, v0, v31
	s_delay_alu instid0(VALU_DEP_1) | instskip(NEXT) | instid1(VALU_DEP_1)
	v_lshlrev_b64_e32 v[26:27], 3, v[0:1]
	v_add_co_u32 v26, vcc_lo, s26, v26
	s_wait_alu 0xfffd
	s_delay_alu instid0(VALU_DEP_2)
	v_add_co_ci_u32_e64 v27, null, s27, v27, vcc_lo
	s_wait_dscnt 0x0
	global_store_b64 v[26:27], v[24:25], off
	s_wait_alu 0xfffe
	s_or_b32 exec_lo, exec_lo, s15
	s_and_saveexec_b32 s15, s18
	s_cbranch_execz .LBB1020_629
.LBB1020_661:                           ;   in Loop: Header=BB1020_558 Depth=2
	v_lshlrev_b32_e32 v0, 2, v93
	ds_load_b32 v0, v0
	ds_load_b64 v[24:25], v5 offset:9216
	s_wait_dscnt 0x1
	v_add_nc_u32_e32 v0, v0, v34
	s_delay_alu instid0(VALU_DEP_1) | instskip(NEXT) | instid1(VALU_DEP_1)
	v_lshlrev_b64_e32 v[26:27], 3, v[0:1]
	v_add_co_u32 v26, vcc_lo, s26, v26
	s_wait_alu 0xfffd
	s_delay_alu instid0(VALU_DEP_2)
	v_add_co_ci_u32_e64 v27, null, s27, v27, vcc_lo
	s_wait_dscnt 0x0
	global_store_b64 v[26:27], v[24:25], off
	s_wait_alu 0xfffe
	s_or_b32 exec_lo, exec_lo, s15
	s_and_saveexec_b32 s15, s19
	s_cbranch_execz .LBB1020_630
.LBB1020_662:                           ;   in Loop: Header=BB1020_558 Depth=2
	v_lshlrev_b32_e32 v0, 2, v92
	ds_load_b32 v0, v0
	ds_load_b64 v[24:25], v5 offset:11264
	s_wait_dscnt 0x1
	v_add_nc_u32_e32 v0, v0, v35
	s_delay_alu instid0(VALU_DEP_1) | instskip(NEXT) | instid1(VALU_DEP_1)
	v_lshlrev_b64_e32 v[26:27], 3, v[0:1]
	v_add_co_u32 v26, vcc_lo, s26, v26
	s_wait_alu 0xfffd
	s_delay_alu instid0(VALU_DEP_2)
	v_add_co_ci_u32_e64 v27, null, s27, v27, vcc_lo
	s_wait_dscnt 0x0
	global_store_b64 v[26:27], v[24:25], off
	s_wait_alu 0xfffe
	s_or_b32 exec_lo, exec_lo, s15
	s_and_saveexec_b32 s15, s20
	s_cbranch_execz .LBB1020_631
.LBB1020_663:                           ;   in Loop: Header=BB1020_558 Depth=2
	v_lshlrev_b32_e32 v0, 2, v91
	ds_load_b32 v0, v0
	ds_load_b64 v[24:25], v5 offset:13312
	s_wait_dscnt 0x1
	v_add_nc_u32_e32 v0, v0, v36
	s_delay_alu instid0(VALU_DEP_1) | instskip(NEXT) | instid1(VALU_DEP_1)
	v_lshlrev_b64_e32 v[26:27], 3, v[0:1]
	v_add_co_u32 v26, vcc_lo, s26, v26
	s_wait_alu 0xfffd
	s_delay_alu instid0(VALU_DEP_2)
	v_add_co_ci_u32_e64 v27, null, s27, v27, vcc_lo
	s_wait_dscnt 0x0
	global_store_b64 v[26:27], v[24:25], off
	s_wait_alu 0xfffe
	s_or_b32 exec_lo, exec_lo, s15
	s_and_saveexec_b32 s15, s21
	s_cbranch_execnz .LBB1020_632
	s_branch .LBB1020_633
.LBB1020_664:                           ;   in Loop: Header=BB1020_558 Depth=2
	v_dual_mov_b32 v5, 0x7fff0000 :: v_dual_mov_b32 v6, v4
	v_dual_mov_b32 v7, v4 :: v_dual_mov_b32 v8, v4
	global_load_d16_b16 v5, v[24:25], off
	s_wait_alu 0xfffe
	s_or_b32 exec_lo, exec_lo, s15
	s_delay_alu instid0(SALU_CYCLE_1)
	s_mov_b32 s15, exec_lo
	v_cmpx_gt_u32_e64 s43, v71
	s_cbranch_execz .LBB1020_563
.LBB1020_665:                           ;   in Loop: Header=BB1020_558 Depth=2
	s_wait_loadcnt 0x0
	global_load_d16_hi_b16 v5, v[24:25], off offset:64
	s_wait_alu 0xfffe
	s_or_b32 exec_lo, exec_lo, s15
	s_delay_alu instid0(SALU_CYCLE_1)
	s_mov_b32 s15, exec_lo
	v_cmpx_gt_u32_e64 s43, v72
	s_cbranch_execz .LBB1020_564
.LBB1020_666:                           ;   in Loop: Header=BB1020_558 Depth=2
	global_load_d16_b16 v6, v[24:25], off offset:128
	s_wait_alu 0xfffe
	s_or_b32 exec_lo, exec_lo, s15
	s_delay_alu instid0(SALU_CYCLE_1)
	s_mov_b32 s15, exec_lo
	v_cmpx_gt_u32_e64 s43, v73
	s_cbranch_execz .LBB1020_565
.LBB1020_667:                           ;   in Loop: Header=BB1020_558 Depth=2
	s_wait_loadcnt 0x0
	global_load_d16_hi_b16 v6, v[24:25], off offset:192
	s_wait_alu 0xfffe
	s_or_b32 exec_lo, exec_lo, s15
	s_delay_alu instid0(SALU_CYCLE_1)
	s_mov_b32 s15, exec_lo
	v_cmpx_gt_u32_e64 s43, v74
	s_cbranch_execz .LBB1020_566
.LBB1020_668:                           ;   in Loop: Header=BB1020_558 Depth=2
	global_load_d16_b16 v7, v[24:25], off offset:256
	s_wait_alu 0xfffe
	s_or_b32 exec_lo, exec_lo, s15
	s_delay_alu instid0(SALU_CYCLE_1)
	s_mov_b32 s15, exec_lo
	v_cmpx_gt_u32_e64 s43, v75
	s_cbranch_execz .LBB1020_567
.LBB1020_669:                           ;   in Loop: Header=BB1020_558 Depth=2
	s_wait_loadcnt 0x0
	global_load_d16_hi_b16 v7, v[24:25], off offset:320
	s_wait_alu 0xfffe
	s_or_b32 exec_lo, exec_lo, s15
	s_delay_alu instid0(SALU_CYCLE_1)
	s_mov_b32 s15, exec_lo
	v_cmpx_gt_u32_e64 s43, v76
	s_cbranch_execnz .LBB1020_568
	s_branch .LBB1020_569
.LBB1020_670:
	s_endpgm
	.section	.rodata,"a",@progbits
	.p2align	6, 0x0
	.amdhsa_kernel _ZN7rocprim17ROCPRIM_400000_NS6detail17trampoline_kernelINS0_14default_configENS1_36segmented_radix_sort_config_selectorIslEEZNS1_25segmented_radix_sort_implIS3_Lb0EPKsPsPKlPlN2at6native12_GLOBAL__N_18offset_tEEE10hipError_tPvRmT1_PNSt15iterator_traitsISK_E10value_typeET2_T3_PNSL_ISQ_E10value_typeET4_jRbjT5_SW_jjP12ihipStream_tbEUlT_E_NS1_11comp_targetILNS1_3genE10ELNS1_11target_archE1201ELNS1_3gpuE5ELNS1_3repE0EEENS1_30default_config_static_selectorELNS0_4arch9wavefront6targetE0EEEvSK_
		.amdhsa_group_segment_fixed_size 17440
		.amdhsa_private_segment_fixed_size 0
		.amdhsa_kernarg_size 352
		.amdhsa_user_sgpr_count 2
		.amdhsa_user_sgpr_dispatch_ptr 0
		.amdhsa_user_sgpr_queue_ptr 0
		.amdhsa_user_sgpr_kernarg_segment_ptr 1
		.amdhsa_user_sgpr_dispatch_id 0
		.amdhsa_user_sgpr_private_segment_size 0
		.amdhsa_wavefront_size32 1
		.amdhsa_uses_dynamic_stack 0
		.amdhsa_enable_private_segment 0
		.amdhsa_system_sgpr_workgroup_id_x 1
		.amdhsa_system_sgpr_workgroup_id_y 1
		.amdhsa_system_sgpr_workgroup_id_z 0
		.amdhsa_system_sgpr_workgroup_info 0
		.amdhsa_system_vgpr_workitem_id 2
		.amdhsa_next_free_vgpr 198
		.amdhsa_next_free_sgpr 50
		.amdhsa_reserve_vcc 1
		.amdhsa_float_round_mode_32 0
		.amdhsa_float_round_mode_16_64 0
		.amdhsa_float_denorm_mode_32 3
		.amdhsa_float_denorm_mode_16_64 3
		.amdhsa_fp16_overflow 0
		.amdhsa_workgroup_processor_mode 1
		.amdhsa_memory_ordered 1
		.amdhsa_forward_progress 1
		.amdhsa_inst_pref_size 255
		.amdhsa_round_robin_scheduling 0
		.amdhsa_exception_fp_ieee_invalid_op 0
		.amdhsa_exception_fp_denorm_src 0
		.amdhsa_exception_fp_ieee_div_zero 0
		.amdhsa_exception_fp_ieee_overflow 0
		.amdhsa_exception_fp_ieee_underflow 0
		.amdhsa_exception_fp_ieee_inexact 0
		.amdhsa_exception_int_div_zero 0
	.end_amdhsa_kernel
	.section	.text._ZN7rocprim17ROCPRIM_400000_NS6detail17trampoline_kernelINS0_14default_configENS1_36segmented_radix_sort_config_selectorIslEEZNS1_25segmented_radix_sort_implIS3_Lb0EPKsPsPKlPlN2at6native12_GLOBAL__N_18offset_tEEE10hipError_tPvRmT1_PNSt15iterator_traitsISK_E10value_typeET2_T3_PNSL_ISQ_E10value_typeET4_jRbjT5_SW_jjP12ihipStream_tbEUlT_E_NS1_11comp_targetILNS1_3genE10ELNS1_11target_archE1201ELNS1_3gpuE5ELNS1_3repE0EEENS1_30default_config_static_selectorELNS0_4arch9wavefront6targetE0EEEvSK_,"axG",@progbits,_ZN7rocprim17ROCPRIM_400000_NS6detail17trampoline_kernelINS0_14default_configENS1_36segmented_radix_sort_config_selectorIslEEZNS1_25segmented_radix_sort_implIS3_Lb0EPKsPsPKlPlN2at6native12_GLOBAL__N_18offset_tEEE10hipError_tPvRmT1_PNSt15iterator_traitsISK_E10value_typeET2_T3_PNSL_ISQ_E10value_typeET4_jRbjT5_SW_jjP12ihipStream_tbEUlT_E_NS1_11comp_targetILNS1_3genE10ELNS1_11target_archE1201ELNS1_3gpuE5ELNS1_3repE0EEENS1_30default_config_static_selectorELNS0_4arch9wavefront6targetE0EEEvSK_,comdat
.Lfunc_end1020:
	.size	_ZN7rocprim17ROCPRIM_400000_NS6detail17trampoline_kernelINS0_14default_configENS1_36segmented_radix_sort_config_selectorIslEEZNS1_25segmented_radix_sort_implIS3_Lb0EPKsPsPKlPlN2at6native12_GLOBAL__N_18offset_tEEE10hipError_tPvRmT1_PNSt15iterator_traitsISK_E10value_typeET2_T3_PNSL_ISQ_E10value_typeET4_jRbjT5_SW_jjP12ihipStream_tbEUlT_E_NS1_11comp_targetILNS1_3genE10ELNS1_11target_archE1201ELNS1_3gpuE5ELNS1_3repE0EEENS1_30default_config_static_selectorELNS0_4arch9wavefront6targetE0EEEvSK_, .Lfunc_end1020-_ZN7rocprim17ROCPRIM_400000_NS6detail17trampoline_kernelINS0_14default_configENS1_36segmented_radix_sort_config_selectorIslEEZNS1_25segmented_radix_sort_implIS3_Lb0EPKsPsPKlPlN2at6native12_GLOBAL__N_18offset_tEEE10hipError_tPvRmT1_PNSt15iterator_traitsISK_E10value_typeET2_T3_PNSL_ISQ_E10value_typeET4_jRbjT5_SW_jjP12ihipStream_tbEUlT_E_NS1_11comp_targetILNS1_3genE10ELNS1_11target_archE1201ELNS1_3gpuE5ELNS1_3repE0EEENS1_30default_config_static_selectorELNS0_4arch9wavefront6targetE0EEEvSK_
                                        ; -- End function
	.set _ZN7rocprim17ROCPRIM_400000_NS6detail17trampoline_kernelINS0_14default_configENS1_36segmented_radix_sort_config_selectorIslEEZNS1_25segmented_radix_sort_implIS3_Lb0EPKsPsPKlPlN2at6native12_GLOBAL__N_18offset_tEEE10hipError_tPvRmT1_PNSt15iterator_traitsISK_E10value_typeET2_T3_PNSL_ISQ_E10value_typeET4_jRbjT5_SW_jjP12ihipStream_tbEUlT_E_NS1_11comp_targetILNS1_3genE10ELNS1_11target_archE1201ELNS1_3gpuE5ELNS1_3repE0EEENS1_30default_config_static_selectorELNS0_4arch9wavefront6targetE0EEEvSK_.num_vgpr, max(136, .L_ZN7rocprim17ROCPRIM_400000_NS6detail40segmented_radix_sort_single_block_helperIslLj256ELj8ELb0EE4sortIPKsPsPKlPlEEbT_T0_T1_T2_jjjjRNS3_12storage_typeE.num_vgpr)
	.set _ZN7rocprim17ROCPRIM_400000_NS6detail17trampoline_kernelINS0_14default_configENS1_36segmented_radix_sort_config_selectorIslEEZNS1_25segmented_radix_sort_implIS3_Lb0EPKsPsPKlPlN2at6native12_GLOBAL__N_18offset_tEEE10hipError_tPvRmT1_PNSt15iterator_traitsISK_E10value_typeET2_T3_PNSL_ISQ_E10value_typeET4_jRbjT5_SW_jjP12ihipStream_tbEUlT_E_NS1_11comp_targetILNS1_3genE10ELNS1_11target_archE1201ELNS1_3gpuE5ELNS1_3repE0EEENS1_30default_config_static_selectorELNS0_4arch9wavefront6targetE0EEEvSK_.num_agpr, max(0, .L_ZN7rocprim17ROCPRIM_400000_NS6detail40segmented_radix_sort_single_block_helperIslLj256ELj8ELb0EE4sortIPKsPsPKlPlEEbT_T0_T1_T2_jjjjRNS3_12storage_typeE.num_agpr)
	.set _ZN7rocprim17ROCPRIM_400000_NS6detail17trampoline_kernelINS0_14default_configENS1_36segmented_radix_sort_config_selectorIslEEZNS1_25segmented_radix_sort_implIS3_Lb0EPKsPsPKlPlN2at6native12_GLOBAL__N_18offset_tEEE10hipError_tPvRmT1_PNSt15iterator_traitsISK_E10value_typeET2_T3_PNSL_ISQ_E10value_typeET4_jRbjT5_SW_jjP12ihipStream_tbEUlT_E_NS1_11comp_targetILNS1_3genE10ELNS1_11target_archE1201ELNS1_3gpuE5ELNS1_3repE0EEENS1_30default_config_static_selectorELNS0_4arch9wavefront6targetE0EEEvSK_.numbered_sgpr, max(50, .L_ZN7rocprim17ROCPRIM_400000_NS6detail40segmented_radix_sort_single_block_helperIslLj256ELj8ELb0EE4sortIPKsPsPKlPlEEbT_T0_T1_T2_jjjjRNS3_12storage_typeE.numbered_sgpr)
	.set _ZN7rocprim17ROCPRIM_400000_NS6detail17trampoline_kernelINS0_14default_configENS1_36segmented_radix_sort_config_selectorIslEEZNS1_25segmented_radix_sort_implIS3_Lb0EPKsPsPKlPlN2at6native12_GLOBAL__N_18offset_tEEE10hipError_tPvRmT1_PNSt15iterator_traitsISK_E10value_typeET2_T3_PNSL_ISQ_E10value_typeET4_jRbjT5_SW_jjP12ihipStream_tbEUlT_E_NS1_11comp_targetILNS1_3genE10ELNS1_11target_archE1201ELNS1_3gpuE5ELNS1_3repE0EEENS1_30default_config_static_selectorELNS0_4arch9wavefront6targetE0EEEvSK_.num_named_barrier, max(0, .L_ZN7rocprim17ROCPRIM_400000_NS6detail40segmented_radix_sort_single_block_helperIslLj256ELj8ELb0EE4sortIPKsPsPKlPlEEbT_T0_T1_T2_jjjjRNS3_12storage_typeE.num_named_barrier)
	.set _ZN7rocprim17ROCPRIM_400000_NS6detail17trampoline_kernelINS0_14default_configENS1_36segmented_radix_sort_config_selectorIslEEZNS1_25segmented_radix_sort_implIS3_Lb0EPKsPsPKlPlN2at6native12_GLOBAL__N_18offset_tEEE10hipError_tPvRmT1_PNSt15iterator_traitsISK_E10value_typeET2_T3_PNSL_ISQ_E10value_typeET4_jRbjT5_SW_jjP12ihipStream_tbEUlT_E_NS1_11comp_targetILNS1_3genE10ELNS1_11target_archE1201ELNS1_3gpuE5ELNS1_3repE0EEENS1_30default_config_static_selectorELNS0_4arch9wavefront6targetE0EEEvSK_.private_seg_size, 0+max(.L_ZN7rocprim17ROCPRIM_400000_NS6detail40segmented_radix_sort_single_block_helperIslLj256ELj8ELb0EE4sortIPKsPsPKlPlEEbT_T0_T1_T2_jjjjRNS3_12storage_typeE.private_seg_size)
	.set _ZN7rocprim17ROCPRIM_400000_NS6detail17trampoline_kernelINS0_14default_configENS1_36segmented_radix_sort_config_selectorIslEEZNS1_25segmented_radix_sort_implIS3_Lb0EPKsPsPKlPlN2at6native12_GLOBAL__N_18offset_tEEE10hipError_tPvRmT1_PNSt15iterator_traitsISK_E10value_typeET2_T3_PNSL_ISQ_E10value_typeET4_jRbjT5_SW_jjP12ihipStream_tbEUlT_E_NS1_11comp_targetILNS1_3genE10ELNS1_11target_archE1201ELNS1_3gpuE5ELNS1_3repE0EEENS1_30default_config_static_selectorELNS0_4arch9wavefront6targetE0EEEvSK_.uses_vcc, or(1, .L_ZN7rocprim17ROCPRIM_400000_NS6detail40segmented_radix_sort_single_block_helperIslLj256ELj8ELb0EE4sortIPKsPsPKlPlEEbT_T0_T1_T2_jjjjRNS3_12storage_typeE.uses_vcc)
	.set _ZN7rocprim17ROCPRIM_400000_NS6detail17trampoline_kernelINS0_14default_configENS1_36segmented_radix_sort_config_selectorIslEEZNS1_25segmented_radix_sort_implIS3_Lb0EPKsPsPKlPlN2at6native12_GLOBAL__N_18offset_tEEE10hipError_tPvRmT1_PNSt15iterator_traitsISK_E10value_typeET2_T3_PNSL_ISQ_E10value_typeET4_jRbjT5_SW_jjP12ihipStream_tbEUlT_E_NS1_11comp_targetILNS1_3genE10ELNS1_11target_archE1201ELNS1_3gpuE5ELNS1_3repE0EEENS1_30default_config_static_selectorELNS0_4arch9wavefront6targetE0EEEvSK_.uses_flat_scratch, or(0, .L_ZN7rocprim17ROCPRIM_400000_NS6detail40segmented_radix_sort_single_block_helperIslLj256ELj8ELb0EE4sortIPKsPsPKlPlEEbT_T0_T1_T2_jjjjRNS3_12storage_typeE.uses_flat_scratch)
	.set _ZN7rocprim17ROCPRIM_400000_NS6detail17trampoline_kernelINS0_14default_configENS1_36segmented_radix_sort_config_selectorIslEEZNS1_25segmented_radix_sort_implIS3_Lb0EPKsPsPKlPlN2at6native12_GLOBAL__N_18offset_tEEE10hipError_tPvRmT1_PNSt15iterator_traitsISK_E10value_typeET2_T3_PNSL_ISQ_E10value_typeET4_jRbjT5_SW_jjP12ihipStream_tbEUlT_E_NS1_11comp_targetILNS1_3genE10ELNS1_11target_archE1201ELNS1_3gpuE5ELNS1_3repE0EEENS1_30default_config_static_selectorELNS0_4arch9wavefront6targetE0EEEvSK_.has_dyn_sized_stack, or(0, .L_ZN7rocprim17ROCPRIM_400000_NS6detail40segmented_radix_sort_single_block_helperIslLj256ELj8ELb0EE4sortIPKsPsPKlPlEEbT_T0_T1_T2_jjjjRNS3_12storage_typeE.has_dyn_sized_stack)
	.set _ZN7rocprim17ROCPRIM_400000_NS6detail17trampoline_kernelINS0_14default_configENS1_36segmented_radix_sort_config_selectorIslEEZNS1_25segmented_radix_sort_implIS3_Lb0EPKsPsPKlPlN2at6native12_GLOBAL__N_18offset_tEEE10hipError_tPvRmT1_PNSt15iterator_traitsISK_E10value_typeET2_T3_PNSL_ISQ_E10value_typeET4_jRbjT5_SW_jjP12ihipStream_tbEUlT_E_NS1_11comp_targetILNS1_3genE10ELNS1_11target_archE1201ELNS1_3gpuE5ELNS1_3repE0EEENS1_30default_config_static_selectorELNS0_4arch9wavefront6targetE0EEEvSK_.has_recursion, or(0, .L_ZN7rocprim17ROCPRIM_400000_NS6detail40segmented_radix_sort_single_block_helperIslLj256ELj8ELb0EE4sortIPKsPsPKlPlEEbT_T0_T1_T2_jjjjRNS3_12storage_typeE.has_recursion)
	.set _ZN7rocprim17ROCPRIM_400000_NS6detail17trampoline_kernelINS0_14default_configENS1_36segmented_radix_sort_config_selectorIslEEZNS1_25segmented_radix_sort_implIS3_Lb0EPKsPsPKlPlN2at6native12_GLOBAL__N_18offset_tEEE10hipError_tPvRmT1_PNSt15iterator_traitsISK_E10value_typeET2_T3_PNSL_ISQ_E10value_typeET4_jRbjT5_SW_jjP12ihipStream_tbEUlT_E_NS1_11comp_targetILNS1_3genE10ELNS1_11target_archE1201ELNS1_3gpuE5ELNS1_3repE0EEENS1_30default_config_static_selectorELNS0_4arch9wavefront6targetE0EEEvSK_.has_indirect_call, or(0, .L_ZN7rocprim17ROCPRIM_400000_NS6detail40segmented_radix_sort_single_block_helperIslLj256ELj8ELb0EE4sortIPKsPsPKlPlEEbT_T0_T1_T2_jjjjRNS3_12storage_typeE.has_indirect_call)
	.section	.AMDGPU.csdata,"",@progbits
; Kernel info:
; codeLenInByte = 43672
; TotalNumSgprs: 52
; NumVgprs: 198
; ScratchSize: 0
; MemoryBound: 0
; FloatMode: 240
; IeeeMode: 1
; LDSByteSize: 17440 bytes/workgroup (compile time only)
; SGPRBlocks: 0
; VGPRBlocks: 24
; NumSGPRsForWavesPerEU: 52
; NumVGPRsForWavesPerEU: 198
; Occupancy: 7
; WaveLimiterHint : 1
; COMPUTE_PGM_RSRC2:SCRATCH_EN: 0
; COMPUTE_PGM_RSRC2:USER_SGPR: 2
; COMPUTE_PGM_RSRC2:TRAP_HANDLER: 0
; COMPUTE_PGM_RSRC2:TGID_X_EN: 1
; COMPUTE_PGM_RSRC2:TGID_Y_EN: 1
; COMPUTE_PGM_RSRC2:TGID_Z_EN: 0
; COMPUTE_PGM_RSRC2:TIDIG_COMP_CNT: 2
	.section	.text._ZN7rocprim17ROCPRIM_400000_NS6detail17trampoline_kernelINS0_14default_configENS1_36segmented_radix_sort_config_selectorIslEEZNS1_25segmented_radix_sort_implIS3_Lb0EPKsPsPKlPlN2at6native12_GLOBAL__N_18offset_tEEE10hipError_tPvRmT1_PNSt15iterator_traitsISK_E10value_typeET2_T3_PNSL_ISQ_E10value_typeET4_jRbjT5_SW_jjP12ihipStream_tbEUlT_E_NS1_11comp_targetILNS1_3genE10ELNS1_11target_archE1200ELNS1_3gpuE4ELNS1_3repE0EEENS1_30default_config_static_selectorELNS0_4arch9wavefront6targetE0EEEvSK_,"axG",@progbits,_ZN7rocprim17ROCPRIM_400000_NS6detail17trampoline_kernelINS0_14default_configENS1_36segmented_radix_sort_config_selectorIslEEZNS1_25segmented_radix_sort_implIS3_Lb0EPKsPsPKlPlN2at6native12_GLOBAL__N_18offset_tEEE10hipError_tPvRmT1_PNSt15iterator_traitsISK_E10value_typeET2_T3_PNSL_ISQ_E10value_typeET4_jRbjT5_SW_jjP12ihipStream_tbEUlT_E_NS1_11comp_targetILNS1_3genE10ELNS1_11target_archE1200ELNS1_3gpuE4ELNS1_3repE0EEENS1_30default_config_static_selectorELNS0_4arch9wavefront6targetE0EEEvSK_,comdat
	.globl	_ZN7rocprim17ROCPRIM_400000_NS6detail17trampoline_kernelINS0_14default_configENS1_36segmented_radix_sort_config_selectorIslEEZNS1_25segmented_radix_sort_implIS3_Lb0EPKsPsPKlPlN2at6native12_GLOBAL__N_18offset_tEEE10hipError_tPvRmT1_PNSt15iterator_traitsISK_E10value_typeET2_T3_PNSL_ISQ_E10value_typeET4_jRbjT5_SW_jjP12ihipStream_tbEUlT_E_NS1_11comp_targetILNS1_3genE10ELNS1_11target_archE1200ELNS1_3gpuE4ELNS1_3repE0EEENS1_30default_config_static_selectorELNS0_4arch9wavefront6targetE0EEEvSK_ ; -- Begin function _ZN7rocprim17ROCPRIM_400000_NS6detail17trampoline_kernelINS0_14default_configENS1_36segmented_radix_sort_config_selectorIslEEZNS1_25segmented_radix_sort_implIS3_Lb0EPKsPsPKlPlN2at6native12_GLOBAL__N_18offset_tEEE10hipError_tPvRmT1_PNSt15iterator_traitsISK_E10value_typeET2_T3_PNSL_ISQ_E10value_typeET4_jRbjT5_SW_jjP12ihipStream_tbEUlT_E_NS1_11comp_targetILNS1_3genE10ELNS1_11target_archE1200ELNS1_3gpuE4ELNS1_3repE0EEENS1_30default_config_static_selectorELNS0_4arch9wavefront6targetE0EEEvSK_
	.p2align	8
	.type	_ZN7rocprim17ROCPRIM_400000_NS6detail17trampoline_kernelINS0_14default_configENS1_36segmented_radix_sort_config_selectorIslEEZNS1_25segmented_radix_sort_implIS3_Lb0EPKsPsPKlPlN2at6native12_GLOBAL__N_18offset_tEEE10hipError_tPvRmT1_PNSt15iterator_traitsISK_E10value_typeET2_T3_PNSL_ISQ_E10value_typeET4_jRbjT5_SW_jjP12ihipStream_tbEUlT_E_NS1_11comp_targetILNS1_3genE10ELNS1_11target_archE1200ELNS1_3gpuE4ELNS1_3repE0EEENS1_30default_config_static_selectorELNS0_4arch9wavefront6targetE0EEEvSK_,@function
_ZN7rocprim17ROCPRIM_400000_NS6detail17trampoline_kernelINS0_14default_configENS1_36segmented_radix_sort_config_selectorIslEEZNS1_25segmented_radix_sort_implIS3_Lb0EPKsPsPKlPlN2at6native12_GLOBAL__N_18offset_tEEE10hipError_tPvRmT1_PNSt15iterator_traitsISK_E10value_typeET2_T3_PNSL_ISQ_E10value_typeET4_jRbjT5_SW_jjP12ihipStream_tbEUlT_E_NS1_11comp_targetILNS1_3genE10ELNS1_11target_archE1200ELNS1_3gpuE4ELNS1_3repE0EEENS1_30default_config_static_selectorELNS0_4arch9wavefront6targetE0EEEvSK_: ; @_ZN7rocprim17ROCPRIM_400000_NS6detail17trampoline_kernelINS0_14default_configENS1_36segmented_radix_sort_config_selectorIslEEZNS1_25segmented_radix_sort_implIS3_Lb0EPKsPsPKlPlN2at6native12_GLOBAL__N_18offset_tEEE10hipError_tPvRmT1_PNSt15iterator_traitsISK_E10value_typeET2_T3_PNSL_ISQ_E10value_typeET4_jRbjT5_SW_jjP12ihipStream_tbEUlT_E_NS1_11comp_targetILNS1_3genE10ELNS1_11target_archE1200ELNS1_3gpuE4ELNS1_3repE0EEENS1_30default_config_static_selectorELNS0_4arch9wavefront6targetE0EEEvSK_
; %bb.0:
	.section	.rodata,"a",@progbits
	.p2align	6, 0x0
	.amdhsa_kernel _ZN7rocprim17ROCPRIM_400000_NS6detail17trampoline_kernelINS0_14default_configENS1_36segmented_radix_sort_config_selectorIslEEZNS1_25segmented_radix_sort_implIS3_Lb0EPKsPsPKlPlN2at6native12_GLOBAL__N_18offset_tEEE10hipError_tPvRmT1_PNSt15iterator_traitsISK_E10value_typeET2_T3_PNSL_ISQ_E10value_typeET4_jRbjT5_SW_jjP12ihipStream_tbEUlT_E_NS1_11comp_targetILNS1_3genE10ELNS1_11target_archE1200ELNS1_3gpuE4ELNS1_3repE0EEENS1_30default_config_static_selectorELNS0_4arch9wavefront6targetE0EEEvSK_
		.amdhsa_group_segment_fixed_size 0
		.amdhsa_private_segment_fixed_size 0
		.amdhsa_kernarg_size 96
		.amdhsa_user_sgpr_count 2
		.amdhsa_user_sgpr_dispatch_ptr 0
		.amdhsa_user_sgpr_queue_ptr 0
		.amdhsa_user_sgpr_kernarg_segment_ptr 1
		.amdhsa_user_sgpr_dispatch_id 0
		.amdhsa_user_sgpr_private_segment_size 0
		.amdhsa_wavefront_size32 1
		.amdhsa_uses_dynamic_stack 0
		.amdhsa_enable_private_segment 0
		.amdhsa_system_sgpr_workgroup_id_x 1
		.amdhsa_system_sgpr_workgroup_id_y 0
		.amdhsa_system_sgpr_workgroup_id_z 0
		.amdhsa_system_sgpr_workgroup_info 0
		.amdhsa_system_vgpr_workitem_id 0
		.amdhsa_next_free_vgpr 1
		.amdhsa_next_free_sgpr 1
		.amdhsa_reserve_vcc 0
		.amdhsa_float_round_mode_32 0
		.amdhsa_float_round_mode_16_64 0
		.amdhsa_float_denorm_mode_32 3
		.amdhsa_float_denorm_mode_16_64 3
		.amdhsa_fp16_overflow 0
		.amdhsa_workgroup_processor_mode 1
		.amdhsa_memory_ordered 1
		.amdhsa_forward_progress 1
		.amdhsa_inst_pref_size 0
		.amdhsa_round_robin_scheduling 0
		.amdhsa_exception_fp_ieee_invalid_op 0
		.amdhsa_exception_fp_denorm_src 0
		.amdhsa_exception_fp_ieee_div_zero 0
		.amdhsa_exception_fp_ieee_overflow 0
		.amdhsa_exception_fp_ieee_underflow 0
		.amdhsa_exception_fp_ieee_inexact 0
		.amdhsa_exception_int_div_zero 0
	.end_amdhsa_kernel
	.section	.text._ZN7rocprim17ROCPRIM_400000_NS6detail17trampoline_kernelINS0_14default_configENS1_36segmented_radix_sort_config_selectorIslEEZNS1_25segmented_radix_sort_implIS3_Lb0EPKsPsPKlPlN2at6native12_GLOBAL__N_18offset_tEEE10hipError_tPvRmT1_PNSt15iterator_traitsISK_E10value_typeET2_T3_PNSL_ISQ_E10value_typeET4_jRbjT5_SW_jjP12ihipStream_tbEUlT_E_NS1_11comp_targetILNS1_3genE10ELNS1_11target_archE1200ELNS1_3gpuE4ELNS1_3repE0EEENS1_30default_config_static_selectorELNS0_4arch9wavefront6targetE0EEEvSK_,"axG",@progbits,_ZN7rocprim17ROCPRIM_400000_NS6detail17trampoline_kernelINS0_14default_configENS1_36segmented_radix_sort_config_selectorIslEEZNS1_25segmented_radix_sort_implIS3_Lb0EPKsPsPKlPlN2at6native12_GLOBAL__N_18offset_tEEE10hipError_tPvRmT1_PNSt15iterator_traitsISK_E10value_typeET2_T3_PNSL_ISQ_E10value_typeET4_jRbjT5_SW_jjP12ihipStream_tbEUlT_E_NS1_11comp_targetILNS1_3genE10ELNS1_11target_archE1200ELNS1_3gpuE4ELNS1_3repE0EEENS1_30default_config_static_selectorELNS0_4arch9wavefront6targetE0EEEvSK_,comdat
.Lfunc_end1021:
	.size	_ZN7rocprim17ROCPRIM_400000_NS6detail17trampoline_kernelINS0_14default_configENS1_36segmented_radix_sort_config_selectorIslEEZNS1_25segmented_radix_sort_implIS3_Lb0EPKsPsPKlPlN2at6native12_GLOBAL__N_18offset_tEEE10hipError_tPvRmT1_PNSt15iterator_traitsISK_E10value_typeET2_T3_PNSL_ISQ_E10value_typeET4_jRbjT5_SW_jjP12ihipStream_tbEUlT_E_NS1_11comp_targetILNS1_3genE10ELNS1_11target_archE1200ELNS1_3gpuE4ELNS1_3repE0EEENS1_30default_config_static_selectorELNS0_4arch9wavefront6targetE0EEEvSK_, .Lfunc_end1021-_ZN7rocprim17ROCPRIM_400000_NS6detail17trampoline_kernelINS0_14default_configENS1_36segmented_radix_sort_config_selectorIslEEZNS1_25segmented_radix_sort_implIS3_Lb0EPKsPsPKlPlN2at6native12_GLOBAL__N_18offset_tEEE10hipError_tPvRmT1_PNSt15iterator_traitsISK_E10value_typeET2_T3_PNSL_ISQ_E10value_typeET4_jRbjT5_SW_jjP12ihipStream_tbEUlT_E_NS1_11comp_targetILNS1_3genE10ELNS1_11target_archE1200ELNS1_3gpuE4ELNS1_3repE0EEENS1_30default_config_static_selectorELNS0_4arch9wavefront6targetE0EEEvSK_
                                        ; -- End function
	.set _ZN7rocprim17ROCPRIM_400000_NS6detail17trampoline_kernelINS0_14default_configENS1_36segmented_radix_sort_config_selectorIslEEZNS1_25segmented_radix_sort_implIS3_Lb0EPKsPsPKlPlN2at6native12_GLOBAL__N_18offset_tEEE10hipError_tPvRmT1_PNSt15iterator_traitsISK_E10value_typeET2_T3_PNSL_ISQ_E10value_typeET4_jRbjT5_SW_jjP12ihipStream_tbEUlT_E_NS1_11comp_targetILNS1_3genE10ELNS1_11target_archE1200ELNS1_3gpuE4ELNS1_3repE0EEENS1_30default_config_static_selectorELNS0_4arch9wavefront6targetE0EEEvSK_.num_vgpr, 0
	.set _ZN7rocprim17ROCPRIM_400000_NS6detail17trampoline_kernelINS0_14default_configENS1_36segmented_radix_sort_config_selectorIslEEZNS1_25segmented_radix_sort_implIS3_Lb0EPKsPsPKlPlN2at6native12_GLOBAL__N_18offset_tEEE10hipError_tPvRmT1_PNSt15iterator_traitsISK_E10value_typeET2_T3_PNSL_ISQ_E10value_typeET4_jRbjT5_SW_jjP12ihipStream_tbEUlT_E_NS1_11comp_targetILNS1_3genE10ELNS1_11target_archE1200ELNS1_3gpuE4ELNS1_3repE0EEENS1_30default_config_static_selectorELNS0_4arch9wavefront6targetE0EEEvSK_.num_agpr, 0
	.set _ZN7rocprim17ROCPRIM_400000_NS6detail17trampoline_kernelINS0_14default_configENS1_36segmented_radix_sort_config_selectorIslEEZNS1_25segmented_radix_sort_implIS3_Lb0EPKsPsPKlPlN2at6native12_GLOBAL__N_18offset_tEEE10hipError_tPvRmT1_PNSt15iterator_traitsISK_E10value_typeET2_T3_PNSL_ISQ_E10value_typeET4_jRbjT5_SW_jjP12ihipStream_tbEUlT_E_NS1_11comp_targetILNS1_3genE10ELNS1_11target_archE1200ELNS1_3gpuE4ELNS1_3repE0EEENS1_30default_config_static_selectorELNS0_4arch9wavefront6targetE0EEEvSK_.numbered_sgpr, 0
	.set _ZN7rocprim17ROCPRIM_400000_NS6detail17trampoline_kernelINS0_14default_configENS1_36segmented_radix_sort_config_selectorIslEEZNS1_25segmented_radix_sort_implIS3_Lb0EPKsPsPKlPlN2at6native12_GLOBAL__N_18offset_tEEE10hipError_tPvRmT1_PNSt15iterator_traitsISK_E10value_typeET2_T3_PNSL_ISQ_E10value_typeET4_jRbjT5_SW_jjP12ihipStream_tbEUlT_E_NS1_11comp_targetILNS1_3genE10ELNS1_11target_archE1200ELNS1_3gpuE4ELNS1_3repE0EEENS1_30default_config_static_selectorELNS0_4arch9wavefront6targetE0EEEvSK_.num_named_barrier, 0
	.set _ZN7rocprim17ROCPRIM_400000_NS6detail17trampoline_kernelINS0_14default_configENS1_36segmented_radix_sort_config_selectorIslEEZNS1_25segmented_radix_sort_implIS3_Lb0EPKsPsPKlPlN2at6native12_GLOBAL__N_18offset_tEEE10hipError_tPvRmT1_PNSt15iterator_traitsISK_E10value_typeET2_T3_PNSL_ISQ_E10value_typeET4_jRbjT5_SW_jjP12ihipStream_tbEUlT_E_NS1_11comp_targetILNS1_3genE10ELNS1_11target_archE1200ELNS1_3gpuE4ELNS1_3repE0EEENS1_30default_config_static_selectorELNS0_4arch9wavefront6targetE0EEEvSK_.private_seg_size, 0
	.set _ZN7rocprim17ROCPRIM_400000_NS6detail17trampoline_kernelINS0_14default_configENS1_36segmented_radix_sort_config_selectorIslEEZNS1_25segmented_radix_sort_implIS3_Lb0EPKsPsPKlPlN2at6native12_GLOBAL__N_18offset_tEEE10hipError_tPvRmT1_PNSt15iterator_traitsISK_E10value_typeET2_T3_PNSL_ISQ_E10value_typeET4_jRbjT5_SW_jjP12ihipStream_tbEUlT_E_NS1_11comp_targetILNS1_3genE10ELNS1_11target_archE1200ELNS1_3gpuE4ELNS1_3repE0EEENS1_30default_config_static_selectorELNS0_4arch9wavefront6targetE0EEEvSK_.uses_vcc, 0
	.set _ZN7rocprim17ROCPRIM_400000_NS6detail17trampoline_kernelINS0_14default_configENS1_36segmented_radix_sort_config_selectorIslEEZNS1_25segmented_radix_sort_implIS3_Lb0EPKsPsPKlPlN2at6native12_GLOBAL__N_18offset_tEEE10hipError_tPvRmT1_PNSt15iterator_traitsISK_E10value_typeET2_T3_PNSL_ISQ_E10value_typeET4_jRbjT5_SW_jjP12ihipStream_tbEUlT_E_NS1_11comp_targetILNS1_3genE10ELNS1_11target_archE1200ELNS1_3gpuE4ELNS1_3repE0EEENS1_30default_config_static_selectorELNS0_4arch9wavefront6targetE0EEEvSK_.uses_flat_scratch, 0
	.set _ZN7rocprim17ROCPRIM_400000_NS6detail17trampoline_kernelINS0_14default_configENS1_36segmented_radix_sort_config_selectorIslEEZNS1_25segmented_radix_sort_implIS3_Lb0EPKsPsPKlPlN2at6native12_GLOBAL__N_18offset_tEEE10hipError_tPvRmT1_PNSt15iterator_traitsISK_E10value_typeET2_T3_PNSL_ISQ_E10value_typeET4_jRbjT5_SW_jjP12ihipStream_tbEUlT_E_NS1_11comp_targetILNS1_3genE10ELNS1_11target_archE1200ELNS1_3gpuE4ELNS1_3repE0EEENS1_30default_config_static_selectorELNS0_4arch9wavefront6targetE0EEEvSK_.has_dyn_sized_stack, 0
	.set _ZN7rocprim17ROCPRIM_400000_NS6detail17trampoline_kernelINS0_14default_configENS1_36segmented_radix_sort_config_selectorIslEEZNS1_25segmented_radix_sort_implIS3_Lb0EPKsPsPKlPlN2at6native12_GLOBAL__N_18offset_tEEE10hipError_tPvRmT1_PNSt15iterator_traitsISK_E10value_typeET2_T3_PNSL_ISQ_E10value_typeET4_jRbjT5_SW_jjP12ihipStream_tbEUlT_E_NS1_11comp_targetILNS1_3genE10ELNS1_11target_archE1200ELNS1_3gpuE4ELNS1_3repE0EEENS1_30default_config_static_selectorELNS0_4arch9wavefront6targetE0EEEvSK_.has_recursion, 0
	.set _ZN7rocprim17ROCPRIM_400000_NS6detail17trampoline_kernelINS0_14default_configENS1_36segmented_radix_sort_config_selectorIslEEZNS1_25segmented_radix_sort_implIS3_Lb0EPKsPsPKlPlN2at6native12_GLOBAL__N_18offset_tEEE10hipError_tPvRmT1_PNSt15iterator_traitsISK_E10value_typeET2_T3_PNSL_ISQ_E10value_typeET4_jRbjT5_SW_jjP12ihipStream_tbEUlT_E_NS1_11comp_targetILNS1_3genE10ELNS1_11target_archE1200ELNS1_3gpuE4ELNS1_3repE0EEENS1_30default_config_static_selectorELNS0_4arch9wavefront6targetE0EEEvSK_.has_indirect_call, 0
	.section	.AMDGPU.csdata,"",@progbits
; Kernel info:
; codeLenInByte = 0
; TotalNumSgprs: 0
; NumVgprs: 0
; ScratchSize: 0
; MemoryBound: 0
; FloatMode: 240
; IeeeMode: 1
; LDSByteSize: 0 bytes/workgroup (compile time only)
; SGPRBlocks: 0
; VGPRBlocks: 0
; NumSGPRsForWavesPerEU: 1
; NumVGPRsForWavesPerEU: 1
; Occupancy: 16
; WaveLimiterHint : 0
; COMPUTE_PGM_RSRC2:SCRATCH_EN: 0
; COMPUTE_PGM_RSRC2:USER_SGPR: 2
; COMPUTE_PGM_RSRC2:TRAP_HANDLER: 0
; COMPUTE_PGM_RSRC2:TGID_X_EN: 1
; COMPUTE_PGM_RSRC2:TGID_Y_EN: 0
; COMPUTE_PGM_RSRC2:TGID_Z_EN: 0
; COMPUTE_PGM_RSRC2:TIDIG_COMP_CNT: 0
	.section	.text._ZN7rocprim17ROCPRIM_400000_NS6detail17trampoline_kernelINS0_14default_configENS1_36segmented_radix_sort_config_selectorIslEEZNS1_25segmented_radix_sort_implIS3_Lb0EPKsPsPKlPlN2at6native12_GLOBAL__N_18offset_tEEE10hipError_tPvRmT1_PNSt15iterator_traitsISK_E10value_typeET2_T3_PNSL_ISQ_E10value_typeET4_jRbjT5_SW_jjP12ihipStream_tbEUlT_E_NS1_11comp_targetILNS1_3genE9ELNS1_11target_archE1100ELNS1_3gpuE3ELNS1_3repE0EEENS1_30default_config_static_selectorELNS0_4arch9wavefront6targetE0EEEvSK_,"axG",@progbits,_ZN7rocprim17ROCPRIM_400000_NS6detail17trampoline_kernelINS0_14default_configENS1_36segmented_radix_sort_config_selectorIslEEZNS1_25segmented_radix_sort_implIS3_Lb0EPKsPsPKlPlN2at6native12_GLOBAL__N_18offset_tEEE10hipError_tPvRmT1_PNSt15iterator_traitsISK_E10value_typeET2_T3_PNSL_ISQ_E10value_typeET4_jRbjT5_SW_jjP12ihipStream_tbEUlT_E_NS1_11comp_targetILNS1_3genE9ELNS1_11target_archE1100ELNS1_3gpuE3ELNS1_3repE0EEENS1_30default_config_static_selectorELNS0_4arch9wavefront6targetE0EEEvSK_,comdat
	.globl	_ZN7rocprim17ROCPRIM_400000_NS6detail17trampoline_kernelINS0_14default_configENS1_36segmented_radix_sort_config_selectorIslEEZNS1_25segmented_radix_sort_implIS3_Lb0EPKsPsPKlPlN2at6native12_GLOBAL__N_18offset_tEEE10hipError_tPvRmT1_PNSt15iterator_traitsISK_E10value_typeET2_T3_PNSL_ISQ_E10value_typeET4_jRbjT5_SW_jjP12ihipStream_tbEUlT_E_NS1_11comp_targetILNS1_3genE9ELNS1_11target_archE1100ELNS1_3gpuE3ELNS1_3repE0EEENS1_30default_config_static_selectorELNS0_4arch9wavefront6targetE0EEEvSK_ ; -- Begin function _ZN7rocprim17ROCPRIM_400000_NS6detail17trampoline_kernelINS0_14default_configENS1_36segmented_radix_sort_config_selectorIslEEZNS1_25segmented_radix_sort_implIS3_Lb0EPKsPsPKlPlN2at6native12_GLOBAL__N_18offset_tEEE10hipError_tPvRmT1_PNSt15iterator_traitsISK_E10value_typeET2_T3_PNSL_ISQ_E10value_typeET4_jRbjT5_SW_jjP12ihipStream_tbEUlT_E_NS1_11comp_targetILNS1_3genE9ELNS1_11target_archE1100ELNS1_3gpuE3ELNS1_3repE0EEENS1_30default_config_static_selectorELNS0_4arch9wavefront6targetE0EEEvSK_
	.p2align	8
	.type	_ZN7rocprim17ROCPRIM_400000_NS6detail17trampoline_kernelINS0_14default_configENS1_36segmented_radix_sort_config_selectorIslEEZNS1_25segmented_radix_sort_implIS3_Lb0EPKsPsPKlPlN2at6native12_GLOBAL__N_18offset_tEEE10hipError_tPvRmT1_PNSt15iterator_traitsISK_E10value_typeET2_T3_PNSL_ISQ_E10value_typeET4_jRbjT5_SW_jjP12ihipStream_tbEUlT_E_NS1_11comp_targetILNS1_3genE9ELNS1_11target_archE1100ELNS1_3gpuE3ELNS1_3repE0EEENS1_30default_config_static_selectorELNS0_4arch9wavefront6targetE0EEEvSK_,@function
_ZN7rocprim17ROCPRIM_400000_NS6detail17trampoline_kernelINS0_14default_configENS1_36segmented_radix_sort_config_selectorIslEEZNS1_25segmented_radix_sort_implIS3_Lb0EPKsPsPKlPlN2at6native12_GLOBAL__N_18offset_tEEE10hipError_tPvRmT1_PNSt15iterator_traitsISK_E10value_typeET2_T3_PNSL_ISQ_E10value_typeET4_jRbjT5_SW_jjP12ihipStream_tbEUlT_E_NS1_11comp_targetILNS1_3genE9ELNS1_11target_archE1100ELNS1_3gpuE3ELNS1_3repE0EEENS1_30default_config_static_selectorELNS0_4arch9wavefront6targetE0EEEvSK_: ; @_ZN7rocprim17ROCPRIM_400000_NS6detail17trampoline_kernelINS0_14default_configENS1_36segmented_radix_sort_config_selectorIslEEZNS1_25segmented_radix_sort_implIS3_Lb0EPKsPsPKlPlN2at6native12_GLOBAL__N_18offset_tEEE10hipError_tPvRmT1_PNSt15iterator_traitsISK_E10value_typeET2_T3_PNSL_ISQ_E10value_typeET4_jRbjT5_SW_jjP12ihipStream_tbEUlT_E_NS1_11comp_targetILNS1_3genE9ELNS1_11target_archE1100ELNS1_3gpuE3ELNS1_3repE0EEENS1_30default_config_static_selectorELNS0_4arch9wavefront6targetE0EEEvSK_
; %bb.0:
	.section	.rodata,"a",@progbits
	.p2align	6, 0x0
	.amdhsa_kernel _ZN7rocprim17ROCPRIM_400000_NS6detail17trampoline_kernelINS0_14default_configENS1_36segmented_radix_sort_config_selectorIslEEZNS1_25segmented_radix_sort_implIS3_Lb0EPKsPsPKlPlN2at6native12_GLOBAL__N_18offset_tEEE10hipError_tPvRmT1_PNSt15iterator_traitsISK_E10value_typeET2_T3_PNSL_ISQ_E10value_typeET4_jRbjT5_SW_jjP12ihipStream_tbEUlT_E_NS1_11comp_targetILNS1_3genE9ELNS1_11target_archE1100ELNS1_3gpuE3ELNS1_3repE0EEENS1_30default_config_static_selectorELNS0_4arch9wavefront6targetE0EEEvSK_
		.amdhsa_group_segment_fixed_size 0
		.amdhsa_private_segment_fixed_size 0
		.amdhsa_kernarg_size 96
		.amdhsa_user_sgpr_count 2
		.amdhsa_user_sgpr_dispatch_ptr 0
		.amdhsa_user_sgpr_queue_ptr 0
		.amdhsa_user_sgpr_kernarg_segment_ptr 1
		.amdhsa_user_sgpr_dispatch_id 0
		.amdhsa_user_sgpr_private_segment_size 0
		.amdhsa_wavefront_size32 1
		.amdhsa_uses_dynamic_stack 0
		.amdhsa_enable_private_segment 0
		.amdhsa_system_sgpr_workgroup_id_x 1
		.amdhsa_system_sgpr_workgroup_id_y 0
		.amdhsa_system_sgpr_workgroup_id_z 0
		.amdhsa_system_sgpr_workgroup_info 0
		.amdhsa_system_vgpr_workitem_id 0
		.amdhsa_next_free_vgpr 1
		.amdhsa_next_free_sgpr 1
		.amdhsa_reserve_vcc 0
		.amdhsa_float_round_mode_32 0
		.amdhsa_float_round_mode_16_64 0
		.amdhsa_float_denorm_mode_32 3
		.amdhsa_float_denorm_mode_16_64 3
		.amdhsa_fp16_overflow 0
		.amdhsa_workgroup_processor_mode 1
		.amdhsa_memory_ordered 1
		.amdhsa_forward_progress 1
		.amdhsa_inst_pref_size 0
		.amdhsa_round_robin_scheduling 0
		.amdhsa_exception_fp_ieee_invalid_op 0
		.amdhsa_exception_fp_denorm_src 0
		.amdhsa_exception_fp_ieee_div_zero 0
		.amdhsa_exception_fp_ieee_overflow 0
		.amdhsa_exception_fp_ieee_underflow 0
		.amdhsa_exception_fp_ieee_inexact 0
		.amdhsa_exception_int_div_zero 0
	.end_amdhsa_kernel
	.section	.text._ZN7rocprim17ROCPRIM_400000_NS6detail17trampoline_kernelINS0_14default_configENS1_36segmented_radix_sort_config_selectorIslEEZNS1_25segmented_radix_sort_implIS3_Lb0EPKsPsPKlPlN2at6native12_GLOBAL__N_18offset_tEEE10hipError_tPvRmT1_PNSt15iterator_traitsISK_E10value_typeET2_T3_PNSL_ISQ_E10value_typeET4_jRbjT5_SW_jjP12ihipStream_tbEUlT_E_NS1_11comp_targetILNS1_3genE9ELNS1_11target_archE1100ELNS1_3gpuE3ELNS1_3repE0EEENS1_30default_config_static_selectorELNS0_4arch9wavefront6targetE0EEEvSK_,"axG",@progbits,_ZN7rocprim17ROCPRIM_400000_NS6detail17trampoline_kernelINS0_14default_configENS1_36segmented_radix_sort_config_selectorIslEEZNS1_25segmented_radix_sort_implIS3_Lb0EPKsPsPKlPlN2at6native12_GLOBAL__N_18offset_tEEE10hipError_tPvRmT1_PNSt15iterator_traitsISK_E10value_typeET2_T3_PNSL_ISQ_E10value_typeET4_jRbjT5_SW_jjP12ihipStream_tbEUlT_E_NS1_11comp_targetILNS1_3genE9ELNS1_11target_archE1100ELNS1_3gpuE3ELNS1_3repE0EEENS1_30default_config_static_selectorELNS0_4arch9wavefront6targetE0EEEvSK_,comdat
.Lfunc_end1022:
	.size	_ZN7rocprim17ROCPRIM_400000_NS6detail17trampoline_kernelINS0_14default_configENS1_36segmented_radix_sort_config_selectorIslEEZNS1_25segmented_radix_sort_implIS3_Lb0EPKsPsPKlPlN2at6native12_GLOBAL__N_18offset_tEEE10hipError_tPvRmT1_PNSt15iterator_traitsISK_E10value_typeET2_T3_PNSL_ISQ_E10value_typeET4_jRbjT5_SW_jjP12ihipStream_tbEUlT_E_NS1_11comp_targetILNS1_3genE9ELNS1_11target_archE1100ELNS1_3gpuE3ELNS1_3repE0EEENS1_30default_config_static_selectorELNS0_4arch9wavefront6targetE0EEEvSK_, .Lfunc_end1022-_ZN7rocprim17ROCPRIM_400000_NS6detail17trampoline_kernelINS0_14default_configENS1_36segmented_radix_sort_config_selectorIslEEZNS1_25segmented_radix_sort_implIS3_Lb0EPKsPsPKlPlN2at6native12_GLOBAL__N_18offset_tEEE10hipError_tPvRmT1_PNSt15iterator_traitsISK_E10value_typeET2_T3_PNSL_ISQ_E10value_typeET4_jRbjT5_SW_jjP12ihipStream_tbEUlT_E_NS1_11comp_targetILNS1_3genE9ELNS1_11target_archE1100ELNS1_3gpuE3ELNS1_3repE0EEENS1_30default_config_static_selectorELNS0_4arch9wavefront6targetE0EEEvSK_
                                        ; -- End function
	.set _ZN7rocprim17ROCPRIM_400000_NS6detail17trampoline_kernelINS0_14default_configENS1_36segmented_radix_sort_config_selectorIslEEZNS1_25segmented_radix_sort_implIS3_Lb0EPKsPsPKlPlN2at6native12_GLOBAL__N_18offset_tEEE10hipError_tPvRmT1_PNSt15iterator_traitsISK_E10value_typeET2_T3_PNSL_ISQ_E10value_typeET4_jRbjT5_SW_jjP12ihipStream_tbEUlT_E_NS1_11comp_targetILNS1_3genE9ELNS1_11target_archE1100ELNS1_3gpuE3ELNS1_3repE0EEENS1_30default_config_static_selectorELNS0_4arch9wavefront6targetE0EEEvSK_.num_vgpr, 0
	.set _ZN7rocprim17ROCPRIM_400000_NS6detail17trampoline_kernelINS0_14default_configENS1_36segmented_radix_sort_config_selectorIslEEZNS1_25segmented_radix_sort_implIS3_Lb0EPKsPsPKlPlN2at6native12_GLOBAL__N_18offset_tEEE10hipError_tPvRmT1_PNSt15iterator_traitsISK_E10value_typeET2_T3_PNSL_ISQ_E10value_typeET4_jRbjT5_SW_jjP12ihipStream_tbEUlT_E_NS1_11comp_targetILNS1_3genE9ELNS1_11target_archE1100ELNS1_3gpuE3ELNS1_3repE0EEENS1_30default_config_static_selectorELNS0_4arch9wavefront6targetE0EEEvSK_.num_agpr, 0
	.set _ZN7rocprim17ROCPRIM_400000_NS6detail17trampoline_kernelINS0_14default_configENS1_36segmented_radix_sort_config_selectorIslEEZNS1_25segmented_radix_sort_implIS3_Lb0EPKsPsPKlPlN2at6native12_GLOBAL__N_18offset_tEEE10hipError_tPvRmT1_PNSt15iterator_traitsISK_E10value_typeET2_T3_PNSL_ISQ_E10value_typeET4_jRbjT5_SW_jjP12ihipStream_tbEUlT_E_NS1_11comp_targetILNS1_3genE9ELNS1_11target_archE1100ELNS1_3gpuE3ELNS1_3repE0EEENS1_30default_config_static_selectorELNS0_4arch9wavefront6targetE0EEEvSK_.numbered_sgpr, 0
	.set _ZN7rocprim17ROCPRIM_400000_NS6detail17trampoline_kernelINS0_14default_configENS1_36segmented_radix_sort_config_selectorIslEEZNS1_25segmented_radix_sort_implIS3_Lb0EPKsPsPKlPlN2at6native12_GLOBAL__N_18offset_tEEE10hipError_tPvRmT1_PNSt15iterator_traitsISK_E10value_typeET2_T3_PNSL_ISQ_E10value_typeET4_jRbjT5_SW_jjP12ihipStream_tbEUlT_E_NS1_11comp_targetILNS1_3genE9ELNS1_11target_archE1100ELNS1_3gpuE3ELNS1_3repE0EEENS1_30default_config_static_selectorELNS0_4arch9wavefront6targetE0EEEvSK_.num_named_barrier, 0
	.set _ZN7rocprim17ROCPRIM_400000_NS6detail17trampoline_kernelINS0_14default_configENS1_36segmented_radix_sort_config_selectorIslEEZNS1_25segmented_radix_sort_implIS3_Lb0EPKsPsPKlPlN2at6native12_GLOBAL__N_18offset_tEEE10hipError_tPvRmT1_PNSt15iterator_traitsISK_E10value_typeET2_T3_PNSL_ISQ_E10value_typeET4_jRbjT5_SW_jjP12ihipStream_tbEUlT_E_NS1_11comp_targetILNS1_3genE9ELNS1_11target_archE1100ELNS1_3gpuE3ELNS1_3repE0EEENS1_30default_config_static_selectorELNS0_4arch9wavefront6targetE0EEEvSK_.private_seg_size, 0
	.set _ZN7rocprim17ROCPRIM_400000_NS6detail17trampoline_kernelINS0_14default_configENS1_36segmented_radix_sort_config_selectorIslEEZNS1_25segmented_radix_sort_implIS3_Lb0EPKsPsPKlPlN2at6native12_GLOBAL__N_18offset_tEEE10hipError_tPvRmT1_PNSt15iterator_traitsISK_E10value_typeET2_T3_PNSL_ISQ_E10value_typeET4_jRbjT5_SW_jjP12ihipStream_tbEUlT_E_NS1_11comp_targetILNS1_3genE9ELNS1_11target_archE1100ELNS1_3gpuE3ELNS1_3repE0EEENS1_30default_config_static_selectorELNS0_4arch9wavefront6targetE0EEEvSK_.uses_vcc, 0
	.set _ZN7rocprim17ROCPRIM_400000_NS6detail17trampoline_kernelINS0_14default_configENS1_36segmented_radix_sort_config_selectorIslEEZNS1_25segmented_radix_sort_implIS3_Lb0EPKsPsPKlPlN2at6native12_GLOBAL__N_18offset_tEEE10hipError_tPvRmT1_PNSt15iterator_traitsISK_E10value_typeET2_T3_PNSL_ISQ_E10value_typeET4_jRbjT5_SW_jjP12ihipStream_tbEUlT_E_NS1_11comp_targetILNS1_3genE9ELNS1_11target_archE1100ELNS1_3gpuE3ELNS1_3repE0EEENS1_30default_config_static_selectorELNS0_4arch9wavefront6targetE0EEEvSK_.uses_flat_scratch, 0
	.set _ZN7rocprim17ROCPRIM_400000_NS6detail17trampoline_kernelINS0_14default_configENS1_36segmented_radix_sort_config_selectorIslEEZNS1_25segmented_radix_sort_implIS3_Lb0EPKsPsPKlPlN2at6native12_GLOBAL__N_18offset_tEEE10hipError_tPvRmT1_PNSt15iterator_traitsISK_E10value_typeET2_T3_PNSL_ISQ_E10value_typeET4_jRbjT5_SW_jjP12ihipStream_tbEUlT_E_NS1_11comp_targetILNS1_3genE9ELNS1_11target_archE1100ELNS1_3gpuE3ELNS1_3repE0EEENS1_30default_config_static_selectorELNS0_4arch9wavefront6targetE0EEEvSK_.has_dyn_sized_stack, 0
	.set _ZN7rocprim17ROCPRIM_400000_NS6detail17trampoline_kernelINS0_14default_configENS1_36segmented_radix_sort_config_selectorIslEEZNS1_25segmented_radix_sort_implIS3_Lb0EPKsPsPKlPlN2at6native12_GLOBAL__N_18offset_tEEE10hipError_tPvRmT1_PNSt15iterator_traitsISK_E10value_typeET2_T3_PNSL_ISQ_E10value_typeET4_jRbjT5_SW_jjP12ihipStream_tbEUlT_E_NS1_11comp_targetILNS1_3genE9ELNS1_11target_archE1100ELNS1_3gpuE3ELNS1_3repE0EEENS1_30default_config_static_selectorELNS0_4arch9wavefront6targetE0EEEvSK_.has_recursion, 0
	.set _ZN7rocprim17ROCPRIM_400000_NS6detail17trampoline_kernelINS0_14default_configENS1_36segmented_radix_sort_config_selectorIslEEZNS1_25segmented_radix_sort_implIS3_Lb0EPKsPsPKlPlN2at6native12_GLOBAL__N_18offset_tEEE10hipError_tPvRmT1_PNSt15iterator_traitsISK_E10value_typeET2_T3_PNSL_ISQ_E10value_typeET4_jRbjT5_SW_jjP12ihipStream_tbEUlT_E_NS1_11comp_targetILNS1_3genE9ELNS1_11target_archE1100ELNS1_3gpuE3ELNS1_3repE0EEENS1_30default_config_static_selectorELNS0_4arch9wavefront6targetE0EEEvSK_.has_indirect_call, 0
	.section	.AMDGPU.csdata,"",@progbits
; Kernel info:
; codeLenInByte = 0
; TotalNumSgprs: 0
; NumVgprs: 0
; ScratchSize: 0
; MemoryBound: 0
; FloatMode: 240
; IeeeMode: 1
; LDSByteSize: 0 bytes/workgroup (compile time only)
; SGPRBlocks: 0
; VGPRBlocks: 0
; NumSGPRsForWavesPerEU: 1
; NumVGPRsForWavesPerEU: 1
; Occupancy: 16
; WaveLimiterHint : 0
; COMPUTE_PGM_RSRC2:SCRATCH_EN: 0
; COMPUTE_PGM_RSRC2:USER_SGPR: 2
; COMPUTE_PGM_RSRC2:TRAP_HANDLER: 0
; COMPUTE_PGM_RSRC2:TGID_X_EN: 1
; COMPUTE_PGM_RSRC2:TGID_Y_EN: 0
; COMPUTE_PGM_RSRC2:TGID_Z_EN: 0
; COMPUTE_PGM_RSRC2:TIDIG_COMP_CNT: 0
	.section	.text._ZN7rocprim17ROCPRIM_400000_NS6detail17trampoline_kernelINS0_14default_configENS1_36segmented_radix_sort_config_selectorIslEEZNS1_25segmented_radix_sort_implIS3_Lb0EPKsPsPKlPlN2at6native12_GLOBAL__N_18offset_tEEE10hipError_tPvRmT1_PNSt15iterator_traitsISK_E10value_typeET2_T3_PNSL_ISQ_E10value_typeET4_jRbjT5_SW_jjP12ihipStream_tbEUlT_E_NS1_11comp_targetILNS1_3genE8ELNS1_11target_archE1030ELNS1_3gpuE2ELNS1_3repE0EEENS1_30default_config_static_selectorELNS0_4arch9wavefront6targetE0EEEvSK_,"axG",@progbits,_ZN7rocprim17ROCPRIM_400000_NS6detail17trampoline_kernelINS0_14default_configENS1_36segmented_radix_sort_config_selectorIslEEZNS1_25segmented_radix_sort_implIS3_Lb0EPKsPsPKlPlN2at6native12_GLOBAL__N_18offset_tEEE10hipError_tPvRmT1_PNSt15iterator_traitsISK_E10value_typeET2_T3_PNSL_ISQ_E10value_typeET4_jRbjT5_SW_jjP12ihipStream_tbEUlT_E_NS1_11comp_targetILNS1_3genE8ELNS1_11target_archE1030ELNS1_3gpuE2ELNS1_3repE0EEENS1_30default_config_static_selectorELNS0_4arch9wavefront6targetE0EEEvSK_,comdat
	.globl	_ZN7rocprim17ROCPRIM_400000_NS6detail17trampoline_kernelINS0_14default_configENS1_36segmented_radix_sort_config_selectorIslEEZNS1_25segmented_radix_sort_implIS3_Lb0EPKsPsPKlPlN2at6native12_GLOBAL__N_18offset_tEEE10hipError_tPvRmT1_PNSt15iterator_traitsISK_E10value_typeET2_T3_PNSL_ISQ_E10value_typeET4_jRbjT5_SW_jjP12ihipStream_tbEUlT_E_NS1_11comp_targetILNS1_3genE8ELNS1_11target_archE1030ELNS1_3gpuE2ELNS1_3repE0EEENS1_30default_config_static_selectorELNS0_4arch9wavefront6targetE0EEEvSK_ ; -- Begin function _ZN7rocprim17ROCPRIM_400000_NS6detail17trampoline_kernelINS0_14default_configENS1_36segmented_radix_sort_config_selectorIslEEZNS1_25segmented_radix_sort_implIS3_Lb0EPKsPsPKlPlN2at6native12_GLOBAL__N_18offset_tEEE10hipError_tPvRmT1_PNSt15iterator_traitsISK_E10value_typeET2_T3_PNSL_ISQ_E10value_typeET4_jRbjT5_SW_jjP12ihipStream_tbEUlT_E_NS1_11comp_targetILNS1_3genE8ELNS1_11target_archE1030ELNS1_3gpuE2ELNS1_3repE0EEENS1_30default_config_static_selectorELNS0_4arch9wavefront6targetE0EEEvSK_
	.p2align	8
	.type	_ZN7rocprim17ROCPRIM_400000_NS6detail17trampoline_kernelINS0_14default_configENS1_36segmented_radix_sort_config_selectorIslEEZNS1_25segmented_radix_sort_implIS3_Lb0EPKsPsPKlPlN2at6native12_GLOBAL__N_18offset_tEEE10hipError_tPvRmT1_PNSt15iterator_traitsISK_E10value_typeET2_T3_PNSL_ISQ_E10value_typeET4_jRbjT5_SW_jjP12ihipStream_tbEUlT_E_NS1_11comp_targetILNS1_3genE8ELNS1_11target_archE1030ELNS1_3gpuE2ELNS1_3repE0EEENS1_30default_config_static_selectorELNS0_4arch9wavefront6targetE0EEEvSK_,@function
_ZN7rocprim17ROCPRIM_400000_NS6detail17trampoline_kernelINS0_14default_configENS1_36segmented_radix_sort_config_selectorIslEEZNS1_25segmented_radix_sort_implIS3_Lb0EPKsPsPKlPlN2at6native12_GLOBAL__N_18offset_tEEE10hipError_tPvRmT1_PNSt15iterator_traitsISK_E10value_typeET2_T3_PNSL_ISQ_E10value_typeET4_jRbjT5_SW_jjP12ihipStream_tbEUlT_E_NS1_11comp_targetILNS1_3genE8ELNS1_11target_archE1030ELNS1_3gpuE2ELNS1_3repE0EEENS1_30default_config_static_selectorELNS0_4arch9wavefront6targetE0EEEvSK_: ; @_ZN7rocprim17ROCPRIM_400000_NS6detail17trampoline_kernelINS0_14default_configENS1_36segmented_radix_sort_config_selectorIslEEZNS1_25segmented_radix_sort_implIS3_Lb0EPKsPsPKlPlN2at6native12_GLOBAL__N_18offset_tEEE10hipError_tPvRmT1_PNSt15iterator_traitsISK_E10value_typeET2_T3_PNSL_ISQ_E10value_typeET4_jRbjT5_SW_jjP12ihipStream_tbEUlT_E_NS1_11comp_targetILNS1_3genE8ELNS1_11target_archE1030ELNS1_3gpuE2ELNS1_3repE0EEENS1_30default_config_static_selectorELNS0_4arch9wavefront6targetE0EEEvSK_
; %bb.0:
	.section	.rodata,"a",@progbits
	.p2align	6, 0x0
	.amdhsa_kernel _ZN7rocprim17ROCPRIM_400000_NS6detail17trampoline_kernelINS0_14default_configENS1_36segmented_radix_sort_config_selectorIslEEZNS1_25segmented_radix_sort_implIS3_Lb0EPKsPsPKlPlN2at6native12_GLOBAL__N_18offset_tEEE10hipError_tPvRmT1_PNSt15iterator_traitsISK_E10value_typeET2_T3_PNSL_ISQ_E10value_typeET4_jRbjT5_SW_jjP12ihipStream_tbEUlT_E_NS1_11comp_targetILNS1_3genE8ELNS1_11target_archE1030ELNS1_3gpuE2ELNS1_3repE0EEENS1_30default_config_static_selectorELNS0_4arch9wavefront6targetE0EEEvSK_
		.amdhsa_group_segment_fixed_size 0
		.amdhsa_private_segment_fixed_size 0
		.amdhsa_kernarg_size 96
		.amdhsa_user_sgpr_count 2
		.amdhsa_user_sgpr_dispatch_ptr 0
		.amdhsa_user_sgpr_queue_ptr 0
		.amdhsa_user_sgpr_kernarg_segment_ptr 1
		.amdhsa_user_sgpr_dispatch_id 0
		.amdhsa_user_sgpr_private_segment_size 0
		.amdhsa_wavefront_size32 1
		.amdhsa_uses_dynamic_stack 0
		.amdhsa_enable_private_segment 0
		.amdhsa_system_sgpr_workgroup_id_x 1
		.amdhsa_system_sgpr_workgroup_id_y 0
		.amdhsa_system_sgpr_workgroup_id_z 0
		.amdhsa_system_sgpr_workgroup_info 0
		.amdhsa_system_vgpr_workitem_id 0
		.amdhsa_next_free_vgpr 1
		.amdhsa_next_free_sgpr 1
		.amdhsa_reserve_vcc 0
		.amdhsa_float_round_mode_32 0
		.amdhsa_float_round_mode_16_64 0
		.amdhsa_float_denorm_mode_32 3
		.amdhsa_float_denorm_mode_16_64 3
		.amdhsa_fp16_overflow 0
		.amdhsa_workgroup_processor_mode 1
		.amdhsa_memory_ordered 1
		.amdhsa_forward_progress 1
		.amdhsa_inst_pref_size 0
		.amdhsa_round_robin_scheduling 0
		.amdhsa_exception_fp_ieee_invalid_op 0
		.amdhsa_exception_fp_denorm_src 0
		.amdhsa_exception_fp_ieee_div_zero 0
		.amdhsa_exception_fp_ieee_overflow 0
		.amdhsa_exception_fp_ieee_underflow 0
		.amdhsa_exception_fp_ieee_inexact 0
		.amdhsa_exception_int_div_zero 0
	.end_amdhsa_kernel
	.section	.text._ZN7rocprim17ROCPRIM_400000_NS6detail17trampoline_kernelINS0_14default_configENS1_36segmented_radix_sort_config_selectorIslEEZNS1_25segmented_radix_sort_implIS3_Lb0EPKsPsPKlPlN2at6native12_GLOBAL__N_18offset_tEEE10hipError_tPvRmT1_PNSt15iterator_traitsISK_E10value_typeET2_T3_PNSL_ISQ_E10value_typeET4_jRbjT5_SW_jjP12ihipStream_tbEUlT_E_NS1_11comp_targetILNS1_3genE8ELNS1_11target_archE1030ELNS1_3gpuE2ELNS1_3repE0EEENS1_30default_config_static_selectorELNS0_4arch9wavefront6targetE0EEEvSK_,"axG",@progbits,_ZN7rocprim17ROCPRIM_400000_NS6detail17trampoline_kernelINS0_14default_configENS1_36segmented_radix_sort_config_selectorIslEEZNS1_25segmented_radix_sort_implIS3_Lb0EPKsPsPKlPlN2at6native12_GLOBAL__N_18offset_tEEE10hipError_tPvRmT1_PNSt15iterator_traitsISK_E10value_typeET2_T3_PNSL_ISQ_E10value_typeET4_jRbjT5_SW_jjP12ihipStream_tbEUlT_E_NS1_11comp_targetILNS1_3genE8ELNS1_11target_archE1030ELNS1_3gpuE2ELNS1_3repE0EEENS1_30default_config_static_selectorELNS0_4arch9wavefront6targetE0EEEvSK_,comdat
.Lfunc_end1023:
	.size	_ZN7rocprim17ROCPRIM_400000_NS6detail17trampoline_kernelINS0_14default_configENS1_36segmented_radix_sort_config_selectorIslEEZNS1_25segmented_radix_sort_implIS3_Lb0EPKsPsPKlPlN2at6native12_GLOBAL__N_18offset_tEEE10hipError_tPvRmT1_PNSt15iterator_traitsISK_E10value_typeET2_T3_PNSL_ISQ_E10value_typeET4_jRbjT5_SW_jjP12ihipStream_tbEUlT_E_NS1_11comp_targetILNS1_3genE8ELNS1_11target_archE1030ELNS1_3gpuE2ELNS1_3repE0EEENS1_30default_config_static_selectorELNS0_4arch9wavefront6targetE0EEEvSK_, .Lfunc_end1023-_ZN7rocprim17ROCPRIM_400000_NS6detail17trampoline_kernelINS0_14default_configENS1_36segmented_radix_sort_config_selectorIslEEZNS1_25segmented_radix_sort_implIS3_Lb0EPKsPsPKlPlN2at6native12_GLOBAL__N_18offset_tEEE10hipError_tPvRmT1_PNSt15iterator_traitsISK_E10value_typeET2_T3_PNSL_ISQ_E10value_typeET4_jRbjT5_SW_jjP12ihipStream_tbEUlT_E_NS1_11comp_targetILNS1_3genE8ELNS1_11target_archE1030ELNS1_3gpuE2ELNS1_3repE0EEENS1_30default_config_static_selectorELNS0_4arch9wavefront6targetE0EEEvSK_
                                        ; -- End function
	.set _ZN7rocprim17ROCPRIM_400000_NS6detail17trampoline_kernelINS0_14default_configENS1_36segmented_radix_sort_config_selectorIslEEZNS1_25segmented_radix_sort_implIS3_Lb0EPKsPsPKlPlN2at6native12_GLOBAL__N_18offset_tEEE10hipError_tPvRmT1_PNSt15iterator_traitsISK_E10value_typeET2_T3_PNSL_ISQ_E10value_typeET4_jRbjT5_SW_jjP12ihipStream_tbEUlT_E_NS1_11comp_targetILNS1_3genE8ELNS1_11target_archE1030ELNS1_3gpuE2ELNS1_3repE0EEENS1_30default_config_static_selectorELNS0_4arch9wavefront6targetE0EEEvSK_.num_vgpr, 0
	.set _ZN7rocprim17ROCPRIM_400000_NS6detail17trampoline_kernelINS0_14default_configENS1_36segmented_radix_sort_config_selectorIslEEZNS1_25segmented_radix_sort_implIS3_Lb0EPKsPsPKlPlN2at6native12_GLOBAL__N_18offset_tEEE10hipError_tPvRmT1_PNSt15iterator_traitsISK_E10value_typeET2_T3_PNSL_ISQ_E10value_typeET4_jRbjT5_SW_jjP12ihipStream_tbEUlT_E_NS1_11comp_targetILNS1_3genE8ELNS1_11target_archE1030ELNS1_3gpuE2ELNS1_3repE0EEENS1_30default_config_static_selectorELNS0_4arch9wavefront6targetE0EEEvSK_.num_agpr, 0
	.set _ZN7rocprim17ROCPRIM_400000_NS6detail17trampoline_kernelINS0_14default_configENS1_36segmented_radix_sort_config_selectorIslEEZNS1_25segmented_radix_sort_implIS3_Lb0EPKsPsPKlPlN2at6native12_GLOBAL__N_18offset_tEEE10hipError_tPvRmT1_PNSt15iterator_traitsISK_E10value_typeET2_T3_PNSL_ISQ_E10value_typeET4_jRbjT5_SW_jjP12ihipStream_tbEUlT_E_NS1_11comp_targetILNS1_3genE8ELNS1_11target_archE1030ELNS1_3gpuE2ELNS1_3repE0EEENS1_30default_config_static_selectorELNS0_4arch9wavefront6targetE0EEEvSK_.numbered_sgpr, 0
	.set _ZN7rocprim17ROCPRIM_400000_NS6detail17trampoline_kernelINS0_14default_configENS1_36segmented_radix_sort_config_selectorIslEEZNS1_25segmented_radix_sort_implIS3_Lb0EPKsPsPKlPlN2at6native12_GLOBAL__N_18offset_tEEE10hipError_tPvRmT1_PNSt15iterator_traitsISK_E10value_typeET2_T3_PNSL_ISQ_E10value_typeET4_jRbjT5_SW_jjP12ihipStream_tbEUlT_E_NS1_11comp_targetILNS1_3genE8ELNS1_11target_archE1030ELNS1_3gpuE2ELNS1_3repE0EEENS1_30default_config_static_selectorELNS0_4arch9wavefront6targetE0EEEvSK_.num_named_barrier, 0
	.set _ZN7rocprim17ROCPRIM_400000_NS6detail17trampoline_kernelINS0_14default_configENS1_36segmented_radix_sort_config_selectorIslEEZNS1_25segmented_radix_sort_implIS3_Lb0EPKsPsPKlPlN2at6native12_GLOBAL__N_18offset_tEEE10hipError_tPvRmT1_PNSt15iterator_traitsISK_E10value_typeET2_T3_PNSL_ISQ_E10value_typeET4_jRbjT5_SW_jjP12ihipStream_tbEUlT_E_NS1_11comp_targetILNS1_3genE8ELNS1_11target_archE1030ELNS1_3gpuE2ELNS1_3repE0EEENS1_30default_config_static_selectorELNS0_4arch9wavefront6targetE0EEEvSK_.private_seg_size, 0
	.set _ZN7rocprim17ROCPRIM_400000_NS6detail17trampoline_kernelINS0_14default_configENS1_36segmented_radix_sort_config_selectorIslEEZNS1_25segmented_radix_sort_implIS3_Lb0EPKsPsPKlPlN2at6native12_GLOBAL__N_18offset_tEEE10hipError_tPvRmT1_PNSt15iterator_traitsISK_E10value_typeET2_T3_PNSL_ISQ_E10value_typeET4_jRbjT5_SW_jjP12ihipStream_tbEUlT_E_NS1_11comp_targetILNS1_3genE8ELNS1_11target_archE1030ELNS1_3gpuE2ELNS1_3repE0EEENS1_30default_config_static_selectorELNS0_4arch9wavefront6targetE0EEEvSK_.uses_vcc, 0
	.set _ZN7rocprim17ROCPRIM_400000_NS6detail17trampoline_kernelINS0_14default_configENS1_36segmented_radix_sort_config_selectorIslEEZNS1_25segmented_radix_sort_implIS3_Lb0EPKsPsPKlPlN2at6native12_GLOBAL__N_18offset_tEEE10hipError_tPvRmT1_PNSt15iterator_traitsISK_E10value_typeET2_T3_PNSL_ISQ_E10value_typeET4_jRbjT5_SW_jjP12ihipStream_tbEUlT_E_NS1_11comp_targetILNS1_3genE8ELNS1_11target_archE1030ELNS1_3gpuE2ELNS1_3repE0EEENS1_30default_config_static_selectorELNS0_4arch9wavefront6targetE0EEEvSK_.uses_flat_scratch, 0
	.set _ZN7rocprim17ROCPRIM_400000_NS6detail17trampoline_kernelINS0_14default_configENS1_36segmented_radix_sort_config_selectorIslEEZNS1_25segmented_radix_sort_implIS3_Lb0EPKsPsPKlPlN2at6native12_GLOBAL__N_18offset_tEEE10hipError_tPvRmT1_PNSt15iterator_traitsISK_E10value_typeET2_T3_PNSL_ISQ_E10value_typeET4_jRbjT5_SW_jjP12ihipStream_tbEUlT_E_NS1_11comp_targetILNS1_3genE8ELNS1_11target_archE1030ELNS1_3gpuE2ELNS1_3repE0EEENS1_30default_config_static_selectorELNS0_4arch9wavefront6targetE0EEEvSK_.has_dyn_sized_stack, 0
	.set _ZN7rocprim17ROCPRIM_400000_NS6detail17trampoline_kernelINS0_14default_configENS1_36segmented_radix_sort_config_selectorIslEEZNS1_25segmented_radix_sort_implIS3_Lb0EPKsPsPKlPlN2at6native12_GLOBAL__N_18offset_tEEE10hipError_tPvRmT1_PNSt15iterator_traitsISK_E10value_typeET2_T3_PNSL_ISQ_E10value_typeET4_jRbjT5_SW_jjP12ihipStream_tbEUlT_E_NS1_11comp_targetILNS1_3genE8ELNS1_11target_archE1030ELNS1_3gpuE2ELNS1_3repE0EEENS1_30default_config_static_selectorELNS0_4arch9wavefront6targetE0EEEvSK_.has_recursion, 0
	.set _ZN7rocprim17ROCPRIM_400000_NS6detail17trampoline_kernelINS0_14default_configENS1_36segmented_radix_sort_config_selectorIslEEZNS1_25segmented_radix_sort_implIS3_Lb0EPKsPsPKlPlN2at6native12_GLOBAL__N_18offset_tEEE10hipError_tPvRmT1_PNSt15iterator_traitsISK_E10value_typeET2_T3_PNSL_ISQ_E10value_typeET4_jRbjT5_SW_jjP12ihipStream_tbEUlT_E_NS1_11comp_targetILNS1_3genE8ELNS1_11target_archE1030ELNS1_3gpuE2ELNS1_3repE0EEENS1_30default_config_static_selectorELNS0_4arch9wavefront6targetE0EEEvSK_.has_indirect_call, 0
	.section	.AMDGPU.csdata,"",@progbits
; Kernel info:
; codeLenInByte = 0
; TotalNumSgprs: 0
; NumVgprs: 0
; ScratchSize: 0
; MemoryBound: 0
; FloatMode: 240
; IeeeMode: 1
; LDSByteSize: 0 bytes/workgroup (compile time only)
; SGPRBlocks: 0
; VGPRBlocks: 0
; NumSGPRsForWavesPerEU: 1
; NumVGPRsForWavesPerEU: 1
; Occupancy: 16
; WaveLimiterHint : 0
; COMPUTE_PGM_RSRC2:SCRATCH_EN: 0
; COMPUTE_PGM_RSRC2:USER_SGPR: 2
; COMPUTE_PGM_RSRC2:TRAP_HANDLER: 0
; COMPUTE_PGM_RSRC2:TGID_X_EN: 1
; COMPUTE_PGM_RSRC2:TGID_Y_EN: 0
; COMPUTE_PGM_RSRC2:TGID_Z_EN: 0
; COMPUTE_PGM_RSRC2:TIDIG_COMP_CNT: 0
	.section	.text._ZN7rocprim17ROCPRIM_400000_NS6detail17trampoline_kernelINS0_14default_configENS1_36segmented_radix_sort_config_selectorIslEEZNS1_25segmented_radix_sort_implIS3_Lb0EPKsPsPKlPlN2at6native12_GLOBAL__N_18offset_tEEE10hipError_tPvRmT1_PNSt15iterator_traitsISK_E10value_typeET2_T3_PNSL_ISQ_E10value_typeET4_jRbjT5_SW_jjP12ihipStream_tbEUlT_E0_NS1_11comp_targetILNS1_3genE0ELNS1_11target_archE4294967295ELNS1_3gpuE0ELNS1_3repE0EEENS1_60segmented_radix_sort_warp_sort_medium_config_static_selectorELNS0_4arch9wavefront6targetE0EEEvSK_,"axG",@progbits,_ZN7rocprim17ROCPRIM_400000_NS6detail17trampoline_kernelINS0_14default_configENS1_36segmented_radix_sort_config_selectorIslEEZNS1_25segmented_radix_sort_implIS3_Lb0EPKsPsPKlPlN2at6native12_GLOBAL__N_18offset_tEEE10hipError_tPvRmT1_PNSt15iterator_traitsISK_E10value_typeET2_T3_PNSL_ISQ_E10value_typeET4_jRbjT5_SW_jjP12ihipStream_tbEUlT_E0_NS1_11comp_targetILNS1_3genE0ELNS1_11target_archE4294967295ELNS1_3gpuE0ELNS1_3repE0EEENS1_60segmented_radix_sort_warp_sort_medium_config_static_selectorELNS0_4arch9wavefront6targetE0EEEvSK_,comdat
	.globl	_ZN7rocprim17ROCPRIM_400000_NS6detail17trampoline_kernelINS0_14default_configENS1_36segmented_radix_sort_config_selectorIslEEZNS1_25segmented_radix_sort_implIS3_Lb0EPKsPsPKlPlN2at6native12_GLOBAL__N_18offset_tEEE10hipError_tPvRmT1_PNSt15iterator_traitsISK_E10value_typeET2_T3_PNSL_ISQ_E10value_typeET4_jRbjT5_SW_jjP12ihipStream_tbEUlT_E0_NS1_11comp_targetILNS1_3genE0ELNS1_11target_archE4294967295ELNS1_3gpuE0ELNS1_3repE0EEENS1_60segmented_radix_sort_warp_sort_medium_config_static_selectorELNS0_4arch9wavefront6targetE0EEEvSK_ ; -- Begin function _ZN7rocprim17ROCPRIM_400000_NS6detail17trampoline_kernelINS0_14default_configENS1_36segmented_radix_sort_config_selectorIslEEZNS1_25segmented_radix_sort_implIS3_Lb0EPKsPsPKlPlN2at6native12_GLOBAL__N_18offset_tEEE10hipError_tPvRmT1_PNSt15iterator_traitsISK_E10value_typeET2_T3_PNSL_ISQ_E10value_typeET4_jRbjT5_SW_jjP12ihipStream_tbEUlT_E0_NS1_11comp_targetILNS1_3genE0ELNS1_11target_archE4294967295ELNS1_3gpuE0ELNS1_3repE0EEENS1_60segmented_radix_sort_warp_sort_medium_config_static_selectorELNS0_4arch9wavefront6targetE0EEEvSK_
	.p2align	8
	.type	_ZN7rocprim17ROCPRIM_400000_NS6detail17trampoline_kernelINS0_14default_configENS1_36segmented_radix_sort_config_selectorIslEEZNS1_25segmented_radix_sort_implIS3_Lb0EPKsPsPKlPlN2at6native12_GLOBAL__N_18offset_tEEE10hipError_tPvRmT1_PNSt15iterator_traitsISK_E10value_typeET2_T3_PNSL_ISQ_E10value_typeET4_jRbjT5_SW_jjP12ihipStream_tbEUlT_E0_NS1_11comp_targetILNS1_3genE0ELNS1_11target_archE4294967295ELNS1_3gpuE0ELNS1_3repE0EEENS1_60segmented_radix_sort_warp_sort_medium_config_static_selectorELNS0_4arch9wavefront6targetE0EEEvSK_,@function
_ZN7rocprim17ROCPRIM_400000_NS6detail17trampoline_kernelINS0_14default_configENS1_36segmented_radix_sort_config_selectorIslEEZNS1_25segmented_radix_sort_implIS3_Lb0EPKsPsPKlPlN2at6native12_GLOBAL__N_18offset_tEEE10hipError_tPvRmT1_PNSt15iterator_traitsISK_E10value_typeET2_T3_PNSL_ISQ_E10value_typeET4_jRbjT5_SW_jjP12ihipStream_tbEUlT_E0_NS1_11comp_targetILNS1_3genE0ELNS1_11target_archE4294967295ELNS1_3gpuE0ELNS1_3repE0EEENS1_60segmented_radix_sort_warp_sort_medium_config_static_selectorELNS0_4arch9wavefront6targetE0EEEvSK_: ; @_ZN7rocprim17ROCPRIM_400000_NS6detail17trampoline_kernelINS0_14default_configENS1_36segmented_radix_sort_config_selectorIslEEZNS1_25segmented_radix_sort_implIS3_Lb0EPKsPsPKlPlN2at6native12_GLOBAL__N_18offset_tEEE10hipError_tPvRmT1_PNSt15iterator_traitsISK_E10value_typeET2_T3_PNSL_ISQ_E10value_typeET4_jRbjT5_SW_jjP12ihipStream_tbEUlT_E0_NS1_11comp_targetILNS1_3genE0ELNS1_11target_archE4294967295ELNS1_3gpuE0ELNS1_3repE0EEENS1_60segmented_radix_sort_warp_sort_medium_config_static_selectorELNS0_4arch9wavefront6targetE0EEEvSK_
; %bb.0:
	.section	.rodata,"a",@progbits
	.p2align	6, 0x0
	.amdhsa_kernel _ZN7rocprim17ROCPRIM_400000_NS6detail17trampoline_kernelINS0_14default_configENS1_36segmented_radix_sort_config_selectorIslEEZNS1_25segmented_radix_sort_implIS3_Lb0EPKsPsPKlPlN2at6native12_GLOBAL__N_18offset_tEEE10hipError_tPvRmT1_PNSt15iterator_traitsISK_E10value_typeET2_T3_PNSL_ISQ_E10value_typeET4_jRbjT5_SW_jjP12ihipStream_tbEUlT_E0_NS1_11comp_targetILNS1_3genE0ELNS1_11target_archE4294967295ELNS1_3gpuE0ELNS1_3repE0EEENS1_60segmented_radix_sort_warp_sort_medium_config_static_selectorELNS0_4arch9wavefront6targetE0EEEvSK_
		.amdhsa_group_segment_fixed_size 0
		.amdhsa_private_segment_fixed_size 0
		.amdhsa_kernarg_size 88
		.amdhsa_user_sgpr_count 2
		.amdhsa_user_sgpr_dispatch_ptr 0
		.amdhsa_user_sgpr_queue_ptr 0
		.amdhsa_user_sgpr_kernarg_segment_ptr 1
		.amdhsa_user_sgpr_dispatch_id 0
		.amdhsa_user_sgpr_private_segment_size 0
		.amdhsa_wavefront_size32 1
		.amdhsa_uses_dynamic_stack 0
		.amdhsa_enable_private_segment 0
		.amdhsa_system_sgpr_workgroup_id_x 1
		.amdhsa_system_sgpr_workgroup_id_y 0
		.amdhsa_system_sgpr_workgroup_id_z 0
		.amdhsa_system_sgpr_workgroup_info 0
		.amdhsa_system_vgpr_workitem_id 0
		.amdhsa_next_free_vgpr 1
		.amdhsa_next_free_sgpr 1
		.amdhsa_reserve_vcc 0
		.amdhsa_float_round_mode_32 0
		.amdhsa_float_round_mode_16_64 0
		.amdhsa_float_denorm_mode_32 3
		.amdhsa_float_denorm_mode_16_64 3
		.amdhsa_fp16_overflow 0
		.amdhsa_workgroup_processor_mode 1
		.amdhsa_memory_ordered 1
		.amdhsa_forward_progress 1
		.amdhsa_inst_pref_size 0
		.amdhsa_round_robin_scheduling 0
		.amdhsa_exception_fp_ieee_invalid_op 0
		.amdhsa_exception_fp_denorm_src 0
		.amdhsa_exception_fp_ieee_div_zero 0
		.amdhsa_exception_fp_ieee_overflow 0
		.amdhsa_exception_fp_ieee_underflow 0
		.amdhsa_exception_fp_ieee_inexact 0
		.amdhsa_exception_int_div_zero 0
	.end_amdhsa_kernel
	.section	.text._ZN7rocprim17ROCPRIM_400000_NS6detail17trampoline_kernelINS0_14default_configENS1_36segmented_radix_sort_config_selectorIslEEZNS1_25segmented_radix_sort_implIS3_Lb0EPKsPsPKlPlN2at6native12_GLOBAL__N_18offset_tEEE10hipError_tPvRmT1_PNSt15iterator_traitsISK_E10value_typeET2_T3_PNSL_ISQ_E10value_typeET4_jRbjT5_SW_jjP12ihipStream_tbEUlT_E0_NS1_11comp_targetILNS1_3genE0ELNS1_11target_archE4294967295ELNS1_3gpuE0ELNS1_3repE0EEENS1_60segmented_radix_sort_warp_sort_medium_config_static_selectorELNS0_4arch9wavefront6targetE0EEEvSK_,"axG",@progbits,_ZN7rocprim17ROCPRIM_400000_NS6detail17trampoline_kernelINS0_14default_configENS1_36segmented_radix_sort_config_selectorIslEEZNS1_25segmented_radix_sort_implIS3_Lb0EPKsPsPKlPlN2at6native12_GLOBAL__N_18offset_tEEE10hipError_tPvRmT1_PNSt15iterator_traitsISK_E10value_typeET2_T3_PNSL_ISQ_E10value_typeET4_jRbjT5_SW_jjP12ihipStream_tbEUlT_E0_NS1_11comp_targetILNS1_3genE0ELNS1_11target_archE4294967295ELNS1_3gpuE0ELNS1_3repE0EEENS1_60segmented_radix_sort_warp_sort_medium_config_static_selectorELNS0_4arch9wavefront6targetE0EEEvSK_,comdat
.Lfunc_end1024:
	.size	_ZN7rocprim17ROCPRIM_400000_NS6detail17trampoline_kernelINS0_14default_configENS1_36segmented_radix_sort_config_selectorIslEEZNS1_25segmented_radix_sort_implIS3_Lb0EPKsPsPKlPlN2at6native12_GLOBAL__N_18offset_tEEE10hipError_tPvRmT1_PNSt15iterator_traitsISK_E10value_typeET2_T3_PNSL_ISQ_E10value_typeET4_jRbjT5_SW_jjP12ihipStream_tbEUlT_E0_NS1_11comp_targetILNS1_3genE0ELNS1_11target_archE4294967295ELNS1_3gpuE0ELNS1_3repE0EEENS1_60segmented_radix_sort_warp_sort_medium_config_static_selectorELNS0_4arch9wavefront6targetE0EEEvSK_, .Lfunc_end1024-_ZN7rocprim17ROCPRIM_400000_NS6detail17trampoline_kernelINS0_14default_configENS1_36segmented_radix_sort_config_selectorIslEEZNS1_25segmented_radix_sort_implIS3_Lb0EPKsPsPKlPlN2at6native12_GLOBAL__N_18offset_tEEE10hipError_tPvRmT1_PNSt15iterator_traitsISK_E10value_typeET2_T3_PNSL_ISQ_E10value_typeET4_jRbjT5_SW_jjP12ihipStream_tbEUlT_E0_NS1_11comp_targetILNS1_3genE0ELNS1_11target_archE4294967295ELNS1_3gpuE0ELNS1_3repE0EEENS1_60segmented_radix_sort_warp_sort_medium_config_static_selectorELNS0_4arch9wavefront6targetE0EEEvSK_
                                        ; -- End function
	.set _ZN7rocprim17ROCPRIM_400000_NS6detail17trampoline_kernelINS0_14default_configENS1_36segmented_radix_sort_config_selectorIslEEZNS1_25segmented_radix_sort_implIS3_Lb0EPKsPsPKlPlN2at6native12_GLOBAL__N_18offset_tEEE10hipError_tPvRmT1_PNSt15iterator_traitsISK_E10value_typeET2_T3_PNSL_ISQ_E10value_typeET4_jRbjT5_SW_jjP12ihipStream_tbEUlT_E0_NS1_11comp_targetILNS1_3genE0ELNS1_11target_archE4294967295ELNS1_3gpuE0ELNS1_3repE0EEENS1_60segmented_radix_sort_warp_sort_medium_config_static_selectorELNS0_4arch9wavefront6targetE0EEEvSK_.num_vgpr, 0
	.set _ZN7rocprim17ROCPRIM_400000_NS6detail17trampoline_kernelINS0_14default_configENS1_36segmented_radix_sort_config_selectorIslEEZNS1_25segmented_radix_sort_implIS3_Lb0EPKsPsPKlPlN2at6native12_GLOBAL__N_18offset_tEEE10hipError_tPvRmT1_PNSt15iterator_traitsISK_E10value_typeET2_T3_PNSL_ISQ_E10value_typeET4_jRbjT5_SW_jjP12ihipStream_tbEUlT_E0_NS1_11comp_targetILNS1_3genE0ELNS1_11target_archE4294967295ELNS1_3gpuE0ELNS1_3repE0EEENS1_60segmented_radix_sort_warp_sort_medium_config_static_selectorELNS0_4arch9wavefront6targetE0EEEvSK_.num_agpr, 0
	.set _ZN7rocprim17ROCPRIM_400000_NS6detail17trampoline_kernelINS0_14default_configENS1_36segmented_radix_sort_config_selectorIslEEZNS1_25segmented_radix_sort_implIS3_Lb0EPKsPsPKlPlN2at6native12_GLOBAL__N_18offset_tEEE10hipError_tPvRmT1_PNSt15iterator_traitsISK_E10value_typeET2_T3_PNSL_ISQ_E10value_typeET4_jRbjT5_SW_jjP12ihipStream_tbEUlT_E0_NS1_11comp_targetILNS1_3genE0ELNS1_11target_archE4294967295ELNS1_3gpuE0ELNS1_3repE0EEENS1_60segmented_radix_sort_warp_sort_medium_config_static_selectorELNS0_4arch9wavefront6targetE0EEEvSK_.numbered_sgpr, 0
	.set _ZN7rocprim17ROCPRIM_400000_NS6detail17trampoline_kernelINS0_14default_configENS1_36segmented_radix_sort_config_selectorIslEEZNS1_25segmented_radix_sort_implIS3_Lb0EPKsPsPKlPlN2at6native12_GLOBAL__N_18offset_tEEE10hipError_tPvRmT1_PNSt15iterator_traitsISK_E10value_typeET2_T3_PNSL_ISQ_E10value_typeET4_jRbjT5_SW_jjP12ihipStream_tbEUlT_E0_NS1_11comp_targetILNS1_3genE0ELNS1_11target_archE4294967295ELNS1_3gpuE0ELNS1_3repE0EEENS1_60segmented_radix_sort_warp_sort_medium_config_static_selectorELNS0_4arch9wavefront6targetE0EEEvSK_.num_named_barrier, 0
	.set _ZN7rocprim17ROCPRIM_400000_NS6detail17trampoline_kernelINS0_14default_configENS1_36segmented_radix_sort_config_selectorIslEEZNS1_25segmented_radix_sort_implIS3_Lb0EPKsPsPKlPlN2at6native12_GLOBAL__N_18offset_tEEE10hipError_tPvRmT1_PNSt15iterator_traitsISK_E10value_typeET2_T3_PNSL_ISQ_E10value_typeET4_jRbjT5_SW_jjP12ihipStream_tbEUlT_E0_NS1_11comp_targetILNS1_3genE0ELNS1_11target_archE4294967295ELNS1_3gpuE0ELNS1_3repE0EEENS1_60segmented_radix_sort_warp_sort_medium_config_static_selectorELNS0_4arch9wavefront6targetE0EEEvSK_.private_seg_size, 0
	.set _ZN7rocprim17ROCPRIM_400000_NS6detail17trampoline_kernelINS0_14default_configENS1_36segmented_radix_sort_config_selectorIslEEZNS1_25segmented_radix_sort_implIS3_Lb0EPKsPsPKlPlN2at6native12_GLOBAL__N_18offset_tEEE10hipError_tPvRmT1_PNSt15iterator_traitsISK_E10value_typeET2_T3_PNSL_ISQ_E10value_typeET4_jRbjT5_SW_jjP12ihipStream_tbEUlT_E0_NS1_11comp_targetILNS1_3genE0ELNS1_11target_archE4294967295ELNS1_3gpuE0ELNS1_3repE0EEENS1_60segmented_radix_sort_warp_sort_medium_config_static_selectorELNS0_4arch9wavefront6targetE0EEEvSK_.uses_vcc, 0
	.set _ZN7rocprim17ROCPRIM_400000_NS6detail17trampoline_kernelINS0_14default_configENS1_36segmented_radix_sort_config_selectorIslEEZNS1_25segmented_radix_sort_implIS3_Lb0EPKsPsPKlPlN2at6native12_GLOBAL__N_18offset_tEEE10hipError_tPvRmT1_PNSt15iterator_traitsISK_E10value_typeET2_T3_PNSL_ISQ_E10value_typeET4_jRbjT5_SW_jjP12ihipStream_tbEUlT_E0_NS1_11comp_targetILNS1_3genE0ELNS1_11target_archE4294967295ELNS1_3gpuE0ELNS1_3repE0EEENS1_60segmented_radix_sort_warp_sort_medium_config_static_selectorELNS0_4arch9wavefront6targetE0EEEvSK_.uses_flat_scratch, 0
	.set _ZN7rocprim17ROCPRIM_400000_NS6detail17trampoline_kernelINS0_14default_configENS1_36segmented_radix_sort_config_selectorIslEEZNS1_25segmented_radix_sort_implIS3_Lb0EPKsPsPKlPlN2at6native12_GLOBAL__N_18offset_tEEE10hipError_tPvRmT1_PNSt15iterator_traitsISK_E10value_typeET2_T3_PNSL_ISQ_E10value_typeET4_jRbjT5_SW_jjP12ihipStream_tbEUlT_E0_NS1_11comp_targetILNS1_3genE0ELNS1_11target_archE4294967295ELNS1_3gpuE0ELNS1_3repE0EEENS1_60segmented_radix_sort_warp_sort_medium_config_static_selectorELNS0_4arch9wavefront6targetE0EEEvSK_.has_dyn_sized_stack, 0
	.set _ZN7rocprim17ROCPRIM_400000_NS6detail17trampoline_kernelINS0_14default_configENS1_36segmented_radix_sort_config_selectorIslEEZNS1_25segmented_radix_sort_implIS3_Lb0EPKsPsPKlPlN2at6native12_GLOBAL__N_18offset_tEEE10hipError_tPvRmT1_PNSt15iterator_traitsISK_E10value_typeET2_T3_PNSL_ISQ_E10value_typeET4_jRbjT5_SW_jjP12ihipStream_tbEUlT_E0_NS1_11comp_targetILNS1_3genE0ELNS1_11target_archE4294967295ELNS1_3gpuE0ELNS1_3repE0EEENS1_60segmented_radix_sort_warp_sort_medium_config_static_selectorELNS0_4arch9wavefront6targetE0EEEvSK_.has_recursion, 0
	.set _ZN7rocprim17ROCPRIM_400000_NS6detail17trampoline_kernelINS0_14default_configENS1_36segmented_radix_sort_config_selectorIslEEZNS1_25segmented_radix_sort_implIS3_Lb0EPKsPsPKlPlN2at6native12_GLOBAL__N_18offset_tEEE10hipError_tPvRmT1_PNSt15iterator_traitsISK_E10value_typeET2_T3_PNSL_ISQ_E10value_typeET4_jRbjT5_SW_jjP12ihipStream_tbEUlT_E0_NS1_11comp_targetILNS1_3genE0ELNS1_11target_archE4294967295ELNS1_3gpuE0ELNS1_3repE0EEENS1_60segmented_radix_sort_warp_sort_medium_config_static_selectorELNS0_4arch9wavefront6targetE0EEEvSK_.has_indirect_call, 0
	.section	.AMDGPU.csdata,"",@progbits
; Kernel info:
; codeLenInByte = 0
; TotalNumSgprs: 0
; NumVgprs: 0
; ScratchSize: 0
; MemoryBound: 0
; FloatMode: 240
; IeeeMode: 1
; LDSByteSize: 0 bytes/workgroup (compile time only)
; SGPRBlocks: 0
; VGPRBlocks: 0
; NumSGPRsForWavesPerEU: 1
; NumVGPRsForWavesPerEU: 1
; Occupancy: 16
; WaveLimiterHint : 0
; COMPUTE_PGM_RSRC2:SCRATCH_EN: 0
; COMPUTE_PGM_RSRC2:USER_SGPR: 2
; COMPUTE_PGM_RSRC2:TRAP_HANDLER: 0
; COMPUTE_PGM_RSRC2:TGID_X_EN: 1
; COMPUTE_PGM_RSRC2:TGID_Y_EN: 0
; COMPUTE_PGM_RSRC2:TGID_Z_EN: 0
; COMPUTE_PGM_RSRC2:TIDIG_COMP_CNT: 0
	.section	.text._ZN7rocprim17ROCPRIM_400000_NS6detail17trampoline_kernelINS0_14default_configENS1_36segmented_radix_sort_config_selectorIslEEZNS1_25segmented_radix_sort_implIS3_Lb0EPKsPsPKlPlN2at6native12_GLOBAL__N_18offset_tEEE10hipError_tPvRmT1_PNSt15iterator_traitsISK_E10value_typeET2_T3_PNSL_ISQ_E10value_typeET4_jRbjT5_SW_jjP12ihipStream_tbEUlT_E0_NS1_11comp_targetILNS1_3genE5ELNS1_11target_archE942ELNS1_3gpuE9ELNS1_3repE0EEENS1_60segmented_radix_sort_warp_sort_medium_config_static_selectorELNS0_4arch9wavefront6targetE0EEEvSK_,"axG",@progbits,_ZN7rocprim17ROCPRIM_400000_NS6detail17trampoline_kernelINS0_14default_configENS1_36segmented_radix_sort_config_selectorIslEEZNS1_25segmented_radix_sort_implIS3_Lb0EPKsPsPKlPlN2at6native12_GLOBAL__N_18offset_tEEE10hipError_tPvRmT1_PNSt15iterator_traitsISK_E10value_typeET2_T3_PNSL_ISQ_E10value_typeET4_jRbjT5_SW_jjP12ihipStream_tbEUlT_E0_NS1_11comp_targetILNS1_3genE5ELNS1_11target_archE942ELNS1_3gpuE9ELNS1_3repE0EEENS1_60segmented_radix_sort_warp_sort_medium_config_static_selectorELNS0_4arch9wavefront6targetE0EEEvSK_,comdat
	.globl	_ZN7rocprim17ROCPRIM_400000_NS6detail17trampoline_kernelINS0_14default_configENS1_36segmented_radix_sort_config_selectorIslEEZNS1_25segmented_radix_sort_implIS3_Lb0EPKsPsPKlPlN2at6native12_GLOBAL__N_18offset_tEEE10hipError_tPvRmT1_PNSt15iterator_traitsISK_E10value_typeET2_T3_PNSL_ISQ_E10value_typeET4_jRbjT5_SW_jjP12ihipStream_tbEUlT_E0_NS1_11comp_targetILNS1_3genE5ELNS1_11target_archE942ELNS1_3gpuE9ELNS1_3repE0EEENS1_60segmented_radix_sort_warp_sort_medium_config_static_selectorELNS0_4arch9wavefront6targetE0EEEvSK_ ; -- Begin function _ZN7rocprim17ROCPRIM_400000_NS6detail17trampoline_kernelINS0_14default_configENS1_36segmented_radix_sort_config_selectorIslEEZNS1_25segmented_radix_sort_implIS3_Lb0EPKsPsPKlPlN2at6native12_GLOBAL__N_18offset_tEEE10hipError_tPvRmT1_PNSt15iterator_traitsISK_E10value_typeET2_T3_PNSL_ISQ_E10value_typeET4_jRbjT5_SW_jjP12ihipStream_tbEUlT_E0_NS1_11comp_targetILNS1_3genE5ELNS1_11target_archE942ELNS1_3gpuE9ELNS1_3repE0EEENS1_60segmented_radix_sort_warp_sort_medium_config_static_selectorELNS0_4arch9wavefront6targetE0EEEvSK_
	.p2align	8
	.type	_ZN7rocprim17ROCPRIM_400000_NS6detail17trampoline_kernelINS0_14default_configENS1_36segmented_radix_sort_config_selectorIslEEZNS1_25segmented_radix_sort_implIS3_Lb0EPKsPsPKlPlN2at6native12_GLOBAL__N_18offset_tEEE10hipError_tPvRmT1_PNSt15iterator_traitsISK_E10value_typeET2_T3_PNSL_ISQ_E10value_typeET4_jRbjT5_SW_jjP12ihipStream_tbEUlT_E0_NS1_11comp_targetILNS1_3genE5ELNS1_11target_archE942ELNS1_3gpuE9ELNS1_3repE0EEENS1_60segmented_radix_sort_warp_sort_medium_config_static_selectorELNS0_4arch9wavefront6targetE0EEEvSK_,@function
_ZN7rocprim17ROCPRIM_400000_NS6detail17trampoline_kernelINS0_14default_configENS1_36segmented_radix_sort_config_selectorIslEEZNS1_25segmented_radix_sort_implIS3_Lb0EPKsPsPKlPlN2at6native12_GLOBAL__N_18offset_tEEE10hipError_tPvRmT1_PNSt15iterator_traitsISK_E10value_typeET2_T3_PNSL_ISQ_E10value_typeET4_jRbjT5_SW_jjP12ihipStream_tbEUlT_E0_NS1_11comp_targetILNS1_3genE5ELNS1_11target_archE942ELNS1_3gpuE9ELNS1_3repE0EEENS1_60segmented_radix_sort_warp_sort_medium_config_static_selectorELNS0_4arch9wavefront6targetE0EEEvSK_: ; @_ZN7rocprim17ROCPRIM_400000_NS6detail17trampoline_kernelINS0_14default_configENS1_36segmented_radix_sort_config_selectorIslEEZNS1_25segmented_radix_sort_implIS3_Lb0EPKsPsPKlPlN2at6native12_GLOBAL__N_18offset_tEEE10hipError_tPvRmT1_PNSt15iterator_traitsISK_E10value_typeET2_T3_PNSL_ISQ_E10value_typeET4_jRbjT5_SW_jjP12ihipStream_tbEUlT_E0_NS1_11comp_targetILNS1_3genE5ELNS1_11target_archE942ELNS1_3gpuE9ELNS1_3repE0EEENS1_60segmented_radix_sort_warp_sort_medium_config_static_selectorELNS0_4arch9wavefront6targetE0EEEvSK_
; %bb.0:
	.section	.rodata,"a",@progbits
	.p2align	6, 0x0
	.amdhsa_kernel _ZN7rocprim17ROCPRIM_400000_NS6detail17trampoline_kernelINS0_14default_configENS1_36segmented_radix_sort_config_selectorIslEEZNS1_25segmented_radix_sort_implIS3_Lb0EPKsPsPKlPlN2at6native12_GLOBAL__N_18offset_tEEE10hipError_tPvRmT1_PNSt15iterator_traitsISK_E10value_typeET2_T3_PNSL_ISQ_E10value_typeET4_jRbjT5_SW_jjP12ihipStream_tbEUlT_E0_NS1_11comp_targetILNS1_3genE5ELNS1_11target_archE942ELNS1_3gpuE9ELNS1_3repE0EEENS1_60segmented_radix_sort_warp_sort_medium_config_static_selectorELNS0_4arch9wavefront6targetE0EEEvSK_
		.amdhsa_group_segment_fixed_size 0
		.amdhsa_private_segment_fixed_size 0
		.amdhsa_kernarg_size 88
		.amdhsa_user_sgpr_count 2
		.amdhsa_user_sgpr_dispatch_ptr 0
		.amdhsa_user_sgpr_queue_ptr 0
		.amdhsa_user_sgpr_kernarg_segment_ptr 1
		.amdhsa_user_sgpr_dispatch_id 0
		.amdhsa_user_sgpr_private_segment_size 0
		.amdhsa_wavefront_size32 1
		.amdhsa_uses_dynamic_stack 0
		.amdhsa_enable_private_segment 0
		.amdhsa_system_sgpr_workgroup_id_x 1
		.amdhsa_system_sgpr_workgroup_id_y 0
		.amdhsa_system_sgpr_workgroup_id_z 0
		.amdhsa_system_sgpr_workgroup_info 0
		.amdhsa_system_vgpr_workitem_id 0
		.amdhsa_next_free_vgpr 1
		.amdhsa_next_free_sgpr 1
		.amdhsa_reserve_vcc 0
		.amdhsa_float_round_mode_32 0
		.amdhsa_float_round_mode_16_64 0
		.amdhsa_float_denorm_mode_32 3
		.amdhsa_float_denorm_mode_16_64 3
		.amdhsa_fp16_overflow 0
		.amdhsa_workgroup_processor_mode 1
		.amdhsa_memory_ordered 1
		.amdhsa_forward_progress 1
		.amdhsa_inst_pref_size 0
		.amdhsa_round_robin_scheduling 0
		.amdhsa_exception_fp_ieee_invalid_op 0
		.amdhsa_exception_fp_denorm_src 0
		.amdhsa_exception_fp_ieee_div_zero 0
		.amdhsa_exception_fp_ieee_overflow 0
		.amdhsa_exception_fp_ieee_underflow 0
		.amdhsa_exception_fp_ieee_inexact 0
		.amdhsa_exception_int_div_zero 0
	.end_amdhsa_kernel
	.section	.text._ZN7rocprim17ROCPRIM_400000_NS6detail17trampoline_kernelINS0_14default_configENS1_36segmented_radix_sort_config_selectorIslEEZNS1_25segmented_radix_sort_implIS3_Lb0EPKsPsPKlPlN2at6native12_GLOBAL__N_18offset_tEEE10hipError_tPvRmT1_PNSt15iterator_traitsISK_E10value_typeET2_T3_PNSL_ISQ_E10value_typeET4_jRbjT5_SW_jjP12ihipStream_tbEUlT_E0_NS1_11comp_targetILNS1_3genE5ELNS1_11target_archE942ELNS1_3gpuE9ELNS1_3repE0EEENS1_60segmented_radix_sort_warp_sort_medium_config_static_selectorELNS0_4arch9wavefront6targetE0EEEvSK_,"axG",@progbits,_ZN7rocprim17ROCPRIM_400000_NS6detail17trampoline_kernelINS0_14default_configENS1_36segmented_radix_sort_config_selectorIslEEZNS1_25segmented_radix_sort_implIS3_Lb0EPKsPsPKlPlN2at6native12_GLOBAL__N_18offset_tEEE10hipError_tPvRmT1_PNSt15iterator_traitsISK_E10value_typeET2_T3_PNSL_ISQ_E10value_typeET4_jRbjT5_SW_jjP12ihipStream_tbEUlT_E0_NS1_11comp_targetILNS1_3genE5ELNS1_11target_archE942ELNS1_3gpuE9ELNS1_3repE0EEENS1_60segmented_radix_sort_warp_sort_medium_config_static_selectorELNS0_4arch9wavefront6targetE0EEEvSK_,comdat
.Lfunc_end1025:
	.size	_ZN7rocprim17ROCPRIM_400000_NS6detail17trampoline_kernelINS0_14default_configENS1_36segmented_radix_sort_config_selectorIslEEZNS1_25segmented_radix_sort_implIS3_Lb0EPKsPsPKlPlN2at6native12_GLOBAL__N_18offset_tEEE10hipError_tPvRmT1_PNSt15iterator_traitsISK_E10value_typeET2_T3_PNSL_ISQ_E10value_typeET4_jRbjT5_SW_jjP12ihipStream_tbEUlT_E0_NS1_11comp_targetILNS1_3genE5ELNS1_11target_archE942ELNS1_3gpuE9ELNS1_3repE0EEENS1_60segmented_radix_sort_warp_sort_medium_config_static_selectorELNS0_4arch9wavefront6targetE0EEEvSK_, .Lfunc_end1025-_ZN7rocprim17ROCPRIM_400000_NS6detail17trampoline_kernelINS0_14default_configENS1_36segmented_radix_sort_config_selectorIslEEZNS1_25segmented_radix_sort_implIS3_Lb0EPKsPsPKlPlN2at6native12_GLOBAL__N_18offset_tEEE10hipError_tPvRmT1_PNSt15iterator_traitsISK_E10value_typeET2_T3_PNSL_ISQ_E10value_typeET4_jRbjT5_SW_jjP12ihipStream_tbEUlT_E0_NS1_11comp_targetILNS1_3genE5ELNS1_11target_archE942ELNS1_3gpuE9ELNS1_3repE0EEENS1_60segmented_radix_sort_warp_sort_medium_config_static_selectorELNS0_4arch9wavefront6targetE0EEEvSK_
                                        ; -- End function
	.set _ZN7rocprim17ROCPRIM_400000_NS6detail17trampoline_kernelINS0_14default_configENS1_36segmented_radix_sort_config_selectorIslEEZNS1_25segmented_radix_sort_implIS3_Lb0EPKsPsPKlPlN2at6native12_GLOBAL__N_18offset_tEEE10hipError_tPvRmT1_PNSt15iterator_traitsISK_E10value_typeET2_T3_PNSL_ISQ_E10value_typeET4_jRbjT5_SW_jjP12ihipStream_tbEUlT_E0_NS1_11comp_targetILNS1_3genE5ELNS1_11target_archE942ELNS1_3gpuE9ELNS1_3repE0EEENS1_60segmented_radix_sort_warp_sort_medium_config_static_selectorELNS0_4arch9wavefront6targetE0EEEvSK_.num_vgpr, 0
	.set _ZN7rocprim17ROCPRIM_400000_NS6detail17trampoline_kernelINS0_14default_configENS1_36segmented_radix_sort_config_selectorIslEEZNS1_25segmented_radix_sort_implIS3_Lb0EPKsPsPKlPlN2at6native12_GLOBAL__N_18offset_tEEE10hipError_tPvRmT1_PNSt15iterator_traitsISK_E10value_typeET2_T3_PNSL_ISQ_E10value_typeET4_jRbjT5_SW_jjP12ihipStream_tbEUlT_E0_NS1_11comp_targetILNS1_3genE5ELNS1_11target_archE942ELNS1_3gpuE9ELNS1_3repE0EEENS1_60segmented_radix_sort_warp_sort_medium_config_static_selectorELNS0_4arch9wavefront6targetE0EEEvSK_.num_agpr, 0
	.set _ZN7rocprim17ROCPRIM_400000_NS6detail17trampoline_kernelINS0_14default_configENS1_36segmented_radix_sort_config_selectorIslEEZNS1_25segmented_radix_sort_implIS3_Lb0EPKsPsPKlPlN2at6native12_GLOBAL__N_18offset_tEEE10hipError_tPvRmT1_PNSt15iterator_traitsISK_E10value_typeET2_T3_PNSL_ISQ_E10value_typeET4_jRbjT5_SW_jjP12ihipStream_tbEUlT_E0_NS1_11comp_targetILNS1_3genE5ELNS1_11target_archE942ELNS1_3gpuE9ELNS1_3repE0EEENS1_60segmented_radix_sort_warp_sort_medium_config_static_selectorELNS0_4arch9wavefront6targetE0EEEvSK_.numbered_sgpr, 0
	.set _ZN7rocprim17ROCPRIM_400000_NS6detail17trampoline_kernelINS0_14default_configENS1_36segmented_radix_sort_config_selectorIslEEZNS1_25segmented_radix_sort_implIS3_Lb0EPKsPsPKlPlN2at6native12_GLOBAL__N_18offset_tEEE10hipError_tPvRmT1_PNSt15iterator_traitsISK_E10value_typeET2_T3_PNSL_ISQ_E10value_typeET4_jRbjT5_SW_jjP12ihipStream_tbEUlT_E0_NS1_11comp_targetILNS1_3genE5ELNS1_11target_archE942ELNS1_3gpuE9ELNS1_3repE0EEENS1_60segmented_radix_sort_warp_sort_medium_config_static_selectorELNS0_4arch9wavefront6targetE0EEEvSK_.num_named_barrier, 0
	.set _ZN7rocprim17ROCPRIM_400000_NS6detail17trampoline_kernelINS0_14default_configENS1_36segmented_radix_sort_config_selectorIslEEZNS1_25segmented_radix_sort_implIS3_Lb0EPKsPsPKlPlN2at6native12_GLOBAL__N_18offset_tEEE10hipError_tPvRmT1_PNSt15iterator_traitsISK_E10value_typeET2_T3_PNSL_ISQ_E10value_typeET4_jRbjT5_SW_jjP12ihipStream_tbEUlT_E0_NS1_11comp_targetILNS1_3genE5ELNS1_11target_archE942ELNS1_3gpuE9ELNS1_3repE0EEENS1_60segmented_radix_sort_warp_sort_medium_config_static_selectorELNS0_4arch9wavefront6targetE0EEEvSK_.private_seg_size, 0
	.set _ZN7rocprim17ROCPRIM_400000_NS6detail17trampoline_kernelINS0_14default_configENS1_36segmented_radix_sort_config_selectorIslEEZNS1_25segmented_radix_sort_implIS3_Lb0EPKsPsPKlPlN2at6native12_GLOBAL__N_18offset_tEEE10hipError_tPvRmT1_PNSt15iterator_traitsISK_E10value_typeET2_T3_PNSL_ISQ_E10value_typeET4_jRbjT5_SW_jjP12ihipStream_tbEUlT_E0_NS1_11comp_targetILNS1_3genE5ELNS1_11target_archE942ELNS1_3gpuE9ELNS1_3repE0EEENS1_60segmented_radix_sort_warp_sort_medium_config_static_selectorELNS0_4arch9wavefront6targetE0EEEvSK_.uses_vcc, 0
	.set _ZN7rocprim17ROCPRIM_400000_NS6detail17trampoline_kernelINS0_14default_configENS1_36segmented_radix_sort_config_selectorIslEEZNS1_25segmented_radix_sort_implIS3_Lb0EPKsPsPKlPlN2at6native12_GLOBAL__N_18offset_tEEE10hipError_tPvRmT1_PNSt15iterator_traitsISK_E10value_typeET2_T3_PNSL_ISQ_E10value_typeET4_jRbjT5_SW_jjP12ihipStream_tbEUlT_E0_NS1_11comp_targetILNS1_3genE5ELNS1_11target_archE942ELNS1_3gpuE9ELNS1_3repE0EEENS1_60segmented_radix_sort_warp_sort_medium_config_static_selectorELNS0_4arch9wavefront6targetE0EEEvSK_.uses_flat_scratch, 0
	.set _ZN7rocprim17ROCPRIM_400000_NS6detail17trampoline_kernelINS0_14default_configENS1_36segmented_radix_sort_config_selectorIslEEZNS1_25segmented_radix_sort_implIS3_Lb0EPKsPsPKlPlN2at6native12_GLOBAL__N_18offset_tEEE10hipError_tPvRmT1_PNSt15iterator_traitsISK_E10value_typeET2_T3_PNSL_ISQ_E10value_typeET4_jRbjT5_SW_jjP12ihipStream_tbEUlT_E0_NS1_11comp_targetILNS1_3genE5ELNS1_11target_archE942ELNS1_3gpuE9ELNS1_3repE0EEENS1_60segmented_radix_sort_warp_sort_medium_config_static_selectorELNS0_4arch9wavefront6targetE0EEEvSK_.has_dyn_sized_stack, 0
	.set _ZN7rocprim17ROCPRIM_400000_NS6detail17trampoline_kernelINS0_14default_configENS1_36segmented_radix_sort_config_selectorIslEEZNS1_25segmented_radix_sort_implIS3_Lb0EPKsPsPKlPlN2at6native12_GLOBAL__N_18offset_tEEE10hipError_tPvRmT1_PNSt15iterator_traitsISK_E10value_typeET2_T3_PNSL_ISQ_E10value_typeET4_jRbjT5_SW_jjP12ihipStream_tbEUlT_E0_NS1_11comp_targetILNS1_3genE5ELNS1_11target_archE942ELNS1_3gpuE9ELNS1_3repE0EEENS1_60segmented_radix_sort_warp_sort_medium_config_static_selectorELNS0_4arch9wavefront6targetE0EEEvSK_.has_recursion, 0
	.set _ZN7rocprim17ROCPRIM_400000_NS6detail17trampoline_kernelINS0_14default_configENS1_36segmented_radix_sort_config_selectorIslEEZNS1_25segmented_radix_sort_implIS3_Lb0EPKsPsPKlPlN2at6native12_GLOBAL__N_18offset_tEEE10hipError_tPvRmT1_PNSt15iterator_traitsISK_E10value_typeET2_T3_PNSL_ISQ_E10value_typeET4_jRbjT5_SW_jjP12ihipStream_tbEUlT_E0_NS1_11comp_targetILNS1_3genE5ELNS1_11target_archE942ELNS1_3gpuE9ELNS1_3repE0EEENS1_60segmented_radix_sort_warp_sort_medium_config_static_selectorELNS0_4arch9wavefront6targetE0EEEvSK_.has_indirect_call, 0
	.section	.AMDGPU.csdata,"",@progbits
; Kernel info:
; codeLenInByte = 0
; TotalNumSgprs: 0
; NumVgprs: 0
; ScratchSize: 0
; MemoryBound: 0
; FloatMode: 240
; IeeeMode: 1
; LDSByteSize: 0 bytes/workgroup (compile time only)
; SGPRBlocks: 0
; VGPRBlocks: 0
; NumSGPRsForWavesPerEU: 1
; NumVGPRsForWavesPerEU: 1
; Occupancy: 16
; WaveLimiterHint : 0
; COMPUTE_PGM_RSRC2:SCRATCH_EN: 0
; COMPUTE_PGM_RSRC2:USER_SGPR: 2
; COMPUTE_PGM_RSRC2:TRAP_HANDLER: 0
; COMPUTE_PGM_RSRC2:TGID_X_EN: 1
; COMPUTE_PGM_RSRC2:TGID_Y_EN: 0
; COMPUTE_PGM_RSRC2:TGID_Z_EN: 0
; COMPUTE_PGM_RSRC2:TIDIG_COMP_CNT: 0
	.section	.text._ZN7rocprim17ROCPRIM_400000_NS6detail17trampoline_kernelINS0_14default_configENS1_36segmented_radix_sort_config_selectorIslEEZNS1_25segmented_radix_sort_implIS3_Lb0EPKsPsPKlPlN2at6native12_GLOBAL__N_18offset_tEEE10hipError_tPvRmT1_PNSt15iterator_traitsISK_E10value_typeET2_T3_PNSL_ISQ_E10value_typeET4_jRbjT5_SW_jjP12ihipStream_tbEUlT_E0_NS1_11comp_targetILNS1_3genE4ELNS1_11target_archE910ELNS1_3gpuE8ELNS1_3repE0EEENS1_60segmented_radix_sort_warp_sort_medium_config_static_selectorELNS0_4arch9wavefront6targetE0EEEvSK_,"axG",@progbits,_ZN7rocprim17ROCPRIM_400000_NS6detail17trampoline_kernelINS0_14default_configENS1_36segmented_radix_sort_config_selectorIslEEZNS1_25segmented_radix_sort_implIS3_Lb0EPKsPsPKlPlN2at6native12_GLOBAL__N_18offset_tEEE10hipError_tPvRmT1_PNSt15iterator_traitsISK_E10value_typeET2_T3_PNSL_ISQ_E10value_typeET4_jRbjT5_SW_jjP12ihipStream_tbEUlT_E0_NS1_11comp_targetILNS1_3genE4ELNS1_11target_archE910ELNS1_3gpuE8ELNS1_3repE0EEENS1_60segmented_radix_sort_warp_sort_medium_config_static_selectorELNS0_4arch9wavefront6targetE0EEEvSK_,comdat
	.globl	_ZN7rocprim17ROCPRIM_400000_NS6detail17trampoline_kernelINS0_14default_configENS1_36segmented_radix_sort_config_selectorIslEEZNS1_25segmented_radix_sort_implIS3_Lb0EPKsPsPKlPlN2at6native12_GLOBAL__N_18offset_tEEE10hipError_tPvRmT1_PNSt15iterator_traitsISK_E10value_typeET2_T3_PNSL_ISQ_E10value_typeET4_jRbjT5_SW_jjP12ihipStream_tbEUlT_E0_NS1_11comp_targetILNS1_3genE4ELNS1_11target_archE910ELNS1_3gpuE8ELNS1_3repE0EEENS1_60segmented_radix_sort_warp_sort_medium_config_static_selectorELNS0_4arch9wavefront6targetE0EEEvSK_ ; -- Begin function _ZN7rocprim17ROCPRIM_400000_NS6detail17trampoline_kernelINS0_14default_configENS1_36segmented_radix_sort_config_selectorIslEEZNS1_25segmented_radix_sort_implIS3_Lb0EPKsPsPKlPlN2at6native12_GLOBAL__N_18offset_tEEE10hipError_tPvRmT1_PNSt15iterator_traitsISK_E10value_typeET2_T3_PNSL_ISQ_E10value_typeET4_jRbjT5_SW_jjP12ihipStream_tbEUlT_E0_NS1_11comp_targetILNS1_3genE4ELNS1_11target_archE910ELNS1_3gpuE8ELNS1_3repE0EEENS1_60segmented_radix_sort_warp_sort_medium_config_static_selectorELNS0_4arch9wavefront6targetE0EEEvSK_
	.p2align	8
	.type	_ZN7rocprim17ROCPRIM_400000_NS6detail17trampoline_kernelINS0_14default_configENS1_36segmented_radix_sort_config_selectorIslEEZNS1_25segmented_radix_sort_implIS3_Lb0EPKsPsPKlPlN2at6native12_GLOBAL__N_18offset_tEEE10hipError_tPvRmT1_PNSt15iterator_traitsISK_E10value_typeET2_T3_PNSL_ISQ_E10value_typeET4_jRbjT5_SW_jjP12ihipStream_tbEUlT_E0_NS1_11comp_targetILNS1_3genE4ELNS1_11target_archE910ELNS1_3gpuE8ELNS1_3repE0EEENS1_60segmented_radix_sort_warp_sort_medium_config_static_selectorELNS0_4arch9wavefront6targetE0EEEvSK_,@function
_ZN7rocprim17ROCPRIM_400000_NS6detail17trampoline_kernelINS0_14default_configENS1_36segmented_radix_sort_config_selectorIslEEZNS1_25segmented_radix_sort_implIS3_Lb0EPKsPsPKlPlN2at6native12_GLOBAL__N_18offset_tEEE10hipError_tPvRmT1_PNSt15iterator_traitsISK_E10value_typeET2_T3_PNSL_ISQ_E10value_typeET4_jRbjT5_SW_jjP12ihipStream_tbEUlT_E0_NS1_11comp_targetILNS1_3genE4ELNS1_11target_archE910ELNS1_3gpuE8ELNS1_3repE0EEENS1_60segmented_radix_sort_warp_sort_medium_config_static_selectorELNS0_4arch9wavefront6targetE0EEEvSK_: ; @_ZN7rocprim17ROCPRIM_400000_NS6detail17trampoline_kernelINS0_14default_configENS1_36segmented_radix_sort_config_selectorIslEEZNS1_25segmented_radix_sort_implIS3_Lb0EPKsPsPKlPlN2at6native12_GLOBAL__N_18offset_tEEE10hipError_tPvRmT1_PNSt15iterator_traitsISK_E10value_typeET2_T3_PNSL_ISQ_E10value_typeET4_jRbjT5_SW_jjP12ihipStream_tbEUlT_E0_NS1_11comp_targetILNS1_3genE4ELNS1_11target_archE910ELNS1_3gpuE8ELNS1_3repE0EEENS1_60segmented_radix_sort_warp_sort_medium_config_static_selectorELNS0_4arch9wavefront6targetE0EEEvSK_
; %bb.0:
	.section	.rodata,"a",@progbits
	.p2align	6, 0x0
	.amdhsa_kernel _ZN7rocprim17ROCPRIM_400000_NS6detail17trampoline_kernelINS0_14default_configENS1_36segmented_radix_sort_config_selectorIslEEZNS1_25segmented_radix_sort_implIS3_Lb0EPKsPsPKlPlN2at6native12_GLOBAL__N_18offset_tEEE10hipError_tPvRmT1_PNSt15iterator_traitsISK_E10value_typeET2_T3_PNSL_ISQ_E10value_typeET4_jRbjT5_SW_jjP12ihipStream_tbEUlT_E0_NS1_11comp_targetILNS1_3genE4ELNS1_11target_archE910ELNS1_3gpuE8ELNS1_3repE0EEENS1_60segmented_radix_sort_warp_sort_medium_config_static_selectorELNS0_4arch9wavefront6targetE0EEEvSK_
		.amdhsa_group_segment_fixed_size 0
		.amdhsa_private_segment_fixed_size 0
		.amdhsa_kernarg_size 88
		.amdhsa_user_sgpr_count 2
		.amdhsa_user_sgpr_dispatch_ptr 0
		.amdhsa_user_sgpr_queue_ptr 0
		.amdhsa_user_sgpr_kernarg_segment_ptr 1
		.amdhsa_user_sgpr_dispatch_id 0
		.amdhsa_user_sgpr_private_segment_size 0
		.amdhsa_wavefront_size32 1
		.amdhsa_uses_dynamic_stack 0
		.amdhsa_enable_private_segment 0
		.amdhsa_system_sgpr_workgroup_id_x 1
		.amdhsa_system_sgpr_workgroup_id_y 0
		.amdhsa_system_sgpr_workgroup_id_z 0
		.amdhsa_system_sgpr_workgroup_info 0
		.amdhsa_system_vgpr_workitem_id 0
		.amdhsa_next_free_vgpr 1
		.amdhsa_next_free_sgpr 1
		.amdhsa_reserve_vcc 0
		.amdhsa_float_round_mode_32 0
		.amdhsa_float_round_mode_16_64 0
		.amdhsa_float_denorm_mode_32 3
		.amdhsa_float_denorm_mode_16_64 3
		.amdhsa_fp16_overflow 0
		.amdhsa_workgroup_processor_mode 1
		.amdhsa_memory_ordered 1
		.amdhsa_forward_progress 1
		.amdhsa_inst_pref_size 0
		.amdhsa_round_robin_scheduling 0
		.amdhsa_exception_fp_ieee_invalid_op 0
		.amdhsa_exception_fp_denorm_src 0
		.amdhsa_exception_fp_ieee_div_zero 0
		.amdhsa_exception_fp_ieee_overflow 0
		.amdhsa_exception_fp_ieee_underflow 0
		.amdhsa_exception_fp_ieee_inexact 0
		.amdhsa_exception_int_div_zero 0
	.end_amdhsa_kernel
	.section	.text._ZN7rocprim17ROCPRIM_400000_NS6detail17trampoline_kernelINS0_14default_configENS1_36segmented_radix_sort_config_selectorIslEEZNS1_25segmented_radix_sort_implIS3_Lb0EPKsPsPKlPlN2at6native12_GLOBAL__N_18offset_tEEE10hipError_tPvRmT1_PNSt15iterator_traitsISK_E10value_typeET2_T3_PNSL_ISQ_E10value_typeET4_jRbjT5_SW_jjP12ihipStream_tbEUlT_E0_NS1_11comp_targetILNS1_3genE4ELNS1_11target_archE910ELNS1_3gpuE8ELNS1_3repE0EEENS1_60segmented_radix_sort_warp_sort_medium_config_static_selectorELNS0_4arch9wavefront6targetE0EEEvSK_,"axG",@progbits,_ZN7rocprim17ROCPRIM_400000_NS6detail17trampoline_kernelINS0_14default_configENS1_36segmented_radix_sort_config_selectorIslEEZNS1_25segmented_radix_sort_implIS3_Lb0EPKsPsPKlPlN2at6native12_GLOBAL__N_18offset_tEEE10hipError_tPvRmT1_PNSt15iterator_traitsISK_E10value_typeET2_T3_PNSL_ISQ_E10value_typeET4_jRbjT5_SW_jjP12ihipStream_tbEUlT_E0_NS1_11comp_targetILNS1_3genE4ELNS1_11target_archE910ELNS1_3gpuE8ELNS1_3repE0EEENS1_60segmented_radix_sort_warp_sort_medium_config_static_selectorELNS0_4arch9wavefront6targetE0EEEvSK_,comdat
.Lfunc_end1026:
	.size	_ZN7rocprim17ROCPRIM_400000_NS6detail17trampoline_kernelINS0_14default_configENS1_36segmented_radix_sort_config_selectorIslEEZNS1_25segmented_radix_sort_implIS3_Lb0EPKsPsPKlPlN2at6native12_GLOBAL__N_18offset_tEEE10hipError_tPvRmT1_PNSt15iterator_traitsISK_E10value_typeET2_T3_PNSL_ISQ_E10value_typeET4_jRbjT5_SW_jjP12ihipStream_tbEUlT_E0_NS1_11comp_targetILNS1_3genE4ELNS1_11target_archE910ELNS1_3gpuE8ELNS1_3repE0EEENS1_60segmented_radix_sort_warp_sort_medium_config_static_selectorELNS0_4arch9wavefront6targetE0EEEvSK_, .Lfunc_end1026-_ZN7rocprim17ROCPRIM_400000_NS6detail17trampoline_kernelINS0_14default_configENS1_36segmented_radix_sort_config_selectorIslEEZNS1_25segmented_radix_sort_implIS3_Lb0EPKsPsPKlPlN2at6native12_GLOBAL__N_18offset_tEEE10hipError_tPvRmT1_PNSt15iterator_traitsISK_E10value_typeET2_T3_PNSL_ISQ_E10value_typeET4_jRbjT5_SW_jjP12ihipStream_tbEUlT_E0_NS1_11comp_targetILNS1_3genE4ELNS1_11target_archE910ELNS1_3gpuE8ELNS1_3repE0EEENS1_60segmented_radix_sort_warp_sort_medium_config_static_selectorELNS0_4arch9wavefront6targetE0EEEvSK_
                                        ; -- End function
	.set _ZN7rocprim17ROCPRIM_400000_NS6detail17trampoline_kernelINS0_14default_configENS1_36segmented_radix_sort_config_selectorIslEEZNS1_25segmented_radix_sort_implIS3_Lb0EPKsPsPKlPlN2at6native12_GLOBAL__N_18offset_tEEE10hipError_tPvRmT1_PNSt15iterator_traitsISK_E10value_typeET2_T3_PNSL_ISQ_E10value_typeET4_jRbjT5_SW_jjP12ihipStream_tbEUlT_E0_NS1_11comp_targetILNS1_3genE4ELNS1_11target_archE910ELNS1_3gpuE8ELNS1_3repE0EEENS1_60segmented_radix_sort_warp_sort_medium_config_static_selectorELNS0_4arch9wavefront6targetE0EEEvSK_.num_vgpr, 0
	.set _ZN7rocprim17ROCPRIM_400000_NS6detail17trampoline_kernelINS0_14default_configENS1_36segmented_radix_sort_config_selectorIslEEZNS1_25segmented_radix_sort_implIS3_Lb0EPKsPsPKlPlN2at6native12_GLOBAL__N_18offset_tEEE10hipError_tPvRmT1_PNSt15iterator_traitsISK_E10value_typeET2_T3_PNSL_ISQ_E10value_typeET4_jRbjT5_SW_jjP12ihipStream_tbEUlT_E0_NS1_11comp_targetILNS1_3genE4ELNS1_11target_archE910ELNS1_3gpuE8ELNS1_3repE0EEENS1_60segmented_radix_sort_warp_sort_medium_config_static_selectorELNS0_4arch9wavefront6targetE0EEEvSK_.num_agpr, 0
	.set _ZN7rocprim17ROCPRIM_400000_NS6detail17trampoline_kernelINS0_14default_configENS1_36segmented_radix_sort_config_selectorIslEEZNS1_25segmented_radix_sort_implIS3_Lb0EPKsPsPKlPlN2at6native12_GLOBAL__N_18offset_tEEE10hipError_tPvRmT1_PNSt15iterator_traitsISK_E10value_typeET2_T3_PNSL_ISQ_E10value_typeET4_jRbjT5_SW_jjP12ihipStream_tbEUlT_E0_NS1_11comp_targetILNS1_3genE4ELNS1_11target_archE910ELNS1_3gpuE8ELNS1_3repE0EEENS1_60segmented_radix_sort_warp_sort_medium_config_static_selectorELNS0_4arch9wavefront6targetE0EEEvSK_.numbered_sgpr, 0
	.set _ZN7rocprim17ROCPRIM_400000_NS6detail17trampoline_kernelINS0_14default_configENS1_36segmented_radix_sort_config_selectorIslEEZNS1_25segmented_radix_sort_implIS3_Lb0EPKsPsPKlPlN2at6native12_GLOBAL__N_18offset_tEEE10hipError_tPvRmT1_PNSt15iterator_traitsISK_E10value_typeET2_T3_PNSL_ISQ_E10value_typeET4_jRbjT5_SW_jjP12ihipStream_tbEUlT_E0_NS1_11comp_targetILNS1_3genE4ELNS1_11target_archE910ELNS1_3gpuE8ELNS1_3repE0EEENS1_60segmented_radix_sort_warp_sort_medium_config_static_selectorELNS0_4arch9wavefront6targetE0EEEvSK_.num_named_barrier, 0
	.set _ZN7rocprim17ROCPRIM_400000_NS6detail17trampoline_kernelINS0_14default_configENS1_36segmented_radix_sort_config_selectorIslEEZNS1_25segmented_radix_sort_implIS3_Lb0EPKsPsPKlPlN2at6native12_GLOBAL__N_18offset_tEEE10hipError_tPvRmT1_PNSt15iterator_traitsISK_E10value_typeET2_T3_PNSL_ISQ_E10value_typeET4_jRbjT5_SW_jjP12ihipStream_tbEUlT_E0_NS1_11comp_targetILNS1_3genE4ELNS1_11target_archE910ELNS1_3gpuE8ELNS1_3repE0EEENS1_60segmented_radix_sort_warp_sort_medium_config_static_selectorELNS0_4arch9wavefront6targetE0EEEvSK_.private_seg_size, 0
	.set _ZN7rocprim17ROCPRIM_400000_NS6detail17trampoline_kernelINS0_14default_configENS1_36segmented_radix_sort_config_selectorIslEEZNS1_25segmented_radix_sort_implIS3_Lb0EPKsPsPKlPlN2at6native12_GLOBAL__N_18offset_tEEE10hipError_tPvRmT1_PNSt15iterator_traitsISK_E10value_typeET2_T3_PNSL_ISQ_E10value_typeET4_jRbjT5_SW_jjP12ihipStream_tbEUlT_E0_NS1_11comp_targetILNS1_3genE4ELNS1_11target_archE910ELNS1_3gpuE8ELNS1_3repE0EEENS1_60segmented_radix_sort_warp_sort_medium_config_static_selectorELNS0_4arch9wavefront6targetE0EEEvSK_.uses_vcc, 0
	.set _ZN7rocprim17ROCPRIM_400000_NS6detail17trampoline_kernelINS0_14default_configENS1_36segmented_radix_sort_config_selectorIslEEZNS1_25segmented_radix_sort_implIS3_Lb0EPKsPsPKlPlN2at6native12_GLOBAL__N_18offset_tEEE10hipError_tPvRmT1_PNSt15iterator_traitsISK_E10value_typeET2_T3_PNSL_ISQ_E10value_typeET4_jRbjT5_SW_jjP12ihipStream_tbEUlT_E0_NS1_11comp_targetILNS1_3genE4ELNS1_11target_archE910ELNS1_3gpuE8ELNS1_3repE0EEENS1_60segmented_radix_sort_warp_sort_medium_config_static_selectorELNS0_4arch9wavefront6targetE0EEEvSK_.uses_flat_scratch, 0
	.set _ZN7rocprim17ROCPRIM_400000_NS6detail17trampoline_kernelINS0_14default_configENS1_36segmented_radix_sort_config_selectorIslEEZNS1_25segmented_radix_sort_implIS3_Lb0EPKsPsPKlPlN2at6native12_GLOBAL__N_18offset_tEEE10hipError_tPvRmT1_PNSt15iterator_traitsISK_E10value_typeET2_T3_PNSL_ISQ_E10value_typeET4_jRbjT5_SW_jjP12ihipStream_tbEUlT_E0_NS1_11comp_targetILNS1_3genE4ELNS1_11target_archE910ELNS1_3gpuE8ELNS1_3repE0EEENS1_60segmented_radix_sort_warp_sort_medium_config_static_selectorELNS0_4arch9wavefront6targetE0EEEvSK_.has_dyn_sized_stack, 0
	.set _ZN7rocprim17ROCPRIM_400000_NS6detail17trampoline_kernelINS0_14default_configENS1_36segmented_radix_sort_config_selectorIslEEZNS1_25segmented_radix_sort_implIS3_Lb0EPKsPsPKlPlN2at6native12_GLOBAL__N_18offset_tEEE10hipError_tPvRmT1_PNSt15iterator_traitsISK_E10value_typeET2_T3_PNSL_ISQ_E10value_typeET4_jRbjT5_SW_jjP12ihipStream_tbEUlT_E0_NS1_11comp_targetILNS1_3genE4ELNS1_11target_archE910ELNS1_3gpuE8ELNS1_3repE0EEENS1_60segmented_radix_sort_warp_sort_medium_config_static_selectorELNS0_4arch9wavefront6targetE0EEEvSK_.has_recursion, 0
	.set _ZN7rocprim17ROCPRIM_400000_NS6detail17trampoline_kernelINS0_14default_configENS1_36segmented_radix_sort_config_selectorIslEEZNS1_25segmented_radix_sort_implIS3_Lb0EPKsPsPKlPlN2at6native12_GLOBAL__N_18offset_tEEE10hipError_tPvRmT1_PNSt15iterator_traitsISK_E10value_typeET2_T3_PNSL_ISQ_E10value_typeET4_jRbjT5_SW_jjP12ihipStream_tbEUlT_E0_NS1_11comp_targetILNS1_3genE4ELNS1_11target_archE910ELNS1_3gpuE8ELNS1_3repE0EEENS1_60segmented_radix_sort_warp_sort_medium_config_static_selectorELNS0_4arch9wavefront6targetE0EEEvSK_.has_indirect_call, 0
	.section	.AMDGPU.csdata,"",@progbits
; Kernel info:
; codeLenInByte = 0
; TotalNumSgprs: 0
; NumVgprs: 0
; ScratchSize: 0
; MemoryBound: 0
; FloatMode: 240
; IeeeMode: 1
; LDSByteSize: 0 bytes/workgroup (compile time only)
; SGPRBlocks: 0
; VGPRBlocks: 0
; NumSGPRsForWavesPerEU: 1
; NumVGPRsForWavesPerEU: 1
; Occupancy: 16
; WaveLimiterHint : 0
; COMPUTE_PGM_RSRC2:SCRATCH_EN: 0
; COMPUTE_PGM_RSRC2:USER_SGPR: 2
; COMPUTE_PGM_RSRC2:TRAP_HANDLER: 0
; COMPUTE_PGM_RSRC2:TGID_X_EN: 1
; COMPUTE_PGM_RSRC2:TGID_Y_EN: 0
; COMPUTE_PGM_RSRC2:TGID_Z_EN: 0
; COMPUTE_PGM_RSRC2:TIDIG_COMP_CNT: 0
	.section	.text._ZN7rocprim17ROCPRIM_400000_NS6detail17trampoline_kernelINS0_14default_configENS1_36segmented_radix_sort_config_selectorIslEEZNS1_25segmented_radix_sort_implIS3_Lb0EPKsPsPKlPlN2at6native12_GLOBAL__N_18offset_tEEE10hipError_tPvRmT1_PNSt15iterator_traitsISK_E10value_typeET2_T3_PNSL_ISQ_E10value_typeET4_jRbjT5_SW_jjP12ihipStream_tbEUlT_E0_NS1_11comp_targetILNS1_3genE3ELNS1_11target_archE908ELNS1_3gpuE7ELNS1_3repE0EEENS1_60segmented_radix_sort_warp_sort_medium_config_static_selectorELNS0_4arch9wavefront6targetE0EEEvSK_,"axG",@progbits,_ZN7rocprim17ROCPRIM_400000_NS6detail17trampoline_kernelINS0_14default_configENS1_36segmented_radix_sort_config_selectorIslEEZNS1_25segmented_radix_sort_implIS3_Lb0EPKsPsPKlPlN2at6native12_GLOBAL__N_18offset_tEEE10hipError_tPvRmT1_PNSt15iterator_traitsISK_E10value_typeET2_T3_PNSL_ISQ_E10value_typeET4_jRbjT5_SW_jjP12ihipStream_tbEUlT_E0_NS1_11comp_targetILNS1_3genE3ELNS1_11target_archE908ELNS1_3gpuE7ELNS1_3repE0EEENS1_60segmented_radix_sort_warp_sort_medium_config_static_selectorELNS0_4arch9wavefront6targetE0EEEvSK_,comdat
	.globl	_ZN7rocprim17ROCPRIM_400000_NS6detail17trampoline_kernelINS0_14default_configENS1_36segmented_radix_sort_config_selectorIslEEZNS1_25segmented_radix_sort_implIS3_Lb0EPKsPsPKlPlN2at6native12_GLOBAL__N_18offset_tEEE10hipError_tPvRmT1_PNSt15iterator_traitsISK_E10value_typeET2_T3_PNSL_ISQ_E10value_typeET4_jRbjT5_SW_jjP12ihipStream_tbEUlT_E0_NS1_11comp_targetILNS1_3genE3ELNS1_11target_archE908ELNS1_3gpuE7ELNS1_3repE0EEENS1_60segmented_radix_sort_warp_sort_medium_config_static_selectorELNS0_4arch9wavefront6targetE0EEEvSK_ ; -- Begin function _ZN7rocprim17ROCPRIM_400000_NS6detail17trampoline_kernelINS0_14default_configENS1_36segmented_radix_sort_config_selectorIslEEZNS1_25segmented_radix_sort_implIS3_Lb0EPKsPsPKlPlN2at6native12_GLOBAL__N_18offset_tEEE10hipError_tPvRmT1_PNSt15iterator_traitsISK_E10value_typeET2_T3_PNSL_ISQ_E10value_typeET4_jRbjT5_SW_jjP12ihipStream_tbEUlT_E0_NS1_11comp_targetILNS1_3genE3ELNS1_11target_archE908ELNS1_3gpuE7ELNS1_3repE0EEENS1_60segmented_radix_sort_warp_sort_medium_config_static_selectorELNS0_4arch9wavefront6targetE0EEEvSK_
	.p2align	8
	.type	_ZN7rocprim17ROCPRIM_400000_NS6detail17trampoline_kernelINS0_14default_configENS1_36segmented_radix_sort_config_selectorIslEEZNS1_25segmented_radix_sort_implIS3_Lb0EPKsPsPKlPlN2at6native12_GLOBAL__N_18offset_tEEE10hipError_tPvRmT1_PNSt15iterator_traitsISK_E10value_typeET2_T3_PNSL_ISQ_E10value_typeET4_jRbjT5_SW_jjP12ihipStream_tbEUlT_E0_NS1_11comp_targetILNS1_3genE3ELNS1_11target_archE908ELNS1_3gpuE7ELNS1_3repE0EEENS1_60segmented_radix_sort_warp_sort_medium_config_static_selectorELNS0_4arch9wavefront6targetE0EEEvSK_,@function
_ZN7rocprim17ROCPRIM_400000_NS6detail17trampoline_kernelINS0_14default_configENS1_36segmented_radix_sort_config_selectorIslEEZNS1_25segmented_radix_sort_implIS3_Lb0EPKsPsPKlPlN2at6native12_GLOBAL__N_18offset_tEEE10hipError_tPvRmT1_PNSt15iterator_traitsISK_E10value_typeET2_T3_PNSL_ISQ_E10value_typeET4_jRbjT5_SW_jjP12ihipStream_tbEUlT_E0_NS1_11comp_targetILNS1_3genE3ELNS1_11target_archE908ELNS1_3gpuE7ELNS1_3repE0EEENS1_60segmented_radix_sort_warp_sort_medium_config_static_selectorELNS0_4arch9wavefront6targetE0EEEvSK_: ; @_ZN7rocprim17ROCPRIM_400000_NS6detail17trampoline_kernelINS0_14default_configENS1_36segmented_radix_sort_config_selectorIslEEZNS1_25segmented_radix_sort_implIS3_Lb0EPKsPsPKlPlN2at6native12_GLOBAL__N_18offset_tEEE10hipError_tPvRmT1_PNSt15iterator_traitsISK_E10value_typeET2_T3_PNSL_ISQ_E10value_typeET4_jRbjT5_SW_jjP12ihipStream_tbEUlT_E0_NS1_11comp_targetILNS1_3genE3ELNS1_11target_archE908ELNS1_3gpuE7ELNS1_3repE0EEENS1_60segmented_radix_sort_warp_sort_medium_config_static_selectorELNS0_4arch9wavefront6targetE0EEEvSK_
; %bb.0:
	.section	.rodata,"a",@progbits
	.p2align	6, 0x0
	.amdhsa_kernel _ZN7rocprim17ROCPRIM_400000_NS6detail17trampoline_kernelINS0_14default_configENS1_36segmented_radix_sort_config_selectorIslEEZNS1_25segmented_radix_sort_implIS3_Lb0EPKsPsPKlPlN2at6native12_GLOBAL__N_18offset_tEEE10hipError_tPvRmT1_PNSt15iterator_traitsISK_E10value_typeET2_T3_PNSL_ISQ_E10value_typeET4_jRbjT5_SW_jjP12ihipStream_tbEUlT_E0_NS1_11comp_targetILNS1_3genE3ELNS1_11target_archE908ELNS1_3gpuE7ELNS1_3repE0EEENS1_60segmented_radix_sort_warp_sort_medium_config_static_selectorELNS0_4arch9wavefront6targetE0EEEvSK_
		.amdhsa_group_segment_fixed_size 0
		.amdhsa_private_segment_fixed_size 0
		.amdhsa_kernarg_size 88
		.amdhsa_user_sgpr_count 2
		.amdhsa_user_sgpr_dispatch_ptr 0
		.amdhsa_user_sgpr_queue_ptr 0
		.amdhsa_user_sgpr_kernarg_segment_ptr 1
		.amdhsa_user_sgpr_dispatch_id 0
		.amdhsa_user_sgpr_private_segment_size 0
		.amdhsa_wavefront_size32 1
		.amdhsa_uses_dynamic_stack 0
		.amdhsa_enable_private_segment 0
		.amdhsa_system_sgpr_workgroup_id_x 1
		.amdhsa_system_sgpr_workgroup_id_y 0
		.amdhsa_system_sgpr_workgroup_id_z 0
		.amdhsa_system_sgpr_workgroup_info 0
		.amdhsa_system_vgpr_workitem_id 0
		.amdhsa_next_free_vgpr 1
		.amdhsa_next_free_sgpr 1
		.amdhsa_reserve_vcc 0
		.amdhsa_float_round_mode_32 0
		.amdhsa_float_round_mode_16_64 0
		.amdhsa_float_denorm_mode_32 3
		.amdhsa_float_denorm_mode_16_64 3
		.amdhsa_fp16_overflow 0
		.amdhsa_workgroup_processor_mode 1
		.amdhsa_memory_ordered 1
		.amdhsa_forward_progress 1
		.amdhsa_inst_pref_size 0
		.amdhsa_round_robin_scheduling 0
		.amdhsa_exception_fp_ieee_invalid_op 0
		.amdhsa_exception_fp_denorm_src 0
		.amdhsa_exception_fp_ieee_div_zero 0
		.amdhsa_exception_fp_ieee_overflow 0
		.amdhsa_exception_fp_ieee_underflow 0
		.amdhsa_exception_fp_ieee_inexact 0
		.amdhsa_exception_int_div_zero 0
	.end_amdhsa_kernel
	.section	.text._ZN7rocprim17ROCPRIM_400000_NS6detail17trampoline_kernelINS0_14default_configENS1_36segmented_radix_sort_config_selectorIslEEZNS1_25segmented_radix_sort_implIS3_Lb0EPKsPsPKlPlN2at6native12_GLOBAL__N_18offset_tEEE10hipError_tPvRmT1_PNSt15iterator_traitsISK_E10value_typeET2_T3_PNSL_ISQ_E10value_typeET4_jRbjT5_SW_jjP12ihipStream_tbEUlT_E0_NS1_11comp_targetILNS1_3genE3ELNS1_11target_archE908ELNS1_3gpuE7ELNS1_3repE0EEENS1_60segmented_radix_sort_warp_sort_medium_config_static_selectorELNS0_4arch9wavefront6targetE0EEEvSK_,"axG",@progbits,_ZN7rocprim17ROCPRIM_400000_NS6detail17trampoline_kernelINS0_14default_configENS1_36segmented_radix_sort_config_selectorIslEEZNS1_25segmented_radix_sort_implIS3_Lb0EPKsPsPKlPlN2at6native12_GLOBAL__N_18offset_tEEE10hipError_tPvRmT1_PNSt15iterator_traitsISK_E10value_typeET2_T3_PNSL_ISQ_E10value_typeET4_jRbjT5_SW_jjP12ihipStream_tbEUlT_E0_NS1_11comp_targetILNS1_3genE3ELNS1_11target_archE908ELNS1_3gpuE7ELNS1_3repE0EEENS1_60segmented_radix_sort_warp_sort_medium_config_static_selectorELNS0_4arch9wavefront6targetE0EEEvSK_,comdat
.Lfunc_end1027:
	.size	_ZN7rocprim17ROCPRIM_400000_NS6detail17trampoline_kernelINS0_14default_configENS1_36segmented_radix_sort_config_selectorIslEEZNS1_25segmented_radix_sort_implIS3_Lb0EPKsPsPKlPlN2at6native12_GLOBAL__N_18offset_tEEE10hipError_tPvRmT1_PNSt15iterator_traitsISK_E10value_typeET2_T3_PNSL_ISQ_E10value_typeET4_jRbjT5_SW_jjP12ihipStream_tbEUlT_E0_NS1_11comp_targetILNS1_3genE3ELNS1_11target_archE908ELNS1_3gpuE7ELNS1_3repE0EEENS1_60segmented_radix_sort_warp_sort_medium_config_static_selectorELNS0_4arch9wavefront6targetE0EEEvSK_, .Lfunc_end1027-_ZN7rocprim17ROCPRIM_400000_NS6detail17trampoline_kernelINS0_14default_configENS1_36segmented_radix_sort_config_selectorIslEEZNS1_25segmented_radix_sort_implIS3_Lb0EPKsPsPKlPlN2at6native12_GLOBAL__N_18offset_tEEE10hipError_tPvRmT1_PNSt15iterator_traitsISK_E10value_typeET2_T3_PNSL_ISQ_E10value_typeET4_jRbjT5_SW_jjP12ihipStream_tbEUlT_E0_NS1_11comp_targetILNS1_3genE3ELNS1_11target_archE908ELNS1_3gpuE7ELNS1_3repE0EEENS1_60segmented_radix_sort_warp_sort_medium_config_static_selectorELNS0_4arch9wavefront6targetE0EEEvSK_
                                        ; -- End function
	.set _ZN7rocprim17ROCPRIM_400000_NS6detail17trampoline_kernelINS0_14default_configENS1_36segmented_radix_sort_config_selectorIslEEZNS1_25segmented_radix_sort_implIS3_Lb0EPKsPsPKlPlN2at6native12_GLOBAL__N_18offset_tEEE10hipError_tPvRmT1_PNSt15iterator_traitsISK_E10value_typeET2_T3_PNSL_ISQ_E10value_typeET4_jRbjT5_SW_jjP12ihipStream_tbEUlT_E0_NS1_11comp_targetILNS1_3genE3ELNS1_11target_archE908ELNS1_3gpuE7ELNS1_3repE0EEENS1_60segmented_radix_sort_warp_sort_medium_config_static_selectorELNS0_4arch9wavefront6targetE0EEEvSK_.num_vgpr, 0
	.set _ZN7rocprim17ROCPRIM_400000_NS6detail17trampoline_kernelINS0_14default_configENS1_36segmented_radix_sort_config_selectorIslEEZNS1_25segmented_radix_sort_implIS3_Lb0EPKsPsPKlPlN2at6native12_GLOBAL__N_18offset_tEEE10hipError_tPvRmT1_PNSt15iterator_traitsISK_E10value_typeET2_T3_PNSL_ISQ_E10value_typeET4_jRbjT5_SW_jjP12ihipStream_tbEUlT_E0_NS1_11comp_targetILNS1_3genE3ELNS1_11target_archE908ELNS1_3gpuE7ELNS1_3repE0EEENS1_60segmented_radix_sort_warp_sort_medium_config_static_selectorELNS0_4arch9wavefront6targetE0EEEvSK_.num_agpr, 0
	.set _ZN7rocprim17ROCPRIM_400000_NS6detail17trampoline_kernelINS0_14default_configENS1_36segmented_radix_sort_config_selectorIslEEZNS1_25segmented_radix_sort_implIS3_Lb0EPKsPsPKlPlN2at6native12_GLOBAL__N_18offset_tEEE10hipError_tPvRmT1_PNSt15iterator_traitsISK_E10value_typeET2_T3_PNSL_ISQ_E10value_typeET4_jRbjT5_SW_jjP12ihipStream_tbEUlT_E0_NS1_11comp_targetILNS1_3genE3ELNS1_11target_archE908ELNS1_3gpuE7ELNS1_3repE0EEENS1_60segmented_radix_sort_warp_sort_medium_config_static_selectorELNS0_4arch9wavefront6targetE0EEEvSK_.numbered_sgpr, 0
	.set _ZN7rocprim17ROCPRIM_400000_NS6detail17trampoline_kernelINS0_14default_configENS1_36segmented_radix_sort_config_selectorIslEEZNS1_25segmented_radix_sort_implIS3_Lb0EPKsPsPKlPlN2at6native12_GLOBAL__N_18offset_tEEE10hipError_tPvRmT1_PNSt15iterator_traitsISK_E10value_typeET2_T3_PNSL_ISQ_E10value_typeET4_jRbjT5_SW_jjP12ihipStream_tbEUlT_E0_NS1_11comp_targetILNS1_3genE3ELNS1_11target_archE908ELNS1_3gpuE7ELNS1_3repE0EEENS1_60segmented_radix_sort_warp_sort_medium_config_static_selectorELNS0_4arch9wavefront6targetE0EEEvSK_.num_named_barrier, 0
	.set _ZN7rocprim17ROCPRIM_400000_NS6detail17trampoline_kernelINS0_14default_configENS1_36segmented_radix_sort_config_selectorIslEEZNS1_25segmented_radix_sort_implIS3_Lb0EPKsPsPKlPlN2at6native12_GLOBAL__N_18offset_tEEE10hipError_tPvRmT1_PNSt15iterator_traitsISK_E10value_typeET2_T3_PNSL_ISQ_E10value_typeET4_jRbjT5_SW_jjP12ihipStream_tbEUlT_E0_NS1_11comp_targetILNS1_3genE3ELNS1_11target_archE908ELNS1_3gpuE7ELNS1_3repE0EEENS1_60segmented_radix_sort_warp_sort_medium_config_static_selectorELNS0_4arch9wavefront6targetE0EEEvSK_.private_seg_size, 0
	.set _ZN7rocprim17ROCPRIM_400000_NS6detail17trampoline_kernelINS0_14default_configENS1_36segmented_radix_sort_config_selectorIslEEZNS1_25segmented_radix_sort_implIS3_Lb0EPKsPsPKlPlN2at6native12_GLOBAL__N_18offset_tEEE10hipError_tPvRmT1_PNSt15iterator_traitsISK_E10value_typeET2_T3_PNSL_ISQ_E10value_typeET4_jRbjT5_SW_jjP12ihipStream_tbEUlT_E0_NS1_11comp_targetILNS1_3genE3ELNS1_11target_archE908ELNS1_3gpuE7ELNS1_3repE0EEENS1_60segmented_radix_sort_warp_sort_medium_config_static_selectorELNS0_4arch9wavefront6targetE0EEEvSK_.uses_vcc, 0
	.set _ZN7rocprim17ROCPRIM_400000_NS6detail17trampoline_kernelINS0_14default_configENS1_36segmented_radix_sort_config_selectorIslEEZNS1_25segmented_radix_sort_implIS3_Lb0EPKsPsPKlPlN2at6native12_GLOBAL__N_18offset_tEEE10hipError_tPvRmT1_PNSt15iterator_traitsISK_E10value_typeET2_T3_PNSL_ISQ_E10value_typeET4_jRbjT5_SW_jjP12ihipStream_tbEUlT_E0_NS1_11comp_targetILNS1_3genE3ELNS1_11target_archE908ELNS1_3gpuE7ELNS1_3repE0EEENS1_60segmented_radix_sort_warp_sort_medium_config_static_selectorELNS0_4arch9wavefront6targetE0EEEvSK_.uses_flat_scratch, 0
	.set _ZN7rocprim17ROCPRIM_400000_NS6detail17trampoline_kernelINS0_14default_configENS1_36segmented_radix_sort_config_selectorIslEEZNS1_25segmented_radix_sort_implIS3_Lb0EPKsPsPKlPlN2at6native12_GLOBAL__N_18offset_tEEE10hipError_tPvRmT1_PNSt15iterator_traitsISK_E10value_typeET2_T3_PNSL_ISQ_E10value_typeET4_jRbjT5_SW_jjP12ihipStream_tbEUlT_E0_NS1_11comp_targetILNS1_3genE3ELNS1_11target_archE908ELNS1_3gpuE7ELNS1_3repE0EEENS1_60segmented_radix_sort_warp_sort_medium_config_static_selectorELNS0_4arch9wavefront6targetE0EEEvSK_.has_dyn_sized_stack, 0
	.set _ZN7rocprim17ROCPRIM_400000_NS6detail17trampoline_kernelINS0_14default_configENS1_36segmented_radix_sort_config_selectorIslEEZNS1_25segmented_radix_sort_implIS3_Lb0EPKsPsPKlPlN2at6native12_GLOBAL__N_18offset_tEEE10hipError_tPvRmT1_PNSt15iterator_traitsISK_E10value_typeET2_T3_PNSL_ISQ_E10value_typeET4_jRbjT5_SW_jjP12ihipStream_tbEUlT_E0_NS1_11comp_targetILNS1_3genE3ELNS1_11target_archE908ELNS1_3gpuE7ELNS1_3repE0EEENS1_60segmented_radix_sort_warp_sort_medium_config_static_selectorELNS0_4arch9wavefront6targetE0EEEvSK_.has_recursion, 0
	.set _ZN7rocprim17ROCPRIM_400000_NS6detail17trampoline_kernelINS0_14default_configENS1_36segmented_radix_sort_config_selectorIslEEZNS1_25segmented_radix_sort_implIS3_Lb0EPKsPsPKlPlN2at6native12_GLOBAL__N_18offset_tEEE10hipError_tPvRmT1_PNSt15iterator_traitsISK_E10value_typeET2_T3_PNSL_ISQ_E10value_typeET4_jRbjT5_SW_jjP12ihipStream_tbEUlT_E0_NS1_11comp_targetILNS1_3genE3ELNS1_11target_archE908ELNS1_3gpuE7ELNS1_3repE0EEENS1_60segmented_radix_sort_warp_sort_medium_config_static_selectorELNS0_4arch9wavefront6targetE0EEEvSK_.has_indirect_call, 0
	.section	.AMDGPU.csdata,"",@progbits
; Kernel info:
; codeLenInByte = 0
; TotalNumSgprs: 0
; NumVgprs: 0
; ScratchSize: 0
; MemoryBound: 0
; FloatMode: 240
; IeeeMode: 1
; LDSByteSize: 0 bytes/workgroup (compile time only)
; SGPRBlocks: 0
; VGPRBlocks: 0
; NumSGPRsForWavesPerEU: 1
; NumVGPRsForWavesPerEU: 1
; Occupancy: 16
; WaveLimiterHint : 0
; COMPUTE_PGM_RSRC2:SCRATCH_EN: 0
; COMPUTE_PGM_RSRC2:USER_SGPR: 2
; COMPUTE_PGM_RSRC2:TRAP_HANDLER: 0
; COMPUTE_PGM_RSRC2:TGID_X_EN: 1
; COMPUTE_PGM_RSRC2:TGID_Y_EN: 0
; COMPUTE_PGM_RSRC2:TGID_Z_EN: 0
; COMPUTE_PGM_RSRC2:TIDIG_COMP_CNT: 0
	.section	.text._ZN7rocprim17ROCPRIM_400000_NS6detail17trampoline_kernelINS0_14default_configENS1_36segmented_radix_sort_config_selectorIslEEZNS1_25segmented_radix_sort_implIS3_Lb0EPKsPsPKlPlN2at6native12_GLOBAL__N_18offset_tEEE10hipError_tPvRmT1_PNSt15iterator_traitsISK_E10value_typeET2_T3_PNSL_ISQ_E10value_typeET4_jRbjT5_SW_jjP12ihipStream_tbEUlT_E0_NS1_11comp_targetILNS1_3genE2ELNS1_11target_archE906ELNS1_3gpuE6ELNS1_3repE0EEENS1_60segmented_radix_sort_warp_sort_medium_config_static_selectorELNS0_4arch9wavefront6targetE0EEEvSK_,"axG",@progbits,_ZN7rocprim17ROCPRIM_400000_NS6detail17trampoline_kernelINS0_14default_configENS1_36segmented_radix_sort_config_selectorIslEEZNS1_25segmented_radix_sort_implIS3_Lb0EPKsPsPKlPlN2at6native12_GLOBAL__N_18offset_tEEE10hipError_tPvRmT1_PNSt15iterator_traitsISK_E10value_typeET2_T3_PNSL_ISQ_E10value_typeET4_jRbjT5_SW_jjP12ihipStream_tbEUlT_E0_NS1_11comp_targetILNS1_3genE2ELNS1_11target_archE906ELNS1_3gpuE6ELNS1_3repE0EEENS1_60segmented_radix_sort_warp_sort_medium_config_static_selectorELNS0_4arch9wavefront6targetE0EEEvSK_,comdat
	.globl	_ZN7rocprim17ROCPRIM_400000_NS6detail17trampoline_kernelINS0_14default_configENS1_36segmented_radix_sort_config_selectorIslEEZNS1_25segmented_radix_sort_implIS3_Lb0EPKsPsPKlPlN2at6native12_GLOBAL__N_18offset_tEEE10hipError_tPvRmT1_PNSt15iterator_traitsISK_E10value_typeET2_T3_PNSL_ISQ_E10value_typeET4_jRbjT5_SW_jjP12ihipStream_tbEUlT_E0_NS1_11comp_targetILNS1_3genE2ELNS1_11target_archE906ELNS1_3gpuE6ELNS1_3repE0EEENS1_60segmented_radix_sort_warp_sort_medium_config_static_selectorELNS0_4arch9wavefront6targetE0EEEvSK_ ; -- Begin function _ZN7rocprim17ROCPRIM_400000_NS6detail17trampoline_kernelINS0_14default_configENS1_36segmented_radix_sort_config_selectorIslEEZNS1_25segmented_radix_sort_implIS3_Lb0EPKsPsPKlPlN2at6native12_GLOBAL__N_18offset_tEEE10hipError_tPvRmT1_PNSt15iterator_traitsISK_E10value_typeET2_T3_PNSL_ISQ_E10value_typeET4_jRbjT5_SW_jjP12ihipStream_tbEUlT_E0_NS1_11comp_targetILNS1_3genE2ELNS1_11target_archE906ELNS1_3gpuE6ELNS1_3repE0EEENS1_60segmented_radix_sort_warp_sort_medium_config_static_selectorELNS0_4arch9wavefront6targetE0EEEvSK_
	.p2align	8
	.type	_ZN7rocprim17ROCPRIM_400000_NS6detail17trampoline_kernelINS0_14default_configENS1_36segmented_radix_sort_config_selectorIslEEZNS1_25segmented_radix_sort_implIS3_Lb0EPKsPsPKlPlN2at6native12_GLOBAL__N_18offset_tEEE10hipError_tPvRmT1_PNSt15iterator_traitsISK_E10value_typeET2_T3_PNSL_ISQ_E10value_typeET4_jRbjT5_SW_jjP12ihipStream_tbEUlT_E0_NS1_11comp_targetILNS1_3genE2ELNS1_11target_archE906ELNS1_3gpuE6ELNS1_3repE0EEENS1_60segmented_radix_sort_warp_sort_medium_config_static_selectorELNS0_4arch9wavefront6targetE0EEEvSK_,@function
_ZN7rocprim17ROCPRIM_400000_NS6detail17trampoline_kernelINS0_14default_configENS1_36segmented_radix_sort_config_selectorIslEEZNS1_25segmented_radix_sort_implIS3_Lb0EPKsPsPKlPlN2at6native12_GLOBAL__N_18offset_tEEE10hipError_tPvRmT1_PNSt15iterator_traitsISK_E10value_typeET2_T3_PNSL_ISQ_E10value_typeET4_jRbjT5_SW_jjP12ihipStream_tbEUlT_E0_NS1_11comp_targetILNS1_3genE2ELNS1_11target_archE906ELNS1_3gpuE6ELNS1_3repE0EEENS1_60segmented_radix_sort_warp_sort_medium_config_static_selectorELNS0_4arch9wavefront6targetE0EEEvSK_: ; @_ZN7rocprim17ROCPRIM_400000_NS6detail17trampoline_kernelINS0_14default_configENS1_36segmented_radix_sort_config_selectorIslEEZNS1_25segmented_radix_sort_implIS3_Lb0EPKsPsPKlPlN2at6native12_GLOBAL__N_18offset_tEEE10hipError_tPvRmT1_PNSt15iterator_traitsISK_E10value_typeET2_T3_PNSL_ISQ_E10value_typeET4_jRbjT5_SW_jjP12ihipStream_tbEUlT_E0_NS1_11comp_targetILNS1_3genE2ELNS1_11target_archE906ELNS1_3gpuE6ELNS1_3repE0EEENS1_60segmented_radix_sort_warp_sort_medium_config_static_selectorELNS0_4arch9wavefront6targetE0EEEvSK_
; %bb.0:
	.section	.rodata,"a",@progbits
	.p2align	6, 0x0
	.amdhsa_kernel _ZN7rocprim17ROCPRIM_400000_NS6detail17trampoline_kernelINS0_14default_configENS1_36segmented_radix_sort_config_selectorIslEEZNS1_25segmented_radix_sort_implIS3_Lb0EPKsPsPKlPlN2at6native12_GLOBAL__N_18offset_tEEE10hipError_tPvRmT1_PNSt15iterator_traitsISK_E10value_typeET2_T3_PNSL_ISQ_E10value_typeET4_jRbjT5_SW_jjP12ihipStream_tbEUlT_E0_NS1_11comp_targetILNS1_3genE2ELNS1_11target_archE906ELNS1_3gpuE6ELNS1_3repE0EEENS1_60segmented_radix_sort_warp_sort_medium_config_static_selectorELNS0_4arch9wavefront6targetE0EEEvSK_
		.amdhsa_group_segment_fixed_size 0
		.amdhsa_private_segment_fixed_size 0
		.amdhsa_kernarg_size 88
		.amdhsa_user_sgpr_count 2
		.amdhsa_user_sgpr_dispatch_ptr 0
		.amdhsa_user_sgpr_queue_ptr 0
		.amdhsa_user_sgpr_kernarg_segment_ptr 1
		.amdhsa_user_sgpr_dispatch_id 0
		.amdhsa_user_sgpr_private_segment_size 0
		.amdhsa_wavefront_size32 1
		.amdhsa_uses_dynamic_stack 0
		.amdhsa_enable_private_segment 0
		.amdhsa_system_sgpr_workgroup_id_x 1
		.amdhsa_system_sgpr_workgroup_id_y 0
		.amdhsa_system_sgpr_workgroup_id_z 0
		.amdhsa_system_sgpr_workgroup_info 0
		.amdhsa_system_vgpr_workitem_id 0
		.amdhsa_next_free_vgpr 1
		.amdhsa_next_free_sgpr 1
		.amdhsa_reserve_vcc 0
		.amdhsa_float_round_mode_32 0
		.amdhsa_float_round_mode_16_64 0
		.amdhsa_float_denorm_mode_32 3
		.amdhsa_float_denorm_mode_16_64 3
		.amdhsa_fp16_overflow 0
		.amdhsa_workgroup_processor_mode 1
		.amdhsa_memory_ordered 1
		.amdhsa_forward_progress 1
		.amdhsa_inst_pref_size 0
		.amdhsa_round_robin_scheduling 0
		.amdhsa_exception_fp_ieee_invalid_op 0
		.amdhsa_exception_fp_denorm_src 0
		.amdhsa_exception_fp_ieee_div_zero 0
		.amdhsa_exception_fp_ieee_overflow 0
		.amdhsa_exception_fp_ieee_underflow 0
		.amdhsa_exception_fp_ieee_inexact 0
		.amdhsa_exception_int_div_zero 0
	.end_amdhsa_kernel
	.section	.text._ZN7rocprim17ROCPRIM_400000_NS6detail17trampoline_kernelINS0_14default_configENS1_36segmented_radix_sort_config_selectorIslEEZNS1_25segmented_radix_sort_implIS3_Lb0EPKsPsPKlPlN2at6native12_GLOBAL__N_18offset_tEEE10hipError_tPvRmT1_PNSt15iterator_traitsISK_E10value_typeET2_T3_PNSL_ISQ_E10value_typeET4_jRbjT5_SW_jjP12ihipStream_tbEUlT_E0_NS1_11comp_targetILNS1_3genE2ELNS1_11target_archE906ELNS1_3gpuE6ELNS1_3repE0EEENS1_60segmented_radix_sort_warp_sort_medium_config_static_selectorELNS0_4arch9wavefront6targetE0EEEvSK_,"axG",@progbits,_ZN7rocprim17ROCPRIM_400000_NS6detail17trampoline_kernelINS0_14default_configENS1_36segmented_radix_sort_config_selectorIslEEZNS1_25segmented_radix_sort_implIS3_Lb0EPKsPsPKlPlN2at6native12_GLOBAL__N_18offset_tEEE10hipError_tPvRmT1_PNSt15iterator_traitsISK_E10value_typeET2_T3_PNSL_ISQ_E10value_typeET4_jRbjT5_SW_jjP12ihipStream_tbEUlT_E0_NS1_11comp_targetILNS1_3genE2ELNS1_11target_archE906ELNS1_3gpuE6ELNS1_3repE0EEENS1_60segmented_radix_sort_warp_sort_medium_config_static_selectorELNS0_4arch9wavefront6targetE0EEEvSK_,comdat
.Lfunc_end1028:
	.size	_ZN7rocprim17ROCPRIM_400000_NS6detail17trampoline_kernelINS0_14default_configENS1_36segmented_radix_sort_config_selectorIslEEZNS1_25segmented_radix_sort_implIS3_Lb0EPKsPsPKlPlN2at6native12_GLOBAL__N_18offset_tEEE10hipError_tPvRmT1_PNSt15iterator_traitsISK_E10value_typeET2_T3_PNSL_ISQ_E10value_typeET4_jRbjT5_SW_jjP12ihipStream_tbEUlT_E0_NS1_11comp_targetILNS1_3genE2ELNS1_11target_archE906ELNS1_3gpuE6ELNS1_3repE0EEENS1_60segmented_radix_sort_warp_sort_medium_config_static_selectorELNS0_4arch9wavefront6targetE0EEEvSK_, .Lfunc_end1028-_ZN7rocprim17ROCPRIM_400000_NS6detail17trampoline_kernelINS0_14default_configENS1_36segmented_radix_sort_config_selectorIslEEZNS1_25segmented_radix_sort_implIS3_Lb0EPKsPsPKlPlN2at6native12_GLOBAL__N_18offset_tEEE10hipError_tPvRmT1_PNSt15iterator_traitsISK_E10value_typeET2_T3_PNSL_ISQ_E10value_typeET4_jRbjT5_SW_jjP12ihipStream_tbEUlT_E0_NS1_11comp_targetILNS1_3genE2ELNS1_11target_archE906ELNS1_3gpuE6ELNS1_3repE0EEENS1_60segmented_radix_sort_warp_sort_medium_config_static_selectorELNS0_4arch9wavefront6targetE0EEEvSK_
                                        ; -- End function
	.set _ZN7rocprim17ROCPRIM_400000_NS6detail17trampoline_kernelINS0_14default_configENS1_36segmented_radix_sort_config_selectorIslEEZNS1_25segmented_radix_sort_implIS3_Lb0EPKsPsPKlPlN2at6native12_GLOBAL__N_18offset_tEEE10hipError_tPvRmT1_PNSt15iterator_traitsISK_E10value_typeET2_T3_PNSL_ISQ_E10value_typeET4_jRbjT5_SW_jjP12ihipStream_tbEUlT_E0_NS1_11comp_targetILNS1_3genE2ELNS1_11target_archE906ELNS1_3gpuE6ELNS1_3repE0EEENS1_60segmented_radix_sort_warp_sort_medium_config_static_selectorELNS0_4arch9wavefront6targetE0EEEvSK_.num_vgpr, 0
	.set _ZN7rocprim17ROCPRIM_400000_NS6detail17trampoline_kernelINS0_14default_configENS1_36segmented_radix_sort_config_selectorIslEEZNS1_25segmented_radix_sort_implIS3_Lb0EPKsPsPKlPlN2at6native12_GLOBAL__N_18offset_tEEE10hipError_tPvRmT1_PNSt15iterator_traitsISK_E10value_typeET2_T3_PNSL_ISQ_E10value_typeET4_jRbjT5_SW_jjP12ihipStream_tbEUlT_E0_NS1_11comp_targetILNS1_3genE2ELNS1_11target_archE906ELNS1_3gpuE6ELNS1_3repE0EEENS1_60segmented_radix_sort_warp_sort_medium_config_static_selectorELNS0_4arch9wavefront6targetE0EEEvSK_.num_agpr, 0
	.set _ZN7rocprim17ROCPRIM_400000_NS6detail17trampoline_kernelINS0_14default_configENS1_36segmented_radix_sort_config_selectorIslEEZNS1_25segmented_radix_sort_implIS3_Lb0EPKsPsPKlPlN2at6native12_GLOBAL__N_18offset_tEEE10hipError_tPvRmT1_PNSt15iterator_traitsISK_E10value_typeET2_T3_PNSL_ISQ_E10value_typeET4_jRbjT5_SW_jjP12ihipStream_tbEUlT_E0_NS1_11comp_targetILNS1_3genE2ELNS1_11target_archE906ELNS1_3gpuE6ELNS1_3repE0EEENS1_60segmented_radix_sort_warp_sort_medium_config_static_selectorELNS0_4arch9wavefront6targetE0EEEvSK_.numbered_sgpr, 0
	.set _ZN7rocprim17ROCPRIM_400000_NS6detail17trampoline_kernelINS0_14default_configENS1_36segmented_radix_sort_config_selectorIslEEZNS1_25segmented_radix_sort_implIS3_Lb0EPKsPsPKlPlN2at6native12_GLOBAL__N_18offset_tEEE10hipError_tPvRmT1_PNSt15iterator_traitsISK_E10value_typeET2_T3_PNSL_ISQ_E10value_typeET4_jRbjT5_SW_jjP12ihipStream_tbEUlT_E0_NS1_11comp_targetILNS1_3genE2ELNS1_11target_archE906ELNS1_3gpuE6ELNS1_3repE0EEENS1_60segmented_radix_sort_warp_sort_medium_config_static_selectorELNS0_4arch9wavefront6targetE0EEEvSK_.num_named_barrier, 0
	.set _ZN7rocprim17ROCPRIM_400000_NS6detail17trampoline_kernelINS0_14default_configENS1_36segmented_radix_sort_config_selectorIslEEZNS1_25segmented_radix_sort_implIS3_Lb0EPKsPsPKlPlN2at6native12_GLOBAL__N_18offset_tEEE10hipError_tPvRmT1_PNSt15iterator_traitsISK_E10value_typeET2_T3_PNSL_ISQ_E10value_typeET4_jRbjT5_SW_jjP12ihipStream_tbEUlT_E0_NS1_11comp_targetILNS1_3genE2ELNS1_11target_archE906ELNS1_3gpuE6ELNS1_3repE0EEENS1_60segmented_radix_sort_warp_sort_medium_config_static_selectorELNS0_4arch9wavefront6targetE0EEEvSK_.private_seg_size, 0
	.set _ZN7rocprim17ROCPRIM_400000_NS6detail17trampoline_kernelINS0_14default_configENS1_36segmented_radix_sort_config_selectorIslEEZNS1_25segmented_radix_sort_implIS3_Lb0EPKsPsPKlPlN2at6native12_GLOBAL__N_18offset_tEEE10hipError_tPvRmT1_PNSt15iterator_traitsISK_E10value_typeET2_T3_PNSL_ISQ_E10value_typeET4_jRbjT5_SW_jjP12ihipStream_tbEUlT_E0_NS1_11comp_targetILNS1_3genE2ELNS1_11target_archE906ELNS1_3gpuE6ELNS1_3repE0EEENS1_60segmented_radix_sort_warp_sort_medium_config_static_selectorELNS0_4arch9wavefront6targetE0EEEvSK_.uses_vcc, 0
	.set _ZN7rocprim17ROCPRIM_400000_NS6detail17trampoline_kernelINS0_14default_configENS1_36segmented_radix_sort_config_selectorIslEEZNS1_25segmented_radix_sort_implIS3_Lb0EPKsPsPKlPlN2at6native12_GLOBAL__N_18offset_tEEE10hipError_tPvRmT1_PNSt15iterator_traitsISK_E10value_typeET2_T3_PNSL_ISQ_E10value_typeET4_jRbjT5_SW_jjP12ihipStream_tbEUlT_E0_NS1_11comp_targetILNS1_3genE2ELNS1_11target_archE906ELNS1_3gpuE6ELNS1_3repE0EEENS1_60segmented_radix_sort_warp_sort_medium_config_static_selectorELNS0_4arch9wavefront6targetE0EEEvSK_.uses_flat_scratch, 0
	.set _ZN7rocprim17ROCPRIM_400000_NS6detail17trampoline_kernelINS0_14default_configENS1_36segmented_radix_sort_config_selectorIslEEZNS1_25segmented_radix_sort_implIS3_Lb0EPKsPsPKlPlN2at6native12_GLOBAL__N_18offset_tEEE10hipError_tPvRmT1_PNSt15iterator_traitsISK_E10value_typeET2_T3_PNSL_ISQ_E10value_typeET4_jRbjT5_SW_jjP12ihipStream_tbEUlT_E0_NS1_11comp_targetILNS1_3genE2ELNS1_11target_archE906ELNS1_3gpuE6ELNS1_3repE0EEENS1_60segmented_radix_sort_warp_sort_medium_config_static_selectorELNS0_4arch9wavefront6targetE0EEEvSK_.has_dyn_sized_stack, 0
	.set _ZN7rocprim17ROCPRIM_400000_NS6detail17trampoline_kernelINS0_14default_configENS1_36segmented_radix_sort_config_selectorIslEEZNS1_25segmented_radix_sort_implIS3_Lb0EPKsPsPKlPlN2at6native12_GLOBAL__N_18offset_tEEE10hipError_tPvRmT1_PNSt15iterator_traitsISK_E10value_typeET2_T3_PNSL_ISQ_E10value_typeET4_jRbjT5_SW_jjP12ihipStream_tbEUlT_E0_NS1_11comp_targetILNS1_3genE2ELNS1_11target_archE906ELNS1_3gpuE6ELNS1_3repE0EEENS1_60segmented_radix_sort_warp_sort_medium_config_static_selectorELNS0_4arch9wavefront6targetE0EEEvSK_.has_recursion, 0
	.set _ZN7rocprim17ROCPRIM_400000_NS6detail17trampoline_kernelINS0_14default_configENS1_36segmented_radix_sort_config_selectorIslEEZNS1_25segmented_radix_sort_implIS3_Lb0EPKsPsPKlPlN2at6native12_GLOBAL__N_18offset_tEEE10hipError_tPvRmT1_PNSt15iterator_traitsISK_E10value_typeET2_T3_PNSL_ISQ_E10value_typeET4_jRbjT5_SW_jjP12ihipStream_tbEUlT_E0_NS1_11comp_targetILNS1_3genE2ELNS1_11target_archE906ELNS1_3gpuE6ELNS1_3repE0EEENS1_60segmented_radix_sort_warp_sort_medium_config_static_selectorELNS0_4arch9wavefront6targetE0EEEvSK_.has_indirect_call, 0
	.section	.AMDGPU.csdata,"",@progbits
; Kernel info:
; codeLenInByte = 0
; TotalNumSgprs: 0
; NumVgprs: 0
; ScratchSize: 0
; MemoryBound: 0
; FloatMode: 240
; IeeeMode: 1
; LDSByteSize: 0 bytes/workgroup (compile time only)
; SGPRBlocks: 0
; VGPRBlocks: 0
; NumSGPRsForWavesPerEU: 1
; NumVGPRsForWavesPerEU: 1
; Occupancy: 16
; WaveLimiterHint : 0
; COMPUTE_PGM_RSRC2:SCRATCH_EN: 0
; COMPUTE_PGM_RSRC2:USER_SGPR: 2
; COMPUTE_PGM_RSRC2:TRAP_HANDLER: 0
; COMPUTE_PGM_RSRC2:TGID_X_EN: 1
; COMPUTE_PGM_RSRC2:TGID_Y_EN: 0
; COMPUTE_PGM_RSRC2:TGID_Z_EN: 0
; COMPUTE_PGM_RSRC2:TIDIG_COMP_CNT: 0
	.text
	.p2align	2                               ; -- Begin function _ZN7rocprim17ROCPRIM_400000_NS6detail26segmented_warp_sort_helperINS1_20WarpSortHelperConfigILj16ELj8ELj256EEEslLi256ELb0EvE4sortIPKsPsPKlPlEEvT_T0_T1_T2_jjjjRNS5_12storage_typeE
	.type	_ZN7rocprim17ROCPRIM_400000_NS6detail26segmented_warp_sort_helperINS1_20WarpSortHelperConfigILj16ELj8ELj256EEEslLi256ELb0EvE4sortIPKsPsPKlPlEEvT_T0_T1_T2_jjjjRNS5_12storage_typeE,@function
_ZN7rocprim17ROCPRIM_400000_NS6detail26segmented_warp_sort_helperINS1_20WarpSortHelperConfigILj16ELj8ELj256EEEslLi256ELb0EvE4sortIPKsPsPKlPlEEvT_T0_T1_T2_jjjjRNS5_12storage_typeE: ; @_ZN7rocprim17ROCPRIM_400000_NS6detail26segmented_warp_sort_helperINS1_20WarpSortHelperConfigILj16ELj8ELj256EEEslLi256ELb0EvE4sortIPKsPsPKlPlEEvT_T0_T1_T2_jjjjRNS5_12storage_typeE
; %bb.0:
	s_wait_loadcnt_dscnt 0x0
	s_wait_expcnt 0x0
	s_wait_samplecnt 0x0
	s_wait_bvhcnt 0x0
	s_wait_kmcnt 0x0
	v_mov_b32_e32 v12, v9
	v_mbcnt_lo_u32_b32 v9, -1, 0
	v_dual_mov_b32 v37, 0x7fff :: v_dual_mov_b32 v48, 0x7fff
	s_delay_alu instid0(VALU_DEP_2) | instskip(SKIP_2) | instid1(VALU_DEP_3)
	v_lshlrev_b32_e32 v35, 3, v9
	v_mov_b32_e32 v9, 0
	v_sub_nc_u32_e32 v12, v12, v8
	v_and_b32_e32 v36, 0x78, v35
	s_delay_alu instid0(VALU_DEP_3) | instskip(NEXT) | instid1(VALU_DEP_2)
	v_lshlrev_b64_e32 v[13:14], 1, v[8:9]
	v_lshlrev_b32_e32 v33, 1, v36
	s_delay_alu instid0(VALU_DEP_2) | instskip(SKIP_1) | instid1(VALU_DEP_3)
	v_add_co_u32 v0, vcc_lo, v0, v13
	s_wait_alu 0xfffd
	v_add_co_ci_u32_e64 v1, null, v1, v14, vcc_lo
	s_delay_alu instid0(VALU_DEP_2) | instskip(SKIP_1) | instid1(VALU_DEP_2)
	v_add_co_u32 v0, vcc_lo, v0, v33
	s_wait_alu 0xfffd
	v_add_co_ci_u32_e64 v1, null, 0, v1, vcc_lo
	v_cmp_lt_u32_e32 vcc_lo, v36, v12
	s_and_saveexec_b32 s0, vcc_lo
	s_cbranch_execz .LBB1029_2
; %bb.1:
	flat_load_u16 v37, v[0:1]
.LBB1029_2:
	s_wait_alu 0xfffe
	s_or_b32 exec_lo, exec_lo, s0
	v_or_b32_e32 v15, 1, v36
	s_delay_alu instid0(VALU_DEP_1)
	v_cmp_lt_u32_e64 s0, v15, v12
	s_and_saveexec_b32 s1, s0
	s_cbranch_execz .LBB1029_4
; %bb.3:
	flat_load_u16 v48, v[0:1] offset:2
.LBB1029_4:
	s_wait_alu 0xfffe
	s_or_b32 exec_lo, exec_lo, s1
	v_or_b32_e32 v15, 2, v36
	v_dual_mov_b32 v51, 0x7fff :: v_dual_mov_b32 v32, 0x7fff
	s_delay_alu instid0(VALU_DEP_2)
	v_cmp_lt_u32_e64 s1, v15, v12
	s_and_saveexec_b32 s2, s1
	s_cbranch_execz .LBB1029_6
; %bb.5:
	flat_load_u16 v32, v[0:1] offset:4
.LBB1029_6:
	s_wait_alu 0xfffe
	s_or_b32 exec_lo, exec_lo, s2
	v_or_b32_e32 v15, 3, v36
	s_delay_alu instid0(VALU_DEP_1)
	v_cmp_lt_u32_e64 s2, v15, v12
	s_and_saveexec_b32 s3, s2
	s_cbranch_execz .LBB1029_8
; %bb.7:
	flat_load_u16 v51, v[0:1] offset:6
.LBB1029_8:
	s_wait_alu 0xfffe
	s_or_b32 exec_lo, exec_lo, s3
	v_or_b32_e32 v15, 4, v36
	v_mov_b32_e32 v39, 0x7fff
	v_mov_b32_e32 v49, 0x7fff
	s_delay_alu instid0(VALU_DEP_3)
	v_cmp_lt_u32_e64 s3, v15, v12
	s_and_saveexec_b32 s4, s3
	s_cbranch_execz .LBB1029_10
; %bb.9:
	flat_load_u16 v49, v[0:1] offset:8
.LBB1029_10:
	s_wait_alu 0xfffe
	s_or_b32 exec_lo, exec_lo, s4
	v_or_b32_e32 v15, 5, v36
	s_delay_alu instid0(VALU_DEP_1)
	v_cmp_lt_u32_e64 s4, v15, v12
	s_and_saveexec_b32 s5, s4
	s_cbranch_execz .LBB1029_12
; %bb.11:
	flat_load_u16 v39, v[0:1] offset:10
.LBB1029_12:
	s_wait_alu 0xfffe
	s_or_b32 exec_lo, exec_lo, s5
	v_or_b32_e32 v15, 6, v36
	v_mov_b32_e32 v38, 0x7fff
	v_mov_b32_e32 v52, 0x7fff
	s_delay_alu instid0(VALU_DEP_3)
	v_cmp_lt_u32_e64 s5, v15, v12
	s_and_saveexec_b32 s6, s5
	s_cbranch_execz .LBB1029_14
; %bb.13:
	flat_load_u16 v52, v[0:1] offset:12
.LBB1029_14:
	s_wait_alu 0xfffe
	s_or_b32 exec_lo, exec_lo, s6
	v_or_b32_e32 v15, 7, v36
	s_delay_alu instid0(VALU_DEP_1)
	v_cmp_lt_u32_e64 s6, v15, v12
	s_and_saveexec_b32 s7, s6
	s_cbranch_execz .LBB1029_16
; %bb.15:
	flat_load_u16 v38, v[0:1] offset:14
.LBB1029_16:
	s_wait_alu 0xfffe
	s_or_b32 exec_lo, exec_lo, s7
	v_lshlrev_b64_e32 v[0:1], 3, v[8:9]
	v_lshlrev_b32_e32 v34, 3, v36
	; wave barrier
	s_delay_alu instid0(VALU_DEP_2) | instskip(SKIP_1) | instid1(VALU_DEP_3)
	v_add_co_u32 v4, s7, v4, v0
	s_wait_alu 0xf1ff
	v_add_co_ci_u32_e64 v5, null, v5, v1, s7
	s_delay_alu instid0(VALU_DEP_2) | instskip(SKIP_1) | instid1(VALU_DEP_2)
	v_add_co_u32 v27, s7, v4, v34
	s_wait_alu 0xf1ff
	v_add_co_ci_u32_e64 v28, null, 0, v5, s7
                                        ; implicit-def: $vgpr4_vgpr5
	s_and_saveexec_b32 s7, vcc_lo
	s_cbranch_execnz .LBB1029_243
; %bb.17:
	s_wait_alu 0xfffe
	s_or_b32 exec_lo, exec_lo, s7
	s_and_saveexec_b32 s7, s0
                                        ; implicit-def: $vgpr15_vgpr16
	s_cbranch_execnz .LBB1029_244
.LBB1029_18:
	s_wait_alu 0xfffe
	s_or_b32 exec_lo, exec_lo, s7
                                        ; implicit-def: $vgpr17_vgpr18
	s_and_saveexec_b32 s7, s1
	s_cbranch_execnz .LBB1029_245
.LBB1029_19:
	s_wait_alu 0xfffe
	s_or_b32 exec_lo, exec_lo, s7
	s_and_saveexec_b32 s7, s2
                                        ; implicit-def: $vgpr19_vgpr20
	s_cbranch_execnz .LBB1029_246
.LBB1029_20:
	s_wait_alu 0xfffe
	s_or_b32 exec_lo, exec_lo, s7
                                        ; implicit-def: $vgpr21_vgpr22
	s_and_saveexec_b32 s7, s3
	s_cbranch_execnz .LBB1029_247
.LBB1029_21:
	s_wait_alu 0xfffe
	s_or_b32 exec_lo, exec_lo, s7
	s_and_saveexec_b32 s7, s4
                                        ; implicit-def: $vgpr25_vgpr26
	s_cbranch_execnz .LBB1029_248
.LBB1029_22:
	s_wait_alu 0xfffe
	s_or_b32 exec_lo, exec_lo, s7
                                        ; implicit-def: $vgpr8_vgpr9
	s_and_saveexec_b32 s7, s5
	s_cbranch_execnz .LBB1029_249
.LBB1029_23:
	s_wait_alu 0xfffe
	s_or_b32 exec_lo, exec_lo, s7
	s_and_saveexec_b32 s7, s6
                                        ; implicit-def: $vgpr23_vgpr24
	s_cbranch_execz .LBB1029_25
.LBB1029_24:
	flat_load_b64 v[23:24], v[27:28] offset:56
.LBB1029_25:
	s_wait_alu 0xfffe
	s_or_b32 exec_lo, exec_lo, s7
	v_cmp_ne_u32_e64 s7, 0, v10
	v_cmp_ne_u32_e64 s10, 16, v11
	v_bfe_u32 v27, v31, 10, 10
	v_bfe_u32 v28, v31, 20, 10
	v_and_b32_e32 v12, 0x3ff, v31
	s_mov_b32 s11, 0
	s_or_b32 s7, s7, s10
	; wave barrier
	s_wait_alu 0xfffe
	s_and_saveexec_b32 s10, s7
	s_wait_alu 0xfffe
	s_xor_b32 s19, exec_lo, s10
	s_cbranch_execz .LBB1029_125
; %bb.26:
	s_load_b64 s[12:13], s[8:9], 0x0
	s_and_b32 s7, ttmp7, 0xffff
	v_lshlrev_b32_e64 v11, v11, -1
	v_lshlrev_b32_e64 v10, v10, -1
	s_delay_alu instid0(VALU_DEP_1)
	v_xor_b32_e32 v50, v11, v10
	s_wait_kmcnt 0x0
	s_wait_alu 0xfffe
	s_cmp_lt_u32 s7, s13
	s_cselect_b32 s10, 14, 20
	s_cmp_lt_u32 ttmp9, s12
	s_wait_alu 0xfffe
	s_add_nc_u64 s[14:15], s[8:9], s[10:11]
	s_cselect_b32 s10, 12, 18
	s_load_u16 s7, s[14:15], 0x0
	s_add_nc_u64 s[10:11], s[8:9], s[10:11]
	s_load_u16 s10, s[10:11], 0x0
	s_wait_kmcnt 0x0
	v_mad_u32_u24 v27, v28, s7, v27
	s_delay_alu instid0(VALU_DEP_1) | instskip(SKIP_1) | instid1(VALU_DEP_1)
	v_mul_lo_u32 v27, v27, s10
	s_mov_b32 s10, exec_lo
	v_add_lshl_u32 v12, v27, v12, 3
	s_delay_alu instid0(VALU_DEP_1)
	v_cmpx_gt_u32_e32 0x800, v12
	s_cbranch_execz .LBB1029_84
; %bb.27:
	s_wait_loadcnt_dscnt 0x0
	v_dual_mov_b32 v28, v16 :: v_dual_and_b32 v11, v37, v50
	v_dual_mov_b32 v27, v15 :: v_dual_and_b32 v10, v48, v50
	v_mov_b32_e32 v53, v48
	s_mov_b32 s11, exec_lo
	s_delay_alu instid0(VALU_DEP_2)
	v_cmpx_gt_i16_e64 v11, v10
; %bb.28:
	v_dual_mov_b32 v53, v37 :: v_dual_mov_b32 v28, v5
	v_mov_b32_e32 v37, v48
	v_dual_mov_b32 v27, v4 :: v_dual_mov_b32 v4, v15
	v_mov_b32_e32 v5, v16
; %bb.29:
	s_wait_alu 0xfffe
	s_or_b32 exec_lo, exec_lo, s11
	v_dual_mov_b32 v31, v51 :: v_dual_mov_b32 v30, v20
	v_and_b32_e32 v10, v51, v50
	v_and_b32_e32 v11, v32, v50
	v_mov_b32_e32 v29, v19
	s_mov_b32 s11, exec_lo
	s_delay_alu instid0(VALU_DEP_2)
	v_cmpx_gt_i16_e64 v11, v10
; %bb.30:
	v_dual_mov_b32 v31, v32 :: v_dual_mov_b32 v32, v51
	v_dual_mov_b32 v30, v18 :: v_dual_mov_b32 v29, v17
	;; [unrolled: 1-line block ×3, first 2 shown]
; %bb.31:
	s_wait_alu 0xfffe
	s_or_b32 exec_lo, exec_lo, s11
	v_dual_mov_b32 v15, v25 :: v_dual_and_b32 v10, v39, v50
	v_dual_mov_b32 v16, v26 :: v_dual_and_b32 v11, v49, v50
	v_mov_b32_e32 v54, v49
	s_mov_b32 s11, exec_lo
	s_delay_alu instid0(VALU_DEP_2)
	v_cmpx_gt_i16_e64 v11, v10
; %bb.32:
	v_dual_mov_b32 v15, v21 :: v_dual_mov_b32 v16, v22
	v_dual_mov_b32 v21, v25 :: v_dual_mov_b32 v22, v26
	v_dual_mov_b32 v54, v39 :: v_dual_mov_b32 v39, v49
; %bb.33:
	s_wait_alu 0xfffe
	s_or_b32 exec_lo, exec_lo, s11
	v_dual_mov_b32 v10, v23 :: v_dual_and_b32 v19, v38, v50
	v_and_b32_e32 v20, v52, v50
	v_mov_b32_e32 v11, v24
	v_mov_b32_e32 v49, v52
	s_mov_b32 s11, exec_lo
	s_delay_alu instid0(VALU_DEP_3)
	v_cmpx_gt_i16_e64 v20, v19
; %bb.34:
	v_dual_mov_b32 v11, v9 :: v_dual_mov_b32 v10, v8
	v_dual_mov_b32 v8, v23 :: v_dual_mov_b32 v9, v24
	;; [unrolled: 1-line block ×3, first 2 shown]
; %bb.35:
	s_wait_alu 0xfffe
	s_or_b32 exec_lo, exec_lo, s11
	v_dual_mov_b32 v24, v18 :: v_dual_and_b32 v19, v32, v50
	v_and_b32_e32 v20, v53, v50
	v_dual_mov_b32 v48, v32 :: v_dual_mov_b32 v23, v17
	s_delay_alu instid0(VALU_DEP_2)
	v_cmp_gt_i16_e64 s7, v20, v19
	s_and_saveexec_b32 s11, s7
	s_wait_alu 0xfffe
	s_xor_b32 s7, exec_lo, s11
; %bb.36:
	v_dual_mov_b32 v48, v53 :: v_dual_mov_b32 v53, v32
	v_dual_mov_b32 v23, v27 :: v_dual_mov_b32 v24, v28
	;; [unrolled: 1-line block ×3, first 2 shown]
; %bb.37:
	s_wait_alu 0xfffe
	s_or_b32 exec_lo, exec_lo, s7
	v_dual_mov_b32 v19, v31 :: v_dual_mov_b32 v26, v22
	v_and_b32_e32 v17, v54, v50
	v_dual_mov_b32 v25, v21 :: v_dual_and_b32 v18, v31, v50
	s_mov_b32 s11, exec_lo
	s_delay_alu instid0(VALU_DEP_1)
	v_cmpx_gt_i16_e64 v18, v17
; %bb.38:
	v_mov_b32_e32 v25, v29
	v_dual_mov_b32 v19, v54 :: v_dual_mov_b32 v26, v30
	v_dual_mov_b32 v30, v22 :: v_dual_mov_b32 v29, v21
	v_mov_b32_e32 v54, v31
; %bb.39:
	s_wait_alu 0xfffe
	s_or_b32 exec_lo, exec_lo, s11
	v_dual_mov_b32 v18, v9 :: v_dual_and_b32 v21, v39, v50
	v_dual_mov_b32 v17, v8 :: v_dual_and_b32 v20, v49, v50
	v_mov_b32_e32 v51, v39
	s_mov_b32 s11, exec_lo
	s_delay_alu instid0(VALU_DEP_2)
	v_cmpx_gt_i16_e64 v21, v20
; %bb.40:
	v_dual_mov_b32 v18, v16 :: v_dual_mov_b32 v17, v15
	v_dual_mov_b32 v16, v9 :: v_dual_mov_b32 v15, v8
	v_mov_b32_e32 v51, v49
	v_mov_b32_e32 v49, v39
; %bb.41:
	s_wait_alu 0xfffe
	s_or_b32 exec_lo, exec_lo, s11
	v_dual_mov_b32 v32, v28 :: v_dual_and_b32 v9, v37, v50
	v_dual_mov_b32 v31, v27 :: v_dual_and_b32 v8, v53, v50
	v_mov_b32_e32 v39, v53
	s_mov_b32 s11, exec_lo
	s_delay_alu instid0(VALU_DEP_2)
	v_cmpx_gt_i16_e64 v9, v8
; %bb.42:
	v_dual_mov_b32 v39, v37 :: v_dual_mov_b32 v32, v5
	v_mov_b32_e32 v37, v53
	v_dual_mov_b32 v31, v4 :: v_dual_mov_b32 v4, v27
	v_mov_b32_e32 v5, v28
; %bb.43:
	s_wait_alu 0xfffe
	s_or_b32 exec_lo, exec_lo, s11
	v_dual_mov_b32 v27, v29 :: v_dual_and_b32 v8, v19, v50
	v_dual_mov_b32 v28, v30 :: v_dual_and_b32 v9, v48, v50
	v_mov_b32_e32 v55, v19
	s_mov_b32 s11, exec_lo
	s_delay_alu instid0(VALU_DEP_2)
	v_cmpx_gt_i16_e64 v9, v8
; %bb.44:
	v_dual_mov_b32 v55, v48 :: v_dual_mov_b32 v48, v19
	v_dual_mov_b32 v28, v24 :: v_dual_mov_b32 v27, v23
	;; [unrolled: 1-line block ×3, first 2 shown]
; %bb.45:
	s_wait_alu 0xfffe
	s_or_b32 exec_lo, exec_lo, s11
	v_dual_mov_b32 v20, v16 :: v_dual_and_b32 v9, v54, v50
	v_dual_mov_b32 v53, v54 :: v_dual_and_b32 v8, v51, v50
	v_mov_b32_e32 v19, v15
	s_mov_b32 s11, exec_lo
	s_delay_alu instid0(VALU_DEP_2)
	v_cmpx_gt_i16_e64 v9, v8
; %bb.46:
	v_dual_mov_b32 v19, v25 :: v_dual_mov_b32 v20, v26
	v_dual_mov_b32 v26, v16 :: v_dual_mov_b32 v25, v15
	v_mov_b32_e32 v53, v51
	v_mov_b32_e32 v51, v54
; %bb.47:
	s_wait_alu 0xfffe
	s_or_b32 exec_lo, exec_lo, s11
	v_mov_b32_e32 v8, v10
	v_dual_mov_b32 v52, v49 :: v_dual_and_b32 v15, v38, v50
	v_dual_mov_b32 v9, v11 :: v_dual_and_b32 v16, v49, v50
	s_mov_b32 s11, exec_lo
	s_delay_alu instid0(VALU_DEP_1)
	v_cmpx_gt_i16_e64 v16, v15
; %bb.48:
	v_dual_mov_b32 v8, v17 :: v_dual_mov_b32 v9, v18
	v_dual_mov_b32 v18, v11 :: v_dual_mov_b32 v17, v10
	v_mov_b32_e32 v52, v38
	v_mov_b32_e32 v38, v49
; %bb.49:
	s_wait_alu 0xfffe
	s_or_b32 exec_lo, exec_lo, s11
	v_dual_mov_b32 v30, v24 :: v_dual_and_b32 v11, v39, v50
	v_dual_mov_b32 v29, v23 :: v_dual_and_b32 v10, v48, v50
	v_mov_b32_e32 v49, v48
	s_mov_b32 s11, exec_lo
	s_delay_alu instid0(VALU_DEP_2)
	v_cmpx_gt_i16_e64 v11, v10
; %bb.50:
	v_mov_b32_e32 v29, v31
	v_dual_mov_b32 v49, v39 :: v_dual_mov_b32 v30, v32
	v_dual_mov_b32 v39, v48 :: v_dual_mov_b32 v32, v24
	v_mov_b32_e32 v31, v23
; %bb.51:
	s_wait_alu 0xfffe
	s_or_b32 exec_lo, exec_lo, s11
	v_mov_b32_e32 v21, v25
	v_dual_mov_b32 v10, v55 :: v_dual_and_b32 v11, v53, v50
	v_dual_mov_b32 v22, v26 :: v_dual_and_b32 v15, v55, v50
	s_mov_b32 s11, exec_lo
	s_delay_alu instid0(VALU_DEP_1)
	v_cmpx_gt_i16_e64 v15, v11
; %bb.52:
	v_dual_mov_b32 v10, v53 :: v_dual_mov_b32 v21, v27
	v_mov_b32_e32 v22, v28
	v_dual_mov_b32 v28, v26 :: v_dual_mov_b32 v53, v55
	v_mov_b32_e32 v27, v25
; %bb.53:
	s_wait_alu 0xfffe
	s_or_b32 exec_lo, exec_lo, s11
	v_dual_mov_b32 v15, v17 :: v_dual_mov_b32 v48, v51
	v_dual_mov_b32 v16, v18 :: v_dual_and_b32 v11, v52, v50
	v_and_b32_e32 v23, v51, v50
	s_mov_b32 s11, exec_lo
	s_delay_alu instid0(VALU_DEP_1)
	v_cmpx_gt_i16_e64 v23, v11
; %bb.54:
	v_dual_mov_b32 v15, v19 :: v_dual_mov_b32 v16, v20
	v_dual_mov_b32 v20, v18 :: v_dual_mov_b32 v19, v17
	v_mov_b32_e32 v48, v52
	v_mov_b32_e32 v52, v51
; %bb.55:
	s_wait_alu 0xfffe
	s_or_b32 exec_lo, exec_lo, s11
	v_mov_b32_e32 v23, v31
	v_dual_mov_b32 v24, v32 :: v_dual_and_b32 v11, v39, v50
	v_and_b32_e32 v17, v37, v50
	v_mov_b32_e32 v51, v39
	s_mov_b32 s11, exec_lo
	s_delay_alu instid0(VALU_DEP_2)
	v_cmpx_gt_i16_e64 v17, v11
; %bb.56:
	v_dual_mov_b32 v51, v37 :: v_dual_mov_b32 v24, v5
	v_mov_b32_e32 v37, v39
	v_dual_mov_b32 v23, v4 :: v_dual_mov_b32 v4, v31
	v_mov_b32_e32 v5, v32
; %bb.57:
	s_wait_alu 0xfffe
	s_or_b32 exec_lo, exec_lo, s11
	v_dual_mov_b32 v32, v28 :: v_dual_and_b32 v11, v10, v50
	v_and_b32_e32 v17, v49, v50
	v_mov_b32_e32 v39, v10
	v_mov_b32_e32 v31, v27
	s_mov_b32 s11, exec_lo
	s_delay_alu instid0(VALU_DEP_3)
	v_cmpx_gt_i16_e64 v17, v11
; %bb.58:
	v_dual_mov_b32 v39, v49 :: v_dual_mov_b32 v32, v30
	v_mov_b32_e32 v49, v10
	v_dual_mov_b32 v31, v29 :: v_dual_mov_b32 v30, v28
	v_mov_b32_e32 v29, v27
; %bb.59:
	s_wait_alu 0xfffe
	s_or_b32 exec_lo, exec_lo, s11
	v_dual_mov_b32 v17, v19 :: v_dual_and_b32 v10, v48, v50
	v_dual_mov_b32 v18, v20 :: v_dual_and_b32 v11, v53, v50
	v_mov_b32_e32 v54, v53
	s_mov_b32 s11, exec_lo
	s_delay_alu instid0(VALU_DEP_2)
	v_cmpx_gt_i16_e64 v11, v10
; %bb.60:
	v_dual_mov_b32 v17, v21 :: v_dual_mov_b32 v18, v22
	v_dual_mov_b32 v22, v20 :: v_dual_mov_b32 v21, v19
	v_mov_b32_e32 v54, v48
	v_mov_b32_e32 v48, v53
; %bb.61:
	s_wait_alu 0xfffe
	s_or_b32 exec_lo, exec_lo, s11
	v_dual_mov_b32 v11, v9 :: v_dual_and_b32 v20, v52, v50
	v_dual_mov_b32 v10, v8 :: v_dual_and_b32 v19, v38, v50
	v_mov_b32_e32 v53, v52
	s_mov_b32 s11, exec_lo
	s_delay_alu instid0(VALU_DEP_2)
	v_cmpx_gt_i16_e64 v20, v19
; %bb.62:
	v_dual_mov_b32 v10, v15 :: v_dual_mov_b32 v11, v16
	v_dual_mov_b32 v16, v9 :: v_dual_mov_b32 v15, v8
	;; [unrolled: 1-line block ×3, first 2 shown]
; %bb.63:
	s_wait_alu 0xfffe
	s_or_b32 exec_lo, exec_lo, s11
	v_and_b32_e32 v8, v49, v50
	v_dual_mov_b32 v52, v49 :: v_dual_and_b32 v9, v51, v50
	v_dual_mov_b32 v27, v29 :: v_dual_mov_b32 v28, v30
	s_mov_b32 s11, exec_lo
	s_delay_alu instid0(VALU_DEP_2)
	v_cmpx_gt_i16_e64 v9, v8
; %bb.64:
	v_dual_mov_b32 v52, v51 :: v_dual_mov_b32 v51, v49
	v_dual_mov_b32 v28, v24 :: v_dual_mov_b32 v27, v23
	;; [unrolled: 1-line block ×3, first 2 shown]
; %bb.65:
	s_wait_alu 0xfffe
	s_or_b32 exec_lo, exec_lo, s11
	v_dual_mov_b32 v26, v22 :: v_dual_and_b32 v9, v39, v50
	v_dual_mov_b32 v29, v39 :: v_dual_and_b32 v8, v54, v50
	v_mov_b32_e32 v25, v21
	s_mov_b32 s11, exec_lo
	s_delay_alu instid0(VALU_DEP_2)
	v_cmpx_gt_i16_e64 v9, v8
; %bb.66:
	v_mov_b32_e32 v25, v31
	v_dual_mov_b32 v29, v54 :: v_dual_mov_b32 v26, v32
	v_dual_mov_b32 v32, v22 :: v_dual_mov_b32 v31, v21
	v_mov_b32_e32 v54, v39
; %bb.67:
	s_wait_alu 0xfffe
	s_or_b32 exec_lo, exec_lo, s11
	v_dual_mov_b32 v8, v15 :: v_dual_and_b32 v19, v53, v50
	v_and_b32_e32 v20, v48, v50
	v_mov_b32_e32 v9, v16
	v_mov_b32_e32 v39, v48
	s_mov_b32 s11, exec_lo
	s_delay_alu instid0(VALU_DEP_3)
	v_cmpx_gt_i16_e64 v20, v19
; %bb.68:
	v_dual_mov_b32 v8, v17 :: v_dual_mov_b32 v9, v18
	v_dual_mov_b32 v18, v16 :: v_dual_mov_b32 v17, v15
	v_mov_b32_e32 v39, v53
	v_mov_b32_e32 v53, v48
; %bb.69:
	s_wait_alu 0xfffe
	s_or_b32 exec_lo, exec_lo, s11
	v_and_b32_e32 v15, v51, v50
	v_and_b32_e32 v16, v37, v50
	v_mov_b32_e32 v48, v51
	s_delay_alu instid0(VALU_DEP_2)
	v_cmp_gt_i16_e64 s7, v16, v15
	v_dual_mov_b32 v15, v23 :: v_dual_mov_b32 v16, v24
	s_and_saveexec_b32 s11, s7
; %bb.70:
	v_dual_mov_b32 v48, v37 :: v_dual_mov_b32 v37, v51
	v_dual_mov_b32 v16, v5 :: v_dual_mov_b32 v15, v4
	;; [unrolled: 1-line block ×3, first 2 shown]
; %bb.71:
	s_wait_alu 0xfffe
	s_or_b32 exec_lo, exec_lo, s11
	v_and_b32_e32 v19, v29, v50
	v_dual_mov_b32 v55, v29 :: v_dual_and_b32 v20, v52, v50
	s_delay_alu instid0(VALU_DEP_1)
	v_cmp_gt_i16_e64 s7, v20, v19
	v_dual_mov_b32 v19, v31 :: v_dual_mov_b32 v20, v32
	s_and_saveexec_b32 s11, s7
; %bb.72:
	v_dual_mov_b32 v55, v52 :: v_dual_mov_b32 v52, v29
	v_dual_mov_b32 v19, v27 :: v_dual_mov_b32 v20, v28
	;; [unrolled: 1-line block ×3, first 2 shown]
; %bb.73:
	s_wait_alu 0xfffe
	s_or_b32 exec_lo, exec_lo, s11
	v_dual_mov_b32 v30, v18 :: v_dual_and_b32 v21, v39, v50
	v_dual_mov_b32 v29, v17 :: v_dual_and_b32 v22, v54, v50
	v_mov_b32_e32 v49, v54
	s_mov_b32 s11, exec_lo
	s_delay_alu instid0(VALU_DEP_2)
	v_cmpx_gt_i16_e64 v22, v21
; %bb.74:
	v_dual_mov_b32 v30, v26 :: v_dual_mov_b32 v29, v25
	v_dual_mov_b32 v26, v18 :: v_dual_mov_b32 v25, v17
	v_mov_b32_e32 v49, v39
	v_mov_b32_e32 v39, v54
; %bb.75:
	s_wait_alu 0xfffe
	s_or_b32 exec_lo, exec_lo, s11
	v_dual_mov_b32 v24, v11 :: v_dual_and_b32 v17, v38, v50
	v_dual_mov_b32 v23, v10 :: v_dual_and_b32 v18, v53, v50
	v_mov_b32_e32 v31, v53
	s_mov_b32 s11, exec_lo
	s_delay_alu instid0(VALU_DEP_2)
	v_cmpx_gt_i16_e64 v18, v17
; %bb.76:
	v_dual_mov_b32 v24, v9 :: v_dual_mov_b32 v23, v8
	v_dual_mov_b32 v8, v10 :: v_dual_mov_b32 v9, v11
	;; [unrolled: 1-line block ×3, first 2 shown]
; %bb.77:
	s_wait_alu 0xfffe
	s_or_b32 exec_lo, exec_lo, s11
	v_dual_mov_b32 v17, v27 :: v_dual_and_b32 v10, v52, v50
	v_and_b32_e32 v11, v48, v50
	v_mov_b32_e32 v32, v52
	v_mov_b32_e32 v18, v28
	s_mov_b32 s11, exec_lo
	s_delay_alu instid0(VALU_DEP_3)
	v_cmpx_gt_i16_e64 v11, v10
; %bb.78:
	v_mov_b32_e32 v18, v16
	v_dual_mov_b32 v32, v48 :: v_dual_mov_b32 v17, v15
	v_dual_mov_b32 v48, v52 :: v_dual_mov_b32 v15, v27
	v_mov_b32_e32 v16, v28
; %bb.79:
	s_wait_alu 0xfffe
	s_or_b32 exec_lo, exec_lo, s11
	v_mov_b32_e32 v21, v25
	v_dual_mov_b32 v51, v55 :: v_dual_and_b32 v10, v49, v50
	v_dual_mov_b32 v22, v26 :: v_dual_and_b32 v11, v55, v50
	s_mov_b32 s11, exec_lo
	s_delay_alu instid0(VALU_DEP_1)
	v_cmpx_gt_i16_e64 v11, v10
; %bb.80:
	v_dual_mov_b32 v51, v49 :: v_dual_mov_b32 v22, v20
	v_mov_b32_e32 v21, v19
	v_dual_mov_b32 v19, v25 :: v_dual_mov_b32 v20, v26
	v_mov_b32_e32 v49, v55
; %bb.81:
	s_wait_alu 0xfffe
	s_or_b32 exec_lo, exec_lo, s11
	v_dual_mov_b32 v25, v29 :: v_dual_and_b32 v10, v31, v50
	v_dual_mov_b32 v26, v30 :: v_dual_and_b32 v11, v39, v50
	v_mov_b32_e32 v52, v31
	s_mov_b32 s11, exec_lo
	s_delay_alu instid0(VALU_DEP_2)
	v_cmpx_gt_i16_e64 v11, v10
; %bb.82:
	v_dual_mov_b32 v52, v39 :: v_dual_mov_b32 v39, v31
	v_dual_mov_b32 v26, v9 :: v_dual_mov_b32 v25, v8
	;; [unrolled: 1-line block ×3, first 2 shown]
; %bb.83:
	s_wait_alu 0xfffe
	s_or_b32 exec_lo, exec_lo, s11
.LBB1029_84:
	s_wait_alu 0xfffe
	s_or_b32 exec_lo, exec_lo, s10
	v_and_b32_e32 v10, 0xffffff00, v12
	v_or_b32_e32 v11, 8, v35
	v_and_b32_e32 v28, 8, v35
	v_and_b32_e32 v65, 0xf0, v35
	s_wait_loadcnt_dscnt 0x0
	v_perm_b32 v69, v38, v52, 0x5040100
	v_sub_nc_u32_e64 v27, 0x800, v10 clamp
	v_lshlrev_b32_e32 v12, 1, v10
	v_perm_b32 v68, v39, v49, 0x5040100
	v_perm_b32 v71, v51, v32, 0x5040100
	;; [unrolled: 1-line block ×3, first 2 shown]
	v_min_u32_e32 v53, v27, v11
	v_mad_co_u64_u32 v[10:11], null, v10, 6, v[12:13]
	v_min_u32_e32 v66, v27, v28
	v_lshl_or_b32 v55, v65, 1, v12
	s_delay_alu instid0(VALU_DEP_4) | instskip(SKIP_3) | instid1(VALU_DEP_3)
	v_add_nc_u32_e32 v11, 8, v53
	v_sub_nc_u32_e32 v28, v53, v65
	s_mov_b32 s10, exec_lo
	v_lshl_add_u32 v80, v35, 3, v10
	v_min_u32_e32 v54, v27, v11
	v_lshl_or_b32 v11, v35, 1, v12
	v_min_u32_e32 v67, v66, v28
	s_delay_alu instid0(VALU_DEP_4) | instskip(NEXT) | instid1(VALU_DEP_4)
	v_add_nc_u32_e32 v30, 0x1010, v80
	v_sub_nc_u32_e32 v29, v54, v53
	v_add_nc_u32_e32 v31, 0x1020, v80
	v_add_nc_u32_e32 v28, 0x1030, v80
	s_delay_alu instid0(VALU_DEP_3)
	v_sub_nc_u32_e64 v64, v66, v29 clamp
	v_add_nc_u32_e32 v29, 0x1000, v80
	ds_store_2addr_b64 v30, v[17:18], v[19:20] offset1:1
	ds_store_2addr_b64 v31, v[21:22], v[25:26] offset1:1
	;; [unrolled: 1-line block ×5, first 2 shown]
	; wave barrier
	v_cmpx_lt_u32_e64 v64, v67
	s_cbranch_execz .LBB1029_88
; %bb.85:
	v_lshlrev_b32_e32 v68, 1, v53
	v_lshlrev_b32_e32 v69, 1, v66
	s_mov_b32 s11, 0
	s_delay_alu instid0(VALU_DEP_1)
	v_add3_u32 v68, v12, v68, v69
.LBB1029_86:                            ; =>This Inner Loop Header: Depth=1
	v_add_nc_u32_e32 v69, v67, v64
	s_delay_alu instid0(VALU_DEP_1) | instskip(SKIP_1) | instid1(VALU_DEP_2)
	v_lshrrev_b32_e32 v70, 1, v69
	v_and_b32_e32 v69, -2, v69
	v_not_b32_e32 v71, v70
	s_delay_alu instid0(VALU_DEP_2) | instskip(SKIP_1) | instid1(VALU_DEP_3)
	v_add_nc_u32_e32 v69, v55, v69
	v_add_nc_u32_e32 v80, 1, v70
	v_lshl_add_u32 v71, v71, 1, v68
	ds_load_u16 v69, v69
	ds_load_u16 v71, v71
	s_wait_dscnt 0x1
	v_and_b32_e32 v69, v69, v50
	s_wait_dscnt 0x0
	v_and_b32_e32 v71, v71, v50
	s_delay_alu instid0(VALU_DEP_1) | instskip(SKIP_1) | instid1(VALU_DEP_1)
	v_cmp_gt_i16_e64 s7, v69, v71
	s_wait_alu 0xf1ff
	v_cndmask_b32_e64 v67, v67, v70, s7
	v_cndmask_b32_e64 v64, v80, v64, s7
	s_delay_alu instid0(VALU_DEP_1)
	v_cmp_ge_u32_e64 s7, v64, v67
	s_wait_alu 0xfffe
	s_or_b32 s11, s7, s11
	s_wait_alu 0xfffe
	s_and_not1_b32 exec_lo, exec_lo, s11
	s_cbranch_execnz .LBB1029_86
; %bb.87:
	s_or_b32 exec_lo, exec_lo, s11
.LBB1029_88:
	s_wait_alu 0xfffe
	s_or_b32 exec_lo, exec_lo, s10
	v_add_nc_u32_e32 v67, v53, v66
	v_add_nc_u32_e32 v66, v64, v65
	s_delay_alu instid0(VALU_DEP_2) | instskip(NEXT) | instid1(VALU_DEP_2)
	v_sub_nc_u32_e32 v65, v67, v64
	v_cmp_le_u32_e64 s7, v66, v53
	s_delay_alu instid0(VALU_DEP_2)
	v_cmp_le_u32_e64 s10, v65, v54
	s_or_b32 s7, s7, s10
	s_wait_alu 0xfffe
	s_and_saveexec_b32 s20, s7
	s_cbranch_execz .LBB1029_94
; %bb.89:
	v_cmp_lt_u32_e64 s7, v66, v53
                                        ; implicit-def: $vgpr32
	s_and_saveexec_b32 s10, s7
; %bb.90:
	v_lshl_add_u32 v4, v64, 1, v55
	ds_load_u16 v32, v4
; %bb.91:
	s_wait_alu 0xfffe
	s_or_b32 exec_lo, exec_lo, s10
	v_cmp_ge_u32_e64 s10, v65, v54
	s_mov_b32 s12, exec_lo
                                        ; implicit-def: $vgpr37
	v_cmpx_lt_u32_e64 v65, v54
; %bb.92:
	v_lshl_add_u32 v4, v65, 1, v12
	ds_load_u16 v37, v4
; %bb.93:
	s_wait_alu 0xfffe
	s_or_b32 exec_lo, exec_lo, s12
	s_wait_dscnt 0x0
	v_and_b32_e32 v4, v37, v50
	v_and_b32_e32 v5, v32, v50
	s_delay_alu instid0(VALU_DEP_1)
	v_cmp_le_i16_e64 s11, v5, v4
	s_and_b32 s7, s7, s11
	s_wait_alu 0xfffe
	s_or_b32 s7, s10, s7
	s_wait_alu 0xfffe
	v_cndmask_b32_e64 v4, v65, v66, s7
	v_cndmask_b32_e64 v5, v54, v53, s7
	s_delay_alu instid0(VALU_DEP_2) | instskip(NEXT) | instid1(VALU_DEP_2)
	v_add_nc_u32_e32 v8, 1, v4
	v_add_nc_u32_e32 v5, -1, v5
	v_lshl_add_u32 v4, v4, 3, v10
	s_delay_alu instid0(VALU_DEP_2) | instskip(NEXT) | instid1(VALU_DEP_1)
	v_min_u32_e32 v5, v8, v5
	v_lshl_add_u32 v5, v5, 1, v12
	ds_load_u16 v5, v5
	s_wait_dscnt 0x0
	v_cndmask_b32_e64 v38, v5, v37, s7
	v_cndmask_b32_e64 v39, v32, v5, s7
	;; [unrolled: 1-line block ×5, first 2 shown]
	v_and_b32_e32 v9, v38, v50
	v_and_b32_e32 v15, v39, v50
	v_cmp_lt_u32_e64 s10, v5, v53
	v_cmp_ge_u32_e64 s12, v8, v54
	s_delay_alu instid0(VALU_DEP_3)
	v_cmp_le_i16_e64 s11, v15, v9
	s_and_b32 s10, s10, s11
	s_wait_alu 0xfffe
	s_or_b32 s10, s12, s10
	s_wait_alu 0xfffe
	v_cndmask_b32_e64 v9, v8, v5, s10
	v_cndmask_b32_e64 v15, v54, v53, s10
	s_delay_alu instid0(VALU_DEP_2) | instskip(NEXT) | instid1(VALU_DEP_2)
	v_add_nc_u32_e32 v16, 1, v9
	v_add_nc_u32_e32 v15, -1, v15
	v_lshl_add_u32 v9, v9, 3, v10
	s_delay_alu instid0(VALU_DEP_3) | instskip(NEXT) | instid1(VALU_DEP_3)
	v_cndmask_b32_e64 v5, v5, v16, s10
	v_min_u32_e32 v15, v16, v15
	v_cndmask_b32_e64 v8, v16, v8, s10
	s_delay_alu instid0(VALU_DEP_3) | instskip(NEXT) | instid1(VALU_DEP_3)
	v_cmp_lt_u32_e64 s11, v5, v53
	v_lshl_add_u32 v15, v15, 1, v12
	s_delay_alu instid0(VALU_DEP_3) | instskip(SKIP_4) | instid1(VALU_DEP_2)
	v_cmp_ge_u32_e64 s13, v8, v54
	ds_load_u16 v15, v15
	s_wait_dscnt 0x0
	v_cndmask_b32_e64 v49, v15, v38, s10
	v_cndmask_b32_e64 v51, v39, v15, s10
	v_and_b32_e32 v15, v49, v50
	s_delay_alu instid0(VALU_DEP_2) | instskip(NEXT) | instid1(VALU_DEP_1)
	v_and_b32_e32 v17, v51, v50
	v_cmp_le_i16_e64 s12, v17, v15
	s_and_b32 s11, s11, s12
	s_wait_alu 0xfffe
	s_or_b32 s11, s13, s11
	s_wait_alu 0xfffe
	v_cndmask_b32_e64 v15, v8, v5, s11
	v_cndmask_b32_e64 v16, v54, v53, s11
	v_cndmask_b32_e64 v32, v49, v51, s11
	s_delay_alu instid0(VALU_DEP_3) | instskip(NEXT) | instid1(VALU_DEP_3)
	v_add_nc_u32_e32 v17, 1, v15
	v_add_nc_u32_e32 v16, -1, v16
	s_delay_alu instid0(VALU_DEP_2) | instskip(NEXT) | instid1(VALU_DEP_2)
	v_cndmask_b32_e64 v5, v5, v17, s11
	v_min_u32_e32 v16, v17, v16
	v_cndmask_b32_e64 v8, v17, v8, s11
	s_delay_alu instid0(VALU_DEP_3) | instskip(NEXT) | instid1(VALU_DEP_3)
	v_cmp_lt_u32_e64 s12, v5, v53
	v_lshl_add_u32 v16, v16, 1, v12
	s_delay_alu instid0(VALU_DEP_3) | instskip(SKIP_4) | instid1(VALU_DEP_2)
	v_cmp_ge_u32_e64 s14, v8, v54
	ds_load_u16 v16, v16
	s_wait_dscnt 0x0
	v_cndmask_b32_e64 v52, v16, v49, s11
	v_cndmask_b32_e64 v55, v51, v16, s11
	v_and_b32_e32 v16, v52, v50
	s_delay_alu instid0(VALU_DEP_2) | instskip(NEXT) | instid1(VALU_DEP_1)
	v_and_b32_e32 v18, v55, v50
	v_cmp_le_i16_e64 s13, v18, v16
	s_and_b32 s12, s12, s13
	s_wait_alu 0xfffe
	s_or_b32 s12, s14, s12
	s_wait_alu 0xfffe
	v_cndmask_b32_e64 v19, v8, v5, s12
	v_cndmask_b32_e64 v16, v54, v53, s12
	v_cndmask_b32_e64 v51, v52, v55, s12
	s_delay_alu instid0(VALU_DEP_3) | instskip(NEXT) | instid1(VALU_DEP_3)
	v_add_nc_u32_e32 v17, 1, v19
	v_add_nc_u32_e32 v16, -1, v16
	s_delay_alu instid0(VALU_DEP_2) | instskip(NEXT) | instid1(VALU_DEP_2)
	;; [unrolled: 27-line block ×3, first 2 shown]
	v_cndmask_b32_e64 v5, v5, v17, s13
	v_min_u32_e32 v16, v17, v16
	v_cndmask_b32_e64 v8, v17, v8, s13
	s_delay_alu instid0(VALU_DEP_3) | instskip(NEXT) | instid1(VALU_DEP_3)
	v_cmp_lt_u32_e64 s14, v5, v53
	v_lshl_add_u32 v16, v16, 1, v12
	s_delay_alu instid0(VALU_DEP_3) | instskip(SKIP_4) | instid1(VALU_DEP_2)
	v_cmp_ge_u32_e64 s16, v8, v54
	ds_load_u16 v16, v16
	s_wait_dscnt 0x0
	v_cndmask_b32_e64 v66, v16, v64, s13
	v_cndmask_b32_e64 v67, v65, v16, s13
	v_and_b32_e32 v16, v66, v50
	s_delay_alu instid0(VALU_DEP_2) | instskip(NEXT) | instid1(VALU_DEP_1)
	v_and_b32_e32 v18, v67, v50
	v_cmp_le_i16_e64 s15, v18, v16
	s_and_b32 s14, s14, s15
	s_wait_alu 0xfffe
	s_or_b32 s14, s16, s14
	s_wait_alu 0xfffe
	v_cndmask_b32_e64 v21, v8, v5, s14
	v_cndmask_b32_e64 v16, v54, v53, s14
	s_delay_alu instid0(VALU_DEP_2) | instskip(NEXT) | instid1(VALU_DEP_2)
	v_add_nc_u32_e32 v17, 1, v21
	v_add_nc_u32_e32 v16, -1, v16
	v_lshl_add_u32 v24, v21, 3, v10
	s_delay_alu instid0(VALU_DEP_3) | instskip(NEXT) | instid1(VALU_DEP_3)
	v_cndmask_b32_e64 v5, v5, v17, s14
	v_min_u32_e32 v16, v17, v16
	v_cndmask_b32_e64 v8, v17, v8, s14
	s_delay_alu instid0(VALU_DEP_3) | instskip(NEXT) | instid1(VALU_DEP_3)
	v_cmp_lt_u32_e64 s15, v5, v53
	v_lshl_add_u32 v16, v16, 1, v12
	s_delay_alu instid0(VALU_DEP_3) | instskip(SKIP_4) | instid1(VALU_DEP_2)
	v_cmp_ge_u32_e64 s17, v8, v54
	ds_load_u16 v16, v16
	s_wait_dscnt 0x0
	v_cndmask_b32_e64 v68, v16, v66, s14
	v_cndmask_b32_e64 v69, v67, v16, s14
	v_and_b32_e32 v16, v68, v50
	s_delay_alu instid0(VALU_DEP_2) | instskip(NEXT) | instid1(VALU_DEP_1)
	v_and_b32_e32 v18, v69, v50
	v_cmp_le_i16_e64 s16, v18, v16
	s_and_b32 s15, s15, s16
	s_wait_alu 0xfffe
	s_or_b32 s15, s17, s15
	s_wait_alu 0xfffe
	v_cndmask_b32_e64 v22, v8, v5, s15
	v_cndmask_b32_e64 v16, v54, v53, s15
	;; [unrolled: 1-line block ×3, first 2 shown]
	s_delay_alu instid0(VALU_DEP_3) | instskip(NEXT) | instid1(VALU_DEP_3)
	v_add_nc_u32_e32 v17, 1, v22
	v_add_nc_u32_e32 v16, -1, v16
	v_lshl_add_u32 v48, v22, 3, v10
	s_delay_alu instid0(VALU_DEP_3) | instskip(NEXT) | instid1(VALU_DEP_3)
	v_cndmask_b32_e64 v23, v5, v17, s15
	v_min_u32_e32 v16, v17, v16
	v_cndmask_b32_e64 v8, v17, v8, s15
	v_lshl_add_u32 v17, v15, 3, v10
	s_delay_alu instid0(VALU_DEP_4) | instskip(NEXT) | instid1(VALU_DEP_4)
	v_cmp_lt_u32_e64 s16, v23, v53
	v_lshl_add_u32 v16, v16, 1, v12
	s_delay_alu instid0(VALU_DEP_4) | instskip(SKIP_4) | instid1(VALU_DEP_2)
	v_cmp_ge_u32_e64 s18, v8, v54
	ds_load_u16 v16, v16
	s_wait_dscnt 0x0
	v_cndmask_b32_e64 v70, v16, v68, s15
	v_cndmask_b32_e64 v71, v69, v16, s15
	v_and_b32_e32 v5, v70, v50
	s_delay_alu instid0(VALU_DEP_2) | instskip(NEXT) | instid1(VALU_DEP_1)
	v_and_b32_e32 v16, v71, v50
	v_cmp_le_i16_e64 s17, v16, v5
	ds_load_b64 v[4:5], v4 offset:4096
	ds_load_b64 v[15:16], v9 offset:4096
	v_lshl_add_u32 v9, v19, 3, v10
	ds_load_b64 v[17:18], v17 offset:4096
	s_and_b32 s16, s16, s17
	s_wait_alu 0xfffe
	s_or_b32 s16, s18, s16
	s_wait_alu 0xfffe
	v_cndmask_b32_e64 v8, v8, v23, s16
	v_lshl_add_u32 v23, v20, 3, v10
	s_delay_alu instid0(VALU_DEP_2)
	v_lshl_add_u32 v53, v8, 3, v10
	ds_load_b64 v[19:20], v9 offset:4096
	ds_load_b64 v[21:22], v23 offset:4096
	ds_load_b64 v[25:26], v24 offset:4096
	ds_load_b64 v[8:9], v48 offset:4096
	ds_load_b64 v[23:24], v53 offset:4096
	v_cndmask_b32_e64 v48, v38, v39, s10
	v_cndmask_b32_e64 v39, v66, v67, s14
	v_cndmask_b32_e64 v38, v70, v71, s16
.LBB1029_94:
	s_wait_alu 0xfffe
	s_or_b32 exec_lo, exec_lo, s20
	v_and_b32_e32 v65, 0xe0, v35
	v_and_b32_e32 v55, 24, v35
	v_perm_b32 v69, v38, v52, 0x5040100
	v_perm_b32 v68, v39, v49, 0x5040100
	;; [unrolled: 1-line block ×3, first 2 shown]
	v_or_b32_e32 v53, 16, v65
	v_min_u32_e32 v66, v27, v55
	v_perm_b32 v70, v48, v37, 0x5040100
	s_mov_b32 s10, exec_lo
	s_delay_alu instid0(VALU_DEP_3)
	v_min_u32_e32 v53, v27, v53
	; wave barrier
	s_wait_dscnt 0x4
	ds_store_2addr_b64 v30, v[17:18], v[19:20] offset1:1
	s_wait_dscnt 0x3
	ds_store_2addr_b64 v31, v[21:22], v[25:26] offset1:1
	ds_store_2addr_b64 v29, v[4:5], v[15:16] offset1:1
	;; [unrolled: 1-line block ×3, first 2 shown]
	s_wait_dscnt 0x4
	ds_store_2addr_b64 v28, v[8:9], v[23:24] offset1:1
	v_add_nc_u32_e32 v54, 16, v53
	v_sub_nc_u32_e32 v55, v53, v65
	; wave barrier
	s_delay_alu instid0(VALU_DEP_2) | instskip(NEXT) | instid1(VALU_DEP_2)
	v_min_u32_e32 v54, v27, v54
	v_min_u32_e32 v67, v66, v55
	s_delay_alu instid0(VALU_DEP_2) | instskip(NEXT) | instid1(VALU_DEP_1)
	v_sub_nc_u32_e32 v64, v54, v53
	v_sub_nc_u32_e64 v55, v66, v64 clamp
	v_lshl_add_u32 v64, v65, 1, v12
	s_delay_alu instid0(VALU_DEP_2)
	v_cmpx_lt_u32_e64 v55, v67
	s_cbranch_execz .LBB1029_98
; %bb.95:
	v_lshlrev_b32_e32 v68, 1, v53
	v_lshlrev_b32_e32 v69, 1, v66
	s_mov_b32 s11, 0
	s_delay_alu instid0(VALU_DEP_1)
	v_add3_u32 v68, v12, v68, v69
.LBB1029_96:                            ; =>This Inner Loop Header: Depth=1
	v_add_nc_u32_e32 v69, v67, v55
	s_delay_alu instid0(VALU_DEP_1) | instskip(SKIP_1) | instid1(VALU_DEP_2)
	v_lshrrev_b32_e32 v70, 1, v69
	v_and_b32_e32 v69, -2, v69
	v_not_b32_e32 v71, v70
	s_delay_alu instid0(VALU_DEP_2) | instskip(SKIP_1) | instid1(VALU_DEP_3)
	v_add_nc_u32_e32 v69, v64, v69
	v_add_nc_u32_e32 v80, 1, v70
	v_lshl_add_u32 v71, v71, 1, v68
	ds_load_u16 v69, v69
	ds_load_u16 v71, v71
	s_wait_dscnt 0x1
	v_and_b32_e32 v69, v69, v50
	s_wait_dscnt 0x0
	v_and_b32_e32 v71, v71, v50
	s_delay_alu instid0(VALU_DEP_1) | instskip(SKIP_1) | instid1(VALU_DEP_1)
	v_cmp_gt_i16_e64 s7, v69, v71
	s_wait_alu 0xf1ff
	v_cndmask_b32_e64 v67, v67, v70, s7
	v_cndmask_b32_e64 v55, v80, v55, s7
	s_delay_alu instid0(VALU_DEP_1)
	v_cmp_ge_u32_e64 s7, v55, v67
	s_wait_alu 0xfffe
	s_or_b32 s11, s7, s11
	s_wait_alu 0xfffe
	s_and_not1_b32 exec_lo, exec_lo, s11
	s_cbranch_execnz .LBB1029_96
; %bb.97:
	s_or_b32 exec_lo, exec_lo, s11
.LBB1029_98:
	s_wait_alu 0xfffe
	s_or_b32 exec_lo, exec_lo, s10
	v_add_nc_u32_e32 v67, v53, v66
	v_add_nc_u32_e32 v66, v55, v65
	s_delay_alu instid0(VALU_DEP_2) | instskip(NEXT) | instid1(VALU_DEP_2)
	v_sub_nc_u32_e32 v65, v67, v55
	v_cmp_le_u32_e64 s7, v66, v53
	s_delay_alu instid0(VALU_DEP_2)
	v_cmp_le_u32_e64 s10, v65, v54
	s_or_b32 s7, s7, s10
	s_wait_alu 0xfffe
	s_and_saveexec_b32 s20, s7
	s_cbranch_execz .LBB1029_104
; %bb.99:
	v_cmp_lt_u32_e64 s7, v66, v53
                                        ; implicit-def: $vgpr32
	s_and_saveexec_b32 s10, s7
; %bb.100:
	v_lshl_add_u32 v4, v55, 1, v64
	ds_load_u16 v32, v4
; %bb.101:
	s_wait_alu 0xfffe
	s_or_b32 exec_lo, exec_lo, s10
	v_cmp_ge_u32_e64 s10, v65, v54
	s_mov_b32 s12, exec_lo
                                        ; implicit-def: $vgpr37
	v_cmpx_lt_u32_e64 v65, v54
; %bb.102:
	v_lshl_add_u32 v4, v65, 1, v12
	ds_load_u16 v37, v4
; %bb.103:
	s_wait_alu 0xfffe
	s_or_b32 exec_lo, exec_lo, s12
	s_wait_dscnt 0x0
	v_and_b32_e32 v4, v37, v50
	v_and_b32_e32 v5, v32, v50
	s_delay_alu instid0(VALU_DEP_1)
	v_cmp_le_i16_e64 s11, v5, v4
	s_and_b32 s7, s7, s11
	s_wait_alu 0xfffe
	s_or_b32 s7, s10, s7
	s_wait_alu 0xfffe
	v_cndmask_b32_e64 v4, v65, v66, s7
	v_cndmask_b32_e64 v5, v54, v53, s7
	s_delay_alu instid0(VALU_DEP_2) | instskip(NEXT) | instid1(VALU_DEP_2)
	v_add_nc_u32_e32 v8, 1, v4
	v_add_nc_u32_e32 v5, -1, v5
	v_lshl_add_u32 v4, v4, 3, v10
	s_delay_alu instid0(VALU_DEP_2) | instskip(NEXT) | instid1(VALU_DEP_1)
	v_min_u32_e32 v5, v8, v5
	v_lshl_add_u32 v5, v5, 1, v12
	ds_load_u16 v5, v5
	s_wait_dscnt 0x0
	v_cndmask_b32_e64 v38, v5, v37, s7
	v_cndmask_b32_e64 v39, v32, v5, s7
	v_cndmask_b32_e64 v5, v66, v8, s7
	v_cndmask_b32_e64 v8, v8, v65, s7
	v_cndmask_b32_e64 v37, v37, v32, s7
	v_and_b32_e32 v9, v38, v50
	v_and_b32_e32 v15, v39, v50
	v_cmp_lt_u32_e64 s10, v5, v53
	v_cmp_ge_u32_e64 s12, v8, v54
	s_delay_alu instid0(VALU_DEP_3)
	v_cmp_le_i16_e64 s11, v15, v9
	s_and_b32 s10, s10, s11
	s_wait_alu 0xfffe
	s_or_b32 s10, s12, s10
	s_wait_alu 0xfffe
	v_cndmask_b32_e64 v9, v8, v5, s10
	v_cndmask_b32_e64 v15, v54, v53, s10
	s_delay_alu instid0(VALU_DEP_2) | instskip(NEXT) | instid1(VALU_DEP_2)
	v_add_nc_u32_e32 v16, 1, v9
	v_add_nc_u32_e32 v15, -1, v15
	v_lshl_add_u32 v9, v9, 3, v10
	s_delay_alu instid0(VALU_DEP_3) | instskip(NEXT) | instid1(VALU_DEP_3)
	v_cndmask_b32_e64 v5, v5, v16, s10
	v_min_u32_e32 v15, v16, v15
	v_cndmask_b32_e64 v8, v16, v8, s10
	s_delay_alu instid0(VALU_DEP_3) | instskip(NEXT) | instid1(VALU_DEP_3)
	v_cmp_lt_u32_e64 s11, v5, v53
	v_lshl_add_u32 v15, v15, 1, v12
	s_delay_alu instid0(VALU_DEP_3) | instskip(SKIP_4) | instid1(VALU_DEP_2)
	v_cmp_ge_u32_e64 s13, v8, v54
	ds_load_u16 v15, v15
	s_wait_dscnt 0x0
	v_cndmask_b32_e64 v49, v15, v38, s10
	v_cndmask_b32_e64 v51, v39, v15, s10
	v_and_b32_e32 v15, v49, v50
	s_delay_alu instid0(VALU_DEP_2) | instskip(NEXT) | instid1(VALU_DEP_1)
	v_and_b32_e32 v17, v51, v50
	v_cmp_le_i16_e64 s12, v17, v15
	s_and_b32 s11, s11, s12
	s_wait_alu 0xfffe
	s_or_b32 s11, s13, s11
	s_wait_alu 0xfffe
	v_cndmask_b32_e64 v15, v8, v5, s11
	v_cndmask_b32_e64 v16, v54, v53, s11
	v_cndmask_b32_e64 v32, v49, v51, s11
	s_delay_alu instid0(VALU_DEP_3) | instskip(NEXT) | instid1(VALU_DEP_3)
	v_add_nc_u32_e32 v17, 1, v15
	v_add_nc_u32_e32 v16, -1, v16
	s_delay_alu instid0(VALU_DEP_2) | instskip(NEXT) | instid1(VALU_DEP_2)
	v_cndmask_b32_e64 v5, v5, v17, s11
	v_min_u32_e32 v16, v17, v16
	v_cndmask_b32_e64 v8, v17, v8, s11
	s_delay_alu instid0(VALU_DEP_3) | instskip(NEXT) | instid1(VALU_DEP_3)
	v_cmp_lt_u32_e64 s12, v5, v53
	v_lshl_add_u32 v16, v16, 1, v12
	s_delay_alu instid0(VALU_DEP_3) | instskip(SKIP_4) | instid1(VALU_DEP_2)
	v_cmp_ge_u32_e64 s14, v8, v54
	ds_load_u16 v16, v16
	s_wait_dscnt 0x0
	v_cndmask_b32_e64 v52, v16, v49, s11
	v_cndmask_b32_e64 v55, v51, v16, s11
	v_and_b32_e32 v16, v52, v50
	s_delay_alu instid0(VALU_DEP_2) | instskip(NEXT) | instid1(VALU_DEP_1)
	v_and_b32_e32 v18, v55, v50
	v_cmp_le_i16_e64 s13, v18, v16
	s_and_b32 s12, s12, s13
	s_wait_alu 0xfffe
	s_or_b32 s12, s14, s12
	s_wait_alu 0xfffe
	v_cndmask_b32_e64 v19, v8, v5, s12
	v_cndmask_b32_e64 v16, v54, v53, s12
	v_cndmask_b32_e64 v51, v52, v55, s12
	s_delay_alu instid0(VALU_DEP_3) | instskip(NEXT) | instid1(VALU_DEP_3)
	v_add_nc_u32_e32 v17, 1, v19
	v_add_nc_u32_e32 v16, -1, v16
	s_delay_alu instid0(VALU_DEP_2) | instskip(NEXT) | instid1(VALU_DEP_2)
	;; [unrolled: 27-line block ×3, first 2 shown]
	v_cndmask_b32_e64 v5, v5, v17, s13
	v_min_u32_e32 v16, v17, v16
	v_cndmask_b32_e64 v8, v17, v8, s13
	s_delay_alu instid0(VALU_DEP_3) | instskip(NEXT) | instid1(VALU_DEP_3)
	v_cmp_lt_u32_e64 s14, v5, v53
	v_lshl_add_u32 v16, v16, 1, v12
	s_delay_alu instid0(VALU_DEP_3) | instskip(SKIP_4) | instid1(VALU_DEP_2)
	v_cmp_ge_u32_e64 s16, v8, v54
	ds_load_u16 v16, v16
	s_wait_dscnt 0x0
	v_cndmask_b32_e64 v66, v16, v64, s13
	v_cndmask_b32_e64 v67, v65, v16, s13
	v_and_b32_e32 v16, v66, v50
	s_delay_alu instid0(VALU_DEP_2) | instskip(NEXT) | instid1(VALU_DEP_1)
	v_and_b32_e32 v18, v67, v50
	v_cmp_le_i16_e64 s15, v18, v16
	s_and_b32 s14, s14, s15
	s_wait_alu 0xfffe
	s_or_b32 s14, s16, s14
	s_wait_alu 0xfffe
	v_cndmask_b32_e64 v21, v8, v5, s14
	v_cndmask_b32_e64 v16, v54, v53, s14
	s_delay_alu instid0(VALU_DEP_2) | instskip(NEXT) | instid1(VALU_DEP_2)
	v_add_nc_u32_e32 v17, 1, v21
	v_add_nc_u32_e32 v16, -1, v16
	v_lshl_add_u32 v24, v21, 3, v10
	s_delay_alu instid0(VALU_DEP_3) | instskip(NEXT) | instid1(VALU_DEP_3)
	v_cndmask_b32_e64 v5, v5, v17, s14
	v_min_u32_e32 v16, v17, v16
	v_cndmask_b32_e64 v8, v17, v8, s14
	s_delay_alu instid0(VALU_DEP_3) | instskip(NEXT) | instid1(VALU_DEP_3)
	v_cmp_lt_u32_e64 s15, v5, v53
	v_lshl_add_u32 v16, v16, 1, v12
	s_delay_alu instid0(VALU_DEP_3) | instskip(SKIP_4) | instid1(VALU_DEP_2)
	v_cmp_ge_u32_e64 s17, v8, v54
	ds_load_u16 v16, v16
	s_wait_dscnt 0x0
	v_cndmask_b32_e64 v68, v16, v66, s14
	v_cndmask_b32_e64 v69, v67, v16, s14
	v_and_b32_e32 v16, v68, v50
	s_delay_alu instid0(VALU_DEP_2) | instskip(NEXT) | instid1(VALU_DEP_1)
	v_and_b32_e32 v18, v69, v50
	v_cmp_le_i16_e64 s16, v18, v16
	s_and_b32 s15, s15, s16
	s_wait_alu 0xfffe
	s_or_b32 s15, s17, s15
	s_wait_alu 0xfffe
	v_cndmask_b32_e64 v22, v8, v5, s15
	v_cndmask_b32_e64 v16, v54, v53, s15
	;; [unrolled: 1-line block ×3, first 2 shown]
	s_delay_alu instid0(VALU_DEP_3) | instskip(NEXT) | instid1(VALU_DEP_3)
	v_add_nc_u32_e32 v17, 1, v22
	v_add_nc_u32_e32 v16, -1, v16
	v_lshl_add_u32 v48, v22, 3, v10
	s_delay_alu instid0(VALU_DEP_3) | instskip(NEXT) | instid1(VALU_DEP_3)
	v_cndmask_b32_e64 v23, v5, v17, s15
	v_min_u32_e32 v16, v17, v16
	v_cndmask_b32_e64 v8, v17, v8, s15
	v_lshl_add_u32 v17, v15, 3, v10
	s_delay_alu instid0(VALU_DEP_4) | instskip(NEXT) | instid1(VALU_DEP_4)
	v_cmp_lt_u32_e64 s16, v23, v53
	v_lshl_add_u32 v16, v16, 1, v12
	s_delay_alu instid0(VALU_DEP_4) | instskip(SKIP_4) | instid1(VALU_DEP_2)
	v_cmp_ge_u32_e64 s18, v8, v54
	ds_load_u16 v16, v16
	s_wait_dscnt 0x0
	v_cndmask_b32_e64 v70, v16, v68, s15
	v_cndmask_b32_e64 v71, v69, v16, s15
	v_and_b32_e32 v5, v70, v50
	s_delay_alu instid0(VALU_DEP_2) | instskip(NEXT) | instid1(VALU_DEP_1)
	v_and_b32_e32 v16, v71, v50
	v_cmp_le_i16_e64 s17, v16, v5
	ds_load_b64 v[4:5], v4 offset:4096
	ds_load_b64 v[15:16], v9 offset:4096
	v_lshl_add_u32 v9, v19, 3, v10
	ds_load_b64 v[17:18], v17 offset:4096
	s_and_b32 s16, s16, s17
	s_wait_alu 0xfffe
	s_or_b32 s16, s18, s16
	s_wait_alu 0xfffe
	v_cndmask_b32_e64 v8, v8, v23, s16
	v_lshl_add_u32 v23, v20, 3, v10
	s_delay_alu instid0(VALU_DEP_2)
	v_lshl_add_u32 v53, v8, 3, v10
	ds_load_b64 v[19:20], v9 offset:4096
	ds_load_b64 v[21:22], v23 offset:4096
	;; [unrolled: 1-line block ×5, first 2 shown]
	v_cndmask_b32_e64 v48, v38, v39, s10
	v_cndmask_b32_e64 v39, v66, v67, s14
	;; [unrolled: 1-line block ×3, first 2 shown]
.LBB1029_104:
	s_wait_alu 0xfffe
	s_or_b32 exec_lo, exec_lo, s20
	v_and_b32_e32 v65, 0xc0, v35
	v_and_b32_e32 v55, 56, v35
	v_perm_b32 v69, v38, v52, 0x5040100
	v_perm_b32 v68, v39, v49, 0x5040100
	;; [unrolled: 1-line block ×3, first 2 shown]
	v_or_b32_e32 v53, 32, v65
	v_min_u32_e32 v66, v27, v55
	v_perm_b32 v70, v48, v37, 0x5040100
	s_mov_b32 s10, exec_lo
	s_delay_alu instid0(VALU_DEP_3)
	v_min_u32_e32 v53, v27, v53
	; wave barrier
	s_wait_dscnt 0x4
	ds_store_2addr_b64 v30, v[17:18], v[19:20] offset1:1
	s_wait_dscnt 0x3
	ds_store_2addr_b64 v31, v[21:22], v[25:26] offset1:1
	ds_store_2addr_b64 v29, v[4:5], v[15:16] offset1:1
	;; [unrolled: 1-line block ×3, first 2 shown]
	s_wait_dscnt 0x4
	ds_store_2addr_b64 v28, v[8:9], v[23:24] offset1:1
	v_add_nc_u32_e32 v54, 32, v53
	v_sub_nc_u32_e32 v55, v53, v65
	; wave barrier
	s_delay_alu instid0(VALU_DEP_2) | instskip(NEXT) | instid1(VALU_DEP_2)
	v_min_u32_e32 v54, v27, v54
	v_min_u32_e32 v67, v66, v55
	s_delay_alu instid0(VALU_DEP_2) | instskip(NEXT) | instid1(VALU_DEP_1)
	v_sub_nc_u32_e32 v64, v54, v53
	v_sub_nc_u32_e64 v55, v66, v64 clamp
	v_lshl_add_u32 v64, v65, 1, v12
	s_delay_alu instid0(VALU_DEP_2)
	v_cmpx_lt_u32_e64 v55, v67
	s_cbranch_execz .LBB1029_108
; %bb.105:
	v_lshlrev_b32_e32 v68, 1, v53
	v_lshlrev_b32_e32 v69, 1, v66
	s_mov_b32 s11, 0
	s_delay_alu instid0(VALU_DEP_1)
	v_add3_u32 v68, v12, v68, v69
.LBB1029_106:                           ; =>This Inner Loop Header: Depth=1
	v_add_nc_u32_e32 v69, v67, v55
	s_delay_alu instid0(VALU_DEP_1) | instskip(SKIP_1) | instid1(VALU_DEP_2)
	v_lshrrev_b32_e32 v70, 1, v69
	v_and_b32_e32 v69, -2, v69
	v_not_b32_e32 v71, v70
	s_delay_alu instid0(VALU_DEP_2) | instskip(SKIP_1) | instid1(VALU_DEP_3)
	v_add_nc_u32_e32 v69, v64, v69
	v_add_nc_u32_e32 v80, 1, v70
	v_lshl_add_u32 v71, v71, 1, v68
	ds_load_u16 v69, v69
	ds_load_u16 v71, v71
	s_wait_dscnt 0x1
	v_and_b32_e32 v69, v69, v50
	s_wait_dscnt 0x0
	v_and_b32_e32 v71, v71, v50
	s_delay_alu instid0(VALU_DEP_1) | instskip(SKIP_1) | instid1(VALU_DEP_1)
	v_cmp_gt_i16_e64 s7, v69, v71
	s_wait_alu 0xf1ff
	v_cndmask_b32_e64 v67, v67, v70, s7
	v_cndmask_b32_e64 v55, v80, v55, s7
	s_delay_alu instid0(VALU_DEP_1)
	v_cmp_ge_u32_e64 s7, v55, v67
	s_wait_alu 0xfffe
	s_or_b32 s11, s7, s11
	s_wait_alu 0xfffe
	s_and_not1_b32 exec_lo, exec_lo, s11
	s_cbranch_execnz .LBB1029_106
; %bb.107:
	s_or_b32 exec_lo, exec_lo, s11
.LBB1029_108:
	s_wait_alu 0xfffe
	s_or_b32 exec_lo, exec_lo, s10
	v_add_nc_u32_e32 v67, v53, v66
	v_add_nc_u32_e32 v66, v55, v65
	s_delay_alu instid0(VALU_DEP_2) | instskip(NEXT) | instid1(VALU_DEP_2)
	v_sub_nc_u32_e32 v65, v67, v55
	v_cmp_le_u32_e64 s7, v66, v53
	s_delay_alu instid0(VALU_DEP_2)
	v_cmp_le_u32_e64 s10, v65, v54
	s_or_b32 s7, s7, s10
	s_wait_alu 0xfffe
	s_and_saveexec_b32 s20, s7
	s_cbranch_execz .LBB1029_114
; %bb.109:
	v_cmp_lt_u32_e64 s7, v66, v53
                                        ; implicit-def: $vgpr32
	s_and_saveexec_b32 s10, s7
; %bb.110:
	v_lshl_add_u32 v4, v55, 1, v64
	ds_load_u16 v32, v4
; %bb.111:
	s_wait_alu 0xfffe
	s_or_b32 exec_lo, exec_lo, s10
	v_cmp_ge_u32_e64 s10, v65, v54
	s_mov_b32 s12, exec_lo
                                        ; implicit-def: $vgpr37
	v_cmpx_lt_u32_e64 v65, v54
; %bb.112:
	v_lshl_add_u32 v4, v65, 1, v12
	ds_load_u16 v37, v4
; %bb.113:
	s_wait_alu 0xfffe
	s_or_b32 exec_lo, exec_lo, s12
	s_wait_dscnt 0x0
	v_and_b32_e32 v4, v37, v50
	v_and_b32_e32 v5, v32, v50
	s_delay_alu instid0(VALU_DEP_1)
	v_cmp_le_i16_e64 s11, v5, v4
	s_and_b32 s7, s7, s11
	s_wait_alu 0xfffe
	s_or_b32 s7, s10, s7
	s_wait_alu 0xfffe
	v_cndmask_b32_e64 v4, v65, v66, s7
	v_cndmask_b32_e64 v5, v54, v53, s7
	s_delay_alu instid0(VALU_DEP_2) | instskip(NEXT) | instid1(VALU_DEP_2)
	v_add_nc_u32_e32 v8, 1, v4
	v_add_nc_u32_e32 v5, -1, v5
	v_lshl_add_u32 v4, v4, 3, v10
	s_delay_alu instid0(VALU_DEP_2) | instskip(NEXT) | instid1(VALU_DEP_1)
	v_min_u32_e32 v5, v8, v5
	v_lshl_add_u32 v5, v5, 1, v12
	ds_load_u16 v5, v5
	s_wait_dscnt 0x0
	v_cndmask_b32_e64 v38, v5, v37, s7
	v_cndmask_b32_e64 v39, v32, v5, s7
	;; [unrolled: 1-line block ×5, first 2 shown]
	v_and_b32_e32 v9, v38, v50
	v_and_b32_e32 v15, v39, v50
	v_cmp_lt_u32_e64 s10, v5, v53
	v_cmp_ge_u32_e64 s12, v8, v54
	s_delay_alu instid0(VALU_DEP_3)
	v_cmp_le_i16_e64 s11, v15, v9
	s_and_b32 s10, s10, s11
	s_wait_alu 0xfffe
	s_or_b32 s10, s12, s10
	s_wait_alu 0xfffe
	v_cndmask_b32_e64 v9, v8, v5, s10
	v_cndmask_b32_e64 v15, v54, v53, s10
	s_delay_alu instid0(VALU_DEP_2) | instskip(NEXT) | instid1(VALU_DEP_2)
	v_add_nc_u32_e32 v16, 1, v9
	v_add_nc_u32_e32 v15, -1, v15
	v_lshl_add_u32 v9, v9, 3, v10
	s_delay_alu instid0(VALU_DEP_3) | instskip(NEXT) | instid1(VALU_DEP_3)
	v_cndmask_b32_e64 v5, v5, v16, s10
	v_min_u32_e32 v15, v16, v15
	v_cndmask_b32_e64 v8, v16, v8, s10
	s_delay_alu instid0(VALU_DEP_3) | instskip(NEXT) | instid1(VALU_DEP_3)
	v_cmp_lt_u32_e64 s11, v5, v53
	v_lshl_add_u32 v15, v15, 1, v12
	s_delay_alu instid0(VALU_DEP_3) | instskip(SKIP_4) | instid1(VALU_DEP_2)
	v_cmp_ge_u32_e64 s13, v8, v54
	ds_load_u16 v15, v15
	s_wait_dscnt 0x0
	v_cndmask_b32_e64 v49, v15, v38, s10
	v_cndmask_b32_e64 v51, v39, v15, s10
	v_and_b32_e32 v15, v49, v50
	s_delay_alu instid0(VALU_DEP_2) | instskip(NEXT) | instid1(VALU_DEP_1)
	v_and_b32_e32 v17, v51, v50
	v_cmp_le_i16_e64 s12, v17, v15
	s_and_b32 s11, s11, s12
	s_wait_alu 0xfffe
	s_or_b32 s11, s13, s11
	s_wait_alu 0xfffe
	v_cndmask_b32_e64 v15, v8, v5, s11
	v_cndmask_b32_e64 v16, v54, v53, s11
	v_cndmask_b32_e64 v32, v49, v51, s11
	s_delay_alu instid0(VALU_DEP_3) | instskip(NEXT) | instid1(VALU_DEP_3)
	v_add_nc_u32_e32 v17, 1, v15
	v_add_nc_u32_e32 v16, -1, v16
	s_delay_alu instid0(VALU_DEP_2) | instskip(NEXT) | instid1(VALU_DEP_2)
	v_cndmask_b32_e64 v5, v5, v17, s11
	v_min_u32_e32 v16, v17, v16
	v_cndmask_b32_e64 v8, v17, v8, s11
	s_delay_alu instid0(VALU_DEP_3) | instskip(NEXT) | instid1(VALU_DEP_3)
	v_cmp_lt_u32_e64 s12, v5, v53
	v_lshl_add_u32 v16, v16, 1, v12
	s_delay_alu instid0(VALU_DEP_3) | instskip(SKIP_4) | instid1(VALU_DEP_2)
	v_cmp_ge_u32_e64 s14, v8, v54
	ds_load_u16 v16, v16
	s_wait_dscnt 0x0
	v_cndmask_b32_e64 v52, v16, v49, s11
	v_cndmask_b32_e64 v55, v51, v16, s11
	v_and_b32_e32 v16, v52, v50
	s_delay_alu instid0(VALU_DEP_2) | instskip(NEXT) | instid1(VALU_DEP_1)
	v_and_b32_e32 v18, v55, v50
	v_cmp_le_i16_e64 s13, v18, v16
	s_and_b32 s12, s12, s13
	s_wait_alu 0xfffe
	s_or_b32 s12, s14, s12
	s_wait_alu 0xfffe
	v_cndmask_b32_e64 v19, v8, v5, s12
	v_cndmask_b32_e64 v16, v54, v53, s12
	v_cndmask_b32_e64 v51, v52, v55, s12
	s_delay_alu instid0(VALU_DEP_3) | instskip(NEXT) | instid1(VALU_DEP_3)
	v_add_nc_u32_e32 v17, 1, v19
	v_add_nc_u32_e32 v16, -1, v16
	s_delay_alu instid0(VALU_DEP_2) | instskip(NEXT) | instid1(VALU_DEP_2)
	;; [unrolled: 27-line block ×3, first 2 shown]
	v_cndmask_b32_e64 v5, v5, v17, s13
	v_min_u32_e32 v16, v17, v16
	v_cndmask_b32_e64 v8, v17, v8, s13
	s_delay_alu instid0(VALU_DEP_3) | instskip(NEXT) | instid1(VALU_DEP_3)
	v_cmp_lt_u32_e64 s14, v5, v53
	v_lshl_add_u32 v16, v16, 1, v12
	s_delay_alu instid0(VALU_DEP_3) | instskip(SKIP_4) | instid1(VALU_DEP_2)
	v_cmp_ge_u32_e64 s16, v8, v54
	ds_load_u16 v16, v16
	s_wait_dscnt 0x0
	v_cndmask_b32_e64 v66, v16, v64, s13
	v_cndmask_b32_e64 v67, v65, v16, s13
	v_and_b32_e32 v16, v66, v50
	s_delay_alu instid0(VALU_DEP_2) | instskip(NEXT) | instid1(VALU_DEP_1)
	v_and_b32_e32 v18, v67, v50
	v_cmp_le_i16_e64 s15, v18, v16
	s_and_b32 s14, s14, s15
	s_wait_alu 0xfffe
	s_or_b32 s14, s16, s14
	s_wait_alu 0xfffe
	v_cndmask_b32_e64 v21, v8, v5, s14
	v_cndmask_b32_e64 v16, v54, v53, s14
	s_delay_alu instid0(VALU_DEP_2) | instskip(NEXT) | instid1(VALU_DEP_2)
	v_add_nc_u32_e32 v17, 1, v21
	v_add_nc_u32_e32 v16, -1, v16
	v_lshl_add_u32 v24, v21, 3, v10
	s_delay_alu instid0(VALU_DEP_3) | instskip(NEXT) | instid1(VALU_DEP_3)
	v_cndmask_b32_e64 v5, v5, v17, s14
	v_min_u32_e32 v16, v17, v16
	v_cndmask_b32_e64 v8, v17, v8, s14
	s_delay_alu instid0(VALU_DEP_3) | instskip(NEXT) | instid1(VALU_DEP_3)
	v_cmp_lt_u32_e64 s15, v5, v53
	v_lshl_add_u32 v16, v16, 1, v12
	s_delay_alu instid0(VALU_DEP_3) | instskip(SKIP_4) | instid1(VALU_DEP_2)
	v_cmp_ge_u32_e64 s17, v8, v54
	ds_load_u16 v16, v16
	s_wait_dscnt 0x0
	v_cndmask_b32_e64 v68, v16, v66, s14
	v_cndmask_b32_e64 v69, v67, v16, s14
	v_and_b32_e32 v16, v68, v50
	s_delay_alu instid0(VALU_DEP_2) | instskip(NEXT) | instid1(VALU_DEP_1)
	v_and_b32_e32 v18, v69, v50
	v_cmp_le_i16_e64 s16, v18, v16
	s_and_b32 s15, s15, s16
	s_wait_alu 0xfffe
	s_or_b32 s15, s17, s15
	s_wait_alu 0xfffe
	v_cndmask_b32_e64 v22, v8, v5, s15
	v_cndmask_b32_e64 v16, v54, v53, s15
	;; [unrolled: 1-line block ×3, first 2 shown]
	s_delay_alu instid0(VALU_DEP_3) | instskip(NEXT) | instid1(VALU_DEP_3)
	v_add_nc_u32_e32 v17, 1, v22
	v_add_nc_u32_e32 v16, -1, v16
	v_lshl_add_u32 v48, v22, 3, v10
	s_delay_alu instid0(VALU_DEP_3) | instskip(NEXT) | instid1(VALU_DEP_3)
	v_cndmask_b32_e64 v23, v5, v17, s15
	v_min_u32_e32 v16, v17, v16
	v_cndmask_b32_e64 v8, v17, v8, s15
	v_lshl_add_u32 v17, v15, 3, v10
	s_delay_alu instid0(VALU_DEP_4) | instskip(NEXT) | instid1(VALU_DEP_4)
	v_cmp_lt_u32_e64 s16, v23, v53
	v_lshl_add_u32 v16, v16, 1, v12
	s_delay_alu instid0(VALU_DEP_4) | instskip(SKIP_4) | instid1(VALU_DEP_2)
	v_cmp_ge_u32_e64 s18, v8, v54
	ds_load_u16 v16, v16
	s_wait_dscnt 0x0
	v_cndmask_b32_e64 v70, v16, v68, s15
	v_cndmask_b32_e64 v71, v69, v16, s15
	v_and_b32_e32 v5, v70, v50
	s_delay_alu instid0(VALU_DEP_2) | instskip(NEXT) | instid1(VALU_DEP_1)
	v_and_b32_e32 v16, v71, v50
	v_cmp_le_i16_e64 s17, v16, v5
	ds_load_b64 v[4:5], v4 offset:4096
	ds_load_b64 v[15:16], v9 offset:4096
	v_lshl_add_u32 v9, v19, 3, v10
	ds_load_b64 v[17:18], v17 offset:4096
	s_and_b32 s16, s16, s17
	s_wait_alu 0xfffe
	s_or_b32 s16, s18, s16
	s_wait_alu 0xfffe
	v_cndmask_b32_e64 v8, v8, v23, s16
	v_lshl_add_u32 v23, v20, 3, v10
	s_delay_alu instid0(VALU_DEP_2)
	v_lshl_add_u32 v53, v8, 3, v10
	ds_load_b64 v[19:20], v9 offset:4096
	ds_load_b64 v[21:22], v23 offset:4096
	;; [unrolled: 1-line block ×5, first 2 shown]
	v_cndmask_b32_e64 v48, v38, v39, s10
	v_cndmask_b32_e64 v39, v66, v67, s14
	;; [unrolled: 1-line block ×3, first 2 shown]
.LBB1029_114:
	s_wait_alu 0xfffe
	s_or_b32 exec_lo, exec_lo, s20
	v_and_b32_e32 v54, 0x80, v35
	v_min_u32_e32 v36, v27, v36
	; wave barrier
	s_wait_dscnt 0x4
	ds_store_2addr_b64 v30, v[17:18], v[19:20] offset1:1
	s_wait_dscnt 0x3
	ds_store_2addr_b64 v31, v[21:22], v[25:26] offset1:1
	v_or_b32_e32 v35, 64, v54
	v_lshl_add_u32 v30, v54, 1, v12
	v_perm_b32 v65, v38, v52, 0x5040100
	v_perm_b32 v64, v39, v49, 0x5040100
	;; [unrolled: 1-line block ×3, first 2 shown]
	v_min_u32_e32 v53, v27, v35
	s_mov_b32 s10, exec_lo
	s_delay_alu instid0(VALU_DEP_1) | instskip(NEXT) | instid1(VALU_DEP_1)
	v_add_nc_u32_e32 v35, 64, v53
	v_min_u32_e32 v35, v27, v35
	v_sub_nc_u32_e32 v27, v53, v54
	s_delay_alu instid0(VALU_DEP_2) | instskip(NEXT) | instid1(VALU_DEP_2)
	v_sub_nc_u32_e32 v66, v35, v53
	v_min_u32_e32 v55, v36, v27
	s_delay_alu instid0(VALU_DEP_2)
	v_sub_nc_u32_e64 v27, v36, v66 clamp
	v_perm_b32 v66, v48, v37, 0x5040100
	ds_store_2addr_b64 v29, v[4:5], v[15:16] offset1:1
	ds_store_2addr_b64 v11, v[66:67], v[64:65] offset1:1
	s_wait_dscnt 0x4
	ds_store_2addr_b64 v28, v[8:9], v[23:24] offset1:1
	; wave barrier
	v_cmpx_lt_u32_e64 v27, v55
	s_cbranch_execz .LBB1029_118
; %bb.115:
	v_lshlrev_b32_e32 v11, 1, v53
	v_lshlrev_b32_e32 v28, 1, v36
	s_mov_b32 s11, 0
	s_delay_alu instid0(VALU_DEP_1)
	v_add3_u32 v11, v12, v11, v28
.LBB1029_116:                           ; =>This Inner Loop Header: Depth=1
	v_add_nc_u32_e32 v28, v55, v27
	s_delay_alu instid0(VALU_DEP_1) | instskip(SKIP_1) | instid1(VALU_DEP_2)
	v_lshrrev_b32_e32 v29, 1, v28
	v_and_b32_e32 v28, -2, v28
	v_not_b32_e32 v31, v29
	s_delay_alu instid0(VALU_DEP_2) | instskip(SKIP_1) | instid1(VALU_DEP_3)
	v_add_nc_u32_e32 v28, v30, v28
	v_add_nc_u32_e32 v64, 1, v29
	v_lshl_add_u32 v31, v31, 1, v11
	ds_load_u16 v28, v28
	ds_load_u16 v31, v31
	s_wait_dscnt 0x1
	v_and_b32_e32 v28, v28, v50
	s_wait_dscnt 0x0
	v_and_b32_e32 v31, v31, v50
	s_delay_alu instid0(VALU_DEP_1) | instskip(SKIP_1) | instid1(VALU_DEP_1)
	v_cmp_gt_i16_e64 s7, v28, v31
	s_wait_alu 0xf1ff
	v_cndmask_b32_e64 v55, v55, v29, s7
	v_cndmask_b32_e64 v27, v64, v27, s7
	s_delay_alu instid0(VALU_DEP_1)
	v_cmp_ge_u32_e64 s7, v27, v55
	s_wait_alu 0xfffe
	s_or_b32 s11, s7, s11
	s_wait_alu 0xfffe
	s_and_not1_b32 exec_lo, exec_lo, s11
	s_cbranch_execnz .LBB1029_116
; %bb.117:
	s_or_b32 exec_lo, exec_lo, s11
.LBB1029_118:
	s_wait_alu 0xfffe
	s_or_b32 exec_lo, exec_lo, s10
	v_add_nc_u32_e32 v11, v53, v36
	v_add_nc_u32_e32 v29, v27, v54
	s_delay_alu instid0(VALU_DEP_2) | instskip(NEXT) | instid1(VALU_DEP_2)
	v_sub_nc_u32_e32 v28, v11, v27
	v_cmp_le_u32_e64 s7, v29, v53
	s_delay_alu instid0(VALU_DEP_2)
	v_cmp_le_u32_e64 s10, v28, v35
	s_or_b32 s7, s7, s10
	s_wait_alu 0xfffe
	s_and_saveexec_b32 s20, s7
	s_cbranch_execz .LBB1029_124
; %bb.119:
	v_cmp_lt_u32_e64 s7, v29, v53
                                        ; implicit-def: $vgpr11
	s_and_saveexec_b32 s10, s7
; %bb.120:
	v_lshl_add_u32 v4, v27, 1, v30
	ds_load_u16 v11, v4
; %bb.121:
	s_wait_alu 0xfffe
	s_or_b32 exec_lo, exec_lo, s10
	v_cmp_ge_u32_e64 s10, v28, v35
	s_mov_b32 s12, exec_lo
                                        ; implicit-def: $vgpr27
	v_cmpx_lt_u32_e64 v28, v35
; %bb.122:
	v_lshl_add_u32 v4, v28, 1, v12
	ds_load_u16 v27, v4
; %bb.123:
	s_wait_alu 0xfffe
	s_or_b32 exec_lo, exec_lo, s12
	s_wait_dscnt 0x0
	v_and_b32_e32 v4, v27, v50
	v_and_b32_e32 v5, v11, v50
	s_delay_alu instid0(VALU_DEP_1)
	v_cmp_le_i16_e64 s11, v5, v4
	s_and_b32 s7, s7, s11
	s_wait_alu 0xfffe
	s_or_b32 s7, s10, s7
	s_wait_alu 0xfffe
	v_cndmask_b32_e64 v4, v28, v29, s7
	v_cndmask_b32_e64 v5, v35, v53, s7
	;; [unrolled: 1-line block ×3, first 2 shown]
	s_delay_alu instid0(VALU_DEP_3) | instskip(NEXT) | instid1(VALU_DEP_3)
	v_add_nc_u32_e32 v8, 1, v4
	v_add_nc_u32_e32 v5, -1, v5
	v_lshl_add_u32 v4, v4, 3, v10
	s_delay_alu instid0(VALU_DEP_2) | instskip(NEXT) | instid1(VALU_DEP_1)
	v_min_u32_e32 v5, v8, v5
	v_lshl_add_u32 v5, v5, 1, v12
	ds_load_u16 v5, v5
	s_wait_dscnt 0x0
	v_cndmask_b32_e64 v30, v5, v27, s7
	v_cndmask_b32_e64 v31, v11, v5, s7
	v_cndmask_b32_e64 v5, v29, v8, s7
	v_cndmask_b32_e64 v8, v8, v28, s7
	s_delay_alu instid0(VALU_DEP_4) | instskip(NEXT) | instid1(VALU_DEP_4)
	v_and_b32_e32 v9, v30, v50
	v_and_b32_e32 v15, v31, v50
	s_delay_alu instid0(VALU_DEP_4) | instskip(NEXT) | instid1(VALU_DEP_4)
	v_cmp_lt_u32_e64 s10, v5, v53
	v_cmp_ge_u32_e64 s12, v8, v35
	s_delay_alu instid0(VALU_DEP_3)
	v_cmp_le_i16_e64 s11, v15, v9
	s_and_b32 s10, s10, s11
	s_wait_alu 0xfffe
	s_or_b32 s10, s12, s10
	s_wait_alu 0xfffe
	v_cndmask_b32_e64 v9, v8, v5, s10
	v_cndmask_b32_e64 v15, v35, v53, s10
	;; [unrolled: 1-line block ×3, first 2 shown]
	s_delay_alu instid0(VALU_DEP_3) | instskip(NEXT) | instid1(VALU_DEP_3)
	v_add_nc_u32_e32 v16, 1, v9
	v_add_nc_u32_e32 v15, -1, v15
	v_lshl_add_u32 v9, v9, 3, v10
	s_delay_alu instid0(VALU_DEP_3) | instskip(NEXT) | instid1(VALU_DEP_3)
	v_cndmask_b32_e64 v5, v5, v16, s10
	v_min_u32_e32 v15, v16, v15
	v_cndmask_b32_e64 v8, v16, v8, s10
	s_delay_alu instid0(VALU_DEP_3) | instskip(NEXT) | instid1(VALU_DEP_3)
	v_cmp_lt_u32_e64 s11, v5, v53
	v_lshl_add_u32 v15, v15, 1, v12
	s_delay_alu instid0(VALU_DEP_3) | instskip(SKIP_4) | instid1(VALU_DEP_2)
	v_cmp_ge_u32_e64 s13, v8, v35
	ds_load_u16 v15, v15
	s_wait_dscnt 0x0
	v_cndmask_b32_e64 v28, v15, v30, s10
	v_cndmask_b32_e64 v29, v31, v15, s10
	v_and_b32_e32 v15, v28, v50
	s_delay_alu instid0(VALU_DEP_2) | instskip(NEXT) | instid1(VALU_DEP_1)
	v_and_b32_e32 v17, v29, v50
	v_cmp_le_i16_e64 s12, v17, v15
	s_and_b32 s11, s11, s12
	s_wait_alu 0xfffe
	s_or_b32 s11, s13, s11
	s_wait_alu 0xfffe
	v_cndmask_b32_e64 v15, v8, v5, s11
	v_cndmask_b32_e64 v16, v35, v53, s11
	s_delay_alu instid0(VALU_DEP_2) | instskip(NEXT) | instid1(VALU_DEP_2)
	v_add_nc_u32_e32 v17, 1, v15
	v_add_nc_u32_e32 v16, -1, v16
	s_delay_alu instid0(VALU_DEP_2) | instskip(NEXT) | instid1(VALU_DEP_2)
	v_cndmask_b32_e64 v5, v5, v17, s11
	v_min_u32_e32 v16, v17, v16
	v_cndmask_b32_e64 v8, v17, v8, s11
	s_delay_alu instid0(VALU_DEP_3) | instskip(NEXT) | instid1(VALU_DEP_3)
	v_cmp_lt_u32_e64 s12, v5, v53
	v_lshl_add_u32 v16, v16, 1, v12
	s_delay_alu instid0(VALU_DEP_3) | instskip(SKIP_4) | instid1(VALU_DEP_2)
	v_cmp_ge_u32_e64 s14, v8, v35
	ds_load_u16 v16, v16
	s_wait_dscnt 0x0
	v_cndmask_b32_e64 v36, v16, v28, s11
	v_cndmask_b32_e64 v38, v29, v16, s11
	v_and_b32_e32 v16, v36, v50
	s_delay_alu instid0(VALU_DEP_2) | instskip(NEXT) | instid1(VALU_DEP_1)
	v_and_b32_e32 v18, v38, v50
	v_cmp_le_i16_e64 s13, v18, v16
	s_and_b32 s12, s12, s13
	s_wait_alu 0xfffe
	s_or_b32 s12, s14, s12
	s_wait_alu 0xfffe
	v_cndmask_b32_e64 v19, v8, v5, s12
	v_cndmask_b32_e64 v16, v35, v53, s12
	;; [unrolled: 1-line block ×3, first 2 shown]
	s_delay_alu instid0(VALU_DEP_3) | instskip(NEXT) | instid1(VALU_DEP_3)
	v_add_nc_u32_e32 v17, 1, v19
	v_add_nc_u32_e32 v16, -1, v16
	s_delay_alu instid0(VALU_DEP_2) | instskip(NEXT) | instid1(VALU_DEP_2)
	v_cndmask_b32_e64 v5, v5, v17, s12
	v_min_u32_e32 v16, v17, v16
	v_cndmask_b32_e64 v8, v17, v8, s12
	s_delay_alu instid0(VALU_DEP_3) | instskip(NEXT) | instid1(VALU_DEP_3)
	v_cmp_lt_u32_e64 s13, v5, v53
	v_lshl_add_u32 v16, v16, 1, v12
	s_delay_alu instid0(VALU_DEP_3) | instskip(SKIP_4) | instid1(VALU_DEP_2)
	v_cmp_ge_u32_e64 s15, v8, v35
	ds_load_u16 v16, v16
	s_wait_dscnt 0x0
	v_cndmask_b32_e64 v39, v16, v36, s12
	v_cndmask_b32_e64 v49, v38, v16, s12
	v_and_b32_e32 v16, v39, v50
	s_delay_alu instid0(VALU_DEP_2) | instskip(NEXT) | instid1(VALU_DEP_1)
	v_and_b32_e32 v18, v49, v50
	v_cmp_le_i16_e64 s14, v18, v16
	s_and_b32 s13, s13, s14
	s_wait_alu 0xfffe
	s_or_b32 s13, s15, s13
	s_wait_alu 0xfffe
	v_cndmask_b32_e64 v20, v8, v5, s13
	v_cndmask_b32_e64 v16, v35, v53, s13
	s_delay_alu instid0(VALU_DEP_2) | instskip(NEXT) | instid1(VALU_DEP_2)
	v_add_nc_u32_e32 v17, 1, v20
	v_add_nc_u32_e32 v16, -1, v16
	s_delay_alu instid0(VALU_DEP_2) | instskip(NEXT) | instid1(VALU_DEP_2)
	v_cndmask_b32_e64 v5, v5, v17, s13
	v_min_u32_e32 v16, v17, v16
	v_cndmask_b32_e64 v8, v17, v8, s13
	s_delay_alu instid0(VALU_DEP_3) | instskip(NEXT) | instid1(VALU_DEP_3)
	v_cmp_lt_u32_e64 s14, v5, v53
	v_lshl_add_u32 v16, v16, 1, v12
	s_delay_alu instid0(VALU_DEP_3)
	v_cmp_ge_u32_e64 s16, v8, v35
	ds_load_u16 v16, v16
	s_wait_dscnt 0x0
	v_cndmask_b32_e64 v52, v16, v39, s13
	v_cndmask_b32_e64 v54, v49, v16, s13
	;; [unrolled: 1-line block ×3, first 2 shown]
	s_delay_alu instid0(VALU_DEP_3) | instskip(NEXT) | instid1(VALU_DEP_3)
	v_and_b32_e32 v16, v52, v50
	v_and_b32_e32 v18, v54, v50
	s_delay_alu instid0(VALU_DEP_1)
	v_cmp_le_i16_e64 s15, v18, v16
	s_and_b32 s14, s14, s15
	s_wait_alu 0xfffe
	s_or_b32 s14, s16, s14
	s_wait_alu 0xfffe
	v_cndmask_b32_e64 v21, v8, v5, s14
	v_cndmask_b32_e64 v16, v35, v53, s14
	;; [unrolled: 1-line block ×3, first 2 shown]
	s_delay_alu instid0(VALU_DEP_3) | instskip(NEXT) | instid1(VALU_DEP_3)
	v_add_nc_u32_e32 v17, 1, v21
	v_add_nc_u32_e32 v16, -1, v16
	v_lshl_add_u32 v24, v21, 3, v10
	s_delay_alu instid0(VALU_DEP_3) | instskip(NEXT) | instid1(VALU_DEP_3)
	v_cndmask_b32_e64 v5, v5, v17, s14
	v_min_u32_e32 v16, v17, v16
	v_cndmask_b32_e64 v8, v17, v8, s14
	s_delay_alu instid0(VALU_DEP_3) | instskip(NEXT) | instid1(VALU_DEP_3)
	v_cmp_lt_u32_e64 s15, v5, v53
	v_lshl_add_u32 v16, v16, 1, v12
	s_delay_alu instid0(VALU_DEP_3) | instskip(SKIP_4) | instid1(VALU_DEP_2)
	v_cmp_ge_u32_e64 s17, v8, v35
	ds_load_u16 v16, v16
	s_wait_dscnt 0x0
	v_cndmask_b32_e64 v55, v16, v52, s14
	v_cndmask_b32_e64 v64, v54, v16, s14
	v_and_b32_e32 v16, v55, v50
	s_delay_alu instid0(VALU_DEP_2) | instskip(NEXT) | instid1(VALU_DEP_1)
	v_and_b32_e32 v18, v64, v50
	v_cmp_le_i16_e64 s16, v18, v16
	s_and_b32 s15, s15, s16
	s_wait_alu 0xfffe
	s_or_b32 s15, s17, s15
	s_wait_alu 0xfffe
	v_cndmask_b32_e64 v22, v8, v5, s15
	v_cndmask_b32_e64 v16, v35, v53, s15
	;; [unrolled: 1-line block ×3, first 2 shown]
	s_delay_alu instid0(VALU_DEP_3) | instskip(NEXT) | instid1(VALU_DEP_3)
	v_add_nc_u32_e32 v17, 1, v22
	v_add_nc_u32_e32 v16, -1, v16
	v_lshl_add_u32 v32, v22, 3, v10
	s_delay_alu instid0(VALU_DEP_3) | instskip(NEXT) | instid1(VALU_DEP_3)
	v_cndmask_b32_e64 v23, v5, v17, s15
	v_min_u32_e32 v16, v17, v16
	v_cndmask_b32_e64 v8, v17, v8, s15
	v_lshl_add_u32 v17, v15, 3, v10
	s_delay_alu instid0(VALU_DEP_4) | instskip(NEXT) | instid1(VALU_DEP_4)
	v_cmp_lt_u32_e64 s16, v23, v53
	v_lshl_add_u32 v12, v16, 1, v12
	s_delay_alu instid0(VALU_DEP_4) | instskip(SKIP_4) | instid1(VALU_DEP_2)
	v_cmp_ge_u32_e64 s18, v8, v35
	ds_load_u16 v12, v12
	s_wait_dscnt 0x0
	v_cndmask_b32_e64 v65, v12, v55, s15
	v_cndmask_b32_e64 v12, v64, v12, s15
	v_and_b32_e32 v5, v65, v50
	s_delay_alu instid0(VALU_DEP_2) | instskip(NEXT) | instid1(VALU_DEP_1)
	v_and_b32_e32 v16, v12, v50
	v_cmp_le_i16_e64 s17, v16, v5
	ds_load_b64 v[4:5], v4 offset:4096
	ds_load_b64 v[15:16], v9 offset:4096
	v_lshl_add_u32 v9, v19, 3, v10
	ds_load_b64 v[17:18], v17 offset:4096
	s_and_b32 s16, s16, s17
	s_wait_alu 0xfffe
	s_or_b32 s16, s18, s16
	s_wait_alu 0xfffe
	v_cndmask_b32_e64 v8, v8, v23, s16
	v_lshl_add_u32 v23, v20, 3, v10
	v_cndmask_b32_e64 v38, v65, v12, s16
	s_delay_alu instid0(VALU_DEP_3)
	v_lshl_add_u32 v10, v8, 3, v10
	ds_load_b64 v[19:20], v9 offset:4096
	ds_load_b64 v[21:22], v23 offset:4096
	;; [unrolled: 1-line block ×5, first 2 shown]
	v_cndmask_b32_e64 v32, v28, v29, s11
.LBB1029_124:
	s_wait_alu 0xfffe
	s_or_b32 exec_lo, exec_lo, s20
	; wave barrier
	s_wait_storecnt_dscnt 0x0
	s_barrier_signal -1
	s_barrier_wait -1
                                        ; implicit-def: $vgpr35
                                        ; implicit-def: $vgpr36
                                        ; implicit-def: $vgpr27
                                        ; implicit-def: $vgpr28
                                        ; implicit-def: $vgpr12
.LBB1029_125:
	s_wait_alu 0xfffe
	s_and_not1_saveexec_b32 s17, s19
	s_cbranch_execz .LBB1029_225
; %bb.126:
	s_load_b64 s[10:11], s[8:9], 0x0
	s_and_b32 s7, ttmp7, 0xffff
	s_mov_b32 s13, 0
	s_wait_kmcnt 0x0
	s_wait_alu 0xfffe
	s_cmp_lt_u32 s7, s11
	s_cselect_b32 s12, 14, 20
	s_cmp_lt_u32 ttmp9, s10
	s_wait_alu 0xfffe
	s_add_nc_u64 s[14:15], s[8:9], s[12:13]
	s_cselect_b32 s12, 12, 18
	s_load_u16 s7, s[14:15], 0x0
	s_add_nc_u64 s[8:9], s[8:9], s[12:13]
	s_load_u16 s8, s[8:9], 0x0
	s_wait_kmcnt 0x0
	v_mad_u32_u24 v10, v28, s7, v27
	s_delay_alu instid0(VALU_DEP_1) | instskip(SKIP_1) | instid1(VALU_DEP_1)
	v_mul_lo_u32 v10, v10, s8
	s_mov_b32 s8, exec_lo
	v_add_lshl_u32 v12, v10, v12, 3
	s_delay_alu instid0(VALU_DEP_1)
	v_cmpx_gt_u32_e32 0x800, v12
	s_cbranch_execz .LBB1029_184
; %bb.127:
	s_wait_loadcnt_dscnt 0x0
	v_mov_b32_e32 v28, v16
	v_dual_mov_b32 v50, v48 :: v_dual_mov_b32 v27, v15
	s_mov_b32 s9, exec_lo
	v_cmpx_gt_i16_e64 v37, v48
; %bb.128:
	v_dual_mov_b32 v50, v37 :: v_dual_mov_b32 v37, v48
	v_dual_mov_b32 v28, v5 :: v_dual_mov_b32 v27, v4
	;; [unrolled: 1-line block ×3, first 2 shown]
; %bb.129:
	s_wait_alu 0xfffe
	s_or_b32 exec_lo, exec_lo, s9
	v_dual_mov_b32 v31, v51 :: v_dual_mov_b32 v30, v20
	v_mov_b32_e32 v29, v19
	s_mov_b32 s9, exec_lo
	v_cmpx_gt_i16_e64 v32, v51
; %bb.130:
	v_dual_mov_b32 v31, v32 :: v_dual_mov_b32 v32, v51
	v_dual_mov_b32 v30, v18 :: v_dual_mov_b32 v29, v17
	;; [unrolled: 1-line block ×3, first 2 shown]
; %bb.131:
	s_wait_alu 0xfffe
	s_or_b32 exec_lo, exec_lo, s9
	v_dual_mov_b32 v15, v25 :: v_dual_mov_b32 v16, v26
	v_mov_b32_e32 v53, v49
	s_mov_b32 s9, exec_lo
	v_cmpx_gt_i16_e64 v49, v39
; %bb.132:
	v_dual_mov_b32 v15, v21 :: v_dual_mov_b32 v16, v22
	v_dual_mov_b32 v21, v25 :: v_dual_mov_b32 v22, v26
	v_mov_b32_e32 v53, v39
	v_mov_b32_e32 v39, v49
; %bb.133:
	s_wait_alu 0xfffe
	s_or_b32 exec_lo, exec_lo, s9
	v_dual_mov_b32 v10, v23 :: v_dual_mov_b32 v11, v24
	v_mov_b32_e32 v49, v52
	s_mov_b32 s9, exec_lo
	v_cmpx_gt_i16_e64 v52, v38
; %bb.134:
	v_dual_mov_b32 v11, v9 :: v_dual_mov_b32 v10, v8
	v_dual_mov_b32 v8, v23 :: v_dual_mov_b32 v9, v24
	;; [unrolled: 1-line block ×3, first 2 shown]
; %bb.135:
	s_wait_alu 0xfffe
	s_or_b32 exec_lo, exec_lo, s9
	v_mov_b32_e32 v24, v18
	v_cmp_gt_i16_e64 s7, v50, v32
	v_dual_mov_b32 v48, v32 :: v_dual_mov_b32 v23, v17
	s_and_saveexec_b32 s9, s7
	s_wait_alu 0xfffe
	s_xor_b32 s7, exec_lo, s9
; %bb.136:
	v_dual_mov_b32 v48, v50 :: v_dual_mov_b32 v23, v27
	v_mov_b32_e32 v24, v28
	v_mov_b32_e32 v28, v18
	v_dual_mov_b32 v50, v32 :: v_dual_mov_b32 v27, v17
; %bb.137:
	s_wait_alu 0xfffe
	s_or_b32 exec_lo, exec_lo, s7
	v_dual_mov_b32 v19, v31 :: v_dual_mov_b32 v26, v22
	v_mov_b32_e32 v25, v21
	s_mov_b32 s9, exec_lo
	v_cmpx_gt_i16_e64 v31, v53
; %bb.138:
	v_mov_b32_e32 v25, v29
	v_dual_mov_b32 v19, v53 :: v_dual_mov_b32 v26, v30
	v_dual_mov_b32 v30, v22 :: v_dual_mov_b32 v29, v21
	v_mov_b32_e32 v53, v31
; %bb.139:
	s_wait_alu 0xfffe
	s_or_b32 exec_lo, exec_lo, s9
	v_dual_mov_b32 v18, v9 :: v_dual_mov_b32 v17, v8
	v_mov_b32_e32 v51, v39
	s_mov_b32 s9, exec_lo
	v_cmpx_gt_i16_e64 v39, v49
; %bb.140:
	v_dual_mov_b32 v18, v16 :: v_dual_mov_b32 v17, v15
	v_dual_mov_b32 v16, v9 :: v_dual_mov_b32 v15, v8
	v_mov_b32_e32 v51, v49
	v_mov_b32_e32 v49, v39
; %bb.141:
	s_wait_alu 0xfffe
	s_or_b32 exec_lo, exec_lo, s9
	v_dual_mov_b32 v39, v50 :: v_dual_mov_b32 v32, v28
	v_mov_b32_e32 v31, v27
	s_mov_b32 s9, exec_lo
	v_cmpx_gt_i16_e64 v37, v50
; %bb.142:
	v_dual_mov_b32 v39, v37 :: v_dual_mov_b32 v32, v5
	v_mov_b32_e32 v37, v50
	v_dual_mov_b32 v31, v4 :: v_dual_mov_b32 v4, v27
	v_mov_b32_e32 v5, v28
; %bb.143:
	s_wait_alu 0xfffe
	s_or_b32 exec_lo, exec_lo, s9
	v_dual_mov_b32 v50, v19 :: v_dual_mov_b32 v27, v29
	v_mov_b32_e32 v28, v30
	s_mov_b32 s9, exec_lo
	v_cmpx_gt_i16_e64 v48, v19
; %bb.144:
	v_mov_b32_e32 v28, v24
	v_dual_mov_b32 v50, v48 :: v_dual_mov_b32 v27, v23
	v_dual_mov_b32 v48, v19 :: v_dual_mov_b32 v23, v29
	v_mov_b32_e32 v24, v30
; %bb.145:
	s_wait_alu 0xfffe
	s_or_b32 exec_lo, exec_lo, s9
	v_dual_mov_b32 v20, v16 :: v_dual_mov_b32 v19, v15
	v_mov_b32_e32 v54, v53
	s_mov_b32 s9, exec_lo
	v_cmpx_gt_i16_e64 v53, v51
; %bb.146:
	v_dual_mov_b32 v19, v25 :: v_dual_mov_b32 v20, v26
	v_dual_mov_b32 v26, v16 :: v_dual_mov_b32 v25, v15
	;; [unrolled: 1-line block ×3, first 2 shown]
; %bb.147:
	s_wait_alu 0xfffe
	s_or_b32 exec_lo, exec_lo, s9
	v_dual_mov_b32 v8, v10 :: v_dual_mov_b32 v9, v11
	v_mov_b32_e32 v52, v49
	s_mov_b32 s9, exec_lo
	v_cmpx_gt_i16_e64 v49, v38
; %bb.148:
	v_dual_mov_b32 v8, v17 :: v_dual_mov_b32 v9, v18
	v_dual_mov_b32 v18, v11 :: v_dual_mov_b32 v17, v10
	v_mov_b32_e32 v52, v38
	v_mov_b32_e32 v38, v49
; %bb.149:
	s_wait_alu 0xfffe
	s_or_b32 exec_lo, exec_lo, s9
	v_dual_mov_b32 v49, v48 :: v_dual_mov_b32 v30, v24
	v_mov_b32_e32 v29, v23
	s_mov_b32 s9, exec_lo
	v_cmpx_gt_i16_e64 v39, v48
; %bb.150:
	v_mov_b32_e32 v29, v31
	v_dual_mov_b32 v49, v39 :: v_dual_mov_b32 v30, v32
	v_dual_mov_b32 v39, v48 :: v_dual_mov_b32 v32, v24
	v_mov_b32_e32 v31, v23
; %bb.151:
	s_wait_alu 0xfffe
	s_or_b32 exec_lo, exec_lo, s9
	v_dual_mov_b32 v10, v50 :: v_dual_mov_b32 v21, v25
	v_mov_b32_e32 v22, v26
	s_mov_b32 s9, exec_lo
	v_cmpx_gt_i16_e64 v50, v54
; %bb.152:
	v_dual_mov_b32 v10, v54 :: v_dual_mov_b32 v21, v27
	v_mov_b32_e32 v22, v28
	v_dual_mov_b32 v28, v26 :: v_dual_mov_b32 v27, v25
	v_mov_b32_e32 v54, v50
; %bb.153:
	s_wait_alu 0xfffe
	s_or_b32 exec_lo, exec_lo, s9
	v_dual_mov_b32 v15, v17 :: v_dual_mov_b32 v16, v18
	v_mov_b32_e32 v48, v51
	s_mov_b32 s9, exec_lo
	v_cmpx_gt_i16_e64 v51, v52
; %bb.154:
	v_dual_mov_b32 v15, v19 :: v_dual_mov_b32 v16, v20
	v_dual_mov_b32 v20, v18 :: v_dual_mov_b32 v19, v17
	v_mov_b32_e32 v48, v52
	v_mov_b32_e32 v52, v51
; %bb.155:
	s_wait_alu 0xfffe
	s_or_b32 exec_lo, exec_lo, s9
	v_dual_mov_b32 v50, v39 :: v_dual_mov_b32 v23, v31
	v_mov_b32_e32 v24, v32
	s_mov_b32 s9, exec_lo
	v_cmpx_gt_i16_e64 v37, v39
; %bb.156:
	v_dual_mov_b32 v50, v37 :: v_dual_mov_b32 v37, v39
	v_dual_mov_b32 v24, v5 :: v_dual_mov_b32 v23, v4
	;; [unrolled: 1-line block ×3, first 2 shown]
; %bb.157:
	s_wait_alu 0xfffe
	s_or_b32 exec_lo, exec_lo, s9
	v_dual_mov_b32 v39, v10 :: v_dual_mov_b32 v32, v28
	v_mov_b32_e32 v31, v27
	s_mov_b32 s9, exec_lo
	v_cmpx_gt_i16_e64 v49, v10
; %bb.158:
	v_dual_mov_b32 v39, v49 :: v_dual_mov_b32 v32, v30
	v_mov_b32_e32 v49, v10
	v_dual_mov_b32 v31, v29 :: v_dual_mov_b32 v30, v28
	v_mov_b32_e32 v29, v27
; %bb.159:
	s_wait_alu 0xfffe
	s_or_b32 exec_lo, exec_lo, s9
	v_dual_mov_b32 v17, v19 :: v_dual_mov_b32 v18, v20
	v_mov_b32_e32 v55, v54
	s_mov_b32 s9, exec_lo
	v_cmpx_gt_i16_e64 v54, v48
; %bb.160:
	v_dual_mov_b32 v17, v21 :: v_dual_mov_b32 v18, v22
	v_dual_mov_b32 v22, v20 :: v_dual_mov_b32 v21, v19
	;; [unrolled: 1-line block ×3, first 2 shown]
; %bb.161:
	s_wait_alu 0xfffe
	s_or_b32 exec_lo, exec_lo, s9
	v_dual_mov_b32 v11, v9 :: v_dual_mov_b32 v10, v8
	v_mov_b32_e32 v53, v52
	s_mov_b32 s9, exec_lo
	v_cmpx_gt_i16_e64 v52, v38
; %bb.162:
	v_dual_mov_b32 v10, v15 :: v_dual_mov_b32 v11, v16
	v_dual_mov_b32 v16, v9 :: v_dual_mov_b32 v15, v8
	v_dual_mov_b32 v53, v38 :: v_dual_mov_b32 v38, v52
; %bb.163:
	s_wait_alu 0xfffe
	s_or_b32 exec_lo, exec_lo, s9
	v_mov_b32_e32 v27, v29
	v_dual_mov_b32 v51, v49 :: v_dual_mov_b32 v28, v30
	s_mov_b32 s9, exec_lo
	v_cmpx_gt_i16_e64 v50, v49
; %bb.164:
	v_dual_mov_b32 v51, v50 :: v_dual_mov_b32 v50, v49
	v_dual_mov_b32 v28, v24 :: v_dual_mov_b32 v27, v23
	v_dual_mov_b32 v23, v29 :: v_dual_mov_b32 v24, v30
; %bb.165:
	s_wait_alu 0xfffe
	s_or_b32 exec_lo, exec_lo, s9
	v_dual_mov_b32 v29, v39 :: v_dual_mov_b32 v26, v22
	v_mov_b32_e32 v25, v21
	s_mov_b32 s9, exec_lo
	v_cmpx_gt_i16_e64 v39, v55
; %bb.166:
	v_mov_b32_e32 v25, v31
	v_dual_mov_b32 v29, v55 :: v_dual_mov_b32 v26, v32
	v_dual_mov_b32 v32, v22 :: v_dual_mov_b32 v31, v21
	v_mov_b32_e32 v55, v39
; %bb.167:
	s_wait_alu 0xfffe
	s_or_b32 exec_lo, exec_lo, s9
	v_dual_mov_b32 v8, v15 :: v_dual_mov_b32 v9, v16
	v_mov_b32_e32 v39, v48
	s_mov_b32 s9, exec_lo
	v_cmpx_gt_i16_e64 v48, v53
; %bb.168:
	v_dual_mov_b32 v8, v17 :: v_dual_mov_b32 v9, v18
	v_dual_mov_b32 v18, v16 :: v_dual_mov_b32 v17, v15
	v_mov_b32_e32 v39, v53
	v_mov_b32_e32 v53, v48
; %bb.169:
	s_wait_alu 0xfffe
	s_or_b32 exec_lo, exec_lo, s9
	v_dual_mov_b32 v48, v50 :: v_dual_mov_b32 v15, v23
	v_mov_b32_e32 v16, v24
	s_mov_b32 s9, exec_lo
	v_cmpx_gt_i16_e64 v37, v50
; %bb.170:
	v_dual_mov_b32 v48, v37 :: v_dual_mov_b32 v37, v50
	v_dual_mov_b32 v16, v5 :: v_dual_mov_b32 v15, v4
	;; [unrolled: 1-line block ×3, first 2 shown]
; %bb.171:
	s_wait_alu 0xfffe
	s_or_b32 exec_lo, exec_lo, s9
	v_dual_mov_b32 v50, v29 :: v_dual_mov_b32 v19, v31
	v_mov_b32_e32 v20, v32
	s_mov_b32 s9, exec_lo
	v_cmpx_gt_i16_e64 v51, v29
; %bb.172:
	v_dual_mov_b32 v50, v51 :: v_dual_mov_b32 v51, v29
	v_dual_mov_b32 v19, v27 :: v_dual_mov_b32 v20, v28
	;; [unrolled: 1-line block ×3, first 2 shown]
; %bb.173:
	s_wait_alu 0xfffe
	s_or_b32 exec_lo, exec_lo, s9
	v_dual_mov_b32 v30, v18 :: v_dual_mov_b32 v29, v17
	v_mov_b32_e32 v49, v55
	s_mov_b32 s9, exec_lo
	v_cmpx_gt_i16_e64 v55, v39
; %bb.174:
	v_dual_mov_b32 v30, v26 :: v_dual_mov_b32 v29, v25
	v_dual_mov_b32 v26, v18 :: v_dual_mov_b32 v25, v17
	v_mov_b32_e32 v49, v39
	v_mov_b32_e32 v39, v55
; %bb.175:
	s_wait_alu 0xfffe
	s_or_b32 exec_lo, exec_lo, s9
	v_dual_mov_b32 v24, v11 :: v_dual_mov_b32 v23, v10
	v_mov_b32_e32 v31, v53
	s_mov_b32 s9, exec_lo
	v_cmpx_gt_i16_e64 v53, v38
; %bb.176:
	v_dual_mov_b32 v24, v9 :: v_dual_mov_b32 v23, v8
	v_dual_mov_b32 v8, v10 :: v_dual_mov_b32 v9, v11
	;; [unrolled: 1-line block ×3, first 2 shown]
; %bb.177:
	s_wait_alu 0xfffe
	s_or_b32 exec_lo, exec_lo, s9
	v_dual_mov_b32 v32, v51 :: v_dual_mov_b32 v17, v27
	v_mov_b32_e32 v18, v28
	s_mov_b32 s9, exec_lo
	v_cmpx_gt_i16_e64 v48, v51
; %bb.178:
	v_mov_b32_e32 v18, v16
	v_dual_mov_b32 v32, v48 :: v_dual_mov_b32 v17, v15
	v_dual_mov_b32 v48, v51 :: v_dual_mov_b32 v15, v27
	v_mov_b32_e32 v16, v28
; %bb.179:
	s_wait_alu 0xfffe
	s_or_b32 exec_lo, exec_lo, s9
	v_mov_b32_e32 v21, v25
	v_dual_mov_b32 v51, v50 :: v_dual_mov_b32 v22, v26
	s_mov_b32 s9, exec_lo
	v_cmpx_gt_i16_e64 v50, v49
; %bb.180:
	v_dual_mov_b32 v51, v49 :: v_dual_mov_b32 v22, v20
	v_mov_b32_e32 v21, v19
	v_dual_mov_b32 v19, v25 :: v_dual_mov_b32 v20, v26
	v_mov_b32_e32 v49, v50
; %bb.181:
	s_wait_alu 0xfffe
	s_or_b32 exec_lo, exec_lo, s9
	v_dual_mov_b32 v52, v31 :: v_dual_mov_b32 v25, v29
	v_mov_b32_e32 v26, v30
	s_mov_b32 s9, exec_lo
	v_cmpx_gt_i16_e64 v39, v31
; %bb.182:
	v_dual_mov_b32 v52, v39 :: v_dual_mov_b32 v39, v31
	v_dual_mov_b32 v26, v9 :: v_dual_mov_b32 v25, v8
	;; [unrolled: 1-line block ×3, first 2 shown]
; %bb.183:
	s_wait_alu 0xfffe
	s_or_b32 exec_lo, exec_lo, s9
.LBB1029_184:
	s_wait_alu 0xfffe
	s_or_b32 exec_lo, exec_lo, s8
	v_and_b32_e32 v10, 0xffffff00, v12
	v_or_b32_e32 v11, 8, v35
	v_and_b32_e32 v28, 8, v35
	v_and_b32_e32 v64, 0xf0, v35
	s_wait_loadcnt_dscnt 0x0
	v_perm_b32 v68, v38, v52, 0x5040100
	v_sub_nc_u32_e64 v27, 0x800, v10 clamp
	v_lshlrev_b32_e32 v12, 1, v10
	v_perm_b32 v67, v39, v49, 0x5040100
	v_perm_b32 v70, v51, v32, 0x5040100
	;; [unrolled: 1-line block ×3, first 2 shown]
	v_min_u32_e32 v50, v27, v11
	v_mad_co_u64_u32 v[10:11], null, v10, 6, v[12:13]
	v_min_u32_e32 v65, v27, v28
	v_lshl_or_b32 v54, v64, 1, v12
	s_delay_alu instid0(VALU_DEP_4) | instskip(SKIP_3) | instid1(VALU_DEP_3)
	v_add_nc_u32_e32 v11, 8, v50
	v_sub_nc_u32_e32 v28, v50, v64
	s_mov_b32 s8, exec_lo
	v_lshl_add_u32 v71, v35, 3, v10
	v_min_u32_e32 v53, v27, v11
	v_lshl_or_b32 v11, v35, 1, v12
	v_min_u32_e32 v66, v65, v28
	s_delay_alu instid0(VALU_DEP_4) | instskip(NEXT) | instid1(VALU_DEP_4)
	v_add_nc_u32_e32 v30, 0x1010, v71
	v_sub_nc_u32_e32 v29, v53, v50
	v_add_nc_u32_e32 v31, 0x1020, v71
	v_add_nc_u32_e32 v28, 0x1030, v71
	s_delay_alu instid0(VALU_DEP_3)
	v_sub_nc_u32_e64 v55, v65, v29 clamp
	v_add_nc_u32_e32 v29, 0x1000, v71
	ds_store_2addr_b64 v30, v[17:18], v[19:20] offset1:1
	ds_store_2addr_b64 v31, v[21:22], v[25:26] offset1:1
	;; [unrolled: 1-line block ×5, first 2 shown]
	; wave barrier
	v_cmpx_lt_u32_e64 v55, v66
	s_cbranch_execz .LBB1029_188
; %bb.185:
	v_lshlrev_b32_e32 v67, 1, v50
	v_lshlrev_b32_e32 v68, 1, v65
	s_mov_b32 s9, 0
	s_delay_alu instid0(VALU_DEP_1)
	v_add3_u32 v67, v12, v67, v68
.LBB1029_186:                           ; =>This Inner Loop Header: Depth=1
	v_add_nc_u32_e32 v68, v66, v55
	s_delay_alu instid0(VALU_DEP_1) | instskip(SKIP_1) | instid1(VALU_DEP_2)
	v_lshrrev_b32_e32 v69, 1, v68
	v_and_b32_e32 v68, -2, v68
	v_not_b32_e32 v70, v69
	s_delay_alu instid0(VALU_DEP_2) | instskip(SKIP_1) | instid1(VALU_DEP_3)
	v_add_nc_u32_e32 v68, v54, v68
	v_add_nc_u32_e32 v71, 1, v69
	v_lshl_add_u32 v70, v70, 1, v67
	ds_load_u16 v68, v68
	ds_load_u16 v70, v70
	s_wait_dscnt 0x0
	v_cmp_gt_i16_e64 s7, v68, v70
	s_wait_alu 0xf1ff
	s_delay_alu instid0(VALU_DEP_1) | instskip(SKIP_1) | instid1(VALU_DEP_1)
	v_cndmask_b32_e64 v66, v66, v69, s7
	v_cndmask_b32_e64 v55, v71, v55, s7
	v_cmp_ge_u32_e64 s7, v55, v66
	s_wait_alu 0xfffe
	s_or_b32 s9, s7, s9
	s_wait_alu 0xfffe
	s_and_not1_b32 exec_lo, exec_lo, s9
	s_cbranch_execnz .LBB1029_186
; %bb.187:
	s_or_b32 exec_lo, exec_lo, s9
.LBB1029_188:
	s_wait_alu 0xfffe
	s_or_b32 exec_lo, exec_lo, s8
	v_add_nc_u32_e32 v66, v50, v65
	v_add_nc_u32_e32 v65, v55, v64
	s_delay_alu instid0(VALU_DEP_2) | instskip(NEXT) | instid1(VALU_DEP_2)
	v_sub_nc_u32_e32 v64, v66, v55
	v_cmp_le_u32_e64 s7, v65, v50
	s_delay_alu instid0(VALU_DEP_2)
	v_cmp_le_u32_e64 s8, v64, v53
	s_or_b32 s7, s7, s8
	s_wait_alu 0xfffe
	s_and_saveexec_b32 s18, s7
	s_cbranch_execz .LBB1029_194
; %bb.189:
	v_cmp_lt_u32_e64 s7, v65, v50
                                        ; implicit-def: $vgpr32
	s_and_saveexec_b32 s8, s7
; %bb.190:
	v_lshl_add_u32 v4, v55, 1, v54
	ds_load_u16 v32, v4
; %bb.191:
	s_wait_alu 0xfffe
	s_or_b32 exec_lo, exec_lo, s8
	v_cmp_ge_u32_e64 s8, v64, v53
	s_mov_b32 s10, exec_lo
                                        ; implicit-def: $vgpr37
	v_cmpx_lt_u32_e64 v64, v53
; %bb.192:
	v_lshl_add_u32 v4, v64, 1, v12
	ds_load_u16 v37, v4
; %bb.193:
	s_wait_alu 0xfffe
	s_or_b32 exec_lo, exec_lo, s10
	s_wait_dscnt 0x0
	v_cmp_le_i16_e64 s9, v32, v37
	s_and_b32 s7, s7, s9
	s_wait_alu 0xfffe
	s_or_b32 s7, s8, s7
	s_wait_alu 0xfffe
	v_cndmask_b32_e64 v4, v64, v65, s7
	v_cndmask_b32_e64 v5, v53, v50, s7
	s_delay_alu instid0(VALU_DEP_2) | instskip(NEXT) | instid1(VALU_DEP_2)
	v_add_nc_u32_e32 v8, 1, v4
	v_add_nc_u32_e32 v5, -1, v5
	v_lshl_add_u32 v4, v4, 3, v10
	s_delay_alu instid0(VALU_DEP_3) | instskip(NEXT) | instid1(VALU_DEP_3)
	v_cndmask_b32_e64 v9, v65, v8, s7
	v_min_u32_e32 v5, v8, v5
	s_delay_alu instid0(VALU_DEP_2) | instskip(NEXT) | instid1(VALU_DEP_2)
	v_cmp_lt_u32_e64 s8, v9, v50
	v_lshl_add_u32 v5, v5, 1, v12
	ds_load_u16 v5, v5
	s_wait_dscnt 0x0
	v_cndmask_b32_e64 v38, v5, v37, s7
	v_cndmask_b32_e64 v39, v32, v5, s7
	;; [unrolled: 1-line block ×4, first 2 shown]
	s_delay_alu instid0(VALU_DEP_3) | instskip(NEXT) | instid1(VALU_DEP_3)
	v_cmp_le_i16_e64 s9, v39, v38
	v_cmp_ge_u32_e64 s10, v5, v53
	s_and_b32 s8, s8, s9
	s_wait_alu 0xfffe
	s_or_b32 s8, s10, s8
	s_wait_alu 0xfffe
	v_cndmask_b32_e64 v8, v5, v9, s8
	v_cndmask_b32_e64 v15, v53, v50, s8
	s_delay_alu instid0(VALU_DEP_2) | instskip(NEXT) | instid1(VALU_DEP_2)
	v_add_nc_u32_e32 v16, 1, v8
	v_add_nc_u32_e32 v15, -1, v15
	v_lshl_add_u32 v8, v8, 3, v10
	s_delay_alu instid0(VALU_DEP_3) | instskip(NEXT) | instid1(VALU_DEP_3)
	v_cndmask_b32_e64 v9, v9, v16, s8
	v_min_u32_e32 v15, v16, v15
	v_cndmask_b32_e64 v5, v16, v5, s8
	s_delay_alu instid0(VALU_DEP_3) | instskip(NEXT) | instid1(VALU_DEP_3)
	v_cmp_lt_u32_e64 s9, v9, v50
	v_lshl_add_u32 v15, v15, 1, v12
	s_delay_alu instid0(VALU_DEP_3) | instskip(SKIP_4) | instid1(VALU_DEP_1)
	v_cmp_ge_u32_e64 s11, v5, v53
	ds_load_u16 v15, v15
	s_wait_dscnt 0x0
	v_cndmask_b32_e64 v49, v15, v38, s8
	v_cndmask_b32_e64 v51, v39, v15, s8
	v_cmp_le_i16_e64 s10, v51, v49
	s_and_b32 s9, s9, s10
	s_wait_alu 0xfffe
	s_or_b32 s9, s11, s9
	s_wait_alu 0xfffe
	v_cndmask_b32_e64 v15, v5, v9, s9
	v_cndmask_b32_e64 v16, v53, v50, s9
	v_cndmask_b32_e64 v32, v49, v51, s9
	s_delay_alu instid0(VALU_DEP_3) | instskip(NEXT) | instid1(VALU_DEP_3)
	v_add_nc_u32_e32 v17, 1, v15
	v_add_nc_u32_e32 v16, -1, v16
	s_delay_alu instid0(VALU_DEP_2) | instskip(NEXT) | instid1(VALU_DEP_2)
	v_cndmask_b32_e64 v9, v9, v17, s9
	v_min_u32_e32 v16, v17, v16
	v_cndmask_b32_e64 v5, v17, v5, s9
	s_delay_alu instid0(VALU_DEP_3) | instskip(NEXT) | instid1(VALU_DEP_3)
	v_cmp_lt_u32_e64 s10, v9, v50
	v_lshl_add_u32 v16, v16, 1, v12
	s_delay_alu instid0(VALU_DEP_3) | instskip(SKIP_4) | instid1(VALU_DEP_1)
	v_cmp_ge_u32_e64 s12, v5, v53
	ds_load_u16 v16, v16
	s_wait_dscnt 0x0
	v_cndmask_b32_e64 v52, v16, v49, s9
	v_cndmask_b32_e64 v54, v51, v16, s9
	v_cmp_le_i16_e64 s11, v54, v52
	s_and_b32 s10, s10, s11
	s_wait_alu 0xfffe
	s_or_b32 s10, s12, s10
	s_wait_alu 0xfffe
	v_cndmask_b32_e64 v19, v5, v9, s10
	v_cndmask_b32_e64 v16, v53, v50, s10
	v_cndmask_b32_e64 v51, v52, v54, s10
	s_delay_alu instid0(VALU_DEP_3) | instskip(NEXT) | instid1(VALU_DEP_3)
	v_add_nc_u32_e32 v17, 1, v19
	v_add_nc_u32_e32 v16, -1, v16
	s_delay_alu instid0(VALU_DEP_2) | instskip(NEXT) | instid1(VALU_DEP_2)
	v_cndmask_b32_e64 v9, v9, v17, s10
	v_min_u32_e32 v16, v17, v16
	v_cndmask_b32_e64 v5, v17, v5, s10
	s_delay_alu instid0(VALU_DEP_3) | instskip(NEXT) | instid1(VALU_DEP_3)
	v_cmp_lt_u32_e64 s11, v9, v50
	v_lshl_add_u32 v16, v16, 1, v12
	s_delay_alu instid0(VALU_DEP_3) | instskip(SKIP_4) | instid1(VALU_DEP_1)
	v_cmp_ge_u32_e64 s13, v5, v53
	ds_load_u16 v16, v16
	s_wait_dscnt 0x0
	v_cndmask_b32_e64 v55, v16, v52, s10
	v_cndmask_b32_e64 v64, v54, v16, s10
	v_cmp_le_i16_e64 s12, v64, v55
	s_and_b32 s11, s11, s12
	s_wait_alu 0xfffe
	s_or_b32 s11, s13, s11
	s_wait_alu 0xfffe
	v_cndmask_b32_e64 v20, v5, v9, s11
	v_cndmask_b32_e64 v16, v53, v50, s11
	v_cndmask_b32_e64 v49, v55, v64, s11
	s_delay_alu instid0(VALU_DEP_3) | instskip(NEXT) | instid1(VALU_DEP_3)
	v_add_nc_u32_e32 v17, 1, v20
	v_add_nc_u32_e32 v16, -1, v16
	s_delay_alu instid0(VALU_DEP_2) | instskip(NEXT) | instid1(VALU_DEP_2)
	v_cndmask_b32_e64 v9, v9, v17, s11
	v_min_u32_e32 v16, v17, v16
	v_cndmask_b32_e64 v5, v17, v5, s11
	s_delay_alu instid0(VALU_DEP_3) | instskip(NEXT) | instid1(VALU_DEP_3)
	v_cmp_lt_u32_e64 s12, v9, v50
	v_lshl_add_u32 v16, v16, 1, v12
	s_delay_alu instid0(VALU_DEP_3) | instskip(SKIP_4) | instid1(VALU_DEP_1)
	v_cmp_ge_u32_e64 s14, v5, v53
	ds_load_u16 v16, v16
	s_wait_dscnt 0x0
	v_cndmask_b32_e64 v65, v16, v55, s11
	v_cndmask_b32_e64 v66, v64, v16, s11
	v_cmp_le_i16_e64 s13, v66, v65
	s_and_b32 s12, s12, s13
	s_wait_alu 0xfffe
	s_or_b32 s12, s14, s12
	s_wait_alu 0xfffe
	v_cndmask_b32_e64 v21, v5, v9, s12
	v_cndmask_b32_e64 v16, v53, v50, s12
	s_delay_alu instid0(VALU_DEP_2) | instskip(NEXT) | instid1(VALU_DEP_2)
	v_add_nc_u32_e32 v17, 1, v21
	v_add_nc_u32_e32 v16, -1, v16
	v_lshl_add_u32 v24, v21, 3, v10
	s_delay_alu instid0(VALU_DEP_3) | instskip(NEXT) | instid1(VALU_DEP_3)
	v_cndmask_b32_e64 v9, v9, v17, s12
	v_min_u32_e32 v16, v17, v16
	v_cndmask_b32_e64 v5, v17, v5, s12
	s_delay_alu instid0(VALU_DEP_3) | instskip(NEXT) | instid1(VALU_DEP_3)
	v_cmp_lt_u32_e64 s13, v9, v50
	v_lshl_add_u32 v16, v16, 1, v12
	s_delay_alu instid0(VALU_DEP_3) | instskip(SKIP_4) | instid1(VALU_DEP_1)
	v_cmp_ge_u32_e64 s15, v5, v53
	ds_load_u16 v16, v16
	s_wait_dscnt 0x0
	v_cndmask_b32_e64 v67, v16, v65, s12
	v_cndmask_b32_e64 v68, v66, v16, s12
	v_cmp_le_i16_e64 s14, v68, v67
	s_and_b32 s13, s13, s14
	s_wait_alu 0xfffe
	s_or_b32 s13, s15, s13
	s_wait_alu 0xfffe
	v_cndmask_b32_e64 v22, v5, v9, s13
	v_cndmask_b32_e64 v16, v53, v50, s13
	v_cndmask_b32_e64 v52, v67, v68, s13
	s_delay_alu instid0(VALU_DEP_3) | instskip(NEXT) | instid1(VALU_DEP_3)
	v_add_nc_u32_e32 v17, 1, v22
	v_add_nc_u32_e32 v16, -1, v16
	v_lshl_add_u32 v48, v22, 3, v10
	s_delay_alu instid0(VALU_DEP_3) | instskip(NEXT) | instid1(VALU_DEP_3)
	v_cndmask_b32_e64 v9, v9, v17, s13
	v_min_u32_e32 v16, v17, v16
	v_cndmask_b32_e64 v23, v17, v5, s13
	v_lshl_add_u32 v17, v15, 3, v10
	s_delay_alu instid0(VALU_DEP_4) | instskip(NEXT) | instid1(VALU_DEP_4)
	v_cmp_lt_u32_e64 s14, v9, v50
	v_lshl_add_u32 v16, v16, 1, v12
	s_delay_alu instid0(VALU_DEP_4)
	v_cmp_ge_u32_e64 s16, v23, v53
	ds_load_u16 v16, v16
	s_wait_dscnt 0x0
	v_cndmask_b32_e64 v69, v16, v67, s13
	v_cndmask_b32_e64 v70, v68, v16, s13
	ds_load_b64 v[4:5], v4 offset:4096
	ds_load_b64 v[15:16], v8 offset:4096
	ds_load_b64 v[17:18], v17 offset:4096
	v_cmp_le_i16_e64 s15, v70, v69
	s_and_b32 s14, s14, s15
	s_wait_alu 0xfffe
	s_or_b32 s14, s16, s14
	s_wait_alu 0xfffe
	v_cndmask_b32_e64 v8, v23, v9, s14
	v_lshl_add_u32 v9, v19, 3, v10
	v_lshl_add_u32 v23, v20, 3, v10
	s_delay_alu instid0(VALU_DEP_3)
	v_lshl_add_u32 v50, v8, 3, v10
	ds_load_b64 v[19:20], v9 offset:4096
	ds_load_b64 v[21:22], v23 offset:4096
	;; [unrolled: 1-line block ×5, first 2 shown]
	v_cndmask_b32_e64 v48, v38, v39, s8
	v_cndmask_b32_e64 v39, v65, v66, s12
	;; [unrolled: 1-line block ×3, first 2 shown]
.LBB1029_194:
	s_wait_alu 0xfffe
	s_or_b32 exec_lo, exec_lo, s18
	v_and_b32_e32 v64, 0xe0, v35
	v_and_b32_e32 v54, 24, v35
	v_perm_b32 v68, v38, v52, 0x5040100
	v_perm_b32 v67, v39, v49, 0x5040100
	;; [unrolled: 1-line block ×3, first 2 shown]
	v_or_b32_e32 v50, 16, v64
	v_min_u32_e32 v65, v27, v54
	v_perm_b32 v69, v48, v37, 0x5040100
	s_mov_b32 s8, exec_lo
	s_delay_alu instid0(VALU_DEP_3)
	v_min_u32_e32 v50, v27, v50
	; wave barrier
	s_wait_dscnt 0x4
	ds_store_2addr_b64 v30, v[17:18], v[19:20] offset1:1
	s_wait_dscnt 0x3
	ds_store_2addr_b64 v31, v[21:22], v[25:26] offset1:1
	ds_store_2addr_b64 v29, v[4:5], v[15:16] offset1:1
	;; [unrolled: 1-line block ×3, first 2 shown]
	s_wait_dscnt 0x4
	ds_store_2addr_b64 v28, v[8:9], v[23:24] offset1:1
	v_add_nc_u32_e32 v53, 16, v50
	v_sub_nc_u32_e32 v54, v50, v64
	; wave barrier
	s_delay_alu instid0(VALU_DEP_2) | instskip(NEXT) | instid1(VALU_DEP_2)
	v_min_u32_e32 v53, v27, v53
	v_min_u32_e32 v66, v65, v54
	s_delay_alu instid0(VALU_DEP_2) | instskip(NEXT) | instid1(VALU_DEP_1)
	v_sub_nc_u32_e32 v55, v53, v50
	v_sub_nc_u32_e64 v54, v65, v55 clamp
	v_lshl_add_u32 v55, v64, 1, v12
	s_delay_alu instid0(VALU_DEP_2)
	v_cmpx_lt_u32_e64 v54, v66
	s_cbranch_execz .LBB1029_198
; %bb.195:
	v_lshlrev_b32_e32 v67, 1, v50
	v_lshlrev_b32_e32 v68, 1, v65
	s_mov_b32 s9, 0
	s_delay_alu instid0(VALU_DEP_1)
	v_add3_u32 v67, v12, v67, v68
.LBB1029_196:                           ; =>This Inner Loop Header: Depth=1
	v_add_nc_u32_e32 v68, v66, v54
	s_delay_alu instid0(VALU_DEP_1) | instskip(SKIP_1) | instid1(VALU_DEP_2)
	v_lshrrev_b32_e32 v69, 1, v68
	v_and_b32_e32 v68, -2, v68
	v_not_b32_e32 v70, v69
	s_delay_alu instid0(VALU_DEP_2) | instskip(SKIP_1) | instid1(VALU_DEP_3)
	v_add_nc_u32_e32 v68, v55, v68
	v_add_nc_u32_e32 v71, 1, v69
	v_lshl_add_u32 v70, v70, 1, v67
	ds_load_u16 v68, v68
	ds_load_u16 v70, v70
	s_wait_dscnt 0x0
	v_cmp_gt_i16_e64 s7, v68, v70
	s_wait_alu 0xf1ff
	s_delay_alu instid0(VALU_DEP_1) | instskip(SKIP_1) | instid1(VALU_DEP_1)
	v_cndmask_b32_e64 v66, v66, v69, s7
	v_cndmask_b32_e64 v54, v71, v54, s7
	v_cmp_ge_u32_e64 s7, v54, v66
	s_wait_alu 0xfffe
	s_or_b32 s9, s7, s9
	s_wait_alu 0xfffe
	s_and_not1_b32 exec_lo, exec_lo, s9
	s_cbranch_execnz .LBB1029_196
; %bb.197:
	s_or_b32 exec_lo, exec_lo, s9
.LBB1029_198:
	s_wait_alu 0xfffe
	s_or_b32 exec_lo, exec_lo, s8
	v_add_nc_u32_e32 v66, v50, v65
	v_add_nc_u32_e32 v65, v54, v64
	s_delay_alu instid0(VALU_DEP_2) | instskip(NEXT) | instid1(VALU_DEP_2)
	v_sub_nc_u32_e32 v64, v66, v54
	v_cmp_le_u32_e64 s7, v65, v50
	s_delay_alu instid0(VALU_DEP_2)
	v_cmp_le_u32_e64 s8, v64, v53
	s_or_b32 s7, s7, s8
	s_wait_alu 0xfffe
	s_and_saveexec_b32 s18, s7
	s_cbranch_execz .LBB1029_204
; %bb.199:
	v_cmp_lt_u32_e64 s7, v65, v50
                                        ; implicit-def: $vgpr32
	s_and_saveexec_b32 s8, s7
; %bb.200:
	v_lshl_add_u32 v4, v54, 1, v55
	ds_load_u16 v32, v4
; %bb.201:
	s_wait_alu 0xfffe
	s_or_b32 exec_lo, exec_lo, s8
	v_cmp_ge_u32_e64 s8, v64, v53
	s_mov_b32 s10, exec_lo
                                        ; implicit-def: $vgpr37
	v_cmpx_lt_u32_e64 v64, v53
; %bb.202:
	v_lshl_add_u32 v4, v64, 1, v12
	ds_load_u16 v37, v4
; %bb.203:
	s_wait_alu 0xfffe
	s_or_b32 exec_lo, exec_lo, s10
	s_wait_dscnt 0x0
	v_cmp_le_i16_e64 s9, v32, v37
	s_and_b32 s7, s7, s9
	s_wait_alu 0xfffe
	s_or_b32 s7, s8, s7
	s_wait_alu 0xfffe
	v_cndmask_b32_e64 v4, v64, v65, s7
	v_cndmask_b32_e64 v5, v53, v50, s7
	s_delay_alu instid0(VALU_DEP_2) | instskip(NEXT) | instid1(VALU_DEP_2)
	v_add_nc_u32_e32 v8, 1, v4
	v_add_nc_u32_e32 v5, -1, v5
	v_lshl_add_u32 v4, v4, 3, v10
	s_delay_alu instid0(VALU_DEP_3) | instskip(NEXT) | instid1(VALU_DEP_3)
	v_cndmask_b32_e64 v9, v65, v8, s7
	v_min_u32_e32 v5, v8, v5
	s_delay_alu instid0(VALU_DEP_2) | instskip(NEXT) | instid1(VALU_DEP_2)
	v_cmp_lt_u32_e64 s8, v9, v50
	v_lshl_add_u32 v5, v5, 1, v12
	ds_load_u16 v5, v5
	s_wait_dscnt 0x0
	v_cndmask_b32_e64 v38, v5, v37, s7
	v_cndmask_b32_e64 v39, v32, v5, s7
	v_cndmask_b32_e64 v5, v8, v64, s7
	v_cndmask_b32_e64 v37, v37, v32, s7
	s_delay_alu instid0(VALU_DEP_3) | instskip(NEXT) | instid1(VALU_DEP_3)
	v_cmp_le_i16_e64 s9, v39, v38
	v_cmp_ge_u32_e64 s10, v5, v53
	s_and_b32 s8, s8, s9
	s_wait_alu 0xfffe
	s_or_b32 s8, s10, s8
	s_wait_alu 0xfffe
	v_cndmask_b32_e64 v8, v5, v9, s8
	v_cndmask_b32_e64 v15, v53, v50, s8
	s_delay_alu instid0(VALU_DEP_2) | instskip(NEXT) | instid1(VALU_DEP_2)
	v_add_nc_u32_e32 v16, 1, v8
	v_add_nc_u32_e32 v15, -1, v15
	v_lshl_add_u32 v8, v8, 3, v10
	s_delay_alu instid0(VALU_DEP_3) | instskip(NEXT) | instid1(VALU_DEP_3)
	v_cndmask_b32_e64 v9, v9, v16, s8
	v_min_u32_e32 v15, v16, v15
	v_cndmask_b32_e64 v5, v16, v5, s8
	s_delay_alu instid0(VALU_DEP_3) | instskip(NEXT) | instid1(VALU_DEP_3)
	v_cmp_lt_u32_e64 s9, v9, v50
	v_lshl_add_u32 v15, v15, 1, v12
	s_delay_alu instid0(VALU_DEP_3) | instskip(SKIP_4) | instid1(VALU_DEP_1)
	v_cmp_ge_u32_e64 s11, v5, v53
	ds_load_u16 v15, v15
	s_wait_dscnt 0x0
	v_cndmask_b32_e64 v49, v15, v38, s8
	v_cndmask_b32_e64 v51, v39, v15, s8
	v_cmp_le_i16_e64 s10, v51, v49
	s_and_b32 s9, s9, s10
	s_wait_alu 0xfffe
	s_or_b32 s9, s11, s9
	s_wait_alu 0xfffe
	v_cndmask_b32_e64 v15, v5, v9, s9
	v_cndmask_b32_e64 v16, v53, v50, s9
	v_cndmask_b32_e64 v32, v49, v51, s9
	s_delay_alu instid0(VALU_DEP_3) | instskip(NEXT) | instid1(VALU_DEP_3)
	v_add_nc_u32_e32 v17, 1, v15
	v_add_nc_u32_e32 v16, -1, v16
	s_delay_alu instid0(VALU_DEP_2) | instskip(NEXT) | instid1(VALU_DEP_2)
	v_cndmask_b32_e64 v9, v9, v17, s9
	v_min_u32_e32 v16, v17, v16
	v_cndmask_b32_e64 v5, v17, v5, s9
	s_delay_alu instid0(VALU_DEP_3) | instskip(NEXT) | instid1(VALU_DEP_3)
	v_cmp_lt_u32_e64 s10, v9, v50
	v_lshl_add_u32 v16, v16, 1, v12
	s_delay_alu instid0(VALU_DEP_3) | instskip(SKIP_4) | instid1(VALU_DEP_1)
	v_cmp_ge_u32_e64 s12, v5, v53
	ds_load_u16 v16, v16
	s_wait_dscnt 0x0
	v_cndmask_b32_e64 v52, v16, v49, s9
	v_cndmask_b32_e64 v54, v51, v16, s9
	v_cmp_le_i16_e64 s11, v54, v52
	s_and_b32 s10, s10, s11
	s_wait_alu 0xfffe
	s_or_b32 s10, s12, s10
	s_wait_alu 0xfffe
	v_cndmask_b32_e64 v19, v5, v9, s10
	v_cndmask_b32_e64 v16, v53, v50, s10
	v_cndmask_b32_e64 v51, v52, v54, s10
	s_delay_alu instid0(VALU_DEP_3) | instskip(NEXT) | instid1(VALU_DEP_3)
	v_add_nc_u32_e32 v17, 1, v19
	v_add_nc_u32_e32 v16, -1, v16
	s_delay_alu instid0(VALU_DEP_2) | instskip(NEXT) | instid1(VALU_DEP_2)
	;; [unrolled: 24-line block ×3, first 2 shown]
	v_cndmask_b32_e64 v9, v9, v17, s11
	v_min_u32_e32 v16, v17, v16
	v_cndmask_b32_e64 v5, v17, v5, s11
	s_delay_alu instid0(VALU_DEP_3) | instskip(NEXT) | instid1(VALU_DEP_3)
	v_cmp_lt_u32_e64 s12, v9, v50
	v_lshl_add_u32 v16, v16, 1, v12
	s_delay_alu instid0(VALU_DEP_3) | instskip(SKIP_4) | instid1(VALU_DEP_1)
	v_cmp_ge_u32_e64 s14, v5, v53
	ds_load_u16 v16, v16
	s_wait_dscnt 0x0
	v_cndmask_b32_e64 v65, v16, v55, s11
	v_cndmask_b32_e64 v66, v64, v16, s11
	v_cmp_le_i16_e64 s13, v66, v65
	s_and_b32 s12, s12, s13
	s_wait_alu 0xfffe
	s_or_b32 s12, s14, s12
	s_wait_alu 0xfffe
	v_cndmask_b32_e64 v21, v5, v9, s12
	v_cndmask_b32_e64 v16, v53, v50, s12
	s_delay_alu instid0(VALU_DEP_2) | instskip(NEXT) | instid1(VALU_DEP_2)
	v_add_nc_u32_e32 v17, 1, v21
	v_add_nc_u32_e32 v16, -1, v16
	v_lshl_add_u32 v24, v21, 3, v10
	s_delay_alu instid0(VALU_DEP_3) | instskip(NEXT) | instid1(VALU_DEP_3)
	v_cndmask_b32_e64 v9, v9, v17, s12
	v_min_u32_e32 v16, v17, v16
	v_cndmask_b32_e64 v5, v17, v5, s12
	s_delay_alu instid0(VALU_DEP_3) | instskip(NEXT) | instid1(VALU_DEP_3)
	v_cmp_lt_u32_e64 s13, v9, v50
	v_lshl_add_u32 v16, v16, 1, v12
	s_delay_alu instid0(VALU_DEP_3) | instskip(SKIP_4) | instid1(VALU_DEP_1)
	v_cmp_ge_u32_e64 s15, v5, v53
	ds_load_u16 v16, v16
	s_wait_dscnt 0x0
	v_cndmask_b32_e64 v67, v16, v65, s12
	v_cndmask_b32_e64 v68, v66, v16, s12
	v_cmp_le_i16_e64 s14, v68, v67
	s_and_b32 s13, s13, s14
	s_wait_alu 0xfffe
	s_or_b32 s13, s15, s13
	s_wait_alu 0xfffe
	v_cndmask_b32_e64 v22, v5, v9, s13
	v_cndmask_b32_e64 v16, v53, v50, s13
	v_cndmask_b32_e64 v52, v67, v68, s13
	s_delay_alu instid0(VALU_DEP_3) | instskip(NEXT) | instid1(VALU_DEP_3)
	v_add_nc_u32_e32 v17, 1, v22
	v_add_nc_u32_e32 v16, -1, v16
	v_lshl_add_u32 v48, v22, 3, v10
	s_delay_alu instid0(VALU_DEP_3) | instskip(NEXT) | instid1(VALU_DEP_3)
	v_cndmask_b32_e64 v9, v9, v17, s13
	v_min_u32_e32 v16, v17, v16
	v_cndmask_b32_e64 v23, v17, v5, s13
	v_lshl_add_u32 v17, v15, 3, v10
	s_delay_alu instid0(VALU_DEP_4) | instskip(NEXT) | instid1(VALU_DEP_4)
	v_cmp_lt_u32_e64 s14, v9, v50
	v_lshl_add_u32 v16, v16, 1, v12
	s_delay_alu instid0(VALU_DEP_4)
	v_cmp_ge_u32_e64 s16, v23, v53
	ds_load_u16 v16, v16
	s_wait_dscnt 0x0
	v_cndmask_b32_e64 v69, v16, v67, s13
	v_cndmask_b32_e64 v70, v68, v16, s13
	ds_load_b64 v[4:5], v4 offset:4096
	ds_load_b64 v[15:16], v8 offset:4096
	;; [unrolled: 1-line block ×3, first 2 shown]
	v_cmp_le_i16_e64 s15, v70, v69
	s_and_b32 s14, s14, s15
	s_wait_alu 0xfffe
	s_or_b32 s14, s16, s14
	s_wait_alu 0xfffe
	v_cndmask_b32_e64 v8, v23, v9, s14
	v_lshl_add_u32 v9, v19, 3, v10
	v_lshl_add_u32 v23, v20, 3, v10
	s_delay_alu instid0(VALU_DEP_3)
	v_lshl_add_u32 v50, v8, 3, v10
	ds_load_b64 v[19:20], v9 offset:4096
	ds_load_b64 v[21:22], v23 offset:4096
	;; [unrolled: 1-line block ×5, first 2 shown]
	v_cndmask_b32_e64 v48, v38, v39, s8
	v_cndmask_b32_e64 v39, v65, v66, s12
	;; [unrolled: 1-line block ×3, first 2 shown]
.LBB1029_204:
	s_wait_alu 0xfffe
	s_or_b32 exec_lo, exec_lo, s18
	v_and_b32_e32 v64, 0xc0, v35
	v_and_b32_e32 v54, 56, v35
	v_perm_b32 v68, v38, v52, 0x5040100
	v_perm_b32 v67, v39, v49, 0x5040100
	;; [unrolled: 1-line block ×3, first 2 shown]
	v_or_b32_e32 v50, 32, v64
	v_min_u32_e32 v65, v27, v54
	v_perm_b32 v69, v48, v37, 0x5040100
	s_mov_b32 s8, exec_lo
	s_delay_alu instid0(VALU_DEP_3)
	v_min_u32_e32 v50, v27, v50
	; wave barrier
	s_wait_dscnt 0x4
	ds_store_2addr_b64 v30, v[17:18], v[19:20] offset1:1
	s_wait_dscnt 0x3
	ds_store_2addr_b64 v31, v[21:22], v[25:26] offset1:1
	ds_store_2addr_b64 v29, v[4:5], v[15:16] offset1:1
	;; [unrolled: 1-line block ×3, first 2 shown]
	s_wait_dscnt 0x4
	ds_store_2addr_b64 v28, v[8:9], v[23:24] offset1:1
	v_add_nc_u32_e32 v53, 32, v50
	v_sub_nc_u32_e32 v54, v50, v64
	; wave barrier
	s_delay_alu instid0(VALU_DEP_2) | instskip(NEXT) | instid1(VALU_DEP_2)
	v_min_u32_e32 v53, v27, v53
	v_min_u32_e32 v66, v65, v54
	s_delay_alu instid0(VALU_DEP_2) | instskip(NEXT) | instid1(VALU_DEP_1)
	v_sub_nc_u32_e32 v55, v53, v50
	v_sub_nc_u32_e64 v54, v65, v55 clamp
	v_lshl_add_u32 v55, v64, 1, v12
	s_delay_alu instid0(VALU_DEP_2)
	v_cmpx_lt_u32_e64 v54, v66
	s_cbranch_execz .LBB1029_208
; %bb.205:
	v_lshlrev_b32_e32 v67, 1, v50
	v_lshlrev_b32_e32 v68, 1, v65
	s_mov_b32 s9, 0
	s_delay_alu instid0(VALU_DEP_1)
	v_add3_u32 v67, v12, v67, v68
.LBB1029_206:                           ; =>This Inner Loop Header: Depth=1
	v_add_nc_u32_e32 v68, v66, v54
	s_delay_alu instid0(VALU_DEP_1) | instskip(SKIP_1) | instid1(VALU_DEP_2)
	v_lshrrev_b32_e32 v69, 1, v68
	v_and_b32_e32 v68, -2, v68
	v_not_b32_e32 v70, v69
	s_delay_alu instid0(VALU_DEP_2) | instskip(SKIP_1) | instid1(VALU_DEP_3)
	v_add_nc_u32_e32 v68, v55, v68
	v_add_nc_u32_e32 v71, 1, v69
	v_lshl_add_u32 v70, v70, 1, v67
	ds_load_u16 v68, v68
	ds_load_u16 v70, v70
	s_wait_dscnt 0x0
	v_cmp_gt_i16_e64 s7, v68, v70
	s_wait_alu 0xf1ff
	s_delay_alu instid0(VALU_DEP_1) | instskip(SKIP_1) | instid1(VALU_DEP_1)
	v_cndmask_b32_e64 v66, v66, v69, s7
	v_cndmask_b32_e64 v54, v71, v54, s7
	v_cmp_ge_u32_e64 s7, v54, v66
	s_wait_alu 0xfffe
	s_or_b32 s9, s7, s9
	s_wait_alu 0xfffe
	s_and_not1_b32 exec_lo, exec_lo, s9
	s_cbranch_execnz .LBB1029_206
; %bb.207:
	s_or_b32 exec_lo, exec_lo, s9
.LBB1029_208:
	s_wait_alu 0xfffe
	s_or_b32 exec_lo, exec_lo, s8
	v_add_nc_u32_e32 v66, v50, v65
	v_add_nc_u32_e32 v65, v54, v64
	s_delay_alu instid0(VALU_DEP_2) | instskip(NEXT) | instid1(VALU_DEP_2)
	v_sub_nc_u32_e32 v64, v66, v54
	v_cmp_le_u32_e64 s7, v65, v50
	s_delay_alu instid0(VALU_DEP_2)
	v_cmp_le_u32_e64 s8, v64, v53
	s_or_b32 s7, s7, s8
	s_wait_alu 0xfffe
	s_and_saveexec_b32 s18, s7
	s_cbranch_execz .LBB1029_214
; %bb.209:
	v_cmp_lt_u32_e64 s7, v65, v50
                                        ; implicit-def: $vgpr32
	s_and_saveexec_b32 s8, s7
; %bb.210:
	v_lshl_add_u32 v4, v54, 1, v55
	ds_load_u16 v32, v4
; %bb.211:
	s_wait_alu 0xfffe
	s_or_b32 exec_lo, exec_lo, s8
	v_cmp_ge_u32_e64 s8, v64, v53
	s_mov_b32 s10, exec_lo
                                        ; implicit-def: $vgpr37
	v_cmpx_lt_u32_e64 v64, v53
; %bb.212:
	v_lshl_add_u32 v4, v64, 1, v12
	ds_load_u16 v37, v4
; %bb.213:
	s_wait_alu 0xfffe
	s_or_b32 exec_lo, exec_lo, s10
	s_wait_dscnt 0x0
	v_cmp_le_i16_e64 s9, v32, v37
	s_and_b32 s7, s7, s9
	s_wait_alu 0xfffe
	s_or_b32 s7, s8, s7
	s_wait_alu 0xfffe
	v_cndmask_b32_e64 v4, v64, v65, s7
	v_cndmask_b32_e64 v5, v53, v50, s7
	s_delay_alu instid0(VALU_DEP_2) | instskip(NEXT) | instid1(VALU_DEP_2)
	v_add_nc_u32_e32 v8, 1, v4
	v_add_nc_u32_e32 v5, -1, v5
	v_lshl_add_u32 v4, v4, 3, v10
	s_delay_alu instid0(VALU_DEP_3) | instskip(NEXT) | instid1(VALU_DEP_3)
	v_cndmask_b32_e64 v9, v65, v8, s7
	v_min_u32_e32 v5, v8, v5
	s_delay_alu instid0(VALU_DEP_2) | instskip(NEXT) | instid1(VALU_DEP_2)
	v_cmp_lt_u32_e64 s8, v9, v50
	v_lshl_add_u32 v5, v5, 1, v12
	ds_load_u16 v5, v5
	s_wait_dscnt 0x0
	v_cndmask_b32_e64 v38, v5, v37, s7
	v_cndmask_b32_e64 v39, v32, v5, s7
	;; [unrolled: 1-line block ×4, first 2 shown]
	s_delay_alu instid0(VALU_DEP_3) | instskip(NEXT) | instid1(VALU_DEP_3)
	v_cmp_le_i16_e64 s9, v39, v38
	v_cmp_ge_u32_e64 s10, v5, v53
	s_and_b32 s8, s8, s9
	s_wait_alu 0xfffe
	s_or_b32 s8, s10, s8
	s_wait_alu 0xfffe
	v_cndmask_b32_e64 v8, v5, v9, s8
	v_cndmask_b32_e64 v15, v53, v50, s8
	s_delay_alu instid0(VALU_DEP_2) | instskip(NEXT) | instid1(VALU_DEP_2)
	v_add_nc_u32_e32 v16, 1, v8
	v_add_nc_u32_e32 v15, -1, v15
	v_lshl_add_u32 v8, v8, 3, v10
	s_delay_alu instid0(VALU_DEP_3) | instskip(NEXT) | instid1(VALU_DEP_3)
	v_cndmask_b32_e64 v9, v9, v16, s8
	v_min_u32_e32 v15, v16, v15
	v_cndmask_b32_e64 v5, v16, v5, s8
	s_delay_alu instid0(VALU_DEP_3) | instskip(NEXT) | instid1(VALU_DEP_3)
	v_cmp_lt_u32_e64 s9, v9, v50
	v_lshl_add_u32 v15, v15, 1, v12
	s_delay_alu instid0(VALU_DEP_3) | instskip(SKIP_4) | instid1(VALU_DEP_1)
	v_cmp_ge_u32_e64 s11, v5, v53
	ds_load_u16 v15, v15
	s_wait_dscnt 0x0
	v_cndmask_b32_e64 v49, v15, v38, s8
	v_cndmask_b32_e64 v51, v39, v15, s8
	v_cmp_le_i16_e64 s10, v51, v49
	s_and_b32 s9, s9, s10
	s_wait_alu 0xfffe
	s_or_b32 s9, s11, s9
	s_wait_alu 0xfffe
	v_cndmask_b32_e64 v15, v5, v9, s9
	v_cndmask_b32_e64 v16, v53, v50, s9
	v_cndmask_b32_e64 v32, v49, v51, s9
	s_delay_alu instid0(VALU_DEP_3) | instskip(NEXT) | instid1(VALU_DEP_3)
	v_add_nc_u32_e32 v17, 1, v15
	v_add_nc_u32_e32 v16, -1, v16
	s_delay_alu instid0(VALU_DEP_2) | instskip(NEXT) | instid1(VALU_DEP_2)
	v_cndmask_b32_e64 v9, v9, v17, s9
	v_min_u32_e32 v16, v17, v16
	v_cndmask_b32_e64 v5, v17, v5, s9
	s_delay_alu instid0(VALU_DEP_3) | instskip(NEXT) | instid1(VALU_DEP_3)
	v_cmp_lt_u32_e64 s10, v9, v50
	v_lshl_add_u32 v16, v16, 1, v12
	s_delay_alu instid0(VALU_DEP_3) | instskip(SKIP_4) | instid1(VALU_DEP_1)
	v_cmp_ge_u32_e64 s12, v5, v53
	ds_load_u16 v16, v16
	s_wait_dscnt 0x0
	v_cndmask_b32_e64 v52, v16, v49, s9
	v_cndmask_b32_e64 v54, v51, v16, s9
	v_cmp_le_i16_e64 s11, v54, v52
	s_and_b32 s10, s10, s11
	s_wait_alu 0xfffe
	s_or_b32 s10, s12, s10
	s_wait_alu 0xfffe
	v_cndmask_b32_e64 v19, v5, v9, s10
	v_cndmask_b32_e64 v16, v53, v50, s10
	v_cndmask_b32_e64 v51, v52, v54, s10
	s_delay_alu instid0(VALU_DEP_3) | instskip(NEXT) | instid1(VALU_DEP_3)
	v_add_nc_u32_e32 v17, 1, v19
	v_add_nc_u32_e32 v16, -1, v16
	s_delay_alu instid0(VALU_DEP_2) | instskip(NEXT) | instid1(VALU_DEP_2)
	;; [unrolled: 24-line block ×3, first 2 shown]
	v_cndmask_b32_e64 v9, v9, v17, s11
	v_min_u32_e32 v16, v17, v16
	v_cndmask_b32_e64 v5, v17, v5, s11
	s_delay_alu instid0(VALU_DEP_3) | instskip(NEXT) | instid1(VALU_DEP_3)
	v_cmp_lt_u32_e64 s12, v9, v50
	v_lshl_add_u32 v16, v16, 1, v12
	s_delay_alu instid0(VALU_DEP_3) | instskip(SKIP_4) | instid1(VALU_DEP_1)
	v_cmp_ge_u32_e64 s14, v5, v53
	ds_load_u16 v16, v16
	s_wait_dscnt 0x0
	v_cndmask_b32_e64 v65, v16, v55, s11
	v_cndmask_b32_e64 v66, v64, v16, s11
	v_cmp_le_i16_e64 s13, v66, v65
	s_and_b32 s12, s12, s13
	s_wait_alu 0xfffe
	s_or_b32 s12, s14, s12
	s_wait_alu 0xfffe
	v_cndmask_b32_e64 v21, v5, v9, s12
	v_cndmask_b32_e64 v16, v53, v50, s12
	s_delay_alu instid0(VALU_DEP_2) | instskip(NEXT) | instid1(VALU_DEP_2)
	v_add_nc_u32_e32 v17, 1, v21
	v_add_nc_u32_e32 v16, -1, v16
	v_lshl_add_u32 v24, v21, 3, v10
	s_delay_alu instid0(VALU_DEP_3) | instskip(NEXT) | instid1(VALU_DEP_3)
	v_cndmask_b32_e64 v9, v9, v17, s12
	v_min_u32_e32 v16, v17, v16
	v_cndmask_b32_e64 v5, v17, v5, s12
	s_delay_alu instid0(VALU_DEP_3) | instskip(NEXT) | instid1(VALU_DEP_3)
	v_cmp_lt_u32_e64 s13, v9, v50
	v_lshl_add_u32 v16, v16, 1, v12
	s_delay_alu instid0(VALU_DEP_3) | instskip(SKIP_4) | instid1(VALU_DEP_1)
	v_cmp_ge_u32_e64 s15, v5, v53
	ds_load_u16 v16, v16
	s_wait_dscnt 0x0
	v_cndmask_b32_e64 v67, v16, v65, s12
	v_cndmask_b32_e64 v68, v66, v16, s12
	v_cmp_le_i16_e64 s14, v68, v67
	s_and_b32 s13, s13, s14
	s_wait_alu 0xfffe
	s_or_b32 s13, s15, s13
	s_wait_alu 0xfffe
	v_cndmask_b32_e64 v22, v5, v9, s13
	v_cndmask_b32_e64 v16, v53, v50, s13
	;; [unrolled: 1-line block ×3, first 2 shown]
	s_delay_alu instid0(VALU_DEP_3) | instskip(NEXT) | instid1(VALU_DEP_3)
	v_add_nc_u32_e32 v17, 1, v22
	v_add_nc_u32_e32 v16, -1, v16
	v_lshl_add_u32 v48, v22, 3, v10
	s_delay_alu instid0(VALU_DEP_3) | instskip(NEXT) | instid1(VALU_DEP_3)
	v_cndmask_b32_e64 v9, v9, v17, s13
	v_min_u32_e32 v16, v17, v16
	v_cndmask_b32_e64 v23, v17, v5, s13
	v_lshl_add_u32 v17, v15, 3, v10
	s_delay_alu instid0(VALU_DEP_4) | instskip(NEXT) | instid1(VALU_DEP_4)
	v_cmp_lt_u32_e64 s14, v9, v50
	v_lshl_add_u32 v16, v16, 1, v12
	s_delay_alu instid0(VALU_DEP_4)
	v_cmp_ge_u32_e64 s16, v23, v53
	ds_load_u16 v16, v16
	s_wait_dscnt 0x0
	v_cndmask_b32_e64 v69, v16, v67, s13
	v_cndmask_b32_e64 v70, v68, v16, s13
	ds_load_b64 v[4:5], v4 offset:4096
	ds_load_b64 v[15:16], v8 offset:4096
	ds_load_b64 v[17:18], v17 offset:4096
	v_cmp_le_i16_e64 s15, v70, v69
	s_and_b32 s14, s14, s15
	s_wait_alu 0xfffe
	s_or_b32 s14, s16, s14
	s_wait_alu 0xfffe
	v_cndmask_b32_e64 v8, v23, v9, s14
	v_lshl_add_u32 v9, v19, 3, v10
	v_lshl_add_u32 v23, v20, 3, v10
	s_delay_alu instid0(VALU_DEP_3)
	v_lshl_add_u32 v50, v8, 3, v10
	ds_load_b64 v[19:20], v9 offset:4096
	ds_load_b64 v[21:22], v23 offset:4096
	;; [unrolled: 1-line block ×5, first 2 shown]
	v_cndmask_b32_e64 v48, v38, v39, s8
	v_cndmask_b32_e64 v39, v65, v66, s12
	;; [unrolled: 1-line block ×3, first 2 shown]
.LBB1029_214:
	s_wait_alu 0xfffe
	s_or_b32 exec_lo, exec_lo, s18
	v_and_b32_e32 v53, 0x80, v35
	v_min_u32_e32 v36, v27, v36
	; wave barrier
	s_wait_dscnt 0x4
	ds_store_2addr_b64 v30, v[17:18], v[19:20] offset1:1
	s_wait_dscnt 0x3
	ds_store_2addr_b64 v31, v[21:22], v[25:26] offset1:1
	v_or_b32_e32 v35, 64, v53
	v_lshl_add_u32 v30, v53, 1, v12
	v_perm_b32 v65, v38, v52, 0x5040100
	v_perm_b32 v64, v39, v49, 0x5040100
	;; [unrolled: 1-line block ×3, first 2 shown]
	v_min_u32_e32 v50, v27, v35
	v_perm_b32 v66, v48, v37, 0x5040100
	s_mov_b32 s8, exec_lo
	ds_store_2addr_b64 v29, v[4:5], v[15:16] offset1:1
	ds_store_2addr_b64 v11, v[66:67], v[64:65] offset1:1
	s_wait_dscnt 0x4
	ds_store_2addr_b64 v28, v[8:9], v[23:24] offset1:1
	v_add_nc_u32_e32 v35, 64, v50
	; wave barrier
	s_delay_alu instid0(VALU_DEP_1) | instskip(SKIP_1) | instid1(VALU_DEP_2)
	v_min_u32_e32 v35, v27, v35
	v_sub_nc_u32_e32 v27, v50, v53
	v_sub_nc_u32_e32 v55, v35, v50
	s_delay_alu instid0(VALU_DEP_2) | instskip(NEXT) | instid1(VALU_DEP_2)
	v_min_u32_e32 v54, v36, v27
	v_sub_nc_u32_e64 v27, v36, v55 clamp
	s_delay_alu instid0(VALU_DEP_1)
	v_cmpx_lt_u32_e64 v27, v54
	s_cbranch_execz .LBB1029_218
; %bb.215:
	v_lshlrev_b32_e32 v11, 1, v50
	v_lshlrev_b32_e32 v28, 1, v36
	s_mov_b32 s9, 0
	s_delay_alu instid0(VALU_DEP_1)
	v_add3_u32 v11, v12, v11, v28
.LBB1029_216:                           ; =>This Inner Loop Header: Depth=1
	v_add_nc_u32_e32 v28, v54, v27
	s_delay_alu instid0(VALU_DEP_1) | instskip(SKIP_1) | instid1(VALU_DEP_2)
	v_lshrrev_b32_e32 v29, 1, v28
	v_and_b32_e32 v28, -2, v28
	v_not_b32_e32 v31, v29
	s_delay_alu instid0(VALU_DEP_2) | instskip(SKIP_1) | instid1(VALU_DEP_3)
	v_add_nc_u32_e32 v28, v30, v28
	v_add_nc_u32_e32 v55, 1, v29
	v_lshl_add_u32 v31, v31, 1, v11
	ds_load_u16 v28, v28
	ds_load_u16 v31, v31
	s_wait_dscnt 0x0
	v_cmp_gt_i16_e64 s7, v28, v31
	s_wait_alu 0xf1ff
	s_delay_alu instid0(VALU_DEP_1) | instskip(SKIP_1) | instid1(VALU_DEP_1)
	v_cndmask_b32_e64 v54, v54, v29, s7
	v_cndmask_b32_e64 v27, v55, v27, s7
	v_cmp_ge_u32_e64 s7, v27, v54
	s_wait_alu 0xfffe
	s_or_b32 s9, s7, s9
	s_wait_alu 0xfffe
	s_and_not1_b32 exec_lo, exec_lo, s9
	s_cbranch_execnz .LBB1029_216
; %bb.217:
	s_or_b32 exec_lo, exec_lo, s9
.LBB1029_218:
	s_wait_alu 0xfffe
	s_or_b32 exec_lo, exec_lo, s8
	v_add_nc_u32_e32 v11, v50, v36
	v_add_nc_u32_e32 v29, v27, v53
	s_delay_alu instid0(VALU_DEP_2) | instskip(NEXT) | instid1(VALU_DEP_2)
	v_sub_nc_u32_e32 v28, v11, v27
	v_cmp_le_u32_e64 s7, v29, v50
	s_delay_alu instid0(VALU_DEP_2)
	v_cmp_le_u32_e64 s8, v28, v35
	s_or_b32 s7, s7, s8
	s_wait_alu 0xfffe
	s_and_saveexec_b32 s18, s7
	s_cbranch_execz .LBB1029_224
; %bb.219:
	v_cmp_lt_u32_e64 s7, v29, v50
                                        ; implicit-def: $vgpr11
	s_and_saveexec_b32 s8, s7
; %bb.220:
	v_lshl_add_u32 v4, v27, 1, v30
	ds_load_u16 v11, v4
; %bb.221:
	s_wait_alu 0xfffe
	s_or_b32 exec_lo, exec_lo, s8
	v_cmp_ge_u32_e64 s8, v28, v35
	s_mov_b32 s10, exec_lo
                                        ; implicit-def: $vgpr27
	v_cmpx_lt_u32_e64 v28, v35
; %bb.222:
	v_lshl_add_u32 v4, v28, 1, v12
	ds_load_u16 v27, v4
; %bb.223:
	s_wait_alu 0xfffe
	s_or_b32 exec_lo, exec_lo, s10
	s_wait_dscnt 0x0
	v_cmp_le_i16_e64 s9, v11, v27
	s_and_b32 s7, s7, s9
	s_wait_alu 0xfffe
	s_or_b32 s7, s8, s7
	s_wait_alu 0xfffe
	v_cndmask_b32_e64 v4, v28, v29, s7
	v_cndmask_b32_e64 v5, v35, v50, s7
	;; [unrolled: 1-line block ×3, first 2 shown]
	s_delay_alu instid0(VALU_DEP_3) | instskip(NEXT) | instid1(VALU_DEP_3)
	v_add_nc_u32_e32 v8, 1, v4
	v_add_nc_u32_e32 v5, -1, v5
	v_lshl_add_u32 v4, v4, 3, v10
	s_delay_alu instid0(VALU_DEP_3) | instskip(NEXT) | instid1(VALU_DEP_3)
	v_cndmask_b32_e64 v9, v29, v8, s7
	v_min_u32_e32 v5, v8, v5
	s_delay_alu instid0(VALU_DEP_2) | instskip(NEXT) | instid1(VALU_DEP_2)
	v_cmp_lt_u32_e64 s8, v9, v50
	v_lshl_add_u32 v5, v5, 1, v12
	ds_load_u16 v5, v5
	s_wait_dscnt 0x0
	v_cndmask_b32_e64 v29, v5, v27, s7
	v_cndmask_b32_e64 v30, v11, v5, s7
	;; [unrolled: 1-line block ×3, first 2 shown]
	s_delay_alu instid0(VALU_DEP_2) | instskip(NEXT) | instid1(VALU_DEP_2)
	v_cmp_le_i16_e64 s9, v30, v29
	v_cmp_ge_u32_e64 s10, v5, v35
	s_and_b32 s8, s8, s9
	s_wait_alu 0xfffe
	s_or_b32 s8, s10, s8
	s_wait_alu 0xfffe
	v_cndmask_b32_e64 v8, v5, v9, s8
	v_cndmask_b32_e64 v15, v35, v50, s8
	;; [unrolled: 1-line block ×3, first 2 shown]
	s_delay_alu instid0(VALU_DEP_3) | instskip(NEXT) | instid1(VALU_DEP_3)
	v_add_nc_u32_e32 v16, 1, v8
	v_add_nc_u32_e32 v15, -1, v15
	v_lshl_add_u32 v8, v8, 3, v10
	s_delay_alu instid0(VALU_DEP_3) | instskip(NEXT) | instid1(VALU_DEP_3)
	v_cndmask_b32_e64 v9, v9, v16, s8
	v_min_u32_e32 v15, v16, v15
	v_cndmask_b32_e64 v5, v16, v5, s8
	s_delay_alu instid0(VALU_DEP_3) | instskip(NEXT) | instid1(VALU_DEP_3)
	v_cmp_lt_u32_e64 s9, v9, v50
	v_lshl_add_u32 v15, v15, 1, v12
	s_delay_alu instid0(VALU_DEP_3) | instskip(SKIP_4) | instid1(VALU_DEP_1)
	v_cmp_ge_u32_e64 s11, v5, v35
	ds_load_u16 v15, v15
	s_wait_dscnt 0x0
	v_cndmask_b32_e64 v28, v15, v29, s8
	v_cndmask_b32_e64 v31, v30, v15, s8
	v_cmp_le_i16_e64 s10, v31, v28
	s_and_b32 s9, s9, s10
	s_wait_alu 0xfffe
	s_or_b32 s9, s11, s9
	s_wait_alu 0xfffe
	v_cndmask_b32_e64 v15, v5, v9, s9
	v_cndmask_b32_e64 v16, v35, v50, s9
	s_delay_alu instid0(VALU_DEP_2) | instskip(NEXT) | instid1(VALU_DEP_2)
	v_add_nc_u32_e32 v17, 1, v15
	v_add_nc_u32_e32 v16, -1, v16
	s_delay_alu instid0(VALU_DEP_2) | instskip(NEXT) | instid1(VALU_DEP_2)
	v_cndmask_b32_e64 v9, v9, v17, s9
	v_min_u32_e32 v16, v17, v16
	v_cndmask_b32_e64 v5, v17, v5, s9
	s_delay_alu instid0(VALU_DEP_3) | instskip(NEXT) | instid1(VALU_DEP_3)
	v_cmp_lt_u32_e64 s10, v9, v50
	v_lshl_add_u32 v16, v16, 1, v12
	s_delay_alu instid0(VALU_DEP_3) | instskip(SKIP_4) | instid1(VALU_DEP_1)
	v_cmp_ge_u32_e64 s12, v5, v35
	ds_load_u16 v16, v16
	s_wait_dscnt 0x0
	v_cndmask_b32_e64 v36, v16, v28, s9
	v_cndmask_b32_e64 v38, v31, v16, s9
	v_cmp_le_i16_e64 s11, v38, v36
	s_and_b32 s10, s10, s11
	s_wait_alu 0xfffe
	s_or_b32 s10, s12, s10
	s_wait_alu 0xfffe
	v_cndmask_b32_e64 v19, v5, v9, s10
	v_cndmask_b32_e64 v16, v35, v50, s10
	;; [unrolled: 1-line block ×3, first 2 shown]
	s_delay_alu instid0(VALU_DEP_3) | instskip(NEXT) | instid1(VALU_DEP_3)
	v_add_nc_u32_e32 v17, 1, v19
	v_add_nc_u32_e32 v16, -1, v16
	s_delay_alu instid0(VALU_DEP_2) | instskip(NEXT) | instid1(VALU_DEP_2)
	v_cndmask_b32_e64 v9, v9, v17, s10
	v_min_u32_e32 v16, v17, v16
	v_cndmask_b32_e64 v5, v17, v5, s10
	s_delay_alu instid0(VALU_DEP_3) | instskip(NEXT) | instid1(VALU_DEP_3)
	v_cmp_lt_u32_e64 s11, v9, v50
	v_lshl_add_u32 v16, v16, 1, v12
	s_delay_alu instid0(VALU_DEP_3) | instskip(SKIP_4) | instid1(VALU_DEP_1)
	v_cmp_ge_u32_e64 s13, v5, v35
	ds_load_u16 v16, v16
	s_wait_dscnt 0x0
	v_cndmask_b32_e64 v39, v16, v36, s10
	v_cndmask_b32_e64 v49, v38, v16, s10
	v_cmp_le_i16_e64 s12, v49, v39
	s_and_b32 s11, s11, s12
	s_wait_alu 0xfffe
	s_or_b32 s11, s13, s11
	s_wait_alu 0xfffe
	v_cndmask_b32_e64 v20, v5, v9, s11
	v_cndmask_b32_e64 v16, v35, v50, s11
	s_delay_alu instid0(VALU_DEP_2) | instskip(NEXT) | instid1(VALU_DEP_2)
	v_add_nc_u32_e32 v17, 1, v20
	v_add_nc_u32_e32 v16, -1, v16
	s_delay_alu instid0(VALU_DEP_2) | instskip(NEXT) | instid1(VALU_DEP_2)
	v_cndmask_b32_e64 v9, v9, v17, s11
	v_min_u32_e32 v16, v17, v16
	v_cndmask_b32_e64 v5, v17, v5, s11
	s_delay_alu instid0(VALU_DEP_3) | instskip(NEXT) | instid1(VALU_DEP_3)
	v_cmp_lt_u32_e64 s12, v9, v50
	v_lshl_add_u32 v16, v16, 1, v12
	s_delay_alu instid0(VALU_DEP_3)
	v_cmp_ge_u32_e64 s14, v5, v35
	ds_load_u16 v16, v16
	s_wait_dscnt 0x0
	v_cndmask_b32_e64 v52, v16, v39, s11
	v_cndmask_b32_e64 v53, v49, v16, s11
	;; [unrolled: 1-line block ×3, first 2 shown]
	s_delay_alu instid0(VALU_DEP_2)
	v_cmp_le_i16_e64 s13, v53, v52
	s_and_b32 s12, s12, s13
	s_wait_alu 0xfffe
	s_or_b32 s12, s14, s12
	s_wait_alu 0xfffe
	v_cndmask_b32_e64 v21, v5, v9, s12
	v_cndmask_b32_e64 v16, v35, v50, s12
	;; [unrolled: 1-line block ×3, first 2 shown]
	s_delay_alu instid0(VALU_DEP_3) | instskip(NEXT) | instid1(VALU_DEP_3)
	v_add_nc_u32_e32 v17, 1, v21
	v_add_nc_u32_e32 v16, -1, v16
	v_lshl_add_u32 v24, v21, 3, v10
	s_delay_alu instid0(VALU_DEP_3) | instskip(NEXT) | instid1(VALU_DEP_3)
	v_cndmask_b32_e64 v9, v9, v17, s12
	v_min_u32_e32 v16, v17, v16
	v_cndmask_b32_e64 v5, v17, v5, s12
	s_delay_alu instid0(VALU_DEP_3) | instskip(NEXT) | instid1(VALU_DEP_3)
	v_cmp_lt_u32_e64 s13, v9, v50
	v_lshl_add_u32 v16, v16, 1, v12
	s_delay_alu instid0(VALU_DEP_3) | instskip(SKIP_4) | instid1(VALU_DEP_1)
	v_cmp_ge_u32_e64 s15, v5, v35
	ds_load_u16 v16, v16
	s_wait_dscnt 0x0
	v_cndmask_b32_e64 v54, v16, v52, s12
	v_cndmask_b32_e64 v55, v53, v16, s12
	v_cmp_le_i16_e64 s14, v55, v54
	s_and_b32 s13, s13, s14
	s_wait_alu 0xfffe
	s_or_b32 s13, s15, s13
	s_wait_alu 0xfffe
	v_cndmask_b32_e64 v22, v5, v9, s13
	v_cndmask_b32_e64 v16, v35, v50, s13
	;; [unrolled: 1-line block ×3, first 2 shown]
	s_delay_alu instid0(VALU_DEP_3) | instskip(NEXT) | instid1(VALU_DEP_3)
	v_add_nc_u32_e32 v17, 1, v22
	v_add_nc_u32_e32 v16, -1, v16
	v_lshl_add_u32 v32, v22, 3, v10
	s_delay_alu instid0(VALU_DEP_3) | instskip(NEXT) | instid1(VALU_DEP_3)
	v_cndmask_b32_e64 v9, v9, v17, s13
	v_min_u32_e32 v16, v17, v16
	v_cndmask_b32_e64 v23, v17, v5, s13
	v_lshl_add_u32 v17, v15, 3, v10
	s_delay_alu instid0(VALU_DEP_4) | instskip(NEXT) | instid1(VALU_DEP_4)
	v_cmp_lt_u32_e64 s14, v9, v50
	v_lshl_add_u32 v12, v16, 1, v12
	s_delay_alu instid0(VALU_DEP_4)
	v_cmp_ge_u32_e64 s16, v23, v35
	ds_load_u16 v12, v12
	ds_load_b64 v[4:5], v4 offset:4096
	ds_load_b64 v[15:16], v8 offset:4096
	ds_load_b64 v[17:18], v17 offset:4096
	s_wait_dscnt 0x3
	v_cndmask_b32_e64 v64, v12, v54, s13
	v_cndmask_b32_e64 v12, v55, v12, s13
	s_delay_alu instid0(VALU_DEP_1)
	v_cmp_le_i16_e64 s15, v12, v64
	s_and_b32 s14, s14, s15
	s_wait_alu 0xfffe
	s_or_b32 s14, s16, s14
	s_wait_alu 0xfffe
	v_cndmask_b32_e64 v8, v23, v9, s14
	v_lshl_add_u32 v9, v19, 3, v10
	v_lshl_add_u32 v23, v20, 3, v10
	v_cndmask_b32_e64 v38, v64, v12, s14
	s_delay_alu instid0(VALU_DEP_4)
	v_lshl_add_u32 v10, v8, 3, v10
	ds_load_b64 v[19:20], v9 offset:4096
	ds_load_b64 v[21:22], v23 offset:4096
	;; [unrolled: 1-line block ×5, first 2 shown]
	v_cndmask_b32_e64 v32, v28, v31, s9
.LBB1029_224:
	s_wait_alu 0xfffe
	s_or_b32 exec_lo, exec_lo, s18
	; wave barrier
	s_wait_storecnt_dscnt 0x0
	s_barrier_signal -1
	s_barrier_wait -1
.LBB1029_225:
	s_wait_alu 0xfffe
	s_or_b32 exec_lo, exec_lo, s17
	v_add_co_u32 v2, s7, v2, v13
	s_wait_alu 0xf1ff
	v_add_co_ci_u32_e64 v3, null, v3, v14, s7
	s_wait_storecnt 0x0
	s_wait_loadcnt_dscnt 0x0
	global_inv scope:SCOPE_SE
	v_add_co_u32 v2, s7, v2, v33
	s_wait_alu 0xf1ff
	v_add_co_ci_u32_e64 v3, null, 0, v3, s7
	; wave barrier
	s_and_saveexec_b32 s7, vcc_lo
	s_cbranch_execnz .LBB1029_250
; %bb.226:
	s_wait_alu 0xfffe
	s_or_b32 exec_lo, exec_lo, s7
	s_and_saveexec_b32 s7, s0
	s_cbranch_execnz .LBB1029_251
.LBB1029_227:
	s_wait_alu 0xfffe
	s_or_b32 exec_lo, exec_lo, s7
	s_and_saveexec_b32 s7, s1
	s_cbranch_execnz .LBB1029_252
.LBB1029_228:
	s_wait_alu 0xfffe
	s_or_b32 exec_lo, exec_lo, s7
	s_and_saveexec_b32 s7, s2
	s_cbranch_execnz .LBB1029_253
.LBB1029_229:
	s_wait_alu 0xfffe
	s_or_b32 exec_lo, exec_lo, s7
	s_and_saveexec_b32 s7, s3
	s_cbranch_execnz .LBB1029_254
.LBB1029_230:
	s_wait_alu 0xfffe
	s_or_b32 exec_lo, exec_lo, s7
	s_and_saveexec_b32 s7, s4
	s_cbranch_execnz .LBB1029_255
.LBB1029_231:
	s_wait_alu 0xfffe
	s_or_b32 exec_lo, exec_lo, s7
	s_and_saveexec_b32 s7, s5
	s_cbranch_execnz .LBB1029_256
.LBB1029_232:
	s_wait_alu 0xfffe
	s_or_b32 exec_lo, exec_lo, s7
	s_and_saveexec_b32 s7, s6
	s_cbranch_execz .LBB1029_234
.LBB1029_233:
	flat_store_b16 v[2:3], v38 offset:14
.LBB1029_234:
	s_wait_alu 0xfffe
	s_or_b32 exec_lo, exec_lo, s7
	v_add_co_u32 v0, s7, v6, v0
	s_wait_alu 0xf1ff
	v_add_co_ci_u32_e64 v1, null, v7, v1, s7
	s_delay_alu instid0(VALU_DEP_2) | instskip(SKIP_1) | instid1(VALU_DEP_2)
	v_add_co_u32 v0, s7, v0, v34
	s_wait_alu 0xf1ff
	v_add_co_ci_u32_e64 v1, null, 0, v1, s7
	; wave barrier
	s_and_saveexec_b32 s7, vcc_lo
	s_cbranch_execnz .LBB1029_257
; %bb.235:
	s_wait_alu 0xfffe
	s_or_b32 exec_lo, exec_lo, s7
	s_and_saveexec_b32 s7, s0
	s_cbranch_execnz .LBB1029_258
.LBB1029_236:
	s_wait_alu 0xfffe
	s_or_b32 exec_lo, exec_lo, s7
	s_and_saveexec_b32 s0, s1
	s_cbranch_execnz .LBB1029_259
.LBB1029_237:
	s_wait_alu 0xfffe
	s_or_b32 exec_lo, exec_lo, s0
	s_and_saveexec_b32 s0, s2
	s_cbranch_execnz .LBB1029_260
.LBB1029_238:
	s_wait_alu 0xfffe
	s_or_b32 exec_lo, exec_lo, s0
	s_and_saveexec_b32 s0, s3
	s_cbranch_execnz .LBB1029_261
.LBB1029_239:
	s_wait_alu 0xfffe
	s_or_b32 exec_lo, exec_lo, s0
	s_and_saveexec_b32 s0, s4
	s_cbranch_execnz .LBB1029_262
.LBB1029_240:
	s_wait_alu 0xfffe
	s_or_b32 exec_lo, exec_lo, s0
	s_and_saveexec_b32 s0, s5
	s_cbranch_execnz .LBB1029_263
.LBB1029_241:
	s_wait_alu 0xfffe
	s_or_b32 exec_lo, exec_lo, s0
	s_and_saveexec_b32 s0, s6
	s_cbranch_execnz .LBB1029_264
.LBB1029_242:
	s_wait_alu 0xfffe
	s_or_b32 exec_lo, exec_lo, s0
	s_wait_loadcnt_dscnt 0x0
	s_setpc_b64 s[30:31]
.LBB1029_243:
	flat_load_b64 v[4:5], v[27:28]
	s_wait_alu 0xfffe
	s_or_b32 exec_lo, exec_lo, s7
	s_and_saveexec_b32 s7, s0
                                        ; implicit-def: $vgpr15_vgpr16
	s_cbranch_execz .LBB1029_18
.LBB1029_244:
	flat_load_b64 v[15:16], v[27:28] offset:8
	s_wait_alu 0xfffe
	s_or_b32 exec_lo, exec_lo, s7
                                        ; implicit-def: $vgpr17_vgpr18
	s_and_saveexec_b32 s7, s1
	s_cbranch_execz .LBB1029_19
.LBB1029_245:
	flat_load_b64 v[17:18], v[27:28] offset:16
	s_wait_alu 0xfffe
	s_or_b32 exec_lo, exec_lo, s7
	s_and_saveexec_b32 s7, s2
                                        ; implicit-def: $vgpr19_vgpr20
	s_cbranch_execz .LBB1029_20
.LBB1029_246:
	flat_load_b64 v[19:20], v[27:28] offset:24
	s_wait_alu 0xfffe
	s_or_b32 exec_lo, exec_lo, s7
                                        ; implicit-def: $vgpr21_vgpr22
	s_and_saveexec_b32 s7, s3
	s_cbranch_execz .LBB1029_21
.LBB1029_247:
	flat_load_b64 v[21:22], v[27:28] offset:32
	s_wait_alu 0xfffe
	s_or_b32 exec_lo, exec_lo, s7
	s_and_saveexec_b32 s7, s4
                                        ; implicit-def: $vgpr25_vgpr26
	s_cbranch_execz .LBB1029_22
.LBB1029_248:
	flat_load_b64 v[25:26], v[27:28] offset:40
	s_wait_alu 0xfffe
	s_or_b32 exec_lo, exec_lo, s7
                                        ; implicit-def: $vgpr8_vgpr9
	s_and_saveexec_b32 s7, s5
	s_cbranch_execz .LBB1029_23
.LBB1029_249:
	flat_load_b64 v[8:9], v[27:28] offset:48
	s_wait_alu 0xfffe
	s_or_b32 exec_lo, exec_lo, s7
	s_and_saveexec_b32 s7, s6
                                        ; implicit-def: $vgpr23_vgpr24
	s_cbranch_execnz .LBB1029_24
	s_branch .LBB1029_25
.LBB1029_250:
	flat_store_b16 v[2:3], v37
	s_wait_alu 0xfffe
	s_or_b32 exec_lo, exec_lo, s7
	s_and_saveexec_b32 s7, s0
	s_cbranch_execz .LBB1029_227
.LBB1029_251:
	flat_store_b16 v[2:3], v48 offset:2
	s_wait_alu 0xfffe
	s_or_b32 exec_lo, exec_lo, s7
	s_and_saveexec_b32 s7, s1
	s_cbranch_execz .LBB1029_228
.LBB1029_252:
	flat_store_b16 v[2:3], v32 offset:4
	s_wait_alu 0xfffe
	s_or_b32 exec_lo, exec_lo, s7
	s_and_saveexec_b32 s7, s2
	s_cbranch_execz .LBB1029_229
.LBB1029_253:
	flat_store_b16 v[2:3], v51 offset:6
	s_wait_alu 0xfffe
	s_or_b32 exec_lo, exec_lo, s7
	s_and_saveexec_b32 s7, s3
	s_cbranch_execz .LBB1029_230
.LBB1029_254:
	flat_store_b16 v[2:3], v49 offset:8
	s_wait_alu 0xfffe
	s_or_b32 exec_lo, exec_lo, s7
	s_and_saveexec_b32 s7, s4
	s_cbranch_execz .LBB1029_231
.LBB1029_255:
	flat_store_b16 v[2:3], v39 offset:10
	s_wait_alu 0xfffe
	s_or_b32 exec_lo, exec_lo, s7
	s_and_saveexec_b32 s7, s5
	s_cbranch_execz .LBB1029_232
.LBB1029_256:
	flat_store_b16 v[2:3], v52 offset:12
	s_wait_alu 0xfffe
	s_or_b32 exec_lo, exec_lo, s7
	s_and_saveexec_b32 s7, s6
	s_cbranch_execnz .LBB1029_233
	s_branch .LBB1029_234
.LBB1029_257:
	flat_store_b64 v[0:1], v[4:5]
	s_wait_alu 0xfffe
	s_or_b32 exec_lo, exec_lo, s7
	s_and_saveexec_b32 s7, s0
	s_cbranch_execz .LBB1029_236
.LBB1029_258:
	flat_store_b64 v[0:1], v[15:16] offset:8
	s_wait_alu 0xfffe
	s_or_b32 exec_lo, exec_lo, s7
	s_and_saveexec_b32 s0, s1
	s_cbranch_execz .LBB1029_237
.LBB1029_259:
	flat_store_b64 v[0:1], v[17:18] offset:16
	s_wait_alu 0xfffe
	s_or_b32 exec_lo, exec_lo, s0
	s_and_saveexec_b32 s0, s2
	s_cbranch_execz .LBB1029_238
.LBB1029_260:
	flat_store_b64 v[0:1], v[19:20] offset:24
	s_wait_alu 0xfffe
	s_or_b32 exec_lo, exec_lo, s0
	s_and_saveexec_b32 s0, s3
	s_cbranch_execz .LBB1029_239
.LBB1029_261:
	flat_store_b64 v[0:1], v[21:22] offset:32
	s_wait_alu 0xfffe
	s_or_b32 exec_lo, exec_lo, s0
	s_and_saveexec_b32 s0, s4
	s_cbranch_execz .LBB1029_240
.LBB1029_262:
	flat_store_b64 v[0:1], v[25:26] offset:40
	s_wait_alu 0xfffe
	s_or_b32 exec_lo, exec_lo, s0
	s_and_saveexec_b32 s0, s5
	s_cbranch_execz .LBB1029_241
.LBB1029_263:
	flat_store_b64 v[0:1], v[8:9] offset:48
	s_wait_alu 0xfffe
	s_or_b32 exec_lo, exec_lo, s0
	s_and_saveexec_b32 s0, s6
	s_cbranch_execz .LBB1029_242
.LBB1029_264:
	flat_store_b64 v[0:1], v[23:24] offset:56
	s_wait_alu 0xfffe
	s_or_b32 exec_lo, exec_lo, s0
	s_wait_loadcnt_dscnt 0x0
	s_setpc_b64 s[30:31]
.Lfunc_end1029:
	.size	_ZN7rocprim17ROCPRIM_400000_NS6detail26segmented_warp_sort_helperINS1_20WarpSortHelperConfigILj16ELj8ELj256EEEslLi256ELb0EvE4sortIPKsPsPKlPlEEvT_T0_T1_T2_jjjjRNS5_12storage_typeE, .Lfunc_end1029-_ZN7rocprim17ROCPRIM_400000_NS6detail26segmented_warp_sort_helperINS1_20WarpSortHelperConfigILj16ELj8ELj256EEEslLi256ELb0EvE4sortIPKsPsPKlPlEEvT_T0_T1_T2_jjjjRNS5_12storage_typeE
                                        ; -- End function
	.set .L_ZN7rocprim17ROCPRIM_400000_NS6detail26segmented_warp_sort_helperINS1_20WarpSortHelperConfigILj16ELj8ELj256EEEslLi256ELb0EvE4sortIPKsPsPKlPlEEvT_T0_T1_T2_jjjjRNS5_12storage_typeE.num_vgpr, 81
	.set .L_ZN7rocprim17ROCPRIM_400000_NS6detail26segmented_warp_sort_helperINS1_20WarpSortHelperConfigILj16ELj8ELj256EEEslLi256ELb0EvE4sortIPKsPsPKlPlEEvT_T0_T1_T2_jjjjRNS5_12storage_typeE.num_agpr, 0
	.set .L_ZN7rocprim17ROCPRIM_400000_NS6detail26segmented_warp_sort_helperINS1_20WarpSortHelperConfigILj16ELj8ELj256EEEslLi256ELb0EvE4sortIPKsPsPKlPlEEvT_T0_T1_T2_jjjjRNS5_12storage_typeE.numbered_sgpr, 32
	.set .L_ZN7rocprim17ROCPRIM_400000_NS6detail26segmented_warp_sort_helperINS1_20WarpSortHelperConfigILj16ELj8ELj256EEEslLi256ELb0EvE4sortIPKsPsPKlPlEEvT_T0_T1_T2_jjjjRNS5_12storage_typeE.num_named_barrier, 0
	.set .L_ZN7rocprim17ROCPRIM_400000_NS6detail26segmented_warp_sort_helperINS1_20WarpSortHelperConfigILj16ELj8ELj256EEEslLi256ELb0EvE4sortIPKsPsPKlPlEEvT_T0_T1_T2_jjjjRNS5_12storage_typeE.private_seg_size, 0
	.set .L_ZN7rocprim17ROCPRIM_400000_NS6detail26segmented_warp_sort_helperINS1_20WarpSortHelperConfigILj16ELj8ELj256EEEslLi256ELb0EvE4sortIPKsPsPKlPlEEvT_T0_T1_T2_jjjjRNS5_12storage_typeE.uses_vcc, 1
	.set .L_ZN7rocprim17ROCPRIM_400000_NS6detail26segmented_warp_sort_helperINS1_20WarpSortHelperConfigILj16ELj8ELj256EEEslLi256ELb0EvE4sortIPKsPsPKlPlEEvT_T0_T1_T2_jjjjRNS5_12storage_typeE.uses_flat_scratch, 0
	.set .L_ZN7rocprim17ROCPRIM_400000_NS6detail26segmented_warp_sort_helperINS1_20WarpSortHelperConfigILj16ELj8ELj256EEEslLi256ELb0EvE4sortIPKsPsPKlPlEEvT_T0_T1_T2_jjjjRNS5_12storage_typeE.has_dyn_sized_stack, 0
	.set .L_ZN7rocprim17ROCPRIM_400000_NS6detail26segmented_warp_sort_helperINS1_20WarpSortHelperConfigILj16ELj8ELj256EEEslLi256ELb0EvE4sortIPKsPsPKlPlEEvT_T0_T1_T2_jjjjRNS5_12storage_typeE.has_recursion, 0
	.set .L_ZN7rocprim17ROCPRIM_400000_NS6detail26segmented_warp_sort_helperINS1_20WarpSortHelperConfigILj16ELj8ELj256EEEslLi256ELb0EvE4sortIPKsPsPKlPlEEvT_T0_T1_T2_jjjjRNS5_12storage_typeE.has_indirect_call, 0
	.section	.AMDGPU.csdata,"",@progbits
; Function info:
; codeLenInByte = 19536
; TotalNumSgprs: 34
; NumVgprs: 81
; ScratchSize: 0
; MemoryBound: 0
	.section	.text._ZN7rocprim17ROCPRIM_400000_NS6detail17trampoline_kernelINS0_14default_configENS1_36segmented_radix_sort_config_selectorIslEEZNS1_25segmented_radix_sort_implIS3_Lb0EPKsPsPKlPlN2at6native12_GLOBAL__N_18offset_tEEE10hipError_tPvRmT1_PNSt15iterator_traitsISK_E10value_typeET2_T3_PNSL_ISQ_E10value_typeET4_jRbjT5_SW_jjP12ihipStream_tbEUlT_E0_NS1_11comp_targetILNS1_3genE10ELNS1_11target_archE1201ELNS1_3gpuE5ELNS1_3repE0EEENS1_60segmented_radix_sort_warp_sort_medium_config_static_selectorELNS0_4arch9wavefront6targetE0EEEvSK_,"axG",@progbits,_ZN7rocprim17ROCPRIM_400000_NS6detail17trampoline_kernelINS0_14default_configENS1_36segmented_radix_sort_config_selectorIslEEZNS1_25segmented_radix_sort_implIS3_Lb0EPKsPsPKlPlN2at6native12_GLOBAL__N_18offset_tEEE10hipError_tPvRmT1_PNSt15iterator_traitsISK_E10value_typeET2_T3_PNSL_ISQ_E10value_typeET4_jRbjT5_SW_jjP12ihipStream_tbEUlT_E0_NS1_11comp_targetILNS1_3genE10ELNS1_11target_archE1201ELNS1_3gpuE5ELNS1_3repE0EEENS1_60segmented_radix_sort_warp_sort_medium_config_static_selectorELNS0_4arch9wavefront6targetE0EEEvSK_,comdat
	.globl	_ZN7rocprim17ROCPRIM_400000_NS6detail17trampoline_kernelINS0_14default_configENS1_36segmented_radix_sort_config_selectorIslEEZNS1_25segmented_radix_sort_implIS3_Lb0EPKsPsPKlPlN2at6native12_GLOBAL__N_18offset_tEEE10hipError_tPvRmT1_PNSt15iterator_traitsISK_E10value_typeET2_T3_PNSL_ISQ_E10value_typeET4_jRbjT5_SW_jjP12ihipStream_tbEUlT_E0_NS1_11comp_targetILNS1_3genE10ELNS1_11target_archE1201ELNS1_3gpuE5ELNS1_3repE0EEENS1_60segmented_radix_sort_warp_sort_medium_config_static_selectorELNS0_4arch9wavefront6targetE0EEEvSK_ ; -- Begin function _ZN7rocprim17ROCPRIM_400000_NS6detail17trampoline_kernelINS0_14default_configENS1_36segmented_radix_sort_config_selectorIslEEZNS1_25segmented_radix_sort_implIS3_Lb0EPKsPsPKlPlN2at6native12_GLOBAL__N_18offset_tEEE10hipError_tPvRmT1_PNSt15iterator_traitsISK_E10value_typeET2_T3_PNSL_ISQ_E10value_typeET4_jRbjT5_SW_jjP12ihipStream_tbEUlT_E0_NS1_11comp_targetILNS1_3genE10ELNS1_11target_archE1201ELNS1_3gpuE5ELNS1_3repE0EEENS1_60segmented_radix_sort_warp_sort_medium_config_static_selectorELNS0_4arch9wavefront6targetE0EEEvSK_
	.p2align	8
	.type	_ZN7rocprim17ROCPRIM_400000_NS6detail17trampoline_kernelINS0_14default_configENS1_36segmented_radix_sort_config_selectorIslEEZNS1_25segmented_radix_sort_implIS3_Lb0EPKsPsPKlPlN2at6native12_GLOBAL__N_18offset_tEEE10hipError_tPvRmT1_PNSt15iterator_traitsISK_E10value_typeET2_T3_PNSL_ISQ_E10value_typeET4_jRbjT5_SW_jjP12ihipStream_tbEUlT_E0_NS1_11comp_targetILNS1_3genE10ELNS1_11target_archE1201ELNS1_3gpuE5ELNS1_3repE0EEENS1_60segmented_radix_sort_warp_sort_medium_config_static_selectorELNS0_4arch9wavefront6targetE0EEEvSK_,@function
_ZN7rocprim17ROCPRIM_400000_NS6detail17trampoline_kernelINS0_14default_configENS1_36segmented_radix_sort_config_selectorIslEEZNS1_25segmented_radix_sort_implIS3_Lb0EPKsPsPKlPlN2at6native12_GLOBAL__N_18offset_tEEE10hipError_tPvRmT1_PNSt15iterator_traitsISK_E10value_typeET2_T3_PNSL_ISQ_E10value_typeET4_jRbjT5_SW_jjP12ihipStream_tbEUlT_E0_NS1_11comp_targetILNS1_3genE10ELNS1_11target_archE1201ELNS1_3gpuE5ELNS1_3repE0EEENS1_60segmented_radix_sort_warp_sort_medium_config_static_selectorELNS0_4arch9wavefront6targetE0EEEvSK_: ; @_ZN7rocprim17ROCPRIM_400000_NS6detail17trampoline_kernelINS0_14default_configENS1_36segmented_radix_sort_config_selectorIslEEZNS1_25segmented_radix_sort_implIS3_Lb0EPKsPsPKlPlN2at6native12_GLOBAL__N_18offset_tEEE10hipError_tPvRmT1_PNSt15iterator_traitsISK_E10value_typeET2_T3_PNSL_ISQ_E10value_typeET4_jRbjT5_SW_jjP12ihipStream_tbEUlT_E0_NS1_11comp_targetILNS1_3genE10ELNS1_11target_archE1201ELNS1_3gpuE5ELNS1_3repE0EEENS1_60segmented_radix_sort_warp_sort_medium_config_static_selectorELNS0_4arch9wavefront6targetE0EEEvSK_
; %bb.0:
	s_load_b32 s2, s[0:1], 0x64
	v_bfe_u32 v1, v0, 10, 10
	v_bfe_u32 v2, v0, 20, 10
	s_mov_b32 s32, 0
	s_wait_kmcnt 0x0
	s_lshr_b32 s3, s2, 16
	s_and_b32 s2, s2, 0xffff
	v_mad_u32_u24 v2, v2, s3, v1
	v_and_b32_e32 v1, 0x3ff, v0
	s_load_b32 s3, s[0:1], 0x34
	s_delay_alu instid0(VALU_DEP_1) | instskip(SKIP_2) | instid1(VALU_DEP_1)
	v_mad_co_u64_u32 v[1:2], null, v2, s2, v[1:2]
	s_mov_b32 s2, exec_lo
	v_lshrrev_b32_e32 v1, 4, v1
	v_lshl_add_u32 v1, ttmp9, 4, v1
	s_wait_kmcnt 0x0
	s_delay_alu instid0(VALU_DEP_1)
	v_cmpx_gt_u32_e64 s3, v1
	s_cbranch_execz .LBB1030_6
; %bb.1:
	s_clause 0x1
	s_load_b64 s[2:3], s[0:1], 0x38
	s_load_b128 s[4:7], s[0:1], 0x40
	v_mov_b32_e32 v2, 0
	s_delay_alu instid0(VALU_DEP_1) | instskip(SKIP_1) | instid1(VALU_DEP_1)
	v_lshlrev_b64_e32 v[1:2], 2, v[1:2]
	s_wait_kmcnt 0x0
	v_add_co_u32 v1, vcc_lo, s2, v1
	s_delay_alu instid0(VALU_DEP_1) | instskip(SKIP_4) | instid1(VALU_DEP_2)
	v_add_co_ci_u32_e64 v2, null, s3, v2, vcc_lo
	global_load_b32 v1, v[1:2], off
	s_wait_loadcnt 0x0
	v_add_nc_u32_e32 v2, s5, v1
	v_add_nc_u32_e32 v1, s7, v1
	v_mul_lo_u32 v40, v2, s4
	s_delay_alu instid0(VALU_DEP_2) | instskip(NEXT) | instid1(VALU_DEP_1)
	v_mul_lo_u32 v41, v1, s6
	v_cmp_gt_u32_e32 vcc_lo, v41, v40
	s_and_b32 exec_lo, exec_lo, vcc_lo
	s_cbranch_execz .LBB1030_6
; %bb.2:
	s_clause 0x3
	s_load_b32 s2, s[0:1], 0x30
	s_load_b128 s[24:27], s[0:1], 0x20
	s_load_b256 s[36:43], s[0:1], 0x0
	s_load_b64 s[28:29], s[0:1], 0x50
	s_add_nc_u64 s[22:23], s[0:1], 0x58
	s_wait_kmcnt 0x0
	s_bitcmp0_b32 s2, 0
	s_mov_b32 s2, -1
	s_cbranch_scc0 .LBB1030_4
; %bb.3:
	v_dual_mov_b32 v31, v0 :: v_dual_mov_b32 v42, v0
	v_dual_mov_b32 v0, s36 :: v_dual_mov_b32 v1, s37
	;; [unrolled: 1-line block ×7, first 2 shown]
	s_getpc_b64 s[0:1]
	s_wait_alu 0xfffe
	s_sext_i32_i16 s1, s1
	s_add_co_u32 s0, s0, _ZN7rocprim17ROCPRIM_400000_NS6detail26segmented_warp_sort_helperINS1_20WarpSortHelperConfigILj16ELj8ELj256EEEslLi256ELb0EvE4sortIPKsPsPKlPlEEvT_T0_T1_T2_jjjjRNS5_12storage_typeE@rel32@lo+12
	s_wait_alu 0xfffe
	s_add_co_ci_u32 s1, s1, _ZN7rocprim17ROCPRIM_400000_NS6detail26segmented_warp_sort_helperINS1_20WarpSortHelperConfigILj16ELj8ELj256EEEslLi256ELb0EvE4sortIPKsPsPKlPlEEvT_T0_T1_T2_jjjjRNS5_12storage_typeE@rel32@hi+24
	s_mov_b64 s[8:9], s[22:23]
	s_wait_alu 0xfffe
	s_swappc_b64 s[30:31], s[0:1]
	v_mov_b32_e32 v0, v42
	s_mov_b32 s2, 0
.LBB1030_4:
	s_wait_alu 0xfffe
	s_and_not1_b32 vcc_lo, exec_lo, s2
	s_wait_alu 0xfffe
	s_cbranch_vccnz .LBB1030_6
; %bb.5:
	v_dual_mov_b32 v31, v0 :: v_dual_mov_b32 v0, s36
	v_dual_mov_b32 v1, s37 :: v_dual_mov_b32 v2, s40
	;; [unrolled: 1-line block ×6, first 2 shown]
	v_mov_b32_e32 v11, s29
	s_getpc_b64 s[0:1]
	s_wait_alu 0xfffe
	s_sext_i32_i16 s1, s1
	s_add_co_u32 s0, s0, _ZN7rocprim17ROCPRIM_400000_NS6detail26segmented_warp_sort_helperINS1_20WarpSortHelperConfigILj16ELj8ELj256EEEslLi256ELb0EvE4sortIPKsPsPKlPlEEvT_T0_T1_T2_jjjjRNS5_12storage_typeE@rel32@lo+12
	s_wait_alu 0xfffe
	s_add_co_ci_u32 s1, s1, _ZN7rocprim17ROCPRIM_400000_NS6detail26segmented_warp_sort_helperINS1_20WarpSortHelperConfigILj16ELj8ELj256EEEslLi256ELb0EvE4sortIPKsPsPKlPlEEvT_T0_T1_T2_jjjjRNS5_12storage_typeE@rel32@hi+24
	s_mov_b64 s[8:9], s[22:23]
	s_wait_alu 0xfffe
	s_swappc_b64 s[30:31], s[0:1]
.LBB1030_6:
	s_endpgm
	.section	.rodata,"a",@progbits
	.p2align	6, 0x0
	.amdhsa_kernel _ZN7rocprim17ROCPRIM_400000_NS6detail17trampoline_kernelINS0_14default_configENS1_36segmented_radix_sort_config_selectorIslEEZNS1_25segmented_radix_sort_implIS3_Lb0EPKsPsPKlPlN2at6native12_GLOBAL__N_18offset_tEEE10hipError_tPvRmT1_PNSt15iterator_traitsISK_E10value_typeET2_T3_PNSL_ISQ_E10value_typeET4_jRbjT5_SW_jjP12ihipStream_tbEUlT_E0_NS1_11comp_targetILNS1_3genE10ELNS1_11target_archE1201ELNS1_3gpuE5ELNS1_3repE0EEENS1_60segmented_radix_sort_warp_sort_medium_config_static_selectorELNS0_4arch9wavefront6targetE0EEEvSK_
		.amdhsa_group_segment_fixed_size 20480
		.amdhsa_private_segment_fixed_size 0
		.amdhsa_kernarg_size 344
		.amdhsa_user_sgpr_count 2
		.amdhsa_user_sgpr_dispatch_ptr 0
		.amdhsa_user_sgpr_queue_ptr 0
		.amdhsa_user_sgpr_kernarg_segment_ptr 1
		.amdhsa_user_sgpr_dispatch_id 0
		.amdhsa_user_sgpr_private_segment_size 0
		.amdhsa_wavefront_size32 1
		.amdhsa_uses_dynamic_stack 0
		.amdhsa_enable_private_segment 0
		.amdhsa_system_sgpr_workgroup_id_x 1
		.amdhsa_system_sgpr_workgroup_id_y 1
		.amdhsa_system_sgpr_workgroup_id_z 0
		.amdhsa_system_sgpr_workgroup_info 0
		.amdhsa_system_vgpr_workitem_id 2
		.amdhsa_next_free_vgpr 97
		.amdhsa_next_free_sgpr 44
		.amdhsa_reserve_vcc 1
		.amdhsa_float_round_mode_32 0
		.amdhsa_float_round_mode_16_64 0
		.amdhsa_float_denorm_mode_32 3
		.amdhsa_float_denorm_mode_16_64 3
		.amdhsa_fp16_overflow 0
		.amdhsa_workgroup_processor_mode 1
		.amdhsa_memory_ordered 1
		.amdhsa_forward_progress 1
		.amdhsa_inst_pref_size 4
		.amdhsa_round_robin_scheduling 0
		.amdhsa_exception_fp_ieee_invalid_op 0
		.amdhsa_exception_fp_denorm_src 0
		.amdhsa_exception_fp_ieee_div_zero 0
		.amdhsa_exception_fp_ieee_overflow 0
		.amdhsa_exception_fp_ieee_underflow 0
		.amdhsa_exception_fp_ieee_inexact 0
		.amdhsa_exception_int_div_zero 0
	.end_amdhsa_kernel
	.section	.text._ZN7rocprim17ROCPRIM_400000_NS6detail17trampoline_kernelINS0_14default_configENS1_36segmented_radix_sort_config_selectorIslEEZNS1_25segmented_radix_sort_implIS3_Lb0EPKsPsPKlPlN2at6native12_GLOBAL__N_18offset_tEEE10hipError_tPvRmT1_PNSt15iterator_traitsISK_E10value_typeET2_T3_PNSL_ISQ_E10value_typeET4_jRbjT5_SW_jjP12ihipStream_tbEUlT_E0_NS1_11comp_targetILNS1_3genE10ELNS1_11target_archE1201ELNS1_3gpuE5ELNS1_3repE0EEENS1_60segmented_radix_sort_warp_sort_medium_config_static_selectorELNS0_4arch9wavefront6targetE0EEEvSK_,"axG",@progbits,_ZN7rocprim17ROCPRIM_400000_NS6detail17trampoline_kernelINS0_14default_configENS1_36segmented_radix_sort_config_selectorIslEEZNS1_25segmented_radix_sort_implIS3_Lb0EPKsPsPKlPlN2at6native12_GLOBAL__N_18offset_tEEE10hipError_tPvRmT1_PNSt15iterator_traitsISK_E10value_typeET2_T3_PNSL_ISQ_E10value_typeET4_jRbjT5_SW_jjP12ihipStream_tbEUlT_E0_NS1_11comp_targetILNS1_3genE10ELNS1_11target_archE1201ELNS1_3gpuE5ELNS1_3repE0EEENS1_60segmented_radix_sort_warp_sort_medium_config_static_selectorELNS0_4arch9wavefront6targetE0EEEvSK_,comdat
.Lfunc_end1030:
	.size	_ZN7rocprim17ROCPRIM_400000_NS6detail17trampoline_kernelINS0_14default_configENS1_36segmented_radix_sort_config_selectorIslEEZNS1_25segmented_radix_sort_implIS3_Lb0EPKsPsPKlPlN2at6native12_GLOBAL__N_18offset_tEEE10hipError_tPvRmT1_PNSt15iterator_traitsISK_E10value_typeET2_T3_PNSL_ISQ_E10value_typeET4_jRbjT5_SW_jjP12ihipStream_tbEUlT_E0_NS1_11comp_targetILNS1_3genE10ELNS1_11target_archE1201ELNS1_3gpuE5ELNS1_3repE0EEENS1_60segmented_radix_sort_warp_sort_medium_config_static_selectorELNS0_4arch9wavefront6targetE0EEEvSK_, .Lfunc_end1030-_ZN7rocprim17ROCPRIM_400000_NS6detail17trampoline_kernelINS0_14default_configENS1_36segmented_radix_sort_config_selectorIslEEZNS1_25segmented_radix_sort_implIS3_Lb0EPKsPsPKlPlN2at6native12_GLOBAL__N_18offset_tEEE10hipError_tPvRmT1_PNSt15iterator_traitsISK_E10value_typeET2_T3_PNSL_ISQ_E10value_typeET4_jRbjT5_SW_jjP12ihipStream_tbEUlT_E0_NS1_11comp_targetILNS1_3genE10ELNS1_11target_archE1201ELNS1_3gpuE5ELNS1_3repE0EEENS1_60segmented_radix_sort_warp_sort_medium_config_static_selectorELNS0_4arch9wavefront6targetE0EEEvSK_
                                        ; -- End function
	.set _ZN7rocprim17ROCPRIM_400000_NS6detail17trampoline_kernelINS0_14default_configENS1_36segmented_radix_sort_config_selectorIslEEZNS1_25segmented_radix_sort_implIS3_Lb0EPKsPsPKlPlN2at6native12_GLOBAL__N_18offset_tEEE10hipError_tPvRmT1_PNSt15iterator_traitsISK_E10value_typeET2_T3_PNSL_ISQ_E10value_typeET4_jRbjT5_SW_jjP12ihipStream_tbEUlT_E0_NS1_11comp_targetILNS1_3genE10ELNS1_11target_archE1201ELNS1_3gpuE5ELNS1_3repE0EEENS1_60segmented_radix_sort_warp_sort_medium_config_static_selectorELNS0_4arch9wavefront6targetE0EEEvSK_.num_vgpr, max(43, .L_ZN7rocprim17ROCPRIM_400000_NS6detail26segmented_warp_sort_helperINS1_20WarpSortHelperConfigILj16ELj8ELj256EEEslLi256ELb0EvE4sortIPKsPsPKlPlEEvT_T0_T1_T2_jjjjRNS5_12storage_typeE.num_vgpr)
	.set _ZN7rocprim17ROCPRIM_400000_NS6detail17trampoline_kernelINS0_14default_configENS1_36segmented_radix_sort_config_selectorIslEEZNS1_25segmented_radix_sort_implIS3_Lb0EPKsPsPKlPlN2at6native12_GLOBAL__N_18offset_tEEE10hipError_tPvRmT1_PNSt15iterator_traitsISK_E10value_typeET2_T3_PNSL_ISQ_E10value_typeET4_jRbjT5_SW_jjP12ihipStream_tbEUlT_E0_NS1_11comp_targetILNS1_3genE10ELNS1_11target_archE1201ELNS1_3gpuE5ELNS1_3repE0EEENS1_60segmented_radix_sort_warp_sort_medium_config_static_selectorELNS0_4arch9wavefront6targetE0EEEvSK_.num_agpr, max(0, .L_ZN7rocprim17ROCPRIM_400000_NS6detail26segmented_warp_sort_helperINS1_20WarpSortHelperConfigILj16ELj8ELj256EEEslLi256ELb0EvE4sortIPKsPsPKlPlEEvT_T0_T1_T2_jjjjRNS5_12storage_typeE.num_agpr)
	.set _ZN7rocprim17ROCPRIM_400000_NS6detail17trampoline_kernelINS0_14default_configENS1_36segmented_radix_sort_config_selectorIslEEZNS1_25segmented_radix_sort_implIS3_Lb0EPKsPsPKlPlN2at6native12_GLOBAL__N_18offset_tEEE10hipError_tPvRmT1_PNSt15iterator_traitsISK_E10value_typeET2_T3_PNSL_ISQ_E10value_typeET4_jRbjT5_SW_jjP12ihipStream_tbEUlT_E0_NS1_11comp_targetILNS1_3genE10ELNS1_11target_archE1201ELNS1_3gpuE5ELNS1_3repE0EEENS1_60segmented_radix_sort_warp_sort_medium_config_static_selectorELNS0_4arch9wavefront6targetE0EEEvSK_.numbered_sgpr, max(44, .L_ZN7rocprim17ROCPRIM_400000_NS6detail26segmented_warp_sort_helperINS1_20WarpSortHelperConfigILj16ELj8ELj256EEEslLi256ELb0EvE4sortIPKsPsPKlPlEEvT_T0_T1_T2_jjjjRNS5_12storage_typeE.numbered_sgpr)
	.set _ZN7rocprim17ROCPRIM_400000_NS6detail17trampoline_kernelINS0_14default_configENS1_36segmented_radix_sort_config_selectorIslEEZNS1_25segmented_radix_sort_implIS3_Lb0EPKsPsPKlPlN2at6native12_GLOBAL__N_18offset_tEEE10hipError_tPvRmT1_PNSt15iterator_traitsISK_E10value_typeET2_T3_PNSL_ISQ_E10value_typeET4_jRbjT5_SW_jjP12ihipStream_tbEUlT_E0_NS1_11comp_targetILNS1_3genE10ELNS1_11target_archE1201ELNS1_3gpuE5ELNS1_3repE0EEENS1_60segmented_radix_sort_warp_sort_medium_config_static_selectorELNS0_4arch9wavefront6targetE0EEEvSK_.num_named_barrier, max(0, .L_ZN7rocprim17ROCPRIM_400000_NS6detail26segmented_warp_sort_helperINS1_20WarpSortHelperConfigILj16ELj8ELj256EEEslLi256ELb0EvE4sortIPKsPsPKlPlEEvT_T0_T1_T2_jjjjRNS5_12storage_typeE.num_named_barrier)
	.set _ZN7rocprim17ROCPRIM_400000_NS6detail17trampoline_kernelINS0_14default_configENS1_36segmented_radix_sort_config_selectorIslEEZNS1_25segmented_radix_sort_implIS3_Lb0EPKsPsPKlPlN2at6native12_GLOBAL__N_18offset_tEEE10hipError_tPvRmT1_PNSt15iterator_traitsISK_E10value_typeET2_T3_PNSL_ISQ_E10value_typeET4_jRbjT5_SW_jjP12ihipStream_tbEUlT_E0_NS1_11comp_targetILNS1_3genE10ELNS1_11target_archE1201ELNS1_3gpuE5ELNS1_3repE0EEENS1_60segmented_radix_sort_warp_sort_medium_config_static_selectorELNS0_4arch9wavefront6targetE0EEEvSK_.private_seg_size, 0+max(.L_ZN7rocprim17ROCPRIM_400000_NS6detail26segmented_warp_sort_helperINS1_20WarpSortHelperConfigILj16ELj8ELj256EEEslLi256ELb0EvE4sortIPKsPsPKlPlEEvT_T0_T1_T2_jjjjRNS5_12storage_typeE.private_seg_size)
	.set _ZN7rocprim17ROCPRIM_400000_NS6detail17trampoline_kernelINS0_14default_configENS1_36segmented_radix_sort_config_selectorIslEEZNS1_25segmented_radix_sort_implIS3_Lb0EPKsPsPKlPlN2at6native12_GLOBAL__N_18offset_tEEE10hipError_tPvRmT1_PNSt15iterator_traitsISK_E10value_typeET2_T3_PNSL_ISQ_E10value_typeET4_jRbjT5_SW_jjP12ihipStream_tbEUlT_E0_NS1_11comp_targetILNS1_3genE10ELNS1_11target_archE1201ELNS1_3gpuE5ELNS1_3repE0EEENS1_60segmented_radix_sort_warp_sort_medium_config_static_selectorELNS0_4arch9wavefront6targetE0EEEvSK_.uses_vcc, or(1, .L_ZN7rocprim17ROCPRIM_400000_NS6detail26segmented_warp_sort_helperINS1_20WarpSortHelperConfigILj16ELj8ELj256EEEslLi256ELb0EvE4sortIPKsPsPKlPlEEvT_T0_T1_T2_jjjjRNS5_12storage_typeE.uses_vcc)
	.set _ZN7rocprim17ROCPRIM_400000_NS6detail17trampoline_kernelINS0_14default_configENS1_36segmented_radix_sort_config_selectorIslEEZNS1_25segmented_radix_sort_implIS3_Lb0EPKsPsPKlPlN2at6native12_GLOBAL__N_18offset_tEEE10hipError_tPvRmT1_PNSt15iterator_traitsISK_E10value_typeET2_T3_PNSL_ISQ_E10value_typeET4_jRbjT5_SW_jjP12ihipStream_tbEUlT_E0_NS1_11comp_targetILNS1_3genE10ELNS1_11target_archE1201ELNS1_3gpuE5ELNS1_3repE0EEENS1_60segmented_radix_sort_warp_sort_medium_config_static_selectorELNS0_4arch9wavefront6targetE0EEEvSK_.uses_flat_scratch, or(0, .L_ZN7rocprim17ROCPRIM_400000_NS6detail26segmented_warp_sort_helperINS1_20WarpSortHelperConfigILj16ELj8ELj256EEEslLi256ELb0EvE4sortIPKsPsPKlPlEEvT_T0_T1_T2_jjjjRNS5_12storage_typeE.uses_flat_scratch)
	.set _ZN7rocprim17ROCPRIM_400000_NS6detail17trampoline_kernelINS0_14default_configENS1_36segmented_radix_sort_config_selectorIslEEZNS1_25segmented_radix_sort_implIS3_Lb0EPKsPsPKlPlN2at6native12_GLOBAL__N_18offset_tEEE10hipError_tPvRmT1_PNSt15iterator_traitsISK_E10value_typeET2_T3_PNSL_ISQ_E10value_typeET4_jRbjT5_SW_jjP12ihipStream_tbEUlT_E0_NS1_11comp_targetILNS1_3genE10ELNS1_11target_archE1201ELNS1_3gpuE5ELNS1_3repE0EEENS1_60segmented_radix_sort_warp_sort_medium_config_static_selectorELNS0_4arch9wavefront6targetE0EEEvSK_.has_dyn_sized_stack, or(0, .L_ZN7rocprim17ROCPRIM_400000_NS6detail26segmented_warp_sort_helperINS1_20WarpSortHelperConfigILj16ELj8ELj256EEEslLi256ELb0EvE4sortIPKsPsPKlPlEEvT_T0_T1_T2_jjjjRNS5_12storage_typeE.has_dyn_sized_stack)
	.set _ZN7rocprim17ROCPRIM_400000_NS6detail17trampoline_kernelINS0_14default_configENS1_36segmented_radix_sort_config_selectorIslEEZNS1_25segmented_radix_sort_implIS3_Lb0EPKsPsPKlPlN2at6native12_GLOBAL__N_18offset_tEEE10hipError_tPvRmT1_PNSt15iterator_traitsISK_E10value_typeET2_T3_PNSL_ISQ_E10value_typeET4_jRbjT5_SW_jjP12ihipStream_tbEUlT_E0_NS1_11comp_targetILNS1_3genE10ELNS1_11target_archE1201ELNS1_3gpuE5ELNS1_3repE0EEENS1_60segmented_radix_sort_warp_sort_medium_config_static_selectorELNS0_4arch9wavefront6targetE0EEEvSK_.has_recursion, or(0, .L_ZN7rocprim17ROCPRIM_400000_NS6detail26segmented_warp_sort_helperINS1_20WarpSortHelperConfigILj16ELj8ELj256EEEslLi256ELb0EvE4sortIPKsPsPKlPlEEvT_T0_T1_T2_jjjjRNS5_12storage_typeE.has_recursion)
	.set _ZN7rocprim17ROCPRIM_400000_NS6detail17trampoline_kernelINS0_14default_configENS1_36segmented_radix_sort_config_selectorIslEEZNS1_25segmented_radix_sort_implIS3_Lb0EPKsPsPKlPlN2at6native12_GLOBAL__N_18offset_tEEE10hipError_tPvRmT1_PNSt15iterator_traitsISK_E10value_typeET2_T3_PNSL_ISQ_E10value_typeET4_jRbjT5_SW_jjP12ihipStream_tbEUlT_E0_NS1_11comp_targetILNS1_3genE10ELNS1_11target_archE1201ELNS1_3gpuE5ELNS1_3repE0EEENS1_60segmented_radix_sort_warp_sort_medium_config_static_selectorELNS0_4arch9wavefront6targetE0EEEvSK_.has_indirect_call, or(0, .L_ZN7rocprim17ROCPRIM_400000_NS6detail26segmented_warp_sort_helperINS1_20WarpSortHelperConfigILj16ELj8ELj256EEEslLi256ELb0EvE4sortIPKsPsPKlPlEEvT_T0_T1_T2_jjjjRNS5_12storage_typeE.has_indirect_call)
	.section	.AMDGPU.csdata,"",@progbits
; Kernel info:
; codeLenInByte = 512
; TotalNumSgprs: 46
; NumVgprs: 81
; ScratchSize: 0
; MemoryBound: 0
; FloatMode: 240
; IeeeMode: 1
; LDSByteSize: 20480 bytes/workgroup (compile time only)
; SGPRBlocks: 0
; VGPRBlocks: 12
; NumSGPRsForWavesPerEU: 46
; NumVGPRsForWavesPerEU: 97
; Occupancy: 12
; WaveLimiterHint : 0
; COMPUTE_PGM_RSRC2:SCRATCH_EN: 0
; COMPUTE_PGM_RSRC2:USER_SGPR: 2
; COMPUTE_PGM_RSRC2:TRAP_HANDLER: 0
; COMPUTE_PGM_RSRC2:TGID_X_EN: 1
; COMPUTE_PGM_RSRC2:TGID_Y_EN: 1
; COMPUTE_PGM_RSRC2:TGID_Z_EN: 0
; COMPUTE_PGM_RSRC2:TIDIG_COMP_CNT: 2
	.section	.text._ZN7rocprim17ROCPRIM_400000_NS6detail17trampoline_kernelINS0_14default_configENS1_36segmented_radix_sort_config_selectorIslEEZNS1_25segmented_radix_sort_implIS3_Lb0EPKsPsPKlPlN2at6native12_GLOBAL__N_18offset_tEEE10hipError_tPvRmT1_PNSt15iterator_traitsISK_E10value_typeET2_T3_PNSL_ISQ_E10value_typeET4_jRbjT5_SW_jjP12ihipStream_tbEUlT_E0_NS1_11comp_targetILNS1_3genE10ELNS1_11target_archE1200ELNS1_3gpuE4ELNS1_3repE0EEENS1_60segmented_radix_sort_warp_sort_medium_config_static_selectorELNS0_4arch9wavefront6targetE0EEEvSK_,"axG",@progbits,_ZN7rocprim17ROCPRIM_400000_NS6detail17trampoline_kernelINS0_14default_configENS1_36segmented_radix_sort_config_selectorIslEEZNS1_25segmented_radix_sort_implIS3_Lb0EPKsPsPKlPlN2at6native12_GLOBAL__N_18offset_tEEE10hipError_tPvRmT1_PNSt15iterator_traitsISK_E10value_typeET2_T3_PNSL_ISQ_E10value_typeET4_jRbjT5_SW_jjP12ihipStream_tbEUlT_E0_NS1_11comp_targetILNS1_3genE10ELNS1_11target_archE1200ELNS1_3gpuE4ELNS1_3repE0EEENS1_60segmented_radix_sort_warp_sort_medium_config_static_selectorELNS0_4arch9wavefront6targetE0EEEvSK_,comdat
	.globl	_ZN7rocprim17ROCPRIM_400000_NS6detail17trampoline_kernelINS0_14default_configENS1_36segmented_radix_sort_config_selectorIslEEZNS1_25segmented_radix_sort_implIS3_Lb0EPKsPsPKlPlN2at6native12_GLOBAL__N_18offset_tEEE10hipError_tPvRmT1_PNSt15iterator_traitsISK_E10value_typeET2_T3_PNSL_ISQ_E10value_typeET4_jRbjT5_SW_jjP12ihipStream_tbEUlT_E0_NS1_11comp_targetILNS1_3genE10ELNS1_11target_archE1200ELNS1_3gpuE4ELNS1_3repE0EEENS1_60segmented_radix_sort_warp_sort_medium_config_static_selectorELNS0_4arch9wavefront6targetE0EEEvSK_ ; -- Begin function _ZN7rocprim17ROCPRIM_400000_NS6detail17trampoline_kernelINS0_14default_configENS1_36segmented_radix_sort_config_selectorIslEEZNS1_25segmented_radix_sort_implIS3_Lb0EPKsPsPKlPlN2at6native12_GLOBAL__N_18offset_tEEE10hipError_tPvRmT1_PNSt15iterator_traitsISK_E10value_typeET2_T3_PNSL_ISQ_E10value_typeET4_jRbjT5_SW_jjP12ihipStream_tbEUlT_E0_NS1_11comp_targetILNS1_3genE10ELNS1_11target_archE1200ELNS1_3gpuE4ELNS1_3repE0EEENS1_60segmented_radix_sort_warp_sort_medium_config_static_selectorELNS0_4arch9wavefront6targetE0EEEvSK_
	.p2align	8
	.type	_ZN7rocprim17ROCPRIM_400000_NS6detail17trampoline_kernelINS0_14default_configENS1_36segmented_radix_sort_config_selectorIslEEZNS1_25segmented_radix_sort_implIS3_Lb0EPKsPsPKlPlN2at6native12_GLOBAL__N_18offset_tEEE10hipError_tPvRmT1_PNSt15iterator_traitsISK_E10value_typeET2_T3_PNSL_ISQ_E10value_typeET4_jRbjT5_SW_jjP12ihipStream_tbEUlT_E0_NS1_11comp_targetILNS1_3genE10ELNS1_11target_archE1200ELNS1_3gpuE4ELNS1_3repE0EEENS1_60segmented_radix_sort_warp_sort_medium_config_static_selectorELNS0_4arch9wavefront6targetE0EEEvSK_,@function
_ZN7rocprim17ROCPRIM_400000_NS6detail17trampoline_kernelINS0_14default_configENS1_36segmented_radix_sort_config_selectorIslEEZNS1_25segmented_radix_sort_implIS3_Lb0EPKsPsPKlPlN2at6native12_GLOBAL__N_18offset_tEEE10hipError_tPvRmT1_PNSt15iterator_traitsISK_E10value_typeET2_T3_PNSL_ISQ_E10value_typeET4_jRbjT5_SW_jjP12ihipStream_tbEUlT_E0_NS1_11comp_targetILNS1_3genE10ELNS1_11target_archE1200ELNS1_3gpuE4ELNS1_3repE0EEENS1_60segmented_radix_sort_warp_sort_medium_config_static_selectorELNS0_4arch9wavefront6targetE0EEEvSK_: ; @_ZN7rocprim17ROCPRIM_400000_NS6detail17trampoline_kernelINS0_14default_configENS1_36segmented_radix_sort_config_selectorIslEEZNS1_25segmented_radix_sort_implIS3_Lb0EPKsPsPKlPlN2at6native12_GLOBAL__N_18offset_tEEE10hipError_tPvRmT1_PNSt15iterator_traitsISK_E10value_typeET2_T3_PNSL_ISQ_E10value_typeET4_jRbjT5_SW_jjP12ihipStream_tbEUlT_E0_NS1_11comp_targetILNS1_3genE10ELNS1_11target_archE1200ELNS1_3gpuE4ELNS1_3repE0EEENS1_60segmented_radix_sort_warp_sort_medium_config_static_selectorELNS0_4arch9wavefront6targetE0EEEvSK_
; %bb.0:
	.section	.rodata,"a",@progbits
	.p2align	6, 0x0
	.amdhsa_kernel _ZN7rocprim17ROCPRIM_400000_NS6detail17trampoline_kernelINS0_14default_configENS1_36segmented_radix_sort_config_selectorIslEEZNS1_25segmented_radix_sort_implIS3_Lb0EPKsPsPKlPlN2at6native12_GLOBAL__N_18offset_tEEE10hipError_tPvRmT1_PNSt15iterator_traitsISK_E10value_typeET2_T3_PNSL_ISQ_E10value_typeET4_jRbjT5_SW_jjP12ihipStream_tbEUlT_E0_NS1_11comp_targetILNS1_3genE10ELNS1_11target_archE1200ELNS1_3gpuE4ELNS1_3repE0EEENS1_60segmented_radix_sort_warp_sort_medium_config_static_selectorELNS0_4arch9wavefront6targetE0EEEvSK_
		.amdhsa_group_segment_fixed_size 0
		.amdhsa_private_segment_fixed_size 0
		.amdhsa_kernarg_size 88
		.amdhsa_user_sgpr_count 2
		.amdhsa_user_sgpr_dispatch_ptr 0
		.amdhsa_user_sgpr_queue_ptr 0
		.amdhsa_user_sgpr_kernarg_segment_ptr 1
		.amdhsa_user_sgpr_dispatch_id 0
		.amdhsa_user_sgpr_private_segment_size 0
		.amdhsa_wavefront_size32 1
		.amdhsa_uses_dynamic_stack 0
		.amdhsa_enable_private_segment 0
		.amdhsa_system_sgpr_workgroup_id_x 1
		.amdhsa_system_sgpr_workgroup_id_y 0
		.amdhsa_system_sgpr_workgroup_id_z 0
		.amdhsa_system_sgpr_workgroup_info 0
		.amdhsa_system_vgpr_workitem_id 0
		.amdhsa_next_free_vgpr 1
		.amdhsa_next_free_sgpr 1
		.amdhsa_reserve_vcc 0
		.amdhsa_float_round_mode_32 0
		.amdhsa_float_round_mode_16_64 0
		.amdhsa_float_denorm_mode_32 3
		.amdhsa_float_denorm_mode_16_64 3
		.amdhsa_fp16_overflow 0
		.amdhsa_workgroup_processor_mode 1
		.amdhsa_memory_ordered 1
		.amdhsa_forward_progress 1
		.amdhsa_inst_pref_size 0
		.amdhsa_round_robin_scheduling 0
		.amdhsa_exception_fp_ieee_invalid_op 0
		.amdhsa_exception_fp_denorm_src 0
		.amdhsa_exception_fp_ieee_div_zero 0
		.amdhsa_exception_fp_ieee_overflow 0
		.amdhsa_exception_fp_ieee_underflow 0
		.amdhsa_exception_fp_ieee_inexact 0
		.amdhsa_exception_int_div_zero 0
	.end_amdhsa_kernel
	.section	.text._ZN7rocprim17ROCPRIM_400000_NS6detail17trampoline_kernelINS0_14default_configENS1_36segmented_radix_sort_config_selectorIslEEZNS1_25segmented_radix_sort_implIS3_Lb0EPKsPsPKlPlN2at6native12_GLOBAL__N_18offset_tEEE10hipError_tPvRmT1_PNSt15iterator_traitsISK_E10value_typeET2_T3_PNSL_ISQ_E10value_typeET4_jRbjT5_SW_jjP12ihipStream_tbEUlT_E0_NS1_11comp_targetILNS1_3genE10ELNS1_11target_archE1200ELNS1_3gpuE4ELNS1_3repE0EEENS1_60segmented_radix_sort_warp_sort_medium_config_static_selectorELNS0_4arch9wavefront6targetE0EEEvSK_,"axG",@progbits,_ZN7rocprim17ROCPRIM_400000_NS6detail17trampoline_kernelINS0_14default_configENS1_36segmented_radix_sort_config_selectorIslEEZNS1_25segmented_radix_sort_implIS3_Lb0EPKsPsPKlPlN2at6native12_GLOBAL__N_18offset_tEEE10hipError_tPvRmT1_PNSt15iterator_traitsISK_E10value_typeET2_T3_PNSL_ISQ_E10value_typeET4_jRbjT5_SW_jjP12ihipStream_tbEUlT_E0_NS1_11comp_targetILNS1_3genE10ELNS1_11target_archE1200ELNS1_3gpuE4ELNS1_3repE0EEENS1_60segmented_radix_sort_warp_sort_medium_config_static_selectorELNS0_4arch9wavefront6targetE0EEEvSK_,comdat
.Lfunc_end1031:
	.size	_ZN7rocprim17ROCPRIM_400000_NS6detail17trampoline_kernelINS0_14default_configENS1_36segmented_radix_sort_config_selectorIslEEZNS1_25segmented_radix_sort_implIS3_Lb0EPKsPsPKlPlN2at6native12_GLOBAL__N_18offset_tEEE10hipError_tPvRmT1_PNSt15iterator_traitsISK_E10value_typeET2_T3_PNSL_ISQ_E10value_typeET4_jRbjT5_SW_jjP12ihipStream_tbEUlT_E0_NS1_11comp_targetILNS1_3genE10ELNS1_11target_archE1200ELNS1_3gpuE4ELNS1_3repE0EEENS1_60segmented_radix_sort_warp_sort_medium_config_static_selectorELNS0_4arch9wavefront6targetE0EEEvSK_, .Lfunc_end1031-_ZN7rocprim17ROCPRIM_400000_NS6detail17trampoline_kernelINS0_14default_configENS1_36segmented_radix_sort_config_selectorIslEEZNS1_25segmented_radix_sort_implIS3_Lb0EPKsPsPKlPlN2at6native12_GLOBAL__N_18offset_tEEE10hipError_tPvRmT1_PNSt15iterator_traitsISK_E10value_typeET2_T3_PNSL_ISQ_E10value_typeET4_jRbjT5_SW_jjP12ihipStream_tbEUlT_E0_NS1_11comp_targetILNS1_3genE10ELNS1_11target_archE1200ELNS1_3gpuE4ELNS1_3repE0EEENS1_60segmented_radix_sort_warp_sort_medium_config_static_selectorELNS0_4arch9wavefront6targetE0EEEvSK_
                                        ; -- End function
	.set _ZN7rocprim17ROCPRIM_400000_NS6detail17trampoline_kernelINS0_14default_configENS1_36segmented_radix_sort_config_selectorIslEEZNS1_25segmented_radix_sort_implIS3_Lb0EPKsPsPKlPlN2at6native12_GLOBAL__N_18offset_tEEE10hipError_tPvRmT1_PNSt15iterator_traitsISK_E10value_typeET2_T3_PNSL_ISQ_E10value_typeET4_jRbjT5_SW_jjP12ihipStream_tbEUlT_E0_NS1_11comp_targetILNS1_3genE10ELNS1_11target_archE1200ELNS1_3gpuE4ELNS1_3repE0EEENS1_60segmented_radix_sort_warp_sort_medium_config_static_selectorELNS0_4arch9wavefront6targetE0EEEvSK_.num_vgpr, 0
	.set _ZN7rocprim17ROCPRIM_400000_NS6detail17trampoline_kernelINS0_14default_configENS1_36segmented_radix_sort_config_selectorIslEEZNS1_25segmented_radix_sort_implIS3_Lb0EPKsPsPKlPlN2at6native12_GLOBAL__N_18offset_tEEE10hipError_tPvRmT1_PNSt15iterator_traitsISK_E10value_typeET2_T3_PNSL_ISQ_E10value_typeET4_jRbjT5_SW_jjP12ihipStream_tbEUlT_E0_NS1_11comp_targetILNS1_3genE10ELNS1_11target_archE1200ELNS1_3gpuE4ELNS1_3repE0EEENS1_60segmented_radix_sort_warp_sort_medium_config_static_selectorELNS0_4arch9wavefront6targetE0EEEvSK_.num_agpr, 0
	.set _ZN7rocprim17ROCPRIM_400000_NS6detail17trampoline_kernelINS0_14default_configENS1_36segmented_radix_sort_config_selectorIslEEZNS1_25segmented_radix_sort_implIS3_Lb0EPKsPsPKlPlN2at6native12_GLOBAL__N_18offset_tEEE10hipError_tPvRmT1_PNSt15iterator_traitsISK_E10value_typeET2_T3_PNSL_ISQ_E10value_typeET4_jRbjT5_SW_jjP12ihipStream_tbEUlT_E0_NS1_11comp_targetILNS1_3genE10ELNS1_11target_archE1200ELNS1_3gpuE4ELNS1_3repE0EEENS1_60segmented_radix_sort_warp_sort_medium_config_static_selectorELNS0_4arch9wavefront6targetE0EEEvSK_.numbered_sgpr, 0
	.set _ZN7rocprim17ROCPRIM_400000_NS6detail17trampoline_kernelINS0_14default_configENS1_36segmented_radix_sort_config_selectorIslEEZNS1_25segmented_radix_sort_implIS3_Lb0EPKsPsPKlPlN2at6native12_GLOBAL__N_18offset_tEEE10hipError_tPvRmT1_PNSt15iterator_traitsISK_E10value_typeET2_T3_PNSL_ISQ_E10value_typeET4_jRbjT5_SW_jjP12ihipStream_tbEUlT_E0_NS1_11comp_targetILNS1_3genE10ELNS1_11target_archE1200ELNS1_3gpuE4ELNS1_3repE0EEENS1_60segmented_radix_sort_warp_sort_medium_config_static_selectorELNS0_4arch9wavefront6targetE0EEEvSK_.num_named_barrier, 0
	.set _ZN7rocprim17ROCPRIM_400000_NS6detail17trampoline_kernelINS0_14default_configENS1_36segmented_radix_sort_config_selectorIslEEZNS1_25segmented_radix_sort_implIS3_Lb0EPKsPsPKlPlN2at6native12_GLOBAL__N_18offset_tEEE10hipError_tPvRmT1_PNSt15iterator_traitsISK_E10value_typeET2_T3_PNSL_ISQ_E10value_typeET4_jRbjT5_SW_jjP12ihipStream_tbEUlT_E0_NS1_11comp_targetILNS1_3genE10ELNS1_11target_archE1200ELNS1_3gpuE4ELNS1_3repE0EEENS1_60segmented_radix_sort_warp_sort_medium_config_static_selectorELNS0_4arch9wavefront6targetE0EEEvSK_.private_seg_size, 0
	.set _ZN7rocprim17ROCPRIM_400000_NS6detail17trampoline_kernelINS0_14default_configENS1_36segmented_radix_sort_config_selectorIslEEZNS1_25segmented_radix_sort_implIS3_Lb0EPKsPsPKlPlN2at6native12_GLOBAL__N_18offset_tEEE10hipError_tPvRmT1_PNSt15iterator_traitsISK_E10value_typeET2_T3_PNSL_ISQ_E10value_typeET4_jRbjT5_SW_jjP12ihipStream_tbEUlT_E0_NS1_11comp_targetILNS1_3genE10ELNS1_11target_archE1200ELNS1_3gpuE4ELNS1_3repE0EEENS1_60segmented_radix_sort_warp_sort_medium_config_static_selectorELNS0_4arch9wavefront6targetE0EEEvSK_.uses_vcc, 0
	.set _ZN7rocprim17ROCPRIM_400000_NS6detail17trampoline_kernelINS0_14default_configENS1_36segmented_radix_sort_config_selectorIslEEZNS1_25segmented_radix_sort_implIS3_Lb0EPKsPsPKlPlN2at6native12_GLOBAL__N_18offset_tEEE10hipError_tPvRmT1_PNSt15iterator_traitsISK_E10value_typeET2_T3_PNSL_ISQ_E10value_typeET4_jRbjT5_SW_jjP12ihipStream_tbEUlT_E0_NS1_11comp_targetILNS1_3genE10ELNS1_11target_archE1200ELNS1_3gpuE4ELNS1_3repE0EEENS1_60segmented_radix_sort_warp_sort_medium_config_static_selectorELNS0_4arch9wavefront6targetE0EEEvSK_.uses_flat_scratch, 0
	.set _ZN7rocprim17ROCPRIM_400000_NS6detail17trampoline_kernelINS0_14default_configENS1_36segmented_radix_sort_config_selectorIslEEZNS1_25segmented_radix_sort_implIS3_Lb0EPKsPsPKlPlN2at6native12_GLOBAL__N_18offset_tEEE10hipError_tPvRmT1_PNSt15iterator_traitsISK_E10value_typeET2_T3_PNSL_ISQ_E10value_typeET4_jRbjT5_SW_jjP12ihipStream_tbEUlT_E0_NS1_11comp_targetILNS1_3genE10ELNS1_11target_archE1200ELNS1_3gpuE4ELNS1_3repE0EEENS1_60segmented_radix_sort_warp_sort_medium_config_static_selectorELNS0_4arch9wavefront6targetE0EEEvSK_.has_dyn_sized_stack, 0
	.set _ZN7rocprim17ROCPRIM_400000_NS6detail17trampoline_kernelINS0_14default_configENS1_36segmented_radix_sort_config_selectorIslEEZNS1_25segmented_radix_sort_implIS3_Lb0EPKsPsPKlPlN2at6native12_GLOBAL__N_18offset_tEEE10hipError_tPvRmT1_PNSt15iterator_traitsISK_E10value_typeET2_T3_PNSL_ISQ_E10value_typeET4_jRbjT5_SW_jjP12ihipStream_tbEUlT_E0_NS1_11comp_targetILNS1_3genE10ELNS1_11target_archE1200ELNS1_3gpuE4ELNS1_3repE0EEENS1_60segmented_radix_sort_warp_sort_medium_config_static_selectorELNS0_4arch9wavefront6targetE0EEEvSK_.has_recursion, 0
	.set _ZN7rocprim17ROCPRIM_400000_NS6detail17trampoline_kernelINS0_14default_configENS1_36segmented_radix_sort_config_selectorIslEEZNS1_25segmented_radix_sort_implIS3_Lb0EPKsPsPKlPlN2at6native12_GLOBAL__N_18offset_tEEE10hipError_tPvRmT1_PNSt15iterator_traitsISK_E10value_typeET2_T3_PNSL_ISQ_E10value_typeET4_jRbjT5_SW_jjP12ihipStream_tbEUlT_E0_NS1_11comp_targetILNS1_3genE10ELNS1_11target_archE1200ELNS1_3gpuE4ELNS1_3repE0EEENS1_60segmented_radix_sort_warp_sort_medium_config_static_selectorELNS0_4arch9wavefront6targetE0EEEvSK_.has_indirect_call, 0
	.section	.AMDGPU.csdata,"",@progbits
; Kernel info:
; codeLenInByte = 0
; TotalNumSgprs: 0
; NumVgprs: 0
; ScratchSize: 0
; MemoryBound: 0
; FloatMode: 240
; IeeeMode: 1
; LDSByteSize: 0 bytes/workgroup (compile time only)
; SGPRBlocks: 0
; VGPRBlocks: 0
; NumSGPRsForWavesPerEU: 1
; NumVGPRsForWavesPerEU: 1
; Occupancy: 16
; WaveLimiterHint : 0
; COMPUTE_PGM_RSRC2:SCRATCH_EN: 0
; COMPUTE_PGM_RSRC2:USER_SGPR: 2
; COMPUTE_PGM_RSRC2:TRAP_HANDLER: 0
; COMPUTE_PGM_RSRC2:TGID_X_EN: 1
; COMPUTE_PGM_RSRC2:TGID_Y_EN: 0
; COMPUTE_PGM_RSRC2:TGID_Z_EN: 0
; COMPUTE_PGM_RSRC2:TIDIG_COMP_CNT: 0
	.section	.text._ZN7rocprim17ROCPRIM_400000_NS6detail17trampoline_kernelINS0_14default_configENS1_36segmented_radix_sort_config_selectorIslEEZNS1_25segmented_radix_sort_implIS3_Lb0EPKsPsPKlPlN2at6native12_GLOBAL__N_18offset_tEEE10hipError_tPvRmT1_PNSt15iterator_traitsISK_E10value_typeET2_T3_PNSL_ISQ_E10value_typeET4_jRbjT5_SW_jjP12ihipStream_tbEUlT_E0_NS1_11comp_targetILNS1_3genE9ELNS1_11target_archE1100ELNS1_3gpuE3ELNS1_3repE0EEENS1_60segmented_radix_sort_warp_sort_medium_config_static_selectorELNS0_4arch9wavefront6targetE0EEEvSK_,"axG",@progbits,_ZN7rocprim17ROCPRIM_400000_NS6detail17trampoline_kernelINS0_14default_configENS1_36segmented_radix_sort_config_selectorIslEEZNS1_25segmented_radix_sort_implIS3_Lb0EPKsPsPKlPlN2at6native12_GLOBAL__N_18offset_tEEE10hipError_tPvRmT1_PNSt15iterator_traitsISK_E10value_typeET2_T3_PNSL_ISQ_E10value_typeET4_jRbjT5_SW_jjP12ihipStream_tbEUlT_E0_NS1_11comp_targetILNS1_3genE9ELNS1_11target_archE1100ELNS1_3gpuE3ELNS1_3repE0EEENS1_60segmented_radix_sort_warp_sort_medium_config_static_selectorELNS0_4arch9wavefront6targetE0EEEvSK_,comdat
	.globl	_ZN7rocprim17ROCPRIM_400000_NS6detail17trampoline_kernelINS0_14default_configENS1_36segmented_radix_sort_config_selectorIslEEZNS1_25segmented_radix_sort_implIS3_Lb0EPKsPsPKlPlN2at6native12_GLOBAL__N_18offset_tEEE10hipError_tPvRmT1_PNSt15iterator_traitsISK_E10value_typeET2_T3_PNSL_ISQ_E10value_typeET4_jRbjT5_SW_jjP12ihipStream_tbEUlT_E0_NS1_11comp_targetILNS1_3genE9ELNS1_11target_archE1100ELNS1_3gpuE3ELNS1_3repE0EEENS1_60segmented_radix_sort_warp_sort_medium_config_static_selectorELNS0_4arch9wavefront6targetE0EEEvSK_ ; -- Begin function _ZN7rocprim17ROCPRIM_400000_NS6detail17trampoline_kernelINS0_14default_configENS1_36segmented_radix_sort_config_selectorIslEEZNS1_25segmented_radix_sort_implIS3_Lb0EPKsPsPKlPlN2at6native12_GLOBAL__N_18offset_tEEE10hipError_tPvRmT1_PNSt15iterator_traitsISK_E10value_typeET2_T3_PNSL_ISQ_E10value_typeET4_jRbjT5_SW_jjP12ihipStream_tbEUlT_E0_NS1_11comp_targetILNS1_3genE9ELNS1_11target_archE1100ELNS1_3gpuE3ELNS1_3repE0EEENS1_60segmented_radix_sort_warp_sort_medium_config_static_selectorELNS0_4arch9wavefront6targetE0EEEvSK_
	.p2align	8
	.type	_ZN7rocprim17ROCPRIM_400000_NS6detail17trampoline_kernelINS0_14default_configENS1_36segmented_radix_sort_config_selectorIslEEZNS1_25segmented_radix_sort_implIS3_Lb0EPKsPsPKlPlN2at6native12_GLOBAL__N_18offset_tEEE10hipError_tPvRmT1_PNSt15iterator_traitsISK_E10value_typeET2_T3_PNSL_ISQ_E10value_typeET4_jRbjT5_SW_jjP12ihipStream_tbEUlT_E0_NS1_11comp_targetILNS1_3genE9ELNS1_11target_archE1100ELNS1_3gpuE3ELNS1_3repE0EEENS1_60segmented_radix_sort_warp_sort_medium_config_static_selectorELNS0_4arch9wavefront6targetE0EEEvSK_,@function
_ZN7rocprim17ROCPRIM_400000_NS6detail17trampoline_kernelINS0_14default_configENS1_36segmented_radix_sort_config_selectorIslEEZNS1_25segmented_radix_sort_implIS3_Lb0EPKsPsPKlPlN2at6native12_GLOBAL__N_18offset_tEEE10hipError_tPvRmT1_PNSt15iterator_traitsISK_E10value_typeET2_T3_PNSL_ISQ_E10value_typeET4_jRbjT5_SW_jjP12ihipStream_tbEUlT_E0_NS1_11comp_targetILNS1_3genE9ELNS1_11target_archE1100ELNS1_3gpuE3ELNS1_3repE0EEENS1_60segmented_radix_sort_warp_sort_medium_config_static_selectorELNS0_4arch9wavefront6targetE0EEEvSK_: ; @_ZN7rocprim17ROCPRIM_400000_NS6detail17trampoline_kernelINS0_14default_configENS1_36segmented_radix_sort_config_selectorIslEEZNS1_25segmented_radix_sort_implIS3_Lb0EPKsPsPKlPlN2at6native12_GLOBAL__N_18offset_tEEE10hipError_tPvRmT1_PNSt15iterator_traitsISK_E10value_typeET2_T3_PNSL_ISQ_E10value_typeET4_jRbjT5_SW_jjP12ihipStream_tbEUlT_E0_NS1_11comp_targetILNS1_3genE9ELNS1_11target_archE1100ELNS1_3gpuE3ELNS1_3repE0EEENS1_60segmented_radix_sort_warp_sort_medium_config_static_selectorELNS0_4arch9wavefront6targetE0EEEvSK_
; %bb.0:
	.section	.rodata,"a",@progbits
	.p2align	6, 0x0
	.amdhsa_kernel _ZN7rocprim17ROCPRIM_400000_NS6detail17trampoline_kernelINS0_14default_configENS1_36segmented_radix_sort_config_selectorIslEEZNS1_25segmented_radix_sort_implIS3_Lb0EPKsPsPKlPlN2at6native12_GLOBAL__N_18offset_tEEE10hipError_tPvRmT1_PNSt15iterator_traitsISK_E10value_typeET2_T3_PNSL_ISQ_E10value_typeET4_jRbjT5_SW_jjP12ihipStream_tbEUlT_E0_NS1_11comp_targetILNS1_3genE9ELNS1_11target_archE1100ELNS1_3gpuE3ELNS1_3repE0EEENS1_60segmented_radix_sort_warp_sort_medium_config_static_selectorELNS0_4arch9wavefront6targetE0EEEvSK_
		.amdhsa_group_segment_fixed_size 0
		.amdhsa_private_segment_fixed_size 0
		.amdhsa_kernarg_size 88
		.amdhsa_user_sgpr_count 2
		.amdhsa_user_sgpr_dispatch_ptr 0
		.amdhsa_user_sgpr_queue_ptr 0
		.amdhsa_user_sgpr_kernarg_segment_ptr 1
		.amdhsa_user_sgpr_dispatch_id 0
		.amdhsa_user_sgpr_private_segment_size 0
		.amdhsa_wavefront_size32 1
		.amdhsa_uses_dynamic_stack 0
		.amdhsa_enable_private_segment 0
		.amdhsa_system_sgpr_workgroup_id_x 1
		.amdhsa_system_sgpr_workgroup_id_y 0
		.amdhsa_system_sgpr_workgroup_id_z 0
		.amdhsa_system_sgpr_workgroup_info 0
		.amdhsa_system_vgpr_workitem_id 0
		.amdhsa_next_free_vgpr 1
		.amdhsa_next_free_sgpr 1
		.amdhsa_reserve_vcc 0
		.amdhsa_float_round_mode_32 0
		.amdhsa_float_round_mode_16_64 0
		.amdhsa_float_denorm_mode_32 3
		.amdhsa_float_denorm_mode_16_64 3
		.amdhsa_fp16_overflow 0
		.amdhsa_workgroup_processor_mode 1
		.amdhsa_memory_ordered 1
		.amdhsa_forward_progress 1
		.amdhsa_inst_pref_size 0
		.amdhsa_round_robin_scheduling 0
		.amdhsa_exception_fp_ieee_invalid_op 0
		.amdhsa_exception_fp_denorm_src 0
		.amdhsa_exception_fp_ieee_div_zero 0
		.amdhsa_exception_fp_ieee_overflow 0
		.amdhsa_exception_fp_ieee_underflow 0
		.amdhsa_exception_fp_ieee_inexact 0
		.amdhsa_exception_int_div_zero 0
	.end_amdhsa_kernel
	.section	.text._ZN7rocprim17ROCPRIM_400000_NS6detail17trampoline_kernelINS0_14default_configENS1_36segmented_radix_sort_config_selectorIslEEZNS1_25segmented_radix_sort_implIS3_Lb0EPKsPsPKlPlN2at6native12_GLOBAL__N_18offset_tEEE10hipError_tPvRmT1_PNSt15iterator_traitsISK_E10value_typeET2_T3_PNSL_ISQ_E10value_typeET4_jRbjT5_SW_jjP12ihipStream_tbEUlT_E0_NS1_11comp_targetILNS1_3genE9ELNS1_11target_archE1100ELNS1_3gpuE3ELNS1_3repE0EEENS1_60segmented_radix_sort_warp_sort_medium_config_static_selectorELNS0_4arch9wavefront6targetE0EEEvSK_,"axG",@progbits,_ZN7rocprim17ROCPRIM_400000_NS6detail17trampoline_kernelINS0_14default_configENS1_36segmented_radix_sort_config_selectorIslEEZNS1_25segmented_radix_sort_implIS3_Lb0EPKsPsPKlPlN2at6native12_GLOBAL__N_18offset_tEEE10hipError_tPvRmT1_PNSt15iterator_traitsISK_E10value_typeET2_T3_PNSL_ISQ_E10value_typeET4_jRbjT5_SW_jjP12ihipStream_tbEUlT_E0_NS1_11comp_targetILNS1_3genE9ELNS1_11target_archE1100ELNS1_3gpuE3ELNS1_3repE0EEENS1_60segmented_radix_sort_warp_sort_medium_config_static_selectorELNS0_4arch9wavefront6targetE0EEEvSK_,comdat
.Lfunc_end1032:
	.size	_ZN7rocprim17ROCPRIM_400000_NS6detail17trampoline_kernelINS0_14default_configENS1_36segmented_radix_sort_config_selectorIslEEZNS1_25segmented_radix_sort_implIS3_Lb0EPKsPsPKlPlN2at6native12_GLOBAL__N_18offset_tEEE10hipError_tPvRmT1_PNSt15iterator_traitsISK_E10value_typeET2_T3_PNSL_ISQ_E10value_typeET4_jRbjT5_SW_jjP12ihipStream_tbEUlT_E0_NS1_11comp_targetILNS1_3genE9ELNS1_11target_archE1100ELNS1_3gpuE3ELNS1_3repE0EEENS1_60segmented_radix_sort_warp_sort_medium_config_static_selectorELNS0_4arch9wavefront6targetE0EEEvSK_, .Lfunc_end1032-_ZN7rocprim17ROCPRIM_400000_NS6detail17trampoline_kernelINS0_14default_configENS1_36segmented_radix_sort_config_selectorIslEEZNS1_25segmented_radix_sort_implIS3_Lb0EPKsPsPKlPlN2at6native12_GLOBAL__N_18offset_tEEE10hipError_tPvRmT1_PNSt15iterator_traitsISK_E10value_typeET2_T3_PNSL_ISQ_E10value_typeET4_jRbjT5_SW_jjP12ihipStream_tbEUlT_E0_NS1_11comp_targetILNS1_3genE9ELNS1_11target_archE1100ELNS1_3gpuE3ELNS1_3repE0EEENS1_60segmented_radix_sort_warp_sort_medium_config_static_selectorELNS0_4arch9wavefront6targetE0EEEvSK_
                                        ; -- End function
	.set _ZN7rocprim17ROCPRIM_400000_NS6detail17trampoline_kernelINS0_14default_configENS1_36segmented_radix_sort_config_selectorIslEEZNS1_25segmented_radix_sort_implIS3_Lb0EPKsPsPKlPlN2at6native12_GLOBAL__N_18offset_tEEE10hipError_tPvRmT1_PNSt15iterator_traitsISK_E10value_typeET2_T3_PNSL_ISQ_E10value_typeET4_jRbjT5_SW_jjP12ihipStream_tbEUlT_E0_NS1_11comp_targetILNS1_3genE9ELNS1_11target_archE1100ELNS1_3gpuE3ELNS1_3repE0EEENS1_60segmented_radix_sort_warp_sort_medium_config_static_selectorELNS0_4arch9wavefront6targetE0EEEvSK_.num_vgpr, 0
	.set _ZN7rocprim17ROCPRIM_400000_NS6detail17trampoline_kernelINS0_14default_configENS1_36segmented_radix_sort_config_selectorIslEEZNS1_25segmented_radix_sort_implIS3_Lb0EPKsPsPKlPlN2at6native12_GLOBAL__N_18offset_tEEE10hipError_tPvRmT1_PNSt15iterator_traitsISK_E10value_typeET2_T3_PNSL_ISQ_E10value_typeET4_jRbjT5_SW_jjP12ihipStream_tbEUlT_E0_NS1_11comp_targetILNS1_3genE9ELNS1_11target_archE1100ELNS1_3gpuE3ELNS1_3repE0EEENS1_60segmented_radix_sort_warp_sort_medium_config_static_selectorELNS0_4arch9wavefront6targetE0EEEvSK_.num_agpr, 0
	.set _ZN7rocprim17ROCPRIM_400000_NS6detail17trampoline_kernelINS0_14default_configENS1_36segmented_radix_sort_config_selectorIslEEZNS1_25segmented_radix_sort_implIS3_Lb0EPKsPsPKlPlN2at6native12_GLOBAL__N_18offset_tEEE10hipError_tPvRmT1_PNSt15iterator_traitsISK_E10value_typeET2_T3_PNSL_ISQ_E10value_typeET4_jRbjT5_SW_jjP12ihipStream_tbEUlT_E0_NS1_11comp_targetILNS1_3genE9ELNS1_11target_archE1100ELNS1_3gpuE3ELNS1_3repE0EEENS1_60segmented_radix_sort_warp_sort_medium_config_static_selectorELNS0_4arch9wavefront6targetE0EEEvSK_.numbered_sgpr, 0
	.set _ZN7rocprim17ROCPRIM_400000_NS6detail17trampoline_kernelINS0_14default_configENS1_36segmented_radix_sort_config_selectorIslEEZNS1_25segmented_radix_sort_implIS3_Lb0EPKsPsPKlPlN2at6native12_GLOBAL__N_18offset_tEEE10hipError_tPvRmT1_PNSt15iterator_traitsISK_E10value_typeET2_T3_PNSL_ISQ_E10value_typeET4_jRbjT5_SW_jjP12ihipStream_tbEUlT_E0_NS1_11comp_targetILNS1_3genE9ELNS1_11target_archE1100ELNS1_3gpuE3ELNS1_3repE0EEENS1_60segmented_radix_sort_warp_sort_medium_config_static_selectorELNS0_4arch9wavefront6targetE0EEEvSK_.num_named_barrier, 0
	.set _ZN7rocprim17ROCPRIM_400000_NS6detail17trampoline_kernelINS0_14default_configENS1_36segmented_radix_sort_config_selectorIslEEZNS1_25segmented_radix_sort_implIS3_Lb0EPKsPsPKlPlN2at6native12_GLOBAL__N_18offset_tEEE10hipError_tPvRmT1_PNSt15iterator_traitsISK_E10value_typeET2_T3_PNSL_ISQ_E10value_typeET4_jRbjT5_SW_jjP12ihipStream_tbEUlT_E0_NS1_11comp_targetILNS1_3genE9ELNS1_11target_archE1100ELNS1_3gpuE3ELNS1_3repE0EEENS1_60segmented_radix_sort_warp_sort_medium_config_static_selectorELNS0_4arch9wavefront6targetE0EEEvSK_.private_seg_size, 0
	.set _ZN7rocprim17ROCPRIM_400000_NS6detail17trampoline_kernelINS0_14default_configENS1_36segmented_radix_sort_config_selectorIslEEZNS1_25segmented_radix_sort_implIS3_Lb0EPKsPsPKlPlN2at6native12_GLOBAL__N_18offset_tEEE10hipError_tPvRmT1_PNSt15iterator_traitsISK_E10value_typeET2_T3_PNSL_ISQ_E10value_typeET4_jRbjT5_SW_jjP12ihipStream_tbEUlT_E0_NS1_11comp_targetILNS1_3genE9ELNS1_11target_archE1100ELNS1_3gpuE3ELNS1_3repE0EEENS1_60segmented_radix_sort_warp_sort_medium_config_static_selectorELNS0_4arch9wavefront6targetE0EEEvSK_.uses_vcc, 0
	.set _ZN7rocprim17ROCPRIM_400000_NS6detail17trampoline_kernelINS0_14default_configENS1_36segmented_radix_sort_config_selectorIslEEZNS1_25segmented_radix_sort_implIS3_Lb0EPKsPsPKlPlN2at6native12_GLOBAL__N_18offset_tEEE10hipError_tPvRmT1_PNSt15iterator_traitsISK_E10value_typeET2_T3_PNSL_ISQ_E10value_typeET4_jRbjT5_SW_jjP12ihipStream_tbEUlT_E0_NS1_11comp_targetILNS1_3genE9ELNS1_11target_archE1100ELNS1_3gpuE3ELNS1_3repE0EEENS1_60segmented_radix_sort_warp_sort_medium_config_static_selectorELNS0_4arch9wavefront6targetE0EEEvSK_.uses_flat_scratch, 0
	.set _ZN7rocprim17ROCPRIM_400000_NS6detail17trampoline_kernelINS0_14default_configENS1_36segmented_radix_sort_config_selectorIslEEZNS1_25segmented_radix_sort_implIS3_Lb0EPKsPsPKlPlN2at6native12_GLOBAL__N_18offset_tEEE10hipError_tPvRmT1_PNSt15iterator_traitsISK_E10value_typeET2_T3_PNSL_ISQ_E10value_typeET4_jRbjT5_SW_jjP12ihipStream_tbEUlT_E0_NS1_11comp_targetILNS1_3genE9ELNS1_11target_archE1100ELNS1_3gpuE3ELNS1_3repE0EEENS1_60segmented_radix_sort_warp_sort_medium_config_static_selectorELNS0_4arch9wavefront6targetE0EEEvSK_.has_dyn_sized_stack, 0
	.set _ZN7rocprim17ROCPRIM_400000_NS6detail17trampoline_kernelINS0_14default_configENS1_36segmented_radix_sort_config_selectorIslEEZNS1_25segmented_radix_sort_implIS3_Lb0EPKsPsPKlPlN2at6native12_GLOBAL__N_18offset_tEEE10hipError_tPvRmT1_PNSt15iterator_traitsISK_E10value_typeET2_T3_PNSL_ISQ_E10value_typeET4_jRbjT5_SW_jjP12ihipStream_tbEUlT_E0_NS1_11comp_targetILNS1_3genE9ELNS1_11target_archE1100ELNS1_3gpuE3ELNS1_3repE0EEENS1_60segmented_radix_sort_warp_sort_medium_config_static_selectorELNS0_4arch9wavefront6targetE0EEEvSK_.has_recursion, 0
	.set _ZN7rocprim17ROCPRIM_400000_NS6detail17trampoline_kernelINS0_14default_configENS1_36segmented_radix_sort_config_selectorIslEEZNS1_25segmented_radix_sort_implIS3_Lb0EPKsPsPKlPlN2at6native12_GLOBAL__N_18offset_tEEE10hipError_tPvRmT1_PNSt15iterator_traitsISK_E10value_typeET2_T3_PNSL_ISQ_E10value_typeET4_jRbjT5_SW_jjP12ihipStream_tbEUlT_E0_NS1_11comp_targetILNS1_3genE9ELNS1_11target_archE1100ELNS1_3gpuE3ELNS1_3repE0EEENS1_60segmented_radix_sort_warp_sort_medium_config_static_selectorELNS0_4arch9wavefront6targetE0EEEvSK_.has_indirect_call, 0
	.section	.AMDGPU.csdata,"",@progbits
; Kernel info:
; codeLenInByte = 0
; TotalNumSgprs: 0
; NumVgprs: 0
; ScratchSize: 0
; MemoryBound: 0
; FloatMode: 240
; IeeeMode: 1
; LDSByteSize: 0 bytes/workgroup (compile time only)
; SGPRBlocks: 0
; VGPRBlocks: 0
; NumSGPRsForWavesPerEU: 1
; NumVGPRsForWavesPerEU: 1
; Occupancy: 16
; WaveLimiterHint : 0
; COMPUTE_PGM_RSRC2:SCRATCH_EN: 0
; COMPUTE_PGM_RSRC2:USER_SGPR: 2
; COMPUTE_PGM_RSRC2:TRAP_HANDLER: 0
; COMPUTE_PGM_RSRC2:TGID_X_EN: 1
; COMPUTE_PGM_RSRC2:TGID_Y_EN: 0
; COMPUTE_PGM_RSRC2:TGID_Z_EN: 0
; COMPUTE_PGM_RSRC2:TIDIG_COMP_CNT: 0
	.section	.text._ZN7rocprim17ROCPRIM_400000_NS6detail17trampoline_kernelINS0_14default_configENS1_36segmented_radix_sort_config_selectorIslEEZNS1_25segmented_radix_sort_implIS3_Lb0EPKsPsPKlPlN2at6native12_GLOBAL__N_18offset_tEEE10hipError_tPvRmT1_PNSt15iterator_traitsISK_E10value_typeET2_T3_PNSL_ISQ_E10value_typeET4_jRbjT5_SW_jjP12ihipStream_tbEUlT_E0_NS1_11comp_targetILNS1_3genE8ELNS1_11target_archE1030ELNS1_3gpuE2ELNS1_3repE0EEENS1_60segmented_radix_sort_warp_sort_medium_config_static_selectorELNS0_4arch9wavefront6targetE0EEEvSK_,"axG",@progbits,_ZN7rocprim17ROCPRIM_400000_NS6detail17trampoline_kernelINS0_14default_configENS1_36segmented_radix_sort_config_selectorIslEEZNS1_25segmented_radix_sort_implIS3_Lb0EPKsPsPKlPlN2at6native12_GLOBAL__N_18offset_tEEE10hipError_tPvRmT1_PNSt15iterator_traitsISK_E10value_typeET2_T3_PNSL_ISQ_E10value_typeET4_jRbjT5_SW_jjP12ihipStream_tbEUlT_E0_NS1_11comp_targetILNS1_3genE8ELNS1_11target_archE1030ELNS1_3gpuE2ELNS1_3repE0EEENS1_60segmented_radix_sort_warp_sort_medium_config_static_selectorELNS0_4arch9wavefront6targetE0EEEvSK_,comdat
	.globl	_ZN7rocprim17ROCPRIM_400000_NS6detail17trampoline_kernelINS0_14default_configENS1_36segmented_radix_sort_config_selectorIslEEZNS1_25segmented_radix_sort_implIS3_Lb0EPKsPsPKlPlN2at6native12_GLOBAL__N_18offset_tEEE10hipError_tPvRmT1_PNSt15iterator_traitsISK_E10value_typeET2_T3_PNSL_ISQ_E10value_typeET4_jRbjT5_SW_jjP12ihipStream_tbEUlT_E0_NS1_11comp_targetILNS1_3genE8ELNS1_11target_archE1030ELNS1_3gpuE2ELNS1_3repE0EEENS1_60segmented_radix_sort_warp_sort_medium_config_static_selectorELNS0_4arch9wavefront6targetE0EEEvSK_ ; -- Begin function _ZN7rocprim17ROCPRIM_400000_NS6detail17trampoline_kernelINS0_14default_configENS1_36segmented_radix_sort_config_selectorIslEEZNS1_25segmented_radix_sort_implIS3_Lb0EPKsPsPKlPlN2at6native12_GLOBAL__N_18offset_tEEE10hipError_tPvRmT1_PNSt15iterator_traitsISK_E10value_typeET2_T3_PNSL_ISQ_E10value_typeET4_jRbjT5_SW_jjP12ihipStream_tbEUlT_E0_NS1_11comp_targetILNS1_3genE8ELNS1_11target_archE1030ELNS1_3gpuE2ELNS1_3repE0EEENS1_60segmented_radix_sort_warp_sort_medium_config_static_selectorELNS0_4arch9wavefront6targetE0EEEvSK_
	.p2align	8
	.type	_ZN7rocprim17ROCPRIM_400000_NS6detail17trampoline_kernelINS0_14default_configENS1_36segmented_radix_sort_config_selectorIslEEZNS1_25segmented_radix_sort_implIS3_Lb0EPKsPsPKlPlN2at6native12_GLOBAL__N_18offset_tEEE10hipError_tPvRmT1_PNSt15iterator_traitsISK_E10value_typeET2_T3_PNSL_ISQ_E10value_typeET4_jRbjT5_SW_jjP12ihipStream_tbEUlT_E0_NS1_11comp_targetILNS1_3genE8ELNS1_11target_archE1030ELNS1_3gpuE2ELNS1_3repE0EEENS1_60segmented_radix_sort_warp_sort_medium_config_static_selectorELNS0_4arch9wavefront6targetE0EEEvSK_,@function
_ZN7rocprim17ROCPRIM_400000_NS6detail17trampoline_kernelINS0_14default_configENS1_36segmented_radix_sort_config_selectorIslEEZNS1_25segmented_radix_sort_implIS3_Lb0EPKsPsPKlPlN2at6native12_GLOBAL__N_18offset_tEEE10hipError_tPvRmT1_PNSt15iterator_traitsISK_E10value_typeET2_T3_PNSL_ISQ_E10value_typeET4_jRbjT5_SW_jjP12ihipStream_tbEUlT_E0_NS1_11comp_targetILNS1_3genE8ELNS1_11target_archE1030ELNS1_3gpuE2ELNS1_3repE0EEENS1_60segmented_radix_sort_warp_sort_medium_config_static_selectorELNS0_4arch9wavefront6targetE0EEEvSK_: ; @_ZN7rocprim17ROCPRIM_400000_NS6detail17trampoline_kernelINS0_14default_configENS1_36segmented_radix_sort_config_selectorIslEEZNS1_25segmented_radix_sort_implIS3_Lb0EPKsPsPKlPlN2at6native12_GLOBAL__N_18offset_tEEE10hipError_tPvRmT1_PNSt15iterator_traitsISK_E10value_typeET2_T3_PNSL_ISQ_E10value_typeET4_jRbjT5_SW_jjP12ihipStream_tbEUlT_E0_NS1_11comp_targetILNS1_3genE8ELNS1_11target_archE1030ELNS1_3gpuE2ELNS1_3repE0EEENS1_60segmented_radix_sort_warp_sort_medium_config_static_selectorELNS0_4arch9wavefront6targetE0EEEvSK_
; %bb.0:
	.section	.rodata,"a",@progbits
	.p2align	6, 0x0
	.amdhsa_kernel _ZN7rocprim17ROCPRIM_400000_NS6detail17trampoline_kernelINS0_14default_configENS1_36segmented_radix_sort_config_selectorIslEEZNS1_25segmented_radix_sort_implIS3_Lb0EPKsPsPKlPlN2at6native12_GLOBAL__N_18offset_tEEE10hipError_tPvRmT1_PNSt15iterator_traitsISK_E10value_typeET2_T3_PNSL_ISQ_E10value_typeET4_jRbjT5_SW_jjP12ihipStream_tbEUlT_E0_NS1_11comp_targetILNS1_3genE8ELNS1_11target_archE1030ELNS1_3gpuE2ELNS1_3repE0EEENS1_60segmented_radix_sort_warp_sort_medium_config_static_selectorELNS0_4arch9wavefront6targetE0EEEvSK_
		.amdhsa_group_segment_fixed_size 0
		.amdhsa_private_segment_fixed_size 0
		.amdhsa_kernarg_size 88
		.amdhsa_user_sgpr_count 2
		.amdhsa_user_sgpr_dispatch_ptr 0
		.amdhsa_user_sgpr_queue_ptr 0
		.amdhsa_user_sgpr_kernarg_segment_ptr 1
		.amdhsa_user_sgpr_dispatch_id 0
		.amdhsa_user_sgpr_private_segment_size 0
		.amdhsa_wavefront_size32 1
		.amdhsa_uses_dynamic_stack 0
		.amdhsa_enable_private_segment 0
		.amdhsa_system_sgpr_workgroup_id_x 1
		.amdhsa_system_sgpr_workgroup_id_y 0
		.amdhsa_system_sgpr_workgroup_id_z 0
		.amdhsa_system_sgpr_workgroup_info 0
		.amdhsa_system_vgpr_workitem_id 0
		.amdhsa_next_free_vgpr 1
		.amdhsa_next_free_sgpr 1
		.amdhsa_reserve_vcc 0
		.amdhsa_float_round_mode_32 0
		.amdhsa_float_round_mode_16_64 0
		.amdhsa_float_denorm_mode_32 3
		.amdhsa_float_denorm_mode_16_64 3
		.amdhsa_fp16_overflow 0
		.amdhsa_workgroup_processor_mode 1
		.amdhsa_memory_ordered 1
		.amdhsa_forward_progress 1
		.amdhsa_inst_pref_size 0
		.amdhsa_round_robin_scheduling 0
		.amdhsa_exception_fp_ieee_invalid_op 0
		.amdhsa_exception_fp_denorm_src 0
		.amdhsa_exception_fp_ieee_div_zero 0
		.amdhsa_exception_fp_ieee_overflow 0
		.amdhsa_exception_fp_ieee_underflow 0
		.amdhsa_exception_fp_ieee_inexact 0
		.amdhsa_exception_int_div_zero 0
	.end_amdhsa_kernel
	.section	.text._ZN7rocprim17ROCPRIM_400000_NS6detail17trampoline_kernelINS0_14default_configENS1_36segmented_radix_sort_config_selectorIslEEZNS1_25segmented_radix_sort_implIS3_Lb0EPKsPsPKlPlN2at6native12_GLOBAL__N_18offset_tEEE10hipError_tPvRmT1_PNSt15iterator_traitsISK_E10value_typeET2_T3_PNSL_ISQ_E10value_typeET4_jRbjT5_SW_jjP12ihipStream_tbEUlT_E0_NS1_11comp_targetILNS1_3genE8ELNS1_11target_archE1030ELNS1_3gpuE2ELNS1_3repE0EEENS1_60segmented_radix_sort_warp_sort_medium_config_static_selectorELNS0_4arch9wavefront6targetE0EEEvSK_,"axG",@progbits,_ZN7rocprim17ROCPRIM_400000_NS6detail17trampoline_kernelINS0_14default_configENS1_36segmented_radix_sort_config_selectorIslEEZNS1_25segmented_radix_sort_implIS3_Lb0EPKsPsPKlPlN2at6native12_GLOBAL__N_18offset_tEEE10hipError_tPvRmT1_PNSt15iterator_traitsISK_E10value_typeET2_T3_PNSL_ISQ_E10value_typeET4_jRbjT5_SW_jjP12ihipStream_tbEUlT_E0_NS1_11comp_targetILNS1_3genE8ELNS1_11target_archE1030ELNS1_3gpuE2ELNS1_3repE0EEENS1_60segmented_radix_sort_warp_sort_medium_config_static_selectorELNS0_4arch9wavefront6targetE0EEEvSK_,comdat
.Lfunc_end1033:
	.size	_ZN7rocprim17ROCPRIM_400000_NS6detail17trampoline_kernelINS0_14default_configENS1_36segmented_radix_sort_config_selectorIslEEZNS1_25segmented_radix_sort_implIS3_Lb0EPKsPsPKlPlN2at6native12_GLOBAL__N_18offset_tEEE10hipError_tPvRmT1_PNSt15iterator_traitsISK_E10value_typeET2_T3_PNSL_ISQ_E10value_typeET4_jRbjT5_SW_jjP12ihipStream_tbEUlT_E0_NS1_11comp_targetILNS1_3genE8ELNS1_11target_archE1030ELNS1_3gpuE2ELNS1_3repE0EEENS1_60segmented_radix_sort_warp_sort_medium_config_static_selectorELNS0_4arch9wavefront6targetE0EEEvSK_, .Lfunc_end1033-_ZN7rocprim17ROCPRIM_400000_NS6detail17trampoline_kernelINS0_14default_configENS1_36segmented_radix_sort_config_selectorIslEEZNS1_25segmented_radix_sort_implIS3_Lb0EPKsPsPKlPlN2at6native12_GLOBAL__N_18offset_tEEE10hipError_tPvRmT1_PNSt15iterator_traitsISK_E10value_typeET2_T3_PNSL_ISQ_E10value_typeET4_jRbjT5_SW_jjP12ihipStream_tbEUlT_E0_NS1_11comp_targetILNS1_3genE8ELNS1_11target_archE1030ELNS1_3gpuE2ELNS1_3repE0EEENS1_60segmented_radix_sort_warp_sort_medium_config_static_selectorELNS0_4arch9wavefront6targetE0EEEvSK_
                                        ; -- End function
	.set _ZN7rocprim17ROCPRIM_400000_NS6detail17trampoline_kernelINS0_14default_configENS1_36segmented_radix_sort_config_selectorIslEEZNS1_25segmented_radix_sort_implIS3_Lb0EPKsPsPKlPlN2at6native12_GLOBAL__N_18offset_tEEE10hipError_tPvRmT1_PNSt15iterator_traitsISK_E10value_typeET2_T3_PNSL_ISQ_E10value_typeET4_jRbjT5_SW_jjP12ihipStream_tbEUlT_E0_NS1_11comp_targetILNS1_3genE8ELNS1_11target_archE1030ELNS1_3gpuE2ELNS1_3repE0EEENS1_60segmented_radix_sort_warp_sort_medium_config_static_selectorELNS0_4arch9wavefront6targetE0EEEvSK_.num_vgpr, 0
	.set _ZN7rocprim17ROCPRIM_400000_NS6detail17trampoline_kernelINS0_14default_configENS1_36segmented_radix_sort_config_selectorIslEEZNS1_25segmented_radix_sort_implIS3_Lb0EPKsPsPKlPlN2at6native12_GLOBAL__N_18offset_tEEE10hipError_tPvRmT1_PNSt15iterator_traitsISK_E10value_typeET2_T3_PNSL_ISQ_E10value_typeET4_jRbjT5_SW_jjP12ihipStream_tbEUlT_E0_NS1_11comp_targetILNS1_3genE8ELNS1_11target_archE1030ELNS1_3gpuE2ELNS1_3repE0EEENS1_60segmented_radix_sort_warp_sort_medium_config_static_selectorELNS0_4arch9wavefront6targetE0EEEvSK_.num_agpr, 0
	.set _ZN7rocprim17ROCPRIM_400000_NS6detail17trampoline_kernelINS0_14default_configENS1_36segmented_radix_sort_config_selectorIslEEZNS1_25segmented_radix_sort_implIS3_Lb0EPKsPsPKlPlN2at6native12_GLOBAL__N_18offset_tEEE10hipError_tPvRmT1_PNSt15iterator_traitsISK_E10value_typeET2_T3_PNSL_ISQ_E10value_typeET4_jRbjT5_SW_jjP12ihipStream_tbEUlT_E0_NS1_11comp_targetILNS1_3genE8ELNS1_11target_archE1030ELNS1_3gpuE2ELNS1_3repE0EEENS1_60segmented_radix_sort_warp_sort_medium_config_static_selectorELNS0_4arch9wavefront6targetE0EEEvSK_.numbered_sgpr, 0
	.set _ZN7rocprim17ROCPRIM_400000_NS6detail17trampoline_kernelINS0_14default_configENS1_36segmented_radix_sort_config_selectorIslEEZNS1_25segmented_radix_sort_implIS3_Lb0EPKsPsPKlPlN2at6native12_GLOBAL__N_18offset_tEEE10hipError_tPvRmT1_PNSt15iterator_traitsISK_E10value_typeET2_T3_PNSL_ISQ_E10value_typeET4_jRbjT5_SW_jjP12ihipStream_tbEUlT_E0_NS1_11comp_targetILNS1_3genE8ELNS1_11target_archE1030ELNS1_3gpuE2ELNS1_3repE0EEENS1_60segmented_radix_sort_warp_sort_medium_config_static_selectorELNS0_4arch9wavefront6targetE0EEEvSK_.num_named_barrier, 0
	.set _ZN7rocprim17ROCPRIM_400000_NS6detail17trampoline_kernelINS0_14default_configENS1_36segmented_radix_sort_config_selectorIslEEZNS1_25segmented_radix_sort_implIS3_Lb0EPKsPsPKlPlN2at6native12_GLOBAL__N_18offset_tEEE10hipError_tPvRmT1_PNSt15iterator_traitsISK_E10value_typeET2_T3_PNSL_ISQ_E10value_typeET4_jRbjT5_SW_jjP12ihipStream_tbEUlT_E0_NS1_11comp_targetILNS1_3genE8ELNS1_11target_archE1030ELNS1_3gpuE2ELNS1_3repE0EEENS1_60segmented_radix_sort_warp_sort_medium_config_static_selectorELNS0_4arch9wavefront6targetE0EEEvSK_.private_seg_size, 0
	.set _ZN7rocprim17ROCPRIM_400000_NS6detail17trampoline_kernelINS0_14default_configENS1_36segmented_radix_sort_config_selectorIslEEZNS1_25segmented_radix_sort_implIS3_Lb0EPKsPsPKlPlN2at6native12_GLOBAL__N_18offset_tEEE10hipError_tPvRmT1_PNSt15iterator_traitsISK_E10value_typeET2_T3_PNSL_ISQ_E10value_typeET4_jRbjT5_SW_jjP12ihipStream_tbEUlT_E0_NS1_11comp_targetILNS1_3genE8ELNS1_11target_archE1030ELNS1_3gpuE2ELNS1_3repE0EEENS1_60segmented_radix_sort_warp_sort_medium_config_static_selectorELNS0_4arch9wavefront6targetE0EEEvSK_.uses_vcc, 0
	.set _ZN7rocprim17ROCPRIM_400000_NS6detail17trampoline_kernelINS0_14default_configENS1_36segmented_radix_sort_config_selectorIslEEZNS1_25segmented_radix_sort_implIS3_Lb0EPKsPsPKlPlN2at6native12_GLOBAL__N_18offset_tEEE10hipError_tPvRmT1_PNSt15iterator_traitsISK_E10value_typeET2_T3_PNSL_ISQ_E10value_typeET4_jRbjT5_SW_jjP12ihipStream_tbEUlT_E0_NS1_11comp_targetILNS1_3genE8ELNS1_11target_archE1030ELNS1_3gpuE2ELNS1_3repE0EEENS1_60segmented_radix_sort_warp_sort_medium_config_static_selectorELNS0_4arch9wavefront6targetE0EEEvSK_.uses_flat_scratch, 0
	.set _ZN7rocprim17ROCPRIM_400000_NS6detail17trampoline_kernelINS0_14default_configENS1_36segmented_radix_sort_config_selectorIslEEZNS1_25segmented_radix_sort_implIS3_Lb0EPKsPsPKlPlN2at6native12_GLOBAL__N_18offset_tEEE10hipError_tPvRmT1_PNSt15iterator_traitsISK_E10value_typeET2_T3_PNSL_ISQ_E10value_typeET4_jRbjT5_SW_jjP12ihipStream_tbEUlT_E0_NS1_11comp_targetILNS1_3genE8ELNS1_11target_archE1030ELNS1_3gpuE2ELNS1_3repE0EEENS1_60segmented_radix_sort_warp_sort_medium_config_static_selectorELNS0_4arch9wavefront6targetE0EEEvSK_.has_dyn_sized_stack, 0
	.set _ZN7rocprim17ROCPRIM_400000_NS6detail17trampoline_kernelINS0_14default_configENS1_36segmented_radix_sort_config_selectorIslEEZNS1_25segmented_radix_sort_implIS3_Lb0EPKsPsPKlPlN2at6native12_GLOBAL__N_18offset_tEEE10hipError_tPvRmT1_PNSt15iterator_traitsISK_E10value_typeET2_T3_PNSL_ISQ_E10value_typeET4_jRbjT5_SW_jjP12ihipStream_tbEUlT_E0_NS1_11comp_targetILNS1_3genE8ELNS1_11target_archE1030ELNS1_3gpuE2ELNS1_3repE0EEENS1_60segmented_radix_sort_warp_sort_medium_config_static_selectorELNS0_4arch9wavefront6targetE0EEEvSK_.has_recursion, 0
	.set _ZN7rocprim17ROCPRIM_400000_NS6detail17trampoline_kernelINS0_14default_configENS1_36segmented_radix_sort_config_selectorIslEEZNS1_25segmented_radix_sort_implIS3_Lb0EPKsPsPKlPlN2at6native12_GLOBAL__N_18offset_tEEE10hipError_tPvRmT1_PNSt15iterator_traitsISK_E10value_typeET2_T3_PNSL_ISQ_E10value_typeET4_jRbjT5_SW_jjP12ihipStream_tbEUlT_E0_NS1_11comp_targetILNS1_3genE8ELNS1_11target_archE1030ELNS1_3gpuE2ELNS1_3repE0EEENS1_60segmented_radix_sort_warp_sort_medium_config_static_selectorELNS0_4arch9wavefront6targetE0EEEvSK_.has_indirect_call, 0
	.section	.AMDGPU.csdata,"",@progbits
; Kernel info:
; codeLenInByte = 0
; TotalNumSgprs: 0
; NumVgprs: 0
; ScratchSize: 0
; MemoryBound: 0
; FloatMode: 240
; IeeeMode: 1
; LDSByteSize: 0 bytes/workgroup (compile time only)
; SGPRBlocks: 0
; VGPRBlocks: 0
; NumSGPRsForWavesPerEU: 1
; NumVGPRsForWavesPerEU: 1
; Occupancy: 16
; WaveLimiterHint : 0
; COMPUTE_PGM_RSRC2:SCRATCH_EN: 0
; COMPUTE_PGM_RSRC2:USER_SGPR: 2
; COMPUTE_PGM_RSRC2:TRAP_HANDLER: 0
; COMPUTE_PGM_RSRC2:TGID_X_EN: 1
; COMPUTE_PGM_RSRC2:TGID_Y_EN: 0
; COMPUTE_PGM_RSRC2:TGID_Z_EN: 0
; COMPUTE_PGM_RSRC2:TIDIG_COMP_CNT: 0
	.section	.text._ZN7rocprim17ROCPRIM_400000_NS6detail17trampoline_kernelINS0_14default_configENS1_36segmented_radix_sort_config_selectorIslEEZNS1_25segmented_radix_sort_implIS3_Lb0EPKsPsPKlPlN2at6native12_GLOBAL__N_18offset_tEEE10hipError_tPvRmT1_PNSt15iterator_traitsISK_E10value_typeET2_T3_PNSL_ISQ_E10value_typeET4_jRbjT5_SW_jjP12ihipStream_tbEUlT_E1_NS1_11comp_targetILNS1_3genE0ELNS1_11target_archE4294967295ELNS1_3gpuE0ELNS1_3repE0EEENS1_59segmented_radix_sort_warp_sort_small_config_static_selectorELNS0_4arch9wavefront6targetE0EEEvSK_,"axG",@progbits,_ZN7rocprim17ROCPRIM_400000_NS6detail17trampoline_kernelINS0_14default_configENS1_36segmented_radix_sort_config_selectorIslEEZNS1_25segmented_radix_sort_implIS3_Lb0EPKsPsPKlPlN2at6native12_GLOBAL__N_18offset_tEEE10hipError_tPvRmT1_PNSt15iterator_traitsISK_E10value_typeET2_T3_PNSL_ISQ_E10value_typeET4_jRbjT5_SW_jjP12ihipStream_tbEUlT_E1_NS1_11comp_targetILNS1_3genE0ELNS1_11target_archE4294967295ELNS1_3gpuE0ELNS1_3repE0EEENS1_59segmented_radix_sort_warp_sort_small_config_static_selectorELNS0_4arch9wavefront6targetE0EEEvSK_,comdat
	.globl	_ZN7rocprim17ROCPRIM_400000_NS6detail17trampoline_kernelINS0_14default_configENS1_36segmented_radix_sort_config_selectorIslEEZNS1_25segmented_radix_sort_implIS3_Lb0EPKsPsPKlPlN2at6native12_GLOBAL__N_18offset_tEEE10hipError_tPvRmT1_PNSt15iterator_traitsISK_E10value_typeET2_T3_PNSL_ISQ_E10value_typeET4_jRbjT5_SW_jjP12ihipStream_tbEUlT_E1_NS1_11comp_targetILNS1_3genE0ELNS1_11target_archE4294967295ELNS1_3gpuE0ELNS1_3repE0EEENS1_59segmented_radix_sort_warp_sort_small_config_static_selectorELNS0_4arch9wavefront6targetE0EEEvSK_ ; -- Begin function _ZN7rocprim17ROCPRIM_400000_NS6detail17trampoline_kernelINS0_14default_configENS1_36segmented_radix_sort_config_selectorIslEEZNS1_25segmented_radix_sort_implIS3_Lb0EPKsPsPKlPlN2at6native12_GLOBAL__N_18offset_tEEE10hipError_tPvRmT1_PNSt15iterator_traitsISK_E10value_typeET2_T3_PNSL_ISQ_E10value_typeET4_jRbjT5_SW_jjP12ihipStream_tbEUlT_E1_NS1_11comp_targetILNS1_3genE0ELNS1_11target_archE4294967295ELNS1_3gpuE0ELNS1_3repE0EEENS1_59segmented_radix_sort_warp_sort_small_config_static_selectorELNS0_4arch9wavefront6targetE0EEEvSK_
	.p2align	8
	.type	_ZN7rocprim17ROCPRIM_400000_NS6detail17trampoline_kernelINS0_14default_configENS1_36segmented_radix_sort_config_selectorIslEEZNS1_25segmented_radix_sort_implIS3_Lb0EPKsPsPKlPlN2at6native12_GLOBAL__N_18offset_tEEE10hipError_tPvRmT1_PNSt15iterator_traitsISK_E10value_typeET2_T3_PNSL_ISQ_E10value_typeET4_jRbjT5_SW_jjP12ihipStream_tbEUlT_E1_NS1_11comp_targetILNS1_3genE0ELNS1_11target_archE4294967295ELNS1_3gpuE0ELNS1_3repE0EEENS1_59segmented_radix_sort_warp_sort_small_config_static_selectorELNS0_4arch9wavefront6targetE0EEEvSK_,@function
_ZN7rocprim17ROCPRIM_400000_NS6detail17trampoline_kernelINS0_14default_configENS1_36segmented_radix_sort_config_selectorIslEEZNS1_25segmented_radix_sort_implIS3_Lb0EPKsPsPKlPlN2at6native12_GLOBAL__N_18offset_tEEE10hipError_tPvRmT1_PNSt15iterator_traitsISK_E10value_typeET2_T3_PNSL_ISQ_E10value_typeET4_jRbjT5_SW_jjP12ihipStream_tbEUlT_E1_NS1_11comp_targetILNS1_3genE0ELNS1_11target_archE4294967295ELNS1_3gpuE0ELNS1_3repE0EEENS1_59segmented_radix_sort_warp_sort_small_config_static_selectorELNS0_4arch9wavefront6targetE0EEEvSK_: ; @_ZN7rocprim17ROCPRIM_400000_NS6detail17trampoline_kernelINS0_14default_configENS1_36segmented_radix_sort_config_selectorIslEEZNS1_25segmented_radix_sort_implIS3_Lb0EPKsPsPKlPlN2at6native12_GLOBAL__N_18offset_tEEE10hipError_tPvRmT1_PNSt15iterator_traitsISK_E10value_typeET2_T3_PNSL_ISQ_E10value_typeET4_jRbjT5_SW_jjP12ihipStream_tbEUlT_E1_NS1_11comp_targetILNS1_3genE0ELNS1_11target_archE4294967295ELNS1_3gpuE0ELNS1_3repE0EEENS1_59segmented_radix_sort_warp_sort_small_config_static_selectorELNS0_4arch9wavefront6targetE0EEEvSK_
; %bb.0:
	.section	.rodata,"a",@progbits
	.p2align	6, 0x0
	.amdhsa_kernel _ZN7rocprim17ROCPRIM_400000_NS6detail17trampoline_kernelINS0_14default_configENS1_36segmented_radix_sort_config_selectorIslEEZNS1_25segmented_radix_sort_implIS3_Lb0EPKsPsPKlPlN2at6native12_GLOBAL__N_18offset_tEEE10hipError_tPvRmT1_PNSt15iterator_traitsISK_E10value_typeET2_T3_PNSL_ISQ_E10value_typeET4_jRbjT5_SW_jjP12ihipStream_tbEUlT_E1_NS1_11comp_targetILNS1_3genE0ELNS1_11target_archE4294967295ELNS1_3gpuE0ELNS1_3repE0EEENS1_59segmented_radix_sort_warp_sort_small_config_static_selectorELNS0_4arch9wavefront6targetE0EEEvSK_
		.amdhsa_group_segment_fixed_size 0
		.amdhsa_private_segment_fixed_size 0
		.amdhsa_kernarg_size 88
		.amdhsa_user_sgpr_count 2
		.amdhsa_user_sgpr_dispatch_ptr 0
		.amdhsa_user_sgpr_queue_ptr 0
		.amdhsa_user_sgpr_kernarg_segment_ptr 1
		.amdhsa_user_sgpr_dispatch_id 0
		.amdhsa_user_sgpr_private_segment_size 0
		.amdhsa_wavefront_size32 1
		.amdhsa_uses_dynamic_stack 0
		.amdhsa_enable_private_segment 0
		.amdhsa_system_sgpr_workgroup_id_x 1
		.amdhsa_system_sgpr_workgroup_id_y 0
		.amdhsa_system_sgpr_workgroup_id_z 0
		.amdhsa_system_sgpr_workgroup_info 0
		.amdhsa_system_vgpr_workitem_id 0
		.amdhsa_next_free_vgpr 1
		.amdhsa_next_free_sgpr 1
		.amdhsa_reserve_vcc 0
		.amdhsa_float_round_mode_32 0
		.amdhsa_float_round_mode_16_64 0
		.amdhsa_float_denorm_mode_32 3
		.amdhsa_float_denorm_mode_16_64 3
		.amdhsa_fp16_overflow 0
		.amdhsa_workgroup_processor_mode 1
		.amdhsa_memory_ordered 1
		.amdhsa_forward_progress 1
		.amdhsa_inst_pref_size 0
		.amdhsa_round_robin_scheduling 0
		.amdhsa_exception_fp_ieee_invalid_op 0
		.amdhsa_exception_fp_denorm_src 0
		.amdhsa_exception_fp_ieee_div_zero 0
		.amdhsa_exception_fp_ieee_overflow 0
		.amdhsa_exception_fp_ieee_underflow 0
		.amdhsa_exception_fp_ieee_inexact 0
		.amdhsa_exception_int_div_zero 0
	.end_amdhsa_kernel
	.section	.text._ZN7rocprim17ROCPRIM_400000_NS6detail17trampoline_kernelINS0_14default_configENS1_36segmented_radix_sort_config_selectorIslEEZNS1_25segmented_radix_sort_implIS3_Lb0EPKsPsPKlPlN2at6native12_GLOBAL__N_18offset_tEEE10hipError_tPvRmT1_PNSt15iterator_traitsISK_E10value_typeET2_T3_PNSL_ISQ_E10value_typeET4_jRbjT5_SW_jjP12ihipStream_tbEUlT_E1_NS1_11comp_targetILNS1_3genE0ELNS1_11target_archE4294967295ELNS1_3gpuE0ELNS1_3repE0EEENS1_59segmented_radix_sort_warp_sort_small_config_static_selectorELNS0_4arch9wavefront6targetE0EEEvSK_,"axG",@progbits,_ZN7rocprim17ROCPRIM_400000_NS6detail17trampoline_kernelINS0_14default_configENS1_36segmented_radix_sort_config_selectorIslEEZNS1_25segmented_radix_sort_implIS3_Lb0EPKsPsPKlPlN2at6native12_GLOBAL__N_18offset_tEEE10hipError_tPvRmT1_PNSt15iterator_traitsISK_E10value_typeET2_T3_PNSL_ISQ_E10value_typeET4_jRbjT5_SW_jjP12ihipStream_tbEUlT_E1_NS1_11comp_targetILNS1_3genE0ELNS1_11target_archE4294967295ELNS1_3gpuE0ELNS1_3repE0EEENS1_59segmented_radix_sort_warp_sort_small_config_static_selectorELNS0_4arch9wavefront6targetE0EEEvSK_,comdat
.Lfunc_end1034:
	.size	_ZN7rocprim17ROCPRIM_400000_NS6detail17trampoline_kernelINS0_14default_configENS1_36segmented_radix_sort_config_selectorIslEEZNS1_25segmented_radix_sort_implIS3_Lb0EPKsPsPKlPlN2at6native12_GLOBAL__N_18offset_tEEE10hipError_tPvRmT1_PNSt15iterator_traitsISK_E10value_typeET2_T3_PNSL_ISQ_E10value_typeET4_jRbjT5_SW_jjP12ihipStream_tbEUlT_E1_NS1_11comp_targetILNS1_3genE0ELNS1_11target_archE4294967295ELNS1_3gpuE0ELNS1_3repE0EEENS1_59segmented_radix_sort_warp_sort_small_config_static_selectorELNS0_4arch9wavefront6targetE0EEEvSK_, .Lfunc_end1034-_ZN7rocprim17ROCPRIM_400000_NS6detail17trampoline_kernelINS0_14default_configENS1_36segmented_radix_sort_config_selectorIslEEZNS1_25segmented_radix_sort_implIS3_Lb0EPKsPsPKlPlN2at6native12_GLOBAL__N_18offset_tEEE10hipError_tPvRmT1_PNSt15iterator_traitsISK_E10value_typeET2_T3_PNSL_ISQ_E10value_typeET4_jRbjT5_SW_jjP12ihipStream_tbEUlT_E1_NS1_11comp_targetILNS1_3genE0ELNS1_11target_archE4294967295ELNS1_3gpuE0ELNS1_3repE0EEENS1_59segmented_radix_sort_warp_sort_small_config_static_selectorELNS0_4arch9wavefront6targetE0EEEvSK_
                                        ; -- End function
	.set _ZN7rocprim17ROCPRIM_400000_NS6detail17trampoline_kernelINS0_14default_configENS1_36segmented_radix_sort_config_selectorIslEEZNS1_25segmented_radix_sort_implIS3_Lb0EPKsPsPKlPlN2at6native12_GLOBAL__N_18offset_tEEE10hipError_tPvRmT1_PNSt15iterator_traitsISK_E10value_typeET2_T3_PNSL_ISQ_E10value_typeET4_jRbjT5_SW_jjP12ihipStream_tbEUlT_E1_NS1_11comp_targetILNS1_3genE0ELNS1_11target_archE4294967295ELNS1_3gpuE0ELNS1_3repE0EEENS1_59segmented_radix_sort_warp_sort_small_config_static_selectorELNS0_4arch9wavefront6targetE0EEEvSK_.num_vgpr, 0
	.set _ZN7rocprim17ROCPRIM_400000_NS6detail17trampoline_kernelINS0_14default_configENS1_36segmented_radix_sort_config_selectorIslEEZNS1_25segmented_radix_sort_implIS3_Lb0EPKsPsPKlPlN2at6native12_GLOBAL__N_18offset_tEEE10hipError_tPvRmT1_PNSt15iterator_traitsISK_E10value_typeET2_T3_PNSL_ISQ_E10value_typeET4_jRbjT5_SW_jjP12ihipStream_tbEUlT_E1_NS1_11comp_targetILNS1_3genE0ELNS1_11target_archE4294967295ELNS1_3gpuE0ELNS1_3repE0EEENS1_59segmented_radix_sort_warp_sort_small_config_static_selectorELNS0_4arch9wavefront6targetE0EEEvSK_.num_agpr, 0
	.set _ZN7rocprim17ROCPRIM_400000_NS6detail17trampoline_kernelINS0_14default_configENS1_36segmented_radix_sort_config_selectorIslEEZNS1_25segmented_radix_sort_implIS3_Lb0EPKsPsPKlPlN2at6native12_GLOBAL__N_18offset_tEEE10hipError_tPvRmT1_PNSt15iterator_traitsISK_E10value_typeET2_T3_PNSL_ISQ_E10value_typeET4_jRbjT5_SW_jjP12ihipStream_tbEUlT_E1_NS1_11comp_targetILNS1_3genE0ELNS1_11target_archE4294967295ELNS1_3gpuE0ELNS1_3repE0EEENS1_59segmented_radix_sort_warp_sort_small_config_static_selectorELNS0_4arch9wavefront6targetE0EEEvSK_.numbered_sgpr, 0
	.set _ZN7rocprim17ROCPRIM_400000_NS6detail17trampoline_kernelINS0_14default_configENS1_36segmented_radix_sort_config_selectorIslEEZNS1_25segmented_radix_sort_implIS3_Lb0EPKsPsPKlPlN2at6native12_GLOBAL__N_18offset_tEEE10hipError_tPvRmT1_PNSt15iterator_traitsISK_E10value_typeET2_T3_PNSL_ISQ_E10value_typeET4_jRbjT5_SW_jjP12ihipStream_tbEUlT_E1_NS1_11comp_targetILNS1_3genE0ELNS1_11target_archE4294967295ELNS1_3gpuE0ELNS1_3repE0EEENS1_59segmented_radix_sort_warp_sort_small_config_static_selectorELNS0_4arch9wavefront6targetE0EEEvSK_.num_named_barrier, 0
	.set _ZN7rocprim17ROCPRIM_400000_NS6detail17trampoline_kernelINS0_14default_configENS1_36segmented_radix_sort_config_selectorIslEEZNS1_25segmented_radix_sort_implIS3_Lb0EPKsPsPKlPlN2at6native12_GLOBAL__N_18offset_tEEE10hipError_tPvRmT1_PNSt15iterator_traitsISK_E10value_typeET2_T3_PNSL_ISQ_E10value_typeET4_jRbjT5_SW_jjP12ihipStream_tbEUlT_E1_NS1_11comp_targetILNS1_3genE0ELNS1_11target_archE4294967295ELNS1_3gpuE0ELNS1_3repE0EEENS1_59segmented_radix_sort_warp_sort_small_config_static_selectorELNS0_4arch9wavefront6targetE0EEEvSK_.private_seg_size, 0
	.set _ZN7rocprim17ROCPRIM_400000_NS6detail17trampoline_kernelINS0_14default_configENS1_36segmented_radix_sort_config_selectorIslEEZNS1_25segmented_radix_sort_implIS3_Lb0EPKsPsPKlPlN2at6native12_GLOBAL__N_18offset_tEEE10hipError_tPvRmT1_PNSt15iterator_traitsISK_E10value_typeET2_T3_PNSL_ISQ_E10value_typeET4_jRbjT5_SW_jjP12ihipStream_tbEUlT_E1_NS1_11comp_targetILNS1_3genE0ELNS1_11target_archE4294967295ELNS1_3gpuE0ELNS1_3repE0EEENS1_59segmented_radix_sort_warp_sort_small_config_static_selectorELNS0_4arch9wavefront6targetE0EEEvSK_.uses_vcc, 0
	.set _ZN7rocprim17ROCPRIM_400000_NS6detail17trampoline_kernelINS0_14default_configENS1_36segmented_radix_sort_config_selectorIslEEZNS1_25segmented_radix_sort_implIS3_Lb0EPKsPsPKlPlN2at6native12_GLOBAL__N_18offset_tEEE10hipError_tPvRmT1_PNSt15iterator_traitsISK_E10value_typeET2_T3_PNSL_ISQ_E10value_typeET4_jRbjT5_SW_jjP12ihipStream_tbEUlT_E1_NS1_11comp_targetILNS1_3genE0ELNS1_11target_archE4294967295ELNS1_3gpuE0ELNS1_3repE0EEENS1_59segmented_radix_sort_warp_sort_small_config_static_selectorELNS0_4arch9wavefront6targetE0EEEvSK_.uses_flat_scratch, 0
	.set _ZN7rocprim17ROCPRIM_400000_NS6detail17trampoline_kernelINS0_14default_configENS1_36segmented_radix_sort_config_selectorIslEEZNS1_25segmented_radix_sort_implIS3_Lb0EPKsPsPKlPlN2at6native12_GLOBAL__N_18offset_tEEE10hipError_tPvRmT1_PNSt15iterator_traitsISK_E10value_typeET2_T3_PNSL_ISQ_E10value_typeET4_jRbjT5_SW_jjP12ihipStream_tbEUlT_E1_NS1_11comp_targetILNS1_3genE0ELNS1_11target_archE4294967295ELNS1_3gpuE0ELNS1_3repE0EEENS1_59segmented_radix_sort_warp_sort_small_config_static_selectorELNS0_4arch9wavefront6targetE0EEEvSK_.has_dyn_sized_stack, 0
	.set _ZN7rocprim17ROCPRIM_400000_NS6detail17trampoline_kernelINS0_14default_configENS1_36segmented_radix_sort_config_selectorIslEEZNS1_25segmented_radix_sort_implIS3_Lb0EPKsPsPKlPlN2at6native12_GLOBAL__N_18offset_tEEE10hipError_tPvRmT1_PNSt15iterator_traitsISK_E10value_typeET2_T3_PNSL_ISQ_E10value_typeET4_jRbjT5_SW_jjP12ihipStream_tbEUlT_E1_NS1_11comp_targetILNS1_3genE0ELNS1_11target_archE4294967295ELNS1_3gpuE0ELNS1_3repE0EEENS1_59segmented_radix_sort_warp_sort_small_config_static_selectorELNS0_4arch9wavefront6targetE0EEEvSK_.has_recursion, 0
	.set _ZN7rocprim17ROCPRIM_400000_NS6detail17trampoline_kernelINS0_14default_configENS1_36segmented_radix_sort_config_selectorIslEEZNS1_25segmented_radix_sort_implIS3_Lb0EPKsPsPKlPlN2at6native12_GLOBAL__N_18offset_tEEE10hipError_tPvRmT1_PNSt15iterator_traitsISK_E10value_typeET2_T3_PNSL_ISQ_E10value_typeET4_jRbjT5_SW_jjP12ihipStream_tbEUlT_E1_NS1_11comp_targetILNS1_3genE0ELNS1_11target_archE4294967295ELNS1_3gpuE0ELNS1_3repE0EEENS1_59segmented_radix_sort_warp_sort_small_config_static_selectorELNS0_4arch9wavefront6targetE0EEEvSK_.has_indirect_call, 0
	.section	.AMDGPU.csdata,"",@progbits
; Kernel info:
; codeLenInByte = 0
; TotalNumSgprs: 0
; NumVgprs: 0
; ScratchSize: 0
; MemoryBound: 0
; FloatMode: 240
; IeeeMode: 1
; LDSByteSize: 0 bytes/workgroup (compile time only)
; SGPRBlocks: 0
; VGPRBlocks: 0
; NumSGPRsForWavesPerEU: 1
; NumVGPRsForWavesPerEU: 1
; Occupancy: 16
; WaveLimiterHint : 0
; COMPUTE_PGM_RSRC2:SCRATCH_EN: 0
; COMPUTE_PGM_RSRC2:USER_SGPR: 2
; COMPUTE_PGM_RSRC2:TRAP_HANDLER: 0
; COMPUTE_PGM_RSRC2:TGID_X_EN: 1
; COMPUTE_PGM_RSRC2:TGID_Y_EN: 0
; COMPUTE_PGM_RSRC2:TGID_Z_EN: 0
; COMPUTE_PGM_RSRC2:TIDIG_COMP_CNT: 0
	.section	.text._ZN7rocprim17ROCPRIM_400000_NS6detail17trampoline_kernelINS0_14default_configENS1_36segmented_radix_sort_config_selectorIslEEZNS1_25segmented_radix_sort_implIS3_Lb0EPKsPsPKlPlN2at6native12_GLOBAL__N_18offset_tEEE10hipError_tPvRmT1_PNSt15iterator_traitsISK_E10value_typeET2_T3_PNSL_ISQ_E10value_typeET4_jRbjT5_SW_jjP12ihipStream_tbEUlT_E1_NS1_11comp_targetILNS1_3genE5ELNS1_11target_archE942ELNS1_3gpuE9ELNS1_3repE0EEENS1_59segmented_radix_sort_warp_sort_small_config_static_selectorELNS0_4arch9wavefront6targetE0EEEvSK_,"axG",@progbits,_ZN7rocprim17ROCPRIM_400000_NS6detail17trampoline_kernelINS0_14default_configENS1_36segmented_radix_sort_config_selectorIslEEZNS1_25segmented_radix_sort_implIS3_Lb0EPKsPsPKlPlN2at6native12_GLOBAL__N_18offset_tEEE10hipError_tPvRmT1_PNSt15iterator_traitsISK_E10value_typeET2_T3_PNSL_ISQ_E10value_typeET4_jRbjT5_SW_jjP12ihipStream_tbEUlT_E1_NS1_11comp_targetILNS1_3genE5ELNS1_11target_archE942ELNS1_3gpuE9ELNS1_3repE0EEENS1_59segmented_radix_sort_warp_sort_small_config_static_selectorELNS0_4arch9wavefront6targetE0EEEvSK_,comdat
	.globl	_ZN7rocprim17ROCPRIM_400000_NS6detail17trampoline_kernelINS0_14default_configENS1_36segmented_radix_sort_config_selectorIslEEZNS1_25segmented_radix_sort_implIS3_Lb0EPKsPsPKlPlN2at6native12_GLOBAL__N_18offset_tEEE10hipError_tPvRmT1_PNSt15iterator_traitsISK_E10value_typeET2_T3_PNSL_ISQ_E10value_typeET4_jRbjT5_SW_jjP12ihipStream_tbEUlT_E1_NS1_11comp_targetILNS1_3genE5ELNS1_11target_archE942ELNS1_3gpuE9ELNS1_3repE0EEENS1_59segmented_radix_sort_warp_sort_small_config_static_selectorELNS0_4arch9wavefront6targetE0EEEvSK_ ; -- Begin function _ZN7rocprim17ROCPRIM_400000_NS6detail17trampoline_kernelINS0_14default_configENS1_36segmented_radix_sort_config_selectorIslEEZNS1_25segmented_radix_sort_implIS3_Lb0EPKsPsPKlPlN2at6native12_GLOBAL__N_18offset_tEEE10hipError_tPvRmT1_PNSt15iterator_traitsISK_E10value_typeET2_T3_PNSL_ISQ_E10value_typeET4_jRbjT5_SW_jjP12ihipStream_tbEUlT_E1_NS1_11comp_targetILNS1_3genE5ELNS1_11target_archE942ELNS1_3gpuE9ELNS1_3repE0EEENS1_59segmented_radix_sort_warp_sort_small_config_static_selectorELNS0_4arch9wavefront6targetE0EEEvSK_
	.p2align	8
	.type	_ZN7rocprim17ROCPRIM_400000_NS6detail17trampoline_kernelINS0_14default_configENS1_36segmented_radix_sort_config_selectorIslEEZNS1_25segmented_radix_sort_implIS3_Lb0EPKsPsPKlPlN2at6native12_GLOBAL__N_18offset_tEEE10hipError_tPvRmT1_PNSt15iterator_traitsISK_E10value_typeET2_T3_PNSL_ISQ_E10value_typeET4_jRbjT5_SW_jjP12ihipStream_tbEUlT_E1_NS1_11comp_targetILNS1_3genE5ELNS1_11target_archE942ELNS1_3gpuE9ELNS1_3repE0EEENS1_59segmented_radix_sort_warp_sort_small_config_static_selectorELNS0_4arch9wavefront6targetE0EEEvSK_,@function
_ZN7rocprim17ROCPRIM_400000_NS6detail17trampoline_kernelINS0_14default_configENS1_36segmented_radix_sort_config_selectorIslEEZNS1_25segmented_radix_sort_implIS3_Lb0EPKsPsPKlPlN2at6native12_GLOBAL__N_18offset_tEEE10hipError_tPvRmT1_PNSt15iterator_traitsISK_E10value_typeET2_T3_PNSL_ISQ_E10value_typeET4_jRbjT5_SW_jjP12ihipStream_tbEUlT_E1_NS1_11comp_targetILNS1_3genE5ELNS1_11target_archE942ELNS1_3gpuE9ELNS1_3repE0EEENS1_59segmented_radix_sort_warp_sort_small_config_static_selectorELNS0_4arch9wavefront6targetE0EEEvSK_: ; @_ZN7rocprim17ROCPRIM_400000_NS6detail17trampoline_kernelINS0_14default_configENS1_36segmented_radix_sort_config_selectorIslEEZNS1_25segmented_radix_sort_implIS3_Lb0EPKsPsPKlPlN2at6native12_GLOBAL__N_18offset_tEEE10hipError_tPvRmT1_PNSt15iterator_traitsISK_E10value_typeET2_T3_PNSL_ISQ_E10value_typeET4_jRbjT5_SW_jjP12ihipStream_tbEUlT_E1_NS1_11comp_targetILNS1_3genE5ELNS1_11target_archE942ELNS1_3gpuE9ELNS1_3repE0EEENS1_59segmented_radix_sort_warp_sort_small_config_static_selectorELNS0_4arch9wavefront6targetE0EEEvSK_
; %bb.0:
	.section	.rodata,"a",@progbits
	.p2align	6, 0x0
	.amdhsa_kernel _ZN7rocprim17ROCPRIM_400000_NS6detail17trampoline_kernelINS0_14default_configENS1_36segmented_radix_sort_config_selectorIslEEZNS1_25segmented_radix_sort_implIS3_Lb0EPKsPsPKlPlN2at6native12_GLOBAL__N_18offset_tEEE10hipError_tPvRmT1_PNSt15iterator_traitsISK_E10value_typeET2_T3_PNSL_ISQ_E10value_typeET4_jRbjT5_SW_jjP12ihipStream_tbEUlT_E1_NS1_11comp_targetILNS1_3genE5ELNS1_11target_archE942ELNS1_3gpuE9ELNS1_3repE0EEENS1_59segmented_radix_sort_warp_sort_small_config_static_selectorELNS0_4arch9wavefront6targetE0EEEvSK_
		.amdhsa_group_segment_fixed_size 0
		.amdhsa_private_segment_fixed_size 0
		.amdhsa_kernarg_size 88
		.amdhsa_user_sgpr_count 2
		.amdhsa_user_sgpr_dispatch_ptr 0
		.amdhsa_user_sgpr_queue_ptr 0
		.amdhsa_user_sgpr_kernarg_segment_ptr 1
		.amdhsa_user_sgpr_dispatch_id 0
		.amdhsa_user_sgpr_private_segment_size 0
		.amdhsa_wavefront_size32 1
		.amdhsa_uses_dynamic_stack 0
		.amdhsa_enable_private_segment 0
		.amdhsa_system_sgpr_workgroup_id_x 1
		.amdhsa_system_sgpr_workgroup_id_y 0
		.amdhsa_system_sgpr_workgroup_id_z 0
		.amdhsa_system_sgpr_workgroup_info 0
		.amdhsa_system_vgpr_workitem_id 0
		.amdhsa_next_free_vgpr 1
		.amdhsa_next_free_sgpr 1
		.amdhsa_reserve_vcc 0
		.amdhsa_float_round_mode_32 0
		.amdhsa_float_round_mode_16_64 0
		.amdhsa_float_denorm_mode_32 3
		.amdhsa_float_denorm_mode_16_64 3
		.amdhsa_fp16_overflow 0
		.amdhsa_workgroup_processor_mode 1
		.amdhsa_memory_ordered 1
		.amdhsa_forward_progress 1
		.amdhsa_inst_pref_size 0
		.amdhsa_round_robin_scheduling 0
		.amdhsa_exception_fp_ieee_invalid_op 0
		.amdhsa_exception_fp_denorm_src 0
		.amdhsa_exception_fp_ieee_div_zero 0
		.amdhsa_exception_fp_ieee_overflow 0
		.amdhsa_exception_fp_ieee_underflow 0
		.amdhsa_exception_fp_ieee_inexact 0
		.amdhsa_exception_int_div_zero 0
	.end_amdhsa_kernel
	.section	.text._ZN7rocprim17ROCPRIM_400000_NS6detail17trampoline_kernelINS0_14default_configENS1_36segmented_radix_sort_config_selectorIslEEZNS1_25segmented_radix_sort_implIS3_Lb0EPKsPsPKlPlN2at6native12_GLOBAL__N_18offset_tEEE10hipError_tPvRmT1_PNSt15iterator_traitsISK_E10value_typeET2_T3_PNSL_ISQ_E10value_typeET4_jRbjT5_SW_jjP12ihipStream_tbEUlT_E1_NS1_11comp_targetILNS1_3genE5ELNS1_11target_archE942ELNS1_3gpuE9ELNS1_3repE0EEENS1_59segmented_radix_sort_warp_sort_small_config_static_selectorELNS0_4arch9wavefront6targetE0EEEvSK_,"axG",@progbits,_ZN7rocprim17ROCPRIM_400000_NS6detail17trampoline_kernelINS0_14default_configENS1_36segmented_radix_sort_config_selectorIslEEZNS1_25segmented_radix_sort_implIS3_Lb0EPKsPsPKlPlN2at6native12_GLOBAL__N_18offset_tEEE10hipError_tPvRmT1_PNSt15iterator_traitsISK_E10value_typeET2_T3_PNSL_ISQ_E10value_typeET4_jRbjT5_SW_jjP12ihipStream_tbEUlT_E1_NS1_11comp_targetILNS1_3genE5ELNS1_11target_archE942ELNS1_3gpuE9ELNS1_3repE0EEENS1_59segmented_radix_sort_warp_sort_small_config_static_selectorELNS0_4arch9wavefront6targetE0EEEvSK_,comdat
.Lfunc_end1035:
	.size	_ZN7rocprim17ROCPRIM_400000_NS6detail17trampoline_kernelINS0_14default_configENS1_36segmented_radix_sort_config_selectorIslEEZNS1_25segmented_radix_sort_implIS3_Lb0EPKsPsPKlPlN2at6native12_GLOBAL__N_18offset_tEEE10hipError_tPvRmT1_PNSt15iterator_traitsISK_E10value_typeET2_T3_PNSL_ISQ_E10value_typeET4_jRbjT5_SW_jjP12ihipStream_tbEUlT_E1_NS1_11comp_targetILNS1_3genE5ELNS1_11target_archE942ELNS1_3gpuE9ELNS1_3repE0EEENS1_59segmented_radix_sort_warp_sort_small_config_static_selectorELNS0_4arch9wavefront6targetE0EEEvSK_, .Lfunc_end1035-_ZN7rocprim17ROCPRIM_400000_NS6detail17trampoline_kernelINS0_14default_configENS1_36segmented_radix_sort_config_selectorIslEEZNS1_25segmented_radix_sort_implIS3_Lb0EPKsPsPKlPlN2at6native12_GLOBAL__N_18offset_tEEE10hipError_tPvRmT1_PNSt15iterator_traitsISK_E10value_typeET2_T3_PNSL_ISQ_E10value_typeET4_jRbjT5_SW_jjP12ihipStream_tbEUlT_E1_NS1_11comp_targetILNS1_3genE5ELNS1_11target_archE942ELNS1_3gpuE9ELNS1_3repE0EEENS1_59segmented_radix_sort_warp_sort_small_config_static_selectorELNS0_4arch9wavefront6targetE0EEEvSK_
                                        ; -- End function
	.set _ZN7rocprim17ROCPRIM_400000_NS6detail17trampoline_kernelINS0_14default_configENS1_36segmented_radix_sort_config_selectorIslEEZNS1_25segmented_radix_sort_implIS3_Lb0EPKsPsPKlPlN2at6native12_GLOBAL__N_18offset_tEEE10hipError_tPvRmT1_PNSt15iterator_traitsISK_E10value_typeET2_T3_PNSL_ISQ_E10value_typeET4_jRbjT5_SW_jjP12ihipStream_tbEUlT_E1_NS1_11comp_targetILNS1_3genE5ELNS1_11target_archE942ELNS1_3gpuE9ELNS1_3repE0EEENS1_59segmented_radix_sort_warp_sort_small_config_static_selectorELNS0_4arch9wavefront6targetE0EEEvSK_.num_vgpr, 0
	.set _ZN7rocprim17ROCPRIM_400000_NS6detail17trampoline_kernelINS0_14default_configENS1_36segmented_radix_sort_config_selectorIslEEZNS1_25segmented_radix_sort_implIS3_Lb0EPKsPsPKlPlN2at6native12_GLOBAL__N_18offset_tEEE10hipError_tPvRmT1_PNSt15iterator_traitsISK_E10value_typeET2_T3_PNSL_ISQ_E10value_typeET4_jRbjT5_SW_jjP12ihipStream_tbEUlT_E1_NS1_11comp_targetILNS1_3genE5ELNS1_11target_archE942ELNS1_3gpuE9ELNS1_3repE0EEENS1_59segmented_radix_sort_warp_sort_small_config_static_selectorELNS0_4arch9wavefront6targetE0EEEvSK_.num_agpr, 0
	.set _ZN7rocprim17ROCPRIM_400000_NS6detail17trampoline_kernelINS0_14default_configENS1_36segmented_radix_sort_config_selectorIslEEZNS1_25segmented_radix_sort_implIS3_Lb0EPKsPsPKlPlN2at6native12_GLOBAL__N_18offset_tEEE10hipError_tPvRmT1_PNSt15iterator_traitsISK_E10value_typeET2_T3_PNSL_ISQ_E10value_typeET4_jRbjT5_SW_jjP12ihipStream_tbEUlT_E1_NS1_11comp_targetILNS1_3genE5ELNS1_11target_archE942ELNS1_3gpuE9ELNS1_3repE0EEENS1_59segmented_radix_sort_warp_sort_small_config_static_selectorELNS0_4arch9wavefront6targetE0EEEvSK_.numbered_sgpr, 0
	.set _ZN7rocprim17ROCPRIM_400000_NS6detail17trampoline_kernelINS0_14default_configENS1_36segmented_radix_sort_config_selectorIslEEZNS1_25segmented_radix_sort_implIS3_Lb0EPKsPsPKlPlN2at6native12_GLOBAL__N_18offset_tEEE10hipError_tPvRmT1_PNSt15iterator_traitsISK_E10value_typeET2_T3_PNSL_ISQ_E10value_typeET4_jRbjT5_SW_jjP12ihipStream_tbEUlT_E1_NS1_11comp_targetILNS1_3genE5ELNS1_11target_archE942ELNS1_3gpuE9ELNS1_3repE0EEENS1_59segmented_radix_sort_warp_sort_small_config_static_selectorELNS0_4arch9wavefront6targetE0EEEvSK_.num_named_barrier, 0
	.set _ZN7rocprim17ROCPRIM_400000_NS6detail17trampoline_kernelINS0_14default_configENS1_36segmented_radix_sort_config_selectorIslEEZNS1_25segmented_radix_sort_implIS3_Lb0EPKsPsPKlPlN2at6native12_GLOBAL__N_18offset_tEEE10hipError_tPvRmT1_PNSt15iterator_traitsISK_E10value_typeET2_T3_PNSL_ISQ_E10value_typeET4_jRbjT5_SW_jjP12ihipStream_tbEUlT_E1_NS1_11comp_targetILNS1_3genE5ELNS1_11target_archE942ELNS1_3gpuE9ELNS1_3repE0EEENS1_59segmented_radix_sort_warp_sort_small_config_static_selectorELNS0_4arch9wavefront6targetE0EEEvSK_.private_seg_size, 0
	.set _ZN7rocprim17ROCPRIM_400000_NS6detail17trampoline_kernelINS0_14default_configENS1_36segmented_radix_sort_config_selectorIslEEZNS1_25segmented_radix_sort_implIS3_Lb0EPKsPsPKlPlN2at6native12_GLOBAL__N_18offset_tEEE10hipError_tPvRmT1_PNSt15iterator_traitsISK_E10value_typeET2_T3_PNSL_ISQ_E10value_typeET4_jRbjT5_SW_jjP12ihipStream_tbEUlT_E1_NS1_11comp_targetILNS1_3genE5ELNS1_11target_archE942ELNS1_3gpuE9ELNS1_3repE0EEENS1_59segmented_radix_sort_warp_sort_small_config_static_selectorELNS0_4arch9wavefront6targetE0EEEvSK_.uses_vcc, 0
	.set _ZN7rocprim17ROCPRIM_400000_NS6detail17trampoline_kernelINS0_14default_configENS1_36segmented_radix_sort_config_selectorIslEEZNS1_25segmented_radix_sort_implIS3_Lb0EPKsPsPKlPlN2at6native12_GLOBAL__N_18offset_tEEE10hipError_tPvRmT1_PNSt15iterator_traitsISK_E10value_typeET2_T3_PNSL_ISQ_E10value_typeET4_jRbjT5_SW_jjP12ihipStream_tbEUlT_E1_NS1_11comp_targetILNS1_3genE5ELNS1_11target_archE942ELNS1_3gpuE9ELNS1_3repE0EEENS1_59segmented_radix_sort_warp_sort_small_config_static_selectorELNS0_4arch9wavefront6targetE0EEEvSK_.uses_flat_scratch, 0
	.set _ZN7rocprim17ROCPRIM_400000_NS6detail17trampoline_kernelINS0_14default_configENS1_36segmented_radix_sort_config_selectorIslEEZNS1_25segmented_radix_sort_implIS3_Lb0EPKsPsPKlPlN2at6native12_GLOBAL__N_18offset_tEEE10hipError_tPvRmT1_PNSt15iterator_traitsISK_E10value_typeET2_T3_PNSL_ISQ_E10value_typeET4_jRbjT5_SW_jjP12ihipStream_tbEUlT_E1_NS1_11comp_targetILNS1_3genE5ELNS1_11target_archE942ELNS1_3gpuE9ELNS1_3repE0EEENS1_59segmented_radix_sort_warp_sort_small_config_static_selectorELNS0_4arch9wavefront6targetE0EEEvSK_.has_dyn_sized_stack, 0
	.set _ZN7rocprim17ROCPRIM_400000_NS6detail17trampoline_kernelINS0_14default_configENS1_36segmented_radix_sort_config_selectorIslEEZNS1_25segmented_radix_sort_implIS3_Lb0EPKsPsPKlPlN2at6native12_GLOBAL__N_18offset_tEEE10hipError_tPvRmT1_PNSt15iterator_traitsISK_E10value_typeET2_T3_PNSL_ISQ_E10value_typeET4_jRbjT5_SW_jjP12ihipStream_tbEUlT_E1_NS1_11comp_targetILNS1_3genE5ELNS1_11target_archE942ELNS1_3gpuE9ELNS1_3repE0EEENS1_59segmented_radix_sort_warp_sort_small_config_static_selectorELNS0_4arch9wavefront6targetE0EEEvSK_.has_recursion, 0
	.set _ZN7rocprim17ROCPRIM_400000_NS6detail17trampoline_kernelINS0_14default_configENS1_36segmented_radix_sort_config_selectorIslEEZNS1_25segmented_radix_sort_implIS3_Lb0EPKsPsPKlPlN2at6native12_GLOBAL__N_18offset_tEEE10hipError_tPvRmT1_PNSt15iterator_traitsISK_E10value_typeET2_T3_PNSL_ISQ_E10value_typeET4_jRbjT5_SW_jjP12ihipStream_tbEUlT_E1_NS1_11comp_targetILNS1_3genE5ELNS1_11target_archE942ELNS1_3gpuE9ELNS1_3repE0EEENS1_59segmented_radix_sort_warp_sort_small_config_static_selectorELNS0_4arch9wavefront6targetE0EEEvSK_.has_indirect_call, 0
	.section	.AMDGPU.csdata,"",@progbits
; Kernel info:
; codeLenInByte = 0
; TotalNumSgprs: 0
; NumVgprs: 0
; ScratchSize: 0
; MemoryBound: 0
; FloatMode: 240
; IeeeMode: 1
; LDSByteSize: 0 bytes/workgroup (compile time only)
; SGPRBlocks: 0
; VGPRBlocks: 0
; NumSGPRsForWavesPerEU: 1
; NumVGPRsForWavesPerEU: 1
; Occupancy: 16
; WaveLimiterHint : 0
; COMPUTE_PGM_RSRC2:SCRATCH_EN: 0
; COMPUTE_PGM_RSRC2:USER_SGPR: 2
; COMPUTE_PGM_RSRC2:TRAP_HANDLER: 0
; COMPUTE_PGM_RSRC2:TGID_X_EN: 1
; COMPUTE_PGM_RSRC2:TGID_Y_EN: 0
; COMPUTE_PGM_RSRC2:TGID_Z_EN: 0
; COMPUTE_PGM_RSRC2:TIDIG_COMP_CNT: 0
	.section	.text._ZN7rocprim17ROCPRIM_400000_NS6detail17trampoline_kernelINS0_14default_configENS1_36segmented_radix_sort_config_selectorIslEEZNS1_25segmented_radix_sort_implIS3_Lb0EPKsPsPKlPlN2at6native12_GLOBAL__N_18offset_tEEE10hipError_tPvRmT1_PNSt15iterator_traitsISK_E10value_typeET2_T3_PNSL_ISQ_E10value_typeET4_jRbjT5_SW_jjP12ihipStream_tbEUlT_E1_NS1_11comp_targetILNS1_3genE4ELNS1_11target_archE910ELNS1_3gpuE8ELNS1_3repE0EEENS1_59segmented_radix_sort_warp_sort_small_config_static_selectorELNS0_4arch9wavefront6targetE0EEEvSK_,"axG",@progbits,_ZN7rocprim17ROCPRIM_400000_NS6detail17trampoline_kernelINS0_14default_configENS1_36segmented_radix_sort_config_selectorIslEEZNS1_25segmented_radix_sort_implIS3_Lb0EPKsPsPKlPlN2at6native12_GLOBAL__N_18offset_tEEE10hipError_tPvRmT1_PNSt15iterator_traitsISK_E10value_typeET2_T3_PNSL_ISQ_E10value_typeET4_jRbjT5_SW_jjP12ihipStream_tbEUlT_E1_NS1_11comp_targetILNS1_3genE4ELNS1_11target_archE910ELNS1_3gpuE8ELNS1_3repE0EEENS1_59segmented_radix_sort_warp_sort_small_config_static_selectorELNS0_4arch9wavefront6targetE0EEEvSK_,comdat
	.globl	_ZN7rocprim17ROCPRIM_400000_NS6detail17trampoline_kernelINS0_14default_configENS1_36segmented_radix_sort_config_selectorIslEEZNS1_25segmented_radix_sort_implIS3_Lb0EPKsPsPKlPlN2at6native12_GLOBAL__N_18offset_tEEE10hipError_tPvRmT1_PNSt15iterator_traitsISK_E10value_typeET2_T3_PNSL_ISQ_E10value_typeET4_jRbjT5_SW_jjP12ihipStream_tbEUlT_E1_NS1_11comp_targetILNS1_3genE4ELNS1_11target_archE910ELNS1_3gpuE8ELNS1_3repE0EEENS1_59segmented_radix_sort_warp_sort_small_config_static_selectorELNS0_4arch9wavefront6targetE0EEEvSK_ ; -- Begin function _ZN7rocprim17ROCPRIM_400000_NS6detail17trampoline_kernelINS0_14default_configENS1_36segmented_radix_sort_config_selectorIslEEZNS1_25segmented_radix_sort_implIS3_Lb0EPKsPsPKlPlN2at6native12_GLOBAL__N_18offset_tEEE10hipError_tPvRmT1_PNSt15iterator_traitsISK_E10value_typeET2_T3_PNSL_ISQ_E10value_typeET4_jRbjT5_SW_jjP12ihipStream_tbEUlT_E1_NS1_11comp_targetILNS1_3genE4ELNS1_11target_archE910ELNS1_3gpuE8ELNS1_3repE0EEENS1_59segmented_radix_sort_warp_sort_small_config_static_selectorELNS0_4arch9wavefront6targetE0EEEvSK_
	.p2align	8
	.type	_ZN7rocprim17ROCPRIM_400000_NS6detail17trampoline_kernelINS0_14default_configENS1_36segmented_radix_sort_config_selectorIslEEZNS1_25segmented_radix_sort_implIS3_Lb0EPKsPsPKlPlN2at6native12_GLOBAL__N_18offset_tEEE10hipError_tPvRmT1_PNSt15iterator_traitsISK_E10value_typeET2_T3_PNSL_ISQ_E10value_typeET4_jRbjT5_SW_jjP12ihipStream_tbEUlT_E1_NS1_11comp_targetILNS1_3genE4ELNS1_11target_archE910ELNS1_3gpuE8ELNS1_3repE0EEENS1_59segmented_radix_sort_warp_sort_small_config_static_selectorELNS0_4arch9wavefront6targetE0EEEvSK_,@function
_ZN7rocprim17ROCPRIM_400000_NS6detail17trampoline_kernelINS0_14default_configENS1_36segmented_radix_sort_config_selectorIslEEZNS1_25segmented_radix_sort_implIS3_Lb0EPKsPsPKlPlN2at6native12_GLOBAL__N_18offset_tEEE10hipError_tPvRmT1_PNSt15iterator_traitsISK_E10value_typeET2_T3_PNSL_ISQ_E10value_typeET4_jRbjT5_SW_jjP12ihipStream_tbEUlT_E1_NS1_11comp_targetILNS1_3genE4ELNS1_11target_archE910ELNS1_3gpuE8ELNS1_3repE0EEENS1_59segmented_radix_sort_warp_sort_small_config_static_selectorELNS0_4arch9wavefront6targetE0EEEvSK_: ; @_ZN7rocprim17ROCPRIM_400000_NS6detail17trampoline_kernelINS0_14default_configENS1_36segmented_radix_sort_config_selectorIslEEZNS1_25segmented_radix_sort_implIS3_Lb0EPKsPsPKlPlN2at6native12_GLOBAL__N_18offset_tEEE10hipError_tPvRmT1_PNSt15iterator_traitsISK_E10value_typeET2_T3_PNSL_ISQ_E10value_typeET4_jRbjT5_SW_jjP12ihipStream_tbEUlT_E1_NS1_11comp_targetILNS1_3genE4ELNS1_11target_archE910ELNS1_3gpuE8ELNS1_3repE0EEENS1_59segmented_radix_sort_warp_sort_small_config_static_selectorELNS0_4arch9wavefront6targetE0EEEvSK_
; %bb.0:
	.section	.rodata,"a",@progbits
	.p2align	6, 0x0
	.amdhsa_kernel _ZN7rocprim17ROCPRIM_400000_NS6detail17trampoline_kernelINS0_14default_configENS1_36segmented_radix_sort_config_selectorIslEEZNS1_25segmented_radix_sort_implIS3_Lb0EPKsPsPKlPlN2at6native12_GLOBAL__N_18offset_tEEE10hipError_tPvRmT1_PNSt15iterator_traitsISK_E10value_typeET2_T3_PNSL_ISQ_E10value_typeET4_jRbjT5_SW_jjP12ihipStream_tbEUlT_E1_NS1_11comp_targetILNS1_3genE4ELNS1_11target_archE910ELNS1_3gpuE8ELNS1_3repE0EEENS1_59segmented_radix_sort_warp_sort_small_config_static_selectorELNS0_4arch9wavefront6targetE0EEEvSK_
		.amdhsa_group_segment_fixed_size 0
		.amdhsa_private_segment_fixed_size 0
		.amdhsa_kernarg_size 88
		.amdhsa_user_sgpr_count 2
		.amdhsa_user_sgpr_dispatch_ptr 0
		.amdhsa_user_sgpr_queue_ptr 0
		.amdhsa_user_sgpr_kernarg_segment_ptr 1
		.amdhsa_user_sgpr_dispatch_id 0
		.amdhsa_user_sgpr_private_segment_size 0
		.amdhsa_wavefront_size32 1
		.amdhsa_uses_dynamic_stack 0
		.amdhsa_enable_private_segment 0
		.amdhsa_system_sgpr_workgroup_id_x 1
		.amdhsa_system_sgpr_workgroup_id_y 0
		.amdhsa_system_sgpr_workgroup_id_z 0
		.amdhsa_system_sgpr_workgroup_info 0
		.amdhsa_system_vgpr_workitem_id 0
		.amdhsa_next_free_vgpr 1
		.amdhsa_next_free_sgpr 1
		.amdhsa_reserve_vcc 0
		.amdhsa_float_round_mode_32 0
		.amdhsa_float_round_mode_16_64 0
		.amdhsa_float_denorm_mode_32 3
		.amdhsa_float_denorm_mode_16_64 3
		.amdhsa_fp16_overflow 0
		.amdhsa_workgroup_processor_mode 1
		.amdhsa_memory_ordered 1
		.amdhsa_forward_progress 1
		.amdhsa_inst_pref_size 0
		.amdhsa_round_robin_scheduling 0
		.amdhsa_exception_fp_ieee_invalid_op 0
		.amdhsa_exception_fp_denorm_src 0
		.amdhsa_exception_fp_ieee_div_zero 0
		.amdhsa_exception_fp_ieee_overflow 0
		.amdhsa_exception_fp_ieee_underflow 0
		.amdhsa_exception_fp_ieee_inexact 0
		.amdhsa_exception_int_div_zero 0
	.end_amdhsa_kernel
	.section	.text._ZN7rocprim17ROCPRIM_400000_NS6detail17trampoline_kernelINS0_14default_configENS1_36segmented_radix_sort_config_selectorIslEEZNS1_25segmented_radix_sort_implIS3_Lb0EPKsPsPKlPlN2at6native12_GLOBAL__N_18offset_tEEE10hipError_tPvRmT1_PNSt15iterator_traitsISK_E10value_typeET2_T3_PNSL_ISQ_E10value_typeET4_jRbjT5_SW_jjP12ihipStream_tbEUlT_E1_NS1_11comp_targetILNS1_3genE4ELNS1_11target_archE910ELNS1_3gpuE8ELNS1_3repE0EEENS1_59segmented_radix_sort_warp_sort_small_config_static_selectorELNS0_4arch9wavefront6targetE0EEEvSK_,"axG",@progbits,_ZN7rocprim17ROCPRIM_400000_NS6detail17trampoline_kernelINS0_14default_configENS1_36segmented_radix_sort_config_selectorIslEEZNS1_25segmented_radix_sort_implIS3_Lb0EPKsPsPKlPlN2at6native12_GLOBAL__N_18offset_tEEE10hipError_tPvRmT1_PNSt15iterator_traitsISK_E10value_typeET2_T3_PNSL_ISQ_E10value_typeET4_jRbjT5_SW_jjP12ihipStream_tbEUlT_E1_NS1_11comp_targetILNS1_3genE4ELNS1_11target_archE910ELNS1_3gpuE8ELNS1_3repE0EEENS1_59segmented_radix_sort_warp_sort_small_config_static_selectorELNS0_4arch9wavefront6targetE0EEEvSK_,comdat
.Lfunc_end1036:
	.size	_ZN7rocprim17ROCPRIM_400000_NS6detail17trampoline_kernelINS0_14default_configENS1_36segmented_radix_sort_config_selectorIslEEZNS1_25segmented_radix_sort_implIS3_Lb0EPKsPsPKlPlN2at6native12_GLOBAL__N_18offset_tEEE10hipError_tPvRmT1_PNSt15iterator_traitsISK_E10value_typeET2_T3_PNSL_ISQ_E10value_typeET4_jRbjT5_SW_jjP12ihipStream_tbEUlT_E1_NS1_11comp_targetILNS1_3genE4ELNS1_11target_archE910ELNS1_3gpuE8ELNS1_3repE0EEENS1_59segmented_radix_sort_warp_sort_small_config_static_selectorELNS0_4arch9wavefront6targetE0EEEvSK_, .Lfunc_end1036-_ZN7rocprim17ROCPRIM_400000_NS6detail17trampoline_kernelINS0_14default_configENS1_36segmented_radix_sort_config_selectorIslEEZNS1_25segmented_radix_sort_implIS3_Lb0EPKsPsPKlPlN2at6native12_GLOBAL__N_18offset_tEEE10hipError_tPvRmT1_PNSt15iterator_traitsISK_E10value_typeET2_T3_PNSL_ISQ_E10value_typeET4_jRbjT5_SW_jjP12ihipStream_tbEUlT_E1_NS1_11comp_targetILNS1_3genE4ELNS1_11target_archE910ELNS1_3gpuE8ELNS1_3repE0EEENS1_59segmented_radix_sort_warp_sort_small_config_static_selectorELNS0_4arch9wavefront6targetE0EEEvSK_
                                        ; -- End function
	.set _ZN7rocprim17ROCPRIM_400000_NS6detail17trampoline_kernelINS0_14default_configENS1_36segmented_radix_sort_config_selectorIslEEZNS1_25segmented_radix_sort_implIS3_Lb0EPKsPsPKlPlN2at6native12_GLOBAL__N_18offset_tEEE10hipError_tPvRmT1_PNSt15iterator_traitsISK_E10value_typeET2_T3_PNSL_ISQ_E10value_typeET4_jRbjT5_SW_jjP12ihipStream_tbEUlT_E1_NS1_11comp_targetILNS1_3genE4ELNS1_11target_archE910ELNS1_3gpuE8ELNS1_3repE0EEENS1_59segmented_radix_sort_warp_sort_small_config_static_selectorELNS0_4arch9wavefront6targetE0EEEvSK_.num_vgpr, 0
	.set _ZN7rocprim17ROCPRIM_400000_NS6detail17trampoline_kernelINS0_14default_configENS1_36segmented_radix_sort_config_selectorIslEEZNS1_25segmented_radix_sort_implIS3_Lb0EPKsPsPKlPlN2at6native12_GLOBAL__N_18offset_tEEE10hipError_tPvRmT1_PNSt15iterator_traitsISK_E10value_typeET2_T3_PNSL_ISQ_E10value_typeET4_jRbjT5_SW_jjP12ihipStream_tbEUlT_E1_NS1_11comp_targetILNS1_3genE4ELNS1_11target_archE910ELNS1_3gpuE8ELNS1_3repE0EEENS1_59segmented_radix_sort_warp_sort_small_config_static_selectorELNS0_4arch9wavefront6targetE0EEEvSK_.num_agpr, 0
	.set _ZN7rocprim17ROCPRIM_400000_NS6detail17trampoline_kernelINS0_14default_configENS1_36segmented_radix_sort_config_selectorIslEEZNS1_25segmented_radix_sort_implIS3_Lb0EPKsPsPKlPlN2at6native12_GLOBAL__N_18offset_tEEE10hipError_tPvRmT1_PNSt15iterator_traitsISK_E10value_typeET2_T3_PNSL_ISQ_E10value_typeET4_jRbjT5_SW_jjP12ihipStream_tbEUlT_E1_NS1_11comp_targetILNS1_3genE4ELNS1_11target_archE910ELNS1_3gpuE8ELNS1_3repE0EEENS1_59segmented_radix_sort_warp_sort_small_config_static_selectorELNS0_4arch9wavefront6targetE0EEEvSK_.numbered_sgpr, 0
	.set _ZN7rocprim17ROCPRIM_400000_NS6detail17trampoline_kernelINS0_14default_configENS1_36segmented_radix_sort_config_selectorIslEEZNS1_25segmented_radix_sort_implIS3_Lb0EPKsPsPKlPlN2at6native12_GLOBAL__N_18offset_tEEE10hipError_tPvRmT1_PNSt15iterator_traitsISK_E10value_typeET2_T3_PNSL_ISQ_E10value_typeET4_jRbjT5_SW_jjP12ihipStream_tbEUlT_E1_NS1_11comp_targetILNS1_3genE4ELNS1_11target_archE910ELNS1_3gpuE8ELNS1_3repE0EEENS1_59segmented_radix_sort_warp_sort_small_config_static_selectorELNS0_4arch9wavefront6targetE0EEEvSK_.num_named_barrier, 0
	.set _ZN7rocprim17ROCPRIM_400000_NS6detail17trampoline_kernelINS0_14default_configENS1_36segmented_radix_sort_config_selectorIslEEZNS1_25segmented_radix_sort_implIS3_Lb0EPKsPsPKlPlN2at6native12_GLOBAL__N_18offset_tEEE10hipError_tPvRmT1_PNSt15iterator_traitsISK_E10value_typeET2_T3_PNSL_ISQ_E10value_typeET4_jRbjT5_SW_jjP12ihipStream_tbEUlT_E1_NS1_11comp_targetILNS1_3genE4ELNS1_11target_archE910ELNS1_3gpuE8ELNS1_3repE0EEENS1_59segmented_radix_sort_warp_sort_small_config_static_selectorELNS0_4arch9wavefront6targetE0EEEvSK_.private_seg_size, 0
	.set _ZN7rocprim17ROCPRIM_400000_NS6detail17trampoline_kernelINS0_14default_configENS1_36segmented_radix_sort_config_selectorIslEEZNS1_25segmented_radix_sort_implIS3_Lb0EPKsPsPKlPlN2at6native12_GLOBAL__N_18offset_tEEE10hipError_tPvRmT1_PNSt15iterator_traitsISK_E10value_typeET2_T3_PNSL_ISQ_E10value_typeET4_jRbjT5_SW_jjP12ihipStream_tbEUlT_E1_NS1_11comp_targetILNS1_3genE4ELNS1_11target_archE910ELNS1_3gpuE8ELNS1_3repE0EEENS1_59segmented_radix_sort_warp_sort_small_config_static_selectorELNS0_4arch9wavefront6targetE0EEEvSK_.uses_vcc, 0
	.set _ZN7rocprim17ROCPRIM_400000_NS6detail17trampoline_kernelINS0_14default_configENS1_36segmented_radix_sort_config_selectorIslEEZNS1_25segmented_radix_sort_implIS3_Lb0EPKsPsPKlPlN2at6native12_GLOBAL__N_18offset_tEEE10hipError_tPvRmT1_PNSt15iterator_traitsISK_E10value_typeET2_T3_PNSL_ISQ_E10value_typeET4_jRbjT5_SW_jjP12ihipStream_tbEUlT_E1_NS1_11comp_targetILNS1_3genE4ELNS1_11target_archE910ELNS1_3gpuE8ELNS1_3repE0EEENS1_59segmented_radix_sort_warp_sort_small_config_static_selectorELNS0_4arch9wavefront6targetE0EEEvSK_.uses_flat_scratch, 0
	.set _ZN7rocprim17ROCPRIM_400000_NS6detail17trampoline_kernelINS0_14default_configENS1_36segmented_radix_sort_config_selectorIslEEZNS1_25segmented_radix_sort_implIS3_Lb0EPKsPsPKlPlN2at6native12_GLOBAL__N_18offset_tEEE10hipError_tPvRmT1_PNSt15iterator_traitsISK_E10value_typeET2_T3_PNSL_ISQ_E10value_typeET4_jRbjT5_SW_jjP12ihipStream_tbEUlT_E1_NS1_11comp_targetILNS1_3genE4ELNS1_11target_archE910ELNS1_3gpuE8ELNS1_3repE0EEENS1_59segmented_radix_sort_warp_sort_small_config_static_selectorELNS0_4arch9wavefront6targetE0EEEvSK_.has_dyn_sized_stack, 0
	.set _ZN7rocprim17ROCPRIM_400000_NS6detail17trampoline_kernelINS0_14default_configENS1_36segmented_radix_sort_config_selectorIslEEZNS1_25segmented_radix_sort_implIS3_Lb0EPKsPsPKlPlN2at6native12_GLOBAL__N_18offset_tEEE10hipError_tPvRmT1_PNSt15iterator_traitsISK_E10value_typeET2_T3_PNSL_ISQ_E10value_typeET4_jRbjT5_SW_jjP12ihipStream_tbEUlT_E1_NS1_11comp_targetILNS1_3genE4ELNS1_11target_archE910ELNS1_3gpuE8ELNS1_3repE0EEENS1_59segmented_radix_sort_warp_sort_small_config_static_selectorELNS0_4arch9wavefront6targetE0EEEvSK_.has_recursion, 0
	.set _ZN7rocprim17ROCPRIM_400000_NS6detail17trampoline_kernelINS0_14default_configENS1_36segmented_radix_sort_config_selectorIslEEZNS1_25segmented_radix_sort_implIS3_Lb0EPKsPsPKlPlN2at6native12_GLOBAL__N_18offset_tEEE10hipError_tPvRmT1_PNSt15iterator_traitsISK_E10value_typeET2_T3_PNSL_ISQ_E10value_typeET4_jRbjT5_SW_jjP12ihipStream_tbEUlT_E1_NS1_11comp_targetILNS1_3genE4ELNS1_11target_archE910ELNS1_3gpuE8ELNS1_3repE0EEENS1_59segmented_radix_sort_warp_sort_small_config_static_selectorELNS0_4arch9wavefront6targetE0EEEvSK_.has_indirect_call, 0
	.section	.AMDGPU.csdata,"",@progbits
; Kernel info:
; codeLenInByte = 0
; TotalNumSgprs: 0
; NumVgprs: 0
; ScratchSize: 0
; MemoryBound: 0
; FloatMode: 240
; IeeeMode: 1
; LDSByteSize: 0 bytes/workgroup (compile time only)
; SGPRBlocks: 0
; VGPRBlocks: 0
; NumSGPRsForWavesPerEU: 1
; NumVGPRsForWavesPerEU: 1
; Occupancy: 16
; WaveLimiterHint : 0
; COMPUTE_PGM_RSRC2:SCRATCH_EN: 0
; COMPUTE_PGM_RSRC2:USER_SGPR: 2
; COMPUTE_PGM_RSRC2:TRAP_HANDLER: 0
; COMPUTE_PGM_RSRC2:TGID_X_EN: 1
; COMPUTE_PGM_RSRC2:TGID_Y_EN: 0
; COMPUTE_PGM_RSRC2:TGID_Z_EN: 0
; COMPUTE_PGM_RSRC2:TIDIG_COMP_CNT: 0
	.section	.text._ZN7rocprim17ROCPRIM_400000_NS6detail17trampoline_kernelINS0_14default_configENS1_36segmented_radix_sort_config_selectorIslEEZNS1_25segmented_radix_sort_implIS3_Lb0EPKsPsPKlPlN2at6native12_GLOBAL__N_18offset_tEEE10hipError_tPvRmT1_PNSt15iterator_traitsISK_E10value_typeET2_T3_PNSL_ISQ_E10value_typeET4_jRbjT5_SW_jjP12ihipStream_tbEUlT_E1_NS1_11comp_targetILNS1_3genE3ELNS1_11target_archE908ELNS1_3gpuE7ELNS1_3repE0EEENS1_59segmented_radix_sort_warp_sort_small_config_static_selectorELNS0_4arch9wavefront6targetE0EEEvSK_,"axG",@progbits,_ZN7rocprim17ROCPRIM_400000_NS6detail17trampoline_kernelINS0_14default_configENS1_36segmented_radix_sort_config_selectorIslEEZNS1_25segmented_radix_sort_implIS3_Lb0EPKsPsPKlPlN2at6native12_GLOBAL__N_18offset_tEEE10hipError_tPvRmT1_PNSt15iterator_traitsISK_E10value_typeET2_T3_PNSL_ISQ_E10value_typeET4_jRbjT5_SW_jjP12ihipStream_tbEUlT_E1_NS1_11comp_targetILNS1_3genE3ELNS1_11target_archE908ELNS1_3gpuE7ELNS1_3repE0EEENS1_59segmented_radix_sort_warp_sort_small_config_static_selectorELNS0_4arch9wavefront6targetE0EEEvSK_,comdat
	.globl	_ZN7rocprim17ROCPRIM_400000_NS6detail17trampoline_kernelINS0_14default_configENS1_36segmented_radix_sort_config_selectorIslEEZNS1_25segmented_radix_sort_implIS3_Lb0EPKsPsPKlPlN2at6native12_GLOBAL__N_18offset_tEEE10hipError_tPvRmT1_PNSt15iterator_traitsISK_E10value_typeET2_T3_PNSL_ISQ_E10value_typeET4_jRbjT5_SW_jjP12ihipStream_tbEUlT_E1_NS1_11comp_targetILNS1_3genE3ELNS1_11target_archE908ELNS1_3gpuE7ELNS1_3repE0EEENS1_59segmented_radix_sort_warp_sort_small_config_static_selectorELNS0_4arch9wavefront6targetE0EEEvSK_ ; -- Begin function _ZN7rocprim17ROCPRIM_400000_NS6detail17trampoline_kernelINS0_14default_configENS1_36segmented_radix_sort_config_selectorIslEEZNS1_25segmented_radix_sort_implIS3_Lb0EPKsPsPKlPlN2at6native12_GLOBAL__N_18offset_tEEE10hipError_tPvRmT1_PNSt15iterator_traitsISK_E10value_typeET2_T3_PNSL_ISQ_E10value_typeET4_jRbjT5_SW_jjP12ihipStream_tbEUlT_E1_NS1_11comp_targetILNS1_3genE3ELNS1_11target_archE908ELNS1_3gpuE7ELNS1_3repE0EEENS1_59segmented_radix_sort_warp_sort_small_config_static_selectorELNS0_4arch9wavefront6targetE0EEEvSK_
	.p2align	8
	.type	_ZN7rocprim17ROCPRIM_400000_NS6detail17trampoline_kernelINS0_14default_configENS1_36segmented_radix_sort_config_selectorIslEEZNS1_25segmented_radix_sort_implIS3_Lb0EPKsPsPKlPlN2at6native12_GLOBAL__N_18offset_tEEE10hipError_tPvRmT1_PNSt15iterator_traitsISK_E10value_typeET2_T3_PNSL_ISQ_E10value_typeET4_jRbjT5_SW_jjP12ihipStream_tbEUlT_E1_NS1_11comp_targetILNS1_3genE3ELNS1_11target_archE908ELNS1_3gpuE7ELNS1_3repE0EEENS1_59segmented_radix_sort_warp_sort_small_config_static_selectorELNS0_4arch9wavefront6targetE0EEEvSK_,@function
_ZN7rocprim17ROCPRIM_400000_NS6detail17trampoline_kernelINS0_14default_configENS1_36segmented_radix_sort_config_selectorIslEEZNS1_25segmented_radix_sort_implIS3_Lb0EPKsPsPKlPlN2at6native12_GLOBAL__N_18offset_tEEE10hipError_tPvRmT1_PNSt15iterator_traitsISK_E10value_typeET2_T3_PNSL_ISQ_E10value_typeET4_jRbjT5_SW_jjP12ihipStream_tbEUlT_E1_NS1_11comp_targetILNS1_3genE3ELNS1_11target_archE908ELNS1_3gpuE7ELNS1_3repE0EEENS1_59segmented_radix_sort_warp_sort_small_config_static_selectorELNS0_4arch9wavefront6targetE0EEEvSK_: ; @_ZN7rocprim17ROCPRIM_400000_NS6detail17trampoline_kernelINS0_14default_configENS1_36segmented_radix_sort_config_selectorIslEEZNS1_25segmented_radix_sort_implIS3_Lb0EPKsPsPKlPlN2at6native12_GLOBAL__N_18offset_tEEE10hipError_tPvRmT1_PNSt15iterator_traitsISK_E10value_typeET2_T3_PNSL_ISQ_E10value_typeET4_jRbjT5_SW_jjP12ihipStream_tbEUlT_E1_NS1_11comp_targetILNS1_3genE3ELNS1_11target_archE908ELNS1_3gpuE7ELNS1_3repE0EEENS1_59segmented_radix_sort_warp_sort_small_config_static_selectorELNS0_4arch9wavefront6targetE0EEEvSK_
; %bb.0:
	.section	.rodata,"a",@progbits
	.p2align	6, 0x0
	.amdhsa_kernel _ZN7rocprim17ROCPRIM_400000_NS6detail17trampoline_kernelINS0_14default_configENS1_36segmented_radix_sort_config_selectorIslEEZNS1_25segmented_radix_sort_implIS3_Lb0EPKsPsPKlPlN2at6native12_GLOBAL__N_18offset_tEEE10hipError_tPvRmT1_PNSt15iterator_traitsISK_E10value_typeET2_T3_PNSL_ISQ_E10value_typeET4_jRbjT5_SW_jjP12ihipStream_tbEUlT_E1_NS1_11comp_targetILNS1_3genE3ELNS1_11target_archE908ELNS1_3gpuE7ELNS1_3repE0EEENS1_59segmented_radix_sort_warp_sort_small_config_static_selectorELNS0_4arch9wavefront6targetE0EEEvSK_
		.amdhsa_group_segment_fixed_size 0
		.amdhsa_private_segment_fixed_size 0
		.amdhsa_kernarg_size 88
		.amdhsa_user_sgpr_count 2
		.amdhsa_user_sgpr_dispatch_ptr 0
		.amdhsa_user_sgpr_queue_ptr 0
		.amdhsa_user_sgpr_kernarg_segment_ptr 1
		.amdhsa_user_sgpr_dispatch_id 0
		.amdhsa_user_sgpr_private_segment_size 0
		.amdhsa_wavefront_size32 1
		.amdhsa_uses_dynamic_stack 0
		.amdhsa_enable_private_segment 0
		.amdhsa_system_sgpr_workgroup_id_x 1
		.amdhsa_system_sgpr_workgroup_id_y 0
		.amdhsa_system_sgpr_workgroup_id_z 0
		.amdhsa_system_sgpr_workgroup_info 0
		.amdhsa_system_vgpr_workitem_id 0
		.amdhsa_next_free_vgpr 1
		.amdhsa_next_free_sgpr 1
		.amdhsa_reserve_vcc 0
		.amdhsa_float_round_mode_32 0
		.amdhsa_float_round_mode_16_64 0
		.amdhsa_float_denorm_mode_32 3
		.amdhsa_float_denorm_mode_16_64 3
		.amdhsa_fp16_overflow 0
		.amdhsa_workgroup_processor_mode 1
		.amdhsa_memory_ordered 1
		.amdhsa_forward_progress 1
		.amdhsa_inst_pref_size 0
		.amdhsa_round_robin_scheduling 0
		.amdhsa_exception_fp_ieee_invalid_op 0
		.amdhsa_exception_fp_denorm_src 0
		.amdhsa_exception_fp_ieee_div_zero 0
		.amdhsa_exception_fp_ieee_overflow 0
		.amdhsa_exception_fp_ieee_underflow 0
		.amdhsa_exception_fp_ieee_inexact 0
		.amdhsa_exception_int_div_zero 0
	.end_amdhsa_kernel
	.section	.text._ZN7rocprim17ROCPRIM_400000_NS6detail17trampoline_kernelINS0_14default_configENS1_36segmented_radix_sort_config_selectorIslEEZNS1_25segmented_radix_sort_implIS3_Lb0EPKsPsPKlPlN2at6native12_GLOBAL__N_18offset_tEEE10hipError_tPvRmT1_PNSt15iterator_traitsISK_E10value_typeET2_T3_PNSL_ISQ_E10value_typeET4_jRbjT5_SW_jjP12ihipStream_tbEUlT_E1_NS1_11comp_targetILNS1_3genE3ELNS1_11target_archE908ELNS1_3gpuE7ELNS1_3repE0EEENS1_59segmented_radix_sort_warp_sort_small_config_static_selectorELNS0_4arch9wavefront6targetE0EEEvSK_,"axG",@progbits,_ZN7rocprim17ROCPRIM_400000_NS6detail17trampoline_kernelINS0_14default_configENS1_36segmented_radix_sort_config_selectorIslEEZNS1_25segmented_radix_sort_implIS3_Lb0EPKsPsPKlPlN2at6native12_GLOBAL__N_18offset_tEEE10hipError_tPvRmT1_PNSt15iterator_traitsISK_E10value_typeET2_T3_PNSL_ISQ_E10value_typeET4_jRbjT5_SW_jjP12ihipStream_tbEUlT_E1_NS1_11comp_targetILNS1_3genE3ELNS1_11target_archE908ELNS1_3gpuE7ELNS1_3repE0EEENS1_59segmented_radix_sort_warp_sort_small_config_static_selectorELNS0_4arch9wavefront6targetE0EEEvSK_,comdat
.Lfunc_end1037:
	.size	_ZN7rocprim17ROCPRIM_400000_NS6detail17trampoline_kernelINS0_14default_configENS1_36segmented_radix_sort_config_selectorIslEEZNS1_25segmented_radix_sort_implIS3_Lb0EPKsPsPKlPlN2at6native12_GLOBAL__N_18offset_tEEE10hipError_tPvRmT1_PNSt15iterator_traitsISK_E10value_typeET2_T3_PNSL_ISQ_E10value_typeET4_jRbjT5_SW_jjP12ihipStream_tbEUlT_E1_NS1_11comp_targetILNS1_3genE3ELNS1_11target_archE908ELNS1_3gpuE7ELNS1_3repE0EEENS1_59segmented_radix_sort_warp_sort_small_config_static_selectorELNS0_4arch9wavefront6targetE0EEEvSK_, .Lfunc_end1037-_ZN7rocprim17ROCPRIM_400000_NS6detail17trampoline_kernelINS0_14default_configENS1_36segmented_radix_sort_config_selectorIslEEZNS1_25segmented_radix_sort_implIS3_Lb0EPKsPsPKlPlN2at6native12_GLOBAL__N_18offset_tEEE10hipError_tPvRmT1_PNSt15iterator_traitsISK_E10value_typeET2_T3_PNSL_ISQ_E10value_typeET4_jRbjT5_SW_jjP12ihipStream_tbEUlT_E1_NS1_11comp_targetILNS1_3genE3ELNS1_11target_archE908ELNS1_3gpuE7ELNS1_3repE0EEENS1_59segmented_radix_sort_warp_sort_small_config_static_selectorELNS0_4arch9wavefront6targetE0EEEvSK_
                                        ; -- End function
	.set _ZN7rocprim17ROCPRIM_400000_NS6detail17trampoline_kernelINS0_14default_configENS1_36segmented_radix_sort_config_selectorIslEEZNS1_25segmented_radix_sort_implIS3_Lb0EPKsPsPKlPlN2at6native12_GLOBAL__N_18offset_tEEE10hipError_tPvRmT1_PNSt15iterator_traitsISK_E10value_typeET2_T3_PNSL_ISQ_E10value_typeET4_jRbjT5_SW_jjP12ihipStream_tbEUlT_E1_NS1_11comp_targetILNS1_3genE3ELNS1_11target_archE908ELNS1_3gpuE7ELNS1_3repE0EEENS1_59segmented_radix_sort_warp_sort_small_config_static_selectorELNS0_4arch9wavefront6targetE0EEEvSK_.num_vgpr, 0
	.set _ZN7rocprim17ROCPRIM_400000_NS6detail17trampoline_kernelINS0_14default_configENS1_36segmented_radix_sort_config_selectorIslEEZNS1_25segmented_radix_sort_implIS3_Lb0EPKsPsPKlPlN2at6native12_GLOBAL__N_18offset_tEEE10hipError_tPvRmT1_PNSt15iterator_traitsISK_E10value_typeET2_T3_PNSL_ISQ_E10value_typeET4_jRbjT5_SW_jjP12ihipStream_tbEUlT_E1_NS1_11comp_targetILNS1_3genE3ELNS1_11target_archE908ELNS1_3gpuE7ELNS1_3repE0EEENS1_59segmented_radix_sort_warp_sort_small_config_static_selectorELNS0_4arch9wavefront6targetE0EEEvSK_.num_agpr, 0
	.set _ZN7rocprim17ROCPRIM_400000_NS6detail17trampoline_kernelINS0_14default_configENS1_36segmented_radix_sort_config_selectorIslEEZNS1_25segmented_radix_sort_implIS3_Lb0EPKsPsPKlPlN2at6native12_GLOBAL__N_18offset_tEEE10hipError_tPvRmT1_PNSt15iterator_traitsISK_E10value_typeET2_T3_PNSL_ISQ_E10value_typeET4_jRbjT5_SW_jjP12ihipStream_tbEUlT_E1_NS1_11comp_targetILNS1_3genE3ELNS1_11target_archE908ELNS1_3gpuE7ELNS1_3repE0EEENS1_59segmented_radix_sort_warp_sort_small_config_static_selectorELNS0_4arch9wavefront6targetE0EEEvSK_.numbered_sgpr, 0
	.set _ZN7rocprim17ROCPRIM_400000_NS6detail17trampoline_kernelINS0_14default_configENS1_36segmented_radix_sort_config_selectorIslEEZNS1_25segmented_radix_sort_implIS3_Lb0EPKsPsPKlPlN2at6native12_GLOBAL__N_18offset_tEEE10hipError_tPvRmT1_PNSt15iterator_traitsISK_E10value_typeET2_T3_PNSL_ISQ_E10value_typeET4_jRbjT5_SW_jjP12ihipStream_tbEUlT_E1_NS1_11comp_targetILNS1_3genE3ELNS1_11target_archE908ELNS1_3gpuE7ELNS1_3repE0EEENS1_59segmented_radix_sort_warp_sort_small_config_static_selectorELNS0_4arch9wavefront6targetE0EEEvSK_.num_named_barrier, 0
	.set _ZN7rocprim17ROCPRIM_400000_NS6detail17trampoline_kernelINS0_14default_configENS1_36segmented_radix_sort_config_selectorIslEEZNS1_25segmented_radix_sort_implIS3_Lb0EPKsPsPKlPlN2at6native12_GLOBAL__N_18offset_tEEE10hipError_tPvRmT1_PNSt15iterator_traitsISK_E10value_typeET2_T3_PNSL_ISQ_E10value_typeET4_jRbjT5_SW_jjP12ihipStream_tbEUlT_E1_NS1_11comp_targetILNS1_3genE3ELNS1_11target_archE908ELNS1_3gpuE7ELNS1_3repE0EEENS1_59segmented_radix_sort_warp_sort_small_config_static_selectorELNS0_4arch9wavefront6targetE0EEEvSK_.private_seg_size, 0
	.set _ZN7rocprim17ROCPRIM_400000_NS6detail17trampoline_kernelINS0_14default_configENS1_36segmented_radix_sort_config_selectorIslEEZNS1_25segmented_radix_sort_implIS3_Lb0EPKsPsPKlPlN2at6native12_GLOBAL__N_18offset_tEEE10hipError_tPvRmT1_PNSt15iterator_traitsISK_E10value_typeET2_T3_PNSL_ISQ_E10value_typeET4_jRbjT5_SW_jjP12ihipStream_tbEUlT_E1_NS1_11comp_targetILNS1_3genE3ELNS1_11target_archE908ELNS1_3gpuE7ELNS1_3repE0EEENS1_59segmented_radix_sort_warp_sort_small_config_static_selectorELNS0_4arch9wavefront6targetE0EEEvSK_.uses_vcc, 0
	.set _ZN7rocprim17ROCPRIM_400000_NS6detail17trampoline_kernelINS0_14default_configENS1_36segmented_radix_sort_config_selectorIslEEZNS1_25segmented_radix_sort_implIS3_Lb0EPKsPsPKlPlN2at6native12_GLOBAL__N_18offset_tEEE10hipError_tPvRmT1_PNSt15iterator_traitsISK_E10value_typeET2_T3_PNSL_ISQ_E10value_typeET4_jRbjT5_SW_jjP12ihipStream_tbEUlT_E1_NS1_11comp_targetILNS1_3genE3ELNS1_11target_archE908ELNS1_3gpuE7ELNS1_3repE0EEENS1_59segmented_radix_sort_warp_sort_small_config_static_selectorELNS0_4arch9wavefront6targetE0EEEvSK_.uses_flat_scratch, 0
	.set _ZN7rocprim17ROCPRIM_400000_NS6detail17trampoline_kernelINS0_14default_configENS1_36segmented_radix_sort_config_selectorIslEEZNS1_25segmented_radix_sort_implIS3_Lb0EPKsPsPKlPlN2at6native12_GLOBAL__N_18offset_tEEE10hipError_tPvRmT1_PNSt15iterator_traitsISK_E10value_typeET2_T3_PNSL_ISQ_E10value_typeET4_jRbjT5_SW_jjP12ihipStream_tbEUlT_E1_NS1_11comp_targetILNS1_3genE3ELNS1_11target_archE908ELNS1_3gpuE7ELNS1_3repE0EEENS1_59segmented_radix_sort_warp_sort_small_config_static_selectorELNS0_4arch9wavefront6targetE0EEEvSK_.has_dyn_sized_stack, 0
	.set _ZN7rocprim17ROCPRIM_400000_NS6detail17trampoline_kernelINS0_14default_configENS1_36segmented_radix_sort_config_selectorIslEEZNS1_25segmented_radix_sort_implIS3_Lb0EPKsPsPKlPlN2at6native12_GLOBAL__N_18offset_tEEE10hipError_tPvRmT1_PNSt15iterator_traitsISK_E10value_typeET2_T3_PNSL_ISQ_E10value_typeET4_jRbjT5_SW_jjP12ihipStream_tbEUlT_E1_NS1_11comp_targetILNS1_3genE3ELNS1_11target_archE908ELNS1_3gpuE7ELNS1_3repE0EEENS1_59segmented_radix_sort_warp_sort_small_config_static_selectorELNS0_4arch9wavefront6targetE0EEEvSK_.has_recursion, 0
	.set _ZN7rocprim17ROCPRIM_400000_NS6detail17trampoline_kernelINS0_14default_configENS1_36segmented_radix_sort_config_selectorIslEEZNS1_25segmented_radix_sort_implIS3_Lb0EPKsPsPKlPlN2at6native12_GLOBAL__N_18offset_tEEE10hipError_tPvRmT1_PNSt15iterator_traitsISK_E10value_typeET2_T3_PNSL_ISQ_E10value_typeET4_jRbjT5_SW_jjP12ihipStream_tbEUlT_E1_NS1_11comp_targetILNS1_3genE3ELNS1_11target_archE908ELNS1_3gpuE7ELNS1_3repE0EEENS1_59segmented_radix_sort_warp_sort_small_config_static_selectorELNS0_4arch9wavefront6targetE0EEEvSK_.has_indirect_call, 0
	.section	.AMDGPU.csdata,"",@progbits
; Kernel info:
; codeLenInByte = 0
; TotalNumSgprs: 0
; NumVgprs: 0
; ScratchSize: 0
; MemoryBound: 0
; FloatMode: 240
; IeeeMode: 1
; LDSByteSize: 0 bytes/workgroup (compile time only)
; SGPRBlocks: 0
; VGPRBlocks: 0
; NumSGPRsForWavesPerEU: 1
; NumVGPRsForWavesPerEU: 1
; Occupancy: 16
; WaveLimiterHint : 0
; COMPUTE_PGM_RSRC2:SCRATCH_EN: 0
; COMPUTE_PGM_RSRC2:USER_SGPR: 2
; COMPUTE_PGM_RSRC2:TRAP_HANDLER: 0
; COMPUTE_PGM_RSRC2:TGID_X_EN: 1
; COMPUTE_PGM_RSRC2:TGID_Y_EN: 0
; COMPUTE_PGM_RSRC2:TGID_Z_EN: 0
; COMPUTE_PGM_RSRC2:TIDIG_COMP_CNT: 0
	.section	.text._ZN7rocprim17ROCPRIM_400000_NS6detail17trampoline_kernelINS0_14default_configENS1_36segmented_radix_sort_config_selectorIslEEZNS1_25segmented_radix_sort_implIS3_Lb0EPKsPsPKlPlN2at6native12_GLOBAL__N_18offset_tEEE10hipError_tPvRmT1_PNSt15iterator_traitsISK_E10value_typeET2_T3_PNSL_ISQ_E10value_typeET4_jRbjT5_SW_jjP12ihipStream_tbEUlT_E1_NS1_11comp_targetILNS1_3genE2ELNS1_11target_archE906ELNS1_3gpuE6ELNS1_3repE0EEENS1_59segmented_radix_sort_warp_sort_small_config_static_selectorELNS0_4arch9wavefront6targetE0EEEvSK_,"axG",@progbits,_ZN7rocprim17ROCPRIM_400000_NS6detail17trampoline_kernelINS0_14default_configENS1_36segmented_radix_sort_config_selectorIslEEZNS1_25segmented_radix_sort_implIS3_Lb0EPKsPsPKlPlN2at6native12_GLOBAL__N_18offset_tEEE10hipError_tPvRmT1_PNSt15iterator_traitsISK_E10value_typeET2_T3_PNSL_ISQ_E10value_typeET4_jRbjT5_SW_jjP12ihipStream_tbEUlT_E1_NS1_11comp_targetILNS1_3genE2ELNS1_11target_archE906ELNS1_3gpuE6ELNS1_3repE0EEENS1_59segmented_radix_sort_warp_sort_small_config_static_selectorELNS0_4arch9wavefront6targetE0EEEvSK_,comdat
	.globl	_ZN7rocprim17ROCPRIM_400000_NS6detail17trampoline_kernelINS0_14default_configENS1_36segmented_radix_sort_config_selectorIslEEZNS1_25segmented_radix_sort_implIS3_Lb0EPKsPsPKlPlN2at6native12_GLOBAL__N_18offset_tEEE10hipError_tPvRmT1_PNSt15iterator_traitsISK_E10value_typeET2_T3_PNSL_ISQ_E10value_typeET4_jRbjT5_SW_jjP12ihipStream_tbEUlT_E1_NS1_11comp_targetILNS1_3genE2ELNS1_11target_archE906ELNS1_3gpuE6ELNS1_3repE0EEENS1_59segmented_radix_sort_warp_sort_small_config_static_selectorELNS0_4arch9wavefront6targetE0EEEvSK_ ; -- Begin function _ZN7rocprim17ROCPRIM_400000_NS6detail17trampoline_kernelINS0_14default_configENS1_36segmented_radix_sort_config_selectorIslEEZNS1_25segmented_radix_sort_implIS3_Lb0EPKsPsPKlPlN2at6native12_GLOBAL__N_18offset_tEEE10hipError_tPvRmT1_PNSt15iterator_traitsISK_E10value_typeET2_T3_PNSL_ISQ_E10value_typeET4_jRbjT5_SW_jjP12ihipStream_tbEUlT_E1_NS1_11comp_targetILNS1_3genE2ELNS1_11target_archE906ELNS1_3gpuE6ELNS1_3repE0EEENS1_59segmented_radix_sort_warp_sort_small_config_static_selectorELNS0_4arch9wavefront6targetE0EEEvSK_
	.p2align	8
	.type	_ZN7rocprim17ROCPRIM_400000_NS6detail17trampoline_kernelINS0_14default_configENS1_36segmented_radix_sort_config_selectorIslEEZNS1_25segmented_radix_sort_implIS3_Lb0EPKsPsPKlPlN2at6native12_GLOBAL__N_18offset_tEEE10hipError_tPvRmT1_PNSt15iterator_traitsISK_E10value_typeET2_T3_PNSL_ISQ_E10value_typeET4_jRbjT5_SW_jjP12ihipStream_tbEUlT_E1_NS1_11comp_targetILNS1_3genE2ELNS1_11target_archE906ELNS1_3gpuE6ELNS1_3repE0EEENS1_59segmented_radix_sort_warp_sort_small_config_static_selectorELNS0_4arch9wavefront6targetE0EEEvSK_,@function
_ZN7rocprim17ROCPRIM_400000_NS6detail17trampoline_kernelINS0_14default_configENS1_36segmented_radix_sort_config_selectorIslEEZNS1_25segmented_radix_sort_implIS3_Lb0EPKsPsPKlPlN2at6native12_GLOBAL__N_18offset_tEEE10hipError_tPvRmT1_PNSt15iterator_traitsISK_E10value_typeET2_T3_PNSL_ISQ_E10value_typeET4_jRbjT5_SW_jjP12ihipStream_tbEUlT_E1_NS1_11comp_targetILNS1_3genE2ELNS1_11target_archE906ELNS1_3gpuE6ELNS1_3repE0EEENS1_59segmented_radix_sort_warp_sort_small_config_static_selectorELNS0_4arch9wavefront6targetE0EEEvSK_: ; @_ZN7rocprim17ROCPRIM_400000_NS6detail17trampoline_kernelINS0_14default_configENS1_36segmented_radix_sort_config_selectorIslEEZNS1_25segmented_radix_sort_implIS3_Lb0EPKsPsPKlPlN2at6native12_GLOBAL__N_18offset_tEEE10hipError_tPvRmT1_PNSt15iterator_traitsISK_E10value_typeET2_T3_PNSL_ISQ_E10value_typeET4_jRbjT5_SW_jjP12ihipStream_tbEUlT_E1_NS1_11comp_targetILNS1_3genE2ELNS1_11target_archE906ELNS1_3gpuE6ELNS1_3repE0EEENS1_59segmented_radix_sort_warp_sort_small_config_static_selectorELNS0_4arch9wavefront6targetE0EEEvSK_
; %bb.0:
	.section	.rodata,"a",@progbits
	.p2align	6, 0x0
	.amdhsa_kernel _ZN7rocprim17ROCPRIM_400000_NS6detail17trampoline_kernelINS0_14default_configENS1_36segmented_radix_sort_config_selectorIslEEZNS1_25segmented_radix_sort_implIS3_Lb0EPKsPsPKlPlN2at6native12_GLOBAL__N_18offset_tEEE10hipError_tPvRmT1_PNSt15iterator_traitsISK_E10value_typeET2_T3_PNSL_ISQ_E10value_typeET4_jRbjT5_SW_jjP12ihipStream_tbEUlT_E1_NS1_11comp_targetILNS1_3genE2ELNS1_11target_archE906ELNS1_3gpuE6ELNS1_3repE0EEENS1_59segmented_radix_sort_warp_sort_small_config_static_selectorELNS0_4arch9wavefront6targetE0EEEvSK_
		.amdhsa_group_segment_fixed_size 0
		.amdhsa_private_segment_fixed_size 0
		.amdhsa_kernarg_size 88
		.amdhsa_user_sgpr_count 2
		.amdhsa_user_sgpr_dispatch_ptr 0
		.amdhsa_user_sgpr_queue_ptr 0
		.amdhsa_user_sgpr_kernarg_segment_ptr 1
		.amdhsa_user_sgpr_dispatch_id 0
		.amdhsa_user_sgpr_private_segment_size 0
		.amdhsa_wavefront_size32 1
		.amdhsa_uses_dynamic_stack 0
		.amdhsa_enable_private_segment 0
		.amdhsa_system_sgpr_workgroup_id_x 1
		.amdhsa_system_sgpr_workgroup_id_y 0
		.amdhsa_system_sgpr_workgroup_id_z 0
		.amdhsa_system_sgpr_workgroup_info 0
		.amdhsa_system_vgpr_workitem_id 0
		.amdhsa_next_free_vgpr 1
		.amdhsa_next_free_sgpr 1
		.amdhsa_reserve_vcc 0
		.amdhsa_float_round_mode_32 0
		.amdhsa_float_round_mode_16_64 0
		.amdhsa_float_denorm_mode_32 3
		.amdhsa_float_denorm_mode_16_64 3
		.amdhsa_fp16_overflow 0
		.amdhsa_workgroup_processor_mode 1
		.amdhsa_memory_ordered 1
		.amdhsa_forward_progress 1
		.amdhsa_inst_pref_size 0
		.amdhsa_round_robin_scheduling 0
		.amdhsa_exception_fp_ieee_invalid_op 0
		.amdhsa_exception_fp_denorm_src 0
		.amdhsa_exception_fp_ieee_div_zero 0
		.amdhsa_exception_fp_ieee_overflow 0
		.amdhsa_exception_fp_ieee_underflow 0
		.amdhsa_exception_fp_ieee_inexact 0
		.amdhsa_exception_int_div_zero 0
	.end_amdhsa_kernel
	.section	.text._ZN7rocprim17ROCPRIM_400000_NS6detail17trampoline_kernelINS0_14default_configENS1_36segmented_radix_sort_config_selectorIslEEZNS1_25segmented_radix_sort_implIS3_Lb0EPKsPsPKlPlN2at6native12_GLOBAL__N_18offset_tEEE10hipError_tPvRmT1_PNSt15iterator_traitsISK_E10value_typeET2_T3_PNSL_ISQ_E10value_typeET4_jRbjT5_SW_jjP12ihipStream_tbEUlT_E1_NS1_11comp_targetILNS1_3genE2ELNS1_11target_archE906ELNS1_3gpuE6ELNS1_3repE0EEENS1_59segmented_radix_sort_warp_sort_small_config_static_selectorELNS0_4arch9wavefront6targetE0EEEvSK_,"axG",@progbits,_ZN7rocprim17ROCPRIM_400000_NS6detail17trampoline_kernelINS0_14default_configENS1_36segmented_radix_sort_config_selectorIslEEZNS1_25segmented_radix_sort_implIS3_Lb0EPKsPsPKlPlN2at6native12_GLOBAL__N_18offset_tEEE10hipError_tPvRmT1_PNSt15iterator_traitsISK_E10value_typeET2_T3_PNSL_ISQ_E10value_typeET4_jRbjT5_SW_jjP12ihipStream_tbEUlT_E1_NS1_11comp_targetILNS1_3genE2ELNS1_11target_archE906ELNS1_3gpuE6ELNS1_3repE0EEENS1_59segmented_radix_sort_warp_sort_small_config_static_selectorELNS0_4arch9wavefront6targetE0EEEvSK_,comdat
.Lfunc_end1038:
	.size	_ZN7rocprim17ROCPRIM_400000_NS6detail17trampoline_kernelINS0_14default_configENS1_36segmented_radix_sort_config_selectorIslEEZNS1_25segmented_radix_sort_implIS3_Lb0EPKsPsPKlPlN2at6native12_GLOBAL__N_18offset_tEEE10hipError_tPvRmT1_PNSt15iterator_traitsISK_E10value_typeET2_T3_PNSL_ISQ_E10value_typeET4_jRbjT5_SW_jjP12ihipStream_tbEUlT_E1_NS1_11comp_targetILNS1_3genE2ELNS1_11target_archE906ELNS1_3gpuE6ELNS1_3repE0EEENS1_59segmented_radix_sort_warp_sort_small_config_static_selectorELNS0_4arch9wavefront6targetE0EEEvSK_, .Lfunc_end1038-_ZN7rocprim17ROCPRIM_400000_NS6detail17trampoline_kernelINS0_14default_configENS1_36segmented_radix_sort_config_selectorIslEEZNS1_25segmented_radix_sort_implIS3_Lb0EPKsPsPKlPlN2at6native12_GLOBAL__N_18offset_tEEE10hipError_tPvRmT1_PNSt15iterator_traitsISK_E10value_typeET2_T3_PNSL_ISQ_E10value_typeET4_jRbjT5_SW_jjP12ihipStream_tbEUlT_E1_NS1_11comp_targetILNS1_3genE2ELNS1_11target_archE906ELNS1_3gpuE6ELNS1_3repE0EEENS1_59segmented_radix_sort_warp_sort_small_config_static_selectorELNS0_4arch9wavefront6targetE0EEEvSK_
                                        ; -- End function
	.set _ZN7rocprim17ROCPRIM_400000_NS6detail17trampoline_kernelINS0_14default_configENS1_36segmented_radix_sort_config_selectorIslEEZNS1_25segmented_radix_sort_implIS3_Lb0EPKsPsPKlPlN2at6native12_GLOBAL__N_18offset_tEEE10hipError_tPvRmT1_PNSt15iterator_traitsISK_E10value_typeET2_T3_PNSL_ISQ_E10value_typeET4_jRbjT5_SW_jjP12ihipStream_tbEUlT_E1_NS1_11comp_targetILNS1_3genE2ELNS1_11target_archE906ELNS1_3gpuE6ELNS1_3repE0EEENS1_59segmented_radix_sort_warp_sort_small_config_static_selectorELNS0_4arch9wavefront6targetE0EEEvSK_.num_vgpr, 0
	.set _ZN7rocprim17ROCPRIM_400000_NS6detail17trampoline_kernelINS0_14default_configENS1_36segmented_radix_sort_config_selectorIslEEZNS1_25segmented_radix_sort_implIS3_Lb0EPKsPsPKlPlN2at6native12_GLOBAL__N_18offset_tEEE10hipError_tPvRmT1_PNSt15iterator_traitsISK_E10value_typeET2_T3_PNSL_ISQ_E10value_typeET4_jRbjT5_SW_jjP12ihipStream_tbEUlT_E1_NS1_11comp_targetILNS1_3genE2ELNS1_11target_archE906ELNS1_3gpuE6ELNS1_3repE0EEENS1_59segmented_radix_sort_warp_sort_small_config_static_selectorELNS0_4arch9wavefront6targetE0EEEvSK_.num_agpr, 0
	.set _ZN7rocprim17ROCPRIM_400000_NS6detail17trampoline_kernelINS0_14default_configENS1_36segmented_radix_sort_config_selectorIslEEZNS1_25segmented_radix_sort_implIS3_Lb0EPKsPsPKlPlN2at6native12_GLOBAL__N_18offset_tEEE10hipError_tPvRmT1_PNSt15iterator_traitsISK_E10value_typeET2_T3_PNSL_ISQ_E10value_typeET4_jRbjT5_SW_jjP12ihipStream_tbEUlT_E1_NS1_11comp_targetILNS1_3genE2ELNS1_11target_archE906ELNS1_3gpuE6ELNS1_3repE0EEENS1_59segmented_radix_sort_warp_sort_small_config_static_selectorELNS0_4arch9wavefront6targetE0EEEvSK_.numbered_sgpr, 0
	.set _ZN7rocprim17ROCPRIM_400000_NS6detail17trampoline_kernelINS0_14default_configENS1_36segmented_radix_sort_config_selectorIslEEZNS1_25segmented_radix_sort_implIS3_Lb0EPKsPsPKlPlN2at6native12_GLOBAL__N_18offset_tEEE10hipError_tPvRmT1_PNSt15iterator_traitsISK_E10value_typeET2_T3_PNSL_ISQ_E10value_typeET4_jRbjT5_SW_jjP12ihipStream_tbEUlT_E1_NS1_11comp_targetILNS1_3genE2ELNS1_11target_archE906ELNS1_3gpuE6ELNS1_3repE0EEENS1_59segmented_radix_sort_warp_sort_small_config_static_selectorELNS0_4arch9wavefront6targetE0EEEvSK_.num_named_barrier, 0
	.set _ZN7rocprim17ROCPRIM_400000_NS6detail17trampoline_kernelINS0_14default_configENS1_36segmented_radix_sort_config_selectorIslEEZNS1_25segmented_radix_sort_implIS3_Lb0EPKsPsPKlPlN2at6native12_GLOBAL__N_18offset_tEEE10hipError_tPvRmT1_PNSt15iterator_traitsISK_E10value_typeET2_T3_PNSL_ISQ_E10value_typeET4_jRbjT5_SW_jjP12ihipStream_tbEUlT_E1_NS1_11comp_targetILNS1_3genE2ELNS1_11target_archE906ELNS1_3gpuE6ELNS1_3repE0EEENS1_59segmented_radix_sort_warp_sort_small_config_static_selectorELNS0_4arch9wavefront6targetE0EEEvSK_.private_seg_size, 0
	.set _ZN7rocprim17ROCPRIM_400000_NS6detail17trampoline_kernelINS0_14default_configENS1_36segmented_radix_sort_config_selectorIslEEZNS1_25segmented_radix_sort_implIS3_Lb0EPKsPsPKlPlN2at6native12_GLOBAL__N_18offset_tEEE10hipError_tPvRmT1_PNSt15iterator_traitsISK_E10value_typeET2_T3_PNSL_ISQ_E10value_typeET4_jRbjT5_SW_jjP12ihipStream_tbEUlT_E1_NS1_11comp_targetILNS1_3genE2ELNS1_11target_archE906ELNS1_3gpuE6ELNS1_3repE0EEENS1_59segmented_radix_sort_warp_sort_small_config_static_selectorELNS0_4arch9wavefront6targetE0EEEvSK_.uses_vcc, 0
	.set _ZN7rocprim17ROCPRIM_400000_NS6detail17trampoline_kernelINS0_14default_configENS1_36segmented_radix_sort_config_selectorIslEEZNS1_25segmented_radix_sort_implIS3_Lb0EPKsPsPKlPlN2at6native12_GLOBAL__N_18offset_tEEE10hipError_tPvRmT1_PNSt15iterator_traitsISK_E10value_typeET2_T3_PNSL_ISQ_E10value_typeET4_jRbjT5_SW_jjP12ihipStream_tbEUlT_E1_NS1_11comp_targetILNS1_3genE2ELNS1_11target_archE906ELNS1_3gpuE6ELNS1_3repE0EEENS1_59segmented_radix_sort_warp_sort_small_config_static_selectorELNS0_4arch9wavefront6targetE0EEEvSK_.uses_flat_scratch, 0
	.set _ZN7rocprim17ROCPRIM_400000_NS6detail17trampoline_kernelINS0_14default_configENS1_36segmented_radix_sort_config_selectorIslEEZNS1_25segmented_radix_sort_implIS3_Lb0EPKsPsPKlPlN2at6native12_GLOBAL__N_18offset_tEEE10hipError_tPvRmT1_PNSt15iterator_traitsISK_E10value_typeET2_T3_PNSL_ISQ_E10value_typeET4_jRbjT5_SW_jjP12ihipStream_tbEUlT_E1_NS1_11comp_targetILNS1_3genE2ELNS1_11target_archE906ELNS1_3gpuE6ELNS1_3repE0EEENS1_59segmented_radix_sort_warp_sort_small_config_static_selectorELNS0_4arch9wavefront6targetE0EEEvSK_.has_dyn_sized_stack, 0
	.set _ZN7rocprim17ROCPRIM_400000_NS6detail17trampoline_kernelINS0_14default_configENS1_36segmented_radix_sort_config_selectorIslEEZNS1_25segmented_radix_sort_implIS3_Lb0EPKsPsPKlPlN2at6native12_GLOBAL__N_18offset_tEEE10hipError_tPvRmT1_PNSt15iterator_traitsISK_E10value_typeET2_T3_PNSL_ISQ_E10value_typeET4_jRbjT5_SW_jjP12ihipStream_tbEUlT_E1_NS1_11comp_targetILNS1_3genE2ELNS1_11target_archE906ELNS1_3gpuE6ELNS1_3repE0EEENS1_59segmented_radix_sort_warp_sort_small_config_static_selectorELNS0_4arch9wavefront6targetE0EEEvSK_.has_recursion, 0
	.set _ZN7rocprim17ROCPRIM_400000_NS6detail17trampoline_kernelINS0_14default_configENS1_36segmented_radix_sort_config_selectorIslEEZNS1_25segmented_radix_sort_implIS3_Lb0EPKsPsPKlPlN2at6native12_GLOBAL__N_18offset_tEEE10hipError_tPvRmT1_PNSt15iterator_traitsISK_E10value_typeET2_T3_PNSL_ISQ_E10value_typeET4_jRbjT5_SW_jjP12ihipStream_tbEUlT_E1_NS1_11comp_targetILNS1_3genE2ELNS1_11target_archE906ELNS1_3gpuE6ELNS1_3repE0EEENS1_59segmented_radix_sort_warp_sort_small_config_static_selectorELNS0_4arch9wavefront6targetE0EEEvSK_.has_indirect_call, 0
	.section	.AMDGPU.csdata,"",@progbits
; Kernel info:
; codeLenInByte = 0
; TotalNumSgprs: 0
; NumVgprs: 0
; ScratchSize: 0
; MemoryBound: 0
; FloatMode: 240
; IeeeMode: 1
; LDSByteSize: 0 bytes/workgroup (compile time only)
; SGPRBlocks: 0
; VGPRBlocks: 0
; NumSGPRsForWavesPerEU: 1
; NumVGPRsForWavesPerEU: 1
; Occupancy: 16
; WaveLimiterHint : 0
; COMPUTE_PGM_RSRC2:SCRATCH_EN: 0
; COMPUTE_PGM_RSRC2:USER_SGPR: 2
; COMPUTE_PGM_RSRC2:TRAP_HANDLER: 0
; COMPUTE_PGM_RSRC2:TGID_X_EN: 1
; COMPUTE_PGM_RSRC2:TGID_Y_EN: 0
; COMPUTE_PGM_RSRC2:TGID_Z_EN: 0
; COMPUTE_PGM_RSRC2:TIDIG_COMP_CNT: 0
	.text
	.p2align	2                               ; -- Begin function _ZN7rocprim17ROCPRIM_400000_NS6detail26segmented_warp_sort_helperINS1_20WarpSortHelperConfigILj8ELj4ELj256EEEslLi256ELb0EvE4sortIPKsPsPKlPlEEvT_T0_T1_T2_jjjjRNS5_12storage_typeE
	.type	_ZN7rocprim17ROCPRIM_400000_NS6detail26segmented_warp_sort_helperINS1_20WarpSortHelperConfigILj8ELj4ELj256EEEslLi256ELb0EvE4sortIPKsPsPKlPlEEvT_T0_T1_T2_jjjjRNS5_12storage_typeE,@function
_ZN7rocprim17ROCPRIM_400000_NS6detail26segmented_warp_sort_helperINS1_20WarpSortHelperConfigILj8ELj4ELj256EEEslLi256ELb0EvE4sortIPKsPsPKlPlEEvT_T0_T1_T2_jjjjRNS5_12storage_typeE: ; @_ZN7rocprim17ROCPRIM_400000_NS6detail26segmented_warp_sort_helperINS1_20WarpSortHelperConfigILj8ELj4ELj256EEEslLi256ELb0EvE4sortIPKsPsPKlPlEEvT_T0_T1_T2_jjjjRNS5_12storage_typeE
; %bb.0:
	s_wait_loadcnt_dscnt 0x0
	s_wait_expcnt 0x0
	s_wait_samplecnt 0x0
	s_wait_bvhcnt 0x0
	s_wait_kmcnt 0x0
	v_mov_b32_e32 v14, v9
	v_mbcnt_lo_u32_b32 v9, -1, 0
	v_mov_b32_e32 v49, 0x7fff
	v_mov_b32_e32 v39, 0x7fff
	s_delay_alu instid0(VALU_DEP_3) | instskip(SKIP_2) | instid1(VALU_DEP_3)
	v_lshlrev_b32_e32 v37, 2, v9
	v_mov_b32_e32 v9, 0
	v_sub_nc_u32_e32 v14, v14, v8
	v_and_b32_e32 v38, 28, v37
	s_delay_alu instid0(VALU_DEP_3) | instskip(NEXT) | instid1(VALU_DEP_2)
	v_lshlrev_b64_e32 v[32:33], 1, v[8:9]
	v_lshlrev_b32_e32 v30, 1, v38
	s_delay_alu instid0(VALU_DEP_2) | instskip(SKIP_1) | instid1(VALU_DEP_3)
	v_add_co_u32 v0, vcc_lo, v0, v32
	s_wait_alu 0xfffd
	v_add_co_ci_u32_e64 v1, null, v1, v33, vcc_lo
	s_delay_alu instid0(VALU_DEP_2) | instskip(SKIP_1) | instid1(VALU_DEP_2)
	v_add_co_u32 v0, vcc_lo, v0, v30
	s_wait_alu 0xfffd
	v_add_co_ci_u32_e64 v1, null, 0, v1, vcc_lo
	v_cmp_lt_u32_e32 vcc_lo, v38, v14
	s_and_saveexec_b32 s0, vcc_lo
	s_cbranch_execz .LBB1039_2
; %bb.1:
	flat_load_u16 v49, v[0:1]
.LBB1039_2:
	s_wait_alu 0xfffe
	s_or_b32 exec_lo, exec_lo, s0
	v_or_b32_e32 v15, 1, v38
	s_delay_alu instid0(VALU_DEP_1)
	v_cmp_lt_u32_e64 s0, v15, v14
	s_and_saveexec_b32 s1, s0
	s_cbranch_execz .LBB1039_4
; %bb.3:
	flat_load_u16 v39, v[0:1] offset:2
.LBB1039_4:
	s_wait_alu 0xfffe
	s_or_b32 exec_lo, exec_lo, s1
	v_or_b32_e32 v15, 2, v38
	v_mov_b32_e32 v48, 0x7fff
	v_mov_b32_e32 v24, 0x7fff
	s_delay_alu instid0(VALU_DEP_3)
	v_cmp_lt_u32_e64 s1, v15, v14
	s_and_saveexec_b32 s2, s1
	s_cbranch_execz .LBB1039_6
; %bb.5:
	flat_load_u16 v24, v[0:1] offset:4
.LBB1039_6:
	s_wait_alu 0xfffe
	s_or_b32 exec_lo, exec_lo, s2
	v_or_b32_e32 v15, 3, v38
	s_delay_alu instid0(VALU_DEP_1)
	v_cmp_lt_u32_e64 s2, v15, v14
	s_and_saveexec_b32 s3, s2
	s_cbranch_execz .LBB1039_8
; %bb.7:
	flat_load_u16 v48, v[0:1] offset:6
.LBB1039_8:
	s_wait_alu 0xfffe
	s_or_b32 exec_lo, exec_lo, s3
	v_lshlrev_b64_e32 v[0:1], 3, v[8:9]
	v_lshlrev_b32_e32 v36, 3, v38
	v_mov_b32_e32 v8, 0
	v_mov_b32_e32 v9, 0
	; wave barrier
	s_delay_alu instid0(VALU_DEP_4) | instskip(SKIP_3) | instid1(VALU_DEP_3)
	v_add_co_u32 v14, s3, v4, v0
	s_wait_alu 0xf1ff
	v_add_co_ci_u32_e64 v15, null, v5, v1, s3
	v_mov_b32_e32 v4, 0
	v_add_co_u32 v16, s3, v14, v36
	v_mov_b32_e32 v5, 0
	s_wait_alu 0xf1ff
	v_add_co_ci_u32_e64 v17, null, 0, v15, s3
	s_and_saveexec_b32 s3, vcc_lo
	s_cbranch_execz .LBB1039_10
; %bb.9:
	flat_load_b64 v[4:5], v[16:17]
.LBB1039_10:
	s_wait_alu 0xfffe
	s_or_b32 exec_lo, exec_lo, s3
	s_mov_b32 s3, 0
	s_wait_alu 0xfffe
	v_dual_mov_b32 v18, s3 :: v_dual_mov_b32 v19, s3
	v_dual_mov_b32 v22, s3 :: v_dual_mov_b32 v23, s3
	;; [unrolled: 1-line block ×3, first 2 shown]
	s_and_saveexec_b32 s4, s0
	s_cbranch_execz .LBB1039_12
; %bb.11:
	flat_load_b64 v[18:19], v[16:17] offset:8
	v_dual_mov_b32 v22, s3 :: v_dual_mov_b32 v23, s3
	v_dual_mov_b32 v34, s3 :: v_dual_mov_b32 v35, s3
	s_wait_loadcnt_dscnt 0x0
	v_dual_mov_b32 v8, v18 :: v_dual_mov_b32 v9, v19
.LBB1039_12:
	s_wait_alu 0xfffe
	s_or_b32 exec_lo, exec_lo, s4
	v_mov_b32_e32 v20, 0
	v_dual_mov_b32 v21, 0 :: v_dual_mov_b32 v14, 0
	v_mov_b32_e32 v15, 0
	s_and_saveexec_b32 s3, s1
	s_cbranch_execz .LBB1039_14
; %bb.13:
	flat_load_b64 v[22:23], v[16:17] offset:16
	s_mov_b32 s4, 0
	s_wait_alu 0xfffe
	v_dual_mov_b32 v34, s4 :: v_dual_mov_b32 v35, s4
	s_wait_loadcnt_dscnt 0x0
	v_dual_mov_b32 v14, v22 :: v_dual_mov_b32 v15, v23
.LBB1039_14:
	s_wait_alu 0xfffe
	s_or_b32 exec_lo, exec_lo, s3
	s_and_saveexec_b32 s3, s2
	s_cbranch_execz .LBB1039_16
; %bb.15:
	flat_load_b64 v[34:35], v[16:17] offset:24
	s_wait_loadcnt_dscnt 0x0
	v_dual_mov_b32 v20, v34 :: v_dual_mov_b32 v21, v35
.LBB1039_16:
	s_wait_alu 0xfffe
	s_or_b32 exec_lo, exec_lo, s3
	v_cmp_ne_u32_e64 s3, 0, v10
	v_cmp_ne_u32_e64 s4, 16, v11
	v_bfe_u32 v17, v31, 10, 10
	v_bfe_u32 v25, v31, 20, 10
	v_and_b32_e32 v16, 0x3ff, v31
	s_mov_b32 s5, 0
	s_or_b32 s3, s3, s4
	; wave barrier
	s_wait_alu 0xfffe
	s_and_saveexec_b32 s4, s3
	s_wait_alu 0xfffe
	s_xor_b32 s11, exec_lo, s4
	s_cbranch_execz .LBB1039_60
; %bb.17:
	s_load_b64 s[6:7], s[8:9], 0x0
	s_and_b32 s3, ttmp7, 0xffff
	v_lshlrev_b32_e64 v11, v11, -1
	s_wait_kmcnt 0x0
	s_wait_alu 0xfffe
	s_cmp_lt_u32 s3, s7
	s_cselect_b32 s4, 14, 20
	s_cmp_lt_u32 ttmp9, s6
	s_wait_alu 0xfffe
	s_add_nc_u64 s[12:13], s[8:9], s[4:5]
	s_cselect_b32 s4, 12, 18
	s_load_u16 s3, s[12:13], 0x0
	s_add_nc_u64 s[4:5], s[8:9], s[4:5]
	s_load_u16 s4, s[4:5], 0x0
	s_mov_b32 s5, exec_lo
	s_wait_kmcnt 0x0
	v_mad_u32_u24 v17, v25, s3, v17
	v_lshlrev_b32_e64 v25, v10, -1
	s_delay_alu instid0(VALU_DEP_2) | instskip(NEXT) | instid1(VALU_DEP_2)
	v_mul_lo_u32 v17, v17, s4
	v_xor_b32_e32 v31, v11, v25
	s_delay_alu instid0(VALU_DEP_2) | instskip(NEXT) | instid1(VALU_DEP_1)
	v_add_lshl_u32 v10, v17, v16, 2
	v_cmpx_gt_u32_e32 0x400, v10
	s_cbranch_execz .LBB1039_29
; %bb.18:
	s_wait_loadcnt_dscnt 0x0
	v_and_b32_e32 v11, v39, v31
	v_and_b32_e32 v14, v49, v31
	;; [unrolled: 1-line block ×4, first 2 shown]
	s_mov_b32 s6, exec_lo
	s_delay_alu instid0(VALU_DEP_3) | instskip(SKIP_2) | instid1(VALU_DEP_2)
	v_cmp_gt_i16_e64 s3, v14, v11
	v_mov_b32_e32 v11, v24
	s_wait_alu 0xf1ff
	v_cndmask_b32_e64 v17, v19, v5, s3
	v_cndmask_b32_e64 v16, v18, v4, s3
	;; [unrolled: 1-line block ×4, first 2 shown]
	v_dual_mov_b32 v18, v22 :: v_dual_mov_b32 v19, v23
	v_cmpx_gt_i16_e64 v8, v9
; %bb.19:
	v_mov_b32_e32 v18, v34
	v_dual_mov_b32 v8, v9 :: v_dual_mov_b32 v19, v35
	v_mov_b32_e32 v35, v23
	v_dual_mov_b32 v11, v48 :: v_dual_mov_b32 v48, v24
	v_mov_b32_e32 v34, v22
; %bb.20:
	s_wait_alu 0xfffe
	s_or_b32 exec_lo, exec_lo, s6
	v_cndmask_b32_e64 v5, v39, v49, s3
	s_delay_alu instid0(VALU_DEP_2) | instskip(SKIP_1) | instid1(VALU_DEP_3)
	v_mov_b32_e32 v20, v34
	v_dual_mov_b32 v29, v21 :: v_dual_mov_b32 v24, v16
	v_dual_mov_b32 v23, v15 :: v_dual_and_b32 v4, v5, v31
	v_dual_mov_b32 v27, v19 :: v_dual_mov_b32 v22, v14
	s_delay_alu instid0(VALU_DEP_4) | instskip(SKIP_1) | instid1(VALU_DEP_4)
	v_mov_b32_e32 v28, v20
	v_dual_mov_b32 v26, v18 :: v_dual_mov_b32 v25, v17
	v_cmp_le_i16_e64 s4, v4, v8
                                        ; implicit-def: $vgpr50
	s_and_saveexec_b32 s6, s4
	s_wait_alu 0xfffe
	s_xor_b32 s4, exec_lo, s6
; %bb.21:
	v_and_b32_e32 v50, v11, v31
                                        ; implicit-def: $vgpr22_vgpr23_vgpr24_vgpr25_vgpr26_vgpr27_vgpr28_vgpr29
                                        ; implicit-def: $vgpr8
; %bb.22:
	s_wait_alu 0xfffe
	s_or_saveexec_b32 s4, s4
	v_mov_b32_e32 v21, v35
	v_mov_b32_e32 v25, v5
	s_wait_alu 0xfffe
	s_xor_b32 exec_lo, exec_lo, s4
	s_cbranch_execz .LBB1039_24
; %bb.23:
	v_dual_mov_b32 v24, v18 :: v_dual_mov_b32 v25, v19
	v_dual_mov_b32 v26, v16 :: v_dual_mov_b32 v27, v17
	;; [unrolled: 1-line block ×4, first 2 shown]
	s_delay_alu instid0(VALU_DEP_4) | instskip(NEXT) | instid1(VALU_DEP_4)
	v_dual_mov_b32 v16, v24 :: v_dual_mov_b32 v17, v25
	v_dual_mov_b32 v18, v26 :: v_dual_mov_b32 v19, v27
	s_delay_alu instid0(VALU_DEP_4)
	v_dual_mov_b32 v20, v28 :: v_dual_mov_b32 v21, v29
	v_dual_mov_b32 v50, v4 :: v_dual_mov_b32 v25, v11
	;; [unrolled: 1-line block ×3, first 2 shown]
.LBB1039_24:
	s_or_b32 exec_lo, exec_lo, s4
	v_cndmask_b32_e64 v22, v49, v39, s3
	v_and_b32_e32 v23, v48, v31
	s_mov_b32 s6, exec_lo
	s_delay_alu instid0(VALU_DEP_2) | instskip(NEXT) | instid1(VALU_DEP_1)
	v_and_b32_e32 v5, v22, v31
	v_cmp_gt_i16_e64 s3, v5, v4
	s_wait_alu 0xf1ff
	s_delay_alu instid0(VALU_DEP_1)
	v_cndmask_b32_e64 v9, v17, v15, s3
	v_cndmask_b32_e64 v8, v16, v14, s3
	;; [unrolled: 1-line block ×4, first 2 shown]
	v_mov_b32_e32 v16, v11
	v_cmpx_gt_i16_e64 v50, v23
; %bb.25:
	v_dual_mov_b32 v14, v18 :: v_dual_mov_b32 v15, v19
	v_mov_b32_e32 v18, v20
	v_dual_mov_b32 v16, v48 :: v_dual_mov_b32 v19, v21
	s_delay_alu instid0(VALU_DEP_3)
	v_dual_mov_b32 v48, v11 :: v_dual_mov_b32 v21, v15
	v_mov_b32_e32 v50, v23
	v_mov_b32_e32 v20, v14
; %bb.26:
	s_wait_alu 0xfffe
	s_or_b32 exec_lo, exec_lo, s6
	v_cndmask_b32_e64 v39, v25, v22, s3
	s_mov_b32 s6, exec_lo
	v_dual_mov_b32 v14, v18 :: v_dual_mov_b32 v15, v19
	s_delay_alu instid0(VALU_DEP_2) | instskip(NEXT) | instid1(VALU_DEP_1)
	v_dual_mov_b32 v24, v16 :: v_dual_and_b32 v11, v39, v31
	v_cmpx_gt_i16_e64 v11, v50
; %bb.27:
	v_dual_mov_b32 v15, v9 :: v_dual_mov_b32 v14, v8
	v_dual_mov_b32 v8, v18 :: v_dual_mov_b32 v9, v19
	;; [unrolled: 1-line block ×3, first 2 shown]
; %bb.28:
	s_wait_alu 0xfffe
	s_or_b32 exec_lo, exec_lo, s6
	v_cndmask_b32_e64 v49, v22, v25, s3
.LBB1039_29:
	s_wait_alu 0xfffe
	s_or_b32 exec_lo, exec_lo, s5
	v_dual_mov_b32 v11, 0 :: v_dual_and_b32 v10, 0xffffff80, v10
	v_or_b32_e32 v19, 4, v37
	v_and_b32_e32 v28, 0x78, v37
	s_mov_b32 s4, exec_lo
	s_delay_alu instid0(VALU_DEP_3) | instskip(SKIP_1) | instid1(VALU_DEP_2)
	v_sub_nc_u32_e64 v16, 0x400, v10 clamp
	v_lshlrev_b64_e32 v[17:18], 1, v[10:11]
	v_min_u32_e32 v26, v16, v19
	s_delay_alu instid0(VALU_DEP_2) | instskip(SKIP_1) | instid1(VALU_DEP_3)
	v_add_co_u32 v12, s3, v12, v17
	s_wait_alu 0xf1ff
	v_add_co_ci_u32_e64 v13, null, v13, v18, s3
	s_delay_alu instid0(VALU_DEP_3) | instskip(NEXT) | instid1(VALU_DEP_2)
	v_add_nc_u32_e32 v17, 4, v26
	v_mad_co_u64_u32 v[10:11], null, v10, 6, v[12:13]
	v_and_b32_e32 v11, 4, v37
	s_delay_alu instid0(VALU_DEP_3) | instskip(NEXT) | instid1(VALU_DEP_2)
	v_min_u32_e32 v27, v16, v17
	v_min_u32_e32 v29, v16, v11
	v_sub_nc_u32_e32 v11, v26, v28
	v_lshl_add_u32 v17, v37, 3, v10
	s_delay_alu instid0(VALU_DEP_4) | instskip(NEXT) | instid1(VALU_DEP_3)
	v_sub_nc_u32_e32 v18, v27, v26
	v_min_u32_e32 v13, v29, v11
	s_delay_alu instid0(VALU_DEP_3) | instskip(NEXT) | instid1(VALU_DEP_3)
	v_add_nc_u32_e32 v19, 0x800, v17
	v_sub_nc_u32_e64 v34, v29, v18 clamp
	v_lshl_add_u32 v11, v37, 1, v12
	s_wait_loadcnt_dscnt 0x0
	ds_store_2addr_b64 v19, v[4:5], v[8:9] offset1:1
	ds_store_b16 v11, v49
	ds_store_b16 v11, v39 offset:2
	ds_store_b16 v11, v24 offset:4
	;; [unrolled: 1-line block ×3, first 2 shown]
	ds_store_2addr_b64 v19, v[14:15], v[20:21] offset0:2 offset1:3
	; wave barrier
	v_cmpx_lt_u32_e64 v34, v13
	s_cbranch_execz .LBB1039_33
; %bb.30:
	v_lshlrev_b32_e32 v18, 1, v28
	v_lshlrev_b32_e32 v19, 1, v26
	s_mov_b32 s5, 0
	s_delay_alu instid0(VALU_DEP_2) | instskip(NEXT) | instid1(VALU_DEP_2)
	v_add_co_u32 v18, null, v12, v18
	v_add_co_u32 v19, null, v12, v19
.LBB1039_31:                            ; =>This Inner Loop Header: Depth=1
	v_add_nc_u32_e32 v22, v13, v34
	s_delay_alu instid0(VALU_DEP_1) | instskip(SKIP_1) | instid1(VALU_DEP_2)
	v_lshrrev_b32_e32 v23, 1, v22
	v_and_b32_e32 v22, -2, v22
	v_xad_u32 v25, v23, -1, v29
	s_delay_alu instid0(VALU_DEP_2) | instskip(SKIP_1) | instid1(VALU_DEP_3)
	v_add_nc_u32_e32 v22, v18, v22
	v_add_nc_u32_e32 v35, 1, v23
	v_lshl_add_u32 v25, v25, 1, v19
	ds_load_u16 v22, v22
	ds_load_u16 v25, v25
	s_wait_dscnt 0x1
	v_and_b32_e32 v22, v22, v31
	s_wait_dscnt 0x0
	v_and_b32_e32 v25, v25, v31
	s_delay_alu instid0(VALU_DEP_1) | instskip(SKIP_1) | instid1(VALU_DEP_1)
	v_cmp_gt_i16_e64 s3, v22, v25
	s_wait_alu 0xf1ff
	v_cndmask_b32_e64 v13, v13, v23, s3
	v_cndmask_b32_e64 v34, v35, v34, s3
	s_delay_alu instid0(VALU_DEP_1)
	v_cmp_ge_u32_e64 s3, v34, v13
	s_wait_alu 0xfffe
	s_or_b32 s5, s3, s5
	s_wait_alu 0xfffe
	s_and_not1_b32 exec_lo, exec_lo, s5
	s_cbranch_execnz .LBB1039_31
; %bb.32:
	s_or_b32 exec_lo, exec_lo, s5
.LBB1039_33:
	s_wait_alu 0xfffe
	s_or_b32 exec_lo, exec_lo, s4
	v_add_nc_u32_e32 v29, v26, v29
	v_add_nc_u32_e32 v35, v34, v28
	;; [unrolled: 1-line block ×5, first 2 shown]
	v_sub_nc_u32_e32 v29, v29, v34
	v_cmp_le_u32_e64 s3, v35, v26
	v_add_nc_u32_e32 v22, 4, v11
	v_add_nc_u32_e32 v23, 0x810, v17
	;; [unrolled: 1-line block ×3, first 2 shown]
	v_cmp_le_u32_e64 s4, v29, v27
	v_add_nc_u32_e32 v17, 0x818, v17
	s_or_b32 s3, s3, s4
	s_wait_alu 0xfffe
	s_and_saveexec_b32 s12, s3
	s_cbranch_execz .LBB1039_39
; %bb.34:
	v_cmp_lt_u32_e64 s3, v35, v26
                                        ; implicit-def: $vgpr24
	s_and_saveexec_b32 s4, s3
; %bb.35:
	v_lshl_add_u32 v4, v35, 1, v12
	ds_load_u16 v24, v4
; %bb.36:
	s_wait_alu 0xfffe
	s_or_b32 exec_lo, exec_lo, s4
	v_cmp_ge_u32_e64 s4, v29, v27
	s_mov_b32 s6, exec_lo
                                        ; implicit-def: $vgpr28
	v_cmpx_lt_u32_e64 v29, v27
; %bb.37:
	v_lshl_add_u32 v4, v29, 1, v12
	ds_load_u16 v28, v4
; %bb.38:
	s_wait_alu 0xfffe
	s_or_b32 exec_lo, exec_lo, s6
	s_wait_dscnt 0x0
	v_and_b32_e32 v4, v28, v31
	v_and_b32_e32 v5, v24, v31
	s_delay_alu instid0(VALU_DEP_1)
	v_cmp_le_i16_e64 s5, v5, v4
	s_and_b32 s3, s3, s5
	s_wait_alu 0xfffe
	s_or_b32 s3, s4, s3
	s_wait_alu 0xfffe
	v_cndmask_b32_e64 v4, v29, v35, s3
	v_cndmask_b32_e64 v5, v27, v26, s3
	;; [unrolled: 1-line block ×3, first 2 shown]
	s_delay_alu instid0(VALU_DEP_3) | instskip(NEXT) | instid1(VALU_DEP_3)
	v_add_nc_u32_e32 v8, 1, v4
	v_add_nc_u32_e32 v5, -1, v5
	v_lshl_add_u32 v4, v4, 3, v10
	s_delay_alu instid0(VALU_DEP_2) | instskip(NEXT) | instid1(VALU_DEP_1)
	v_min_u32_e32 v5, v8, v5
	v_lshl_add_u32 v5, v5, 1, v12
	ds_load_u16 v5, v5
	s_wait_dscnt 0x0
	v_cndmask_b32_e64 v34, v5, v28, s3
	v_cndmask_b32_e64 v39, v24, v5, s3
	;; [unrolled: 1-line block ×4, first 2 shown]
	s_delay_alu instid0(VALU_DEP_4) | instskip(NEXT) | instid1(VALU_DEP_4)
	v_and_b32_e32 v9, v34, v31
	v_and_b32_e32 v14, v39, v31
	s_delay_alu instid0(VALU_DEP_4) | instskip(NEXT) | instid1(VALU_DEP_4)
	v_cmp_lt_u32_e64 s4, v5, v26
	v_cmp_ge_u32_e64 s6, v8, v27
	s_delay_alu instid0(VALU_DEP_3)
	v_cmp_le_i16_e64 s5, v14, v9
	s_and_b32 s4, s4, s5
	s_wait_alu 0xfffe
	s_or_b32 s4, s6, s4
	s_wait_alu 0xfffe
	v_cndmask_b32_e64 v9, v8, v5, s4
	v_cndmask_b32_e64 v14, v27, v26, s4
	s_delay_alu instid0(VALU_DEP_2) | instskip(NEXT) | instid1(VALU_DEP_2)
	v_add_nc_u32_e32 v15, 1, v9
	v_add_nc_u32_e32 v14, -1, v14
	s_delay_alu instid0(VALU_DEP_2) | instskip(NEXT) | instid1(VALU_DEP_2)
	v_cndmask_b32_e64 v5, v5, v15, s4
	v_min_u32_e32 v14, v15, v14
	v_cndmask_b32_e64 v8, v15, v8, s4
	s_delay_alu instid0(VALU_DEP_3) | instskip(NEXT) | instid1(VALU_DEP_3)
	v_cmp_lt_u32_e64 s5, v5, v26
	v_lshl_add_u32 v14, v14, 1, v12
	s_delay_alu instid0(VALU_DEP_3)
	v_cmp_ge_u32_e64 s7, v8, v27
	ds_load_u16 v14, v14
	s_wait_dscnt 0x0
	v_cndmask_b32_e64 v29, v14, v34, s4
	v_cndmask_b32_e64 v35, v39, v14, s4
	;; [unrolled: 1-line block ×3, first 2 shown]
	s_delay_alu instid0(VALU_DEP_3) | instskip(NEXT) | instid1(VALU_DEP_3)
	v_and_b32_e32 v14, v29, v31
	v_and_b32_e32 v20, v35, v31
	s_delay_alu instid0(VALU_DEP_1)
	v_cmp_le_i16_e64 s6, v20, v14
	s_and_b32 s5, s5, s6
	s_wait_alu 0xfffe
	s_or_b32 s5, s7, s5
	s_wait_alu 0xfffe
	v_cndmask_b32_e64 v14, v8, v5, s5
	v_cndmask_b32_e64 v15, v27, v26, s5
	;; [unrolled: 1-line block ×3, first 2 shown]
	s_delay_alu instid0(VALU_DEP_3) | instskip(NEXT) | instid1(VALU_DEP_3)
	v_add_nc_u32_e32 v20, 1, v14
	v_add_nc_u32_e32 v15, -1, v15
	v_lshl_add_u32 v14, v14, 3, v10
	s_delay_alu instid0(VALU_DEP_3) | instskip(NEXT) | instid1(VALU_DEP_3)
	v_cndmask_b32_e64 v5, v5, v20, s5
	v_min_u32_e32 v15, v20, v15
	v_cndmask_b32_e64 v8, v20, v8, s5
	s_delay_alu instid0(VALU_DEP_3) | instskip(NEXT) | instid1(VALU_DEP_3)
	v_cmp_lt_u32_e64 s6, v5, v26
	v_lshl_add_u32 v15, v15, 1, v12
	s_delay_alu instid0(VALU_DEP_3) | instskip(SKIP_4) | instid1(VALU_DEP_2)
	v_cmp_ge_u32_e64 s10, v8, v27
	ds_load_u16 v15, v15
	s_wait_dscnt 0x0
	v_cndmask_b32_e64 v48, v15, v29, s5
	v_cndmask_b32_e64 v50, v35, v15, s5
	v_and_b32_e32 v15, v48, v31
	s_delay_alu instid0(VALU_DEP_2) | instskip(NEXT) | instid1(VALU_DEP_1)
	v_and_b32_e32 v21, v50, v31
	v_cmp_le_i16_e64 s7, v21, v15
	s_and_b32 s6, s6, s7
	s_wait_alu 0xfffe
	s_or_b32 s6, s10, s6
	s_wait_alu 0xfffe
	v_cndmask_b32_e64 v5, v8, v5, s6
	v_lshl_add_u32 v8, v9, 3, v10
	v_cndmask_b32_e64 v48, v48, v50, s6
	s_delay_alu instid0(VALU_DEP_3)
	v_lshl_add_u32 v20, v5, 3, v10
	ds_load_b64 v[4:5], v4 offset:2048
	ds_load_b64 v[8:9], v8 offset:2048
	ds_load_b64 v[14:15], v14 offset:2048
	ds_load_b64 v[20:21], v20 offset:2048
.LBB1039_39:
	s_wait_alu 0xfffe
	s_or_b32 exec_lo, exec_lo, s12
	v_and_b32_e32 v28, 0x70, v37
	v_and_b32_e32 v29, 12, v37
	s_mov_b32 s4, exec_lo
	; wave barrier
	s_delay_alu instid0(VALU_DEP_2) | instskip(NEXT) | instid1(VALU_DEP_2)
	v_or_b32_e32 v26, 8, v28
	v_min_u32_e32 v29, v16, v29
	ds_store_b16 v11, v49
	s_wait_dscnt 0x4
	ds_store_b64 v25, v[4:5]
	ds_store_b16 v18, v39
	s_wait_dscnt 0x5
	ds_store_b64 v19, v[8:9]
	;; [unrolled: 3-line block ×4, first 2 shown]
	v_min_u32_e32 v26, v16, v26
	; wave barrier
	s_delay_alu instid0(VALU_DEP_1) | instskip(SKIP_1) | instid1(VALU_DEP_2)
	v_add_nc_u32_e32 v27, 8, v26
	v_sub_nc_u32_e32 v35, v26, v28
	v_min_u32_e32 v27, v16, v27
	s_delay_alu instid0(VALU_DEP_2) | instskip(NEXT) | instid1(VALU_DEP_2)
	v_min_u32_e32 v35, v29, v35
	v_sub_nc_u32_e32 v34, v27, v26
	s_delay_alu instid0(VALU_DEP_1) | instskip(NEXT) | instid1(VALU_DEP_1)
	v_sub_nc_u32_e64 v34, v29, v34 clamp
	v_cmpx_lt_u32_e64 v34, v35
	s_cbranch_execz .LBB1039_43
; %bb.40:
	v_lshlrev_b32_e32 v50, 1, v28
	v_lshlrev_b32_e32 v51, 1, v26
	s_mov_b32 s5, 0
	s_delay_alu instid0(VALU_DEP_2) | instskip(NEXT) | instid1(VALU_DEP_2)
	v_add_co_u32 v50, null, v12, v50
	v_add_co_u32 v51, null, v12, v51
.LBB1039_41:                            ; =>This Inner Loop Header: Depth=1
	v_add_nc_u32_e32 v52, v35, v34
	s_delay_alu instid0(VALU_DEP_1) | instskip(SKIP_1) | instid1(VALU_DEP_2)
	v_lshrrev_b32_e32 v53, 1, v52
	v_and_b32_e32 v52, -2, v52
	v_xad_u32 v54, v53, -1, v29
	s_delay_alu instid0(VALU_DEP_2) | instskip(SKIP_1) | instid1(VALU_DEP_3)
	v_add_nc_u32_e32 v52, v50, v52
	v_add_nc_u32_e32 v55, 1, v53
	v_lshl_add_u32 v54, v54, 1, v51
	ds_load_u16 v52, v52
	ds_load_u16 v54, v54
	s_wait_dscnt 0x1
	v_and_b32_e32 v52, v52, v31
	s_wait_dscnt 0x0
	v_and_b32_e32 v54, v54, v31
	s_delay_alu instid0(VALU_DEP_1) | instskip(SKIP_1) | instid1(VALU_DEP_1)
	v_cmp_gt_i16_e64 s3, v52, v54
	s_wait_alu 0xf1ff
	v_cndmask_b32_e64 v35, v35, v53, s3
	v_cndmask_b32_e64 v34, v55, v34, s3
	s_delay_alu instid0(VALU_DEP_1)
	v_cmp_ge_u32_e64 s3, v34, v35
	s_wait_alu 0xfffe
	s_or_b32 s5, s3, s5
	s_wait_alu 0xfffe
	s_and_not1_b32 exec_lo, exec_lo, s5
	s_cbranch_execnz .LBB1039_41
; %bb.42:
	s_or_b32 exec_lo, exec_lo, s5
.LBB1039_43:
	s_wait_alu 0xfffe
	s_or_b32 exec_lo, exec_lo, s4
	v_add_nc_u32_e32 v29, v26, v29
	v_add_nc_u32_e32 v35, v34, v28
	s_delay_alu instid0(VALU_DEP_2) | instskip(NEXT) | instid1(VALU_DEP_2)
	v_sub_nc_u32_e32 v29, v29, v34
	v_cmp_le_u32_e64 s3, v35, v26
	s_delay_alu instid0(VALU_DEP_2)
	v_cmp_le_u32_e64 s4, v29, v27
	s_or_b32 s3, s3, s4
	s_wait_alu 0xfffe
	s_and_saveexec_b32 s12, s3
	s_cbranch_execz .LBB1039_49
; %bb.44:
	v_cmp_lt_u32_e64 s3, v35, v26
                                        ; implicit-def: $vgpr24
	s_and_saveexec_b32 s4, s3
; %bb.45:
	v_lshl_add_u32 v4, v35, 1, v12
	ds_load_u16 v24, v4
; %bb.46:
	s_wait_alu 0xfffe
	s_or_b32 exec_lo, exec_lo, s4
	v_cmp_ge_u32_e64 s4, v29, v27
	s_mov_b32 s6, exec_lo
                                        ; implicit-def: $vgpr28
	v_cmpx_lt_u32_e64 v29, v27
; %bb.47:
	v_lshl_add_u32 v4, v29, 1, v12
	ds_load_u16 v28, v4
; %bb.48:
	s_wait_alu 0xfffe
	s_or_b32 exec_lo, exec_lo, s6
	s_wait_dscnt 0x0
	v_and_b32_e32 v4, v28, v31
	v_and_b32_e32 v5, v24, v31
	s_delay_alu instid0(VALU_DEP_1)
	v_cmp_le_i16_e64 s5, v5, v4
	s_and_b32 s3, s3, s5
	s_wait_alu 0xfffe
	s_or_b32 s3, s4, s3
	s_wait_alu 0xfffe
	v_cndmask_b32_e64 v4, v29, v35, s3
	v_cndmask_b32_e64 v5, v27, v26, s3
	v_cndmask_b32_e64 v49, v28, v24, s3
	s_delay_alu instid0(VALU_DEP_3) | instskip(NEXT) | instid1(VALU_DEP_3)
	v_add_nc_u32_e32 v8, 1, v4
	v_add_nc_u32_e32 v5, -1, v5
	v_lshl_add_u32 v4, v4, 3, v10
	s_delay_alu instid0(VALU_DEP_2) | instskip(NEXT) | instid1(VALU_DEP_1)
	v_min_u32_e32 v5, v8, v5
	v_lshl_add_u32 v5, v5, 1, v12
	ds_load_u16 v5, v5
	s_wait_dscnt 0x0
	v_cndmask_b32_e64 v34, v5, v28, s3
	v_cndmask_b32_e64 v39, v24, v5, s3
	;; [unrolled: 1-line block ×4, first 2 shown]
	s_delay_alu instid0(VALU_DEP_4) | instskip(NEXT) | instid1(VALU_DEP_4)
	v_and_b32_e32 v9, v34, v31
	v_and_b32_e32 v14, v39, v31
	s_delay_alu instid0(VALU_DEP_4) | instskip(NEXT) | instid1(VALU_DEP_4)
	v_cmp_lt_u32_e64 s4, v5, v26
	v_cmp_ge_u32_e64 s6, v8, v27
	s_delay_alu instid0(VALU_DEP_3)
	v_cmp_le_i16_e64 s5, v14, v9
	s_and_b32 s4, s4, s5
	s_wait_alu 0xfffe
	s_or_b32 s4, s6, s4
	s_wait_alu 0xfffe
	v_cndmask_b32_e64 v9, v8, v5, s4
	v_cndmask_b32_e64 v14, v27, v26, s4
	s_delay_alu instid0(VALU_DEP_2) | instskip(NEXT) | instid1(VALU_DEP_2)
	v_add_nc_u32_e32 v15, 1, v9
	v_add_nc_u32_e32 v14, -1, v14
	s_delay_alu instid0(VALU_DEP_2) | instskip(NEXT) | instid1(VALU_DEP_2)
	v_cndmask_b32_e64 v5, v5, v15, s4
	v_min_u32_e32 v14, v15, v14
	v_cndmask_b32_e64 v8, v15, v8, s4
	s_delay_alu instid0(VALU_DEP_3) | instskip(NEXT) | instid1(VALU_DEP_3)
	v_cmp_lt_u32_e64 s5, v5, v26
	v_lshl_add_u32 v14, v14, 1, v12
	s_delay_alu instid0(VALU_DEP_3)
	v_cmp_ge_u32_e64 s7, v8, v27
	ds_load_u16 v14, v14
	s_wait_dscnt 0x0
	v_cndmask_b32_e64 v29, v14, v34, s4
	v_cndmask_b32_e64 v35, v39, v14, s4
	;; [unrolled: 1-line block ×3, first 2 shown]
	s_delay_alu instid0(VALU_DEP_3) | instskip(NEXT) | instid1(VALU_DEP_3)
	v_and_b32_e32 v14, v29, v31
	v_and_b32_e32 v20, v35, v31
	s_delay_alu instid0(VALU_DEP_1)
	v_cmp_le_i16_e64 s6, v20, v14
	s_and_b32 s5, s5, s6
	s_wait_alu 0xfffe
	s_or_b32 s5, s7, s5
	s_wait_alu 0xfffe
	v_cndmask_b32_e64 v14, v8, v5, s5
	v_cndmask_b32_e64 v15, v27, v26, s5
	;; [unrolled: 1-line block ×3, first 2 shown]
	s_delay_alu instid0(VALU_DEP_3) | instskip(NEXT) | instid1(VALU_DEP_3)
	v_add_nc_u32_e32 v20, 1, v14
	v_add_nc_u32_e32 v15, -1, v15
	v_lshl_add_u32 v14, v14, 3, v10
	s_delay_alu instid0(VALU_DEP_3) | instskip(NEXT) | instid1(VALU_DEP_3)
	v_cndmask_b32_e64 v5, v5, v20, s5
	v_min_u32_e32 v15, v20, v15
	v_cndmask_b32_e64 v8, v20, v8, s5
	s_delay_alu instid0(VALU_DEP_3) | instskip(NEXT) | instid1(VALU_DEP_3)
	v_cmp_lt_u32_e64 s6, v5, v26
	v_lshl_add_u32 v15, v15, 1, v12
	s_delay_alu instid0(VALU_DEP_3) | instskip(SKIP_4) | instid1(VALU_DEP_2)
	v_cmp_ge_u32_e64 s10, v8, v27
	ds_load_u16 v15, v15
	s_wait_dscnt 0x0
	v_cndmask_b32_e64 v48, v15, v29, s5
	v_cndmask_b32_e64 v50, v35, v15, s5
	v_and_b32_e32 v15, v48, v31
	s_delay_alu instid0(VALU_DEP_2) | instskip(NEXT) | instid1(VALU_DEP_1)
	v_and_b32_e32 v21, v50, v31
	v_cmp_le_i16_e64 s7, v21, v15
	s_and_b32 s6, s6, s7
	s_wait_alu 0xfffe
	s_or_b32 s6, s10, s6
	s_wait_alu 0xfffe
	v_cndmask_b32_e64 v5, v8, v5, s6
	v_lshl_add_u32 v8, v9, 3, v10
	v_cndmask_b32_e64 v48, v48, v50, s6
	s_delay_alu instid0(VALU_DEP_3)
	v_lshl_add_u32 v20, v5, 3, v10
	ds_load_b64 v[4:5], v4 offset:2048
	ds_load_b64 v[8:9], v8 offset:2048
	;; [unrolled: 1-line block ×4, first 2 shown]
.LBB1039_49:
	s_wait_alu 0xfffe
	s_or_b32 exec_lo, exec_lo, s12
	v_and_b32_e32 v28, 0x60, v37
	; wave barrier
	ds_store_b16 v11, v49
	s_wait_dscnt 0x4
	ds_store_b64 v25, v[4:5]
	s_mov_b32 s4, exec_lo
	v_or_b32_e32 v26, 16, v28
	ds_store_b16 v18, v39
	s_wait_dscnt 0x5
	ds_store_b64 v19, v[8:9]
	ds_store_b16 v22, v24
	s_wait_dscnt 0x6
	ds_store_b64 v23, v[14:15]
	;; [unrolled: 3-line block ×3, first 2 shown]
	; wave barrier
	v_min_u32_e32 v26, v16, v26
	s_delay_alu instid0(VALU_DEP_1) | instskip(SKIP_1) | instid1(VALU_DEP_2)
	v_add_nc_u32_e32 v27, 16, v26
	v_sub_nc_u32_e32 v34, v26, v28
	v_min_u32_e32 v27, v16, v27
	v_min_u32_e32 v16, v16, v38
	s_delay_alu instid0(VALU_DEP_2) | instskip(NEXT) | instid1(VALU_DEP_2)
	v_sub_nc_u32_e32 v29, v27, v26
	v_min_u32_e32 v25, v16, v34
	s_delay_alu instid0(VALU_DEP_2) | instskip(NEXT) | instid1(VALU_DEP_1)
	v_sub_nc_u32_e64 v11, v16, v29 clamp
	v_cmpx_lt_u32_e64 v11, v25
	s_cbranch_execz .LBB1039_53
; %bb.50:
	v_lshlrev_b32_e32 v13, 1, v28
	v_lshlrev_b32_e32 v17, 1, v26
	s_mov_b32 s5, 0
	s_delay_alu instid0(VALU_DEP_2) | instskip(NEXT) | instid1(VALU_DEP_2)
	v_add_co_u32 v13, null, v12, v13
	v_add_co_u32 v17, null, v12, v17
.LBB1039_51:                            ; =>This Inner Loop Header: Depth=1
	v_add_nc_u32_e32 v18, v25, v11
	s_delay_alu instid0(VALU_DEP_1) | instskip(SKIP_1) | instid1(VALU_DEP_2)
	v_lshrrev_b32_e32 v19, 1, v18
	v_and_b32_e32 v18, -2, v18
	v_xad_u32 v22, v19, -1, v16
	s_delay_alu instid0(VALU_DEP_2) | instskip(SKIP_1) | instid1(VALU_DEP_3)
	v_add_nc_u32_e32 v18, v13, v18
	v_add_nc_u32_e32 v23, 1, v19
	v_lshl_add_u32 v22, v22, 1, v17
	ds_load_u16 v18, v18
	ds_load_u16 v22, v22
	s_wait_dscnt 0x1
	v_and_b32_e32 v18, v18, v31
	s_wait_dscnt 0x0
	v_and_b32_e32 v22, v22, v31
	s_delay_alu instid0(VALU_DEP_1) | instskip(SKIP_1) | instid1(VALU_DEP_1)
	v_cmp_gt_i16_e64 s3, v18, v22
	s_wait_alu 0xf1ff
	v_cndmask_b32_e64 v25, v25, v19, s3
	v_cndmask_b32_e64 v11, v23, v11, s3
	s_delay_alu instid0(VALU_DEP_1)
	v_cmp_ge_u32_e64 s3, v11, v25
	s_wait_alu 0xfffe
	s_or_b32 s5, s3, s5
	s_wait_alu 0xfffe
	s_and_not1_b32 exec_lo, exec_lo, s5
	s_cbranch_execnz .LBB1039_51
; %bb.52:
	s_or_b32 exec_lo, exec_lo, s5
.LBB1039_53:
	s_wait_alu 0xfffe
	s_or_b32 exec_lo, exec_lo, s4
	v_add_nc_u32_e32 v13, v26, v16
	v_add_nc_u32_e32 v17, v11, v28
	s_delay_alu instid0(VALU_DEP_2) | instskip(NEXT) | instid1(VALU_DEP_2)
	v_sub_nc_u32_e32 v16, v13, v11
	v_cmp_le_u32_e64 s3, v17, v26
	s_delay_alu instid0(VALU_DEP_2)
	v_cmp_le_u32_e64 s4, v16, v27
	s_or_b32 s3, s3, s4
	s_wait_alu 0xfffe
	s_and_saveexec_b32 s12, s3
	s_cbranch_execz .LBB1039_59
; %bb.54:
	v_cmp_lt_u32_e64 s3, v17, v26
                                        ; implicit-def: $vgpr11
	s_and_saveexec_b32 s4, s3
; %bb.55:
	v_lshl_add_u32 v4, v17, 1, v12
	ds_load_u16 v11, v4
; %bb.56:
	s_wait_alu 0xfffe
	s_or_b32 exec_lo, exec_lo, s4
	v_cmp_ge_u32_e64 s4, v16, v27
	s_mov_b32 s6, exec_lo
                                        ; implicit-def: $vgpr13
	v_cmpx_lt_u32_e64 v16, v27
; %bb.57:
	v_lshl_add_u32 v4, v16, 1, v12
	ds_load_u16 v13, v4
; %bb.58:
	s_wait_alu 0xfffe
	s_or_b32 exec_lo, exec_lo, s6
	s_wait_dscnt 0x0
	v_and_b32_e32 v4, v13, v31
	v_and_b32_e32 v5, v11, v31
	s_delay_alu instid0(VALU_DEP_1)
	v_cmp_le_i16_e64 s5, v5, v4
	s_and_b32 s3, s3, s5
	s_wait_alu 0xfffe
	s_or_b32 s3, s4, s3
	s_wait_alu 0xfffe
	v_cndmask_b32_e64 v4, v16, v17, s3
	v_cndmask_b32_e64 v5, v27, v26, s3
	;; [unrolled: 1-line block ×3, first 2 shown]
	s_delay_alu instid0(VALU_DEP_3) | instskip(NEXT) | instid1(VALU_DEP_3)
	v_add_nc_u32_e32 v8, 1, v4
	v_add_nc_u32_e32 v5, -1, v5
	v_lshl_add_u32 v4, v4, 3, v10
	s_delay_alu instid0(VALU_DEP_2) | instskip(NEXT) | instid1(VALU_DEP_1)
	v_min_u32_e32 v5, v8, v5
	v_lshl_add_u32 v5, v5, 1, v12
	ds_load_u16 v5, v5
	s_wait_dscnt 0x0
	v_cndmask_b32_e64 v18, v5, v13, s3
	v_cndmask_b32_e64 v19, v11, v5, s3
	;; [unrolled: 1-line block ×4, first 2 shown]
	s_delay_alu instid0(VALU_DEP_4) | instskip(NEXT) | instid1(VALU_DEP_4)
	v_and_b32_e32 v9, v18, v31
	v_and_b32_e32 v14, v19, v31
	s_delay_alu instid0(VALU_DEP_4) | instskip(NEXT) | instid1(VALU_DEP_4)
	v_cmp_lt_u32_e64 s4, v5, v26
	v_cmp_ge_u32_e64 s6, v8, v27
	s_delay_alu instid0(VALU_DEP_3)
	v_cmp_le_i16_e64 s5, v14, v9
	s_and_b32 s4, s4, s5
	s_wait_alu 0xfffe
	s_or_b32 s4, s6, s4
	s_wait_alu 0xfffe
	v_cndmask_b32_e64 v9, v8, v5, s4
	v_cndmask_b32_e64 v14, v27, v26, s4
	;; [unrolled: 1-line block ×3, first 2 shown]
	s_delay_alu instid0(VALU_DEP_3) | instskip(NEXT) | instid1(VALU_DEP_3)
	v_add_nc_u32_e32 v15, 1, v9
	v_add_nc_u32_e32 v14, -1, v14
	s_delay_alu instid0(VALU_DEP_2) | instskip(NEXT) | instid1(VALU_DEP_2)
	v_cndmask_b32_e64 v5, v5, v15, s4
	v_min_u32_e32 v14, v15, v14
	v_cndmask_b32_e64 v8, v15, v8, s4
	s_delay_alu instid0(VALU_DEP_3) | instskip(NEXT) | instid1(VALU_DEP_3)
	v_cmp_lt_u32_e64 s5, v5, v26
	v_lshl_add_u32 v14, v14, 1, v12
	s_delay_alu instid0(VALU_DEP_3) | instskip(SKIP_4) | instid1(VALU_DEP_2)
	v_cmp_ge_u32_e64 s7, v8, v27
	ds_load_u16 v14, v14
	s_wait_dscnt 0x0
	v_cndmask_b32_e64 v16, v14, v18, s4
	v_cndmask_b32_e64 v17, v19, v14, s4
	v_and_b32_e32 v14, v16, v31
	s_delay_alu instid0(VALU_DEP_2) | instskip(NEXT) | instid1(VALU_DEP_1)
	v_and_b32_e32 v20, v17, v31
	v_cmp_le_i16_e64 s6, v20, v14
	s_and_b32 s5, s5, s6
	s_wait_alu 0xfffe
	s_or_b32 s5, s7, s5
	s_wait_alu 0xfffe
	v_cndmask_b32_e64 v14, v8, v5, s5
	v_cndmask_b32_e64 v15, v27, v26, s5
	;; [unrolled: 1-line block ×3, first 2 shown]
	s_delay_alu instid0(VALU_DEP_3) | instskip(NEXT) | instid1(VALU_DEP_3)
	v_add_nc_u32_e32 v20, 1, v14
	v_add_nc_u32_e32 v15, -1, v15
	v_lshl_add_u32 v14, v14, 3, v10
	s_delay_alu instid0(VALU_DEP_3) | instskip(NEXT) | instid1(VALU_DEP_3)
	v_cndmask_b32_e64 v5, v5, v20, s5
	v_min_u32_e32 v15, v20, v15
	v_cndmask_b32_e64 v8, v20, v8, s5
	s_delay_alu instid0(VALU_DEP_3) | instskip(NEXT) | instid1(VALU_DEP_3)
	v_cmp_lt_u32_e64 s6, v5, v26
	v_lshl_add_u32 v12, v15, 1, v12
	s_delay_alu instid0(VALU_DEP_3) | instskip(SKIP_4) | instid1(VALU_DEP_2)
	v_cmp_ge_u32_e64 s10, v8, v27
	ds_load_u16 v12, v12
	s_wait_dscnt 0x0
	v_cndmask_b32_e64 v22, v12, v16, s5
	v_cndmask_b32_e64 v12, v17, v12, s5
	v_and_b32_e32 v15, v22, v31
	s_delay_alu instid0(VALU_DEP_2) | instskip(NEXT) | instid1(VALU_DEP_1)
	v_and_b32_e32 v21, v12, v31
	v_cmp_le_i16_e64 s7, v21, v15
	s_and_b32 s6, s6, s7
	s_wait_alu 0xfffe
	s_or_b32 s6, s10, s6
	s_wait_alu 0xfffe
	v_cndmask_b32_e64 v5, v8, v5, s6
	v_lshl_add_u32 v8, v9, 3, v10
	v_cndmask_b32_e64 v48, v22, v12, s6
	s_delay_alu instid0(VALU_DEP_3)
	v_lshl_add_u32 v10, v5, 3, v10
	ds_load_b64 v[4:5], v4 offset:2048
	ds_load_b64 v[8:9], v8 offset:2048
	;; [unrolled: 1-line block ×4, first 2 shown]
.LBB1039_59:
	s_wait_alu 0xfffe
	s_or_b32 exec_lo, exec_lo, s12
	; wave barrier
	s_wait_storecnt_dscnt 0x0
	s_barrier_signal -1
	s_barrier_wait -1
                                        ; implicit-def: $vgpr37
                                        ; implicit-def: $vgpr12
                                        ; implicit-def: $vgpr13
                                        ; implicit-def: $vgpr38
                                        ; implicit-def: $vgpr17
                                        ; implicit-def: $vgpr25
                                        ; implicit-def: $vgpr16
                                        ; implicit-def: $vgpr34_vgpr35
                                        ; implicit-def: $vgpr22_vgpr23
                                        ; implicit-def: $vgpr18_vgpr19
.LBB1039_60:
	s_wait_alu 0xfffe
	s_and_not1_saveexec_b32 s10, s11
	s_cbranch_execz .LBB1039_96
; %bb.61:
	s_load_b64 s[4:5], s[8:9], 0x0
	s_and_b32 s3, ttmp7, 0xffff
	s_mov_b32 s7, 0
	s_wait_kmcnt 0x0
	s_wait_alu 0xfffe
	s_cmp_lt_u32 s3, s5
	s_cselect_b32 s6, 14, 20
	s_cmp_lt_u32 ttmp9, s4
	s_wait_alu 0xfffe
	s_add_nc_u64 s[12:13], s[8:9], s[6:7]
	s_cselect_b32 s6, 12, 18
	s_load_u16 s3, s[12:13], 0x0
	s_add_nc_u64 s[4:5], s[8:9], s[6:7]
	s_mov_b32 s6, exec_lo
	s_load_u16 s4, s[4:5], 0x0
	s_wait_kmcnt 0x0
	v_mad_u32_u24 v10, v25, s3, v17
	s_delay_alu instid0(VALU_DEP_1) | instskip(NEXT) | instid1(VALU_DEP_1)
	v_mul_lo_u32 v10, v10, s4
	v_add_lshl_u32 v10, v10, v16, 2
	s_delay_alu instid0(VALU_DEP_1)
	v_cmpx_gt_u32_e32 0x400, v10
	s_cbranch_execz .LBB1039_65
; %bb.62:
	s_wait_loadcnt_dscnt 0x0
	v_cmp_gt_i16_e64 s3, v49, v39
	v_max_i16 v8, v49, v39
	v_cmp_gt_i16_e64 s4, v24, v48
	v_min_i16 v15, v24, v48
	v_max_i16 v16, v24, v48
	v_min_i16 v11, v49, v39
	s_wait_alu 0xf1ff
	v_cndmask_b32_e64 v14, v4, v18, s3
	v_cndmask_b32_e64 v9, v5, v19, s3
	;; [unrolled: 1-line block ×7, first 2 shown]
	v_cmp_gt_i16_e64 s5, v8, v15
	v_cndmask_b32_e64 v22, v35, v23, s4
	v_max_i16 v18, v8, v15
	v_cmp_gt_i16_e64 s4, v8, v16
	v_min_i16 v17, v8, v15
	s_wait_alu 0xf1ff
	v_cndmask_b32_e64 v23, v20, v4, s5
	v_cndmask_b32_e64 v21, v5, v19, s5
	v_cmp_lt_i16_e64 s3, v15, v11
	v_cndmask_b32_e64 v15, v4, v20, s5
	v_cndmask_b32_e64 v24, v19, v5, s5
	;; [unrolled: 1-line block ×4, first 2 shown]
	s_wait_alu 0xf1ff
	v_cndmask_b32_e64 v39, v17, v11, s3
	v_cndmask_b32_e64 v5, v9, v21, s3
	;; [unrolled: 1-line block ×8, first 2 shown]
	v_mov_b32_e32 v24, v19
	s_mov_b32 s7, exec_lo
	v_cmpx_gt_i16_e64 v39, v19
; %bb.63:
	s_delay_alu instid0(VALU_DEP_3) | instskip(SKIP_2) | instid1(VALU_DEP_3)
	v_dual_mov_b32 v23, v15 :: v_dual_mov_b32 v22, v14
	v_dual_mov_b32 v15, v9 :: v_dual_mov_b32 v14, v8
	v_dual_mov_b32 v24, v39 :: v_dual_mov_b32 v39, v19
	v_dual_mov_b32 v8, v22 :: v_dual_mov_b32 v9, v23
; %bb.64:
	s_wait_alu 0xfffe
	s_or_b32 exec_lo, exec_lo, s7
	v_cndmask_b32_e64 v49, v11, v17, s3
	v_cndmask_b32_e64 v48, v16, v18, s4
.LBB1039_65:
	s_or_b32 exec_lo, exec_lo, s6
	v_dual_mov_b32 v11, 0 :: v_dual_and_b32 v10, 0xffffff80, v10
	v_or_b32_e32 v19, 4, v37
	v_and_b32_e32 v28, 0x78, v37
	s_mov_b32 s4, exec_lo
	s_delay_alu instid0(VALU_DEP_3) | instskip(SKIP_1) | instid1(VALU_DEP_2)
	v_sub_nc_u32_e64 v16, 0x400, v10 clamp
	v_lshlrev_b64_e32 v[17:18], 1, v[10:11]
	v_min_u32_e32 v26, v16, v19
	s_delay_alu instid0(VALU_DEP_2) | instskip(SKIP_1) | instid1(VALU_DEP_3)
	v_add_co_u32 v12, s3, v12, v17
	s_wait_alu 0xf1ff
	v_add_co_ci_u32_e64 v13, null, v13, v18, s3
	s_delay_alu instid0(VALU_DEP_3) | instskip(NEXT) | instid1(VALU_DEP_2)
	v_add_nc_u32_e32 v17, 4, v26
	v_mad_co_u64_u32 v[10:11], null, v10, 6, v[12:13]
	v_and_b32_e32 v11, 4, v37
	s_delay_alu instid0(VALU_DEP_3) | instskip(NEXT) | instid1(VALU_DEP_2)
	v_min_u32_e32 v27, v16, v17
	v_min_u32_e32 v29, v16, v11
	v_sub_nc_u32_e32 v11, v26, v28
	v_lshl_add_u32 v17, v37, 3, v10
	s_delay_alu instid0(VALU_DEP_4) | instskip(NEXT) | instid1(VALU_DEP_3)
	v_sub_nc_u32_e32 v18, v27, v26
	v_min_u32_e32 v13, v29, v11
	s_delay_alu instid0(VALU_DEP_3) | instskip(NEXT) | instid1(VALU_DEP_3)
	v_add_nc_u32_e32 v19, 0x800, v17
	v_sub_nc_u32_e64 v31, v29, v18 clamp
	v_lshl_add_u32 v11, v37, 1, v12
	s_wait_loadcnt_dscnt 0x0
	ds_store_2addr_b64 v19, v[4:5], v[8:9] offset1:1
	ds_store_b16 v11, v49
	ds_store_b16 v11, v39 offset:2
	ds_store_b16 v11, v24 offset:4
	;; [unrolled: 1-line block ×3, first 2 shown]
	ds_store_2addr_b64 v19, v[14:15], v[20:21] offset0:2 offset1:3
	; wave barrier
	v_cmpx_lt_u32_e64 v31, v13
	s_cbranch_execz .LBB1039_69
; %bb.66:
	v_lshlrev_b32_e32 v18, 1, v28
	v_lshlrev_b32_e32 v19, 1, v26
	s_mov_b32 s5, 0
	s_delay_alu instid0(VALU_DEP_2) | instskip(NEXT) | instid1(VALU_DEP_2)
	v_add_co_u32 v18, null, v12, v18
	v_add_co_u32 v19, null, v12, v19
.LBB1039_67:                            ; =>This Inner Loop Header: Depth=1
	v_add_nc_u32_e32 v22, v13, v31
	s_delay_alu instid0(VALU_DEP_1) | instskip(SKIP_1) | instid1(VALU_DEP_2)
	v_lshrrev_b32_e32 v23, 1, v22
	v_and_b32_e32 v22, -2, v22
	v_xad_u32 v25, v23, -1, v29
	s_delay_alu instid0(VALU_DEP_2) | instskip(SKIP_1) | instid1(VALU_DEP_3)
	v_add_nc_u32_e32 v22, v18, v22
	v_add_nc_u32_e32 v34, 1, v23
	v_lshl_add_u32 v25, v25, 1, v19
	ds_load_u16 v22, v22
	ds_load_u16 v25, v25
	s_wait_dscnt 0x0
	v_cmp_gt_i16_e64 s3, v22, v25
	s_wait_alu 0xf1ff
	s_delay_alu instid0(VALU_DEP_1) | instskip(SKIP_1) | instid1(VALU_DEP_1)
	v_cndmask_b32_e64 v13, v13, v23, s3
	v_cndmask_b32_e64 v31, v34, v31, s3
	v_cmp_ge_u32_e64 s3, v31, v13
	s_wait_alu 0xfffe
	s_or_b32 s5, s3, s5
	s_wait_alu 0xfffe
	s_and_not1_b32 exec_lo, exec_lo, s5
	s_cbranch_execnz .LBB1039_67
; %bb.68:
	s_or_b32 exec_lo, exec_lo, s5
.LBB1039_69:
	s_wait_alu 0xfffe
	s_or_b32 exec_lo, exec_lo, s4
	v_add_nc_u32_e32 v29, v26, v29
	v_add_nc_u32_e32 v34, v31, v28
	;; [unrolled: 1-line block ×5, first 2 shown]
	v_sub_nc_u32_e32 v29, v29, v31
	v_cmp_le_u32_e64 s3, v34, v26
	v_add_nc_u32_e32 v22, 4, v11
	v_add_nc_u32_e32 v23, 0x810, v17
	;; [unrolled: 1-line block ×3, first 2 shown]
	v_cmp_le_u32_e64 s4, v29, v27
	v_add_nc_u32_e32 v17, 0x818, v17
	s_or_b32 s3, s3, s4
	s_wait_alu 0xfffe
	s_and_saveexec_b32 s9, s3
	s_cbranch_execz .LBB1039_75
; %bb.70:
	v_cmp_lt_u32_e64 s3, v34, v26
                                        ; implicit-def: $vgpr24
	s_and_saveexec_b32 s4, s3
; %bb.71:
	v_lshl_add_u32 v4, v34, 1, v12
	ds_load_u16 v24, v4
; %bb.72:
	s_wait_alu 0xfffe
	s_or_b32 exec_lo, exec_lo, s4
	v_cmp_ge_u32_e64 s4, v29, v27
	s_mov_b32 s6, exec_lo
                                        ; implicit-def: $vgpr28
	v_cmpx_lt_u32_e64 v29, v27
; %bb.73:
	v_lshl_add_u32 v4, v29, 1, v12
	ds_load_u16 v28, v4
; %bb.74:
	s_wait_alu 0xfffe
	s_or_b32 exec_lo, exec_lo, s6
	s_wait_dscnt 0x0
	v_cmp_le_i16_e64 s5, v24, v28
	s_and_b32 s3, s3, s5
	s_wait_alu 0xfffe
	s_or_b32 s3, s4, s3
	s_wait_alu 0xfffe
	v_cndmask_b32_e64 v4, v29, v34, s3
	v_cndmask_b32_e64 v5, v27, v26, s3
	v_cndmask_b32_e64 v49, v28, v24, s3
	s_delay_alu instid0(VALU_DEP_3) | instskip(NEXT) | instid1(VALU_DEP_3)
	v_add_nc_u32_e32 v8, 1, v4
	v_add_nc_u32_e32 v5, -1, v5
	v_lshl_add_u32 v4, v4, 3, v10
	s_delay_alu instid0(VALU_DEP_3) | instskip(NEXT) | instid1(VALU_DEP_3)
	v_cndmask_b32_e64 v9, v34, v8, s3
	v_min_u32_e32 v5, v8, v5
	s_delay_alu instid0(VALU_DEP_2) | instskip(NEXT) | instid1(VALU_DEP_2)
	v_cmp_lt_u32_e64 s4, v9, v26
	v_lshl_add_u32 v5, v5, 1, v12
	ds_load_u16 v5, v5
	s_wait_dscnt 0x0
	v_cndmask_b32_e64 v31, v5, v28, s3
	v_cndmask_b32_e64 v34, v24, v5, s3
	;; [unrolled: 1-line block ×3, first 2 shown]
	s_delay_alu instid0(VALU_DEP_2) | instskip(NEXT) | instid1(VALU_DEP_2)
	v_cmp_le_i16_e64 s5, v34, v31
	v_cmp_ge_u32_e64 s6, v5, v27
	s_and_b32 s4, s4, s5
	s_wait_alu 0xfffe
	s_or_b32 s4, s6, s4
	s_wait_alu 0xfffe
	v_cndmask_b32_e64 v8, v5, v9, s4
	v_cndmask_b32_e64 v14, v27, v26, s4
	;; [unrolled: 1-line block ×3, first 2 shown]
	s_delay_alu instid0(VALU_DEP_3) | instskip(NEXT) | instid1(VALU_DEP_3)
	v_add_nc_u32_e32 v15, 1, v8
	v_add_nc_u32_e32 v14, -1, v14
	v_lshl_add_u32 v8, v8, 3, v10
	s_delay_alu instid0(VALU_DEP_3) | instskip(NEXT) | instid1(VALU_DEP_3)
	v_cndmask_b32_e64 v9, v9, v15, s4
	v_min_u32_e32 v14, v15, v14
	v_cndmask_b32_e64 v5, v15, v5, s4
	s_delay_alu instid0(VALU_DEP_3) | instskip(NEXT) | instid1(VALU_DEP_3)
	v_cmp_lt_u32_e64 s5, v9, v26
	v_lshl_add_u32 v14, v14, 1, v12
	s_delay_alu instid0(VALU_DEP_3) | instskip(SKIP_4) | instid1(VALU_DEP_1)
	v_cmp_ge_u32_e64 s7, v5, v27
	ds_load_u16 v14, v14
	s_wait_dscnt 0x0
	v_cndmask_b32_e64 v29, v14, v31, s4
	v_cndmask_b32_e64 v35, v34, v14, s4
	v_cmp_le_i16_e64 s6, v35, v29
	s_and_b32 s5, s5, s6
	s_wait_alu 0xfffe
	s_or_b32 s5, s7, s5
	s_wait_alu 0xfffe
	v_cndmask_b32_e64 v14, v5, v9, s5
	v_cndmask_b32_e64 v15, v27, v26, s5
	;; [unrolled: 1-line block ×3, first 2 shown]
	s_delay_alu instid0(VALU_DEP_3) | instskip(NEXT) | instid1(VALU_DEP_3)
	v_add_nc_u32_e32 v20, 1, v14
	v_add_nc_u32_e32 v15, -1, v15
	v_lshl_add_u32 v14, v14, 3, v10
	s_delay_alu instid0(VALU_DEP_3) | instskip(NEXT) | instid1(VALU_DEP_3)
	v_cndmask_b32_e64 v9, v9, v20, s5
	v_min_u32_e32 v15, v20, v15
	v_cndmask_b32_e64 v5, v20, v5, s5
	s_delay_alu instid0(VALU_DEP_3) | instskip(NEXT) | instid1(VALU_DEP_3)
	v_cmp_lt_u32_e64 s6, v9, v26
	v_lshl_add_u32 v15, v15, 1, v12
	s_delay_alu instid0(VALU_DEP_3) | instskip(SKIP_4) | instid1(VALU_DEP_1)
	v_cmp_ge_u32_e64 s8, v5, v27
	ds_load_u16 v15, v15
	s_wait_dscnt 0x0
	v_cndmask_b32_e64 v48, v15, v29, s5
	v_cndmask_b32_e64 v50, v35, v15, s5
	v_cmp_le_i16_e64 s7, v50, v48
	s_and_b32 s6, s6, s7
	s_wait_alu 0xfffe
	s_or_b32 s6, s8, s6
	s_wait_alu 0xfffe
	v_cndmask_b32_e64 v5, v5, v9, s6
	v_cndmask_b32_e64 v48, v48, v50, s6
	s_delay_alu instid0(VALU_DEP_2)
	v_lshl_add_u32 v20, v5, 3, v10
	ds_load_b64 v[4:5], v4 offset:2048
	ds_load_b64 v[8:9], v8 offset:2048
	;; [unrolled: 1-line block ×4, first 2 shown]
.LBB1039_75:
	s_wait_alu 0xfffe
	s_or_b32 exec_lo, exec_lo, s9
	v_and_b32_e32 v28, 0x70, v37
	v_and_b32_e32 v29, 12, v37
	s_mov_b32 s4, exec_lo
	; wave barrier
	s_delay_alu instid0(VALU_DEP_2) | instskip(NEXT) | instid1(VALU_DEP_2)
	v_or_b32_e32 v26, 8, v28
	v_min_u32_e32 v29, v16, v29
	ds_store_b16 v11, v49
	s_wait_dscnt 0x4
	ds_store_b64 v25, v[4:5]
	ds_store_b16 v18, v39
	s_wait_dscnt 0x5
	ds_store_b64 v19, v[8:9]
	;; [unrolled: 3-line block ×4, first 2 shown]
	v_min_u32_e32 v26, v16, v26
	; wave barrier
	s_delay_alu instid0(VALU_DEP_1) | instskip(SKIP_1) | instid1(VALU_DEP_2)
	v_add_nc_u32_e32 v27, 8, v26
	v_sub_nc_u32_e32 v34, v26, v28
	v_min_u32_e32 v27, v16, v27
	s_delay_alu instid0(VALU_DEP_2) | instskip(NEXT) | instid1(VALU_DEP_2)
	v_min_u32_e32 v34, v29, v34
	v_sub_nc_u32_e32 v31, v27, v26
	s_delay_alu instid0(VALU_DEP_1) | instskip(NEXT) | instid1(VALU_DEP_1)
	v_sub_nc_u32_e64 v31, v29, v31 clamp
	v_cmpx_lt_u32_e64 v31, v34
	s_cbranch_execz .LBB1039_79
; %bb.76:
	v_lshlrev_b32_e32 v35, 1, v28
	v_lshlrev_b32_e32 v50, 1, v26
	s_mov_b32 s5, 0
	s_delay_alu instid0(VALU_DEP_2) | instskip(NEXT) | instid1(VALU_DEP_2)
	v_add_co_u32 v35, null, v12, v35
	v_add_co_u32 v50, null, v12, v50
.LBB1039_77:                            ; =>This Inner Loop Header: Depth=1
	v_add_nc_u32_e32 v51, v34, v31
	s_delay_alu instid0(VALU_DEP_1) | instskip(SKIP_1) | instid1(VALU_DEP_2)
	v_lshrrev_b32_e32 v52, 1, v51
	v_and_b32_e32 v51, -2, v51
	v_xad_u32 v53, v52, -1, v29
	s_delay_alu instid0(VALU_DEP_2) | instskip(SKIP_1) | instid1(VALU_DEP_3)
	v_add_nc_u32_e32 v51, v35, v51
	v_add_nc_u32_e32 v54, 1, v52
	v_lshl_add_u32 v53, v53, 1, v50
	ds_load_u16 v51, v51
	ds_load_u16 v53, v53
	s_wait_dscnt 0x0
	v_cmp_gt_i16_e64 s3, v51, v53
	s_wait_alu 0xf1ff
	s_delay_alu instid0(VALU_DEP_1) | instskip(SKIP_1) | instid1(VALU_DEP_1)
	v_cndmask_b32_e64 v34, v34, v52, s3
	v_cndmask_b32_e64 v31, v54, v31, s3
	v_cmp_ge_u32_e64 s3, v31, v34
	s_wait_alu 0xfffe
	s_or_b32 s5, s3, s5
	s_wait_alu 0xfffe
	s_and_not1_b32 exec_lo, exec_lo, s5
	s_cbranch_execnz .LBB1039_77
; %bb.78:
	s_or_b32 exec_lo, exec_lo, s5
.LBB1039_79:
	s_wait_alu 0xfffe
	s_or_b32 exec_lo, exec_lo, s4
	v_add_nc_u32_e32 v29, v26, v29
	v_add_nc_u32_e32 v34, v31, v28
	s_delay_alu instid0(VALU_DEP_2) | instskip(NEXT) | instid1(VALU_DEP_2)
	v_sub_nc_u32_e32 v29, v29, v31
	v_cmp_le_u32_e64 s3, v34, v26
	s_delay_alu instid0(VALU_DEP_2)
	v_cmp_le_u32_e64 s4, v29, v27
	s_or_b32 s3, s3, s4
	s_wait_alu 0xfffe
	s_and_saveexec_b32 s9, s3
	s_cbranch_execz .LBB1039_85
; %bb.80:
	v_cmp_lt_u32_e64 s3, v34, v26
                                        ; implicit-def: $vgpr24
	s_and_saveexec_b32 s4, s3
; %bb.81:
	v_lshl_add_u32 v4, v34, 1, v12
	ds_load_u16 v24, v4
; %bb.82:
	s_wait_alu 0xfffe
	s_or_b32 exec_lo, exec_lo, s4
	v_cmp_ge_u32_e64 s4, v29, v27
	s_mov_b32 s6, exec_lo
                                        ; implicit-def: $vgpr28
	v_cmpx_lt_u32_e64 v29, v27
; %bb.83:
	v_lshl_add_u32 v4, v29, 1, v12
	ds_load_u16 v28, v4
; %bb.84:
	s_wait_alu 0xfffe
	s_or_b32 exec_lo, exec_lo, s6
	s_wait_dscnt 0x0
	v_cmp_le_i16_e64 s5, v24, v28
	s_and_b32 s3, s3, s5
	s_wait_alu 0xfffe
	s_or_b32 s3, s4, s3
	s_wait_alu 0xfffe
	v_cndmask_b32_e64 v4, v29, v34, s3
	v_cndmask_b32_e64 v5, v27, v26, s3
	;; [unrolled: 1-line block ×3, first 2 shown]
	s_delay_alu instid0(VALU_DEP_3) | instskip(NEXT) | instid1(VALU_DEP_3)
	v_add_nc_u32_e32 v8, 1, v4
	v_add_nc_u32_e32 v5, -1, v5
	v_lshl_add_u32 v4, v4, 3, v10
	s_delay_alu instid0(VALU_DEP_3) | instskip(NEXT) | instid1(VALU_DEP_3)
	v_cndmask_b32_e64 v9, v34, v8, s3
	v_min_u32_e32 v5, v8, v5
	s_delay_alu instid0(VALU_DEP_2) | instskip(NEXT) | instid1(VALU_DEP_2)
	v_cmp_lt_u32_e64 s4, v9, v26
	v_lshl_add_u32 v5, v5, 1, v12
	ds_load_u16 v5, v5
	s_wait_dscnt 0x0
	v_cndmask_b32_e64 v31, v5, v28, s3
	v_cndmask_b32_e64 v34, v24, v5, s3
	v_cndmask_b32_e64 v5, v8, v29, s3
	s_delay_alu instid0(VALU_DEP_2) | instskip(NEXT) | instid1(VALU_DEP_2)
	v_cmp_le_i16_e64 s5, v34, v31
	v_cmp_ge_u32_e64 s6, v5, v27
	s_and_b32 s4, s4, s5
	s_wait_alu 0xfffe
	s_or_b32 s4, s6, s4
	s_wait_alu 0xfffe
	v_cndmask_b32_e64 v8, v5, v9, s4
	v_cndmask_b32_e64 v14, v27, v26, s4
	;; [unrolled: 1-line block ×3, first 2 shown]
	s_delay_alu instid0(VALU_DEP_3) | instskip(NEXT) | instid1(VALU_DEP_3)
	v_add_nc_u32_e32 v15, 1, v8
	v_add_nc_u32_e32 v14, -1, v14
	v_lshl_add_u32 v8, v8, 3, v10
	s_delay_alu instid0(VALU_DEP_3) | instskip(NEXT) | instid1(VALU_DEP_3)
	v_cndmask_b32_e64 v9, v9, v15, s4
	v_min_u32_e32 v14, v15, v14
	v_cndmask_b32_e64 v5, v15, v5, s4
	s_delay_alu instid0(VALU_DEP_3) | instskip(NEXT) | instid1(VALU_DEP_3)
	v_cmp_lt_u32_e64 s5, v9, v26
	v_lshl_add_u32 v14, v14, 1, v12
	s_delay_alu instid0(VALU_DEP_3) | instskip(SKIP_4) | instid1(VALU_DEP_1)
	v_cmp_ge_u32_e64 s7, v5, v27
	ds_load_u16 v14, v14
	s_wait_dscnt 0x0
	v_cndmask_b32_e64 v29, v14, v31, s4
	v_cndmask_b32_e64 v35, v34, v14, s4
	v_cmp_le_i16_e64 s6, v35, v29
	s_and_b32 s5, s5, s6
	s_wait_alu 0xfffe
	s_or_b32 s5, s7, s5
	s_wait_alu 0xfffe
	v_cndmask_b32_e64 v14, v5, v9, s5
	v_cndmask_b32_e64 v15, v27, v26, s5
	;; [unrolled: 1-line block ×3, first 2 shown]
	s_delay_alu instid0(VALU_DEP_3) | instskip(NEXT) | instid1(VALU_DEP_3)
	v_add_nc_u32_e32 v20, 1, v14
	v_add_nc_u32_e32 v15, -1, v15
	v_lshl_add_u32 v14, v14, 3, v10
	s_delay_alu instid0(VALU_DEP_3) | instskip(NEXT) | instid1(VALU_DEP_3)
	v_cndmask_b32_e64 v9, v9, v20, s5
	v_min_u32_e32 v15, v20, v15
	v_cndmask_b32_e64 v5, v20, v5, s5
	s_delay_alu instid0(VALU_DEP_3) | instskip(NEXT) | instid1(VALU_DEP_3)
	v_cmp_lt_u32_e64 s6, v9, v26
	v_lshl_add_u32 v15, v15, 1, v12
	s_delay_alu instid0(VALU_DEP_3) | instskip(SKIP_4) | instid1(VALU_DEP_1)
	v_cmp_ge_u32_e64 s8, v5, v27
	ds_load_u16 v15, v15
	s_wait_dscnt 0x0
	v_cndmask_b32_e64 v48, v15, v29, s5
	v_cndmask_b32_e64 v50, v35, v15, s5
	v_cmp_le_i16_e64 s7, v50, v48
	s_and_b32 s6, s6, s7
	s_wait_alu 0xfffe
	s_or_b32 s6, s8, s6
	s_wait_alu 0xfffe
	v_cndmask_b32_e64 v5, v5, v9, s6
	v_cndmask_b32_e64 v48, v48, v50, s6
	s_delay_alu instid0(VALU_DEP_2)
	v_lshl_add_u32 v20, v5, 3, v10
	ds_load_b64 v[4:5], v4 offset:2048
	ds_load_b64 v[8:9], v8 offset:2048
	;; [unrolled: 1-line block ×4, first 2 shown]
.LBB1039_85:
	s_wait_alu 0xfffe
	s_or_b32 exec_lo, exec_lo, s9
	v_and_b32_e32 v28, 0x60, v37
	; wave barrier
	ds_store_b16 v11, v49
	s_wait_dscnt 0x4
	ds_store_b64 v25, v[4:5]
	s_mov_b32 s4, exec_lo
	v_or_b32_e32 v26, 16, v28
	ds_store_b16 v18, v39
	s_wait_dscnt 0x5
	ds_store_b64 v19, v[8:9]
	ds_store_b16 v22, v24
	s_wait_dscnt 0x6
	ds_store_b64 v23, v[14:15]
	;; [unrolled: 3-line block ×3, first 2 shown]
	; wave barrier
	v_min_u32_e32 v26, v16, v26
	s_delay_alu instid0(VALU_DEP_1) | instskip(SKIP_1) | instid1(VALU_DEP_2)
	v_add_nc_u32_e32 v27, 16, v26
	v_sub_nc_u32_e32 v31, v26, v28
	v_min_u32_e32 v27, v16, v27
	v_min_u32_e32 v16, v16, v38
	s_delay_alu instid0(VALU_DEP_2) | instskip(NEXT) | instid1(VALU_DEP_2)
	v_sub_nc_u32_e32 v29, v27, v26
	v_min_u32_e32 v25, v16, v31
	s_delay_alu instid0(VALU_DEP_2) | instskip(NEXT) | instid1(VALU_DEP_1)
	v_sub_nc_u32_e64 v11, v16, v29 clamp
	v_cmpx_lt_u32_e64 v11, v25
	s_cbranch_execz .LBB1039_89
; %bb.86:
	v_lshlrev_b32_e32 v13, 1, v28
	v_lshlrev_b32_e32 v17, 1, v26
	s_mov_b32 s5, 0
	s_delay_alu instid0(VALU_DEP_2) | instskip(NEXT) | instid1(VALU_DEP_2)
	v_add_co_u32 v13, null, v12, v13
	v_add_co_u32 v17, null, v12, v17
.LBB1039_87:                            ; =>This Inner Loop Header: Depth=1
	v_add_nc_u32_e32 v18, v25, v11
	s_delay_alu instid0(VALU_DEP_1) | instskip(SKIP_1) | instid1(VALU_DEP_2)
	v_lshrrev_b32_e32 v19, 1, v18
	v_and_b32_e32 v18, -2, v18
	v_xad_u32 v22, v19, -1, v16
	s_delay_alu instid0(VALU_DEP_2) | instskip(SKIP_1) | instid1(VALU_DEP_3)
	v_add_nc_u32_e32 v18, v13, v18
	v_add_nc_u32_e32 v23, 1, v19
	v_lshl_add_u32 v22, v22, 1, v17
	ds_load_u16 v18, v18
	ds_load_u16 v22, v22
	s_wait_dscnt 0x0
	v_cmp_gt_i16_e64 s3, v18, v22
	s_wait_alu 0xf1ff
	s_delay_alu instid0(VALU_DEP_1) | instskip(SKIP_1) | instid1(VALU_DEP_1)
	v_cndmask_b32_e64 v25, v25, v19, s3
	v_cndmask_b32_e64 v11, v23, v11, s3
	v_cmp_ge_u32_e64 s3, v11, v25
	s_wait_alu 0xfffe
	s_or_b32 s5, s3, s5
	s_wait_alu 0xfffe
	s_and_not1_b32 exec_lo, exec_lo, s5
	s_cbranch_execnz .LBB1039_87
; %bb.88:
	s_or_b32 exec_lo, exec_lo, s5
.LBB1039_89:
	s_wait_alu 0xfffe
	s_or_b32 exec_lo, exec_lo, s4
	v_add_nc_u32_e32 v13, v26, v16
	v_add_nc_u32_e32 v17, v11, v28
	s_delay_alu instid0(VALU_DEP_2) | instskip(NEXT) | instid1(VALU_DEP_2)
	v_sub_nc_u32_e32 v16, v13, v11
	v_cmp_le_u32_e64 s3, v17, v26
	s_delay_alu instid0(VALU_DEP_2)
	v_cmp_le_u32_e64 s4, v16, v27
	s_or_b32 s3, s3, s4
	s_wait_alu 0xfffe
	s_and_saveexec_b32 s9, s3
	s_cbranch_execz .LBB1039_95
; %bb.90:
	v_cmp_lt_u32_e64 s3, v17, v26
                                        ; implicit-def: $vgpr11
	s_and_saveexec_b32 s4, s3
; %bb.91:
	v_lshl_add_u32 v4, v17, 1, v12
	ds_load_u16 v11, v4
; %bb.92:
	s_wait_alu 0xfffe
	s_or_b32 exec_lo, exec_lo, s4
	v_cmp_ge_u32_e64 s4, v16, v27
	s_mov_b32 s6, exec_lo
                                        ; implicit-def: $vgpr13
	v_cmpx_lt_u32_e64 v16, v27
; %bb.93:
	v_lshl_add_u32 v4, v16, 1, v12
	ds_load_u16 v13, v4
; %bb.94:
	s_wait_alu 0xfffe
	s_or_b32 exec_lo, exec_lo, s6
	s_wait_dscnt 0x0
	v_cmp_le_i16_e64 s5, v11, v13
	s_and_b32 s3, s3, s5
	s_wait_alu 0xfffe
	s_or_b32 s3, s4, s3
	s_wait_alu 0xfffe
	v_cndmask_b32_e64 v4, v16, v17, s3
	v_cndmask_b32_e64 v5, v27, v26, s3
	;; [unrolled: 1-line block ×3, first 2 shown]
	s_delay_alu instid0(VALU_DEP_3) | instskip(NEXT) | instid1(VALU_DEP_3)
	v_add_nc_u32_e32 v8, 1, v4
	v_add_nc_u32_e32 v5, -1, v5
	v_lshl_add_u32 v4, v4, 3, v10
	s_delay_alu instid0(VALU_DEP_3) | instskip(NEXT) | instid1(VALU_DEP_3)
	v_cndmask_b32_e64 v9, v17, v8, s3
	v_min_u32_e32 v5, v8, v5
	s_delay_alu instid0(VALU_DEP_2) | instskip(NEXT) | instid1(VALU_DEP_2)
	v_cmp_lt_u32_e64 s4, v9, v26
	v_lshl_add_u32 v5, v5, 1, v12
	ds_load_u16 v5, v5
	s_wait_dscnt 0x0
	v_cndmask_b32_e64 v17, v5, v13, s3
	v_cndmask_b32_e64 v18, v11, v5, s3
	;; [unrolled: 1-line block ×3, first 2 shown]
	s_delay_alu instid0(VALU_DEP_2) | instskip(NEXT) | instid1(VALU_DEP_2)
	v_cmp_le_i16_e64 s5, v18, v17
	v_cmp_ge_u32_e64 s6, v5, v27
	s_and_b32 s4, s4, s5
	s_wait_alu 0xfffe
	s_or_b32 s4, s6, s4
	s_wait_alu 0xfffe
	v_cndmask_b32_e64 v8, v5, v9, s4
	v_cndmask_b32_e64 v14, v27, v26, s4
	;; [unrolled: 1-line block ×3, first 2 shown]
	s_delay_alu instid0(VALU_DEP_3) | instskip(NEXT) | instid1(VALU_DEP_3)
	v_add_nc_u32_e32 v15, 1, v8
	v_add_nc_u32_e32 v14, -1, v14
	v_lshl_add_u32 v8, v8, 3, v10
	s_delay_alu instid0(VALU_DEP_3) | instskip(NEXT) | instid1(VALU_DEP_3)
	v_cndmask_b32_e64 v9, v9, v15, s4
	v_min_u32_e32 v14, v15, v14
	v_cndmask_b32_e64 v5, v15, v5, s4
	s_delay_alu instid0(VALU_DEP_3) | instskip(NEXT) | instid1(VALU_DEP_3)
	v_cmp_lt_u32_e64 s5, v9, v26
	v_lshl_add_u32 v14, v14, 1, v12
	s_delay_alu instid0(VALU_DEP_3) | instskip(SKIP_4) | instid1(VALU_DEP_1)
	v_cmp_ge_u32_e64 s7, v5, v27
	ds_load_u16 v14, v14
	s_wait_dscnt 0x0
	v_cndmask_b32_e64 v16, v14, v17, s4
	v_cndmask_b32_e64 v19, v18, v14, s4
	v_cmp_le_i16_e64 s6, v19, v16
	s_and_b32 s5, s5, s6
	s_wait_alu 0xfffe
	s_or_b32 s5, s7, s5
	s_wait_alu 0xfffe
	v_cndmask_b32_e64 v14, v5, v9, s5
	v_cndmask_b32_e64 v15, v27, v26, s5
	;; [unrolled: 1-line block ×3, first 2 shown]
	s_delay_alu instid0(VALU_DEP_3) | instskip(NEXT) | instid1(VALU_DEP_3)
	v_add_nc_u32_e32 v20, 1, v14
	v_add_nc_u32_e32 v15, -1, v15
	v_lshl_add_u32 v14, v14, 3, v10
	s_delay_alu instid0(VALU_DEP_3) | instskip(NEXT) | instid1(VALU_DEP_3)
	v_cndmask_b32_e64 v9, v9, v20, s5
	v_min_u32_e32 v15, v20, v15
	v_cndmask_b32_e64 v5, v20, v5, s5
	s_delay_alu instid0(VALU_DEP_3) | instskip(NEXT) | instid1(VALU_DEP_3)
	v_cmp_lt_u32_e64 s6, v9, v26
	v_lshl_add_u32 v12, v15, 1, v12
	s_delay_alu instid0(VALU_DEP_3) | instskip(SKIP_4) | instid1(VALU_DEP_1)
	v_cmp_ge_u32_e64 s8, v5, v27
	ds_load_u16 v12, v12
	s_wait_dscnt 0x0
	v_cndmask_b32_e64 v22, v12, v16, s5
	v_cndmask_b32_e64 v12, v19, v12, s5
	v_cmp_le_i16_e64 s7, v12, v22
	s_and_b32 s6, s6, s7
	s_wait_alu 0xfffe
	s_or_b32 s6, s8, s6
	s_wait_alu 0xfffe
	v_cndmask_b32_e64 v5, v5, v9, s6
	v_cndmask_b32_e64 v48, v22, v12, s6
	s_delay_alu instid0(VALU_DEP_2)
	v_lshl_add_u32 v10, v5, 3, v10
	ds_load_b64 v[4:5], v4 offset:2048
	ds_load_b64 v[8:9], v8 offset:2048
	;; [unrolled: 1-line block ×4, first 2 shown]
.LBB1039_95:
	s_wait_alu 0xfffe
	s_or_b32 exec_lo, exec_lo, s9
	; wave barrier
	s_wait_storecnt_dscnt 0x0
	s_barrier_signal -1
	s_barrier_wait -1
.LBB1039_96:
	s_wait_alu 0xfffe
	s_or_b32 exec_lo, exec_lo, s10
	v_add_co_u32 v2, s3, v2, v32
	s_wait_alu 0xf1ff
	v_add_co_ci_u32_e64 v3, null, v3, v33, s3
	s_wait_storecnt 0x0
	s_wait_loadcnt_dscnt 0x0
	global_inv scope:SCOPE_SE
	v_add_co_u32 v2, s3, v2, v30
	s_wait_alu 0xf1ff
	v_add_co_ci_u32_e64 v3, null, 0, v3, s3
	; wave barrier
	s_and_saveexec_b32 s3, vcc_lo
	s_cbranch_execnz .LBB1039_106
; %bb.97:
	s_wait_alu 0xfffe
	s_or_b32 exec_lo, exec_lo, s3
	s_and_saveexec_b32 s3, s0
	s_cbranch_execnz .LBB1039_107
.LBB1039_98:
	s_wait_alu 0xfffe
	s_or_b32 exec_lo, exec_lo, s3
	s_and_saveexec_b32 s3, s1
	s_cbranch_execnz .LBB1039_108
.LBB1039_99:
	s_wait_alu 0xfffe
	s_or_b32 exec_lo, exec_lo, s3
	s_and_saveexec_b32 s3, s2
	s_cbranch_execz .LBB1039_101
.LBB1039_100:
	flat_store_b16 v[2:3], v48 offset:6
.LBB1039_101:
	s_wait_alu 0xfffe
	s_or_b32 exec_lo, exec_lo, s3
	v_add_co_u32 v0, s3, v6, v0
	s_wait_alu 0xf1ff
	v_add_co_ci_u32_e64 v1, null, v7, v1, s3
	s_delay_alu instid0(VALU_DEP_2) | instskip(SKIP_1) | instid1(VALU_DEP_2)
	v_add_co_u32 v0, s3, v0, v36
	s_wait_alu 0xf1ff
	v_add_co_ci_u32_e64 v1, null, 0, v1, s3
	; wave barrier
	s_and_saveexec_b32 s3, vcc_lo
	s_cbranch_execnz .LBB1039_109
; %bb.102:
	s_wait_alu 0xfffe
	s_or_b32 exec_lo, exec_lo, s3
	s_and_saveexec_b32 s3, s0
	s_cbranch_execnz .LBB1039_110
.LBB1039_103:
	s_wait_alu 0xfffe
	s_or_b32 exec_lo, exec_lo, s3
	s_and_saveexec_b32 s0, s1
	s_cbranch_execnz .LBB1039_111
.LBB1039_104:
	s_wait_alu 0xfffe
	s_or_b32 exec_lo, exec_lo, s0
	s_and_saveexec_b32 s0, s2
	s_cbranch_execnz .LBB1039_112
.LBB1039_105:
	s_wait_alu 0xfffe
	s_or_b32 exec_lo, exec_lo, s0
	s_wait_loadcnt_dscnt 0x0
	s_setpc_b64 s[30:31]
.LBB1039_106:
	flat_store_b16 v[2:3], v49
	s_wait_alu 0xfffe
	s_or_b32 exec_lo, exec_lo, s3
	s_and_saveexec_b32 s3, s0
	s_cbranch_execz .LBB1039_98
.LBB1039_107:
	flat_store_b16 v[2:3], v39 offset:2
	s_wait_alu 0xfffe
	s_or_b32 exec_lo, exec_lo, s3
	s_and_saveexec_b32 s3, s1
	s_cbranch_execz .LBB1039_99
.LBB1039_108:
	flat_store_b16 v[2:3], v24 offset:4
	s_wait_alu 0xfffe
	s_or_b32 exec_lo, exec_lo, s3
	s_and_saveexec_b32 s3, s2
	s_cbranch_execnz .LBB1039_100
	s_branch .LBB1039_101
.LBB1039_109:
	flat_store_b64 v[0:1], v[4:5]
	s_wait_alu 0xfffe
	s_or_b32 exec_lo, exec_lo, s3
	s_and_saveexec_b32 s3, s0
	s_cbranch_execz .LBB1039_103
.LBB1039_110:
	flat_store_b64 v[0:1], v[8:9] offset:8
	s_wait_alu 0xfffe
	s_or_b32 exec_lo, exec_lo, s3
	s_and_saveexec_b32 s0, s1
	s_cbranch_execz .LBB1039_104
.LBB1039_111:
	flat_store_b64 v[0:1], v[14:15] offset:16
	s_wait_alu 0xfffe
	s_or_b32 exec_lo, exec_lo, s0
	s_and_saveexec_b32 s0, s2
	s_cbranch_execz .LBB1039_105
.LBB1039_112:
	flat_store_b64 v[0:1], v[20:21] offset:24
	s_wait_alu 0xfffe
	s_or_b32 exec_lo, exec_lo, s0
	s_wait_loadcnt_dscnt 0x0
	s_setpc_b64 s[30:31]
.Lfunc_end1039:
	.size	_ZN7rocprim17ROCPRIM_400000_NS6detail26segmented_warp_sort_helperINS1_20WarpSortHelperConfigILj8ELj4ELj256EEEslLi256ELb0EvE4sortIPKsPsPKlPlEEvT_T0_T1_T2_jjjjRNS5_12storage_typeE, .Lfunc_end1039-_ZN7rocprim17ROCPRIM_400000_NS6detail26segmented_warp_sort_helperINS1_20WarpSortHelperConfigILj8ELj4ELj256EEEslLi256ELb0EvE4sortIPKsPsPKlPlEEvT_T0_T1_T2_jjjjRNS5_12storage_typeE
                                        ; -- End function
	.set .L_ZN7rocprim17ROCPRIM_400000_NS6detail26segmented_warp_sort_helperINS1_20WarpSortHelperConfigILj8ELj4ELj256EEEslLi256ELb0EvE4sortIPKsPsPKlPlEEvT_T0_T1_T2_jjjjRNS5_12storage_typeE.num_vgpr, 56
	.set .L_ZN7rocprim17ROCPRIM_400000_NS6detail26segmented_warp_sort_helperINS1_20WarpSortHelperConfigILj8ELj4ELj256EEEslLi256ELb0EvE4sortIPKsPsPKlPlEEvT_T0_T1_T2_jjjjRNS5_12storage_typeE.num_agpr, 0
	.set .L_ZN7rocprim17ROCPRIM_400000_NS6detail26segmented_warp_sort_helperINS1_20WarpSortHelperConfigILj8ELj4ELj256EEEslLi256ELb0EvE4sortIPKsPsPKlPlEEvT_T0_T1_T2_jjjjRNS5_12storage_typeE.numbered_sgpr, 32
	.set .L_ZN7rocprim17ROCPRIM_400000_NS6detail26segmented_warp_sort_helperINS1_20WarpSortHelperConfigILj8ELj4ELj256EEEslLi256ELb0EvE4sortIPKsPsPKlPlEEvT_T0_T1_T2_jjjjRNS5_12storage_typeE.num_named_barrier, 0
	.set .L_ZN7rocprim17ROCPRIM_400000_NS6detail26segmented_warp_sort_helperINS1_20WarpSortHelperConfigILj8ELj4ELj256EEEslLi256ELb0EvE4sortIPKsPsPKlPlEEvT_T0_T1_T2_jjjjRNS5_12storage_typeE.private_seg_size, 0
	.set .L_ZN7rocprim17ROCPRIM_400000_NS6detail26segmented_warp_sort_helperINS1_20WarpSortHelperConfigILj8ELj4ELj256EEEslLi256ELb0EvE4sortIPKsPsPKlPlEEvT_T0_T1_T2_jjjjRNS5_12storage_typeE.uses_vcc, 1
	.set .L_ZN7rocprim17ROCPRIM_400000_NS6detail26segmented_warp_sort_helperINS1_20WarpSortHelperConfigILj8ELj4ELj256EEEslLi256ELb0EvE4sortIPKsPsPKlPlEEvT_T0_T1_T2_jjjjRNS5_12storage_typeE.uses_flat_scratch, 0
	.set .L_ZN7rocprim17ROCPRIM_400000_NS6detail26segmented_warp_sort_helperINS1_20WarpSortHelperConfigILj8ELj4ELj256EEEslLi256ELb0EvE4sortIPKsPsPKlPlEEvT_T0_T1_T2_jjjjRNS5_12storage_typeE.has_dyn_sized_stack, 0
	.set .L_ZN7rocprim17ROCPRIM_400000_NS6detail26segmented_warp_sort_helperINS1_20WarpSortHelperConfigILj8ELj4ELj256EEEslLi256ELb0EvE4sortIPKsPsPKlPlEEvT_T0_T1_T2_jjjjRNS5_12storage_typeE.has_recursion, 0
	.set .L_ZN7rocprim17ROCPRIM_400000_NS6detail26segmented_warp_sort_helperINS1_20WarpSortHelperConfigILj8ELj4ELj256EEEslLi256ELb0EvE4sortIPKsPsPKlPlEEvT_T0_T1_T2_jjjjRNS5_12storage_typeE.has_indirect_call, 0
	.section	.AMDGPU.csdata,"",@progbits
; Function info:
; codeLenInByte = 8804
; TotalNumSgprs: 34
; NumVgprs: 56
; ScratchSize: 0
; MemoryBound: 1
	.section	.text._ZN7rocprim17ROCPRIM_400000_NS6detail17trampoline_kernelINS0_14default_configENS1_36segmented_radix_sort_config_selectorIslEEZNS1_25segmented_radix_sort_implIS3_Lb0EPKsPsPKlPlN2at6native12_GLOBAL__N_18offset_tEEE10hipError_tPvRmT1_PNSt15iterator_traitsISK_E10value_typeET2_T3_PNSL_ISQ_E10value_typeET4_jRbjT5_SW_jjP12ihipStream_tbEUlT_E1_NS1_11comp_targetILNS1_3genE10ELNS1_11target_archE1201ELNS1_3gpuE5ELNS1_3repE0EEENS1_59segmented_radix_sort_warp_sort_small_config_static_selectorELNS0_4arch9wavefront6targetE0EEEvSK_,"axG",@progbits,_ZN7rocprim17ROCPRIM_400000_NS6detail17trampoline_kernelINS0_14default_configENS1_36segmented_radix_sort_config_selectorIslEEZNS1_25segmented_radix_sort_implIS3_Lb0EPKsPsPKlPlN2at6native12_GLOBAL__N_18offset_tEEE10hipError_tPvRmT1_PNSt15iterator_traitsISK_E10value_typeET2_T3_PNSL_ISQ_E10value_typeET4_jRbjT5_SW_jjP12ihipStream_tbEUlT_E1_NS1_11comp_targetILNS1_3genE10ELNS1_11target_archE1201ELNS1_3gpuE5ELNS1_3repE0EEENS1_59segmented_radix_sort_warp_sort_small_config_static_selectorELNS0_4arch9wavefront6targetE0EEEvSK_,comdat
	.globl	_ZN7rocprim17ROCPRIM_400000_NS6detail17trampoline_kernelINS0_14default_configENS1_36segmented_radix_sort_config_selectorIslEEZNS1_25segmented_radix_sort_implIS3_Lb0EPKsPsPKlPlN2at6native12_GLOBAL__N_18offset_tEEE10hipError_tPvRmT1_PNSt15iterator_traitsISK_E10value_typeET2_T3_PNSL_ISQ_E10value_typeET4_jRbjT5_SW_jjP12ihipStream_tbEUlT_E1_NS1_11comp_targetILNS1_3genE10ELNS1_11target_archE1201ELNS1_3gpuE5ELNS1_3repE0EEENS1_59segmented_radix_sort_warp_sort_small_config_static_selectorELNS0_4arch9wavefront6targetE0EEEvSK_ ; -- Begin function _ZN7rocprim17ROCPRIM_400000_NS6detail17trampoline_kernelINS0_14default_configENS1_36segmented_radix_sort_config_selectorIslEEZNS1_25segmented_radix_sort_implIS3_Lb0EPKsPsPKlPlN2at6native12_GLOBAL__N_18offset_tEEE10hipError_tPvRmT1_PNSt15iterator_traitsISK_E10value_typeET2_T3_PNSL_ISQ_E10value_typeET4_jRbjT5_SW_jjP12ihipStream_tbEUlT_E1_NS1_11comp_targetILNS1_3genE10ELNS1_11target_archE1201ELNS1_3gpuE5ELNS1_3repE0EEENS1_59segmented_radix_sort_warp_sort_small_config_static_selectorELNS0_4arch9wavefront6targetE0EEEvSK_
	.p2align	8
	.type	_ZN7rocprim17ROCPRIM_400000_NS6detail17trampoline_kernelINS0_14default_configENS1_36segmented_radix_sort_config_selectorIslEEZNS1_25segmented_radix_sort_implIS3_Lb0EPKsPsPKlPlN2at6native12_GLOBAL__N_18offset_tEEE10hipError_tPvRmT1_PNSt15iterator_traitsISK_E10value_typeET2_T3_PNSL_ISQ_E10value_typeET4_jRbjT5_SW_jjP12ihipStream_tbEUlT_E1_NS1_11comp_targetILNS1_3genE10ELNS1_11target_archE1201ELNS1_3gpuE5ELNS1_3repE0EEENS1_59segmented_radix_sort_warp_sort_small_config_static_selectorELNS0_4arch9wavefront6targetE0EEEvSK_,@function
_ZN7rocprim17ROCPRIM_400000_NS6detail17trampoline_kernelINS0_14default_configENS1_36segmented_radix_sort_config_selectorIslEEZNS1_25segmented_radix_sort_implIS3_Lb0EPKsPsPKlPlN2at6native12_GLOBAL__N_18offset_tEEE10hipError_tPvRmT1_PNSt15iterator_traitsISK_E10value_typeET2_T3_PNSL_ISQ_E10value_typeET4_jRbjT5_SW_jjP12ihipStream_tbEUlT_E1_NS1_11comp_targetILNS1_3genE10ELNS1_11target_archE1201ELNS1_3gpuE5ELNS1_3repE0EEENS1_59segmented_radix_sort_warp_sort_small_config_static_selectorELNS0_4arch9wavefront6targetE0EEEvSK_: ; @_ZN7rocprim17ROCPRIM_400000_NS6detail17trampoline_kernelINS0_14default_configENS1_36segmented_radix_sort_config_selectorIslEEZNS1_25segmented_radix_sort_implIS3_Lb0EPKsPsPKlPlN2at6native12_GLOBAL__N_18offset_tEEE10hipError_tPvRmT1_PNSt15iterator_traitsISK_E10value_typeET2_T3_PNSL_ISQ_E10value_typeET4_jRbjT5_SW_jjP12ihipStream_tbEUlT_E1_NS1_11comp_targetILNS1_3genE10ELNS1_11target_archE1201ELNS1_3gpuE5ELNS1_3repE0EEENS1_59segmented_radix_sort_warp_sort_small_config_static_selectorELNS0_4arch9wavefront6targetE0EEEvSK_
; %bb.0:
	s_load_b32 s2, s[0:1], 0x64
	v_bfe_u32 v1, v0, 10, 10
	v_bfe_u32 v2, v0, 20, 10
	s_mov_b32 s32, 0
	s_wait_kmcnt 0x0
	s_lshr_b32 s3, s2, 16
	s_and_b32 s2, s2, 0xffff
	v_mad_u32_u24 v2, v2, s3, v1
	v_and_b32_e32 v1, 0x3ff, v0
	s_load_b32 s3, s[0:1], 0x34
	s_delay_alu instid0(VALU_DEP_1) | instskip(SKIP_2) | instid1(VALU_DEP_1)
	v_mad_co_u64_u32 v[1:2], null, v2, s2, v[1:2]
	s_mov_b32 s2, exec_lo
	v_lshrrev_b32_e32 v1, 3, v1
	v_lshl_add_u32 v1, ttmp9, 5, v1
	s_wait_kmcnt 0x0
	s_delay_alu instid0(VALU_DEP_1)
	v_cmpx_gt_u32_e64 s3, v1
	s_cbranch_execz .LBB1040_6
; %bb.1:
	s_clause 0x1
	s_load_b64 s[2:3], s[0:1], 0x38
	s_load_b128 s[4:7], s[0:1], 0x40
	v_mov_b32_e32 v2, 0
	s_delay_alu instid0(VALU_DEP_1) | instskip(SKIP_1) | instid1(VALU_DEP_1)
	v_lshlrev_b64_e32 v[1:2], 2, v[1:2]
	s_wait_kmcnt 0x0
	v_sub_co_u32 v1, vcc_lo, s2, v1
	s_delay_alu instid0(VALU_DEP_1) | instskip(SKIP_4) | instid1(VALU_DEP_2)
	v_sub_co_ci_u32_e64 v2, null, s3, v2, vcc_lo
	global_load_b32 v1, v[1:2], off offset:-4
	s_wait_loadcnt 0x0
	v_add_nc_u32_e32 v2, s5, v1
	v_add_nc_u32_e32 v1, s7, v1
	v_mul_lo_u32 v40, v2, s4
	s_delay_alu instid0(VALU_DEP_2) | instskip(NEXT) | instid1(VALU_DEP_1)
	v_mul_lo_u32 v41, v1, s6
	v_cmp_gt_u32_e32 vcc_lo, v41, v40
	s_and_b32 exec_lo, exec_lo, vcc_lo
	s_cbranch_execz .LBB1040_6
; %bb.2:
	s_clause 0x3
	s_load_b32 s2, s[0:1], 0x30
	s_load_b128 s[24:27], s[0:1], 0x20
	s_load_b256 s[16:23], s[0:1], 0x0
	s_load_b64 s[28:29], s[0:1], 0x50
	s_add_nc_u64 s[14:15], s[0:1], 0x58
	s_wait_kmcnt 0x0
	s_bitcmp0_b32 s2, 0
	s_mov_b32 s2, -1
	s_cbranch_scc0 .LBB1040_4
; %bb.3:
	s_mov_b64 s[0:1], src_shared_base
	v_dual_mov_b32 v31, v0 :: v_dual_mov_b32 v42, v0
	v_dual_mov_b32 v0, s16 :: v_dual_mov_b32 v1, s17
	;; [unrolled: 1-line block ×7, first 2 shown]
	s_wait_alu 0xfffe
	v_dual_mov_b32 v12, 0 :: v_dual_mov_b32 v13, s1
	s_getpc_b64 s[2:3]
	s_wait_alu 0xfffe
	s_sext_i32_i16 s3, s3
	s_add_co_u32 s2, s2, _ZN7rocprim17ROCPRIM_400000_NS6detail26segmented_warp_sort_helperINS1_20WarpSortHelperConfigILj8ELj4ELj256EEEslLi256ELb0EvE4sortIPKsPsPKlPlEEvT_T0_T1_T2_jjjjRNS5_12storage_typeE@rel32@lo+12
	s_wait_alu 0xfffe
	s_add_co_ci_u32 s3, s3, _ZN7rocprim17ROCPRIM_400000_NS6detail26segmented_warp_sort_helperINS1_20WarpSortHelperConfigILj8ELj4ELj256EEEslLi256ELb0EvE4sortIPKsPsPKlPlEEvT_T0_T1_T2_jjjjRNS5_12storage_typeE@rel32@hi+24
	s_mov_b64 s[8:9], s[14:15]
	s_wait_alu 0xfffe
	s_swappc_b64 s[30:31], s[2:3]
	v_mov_b32_e32 v0, v42
	s_mov_b32 s2, 0
.LBB1040_4:
	s_wait_alu 0xfffe
	s_and_not1_b32 vcc_lo, exec_lo, s2
	s_wait_alu 0xfffe
	s_cbranch_vccnz .LBB1040_6
; %bb.5:
	s_mov_b64 s[0:1], src_shared_base
	v_dual_mov_b32 v31, v0 :: v_dual_mov_b32 v0, s16
	v_dual_mov_b32 v1, s17 :: v_dual_mov_b32 v2, s20
	;; [unrolled: 1-line block ×7, first 2 shown]
	s_wait_alu 0xfffe
	v_mov_b32_e32 v13, s1
	s_getpc_b64 s[2:3]
	s_wait_alu 0xfffe
	s_sext_i32_i16 s3, s3
	s_add_co_u32 s2, s2, _ZN7rocprim17ROCPRIM_400000_NS6detail26segmented_warp_sort_helperINS1_20WarpSortHelperConfigILj8ELj4ELj256EEEslLi256ELb0EvE4sortIPKsPsPKlPlEEvT_T0_T1_T2_jjjjRNS5_12storage_typeE@rel32@lo+12
	s_wait_alu 0xfffe
	s_add_co_ci_u32 s3, s3, _ZN7rocprim17ROCPRIM_400000_NS6detail26segmented_warp_sort_helperINS1_20WarpSortHelperConfigILj8ELj4ELj256EEEslLi256ELb0EvE4sortIPKsPsPKlPlEEvT_T0_T1_T2_jjjjRNS5_12storage_typeE@rel32@hi+24
	s_mov_b64 s[8:9], s[14:15]
	s_wait_alu 0xfffe
	s_swappc_b64 s[30:31], s[2:3]
.LBB1040_6:
	s_endpgm
	.section	.rodata,"a",@progbits
	.p2align	6, 0x0
	.amdhsa_kernel _ZN7rocprim17ROCPRIM_400000_NS6detail17trampoline_kernelINS0_14default_configENS1_36segmented_radix_sort_config_selectorIslEEZNS1_25segmented_radix_sort_implIS3_Lb0EPKsPsPKlPlN2at6native12_GLOBAL__N_18offset_tEEE10hipError_tPvRmT1_PNSt15iterator_traitsISK_E10value_typeET2_T3_PNSL_ISQ_E10value_typeET4_jRbjT5_SW_jjP12ihipStream_tbEUlT_E1_NS1_11comp_targetILNS1_3genE10ELNS1_11target_archE1201ELNS1_3gpuE5ELNS1_3repE0EEENS1_59segmented_radix_sort_warp_sort_small_config_static_selectorELNS0_4arch9wavefront6targetE0EEEvSK_
		.amdhsa_group_segment_fixed_size 10240
		.amdhsa_private_segment_fixed_size 0
		.amdhsa_kernarg_size 344
		.amdhsa_user_sgpr_count 2
		.amdhsa_user_sgpr_dispatch_ptr 0
		.amdhsa_user_sgpr_queue_ptr 0
		.amdhsa_user_sgpr_kernarg_segment_ptr 1
		.amdhsa_user_sgpr_dispatch_id 0
		.amdhsa_user_sgpr_private_segment_size 0
		.amdhsa_wavefront_size32 1
		.amdhsa_uses_dynamic_stack 0
		.amdhsa_enable_private_segment 0
		.amdhsa_system_sgpr_workgroup_id_x 1
		.amdhsa_system_sgpr_workgroup_id_y 1
		.amdhsa_system_sgpr_workgroup_id_z 0
		.amdhsa_system_sgpr_workgroup_info 0
		.amdhsa_system_vgpr_workitem_id 2
		.amdhsa_next_free_vgpr 56
		.amdhsa_next_free_sgpr 33
		.amdhsa_reserve_vcc 1
		.amdhsa_float_round_mode_32 0
		.amdhsa_float_round_mode_16_64 0
		.amdhsa_float_denorm_mode_32 3
		.amdhsa_float_denorm_mode_16_64 3
		.amdhsa_fp16_overflow 0
		.amdhsa_workgroup_processor_mode 1
		.amdhsa_memory_ordered 1
		.amdhsa_forward_progress 1
		.amdhsa_inst_pref_size 5
		.amdhsa_round_robin_scheduling 0
		.amdhsa_exception_fp_ieee_invalid_op 0
		.amdhsa_exception_fp_denorm_src 0
		.amdhsa_exception_fp_ieee_div_zero 0
		.amdhsa_exception_fp_ieee_overflow 0
		.amdhsa_exception_fp_ieee_underflow 0
		.amdhsa_exception_fp_ieee_inexact 0
		.amdhsa_exception_int_div_zero 0
	.end_amdhsa_kernel
	.section	.text._ZN7rocprim17ROCPRIM_400000_NS6detail17trampoline_kernelINS0_14default_configENS1_36segmented_radix_sort_config_selectorIslEEZNS1_25segmented_radix_sort_implIS3_Lb0EPKsPsPKlPlN2at6native12_GLOBAL__N_18offset_tEEE10hipError_tPvRmT1_PNSt15iterator_traitsISK_E10value_typeET2_T3_PNSL_ISQ_E10value_typeET4_jRbjT5_SW_jjP12ihipStream_tbEUlT_E1_NS1_11comp_targetILNS1_3genE10ELNS1_11target_archE1201ELNS1_3gpuE5ELNS1_3repE0EEENS1_59segmented_radix_sort_warp_sort_small_config_static_selectorELNS0_4arch9wavefront6targetE0EEEvSK_,"axG",@progbits,_ZN7rocprim17ROCPRIM_400000_NS6detail17trampoline_kernelINS0_14default_configENS1_36segmented_radix_sort_config_selectorIslEEZNS1_25segmented_radix_sort_implIS3_Lb0EPKsPsPKlPlN2at6native12_GLOBAL__N_18offset_tEEE10hipError_tPvRmT1_PNSt15iterator_traitsISK_E10value_typeET2_T3_PNSL_ISQ_E10value_typeET4_jRbjT5_SW_jjP12ihipStream_tbEUlT_E1_NS1_11comp_targetILNS1_3genE10ELNS1_11target_archE1201ELNS1_3gpuE5ELNS1_3repE0EEENS1_59segmented_radix_sort_warp_sort_small_config_static_selectorELNS0_4arch9wavefront6targetE0EEEvSK_,comdat
.Lfunc_end1040:
	.size	_ZN7rocprim17ROCPRIM_400000_NS6detail17trampoline_kernelINS0_14default_configENS1_36segmented_radix_sort_config_selectorIslEEZNS1_25segmented_radix_sort_implIS3_Lb0EPKsPsPKlPlN2at6native12_GLOBAL__N_18offset_tEEE10hipError_tPvRmT1_PNSt15iterator_traitsISK_E10value_typeET2_T3_PNSL_ISQ_E10value_typeET4_jRbjT5_SW_jjP12ihipStream_tbEUlT_E1_NS1_11comp_targetILNS1_3genE10ELNS1_11target_archE1201ELNS1_3gpuE5ELNS1_3repE0EEENS1_59segmented_radix_sort_warp_sort_small_config_static_selectorELNS0_4arch9wavefront6targetE0EEEvSK_, .Lfunc_end1040-_ZN7rocprim17ROCPRIM_400000_NS6detail17trampoline_kernelINS0_14default_configENS1_36segmented_radix_sort_config_selectorIslEEZNS1_25segmented_radix_sort_implIS3_Lb0EPKsPsPKlPlN2at6native12_GLOBAL__N_18offset_tEEE10hipError_tPvRmT1_PNSt15iterator_traitsISK_E10value_typeET2_T3_PNSL_ISQ_E10value_typeET4_jRbjT5_SW_jjP12ihipStream_tbEUlT_E1_NS1_11comp_targetILNS1_3genE10ELNS1_11target_archE1201ELNS1_3gpuE5ELNS1_3repE0EEENS1_59segmented_radix_sort_warp_sort_small_config_static_selectorELNS0_4arch9wavefront6targetE0EEEvSK_
                                        ; -- End function
	.set _ZN7rocprim17ROCPRIM_400000_NS6detail17trampoline_kernelINS0_14default_configENS1_36segmented_radix_sort_config_selectorIslEEZNS1_25segmented_radix_sort_implIS3_Lb0EPKsPsPKlPlN2at6native12_GLOBAL__N_18offset_tEEE10hipError_tPvRmT1_PNSt15iterator_traitsISK_E10value_typeET2_T3_PNSL_ISQ_E10value_typeET4_jRbjT5_SW_jjP12ihipStream_tbEUlT_E1_NS1_11comp_targetILNS1_3genE10ELNS1_11target_archE1201ELNS1_3gpuE5ELNS1_3repE0EEENS1_59segmented_radix_sort_warp_sort_small_config_static_selectorELNS0_4arch9wavefront6targetE0EEEvSK_.num_vgpr, max(43, .L_ZN7rocprim17ROCPRIM_400000_NS6detail26segmented_warp_sort_helperINS1_20WarpSortHelperConfigILj8ELj4ELj256EEEslLi256ELb0EvE4sortIPKsPsPKlPlEEvT_T0_T1_T2_jjjjRNS5_12storage_typeE.num_vgpr)
	.set _ZN7rocprim17ROCPRIM_400000_NS6detail17trampoline_kernelINS0_14default_configENS1_36segmented_radix_sort_config_selectorIslEEZNS1_25segmented_radix_sort_implIS3_Lb0EPKsPsPKlPlN2at6native12_GLOBAL__N_18offset_tEEE10hipError_tPvRmT1_PNSt15iterator_traitsISK_E10value_typeET2_T3_PNSL_ISQ_E10value_typeET4_jRbjT5_SW_jjP12ihipStream_tbEUlT_E1_NS1_11comp_targetILNS1_3genE10ELNS1_11target_archE1201ELNS1_3gpuE5ELNS1_3repE0EEENS1_59segmented_radix_sort_warp_sort_small_config_static_selectorELNS0_4arch9wavefront6targetE0EEEvSK_.num_agpr, max(0, .L_ZN7rocprim17ROCPRIM_400000_NS6detail26segmented_warp_sort_helperINS1_20WarpSortHelperConfigILj8ELj4ELj256EEEslLi256ELb0EvE4sortIPKsPsPKlPlEEvT_T0_T1_T2_jjjjRNS5_12storage_typeE.num_agpr)
	.set _ZN7rocprim17ROCPRIM_400000_NS6detail17trampoline_kernelINS0_14default_configENS1_36segmented_radix_sort_config_selectorIslEEZNS1_25segmented_radix_sort_implIS3_Lb0EPKsPsPKlPlN2at6native12_GLOBAL__N_18offset_tEEE10hipError_tPvRmT1_PNSt15iterator_traitsISK_E10value_typeET2_T3_PNSL_ISQ_E10value_typeET4_jRbjT5_SW_jjP12ihipStream_tbEUlT_E1_NS1_11comp_targetILNS1_3genE10ELNS1_11target_archE1201ELNS1_3gpuE5ELNS1_3repE0EEENS1_59segmented_radix_sort_warp_sort_small_config_static_selectorELNS0_4arch9wavefront6targetE0EEEvSK_.numbered_sgpr, max(33, .L_ZN7rocprim17ROCPRIM_400000_NS6detail26segmented_warp_sort_helperINS1_20WarpSortHelperConfigILj8ELj4ELj256EEEslLi256ELb0EvE4sortIPKsPsPKlPlEEvT_T0_T1_T2_jjjjRNS5_12storage_typeE.numbered_sgpr)
	.set _ZN7rocprim17ROCPRIM_400000_NS6detail17trampoline_kernelINS0_14default_configENS1_36segmented_radix_sort_config_selectorIslEEZNS1_25segmented_radix_sort_implIS3_Lb0EPKsPsPKlPlN2at6native12_GLOBAL__N_18offset_tEEE10hipError_tPvRmT1_PNSt15iterator_traitsISK_E10value_typeET2_T3_PNSL_ISQ_E10value_typeET4_jRbjT5_SW_jjP12ihipStream_tbEUlT_E1_NS1_11comp_targetILNS1_3genE10ELNS1_11target_archE1201ELNS1_3gpuE5ELNS1_3repE0EEENS1_59segmented_radix_sort_warp_sort_small_config_static_selectorELNS0_4arch9wavefront6targetE0EEEvSK_.num_named_barrier, max(0, .L_ZN7rocprim17ROCPRIM_400000_NS6detail26segmented_warp_sort_helperINS1_20WarpSortHelperConfigILj8ELj4ELj256EEEslLi256ELb0EvE4sortIPKsPsPKlPlEEvT_T0_T1_T2_jjjjRNS5_12storage_typeE.num_named_barrier)
	.set _ZN7rocprim17ROCPRIM_400000_NS6detail17trampoline_kernelINS0_14default_configENS1_36segmented_radix_sort_config_selectorIslEEZNS1_25segmented_radix_sort_implIS3_Lb0EPKsPsPKlPlN2at6native12_GLOBAL__N_18offset_tEEE10hipError_tPvRmT1_PNSt15iterator_traitsISK_E10value_typeET2_T3_PNSL_ISQ_E10value_typeET4_jRbjT5_SW_jjP12ihipStream_tbEUlT_E1_NS1_11comp_targetILNS1_3genE10ELNS1_11target_archE1201ELNS1_3gpuE5ELNS1_3repE0EEENS1_59segmented_radix_sort_warp_sort_small_config_static_selectorELNS0_4arch9wavefront6targetE0EEEvSK_.private_seg_size, 0+max(.L_ZN7rocprim17ROCPRIM_400000_NS6detail26segmented_warp_sort_helperINS1_20WarpSortHelperConfigILj8ELj4ELj256EEEslLi256ELb0EvE4sortIPKsPsPKlPlEEvT_T0_T1_T2_jjjjRNS5_12storage_typeE.private_seg_size)
	.set _ZN7rocprim17ROCPRIM_400000_NS6detail17trampoline_kernelINS0_14default_configENS1_36segmented_radix_sort_config_selectorIslEEZNS1_25segmented_radix_sort_implIS3_Lb0EPKsPsPKlPlN2at6native12_GLOBAL__N_18offset_tEEE10hipError_tPvRmT1_PNSt15iterator_traitsISK_E10value_typeET2_T3_PNSL_ISQ_E10value_typeET4_jRbjT5_SW_jjP12ihipStream_tbEUlT_E1_NS1_11comp_targetILNS1_3genE10ELNS1_11target_archE1201ELNS1_3gpuE5ELNS1_3repE0EEENS1_59segmented_radix_sort_warp_sort_small_config_static_selectorELNS0_4arch9wavefront6targetE0EEEvSK_.uses_vcc, or(1, .L_ZN7rocprim17ROCPRIM_400000_NS6detail26segmented_warp_sort_helperINS1_20WarpSortHelperConfigILj8ELj4ELj256EEEslLi256ELb0EvE4sortIPKsPsPKlPlEEvT_T0_T1_T2_jjjjRNS5_12storage_typeE.uses_vcc)
	.set _ZN7rocprim17ROCPRIM_400000_NS6detail17trampoline_kernelINS0_14default_configENS1_36segmented_radix_sort_config_selectorIslEEZNS1_25segmented_radix_sort_implIS3_Lb0EPKsPsPKlPlN2at6native12_GLOBAL__N_18offset_tEEE10hipError_tPvRmT1_PNSt15iterator_traitsISK_E10value_typeET2_T3_PNSL_ISQ_E10value_typeET4_jRbjT5_SW_jjP12ihipStream_tbEUlT_E1_NS1_11comp_targetILNS1_3genE10ELNS1_11target_archE1201ELNS1_3gpuE5ELNS1_3repE0EEENS1_59segmented_radix_sort_warp_sort_small_config_static_selectorELNS0_4arch9wavefront6targetE0EEEvSK_.uses_flat_scratch, or(0, .L_ZN7rocprim17ROCPRIM_400000_NS6detail26segmented_warp_sort_helperINS1_20WarpSortHelperConfigILj8ELj4ELj256EEEslLi256ELb0EvE4sortIPKsPsPKlPlEEvT_T0_T1_T2_jjjjRNS5_12storage_typeE.uses_flat_scratch)
	.set _ZN7rocprim17ROCPRIM_400000_NS6detail17trampoline_kernelINS0_14default_configENS1_36segmented_radix_sort_config_selectorIslEEZNS1_25segmented_radix_sort_implIS3_Lb0EPKsPsPKlPlN2at6native12_GLOBAL__N_18offset_tEEE10hipError_tPvRmT1_PNSt15iterator_traitsISK_E10value_typeET2_T3_PNSL_ISQ_E10value_typeET4_jRbjT5_SW_jjP12ihipStream_tbEUlT_E1_NS1_11comp_targetILNS1_3genE10ELNS1_11target_archE1201ELNS1_3gpuE5ELNS1_3repE0EEENS1_59segmented_radix_sort_warp_sort_small_config_static_selectorELNS0_4arch9wavefront6targetE0EEEvSK_.has_dyn_sized_stack, or(0, .L_ZN7rocprim17ROCPRIM_400000_NS6detail26segmented_warp_sort_helperINS1_20WarpSortHelperConfigILj8ELj4ELj256EEEslLi256ELb0EvE4sortIPKsPsPKlPlEEvT_T0_T1_T2_jjjjRNS5_12storage_typeE.has_dyn_sized_stack)
	.set _ZN7rocprim17ROCPRIM_400000_NS6detail17trampoline_kernelINS0_14default_configENS1_36segmented_radix_sort_config_selectorIslEEZNS1_25segmented_radix_sort_implIS3_Lb0EPKsPsPKlPlN2at6native12_GLOBAL__N_18offset_tEEE10hipError_tPvRmT1_PNSt15iterator_traitsISK_E10value_typeET2_T3_PNSL_ISQ_E10value_typeET4_jRbjT5_SW_jjP12ihipStream_tbEUlT_E1_NS1_11comp_targetILNS1_3genE10ELNS1_11target_archE1201ELNS1_3gpuE5ELNS1_3repE0EEENS1_59segmented_radix_sort_warp_sort_small_config_static_selectorELNS0_4arch9wavefront6targetE0EEEvSK_.has_recursion, or(0, .L_ZN7rocprim17ROCPRIM_400000_NS6detail26segmented_warp_sort_helperINS1_20WarpSortHelperConfigILj8ELj4ELj256EEEslLi256ELb0EvE4sortIPKsPsPKlPlEEvT_T0_T1_T2_jjjjRNS5_12storage_typeE.has_recursion)
	.set _ZN7rocprim17ROCPRIM_400000_NS6detail17trampoline_kernelINS0_14default_configENS1_36segmented_radix_sort_config_selectorIslEEZNS1_25segmented_radix_sort_implIS3_Lb0EPKsPsPKlPlN2at6native12_GLOBAL__N_18offset_tEEE10hipError_tPvRmT1_PNSt15iterator_traitsISK_E10value_typeET2_T3_PNSL_ISQ_E10value_typeET4_jRbjT5_SW_jjP12ihipStream_tbEUlT_E1_NS1_11comp_targetILNS1_3genE10ELNS1_11target_archE1201ELNS1_3gpuE5ELNS1_3repE0EEENS1_59segmented_radix_sort_warp_sort_small_config_static_selectorELNS0_4arch9wavefront6targetE0EEEvSK_.has_indirect_call, or(0, .L_ZN7rocprim17ROCPRIM_400000_NS6detail26segmented_warp_sort_helperINS1_20WarpSortHelperConfigILj8ELj4ELj256EEEslLi256ELb0EvE4sortIPKsPsPKlPlEEvT_T0_T1_T2_jjjjRNS5_12storage_typeE.has_indirect_call)
	.section	.AMDGPU.csdata,"",@progbits
; Kernel info:
; codeLenInByte = 544
; TotalNumSgprs: 35
; NumVgprs: 56
; ScratchSize: 0
; MemoryBound: 0
; FloatMode: 240
; IeeeMode: 1
; LDSByteSize: 10240 bytes/workgroup (compile time only)
; SGPRBlocks: 0
; VGPRBlocks: 6
; NumSGPRsForWavesPerEU: 35
; NumVGPRsForWavesPerEU: 56
; Occupancy: 16
; WaveLimiterHint : 0
; COMPUTE_PGM_RSRC2:SCRATCH_EN: 0
; COMPUTE_PGM_RSRC2:USER_SGPR: 2
; COMPUTE_PGM_RSRC2:TRAP_HANDLER: 0
; COMPUTE_PGM_RSRC2:TGID_X_EN: 1
; COMPUTE_PGM_RSRC2:TGID_Y_EN: 1
; COMPUTE_PGM_RSRC2:TGID_Z_EN: 0
; COMPUTE_PGM_RSRC2:TIDIG_COMP_CNT: 2
	.section	.text._ZN7rocprim17ROCPRIM_400000_NS6detail17trampoline_kernelINS0_14default_configENS1_36segmented_radix_sort_config_selectorIslEEZNS1_25segmented_radix_sort_implIS3_Lb0EPKsPsPKlPlN2at6native12_GLOBAL__N_18offset_tEEE10hipError_tPvRmT1_PNSt15iterator_traitsISK_E10value_typeET2_T3_PNSL_ISQ_E10value_typeET4_jRbjT5_SW_jjP12ihipStream_tbEUlT_E1_NS1_11comp_targetILNS1_3genE10ELNS1_11target_archE1200ELNS1_3gpuE4ELNS1_3repE0EEENS1_59segmented_radix_sort_warp_sort_small_config_static_selectorELNS0_4arch9wavefront6targetE0EEEvSK_,"axG",@progbits,_ZN7rocprim17ROCPRIM_400000_NS6detail17trampoline_kernelINS0_14default_configENS1_36segmented_radix_sort_config_selectorIslEEZNS1_25segmented_radix_sort_implIS3_Lb0EPKsPsPKlPlN2at6native12_GLOBAL__N_18offset_tEEE10hipError_tPvRmT1_PNSt15iterator_traitsISK_E10value_typeET2_T3_PNSL_ISQ_E10value_typeET4_jRbjT5_SW_jjP12ihipStream_tbEUlT_E1_NS1_11comp_targetILNS1_3genE10ELNS1_11target_archE1200ELNS1_3gpuE4ELNS1_3repE0EEENS1_59segmented_radix_sort_warp_sort_small_config_static_selectorELNS0_4arch9wavefront6targetE0EEEvSK_,comdat
	.globl	_ZN7rocprim17ROCPRIM_400000_NS6detail17trampoline_kernelINS0_14default_configENS1_36segmented_radix_sort_config_selectorIslEEZNS1_25segmented_radix_sort_implIS3_Lb0EPKsPsPKlPlN2at6native12_GLOBAL__N_18offset_tEEE10hipError_tPvRmT1_PNSt15iterator_traitsISK_E10value_typeET2_T3_PNSL_ISQ_E10value_typeET4_jRbjT5_SW_jjP12ihipStream_tbEUlT_E1_NS1_11comp_targetILNS1_3genE10ELNS1_11target_archE1200ELNS1_3gpuE4ELNS1_3repE0EEENS1_59segmented_radix_sort_warp_sort_small_config_static_selectorELNS0_4arch9wavefront6targetE0EEEvSK_ ; -- Begin function _ZN7rocprim17ROCPRIM_400000_NS6detail17trampoline_kernelINS0_14default_configENS1_36segmented_radix_sort_config_selectorIslEEZNS1_25segmented_radix_sort_implIS3_Lb0EPKsPsPKlPlN2at6native12_GLOBAL__N_18offset_tEEE10hipError_tPvRmT1_PNSt15iterator_traitsISK_E10value_typeET2_T3_PNSL_ISQ_E10value_typeET4_jRbjT5_SW_jjP12ihipStream_tbEUlT_E1_NS1_11comp_targetILNS1_3genE10ELNS1_11target_archE1200ELNS1_3gpuE4ELNS1_3repE0EEENS1_59segmented_radix_sort_warp_sort_small_config_static_selectorELNS0_4arch9wavefront6targetE0EEEvSK_
	.p2align	8
	.type	_ZN7rocprim17ROCPRIM_400000_NS6detail17trampoline_kernelINS0_14default_configENS1_36segmented_radix_sort_config_selectorIslEEZNS1_25segmented_radix_sort_implIS3_Lb0EPKsPsPKlPlN2at6native12_GLOBAL__N_18offset_tEEE10hipError_tPvRmT1_PNSt15iterator_traitsISK_E10value_typeET2_T3_PNSL_ISQ_E10value_typeET4_jRbjT5_SW_jjP12ihipStream_tbEUlT_E1_NS1_11comp_targetILNS1_3genE10ELNS1_11target_archE1200ELNS1_3gpuE4ELNS1_3repE0EEENS1_59segmented_radix_sort_warp_sort_small_config_static_selectorELNS0_4arch9wavefront6targetE0EEEvSK_,@function
_ZN7rocprim17ROCPRIM_400000_NS6detail17trampoline_kernelINS0_14default_configENS1_36segmented_radix_sort_config_selectorIslEEZNS1_25segmented_radix_sort_implIS3_Lb0EPKsPsPKlPlN2at6native12_GLOBAL__N_18offset_tEEE10hipError_tPvRmT1_PNSt15iterator_traitsISK_E10value_typeET2_T3_PNSL_ISQ_E10value_typeET4_jRbjT5_SW_jjP12ihipStream_tbEUlT_E1_NS1_11comp_targetILNS1_3genE10ELNS1_11target_archE1200ELNS1_3gpuE4ELNS1_3repE0EEENS1_59segmented_radix_sort_warp_sort_small_config_static_selectorELNS0_4arch9wavefront6targetE0EEEvSK_: ; @_ZN7rocprim17ROCPRIM_400000_NS6detail17trampoline_kernelINS0_14default_configENS1_36segmented_radix_sort_config_selectorIslEEZNS1_25segmented_radix_sort_implIS3_Lb0EPKsPsPKlPlN2at6native12_GLOBAL__N_18offset_tEEE10hipError_tPvRmT1_PNSt15iterator_traitsISK_E10value_typeET2_T3_PNSL_ISQ_E10value_typeET4_jRbjT5_SW_jjP12ihipStream_tbEUlT_E1_NS1_11comp_targetILNS1_3genE10ELNS1_11target_archE1200ELNS1_3gpuE4ELNS1_3repE0EEENS1_59segmented_radix_sort_warp_sort_small_config_static_selectorELNS0_4arch9wavefront6targetE0EEEvSK_
; %bb.0:
	.section	.rodata,"a",@progbits
	.p2align	6, 0x0
	.amdhsa_kernel _ZN7rocprim17ROCPRIM_400000_NS6detail17trampoline_kernelINS0_14default_configENS1_36segmented_radix_sort_config_selectorIslEEZNS1_25segmented_radix_sort_implIS3_Lb0EPKsPsPKlPlN2at6native12_GLOBAL__N_18offset_tEEE10hipError_tPvRmT1_PNSt15iterator_traitsISK_E10value_typeET2_T3_PNSL_ISQ_E10value_typeET4_jRbjT5_SW_jjP12ihipStream_tbEUlT_E1_NS1_11comp_targetILNS1_3genE10ELNS1_11target_archE1200ELNS1_3gpuE4ELNS1_3repE0EEENS1_59segmented_radix_sort_warp_sort_small_config_static_selectorELNS0_4arch9wavefront6targetE0EEEvSK_
		.amdhsa_group_segment_fixed_size 0
		.amdhsa_private_segment_fixed_size 0
		.amdhsa_kernarg_size 88
		.amdhsa_user_sgpr_count 2
		.amdhsa_user_sgpr_dispatch_ptr 0
		.amdhsa_user_sgpr_queue_ptr 0
		.amdhsa_user_sgpr_kernarg_segment_ptr 1
		.amdhsa_user_sgpr_dispatch_id 0
		.amdhsa_user_sgpr_private_segment_size 0
		.amdhsa_wavefront_size32 1
		.amdhsa_uses_dynamic_stack 0
		.amdhsa_enable_private_segment 0
		.amdhsa_system_sgpr_workgroup_id_x 1
		.amdhsa_system_sgpr_workgroup_id_y 0
		.amdhsa_system_sgpr_workgroup_id_z 0
		.amdhsa_system_sgpr_workgroup_info 0
		.amdhsa_system_vgpr_workitem_id 0
		.amdhsa_next_free_vgpr 1
		.amdhsa_next_free_sgpr 1
		.amdhsa_reserve_vcc 0
		.amdhsa_float_round_mode_32 0
		.amdhsa_float_round_mode_16_64 0
		.amdhsa_float_denorm_mode_32 3
		.amdhsa_float_denorm_mode_16_64 3
		.amdhsa_fp16_overflow 0
		.amdhsa_workgroup_processor_mode 1
		.amdhsa_memory_ordered 1
		.amdhsa_forward_progress 1
		.amdhsa_inst_pref_size 0
		.amdhsa_round_robin_scheduling 0
		.amdhsa_exception_fp_ieee_invalid_op 0
		.amdhsa_exception_fp_denorm_src 0
		.amdhsa_exception_fp_ieee_div_zero 0
		.amdhsa_exception_fp_ieee_overflow 0
		.amdhsa_exception_fp_ieee_underflow 0
		.amdhsa_exception_fp_ieee_inexact 0
		.amdhsa_exception_int_div_zero 0
	.end_amdhsa_kernel
	.section	.text._ZN7rocprim17ROCPRIM_400000_NS6detail17trampoline_kernelINS0_14default_configENS1_36segmented_radix_sort_config_selectorIslEEZNS1_25segmented_radix_sort_implIS3_Lb0EPKsPsPKlPlN2at6native12_GLOBAL__N_18offset_tEEE10hipError_tPvRmT1_PNSt15iterator_traitsISK_E10value_typeET2_T3_PNSL_ISQ_E10value_typeET4_jRbjT5_SW_jjP12ihipStream_tbEUlT_E1_NS1_11comp_targetILNS1_3genE10ELNS1_11target_archE1200ELNS1_3gpuE4ELNS1_3repE0EEENS1_59segmented_radix_sort_warp_sort_small_config_static_selectorELNS0_4arch9wavefront6targetE0EEEvSK_,"axG",@progbits,_ZN7rocprim17ROCPRIM_400000_NS6detail17trampoline_kernelINS0_14default_configENS1_36segmented_radix_sort_config_selectorIslEEZNS1_25segmented_radix_sort_implIS3_Lb0EPKsPsPKlPlN2at6native12_GLOBAL__N_18offset_tEEE10hipError_tPvRmT1_PNSt15iterator_traitsISK_E10value_typeET2_T3_PNSL_ISQ_E10value_typeET4_jRbjT5_SW_jjP12ihipStream_tbEUlT_E1_NS1_11comp_targetILNS1_3genE10ELNS1_11target_archE1200ELNS1_3gpuE4ELNS1_3repE0EEENS1_59segmented_radix_sort_warp_sort_small_config_static_selectorELNS0_4arch9wavefront6targetE0EEEvSK_,comdat
.Lfunc_end1041:
	.size	_ZN7rocprim17ROCPRIM_400000_NS6detail17trampoline_kernelINS0_14default_configENS1_36segmented_radix_sort_config_selectorIslEEZNS1_25segmented_radix_sort_implIS3_Lb0EPKsPsPKlPlN2at6native12_GLOBAL__N_18offset_tEEE10hipError_tPvRmT1_PNSt15iterator_traitsISK_E10value_typeET2_T3_PNSL_ISQ_E10value_typeET4_jRbjT5_SW_jjP12ihipStream_tbEUlT_E1_NS1_11comp_targetILNS1_3genE10ELNS1_11target_archE1200ELNS1_3gpuE4ELNS1_3repE0EEENS1_59segmented_radix_sort_warp_sort_small_config_static_selectorELNS0_4arch9wavefront6targetE0EEEvSK_, .Lfunc_end1041-_ZN7rocprim17ROCPRIM_400000_NS6detail17trampoline_kernelINS0_14default_configENS1_36segmented_radix_sort_config_selectorIslEEZNS1_25segmented_radix_sort_implIS3_Lb0EPKsPsPKlPlN2at6native12_GLOBAL__N_18offset_tEEE10hipError_tPvRmT1_PNSt15iterator_traitsISK_E10value_typeET2_T3_PNSL_ISQ_E10value_typeET4_jRbjT5_SW_jjP12ihipStream_tbEUlT_E1_NS1_11comp_targetILNS1_3genE10ELNS1_11target_archE1200ELNS1_3gpuE4ELNS1_3repE0EEENS1_59segmented_radix_sort_warp_sort_small_config_static_selectorELNS0_4arch9wavefront6targetE0EEEvSK_
                                        ; -- End function
	.set _ZN7rocprim17ROCPRIM_400000_NS6detail17trampoline_kernelINS0_14default_configENS1_36segmented_radix_sort_config_selectorIslEEZNS1_25segmented_radix_sort_implIS3_Lb0EPKsPsPKlPlN2at6native12_GLOBAL__N_18offset_tEEE10hipError_tPvRmT1_PNSt15iterator_traitsISK_E10value_typeET2_T3_PNSL_ISQ_E10value_typeET4_jRbjT5_SW_jjP12ihipStream_tbEUlT_E1_NS1_11comp_targetILNS1_3genE10ELNS1_11target_archE1200ELNS1_3gpuE4ELNS1_3repE0EEENS1_59segmented_radix_sort_warp_sort_small_config_static_selectorELNS0_4arch9wavefront6targetE0EEEvSK_.num_vgpr, 0
	.set _ZN7rocprim17ROCPRIM_400000_NS6detail17trampoline_kernelINS0_14default_configENS1_36segmented_radix_sort_config_selectorIslEEZNS1_25segmented_radix_sort_implIS3_Lb0EPKsPsPKlPlN2at6native12_GLOBAL__N_18offset_tEEE10hipError_tPvRmT1_PNSt15iterator_traitsISK_E10value_typeET2_T3_PNSL_ISQ_E10value_typeET4_jRbjT5_SW_jjP12ihipStream_tbEUlT_E1_NS1_11comp_targetILNS1_3genE10ELNS1_11target_archE1200ELNS1_3gpuE4ELNS1_3repE0EEENS1_59segmented_radix_sort_warp_sort_small_config_static_selectorELNS0_4arch9wavefront6targetE0EEEvSK_.num_agpr, 0
	.set _ZN7rocprim17ROCPRIM_400000_NS6detail17trampoline_kernelINS0_14default_configENS1_36segmented_radix_sort_config_selectorIslEEZNS1_25segmented_radix_sort_implIS3_Lb0EPKsPsPKlPlN2at6native12_GLOBAL__N_18offset_tEEE10hipError_tPvRmT1_PNSt15iterator_traitsISK_E10value_typeET2_T3_PNSL_ISQ_E10value_typeET4_jRbjT5_SW_jjP12ihipStream_tbEUlT_E1_NS1_11comp_targetILNS1_3genE10ELNS1_11target_archE1200ELNS1_3gpuE4ELNS1_3repE0EEENS1_59segmented_radix_sort_warp_sort_small_config_static_selectorELNS0_4arch9wavefront6targetE0EEEvSK_.numbered_sgpr, 0
	.set _ZN7rocprim17ROCPRIM_400000_NS6detail17trampoline_kernelINS0_14default_configENS1_36segmented_radix_sort_config_selectorIslEEZNS1_25segmented_radix_sort_implIS3_Lb0EPKsPsPKlPlN2at6native12_GLOBAL__N_18offset_tEEE10hipError_tPvRmT1_PNSt15iterator_traitsISK_E10value_typeET2_T3_PNSL_ISQ_E10value_typeET4_jRbjT5_SW_jjP12ihipStream_tbEUlT_E1_NS1_11comp_targetILNS1_3genE10ELNS1_11target_archE1200ELNS1_3gpuE4ELNS1_3repE0EEENS1_59segmented_radix_sort_warp_sort_small_config_static_selectorELNS0_4arch9wavefront6targetE0EEEvSK_.num_named_barrier, 0
	.set _ZN7rocprim17ROCPRIM_400000_NS6detail17trampoline_kernelINS0_14default_configENS1_36segmented_radix_sort_config_selectorIslEEZNS1_25segmented_radix_sort_implIS3_Lb0EPKsPsPKlPlN2at6native12_GLOBAL__N_18offset_tEEE10hipError_tPvRmT1_PNSt15iterator_traitsISK_E10value_typeET2_T3_PNSL_ISQ_E10value_typeET4_jRbjT5_SW_jjP12ihipStream_tbEUlT_E1_NS1_11comp_targetILNS1_3genE10ELNS1_11target_archE1200ELNS1_3gpuE4ELNS1_3repE0EEENS1_59segmented_radix_sort_warp_sort_small_config_static_selectorELNS0_4arch9wavefront6targetE0EEEvSK_.private_seg_size, 0
	.set _ZN7rocprim17ROCPRIM_400000_NS6detail17trampoline_kernelINS0_14default_configENS1_36segmented_radix_sort_config_selectorIslEEZNS1_25segmented_radix_sort_implIS3_Lb0EPKsPsPKlPlN2at6native12_GLOBAL__N_18offset_tEEE10hipError_tPvRmT1_PNSt15iterator_traitsISK_E10value_typeET2_T3_PNSL_ISQ_E10value_typeET4_jRbjT5_SW_jjP12ihipStream_tbEUlT_E1_NS1_11comp_targetILNS1_3genE10ELNS1_11target_archE1200ELNS1_3gpuE4ELNS1_3repE0EEENS1_59segmented_radix_sort_warp_sort_small_config_static_selectorELNS0_4arch9wavefront6targetE0EEEvSK_.uses_vcc, 0
	.set _ZN7rocprim17ROCPRIM_400000_NS6detail17trampoline_kernelINS0_14default_configENS1_36segmented_radix_sort_config_selectorIslEEZNS1_25segmented_radix_sort_implIS3_Lb0EPKsPsPKlPlN2at6native12_GLOBAL__N_18offset_tEEE10hipError_tPvRmT1_PNSt15iterator_traitsISK_E10value_typeET2_T3_PNSL_ISQ_E10value_typeET4_jRbjT5_SW_jjP12ihipStream_tbEUlT_E1_NS1_11comp_targetILNS1_3genE10ELNS1_11target_archE1200ELNS1_3gpuE4ELNS1_3repE0EEENS1_59segmented_radix_sort_warp_sort_small_config_static_selectorELNS0_4arch9wavefront6targetE0EEEvSK_.uses_flat_scratch, 0
	.set _ZN7rocprim17ROCPRIM_400000_NS6detail17trampoline_kernelINS0_14default_configENS1_36segmented_radix_sort_config_selectorIslEEZNS1_25segmented_radix_sort_implIS3_Lb0EPKsPsPKlPlN2at6native12_GLOBAL__N_18offset_tEEE10hipError_tPvRmT1_PNSt15iterator_traitsISK_E10value_typeET2_T3_PNSL_ISQ_E10value_typeET4_jRbjT5_SW_jjP12ihipStream_tbEUlT_E1_NS1_11comp_targetILNS1_3genE10ELNS1_11target_archE1200ELNS1_3gpuE4ELNS1_3repE0EEENS1_59segmented_radix_sort_warp_sort_small_config_static_selectorELNS0_4arch9wavefront6targetE0EEEvSK_.has_dyn_sized_stack, 0
	.set _ZN7rocprim17ROCPRIM_400000_NS6detail17trampoline_kernelINS0_14default_configENS1_36segmented_radix_sort_config_selectorIslEEZNS1_25segmented_radix_sort_implIS3_Lb0EPKsPsPKlPlN2at6native12_GLOBAL__N_18offset_tEEE10hipError_tPvRmT1_PNSt15iterator_traitsISK_E10value_typeET2_T3_PNSL_ISQ_E10value_typeET4_jRbjT5_SW_jjP12ihipStream_tbEUlT_E1_NS1_11comp_targetILNS1_3genE10ELNS1_11target_archE1200ELNS1_3gpuE4ELNS1_3repE0EEENS1_59segmented_radix_sort_warp_sort_small_config_static_selectorELNS0_4arch9wavefront6targetE0EEEvSK_.has_recursion, 0
	.set _ZN7rocprim17ROCPRIM_400000_NS6detail17trampoline_kernelINS0_14default_configENS1_36segmented_radix_sort_config_selectorIslEEZNS1_25segmented_radix_sort_implIS3_Lb0EPKsPsPKlPlN2at6native12_GLOBAL__N_18offset_tEEE10hipError_tPvRmT1_PNSt15iterator_traitsISK_E10value_typeET2_T3_PNSL_ISQ_E10value_typeET4_jRbjT5_SW_jjP12ihipStream_tbEUlT_E1_NS1_11comp_targetILNS1_3genE10ELNS1_11target_archE1200ELNS1_3gpuE4ELNS1_3repE0EEENS1_59segmented_radix_sort_warp_sort_small_config_static_selectorELNS0_4arch9wavefront6targetE0EEEvSK_.has_indirect_call, 0
	.section	.AMDGPU.csdata,"",@progbits
; Kernel info:
; codeLenInByte = 0
; TotalNumSgprs: 0
; NumVgprs: 0
; ScratchSize: 0
; MemoryBound: 0
; FloatMode: 240
; IeeeMode: 1
; LDSByteSize: 0 bytes/workgroup (compile time only)
; SGPRBlocks: 0
; VGPRBlocks: 0
; NumSGPRsForWavesPerEU: 1
; NumVGPRsForWavesPerEU: 1
; Occupancy: 16
; WaveLimiterHint : 0
; COMPUTE_PGM_RSRC2:SCRATCH_EN: 0
; COMPUTE_PGM_RSRC2:USER_SGPR: 2
; COMPUTE_PGM_RSRC2:TRAP_HANDLER: 0
; COMPUTE_PGM_RSRC2:TGID_X_EN: 1
; COMPUTE_PGM_RSRC2:TGID_Y_EN: 0
; COMPUTE_PGM_RSRC2:TGID_Z_EN: 0
; COMPUTE_PGM_RSRC2:TIDIG_COMP_CNT: 0
	.section	.text._ZN7rocprim17ROCPRIM_400000_NS6detail17trampoline_kernelINS0_14default_configENS1_36segmented_radix_sort_config_selectorIslEEZNS1_25segmented_radix_sort_implIS3_Lb0EPKsPsPKlPlN2at6native12_GLOBAL__N_18offset_tEEE10hipError_tPvRmT1_PNSt15iterator_traitsISK_E10value_typeET2_T3_PNSL_ISQ_E10value_typeET4_jRbjT5_SW_jjP12ihipStream_tbEUlT_E1_NS1_11comp_targetILNS1_3genE9ELNS1_11target_archE1100ELNS1_3gpuE3ELNS1_3repE0EEENS1_59segmented_radix_sort_warp_sort_small_config_static_selectorELNS0_4arch9wavefront6targetE0EEEvSK_,"axG",@progbits,_ZN7rocprim17ROCPRIM_400000_NS6detail17trampoline_kernelINS0_14default_configENS1_36segmented_radix_sort_config_selectorIslEEZNS1_25segmented_radix_sort_implIS3_Lb0EPKsPsPKlPlN2at6native12_GLOBAL__N_18offset_tEEE10hipError_tPvRmT1_PNSt15iterator_traitsISK_E10value_typeET2_T3_PNSL_ISQ_E10value_typeET4_jRbjT5_SW_jjP12ihipStream_tbEUlT_E1_NS1_11comp_targetILNS1_3genE9ELNS1_11target_archE1100ELNS1_3gpuE3ELNS1_3repE0EEENS1_59segmented_radix_sort_warp_sort_small_config_static_selectorELNS0_4arch9wavefront6targetE0EEEvSK_,comdat
	.globl	_ZN7rocprim17ROCPRIM_400000_NS6detail17trampoline_kernelINS0_14default_configENS1_36segmented_radix_sort_config_selectorIslEEZNS1_25segmented_radix_sort_implIS3_Lb0EPKsPsPKlPlN2at6native12_GLOBAL__N_18offset_tEEE10hipError_tPvRmT1_PNSt15iterator_traitsISK_E10value_typeET2_T3_PNSL_ISQ_E10value_typeET4_jRbjT5_SW_jjP12ihipStream_tbEUlT_E1_NS1_11comp_targetILNS1_3genE9ELNS1_11target_archE1100ELNS1_3gpuE3ELNS1_3repE0EEENS1_59segmented_radix_sort_warp_sort_small_config_static_selectorELNS0_4arch9wavefront6targetE0EEEvSK_ ; -- Begin function _ZN7rocprim17ROCPRIM_400000_NS6detail17trampoline_kernelINS0_14default_configENS1_36segmented_radix_sort_config_selectorIslEEZNS1_25segmented_radix_sort_implIS3_Lb0EPKsPsPKlPlN2at6native12_GLOBAL__N_18offset_tEEE10hipError_tPvRmT1_PNSt15iterator_traitsISK_E10value_typeET2_T3_PNSL_ISQ_E10value_typeET4_jRbjT5_SW_jjP12ihipStream_tbEUlT_E1_NS1_11comp_targetILNS1_3genE9ELNS1_11target_archE1100ELNS1_3gpuE3ELNS1_3repE0EEENS1_59segmented_radix_sort_warp_sort_small_config_static_selectorELNS0_4arch9wavefront6targetE0EEEvSK_
	.p2align	8
	.type	_ZN7rocprim17ROCPRIM_400000_NS6detail17trampoline_kernelINS0_14default_configENS1_36segmented_radix_sort_config_selectorIslEEZNS1_25segmented_radix_sort_implIS3_Lb0EPKsPsPKlPlN2at6native12_GLOBAL__N_18offset_tEEE10hipError_tPvRmT1_PNSt15iterator_traitsISK_E10value_typeET2_T3_PNSL_ISQ_E10value_typeET4_jRbjT5_SW_jjP12ihipStream_tbEUlT_E1_NS1_11comp_targetILNS1_3genE9ELNS1_11target_archE1100ELNS1_3gpuE3ELNS1_3repE0EEENS1_59segmented_radix_sort_warp_sort_small_config_static_selectorELNS0_4arch9wavefront6targetE0EEEvSK_,@function
_ZN7rocprim17ROCPRIM_400000_NS6detail17trampoline_kernelINS0_14default_configENS1_36segmented_radix_sort_config_selectorIslEEZNS1_25segmented_radix_sort_implIS3_Lb0EPKsPsPKlPlN2at6native12_GLOBAL__N_18offset_tEEE10hipError_tPvRmT1_PNSt15iterator_traitsISK_E10value_typeET2_T3_PNSL_ISQ_E10value_typeET4_jRbjT5_SW_jjP12ihipStream_tbEUlT_E1_NS1_11comp_targetILNS1_3genE9ELNS1_11target_archE1100ELNS1_3gpuE3ELNS1_3repE0EEENS1_59segmented_radix_sort_warp_sort_small_config_static_selectorELNS0_4arch9wavefront6targetE0EEEvSK_: ; @_ZN7rocprim17ROCPRIM_400000_NS6detail17trampoline_kernelINS0_14default_configENS1_36segmented_radix_sort_config_selectorIslEEZNS1_25segmented_radix_sort_implIS3_Lb0EPKsPsPKlPlN2at6native12_GLOBAL__N_18offset_tEEE10hipError_tPvRmT1_PNSt15iterator_traitsISK_E10value_typeET2_T3_PNSL_ISQ_E10value_typeET4_jRbjT5_SW_jjP12ihipStream_tbEUlT_E1_NS1_11comp_targetILNS1_3genE9ELNS1_11target_archE1100ELNS1_3gpuE3ELNS1_3repE0EEENS1_59segmented_radix_sort_warp_sort_small_config_static_selectorELNS0_4arch9wavefront6targetE0EEEvSK_
; %bb.0:
	.section	.rodata,"a",@progbits
	.p2align	6, 0x0
	.amdhsa_kernel _ZN7rocprim17ROCPRIM_400000_NS6detail17trampoline_kernelINS0_14default_configENS1_36segmented_radix_sort_config_selectorIslEEZNS1_25segmented_radix_sort_implIS3_Lb0EPKsPsPKlPlN2at6native12_GLOBAL__N_18offset_tEEE10hipError_tPvRmT1_PNSt15iterator_traitsISK_E10value_typeET2_T3_PNSL_ISQ_E10value_typeET4_jRbjT5_SW_jjP12ihipStream_tbEUlT_E1_NS1_11comp_targetILNS1_3genE9ELNS1_11target_archE1100ELNS1_3gpuE3ELNS1_3repE0EEENS1_59segmented_radix_sort_warp_sort_small_config_static_selectorELNS0_4arch9wavefront6targetE0EEEvSK_
		.amdhsa_group_segment_fixed_size 0
		.amdhsa_private_segment_fixed_size 0
		.amdhsa_kernarg_size 88
		.amdhsa_user_sgpr_count 2
		.amdhsa_user_sgpr_dispatch_ptr 0
		.amdhsa_user_sgpr_queue_ptr 0
		.amdhsa_user_sgpr_kernarg_segment_ptr 1
		.amdhsa_user_sgpr_dispatch_id 0
		.amdhsa_user_sgpr_private_segment_size 0
		.amdhsa_wavefront_size32 1
		.amdhsa_uses_dynamic_stack 0
		.amdhsa_enable_private_segment 0
		.amdhsa_system_sgpr_workgroup_id_x 1
		.amdhsa_system_sgpr_workgroup_id_y 0
		.amdhsa_system_sgpr_workgroup_id_z 0
		.amdhsa_system_sgpr_workgroup_info 0
		.amdhsa_system_vgpr_workitem_id 0
		.amdhsa_next_free_vgpr 1
		.amdhsa_next_free_sgpr 1
		.amdhsa_reserve_vcc 0
		.amdhsa_float_round_mode_32 0
		.amdhsa_float_round_mode_16_64 0
		.amdhsa_float_denorm_mode_32 3
		.amdhsa_float_denorm_mode_16_64 3
		.amdhsa_fp16_overflow 0
		.amdhsa_workgroup_processor_mode 1
		.amdhsa_memory_ordered 1
		.amdhsa_forward_progress 1
		.amdhsa_inst_pref_size 0
		.amdhsa_round_robin_scheduling 0
		.amdhsa_exception_fp_ieee_invalid_op 0
		.amdhsa_exception_fp_denorm_src 0
		.amdhsa_exception_fp_ieee_div_zero 0
		.amdhsa_exception_fp_ieee_overflow 0
		.amdhsa_exception_fp_ieee_underflow 0
		.amdhsa_exception_fp_ieee_inexact 0
		.amdhsa_exception_int_div_zero 0
	.end_amdhsa_kernel
	.section	.text._ZN7rocprim17ROCPRIM_400000_NS6detail17trampoline_kernelINS0_14default_configENS1_36segmented_radix_sort_config_selectorIslEEZNS1_25segmented_radix_sort_implIS3_Lb0EPKsPsPKlPlN2at6native12_GLOBAL__N_18offset_tEEE10hipError_tPvRmT1_PNSt15iterator_traitsISK_E10value_typeET2_T3_PNSL_ISQ_E10value_typeET4_jRbjT5_SW_jjP12ihipStream_tbEUlT_E1_NS1_11comp_targetILNS1_3genE9ELNS1_11target_archE1100ELNS1_3gpuE3ELNS1_3repE0EEENS1_59segmented_radix_sort_warp_sort_small_config_static_selectorELNS0_4arch9wavefront6targetE0EEEvSK_,"axG",@progbits,_ZN7rocprim17ROCPRIM_400000_NS6detail17trampoline_kernelINS0_14default_configENS1_36segmented_radix_sort_config_selectorIslEEZNS1_25segmented_radix_sort_implIS3_Lb0EPKsPsPKlPlN2at6native12_GLOBAL__N_18offset_tEEE10hipError_tPvRmT1_PNSt15iterator_traitsISK_E10value_typeET2_T3_PNSL_ISQ_E10value_typeET4_jRbjT5_SW_jjP12ihipStream_tbEUlT_E1_NS1_11comp_targetILNS1_3genE9ELNS1_11target_archE1100ELNS1_3gpuE3ELNS1_3repE0EEENS1_59segmented_radix_sort_warp_sort_small_config_static_selectorELNS0_4arch9wavefront6targetE0EEEvSK_,comdat
.Lfunc_end1042:
	.size	_ZN7rocprim17ROCPRIM_400000_NS6detail17trampoline_kernelINS0_14default_configENS1_36segmented_radix_sort_config_selectorIslEEZNS1_25segmented_radix_sort_implIS3_Lb0EPKsPsPKlPlN2at6native12_GLOBAL__N_18offset_tEEE10hipError_tPvRmT1_PNSt15iterator_traitsISK_E10value_typeET2_T3_PNSL_ISQ_E10value_typeET4_jRbjT5_SW_jjP12ihipStream_tbEUlT_E1_NS1_11comp_targetILNS1_3genE9ELNS1_11target_archE1100ELNS1_3gpuE3ELNS1_3repE0EEENS1_59segmented_radix_sort_warp_sort_small_config_static_selectorELNS0_4arch9wavefront6targetE0EEEvSK_, .Lfunc_end1042-_ZN7rocprim17ROCPRIM_400000_NS6detail17trampoline_kernelINS0_14default_configENS1_36segmented_radix_sort_config_selectorIslEEZNS1_25segmented_radix_sort_implIS3_Lb0EPKsPsPKlPlN2at6native12_GLOBAL__N_18offset_tEEE10hipError_tPvRmT1_PNSt15iterator_traitsISK_E10value_typeET2_T3_PNSL_ISQ_E10value_typeET4_jRbjT5_SW_jjP12ihipStream_tbEUlT_E1_NS1_11comp_targetILNS1_3genE9ELNS1_11target_archE1100ELNS1_3gpuE3ELNS1_3repE0EEENS1_59segmented_radix_sort_warp_sort_small_config_static_selectorELNS0_4arch9wavefront6targetE0EEEvSK_
                                        ; -- End function
	.set _ZN7rocprim17ROCPRIM_400000_NS6detail17trampoline_kernelINS0_14default_configENS1_36segmented_radix_sort_config_selectorIslEEZNS1_25segmented_radix_sort_implIS3_Lb0EPKsPsPKlPlN2at6native12_GLOBAL__N_18offset_tEEE10hipError_tPvRmT1_PNSt15iterator_traitsISK_E10value_typeET2_T3_PNSL_ISQ_E10value_typeET4_jRbjT5_SW_jjP12ihipStream_tbEUlT_E1_NS1_11comp_targetILNS1_3genE9ELNS1_11target_archE1100ELNS1_3gpuE3ELNS1_3repE0EEENS1_59segmented_radix_sort_warp_sort_small_config_static_selectorELNS0_4arch9wavefront6targetE0EEEvSK_.num_vgpr, 0
	.set _ZN7rocprim17ROCPRIM_400000_NS6detail17trampoline_kernelINS0_14default_configENS1_36segmented_radix_sort_config_selectorIslEEZNS1_25segmented_radix_sort_implIS3_Lb0EPKsPsPKlPlN2at6native12_GLOBAL__N_18offset_tEEE10hipError_tPvRmT1_PNSt15iterator_traitsISK_E10value_typeET2_T3_PNSL_ISQ_E10value_typeET4_jRbjT5_SW_jjP12ihipStream_tbEUlT_E1_NS1_11comp_targetILNS1_3genE9ELNS1_11target_archE1100ELNS1_3gpuE3ELNS1_3repE0EEENS1_59segmented_radix_sort_warp_sort_small_config_static_selectorELNS0_4arch9wavefront6targetE0EEEvSK_.num_agpr, 0
	.set _ZN7rocprim17ROCPRIM_400000_NS6detail17trampoline_kernelINS0_14default_configENS1_36segmented_radix_sort_config_selectorIslEEZNS1_25segmented_radix_sort_implIS3_Lb0EPKsPsPKlPlN2at6native12_GLOBAL__N_18offset_tEEE10hipError_tPvRmT1_PNSt15iterator_traitsISK_E10value_typeET2_T3_PNSL_ISQ_E10value_typeET4_jRbjT5_SW_jjP12ihipStream_tbEUlT_E1_NS1_11comp_targetILNS1_3genE9ELNS1_11target_archE1100ELNS1_3gpuE3ELNS1_3repE0EEENS1_59segmented_radix_sort_warp_sort_small_config_static_selectorELNS0_4arch9wavefront6targetE0EEEvSK_.numbered_sgpr, 0
	.set _ZN7rocprim17ROCPRIM_400000_NS6detail17trampoline_kernelINS0_14default_configENS1_36segmented_radix_sort_config_selectorIslEEZNS1_25segmented_radix_sort_implIS3_Lb0EPKsPsPKlPlN2at6native12_GLOBAL__N_18offset_tEEE10hipError_tPvRmT1_PNSt15iterator_traitsISK_E10value_typeET2_T3_PNSL_ISQ_E10value_typeET4_jRbjT5_SW_jjP12ihipStream_tbEUlT_E1_NS1_11comp_targetILNS1_3genE9ELNS1_11target_archE1100ELNS1_3gpuE3ELNS1_3repE0EEENS1_59segmented_radix_sort_warp_sort_small_config_static_selectorELNS0_4arch9wavefront6targetE0EEEvSK_.num_named_barrier, 0
	.set _ZN7rocprim17ROCPRIM_400000_NS6detail17trampoline_kernelINS0_14default_configENS1_36segmented_radix_sort_config_selectorIslEEZNS1_25segmented_radix_sort_implIS3_Lb0EPKsPsPKlPlN2at6native12_GLOBAL__N_18offset_tEEE10hipError_tPvRmT1_PNSt15iterator_traitsISK_E10value_typeET2_T3_PNSL_ISQ_E10value_typeET4_jRbjT5_SW_jjP12ihipStream_tbEUlT_E1_NS1_11comp_targetILNS1_3genE9ELNS1_11target_archE1100ELNS1_3gpuE3ELNS1_3repE0EEENS1_59segmented_radix_sort_warp_sort_small_config_static_selectorELNS0_4arch9wavefront6targetE0EEEvSK_.private_seg_size, 0
	.set _ZN7rocprim17ROCPRIM_400000_NS6detail17trampoline_kernelINS0_14default_configENS1_36segmented_radix_sort_config_selectorIslEEZNS1_25segmented_radix_sort_implIS3_Lb0EPKsPsPKlPlN2at6native12_GLOBAL__N_18offset_tEEE10hipError_tPvRmT1_PNSt15iterator_traitsISK_E10value_typeET2_T3_PNSL_ISQ_E10value_typeET4_jRbjT5_SW_jjP12ihipStream_tbEUlT_E1_NS1_11comp_targetILNS1_3genE9ELNS1_11target_archE1100ELNS1_3gpuE3ELNS1_3repE0EEENS1_59segmented_radix_sort_warp_sort_small_config_static_selectorELNS0_4arch9wavefront6targetE0EEEvSK_.uses_vcc, 0
	.set _ZN7rocprim17ROCPRIM_400000_NS6detail17trampoline_kernelINS0_14default_configENS1_36segmented_radix_sort_config_selectorIslEEZNS1_25segmented_radix_sort_implIS3_Lb0EPKsPsPKlPlN2at6native12_GLOBAL__N_18offset_tEEE10hipError_tPvRmT1_PNSt15iterator_traitsISK_E10value_typeET2_T3_PNSL_ISQ_E10value_typeET4_jRbjT5_SW_jjP12ihipStream_tbEUlT_E1_NS1_11comp_targetILNS1_3genE9ELNS1_11target_archE1100ELNS1_3gpuE3ELNS1_3repE0EEENS1_59segmented_radix_sort_warp_sort_small_config_static_selectorELNS0_4arch9wavefront6targetE0EEEvSK_.uses_flat_scratch, 0
	.set _ZN7rocprim17ROCPRIM_400000_NS6detail17trampoline_kernelINS0_14default_configENS1_36segmented_radix_sort_config_selectorIslEEZNS1_25segmented_radix_sort_implIS3_Lb0EPKsPsPKlPlN2at6native12_GLOBAL__N_18offset_tEEE10hipError_tPvRmT1_PNSt15iterator_traitsISK_E10value_typeET2_T3_PNSL_ISQ_E10value_typeET4_jRbjT5_SW_jjP12ihipStream_tbEUlT_E1_NS1_11comp_targetILNS1_3genE9ELNS1_11target_archE1100ELNS1_3gpuE3ELNS1_3repE0EEENS1_59segmented_radix_sort_warp_sort_small_config_static_selectorELNS0_4arch9wavefront6targetE0EEEvSK_.has_dyn_sized_stack, 0
	.set _ZN7rocprim17ROCPRIM_400000_NS6detail17trampoline_kernelINS0_14default_configENS1_36segmented_radix_sort_config_selectorIslEEZNS1_25segmented_radix_sort_implIS3_Lb0EPKsPsPKlPlN2at6native12_GLOBAL__N_18offset_tEEE10hipError_tPvRmT1_PNSt15iterator_traitsISK_E10value_typeET2_T3_PNSL_ISQ_E10value_typeET4_jRbjT5_SW_jjP12ihipStream_tbEUlT_E1_NS1_11comp_targetILNS1_3genE9ELNS1_11target_archE1100ELNS1_3gpuE3ELNS1_3repE0EEENS1_59segmented_radix_sort_warp_sort_small_config_static_selectorELNS0_4arch9wavefront6targetE0EEEvSK_.has_recursion, 0
	.set _ZN7rocprim17ROCPRIM_400000_NS6detail17trampoline_kernelINS0_14default_configENS1_36segmented_radix_sort_config_selectorIslEEZNS1_25segmented_radix_sort_implIS3_Lb0EPKsPsPKlPlN2at6native12_GLOBAL__N_18offset_tEEE10hipError_tPvRmT1_PNSt15iterator_traitsISK_E10value_typeET2_T3_PNSL_ISQ_E10value_typeET4_jRbjT5_SW_jjP12ihipStream_tbEUlT_E1_NS1_11comp_targetILNS1_3genE9ELNS1_11target_archE1100ELNS1_3gpuE3ELNS1_3repE0EEENS1_59segmented_radix_sort_warp_sort_small_config_static_selectorELNS0_4arch9wavefront6targetE0EEEvSK_.has_indirect_call, 0
	.section	.AMDGPU.csdata,"",@progbits
; Kernel info:
; codeLenInByte = 0
; TotalNumSgprs: 0
; NumVgprs: 0
; ScratchSize: 0
; MemoryBound: 0
; FloatMode: 240
; IeeeMode: 1
; LDSByteSize: 0 bytes/workgroup (compile time only)
; SGPRBlocks: 0
; VGPRBlocks: 0
; NumSGPRsForWavesPerEU: 1
; NumVGPRsForWavesPerEU: 1
; Occupancy: 16
; WaveLimiterHint : 0
; COMPUTE_PGM_RSRC2:SCRATCH_EN: 0
; COMPUTE_PGM_RSRC2:USER_SGPR: 2
; COMPUTE_PGM_RSRC2:TRAP_HANDLER: 0
; COMPUTE_PGM_RSRC2:TGID_X_EN: 1
; COMPUTE_PGM_RSRC2:TGID_Y_EN: 0
; COMPUTE_PGM_RSRC2:TGID_Z_EN: 0
; COMPUTE_PGM_RSRC2:TIDIG_COMP_CNT: 0
	.section	.text._ZN7rocprim17ROCPRIM_400000_NS6detail17trampoline_kernelINS0_14default_configENS1_36segmented_radix_sort_config_selectorIslEEZNS1_25segmented_radix_sort_implIS3_Lb0EPKsPsPKlPlN2at6native12_GLOBAL__N_18offset_tEEE10hipError_tPvRmT1_PNSt15iterator_traitsISK_E10value_typeET2_T3_PNSL_ISQ_E10value_typeET4_jRbjT5_SW_jjP12ihipStream_tbEUlT_E1_NS1_11comp_targetILNS1_3genE8ELNS1_11target_archE1030ELNS1_3gpuE2ELNS1_3repE0EEENS1_59segmented_radix_sort_warp_sort_small_config_static_selectorELNS0_4arch9wavefront6targetE0EEEvSK_,"axG",@progbits,_ZN7rocprim17ROCPRIM_400000_NS6detail17trampoline_kernelINS0_14default_configENS1_36segmented_radix_sort_config_selectorIslEEZNS1_25segmented_radix_sort_implIS3_Lb0EPKsPsPKlPlN2at6native12_GLOBAL__N_18offset_tEEE10hipError_tPvRmT1_PNSt15iterator_traitsISK_E10value_typeET2_T3_PNSL_ISQ_E10value_typeET4_jRbjT5_SW_jjP12ihipStream_tbEUlT_E1_NS1_11comp_targetILNS1_3genE8ELNS1_11target_archE1030ELNS1_3gpuE2ELNS1_3repE0EEENS1_59segmented_radix_sort_warp_sort_small_config_static_selectorELNS0_4arch9wavefront6targetE0EEEvSK_,comdat
	.globl	_ZN7rocprim17ROCPRIM_400000_NS6detail17trampoline_kernelINS0_14default_configENS1_36segmented_radix_sort_config_selectorIslEEZNS1_25segmented_radix_sort_implIS3_Lb0EPKsPsPKlPlN2at6native12_GLOBAL__N_18offset_tEEE10hipError_tPvRmT1_PNSt15iterator_traitsISK_E10value_typeET2_T3_PNSL_ISQ_E10value_typeET4_jRbjT5_SW_jjP12ihipStream_tbEUlT_E1_NS1_11comp_targetILNS1_3genE8ELNS1_11target_archE1030ELNS1_3gpuE2ELNS1_3repE0EEENS1_59segmented_radix_sort_warp_sort_small_config_static_selectorELNS0_4arch9wavefront6targetE0EEEvSK_ ; -- Begin function _ZN7rocprim17ROCPRIM_400000_NS6detail17trampoline_kernelINS0_14default_configENS1_36segmented_radix_sort_config_selectorIslEEZNS1_25segmented_radix_sort_implIS3_Lb0EPKsPsPKlPlN2at6native12_GLOBAL__N_18offset_tEEE10hipError_tPvRmT1_PNSt15iterator_traitsISK_E10value_typeET2_T3_PNSL_ISQ_E10value_typeET4_jRbjT5_SW_jjP12ihipStream_tbEUlT_E1_NS1_11comp_targetILNS1_3genE8ELNS1_11target_archE1030ELNS1_3gpuE2ELNS1_3repE0EEENS1_59segmented_radix_sort_warp_sort_small_config_static_selectorELNS0_4arch9wavefront6targetE0EEEvSK_
	.p2align	8
	.type	_ZN7rocprim17ROCPRIM_400000_NS6detail17trampoline_kernelINS0_14default_configENS1_36segmented_radix_sort_config_selectorIslEEZNS1_25segmented_radix_sort_implIS3_Lb0EPKsPsPKlPlN2at6native12_GLOBAL__N_18offset_tEEE10hipError_tPvRmT1_PNSt15iterator_traitsISK_E10value_typeET2_T3_PNSL_ISQ_E10value_typeET4_jRbjT5_SW_jjP12ihipStream_tbEUlT_E1_NS1_11comp_targetILNS1_3genE8ELNS1_11target_archE1030ELNS1_3gpuE2ELNS1_3repE0EEENS1_59segmented_radix_sort_warp_sort_small_config_static_selectorELNS0_4arch9wavefront6targetE0EEEvSK_,@function
_ZN7rocprim17ROCPRIM_400000_NS6detail17trampoline_kernelINS0_14default_configENS1_36segmented_radix_sort_config_selectorIslEEZNS1_25segmented_radix_sort_implIS3_Lb0EPKsPsPKlPlN2at6native12_GLOBAL__N_18offset_tEEE10hipError_tPvRmT1_PNSt15iterator_traitsISK_E10value_typeET2_T3_PNSL_ISQ_E10value_typeET4_jRbjT5_SW_jjP12ihipStream_tbEUlT_E1_NS1_11comp_targetILNS1_3genE8ELNS1_11target_archE1030ELNS1_3gpuE2ELNS1_3repE0EEENS1_59segmented_radix_sort_warp_sort_small_config_static_selectorELNS0_4arch9wavefront6targetE0EEEvSK_: ; @_ZN7rocprim17ROCPRIM_400000_NS6detail17trampoline_kernelINS0_14default_configENS1_36segmented_radix_sort_config_selectorIslEEZNS1_25segmented_radix_sort_implIS3_Lb0EPKsPsPKlPlN2at6native12_GLOBAL__N_18offset_tEEE10hipError_tPvRmT1_PNSt15iterator_traitsISK_E10value_typeET2_T3_PNSL_ISQ_E10value_typeET4_jRbjT5_SW_jjP12ihipStream_tbEUlT_E1_NS1_11comp_targetILNS1_3genE8ELNS1_11target_archE1030ELNS1_3gpuE2ELNS1_3repE0EEENS1_59segmented_radix_sort_warp_sort_small_config_static_selectorELNS0_4arch9wavefront6targetE0EEEvSK_
; %bb.0:
	.section	.rodata,"a",@progbits
	.p2align	6, 0x0
	.amdhsa_kernel _ZN7rocprim17ROCPRIM_400000_NS6detail17trampoline_kernelINS0_14default_configENS1_36segmented_radix_sort_config_selectorIslEEZNS1_25segmented_radix_sort_implIS3_Lb0EPKsPsPKlPlN2at6native12_GLOBAL__N_18offset_tEEE10hipError_tPvRmT1_PNSt15iterator_traitsISK_E10value_typeET2_T3_PNSL_ISQ_E10value_typeET4_jRbjT5_SW_jjP12ihipStream_tbEUlT_E1_NS1_11comp_targetILNS1_3genE8ELNS1_11target_archE1030ELNS1_3gpuE2ELNS1_3repE0EEENS1_59segmented_radix_sort_warp_sort_small_config_static_selectorELNS0_4arch9wavefront6targetE0EEEvSK_
		.amdhsa_group_segment_fixed_size 0
		.amdhsa_private_segment_fixed_size 0
		.amdhsa_kernarg_size 88
		.amdhsa_user_sgpr_count 2
		.amdhsa_user_sgpr_dispatch_ptr 0
		.amdhsa_user_sgpr_queue_ptr 0
		.amdhsa_user_sgpr_kernarg_segment_ptr 1
		.amdhsa_user_sgpr_dispatch_id 0
		.amdhsa_user_sgpr_private_segment_size 0
		.amdhsa_wavefront_size32 1
		.amdhsa_uses_dynamic_stack 0
		.amdhsa_enable_private_segment 0
		.amdhsa_system_sgpr_workgroup_id_x 1
		.amdhsa_system_sgpr_workgroup_id_y 0
		.amdhsa_system_sgpr_workgroup_id_z 0
		.amdhsa_system_sgpr_workgroup_info 0
		.amdhsa_system_vgpr_workitem_id 0
		.amdhsa_next_free_vgpr 1
		.amdhsa_next_free_sgpr 1
		.amdhsa_reserve_vcc 0
		.amdhsa_float_round_mode_32 0
		.amdhsa_float_round_mode_16_64 0
		.amdhsa_float_denorm_mode_32 3
		.amdhsa_float_denorm_mode_16_64 3
		.amdhsa_fp16_overflow 0
		.amdhsa_workgroup_processor_mode 1
		.amdhsa_memory_ordered 1
		.amdhsa_forward_progress 1
		.amdhsa_inst_pref_size 0
		.amdhsa_round_robin_scheduling 0
		.amdhsa_exception_fp_ieee_invalid_op 0
		.amdhsa_exception_fp_denorm_src 0
		.amdhsa_exception_fp_ieee_div_zero 0
		.amdhsa_exception_fp_ieee_overflow 0
		.amdhsa_exception_fp_ieee_underflow 0
		.amdhsa_exception_fp_ieee_inexact 0
		.amdhsa_exception_int_div_zero 0
	.end_amdhsa_kernel
	.section	.text._ZN7rocprim17ROCPRIM_400000_NS6detail17trampoline_kernelINS0_14default_configENS1_36segmented_radix_sort_config_selectorIslEEZNS1_25segmented_radix_sort_implIS3_Lb0EPKsPsPKlPlN2at6native12_GLOBAL__N_18offset_tEEE10hipError_tPvRmT1_PNSt15iterator_traitsISK_E10value_typeET2_T3_PNSL_ISQ_E10value_typeET4_jRbjT5_SW_jjP12ihipStream_tbEUlT_E1_NS1_11comp_targetILNS1_3genE8ELNS1_11target_archE1030ELNS1_3gpuE2ELNS1_3repE0EEENS1_59segmented_radix_sort_warp_sort_small_config_static_selectorELNS0_4arch9wavefront6targetE0EEEvSK_,"axG",@progbits,_ZN7rocprim17ROCPRIM_400000_NS6detail17trampoline_kernelINS0_14default_configENS1_36segmented_radix_sort_config_selectorIslEEZNS1_25segmented_radix_sort_implIS3_Lb0EPKsPsPKlPlN2at6native12_GLOBAL__N_18offset_tEEE10hipError_tPvRmT1_PNSt15iterator_traitsISK_E10value_typeET2_T3_PNSL_ISQ_E10value_typeET4_jRbjT5_SW_jjP12ihipStream_tbEUlT_E1_NS1_11comp_targetILNS1_3genE8ELNS1_11target_archE1030ELNS1_3gpuE2ELNS1_3repE0EEENS1_59segmented_radix_sort_warp_sort_small_config_static_selectorELNS0_4arch9wavefront6targetE0EEEvSK_,comdat
.Lfunc_end1043:
	.size	_ZN7rocprim17ROCPRIM_400000_NS6detail17trampoline_kernelINS0_14default_configENS1_36segmented_radix_sort_config_selectorIslEEZNS1_25segmented_radix_sort_implIS3_Lb0EPKsPsPKlPlN2at6native12_GLOBAL__N_18offset_tEEE10hipError_tPvRmT1_PNSt15iterator_traitsISK_E10value_typeET2_T3_PNSL_ISQ_E10value_typeET4_jRbjT5_SW_jjP12ihipStream_tbEUlT_E1_NS1_11comp_targetILNS1_3genE8ELNS1_11target_archE1030ELNS1_3gpuE2ELNS1_3repE0EEENS1_59segmented_radix_sort_warp_sort_small_config_static_selectorELNS0_4arch9wavefront6targetE0EEEvSK_, .Lfunc_end1043-_ZN7rocprim17ROCPRIM_400000_NS6detail17trampoline_kernelINS0_14default_configENS1_36segmented_radix_sort_config_selectorIslEEZNS1_25segmented_radix_sort_implIS3_Lb0EPKsPsPKlPlN2at6native12_GLOBAL__N_18offset_tEEE10hipError_tPvRmT1_PNSt15iterator_traitsISK_E10value_typeET2_T3_PNSL_ISQ_E10value_typeET4_jRbjT5_SW_jjP12ihipStream_tbEUlT_E1_NS1_11comp_targetILNS1_3genE8ELNS1_11target_archE1030ELNS1_3gpuE2ELNS1_3repE0EEENS1_59segmented_radix_sort_warp_sort_small_config_static_selectorELNS0_4arch9wavefront6targetE0EEEvSK_
                                        ; -- End function
	.set _ZN7rocprim17ROCPRIM_400000_NS6detail17trampoline_kernelINS0_14default_configENS1_36segmented_radix_sort_config_selectorIslEEZNS1_25segmented_radix_sort_implIS3_Lb0EPKsPsPKlPlN2at6native12_GLOBAL__N_18offset_tEEE10hipError_tPvRmT1_PNSt15iterator_traitsISK_E10value_typeET2_T3_PNSL_ISQ_E10value_typeET4_jRbjT5_SW_jjP12ihipStream_tbEUlT_E1_NS1_11comp_targetILNS1_3genE8ELNS1_11target_archE1030ELNS1_3gpuE2ELNS1_3repE0EEENS1_59segmented_radix_sort_warp_sort_small_config_static_selectorELNS0_4arch9wavefront6targetE0EEEvSK_.num_vgpr, 0
	.set _ZN7rocprim17ROCPRIM_400000_NS6detail17trampoline_kernelINS0_14default_configENS1_36segmented_radix_sort_config_selectorIslEEZNS1_25segmented_radix_sort_implIS3_Lb0EPKsPsPKlPlN2at6native12_GLOBAL__N_18offset_tEEE10hipError_tPvRmT1_PNSt15iterator_traitsISK_E10value_typeET2_T3_PNSL_ISQ_E10value_typeET4_jRbjT5_SW_jjP12ihipStream_tbEUlT_E1_NS1_11comp_targetILNS1_3genE8ELNS1_11target_archE1030ELNS1_3gpuE2ELNS1_3repE0EEENS1_59segmented_radix_sort_warp_sort_small_config_static_selectorELNS0_4arch9wavefront6targetE0EEEvSK_.num_agpr, 0
	.set _ZN7rocprim17ROCPRIM_400000_NS6detail17trampoline_kernelINS0_14default_configENS1_36segmented_radix_sort_config_selectorIslEEZNS1_25segmented_radix_sort_implIS3_Lb0EPKsPsPKlPlN2at6native12_GLOBAL__N_18offset_tEEE10hipError_tPvRmT1_PNSt15iterator_traitsISK_E10value_typeET2_T3_PNSL_ISQ_E10value_typeET4_jRbjT5_SW_jjP12ihipStream_tbEUlT_E1_NS1_11comp_targetILNS1_3genE8ELNS1_11target_archE1030ELNS1_3gpuE2ELNS1_3repE0EEENS1_59segmented_radix_sort_warp_sort_small_config_static_selectorELNS0_4arch9wavefront6targetE0EEEvSK_.numbered_sgpr, 0
	.set _ZN7rocprim17ROCPRIM_400000_NS6detail17trampoline_kernelINS0_14default_configENS1_36segmented_radix_sort_config_selectorIslEEZNS1_25segmented_radix_sort_implIS3_Lb0EPKsPsPKlPlN2at6native12_GLOBAL__N_18offset_tEEE10hipError_tPvRmT1_PNSt15iterator_traitsISK_E10value_typeET2_T3_PNSL_ISQ_E10value_typeET4_jRbjT5_SW_jjP12ihipStream_tbEUlT_E1_NS1_11comp_targetILNS1_3genE8ELNS1_11target_archE1030ELNS1_3gpuE2ELNS1_3repE0EEENS1_59segmented_radix_sort_warp_sort_small_config_static_selectorELNS0_4arch9wavefront6targetE0EEEvSK_.num_named_barrier, 0
	.set _ZN7rocprim17ROCPRIM_400000_NS6detail17trampoline_kernelINS0_14default_configENS1_36segmented_radix_sort_config_selectorIslEEZNS1_25segmented_radix_sort_implIS3_Lb0EPKsPsPKlPlN2at6native12_GLOBAL__N_18offset_tEEE10hipError_tPvRmT1_PNSt15iterator_traitsISK_E10value_typeET2_T3_PNSL_ISQ_E10value_typeET4_jRbjT5_SW_jjP12ihipStream_tbEUlT_E1_NS1_11comp_targetILNS1_3genE8ELNS1_11target_archE1030ELNS1_3gpuE2ELNS1_3repE0EEENS1_59segmented_radix_sort_warp_sort_small_config_static_selectorELNS0_4arch9wavefront6targetE0EEEvSK_.private_seg_size, 0
	.set _ZN7rocprim17ROCPRIM_400000_NS6detail17trampoline_kernelINS0_14default_configENS1_36segmented_radix_sort_config_selectorIslEEZNS1_25segmented_radix_sort_implIS3_Lb0EPKsPsPKlPlN2at6native12_GLOBAL__N_18offset_tEEE10hipError_tPvRmT1_PNSt15iterator_traitsISK_E10value_typeET2_T3_PNSL_ISQ_E10value_typeET4_jRbjT5_SW_jjP12ihipStream_tbEUlT_E1_NS1_11comp_targetILNS1_3genE8ELNS1_11target_archE1030ELNS1_3gpuE2ELNS1_3repE0EEENS1_59segmented_radix_sort_warp_sort_small_config_static_selectorELNS0_4arch9wavefront6targetE0EEEvSK_.uses_vcc, 0
	.set _ZN7rocprim17ROCPRIM_400000_NS6detail17trampoline_kernelINS0_14default_configENS1_36segmented_radix_sort_config_selectorIslEEZNS1_25segmented_radix_sort_implIS3_Lb0EPKsPsPKlPlN2at6native12_GLOBAL__N_18offset_tEEE10hipError_tPvRmT1_PNSt15iterator_traitsISK_E10value_typeET2_T3_PNSL_ISQ_E10value_typeET4_jRbjT5_SW_jjP12ihipStream_tbEUlT_E1_NS1_11comp_targetILNS1_3genE8ELNS1_11target_archE1030ELNS1_3gpuE2ELNS1_3repE0EEENS1_59segmented_radix_sort_warp_sort_small_config_static_selectorELNS0_4arch9wavefront6targetE0EEEvSK_.uses_flat_scratch, 0
	.set _ZN7rocprim17ROCPRIM_400000_NS6detail17trampoline_kernelINS0_14default_configENS1_36segmented_radix_sort_config_selectorIslEEZNS1_25segmented_radix_sort_implIS3_Lb0EPKsPsPKlPlN2at6native12_GLOBAL__N_18offset_tEEE10hipError_tPvRmT1_PNSt15iterator_traitsISK_E10value_typeET2_T3_PNSL_ISQ_E10value_typeET4_jRbjT5_SW_jjP12ihipStream_tbEUlT_E1_NS1_11comp_targetILNS1_3genE8ELNS1_11target_archE1030ELNS1_3gpuE2ELNS1_3repE0EEENS1_59segmented_radix_sort_warp_sort_small_config_static_selectorELNS0_4arch9wavefront6targetE0EEEvSK_.has_dyn_sized_stack, 0
	.set _ZN7rocprim17ROCPRIM_400000_NS6detail17trampoline_kernelINS0_14default_configENS1_36segmented_radix_sort_config_selectorIslEEZNS1_25segmented_radix_sort_implIS3_Lb0EPKsPsPKlPlN2at6native12_GLOBAL__N_18offset_tEEE10hipError_tPvRmT1_PNSt15iterator_traitsISK_E10value_typeET2_T3_PNSL_ISQ_E10value_typeET4_jRbjT5_SW_jjP12ihipStream_tbEUlT_E1_NS1_11comp_targetILNS1_3genE8ELNS1_11target_archE1030ELNS1_3gpuE2ELNS1_3repE0EEENS1_59segmented_radix_sort_warp_sort_small_config_static_selectorELNS0_4arch9wavefront6targetE0EEEvSK_.has_recursion, 0
	.set _ZN7rocprim17ROCPRIM_400000_NS6detail17trampoline_kernelINS0_14default_configENS1_36segmented_radix_sort_config_selectorIslEEZNS1_25segmented_radix_sort_implIS3_Lb0EPKsPsPKlPlN2at6native12_GLOBAL__N_18offset_tEEE10hipError_tPvRmT1_PNSt15iterator_traitsISK_E10value_typeET2_T3_PNSL_ISQ_E10value_typeET4_jRbjT5_SW_jjP12ihipStream_tbEUlT_E1_NS1_11comp_targetILNS1_3genE8ELNS1_11target_archE1030ELNS1_3gpuE2ELNS1_3repE0EEENS1_59segmented_radix_sort_warp_sort_small_config_static_selectorELNS0_4arch9wavefront6targetE0EEEvSK_.has_indirect_call, 0
	.section	.AMDGPU.csdata,"",@progbits
; Kernel info:
; codeLenInByte = 0
; TotalNumSgprs: 0
; NumVgprs: 0
; ScratchSize: 0
; MemoryBound: 0
; FloatMode: 240
; IeeeMode: 1
; LDSByteSize: 0 bytes/workgroup (compile time only)
; SGPRBlocks: 0
; VGPRBlocks: 0
; NumSGPRsForWavesPerEU: 1
; NumVGPRsForWavesPerEU: 1
; Occupancy: 16
; WaveLimiterHint : 0
; COMPUTE_PGM_RSRC2:SCRATCH_EN: 0
; COMPUTE_PGM_RSRC2:USER_SGPR: 2
; COMPUTE_PGM_RSRC2:TRAP_HANDLER: 0
; COMPUTE_PGM_RSRC2:TGID_X_EN: 1
; COMPUTE_PGM_RSRC2:TGID_Y_EN: 0
; COMPUTE_PGM_RSRC2:TGID_Z_EN: 0
; COMPUTE_PGM_RSRC2:TIDIG_COMP_CNT: 0
	.section	.text._ZN7rocprim17ROCPRIM_400000_NS6detail17trampoline_kernelINS0_14default_configENS1_36segmented_radix_sort_config_selectorIslEEZNS1_25segmented_radix_sort_implIS3_Lb0EPKsPsPKlPlN2at6native12_GLOBAL__N_18offset_tEEE10hipError_tPvRmT1_PNSt15iterator_traitsISK_E10value_typeET2_T3_PNSL_ISQ_E10value_typeET4_jRbjT5_SW_jjP12ihipStream_tbEUlT_E2_NS1_11comp_targetILNS1_3genE0ELNS1_11target_archE4294967295ELNS1_3gpuE0ELNS1_3repE0EEENS1_30default_config_static_selectorELNS0_4arch9wavefront6targetE0EEEvSK_,"axG",@progbits,_ZN7rocprim17ROCPRIM_400000_NS6detail17trampoline_kernelINS0_14default_configENS1_36segmented_radix_sort_config_selectorIslEEZNS1_25segmented_radix_sort_implIS3_Lb0EPKsPsPKlPlN2at6native12_GLOBAL__N_18offset_tEEE10hipError_tPvRmT1_PNSt15iterator_traitsISK_E10value_typeET2_T3_PNSL_ISQ_E10value_typeET4_jRbjT5_SW_jjP12ihipStream_tbEUlT_E2_NS1_11comp_targetILNS1_3genE0ELNS1_11target_archE4294967295ELNS1_3gpuE0ELNS1_3repE0EEENS1_30default_config_static_selectorELNS0_4arch9wavefront6targetE0EEEvSK_,comdat
	.globl	_ZN7rocprim17ROCPRIM_400000_NS6detail17trampoline_kernelINS0_14default_configENS1_36segmented_radix_sort_config_selectorIslEEZNS1_25segmented_radix_sort_implIS3_Lb0EPKsPsPKlPlN2at6native12_GLOBAL__N_18offset_tEEE10hipError_tPvRmT1_PNSt15iterator_traitsISK_E10value_typeET2_T3_PNSL_ISQ_E10value_typeET4_jRbjT5_SW_jjP12ihipStream_tbEUlT_E2_NS1_11comp_targetILNS1_3genE0ELNS1_11target_archE4294967295ELNS1_3gpuE0ELNS1_3repE0EEENS1_30default_config_static_selectorELNS0_4arch9wavefront6targetE0EEEvSK_ ; -- Begin function _ZN7rocprim17ROCPRIM_400000_NS6detail17trampoline_kernelINS0_14default_configENS1_36segmented_radix_sort_config_selectorIslEEZNS1_25segmented_radix_sort_implIS3_Lb0EPKsPsPKlPlN2at6native12_GLOBAL__N_18offset_tEEE10hipError_tPvRmT1_PNSt15iterator_traitsISK_E10value_typeET2_T3_PNSL_ISQ_E10value_typeET4_jRbjT5_SW_jjP12ihipStream_tbEUlT_E2_NS1_11comp_targetILNS1_3genE0ELNS1_11target_archE4294967295ELNS1_3gpuE0ELNS1_3repE0EEENS1_30default_config_static_selectorELNS0_4arch9wavefront6targetE0EEEvSK_
	.p2align	8
	.type	_ZN7rocprim17ROCPRIM_400000_NS6detail17trampoline_kernelINS0_14default_configENS1_36segmented_radix_sort_config_selectorIslEEZNS1_25segmented_radix_sort_implIS3_Lb0EPKsPsPKlPlN2at6native12_GLOBAL__N_18offset_tEEE10hipError_tPvRmT1_PNSt15iterator_traitsISK_E10value_typeET2_T3_PNSL_ISQ_E10value_typeET4_jRbjT5_SW_jjP12ihipStream_tbEUlT_E2_NS1_11comp_targetILNS1_3genE0ELNS1_11target_archE4294967295ELNS1_3gpuE0ELNS1_3repE0EEENS1_30default_config_static_selectorELNS0_4arch9wavefront6targetE0EEEvSK_,@function
_ZN7rocprim17ROCPRIM_400000_NS6detail17trampoline_kernelINS0_14default_configENS1_36segmented_radix_sort_config_selectorIslEEZNS1_25segmented_radix_sort_implIS3_Lb0EPKsPsPKlPlN2at6native12_GLOBAL__N_18offset_tEEE10hipError_tPvRmT1_PNSt15iterator_traitsISK_E10value_typeET2_T3_PNSL_ISQ_E10value_typeET4_jRbjT5_SW_jjP12ihipStream_tbEUlT_E2_NS1_11comp_targetILNS1_3genE0ELNS1_11target_archE4294967295ELNS1_3gpuE0ELNS1_3repE0EEENS1_30default_config_static_selectorELNS0_4arch9wavefront6targetE0EEEvSK_: ; @_ZN7rocprim17ROCPRIM_400000_NS6detail17trampoline_kernelINS0_14default_configENS1_36segmented_radix_sort_config_selectorIslEEZNS1_25segmented_radix_sort_implIS3_Lb0EPKsPsPKlPlN2at6native12_GLOBAL__N_18offset_tEEE10hipError_tPvRmT1_PNSt15iterator_traitsISK_E10value_typeET2_T3_PNSL_ISQ_E10value_typeET4_jRbjT5_SW_jjP12ihipStream_tbEUlT_E2_NS1_11comp_targetILNS1_3genE0ELNS1_11target_archE4294967295ELNS1_3gpuE0ELNS1_3repE0EEENS1_30default_config_static_selectorELNS0_4arch9wavefront6targetE0EEEvSK_
; %bb.0:
	.section	.rodata,"a",@progbits
	.p2align	6, 0x0
	.amdhsa_kernel _ZN7rocprim17ROCPRIM_400000_NS6detail17trampoline_kernelINS0_14default_configENS1_36segmented_radix_sort_config_selectorIslEEZNS1_25segmented_radix_sort_implIS3_Lb0EPKsPsPKlPlN2at6native12_GLOBAL__N_18offset_tEEE10hipError_tPvRmT1_PNSt15iterator_traitsISK_E10value_typeET2_T3_PNSL_ISQ_E10value_typeET4_jRbjT5_SW_jjP12ihipStream_tbEUlT_E2_NS1_11comp_targetILNS1_3genE0ELNS1_11target_archE4294967295ELNS1_3gpuE0ELNS1_3repE0EEENS1_30default_config_static_selectorELNS0_4arch9wavefront6targetE0EEEvSK_
		.amdhsa_group_segment_fixed_size 0
		.amdhsa_private_segment_fixed_size 0
		.amdhsa_kernarg_size 80
		.amdhsa_user_sgpr_count 2
		.amdhsa_user_sgpr_dispatch_ptr 0
		.amdhsa_user_sgpr_queue_ptr 0
		.amdhsa_user_sgpr_kernarg_segment_ptr 1
		.amdhsa_user_sgpr_dispatch_id 0
		.amdhsa_user_sgpr_private_segment_size 0
		.amdhsa_wavefront_size32 1
		.amdhsa_uses_dynamic_stack 0
		.amdhsa_enable_private_segment 0
		.amdhsa_system_sgpr_workgroup_id_x 1
		.amdhsa_system_sgpr_workgroup_id_y 0
		.amdhsa_system_sgpr_workgroup_id_z 0
		.amdhsa_system_sgpr_workgroup_info 0
		.amdhsa_system_vgpr_workitem_id 0
		.amdhsa_next_free_vgpr 1
		.amdhsa_next_free_sgpr 1
		.amdhsa_reserve_vcc 0
		.amdhsa_float_round_mode_32 0
		.amdhsa_float_round_mode_16_64 0
		.amdhsa_float_denorm_mode_32 3
		.amdhsa_float_denorm_mode_16_64 3
		.amdhsa_fp16_overflow 0
		.amdhsa_workgroup_processor_mode 1
		.amdhsa_memory_ordered 1
		.amdhsa_forward_progress 1
		.amdhsa_inst_pref_size 0
		.amdhsa_round_robin_scheduling 0
		.amdhsa_exception_fp_ieee_invalid_op 0
		.amdhsa_exception_fp_denorm_src 0
		.amdhsa_exception_fp_ieee_div_zero 0
		.amdhsa_exception_fp_ieee_overflow 0
		.amdhsa_exception_fp_ieee_underflow 0
		.amdhsa_exception_fp_ieee_inexact 0
		.amdhsa_exception_int_div_zero 0
	.end_amdhsa_kernel
	.section	.text._ZN7rocprim17ROCPRIM_400000_NS6detail17trampoline_kernelINS0_14default_configENS1_36segmented_radix_sort_config_selectorIslEEZNS1_25segmented_radix_sort_implIS3_Lb0EPKsPsPKlPlN2at6native12_GLOBAL__N_18offset_tEEE10hipError_tPvRmT1_PNSt15iterator_traitsISK_E10value_typeET2_T3_PNSL_ISQ_E10value_typeET4_jRbjT5_SW_jjP12ihipStream_tbEUlT_E2_NS1_11comp_targetILNS1_3genE0ELNS1_11target_archE4294967295ELNS1_3gpuE0ELNS1_3repE0EEENS1_30default_config_static_selectorELNS0_4arch9wavefront6targetE0EEEvSK_,"axG",@progbits,_ZN7rocprim17ROCPRIM_400000_NS6detail17trampoline_kernelINS0_14default_configENS1_36segmented_radix_sort_config_selectorIslEEZNS1_25segmented_radix_sort_implIS3_Lb0EPKsPsPKlPlN2at6native12_GLOBAL__N_18offset_tEEE10hipError_tPvRmT1_PNSt15iterator_traitsISK_E10value_typeET2_T3_PNSL_ISQ_E10value_typeET4_jRbjT5_SW_jjP12ihipStream_tbEUlT_E2_NS1_11comp_targetILNS1_3genE0ELNS1_11target_archE4294967295ELNS1_3gpuE0ELNS1_3repE0EEENS1_30default_config_static_selectorELNS0_4arch9wavefront6targetE0EEEvSK_,comdat
.Lfunc_end1044:
	.size	_ZN7rocprim17ROCPRIM_400000_NS6detail17trampoline_kernelINS0_14default_configENS1_36segmented_radix_sort_config_selectorIslEEZNS1_25segmented_radix_sort_implIS3_Lb0EPKsPsPKlPlN2at6native12_GLOBAL__N_18offset_tEEE10hipError_tPvRmT1_PNSt15iterator_traitsISK_E10value_typeET2_T3_PNSL_ISQ_E10value_typeET4_jRbjT5_SW_jjP12ihipStream_tbEUlT_E2_NS1_11comp_targetILNS1_3genE0ELNS1_11target_archE4294967295ELNS1_3gpuE0ELNS1_3repE0EEENS1_30default_config_static_selectorELNS0_4arch9wavefront6targetE0EEEvSK_, .Lfunc_end1044-_ZN7rocprim17ROCPRIM_400000_NS6detail17trampoline_kernelINS0_14default_configENS1_36segmented_radix_sort_config_selectorIslEEZNS1_25segmented_radix_sort_implIS3_Lb0EPKsPsPKlPlN2at6native12_GLOBAL__N_18offset_tEEE10hipError_tPvRmT1_PNSt15iterator_traitsISK_E10value_typeET2_T3_PNSL_ISQ_E10value_typeET4_jRbjT5_SW_jjP12ihipStream_tbEUlT_E2_NS1_11comp_targetILNS1_3genE0ELNS1_11target_archE4294967295ELNS1_3gpuE0ELNS1_3repE0EEENS1_30default_config_static_selectorELNS0_4arch9wavefront6targetE0EEEvSK_
                                        ; -- End function
	.set _ZN7rocprim17ROCPRIM_400000_NS6detail17trampoline_kernelINS0_14default_configENS1_36segmented_radix_sort_config_selectorIslEEZNS1_25segmented_radix_sort_implIS3_Lb0EPKsPsPKlPlN2at6native12_GLOBAL__N_18offset_tEEE10hipError_tPvRmT1_PNSt15iterator_traitsISK_E10value_typeET2_T3_PNSL_ISQ_E10value_typeET4_jRbjT5_SW_jjP12ihipStream_tbEUlT_E2_NS1_11comp_targetILNS1_3genE0ELNS1_11target_archE4294967295ELNS1_3gpuE0ELNS1_3repE0EEENS1_30default_config_static_selectorELNS0_4arch9wavefront6targetE0EEEvSK_.num_vgpr, 0
	.set _ZN7rocprim17ROCPRIM_400000_NS6detail17trampoline_kernelINS0_14default_configENS1_36segmented_radix_sort_config_selectorIslEEZNS1_25segmented_radix_sort_implIS3_Lb0EPKsPsPKlPlN2at6native12_GLOBAL__N_18offset_tEEE10hipError_tPvRmT1_PNSt15iterator_traitsISK_E10value_typeET2_T3_PNSL_ISQ_E10value_typeET4_jRbjT5_SW_jjP12ihipStream_tbEUlT_E2_NS1_11comp_targetILNS1_3genE0ELNS1_11target_archE4294967295ELNS1_3gpuE0ELNS1_3repE0EEENS1_30default_config_static_selectorELNS0_4arch9wavefront6targetE0EEEvSK_.num_agpr, 0
	.set _ZN7rocprim17ROCPRIM_400000_NS6detail17trampoline_kernelINS0_14default_configENS1_36segmented_radix_sort_config_selectorIslEEZNS1_25segmented_radix_sort_implIS3_Lb0EPKsPsPKlPlN2at6native12_GLOBAL__N_18offset_tEEE10hipError_tPvRmT1_PNSt15iterator_traitsISK_E10value_typeET2_T3_PNSL_ISQ_E10value_typeET4_jRbjT5_SW_jjP12ihipStream_tbEUlT_E2_NS1_11comp_targetILNS1_3genE0ELNS1_11target_archE4294967295ELNS1_3gpuE0ELNS1_3repE0EEENS1_30default_config_static_selectorELNS0_4arch9wavefront6targetE0EEEvSK_.numbered_sgpr, 0
	.set _ZN7rocprim17ROCPRIM_400000_NS6detail17trampoline_kernelINS0_14default_configENS1_36segmented_radix_sort_config_selectorIslEEZNS1_25segmented_radix_sort_implIS3_Lb0EPKsPsPKlPlN2at6native12_GLOBAL__N_18offset_tEEE10hipError_tPvRmT1_PNSt15iterator_traitsISK_E10value_typeET2_T3_PNSL_ISQ_E10value_typeET4_jRbjT5_SW_jjP12ihipStream_tbEUlT_E2_NS1_11comp_targetILNS1_3genE0ELNS1_11target_archE4294967295ELNS1_3gpuE0ELNS1_3repE0EEENS1_30default_config_static_selectorELNS0_4arch9wavefront6targetE0EEEvSK_.num_named_barrier, 0
	.set _ZN7rocprim17ROCPRIM_400000_NS6detail17trampoline_kernelINS0_14default_configENS1_36segmented_radix_sort_config_selectorIslEEZNS1_25segmented_radix_sort_implIS3_Lb0EPKsPsPKlPlN2at6native12_GLOBAL__N_18offset_tEEE10hipError_tPvRmT1_PNSt15iterator_traitsISK_E10value_typeET2_T3_PNSL_ISQ_E10value_typeET4_jRbjT5_SW_jjP12ihipStream_tbEUlT_E2_NS1_11comp_targetILNS1_3genE0ELNS1_11target_archE4294967295ELNS1_3gpuE0ELNS1_3repE0EEENS1_30default_config_static_selectorELNS0_4arch9wavefront6targetE0EEEvSK_.private_seg_size, 0
	.set _ZN7rocprim17ROCPRIM_400000_NS6detail17trampoline_kernelINS0_14default_configENS1_36segmented_radix_sort_config_selectorIslEEZNS1_25segmented_radix_sort_implIS3_Lb0EPKsPsPKlPlN2at6native12_GLOBAL__N_18offset_tEEE10hipError_tPvRmT1_PNSt15iterator_traitsISK_E10value_typeET2_T3_PNSL_ISQ_E10value_typeET4_jRbjT5_SW_jjP12ihipStream_tbEUlT_E2_NS1_11comp_targetILNS1_3genE0ELNS1_11target_archE4294967295ELNS1_3gpuE0ELNS1_3repE0EEENS1_30default_config_static_selectorELNS0_4arch9wavefront6targetE0EEEvSK_.uses_vcc, 0
	.set _ZN7rocprim17ROCPRIM_400000_NS6detail17trampoline_kernelINS0_14default_configENS1_36segmented_radix_sort_config_selectorIslEEZNS1_25segmented_radix_sort_implIS3_Lb0EPKsPsPKlPlN2at6native12_GLOBAL__N_18offset_tEEE10hipError_tPvRmT1_PNSt15iterator_traitsISK_E10value_typeET2_T3_PNSL_ISQ_E10value_typeET4_jRbjT5_SW_jjP12ihipStream_tbEUlT_E2_NS1_11comp_targetILNS1_3genE0ELNS1_11target_archE4294967295ELNS1_3gpuE0ELNS1_3repE0EEENS1_30default_config_static_selectorELNS0_4arch9wavefront6targetE0EEEvSK_.uses_flat_scratch, 0
	.set _ZN7rocprim17ROCPRIM_400000_NS6detail17trampoline_kernelINS0_14default_configENS1_36segmented_radix_sort_config_selectorIslEEZNS1_25segmented_radix_sort_implIS3_Lb0EPKsPsPKlPlN2at6native12_GLOBAL__N_18offset_tEEE10hipError_tPvRmT1_PNSt15iterator_traitsISK_E10value_typeET2_T3_PNSL_ISQ_E10value_typeET4_jRbjT5_SW_jjP12ihipStream_tbEUlT_E2_NS1_11comp_targetILNS1_3genE0ELNS1_11target_archE4294967295ELNS1_3gpuE0ELNS1_3repE0EEENS1_30default_config_static_selectorELNS0_4arch9wavefront6targetE0EEEvSK_.has_dyn_sized_stack, 0
	.set _ZN7rocprim17ROCPRIM_400000_NS6detail17trampoline_kernelINS0_14default_configENS1_36segmented_radix_sort_config_selectorIslEEZNS1_25segmented_radix_sort_implIS3_Lb0EPKsPsPKlPlN2at6native12_GLOBAL__N_18offset_tEEE10hipError_tPvRmT1_PNSt15iterator_traitsISK_E10value_typeET2_T3_PNSL_ISQ_E10value_typeET4_jRbjT5_SW_jjP12ihipStream_tbEUlT_E2_NS1_11comp_targetILNS1_3genE0ELNS1_11target_archE4294967295ELNS1_3gpuE0ELNS1_3repE0EEENS1_30default_config_static_selectorELNS0_4arch9wavefront6targetE0EEEvSK_.has_recursion, 0
	.set _ZN7rocprim17ROCPRIM_400000_NS6detail17trampoline_kernelINS0_14default_configENS1_36segmented_radix_sort_config_selectorIslEEZNS1_25segmented_radix_sort_implIS3_Lb0EPKsPsPKlPlN2at6native12_GLOBAL__N_18offset_tEEE10hipError_tPvRmT1_PNSt15iterator_traitsISK_E10value_typeET2_T3_PNSL_ISQ_E10value_typeET4_jRbjT5_SW_jjP12ihipStream_tbEUlT_E2_NS1_11comp_targetILNS1_3genE0ELNS1_11target_archE4294967295ELNS1_3gpuE0ELNS1_3repE0EEENS1_30default_config_static_selectorELNS0_4arch9wavefront6targetE0EEEvSK_.has_indirect_call, 0
	.section	.AMDGPU.csdata,"",@progbits
; Kernel info:
; codeLenInByte = 0
; TotalNumSgprs: 0
; NumVgprs: 0
; ScratchSize: 0
; MemoryBound: 0
; FloatMode: 240
; IeeeMode: 1
; LDSByteSize: 0 bytes/workgroup (compile time only)
; SGPRBlocks: 0
; VGPRBlocks: 0
; NumSGPRsForWavesPerEU: 1
; NumVGPRsForWavesPerEU: 1
; Occupancy: 16
; WaveLimiterHint : 0
; COMPUTE_PGM_RSRC2:SCRATCH_EN: 0
; COMPUTE_PGM_RSRC2:USER_SGPR: 2
; COMPUTE_PGM_RSRC2:TRAP_HANDLER: 0
; COMPUTE_PGM_RSRC2:TGID_X_EN: 1
; COMPUTE_PGM_RSRC2:TGID_Y_EN: 0
; COMPUTE_PGM_RSRC2:TGID_Z_EN: 0
; COMPUTE_PGM_RSRC2:TIDIG_COMP_CNT: 0
	.section	.text._ZN7rocprim17ROCPRIM_400000_NS6detail17trampoline_kernelINS0_14default_configENS1_36segmented_radix_sort_config_selectorIslEEZNS1_25segmented_radix_sort_implIS3_Lb0EPKsPsPKlPlN2at6native12_GLOBAL__N_18offset_tEEE10hipError_tPvRmT1_PNSt15iterator_traitsISK_E10value_typeET2_T3_PNSL_ISQ_E10value_typeET4_jRbjT5_SW_jjP12ihipStream_tbEUlT_E2_NS1_11comp_targetILNS1_3genE5ELNS1_11target_archE942ELNS1_3gpuE9ELNS1_3repE0EEENS1_30default_config_static_selectorELNS0_4arch9wavefront6targetE0EEEvSK_,"axG",@progbits,_ZN7rocprim17ROCPRIM_400000_NS6detail17trampoline_kernelINS0_14default_configENS1_36segmented_radix_sort_config_selectorIslEEZNS1_25segmented_radix_sort_implIS3_Lb0EPKsPsPKlPlN2at6native12_GLOBAL__N_18offset_tEEE10hipError_tPvRmT1_PNSt15iterator_traitsISK_E10value_typeET2_T3_PNSL_ISQ_E10value_typeET4_jRbjT5_SW_jjP12ihipStream_tbEUlT_E2_NS1_11comp_targetILNS1_3genE5ELNS1_11target_archE942ELNS1_3gpuE9ELNS1_3repE0EEENS1_30default_config_static_selectorELNS0_4arch9wavefront6targetE0EEEvSK_,comdat
	.globl	_ZN7rocprim17ROCPRIM_400000_NS6detail17trampoline_kernelINS0_14default_configENS1_36segmented_radix_sort_config_selectorIslEEZNS1_25segmented_radix_sort_implIS3_Lb0EPKsPsPKlPlN2at6native12_GLOBAL__N_18offset_tEEE10hipError_tPvRmT1_PNSt15iterator_traitsISK_E10value_typeET2_T3_PNSL_ISQ_E10value_typeET4_jRbjT5_SW_jjP12ihipStream_tbEUlT_E2_NS1_11comp_targetILNS1_3genE5ELNS1_11target_archE942ELNS1_3gpuE9ELNS1_3repE0EEENS1_30default_config_static_selectorELNS0_4arch9wavefront6targetE0EEEvSK_ ; -- Begin function _ZN7rocprim17ROCPRIM_400000_NS6detail17trampoline_kernelINS0_14default_configENS1_36segmented_radix_sort_config_selectorIslEEZNS1_25segmented_radix_sort_implIS3_Lb0EPKsPsPKlPlN2at6native12_GLOBAL__N_18offset_tEEE10hipError_tPvRmT1_PNSt15iterator_traitsISK_E10value_typeET2_T3_PNSL_ISQ_E10value_typeET4_jRbjT5_SW_jjP12ihipStream_tbEUlT_E2_NS1_11comp_targetILNS1_3genE5ELNS1_11target_archE942ELNS1_3gpuE9ELNS1_3repE0EEENS1_30default_config_static_selectorELNS0_4arch9wavefront6targetE0EEEvSK_
	.p2align	8
	.type	_ZN7rocprim17ROCPRIM_400000_NS6detail17trampoline_kernelINS0_14default_configENS1_36segmented_radix_sort_config_selectorIslEEZNS1_25segmented_radix_sort_implIS3_Lb0EPKsPsPKlPlN2at6native12_GLOBAL__N_18offset_tEEE10hipError_tPvRmT1_PNSt15iterator_traitsISK_E10value_typeET2_T3_PNSL_ISQ_E10value_typeET4_jRbjT5_SW_jjP12ihipStream_tbEUlT_E2_NS1_11comp_targetILNS1_3genE5ELNS1_11target_archE942ELNS1_3gpuE9ELNS1_3repE0EEENS1_30default_config_static_selectorELNS0_4arch9wavefront6targetE0EEEvSK_,@function
_ZN7rocprim17ROCPRIM_400000_NS6detail17trampoline_kernelINS0_14default_configENS1_36segmented_radix_sort_config_selectorIslEEZNS1_25segmented_radix_sort_implIS3_Lb0EPKsPsPKlPlN2at6native12_GLOBAL__N_18offset_tEEE10hipError_tPvRmT1_PNSt15iterator_traitsISK_E10value_typeET2_T3_PNSL_ISQ_E10value_typeET4_jRbjT5_SW_jjP12ihipStream_tbEUlT_E2_NS1_11comp_targetILNS1_3genE5ELNS1_11target_archE942ELNS1_3gpuE9ELNS1_3repE0EEENS1_30default_config_static_selectorELNS0_4arch9wavefront6targetE0EEEvSK_: ; @_ZN7rocprim17ROCPRIM_400000_NS6detail17trampoline_kernelINS0_14default_configENS1_36segmented_radix_sort_config_selectorIslEEZNS1_25segmented_radix_sort_implIS3_Lb0EPKsPsPKlPlN2at6native12_GLOBAL__N_18offset_tEEE10hipError_tPvRmT1_PNSt15iterator_traitsISK_E10value_typeET2_T3_PNSL_ISQ_E10value_typeET4_jRbjT5_SW_jjP12ihipStream_tbEUlT_E2_NS1_11comp_targetILNS1_3genE5ELNS1_11target_archE942ELNS1_3gpuE9ELNS1_3repE0EEENS1_30default_config_static_selectorELNS0_4arch9wavefront6targetE0EEEvSK_
; %bb.0:
	.section	.rodata,"a",@progbits
	.p2align	6, 0x0
	.amdhsa_kernel _ZN7rocprim17ROCPRIM_400000_NS6detail17trampoline_kernelINS0_14default_configENS1_36segmented_radix_sort_config_selectorIslEEZNS1_25segmented_radix_sort_implIS3_Lb0EPKsPsPKlPlN2at6native12_GLOBAL__N_18offset_tEEE10hipError_tPvRmT1_PNSt15iterator_traitsISK_E10value_typeET2_T3_PNSL_ISQ_E10value_typeET4_jRbjT5_SW_jjP12ihipStream_tbEUlT_E2_NS1_11comp_targetILNS1_3genE5ELNS1_11target_archE942ELNS1_3gpuE9ELNS1_3repE0EEENS1_30default_config_static_selectorELNS0_4arch9wavefront6targetE0EEEvSK_
		.amdhsa_group_segment_fixed_size 0
		.amdhsa_private_segment_fixed_size 0
		.amdhsa_kernarg_size 80
		.amdhsa_user_sgpr_count 2
		.amdhsa_user_sgpr_dispatch_ptr 0
		.amdhsa_user_sgpr_queue_ptr 0
		.amdhsa_user_sgpr_kernarg_segment_ptr 1
		.amdhsa_user_sgpr_dispatch_id 0
		.amdhsa_user_sgpr_private_segment_size 0
		.amdhsa_wavefront_size32 1
		.amdhsa_uses_dynamic_stack 0
		.amdhsa_enable_private_segment 0
		.amdhsa_system_sgpr_workgroup_id_x 1
		.amdhsa_system_sgpr_workgroup_id_y 0
		.amdhsa_system_sgpr_workgroup_id_z 0
		.amdhsa_system_sgpr_workgroup_info 0
		.amdhsa_system_vgpr_workitem_id 0
		.amdhsa_next_free_vgpr 1
		.amdhsa_next_free_sgpr 1
		.amdhsa_reserve_vcc 0
		.amdhsa_float_round_mode_32 0
		.amdhsa_float_round_mode_16_64 0
		.amdhsa_float_denorm_mode_32 3
		.amdhsa_float_denorm_mode_16_64 3
		.amdhsa_fp16_overflow 0
		.amdhsa_workgroup_processor_mode 1
		.amdhsa_memory_ordered 1
		.amdhsa_forward_progress 1
		.amdhsa_inst_pref_size 0
		.amdhsa_round_robin_scheduling 0
		.amdhsa_exception_fp_ieee_invalid_op 0
		.amdhsa_exception_fp_denorm_src 0
		.amdhsa_exception_fp_ieee_div_zero 0
		.amdhsa_exception_fp_ieee_overflow 0
		.amdhsa_exception_fp_ieee_underflow 0
		.amdhsa_exception_fp_ieee_inexact 0
		.amdhsa_exception_int_div_zero 0
	.end_amdhsa_kernel
	.section	.text._ZN7rocprim17ROCPRIM_400000_NS6detail17trampoline_kernelINS0_14default_configENS1_36segmented_radix_sort_config_selectorIslEEZNS1_25segmented_radix_sort_implIS3_Lb0EPKsPsPKlPlN2at6native12_GLOBAL__N_18offset_tEEE10hipError_tPvRmT1_PNSt15iterator_traitsISK_E10value_typeET2_T3_PNSL_ISQ_E10value_typeET4_jRbjT5_SW_jjP12ihipStream_tbEUlT_E2_NS1_11comp_targetILNS1_3genE5ELNS1_11target_archE942ELNS1_3gpuE9ELNS1_3repE0EEENS1_30default_config_static_selectorELNS0_4arch9wavefront6targetE0EEEvSK_,"axG",@progbits,_ZN7rocprim17ROCPRIM_400000_NS6detail17trampoline_kernelINS0_14default_configENS1_36segmented_radix_sort_config_selectorIslEEZNS1_25segmented_radix_sort_implIS3_Lb0EPKsPsPKlPlN2at6native12_GLOBAL__N_18offset_tEEE10hipError_tPvRmT1_PNSt15iterator_traitsISK_E10value_typeET2_T3_PNSL_ISQ_E10value_typeET4_jRbjT5_SW_jjP12ihipStream_tbEUlT_E2_NS1_11comp_targetILNS1_3genE5ELNS1_11target_archE942ELNS1_3gpuE9ELNS1_3repE0EEENS1_30default_config_static_selectorELNS0_4arch9wavefront6targetE0EEEvSK_,comdat
.Lfunc_end1045:
	.size	_ZN7rocprim17ROCPRIM_400000_NS6detail17trampoline_kernelINS0_14default_configENS1_36segmented_radix_sort_config_selectorIslEEZNS1_25segmented_radix_sort_implIS3_Lb0EPKsPsPKlPlN2at6native12_GLOBAL__N_18offset_tEEE10hipError_tPvRmT1_PNSt15iterator_traitsISK_E10value_typeET2_T3_PNSL_ISQ_E10value_typeET4_jRbjT5_SW_jjP12ihipStream_tbEUlT_E2_NS1_11comp_targetILNS1_3genE5ELNS1_11target_archE942ELNS1_3gpuE9ELNS1_3repE0EEENS1_30default_config_static_selectorELNS0_4arch9wavefront6targetE0EEEvSK_, .Lfunc_end1045-_ZN7rocprim17ROCPRIM_400000_NS6detail17trampoline_kernelINS0_14default_configENS1_36segmented_radix_sort_config_selectorIslEEZNS1_25segmented_radix_sort_implIS3_Lb0EPKsPsPKlPlN2at6native12_GLOBAL__N_18offset_tEEE10hipError_tPvRmT1_PNSt15iterator_traitsISK_E10value_typeET2_T3_PNSL_ISQ_E10value_typeET4_jRbjT5_SW_jjP12ihipStream_tbEUlT_E2_NS1_11comp_targetILNS1_3genE5ELNS1_11target_archE942ELNS1_3gpuE9ELNS1_3repE0EEENS1_30default_config_static_selectorELNS0_4arch9wavefront6targetE0EEEvSK_
                                        ; -- End function
	.set _ZN7rocprim17ROCPRIM_400000_NS6detail17trampoline_kernelINS0_14default_configENS1_36segmented_radix_sort_config_selectorIslEEZNS1_25segmented_radix_sort_implIS3_Lb0EPKsPsPKlPlN2at6native12_GLOBAL__N_18offset_tEEE10hipError_tPvRmT1_PNSt15iterator_traitsISK_E10value_typeET2_T3_PNSL_ISQ_E10value_typeET4_jRbjT5_SW_jjP12ihipStream_tbEUlT_E2_NS1_11comp_targetILNS1_3genE5ELNS1_11target_archE942ELNS1_3gpuE9ELNS1_3repE0EEENS1_30default_config_static_selectorELNS0_4arch9wavefront6targetE0EEEvSK_.num_vgpr, 0
	.set _ZN7rocprim17ROCPRIM_400000_NS6detail17trampoline_kernelINS0_14default_configENS1_36segmented_radix_sort_config_selectorIslEEZNS1_25segmented_radix_sort_implIS3_Lb0EPKsPsPKlPlN2at6native12_GLOBAL__N_18offset_tEEE10hipError_tPvRmT1_PNSt15iterator_traitsISK_E10value_typeET2_T3_PNSL_ISQ_E10value_typeET4_jRbjT5_SW_jjP12ihipStream_tbEUlT_E2_NS1_11comp_targetILNS1_3genE5ELNS1_11target_archE942ELNS1_3gpuE9ELNS1_3repE0EEENS1_30default_config_static_selectorELNS0_4arch9wavefront6targetE0EEEvSK_.num_agpr, 0
	.set _ZN7rocprim17ROCPRIM_400000_NS6detail17trampoline_kernelINS0_14default_configENS1_36segmented_radix_sort_config_selectorIslEEZNS1_25segmented_radix_sort_implIS3_Lb0EPKsPsPKlPlN2at6native12_GLOBAL__N_18offset_tEEE10hipError_tPvRmT1_PNSt15iterator_traitsISK_E10value_typeET2_T3_PNSL_ISQ_E10value_typeET4_jRbjT5_SW_jjP12ihipStream_tbEUlT_E2_NS1_11comp_targetILNS1_3genE5ELNS1_11target_archE942ELNS1_3gpuE9ELNS1_3repE0EEENS1_30default_config_static_selectorELNS0_4arch9wavefront6targetE0EEEvSK_.numbered_sgpr, 0
	.set _ZN7rocprim17ROCPRIM_400000_NS6detail17trampoline_kernelINS0_14default_configENS1_36segmented_radix_sort_config_selectorIslEEZNS1_25segmented_radix_sort_implIS3_Lb0EPKsPsPKlPlN2at6native12_GLOBAL__N_18offset_tEEE10hipError_tPvRmT1_PNSt15iterator_traitsISK_E10value_typeET2_T3_PNSL_ISQ_E10value_typeET4_jRbjT5_SW_jjP12ihipStream_tbEUlT_E2_NS1_11comp_targetILNS1_3genE5ELNS1_11target_archE942ELNS1_3gpuE9ELNS1_3repE0EEENS1_30default_config_static_selectorELNS0_4arch9wavefront6targetE0EEEvSK_.num_named_barrier, 0
	.set _ZN7rocprim17ROCPRIM_400000_NS6detail17trampoline_kernelINS0_14default_configENS1_36segmented_radix_sort_config_selectorIslEEZNS1_25segmented_radix_sort_implIS3_Lb0EPKsPsPKlPlN2at6native12_GLOBAL__N_18offset_tEEE10hipError_tPvRmT1_PNSt15iterator_traitsISK_E10value_typeET2_T3_PNSL_ISQ_E10value_typeET4_jRbjT5_SW_jjP12ihipStream_tbEUlT_E2_NS1_11comp_targetILNS1_3genE5ELNS1_11target_archE942ELNS1_3gpuE9ELNS1_3repE0EEENS1_30default_config_static_selectorELNS0_4arch9wavefront6targetE0EEEvSK_.private_seg_size, 0
	.set _ZN7rocprim17ROCPRIM_400000_NS6detail17trampoline_kernelINS0_14default_configENS1_36segmented_radix_sort_config_selectorIslEEZNS1_25segmented_radix_sort_implIS3_Lb0EPKsPsPKlPlN2at6native12_GLOBAL__N_18offset_tEEE10hipError_tPvRmT1_PNSt15iterator_traitsISK_E10value_typeET2_T3_PNSL_ISQ_E10value_typeET4_jRbjT5_SW_jjP12ihipStream_tbEUlT_E2_NS1_11comp_targetILNS1_3genE5ELNS1_11target_archE942ELNS1_3gpuE9ELNS1_3repE0EEENS1_30default_config_static_selectorELNS0_4arch9wavefront6targetE0EEEvSK_.uses_vcc, 0
	.set _ZN7rocprim17ROCPRIM_400000_NS6detail17trampoline_kernelINS0_14default_configENS1_36segmented_radix_sort_config_selectorIslEEZNS1_25segmented_radix_sort_implIS3_Lb0EPKsPsPKlPlN2at6native12_GLOBAL__N_18offset_tEEE10hipError_tPvRmT1_PNSt15iterator_traitsISK_E10value_typeET2_T3_PNSL_ISQ_E10value_typeET4_jRbjT5_SW_jjP12ihipStream_tbEUlT_E2_NS1_11comp_targetILNS1_3genE5ELNS1_11target_archE942ELNS1_3gpuE9ELNS1_3repE0EEENS1_30default_config_static_selectorELNS0_4arch9wavefront6targetE0EEEvSK_.uses_flat_scratch, 0
	.set _ZN7rocprim17ROCPRIM_400000_NS6detail17trampoline_kernelINS0_14default_configENS1_36segmented_radix_sort_config_selectorIslEEZNS1_25segmented_radix_sort_implIS3_Lb0EPKsPsPKlPlN2at6native12_GLOBAL__N_18offset_tEEE10hipError_tPvRmT1_PNSt15iterator_traitsISK_E10value_typeET2_T3_PNSL_ISQ_E10value_typeET4_jRbjT5_SW_jjP12ihipStream_tbEUlT_E2_NS1_11comp_targetILNS1_3genE5ELNS1_11target_archE942ELNS1_3gpuE9ELNS1_3repE0EEENS1_30default_config_static_selectorELNS0_4arch9wavefront6targetE0EEEvSK_.has_dyn_sized_stack, 0
	.set _ZN7rocprim17ROCPRIM_400000_NS6detail17trampoline_kernelINS0_14default_configENS1_36segmented_radix_sort_config_selectorIslEEZNS1_25segmented_radix_sort_implIS3_Lb0EPKsPsPKlPlN2at6native12_GLOBAL__N_18offset_tEEE10hipError_tPvRmT1_PNSt15iterator_traitsISK_E10value_typeET2_T3_PNSL_ISQ_E10value_typeET4_jRbjT5_SW_jjP12ihipStream_tbEUlT_E2_NS1_11comp_targetILNS1_3genE5ELNS1_11target_archE942ELNS1_3gpuE9ELNS1_3repE0EEENS1_30default_config_static_selectorELNS0_4arch9wavefront6targetE0EEEvSK_.has_recursion, 0
	.set _ZN7rocprim17ROCPRIM_400000_NS6detail17trampoline_kernelINS0_14default_configENS1_36segmented_radix_sort_config_selectorIslEEZNS1_25segmented_radix_sort_implIS3_Lb0EPKsPsPKlPlN2at6native12_GLOBAL__N_18offset_tEEE10hipError_tPvRmT1_PNSt15iterator_traitsISK_E10value_typeET2_T3_PNSL_ISQ_E10value_typeET4_jRbjT5_SW_jjP12ihipStream_tbEUlT_E2_NS1_11comp_targetILNS1_3genE5ELNS1_11target_archE942ELNS1_3gpuE9ELNS1_3repE0EEENS1_30default_config_static_selectorELNS0_4arch9wavefront6targetE0EEEvSK_.has_indirect_call, 0
	.section	.AMDGPU.csdata,"",@progbits
; Kernel info:
; codeLenInByte = 0
; TotalNumSgprs: 0
; NumVgprs: 0
; ScratchSize: 0
; MemoryBound: 0
; FloatMode: 240
; IeeeMode: 1
; LDSByteSize: 0 bytes/workgroup (compile time only)
; SGPRBlocks: 0
; VGPRBlocks: 0
; NumSGPRsForWavesPerEU: 1
; NumVGPRsForWavesPerEU: 1
; Occupancy: 16
; WaveLimiterHint : 0
; COMPUTE_PGM_RSRC2:SCRATCH_EN: 0
; COMPUTE_PGM_RSRC2:USER_SGPR: 2
; COMPUTE_PGM_RSRC2:TRAP_HANDLER: 0
; COMPUTE_PGM_RSRC2:TGID_X_EN: 1
; COMPUTE_PGM_RSRC2:TGID_Y_EN: 0
; COMPUTE_PGM_RSRC2:TGID_Z_EN: 0
; COMPUTE_PGM_RSRC2:TIDIG_COMP_CNT: 0
	.section	.text._ZN7rocprim17ROCPRIM_400000_NS6detail17trampoline_kernelINS0_14default_configENS1_36segmented_radix_sort_config_selectorIslEEZNS1_25segmented_radix_sort_implIS3_Lb0EPKsPsPKlPlN2at6native12_GLOBAL__N_18offset_tEEE10hipError_tPvRmT1_PNSt15iterator_traitsISK_E10value_typeET2_T3_PNSL_ISQ_E10value_typeET4_jRbjT5_SW_jjP12ihipStream_tbEUlT_E2_NS1_11comp_targetILNS1_3genE4ELNS1_11target_archE910ELNS1_3gpuE8ELNS1_3repE0EEENS1_30default_config_static_selectorELNS0_4arch9wavefront6targetE0EEEvSK_,"axG",@progbits,_ZN7rocprim17ROCPRIM_400000_NS6detail17trampoline_kernelINS0_14default_configENS1_36segmented_radix_sort_config_selectorIslEEZNS1_25segmented_radix_sort_implIS3_Lb0EPKsPsPKlPlN2at6native12_GLOBAL__N_18offset_tEEE10hipError_tPvRmT1_PNSt15iterator_traitsISK_E10value_typeET2_T3_PNSL_ISQ_E10value_typeET4_jRbjT5_SW_jjP12ihipStream_tbEUlT_E2_NS1_11comp_targetILNS1_3genE4ELNS1_11target_archE910ELNS1_3gpuE8ELNS1_3repE0EEENS1_30default_config_static_selectorELNS0_4arch9wavefront6targetE0EEEvSK_,comdat
	.globl	_ZN7rocprim17ROCPRIM_400000_NS6detail17trampoline_kernelINS0_14default_configENS1_36segmented_radix_sort_config_selectorIslEEZNS1_25segmented_radix_sort_implIS3_Lb0EPKsPsPKlPlN2at6native12_GLOBAL__N_18offset_tEEE10hipError_tPvRmT1_PNSt15iterator_traitsISK_E10value_typeET2_T3_PNSL_ISQ_E10value_typeET4_jRbjT5_SW_jjP12ihipStream_tbEUlT_E2_NS1_11comp_targetILNS1_3genE4ELNS1_11target_archE910ELNS1_3gpuE8ELNS1_3repE0EEENS1_30default_config_static_selectorELNS0_4arch9wavefront6targetE0EEEvSK_ ; -- Begin function _ZN7rocprim17ROCPRIM_400000_NS6detail17trampoline_kernelINS0_14default_configENS1_36segmented_radix_sort_config_selectorIslEEZNS1_25segmented_radix_sort_implIS3_Lb0EPKsPsPKlPlN2at6native12_GLOBAL__N_18offset_tEEE10hipError_tPvRmT1_PNSt15iterator_traitsISK_E10value_typeET2_T3_PNSL_ISQ_E10value_typeET4_jRbjT5_SW_jjP12ihipStream_tbEUlT_E2_NS1_11comp_targetILNS1_3genE4ELNS1_11target_archE910ELNS1_3gpuE8ELNS1_3repE0EEENS1_30default_config_static_selectorELNS0_4arch9wavefront6targetE0EEEvSK_
	.p2align	8
	.type	_ZN7rocprim17ROCPRIM_400000_NS6detail17trampoline_kernelINS0_14default_configENS1_36segmented_radix_sort_config_selectorIslEEZNS1_25segmented_radix_sort_implIS3_Lb0EPKsPsPKlPlN2at6native12_GLOBAL__N_18offset_tEEE10hipError_tPvRmT1_PNSt15iterator_traitsISK_E10value_typeET2_T3_PNSL_ISQ_E10value_typeET4_jRbjT5_SW_jjP12ihipStream_tbEUlT_E2_NS1_11comp_targetILNS1_3genE4ELNS1_11target_archE910ELNS1_3gpuE8ELNS1_3repE0EEENS1_30default_config_static_selectorELNS0_4arch9wavefront6targetE0EEEvSK_,@function
_ZN7rocprim17ROCPRIM_400000_NS6detail17trampoline_kernelINS0_14default_configENS1_36segmented_radix_sort_config_selectorIslEEZNS1_25segmented_radix_sort_implIS3_Lb0EPKsPsPKlPlN2at6native12_GLOBAL__N_18offset_tEEE10hipError_tPvRmT1_PNSt15iterator_traitsISK_E10value_typeET2_T3_PNSL_ISQ_E10value_typeET4_jRbjT5_SW_jjP12ihipStream_tbEUlT_E2_NS1_11comp_targetILNS1_3genE4ELNS1_11target_archE910ELNS1_3gpuE8ELNS1_3repE0EEENS1_30default_config_static_selectorELNS0_4arch9wavefront6targetE0EEEvSK_: ; @_ZN7rocprim17ROCPRIM_400000_NS6detail17trampoline_kernelINS0_14default_configENS1_36segmented_radix_sort_config_selectorIslEEZNS1_25segmented_radix_sort_implIS3_Lb0EPKsPsPKlPlN2at6native12_GLOBAL__N_18offset_tEEE10hipError_tPvRmT1_PNSt15iterator_traitsISK_E10value_typeET2_T3_PNSL_ISQ_E10value_typeET4_jRbjT5_SW_jjP12ihipStream_tbEUlT_E2_NS1_11comp_targetILNS1_3genE4ELNS1_11target_archE910ELNS1_3gpuE8ELNS1_3repE0EEENS1_30default_config_static_selectorELNS0_4arch9wavefront6targetE0EEEvSK_
; %bb.0:
	.section	.rodata,"a",@progbits
	.p2align	6, 0x0
	.amdhsa_kernel _ZN7rocprim17ROCPRIM_400000_NS6detail17trampoline_kernelINS0_14default_configENS1_36segmented_radix_sort_config_selectorIslEEZNS1_25segmented_radix_sort_implIS3_Lb0EPKsPsPKlPlN2at6native12_GLOBAL__N_18offset_tEEE10hipError_tPvRmT1_PNSt15iterator_traitsISK_E10value_typeET2_T3_PNSL_ISQ_E10value_typeET4_jRbjT5_SW_jjP12ihipStream_tbEUlT_E2_NS1_11comp_targetILNS1_3genE4ELNS1_11target_archE910ELNS1_3gpuE8ELNS1_3repE0EEENS1_30default_config_static_selectorELNS0_4arch9wavefront6targetE0EEEvSK_
		.amdhsa_group_segment_fixed_size 0
		.amdhsa_private_segment_fixed_size 0
		.amdhsa_kernarg_size 80
		.amdhsa_user_sgpr_count 2
		.amdhsa_user_sgpr_dispatch_ptr 0
		.amdhsa_user_sgpr_queue_ptr 0
		.amdhsa_user_sgpr_kernarg_segment_ptr 1
		.amdhsa_user_sgpr_dispatch_id 0
		.amdhsa_user_sgpr_private_segment_size 0
		.amdhsa_wavefront_size32 1
		.amdhsa_uses_dynamic_stack 0
		.amdhsa_enable_private_segment 0
		.amdhsa_system_sgpr_workgroup_id_x 1
		.amdhsa_system_sgpr_workgroup_id_y 0
		.amdhsa_system_sgpr_workgroup_id_z 0
		.amdhsa_system_sgpr_workgroup_info 0
		.amdhsa_system_vgpr_workitem_id 0
		.amdhsa_next_free_vgpr 1
		.amdhsa_next_free_sgpr 1
		.amdhsa_reserve_vcc 0
		.amdhsa_float_round_mode_32 0
		.amdhsa_float_round_mode_16_64 0
		.amdhsa_float_denorm_mode_32 3
		.amdhsa_float_denorm_mode_16_64 3
		.amdhsa_fp16_overflow 0
		.amdhsa_workgroup_processor_mode 1
		.amdhsa_memory_ordered 1
		.amdhsa_forward_progress 1
		.amdhsa_inst_pref_size 0
		.amdhsa_round_robin_scheduling 0
		.amdhsa_exception_fp_ieee_invalid_op 0
		.amdhsa_exception_fp_denorm_src 0
		.amdhsa_exception_fp_ieee_div_zero 0
		.amdhsa_exception_fp_ieee_overflow 0
		.amdhsa_exception_fp_ieee_underflow 0
		.amdhsa_exception_fp_ieee_inexact 0
		.amdhsa_exception_int_div_zero 0
	.end_amdhsa_kernel
	.section	.text._ZN7rocprim17ROCPRIM_400000_NS6detail17trampoline_kernelINS0_14default_configENS1_36segmented_radix_sort_config_selectorIslEEZNS1_25segmented_radix_sort_implIS3_Lb0EPKsPsPKlPlN2at6native12_GLOBAL__N_18offset_tEEE10hipError_tPvRmT1_PNSt15iterator_traitsISK_E10value_typeET2_T3_PNSL_ISQ_E10value_typeET4_jRbjT5_SW_jjP12ihipStream_tbEUlT_E2_NS1_11comp_targetILNS1_3genE4ELNS1_11target_archE910ELNS1_3gpuE8ELNS1_3repE0EEENS1_30default_config_static_selectorELNS0_4arch9wavefront6targetE0EEEvSK_,"axG",@progbits,_ZN7rocprim17ROCPRIM_400000_NS6detail17trampoline_kernelINS0_14default_configENS1_36segmented_radix_sort_config_selectorIslEEZNS1_25segmented_radix_sort_implIS3_Lb0EPKsPsPKlPlN2at6native12_GLOBAL__N_18offset_tEEE10hipError_tPvRmT1_PNSt15iterator_traitsISK_E10value_typeET2_T3_PNSL_ISQ_E10value_typeET4_jRbjT5_SW_jjP12ihipStream_tbEUlT_E2_NS1_11comp_targetILNS1_3genE4ELNS1_11target_archE910ELNS1_3gpuE8ELNS1_3repE0EEENS1_30default_config_static_selectorELNS0_4arch9wavefront6targetE0EEEvSK_,comdat
.Lfunc_end1046:
	.size	_ZN7rocprim17ROCPRIM_400000_NS6detail17trampoline_kernelINS0_14default_configENS1_36segmented_radix_sort_config_selectorIslEEZNS1_25segmented_radix_sort_implIS3_Lb0EPKsPsPKlPlN2at6native12_GLOBAL__N_18offset_tEEE10hipError_tPvRmT1_PNSt15iterator_traitsISK_E10value_typeET2_T3_PNSL_ISQ_E10value_typeET4_jRbjT5_SW_jjP12ihipStream_tbEUlT_E2_NS1_11comp_targetILNS1_3genE4ELNS1_11target_archE910ELNS1_3gpuE8ELNS1_3repE0EEENS1_30default_config_static_selectorELNS0_4arch9wavefront6targetE0EEEvSK_, .Lfunc_end1046-_ZN7rocprim17ROCPRIM_400000_NS6detail17trampoline_kernelINS0_14default_configENS1_36segmented_radix_sort_config_selectorIslEEZNS1_25segmented_radix_sort_implIS3_Lb0EPKsPsPKlPlN2at6native12_GLOBAL__N_18offset_tEEE10hipError_tPvRmT1_PNSt15iterator_traitsISK_E10value_typeET2_T3_PNSL_ISQ_E10value_typeET4_jRbjT5_SW_jjP12ihipStream_tbEUlT_E2_NS1_11comp_targetILNS1_3genE4ELNS1_11target_archE910ELNS1_3gpuE8ELNS1_3repE0EEENS1_30default_config_static_selectorELNS0_4arch9wavefront6targetE0EEEvSK_
                                        ; -- End function
	.set _ZN7rocprim17ROCPRIM_400000_NS6detail17trampoline_kernelINS0_14default_configENS1_36segmented_radix_sort_config_selectorIslEEZNS1_25segmented_radix_sort_implIS3_Lb0EPKsPsPKlPlN2at6native12_GLOBAL__N_18offset_tEEE10hipError_tPvRmT1_PNSt15iterator_traitsISK_E10value_typeET2_T3_PNSL_ISQ_E10value_typeET4_jRbjT5_SW_jjP12ihipStream_tbEUlT_E2_NS1_11comp_targetILNS1_3genE4ELNS1_11target_archE910ELNS1_3gpuE8ELNS1_3repE0EEENS1_30default_config_static_selectorELNS0_4arch9wavefront6targetE0EEEvSK_.num_vgpr, 0
	.set _ZN7rocprim17ROCPRIM_400000_NS6detail17trampoline_kernelINS0_14default_configENS1_36segmented_radix_sort_config_selectorIslEEZNS1_25segmented_radix_sort_implIS3_Lb0EPKsPsPKlPlN2at6native12_GLOBAL__N_18offset_tEEE10hipError_tPvRmT1_PNSt15iterator_traitsISK_E10value_typeET2_T3_PNSL_ISQ_E10value_typeET4_jRbjT5_SW_jjP12ihipStream_tbEUlT_E2_NS1_11comp_targetILNS1_3genE4ELNS1_11target_archE910ELNS1_3gpuE8ELNS1_3repE0EEENS1_30default_config_static_selectorELNS0_4arch9wavefront6targetE0EEEvSK_.num_agpr, 0
	.set _ZN7rocprim17ROCPRIM_400000_NS6detail17trampoline_kernelINS0_14default_configENS1_36segmented_radix_sort_config_selectorIslEEZNS1_25segmented_radix_sort_implIS3_Lb0EPKsPsPKlPlN2at6native12_GLOBAL__N_18offset_tEEE10hipError_tPvRmT1_PNSt15iterator_traitsISK_E10value_typeET2_T3_PNSL_ISQ_E10value_typeET4_jRbjT5_SW_jjP12ihipStream_tbEUlT_E2_NS1_11comp_targetILNS1_3genE4ELNS1_11target_archE910ELNS1_3gpuE8ELNS1_3repE0EEENS1_30default_config_static_selectorELNS0_4arch9wavefront6targetE0EEEvSK_.numbered_sgpr, 0
	.set _ZN7rocprim17ROCPRIM_400000_NS6detail17trampoline_kernelINS0_14default_configENS1_36segmented_radix_sort_config_selectorIslEEZNS1_25segmented_radix_sort_implIS3_Lb0EPKsPsPKlPlN2at6native12_GLOBAL__N_18offset_tEEE10hipError_tPvRmT1_PNSt15iterator_traitsISK_E10value_typeET2_T3_PNSL_ISQ_E10value_typeET4_jRbjT5_SW_jjP12ihipStream_tbEUlT_E2_NS1_11comp_targetILNS1_3genE4ELNS1_11target_archE910ELNS1_3gpuE8ELNS1_3repE0EEENS1_30default_config_static_selectorELNS0_4arch9wavefront6targetE0EEEvSK_.num_named_barrier, 0
	.set _ZN7rocprim17ROCPRIM_400000_NS6detail17trampoline_kernelINS0_14default_configENS1_36segmented_radix_sort_config_selectorIslEEZNS1_25segmented_radix_sort_implIS3_Lb0EPKsPsPKlPlN2at6native12_GLOBAL__N_18offset_tEEE10hipError_tPvRmT1_PNSt15iterator_traitsISK_E10value_typeET2_T3_PNSL_ISQ_E10value_typeET4_jRbjT5_SW_jjP12ihipStream_tbEUlT_E2_NS1_11comp_targetILNS1_3genE4ELNS1_11target_archE910ELNS1_3gpuE8ELNS1_3repE0EEENS1_30default_config_static_selectorELNS0_4arch9wavefront6targetE0EEEvSK_.private_seg_size, 0
	.set _ZN7rocprim17ROCPRIM_400000_NS6detail17trampoline_kernelINS0_14default_configENS1_36segmented_radix_sort_config_selectorIslEEZNS1_25segmented_radix_sort_implIS3_Lb0EPKsPsPKlPlN2at6native12_GLOBAL__N_18offset_tEEE10hipError_tPvRmT1_PNSt15iterator_traitsISK_E10value_typeET2_T3_PNSL_ISQ_E10value_typeET4_jRbjT5_SW_jjP12ihipStream_tbEUlT_E2_NS1_11comp_targetILNS1_3genE4ELNS1_11target_archE910ELNS1_3gpuE8ELNS1_3repE0EEENS1_30default_config_static_selectorELNS0_4arch9wavefront6targetE0EEEvSK_.uses_vcc, 0
	.set _ZN7rocprim17ROCPRIM_400000_NS6detail17trampoline_kernelINS0_14default_configENS1_36segmented_radix_sort_config_selectorIslEEZNS1_25segmented_radix_sort_implIS3_Lb0EPKsPsPKlPlN2at6native12_GLOBAL__N_18offset_tEEE10hipError_tPvRmT1_PNSt15iterator_traitsISK_E10value_typeET2_T3_PNSL_ISQ_E10value_typeET4_jRbjT5_SW_jjP12ihipStream_tbEUlT_E2_NS1_11comp_targetILNS1_3genE4ELNS1_11target_archE910ELNS1_3gpuE8ELNS1_3repE0EEENS1_30default_config_static_selectorELNS0_4arch9wavefront6targetE0EEEvSK_.uses_flat_scratch, 0
	.set _ZN7rocprim17ROCPRIM_400000_NS6detail17trampoline_kernelINS0_14default_configENS1_36segmented_radix_sort_config_selectorIslEEZNS1_25segmented_radix_sort_implIS3_Lb0EPKsPsPKlPlN2at6native12_GLOBAL__N_18offset_tEEE10hipError_tPvRmT1_PNSt15iterator_traitsISK_E10value_typeET2_T3_PNSL_ISQ_E10value_typeET4_jRbjT5_SW_jjP12ihipStream_tbEUlT_E2_NS1_11comp_targetILNS1_3genE4ELNS1_11target_archE910ELNS1_3gpuE8ELNS1_3repE0EEENS1_30default_config_static_selectorELNS0_4arch9wavefront6targetE0EEEvSK_.has_dyn_sized_stack, 0
	.set _ZN7rocprim17ROCPRIM_400000_NS6detail17trampoline_kernelINS0_14default_configENS1_36segmented_radix_sort_config_selectorIslEEZNS1_25segmented_radix_sort_implIS3_Lb0EPKsPsPKlPlN2at6native12_GLOBAL__N_18offset_tEEE10hipError_tPvRmT1_PNSt15iterator_traitsISK_E10value_typeET2_T3_PNSL_ISQ_E10value_typeET4_jRbjT5_SW_jjP12ihipStream_tbEUlT_E2_NS1_11comp_targetILNS1_3genE4ELNS1_11target_archE910ELNS1_3gpuE8ELNS1_3repE0EEENS1_30default_config_static_selectorELNS0_4arch9wavefront6targetE0EEEvSK_.has_recursion, 0
	.set _ZN7rocprim17ROCPRIM_400000_NS6detail17trampoline_kernelINS0_14default_configENS1_36segmented_radix_sort_config_selectorIslEEZNS1_25segmented_radix_sort_implIS3_Lb0EPKsPsPKlPlN2at6native12_GLOBAL__N_18offset_tEEE10hipError_tPvRmT1_PNSt15iterator_traitsISK_E10value_typeET2_T3_PNSL_ISQ_E10value_typeET4_jRbjT5_SW_jjP12ihipStream_tbEUlT_E2_NS1_11comp_targetILNS1_3genE4ELNS1_11target_archE910ELNS1_3gpuE8ELNS1_3repE0EEENS1_30default_config_static_selectorELNS0_4arch9wavefront6targetE0EEEvSK_.has_indirect_call, 0
	.section	.AMDGPU.csdata,"",@progbits
; Kernel info:
; codeLenInByte = 0
; TotalNumSgprs: 0
; NumVgprs: 0
; ScratchSize: 0
; MemoryBound: 0
; FloatMode: 240
; IeeeMode: 1
; LDSByteSize: 0 bytes/workgroup (compile time only)
; SGPRBlocks: 0
; VGPRBlocks: 0
; NumSGPRsForWavesPerEU: 1
; NumVGPRsForWavesPerEU: 1
; Occupancy: 16
; WaveLimiterHint : 0
; COMPUTE_PGM_RSRC2:SCRATCH_EN: 0
; COMPUTE_PGM_RSRC2:USER_SGPR: 2
; COMPUTE_PGM_RSRC2:TRAP_HANDLER: 0
; COMPUTE_PGM_RSRC2:TGID_X_EN: 1
; COMPUTE_PGM_RSRC2:TGID_Y_EN: 0
; COMPUTE_PGM_RSRC2:TGID_Z_EN: 0
; COMPUTE_PGM_RSRC2:TIDIG_COMP_CNT: 0
	.section	.text._ZN7rocprim17ROCPRIM_400000_NS6detail17trampoline_kernelINS0_14default_configENS1_36segmented_radix_sort_config_selectorIslEEZNS1_25segmented_radix_sort_implIS3_Lb0EPKsPsPKlPlN2at6native12_GLOBAL__N_18offset_tEEE10hipError_tPvRmT1_PNSt15iterator_traitsISK_E10value_typeET2_T3_PNSL_ISQ_E10value_typeET4_jRbjT5_SW_jjP12ihipStream_tbEUlT_E2_NS1_11comp_targetILNS1_3genE3ELNS1_11target_archE908ELNS1_3gpuE7ELNS1_3repE0EEENS1_30default_config_static_selectorELNS0_4arch9wavefront6targetE0EEEvSK_,"axG",@progbits,_ZN7rocprim17ROCPRIM_400000_NS6detail17trampoline_kernelINS0_14default_configENS1_36segmented_radix_sort_config_selectorIslEEZNS1_25segmented_radix_sort_implIS3_Lb0EPKsPsPKlPlN2at6native12_GLOBAL__N_18offset_tEEE10hipError_tPvRmT1_PNSt15iterator_traitsISK_E10value_typeET2_T3_PNSL_ISQ_E10value_typeET4_jRbjT5_SW_jjP12ihipStream_tbEUlT_E2_NS1_11comp_targetILNS1_3genE3ELNS1_11target_archE908ELNS1_3gpuE7ELNS1_3repE0EEENS1_30default_config_static_selectorELNS0_4arch9wavefront6targetE0EEEvSK_,comdat
	.globl	_ZN7rocprim17ROCPRIM_400000_NS6detail17trampoline_kernelINS0_14default_configENS1_36segmented_radix_sort_config_selectorIslEEZNS1_25segmented_radix_sort_implIS3_Lb0EPKsPsPKlPlN2at6native12_GLOBAL__N_18offset_tEEE10hipError_tPvRmT1_PNSt15iterator_traitsISK_E10value_typeET2_T3_PNSL_ISQ_E10value_typeET4_jRbjT5_SW_jjP12ihipStream_tbEUlT_E2_NS1_11comp_targetILNS1_3genE3ELNS1_11target_archE908ELNS1_3gpuE7ELNS1_3repE0EEENS1_30default_config_static_selectorELNS0_4arch9wavefront6targetE0EEEvSK_ ; -- Begin function _ZN7rocprim17ROCPRIM_400000_NS6detail17trampoline_kernelINS0_14default_configENS1_36segmented_radix_sort_config_selectorIslEEZNS1_25segmented_radix_sort_implIS3_Lb0EPKsPsPKlPlN2at6native12_GLOBAL__N_18offset_tEEE10hipError_tPvRmT1_PNSt15iterator_traitsISK_E10value_typeET2_T3_PNSL_ISQ_E10value_typeET4_jRbjT5_SW_jjP12ihipStream_tbEUlT_E2_NS1_11comp_targetILNS1_3genE3ELNS1_11target_archE908ELNS1_3gpuE7ELNS1_3repE0EEENS1_30default_config_static_selectorELNS0_4arch9wavefront6targetE0EEEvSK_
	.p2align	8
	.type	_ZN7rocprim17ROCPRIM_400000_NS6detail17trampoline_kernelINS0_14default_configENS1_36segmented_radix_sort_config_selectorIslEEZNS1_25segmented_radix_sort_implIS3_Lb0EPKsPsPKlPlN2at6native12_GLOBAL__N_18offset_tEEE10hipError_tPvRmT1_PNSt15iterator_traitsISK_E10value_typeET2_T3_PNSL_ISQ_E10value_typeET4_jRbjT5_SW_jjP12ihipStream_tbEUlT_E2_NS1_11comp_targetILNS1_3genE3ELNS1_11target_archE908ELNS1_3gpuE7ELNS1_3repE0EEENS1_30default_config_static_selectorELNS0_4arch9wavefront6targetE0EEEvSK_,@function
_ZN7rocprim17ROCPRIM_400000_NS6detail17trampoline_kernelINS0_14default_configENS1_36segmented_radix_sort_config_selectorIslEEZNS1_25segmented_radix_sort_implIS3_Lb0EPKsPsPKlPlN2at6native12_GLOBAL__N_18offset_tEEE10hipError_tPvRmT1_PNSt15iterator_traitsISK_E10value_typeET2_T3_PNSL_ISQ_E10value_typeET4_jRbjT5_SW_jjP12ihipStream_tbEUlT_E2_NS1_11comp_targetILNS1_3genE3ELNS1_11target_archE908ELNS1_3gpuE7ELNS1_3repE0EEENS1_30default_config_static_selectorELNS0_4arch9wavefront6targetE0EEEvSK_: ; @_ZN7rocprim17ROCPRIM_400000_NS6detail17trampoline_kernelINS0_14default_configENS1_36segmented_radix_sort_config_selectorIslEEZNS1_25segmented_radix_sort_implIS3_Lb0EPKsPsPKlPlN2at6native12_GLOBAL__N_18offset_tEEE10hipError_tPvRmT1_PNSt15iterator_traitsISK_E10value_typeET2_T3_PNSL_ISQ_E10value_typeET4_jRbjT5_SW_jjP12ihipStream_tbEUlT_E2_NS1_11comp_targetILNS1_3genE3ELNS1_11target_archE908ELNS1_3gpuE7ELNS1_3repE0EEENS1_30default_config_static_selectorELNS0_4arch9wavefront6targetE0EEEvSK_
; %bb.0:
	.section	.rodata,"a",@progbits
	.p2align	6, 0x0
	.amdhsa_kernel _ZN7rocprim17ROCPRIM_400000_NS6detail17trampoline_kernelINS0_14default_configENS1_36segmented_radix_sort_config_selectorIslEEZNS1_25segmented_radix_sort_implIS3_Lb0EPKsPsPKlPlN2at6native12_GLOBAL__N_18offset_tEEE10hipError_tPvRmT1_PNSt15iterator_traitsISK_E10value_typeET2_T3_PNSL_ISQ_E10value_typeET4_jRbjT5_SW_jjP12ihipStream_tbEUlT_E2_NS1_11comp_targetILNS1_3genE3ELNS1_11target_archE908ELNS1_3gpuE7ELNS1_3repE0EEENS1_30default_config_static_selectorELNS0_4arch9wavefront6targetE0EEEvSK_
		.amdhsa_group_segment_fixed_size 0
		.amdhsa_private_segment_fixed_size 0
		.amdhsa_kernarg_size 80
		.amdhsa_user_sgpr_count 2
		.amdhsa_user_sgpr_dispatch_ptr 0
		.amdhsa_user_sgpr_queue_ptr 0
		.amdhsa_user_sgpr_kernarg_segment_ptr 1
		.amdhsa_user_sgpr_dispatch_id 0
		.amdhsa_user_sgpr_private_segment_size 0
		.amdhsa_wavefront_size32 1
		.amdhsa_uses_dynamic_stack 0
		.amdhsa_enable_private_segment 0
		.amdhsa_system_sgpr_workgroup_id_x 1
		.amdhsa_system_sgpr_workgroup_id_y 0
		.amdhsa_system_sgpr_workgroup_id_z 0
		.amdhsa_system_sgpr_workgroup_info 0
		.amdhsa_system_vgpr_workitem_id 0
		.amdhsa_next_free_vgpr 1
		.amdhsa_next_free_sgpr 1
		.amdhsa_reserve_vcc 0
		.amdhsa_float_round_mode_32 0
		.amdhsa_float_round_mode_16_64 0
		.amdhsa_float_denorm_mode_32 3
		.amdhsa_float_denorm_mode_16_64 3
		.amdhsa_fp16_overflow 0
		.amdhsa_workgroup_processor_mode 1
		.amdhsa_memory_ordered 1
		.amdhsa_forward_progress 1
		.amdhsa_inst_pref_size 0
		.amdhsa_round_robin_scheduling 0
		.amdhsa_exception_fp_ieee_invalid_op 0
		.amdhsa_exception_fp_denorm_src 0
		.amdhsa_exception_fp_ieee_div_zero 0
		.amdhsa_exception_fp_ieee_overflow 0
		.amdhsa_exception_fp_ieee_underflow 0
		.amdhsa_exception_fp_ieee_inexact 0
		.amdhsa_exception_int_div_zero 0
	.end_amdhsa_kernel
	.section	.text._ZN7rocprim17ROCPRIM_400000_NS6detail17trampoline_kernelINS0_14default_configENS1_36segmented_radix_sort_config_selectorIslEEZNS1_25segmented_radix_sort_implIS3_Lb0EPKsPsPKlPlN2at6native12_GLOBAL__N_18offset_tEEE10hipError_tPvRmT1_PNSt15iterator_traitsISK_E10value_typeET2_T3_PNSL_ISQ_E10value_typeET4_jRbjT5_SW_jjP12ihipStream_tbEUlT_E2_NS1_11comp_targetILNS1_3genE3ELNS1_11target_archE908ELNS1_3gpuE7ELNS1_3repE0EEENS1_30default_config_static_selectorELNS0_4arch9wavefront6targetE0EEEvSK_,"axG",@progbits,_ZN7rocprim17ROCPRIM_400000_NS6detail17trampoline_kernelINS0_14default_configENS1_36segmented_radix_sort_config_selectorIslEEZNS1_25segmented_radix_sort_implIS3_Lb0EPKsPsPKlPlN2at6native12_GLOBAL__N_18offset_tEEE10hipError_tPvRmT1_PNSt15iterator_traitsISK_E10value_typeET2_T3_PNSL_ISQ_E10value_typeET4_jRbjT5_SW_jjP12ihipStream_tbEUlT_E2_NS1_11comp_targetILNS1_3genE3ELNS1_11target_archE908ELNS1_3gpuE7ELNS1_3repE0EEENS1_30default_config_static_selectorELNS0_4arch9wavefront6targetE0EEEvSK_,comdat
.Lfunc_end1047:
	.size	_ZN7rocprim17ROCPRIM_400000_NS6detail17trampoline_kernelINS0_14default_configENS1_36segmented_radix_sort_config_selectorIslEEZNS1_25segmented_radix_sort_implIS3_Lb0EPKsPsPKlPlN2at6native12_GLOBAL__N_18offset_tEEE10hipError_tPvRmT1_PNSt15iterator_traitsISK_E10value_typeET2_T3_PNSL_ISQ_E10value_typeET4_jRbjT5_SW_jjP12ihipStream_tbEUlT_E2_NS1_11comp_targetILNS1_3genE3ELNS1_11target_archE908ELNS1_3gpuE7ELNS1_3repE0EEENS1_30default_config_static_selectorELNS0_4arch9wavefront6targetE0EEEvSK_, .Lfunc_end1047-_ZN7rocprim17ROCPRIM_400000_NS6detail17trampoline_kernelINS0_14default_configENS1_36segmented_radix_sort_config_selectorIslEEZNS1_25segmented_radix_sort_implIS3_Lb0EPKsPsPKlPlN2at6native12_GLOBAL__N_18offset_tEEE10hipError_tPvRmT1_PNSt15iterator_traitsISK_E10value_typeET2_T3_PNSL_ISQ_E10value_typeET4_jRbjT5_SW_jjP12ihipStream_tbEUlT_E2_NS1_11comp_targetILNS1_3genE3ELNS1_11target_archE908ELNS1_3gpuE7ELNS1_3repE0EEENS1_30default_config_static_selectorELNS0_4arch9wavefront6targetE0EEEvSK_
                                        ; -- End function
	.set _ZN7rocprim17ROCPRIM_400000_NS6detail17trampoline_kernelINS0_14default_configENS1_36segmented_radix_sort_config_selectorIslEEZNS1_25segmented_radix_sort_implIS3_Lb0EPKsPsPKlPlN2at6native12_GLOBAL__N_18offset_tEEE10hipError_tPvRmT1_PNSt15iterator_traitsISK_E10value_typeET2_T3_PNSL_ISQ_E10value_typeET4_jRbjT5_SW_jjP12ihipStream_tbEUlT_E2_NS1_11comp_targetILNS1_3genE3ELNS1_11target_archE908ELNS1_3gpuE7ELNS1_3repE0EEENS1_30default_config_static_selectorELNS0_4arch9wavefront6targetE0EEEvSK_.num_vgpr, 0
	.set _ZN7rocprim17ROCPRIM_400000_NS6detail17trampoline_kernelINS0_14default_configENS1_36segmented_radix_sort_config_selectorIslEEZNS1_25segmented_radix_sort_implIS3_Lb0EPKsPsPKlPlN2at6native12_GLOBAL__N_18offset_tEEE10hipError_tPvRmT1_PNSt15iterator_traitsISK_E10value_typeET2_T3_PNSL_ISQ_E10value_typeET4_jRbjT5_SW_jjP12ihipStream_tbEUlT_E2_NS1_11comp_targetILNS1_3genE3ELNS1_11target_archE908ELNS1_3gpuE7ELNS1_3repE0EEENS1_30default_config_static_selectorELNS0_4arch9wavefront6targetE0EEEvSK_.num_agpr, 0
	.set _ZN7rocprim17ROCPRIM_400000_NS6detail17trampoline_kernelINS0_14default_configENS1_36segmented_radix_sort_config_selectorIslEEZNS1_25segmented_radix_sort_implIS3_Lb0EPKsPsPKlPlN2at6native12_GLOBAL__N_18offset_tEEE10hipError_tPvRmT1_PNSt15iterator_traitsISK_E10value_typeET2_T3_PNSL_ISQ_E10value_typeET4_jRbjT5_SW_jjP12ihipStream_tbEUlT_E2_NS1_11comp_targetILNS1_3genE3ELNS1_11target_archE908ELNS1_3gpuE7ELNS1_3repE0EEENS1_30default_config_static_selectorELNS0_4arch9wavefront6targetE0EEEvSK_.numbered_sgpr, 0
	.set _ZN7rocprim17ROCPRIM_400000_NS6detail17trampoline_kernelINS0_14default_configENS1_36segmented_radix_sort_config_selectorIslEEZNS1_25segmented_radix_sort_implIS3_Lb0EPKsPsPKlPlN2at6native12_GLOBAL__N_18offset_tEEE10hipError_tPvRmT1_PNSt15iterator_traitsISK_E10value_typeET2_T3_PNSL_ISQ_E10value_typeET4_jRbjT5_SW_jjP12ihipStream_tbEUlT_E2_NS1_11comp_targetILNS1_3genE3ELNS1_11target_archE908ELNS1_3gpuE7ELNS1_3repE0EEENS1_30default_config_static_selectorELNS0_4arch9wavefront6targetE0EEEvSK_.num_named_barrier, 0
	.set _ZN7rocprim17ROCPRIM_400000_NS6detail17trampoline_kernelINS0_14default_configENS1_36segmented_radix_sort_config_selectorIslEEZNS1_25segmented_radix_sort_implIS3_Lb0EPKsPsPKlPlN2at6native12_GLOBAL__N_18offset_tEEE10hipError_tPvRmT1_PNSt15iterator_traitsISK_E10value_typeET2_T3_PNSL_ISQ_E10value_typeET4_jRbjT5_SW_jjP12ihipStream_tbEUlT_E2_NS1_11comp_targetILNS1_3genE3ELNS1_11target_archE908ELNS1_3gpuE7ELNS1_3repE0EEENS1_30default_config_static_selectorELNS0_4arch9wavefront6targetE0EEEvSK_.private_seg_size, 0
	.set _ZN7rocprim17ROCPRIM_400000_NS6detail17trampoline_kernelINS0_14default_configENS1_36segmented_radix_sort_config_selectorIslEEZNS1_25segmented_radix_sort_implIS3_Lb0EPKsPsPKlPlN2at6native12_GLOBAL__N_18offset_tEEE10hipError_tPvRmT1_PNSt15iterator_traitsISK_E10value_typeET2_T3_PNSL_ISQ_E10value_typeET4_jRbjT5_SW_jjP12ihipStream_tbEUlT_E2_NS1_11comp_targetILNS1_3genE3ELNS1_11target_archE908ELNS1_3gpuE7ELNS1_3repE0EEENS1_30default_config_static_selectorELNS0_4arch9wavefront6targetE0EEEvSK_.uses_vcc, 0
	.set _ZN7rocprim17ROCPRIM_400000_NS6detail17trampoline_kernelINS0_14default_configENS1_36segmented_radix_sort_config_selectorIslEEZNS1_25segmented_radix_sort_implIS3_Lb0EPKsPsPKlPlN2at6native12_GLOBAL__N_18offset_tEEE10hipError_tPvRmT1_PNSt15iterator_traitsISK_E10value_typeET2_T3_PNSL_ISQ_E10value_typeET4_jRbjT5_SW_jjP12ihipStream_tbEUlT_E2_NS1_11comp_targetILNS1_3genE3ELNS1_11target_archE908ELNS1_3gpuE7ELNS1_3repE0EEENS1_30default_config_static_selectorELNS0_4arch9wavefront6targetE0EEEvSK_.uses_flat_scratch, 0
	.set _ZN7rocprim17ROCPRIM_400000_NS6detail17trampoline_kernelINS0_14default_configENS1_36segmented_radix_sort_config_selectorIslEEZNS1_25segmented_radix_sort_implIS3_Lb0EPKsPsPKlPlN2at6native12_GLOBAL__N_18offset_tEEE10hipError_tPvRmT1_PNSt15iterator_traitsISK_E10value_typeET2_T3_PNSL_ISQ_E10value_typeET4_jRbjT5_SW_jjP12ihipStream_tbEUlT_E2_NS1_11comp_targetILNS1_3genE3ELNS1_11target_archE908ELNS1_3gpuE7ELNS1_3repE0EEENS1_30default_config_static_selectorELNS0_4arch9wavefront6targetE0EEEvSK_.has_dyn_sized_stack, 0
	.set _ZN7rocprim17ROCPRIM_400000_NS6detail17trampoline_kernelINS0_14default_configENS1_36segmented_radix_sort_config_selectorIslEEZNS1_25segmented_radix_sort_implIS3_Lb0EPKsPsPKlPlN2at6native12_GLOBAL__N_18offset_tEEE10hipError_tPvRmT1_PNSt15iterator_traitsISK_E10value_typeET2_T3_PNSL_ISQ_E10value_typeET4_jRbjT5_SW_jjP12ihipStream_tbEUlT_E2_NS1_11comp_targetILNS1_3genE3ELNS1_11target_archE908ELNS1_3gpuE7ELNS1_3repE0EEENS1_30default_config_static_selectorELNS0_4arch9wavefront6targetE0EEEvSK_.has_recursion, 0
	.set _ZN7rocprim17ROCPRIM_400000_NS6detail17trampoline_kernelINS0_14default_configENS1_36segmented_radix_sort_config_selectorIslEEZNS1_25segmented_radix_sort_implIS3_Lb0EPKsPsPKlPlN2at6native12_GLOBAL__N_18offset_tEEE10hipError_tPvRmT1_PNSt15iterator_traitsISK_E10value_typeET2_T3_PNSL_ISQ_E10value_typeET4_jRbjT5_SW_jjP12ihipStream_tbEUlT_E2_NS1_11comp_targetILNS1_3genE3ELNS1_11target_archE908ELNS1_3gpuE7ELNS1_3repE0EEENS1_30default_config_static_selectorELNS0_4arch9wavefront6targetE0EEEvSK_.has_indirect_call, 0
	.section	.AMDGPU.csdata,"",@progbits
; Kernel info:
; codeLenInByte = 0
; TotalNumSgprs: 0
; NumVgprs: 0
; ScratchSize: 0
; MemoryBound: 0
; FloatMode: 240
; IeeeMode: 1
; LDSByteSize: 0 bytes/workgroup (compile time only)
; SGPRBlocks: 0
; VGPRBlocks: 0
; NumSGPRsForWavesPerEU: 1
; NumVGPRsForWavesPerEU: 1
; Occupancy: 16
; WaveLimiterHint : 0
; COMPUTE_PGM_RSRC2:SCRATCH_EN: 0
; COMPUTE_PGM_RSRC2:USER_SGPR: 2
; COMPUTE_PGM_RSRC2:TRAP_HANDLER: 0
; COMPUTE_PGM_RSRC2:TGID_X_EN: 1
; COMPUTE_PGM_RSRC2:TGID_Y_EN: 0
; COMPUTE_PGM_RSRC2:TGID_Z_EN: 0
; COMPUTE_PGM_RSRC2:TIDIG_COMP_CNT: 0
	.section	.text._ZN7rocprim17ROCPRIM_400000_NS6detail17trampoline_kernelINS0_14default_configENS1_36segmented_radix_sort_config_selectorIslEEZNS1_25segmented_radix_sort_implIS3_Lb0EPKsPsPKlPlN2at6native12_GLOBAL__N_18offset_tEEE10hipError_tPvRmT1_PNSt15iterator_traitsISK_E10value_typeET2_T3_PNSL_ISQ_E10value_typeET4_jRbjT5_SW_jjP12ihipStream_tbEUlT_E2_NS1_11comp_targetILNS1_3genE2ELNS1_11target_archE906ELNS1_3gpuE6ELNS1_3repE0EEENS1_30default_config_static_selectorELNS0_4arch9wavefront6targetE0EEEvSK_,"axG",@progbits,_ZN7rocprim17ROCPRIM_400000_NS6detail17trampoline_kernelINS0_14default_configENS1_36segmented_radix_sort_config_selectorIslEEZNS1_25segmented_radix_sort_implIS3_Lb0EPKsPsPKlPlN2at6native12_GLOBAL__N_18offset_tEEE10hipError_tPvRmT1_PNSt15iterator_traitsISK_E10value_typeET2_T3_PNSL_ISQ_E10value_typeET4_jRbjT5_SW_jjP12ihipStream_tbEUlT_E2_NS1_11comp_targetILNS1_3genE2ELNS1_11target_archE906ELNS1_3gpuE6ELNS1_3repE0EEENS1_30default_config_static_selectorELNS0_4arch9wavefront6targetE0EEEvSK_,comdat
	.globl	_ZN7rocprim17ROCPRIM_400000_NS6detail17trampoline_kernelINS0_14default_configENS1_36segmented_radix_sort_config_selectorIslEEZNS1_25segmented_radix_sort_implIS3_Lb0EPKsPsPKlPlN2at6native12_GLOBAL__N_18offset_tEEE10hipError_tPvRmT1_PNSt15iterator_traitsISK_E10value_typeET2_T3_PNSL_ISQ_E10value_typeET4_jRbjT5_SW_jjP12ihipStream_tbEUlT_E2_NS1_11comp_targetILNS1_3genE2ELNS1_11target_archE906ELNS1_3gpuE6ELNS1_3repE0EEENS1_30default_config_static_selectorELNS0_4arch9wavefront6targetE0EEEvSK_ ; -- Begin function _ZN7rocprim17ROCPRIM_400000_NS6detail17trampoline_kernelINS0_14default_configENS1_36segmented_radix_sort_config_selectorIslEEZNS1_25segmented_radix_sort_implIS3_Lb0EPKsPsPKlPlN2at6native12_GLOBAL__N_18offset_tEEE10hipError_tPvRmT1_PNSt15iterator_traitsISK_E10value_typeET2_T3_PNSL_ISQ_E10value_typeET4_jRbjT5_SW_jjP12ihipStream_tbEUlT_E2_NS1_11comp_targetILNS1_3genE2ELNS1_11target_archE906ELNS1_3gpuE6ELNS1_3repE0EEENS1_30default_config_static_selectorELNS0_4arch9wavefront6targetE0EEEvSK_
	.p2align	8
	.type	_ZN7rocprim17ROCPRIM_400000_NS6detail17trampoline_kernelINS0_14default_configENS1_36segmented_radix_sort_config_selectorIslEEZNS1_25segmented_radix_sort_implIS3_Lb0EPKsPsPKlPlN2at6native12_GLOBAL__N_18offset_tEEE10hipError_tPvRmT1_PNSt15iterator_traitsISK_E10value_typeET2_T3_PNSL_ISQ_E10value_typeET4_jRbjT5_SW_jjP12ihipStream_tbEUlT_E2_NS1_11comp_targetILNS1_3genE2ELNS1_11target_archE906ELNS1_3gpuE6ELNS1_3repE0EEENS1_30default_config_static_selectorELNS0_4arch9wavefront6targetE0EEEvSK_,@function
_ZN7rocprim17ROCPRIM_400000_NS6detail17trampoline_kernelINS0_14default_configENS1_36segmented_radix_sort_config_selectorIslEEZNS1_25segmented_radix_sort_implIS3_Lb0EPKsPsPKlPlN2at6native12_GLOBAL__N_18offset_tEEE10hipError_tPvRmT1_PNSt15iterator_traitsISK_E10value_typeET2_T3_PNSL_ISQ_E10value_typeET4_jRbjT5_SW_jjP12ihipStream_tbEUlT_E2_NS1_11comp_targetILNS1_3genE2ELNS1_11target_archE906ELNS1_3gpuE6ELNS1_3repE0EEENS1_30default_config_static_selectorELNS0_4arch9wavefront6targetE0EEEvSK_: ; @_ZN7rocprim17ROCPRIM_400000_NS6detail17trampoline_kernelINS0_14default_configENS1_36segmented_radix_sort_config_selectorIslEEZNS1_25segmented_radix_sort_implIS3_Lb0EPKsPsPKlPlN2at6native12_GLOBAL__N_18offset_tEEE10hipError_tPvRmT1_PNSt15iterator_traitsISK_E10value_typeET2_T3_PNSL_ISQ_E10value_typeET4_jRbjT5_SW_jjP12ihipStream_tbEUlT_E2_NS1_11comp_targetILNS1_3genE2ELNS1_11target_archE906ELNS1_3gpuE6ELNS1_3repE0EEENS1_30default_config_static_selectorELNS0_4arch9wavefront6targetE0EEEvSK_
; %bb.0:
	.section	.rodata,"a",@progbits
	.p2align	6, 0x0
	.amdhsa_kernel _ZN7rocprim17ROCPRIM_400000_NS6detail17trampoline_kernelINS0_14default_configENS1_36segmented_radix_sort_config_selectorIslEEZNS1_25segmented_radix_sort_implIS3_Lb0EPKsPsPKlPlN2at6native12_GLOBAL__N_18offset_tEEE10hipError_tPvRmT1_PNSt15iterator_traitsISK_E10value_typeET2_T3_PNSL_ISQ_E10value_typeET4_jRbjT5_SW_jjP12ihipStream_tbEUlT_E2_NS1_11comp_targetILNS1_3genE2ELNS1_11target_archE906ELNS1_3gpuE6ELNS1_3repE0EEENS1_30default_config_static_selectorELNS0_4arch9wavefront6targetE0EEEvSK_
		.amdhsa_group_segment_fixed_size 0
		.amdhsa_private_segment_fixed_size 0
		.amdhsa_kernarg_size 80
		.amdhsa_user_sgpr_count 2
		.amdhsa_user_sgpr_dispatch_ptr 0
		.amdhsa_user_sgpr_queue_ptr 0
		.amdhsa_user_sgpr_kernarg_segment_ptr 1
		.amdhsa_user_sgpr_dispatch_id 0
		.amdhsa_user_sgpr_private_segment_size 0
		.amdhsa_wavefront_size32 1
		.amdhsa_uses_dynamic_stack 0
		.amdhsa_enable_private_segment 0
		.amdhsa_system_sgpr_workgroup_id_x 1
		.amdhsa_system_sgpr_workgroup_id_y 0
		.amdhsa_system_sgpr_workgroup_id_z 0
		.amdhsa_system_sgpr_workgroup_info 0
		.amdhsa_system_vgpr_workitem_id 0
		.amdhsa_next_free_vgpr 1
		.amdhsa_next_free_sgpr 1
		.amdhsa_reserve_vcc 0
		.amdhsa_float_round_mode_32 0
		.amdhsa_float_round_mode_16_64 0
		.amdhsa_float_denorm_mode_32 3
		.amdhsa_float_denorm_mode_16_64 3
		.amdhsa_fp16_overflow 0
		.amdhsa_workgroup_processor_mode 1
		.amdhsa_memory_ordered 1
		.amdhsa_forward_progress 1
		.amdhsa_inst_pref_size 0
		.amdhsa_round_robin_scheduling 0
		.amdhsa_exception_fp_ieee_invalid_op 0
		.amdhsa_exception_fp_denorm_src 0
		.amdhsa_exception_fp_ieee_div_zero 0
		.amdhsa_exception_fp_ieee_overflow 0
		.amdhsa_exception_fp_ieee_underflow 0
		.amdhsa_exception_fp_ieee_inexact 0
		.amdhsa_exception_int_div_zero 0
	.end_amdhsa_kernel
	.section	.text._ZN7rocprim17ROCPRIM_400000_NS6detail17trampoline_kernelINS0_14default_configENS1_36segmented_radix_sort_config_selectorIslEEZNS1_25segmented_radix_sort_implIS3_Lb0EPKsPsPKlPlN2at6native12_GLOBAL__N_18offset_tEEE10hipError_tPvRmT1_PNSt15iterator_traitsISK_E10value_typeET2_T3_PNSL_ISQ_E10value_typeET4_jRbjT5_SW_jjP12ihipStream_tbEUlT_E2_NS1_11comp_targetILNS1_3genE2ELNS1_11target_archE906ELNS1_3gpuE6ELNS1_3repE0EEENS1_30default_config_static_selectorELNS0_4arch9wavefront6targetE0EEEvSK_,"axG",@progbits,_ZN7rocprim17ROCPRIM_400000_NS6detail17trampoline_kernelINS0_14default_configENS1_36segmented_radix_sort_config_selectorIslEEZNS1_25segmented_radix_sort_implIS3_Lb0EPKsPsPKlPlN2at6native12_GLOBAL__N_18offset_tEEE10hipError_tPvRmT1_PNSt15iterator_traitsISK_E10value_typeET2_T3_PNSL_ISQ_E10value_typeET4_jRbjT5_SW_jjP12ihipStream_tbEUlT_E2_NS1_11comp_targetILNS1_3genE2ELNS1_11target_archE906ELNS1_3gpuE6ELNS1_3repE0EEENS1_30default_config_static_selectorELNS0_4arch9wavefront6targetE0EEEvSK_,comdat
.Lfunc_end1048:
	.size	_ZN7rocprim17ROCPRIM_400000_NS6detail17trampoline_kernelINS0_14default_configENS1_36segmented_radix_sort_config_selectorIslEEZNS1_25segmented_radix_sort_implIS3_Lb0EPKsPsPKlPlN2at6native12_GLOBAL__N_18offset_tEEE10hipError_tPvRmT1_PNSt15iterator_traitsISK_E10value_typeET2_T3_PNSL_ISQ_E10value_typeET4_jRbjT5_SW_jjP12ihipStream_tbEUlT_E2_NS1_11comp_targetILNS1_3genE2ELNS1_11target_archE906ELNS1_3gpuE6ELNS1_3repE0EEENS1_30default_config_static_selectorELNS0_4arch9wavefront6targetE0EEEvSK_, .Lfunc_end1048-_ZN7rocprim17ROCPRIM_400000_NS6detail17trampoline_kernelINS0_14default_configENS1_36segmented_radix_sort_config_selectorIslEEZNS1_25segmented_radix_sort_implIS3_Lb0EPKsPsPKlPlN2at6native12_GLOBAL__N_18offset_tEEE10hipError_tPvRmT1_PNSt15iterator_traitsISK_E10value_typeET2_T3_PNSL_ISQ_E10value_typeET4_jRbjT5_SW_jjP12ihipStream_tbEUlT_E2_NS1_11comp_targetILNS1_3genE2ELNS1_11target_archE906ELNS1_3gpuE6ELNS1_3repE0EEENS1_30default_config_static_selectorELNS0_4arch9wavefront6targetE0EEEvSK_
                                        ; -- End function
	.set _ZN7rocprim17ROCPRIM_400000_NS6detail17trampoline_kernelINS0_14default_configENS1_36segmented_radix_sort_config_selectorIslEEZNS1_25segmented_radix_sort_implIS3_Lb0EPKsPsPKlPlN2at6native12_GLOBAL__N_18offset_tEEE10hipError_tPvRmT1_PNSt15iterator_traitsISK_E10value_typeET2_T3_PNSL_ISQ_E10value_typeET4_jRbjT5_SW_jjP12ihipStream_tbEUlT_E2_NS1_11comp_targetILNS1_3genE2ELNS1_11target_archE906ELNS1_3gpuE6ELNS1_3repE0EEENS1_30default_config_static_selectorELNS0_4arch9wavefront6targetE0EEEvSK_.num_vgpr, 0
	.set _ZN7rocprim17ROCPRIM_400000_NS6detail17trampoline_kernelINS0_14default_configENS1_36segmented_radix_sort_config_selectorIslEEZNS1_25segmented_radix_sort_implIS3_Lb0EPKsPsPKlPlN2at6native12_GLOBAL__N_18offset_tEEE10hipError_tPvRmT1_PNSt15iterator_traitsISK_E10value_typeET2_T3_PNSL_ISQ_E10value_typeET4_jRbjT5_SW_jjP12ihipStream_tbEUlT_E2_NS1_11comp_targetILNS1_3genE2ELNS1_11target_archE906ELNS1_3gpuE6ELNS1_3repE0EEENS1_30default_config_static_selectorELNS0_4arch9wavefront6targetE0EEEvSK_.num_agpr, 0
	.set _ZN7rocprim17ROCPRIM_400000_NS6detail17trampoline_kernelINS0_14default_configENS1_36segmented_radix_sort_config_selectorIslEEZNS1_25segmented_radix_sort_implIS3_Lb0EPKsPsPKlPlN2at6native12_GLOBAL__N_18offset_tEEE10hipError_tPvRmT1_PNSt15iterator_traitsISK_E10value_typeET2_T3_PNSL_ISQ_E10value_typeET4_jRbjT5_SW_jjP12ihipStream_tbEUlT_E2_NS1_11comp_targetILNS1_3genE2ELNS1_11target_archE906ELNS1_3gpuE6ELNS1_3repE0EEENS1_30default_config_static_selectorELNS0_4arch9wavefront6targetE0EEEvSK_.numbered_sgpr, 0
	.set _ZN7rocprim17ROCPRIM_400000_NS6detail17trampoline_kernelINS0_14default_configENS1_36segmented_radix_sort_config_selectorIslEEZNS1_25segmented_radix_sort_implIS3_Lb0EPKsPsPKlPlN2at6native12_GLOBAL__N_18offset_tEEE10hipError_tPvRmT1_PNSt15iterator_traitsISK_E10value_typeET2_T3_PNSL_ISQ_E10value_typeET4_jRbjT5_SW_jjP12ihipStream_tbEUlT_E2_NS1_11comp_targetILNS1_3genE2ELNS1_11target_archE906ELNS1_3gpuE6ELNS1_3repE0EEENS1_30default_config_static_selectorELNS0_4arch9wavefront6targetE0EEEvSK_.num_named_barrier, 0
	.set _ZN7rocprim17ROCPRIM_400000_NS6detail17trampoline_kernelINS0_14default_configENS1_36segmented_radix_sort_config_selectorIslEEZNS1_25segmented_radix_sort_implIS3_Lb0EPKsPsPKlPlN2at6native12_GLOBAL__N_18offset_tEEE10hipError_tPvRmT1_PNSt15iterator_traitsISK_E10value_typeET2_T3_PNSL_ISQ_E10value_typeET4_jRbjT5_SW_jjP12ihipStream_tbEUlT_E2_NS1_11comp_targetILNS1_3genE2ELNS1_11target_archE906ELNS1_3gpuE6ELNS1_3repE0EEENS1_30default_config_static_selectorELNS0_4arch9wavefront6targetE0EEEvSK_.private_seg_size, 0
	.set _ZN7rocprim17ROCPRIM_400000_NS6detail17trampoline_kernelINS0_14default_configENS1_36segmented_radix_sort_config_selectorIslEEZNS1_25segmented_radix_sort_implIS3_Lb0EPKsPsPKlPlN2at6native12_GLOBAL__N_18offset_tEEE10hipError_tPvRmT1_PNSt15iterator_traitsISK_E10value_typeET2_T3_PNSL_ISQ_E10value_typeET4_jRbjT5_SW_jjP12ihipStream_tbEUlT_E2_NS1_11comp_targetILNS1_3genE2ELNS1_11target_archE906ELNS1_3gpuE6ELNS1_3repE0EEENS1_30default_config_static_selectorELNS0_4arch9wavefront6targetE0EEEvSK_.uses_vcc, 0
	.set _ZN7rocprim17ROCPRIM_400000_NS6detail17trampoline_kernelINS0_14default_configENS1_36segmented_radix_sort_config_selectorIslEEZNS1_25segmented_radix_sort_implIS3_Lb0EPKsPsPKlPlN2at6native12_GLOBAL__N_18offset_tEEE10hipError_tPvRmT1_PNSt15iterator_traitsISK_E10value_typeET2_T3_PNSL_ISQ_E10value_typeET4_jRbjT5_SW_jjP12ihipStream_tbEUlT_E2_NS1_11comp_targetILNS1_3genE2ELNS1_11target_archE906ELNS1_3gpuE6ELNS1_3repE0EEENS1_30default_config_static_selectorELNS0_4arch9wavefront6targetE0EEEvSK_.uses_flat_scratch, 0
	.set _ZN7rocprim17ROCPRIM_400000_NS6detail17trampoline_kernelINS0_14default_configENS1_36segmented_radix_sort_config_selectorIslEEZNS1_25segmented_radix_sort_implIS3_Lb0EPKsPsPKlPlN2at6native12_GLOBAL__N_18offset_tEEE10hipError_tPvRmT1_PNSt15iterator_traitsISK_E10value_typeET2_T3_PNSL_ISQ_E10value_typeET4_jRbjT5_SW_jjP12ihipStream_tbEUlT_E2_NS1_11comp_targetILNS1_3genE2ELNS1_11target_archE906ELNS1_3gpuE6ELNS1_3repE0EEENS1_30default_config_static_selectorELNS0_4arch9wavefront6targetE0EEEvSK_.has_dyn_sized_stack, 0
	.set _ZN7rocprim17ROCPRIM_400000_NS6detail17trampoline_kernelINS0_14default_configENS1_36segmented_radix_sort_config_selectorIslEEZNS1_25segmented_radix_sort_implIS3_Lb0EPKsPsPKlPlN2at6native12_GLOBAL__N_18offset_tEEE10hipError_tPvRmT1_PNSt15iterator_traitsISK_E10value_typeET2_T3_PNSL_ISQ_E10value_typeET4_jRbjT5_SW_jjP12ihipStream_tbEUlT_E2_NS1_11comp_targetILNS1_3genE2ELNS1_11target_archE906ELNS1_3gpuE6ELNS1_3repE0EEENS1_30default_config_static_selectorELNS0_4arch9wavefront6targetE0EEEvSK_.has_recursion, 0
	.set _ZN7rocprim17ROCPRIM_400000_NS6detail17trampoline_kernelINS0_14default_configENS1_36segmented_radix_sort_config_selectorIslEEZNS1_25segmented_radix_sort_implIS3_Lb0EPKsPsPKlPlN2at6native12_GLOBAL__N_18offset_tEEE10hipError_tPvRmT1_PNSt15iterator_traitsISK_E10value_typeET2_T3_PNSL_ISQ_E10value_typeET4_jRbjT5_SW_jjP12ihipStream_tbEUlT_E2_NS1_11comp_targetILNS1_3genE2ELNS1_11target_archE906ELNS1_3gpuE6ELNS1_3repE0EEENS1_30default_config_static_selectorELNS0_4arch9wavefront6targetE0EEEvSK_.has_indirect_call, 0
	.section	.AMDGPU.csdata,"",@progbits
; Kernel info:
; codeLenInByte = 0
; TotalNumSgprs: 0
; NumVgprs: 0
; ScratchSize: 0
; MemoryBound: 0
; FloatMode: 240
; IeeeMode: 1
; LDSByteSize: 0 bytes/workgroup (compile time only)
; SGPRBlocks: 0
; VGPRBlocks: 0
; NumSGPRsForWavesPerEU: 1
; NumVGPRsForWavesPerEU: 1
; Occupancy: 16
; WaveLimiterHint : 0
; COMPUTE_PGM_RSRC2:SCRATCH_EN: 0
; COMPUTE_PGM_RSRC2:USER_SGPR: 2
; COMPUTE_PGM_RSRC2:TRAP_HANDLER: 0
; COMPUTE_PGM_RSRC2:TGID_X_EN: 1
; COMPUTE_PGM_RSRC2:TGID_Y_EN: 0
; COMPUTE_PGM_RSRC2:TGID_Z_EN: 0
; COMPUTE_PGM_RSRC2:TIDIG_COMP_CNT: 0
	.section	.text._ZN7rocprim17ROCPRIM_400000_NS6detail17trampoline_kernelINS0_14default_configENS1_36segmented_radix_sort_config_selectorIslEEZNS1_25segmented_radix_sort_implIS3_Lb0EPKsPsPKlPlN2at6native12_GLOBAL__N_18offset_tEEE10hipError_tPvRmT1_PNSt15iterator_traitsISK_E10value_typeET2_T3_PNSL_ISQ_E10value_typeET4_jRbjT5_SW_jjP12ihipStream_tbEUlT_E2_NS1_11comp_targetILNS1_3genE10ELNS1_11target_archE1201ELNS1_3gpuE5ELNS1_3repE0EEENS1_30default_config_static_selectorELNS0_4arch9wavefront6targetE0EEEvSK_,"axG",@progbits,_ZN7rocprim17ROCPRIM_400000_NS6detail17trampoline_kernelINS0_14default_configENS1_36segmented_radix_sort_config_selectorIslEEZNS1_25segmented_radix_sort_implIS3_Lb0EPKsPsPKlPlN2at6native12_GLOBAL__N_18offset_tEEE10hipError_tPvRmT1_PNSt15iterator_traitsISK_E10value_typeET2_T3_PNSL_ISQ_E10value_typeET4_jRbjT5_SW_jjP12ihipStream_tbEUlT_E2_NS1_11comp_targetILNS1_3genE10ELNS1_11target_archE1201ELNS1_3gpuE5ELNS1_3repE0EEENS1_30default_config_static_selectorELNS0_4arch9wavefront6targetE0EEEvSK_,comdat
	.globl	_ZN7rocprim17ROCPRIM_400000_NS6detail17trampoline_kernelINS0_14default_configENS1_36segmented_radix_sort_config_selectorIslEEZNS1_25segmented_radix_sort_implIS3_Lb0EPKsPsPKlPlN2at6native12_GLOBAL__N_18offset_tEEE10hipError_tPvRmT1_PNSt15iterator_traitsISK_E10value_typeET2_T3_PNSL_ISQ_E10value_typeET4_jRbjT5_SW_jjP12ihipStream_tbEUlT_E2_NS1_11comp_targetILNS1_3genE10ELNS1_11target_archE1201ELNS1_3gpuE5ELNS1_3repE0EEENS1_30default_config_static_selectorELNS0_4arch9wavefront6targetE0EEEvSK_ ; -- Begin function _ZN7rocprim17ROCPRIM_400000_NS6detail17trampoline_kernelINS0_14default_configENS1_36segmented_radix_sort_config_selectorIslEEZNS1_25segmented_radix_sort_implIS3_Lb0EPKsPsPKlPlN2at6native12_GLOBAL__N_18offset_tEEE10hipError_tPvRmT1_PNSt15iterator_traitsISK_E10value_typeET2_T3_PNSL_ISQ_E10value_typeET4_jRbjT5_SW_jjP12ihipStream_tbEUlT_E2_NS1_11comp_targetILNS1_3genE10ELNS1_11target_archE1201ELNS1_3gpuE5ELNS1_3repE0EEENS1_30default_config_static_selectorELNS0_4arch9wavefront6targetE0EEEvSK_
	.p2align	8
	.type	_ZN7rocprim17ROCPRIM_400000_NS6detail17trampoline_kernelINS0_14default_configENS1_36segmented_radix_sort_config_selectorIslEEZNS1_25segmented_radix_sort_implIS3_Lb0EPKsPsPKlPlN2at6native12_GLOBAL__N_18offset_tEEE10hipError_tPvRmT1_PNSt15iterator_traitsISK_E10value_typeET2_T3_PNSL_ISQ_E10value_typeET4_jRbjT5_SW_jjP12ihipStream_tbEUlT_E2_NS1_11comp_targetILNS1_3genE10ELNS1_11target_archE1201ELNS1_3gpuE5ELNS1_3repE0EEENS1_30default_config_static_selectorELNS0_4arch9wavefront6targetE0EEEvSK_,@function
_ZN7rocprim17ROCPRIM_400000_NS6detail17trampoline_kernelINS0_14default_configENS1_36segmented_radix_sort_config_selectorIslEEZNS1_25segmented_radix_sort_implIS3_Lb0EPKsPsPKlPlN2at6native12_GLOBAL__N_18offset_tEEE10hipError_tPvRmT1_PNSt15iterator_traitsISK_E10value_typeET2_T3_PNSL_ISQ_E10value_typeET4_jRbjT5_SW_jjP12ihipStream_tbEUlT_E2_NS1_11comp_targetILNS1_3genE10ELNS1_11target_archE1201ELNS1_3gpuE5ELNS1_3repE0EEENS1_30default_config_static_selectorELNS0_4arch9wavefront6targetE0EEEvSK_: ; @_ZN7rocprim17ROCPRIM_400000_NS6detail17trampoline_kernelINS0_14default_configENS1_36segmented_radix_sort_config_selectorIslEEZNS1_25segmented_radix_sort_implIS3_Lb0EPKsPsPKlPlN2at6native12_GLOBAL__N_18offset_tEEE10hipError_tPvRmT1_PNSt15iterator_traitsISK_E10value_typeET2_T3_PNSL_ISQ_E10value_typeET4_jRbjT5_SW_jjP12ihipStream_tbEUlT_E2_NS1_11comp_targetILNS1_3genE10ELNS1_11target_archE1201ELNS1_3gpuE5ELNS1_3repE0EEENS1_30default_config_static_selectorELNS0_4arch9wavefront6targetE0EEEvSK_
; %bb.0:
	s_load_b128 s[4:7], s[0:1], 0x34
	s_mov_b32 s32, 0
	s_wait_kmcnt 0x0
	s_add_co_i32 s33, s5, ttmp9
	s_add_co_i32 s34, s7, ttmp9
	s_mul_i32 s33, s33, s4
	s_mul_i32 s34, s34, s6
	s_delay_alu instid0(SALU_CYCLE_1)
	s_cmp_le_u32 s34, s33
	s_cbranch_scc1 .LBB1049_678
; %bb.1:
	s_clause 0x3
	s_load_b32 s2, s[0:1], 0x30
	s_load_b128 s[24:27], s[0:1], 0x20
	s_load_b96 s[44:46], s[0:1], 0x44
	s_load_b256 s[36:43], s[0:1], 0x0
	s_wait_kmcnt 0x0
	s_bitcmp1_b32 s2, 0
	s_mov_b32 s2, -1
	s_cselect_b32 s35, -1, 0
	s_sub_co_i32 s47, s34, s33
	s_delay_alu instid0(SALU_CYCLE_1)
	s_cmp_lt_u32 s47, 0x801
	s_cbranch_scc0 .LBB1049_15
; %bb.2:
	s_cmp_lt_u32 s47, 33
	s_cbranch_scc0 .LBB1049_9
; %bb.3:
	s_load_b32 s2, s[0:1], 0x5c
	v_bfe_u32 v1, v0, 10, 10
	v_bfe_u32 v2, v0, 20, 10
	s_mov_b32 s16, exec_lo
	s_wait_kmcnt 0x0
	s_lshr_b32 s3, s2, 16
	s_and_b32 s2, s2, 0xffff
	v_mad_u32_u24 v2, v2, s3, v1
	v_and_b32_e32 v1, 0x3ff, v0
	s_delay_alu instid0(VALU_DEP_1) | instskip(NEXT) | instid1(VALU_DEP_1)
	v_mad_co_u64_u32 v[1:2], null, v2, s2, v[1:2]
	v_cmpx_gt_u32_e32 8, v1
	s_cbranch_execz .LBB1049_8
; %bb.4:
	v_cndmask_b32_e64 v1, 0, 1, s35
	s_and_b32 s2, s44, 1
	s_wait_alu 0xfffe
	s_delay_alu instid0(VALU_DEP_1)
	v_cmp_ne_u32_e32 vcc_lo, s2, v1
	s_mov_b32 s2, -1
	s_cbranch_vccnz .LBB1049_6
; %bb.5:
	s_mov_b64 s[2:3], src_shared_base
	v_dual_mov_b32 v31, v0 :: v_dual_mov_b32 v40, v0
	v_dual_mov_b32 v0, s36 :: v_dual_mov_b32 v1, s37
	v_dual_mov_b32 v2, s40 :: v_dual_mov_b32 v3, s41
	v_dual_mov_b32 v4, s42 :: v_dual_mov_b32 v5, s43
	v_dual_mov_b32 v6, s26 :: v_dual_mov_b32 v7, s27
	v_dual_mov_b32 v8, s33 :: v_dual_mov_b32 v9, s34
	v_dual_mov_b32 v10, s45 :: v_dual_mov_b32 v11, s46
	s_wait_alu 0xfffe
	v_dual_mov_b32 v12, 0 :: v_dual_mov_b32 v13, s3
	s_add_nc_u64 s[8:9], s[0:1], 0x50
	s_getpc_b64 s[4:5]
	s_sext_i32_i16 s5, s5
	s_add_co_u32 s4, s4, _ZN7rocprim17ROCPRIM_400000_NS6detail26segmented_warp_sort_helperINS1_20WarpSortHelperConfigILj8ELj4ELj256EEEslLi256ELb0EvE4sortIPKsPsPKlPlEEvT_T0_T1_T2_jjjjRNS5_12storage_typeE@rel32@lo+8
	s_add_co_ci_u32 s5, s5, _ZN7rocprim17ROCPRIM_400000_NS6detail26segmented_warp_sort_helperINS1_20WarpSortHelperConfigILj8ELj4ELj256EEEslLi256ELb0EvE4sortIPKsPsPKlPlEEvT_T0_T1_T2_jjjjRNS5_12storage_typeE@rel32@hi+16
	s_mov_b64 s[14:15], s[0:1]
	s_swappc_b64 s[30:31], s[4:5]
	v_mov_b32_e32 v0, v40
	s_mov_b64 s[0:1], s[14:15]
	s_mov_b32 s2, 0
.LBB1049_6:
	s_wait_alu 0xfffe
	s_and_not1_b32 vcc_lo, exec_lo, s2
	s_wait_alu 0xfffe
	s_cbranch_vccnz .LBB1049_8
; %bb.7:
	s_mov_b64 s[2:3], src_shared_base
	v_dual_mov_b32 v31, v0 :: v_dual_mov_b32 v40, v0
	v_dual_mov_b32 v0, s36 :: v_dual_mov_b32 v1, s37
	;; [unrolled: 1-line block ×7, first 2 shown]
	s_wait_alu 0xfffe
	v_dual_mov_b32 v12, 0 :: v_dual_mov_b32 v13, s3
	s_add_nc_u64 s[8:9], s[0:1], 0x50
	s_getpc_b64 s[4:5]
	s_wait_alu 0xfffe
	s_sext_i32_i16 s5, s5
	s_add_co_u32 s4, s4, _ZN7rocprim17ROCPRIM_400000_NS6detail26segmented_warp_sort_helperINS1_20WarpSortHelperConfigILj8ELj4ELj256EEEslLi256ELb0EvE4sortIPKsPsPKlPlEEvT_T0_T1_T2_jjjjRNS5_12storage_typeE@rel32@lo+12
	s_wait_alu 0xfffe
	s_add_co_ci_u32 s5, s5, _ZN7rocprim17ROCPRIM_400000_NS6detail26segmented_warp_sort_helperINS1_20WarpSortHelperConfigILj8ELj4ELj256EEEslLi256ELb0EvE4sortIPKsPsPKlPlEEvT_T0_T1_T2_jjjjRNS5_12storage_typeE@rel32@hi+24
	s_mov_b64 s[14:15], s[0:1]
	s_wait_alu 0xfffe
	s_swappc_b64 s[30:31], s[4:5]
	v_mov_b32_e32 v0, v40
	s_mov_b64 s[0:1], s[14:15]
.LBB1049_8:
	s_or_b32 exec_lo, exec_lo, s16
	s_mov_b32 s2, 0
.LBB1049_9:
	s_wait_alu 0xfffe
	s_and_not1_b32 vcc_lo, exec_lo, s2
	s_wait_alu 0xfffe
	s_cbranch_vccnz .LBB1049_14
; %bb.10:
	v_cndmask_b32_e64 v1, 0, 1, s35
	s_and_b32 s2, s44, 1
	s_wait_alu 0xfffe
	s_delay_alu instid0(VALU_DEP_1)
	v_cmp_ne_u32_e32 vcc_lo, s2, v1
	s_mov_b32 s2, -1
	s_cbranch_vccnz .LBB1049_12
; %bb.11:
	s_mov_b64 s[2:3], src_shared_base
	v_dual_mov_b32 v31, v0 :: v_dual_mov_b32 v40, v0
	v_dual_mov_b32 v0, s36 :: v_dual_mov_b32 v1, s37
	;; [unrolled: 1-line block ×7, first 2 shown]
	s_wait_alu 0xfffe
	v_dual_mov_b32 v12, 0 :: v_dual_mov_b32 v13, s3
	s_add_nc_u64 s[8:9], s[0:1], 0x50
	s_getpc_b64 s[4:5]
	s_wait_alu 0xfffe
	s_sext_i32_i16 s5, s5
	s_add_co_u32 s4, s4, _ZN7rocprim17ROCPRIM_400000_NS6detail40segmented_radix_sort_single_block_helperIslLj256ELj8ELb0EE4sortIPKsPsPKlPlEEbT_T0_T1_T2_jjjjRNS3_12storage_typeE@rel32@lo+12
	s_wait_alu 0xfffe
	s_add_co_ci_u32 s5, s5, _ZN7rocprim17ROCPRIM_400000_NS6detail40segmented_radix_sort_single_block_helperIslLj256ELj8ELb0EE4sortIPKsPsPKlPlEEbT_T0_T1_T2_jjjjRNS3_12storage_typeE@rel32@hi+24
	s_mov_b64 s[22:23], s[0:1]
	s_wait_alu 0xfffe
	s_swappc_b64 s[30:31], s[4:5]
	v_mov_b32_e32 v0, v40
	s_mov_b64 s[0:1], s[22:23]
	s_mov_b32 s2, 0
.LBB1049_12:
	s_wait_alu 0xfffe
	s_and_not1_b32 vcc_lo, exec_lo, s2
	s_wait_alu 0xfffe
	s_cbranch_vccnz .LBB1049_14
; %bb.13:
	s_mov_b64 s[2:3], src_shared_base
	v_dual_mov_b32 v31, v0 :: v_dual_mov_b32 v40, v0
	v_dual_mov_b32 v0, s36 :: v_dual_mov_b32 v1, s37
	;; [unrolled: 1-line block ×7, first 2 shown]
	s_wait_alu 0xfffe
	v_dual_mov_b32 v12, 0 :: v_dual_mov_b32 v13, s3
	s_add_nc_u64 s[8:9], s[0:1], 0x50
	s_getpc_b64 s[4:5]
	s_wait_alu 0xfffe
	s_sext_i32_i16 s5, s5
	s_add_co_u32 s4, s4, _ZN7rocprim17ROCPRIM_400000_NS6detail40segmented_radix_sort_single_block_helperIslLj256ELj8ELb0EE4sortIPKsPsPKlPlEEbT_T0_T1_T2_jjjjRNS3_12storage_typeE@rel32@lo+12
	s_wait_alu 0xfffe
	s_add_co_ci_u32 s5, s5, _ZN7rocprim17ROCPRIM_400000_NS6detail40segmented_radix_sort_single_block_helperIslLj256ELj8ELb0EE4sortIPKsPsPKlPlEEbT_T0_T1_T2_jjjjRNS3_12storage_typeE@rel32@hi+24
	s_mov_b64 s[22:23], s[0:1]
	s_wait_alu 0xfffe
	s_swappc_b64 s[30:31], s[4:5]
	v_mov_b32_e32 v0, v40
	s_mov_b64 s[0:1], s[22:23]
.LBB1049_14:
	s_mov_b32 s2, 0
.LBB1049_15:
	s_wait_alu 0xfffe
	s_and_not1_b32 vcc_lo, exec_lo, s2
	s_wait_alu 0xfffe
	s_cbranch_vccnz .LBB1049_678
; %bb.16:
	s_cmp_ge_u32 s45, s46
	s_cbranch_scc1 .LBB1049_678
; %bb.17:
	v_and_b32_e32 v13, 0x3ff, v0
	v_dual_mov_b32 v1, 0 :: v_dual_and_b32 v2, 3, v0
	v_lshrrev_b32_e32 v4, 3, v0
	v_bfe_u32 v45, v0, 20, 10
	s_delay_alu instid0(VALU_DEP_4) | instskip(NEXT) | instid1(VALU_DEP_4)
	v_dual_mov_b32 v63, 1 :: v_dual_lshlrev_b32 v28, 2, v13
	v_lshlrev_b32_e32 v39, 2, v2
	v_lshlrev_b32_e32 v2, 3, v13
	v_and_b32_e32 v38, 28, v4
	s_delay_alu instid0(VALU_DEP_4)
	v_mad_u32_u24 v40, v13, 12, v28
	v_lshlrev_b32_e32 v4, 5, v13
	v_or_b32_e32 v5, 31, v13
	v_and_b32_e32 v2, 0x700, v2
	v_bfe_u32 v46, v0, 10, 10
	v_mad_u32_u24 v43, v13, 20, v40
	v_lshlrev_b32_e32 v3, 1, v13
	v_cmp_eq_u32_e64 s3, v13, v5
	v_lshlrev_b32_e32 v0, 3, v2
	v_mbcnt_lo_u32_b32 v60, -1, 0
	v_sub_nc_u32_e32 v47, v43, v4
	v_lshlrev_b32_e32 v4, 1, v2
	v_or_b32_e32 v29, 0x100, v13
	v_add_co_u32 v5, s8, s26, v0
	s_wait_alu 0xf1ff
	v_add_co_ci_u32_e64 v6, null, s27, 0, s8
	v_add_co_u32 v7, s8, s40, v4
	s_wait_alu 0xf1ff
	v_add_co_ci_u32_e64 v8, null, s41, 0, s8
	;; [unrolled: 3-line block ×3, first 2 shown]
	v_add_co_u32 v52, s8, s24, v0
	v_lshlrev_b32_e32 v70, 3, v60
	s_wait_alu 0xf1ff
	v_add_co_ci_u32_e64 v53, null, s25, 0, s8
	v_add_co_u32 v54, s8, s38, v4
	v_lshlrev_b32_e32 v78, 1, v60
	s_wait_alu 0xf1ff
	v_add_co_ci_u32_e64 v55, null, s39, 0, s8
	v_add_co_u32 v56, s8, s36, v3
	v_or_b32_e32 v67, v60, v2
	s_wait_alu 0xf1ff
	v_add_co_ci_u32_e64 v57, null, s37, 0, s8
	v_add_co_u32 v58, s8, s42, v0
	v_add_co_u32 v80, vcc_lo, v5, v70
	s_wait_alu 0xf1ff
	v_add_co_ci_u32_e64 v59, null, s43, 0, s8
	v_add_co_u32 v61, s8, s36, v4
	s_wait_alu 0xfffd
	v_add_co_ci_u32_e64 v81, null, 0, v6, vcc_lo
	v_add_co_u32 v82, vcc_lo, v7, v78
	v_mov_b32_e32 v4, 0x7fff7fff
	v_add_co_u32 v32, s2, s40, v3
	v_or_b32_e32 v30, 0x200, v13
	v_or_b32_e32 v31, 0x300, v13
	s_wait_alu 0xf1ff
	v_add_co_ci_u32_e64 v33, null, s41, 0, s2
	v_or_b32_e32 v34, 0x400, v13
	v_or_b32_e32 v35, 0x500, v13
	;; [unrolled: 1-line block ×4, first 2 shown]
	v_cmp_gt_u32_e64 s2, 0x100, v13
	v_or_b32_e32 v41, 0x4400, v38
	v_cmp_gt_u32_e64 s4, 8, v13
	v_add_nc_u32_e32 v42, 0x4400, v28
	v_cmp_lt_u32_e64 s5, 31, v13
	v_add_nc_u32_e32 v44, 0x43fc, v38
	v_cmp_eq_u32_e64 s6, 0, v13
	v_cmp_ne_u32_e64 s7, 0xff, v13
	v_sub_nc_u32_e32 v48, v47, v3
	v_mul_u32_u24_e32 v49, 6, v13
	v_add_co_ci_u32_e64 v62, null, s37, 0, s8
	v_and_b32_e32 v64, 15, v60
	v_bfe_i32 v65, v60, 4, 1
	v_and_b32_e32 v66, 16, v60
	v_and_b32_e32 v68, 7, v60
	v_sub_co_u32 v69, s8, v60, 1
	v_or_b32_e32 v71, 32, v67
	v_or_b32_e32 v72, 64, v67
	;; [unrolled: 1-line block ×7, first 2 shown]
	v_lshlrev_b32_e32 v79, 1, v13
	s_wait_alu 0xfffd
	v_add_co_ci_u32_e64 v83, null, 0, v8, vcc_lo
	s_add_nc_u64 s[28:29], s[0:1], 0x50
	s_mov_b32 s31, 0
	s_mov_b32 s23, s45
	s_branch .LBB1049_20
.LBB1049_18:                            ;   in Loop: Header=BB1049_20 Depth=1
	s_wait_loadcnt_dscnt 0x0
	s_barrier_signal -1
	s_barrier_wait -1
.LBB1049_19:                            ;   in Loop: Header=BB1049_20 Depth=1
	s_add_co_i32 s23, s23, 8
	global_inv scope:SCOPE_SE
	s_wait_alu 0xfffe
	s_cmp_ge_u32 s23, s46
	s_cbranch_scc1 .LBB1049_678
.LBB1049_20:                            ; =>This Loop Header: Depth=1
                                        ;     Child Loop BB1049_24 Depth 2
                                        ;     Child Loop BB1049_72 Depth 2
	;; [unrolled: 1-line block ×8, first 2 shown]
	s_wait_alu 0xfffe
	s_sub_co_i32 s0, s46, s23
	s_xor_b32 s35, s35, -1
	s_wait_alu 0xfffe
	s_min_u32 s0, s0, 8
	ds_store_2addr_stride64_b32 v28, v1, v1 offset1:4
	s_wait_alu 0xfffe
	s_lshl_b32 s0, -1, s0
	ds_store_2addr_stride64_b32 v28, v1, v1 offset0:8 offset1:12
	s_wait_alu 0xfffe
	s_not_b32 s42, s0
	s_cmp_lg_u32 s23, s45
	s_mov_b32 s0, -1
	s_wait_storecnt_dscnt 0x0
	s_cbranch_scc0 .LBB1049_350
; %bb.21:                               ;   in Loop: Header=BB1049_20 Depth=1
	s_and_b32 vcc_lo, exec_lo, s35
	s_wait_alu 0xfffe
	s_cbranch_vccz .LBB1049_185
; %bb.22:                               ;   in Loop: Header=BB1049_20 Depth=1
	v_dual_mov_b32 v0, v1 :: v_dual_mov_b32 v3, v1
	v_mov_b32_e32 v2, v1
	s_mov_b32 s9, s47
	s_mov_b32 s30, s33
	s_barrier_signal -1
	s_delay_alu instid0(VALU_DEP_1)
	v_dual_mov_b32 v8, v3 :: v_dual_mov_b32 v7, v2
	v_dual_mov_b32 v6, v1 :: v_dual_mov_b32 v5, v0
	s_barrier_wait -1
	global_inv scope:SCOPE_SE
	s_branch .LBB1049_24
.LBB1049_23:                            ;   in Loop: Header=BB1049_24 Depth=2
	s_wait_alu 0xfffe
	s_or_b32 exec_lo, exec_lo, s0
	s_addk_co_i32 s9, 0xf800
	s_cmp_ge_u32 s10, s34
	s_mov_b32 s30, s10
	s_cbranch_scc1 .LBB1049_60
.LBB1049_24:                            ;   Parent Loop BB1049_20 Depth=1
                                        ; =>  This Inner Loop Header: Depth=2
	s_wait_alu 0xfffe
	s_add_co_i32 s10, s30, 0x800
	s_mov_b32 s0, -1
	s_wait_alu 0xfffe
	s_cmp_gt_u32 s10, s34
                                        ; implicit-def: $vgpr9_vgpr10_vgpr11_vgpr12
	s_cbranch_scc1 .LBB1049_26
; %bb.25:                               ;   in Loop: Header=BB1049_24 Depth=2
	s_lshl_b64 s[0:1], s[30:31], 1
	s_wait_alu 0xfffe
	v_add_co_u32 v2, vcc_lo, v32, s0
	s_wait_alu 0xfffd
	v_add_co_ci_u32_e64 v3, null, s1, v33, vcc_lo
	s_mov_b32 s0, 0
	s_clause 0x3
	global_load_u16 v9, v[2:3], off
	global_load_u16 v10, v[2:3], off offset:1024
	global_load_u16 v11, v[2:3], off offset:2048
	;; [unrolled: 1-line block ×3, first 2 shown]
	s_wait_loadcnt 0x3
	global_load_d16_hi_b16 v9, v[2:3], off offset:512
	s_wait_loadcnt 0x3
	global_load_d16_hi_b16 v10, v[2:3], off offset:1536
	;; [unrolled: 2-line block ×4, first 2 shown]
.LBB1049_26:                            ;   in Loop: Header=BB1049_24 Depth=2
	s_wait_alu 0xfffe
	s_and_not1_b32 vcc_lo, exec_lo, s0
	s_movk_i32 s0, 0x800
	s_wait_alu 0xfffe
	s_cbranch_vccnz .LBB1049_37
; %bb.27:                               ;   in Loop: Header=BB1049_24 Depth=2
	s_lshl_b64 s[0:1], s[30:31], 1
	s_mov_b32 s11, exec_lo
	s_wait_alu 0xfffe
	s_add_nc_u64 s[0:1], s[40:41], s[0:1]
	v_cmpx_gt_u32_e64 s9, v13
	s_cbranch_execnz .LBB1049_53
; %bb.28:                               ;   in Loop: Header=BB1049_24 Depth=2
	s_or_b32 exec_lo, exec_lo, s11
	s_delay_alu instid0(SALU_CYCLE_1)
	s_mov_b32 s11, exec_lo
	v_cmpx_gt_u32_e64 s9, v29
	s_cbranch_execnz .LBB1049_54
.LBB1049_29:                            ;   in Loop: Header=BB1049_24 Depth=2
	s_wait_alu 0xfffe
	s_or_b32 exec_lo, exec_lo, s11
	s_delay_alu instid0(SALU_CYCLE_1)
	s_mov_b32 s11, exec_lo
	v_cmpx_gt_u32_e64 s9, v30
	s_cbranch_execnz .LBB1049_55
.LBB1049_30:                            ;   in Loop: Header=BB1049_24 Depth=2
	s_wait_alu 0xfffe
	s_or_b32 exec_lo, exec_lo, s11
	s_delay_alu instid0(SALU_CYCLE_1)
	s_mov_b32 s11, exec_lo
	v_cmpx_gt_u32_e64 s9, v31
	s_cbranch_execnz .LBB1049_56
.LBB1049_31:                            ;   in Loop: Header=BB1049_24 Depth=2
	s_wait_alu 0xfffe
	s_or_b32 exec_lo, exec_lo, s11
	s_delay_alu instid0(SALU_CYCLE_1)
	s_mov_b32 s11, exec_lo
	v_cmpx_gt_u32_e64 s9, v34
	s_cbranch_execnz .LBB1049_57
.LBB1049_32:                            ;   in Loop: Header=BB1049_24 Depth=2
	s_wait_alu 0xfffe
	s_or_b32 exec_lo, exec_lo, s11
	s_delay_alu instid0(SALU_CYCLE_1)
	s_mov_b32 s11, exec_lo
	v_cmpx_gt_u32_e64 s9, v35
	s_cbranch_execnz .LBB1049_58
.LBB1049_33:                            ;   in Loop: Header=BB1049_24 Depth=2
	s_wait_alu 0xfffe
	s_or_b32 exec_lo, exec_lo, s11
	s_delay_alu instid0(SALU_CYCLE_1)
	s_mov_b32 s11, exec_lo
	v_cmpx_gt_u32_e64 s9, v36
	s_cbranch_execnz .LBB1049_59
.LBB1049_34:                            ;   in Loop: Header=BB1049_24 Depth=2
	s_wait_alu 0xfffe
	s_or_b32 exec_lo, exec_lo, s11
	s_delay_alu instid0(SALU_CYCLE_1)
	s_mov_b32 s11, exec_lo
	v_cmpx_gt_u32_e64 s9, v37
	s_cbranch_execz .LBB1049_36
.LBB1049_35:                            ;   in Loop: Header=BB1049_24 Depth=2
	s_wait_loadcnt 0x0
	global_load_d16_hi_b16 v8, v79, s[0:1] offset:3584
.LBB1049_36:                            ;   in Loop: Header=BB1049_24 Depth=2
	s_wait_alu 0xfffe
	s_or_b32 exec_lo, exec_lo, s11
	s_wait_loadcnt 0x0
	v_dual_mov_b32 v12, v8 :: v_dual_mov_b32 v11, v7
	v_dual_mov_b32 v10, v6 :: v_dual_mov_b32 v9, v5
	s_mov_b32 s0, s9
.LBB1049_37:                            ;   in Loop: Header=BB1049_24 Depth=2
	s_wait_loadcnt 0x0
	s_delay_alu instid0(VALU_DEP_1)
	v_dual_mov_b32 v5, v9 :: v_dual_mov_b32 v6, v10
	v_dual_mov_b32 v7, v11 :: v_dual_mov_b32 v8, v12
	s_mov_b32 s1, exec_lo
	s_wait_alu 0xfffe
	v_cmpx_gt_u32_e64 s0, v13
	s_cbranch_execnz .LBB1049_45
; %bb.38:                               ;   in Loop: Header=BB1049_24 Depth=2
	s_or_b32 exec_lo, exec_lo, s1
	s_delay_alu instid0(SALU_CYCLE_1)
	s_mov_b32 s1, exec_lo
	v_cmpx_gt_u32_e64 s0, v29
	s_cbranch_execnz .LBB1049_46
.LBB1049_39:                            ;   in Loop: Header=BB1049_24 Depth=2
	s_wait_alu 0xfffe
	s_or_b32 exec_lo, exec_lo, s1
	s_delay_alu instid0(SALU_CYCLE_1)
	s_mov_b32 s1, exec_lo
	v_cmpx_gt_u32_e64 s0, v30
	s_cbranch_execnz .LBB1049_47
.LBB1049_40:                            ;   in Loop: Header=BB1049_24 Depth=2
	s_wait_alu 0xfffe
	s_or_b32 exec_lo, exec_lo, s1
	s_delay_alu instid0(SALU_CYCLE_1)
	s_mov_b32 s1, exec_lo
	v_cmpx_gt_u32_e64 s0, v31
	s_cbranch_execnz .LBB1049_48
.LBB1049_41:                            ;   in Loop: Header=BB1049_24 Depth=2
	s_wait_alu 0xfffe
	s_or_b32 exec_lo, exec_lo, s1
	s_delay_alu instid0(SALU_CYCLE_1)
	s_mov_b32 s1, exec_lo
	v_cmpx_gt_u32_e64 s0, v34
	s_cbranch_execnz .LBB1049_49
.LBB1049_42:                            ;   in Loop: Header=BB1049_24 Depth=2
	s_wait_alu 0xfffe
	s_or_b32 exec_lo, exec_lo, s1
	s_delay_alu instid0(SALU_CYCLE_1)
	s_mov_b32 s1, exec_lo
	v_cmpx_gt_u32_e64 s0, v35
	s_cbranch_execnz .LBB1049_50
.LBB1049_43:                            ;   in Loop: Header=BB1049_24 Depth=2
	s_wait_alu 0xfffe
	s_or_b32 exec_lo, exec_lo, s1
	s_delay_alu instid0(SALU_CYCLE_1)
	s_mov_b32 s1, exec_lo
	v_cmpx_gt_u32_e64 s0, v36
	s_cbranch_execnz .LBB1049_51
.LBB1049_44:                            ;   in Loop: Header=BB1049_24 Depth=2
	s_wait_alu 0xfffe
	s_or_b32 exec_lo, exec_lo, s1
	v_cmp_gt_u32_e32 vcc_lo, s0, v37
	s_and_saveexec_b32 s0, vcc_lo
	s_cbranch_execz .LBB1049_23
	s_branch .LBB1049_52
.LBB1049_45:                            ;   in Loop: Header=BB1049_24 Depth=2
	v_xor_b32_e32 v0, 0xffff8000, v5
	s_delay_alu instid0(VALU_DEP_1) | instskip(NEXT) | instid1(VALU_DEP_1)
	v_and_b32_e32 v0, 0xffff, v0
	v_lshrrev_b32_e32 v0, s23, v0
	s_delay_alu instid0(VALU_DEP_1) | instskip(NEXT) | instid1(VALU_DEP_1)
	v_and_b32_e32 v0, s42, v0
	v_lshl_or_b32 v0, v0, 4, v39
	ds_add_u32 v0, v63
	s_or_b32 exec_lo, exec_lo, s1
	s_delay_alu instid0(SALU_CYCLE_1)
	s_mov_b32 s1, exec_lo
	v_cmpx_gt_u32_e64 s0, v29
	s_cbranch_execz .LBB1049_39
.LBB1049_46:                            ;   in Loop: Header=BB1049_24 Depth=2
	v_lshrrev_b32_e32 v0, 16, v5
	s_delay_alu instid0(VALU_DEP_1) | instskip(NEXT) | instid1(VALU_DEP_1)
	v_xor_b32_e32 v0, 0xffff8000, v0
	v_and_b32_e32 v0, 0xffff, v0
	s_delay_alu instid0(VALU_DEP_1) | instskip(NEXT) | instid1(VALU_DEP_1)
	v_lshrrev_b32_e32 v0, s23, v0
	v_and_b32_e32 v0, s42, v0
	s_delay_alu instid0(VALU_DEP_1) | instskip(SKIP_3) | instid1(SALU_CYCLE_1)
	v_lshl_or_b32 v0, v0, 4, v39
	ds_add_u32 v0, v63
	s_wait_alu 0xfffe
	s_or_b32 exec_lo, exec_lo, s1
	s_mov_b32 s1, exec_lo
	v_cmpx_gt_u32_e64 s0, v30
	s_cbranch_execz .LBB1049_40
.LBB1049_47:                            ;   in Loop: Header=BB1049_24 Depth=2
	v_xor_b32_e32 v0, 0xffff8000, v6
	s_delay_alu instid0(VALU_DEP_1) | instskip(NEXT) | instid1(VALU_DEP_1)
	v_and_b32_e32 v0, 0xffff, v0
	v_lshrrev_b32_e32 v0, s23, v0
	s_delay_alu instid0(VALU_DEP_1) | instskip(NEXT) | instid1(VALU_DEP_1)
	v_and_b32_e32 v0, s42, v0
	v_lshl_or_b32 v0, v0, 4, v39
	ds_add_u32 v0, v63
	s_wait_alu 0xfffe
	s_or_b32 exec_lo, exec_lo, s1
	s_delay_alu instid0(SALU_CYCLE_1)
	s_mov_b32 s1, exec_lo
	v_cmpx_gt_u32_e64 s0, v31
	s_cbranch_execz .LBB1049_41
.LBB1049_48:                            ;   in Loop: Header=BB1049_24 Depth=2
	v_lshrrev_b32_e32 v0, 16, v6
	s_delay_alu instid0(VALU_DEP_1) | instskip(NEXT) | instid1(VALU_DEP_1)
	v_xor_b32_e32 v0, 0xffff8000, v0
	v_and_b32_e32 v0, 0xffff, v0
	s_delay_alu instid0(VALU_DEP_1) | instskip(NEXT) | instid1(VALU_DEP_1)
	v_lshrrev_b32_e32 v0, s23, v0
	v_and_b32_e32 v0, s42, v0
	s_delay_alu instid0(VALU_DEP_1) | instskip(SKIP_3) | instid1(SALU_CYCLE_1)
	v_lshl_or_b32 v0, v0, 4, v39
	ds_add_u32 v0, v63
	s_wait_alu 0xfffe
	s_or_b32 exec_lo, exec_lo, s1
	s_mov_b32 s1, exec_lo
	v_cmpx_gt_u32_e64 s0, v34
	s_cbranch_execz .LBB1049_42
.LBB1049_49:                            ;   in Loop: Header=BB1049_24 Depth=2
	v_xor_b32_e32 v0, 0xffff8000, v7
	s_delay_alu instid0(VALU_DEP_1) | instskip(NEXT) | instid1(VALU_DEP_1)
	v_and_b32_e32 v0, 0xffff, v0
	v_lshrrev_b32_e32 v0, s23, v0
	s_delay_alu instid0(VALU_DEP_1) | instskip(NEXT) | instid1(VALU_DEP_1)
	v_and_b32_e32 v0, s42, v0
	v_lshl_or_b32 v0, v0, 4, v39
	ds_add_u32 v0, v63
	s_wait_alu 0xfffe
	s_or_b32 exec_lo, exec_lo, s1
	s_delay_alu instid0(SALU_CYCLE_1)
	s_mov_b32 s1, exec_lo
	v_cmpx_gt_u32_e64 s0, v35
	s_cbranch_execz .LBB1049_43
.LBB1049_50:                            ;   in Loop: Header=BB1049_24 Depth=2
	v_lshrrev_b32_e32 v0, 16, v7
	s_delay_alu instid0(VALU_DEP_1) | instskip(NEXT) | instid1(VALU_DEP_1)
	v_xor_b32_e32 v0, 0xffff8000, v0
	v_and_b32_e32 v0, 0xffff, v0
	s_delay_alu instid0(VALU_DEP_1) | instskip(NEXT) | instid1(VALU_DEP_1)
	v_lshrrev_b32_e32 v0, s23, v0
	v_and_b32_e32 v0, s42, v0
	s_delay_alu instid0(VALU_DEP_1) | instskip(SKIP_3) | instid1(SALU_CYCLE_1)
	v_lshl_or_b32 v0, v0, 4, v39
	ds_add_u32 v0, v63
	s_wait_alu 0xfffe
	s_or_b32 exec_lo, exec_lo, s1
	s_mov_b32 s1, exec_lo
	v_cmpx_gt_u32_e64 s0, v36
	s_cbranch_execz .LBB1049_44
.LBB1049_51:                            ;   in Loop: Header=BB1049_24 Depth=2
	v_xor_b32_e32 v0, 0xffff8000, v8
	s_delay_alu instid0(VALU_DEP_1) | instskip(NEXT) | instid1(VALU_DEP_1)
	v_and_b32_e32 v0, 0xffff, v0
	v_lshrrev_b32_e32 v0, s23, v0
	s_delay_alu instid0(VALU_DEP_1) | instskip(NEXT) | instid1(VALU_DEP_1)
	v_and_b32_e32 v0, s42, v0
	v_lshl_or_b32 v0, v0, 4, v39
	ds_add_u32 v0, v63
	s_wait_alu 0xfffe
	s_or_b32 exec_lo, exec_lo, s1
	v_cmp_gt_u32_e32 vcc_lo, s0, v37
	s_and_saveexec_b32 s0, vcc_lo
	s_cbranch_execz .LBB1049_23
.LBB1049_52:                            ;   in Loop: Header=BB1049_24 Depth=2
	v_lshrrev_b32_e32 v0, 16, v8
	s_delay_alu instid0(VALU_DEP_1) | instskip(NEXT) | instid1(VALU_DEP_1)
	v_xor_b32_e32 v0, 0xffff8000, v0
	v_and_b32_e32 v0, 0xffff, v0
	s_delay_alu instid0(VALU_DEP_1) | instskip(NEXT) | instid1(VALU_DEP_1)
	v_lshrrev_b32_e32 v0, s23, v0
	v_and_b32_e32 v0, s42, v0
	s_delay_alu instid0(VALU_DEP_1)
	v_lshl_or_b32 v0, v0, 4, v39
	ds_add_u32 v0, v63
	s_branch .LBB1049_23
.LBB1049_53:                            ;   in Loop: Header=BB1049_24 Depth=2
	global_load_d16_b16 v5, v79, s[0:1]
	s_or_b32 exec_lo, exec_lo, s11
	s_delay_alu instid0(SALU_CYCLE_1)
	s_mov_b32 s11, exec_lo
	v_cmpx_gt_u32_e64 s9, v29
	s_cbranch_execz .LBB1049_29
.LBB1049_54:                            ;   in Loop: Header=BB1049_24 Depth=2
	s_wait_loadcnt 0x0
	global_load_d16_hi_b16 v5, v79, s[0:1] offset:512
	s_wait_alu 0xfffe
	s_or_b32 exec_lo, exec_lo, s11
	s_delay_alu instid0(SALU_CYCLE_1)
	s_mov_b32 s11, exec_lo
	v_cmpx_gt_u32_e64 s9, v30
	s_cbranch_execz .LBB1049_30
.LBB1049_55:                            ;   in Loop: Header=BB1049_24 Depth=2
	global_load_d16_b16 v6, v79, s[0:1] offset:1024
	s_wait_alu 0xfffe
	s_or_b32 exec_lo, exec_lo, s11
	s_delay_alu instid0(SALU_CYCLE_1)
	s_mov_b32 s11, exec_lo
	v_cmpx_gt_u32_e64 s9, v31
	s_cbranch_execz .LBB1049_31
.LBB1049_56:                            ;   in Loop: Header=BB1049_24 Depth=2
	s_wait_loadcnt 0x0
	global_load_d16_hi_b16 v6, v79, s[0:1] offset:1536
	s_wait_alu 0xfffe
	s_or_b32 exec_lo, exec_lo, s11
	s_delay_alu instid0(SALU_CYCLE_1)
	s_mov_b32 s11, exec_lo
	v_cmpx_gt_u32_e64 s9, v34
	s_cbranch_execz .LBB1049_32
.LBB1049_57:                            ;   in Loop: Header=BB1049_24 Depth=2
	global_load_d16_b16 v7, v79, s[0:1] offset:2048
	s_wait_alu 0xfffe
	s_or_b32 exec_lo, exec_lo, s11
	s_delay_alu instid0(SALU_CYCLE_1)
	s_mov_b32 s11, exec_lo
	v_cmpx_gt_u32_e64 s9, v35
	s_cbranch_execz .LBB1049_33
.LBB1049_58:                            ;   in Loop: Header=BB1049_24 Depth=2
	s_wait_loadcnt 0x0
	global_load_d16_hi_b16 v7, v79, s[0:1] offset:2560
	s_wait_alu 0xfffe
	s_or_b32 exec_lo, exec_lo, s11
	s_delay_alu instid0(SALU_CYCLE_1)
	s_mov_b32 s11, exec_lo
	v_cmpx_gt_u32_e64 s9, v36
	s_cbranch_execz .LBB1049_34
.LBB1049_59:                            ;   in Loop: Header=BB1049_24 Depth=2
	global_load_d16_b16 v8, v79, s[0:1] offset:3072
	s_wait_alu 0xfffe
	s_or_b32 exec_lo, exec_lo, s11
	s_delay_alu instid0(SALU_CYCLE_1)
	s_mov_b32 s11, exec_lo
	v_cmpx_gt_u32_e64 s9, v37
	s_cbranch_execnz .LBB1049_35
	s_branch .LBB1049_36
.LBB1049_60:                            ;   in Loop: Header=BB1049_20 Depth=1
	v_mov_b32_e32 v0, 0
	s_wait_dscnt 0x0
	s_barrier_signal -1
	s_barrier_wait -1
	global_inv scope:SCOPE_SE
	s_and_saveexec_b32 s0, s2
	s_cbranch_execz .LBB1049_62
; %bb.61:                               ;   in Loop: Header=BB1049_20 Depth=1
	ds_load_2addr_b64 v[5:8], v40 offset1:1
	s_wait_dscnt 0x0
	v_add_nc_u32_e32 v0, v6, v5
	s_delay_alu instid0(VALU_DEP_1)
	v_add3_u32 v0, v0, v7, v8
.LBB1049_62:                            ;   in Loop: Header=BB1049_20 Depth=1
	s_wait_alu 0xfffe
	s_or_b32 exec_lo, exec_lo, s0
	s_delay_alu instid0(VALU_DEP_1)
	v_mov_b32_dpp v2, v0 row_shr:1 row_mask:0xf bank_mask:0xf
	v_cmp_eq_u32_e64 s0, 0, v64
	v_cmp_lt_u32_e64 s1, 1, v64
	v_cmp_lt_u32_e64 s9, 3, v64
	;; [unrolled: 1-line block ×3, first 2 shown]
	v_cmp_eq_u32_e64 s11, 0, v66
	s_wait_alu 0xf1ff
	v_cndmask_b32_e64 v2, v2, 0, s0
	s_delay_alu instid0(VALU_DEP_1) | instskip(NEXT) | instid1(VALU_DEP_1)
	v_add_nc_u32_e32 v0, v2, v0
	v_mov_b32_dpp v2, v0 row_shr:2 row_mask:0xf bank_mask:0xf
	s_delay_alu instid0(VALU_DEP_1) | instskip(NEXT) | instid1(VALU_DEP_1)
	v_cndmask_b32_e64 v2, 0, v2, s1
	v_add_nc_u32_e32 v0, v0, v2
	s_delay_alu instid0(VALU_DEP_1) | instskip(NEXT) | instid1(VALU_DEP_1)
	v_mov_b32_dpp v2, v0 row_shr:4 row_mask:0xf bank_mask:0xf
	v_cndmask_b32_e64 v2, 0, v2, s9
	s_delay_alu instid0(VALU_DEP_1) | instskip(NEXT) | instid1(VALU_DEP_1)
	v_add_nc_u32_e32 v0, v0, v2
	v_mov_b32_dpp v2, v0 row_shr:8 row_mask:0xf bank_mask:0xf
	s_delay_alu instid0(VALU_DEP_1) | instskip(NEXT) | instid1(VALU_DEP_1)
	v_cndmask_b32_e64 v2, 0, v2, s10
	v_add_nc_u32_e32 v0, v0, v2
	ds_swizzle_b32 v2, v0 offset:swizzle(BROADCAST,32,15)
	s_wait_dscnt 0x0
	v_and_b32_e32 v2, v65, v2
	s_delay_alu instid0(VALU_DEP_1)
	v_add_nc_u32_e32 v0, v0, v2
	s_and_saveexec_b32 s12, s3
; %bb.63:                               ;   in Loop: Header=BB1049_20 Depth=1
	ds_store_b32 v41, v0
; %bb.64:                               ;   in Loop: Header=BB1049_20 Depth=1
	s_wait_alu 0xfffe
	s_or_b32 exec_lo, exec_lo, s12
	s_wait_loadcnt_dscnt 0x0
	s_barrier_signal -1
	s_barrier_wait -1
	global_inv scope:SCOPE_SE
	s_and_saveexec_b32 s12, s4
	s_cbranch_execz .LBB1049_66
; %bb.65:                               ;   in Loop: Header=BB1049_20 Depth=1
	ds_load_b32 v2, v42
	v_cmp_ne_u32_e32 vcc_lo, 0, v68
	s_wait_dscnt 0x0
	v_mov_b32_dpp v3, v2 row_shr:1 row_mask:0xf bank_mask:0xf
	s_wait_alu 0xfffd
	s_delay_alu instid0(VALU_DEP_1) | instskip(SKIP_1) | instid1(VALU_DEP_2)
	v_cndmask_b32_e32 v3, 0, v3, vcc_lo
	v_cmp_lt_u32_e32 vcc_lo, 1, v68
	v_add_nc_u32_e32 v2, v3, v2
	s_delay_alu instid0(VALU_DEP_1) | instskip(SKIP_1) | instid1(VALU_DEP_1)
	v_mov_b32_dpp v3, v2 row_shr:2 row_mask:0xf bank_mask:0xf
	s_wait_alu 0xfffd
	v_cndmask_b32_e32 v3, 0, v3, vcc_lo
	v_cmp_lt_u32_e32 vcc_lo, 3, v68
	s_delay_alu instid0(VALU_DEP_2) | instskip(NEXT) | instid1(VALU_DEP_1)
	v_add_nc_u32_e32 v2, v2, v3
	v_mov_b32_dpp v3, v2 row_shr:4 row_mask:0xf bank_mask:0xf
	s_wait_alu 0xfffd
	s_delay_alu instid0(VALU_DEP_1) | instskip(NEXT) | instid1(VALU_DEP_1)
	v_cndmask_b32_e32 v3, 0, v3, vcc_lo
	v_add_nc_u32_e32 v2, v2, v3
	ds_store_b32 v42, v2
.LBB1049_66:                            ;   in Loop: Header=BB1049_20 Depth=1
	s_wait_alu 0xfffe
	s_or_b32 exec_lo, exec_lo, s12
	v_mov_b32_e32 v2, 0
	s_wait_loadcnt_dscnt 0x0
	s_barrier_signal -1
	s_barrier_wait -1
	global_inv scope:SCOPE_SE
	s_and_saveexec_b32 s12, s5
; %bb.67:                               ;   in Loop: Header=BB1049_20 Depth=1
	ds_load_b32 v2, v44
; %bb.68:                               ;   in Loop: Header=BB1049_20 Depth=1
	s_wait_alu 0xfffe
	s_or_b32 exec_lo, exec_lo, s12
	v_cmp_gt_i32_e32 vcc_lo, 0, v69
	s_wait_dscnt 0x0
	v_add_nc_u32_e32 v0, v2, v0
	s_wait_loadcnt 0x0
	s_barrier_signal -1
	s_barrier_wait -1
	s_wait_alu 0xfffd
	v_cndmask_b32_e32 v3, v69, v60, vcc_lo
	global_inv scope:SCOPE_SE
	v_lshlrev_b32_e32 v84, 2, v3
	ds_bpermute_b32 v0, v84, v0
	s_and_saveexec_b32 s12, s2
	s_cbranch_execz .LBB1049_70
; %bb.69:                               ;   in Loop: Header=BB1049_20 Depth=1
	s_wait_dscnt 0x0
	v_cndmask_b32_e64 v0, v0, v2, s8
	s_delay_alu instid0(VALU_DEP_1)
	v_add_nc_u32_e32 v0, s33, v0
	ds_store_b32 v28, v0
.LBB1049_70:                            ;   in Loop: Header=BB1049_20 Depth=1
	s_wait_alu 0xfffe
	s_or_b32 exec_lo, exec_lo, s12
	s_clause 0x1
	s_load_b32 s12, s[28:29], 0x4
	s_load_b32 s14, s[28:29], 0xc
	s_mov_b32 s43, s47
                                        ; implicit-def: $vgpr9_vgpr10
                                        ; implicit-def: $vgpr11_vgpr12
                                        ; implicit-def: $vgpr16_vgpr17
                                        ; implicit-def: $vgpr18_vgpr19
                                        ; implicit-def: $vgpr20_vgpr21
                                        ; implicit-def: $vgpr22_vgpr23
                                        ; implicit-def: $vgpr86
                                        ; implicit-def: $vgpr87
                                        ; implicit-def: $vgpr88
                                        ; implicit-def: $vgpr89
                                        ; implicit-def: $vgpr90
                                        ; implicit-def: $vgpr91
                                        ; implicit-def: $vgpr92
                                        ; implicit-def: $vgpr93
	s_wait_kmcnt 0x0
	s_cmp_lt_u32 ttmp7, s12
	s_cselect_b32 s30, 14, 20
	s_wait_alu 0xfffe
	s_add_nc_u64 s[12:13], s[28:29], s[30:31]
	s_mov_b32 s30, s33
	s_load_u16 s12, s[12:13], 0x0
	v_cmp_lt_u32_e64 s13, 1, v68
	s_wait_dscnt 0x0
	s_wait_kmcnt 0x0
	v_mad_u32_u24 v0, v45, s12, v46
	s_and_b32 s12, s14, 0xffff
	v_cmp_lt_u32_e64 s14, 3, v68
	s_wait_alu 0xfffe
	s_delay_alu instid0(VALU_DEP_2) | instskip(SKIP_1) | instid1(VALU_DEP_2)
	v_mad_co_u64_u32 v[2:3], null, v0, s12, v[13:14]
	v_cmp_eq_u32_e64 s12, 0, v68
                                        ; implicit-def: $vgpr14_vgpr15
	v_lshrrev_b32_e32 v0, 3, v2
                                        ; implicit-def: $vgpr2_vgpr3
	s_delay_alu instid0(VALU_DEP_1)
	v_and_b32_e32 v85, 0x1ffffffc, v0
	s_branch .LBB1049_72
.LBB1049_71:                            ;   in Loop: Header=BB1049_72 Depth=2
	s_wait_alu 0xfffe
	s_or_b32 exec_lo, exec_lo, s15
	s_addk_co_i32 s43, 0xf800
	s_cmp_lt_u32 s44, s34
	s_mov_b32 s30, s44
	s_cbranch_scc0 .LBB1049_184
.LBB1049_72:                            ;   Parent Loop BB1049_20 Depth=1
                                        ; =>  This Inner Loop Header: Depth=2
	s_wait_alu 0xfffe
	s_add_co_i32 s44, s30, 0x800
	s_wait_alu 0xfffe
	s_cmp_gt_u32 s44, s34
	s_cbranch_scc1 .LBB1049_74
; %bb.73:                               ;   in Loop: Header=BB1049_72 Depth=2
	s_lshl_b64 s[16:17], s[30:31], 1
	s_mov_b32 s15, -1
	s_wait_alu 0xfffe
	v_add_co_u32 v24, vcc_lo, v82, s16
	s_wait_alu 0xfffd
	v_add_co_ci_u32_e64 v25, null, s17, v83, vcc_lo
	s_clause 0x3
	global_load_u16 v5, v[24:25], off
	global_load_u16 v6, v[24:25], off offset:128
	global_load_u16 v7, v[24:25], off offset:256
	global_load_d16_b16 v8, v[24:25], off offset:384
	s_wait_loadcnt 0x3
	global_load_d16_hi_b16 v5, v[24:25], off offset:64
	s_wait_loadcnt 0x3
	global_load_d16_hi_b16 v6, v[24:25], off offset:192
	;; [unrolled: 2-line block ×3, first 2 shown]
	s_movk_i32 s16, 0x800
	s_cbranch_execz .LBB1049_75
	s_branch .LBB1049_84
.LBB1049_74:                            ;   in Loop: Header=BB1049_72 Depth=2
	s_mov_b32 s15, 0
                                        ; implicit-def: $vgpr5_vgpr6_vgpr7_vgpr8
	s_movk_i32 s16, 0x800
.LBB1049_75:                            ;   in Loop: Header=BB1049_72 Depth=2
	s_wait_loadcnt 0x0
	v_mov_b32_e32 v7, v4
	s_lshl_b64 s[16:17], s[30:31], 1
	v_dual_mov_b32 v5, v4 :: v_dual_mov_b32 v6, v4
	s_wait_alu 0xfffe
	v_add_co_u32 v24, vcc_lo, v82, s16
	v_mov_b32_e32 v8, v7
	s_wait_alu 0xfffd
	v_add_co_ci_u32_e64 v25, null, s17, v83, vcc_lo
	v_mov_b32_e32 v7, v6
	v_mov_b32_e32 v6, v5
	;; [unrolled: 1-line block ×3, first 2 shown]
	s_mov_b32 s15, exec_lo
	v_cmpx_gt_u32_e64 s43, v67
	s_cbranch_execnz .LBB1049_178
; %bb.76:                               ;   in Loop: Header=BB1049_72 Depth=2
	s_wait_alu 0xfffe
	s_or_b32 exec_lo, exec_lo, s15
	s_delay_alu instid0(SALU_CYCLE_1)
	s_mov_b32 s15, exec_lo
	v_cmpx_gt_u32_e64 s43, v71
	s_cbranch_execnz .LBB1049_179
.LBB1049_77:                            ;   in Loop: Header=BB1049_72 Depth=2
	s_wait_alu 0xfffe
	s_or_b32 exec_lo, exec_lo, s15
	s_delay_alu instid0(SALU_CYCLE_1)
	s_mov_b32 s15, exec_lo
	v_cmpx_gt_u32_e64 s43, v72
	s_cbranch_execnz .LBB1049_180
.LBB1049_78:                            ;   in Loop: Header=BB1049_72 Depth=2
	s_wait_alu 0xfffe
	s_or_b32 exec_lo, exec_lo, s15
	s_delay_alu instid0(SALU_CYCLE_1)
	s_mov_b32 s15, exec_lo
	v_cmpx_gt_u32_e64 s43, v73
	s_cbranch_execnz .LBB1049_181
.LBB1049_79:                            ;   in Loop: Header=BB1049_72 Depth=2
	s_wait_alu 0xfffe
	s_or_b32 exec_lo, exec_lo, s15
	s_delay_alu instid0(SALU_CYCLE_1)
	s_mov_b32 s15, exec_lo
	v_cmpx_gt_u32_e64 s43, v74
	s_cbranch_execnz .LBB1049_182
.LBB1049_80:                            ;   in Loop: Header=BB1049_72 Depth=2
	s_wait_alu 0xfffe
	s_or_b32 exec_lo, exec_lo, s15
	s_delay_alu instid0(SALU_CYCLE_1)
	s_mov_b32 s15, exec_lo
	v_cmpx_gt_u32_e64 s43, v75
	s_cbranch_execnz .LBB1049_183
.LBB1049_81:                            ;   in Loop: Header=BB1049_72 Depth=2
	s_wait_alu 0xfffe
	s_or_b32 exec_lo, exec_lo, s15
	s_delay_alu instid0(SALU_CYCLE_1)
	s_mov_b32 s15, exec_lo
	v_cmpx_gt_u32_e64 s43, v76
	s_cbranch_execz .LBB1049_83
.LBB1049_82:                            ;   in Loop: Header=BB1049_72 Depth=2
	global_load_d16_b16 v8, v[24:25], off offset:384
.LBB1049_83:                            ;   in Loop: Header=BB1049_72 Depth=2
	s_wait_alu 0xfffe
	s_or_b32 exec_lo, exec_lo, s15
	v_cmp_gt_u32_e64 s15, s43, v77
	s_sub_co_i32 s16, s34, s30
.LBB1049_84:                            ;   in Loop: Header=BB1049_72 Depth=2
	v_mov_b32_e32 v94, s43
	s_and_saveexec_b32 s17, s15
	s_cbranch_execz .LBB1049_86
; %bb.85:                               ;   in Loop: Header=BB1049_72 Depth=2
	s_lshl_b64 s[18:19], s[30:31], 1
	s_wait_alu 0xfffe
	v_mov_b32_e32 v94, s16
	v_add_co_u32 v24, vcc_lo, v82, s18
	s_wait_alu 0xfffd
	v_add_co_ci_u32_e64 v25, null, s19, v83, vcc_lo
	s_wait_loadcnt 0x0
	global_load_d16_hi_b16 v8, v[24:25], off offset:448
.LBB1049_86:                            ;   in Loop: Header=BB1049_72 Depth=2
	s_wait_alu 0xfffe
	s_or_b32 exec_lo, exec_lo, s17
	s_wait_loadcnt 0x0
	v_xor_b32_e32 v0, 0xffff8000, v5
	s_delay_alu instid0(VALU_DEP_1) | instskip(NEXT) | instid1(VALU_DEP_1)
	v_and_b32_e32 v24, 0xffff, v0
	v_lshrrev_b32_e32 v24, s23, v24
	s_delay_alu instid0(VALU_DEP_1) | instskip(NEXT) | instid1(VALU_DEP_1)
	v_and_b32_e32 v25, s42, v24
	v_and_b32_e32 v24, 1, v25
	v_lshlrev_b32_e32 v26, 30, v25
	v_lshlrev_b32_e32 v27, 29, v25
	;; [unrolled: 1-line block ×4, first 2 shown]
	v_add_co_u32 v24, s15, v24, -1
	s_wait_alu 0xf1ff
	v_cndmask_b32_e64 v96, 0, 1, s15
	v_not_b32_e32 v100, v26
	v_cmp_gt_i32_e64 s15, 0, v26
	v_not_b32_e32 v26, v27
	v_lshlrev_b32_e32 v98, 26, v25
	v_cmp_ne_u32_e32 vcc_lo, 0, v96
	v_ashrrev_i32_e32 v100, 31, v100
	v_lshlrev_b32_e32 v99, 25, v25
	v_ashrrev_i32_e32 v26, 31, v26
	v_lshlrev_b32_e32 v96, 24, v25
	s_wait_alu 0xfffd
	v_xor_b32_e32 v24, vcc_lo, v24
	v_cmp_gt_i32_e32 vcc_lo, 0, v27
	v_not_b32_e32 v27, v95
	s_wait_alu 0xf1ff
	v_xor_b32_e32 v100, s15, v100
	v_cmp_gt_i32_e64 s15, 0, v95
	v_and_b32_e32 v24, exec_lo, v24
	v_not_b32_e32 v95, v97
	v_ashrrev_i32_e32 v27, 31, v27
	s_wait_alu 0xfffd
	v_xor_b32_e32 v26, vcc_lo, v26
	v_cmp_gt_i32_e32 vcc_lo, 0, v97
	v_and_b32_e32 v24, v24, v100
	v_not_b32_e32 v97, v98
	v_ashrrev_i32_e32 v95, 31, v95
	s_wait_alu 0xf1ff
	v_xor_b32_e32 v27, s15, v27
	v_cmp_gt_i32_e64 s15, 0, v98
	v_and_b32_e32 v24, v24, v26
	v_not_b32_e32 v26, v99
	v_ashrrev_i32_e32 v97, 31, v97
	s_wait_alu 0xfffd
	v_xor_b32_e32 v95, vcc_lo, v95
	v_cmp_gt_i32_e32 vcc_lo, 0, v99
	v_and_b32_e32 v24, v24, v27
	v_not_b32_e32 v27, v96
	v_ashrrev_i32_e32 v26, 31, v26
	s_wait_alu 0xf1ff
	v_xor_b32_e32 v97, s15, v97
	v_cmp_gt_i32_e64 s15, 0, v96
	v_and_b32_e32 v24, v24, v95
	v_ashrrev_i32_e32 v27, 31, v27
	s_wait_alu 0xfffd
	v_xor_b32_e32 v26, vcc_lo, v26
	v_mul_u32_u24_e32 v25, 36, v25
	v_add_nc_u32_e32 v98, 0x420, v43
	v_and_b32_e32 v24, v24, v97
	s_wait_alu 0xf1ff
	v_xor_b32_e32 v27, s15, v27
	v_add_nc_u32_e32 v97, 0x438, v43
	v_add_nc_u32_e32 v99, 0x428, v43
	;; [unrolled: 1-line block ×3, first 2 shown]
	v_and_b32_e32 v24, v24, v26
	v_add_nc_u32_e32 v101, v85, v25
	ds_store_2addr_b32 v97, v1, v1 offset1:1
	ds_store_2addr_b32 v98, v1, v1 offset1:1
	ds_store_2addr_b32 v99, v1, v1 offset1:1
	ds_store_2addr_b32 v100, v1, v1 offset1:1
	ds_store_b32 v43, v1 offset:1088
	s_wait_dscnt 0x0
	v_and_b32_e32 v24, v24, v27
	s_barrier_signal -1
	s_barrier_wait -1
	global_inv scope:SCOPE_SE
	v_mbcnt_lo_u32_b32 v95, v24, 0
	v_cmp_ne_u32_e64 s15, 0, v24
	; wave barrier
	s_delay_alu instid0(VALU_DEP_2)
	v_cmp_eq_u32_e32 vcc_lo, 0, v95
	s_and_b32 s16, s15, vcc_lo
	s_wait_alu 0xfffe
	s_and_saveexec_b32 s15, s16
; %bb.87:                               ;   in Loop: Header=BB1049_72 Depth=2
	v_bcnt_u32_b32 v24, v24, 0
	ds_store_b32 v101, v24 offset:1056
; %bb.88:                               ;   in Loop: Header=BB1049_72 Depth=2
	s_wait_alu 0xfffe
	s_or_b32 exec_lo, exec_lo, s15
	v_lshrrev_b32_e32 v5, 16, v5
	; wave barrier
	s_delay_alu instid0(VALU_DEP_1) | instskip(NEXT) | instid1(VALU_DEP_1)
	v_xor_b32_e32 v96, 0xffff8000, v5
	v_and_b32_e32 v5, 0xffff, v96
	s_delay_alu instid0(VALU_DEP_1) | instskip(NEXT) | instid1(VALU_DEP_1)
	v_lshrrev_b32_e32 v5, s23, v5
	v_and_b32_e32 v24, s42, v5
	s_delay_alu instid0(VALU_DEP_1)
	v_and_b32_e32 v5, 1, v24
	v_lshlrev_b32_e32 v25, 30, v24
	v_lshlrev_b32_e32 v26, 29, v24
	;; [unrolled: 1-line block ×4, first 2 shown]
	v_add_co_u32 v5, s15, v5, -1
	s_wait_alu 0xf1ff
	v_cndmask_b32_e64 v102, 0, 1, s15
	v_not_b32_e32 v106, v25
	v_cmp_gt_i32_e64 s15, 0, v25
	v_not_b32_e32 v25, v26
	v_lshlrev_b32_e32 v104, 26, v24
	v_cmp_ne_u32_e32 vcc_lo, 0, v102
	v_ashrrev_i32_e32 v106, 31, v106
	v_lshlrev_b32_e32 v105, 25, v24
	v_ashrrev_i32_e32 v25, 31, v25
	v_lshlrev_b32_e32 v102, 24, v24
	s_wait_alu 0xfffd
	v_xor_b32_e32 v5, vcc_lo, v5
	v_cmp_gt_i32_e32 vcc_lo, 0, v26
	v_not_b32_e32 v26, v27
	s_wait_alu 0xf1ff
	v_xor_b32_e32 v106, s15, v106
	v_cmp_gt_i32_e64 s15, 0, v27
	v_and_b32_e32 v5, exec_lo, v5
	v_not_b32_e32 v27, v103
	v_ashrrev_i32_e32 v26, 31, v26
	s_wait_alu 0xfffd
	v_xor_b32_e32 v25, vcc_lo, v25
	v_cmp_gt_i32_e32 vcc_lo, 0, v103
	v_and_b32_e32 v5, v5, v106
	v_not_b32_e32 v103, v104
	v_ashrrev_i32_e32 v27, 31, v27
	s_wait_alu 0xf1ff
	v_xor_b32_e32 v26, s15, v26
	v_cmp_gt_i32_e64 s15, 0, v104
	v_and_b32_e32 v5, v5, v25
	v_not_b32_e32 v25, v105
	v_ashrrev_i32_e32 v103, 31, v103
	s_wait_alu 0xfffd
	v_xor_b32_e32 v27, vcc_lo, v27
	v_cmp_gt_i32_e32 vcc_lo, 0, v105
	v_and_b32_e32 v5, v5, v26
	v_not_b32_e32 v26, v102
	v_ashrrev_i32_e32 v25, 31, v25
	s_wait_alu 0xf1ff
	v_xor_b32_e32 v103, s15, v103
	v_cmp_gt_i32_e64 s15, 0, v102
	v_and_b32_e32 v5, v5, v27
	v_ashrrev_i32_e32 v26, 31, v26
	s_wait_alu 0xfffd
	v_xor_b32_e32 v25, vcc_lo, v25
	v_mad_u32_u24 v27, v24, 36, v85
	v_mul_u32_u24_e32 v24, 36, v24
	v_and_b32_e32 v5, v5, v103
	s_wait_alu 0xf1ff
	v_xor_b32_e32 v26, s15, v26
	ds_load_b32 v102, v27 offset:1056
	v_add_nc_u32_e32 v105, v85, v24
	v_and_b32_e32 v5, v5, v25
	; wave barrier
	s_delay_alu instid0(VALU_DEP_1) | instskip(NEXT) | instid1(VALU_DEP_1)
	v_and_b32_e32 v5, v5, v26
	v_mbcnt_lo_u32_b32 v103, v5, 0
	v_cmp_ne_u32_e64 s15, 0, v5
	s_delay_alu instid0(VALU_DEP_2)
	v_cmp_eq_u32_e32 vcc_lo, 0, v103
	s_and_b32 s16, s15, vcc_lo
	s_wait_alu 0xfffe
	s_and_saveexec_b32 s15, s16
	s_cbranch_execz .LBB1049_90
; %bb.89:                               ;   in Loop: Header=BB1049_72 Depth=2
	s_wait_dscnt 0x0
	v_bcnt_u32_b32 v5, v5, v102
	ds_store_b32 v105, v5 offset:1056
.LBB1049_90:                            ;   in Loop: Header=BB1049_72 Depth=2
	s_wait_alu 0xfffe
	s_or_b32 exec_lo, exec_lo, s15
	v_xor_b32_e32 v104, 0xffff8000, v6
	; wave barrier
	s_delay_alu instid0(VALU_DEP_1) | instskip(NEXT) | instid1(VALU_DEP_1)
	v_and_b32_e32 v5, 0xffff, v104
	v_lshrrev_b32_e32 v5, s23, v5
	s_delay_alu instid0(VALU_DEP_1) | instskip(NEXT) | instid1(VALU_DEP_1)
	v_and_b32_e32 v24, s42, v5
	v_and_b32_e32 v5, 1, v24
	v_lshlrev_b32_e32 v25, 30, v24
	v_lshlrev_b32_e32 v26, 29, v24
	;; [unrolled: 1-line block ×4, first 2 shown]
	v_add_co_u32 v5, s15, v5, -1
	s_wait_alu 0xf1ff
	v_cndmask_b32_e64 v106, 0, 1, s15
	v_not_b32_e32 v110, v25
	v_cmp_gt_i32_e64 s15, 0, v25
	v_not_b32_e32 v25, v26
	v_lshlrev_b32_e32 v108, 26, v24
	v_cmp_ne_u32_e32 vcc_lo, 0, v106
	v_ashrrev_i32_e32 v110, 31, v110
	v_lshlrev_b32_e32 v109, 25, v24
	v_ashrrev_i32_e32 v25, 31, v25
	v_lshlrev_b32_e32 v106, 24, v24
	s_wait_alu 0xfffd
	v_xor_b32_e32 v5, vcc_lo, v5
	v_cmp_gt_i32_e32 vcc_lo, 0, v26
	v_not_b32_e32 v26, v27
	s_wait_alu 0xf1ff
	v_xor_b32_e32 v110, s15, v110
	v_cmp_gt_i32_e64 s15, 0, v27
	v_and_b32_e32 v5, exec_lo, v5
	v_not_b32_e32 v27, v107
	v_ashrrev_i32_e32 v26, 31, v26
	s_wait_alu 0xfffd
	v_xor_b32_e32 v25, vcc_lo, v25
	v_cmp_gt_i32_e32 vcc_lo, 0, v107
	v_and_b32_e32 v5, v5, v110
	v_not_b32_e32 v107, v108
	v_ashrrev_i32_e32 v27, 31, v27
	s_wait_alu 0xf1ff
	v_xor_b32_e32 v26, s15, v26
	v_cmp_gt_i32_e64 s15, 0, v108
	v_and_b32_e32 v5, v5, v25
	v_not_b32_e32 v25, v109
	v_ashrrev_i32_e32 v107, 31, v107
	s_wait_alu 0xfffd
	v_xor_b32_e32 v27, vcc_lo, v27
	v_cmp_gt_i32_e32 vcc_lo, 0, v109
	v_and_b32_e32 v5, v5, v26
	v_not_b32_e32 v26, v106
	v_ashrrev_i32_e32 v25, 31, v25
	s_wait_alu 0xf1ff
	v_xor_b32_e32 v107, s15, v107
	v_cmp_gt_i32_e64 s15, 0, v106
	v_and_b32_e32 v5, v5, v27
	v_ashrrev_i32_e32 v26, 31, v26
	s_wait_alu 0xfffd
	v_xor_b32_e32 v25, vcc_lo, v25
	v_mad_u32_u24 v27, v24, 36, v85
	v_mul_u32_u24_e32 v24, 36, v24
	v_and_b32_e32 v5, v5, v107
	s_wait_alu 0xf1ff
	v_xor_b32_e32 v26, s15, v26
	ds_load_b32 v106, v27 offset:1056
	v_add_nc_u32_e32 v109, v85, v24
	v_and_b32_e32 v5, v5, v25
	; wave barrier
	s_delay_alu instid0(VALU_DEP_1) | instskip(NEXT) | instid1(VALU_DEP_1)
	v_and_b32_e32 v5, v5, v26
	v_mbcnt_lo_u32_b32 v108, v5, 0
	v_cmp_ne_u32_e64 s15, 0, v5
	s_delay_alu instid0(VALU_DEP_2)
	v_cmp_eq_u32_e32 vcc_lo, 0, v108
	s_and_b32 s16, s15, vcc_lo
	s_wait_alu 0xfffe
	s_and_saveexec_b32 s15, s16
	s_cbranch_execz .LBB1049_92
; %bb.91:                               ;   in Loop: Header=BB1049_72 Depth=2
	s_wait_dscnt 0x0
	v_bcnt_u32_b32 v5, v5, v106
	ds_store_b32 v109, v5 offset:1056
.LBB1049_92:                            ;   in Loop: Header=BB1049_72 Depth=2
	s_wait_alu 0xfffe
	s_or_b32 exec_lo, exec_lo, s15
	v_lshrrev_b32_e32 v5, 16, v6
	; wave barrier
	s_delay_alu instid0(VALU_DEP_1) | instskip(NEXT) | instid1(VALU_DEP_1)
	v_xor_b32_e32 v107, 0xffff8000, v5
	v_and_b32_e32 v5, 0xffff, v107
	s_delay_alu instid0(VALU_DEP_1) | instskip(NEXT) | instid1(VALU_DEP_1)
	v_lshrrev_b32_e32 v5, s23, v5
	v_and_b32_e32 v6, s42, v5
	s_delay_alu instid0(VALU_DEP_1)
	v_and_b32_e32 v5, 1, v6
	v_lshlrev_b32_e32 v24, 30, v6
	v_lshlrev_b32_e32 v25, 29, v6
	;; [unrolled: 1-line block ×4, first 2 shown]
	v_add_co_u32 v5, s15, v5, -1
	s_wait_alu 0xf1ff
	v_cndmask_b32_e64 v27, 0, 1, s15
	v_not_b32_e32 v113, v24
	v_cmp_gt_i32_e64 s15, 0, v24
	v_not_b32_e32 v24, v25
	v_lshlrev_b32_e32 v111, 26, v6
	v_cmp_ne_u32_e32 vcc_lo, 0, v27
	v_ashrrev_i32_e32 v113, 31, v113
	v_lshlrev_b32_e32 v112, 25, v6
	v_ashrrev_i32_e32 v24, 31, v24
	v_lshlrev_b32_e32 v27, 24, v6
	s_wait_alu 0xfffd
	v_xor_b32_e32 v5, vcc_lo, v5
	v_cmp_gt_i32_e32 vcc_lo, 0, v25
	v_not_b32_e32 v25, v26
	s_wait_alu 0xf1ff
	v_xor_b32_e32 v113, s15, v113
	v_cmp_gt_i32_e64 s15, 0, v26
	v_and_b32_e32 v5, exec_lo, v5
	v_not_b32_e32 v26, v110
	v_ashrrev_i32_e32 v25, 31, v25
	s_wait_alu 0xfffd
	v_xor_b32_e32 v24, vcc_lo, v24
	v_cmp_gt_i32_e32 vcc_lo, 0, v110
	v_and_b32_e32 v5, v5, v113
	v_not_b32_e32 v110, v111
	v_ashrrev_i32_e32 v26, 31, v26
	s_wait_alu 0xf1ff
	v_xor_b32_e32 v25, s15, v25
	v_cmp_gt_i32_e64 s15, 0, v111
	v_and_b32_e32 v5, v5, v24
	v_not_b32_e32 v24, v112
	v_ashrrev_i32_e32 v110, 31, v110
	s_wait_alu 0xfffd
	v_xor_b32_e32 v26, vcc_lo, v26
	v_cmp_gt_i32_e32 vcc_lo, 0, v112
	v_and_b32_e32 v5, v5, v25
	v_not_b32_e32 v25, v27
	v_ashrrev_i32_e32 v24, 31, v24
	s_wait_alu 0xf1ff
	v_xor_b32_e32 v110, s15, v110
	v_cmp_gt_i32_e64 s15, 0, v27
	v_and_b32_e32 v5, v5, v26
	v_ashrrev_i32_e32 v25, 31, v25
	s_wait_alu 0xfffd
	v_xor_b32_e32 v24, vcc_lo, v24
	v_mad_u32_u24 v26, v6, 36, v85
	v_mul_u32_u24_e32 v6, 36, v6
	v_and_b32_e32 v5, v5, v110
	s_wait_alu 0xf1ff
	v_xor_b32_e32 v25, s15, v25
	ds_load_b32 v110, v26 offset:1056
	v_add_nc_u32_e32 v113, v85, v6
	v_and_b32_e32 v5, v5, v24
	; wave barrier
	s_delay_alu instid0(VALU_DEP_1) | instskip(NEXT) | instid1(VALU_DEP_1)
	v_and_b32_e32 v5, v5, v25
	v_mbcnt_lo_u32_b32 v112, v5, 0
	v_cmp_ne_u32_e64 s15, 0, v5
	s_delay_alu instid0(VALU_DEP_2)
	v_cmp_eq_u32_e32 vcc_lo, 0, v112
	s_and_b32 s16, s15, vcc_lo
	s_wait_alu 0xfffe
	s_and_saveexec_b32 s15, s16
	s_cbranch_execz .LBB1049_94
; %bb.93:                               ;   in Loop: Header=BB1049_72 Depth=2
	s_wait_dscnt 0x0
	v_bcnt_u32_b32 v5, v5, v110
	ds_store_b32 v113, v5 offset:1056
.LBB1049_94:                            ;   in Loop: Header=BB1049_72 Depth=2
	s_wait_alu 0xfffe
	s_or_b32 exec_lo, exec_lo, s15
	v_xor_b32_e32 v111, 0xffff8000, v7
	; wave barrier
	s_delay_alu instid0(VALU_DEP_1) | instskip(NEXT) | instid1(VALU_DEP_1)
	v_and_b32_e32 v5, 0xffff, v111
	v_lshrrev_b32_e32 v5, s23, v5
	s_delay_alu instid0(VALU_DEP_1) | instskip(NEXT) | instid1(VALU_DEP_1)
	v_and_b32_e32 v6, s42, v5
	v_and_b32_e32 v5, 1, v6
	v_lshlrev_b32_e32 v24, 30, v6
	v_lshlrev_b32_e32 v25, 29, v6
	;; [unrolled: 1-line block ×4, first 2 shown]
	v_add_co_u32 v5, s15, v5, -1
	s_wait_alu 0xf1ff
	v_cndmask_b32_e64 v27, 0, 1, s15
	v_not_b32_e32 v117, v24
	v_cmp_gt_i32_e64 s15, 0, v24
	v_not_b32_e32 v24, v25
	v_lshlrev_b32_e32 v115, 26, v6
	v_cmp_ne_u32_e32 vcc_lo, 0, v27
	v_ashrrev_i32_e32 v117, 31, v117
	v_lshlrev_b32_e32 v116, 25, v6
	v_ashrrev_i32_e32 v24, 31, v24
	v_lshlrev_b32_e32 v27, 24, v6
	s_wait_alu 0xfffd
	v_xor_b32_e32 v5, vcc_lo, v5
	v_cmp_gt_i32_e32 vcc_lo, 0, v25
	v_not_b32_e32 v25, v26
	s_wait_alu 0xf1ff
	v_xor_b32_e32 v117, s15, v117
	v_cmp_gt_i32_e64 s15, 0, v26
	v_and_b32_e32 v5, exec_lo, v5
	v_not_b32_e32 v26, v114
	v_ashrrev_i32_e32 v25, 31, v25
	s_wait_alu 0xfffd
	v_xor_b32_e32 v24, vcc_lo, v24
	v_cmp_gt_i32_e32 vcc_lo, 0, v114
	v_and_b32_e32 v5, v5, v117
	v_not_b32_e32 v114, v115
	v_ashrrev_i32_e32 v26, 31, v26
	s_wait_alu 0xf1ff
	v_xor_b32_e32 v25, s15, v25
	v_cmp_gt_i32_e64 s15, 0, v115
	v_and_b32_e32 v5, v5, v24
	v_not_b32_e32 v24, v116
	v_ashrrev_i32_e32 v114, 31, v114
	s_wait_alu 0xfffd
	v_xor_b32_e32 v26, vcc_lo, v26
	v_cmp_gt_i32_e32 vcc_lo, 0, v116
	v_and_b32_e32 v5, v5, v25
	v_not_b32_e32 v25, v27
	v_ashrrev_i32_e32 v24, 31, v24
	s_wait_alu 0xf1ff
	v_xor_b32_e32 v114, s15, v114
	v_cmp_gt_i32_e64 s15, 0, v27
	v_and_b32_e32 v5, v5, v26
	v_ashrrev_i32_e32 v25, 31, v25
	s_wait_alu 0xfffd
	v_xor_b32_e32 v24, vcc_lo, v24
	v_mad_u32_u24 v26, v6, 36, v85
	v_mul_u32_u24_e32 v6, 36, v6
	v_and_b32_e32 v5, v5, v114
	s_wait_alu 0xf1ff
	v_xor_b32_e32 v25, s15, v25
	ds_load_b32 v114, v26 offset:1056
	v_add_nc_u32_e32 v117, v85, v6
	v_and_b32_e32 v5, v5, v24
	; wave barrier
	s_delay_alu instid0(VALU_DEP_1) | instskip(NEXT) | instid1(VALU_DEP_1)
	v_and_b32_e32 v5, v5, v25
	v_mbcnt_lo_u32_b32 v116, v5, 0
	v_cmp_ne_u32_e64 s15, 0, v5
	s_delay_alu instid0(VALU_DEP_2)
	v_cmp_eq_u32_e32 vcc_lo, 0, v116
	s_and_b32 s16, s15, vcc_lo
	s_wait_alu 0xfffe
	s_and_saveexec_b32 s15, s16
	s_cbranch_execz .LBB1049_96
; %bb.95:                               ;   in Loop: Header=BB1049_72 Depth=2
	s_wait_dscnt 0x0
	v_bcnt_u32_b32 v5, v5, v114
	ds_store_b32 v117, v5 offset:1056
.LBB1049_96:                            ;   in Loop: Header=BB1049_72 Depth=2
	s_wait_alu 0xfffe
	s_or_b32 exec_lo, exec_lo, s15
	v_lshrrev_b32_e32 v5, 16, v7
	; wave barrier
	s_delay_alu instid0(VALU_DEP_1) | instskip(NEXT) | instid1(VALU_DEP_1)
	v_xor_b32_e32 v115, 0xffff8000, v5
	v_and_b32_e32 v5, 0xffff, v115
	s_delay_alu instid0(VALU_DEP_1) | instskip(NEXT) | instid1(VALU_DEP_1)
	v_lshrrev_b32_e32 v5, s23, v5
	v_and_b32_e32 v6, s42, v5
	s_delay_alu instid0(VALU_DEP_1)
	v_and_b32_e32 v5, 1, v6
	v_lshlrev_b32_e32 v7, 30, v6
	v_lshlrev_b32_e32 v24, 29, v6
	;; [unrolled: 1-line block ×4, first 2 shown]
	v_add_co_u32 v5, s15, v5, -1
	s_wait_alu 0xf1ff
	v_cndmask_b32_e64 v26, 0, 1, s15
	v_not_b32_e32 v120, v7
	v_cmp_gt_i32_e64 s15, 0, v7
	v_not_b32_e32 v7, v24
	v_lshlrev_b32_e32 v118, 26, v6
	v_cmp_ne_u32_e32 vcc_lo, 0, v26
	v_ashrrev_i32_e32 v120, 31, v120
	v_lshlrev_b32_e32 v119, 25, v6
	v_ashrrev_i32_e32 v7, 31, v7
	v_lshlrev_b32_e32 v26, 24, v6
	s_wait_alu 0xfffd
	v_xor_b32_e32 v5, vcc_lo, v5
	v_cmp_gt_i32_e32 vcc_lo, 0, v24
	v_not_b32_e32 v24, v25
	s_wait_alu 0xf1ff
	v_xor_b32_e32 v120, s15, v120
	v_cmp_gt_i32_e64 s15, 0, v25
	v_and_b32_e32 v5, exec_lo, v5
	v_not_b32_e32 v25, v27
	v_ashrrev_i32_e32 v24, 31, v24
	s_wait_alu 0xfffd
	v_xor_b32_e32 v7, vcc_lo, v7
	v_cmp_gt_i32_e32 vcc_lo, 0, v27
	v_and_b32_e32 v5, v5, v120
	v_not_b32_e32 v27, v118
	v_ashrrev_i32_e32 v25, 31, v25
	s_wait_alu 0xf1ff
	v_xor_b32_e32 v24, s15, v24
	v_cmp_gt_i32_e64 s15, 0, v118
	v_and_b32_e32 v5, v5, v7
	v_not_b32_e32 v7, v119
	v_ashrrev_i32_e32 v27, 31, v27
	s_wait_alu 0xfffd
	v_xor_b32_e32 v25, vcc_lo, v25
	v_cmp_gt_i32_e32 vcc_lo, 0, v119
	v_and_b32_e32 v5, v5, v24
	v_not_b32_e32 v24, v26
	v_ashrrev_i32_e32 v7, 31, v7
	s_wait_alu 0xf1ff
	v_xor_b32_e32 v27, s15, v27
	v_cmp_gt_i32_e64 s15, 0, v26
	v_and_b32_e32 v5, v5, v25
	v_ashrrev_i32_e32 v24, 31, v24
	s_wait_alu 0xfffd
	v_xor_b32_e32 v7, vcc_lo, v7
	v_mad_u32_u24 v25, v6, 36, v85
	v_mul_u32_u24_e32 v6, 36, v6
	v_and_b32_e32 v5, v5, v27
	s_wait_alu 0xf1ff
	v_xor_b32_e32 v24, s15, v24
	ds_load_b32 v118, v25 offset:1056
	v_add_nc_u32_e32 v121, v85, v6
	v_and_b32_e32 v5, v5, v7
	; wave barrier
	s_delay_alu instid0(VALU_DEP_1) | instskip(NEXT) | instid1(VALU_DEP_1)
	v_and_b32_e32 v5, v5, v24
	v_mbcnt_lo_u32_b32 v120, v5, 0
	v_cmp_ne_u32_e64 s15, 0, v5
	s_delay_alu instid0(VALU_DEP_2)
	v_cmp_eq_u32_e32 vcc_lo, 0, v120
	s_and_b32 s16, s15, vcc_lo
	s_wait_alu 0xfffe
	s_and_saveexec_b32 s15, s16
	s_cbranch_execz .LBB1049_98
; %bb.97:                               ;   in Loop: Header=BB1049_72 Depth=2
	s_wait_dscnt 0x0
	v_bcnt_u32_b32 v5, v5, v118
	ds_store_b32 v121, v5 offset:1056
.LBB1049_98:                            ;   in Loop: Header=BB1049_72 Depth=2
	s_wait_alu 0xfffe
	s_or_b32 exec_lo, exec_lo, s15
	v_xor_b32_e32 v119, 0xffff8000, v8
	; wave barrier
	s_delay_alu instid0(VALU_DEP_1) | instskip(NEXT) | instid1(VALU_DEP_1)
	v_and_b32_e32 v5, 0xffff, v119
	v_lshrrev_b32_e32 v5, s23, v5
	s_delay_alu instid0(VALU_DEP_1) | instskip(NEXT) | instid1(VALU_DEP_1)
	v_and_b32_e32 v6, s42, v5
	v_and_b32_e32 v5, 1, v6
	v_lshlrev_b32_e32 v7, 30, v6
	v_lshlrev_b32_e32 v24, 29, v6
	;; [unrolled: 1-line block ×4, first 2 shown]
	v_add_co_u32 v5, s15, v5, -1
	s_wait_alu 0xf1ff
	v_cndmask_b32_e64 v26, 0, 1, s15
	v_not_b32_e32 v124, v7
	v_cmp_gt_i32_e64 s15, 0, v7
	v_not_b32_e32 v7, v24
	v_lshlrev_b32_e32 v122, 26, v6
	v_cmp_ne_u32_e32 vcc_lo, 0, v26
	v_ashrrev_i32_e32 v124, 31, v124
	v_lshlrev_b32_e32 v123, 25, v6
	v_ashrrev_i32_e32 v7, 31, v7
	v_lshlrev_b32_e32 v26, 24, v6
	s_wait_alu 0xfffd
	v_xor_b32_e32 v5, vcc_lo, v5
	v_cmp_gt_i32_e32 vcc_lo, 0, v24
	v_not_b32_e32 v24, v25
	s_wait_alu 0xf1ff
	v_xor_b32_e32 v124, s15, v124
	v_cmp_gt_i32_e64 s15, 0, v25
	v_and_b32_e32 v5, exec_lo, v5
	v_not_b32_e32 v25, v27
	v_ashrrev_i32_e32 v24, 31, v24
	s_wait_alu 0xfffd
	v_xor_b32_e32 v7, vcc_lo, v7
	v_cmp_gt_i32_e32 vcc_lo, 0, v27
	v_and_b32_e32 v5, v5, v124
	v_not_b32_e32 v27, v122
	v_ashrrev_i32_e32 v25, 31, v25
	s_wait_alu 0xf1ff
	v_xor_b32_e32 v24, s15, v24
	v_cmp_gt_i32_e64 s15, 0, v122
	v_and_b32_e32 v5, v5, v7
	v_not_b32_e32 v7, v123
	v_ashrrev_i32_e32 v27, 31, v27
	s_wait_alu 0xfffd
	v_xor_b32_e32 v25, vcc_lo, v25
	v_cmp_gt_i32_e32 vcc_lo, 0, v123
	v_and_b32_e32 v5, v5, v24
	v_not_b32_e32 v24, v26
	v_ashrrev_i32_e32 v7, 31, v7
	s_wait_alu 0xf1ff
	v_xor_b32_e32 v27, s15, v27
	v_cmp_gt_i32_e64 s15, 0, v26
	v_and_b32_e32 v5, v5, v25
	v_ashrrev_i32_e32 v24, 31, v24
	s_wait_alu 0xfffd
	v_xor_b32_e32 v7, vcc_lo, v7
	v_mad_u32_u24 v25, v6, 36, v85
	v_mul_u32_u24_e32 v6, 36, v6
	v_and_b32_e32 v5, v5, v27
	s_wait_alu 0xf1ff
	v_xor_b32_e32 v24, s15, v24
	ds_load_b32 v122, v25 offset:1056
	v_add_nc_u32_e32 v125, v85, v6
	v_and_b32_e32 v5, v5, v7
	; wave barrier
	s_delay_alu instid0(VALU_DEP_1) | instskip(NEXT) | instid1(VALU_DEP_1)
	v_and_b32_e32 v5, v5, v24
	v_mbcnt_lo_u32_b32 v123, v5, 0
	v_cmp_ne_u32_e64 s15, 0, v5
	s_delay_alu instid0(VALU_DEP_2)
	v_cmp_eq_u32_e32 vcc_lo, 0, v123
	s_and_b32 s16, s15, vcc_lo
	s_wait_alu 0xfffe
	s_and_saveexec_b32 s15, s16
	s_cbranch_execz .LBB1049_100
; %bb.99:                               ;   in Loop: Header=BB1049_72 Depth=2
	s_wait_dscnt 0x0
	v_bcnt_u32_b32 v5, v5, v122
	ds_store_b32 v125, v5 offset:1056
.LBB1049_100:                           ;   in Loop: Header=BB1049_72 Depth=2
	s_wait_alu 0xfffe
	s_or_b32 exec_lo, exec_lo, s15
	v_lshrrev_b32_e32 v5, 16, v8
	; wave barrier
	s_delay_alu instid0(VALU_DEP_1) | instskip(NEXT) | instid1(VALU_DEP_1)
	v_xor_b32_e32 v124, 0xffff8000, v5
	v_and_b32_e32 v5, 0xffff, v124
	s_delay_alu instid0(VALU_DEP_1) | instskip(NEXT) | instid1(VALU_DEP_1)
	v_lshrrev_b32_e32 v5, s23, v5
	v_and_b32_e32 v6, s42, v5
	s_delay_alu instid0(VALU_DEP_1)
	v_and_b32_e32 v5, 1, v6
	v_lshlrev_b32_e32 v7, 30, v6
	v_lshlrev_b32_e32 v8, 29, v6
	v_lshlrev_b32_e32 v24, 28, v6
	v_lshlrev_b32_e32 v26, 27, v6
	v_add_co_u32 v5, s15, v5, -1
	s_wait_alu 0xf1ff
	v_cndmask_b32_e64 v25, 0, 1, s15
	v_not_b32_e32 v127, v7
	v_cmp_gt_i32_e64 s15, 0, v7
	v_not_b32_e32 v7, v8
	v_lshlrev_b32_e32 v27, 26, v6
	v_cmp_ne_u32_e32 vcc_lo, 0, v25
	v_ashrrev_i32_e32 v127, 31, v127
	v_lshlrev_b32_e32 v126, 25, v6
	v_ashrrev_i32_e32 v7, 31, v7
	v_lshlrev_b32_e32 v25, 24, v6
	s_wait_alu 0xfffd
	v_xor_b32_e32 v5, vcc_lo, v5
	v_cmp_gt_i32_e32 vcc_lo, 0, v8
	v_not_b32_e32 v8, v24
	s_wait_alu 0xf1ff
	v_xor_b32_e32 v127, s15, v127
	v_cmp_gt_i32_e64 s15, 0, v24
	v_and_b32_e32 v5, exec_lo, v5
	v_not_b32_e32 v24, v26
	v_ashrrev_i32_e32 v8, 31, v8
	s_wait_alu 0xfffd
	v_xor_b32_e32 v7, vcc_lo, v7
	v_cmp_gt_i32_e32 vcc_lo, 0, v26
	v_and_b32_e32 v5, v5, v127
	v_not_b32_e32 v26, v27
	v_ashrrev_i32_e32 v24, 31, v24
	s_wait_alu 0xf1ff
	v_xor_b32_e32 v8, s15, v8
	v_cmp_gt_i32_e64 s15, 0, v27
	v_and_b32_e32 v5, v5, v7
	v_not_b32_e32 v7, v126
	v_ashrrev_i32_e32 v26, 31, v26
	s_wait_alu 0xfffd
	v_xor_b32_e32 v24, vcc_lo, v24
	v_cmp_gt_i32_e32 vcc_lo, 0, v126
	v_and_b32_e32 v5, v5, v8
	v_not_b32_e32 v8, v25
	v_ashrrev_i32_e32 v7, 31, v7
	s_wait_alu 0xf1ff
	v_xor_b32_e32 v26, s15, v26
	v_cmp_gt_i32_e64 s15, 0, v25
	v_and_b32_e32 v5, v5, v24
	v_ashrrev_i32_e32 v8, 31, v8
	s_wait_alu 0xfffd
	v_xor_b32_e32 v7, vcc_lo, v7
	v_mad_u32_u24 v24, v6, 36, v85
	v_mul_u32_u24_e32 v6, 36, v6
	v_and_b32_e32 v5, v5, v26
	s_wait_alu 0xf1ff
	v_xor_b32_e32 v8, s15, v8
	ds_load_b32 v126, v24 offset:1056
	v_add_nc_u32_e32 v128, v85, v6
	v_and_b32_e32 v5, v5, v7
	; wave barrier
	s_delay_alu instid0(VALU_DEP_1) | instskip(NEXT) | instid1(VALU_DEP_1)
	v_and_b32_e32 v5, v5, v8
	v_mbcnt_lo_u32_b32 v127, v5, 0
	v_cmp_ne_u32_e64 s15, 0, v5
	s_delay_alu instid0(VALU_DEP_2)
	v_cmp_eq_u32_e32 vcc_lo, 0, v127
	s_and_b32 s16, s15, vcc_lo
	s_wait_alu 0xfffe
	s_and_saveexec_b32 s15, s16
	s_cbranch_execz .LBB1049_102
; %bb.101:                              ;   in Loop: Header=BB1049_72 Depth=2
	s_wait_dscnt 0x0
	v_bcnt_u32_b32 v5, v5, v126
	ds_store_b32 v128, v5 offset:1056
.LBB1049_102:                           ;   in Loop: Header=BB1049_72 Depth=2
	s_wait_alu 0xfffe
	s_or_b32 exec_lo, exec_lo, s15
	; wave barrier
	s_wait_loadcnt_dscnt 0x0
	s_barrier_signal -1
	s_barrier_wait -1
	global_inv scope:SCOPE_SE
	ds_load_2addr_b32 v[26:27], v98 offset1:1
	ds_load_2addr_b32 v[24:25], v99 offset1:1
	;; [unrolled: 1-line block ×4, first 2 shown]
	ds_load_b32 v129, v43 offset:1088
	s_wait_dscnt 0x3
	v_add3_u32 v130, v27, v26, v24
	s_wait_dscnt 0x2
	s_delay_alu instid0(VALU_DEP_1) | instskip(SKIP_1) | instid1(VALU_DEP_1)
	v_add3_u32 v130, v130, v25, v7
	s_wait_dscnt 0x1
	v_add3_u32 v130, v130, v8, v5
	s_wait_dscnt 0x0
	s_delay_alu instid0(VALU_DEP_1) | instskip(NEXT) | instid1(VALU_DEP_1)
	v_add3_u32 v129, v130, v6, v129
	v_mov_b32_dpp v130, v129 row_shr:1 row_mask:0xf bank_mask:0xf
	s_delay_alu instid0(VALU_DEP_1) | instskip(NEXT) | instid1(VALU_DEP_1)
	v_cndmask_b32_e64 v130, v130, 0, s0
	v_add_nc_u32_e32 v129, v130, v129
	s_delay_alu instid0(VALU_DEP_1) | instskip(NEXT) | instid1(VALU_DEP_1)
	v_mov_b32_dpp v130, v129 row_shr:2 row_mask:0xf bank_mask:0xf
	v_cndmask_b32_e64 v130, 0, v130, s1
	s_delay_alu instid0(VALU_DEP_1) | instskip(NEXT) | instid1(VALU_DEP_1)
	v_add_nc_u32_e32 v129, v129, v130
	v_mov_b32_dpp v130, v129 row_shr:4 row_mask:0xf bank_mask:0xf
	s_delay_alu instid0(VALU_DEP_1) | instskip(NEXT) | instid1(VALU_DEP_1)
	v_cndmask_b32_e64 v130, 0, v130, s9
	v_add_nc_u32_e32 v129, v129, v130
	s_delay_alu instid0(VALU_DEP_1) | instskip(NEXT) | instid1(VALU_DEP_1)
	v_mov_b32_dpp v130, v129 row_shr:8 row_mask:0xf bank_mask:0xf
	v_cndmask_b32_e64 v130, 0, v130, s10
	s_delay_alu instid0(VALU_DEP_1) | instskip(SKIP_3) | instid1(VALU_DEP_1)
	v_add_nc_u32_e32 v129, v129, v130
	ds_swizzle_b32 v130, v129 offset:swizzle(BROADCAST,32,15)
	s_wait_dscnt 0x0
	v_cndmask_b32_e64 v130, v130, 0, s11
	v_add_nc_u32_e32 v129, v129, v130
	s_and_saveexec_b32 s15, s3
; %bb.103:                              ;   in Loop: Header=BB1049_72 Depth=2
	ds_store_b32 v38, v129 offset:1024
; %bb.104:                              ;   in Loop: Header=BB1049_72 Depth=2
	s_wait_alu 0xfffe
	s_or_b32 exec_lo, exec_lo, s15
	s_wait_loadcnt_dscnt 0x0
	s_barrier_signal -1
	s_barrier_wait -1
	global_inv scope:SCOPE_SE
	s_and_saveexec_b32 s15, s4
	s_cbranch_execz .LBB1049_106
; %bb.105:                              ;   in Loop: Header=BB1049_72 Depth=2
	ds_load_b32 v130, v47 offset:1024
	s_wait_dscnt 0x0
	v_mov_b32_dpp v131, v130 row_shr:1 row_mask:0xf bank_mask:0xf
	s_delay_alu instid0(VALU_DEP_1) | instskip(NEXT) | instid1(VALU_DEP_1)
	v_cndmask_b32_e64 v131, v131, 0, s12
	v_add_nc_u32_e32 v130, v131, v130
	s_delay_alu instid0(VALU_DEP_1) | instskip(NEXT) | instid1(VALU_DEP_1)
	v_mov_b32_dpp v131, v130 row_shr:2 row_mask:0xf bank_mask:0xf
	v_cndmask_b32_e64 v131, 0, v131, s13
	s_delay_alu instid0(VALU_DEP_1) | instskip(NEXT) | instid1(VALU_DEP_1)
	v_add_nc_u32_e32 v130, v130, v131
	v_mov_b32_dpp v131, v130 row_shr:4 row_mask:0xf bank_mask:0xf
	s_delay_alu instid0(VALU_DEP_1) | instskip(NEXT) | instid1(VALU_DEP_1)
	v_cndmask_b32_e64 v131, 0, v131, s14
	v_add_nc_u32_e32 v130, v130, v131
	ds_store_b32 v47, v130 offset:1024
.LBB1049_106:                           ;   in Loop: Header=BB1049_72 Depth=2
	s_wait_alu 0xfffe
	s_or_b32 exec_lo, exec_lo, s15
	v_mov_b32_e32 v130, 0
	s_wait_loadcnt_dscnt 0x0
	s_barrier_signal -1
	s_barrier_wait -1
	global_inv scope:SCOPE_SE
	s_and_saveexec_b32 s15, s5
; %bb.107:                              ;   in Loop: Header=BB1049_72 Depth=2
	ds_load_b32 v130, v38 offset:1020
; %bb.108:                              ;   in Loop: Header=BB1049_72 Depth=2
	s_wait_alu 0xfffe
	s_or_b32 exec_lo, exec_lo, s15
	s_wait_dscnt 0x0
	v_add_nc_u32_e32 v129, v130, v129
	ds_bpermute_b32 v129, v84, v129
	s_wait_dscnt 0x0
	v_cndmask_b32_e64 v129, v129, v130, s8
	s_delay_alu instid0(VALU_DEP_1) | instskip(NEXT) | instid1(VALU_DEP_1)
	v_cndmask_b32_e64 v129, v129, 0, s6
	v_add_nc_u32_e32 v26, v129, v26
	s_delay_alu instid0(VALU_DEP_1) | instskip(NEXT) | instid1(VALU_DEP_1)
	v_add_nc_u32_e32 v27, v26, v27
	v_add_nc_u32_e32 v24, v27, v24
	s_delay_alu instid0(VALU_DEP_1) | instskip(NEXT) | instid1(VALU_DEP_1)
	v_add_nc_u32_e32 v25, v24, v25
	;; [unrolled: 3-line block ×3, first 2 shown]
	v_add_nc_u32_e32 v5, v8, v5
	s_delay_alu instid0(VALU_DEP_1)
	v_add_nc_u32_e32 v6, v5, v6
	ds_store_2addr_b32 v97, v8, v5 offset1:1
	ds_store_2addr_b32 v98, v129, v26 offset1:1
	ds_store_2addr_b32 v99, v27, v24 offset1:1
	ds_store_2addr_b32 v100, v25, v7 offset1:1
	ds_store_b32 v43, v6 offset:1088
	s_wait_loadcnt_dscnt 0x0
	s_barrier_signal -1
	s_barrier_wait -1
	global_inv scope:SCOPE_SE
	ds_load_b32 v8, v101 offset:1056
	ds_load_b32 v24, v105 offset:1056
	;; [unrolled: 1-line block ×9, first 2 shown]
	v_mov_b32_e32 v7, 0x800
	s_and_saveexec_b32 s15, s7
; %bb.109:                              ;   in Loop: Header=BB1049_72 Depth=2
	ds_load_b32 v7, v43 offset:1092
; %bb.110:                              ;   in Loop: Header=BB1049_72 Depth=2
	s_wait_alu 0xfffe
	s_or_b32 exec_lo, exec_lo, s15
	s_wait_loadcnt_dscnt 0x0
	s_barrier_signal -1
	s_barrier_wait -1
	global_inv scope:SCOPE_SE
	s_and_saveexec_b32 s15, s2
	s_cbranch_execz .LBB1049_112
; %bb.111:                              ;   in Loop: Header=BB1049_72 Depth=2
	ds_load_b32 v98, v28
	s_wait_dscnt 0x0
	v_sub_nc_u32_e32 v97, v98, v97
	ds_store_b32 v28, v97
.LBB1049_112:                           ;   in Loop: Header=BB1049_72 Depth=2
	s_wait_alu 0xfffe
	s_or_b32 exec_lo, exec_lo, s15
	v_add_nc_u32_e32 v98, v8, v95
	v_add3_u32 v97, v103, v102, v24
	v_add3_u32 v95, v108, v106, v25
	;; [unrolled: 1-line block ×4, first 2 shown]
	v_lshlrev_b32_e32 v99, 1, v98
	v_add3_u32 v24, v116, v114, v27
	v_lshlrev_b32_e32 v100, 1, v97
	v_lshlrev_b32_e32 v101, 1, v95
	v_add3_u32 v27, v123, v122, v5
	v_add3_u32 v26, v127, v126, v6
	ds_store_b16 v99, v0 offset:1024
	ds_store_b16 v100, v96 offset:1024
	;; [unrolled: 1-line block ×3, first 2 shown]
	v_lshlrev_b32_e32 v0, 1, v25
	v_cmp_lt_u32_e32 vcc_lo, v13, v94
	v_lshlrev_b32_e32 v5, 1, v24
	v_lshlrev_b32_e32 v6, 1, v8
	;; [unrolled: 1-line block ×4, first 2 shown]
	ds_store_b16 v0, v107 offset:1024
	ds_store_b16 v5, v111 offset:1024
	;; [unrolled: 1-line block ×5, first 2 shown]
	s_wait_loadcnt_dscnt 0x0
	s_barrier_signal -1
	s_barrier_wait -1
	global_inv scope:SCOPE_SE
	s_and_saveexec_b32 s16, vcc_lo
	s_cbranch_execnz .LBB1049_149
; %bb.113:                              ;   in Loop: Header=BB1049_72 Depth=2
	s_wait_alu 0xfffe
	s_or_b32 exec_lo, exec_lo, s16
	v_cmp_lt_u32_e64 s15, v29, v94
	s_and_saveexec_b32 s17, s15
	s_cbranch_execnz .LBB1049_150
.LBB1049_114:                           ;   in Loop: Header=BB1049_72 Depth=2
	s_wait_alu 0xfffe
	s_or_b32 exec_lo, exec_lo, s17
	v_cmp_lt_u32_e64 s16, v30, v94
	s_and_saveexec_b32 s18, s16
	s_cbranch_execnz .LBB1049_151
.LBB1049_115:                           ;   in Loop: Header=BB1049_72 Depth=2
	s_wait_alu 0xfffe
	s_or_b32 exec_lo, exec_lo, s18
	v_cmp_lt_u32_e64 s17, v31, v94
	s_and_saveexec_b32 s19, s17
	s_cbranch_execnz .LBB1049_152
.LBB1049_116:                           ;   in Loop: Header=BB1049_72 Depth=2
	s_wait_alu 0xfffe
	s_or_b32 exec_lo, exec_lo, s19
	v_cmp_lt_u32_e64 s18, v34, v94
	s_and_saveexec_b32 s20, s18
	s_cbranch_execnz .LBB1049_153
.LBB1049_117:                           ;   in Loop: Header=BB1049_72 Depth=2
	s_wait_alu 0xfffe
	s_or_b32 exec_lo, exec_lo, s20
	v_cmp_lt_u32_e64 s19, v35, v94
	s_and_saveexec_b32 s21, s19
	s_cbranch_execnz .LBB1049_154
.LBB1049_118:                           ;   in Loop: Header=BB1049_72 Depth=2
	s_wait_alu 0xfffe
	s_or_b32 exec_lo, exec_lo, s21
	v_cmp_lt_u32_e64 s20, v36, v94
	s_and_saveexec_b32 s22, s20
	s_cbranch_execnz .LBB1049_155
.LBB1049_119:                           ;   in Loop: Header=BB1049_72 Depth=2
	s_wait_alu 0xfffe
	s_or_b32 exec_lo, exec_lo, s22
	v_cmp_lt_u32_e64 s21, v37, v94
	s_and_saveexec_b32 s48, s21
	s_cbranch_execz .LBB1049_121
.LBB1049_120:                           ;   in Loop: Header=BB1049_72 Depth=2
	ds_load_u16 v96, v48 offset:4608
	s_wait_dscnt 0x0
	v_and_b32_e32 v0, 0xffff, v96
	s_delay_alu instid0(VALU_DEP_1) | instskip(NEXT) | instid1(VALU_DEP_1)
	v_lshrrev_b32_e32 v0, s23, v0
	v_and_b32_e32 v0, s42, v0
	s_delay_alu instid0(VALU_DEP_1) | instskip(SKIP_3) | instid1(VALU_DEP_1)
	v_lshlrev_b32_e32 v0, 2, v0
	ds_load_b32 v0, v0
	s_wait_dscnt 0x0
	v_add_nc_u32_e32 v0, v0, v37
	v_lshlrev_b64_e32 v[5:6], 1, v[0:1]
	v_xor_b32_e32 v0, 0xffff8000, v96
	s_delay_alu instid0(VALU_DEP_2) | instskip(SKIP_1) | instid1(VALU_DEP_3)
	v_add_co_u32 v5, s22, s38, v5
	s_wait_alu 0xf1ff
	v_add_co_ci_u32_e64 v6, null, s39, v6, s22
	global_store_b16 v[5:6], v0, off
.LBB1049_121:                           ;   in Loop: Header=BB1049_72 Depth=2
	s_wait_alu 0xfffe
	s_or_b32 exec_lo, exec_lo, s48
	s_lshl_b64 s[48:49], s[30:31], 3
	s_wait_alu 0xfffe
	v_add_co_u32 v5, s22, v80, s48
	s_wait_alu 0xf1ff
	v_add_co_ci_u32_e64 v6, null, s49, v81, s22
	v_cmp_lt_u32_e64 s22, v67, v94
	s_and_saveexec_b32 s30, s22
	s_wait_alu 0xfffe
	s_xor_b32 s22, exec_lo, s30
	s_cbranch_execnz .LBB1049_156
; %bb.122:                              ;   in Loop: Header=BB1049_72 Depth=2
	s_wait_alu 0xfffe
	s_or_b32 exec_lo, exec_lo, s22
	s_delay_alu instid0(SALU_CYCLE_1)
	s_mov_b32 s30, exec_lo
	v_cmpx_lt_u32_e64 v71, v94
	s_cbranch_execnz .LBB1049_157
.LBB1049_123:                           ;   in Loop: Header=BB1049_72 Depth=2
	s_wait_alu 0xfffe
	s_or_b32 exec_lo, exec_lo, s30
	s_delay_alu instid0(SALU_CYCLE_1)
	s_mov_b32 s30, exec_lo
	v_cmpx_lt_u32_e64 v72, v94
	s_cbranch_execnz .LBB1049_158
.LBB1049_124:                           ;   in Loop: Header=BB1049_72 Depth=2
	s_wait_alu 0xfffe
	s_or_b32 exec_lo, exec_lo, s30
	s_delay_alu instid0(SALU_CYCLE_1)
	s_mov_b32 s30, exec_lo
	v_cmpx_lt_u32_e64 v73, v94
	s_cbranch_execnz .LBB1049_159
.LBB1049_125:                           ;   in Loop: Header=BB1049_72 Depth=2
	s_wait_alu 0xfffe
	s_or_b32 exec_lo, exec_lo, s30
	s_delay_alu instid0(SALU_CYCLE_1)
	s_mov_b32 s30, exec_lo
	v_cmpx_lt_u32_e64 v74, v94
	s_cbranch_execnz .LBB1049_160
.LBB1049_126:                           ;   in Loop: Header=BB1049_72 Depth=2
	s_wait_alu 0xfffe
	s_or_b32 exec_lo, exec_lo, s30
	s_delay_alu instid0(SALU_CYCLE_1)
	s_mov_b32 s30, exec_lo
	v_cmpx_lt_u32_e64 v75, v94
	s_cbranch_execnz .LBB1049_161
.LBB1049_127:                           ;   in Loop: Header=BB1049_72 Depth=2
	s_wait_alu 0xfffe
	s_or_b32 exec_lo, exec_lo, s30
	s_delay_alu instid0(SALU_CYCLE_1)
	s_mov_b32 s30, exec_lo
	v_cmpx_lt_u32_e64 v76, v94
	s_cbranch_execnz .LBB1049_162
.LBB1049_128:                           ;   in Loop: Header=BB1049_72 Depth=2
	s_wait_alu 0xfffe
	s_or_b32 exec_lo, exec_lo, s30
	s_delay_alu instid0(SALU_CYCLE_1)
	s_mov_b32 s30, exec_lo
	v_cmpx_lt_u32_e64 v77, v94
	s_cbranch_execnz .LBB1049_163
.LBB1049_129:                           ;   in Loop: Header=BB1049_72 Depth=2
	s_wait_alu 0xfffe
	s_or_b32 exec_lo, exec_lo, s30
	s_and_saveexec_b32 s22, vcc_lo
	s_cbranch_execnz .LBB1049_164
.LBB1049_130:                           ;   in Loop: Header=BB1049_72 Depth=2
	s_wait_alu 0xfffe
	s_or_b32 exec_lo, exec_lo, s22
	s_and_saveexec_b32 s22, s15
	s_cbranch_execnz .LBB1049_165
.LBB1049_131:                           ;   in Loop: Header=BB1049_72 Depth=2
	s_wait_alu 0xfffe
	s_or_b32 exec_lo, exec_lo, s22
	s_and_saveexec_b32 s22, s16
	s_cbranch_execnz .LBB1049_166
.LBB1049_132:                           ;   in Loop: Header=BB1049_72 Depth=2
	s_wait_alu 0xfffe
	s_or_b32 exec_lo, exec_lo, s22
	s_and_saveexec_b32 s22, s17
	s_cbranch_execnz .LBB1049_167
.LBB1049_133:                           ;   in Loop: Header=BB1049_72 Depth=2
	s_wait_alu 0xfffe
	s_or_b32 exec_lo, exec_lo, s22
	s_and_saveexec_b32 s22, s18
	s_cbranch_execnz .LBB1049_168
.LBB1049_134:                           ;   in Loop: Header=BB1049_72 Depth=2
	s_wait_alu 0xfffe
	s_or_b32 exec_lo, exec_lo, s22
	s_and_saveexec_b32 s22, s19
	s_cbranch_execnz .LBB1049_169
.LBB1049_135:                           ;   in Loop: Header=BB1049_72 Depth=2
	s_wait_alu 0xfffe
	s_or_b32 exec_lo, exec_lo, s22
	s_and_saveexec_b32 s22, s20
	s_cbranch_execnz .LBB1049_170
.LBB1049_136:                           ;   in Loop: Header=BB1049_72 Depth=2
	s_wait_alu 0xfffe
	s_or_b32 exec_lo, exec_lo, s22
	s_and_saveexec_b32 s22, s21
	s_cbranch_execz .LBB1049_138
.LBB1049_137:                           ;   in Loop: Header=BB1049_72 Depth=2
	ds_load_u16 v0, v48 offset:4608
	s_wait_dscnt 0x0
	v_lshrrev_b32_e32 v0, s23, v0
	s_delay_alu instid0(VALU_DEP_1)
	v_and_b32_e32 v86, s42, v0
.LBB1049_138:                           ;   in Loop: Header=BB1049_72 Depth=2
	s_wait_alu 0xfffe
	s_or_b32 exec_lo, exec_lo, s22
	v_lshlrev_b32_e32 v0, 3, v98
	v_lshlrev_b32_e32 v5, 3, v97
	;; [unrolled: 1-line block ×3, first 2 shown]
	s_wait_loadcnt 0x0
	s_wait_storecnt 0x0
	s_barrier_signal -1
	s_barrier_wait -1
	global_inv scope:SCOPE_SE
	ds_store_b64 v0, v[22:23] offset:1024
	ds_store_b64 v5, v[20:21] offset:1024
	;; [unrolled: 1-line block ×3, first 2 shown]
	v_lshlrev_b32_e32 v0, 3, v25
	v_lshlrev_b32_e32 v5, 3, v24
	;; [unrolled: 1-line block ×5, first 2 shown]
	ds_store_b64 v0, v[16:17] offset:1024
	ds_store_b64 v5, v[14:15] offset:1024
	;; [unrolled: 1-line block ×5, first 2 shown]
	s_wait_loadcnt_dscnt 0x0
	s_barrier_signal -1
	s_barrier_wait -1
	global_inv scope:SCOPE_SE
	s_and_saveexec_b32 s22, vcc_lo
	s_cbranch_execnz .LBB1049_171
; %bb.139:                              ;   in Loop: Header=BB1049_72 Depth=2
	s_wait_alu 0xfffe
	s_or_b32 exec_lo, exec_lo, s22
	s_and_saveexec_b32 s22, s15
	s_cbranch_execnz .LBB1049_172
.LBB1049_140:                           ;   in Loop: Header=BB1049_72 Depth=2
	s_wait_alu 0xfffe
	s_or_b32 exec_lo, exec_lo, s22
	s_and_saveexec_b32 s15, s16
	s_cbranch_execnz .LBB1049_173
.LBB1049_141:                           ;   in Loop: Header=BB1049_72 Depth=2
	s_wait_alu 0xfffe
	s_or_b32 exec_lo, exec_lo, s15
	s_and_saveexec_b32 s15, s17
	s_cbranch_execnz .LBB1049_174
.LBB1049_142:                           ;   in Loop: Header=BB1049_72 Depth=2
	s_wait_alu 0xfffe
	s_or_b32 exec_lo, exec_lo, s15
	s_and_saveexec_b32 s15, s18
	s_cbranch_execnz .LBB1049_175
.LBB1049_143:                           ;   in Loop: Header=BB1049_72 Depth=2
	s_wait_alu 0xfffe
	s_or_b32 exec_lo, exec_lo, s15
	s_and_saveexec_b32 s15, s19
	s_cbranch_execnz .LBB1049_176
.LBB1049_144:                           ;   in Loop: Header=BB1049_72 Depth=2
	s_wait_alu 0xfffe
	s_or_b32 exec_lo, exec_lo, s15
	s_and_saveexec_b32 s15, s20
	s_cbranch_execnz .LBB1049_177
.LBB1049_145:                           ;   in Loop: Header=BB1049_72 Depth=2
	s_wait_alu 0xfffe
	s_or_b32 exec_lo, exec_lo, s15
	s_and_saveexec_b32 s15, s21
	s_cbranch_execz .LBB1049_147
.LBB1049_146:                           ;   in Loop: Header=BB1049_72 Depth=2
	v_lshlrev_b32_e32 v0, 2, v86
	v_add_nc_u32_e32 v5, v48, v49
	ds_load_b32 v0, v0
	ds_load_b64 v[5:6], v5 offset:15360
	s_wait_dscnt 0x1
	v_add_nc_u32_e32 v0, v0, v37
	s_delay_alu instid0(VALU_DEP_1) | instskip(NEXT) | instid1(VALU_DEP_1)
	v_lshlrev_b64_e32 v[24:25], 3, v[0:1]
	v_add_co_u32 v24, vcc_lo, s24, v24
	s_wait_alu 0xfffd
	s_delay_alu instid0(VALU_DEP_2)
	v_add_co_ci_u32_e64 v25, null, s25, v25, vcc_lo
	s_wait_dscnt 0x0
	global_store_b64 v[24:25], v[5:6], off
.LBB1049_147:                           ;   in Loop: Header=BB1049_72 Depth=2
	s_wait_alu 0xfffe
	s_or_b32 exec_lo, exec_lo, s15
	s_wait_loadcnt 0x0
	s_wait_storecnt 0x0
	s_barrier_signal -1
	s_barrier_wait -1
	global_inv scope:SCOPE_SE
	s_and_saveexec_b32 s15, s2
	s_cbranch_execz .LBB1049_71
; %bb.148:                              ;   in Loop: Header=BB1049_72 Depth=2
	ds_load_b32 v0, v28
	s_wait_dscnt 0x0
	v_add_nc_u32_e32 v0, v0, v7
	ds_store_b32 v28, v0
	s_branch .LBB1049_71
.LBB1049_149:                           ;   in Loop: Header=BB1049_72 Depth=2
	ds_load_u16 v96, v48 offset:1024
	s_wait_dscnt 0x0
	v_and_b32_e32 v0, 0xffff, v96
	s_delay_alu instid0(VALU_DEP_1) | instskip(NEXT) | instid1(VALU_DEP_1)
	v_lshrrev_b32_e32 v0, s23, v0
	v_and_b32_e32 v0, s42, v0
	s_delay_alu instid0(VALU_DEP_1) | instskip(SKIP_3) | instid1(VALU_DEP_1)
	v_lshlrev_b32_e32 v0, 2, v0
	ds_load_b32 v0, v0
	s_wait_dscnt 0x0
	v_add_nc_u32_e32 v0, v0, v13
	v_lshlrev_b64_e32 v[5:6], 1, v[0:1]
	v_xor_b32_e32 v0, 0xffff8000, v96
	s_delay_alu instid0(VALU_DEP_2) | instskip(SKIP_1) | instid1(VALU_DEP_3)
	v_add_co_u32 v5, s15, s38, v5
	s_wait_alu 0xf1ff
	v_add_co_ci_u32_e64 v6, null, s39, v6, s15
	global_store_b16 v[5:6], v0, off
	s_wait_alu 0xfffe
	s_or_b32 exec_lo, exec_lo, s16
	v_cmp_lt_u32_e64 s15, v29, v94
	s_and_saveexec_b32 s17, s15
	s_cbranch_execz .LBB1049_114
.LBB1049_150:                           ;   in Loop: Header=BB1049_72 Depth=2
	ds_load_u16 v96, v48 offset:1536
	s_wait_dscnt 0x0
	v_and_b32_e32 v0, 0xffff, v96
	s_delay_alu instid0(VALU_DEP_1) | instskip(NEXT) | instid1(VALU_DEP_1)
	v_lshrrev_b32_e32 v0, s23, v0
	v_and_b32_e32 v0, s42, v0
	s_delay_alu instid0(VALU_DEP_1) | instskip(SKIP_3) | instid1(VALU_DEP_1)
	v_lshlrev_b32_e32 v0, 2, v0
	ds_load_b32 v0, v0
	s_wait_dscnt 0x0
	v_add_nc_u32_e32 v0, v0, v29
	v_lshlrev_b64_e32 v[5:6], 1, v[0:1]
	v_xor_b32_e32 v0, 0xffff8000, v96
	s_delay_alu instid0(VALU_DEP_2) | instskip(SKIP_1) | instid1(VALU_DEP_3)
	v_add_co_u32 v5, s16, s38, v5
	s_wait_alu 0xf1ff
	v_add_co_ci_u32_e64 v6, null, s39, v6, s16
	global_store_b16 v[5:6], v0, off
	s_wait_alu 0xfffe
	s_or_b32 exec_lo, exec_lo, s17
	v_cmp_lt_u32_e64 s16, v30, v94
	s_and_saveexec_b32 s18, s16
	s_cbranch_execz .LBB1049_115
.LBB1049_151:                           ;   in Loop: Header=BB1049_72 Depth=2
	ds_load_u16 v96, v48 offset:2048
	s_wait_dscnt 0x0
	v_and_b32_e32 v0, 0xffff, v96
	s_delay_alu instid0(VALU_DEP_1) | instskip(NEXT) | instid1(VALU_DEP_1)
	v_lshrrev_b32_e32 v0, s23, v0
	v_and_b32_e32 v0, s42, v0
	s_delay_alu instid0(VALU_DEP_1) | instskip(SKIP_3) | instid1(VALU_DEP_1)
	v_lshlrev_b32_e32 v0, 2, v0
	ds_load_b32 v0, v0
	s_wait_dscnt 0x0
	v_add_nc_u32_e32 v0, v0, v30
	v_lshlrev_b64_e32 v[5:6], 1, v[0:1]
	v_xor_b32_e32 v0, 0xffff8000, v96
	s_delay_alu instid0(VALU_DEP_2) | instskip(SKIP_1) | instid1(VALU_DEP_3)
	v_add_co_u32 v5, s17, s38, v5
	s_wait_alu 0xf1ff
	v_add_co_ci_u32_e64 v6, null, s39, v6, s17
	global_store_b16 v[5:6], v0, off
	s_wait_alu 0xfffe
	s_or_b32 exec_lo, exec_lo, s18
	v_cmp_lt_u32_e64 s17, v31, v94
	s_and_saveexec_b32 s19, s17
	s_cbranch_execz .LBB1049_116
.LBB1049_152:                           ;   in Loop: Header=BB1049_72 Depth=2
	ds_load_u16 v96, v48 offset:2560
	s_wait_dscnt 0x0
	v_and_b32_e32 v0, 0xffff, v96
	s_delay_alu instid0(VALU_DEP_1) | instskip(NEXT) | instid1(VALU_DEP_1)
	v_lshrrev_b32_e32 v0, s23, v0
	v_and_b32_e32 v0, s42, v0
	s_delay_alu instid0(VALU_DEP_1) | instskip(SKIP_3) | instid1(VALU_DEP_1)
	v_lshlrev_b32_e32 v0, 2, v0
	ds_load_b32 v0, v0
	s_wait_dscnt 0x0
	v_add_nc_u32_e32 v0, v0, v31
	v_lshlrev_b64_e32 v[5:6], 1, v[0:1]
	v_xor_b32_e32 v0, 0xffff8000, v96
	s_delay_alu instid0(VALU_DEP_2) | instskip(SKIP_1) | instid1(VALU_DEP_3)
	v_add_co_u32 v5, s18, s38, v5
	s_wait_alu 0xf1ff
	v_add_co_ci_u32_e64 v6, null, s39, v6, s18
	global_store_b16 v[5:6], v0, off
	s_wait_alu 0xfffe
	s_or_b32 exec_lo, exec_lo, s19
	v_cmp_lt_u32_e64 s18, v34, v94
	s_and_saveexec_b32 s20, s18
	s_cbranch_execz .LBB1049_117
.LBB1049_153:                           ;   in Loop: Header=BB1049_72 Depth=2
	ds_load_u16 v96, v48 offset:3072
	s_wait_dscnt 0x0
	v_and_b32_e32 v0, 0xffff, v96
	s_delay_alu instid0(VALU_DEP_1) | instskip(NEXT) | instid1(VALU_DEP_1)
	v_lshrrev_b32_e32 v0, s23, v0
	v_and_b32_e32 v0, s42, v0
	s_delay_alu instid0(VALU_DEP_1) | instskip(SKIP_3) | instid1(VALU_DEP_1)
	v_lshlrev_b32_e32 v0, 2, v0
	ds_load_b32 v0, v0
	s_wait_dscnt 0x0
	v_add_nc_u32_e32 v0, v0, v34
	v_lshlrev_b64_e32 v[5:6], 1, v[0:1]
	v_xor_b32_e32 v0, 0xffff8000, v96
	s_delay_alu instid0(VALU_DEP_2) | instskip(SKIP_1) | instid1(VALU_DEP_3)
	v_add_co_u32 v5, s19, s38, v5
	s_wait_alu 0xf1ff
	v_add_co_ci_u32_e64 v6, null, s39, v6, s19
	global_store_b16 v[5:6], v0, off
	s_wait_alu 0xfffe
	s_or_b32 exec_lo, exec_lo, s20
	v_cmp_lt_u32_e64 s19, v35, v94
	s_and_saveexec_b32 s21, s19
	s_cbranch_execz .LBB1049_118
.LBB1049_154:                           ;   in Loop: Header=BB1049_72 Depth=2
	ds_load_u16 v96, v48 offset:3584
	s_wait_dscnt 0x0
	v_and_b32_e32 v0, 0xffff, v96
	s_delay_alu instid0(VALU_DEP_1) | instskip(NEXT) | instid1(VALU_DEP_1)
	v_lshrrev_b32_e32 v0, s23, v0
	v_and_b32_e32 v0, s42, v0
	s_delay_alu instid0(VALU_DEP_1) | instskip(SKIP_3) | instid1(VALU_DEP_1)
	v_lshlrev_b32_e32 v0, 2, v0
	ds_load_b32 v0, v0
	s_wait_dscnt 0x0
	v_add_nc_u32_e32 v0, v0, v35
	v_lshlrev_b64_e32 v[5:6], 1, v[0:1]
	v_xor_b32_e32 v0, 0xffff8000, v96
	s_delay_alu instid0(VALU_DEP_2) | instskip(SKIP_1) | instid1(VALU_DEP_3)
	v_add_co_u32 v5, s20, s38, v5
	s_wait_alu 0xf1ff
	v_add_co_ci_u32_e64 v6, null, s39, v6, s20
	global_store_b16 v[5:6], v0, off
	s_wait_alu 0xfffe
	s_or_b32 exec_lo, exec_lo, s21
	v_cmp_lt_u32_e64 s20, v36, v94
	s_and_saveexec_b32 s22, s20
	s_cbranch_execz .LBB1049_119
.LBB1049_155:                           ;   in Loop: Header=BB1049_72 Depth=2
	ds_load_u16 v96, v48 offset:4096
	s_wait_dscnt 0x0
	v_and_b32_e32 v0, 0xffff, v96
	s_delay_alu instid0(VALU_DEP_1) | instskip(NEXT) | instid1(VALU_DEP_1)
	v_lshrrev_b32_e32 v0, s23, v0
	v_and_b32_e32 v0, s42, v0
	s_delay_alu instid0(VALU_DEP_1) | instskip(SKIP_3) | instid1(VALU_DEP_1)
	v_lshlrev_b32_e32 v0, 2, v0
	ds_load_b32 v0, v0
	s_wait_dscnt 0x0
	v_add_nc_u32_e32 v0, v0, v36
	v_lshlrev_b64_e32 v[5:6], 1, v[0:1]
	v_xor_b32_e32 v0, 0xffff8000, v96
	s_delay_alu instid0(VALU_DEP_2) | instskip(SKIP_1) | instid1(VALU_DEP_3)
	v_add_co_u32 v5, s21, s38, v5
	s_wait_alu 0xf1ff
	v_add_co_ci_u32_e64 v6, null, s39, v6, s21
	global_store_b16 v[5:6], v0, off
	s_wait_alu 0xfffe
	s_or_b32 exec_lo, exec_lo, s22
	v_cmp_lt_u32_e64 s21, v37, v94
	s_and_saveexec_b32 s48, s21
	s_cbranch_execnz .LBB1049_120
	s_branch .LBB1049_121
.LBB1049_156:                           ;   in Loop: Header=BB1049_72 Depth=2
	global_load_b64 v[22:23], v[5:6], off
	s_wait_alu 0xfffe
	s_or_b32 exec_lo, exec_lo, s22
	s_delay_alu instid0(SALU_CYCLE_1)
	s_mov_b32 s30, exec_lo
	v_cmpx_lt_u32_e64 v71, v94
	s_cbranch_execz .LBB1049_123
.LBB1049_157:                           ;   in Loop: Header=BB1049_72 Depth=2
	global_load_b64 v[20:21], v[5:6], off offset:256
	s_wait_alu 0xfffe
	s_or_b32 exec_lo, exec_lo, s30
	s_delay_alu instid0(SALU_CYCLE_1)
	s_mov_b32 s30, exec_lo
	v_cmpx_lt_u32_e64 v72, v94
	s_cbranch_execz .LBB1049_124
.LBB1049_158:                           ;   in Loop: Header=BB1049_72 Depth=2
	global_load_b64 v[18:19], v[5:6], off offset:512
	s_wait_alu 0xfffe
	s_or_b32 exec_lo, exec_lo, s30
	s_delay_alu instid0(SALU_CYCLE_1)
	s_mov_b32 s30, exec_lo
	v_cmpx_lt_u32_e64 v73, v94
	s_cbranch_execz .LBB1049_125
.LBB1049_159:                           ;   in Loop: Header=BB1049_72 Depth=2
	global_load_b64 v[16:17], v[5:6], off offset:768
	s_wait_alu 0xfffe
	s_or_b32 exec_lo, exec_lo, s30
	s_delay_alu instid0(SALU_CYCLE_1)
	s_mov_b32 s30, exec_lo
	v_cmpx_lt_u32_e64 v74, v94
	s_cbranch_execz .LBB1049_126
.LBB1049_160:                           ;   in Loop: Header=BB1049_72 Depth=2
	global_load_b64 v[14:15], v[5:6], off offset:1024
	s_wait_alu 0xfffe
	s_or_b32 exec_lo, exec_lo, s30
	s_delay_alu instid0(SALU_CYCLE_1)
	s_mov_b32 s30, exec_lo
	v_cmpx_lt_u32_e64 v75, v94
	s_cbranch_execz .LBB1049_127
.LBB1049_161:                           ;   in Loop: Header=BB1049_72 Depth=2
	global_load_b64 v[11:12], v[5:6], off offset:1280
	s_wait_alu 0xfffe
	s_or_b32 exec_lo, exec_lo, s30
	s_delay_alu instid0(SALU_CYCLE_1)
	s_mov_b32 s30, exec_lo
	v_cmpx_lt_u32_e64 v76, v94
	s_cbranch_execz .LBB1049_128
.LBB1049_162:                           ;   in Loop: Header=BB1049_72 Depth=2
	global_load_b64 v[9:10], v[5:6], off offset:1536
	s_wait_alu 0xfffe
	s_or_b32 exec_lo, exec_lo, s30
	s_delay_alu instid0(SALU_CYCLE_1)
	s_mov_b32 s30, exec_lo
	v_cmpx_lt_u32_e64 v77, v94
	s_cbranch_execz .LBB1049_129
.LBB1049_163:                           ;   in Loop: Header=BB1049_72 Depth=2
	global_load_b64 v[2:3], v[5:6], off offset:1792
	s_wait_alu 0xfffe
	s_or_b32 exec_lo, exec_lo, s30
	s_and_saveexec_b32 s22, vcc_lo
	s_cbranch_execz .LBB1049_130
.LBB1049_164:                           ;   in Loop: Header=BB1049_72 Depth=2
	ds_load_u16 v0, v48 offset:1024
	s_wait_dscnt 0x0
	v_lshrrev_b32_e32 v0, s23, v0
	s_delay_alu instid0(VALU_DEP_1)
	v_and_b32_e32 v93, s42, v0
	s_wait_alu 0xfffe
	s_or_b32 exec_lo, exec_lo, s22
	s_and_saveexec_b32 s22, s15
	s_cbranch_execz .LBB1049_131
.LBB1049_165:                           ;   in Loop: Header=BB1049_72 Depth=2
	ds_load_u16 v0, v48 offset:1536
	s_wait_dscnt 0x0
	v_lshrrev_b32_e32 v0, s23, v0
	s_delay_alu instid0(VALU_DEP_1)
	v_and_b32_e32 v92, s42, v0
	s_wait_alu 0xfffe
	s_or_b32 exec_lo, exec_lo, s22
	s_and_saveexec_b32 s22, s16
	s_cbranch_execz .LBB1049_132
.LBB1049_166:                           ;   in Loop: Header=BB1049_72 Depth=2
	ds_load_u16 v0, v48 offset:2048
	s_wait_dscnt 0x0
	v_lshrrev_b32_e32 v0, s23, v0
	s_delay_alu instid0(VALU_DEP_1)
	v_and_b32_e32 v91, s42, v0
	s_wait_alu 0xfffe
	s_or_b32 exec_lo, exec_lo, s22
	s_and_saveexec_b32 s22, s17
	s_cbranch_execz .LBB1049_133
.LBB1049_167:                           ;   in Loop: Header=BB1049_72 Depth=2
	ds_load_u16 v0, v48 offset:2560
	s_wait_dscnt 0x0
	v_lshrrev_b32_e32 v0, s23, v0
	s_delay_alu instid0(VALU_DEP_1)
	v_and_b32_e32 v90, s42, v0
	s_wait_alu 0xfffe
	s_or_b32 exec_lo, exec_lo, s22
	s_and_saveexec_b32 s22, s18
	s_cbranch_execz .LBB1049_134
.LBB1049_168:                           ;   in Loop: Header=BB1049_72 Depth=2
	ds_load_u16 v0, v48 offset:3072
	s_wait_dscnt 0x0
	v_lshrrev_b32_e32 v0, s23, v0
	s_delay_alu instid0(VALU_DEP_1)
	v_and_b32_e32 v89, s42, v0
	s_wait_alu 0xfffe
	s_or_b32 exec_lo, exec_lo, s22
	s_and_saveexec_b32 s22, s19
	s_cbranch_execz .LBB1049_135
.LBB1049_169:                           ;   in Loop: Header=BB1049_72 Depth=2
	ds_load_u16 v0, v48 offset:3584
	s_wait_dscnt 0x0
	v_lshrrev_b32_e32 v0, s23, v0
	s_delay_alu instid0(VALU_DEP_1)
	v_and_b32_e32 v88, s42, v0
	s_wait_alu 0xfffe
	s_or_b32 exec_lo, exec_lo, s22
	s_and_saveexec_b32 s22, s20
	s_cbranch_execz .LBB1049_136
.LBB1049_170:                           ;   in Loop: Header=BB1049_72 Depth=2
	ds_load_u16 v0, v48 offset:4096
	s_wait_dscnt 0x0
	v_lshrrev_b32_e32 v0, s23, v0
	s_delay_alu instid0(VALU_DEP_1)
	v_and_b32_e32 v87, s42, v0
	s_wait_alu 0xfffe
	s_or_b32 exec_lo, exec_lo, s22
	s_and_saveexec_b32 s22, s21
	s_cbranch_execnz .LBB1049_137
	s_branch .LBB1049_138
.LBB1049_171:                           ;   in Loop: Header=BB1049_72 Depth=2
	v_lshlrev_b32_e32 v0, 2, v93
	v_add_nc_u32_e32 v5, v48, v49
	ds_load_b32 v0, v0
	ds_load_b64 v[5:6], v5 offset:1024
	s_wait_dscnt 0x1
	v_add_nc_u32_e32 v0, v0, v13
	s_delay_alu instid0(VALU_DEP_1) | instskip(NEXT) | instid1(VALU_DEP_1)
	v_lshlrev_b64_e32 v[24:25], 3, v[0:1]
	v_add_co_u32 v24, vcc_lo, s24, v24
	s_wait_alu 0xfffd
	s_delay_alu instid0(VALU_DEP_2)
	v_add_co_ci_u32_e64 v25, null, s25, v25, vcc_lo
	s_wait_dscnt 0x0
	global_store_b64 v[24:25], v[5:6], off
	s_wait_alu 0xfffe
	s_or_b32 exec_lo, exec_lo, s22
	s_and_saveexec_b32 s22, s15
	s_cbranch_execz .LBB1049_140
.LBB1049_172:                           ;   in Loop: Header=BB1049_72 Depth=2
	v_lshlrev_b32_e32 v0, 2, v92
	v_add_nc_u32_e32 v5, v48, v49
	ds_load_b32 v0, v0
	ds_load_b64 v[5:6], v5 offset:3072
	s_wait_dscnt 0x1
	v_add_nc_u32_e32 v0, v0, v29
	s_delay_alu instid0(VALU_DEP_1) | instskip(NEXT) | instid1(VALU_DEP_1)
	v_lshlrev_b64_e32 v[24:25], 3, v[0:1]
	v_add_co_u32 v24, vcc_lo, s24, v24
	s_wait_alu 0xfffd
	s_delay_alu instid0(VALU_DEP_2)
	v_add_co_ci_u32_e64 v25, null, s25, v25, vcc_lo
	s_wait_dscnt 0x0
	global_store_b64 v[24:25], v[5:6], off
	s_wait_alu 0xfffe
	s_or_b32 exec_lo, exec_lo, s22
	s_and_saveexec_b32 s15, s16
	s_cbranch_execz .LBB1049_141
.LBB1049_173:                           ;   in Loop: Header=BB1049_72 Depth=2
	v_lshlrev_b32_e32 v0, 2, v91
	v_add_nc_u32_e32 v5, v48, v49
	ds_load_b32 v0, v0
	ds_load_b64 v[5:6], v5 offset:5120
	s_wait_dscnt 0x1
	v_add_nc_u32_e32 v0, v0, v30
	s_delay_alu instid0(VALU_DEP_1) | instskip(NEXT) | instid1(VALU_DEP_1)
	v_lshlrev_b64_e32 v[24:25], 3, v[0:1]
	v_add_co_u32 v24, vcc_lo, s24, v24
	s_wait_alu 0xfffd
	s_delay_alu instid0(VALU_DEP_2)
	v_add_co_ci_u32_e64 v25, null, s25, v25, vcc_lo
	s_wait_dscnt 0x0
	global_store_b64 v[24:25], v[5:6], off
	s_wait_alu 0xfffe
	s_or_b32 exec_lo, exec_lo, s15
	s_and_saveexec_b32 s15, s17
	s_cbranch_execz .LBB1049_142
.LBB1049_174:                           ;   in Loop: Header=BB1049_72 Depth=2
	v_lshlrev_b32_e32 v0, 2, v90
	v_add_nc_u32_e32 v5, v48, v49
	ds_load_b32 v0, v0
	ds_load_b64 v[5:6], v5 offset:7168
	s_wait_dscnt 0x1
	v_add_nc_u32_e32 v0, v0, v31
	s_delay_alu instid0(VALU_DEP_1) | instskip(NEXT) | instid1(VALU_DEP_1)
	v_lshlrev_b64_e32 v[24:25], 3, v[0:1]
	v_add_co_u32 v24, vcc_lo, s24, v24
	s_wait_alu 0xfffd
	s_delay_alu instid0(VALU_DEP_2)
	v_add_co_ci_u32_e64 v25, null, s25, v25, vcc_lo
	s_wait_dscnt 0x0
	global_store_b64 v[24:25], v[5:6], off
	s_wait_alu 0xfffe
	s_or_b32 exec_lo, exec_lo, s15
	s_and_saveexec_b32 s15, s18
	s_cbranch_execz .LBB1049_143
.LBB1049_175:                           ;   in Loop: Header=BB1049_72 Depth=2
	v_lshlrev_b32_e32 v0, 2, v89
	v_add_nc_u32_e32 v5, v48, v49
	ds_load_b32 v0, v0
	ds_load_b64 v[5:6], v5 offset:9216
	s_wait_dscnt 0x1
	v_add_nc_u32_e32 v0, v0, v34
	s_delay_alu instid0(VALU_DEP_1) | instskip(NEXT) | instid1(VALU_DEP_1)
	v_lshlrev_b64_e32 v[24:25], 3, v[0:1]
	v_add_co_u32 v24, vcc_lo, s24, v24
	s_wait_alu 0xfffd
	s_delay_alu instid0(VALU_DEP_2)
	v_add_co_ci_u32_e64 v25, null, s25, v25, vcc_lo
	s_wait_dscnt 0x0
	global_store_b64 v[24:25], v[5:6], off
	s_wait_alu 0xfffe
	s_or_b32 exec_lo, exec_lo, s15
	s_and_saveexec_b32 s15, s19
	s_cbranch_execz .LBB1049_144
.LBB1049_176:                           ;   in Loop: Header=BB1049_72 Depth=2
	v_lshlrev_b32_e32 v0, 2, v88
	v_add_nc_u32_e32 v5, v48, v49
	ds_load_b32 v0, v0
	ds_load_b64 v[5:6], v5 offset:11264
	s_wait_dscnt 0x1
	v_add_nc_u32_e32 v0, v0, v35
	s_delay_alu instid0(VALU_DEP_1) | instskip(NEXT) | instid1(VALU_DEP_1)
	v_lshlrev_b64_e32 v[24:25], 3, v[0:1]
	v_add_co_u32 v24, vcc_lo, s24, v24
	s_wait_alu 0xfffd
	s_delay_alu instid0(VALU_DEP_2)
	v_add_co_ci_u32_e64 v25, null, s25, v25, vcc_lo
	s_wait_dscnt 0x0
	global_store_b64 v[24:25], v[5:6], off
	s_wait_alu 0xfffe
	s_or_b32 exec_lo, exec_lo, s15
	s_and_saveexec_b32 s15, s20
	s_cbranch_execz .LBB1049_145
.LBB1049_177:                           ;   in Loop: Header=BB1049_72 Depth=2
	v_lshlrev_b32_e32 v0, 2, v87
	v_add_nc_u32_e32 v5, v48, v49
	ds_load_b32 v0, v0
	ds_load_b64 v[5:6], v5 offset:13312
	s_wait_dscnt 0x1
	v_add_nc_u32_e32 v0, v0, v36
	s_delay_alu instid0(VALU_DEP_1) | instskip(NEXT) | instid1(VALU_DEP_1)
	v_lshlrev_b64_e32 v[24:25], 3, v[0:1]
	v_add_co_u32 v24, vcc_lo, s24, v24
	s_wait_alu 0xfffd
	s_delay_alu instid0(VALU_DEP_2)
	v_add_co_ci_u32_e64 v25, null, s25, v25, vcc_lo
	s_wait_dscnt 0x0
	global_store_b64 v[24:25], v[5:6], off
	s_wait_alu 0xfffe
	s_or_b32 exec_lo, exec_lo, s15
	s_and_saveexec_b32 s15, s21
	s_cbranch_execnz .LBB1049_146
	s_branch .LBB1049_147
.LBB1049_178:                           ;   in Loop: Header=BB1049_72 Depth=2
	v_dual_mov_b32 v5, 0x7fff0000 :: v_dual_mov_b32 v6, v4
	v_dual_mov_b32 v7, v4 :: v_dual_mov_b32 v8, v4
	global_load_d16_b16 v5, v[24:25], off
	s_wait_alu 0xfffe
	s_or_b32 exec_lo, exec_lo, s15
	s_delay_alu instid0(SALU_CYCLE_1)
	s_mov_b32 s15, exec_lo
	v_cmpx_gt_u32_e64 s43, v71
	s_cbranch_execz .LBB1049_77
.LBB1049_179:                           ;   in Loop: Header=BB1049_72 Depth=2
	s_wait_loadcnt 0x0
	global_load_d16_hi_b16 v5, v[24:25], off offset:64
	s_wait_alu 0xfffe
	s_or_b32 exec_lo, exec_lo, s15
	s_delay_alu instid0(SALU_CYCLE_1)
	s_mov_b32 s15, exec_lo
	v_cmpx_gt_u32_e64 s43, v72
	s_cbranch_execz .LBB1049_78
.LBB1049_180:                           ;   in Loop: Header=BB1049_72 Depth=2
	global_load_d16_b16 v6, v[24:25], off offset:128
	s_wait_alu 0xfffe
	s_or_b32 exec_lo, exec_lo, s15
	s_delay_alu instid0(SALU_CYCLE_1)
	s_mov_b32 s15, exec_lo
	v_cmpx_gt_u32_e64 s43, v73
	s_cbranch_execz .LBB1049_79
.LBB1049_181:                           ;   in Loop: Header=BB1049_72 Depth=2
	s_wait_loadcnt 0x0
	global_load_d16_hi_b16 v6, v[24:25], off offset:192
	s_wait_alu 0xfffe
	s_or_b32 exec_lo, exec_lo, s15
	s_delay_alu instid0(SALU_CYCLE_1)
	s_mov_b32 s15, exec_lo
	v_cmpx_gt_u32_e64 s43, v74
	s_cbranch_execz .LBB1049_80
.LBB1049_182:                           ;   in Loop: Header=BB1049_72 Depth=2
	global_load_d16_b16 v7, v[24:25], off offset:256
	s_wait_alu 0xfffe
	s_or_b32 exec_lo, exec_lo, s15
	s_delay_alu instid0(SALU_CYCLE_1)
	s_mov_b32 s15, exec_lo
	v_cmpx_gt_u32_e64 s43, v75
	s_cbranch_execz .LBB1049_81
.LBB1049_183:                           ;   in Loop: Header=BB1049_72 Depth=2
	s_wait_loadcnt 0x0
	global_load_d16_hi_b16 v7, v[24:25], off offset:320
	s_wait_alu 0xfffe
	s_or_b32 exec_lo, exec_lo, s15
	s_delay_alu instid0(SALU_CYCLE_1)
	s_mov_b32 s15, exec_lo
	v_cmpx_gt_u32_e64 s43, v76
	s_cbranch_execnz .LBB1049_82
	s_branch .LBB1049_83
.LBB1049_184:                           ;   in Loop: Header=BB1049_20 Depth=1
	s_wait_loadcnt_dscnt 0x0
	s_barrier_signal -1
	s_mov_b32 s0, 0
	s_barrier_wait -1
.LBB1049_185:                           ;   in Loop: Header=BB1049_20 Depth=1
	s_wait_alu 0xfffe
	s_and_b32 vcc_lo, exec_lo, s0
	s_wait_alu 0xfffe
	s_cbranch_vccz .LBB1049_349
; %bb.186:                              ;   in Loop: Header=BB1049_20 Depth=1
	v_dual_mov_b32 v0, v1 :: v_dual_mov_b32 v3, v1
	v_mov_b32_e32 v2, v1
	s_mov_b32 s9, s47
	s_mov_b32 s30, s33
	s_barrier_signal -1
	s_delay_alu instid0(VALU_DEP_1)
	v_dual_mov_b32 v8, v3 :: v_dual_mov_b32 v7, v2
	v_dual_mov_b32 v6, v1 :: v_dual_mov_b32 v5, v0
	s_barrier_wait -1
	global_inv scope:SCOPE_SE
	s_branch .LBB1049_188
.LBB1049_187:                           ;   in Loop: Header=BB1049_188 Depth=2
	s_wait_alu 0xfffe
	s_or_b32 exec_lo, exec_lo, s0
	s_addk_co_i32 s9, 0xf800
	s_cmp_ge_u32 s10, s34
	s_mov_b32 s30, s10
	s_cbranch_scc1 .LBB1049_224
.LBB1049_188:                           ;   Parent Loop BB1049_20 Depth=1
                                        ; =>  This Inner Loop Header: Depth=2
	s_wait_alu 0xfffe
	s_add_co_i32 s10, s30, 0x800
	s_mov_b32 s0, -1
	s_wait_alu 0xfffe
	s_cmp_gt_u32 s10, s34
                                        ; implicit-def: $vgpr9_vgpr10_vgpr11_vgpr12
	s_cbranch_scc1 .LBB1049_190
; %bb.189:                              ;   in Loop: Header=BB1049_188 Depth=2
	s_lshl_b64 s[0:1], s[30:31], 1
	s_wait_alu 0xfffe
	v_add_co_u32 v2, vcc_lo, v50, s0
	s_wait_alu 0xfffd
	v_add_co_ci_u32_e64 v3, null, s1, v51, vcc_lo
	s_mov_b32 s0, 0
	s_clause 0x3
	global_load_u16 v9, v[2:3], off
	global_load_u16 v10, v[2:3], off offset:1024
	global_load_u16 v11, v[2:3], off offset:2048
	;; [unrolled: 1-line block ×3, first 2 shown]
	s_wait_loadcnt 0x3
	global_load_d16_hi_b16 v9, v[2:3], off offset:512
	s_wait_loadcnt 0x3
	global_load_d16_hi_b16 v10, v[2:3], off offset:1536
	s_wait_loadcnt 0x3
	global_load_d16_hi_b16 v11, v[2:3], off offset:2560
	s_wait_loadcnt 0x3
	global_load_d16_hi_b16 v12, v[2:3], off offset:3584
.LBB1049_190:                           ;   in Loop: Header=BB1049_188 Depth=2
	s_wait_alu 0xfffe
	s_and_not1_b32 vcc_lo, exec_lo, s0
	s_movk_i32 s0, 0x800
	s_wait_alu 0xfffe
	s_cbranch_vccnz .LBB1049_201
; %bb.191:                              ;   in Loop: Header=BB1049_188 Depth=2
	s_lshl_b64 s[0:1], s[30:31], 1
	s_mov_b32 s11, exec_lo
	s_wait_alu 0xfffe
	s_add_nc_u64 s[0:1], s[38:39], s[0:1]
	v_cmpx_gt_u32_e64 s9, v13
	s_cbranch_execnz .LBB1049_217
; %bb.192:                              ;   in Loop: Header=BB1049_188 Depth=2
	s_or_b32 exec_lo, exec_lo, s11
	s_delay_alu instid0(SALU_CYCLE_1)
	s_mov_b32 s11, exec_lo
	v_cmpx_gt_u32_e64 s9, v29
	s_cbranch_execnz .LBB1049_218
.LBB1049_193:                           ;   in Loop: Header=BB1049_188 Depth=2
	s_wait_alu 0xfffe
	s_or_b32 exec_lo, exec_lo, s11
	s_delay_alu instid0(SALU_CYCLE_1)
	s_mov_b32 s11, exec_lo
	v_cmpx_gt_u32_e64 s9, v30
	s_cbranch_execnz .LBB1049_219
.LBB1049_194:                           ;   in Loop: Header=BB1049_188 Depth=2
	s_wait_alu 0xfffe
	s_or_b32 exec_lo, exec_lo, s11
	s_delay_alu instid0(SALU_CYCLE_1)
	s_mov_b32 s11, exec_lo
	v_cmpx_gt_u32_e64 s9, v31
	s_cbranch_execnz .LBB1049_220
.LBB1049_195:                           ;   in Loop: Header=BB1049_188 Depth=2
	s_wait_alu 0xfffe
	s_or_b32 exec_lo, exec_lo, s11
	s_delay_alu instid0(SALU_CYCLE_1)
	s_mov_b32 s11, exec_lo
	v_cmpx_gt_u32_e64 s9, v34
	s_cbranch_execnz .LBB1049_221
.LBB1049_196:                           ;   in Loop: Header=BB1049_188 Depth=2
	s_wait_alu 0xfffe
	s_or_b32 exec_lo, exec_lo, s11
	s_delay_alu instid0(SALU_CYCLE_1)
	s_mov_b32 s11, exec_lo
	v_cmpx_gt_u32_e64 s9, v35
	s_cbranch_execnz .LBB1049_222
.LBB1049_197:                           ;   in Loop: Header=BB1049_188 Depth=2
	s_wait_alu 0xfffe
	s_or_b32 exec_lo, exec_lo, s11
	s_delay_alu instid0(SALU_CYCLE_1)
	s_mov_b32 s11, exec_lo
	v_cmpx_gt_u32_e64 s9, v36
	s_cbranch_execnz .LBB1049_223
.LBB1049_198:                           ;   in Loop: Header=BB1049_188 Depth=2
	s_wait_alu 0xfffe
	s_or_b32 exec_lo, exec_lo, s11
	s_delay_alu instid0(SALU_CYCLE_1)
	s_mov_b32 s11, exec_lo
	v_cmpx_gt_u32_e64 s9, v37
	s_cbranch_execz .LBB1049_200
.LBB1049_199:                           ;   in Loop: Header=BB1049_188 Depth=2
	s_wait_loadcnt 0x0
	global_load_d16_hi_b16 v8, v79, s[0:1] offset:3584
.LBB1049_200:                           ;   in Loop: Header=BB1049_188 Depth=2
	s_wait_alu 0xfffe
	s_or_b32 exec_lo, exec_lo, s11
	s_wait_loadcnt 0x0
	v_dual_mov_b32 v12, v8 :: v_dual_mov_b32 v11, v7
	v_dual_mov_b32 v10, v6 :: v_dual_mov_b32 v9, v5
	s_mov_b32 s0, s9
.LBB1049_201:                           ;   in Loop: Header=BB1049_188 Depth=2
	s_wait_loadcnt 0x0
	s_delay_alu instid0(VALU_DEP_1)
	v_dual_mov_b32 v5, v9 :: v_dual_mov_b32 v6, v10
	v_dual_mov_b32 v7, v11 :: v_dual_mov_b32 v8, v12
	s_mov_b32 s1, exec_lo
	s_wait_alu 0xfffe
	v_cmpx_gt_u32_e64 s0, v13
	s_cbranch_execnz .LBB1049_209
; %bb.202:                              ;   in Loop: Header=BB1049_188 Depth=2
	s_or_b32 exec_lo, exec_lo, s1
	s_delay_alu instid0(SALU_CYCLE_1)
	s_mov_b32 s1, exec_lo
	v_cmpx_gt_u32_e64 s0, v29
	s_cbranch_execnz .LBB1049_210
.LBB1049_203:                           ;   in Loop: Header=BB1049_188 Depth=2
	s_wait_alu 0xfffe
	s_or_b32 exec_lo, exec_lo, s1
	s_delay_alu instid0(SALU_CYCLE_1)
	s_mov_b32 s1, exec_lo
	v_cmpx_gt_u32_e64 s0, v30
	s_cbranch_execnz .LBB1049_211
.LBB1049_204:                           ;   in Loop: Header=BB1049_188 Depth=2
	s_wait_alu 0xfffe
	s_or_b32 exec_lo, exec_lo, s1
	s_delay_alu instid0(SALU_CYCLE_1)
	s_mov_b32 s1, exec_lo
	v_cmpx_gt_u32_e64 s0, v31
	s_cbranch_execnz .LBB1049_212
.LBB1049_205:                           ;   in Loop: Header=BB1049_188 Depth=2
	s_wait_alu 0xfffe
	s_or_b32 exec_lo, exec_lo, s1
	s_delay_alu instid0(SALU_CYCLE_1)
	s_mov_b32 s1, exec_lo
	v_cmpx_gt_u32_e64 s0, v34
	s_cbranch_execnz .LBB1049_213
.LBB1049_206:                           ;   in Loop: Header=BB1049_188 Depth=2
	s_wait_alu 0xfffe
	s_or_b32 exec_lo, exec_lo, s1
	s_delay_alu instid0(SALU_CYCLE_1)
	s_mov_b32 s1, exec_lo
	v_cmpx_gt_u32_e64 s0, v35
	s_cbranch_execnz .LBB1049_214
.LBB1049_207:                           ;   in Loop: Header=BB1049_188 Depth=2
	s_wait_alu 0xfffe
	s_or_b32 exec_lo, exec_lo, s1
	s_delay_alu instid0(SALU_CYCLE_1)
	s_mov_b32 s1, exec_lo
	v_cmpx_gt_u32_e64 s0, v36
	s_cbranch_execnz .LBB1049_215
.LBB1049_208:                           ;   in Loop: Header=BB1049_188 Depth=2
	s_wait_alu 0xfffe
	s_or_b32 exec_lo, exec_lo, s1
	v_cmp_gt_u32_e32 vcc_lo, s0, v37
	s_and_saveexec_b32 s0, vcc_lo
	s_cbranch_execz .LBB1049_187
	s_branch .LBB1049_216
.LBB1049_209:                           ;   in Loop: Header=BB1049_188 Depth=2
	v_xor_b32_e32 v0, 0xffff8000, v5
	s_delay_alu instid0(VALU_DEP_1) | instskip(NEXT) | instid1(VALU_DEP_1)
	v_and_b32_e32 v0, 0xffff, v0
	v_lshrrev_b32_e32 v0, s23, v0
	s_delay_alu instid0(VALU_DEP_1) | instskip(NEXT) | instid1(VALU_DEP_1)
	v_and_b32_e32 v0, s42, v0
	v_lshl_or_b32 v0, v0, 4, v39
	ds_add_u32 v0, v63
	s_or_b32 exec_lo, exec_lo, s1
	s_delay_alu instid0(SALU_CYCLE_1)
	s_mov_b32 s1, exec_lo
	v_cmpx_gt_u32_e64 s0, v29
	s_cbranch_execz .LBB1049_203
.LBB1049_210:                           ;   in Loop: Header=BB1049_188 Depth=2
	v_lshrrev_b32_e32 v0, 16, v5
	s_delay_alu instid0(VALU_DEP_1) | instskip(NEXT) | instid1(VALU_DEP_1)
	v_xor_b32_e32 v0, 0xffff8000, v0
	v_and_b32_e32 v0, 0xffff, v0
	s_delay_alu instid0(VALU_DEP_1) | instskip(NEXT) | instid1(VALU_DEP_1)
	v_lshrrev_b32_e32 v0, s23, v0
	v_and_b32_e32 v0, s42, v0
	s_delay_alu instid0(VALU_DEP_1) | instskip(SKIP_3) | instid1(SALU_CYCLE_1)
	v_lshl_or_b32 v0, v0, 4, v39
	ds_add_u32 v0, v63
	s_wait_alu 0xfffe
	s_or_b32 exec_lo, exec_lo, s1
	s_mov_b32 s1, exec_lo
	v_cmpx_gt_u32_e64 s0, v30
	s_cbranch_execz .LBB1049_204
.LBB1049_211:                           ;   in Loop: Header=BB1049_188 Depth=2
	v_xor_b32_e32 v0, 0xffff8000, v6
	s_delay_alu instid0(VALU_DEP_1) | instskip(NEXT) | instid1(VALU_DEP_1)
	v_and_b32_e32 v0, 0xffff, v0
	v_lshrrev_b32_e32 v0, s23, v0
	s_delay_alu instid0(VALU_DEP_1) | instskip(NEXT) | instid1(VALU_DEP_1)
	v_and_b32_e32 v0, s42, v0
	v_lshl_or_b32 v0, v0, 4, v39
	ds_add_u32 v0, v63
	s_wait_alu 0xfffe
	s_or_b32 exec_lo, exec_lo, s1
	s_delay_alu instid0(SALU_CYCLE_1)
	s_mov_b32 s1, exec_lo
	v_cmpx_gt_u32_e64 s0, v31
	s_cbranch_execz .LBB1049_205
.LBB1049_212:                           ;   in Loop: Header=BB1049_188 Depth=2
	v_lshrrev_b32_e32 v0, 16, v6
	s_delay_alu instid0(VALU_DEP_1) | instskip(NEXT) | instid1(VALU_DEP_1)
	v_xor_b32_e32 v0, 0xffff8000, v0
	v_and_b32_e32 v0, 0xffff, v0
	s_delay_alu instid0(VALU_DEP_1) | instskip(NEXT) | instid1(VALU_DEP_1)
	v_lshrrev_b32_e32 v0, s23, v0
	v_and_b32_e32 v0, s42, v0
	s_delay_alu instid0(VALU_DEP_1) | instskip(SKIP_3) | instid1(SALU_CYCLE_1)
	v_lshl_or_b32 v0, v0, 4, v39
	ds_add_u32 v0, v63
	s_wait_alu 0xfffe
	s_or_b32 exec_lo, exec_lo, s1
	s_mov_b32 s1, exec_lo
	v_cmpx_gt_u32_e64 s0, v34
	s_cbranch_execz .LBB1049_206
.LBB1049_213:                           ;   in Loop: Header=BB1049_188 Depth=2
	v_xor_b32_e32 v0, 0xffff8000, v7
	s_delay_alu instid0(VALU_DEP_1) | instskip(NEXT) | instid1(VALU_DEP_1)
	v_and_b32_e32 v0, 0xffff, v0
	v_lshrrev_b32_e32 v0, s23, v0
	s_delay_alu instid0(VALU_DEP_1) | instskip(NEXT) | instid1(VALU_DEP_1)
	v_and_b32_e32 v0, s42, v0
	v_lshl_or_b32 v0, v0, 4, v39
	ds_add_u32 v0, v63
	s_wait_alu 0xfffe
	s_or_b32 exec_lo, exec_lo, s1
	s_delay_alu instid0(SALU_CYCLE_1)
	s_mov_b32 s1, exec_lo
	v_cmpx_gt_u32_e64 s0, v35
	s_cbranch_execz .LBB1049_207
.LBB1049_214:                           ;   in Loop: Header=BB1049_188 Depth=2
	v_lshrrev_b32_e32 v0, 16, v7
	s_delay_alu instid0(VALU_DEP_1) | instskip(NEXT) | instid1(VALU_DEP_1)
	v_xor_b32_e32 v0, 0xffff8000, v0
	v_and_b32_e32 v0, 0xffff, v0
	s_delay_alu instid0(VALU_DEP_1) | instskip(NEXT) | instid1(VALU_DEP_1)
	v_lshrrev_b32_e32 v0, s23, v0
	v_and_b32_e32 v0, s42, v0
	s_delay_alu instid0(VALU_DEP_1) | instskip(SKIP_3) | instid1(SALU_CYCLE_1)
	v_lshl_or_b32 v0, v0, 4, v39
	ds_add_u32 v0, v63
	s_wait_alu 0xfffe
	s_or_b32 exec_lo, exec_lo, s1
	s_mov_b32 s1, exec_lo
	v_cmpx_gt_u32_e64 s0, v36
	s_cbranch_execz .LBB1049_208
.LBB1049_215:                           ;   in Loop: Header=BB1049_188 Depth=2
	v_xor_b32_e32 v0, 0xffff8000, v8
	s_delay_alu instid0(VALU_DEP_1) | instskip(NEXT) | instid1(VALU_DEP_1)
	v_and_b32_e32 v0, 0xffff, v0
	v_lshrrev_b32_e32 v0, s23, v0
	s_delay_alu instid0(VALU_DEP_1) | instskip(NEXT) | instid1(VALU_DEP_1)
	v_and_b32_e32 v0, s42, v0
	v_lshl_or_b32 v0, v0, 4, v39
	ds_add_u32 v0, v63
	s_wait_alu 0xfffe
	s_or_b32 exec_lo, exec_lo, s1
	v_cmp_gt_u32_e32 vcc_lo, s0, v37
	s_and_saveexec_b32 s0, vcc_lo
	s_cbranch_execz .LBB1049_187
.LBB1049_216:                           ;   in Loop: Header=BB1049_188 Depth=2
	v_lshrrev_b32_e32 v0, 16, v8
	s_delay_alu instid0(VALU_DEP_1) | instskip(NEXT) | instid1(VALU_DEP_1)
	v_xor_b32_e32 v0, 0xffff8000, v0
	v_and_b32_e32 v0, 0xffff, v0
	s_delay_alu instid0(VALU_DEP_1) | instskip(NEXT) | instid1(VALU_DEP_1)
	v_lshrrev_b32_e32 v0, s23, v0
	v_and_b32_e32 v0, s42, v0
	s_delay_alu instid0(VALU_DEP_1)
	v_lshl_or_b32 v0, v0, 4, v39
	ds_add_u32 v0, v63
	s_branch .LBB1049_187
.LBB1049_217:                           ;   in Loop: Header=BB1049_188 Depth=2
	global_load_d16_b16 v5, v79, s[0:1]
	s_or_b32 exec_lo, exec_lo, s11
	s_delay_alu instid0(SALU_CYCLE_1)
	s_mov_b32 s11, exec_lo
	v_cmpx_gt_u32_e64 s9, v29
	s_cbranch_execz .LBB1049_193
.LBB1049_218:                           ;   in Loop: Header=BB1049_188 Depth=2
	s_wait_loadcnt 0x0
	global_load_d16_hi_b16 v5, v79, s[0:1] offset:512
	s_wait_alu 0xfffe
	s_or_b32 exec_lo, exec_lo, s11
	s_delay_alu instid0(SALU_CYCLE_1)
	s_mov_b32 s11, exec_lo
	v_cmpx_gt_u32_e64 s9, v30
	s_cbranch_execz .LBB1049_194
.LBB1049_219:                           ;   in Loop: Header=BB1049_188 Depth=2
	global_load_d16_b16 v6, v79, s[0:1] offset:1024
	s_wait_alu 0xfffe
	s_or_b32 exec_lo, exec_lo, s11
	s_delay_alu instid0(SALU_CYCLE_1)
	s_mov_b32 s11, exec_lo
	v_cmpx_gt_u32_e64 s9, v31
	s_cbranch_execz .LBB1049_195
.LBB1049_220:                           ;   in Loop: Header=BB1049_188 Depth=2
	s_wait_loadcnt 0x0
	global_load_d16_hi_b16 v6, v79, s[0:1] offset:1536
	s_wait_alu 0xfffe
	s_or_b32 exec_lo, exec_lo, s11
	s_delay_alu instid0(SALU_CYCLE_1)
	s_mov_b32 s11, exec_lo
	v_cmpx_gt_u32_e64 s9, v34
	s_cbranch_execz .LBB1049_196
.LBB1049_221:                           ;   in Loop: Header=BB1049_188 Depth=2
	global_load_d16_b16 v7, v79, s[0:1] offset:2048
	s_wait_alu 0xfffe
	s_or_b32 exec_lo, exec_lo, s11
	s_delay_alu instid0(SALU_CYCLE_1)
	s_mov_b32 s11, exec_lo
	v_cmpx_gt_u32_e64 s9, v35
	s_cbranch_execz .LBB1049_197
.LBB1049_222:                           ;   in Loop: Header=BB1049_188 Depth=2
	s_wait_loadcnt 0x0
	global_load_d16_hi_b16 v7, v79, s[0:1] offset:2560
	s_wait_alu 0xfffe
	s_or_b32 exec_lo, exec_lo, s11
	s_delay_alu instid0(SALU_CYCLE_1)
	s_mov_b32 s11, exec_lo
	v_cmpx_gt_u32_e64 s9, v36
	s_cbranch_execz .LBB1049_198
.LBB1049_223:                           ;   in Loop: Header=BB1049_188 Depth=2
	global_load_d16_b16 v8, v79, s[0:1] offset:3072
	s_wait_alu 0xfffe
	s_or_b32 exec_lo, exec_lo, s11
	s_delay_alu instid0(SALU_CYCLE_1)
	s_mov_b32 s11, exec_lo
	v_cmpx_gt_u32_e64 s9, v37
	s_cbranch_execnz .LBB1049_199
	s_branch .LBB1049_200
.LBB1049_224:                           ;   in Loop: Header=BB1049_20 Depth=1
	v_mov_b32_e32 v0, 0
	s_wait_dscnt 0x0
	s_barrier_signal -1
	s_barrier_wait -1
	global_inv scope:SCOPE_SE
	s_and_saveexec_b32 s0, s2
	s_cbranch_execz .LBB1049_226
; %bb.225:                              ;   in Loop: Header=BB1049_20 Depth=1
	ds_load_2addr_b64 v[5:8], v40 offset1:1
	s_wait_dscnt 0x0
	v_add_nc_u32_e32 v0, v6, v5
	s_delay_alu instid0(VALU_DEP_1)
	v_add3_u32 v0, v0, v7, v8
.LBB1049_226:                           ;   in Loop: Header=BB1049_20 Depth=1
	s_wait_alu 0xfffe
	s_or_b32 exec_lo, exec_lo, s0
	s_delay_alu instid0(VALU_DEP_1)
	v_mov_b32_dpp v2, v0 row_shr:1 row_mask:0xf bank_mask:0xf
	v_cmp_eq_u32_e64 s0, 0, v64
	v_cmp_lt_u32_e64 s1, 1, v64
	v_cmp_lt_u32_e64 s9, 3, v64
	;; [unrolled: 1-line block ×3, first 2 shown]
	v_cmp_eq_u32_e64 s11, 0, v66
	s_wait_alu 0xf1ff
	v_cndmask_b32_e64 v2, v2, 0, s0
	s_delay_alu instid0(VALU_DEP_1) | instskip(NEXT) | instid1(VALU_DEP_1)
	v_add_nc_u32_e32 v0, v2, v0
	v_mov_b32_dpp v2, v0 row_shr:2 row_mask:0xf bank_mask:0xf
	s_delay_alu instid0(VALU_DEP_1) | instskip(NEXT) | instid1(VALU_DEP_1)
	v_cndmask_b32_e64 v2, 0, v2, s1
	v_add_nc_u32_e32 v0, v0, v2
	s_delay_alu instid0(VALU_DEP_1) | instskip(NEXT) | instid1(VALU_DEP_1)
	v_mov_b32_dpp v2, v0 row_shr:4 row_mask:0xf bank_mask:0xf
	v_cndmask_b32_e64 v2, 0, v2, s9
	s_delay_alu instid0(VALU_DEP_1) | instskip(NEXT) | instid1(VALU_DEP_1)
	v_add_nc_u32_e32 v0, v0, v2
	v_mov_b32_dpp v2, v0 row_shr:8 row_mask:0xf bank_mask:0xf
	s_delay_alu instid0(VALU_DEP_1) | instskip(NEXT) | instid1(VALU_DEP_1)
	v_cndmask_b32_e64 v2, 0, v2, s10
	v_add_nc_u32_e32 v0, v0, v2
	ds_swizzle_b32 v2, v0 offset:swizzle(BROADCAST,32,15)
	s_wait_dscnt 0x0
	v_and_b32_e32 v2, v65, v2
	s_delay_alu instid0(VALU_DEP_1)
	v_add_nc_u32_e32 v0, v0, v2
	s_and_saveexec_b32 s12, s3
; %bb.227:                              ;   in Loop: Header=BB1049_20 Depth=1
	ds_store_b32 v41, v0
; %bb.228:                              ;   in Loop: Header=BB1049_20 Depth=1
	s_wait_alu 0xfffe
	s_or_b32 exec_lo, exec_lo, s12
	s_wait_loadcnt_dscnt 0x0
	s_barrier_signal -1
	s_barrier_wait -1
	global_inv scope:SCOPE_SE
	s_and_saveexec_b32 s12, s4
	s_cbranch_execz .LBB1049_230
; %bb.229:                              ;   in Loop: Header=BB1049_20 Depth=1
	ds_load_b32 v2, v42
	v_cmp_ne_u32_e32 vcc_lo, 0, v68
	s_wait_dscnt 0x0
	v_mov_b32_dpp v3, v2 row_shr:1 row_mask:0xf bank_mask:0xf
	s_wait_alu 0xfffd
	s_delay_alu instid0(VALU_DEP_1) | instskip(SKIP_1) | instid1(VALU_DEP_2)
	v_cndmask_b32_e32 v3, 0, v3, vcc_lo
	v_cmp_lt_u32_e32 vcc_lo, 1, v68
	v_add_nc_u32_e32 v2, v3, v2
	s_delay_alu instid0(VALU_DEP_1) | instskip(SKIP_1) | instid1(VALU_DEP_1)
	v_mov_b32_dpp v3, v2 row_shr:2 row_mask:0xf bank_mask:0xf
	s_wait_alu 0xfffd
	v_cndmask_b32_e32 v3, 0, v3, vcc_lo
	v_cmp_lt_u32_e32 vcc_lo, 3, v68
	s_delay_alu instid0(VALU_DEP_2) | instskip(NEXT) | instid1(VALU_DEP_1)
	v_add_nc_u32_e32 v2, v2, v3
	v_mov_b32_dpp v3, v2 row_shr:4 row_mask:0xf bank_mask:0xf
	s_wait_alu 0xfffd
	s_delay_alu instid0(VALU_DEP_1) | instskip(NEXT) | instid1(VALU_DEP_1)
	v_cndmask_b32_e32 v3, 0, v3, vcc_lo
	v_add_nc_u32_e32 v2, v2, v3
	ds_store_b32 v42, v2
.LBB1049_230:                           ;   in Loop: Header=BB1049_20 Depth=1
	s_wait_alu 0xfffe
	s_or_b32 exec_lo, exec_lo, s12
	v_mov_b32_e32 v2, 0
	s_wait_loadcnt_dscnt 0x0
	s_barrier_signal -1
	s_barrier_wait -1
	global_inv scope:SCOPE_SE
	s_and_saveexec_b32 s12, s5
; %bb.231:                              ;   in Loop: Header=BB1049_20 Depth=1
	ds_load_b32 v2, v44
; %bb.232:                              ;   in Loop: Header=BB1049_20 Depth=1
	s_wait_alu 0xfffe
	s_or_b32 exec_lo, exec_lo, s12
	v_cmp_gt_i32_e32 vcc_lo, 0, v69
	s_wait_dscnt 0x0
	v_add_nc_u32_e32 v0, v2, v0
	s_wait_loadcnt 0x0
	s_barrier_signal -1
	s_barrier_wait -1
	s_wait_alu 0xfffd
	v_cndmask_b32_e32 v3, v69, v60, vcc_lo
	global_inv scope:SCOPE_SE
	v_lshlrev_b32_e32 v84, 2, v3
	ds_bpermute_b32 v0, v84, v0
	s_and_saveexec_b32 s12, s2
	s_cbranch_execz .LBB1049_234
; %bb.233:                              ;   in Loop: Header=BB1049_20 Depth=1
	s_wait_dscnt 0x0
	v_cndmask_b32_e64 v0, v0, v2, s8
	s_delay_alu instid0(VALU_DEP_1)
	v_add_nc_u32_e32 v0, s33, v0
	ds_store_b32 v28, v0
.LBB1049_234:                           ;   in Loop: Header=BB1049_20 Depth=1
	s_wait_alu 0xfffe
	s_or_b32 exec_lo, exec_lo, s12
	s_load_b64 s[12:13], s[28:29], 0x0
	v_add_co_u32 v85, vcc_lo, v52, v70
	s_wait_alu 0xfffd
	v_add_co_ci_u32_e64 v86, null, 0, v53, vcc_lo
	v_add_co_u32 v87, vcc_lo, v54, v78
	s_wait_alu 0xfffd
	v_add_co_ci_u32_e64 v88, null, 0, v55, vcc_lo
	s_mov_b32 s43, s47
                                        ; implicit-def: $vgpr9_vgpr10
                                        ; implicit-def: $vgpr11_vgpr12
                                        ; implicit-def: $vgpr16_vgpr17
                                        ; implicit-def: $vgpr18_vgpr19
                                        ; implicit-def: $vgpr20_vgpr21
                                        ; implicit-def: $vgpr22_vgpr23
                                        ; implicit-def: $vgpr90
                                        ; implicit-def: $vgpr91
                                        ; implicit-def: $vgpr92
                                        ; implicit-def: $vgpr93
                                        ; implicit-def: $vgpr94
                                        ; implicit-def: $vgpr95
                                        ; implicit-def: $vgpr96
                                        ; implicit-def: $vgpr97
	s_wait_kmcnt 0x0
	s_cmp_lt_u32 ttmp7, s13
	s_cselect_b32 s30, 14, 20
	s_cmp_lt_u32 ttmp9, s12
	s_wait_alu 0xfffe
	s_add_nc_u64 s[14:15], s[28:29], s[30:31]
	s_cselect_b32 s30, 12, 18
	s_load_u16 s14, s[14:15], 0x0
	s_add_nc_u64 s[12:13], s[28:29], s[30:31]
	s_mov_b32 s30, s33
	s_load_u16 s12, s[12:13], 0x0
	v_cmp_lt_u32_e64 s13, 1, v68
	s_wait_dscnt 0x0
	s_wait_kmcnt 0x0
	v_mad_u32_u24 v0, v45, s14, v46
	v_cmp_lt_u32_e64 s14, 3, v68
	s_delay_alu instid0(VALU_DEP_2) | instskip(SKIP_1) | instid1(VALU_DEP_2)
	v_mad_co_u64_u32 v[2:3], null, v0, s12, v[13:14]
	v_cmp_eq_u32_e64 s12, 0, v68
                                        ; implicit-def: $vgpr14_vgpr15
	v_lshrrev_b32_e32 v0, 3, v2
                                        ; implicit-def: $vgpr2_vgpr3
	s_delay_alu instid0(VALU_DEP_1)
	v_and_b32_e32 v89, 0x1ffffffc, v0
	s_branch .LBB1049_236
.LBB1049_235:                           ;   in Loop: Header=BB1049_236 Depth=2
	s_wait_alu 0xfffe
	s_or_b32 exec_lo, exec_lo, s15
	s_addk_co_i32 s43, 0xf800
	s_cmp_lt_u32 s44, s34
	s_mov_b32 s30, s44
	s_cbranch_scc0 .LBB1049_348
.LBB1049_236:                           ;   Parent Loop BB1049_20 Depth=1
                                        ; =>  This Inner Loop Header: Depth=2
	s_wait_alu 0xfffe
	s_add_co_i32 s44, s30, 0x800
	s_wait_alu 0xfffe
	s_cmp_gt_u32 s44, s34
	s_cbranch_scc1 .LBB1049_238
; %bb.237:                              ;   in Loop: Header=BB1049_236 Depth=2
	s_lshl_b64 s[16:17], s[30:31], 1
	s_mov_b32 s15, -1
	s_wait_alu 0xfffe
	v_add_co_u32 v24, vcc_lo, v87, s16
	s_wait_alu 0xfffd
	v_add_co_ci_u32_e64 v25, null, s17, v88, vcc_lo
	s_clause 0x3
	global_load_u16 v5, v[24:25], off
	global_load_u16 v6, v[24:25], off offset:128
	global_load_u16 v7, v[24:25], off offset:256
	global_load_d16_b16 v8, v[24:25], off offset:384
	s_wait_loadcnt 0x3
	global_load_d16_hi_b16 v5, v[24:25], off offset:64
	s_wait_loadcnt 0x3
	global_load_d16_hi_b16 v6, v[24:25], off offset:192
	;; [unrolled: 2-line block ×3, first 2 shown]
	s_movk_i32 s16, 0x800
	s_cbranch_execz .LBB1049_239
	s_branch .LBB1049_248
.LBB1049_238:                           ;   in Loop: Header=BB1049_236 Depth=2
	s_mov_b32 s15, 0
                                        ; implicit-def: $vgpr5_vgpr6_vgpr7_vgpr8
	s_movk_i32 s16, 0x800
.LBB1049_239:                           ;   in Loop: Header=BB1049_236 Depth=2
	s_wait_loadcnt 0x0
	v_mov_b32_e32 v7, v4
	s_lshl_b64 s[16:17], s[30:31], 1
	v_dual_mov_b32 v5, v4 :: v_dual_mov_b32 v6, v4
	s_wait_alu 0xfffe
	v_add_co_u32 v24, vcc_lo, v87, s16
	v_mov_b32_e32 v8, v7
	s_wait_alu 0xfffd
	v_add_co_ci_u32_e64 v25, null, s17, v88, vcc_lo
	v_mov_b32_e32 v7, v6
	v_mov_b32_e32 v6, v5
	;; [unrolled: 1-line block ×3, first 2 shown]
	s_mov_b32 s15, exec_lo
	v_cmpx_gt_u32_e64 s43, v67
	s_cbranch_execnz .LBB1049_342
; %bb.240:                              ;   in Loop: Header=BB1049_236 Depth=2
	s_wait_alu 0xfffe
	s_or_b32 exec_lo, exec_lo, s15
	s_delay_alu instid0(SALU_CYCLE_1)
	s_mov_b32 s15, exec_lo
	v_cmpx_gt_u32_e64 s43, v71
	s_cbranch_execnz .LBB1049_343
.LBB1049_241:                           ;   in Loop: Header=BB1049_236 Depth=2
	s_wait_alu 0xfffe
	s_or_b32 exec_lo, exec_lo, s15
	s_delay_alu instid0(SALU_CYCLE_1)
	s_mov_b32 s15, exec_lo
	v_cmpx_gt_u32_e64 s43, v72
	s_cbranch_execnz .LBB1049_344
.LBB1049_242:                           ;   in Loop: Header=BB1049_236 Depth=2
	s_wait_alu 0xfffe
	s_or_b32 exec_lo, exec_lo, s15
	s_delay_alu instid0(SALU_CYCLE_1)
	s_mov_b32 s15, exec_lo
	v_cmpx_gt_u32_e64 s43, v73
	s_cbranch_execnz .LBB1049_345
.LBB1049_243:                           ;   in Loop: Header=BB1049_236 Depth=2
	s_wait_alu 0xfffe
	s_or_b32 exec_lo, exec_lo, s15
	s_delay_alu instid0(SALU_CYCLE_1)
	s_mov_b32 s15, exec_lo
	v_cmpx_gt_u32_e64 s43, v74
	s_cbranch_execnz .LBB1049_346
.LBB1049_244:                           ;   in Loop: Header=BB1049_236 Depth=2
	s_wait_alu 0xfffe
	s_or_b32 exec_lo, exec_lo, s15
	s_delay_alu instid0(SALU_CYCLE_1)
	s_mov_b32 s15, exec_lo
	v_cmpx_gt_u32_e64 s43, v75
	s_cbranch_execnz .LBB1049_347
.LBB1049_245:                           ;   in Loop: Header=BB1049_236 Depth=2
	s_wait_alu 0xfffe
	s_or_b32 exec_lo, exec_lo, s15
	s_delay_alu instid0(SALU_CYCLE_1)
	s_mov_b32 s15, exec_lo
	v_cmpx_gt_u32_e64 s43, v76
	s_cbranch_execz .LBB1049_247
.LBB1049_246:                           ;   in Loop: Header=BB1049_236 Depth=2
	global_load_d16_b16 v8, v[24:25], off offset:384
.LBB1049_247:                           ;   in Loop: Header=BB1049_236 Depth=2
	s_wait_alu 0xfffe
	s_or_b32 exec_lo, exec_lo, s15
	v_cmp_gt_u32_e64 s15, s43, v77
	s_sub_co_i32 s16, s34, s30
.LBB1049_248:                           ;   in Loop: Header=BB1049_236 Depth=2
	v_mov_b32_e32 v98, s43
	s_and_saveexec_b32 s17, s15
	s_cbranch_execz .LBB1049_250
; %bb.249:                              ;   in Loop: Header=BB1049_236 Depth=2
	s_lshl_b64 s[18:19], s[30:31], 1
	s_wait_alu 0xfffe
	v_mov_b32_e32 v98, s16
	v_add_co_u32 v24, vcc_lo, v87, s18
	s_wait_alu 0xfffd
	v_add_co_ci_u32_e64 v25, null, s19, v88, vcc_lo
	s_wait_loadcnt 0x0
	global_load_d16_hi_b16 v8, v[24:25], off offset:448
.LBB1049_250:                           ;   in Loop: Header=BB1049_236 Depth=2
	s_wait_alu 0xfffe
	s_or_b32 exec_lo, exec_lo, s17
	s_wait_loadcnt 0x0
	v_xor_b32_e32 v0, 0xffff8000, v5
	s_delay_alu instid0(VALU_DEP_1) | instskip(NEXT) | instid1(VALU_DEP_1)
	v_and_b32_e32 v24, 0xffff, v0
	v_lshrrev_b32_e32 v24, s23, v24
	s_delay_alu instid0(VALU_DEP_1) | instskip(NEXT) | instid1(VALU_DEP_1)
	v_and_b32_e32 v25, s42, v24
	v_and_b32_e32 v24, 1, v25
	v_lshlrev_b32_e32 v26, 30, v25
	v_lshlrev_b32_e32 v27, 29, v25
	;; [unrolled: 1-line block ×4, first 2 shown]
	v_add_co_u32 v24, s15, v24, -1
	s_wait_alu 0xf1ff
	v_cndmask_b32_e64 v100, 0, 1, s15
	v_not_b32_e32 v104, v26
	v_cmp_gt_i32_e64 s15, 0, v26
	v_not_b32_e32 v26, v27
	v_lshlrev_b32_e32 v102, 26, v25
	v_cmp_ne_u32_e32 vcc_lo, 0, v100
	v_ashrrev_i32_e32 v104, 31, v104
	v_lshlrev_b32_e32 v103, 25, v25
	v_ashrrev_i32_e32 v26, 31, v26
	v_lshlrev_b32_e32 v100, 24, v25
	s_wait_alu 0xfffd
	v_xor_b32_e32 v24, vcc_lo, v24
	v_cmp_gt_i32_e32 vcc_lo, 0, v27
	v_not_b32_e32 v27, v99
	s_wait_alu 0xf1ff
	v_xor_b32_e32 v104, s15, v104
	v_cmp_gt_i32_e64 s15, 0, v99
	v_and_b32_e32 v24, exec_lo, v24
	v_not_b32_e32 v99, v101
	v_ashrrev_i32_e32 v27, 31, v27
	s_wait_alu 0xfffd
	v_xor_b32_e32 v26, vcc_lo, v26
	v_cmp_gt_i32_e32 vcc_lo, 0, v101
	v_and_b32_e32 v24, v24, v104
	v_not_b32_e32 v101, v102
	v_ashrrev_i32_e32 v99, 31, v99
	s_wait_alu 0xf1ff
	v_xor_b32_e32 v27, s15, v27
	v_cmp_gt_i32_e64 s15, 0, v102
	v_and_b32_e32 v24, v24, v26
	v_not_b32_e32 v26, v103
	v_ashrrev_i32_e32 v101, 31, v101
	s_wait_alu 0xfffd
	v_xor_b32_e32 v99, vcc_lo, v99
	v_cmp_gt_i32_e32 vcc_lo, 0, v103
	v_and_b32_e32 v24, v24, v27
	v_not_b32_e32 v27, v100
	v_ashrrev_i32_e32 v26, 31, v26
	s_wait_alu 0xf1ff
	v_xor_b32_e32 v101, s15, v101
	v_cmp_gt_i32_e64 s15, 0, v100
	v_and_b32_e32 v24, v24, v99
	v_ashrrev_i32_e32 v27, 31, v27
	s_wait_alu 0xfffd
	v_xor_b32_e32 v26, vcc_lo, v26
	v_mul_u32_u24_e32 v25, 36, v25
	v_add_nc_u32_e32 v102, 0x420, v43
	v_and_b32_e32 v24, v24, v101
	s_wait_alu 0xf1ff
	v_xor_b32_e32 v27, s15, v27
	v_add_nc_u32_e32 v101, 0x438, v43
	v_add_nc_u32_e32 v103, 0x428, v43
	;; [unrolled: 1-line block ×3, first 2 shown]
	v_and_b32_e32 v24, v24, v26
	v_add_nc_u32_e32 v105, v89, v25
	ds_store_2addr_b32 v101, v1, v1 offset1:1
	ds_store_2addr_b32 v102, v1, v1 offset1:1
	;; [unrolled: 1-line block ×4, first 2 shown]
	ds_store_b32 v43, v1 offset:1088
	s_wait_dscnt 0x0
	v_and_b32_e32 v24, v24, v27
	s_barrier_signal -1
	s_barrier_wait -1
	global_inv scope:SCOPE_SE
	v_mbcnt_lo_u32_b32 v99, v24, 0
	v_cmp_ne_u32_e64 s15, 0, v24
	; wave barrier
	s_delay_alu instid0(VALU_DEP_2)
	v_cmp_eq_u32_e32 vcc_lo, 0, v99
	s_and_b32 s16, s15, vcc_lo
	s_wait_alu 0xfffe
	s_and_saveexec_b32 s15, s16
; %bb.251:                              ;   in Loop: Header=BB1049_236 Depth=2
	v_bcnt_u32_b32 v24, v24, 0
	ds_store_b32 v105, v24 offset:1056
; %bb.252:                              ;   in Loop: Header=BB1049_236 Depth=2
	s_wait_alu 0xfffe
	s_or_b32 exec_lo, exec_lo, s15
	v_lshrrev_b32_e32 v5, 16, v5
	; wave barrier
	s_delay_alu instid0(VALU_DEP_1) | instskip(NEXT) | instid1(VALU_DEP_1)
	v_xor_b32_e32 v100, 0xffff8000, v5
	v_and_b32_e32 v5, 0xffff, v100
	s_delay_alu instid0(VALU_DEP_1) | instskip(NEXT) | instid1(VALU_DEP_1)
	v_lshrrev_b32_e32 v5, s23, v5
	v_and_b32_e32 v24, s42, v5
	s_delay_alu instid0(VALU_DEP_1)
	v_and_b32_e32 v5, 1, v24
	v_lshlrev_b32_e32 v25, 30, v24
	v_lshlrev_b32_e32 v26, 29, v24
	;; [unrolled: 1-line block ×4, first 2 shown]
	v_add_co_u32 v5, s15, v5, -1
	s_wait_alu 0xf1ff
	v_cndmask_b32_e64 v106, 0, 1, s15
	v_not_b32_e32 v110, v25
	v_cmp_gt_i32_e64 s15, 0, v25
	v_not_b32_e32 v25, v26
	v_lshlrev_b32_e32 v108, 26, v24
	v_cmp_ne_u32_e32 vcc_lo, 0, v106
	v_ashrrev_i32_e32 v110, 31, v110
	v_lshlrev_b32_e32 v109, 25, v24
	v_ashrrev_i32_e32 v25, 31, v25
	v_lshlrev_b32_e32 v106, 24, v24
	s_wait_alu 0xfffd
	v_xor_b32_e32 v5, vcc_lo, v5
	v_cmp_gt_i32_e32 vcc_lo, 0, v26
	v_not_b32_e32 v26, v27
	s_wait_alu 0xf1ff
	v_xor_b32_e32 v110, s15, v110
	v_cmp_gt_i32_e64 s15, 0, v27
	v_and_b32_e32 v5, exec_lo, v5
	v_not_b32_e32 v27, v107
	v_ashrrev_i32_e32 v26, 31, v26
	s_wait_alu 0xfffd
	v_xor_b32_e32 v25, vcc_lo, v25
	v_cmp_gt_i32_e32 vcc_lo, 0, v107
	v_and_b32_e32 v5, v5, v110
	v_not_b32_e32 v107, v108
	v_ashrrev_i32_e32 v27, 31, v27
	s_wait_alu 0xf1ff
	v_xor_b32_e32 v26, s15, v26
	v_cmp_gt_i32_e64 s15, 0, v108
	v_and_b32_e32 v5, v5, v25
	v_not_b32_e32 v25, v109
	v_ashrrev_i32_e32 v107, 31, v107
	s_wait_alu 0xfffd
	v_xor_b32_e32 v27, vcc_lo, v27
	v_cmp_gt_i32_e32 vcc_lo, 0, v109
	v_and_b32_e32 v5, v5, v26
	v_not_b32_e32 v26, v106
	v_ashrrev_i32_e32 v25, 31, v25
	s_wait_alu 0xf1ff
	v_xor_b32_e32 v107, s15, v107
	v_cmp_gt_i32_e64 s15, 0, v106
	v_and_b32_e32 v5, v5, v27
	v_ashrrev_i32_e32 v26, 31, v26
	s_wait_alu 0xfffd
	v_xor_b32_e32 v25, vcc_lo, v25
	v_mad_u32_u24 v27, v24, 36, v89
	v_mul_u32_u24_e32 v24, 36, v24
	v_and_b32_e32 v5, v5, v107
	s_wait_alu 0xf1ff
	v_xor_b32_e32 v26, s15, v26
	ds_load_b32 v106, v27 offset:1056
	v_add_nc_u32_e32 v109, v89, v24
	v_and_b32_e32 v5, v5, v25
	; wave barrier
	s_delay_alu instid0(VALU_DEP_1) | instskip(NEXT) | instid1(VALU_DEP_1)
	v_and_b32_e32 v5, v5, v26
	v_mbcnt_lo_u32_b32 v107, v5, 0
	v_cmp_ne_u32_e64 s15, 0, v5
	s_delay_alu instid0(VALU_DEP_2)
	v_cmp_eq_u32_e32 vcc_lo, 0, v107
	s_and_b32 s16, s15, vcc_lo
	s_wait_alu 0xfffe
	s_and_saveexec_b32 s15, s16
	s_cbranch_execz .LBB1049_254
; %bb.253:                              ;   in Loop: Header=BB1049_236 Depth=2
	s_wait_dscnt 0x0
	v_bcnt_u32_b32 v5, v5, v106
	ds_store_b32 v109, v5 offset:1056
.LBB1049_254:                           ;   in Loop: Header=BB1049_236 Depth=2
	s_wait_alu 0xfffe
	s_or_b32 exec_lo, exec_lo, s15
	v_xor_b32_e32 v108, 0xffff8000, v6
	; wave barrier
	s_delay_alu instid0(VALU_DEP_1) | instskip(NEXT) | instid1(VALU_DEP_1)
	v_and_b32_e32 v5, 0xffff, v108
	v_lshrrev_b32_e32 v5, s23, v5
	s_delay_alu instid0(VALU_DEP_1) | instskip(NEXT) | instid1(VALU_DEP_1)
	v_and_b32_e32 v24, s42, v5
	v_and_b32_e32 v5, 1, v24
	v_lshlrev_b32_e32 v25, 30, v24
	v_lshlrev_b32_e32 v26, 29, v24
	;; [unrolled: 1-line block ×4, first 2 shown]
	v_add_co_u32 v5, s15, v5, -1
	s_wait_alu 0xf1ff
	v_cndmask_b32_e64 v110, 0, 1, s15
	v_not_b32_e32 v114, v25
	v_cmp_gt_i32_e64 s15, 0, v25
	v_not_b32_e32 v25, v26
	v_lshlrev_b32_e32 v112, 26, v24
	v_cmp_ne_u32_e32 vcc_lo, 0, v110
	v_ashrrev_i32_e32 v114, 31, v114
	v_lshlrev_b32_e32 v113, 25, v24
	v_ashrrev_i32_e32 v25, 31, v25
	v_lshlrev_b32_e32 v110, 24, v24
	s_wait_alu 0xfffd
	v_xor_b32_e32 v5, vcc_lo, v5
	v_cmp_gt_i32_e32 vcc_lo, 0, v26
	v_not_b32_e32 v26, v27
	s_wait_alu 0xf1ff
	v_xor_b32_e32 v114, s15, v114
	v_cmp_gt_i32_e64 s15, 0, v27
	v_and_b32_e32 v5, exec_lo, v5
	v_not_b32_e32 v27, v111
	v_ashrrev_i32_e32 v26, 31, v26
	s_wait_alu 0xfffd
	v_xor_b32_e32 v25, vcc_lo, v25
	v_cmp_gt_i32_e32 vcc_lo, 0, v111
	v_and_b32_e32 v5, v5, v114
	v_not_b32_e32 v111, v112
	v_ashrrev_i32_e32 v27, 31, v27
	s_wait_alu 0xf1ff
	v_xor_b32_e32 v26, s15, v26
	v_cmp_gt_i32_e64 s15, 0, v112
	v_and_b32_e32 v5, v5, v25
	v_not_b32_e32 v25, v113
	v_ashrrev_i32_e32 v111, 31, v111
	s_wait_alu 0xfffd
	v_xor_b32_e32 v27, vcc_lo, v27
	v_cmp_gt_i32_e32 vcc_lo, 0, v113
	v_and_b32_e32 v5, v5, v26
	v_not_b32_e32 v26, v110
	v_ashrrev_i32_e32 v25, 31, v25
	s_wait_alu 0xf1ff
	v_xor_b32_e32 v111, s15, v111
	v_cmp_gt_i32_e64 s15, 0, v110
	v_and_b32_e32 v5, v5, v27
	v_ashrrev_i32_e32 v26, 31, v26
	s_wait_alu 0xfffd
	v_xor_b32_e32 v25, vcc_lo, v25
	v_mad_u32_u24 v27, v24, 36, v89
	v_mul_u32_u24_e32 v24, 36, v24
	v_and_b32_e32 v5, v5, v111
	s_wait_alu 0xf1ff
	v_xor_b32_e32 v26, s15, v26
	ds_load_b32 v110, v27 offset:1056
	v_add_nc_u32_e32 v113, v89, v24
	v_and_b32_e32 v5, v5, v25
	; wave barrier
	s_delay_alu instid0(VALU_DEP_1) | instskip(NEXT) | instid1(VALU_DEP_1)
	v_and_b32_e32 v5, v5, v26
	v_mbcnt_lo_u32_b32 v112, v5, 0
	v_cmp_ne_u32_e64 s15, 0, v5
	s_delay_alu instid0(VALU_DEP_2)
	v_cmp_eq_u32_e32 vcc_lo, 0, v112
	s_and_b32 s16, s15, vcc_lo
	s_wait_alu 0xfffe
	s_and_saveexec_b32 s15, s16
	s_cbranch_execz .LBB1049_256
; %bb.255:                              ;   in Loop: Header=BB1049_236 Depth=2
	s_wait_dscnt 0x0
	v_bcnt_u32_b32 v5, v5, v110
	ds_store_b32 v113, v5 offset:1056
.LBB1049_256:                           ;   in Loop: Header=BB1049_236 Depth=2
	s_wait_alu 0xfffe
	s_or_b32 exec_lo, exec_lo, s15
	v_lshrrev_b32_e32 v5, 16, v6
	; wave barrier
	s_delay_alu instid0(VALU_DEP_1) | instskip(NEXT) | instid1(VALU_DEP_1)
	v_xor_b32_e32 v111, 0xffff8000, v5
	v_and_b32_e32 v5, 0xffff, v111
	s_delay_alu instid0(VALU_DEP_1) | instskip(NEXT) | instid1(VALU_DEP_1)
	v_lshrrev_b32_e32 v5, s23, v5
	v_and_b32_e32 v6, s42, v5
	s_delay_alu instid0(VALU_DEP_1)
	v_and_b32_e32 v5, 1, v6
	v_lshlrev_b32_e32 v24, 30, v6
	v_lshlrev_b32_e32 v25, 29, v6
	;; [unrolled: 1-line block ×4, first 2 shown]
	v_add_co_u32 v5, s15, v5, -1
	s_wait_alu 0xf1ff
	v_cndmask_b32_e64 v27, 0, 1, s15
	v_not_b32_e32 v117, v24
	v_cmp_gt_i32_e64 s15, 0, v24
	v_not_b32_e32 v24, v25
	v_lshlrev_b32_e32 v115, 26, v6
	v_cmp_ne_u32_e32 vcc_lo, 0, v27
	v_ashrrev_i32_e32 v117, 31, v117
	v_lshlrev_b32_e32 v116, 25, v6
	v_ashrrev_i32_e32 v24, 31, v24
	v_lshlrev_b32_e32 v27, 24, v6
	s_wait_alu 0xfffd
	v_xor_b32_e32 v5, vcc_lo, v5
	v_cmp_gt_i32_e32 vcc_lo, 0, v25
	v_not_b32_e32 v25, v26
	s_wait_alu 0xf1ff
	v_xor_b32_e32 v117, s15, v117
	v_cmp_gt_i32_e64 s15, 0, v26
	v_and_b32_e32 v5, exec_lo, v5
	v_not_b32_e32 v26, v114
	v_ashrrev_i32_e32 v25, 31, v25
	s_wait_alu 0xfffd
	v_xor_b32_e32 v24, vcc_lo, v24
	v_cmp_gt_i32_e32 vcc_lo, 0, v114
	v_and_b32_e32 v5, v5, v117
	v_not_b32_e32 v114, v115
	v_ashrrev_i32_e32 v26, 31, v26
	s_wait_alu 0xf1ff
	v_xor_b32_e32 v25, s15, v25
	v_cmp_gt_i32_e64 s15, 0, v115
	v_and_b32_e32 v5, v5, v24
	v_not_b32_e32 v24, v116
	v_ashrrev_i32_e32 v114, 31, v114
	s_wait_alu 0xfffd
	v_xor_b32_e32 v26, vcc_lo, v26
	v_cmp_gt_i32_e32 vcc_lo, 0, v116
	v_and_b32_e32 v5, v5, v25
	v_not_b32_e32 v25, v27
	v_ashrrev_i32_e32 v24, 31, v24
	s_wait_alu 0xf1ff
	v_xor_b32_e32 v114, s15, v114
	v_cmp_gt_i32_e64 s15, 0, v27
	v_and_b32_e32 v5, v5, v26
	v_ashrrev_i32_e32 v25, 31, v25
	s_wait_alu 0xfffd
	v_xor_b32_e32 v24, vcc_lo, v24
	v_mad_u32_u24 v26, v6, 36, v89
	v_mul_u32_u24_e32 v6, 36, v6
	v_and_b32_e32 v5, v5, v114
	s_wait_alu 0xf1ff
	v_xor_b32_e32 v25, s15, v25
	ds_load_b32 v114, v26 offset:1056
	v_add_nc_u32_e32 v117, v89, v6
	v_and_b32_e32 v5, v5, v24
	; wave barrier
	s_delay_alu instid0(VALU_DEP_1) | instskip(NEXT) | instid1(VALU_DEP_1)
	v_and_b32_e32 v5, v5, v25
	v_mbcnt_lo_u32_b32 v116, v5, 0
	v_cmp_ne_u32_e64 s15, 0, v5
	s_delay_alu instid0(VALU_DEP_2)
	v_cmp_eq_u32_e32 vcc_lo, 0, v116
	s_and_b32 s16, s15, vcc_lo
	s_wait_alu 0xfffe
	s_and_saveexec_b32 s15, s16
	s_cbranch_execz .LBB1049_258
; %bb.257:                              ;   in Loop: Header=BB1049_236 Depth=2
	s_wait_dscnt 0x0
	v_bcnt_u32_b32 v5, v5, v114
	ds_store_b32 v117, v5 offset:1056
.LBB1049_258:                           ;   in Loop: Header=BB1049_236 Depth=2
	s_wait_alu 0xfffe
	s_or_b32 exec_lo, exec_lo, s15
	v_xor_b32_e32 v115, 0xffff8000, v7
	; wave barrier
	s_delay_alu instid0(VALU_DEP_1) | instskip(NEXT) | instid1(VALU_DEP_1)
	v_and_b32_e32 v5, 0xffff, v115
	v_lshrrev_b32_e32 v5, s23, v5
	s_delay_alu instid0(VALU_DEP_1) | instskip(NEXT) | instid1(VALU_DEP_1)
	v_and_b32_e32 v6, s42, v5
	v_and_b32_e32 v5, 1, v6
	v_lshlrev_b32_e32 v24, 30, v6
	v_lshlrev_b32_e32 v25, 29, v6
	;; [unrolled: 1-line block ×4, first 2 shown]
	v_add_co_u32 v5, s15, v5, -1
	s_wait_alu 0xf1ff
	v_cndmask_b32_e64 v27, 0, 1, s15
	v_not_b32_e32 v121, v24
	v_cmp_gt_i32_e64 s15, 0, v24
	v_not_b32_e32 v24, v25
	v_lshlrev_b32_e32 v119, 26, v6
	v_cmp_ne_u32_e32 vcc_lo, 0, v27
	v_ashrrev_i32_e32 v121, 31, v121
	v_lshlrev_b32_e32 v120, 25, v6
	v_ashrrev_i32_e32 v24, 31, v24
	v_lshlrev_b32_e32 v27, 24, v6
	s_wait_alu 0xfffd
	v_xor_b32_e32 v5, vcc_lo, v5
	v_cmp_gt_i32_e32 vcc_lo, 0, v25
	v_not_b32_e32 v25, v26
	s_wait_alu 0xf1ff
	v_xor_b32_e32 v121, s15, v121
	v_cmp_gt_i32_e64 s15, 0, v26
	v_and_b32_e32 v5, exec_lo, v5
	v_not_b32_e32 v26, v118
	v_ashrrev_i32_e32 v25, 31, v25
	s_wait_alu 0xfffd
	v_xor_b32_e32 v24, vcc_lo, v24
	v_cmp_gt_i32_e32 vcc_lo, 0, v118
	v_and_b32_e32 v5, v5, v121
	v_not_b32_e32 v118, v119
	v_ashrrev_i32_e32 v26, 31, v26
	s_wait_alu 0xf1ff
	v_xor_b32_e32 v25, s15, v25
	v_cmp_gt_i32_e64 s15, 0, v119
	v_and_b32_e32 v5, v5, v24
	v_not_b32_e32 v24, v120
	v_ashrrev_i32_e32 v118, 31, v118
	s_wait_alu 0xfffd
	v_xor_b32_e32 v26, vcc_lo, v26
	v_cmp_gt_i32_e32 vcc_lo, 0, v120
	v_and_b32_e32 v5, v5, v25
	v_not_b32_e32 v25, v27
	v_ashrrev_i32_e32 v24, 31, v24
	s_wait_alu 0xf1ff
	v_xor_b32_e32 v118, s15, v118
	v_cmp_gt_i32_e64 s15, 0, v27
	v_and_b32_e32 v5, v5, v26
	v_ashrrev_i32_e32 v25, 31, v25
	s_wait_alu 0xfffd
	v_xor_b32_e32 v24, vcc_lo, v24
	v_mad_u32_u24 v26, v6, 36, v89
	v_mul_u32_u24_e32 v6, 36, v6
	v_and_b32_e32 v5, v5, v118
	s_wait_alu 0xf1ff
	v_xor_b32_e32 v25, s15, v25
	ds_load_b32 v118, v26 offset:1056
	v_add_nc_u32_e32 v121, v89, v6
	v_and_b32_e32 v5, v5, v24
	; wave barrier
	s_delay_alu instid0(VALU_DEP_1) | instskip(NEXT) | instid1(VALU_DEP_1)
	v_and_b32_e32 v5, v5, v25
	v_mbcnt_lo_u32_b32 v120, v5, 0
	v_cmp_ne_u32_e64 s15, 0, v5
	s_delay_alu instid0(VALU_DEP_2)
	v_cmp_eq_u32_e32 vcc_lo, 0, v120
	s_and_b32 s16, s15, vcc_lo
	s_wait_alu 0xfffe
	s_and_saveexec_b32 s15, s16
	s_cbranch_execz .LBB1049_260
; %bb.259:                              ;   in Loop: Header=BB1049_236 Depth=2
	s_wait_dscnt 0x0
	v_bcnt_u32_b32 v5, v5, v118
	ds_store_b32 v121, v5 offset:1056
.LBB1049_260:                           ;   in Loop: Header=BB1049_236 Depth=2
	s_wait_alu 0xfffe
	s_or_b32 exec_lo, exec_lo, s15
	v_lshrrev_b32_e32 v5, 16, v7
	; wave barrier
	s_delay_alu instid0(VALU_DEP_1) | instskip(NEXT) | instid1(VALU_DEP_1)
	v_xor_b32_e32 v119, 0xffff8000, v5
	v_and_b32_e32 v5, 0xffff, v119
	s_delay_alu instid0(VALU_DEP_1) | instskip(NEXT) | instid1(VALU_DEP_1)
	v_lshrrev_b32_e32 v5, s23, v5
	v_and_b32_e32 v6, s42, v5
	s_delay_alu instid0(VALU_DEP_1)
	v_and_b32_e32 v5, 1, v6
	v_lshlrev_b32_e32 v7, 30, v6
	v_lshlrev_b32_e32 v24, 29, v6
	v_lshlrev_b32_e32 v25, 28, v6
	v_lshlrev_b32_e32 v27, 27, v6
	v_add_co_u32 v5, s15, v5, -1
	s_wait_alu 0xf1ff
	v_cndmask_b32_e64 v26, 0, 1, s15
	v_not_b32_e32 v124, v7
	v_cmp_gt_i32_e64 s15, 0, v7
	v_not_b32_e32 v7, v24
	v_lshlrev_b32_e32 v122, 26, v6
	v_cmp_ne_u32_e32 vcc_lo, 0, v26
	v_ashrrev_i32_e32 v124, 31, v124
	v_lshlrev_b32_e32 v123, 25, v6
	v_ashrrev_i32_e32 v7, 31, v7
	v_lshlrev_b32_e32 v26, 24, v6
	s_wait_alu 0xfffd
	v_xor_b32_e32 v5, vcc_lo, v5
	v_cmp_gt_i32_e32 vcc_lo, 0, v24
	v_not_b32_e32 v24, v25
	s_wait_alu 0xf1ff
	v_xor_b32_e32 v124, s15, v124
	v_cmp_gt_i32_e64 s15, 0, v25
	v_and_b32_e32 v5, exec_lo, v5
	v_not_b32_e32 v25, v27
	v_ashrrev_i32_e32 v24, 31, v24
	s_wait_alu 0xfffd
	v_xor_b32_e32 v7, vcc_lo, v7
	v_cmp_gt_i32_e32 vcc_lo, 0, v27
	v_and_b32_e32 v5, v5, v124
	v_not_b32_e32 v27, v122
	v_ashrrev_i32_e32 v25, 31, v25
	s_wait_alu 0xf1ff
	v_xor_b32_e32 v24, s15, v24
	v_cmp_gt_i32_e64 s15, 0, v122
	v_and_b32_e32 v5, v5, v7
	v_not_b32_e32 v7, v123
	v_ashrrev_i32_e32 v27, 31, v27
	s_wait_alu 0xfffd
	v_xor_b32_e32 v25, vcc_lo, v25
	v_cmp_gt_i32_e32 vcc_lo, 0, v123
	v_and_b32_e32 v5, v5, v24
	v_not_b32_e32 v24, v26
	v_ashrrev_i32_e32 v7, 31, v7
	s_wait_alu 0xf1ff
	v_xor_b32_e32 v27, s15, v27
	v_cmp_gt_i32_e64 s15, 0, v26
	v_and_b32_e32 v5, v5, v25
	v_ashrrev_i32_e32 v24, 31, v24
	s_wait_alu 0xfffd
	v_xor_b32_e32 v7, vcc_lo, v7
	v_mad_u32_u24 v25, v6, 36, v89
	v_mul_u32_u24_e32 v6, 36, v6
	v_and_b32_e32 v5, v5, v27
	s_wait_alu 0xf1ff
	v_xor_b32_e32 v24, s15, v24
	ds_load_b32 v122, v25 offset:1056
	v_add_nc_u32_e32 v125, v89, v6
	v_and_b32_e32 v5, v5, v7
	; wave barrier
	s_delay_alu instid0(VALU_DEP_1) | instskip(NEXT) | instid1(VALU_DEP_1)
	v_and_b32_e32 v5, v5, v24
	v_mbcnt_lo_u32_b32 v124, v5, 0
	v_cmp_ne_u32_e64 s15, 0, v5
	s_delay_alu instid0(VALU_DEP_2)
	v_cmp_eq_u32_e32 vcc_lo, 0, v124
	s_and_b32 s16, s15, vcc_lo
	s_wait_alu 0xfffe
	s_and_saveexec_b32 s15, s16
	s_cbranch_execz .LBB1049_262
; %bb.261:                              ;   in Loop: Header=BB1049_236 Depth=2
	s_wait_dscnt 0x0
	v_bcnt_u32_b32 v5, v5, v122
	ds_store_b32 v125, v5 offset:1056
.LBB1049_262:                           ;   in Loop: Header=BB1049_236 Depth=2
	s_wait_alu 0xfffe
	s_or_b32 exec_lo, exec_lo, s15
	v_xor_b32_e32 v123, 0xffff8000, v8
	; wave barrier
	s_delay_alu instid0(VALU_DEP_1) | instskip(NEXT) | instid1(VALU_DEP_1)
	v_and_b32_e32 v5, 0xffff, v123
	v_lshrrev_b32_e32 v5, s23, v5
	s_delay_alu instid0(VALU_DEP_1) | instskip(NEXT) | instid1(VALU_DEP_1)
	v_and_b32_e32 v6, s42, v5
	v_and_b32_e32 v5, 1, v6
	v_lshlrev_b32_e32 v7, 30, v6
	v_lshlrev_b32_e32 v24, 29, v6
	;; [unrolled: 1-line block ×4, first 2 shown]
	v_add_co_u32 v5, s15, v5, -1
	s_wait_alu 0xf1ff
	v_cndmask_b32_e64 v26, 0, 1, s15
	v_not_b32_e32 v128, v7
	v_cmp_gt_i32_e64 s15, 0, v7
	v_not_b32_e32 v7, v24
	v_lshlrev_b32_e32 v126, 26, v6
	v_cmp_ne_u32_e32 vcc_lo, 0, v26
	v_ashrrev_i32_e32 v128, 31, v128
	v_lshlrev_b32_e32 v127, 25, v6
	v_ashrrev_i32_e32 v7, 31, v7
	v_lshlrev_b32_e32 v26, 24, v6
	s_wait_alu 0xfffd
	v_xor_b32_e32 v5, vcc_lo, v5
	v_cmp_gt_i32_e32 vcc_lo, 0, v24
	v_not_b32_e32 v24, v25
	s_wait_alu 0xf1ff
	v_xor_b32_e32 v128, s15, v128
	v_cmp_gt_i32_e64 s15, 0, v25
	v_and_b32_e32 v5, exec_lo, v5
	v_not_b32_e32 v25, v27
	v_ashrrev_i32_e32 v24, 31, v24
	s_wait_alu 0xfffd
	v_xor_b32_e32 v7, vcc_lo, v7
	v_cmp_gt_i32_e32 vcc_lo, 0, v27
	v_and_b32_e32 v5, v5, v128
	v_not_b32_e32 v27, v126
	v_ashrrev_i32_e32 v25, 31, v25
	s_wait_alu 0xf1ff
	v_xor_b32_e32 v24, s15, v24
	v_cmp_gt_i32_e64 s15, 0, v126
	v_and_b32_e32 v5, v5, v7
	v_not_b32_e32 v7, v127
	v_ashrrev_i32_e32 v27, 31, v27
	s_wait_alu 0xfffd
	v_xor_b32_e32 v25, vcc_lo, v25
	v_cmp_gt_i32_e32 vcc_lo, 0, v127
	v_and_b32_e32 v5, v5, v24
	v_not_b32_e32 v24, v26
	v_ashrrev_i32_e32 v7, 31, v7
	s_wait_alu 0xf1ff
	v_xor_b32_e32 v27, s15, v27
	v_cmp_gt_i32_e64 s15, 0, v26
	v_and_b32_e32 v5, v5, v25
	v_ashrrev_i32_e32 v24, 31, v24
	s_wait_alu 0xfffd
	v_xor_b32_e32 v7, vcc_lo, v7
	v_mad_u32_u24 v25, v6, 36, v89
	v_mul_u32_u24_e32 v6, 36, v6
	v_and_b32_e32 v5, v5, v27
	s_wait_alu 0xf1ff
	v_xor_b32_e32 v24, s15, v24
	ds_load_b32 v126, v25 offset:1056
	v_add_nc_u32_e32 v129, v89, v6
	v_and_b32_e32 v5, v5, v7
	; wave barrier
	s_delay_alu instid0(VALU_DEP_1) | instskip(NEXT) | instid1(VALU_DEP_1)
	v_and_b32_e32 v5, v5, v24
	v_mbcnt_lo_u32_b32 v127, v5, 0
	v_cmp_ne_u32_e64 s15, 0, v5
	s_delay_alu instid0(VALU_DEP_2)
	v_cmp_eq_u32_e32 vcc_lo, 0, v127
	s_and_b32 s16, s15, vcc_lo
	s_wait_alu 0xfffe
	s_and_saveexec_b32 s15, s16
	s_cbranch_execz .LBB1049_264
; %bb.263:                              ;   in Loop: Header=BB1049_236 Depth=2
	s_wait_dscnt 0x0
	v_bcnt_u32_b32 v5, v5, v126
	ds_store_b32 v129, v5 offset:1056
.LBB1049_264:                           ;   in Loop: Header=BB1049_236 Depth=2
	s_wait_alu 0xfffe
	s_or_b32 exec_lo, exec_lo, s15
	v_lshrrev_b32_e32 v5, 16, v8
	; wave barrier
	s_delay_alu instid0(VALU_DEP_1) | instskip(NEXT) | instid1(VALU_DEP_1)
	v_xor_b32_e32 v128, 0xffff8000, v5
	v_and_b32_e32 v5, 0xffff, v128
	s_delay_alu instid0(VALU_DEP_1) | instskip(NEXT) | instid1(VALU_DEP_1)
	v_lshrrev_b32_e32 v5, s23, v5
	v_and_b32_e32 v6, s42, v5
	s_delay_alu instid0(VALU_DEP_1)
	v_and_b32_e32 v5, 1, v6
	v_lshlrev_b32_e32 v7, 30, v6
	v_lshlrev_b32_e32 v8, 29, v6
	;; [unrolled: 1-line block ×4, first 2 shown]
	v_add_co_u32 v5, s15, v5, -1
	s_wait_alu 0xf1ff
	v_cndmask_b32_e64 v25, 0, 1, s15
	v_not_b32_e32 v131, v7
	v_cmp_gt_i32_e64 s15, 0, v7
	v_not_b32_e32 v7, v8
	v_lshlrev_b32_e32 v27, 26, v6
	v_cmp_ne_u32_e32 vcc_lo, 0, v25
	v_ashrrev_i32_e32 v131, 31, v131
	v_lshlrev_b32_e32 v130, 25, v6
	v_ashrrev_i32_e32 v7, 31, v7
	v_lshlrev_b32_e32 v25, 24, v6
	s_wait_alu 0xfffd
	v_xor_b32_e32 v5, vcc_lo, v5
	v_cmp_gt_i32_e32 vcc_lo, 0, v8
	v_not_b32_e32 v8, v24
	s_wait_alu 0xf1ff
	v_xor_b32_e32 v131, s15, v131
	v_cmp_gt_i32_e64 s15, 0, v24
	v_and_b32_e32 v5, exec_lo, v5
	v_not_b32_e32 v24, v26
	v_ashrrev_i32_e32 v8, 31, v8
	s_wait_alu 0xfffd
	v_xor_b32_e32 v7, vcc_lo, v7
	v_cmp_gt_i32_e32 vcc_lo, 0, v26
	v_and_b32_e32 v5, v5, v131
	v_not_b32_e32 v26, v27
	v_ashrrev_i32_e32 v24, 31, v24
	s_wait_alu 0xf1ff
	v_xor_b32_e32 v8, s15, v8
	v_cmp_gt_i32_e64 s15, 0, v27
	v_and_b32_e32 v5, v5, v7
	v_not_b32_e32 v7, v130
	v_ashrrev_i32_e32 v26, 31, v26
	s_wait_alu 0xfffd
	v_xor_b32_e32 v24, vcc_lo, v24
	v_cmp_gt_i32_e32 vcc_lo, 0, v130
	v_and_b32_e32 v5, v5, v8
	v_not_b32_e32 v8, v25
	v_ashrrev_i32_e32 v7, 31, v7
	s_wait_alu 0xf1ff
	v_xor_b32_e32 v26, s15, v26
	v_cmp_gt_i32_e64 s15, 0, v25
	v_and_b32_e32 v5, v5, v24
	v_ashrrev_i32_e32 v8, 31, v8
	s_wait_alu 0xfffd
	v_xor_b32_e32 v7, vcc_lo, v7
	v_mad_u32_u24 v24, v6, 36, v89
	v_mul_u32_u24_e32 v6, 36, v6
	v_and_b32_e32 v5, v5, v26
	s_wait_alu 0xf1ff
	v_xor_b32_e32 v8, s15, v8
	ds_load_b32 v130, v24 offset:1056
	v_add_nc_u32_e32 v132, v89, v6
	v_and_b32_e32 v5, v5, v7
	; wave barrier
	s_delay_alu instid0(VALU_DEP_1) | instskip(NEXT) | instid1(VALU_DEP_1)
	v_and_b32_e32 v5, v5, v8
	v_mbcnt_lo_u32_b32 v131, v5, 0
	v_cmp_ne_u32_e64 s15, 0, v5
	s_delay_alu instid0(VALU_DEP_2)
	v_cmp_eq_u32_e32 vcc_lo, 0, v131
	s_and_b32 s16, s15, vcc_lo
	s_wait_alu 0xfffe
	s_and_saveexec_b32 s15, s16
	s_cbranch_execz .LBB1049_266
; %bb.265:                              ;   in Loop: Header=BB1049_236 Depth=2
	s_wait_dscnt 0x0
	v_bcnt_u32_b32 v5, v5, v130
	ds_store_b32 v132, v5 offset:1056
.LBB1049_266:                           ;   in Loop: Header=BB1049_236 Depth=2
	s_wait_alu 0xfffe
	s_or_b32 exec_lo, exec_lo, s15
	; wave barrier
	s_wait_loadcnt_dscnt 0x0
	s_barrier_signal -1
	s_barrier_wait -1
	global_inv scope:SCOPE_SE
	ds_load_2addr_b32 v[26:27], v102 offset1:1
	ds_load_2addr_b32 v[24:25], v103 offset1:1
	;; [unrolled: 1-line block ×4, first 2 shown]
	ds_load_b32 v133, v43 offset:1088
	s_wait_dscnt 0x3
	v_add3_u32 v134, v27, v26, v24
	s_wait_dscnt 0x2
	s_delay_alu instid0(VALU_DEP_1) | instskip(SKIP_1) | instid1(VALU_DEP_1)
	v_add3_u32 v134, v134, v25, v7
	s_wait_dscnt 0x1
	v_add3_u32 v134, v134, v8, v5
	s_wait_dscnt 0x0
	s_delay_alu instid0(VALU_DEP_1) | instskip(NEXT) | instid1(VALU_DEP_1)
	v_add3_u32 v133, v134, v6, v133
	v_mov_b32_dpp v134, v133 row_shr:1 row_mask:0xf bank_mask:0xf
	s_delay_alu instid0(VALU_DEP_1) | instskip(NEXT) | instid1(VALU_DEP_1)
	v_cndmask_b32_e64 v134, v134, 0, s0
	v_add_nc_u32_e32 v133, v134, v133
	s_delay_alu instid0(VALU_DEP_1) | instskip(NEXT) | instid1(VALU_DEP_1)
	v_mov_b32_dpp v134, v133 row_shr:2 row_mask:0xf bank_mask:0xf
	v_cndmask_b32_e64 v134, 0, v134, s1
	s_delay_alu instid0(VALU_DEP_1) | instskip(NEXT) | instid1(VALU_DEP_1)
	v_add_nc_u32_e32 v133, v133, v134
	v_mov_b32_dpp v134, v133 row_shr:4 row_mask:0xf bank_mask:0xf
	s_delay_alu instid0(VALU_DEP_1) | instskip(NEXT) | instid1(VALU_DEP_1)
	v_cndmask_b32_e64 v134, 0, v134, s9
	v_add_nc_u32_e32 v133, v133, v134
	s_delay_alu instid0(VALU_DEP_1) | instskip(NEXT) | instid1(VALU_DEP_1)
	v_mov_b32_dpp v134, v133 row_shr:8 row_mask:0xf bank_mask:0xf
	v_cndmask_b32_e64 v134, 0, v134, s10
	s_delay_alu instid0(VALU_DEP_1) | instskip(SKIP_3) | instid1(VALU_DEP_1)
	v_add_nc_u32_e32 v133, v133, v134
	ds_swizzle_b32 v134, v133 offset:swizzle(BROADCAST,32,15)
	s_wait_dscnt 0x0
	v_cndmask_b32_e64 v134, v134, 0, s11
	v_add_nc_u32_e32 v133, v133, v134
	s_and_saveexec_b32 s15, s3
; %bb.267:                              ;   in Loop: Header=BB1049_236 Depth=2
	ds_store_b32 v38, v133 offset:1024
; %bb.268:                              ;   in Loop: Header=BB1049_236 Depth=2
	s_wait_alu 0xfffe
	s_or_b32 exec_lo, exec_lo, s15
	s_wait_loadcnt_dscnt 0x0
	s_barrier_signal -1
	s_barrier_wait -1
	global_inv scope:SCOPE_SE
	s_and_saveexec_b32 s15, s4
	s_cbranch_execz .LBB1049_270
; %bb.269:                              ;   in Loop: Header=BB1049_236 Depth=2
	ds_load_b32 v134, v47 offset:1024
	s_wait_dscnt 0x0
	v_mov_b32_dpp v135, v134 row_shr:1 row_mask:0xf bank_mask:0xf
	s_delay_alu instid0(VALU_DEP_1) | instskip(NEXT) | instid1(VALU_DEP_1)
	v_cndmask_b32_e64 v135, v135, 0, s12
	v_add_nc_u32_e32 v134, v135, v134
	s_delay_alu instid0(VALU_DEP_1) | instskip(NEXT) | instid1(VALU_DEP_1)
	v_mov_b32_dpp v135, v134 row_shr:2 row_mask:0xf bank_mask:0xf
	v_cndmask_b32_e64 v135, 0, v135, s13
	s_delay_alu instid0(VALU_DEP_1) | instskip(NEXT) | instid1(VALU_DEP_1)
	v_add_nc_u32_e32 v134, v134, v135
	v_mov_b32_dpp v135, v134 row_shr:4 row_mask:0xf bank_mask:0xf
	s_delay_alu instid0(VALU_DEP_1) | instskip(NEXT) | instid1(VALU_DEP_1)
	v_cndmask_b32_e64 v135, 0, v135, s14
	v_add_nc_u32_e32 v134, v134, v135
	ds_store_b32 v47, v134 offset:1024
.LBB1049_270:                           ;   in Loop: Header=BB1049_236 Depth=2
	s_wait_alu 0xfffe
	s_or_b32 exec_lo, exec_lo, s15
	v_mov_b32_e32 v134, 0
	s_wait_loadcnt_dscnt 0x0
	s_barrier_signal -1
	s_barrier_wait -1
	global_inv scope:SCOPE_SE
	s_and_saveexec_b32 s15, s5
; %bb.271:                              ;   in Loop: Header=BB1049_236 Depth=2
	ds_load_b32 v134, v38 offset:1020
; %bb.272:                              ;   in Loop: Header=BB1049_236 Depth=2
	s_wait_alu 0xfffe
	s_or_b32 exec_lo, exec_lo, s15
	s_wait_dscnt 0x0
	v_add_nc_u32_e32 v133, v134, v133
	ds_bpermute_b32 v133, v84, v133
	s_wait_dscnt 0x0
	v_cndmask_b32_e64 v133, v133, v134, s8
	s_delay_alu instid0(VALU_DEP_1) | instskip(NEXT) | instid1(VALU_DEP_1)
	v_cndmask_b32_e64 v133, v133, 0, s6
	v_add_nc_u32_e32 v26, v133, v26
	s_delay_alu instid0(VALU_DEP_1) | instskip(NEXT) | instid1(VALU_DEP_1)
	v_add_nc_u32_e32 v27, v26, v27
	v_add_nc_u32_e32 v24, v27, v24
	s_delay_alu instid0(VALU_DEP_1) | instskip(NEXT) | instid1(VALU_DEP_1)
	v_add_nc_u32_e32 v25, v24, v25
	;; [unrolled: 3-line block ×3, first 2 shown]
	v_add_nc_u32_e32 v5, v8, v5
	s_delay_alu instid0(VALU_DEP_1)
	v_add_nc_u32_e32 v6, v5, v6
	ds_store_2addr_b32 v101, v8, v5 offset1:1
	ds_store_2addr_b32 v102, v133, v26 offset1:1
	ds_store_2addr_b32 v103, v27, v24 offset1:1
	ds_store_2addr_b32 v104, v25, v7 offset1:1
	ds_store_b32 v43, v6 offset:1088
	s_wait_loadcnt_dscnt 0x0
	s_barrier_signal -1
	s_barrier_wait -1
	global_inv scope:SCOPE_SE
	ds_load_b32 v8, v105 offset:1056
	ds_load_b32 v24, v109 offset:1056
	;; [unrolled: 1-line block ×9, first 2 shown]
	v_mov_b32_e32 v7, 0x800
	s_and_saveexec_b32 s15, s7
; %bb.273:                              ;   in Loop: Header=BB1049_236 Depth=2
	ds_load_b32 v7, v43 offset:1092
; %bb.274:                              ;   in Loop: Header=BB1049_236 Depth=2
	s_wait_alu 0xfffe
	s_or_b32 exec_lo, exec_lo, s15
	s_wait_loadcnt_dscnt 0x0
	s_barrier_signal -1
	s_barrier_wait -1
	global_inv scope:SCOPE_SE
	s_and_saveexec_b32 s15, s2
	s_cbranch_execz .LBB1049_276
; %bb.275:                              ;   in Loop: Header=BB1049_236 Depth=2
	ds_load_b32 v102, v28
	s_wait_dscnt 0x0
	v_sub_nc_u32_e32 v101, v102, v101
	ds_store_b32 v28, v101
.LBB1049_276:                           ;   in Loop: Header=BB1049_236 Depth=2
	s_wait_alu 0xfffe
	s_or_b32 exec_lo, exec_lo, s15
	v_add_nc_u32_e32 v102, v8, v99
	v_add3_u32 v101, v107, v106, v24
	v_add3_u32 v99, v112, v110, v25
	;; [unrolled: 1-line block ×4, first 2 shown]
	v_lshlrev_b32_e32 v103, 1, v102
	v_add3_u32 v24, v120, v118, v27
	v_lshlrev_b32_e32 v104, 1, v101
	v_lshlrev_b32_e32 v105, 1, v99
	v_add3_u32 v27, v127, v126, v5
	v_add3_u32 v26, v131, v130, v6
	ds_store_b16 v103, v0 offset:1024
	ds_store_b16 v104, v100 offset:1024
	;; [unrolled: 1-line block ×3, first 2 shown]
	v_lshlrev_b32_e32 v0, 1, v25
	v_cmp_lt_u32_e32 vcc_lo, v13, v98
	v_lshlrev_b32_e32 v5, 1, v24
	v_lshlrev_b32_e32 v6, 1, v8
	;; [unrolled: 1-line block ×4, first 2 shown]
	ds_store_b16 v0, v111 offset:1024
	ds_store_b16 v5, v115 offset:1024
	;; [unrolled: 1-line block ×5, first 2 shown]
	s_wait_loadcnt_dscnt 0x0
	s_barrier_signal -1
	s_barrier_wait -1
	global_inv scope:SCOPE_SE
	s_and_saveexec_b32 s16, vcc_lo
	s_cbranch_execnz .LBB1049_313
; %bb.277:                              ;   in Loop: Header=BB1049_236 Depth=2
	s_wait_alu 0xfffe
	s_or_b32 exec_lo, exec_lo, s16
	v_cmp_lt_u32_e64 s15, v29, v98
	s_and_saveexec_b32 s17, s15
	s_cbranch_execnz .LBB1049_314
.LBB1049_278:                           ;   in Loop: Header=BB1049_236 Depth=2
	s_wait_alu 0xfffe
	s_or_b32 exec_lo, exec_lo, s17
	v_cmp_lt_u32_e64 s16, v30, v98
	s_and_saveexec_b32 s18, s16
	s_cbranch_execnz .LBB1049_315
.LBB1049_279:                           ;   in Loop: Header=BB1049_236 Depth=2
	s_wait_alu 0xfffe
	s_or_b32 exec_lo, exec_lo, s18
	v_cmp_lt_u32_e64 s17, v31, v98
	s_and_saveexec_b32 s19, s17
	s_cbranch_execnz .LBB1049_316
.LBB1049_280:                           ;   in Loop: Header=BB1049_236 Depth=2
	s_wait_alu 0xfffe
	s_or_b32 exec_lo, exec_lo, s19
	v_cmp_lt_u32_e64 s18, v34, v98
	s_and_saveexec_b32 s20, s18
	s_cbranch_execnz .LBB1049_317
.LBB1049_281:                           ;   in Loop: Header=BB1049_236 Depth=2
	s_wait_alu 0xfffe
	s_or_b32 exec_lo, exec_lo, s20
	v_cmp_lt_u32_e64 s19, v35, v98
	s_and_saveexec_b32 s21, s19
	s_cbranch_execnz .LBB1049_318
.LBB1049_282:                           ;   in Loop: Header=BB1049_236 Depth=2
	s_wait_alu 0xfffe
	s_or_b32 exec_lo, exec_lo, s21
	v_cmp_lt_u32_e64 s20, v36, v98
	s_and_saveexec_b32 s22, s20
	s_cbranch_execnz .LBB1049_319
.LBB1049_283:                           ;   in Loop: Header=BB1049_236 Depth=2
	s_wait_alu 0xfffe
	s_or_b32 exec_lo, exec_lo, s22
	v_cmp_lt_u32_e64 s21, v37, v98
	s_and_saveexec_b32 s48, s21
	s_cbranch_execz .LBB1049_285
.LBB1049_284:                           ;   in Loop: Header=BB1049_236 Depth=2
	ds_load_u16 v100, v48 offset:4608
	s_wait_dscnt 0x0
	v_and_b32_e32 v0, 0xffff, v100
	s_delay_alu instid0(VALU_DEP_1) | instskip(NEXT) | instid1(VALU_DEP_1)
	v_lshrrev_b32_e32 v0, s23, v0
	v_and_b32_e32 v0, s42, v0
	s_delay_alu instid0(VALU_DEP_1) | instskip(SKIP_3) | instid1(VALU_DEP_1)
	v_lshlrev_b32_e32 v0, 2, v0
	ds_load_b32 v0, v0
	s_wait_dscnt 0x0
	v_add_nc_u32_e32 v0, v0, v37
	v_lshlrev_b64_e32 v[5:6], 1, v[0:1]
	v_xor_b32_e32 v0, 0xffff8000, v100
	s_delay_alu instid0(VALU_DEP_2) | instskip(SKIP_1) | instid1(VALU_DEP_3)
	v_add_co_u32 v5, s22, s40, v5
	s_wait_alu 0xf1ff
	v_add_co_ci_u32_e64 v6, null, s41, v6, s22
	global_store_b16 v[5:6], v0, off
.LBB1049_285:                           ;   in Loop: Header=BB1049_236 Depth=2
	s_wait_alu 0xfffe
	s_or_b32 exec_lo, exec_lo, s48
	s_lshl_b64 s[48:49], s[30:31], 3
	s_wait_alu 0xfffe
	v_add_co_u32 v5, s22, v85, s48
	s_wait_alu 0xf1ff
	v_add_co_ci_u32_e64 v6, null, s49, v86, s22
	v_cmp_lt_u32_e64 s22, v67, v98
	s_and_saveexec_b32 s30, s22
	s_wait_alu 0xfffe
	s_xor_b32 s22, exec_lo, s30
	s_cbranch_execnz .LBB1049_320
; %bb.286:                              ;   in Loop: Header=BB1049_236 Depth=2
	s_wait_alu 0xfffe
	s_or_b32 exec_lo, exec_lo, s22
	s_delay_alu instid0(SALU_CYCLE_1)
	s_mov_b32 s30, exec_lo
	v_cmpx_lt_u32_e64 v71, v98
	s_cbranch_execnz .LBB1049_321
.LBB1049_287:                           ;   in Loop: Header=BB1049_236 Depth=2
	s_wait_alu 0xfffe
	s_or_b32 exec_lo, exec_lo, s30
	s_delay_alu instid0(SALU_CYCLE_1)
	s_mov_b32 s30, exec_lo
	v_cmpx_lt_u32_e64 v72, v98
	s_cbranch_execnz .LBB1049_322
.LBB1049_288:                           ;   in Loop: Header=BB1049_236 Depth=2
	s_wait_alu 0xfffe
	s_or_b32 exec_lo, exec_lo, s30
	s_delay_alu instid0(SALU_CYCLE_1)
	s_mov_b32 s30, exec_lo
	v_cmpx_lt_u32_e64 v73, v98
	s_cbranch_execnz .LBB1049_323
.LBB1049_289:                           ;   in Loop: Header=BB1049_236 Depth=2
	s_wait_alu 0xfffe
	s_or_b32 exec_lo, exec_lo, s30
	s_delay_alu instid0(SALU_CYCLE_1)
	s_mov_b32 s30, exec_lo
	v_cmpx_lt_u32_e64 v74, v98
	s_cbranch_execnz .LBB1049_324
.LBB1049_290:                           ;   in Loop: Header=BB1049_236 Depth=2
	s_wait_alu 0xfffe
	s_or_b32 exec_lo, exec_lo, s30
	s_delay_alu instid0(SALU_CYCLE_1)
	s_mov_b32 s30, exec_lo
	v_cmpx_lt_u32_e64 v75, v98
	s_cbranch_execnz .LBB1049_325
.LBB1049_291:                           ;   in Loop: Header=BB1049_236 Depth=2
	s_wait_alu 0xfffe
	s_or_b32 exec_lo, exec_lo, s30
	s_delay_alu instid0(SALU_CYCLE_1)
	s_mov_b32 s30, exec_lo
	v_cmpx_lt_u32_e64 v76, v98
	s_cbranch_execnz .LBB1049_326
.LBB1049_292:                           ;   in Loop: Header=BB1049_236 Depth=2
	s_wait_alu 0xfffe
	s_or_b32 exec_lo, exec_lo, s30
	s_delay_alu instid0(SALU_CYCLE_1)
	s_mov_b32 s30, exec_lo
	v_cmpx_lt_u32_e64 v77, v98
	s_cbranch_execnz .LBB1049_327
.LBB1049_293:                           ;   in Loop: Header=BB1049_236 Depth=2
	s_wait_alu 0xfffe
	s_or_b32 exec_lo, exec_lo, s30
	s_and_saveexec_b32 s22, vcc_lo
	s_cbranch_execnz .LBB1049_328
.LBB1049_294:                           ;   in Loop: Header=BB1049_236 Depth=2
	s_wait_alu 0xfffe
	s_or_b32 exec_lo, exec_lo, s22
	s_and_saveexec_b32 s22, s15
	s_cbranch_execnz .LBB1049_329
.LBB1049_295:                           ;   in Loop: Header=BB1049_236 Depth=2
	s_wait_alu 0xfffe
	s_or_b32 exec_lo, exec_lo, s22
	s_and_saveexec_b32 s22, s16
	s_cbranch_execnz .LBB1049_330
.LBB1049_296:                           ;   in Loop: Header=BB1049_236 Depth=2
	s_wait_alu 0xfffe
	s_or_b32 exec_lo, exec_lo, s22
	s_and_saveexec_b32 s22, s17
	s_cbranch_execnz .LBB1049_331
.LBB1049_297:                           ;   in Loop: Header=BB1049_236 Depth=2
	s_wait_alu 0xfffe
	s_or_b32 exec_lo, exec_lo, s22
	s_and_saveexec_b32 s22, s18
	s_cbranch_execnz .LBB1049_332
.LBB1049_298:                           ;   in Loop: Header=BB1049_236 Depth=2
	s_wait_alu 0xfffe
	s_or_b32 exec_lo, exec_lo, s22
	s_and_saveexec_b32 s22, s19
	s_cbranch_execnz .LBB1049_333
.LBB1049_299:                           ;   in Loop: Header=BB1049_236 Depth=2
	s_wait_alu 0xfffe
	s_or_b32 exec_lo, exec_lo, s22
	s_and_saveexec_b32 s22, s20
	s_cbranch_execnz .LBB1049_334
.LBB1049_300:                           ;   in Loop: Header=BB1049_236 Depth=2
	s_wait_alu 0xfffe
	s_or_b32 exec_lo, exec_lo, s22
	s_and_saveexec_b32 s22, s21
	s_cbranch_execz .LBB1049_302
.LBB1049_301:                           ;   in Loop: Header=BB1049_236 Depth=2
	ds_load_u16 v0, v48 offset:4608
	s_wait_dscnt 0x0
	v_lshrrev_b32_e32 v0, s23, v0
	s_delay_alu instid0(VALU_DEP_1)
	v_and_b32_e32 v90, s42, v0
.LBB1049_302:                           ;   in Loop: Header=BB1049_236 Depth=2
	s_wait_alu 0xfffe
	s_or_b32 exec_lo, exec_lo, s22
	v_lshlrev_b32_e32 v0, 3, v102
	v_lshlrev_b32_e32 v5, 3, v101
	;; [unrolled: 1-line block ×3, first 2 shown]
	s_wait_loadcnt 0x0
	s_wait_storecnt 0x0
	s_barrier_signal -1
	s_barrier_wait -1
	global_inv scope:SCOPE_SE
	ds_store_b64 v0, v[22:23] offset:1024
	ds_store_b64 v5, v[20:21] offset:1024
	;; [unrolled: 1-line block ×3, first 2 shown]
	v_lshlrev_b32_e32 v0, 3, v25
	v_lshlrev_b32_e32 v5, 3, v24
	;; [unrolled: 1-line block ×5, first 2 shown]
	ds_store_b64 v0, v[16:17] offset:1024
	ds_store_b64 v5, v[14:15] offset:1024
	;; [unrolled: 1-line block ×5, first 2 shown]
	s_wait_loadcnt_dscnt 0x0
	s_barrier_signal -1
	s_barrier_wait -1
	global_inv scope:SCOPE_SE
	s_and_saveexec_b32 s22, vcc_lo
	s_cbranch_execnz .LBB1049_335
; %bb.303:                              ;   in Loop: Header=BB1049_236 Depth=2
	s_wait_alu 0xfffe
	s_or_b32 exec_lo, exec_lo, s22
	s_and_saveexec_b32 s22, s15
	s_cbranch_execnz .LBB1049_336
.LBB1049_304:                           ;   in Loop: Header=BB1049_236 Depth=2
	s_wait_alu 0xfffe
	s_or_b32 exec_lo, exec_lo, s22
	s_and_saveexec_b32 s15, s16
	s_cbranch_execnz .LBB1049_337
.LBB1049_305:                           ;   in Loop: Header=BB1049_236 Depth=2
	s_wait_alu 0xfffe
	s_or_b32 exec_lo, exec_lo, s15
	s_and_saveexec_b32 s15, s17
	s_cbranch_execnz .LBB1049_338
.LBB1049_306:                           ;   in Loop: Header=BB1049_236 Depth=2
	s_wait_alu 0xfffe
	s_or_b32 exec_lo, exec_lo, s15
	s_and_saveexec_b32 s15, s18
	s_cbranch_execnz .LBB1049_339
.LBB1049_307:                           ;   in Loop: Header=BB1049_236 Depth=2
	s_wait_alu 0xfffe
	s_or_b32 exec_lo, exec_lo, s15
	s_and_saveexec_b32 s15, s19
	s_cbranch_execnz .LBB1049_340
.LBB1049_308:                           ;   in Loop: Header=BB1049_236 Depth=2
	s_wait_alu 0xfffe
	s_or_b32 exec_lo, exec_lo, s15
	s_and_saveexec_b32 s15, s20
	s_cbranch_execnz .LBB1049_341
.LBB1049_309:                           ;   in Loop: Header=BB1049_236 Depth=2
	s_wait_alu 0xfffe
	s_or_b32 exec_lo, exec_lo, s15
	s_and_saveexec_b32 s15, s21
	s_cbranch_execz .LBB1049_311
.LBB1049_310:                           ;   in Loop: Header=BB1049_236 Depth=2
	v_lshlrev_b32_e32 v0, 2, v90
	v_add_nc_u32_e32 v5, v48, v49
	ds_load_b32 v0, v0
	ds_load_b64 v[5:6], v5 offset:15360
	s_wait_dscnt 0x1
	v_add_nc_u32_e32 v0, v0, v37
	s_delay_alu instid0(VALU_DEP_1) | instskip(NEXT) | instid1(VALU_DEP_1)
	v_lshlrev_b64_e32 v[24:25], 3, v[0:1]
	v_add_co_u32 v24, vcc_lo, s26, v24
	s_wait_alu 0xfffd
	s_delay_alu instid0(VALU_DEP_2)
	v_add_co_ci_u32_e64 v25, null, s27, v25, vcc_lo
	s_wait_dscnt 0x0
	global_store_b64 v[24:25], v[5:6], off
.LBB1049_311:                           ;   in Loop: Header=BB1049_236 Depth=2
	s_wait_alu 0xfffe
	s_or_b32 exec_lo, exec_lo, s15
	s_wait_loadcnt 0x0
	s_wait_storecnt 0x0
	s_barrier_signal -1
	s_barrier_wait -1
	global_inv scope:SCOPE_SE
	s_and_saveexec_b32 s15, s2
	s_cbranch_execz .LBB1049_235
; %bb.312:                              ;   in Loop: Header=BB1049_236 Depth=2
	ds_load_b32 v0, v28
	s_wait_dscnt 0x0
	v_add_nc_u32_e32 v0, v0, v7
	ds_store_b32 v28, v0
	s_branch .LBB1049_235
.LBB1049_313:                           ;   in Loop: Header=BB1049_236 Depth=2
	ds_load_u16 v100, v48 offset:1024
	s_wait_dscnt 0x0
	v_and_b32_e32 v0, 0xffff, v100
	s_delay_alu instid0(VALU_DEP_1) | instskip(NEXT) | instid1(VALU_DEP_1)
	v_lshrrev_b32_e32 v0, s23, v0
	v_and_b32_e32 v0, s42, v0
	s_delay_alu instid0(VALU_DEP_1) | instskip(SKIP_3) | instid1(VALU_DEP_1)
	v_lshlrev_b32_e32 v0, 2, v0
	ds_load_b32 v0, v0
	s_wait_dscnt 0x0
	v_add_nc_u32_e32 v0, v0, v13
	v_lshlrev_b64_e32 v[5:6], 1, v[0:1]
	v_xor_b32_e32 v0, 0xffff8000, v100
	s_delay_alu instid0(VALU_DEP_2) | instskip(SKIP_1) | instid1(VALU_DEP_3)
	v_add_co_u32 v5, s15, s40, v5
	s_wait_alu 0xf1ff
	v_add_co_ci_u32_e64 v6, null, s41, v6, s15
	global_store_b16 v[5:6], v0, off
	s_wait_alu 0xfffe
	s_or_b32 exec_lo, exec_lo, s16
	v_cmp_lt_u32_e64 s15, v29, v98
	s_and_saveexec_b32 s17, s15
	s_cbranch_execz .LBB1049_278
.LBB1049_314:                           ;   in Loop: Header=BB1049_236 Depth=2
	ds_load_u16 v100, v48 offset:1536
	s_wait_dscnt 0x0
	v_and_b32_e32 v0, 0xffff, v100
	s_delay_alu instid0(VALU_DEP_1) | instskip(NEXT) | instid1(VALU_DEP_1)
	v_lshrrev_b32_e32 v0, s23, v0
	v_and_b32_e32 v0, s42, v0
	s_delay_alu instid0(VALU_DEP_1) | instskip(SKIP_3) | instid1(VALU_DEP_1)
	v_lshlrev_b32_e32 v0, 2, v0
	ds_load_b32 v0, v0
	s_wait_dscnt 0x0
	v_add_nc_u32_e32 v0, v0, v29
	v_lshlrev_b64_e32 v[5:6], 1, v[0:1]
	v_xor_b32_e32 v0, 0xffff8000, v100
	s_delay_alu instid0(VALU_DEP_2) | instskip(SKIP_1) | instid1(VALU_DEP_3)
	v_add_co_u32 v5, s16, s40, v5
	s_wait_alu 0xf1ff
	v_add_co_ci_u32_e64 v6, null, s41, v6, s16
	global_store_b16 v[5:6], v0, off
	s_wait_alu 0xfffe
	s_or_b32 exec_lo, exec_lo, s17
	v_cmp_lt_u32_e64 s16, v30, v98
	s_and_saveexec_b32 s18, s16
	s_cbranch_execz .LBB1049_279
.LBB1049_315:                           ;   in Loop: Header=BB1049_236 Depth=2
	ds_load_u16 v100, v48 offset:2048
	s_wait_dscnt 0x0
	v_and_b32_e32 v0, 0xffff, v100
	s_delay_alu instid0(VALU_DEP_1) | instskip(NEXT) | instid1(VALU_DEP_1)
	v_lshrrev_b32_e32 v0, s23, v0
	v_and_b32_e32 v0, s42, v0
	s_delay_alu instid0(VALU_DEP_1) | instskip(SKIP_3) | instid1(VALU_DEP_1)
	v_lshlrev_b32_e32 v0, 2, v0
	ds_load_b32 v0, v0
	s_wait_dscnt 0x0
	v_add_nc_u32_e32 v0, v0, v30
	v_lshlrev_b64_e32 v[5:6], 1, v[0:1]
	v_xor_b32_e32 v0, 0xffff8000, v100
	s_delay_alu instid0(VALU_DEP_2) | instskip(SKIP_1) | instid1(VALU_DEP_3)
	v_add_co_u32 v5, s17, s40, v5
	s_wait_alu 0xf1ff
	v_add_co_ci_u32_e64 v6, null, s41, v6, s17
	global_store_b16 v[5:6], v0, off
	s_wait_alu 0xfffe
	s_or_b32 exec_lo, exec_lo, s18
	v_cmp_lt_u32_e64 s17, v31, v98
	s_and_saveexec_b32 s19, s17
	s_cbranch_execz .LBB1049_280
.LBB1049_316:                           ;   in Loop: Header=BB1049_236 Depth=2
	ds_load_u16 v100, v48 offset:2560
	s_wait_dscnt 0x0
	v_and_b32_e32 v0, 0xffff, v100
	s_delay_alu instid0(VALU_DEP_1) | instskip(NEXT) | instid1(VALU_DEP_1)
	v_lshrrev_b32_e32 v0, s23, v0
	v_and_b32_e32 v0, s42, v0
	s_delay_alu instid0(VALU_DEP_1) | instskip(SKIP_3) | instid1(VALU_DEP_1)
	v_lshlrev_b32_e32 v0, 2, v0
	ds_load_b32 v0, v0
	s_wait_dscnt 0x0
	v_add_nc_u32_e32 v0, v0, v31
	v_lshlrev_b64_e32 v[5:6], 1, v[0:1]
	v_xor_b32_e32 v0, 0xffff8000, v100
	s_delay_alu instid0(VALU_DEP_2) | instskip(SKIP_1) | instid1(VALU_DEP_3)
	v_add_co_u32 v5, s18, s40, v5
	s_wait_alu 0xf1ff
	v_add_co_ci_u32_e64 v6, null, s41, v6, s18
	global_store_b16 v[5:6], v0, off
	s_wait_alu 0xfffe
	s_or_b32 exec_lo, exec_lo, s19
	v_cmp_lt_u32_e64 s18, v34, v98
	s_and_saveexec_b32 s20, s18
	s_cbranch_execz .LBB1049_281
.LBB1049_317:                           ;   in Loop: Header=BB1049_236 Depth=2
	ds_load_u16 v100, v48 offset:3072
	s_wait_dscnt 0x0
	v_and_b32_e32 v0, 0xffff, v100
	s_delay_alu instid0(VALU_DEP_1) | instskip(NEXT) | instid1(VALU_DEP_1)
	v_lshrrev_b32_e32 v0, s23, v0
	v_and_b32_e32 v0, s42, v0
	s_delay_alu instid0(VALU_DEP_1) | instskip(SKIP_3) | instid1(VALU_DEP_1)
	v_lshlrev_b32_e32 v0, 2, v0
	ds_load_b32 v0, v0
	s_wait_dscnt 0x0
	v_add_nc_u32_e32 v0, v0, v34
	v_lshlrev_b64_e32 v[5:6], 1, v[0:1]
	v_xor_b32_e32 v0, 0xffff8000, v100
	s_delay_alu instid0(VALU_DEP_2) | instskip(SKIP_1) | instid1(VALU_DEP_3)
	v_add_co_u32 v5, s19, s40, v5
	s_wait_alu 0xf1ff
	v_add_co_ci_u32_e64 v6, null, s41, v6, s19
	global_store_b16 v[5:6], v0, off
	s_wait_alu 0xfffe
	s_or_b32 exec_lo, exec_lo, s20
	v_cmp_lt_u32_e64 s19, v35, v98
	s_and_saveexec_b32 s21, s19
	s_cbranch_execz .LBB1049_282
.LBB1049_318:                           ;   in Loop: Header=BB1049_236 Depth=2
	ds_load_u16 v100, v48 offset:3584
	s_wait_dscnt 0x0
	v_and_b32_e32 v0, 0xffff, v100
	s_delay_alu instid0(VALU_DEP_1) | instskip(NEXT) | instid1(VALU_DEP_1)
	v_lshrrev_b32_e32 v0, s23, v0
	v_and_b32_e32 v0, s42, v0
	s_delay_alu instid0(VALU_DEP_1) | instskip(SKIP_3) | instid1(VALU_DEP_1)
	v_lshlrev_b32_e32 v0, 2, v0
	ds_load_b32 v0, v0
	s_wait_dscnt 0x0
	v_add_nc_u32_e32 v0, v0, v35
	v_lshlrev_b64_e32 v[5:6], 1, v[0:1]
	v_xor_b32_e32 v0, 0xffff8000, v100
	s_delay_alu instid0(VALU_DEP_2) | instskip(SKIP_1) | instid1(VALU_DEP_3)
	v_add_co_u32 v5, s20, s40, v5
	s_wait_alu 0xf1ff
	v_add_co_ci_u32_e64 v6, null, s41, v6, s20
	global_store_b16 v[5:6], v0, off
	s_wait_alu 0xfffe
	s_or_b32 exec_lo, exec_lo, s21
	v_cmp_lt_u32_e64 s20, v36, v98
	s_and_saveexec_b32 s22, s20
	s_cbranch_execz .LBB1049_283
.LBB1049_319:                           ;   in Loop: Header=BB1049_236 Depth=2
	ds_load_u16 v100, v48 offset:4096
	s_wait_dscnt 0x0
	v_and_b32_e32 v0, 0xffff, v100
	s_delay_alu instid0(VALU_DEP_1) | instskip(NEXT) | instid1(VALU_DEP_1)
	v_lshrrev_b32_e32 v0, s23, v0
	v_and_b32_e32 v0, s42, v0
	s_delay_alu instid0(VALU_DEP_1) | instskip(SKIP_3) | instid1(VALU_DEP_1)
	v_lshlrev_b32_e32 v0, 2, v0
	ds_load_b32 v0, v0
	s_wait_dscnt 0x0
	v_add_nc_u32_e32 v0, v0, v36
	v_lshlrev_b64_e32 v[5:6], 1, v[0:1]
	v_xor_b32_e32 v0, 0xffff8000, v100
	s_delay_alu instid0(VALU_DEP_2) | instskip(SKIP_1) | instid1(VALU_DEP_3)
	v_add_co_u32 v5, s21, s40, v5
	s_wait_alu 0xf1ff
	v_add_co_ci_u32_e64 v6, null, s41, v6, s21
	global_store_b16 v[5:6], v0, off
	s_wait_alu 0xfffe
	s_or_b32 exec_lo, exec_lo, s22
	v_cmp_lt_u32_e64 s21, v37, v98
	s_and_saveexec_b32 s48, s21
	s_cbranch_execnz .LBB1049_284
	s_branch .LBB1049_285
.LBB1049_320:                           ;   in Loop: Header=BB1049_236 Depth=2
	global_load_b64 v[22:23], v[5:6], off
	s_wait_alu 0xfffe
	s_or_b32 exec_lo, exec_lo, s22
	s_delay_alu instid0(SALU_CYCLE_1)
	s_mov_b32 s30, exec_lo
	v_cmpx_lt_u32_e64 v71, v98
	s_cbranch_execz .LBB1049_287
.LBB1049_321:                           ;   in Loop: Header=BB1049_236 Depth=2
	global_load_b64 v[20:21], v[5:6], off offset:256
	s_wait_alu 0xfffe
	s_or_b32 exec_lo, exec_lo, s30
	s_delay_alu instid0(SALU_CYCLE_1)
	s_mov_b32 s30, exec_lo
	v_cmpx_lt_u32_e64 v72, v98
	s_cbranch_execz .LBB1049_288
.LBB1049_322:                           ;   in Loop: Header=BB1049_236 Depth=2
	global_load_b64 v[18:19], v[5:6], off offset:512
	s_wait_alu 0xfffe
	s_or_b32 exec_lo, exec_lo, s30
	s_delay_alu instid0(SALU_CYCLE_1)
	s_mov_b32 s30, exec_lo
	v_cmpx_lt_u32_e64 v73, v98
	s_cbranch_execz .LBB1049_289
.LBB1049_323:                           ;   in Loop: Header=BB1049_236 Depth=2
	global_load_b64 v[16:17], v[5:6], off offset:768
	s_wait_alu 0xfffe
	s_or_b32 exec_lo, exec_lo, s30
	s_delay_alu instid0(SALU_CYCLE_1)
	s_mov_b32 s30, exec_lo
	v_cmpx_lt_u32_e64 v74, v98
	s_cbranch_execz .LBB1049_290
.LBB1049_324:                           ;   in Loop: Header=BB1049_236 Depth=2
	global_load_b64 v[14:15], v[5:6], off offset:1024
	s_wait_alu 0xfffe
	s_or_b32 exec_lo, exec_lo, s30
	s_delay_alu instid0(SALU_CYCLE_1)
	s_mov_b32 s30, exec_lo
	v_cmpx_lt_u32_e64 v75, v98
	s_cbranch_execz .LBB1049_291
.LBB1049_325:                           ;   in Loop: Header=BB1049_236 Depth=2
	global_load_b64 v[11:12], v[5:6], off offset:1280
	s_wait_alu 0xfffe
	s_or_b32 exec_lo, exec_lo, s30
	s_delay_alu instid0(SALU_CYCLE_1)
	s_mov_b32 s30, exec_lo
	v_cmpx_lt_u32_e64 v76, v98
	s_cbranch_execz .LBB1049_292
.LBB1049_326:                           ;   in Loop: Header=BB1049_236 Depth=2
	global_load_b64 v[9:10], v[5:6], off offset:1536
	s_wait_alu 0xfffe
	s_or_b32 exec_lo, exec_lo, s30
	s_delay_alu instid0(SALU_CYCLE_1)
	s_mov_b32 s30, exec_lo
	v_cmpx_lt_u32_e64 v77, v98
	s_cbranch_execz .LBB1049_293
.LBB1049_327:                           ;   in Loop: Header=BB1049_236 Depth=2
	global_load_b64 v[2:3], v[5:6], off offset:1792
	s_wait_alu 0xfffe
	s_or_b32 exec_lo, exec_lo, s30
	s_and_saveexec_b32 s22, vcc_lo
	s_cbranch_execz .LBB1049_294
.LBB1049_328:                           ;   in Loop: Header=BB1049_236 Depth=2
	ds_load_u16 v0, v48 offset:1024
	s_wait_dscnt 0x0
	v_lshrrev_b32_e32 v0, s23, v0
	s_delay_alu instid0(VALU_DEP_1)
	v_and_b32_e32 v97, s42, v0
	s_wait_alu 0xfffe
	s_or_b32 exec_lo, exec_lo, s22
	s_and_saveexec_b32 s22, s15
	s_cbranch_execz .LBB1049_295
.LBB1049_329:                           ;   in Loop: Header=BB1049_236 Depth=2
	ds_load_u16 v0, v48 offset:1536
	s_wait_dscnt 0x0
	v_lshrrev_b32_e32 v0, s23, v0
	s_delay_alu instid0(VALU_DEP_1)
	v_and_b32_e32 v96, s42, v0
	s_wait_alu 0xfffe
	s_or_b32 exec_lo, exec_lo, s22
	s_and_saveexec_b32 s22, s16
	s_cbranch_execz .LBB1049_296
.LBB1049_330:                           ;   in Loop: Header=BB1049_236 Depth=2
	ds_load_u16 v0, v48 offset:2048
	s_wait_dscnt 0x0
	v_lshrrev_b32_e32 v0, s23, v0
	s_delay_alu instid0(VALU_DEP_1)
	v_and_b32_e32 v95, s42, v0
	s_wait_alu 0xfffe
	s_or_b32 exec_lo, exec_lo, s22
	s_and_saveexec_b32 s22, s17
	s_cbranch_execz .LBB1049_297
.LBB1049_331:                           ;   in Loop: Header=BB1049_236 Depth=2
	ds_load_u16 v0, v48 offset:2560
	s_wait_dscnt 0x0
	v_lshrrev_b32_e32 v0, s23, v0
	s_delay_alu instid0(VALU_DEP_1)
	v_and_b32_e32 v94, s42, v0
	s_wait_alu 0xfffe
	s_or_b32 exec_lo, exec_lo, s22
	s_and_saveexec_b32 s22, s18
	s_cbranch_execz .LBB1049_298
.LBB1049_332:                           ;   in Loop: Header=BB1049_236 Depth=2
	ds_load_u16 v0, v48 offset:3072
	s_wait_dscnt 0x0
	v_lshrrev_b32_e32 v0, s23, v0
	s_delay_alu instid0(VALU_DEP_1)
	v_and_b32_e32 v93, s42, v0
	s_wait_alu 0xfffe
	s_or_b32 exec_lo, exec_lo, s22
	s_and_saveexec_b32 s22, s19
	s_cbranch_execz .LBB1049_299
.LBB1049_333:                           ;   in Loop: Header=BB1049_236 Depth=2
	ds_load_u16 v0, v48 offset:3584
	s_wait_dscnt 0x0
	v_lshrrev_b32_e32 v0, s23, v0
	s_delay_alu instid0(VALU_DEP_1)
	v_and_b32_e32 v92, s42, v0
	s_wait_alu 0xfffe
	s_or_b32 exec_lo, exec_lo, s22
	s_and_saveexec_b32 s22, s20
	s_cbranch_execz .LBB1049_300
.LBB1049_334:                           ;   in Loop: Header=BB1049_236 Depth=2
	ds_load_u16 v0, v48 offset:4096
	s_wait_dscnt 0x0
	v_lshrrev_b32_e32 v0, s23, v0
	s_delay_alu instid0(VALU_DEP_1)
	v_and_b32_e32 v91, s42, v0
	s_wait_alu 0xfffe
	s_or_b32 exec_lo, exec_lo, s22
	s_and_saveexec_b32 s22, s21
	s_cbranch_execnz .LBB1049_301
	s_branch .LBB1049_302
.LBB1049_335:                           ;   in Loop: Header=BB1049_236 Depth=2
	v_lshlrev_b32_e32 v0, 2, v97
	v_add_nc_u32_e32 v5, v48, v49
	ds_load_b32 v0, v0
	ds_load_b64 v[5:6], v5 offset:1024
	s_wait_dscnt 0x1
	v_add_nc_u32_e32 v0, v0, v13
	s_delay_alu instid0(VALU_DEP_1) | instskip(NEXT) | instid1(VALU_DEP_1)
	v_lshlrev_b64_e32 v[24:25], 3, v[0:1]
	v_add_co_u32 v24, vcc_lo, s26, v24
	s_wait_alu 0xfffd
	s_delay_alu instid0(VALU_DEP_2)
	v_add_co_ci_u32_e64 v25, null, s27, v25, vcc_lo
	s_wait_dscnt 0x0
	global_store_b64 v[24:25], v[5:6], off
	s_wait_alu 0xfffe
	s_or_b32 exec_lo, exec_lo, s22
	s_and_saveexec_b32 s22, s15
	s_cbranch_execz .LBB1049_304
.LBB1049_336:                           ;   in Loop: Header=BB1049_236 Depth=2
	v_lshlrev_b32_e32 v0, 2, v96
	v_add_nc_u32_e32 v5, v48, v49
	ds_load_b32 v0, v0
	ds_load_b64 v[5:6], v5 offset:3072
	s_wait_dscnt 0x1
	v_add_nc_u32_e32 v0, v0, v29
	s_delay_alu instid0(VALU_DEP_1) | instskip(NEXT) | instid1(VALU_DEP_1)
	v_lshlrev_b64_e32 v[24:25], 3, v[0:1]
	v_add_co_u32 v24, vcc_lo, s26, v24
	s_wait_alu 0xfffd
	s_delay_alu instid0(VALU_DEP_2)
	v_add_co_ci_u32_e64 v25, null, s27, v25, vcc_lo
	s_wait_dscnt 0x0
	global_store_b64 v[24:25], v[5:6], off
	s_wait_alu 0xfffe
	s_or_b32 exec_lo, exec_lo, s22
	s_and_saveexec_b32 s15, s16
	s_cbranch_execz .LBB1049_305
.LBB1049_337:                           ;   in Loop: Header=BB1049_236 Depth=2
	v_lshlrev_b32_e32 v0, 2, v95
	v_add_nc_u32_e32 v5, v48, v49
	ds_load_b32 v0, v0
	ds_load_b64 v[5:6], v5 offset:5120
	s_wait_dscnt 0x1
	v_add_nc_u32_e32 v0, v0, v30
	s_delay_alu instid0(VALU_DEP_1) | instskip(NEXT) | instid1(VALU_DEP_1)
	v_lshlrev_b64_e32 v[24:25], 3, v[0:1]
	v_add_co_u32 v24, vcc_lo, s26, v24
	s_wait_alu 0xfffd
	s_delay_alu instid0(VALU_DEP_2)
	v_add_co_ci_u32_e64 v25, null, s27, v25, vcc_lo
	s_wait_dscnt 0x0
	global_store_b64 v[24:25], v[5:6], off
	s_wait_alu 0xfffe
	s_or_b32 exec_lo, exec_lo, s15
	s_and_saveexec_b32 s15, s17
	s_cbranch_execz .LBB1049_306
.LBB1049_338:                           ;   in Loop: Header=BB1049_236 Depth=2
	v_lshlrev_b32_e32 v0, 2, v94
	v_add_nc_u32_e32 v5, v48, v49
	ds_load_b32 v0, v0
	ds_load_b64 v[5:6], v5 offset:7168
	s_wait_dscnt 0x1
	v_add_nc_u32_e32 v0, v0, v31
	s_delay_alu instid0(VALU_DEP_1) | instskip(NEXT) | instid1(VALU_DEP_1)
	v_lshlrev_b64_e32 v[24:25], 3, v[0:1]
	v_add_co_u32 v24, vcc_lo, s26, v24
	s_wait_alu 0xfffd
	s_delay_alu instid0(VALU_DEP_2)
	v_add_co_ci_u32_e64 v25, null, s27, v25, vcc_lo
	s_wait_dscnt 0x0
	global_store_b64 v[24:25], v[5:6], off
	s_wait_alu 0xfffe
	s_or_b32 exec_lo, exec_lo, s15
	s_and_saveexec_b32 s15, s18
	s_cbranch_execz .LBB1049_307
.LBB1049_339:                           ;   in Loop: Header=BB1049_236 Depth=2
	v_lshlrev_b32_e32 v0, 2, v93
	v_add_nc_u32_e32 v5, v48, v49
	ds_load_b32 v0, v0
	ds_load_b64 v[5:6], v5 offset:9216
	s_wait_dscnt 0x1
	v_add_nc_u32_e32 v0, v0, v34
	s_delay_alu instid0(VALU_DEP_1) | instskip(NEXT) | instid1(VALU_DEP_1)
	v_lshlrev_b64_e32 v[24:25], 3, v[0:1]
	v_add_co_u32 v24, vcc_lo, s26, v24
	s_wait_alu 0xfffd
	s_delay_alu instid0(VALU_DEP_2)
	v_add_co_ci_u32_e64 v25, null, s27, v25, vcc_lo
	s_wait_dscnt 0x0
	global_store_b64 v[24:25], v[5:6], off
	s_wait_alu 0xfffe
	s_or_b32 exec_lo, exec_lo, s15
	s_and_saveexec_b32 s15, s19
	s_cbranch_execz .LBB1049_308
.LBB1049_340:                           ;   in Loop: Header=BB1049_236 Depth=2
	v_lshlrev_b32_e32 v0, 2, v92
	v_add_nc_u32_e32 v5, v48, v49
	ds_load_b32 v0, v0
	ds_load_b64 v[5:6], v5 offset:11264
	s_wait_dscnt 0x1
	v_add_nc_u32_e32 v0, v0, v35
	s_delay_alu instid0(VALU_DEP_1) | instskip(NEXT) | instid1(VALU_DEP_1)
	v_lshlrev_b64_e32 v[24:25], 3, v[0:1]
	v_add_co_u32 v24, vcc_lo, s26, v24
	s_wait_alu 0xfffd
	s_delay_alu instid0(VALU_DEP_2)
	v_add_co_ci_u32_e64 v25, null, s27, v25, vcc_lo
	s_wait_dscnt 0x0
	global_store_b64 v[24:25], v[5:6], off
	s_wait_alu 0xfffe
	s_or_b32 exec_lo, exec_lo, s15
	s_and_saveexec_b32 s15, s20
	s_cbranch_execz .LBB1049_309
.LBB1049_341:                           ;   in Loop: Header=BB1049_236 Depth=2
	v_lshlrev_b32_e32 v0, 2, v91
	v_add_nc_u32_e32 v5, v48, v49
	ds_load_b32 v0, v0
	ds_load_b64 v[5:6], v5 offset:13312
	s_wait_dscnt 0x1
	v_add_nc_u32_e32 v0, v0, v36
	s_delay_alu instid0(VALU_DEP_1) | instskip(NEXT) | instid1(VALU_DEP_1)
	v_lshlrev_b64_e32 v[24:25], 3, v[0:1]
	v_add_co_u32 v24, vcc_lo, s26, v24
	s_wait_alu 0xfffd
	s_delay_alu instid0(VALU_DEP_2)
	v_add_co_ci_u32_e64 v25, null, s27, v25, vcc_lo
	s_wait_dscnt 0x0
	global_store_b64 v[24:25], v[5:6], off
	s_wait_alu 0xfffe
	s_or_b32 exec_lo, exec_lo, s15
	s_and_saveexec_b32 s15, s21
	s_cbranch_execnz .LBB1049_310
	s_branch .LBB1049_311
.LBB1049_342:                           ;   in Loop: Header=BB1049_236 Depth=2
	v_dual_mov_b32 v5, 0x7fff0000 :: v_dual_mov_b32 v6, v4
	v_dual_mov_b32 v7, v4 :: v_dual_mov_b32 v8, v4
	global_load_d16_b16 v5, v[24:25], off
	s_wait_alu 0xfffe
	s_or_b32 exec_lo, exec_lo, s15
	s_delay_alu instid0(SALU_CYCLE_1)
	s_mov_b32 s15, exec_lo
	v_cmpx_gt_u32_e64 s43, v71
	s_cbranch_execz .LBB1049_241
.LBB1049_343:                           ;   in Loop: Header=BB1049_236 Depth=2
	s_wait_loadcnt 0x0
	global_load_d16_hi_b16 v5, v[24:25], off offset:64
	s_wait_alu 0xfffe
	s_or_b32 exec_lo, exec_lo, s15
	s_delay_alu instid0(SALU_CYCLE_1)
	s_mov_b32 s15, exec_lo
	v_cmpx_gt_u32_e64 s43, v72
	s_cbranch_execz .LBB1049_242
.LBB1049_344:                           ;   in Loop: Header=BB1049_236 Depth=2
	global_load_d16_b16 v6, v[24:25], off offset:128
	s_wait_alu 0xfffe
	s_or_b32 exec_lo, exec_lo, s15
	s_delay_alu instid0(SALU_CYCLE_1)
	s_mov_b32 s15, exec_lo
	v_cmpx_gt_u32_e64 s43, v73
	s_cbranch_execz .LBB1049_243
.LBB1049_345:                           ;   in Loop: Header=BB1049_236 Depth=2
	s_wait_loadcnt 0x0
	global_load_d16_hi_b16 v6, v[24:25], off offset:192
	s_wait_alu 0xfffe
	s_or_b32 exec_lo, exec_lo, s15
	s_delay_alu instid0(SALU_CYCLE_1)
	s_mov_b32 s15, exec_lo
	v_cmpx_gt_u32_e64 s43, v74
	s_cbranch_execz .LBB1049_244
.LBB1049_346:                           ;   in Loop: Header=BB1049_236 Depth=2
	global_load_d16_b16 v7, v[24:25], off offset:256
	s_wait_alu 0xfffe
	s_or_b32 exec_lo, exec_lo, s15
	s_delay_alu instid0(SALU_CYCLE_1)
	s_mov_b32 s15, exec_lo
	v_cmpx_gt_u32_e64 s43, v75
	s_cbranch_execz .LBB1049_245
.LBB1049_347:                           ;   in Loop: Header=BB1049_236 Depth=2
	s_wait_loadcnt 0x0
	global_load_d16_hi_b16 v7, v[24:25], off offset:320
	s_wait_alu 0xfffe
	s_or_b32 exec_lo, exec_lo, s15
	s_delay_alu instid0(SALU_CYCLE_1)
	s_mov_b32 s15, exec_lo
	v_cmpx_gt_u32_e64 s43, v76
	s_cbranch_execnz .LBB1049_246
	s_branch .LBB1049_247
.LBB1049_348:                           ;   in Loop: Header=BB1049_20 Depth=1
	s_wait_loadcnt_dscnt 0x0
	s_barrier_signal -1
	s_barrier_wait -1
.LBB1049_349:                           ;   in Loop: Header=BB1049_20 Depth=1
	s_mov_b32 s0, 0
.LBB1049_350:                           ;   in Loop: Header=BB1049_20 Depth=1
	s_wait_alu 0xfffe
	s_and_not1_b32 vcc_lo, exec_lo, s0
	s_wait_alu 0xfffe
	s_cbranch_vccnz .LBB1049_19
; %bb.351:                              ;   in Loop: Header=BB1049_20 Depth=1
	s_and_b32 vcc_lo, exec_lo, s35
	s_mov_b32 s0, -1
	s_wait_alu 0xfffe
	s_cbranch_vccz .LBB1049_515
; %bb.352:                              ;   in Loop: Header=BB1049_20 Depth=1
	v_dual_mov_b32 v0, v1 :: v_dual_mov_b32 v3, v1
	v_mov_b32_e32 v2, v1
	s_mov_b32 s9, s47
	s_mov_b32 s30, s33
	s_barrier_signal -1
	s_delay_alu instid0(VALU_DEP_1)
	v_dual_mov_b32 v8, v3 :: v_dual_mov_b32 v7, v2
	v_dual_mov_b32 v6, v1 :: v_dual_mov_b32 v5, v0
	s_barrier_wait -1
	global_inv scope:SCOPE_SE
	s_branch .LBB1049_354
.LBB1049_353:                           ;   in Loop: Header=BB1049_354 Depth=2
	s_wait_alu 0xfffe
	s_or_b32 exec_lo, exec_lo, s0
	s_addk_co_i32 s9, 0xf800
	s_cmp_ge_u32 s10, s34
	s_mov_b32 s30, s10
	s_cbranch_scc1 .LBB1049_390
.LBB1049_354:                           ;   Parent Loop BB1049_20 Depth=1
                                        ; =>  This Inner Loop Header: Depth=2
	s_wait_alu 0xfffe
	s_add_co_i32 s10, s30, 0x800
	s_mov_b32 s0, -1
	s_wait_alu 0xfffe
	s_cmp_gt_u32 s10, s34
                                        ; implicit-def: $vgpr9_vgpr10_vgpr11_vgpr12
	s_cbranch_scc1 .LBB1049_356
; %bb.355:                              ;   in Loop: Header=BB1049_354 Depth=2
	s_lshl_b64 s[0:1], s[30:31], 1
	s_wait_alu 0xfffe
	v_add_co_u32 v2, vcc_lo, v56, s0
	s_wait_alu 0xfffd
	v_add_co_ci_u32_e64 v3, null, s1, v57, vcc_lo
	s_mov_b32 s0, 0
	s_clause 0x3
	global_load_u16 v9, v[2:3], off
	global_load_u16 v10, v[2:3], off offset:1024
	global_load_u16 v11, v[2:3], off offset:2048
	;; [unrolled: 1-line block ×3, first 2 shown]
	s_wait_loadcnt 0x3
	global_load_d16_hi_b16 v9, v[2:3], off offset:512
	s_wait_loadcnt 0x3
	global_load_d16_hi_b16 v10, v[2:3], off offset:1536
	;; [unrolled: 2-line block ×4, first 2 shown]
.LBB1049_356:                           ;   in Loop: Header=BB1049_354 Depth=2
	s_wait_alu 0xfffe
	s_and_not1_b32 vcc_lo, exec_lo, s0
	s_movk_i32 s0, 0x800
	s_wait_alu 0xfffe
	s_cbranch_vccnz .LBB1049_367
; %bb.357:                              ;   in Loop: Header=BB1049_354 Depth=2
	s_lshl_b64 s[0:1], s[30:31], 1
	s_mov_b32 s11, exec_lo
	s_wait_alu 0xfffe
	s_add_nc_u64 s[0:1], s[36:37], s[0:1]
	v_cmpx_gt_u32_e64 s9, v13
	s_cbranch_execnz .LBB1049_383
; %bb.358:                              ;   in Loop: Header=BB1049_354 Depth=2
	s_or_b32 exec_lo, exec_lo, s11
	s_delay_alu instid0(SALU_CYCLE_1)
	s_mov_b32 s11, exec_lo
	v_cmpx_gt_u32_e64 s9, v29
	s_cbranch_execnz .LBB1049_384
.LBB1049_359:                           ;   in Loop: Header=BB1049_354 Depth=2
	s_wait_alu 0xfffe
	s_or_b32 exec_lo, exec_lo, s11
	s_delay_alu instid0(SALU_CYCLE_1)
	s_mov_b32 s11, exec_lo
	v_cmpx_gt_u32_e64 s9, v30
	s_cbranch_execnz .LBB1049_385
.LBB1049_360:                           ;   in Loop: Header=BB1049_354 Depth=2
	s_wait_alu 0xfffe
	s_or_b32 exec_lo, exec_lo, s11
	s_delay_alu instid0(SALU_CYCLE_1)
	s_mov_b32 s11, exec_lo
	v_cmpx_gt_u32_e64 s9, v31
	s_cbranch_execnz .LBB1049_386
.LBB1049_361:                           ;   in Loop: Header=BB1049_354 Depth=2
	s_wait_alu 0xfffe
	s_or_b32 exec_lo, exec_lo, s11
	s_delay_alu instid0(SALU_CYCLE_1)
	s_mov_b32 s11, exec_lo
	v_cmpx_gt_u32_e64 s9, v34
	s_cbranch_execnz .LBB1049_387
.LBB1049_362:                           ;   in Loop: Header=BB1049_354 Depth=2
	s_wait_alu 0xfffe
	s_or_b32 exec_lo, exec_lo, s11
	s_delay_alu instid0(SALU_CYCLE_1)
	s_mov_b32 s11, exec_lo
	v_cmpx_gt_u32_e64 s9, v35
	s_cbranch_execnz .LBB1049_388
.LBB1049_363:                           ;   in Loop: Header=BB1049_354 Depth=2
	s_wait_alu 0xfffe
	s_or_b32 exec_lo, exec_lo, s11
	s_delay_alu instid0(SALU_CYCLE_1)
	s_mov_b32 s11, exec_lo
	v_cmpx_gt_u32_e64 s9, v36
	s_cbranch_execnz .LBB1049_389
.LBB1049_364:                           ;   in Loop: Header=BB1049_354 Depth=2
	s_wait_alu 0xfffe
	s_or_b32 exec_lo, exec_lo, s11
	s_delay_alu instid0(SALU_CYCLE_1)
	s_mov_b32 s11, exec_lo
	v_cmpx_gt_u32_e64 s9, v37
	s_cbranch_execz .LBB1049_366
.LBB1049_365:                           ;   in Loop: Header=BB1049_354 Depth=2
	s_wait_loadcnt 0x0
	global_load_d16_hi_b16 v8, v79, s[0:1] offset:3584
.LBB1049_366:                           ;   in Loop: Header=BB1049_354 Depth=2
	s_wait_alu 0xfffe
	s_or_b32 exec_lo, exec_lo, s11
	s_wait_loadcnt 0x0
	v_dual_mov_b32 v12, v8 :: v_dual_mov_b32 v11, v7
	v_dual_mov_b32 v10, v6 :: v_dual_mov_b32 v9, v5
	s_mov_b32 s0, s9
.LBB1049_367:                           ;   in Loop: Header=BB1049_354 Depth=2
	s_wait_loadcnt 0x0
	s_delay_alu instid0(VALU_DEP_1)
	v_dual_mov_b32 v5, v9 :: v_dual_mov_b32 v6, v10
	v_dual_mov_b32 v7, v11 :: v_dual_mov_b32 v8, v12
	s_mov_b32 s1, exec_lo
	s_wait_alu 0xfffe
	v_cmpx_gt_u32_e64 s0, v13
	s_cbranch_execnz .LBB1049_375
; %bb.368:                              ;   in Loop: Header=BB1049_354 Depth=2
	s_or_b32 exec_lo, exec_lo, s1
	s_delay_alu instid0(SALU_CYCLE_1)
	s_mov_b32 s1, exec_lo
	v_cmpx_gt_u32_e64 s0, v29
	s_cbranch_execnz .LBB1049_376
.LBB1049_369:                           ;   in Loop: Header=BB1049_354 Depth=2
	s_wait_alu 0xfffe
	s_or_b32 exec_lo, exec_lo, s1
	s_delay_alu instid0(SALU_CYCLE_1)
	s_mov_b32 s1, exec_lo
	v_cmpx_gt_u32_e64 s0, v30
	s_cbranch_execnz .LBB1049_377
.LBB1049_370:                           ;   in Loop: Header=BB1049_354 Depth=2
	s_wait_alu 0xfffe
	s_or_b32 exec_lo, exec_lo, s1
	s_delay_alu instid0(SALU_CYCLE_1)
	s_mov_b32 s1, exec_lo
	v_cmpx_gt_u32_e64 s0, v31
	s_cbranch_execnz .LBB1049_378
.LBB1049_371:                           ;   in Loop: Header=BB1049_354 Depth=2
	s_wait_alu 0xfffe
	s_or_b32 exec_lo, exec_lo, s1
	s_delay_alu instid0(SALU_CYCLE_1)
	s_mov_b32 s1, exec_lo
	v_cmpx_gt_u32_e64 s0, v34
	s_cbranch_execnz .LBB1049_379
.LBB1049_372:                           ;   in Loop: Header=BB1049_354 Depth=2
	s_wait_alu 0xfffe
	s_or_b32 exec_lo, exec_lo, s1
	s_delay_alu instid0(SALU_CYCLE_1)
	s_mov_b32 s1, exec_lo
	v_cmpx_gt_u32_e64 s0, v35
	s_cbranch_execnz .LBB1049_380
.LBB1049_373:                           ;   in Loop: Header=BB1049_354 Depth=2
	s_wait_alu 0xfffe
	s_or_b32 exec_lo, exec_lo, s1
	s_delay_alu instid0(SALU_CYCLE_1)
	s_mov_b32 s1, exec_lo
	v_cmpx_gt_u32_e64 s0, v36
	s_cbranch_execnz .LBB1049_381
.LBB1049_374:                           ;   in Loop: Header=BB1049_354 Depth=2
	s_wait_alu 0xfffe
	s_or_b32 exec_lo, exec_lo, s1
	v_cmp_gt_u32_e32 vcc_lo, s0, v37
	s_and_saveexec_b32 s0, vcc_lo
	s_cbranch_execz .LBB1049_353
	s_branch .LBB1049_382
.LBB1049_375:                           ;   in Loop: Header=BB1049_354 Depth=2
	v_xor_b32_e32 v0, 0xffff8000, v5
	s_delay_alu instid0(VALU_DEP_1) | instskip(NEXT) | instid1(VALU_DEP_1)
	v_and_b32_e32 v0, 0xffff, v0
	v_lshrrev_b32_e32 v0, s45, v0
	s_delay_alu instid0(VALU_DEP_1) | instskip(NEXT) | instid1(VALU_DEP_1)
	v_and_b32_e32 v0, s42, v0
	v_lshl_or_b32 v0, v0, 4, v39
	ds_add_u32 v0, v63
	s_or_b32 exec_lo, exec_lo, s1
	s_delay_alu instid0(SALU_CYCLE_1)
	s_mov_b32 s1, exec_lo
	v_cmpx_gt_u32_e64 s0, v29
	s_cbranch_execz .LBB1049_369
.LBB1049_376:                           ;   in Loop: Header=BB1049_354 Depth=2
	v_lshrrev_b32_e32 v0, 16, v5
	s_delay_alu instid0(VALU_DEP_1) | instskip(NEXT) | instid1(VALU_DEP_1)
	v_xor_b32_e32 v0, 0xffff8000, v0
	v_and_b32_e32 v0, 0xffff, v0
	s_delay_alu instid0(VALU_DEP_1) | instskip(NEXT) | instid1(VALU_DEP_1)
	v_lshrrev_b32_e32 v0, s45, v0
	v_and_b32_e32 v0, s42, v0
	s_delay_alu instid0(VALU_DEP_1) | instskip(SKIP_3) | instid1(SALU_CYCLE_1)
	v_lshl_or_b32 v0, v0, 4, v39
	ds_add_u32 v0, v63
	s_wait_alu 0xfffe
	s_or_b32 exec_lo, exec_lo, s1
	s_mov_b32 s1, exec_lo
	v_cmpx_gt_u32_e64 s0, v30
	s_cbranch_execz .LBB1049_370
.LBB1049_377:                           ;   in Loop: Header=BB1049_354 Depth=2
	v_xor_b32_e32 v0, 0xffff8000, v6
	s_delay_alu instid0(VALU_DEP_1) | instskip(NEXT) | instid1(VALU_DEP_1)
	v_and_b32_e32 v0, 0xffff, v0
	v_lshrrev_b32_e32 v0, s45, v0
	s_delay_alu instid0(VALU_DEP_1) | instskip(NEXT) | instid1(VALU_DEP_1)
	v_and_b32_e32 v0, s42, v0
	v_lshl_or_b32 v0, v0, 4, v39
	ds_add_u32 v0, v63
	s_wait_alu 0xfffe
	s_or_b32 exec_lo, exec_lo, s1
	s_delay_alu instid0(SALU_CYCLE_1)
	s_mov_b32 s1, exec_lo
	v_cmpx_gt_u32_e64 s0, v31
	s_cbranch_execz .LBB1049_371
.LBB1049_378:                           ;   in Loop: Header=BB1049_354 Depth=2
	v_lshrrev_b32_e32 v0, 16, v6
	s_delay_alu instid0(VALU_DEP_1) | instskip(NEXT) | instid1(VALU_DEP_1)
	v_xor_b32_e32 v0, 0xffff8000, v0
	v_and_b32_e32 v0, 0xffff, v0
	s_delay_alu instid0(VALU_DEP_1) | instskip(NEXT) | instid1(VALU_DEP_1)
	v_lshrrev_b32_e32 v0, s45, v0
	v_and_b32_e32 v0, s42, v0
	s_delay_alu instid0(VALU_DEP_1) | instskip(SKIP_3) | instid1(SALU_CYCLE_1)
	v_lshl_or_b32 v0, v0, 4, v39
	ds_add_u32 v0, v63
	s_wait_alu 0xfffe
	s_or_b32 exec_lo, exec_lo, s1
	s_mov_b32 s1, exec_lo
	v_cmpx_gt_u32_e64 s0, v34
	s_cbranch_execz .LBB1049_372
.LBB1049_379:                           ;   in Loop: Header=BB1049_354 Depth=2
	v_xor_b32_e32 v0, 0xffff8000, v7
	s_delay_alu instid0(VALU_DEP_1) | instskip(NEXT) | instid1(VALU_DEP_1)
	v_and_b32_e32 v0, 0xffff, v0
	v_lshrrev_b32_e32 v0, s45, v0
	s_delay_alu instid0(VALU_DEP_1) | instskip(NEXT) | instid1(VALU_DEP_1)
	v_and_b32_e32 v0, s42, v0
	v_lshl_or_b32 v0, v0, 4, v39
	ds_add_u32 v0, v63
	s_wait_alu 0xfffe
	s_or_b32 exec_lo, exec_lo, s1
	s_delay_alu instid0(SALU_CYCLE_1)
	s_mov_b32 s1, exec_lo
	v_cmpx_gt_u32_e64 s0, v35
	s_cbranch_execz .LBB1049_373
.LBB1049_380:                           ;   in Loop: Header=BB1049_354 Depth=2
	v_lshrrev_b32_e32 v0, 16, v7
	s_delay_alu instid0(VALU_DEP_1) | instskip(NEXT) | instid1(VALU_DEP_1)
	v_xor_b32_e32 v0, 0xffff8000, v0
	v_and_b32_e32 v0, 0xffff, v0
	s_delay_alu instid0(VALU_DEP_1) | instskip(NEXT) | instid1(VALU_DEP_1)
	v_lshrrev_b32_e32 v0, s45, v0
	v_and_b32_e32 v0, s42, v0
	s_delay_alu instid0(VALU_DEP_1) | instskip(SKIP_3) | instid1(SALU_CYCLE_1)
	v_lshl_or_b32 v0, v0, 4, v39
	ds_add_u32 v0, v63
	s_wait_alu 0xfffe
	s_or_b32 exec_lo, exec_lo, s1
	s_mov_b32 s1, exec_lo
	v_cmpx_gt_u32_e64 s0, v36
	s_cbranch_execz .LBB1049_374
.LBB1049_381:                           ;   in Loop: Header=BB1049_354 Depth=2
	v_xor_b32_e32 v0, 0xffff8000, v8
	s_delay_alu instid0(VALU_DEP_1) | instskip(NEXT) | instid1(VALU_DEP_1)
	v_and_b32_e32 v0, 0xffff, v0
	v_lshrrev_b32_e32 v0, s45, v0
	s_delay_alu instid0(VALU_DEP_1) | instskip(NEXT) | instid1(VALU_DEP_1)
	v_and_b32_e32 v0, s42, v0
	v_lshl_or_b32 v0, v0, 4, v39
	ds_add_u32 v0, v63
	s_wait_alu 0xfffe
	s_or_b32 exec_lo, exec_lo, s1
	v_cmp_gt_u32_e32 vcc_lo, s0, v37
	s_and_saveexec_b32 s0, vcc_lo
	s_cbranch_execz .LBB1049_353
.LBB1049_382:                           ;   in Loop: Header=BB1049_354 Depth=2
	v_lshrrev_b32_e32 v0, 16, v8
	s_delay_alu instid0(VALU_DEP_1) | instskip(NEXT) | instid1(VALU_DEP_1)
	v_xor_b32_e32 v0, 0xffff8000, v0
	v_and_b32_e32 v0, 0xffff, v0
	s_delay_alu instid0(VALU_DEP_1) | instskip(NEXT) | instid1(VALU_DEP_1)
	v_lshrrev_b32_e32 v0, s45, v0
	v_and_b32_e32 v0, s42, v0
	s_delay_alu instid0(VALU_DEP_1)
	v_lshl_or_b32 v0, v0, 4, v39
	ds_add_u32 v0, v63
	s_branch .LBB1049_353
.LBB1049_383:                           ;   in Loop: Header=BB1049_354 Depth=2
	global_load_d16_b16 v5, v79, s[0:1]
	s_or_b32 exec_lo, exec_lo, s11
	s_delay_alu instid0(SALU_CYCLE_1)
	s_mov_b32 s11, exec_lo
	v_cmpx_gt_u32_e64 s9, v29
	s_cbranch_execz .LBB1049_359
.LBB1049_384:                           ;   in Loop: Header=BB1049_354 Depth=2
	s_wait_loadcnt 0x0
	global_load_d16_hi_b16 v5, v79, s[0:1] offset:512
	s_wait_alu 0xfffe
	s_or_b32 exec_lo, exec_lo, s11
	s_delay_alu instid0(SALU_CYCLE_1)
	s_mov_b32 s11, exec_lo
	v_cmpx_gt_u32_e64 s9, v30
	s_cbranch_execz .LBB1049_360
.LBB1049_385:                           ;   in Loop: Header=BB1049_354 Depth=2
	global_load_d16_b16 v6, v79, s[0:1] offset:1024
	s_wait_alu 0xfffe
	s_or_b32 exec_lo, exec_lo, s11
	s_delay_alu instid0(SALU_CYCLE_1)
	s_mov_b32 s11, exec_lo
	v_cmpx_gt_u32_e64 s9, v31
	s_cbranch_execz .LBB1049_361
.LBB1049_386:                           ;   in Loop: Header=BB1049_354 Depth=2
	s_wait_loadcnt 0x0
	global_load_d16_hi_b16 v6, v79, s[0:1] offset:1536
	s_wait_alu 0xfffe
	s_or_b32 exec_lo, exec_lo, s11
	s_delay_alu instid0(SALU_CYCLE_1)
	s_mov_b32 s11, exec_lo
	v_cmpx_gt_u32_e64 s9, v34
	s_cbranch_execz .LBB1049_362
.LBB1049_387:                           ;   in Loop: Header=BB1049_354 Depth=2
	global_load_d16_b16 v7, v79, s[0:1] offset:2048
	s_wait_alu 0xfffe
	s_or_b32 exec_lo, exec_lo, s11
	s_delay_alu instid0(SALU_CYCLE_1)
	s_mov_b32 s11, exec_lo
	v_cmpx_gt_u32_e64 s9, v35
	s_cbranch_execz .LBB1049_363
.LBB1049_388:                           ;   in Loop: Header=BB1049_354 Depth=2
	s_wait_loadcnt 0x0
	global_load_d16_hi_b16 v7, v79, s[0:1] offset:2560
	s_wait_alu 0xfffe
	s_or_b32 exec_lo, exec_lo, s11
	s_delay_alu instid0(SALU_CYCLE_1)
	s_mov_b32 s11, exec_lo
	v_cmpx_gt_u32_e64 s9, v36
	s_cbranch_execz .LBB1049_364
.LBB1049_389:                           ;   in Loop: Header=BB1049_354 Depth=2
	global_load_d16_b16 v8, v79, s[0:1] offset:3072
	s_wait_alu 0xfffe
	s_or_b32 exec_lo, exec_lo, s11
	s_delay_alu instid0(SALU_CYCLE_1)
	s_mov_b32 s11, exec_lo
	v_cmpx_gt_u32_e64 s9, v37
	s_cbranch_execnz .LBB1049_365
	s_branch .LBB1049_366
.LBB1049_390:                           ;   in Loop: Header=BB1049_20 Depth=1
	v_mov_b32_e32 v0, 0
	s_wait_dscnt 0x0
	s_barrier_signal -1
	s_barrier_wait -1
	global_inv scope:SCOPE_SE
	s_and_saveexec_b32 s0, s2
	s_cbranch_execz .LBB1049_392
; %bb.391:                              ;   in Loop: Header=BB1049_20 Depth=1
	ds_load_2addr_b64 v[5:8], v40 offset1:1
	s_wait_dscnt 0x0
	v_add_nc_u32_e32 v0, v6, v5
	s_delay_alu instid0(VALU_DEP_1)
	v_add3_u32 v0, v0, v7, v8
.LBB1049_392:                           ;   in Loop: Header=BB1049_20 Depth=1
	s_wait_alu 0xfffe
	s_or_b32 exec_lo, exec_lo, s0
	s_delay_alu instid0(VALU_DEP_1)
	v_mov_b32_dpp v2, v0 row_shr:1 row_mask:0xf bank_mask:0xf
	v_cmp_eq_u32_e64 s0, 0, v64
	v_cmp_lt_u32_e64 s1, 1, v64
	v_cmp_lt_u32_e64 s9, 3, v64
	;; [unrolled: 1-line block ×3, first 2 shown]
	v_cmp_eq_u32_e64 s11, 0, v66
	s_wait_alu 0xf1ff
	v_cndmask_b32_e64 v2, v2, 0, s0
	s_delay_alu instid0(VALU_DEP_1) | instskip(NEXT) | instid1(VALU_DEP_1)
	v_add_nc_u32_e32 v0, v2, v0
	v_mov_b32_dpp v2, v0 row_shr:2 row_mask:0xf bank_mask:0xf
	s_delay_alu instid0(VALU_DEP_1) | instskip(NEXT) | instid1(VALU_DEP_1)
	v_cndmask_b32_e64 v2, 0, v2, s1
	v_add_nc_u32_e32 v0, v0, v2
	s_delay_alu instid0(VALU_DEP_1) | instskip(NEXT) | instid1(VALU_DEP_1)
	v_mov_b32_dpp v2, v0 row_shr:4 row_mask:0xf bank_mask:0xf
	v_cndmask_b32_e64 v2, 0, v2, s9
	s_delay_alu instid0(VALU_DEP_1) | instskip(NEXT) | instid1(VALU_DEP_1)
	v_add_nc_u32_e32 v0, v0, v2
	v_mov_b32_dpp v2, v0 row_shr:8 row_mask:0xf bank_mask:0xf
	s_delay_alu instid0(VALU_DEP_1) | instskip(NEXT) | instid1(VALU_DEP_1)
	v_cndmask_b32_e64 v2, 0, v2, s10
	v_add_nc_u32_e32 v0, v0, v2
	ds_swizzle_b32 v2, v0 offset:swizzle(BROADCAST,32,15)
	s_wait_dscnt 0x0
	v_and_b32_e32 v2, v65, v2
	s_delay_alu instid0(VALU_DEP_1)
	v_add_nc_u32_e32 v0, v0, v2
	s_and_saveexec_b32 s12, s3
; %bb.393:                              ;   in Loop: Header=BB1049_20 Depth=1
	ds_store_b32 v41, v0
; %bb.394:                              ;   in Loop: Header=BB1049_20 Depth=1
	s_wait_alu 0xfffe
	s_or_b32 exec_lo, exec_lo, s12
	s_wait_loadcnt_dscnt 0x0
	s_barrier_signal -1
	s_barrier_wait -1
	global_inv scope:SCOPE_SE
	s_and_saveexec_b32 s12, s4
	s_cbranch_execz .LBB1049_396
; %bb.395:                              ;   in Loop: Header=BB1049_20 Depth=1
	ds_load_b32 v2, v42
	v_cmp_ne_u32_e32 vcc_lo, 0, v68
	s_wait_dscnt 0x0
	v_mov_b32_dpp v3, v2 row_shr:1 row_mask:0xf bank_mask:0xf
	s_wait_alu 0xfffd
	s_delay_alu instid0(VALU_DEP_1) | instskip(SKIP_1) | instid1(VALU_DEP_2)
	v_cndmask_b32_e32 v3, 0, v3, vcc_lo
	v_cmp_lt_u32_e32 vcc_lo, 1, v68
	v_add_nc_u32_e32 v2, v3, v2
	s_delay_alu instid0(VALU_DEP_1) | instskip(SKIP_1) | instid1(VALU_DEP_1)
	v_mov_b32_dpp v3, v2 row_shr:2 row_mask:0xf bank_mask:0xf
	s_wait_alu 0xfffd
	v_cndmask_b32_e32 v3, 0, v3, vcc_lo
	v_cmp_lt_u32_e32 vcc_lo, 3, v68
	s_delay_alu instid0(VALU_DEP_2) | instskip(NEXT) | instid1(VALU_DEP_1)
	v_add_nc_u32_e32 v2, v2, v3
	v_mov_b32_dpp v3, v2 row_shr:4 row_mask:0xf bank_mask:0xf
	s_wait_alu 0xfffd
	s_delay_alu instid0(VALU_DEP_1) | instskip(NEXT) | instid1(VALU_DEP_1)
	v_cndmask_b32_e32 v3, 0, v3, vcc_lo
	v_add_nc_u32_e32 v2, v2, v3
	ds_store_b32 v42, v2
.LBB1049_396:                           ;   in Loop: Header=BB1049_20 Depth=1
	s_wait_alu 0xfffe
	s_or_b32 exec_lo, exec_lo, s12
	v_mov_b32_e32 v2, 0
	s_wait_loadcnt_dscnt 0x0
	s_barrier_signal -1
	s_barrier_wait -1
	global_inv scope:SCOPE_SE
	s_and_saveexec_b32 s12, s5
; %bb.397:                              ;   in Loop: Header=BB1049_20 Depth=1
	ds_load_b32 v2, v44
; %bb.398:                              ;   in Loop: Header=BB1049_20 Depth=1
	s_wait_alu 0xfffe
	s_or_b32 exec_lo, exec_lo, s12
	v_cmp_gt_i32_e32 vcc_lo, 0, v69
	s_wait_dscnt 0x0
	v_add_nc_u32_e32 v0, v2, v0
	s_wait_loadcnt 0x0
	s_barrier_signal -1
	s_barrier_wait -1
	s_wait_alu 0xfffd
	v_cndmask_b32_e32 v3, v69, v60, vcc_lo
	global_inv scope:SCOPE_SE
	v_lshlrev_b32_e32 v84, 2, v3
	ds_bpermute_b32 v0, v84, v0
	s_and_saveexec_b32 s12, s2
	s_cbranch_execz .LBB1049_400
; %bb.399:                              ;   in Loop: Header=BB1049_20 Depth=1
	s_wait_dscnt 0x0
	v_cndmask_b32_e64 v0, v0, v2, s8
	s_delay_alu instid0(VALU_DEP_1)
	v_add_nc_u32_e32 v0, s33, v0
	ds_store_b32 v28, v0
.LBB1049_400:                           ;   in Loop: Header=BB1049_20 Depth=1
	s_wait_alu 0xfffe
	s_or_b32 exec_lo, exec_lo, s12
	s_load_b64 s[12:13], s[28:29], 0x0
	v_add_co_u32 v85, vcc_lo, v58, v70
	s_wait_alu 0xfffd
	v_add_co_ci_u32_e64 v86, null, 0, v59, vcc_lo
	v_add_co_u32 v87, vcc_lo, v61, v78
	s_wait_alu 0xfffd
	v_add_co_ci_u32_e64 v88, null, 0, v62, vcc_lo
	s_mov_b32 s43, s47
                                        ; implicit-def: $vgpr9_vgpr10
                                        ; implicit-def: $vgpr11_vgpr12
                                        ; implicit-def: $vgpr16_vgpr17
                                        ; implicit-def: $vgpr18_vgpr19
                                        ; implicit-def: $vgpr20_vgpr21
                                        ; implicit-def: $vgpr22_vgpr23
                                        ; implicit-def: $vgpr90
                                        ; implicit-def: $vgpr91
                                        ; implicit-def: $vgpr92
                                        ; implicit-def: $vgpr93
                                        ; implicit-def: $vgpr94
                                        ; implicit-def: $vgpr95
                                        ; implicit-def: $vgpr96
                                        ; implicit-def: $vgpr97
	s_wait_kmcnt 0x0
	s_cmp_lt_u32 ttmp7, s13
	s_cselect_b32 s30, 14, 20
	s_cmp_lt_u32 ttmp9, s12
	s_wait_alu 0xfffe
	s_add_nc_u64 s[14:15], s[28:29], s[30:31]
	s_cselect_b32 s30, 12, 18
	s_load_u16 s14, s[14:15], 0x0
	s_add_nc_u64 s[12:13], s[28:29], s[30:31]
	s_mov_b32 s30, s33
	s_load_u16 s12, s[12:13], 0x0
	v_cmp_lt_u32_e64 s13, 1, v68
	s_wait_dscnt 0x0
	s_wait_kmcnt 0x0
	v_mad_u32_u24 v0, v45, s14, v46
	v_cmp_lt_u32_e64 s14, 3, v68
	s_delay_alu instid0(VALU_DEP_2) | instskip(SKIP_1) | instid1(VALU_DEP_2)
	v_mad_co_u64_u32 v[2:3], null, v0, s12, v[13:14]
	v_cmp_eq_u32_e64 s12, 0, v68
                                        ; implicit-def: $vgpr14_vgpr15
	v_lshrrev_b32_e32 v0, 3, v2
                                        ; implicit-def: $vgpr2_vgpr3
	s_delay_alu instid0(VALU_DEP_1)
	v_and_b32_e32 v89, 0x1ffffffc, v0
	s_branch .LBB1049_402
.LBB1049_401:                           ;   in Loop: Header=BB1049_402 Depth=2
	s_wait_alu 0xfffe
	s_or_b32 exec_lo, exec_lo, s15
	s_addk_co_i32 s43, 0xf800
	s_cmp_lt_u32 s44, s34
	s_mov_b32 s30, s44
	s_cbranch_scc0 .LBB1049_514
.LBB1049_402:                           ;   Parent Loop BB1049_20 Depth=1
                                        ; =>  This Inner Loop Header: Depth=2
	s_wait_alu 0xfffe
	s_add_co_i32 s44, s30, 0x800
	s_wait_alu 0xfffe
	s_cmp_gt_u32 s44, s34
	s_cbranch_scc1 .LBB1049_404
; %bb.403:                              ;   in Loop: Header=BB1049_402 Depth=2
	s_lshl_b64 s[16:17], s[30:31], 1
	s_mov_b32 s15, -1
	s_wait_alu 0xfffe
	v_add_co_u32 v24, vcc_lo, v87, s16
	s_wait_alu 0xfffd
	v_add_co_ci_u32_e64 v25, null, s17, v88, vcc_lo
	s_clause 0x3
	global_load_u16 v5, v[24:25], off
	global_load_u16 v6, v[24:25], off offset:128
	global_load_u16 v7, v[24:25], off offset:256
	global_load_d16_b16 v8, v[24:25], off offset:384
	s_wait_loadcnt 0x3
	global_load_d16_hi_b16 v5, v[24:25], off offset:64
	s_wait_loadcnt 0x3
	global_load_d16_hi_b16 v6, v[24:25], off offset:192
	;; [unrolled: 2-line block ×3, first 2 shown]
	s_movk_i32 s16, 0x800
	s_cbranch_execz .LBB1049_405
	s_branch .LBB1049_414
.LBB1049_404:                           ;   in Loop: Header=BB1049_402 Depth=2
	s_mov_b32 s15, 0
                                        ; implicit-def: $vgpr5_vgpr6_vgpr7_vgpr8
	s_movk_i32 s16, 0x800
.LBB1049_405:                           ;   in Loop: Header=BB1049_402 Depth=2
	s_wait_loadcnt 0x0
	v_mov_b32_e32 v7, v4
	s_lshl_b64 s[16:17], s[30:31], 1
	v_dual_mov_b32 v5, v4 :: v_dual_mov_b32 v6, v4
	s_wait_alu 0xfffe
	v_add_co_u32 v24, vcc_lo, v87, s16
	v_mov_b32_e32 v8, v7
	s_wait_alu 0xfffd
	v_add_co_ci_u32_e64 v25, null, s17, v88, vcc_lo
	v_mov_b32_e32 v7, v6
	v_mov_b32_e32 v6, v5
	;; [unrolled: 1-line block ×3, first 2 shown]
	s_mov_b32 s15, exec_lo
	v_cmpx_gt_u32_e64 s43, v67
	s_cbranch_execnz .LBB1049_508
; %bb.406:                              ;   in Loop: Header=BB1049_402 Depth=2
	s_wait_alu 0xfffe
	s_or_b32 exec_lo, exec_lo, s15
	s_delay_alu instid0(SALU_CYCLE_1)
	s_mov_b32 s15, exec_lo
	v_cmpx_gt_u32_e64 s43, v71
	s_cbranch_execnz .LBB1049_509
.LBB1049_407:                           ;   in Loop: Header=BB1049_402 Depth=2
	s_wait_alu 0xfffe
	s_or_b32 exec_lo, exec_lo, s15
	s_delay_alu instid0(SALU_CYCLE_1)
	s_mov_b32 s15, exec_lo
	v_cmpx_gt_u32_e64 s43, v72
	s_cbranch_execnz .LBB1049_510
.LBB1049_408:                           ;   in Loop: Header=BB1049_402 Depth=2
	s_wait_alu 0xfffe
	s_or_b32 exec_lo, exec_lo, s15
	s_delay_alu instid0(SALU_CYCLE_1)
	s_mov_b32 s15, exec_lo
	v_cmpx_gt_u32_e64 s43, v73
	s_cbranch_execnz .LBB1049_511
.LBB1049_409:                           ;   in Loop: Header=BB1049_402 Depth=2
	s_wait_alu 0xfffe
	s_or_b32 exec_lo, exec_lo, s15
	s_delay_alu instid0(SALU_CYCLE_1)
	s_mov_b32 s15, exec_lo
	v_cmpx_gt_u32_e64 s43, v74
	s_cbranch_execnz .LBB1049_512
.LBB1049_410:                           ;   in Loop: Header=BB1049_402 Depth=2
	s_wait_alu 0xfffe
	s_or_b32 exec_lo, exec_lo, s15
	s_delay_alu instid0(SALU_CYCLE_1)
	s_mov_b32 s15, exec_lo
	v_cmpx_gt_u32_e64 s43, v75
	s_cbranch_execnz .LBB1049_513
.LBB1049_411:                           ;   in Loop: Header=BB1049_402 Depth=2
	s_wait_alu 0xfffe
	s_or_b32 exec_lo, exec_lo, s15
	s_delay_alu instid0(SALU_CYCLE_1)
	s_mov_b32 s15, exec_lo
	v_cmpx_gt_u32_e64 s43, v76
	s_cbranch_execz .LBB1049_413
.LBB1049_412:                           ;   in Loop: Header=BB1049_402 Depth=2
	global_load_d16_b16 v8, v[24:25], off offset:384
.LBB1049_413:                           ;   in Loop: Header=BB1049_402 Depth=2
	s_wait_alu 0xfffe
	s_or_b32 exec_lo, exec_lo, s15
	v_cmp_gt_u32_e64 s15, s43, v77
	s_sub_co_i32 s16, s34, s30
.LBB1049_414:                           ;   in Loop: Header=BB1049_402 Depth=2
	v_mov_b32_e32 v98, s43
	s_and_saveexec_b32 s17, s15
	s_cbranch_execz .LBB1049_416
; %bb.415:                              ;   in Loop: Header=BB1049_402 Depth=2
	s_lshl_b64 s[18:19], s[30:31], 1
	s_wait_alu 0xfffe
	v_mov_b32_e32 v98, s16
	v_add_co_u32 v24, vcc_lo, v87, s18
	s_wait_alu 0xfffd
	v_add_co_ci_u32_e64 v25, null, s19, v88, vcc_lo
	s_wait_loadcnt 0x0
	global_load_d16_hi_b16 v8, v[24:25], off offset:448
.LBB1049_416:                           ;   in Loop: Header=BB1049_402 Depth=2
	s_wait_alu 0xfffe
	s_or_b32 exec_lo, exec_lo, s17
	s_wait_loadcnt 0x0
	v_xor_b32_e32 v0, 0xffff8000, v5
	s_delay_alu instid0(VALU_DEP_1) | instskip(NEXT) | instid1(VALU_DEP_1)
	v_and_b32_e32 v24, 0xffff, v0
	v_lshrrev_b32_e32 v24, s45, v24
	s_delay_alu instid0(VALU_DEP_1) | instskip(NEXT) | instid1(VALU_DEP_1)
	v_and_b32_e32 v25, s42, v24
	v_and_b32_e32 v24, 1, v25
	v_lshlrev_b32_e32 v26, 30, v25
	v_lshlrev_b32_e32 v27, 29, v25
	;; [unrolled: 1-line block ×4, first 2 shown]
	v_add_co_u32 v24, s15, v24, -1
	s_wait_alu 0xf1ff
	v_cndmask_b32_e64 v100, 0, 1, s15
	v_not_b32_e32 v104, v26
	v_cmp_gt_i32_e64 s15, 0, v26
	v_not_b32_e32 v26, v27
	v_lshlrev_b32_e32 v102, 26, v25
	v_cmp_ne_u32_e32 vcc_lo, 0, v100
	v_ashrrev_i32_e32 v104, 31, v104
	v_lshlrev_b32_e32 v103, 25, v25
	v_ashrrev_i32_e32 v26, 31, v26
	v_lshlrev_b32_e32 v100, 24, v25
	s_wait_alu 0xfffd
	v_xor_b32_e32 v24, vcc_lo, v24
	v_cmp_gt_i32_e32 vcc_lo, 0, v27
	v_not_b32_e32 v27, v99
	s_wait_alu 0xf1ff
	v_xor_b32_e32 v104, s15, v104
	v_cmp_gt_i32_e64 s15, 0, v99
	v_and_b32_e32 v24, exec_lo, v24
	v_not_b32_e32 v99, v101
	v_ashrrev_i32_e32 v27, 31, v27
	s_wait_alu 0xfffd
	v_xor_b32_e32 v26, vcc_lo, v26
	v_cmp_gt_i32_e32 vcc_lo, 0, v101
	v_and_b32_e32 v24, v24, v104
	v_not_b32_e32 v101, v102
	v_ashrrev_i32_e32 v99, 31, v99
	s_wait_alu 0xf1ff
	v_xor_b32_e32 v27, s15, v27
	v_cmp_gt_i32_e64 s15, 0, v102
	v_and_b32_e32 v24, v24, v26
	v_not_b32_e32 v26, v103
	v_ashrrev_i32_e32 v101, 31, v101
	s_wait_alu 0xfffd
	v_xor_b32_e32 v99, vcc_lo, v99
	v_cmp_gt_i32_e32 vcc_lo, 0, v103
	v_and_b32_e32 v24, v24, v27
	v_not_b32_e32 v27, v100
	v_ashrrev_i32_e32 v26, 31, v26
	s_wait_alu 0xf1ff
	v_xor_b32_e32 v101, s15, v101
	v_cmp_gt_i32_e64 s15, 0, v100
	v_and_b32_e32 v24, v24, v99
	v_ashrrev_i32_e32 v27, 31, v27
	s_wait_alu 0xfffd
	v_xor_b32_e32 v26, vcc_lo, v26
	v_mul_u32_u24_e32 v25, 36, v25
	v_add_nc_u32_e32 v102, 0x420, v43
	v_and_b32_e32 v24, v24, v101
	s_wait_alu 0xf1ff
	v_xor_b32_e32 v27, s15, v27
	v_add_nc_u32_e32 v101, 0x438, v43
	v_add_nc_u32_e32 v103, 0x428, v43
	;; [unrolled: 1-line block ×3, first 2 shown]
	v_and_b32_e32 v24, v24, v26
	v_add_nc_u32_e32 v105, v89, v25
	ds_store_2addr_b32 v101, v1, v1 offset1:1
	ds_store_2addr_b32 v102, v1, v1 offset1:1
	;; [unrolled: 1-line block ×4, first 2 shown]
	ds_store_b32 v43, v1 offset:1088
	s_wait_dscnt 0x0
	v_and_b32_e32 v24, v24, v27
	s_barrier_signal -1
	s_barrier_wait -1
	global_inv scope:SCOPE_SE
	v_mbcnt_lo_u32_b32 v99, v24, 0
	v_cmp_ne_u32_e64 s15, 0, v24
	; wave barrier
	s_delay_alu instid0(VALU_DEP_2)
	v_cmp_eq_u32_e32 vcc_lo, 0, v99
	s_and_b32 s16, s15, vcc_lo
	s_wait_alu 0xfffe
	s_and_saveexec_b32 s15, s16
; %bb.417:                              ;   in Loop: Header=BB1049_402 Depth=2
	v_bcnt_u32_b32 v24, v24, 0
	ds_store_b32 v105, v24 offset:1056
; %bb.418:                              ;   in Loop: Header=BB1049_402 Depth=2
	s_wait_alu 0xfffe
	s_or_b32 exec_lo, exec_lo, s15
	v_lshrrev_b32_e32 v5, 16, v5
	; wave barrier
	s_delay_alu instid0(VALU_DEP_1) | instskip(NEXT) | instid1(VALU_DEP_1)
	v_xor_b32_e32 v100, 0xffff8000, v5
	v_and_b32_e32 v5, 0xffff, v100
	s_delay_alu instid0(VALU_DEP_1) | instskip(NEXT) | instid1(VALU_DEP_1)
	v_lshrrev_b32_e32 v5, s45, v5
	v_and_b32_e32 v24, s42, v5
	s_delay_alu instid0(VALU_DEP_1)
	v_and_b32_e32 v5, 1, v24
	v_lshlrev_b32_e32 v25, 30, v24
	v_lshlrev_b32_e32 v26, 29, v24
	v_lshlrev_b32_e32 v27, 28, v24
	v_lshlrev_b32_e32 v107, 27, v24
	v_add_co_u32 v5, s15, v5, -1
	s_wait_alu 0xf1ff
	v_cndmask_b32_e64 v106, 0, 1, s15
	v_not_b32_e32 v110, v25
	v_cmp_gt_i32_e64 s15, 0, v25
	v_not_b32_e32 v25, v26
	v_lshlrev_b32_e32 v108, 26, v24
	v_cmp_ne_u32_e32 vcc_lo, 0, v106
	v_ashrrev_i32_e32 v110, 31, v110
	v_lshlrev_b32_e32 v109, 25, v24
	v_ashrrev_i32_e32 v25, 31, v25
	v_lshlrev_b32_e32 v106, 24, v24
	s_wait_alu 0xfffd
	v_xor_b32_e32 v5, vcc_lo, v5
	v_cmp_gt_i32_e32 vcc_lo, 0, v26
	v_not_b32_e32 v26, v27
	s_wait_alu 0xf1ff
	v_xor_b32_e32 v110, s15, v110
	v_cmp_gt_i32_e64 s15, 0, v27
	v_and_b32_e32 v5, exec_lo, v5
	v_not_b32_e32 v27, v107
	v_ashrrev_i32_e32 v26, 31, v26
	s_wait_alu 0xfffd
	v_xor_b32_e32 v25, vcc_lo, v25
	v_cmp_gt_i32_e32 vcc_lo, 0, v107
	v_and_b32_e32 v5, v5, v110
	v_not_b32_e32 v107, v108
	v_ashrrev_i32_e32 v27, 31, v27
	s_wait_alu 0xf1ff
	v_xor_b32_e32 v26, s15, v26
	v_cmp_gt_i32_e64 s15, 0, v108
	v_and_b32_e32 v5, v5, v25
	v_not_b32_e32 v25, v109
	v_ashrrev_i32_e32 v107, 31, v107
	s_wait_alu 0xfffd
	v_xor_b32_e32 v27, vcc_lo, v27
	v_cmp_gt_i32_e32 vcc_lo, 0, v109
	v_and_b32_e32 v5, v5, v26
	v_not_b32_e32 v26, v106
	v_ashrrev_i32_e32 v25, 31, v25
	s_wait_alu 0xf1ff
	v_xor_b32_e32 v107, s15, v107
	v_cmp_gt_i32_e64 s15, 0, v106
	v_and_b32_e32 v5, v5, v27
	v_ashrrev_i32_e32 v26, 31, v26
	s_wait_alu 0xfffd
	v_xor_b32_e32 v25, vcc_lo, v25
	v_mad_u32_u24 v27, v24, 36, v89
	v_mul_u32_u24_e32 v24, 36, v24
	v_and_b32_e32 v5, v5, v107
	s_wait_alu 0xf1ff
	v_xor_b32_e32 v26, s15, v26
	ds_load_b32 v106, v27 offset:1056
	v_add_nc_u32_e32 v109, v89, v24
	v_and_b32_e32 v5, v5, v25
	; wave barrier
	s_delay_alu instid0(VALU_DEP_1) | instskip(NEXT) | instid1(VALU_DEP_1)
	v_and_b32_e32 v5, v5, v26
	v_mbcnt_lo_u32_b32 v107, v5, 0
	v_cmp_ne_u32_e64 s15, 0, v5
	s_delay_alu instid0(VALU_DEP_2)
	v_cmp_eq_u32_e32 vcc_lo, 0, v107
	s_and_b32 s16, s15, vcc_lo
	s_wait_alu 0xfffe
	s_and_saveexec_b32 s15, s16
	s_cbranch_execz .LBB1049_420
; %bb.419:                              ;   in Loop: Header=BB1049_402 Depth=2
	s_wait_dscnt 0x0
	v_bcnt_u32_b32 v5, v5, v106
	ds_store_b32 v109, v5 offset:1056
.LBB1049_420:                           ;   in Loop: Header=BB1049_402 Depth=2
	s_wait_alu 0xfffe
	s_or_b32 exec_lo, exec_lo, s15
	v_xor_b32_e32 v108, 0xffff8000, v6
	; wave barrier
	s_delay_alu instid0(VALU_DEP_1) | instskip(NEXT) | instid1(VALU_DEP_1)
	v_and_b32_e32 v5, 0xffff, v108
	v_lshrrev_b32_e32 v5, s45, v5
	s_delay_alu instid0(VALU_DEP_1) | instskip(NEXT) | instid1(VALU_DEP_1)
	v_and_b32_e32 v24, s42, v5
	v_and_b32_e32 v5, 1, v24
	v_lshlrev_b32_e32 v25, 30, v24
	v_lshlrev_b32_e32 v26, 29, v24
	;; [unrolled: 1-line block ×4, first 2 shown]
	v_add_co_u32 v5, s15, v5, -1
	s_wait_alu 0xf1ff
	v_cndmask_b32_e64 v110, 0, 1, s15
	v_not_b32_e32 v114, v25
	v_cmp_gt_i32_e64 s15, 0, v25
	v_not_b32_e32 v25, v26
	v_lshlrev_b32_e32 v112, 26, v24
	v_cmp_ne_u32_e32 vcc_lo, 0, v110
	v_ashrrev_i32_e32 v114, 31, v114
	v_lshlrev_b32_e32 v113, 25, v24
	v_ashrrev_i32_e32 v25, 31, v25
	v_lshlrev_b32_e32 v110, 24, v24
	s_wait_alu 0xfffd
	v_xor_b32_e32 v5, vcc_lo, v5
	v_cmp_gt_i32_e32 vcc_lo, 0, v26
	v_not_b32_e32 v26, v27
	s_wait_alu 0xf1ff
	v_xor_b32_e32 v114, s15, v114
	v_cmp_gt_i32_e64 s15, 0, v27
	v_and_b32_e32 v5, exec_lo, v5
	v_not_b32_e32 v27, v111
	v_ashrrev_i32_e32 v26, 31, v26
	s_wait_alu 0xfffd
	v_xor_b32_e32 v25, vcc_lo, v25
	v_cmp_gt_i32_e32 vcc_lo, 0, v111
	v_and_b32_e32 v5, v5, v114
	v_not_b32_e32 v111, v112
	v_ashrrev_i32_e32 v27, 31, v27
	s_wait_alu 0xf1ff
	v_xor_b32_e32 v26, s15, v26
	v_cmp_gt_i32_e64 s15, 0, v112
	v_and_b32_e32 v5, v5, v25
	v_not_b32_e32 v25, v113
	v_ashrrev_i32_e32 v111, 31, v111
	s_wait_alu 0xfffd
	v_xor_b32_e32 v27, vcc_lo, v27
	v_cmp_gt_i32_e32 vcc_lo, 0, v113
	v_and_b32_e32 v5, v5, v26
	v_not_b32_e32 v26, v110
	v_ashrrev_i32_e32 v25, 31, v25
	s_wait_alu 0xf1ff
	v_xor_b32_e32 v111, s15, v111
	v_cmp_gt_i32_e64 s15, 0, v110
	v_and_b32_e32 v5, v5, v27
	v_ashrrev_i32_e32 v26, 31, v26
	s_wait_alu 0xfffd
	v_xor_b32_e32 v25, vcc_lo, v25
	v_mad_u32_u24 v27, v24, 36, v89
	v_mul_u32_u24_e32 v24, 36, v24
	v_and_b32_e32 v5, v5, v111
	s_wait_alu 0xf1ff
	v_xor_b32_e32 v26, s15, v26
	ds_load_b32 v110, v27 offset:1056
	v_add_nc_u32_e32 v113, v89, v24
	v_and_b32_e32 v5, v5, v25
	; wave barrier
	s_delay_alu instid0(VALU_DEP_1) | instskip(NEXT) | instid1(VALU_DEP_1)
	v_and_b32_e32 v5, v5, v26
	v_mbcnt_lo_u32_b32 v112, v5, 0
	v_cmp_ne_u32_e64 s15, 0, v5
	s_delay_alu instid0(VALU_DEP_2)
	v_cmp_eq_u32_e32 vcc_lo, 0, v112
	s_and_b32 s16, s15, vcc_lo
	s_wait_alu 0xfffe
	s_and_saveexec_b32 s15, s16
	s_cbranch_execz .LBB1049_422
; %bb.421:                              ;   in Loop: Header=BB1049_402 Depth=2
	s_wait_dscnt 0x0
	v_bcnt_u32_b32 v5, v5, v110
	ds_store_b32 v113, v5 offset:1056
.LBB1049_422:                           ;   in Loop: Header=BB1049_402 Depth=2
	s_wait_alu 0xfffe
	s_or_b32 exec_lo, exec_lo, s15
	v_lshrrev_b32_e32 v5, 16, v6
	; wave barrier
	s_delay_alu instid0(VALU_DEP_1) | instskip(NEXT) | instid1(VALU_DEP_1)
	v_xor_b32_e32 v111, 0xffff8000, v5
	v_and_b32_e32 v5, 0xffff, v111
	s_delay_alu instid0(VALU_DEP_1) | instskip(NEXT) | instid1(VALU_DEP_1)
	v_lshrrev_b32_e32 v5, s45, v5
	v_and_b32_e32 v6, s42, v5
	s_delay_alu instid0(VALU_DEP_1)
	v_and_b32_e32 v5, 1, v6
	v_lshlrev_b32_e32 v24, 30, v6
	v_lshlrev_b32_e32 v25, 29, v6
	;; [unrolled: 1-line block ×4, first 2 shown]
	v_add_co_u32 v5, s15, v5, -1
	s_wait_alu 0xf1ff
	v_cndmask_b32_e64 v27, 0, 1, s15
	v_not_b32_e32 v117, v24
	v_cmp_gt_i32_e64 s15, 0, v24
	v_not_b32_e32 v24, v25
	v_lshlrev_b32_e32 v115, 26, v6
	v_cmp_ne_u32_e32 vcc_lo, 0, v27
	v_ashrrev_i32_e32 v117, 31, v117
	v_lshlrev_b32_e32 v116, 25, v6
	v_ashrrev_i32_e32 v24, 31, v24
	v_lshlrev_b32_e32 v27, 24, v6
	s_wait_alu 0xfffd
	v_xor_b32_e32 v5, vcc_lo, v5
	v_cmp_gt_i32_e32 vcc_lo, 0, v25
	v_not_b32_e32 v25, v26
	s_wait_alu 0xf1ff
	v_xor_b32_e32 v117, s15, v117
	v_cmp_gt_i32_e64 s15, 0, v26
	v_and_b32_e32 v5, exec_lo, v5
	v_not_b32_e32 v26, v114
	v_ashrrev_i32_e32 v25, 31, v25
	s_wait_alu 0xfffd
	v_xor_b32_e32 v24, vcc_lo, v24
	v_cmp_gt_i32_e32 vcc_lo, 0, v114
	v_and_b32_e32 v5, v5, v117
	v_not_b32_e32 v114, v115
	v_ashrrev_i32_e32 v26, 31, v26
	s_wait_alu 0xf1ff
	v_xor_b32_e32 v25, s15, v25
	v_cmp_gt_i32_e64 s15, 0, v115
	v_and_b32_e32 v5, v5, v24
	v_not_b32_e32 v24, v116
	v_ashrrev_i32_e32 v114, 31, v114
	s_wait_alu 0xfffd
	v_xor_b32_e32 v26, vcc_lo, v26
	v_cmp_gt_i32_e32 vcc_lo, 0, v116
	v_and_b32_e32 v5, v5, v25
	v_not_b32_e32 v25, v27
	v_ashrrev_i32_e32 v24, 31, v24
	s_wait_alu 0xf1ff
	v_xor_b32_e32 v114, s15, v114
	v_cmp_gt_i32_e64 s15, 0, v27
	v_and_b32_e32 v5, v5, v26
	v_ashrrev_i32_e32 v25, 31, v25
	s_wait_alu 0xfffd
	v_xor_b32_e32 v24, vcc_lo, v24
	v_mad_u32_u24 v26, v6, 36, v89
	v_mul_u32_u24_e32 v6, 36, v6
	v_and_b32_e32 v5, v5, v114
	s_wait_alu 0xf1ff
	v_xor_b32_e32 v25, s15, v25
	ds_load_b32 v114, v26 offset:1056
	v_add_nc_u32_e32 v117, v89, v6
	v_and_b32_e32 v5, v5, v24
	; wave barrier
	s_delay_alu instid0(VALU_DEP_1) | instskip(NEXT) | instid1(VALU_DEP_1)
	v_and_b32_e32 v5, v5, v25
	v_mbcnt_lo_u32_b32 v116, v5, 0
	v_cmp_ne_u32_e64 s15, 0, v5
	s_delay_alu instid0(VALU_DEP_2)
	v_cmp_eq_u32_e32 vcc_lo, 0, v116
	s_and_b32 s16, s15, vcc_lo
	s_wait_alu 0xfffe
	s_and_saveexec_b32 s15, s16
	s_cbranch_execz .LBB1049_424
; %bb.423:                              ;   in Loop: Header=BB1049_402 Depth=2
	s_wait_dscnt 0x0
	v_bcnt_u32_b32 v5, v5, v114
	ds_store_b32 v117, v5 offset:1056
.LBB1049_424:                           ;   in Loop: Header=BB1049_402 Depth=2
	s_wait_alu 0xfffe
	s_or_b32 exec_lo, exec_lo, s15
	v_xor_b32_e32 v115, 0xffff8000, v7
	; wave barrier
	s_delay_alu instid0(VALU_DEP_1) | instskip(NEXT) | instid1(VALU_DEP_1)
	v_and_b32_e32 v5, 0xffff, v115
	v_lshrrev_b32_e32 v5, s45, v5
	s_delay_alu instid0(VALU_DEP_1) | instskip(NEXT) | instid1(VALU_DEP_1)
	v_and_b32_e32 v6, s42, v5
	v_and_b32_e32 v5, 1, v6
	v_lshlrev_b32_e32 v24, 30, v6
	v_lshlrev_b32_e32 v25, 29, v6
	;; [unrolled: 1-line block ×4, first 2 shown]
	v_add_co_u32 v5, s15, v5, -1
	s_wait_alu 0xf1ff
	v_cndmask_b32_e64 v27, 0, 1, s15
	v_not_b32_e32 v121, v24
	v_cmp_gt_i32_e64 s15, 0, v24
	v_not_b32_e32 v24, v25
	v_lshlrev_b32_e32 v119, 26, v6
	v_cmp_ne_u32_e32 vcc_lo, 0, v27
	v_ashrrev_i32_e32 v121, 31, v121
	v_lshlrev_b32_e32 v120, 25, v6
	v_ashrrev_i32_e32 v24, 31, v24
	v_lshlrev_b32_e32 v27, 24, v6
	s_wait_alu 0xfffd
	v_xor_b32_e32 v5, vcc_lo, v5
	v_cmp_gt_i32_e32 vcc_lo, 0, v25
	v_not_b32_e32 v25, v26
	s_wait_alu 0xf1ff
	v_xor_b32_e32 v121, s15, v121
	v_cmp_gt_i32_e64 s15, 0, v26
	v_and_b32_e32 v5, exec_lo, v5
	v_not_b32_e32 v26, v118
	v_ashrrev_i32_e32 v25, 31, v25
	s_wait_alu 0xfffd
	v_xor_b32_e32 v24, vcc_lo, v24
	v_cmp_gt_i32_e32 vcc_lo, 0, v118
	v_and_b32_e32 v5, v5, v121
	v_not_b32_e32 v118, v119
	v_ashrrev_i32_e32 v26, 31, v26
	s_wait_alu 0xf1ff
	v_xor_b32_e32 v25, s15, v25
	v_cmp_gt_i32_e64 s15, 0, v119
	v_and_b32_e32 v5, v5, v24
	v_not_b32_e32 v24, v120
	v_ashrrev_i32_e32 v118, 31, v118
	s_wait_alu 0xfffd
	v_xor_b32_e32 v26, vcc_lo, v26
	v_cmp_gt_i32_e32 vcc_lo, 0, v120
	v_and_b32_e32 v5, v5, v25
	v_not_b32_e32 v25, v27
	v_ashrrev_i32_e32 v24, 31, v24
	s_wait_alu 0xf1ff
	v_xor_b32_e32 v118, s15, v118
	v_cmp_gt_i32_e64 s15, 0, v27
	v_and_b32_e32 v5, v5, v26
	v_ashrrev_i32_e32 v25, 31, v25
	s_wait_alu 0xfffd
	v_xor_b32_e32 v24, vcc_lo, v24
	v_mad_u32_u24 v26, v6, 36, v89
	v_mul_u32_u24_e32 v6, 36, v6
	v_and_b32_e32 v5, v5, v118
	s_wait_alu 0xf1ff
	v_xor_b32_e32 v25, s15, v25
	ds_load_b32 v118, v26 offset:1056
	v_add_nc_u32_e32 v121, v89, v6
	v_and_b32_e32 v5, v5, v24
	; wave barrier
	s_delay_alu instid0(VALU_DEP_1) | instskip(NEXT) | instid1(VALU_DEP_1)
	v_and_b32_e32 v5, v5, v25
	v_mbcnt_lo_u32_b32 v120, v5, 0
	v_cmp_ne_u32_e64 s15, 0, v5
	s_delay_alu instid0(VALU_DEP_2)
	v_cmp_eq_u32_e32 vcc_lo, 0, v120
	s_and_b32 s16, s15, vcc_lo
	s_wait_alu 0xfffe
	s_and_saveexec_b32 s15, s16
	s_cbranch_execz .LBB1049_426
; %bb.425:                              ;   in Loop: Header=BB1049_402 Depth=2
	s_wait_dscnt 0x0
	v_bcnt_u32_b32 v5, v5, v118
	ds_store_b32 v121, v5 offset:1056
.LBB1049_426:                           ;   in Loop: Header=BB1049_402 Depth=2
	s_wait_alu 0xfffe
	s_or_b32 exec_lo, exec_lo, s15
	v_lshrrev_b32_e32 v5, 16, v7
	; wave barrier
	s_delay_alu instid0(VALU_DEP_1) | instskip(NEXT) | instid1(VALU_DEP_1)
	v_xor_b32_e32 v119, 0xffff8000, v5
	v_and_b32_e32 v5, 0xffff, v119
	s_delay_alu instid0(VALU_DEP_1) | instskip(NEXT) | instid1(VALU_DEP_1)
	v_lshrrev_b32_e32 v5, s45, v5
	v_and_b32_e32 v6, s42, v5
	s_delay_alu instid0(VALU_DEP_1)
	v_and_b32_e32 v5, 1, v6
	v_lshlrev_b32_e32 v7, 30, v6
	v_lshlrev_b32_e32 v24, 29, v6
	;; [unrolled: 1-line block ×4, first 2 shown]
	v_add_co_u32 v5, s15, v5, -1
	s_wait_alu 0xf1ff
	v_cndmask_b32_e64 v26, 0, 1, s15
	v_not_b32_e32 v124, v7
	v_cmp_gt_i32_e64 s15, 0, v7
	v_not_b32_e32 v7, v24
	v_lshlrev_b32_e32 v122, 26, v6
	v_cmp_ne_u32_e32 vcc_lo, 0, v26
	v_ashrrev_i32_e32 v124, 31, v124
	v_lshlrev_b32_e32 v123, 25, v6
	v_ashrrev_i32_e32 v7, 31, v7
	v_lshlrev_b32_e32 v26, 24, v6
	s_wait_alu 0xfffd
	v_xor_b32_e32 v5, vcc_lo, v5
	v_cmp_gt_i32_e32 vcc_lo, 0, v24
	v_not_b32_e32 v24, v25
	s_wait_alu 0xf1ff
	v_xor_b32_e32 v124, s15, v124
	v_cmp_gt_i32_e64 s15, 0, v25
	v_and_b32_e32 v5, exec_lo, v5
	v_not_b32_e32 v25, v27
	v_ashrrev_i32_e32 v24, 31, v24
	s_wait_alu 0xfffd
	v_xor_b32_e32 v7, vcc_lo, v7
	v_cmp_gt_i32_e32 vcc_lo, 0, v27
	v_and_b32_e32 v5, v5, v124
	v_not_b32_e32 v27, v122
	v_ashrrev_i32_e32 v25, 31, v25
	s_wait_alu 0xf1ff
	v_xor_b32_e32 v24, s15, v24
	v_cmp_gt_i32_e64 s15, 0, v122
	v_and_b32_e32 v5, v5, v7
	v_not_b32_e32 v7, v123
	v_ashrrev_i32_e32 v27, 31, v27
	s_wait_alu 0xfffd
	v_xor_b32_e32 v25, vcc_lo, v25
	v_cmp_gt_i32_e32 vcc_lo, 0, v123
	v_and_b32_e32 v5, v5, v24
	v_not_b32_e32 v24, v26
	v_ashrrev_i32_e32 v7, 31, v7
	s_wait_alu 0xf1ff
	v_xor_b32_e32 v27, s15, v27
	v_cmp_gt_i32_e64 s15, 0, v26
	v_and_b32_e32 v5, v5, v25
	v_ashrrev_i32_e32 v24, 31, v24
	s_wait_alu 0xfffd
	v_xor_b32_e32 v7, vcc_lo, v7
	v_mad_u32_u24 v25, v6, 36, v89
	v_mul_u32_u24_e32 v6, 36, v6
	v_and_b32_e32 v5, v5, v27
	s_wait_alu 0xf1ff
	v_xor_b32_e32 v24, s15, v24
	ds_load_b32 v122, v25 offset:1056
	v_add_nc_u32_e32 v125, v89, v6
	v_and_b32_e32 v5, v5, v7
	; wave barrier
	s_delay_alu instid0(VALU_DEP_1) | instskip(NEXT) | instid1(VALU_DEP_1)
	v_and_b32_e32 v5, v5, v24
	v_mbcnt_lo_u32_b32 v124, v5, 0
	v_cmp_ne_u32_e64 s15, 0, v5
	s_delay_alu instid0(VALU_DEP_2)
	v_cmp_eq_u32_e32 vcc_lo, 0, v124
	s_and_b32 s16, s15, vcc_lo
	s_wait_alu 0xfffe
	s_and_saveexec_b32 s15, s16
	s_cbranch_execz .LBB1049_428
; %bb.427:                              ;   in Loop: Header=BB1049_402 Depth=2
	s_wait_dscnt 0x0
	v_bcnt_u32_b32 v5, v5, v122
	ds_store_b32 v125, v5 offset:1056
.LBB1049_428:                           ;   in Loop: Header=BB1049_402 Depth=2
	s_wait_alu 0xfffe
	s_or_b32 exec_lo, exec_lo, s15
	v_xor_b32_e32 v123, 0xffff8000, v8
	; wave barrier
	s_delay_alu instid0(VALU_DEP_1) | instskip(NEXT) | instid1(VALU_DEP_1)
	v_and_b32_e32 v5, 0xffff, v123
	v_lshrrev_b32_e32 v5, s45, v5
	s_delay_alu instid0(VALU_DEP_1) | instskip(NEXT) | instid1(VALU_DEP_1)
	v_and_b32_e32 v6, s42, v5
	v_and_b32_e32 v5, 1, v6
	v_lshlrev_b32_e32 v7, 30, v6
	v_lshlrev_b32_e32 v24, 29, v6
	;; [unrolled: 1-line block ×4, first 2 shown]
	v_add_co_u32 v5, s15, v5, -1
	s_wait_alu 0xf1ff
	v_cndmask_b32_e64 v26, 0, 1, s15
	v_not_b32_e32 v128, v7
	v_cmp_gt_i32_e64 s15, 0, v7
	v_not_b32_e32 v7, v24
	v_lshlrev_b32_e32 v126, 26, v6
	v_cmp_ne_u32_e32 vcc_lo, 0, v26
	v_ashrrev_i32_e32 v128, 31, v128
	v_lshlrev_b32_e32 v127, 25, v6
	v_ashrrev_i32_e32 v7, 31, v7
	v_lshlrev_b32_e32 v26, 24, v6
	s_wait_alu 0xfffd
	v_xor_b32_e32 v5, vcc_lo, v5
	v_cmp_gt_i32_e32 vcc_lo, 0, v24
	v_not_b32_e32 v24, v25
	s_wait_alu 0xf1ff
	v_xor_b32_e32 v128, s15, v128
	v_cmp_gt_i32_e64 s15, 0, v25
	v_and_b32_e32 v5, exec_lo, v5
	v_not_b32_e32 v25, v27
	v_ashrrev_i32_e32 v24, 31, v24
	s_wait_alu 0xfffd
	v_xor_b32_e32 v7, vcc_lo, v7
	v_cmp_gt_i32_e32 vcc_lo, 0, v27
	v_and_b32_e32 v5, v5, v128
	v_not_b32_e32 v27, v126
	v_ashrrev_i32_e32 v25, 31, v25
	s_wait_alu 0xf1ff
	v_xor_b32_e32 v24, s15, v24
	v_cmp_gt_i32_e64 s15, 0, v126
	v_and_b32_e32 v5, v5, v7
	v_not_b32_e32 v7, v127
	v_ashrrev_i32_e32 v27, 31, v27
	s_wait_alu 0xfffd
	v_xor_b32_e32 v25, vcc_lo, v25
	v_cmp_gt_i32_e32 vcc_lo, 0, v127
	v_and_b32_e32 v5, v5, v24
	v_not_b32_e32 v24, v26
	v_ashrrev_i32_e32 v7, 31, v7
	s_wait_alu 0xf1ff
	v_xor_b32_e32 v27, s15, v27
	v_cmp_gt_i32_e64 s15, 0, v26
	v_and_b32_e32 v5, v5, v25
	v_ashrrev_i32_e32 v24, 31, v24
	s_wait_alu 0xfffd
	v_xor_b32_e32 v7, vcc_lo, v7
	v_mad_u32_u24 v25, v6, 36, v89
	v_mul_u32_u24_e32 v6, 36, v6
	v_and_b32_e32 v5, v5, v27
	s_wait_alu 0xf1ff
	v_xor_b32_e32 v24, s15, v24
	ds_load_b32 v126, v25 offset:1056
	v_add_nc_u32_e32 v129, v89, v6
	v_and_b32_e32 v5, v5, v7
	; wave barrier
	s_delay_alu instid0(VALU_DEP_1) | instskip(NEXT) | instid1(VALU_DEP_1)
	v_and_b32_e32 v5, v5, v24
	v_mbcnt_lo_u32_b32 v127, v5, 0
	v_cmp_ne_u32_e64 s15, 0, v5
	s_delay_alu instid0(VALU_DEP_2)
	v_cmp_eq_u32_e32 vcc_lo, 0, v127
	s_and_b32 s16, s15, vcc_lo
	s_wait_alu 0xfffe
	s_and_saveexec_b32 s15, s16
	s_cbranch_execz .LBB1049_430
; %bb.429:                              ;   in Loop: Header=BB1049_402 Depth=2
	s_wait_dscnt 0x0
	v_bcnt_u32_b32 v5, v5, v126
	ds_store_b32 v129, v5 offset:1056
.LBB1049_430:                           ;   in Loop: Header=BB1049_402 Depth=2
	s_wait_alu 0xfffe
	s_or_b32 exec_lo, exec_lo, s15
	v_lshrrev_b32_e32 v5, 16, v8
	; wave barrier
	s_delay_alu instid0(VALU_DEP_1) | instskip(NEXT) | instid1(VALU_DEP_1)
	v_xor_b32_e32 v128, 0xffff8000, v5
	v_and_b32_e32 v5, 0xffff, v128
	s_delay_alu instid0(VALU_DEP_1) | instskip(NEXT) | instid1(VALU_DEP_1)
	v_lshrrev_b32_e32 v5, s45, v5
	v_and_b32_e32 v6, s42, v5
	s_delay_alu instid0(VALU_DEP_1)
	v_and_b32_e32 v5, 1, v6
	v_lshlrev_b32_e32 v7, 30, v6
	v_lshlrev_b32_e32 v8, 29, v6
	;; [unrolled: 1-line block ×4, first 2 shown]
	v_add_co_u32 v5, s15, v5, -1
	s_wait_alu 0xf1ff
	v_cndmask_b32_e64 v25, 0, 1, s15
	v_not_b32_e32 v131, v7
	v_cmp_gt_i32_e64 s15, 0, v7
	v_not_b32_e32 v7, v8
	v_lshlrev_b32_e32 v27, 26, v6
	v_cmp_ne_u32_e32 vcc_lo, 0, v25
	v_ashrrev_i32_e32 v131, 31, v131
	v_lshlrev_b32_e32 v130, 25, v6
	v_ashrrev_i32_e32 v7, 31, v7
	v_lshlrev_b32_e32 v25, 24, v6
	s_wait_alu 0xfffd
	v_xor_b32_e32 v5, vcc_lo, v5
	v_cmp_gt_i32_e32 vcc_lo, 0, v8
	v_not_b32_e32 v8, v24
	s_wait_alu 0xf1ff
	v_xor_b32_e32 v131, s15, v131
	v_cmp_gt_i32_e64 s15, 0, v24
	v_and_b32_e32 v5, exec_lo, v5
	v_not_b32_e32 v24, v26
	v_ashrrev_i32_e32 v8, 31, v8
	s_wait_alu 0xfffd
	v_xor_b32_e32 v7, vcc_lo, v7
	v_cmp_gt_i32_e32 vcc_lo, 0, v26
	v_and_b32_e32 v5, v5, v131
	v_not_b32_e32 v26, v27
	v_ashrrev_i32_e32 v24, 31, v24
	s_wait_alu 0xf1ff
	v_xor_b32_e32 v8, s15, v8
	v_cmp_gt_i32_e64 s15, 0, v27
	v_and_b32_e32 v5, v5, v7
	v_not_b32_e32 v7, v130
	v_ashrrev_i32_e32 v26, 31, v26
	s_wait_alu 0xfffd
	v_xor_b32_e32 v24, vcc_lo, v24
	v_cmp_gt_i32_e32 vcc_lo, 0, v130
	v_and_b32_e32 v5, v5, v8
	v_not_b32_e32 v8, v25
	v_ashrrev_i32_e32 v7, 31, v7
	s_wait_alu 0xf1ff
	v_xor_b32_e32 v26, s15, v26
	v_cmp_gt_i32_e64 s15, 0, v25
	v_and_b32_e32 v5, v5, v24
	v_ashrrev_i32_e32 v8, 31, v8
	s_wait_alu 0xfffd
	v_xor_b32_e32 v7, vcc_lo, v7
	v_mad_u32_u24 v24, v6, 36, v89
	v_mul_u32_u24_e32 v6, 36, v6
	v_and_b32_e32 v5, v5, v26
	s_wait_alu 0xf1ff
	v_xor_b32_e32 v8, s15, v8
	ds_load_b32 v130, v24 offset:1056
	v_add_nc_u32_e32 v132, v89, v6
	v_and_b32_e32 v5, v5, v7
	; wave barrier
	s_delay_alu instid0(VALU_DEP_1) | instskip(NEXT) | instid1(VALU_DEP_1)
	v_and_b32_e32 v5, v5, v8
	v_mbcnt_lo_u32_b32 v131, v5, 0
	v_cmp_ne_u32_e64 s15, 0, v5
	s_delay_alu instid0(VALU_DEP_2)
	v_cmp_eq_u32_e32 vcc_lo, 0, v131
	s_and_b32 s16, s15, vcc_lo
	s_wait_alu 0xfffe
	s_and_saveexec_b32 s15, s16
	s_cbranch_execz .LBB1049_432
; %bb.431:                              ;   in Loop: Header=BB1049_402 Depth=2
	s_wait_dscnt 0x0
	v_bcnt_u32_b32 v5, v5, v130
	ds_store_b32 v132, v5 offset:1056
.LBB1049_432:                           ;   in Loop: Header=BB1049_402 Depth=2
	s_wait_alu 0xfffe
	s_or_b32 exec_lo, exec_lo, s15
	; wave barrier
	s_wait_loadcnt_dscnt 0x0
	s_barrier_signal -1
	s_barrier_wait -1
	global_inv scope:SCOPE_SE
	ds_load_2addr_b32 v[26:27], v102 offset1:1
	ds_load_2addr_b32 v[24:25], v103 offset1:1
	ds_load_2addr_b32 v[7:8], v104 offset1:1
	ds_load_2addr_b32 v[5:6], v101 offset1:1
	ds_load_b32 v133, v43 offset:1088
	s_wait_dscnt 0x3
	v_add3_u32 v134, v27, v26, v24
	s_wait_dscnt 0x2
	s_delay_alu instid0(VALU_DEP_1) | instskip(SKIP_1) | instid1(VALU_DEP_1)
	v_add3_u32 v134, v134, v25, v7
	s_wait_dscnt 0x1
	v_add3_u32 v134, v134, v8, v5
	s_wait_dscnt 0x0
	s_delay_alu instid0(VALU_DEP_1) | instskip(NEXT) | instid1(VALU_DEP_1)
	v_add3_u32 v133, v134, v6, v133
	v_mov_b32_dpp v134, v133 row_shr:1 row_mask:0xf bank_mask:0xf
	s_delay_alu instid0(VALU_DEP_1) | instskip(NEXT) | instid1(VALU_DEP_1)
	v_cndmask_b32_e64 v134, v134, 0, s0
	v_add_nc_u32_e32 v133, v134, v133
	s_delay_alu instid0(VALU_DEP_1) | instskip(NEXT) | instid1(VALU_DEP_1)
	v_mov_b32_dpp v134, v133 row_shr:2 row_mask:0xf bank_mask:0xf
	v_cndmask_b32_e64 v134, 0, v134, s1
	s_delay_alu instid0(VALU_DEP_1) | instskip(NEXT) | instid1(VALU_DEP_1)
	v_add_nc_u32_e32 v133, v133, v134
	v_mov_b32_dpp v134, v133 row_shr:4 row_mask:0xf bank_mask:0xf
	s_delay_alu instid0(VALU_DEP_1) | instskip(NEXT) | instid1(VALU_DEP_1)
	v_cndmask_b32_e64 v134, 0, v134, s9
	v_add_nc_u32_e32 v133, v133, v134
	s_delay_alu instid0(VALU_DEP_1) | instskip(NEXT) | instid1(VALU_DEP_1)
	v_mov_b32_dpp v134, v133 row_shr:8 row_mask:0xf bank_mask:0xf
	v_cndmask_b32_e64 v134, 0, v134, s10
	s_delay_alu instid0(VALU_DEP_1) | instskip(SKIP_3) | instid1(VALU_DEP_1)
	v_add_nc_u32_e32 v133, v133, v134
	ds_swizzle_b32 v134, v133 offset:swizzle(BROADCAST,32,15)
	s_wait_dscnt 0x0
	v_cndmask_b32_e64 v134, v134, 0, s11
	v_add_nc_u32_e32 v133, v133, v134
	s_and_saveexec_b32 s15, s3
; %bb.433:                              ;   in Loop: Header=BB1049_402 Depth=2
	ds_store_b32 v38, v133 offset:1024
; %bb.434:                              ;   in Loop: Header=BB1049_402 Depth=2
	s_wait_alu 0xfffe
	s_or_b32 exec_lo, exec_lo, s15
	s_wait_loadcnt_dscnt 0x0
	s_barrier_signal -1
	s_barrier_wait -1
	global_inv scope:SCOPE_SE
	s_and_saveexec_b32 s15, s4
	s_cbranch_execz .LBB1049_436
; %bb.435:                              ;   in Loop: Header=BB1049_402 Depth=2
	ds_load_b32 v134, v47 offset:1024
	s_wait_dscnt 0x0
	v_mov_b32_dpp v135, v134 row_shr:1 row_mask:0xf bank_mask:0xf
	s_delay_alu instid0(VALU_DEP_1) | instskip(NEXT) | instid1(VALU_DEP_1)
	v_cndmask_b32_e64 v135, v135, 0, s12
	v_add_nc_u32_e32 v134, v135, v134
	s_delay_alu instid0(VALU_DEP_1) | instskip(NEXT) | instid1(VALU_DEP_1)
	v_mov_b32_dpp v135, v134 row_shr:2 row_mask:0xf bank_mask:0xf
	v_cndmask_b32_e64 v135, 0, v135, s13
	s_delay_alu instid0(VALU_DEP_1) | instskip(NEXT) | instid1(VALU_DEP_1)
	v_add_nc_u32_e32 v134, v134, v135
	v_mov_b32_dpp v135, v134 row_shr:4 row_mask:0xf bank_mask:0xf
	s_delay_alu instid0(VALU_DEP_1) | instskip(NEXT) | instid1(VALU_DEP_1)
	v_cndmask_b32_e64 v135, 0, v135, s14
	v_add_nc_u32_e32 v134, v134, v135
	ds_store_b32 v47, v134 offset:1024
.LBB1049_436:                           ;   in Loop: Header=BB1049_402 Depth=2
	s_wait_alu 0xfffe
	s_or_b32 exec_lo, exec_lo, s15
	v_mov_b32_e32 v134, 0
	s_wait_loadcnt_dscnt 0x0
	s_barrier_signal -1
	s_barrier_wait -1
	global_inv scope:SCOPE_SE
	s_and_saveexec_b32 s15, s5
; %bb.437:                              ;   in Loop: Header=BB1049_402 Depth=2
	ds_load_b32 v134, v38 offset:1020
; %bb.438:                              ;   in Loop: Header=BB1049_402 Depth=2
	s_wait_alu 0xfffe
	s_or_b32 exec_lo, exec_lo, s15
	s_wait_dscnt 0x0
	v_add_nc_u32_e32 v133, v134, v133
	ds_bpermute_b32 v133, v84, v133
	s_wait_dscnt 0x0
	v_cndmask_b32_e64 v133, v133, v134, s8
	s_delay_alu instid0(VALU_DEP_1) | instskip(NEXT) | instid1(VALU_DEP_1)
	v_cndmask_b32_e64 v133, v133, 0, s6
	v_add_nc_u32_e32 v26, v133, v26
	s_delay_alu instid0(VALU_DEP_1) | instskip(NEXT) | instid1(VALU_DEP_1)
	v_add_nc_u32_e32 v27, v26, v27
	v_add_nc_u32_e32 v24, v27, v24
	s_delay_alu instid0(VALU_DEP_1) | instskip(NEXT) | instid1(VALU_DEP_1)
	v_add_nc_u32_e32 v25, v24, v25
	;; [unrolled: 3-line block ×3, first 2 shown]
	v_add_nc_u32_e32 v5, v8, v5
	s_delay_alu instid0(VALU_DEP_1)
	v_add_nc_u32_e32 v6, v5, v6
	ds_store_2addr_b32 v101, v8, v5 offset1:1
	ds_store_2addr_b32 v102, v133, v26 offset1:1
	;; [unrolled: 1-line block ×4, first 2 shown]
	ds_store_b32 v43, v6 offset:1088
	s_wait_loadcnt_dscnt 0x0
	s_barrier_signal -1
	s_barrier_wait -1
	global_inv scope:SCOPE_SE
	ds_load_b32 v8, v105 offset:1056
	ds_load_b32 v24, v109 offset:1056
	;; [unrolled: 1-line block ×9, first 2 shown]
	v_mov_b32_e32 v7, 0x800
	s_and_saveexec_b32 s15, s7
; %bb.439:                              ;   in Loop: Header=BB1049_402 Depth=2
	ds_load_b32 v7, v43 offset:1092
; %bb.440:                              ;   in Loop: Header=BB1049_402 Depth=2
	s_wait_alu 0xfffe
	s_or_b32 exec_lo, exec_lo, s15
	s_wait_loadcnt_dscnt 0x0
	s_barrier_signal -1
	s_barrier_wait -1
	global_inv scope:SCOPE_SE
	s_and_saveexec_b32 s15, s2
	s_cbranch_execz .LBB1049_442
; %bb.441:                              ;   in Loop: Header=BB1049_402 Depth=2
	ds_load_b32 v102, v28
	s_wait_dscnt 0x0
	v_sub_nc_u32_e32 v101, v102, v101
	ds_store_b32 v28, v101
.LBB1049_442:                           ;   in Loop: Header=BB1049_402 Depth=2
	s_wait_alu 0xfffe
	s_or_b32 exec_lo, exec_lo, s15
	v_add_nc_u32_e32 v102, v8, v99
	v_add3_u32 v101, v107, v106, v24
	v_add3_u32 v99, v112, v110, v25
	;; [unrolled: 1-line block ×4, first 2 shown]
	v_lshlrev_b32_e32 v103, 1, v102
	v_add3_u32 v24, v120, v118, v27
	v_lshlrev_b32_e32 v104, 1, v101
	v_lshlrev_b32_e32 v105, 1, v99
	v_add3_u32 v27, v127, v126, v5
	v_add3_u32 v26, v131, v130, v6
	ds_store_b16 v103, v0 offset:1024
	ds_store_b16 v104, v100 offset:1024
	;; [unrolled: 1-line block ×3, first 2 shown]
	v_lshlrev_b32_e32 v0, 1, v25
	v_cmp_lt_u32_e32 vcc_lo, v13, v98
	v_lshlrev_b32_e32 v5, 1, v24
	v_lshlrev_b32_e32 v6, 1, v8
	;; [unrolled: 1-line block ×4, first 2 shown]
	ds_store_b16 v0, v111 offset:1024
	ds_store_b16 v5, v115 offset:1024
	;; [unrolled: 1-line block ×5, first 2 shown]
	s_wait_loadcnt_dscnt 0x0
	s_barrier_signal -1
	s_barrier_wait -1
	global_inv scope:SCOPE_SE
	s_and_saveexec_b32 s16, vcc_lo
	s_cbranch_execnz .LBB1049_479
; %bb.443:                              ;   in Loop: Header=BB1049_402 Depth=2
	s_wait_alu 0xfffe
	s_or_b32 exec_lo, exec_lo, s16
	v_cmp_lt_u32_e64 s15, v29, v98
	s_and_saveexec_b32 s17, s15
	s_cbranch_execnz .LBB1049_480
.LBB1049_444:                           ;   in Loop: Header=BB1049_402 Depth=2
	s_wait_alu 0xfffe
	s_or_b32 exec_lo, exec_lo, s17
	v_cmp_lt_u32_e64 s16, v30, v98
	s_and_saveexec_b32 s18, s16
	s_cbranch_execnz .LBB1049_481
.LBB1049_445:                           ;   in Loop: Header=BB1049_402 Depth=2
	s_wait_alu 0xfffe
	s_or_b32 exec_lo, exec_lo, s18
	v_cmp_lt_u32_e64 s17, v31, v98
	s_and_saveexec_b32 s19, s17
	s_cbranch_execnz .LBB1049_482
.LBB1049_446:                           ;   in Loop: Header=BB1049_402 Depth=2
	s_wait_alu 0xfffe
	s_or_b32 exec_lo, exec_lo, s19
	v_cmp_lt_u32_e64 s18, v34, v98
	s_and_saveexec_b32 s20, s18
	s_cbranch_execnz .LBB1049_483
.LBB1049_447:                           ;   in Loop: Header=BB1049_402 Depth=2
	s_wait_alu 0xfffe
	s_or_b32 exec_lo, exec_lo, s20
	v_cmp_lt_u32_e64 s19, v35, v98
	s_and_saveexec_b32 s21, s19
	s_cbranch_execnz .LBB1049_484
.LBB1049_448:                           ;   in Loop: Header=BB1049_402 Depth=2
	s_wait_alu 0xfffe
	s_or_b32 exec_lo, exec_lo, s21
	v_cmp_lt_u32_e64 s20, v36, v98
	s_and_saveexec_b32 s22, s20
	s_cbranch_execnz .LBB1049_485
.LBB1049_449:                           ;   in Loop: Header=BB1049_402 Depth=2
	s_wait_alu 0xfffe
	s_or_b32 exec_lo, exec_lo, s22
	v_cmp_lt_u32_e64 s21, v37, v98
	s_and_saveexec_b32 s48, s21
	s_cbranch_execz .LBB1049_451
.LBB1049_450:                           ;   in Loop: Header=BB1049_402 Depth=2
	ds_load_u16 v100, v48 offset:4608
	s_wait_dscnt 0x0
	v_and_b32_e32 v0, 0xffff, v100
	s_delay_alu instid0(VALU_DEP_1) | instskip(NEXT) | instid1(VALU_DEP_1)
	v_lshrrev_b32_e32 v0, s45, v0
	v_and_b32_e32 v0, s42, v0
	s_delay_alu instid0(VALU_DEP_1) | instskip(SKIP_3) | instid1(VALU_DEP_1)
	v_lshlrev_b32_e32 v0, 2, v0
	ds_load_b32 v0, v0
	s_wait_dscnt 0x0
	v_add_nc_u32_e32 v0, v0, v37
	v_lshlrev_b64_e32 v[5:6], 1, v[0:1]
	v_xor_b32_e32 v0, 0xffff8000, v100
	s_delay_alu instid0(VALU_DEP_2) | instskip(SKIP_1) | instid1(VALU_DEP_3)
	v_add_co_u32 v5, s22, s38, v5
	s_wait_alu 0xf1ff
	v_add_co_ci_u32_e64 v6, null, s39, v6, s22
	global_store_b16 v[5:6], v0, off
.LBB1049_451:                           ;   in Loop: Header=BB1049_402 Depth=2
	s_wait_alu 0xfffe
	s_or_b32 exec_lo, exec_lo, s48
	s_lshl_b64 s[48:49], s[30:31], 3
	s_wait_alu 0xfffe
	v_add_co_u32 v5, s22, v85, s48
	s_wait_alu 0xf1ff
	v_add_co_ci_u32_e64 v6, null, s49, v86, s22
	v_cmp_lt_u32_e64 s22, v67, v98
	s_and_saveexec_b32 s30, s22
	s_wait_alu 0xfffe
	s_xor_b32 s22, exec_lo, s30
	s_cbranch_execnz .LBB1049_486
; %bb.452:                              ;   in Loop: Header=BB1049_402 Depth=2
	s_wait_alu 0xfffe
	s_or_b32 exec_lo, exec_lo, s22
	s_delay_alu instid0(SALU_CYCLE_1)
	s_mov_b32 s30, exec_lo
	v_cmpx_lt_u32_e64 v71, v98
	s_cbranch_execnz .LBB1049_487
.LBB1049_453:                           ;   in Loop: Header=BB1049_402 Depth=2
	s_wait_alu 0xfffe
	s_or_b32 exec_lo, exec_lo, s30
	s_delay_alu instid0(SALU_CYCLE_1)
	s_mov_b32 s30, exec_lo
	v_cmpx_lt_u32_e64 v72, v98
	s_cbranch_execnz .LBB1049_488
.LBB1049_454:                           ;   in Loop: Header=BB1049_402 Depth=2
	s_wait_alu 0xfffe
	s_or_b32 exec_lo, exec_lo, s30
	s_delay_alu instid0(SALU_CYCLE_1)
	s_mov_b32 s30, exec_lo
	v_cmpx_lt_u32_e64 v73, v98
	s_cbranch_execnz .LBB1049_489
.LBB1049_455:                           ;   in Loop: Header=BB1049_402 Depth=2
	s_wait_alu 0xfffe
	s_or_b32 exec_lo, exec_lo, s30
	s_delay_alu instid0(SALU_CYCLE_1)
	s_mov_b32 s30, exec_lo
	v_cmpx_lt_u32_e64 v74, v98
	s_cbranch_execnz .LBB1049_490
.LBB1049_456:                           ;   in Loop: Header=BB1049_402 Depth=2
	s_wait_alu 0xfffe
	s_or_b32 exec_lo, exec_lo, s30
	s_delay_alu instid0(SALU_CYCLE_1)
	s_mov_b32 s30, exec_lo
	v_cmpx_lt_u32_e64 v75, v98
	s_cbranch_execnz .LBB1049_491
.LBB1049_457:                           ;   in Loop: Header=BB1049_402 Depth=2
	s_wait_alu 0xfffe
	s_or_b32 exec_lo, exec_lo, s30
	s_delay_alu instid0(SALU_CYCLE_1)
	s_mov_b32 s30, exec_lo
	v_cmpx_lt_u32_e64 v76, v98
	s_cbranch_execnz .LBB1049_492
.LBB1049_458:                           ;   in Loop: Header=BB1049_402 Depth=2
	s_wait_alu 0xfffe
	s_or_b32 exec_lo, exec_lo, s30
	s_delay_alu instid0(SALU_CYCLE_1)
	s_mov_b32 s30, exec_lo
	v_cmpx_lt_u32_e64 v77, v98
	s_cbranch_execnz .LBB1049_493
.LBB1049_459:                           ;   in Loop: Header=BB1049_402 Depth=2
	s_wait_alu 0xfffe
	s_or_b32 exec_lo, exec_lo, s30
	s_and_saveexec_b32 s22, vcc_lo
	s_cbranch_execnz .LBB1049_494
.LBB1049_460:                           ;   in Loop: Header=BB1049_402 Depth=2
	s_wait_alu 0xfffe
	s_or_b32 exec_lo, exec_lo, s22
	s_and_saveexec_b32 s22, s15
	s_cbranch_execnz .LBB1049_495
.LBB1049_461:                           ;   in Loop: Header=BB1049_402 Depth=2
	s_wait_alu 0xfffe
	s_or_b32 exec_lo, exec_lo, s22
	s_and_saveexec_b32 s22, s16
	s_cbranch_execnz .LBB1049_496
.LBB1049_462:                           ;   in Loop: Header=BB1049_402 Depth=2
	s_wait_alu 0xfffe
	s_or_b32 exec_lo, exec_lo, s22
	s_and_saveexec_b32 s22, s17
	s_cbranch_execnz .LBB1049_497
.LBB1049_463:                           ;   in Loop: Header=BB1049_402 Depth=2
	s_wait_alu 0xfffe
	s_or_b32 exec_lo, exec_lo, s22
	s_and_saveexec_b32 s22, s18
	s_cbranch_execnz .LBB1049_498
.LBB1049_464:                           ;   in Loop: Header=BB1049_402 Depth=2
	s_wait_alu 0xfffe
	s_or_b32 exec_lo, exec_lo, s22
	s_and_saveexec_b32 s22, s19
	s_cbranch_execnz .LBB1049_499
.LBB1049_465:                           ;   in Loop: Header=BB1049_402 Depth=2
	s_wait_alu 0xfffe
	s_or_b32 exec_lo, exec_lo, s22
	s_and_saveexec_b32 s22, s20
	s_cbranch_execnz .LBB1049_500
.LBB1049_466:                           ;   in Loop: Header=BB1049_402 Depth=2
	s_wait_alu 0xfffe
	s_or_b32 exec_lo, exec_lo, s22
	s_and_saveexec_b32 s22, s21
	s_cbranch_execz .LBB1049_468
.LBB1049_467:                           ;   in Loop: Header=BB1049_402 Depth=2
	ds_load_u16 v0, v48 offset:4608
	s_wait_dscnt 0x0
	v_lshrrev_b32_e32 v0, s45, v0
	s_delay_alu instid0(VALU_DEP_1)
	v_and_b32_e32 v90, s42, v0
.LBB1049_468:                           ;   in Loop: Header=BB1049_402 Depth=2
	s_wait_alu 0xfffe
	s_or_b32 exec_lo, exec_lo, s22
	v_lshlrev_b32_e32 v0, 3, v102
	v_lshlrev_b32_e32 v5, 3, v101
	;; [unrolled: 1-line block ×3, first 2 shown]
	s_wait_loadcnt 0x0
	s_wait_storecnt 0x0
	s_barrier_signal -1
	s_barrier_wait -1
	global_inv scope:SCOPE_SE
	ds_store_b64 v0, v[22:23] offset:1024
	ds_store_b64 v5, v[20:21] offset:1024
	;; [unrolled: 1-line block ×3, first 2 shown]
	v_lshlrev_b32_e32 v0, 3, v25
	v_lshlrev_b32_e32 v5, 3, v24
	;; [unrolled: 1-line block ×5, first 2 shown]
	ds_store_b64 v0, v[16:17] offset:1024
	ds_store_b64 v5, v[14:15] offset:1024
	;; [unrolled: 1-line block ×5, first 2 shown]
	s_wait_loadcnt_dscnt 0x0
	s_barrier_signal -1
	s_barrier_wait -1
	global_inv scope:SCOPE_SE
	s_and_saveexec_b32 s22, vcc_lo
	s_cbranch_execnz .LBB1049_501
; %bb.469:                              ;   in Loop: Header=BB1049_402 Depth=2
	s_wait_alu 0xfffe
	s_or_b32 exec_lo, exec_lo, s22
	s_and_saveexec_b32 s22, s15
	s_cbranch_execnz .LBB1049_502
.LBB1049_470:                           ;   in Loop: Header=BB1049_402 Depth=2
	s_wait_alu 0xfffe
	s_or_b32 exec_lo, exec_lo, s22
	s_and_saveexec_b32 s15, s16
	s_cbranch_execnz .LBB1049_503
.LBB1049_471:                           ;   in Loop: Header=BB1049_402 Depth=2
	s_wait_alu 0xfffe
	s_or_b32 exec_lo, exec_lo, s15
	s_and_saveexec_b32 s15, s17
	s_cbranch_execnz .LBB1049_504
.LBB1049_472:                           ;   in Loop: Header=BB1049_402 Depth=2
	s_wait_alu 0xfffe
	s_or_b32 exec_lo, exec_lo, s15
	s_and_saveexec_b32 s15, s18
	s_cbranch_execnz .LBB1049_505
.LBB1049_473:                           ;   in Loop: Header=BB1049_402 Depth=2
	s_wait_alu 0xfffe
	s_or_b32 exec_lo, exec_lo, s15
	s_and_saveexec_b32 s15, s19
	s_cbranch_execnz .LBB1049_506
.LBB1049_474:                           ;   in Loop: Header=BB1049_402 Depth=2
	s_wait_alu 0xfffe
	s_or_b32 exec_lo, exec_lo, s15
	s_and_saveexec_b32 s15, s20
	s_cbranch_execnz .LBB1049_507
.LBB1049_475:                           ;   in Loop: Header=BB1049_402 Depth=2
	s_wait_alu 0xfffe
	s_or_b32 exec_lo, exec_lo, s15
	s_and_saveexec_b32 s15, s21
	s_cbranch_execz .LBB1049_477
.LBB1049_476:                           ;   in Loop: Header=BB1049_402 Depth=2
	v_lshlrev_b32_e32 v0, 2, v90
	v_add_nc_u32_e32 v5, v48, v49
	ds_load_b32 v0, v0
	ds_load_b64 v[5:6], v5 offset:15360
	s_wait_dscnt 0x1
	v_add_nc_u32_e32 v0, v0, v37
	s_delay_alu instid0(VALU_DEP_1) | instskip(NEXT) | instid1(VALU_DEP_1)
	v_lshlrev_b64_e32 v[24:25], 3, v[0:1]
	v_add_co_u32 v24, vcc_lo, s24, v24
	s_wait_alu 0xfffd
	s_delay_alu instid0(VALU_DEP_2)
	v_add_co_ci_u32_e64 v25, null, s25, v25, vcc_lo
	s_wait_dscnt 0x0
	global_store_b64 v[24:25], v[5:6], off
.LBB1049_477:                           ;   in Loop: Header=BB1049_402 Depth=2
	s_wait_alu 0xfffe
	s_or_b32 exec_lo, exec_lo, s15
	s_wait_loadcnt 0x0
	s_wait_storecnt 0x0
	s_barrier_signal -1
	s_barrier_wait -1
	global_inv scope:SCOPE_SE
	s_and_saveexec_b32 s15, s2
	s_cbranch_execz .LBB1049_401
; %bb.478:                              ;   in Loop: Header=BB1049_402 Depth=2
	ds_load_b32 v0, v28
	s_wait_dscnt 0x0
	v_add_nc_u32_e32 v0, v0, v7
	ds_store_b32 v28, v0
	s_branch .LBB1049_401
.LBB1049_479:                           ;   in Loop: Header=BB1049_402 Depth=2
	ds_load_u16 v100, v48 offset:1024
	s_wait_dscnt 0x0
	v_and_b32_e32 v0, 0xffff, v100
	s_delay_alu instid0(VALU_DEP_1) | instskip(NEXT) | instid1(VALU_DEP_1)
	v_lshrrev_b32_e32 v0, s45, v0
	v_and_b32_e32 v0, s42, v0
	s_delay_alu instid0(VALU_DEP_1) | instskip(SKIP_3) | instid1(VALU_DEP_1)
	v_lshlrev_b32_e32 v0, 2, v0
	ds_load_b32 v0, v0
	s_wait_dscnt 0x0
	v_add_nc_u32_e32 v0, v0, v13
	v_lshlrev_b64_e32 v[5:6], 1, v[0:1]
	v_xor_b32_e32 v0, 0xffff8000, v100
	s_delay_alu instid0(VALU_DEP_2) | instskip(SKIP_1) | instid1(VALU_DEP_3)
	v_add_co_u32 v5, s15, s38, v5
	s_wait_alu 0xf1ff
	v_add_co_ci_u32_e64 v6, null, s39, v6, s15
	global_store_b16 v[5:6], v0, off
	s_wait_alu 0xfffe
	s_or_b32 exec_lo, exec_lo, s16
	v_cmp_lt_u32_e64 s15, v29, v98
	s_and_saveexec_b32 s17, s15
	s_cbranch_execz .LBB1049_444
.LBB1049_480:                           ;   in Loop: Header=BB1049_402 Depth=2
	ds_load_u16 v100, v48 offset:1536
	s_wait_dscnt 0x0
	v_and_b32_e32 v0, 0xffff, v100
	s_delay_alu instid0(VALU_DEP_1) | instskip(NEXT) | instid1(VALU_DEP_1)
	v_lshrrev_b32_e32 v0, s45, v0
	v_and_b32_e32 v0, s42, v0
	s_delay_alu instid0(VALU_DEP_1) | instskip(SKIP_3) | instid1(VALU_DEP_1)
	v_lshlrev_b32_e32 v0, 2, v0
	ds_load_b32 v0, v0
	s_wait_dscnt 0x0
	v_add_nc_u32_e32 v0, v0, v29
	v_lshlrev_b64_e32 v[5:6], 1, v[0:1]
	v_xor_b32_e32 v0, 0xffff8000, v100
	s_delay_alu instid0(VALU_DEP_2) | instskip(SKIP_1) | instid1(VALU_DEP_3)
	v_add_co_u32 v5, s16, s38, v5
	s_wait_alu 0xf1ff
	v_add_co_ci_u32_e64 v6, null, s39, v6, s16
	global_store_b16 v[5:6], v0, off
	s_wait_alu 0xfffe
	s_or_b32 exec_lo, exec_lo, s17
	v_cmp_lt_u32_e64 s16, v30, v98
	s_and_saveexec_b32 s18, s16
	s_cbranch_execz .LBB1049_445
.LBB1049_481:                           ;   in Loop: Header=BB1049_402 Depth=2
	ds_load_u16 v100, v48 offset:2048
	s_wait_dscnt 0x0
	v_and_b32_e32 v0, 0xffff, v100
	s_delay_alu instid0(VALU_DEP_1) | instskip(NEXT) | instid1(VALU_DEP_1)
	v_lshrrev_b32_e32 v0, s45, v0
	v_and_b32_e32 v0, s42, v0
	s_delay_alu instid0(VALU_DEP_1) | instskip(SKIP_3) | instid1(VALU_DEP_1)
	v_lshlrev_b32_e32 v0, 2, v0
	ds_load_b32 v0, v0
	s_wait_dscnt 0x0
	v_add_nc_u32_e32 v0, v0, v30
	v_lshlrev_b64_e32 v[5:6], 1, v[0:1]
	v_xor_b32_e32 v0, 0xffff8000, v100
	s_delay_alu instid0(VALU_DEP_2) | instskip(SKIP_1) | instid1(VALU_DEP_3)
	v_add_co_u32 v5, s17, s38, v5
	s_wait_alu 0xf1ff
	v_add_co_ci_u32_e64 v6, null, s39, v6, s17
	global_store_b16 v[5:6], v0, off
	s_wait_alu 0xfffe
	s_or_b32 exec_lo, exec_lo, s18
	v_cmp_lt_u32_e64 s17, v31, v98
	s_and_saveexec_b32 s19, s17
	s_cbranch_execz .LBB1049_446
.LBB1049_482:                           ;   in Loop: Header=BB1049_402 Depth=2
	ds_load_u16 v100, v48 offset:2560
	s_wait_dscnt 0x0
	v_and_b32_e32 v0, 0xffff, v100
	s_delay_alu instid0(VALU_DEP_1) | instskip(NEXT) | instid1(VALU_DEP_1)
	v_lshrrev_b32_e32 v0, s45, v0
	v_and_b32_e32 v0, s42, v0
	s_delay_alu instid0(VALU_DEP_1) | instskip(SKIP_3) | instid1(VALU_DEP_1)
	v_lshlrev_b32_e32 v0, 2, v0
	ds_load_b32 v0, v0
	s_wait_dscnt 0x0
	v_add_nc_u32_e32 v0, v0, v31
	v_lshlrev_b64_e32 v[5:6], 1, v[0:1]
	v_xor_b32_e32 v0, 0xffff8000, v100
	s_delay_alu instid0(VALU_DEP_2) | instskip(SKIP_1) | instid1(VALU_DEP_3)
	v_add_co_u32 v5, s18, s38, v5
	s_wait_alu 0xf1ff
	v_add_co_ci_u32_e64 v6, null, s39, v6, s18
	global_store_b16 v[5:6], v0, off
	s_wait_alu 0xfffe
	s_or_b32 exec_lo, exec_lo, s19
	v_cmp_lt_u32_e64 s18, v34, v98
	s_and_saveexec_b32 s20, s18
	s_cbranch_execz .LBB1049_447
.LBB1049_483:                           ;   in Loop: Header=BB1049_402 Depth=2
	ds_load_u16 v100, v48 offset:3072
	s_wait_dscnt 0x0
	v_and_b32_e32 v0, 0xffff, v100
	s_delay_alu instid0(VALU_DEP_1) | instskip(NEXT) | instid1(VALU_DEP_1)
	v_lshrrev_b32_e32 v0, s45, v0
	v_and_b32_e32 v0, s42, v0
	s_delay_alu instid0(VALU_DEP_1) | instskip(SKIP_3) | instid1(VALU_DEP_1)
	v_lshlrev_b32_e32 v0, 2, v0
	ds_load_b32 v0, v0
	s_wait_dscnt 0x0
	v_add_nc_u32_e32 v0, v0, v34
	v_lshlrev_b64_e32 v[5:6], 1, v[0:1]
	v_xor_b32_e32 v0, 0xffff8000, v100
	s_delay_alu instid0(VALU_DEP_2) | instskip(SKIP_1) | instid1(VALU_DEP_3)
	v_add_co_u32 v5, s19, s38, v5
	s_wait_alu 0xf1ff
	v_add_co_ci_u32_e64 v6, null, s39, v6, s19
	global_store_b16 v[5:6], v0, off
	s_wait_alu 0xfffe
	s_or_b32 exec_lo, exec_lo, s20
	v_cmp_lt_u32_e64 s19, v35, v98
	s_and_saveexec_b32 s21, s19
	s_cbranch_execz .LBB1049_448
.LBB1049_484:                           ;   in Loop: Header=BB1049_402 Depth=2
	ds_load_u16 v100, v48 offset:3584
	s_wait_dscnt 0x0
	v_and_b32_e32 v0, 0xffff, v100
	s_delay_alu instid0(VALU_DEP_1) | instskip(NEXT) | instid1(VALU_DEP_1)
	v_lshrrev_b32_e32 v0, s45, v0
	v_and_b32_e32 v0, s42, v0
	s_delay_alu instid0(VALU_DEP_1) | instskip(SKIP_3) | instid1(VALU_DEP_1)
	v_lshlrev_b32_e32 v0, 2, v0
	ds_load_b32 v0, v0
	s_wait_dscnt 0x0
	v_add_nc_u32_e32 v0, v0, v35
	v_lshlrev_b64_e32 v[5:6], 1, v[0:1]
	v_xor_b32_e32 v0, 0xffff8000, v100
	s_delay_alu instid0(VALU_DEP_2) | instskip(SKIP_1) | instid1(VALU_DEP_3)
	v_add_co_u32 v5, s20, s38, v5
	s_wait_alu 0xf1ff
	v_add_co_ci_u32_e64 v6, null, s39, v6, s20
	global_store_b16 v[5:6], v0, off
	s_wait_alu 0xfffe
	s_or_b32 exec_lo, exec_lo, s21
	v_cmp_lt_u32_e64 s20, v36, v98
	s_and_saveexec_b32 s22, s20
	s_cbranch_execz .LBB1049_449
.LBB1049_485:                           ;   in Loop: Header=BB1049_402 Depth=2
	ds_load_u16 v100, v48 offset:4096
	s_wait_dscnt 0x0
	v_and_b32_e32 v0, 0xffff, v100
	s_delay_alu instid0(VALU_DEP_1) | instskip(NEXT) | instid1(VALU_DEP_1)
	v_lshrrev_b32_e32 v0, s45, v0
	v_and_b32_e32 v0, s42, v0
	s_delay_alu instid0(VALU_DEP_1) | instskip(SKIP_3) | instid1(VALU_DEP_1)
	v_lshlrev_b32_e32 v0, 2, v0
	ds_load_b32 v0, v0
	s_wait_dscnt 0x0
	v_add_nc_u32_e32 v0, v0, v36
	v_lshlrev_b64_e32 v[5:6], 1, v[0:1]
	v_xor_b32_e32 v0, 0xffff8000, v100
	s_delay_alu instid0(VALU_DEP_2) | instskip(SKIP_1) | instid1(VALU_DEP_3)
	v_add_co_u32 v5, s21, s38, v5
	s_wait_alu 0xf1ff
	v_add_co_ci_u32_e64 v6, null, s39, v6, s21
	global_store_b16 v[5:6], v0, off
	s_wait_alu 0xfffe
	s_or_b32 exec_lo, exec_lo, s22
	v_cmp_lt_u32_e64 s21, v37, v98
	s_and_saveexec_b32 s48, s21
	s_cbranch_execnz .LBB1049_450
	s_branch .LBB1049_451
.LBB1049_486:                           ;   in Loop: Header=BB1049_402 Depth=2
	global_load_b64 v[22:23], v[5:6], off
	s_wait_alu 0xfffe
	s_or_b32 exec_lo, exec_lo, s22
	s_delay_alu instid0(SALU_CYCLE_1)
	s_mov_b32 s30, exec_lo
	v_cmpx_lt_u32_e64 v71, v98
	s_cbranch_execz .LBB1049_453
.LBB1049_487:                           ;   in Loop: Header=BB1049_402 Depth=2
	global_load_b64 v[20:21], v[5:6], off offset:256
	s_wait_alu 0xfffe
	s_or_b32 exec_lo, exec_lo, s30
	s_delay_alu instid0(SALU_CYCLE_1)
	s_mov_b32 s30, exec_lo
	v_cmpx_lt_u32_e64 v72, v98
	s_cbranch_execz .LBB1049_454
.LBB1049_488:                           ;   in Loop: Header=BB1049_402 Depth=2
	global_load_b64 v[18:19], v[5:6], off offset:512
	s_wait_alu 0xfffe
	s_or_b32 exec_lo, exec_lo, s30
	s_delay_alu instid0(SALU_CYCLE_1)
	s_mov_b32 s30, exec_lo
	v_cmpx_lt_u32_e64 v73, v98
	s_cbranch_execz .LBB1049_455
.LBB1049_489:                           ;   in Loop: Header=BB1049_402 Depth=2
	global_load_b64 v[16:17], v[5:6], off offset:768
	s_wait_alu 0xfffe
	s_or_b32 exec_lo, exec_lo, s30
	s_delay_alu instid0(SALU_CYCLE_1)
	s_mov_b32 s30, exec_lo
	v_cmpx_lt_u32_e64 v74, v98
	s_cbranch_execz .LBB1049_456
.LBB1049_490:                           ;   in Loop: Header=BB1049_402 Depth=2
	global_load_b64 v[14:15], v[5:6], off offset:1024
	s_wait_alu 0xfffe
	s_or_b32 exec_lo, exec_lo, s30
	s_delay_alu instid0(SALU_CYCLE_1)
	s_mov_b32 s30, exec_lo
	v_cmpx_lt_u32_e64 v75, v98
	s_cbranch_execz .LBB1049_457
.LBB1049_491:                           ;   in Loop: Header=BB1049_402 Depth=2
	global_load_b64 v[11:12], v[5:6], off offset:1280
	s_wait_alu 0xfffe
	s_or_b32 exec_lo, exec_lo, s30
	s_delay_alu instid0(SALU_CYCLE_1)
	s_mov_b32 s30, exec_lo
	v_cmpx_lt_u32_e64 v76, v98
	s_cbranch_execz .LBB1049_458
.LBB1049_492:                           ;   in Loop: Header=BB1049_402 Depth=2
	global_load_b64 v[9:10], v[5:6], off offset:1536
	s_wait_alu 0xfffe
	s_or_b32 exec_lo, exec_lo, s30
	s_delay_alu instid0(SALU_CYCLE_1)
	s_mov_b32 s30, exec_lo
	v_cmpx_lt_u32_e64 v77, v98
	s_cbranch_execz .LBB1049_459
.LBB1049_493:                           ;   in Loop: Header=BB1049_402 Depth=2
	global_load_b64 v[2:3], v[5:6], off offset:1792
	s_wait_alu 0xfffe
	s_or_b32 exec_lo, exec_lo, s30
	s_and_saveexec_b32 s22, vcc_lo
	s_cbranch_execz .LBB1049_460
.LBB1049_494:                           ;   in Loop: Header=BB1049_402 Depth=2
	ds_load_u16 v0, v48 offset:1024
	s_wait_dscnt 0x0
	v_lshrrev_b32_e32 v0, s45, v0
	s_delay_alu instid0(VALU_DEP_1)
	v_and_b32_e32 v97, s42, v0
	s_wait_alu 0xfffe
	s_or_b32 exec_lo, exec_lo, s22
	s_and_saveexec_b32 s22, s15
	s_cbranch_execz .LBB1049_461
.LBB1049_495:                           ;   in Loop: Header=BB1049_402 Depth=2
	ds_load_u16 v0, v48 offset:1536
	s_wait_dscnt 0x0
	v_lshrrev_b32_e32 v0, s45, v0
	s_delay_alu instid0(VALU_DEP_1)
	v_and_b32_e32 v96, s42, v0
	s_wait_alu 0xfffe
	s_or_b32 exec_lo, exec_lo, s22
	s_and_saveexec_b32 s22, s16
	s_cbranch_execz .LBB1049_462
.LBB1049_496:                           ;   in Loop: Header=BB1049_402 Depth=2
	ds_load_u16 v0, v48 offset:2048
	s_wait_dscnt 0x0
	v_lshrrev_b32_e32 v0, s45, v0
	s_delay_alu instid0(VALU_DEP_1)
	v_and_b32_e32 v95, s42, v0
	s_wait_alu 0xfffe
	s_or_b32 exec_lo, exec_lo, s22
	s_and_saveexec_b32 s22, s17
	s_cbranch_execz .LBB1049_463
.LBB1049_497:                           ;   in Loop: Header=BB1049_402 Depth=2
	ds_load_u16 v0, v48 offset:2560
	s_wait_dscnt 0x0
	v_lshrrev_b32_e32 v0, s45, v0
	s_delay_alu instid0(VALU_DEP_1)
	v_and_b32_e32 v94, s42, v0
	s_wait_alu 0xfffe
	s_or_b32 exec_lo, exec_lo, s22
	s_and_saveexec_b32 s22, s18
	s_cbranch_execz .LBB1049_464
.LBB1049_498:                           ;   in Loop: Header=BB1049_402 Depth=2
	ds_load_u16 v0, v48 offset:3072
	s_wait_dscnt 0x0
	v_lshrrev_b32_e32 v0, s45, v0
	s_delay_alu instid0(VALU_DEP_1)
	v_and_b32_e32 v93, s42, v0
	s_wait_alu 0xfffe
	s_or_b32 exec_lo, exec_lo, s22
	s_and_saveexec_b32 s22, s19
	s_cbranch_execz .LBB1049_465
.LBB1049_499:                           ;   in Loop: Header=BB1049_402 Depth=2
	ds_load_u16 v0, v48 offset:3584
	s_wait_dscnt 0x0
	v_lshrrev_b32_e32 v0, s45, v0
	s_delay_alu instid0(VALU_DEP_1)
	v_and_b32_e32 v92, s42, v0
	s_wait_alu 0xfffe
	s_or_b32 exec_lo, exec_lo, s22
	s_and_saveexec_b32 s22, s20
	s_cbranch_execz .LBB1049_466
.LBB1049_500:                           ;   in Loop: Header=BB1049_402 Depth=2
	ds_load_u16 v0, v48 offset:4096
	s_wait_dscnt 0x0
	v_lshrrev_b32_e32 v0, s45, v0
	s_delay_alu instid0(VALU_DEP_1)
	v_and_b32_e32 v91, s42, v0
	s_wait_alu 0xfffe
	s_or_b32 exec_lo, exec_lo, s22
	s_and_saveexec_b32 s22, s21
	s_cbranch_execnz .LBB1049_467
	s_branch .LBB1049_468
.LBB1049_501:                           ;   in Loop: Header=BB1049_402 Depth=2
	v_lshlrev_b32_e32 v0, 2, v97
	v_add_nc_u32_e32 v5, v48, v49
	ds_load_b32 v0, v0
	ds_load_b64 v[5:6], v5 offset:1024
	s_wait_dscnt 0x1
	v_add_nc_u32_e32 v0, v0, v13
	s_delay_alu instid0(VALU_DEP_1) | instskip(NEXT) | instid1(VALU_DEP_1)
	v_lshlrev_b64_e32 v[24:25], 3, v[0:1]
	v_add_co_u32 v24, vcc_lo, s24, v24
	s_wait_alu 0xfffd
	s_delay_alu instid0(VALU_DEP_2)
	v_add_co_ci_u32_e64 v25, null, s25, v25, vcc_lo
	s_wait_dscnt 0x0
	global_store_b64 v[24:25], v[5:6], off
	s_wait_alu 0xfffe
	s_or_b32 exec_lo, exec_lo, s22
	s_and_saveexec_b32 s22, s15
	s_cbranch_execz .LBB1049_470
.LBB1049_502:                           ;   in Loop: Header=BB1049_402 Depth=2
	v_lshlrev_b32_e32 v0, 2, v96
	v_add_nc_u32_e32 v5, v48, v49
	ds_load_b32 v0, v0
	ds_load_b64 v[5:6], v5 offset:3072
	s_wait_dscnt 0x1
	v_add_nc_u32_e32 v0, v0, v29
	s_delay_alu instid0(VALU_DEP_1) | instskip(NEXT) | instid1(VALU_DEP_1)
	v_lshlrev_b64_e32 v[24:25], 3, v[0:1]
	v_add_co_u32 v24, vcc_lo, s24, v24
	s_wait_alu 0xfffd
	s_delay_alu instid0(VALU_DEP_2)
	v_add_co_ci_u32_e64 v25, null, s25, v25, vcc_lo
	s_wait_dscnt 0x0
	global_store_b64 v[24:25], v[5:6], off
	s_wait_alu 0xfffe
	s_or_b32 exec_lo, exec_lo, s22
	s_and_saveexec_b32 s15, s16
	s_cbranch_execz .LBB1049_471
.LBB1049_503:                           ;   in Loop: Header=BB1049_402 Depth=2
	v_lshlrev_b32_e32 v0, 2, v95
	v_add_nc_u32_e32 v5, v48, v49
	ds_load_b32 v0, v0
	ds_load_b64 v[5:6], v5 offset:5120
	s_wait_dscnt 0x1
	v_add_nc_u32_e32 v0, v0, v30
	s_delay_alu instid0(VALU_DEP_1) | instskip(NEXT) | instid1(VALU_DEP_1)
	v_lshlrev_b64_e32 v[24:25], 3, v[0:1]
	v_add_co_u32 v24, vcc_lo, s24, v24
	s_wait_alu 0xfffd
	s_delay_alu instid0(VALU_DEP_2)
	v_add_co_ci_u32_e64 v25, null, s25, v25, vcc_lo
	s_wait_dscnt 0x0
	global_store_b64 v[24:25], v[5:6], off
	s_wait_alu 0xfffe
	s_or_b32 exec_lo, exec_lo, s15
	s_and_saveexec_b32 s15, s17
	s_cbranch_execz .LBB1049_472
.LBB1049_504:                           ;   in Loop: Header=BB1049_402 Depth=2
	v_lshlrev_b32_e32 v0, 2, v94
	v_add_nc_u32_e32 v5, v48, v49
	ds_load_b32 v0, v0
	ds_load_b64 v[5:6], v5 offset:7168
	s_wait_dscnt 0x1
	v_add_nc_u32_e32 v0, v0, v31
	s_delay_alu instid0(VALU_DEP_1) | instskip(NEXT) | instid1(VALU_DEP_1)
	v_lshlrev_b64_e32 v[24:25], 3, v[0:1]
	v_add_co_u32 v24, vcc_lo, s24, v24
	s_wait_alu 0xfffd
	s_delay_alu instid0(VALU_DEP_2)
	v_add_co_ci_u32_e64 v25, null, s25, v25, vcc_lo
	s_wait_dscnt 0x0
	global_store_b64 v[24:25], v[5:6], off
	s_wait_alu 0xfffe
	s_or_b32 exec_lo, exec_lo, s15
	s_and_saveexec_b32 s15, s18
	s_cbranch_execz .LBB1049_473
.LBB1049_505:                           ;   in Loop: Header=BB1049_402 Depth=2
	v_lshlrev_b32_e32 v0, 2, v93
	v_add_nc_u32_e32 v5, v48, v49
	ds_load_b32 v0, v0
	ds_load_b64 v[5:6], v5 offset:9216
	s_wait_dscnt 0x1
	v_add_nc_u32_e32 v0, v0, v34
	s_delay_alu instid0(VALU_DEP_1) | instskip(NEXT) | instid1(VALU_DEP_1)
	v_lshlrev_b64_e32 v[24:25], 3, v[0:1]
	v_add_co_u32 v24, vcc_lo, s24, v24
	s_wait_alu 0xfffd
	s_delay_alu instid0(VALU_DEP_2)
	v_add_co_ci_u32_e64 v25, null, s25, v25, vcc_lo
	s_wait_dscnt 0x0
	global_store_b64 v[24:25], v[5:6], off
	s_wait_alu 0xfffe
	s_or_b32 exec_lo, exec_lo, s15
	s_and_saveexec_b32 s15, s19
	s_cbranch_execz .LBB1049_474
.LBB1049_506:                           ;   in Loop: Header=BB1049_402 Depth=2
	v_lshlrev_b32_e32 v0, 2, v92
	v_add_nc_u32_e32 v5, v48, v49
	ds_load_b32 v0, v0
	ds_load_b64 v[5:6], v5 offset:11264
	s_wait_dscnt 0x1
	v_add_nc_u32_e32 v0, v0, v35
	s_delay_alu instid0(VALU_DEP_1) | instskip(NEXT) | instid1(VALU_DEP_1)
	v_lshlrev_b64_e32 v[24:25], 3, v[0:1]
	v_add_co_u32 v24, vcc_lo, s24, v24
	s_wait_alu 0xfffd
	s_delay_alu instid0(VALU_DEP_2)
	v_add_co_ci_u32_e64 v25, null, s25, v25, vcc_lo
	s_wait_dscnt 0x0
	global_store_b64 v[24:25], v[5:6], off
	s_wait_alu 0xfffe
	s_or_b32 exec_lo, exec_lo, s15
	s_and_saveexec_b32 s15, s20
	s_cbranch_execz .LBB1049_475
.LBB1049_507:                           ;   in Loop: Header=BB1049_402 Depth=2
	v_lshlrev_b32_e32 v0, 2, v91
	v_add_nc_u32_e32 v5, v48, v49
	ds_load_b32 v0, v0
	ds_load_b64 v[5:6], v5 offset:13312
	s_wait_dscnt 0x1
	v_add_nc_u32_e32 v0, v0, v36
	s_delay_alu instid0(VALU_DEP_1) | instskip(NEXT) | instid1(VALU_DEP_1)
	v_lshlrev_b64_e32 v[24:25], 3, v[0:1]
	v_add_co_u32 v24, vcc_lo, s24, v24
	s_wait_alu 0xfffd
	s_delay_alu instid0(VALU_DEP_2)
	v_add_co_ci_u32_e64 v25, null, s25, v25, vcc_lo
	s_wait_dscnt 0x0
	global_store_b64 v[24:25], v[5:6], off
	s_wait_alu 0xfffe
	s_or_b32 exec_lo, exec_lo, s15
	s_and_saveexec_b32 s15, s21
	s_cbranch_execnz .LBB1049_476
	s_branch .LBB1049_477
.LBB1049_508:                           ;   in Loop: Header=BB1049_402 Depth=2
	v_dual_mov_b32 v5, 0x7fff0000 :: v_dual_mov_b32 v6, v4
	v_dual_mov_b32 v7, v4 :: v_dual_mov_b32 v8, v4
	global_load_d16_b16 v5, v[24:25], off
	s_wait_alu 0xfffe
	s_or_b32 exec_lo, exec_lo, s15
	s_delay_alu instid0(SALU_CYCLE_1)
	s_mov_b32 s15, exec_lo
	v_cmpx_gt_u32_e64 s43, v71
	s_cbranch_execz .LBB1049_407
.LBB1049_509:                           ;   in Loop: Header=BB1049_402 Depth=2
	s_wait_loadcnt 0x0
	global_load_d16_hi_b16 v5, v[24:25], off offset:64
	s_wait_alu 0xfffe
	s_or_b32 exec_lo, exec_lo, s15
	s_delay_alu instid0(SALU_CYCLE_1)
	s_mov_b32 s15, exec_lo
	v_cmpx_gt_u32_e64 s43, v72
	s_cbranch_execz .LBB1049_408
.LBB1049_510:                           ;   in Loop: Header=BB1049_402 Depth=2
	global_load_d16_b16 v6, v[24:25], off offset:128
	s_wait_alu 0xfffe
	s_or_b32 exec_lo, exec_lo, s15
	s_delay_alu instid0(SALU_CYCLE_1)
	s_mov_b32 s15, exec_lo
	v_cmpx_gt_u32_e64 s43, v73
	s_cbranch_execz .LBB1049_409
.LBB1049_511:                           ;   in Loop: Header=BB1049_402 Depth=2
	s_wait_loadcnt 0x0
	global_load_d16_hi_b16 v6, v[24:25], off offset:192
	s_wait_alu 0xfffe
	s_or_b32 exec_lo, exec_lo, s15
	s_delay_alu instid0(SALU_CYCLE_1)
	s_mov_b32 s15, exec_lo
	v_cmpx_gt_u32_e64 s43, v74
	s_cbranch_execz .LBB1049_410
.LBB1049_512:                           ;   in Loop: Header=BB1049_402 Depth=2
	global_load_d16_b16 v7, v[24:25], off offset:256
	s_wait_alu 0xfffe
	s_or_b32 exec_lo, exec_lo, s15
	s_delay_alu instid0(SALU_CYCLE_1)
	s_mov_b32 s15, exec_lo
	v_cmpx_gt_u32_e64 s43, v75
	s_cbranch_execz .LBB1049_411
.LBB1049_513:                           ;   in Loop: Header=BB1049_402 Depth=2
	s_wait_loadcnt 0x0
	global_load_d16_hi_b16 v7, v[24:25], off offset:320
	s_wait_alu 0xfffe
	s_or_b32 exec_lo, exec_lo, s15
	s_delay_alu instid0(SALU_CYCLE_1)
	s_mov_b32 s15, exec_lo
	v_cmpx_gt_u32_e64 s43, v76
	s_cbranch_execnz .LBB1049_412
	s_branch .LBB1049_413
.LBB1049_514:                           ;   in Loop: Header=BB1049_20 Depth=1
	s_wait_loadcnt_dscnt 0x0
	s_barrier_signal -1
	s_mov_b32 s0, 0
	s_barrier_wait -1
.LBB1049_515:                           ;   in Loop: Header=BB1049_20 Depth=1
	s_wait_alu 0xfffe
	s_and_b32 vcc_lo, exec_lo, s0
	s_wait_alu 0xfffe
	s_cbranch_vccz .LBB1049_19
; %bb.516:                              ;   in Loop: Header=BB1049_20 Depth=1
	v_dual_mov_b32 v0, v1 :: v_dual_mov_b32 v3, v1
	v_mov_b32_e32 v2, v1
	s_mov_b32 s9, s47
	s_mov_b32 s30, s33
	s_barrier_signal -1
	s_delay_alu instid0(VALU_DEP_1)
	v_dual_mov_b32 v8, v3 :: v_dual_mov_b32 v7, v2
	v_dual_mov_b32 v6, v1 :: v_dual_mov_b32 v5, v0
	s_barrier_wait -1
	global_inv scope:SCOPE_SE
	s_branch .LBB1049_518
.LBB1049_517:                           ;   in Loop: Header=BB1049_518 Depth=2
	s_wait_alu 0xfffe
	s_or_b32 exec_lo, exec_lo, s0
	s_addk_co_i32 s9, 0xf800
	s_cmp_ge_u32 s10, s34
	s_mov_b32 s30, s10
	s_cbranch_scc1 .LBB1049_554
.LBB1049_518:                           ;   Parent Loop BB1049_20 Depth=1
                                        ; =>  This Inner Loop Header: Depth=2
	s_wait_alu 0xfffe
	s_add_co_i32 s10, s30, 0x800
	s_mov_b32 s0, -1
	s_wait_alu 0xfffe
	s_cmp_gt_u32 s10, s34
                                        ; implicit-def: $vgpr9_vgpr10_vgpr11_vgpr12
	s_cbranch_scc1 .LBB1049_520
; %bb.519:                              ;   in Loop: Header=BB1049_518 Depth=2
	s_lshl_b64 s[0:1], s[30:31], 1
	s_wait_alu 0xfffe
	v_add_co_u32 v2, vcc_lo, v56, s0
	s_wait_alu 0xfffd
	v_add_co_ci_u32_e64 v3, null, s1, v57, vcc_lo
	s_mov_b32 s0, 0
	s_clause 0x3
	global_load_u16 v9, v[2:3], off
	global_load_u16 v10, v[2:3], off offset:1024
	global_load_u16 v11, v[2:3], off offset:2048
	;; [unrolled: 1-line block ×3, first 2 shown]
	s_wait_loadcnt 0x3
	global_load_d16_hi_b16 v9, v[2:3], off offset:512
	s_wait_loadcnt 0x3
	global_load_d16_hi_b16 v10, v[2:3], off offset:1536
	;; [unrolled: 2-line block ×4, first 2 shown]
.LBB1049_520:                           ;   in Loop: Header=BB1049_518 Depth=2
	s_wait_alu 0xfffe
	s_and_not1_b32 vcc_lo, exec_lo, s0
	s_movk_i32 s0, 0x800
	s_wait_alu 0xfffe
	s_cbranch_vccnz .LBB1049_531
; %bb.521:                              ;   in Loop: Header=BB1049_518 Depth=2
	s_lshl_b64 s[0:1], s[30:31], 1
	s_mov_b32 s11, exec_lo
	s_wait_alu 0xfffe
	s_add_nc_u64 s[0:1], s[36:37], s[0:1]
	v_cmpx_gt_u32_e64 s9, v13
	s_cbranch_execnz .LBB1049_547
; %bb.522:                              ;   in Loop: Header=BB1049_518 Depth=2
	s_or_b32 exec_lo, exec_lo, s11
	s_delay_alu instid0(SALU_CYCLE_1)
	s_mov_b32 s11, exec_lo
	v_cmpx_gt_u32_e64 s9, v29
	s_cbranch_execnz .LBB1049_548
.LBB1049_523:                           ;   in Loop: Header=BB1049_518 Depth=2
	s_wait_alu 0xfffe
	s_or_b32 exec_lo, exec_lo, s11
	s_delay_alu instid0(SALU_CYCLE_1)
	s_mov_b32 s11, exec_lo
	v_cmpx_gt_u32_e64 s9, v30
	s_cbranch_execnz .LBB1049_549
.LBB1049_524:                           ;   in Loop: Header=BB1049_518 Depth=2
	s_wait_alu 0xfffe
	s_or_b32 exec_lo, exec_lo, s11
	s_delay_alu instid0(SALU_CYCLE_1)
	s_mov_b32 s11, exec_lo
	v_cmpx_gt_u32_e64 s9, v31
	s_cbranch_execnz .LBB1049_550
.LBB1049_525:                           ;   in Loop: Header=BB1049_518 Depth=2
	s_wait_alu 0xfffe
	s_or_b32 exec_lo, exec_lo, s11
	s_delay_alu instid0(SALU_CYCLE_1)
	s_mov_b32 s11, exec_lo
	v_cmpx_gt_u32_e64 s9, v34
	s_cbranch_execnz .LBB1049_551
.LBB1049_526:                           ;   in Loop: Header=BB1049_518 Depth=2
	s_wait_alu 0xfffe
	s_or_b32 exec_lo, exec_lo, s11
	s_delay_alu instid0(SALU_CYCLE_1)
	s_mov_b32 s11, exec_lo
	v_cmpx_gt_u32_e64 s9, v35
	s_cbranch_execnz .LBB1049_552
.LBB1049_527:                           ;   in Loop: Header=BB1049_518 Depth=2
	s_wait_alu 0xfffe
	s_or_b32 exec_lo, exec_lo, s11
	s_delay_alu instid0(SALU_CYCLE_1)
	s_mov_b32 s11, exec_lo
	v_cmpx_gt_u32_e64 s9, v36
	s_cbranch_execnz .LBB1049_553
.LBB1049_528:                           ;   in Loop: Header=BB1049_518 Depth=2
	s_wait_alu 0xfffe
	s_or_b32 exec_lo, exec_lo, s11
	s_delay_alu instid0(SALU_CYCLE_1)
	s_mov_b32 s11, exec_lo
	v_cmpx_gt_u32_e64 s9, v37
	s_cbranch_execz .LBB1049_530
.LBB1049_529:                           ;   in Loop: Header=BB1049_518 Depth=2
	s_wait_loadcnt 0x0
	global_load_d16_hi_b16 v8, v79, s[0:1] offset:3584
.LBB1049_530:                           ;   in Loop: Header=BB1049_518 Depth=2
	s_wait_alu 0xfffe
	s_or_b32 exec_lo, exec_lo, s11
	s_wait_loadcnt 0x0
	v_dual_mov_b32 v12, v8 :: v_dual_mov_b32 v11, v7
	v_dual_mov_b32 v10, v6 :: v_dual_mov_b32 v9, v5
	s_mov_b32 s0, s9
.LBB1049_531:                           ;   in Loop: Header=BB1049_518 Depth=2
	s_wait_loadcnt 0x0
	s_delay_alu instid0(VALU_DEP_1)
	v_dual_mov_b32 v5, v9 :: v_dual_mov_b32 v6, v10
	v_dual_mov_b32 v7, v11 :: v_dual_mov_b32 v8, v12
	s_mov_b32 s1, exec_lo
	s_wait_alu 0xfffe
	v_cmpx_gt_u32_e64 s0, v13
	s_cbranch_execnz .LBB1049_539
; %bb.532:                              ;   in Loop: Header=BB1049_518 Depth=2
	s_or_b32 exec_lo, exec_lo, s1
	s_delay_alu instid0(SALU_CYCLE_1)
	s_mov_b32 s1, exec_lo
	v_cmpx_gt_u32_e64 s0, v29
	s_cbranch_execnz .LBB1049_540
.LBB1049_533:                           ;   in Loop: Header=BB1049_518 Depth=2
	s_wait_alu 0xfffe
	s_or_b32 exec_lo, exec_lo, s1
	s_delay_alu instid0(SALU_CYCLE_1)
	s_mov_b32 s1, exec_lo
	v_cmpx_gt_u32_e64 s0, v30
	s_cbranch_execnz .LBB1049_541
.LBB1049_534:                           ;   in Loop: Header=BB1049_518 Depth=2
	s_wait_alu 0xfffe
	s_or_b32 exec_lo, exec_lo, s1
	s_delay_alu instid0(SALU_CYCLE_1)
	s_mov_b32 s1, exec_lo
	v_cmpx_gt_u32_e64 s0, v31
	s_cbranch_execnz .LBB1049_542
.LBB1049_535:                           ;   in Loop: Header=BB1049_518 Depth=2
	s_wait_alu 0xfffe
	s_or_b32 exec_lo, exec_lo, s1
	s_delay_alu instid0(SALU_CYCLE_1)
	s_mov_b32 s1, exec_lo
	v_cmpx_gt_u32_e64 s0, v34
	s_cbranch_execnz .LBB1049_543
.LBB1049_536:                           ;   in Loop: Header=BB1049_518 Depth=2
	s_wait_alu 0xfffe
	s_or_b32 exec_lo, exec_lo, s1
	s_delay_alu instid0(SALU_CYCLE_1)
	s_mov_b32 s1, exec_lo
	v_cmpx_gt_u32_e64 s0, v35
	s_cbranch_execnz .LBB1049_544
.LBB1049_537:                           ;   in Loop: Header=BB1049_518 Depth=2
	s_wait_alu 0xfffe
	s_or_b32 exec_lo, exec_lo, s1
	s_delay_alu instid0(SALU_CYCLE_1)
	s_mov_b32 s1, exec_lo
	v_cmpx_gt_u32_e64 s0, v36
	s_cbranch_execnz .LBB1049_545
.LBB1049_538:                           ;   in Loop: Header=BB1049_518 Depth=2
	s_wait_alu 0xfffe
	s_or_b32 exec_lo, exec_lo, s1
	v_cmp_gt_u32_e32 vcc_lo, s0, v37
	s_and_saveexec_b32 s0, vcc_lo
	s_cbranch_execz .LBB1049_517
	s_branch .LBB1049_546
.LBB1049_539:                           ;   in Loop: Header=BB1049_518 Depth=2
	v_xor_b32_e32 v0, 0xffff8000, v5
	s_delay_alu instid0(VALU_DEP_1) | instskip(NEXT) | instid1(VALU_DEP_1)
	v_and_b32_e32 v0, 0xffff, v0
	v_lshrrev_b32_e32 v0, s45, v0
	s_delay_alu instid0(VALU_DEP_1) | instskip(NEXT) | instid1(VALU_DEP_1)
	v_and_b32_e32 v0, s42, v0
	v_lshl_or_b32 v0, v0, 4, v39
	ds_add_u32 v0, v63
	s_or_b32 exec_lo, exec_lo, s1
	s_delay_alu instid0(SALU_CYCLE_1)
	s_mov_b32 s1, exec_lo
	v_cmpx_gt_u32_e64 s0, v29
	s_cbranch_execz .LBB1049_533
.LBB1049_540:                           ;   in Loop: Header=BB1049_518 Depth=2
	v_lshrrev_b32_e32 v0, 16, v5
	s_delay_alu instid0(VALU_DEP_1) | instskip(NEXT) | instid1(VALU_DEP_1)
	v_xor_b32_e32 v0, 0xffff8000, v0
	v_and_b32_e32 v0, 0xffff, v0
	s_delay_alu instid0(VALU_DEP_1) | instskip(NEXT) | instid1(VALU_DEP_1)
	v_lshrrev_b32_e32 v0, s45, v0
	v_and_b32_e32 v0, s42, v0
	s_delay_alu instid0(VALU_DEP_1) | instskip(SKIP_3) | instid1(SALU_CYCLE_1)
	v_lshl_or_b32 v0, v0, 4, v39
	ds_add_u32 v0, v63
	s_wait_alu 0xfffe
	s_or_b32 exec_lo, exec_lo, s1
	s_mov_b32 s1, exec_lo
	v_cmpx_gt_u32_e64 s0, v30
	s_cbranch_execz .LBB1049_534
.LBB1049_541:                           ;   in Loop: Header=BB1049_518 Depth=2
	v_xor_b32_e32 v0, 0xffff8000, v6
	s_delay_alu instid0(VALU_DEP_1) | instskip(NEXT) | instid1(VALU_DEP_1)
	v_and_b32_e32 v0, 0xffff, v0
	v_lshrrev_b32_e32 v0, s45, v0
	s_delay_alu instid0(VALU_DEP_1) | instskip(NEXT) | instid1(VALU_DEP_1)
	v_and_b32_e32 v0, s42, v0
	v_lshl_or_b32 v0, v0, 4, v39
	ds_add_u32 v0, v63
	s_wait_alu 0xfffe
	s_or_b32 exec_lo, exec_lo, s1
	s_delay_alu instid0(SALU_CYCLE_1)
	s_mov_b32 s1, exec_lo
	v_cmpx_gt_u32_e64 s0, v31
	s_cbranch_execz .LBB1049_535
.LBB1049_542:                           ;   in Loop: Header=BB1049_518 Depth=2
	v_lshrrev_b32_e32 v0, 16, v6
	s_delay_alu instid0(VALU_DEP_1) | instskip(NEXT) | instid1(VALU_DEP_1)
	v_xor_b32_e32 v0, 0xffff8000, v0
	v_and_b32_e32 v0, 0xffff, v0
	s_delay_alu instid0(VALU_DEP_1) | instskip(NEXT) | instid1(VALU_DEP_1)
	v_lshrrev_b32_e32 v0, s45, v0
	v_and_b32_e32 v0, s42, v0
	s_delay_alu instid0(VALU_DEP_1) | instskip(SKIP_3) | instid1(SALU_CYCLE_1)
	v_lshl_or_b32 v0, v0, 4, v39
	ds_add_u32 v0, v63
	s_wait_alu 0xfffe
	s_or_b32 exec_lo, exec_lo, s1
	s_mov_b32 s1, exec_lo
	v_cmpx_gt_u32_e64 s0, v34
	s_cbranch_execz .LBB1049_536
.LBB1049_543:                           ;   in Loop: Header=BB1049_518 Depth=2
	v_xor_b32_e32 v0, 0xffff8000, v7
	s_delay_alu instid0(VALU_DEP_1) | instskip(NEXT) | instid1(VALU_DEP_1)
	v_and_b32_e32 v0, 0xffff, v0
	v_lshrrev_b32_e32 v0, s45, v0
	s_delay_alu instid0(VALU_DEP_1) | instskip(NEXT) | instid1(VALU_DEP_1)
	v_and_b32_e32 v0, s42, v0
	v_lshl_or_b32 v0, v0, 4, v39
	ds_add_u32 v0, v63
	s_wait_alu 0xfffe
	s_or_b32 exec_lo, exec_lo, s1
	s_delay_alu instid0(SALU_CYCLE_1)
	s_mov_b32 s1, exec_lo
	v_cmpx_gt_u32_e64 s0, v35
	s_cbranch_execz .LBB1049_537
.LBB1049_544:                           ;   in Loop: Header=BB1049_518 Depth=2
	v_lshrrev_b32_e32 v0, 16, v7
	s_delay_alu instid0(VALU_DEP_1) | instskip(NEXT) | instid1(VALU_DEP_1)
	v_xor_b32_e32 v0, 0xffff8000, v0
	v_and_b32_e32 v0, 0xffff, v0
	s_delay_alu instid0(VALU_DEP_1) | instskip(NEXT) | instid1(VALU_DEP_1)
	v_lshrrev_b32_e32 v0, s45, v0
	v_and_b32_e32 v0, s42, v0
	s_delay_alu instid0(VALU_DEP_1) | instskip(SKIP_3) | instid1(SALU_CYCLE_1)
	v_lshl_or_b32 v0, v0, 4, v39
	ds_add_u32 v0, v63
	s_wait_alu 0xfffe
	s_or_b32 exec_lo, exec_lo, s1
	s_mov_b32 s1, exec_lo
	v_cmpx_gt_u32_e64 s0, v36
	s_cbranch_execz .LBB1049_538
.LBB1049_545:                           ;   in Loop: Header=BB1049_518 Depth=2
	v_xor_b32_e32 v0, 0xffff8000, v8
	s_delay_alu instid0(VALU_DEP_1) | instskip(NEXT) | instid1(VALU_DEP_1)
	v_and_b32_e32 v0, 0xffff, v0
	v_lshrrev_b32_e32 v0, s45, v0
	s_delay_alu instid0(VALU_DEP_1) | instskip(NEXT) | instid1(VALU_DEP_1)
	v_and_b32_e32 v0, s42, v0
	v_lshl_or_b32 v0, v0, 4, v39
	ds_add_u32 v0, v63
	s_wait_alu 0xfffe
	s_or_b32 exec_lo, exec_lo, s1
	v_cmp_gt_u32_e32 vcc_lo, s0, v37
	s_and_saveexec_b32 s0, vcc_lo
	s_cbranch_execz .LBB1049_517
.LBB1049_546:                           ;   in Loop: Header=BB1049_518 Depth=2
	v_lshrrev_b32_e32 v0, 16, v8
	s_delay_alu instid0(VALU_DEP_1) | instskip(NEXT) | instid1(VALU_DEP_1)
	v_xor_b32_e32 v0, 0xffff8000, v0
	v_and_b32_e32 v0, 0xffff, v0
	s_delay_alu instid0(VALU_DEP_1) | instskip(NEXT) | instid1(VALU_DEP_1)
	v_lshrrev_b32_e32 v0, s45, v0
	v_and_b32_e32 v0, s42, v0
	s_delay_alu instid0(VALU_DEP_1)
	v_lshl_or_b32 v0, v0, 4, v39
	ds_add_u32 v0, v63
	s_branch .LBB1049_517
.LBB1049_547:                           ;   in Loop: Header=BB1049_518 Depth=2
	global_load_d16_b16 v5, v79, s[0:1]
	s_or_b32 exec_lo, exec_lo, s11
	s_delay_alu instid0(SALU_CYCLE_1)
	s_mov_b32 s11, exec_lo
	v_cmpx_gt_u32_e64 s9, v29
	s_cbranch_execz .LBB1049_523
.LBB1049_548:                           ;   in Loop: Header=BB1049_518 Depth=2
	s_wait_loadcnt 0x0
	global_load_d16_hi_b16 v5, v79, s[0:1] offset:512
	s_wait_alu 0xfffe
	s_or_b32 exec_lo, exec_lo, s11
	s_delay_alu instid0(SALU_CYCLE_1)
	s_mov_b32 s11, exec_lo
	v_cmpx_gt_u32_e64 s9, v30
	s_cbranch_execz .LBB1049_524
.LBB1049_549:                           ;   in Loop: Header=BB1049_518 Depth=2
	global_load_d16_b16 v6, v79, s[0:1] offset:1024
	s_wait_alu 0xfffe
	s_or_b32 exec_lo, exec_lo, s11
	s_delay_alu instid0(SALU_CYCLE_1)
	s_mov_b32 s11, exec_lo
	v_cmpx_gt_u32_e64 s9, v31
	s_cbranch_execz .LBB1049_525
.LBB1049_550:                           ;   in Loop: Header=BB1049_518 Depth=2
	s_wait_loadcnt 0x0
	global_load_d16_hi_b16 v6, v79, s[0:1] offset:1536
	s_wait_alu 0xfffe
	s_or_b32 exec_lo, exec_lo, s11
	s_delay_alu instid0(SALU_CYCLE_1)
	s_mov_b32 s11, exec_lo
	v_cmpx_gt_u32_e64 s9, v34
	s_cbranch_execz .LBB1049_526
.LBB1049_551:                           ;   in Loop: Header=BB1049_518 Depth=2
	global_load_d16_b16 v7, v79, s[0:1] offset:2048
	s_wait_alu 0xfffe
	s_or_b32 exec_lo, exec_lo, s11
	s_delay_alu instid0(SALU_CYCLE_1)
	s_mov_b32 s11, exec_lo
	v_cmpx_gt_u32_e64 s9, v35
	s_cbranch_execz .LBB1049_527
.LBB1049_552:                           ;   in Loop: Header=BB1049_518 Depth=2
	s_wait_loadcnt 0x0
	global_load_d16_hi_b16 v7, v79, s[0:1] offset:2560
	s_wait_alu 0xfffe
	s_or_b32 exec_lo, exec_lo, s11
	s_delay_alu instid0(SALU_CYCLE_1)
	s_mov_b32 s11, exec_lo
	v_cmpx_gt_u32_e64 s9, v36
	s_cbranch_execz .LBB1049_528
.LBB1049_553:                           ;   in Loop: Header=BB1049_518 Depth=2
	global_load_d16_b16 v8, v79, s[0:1] offset:3072
	s_wait_alu 0xfffe
	s_or_b32 exec_lo, exec_lo, s11
	s_delay_alu instid0(SALU_CYCLE_1)
	s_mov_b32 s11, exec_lo
	v_cmpx_gt_u32_e64 s9, v37
	s_cbranch_execnz .LBB1049_529
	s_branch .LBB1049_530
.LBB1049_554:                           ;   in Loop: Header=BB1049_20 Depth=1
	v_mov_b32_e32 v0, 0
	s_wait_dscnt 0x0
	s_barrier_signal -1
	s_barrier_wait -1
	global_inv scope:SCOPE_SE
	s_and_saveexec_b32 s0, s2
	s_cbranch_execz .LBB1049_556
; %bb.555:                              ;   in Loop: Header=BB1049_20 Depth=1
	ds_load_2addr_b64 v[5:8], v40 offset1:1
	s_wait_dscnt 0x0
	v_add_nc_u32_e32 v0, v6, v5
	s_delay_alu instid0(VALU_DEP_1)
	v_add3_u32 v0, v0, v7, v8
.LBB1049_556:                           ;   in Loop: Header=BB1049_20 Depth=1
	s_wait_alu 0xfffe
	s_or_b32 exec_lo, exec_lo, s0
	s_delay_alu instid0(VALU_DEP_1)
	v_mov_b32_dpp v2, v0 row_shr:1 row_mask:0xf bank_mask:0xf
	v_cmp_eq_u32_e64 s0, 0, v64
	v_cmp_lt_u32_e64 s1, 1, v64
	v_cmp_lt_u32_e64 s9, 3, v64
	;; [unrolled: 1-line block ×3, first 2 shown]
	v_cmp_eq_u32_e64 s11, 0, v66
	s_wait_alu 0xf1ff
	v_cndmask_b32_e64 v2, v2, 0, s0
	s_delay_alu instid0(VALU_DEP_1) | instskip(NEXT) | instid1(VALU_DEP_1)
	v_add_nc_u32_e32 v0, v2, v0
	v_mov_b32_dpp v2, v0 row_shr:2 row_mask:0xf bank_mask:0xf
	s_delay_alu instid0(VALU_DEP_1) | instskip(NEXT) | instid1(VALU_DEP_1)
	v_cndmask_b32_e64 v2, 0, v2, s1
	v_add_nc_u32_e32 v0, v0, v2
	s_delay_alu instid0(VALU_DEP_1) | instskip(NEXT) | instid1(VALU_DEP_1)
	v_mov_b32_dpp v2, v0 row_shr:4 row_mask:0xf bank_mask:0xf
	v_cndmask_b32_e64 v2, 0, v2, s9
	s_delay_alu instid0(VALU_DEP_1) | instskip(NEXT) | instid1(VALU_DEP_1)
	v_add_nc_u32_e32 v0, v0, v2
	v_mov_b32_dpp v2, v0 row_shr:8 row_mask:0xf bank_mask:0xf
	s_delay_alu instid0(VALU_DEP_1) | instskip(NEXT) | instid1(VALU_DEP_1)
	v_cndmask_b32_e64 v2, 0, v2, s10
	v_add_nc_u32_e32 v0, v0, v2
	ds_swizzle_b32 v2, v0 offset:swizzle(BROADCAST,32,15)
	s_wait_dscnt 0x0
	v_and_b32_e32 v2, v65, v2
	s_delay_alu instid0(VALU_DEP_1)
	v_add_nc_u32_e32 v0, v0, v2
	s_and_saveexec_b32 s12, s3
; %bb.557:                              ;   in Loop: Header=BB1049_20 Depth=1
	ds_store_b32 v41, v0
; %bb.558:                              ;   in Loop: Header=BB1049_20 Depth=1
	s_wait_alu 0xfffe
	s_or_b32 exec_lo, exec_lo, s12
	s_wait_loadcnt_dscnt 0x0
	s_barrier_signal -1
	s_barrier_wait -1
	global_inv scope:SCOPE_SE
	s_and_saveexec_b32 s12, s4
	s_cbranch_execz .LBB1049_560
; %bb.559:                              ;   in Loop: Header=BB1049_20 Depth=1
	ds_load_b32 v2, v42
	v_cmp_ne_u32_e32 vcc_lo, 0, v68
	s_wait_dscnt 0x0
	v_mov_b32_dpp v3, v2 row_shr:1 row_mask:0xf bank_mask:0xf
	s_wait_alu 0xfffd
	s_delay_alu instid0(VALU_DEP_1) | instskip(SKIP_1) | instid1(VALU_DEP_2)
	v_cndmask_b32_e32 v3, 0, v3, vcc_lo
	v_cmp_lt_u32_e32 vcc_lo, 1, v68
	v_add_nc_u32_e32 v2, v3, v2
	s_delay_alu instid0(VALU_DEP_1) | instskip(SKIP_1) | instid1(VALU_DEP_1)
	v_mov_b32_dpp v3, v2 row_shr:2 row_mask:0xf bank_mask:0xf
	s_wait_alu 0xfffd
	v_cndmask_b32_e32 v3, 0, v3, vcc_lo
	v_cmp_lt_u32_e32 vcc_lo, 3, v68
	s_delay_alu instid0(VALU_DEP_2) | instskip(NEXT) | instid1(VALU_DEP_1)
	v_add_nc_u32_e32 v2, v2, v3
	v_mov_b32_dpp v3, v2 row_shr:4 row_mask:0xf bank_mask:0xf
	s_wait_alu 0xfffd
	s_delay_alu instid0(VALU_DEP_1) | instskip(NEXT) | instid1(VALU_DEP_1)
	v_cndmask_b32_e32 v3, 0, v3, vcc_lo
	v_add_nc_u32_e32 v2, v2, v3
	ds_store_b32 v42, v2
.LBB1049_560:                           ;   in Loop: Header=BB1049_20 Depth=1
	s_wait_alu 0xfffe
	s_or_b32 exec_lo, exec_lo, s12
	v_mov_b32_e32 v2, 0
	s_wait_loadcnt_dscnt 0x0
	s_barrier_signal -1
	s_barrier_wait -1
	global_inv scope:SCOPE_SE
	s_and_saveexec_b32 s12, s5
; %bb.561:                              ;   in Loop: Header=BB1049_20 Depth=1
	ds_load_b32 v2, v44
; %bb.562:                              ;   in Loop: Header=BB1049_20 Depth=1
	s_wait_alu 0xfffe
	s_or_b32 exec_lo, exec_lo, s12
	v_cmp_gt_i32_e32 vcc_lo, 0, v69
	s_wait_dscnt 0x0
	v_add_nc_u32_e32 v0, v2, v0
	s_wait_loadcnt 0x0
	s_barrier_signal -1
	s_barrier_wait -1
	s_wait_alu 0xfffd
	v_cndmask_b32_e32 v3, v69, v60, vcc_lo
	global_inv scope:SCOPE_SE
	v_lshlrev_b32_e32 v84, 2, v3
	ds_bpermute_b32 v0, v84, v0
	s_and_saveexec_b32 s12, s2
	s_cbranch_execz .LBB1049_564
; %bb.563:                              ;   in Loop: Header=BB1049_20 Depth=1
	s_wait_dscnt 0x0
	v_cndmask_b32_e64 v0, v0, v2, s8
	s_delay_alu instid0(VALU_DEP_1)
	v_add_nc_u32_e32 v0, s33, v0
	ds_store_b32 v28, v0
.LBB1049_564:                           ;   in Loop: Header=BB1049_20 Depth=1
	s_wait_alu 0xfffe
	s_or_b32 exec_lo, exec_lo, s12
	s_load_b64 s[12:13], s[28:29], 0x0
	v_add_co_u32 v85, vcc_lo, v58, v70
	s_wait_alu 0xfffd
	v_add_co_ci_u32_e64 v86, null, 0, v59, vcc_lo
	v_add_co_u32 v87, vcc_lo, v61, v78
	s_wait_alu 0xfffd
	v_add_co_ci_u32_e64 v88, null, 0, v62, vcc_lo
	s_mov_b32 s43, s47
                                        ; implicit-def: $vgpr9_vgpr10
                                        ; implicit-def: $vgpr11_vgpr12
                                        ; implicit-def: $vgpr16_vgpr17
                                        ; implicit-def: $vgpr18_vgpr19
                                        ; implicit-def: $vgpr20_vgpr21
                                        ; implicit-def: $vgpr22_vgpr23
                                        ; implicit-def: $vgpr90
                                        ; implicit-def: $vgpr91
                                        ; implicit-def: $vgpr92
                                        ; implicit-def: $vgpr93
                                        ; implicit-def: $vgpr94
                                        ; implicit-def: $vgpr95
                                        ; implicit-def: $vgpr96
                                        ; implicit-def: $vgpr97
	s_wait_kmcnt 0x0
	s_cmp_lt_u32 ttmp7, s13
	s_cselect_b32 s30, 14, 20
	s_cmp_lt_u32 ttmp9, s12
	s_wait_alu 0xfffe
	s_add_nc_u64 s[14:15], s[28:29], s[30:31]
	s_cselect_b32 s30, 12, 18
	s_load_u16 s14, s[14:15], 0x0
	s_add_nc_u64 s[12:13], s[28:29], s[30:31]
	s_mov_b32 s30, s33
	s_load_u16 s12, s[12:13], 0x0
	v_cmp_lt_u32_e64 s13, 1, v68
	s_wait_dscnt 0x0
	s_wait_kmcnt 0x0
	v_mad_u32_u24 v0, v45, s14, v46
	v_cmp_lt_u32_e64 s14, 3, v68
	s_delay_alu instid0(VALU_DEP_2) | instskip(SKIP_1) | instid1(VALU_DEP_2)
	v_mad_co_u64_u32 v[2:3], null, v0, s12, v[13:14]
	v_cmp_eq_u32_e64 s12, 0, v68
                                        ; implicit-def: $vgpr14_vgpr15
	v_lshrrev_b32_e32 v0, 3, v2
                                        ; implicit-def: $vgpr2_vgpr3
	s_delay_alu instid0(VALU_DEP_1)
	v_and_b32_e32 v89, 0x1ffffffc, v0
	s_branch .LBB1049_566
.LBB1049_565:                           ;   in Loop: Header=BB1049_566 Depth=2
	s_wait_alu 0xfffe
	s_or_b32 exec_lo, exec_lo, s15
	s_addk_co_i32 s43, 0xf800
	s_cmp_lt_u32 s44, s34
	s_mov_b32 s30, s44
	s_cbranch_scc0 .LBB1049_18
.LBB1049_566:                           ;   Parent Loop BB1049_20 Depth=1
                                        ; =>  This Inner Loop Header: Depth=2
	s_wait_alu 0xfffe
	s_add_co_i32 s44, s30, 0x800
	s_wait_alu 0xfffe
	s_cmp_gt_u32 s44, s34
	s_cbranch_scc1 .LBB1049_568
; %bb.567:                              ;   in Loop: Header=BB1049_566 Depth=2
	s_lshl_b64 s[16:17], s[30:31], 1
	s_mov_b32 s15, -1
	s_wait_alu 0xfffe
	v_add_co_u32 v24, vcc_lo, v87, s16
	s_wait_alu 0xfffd
	v_add_co_ci_u32_e64 v25, null, s17, v88, vcc_lo
	s_clause 0x3
	global_load_u16 v5, v[24:25], off
	global_load_u16 v6, v[24:25], off offset:128
	global_load_u16 v7, v[24:25], off offset:256
	global_load_d16_b16 v8, v[24:25], off offset:384
	s_wait_loadcnt 0x3
	global_load_d16_hi_b16 v5, v[24:25], off offset:64
	s_wait_loadcnt 0x3
	global_load_d16_hi_b16 v6, v[24:25], off offset:192
	;; [unrolled: 2-line block ×3, first 2 shown]
	s_movk_i32 s16, 0x800
	s_cbranch_execz .LBB1049_569
	s_branch .LBB1049_578
.LBB1049_568:                           ;   in Loop: Header=BB1049_566 Depth=2
	s_mov_b32 s15, 0
                                        ; implicit-def: $vgpr5_vgpr6_vgpr7_vgpr8
	s_movk_i32 s16, 0x800
.LBB1049_569:                           ;   in Loop: Header=BB1049_566 Depth=2
	s_wait_loadcnt 0x0
	v_mov_b32_e32 v7, v4
	s_lshl_b64 s[16:17], s[30:31], 1
	v_dual_mov_b32 v5, v4 :: v_dual_mov_b32 v6, v4
	s_wait_alu 0xfffe
	v_add_co_u32 v24, vcc_lo, v87, s16
	v_mov_b32_e32 v8, v7
	s_wait_alu 0xfffd
	v_add_co_ci_u32_e64 v25, null, s17, v88, vcc_lo
	v_mov_b32_e32 v7, v6
	v_mov_b32_e32 v6, v5
	v_mov_b32_e32 v5, v4
	s_mov_b32 s15, exec_lo
	v_cmpx_gt_u32_e64 s43, v67
	s_cbranch_execnz .LBB1049_672
; %bb.570:                              ;   in Loop: Header=BB1049_566 Depth=2
	s_wait_alu 0xfffe
	s_or_b32 exec_lo, exec_lo, s15
	s_delay_alu instid0(SALU_CYCLE_1)
	s_mov_b32 s15, exec_lo
	v_cmpx_gt_u32_e64 s43, v71
	s_cbranch_execnz .LBB1049_673
.LBB1049_571:                           ;   in Loop: Header=BB1049_566 Depth=2
	s_wait_alu 0xfffe
	s_or_b32 exec_lo, exec_lo, s15
	s_delay_alu instid0(SALU_CYCLE_1)
	s_mov_b32 s15, exec_lo
	v_cmpx_gt_u32_e64 s43, v72
	s_cbranch_execnz .LBB1049_674
.LBB1049_572:                           ;   in Loop: Header=BB1049_566 Depth=2
	s_wait_alu 0xfffe
	s_or_b32 exec_lo, exec_lo, s15
	s_delay_alu instid0(SALU_CYCLE_1)
	s_mov_b32 s15, exec_lo
	v_cmpx_gt_u32_e64 s43, v73
	s_cbranch_execnz .LBB1049_675
.LBB1049_573:                           ;   in Loop: Header=BB1049_566 Depth=2
	s_wait_alu 0xfffe
	s_or_b32 exec_lo, exec_lo, s15
	s_delay_alu instid0(SALU_CYCLE_1)
	s_mov_b32 s15, exec_lo
	v_cmpx_gt_u32_e64 s43, v74
	s_cbranch_execnz .LBB1049_676
.LBB1049_574:                           ;   in Loop: Header=BB1049_566 Depth=2
	s_wait_alu 0xfffe
	s_or_b32 exec_lo, exec_lo, s15
	s_delay_alu instid0(SALU_CYCLE_1)
	s_mov_b32 s15, exec_lo
	v_cmpx_gt_u32_e64 s43, v75
	s_cbranch_execnz .LBB1049_677
.LBB1049_575:                           ;   in Loop: Header=BB1049_566 Depth=2
	s_wait_alu 0xfffe
	s_or_b32 exec_lo, exec_lo, s15
	s_delay_alu instid0(SALU_CYCLE_1)
	s_mov_b32 s15, exec_lo
	v_cmpx_gt_u32_e64 s43, v76
	s_cbranch_execz .LBB1049_577
.LBB1049_576:                           ;   in Loop: Header=BB1049_566 Depth=2
	global_load_d16_b16 v8, v[24:25], off offset:384
.LBB1049_577:                           ;   in Loop: Header=BB1049_566 Depth=2
	s_wait_alu 0xfffe
	s_or_b32 exec_lo, exec_lo, s15
	v_cmp_gt_u32_e64 s15, s43, v77
	s_sub_co_i32 s16, s34, s30
.LBB1049_578:                           ;   in Loop: Header=BB1049_566 Depth=2
	v_mov_b32_e32 v98, s43
	s_and_saveexec_b32 s17, s15
	s_cbranch_execz .LBB1049_580
; %bb.579:                              ;   in Loop: Header=BB1049_566 Depth=2
	s_lshl_b64 s[18:19], s[30:31], 1
	s_wait_alu 0xfffe
	v_mov_b32_e32 v98, s16
	v_add_co_u32 v24, vcc_lo, v87, s18
	s_wait_alu 0xfffd
	v_add_co_ci_u32_e64 v25, null, s19, v88, vcc_lo
	s_wait_loadcnt 0x0
	global_load_d16_hi_b16 v8, v[24:25], off offset:448
.LBB1049_580:                           ;   in Loop: Header=BB1049_566 Depth=2
	s_wait_alu 0xfffe
	s_or_b32 exec_lo, exec_lo, s17
	s_wait_loadcnt 0x0
	v_xor_b32_e32 v0, 0xffff8000, v5
	s_delay_alu instid0(VALU_DEP_1) | instskip(NEXT) | instid1(VALU_DEP_1)
	v_and_b32_e32 v24, 0xffff, v0
	v_lshrrev_b32_e32 v24, s45, v24
	s_delay_alu instid0(VALU_DEP_1) | instskip(NEXT) | instid1(VALU_DEP_1)
	v_and_b32_e32 v25, s42, v24
	v_and_b32_e32 v24, 1, v25
	v_lshlrev_b32_e32 v26, 30, v25
	v_lshlrev_b32_e32 v27, 29, v25
	;; [unrolled: 1-line block ×4, first 2 shown]
	v_add_co_u32 v24, s15, v24, -1
	s_wait_alu 0xf1ff
	v_cndmask_b32_e64 v100, 0, 1, s15
	v_not_b32_e32 v104, v26
	v_cmp_gt_i32_e64 s15, 0, v26
	v_not_b32_e32 v26, v27
	v_lshlrev_b32_e32 v102, 26, v25
	v_cmp_ne_u32_e32 vcc_lo, 0, v100
	v_ashrrev_i32_e32 v104, 31, v104
	v_lshlrev_b32_e32 v103, 25, v25
	v_ashrrev_i32_e32 v26, 31, v26
	v_lshlrev_b32_e32 v100, 24, v25
	s_wait_alu 0xfffd
	v_xor_b32_e32 v24, vcc_lo, v24
	v_cmp_gt_i32_e32 vcc_lo, 0, v27
	v_not_b32_e32 v27, v99
	s_wait_alu 0xf1ff
	v_xor_b32_e32 v104, s15, v104
	v_cmp_gt_i32_e64 s15, 0, v99
	v_and_b32_e32 v24, exec_lo, v24
	v_not_b32_e32 v99, v101
	v_ashrrev_i32_e32 v27, 31, v27
	s_wait_alu 0xfffd
	v_xor_b32_e32 v26, vcc_lo, v26
	v_cmp_gt_i32_e32 vcc_lo, 0, v101
	v_and_b32_e32 v24, v24, v104
	v_not_b32_e32 v101, v102
	v_ashrrev_i32_e32 v99, 31, v99
	s_wait_alu 0xf1ff
	v_xor_b32_e32 v27, s15, v27
	v_cmp_gt_i32_e64 s15, 0, v102
	v_and_b32_e32 v24, v24, v26
	v_not_b32_e32 v26, v103
	v_ashrrev_i32_e32 v101, 31, v101
	s_wait_alu 0xfffd
	v_xor_b32_e32 v99, vcc_lo, v99
	v_cmp_gt_i32_e32 vcc_lo, 0, v103
	v_and_b32_e32 v24, v24, v27
	v_not_b32_e32 v27, v100
	v_ashrrev_i32_e32 v26, 31, v26
	s_wait_alu 0xf1ff
	v_xor_b32_e32 v101, s15, v101
	v_cmp_gt_i32_e64 s15, 0, v100
	v_and_b32_e32 v24, v24, v99
	v_ashrrev_i32_e32 v27, 31, v27
	s_wait_alu 0xfffd
	v_xor_b32_e32 v26, vcc_lo, v26
	v_mul_u32_u24_e32 v25, 36, v25
	v_add_nc_u32_e32 v102, 0x420, v43
	v_and_b32_e32 v24, v24, v101
	s_wait_alu 0xf1ff
	v_xor_b32_e32 v27, s15, v27
	v_add_nc_u32_e32 v101, 0x438, v43
	v_add_nc_u32_e32 v103, 0x428, v43
	;; [unrolled: 1-line block ×3, first 2 shown]
	v_and_b32_e32 v24, v24, v26
	v_add_nc_u32_e32 v105, v89, v25
	ds_store_2addr_b32 v101, v1, v1 offset1:1
	ds_store_2addr_b32 v102, v1, v1 offset1:1
	;; [unrolled: 1-line block ×4, first 2 shown]
	ds_store_b32 v43, v1 offset:1088
	s_wait_dscnt 0x0
	v_and_b32_e32 v24, v24, v27
	s_barrier_signal -1
	s_barrier_wait -1
	global_inv scope:SCOPE_SE
	v_mbcnt_lo_u32_b32 v99, v24, 0
	v_cmp_ne_u32_e64 s15, 0, v24
	; wave barrier
	s_delay_alu instid0(VALU_DEP_2)
	v_cmp_eq_u32_e32 vcc_lo, 0, v99
	s_and_b32 s16, s15, vcc_lo
	s_wait_alu 0xfffe
	s_and_saveexec_b32 s15, s16
; %bb.581:                              ;   in Loop: Header=BB1049_566 Depth=2
	v_bcnt_u32_b32 v24, v24, 0
	ds_store_b32 v105, v24 offset:1056
; %bb.582:                              ;   in Loop: Header=BB1049_566 Depth=2
	s_wait_alu 0xfffe
	s_or_b32 exec_lo, exec_lo, s15
	v_lshrrev_b32_e32 v5, 16, v5
	; wave barrier
	s_delay_alu instid0(VALU_DEP_1) | instskip(NEXT) | instid1(VALU_DEP_1)
	v_xor_b32_e32 v100, 0xffff8000, v5
	v_and_b32_e32 v5, 0xffff, v100
	s_delay_alu instid0(VALU_DEP_1) | instskip(NEXT) | instid1(VALU_DEP_1)
	v_lshrrev_b32_e32 v5, s45, v5
	v_and_b32_e32 v24, s42, v5
	s_delay_alu instid0(VALU_DEP_1)
	v_and_b32_e32 v5, 1, v24
	v_lshlrev_b32_e32 v25, 30, v24
	v_lshlrev_b32_e32 v26, 29, v24
	v_lshlrev_b32_e32 v27, 28, v24
	v_lshlrev_b32_e32 v107, 27, v24
	v_add_co_u32 v5, s15, v5, -1
	s_wait_alu 0xf1ff
	v_cndmask_b32_e64 v106, 0, 1, s15
	v_not_b32_e32 v110, v25
	v_cmp_gt_i32_e64 s15, 0, v25
	v_not_b32_e32 v25, v26
	v_lshlrev_b32_e32 v108, 26, v24
	v_cmp_ne_u32_e32 vcc_lo, 0, v106
	v_ashrrev_i32_e32 v110, 31, v110
	v_lshlrev_b32_e32 v109, 25, v24
	v_ashrrev_i32_e32 v25, 31, v25
	v_lshlrev_b32_e32 v106, 24, v24
	s_wait_alu 0xfffd
	v_xor_b32_e32 v5, vcc_lo, v5
	v_cmp_gt_i32_e32 vcc_lo, 0, v26
	v_not_b32_e32 v26, v27
	s_wait_alu 0xf1ff
	v_xor_b32_e32 v110, s15, v110
	v_cmp_gt_i32_e64 s15, 0, v27
	v_and_b32_e32 v5, exec_lo, v5
	v_not_b32_e32 v27, v107
	v_ashrrev_i32_e32 v26, 31, v26
	s_wait_alu 0xfffd
	v_xor_b32_e32 v25, vcc_lo, v25
	v_cmp_gt_i32_e32 vcc_lo, 0, v107
	v_and_b32_e32 v5, v5, v110
	v_not_b32_e32 v107, v108
	v_ashrrev_i32_e32 v27, 31, v27
	s_wait_alu 0xf1ff
	v_xor_b32_e32 v26, s15, v26
	v_cmp_gt_i32_e64 s15, 0, v108
	v_and_b32_e32 v5, v5, v25
	v_not_b32_e32 v25, v109
	v_ashrrev_i32_e32 v107, 31, v107
	s_wait_alu 0xfffd
	v_xor_b32_e32 v27, vcc_lo, v27
	v_cmp_gt_i32_e32 vcc_lo, 0, v109
	v_and_b32_e32 v5, v5, v26
	v_not_b32_e32 v26, v106
	v_ashrrev_i32_e32 v25, 31, v25
	s_wait_alu 0xf1ff
	v_xor_b32_e32 v107, s15, v107
	v_cmp_gt_i32_e64 s15, 0, v106
	v_and_b32_e32 v5, v5, v27
	v_ashrrev_i32_e32 v26, 31, v26
	s_wait_alu 0xfffd
	v_xor_b32_e32 v25, vcc_lo, v25
	v_mad_u32_u24 v27, v24, 36, v89
	v_mul_u32_u24_e32 v24, 36, v24
	v_and_b32_e32 v5, v5, v107
	s_wait_alu 0xf1ff
	v_xor_b32_e32 v26, s15, v26
	ds_load_b32 v106, v27 offset:1056
	v_add_nc_u32_e32 v109, v89, v24
	v_and_b32_e32 v5, v5, v25
	; wave barrier
	s_delay_alu instid0(VALU_DEP_1) | instskip(NEXT) | instid1(VALU_DEP_1)
	v_and_b32_e32 v5, v5, v26
	v_mbcnt_lo_u32_b32 v107, v5, 0
	v_cmp_ne_u32_e64 s15, 0, v5
	s_delay_alu instid0(VALU_DEP_2)
	v_cmp_eq_u32_e32 vcc_lo, 0, v107
	s_and_b32 s16, s15, vcc_lo
	s_wait_alu 0xfffe
	s_and_saveexec_b32 s15, s16
	s_cbranch_execz .LBB1049_584
; %bb.583:                              ;   in Loop: Header=BB1049_566 Depth=2
	s_wait_dscnt 0x0
	v_bcnt_u32_b32 v5, v5, v106
	ds_store_b32 v109, v5 offset:1056
.LBB1049_584:                           ;   in Loop: Header=BB1049_566 Depth=2
	s_wait_alu 0xfffe
	s_or_b32 exec_lo, exec_lo, s15
	v_xor_b32_e32 v108, 0xffff8000, v6
	; wave barrier
	s_delay_alu instid0(VALU_DEP_1) | instskip(NEXT) | instid1(VALU_DEP_1)
	v_and_b32_e32 v5, 0xffff, v108
	v_lshrrev_b32_e32 v5, s45, v5
	s_delay_alu instid0(VALU_DEP_1) | instskip(NEXT) | instid1(VALU_DEP_1)
	v_and_b32_e32 v24, s42, v5
	v_and_b32_e32 v5, 1, v24
	v_lshlrev_b32_e32 v25, 30, v24
	v_lshlrev_b32_e32 v26, 29, v24
	;; [unrolled: 1-line block ×4, first 2 shown]
	v_add_co_u32 v5, s15, v5, -1
	s_wait_alu 0xf1ff
	v_cndmask_b32_e64 v110, 0, 1, s15
	v_not_b32_e32 v114, v25
	v_cmp_gt_i32_e64 s15, 0, v25
	v_not_b32_e32 v25, v26
	v_lshlrev_b32_e32 v112, 26, v24
	v_cmp_ne_u32_e32 vcc_lo, 0, v110
	v_ashrrev_i32_e32 v114, 31, v114
	v_lshlrev_b32_e32 v113, 25, v24
	v_ashrrev_i32_e32 v25, 31, v25
	v_lshlrev_b32_e32 v110, 24, v24
	s_wait_alu 0xfffd
	v_xor_b32_e32 v5, vcc_lo, v5
	v_cmp_gt_i32_e32 vcc_lo, 0, v26
	v_not_b32_e32 v26, v27
	s_wait_alu 0xf1ff
	v_xor_b32_e32 v114, s15, v114
	v_cmp_gt_i32_e64 s15, 0, v27
	v_and_b32_e32 v5, exec_lo, v5
	v_not_b32_e32 v27, v111
	v_ashrrev_i32_e32 v26, 31, v26
	s_wait_alu 0xfffd
	v_xor_b32_e32 v25, vcc_lo, v25
	v_cmp_gt_i32_e32 vcc_lo, 0, v111
	v_and_b32_e32 v5, v5, v114
	v_not_b32_e32 v111, v112
	v_ashrrev_i32_e32 v27, 31, v27
	s_wait_alu 0xf1ff
	v_xor_b32_e32 v26, s15, v26
	v_cmp_gt_i32_e64 s15, 0, v112
	v_and_b32_e32 v5, v5, v25
	v_not_b32_e32 v25, v113
	v_ashrrev_i32_e32 v111, 31, v111
	s_wait_alu 0xfffd
	v_xor_b32_e32 v27, vcc_lo, v27
	v_cmp_gt_i32_e32 vcc_lo, 0, v113
	v_and_b32_e32 v5, v5, v26
	v_not_b32_e32 v26, v110
	v_ashrrev_i32_e32 v25, 31, v25
	s_wait_alu 0xf1ff
	v_xor_b32_e32 v111, s15, v111
	v_cmp_gt_i32_e64 s15, 0, v110
	v_and_b32_e32 v5, v5, v27
	v_ashrrev_i32_e32 v26, 31, v26
	s_wait_alu 0xfffd
	v_xor_b32_e32 v25, vcc_lo, v25
	v_mad_u32_u24 v27, v24, 36, v89
	v_mul_u32_u24_e32 v24, 36, v24
	v_and_b32_e32 v5, v5, v111
	s_wait_alu 0xf1ff
	v_xor_b32_e32 v26, s15, v26
	ds_load_b32 v110, v27 offset:1056
	v_add_nc_u32_e32 v113, v89, v24
	v_and_b32_e32 v5, v5, v25
	; wave barrier
	s_delay_alu instid0(VALU_DEP_1) | instskip(NEXT) | instid1(VALU_DEP_1)
	v_and_b32_e32 v5, v5, v26
	v_mbcnt_lo_u32_b32 v112, v5, 0
	v_cmp_ne_u32_e64 s15, 0, v5
	s_delay_alu instid0(VALU_DEP_2)
	v_cmp_eq_u32_e32 vcc_lo, 0, v112
	s_and_b32 s16, s15, vcc_lo
	s_wait_alu 0xfffe
	s_and_saveexec_b32 s15, s16
	s_cbranch_execz .LBB1049_586
; %bb.585:                              ;   in Loop: Header=BB1049_566 Depth=2
	s_wait_dscnt 0x0
	v_bcnt_u32_b32 v5, v5, v110
	ds_store_b32 v113, v5 offset:1056
.LBB1049_586:                           ;   in Loop: Header=BB1049_566 Depth=2
	s_wait_alu 0xfffe
	s_or_b32 exec_lo, exec_lo, s15
	v_lshrrev_b32_e32 v5, 16, v6
	; wave barrier
	s_delay_alu instid0(VALU_DEP_1) | instskip(NEXT) | instid1(VALU_DEP_1)
	v_xor_b32_e32 v111, 0xffff8000, v5
	v_and_b32_e32 v5, 0xffff, v111
	s_delay_alu instid0(VALU_DEP_1) | instskip(NEXT) | instid1(VALU_DEP_1)
	v_lshrrev_b32_e32 v5, s45, v5
	v_and_b32_e32 v6, s42, v5
	s_delay_alu instid0(VALU_DEP_1)
	v_and_b32_e32 v5, 1, v6
	v_lshlrev_b32_e32 v24, 30, v6
	v_lshlrev_b32_e32 v25, 29, v6
	;; [unrolled: 1-line block ×4, first 2 shown]
	v_add_co_u32 v5, s15, v5, -1
	s_wait_alu 0xf1ff
	v_cndmask_b32_e64 v27, 0, 1, s15
	v_not_b32_e32 v117, v24
	v_cmp_gt_i32_e64 s15, 0, v24
	v_not_b32_e32 v24, v25
	v_lshlrev_b32_e32 v115, 26, v6
	v_cmp_ne_u32_e32 vcc_lo, 0, v27
	v_ashrrev_i32_e32 v117, 31, v117
	v_lshlrev_b32_e32 v116, 25, v6
	v_ashrrev_i32_e32 v24, 31, v24
	v_lshlrev_b32_e32 v27, 24, v6
	s_wait_alu 0xfffd
	v_xor_b32_e32 v5, vcc_lo, v5
	v_cmp_gt_i32_e32 vcc_lo, 0, v25
	v_not_b32_e32 v25, v26
	s_wait_alu 0xf1ff
	v_xor_b32_e32 v117, s15, v117
	v_cmp_gt_i32_e64 s15, 0, v26
	v_and_b32_e32 v5, exec_lo, v5
	v_not_b32_e32 v26, v114
	v_ashrrev_i32_e32 v25, 31, v25
	s_wait_alu 0xfffd
	v_xor_b32_e32 v24, vcc_lo, v24
	v_cmp_gt_i32_e32 vcc_lo, 0, v114
	v_and_b32_e32 v5, v5, v117
	v_not_b32_e32 v114, v115
	v_ashrrev_i32_e32 v26, 31, v26
	s_wait_alu 0xf1ff
	v_xor_b32_e32 v25, s15, v25
	v_cmp_gt_i32_e64 s15, 0, v115
	v_and_b32_e32 v5, v5, v24
	v_not_b32_e32 v24, v116
	v_ashrrev_i32_e32 v114, 31, v114
	s_wait_alu 0xfffd
	v_xor_b32_e32 v26, vcc_lo, v26
	v_cmp_gt_i32_e32 vcc_lo, 0, v116
	v_and_b32_e32 v5, v5, v25
	v_not_b32_e32 v25, v27
	v_ashrrev_i32_e32 v24, 31, v24
	s_wait_alu 0xf1ff
	v_xor_b32_e32 v114, s15, v114
	v_cmp_gt_i32_e64 s15, 0, v27
	v_and_b32_e32 v5, v5, v26
	v_ashrrev_i32_e32 v25, 31, v25
	s_wait_alu 0xfffd
	v_xor_b32_e32 v24, vcc_lo, v24
	v_mad_u32_u24 v26, v6, 36, v89
	v_mul_u32_u24_e32 v6, 36, v6
	v_and_b32_e32 v5, v5, v114
	s_wait_alu 0xf1ff
	v_xor_b32_e32 v25, s15, v25
	ds_load_b32 v114, v26 offset:1056
	v_add_nc_u32_e32 v117, v89, v6
	v_and_b32_e32 v5, v5, v24
	; wave barrier
	s_delay_alu instid0(VALU_DEP_1) | instskip(NEXT) | instid1(VALU_DEP_1)
	v_and_b32_e32 v5, v5, v25
	v_mbcnt_lo_u32_b32 v116, v5, 0
	v_cmp_ne_u32_e64 s15, 0, v5
	s_delay_alu instid0(VALU_DEP_2)
	v_cmp_eq_u32_e32 vcc_lo, 0, v116
	s_and_b32 s16, s15, vcc_lo
	s_wait_alu 0xfffe
	s_and_saveexec_b32 s15, s16
	s_cbranch_execz .LBB1049_588
; %bb.587:                              ;   in Loop: Header=BB1049_566 Depth=2
	s_wait_dscnt 0x0
	v_bcnt_u32_b32 v5, v5, v114
	ds_store_b32 v117, v5 offset:1056
.LBB1049_588:                           ;   in Loop: Header=BB1049_566 Depth=2
	s_wait_alu 0xfffe
	s_or_b32 exec_lo, exec_lo, s15
	v_xor_b32_e32 v115, 0xffff8000, v7
	; wave barrier
	s_delay_alu instid0(VALU_DEP_1) | instskip(NEXT) | instid1(VALU_DEP_1)
	v_and_b32_e32 v5, 0xffff, v115
	v_lshrrev_b32_e32 v5, s45, v5
	s_delay_alu instid0(VALU_DEP_1) | instskip(NEXT) | instid1(VALU_DEP_1)
	v_and_b32_e32 v6, s42, v5
	v_and_b32_e32 v5, 1, v6
	v_lshlrev_b32_e32 v24, 30, v6
	v_lshlrev_b32_e32 v25, 29, v6
	;; [unrolled: 1-line block ×4, first 2 shown]
	v_add_co_u32 v5, s15, v5, -1
	s_wait_alu 0xf1ff
	v_cndmask_b32_e64 v27, 0, 1, s15
	v_not_b32_e32 v121, v24
	v_cmp_gt_i32_e64 s15, 0, v24
	v_not_b32_e32 v24, v25
	v_lshlrev_b32_e32 v119, 26, v6
	v_cmp_ne_u32_e32 vcc_lo, 0, v27
	v_ashrrev_i32_e32 v121, 31, v121
	v_lshlrev_b32_e32 v120, 25, v6
	v_ashrrev_i32_e32 v24, 31, v24
	v_lshlrev_b32_e32 v27, 24, v6
	s_wait_alu 0xfffd
	v_xor_b32_e32 v5, vcc_lo, v5
	v_cmp_gt_i32_e32 vcc_lo, 0, v25
	v_not_b32_e32 v25, v26
	s_wait_alu 0xf1ff
	v_xor_b32_e32 v121, s15, v121
	v_cmp_gt_i32_e64 s15, 0, v26
	v_and_b32_e32 v5, exec_lo, v5
	v_not_b32_e32 v26, v118
	v_ashrrev_i32_e32 v25, 31, v25
	s_wait_alu 0xfffd
	v_xor_b32_e32 v24, vcc_lo, v24
	v_cmp_gt_i32_e32 vcc_lo, 0, v118
	v_and_b32_e32 v5, v5, v121
	v_not_b32_e32 v118, v119
	v_ashrrev_i32_e32 v26, 31, v26
	s_wait_alu 0xf1ff
	v_xor_b32_e32 v25, s15, v25
	v_cmp_gt_i32_e64 s15, 0, v119
	v_and_b32_e32 v5, v5, v24
	v_not_b32_e32 v24, v120
	v_ashrrev_i32_e32 v118, 31, v118
	s_wait_alu 0xfffd
	v_xor_b32_e32 v26, vcc_lo, v26
	v_cmp_gt_i32_e32 vcc_lo, 0, v120
	v_and_b32_e32 v5, v5, v25
	v_not_b32_e32 v25, v27
	v_ashrrev_i32_e32 v24, 31, v24
	s_wait_alu 0xf1ff
	v_xor_b32_e32 v118, s15, v118
	v_cmp_gt_i32_e64 s15, 0, v27
	v_and_b32_e32 v5, v5, v26
	v_ashrrev_i32_e32 v25, 31, v25
	s_wait_alu 0xfffd
	v_xor_b32_e32 v24, vcc_lo, v24
	v_mad_u32_u24 v26, v6, 36, v89
	v_mul_u32_u24_e32 v6, 36, v6
	v_and_b32_e32 v5, v5, v118
	s_wait_alu 0xf1ff
	v_xor_b32_e32 v25, s15, v25
	ds_load_b32 v118, v26 offset:1056
	v_add_nc_u32_e32 v121, v89, v6
	v_and_b32_e32 v5, v5, v24
	; wave barrier
	s_delay_alu instid0(VALU_DEP_1) | instskip(NEXT) | instid1(VALU_DEP_1)
	v_and_b32_e32 v5, v5, v25
	v_mbcnt_lo_u32_b32 v120, v5, 0
	v_cmp_ne_u32_e64 s15, 0, v5
	s_delay_alu instid0(VALU_DEP_2)
	v_cmp_eq_u32_e32 vcc_lo, 0, v120
	s_and_b32 s16, s15, vcc_lo
	s_wait_alu 0xfffe
	s_and_saveexec_b32 s15, s16
	s_cbranch_execz .LBB1049_590
; %bb.589:                              ;   in Loop: Header=BB1049_566 Depth=2
	s_wait_dscnt 0x0
	v_bcnt_u32_b32 v5, v5, v118
	ds_store_b32 v121, v5 offset:1056
.LBB1049_590:                           ;   in Loop: Header=BB1049_566 Depth=2
	s_wait_alu 0xfffe
	s_or_b32 exec_lo, exec_lo, s15
	v_lshrrev_b32_e32 v5, 16, v7
	; wave barrier
	s_delay_alu instid0(VALU_DEP_1) | instskip(NEXT) | instid1(VALU_DEP_1)
	v_xor_b32_e32 v119, 0xffff8000, v5
	v_and_b32_e32 v5, 0xffff, v119
	s_delay_alu instid0(VALU_DEP_1) | instskip(NEXT) | instid1(VALU_DEP_1)
	v_lshrrev_b32_e32 v5, s45, v5
	v_and_b32_e32 v6, s42, v5
	s_delay_alu instid0(VALU_DEP_1)
	v_and_b32_e32 v5, 1, v6
	v_lshlrev_b32_e32 v7, 30, v6
	v_lshlrev_b32_e32 v24, 29, v6
	;; [unrolled: 1-line block ×4, first 2 shown]
	v_add_co_u32 v5, s15, v5, -1
	s_wait_alu 0xf1ff
	v_cndmask_b32_e64 v26, 0, 1, s15
	v_not_b32_e32 v124, v7
	v_cmp_gt_i32_e64 s15, 0, v7
	v_not_b32_e32 v7, v24
	v_lshlrev_b32_e32 v122, 26, v6
	v_cmp_ne_u32_e32 vcc_lo, 0, v26
	v_ashrrev_i32_e32 v124, 31, v124
	v_lshlrev_b32_e32 v123, 25, v6
	v_ashrrev_i32_e32 v7, 31, v7
	v_lshlrev_b32_e32 v26, 24, v6
	s_wait_alu 0xfffd
	v_xor_b32_e32 v5, vcc_lo, v5
	v_cmp_gt_i32_e32 vcc_lo, 0, v24
	v_not_b32_e32 v24, v25
	s_wait_alu 0xf1ff
	v_xor_b32_e32 v124, s15, v124
	v_cmp_gt_i32_e64 s15, 0, v25
	v_and_b32_e32 v5, exec_lo, v5
	v_not_b32_e32 v25, v27
	v_ashrrev_i32_e32 v24, 31, v24
	s_wait_alu 0xfffd
	v_xor_b32_e32 v7, vcc_lo, v7
	v_cmp_gt_i32_e32 vcc_lo, 0, v27
	v_and_b32_e32 v5, v5, v124
	v_not_b32_e32 v27, v122
	v_ashrrev_i32_e32 v25, 31, v25
	s_wait_alu 0xf1ff
	v_xor_b32_e32 v24, s15, v24
	v_cmp_gt_i32_e64 s15, 0, v122
	v_and_b32_e32 v5, v5, v7
	v_not_b32_e32 v7, v123
	v_ashrrev_i32_e32 v27, 31, v27
	s_wait_alu 0xfffd
	v_xor_b32_e32 v25, vcc_lo, v25
	v_cmp_gt_i32_e32 vcc_lo, 0, v123
	v_and_b32_e32 v5, v5, v24
	v_not_b32_e32 v24, v26
	v_ashrrev_i32_e32 v7, 31, v7
	s_wait_alu 0xf1ff
	v_xor_b32_e32 v27, s15, v27
	v_cmp_gt_i32_e64 s15, 0, v26
	v_and_b32_e32 v5, v5, v25
	v_ashrrev_i32_e32 v24, 31, v24
	s_wait_alu 0xfffd
	v_xor_b32_e32 v7, vcc_lo, v7
	v_mad_u32_u24 v25, v6, 36, v89
	v_mul_u32_u24_e32 v6, 36, v6
	v_and_b32_e32 v5, v5, v27
	s_wait_alu 0xf1ff
	v_xor_b32_e32 v24, s15, v24
	ds_load_b32 v122, v25 offset:1056
	v_add_nc_u32_e32 v125, v89, v6
	v_and_b32_e32 v5, v5, v7
	; wave barrier
	s_delay_alu instid0(VALU_DEP_1) | instskip(NEXT) | instid1(VALU_DEP_1)
	v_and_b32_e32 v5, v5, v24
	v_mbcnt_lo_u32_b32 v124, v5, 0
	v_cmp_ne_u32_e64 s15, 0, v5
	s_delay_alu instid0(VALU_DEP_2)
	v_cmp_eq_u32_e32 vcc_lo, 0, v124
	s_and_b32 s16, s15, vcc_lo
	s_wait_alu 0xfffe
	s_and_saveexec_b32 s15, s16
	s_cbranch_execz .LBB1049_592
; %bb.591:                              ;   in Loop: Header=BB1049_566 Depth=2
	s_wait_dscnt 0x0
	v_bcnt_u32_b32 v5, v5, v122
	ds_store_b32 v125, v5 offset:1056
.LBB1049_592:                           ;   in Loop: Header=BB1049_566 Depth=2
	s_wait_alu 0xfffe
	s_or_b32 exec_lo, exec_lo, s15
	v_xor_b32_e32 v123, 0xffff8000, v8
	; wave barrier
	s_delay_alu instid0(VALU_DEP_1) | instskip(NEXT) | instid1(VALU_DEP_1)
	v_and_b32_e32 v5, 0xffff, v123
	v_lshrrev_b32_e32 v5, s45, v5
	s_delay_alu instid0(VALU_DEP_1) | instskip(NEXT) | instid1(VALU_DEP_1)
	v_and_b32_e32 v6, s42, v5
	v_and_b32_e32 v5, 1, v6
	v_lshlrev_b32_e32 v7, 30, v6
	v_lshlrev_b32_e32 v24, 29, v6
	;; [unrolled: 1-line block ×4, first 2 shown]
	v_add_co_u32 v5, s15, v5, -1
	s_wait_alu 0xf1ff
	v_cndmask_b32_e64 v26, 0, 1, s15
	v_not_b32_e32 v128, v7
	v_cmp_gt_i32_e64 s15, 0, v7
	v_not_b32_e32 v7, v24
	v_lshlrev_b32_e32 v126, 26, v6
	v_cmp_ne_u32_e32 vcc_lo, 0, v26
	v_ashrrev_i32_e32 v128, 31, v128
	v_lshlrev_b32_e32 v127, 25, v6
	v_ashrrev_i32_e32 v7, 31, v7
	v_lshlrev_b32_e32 v26, 24, v6
	s_wait_alu 0xfffd
	v_xor_b32_e32 v5, vcc_lo, v5
	v_cmp_gt_i32_e32 vcc_lo, 0, v24
	v_not_b32_e32 v24, v25
	s_wait_alu 0xf1ff
	v_xor_b32_e32 v128, s15, v128
	v_cmp_gt_i32_e64 s15, 0, v25
	v_and_b32_e32 v5, exec_lo, v5
	v_not_b32_e32 v25, v27
	v_ashrrev_i32_e32 v24, 31, v24
	s_wait_alu 0xfffd
	v_xor_b32_e32 v7, vcc_lo, v7
	v_cmp_gt_i32_e32 vcc_lo, 0, v27
	v_and_b32_e32 v5, v5, v128
	v_not_b32_e32 v27, v126
	v_ashrrev_i32_e32 v25, 31, v25
	s_wait_alu 0xf1ff
	v_xor_b32_e32 v24, s15, v24
	v_cmp_gt_i32_e64 s15, 0, v126
	v_and_b32_e32 v5, v5, v7
	v_not_b32_e32 v7, v127
	v_ashrrev_i32_e32 v27, 31, v27
	s_wait_alu 0xfffd
	v_xor_b32_e32 v25, vcc_lo, v25
	v_cmp_gt_i32_e32 vcc_lo, 0, v127
	v_and_b32_e32 v5, v5, v24
	v_not_b32_e32 v24, v26
	v_ashrrev_i32_e32 v7, 31, v7
	s_wait_alu 0xf1ff
	v_xor_b32_e32 v27, s15, v27
	v_cmp_gt_i32_e64 s15, 0, v26
	v_and_b32_e32 v5, v5, v25
	v_ashrrev_i32_e32 v24, 31, v24
	s_wait_alu 0xfffd
	v_xor_b32_e32 v7, vcc_lo, v7
	v_mad_u32_u24 v25, v6, 36, v89
	v_mul_u32_u24_e32 v6, 36, v6
	v_and_b32_e32 v5, v5, v27
	s_wait_alu 0xf1ff
	v_xor_b32_e32 v24, s15, v24
	ds_load_b32 v126, v25 offset:1056
	v_add_nc_u32_e32 v129, v89, v6
	v_and_b32_e32 v5, v5, v7
	; wave barrier
	s_delay_alu instid0(VALU_DEP_1) | instskip(NEXT) | instid1(VALU_DEP_1)
	v_and_b32_e32 v5, v5, v24
	v_mbcnt_lo_u32_b32 v127, v5, 0
	v_cmp_ne_u32_e64 s15, 0, v5
	s_delay_alu instid0(VALU_DEP_2)
	v_cmp_eq_u32_e32 vcc_lo, 0, v127
	s_and_b32 s16, s15, vcc_lo
	s_wait_alu 0xfffe
	s_and_saveexec_b32 s15, s16
	s_cbranch_execz .LBB1049_594
; %bb.593:                              ;   in Loop: Header=BB1049_566 Depth=2
	s_wait_dscnt 0x0
	v_bcnt_u32_b32 v5, v5, v126
	ds_store_b32 v129, v5 offset:1056
.LBB1049_594:                           ;   in Loop: Header=BB1049_566 Depth=2
	s_wait_alu 0xfffe
	s_or_b32 exec_lo, exec_lo, s15
	v_lshrrev_b32_e32 v5, 16, v8
	; wave barrier
	s_delay_alu instid0(VALU_DEP_1) | instskip(NEXT) | instid1(VALU_DEP_1)
	v_xor_b32_e32 v128, 0xffff8000, v5
	v_and_b32_e32 v5, 0xffff, v128
	s_delay_alu instid0(VALU_DEP_1) | instskip(NEXT) | instid1(VALU_DEP_1)
	v_lshrrev_b32_e32 v5, s45, v5
	v_and_b32_e32 v6, s42, v5
	s_delay_alu instid0(VALU_DEP_1)
	v_and_b32_e32 v5, 1, v6
	v_lshlrev_b32_e32 v7, 30, v6
	v_lshlrev_b32_e32 v8, 29, v6
	;; [unrolled: 1-line block ×4, first 2 shown]
	v_add_co_u32 v5, s15, v5, -1
	s_wait_alu 0xf1ff
	v_cndmask_b32_e64 v25, 0, 1, s15
	v_not_b32_e32 v131, v7
	v_cmp_gt_i32_e64 s15, 0, v7
	v_not_b32_e32 v7, v8
	v_lshlrev_b32_e32 v27, 26, v6
	v_cmp_ne_u32_e32 vcc_lo, 0, v25
	v_ashrrev_i32_e32 v131, 31, v131
	v_lshlrev_b32_e32 v130, 25, v6
	v_ashrrev_i32_e32 v7, 31, v7
	v_lshlrev_b32_e32 v25, 24, v6
	s_wait_alu 0xfffd
	v_xor_b32_e32 v5, vcc_lo, v5
	v_cmp_gt_i32_e32 vcc_lo, 0, v8
	v_not_b32_e32 v8, v24
	s_wait_alu 0xf1ff
	v_xor_b32_e32 v131, s15, v131
	v_cmp_gt_i32_e64 s15, 0, v24
	v_and_b32_e32 v5, exec_lo, v5
	v_not_b32_e32 v24, v26
	v_ashrrev_i32_e32 v8, 31, v8
	s_wait_alu 0xfffd
	v_xor_b32_e32 v7, vcc_lo, v7
	v_cmp_gt_i32_e32 vcc_lo, 0, v26
	v_and_b32_e32 v5, v5, v131
	v_not_b32_e32 v26, v27
	v_ashrrev_i32_e32 v24, 31, v24
	s_wait_alu 0xf1ff
	v_xor_b32_e32 v8, s15, v8
	v_cmp_gt_i32_e64 s15, 0, v27
	v_and_b32_e32 v5, v5, v7
	v_not_b32_e32 v7, v130
	v_ashrrev_i32_e32 v26, 31, v26
	s_wait_alu 0xfffd
	v_xor_b32_e32 v24, vcc_lo, v24
	v_cmp_gt_i32_e32 vcc_lo, 0, v130
	v_and_b32_e32 v5, v5, v8
	v_not_b32_e32 v8, v25
	v_ashrrev_i32_e32 v7, 31, v7
	s_wait_alu 0xf1ff
	v_xor_b32_e32 v26, s15, v26
	v_cmp_gt_i32_e64 s15, 0, v25
	v_and_b32_e32 v5, v5, v24
	v_ashrrev_i32_e32 v8, 31, v8
	s_wait_alu 0xfffd
	v_xor_b32_e32 v7, vcc_lo, v7
	v_mad_u32_u24 v24, v6, 36, v89
	v_mul_u32_u24_e32 v6, 36, v6
	v_and_b32_e32 v5, v5, v26
	s_wait_alu 0xf1ff
	v_xor_b32_e32 v8, s15, v8
	ds_load_b32 v130, v24 offset:1056
	v_add_nc_u32_e32 v132, v89, v6
	v_and_b32_e32 v5, v5, v7
	; wave barrier
	s_delay_alu instid0(VALU_DEP_1) | instskip(NEXT) | instid1(VALU_DEP_1)
	v_and_b32_e32 v5, v5, v8
	v_mbcnt_lo_u32_b32 v131, v5, 0
	v_cmp_ne_u32_e64 s15, 0, v5
	s_delay_alu instid0(VALU_DEP_2)
	v_cmp_eq_u32_e32 vcc_lo, 0, v131
	s_and_b32 s16, s15, vcc_lo
	s_wait_alu 0xfffe
	s_and_saveexec_b32 s15, s16
	s_cbranch_execz .LBB1049_596
; %bb.595:                              ;   in Loop: Header=BB1049_566 Depth=2
	s_wait_dscnt 0x0
	v_bcnt_u32_b32 v5, v5, v130
	ds_store_b32 v132, v5 offset:1056
.LBB1049_596:                           ;   in Loop: Header=BB1049_566 Depth=2
	s_wait_alu 0xfffe
	s_or_b32 exec_lo, exec_lo, s15
	; wave barrier
	s_wait_loadcnt_dscnt 0x0
	s_barrier_signal -1
	s_barrier_wait -1
	global_inv scope:SCOPE_SE
	ds_load_2addr_b32 v[26:27], v102 offset1:1
	ds_load_2addr_b32 v[24:25], v103 offset1:1
	;; [unrolled: 1-line block ×4, first 2 shown]
	ds_load_b32 v133, v43 offset:1088
	s_wait_dscnt 0x3
	v_add3_u32 v134, v27, v26, v24
	s_wait_dscnt 0x2
	s_delay_alu instid0(VALU_DEP_1) | instskip(SKIP_1) | instid1(VALU_DEP_1)
	v_add3_u32 v134, v134, v25, v7
	s_wait_dscnt 0x1
	v_add3_u32 v134, v134, v8, v5
	s_wait_dscnt 0x0
	s_delay_alu instid0(VALU_DEP_1) | instskip(NEXT) | instid1(VALU_DEP_1)
	v_add3_u32 v133, v134, v6, v133
	v_mov_b32_dpp v134, v133 row_shr:1 row_mask:0xf bank_mask:0xf
	s_delay_alu instid0(VALU_DEP_1) | instskip(NEXT) | instid1(VALU_DEP_1)
	v_cndmask_b32_e64 v134, v134, 0, s0
	v_add_nc_u32_e32 v133, v134, v133
	s_delay_alu instid0(VALU_DEP_1) | instskip(NEXT) | instid1(VALU_DEP_1)
	v_mov_b32_dpp v134, v133 row_shr:2 row_mask:0xf bank_mask:0xf
	v_cndmask_b32_e64 v134, 0, v134, s1
	s_delay_alu instid0(VALU_DEP_1) | instskip(NEXT) | instid1(VALU_DEP_1)
	v_add_nc_u32_e32 v133, v133, v134
	v_mov_b32_dpp v134, v133 row_shr:4 row_mask:0xf bank_mask:0xf
	s_delay_alu instid0(VALU_DEP_1) | instskip(NEXT) | instid1(VALU_DEP_1)
	v_cndmask_b32_e64 v134, 0, v134, s9
	v_add_nc_u32_e32 v133, v133, v134
	s_delay_alu instid0(VALU_DEP_1) | instskip(NEXT) | instid1(VALU_DEP_1)
	v_mov_b32_dpp v134, v133 row_shr:8 row_mask:0xf bank_mask:0xf
	v_cndmask_b32_e64 v134, 0, v134, s10
	s_delay_alu instid0(VALU_DEP_1) | instskip(SKIP_3) | instid1(VALU_DEP_1)
	v_add_nc_u32_e32 v133, v133, v134
	ds_swizzle_b32 v134, v133 offset:swizzle(BROADCAST,32,15)
	s_wait_dscnt 0x0
	v_cndmask_b32_e64 v134, v134, 0, s11
	v_add_nc_u32_e32 v133, v133, v134
	s_and_saveexec_b32 s15, s3
; %bb.597:                              ;   in Loop: Header=BB1049_566 Depth=2
	ds_store_b32 v38, v133 offset:1024
; %bb.598:                              ;   in Loop: Header=BB1049_566 Depth=2
	s_wait_alu 0xfffe
	s_or_b32 exec_lo, exec_lo, s15
	s_wait_loadcnt_dscnt 0x0
	s_barrier_signal -1
	s_barrier_wait -1
	global_inv scope:SCOPE_SE
	s_and_saveexec_b32 s15, s4
	s_cbranch_execz .LBB1049_600
; %bb.599:                              ;   in Loop: Header=BB1049_566 Depth=2
	ds_load_b32 v134, v47 offset:1024
	s_wait_dscnt 0x0
	v_mov_b32_dpp v135, v134 row_shr:1 row_mask:0xf bank_mask:0xf
	s_delay_alu instid0(VALU_DEP_1) | instskip(NEXT) | instid1(VALU_DEP_1)
	v_cndmask_b32_e64 v135, v135, 0, s12
	v_add_nc_u32_e32 v134, v135, v134
	s_delay_alu instid0(VALU_DEP_1) | instskip(NEXT) | instid1(VALU_DEP_1)
	v_mov_b32_dpp v135, v134 row_shr:2 row_mask:0xf bank_mask:0xf
	v_cndmask_b32_e64 v135, 0, v135, s13
	s_delay_alu instid0(VALU_DEP_1) | instskip(NEXT) | instid1(VALU_DEP_1)
	v_add_nc_u32_e32 v134, v134, v135
	v_mov_b32_dpp v135, v134 row_shr:4 row_mask:0xf bank_mask:0xf
	s_delay_alu instid0(VALU_DEP_1) | instskip(NEXT) | instid1(VALU_DEP_1)
	v_cndmask_b32_e64 v135, 0, v135, s14
	v_add_nc_u32_e32 v134, v134, v135
	ds_store_b32 v47, v134 offset:1024
.LBB1049_600:                           ;   in Loop: Header=BB1049_566 Depth=2
	s_wait_alu 0xfffe
	s_or_b32 exec_lo, exec_lo, s15
	v_mov_b32_e32 v134, 0
	s_wait_loadcnt_dscnt 0x0
	s_barrier_signal -1
	s_barrier_wait -1
	global_inv scope:SCOPE_SE
	s_and_saveexec_b32 s15, s5
; %bb.601:                              ;   in Loop: Header=BB1049_566 Depth=2
	ds_load_b32 v134, v38 offset:1020
; %bb.602:                              ;   in Loop: Header=BB1049_566 Depth=2
	s_wait_alu 0xfffe
	s_or_b32 exec_lo, exec_lo, s15
	s_wait_dscnt 0x0
	v_add_nc_u32_e32 v133, v134, v133
	ds_bpermute_b32 v133, v84, v133
	s_wait_dscnt 0x0
	v_cndmask_b32_e64 v133, v133, v134, s8
	s_delay_alu instid0(VALU_DEP_1) | instskip(NEXT) | instid1(VALU_DEP_1)
	v_cndmask_b32_e64 v133, v133, 0, s6
	v_add_nc_u32_e32 v26, v133, v26
	s_delay_alu instid0(VALU_DEP_1) | instskip(NEXT) | instid1(VALU_DEP_1)
	v_add_nc_u32_e32 v27, v26, v27
	v_add_nc_u32_e32 v24, v27, v24
	s_delay_alu instid0(VALU_DEP_1) | instskip(NEXT) | instid1(VALU_DEP_1)
	v_add_nc_u32_e32 v25, v24, v25
	;; [unrolled: 3-line block ×3, first 2 shown]
	v_add_nc_u32_e32 v5, v8, v5
	s_delay_alu instid0(VALU_DEP_1)
	v_add_nc_u32_e32 v6, v5, v6
	ds_store_2addr_b32 v101, v8, v5 offset1:1
	ds_store_2addr_b32 v102, v133, v26 offset1:1
	;; [unrolled: 1-line block ×4, first 2 shown]
	ds_store_b32 v43, v6 offset:1088
	s_wait_loadcnt_dscnt 0x0
	s_barrier_signal -1
	s_barrier_wait -1
	global_inv scope:SCOPE_SE
	ds_load_b32 v8, v105 offset:1056
	ds_load_b32 v24, v109 offset:1056
	;; [unrolled: 1-line block ×9, first 2 shown]
	v_mov_b32_e32 v7, 0x800
	s_and_saveexec_b32 s15, s7
; %bb.603:                              ;   in Loop: Header=BB1049_566 Depth=2
	ds_load_b32 v7, v43 offset:1092
; %bb.604:                              ;   in Loop: Header=BB1049_566 Depth=2
	s_wait_alu 0xfffe
	s_or_b32 exec_lo, exec_lo, s15
	s_wait_loadcnt_dscnt 0x0
	s_barrier_signal -1
	s_barrier_wait -1
	global_inv scope:SCOPE_SE
	s_and_saveexec_b32 s15, s2
	s_cbranch_execz .LBB1049_606
; %bb.605:                              ;   in Loop: Header=BB1049_566 Depth=2
	ds_load_b32 v102, v28
	s_wait_dscnt 0x0
	v_sub_nc_u32_e32 v101, v102, v101
	ds_store_b32 v28, v101
.LBB1049_606:                           ;   in Loop: Header=BB1049_566 Depth=2
	s_wait_alu 0xfffe
	s_or_b32 exec_lo, exec_lo, s15
	v_add_nc_u32_e32 v102, v8, v99
	v_add3_u32 v101, v107, v106, v24
	v_add3_u32 v99, v112, v110, v25
	;; [unrolled: 1-line block ×4, first 2 shown]
	v_lshlrev_b32_e32 v103, 1, v102
	v_add3_u32 v24, v120, v118, v27
	v_lshlrev_b32_e32 v104, 1, v101
	v_lshlrev_b32_e32 v105, 1, v99
	v_add3_u32 v27, v127, v126, v5
	v_add3_u32 v26, v131, v130, v6
	ds_store_b16 v103, v0 offset:1024
	ds_store_b16 v104, v100 offset:1024
	;; [unrolled: 1-line block ×3, first 2 shown]
	v_lshlrev_b32_e32 v0, 1, v25
	v_cmp_lt_u32_e32 vcc_lo, v13, v98
	v_lshlrev_b32_e32 v5, 1, v24
	v_lshlrev_b32_e32 v6, 1, v8
	;; [unrolled: 1-line block ×4, first 2 shown]
	ds_store_b16 v0, v111 offset:1024
	ds_store_b16 v5, v115 offset:1024
	;; [unrolled: 1-line block ×5, first 2 shown]
	s_wait_loadcnt_dscnt 0x0
	s_barrier_signal -1
	s_barrier_wait -1
	global_inv scope:SCOPE_SE
	s_and_saveexec_b32 s16, vcc_lo
	s_cbranch_execnz .LBB1049_643
; %bb.607:                              ;   in Loop: Header=BB1049_566 Depth=2
	s_wait_alu 0xfffe
	s_or_b32 exec_lo, exec_lo, s16
	v_cmp_lt_u32_e64 s15, v29, v98
	s_and_saveexec_b32 s17, s15
	s_cbranch_execnz .LBB1049_644
.LBB1049_608:                           ;   in Loop: Header=BB1049_566 Depth=2
	s_wait_alu 0xfffe
	s_or_b32 exec_lo, exec_lo, s17
	v_cmp_lt_u32_e64 s16, v30, v98
	s_and_saveexec_b32 s18, s16
	s_cbranch_execnz .LBB1049_645
.LBB1049_609:                           ;   in Loop: Header=BB1049_566 Depth=2
	s_wait_alu 0xfffe
	s_or_b32 exec_lo, exec_lo, s18
	v_cmp_lt_u32_e64 s17, v31, v98
	s_and_saveexec_b32 s19, s17
	s_cbranch_execnz .LBB1049_646
.LBB1049_610:                           ;   in Loop: Header=BB1049_566 Depth=2
	s_wait_alu 0xfffe
	s_or_b32 exec_lo, exec_lo, s19
	v_cmp_lt_u32_e64 s18, v34, v98
	s_and_saveexec_b32 s20, s18
	s_cbranch_execnz .LBB1049_647
.LBB1049_611:                           ;   in Loop: Header=BB1049_566 Depth=2
	s_wait_alu 0xfffe
	s_or_b32 exec_lo, exec_lo, s20
	v_cmp_lt_u32_e64 s19, v35, v98
	s_and_saveexec_b32 s21, s19
	s_cbranch_execnz .LBB1049_648
.LBB1049_612:                           ;   in Loop: Header=BB1049_566 Depth=2
	s_wait_alu 0xfffe
	s_or_b32 exec_lo, exec_lo, s21
	v_cmp_lt_u32_e64 s20, v36, v98
	s_and_saveexec_b32 s22, s20
	s_cbranch_execnz .LBB1049_649
.LBB1049_613:                           ;   in Loop: Header=BB1049_566 Depth=2
	s_wait_alu 0xfffe
	s_or_b32 exec_lo, exec_lo, s22
	v_cmp_lt_u32_e64 s21, v37, v98
	s_and_saveexec_b32 s48, s21
	s_cbranch_execz .LBB1049_615
.LBB1049_614:                           ;   in Loop: Header=BB1049_566 Depth=2
	ds_load_u16 v100, v48 offset:4608
	s_wait_dscnt 0x0
	v_and_b32_e32 v0, 0xffff, v100
	s_delay_alu instid0(VALU_DEP_1) | instskip(NEXT) | instid1(VALU_DEP_1)
	v_lshrrev_b32_e32 v0, s45, v0
	v_and_b32_e32 v0, s42, v0
	s_delay_alu instid0(VALU_DEP_1) | instskip(SKIP_3) | instid1(VALU_DEP_1)
	v_lshlrev_b32_e32 v0, 2, v0
	ds_load_b32 v0, v0
	s_wait_dscnt 0x0
	v_add_nc_u32_e32 v0, v0, v37
	v_lshlrev_b64_e32 v[5:6], 1, v[0:1]
	v_xor_b32_e32 v0, 0xffff8000, v100
	s_delay_alu instid0(VALU_DEP_2) | instskip(SKIP_1) | instid1(VALU_DEP_3)
	v_add_co_u32 v5, s22, s40, v5
	s_wait_alu 0xf1ff
	v_add_co_ci_u32_e64 v6, null, s41, v6, s22
	global_store_b16 v[5:6], v0, off
.LBB1049_615:                           ;   in Loop: Header=BB1049_566 Depth=2
	s_wait_alu 0xfffe
	s_or_b32 exec_lo, exec_lo, s48
	s_lshl_b64 s[48:49], s[30:31], 3
	s_wait_alu 0xfffe
	v_add_co_u32 v5, s22, v85, s48
	s_wait_alu 0xf1ff
	v_add_co_ci_u32_e64 v6, null, s49, v86, s22
	v_cmp_lt_u32_e64 s22, v67, v98
	s_and_saveexec_b32 s30, s22
	s_wait_alu 0xfffe
	s_xor_b32 s22, exec_lo, s30
	s_cbranch_execnz .LBB1049_650
; %bb.616:                              ;   in Loop: Header=BB1049_566 Depth=2
	s_wait_alu 0xfffe
	s_or_b32 exec_lo, exec_lo, s22
	s_delay_alu instid0(SALU_CYCLE_1)
	s_mov_b32 s30, exec_lo
	v_cmpx_lt_u32_e64 v71, v98
	s_cbranch_execnz .LBB1049_651
.LBB1049_617:                           ;   in Loop: Header=BB1049_566 Depth=2
	s_wait_alu 0xfffe
	s_or_b32 exec_lo, exec_lo, s30
	s_delay_alu instid0(SALU_CYCLE_1)
	s_mov_b32 s30, exec_lo
	v_cmpx_lt_u32_e64 v72, v98
	s_cbranch_execnz .LBB1049_652
.LBB1049_618:                           ;   in Loop: Header=BB1049_566 Depth=2
	s_wait_alu 0xfffe
	s_or_b32 exec_lo, exec_lo, s30
	s_delay_alu instid0(SALU_CYCLE_1)
	s_mov_b32 s30, exec_lo
	v_cmpx_lt_u32_e64 v73, v98
	s_cbranch_execnz .LBB1049_653
.LBB1049_619:                           ;   in Loop: Header=BB1049_566 Depth=2
	s_wait_alu 0xfffe
	s_or_b32 exec_lo, exec_lo, s30
	s_delay_alu instid0(SALU_CYCLE_1)
	s_mov_b32 s30, exec_lo
	v_cmpx_lt_u32_e64 v74, v98
	s_cbranch_execnz .LBB1049_654
.LBB1049_620:                           ;   in Loop: Header=BB1049_566 Depth=2
	s_wait_alu 0xfffe
	s_or_b32 exec_lo, exec_lo, s30
	s_delay_alu instid0(SALU_CYCLE_1)
	s_mov_b32 s30, exec_lo
	v_cmpx_lt_u32_e64 v75, v98
	s_cbranch_execnz .LBB1049_655
.LBB1049_621:                           ;   in Loop: Header=BB1049_566 Depth=2
	s_wait_alu 0xfffe
	s_or_b32 exec_lo, exec_lo, s30
	s_delay_alu instid0(SALU_CYCLE_1)
	s_mov_b32 s30, exec_lo
	v_cmpx_lt_u32_e64 v76, v98
	s_cbranch_execnz .LBB1049_656
.LBB1049_622:                           ;   in Loop: Header=BB1049_566 Depth=2
	s_wait_alu 0xfffe
	s_or_b32 exec_lo, exec_lo, s30
	s_delay_alu instid0(SALU_CYCLE_1)
	s_mov_b32 s30, exec_lo
	v_cmpx_lt_u32_e64 v77, v98
	s_cbranch_execnz .LBB1049_657
.LBB1049_623:                           ;   in Loop: Header=BB1049_566 Depth=2
	s_wait_alu 0xfffe
	s_or_b32 exec_lo, exec_lo, s30
	s_and_saveexec_b32 s22, vcc_lo
	s_cbranch_execnz .LBB1049_658
.LBB1049_624:                           ;   in Loop: Header=BB1049_566 Depth=2
	s_wait_alu 0xfffe
	s_or_b32 exec_lo, exec_lo, s22
	s_and_saveexec_b32 s22, s15
	s_cbranch_execnz .LBB1049_659
.LBB1049_625:                           ;   in Loop: Header=BB1049_566 Depth=2
	s_wait_alu 0xfffe
	s_or_b32 exec_lo, exec_lo, s22
	s_and_saveexec_b32 s22, s16
	s_cbranch_execnz .LBB1049_660
.LBB1049_626:                           ;   in Loop: Header=BB1049_566 Depth=2
	s_wait_alu 0xfffe
	s_or_b32 exec_lo, exec_lo, s22
	s_and_saveexec_b32 s22, s17
	s_cbranch_execnz .LBB1049_661
.LBB1049_627:                           ;   in Loop: Header=BB1049_566 Depth=2
	s_wait_alu 0xfffe
	s_or_b32 exec_lo, exec_lo, s22
	s_and_saveexec_b32 s22, s18
	s_cbranch_execnz .LBB1049_662
.LBB1049_628:                           ;   in Loop: Header=BB1049_566 Depth=2
	s_wait_alu 0xfffe
	s_or_b32 exec_lo, exec_lo, s22
	s_and_saveexec_b32 s22, s19
	s_cbranch_execnz .LBB1049_663
.LBB1049_629:                           ;   in Loop: Header=BB1049_566 Depth=2
	s_wait_alu 0xfffe
	s_or_b32 exec_lo, exec_lo, s22
	s_and_saveexec_b32 s22, s20
	s_cbranch_execnz .LBB1049_664
.LBB1049_630:                           ;   in Loop: Header=BB1049_566 Depth=2
	s_wait_alu 0xfffe
	s_or_b32 exec_lo, exec_lo, s22
	s_and_saveexec_b32 s22, s21
	s_cbranch_execz .LBB1049_632
.LBB1049_631:                           ;   in Loop: Header=BB1049_566 Depth=2
	ds_load_u16 v0, v48 offset:4608
	s_wait_dscnt 0x0
	v_lshrrev_b32_e32 v0, s45, v0
	s_delay_alu instid0(VALU_DEP_1)
	v_and_b32_e32 v90, s42, v0
.LBB1049_632:                           ;   in Loop: Header=BB1049_566 Depth=2
	s_wait_alu 0xfffe
	s_or_b32 exec_lo, exec_lo, s22
	v_lshlrev_b32_e32 v0, 3, v102
	v_lshlrev_b32_e32 v5, 3, v101
	;; [unrolled: 1-line block ×3, first 2 shown]
	s_wait_loadcnt 0x0
	s_wait_storecnt 0x0
	s_barrier_signal -1
	s_barrier_wait -1
	global_inv scope:SCOPE_SE
	ds_store_b64 v0, v[22:23] offset:1024
	ds_store_b64 v5, v[20:21] offset:1024
	;; [unrolled: 1-line block ×3, first 2 shown]
	v_lshlrev_b32_e32 v0, 3, v25
	v_lshlrev_b32_e32 v5, 3, v24
	;; [unrolled: 1-line block ×5, first 2 shown]
	ds_store_b64 v0, v[16:17] offset:1024
	ds_store_b64 v5, v[14:15] offset:1024
	;; [unrolled: 1-line block ×5, first 2 shown]
	v_add_nc_u32_e32 v5, v48, v49
	s_wait_loadcnt_dscnt 0x0
	s_barrier_signal -1
	s_barrier_wait -1
	global_inv scope:SCOPE_SE
	s_and_saveexec_b32 s22, vcc_lo
	s_cbranch_execnz .LBB1049_665
; %bb.633:                              ;   in Loop: Header=BB1049_566 Depth=2
	s_wait_alu 0xfffe
	s_or_b32 exec_lo, exec_lo, s22
	s_and_saveexec_b32 s22, s15
	s_cbranch_execnz .LBB1049_666
.LBB1049_634:                           ;   in Loop: Header=BB1049_566 Depth=2
	s_wait_alu 0xfffe
	s_or_b32 exec_lo, exec_lo, s22
	s_and_saveexec_b32 s15, s16
	s_cbranch_execnz .LBB1049_667
.LBB1049_635:                           ;   in Loop: Header=BB1049_566 Depth=2
	s_wait_alu 0xfffe
	s_or_b32 exec_lo, exec_lo, s15
	s_and_saveexec_b32 s15, s17
	s_cbranch_execnz .LBB1049_668
.LBB1049_636:                           ;   in Loop: Header=BB1049_566 Depth=2
	s_wait_alu 0xfffe
	s_or_b32 exec_lo, exec_lo, s15
	s_and_saveexec_b32 s15, s18
	s_cbranch_execnz .LBB1049_669
.LBB1049_637:                           ;   in Loop: Header=BB1049_566 Depth=2
	s_wait_alu 0xfffe
	s_or_b32 exec_lo, exec_lo, s15
	s_and_saveexec_b32 s15, s19
	s_cbranch_execnz .LBB1049_670
.LBB1049_638:                           ;   in Loop: Header=BB1049_566 Depth=2
	s_wait_alu 0xfffe
	s_or_b32 exec_lo, exec_lo, s15
	s_and_saveexec_b32 s15, s20
	s_cbranch_execnz .LBB1049_671
.LBB1049_639:                           ;   in Loop: Header=BB1049_566 Depth=2
	s_wait_alu 0xfffe
	s_or_b32 exec_lo, exec_lo, s15
	s_and_saveexec_b32 s15, s21
	s_cbranch_execz .LBB1049_641
.LBB1049_640:                           ;   in Loop: Header=BB1049_566 Depth=2
	v_lshlrev_b32_e32 v0, 2, v90
	ds_load_b32 v0, v0
	ds_load_b64 v[5:6], v5 offset:15360
	s_wait_dscnt 0x1
	v_add_nc_u32_e32 v0, v0, v37
	s_delay_alu instid0(VALU_DEP_1) | instskip(NEXT) | instid1(VALU_DEP_1)
	v_lshlrev_b64_e32 v[24:25], 3, v[0:1]
	v_add_co_u32 v24, vcc_lo, s26, v24
	s_wait_alu 0xfffd
	s_delay_alu instid0(VALU_DEP_2)
	v_add_co_ci_u32_e64 v25, null, s27, v25, vcc_lo
	s_wait_dscnt 0x0
	global_store_b64 v[24:25], v[5:6], off
.LBB1049_641:                           ;   in Loop: Header=BB1049_566 Depth=2
	s_wait_alu 0xfffe
	s_or_b32 exec_lo, exec_lo, s15
	s_wait_loadcnt 0x0
	s_wait_storecnt 0x0
	s_barrier_signal -1
	s_barrier_wait -1
	global_inv scope:SCOPE_SE
	s_and_saveexec_b32 s15, s2
	s_cbranch_execz .LBB1049_565
; %bb.642:                              ;   in Loop: Header=BB1049_566 Depth=2
	ds_load_b32 v0, v28
	s_wait_dscnt 0x0
	v_add_nc_u32_e32 v0, v0, v7
	ds_store_b32 v28, v0
	s_branch .LBB1049_565
.LBB1049_643:                           ;   in Loop: Header=BB1049_566 Depth=2
	ds_load_u16 v100, v48 offset:1024
	s_wait_dscnt 0x0
	v_and_b32_e32 v0, 0xffff, v100
	s_delay_alu instid0(VALU_DEP_1) | instskip(NEXT) | instid1(VALU_DEP_1)
	v_lshrrev_b32_e32 v0, s45, v0
	v_and_b32_e32 v0, s42, v0
	s_delay_alu instid0(VALU_DEP_1) | instskip(SKIP_3) | instid1(VALU_DEP_1)
	v_lshlrev_b32_e32 v0, 2, v0
	ds_load_b32 v0, v0
	s_wait_dscnt 0x0
	v_add_nc_u32_e32 v0, v0, v13
	v_lshlrev_b64_e32 v[5:6], 1, v[0:1]
	v_xor_b32_e32 v0, 0xffff8000, v100
	s_delay_alu instid0(VALU_DEP_2) | instskip(SKIP_1) | instid1(VALU_DEP_3)
	v_add_co_u32 v5, s15, s40, v5
	s_wait_alu 0xf1ff
	v_add_co_ci_u32_e64 v6, null, s41, v6, s15
	global_store_b16 v[5:6], v0, off
	s_wait_alu 0xfffe
	s_or_b32 exec_lo, exec_lo, s16
	v_cmp_lt_u32_e64 s15, v29, v98
	s_and_saveexec_b32 s17, s15
	s_cbranch_execz .LBB1049_608
.LBB1049_644:                           ;   in Loop: Header=BB1049_566 Depth=2
	ds_load_u16 v100, v48 offset:1536
	s_wait_dscnt 0x0
	v_and_b32_e32 v0, 0xffff, v100
	s_delay_alu instid0(VALU_DEP_1) | instskip(NEXT) | instid1(VALU_DEP_1)
	v_lshrrev_b32_e32 v0, s45, v0
	v_and_b32_e32 v0, s42, v0
	s_delay_alu instid0(VALU_DEP_1) | instskip(SKIP_3) | instid1(VALU_DEP_1)
	v_lshlrev_b32_e32 v0, 2, v0
	ds_load_b32 v0, v0
	s_wait_dscnt 0x0
	v_add_nc_u32_e32 v0, v0, v29
	v_lshlrev_b64_e32 v[5:6], 1, v[0:1]
	v_xor_b32_e32 v0, 0xffff8000, v100
	s_delay_alu instid0(VALU_DEP_2) | instskip(SKIP_1) | instid1(VALU_DEP_3)
	v_add_co_u32 v5, s16, s40, v5
	s_wait_alu 0xf1ff
	v_add_co_ci_u32_e64 v6, null, s41, v6, s16
	global_store_b16 v[5:6], v0, off
	s_wait_alu 0xfffe
	s_or_b32 exec_lo, exec_lo, s17
	v_cmp_lt_u32_e64 s16, v30, v98
	s_and_saveexec_b32 s18, s16
	s_cbranch_execz .LBB1049_609
.LBB1049_645:                           ;   in Loop: Header=BB1049_566 Depth=2
	ds_load_u16 v100, v48 offset:2048
	s_wait_dscnt 0x0
	v_and_b32_e32 v0, 0xffff, v100
	s_delay_alu instid0(VALU_DEP_1) | instskip(NEXT) | instid1(VALU_DEP_1)
	v_lshrrev_b32_e32 v0, s45, v0
	v_and_b32_e32 v0, s42, v0
	s_delay_alu instid0(VALU_DEP_1) | instskip(SKIP_3) | instid1(VALU_DEP_1)
	v_lshlrev_b32_e32 v0, 2, v0
	ds_load_b32 v0, v0
	s_wait_dscnt 0x0
	v_add_nc_u32_e32 v0, v0, v30
	v_lshlrev_b64_e32 v[5:6], 1, v[0:1]
	v_xor_b32_e32 v0, 0xffff8000, v100
	s_delay_alu instid0(VALU_DEP_2) | instskip(SKIP_1) | instid1(VALU_DEP_3)
	v_add_co_u32 v5, s17, s40, v5
	s_wait_alu 0xf1ff
	v_add_co_ci_u32_e64 v6, null, s41, v6, s17
	global_store_b16 v[5:6], v0, off
	s_wait_alu 0xfffe
	s_or_b32 exec_lo, exec_lo, s18
	v_cmp_lt_u32_e64 s17, v31, v98
	s_and_saveexec_b32 s19, s17
	s_cbranch_execz .LBB1049_610
.LBB1049_646:                           ;   in Loop: Header=BB1049_566 Depth=2
	ds_load_u16 v100, v48 offset:2560
	s_wait_dscnt 0x0
	v_and_b32_e32 v0, 0xffff, v100
	s_delay_alu instid0(VALU_DEP_1) | instskip(NEXT) | instid1(VALU_DEP_1)
	v_lshrrev_b32_e32 v0, s45, v0
	v_and_b32_e32 v0, s42, v0
	s_delay_alu instid0(VALU_DEP_1) | instskip(SKIP_3) | instid1(VALU_DEP_1)
	v_lshlrev_b32_e32 v0, 2, v0
	ds_load_b32 v0, v0
	s_wait_dscnt 0x0
	v_add_nc_u32_e32 v0, v0, v31
	v_lshlrev_b64_e32 v[5:6], 1, v[0:1]
	v_xor_b32_e32 v0, 0xffff8000, v100
	s_delay_alu instid0(VALU_DEP_2) | instskip(SKIP_1) | instid1(VALU_DEP_3)
	v_add_co_u32 v5, s18, s40, v5
	s_wait_alu 0xf1ff
	v_add_co_ci_u32_e64 v6, null, s41, v6, s18
	global_store_b16 v[5:6], v0, off
	s_wait_alu 0xfffe
	s_or_b32 exec_lo, exec_lo, s19
	v_cmp_lt_u32_e64 s18, v34, v98
	s_and_saveexec_b32 s20, s18
	s_cbranch_execz .LBB1049_611
.LBB1049_647:                           ;   in Loop: Header=BB1049_566 Depth=2
	ds_load_u16 v100, v48 offset:3072
	s_wait_dscnt 0x0
	v_and_b32_e32 v0, 0xffff, v100
	s_delay_alu instid0(VALU_DEP_1) | instskip(NEXT) | instid1(VALU_DEP_1)
	v_lshrrev_b32_e32 v0, s45, v0
	v_and_b32_e32 v0, s42, v0
	s_delay_alu instid0(VALU_DEP_1) | instskip(SKIP_3) | instid1(VALU_DEP_1)
	v_lshlrev_b32_e32 v0, 2, v0
	ds_load_b32 v0, v0
	s_wait_dscnt 0x0
	v_add_nc_u32_e32 v0, v0, v34
	v_lshlrev_b64_e32 v[5:6], 1, v[0:1]
	v_xor_b32_e32 v0, 0xffff8000, v100
	s_delay_alu instid0(VALU_DEP_2) | instskip(SKIP_1) | instid1(VALU_DEP_3)
	v_add_co_u32 v5, s19, s40, v5
	s_wait_alu 0xf1ff
	v_add_co_ci_u32_e64 v6, null, s41, v6, s19
	global_store_b16 v[5:6], v0, off
	s_wait_alu 0xfffe
	s_or_b32 exec_lo, exec_lo, s20
	v_cmp_lt_u32_e64 s19, v35, v98
	s_and_saveexec_b32 s21, s19
	s_cbranch_execz .LBB1049_612
.LBB1049_648:                           ;   in Loop: Header=BB1049_566 Depth=2
	ds_load_u16 v100, v48 offset:3584
	s_wait_dscnt 0x0
	v_and_b32_e32 v0, 0xffff, v100
	s_delay_alu instid0(VALU_DEP_1) | instskip(NEXT) | instid1(VALU_DEP_1)
	v_lshrrev_b32_e32 v0, s45, v0
	v_and_b32_e32 v0, s42, v0
	s_delay_alu instid0(VALU_DEP_1) | instskip(SKIP_3) | instid1(VALU_DEP_1)
	v_lshlrev_b32_e32 v0, 2, v0
	ds_load_b32 v0, v0
	s_wait_dscnt 0x0
	v_add_nc_u32_e32 v0, v0, v35
	v_lshlrev_b64_e32 v[5:6], 1, v[0:1]
	v_xor_b32_e32 v0, 0xffff8000, v100
	s_delay_alu instid0(VALU_DEP_2) | instskip(SKIP_1) | instid1(VALU_DEP_3)
	v_add_co_u32 v5, s20, s40, v5
	s_wait_alu 0xf1ff
	v_add_co_ci_u32_e64 v6, null, s41, v6, s20
	global_store_b16 v[5:6], v0, off
	s_wait_alu 0xfffe
	s_or_b32 exec_lo, exec_lo, s21
	v_cmp_lt_u32_e64 s20, v36, v98
	s_and_saveexec_b32 s22, s20
	s_cbranch_execz .LBB1049_613
.LBB1049_649:                           ;   in Loop: Header=BB1049_566 Depth=2
	ds_load_u16 v100, v48 offset:4096
	s_wait_dscnt 0x0
	v_and_b32_e32 v0, 0xffff, v100
	s_delay_alu instid0(VALU_DEP_1) | instskip(NEXT) | instid1(VALU_DEP_1)
	v_lshrrev_b32_e32 v0, s45, v0
	v_and_b32_e32 v0, s42, v0
	s_delay_alu instid0(VALU_DEP_1) | instskip(SKIP_3) | instid1(VALU_DEP_1)
	v_lshlrev_b32_e32 v0, 2, v0
	ds_load_b32 v0, v0
	s_wait_dscnt 0x0
	v_add_nc_u32_e32 v0, v0, v36
	v_lshlrev_b64_e32 v[5:6], 1, v[0:1]
	v_xor_b32_e32 v0, 0xffff8000, v100
	s_delay_alu instid0(VALU_DEP_2) | instskip(SKIP_1) | instid1(VALU_DEP_3)
	v_add_co_u32 v5, s21, s40, v5
	s_wait_alu 0xf1ff
	v_add_co_ci_u32_e64 v6, null, s41, v6, s21
	global_store_b16 v[5:6], v0, off
	s_wait_alu 0xfffe
	s_or_b32 exec_lo, exec_lo, s22
	v_cmp_lt_u32_e64 s21, v37, v98
	s_and_saveexec_b32 s48, s21
	s_cbranch_execnz .LBB1049_614
	s_branch .LBB1049_615
.LBB1049_650:                           ;   in Loop: Header=BB1049_566 Depth=2
	global_load_b64 v[22:23], v[5:6], off
	s_wait_alu 0xfffe
	s_or_b32 exec_lo, exec_lo, s22
	s_delay_alu instid0(SALU_CYCLE_1)
	s_mov_b32 s30, exec_lo
	v_cmpx_lt_u32_e64 v71, v98
	s_cbranch_execz .LBB1049_617
.LBB1049_651:                           ;   in Loop: Header=BB1049_566 Depth=2
	global_load_b64 v[20:21], v[5:6], off offset:256
	s_wait_alu 0xfffe
	s_or_b32 exec_lo, exec_lo, s30
	s_delay_alu instid0(SALU_CYCLE_1)
	s_mov_b32 s30, exec_lo
	v_cmpx_lt_u32_e64 v72, v98
	s_cbranch_execz .LBB1049_618
.LBB1049_652:                           ;   in Loop: Header=BB1049_566 Depth=2
	global_load_b64 v[18:19], v[5:6], off offset:512
	s_wait_alu 0xfffe
	s_or_b32 exec_lo, exec_lo, s30
	s_delay_alu instid0(SALU_CYCLE_1)
	s_mov_b32 s30, exec_lo
	v_cmpx_lt_u32_e64 v73, v98
	s_cbranch_execz .LBB1049_619
.LBB1049_653:                           ;   in Loop: Header=BB1049_566 Depth=2
	global_load_b64 v[16:17], v[5:6], off offset:768
	s_wait_alu 0xfffe
	s_or_b32 exec_lo, exec_lo, s30
	s_delay_alu instid0(SALU_CYCLE_1)
	s_mov_b32 s30, exec_lo
	v_cmpx_lt_u32_e64 v74, v98
	s_cbranch_execz .LBB1049_620
.LBB1049_654:                           ;   in Loop: Header=BB1049_566 Depth=2
	global_load_b64 v[14:15], v[5:6], off offset:1024
	s_wait_alu 0xfffe
	s_or_b32 exec_lo, exec_lo, s30
	s_delay_alu instid0(SALU_CYCLE_1)
	s_mov_b32 s30, exec_lo
	v_cmpx_lt_u32_e64 v75, v98
	s_cbranch_execz .LBB1049_621
.LBB1049_655:                           ;   in Loop: Header=BB1049_566 Depth=2
	global_load_b64 v[11:12], v[5:6], off offset:1280
	s_wait_alu 0xfffe
	s_or_b32 exec_lo, exec_lo, s30
	s_delay_alu instid0(SALU_CYCLE_1)
	s_mov_b32 s30, exec_lo
	v_cmpx_lt_u32_e64 v76, v98
	s_cbranch_execz .LBB1049_622
.LBB1049_656:                           ;   in Loop: Header=BB1049_566 Depth=2
	global_load_b64 v[9:10], v[5:6], off offset:1536
	s_wait_alu 0xfffe
	s_or_b32 exec_lo, exec_lo, s30
	s_delay_alu instid0(SALU_CYCLE_1)
	s_mov_b32 s30, exec_lo
	v_cmpx_lt_u32_e64 v77, v98
	s_cbranch_execz .LBB1049_623
.LBB1049_657:                           ;   in Loop: Header=BB1049_566 Depth=2
	global_load_b64 v[2:3], v[5:6], off offset:1792
	s_wait_alu 0xfffe
	s_or_b32 exec_lo, exec_lo, s30
	s_and_saveexec_b32 s22, vcc_lo
	s_cbranch_execz .LBB1049_624
.LBB1049_658:                           ;   in Loop: Header=BB1049_566 Depth=2
	ds_load_u16 v0, v48 offset:1024
	s_wait_dscnt 0x0
	v_lshrrev_b32_e32 v0, s45, v0
	s_delay_alu instid0(VALU_DEP_1)
	v_and_b32_e32 v97, s42, v0
	s_wait_alu 0xfffe
	s_or_b32 exec_lo, exec_lo, s22
	s_and_saveexec_b32 s22, s15
	s_cbranch_execz .LBB1049_625
.LBB1049_659:                           ;   in Loop: Header=BB1049_566 Depth=2
	ds_load_u16 v0, v48 offset:1536
	s_wait_dscnt 0x0
	v_lshrrev_b32_e32 v0, s45, v0
	s_delay_alu instid0(VALU_DEP_1)
	v_and_b32_e32 v96, s42, v0
	s_wait_alu 0xfffe
	s_or_b32 exec_lo, exec_lo, s22
	s_and_saveexec_b32 s22, s16
	s_cbranch_execz .LBB1049_626
.LBB1049_660:                           ;   in Loop: Header=BB1049_566 Depth=2
	ds_load_u16 v0, v48 offset:2048
	s_wait_dscnt 0x0
	v_lshrrev_b32_e32 v0, s45, v0
	s_delay_alu instid0(VALU_DEP_1)
	v_and_b32_e32 v95, s42, v0
	s_wait_alu 0xfffe
	s_or_b32 exec_lo, exec_lo, s22
	s_and_saveexec_b32 s22, s17
	s_cbranch_execz .LBB1049_627
.LBB1049_661:                           ;   in Loop: Header=BB1049_566 Depth=2
	ds_load_u16 v0, v48 offset:2560
	s_wait_dscnt 0x0
	v_lshrrev_b32_e32 v0, s45, v0
	s_delay_alu instid0(VALU_DEP_1)
	v_and_b32_e32 v94, s42, v0
	s_wait_alu 0xfffe
	s_or_b32 exec_lo, exec_lo, s22
	s_and_saveexec_b32 s22, s18
	s_cbranch_execz .LBB1049_628
.LBB1049_662:                           ;   in Loop: Header=BB1049_566 Depth=2
	ds_load_u16 v0, v48 offset:3072
	s_wait_dscnt 0x0
	v_lshrrev_b32_e32 v0, s45, v0
	s_delay_alu instid0(VALU_DEP_1)
	v_and_b32_e32 v93, s42, v0
	s_wait_alu 0xfffe
	s_or_b32 exec_lo, exec_lo, s22
	s_and_saveexec_b32 s22, s19
	s_cbranch_execz .LBB1049_629
.LBB1049_663:                           ;   in Loop: Header=BB1049_566 Depth=2
	ds_load_u16 v0, v48 offset:3584
	s_wait_dscnt 0x0
	v_lshrrev_b32_e32 v0, s45, v0
	s_delay_alu instid0(VALU_DEP_1)
	v_and_b32_e32 v92, s42, v0
	s_wait_alu 0xfffe
	s_or_b32 exec_lo, exec_lo, s22
	s_and_saveexec_b32 s22, s20
	s_cbranch_execz .LBB1049_630
.LBB1049_664:                           ;   in Loop: Header=BB1049_566 Depth=2
	ds_load_u16 v0, v48 offset:4096
	s_wait_dscnt 0x0
	v_lshrrev_b32_e32 v0, s45, v0
	s_delay_alu instid0(VALU_DEP_1)
	v_and_b32_e32 v91, s42, v0
	s_wait_alu 0xfffe
	s_or_b32 exec_lo, exec_lo, s22
	s_and_saveexec_b32 s22, s21
	s_cbranch_execnz .LBB1049_631
	s_branch .LBB1049_632
.LBB1049_665:                           ;   in Loop: Header=BB1049_566 Depth=2
	v_lshlrev_b32_e32 v0, 2, v97
	ds_load_b32 v0, v0
	ds_load_b64 v[24:25], v5 offset:1024
	s_wait_dscnt 0x1
	v_add_nc_u32_e32 v0, v0, v13
	s_delay_alu instid0(VALU_DEP_1) | instskip(NEXT) | instid1(VALU_DEP_1)
	v_lshlrev_b64_e32 v[26:27], 3, v[0:1]
	v_add_co_u32 v26, vcc_lo, s26, v26
	s_wait_alu 0xfffd
	s_delay_alu instid0(VALU_DEP_2)
	v_add_co_ci_u32_e64 v27, null, s27, v27, vcc_lo
	s_wait_dscnt 0x0
	global_store_b64 v[26:27], v[24:25], off
	s_wait_alu 0xfffe
	s_or_b32 exec_lo, exec_lo, s22
	s_and_saveexec_b32 s22, s15
	s_cbranch_execz .LBB1049_634
.LBB1049_666:                           ;   in Loop: Header=BB1049_566 Depth=2
	v_lshlrev_b32_e32 v0, 2, v96
	ds_load_b32 v0, v0
	ds_load_b64 v[24:25], v5 offset:3072
	s_wait_dscnt 0x1
	v_add_nc_u32_e32 v0, v0, v29
	s_delay_alu instid0(VALU_DEP_1) | instskip(NEXT) | instid1(VALU_DEP_1)
	v_lshlrev_b64_e32 v[26:27], 3, v[0:1]
	v_add_co_u32 v26, vcc_lo, s26, v26
	s_wait_alu 0xfffd
	s_delay_alu instid0(VALU_DEP_2)
	v_add_co_ci_u32_e64 v27, null, s27, v27, vcc_lo
	s_wait_dscnt 0x0
	global_store_b64 v[26:27], v[24:25], off
	s_wait_alu 0xfffe
	s_or_b32 exec_lo, exec_lo, s22
	s_and_saveexec_b32 s15, s16
	s_cbranch_execz .LBB1049_635
.LBB1049_667:                           ;   in Loop: Header=BB1049_566 Depth=2
	v_lshlrev_b32_e32 v0, 2, v95
	ds_load_b32 v0, v0
	ds_load_b64 v[24:25], v5 offset:5120
	s_wait_dscnt 0x1
	v_add_nc_u32_e32 v0, v0, v30
	s_delay_alu instid0(VALU_DEP_1) | instskip(NEXT) | instid1(VALU_DEP_1)
	v_lshlrev_b64_e32 v[26:27], 3, v[0:1]
	v_add_co_u32 v26, vcc_lo, s26, v26
	s_wait_alu 0xfffd
	s_delay_alu instid0(VALU_DEP_2)
	v_add_co_ci_u32_e64 v27, null, s27, v27, vcc_lo
	s_wait_dscnt 0x0
	global_store_b64 v[26:27], v[24:25], off
	s_wait_alu 0xfffe
	s_or_b32 exec_lo, exec_lo, s15
	s_and_saveexec_b32 s15, s17
	s_cbranch_execz .LBB1049_636
.LBB1049_668:                           ;   in Loop: Header=BB1049_566 Depth=2
	v_lshlrev_b32_e32 v0, 2, v94
	ds_load_b32 v0, v0
	ds_load_b64 v[24:25], v5 offset:7168
	s_wait_dscnt 0x1
	v_add_nc_u32_e32 v0, v0, v31
	s_delay_alu instid0(VALU_DEP_1) | instskip(NEXT) | instid1(VALU_DEP_1)
	v_lshlrev_b64_e32 v[26:27], 3, v[0:1]
	v_add_co_u32 v26, vcc_lo, s26, v26
	s_wait_alu 0xfffd
	s_delay_alu instid0(VALU_DEP_2)
	v_add_co_ci_u32_e64 v27, null, s27, v27, vcc_lo
	s_wait_dscnt 0x0
	global_store_b64 v[26:27], v[24:25], off
	s_wait_alu 0xfffe
	s_or_b32 exec_lo, exec_lo, s15
	s_and_saveexec_b32 s15, s18
	s_cbranch_execz .LBB1049_637
.LBB1049_669:                           ;   in Loop: Header=BB1049_566 Depth=2
	v_lshlrev_b32_e32 v0, 2, v93
	ds_load_b32 v0, v0
	ds_load_b64 v[24:25], v5 offset:9216
	s_wait_dscnt 0x1
	v_add_nc_u32_e32 v0, v0, v34
	s_delay_alu instid0(VALU_DEP_1) | instskip(NEXT) | instid1(VALU_DEP_1)
	v_lshlrev_b64_e32 v[26:27], 3, v[0:1]
	v_add_co_u32 v26, vcc_lo, s26, v26
	s_wait_alu 0xfffd
	s_delay_alu instid0(VALU_DEP_2)
	v_add_co_ci_u32_e64 v27, null, s27, v27, vcc_lo
	s_wait_dscnt 0x0
	global_store_b64 v[26:27], v[24:25], off
	s_wait_alu 0xfffe
	s_or_b32 exec_lo, exec_lo, s15
	s_and_saveexec_b32 s15, s19
	s_cbranch_execz .LBB1049_638
.LBB1049_670:                           ;   in Loop: Header=BB1049_566 Depth=2
	v_lshlrev_b32_e32 v0, 2, v92
	ds_load_b32 v0, v0
	ds_load_b64 v[24:25], v5 offset:11264
	s_wait_dscnt 0x1
	v_add_nc_u32_e32 v0, v0, v35
	s_delay_alu instid0(VALU_DEP_1) | instskip(NEXT) | instid1(VALU_DEP_1)
	v_lshlrev_b64_e32 v[26:27], 3, v[0:1]
	v_add_co_u32 v26, vcc_lo, s26, v26
	s_wait_alu 0xfffd
	s_delay_alu instid0(VALU_DEP_2)
	v_add_co_ci_u32_e64 v27, null, s27, v27, vcc_lo
	s_wait_dscnt 0x0
	global_store_b64 v[26:27], v[24:25], off
	s_wait_alu 0xfffe
	s_or_b32 exec_lo, exec_lo, s15
	s_and_saveexec_b32 s15, s20
	s_cbranch_execz .LBB1049_639
.LBB1049_671:                           ;   in Loop: Header=BB1049_566 Depth=2
	v_lshlrev_b32_e32 v0, 2, v91
	ds_load_b32 v0, v0
	ds_load_b64 v[24:25], v5 offset:13312
	s_wait_dscnt 0x1
	v_add_nc_u32_e32 v0, v0, v36
	s_delay_alu instid0(VALU_DEP_1) | instskip(NEXT) | instid1(VALU_DEP_1)
	v_lshlrev_b64_e32 v[26:27], 3, v[0:1]
	v_add_co_u32 v26, vcc_lo, s26, v26
	s_wait_alu 0xfffd
	s_delay_alu instid0(VALU_DEP_2)
	v_add_co_ci_u32_e64 v27, null, s27, v27, vcc_lo
	s_wait_dscnt 0x0
	global_store_b64 v[26:27], v[24:25], off
	s_wait_alu 0xfffe
	s_or_b32 exec_lo, exec_lo, s15
	s_and_saveexec_b32 s15, s21
	s_cbranch_execnz .LBB1049_640
	s_branch .LBB1049_641
.LBB1049_672:                           ;   in Loop: Header=BB1049_566 Depth=2
	v_dual_mov_b32 v5, 0x7fff0000 :: v_dual_mov_b32 v6, v4
	v_dual_mov_b32 v7, v4 :: v_dual_mov_b32 v8, v4
	global_load_d16_b16 v5, v[24:25], off
	s_wait_alu 0xfffe
	s_or_b32 exec_lo, exec_lo, s15
	s_delay_alu instid0(SALU_CYCLE_1)
	s_mov_b32 s15, exec_lo
	v_cmpx_gt_u32_e64 s43, v71
	s_cbranch_execz .LBB1049_571
.LBB1049_673:                           ;   in Loop: Header=BB1049_566 Depth=2
	s_wait_loadcnt 0x0
	global_load_d16_hi_b16 v5, v[24:25], off offset:64
	s_wait_alu 0xfffe
	s_or_b32 exec_lo, exec_lo, s15
	s_delay_alu instid0(SALU_CYCLE_1)
	s_mov_b32 s15, exec_lo
	v_cmpx_gt_u32_e64 s43, v72
	s_cbranch_execz .LBB1049_572
.LBB1049_674:                           ;   in Loop: Header=BB1049_566 Depth=2
	global_load_d16_b16 v6, v[24:25], off offset:128
	s_wait_alu 0xfffe
	s_or_b32 exec_lo, exec_lo, s15
	s_delay_alu instid0(SALU_CYCLE_1)
	s_mov_b32 s15, exec_lo
	v_cmpx_gt_u32_e64 s43, v73
	s_cbranch_execz .LBB1049_573
.LBB1049_675:                           ;   in Loop: Header=BB1049_566 Depth=2
	s_wait_loadcnt 0x0
	global_load_d16_hi_b16 v6, v[24:25], off offset:192
	s_wait_alu 0xfffe
	s_or_b32 exec_lo, exec_lo, s15
	s_delay_alu instid0(SALU_CYCLE_1)
	s_mov_b32 s15, exec_lo
	v_cmpx_gt_u32_e64 s43, v74
	s_cbranch_execz .LBB1049_574
.LBB1049_676:                           ;   in Loop: Header=BB1049_566 Depth=2
	global_load_d16_b16 v7, v[24:25], off offset:256
	s_wait_alu 0xfffe
	s_or_b32 exec_lo, exec_lo, s15
	s_delay_alu instid0(SALU_CYCLE_1)
	s_mov_b32 s15, exec_lo
	v_cmpx_gt_u32_e64 s43, v75
	s_cbranch_execz .LBB1049_575
.LBB1049_677:                           ;   in Loop: Header=BB1049_566 Depth=2
	s_wait_loadcnt 0x0
	global_load_d16_hi_b16 v7, v[24:25], off offset:320
	s_wait_alu 0xfffe
	s_or_b32 exec_lo, exec_lo, s15
	s_delay_alu instid0(SALU_CYCLE_1)
	s_mov_b32 s15, exec_lo
	v_cmpx_gt_u32_e64 s43, v76
	s_cbranch_execnz .LBB1049_576
	s_branch .LBB1049_577
.LBB1049_678:
	s_endpgm
	.section	.rodata,"a",@progbits
	.p2align	6, 0x0
	.amdhsa_kernel _ZN7rocprim17ROCPRIM_400000_NS6detail17trampoline_kernelINS0_14default_configENS1_36segmented_radix_sort_config_selectorIslEEZNS1_25segmented_radix_sort_implIS3_Lb0EPKsPsPKlPlN2at6native12_GLOBAL__N_18offset_tEEE10hipError_tPvRmT1_PNSt15iterator_traitsISK_E10value_typeET2_T3_PNSL_ISQ_E10value_typeET4_jRbjT5_SW_jjP12ihipStream_tbEUlT_E2_NS1_11comp_targetILNS1_3genE10ELNS1_11target_archE1201ELNS1_3gpuE5ELNS1_3repE0EEENS1_30default_config_static_selectorELNS0_4arch9wavefront6targetE0EEEvSK_
		.amdhsa_group_segment_fixed_size 17440
		.amdhsa_private_segment_fixed_size 0
		.amdhsa_kernarg_size 336
		.amdhsa_user_sgpr_count 2
		.amdhsa_user_sgpr_dispatch_ptr 0
		.amdhsa_user_sgpr_queue_ptr 0
		.amdhsa_user_sgpr_kernarg_segment_ptr 1
		.amdhsa_user_sgpr_dispatch_id 0
		.amdhsa_user_sgpr_private_segment_size 0
		.amdhsa_wavefront_size32 1
		.amdhsa_uses_dynamic_stack 0
		.amdhsa_enable_private_segment 0
		.amdhsa_system_sgpr_workgroup_id_x 1
		.amdhsa_system_sgpr_workgroup_id_y 1
		.amdhsa_system_sgpr_workgroup_id_z 0
		.amdhsa_system_sgpr_workgroup_info 0
		.amdhsa_system_vgpr_workitem_id 2
		.amdhsa_next_free_vgpr 198
		.amdhsa_next_free_sgpr 50
		.amdhsa_reserve_vcc 1
		.amdhsa_float_round_mode_32 0
		.amdhsa_float_round_mode_16_64 0
		.amdhsa_float_denorm_mode_32 3
		.amdhsa_float_denorm_mode_16_64 3
		.amdhsa_fp16_overflow 0
		.amdhsa_workgroup_processor_mode 1
		.amdhsa_memory_ordered 1
		.amdhsa_forward_progress 1
		.amdhsa_inst_pref_size 255
		.amdhsa_round_robin_scheduling 0
		.amdhsa_exception_fp_ieee_invalid_op 0
		.amdhsa_exception_fp_denorm_src 0
		.amdhsa_exception_fp_ieee_div_zero 0
		.amdhsa_exception_fp_ieee_overflow 0
		.amdhsa_exception_fp_ieee_underflow 0
		.amdhsa_exception_fp_ieee_inexact 0
		.amdhsa_exception_int_div_zero 0
	.end_amdhsa_kernel
	.section	.text._ZN7rocprim17ROCPRIM_400000_NS6detail17trampoline_kernelINS0_14default_configENS1_36segmented_radix_sort_config_selectorIslEEZNS1_25segmented_radix_sort_implIS3_Lb0EPKsPsPKlPlN2at6native12_GLOBAL__N_18offset_tEEE10hipError_tPvRmT1_PNSt15iterator_traitsISK_E10value_typeET2_T3_PNSL_ISQ_E10value_typeET4_jRbjT5_SW_jjP12ihipStream_tbEUlT_E2_NS1_11comp_targetILNS1_3genE10ELNS1_11target_archE1201ELNS1_3gpuE5ELNS1_3repE0EEENS1_30default_config_static_selectorELNS0_4arch9wavefront6targetE0EEEvSK_,"axG",@progbits,_ZN7rocprim17ROCPRIM_400000_NS6detail17trampoline_kernelINS0_14default_configENS1_36segmented_radix_sort_config_selectorIslEEZNS1_25segmented_radix_sort_implIS3_Lb0EPKsPsPKlPlN2at6native12_GLOBAL__N_18offset_tEEE10hipError_tPvRmT1_PNSt15iterator_traitsISK_E10value_typeET2_T3_PNSL_ISQ_E10value_typeET4_jRbjT5_SW_jjP12ihipStream_tbEUlT_E2_NS1_11comp_targetILNS1_3genE10ELNS1_11target_archE1201ELNS1_3gpuE5ELNS1_3repE0EEENS1_30default_config_static_selectorELNS0_4arch9wavefront6targetE0EEEvSK_,comdat
.Lfunc_end1049:
	.size	_ZN7rocprim17ROCPRIM_400000_NS6detail17trampoline_kernelINS0_14default_configENS1_36segmented_radix_sort_config_selectorIslEEZNS1_25segmented_radix_sort_implIS3_Lb0EPKsPsPKlPlN2at6native12_GLOBAL__N_18offset_tEEE10hipError_tPvRmT1_PNSt15iterator_traitsISK_E10value_typeET2_T3_PNSL_ISQ_E10value_typeET4_jRbjT5_SW_jjP12ihipStream_tbEUlT_E2_NS1_11comp_targetILNS1_3genE10ELNS1_11target_archE1201ELNS1_3gpuE5ELNS1_3repE0EEENS1_30default_config_static_selectorELNS0_4arch9wavefront6targetE0EEEvSK_, .Lfunc_end1049-_ZN7rocprim17ROCPRIM_400000_NS6detail17trampoline_kernelINS0_14default_configENS1_36segmented_radix_sort_config_selectorIslEEZNS1_25segmented_radix_sort_implIS3_Lb0EPKsPsPKlPlN2at6native12_GLOBAL__N_18offset_tEEE10hipError_tPvRmT1_PNSt15iterator_traitsISK_E10value_typeET2_T3_PNSL_ISQ_E10value_typeET4_jRbjT5_SW_jjP12ihipStream_tbEUlT_E2_NS1_11comp_targetILNS1_3genE10ELNS1_11target_archE1201ELNS1_3gpuE5ELNS1_3repE0EEENS1_30default_config_static_selectorELNS0_4arch9wavefront6targetE0EEEvSK_
                                        ; -- End function
	.set _ZN7rocprim17ROCPRIM_400000_NS6detail17trampoline_kernelINS0_14default_configENS1_36segmented_radix_sort_config_selectorIslEEZNS1_25segmented_radix_sort_implIS3_Lb0EPKsPsPKlPlN2at6native12_GLOBAL__N_18offset_tEEE10hipError_tPvRmT1_PNSt15iterator_traitsISK_E10value_typeET2_T3_PNSL_ISQ_E10value_typeET4_jRbjT5_SW_jjP12ihipStream_tbEUlT_E2_NS1_11comp_targetILNS1_3genE10ELNS1_11target_archE1201ELNS1_3gpuE5ELNS1_3repE0EEENS1_30default_config_static_selectorELNS0_4arch9wavefront6targetE0EEEvSK_.num_vgpr, max(136, .L_ZN7rocprim17ROCPRIM_400000_NS6detail26segmented_warp_sort_helperINS1_20WarpSortHelperConfigILj8ELj4ELj256EEEslLi256ELb0EvE4sortIPKsPsPKlPlEEvT_T0_T1_T2_jjjjRNS5_12storage_typeE.num_vgpr, .L_ZN7rocprim17ROCPRIM_400000_NS6detail40segmented_radix_sort_single_block_helperIslLj256ELj8ELb0EE4sortIPKsPsPKlPlEEbT_T0_T1_T2_jjjjRNS3_12storage_typeE.num_vgpr)
	.set _ZN7rocprim17ROCPRIM_400000_NS6detail17trampoline_kernelINS0_14default_configENS1_36segmented_radix_sort_config_selectorIslEEZNS1_25segmented_radix_sort_implIS3_Lb0EPKsPsPKlPlN2at6native12_GLOBAL__N_18offset_tEEE10hipError_tPvRmT1_PNSt15iterator_traitsISK_E10value_typeET2_T3_PNSL_ISQ_E10value_typeET4_jRbjT5_SW_jjP12ihipStream_tbEUlT_E2_NS1_11comp_targetILNS1_3genE10ELNS1_11target_archE1201ELNS1_3gpuE5ELNS1_3repE0EEENS1_30default_config_static_selectorELNS0_4arch9wavefront6targetE0EEEvSK_.num_agpr, max(0, .L_ZN7rocprim17ROCPRIM_400000_NS6detail26segmented_warp_sort_helperINS1_20WarpSortHelperConfigILj8ELj4ELj256EEEslLi256ELb0EvE4sortIPKsPsPKlPlEEvT_T0_T1_T2_jjjjRNS5_12storage_typeE.num_agpr, .L_ZN7rocprim17ROCPRIM_400000_NS6detail40segmented_radix_sort_single_block_helperIslLj256ELj8ELb0EE4sortIPKsPsPKlPlEEbT_T0_T1_T2_jjjjRNS3_12storage_typeE.num_agpr)
	.set _ZN7rocprim17ROCPRIM_400000_NS6detail17trampoline_kernelINS0_14default_configENS1_36segmented_radix_sort_config_selectorIslEEZNS1_25segmented_radix_sort_implIS3_Lb0EPKsPsPKlPlN2at6native12_GLOBAL__N_18offset_tEEE10hipError_tPvRmT1_PNSt15iterator_traitsISK_E10value_typeET2_T3_PNSL_ISQ_E10value_typeET4_jRbjT5_SW_jjP12ihipStream_tbEUlT_E2_NS1_11comp_targetILNS1_3genE10ELNS1_11target_archE1201ELNS1_3gpuE5ELNS1_3repE0EEENS1_30default_config_static_selectorELNS0_4arch9wavefront6targetE0EEEvSK_.numbered_sgpr, max(50, .L_ZN7rocprim17ROCPRIM_400000_NS6detail26segmented_warp_sort_helperINS1_20WarpSortHelperConfigILj8ELj4ELj256EEEslLi256ELb0EvE4sortIPKsPsPKlPlEEvT_T0_T1_T2_jjjjRNS5_12storage_typeE.numbered_sgpr, .L_ZN7rocprim17ROCPRIM_400000_NS6detail40segmented_radix_sort_single_block_helperIslLj256ELj8ELb0EE4sortIPKsPsPKlPlEEbT_T0_T1_T2_jjjjRNS3_12storage_typeE.numbered_sgpr)
	.set _ZN7rocprim17ROCPRIM_400000_NS6detail17trampoline_kernelINS0_14default_configENS1_36segmented_radix_sort_config_selectorIslEEZNS1_25segmented_radix_sort_implIS3_Lb0EPKsPsPKlPlN2at6native12_GLOBAL__N_18offset_tEEE10hipError_tPvRmT1_PNSt15iterator_traitsISK_E10value_typeET2_T3_PNSL_ISQ_E10value_typeET4_jRbjT5_SW_jjP12ihipStream_tbEUlT_E2_NS1_11comp_targetILNS1_3genE10ELNS1_11target_archE1201ELNS1_3gpuE5ELNS1_3repE0EEENS1_30default_config_static_selectorELNS0_4arch9wavefront6targetE0EEEvSK_.num_named_barrier, max(0, .L_ZN7rocprim17ROCPRIM_400000_NS6detail26segmented_warp_sort_helperINS1_20WarpSortHelperConfigILj8ELj4ELj256EEEslLi256ELb0EvE4sortIPKsPsPKlPlEEvT_T0_T1_T2_jjjjRNS5_12storage_typeE.num_named_barrier, .L_ZN7rocprim17ROCPRIM_400000_NS6detail40segmented_radix_sort_single_block_helperIslLj256ELj8ELb0EE4sortIPKsPsPKlPlEEbT_T0_T1_T2_jjjjRNS3_12storage_typeE.num_named_barrier)
	.set _ZN7rocprim17ROCPRIM_400000_NS6detail17trampoline_kernelINS0_14default_configENS1_36segmented_radix_sort_config_selectorIslEEZNS1_25segmented_radix_sort_implIS3_Lb0EPKsPsPKlPlN2at6native12_GLOBAL__N_18offset_tEEE10hipError_tPvRmT1_PNSt15iterator_traitsISK_E10value_typeET2_T3_PNSL_ISQ_E10value_typeET4_jRbjT5_SW_jjP12ihipStream_tbEUlT_E2_NS1_11comp_targetILNS1_3genE10ELNS1_11target_archE1201ELNS1_3gpuE5ELNS1_3repE0EEENS1_30default_config_static_selectorELNS0_4arch9wavefront6targetE0EEEvSK_.private_seg_size, 0+max(.L_ZN7rocprim17ROCPRIM_400000_NS6detail26segmented_warp_sort_helperINS1_20WarpSortHelperConfigILj8ELj4ELj256EEEslLi256ELb0EvE4sortIPKsPsPKlPlEEvT_T0_T1_T2_jjjjRNS5_12storage_typeE.private_seg_size, .L_ZN7rocprim17ROCPRIM_400000_NS6detail40segmented_radix_sort_single_block_helperIslLj256ELj8ELb0EE4sortIPKsPsPKlPlEEbT_T0_T1_T2_jjjjRNS3_12storage_typeE.private_seg_size)
	.set _ZN7rocprim17ROCPRIM_400000_NS6detail17trampoline_kernelINS0_14default_configENS1_36segmented_radix_sort_config_selectorIslEEZNS1_25segmented_radix_sort_implIS3_Lb0EPKsPsPKlPlN2at6native12_GLOBAL__N_18offset_tEEE10hipError_tPvRmT1_PNSt15iterator_traitsISK_E10value_typeET2_T3_PNSL_ISQ_E10value_typeET4_jRbjT5_SW_jjP12ihipStream_tbEUlT_E2_NS1_11comp_targetILNS1_3genE10ELNS1_11target_archE1201ELNS1_3gpuE5ELNS1_3repE0EEENS1_30default_config_static_selectorELNS0_4arch9wavefront6targetE0EEEvSK_.uses_vcc, or(1, .L_ZN7rocprim17ROCPRIM_400000_NS6detail26segmented_warp_sort_helperINS1_20WarpSortHelperConfigILj8ELj4ELj256EEEslLi256ELb0EvE4sortIPKsPsPKlPlEEvT_T0_T1_T2_jjjjRNS5_12storage_typeE.uses_vcc, .L_ZN7rocprim17ROCPRIM_400000_NS6detail40segmented_radix_sort_single_block_helperIslLj256ELj8ELb0EE4sortIPKsPsPKlPlEEbT_T0_T1_T2_jjjjRNS3_12storage_typeE.uses_vcc)
	.set _ZN7rocprim17ROCPRIM_400000_NS6detail17trampoline_kernelINS0_14default_configENS1_36segmented_radix_sort_config_selectorIslEEZNS1_25segmented_radix_sort_implIS3_Lb0EPKsPsPKlPlN2at6native12_GLOBAL__N_18offset_tEEE10hipError_tPvRmT1_PNSt15iterator_traitsISK_E10value_typeET2_T3_PNSL_ISQ_E10value_typeET4_jRbjT5_SW_jjP12ihipStream_tbEUlT_E2_NS1_11comp_targetILNS1_3genE10ELNS1_11target_archE1201ELNS1_3gpuE5ELNS1_3repE0EEENS1_30default_config_static_selectorELNS0_4arch9wavefront6targetE0EEEvSK_.uses_flat_scratch, or(0, .L_ZN7rocprim17ROCPRIM_400000_NS6detail26segmented_warp_sort_helperINS1_20WarpSortHelperConfigILj8ELj4ELj256EEEslLi256ELb0EvE4sortIPKsPsPKlPlEEvT_T0_T1_T2_jjjjRNS5_12storage_typeE.uses_flat_scratch, .L_ZN7rocprim17ROCPRIM_400000_NS6detail40segmented_radix_sort_single_block_helperIslLj256ELj8ELb0EE4sortIPKsPsPKlPlEEbT_T0_T1_T2_jjjjRNS3_12storage_typeE.uses_flat_scratch)
	.set _ZN7rocprim17ROCPRIM_400000_NS6detail17trampoline_kernelINS0_14default_configENS1_36segmented_radix_sort_config_selectorIslEEZNS1_25segmented_radix_sort_implIS3_Lb0EPKsPsPKlPlN2at6native12_GLOBAL__N_18offset_tEEE10hipError_tPvRmT1_PNSt15iterator_traitsISK_E10value_typeET2_T3_PNSL_ISQ_E10value_typeET4_jRbjT5_SW_jjP12ihipStream_tbEUlT_E2_NS1_11comp_targetILNS1_3genE10ELNS1_11target_archE1201ELNS1_3gpuE5ELNS1_3repE0EEENS1_30default_config_static_selectorELNS0_4arch9wavefront6targetE0EEEvSK_.has_dyn_sized_stack, or(0, .L_ZN7rocprim17ROCPRIM_400000_NS6detail26segmented_warp_sort_helperINS1_20WarpSortHelperConfigILj8ELj4ELj256EEEslLi256ELb0EvE4sortIPKsPsPKlPlEEvT_T0_T1_T2_jjjjRNS5_12storage_typeE.has_dyn_sized_stack, .L_ZN7rocprim17ROCPRIM_400000_NS6detail40segmented_radix_sort_single_block_helperIslLj256ELj8ELb0EE4sortIPKsPsPKlPlEEbT_T0_T1_T2_jjjjRNS3_12storage_typeE.has_dyn_sized_stack)
	.set _ZN7rocprim17ROCPRIM_400000_NS6detail17trampoline_kernelINS0_14default_configENS1_36segmented_radix_sort_config_selectorIslEEZNS1_25segmented_radix_sort_implIS3_Lb0EPKsPsPKlPlN2at6native12_GLOBAL__N_18offset_tEEE10hipError_tPvRmT1_PNSt15iterator_traitsISK_E10value_typeET2_T3_PNSL_ISQ_E10value_typeET4_jRbjT5_SW_jjP12ihipStream_tbEUlT_E2_NS1_11comp_targetILNS1_3genE10ELNS1_11target_archE1201ELNS1_3gpuE5ELNS1_3repE0EEENS1_30default_config_static_selectorELNS0_4arch9wavefront6targetE0EEEvSK_.has_recursion, or(0, .L_ZN7rocprim17ROCPRIM_400000_NS6detail26segmented_warp_sort_helperINS1_20WarpSortHelperConfigILj8ELj4ELj256EEEslLi256ELb0EvE4sortIPKsPsPKlPlEEvT_T0_T1_T2_jjjjRNS5_12storage_typeE.has_recursion, .L_ZN7rocprim17ROCPRIM_400000_NS6detail40segmented_radix_sort_single_block_helperIslLj256ELj8ELb0EE4sortIPKsPsPKlPlEEbT_T0_T1_T2_jjjjRNS3_12storage_typeE.has_recursion)
	.set _ZN7rocprim17ROCPRIM_400000_NS6detail17trampoline_kernelINS0_14default_configENS1_36segmented_radix_sort_config_selectorIslEEZNS1_25segmented_radix_sort_implIS3_Lb0EPKsPsPKlPlN2at6native12_GLOBAL__N_18offset_tEEE10hipError_tPvRmT1_PNSt15iterator_traitsISK_E10value_typeET2_T3_PNSL_ISQ_E10value_typeET4_jRbjT5_SW_jjP12ihipStream_tbEUlT_E2_NS1_11comp_targetILNS1_3genE10ELNS1_11target_archE1201ELNS1_3gpuE5ELNS1_3repE0EEENS1_30default_config_static_selectorELNS0_4arch9wavefront6targetE0EEEvSK_.has_indirect_call, or(0, .L_ZN7rocprim17ROCPRIM_400000_NS6detail26segmented_warp_sort_helperINS1_20WarpSortHelperConfigILj8ELj4ELj256EEEslLi256ELb0EvE4sortIPKsPsPKlPlEEvT_T0_T1_T2_jjjjRNS5_12storage_typeE.has_indirect_call, .L_ZN7rocprim17ROCPRIM_400000_NS6detail40segmented_radix_sort_single_block_helperIslLj256ELj8ELb0EE4sortIPKsPsPKlPlEEbT_T0_T1_T2_jjjjRNS3_12storage_typeE.has_indirect_call)
	.section	.AMDGPU.csdata,"",@progbits
; Kernel info:
; codeLenInByte = 44064
; TotalNumSgprs: 52
; NumVgprs: 198
; ScratchSize: 0
; MemoryBound: 0
; FloatMode: 240
; IeeeMode: 1
; LDSByteSize: 17440 bytes/workgroup (compile time only)
; SGPRBlocks: 0
; VGPRBlocks: 24
; NumSGPRsForWavesPerEU: 52
; NumVGPRsForWavesPerEU: 198
; Occupancy: 7
; WaveLimiterHint : 1
; COMPUTE_PGM_RSRC2:SCRATCH_EN: 0
; COMPUTE_PGM_RSRC2:USER_SGPR: 2
; COMPUTE_PGM_RSRC2:TRAP_HANDLER: 0
; COMPUTE_PGM_RSRC2:TGID_X_EN: 1
; COMPUTE_PGM_RSRC2:TGID_Y_EN: 1
; COMPUTE_PGM_RSRC2:TGID_Z_EN: 0
; COMPUTE_PGM_RSRC2:TIDIG_COMP_CNT: 2
	.section	.text._ZN7rocprim17ROCPRIM_400000_NS6detail17trampoline_kernelINS0_14default_configENS1_36segmented_radix_sort_config_selectorIslEEZNS1_25segmented_radix_sort_implIS3_Lb0EPKsPsPKlPlN2at6native12_GLOBAL__N_18offset_tEEE10hipError_tPvRmT1_PNSt15iterator_traitsISK_E10value_typeET2_T3_PNSL_ISQ_E10value_typeET4_jRbjT5_SW_jjP12ihipStream_tbEUlT_E2_NS1_11comp_targetILNS1_3genE10ELNS1_11target_archE1200ELNS1_3gpuE4ELNS1_3repE0EEENS1_30default_config_static_selectorELNS0_4arch9wavefront6targetE0EEEvSK_,"axG",@progbits,_ZN7rocprim17ROCPRIM_400000_NS6detail17trampoline_kernelINS0_14default_configENS1_36segmented_radix_sort_config_selectorIslEEZNS1_25segmented_radix_sort_implIS3_Lb0EPKsPsPKlPlN2at6native12_GLOBAL__N_18offset_tEEE10hipError_tPvRmT1_PNSt15iterator_traitsISK_E10value_typeET2_T3_PNSL_ISQ_E10value_typeET4_jRbjT5_SW_jjP12ihipStream_tbEUlT_E2_NS1_11comp_targetILNS1_3genE10ELNS1_11target_archE1200ELNS1_3gpuE4ELNS1_3repE0EEENS1_30default_config_static_selectorELNS0_4arch9wavefront6targetE0EEEvSK_,comdat
	.globl	_ZN7rocprim17ROCPRIM_400000_NS6detail17trampoline_kernelINS0_14default_configENS1_36segmented_radix_sort_config_selectorIslEEZNS1_25segmented_radix_sort_implIS3_Lb0EPKsPsPKlPlN2at6native12_GLOBAL__N_18offset_tEEE10hipError_tPvRmT1_PNSt15iterator_traitsISK_E10value_typeET2_T3_PNSL_ISQ_E10value_typeET4_jRbjT5_SW_jjP12ihipStream_tbEUlT_E2_NS1_11comp_targetILNS1_3genE10ELNS1_11target_archE1200ELNS1_3gpuE4ELNS1_3repE0EEENS1_30default_config_static_selectorELNS0_4arch9wavefront6targetE0EEEvSK_ ; -- Begin function _ZN7rocprim17ROCPRIM_400000_NS6detail17trampoline_kernelINS0_14default_configENS1_36segmented_radix_sort_config_selectorIslEEZNS1_25segmented_radix_sort_implIS3_Lb0EPKsPsPKlPlN2at6native12_GLOBAL__N_18offset_tEEE10hipError_tPvRmT1_PNSt15iterator_traitsISK_E10value_typeET2_T3_PNSL_ISQ_E10value_typeET4_jRbjT5_SW_jjP12ihipStream_tbEUlT_E2_NS1_11comp_targetILNS1_3genE10ELNS1_11target_archE1200ELNS1_3gpuE4ELNS1_3repE0EEENS1_30default_config_static_selectorELNS0_4arch9wavefront6targetE0EEEvSK_
	.p2align	8
	.type	_ZN7rocprim17ROCPRIM_400000_NS6detail17trampoline_kernelINS0_14default_configENS1_36segmented_radix_sort_config_selectorIslEEZNS1_25segmented_radix_sort_implIS3_Lb0EPKsPsPKlPlN2at6native12_GLOBAL__N_18offset_tEEE10hipError_tPvRmT1_PNSt15iterator_traitsISK_E10value_typeET2_T3_PNSL_ISQ_E10value_typeET4_jRbjT5_SW_jjP12ihipStream_tbEUlT_E2_NS1_11comp_targetILNS1_3genE10ELNS1_11target_archE1200ELNS1_3gpuE4ELNS1_3repE0EEENS1_30default_config_static_selectorELNS0_4arch9wavefront6targetE0EEEvSK_,@function
_ZN7rocprim17ROCPRIM_400000_NS6detail17trampoline_kernelINS0_14default_configENS1_36segmented_radix_sort_config_selectorIslEEZNS1_25segmented_radix_sort_implIS3_Lb0EPKsPsPKlPlN2at6native12_GLOBAL__N_18offset_tEEE10hipError_tPvRmT1_PNSt15iterator_traitsISK_E10value_typeET2_T3_PNSL_ISQ_E10value_typeET4_jRbjT5_SW_jjP12ihipStream_tbEUlT_E2_NS1_11comp_targetILNS1_3genE10ELNS1_11target_archE1200ELNS1_3gpuE4ELNS1_3repE0EEENS1_30default_config_static_selectorELNS0_4arch9wavefront6targetE0EEEvSK_: ; @_ZN7rocprim17ROCPRIM_400000_NS6detail17trampoline_kernelINS0_14default_configENS1_36segmented_radix_sort_config_selectorIslEEZNS1_25segmented_radix_sort_implIS3_Lb0EPKsPsPKlPlN2at6native12_GLOBAL__N_18offset_tEEE10hipError_tPvRmT1_PNSt15iterator_traitsISK_E10value_typeET2_T3_PNSL_ISQ_E10value_typeET4_jRbjT5_SW_jjP12ihipStream_tbEUlT_E2_NS1_11comp_targetILNS1_3genE10ELNS1_11target_archE1200ELNS1_3gpuE4ELNS1_3repE0EEENS1_30default_config_static_selectorELNS0_4arch9wavefront6targetE0EEEvSK_
; %bb.0:
	.section	.rodata,"a",@progbits
	.p2align	6, 0x0
	.amdhsa_kernel _ZN7rocprim17ROCPRIM_400000_NS6detail17trampoline_kernelINS0_14default_configENS1_36segmented_radix_sort_config_selectorIslEEZNS1_25segmented_radix_sort_implIS3_Lb0EPKsPsPKlPlN2at6native12_GLOBAL__N_18offset_tEEE10hipError_tPvRmT1_PNSt15iterator_traitsISK_E10value_typeET2_T3_PNSL_ISQ_E10value_typeET4_jRbjT5_SW_jjP12ihipStream_tbEUlT_E2_NS1_11comp_targetILNS1_3genE10ELNS1_11target_archE1200ELNS1_3gpuE4ELNS1_3repE0EEENS1_30default_config_static_selectorELNS0_4arch9wavefront6targetE0EEEvSK_
		.amdhsa_group_segment_fixed_size 0
		.amdhsa_private_segment_fixed_size 0
		.amdhsa_kernarg_size 80
		.amdhsa_user_sgpr_count 2
		.amdhsa_user_sgpr_dispatch_ptr 0
		.amdhsa_user_sgpr_queue_ptr 0
		.amdhsa_user_sgpr_kernarg_segment_ptr 1
		.amdhsa_user_sgpr_dispatch_id 0
		.amdhsa_user_sgpr_private_segment_size 0
		.amdhsa_wavefront_size32 1
		.amdhsa_uses_dynamic_stack 0
		.amdhsa_enable_private_segment 0
		.amdhsa_system_sgpr_workgroup_id_x 1
		.amdhsa_system_sgpr_workgroup_id_y 0
		.amdhsa_system_sgpr_workgroup_id_z 0
		.amdhsa_system_sgpr_workgroup_info 0
		.amdhsa_system_vgpr_workitem_id 0
		.amdhsa_next_free_vgpr 1
		.amdhsa_next_free_sgpr 1
		.amdhsa_reserve_vcc 0
		.amdhsa_float_round_mode_32 0
		.amdhsa_float_round_mode_16_64 0
		.amdhsa_float_denorm_mode_32 3
		.amdhsa_float_denorm_mode_16_64 3
		.amdhsa_fp16_overflow 0
		.amdhsa_workgroup_processor_mode 1
		.amdhsa_memory_ordered 1
		.amdhsa_forward_progress 1
		.amdhsa_inst_pref_size 0
		.amdhsa_round_robin_scheduling 0
		.amdhsa_exception_fp_ieee_invalid_op 0
		.amdhsa_exception_fp_denorm_src 0
		.amdhsa_exception_fp_ieee_div_zero 0
		.amdhsa_exception_fp_ieee_overflow 0
		.amdhsa_exception_fp_ieee_underflow 0
		.amdhsa_exception_fp_ieee_inexact 0
		.amdhsa_exception_int_div_zero 0
	.end_amdhsa_kernel
	.section	.text._ZN7rocprim17ROCPRIM_400000_NS6detail17trampoline_kernelINS0_14default_configENS1_36segmented_radix_sort_config_selectorIslEEZNS1_25segmented_radix_sort_implIS3_Lb0EPKsPsPKlPlN2at6native12_GLOBAL__N_18offset_tEEE10hipError_tPvRmT1_PNSt15iterator_traitsISK_E10value_typeET2_T3_PNSL_ISQ_E10value_typeET4_jRbjT5_SW_jjP12ihipStream_tbEUlT_E2_NS1_11comp_targetILNS1_3genE10ELNS1_11target_archE1200ELNS1_3gpuE4ELNS1_3repE0EEENS1_30default_config_static_selectorELNS0_4arch9wavefront6targetE0EEEvSK_,"axG",@progbits,_ZN7rocprim17ROCPRIM_400000_NS6detail17trampoline_kernelINS0_14default_configENS1_36segmented_radix_sort_config_selectorIslEEZNS1_25segmented_radix_sort_implIS3_Lb0EPKsPsPKlPlN2at6native12_GLOBAL__N_18offset_tEEE10hipError_tPvRmT1_PNSt15iterator_traitsISK_E10value_typeET2_T3_PNSL_ISQ_E10value_typeET4_jRbjT5_SW_jjP12ihipStream_tbEUlT_E2_NS1_11comp_targetILNS1_3genE10ELNS1_11target_archE1200ELNS1_3gpuE4ELNS1_3repE0EEENS1_30default_config_static_selectorELNS0_4arch9wavefront6targetE0EEEvSK_,comdat
.Lfunc_end1050:
	.size	_ZN7rocprim17ROCPRIM_400000_NS6detail17trampoline_kernelINS0_14default_configENS1_36segmented_radix_sort_config_selectorIslEEZNS1_25segmented_radix_sort_implIS3_Lb0EPKsPsPKlPlN2at6native12_GLOBAL__N_18offset_tEEE10hipError_tPvRmT1_PNSt15iterator_traitsISK_E10value_typeET2_T3_PNSL_ISQ_E10value_typeET4_jRbjT5_SW_jjP12ihipStream_tbEUlT_E2_NS1_11comp_targetILNS1_3genE10ELNS1_11target_archE1200ELNS1_3gpuE4ELNS1_3repE0EEENS1_30default_config_static_selectorELNS0_4arch9wavefront6targetE0EEEvSK_, .Lfunc_end1050-_ZN7rocprim17ROCPRIM_400000_NS6detail17trampoline_kernelINS0_14default_configENS1_36segmented_radix_sort_config_selectorIslEEZNS1_25segmented_radix_sort_implIS3_Lb0EPKsPsPKlPlN2at6native12_GLOBAL__N_18offset_tEEE10hipError_tPvRmT1_PNSt15iterator_traitsISK_E10value_typeET2_T3_PNSL_ISQ_E10value_typeET4_jRbjT5_SW_jjP12ihipStream_tbEUlT_E2_NS1_11comp_targetILNS1_3genE10ELNS1_11target_archE1200ELNS1_3gpuE4ELNS1_3repE0EEENS1_30default_config_static_selectorELNS0_4arch9wavefront6targetE0EEEvSK_
                                        ; -- End function
	.set _ZN7rocprim17ROCPRIM_400000_NS6detail17trampoline_kernelINS0_14default_configENS1_36segmented_radix_sort_config_selectorIslEEZNS1_25segmented_radix_sort_implIS3_Lb0EPKsPsPKlPlN2at6native12_GLOBAL__N_18offset_tEEE10hipError_tPvRmT1_PNSt15iterator_traitsISK_E10value_typeET2_T3_PNSL_ISQ_E10value_typeET4_jRbjT5_SW_jjP12ihipStream_tbEUlT_E2_NS1_11comp_targetILNS1_3genE10ELNS1_11target_archE1200ELNS1_3gpuE4ELNS1_3repE0EEENS1_30default_config_static_selectorELNS0_4arch9wavefront6targetE0EEEvSK_.num_vgpr, 0
	.set _ZN7rocprim17ROCPRIM_400000_NS6detail17trampoline_kernelINS0_14default_configENS1_36segmented_radix_sort_config_selectorIslEEZNS1_25segmented_radix_sort_implIS3_Lb0EPKsPsPKlPlN2at6native12_GLOBAL__N_18offset_tEEE10hipError_tPvRmT1_PNSt15iterator_traitsISK_E10value_typeET2_T3_PNSL_ISQ_E10value_typeET4_jRbjT5_SW_jjP12ihipStream_tbEUlT_E2_NS1_11comp_targetILNS1_3genE10ELNS1_11target_archE1200ELNS1_3gpuE4ELNS1_3repE0EEENS1_30default_config_static_selectorELNS0_4arch9wavefront6targetE0EEEvSK_.num_agpr, 0
	.set _ZN7rocprim17ROCPRIM_400000_NS6detail17trampoline_kernelINS0_14default_configENS1_36segmented_radix_sort_config_selectorIslEEZNS1_25segmented_radix_sort_implIS3_Lb0EPKsPsPKlPlN2at6native12_GLOBAL__N_18offset_tEEE10hipError_tPvRmT1_PNSt15iterator_traitsISK_E10value_typeET2_T3_PNSL_ISQ_E10value_typeET4_jRbjT5_SW_jjP12ihipStream_tbEUlT_E2_NS1_11comp_targetILNS1_3genE10ELNS1_11target_archE1200ELNS1_3gpuE4ELNS1_3repE0EEENS1_30default_config_static_selectorELNS0_4arch9wavefront6targetE0EEEvSK_.numbered_sgpr, 0
	.set _ZN7rocprim17ROCPRIM_400000_NS6detail17trampoline_kernelINS0_14default_configENS1_36segmented_radix_sort_config_selectorIslEEZNS1_25segmented_radix_sort_implIS3_Lb0EPKsPsPKlPlN2at6native12_GLOBAL__N_18offset_tEEE10hipError_tPvRmT1_PNSt15iterator_traitsISK_E10value_typeET2_T3_PNSL_ISQ_E10value_typeET4_jRbjT5_SW_jjP12ihipStream_tbEUlT_E2_NS1_11comp_targetILNS1_3genE10ELNS1_11target_archE1200ELNS1_3gpuE4ELNS1_3repE0EEENS1_30default_config_static_selectorELNS0_4arch9wavefront6targetE0EEEvSK_.num_named_barrier, 0
	.set _ZN7rocprim17ROCPRIM_400000_NS6detail17trampoline_kernelINS0_14default_configENS1_36segmented_radix_sort_config_selectorIslEEZNS1_25segmented_radix_sort_implIS3_Lb0EPKsPsPKlPlN2at6native12_GLOBAL__N_18offset_tEEE10hipError_tPvRmT1_PNSt15iterator_traitsISK_E10value_typeET2_T3_PNSL_ISQ_E10value_typeET4_jRbjT5_SW_jjP12ihipStream_tbEUlT_E2_NS1_11comp_targetILNS1_3genE10ELNS1_11target_archE1200ELNS1_3gpuE4ELNS1_3repE0EEENS1_30default_config_static_selectorELNS0_4arch9wavefront6targetE0EEEvSK_.private_seg_size, 0
	.set _ZN7rocprim17ROCPRIM_400000_NS6detail17trampoline_kernelINS0_14default_configENS1_36segmented_radix_sort_config_selectorIslEEZNS1_25segmented_radix_sort_implIS3_Lb0EPKsPsPKlPlN2at6native12_GLOBAL__N_18offset_tEEE10hipError_tPvRmT1_PNSt15iterator_traitsISK_E10value_typeET2_T3_PNSL_ISQ_E10value_typeET4_jRbjT5_SW_jjP12ihipStream_tbEUlT_E2_NS1_11comp_targetILNS1_3genE10ELNS1_11target_archE1200ELNS1_3gpuE4ELNS1_3repE0EEENS1_30default_config_static_selectorELNS0_4arch9wavefront6targetE0EEEvSK_.uses_vcc, 0
	.set _ZN7rocprim17ROCPRIM_400000_NS6detail17trampoline_kernelINS0_14default_configENS1_36segmented_radix_sort_config_selectorIslEEZNS1_25segmented_radix_sort_implIS3_Lb0EPKsPsPKlPlN2at6native12_GLOBAL__N_18offset_tEEE10hipError_tPvRmT1_PNSt15iterator_traitsISK_E10value_typeET2_T3_PNSL_ISQ_E10value_typeET4_jRbjT5_SW_jjP12ihipStream_tbEUlT_E2_NS1_11comp_targetILNS1_3genE10ELNS1_11target_archE1200ELNS1_3gpuE4ELNS1_3repE0EEENS1_30default_config_static_selectorELNS0_4arch9wavefront6targetE0EEEvSK_.uses_flat_scratch, 0
	.set _ZN7rocprim17ROCPRIM_400000_NS6detail17trampoline_kernelINS0_14default_configENS1_36segmented_radix_sort_config_selectorIslEEZNS1_25segmented_radix_sort_implIS3_Lb0EPKsPsPKlPlN2at6native12_GLOBAL__N_18offset_tEEE10hipError_tPvRmT1_PNSt15iterator_traitsISK_E10value_typeET2_T3_PNSL_ISQ_E10value_typeET4_jRbjT5_SW_jjP12ihipStream_tbEUlT_E2_NS1_11comp_targetILNS1_3genE10ELNS1_11target_archE1200ELNS1_3gpuE4ELNS1_3repE0EEENS1_30default_config_static_selectorELNS0_4arch9wavefront6targetE0EEEvSK_.has_dyn_sized_stack, 0
	.set _ZN7rocprim17ROCPRIM_400000_NS6detail17trampoline_kernelINS0_14default_configENS1_36segmented_radix_sort_config_selectorIslEEZNS1_25segmented_radix_sort_implIS3_Lb0EPKsPsPKlPlN2at6native12_GLOBAL__N_18offset_tEEE10hipError_tPvRmT1_PNSt15iterator_traitsISK_E10value_typeET2_T3_PNSL_ISQ_E10value_typeET4_jRbjT5_SW_jjP12ihipStream_tbEUlT_E2_NS1_11comp_targetILNS1_3genE10ELNS1_11target_archE1200ELNS1_3gpuE4ELNS1_3repE0EEENS1_30default_config_static_selectorELNS0_4arch9wavefront6targetE0EEEvSK_.has_recursion, 0
	.set _ZN7rocprim17ROCPRIM_400000_NS6detail17trampoline_kernelINS0_14default_configENS1_36segmented_radix_sort_config_selectorIslEEZNS1_25segmented_radix_sort_implIS3_Lb0EPKsPsPKlPlN2at6native12_GLOBAL__N_18offset_tEEE10hipError_tPvRmT1_PNSt15iterator_traitsISK_E10value_typeET2_T3_PNSL_ISQ_E10value_typeET4_jRbjT5_SW_jjP12ihipStream_tbEUlT_E2_NS1_11comp_targetILNS1_3genE10ELNS1_11target_archE1200ELNS1_3gpuE4ELNS1_3repE0EEENS1_30default_config_static_selectorELNS0_4arch9wavefront6targetE0EEEvSK_.has_indirect_call, 0
	.section	.AMDGPU.csdata,"",@progbits
; Kernel info:
; codeLenInByte = 0
; TotalNumSgprs: 0
; NumVgprs: 0
; ScratchSize: 0
; MemoryBound: 0
; FloatMode: 240
; IeeeMode: 1
; LDSByteSize: 0 bytes/workgroup (compile time only)
; SGPRBlocks: 0
; VGPRBlocks: 0
; NumSGPRsForWavesPerEU: 1
; NumVGPRsForWavesPerEU: 1
; Occupancy: 16
; WaveLimiterHint : 0
; COMPUTE_PGM_RSRC2:SCRATCH_EN: 0
; COMPUTE_PGM_RSRC2:USER_SGPR: 2
; COMPUTE_PGM_RSRC2:TRAP_HANDLER: 0
; COMPUTE_PGM_RSRC2:TGID_X_EN: 1
; COMPUTE_PGM_RSRC2:TGID_Y_EN: 0
; COMPUTE_PGM_RSRC2:TGID_Z_EN: 0
; COMPUTE_PGM_RSRC2:TIDIG_COMP_CNT: 0
	.section	.text._ZN7rocprim17ROCPRIM_400000_NS6detail17trampoline_kernelINS0_14default_configENS1_36segmented_radix_sort_config_selectorIslEEZNS1_25segmented_radix_sort_implIS3_Lb0EPKsPsPKlPlN2at6native12_GLOBAL__N_18offset_tEEE10hipError_tPvRmT1_PNSt15iterator_traitsISK_E10value_typeET2_T3_PNSL_ISQ_E10value_typeET4_jRbjT5_SW_jjP12ihipStream_tbEUlT_E2_NS1_11comp_targetILNS1_3genE9ELNS1_11target_archE1100ELNS1_3gpuE3ELNS1_3repE0EEENS1_30default_config_static_selectorELNS0_4arch9wavefront6targetE0EEEvSK_,"axG",@progbits,_ZN7rocprim17ROCPRIM_400000_NS6detail17trampoline_kernelINS0_14default_configENS1_36segmented_radix_sort_config_selectorIslEEZNS1_25segmented_radix_sort_implIS3_Lb0EPKsPsPKlPlN2at6native12_GLOBAL__N_18offset_tEEE10hipError_tPvRmT1_PNSt15iterator_traitsISK_E10value_typeET2_T3_PNSL_ISQ_E10value_typeET4_jRbjT5_SW_jjP12ihipStream_tbEUlT_E2_NS1_11comp_targetILNS1_3genE9ELNS1_11target_archE1100ELNS1_3gpuE3ELNS1_3repE0EEENS1_30default_config_static_selectorELNS0_4arch9wavefront6targetE0EEEvSK_,comdat
	.globl	_ZN7rocprim17ROCPRIM_400000_NS6detail17trampoline_kernelINS0_14default_configENS1_36segmented_radix_sort_config_selectorIslEEZNS1_25segmented_radix_sort_implIS3_Lb0EPKsPsPKlPlN2at6native12_GLOBAL__N_18offset_tEEE10hipError_tPvRmT1_PNSt15iterator_traitsISK_E10value_typeET2_T3_PNSL_ISQ_E10value_typeET4_jRbjT5_SW_jjP12ihipStream_tbEUlT_E2_NS1_11comp_targetILNS1_3genE9ELNS1_11target_archE1100ELNS1_3gpuE3ELNS1_3repE0EEENS1_30default_config_static_selectorELNS0_4arch9wavefront6targetE0EEEvSK_ ; -- Begin function _ZN7rocprim17ROCPRIM_400000_NS6detail17trampoline_kernelINS0_14default_configENS1_36segmented_radix_sort_config_selectorIslEEZNS1_25segmented_radix_sort_implIS3_Lb0EPKsPsPKlPlN2at6native12_GLOBAL__N_18offset_tEEE10hipError_tPvRmT1_PNSt15iterator_traitsISK_E10value_typeET2_T3_PNSL_ISQ_E10value_typeET4_jRbjT5_SW_jjP12ihipStream_tbEUlT_E2_NS1_11comp_targetILNS1_3genE9ELNS1_11target_archE1100ELNS1_3gpuE3ELNS1_3repE0EEENS1_30default_config_static_selectorELNS0_4arch9wavefront6targetE0EEEvSK_
	.p2align	8
	.type	_ZN7rocprim17ROCPRIM_400000_NS6detail17trampoline_kernelINS0_14default_configENS1_36segmented_radix_sort_config_selectorIslEEZNS1_25segmented_radix_sort_implIS3_Lb0EPKsPsPKlPlN2at6native12_GLOBAL__N_18offset_tEEE10hipError_tPvRmT1_PNSt15iterator_traitsISK_E10value_typeET2_T3_PNSL_ISQ_E10value_typeET4_jRbjT5_SW_jjP12ihipStream_tbEUlT_E2_NS1_11comp_targetILNS1_3genE9ELNS1_11target_archE1100ELNS1_3gpuE3ELNS1_3repE0EEENS1_30default_config_static_selectorELNS0_4arch9wavefront6targetE0EEEvSK_,@function
_ZN7rocprim17ROCPRIM_400000_NS6detail17trampoline_kernelINS0_14default_configENS1_36segmented_radix_sort_config_selectorIslEEZNS1_25segmented_radix_sort_implIS3_Lb0EPKsPsPKlPlN2at6native12_GLOBAL__N_18offset_tEEE10hipError_tPvRmT1_PNSt15iterator_traitsISK_E10value_typeET2_T3_PNSL_ISQ_E10value_typeET4_jRbjT5_SW_jjP12ihipStream_tbEUlT_E2_NS1_11comp_targetILNS1_3genE9ELNS1_11target_archE1100ELNS1_3gpuE3ELNS1_3repE0EEENS1_30default_config_static_selectorELNS0_4arch9wavefront6targetE0EEEvSK_: ; @_ZN7rocprim17ROCPRIM_400000_NS6detail17trampoline_kernelINS0_14default_configENS1_36segmented_radix_sort_config_selectorIslEEZNS1_25segmented_radix_sort_implIS3_Lb0EPKsPsPKlPlN2at6native12_GLOBAL__N_18offset_tEEE10hipError_tPvRmT1_PNSt15iterator_traitsISK_E10value_typeET2_T3_PNSL_ISQ_E10value_typeET4_jRbjT5_SW_jjP12ihipStream_tbEUlT_E2_NS1_11comp_targetILNS1_3genE9ELNS1_11target_archE1100ELNS1_3gpuE3ELNS1_3repE0EEENS1_30default_config_static_selectorELNS0_4arch9wavefront6targetE0EEEvSK_
; %bb.0:
	.section	.rodata,"a",@progbits
	.p2align	6, 0x0
	.amdhsa_kernel _ZN7rocprim17ROCPRIM_400000_NS6detail17trampoline_kernelINS0_14default_configENS1_36segmented_radix_sort_config_selectorIslEEZNS1_25segmented_radix_sort_implIS3_Lb0EPKsPsPKlPlN2at6native12_GLOBAL__N_18offset_tEEE10hipError_tPvRmT1_PNSt15iterator_traitsISK_E10value_typeET2_T3_PNSL_ISQ_E10value_typeET4_jRbjT5_SW_jjP12ihipStream_tbEUlT_E2_NS1_11comp_targetILNS1_3genE9ELNS1_11target_archE1100ELNS1_3gpuE3ELNS1_3repE0EEENS1_30default_config_static_selectorELNS0_4arch9wavefront6targetE0EEEvSK_
		.amdhsa_group_segment_fixed_size 0
		.amdhsa_private_segment_fixed_size 0
		.amdhsa_kernarg_size 80
		.amdhsa_user_sgpr_count 2
		.amdhsa_user_sgpr_dispatch_ptr 0
		.amdhsa_user_sgpr_queue_ptr 0
		.amdhsa_user_sgpr_kernarg_segment_ptr 1
		.amdhsa_user_sgpr_dispatch_id 0
		.amdhsa_user_sgpr_private_segment_size 0
		.amdhsa_wavefront_size32 1
		.amdhsa_uses_dynamic_stack 0
		.amdhsa_enable_private_segment 0
		.amdhsa_system_sgpr_workgroup_id_x 1
		.amdhsa_system_sgpr_workgroup_id_y 0
		.amdhsa_system_sgpr_workgroup_id_z 0
		.amdhsa_system_sgpr_workgroup_info 0
		.amdhsa_system_vgpr_workitem_id 0
		.amdhsa_next_free_vgpr 1
		.amdhsa_next_free_sgpr 1
		.amdhsa_reserve_vcc 0
		.amdhsa_float_round_mode_32 0
		.amdhsa_float_round_mode_16_64 0
		.amdhsa_float_denorm_mode_32 3
		.amdhsa_float_denorm_mode_16_64 3
		.amdhsa_fp16_overflow 0
		.amdhsa_workgroup_processor_mode 1
		.amdhsa_memory_ordered 1
		.amdhsa_forward_progress 1
		.amdhsa_inst_pref_size 0
		.amdhsa_round_robin_scheduling 0
		.amdhsa_exception_fp_ieee_invalid_op 0
		.amdhsa_exception_fp_denorm_src 0
		.amdhsa_exception_fp_ieee_div_zero 0
		.amdhsa_exception_fp_ieee_overflow 0
		.amdhsa_exception_fp_ieee_underflow 0
		.amdhsa_exception_fp_ieee_inexact 0
		.amdhsa_exception_int_div_zero 0
	.end_amdhsa_kernel
	.section	.text._ZN7rocprim17ROCPRIM_400000_NS6detail17trampoline_kernelINS0_14default_configENS1_36segmented_radix_sort_config_selectorIslEEZNS1_25segmented_radix_sort_implIS3_Lb0EPKsPsPKlPlN2at6native12_GLOBAL__N_18offset_tEEE10hipError_tPvRmT1_PNSt15iterator_traitsISK_E10value_typeET2_T3_PNSL_ISQ_E10value_typeET4_jRbjT5_SW_jjP12ihipStream_tbEUlT_E2_NS1_11comp_targetILNS1_3genE9ELNS1_11target_archE1100ELNS1_3gpuE3ELNS1_3repE0EEENS1_30default_config_static_selectorELNS0_4arch9wavefront6targetE0EEEvSK_,"axG",@progbits,_ZN7rocprim17ROCPRIM_400000_NS6detail17trampoline_kernelINS0_14default_configENS1_36segmented_radix_sort_config_selectorIslEEZNS1_25segmented_radix_sort_implIS3_Lb0EPKsPsPKlPlN2at6native12_GLOBAL__N_18offset_tEEE10hipError_tPvRmT1_PNSt15iterator_traitsISK_E10value_typeET2_T3_PNSL_ISQ_E10value_typeET4_jRbjT5_SW_jjP12ihipStream_tbEUlT_E2_NS1_11comp_targetILNS1_3genE9ELNS1_11target_archE1100ELNS1_3gpuE3ELNS1_3repE0EEENS1_30default_config_static_selectorELNS0_4arch9wavefront6targetE0EEEvSK_,comdat
.Lfunc_end1051:
	.size	_ZN7rocprim17ROCPRIM_400000_NS6detail17trampoline_kernelINS0_14default_configENS1_36segmented_radix_sort_config_selectorIslEEZNS1_25segmented_radix_sort_implIS3_Lb0EPKsPsPKlPlN2at6native12_GLOBAL__N_18offset_tEEE10hipError_tPvRmT1_PNSt15iterator_traitsISK_E10value_typeET2_T3_PNSL_ISQ_E10value_typeET4_jRbjT5_SW_jjP12ihipStream_tbEUlT_E2_NS1_11comp_targetILNS1_3genE9ELNS1_11target_archE1100ELNS1_3gpuE3ELNS1_3repE0EEENS1_30default_config_static_selectorELNS0_4arch9wavefront6targetE0EEEvSK_, .Lfunc_end1051-_ZN7rocprim17ROCPRIM_400000_NS6detail17trampoline_kernelINS0_14default_configENS1_36segmented_radix_sort_config_selectorIslEEZNS1_25segmented_radix_sort_implIS3_Lb0EPKsPsPKlPlN2at6native12_GLOBAL__N_18offset_tEEE10hipError_tPvRmT1_PNSt15iterator_traitsISK_E10value_typeET2_T3_PNSL_ISQ_E10value_typeET4_jRbjT5_SW_jjP12ihipStream_tbEUlT_E2_NS1_11comp_targetILNS1_3genE9ELNS1_11target_archE1100ELNS1_3gpuE3ELNS1_3repE0EEENS1_30default_config_static_selectorELNS0_4arch9wavefront6targetE0EEEvSK_
                                        ; -- End function
	.set _ZN7rocprim17ROCPRIM_400000_NS6detail17trampoline_kernelINS0_14default_configENS1_36segmented_radix_sort_config_selectorIslEEZNS1_25segmented_radix_sort_implIS3_Lb0EPKsPsPKlPlN2at6native12_GLOBAL__N_18offset_tEEE10hipError_tPvRmT1_PNSt15iterator_traitsISK_E10value_typeET2_T3_PNSL_ISQ_E10value_typeET4_jRbjT5_SW_jjP12ihipStream_tbEUlT_E2_NS1_11comp_targetILNS1_3genE9ELNS1_11target_archE1100ELNS1_3gpuE3ELNS1_3repE0EEENS1_30default_config_static_selectorELNS0_4arch9wavefront6targetE0EEEvSK_.num_vgpr, 0
	.set _ZN7rocprim17ROCPRIM_400000_NS6detail17trampoline_kernelINS0_14default_configENS1_36segmented_radix_sort_config_selectorIslEEZNS1_25segmented_radix_sort_implIS3_Lb0EPKsPsPKlPlN2at6native12_GLOBAL__N_18offset_tEEE10hipError_tPvRmT1_PNSt15iterator_traitsISK_E10value_typeET2_T3_PNSL_ISQ_E10value_typeET4_jRbjT5_SW_jjP12ihipStream_tbEUlT_E2_NS1_11comp_targetILNS1_3genE9ELNS1_11target_archE1100ELNS1_3gpuE3ELNS1_3repE0EEENS1_30default_config_static_selectorELNS0_4arch9wavefront6targetE0EEEvSK_.num_agpr, 0
	.set _ZN7rocprim17ROCPRIM_400000_NS6detail17trampoline_kernelINS0_14default_configENS1_36segmented_radix_sort_config_selectorIslEEZNS1_25segmented_radix_sort_implIS3_Lb0EPKsPsPKlPlN2at6native12_GLOBAL__N_18offset_tEEE10hipError_tPvRmT1_PNSt15iterator_traitsISK_E10value_typeET2_T3_PNSL_ISQ_E10value_typeET4_jRbjT5_SW_jjP12ihipStream_tbEUlT_E2_NS1_11comp_targetILNS1_3genE9ELNS1_11target_archE1100ELNS1_3gpuE3ELNS1_3repE0EEENS1_30default_config_static_selectorELNS0_4arch9wavefront6targetE0EEEvSK_.numbered_sgpr, 0
	.set _ZN7rocprim17ROCPRIM_400000_NS6detail17trampoline_kernelINS0_14default_configENS1_36segmented_radix_sort_config_selectorIslEEZNS1_25segmented_radix_sort_implIS3_Lb0EPKsPsPKlPlN2at6native12_GLOBAL__N_18offset_tEEE10hipError_tPvRmT1_PNSt15iterator_traitsISK_E10value_typeET2_T3_PNSL_ISQ_E10value_typeET4_jRbjT5_SW_jjP12ihipStream_tbEUlT_E2_NS1_11comp_targetILNS1_3genE9ELNS1_11target_archE1100ELNS1_3gpuE3ELNS1_3repE0EEENS1_30default_config_static_selectorELNS0_4arch9wavefront6targetE0EEEvSK_.num_named_barrier, 0
	.set _ZN7rocprim17ROCPRIM_400000_NS6detail17trampoline_kernelINS0_14default_configENS1_36segmented_radix_sort_config_selectorIslEEZNS1_25segmented_radix_sort_implIS3_Lb0EPKsPsPKlPlN2at6native12_GLOBAL__N_18offset_tEEE10hipError_tPvRmT1_PNSt15iterator_traitsISK_E10value_typeET2_T3_PNSL_ISQ_E10value_typeET4_jRbjT5_SW_jjP12ihipStream_tbEUlT_E2_NS1_11comp_targetILNS1_3genE9ELNS1_11target_archE1100ELNS1_3gpuE3ELNS1_3repE0EEENS1_30default_config_static_selectorELNS0_4arch9wavefront6targetE0EEEvSK_.private_seg_size, 0
	.set _ZN7rocprim17ROCPRIM_400000_NS6detail17trampoline_kernelINS0_14default_configENS1_36segmented_radix_sort_config_selectorIslEEZNS1_25segmented_radix_sort_implIS3_Lb0EPKsPsPKlPlN2at6native12_GLOBAL__N_18offset_tEEE10hipError_tPvRmT1_PNSt15iterator_traitsISK_E10value_typeET2_T3_PNSL_ISQ_E10value_typeET4_jRbjT5_SW_jjP12ihipStream_tbEUlT_E2_NS1_11comp_targetILNS1_3genE9ELNS1_11target_archE1100ELNS1_3gpuE3ELNS1_3repE0EEENS1_30default_config_static_selectorELNS0_4arch9wavefront6targetE0EEEvSK_.uses_vcc, 0
	.set _ZN7rocprim17ROCPRIM_400000_NS6detail17trampoline_kernelINS0_14default_configENS1_36segmented_radix_sort_config_selectorIslEEZNS1_25segmented_radix_sort_implIS3_Lb0EPKsPsPKlPlN2at6native12_GLOBAL__N_18offset_tEEE10hipError_tPvRmT1_PNSt15iterator_traitsISK_E10value_typeET2_T3_PNSL_ISQ_E10value_typeET4_jRbjT5_SW_jjP12ihipStream_tbEUlT_E2_NS1_11comp_targetILNS1_3genE9ELNS1_11target_archE1100ELNS1_3gpuE3ELNS1_3repE0EEENS1_30default_config_static_selectorELNS0_4arch9wavefront6targetE0EEEvSK_.uses_flat_scratch, 0
	.set _ZN7rocprim17ROCPRIM_400000_NS6detail17trampoline_kernelINS0_14default_configENS1_36segmented_radix_sort_config_selectorIslEEZNS1_25segmented_radix_sort_implIS3_Lb0EPKsPsPKlPlN2at6native12_GLOBAL__N_18offset_tEEE10hipError_tPvRmT1_PNSt15iterator_traitsISK_E10value_typeET2_T3_PNSL_ISQ_E10value_typeET4_jRbjT5_SW_jjP12ihipStream_tbEUlT_E2_NS1_11comp_targetILNS1_3genE9ELNS1_11target_archE1100ELNS1_3gpuE3ELNS1_3repE0EEENS1_30default_config_static_selectorELNS0_4arch9wavefront6targetE0EEEvSK_.has_dyn_sized_stack, 0
	.set _ZN7rocprim17ROCPRIM_400000_NS6detail17trampoline_kernelINS0_14default_configENS1_36segmented_radix_sort_config_selectorIslEEZNS1_25segmented_radix_sort_implIS3_Lb0EPKsPsPKlPlN2at6native12_GLOBAL__N_18offset_tEEE10hipError_tPvRmT1_PNSt15iterator_traitsISK_E10value_typeET2_T3_PNSL_ISQ_E10value_typeET4_jRbjT5_SW_jjP12ihipStream_tbEUlT_E2_NS1_11comp_targetILNS1_3genE9ELNS1_11target_archE1100ELNS1_3gpuE3ELNS1_3repE0EEENS1_30default_config_static_selectorELNS0_4arch9wavefront6targetE0EEEvSK_.has_recursion, 0
	.set _ZN7rocprim17ROCPRIM_400000_NS6detail17trampoline_kernelINS0_14default_configENS1_36segmented_radix_sort_config_selectorIslEEZNS1_25segmented_radix_sort_implIS3_Lb0EPKsPsPKlPlN2at6native12_GLOBAL__N_18offset_tEEE10hipError_tPvRmT1_PNSt15iterator_traitsISK_E10value_typeET2_T3_PNSL_ISQ_E10value_typeET4_jRbjT5_SW_jjP12ihipStream_tbEUlT_E2_NS1_11comp_targetILNS1_3genE9ELNS1_11target_archE1100ELNS1_3gpuE3ELNS1_3repE0EEENS1_30default_config_static_selectorELNS0_4arch9wavefront6targetE0EEEvSK_.has_indirect_call, 0
	.section	.AMDGPU.csdata,"",@progbits
; Kernel info:
; codeLenInByte = 0
; TotalNumSgprs: 0
; NumVgprs: 0
; ScratchSize: 0
; MemoryBound: 0
; FloatMode: 240
; IeeeMode: 1
; LDSByteSize: 0 bytes/workgroup (compile time only)
; SGPRBlocks: 0
; VGPRBlocks: 0
; NumSGPRsForWavesPerEU: 1
; NumVGPRsForWavesPerEU: 1
; Occupancy: 16
; WaveLimiterHint : 0
; COMPUTE_PGM_RSRC2:SCRATCH_EN: 0
; COMPUTE_PGM_RSRC2:USER_SGPR: 2
; COMPUTE_PGM_RSRC2:TRAP_HANDLER: 0
; COMPUTE_PGM_RSRC2:TGID_X_EN: 1
; COMPUTE_PGM_RSRC2:TGID_Y_EN: 0
; COMPUTE_PGM_RSRC2:TGID_Z_EN: 0
; COMPUTE_PGM_RSRC2:TIDIG_COMP_CNT: 0
	.section	.text._ZN7rocprim17ROCPRIM_400000_NS6detail17trampoline_kernelINS0_14default_configENS1_36segmented_radix_sort_config_selectorIslEEZNS1_25segmented_radix_sort_implIS3_Lb0EPKsPsPKlPlN2at6native12_GLOBAL__N_18offset_tEEE10hipError_tPvRmT1_PNSt15iterator_traitsISK_E10value_typeET2_T3_PNSL_ISQ_E10value_typeET4_jRbjT5_SW_jjP12ihipStream_tbEUlT_E2_NS1_11comp_targetILNS1_3genE8ELNS1_11target_archE1030ELNS1_3gpuE2ELNS1_3repE0EEENS1_30default_config_static_selectorELNS0_4arch9wavefront6targetE0EEEvSK_,"axG",@progbits,_ZN7rocprim17ROCPRIM_400000_NS6detail17trampoline_kernelINS0_14default_configENS1_36segmented_radix_sort_config_selectorIslEEZNS1_25segmented_radix_sort_implIS3_Lb0EPKsPsPKlPlN2at6native12_GLOBAL__N_18offset_tEEE10hipError_tPvRmT1_PNSt15iterator_traitsISK_E10value_typeET2_T3_PNSL_ISQ_E10value_typeET4_jRbjT5_SW_jjP12ihipStream_tbEUlT_E2_NS1_11comp_targetILNS1_3genE8ELNS1_11target_archE1030ELNS1_3gpuE2ELNS1_3repE0EEENS1_30default_config_static_selectorELNS0_4arch9wavefront6targetE0EEEvSK_,comdat
	.globl	_ZN7rocprim17ROCPRIM_400000_NS6detail17trampoline_kernelINS0_14default_configENS1_36segmented_radix_sort_config_selectorIslEEZNS1_25segmented_radix_sort_implIS3_Lb0EPKsPsPKlPlN2at6native12_GLOBAL__N_18offset_tEEE10hipError_tPvRmT1_PNSt15iterator_traitsISK_E10value_typeET2_T3_PNSL_ISQ_E10value_typeET4_jRbjT5_SW_jjP12ihipStream_tbEUlT_E2_NS1_11comp_targetILNS1_3genE8ELNS1_11target_archE1030ELNS1_3gpuE2ELNS1_3repE0EEENS1_30default_config_static_selectorELNS0_4arch9wavefront6targetE0EEEvSK_ ; -- Begin function _ZN7rocprim17ROCPRIM_400000_NS6detail17trampoline_kernelINS0_14default_configENS1_36segmented_radix_sort_config_selectorIslEEZNS1_25segmented_radix_sort_implIS3_Lb0EPKsPsPKlPlN2at6native12_GLOBAL__N_18offset_tEEE10hipError_tPvRmT1_PNSt15iterator_traitsISK_E10value_typeET2_T3_PNSL_ISQ_E10value_typeET4_jRbjT5_SW_jjP12ihipStream_tbEUlT_E2_NS1_11comp_targetILNS1_3genE8ELNS1_11target_archE1030ELNS1_3gpuE2ELNS1_3repE0EEENS1_30default_config_static_selectorELNS0_4arch9wavefront6targetE0EEEvSK_
	.p2align	8
	.type	_ZN7rocprim17ROCPRIM_400000_NS6detail17trampoline_kernelINS0_14default_configENS1_36segmented_radix_sort_config_selectorIslEEZNS1_25segmented_radix_sort_implIS3_Lb0EPKsPsPKlPlN2at6native12_GLOBAL__N_18offset_tEEE10hipError_tPvRmT1_PNSt15iterator_traitsISK_E10value_typeET2_T3_PNSL_ISQ_E10value_typeET4_jRbjT5_SW_jjP12ihipStream_tbEUlT_E2_NS1_11comp_targetILNS1_3genE8ELNS1_11target_archE1030ELNS1_3gpuE2ELNS1_3repE0EEENS1_30default_config_static_selectorELNS0_4arch9wavefront6targetE0EEEvSK_,@function
_ZN7rocprim17ROCPRIM_400000_NS6detail17trampoline_kernelINS0_14default_configENS1_36segmented_radix_sort_config_selectorIslEEZNS1_25segmented_radix_sort_implIS3_Lb0EPKsPsPKlPlN2at6native12_GLOBAL__N_18offset_tEEE10hipError_tPvRmT1_PNSt15iterator_traitsISK_E10value_typeET2_T3_PNSL_ISQ_E10value_typeET4_jRbjT5_SW_jjP12ihipStream_tbEUlT_E2_NS1_11comp_targetILNS1_3genE8ELNS1_11target_archE1030ELNS1_3gpuE2ELNS1_3repE0EEENS1_30default_config_static_selectorELNS0_4arch9wavefront6targetE0EEEvSK_: ; @_ZN7rocprim17ROCPRIM_400000_NS6detail17trampoline_kernelINS0_14default_configENS1_36segmented_radix_sort_config_selectorIslEEZNS1_25segmented_radix_sort_implIS3_Lb0EPKsPsPKlPlN2at6native12_GLOBAL__N_18offset_tEEE10hipError_tPvRmT1_PNSt15iterator_traitsISK_E10value_typeET2_T3_PNSL_ISQ_E10value_typeET4_jRbjT5_SW_jjP12ihipStream_tbEUlT_E2_NS1_11comp_targetILNS1_3genE8ELNS1_11target_archE1030ELNS1_3gpuE2ELNS1_3repE0EEENS1_30default_config_static_selectorELNS0_4arch9wavefront6targetE0EEEvSK_
; %bb.0:
	.section	.rodata,"a",@progbits
	.p2align	6, 0x0
	.amdhsa_kernel _ZN7rocprim17ROCPRIM_400000_NS6detail17trampoline_kernelINS0_14default_configENS1_36segmented_radix_sort_config_selectorIslEEZNS1_25segmented_radix_sort_implIS3_Lb0EPKsPsPKlPlN2at6native12_GLOBAL__N_18offset_tEEE10hipError_tPvRmT1_PNSt15iterator_traitsISK_E10value_typeET2_T3_PNSL_ISQ_E10value_typeET4_jRbjT5_SW_jjP12ihipStream_tbEUlT_E2_NS1_11comp_targetILNS1_3genE8ELNS1_11target_archE1030ELNS1_3gpuE2ELNS1_3repE0EEENS1_30default_config_static_selectorELNS0_4arch9wavefront6targetE0EEEvSK_
		.amdhsa_group_segment_fixed_size 0
		.amdhsa_private_segment_fixed_size 0
		.amdhsa_kernarg_size 80
		.amdhsa_user_sgpr_count 2
		.amdhsa_user_sgpr_dispatch_ptr 0
		.amdhsa_user_sgpr_queue_ptr 0
		.amdhsa_user_sgpr_kernarg_segment_ptr 1
		.amdhsa_user_sgpr_dispatch_id 0
		.amdhsa_user_sgpr_private_segment_size 0
		.amdhsa_wavefront_size32 1
		.amdhsa_uses_dynamic_stack 0
		.amdhsa_enable_private_segment 0
		.amdhsa_system_sgpr_workgroup_id_x 1
		.amdhsa_system_sgpr_workgroup_id_y 0
		.amdhsa_system_sgpr_workgroup_id_z 0
		.amdhsa_system_sgpr_workgroup_info 0
		.amdhsa_system_vgpr_workitem_id 0
		.amdhsa_next_free_vgpr 1
		.amdhsa_next_free_sgpr 1
		.amdhsa_reserve_vcc 0
		.amdhsa_float_round_mode_32 0
		.amdhsa_float_round_mode_16_64 0
		.amdhsa_float_denorm_mode_32 3
		.amdhsa_float_denorm_mode_16_64 3
		.amdhsa_fp16_overflow 0
		.amdhsa_workgroup_processor_mode 1
		.amdhsa_memory_ordered 1
		.amdhsa_forward_progress 1
		.amdhsa_inst_pref_size 0
		.amdhsa_round_robin_scheduling 0
		.amdhsa_exception_fp_ieee_invalid_op 0
		.amdhsa_exception_fp_denorm_src 0
		.amdhsa_exception_fp_ieee_div_zero 0
		.amdhsa_exception_fp_ieee_overflow 0
		.amdhsa_exception_fp_ieee_underflow 0
		.amdhsa_exception_fp_ieee_inexact 0
		.amdhsa_exception_int_div_zero 0
	.end_amdhsa_kernel
	.section	.text._ZN7rocprim17ROCPRIM_400000_NS6detail17trampoline_kernelINS0_14default_configENS1_36segmented_radix_sort_config_selectorIslEEZNS1_25segmented_radix_sort_implIS3_Lb0EPKsPsPKlPlN2at6native12_GLOBAL__N_18offset_tEEE10hipError_tPvRmT1_PNSt15iterator_traitsISK_E10value_typeET2_T3_PNSL_ISQ_E10value_typeET4_jRbjT5_SW_jjP12ihipStream_tbEUlT_E2_NS1_11comp_targetILNS1_3genE8ELNS1_11target_archE1030ELNS1_3gpuE2ELNS1_3repE0EEENS1_30default_config_static_selectorELNS0_4arch9wavefront6targetE0EEEvSK_,"axG",@progbits,_ZN7rocprim17ROCPRIM_400000_NS6detail17trampoline_kernelINS0_14default_configENS1_36segmented_radix_sort_config_selectorIslEEZNS1_25segmented_radix_sort_implIS3_Lb0EPKsPsPKlPlN2at6native12_GLOBAL__N_18offset_tEEE10hipError_tPvRmT1_PNSt15iterator_traitsISK_E10value_typeET2_T3_PNSL_ISQ_E10value_typeET4_jRbjT5_SW_jjP12ihipStream_tbEUlT_E2_NS1_11comp_targetILNS1_3genE8ELNS1_11target_archE1030ELNS1_3gpuE2ELNS1_3repE0EEENS1_30default_config_static_selectorELNS0_4arch9wavefront6targetE0EEEvSK_,comdat
.Lfunc_end1052:
	.size	_ZN7rocprim17ROCPRIM_400000_NS6detail17trampoline_kernelINS0_14default_configENS1_36segmented_radix_sort_config_selectorIslEEZNS1_25segmented_radix_sort_implIS3_Lb0EPKsPsPKlPlN2at6native12_GLOBAL__N_18offset_tEEE10hipError_tPvRmT1_PNSt15iterator_traitsISK_E10value_typeET2_T3_PNSL_ISQ_E10value_typeET4_jRbjT5_SW_jjP12ihipStream_tbEUlT_E2_NS1_11comp_targetILNS1_3genE8ELNS1_11target_archE1030ELNS1_3gpuE2ELNS1_3repE0EEENS1_30default_config_static_selectorELNS0_4arch9wavefront6targetE0EEEvSK_, .Lfunc_end1052-_ZN7rocprim17ROCPRIM_400000_NS6detail17trampoline_kernelINS0_14default_configENS1_36segmented_radix_sort_config_selectorIslEEZNS1_25segmented_radix_sort_implIS3_Lb0EPKsPsPKlPlN2at6native12_GLOBAL__N_18offset_tEEE10hipError_tPvRmT1_PNSt15iterator_traitsISK_E10value_typeET2_T3_PNSL_ISQ_E10value_typeET4_jRbjT5_SW_jjP12ihipStream_tbEUlT_E2_NS1_11comp_targetILNS1_3genE8ELNS1_11target_archE1030ELNS1_3gpuE2ELNS1_3repE0EEENS1_30default_config_static_selectorELNS0_4arch9wavefront6targetE0EEEvSK_
                                        ; -- End function
	.set _ZN7rocprim17ROCPRIM_400000_NS6detail17trampoline_kernelINS0_14default_configENS1_36segmented_radix_sort_config_selectorIslEEZNS1_25segmented_radix_sort_implIS3_Lb0EPKsPsPKlPlN2at6native12_GLOBAL__N_18offset_tEEE10hipError_tPvRmT1_PNSt15iterator_traitsISK_E10value_typeET2_T3_PNSL_ISQ_E10value_typeET4_jRbjT5_SW_jjP12ihipStream_tbEUlT_E2_NS1_11comp_targetILNS1_3genE8ELNS1_11target_archE1030ELNS1_3gpuE2ELNS1_3repE0EEENS1_30default_config_static_selectorELNS0_4arch9wavefront6targetE0EEEvSK_.num_vgpr, 0
	.set _ZN7rocprim17ROCPRIM_400000_NS6detail17trampoline_kernelINS0_14default_configENS1_36segmented_radix_sort_config_selectorIslEEZNS1_25segmented_radix_sort_implIS3_Lb0EPKsPsPKlPlN2at6native12_GLOBAL__N_18offset_tEEE10hipError_tPvRmT1_PNSt15iterator_traitsISK_E10value_typeET2_T3_PNSL_ISQ_E10value_typeET4_jRbjT5_SW_jjP12ihipStream_tbEUlT_E2_NS1_11comp_targetILNS1_3genE8ELNS1_11target_archE1030ELNS1_3gpuE2ELNS1_3repE0EEENS1_30default_config_static_selectorELNS0_4arch9wavefront6targetE0EEEvSK_.num_agpr, 0
	.set _ZN7rocprim17ROCPRIM_400000_NS6detail17trampoline_kernelINS0_14default_configENS1_36segmented_radix_sort_config_selectorIslEEZNS1_25segmented_radix_sort_implIS3_Lb0EPKsPsPKlPlN2at6native12_GLOBAL__N_18offset_tEEE10hipError_tPvRmT1_PNSt15iterator_traitsISK_E10value_typeET2_T3_PNSL_ISQ_E10value_typeET4_jRbjT5_SW_jjP12ihipStream_tbEUlT_E2_NS1_11comp_targetILNS1_3genE8ELNS1_11target_archE1030ELNS1_3gpuE2ELNS1_3repE0EEENS1_30default_config_static_selectorELNS0_4arch9wavefront6targetE0EEEvSK_.numbered_sgpr, 0
	.set _ZN7rocprim17ROCPRIM_400000_NS6detail17trampoline_kernelINS0_14default_configENS1_36segmented_radix_sort_config_selectorIslEEZNS1_25segmented_radix_sort_implIS3_Lb0EPKsPsPKlPlN2at6native12_GLOBAL__N_18offset_tEEE10hipError_tPvRmT1_PNSt15iterator_traitsISK_E10value_typeET2_T3_PNSL_ISQ_E10value_typeET4_jRbjT5_SW_jjP12ihipStream_tbEUlT_E2_NS1_11comp_targetILNS1_3genE8ELNS1_11target_archE1030ELNS1_3gpuE2ELNS1_3repE0EEENS1_30default_config_static_selectorELNS0_4arch9wavefront6targetE0EEEvSK_.num_named_barrier, 0
	.set _ZN7rocprim17ROCPRIM_400000_NS6detail17trampoline_kernelINS0_14default_configENS1_36segmented_radix_sort_config_selectorIslEEZNS1_25segmented_radix_sort_implIS3_Lb0EPKsPsPKlPlN2at6native12_GLOBAL__N_18offset_tEEE10hipError_tPvRmT1_PNSt15iterator_traitsISK_E10value_typeET2_T3_PNSL_ISQ_E10value_typeET4_jRbjT5_SW_jjP12ihipStream_tbEUlT_E2_NS1_11comp_targetILNS1_3genE8ELNS1_11target_archE1030ELNS1_3gpuE2ELNS1_3repE0EEENS1_30default_config_static_selectorELNS0_4arch9wavefront6targetE0EEEvSK_.private_seg_size, 0
	.set _ZN7rocprim17ROCPRIM_400000_NS6detail17trampoline_kernelINS0_14default_configENS1_36segmented_radix_sort_config_selectorIslEEZNS1_25segmented_radix_sort_implIS3_Lb0EPKsPsPKlPlN2at6native12_GLOBAL__N_18offset_tEEE10hipError_tPvRmT1_PNSt15iterator_traitsISK_E10value_typeET2_T3_PNSL_ISQ_E10value_typeET4_jRbjT5_SW_jjP12ihipStream_tbEUlT_E2_NS1_11comp_targetILNS1_3genE8ELNS1_11target_archE1030ELNS1_3gpuE2ELNS1_3repE0EEENS1_30default_config_static_selectorELNS0_4arch9wavefront6targetE0EEEvSK_.uses_vcc, 0
	.set _ZN7rocprim17ROCPRIM_400000_NS6detail17trampoline_kernelINS0_14default_configENS1_36segmented_radix_sort_config_selectorIslEEZNS1_25segmented_radix_sort_implIS3_Lb0EPKsPsPKlPlN2at6native12_GLOBAL__N_18offset_tEEE10hipError_tPvRmT1_PNSt15iterator_traitsISK_E10value_typeET2_T3_PNSL_ISQ_E10value_typeET4_jRbjT5_SW_jjP12ihipStream_tbEUlT_E2_NS1_11comp_targetILNS1_3genE8ELNS1_11target_archE1030ELNS1_3gpuE2ELNS1_3repE0EEENS1_30default_config_static_selectorELNS0_4arch9wavefront6targetE0EEEvSK_.uses_flat_scratch, 0
	.set _ZN7rocprim17ROCPRIM_400000_NS6detail17trampoline_kernelINS0_14default_configENS1_36segmented_radix_sort_config_selectorIslEEZNS1_25segmented_radix_sort_implIS3_Lb0EPKsPsPKlPlN2at6native12_GLOBAL__N_18offset_tEEE10hipError_tPvRmT1_PNSt15iterator_traitsISK_E10value_typeET2_T3_PNSL_ISQ_E10value_typeET4_jRbjT5_SW_jjP12ihipStream_tbEUlT_E2_NS1_11comp_targetILNS1_3genE8ELNS1_11target_archE1030ELNS1_3gpuE2ELNS1_3repE0EEENS1_30default_config_static_selectorELNS0_4arch9wavefront6targetE0EEEvSK_.has_dyn_sized_stack, 0
	.set _ZN7rocprim17ROCPRIM_400000_NS6detail17trampoline_kernelINS0_14default_configENS1_36segmented_radix_sort_config_selectorIslEEZNS1_25segmented_radix_sort_implIS3_Lb0EPKsPsPKlPlN2at6native12_GLOBAL__N_18offset_tEEE10hipError_tPvRmT1_PNSt15iterator_traitsISK_E10value_typeET2_T3_PNSL_ISQ_E10value_typeET4_jRbjT5_SW_jjP12ihipStream_tbEUlT_E2_NS1_11comp_targetILNS1_3genE8ELNS1_11target_archE1030ELNS1_3gpuE2ELNS1_3repE0EEENS1_30default_config_static_selectorELNS0_4arch9wavefront6targetE0EEEvSK_.has_recursion, 0
	.set _ZN7rocprim17ROCPRIM_400000_NS6detail17trampoline_kernelINS0_14default_configENS1_36segmented_radix_sort_config_selectorIslEEZNS1_25segmented_radix_sort_implIS3_Lb0EPKsPsPKlPlN2at6native12_GLOBAL__N_18offset_tEEE10hipError_tPvRmT1_PNSt15iterator_traitsISK_E10value_typeET2_T3_PNSL_ISQ_E10value_typeET4_jRbjT5_SW_jjP12ihipStream_tbEUlT_E2_NS1_11comp_targetILNS1_3genE8ELNS1_11target_archE1030ELNS1_3gpuE2ELNS1_3repE0EEENS1_30default_config_static_selectorELNS0_4arch9wavefront6targetE0EEEvSK_.has_indirect_call, 0
	.section	.AMDGPU.csdata,"",@progbits
; Kernel info:
; codeLenInByte = 0
; TotalNumSgprs: 0
; NumVgprs: 0
; ScratchSize: 0
; MemoryBound: 0
; FloatMode: 240
; IeeeMode: 1
; LDSByteSize: 0 bytes/workgroup (compile time only)
; SGPRBlocks: 0
; VGPRBlocks: 0
; NumSGPRsForWavesPerEU: 1
; NumVGPRsForWavesPerEU: 1
; Occupancy: 16
; WaveLimiterHint : 0
; COMPUTE_PGM_RSRC2:SCRATCH_EN: 0
; COMPUTE_PGM_RSRC2:USER_SGPR: 2
; COMPUTE_PGM_RSRC2:TRAP_HANDLER: 0
; COMPUTE_PGM_RSRC2:TGID_X_EN: 1
; COMPUTE_PGM_RSRC2:TGID_Y_EN: 0
; COMPUTE_PGM_RSRC2:TGID_Z_EN: 0
; COMPUTE_PGM_RSRC2:TIDIG_COMP_CNT: 0
	.section	.text._ZN2at6native12_GLOBAL__N_123sort_postprocess_kernelIdEEvPKT_PS3_PlPK15HIP_vector_typeIiLj2EEii,"axG",@progbits,_ZN2at6native12_GLOBAL__N_123sort_postprocess_kernelIdEEvPKT_PS3_PlPK15HIP_vector_typeIiLj2EEii,comdat
	.globl	_ZN2at6native12_GLOBAL__N_123sort_postprocess_kernelIdEEvPKT_PS3_PlPK15HIP_vector_typeIiLj2EEii ; -- Begin function _ZN2at6native12_GLOBAL__N_123sort_postprocess_kernelIdEEvPKT_PS3_PlPK15HIP_vector_typeIiLj2EEii
	.p2align	8
	.type	_ZN2at6native12_GLOBAL__N_123sort_postprocess_kernelIdEEvPKT_PS3_PlPK15HIP_vector_typeIiLj2EEii,@function
_ZN2at6native12_GLOBAL__N_123sort_postprocess_kernelIdEEvPKT_PS3_PlPK15HIP_vector_typeIiLj2EEii: ; @_ZN2at6native12_GLOBAL__N_123sort_postprocess_kernelIdEEvPKT_PS3_PlPK15HIP_vector_typeIiLj2EEii
; %bb.0:
	s_clause 0x1
	s_load_b32 s6, s[0:1], 0x34
	s_load_b64 s[4:5], s[0:1], 0x20
	s_mov_b32 s3, 0
	s_mov_b32 s2, ttmp9
	s_mov_b32 s17, s3
	s_wait_kmcnt 0x0
	s_and_b32 s16, s6, 0xffff
	s_mul_i32 s14, s5, s4
	s_mul_u64 s[12:13], s[16:17], s[2:3]
	s_ashr_i32 s15, s14, 31
	v_add_co_u32 v1, s2, s12, v0
	s_delay_alu instid0(VALU_DEP_1) | instskip(NEXT) | instid1(VALU_DEP_1)
	v_add_co_ci_u32_e64 v2, null, s13, 0, s2
	v_cmp_gt_i64_e32 vcc_lo, s[14:15], v[1:2]
	v_mov_b32_e32 v1, 0
	s_and_saveexec_b32 s2, vcc_lo
	s_cbranch_execz .LBB1053_3
; %bb.1:
	s_abs_i32 s2, s5
	s_wait_alu 0xfffe
	s_cvt_f32_u32 s4, s2
	s_delay_alu instid0(SALU_CYCLE_3) | instskip(SKIP_4) | instid1(TRANS32_DEP_1)
	v_rcp_iflag_f32_e32 v2, s4
	s_add_nc_u64 s[4:5], s[0:1], 40
	s_load_b32 s17, s[4:5], 0x0
	s_load_b256 s[4:11], s[0:1], 0x0
	s_sub_co_i32 s1, 0, s2
	v_readfirstlane_b32 s0, v2
	s_mul_f32 s0, s0, 0x4f7ffffe
	s_delay_alu instid0(SALU_CYCLE_3) | instskip(NEXT) | instid1(SALU_CYCLE_3)
	s_cvt_u32_f32 s0, s0
	s_mul_i32 s1, s1, s0
	s_delay_alu instid0(SALU_CYCLE_1)
	s_mul_hi_u32 s18, s0, s1
	s_wait_kmcnt 0x0
	s_mul_i32 s1, s17, s16
	s_add_co_i32 s17, s0, s18
	s_mul_i32 s16, ttmp9, s16
.LBB1053_2:                             ; =>This Inner Loop Header: Depth=1
	s_delay_alu instid0(SALU_CYCLE_1) | instskip(NEXT) | instid1(VALU_DEP_1)
	v_add_nc_u32_e32 v2, s16, v0
	v_sub_nc_u32_e32 v3, 0, v2
	v_ashrrev_i32_e32 v5, 31, v2
	s_delay_alu instid0(VALU_DEP_2) | instskip(NEXT) | instid1(VALU_DEP_1)
	v_max_i32_e32 v3, v2, v3
	v_mul_hi_u32 v4, v3, s17
	s_delay_alu instid0(VALU_DEP_1) | instskip(NEXT) | instid1(VALU_DEP_1)
	v_mul_lo_u32 v4, v4, s2
	v_sub_nc_u32_e32 v3, v3, v4
	s_delay_alu instid0(VALU_DEP_1) | instskip(SKIP_2) | instid1(VALU_DEP_2)
	v_subrev_nc_u32_e32 v4, s2, v3
	v_cmp_le_u32_e32 vcc_lo, s2, v3
	s_wait_alu 0xfffd
	v_dual_cndmask_b32 v3, v3, v4 :: v_dual_add_nc_u32 v2, v2, v5
	s_delay_alu instid0(VALU_DEP_1) | instskip(SKIP_2) | instid1(VALU_DEP_2)
	v_subrev_nc_u32_e32 v4, s2, v3
	v_cmp_le_u32_e32 vcc_lo, s2, v3
	s_wait_alu 0xfffd
	v_cndmask_b32_e32 v3, v3, v4, vcc_lo
	s_delay_alu instid0(VALU_DEP_1) | instskip(NEXT) | instid1(VALU_DEP_1)
	v_xor_b32_e32 v3, v3, v5
	v_sub_nc_u32_e32 v2, v2, v3
	v_sub_nc_u32_e32 v4, v3, v5
	s_delay_alu instid0(VALU_DEP_2) | instskip(NEXT) | instid1(VALU_DEP_2)
	v_ashrrev_i32_e32 v3, 31, v2
	v_ashrrev_i32_e32 v5, 31, v4
	s_delay_alu instid0(VALU_DEP_2) | instskip(NEXT) | instid1(VALU_DEP_2)
	v_lshlrev_b64_e32 v[2:3], 3, v[2:3]
	v_lshlrev_b64_e32 v[4:5], 3, v[4:5]
	s_delay_alu instid0(VALU_DEP_2) | instskip(SKIP_1) | instid1(VALU_DEP_3)
	v_add_co_u32 v6, vcc_lo, s10, v2
	s_wait_alu 0xfffd
	v_add_co_ci_u32_e64 v7, null, s11, v3, vcc_lo
	s_delay_alu instid0(VALU_DEP_2) | instskip(SKIP_1) | instid1(VALU_DEP_2)
	v_add_co_u32 v6, vcc_lo, v6, v4
	s_wait_alu 0xfffd
	v_add_co_ci_u32_e64 v7, null, v7, v5, vcc_lo
	v_add_co_u32 v10, vcc_lo, s4, v2
	s_wait_alu 0xfffd
	v_add_co_ci_u32_e64 v11, null, s5, v3, vcc_lo
	global_load_b32 v6, v[6:7], off offset:4
	s_wait_loadcnt 0x0
	v_ashrrev_i32_e32 v7, 31, v6
	s_delay_alu instid0(VALU_DEP_1) | instskip(NEXT) | instid1(VALU_DEP_1)
	v_lshlrev_b64_e32 v[8:9], 3, v[6:7]
	v_add_co_u32 v8, vcc_lo, v10, v8
	s_wait_alu 0xfffd
	s_delay_alu instid0(VALU_DEP_2)
	v_add_co_ci_u32_e64 v9, null, v11, v9, vcc_lo
	v_add_co_u32 v0, vcc_lo, v0, s1
	s_wait_alu 0xfffd
	v_add_co_ci_u32_e64 v1, null, 0, v1, vcc_lo
	global_load_b64 v[8:9], v[8:9], off
	v_add_co_u32 v10, vcc_lo, s12, v0
	s_wait_alu 0xfffd
	v_add_co_ci_u32_e64 v11, null, s13, v1, vcc_lo
	s_delay_alu instid0(VALU_DEP_1)
	v_cmp_le_i64_e32 vcc_lo, s[14:15], v[10:11]
	v_add_co_u32 v10, s0, s8, v2
	s_wait_alu 0xf1ff
	v_add_co_ci_u32_e64 v11, null, s9, v3, s0
	v_add_co_u32 v12, s0, s6, v2
	s_wait_alu 0xf1ff
	v_add_co_ci_u32_e64 v13, null, s7, v3, s0
	;; [unrolled: 3-line block ×4, first 2 shown]
	s_or_b32 s3, vcc_lo, s3
	global_store_b64 v[2:3], v[6:7], off
	s_wait_loadcnt 0x0
	global_store_b64 v[4:5], v[8:9], off
	s_wait_alu 0xfffe
	s_and_not1_b32 exec_lo, exec_lo, s3
	s_cbranch_execnz .LBB1053_2
.LBB1053_3:
	s_endpgm
	.section	.rodata,"a",@progbits
	.p2align	6, 0x0
	.amdhsa_kernel _ZN2at6native12_GLOBAL__N_123sort_postprocess_kernelIdEEvPKT_PS3_PlPK15HIP_vector_typeIiLj2EEii
		.amdhsa_group_segment_fixed_size 0
		.amdhsa_private_segment_fixed_size 0
		.amdhsa_kernarg_size 296
		.amdhsa_user_sgpr_count 2
		.amdhsa_user_sgpr_dispatch_ptr 0
		.amdhsa_user_sgpr_queue_ptr 0
		.amdhsa_user_sgpr_kernarg_segment_ptr 1
		.amdhsa_user_sgpr_dispatch_id 0
		.amdhsa_user_sgpr_private_segment_size 0
		.amdhsa_wavefront_size32 1
		.amdhsa_uses_dynamic_stack 0
		.amdhsa_enable_private_segment 0
		.amdhsa_system_sgpr_workgroup_id_x 1
		.amdhsa_system_sgpr_workgroup_id_y 0
		.amdhsa_system_sgpr_workgroup_id_z 0
		.amdhsa_system_sgpr_workgroup_info 0
		.amdhsa_system_vgpr_workitem_id 0
		.amdhsa_next_free_vgpr 14
		.amdhsa_next_free_sgpr 19
		.amdhsa_reserve_vcc 1
		.amdhsa_float_round_mode_32 0
		.amdhsa_float_round_mode_16_64 0
		.amdhsa_float_denorm_mode_32 3
		.amdhsa_float_denorm_mode_16_64 3
		.amdhsa_fp16_overflow 0
		.amdhsa_workgroup_processor_mode 1
		.amdhsa_memory_ordered 1
		.amdhsa_forward_progress 1
		.amdhsa_inst_pref_size 5
		.amdhsa_round_robin_scheduling 0
		.amdhsa_exception_fp_ieee_invalid_op 0
		.amdhsa_exception_fp_denorm_src 0
		.amdhsa_exception_fp_ieee_div_zero 0
		.amdhsa_exception_fp_ieee_overflow 0
		.amdhsa_exception_fp_ieee_underflow 0
		.amdhsa_exception_fp_ieee_inexact 0
		.amdhsa_exception_int_div_zero 0
	.end_amdhsa_kernel
	.section	.text._ZN2at6native12_GLOBAL__N_123sort_postprocess_kernelIdEEvPKT_PS3_PlPK15HIP_vector_typeIiLj2EEii,"axG",@progbits,_ZN2at6native12_GLOBAL__N_123sort_postprocess_kernelIdEEvPKT_PS3_PlPK15HIP_vector_typeIiLj2EEii,comdat
.Lfunc_end1053:
	.size	_ZN2at6native12_GLOBAL__N_123sort_postprocess_kernelIdEEvPKT_PS3_PlPK15HIP_vector_typeIiLj2EEii, .Lfunc_end1053-_ZN2at6native12_GLOBAL__N_123sort_postprocess_kernelIdEEvPKT_PS3_PlPK15HIP_vector_typeIiLj2EEii
                                        ; -- End function
	.set _ZN2at6native12_GLOBAL__N_123sort_postprocess_kernelIdEEvPKT_PS3_PlPK15HIP_vector_typeIiLj2EEii.num_vgpr, 14
	.set _ZN2at6native12_GLOBAL__N_123sort_postprocess_kernelIdEEvPKT_PS3_PlPK15HIP_vector_typeIiLj2EEii.num_agpr, 0
	.set _ZN2at6native12_GLOBAL__N_123sort_postprocess_kernelIdEEvPKT_PS3_PlPK15HIP_vector_typeIiLj2EEii.numbered_sgpr, 19
	.set _ZN2at6native12_GLOBAL__N_123sort_postprocess_kernelIdEEvPKT_PS3_PlPK15HIP_vector_typeIiLj2EEii.num_named_barrier, 0
	.set _ZN2at6native12_GLOBAL__N_123sort_postprocess_kernelIdEEvPKT_PS3_PlPK15HIP_vector_typeIiLj2EEii.private_seg_size, 0
	.set _ZN2at6native12_GLOBAL__N_123sort_postprocess_kernelIdEEvPKT_PS3_PlPK15HIP_vector_typeIiLj2EEii.uses_vcc, 1
	.set _ZN2at6native12_GLOBAL__N_123sort_postprocess_kernelIdEEvPKT_PS3_PlPK15HIP_vector_typeIiLj2EEii.uses_flat_scratch, 0
	.set _ZN2at6native12_GLOBAL__N_123sort_postprocess_kernelIdEEvPKT_PS3_PlPK15HIP_vector_typeIiLj2EEii.has_dyn_sized_stack, 0
	.set _ZN2at6native12_GLOBAL__N_123sort_postprocess_kernelIdEEvPKT_PS3_PlPK15HIP_vector_typeIiLj2EEii.has_recursion, 0
	.set _ZN2at6native12_GLOBAL__N_123sort_postprocess_kernelIdEEvPKT_PS3_PlPK15HIP_vector_typeIiLj2EEii.has_indirect_call, 0
	.section	.AMDGPU.csdata,"",@progbits
; Kernel info:
; codeLenInByte = 624
; TotalNumSgprs: 21
; NumVgprs: 14
; ScratchSize: 0
; MemoryBound: 0
; FloatMode: 240
; IeeeMode: 1
; LDSByteSize: 0 bytes/workgroup (compile time only)
; SGPRBlocks: 0
; VGPRBlocks: 1
; NumSGPRsForWavesPerEU: 21
; NumVGPRsForWavesPerEU: 14
; Occupancy: 16
; WaveLimiterHint : 1
; COMPUTE_PGM_RSRC2:SCRATCH_EN: 0
; COMPUTE_PGM_RSRC2:USER_SGPR: 2
; COMPUTE_PGM_RSRC2:TRAP_HANDLER: 0
; COMPUTE_PGM_RSRC2:TGID_X_EN: 1
; COMPUTE_PGM_RSRC2:TGID_Y_EN: 0
; COMPUTE_PGM_RSRC2:TGID_Z_EN: 0
; COMPUTE_PGM_RSRC2:TIDIG_COMP_CNT: 0
	.section	.text._ZN7rocprim17ROCPRIM_400000_NS6detail17trampoline_kernelINS0_13select_configILj256ELj13ELNS0_17block_load_methodE3ELS4_3ELS4_3ELNS0_20block_scan_algorithmE0ELj4294967295EEENS1_25partition_config_selectorILNS1_17partition_subalgoE4EjNS0_10empty_typeEbEEZZNS1_14partition_implILS8_4ELb0ES6_15HIP_vector_typeIjLj2EENS0_17counting_iteratorIjlEEPS9_SG_NS0_5tupleIJPjSI_NS0_16reverse_iteratorISI_EEEEENSH_IJSG_SG_SG_EEES9_SI_JZNS1_25segmented_radix_sort_implINS0_14default_configELb1EPKdPdPKlPlN2at6native12_GLOBAL__N_18offset_tEEE10hipError_tPvRmT1_PNSt15iterator_traitsIS12_E10value_typeET2_T3_PNS13_IS18_E10value_typeET4_jRbjT5_S1E_jjP12ihipStream_tbEUljE_ZNSN_ISO_Lb1ESQ_SR_ST_SU_SY_EESZ_S10_S11_S12_S16_S17_S18_S1B_S1C_jS1D_jS1E_S1E_jjS1G_bEUljE0_EEESZ_S10_S11_S18_S1C_S1E_T6_T7_T9_mT8_S1G_bDpT10_ENKUlT_T0_E_clISt17integral_constantIbLb0EES1U_EEDaS1P_S1Q_EUlS1P_E_NS1_11comp_targetILNS1_3genE0ELNS1_11target_archE4294967295ELNS1_3gpuE0ELNS1_3repE0EEENS1_30default_config_static_selectorELNS0_4arch9wavefront6targetE0EEEvS12_,"axG",@progbits,_ZN7rocprim17ROCPRIM_400000_NS6detail17trampoline_kernelINS0_13select_configILj256ELj13ELNS0_17block_load_methodE3ELS4_3ELS4_3ELNS0_20block_scan_algorithmE0ELj4294967295EEENS1_25partition_config_selectorILNS1_17partition_subalgoE4EjNS0_10empty_typeEbEEZZNS1_14partition_implILS8_4ELb0ES6_15HIP_vector_typeIjLj2EENS0_17counting_iteratorIjlEEPS9_SG_NS0_5tupleIJPjSI_NS0_16reverse_iteratorISI_EEEEENSH_IJSG_SG_SG_EEES9_SI_JZNS1_25segmented_radix_sort_implINS0_14default_configELb1EPKdPdPKlPlN2at6native12_GLOBAL__N_18offset_tEEE10hipError_tPvRmT1_PNSt15iterator_traitsIS12_E10value_typeET2_T3_PNS13_IS18_E10value_typeET4_jRbjT5_S1E_jjP12ihipStream_tbEUljE_ZNSN_ISO_Lb1ESQ_SR_ST_SU_SY_EESZ_S10_S11_S12_S16_S17_S18_S1B_S1C_jS1D_jS1E_S1E_jjS1G_bEUljE0_EEESZ_S10_S11_S18_S1C_S1E_T6_T7_T9_mT8_S1G_bDpT10_ENKUlT_T0_E_clISt17integral_constantIbLb0EES1U_EEDaS1P_S1Q_EUlS1P_E_NS1_11comp_targetILNS1_3genE0ELNS1_11target_archE4294967295ELNS1_3gpuE0ELNS1_3repE0EEENS1_30default_config_static_selectorELNS0_4arch9wavefront6targetE0EEEvS12_,comdat
	.globl	_ZN7rocprim17ROCPRIM_400000_NS6detail17trampoline_kernelINS0_13select_configILj256ELj13ELNS0_17block_load_methodE3ELS4_3ELS4_3ELNS0_20block_scan_algorithmE0ELj4294967295EEENS1_25partition_config_selectorILNS1_17partition_subalgoE4EjNS0_10empty_typeEbEEZZNS1_14partition_implILS8_4ELb0ES6_15HIP_vector_typeIjLj2EENS0_17counting_iteratorIjlEEPS9_SG_NS0_5tupleIJPjSI_NS0_16reverse_iteratorISI_EEEEENSH_IJSG_SG_SG_EEES9_SI_JZNS1_25segmented_radix_sort_implINS0_14default_configELb1EPKdPdPKlPlN2at6native12_GLOBAL__N_18offset_tEEE10hipError_tPvRmT1_PNSt15iterator_traitsIS12_E10value_typeET2_T3_PNS13_IS18_E10value_typeET4_jRbjT5_S1E_jjP12ihipStream_tbEUljE_ZNSN_ISO_Lb1ESQ_SR_ST_SU_SY_EESZ_S10_S11_S12_S16_S17_S18_S1B_S1C_jS1D_jS1E_S1E_jjS1G_bEUljE0_EEESZ_S10_S11_S18_S1C_S1E_T6_T7_T9_mT8_S1G_bDpT10_ENKUlT_T0_E_clISt17integral_constantIbLb0EES1U_EEDaS1P_S1Q_EUlS1P_E_NS1_11comp_targetILNS1_3genE0ELNS1_11target_archE4294967295ELNS1_3gpuE0ELNS1_3repE0EEENS1_30default_config_static_selectorELNS0_4arch9wavefront6targetE0EEEvS12_ ; -- Begin function _ZN7rocprim17ROCPRIM_400000_NS6detail17trampoline_kernelINS0_13select_configILj256ELj13ELNS0_17block_load_methodE3ELS4_3ELS4_3ELNS0_20block_scan_algorithmE0ELj4294967295EEENS1_25partition_config_selectorILNS1_17partition_subalgoE4EjNS0_10empty_typeEbEEZZNS1_14partition_implILS8_4ELb0ES6_15HIP_vector_typeIjLj2EENS0_17counting_iteratorIjlEEPS9_SG_NS0_5tupleIJPjSI_NS0_16reverse_iteratorISI_EEEEENSH_IJSG_SG_SG_EEES9_SI_JZNS1_25segmented_radix_sort_implINS0_14default_configELb1EPKdPdPKlPlN2at6native12_GLOBAL__N_18offset_tEEE10hipError_tPvRmT1_PNSt15iterator_traitsIS12_E10value_typeET2_T3_PNS13_IS18_E10value_typeET4_jRbjT5_S1E_jjP12ihipStream_tbEUljE_ZNSN_ISO_Lb1ESQ_SR_ST_SU_SY_EESZ_S10_S11_S12_S16_S17_S18_S1B_S1C_jS1D_jS1E_S1E_jjS1G_bEUljE0_EEESZ_S10_S11_S18_S1C_S1E_T6_T7_T9_mT8_S1G_bDpT10_ENKUlT_T0_E_clISt17integral_constantIbLb0EES1U_EEDaS1P_S1Q_EUlS1P_E_NS1_11comp_targetILNS1_3genE0ELNS1_11target_archE4294967295ELNS1_3gpuE0ELNS1_3repE0EEENS1_30default_config_static_selectorELNS0_4arch9wavefront6targetE0EEEvS12_
	.p2align	8
	.type	_ZN7rocprim17ROCPRIM_400000_NS6detail17trampoline_kernelINS0_13select_configILj256ELj13ELNS0_17block_load_methodE3ELS4_3ELS4_3ELNS0_20block_scan_algorithmE0ELj4294967295EEENS1_25partition_config_selectorILNS1_17partition_subalgoE4EjNS0_10empty_typeEbEEZZNS1_14partition_implILS8_4ELb0ES6_15HIP_vector_typeIjLj2EENS0_17counting_iteratorIjlEEPS9_SG_NS0_5tupleIJPjSI_NS0_16reverse_iteratorISI_EEEEENSH_IJSG_SG_SG_EEES9_SI_JZNS1_25segmented_radix_sort_implINS0_14default_configELb1EPKdPdPKlPlN2at6native12_GLOBAL__N_18offset_tEEE10hipError_tPvRmT1_PNSt15iterator_traitsIS12_E10value_typeET2_T3_PNS13_IS18_E10value_typeET4_jRbjT5_S1E_jjP12ihipStream_tbEUljE_ZNSN_ISO_Lb1ESQ_SR_ST_SU_SY_EESZ_S10_S11_S12_S16_S17_S18_S1B_S1C_jS1D_jS1E_S1E_jjS1G_bEUljE0_EEESZ_S10_S11_S18_S1C_S1E_T6_T7_T9_mT8_S1G_bDpT10_ENKUlT_T0_E_clISt17integral_constantIbLb0EES1U_EEDaS1P_S1Q_EUlS1P_E_NS1_11comp_targetILNS1_3genE0ELNS1_11target_archE4294967295ELNS1_3gpuE0ELNS1_3repE0EEENS1_30default_config_static_selectorELNS0_4arch9wavefront6targetE0EEEvS12_,@function
_ZN7rocprim17ROCPRIM_400000_NS6detail17trampoline_kernelINS0_13select_configILj256ELj13ELNS0_17block_load_methodE3ELS4_3ELS4_3ELNS0_20block_scan_algorithmE0ELj4294967295EEENS1_25partition_config_selectorILNS1_17partition_subalgoE4EjNS0_10empty_typeEbEEZZNS1_14partition_implILS8_4ELb0ES6_15HIP_vector_typeIjLj2EENS0_17counting_iteratorIjlEEPS9_SG_NS0_5tupleIJPjSI_NS0_16reverse_iteratorISI_EEEEENSH_IJSG_SG_SG_EEES9_SI_JZNS1_25segmented_radix_sort_implINS0_14default_configELb1EPKdPdPKlPlN2at6native12_GLOBAL__N_18offset_tEEE10hipError_tPvRmT1_PNSt15iterator_traitsIS12_E10value_typeET2_T3_PNS13_IS18_E10value_typeET4_jRbjT5_S1E_jjP12ihipStream_tbEUljE_ZNSN_ISO_Lb1ESQ_SR_ST_SU_SY_EESZ_S10_S11_S12_S16_S17_S18_S1B_S1C_jS1D_jS1E_S1E_jjS1G_bEUljE0_EEESZ_S10_S11_S18_S1C_S1E_T6_T7_T9_mT8_S1G_bDpT10_ENKUlT_T0_E_clISt17integral_constantIbLb0EES1U_EEDaS1P_S1Q_EUlS1P_E_NS1_11comp_targetILNS1_3genE0ELNS1_11target_archE4294967295ELNS1_3gpuE0ELNS1_3repE0EEENS1_30default_config_static_selectorELNS0_4arch9wavefront6targetE0EEEvS12_: ; @_ZN7rocprim17ROCPRIM_400000_NS6detail17trampoline_kernelINS0_13select_configILj256ELj13ELNS0_17block_load_methodE3ELS4_3ELS4_3ELNS0_20block_scan_algorithmE0ELj4294967295EEENS1_25partition_config_selectorILNS1_17partition_subalgoE4EjNS0_10empty_typeEbEEZZNS1_14partition_implILS8_4ELb0ES6_15HIP_vector_typeIjLj2EENS0_17counting_iteratorIjlEEPS9_SG_NS0_5tupleIJPjSI_NS0_16reverse_iteratorISI_EEEEENSH_IJSG_SG_SG_EEES9_SI_JZNS1_25segmented_radix_sort_implINS0_14default_configELb1EPKdPdPKlPlN2at6native12_GLOBAL__N_18offset_tEEE10hipError_tPvRmT1_PNSt15iterator_traitsIS12_E10value_typeET2_T3_PNS13_IS18_E10value_typeET4_jRbjT5_S1E_jjP12ihipStream_tbEUljE_ZNSN_ISO_Lb1ESQ_SR_ST_SU_SY_EESZ_S10_S11_S12_S16_S17_S18_S1B_S1C_jS1D_jS1E_S1E_jjS1G_bEUljE0_EEESZ_S10_S11_S18_S1C_S1E_T6_T7_T9_mT8_S1G_bDpT10_ENKUlT_T0_E_clISt17integral_constantIbLb0EES1U_EEDaS1P_S1Q_EUlS1P_E_NS1_11comp_targetILNS1_3genE0ELNS1_11target_archE4294967295ELNS1_3gpuE0ELNS1_3repE0EEENS1_30default_config_static_selectorELNS0_4arch9wavefront6targetE0EEEvS12_
; %bb.0:
	.section	.rodata,"a",@progbits
	.p2align	6, 0x0
	.amdhsa_kernel _ZN7rocprim17ROCPRIM_400000_NS6detail17trampoline_kernelINS0_13select_configILj256ELj13ELNS0_17block_load_methodE3ELS4_3ELS4_3ELNS0_20block_scan_algorithmE0ELj4294967295EEENS1_25partition_config_selectorILNS1_17partition_subalgoE4EjNS0_10empty_typeEbEEZZNS1_14partition_implILS8_4ELb0ES6_15HIP_vector_typeIjLj2EENS0_17counting_iteratorIjlEEPS9_SG_NS0_5tupleIJPjSI_NS0_16reverse_iteratorISI_EEEEENSH_IJSG_SG_SG_EEES9_SI_JZNS1_25segmented_radix_sort_implINS0_14default_configELb1EPKdPdPKlPlN2at6native12_GLOBAL__N_18offset_tEEE10hipError_tPvRmT1_PNSt15iterator_traitsIS12_E10value_typeET2_T3_PNS13_IS18_E10value_typeET4_jRbjT5_S1E_jjP12ihipStream_tbEUljE_ZNSN_ISO_Lb1ESQ_SR_ST_SU_SY_EESZ_S10_S11_S12_S16_S17_S18_S1B_S1C_jS1D_jS1E_S1E_jjS1G_bEUljE0_EEESZ_S10_S11_S18_S1C_S1E_T6_T7_T9_mT8_S1G_bDpT10_ENKUlT_T0_E_clISt17integral_constantIbLb0EES1U_EEDaS1P_S1Q_EUlS1P_E_NS1_11comp_targetILNS1_3genE0ELNS1_11target_archE4294967295ELNS1_3gpuE0ELNS1_3repE0EEENS1_30default_config_static_selectorELNS0_4arch9wavefront6targetE0EEEvS12_
		.amdhsa_group_segment_fixed_size 0
		.amdhsa_private_segment_fixed_size 0
		.amdhsa_kernarg_size 176
		.amdhsa_user_sgpr_count 2
		.amdhsa_user_sgpr_dispatch_ptr 0
		.amdhsa_user_sgpr_queue_ptr 0
		.amdhsa_user_sgpr_kernarg_segment_ptr 1
		.amdhsa_user_sgpr_dispatch_id 0
		.amdhsa_user_sgpr_private_segment_size 0
		.amdhsa_wavefront_size32 1
		.amdhsa_uses_dynamic_stack 0
		.amdhsa_enable_private_segment 0
		.amdhsa_system_sgpr_workgroup_id_x 1
		.amdhsa_system_sgpr_workgroup_id_y 0
		.amdhsa_system_sgpr_workgroup_id_z 0
		.amdhsa_system_sgpr_workgroup_info 0
		.amdhsa_system_vgpr_workitem_id 0
		.amdhsa_next_free_vgpr 1
		.amdhsa_next_free_sgpr 1
		.amdhsa_reserve_vcc 0
		.amdhsa_float_round_mode_32 0
		.amdhsa_float_round_mode_16_64 0
		.amdhsa_float_denorm_mode_32 3
		.amdhsa_float_denorm_mode_16_64 3
		.amdhsa_fp16_overflow 0
		.amdhsa_workgroup_processor_mode 1
		.amdhsa_memory_ordered 1
		.amdhsa_forward_progress 1
		.amdhsa_inst_pref_size 0
		.amdhsa_round_robin_scheduling 0
		.amdhsa_exception_fp_ieee_invalid_op 0
		.amdhsa_exception_fp_denorm_src 0
		.amdhsa_exception_fp_ieee_div_zero 0
		.amdhsa_exception_fp_ieee_overflow 0
		.amdhsa_exception_fp_ieee_underflow 0
		.amdhsa_exception_fp_ieee_inexact 0
		.amdhsa_exception_int_div_zero 0
	.end_amdhsa_kernel
	.section	.text._ZN7rocprim17ROCPRIM_400000_NS6detail17trampoline_kernelINS0_13select_configILj256ELj13ELNS0_17block_load_methodE3ELS4_3ELS4_3ELNS0_20block_scan_algorithmE0ELj4294967295EEENS1_25partition_config_selectorILNS1_17partition_subalgoE4EjNS0_10empty_typeEbEEZZNS1_14partition_implILS8_4ELb0ES6_15HIP_vector_typeIjLj2EENS0_17counting_iteratorIjlEEPS9_SG_NS0_5tupleIJPjSI_NS0_16reverse_iteratorISI_EEEEENSH_IJSG_SG_SG_EEES9_SI_JZNS1_25segmented_radix_sort_implINS0_14default_configELb1EPKdPdPKlPlN2at6native12_GLOBAL__N_18offset_tEEE10hipError_tPvRmT1_PNSt15iterator_traitsIS12_E10value_typeET2_T3_PNS13_IS18_E10value_typeET4_jRbjT5_S1E_jjP12ihipStream_tbEUljE_ZNSN_ISO_Lb1ESQ_SR_ST_SU_SY_EESZ_S10_S11_S12_S16_S17_S18_S1B_S1C_jS1D_jS1E_S1E_jjS1G_bEUljE0_EEESZ_S10_S11_S18_S1C_S1E_T6_T7_T9_mT8_S1G_bDpT10_ENKUlT_T0_E_clISt17integral_constantIbLb0EES1U_EEDaS1P_S1Q_EUlS1P_E_NS1_11comp_targetILNS1_3genE0ELNS1_11target_archE4294967295ELNS1_3gpuE0ELNS1_3repE0EEENS1_30default_config_static_selectorELNS0_4arch9wavefront6targetE0EEEvS12_,"axG",@progbits,_ZN7rocprim17ROCPRIM_400000_NS6detail17trampoline_kernelINS0_13select_configILj256ELj13ELNS0_17block_load_methodE3ELS4_3ELS4_3ELNS0_20block_scan_algorithmE0ELj4294967295EEENS1_25partition_config_selectorILNS1_17partition_subalgoE4EjNS0_10empty_typeEbEEZZNS1_14partition_implILS8_4ELb0ES6_15HIP_vector_typeIjLj2EENS0_17counting_iteratorIjlEEPS9_SG_NS0_5tupleIJPjSI_NS0_16reverse_iteratorISI_EEEEENSH_IJSG_SG_SG_EEES9_SI_JZNS1_25segmented_radix_sort_implINS0_14default_configELb1EPKdPdPKlPlN2at6native12_GLOBAL__N_18offset_tEEE10hipError_tPvRmT1_PNSt15iterator_traitsIS12_E10value_typeET2_T3_PNS13_IS18_E10value_typeET4_jRbjT5_S1E_jjP12ihipStream_tbEUljE_ZNSN_ISO_Lb1ESQ_SR_ST_SU_SY_EESZ_S10_S11_S12_S16_S17_S18_S1B_S1C_jS1D_jS1E_S1E_jjS1G_bEUljE0_EEESZ_S10_S11_S18_S1C_S1E_T6_T7_T9_mT8_S1G_bDpT10_ENKUlT_T0_E_clISt17integral_constantIbLb0EES1U_EEDaS1P_S1Q_EUlS1P_E_NS1_11comp_targetILNS1_3genE0ELNS1_11target_archE4294967295ELNS1_3gpuE0ELNS1_3repE0EEENS1_30default_config_static_selectorELNS0_4arch9wavefront6targetE0EEEvS12_,comdat
.Lfunc_end1054:
	.size	_ZN7rocprim17ROCPRIM_400000_NS6detail17trampoline_kernelINS0_13select_configILj256ELj13ELNS0_17block_load_methodE3ELS4_3ELS4_3ELNS0_20block_scan_algorithmE0ELj4294967295EEENS1_25partition_config_selectorILNS1_17partition_subalgoE4EjNS0_10empty_typeEbEEZZNS1_14partition_implILS8_4ELb0ES6_15HIP_vector_typeIjLj2EENS0_17counting_iteratorIjlEEPS9_SG_NS0_5tupleIJPjSI_NS0_16reverse_iteratorISI_EEEEENSH_IJSG_SG_SG_EEES9_SI_JZNS1_25segmented_radix_sort_implINS0_14default_configELb1EPKdPdPKlPlN2at6native12_GLOBAL__N_18offset_tEEE10hipError_tPvRmT1_PNSt15iterator_traitsIS12_E10value_typeET2_T3_PNS13_IS18_E10value_typeET4_jRbjT5_S1E_jjP12ihipStream_tbEUljE_ZNSN_ISO_Lb1ESQ_SR_ST_SU_SY_EESZ_S10_S11_S12_S16_S17_S18_S1B_S1C_jS1D_jS1E_S1E_jjS1G_bEUljE0_EEESZ_S10_S11_S18_S1C_S1E_T6_T7_T9_mT8_S1G_bDpT10_ENKUlT_T0_E_clISt17integral_constantIbLb0EES1U_EEDaS1P_S1Q_EUlS1P_E_NS1_11comp_targetILNS1_3genE0ELNS1_11target_archE4294967295ELNS1_3gpuE0ELNS1_3repE0EEENS1_30default_config_static_selectorELNS0_4arch9wavefront6targetE0EEEvS12_, .Lfunc_end1054-_ZN7rocprim17ROCPRIM_400000_NS6detail17trampoline_kernelINS0_13select_configILj256ELj13ELNS0_17block_load_methodE3ELS4_3ELS4_3ELNS0_20block_scan_algorithmE0ELj4294967295EEENS1_25partition_config_selectorILNS1_17partition_subalgoE4EjNS0_10empty_typeEbEEZZNS1_14partition_implILS8_4ELb0ES6_15HIP_vector_typeIjLj2EENS0_17counting_iteratorIjlEEPS9_SG_NS0_5tupleIJPjSI_NS0_16reverse_iteratorISI_EEEEENSH_IJSG_SG_SG_EEES9_SI_JZNS1_25segmented_radix_sort_implINS0_14default_configELb1EPKdPdPKlPlN2at6native12_GLOBAL__N_18offset_tEEE10hipError_tPvRmT1_PNSt15iterator_traitsIS12_E10value_typeET2_T3_PNS13_IS18_E10value_typeET4_jRbjT5_S1E_jjP12ihipStream_tbEUljE_ZNSN_ISO_Lb1ESQ_SR_ST_SU_SY_EESZ_S10_S11_S12_S16_S17_S18_S1B_S1C_jS1D_jS1E_S1E_jjS1G_bEUljE0_EEESZ_S10_S11_S18_S1C_S1E_T6_T7_T9_mT8_S1G_bDpT10_ENKUlT_T0_E_clISt17integral_constantIbLb0EES1U_EEDaS1P_S1Q_EUlS1P_E_NS1_11comp_targetILNS1_3genE0ELNS1_11target_archE4294967295ELNS1_3gpuE0ELNS1_3repE0EEENS1_30default_config_static_selectorELNS0_4arch9wavefront6targetE0EEEvS12_
                                        ; -- End function
	.set _ZN7rocprim17ROCPRIM_400000_NS6detail17trampoline_kernelINS0_13select_configILj256ELj13ELNS0_17block_load_methodE3ELS4_3ELS4_3ELNS0_20block_scan_algorithmE0ELj4294967295EEENS1_25partition_config_selectorILNS1_17partition_subalgoE4EjNS0_10empty_typeEbEEZZNS1_14partition_implILS8_4ELb0ES6_15HIP_vector_typeIjLj2EENS0_17counting_iteratorIjlEEPS9_SG_NS0_5tupleIJPjSI_NS0_16reverse_iteratorISI_EEEEENSH_IJSG_SG_SG_EEES9_SI_JZNS1_25segmented_radix_sort_implINS0_14default_configELb1EPKdPdPKlPlN2at6native12_GLOBAL__N_18offset_tEEE10hipError_tPvRmT1_PNSt15iterator_traitsIS12_E10value_typeET2_T3_PNS13_IS18_E10value_typeET4_jRbjT5_S1E_jjP12ihipStream_tbEUljE_ZNSN_ISO_Lb1ESQ_SR_ST_SU_SY_EESZ_S10_S11_S12_S16_S17_S18_S1B_S1C_jS1D_jS1E_S1E_jjS1G_bEUljE0_EEESZ_S10_S11_S18_S1C_S1E_T6_T7_T9_mT8_S1G_bDpT10_ENKUlT_T0_E_clISt17integral_constantIbLb0EES1U_EEDaS1P_S1Q_EUlS1P_E_NS1_11comp_targetILNS1_3genE0ELNS1_11target_archE4294967295ELNS1_3gpuE0ELNS1_3repE0EEENS1_30default_config_static_selectorELNS0_4arch9wavefront6targetE0EEEvS12_.num_vgpr, 0
	.set _ZN7rocprim17ROCPRIM_400000_NS6detail17trampoline_kernelINS0_13select_configILj256ELj13ELNS0_17block_load_methodE3ELS4_3ELS4_3ELNS0_20block_scan_algorithmE0ELj4294967295EEENS1_25partition_config_selectorILNS1_17partition_subalgoE4EjNS0_10empty_typeEbEEZZNS1_14partition_implILS8_4ELb0ES6_15HIP_vector_typeIjLj2EENS0_17counting_iteratorIjlEEPS9_SG_NS0_5tupleIJPjSI_NS0_16reverse_iteratorISI_EEEEENSH_IJSG_SG_SG_EEES9_SI_JZNS1_25segmented_radix_sort_implINS0_14default_configELb1EPKdPdPKlPlN2at6native12_GLOBAL__N_18offset_tEEE10hipError_tPvRmT1_PNSt15iterator_traitsIS12_E10value_typeET2_T3_PNS13_IS18_E10value_typeET4_jRbjT5_S1E_jjP12ihipStream_tbEUljE_ZNSN_ISO_Lb1ESQ_SR_ST_SU_SY_EESZ_S10_S11_S12_S16_S17_S18_S1B_S1C_jS1D_jS1E_S1E_jjS1G_bEUljE0_EEESZ_S10_S11_S18_S1C_S1E_T6_T7_T9_mT8_S1G_bDpT10_ENKUlT_T0_E_clISt17integral_constantIbLb0EES1U_EEDaS1P_S1Q_EUlS1P_E_NS1_11comp_targetILNS1_3genE0ELNS1_11target_archE4294967295ELNS1_3gpuE0ELNS1_3repE0EEENS1_30default_config_static_selectorELNS0_4arch9wavefront6targetE0EEEvS12_.num_agpr, 0
	.set _ZN7rocprim17ROCPRIM_400000_NS6detail17trampoline_kernelINS0_13select_configILj256ELj13ELNS0_17block_load_methodE3ELS4_3ELS4_3ELNS0_20block_scan_algorithmE0ELj4294967295EEENS1_25partition_config_selectorILNS1_17partition_subalgoE4EjNS0_10empty_typeEbEEZZNS1_14partition_implILS8_4ELb0ES6_15HIP_vector_typeIjLj2EENS0_17counting_iteratorIjlEEPS9_SG_NS0_5tupleIJPjSI_NS0_16reverse_iteratorISI_EEEEENSH_IJSG_SG_SG_EEES9_SI_JZNS1_25segmented_radix_sort_implINS0_14default_configELb1EPKdPdPKlPlN2at6native12_GLOBAL__N_18offset_tEEE10hipError_tPvRmT1_PNSt15iterator_traitsIS12_E10value_typeET2_T3_PNS13_IS18_E10value_typeET4_jRbjT5_S1E_jjP12ihipStream_tbEUljE_ZNSN_ISO_Lb1ESQ_SR_ST_SU_SY_EESZ_S10_S11_S12_S16_S17_S18_S1B_S1C_jS1D_jS1E_S1E_jjS1G_bEUljE0_EEESZ_S10_S11_S18_S1C_S1E_T6_T7_T9_mT8_S1G_bDpT10_ENKUlT_T0_E_clISt17integral_constantIbLb0EES1U_EEDaS1P_S1Q_EUlS1P_E_NS1_11comp_targetILNS1_3genE0ELNS1_11target_archE4294967295ELNS1_3gpuE0ELNS1_3repE0EEENS1_30default_config_static_selectorELNS0_4arch9wavefront6targetE0EEEvS12_.numbered_sgpr, 0
	.set _ZN7rocprim17ROCPRIM_400000_NS6detail17trampoline_kernelINS0_13select_configILj256ELj13ELNS0_17block_load_methodE3ELS4_3ELS4_3ELNS0_20block_scan_algorithmE0ELj4294967295EEENS1_25partition_config_selectorILNS1_17partition_subalgoE4EjNS0_10empty_typeEbEEZZNS1_14partition_implILS8_4ELb0ES6_15HIP_vector_typeIjLj2EENS0_17counting_iteratorIjlEEPS9_SG_NS0_5tupleIJPjSI_NS0_16reverse_iteratorISI_EEEEENSH_IJSG_SG_SG_EEES9_SI_JZNS1_25segmented_radix_sort_implINS0_14default_configELb1EPKdPdPKlPlN2at6native12_GLOBAL__N_18offset_tEEE10hipError_tPvRmT1_PNSt15iterator_traitsIS12_E10value_typeET2_T3_PNS13_IS18_E10value_typeET4_jRbjT5_S1E_jjP12ihipStream_tbEUljE_ZNSN_ISO_Lb1ESQ_SR_ST_SU_SY_EESZ_S10_S11_S12_S16_S17_S18_S1B_S1C_jS1D_jS1E_S1E_jjS1G_bEUljE0_EEESZ_S10_S11_S18_S1C_S1E_T6_T7_T9_mT8_S1G_bDpT10_ENKUlT_T0_E_clISt17integral_constantIbLb0EES1U_EEDaS1P_S1Q_EUlS1P_E_NS1_11comp_targetILNS1_3genE0ELNS1_11target_archE4294967295ELNS1_3gpuE0ELNS1_3repE0EEENS1_30default_config_static_selectorELNS0_4arch9wavefront6targetE0EEEvS12_.num_named_barrier, 0
	.set _ZN7rocprim17ROCPRIM_400000_NS6detail17trampoline_kernelINS0_13select_configILj256ELj13ELNS0_17block_load_methodE3ELS4_3ELS4_3ELNS0_20block_scan_algorithmE0ELj4294967295EEENS1_25partition_config_selectorILNS1_17partition_subalgoE4EjNS0_10empty_typeEbEEZZNS1_14partition_implILS8_4ELb0ES6_15HIP_vector_typeIjLj2EENS0_17counting_iteratorIjlEEPS9_SG_NS0_5tupleIJPjSI_NS0_16reverse_iteratorISI_EEEEENSH_IJSG_SG_SG_EEES9_SI_JZNS1_25segmented_radix_sort_implINS0_14default_configELb1EPKdPdPKlPlN2at6native12_GLOBAL__N_18offset_tEEE10hipError_tPvRmT1_PNSt15iterator_traitsIS12_E10value_typeET2_T3_PNS13_IS18_E10value_typeET4_jRbjT5_S1E_jjP12ihipStream_tbEUljE_ZNSN_ISO_Lb1ESQ_SR_ST_SU_SY_EESZ_S10_S11_S12_S16_S17_S18_S1B_S1C_jS1D_jS1E_S1E_jjS1G_bEUljE0_EEESZ_S10_S11_S18_S1C_S1E_T6_T7_T9_mT8_S1G_bDpT10_ENKUlT_T0_E_clISt17integral_constantIbLb0EES1U_EEDaS1P_S1Q_EUlS1P_E_NS1_11comp_targetILNS1_3genE0ELNS1_11target_archE4294967295ELNS1_3gpuE0ELNS1_3repE0EEENS1_30default_config_static_selectorELNS0_4arch9wavefront6targetE0EEEvS12_.private_seg_size, 0
	.set _ZN7rocprim17ROCPRIM_400000_NS6detail17trampoline_kernelINS0_13select_configILj256ELj13ELNS0_17block_load_methodE3ELS4_3ELS4_3ELNS0_20block_scan_algorithmE0ELj4294967295EEENS1_25partition_config_selectorILNS1_17partition_subalgoE4EjNS0_10empty_typeEbEEZZNS1_14partition_implILS8_4ELb0ES6_15HIP_vector_typeIjLj2EENS0_17counting_iteratorIjlEEPS9_SG_NS0_5tupleIJPjSI_NS0_16reverse_iteratorISI_EEEEENSH_IJSG_SG_SG_EEES9_SI_JZNS1_25segmented_radix_sort_implINS0_14default_configELb1EPKdPdPKlPlN2at6native12_GLOBAL__N_18offset_tEEE10hipError_tPvRmT1_PNSt15iterator_traitsIS12_E10value_typeET2_T3_PNS13_IS18_E10value_typeET4_jRbjT5_S1E_jjP12ihipStream_tbEUljE_ZNSN_ISO_Lb1ESQ_SR_ST_SU_SY_EESZ_S10_S11_S12_S16_S17_S18_S1B_S1C_jS1D_jS1E_S1E_jjS1G_bEUljE0_EEESZ_S10_S11_S18_S1C_S1E_T6_T7_T9_mT8_S1G_bDpT10_ENKUlT_T0_E_clISt17integral_constantIbLb0EES1U_EEDaS1P_S1Q_EUlS1P_E_NS1_11comp_targetILNS1_3genE0ELNS1_11target_archE4294967295ELNS1_3gpuE0ELNS1_3repE0EEENS1_30default_config_static_selectorELNS0_4arch9wavefront6targetE0EEEvS12_.uses_vcc, 0
	.set _ZN7rocprim17ROCPRIM_400000_NS6detail17trampoline_kernelINS0_13select_configILj256ELj13ELNS0_17block_load_methodE3ELS4_3ELS4_3ELNS0_20block_scan_algorithmE0ELj4294967295EEENS1_25partition_config_selectorILNS1_17partition_subalgoE4EjNS0_10empty_typeEbEEZZNS1_14partition_implILS8_4ELb0ES6_15HIP_vector_typeIjLj2EENS0_17counting_iteratorIjlEEPS9_SG_NS0_5tupleIJPjSI_NS0_16reverse_iteratorISI_EEEEENSH_IJSG_SG_SG_EEES9_SI_JZNS1_25segmented_radix_sort_implINS0_14default_configELb1EPKdPdPKlPlN2at6native12_GLOBAL__N_18offset_tEEE10hipError_tPvRmT1_PNSt15iterator_traitsIS12_E10value_typeET2_T3_PNS13_IS18_E10value_typeET4_jRbjT5_S1E_jjP12ihipStream_tbEUljE_ZNSN_ISO_Lb1ESQ_SR_ST_SU_SY_EESZ_S10_S11_S12_S16_S17_S18_S1B_S1C_jS1D_jS1E_S1E_jjS1G_bEUljE0_EEESZ_S10_S11_S18_S1C_S1E_T6_T7_T9_mT8_S1G_bDpT10_ENKUlT_T0_E_clISt17integral_constantIbLb0EES1U_EEDaS1P_S1Q_EUlS1P_E_NS1_11comp_targetILNS1_3genE0ELNS1_11target_archE4294967295ELNS1_3gpuE0ELNS1_3repE0EEENS1_30default_config_static_selectorELNS0_4arch9wavefront6targetE0EEEvS12_.uses_flat_scratch, 0
	.set _ZN7rocprim17ROCPRIM_400000_NS6detail17trampoline_kernelINS0_13select_configILj256ELj13ELNS0_17block_load_methodE3ELS4_3ELS4_3ELNS0_20block_scan_algorithmE0ELj4294967295EEENS1_25partition_config_selectorILNS1_17partition_subalgoE4EjNS0_10empty_typeEbEEZZNS1_14partition_implILS8_4ELb0ES6_15HIP_vector_typeIjLj2EENS0_17counting_iteratorIjlEEPS9_SG_NS0_5tupleIJPjSI_NS0_16reverse_iteratorISI_EEEEENSH_IJSG_SG_SG_EEES9_SI_JZNS1_25segmented_radix_sort_implINS0_14default_configELb1EPKdPdPKlPlN2at6native12_GLOBAL__N_18offset_tEEE10hipError_tPvRmT1_PNSt15iterator_traitsIS12_E10value_typeET2_T3_PNS13_IS18_E10value_typeET4_jRbjT5_S1E_jjP12ihipStream_tbEUljE_ZNSN_ISO_Lb1ESQ_SR_ST_SU_SY_EESZ_S10_S11_S12_S16_S17_S18_S1B_S1C_jS1D_jS1E_S1E_jjS1G_bEUljE0_EEESZ_S10_S11_S18_S1C_S1E_T6_T7_T9_mT8_S1G_bDpT10_ENKUlT_T0_E_clISt17integral_constantIbLb0EES1U_EEDaS1P_S1Q_EUlS1P_E_NS1_11comp_targetILNS1_3genE0ELNS1_11target_archE4294967295ELNS1_3gpuE0ELNS1_3repE0EEENS1_30default_config_static_selectorELNS0_4arch9wavefront6targetE0EEEvS12_.has_dyn_sized_stack, 0
	.set _ZN7rocprim17ROCPRIM_400000_NS6detail17trampoline_kernelINS0_13select_configILj256ELj13ELNS0_17block_load_methodE3ELS4_3ELS4_3ELNS0_20block_scan_algorithmE0ELj4294967295EEENS1_25partition_config_selectorILNS1_17partition_subalgoE4EjNS0_10empty_typeEbEEZZNS1_14partition_implILS8_4ELb0ES6_15HIP_vector_typeIjLj2EENS0_17counting_iteratorIjlEEPS9_SG_NS0_5tupleIJPjSI_NS0_16reverse_iteratorISI_EEEEENSH_IJSG_SG_SG_EEES9_SI_JZNS1_25segmented_radix_sort_implINS0_14default_configELb1EPKdPdPKlPlN2at6native12_GLOBAL__N_18offset_tEEE10hipError_tPvRmT1_PNSt15iterator_traitsIS12_E10value_typeET2_T3_PNS13_IS18_E10value_typeET4_jRbjT5_S1E_jjP12ihipStream_tbEUljE_ZNSN_ISO_Lb1ESQ_SR_ST_SU_SY_EESZ_S10_S11_S12_S16_S17_S18_S1B_S1C_jS1D_jS1E_S1E_jjS1G_bEUljE0_EEESZ_S10_S11_S18_S1C_S1E_T6_T7_T9_mT8_S1G_bDpT10_ENKUlT_T0_E_clISt17integral_constantIbLb0EES1U_EEDaS1P_S1Q_EUlS1P_E_NS1_11comp_targetILNS1_3genE0ELNS1_11target_archE4294967295ELNS1_3gpuE0ELNS1_3repE0EEENS1_30default_config_static_selectorELNS0_4arch9wavefront6targetE0EEEvS12_.has_recursion, 0
	.set _ZN7rocprim17ROCPRIM_400000_NS6detail17trampoline_kernelINS0_13select_configILj256ELj13ELNS0_17block_load_methodE3ELS4_3ELS4_3ELNS0_20block_scan_algorithmE0ELj4294967295EEENS1_25partition_config_selectorILNS1_17partition_subalgoE4EjNS0_10empty_typeEbEEZZNS1_14partition_implILS8_4ELb0ES6_15HIP_vector_typeIjLj2EENS0_17counting_iteratorIjlEEPS9_SG_NS0_5tupleIJPjSI_NS0_16reverse_iteratorISI_EEEEENSH_IJSG_SG_SG_EEES9_SI_JZNS1_25segmented_radix_sort_implINS0_14default_configELb1EPKdPdPKlPlN2at6native12_GLOBAL__N_18offset_tEEE10hipError_tPvRmT1_PNSt15iterator_traitsIS12_E10value_typeET2_T3_PNS13_IS18_E10value_typeET4_jRbjT5_S1E_jjP12ihipStream_tbEUljE_ZNSN_ISO_Lb1ESQ_SR_ST_SU_SY_EESZ_S10_S11_S12_S16_S17_S18_S1B_S1C_jS1D_jS1E_S1E_jjS1G_bEUljE0_EEESZ_S10_S11_S18_S1C_S1E_T6_T7_T9_mT8_S1G_bDpT10_ENKUlT_T0_E_clISt17integral_constantIbLb0EES1U_EEDaS1P_S1Q_EUlS1P_E_NS1_11comp_targetILNS1_3genE0ELNS1_11target_archE4294967295ELNS1_3gpuE0ELNS1_3repE0EEENS1_30default_config_static_selectorELNS0_4arch9wavefront6targetE0EEEvS12_.has_indirect_call, 0
	.section	.AMDGPU.csdata,"",@progbits
; Kernel info:
; codeLenInByte = 0
; TotalNumSgprs: 0
; NumVgprs: 0
; ScratchSize: 0
; MemoryBound: 0
; FloatMode: 240
; IeeeMode: 1
; LDSByteSize: 0 bytes/workgroup (compile time only)
; SGPRBlocks: 0
; VGPRBlocks: 0
; NumSGPRsForWavesPerEU: 1
; NumVGPRsForWavesPerEU: 1
; Occupancy: 16
; WaveLimiterHint : 0
; COMPUTE_PGM_RSRC2:SCRATCH_EN: 0
; COMPUTE_PGM_RSRC2:USER_SGPR: 2
; COMPUTE_PGM_RSRC2:TRAP_HANDLER: 0
; COMPUTE_PGM_RSRC2:TGID_X_EN: 1
; COMPUTE_PGM_RSRC2:TGID_Y_EN: 0
; COMPUTE_PGM_RSRC2:TGID_Z_EN: 0
; COMPUTE_PGM_RSRC2:TIDIG_COMP_CNT: 0
	.section	.text._ZN7rocprim17ROCPRIM_400000_NS6detail17trampoline_kernelINS0_13select_configILj256ELj13ELNS0_17block_load_methodE3ELS4_3ELS4_3ELNS0_20block_scan_algorithmE0ELj4294967295EEENS1_25partition_config_selectorILNS1_17partition_subalgoE4EjNS0_10empty_typeEbEEZZNS1_14partition_implILS8_4ELb0ES6_15HIP_vector_typeIjLj2EENS0_17counting_iteratorIjlEEPS9_SG_NS0_5tupleIJPjSI_NS0_16reverse_iteratorISI_EEEEENSH_IJSG_SG_SG_EEES9_SI_JZNS1_25segmented_radix_sort_implINS0_14default_configELb1EPKdPdPKlPlN2at6native12_GLOBAL__N_18offset_tEEE10hipError_tPvRmT1_PNSt15iterator_traitsIS12_E10value_typeET2_T3_PNS13_IS18_E10value_typeET4_jRbjT5_S1E_jjP12ihipStream_tbEUljE_ZNSN_ISO_Lb1ESQ_SR_ST_SU_SY_EESZ_S10_S11_S12_S16_S17_S18_S1B_S1C_jS1D_jS1E_S1E_jjS1G_bEUljE0_EEESZ_S10_S11_S18_S1C_S1E_T6_T7_T9_mT8_S1G_bDpT10_ENKUlT_T0_E_clISt17integral_constantIbLb0EES1U_EEDaS1P_S1Q_EUlS1P_E_NS1_11comp_targetILNS1_3genE5ELNS1_11target_archE942ELNS1_3gpuE9ELNS1_3repE0EEENS1_30default_config_static_selectorELNS0_4arch9wavefront6targetE0EEEvS12_,"axG",@progbits,_ZN7rocprim17ROCPRIM_400000_NS6detail17trampoline_kernelINS0_13select_configILj256ELj13ELNS0_17block_load_methodE3ELS4_3ELS4_3ELNS0_20block_scan_algorithmE0ELj4294967295EEENS1_25partition_config_selectorILNS1_17partition_subalgoE4EjNS0_10empty_typeEbEEZZNS1_14partition_implILS8_4ELb0ES6_15HIP_vector_typeIjLj2EENS0_17counting_iteratorIjlEEPS9_SG_NS0_5tupleIJPjSI_NS0_16reverse_iteratorISI_EEEEENSH_IJSG_SG_SG_EEES9_SI_JZNS1_25segmented_radix_sort_implINS0_14default_configELb1EPKdPdPKlPlN2at6native12_GLOBAL__N_18offset_tEEE10hipError_tPvRmT1_PNSt15iterator_traitsIS12_E10value_typeET2_T3_PNS13_IS18_E10value_typeET4_jRbjT5_S1E_jjP12ihipStream_tbEUljE_ZNSN_ISO_Lb1ESQ_SR_ST_SU_SY_EESZ_S10_S11_S12_S16_S17_S18_S1B_S1C_jS1D_jS1E_S1E_jjS1G_bEUljE0_EEESZ_S10_S11_S18_S1C_S1E_T6_T7_T9_mT8_S1G_bDpT10_ENKUlT_T0_E_clISt17integral_constantIbLb0EES1U_EEDaS1P_S1Q_EUlS1P_E_NS1_11comp_targetILNS1_3genE5ELNS1_11target_archE942ELNS1_3gpuE9ELNS1_3repE0EEENS1_30default_config_static_selectorELNS0_4arch9wavefront6targetE0EEEvS12_,comdat
	.globl	_ZN7rocprim17ROCPRIM_400000_NS6detail17trampoline_kernelINS0_13select_configILj256ELj13ELNS0_17block_load_methodE3ELS4_3ELS4_3ELNS0_20block_scan_algorithmE0ELj4294967295EEENS1_25partition_config_selectorILNS1_17partition_subalgoE4EjNS0_10empty_typeEbEEZZNS1_14partition_implILS8_4ELb0ES6_15HIP_vector_typeIjLj2EENS0_17counting_iteratorIjlEEPS9_SG_NS0_5tupleIJPjSI_NS0_16reverse_iteratorISI_EEEEENSH_IJSG_SG_SG_EEES9_SI_JZNS1_25segmented_radix_sort_implINS0_14default_configELb1EPKdPdPKlPlN2at6native12_GLOBAL__N_18offset_tEEE10hipError_tPvRmT1_PNSt15iterator_traitsIS12_E10value_typeET2_T3_PNS13_IS18_E10value_typeET4_jRbjT5_S1E_jjP12ihipStream_tbEUljE_ZNSN_ISO_Lb1ESQ_SR_ST_SU_SY_EESZ_S10_S11_S12_S16_S17_S18_S1B_S1C_jS1D_jS1E_S1E_jjS1G_bEUljE0_EEESZ_S10_S11_S18_S1C_S1E_T6_T7_T9_mT8_S1G_bDpT10_ENKUlT_T0_E_clISt17integral_constantIbLb0EES1U_EEDaS1P_S1Q_EUlS1P_E_NS1_11comp_targetILNS1_3genE5ELNS1_11target_archE942ELNS1_3gpuE9ELNS1_3repE0EEENS1_30default_config_static_selectorELNS0_4arch9wavefront6targetE0EEEvS12_ ; -- Begin function _ZN7rocprim17ROCPRIM_400000_NS6detail17trampoline_kernelINS0_13select_configILj256ELj13ELNS0_17block_load_methodE3ELS4_3ELS4_3ELNS0_20block_scan_algorithmE0ELj4294967295EEENS1_25partition_config_selectorILNS1_17partition_subalgoE4EjNS0_10empty_typeEbEEZZNS1_14partition_implILS8_4ELb0ES6_15HIP_vector_typeIjLj2EENS0_17counting_iteratorIjlEEPS9_SG_NS0_5tupleIJPjSI_NS0_16reverse_iteratorISI_EEEEENSH_IJSG_SG_SG_EEES9_SI_JZNS1_25segmented_radix_sort_implINS0_14default_configELb1EPKdPdPKlPlN2at6native12_GLOBAL__N_18offset_tEEE10hipError_tPvRmT1_PNSt15iterator_traitsIS12_E10value_typeET2_T3_PNS13_IS18_E10value_typeET4_jRbjT5_S1E_jjP12ihipStream_tbEUljE_ZNSN_ISO_Lb1ESQ_SR_ST_SU_SY_EESZ_S10_S11_S12_S16_S17_S18_S1B_S1C_jS1D_jS1E_S1E_jjS1G_bEUljE0_EEESZ_S10_S11_S18_S1C_S1E_T6_T7_T9_mT8_S1G_bDpT10_ENKUlT_T0_E_clISt17integral_constantIbLb0EES1U_EEDaS1P_S1Q_EUlS1P_E_NS1_11comp_targetILNS1_3genE5ELNS1_11target_archE942ELNS1_3gpuE9ELNS1_3repE0EEENS1_30default_config_static_selectorELNS0_4arch9wavefront6targetE0EEEvS12_
	.p2align	8
	.type	_ZN7rocprim17ROCPRIM_400000_NS6detail17trampoline_kernelINS0_13select_configILj256ELj13ELNS0_17block_load_methodE3ELS4_3ELS4_3ELNS0_20block_scan_algorithmE0ELj4294967295EEENS1_25partition_config_selectorILNS1_17partition_subalgoE4EjNS0_10empty_typeEbEEZZNS1_14partition_implILS8_4ELb0ES6_15HIP_vector_typeIjLj2EENS0_17counting_iteratorIjlEEPS9_SG_NS0_5tupleIJPjSI_NS0_16reverse_iteratorISI_EEEEENSH_IJSG_SG_SG_EEES9_SI_JZNS1_25segmented_radix_sort_implINS0_14default_configELb1EPKdPdPKlPlN2at6native12_GLOBAL__N_18offset_tEEE10hipError_tPvRmT1_PNSt15iterator_traitsIS12_E10value_typeET2_T3_PNS13_IS18_E10value_typeET4_jRbjT5_S1E_jjP12ihipStream_tbEUljE_ZNSN_ISO_Lb1ESQ_SR_ST_SU_SY_EESZ_S10_S11_S12_S16_S17_S18_S1B_S1C_jS1D_jS1E_S1E_jjS1G_bEUljE0_EEESZ_S10_S11_S18_S1C_S1E_T6_T7_T9_mT8_S1G_bDpT10_ENKUlT_T0_E_clISt17integral_constantIbLb0EES1U_EEDaS1P_S1Q_EUlS1P_E_NS1_11comp_targetILNS1_3genE5ELNS1_11target_archE942ELNS1_3gpuE9ELNS1_3repE0EEENS1_30default_config_static_selectorELNS0_4arch9wavefront6targetE0EEEvS12_,@function
_ZN7rocprim17ROCPRIM_400000_NS6detail17trampoline_kernelINS0_13select_configILj256ELj13ELNS0_17block_load_methodE3ELS4_3ELS4_3ELNS0_20block_scan_algorithmE0ELj4294967295EEENS1_25partition_config_selectorILNS1_17partition_subalgoE4EjNS0_10empty_typeEbEEZZNS1_14partition_implILS8_4ELb0ES6_15HIP_vector_typeIjLj2EENS0_17counting_iteratorIjlEEPS9_SG_NS0_5tupleIJPjSI_NS0_16reverse_iteratorISI_EEEEENSH_IJSG_SG_SG_EEES9_SI_JZNS1_25segmented_radix_sort_implINS0_14default_configELb1EPKdPdPKlPlN2at6native12_GLOBAL__N_18offset_tEEE10hipError_tPvRmT1_PNSt15iterator_traitsIS12_E10value_typeET2_T3_PNS13_IS18_E10value_typeET4_jRbjT5_S1E_jjP12ihipStream_tbEUljE_ZNSN_ISO_Lb1ESQ_SR_ST_SU_SY_EESZ_S10_S11_S12_S16_S17_S18_S1B_S1C_jS1D_jS1E_S1E_jjS1G_bEUljE0_EEESZ_S10_S11_S18_S1C_S1E_T6_T7_T9_mT8_S1G_bDpT10_ENKUlT_T0_E_clISt17integral_constantIbLb0EES1U_EEDaS1P_S1Q_EUlS1P_E_NS1_11comp_targetILNS1_3genE5ELNS1_11target_archE942ELNS1_3gpuE9ELNS1_3repE0EEENS1_30default_config_static_selectorELNS0_4arch9wavefront6targetE0EEEvS12_: ; @_ZN7rocprim17ROCPRIM_400000_NS6detail17trampoline_kernelINS0_13select_configILj256ELj13ELNS0_17block_load_methodE3ELS4_3ELS4_3ELNS0_20block_scan_algorithmE0ELj4294967295EEENS1_25partition_config_selectorILNS1_17partition_subalgoE4EjNS0_10empty_typeEbEEZZNS1_14partition_implILS8_4ELb0ES6_15HIP_vector_typeIjLj2EENS0_17counting_iteratorIjlEEPS9_SG_NS0_5tupleIJPjSI_NS0_16reverse_iteratorISI_EEEEENSH_IJSG_SG_SG_EEES9_SI_JZNS1_25segmented_radix_sort_implINS0_14default_configELb1EPKdPdPKlPlN2at6native12_GLOBAL__N_18offset_tEEE10hipError_tPvRmT1_PNSt15iterator_traitsIS12_E10value_typeET2_T3_PNS13_IS18_E10value_typeET4_jRbjT5_S1E_jjP12ihipStream_tbEUljE_ZNSN_ISO_Lb1ESQ_SR_ST_SU_SY_EESZ_S10_S11_S12_S16_S17_S18_S1B_S1C_jS1D_jS1E_S1E_jjS1G_bEUljE0_EEESZ_S10_S11_S18_S1C_S1E_T6_T7_T9_mT8_S1G_bDpT10_ENKUlT_T0_E_clISt17integral_constantIbLb0EES1U_EEDaS1P_S1Q_EUlS1P_E_NS1_11comp_targetILNS1_3genE5ELNS1_11target_archE942ELNS1_3gpuE9ELNS1_3repE0EEENS1_30default_config_static_selectorELNS0_4arch9wavefront6targetE0EEEvS12_
; %bb.0:
	.section	.rodata,"a",@progbits
	.p2align	6, 0x0
	.amdhsa_kernel _ZN7rocprim17ROCPRIM_400000_NS6detail17trampoline_kernelINS0_13select_configILj256ELj13ELNS0_17block_load_methodE3ELS4_3ELS4_3ELNS0_20block_scan_algorithmE0ELj4294967295EEENS1_25partition_config_selectorILNS1_17partition_subalgoE4EjNS0_10empty_typeEbEEZZNS1_14partition_implILS8_4ELb0ES6_15HIP_vector_typeIjLj2EENS0_17counting_iteratorIjlEEPS9_SG_NS0_5tupleIJPjSI_NS0_16reverse_iteratorISI_EEEEENSH_IJSG_SG_SG_EEES9_SI_JZNS1_25segmented_radix_sort_implINS0_14default_configELb1EPKdPdPKlPlN2at6native12_GLOBAL__N_18offset_tEEE10hipError_tPvRmT1_PNSt15iterator_traitsIS12_E10value_typeET2_T3_PNS13_IS18_E10value_typeET4_jRbjT5_S1E_jjP12ihipStream_tbEUljE_ZNSN_ISO_Lb1ESQ_SR_ST_SU_SY_EESZ_S10_S11_S12_S16_S17_S18_S1B_S1C_jS1D_jS1E_S1E_jjS1G_bEUljE0_EEESZ_S10_S11_S18_S1C_S1E_T6_T7_T9_mT8_S1G_bDpT10_ENKUlT_T0_E_clISt17integral_constantIbLb0EES1U_EEDaS1P_S1Q_EUlS1P_E_NS1_11comp_targetILNS1_3genE5ELNS1_11target_archE942ELNS1_3gpuE9ELNS1_3repE0EEENS1_30default_config_static_selectorELNS0_4arch9wavefront6targetE0EEEvS12_
		.amdhsa_group_segment_fixed_size 0
		.amdhsa_private_segment_fixed_size 0
		.amdhsa_kernarg_size 176
		.amdhsa_user_sgpr_count 2
		.amdhsa_user_sgpr_dispatch_ptr 0
		.amdhsa_user_sgpr_queue_ptr 0
		.amdhsa_user_sgpr_kernarg_segment_ptr 1
		.amdhsa_user_sgpr_dispatch_id 0
		.amdhsa_user_sgpr_private_segment_size 0
		.amdhsa_wavefront_size32 1
		.amdhsa_uses_dynamic_stack 0
		.amdhsa_enable_private_segment 0
		.amdhsa_system_sgpr_workgroup_id_x 1
		.amdhsa_system_sgpr_workgroup_id_y 0
		.amdhsa_system_sgpr_workgroup_id_z 0
		.amdhsa_system_sgpr_workgroup_info 0
		.amdhsa_system_vgpr_workitem_id 0
		.amdhsa_next_free_vgpr 1
		.amdhsa_next_free_sgpr 1
		.amdhsa_reserve_vcc 0
		.amdhsa_float_round_mode_32 0
		.amdhsa_float_round_mode_16_64 0
		.amdhsa_float_denorm_mode_32 3
		.amdhsa_float_denorm_mode_16_64 3
		.amdhsa_fp16_overflow 0
		.amdhsa_workgroup_processor_mode 1
		.amdhsa_memory_ordered 1
		.amdhsa_forward_progress 1
		.amdhsa_inst_pref_size 0
		.amdhsa_round_robin_scheduling 0
		.amdhsa_exception_fp_ieee_invalid_op 0
		.amdhsa_exception_fp_denorm_src 0
		.amdhsa_exception_fp_ieee_div_zero 0
		.amdhsa_exception_fp_ieee_overflow 0
		.amdhsa_exception_fp_ieee_underflow 0
		.amdhsa_exception_fp_ieee_inexact 0
		.amdhsa_exception_int_div_zero 0
	.end_amdhsa_kernel
	.section	.text._ZN7rocprim17ROCPRIM_400000_NS6detail17trampoline_kernelINS0_13select_configILj256ELj13ELNS0_17block_load_methodE3ELS4_3ELS4_3ELNS0_20block_scan_algorithmE0ELj4294967295EEENS1_25partition_config_selectorILNS1_17partition_subalgoE4EjNS0_10empty_typeEbEEZZNS1_14partition_implILS8_4ELb0ES6_15HIP_vector_typeIjLj2EENS0_17counting_iteratorIjlEEPS9_SG_NS0_5tupleIJPjSI_NS0_16reverse_iteratorISI_EEEEENSH_IJSG_SG_SG_EEES9_SI_JZNS1_25segmented_radix_sort_implINS0_14default_configELb1EPKdPdPKlPlN2at6native12_GLOBAL__N_18offset_tEEE10hipError_tPvRmT1_PNSt15iterator_traitsIS12_E10value_typeET2_T3_PNS13_IS18_E10value_typeET4_jRbjT5_S1E_jjP12ihipStream_tbEUljE_ZNSN_ISO_Lb1ESQ_SR_ST_SU_SY_EESZ_S10_S11_S12_S16_S17_S18_S1B_S1C_jS1D_jS1E_S1E_jjS1G_bEUljE0_EEESZ_S10_S11_S18_S1C_S1E_T6_T7_T9_mT8_S1G_bDpT10_ENKUlT_T0_E_clISt17integral_constantIbLb0EES1U_EEDaS1P_S1Q_EUlS1P_E_NS1_11comp_targetILNS1_3genE5ELNS1_11target_archE942ELNS1_3gpuE9ELNS1_3repE0EEENS1_30default_config_static_selectorELNS0_4arch9wavefront6targetE0EEEvS12_,"axG",@progbits,_ZN7rocprim17ROCPRIM_400000_NS6detail17trampoline_kernelINS0_13select_configILj256ELj13ELNS0_17block_load_methodE3ELS4_3ELS4_3ELNS0_20block_scan_algorithmE0ELj4294967295EEENS1_25partition_config_selectorILNS1_17partition_subalgoE4EjNS0_10empty_typeEbEEZZNS1_14partition_implILS8_4ELb0ES6_15HIP_vector_typeIjLj2EENS0_17counting_iteratorIjlEEPS9_SG_NS0_5tupleIJPjSI_NS0_16reverse_iteratorISI_EEEEENSH_IJSG_SG_SG_EEES9_SI_JZNS1_25segmented_radix_sort_implINS0_14default_configELb1EPKdPdPKlPlN2at6native12_GLOBAL__N_18offset_tEEE10hipError_tPvRmT1_PNSt15iterator_traitsIS12_E10value_typeET2_T3_PNS13_IS18_E10value_typeET4_jRbjT5_S1E_jjP12ihipStream_tbEUljE_ZNSN_ISO_Lb1ESQ_SR_ST_SU_SY_EESZ_S10_S11_S12_S16_S17_S18_S1B_S1C_jS1D_jS1E_S1E_jjS1G_bEUljE0_EEESZ_S10_S11_S18_S1C_S1E_T6_T7_T9_mT8_S1G_bDpT10_ENKUlT_T0_E_clISt17integral_constantIbLb0EES1U_EEDaS1P_S1Q_EUlS1P_E_NS1_11comp_targetILNS1_3genE5ELNS1_11target_archE942ELNS1_3gpuE9ELNS1_3repE0EEENS1_30default_config_static_selectorELNS0_4arch9wavefront6targetE0EEEvS12_,comdat
.Lfunc_end1055:
	.size	_ZN7rocprim17ROCPRIM_400000_NS6detail17trampoline_kernelINS0_13select_configILj256ELj13ELNS0_17block_load_methodE3ELS4_3ELS4_3ELNS0_20block_scan_algorithmE0ELj4294967295EEENS1_25partition_config_selectorILNS1_17partition_subalgoE4EjNS0_10empty_typeEbEEZZNS1_14partition_implILS8_4ELb0ES6_15HIP_vector_typeIjLj2EENS0_17counting_iteratorIjlEEPS9_SG_NS0_5tupleIJPjSI_NS0_16reverse_iteratorISI_EEEEENSH_IJSG_SG_SG_EEES9_SI_JZNS1_25segmented_radix_sort_implINS0_14default_configELb1EPKdPdPKlPlN2at6native12_GLOBAL__N_18offset_tEEE10hipError_tPvRmT1_PNSt15iterator_traitsIS12_E10value_typeET2_T3_PNS13_IS18_E10value_typeET4_jRbjT5_S1E_jjP12ihipStream_tbEUljE_ZNSN_ISO_Lb1ESQ_SR_ST_SU_SY_EESZ_S10_S11_S12_S16_S17_S18_S1B_S1C_jS1D_jS1E_S1E_jjS1G_bEUljE0_EEESZ_S10_S11_S18_S1C_S1E_T6_T7_T9_mT8_S1G_bDpT10_ENKUlT_T0_E_clISt17integral_constantIbLb0EES1U_EEDaS1P_S1Q_EUlS1P_E_NS1_11comp_targetILNS1_3genE5ELNS1_11target_archE942ELNS1_3gpuE9ELNS1_3repE0EEENS1_30default_config_static_selectorELNS0_4arch9wavefront6targetE0EEEvS12_, .Lfunc_end1055-_ZN7rocprim17ROCPRIM_400000_NS6detail17trampoline_kernelINS0_13select_configILj256ELj13ELNS0_17block_load_methodE3ELS4_3ELS4_3ELNS0_20block_scan_algorithmE0ELj4294967295EEENS1_25partition_config_selectorILNS1_17partition_subalgoE4EjNS0_10empty_typeEbEEZZNS1_14partition_implILS8_4ELb0ES6_15HIP_vector_typeIjLj2EENS0_17counting_iteratorIjlEEPS9_SG_NS0_5tupleIJPjSI_NS0_16reverse_iteratorISI_EEEEENSH_IJSG_SG_SG_EEES9_SI_JZNS1_25segmented_radix_sort_implINS0_14default_configELb1EPKdPdPKlPlN2at6native12_GLOBAL__N_18offset_tEEE10hipError_tPvRmT1_PNSt15iterator_traitsIS12_E10value_typeET2_T3_PNS13_IS18_E10value_typeET4_jRbjT5_S1E_jjP12ihipStream_tbEUljE_ZNSN_ISO_Lb1ESQ_SR_ST_SU_SY_EESZ_S10_S11_S12_S16_S17_S18_S1B_S1C_jS1D_jS1E_S1E_jjS1G_bEUljE0_EEESZ_S10_S11_S18_S1C_S1E_T6_T7_T9_mT8_S1G_bDpT10_ENKUlT_T0_E_clISt17integral_constantIbLb0EES1U_EEDaS1P_S1Q_EUlS1P_E_NS1_11comp_targetILNS1_3genE5ELNS1_11target_archE942ELNS1_3gpuE9ELNS1_3repE0EEENS1_30default_config_static_selectorELNS0_4arch9wavefront6targetE0EEEvS12_
                                        ; -- End function
	.set _ZN7rocprim17ROCPRIM_400000_NS6detail17trampoline_kernelINS0_13select_configILj256ELj13ELNS0_17block_load_methodE3ELS4_3ELS4_3ELNS0_20block_scan_algorithmE0ELj4294967295EEENS1_25partition_config_selectorILNS1_17partition_subalgoE4EjNS0_10empty_typeEbEEZZNS1_14partition_implILS8_4ELb0ES6_15HIP_vector_typeIjLj2EENS0_17counting_iteratorIjlEEPS9_SG_NS0_5tupleIJPjSI_NS0_16reverse_iteratorISI_EEEEENSH_IJSG_SG_SG_EEES9_SI_JZNS1_25segmented_radix_sort_implINS0_14default_configELb1EPKdPdPKlPlN2at6native12_GLOBAL__N_18offset_tEEE10hipError_tPvRmT1_PNSt15iterator_traitsIS12_E10value_typeET2_T3_PNS13_IS18_E10value_typeET4_jRbjT5_S1E_jjP12ihipStream_tbEUljE_ZNSN_ISO_Lb1ESQ_SR_ST_SU_SY_EESZ_S10_S11_S12_S16_S17_S18_S1B_S1C_jS1D_jS1E_S1E_jjS1G_bEUljE0_EEESZ_S10_S11_S18_S1C_S1E_T6_T7_T9_mT8_S1G_bDpT10_ENKUlT_T0_E_clISt17integral_constantIbLb0EES1U_EEDaS1P_S1Q_EUlS1P_E_NS1_11comp_targetILNS1_3genE5ELNS1_11target_archE942ELNS1_3gpuE9ELNS1_3repE0EEENS1_30default_config_static_selectorELNS0_4arch9wavefront6targetE0EEEvS12_.num_vgpr, 0
	.set _ZN7rocprim17ROCPRIM_400000_NS6detail17trampoline_kernelINS0_13select_configILj256ELj13ELNS0_17block_load_methodE3ELS4_3ELS4_3ELNS0_20block_scan_algorithmE0ELj4294967295EEENS1_25partition_config_selectorILNS1_17partition_subalgoE4EjNS0_10empty_typeEbEEZZNS1_14partition_implILS8_4ELb0ES6_15HIP_vector_typeIjLj2EENS0_17counting_iteratorIjlEEPS9_SG_NS0_5tupleIJPjSI_NS0_16reverse_iteratorISI_EEEEENSH_IJSG_SG_SG_EEES9_SI_JZNS1_25segmented_radix_sort_implINS0_14default_configELb1EPKdPdPKlPlN2at6native12_GLOBAL__N_18offset_tEEE10hipError_tPvRmT1_PNSt15iterator_traitsIS12_E10value_typeET2_T3_PNS13_IS18_E10value_typeET4_jRbjT5_S1E_jjP12ihipStream_tbEUljE_ZNSN_ISO_Lb1ESQ_SR_ST_SU_SY_EESZ_S10_S11_S12_S16_S17_S18_S1B_S1C_jS1D_jS1E_S1E_jjS1G_bEUljE0_EEESZ_S10_S11_S18_S1C_S1E_T6_T7_T9_mT8_S1G_bDpT10_ENKUlT_T0_E_clISt17integral_constantIbLb0EES1U_EEDaS1P_S1Q_EUlS1P_E_NS1_11comp_targetILNS1_3genE5ELNS1_11target_archE942ELNS1_3gpuE9ELNS1_3repE0EEENS1_30default_config_static_selectorELNS0_4arch9wavefront6targetE0EEEvS12_.num_agpr, 0
	.set _ZN7rocprim17ROCPRIM_400000_NS6detail17trampoline_kernelINS0_13select_configILj256ELj13ELNS0_17block_load_methodE3ELS4_3ELS4_3ELNS0_20block_scan_algorithmE0ELj4294967295EEENS1_25partition_config_selectorILNS1_17partition_subalgoE4EjNS0_10empty_typeEbEEZZNS1_14partition_implILS8_4ELb0ES6_15HIP_vector_typeIjLj2EENS0_17counting_iteratorIjlEEPS9_SG_NS0_5tupleIJPjSI_NS0_16reverse_iteratorISI_EEEEENSH_IJSG_SG_SG_EEES9_SI_JZNS1_25segmented_radix_sort_implINS0_14default_configELb1EPKdPdPKlPlN2at6native12_GLOBAL__N_18offset_tEEE10hipError_tPvRmT1_PNSt15iterator_traitsIS12_E10value_typeET2_T3_PNS13_IS18_E10value_typeET4_jRbjT5_S1E_jjP12ihipStream_tbEUljE_ZNSN_ISO_Lb1ESQ_SR_ST_SU_SY_EESZ_S10_S11_S12_S16_S17_S18_S1B_S1C_jS1D_jS1E_S1E_jjS1G_bEUljE0_EEESZ_S10_S11_S18_S1C_S1E_T6_T7_T9_mT8_S1G_bDpT10_ENKUlT_T0_E_clISt17integral_constantIbLb0EES1U_EEDaS1P_S1Q_EUlS1P_E_NS1_11comp_targetILNS1_3genE5ELNS1_11target_archE942ELNS1_3gpuE9ELNS1_3repE0EEENS1_30default_config_static_selectorELNS0_4arch9wavefront6targetE0EEEvS12_.numbered_sgpr, 0
	.set _ZN7rocprim17ROCPRIM_400000_NS6detail17trampoline_kernelINS0_13select_configILj256ELj13ELNS0_17block_load_methodE3ELS4_3ELS4_3ELNS0_20block_scan_algorithmE0ELj4294967295EEENS1_25partition_config_selectorILNS1_17partition_subalgoE4EjNS0_10empty_typeEbEEZZNS1_14partition_implILS8_4ELb0ES6_15HIP_vector_typeIjLj2EENS0_17counting_iteratorIjlEEPS9_SG_NS0_5tupleIJPjSI_NS0_16reverse_iteratorISI_EEEEENSH_IJSG_SG_SG_EEES9_SI_JZNS1_25segmented_radix_sort_implINS0_14default_configELb1EPKdPdPKlPlN2at6native12_GLOBAL__N_18offset_tEEE10hipError_tPvRmT1_PNSt15iterator_traitsIS12_E10value_typeET2_T3_PNS13_IS18_E10value_typeET4_jRbjT5_S1E_jjP12ihipStream_tbEUljE_ZNSN_ISO_Lb1ESQ_SR_ST_SU_SY_EESZ_S10_S11_S12_S16_S17_S18_S1B_S1C_jS1D_jS1E_S1E_jjS1G_bEUljE0_EEESZ_S10_S11_S18_S1C_S1E_T6_T7_T9_mT8_S1G_bDpT10_ENKUlT_T0_E_clISt17integral_constantIbLb0EES1U_EEDaS1P_S1Q_EUlS1P_E_NS1_11comp_targetILNS1_3genE5ELNS1_11target_archE942ELNS1_3gpuE9ELNS1_3repE0EEENS1_30default_config_static_selectorELNS0_4arch9wavefront6targetE0EEEvS12_.num_named_barrier, 0
	.set _ZN7rocprim17ROCPRIM_400000_NS6detail17trampoline_kernelINS0_13select_configILj256ELj13ELNS0_17block_load_methodE3ELS4_3ELS4_3ELNS0_20block_scan_algorithmE0ELj4294967295EEENS1_25partition_config_selectorILNS1_17partition_subalgoE4EjNS0_10empty_typeEbEEZZNS1_14partition_implILS8_4ELb0ES6_15HIP_vector_typeIjLj2EENS0_17counting_iteratorIjlEEPS9_SG_NS0_5tupleIJPjSI_NS0_16reverse_iteratorISI_EEEEENSH_IJSG_SG_SG_EEES9_SI_JZNS1_25segmented_radix_sort_implINS0_14default_configELb1EPKdPdPKlPlN2at6native12_GLOBAL__N_18offset_tEEE10hipError_tPvRmT1_PNSt15iterator_traitsIS12_E10value_typeET2_T3_PNS13_IS18_E10value_typeET4_jRbjT5_S1E_jjP12ihipStream_tbEUljE_ZNSN_ISO_Lb1ESQ_SR_ST_SU_SY_EESZ_S10_S11_S12_S16_S17_S18_S1B_S1C_jS1D_jS1E_S1E_jjS1G_bEUljE0_EEESZ_S10_S11_S18_S1C_S1E_T6_T7_T9_mT8_S1G_bDpT10_ENKUlT_T0_E_clISt17integral_constantIbLb0EES1U_EEDaS1P_S1Q_EUlS1P_E_NS1_11comp_targetILNS1_3genE5ELNS1_11target_archE942ELNS1_3gpuE9ELNS1_3repE0EEENS1_30default_config_static_selectorELNS0_4arch9wavefront6targetE0EEEvS12_.private_seg_size, 0
	.set _ZN7rocprim17ROCPRIM_400000_NS6detail17trampoline_kernelINS0_13select_configILj256ELj13ELNS0_17block_load_methodE3ELS4_3ELS4_3ELNS0_20block_scan_algorithmE0ELj4294967295EEENS1_25partition_config_selectorILNS1_17partition_subalgoE4EjNS0_10empty_typeEbEEZZNS1_14partition_implILS8_4ELb0ES6_15HIP_vector_typeIjLj2EENS0_17counting_iteratorIjlEEPS9_SG_NS0_5tupleIJPjSI_NS0_16reverse_iteratorISI_EEEEENSH_IJSG_SG_SG_EEES9_SI_JZNS1_25segmented_radix_sort_implINS0_14default_configELb1EPKdPdPKlPlN2at6native12_GLOBAL__N_18offset_tEEE10hipError_tPvRmT1_PNSt15iterator_traitsIS12_E10value_typeET2_T3_PNS13_IS18_E10value_typeET4_jRbjT5_S1E_jjP12ihipStream_tbEUljE_ZNSN_ISO_Lb1ESQ_SR_ST_SU_SY_EESZ_S10_S11_S12_S16_S17_S18_S1B_S1C_jS1D_jS1E_S1E_jjS1G_bEUljE0_EEESZ_S10_S11_S18_S1C_S1E_T6_T7_T9_mT8_S1G_bDpT10_ENKUlT_T0_E_clISt17integral_constantIbLb0EES1U_EEDaS1P_S1Q_EUlS1P_E_NS1_11comp_targetILNS1_3genE5ELNS1_11target_archE942ELNS1_3gpuE9ELNS1_3repE0EEENS1_30default_config_static_selectorELNS0_4arch9wavefront6targetE0EEEvS12_.uses_vcc, 0
	.set _ZN7rocprim17ROCPRIM_400000_NS6detail17trampoline_kernelINS0_13select_configILj256ELj13ELNS0_17block_load_methodE3ELS4_3ELS4_3ELNS0_20block_scan_algorithmE0ELj4294967295EEENS1_25partition_config_selectorILNS1_17partition_subalgoE4EjNS0_10empty_typeEbEEZZNS1_14partition_implILS8_4ELb0ES6_15HIP_vector_typeIjLj2EENS0_17counting_iteratorIjlEEPS9_SG_NS0_5tupleIJPjSI_NS0_16reverse_iteratorISI_EEEEENSH_IJSG_SG_SG_EEES9_SI_JZNS1_25segmented_radix_sort_implINS0_14default_configELb1EPKdPdPKlPlN2at6native12_GLOBAL__N_18offset_tEEE10hipError_tPvRmT1_PNSt15iterator_traitsIS12_E10value_typeET2_T3_PNS13_IS18_E10value_typeET4_jRbjT5_S1E_jjP12ihipStream_tbEUljE_ZNSN_ISO_Lb1ESQ_SR_ST_SU_SY_EESZ_S10_S11_S12_S16_S17_S18_S1B_S1C_jS1D_jS1E_S1E_jjS1G_bEUljE0_EEESZ_S10_S11_S18_S1C_S1E_T6_T7_T9_mT8_S1G_bDpT10_ENKUlT_T0_E_clISt17integral_constantIbLb0EES1U_EEDaS1P_S1Q_EUlS1P_E_NS1_11comp_targetILNS1_3genE5ELNS1_11target_archE942ELNS1_3gpuE9ELNS1_3repE0EEENS1_30default_config_static_selectorELNS0_4arch9wavefront6targetE0EEEvS12_.uses_flat_scratch, 0
	.set _ZN7rocprim17ROCPRIM_400000_NS6detail17trampoline_kernelINS0_13select_configILj256ELj13ELNS0_17block_load_methodE3ELS4_3ELS4_3ELNS0_20block_scan_algorithmE0ELj4294967295EEENS1_25partition_config_selectorILNS1_17partition_subalgoE4EjNS0_10empty_typeEbEEZZNS1_14partition_implILS8_4ELb0ES6_15HIP_vector_typeIjLj2EENS0_17counting_iteratorIjlEEPS9_SG_NS0_5tupleIJPjSI_NS0_16reverse_iteratorISI_EEEEENSH_IJSG_SG_SG_EEES9_SI_JZNS1_25segmented_radix_sort_implINS0_14default_configELb1EPKdPdPKlPlN2at6native12_GLOBAL__N_18offset_tEEE10hipError_tPvRmT1_PNSt15iterator_traitsIS12_E10value_typeET2_T3_PNS13_IS18_E10value_typeET4_jRbjT5_S1E_jjP12ihipStream_tbEUljE_ZNSN_ISO_Lb1ESQ_SR_ST_SU_SY_EESZ_S10_S11_S12_S16_S17_S18_S1B_S1C_jS1D_jS1E_S1E_jjS1G_bEUljE0_EEESZ_S10_S11_S18_S1C_S1E_T6_T7_T9_mT8_S1G_bDpT10_ENKUlT_T0_E_clISt17integral_constantIbLb0EES1U_EEDaS1P_S1Q_EUlS1P_E_NS1_11comp_targetILNS1_3genE5ELNS1_11target_archE942ELNS1_3gpuE9ELNS1_3repE0EEENS1_30default_config_static_selectorELNS0_4arch9wavefront6targetE0EEEvS12_.has_dyn_sized_stack, 0
	.set _ZN7rocprim17ROCPRIM_400000_NS6detail17trampoline_kernelINS0_13select_configILj256ELj13ELNS0_17block_load_methodE3ELS4_3ELS4_3ELNS0_20block_scan_algorithmE0ELj4294967295EEENS1_25partition_config_selectorILNS1_17partition_subalgoE4EjNS0_10empty_typeEbEEZZNS1_14partition_implILS8_4ELb0ES6_15HIP_vector_typeIjLj2EENS0_17counting_iteratorIjlEEPS9_SG_NS0_5tupleIJPjSI_NS0_16reverse_iteratorISI_EEEEENSH_IJSG_SG_SG_EEES9_SI_JZNS1_25segmented_radix_sort_implINS0_14default_configELb1EPKdPdPKlPlN2at6native12_GLOBAL__N_18offset_tEEE10hipError_tPvRmT1_PNSt15iterator_traitsIS12_E10value_typeET2_T3_PNS13_IS18_E10value_typeET4_jRbjT5_S1E_jjP12ihipStream_tbEUljE_ZNSN_ISO_Lb1ESQ_SR_ST_SU_SY_EESZ_S10_S11_S12_S16_S17_S18_S1B_S1C_jS1D_jS1E_S1E_jjS1G_bEUljE0_EEESZ_S10_S11_S18_S1C_S1E_T6_T7_T9_mT8_S1G_bDpT10_ENKUlT_T0_E_clISt17integral_constantIbLb0EES1U_EEDaS1P_S1Q_EUlS1P_E_NS1_11comp_targetILNS1_3genE5ELNS1_11target_archE942ELNS1_3gpuE9ELNS1_3repE0EEENS1_30default_config_static_selectorELNS0_4arch9wavefront6targetE0EEEvS12_.has_recursion, 0
	.set _ZN7rocprim17ROCPRIM_400000_NS6detail17trampoline_kernelINS0_13select_configILj256ELj13ELNS0_17block_load_methodE3ELS4_3ELS4_3ELNS0_20block_scan_algorithmE0ELj4294967295EEENS1_25partition_config_selectorILNS1_17partition_subalgoE4EjNS0_10empty_typeEbEEZZNS1_14partition_implILS8_4ELb0ES6_15HIP_vector_typeIjLj2EENS0_17counting_iteratorIjlEEPS9_SG_NS0_5tupleIJPjSI_NS0_16reverse_iteratorISI_EEEEENSH_IJSG_SG_SG_EEES9_SI_JZNS1_25segmented_radix_sort_implINS0_14default_configELb1EPKdPdPKlPlN2at6native12_GLOBAL__N_18offset_tEEE10hipError_tPvRmT1_PNSt15iterator_traitsIS12_E10value_typeET2_T3_PNS13_IS18_E10value_typeET4_jRbjT5_S1E_jjP12ihipStream_tbEUljE_ZNSN_ISO_Lb1ESQ_SR_ST_SU_SY_EESZ_S10_S11_S12_S16_S17_S18_S1B_S1C_jS1D_jS1E_S1E_jjS1G_bEUljE0_EEESZ_S10_S11_S18_S1C_S1E_T6_T7_T9_mT8_S1G_bDpT10_ENKUlT_T0_E_clISt17integral_constantIbLb0EES1U_EEDaS1P_S1Q_EUlS1P_E_NS1_11comp_targetILNS1_3genE5ELNS1_11target_archE942ELNS1_3gpuE9ELNS1_3repE0EEENS1_30default_config_static_selectorELNS0_4arch9wavefront6targetE0EEEvS12_.has_indirect_call, 0
	.section	.AMDGPU.csdata,"",@progbits
; Kernel info:
; codeLenInByte = 0
; TotalNumSgprs: 0
; NumVgprs: 0
; ScratchSize: 0
; MemoryBound: 0
; FloatMode: 240
; IeeeMode: 1
; LDSByteSize: 0 bytes/workgroup (compile time only)
; SGPRBlocks: 0
; VGPRBlocks: 0
; NumSGPRsForWavesPerEU: 1
; NumVGPRsForWavesPerEU: 1
; Occupancy: 16
; WaveLimiterHint : 0
; COMPUTE_PGM_RSRC2:SCRATCH_EN: 0
; COMPUTE_PGM_RSRC2:USER_SGPR: 2
; COMPUTE_PGM_RSRC2:TRAP_HANDLER: 0
; COMPUTE_PGM_RSRC2:TGID_X_EN: 1
; COMPUTE_PGM_RSRC2:TGID_Y_EN: 0
; COMPUTE_PGM_RSRC2:TGID_Z_EN: 0
; COMPUTE_PGM_RSRC2:TIDIG_COMP_CNT: 0
	.section	.text._ZN7rocprim17ROCPRIM_400000_NS6detail17trampoline_kernelINS0_13select_configILj256ELj13ELNS0_17block_load_methodE3ELS4_3ELS4_3ELNS0_20block_scan_algorithmE0ELj4294967295EEENS1_25partition_config_selectorILNS1_17partition_subalgoE4EjNS0_10empty_typeEbEEZZNS1_14partition_implILS8_4ELb0ES6_15HIP_vector_typeIjLj2EENS0_17counting_iteratorIjlEEPS9_SG_NS0_5tupleIJPjSI_NS0_16reverse_iteratorISI_EEEEENSH_IJSG_SG_SG_EEES9_SI_JZNS1_25segmented_radix_sort_implINS0_14default_configELb1EPKdPdPKlPlN2at6native12_GLOBAL__N_18offset_tEEE10hipError_tPvRmT1_PNSt15iterator_traitsIS12_E10value_typeET2_T3_PNS13_IS18_E10value_typeET4_jRbjT5_S1E_jjP12ihipStream_tbEUljE_ZNSN_ISO_Lb1ESQ_SR_ST_SU_SY_EESZ_S10_S11_S12_S16_S17_S18_S1B_S1C_jS1D_jS1E_S1E_jjS1G_bEUljE0_EEESZ_S10_S11_S18_S1C_S1E_T6_T7_T9_mT8_S1G_bDpT10_ENKUlT_T0_E_clISt17integral_constantIbLb0EES1U_EEDaS1P_S1Q_EUlS1P_E_NS1_11comp_targetILNS1_3genE4ELNS1_11target_archE910ELNS1_3gpuE8ELNS1_3repE0EEENS1_30default_config_static_selectorELNS0_4arch9wavefront6targetE0EEEvS12_,"axG",@progbits,_ZN7rocprim17ROCPRIM_400000_NS6detail17trampoline_kernelINS0_13select_configILj256ELj13ELNS0_17block_load_methodE3ELS4_3ELS4_3ELNS0_20block_scan_algorithmE0ELj4294967295EEENS1_25partition_config_selectorILNS1_17partition_subalgoE4EjNS0_10empty_typeEbEEZZNS1_14partition_implILS8_4ELb0ES6_15HIP_vector_typeIjLj2EENS0_17counting_iteratorIjlEEPS9_SG_NS0_5tupleIJPjSI_NS0_16reverse_iteratorISI_EEEEENSH_IJSG_SG_SG_EEES9_SI_JZNS1_25segmented_radix_sort_implINS0_14default_configELb1EPKdPdPKlPlN2at6native12_GLOBAL__N_18offset_tEEE10hipError_tPvRmT1_PNSt15iterator_traitsIS12_E10value_typeET2_T3_PNS13_IS18_E10value_typeET4_jRbjT5_S1E_jjP12ihipStream_tbEUljE_ZNSN_ISO_Lb1ESQ_SR_ST_SU_SY_EESZ_S10_S11_S12_S16_S17_S18_S1B_S1C_jS1D_jS1E_S1E_jjS1G_bEUljE0_EEESZ_S10_S11_S18_S1C_S1E_T6_T7_T9_mT8_S1G_bDpT10_ENKUlT_T0_E_clISt17integral_constantIbLb0EES1U_EEDaS1P_S1Q_EUlS1P_E_NS1_11comp_targetILNS1_3genE4ELNS1_11target_archE910ELNS1_3gpuE8ELNS1_3repE0EEENS1_30default_config_static_selectorELNS0_4arch9wavefront6targetE0EEEvS12_,comdat
	.globl	_ZN7rocprim17ROCPRIM_400000_NS6detail17trampoline_kernelINS0_13select_configILj256ELj13ELNS0_17block_load_methodE3ELS4_3ELS4_3ELNS0_20block_scan_algorithmE0ELj4294967295EEENS1_25partition_config_selectorILNS1_17partition_subalgoE4EjNS0_10empty_typeEbEEZZNS1_14partition_implILS8_4ELb0ES6_15HIP_vector_typeIjLj2EENS0_17counting_iteratorIjlEEPS9_SG_NS0_5tupleIJPjSI_NS0_16reverse_iteratorISI_EEEEENSH_IJSG_SG_SG_EEES9_SI_JZNS1_25segmented_radix_sort_implINS0_14default_configELb1EPKdPdPKlPlN2at6native12_GLOBAL__N_18offset_tEEE10hipError_tPvRmT1_PNSt15iterator_traitsIS12_E10value_typeET2_T3_PNS13_IS18_E10value_typeET4_jRbjT5_S1E_jjP12ihipStream_tbEUljE_ZNSN_ISO_Lb1ESQ_SR_ST_SU_SY_EESZ_S10_S11_S12_S16_S17_S18_S1B_S1C_jS1D_jS1E_S1E_jjS1G_bEUljE0_EEESZ_S10_S11_S18_S1C_S1E_T6_T7_T9_mT8_S1G_bDpT10_ENKUlT_T0_E_clISt17integral_constantIbLb0EES1U_EEDaS1P_S1Q_EUlS1P_E_NS1_11comp_targetILNS1_3genE4ELNS1_11target_archE910ELNS1_3gpuE8ELNS1_3repE0EEENS1_30default_config_static_selectorELNS0_4arch9wavefront6targetE0EEEvS12_ ; -- Begin function _ZN7rocprim17ROCPRIM_400000_NS6detail17trampoline_kernelINS0_13select_configILj256ELj13ELNS0_17block_load_methodE3ELS4_3ELS4_3ELNS0_20block_scan_algorithmE0ELj4294967295EEENS1_25partition_config_selectorILNS1_17partition_subalgoE4EjNS0_10empty_typeEbEEZZNS1_14partition_implILS8_4ELb0ES6_15HIP_vector_typeIjLj2EENS0_17counting_iteratorIjlEEPS9_SG_NS0_5tupleIJPjSI_NS0_16reverse_iteratorISI_EEEEENSH_IJSG_SG_SG_EEES9_SI_JZNS1_25segmented_radix_sort_implINS0_14default_configELb1EPKdPdPKlPlN2at6native12_GLOBAL__N_18offset_tEEE10hipError_tPvRmT1_PNSt15iterator_traitsIS12_E10value_typeET2_T3_PNS13_IS18_E10value_typeET4_jRbjT5_S1E_jjP12ihipStream_tbEUljE_ZNSN_ISO_Lb1ESQ_SR_ST_SU_SY_EESZ_S10_S11_S12_S16_S17_S18_S1B_S1C_jS1D_jS1E_S1E_jjS1G_bEUljE0_EEESZ_S10_S11_S18_S1C_S1E_T6_T7_T9_mT8_S1G_bDpT10_ENKUlT_T0_E_clISt17integral_constantIbLb0EES1U_EEDaS1P_S1Q_EUlS1P_E_NS1_11comp_targetILNS1_3genE4ELNS1_11target_archE910ELNS1_3gpuE8ELNS1_3repE0EEENS1_30default_config_static_selectorELNS0_4arch9wavefront6targetE0EEEvS12_
	.p2align	8
	.type	_ZN7rocprim17ROCPRIM_400000_NS6detail17trampoline_kernelINS0_13select_configILj256ELj13ELNS0_17block_load_methodE3ELS4_3ELS4_3ELNS0_20block_scan_algorithmE0ELj4294967295EEENS1_25partition_config_selectorILNS1_17partition_subalgoE4EjNS0_10empty_typeEbEEZZNS1_14partition_implILS8_4ELb0ES6_15HIP_vector_typeIjLj2EENS0_17counting_iteratorIjlEEPS9_SG_NS0_5tupleIJPjSI_NS0_16reverse_iteratorISI_EEEEENSH_IJSG_SG_SG_EEES9_SI_JZNS1_25segmented_radix_sort_implINS0_14default_configELb1EPKdPdPKlPlN2at6native12_GLOBAL__N_18offset_tEEE10hipError_tPvRmT1_PNSt15iterator_traitsIS12_E10value_typeET2_T3_PNS13_IS18_E10value_typeET4_jRbjT5_S1E_jjP12ihipStream_tbEUljE_ZNSN_ISO_Lb1ESQ_SR_ST_SU_SY_EESZ_S10_S11_S12_S16_S17_S18_S1B_S1C_jS1D_jS1E_S1E_jjS1G_bEUljE0_EEESZ_S10_S11_S18_S1C_S1E_T6_T7_T9_mT8_S1G_bDpT10_ENKUlT_T0_E_clISt17integral_constantIbLb0EES1U_EEDaS1P_S1Q_EUlS1P_E_NS1_11comp_targetILNS1_3genE4ELNS1_11target_archE910ELNS1_3gpuE8ELNS1_3repE0EEENS1_30default_config_static_selectorELNS0_4arch9wavefront6targetE0EEEvS12_,@function
_ZN7rocprim17ROCPRIM_400000_NS6detail17trampoline_kernelINS0_13select_configILj256ELj13ELNS0_17block_load_methodE3ELS4_3ELS4_3ELNS0_20block_scan_algorithmE0ELj4294967295EEENS1_25partition_config_selectorILNS1_17partition_subalgoE4EjNS0_10empty_typeEbEEZZNS1_14partition_implILS8_4ELb0ES6_15HIP_vector_typeIjLj2EENS0_17counting_iteratorIjlEEPS9_SG_NS0_5tupleIJPjSI_NS0_16reverse_iteratorISI_EEEEENSH_IJSG_SG_SG_EEES9_SI_JZNS1_25segmented_radix_sort_implINS0_14default_configELb1EPKdPdPKlPlN2at6native12_GLOBAL__N_18offset_tEEE10hipError_tPvRmT1_PNSt15iterator_traitsIS12_E10value_typeET2_T3_PNS13_IS18_E10value_typeET4_jRbjT5_S1E_jjP12ihipStream_tbEUljE_ZNSN_ISO_Lb1ESQ_SR_ST_SU_SY_EESZ_S10_S11_S12_S16_S17_S18_S1B_S1C_jS1D_jS1E_S1E_jjS1G_bEUljE0_EEESZ_S10_S11_S18_S1C_S1E_T6_T7_T9_mT8_S1G_bDpT10_ENKUlT_T0_E_clISt17integral_constantIbLb0EES1U_EEDaS1P_S1Q_EUlS1P_E_NS1_11comp_targetILNS1_3genE4ELNS1_11target_archE910ELNS1_3gpuE8ELNS1_3repE0EEENS1_30default_config_static_selectorELNS0_4arch9wavefront6targetE0EEEvS12_: ; @_ZN7rocprim17ROCPRIM_400000_NS6detail17trampoline_kernelINS0_13select_configILj256ELj13ELNS0_17block_load_methodE3ELS4_3ELS4_3ELNS0_20block_scan_algorithmE0ELj4294967295EEENS1_25partition_config_selectorILNS1_17partition_subalgoE4EjNS0_10empty_typeEbEEZZNS1_14partition_implILS8_4ELb0ES6_15HIP_vector_typeIjLj2EENS0_17counting_iteratorIjlEEPS9_SG_NS0_5tupleIJPjSI_NS0_16reverse_iteratorISI_EEEEENSH_IJSG_SG_SG_EEES9_SI_JZNS1_25segmented_radix_sort_implINS0_14default_configELb1EPKdPdPKlPlN2at6native12_GLOBAL__N_18offset_tEEE10hipError_tPvRmT1_PNSt15iterator_traitsIS12_E10value_typeET2_T3_PNS13_IS18_E10value_typeET4_jRbjT5_S1E_jjP12ihipStream_tbEUljE_ZNSN_ISO_Lb1ESQ_SR_ST_SU_SY_EESZ_S10_S11_S12_S16_S17_S18_S1B_S1C_jS1D_jS1E_S1E_jjS1G_bEUljE0_EEESZ_S10_S11_S18_S1C_S1E_T6_T7_T9_mT8_S1G_bDpT10_ENKUlT_T0_E_clISt17integral_constantIbLb0EES1U_EEDaS1P_S1Q_EUlS1P_E_NS1_11comp_targetILNS1_3genE4ELNS1_11target_archE910ELNS1_3gpuE8ELNS1_3repE0EEENS1_30default_config_static_selectorELNS0_4arch9wavefront6targetE0EEEvS12_
; %bb.0:
	.section	.rodata,"a",@progbits
	.p2align	6, 0x0
	.amdhsa_kernel _ZN7rocprim17ROCPRIM_400000_NS6detail17trampoline_kernelINS0_13select_configILj256ELj13ELNS0_17block_load_methodE3ELS4_3ELS4_3ELNS0_20block_scan_algorithmE0ELj4294967295EEENS1_25partition_config_selectorILNS1_17partition_subalgoE4EjNS0_10empty_typeEbEEZZNS1_14partition_implILS8_4ELb0ES6_15HIP_vector_typeIjLj2EENS0_17counting_iteratorIjlEEPS9_SG_NS0_5tupleIJPjSI_NS0_16reverse_iteratorISI_EEEEENSH_IJSG_SG_SG_EEES9_SI_JZNS1_25segmented_radix_sort_implINS0_14default_configELb1EPKdPdPKlPlN2at6native12_GLOBAL__N_18offset_tEEE10hipError_tPvRmT1_PNSt15iterator_traitsIS12_E10value_typeET2_T3_PNS13_IS18_E10value_typeET4_jRbjT5_S1E_jjP12ihipStream_tbEUljE_ZNSN_ISO_Lb1ESQ_SR_ST_SU_SY_EESZ_S10_S11_S12_S16_S17_S18_S1B_S1C_jS1D_jS1E_S1E_jjS1G_bEUljE0_EEESZ_S10_S11_S18_S1C_S1E_T6_T7_T9_mT8_S1G_bDpT10_ENKUlT_T0_E_clISt17integral_constantIbLb0EES1U_EEDaS1P_S1Q_EUlS1P_E_NS1_11comp_targetILNS1_3genE4ELNS1_11target_archE910ELNS1_3gpuE8ELNS1_3repE0EEENS1_30default_config_static_selectorELNS0_4arch9wavefront6targetE0EEEvS12_
		.amdhsa_group_segment_fixed_size 0
		.amdhsa_private_segment_fixed_size 0
		.amdhsa_kernarg_size 176
		.amdhsa_user_sgpr_count 2
		.amdhsa_user_sgpr_dispatch_ptr 0
		.amdhsa_user_sgpr_queue_ptr 0
		.amdhsa_user_sgpr_kernarg_segment_ptr 1
		.amdhsa_user_sgpr_dispatch_id 0
		.amdhsa_user_sgpr_private_segment_size 0
		.amdhsa_wavefront_size32 1
		.amdhsa_uses_dynamic_stack 0
		.amdhsa_enable_private_segment 0
		.amdhsa_system_sgpr_workgroup_id_x 1
		.amdhsa_system_sgpr_workgroup_id_y 0
		.amdhsa_system_sgpr_workgroup_id_z 0
		.amdhsa_system_sgpr_workgroup_info 0
		.amdhsa_system_vgpr_workitem_id 0
		.amdhsa_next_free_vgpr 1
		.amdhsa_next_free_sgpr 1
		.amdhsa_reserve_vcc 0
		.amdhsa_float_round_mode_32 0
		.amdhsa_float_round_mode_16_64 0
		.amdhsa_float_denorm_mode_32 3
		.amdhsa_float_denorm_mode_16_64 3
		.amdhsa_fp16_overflow 0
		.amdhsa_workgroup_processor_mode 1
		.amdhsa_memory_ordered 1
		.amdhsa_forward_progress 1
		.amdhsa_inst_pref_size 0
		.amdhsa_round_robin_scheduling 0
		.amdhsa_exception_fp_ieee_invalid_op 0
		.amdhsa_exception_fp_denorm_src 0
		.amdhsa_exception_fp_ieee_div_zero 0
		.amdhsa_exception_fp_ieee_overflow 0
		.amdhsa_exception_fp_ieee_underflow 0
		.amdhsa_exception_fp_ieee_inexact 0
		.amdhsa_exception_int_div_zero 0
	.end_amdhsa_kernel
	.section	.text._ZN7rocprim17ROCPRIM_400000_NS6detail17trampoline_kernelINS0_13select_configILj256ELj13ELNS0_17block_load_methodE3ELS4_3ELS4_3ELNS0_20block_scan_algorithmE0ELj4294967295EEENS1_25partition_config_selectorILNS1_17partition_subalgoE4EjNS0_10empty_typeEbEEZZNS1_14partition_implILS8_4ELb0ES6_15HIP_vector_typeIjLj2EENS0_17counting_iteratorIjlEEPS9_SG_NS0_5tupleIJPjSI_NS0_16reverse_iteratorISI_EEEEENSH_IJSG_SG_SG_EEES9_SI_JZNS1_25segmented_radix_sort_implINS0_14default_configELb1EPKdPdPKlPlN2at6native12_GLOBAL__N_18offset_tEEE10hipError_tPvRmT1_PNSt15iterator_traitsIS12_E10value_typeET2_T3_PNS13_IS18_E10value_typeET4_jRbjT5_S1E_jjP12ihipStream_tbEUljE_ZNSN_ISO_Lb1ESQ_SR_ST_SU_SY_EESZ_S10_S11_S12_S16_S17_S18_S1B_S1C_jS1D_jS1E_S1E_jjS1G_bEUljE0_EEESZ_S10_S11_S18_S1C_S1E_T6_T7_T9_mT8_S1G_bDpT10_ENKUlT_T0_E_clISt17integral_constantIbLb0EES1U_EEDaS1P_S1Q_EUlS1P_E_NS1_11comp_targetILNS1_3genE4ELNS1_11target_archE910ELNS1_3gpuE8ELNS1_3repE0EEENS1_30default_config_static_selectorELNS0_4arch9wavefront6targetE0EEEvS12_,"axG",@progbits,_ZN7rocprim17ROCPRIM_400000_NS6detail17trampoline_kernelINS0_13select_configILj256ELj13ELNS0_17block_load_methodE3ELS4_3ELS4_3ELNS0_20block_scan_algorithmE0ELj4294967295EEENS1_25partition_config_selectorILNS1_17partition_subalgoE4EjNS0_10empty_typeEbEEZZNS1_14partition_implILS8_4ELb0ES6_15HIP_vector_typeIjLj2EENS0_17counting_iteratorIjlEEPS9_SG_NS0_5tupleIJPjSI_NS0_16reverse_iteratorISI_EEEEENSH_IJSG_SG_SG_EEES9_SI_JZNS1_25segmented_radix_sort_implINS0_14default_configELb1EPKdPdPKlPlN2at6native12_GLOBAL__N_18offset_tEEE10hipError_tPvRmT1_PNSt15iterator_traitsIS12_E10value_typeET2_T3_PNS13_IS18_E10value_typeET4_jRbjT5_S1E_jjP12ihipStream_tbEUljE_ZNSN_ISO_Lb1ESQ_SR_ST_SU_SY_EESZ_S10_S11_S12_S16_S17_S18_S1B_S1C_jS1D_jS1E_S1E_jjS1G_bEUljE0_EEESZ_S10_S11_S18_S1C_S1E_T6_T7_T9_mT8_S1G_bDpT10_ENKUlT_T0_E_clISt17integral_constantIbLb0EES1U_EEDaS1P_S1Q_EUlS1P_E_NS1_11comp_targetILNS1_3genE4ELNS1_11target_archE910ELNS1_3gpuE8ELNS1_3repE0EEENS1_30default_config_static_selectorELNS0_4arch9wavefront6targetE0EEEvS12_,comdat
.Lfunc_end1056:
	.size	_ZN7rocprim17ROCPRIM_400000_NS6detail17trampoline_kernelINS0_13select_configILj256ELj13ELNS0_17block_load_methodE3ELS4_3ELS4_3ELNS0_20block_scan_algorithmE0ELj4294967295EEENS1_25partition_config_selectorILNS1_17partition_subalgoE4EjNS0_10empty_typeEbEEZZNS1_14partition_implILS8_4ELb0ES6_15HIP_vector_typeIjLj2EENS0_17counting_iteratorIjlEEPS9_SG_NS0_5tupleIJPjSI_NS0_16reverse_iteratorISI_EEEEENSH_IJSG_SG_SG_EEES9_SI_JZNS1_25segmented_radix_sort_implINS0_14default_configELb1EPKdPdPKlPlN2at6native12_GLOBAL__N_18offset_tEEE10hipError_tPvRmT1_PNSt15iterator_traitsIS12_E10value_typeET2_T3_PNS13_IS18_E10value_typeET4_jRbjT5_S1E_jjP12ihipStream_tbEUljE_ZNSN_ISO_Lb1ESQ_SR_ST_SU_SY_EESZ_S10_S11_S12_S16_S17_S18_S1B_S1C_jS1D_jS1E_S1E_jjS1G_bEUljE0_EEESZ_S10_S11_S18_S1C_S1E_T6_T7_T9_mT8_S1G_bDpT10_ENKUlT_T0_E_clISt17integral_constantIbLb0EES1U_EEDaS1P_S1Q_EUlS1P_E_NS1_11comp_targetILNS1_3genE4ELNS1_11target_archE910ELNS1_3gpuE8ELNS1_3repE0EEENS1_30default_config_static_selectorELNS0_4arch9wavefront6targetE0EEEvS12_, .Lfunc_end1056-_ZN7rocprim17ROCPRIM_400000_NS6detail17trampoline_kernelINS0_13select_configILj256ELj13ELNS0_17block_load_methodE3ELS4_3ELS4_3ELNS0_20block_scan_algorithmE0ELj4294967295EEENS1_25partition_config_selectorILNS1_17partition_subalgoE4EjNS0_10empty_typeEbEEZZNS1_14partition_implILS8_4ELb0ES6_15HIP_vector_typeIjLj2EENS0_17counting_iteratorIjlEEPS9_SG_NS0_5tupleIJPjSI_NS0_16reverse_iteratorISI_EEEEENSH_IJSG_SG_SG_EEES9_SI_JZNS1_25segmented_radix_sort_implINS0_14default_configELb1EPKdPdPKlPlN2at6native12_GLOBAL__N_18offset_tEEE10hipError_tPvRmT1_PNSt15iterator_traitsIS12_E10value_typeET2_T3_PNS13_IS18_E10value_typeET4_jRbjT5_S1E_jjP12ihipStream_tbEUljE_ZNSN_ISO_Lb1ESQ_SR_ST_SU_SY_EESZ_S10_S11_S12_S16_S17_S18_S1B_S1C_jS1D_jS1E_S1E_jjS1G_bEUljE0_EEESZ_S10_S11_S18_S1C_S1E_T6_T7_T9_mT8_S1G_bDpT10_ENKUlT_T0_E_clISt17integral_constantIbLb0EES1U_EEDaS1P_S1Q_EUlS1P_E_NS1_11comp_targetILNS1_3genE4ELNS1_11target_archE910ELNS1_3gpuE8ELNS1_3repE0EEENS1_30default_config_static_selectorELNS0_4arch9wavefront6targetE0EEEvS12_
                                        ; -- End function
	.set _ZN7rocprim17ROCPRIM_400000_NS6detail17trampoline_kernelINS0_13select_configILj256ELj13ELNS0_17block_load_methodE3ELS4_3ELS4_3ELNS0_20block_scan_algorithmE0ELj4294967295EEENS1_25partition_config_selectorILNS1_17partition_subalgoE4EjNS0_10empty_typeEbEEZZNS1_14partition_implILS8_4ELb0ES6_15HIP_vector_typeIjLj2EENS0_17counting_iteratorIjlEEPS9_SG_NS0_5tupleIJPjSI_NS0_16reverse_iteratorISI_EEEEENSH_IJSG_SG_SG_EEES9_SI_JZNS1_25segmented_radix_sort_implINS0_14default_configELb1EPKdPdPKlPlN2at6native12_GLOBAL__N_18offset_tEEE10hipError_tPvRmT1_PNSt15iterator_traitsIS12_E10value_typeET2_T3_PNS13_IS18_E10value_typeET4_jRbjT5_S1E_jjP12ihipStream_tbEUljE_ZNSN_ISO_Lb1ESQ_SR_ST_SU_SY_EESZ_S10_S11_S12_S16_S17_S18_S1B_S1C_jS1D_jS1E_S1E_jjS1G_bEUljE0_EEESZ_S10_S11_S18_S1C_S1E_T6_T7_T9_mT8_S1G_bDpT10_ENKUlT_T0_E_clISt17integral_constantIbLb0EES1U_EEDaS1P_S1Q_EUlS1P_E_NS1_11comp_targetILNS1_3genE4ELNS1_11target_archE910ELNS1_3gpuE8ELNS1_3repE0EEENS1_30default_config_static_selectorELNS0_4arch9wavefront6targetE0EEEvS12_.num_vgpr, 0
	.set _ZN7rocprim17ROCPRIM_400000_NS6detail17trampoline_kernelINS0_13select_configILj256ELj13ELNS0_17block_load_methodE3ELS4_3ELS4_3ELNS0_20block_scan_algorithmE0ELj4294967295EEENS1_25partition_config_selectorILNS1_17partition_subalgoE4EjNS0_10empty_typeEbEEZZNS1_14partition_implILS8_4ELb0ES6_15HIP_vector_typeIjLj2EENS0_17counting_iteratorIjlEEPS9_SG_NS0_5tupleIJPjSI_NS0_16reverse_iteratorISI_EEEEENSH_IJSG_SG_SG_EEES9_SI_JZNS1_25segmented_radix_sort_implINS0_14default_configELb1EPKdPdPKlPlN2at6native12_GLOBAL__N_18offset_tEEE10hipError_tPvRmT1_PNSt15iterator_traitsIS12_E10value_typeET2_T3_PNS13_IS18_E10value_typeET4_jRbjT5_S1E_jjP12ihipStream_tbEUljE_ZNSN_ISO_Lb1ESQ_SR_ST_SU_SY_EESZ_S10_S11_S12_S16_S17_S18_S1B_S1C_jS1D_jS1E_S1E_jjS1G_bEUljE0_EEESZ_S10_S11_S18_S1C_S1E_T6_T7_T9_mT8_S1G_bDpT10_ENKUlT_T0_E_clISt17integral_constantIbLb0EES1U_EEDaS1P_S1Q_EUlS1P_E_NS1_11comp_targetILNS1_3genE4ELNS1_11target_archE910ELNS1_3gpuE8ELNS1_3repE0EEENS1_30default_config_static_selectorELNS0_4arch9wavefront6targetE0EEEvS12_.num_agpr, 0
	.set _ZN7rocprim17ROCPRIM_400000_NS6detail17trampoline_kernelINS0_13select_configILj256ELj13ELNS0_17block_load_methodE3ELS4_3ELS4_3ELNS0_20block_scan_algorithmE0ELj4294967295EEENS1_25partition_config_selectorILNS1_17partition_subalgoE4EjNS0_10empty_typeEbEEZZNS1_14partition_implILS8_4ELb0ES6_15HIP_vector_typeIjLj2EENS0_17counting_iteratorIjlEEPS9_SG_NS0_5tupleIJPjSI_NS0_16reverse_iteratorISI_EEEEENSH_IJSG_SG_SG_EEES9_SI_JZNS1_25segmented_radix_sort_implINS0_14default_configELb1EPKdPdPKlPlN2at6native12_GLOBAL__N_18offset_tEEE10hipError_tPvRmT1_PNSt15iterator_traitsIS12_E10value_typeET2_T3_PNS13_IS18_E10value_typeET4_jRbjT5_S1E_jjP12ihipStream_tbEUljE_ZNSN_ISO_Lb1ESQ_SR_ST_SU_SY_EESZ_S10_S11_S12_S16_S17_S18_S1B_S1C_jS1D_jS1E_S1E_jjS1G_bEUljE0_EEESZ_S10_S11_S18_S1C_S1E_T6_T7_T9_mT8_S1G_bDpT10_ENKUlT_T0_E_clISt17integral_constantIbLb0EES1U_EEDaS1P_S1Q_EUlS1P_E_NS1_11comp_targetILNS1_3genE4ELNS1_11target_archE910ELNS1_3gpuE8ELNS1_3repE0EEENS1_30default_config_static_selectorELNS0_4arch9wavefront6targetE0EEEvS12_.numbered_sgpr, 0
	.set _ZN7rocprim17ROCPRIM_400000_NS6detail17trampoline_kernelINS0_13select_configILj256ELj13ELNS0_17block_load_methodE3ELS4_3ELS4_3ELNS0_20block_scan_algorithmE0ELj4294967295EEENS1_25partition_config_selectorILNS1_17partition_subalgoE4EjNS0_10empty_typeEbEEZZNS1_14partition_implILS8_4ELb0ES6_15HIP_vector_typeIjLj2EENS0_17counting_iteratorIjlEEPS9_SG_NS0_5tupleIJPjSI_NS0_16reverse_iteratorISI_EEEEENSH_IJSG_SG_SG_EEES9_SI_JZNS1_25segmented_radix_sort_implINS0_14default_configELb1EPKdPdPKlPlN2at6native12_GLOBAL__N_18offset_tEEE10hipError_tPvRmT1_PNSt15iterator_traitsIS12_E10value_typeET2_T3_PNS13_IS18_E10value_typeET4_jRbjT5_S1E_jjP12ihipStream_tbEUljE_ZNSN_ISO_Lb1ESQ_SR_ST_SU_SY_EESZ_S10_S11_S12_S16_S17_S18_S1B_S1C_jS1D_jS1E_S1E_jjS1G_bEUljE0_EEESZ_S10_S11_S18_S1C_S1E_T6_T7_T9_mT8_S1G_bDpT10_ENKUlT_T0_E_clISt17integral_constantIbLb0EES1U_EEDaS1P_S1Q_EUlS1P_E_NS1_11comp_targetILNS1_3genE4ELNS1_11target_archE910ELNS1_3gpuE8ELNS1_3repE0EEENS1_30default_config_static_selectorELNS0_4arch9wavefront6targetE0EEEvS12_.num_named_barrier, 0
	.set _ZN7rocprim17ROCPRIM_400000_NS6detail17trampoline_kernelINS0_13select_configILj256ELj13ELNS0_17block_load_methodE3ELS4_3ELS4_3ELNS0_20block_scan_algorithmE0ELj4294967295EEENS1_25partition_config_selectorILNS1_17partition_subalgoE4EjNS0_10empty_typeEbEEZZNS1_14partition_implILS8_4ELb0ES6_15HIP_vector_typeIjLj2EENS0_17counting_iteratorIjlEEPS9_SG_NS0_5tupleIJPjSI_NS0_16reverse_iteratorISI_EEEEENSH_IJSG_SG_SG_EEES9_SI_JZNS1_25segmented_radix_sort_implINS0_14default_configELb1EPKdPdPKlPlN2at6native12_GLOBAL__N_18offset_tEEE10hipError_tPvRmT1_PNSt15iterator_traitsIS12_E10value_typeET2_T3_PNS13_IS18_E10value_typeET4_jRbjT5_S1E_jjP12ihipStream_tbEUljE_ZNSN_ISO_Lb1ESQ_SR_ST_SU_SY_EESZ_S10_S11_S12_S16_S17_S18_S1B_S1C_jS1D_jS1E_S1E_jjS1G_bEUljE0_EEESZ_S10_S11_S18_S1C_S1E_T6_T7_T9_mT8_S1G_bDpT10_ENKUlT_T0_E_clISt17integral_constantIbLb0EES1U_EEDaS1P_S1Q_EUlS1P_E_NS1_11comp_targetILNS1_3genE4ELNS1_11target_archE910ELNS1_3gpuE8ELNS1_3repE0EEENS1_30default_config_static_selectorELNS0_4arch9wavefront6targetE0EEEvS12_.private_seg_size, 0
	.set _ZN7rocprim17ROCPRIM_400000_NS6detail17trampoline_kernelINS0_13select_configILj256ELj13ELNS0_17block_load_methodE3ELS4_3ELS4_3ELNS0_20block_scan_algorithmE0ELj4294967295EEENS1_25partition_config_selectorILNS1_17partition_subalgoE4EjNS0_10empty_typeEbEEZZNS1_14partition_implILS8_4ELb0ES6_15HIP_vector_typeIjLj2EENS0_17counting_iteratorIjlEEPS9_SG_NS0_5tupleIJPjSI_NS0_16reverse_iteratorISI_EEEEENSH_IJSG_SG_SG_EEES9_SI_JZNS1_25segmented_radix_sort_implINS0_14default_configELb1EPKdPdPKlPlN2at6native12_GLOBAL__N_18offset_tEEE10hipError_tPvRmT1_PNSt15iterator_traitsIS12_E10value_typeET2_T3_PNS13_IS18_E10value_typeET4_jRbjT5_S1E_jjP12ihipStream_tbEUljE_ZNSN_ISO_Lb1ESQ_SR_ST_SU_SY_EESZ_S10_S11_S12_S16_S17_S18_S1B_S1C_jS1D_jS1E_S1E_jjS1G_bEUljE0_EEESZ_S10_S11_S18_S1C_S1E_T6_T7_T9_mT8_S1G_bDpT10_ENKUlT_T0_E_clISt17integral_constantIbLb0EES1U_EEDaS1P_S1Q_EUlS1P_E_NS1_11comp_targetILNS1_3genE4ELNS1_11target_archE910ELNS1_3gpuE8ELNS1_3repE0EEENS1_30default_config_static_selectorELNS0_4arch9wavefront6targetE0EEEvS12_.uses_vcc, 0
	.set _ZN7rocprim17ROCPRIM_400000_NS6detail17trampoline_kernelINS0_13select_configILj256ELj13ELNS0_17block_load_methodE3ELS4_3ELS4_3ELNS0_20block_scan_algorithmE0ELj4294967295EEENS1_25partition_config_selectorILNS1_17partition_subalgoE4EjNS0_10empty_typeEbEEZZNS1_14partition_implILS8_4ELb0ES6_15HIP_vector_typeIjLj2EENS0_17counting_iteratorIjlEEPS9_SG_NS0_5tupleIJPjSI_NS0_16reverse_iteratorISI_EEEEENSH_IJSG_SG_SG_EEES9_SI_JZNS1_25segmented_radix_sort_implINS0_14default_configELb1EPKdPdPKlPlN2at6native12_GLOBAL__N_18offset_tEEE10hipError_tPvRmT1_PNSt15iterator_traitsIS12_E10value_typeET2_T3_PNS13_IS18_E10value_typeET4_jRbjT5_S1E_jjP12ihipStream_tbEUljE_ZNSN_ISO_Lb1ESQ_SR_ST_SU_SY_EESZ_S10_S11_S12_S16_S17_S18_S1B_S1C_jS1D_jS1E_S1E_jjS1G_bEUljE0_EEESZ_S10_S11_S18_S1C_S1E_T6_T7_T9_mT8_S1G_bDpT10_ENKUlT_T0_E_clISt17integral_constantIbLb0EES1U_EEDaS1P_S1Q_EUlS1P_E_NS1_11comp_targetILNS1_3genE4ELNS1_11target_archE910ELNS1_3gpuE8ELNS1_3repE0EEENS1_30default_config_static_selectorELNS0_4arch9wavefront6targetE0EEEvS12_.uses_flat_scratch, 0
	.set _ZN7rocprim17ROCPRIM_400000_NS6detail17trampoline_kernelINS0_13select_configILj256ELj13ELNS0_17block_load_methodE3ELS4_3ELS4_3ELNS0_20block_scan_algorithmE0ELj4294967295EEENS1_25partition_config_selectorILNS1_17partition_subalgoE4EjNS0_10empty_typeEbEEZZNS1_14partition_implILS8_4ELb0ES6_15HIP_vector_typeIjLj2EENS0_17counting_iteratorIjlEEPS9_SG_NS0_5tupleIJPjSI_NS0_16reverse_iteratorISI_EEEEENSH_IJSG_SG_SG_EEES9_SI_JZNS1_25segmented_radix_sort_implINS0_14default_configELb1EPKdPdPKlPlN2at6native12_GLOBAL__N_18offset_tEEE10hipError_tPvRmT1_PNSt15iterator_traitsIS12_E10value_typeET2_T3_PNS13_IS18_E10value_typeET4_jRbjT5_S1E_jjP12ihipStream_tbEUljE_ZNSN_ISO_Lb1ESQ_SR_ST_SU_SY_EESZ_S10_S11_S12_S16_S17_S18_S1B_S1C_jS1D_jS1E_S1E_jjS1G_bEUljE0_EEESZ_S10_S11_S18_S1C_S1E_T6_T7_T9_mT8_S1G_bDpT10_ENKUlT_T0_E_clISt17integral_constantIbLb0EES1U_EEDaS1P_S1Q_EUlS1P_E_NS1_11comp_targetILNS1_3genE4ELNS1_11target_archE910ELNS1_3gpuE8ELNS1_3repE0EEENS1_30default_config_static_selectorELNS0_4arch9wavefront6targetE0EEEvS12_.has_dyn_sized_stack, 0
	.set _ZN7rocprim17ROCPRIM_400000_NS6detail17trampoline_kernelINS0_13select_configILj256ELj13ELNS0_17block_load_methodE3ELS4_3ELS4_3ELNS0_20block_scan_algorithmE0ELj4294967295EEENS1_25partition_config_selectorILNS1_17partition_subalgoE4EjNS0_10empty_typeEbEEZZNS1_14partition_implILS8_4ELb0ES6_15HIP_vector_typeIjLj2EENS0_17counting_iteratorIjlEEPS9_SG_NS0_5tupleIJPjSI_NS0_16reverse_iteratorISI_EEEEENSH_IJSG_SG_SG_EEES9_SI_JZNS1_25segmented_radix_sort_implINS0_14default_configELb1EPKdPdPKlPlN2at6native12_GLOBAL__N_18offset_tEEE10hipError_tPvRmT1_PNSt15iterator_traitsIS12_E10value_typeET2_T3_PNS13_IS18_E10value_typeET4_jRbjT5_S1E_jjP12ihipStream_tbEUljE_ZNSN_ISO_Lb1ESQ_SR_ST_SU_SY_EESZ_S10_S11_S12_S16_S17_S18_S1B_S1C_jS1D_jS1E_S1E_jjS1G_bEUljE0_EEESZ_S10_S11_S18_S1C_S1E_T6_T7_T9_mT8_S1G_bDpT10_ENKUlT_T0_E_clISt17integral_constantIbLb0EES1U_EEDaS1P_S1Q_EUlS1P_E_NS1_11comp_targetILNS1_3genE4ELNS1_11target_archE910ELNS1_3gpuE8ELNS1_3repE0EEENS1_30default_config_static_selectorELNS0_4arch9wavefront6targetE0EEEvS12_.has_recursion, 0
	.set _ZN7rocprim17ROCPRIM_400000_NS6detail17trampoline_kernelINS0_13select_configILj256ELj13ELNS0_17block_load_methodE3ELS4_3ELS4_3ELNS0_20block_scan_algorithmE0ELj4294967295EEENS1_25partition_config_selectorILNS1_17partition_subalgoE4EjNS0_10empty_typeEbEEZZNS1_14partition_implILS8_4ELb0ES6_15HIP_vector_typeIjLj2EENS0_17counting_iteratorIjlEEPS9_SG_NS0_5tupleIJPjSI_NS0_16reverse_iteratorISI_EEEEENSH_IJSG_SG_SG_EEES9_SI_JZNS1_25segmented_radix_sort_implINS0_14default_configELb1EPKdPdPKlPlN2at6native12_GLOBAL__N_18offset_tEEE10hipError_tPvRmT1_PNSt15iterator_traitsIS12_E10value_typeET2_T3_PNS13_IS18_E10value_typeET4_jRbjT5_S1E_jjP12ihipStream_tbEUljE_ZNSN_ISO_Lb1ESQ_SR_ST_SU_SY_EESZ_S10_S11_S12_S16_S17_S18_S1B_S1C_jS1D_jS1E_S1E_jjS1G_bEUljE0_EEESZ_S10_S11_S18_S1C_S1E_T6_T7_T9_mT8_S1G_bDpT10_ENKUlT_T0_E_clISt17integral_constantIbLb0EES1U_EEDaS1P_S1Q_EUlS1P_E_NS1_11comp_targetILNS1_3genE4ELNS1_11target_archE910ELNS1_3gpuE8ELNS1_3repE0EEENS1_30default_config_static_selectorELNS0_4arch9wavefront6targetE0EEEvS12_.has_indirect_call, 0
	.section	.AMDGPU.csdata,"",@progbits
; Kernel info:
; codeLenInByte = 0
; TotalNumSgprs: 0
; NumVgprs: 0
; ScratchSize: 0
; MemoryBound: 0
; FloatMode: 240
; IeeeMode: 1
; LDSByteSize: 0 bytes/workgroup (compile time only)
; SGPRBlocks: 0
; VGPRBlocks: 0
; NumSGPRsForWavesPerEU: 1
; NumVGPRsForWavesPerEU: 1
; Occupancy: 16
; WaveLimiterHint : 0
; COMPUTE_PGM_RSRC2:SCRATCH_EN: 0
; COMPUTE_PGM_RSRC2:USER_SGPR: 2
; COMPUTE_PGM_RSRC2:TRAP_HANDLER: 0
; COMPUTE_PGM_RSRC2:TGID_X_EN: 1
; COMPUTE_PGM_RSRC2:TGID_Y_EN: 0
; COMPUTE_PGM_RSRC2:TGID_Z_EN: 0
; COMPUTE_PGM_RSRC2:TIDIG_COMP_CNT: 0
	.section	.text._ZN7rocprim17ROCPRIM_400000_NS6detail17trampoline_kernelINS0_13select_configILj256ELj13ELNS0_17block_load_methodE3ELS4_3ELS4_3ELNS0_20block_scan_algorithmE0ELj4294967295EEENS1_25partition_config_selectorILNS1_17partition_subalgoE4EjNS0_10empty_typeEbEEZZNS1_14partition_implILS8_4ELb0ES6_15HIP_vector_typeIjLj2EENS0_17counting_iteratorIjlEEPS9_SG_NS0_5tupleIJPjSI_NS0_16reverse_iteratorISI_EEEEENSH_IJSG_SG_SG_EEES9_SI_JZNS1_25segmented_radix_sort_implINS0_14default_configELb1EPKdPdPKlPlN2at6native12_GLOBAL__N_18offset_tEEE10hipError_tPvRmT1_PNSt15iterator_traitsIS12_E10value_typeET2_T3_PNS13_IS18_E10value_typeET4_jRbjT5_S1E_jjP12ihipStream_tbEUljE_ZNSN_ISO_Lb1ESQ_SR_ST_SU_SY_EESZ_S10_S11_S12_S16_S17_S18_S1B_S1C_jS1D_jS1E_S1E_jjS1G_bEUljE0_EEESZ_S10_S11_S18_S1C_S1E_T6_T7_T9_mT8_S1G_bDpT10_ENKUlT_T0_E_clISt17integral_constantIbLb0EES1U_EEDaS1P_S1Q_EUlS1P_E_NS1_11comp_targetILNS1_3genE3ELNS1_11target_archE908ELNS1_3gpuE7ELNS1_3repE0EEENS1_30default_config_static_selectorELNS0_4arch9wavefront6targetE0EEEvS12_,"axG",@progbits,_ZN7rocprim17ROCPRIM_400000_NS6detail17trampoline_kernelINS0_13select_configILj256ELj13ELNS0_17block_load_methodE3ELS4_3ELS4_3ELNS0_20block_scan_algorithmE0ELj4294967295EEENS1_25partition_config_selectorILNS1_17partition_subalgoE4EjNS0_10empty_typeEbEEZZNS1_14partition_implILS8_4ELb0ES6_15HIP_vector_typeIjLj2EENS0_17counting_iteratorIjlEEPS9_SG_NS0_5tupleIJPjSI_NS0_16reverse_iteratorISI_EEEEENSH_IJSG_SG_SG_EEES9_SI_JZNS1_25segmented_radix_sort_implINS0_14default_configELb1EPKdPdPKlPlN2at6native12_GLOBAL__N_18offset_tEEE10hipError_tPvRmT1_PNSt15iterator_traitsIS12_E10value_typeET2_T3_PNS13_IS18_E10value_typeET4_jRbjT5_S1E_jjP12ihipStream_tbEUljE_ZNSN_ISO_Lb1ESQ_SR_ST_SU_SY_EESZ_S10_S11_S12_S16_S17_S18_S1B_S1C_jS1D_jS1E_S1E_jjS1G_bEUljE0_EEESZ_S10_S11_S18_S1C_S1E_T6_T7_T9_mT8_S1G_bDpT10_ENKUlT_T0_E_clISt17integral_constantIbLb0EES1U_EEDaS1P_S1Q_EUlS1P_E_NS1_11comp_targetILNS1_3genE3ELNS1_11target_archE908ELNS1_3gpuE7ELNS1_3repE0EEENS1_30default_config_static_selectorELNS0_4arch9wavefront6targetE0EEEvS12_,comdat
	.globl	_ZN7rocprim17ROCPRIM_400000_NS6detail17trampoline_kernelINS0_13select_configILj256ELj13ELNS0_17block_load_methodE3ELS4_3ELS4_3ELNS0_20block_scan_algorithmE0ELj4294967295EEENS1_25partition_config_selectorILNS1_17partition_subalgoE4EjNS0_10empty_typeEbEEZZNS1_14partition_implILS8_4ELb0ES6_15HIP_vector_typeIjLj2EENS0_17counting_iteratorIjlEEPS9_SG_NS0_5tupleIJPjSI_NS0_16reverse_iteratorISI_EEEEENSH_IJSG_SG_SG_EEES9_SI_JZNS1_25segmented_radix_sort_implINS0_14default_configELb1EPKdPdPKlPlN2at6native12_GLOBAL__N_18offset_tEEE10hipError_tPvRmT1_PNSt15iterator_traitsIS12_E10value_typeET2_T3_PNS13_IS18_E10value_typeET4_jRbjT5_S1E_jjP12ihipStream_tbEUljE_ZNSN_ISO_Lb1ESQ_SR_ST_SU_SY_EESZ_S10_S11_S12_S16_S17_S18_S1B_S1C_jS1D_jS1E_S1E_jjS1G_bEUljE0_EEESZ_S10_S11_S18_S1C_S1E_T6_T7_T9_mT8_S1G_bDpT10_ENKUlT_T0_E_clISt17integral_constantIbLb0EES1U_EEDaS1P_S1Q_EUlS1P_E_NS1_11comp_targetILNS1_3genE3ELNS1_11target_archE908ELNS1_3gpuE7ELNS1_3repE0EEENS1_30default_config_static_selectorELNS0_4arch9wavefront6targetE0EEEvS12_ ; -- Begin function _ZN7rocprim17ROCPRIM_400000_NS6detail17trampoline_kernelINS0_13select_configILj256ELj13ELNS0_17block_load_methodE3ELS4_3ELS4_3ELNS0_20block_scan_algorithmE0ELj4294967295EEENS1_25partition_config_selectorILNS1_17partition_subalgoE4EjNS0_10empty_typeEbEEZZNS1_14partition_implILS8_4ELb0ES6_15HIP_vector_typeIjLj2EENS0_17counting_iteratorIjlEEPS9_SG_NS0_5tupleIJPjSI_NS0_16reverse_iteratorISI_EEEEENSH_IJSG_SG_SG_EEES9_SI_JZNS1_25segmented_radix_sort_implINS0_14default_configELb1EPKdPdPKlPlN2at6native12_GLOBAL__N_18offset_tEEE10hipError_tPvRmT1_PNSt15iterator_traitsIS12_E10value_typeET2_T3_PNS13_IS18_E10value_typeET4_jRbjT5_S1E_jjP12ihipStream_tbEUljE_ZNSN_ISO_Lb1ESQ_SR_ST_SU_SY_EESZ_S10_S11_S12_S16_S17_S18_S1B_S1C_jS1D_jS1E_S1E_jjS1G_bEUljE0_EEESZ_S10_S11_S18_S1C_S1E_T6_T7_T9_mT8_S1G_bDpT10_ENKUlT_T0_E_clISt17integral_constantIbLb0EES1U_EEDaS1P_S1Q_EUlS1P_E_NS1_11comp_targetILNS1_3genE3ELNS1_11target_archE908ELNS1_3gpuE7ELNS1_3repE0EEENS1_30default_config_static_selectorELNS0_4arch9wavefront6targetE0EEEvS12_
	.p2align	8
	.type	_ZN7rocprim17ROCPRIM_400000_NS6detail17trampoline_kernelINS0_13select_configILj256ELj13ELNS0_17block_load_methodE3ELS4_3ELS4_3ELNS0_20block_scan_algorithmE0ELj4294967295EEENS1_25partition_config_selectorILNS1_17partition_subalgoE4EjNS0_10empty_typeEbEEZZNS1_14partition_implILS8_4ELb0ES6_15HIP_vector_typeIjLj2EENS0_17counting_iteratorIjlEEPS9_SG_NS0_5tupleIJPjSI_NS0_16reverse_iteratorISI_EEEEENSH_IJSG_SG_SG_EEES9_SI_JZNS1_25segmented_radix_sort_implINS0_14default_configELb1EPKdPdPKlPlN2at6native12_GLOBAL__N_18offset_tEEE10hipError_tPvRmT1_PNSt15iterator_traitsIS12_E10value_typeET2_T3_PNS13_IS18_E10value_typeET4_jRbjT5_S1E_jjP12ihipStream_tbEUljE_ZNSN_ISO_Lb1ESQ_SR_ST_SU_SY_EESZ_S10_S11_S12_S16_S17_S18_S1B_S1C_jS1D_jS1E_S1E_jjS1G_bEUljE0_EEESZ_S10_S11_S18_S1C_S1E_T6_T7_T9_mT8_S1G_bDpT10_ENKUlT_T0_E_clISt17integral_constantIbLb0EES1U_EEDaS1P_S1Q_EUlS1P_E_NS1_11comp_targetILNS1_3genE3ELNS1_11target_archE908ELNS1_3gpuE7ELNS1_3repE0EEENS1_30default_config_static_selectorELNS0_4arch9wavefront6targetE0EEEvS12_,@function
_ZN7rocprim17ROCPRIM_400000_NS6detail17trampoline_kernelINS0_13select_configILj256ELj13ELNS0_17block_load_methodE3ELS4_3ELS4_3ELNS0_20block_scan_algorithmE0ELj4294967295EEENS1_25partition_config_selectorILNS1_17partition_subalgoE4EjNS0_10empty_typeEbEEZZNS1_14partition_implILS8_4ELb0ES6_15HIP_vector_typeIjLj2EENS0_17counting_iteratorIjlEEPS9_SG_NS0_5tupleIJPjSI_NS0_16reverse_iteratorISI_EEEEENSH_IJSG_SG_SG_EEES9_SI_JZNS1_25segmented_radix_sort_implINS0_14default_configELb1EPKdPdPKlPlN2at6native12_GLOBAL__N_18offset_tEEE10hipError_tPvRmT1_PNSt15iterator_traitsIS12_E10value_typeET2_T3_PNS13_IS18_E10value_typeET4_jRbjT5_S1E_jjP12ihipStream_tbEUljE_ZNSN_ISO_Lb1ESQ_SR_ST_SU_SY_EESZ_S10_S11_S12_S16_S17_S18_S1B_S1C_jS1D_jS1E_S1E_jjS1G_bEUljE0_EEESZ_S10_S11_S18_S1C_S1E_T6_T7_T9_mT8_S1G_bDpT10_ENKUlT_T0_E_clISt17integral_constantIbLb0EES1U_EEDaS1P_S1Q_EUlS1P_E_NS1_11comp_targetILNS1_3genE3ELNS1_11target_archE908ELNS1_3gpuE7ELNS1_3repE0EEENS1_30default_config_static_selectorELNS0_4arch9wavefront6targetE0EEEvS12_: ; @_ZN7rocprim17ROCPRIM_400000_NS6detail17trampoline_kernelINS0_13select_configILj256ELj13ELNS0_17block_load_methodE3ELS4_3ELS4_3ELNS0_20block_scan_algorithmE0ELj4294967295EEENS1_25partition_config_selectorILNS1_17partition_subalgoE4EjNS0_10empty_typeEbEEZZNS1_14partition_implILS8_4ELb0ES6_15HIP_vector_typeIjLj2EENS0_17counting_iteratorIjlEEPS9_SG_NS0_5tupleIJPjSI_NS0_16reverse_iteratorISI_EEEEENSH_IJSG_SG_SG_EEES9_SI_JZNS1_25segmented_radix_sort_implINS0_14default_configELb1EPKdPdPKlPlN2at6native12_GLOBAL__N_18offset_tEEE10hipError_tPvRmT1_PNSt15iterator_traitsIS12_E10value_typeET2_T3_PNS13_IS18_E10value_typeET4_jRbjT5_S1E_jjP12ihipStream_tbEUljE_ZNSN_ISO_Lb1ESQ_SR_ST_SU_SY_EESZ_S10_S11_S12_S16_S17_S18_S1B_S1C_jS1D_jS1E_S1E_jjS1G_bEUljE0_EEESZ_S10_S11_S18_S1C_S1E_T6_T7_T9_mT8_S1G_bDpT10_ENKUlT_T0_E_clISt17integral_constantIbLb0EES1U_EEDaS1P_S1Q_EUlS1P_E_NS1_11comp_targetILNS1_3genE3ELNS1_11target_archE908ELNS1_3gpuE7ELNS1_3repE0EEENS1_30default_config_static_selectorELNS0_4arch9wavefront6targetE0EEEvS12_
; %bb.0:
	.section	.rodata,"a",@progbits
	.p2align	6, 0x0
	.amdhsa_kernel _ZN7rocprim17ROCPRIM_400000_NS6detail17trampoline_kernelINS0_13select_configILj256ELj13ELNS0_17block_load_methodE3ELS4_3ELS4_3ELNS0_20block_scan_algorithmE0ELj4294967295EEENS1_25partition_config_selectorILNS1_17partition_subalgoE4EjNS0_10empty_typeEbEEZZNS1_14partition_implILS8_4ELb0ES6_15HIP_vector_typeIjLj2EENS0_17counting_iteratorIjlEEPS9_SG_NS0_5tupleIJPjSI_NS0_16reverse_iteratorISI_EEEEENSH_IJSG_SG_SG_EEES9_SI_JZNS1_25segmented_radix_sort_implINS0_14default_configELb1EPKdPdPKlPlN2at6native12_GLOBAL__N_18offset_tEEE10hipError_tPvRmT1_PNSt15iterator_traitsIS12_E10value_typeET2_T3_PNS13_IS18_E10value_typeET4_jRbjT5_S1E_jjP12ihipStream_tbEUljE_ZNSN_ISO_Lb1ESQ_SR_ST_SU_SY_EESZ_S10_S11_S12_S16_S17_S18_S1B_S1C_jS1D_jS1E_S1E_jjS1G_bEUljE0_EEESZ_S10_S11_S18_S1C_S1E_T6_T7_T9_mT8_S1G_bDpT10_ENKUlT_T0_E_clISt17integral_constantIbLb0EES1U_EEDaS1P_S1Q_EUlS1P_E_NS1_11comp_targetILNS1_3genE3ELNS1_11target_archE908ELNS1_3gpuE7ELNS1_3repE0EEENS1_30default_config_static_selectorELNS0_4arch9wavefront6targetE0EEEvS12_
		.amdhsa_group_segment_fixed_size 0
		.amdhsa_private_segment_fixed_size 0
		.amdhsa_kernarg_size 176
		.amdhsa_user_sgpr_count 2
		.amdhsa_user_sgpr_dispatch_ptr 0
		.amdhsa_user_sgpr_queue_ptr 0
		.amdhsa_user_sgpr_kernarg_segment_ptr 1
		.amdhsa_user_sgpr_dispatch_id 0
		.amdhsa_user_sgpr_private_segment_size 0
		.amdhsa_wavefront_size32 1
		.amdhsa_uses_dynamic_stack 0
		.amdhsa_enable_private_segment 0
		.amdhsa_system_sgpr_workgroup_id_x 1
		.amdhsa_system_sgpr_workgroup_id_y 0
		.amdhsa_system_sgpr_workgroup_id_z 0
		.amdhsa_system_sgpr_workgroup_info 0
		.amdhsa_system_vgpr_workitem_id 0
		.amdhsa_next_free_vgpr 1
		.amdhsa_next_free_sgpr 1
		.amdhsa_reserve_vcc 0
		.amdhsa_float_round_mode_32 0
		.amdhsa_float_round_mode_16_64 0
		.amdhsa_float_denorm_mode_32 3
		.amdhsa_float_denorm_mode_16_64 3
		.amdhsa_fp16_overflow 0
		.amdhsa_workgroup_processor_mode 1
		.amdhsa_memory_ordered 1
		.amdhsa_forward_progress 1
		.amdhsa_inst_pref_size 0
		.amdhsa_round_robin_scheduling 0
		.amdhsa_exception_fp_ieee_invalid_op 0
		.amdhsa_exception_fp_denorm_src 0
		.amdhsa_exception_fp_ieee_div_zero 0
		.amdhsa_exception_fp_ieee_overflow 0
		.amdhsa_exception_fp_ieee_underflow 0
		.amdhsa_exception_fp_ieee_inexact 0
		.amdhsa_exception_int_div_zero 0
	.end_amdhsa_kernel
	.section	.text._ZN7rocprim17ROCPRIM_400000_NS6detail17trampoline_kernelINS0_13select_configILj256ELj13ELNS0_17block_load_methodE3ELS4_3ELS4_3ELNS0_20block_scan_algorithmE0ELj4294967295EEENS1_25partition_config_selectorILNS1_17partition_subalgoE4EjNS0_10empty_typeEbEEZZNS1_14partition_implILS8_4ELb0ES6_15HIP_vector_typeIjLj2EENS0_17counting_iteratorIjlEEPS9_SG_NS0_5tupleIJPjSI_NS0_16reverse_iteratorISI_EEEEENSH_IJSG_SG_SG_EEES9_SI_JZNS1_25segmented_radix_sort_implINS0_14default_configELb1EPKdPdPKlPlN2at6native12_GLOBAL__N_18offset_tEEE10hipError_tPvRmT1_PNSt15iterator_traitsIS12_E10value_typeET2_T3_PNS13_IS18_E10value_typeET4_jRbjT5_S1E_jjP12ihipStream_tbEUljE_ZNSN_ISO_Lb1ESQ_SR_ST_SU_SY_EESZ_S10_S11_S12_S16_S17_S18_S1B_S1C_jS1D_jS1E_S1E_jjS1G_bEUljE0_EEESZ_S10_S11_S18_S1C_S1E_T6_T7_T9_mT8_S1G_bDpT10_ENKUlT_T0_E_clISt17integral_constantIbLb0EES1U_EEDaS1P_S1Q_EUlS1P_E_NS1_11comp_targetILNS1_3genE3ELNS1_11target_archE908ELNS1_3gpuE7ELNS1_3repE0EEENS1_30default_config_static_selectorELNS0_4arch9wavefront6targetE0EEEvS12_,"axG",@progbits,_ZN7rocprim17ROCPRIM_400000_NS6detail17trampoline_kernelINS0_13select_configILj256ELj13ELNS0_17block_load_methodE3ELS4_3ELS4_3ELNS0_20block_scan_algorithmE0ELj4294967295EEENS1_25partition_config_selectorILNS1_17partition_subalgoE4EjNS0_10empty_typeEbEEZZNS1_14partition_implILS8_4ELb0ES6_15HIP_vector_typeIjLj2EENS0_17counting_iteratorIjlEEPS9_SG_NS0_5tupleIJPjSI_NS0_16reverse_iteratorISI_EEEEENSH_IJSG_SG_SG_EEES9_SI_JZNS1_25segmented_radix_sort_implINS0_14default_configELb1EPKdPdPKlPlN2at6native12_GLOBAL__N_18offset_tEEE10hipError_tPvRmT1_PNSt15iterator_traitsIS12_E10value_typeET2_T3_PNS13_IS18_E10value_typeET4_jRbjT5_S1E_jjP12ihipStream_tbEUljE_ZNSN_ISO_Lb1ESQ_SR_ST_SU_SY_EESZ_S10_S11_S12_S16_S17_S18_S1B_S1C_jS1D_jS1E_S1E_jjS1G_bEUljE0_EEESZ_S10_S11_S18_S1C_S1E_T6_T7_T9_mT8_S1G_bDpT10_ENKUlT_T0_E_clISt17integral_constantIbLb0EES1U_EEDaS1P_S1Q_EUlS1P_E_NS1_11comp_targetILNS1_3genE3ELNS1_11target_archE908ELNS1_3gpuE7ELNS1_3repE0EEENS1_30default_config_static_selectorELNS0_4arch9wavefront6targetE0EEEvS12_,comdat
.Lfunc_end1057:
	.size	_ZN7rocprim17ROCPRIM_400000_NS6detail17trampoline_kernelINS0_13select_configILj256ELj13ELNS0_17block_load_methodE3ELS4_3ELS4_3ELNS0_20block_scan_algorithmE0ELj4294967295EEENS1_25partition_config_selectorILNS1_17partition_subalgoE4EjNS0_10empty_typeEbEEZZNS1_14partition_implILS8_4ELb0ES6_15HIP_vector_typeIjLj2EENS0_17counting_iteratorIjlEEPS9_SG_NS0_5tupleIJPjSI_NS0_16reverse_iteratorISI_EEEEENSH_IJSG_SG_SG_EEES9_SI_JZNS1_25segmented_radix_sort_implINS0_14default_configELb1EPKdPdPKlPlN2at6native12_GLOBAL__N_18offset_tEEE10hipError_tPvRmT1_PNSt15iterator_traitsIS12_E10value_typeET2_T3_PNS13_IS18_E10value_typeET4_jRbjT5_S1E_jjP12ihipStream_tbEUljE_ZNSN_ISO_Lb1ESQ_SR_ST_SU_SY_EESZ_S10_S11_S12_S16_S17_S18_S1B_S1C_jS1D_jS1E_S1E_jjS1G_bEUljE0_EEESZ_S10_S11_S18_S1C_S1E_T6_T7_T9_mT8_S1G_bDpT10_ENKUlT_T0_E_clISt17integral_constantIbLb0EES1U_EEDaS1P_S1Q_EUlS1P_E_NS1_11comp_targetILNS1_3genE3ELNS1_11target_archE908ELNS1_3gpuE7ELNS1_3repE0EEENS1_30default_config_static_selectorELNS0_4arch9wavefront6targetE0EEEvS12_, .Lfunc_end1057-_ZN7rocprim17ROCPRIM_400000_NS6detail17trampoline_kernelINS0_13select_configILj256ELj13ELNS0_17block_load_methodE3ELS4_3ELS4_3ELNS0_20block_scan_algorithmE0ELj4294967295EEENS1_25partition_config_selectorILNS1_17partition_subalgoE4EjNS0_10empty_typeEbEEZZNS1_14partition_implILS8_4ELb0ES6_15HIP_vector_typeIjLj2EENS0_17counting_iteratorIjlEEPS9_SG_NS0_5tupleIJPjSI_NS0_16reverse_iteratorISI_EEEEENSH_IJSG_SG_SG_EEES9_SI_JZNS1_25segmented_radix_sort_implINS0_14default_configELb1EPKdPdPKlPlN2at6native12_GLOBAL__N_18offset_tEEE10hipError_tPvRmT1_PNSt15iterator_traitsIS12_E10value_typeET2_T3_PNS13_IS18_E10value_typeET4_jRbjT5_S1E_jjP12ihipStream_tbEUljE_ZNSN_ISO_Lb1ESQ_SR_ST_SU_SY_EESZ_S10_S11_S12_S16_S17_S18_S1B_S1C_jS1D_jS1E_S1E_jjS1G_bEUljE0_EEESZ_S10_S11_S18_S1C_S1E_T6_T7_T9_mT8_S1G_bDpT10_ENKUlT_T0_E_clISt17integral_constantIbLb0EES1U_EEDaS1P_S1Q_EUlS1P_E_NS1_11comp_targetILNS1_3genE3ELNS1_11target_archE908ELNS1_3gpuE7ELNS1_3repE0EEENS1_30default_config_static_selectorELNS0_4arch9wavefront6targetE0EEEvS12_
                                        ; -- End function
	.set _ZN7rocprim17ROCPRIM_400000_NS6detail17trampoline_kernelINS0_13select_configILj256ELj13ELNS0_17block_load_methodE3ELS4_3ELS4_3ELNS0_20block_scan_algorithmE0ELj4294967295EEENS1_25partition_config_selectorILNS1_17partition_subalgoE4EjNS0_10empty_typeEbEEZZNS1_14partition_implILS8_4ELb0ES6_15HIP_vector_typeIjLj2EENS0_17counting_iteratorIjlEEPS9_SG_NS0_5tupleIJPjSI_NS0_16reverse_iteratorISI_EEEEENSH_IJSG_SG_SG_EEES9_SI_JZNS1_25segmented_radix_sort_implINS0_14default_configELb1EPKdPdPKlPlN2at6native12_GLOBAL__N_18offset_tEEE10hipError_tPvRmT1_PNSt15iterator_traitsIS12_E10value_typeET2_T3_PNS13_IS18_E10value_typeET4_jRbjT5_S1E_jjP12ihipStream_tbEUljE_ZNSN_ISO_Lb1ESQ_SR_ST_SU_SY_EESZ_S10_S11_S12_S16_S17_S18_S1B_S1C_jS1D_jS1E_S1E_jjS1G_bEUljE0_EEESZ_S10_S11_S18_S1C_S1E_T6_T7_T9_mT8_S1G_bDpT10_ENKUlT_T0_E_clISt17integral_constantIbLb0EES1U_EEDaS1P_S1Q_EUlS1P_E_NS1_11comp_targetILNS1_3genE3ELNS1_11target_archE908ELNS1_3gpuE7ELNS1_3repE0EEENS1_30default_config_static_selectorELNS0_4arch9wavefront6targetE0EEEvS12_.num_vgpr, 0
	.set _ZN7rocprim17ROCPRIM_400000_NS6detail17trampoline_kernelINS0_13select_configILj256ELj13ELNS0_17block_load_methodE3ELS4_3ELS4_3ELNS0_20block_scan_algorithmE0ELj4294967295EEENS1_25partition_config_selectorILNS1_17partition_subalgoE4EjNS0_10empty_typeEbEEZZNS1_14partition_implILS8_4ELb0ES6_15HIP_vector_typeIjLj2EENS0_17counting_iteratorIjlEEPS9_SG_NS0_5tupleIJPjSI_NS0_16reverse_iteratorISI_EEEEENSH_IJSG_SG_SG_EEES9_SI_JZNS1_25segmented_radix_sort_implINS0_14default_configELb1EPKdPdPKlPlN2at6native12_GLOBAL__N_18offset_tEEE10hipError_tPvRmT1_PNSt15iterator_traitsIS12_E10value_typeET2_T3_PNS13_IS18_E10value_typeET4_jRbjT5_S1E_jjP12ihipStream_tbEUljE_ZNSN_ISO_Lb1ESQ_SR_ST_SU_SY_EESZ_S10_S11_S12_S16_S17_S18_S1B_S1C_jS1D_jS1E_S1E_jjS1G_bEUljE0_EEESZ_S10_S11_S18_S1C_S1E_T6_T7_T9_mT8_S1G_bDpT10_ENKUlT_T0_E_clISt17integral_constantIbLb0EES1U_EEDaS1P_S1Q_EUlS1P_E_NS1_11comp_targetILNS1_3genE3ELNS1_11target_archE908ELNS1_3gpuE7ELNS1_3repE0EEENS1_30default_config_static_selectorELNS0_4arch9wavefront6targetE0EEEvS12_.num_agpr, 0
	.set _ZN7rocprim17ROCPRIM_400000_NS6detail17trampoline_kernelINS0_13select_configILj256ELj13ELNS0_17block_load_methodE3ELS4_3ELS4_3ELNS0_20block_scan_algorithmE0ELj4294967295EEENS1_25partition_config_selectorILNS1_17partition_subalgoE4EjNS0_10empty_typeEbEEZZNS1_14partition_implILS8_4ELb0ES6_15HIP_vector_typeIjLj2EENS0_17counting_iteratorIjlEEPS9_SG_NS0_5tupleIJPjSI_NS0_16reverse_iteratorISI_EEEEENSH_IJSG_SG_SG_EEES9_SI_JZNS1_25segmented_radix_sort_implINS0_14default_configELb1EPKdPdPKlPlN2at6native12_GLOBAL__N_18offset_tEEE10hipError_tPvRmT1_PNSt15iterator_traitsIS12_E10value_typeET2_T3_PNS13_IS18_E10value_typeET4_jRbjT5_S1E_jjP12ihipStream_tbEUljE_ZNSN_ISO_Lb1ESQ_SR_ST_SU_SY_EESZ_S10_S11_S12_S16_S17_S18_S1B_S1C_jS1D_jS1E_S1E_jjS1G_bEUljE0_EEESZ_S10_S11_S18_S1C_S1E_T6_T7_T9_mT8_S1G_bDpT10_ENKUlT_T0_E_clISt17integral_constantIbLb0EES1U_EEDaS1P_S1Q_EUlS1P_E_NS1_11comp_targetILNS1_3genE3ELNS1_11target_archE908ELNS1_3gpuE7ELNS1_3repE0EEENS1_30default_config_static_selectorELNS0_4arch9wavefront6targetE0EEEvS12_.numbered_sgpr, 0
	.set _ZN7rocprim17ROCPRIM_400000_NS6detail17trampoline_kernelINS0_13select_configILj256ELj13ELNS0_17block_load_methodE3ELS4_3ELS4_3ELNS0_20block_scan_algorithmE0ELj4294967295EEENS1_25partition_config_selectorILNS1_17partition_subalgoE4EjNS0_10empty_typeEbEEZZNS1_14partition_implILS8_4ELb0ES6_15HIP_vector_typeIjLj2EENS0_17counting_iteratorIjlEEPS9_SG_NS0_5tupleIJPjSI_NS0_16reverse_iteratorISI_EEEEENSH_IJSG_SG_SG_EEES9_SI_JZNS1_25segmented_radix_sort_implINS0_14default_configELb1EPKdPdPKlPlN2at6native12_GLOBAL__N_18offset_tEEE10hipError_tPvRmT1_PNSt15iterator_traitsIS12_E10value_typeET2_T3_PNS13_IS18_E10value_typeET4_jRbjT5_S1E_jjP12ihipStream_tbEUljE_ZNSN_ISO_Lb1ESQ_SR_ST_SU_SY_EESZ_S10_S11_S12_S16_S17_S18_S1B_S1C_jS1D_jS1E_S1E_jjS1G_bEUljE0_EEESZ_S10_S11_S18_S1C_S1E_T6_T7_T9_mT8_S1G_bDpT10_ENKUlT_T0_E_clISt17integral_constantIbLb0EES1U_EEDaS1P_S1Q_EUlS1P_E_NS1_11comp_targetILNS1_3genE3ELNS1_11target_archE908ELNS1_3gpuE7ELNS1_3repE0EEENS1_30default_config_static_selectorELNS0_4arch9wavefront6targetE0EEEvS12_.num_named_barrier, 0
	.set _ZN7rocprim17ROCPRIM_400000_NS6detail17trampoline_kernelINS0_13select_configILj256ELj13ELNS0_17block_load_methodE3ELS4_3ELS4_3ELNS0_20block_scan_algorithmE0ELj4294967295EEENS1_25partition_config_selectorILNS1_17partition_subalgoE4EjNS0_10empty_typeEbEEZZNS1_14partition_implILS8_4ELb0ES6_15HIP_vector_typeIjLj2EENS0_17counting_iteratorIjlEEPS9_SG_NS0_5tupleIJPjSI_NS0_16reverse_iteratorISI_EEEEENSH_IJSG_SG_SG_EEES9_SI_JZNS1_25segmented_radix_sort_implINS0_14default_configELb1EPKdPdPKlPlN2at6native12_GLOBAL__N_18offset_tEEE10hipError_tPvRmT1_PNSt15iterator_traitsIS12_E10value_typeET2_T3_PNS13_IS18_E10value_typeET4_jRbjT5_S1E_jjP12ihipStream_tbEUljE_ZNSN_ISO_Lb1ESQ_SR_ST_SU_SY_EESZ_S10_S11_S12_S16_S17_S18_S1B_S1C_jS1D_jS1E_S1E_jjS1G_bEUljE0_EEESZ_S10_S11_S18_S1C_S1E_T6_T7_T9_mT8_S1G_bDpT10_ENKUlT_T0_E_clISt17integral_constantIbLb0EES1U_EEDaS1P_S1Q_EUlS1P_E_NS1_11comp_targetILNS1_3genE3ELNS1_11target_archE908ELNS1_3gpuE7ELNS1_3repE0EEENS1_30default_config_static_selectorELNS0_4arch9wavefront6targetE0EEEvS12_.private_seg_size, 0
	.set _ZN7rocprim17ROCPRIM_400000_NS6detail17trampoline_kernelINS0_13select_configILj256ELj13ELNS0_17block_load_methodE3ELS4_3ELS4_3ELNS0_20block_scan_algorithmE0ELj4294967295EEENS1_25partition_config_selectorILNS1_17partition_subalgoE4EjNS0_10empty_typeEbEEZZNS1_14partition_implILS8_4ELb0ES6_15HIP_vector_typeIjLj2EENS0_17counting_iteratorIjlEEPS9_SG_NS0_5tupleIJPjSI_NS0_16reverse_iteratorISI_EEEEENSH_IJSG_SG_SG_EEES9_SI_JZNS1_25segmented_radix_sort_implINS0_14default_configELb1EPKdPdPKlPlN2at6native12_GLOBAL__N_18offset_tEEE10hipError_tPvRmT1_PNSt15iterator_traitsIS12_E10value_typeET2_T3_PNS13_IS18_E10value_typeET4_jRbjT5_S1E_jjP12ihipStream_tbEUljE_ZNSN_ISO_Lb1ESQ_SR_ST_SU_SY_EESZ_S10_S11_S12_S16_S17_S18_S1B_S1C_jS1D_jS1E_S1E_jjS1G_bEUljE0_EEESZ_S10_S11_S18_S1C_S1E_T6_T7_T9_mT8_S1G_bDpT10_ENKUlT_T0_E_clISt17integral_constantIbLb0EES1U_EEDaS1P_S1Q_EUlS1P_E_NS1_11comp_targetILNS1_3genE3ELNS1_11target_archE908ELNS1_3gpuE7ELNS1_3repE0EEENS1_30default_config_static_selectorELNS0_4arch9wavefront6targetE0EEEvS12_.uses_vcc, 0
	.set _ZN7rocprim17ROCPRIM_400000_NS6detail17trampoline_kernelINS0_13select_configILj256ELj13ELNS0_17block_load_methodE3ELS4_3ELS4_3ELNS0_20block_scan_algorithmE0ELj4294967295EEENS1_25partition_config_selectorILNS1_17partition_subalgoE4EjNS0_10empty_typeEbEEZZNS1_14partition_implILS8_4ELb0ES6_15HIP_vector_typeIjLj2EENS0_17counting_iteratorIjlEEPS9_SG_NS0_5tupleIJPjSI_NS0_16reverse_iteratorISI_EEEEENSH_IJSG_SG_SG_EEES9_SI_JZNS1_25segmented_radix_sort_implINS0_14default_configELb1EPKdPdPKlPlN2at6native12_GLOBAL__N_18offset_tEEE10hipError_tPvRmT1_PNSt15iterator_traitsIS12_E10value_typeET2_T3_PNS13_IS18_E10value_typeET4_jRbjT5_S1E_jjP12ihipStream_tbEUljE_ZNSN_ISO_Lb1ESQ_SR_ST_SU_SY_EESZ_S10_S11_S12_S16_S17_S18_S1B_S1C_jS1D_jS1E_S1E_jjS1G_bEUljE0_EEESZ_S10_S11_S18_S1C_S1E_T6_T7_T9_mT8_S1G_bDpT10_ENKUlT_T0_E_clISt17integral_constantIbLb0EES1U_EEDaS1P_S1Q_EUlS1P_E_NS1_11comp_targetILNS1_3genE3ELNS1_11target_archE908ELNS1_3gpuE7ELNS1_3repE0EEENS1_30default_config_static_selectorELNS0_4arch9wavefront6targetE0EEEvS12_.uses_flat_scratch, 0
	.set _ZN7rocprim17ROCPRIM_400000_NS6detail17trampoline_kernelINS0_13select_configILj256ELj13ELNS0_17block_load_methodE3ELS4_3ELS4_3ELNS0_20block_scan_algorithmE0ELj4294967295EEENS1_25partition_config_selectorILNS1_17partition_subalgoE4EjNS0_10empty_typeEbEEZZNS1_14partition_implILS8_4ELb0ES6_15HIP_vector_typeIjLj2EENS0_17counting_iteratorIjlEEPS9_SG_NS0_5tupleIJPjSI_NS0_16reverse_iteratorISI_EEEEENSH_IJSG_SG_SG_EEES9_SI_JZNS1_25segmented_radix_sort_implINS0_14default_configELb1EPKdPdPKlPlN2at6native12_GLOBAL__N_18offset_tEEE10hipError_tPvRmT1_PNSt15iterator_traitsIS12_E10value_typeET2_T3_PNS13_IS18_E10value_typeET4_jRbjT5_S1E_jjP12ihipStream_tbEUljE_ZNSN_ISO_Lb1ESQ_SR_ST_SU_SY_EESZ_S10_S11_S12_S16_S17_S18_S1B_S1C_jS1D_jS1E_S1E_jjS1G_bEUljE0_EEESZ_S10_S11_S18_S1C_S1E_T6_T7_T9_mT8_S1G_bDpT10_ENKUlT_T0_E_clISt17integral_constantIbLb0EES1U_EEDaS1P_S1Q_EUlS1P_E_NS1_11comp_targetILNS1_3genE3ELNS1_11target_archE908ELNS1_3gpuE7ELNS1_3repE0EEENS1_30default_config_static_selectorELNS0_4arch9wavefront6targetE0EEEvS12_.has_dyn_sized_stack, 0
	.set _ZN7rocprim17ROCPRIM_400000_NS6detail17trampoline_kernelINS0_13select_configILj256ELj13ELNS0_17block_load_methodE3ELS4_3ELS4_3ELNS0_20block_scan_algorithmE0ELj4294967295EEENS1_25partition_config_selectorILNS1_17partition_subalgoE4EjNS0_10empty_typeEbEEZZNS1_14partition_implILS8_4ELb0ES6_15HIP_vector_typeIjLj2EENS0_17counting_iteratorIjlEEPS9_SG_NS0_5tupleIJPjSI_NS0_16reverse_iteratorISI_EEEEENSH_IJSG_SG_SG_EEES9_SI_JZNS1_25segmented_radix_sort_implINS0_14default_configELb1EPKdPdPKlPlN2at6native12_GLOBAL__N_18offset_tEEE10hipError_tPvRmT1_PNSt15iterator_traitsIS12_E10value_typeET2_T3_PNS13_IS18_E10value_typeET4_jRbjT5_S1E_jjP12ihipStream_tbEUljE_ZNSN_ISO_Lb1ESQ_SR_ST_SU_SY_EESZ_S10_S11_S12_S16_S17_S18_S1B_S1C_jS1D_jS1E_S1E_jjS1G_bEUljE0_EEESZ_S10_S11_S18_S1C_S1E_T6_T7_T9_mT8_S1G_bDpT10_ENKUlT_T0_E_clISt17integral_constantIbLb0EES1U_EEDaS1P_S1Q_EUlS1P_E_NS1_11comp_targetILNS1_3genE3ELNS1_11target_archE908ELNS1_3gpuE7ELNS1_3repE0EEENS1_30default_config_static_selectorELNS0_4arch9wavefront6targetE0EEEvS12_.has_recursion, 0
	.set _ZN7rocprim17ROCPRIM_400000_NS6detail17trampoline_kernelINS0_13select_configILj256ELj13ELNS0_17block_load_methodE3ELS4_3ELS4_3ELNS0_20block_scan_algorithmE0ELj4294967295EEENS1_25partition_config_selectorILNS1_17partition_subalgoE4EjNS0_10empty_typeEbEEZZNS1_14partition_implILS8_4ELb0ES6_15HIP_vector_typeIjLj2EENS0_17counting_iteratorIjlEEPS9_SG_NS0_5tupleIJPjSI_NS0_16reverse_iteratorISI_EEEEENSH_IJSG_SG_SG_EEES9_SI_JZNS1_25segmented_radix_sort_implINS0_14default_configELb1EPKdPdPKlPlN2at6native12_GLOBAL__N_18offset_tEEE10hipError_tPvRmT1_PNSt15iterator_traitsIS12_E10value_typeET2_T3_PNS13_IS18_E10value_typeET4_jRbjT5_S1E_jjP12ihipStream_tbEUljE_ZNSN_ISO_Lb1ESQ_SR_ST_SU_SY_EESZ_S10_S11_S12_S16_S17_S18_S1B_S1C_jS1D_jS1E_S1E_jjS1G_bEUljE0_EEESZ_S10_S11_S18_S1C_S1E_T6_T7_T9_mT8_S1G_bDpT10_ENKUlT_T0_E_clISt17integral_constantIbLb0EES1U_EEDaS1P_S1Q_EUlS1P_E_NS1_11comp_targetILNS1_3genE3ELNS1_11target_archE908ELNS1_3gpuE7ELNS1_3repE0EEENS1_30default_config_static_selectorELNS0_4arch9wavefront6targetE0EEEvS12_.has_indirect_call, 0
	.section	.AMDGPU.csdata,"",@progbits
; Kernel info:
; codeLenInByte = 0
; TotalNumSgprs: 0
; NumVgprs: 0
; ScratchSize: 0
; MemoryBound: 0
; FloatMode: 240
; IeeeMode: 1
; LDSByteSize: 0 bytes/workgroup (compile time only)
; SGPRBlocks: 0
; VGPRBlocks: 0
; NumSGPRsForWavesPerEU: 1
; NumVGPRsForWavesPerEU: 1
; Occupancy: 16
; WaveLimiterHint : 0
; COMPUTE_PGM_RSRC2:SCRATCH_EN: 0
; COMPUTE_PGM_RSRC2:USER_SGPR: 2
; COMPUTE_PGM_RSRC2:TRAP_HANDLER: 0
; COMPUTE_PGM_RSRC2:TGID_X_EN: 1
; COMPUTE_PGM_RSRC2:TGID_Y_EN: 0
; COMPUTE_PGM_RSRC2:TGID_Z_EN: 0
; COMPUTE_PGM_RSRC2:TIDIG_COMP_CNT: 0
	.section	.text._ZN7rocprim17ROCPRIM_400000_NS6detail17trampoline_kernelINS0_13select_configILj256ELj13ELNS0_17block_load_methodE3ELS4_3ELS4_3ELNS0_20block_scan_algorithmE0ELj4294967295EEENS1_25partition_config_selectorILNS1_17partition_subalgoE4EjNS0_10empty_typeEbEEZZNS1_14partition_implILS8_4ELb0ES6_15HIP_vector_typeIjLj2EENS0_17counting_iteratorIjlEEPS9_SG_NS0_5tupleIJPjSI_NS0_16reverse_iteratorISI_EEEEENSH_IJSG_SG_SG_EEES9_SI_JZNS1_25segmented_radix_sort_implINS0_14default_configELb1EPKdPdPKlPlN2at6native12_GLOBAL__N_18offset_tEEE10hipError_tPvRmT1_PNSt15iterator_traitsIS12_E10value_typeET2_T3_PNS13_IS18_E10value_typeET4_jRbjT5_S1E_jjP12ihipStream_tbEUljE_ZNSN_ISO_Lb1ESQ_SR_ST_SU_SY_EESZ_S10_S11_S12_S16_S17_S18_S1B_S1C_jS1D_jS1E_S1E_jjS1G_bEUljE0_EEESZ_S10_S11_S18_S1C_S1E_T6_T7_T9_mT8_S1G_bDpT10_ENKUlT_T0_E_clISt17integral_constantIbLb0EES1U_EEDaS1P_S1Q_EUlS1P_E_NS1_11comp_targetILNS1_3genE2ELNS1_11target_archE906ELNS1_3gpuE6ELNS1_3repE0EEENS1_30default_config_static_selectorELNS0_4arch9wavefront6targetE0EEEvS12_,"axG",@progbits,_ZN7rocprim17ROCPRIM_400000_NS6detail17trampoline_kernelINS0_13select_configILj256ELj13ELNS0_17block_load_methodE3ELS4_3ELS4_3ELNS0_20block_scan_algorithmE0ELj4294967295EEENS1_25partition_config_selectorILNS1_17partition_subalgoE4EjNS0_10empty_typeEbEEZZNS1_14partition_implILS8_4ELb0ES6_15HIP_vector_typeIjLj2EENS0_17counting_iteratorIjlEEPS9_SG_NS0_5tupleIJPjSI_NS0_16reverse_iteratorISI_EEEEENSH_IJSG_SG_SG_EEES9_SI_JZNS1_25segmented_radix_sort_implINS0_14default_configELb1EPKdPdPKlPlN2at6native12_GLOBAL__N_18offset_tEEE10hipError_tPvRmT1_PNSt15iterator_traitsIS12_E10value_typeET2_T3_PNS13_IS18_E10value_typeET4_jRbjT5_S1E_jjP12ihipStream_tbEUljE_ZNSN_ISO_Lb1ESQ_SR_ST_SU_SY_EESZ_S10_S11_S12_S16_S17_S18_S1B_S1C_jS1D_jS1E_S1E_jjS1G_bEUljE0_EEESZ_S10_S11_S18_S1C_S1E_T6_T7_T9_mT8_S1G_bDpT10_ENKUlT_T0_E_clISt17integral_constantIbLb0EES1U_EEDaS1P_S1Q_EUlS1P_E_NS1_11comp_targetILNS1_3genE2ELNS1_11target_archE906ELNS1_3gpuE6ELNS1_3repE0EEENS1_30default_config_static_selectorELNS0_4arch9wavefront6targetE0EEEvS12_,comdat
	.globl	_ZN7rocprim17ROCPRIM_400000_NS6detail17trampoline_kernelINS0_13select_configILj256ELj13ELNS0_17block_load_methodE3ELS4_3ELS4_3ELNS0_20block_scan_algorithmE0ELj4294967295EEENS1_25partition_config_selectorILNS1_17partition_subalgoE4EjNS0_10empty_typeEbEEZZNS1_14partition_implILS8_4ELb0ES6_15HIP_vector_typeIjLj2EENS0_17counting_iteratorIjlEEPS9_SG_NS0_5tupleIJPjSI_NS0_16reverse_iteratorISI_EEEEENSH_IJSG_SG_SG_EEES9_SI_JZNS1_25segmented_radix_sort_implINS0_14default_configELb1EPKdPdPKlPlN2at6native12_GLOBAL__N_18offset_tEEE10hipError_tPvRmT1_PNSt15iterator_traitsIS12_E10value_typeET2_T3_PNS13_IS18_E10value_typeET4_jRbjT5_S1E_jjP12ihipStream_tbEUljE_ZNSN_ISO_Lb1ESQ_SR_ST_SU_SY_EESZ_S10_S11_S12_S16_S17_S18_S1B_S1C_jS1D_jS1E_S1E_jjS1G_bEUljE0_EEESZ_S10_S11_S18_S1C_S1E_T6_T7_T9_mT8_S1G_bDpT10_ENKUlT_T0_E_clISt17integral_constantIbLb0EES1U_EEDaS1P_S1Q_EUlS1P_E_NS1_11comp_targetILNS1_3genE2ELNS1_11target_archE906ELNS1_3gpuE6ELNS1_3repE0EEENS1_30default_config_static_selectorELNS0_4arch9wavefront6targetE0EEEvS12_ ; -- Begin function _ZN7rocprim17ROCPRIM_400000_NS6detail17trampoline_kernelINS0_13select_configILj256ELj13ELNS0_17block_load_methodE3ELS4_3ELS4_3ELNS0_20block_scan_algorithmE0ELj4294967295EEENS1_25partition_config_selectorILNS1_17partition_subalgoE4EjNS0_10empty_typeEbEEZZNS1_14partition_implILS8_4ELb0ES6_15HIP_vector_typeIjLj2EENS0_17counting_iteratorIjlEEPS9_SG_NS0_5tupleIJPjSI_NS0_16reverse_iteratorISI_EEEEENSH_IJSG_SG_SG_EEES9_SI_JZNS1_25segmented_radix_sort_implINS0_14default_configELb1EPKdPdPKlPlN2at6native12_GLOBAL__N_18offset_tEEE10hipError_tPvRmT1_PNSt15iterator_traitsIS12_E10value_typeET2_T3_PNS13_IS18_E10value_typeET4_jRbjT5_S1E_jjP12ihipStream_tbEUljE_ZNSN_ISO_Lb1ESQ_SR_ST_SU_SY_EESZ_S10_S11_S12_S16_S17_S18_S1B_S1C_jS1D_jS1E_S1E_jjS1G_bEUljE0_EEESZ_S10_S11_S18_S1C_S1E_T6_T7_T9_mT8_S1G_bDpT10_ENKUlT_T0_E_clISt17integral_constantIbLb0EES1U_EEDaS1P_S1Q_EUlS1P_E_NS1_11comp_targetILNS1_3genE2ELNS1_11target_archE906ELNS1_3gpuE6ELNS1_3repE0EEENS1_30default_config_static_selectorELNS0_4arch9wavefront6targetE0EEEvS12_
	.p2align	8
	.type	_ZN7rocprim17ROCPRIM_400000_NS6detail17trampoline_kernelINS0_13select_configILj256ELj13ELNS0_17block_load_methodE3ELS4_3ELS4_3ELNS0_20block_scan_algorithmE0ELj4294967295EEENS1_25partition_config_selectorILNS1_17partition_subalgoE4EjNS0_10empty_typeEbEEZZNS1_14partition_implILS8_4ELb0ES6_15HIP_vector_typeIjLj2EENS0_17counting_iteratorIjlEEPS9_SG_NS0_5tupleIJPjSI_NS0_16reverse_iteratorISI_EEEEENSH_IJSG_SG_SG_EEES9_SI_JZNS1_25segmented_radix_sort_implINS0_14default_configELb1EPKdPdPKlPlN2at6native12_GLOBAL__N_18offset_tEEE10hipError_tPvRmT1_PNSt15iterator_traitsIS12_E10value_typeET2_T3_PNS13_IS18_E10value_typeET4_jRbjT5_S1E_jjP12ihipStream_tbEUljE_ZNSN_ISO_Lb1ESQ_SR_ST_SU_SY_EESZ_S10_S11_S12_S16_S17_S18_S1B_S1C_jS1D_jS1E_S1E_jjS1G_bEUljE0_EEESZ_S10_S11_S18_S1C_S1E_T6_T7_T9_mT8_S1G_bDpT10_ENKUlT_T0_E_clISt17integral_constantIbLb0EES1U_EEDaS1P_S1Q_EUlS1P_E_NS1_11comp_targetILNS1_3genE2ELNS1_11target_archE906ELNS1_3gpuE6ELNS1_3repE0EEENS1_30default_config_static_selectorELNS0_4arch9wavefront6targetE0EEEvS12_,@function
_ZN7rocprim17ROCPRIM_400000_NS6detail17trampoline_kernelINS0_13select_configILj256ELj13ELNS0_17block_load_methodE3ELS4_3ELS4_3ELNS0_20block_scan_algorithmE0ELj4294967295EEENS1_25partition_config_selectorILNS1_17partition_subalgoE4EjNS0_10empty_typeEbEEZZNS1_14partition_implILS8_4ELb0ES6_15HIP_vector_typeIjLj2EENS0_17counting_iteratorIjlEEPS9_SG_NS0_5tupleIJPjSI_NS0_16reverse_iteratorISI_EEEEENSH_IJSG_SG_SG_EEES9_SI_JZNS1_25segmented_radix_sort_implINS0_14default_configELb1EPKdPdPKlPlN2at6native12_GLOBAL__N_18offset_tEEE10hipError_tPvRmT1_PNSt15iterator_traitsIS12_E10value_typeET2_T3_PNS13_IS18_E10value_typeET4_jRbjT5_S1E_jjP12ihipStream_tbEUljE_ZNSN_ISO_Lb1ESQ_SR_ST_SU_SY_EESZ_S10_S11_S12_S16_S17_S18_S1B_S1C_jS1D_jS1E_S1E_jjS1G_bEUljE0_EEESZ_S10_S11_S18_S1C_S1E_T6_T7_T9_mT8_S1G_bDpT10_ENKUlT_T0_E_clISt17integral_constantIbLb0EES1U_EEDaS1P_S1Q_EUlS1P_E_NS1_11comp_targetILNS1_3genE2ELNS1_11target_archE906ELNS1_3gpuE6ELNS1_3repE0EEENS1_30default_config_static_selectorELNS0_4arch9wavefront6targetE0EEEvS12_: ; @_ZN7rocprim17ROCPRIM_400000_NS6detail17trampoline_kernelINS0_13select_configILj256ELj13ELNS0_17block_load_methodE3ELS4_3ELS4_3ELNS0_20block_scan_algorithmE0ELj4294967295EEENS1_25partition_config_selectorILNS1_17partition_subalgoE4EjNS0_10empty_typeEbEEZZNS1_14partition_implILS8_4ELb0ES6_15HIP_vector_typeIjLj2EENS0_17counting_iteratorIjlEEPS9_SG_NS0_5tupleIJPjSI_NS0_16reverse_iteratorISI_EEEEENSH_IJSG_SG_SG_EEES9_SI_JZNS1_25segmented_radix_sort_implINS0_14default_configELb1EPKdPdPKlPlN2at6native12_GLOBAL__N_18offset_tEEE10hipError_tPvRmT1_PNSt15iterator_traitsIS12_E10value_typeET2_T3_PNS13_IS18_E10value_typeET4_jRbjT5_S1E_jjP12ihipStream_tbEUljE_ZNSN_ISO_Lb1ESQ_SR_ST_SU_SY_EESZ_S10_S11_S12_S16_S17_S18_S1B_S1C_jS1D_jS1E_S1E_jjS1G_bEUljE0_EEESZ_S10_S11_S18_S1C_S1E_T6_T7_T9_mT8_S1G_bDpT10_ENKUlT_T0_E_clISt17integral_constantIbLb0EES1U_EEDaS1P_S1Q_EUlS1P_E_NS1_11comp_targetILNS1_3genE2ELNS1_11target_archE906ELNS1_3gpuE6ELNS1_3repE0EEENS1_30default_config_static_selectorELNS0_4arch9wavefront6targetE0EEEvS12_
; %bb.0:
	.section	.rodata,"a",@progbits
	.p2align	6, 0x0
	.amdhsa_kernel _ZN7rocprim17ROCPRIM_400000_NS6detail17trampoline_kernelINS0_13select_configILj256ELj13ELNS0_17block_load_methodE3ELS4_3ELS4_3ELNS0_20block_scan_algorithmE0ELj4294967295EEENS1_25partition_config_selectorILNS1_17partition_subalgoE4EjNS0_10empty_typeEbEEZZNS1_14partition_implILS8_4ELb0ES6_15HIP_vector_typeIjLj2EENS0_17counting_iteratorIjlEEPS9_SG_NS0_5tupleIJPjSI_NS0_16reverse_iteratorISI_EEEEENSH_IJSG_SG_SG_EEES9_SI_JZNS1_25segmented_radix_sort_implINS0_14default_configELb1EPKdPdPKlPlN2at6native12_GLOBAL__N_18offset_tEEE10hipError_tPvRmT1_PNSt15iterator_traitsIS12_E10value_typeET2_T3_PNS13_IS18_E10value_typeET4_jRbjT5_S1E_jjP12ihipStream_tbEUljE_ZNSN_ISO_Lb1ESQ_SR_ST_SU_SY_EESZ_S10_S11_S12_S16_S17_S18_S1B_S1C_jS1D_jS1E_S1E_jjS1G_bEUljE0_EEESZ_S10_S11_S18_S1C_S1E_T6_T7_T9_mT8_S1G_bDpT10_ENKUlT_T0_E_clISt17integral_constantIbLb0EES1U_EEDaS1P_S1Q_EUlS1P_E_NS1_11comp_targetILNS1_3genE2ELNS1_11target_archE906ELNS1_3gpuE6ELNS1_3repE0EEENS1_30default_config_static_selectorELNS0_4arch9wavefront6targetE0EEEvS12_
		.amdhsa_group_segment_fixed_size 0
		.amdhsa_private_segment_fixed_size 0
		.amdhsa_kernarg_size 176
		.amdhsa_user_sgpr_count 2
		.amdhsa_user_sgpr_dispatch_ptr 0
		.amdhsa_user_sgpr_queue_ptr 0
		.amdhsa_user_sgpr_kernarg_segment_ptr 1
		.amdhsa_user_sgpr_dispatch_id 0
		.amdhsa_user_sgpr_private_segment_size 0
		.amdhsa_wavefront_size32 1
		.amdhsa_uses_dynamic_stack 0
		.amdhsa_enable_private_segment 0
		.amdhsa_system_sgpr_workgroup_id_x 1
		.amdhsa_system_sgpr_workgroup_id_y 0
		.amdhsa_system_sgpr_workgroup_id_z 0
		.amdhsa_system_sgpr_workgroup_info 0
		.amdhsa_system_vgpr_workitem_id 0
		.amdhsa_next_free_vgpr 1
		.amdhsa_next_free_sgpr 1
		.amdhsa_reserve_vcc 0
		.amdhsa_float_round_mode_32 0
		.amdhsa_float_round_mode_16_64 0
		.amdhsa_float_denorm_mode_32 3
		.amdhsa_float_denorm_mode_16_64 3
		.amdhsa_fp16_overflow 0
		.amdhsa_workgroup_processor_mode 1
		.amdhsa_memory_ordered 1
		.amdhsa_forward_progress 1
		.amdhsa_inst_pref_size 0
		.amdhsa_round_robin_scheduling 0
		.amdhsa_exception_fp_ieee_invalid_op 0
		.amdhsa_exception_fp_denorm_src 0
		.amdhsa_exception_fp_ieee_div_zero 0
		.amdhsa_exception_fp_ieee_overflow 0
		.amdhsa_exception_fp_ieee_underflow 0
		.amdhsa_exception_fp_ieee_inexact 0
		.amdhsa_exception_int_div_zero 0
	.end_amdhsa_kernel
	.section	.text._ZN7rocprim17ROCPRIM_400000_NS6detail17trampoline_kernelINS0_13select_configILj256ELj13ELNS0_17block_load_methodE3ELS4_3ELS4_3ELNS0_20block_scan_algorithmE0ELj4294967295EEENS1_25partition_config_selectorILNS1_17partition_subalgoE4EjNS0_10empty_typeEbEEZZNS1_14partition_implILS8_4ELb0ES6_15HIP_vector_typeIjLj2EENS0_17counting_iteratorIjlEEPS9_SG_NS0_5tupleIJPjSI_NS0_16reverse_iteratorISI_EEEEENSH_IJSG_SG_SG_EEES9_SI_JZNS1_25segmented_radix_sort_implINS0_14default_configELb1EPKdPdPKlPlN2at6native12_GLOBAL__N_18offset_tEEE10hipError_tPvRmT1_PNSt15iterator_traitsIS12_E10value_typeET2_T3_PNS13_IS18_E10value_typeET4_jRbjT5_S1E_jjP12ihipStream_tbEUljE_ZNSN_ISO_Lb1ESQ_SR_ST_SU_SY_EESZ_S10_S11_S12_S16_S17_S18_S1B_S1C_jS1D_jS1E_S1E_jjS1G_bEUljE0_EEESZ_S10_S11_S18_S1C_S1E_T6_T7_T9_mT8_S1G_bDpT10_ENKUlT_T0_E_clISt17integral_constantIbLb0EES1U_EEDaS1P_S1Q_EUlS1P_E_NS1_11comp_targetILNS1_3genE2ELNS1_11target_archE906ELNS1_3gpuE6ELNS1_3repE0EEENS1_30default_config_static_selectorELNS0_4arch9wavefront6targetE0EEEvS12_,"axG",@progbits,_ZN7rocprim17ROCPRIM_400000_NS6detail17trampoline_kernelINS0_13select_configILj256ELj13ELNS0_17block_load_methodE3ELS4_3ELS4_3ELNS0_20block_scan_algorithmE0ELj4294967295EEENS1_25partition_config_selectorILNS1_17partition_subalgoE4EjNS0_10empty_typeEbEEZZNS1_14partition_implILS8_4ELb0ES6_15HIP_vector_typeIjLj2EENS0_17counting_iteratorIjlEEPS9_SG_NS0_5tupleIJPjSI_NS0_16reverse_iteratorISI_EEEEENSH_IJSG_SG_SG_EEES9_SI_JZNS1_25segmented_radix_sort_implINS0_14default_configELb1EPKdPdPKlPlN2at6native12_GLOBAL__N_18offset_tEEE10hipError_tPvRmT1_PNSt15iterator_traitsIS12_E10value_typeET2_T3_PNS13_IS18_E10value_typeET4_jRbjT5_S1E_jjP12ihipStream_tbEUljE_ZNSN_ISO_Lb1ESQ_SR_ST_SU_SY_EESZ_S10_S11_S12_S16_S17_S18_S1B_S1C_jS1D_jS1E_S1E_jjS1G_bEUljE0_EEESZ_S10_S11_S18_S1C_S1E_T6_T7_T9_mT8_S1G_bDpT10_ENKUlT_T0_E_clISt17integral_constantIbLb0EES1U_EEDaS1P_S1Q_EUlS1P_E_NS1_11comp_targetILNS1_3genE2ELNS1_11target_archE906ELNS1_3gpuE6ELNS1_3repE0EEENS1_30default_config_static_selectorELNS0_4arch9wavefront6targetE0EEEvS12_,comdat
.Lfunc_end1058:
	.size	_ZN7rocprim17ROCPRIM_400000_NS6detail17trampoline_kernelINS0_13select_configILj256ELj13ELNS0_17block_load_methodE3ELS4_3ELS4_3ELNS0_20block_scan_algorithmE0ELj4294967295EEENS1_25partition_config_selectorILNS1_17partition_subalgoE4EjNS0_10empty_typeEbEEZZNS1_14partition_implILS8_4ELb0ES6_15HIP_vector_typeIjLj2EENS0_17counting_iteratorIjlEEPS9_SG_NS0_5tupleIJPjSI_NS0_16reverse_iteratorISI_EEEEENSH_IJSG_SG_SG_EEES9_SI_JZNS1_25segmented_radix_sort_implINS0_14default_configELb1EPKdPdPKlPlN2at6native12_GLOBAL__N_18offset_tEEE10hipError_tPvRmT1_PNSt15iterator_traitsIS12_E10value_typeET2_T3_PNS13_IS18_E10value_typeET4_jRbjT5_S1E_jjP12ihipStream_tbEUljE_ZNSN_ISO_Lb1ESQ_SR_ST_SU_SY_EESZ_S10_S11_S12_S16_S17_S18_S1B_S1C_jS1D_jS1E_S1E_jjS1G_bEUljE0_EEESZ_S10_S11_S18_S1C_S1E_T6_T7_T9_mT8_S1G_bDpT10_ENKUlT_T0_E_clISt17integral_constantIbLb0EES1U_EEDaS1P_S1Q_EUlS1P_E_NS1_11comp_targetILNS1_3genE2ELNS1_11target_archE906ELNS1_3gpuE6ELNS1_3repE0EEENS1_30default_config_static_selectorELNS0_4arch9wavefront6targetE0EEEvS12_, .Lfunc_end1058-_ZN7rocprim17ROCPRIM_400000_NS6detail17trampoline_kernelINS0_13select_configILj256ELj13ELNS0_17block_load_methodE3ELS4_3ELS4_3ELNS0_20block_scan_algorithmE0ELj4294967295EEENS1_25partition_config_selectorILNS1_17partition_subalgoE4EjNS0_10empty_typeEbEEZZNS1_14partition_implILS8_4ELb0ES6_15HIP_vector_typeIjLj2EENS0_17counting_iteratorIjlEEPS9_SG_NS0_5tupleIJPjSI_NS0_16reverse_iteratorISI_EEEEENSH_IJSG_SG_SG_EEES9_SI_JZNS1_25segmented_radix_sort_implINS0_14default_configELb1EPKdPdPKlPlN2at6native12_GLOBAL__N_18offset_tEEE10hipError_tPvRmT1_PNSt15iterator_traitsIS12_E10value_typeET2_T3_PNS13_IS18_E10value_typeET4_jRbjT5_S1E_jjP12ihipStream_tbEUljE_ZNSN_ISO_Lb1ESQ_SR_ST_SU_SY_EESZ_S10_S11_S12_S16_S17_S18_S1B_S1C_jS1D_jS1E_S1E_jjS1G_bEUljE0_EEESZ_S10_S11_S18_S1C_S1E_T6_T7_T9_mT8_S1G_bDpT10_ENKUlT_T0_E_clISt17integral_constantIbLb0EES1U_EEDaS1P_S1Q_EUlS1P_E_NS1_11comp_targetILNS1_3genE2ELNS1_11target_archE906ELNS1_3gpuE6ELNS1_3repE0EEENS1_30default_config_static_selectorELNS0_4arch9wavefront6targetE0EEEvS12_
                                        ; -- End function
	.set _ZN7rocprim17ROCPRIM_400000_NS6detail17trampoline_kernelINS0_13select_configILj256ELj13ELNS0_17block_load_methodE3ELS4_3ELS4_3ELNS0_20block_scan_algorithmE0ELj4294967295EEENS1_25partition_config_selectorILNS1_17partition_subalgoE4EjNS0_10empty_typeEbEEZZNS1_14partition_implILS8_4ELb0ES6_15HIP_vector_typeIjLj2EENS0_17counting_iteratorIjlEEPS9_SG_NS0_5tupleIJPjSI_NS0_16reverse_iteratorISI_EEEEENSH_IJSG_SG_SG_EEES9_SI_JZNS1_25segmented_radix_sort_implINS0_14default_configELb1EPKdPdPKlPlN2at6native12_GLOBAL__N_18offset_tEEE10hipError_tPvRmT1_PNSt15iterator_traitsIS12_E10value_typeET2_T3_PNS13_IS18_E10value_typeET4_jRbjT5_S1E_jjP12ihipStream_tbEUljE_ZNSN_ISO_Lb1ESQ_SR_ST_SU_SY_EESZ_S10_S11_S12_S16_S17_S18_S1B_S1C_jS1D_jS1E_S1E_jjS1G_bEUljE0_EEESZ_S10_S11_S18_S1C_S1E_T6_T7_T9_mT8_S1G_bDpT10_ENKUlT_T0_E_clISt17integral_constantIbLb0EES1U_EEDaS1P_S1Q_EUlS1P_E_NS1_11comp_targetILNS1_3genE2ELNS1_11target_archE906ELNS1_3gpuE6ELNS1_3repE0EEENS1_30default_config_static_selectorELNS0_4arch9wavefront6targetE0EEEvS12_.num_vgpr, 0
	.set _ZN7rocprim17ROCPRIM_400000_NS6detail17trampoline_kernelINS0_13select_configILj256ELj13ELNS0_17block_load_methodE3ELS4_3ELS4_3ELNS0_20block_scan_algorithmE0ELj4294967295EEENS1_25partition_config_selectorILNS1_17partition_subalgoE4EjNS0_10empty_typeEbEEZZNS1_14partition_implILS8_4ELb0ES6_15HIP_vector_typeIjLj2EENS0_17counting_iteratorIjlEEPS9_SG_NS0_5tupleIJPjSI_NS0_16reverse_iteratorISI_EEEEENSH_IJSG_SG_SG_EEES9_SI_JZNS1_25segmented_radix_sort_implINS0_14default_configELb1EPKdPdPKlPlN2at6native12_GLOBAL__N_18offset_tEEE10hipError_tPvRmT1_PNSt15iterator_traitsIS12_E10value_typeET2_T3_PNS13_IS18_E10value_typeET4_jRbjT5_S1E_jjP12ihipStream_tbEUljE_ZNSN_ISO_Lb1ESQ_SR_ST_SU_SY_EESZ_S10_S11_S12_S16_S17_S18_S1B_S1C_jS1D_jS1E_S1E_jjS1G_bEUljE0_EEESZ_S10_S11_S18_S1C_S1E_T6_T7_T9_mT8_S1G_bDpT10_ENKUlT_T0_E_clISt17integral_constantIbLb0EES1U_EEDaS1P_S1Q_EUlS1P_E_NS1_11comp_targetILNS1_3genE2ELNS1_11target_archE906ELNS1_3gpuE6ELNS1_3repE0EEENS1_30default_config_static_selectorELNS0_4arch9wavefront6targetE0EEEvS12_.num_agpr, 0
	.set _ZN7rocprim17ROCPRIM_400000_NS6detail17trampoline_kernelINS0_13select_configILj256ELj13ELNS0_17block_load_methodE3ELS4_3ELS4_3ELNS0_20block_scan_algorithmE0ELj4294967295EEENS1_25partition_config_selectorILNS1_17partition_subalgoE4EjNS0_10empty_typeEbEEZZNS1_14partition_implILS8_4ELb0ES6_15HIP_vector_typeIjLj2EENS0_17counting_iteratorIjlEEPS9_SG_NS0_5tupleIJPjSI_NS0_16reverse_iteratorISI_EEEEENSH_IJSG_SG_SG_EEES9_SI_JZNS1_25segmented_radix_sort_implINS0_14default_configELb1EPKdPdPKlPlN2at6native12_GLOBAL__N_18offset_tEEE10hipError_tPvRmT1_PNSt15iterator_traitsIS12_E10value_typeET2_T3_PNS13_IS18_E10value_typeET4_jRbjT5_S1E_jjP12ihipStream_tbEUljE_ZNSN_ISO_Lb1ESQ_SR_ST_SU_SY_EESZ_S10_S11_S12_S16_S17_S18_S1B_S1C_jS1D_jS1E_S1E_jjS1G_bEUljE0_EEESZ_S10_S11_S18_S1C_S1E_T6_T7_T9_mT8_S1G_bDpT10_ENKUlT_T0_E_clISt17integral_constantIbLb0EES1U_EEDaS1P_S1Q_EUlS1P_E_NS1_11comp_targetILNS1_3genE2ELNS1_11target_archE906ELNS1_3gpuE6ELNS1_3repE0EEENS1_30default_config_static_selectorELNS0_4arch9wavefront6targetE0EEEvS12_.numbered_sgpr, 0
	.set _ZN7rocprim17ROCPRIM_400000_NS6detail17trampoline_kernelINS0_13select_configILj256ELj13ELNS0_17block_load_methodE3ELS4_3ELS4_3ELNS0_20block_scan_algorithmE0ELj4294967295EEENS1_25partition_config_selectorILNS1_17partition_subalgoE4EjNS0_10empty_typeEbEEZZNS1_14partition_implILS8_4ELb0ES6_15HIP_vector_typeIjLj2EENS0_17counting_iteratorIjlEEPS9_SG_NS0_5tupleIJPjSI_NS0_16reverse_iteratorISI_EEEEENSH_IJSG_SG_SG_EEES9_SI_JZNS1_25segmented_radix_sort_implINS0_14default_configELb1EPKdPdPKlPlN2at6native12_GLOBAL__N_18offset_tEEE10hipError_tPvRmT1_PNSt15iterator_traitsIS12_E10value_typeET2_T3_PNS13_IS18_E10value_typeET4_jRbjT5_S1E_jjP12ihipStream_tbEUljE_ZNSN_ISO_Lb1ESQ_SR_ST_SU_SY_EESZ_S10_S11_S12_S16_S17_S18_S1B_S1C_jS1D_jS1E_S1E_jjS1G_bEUljE0_EEESZ_S10_S11_S18_S1C_S1E_T6_T7_T9_mT8_S1G_bDpT10_ENKUlT_T0_E_clISt17integral_constantIbLb0EES1U_EEDaS1P_S1Q_EUlS1P_E_NS1_11comp_targetILNS1_3genE2ELNS1_11target_archE906ELNS1_3gpuE6ELNS1_3repE0EEENS1_30default_config_static_selectorELNS0_4arch9wavefront6targetE0EEEvS12_.num_named_barrier, 0
	.set _ZN7rocprim17ROCPRIM_400000_NS6detail17trampoline_kernelINS0_13select_configILj256ELj13ELNS0_17block_load_methodE3ELS4_3ELS4_3ELNS0_20block_scan_algorithmE0ELj4294967295EEENS1_25partition_config_selectorILNS1_17partition_subalgoE4EjNS0_10empty_typeEbEEZZNS1_14partition_implILS8_4ELb0ES6_15HIP_vector_typeIjLj2EENS0_17counting_iteratorIjlEEPS9_SG_NS0_5tupleIJPjSI_NS0_16reverse_iteratorISI_EEEEENSH_IJSG_SG_SG_EEES9_SI_JZNS1_25segmented_radix_sort_implINS0_14default_configELb1EPKdPdPKlPlN2at6native12_GLOBAL__N_18offset_tEEE10hipError_tPvRmT1_PNSt15iterator_traitsIS12_E10value_typeET2_T3_PNS13_IS18_E10value_typeET4_jRbjT5_S1E_jjP12ihipStream_tbEUljE_ZNSN_ISO_Lb1ESQ_SR_ST_SU_SY_EESZ_S10_S11_S12_S16_S17_S18_S1B_S1C_jS1D_jS1E_S1E_jjS1G_bEUljE0_EEESZ_S10_S11_S18_S1C_S1E_T6_T7_T9_mT8_S1G_bDpT10_ENKUlT_T0_E_clISt17integral_constantIbLb0EES1U_EEDaS1P_S1Q_EUlS1P_E_NS1_11comp_targetILNS1_3genE2ELNS1_11target_archE906ELNS1_3gpuE6ELNS1_3repE0EEENS1_30default_config_static_selectorELNS0_4arch9wavefront6targetE0EEEvS12_.private_seg_size, 0
	.set _ZN7rocprim17ROCPRIM_400000_NS6detail17trampoline_kernelINS0_13select_configILj256ELj13ELNS0_17block_load_methodE3ELS4_3ELS4_3ELNS0_20block_scan_algorithmE0ELj4294967295EEENS1_25partition_config_selectorILNS1_17partition_subalgoE4EjNS0_10empty_typeEbEEZZNS1_14partition_implILS8_4ELb0ES6_15HIP_vector_typeIjLj2EENS0_17counting_iteratorIjlEEPS9_SG_NS0_5tupleIJPjSI_NS0_16reverse_iteratorISI_EEEEENSH_IJSG_SG_SG_EEES9_SI_JZNS1_25segmented_radix_sort_implINS0_14default_configELb1EPKdPdPKlPlN2at6native12_GLOBAL__N_18offset_tEEE10hipError_tPvRmT1_PNSt15iterator_traitsIS12_E10value_typeET2_T3_PNS13_IS18_E10value_typeET4_jRbjT5_S1E_jjP12ihipStream_tbEUljE_ZNSN_ISO_Lb1ESQ_SR_ST_SU_SY_EESZ_S10_S11_S12_S16_S17_S18_S1B_S1C_jS1D_jS1E_S1E_jjS1G_bEUljE0_EEESZ_S10_S11_S18_S1C_S1E_T6_T7_T9_mT8_S1G_bDpT10_ENKUlT_T0_E_clISt17integral_constantIbLb0EES1U_EEDaS1P_S1Q_EUlS1P_E_NS1_11comp_targetILNS1_3genE2ELNS1_11target_archE906ELNS1_3gpuE6ELNS1_3repE0EEENS1_30default_config_static_selectorELNS0_4arch9wavefront6targetE0EEEvS12_.uses_vcc, 0
	.set _ZN7rocprim17ROCPRIM_400000_NS6detail17trampoline_kernelINS0_13select_configILj256ELj13ELNS0_17block_load_methodE3ELS4_3ELS4_3ELNS0_20block_scan_algorithmE0ELj4294967295EEENS1_25partition_config_selectorILNS1_17partition_subalgoE4EjNS0_10empty_typeEbEEZZNS1_14partition_implILS8_4ELb0ES6_15HIP_vector_typeIjLj2EENS0_17counting_iteratorIjlEEPS9_SG_NS0_5tupleIJPjSI_NS0_16reverse_iteratorISI_EEEEENSH_IJSG_SG_SG_EEES9_SI_JZNS1_25segmented_radix_sort_implINS0_14default_configELb1EPKdPdPKlPlN2at6native12_GLOBAL__N_18offset_tEEE10hipError_tPvRmT1_PNSt15iterator_traitsIS12_E10value_typeET2_T3_PNS13_IS18_E10value_typeET4_jRbjT5_S1E_jjP12ihipStream_tbEUljE_ZNSN_ISO_Lb1ESQ_SR_ST_SU_SY_EESZ_S10_S11_S12_S16_S17_S18_S1B_S1C_jS1D_jS1E_S1E_jjS1G_bEUljE0_EEESZ_S10_S11_S18_S1C_S1E_T6_T7_T9_mT8_S1G_bDpT10_ENKUlT_T0_E_clISt17integral_constantIbLb0EES1U_EEDaS1P_S1Q_EUlS1P_E_NS1_11comp_targetILNS1_3genE2ELNS1_11target_archE906ELNS1_3gpuE6ELNS1_3repE0EEENS1_30default_config_static_selectorELNS0_4arch9wavefront6targetE0EEEvS12_.uses_flat_scratch, 0
	.set _ZN7rocprim17ROCPRIM_400000_NS6detail17trampoline_kernelINS0_13select_configILj256ELj13ELNS0_17block_load_methodE3ELS4_3ELS4_3ELNS0_20block_scan_algorithmE0ELj4294967295EEENS1_25partition_config_selectorILNS1_17partition_subalgoE4EjNS0_10empty_typeEbEEZZNS1_14partition_implILS8_4ELb0ES6_15HIP_vector_typeIjLj2EENS0_17counting_iteratorIjlEEPS9_SG_NS0_5tupleIJPjSI_NS0_16reverse_iteratorISI_EEEEENSH_IJSG_SG_SG_EEES9_SI_JZNS1_25segmented_radix_sort_implINS0_14default_configELb1EPKdPdPKlPlN2at6native12_GLOBAL__N_18offset_tEEE10hipError_tPvRmT1_PNSt15iterator_traitsIS12_E10value_typeET2_T3_PNS13_IS18_E10value_typeET4_jRbjT5_S1E_jjP12ihipStream_tbEUljE_ZNSN_ISO_Lb1ESQ_SR_ST_SU_SY_EESZ_S10_S11_S12_S16_S17_S18_S1B_S1C_jS1D_jS1E_S1E_jjS1G_bEUljE0_EEESZ_S10_S11_S18_S1C_S1E_T6_T7_T9_mT8_S1G_bDpT10_ENKUlT_T0_E_clISt17integral_constantIbLb0EES1U_EEDaS1P_S1Q_EUlS1P_E_NS1_11comp_targetILNS1_3genE2ELNS1_11target_archE906ELNS1_3gpuE6ELNS1_3repE0EEENS1_30default_config_static_selectorELNS0_4arch9wavefront6targetE0EEEvS12_.has_dyn_sized_stack, 0
	.set _ZN7rocprim17ROCPRIM_400000_NS6detail17trampoline_kernelINS0_13select_configILj256ELj13ELNS0_17block_load_methodE3ELS4_3ELS4_3ELNS0_20block_scan_algorithmE0ELj4294967295EEENS1_25partition_config_selectorILNS1_17partition_subalgoE4EjNS0_10empty_typeEbEEZZNS1_14partition_implILS8_4ELb0ES6_15HIP_vector_typeIjLj2EENS0_17counting_iteratorIjlEEPS9_SG_NS0_5tupleIJPjSI_NS0_16reverse_iteratorISI_EEEEENSH_IJSG_SG_SG_EEES9_SI_JZNS1_25segmented_radix_sort_implINS0_14default_configELb1EPKdPdPKlPlN2at6native12_GLOBAL__N_18offset_tEEE10hipError_tPvRmT1_PNSt15iterator_traitsIS12_E10value_typeET2_T3_PNS13_IS18_E10value_typeET4_jRbjT5_S1E_jjP12ihipStream_tbEUljE_ZNSN_ISO_Lb1ESQ_SR_ST_SU_SY_EESZ_S10_S11_S12_S16_S17_S18_S1B_S1C_jS1D_jS1E_S1E_jjS1G_bEUljE0_EEESZ_S10_S11_S18_S1C_S1E_T6_T7_T9_mT8_S1G_bDpT10_ENKUlT_T0_E_clISt17integral_constantIbLb0EES1U_EEDaS1P_S1Q_EUlS1P_E_NS1_11comp_targetILNS1_3genE2ELNS1_11target_archE906ELNS1_3gpuE6ELNS1_3repE0EEENS1_30default_config_static_selectorELNS0_4arch9wavefront6targetE0EEEvS12_.has_recursion, 0
	.set _ZN7rocprim17ROCPRIM_400000_NS6detail17trampoline_kernelINS0_13select_configILj256ELj13ELNS0_17block_load_methodE3ELS4_3ELS4_3ELNS0_20block_scan_algorithmE0ELj4294967295EEENS1_25partition_config_selectorILNS1_17partition_subalgoE4EjNS0_10empty_typeEbEEZZNS1_14partition_implILS8_4ELb0ES6_15HIP_vector_typeIjLj2EENS0_17counting_iteratorIjlEEPS9_SG_NS0_5tupleIJPjSI_NS0_16reverse_iteratorISI_EEEEENSH_IJSG_SG_SG_EEES9_SI_JZNS1_25segmented_radix_sort_implINS0_14default_configELb1EPKdPdPKlPlN2at6native12_GLOBAL__N_18offset_tEEE10hipError_tPvRmT1_PNSt15iterator_traitsIS12_E10value_typeET2_T3_PNS13_IS18_E10value_typeET4_jRbjT5_S1E_jjP12ihipStream_tbEUljE_ZNSN_ISO_Lb1ESQ_SR_ST_SU_SY_EESZ_S10_S11_S12_S16_S17_S18_S1B_S1C_jS1D_jS1E_S1E_jjS1G_bEUljE0_EEESZ_S10_S11_S18_S1C_S1E_T6_T7_T9_mT8_S1G_bDpT10_ENKUlT_T0_E_clISt17integral_constantIbLb0EES1U_EEDaS1P_S1Q_EUlS1P_E_NS1_11comp_targetILNS1_3genE2ELNS1_11target_archE906ELNS1_3gpuE6ELNS1_3repE0EEENS1_30default_config_static_selectorELNS0_4arch9wavefront6targetE0EEEvS12_.has_indirect_call, 0
	.section	.AMDGPU.csdata,"",@progbits
; Kernel info:
; codeLenInByte = 0
; TotalNumSgprs: 0
; NumVgprs: 0
; ScratchSize: 0
; MemoryBound: 0
; FloatMode: 240
; IeeeMode: 1
; LDSByteSize: 0 bytes/workgroup (compile time only)
; SGPRBlocks: 0
; VGPRBlocks: 0
; NumSGPRsForWavesPerEU: 1
; NumVGPRsForWavesPerEU: 1
; Occupancy: 16
; WaveLimiterHint : 0
; COMPUTE_PGM_RSRC2:SCRATCH_EN: 0
; COMPUTE_PGM_RSRC2:USER_SGPR: 2
; COMPUTE_PGM_RSRC2:TRAP_HANDLER: 0
; COMPUTE_PGM_RSRC2:TGID_X_EN: 1
; COMPUTE_PGM_RSRC2:TGID_Y_EN: 0
; COMPUTE_PGM_RSRC2:TGID_Z_EN: 0
; COMPUTE_PGM_RSRC2:TIDIG_COMP_CNT: 0
	.section	.text._ZN7rocprim17ROCPRIM_400000_NS6detail17trampoline_kernelINS0_13select_configILj256ELj13ELNS0_17block_load_methodE3ELS4_3ELS4_3ELNS0_20block_scan_algorithmE0ELj4294967295EEENS1_25partition_config_selectorILNS1_17partition_subalgoE4EjNS0_10empty_typeEbEEZZNS1_14partition_implILS8_4ELb0ES6_15HIP_vector_typeIjLj2EENS0_17counting_iteratorIjlEEPS9_SG_NS0_5tupleIJPjSI_NS0_16reverse_iteratorISI_EEEEENSH_IJSG_SG_SG_EEES9_SI_JZNS1_25segmented_radix_sort_implINS0_14default_configELb1EPKdPdPKlPlN2at6native12_GLOBAL__N_18offset_tEEE10hipError_tPvRmT1_PNSt15iterator_traitsIS12_E10value_typeET2_T3_PNS13_IS18_E10value_typeET4_jRbjT5_S1E_jjP12ihipStream_tbEUljE_ZNSN_ISO_Lb1ESQ_SR_ST_SU_SY_EESZ_S10_S11_S12_S16_S17_S18_S1B_S1C_jS1D_jS1E_S1E_jjS1G_bEUljE0_EEESZ_S10_S11_S18_S1C_S1E_T6_T7_T9_mT8_S1G_bDpT10_ENKUlT_T0_E_clISt17integral_constantIbLb0EES1U_EEDaS1P_S1Q_EUlS1P_E_NS1_11comp_targetILNS1_3genE10ELNS1_11target_archE1200ELNS1_3gpuE4ELNS1_3repE0EEENS1_30default_config_static_selectorELNS0_4arch9wavefront6targetE0EEEvS12_,"axG",@progbits,_ZN7rocprim17ROCPRIM_400000_NS6detail17trampoline_kernelINS0_13select_configILj256ELj13ELNS0_17block_load_methodE3ELS4_3ELS4_3ELNS0_20block_scan_algorithmE0ELj4294967295EEENS1_25partition_config_selectorILNS1_17partition_subalgoE4EjNS0_10empty_typeEbEEZZNS1_14partition_implILS8_4ELb0ES6_15HIP_vector_typeIjLj2EENS0_17counting_iteratorIjlEEPS9_SG_NS0_5tupleIJPjSI_NS0_16reverse_iteratorISI_EEEEENSH_IJSG_SG_SG_EEES9_SI_JZNS1_25segmented_radix_sort_implINS0_14default_configELb1EPKdPdPKlPlN2at6native12_GLOBAL__N_18offset_tEEE10hipError_tPvRmT1_PNSt15iterator_traitsIS12_E10value_typeET2_T3_PNS13_IS18_E10value_typeET4_jRbjT5_S1E_jjP12ihipStream_tbEUljE_ZNSN_ISO_Lb1ESQ_SR_ST_SU_SY_EESZ_S10_S11_S12_S16_S17_S18_S1B_S1C_jS1D_jS1E_S1E_jjS1G_bEUljE0_EEESZ_S10_S11_S18_S1C_S1E_T6_T7_T9_mT8_S1G_bDpT10_ENKUlT_T0_E_clISt17integral_constantIbLb0EES1U_EEDaS1P_S1Q_EUlS1P_E_NS1_11comp_targetILNS1_3genE10ELNS1_11target_archE1200ELNS1_3gpuE4ELNS1_3repE0EEENS1_30default_config_static_selectorELNS0_4arch9wavefront6targetE0EEEvS12_,comdat
	.globl	_ZN7rocprim17ROCPRIM_400000_NS6detail17trampoline_kernelINS0_13select_configILj256ELj13ELNS0_17block_load_methodE3ELS4_3ELS4_3ELNS0_20block_scan_algorithmE0ELj4294967295EEENS1_25partition_config_selectorILNS1_17partition_subalgoE4EjNS0_10empty_typeEbEEZZNS1_14partition_implILS8_4ELb0ES6_15HIP_vector_typeIjLj2EENS0_17counting_iteratorIjlEEPS9_SG_NS0_5tupleIJPjSI_NS0_16reverse_iteratorISI_EEEEENSH_IJSG_SG_SG_EEES9_SI_JZNS1_25segmented_radix_sort_implINS0_14default_configELb1EPKdPdPKlPlN2at6native12_GLOBAL__N_18offset_tEEE10hipError_tPvRmT1_PNSt15iterator_traitsIS12_E10value_typeET2_T3_PNS13_IS18_E10value_typeET4_jRbjT5_S1E_jjP12ihipStream_tbEUljE_ZNSN_ISO_Lb1ESQ_SR_ST_SU_SY_EESZ_S10_S11_S12_S16_S17_S18_S1B_S1C_jS1D_jS1E_S1E_jjS1G_bEUljE0_EEESZ_S10_S11_S18_S1C_S1E_T6_T7_T9_mT8_S1G_bDpT10_ENKUlT_T0_E_clISt17integral_constantIbLb0EES1U_EEDaS1P_S1Q_EUlS1P_E_NS1_11comp_targetILNS1_3genE10ELNS1_11target_archE1200ELNS1_3gpuE4ELNS1_3repE0EEENS1_30default_config_static_selectorELNS0_4arch9wavefront6targetE0EEEvS12_ ; -- Begin function _ZN7rocprim17ROCPRIM_400000_NS6detail17trampoline_kernelINS0_13select_configILj256ELj13ELNS0_17block_load_methodE3ELS4_3ELS4_3ELNS0_20block_scan_algorithmE0ELj4294967295EEENS1_25partition_config_selectorILNS1_17partition_subalgoE4EjNS0_10empty_typeEbEEZZNS1_14partition_implILS8_4ELb0ES6_15HIP_vector_typeIjLj2EENS0_17counting_iteratorIjlEEPS9_SG_NS0_5tupleIJPjSI_NS0_16reverse_iteratorISI_EEEEENSH_IJSG_SG_SG_EEES9_SI_JZNS1_25segmented_radix_sort_implINS0_14default_configELb1EPKdPdPKlPlN2at6native12_GLOBAL__N_18offset_tEEE10hipError_tPvRmT1_PNSt15iterator_traitsIS12_E10value_typeET2_T3_PNS13_IS18_E10value_typeET4_jRbjT5_S1E_jjP12ihipStream_tbEUljE_ZNSN_ISO_Lb1ESQ_SR_ST_SU_SY_EESZ_S10_S11_S12_S16_S17_S18_S1B_S1C_jS1D_jS1E_S1E_jjS1G_bEUljE0_EEESZ_S10_S11_S18_S1C_S1E_T6_T7_T9_mT8_S1G_bDpT10_ENKUlT_T0_E_clISt17integral_constantIbLb0EES1U_EEDaS1P_S1Q_EUlS1P_E_NS1_11comp_targetILNS1_3genE10ELNS1_11target_archE1200ELNS1_3gpuE4ELNS1_3repE0EEENS1_30default_config_static_selectorELNS0_4arch9wavefront6targetE0EEEvS12_
	.p2align	8
	.type	_ZN7rocprim17ROCPRIM_400000_NS6detail17trampoline_kernelINS0_13select_configILj256ELj13ELNS0_17block_load_methodE3ELS4_3ELS4_3ELNS0_20block_scan_algorithmE0ELj4294967295EEENS1_25partition_config_selectorILNS1_17partition_subalgoE4EjNS0_10empty_typeEbEEZZNS1_14partition_implILS8_4ELb0ES6_15HIP_vector_typeIjLj2EENS0_17counting_iteratorIjlEEPS9_SG_NS0_5tupleIJPjSI_NS0_16reverse_iteratorISI_EEEEENSH_IJSG_SG_SG_EEES9_SI_JZNS1_25segmented_radix_sort_implINS0_14default_configELb1EPKdPdPKlPlN2at6native12_GLOBAL__N_18offset_tEEE10hipError_tPvRmT1_PNSt15iterator_traitsIS12_E10value_typeET2_T3_PNS13_IS18_E10value_typeET4_jRbjT5_S1E_jjP12ihipStream_tbEUljE_ZNSN_ISO_Lb1ESQ_SR_ST_SU_SY_EESZ_S10_S11_S12_S16_S17_S18_S1B_S1C_jS1D_jS1E_S1E_jjS1G_bEUljE0_EEESZ_S10_S11_S18_S1C_S1E_T6_T7_T9_mT8_S1G_bDpT10_ENKUlT_T0_E_clISt17integral_constantIbLb0EES1U_EEDaS1P_S1Q_EUlS1P_E_NS1_11comp_targetILNS1_3genE10ELNS1_11target_archE1200ELNS1_3gpuE4ELNS1_3repE0EEENS1_30default_config_static_selectorELNS0_4arch9wavefront6targetE0EEEvS12_,@function
_ZN7rocprim17ROCPRIM_400000_NS6detail17trampoline_kernelINS0_13select_configILj256ELj13ELNS0_17block_load_methodE3ELS4_3ELS4_3ELNS0_20block_scan_algorithmE0ELj4294967295EEENS1_25partition_config_selectorILNS1_17partition_subalgoE4EjNS0_10empty_typeEbEEZZNS1_14partition_implILS8_4ELb0ES6_15HIP_vector_typeIjLj2EENS0_17counting_iteratorIjlEEPS9_SG_NS0_5tupleIJPjSI_NS0_16reverse_iteratorISI_EEEEENSH_IJSG_SG_SG_EEES9_SI_JZNS1_25segmented_radix_sort_implINS0_14default_configELb1EPKdPdPKlPlN2at6native12_GLOBAL__N_18offset_tEEE10hipError_tPvRmT1_PNSt15iterator_traitsIS12_E10value_typeET2_T3_PNS13_IS18_E10value_typeET4_jRbjT5_S1E_jjP12ihipStream_tbEUljE_ZNSN_ISO_Lb1ESQ_SR_ST_SU_SY_EESZ_S10_S11_S12_S16_S17_S18_S1B_S1C_jS1D_jS1E_S1E_jjS1G_bEUljE0_EEESZ_S10_S11_S18_S1C_S1E_T6_T7_T9_mT8_S1G_bDpT10_ENKUlT_T0_E_clISt17integral_constantIbLb0EES1U_EEDaS1P_S1Q_EUlS1P_E_NS1_11comp_targetILNS1_3genE10ELNS1_11target_archE1200ELNS1_3gpuE4ELNS1_3repE0EEENS1_30default_config_static_selectorELNS0_4arch9wavefront6targetE0EEEvS12_: ; @_ZN7rocprim17ROCPRIM_400000_NS6detail17trampoline_kernelINS0_13select_configILj256ELj13ELNS0_17block_load_methodE3ELS4_3ELS4_3ELNS0_20block_scan_algorithmE0ELj4294967295EEENS1_25partition_config_selectorILNS1_17partition_subalgoE4EjNS0_10empty_typeEbEEZZNS1_14partition_implILS8_4ELb0ES6_15HIP_vector_typeIjLj2EENS0_17counting_iteratorIjlEEPS9_SG_NS0_5tupleIJPjSI_NS0_16reverse_iteratorISI_EEEEENSH_IJSG_SG_SG_EEES9_SI_JZNS1_25segmented_radix_sort_implINS0_14default_configELb1EPKdPdPKlPlN2at6native12_GLOBAL__N_18offset_tEEE10hipError_tPvRmT1_PNSt15iterator_traitsIS12_E10value_typeET2_T3_PNS13_IS18_E10value_typeET4_jRbjT5_S1E_jjP12ihipStream_tbEUljE_ZNSN_ISO_Lb1ESQ_SR_ST_SU_SY_EESZ_S10_S11_S12_S16_S17_S18_S1B_S1C_jS1D_jS1E_S1E_jjS1G_bEUljE0_EEESZ_S10_S11_S18_S1C_S1E_T6_T7_T9_mT8_S1G_bDpT10_ENKUlT_T0_E_clISt17integral_constantIbLb0EES1U_EEDaS1P_S1Q_EUlS1P_E_NS1_11comp_targetILNS1_3genE10ELNS1_11target_archE1200ELNS1_3gpuE4ELNS1_3repE0EEENS1_30default_config_static_selectorELNS0_4arch9wavefront6targetE0EEEvS12_
; %bb.0:
	s_clause 0x6
	s_load_b32 s6, s[0:1], 0x80
	s_load_b128 s[24:27], s[0:1], 0x58
	s_load_b64 s[34:35], s[0:1], 0x10
	s_load_b64 s[2:3], s[0:1], 0x68
	s_load_b32 s7, s[0:1], 0x8
	s_load_b64 s[42:43], s[0:1], 0xa8
	s_load_b256 s[16:23], s[0:1], 0x88
	s_mov_b32 s5, 0
	s_mul_i32 s40, ttmp9, 0xd00
	s_wait_kmcnt 0x0
	s_mul_i32 s4, s6, 0xd00
	s_load_b128 s[28:31], s[26:27], 0x0
	s_add_co_i32 s8, s4, s34
	s_add_co_i32 s6, s6, -1
	s_sub_co_i32 s33, s2, s8
	s_add_nc_u64 s[4:5], s[34:35], s[4:5]
	s_addk_co_i32 s33, 0xd00
	s_cmp_eq_u32 ttmp9, s6
	v_cmp_gt_u64_e64 s2, s[2:3], s[4:5]
	s_cselect_b32 s15, -1, 0
	s_cmp_lg_u32 ttmp9, s6
	s_mov_b32 s5, -1
	s_cselect_b32 s3, -1, 0
	s_add_co_i32 s4, s7, s40
	s_wait_alu 0xfffe
	s_or_b32 s3, s3, s2
	s_add_co_i32 s4, s4, s34
	s_wait_alu 0xfffe
	s_and_b32 vcc_lo, exec_lo, s3
	v_add_nc_u32_e32 v1, s4, v0
	s_cbranch_vccz .LBB1059_2
; %bb.1:
	s_delay_alu instid0(VALU_DEP_1)
	v_add_nc_u32_e32 v2, 0x100, v1
	v_lshlrev_b32_e32 v10, 2, v0
	v_add_nc_u32_e32 v3, 0x200, v1
	v_add_nc_u32_e32 v4, 0x300, v1
	;; [unrolled: 1-line block ×11, first 2 shown]
	ds_store_2addr_stride64_b32 v10, v1, v2 offset1:4
	ds_store_2addr_stride64_b32 v10, v3, v4 offset0:8 offset1:12
	ds_store_2addr_stride64_b32 v10, v5, v6 offset0:16 offset1:20
	;; [unrolled: 1-line block ×5, first 2 shown]
	ds_store_b32 v10, v14 offset:12288
	s_wait_dscnt 0x0
	s_barrier_signal -1
	s_mov_b32 s5, 0
	s_barrier_wait -1
.LBB1059_2:
	v_cmp_gt_u32_e64 s2, s33, v0
	v_or_b32_e32 v38, 0x100, v0
	v_or_b32_e32 v37, 0x200, v0
	;; [unrolled: 1-line block ×12, first 2 shown]
	s_wait_alu 0xfffe
	s_and_not1_b32 vcc_lo, exec_lo, s5
	s_cbranch_vccnz .LBB1059_4
; %bb.3:
	v_cmp_gt_u32_e32 vcc_lo, s33, v38
	v_add_nc_u32_e32 v3, s4, v37
	v_add_nc_u32_e32 v2, s4, v38
	v_cndmask_b32_e64 v1, 0, v1, s2
	v_lshlrev_b32_e32 v14, 2, v0
	s_delay_alu instid0(VALU_DEP_3)
	v_cndmask_b32_e32 v2, 0, v2, vcc_lo
	v_cmp_gt_u32_e32 vcc_lo, s33, v37
	s_wait_alu 0xfffd
	v_cndmask_b32_e32 v3, 0, v3, vcc_lo
	v_cmp_gt_u32_e32 vcc_lo, s33, v36
	v_add_nc_u32_e32 v5, s4, v35
	v_add_nc_u32_e32 v4, s4, v36
	s_wait_alu 0xfffd
	s_delay_alu instid0(VALU_DEP_1)
	v_cndmask_b32_e32 v4, 0, v4, vcc_lo
	v_cmp_gt_u32_e32 vcc_lo, s33, v35
	s_wait_alu 0xfffd
	v_cndmask_b32_e32 v5, 0, v5, vcc_lo
	v_cmp_gt_u32_e32 vcc_lo, s33, v34
	v_add_nc_u32_e32 v7, s4, v33
	v_add_nc_u32_e32 v6, s4, v34
	s_wait_alu 0xfffd
	s_delay_alu instid0(VALU_DEP_1)
	;; [unrolled: 9-line block ×5, first 2 shown]
	v_cndmask_b32_e32 v12, 0, v12, vcc_lo
	v_cmp_gt_u32_e32 vcc_lo, s33, v27
	s_wait_alu 0xfffd
	v_cndmask_b32_e32 v13, 0, v13, vcc_lo
	ds_store_2addr_stride64_b32 v14, v1, v2 offset1:4
	ds_store_2addr_stride64_b32 v14, v3, v4 offset0:8 offset1:12
	ds_store_2addr_stride64_b32 v14, v5, v6 offset0:16 offset1:20
	;; [unrolled: 1-line block ×5, first 2 shown]
	ds_store_b32 v14, v13 offset:12288
	s_wait_dscnt 0x0
	s_barrier_signal -1
	s_barrier_wait -1
.LBB1059_4:
	v_mul_u32_u24_e32 v41, 13, v0
	s_clause 0x1
	s_load_b128 s[36:39], s[0:1], 0x28
	s_load_b64 s[26:27], s[0:1], 0x38
	global_inv scope:SCOPE_SE
	v_cndmask_b32_e64 v39, 0, 1, s3
	s_and_not1_b32 vcc_lo, exec_lo, s3
	v_lshlrev_b32_e32 v1, 2, v41
	ds_load_2addr_b32 v[19:20], v1 offset1:1
	ds_load_2addr_b32 v[17:18], v1 offset0:2 offset1:3
	ds_load_2addr_b32 v[15:16], v1 offset0:4 offset1:5
	;; [unrolled: 1-line block ×5, first 2 shown]
	ds_load_b32 v40, v1 offset:48
	s_wait_loadcnt_dscnt 0x0
	s_barrier_signal -1
	s_barrier_wait -1
	global_inv scope:SCOPE_SE
	s_wait_alu 0xfffe
	s_cbranch_vccnz .LBB1059_32
; %bb.5:
	v_add_nc_u32_e32 v1, s17, v19
	v_add_nc_u32_e32 v2, s19, v19
	s_mov_b32 s44, 0
	s_mov_b32 s41, 0
	s_mov_b32 s3, exec_lo
	v_mul_lo_u32 v1, v1, s16
	v_mul_lo_u32 v2, v2, s18
	s_delay_alu instid0(VALU_DEP_1) | instskip(NEXT) | instid1(VALU_DEP_1)
	v_sub_nc_u32_e32 v1, v1, v2
	v_cmp_lt_u32_e32 vcc_lo, s20, v1
	v_cmpx_ge_u32_e64 s20, v1
	s_cbranch_execz .LBB1059_7
; %bb.6:
	v_add_nc_u32_e32 v1, s22, v19
	v_add_nc_u32_e32 v2, s42, v19
	s_delay_alu instid0(VALU_DEP_2) | instskip(NEXT) | instid1(VALU_DEP_2)
	v_mul_lo_u32 v1, v1, s21
	v_mul_lo_u32 v2, v2, s23
	s_delay_alu instid0(VALU_DEP_1) | instskip(NEXT) | instid1(VALU_DEP_1)
	v_sub_nc_u32_e32 v1, v1, v2
	v_cmp_lt_u32_e64 s2, s43, v1
	s_and_b32 s41, s2, exec_lo
.LBB1059_7:
	s_wait_alu 0xfffe
	s_or_b32 exec_lo, exec_lo, s3
	v_add_nc_u32_e32 v1, s17, v20
	v_add_nc_u32_e32 v2, s19, v20
	s_mov_b32 s4, exec_lo
	s_delay_alu instid0(VALU_DEP_2) | instskip(NEXT) | instid1(VALU_DEP_2)
	v_mul_lo_u32 v1, v1, s16
	v_mul_lo_u32 v2, v2, s18
	s_delay_alu instid0(VALU_DEP_1) | instskip(NEXT) | instid1(VALU_DEP_1)
	v_sub_nc_u32_e32 v1, v1, v2
	v_cmp_lt_u32_e64 s2, s20, v1
	v_cmpx_ge_u32_e64 s20, v1
	s_cbranch_execz .LBB1059_9
; %bb.8:
	v_add_nc_u32_e32 v1, s22, v20
	v_add_nc_u32_e32 v2, s42, v20
	s_delay_alu instid0(VALU_DEP_2) | instskip(NEXT) | instid1(VALU_DEP_2)
	v_mul_lo_u32 v1, v1, s21
	v_mul_lo_u32 v2, v2, s23
	s_delay_alu instid0(VALU_DEP_1) | instskip(NEXT) | instid1(VALU_DEP_1)
	v_sub_nc_u32_e32 v1, v1, v2
	v_cmp_lt_u32_e64 s3, s43, v1
	s_and_b32 s44, s3, exec_lo
.LBB1059_9:
	s_wait_alu 0xfffe
	s_or_b32 exec_lo, exec_lo, s4
	v_add_nc_u32_e32 v1, s17, v17
	v_add_nc_u32_e32 v2, s19, v17
	s_mov_b32 s46, 0
	s_mov_b32 s45, 0
	s_mov_b32 s5, exec_lo
	v_mul_lo_u32 v1, v1, s16
	v_mul_lo_u32 v2, v2, s18
	s_delay_alu instid0(VALU_DEP_1) | instskip(NEXT) | instid1(VALU_DEP_1)
	v_sub_nc_u32_e32 v1, v1, v2
	v_cmp_lt_u32_e64 s3, s20, v1
	v_cmpx_ge_u32_e64 s20, v1
	s_cbranch_execz .LBB1059_11
; %bb.10:
	v_add_nc_u32_e32 v1, s22, v17
	v_add_nc_u32_e32 v2, s42, v17
	s_delay_alu instid0(VALU_DEP_2) | instskip(NEXT) | instid1(VALU_DEP_2)
	v_mul_lo_u32 v1, v1, s21
	v_mul_lo_u32 v2, v2, s23
	s_delay_alu instid0(VALU_DEP_1) | instskip(NEXT) | instid1(VALU_DEP_1)
	v_sub_nc_u32_e32 v1, v1, v2
	v_cmp_lt_u32_e64 s4, s43, v1
	s_and_b32 s45, s4, exec_lo
.LBB1059_11:
	s_wait_alu 0xfffe
	s_or_b32 exec_lo, exec_lo, s5
	v_add_nc_u32_e32 v1, s17, v18
	v_add_nc_u32_e32 v2, s19, v18
	s_mov_b32 s6, exec_lo
	s_delay_alu instid0(VALU_DEP_2) | instskip(NEXT) | instid1(VALU_DEP_2)
	v_mul_lo_u32 v1, v1, s16
	v_mul_lo_u32 v2, v2, s18
	s_delay_alu instid0(VALU_DEP_1) | instskip(NEXT) | instid1(VALU_DEP_1)
	v_sub_nc_u32_e32 v1, v1, v2
	v_cmp_lt_u32_e64 s4, s20, v1
	v_cmpx_ge_u32_e64 s20, v1
	s_cbranch_execz .LBB1059_13
; %bb.12:
	v_add_nc_u32_e32 v1, s22, v18
	v_add_nc_u32_e32 v2, s42, v18
	s_delay_alu instid0(VALU_DEP_2) | instskip(NEXT) | instid1(VALU_DEP_2)
	v_mul_lo_u32 v1, v1, s21
	v_mul_lo_u32 v2, v2, s23
	s_delay_alu instid0(VALU_DEP_1) | instskip(NEXT) | instid1(VALU_DEP_1)
	v_sub_nc_u32_e32 v1, v1, v2
	v_cmp_lt_u32_e64 s5, s43, v1
	s_and_b32 s46, s5, exec_lo
.LBB1059_13:
	s_or_b32 exec_lo, exec_lo, s6
	v_add_nc_u32_e32 v1, s17, v15
	v_add_nc_u32_e32 v2, s19, v15
	s_mov_b32 s48, 0
	s_mov_b32 s47, 0
	s_mov_b32 s7, exec_lo
	v_mul_lo_u32 v1, v1, s16
	v_mul_lo_u32 v2, v2, s18
	s_delay_alu instid0(VALU_DEP_1) | instskip(NEXT) | instid1(VALU_DEP_1)
	v_sub_nc_u32_e32 v1, v1, v2
	v_cmp_lt_u32_e64 s5, s20, v1
	v_cmpx_ge_u32_e64 s20, v1
	s_cbranch_execz .LBB1059_15
; %bb.14:
	v_add_nc_u32_e32 v1, s22, v15
	v_add_nc_u32_e32 v2, s42, v15
	s_delay_alu instid0(VALU_DEP_2) | instskip(NEXT) | instid1(VALU_DEP_2)
	v_mul_lo_u32 v1, v1, s21
	v_mul_lo_u32 v2, v2, s23
	s_delay_alu instid0(VALU_DEP_1) | instskip(NEXT) | instid1(VALU_DEP_1)
	v_sub_nc_u32_e32 v1, v1, v2
	v_cmp_lt_u32_e64 s6, s43, v1
	s_and_b32 s47, s6, exec_lo
.LBB1059_15:
	s_or_b32 exec_lo, exec_lo, s7
	v_add_nc_u32_e32 v1, s17, v16
	v_add_nc_u32_e32 v2, s19, v16
	s_mov_b32 s8, exec_lo
	s_delay_alu instid0(VALU_DEP_2) | instskip(NEXT) | instid1(VALU_DEP_2)
	v_mul_lo_u32 v1, v1, s16
	v_mul_lo_u32 v2, v2, s18
	s_delay_alu instid0(VALU_DEP_1) | instskip(NEXT) | instid1(VALU_DEP_1)
	v_sub_nc_u32_e32 v1, v1, v2
	v_cmp_lt_u32_e64 s6, s20, v1
	v_cmpx_ge_u32_e64 s20, v1
	s_cbranch_execz .LBB1059_17
; %bb.16:
	v_add_nc_u32_e32 v1, s22, v16
	v_add_nc_u32_e32 v2, s42, v16
	s_delay_alu instid0(VALU_DEP_2) | instskip(NEXT) | instid1(VALU_DEP_2)
	v_mul_lo_u32 v1, v1, s21
	v_mul_lo_u32 v2, v2, s23
	s_delay_alu instid0(VALU_DEP_1) | instskip(NEXT) | instid1(VALU_DEP_1)
	v_sub_nc_u32_e32 v1, v1, v2
	v_cmp_lt_u32_e64 s7, s43, v1
	s_and_b32 s48, s7, exec_lo
.LBB1059_17:
	s_or_b32 exec_lo, exec_lo, s8
	v_add_nc_u32_e32 v1, s17, v13
	v_add_nc_u32_e32 v2, s19, v13
	s_mov_b32 s50, 0
	s_mov_b32 s49, 0
	s_mov_b32 s9, exec_lo
	v_mul_lo_u32 v1, v1, s16
	v_mul_lo_u32 v2, v2, s18
	s_delay_alu instid0(VALU_DEP_1) | instskip(NEXT) | instid1(VALU_DEP_1)
	v_sub_nc_u32_e32 v1, v1, v2
	v_cmp_lt_u32_e64 s7, s20, v1
	v_cmpx_ge_u32_e64 s20, v1
	s_cbranch_execz .LBB1059_19
; %bb.18:
	v_add_nc_u32_e32 v1, s22, v13
	v_add_nc_u32_e32 v2, s42, v13
	s_delay_alu instid0(VALU_DEP_2) | instskip(NEXT) | instid1(VALU_DEP_2)
	v_mul_lo_u32 v1, v1, s21
	v_mul_lo_u32 v2, v2, s23
	s_delay_alu instid0(VALU_DEP_1) | instskip(NEXT) | instid1(VALU_DEP_1)
	v_sub_nc_u32_e32 v1, v1, v2
	v_cmp_lt_u32_e64 s8, s43, v1
	s_and_b32 s49, s8, exec_lo
.LBB1059_19:
	;; [unrolled: 47-line block ×5, first 2 shown]
	s_or_b32 exec_lo, exec_lo, s57
	v_cndmask_b32_e64 v2, 0, 1, s2
	s_wait_alu 0xf1ff
	v_cndmask_b32_e64 v4, 0, 1, s4
	s_wait_alu 0xfffd
	v_cndmask_b32_e64 v1, 0, 1, vcc_lo
	v_cndmask_b32_e64 v3, 0, 1, s3
	v_cndmask_b32_e64 v6, 0, 1, s6
	v_lshlrev_b16 v2, 8, v2
	v_lshlrev_b16 v4, 8, v4
	v_cndmask_b32_e64 v8, 0, 1, s8
	v_cndmask_b32_e64 v22, 0, 1, s10
	v_cndmask_b32_e64 v25, 0, 1, s13
	v_or_b32_e32 v1, v1, v2
	v_or_b32_e32 v2, v3, v4
	v_cndmask_b32_e64 v51, 0, 1, s41
	v_cndmask_b32_e64 v5, 0, 1, s5
	;; [unrolled: 1-line block ×3, first 2 shown]
	v_and_b32_e32 v1, 0xffff, v1
	v_lshlrev_b32_e32 v2, 16, v2
	v_cndmask_b32_e64 v21, 0, 1, s9
	v_cndmask_b32_e64 v23, 0, 1, s11
	;; [unrolled: 1-line block ×8, first 2 shown]
	v_or_b32_e32 v42, v1, v2
	v_lshlrev_b16 v1, 8, v6
	v_lshlrev_b16 v2, 8, v8
	;; [unrolled: 1-line block ×5, first 2 shown]
	v_cndmask_b32_e64 v26, 0, 1, s53
	v_cndmask_b32_e64 v44, 0, 1, s50
	;; [unrolled: 1-line block ×5, first 2 shown]
	v_or_b32_e32 v1, v5, v1
	v_or_b32_e32 v2, v7, v2
	;; [unrolled: 1-line block ×5, first 2 shown]
	v_lshlrev_b16 v4, 8, v4
	v_lshlrev_b16 v8, 8, v49
	;; [unrolled: 1-line block ×5, first 2 shown]
	v_or_b32_e32 v4, v50, v4
	v_or_b32_e32 v3, v3, v8
	;; [unrolled: 1-line block ×5, first 2 shown]
	v_and_b32_e32 v1, 0xffff, v1
	v_lshlrev_b32_e32 v2, 16, v2
	v_and_b32_e32 v5, 0xffff, v5
	v_lshlrev_b32_e32 v6, 16, v6
	;; [unrolled: 2-line block ×5, first 2 shown]
	v_cndmask_b32_e64 v45, 0, 1, s54
	v_cndmask_b32_e64 v48, 0, 1, s56
	v_or_b32_e32 v44, v1, v2
	v_or_b32_e32 v47, v5, v6
	;; [unrolled: 1-line block ×5, first 2 shown]
	s_load_b64 s[4:5], s[0:1], 0x78
	s_and_b32 vcc_lo, exec_lo, s51
	s_wait_alu 0xfffe
	s_cbranch_vccnz .LBB1059_33
	s_branch .LBB1059_110
.LBB1059_32:
                                        ; implicit-def: $vgpr48
                                        ; implicit-def: $vgpr45
                                        ; implicit-def: $vgpr46
                                        ; implicit-def: $vgpr43
                                        ; implicit-def: $vgpr49
                                        ; implicit-def: $vgpr47
                                        ; implicit-def: $vgpr44
                                        ; implicit-def: $vgpr42
	s_load_b64 s[4:5], s[0:1], 0x78
	s_cbranch_execz .LBB1059_110
.LBB1059_33:
	v_dual_mov_b32 v2, 0 :: v_dual_mov_b32 v1, 0
	s_mov_b32 s1, exec_lo
	v_cmpx_gt_u32_e64 s33, v41
	s_cbranch_execz .LBB1059_37
; %bb.34:
	v_add_nc_u32_e32 v1, s17, v19
	v_add_nc_u32_e32 v2, s19, v19
	s_mov_b32 s3, 0
	s_mov_b32 s2, exec_lo
	s_delay_alu instid0(VALU_DEP_2) | instskip(NEXT) | instid1(VALU_DEP_2)
	v_mul_lo_u32 v1, v1, s16
	v_mul_lo_u32 v2, v2, s18
	s_delay_alu instid0(VALU_DEP_1) | instskip(NEXT) | instid1(VALU_DEP_1)
	v_sub_nc_u32_e32 v1, v1, v2
	v_cmp_lt_u32_e32 vcc_lo, s20, v1
	v_cmpx_ge_u32_e64 s20, v1
	s_cbranch_execz .LBB1059_36
; %bb.35:
	v_add_nc_u32_e32 v1, s22, v19
	v_add_nc_u32_e32 v2, s42, v19
	s_delay_alu instid0(VALU_DEP_2) | instskip(NEXT) | instid1(VALU_DEP_2)
	v_mul_lo_u32 v1, v1, s21
	v_mul_lo_u32 v2, v2, s23
	s_delay_alu instid0(VALU_DEP_1) | instskip(NEXT) | instid1(VALU_DEP_1)
	v_sub_nc_u32_e32 v1, v1, v2
	v_cmp_lt_u32_e64 s0, s43, v1
	s_and_b32 s3, s0, exec_lo
.LBB1059_36:
	s_wait_alu 0xfffe
	s_or_b32 exec_lo, exec_lo, s2
	v_cndmask_b32_e64 v2, 0, 1, s3
	s_wait_alu 0xfffd
	v_cndmask_b32_e64 v1, 0, 1, vcc_lo
.LBB1059_37:
	s_or_b32 exec_lo, exec_lo, s1
	s_delay_alu instid0(VALU_DEP_2) | instskip(SKIP_1) | instid1(VALU_DEP_3)
	v_lshlrev_b16 v2, 8, v2
	v_add_nc_u32_e32 v3, 1, v41
	v_and_b32_e32 v6, 0xff, v1
	v_lshlrev_b16 v1, 8, 0
                                        ; implicit-def: $vgpr5
                                        ; implicit-def: $vgpr8
                                        ; implicit-def: $vgpr4
	s_delay_alu instid0(VALU_DEP_4) | instskip(NEXT) | instid1(VALU_DEP_4)
	v_and_b32_e32 v2, 0xffff, v2
	v_cmp_le_u32_e32 vcc_lo, s33, v3
                                        ; implicit-def: $vgpr3
	s_delay_alu instid0(VALU_DEP_2) | instskip(SKIP_2) | instid1(SALU_CYCLE_1)
	v_lshrrev_b32_e32 v21, 8, v2
	v_and_b32_e32 v7, 0xff, v2
                                        ; implicit-def: $vgpr2
	s_and_saveexec_b32 s0, vcc_lo
	s_xor_b32 s0, exec_lo, s0
	s_cbranch_execz .LBB1059_39
; %bb.38:
	v_lshlrev_b16 v2, 8, v21
	v_and_b32_e32 v4, 0xffff, v1
                                        ; implicit-def: $vgpr21
	v_mov_b32_e32 v5, 0
	s_delay_alu instid0(VALU_DEP_3) | instskip(SKIP_1) | instid1(VALU_DEP_2)
	v_or_b32_e32 v3, v7, v2
	v_mov_b32_e32 v2, 0
                                        ; implicit-def: $vgpr7
	v_and_b32_e32 v8, 0xffff, v3
	v_and_b32_e32 v3, 0xffff, v1
                                        ; implicit-def: $vgpr1
.LBB1059_39:
	s_and_not1_saveexec_b32 s1, s0
	s_cbranch_execz .LBB1059_43
; %bb.40:
	v_add_nc_u32_e32 v2, s17, v20
	v_add_nc_u32_e32 v3, s19, v20
	s_mov_b32 s2, 0
	s_mov_b32 s3, exec_lo
	s_delay_alu instid0(VALU_DEP_2) | instskip(NEXT) | instid1(VALU_DEP_2)
	v_mul_lo_u32 v2, v2, s16
	v_mul_lo_u32 v3, v3, s18
	s_delay_alu instid0(VALU_DEP_1) | instskip(NEXT) | instid1(VALU_DEP_1)
	v_sub_nc_u32_e32 v2, v2, v3
	v_cmp_lt_u32_e32 vcc_lo, s20, v2
	v_cmpx_ge_u32_e64 s20, v2
	s_cbranch_execz .LBB1059_42
; %bb.41:
	v_add_nc_u32_e32 v2, s22, v20
	v_add_nc_u32_e32 v3, s42, v20
	s_delay_alu instid0(VALU_DEP_2) | instskip(NEXT) | instid1(VALU_DEP_2)
	v_mul_lo_u32 v2, v2, s21
	v_mul_lo_u32 v3, v3, s23
	s_delay_alu instid0(VALU_DEP_1) | instskip(NEXT) | instid1(VALU_DEP_1)
	v_sub_nc_u32_e32 v2, v2, v3
	v_cmp_lt_u32_e64 s0, s43, v2
	s_and_b32 s2, s0, exec_lo
.LBB1059_42:
	s_wait_alu 0xfffe
	s_or_b32 exec_lo, exec_lo, s3
	s_wait_alu 0xfffd
	v_cndmask_b32_e64 v2, 0, 1, vcc_lo
	v_lshlrev_b16 v3, 8, v21
	v_dual_mov_b32 v5, 0 :: v_dual_and_b32 v4, 0xffff, v1
	s_delay_alu instid0(VALU_DEP_3) | instskip(NEXT) | instid1(VALU_DEP_3)
	v_lshlrev_b16 v2, 8, v2
	v_or_b32_e32 v3, v7, v3
	v_cndmask_b32_e64 v7, 0, 1, s2
	s_delay_alu instid0(VALU_DEP_3) | instskip(NEXT) | instid1(VALU_DEP_3)
	v_or_b32_e32 v6, v6, v2
	v_dual_mov_b32 v2, 0 :: v_dual_and_b32 v3, 0xffff, v3
	s_delay_alu instid0(VALU_DEP_2) | instskip(NEXT) | instid1(VALU_DEP_2)
	v_and_b32_e32 v6, 0xffff, v6
	v_lshl_or_b32 v8, v7, 16, v3
	v_and_b32_e32 v3, 0xffff, v1
.LBB1059_43:
	s_or_b32 exec_lo, exec_lo, s1
	v_add_nc_u32_e32 v1, 2, v41
	v_and_b32_e32 v21, 0xff, v6
	v_lshrrev_b32_e32 v22, 8, v6
                                        ; implicit-def: $vgpr7
	s_delay_alu instid0(VALU_DEP_3) | instskip(SKIP_1) | instid1(SALU_CYCLE_1)
	v_cmp_le_u32_e32 vcc_lo, s33, v1
                                        ; implicit-def: $vgpr1
	s_and_saveexec_b32 s0, vcc_lo
	s_xor_b32 s0, exec_lo, s0
	s_cbranch_execz .LBB1059_45
; %bb.44:
	v_lshlrev_b16 v1, 8, v22
	v_perm_b32 v4, v4, v4, 0x3060504
                                        ; implicit-def: $vgpr22
	s_delay_alu instid0(VALU_DEP_2) | instskip(SKIP_1) | instid1(VALU_DEP_2)
	v_or_b32_e32 v1, v21, v1
	v_and_b32_e32 v21, 0xff0000, v8
	v_and_b32_e32 v1, 0xffff, v1
	s_delay_alu instid0(VALU_DEP_1) | instskip(NEXT) | instid1(VALU_DEP_3)
	v_and_or_b32 v7, 0xff000000, v6, v1
	v_perm_b32 v1, v8, v21, 0x3020504
                                        ; implicit-def: $vgpr21
                                        ; implicit-def: $vgpr6
                                        ; implicit-def: $vgpr8
.LBB1059_45:
	s_and_not1_saveexec_b32 s1, s0
	s_cbranch_execz .LBB1059_49
; %bb.46:
	v_add_nc_u32_e32 v1, s17, v17
	v_add_nc_u32_e32 v7, s19, v17
	s_mov_b32 s2, 0
	s_mov_b32 s3, exec_lo
	s_delay_alu instid0(VALU_DEP_2) | instskip(NEXT) | instid1(VALU_DEP_2)
	v_mul_lo_u32 v1, v1, s16
	v_mul_lo_u32 v7, v7, s18
	s_delay_alu instid0(VALU_DEP_1) | instskip(NEXT) | instid1(VALU_DEP_1)
	v_sub_nc_u32_e32 v1, v1, v7
	v_cmp_lt_u32_e32 vcc_lo, s20, v1
	v_cmpx_ge_u32_e64 s20, v1
	s_cbranch_execz .LBB1059_48
; %bb.47:
	v_add_nc_u32_e32 v1, s22, v17
	v_add_nc_u32_e32 v7, s42, v17
	s_delay_alu instid0(VALU_DEP_2) | instskip(NEXT) | instid1(VALU_DEP_2)
	v_mul_lo_u32 v1, v1, s21
	v_mul_lo_u32 v7, v7, s23
	s_delay_alu instid0(VALU_DEP_1) | instskip(NEXT) | instid1(VALU_DEP_1)
	v_sub_nc_u32_e32 v1, v1, v7
	v_cmp_lt_u32_e64 s0, s43, v1
	s_and_b32 s2, s0, exec_lo
.LBB1059_48:
	s_wait_alu 0xfffe
	s_or_b32 exec_lo, exec_lo, s3
	v_lshrrev_b32_e32 v6, 24, v6
	v_cndmask_b32_e64 v7, 0, 1, s2
	v_lshrrev_b32_e32 v23, 8, v8
	v_lshrrev_b32_e32 v24, 16, v8
	s_wait_alu 0xfffd
	v_cndmask_b32_e64 v1, 0, 1, vcc_lo
	v_lshlrev_b16 v22, 8, v22
	v_lshlrev_b16 v6, 8, v6
	v_and_b32_e32 v8, 0xff, v8
	v_lshlrev_b16 v23, 8, v23
	v_lshlrev_b16 v7, 8, v7
	v_and_b32_e32 v24, 0xff, v24
	v_or_b32_e32 v21, v21, v22
	v_or_b32_e32 v1, v1, v6
	;; [unrolled: 1-line block ×3, first 2 shown]
	s_delay_alu instid0(VALU_DEP_4) | instskip(NEXT) | instid1(VALU_DEP_4)
	v_or_b32_e32 v7, v24, v7
	v_and_b32_e32 v8, 0xffff, v21
	s_delay_alu instid0(VALU_DEP_4) | instskip(NEXT) | instid1(VALU_DEP_4)
	v_lshlrev_b32_e32 v1, 16, v1
	v_and_b32_e32 v6, 0xffff, v6
	s_delay_alu instid0(VALU_DEP_4) | instskip(NEXT) | instid1(VALU_DEP_3)
	v_lshlrev_b32_e32 v21, 16, v7
	v_or_b32_e32 v7, v8, v1
	s_delay_alu instid0(VALU_DEP_2)
	v_or_b32_e32 v1, v6, v21
.LBB1059_49:
	s_or_b32 exec_lo, exec_lo, s1
	v_add_nc_u32_e32 v6, 3, v41
	v_lshrrev_b32_e32 v8, 24, v5
	v_lshrrev_b32_e32 v21, 16, v5
	;; [unrolled: 1-line block ×3, first 2 shown]
                                        ; implicit-def: $vgpr42
	s_delay_alu instid0(VALU_DEP_4) | instskip(SKIP_1) | instid1(SALU_CYCLE_1)
	v_cmp_le_u32_e32 vcc_lo, s33, v6
                                        ; implicit-def: $vgpr6
	s_and_saveexec_b32 s0, vcc_lo
	s_xor_b32 s0, exec_lo, s0
	s_cbranch_execz .LBB1059_51
; %bb.50:
	v_lshlrev_b16 v6, 8, v8
	v_and_b32_e32 v8, 0xff, v21
	v_lshlrev_b16 v5, 8, v5
	v_perm_b32 v4, v4, v4, 0x3060504
	v_perm_b32 v3, v3, v3, 0x3060504
                                        ; implicit-def: $vgpr21
	s_delay_alu instid0(VALU_DEP_4) | instskip(SKIP_2) | instid1(VALU_DEP_3)
	v_or_b32_e32 v6, v8, v6
	v_and_b32_e32 v8, 0xff0000, v7
	v_and_b32_e32 v5, 0xffff, v5
	v_lshlrev_b32_e32 v6, 16, v6
	s_delay_alu instid0(VALU_DEP_3) | instskip(NEXT) | instid1(VALU_DEP_2)
	v_perm_b32 v42, v7, v8, 0x3020504
                                        ; implicit-def: $vgpr7
                                        ; implicit-def: $vgpr8
	v_or_b32_e32 v6, v5, v6
                                        ; implicit-def: $vgpr5
.LBB1059_51:
	s_and_not1_saveexec_b32 s1, s0
	s_cbranch_execz .LBB1059_55
; %bb.52:
	v_add_nc_u32_e32 v6, s17, v18
	v_add_nc_u32_e32 v22, s19, v18
	s_mov_b32 s2, 0
	s_mov_b32 s3, exec_lo
	s_delay_alu instid0(VALU_DEP_2) | instskip(NEXT) | instid1(VALU_DEP_2)
	v_mul_lo_u32 v6, v6, s16
	v_mul_lo_u32 v22, v22, s18
	s_delay_alu instid0(VALU_DEP_1) | instskip(NEXT) | instid1(VALU_DEP_1)
	v_sub_nc_u32_e32 v6, v6, v22
	v_cmp_lt_u32_e32 vcc_lo, s20, v6
	v_cmpx_ge_u32_e64 s20, v6
	s_cbranch_execz .LBB1059_54
; %bb.53:
	v_add_nc_u32_e32 v6, s22, v18
	v_add_nc_u32_e32 v22, s42, v18
	s_delay_alu instid0(VALU_DEP_2) | instskip(NEXT) | instid1(VALU_DEP_2)
	v_mul_lo_u32 v6, v6, s21
	v_mul_lo_u32 v22, v22, s23
	s_delay_alu instid0(VALU_DEP_1) | instskip(NEXT) | instid1(VALU_DEP_1)
	v_sub_nc_u32_e32 v6, v6, v22
	v_cmp_lt_u32_e64 s0, s43, v6
	s_and_b32 s2, s0, exec_lo
.LBB1059_54:
	s_wait_alu 0xfffe
	s_or_b32 exec_lo, exec_lo, s3
	v_lshrrev_b32_e32 v6, 8, v7
	s_wait_alu 0xfffd
	v_cndmask_b32_e64 v22, 0, 1, vcc_lo
	v_lshrrev_b32_e32 v23, 16, v7
	v_cndmask_b32_e64 v24, 0, 1, s2
	v_and_b32_e32 v7, 0xff, v7
	v_lshlrev_b16 v6, 8, v6
	v_lshlrev_b16 v22, 8, v22
	v_and_b32_e32 v23, 0xff, v23
	v_lshlrev_b16 v8, 8, v8
	v_and_b32_e32 v21, 0xff, v21
	v_lshlrev_b16 v5, 8, v5
	v_or_b32_e32 v6, v7, v6
	v_or_b32_e32 v7, v23, v22
	s_delay_alu instid0(VALU_DEP_4) | instskip(NEXT) | instid1(VALU_DEP_4)
	v_or_b32_e32 v8, v21, v8
	v_or_b32_e32 v5, v24, v5
	s_delay_alu instid0(VALU_DEP_4) | instskip(NEXT) | instid1(VALU_DEP_4)
	v_and_b32_e32 v6, 0xffff, v6
	v_lshlrev_b32_e32 v7, 16, v7
	s_delay_alu instid0(VALU_DEP_4) | instskip(NEXT) | instid1(VALU_DEP_4)
	v_lshlrev_b32_e32 v8, 16, v8
	v_and_b32_e32 v5, 0xffff, v5
	s_delay_alu instid0(VALU_DEP_3) | instskip(NEXT) | instid1(VALU_DEP_2)
	v_or_b32_e32 v42, v6, v7
	v_or_b32_e32 v6, v5, v8
.LBB1059_55:
	s_or_b32 exec_lo, exec_lo, s1
	v_add_nc_u32_e32 v5, 4, v41
	v_lshrrev_b32_e32 v21, 8, v4
	v_lshrrev_b32_e32 v22, 16, v4
	v_lshrrev_b32_e32 v23, 24, v4
	v_lshrrev_b32_e32 v7, 24, v6
	v_cmp_le_u32_e32 vcc_lo, s33, v5
	v_lshrrev_b32_e32 v8, 16, v6
                                        ; implicit-def: $vgpr4
                                        ; implicit-def: $vgpr5
	s_and_saveexec_b32 s0, vcc_lo
	s_delay_alu instid0(SALU_CYCLE_1)
	s_xor_b32 s0, exec_lo, s0
	s_cbranch_execz .LBB1059_57
; %bb.56:
	v_lshlrev_b16 v4, 8, v23
	v_and_b32_e32 v5, 0xff, v22
	v_lshlrev_b16 v21, 8, v21
	v_lshlrev_b16 v7, 8, v7
	v_and_b32_e32 v8, 0xff, v8
	v_perm_b32 v3, v3, v3, 0x3060504
	v_or_b32_e32 v4, v5, v4
	v_and_b32_e32 v5, 0xffff, v21
                                        ; implicit-def: $vgpr21
                                        ; implicit-def: $vgpr22
                                        ; implicit-def: $vgpr23
	s_delay_alu instid0(VALU_DEP_4) | instskip(NEXT) | instid1(VALU_DEP_3)
	v_or_b32_e32 v7, v8, v7
	v_lshlrev_b32_e32 v8, 16, v4
	s_delay_alu instid0(VALU_DEP_2) | instskip(NEXT) | instid1(VALU_DEP_2)
	v_perm_b32 v4, v7, v6, 0x5040c00
                                        ; implicit-def: $vgpr6
                                        ; implicit-def: $vgpr7
	v_or_b32_e32 v5, v5, v8
                                        ; implicit-def: $vgpr8
.LBB1059_57:
	s_and_not1_saveexec_b32 s1, s0
	s_cbranch_execz .LBB1059_61
; %bb.58:
	v_add_nc_u32_e32 v4, s17, v15
	v_add_nc_u32_e32 v5, s19, v15
	s_mov_b32 s2, 0
	s_mov_b32 s3, exec_lo
	s_delay_alu instid0(VALU_DEP_2) | instskip(NEXT) | instid1(VALU_DEP_2)
	v_mul_lo_u32 v4, v4, s16
	v_mul_lo_u32 v5, v5, s18
	s_delay_alu instid0(VALU_DEP_1) | instskip(NEXT) | instid1(VALU_DEP_1)
	v_sub_nc_u32_e32 v4, v4, v5
	v_cmp_lt_u32_e32 vcc_lo, s20, v4
	v_cmpx_ge_u32_e64 s20, v4
	s_cbranch_execz .LBB1059_60
; %bb.59:
	v_add_nc_u32_e32 v4, s22, v15
	v_add_nc_u32_e32 v5, s42, v15
	s_delay_alu instid0(VALU_DEP_2) | instskip(NEXT) | instid1(VALU_DEP_2)
	v_mul_lo_u32 v4, v4, s21
	v_mul_lo_u32 v5, v5, s23
	s_delay_alu instid0(VALU_DEP_1) | instskip(NEXT) | instid1(VALU_DEP_1)
	v_sub_nc_u32_e32 v4, v4, v5
	v_cmp_lt_u32_e64 s0, s43, v4
	s_and_b32 s2, s0, exec_lo
.LBB1059_60:
	s_wait_alu 0xfffe
	s_or_b32 exec_lo, exec_lo, s3
	v_cndmask_b32_e64 v4, 0, 1, s2
	s_wait_alu 0xfffd
	v_cndmask_b32_e64 v5, 0, 1, vcc_lo
	v_lshlrev_b16 v23, 8, v23
	v_and_b32_e32 v22, 0xff, v22
	v_lshlrev_b16 v21, 8, v21
	v_lshlrev_b16 v4, 8, v4
	v_and_b32_e32 v6, 0xff, v6
	v_lshlrev_b16 v7, 8, v7
	v_and_b32_e32 v8, 0xff, v8
	v_or_b32_e32 v22, v22, v23
	v_or_b32_e32 v5, v5, v21
	v_or_b32_e32 v4, v6, v4
	s_delay_alu instid0(VALU_DEP_4) | instskip(NEXT) | instid1(VALU_DEP_4)
	v_or_b32_e32 v6, v8, v7
	v_lshlrev_b32_e32 v7, 16, v22
	s_delay_alu instid0(VALU_DEP_4) | instskip(NEXT) | instid1(VALU_DEP_4)
	v_and_b32_e32 v5, 0xffff, v5
	v_and_b32_e32 v4, 0xffff, v4
	s_delay_alu instid0(VALU_DEP_4) | instskip(NEXT) | instid1(VALU_DEP_3)
	v_lshlrev_b32_e32 v6, 16, v6
	v_or_b32_e32 v5, v5, v7
	s_delay_alu instid0(VALU_DEP_2)
	v_or_b32_e32 v4, v4, v6
.LBB1059_61:
	s_or_b32 exec_lo, exec_lo, s1
	v_add_nc_u32_e32 v6, 5, v41
	s_delay_alu instid0(VALU_DEP_2)
	v_lshrrev_b32_e32 v21, 16, v5
	v_lshrrev_b32_e32 v23, 24, v5
	v_and_b32_e32 v8, 0xff, v4
	v_lshrrev_b32_e32 v22, 8, v4
	v_cmp_le_u32_e32 vcc_lo, s33, v6
                                        ; implicit-def: $vgpr6
                                        ; implicit-def: $vgpr7
	s_and_saveexec_b32 s0, vcc_lo
	s_delay_alu instid0(SALU_CYCLE_1)
	s_xor_b32 s0, exec_lo, s0
	s_cbranch_execz .LBB1059_63
; %bb.62:
	v_lshlrev_b16 v6, 8, v22
	v_lshlrev_b16 v7, 8, v23
	v_and_b32_e32 v21, 0xff, v21
	v_perm_b32 v3, v3, v3, 0x3060504
                                        ; implicit-def: $vgpr23
                                        ; implicit-def: $vgpr22
	s_delay_alu instid0(VALU_DEP_4) | instskip(NEXT) | instid1(VALU_DEP_3)
	v_or_b32_e32 v6, v8, v6
                                        ; implicit-def: $vgpr8
	v_or_b32_e32 v7, v21, v7
                                        ; implicit-def: $vgpr21
	s_delay_alu instid0(VALU_DEP_2) | instskip(NEXT) | instid1(VALU_DEP_2)
	v_and_b32_e32 v6, 0xffff, v6
	v_perm_b32 v7, v7, v5, 0x5040c00
                                        ; implicit-def: $vgpr5
	s_delay_alu instid0(VALU_DEP_2)
	v_and_or_b32 v6, 0xff000000, v4, v6
                                        ; implicit-def: $vgpr4
.LBB1059_63:
	s_and_not1_saveexec_b32 s1, s0
	s_cbranch_execz .LBB1059_67
; %bb.64:
	v_add_nc_u32_e32 v6, s17, v16
	v_add_nc_u32_e32 v7, s19, v16
	s_mov_b32 s2, 0
	s_mov_b32 s3, exec_lo
	s_delay_alu instid0(VALU_DEP_2) | instskip(NEXT) | instid1(VALU_DEP_2)
	v_mul_lo_u32 v6, v6, s16
	v_mul_lo_u32 v7, v7, s18
	s_delay_alu instid0(VALU_DEP_1) | instskip(NEXT) | instid1(VALU_DEP_1)
	v_sub_nc_u32_e32 v6, v6, v7
	v_cmp_lt_u32_e32 vcc_lo, s20, v6
	v_cmpx_ge_u32_e64 s20, v6
	s_cbranch_execz .LBB1059_66
; %bb.65:
	v_add_nc_u32_e32 v6, s22, v16
	v_add_nc_u32_e32 v7, s42, v16
	s_delay_alu instid0(VALU_DEP_2) | instskip(NEXT) | instid1(VALU_DEP_2)
	v_mul_lo_u32 v6, v6, s21
	v_mul_lo_u32 v7, v7, s23
	s_delay_alu instid0(VALU_DEP_1) | instskip(NEXT) | instid1(VALU_DEP_1)
	v_sub_nc_u32_e32 v6, v6, v7
	v_cmp_lt_u32_e64 s0, s43, v6
	s_and_b32 s2, s0, exec_lo
.LBB1059_66:
	s_wait_alu 0xfffe
	s_or_b32 exec_lo, exec_lo, s3
	s_wait_alu 0xfffd
	v_cndmask_b32_e64 v6, 0, 1, vcc_lo
	v_lshrrev_b32_e32 v4, 24, v4
	v_cndmask_b32_e64 v7, 0, 1, s2
	v_lshlrev_b16 v23, 8, v23
	v_and_b32_e32 v21, 0xff, v21
	v_lshlrev_b16 v6, 8, v6
	v_lshlrev_b16 v22, 8, v22
	v_and_b32_e32 v5, 0xff, v5
	v_lshlrev_b16 v4, 8, v4
	v_or_b32_e32 v21, v21, v23
	s_delay_alu instid0(VALU_DEP_4) | instskip(NEXT) | instid1(VALU_DEP_4)
	v_or_b32_e32 v8, v8, v22
	v_or_b32_e32 v5, v5, v6
	s_delay_alu instid0(VALU_DEP_4) | instskip(NEXT) | instid1(VALU_DEP_4)
	v_or_b32_e32 v4, v7, v4
	v_lshlrev_b32_e32 v6, 16, v21
	s_delay_alu instid0(VALU_DEP_4) | instskip(NEXT) | instid1(VALU_DEP_4)
	v_and_b32_e32 v8, 0xffff, v8
	v_and_b32_e32 v5, 0xffff, v5
	s_delay_alu instid0(VALU_DEP_4) | instskip(NEXT) | instid1(VALU_DEP_2)
	v_lshlrev_b32_e32 v4, 16, v4
	v_or_b32_e32 v7, v5, v6
	s_delay_alu instid0(VALU_DEP_2)
	v_or_b32_e32 v6, v8, v4
.LBB1059_67:
	s_or_b32 exec_lo, exec_lo, s1
	v_add_nc_u32_e32 v4, 6, v41
	s_delay_alu instid0(VALU_DEP_3) | instskip(NEXT) | instid1(VALU_DEP_2)
	v_lshrrev_b32_e32 v8, 8, v7
                                        ; implicit-def: $vgpr43
                                        ; implicit-def: $vgpr5
	v_cmp_le_u32_e32 vcc_lo, s33, v4
	v_and_b32_e32 v4, 0xff, v7
	s_and_saveexec_b32 s0, vcc_lo
	s_delay_alu instid0(SALU_CYCLE_1)
	s_xor_b32 s0, exec_lo, s0
	s_cbranch_execz .LBB1059_69
; %bb.68:
	v_lshlrev_b16 v5, 8, v8
	v_perm_b32 v3, v3, v3, 0x3060504
                                        ; implicit-def: $vgpr8
	s_delay_alu instid0(VALU_DEP_2) | instskip(SKIP_1) | instid1(VALU_DEP_2)
	v_or_b32_e32 v4, v4, v5
	v_and_b32_e32 v5, 0xff0000, v6
	v_and_b32_e32 v4, 0xffff, v4
	s_delay_alu instid0(VALU_DEP_2) | instskip(NEXT) | instid1(VALU_DEP_2)
	v_perm_b32 v43, v6, v5, 0x3020504
                                        ; implicit-def: $vgpr6
	v_and_or_b32 v5, 0xff000000, v7, v4
                                        ; implicit-def: $vgpr4
                                        ; implicit-def: $vgpr7
.LBB1059_69:
	s_and_not1_saveexec_b32 s1, s0
	s_cbranch_execz .LBB1059_73
; %bb.70:
	v_add_nc_u32_e32 v5, s17, v13
	v_add_nc_u32_e32 v21, s19, v13
	s_mov_b32 s2, 0
	s_mov_b32 s3, exec_lo
	s_delay_alu instid0(VALU_DEP_2) | instskip(NEXT) | instid1(VALU_DEP_2)
	v_mul_lo_u32 v5, v5, s16
	v_mul_lo_u32 v21, v21, s18
	s_delay_alu instid0(VALU_DEP_1) | instskip(NEXT) | instid1(VALU_DEP_1)
	v_sub_nc_u32_e32 v5, v5, v21
	v_cmp_lt_u32_e32 vcc_lo, s20, v5
	v_cmpx_ge_u32_e64 s20, v5
	s_cbranch_execz .LBB1059_72
; %bb.71:
	v_add_nc_u32_e32 v5, s22, v13
	v_add_nc_u32_e32 v21, s42, v13
	s_delay_alu instid0(VALU_DEP_2) | instskip(NEXT) | instid1(VALU_DEP_2)
	v_mul_lo_u32 v5, v5, s21
	v_mul_lo_u32 v21, v21, s23
	s_delay_alu instid0(VALU_DEP_1) | instskip(NEXT) | instid1(VALU_DEP_1)
	v_sub_nc_u32_e32 v5, v5, v21
	v_cmp_lt_u32_e64 s0, s43, v5
	s_and_b32 s2, s0, exec_lo
.LBB1059_72:
	s_wait_alu 0xfffe
	s_or_b32 exec_lo, exec_lo, s3
	v_lshrrev_b32_e32 v7, 24, v7
	v_cndmask_b32_e64 v21, 0, 1, s2
	v_lshrrev_b32_e32 v22, 8, v6
	v_lshrrev_b32_e32 v23, 16, v6
	s_wait_alu 0xfffd
	v_cndmask_b32_e64 v5, 0, 1, vcc_lo
	v_lshlrev_b16 v8, 8, v8
	v_lshlrev_b16 v7, 8, v7
	v_and_b32_e32 v6, 0xff, v6
	v_lshlrev_b16 v22, 8, v22
	v_lshlrev_b16 v21, 8, v21
	v_and_b32_e32 v23, 0xff, v23
	v_or_b32_e32 v4, v4, v8
	v_or_b32_e32 v5, v5, v7
	;; [unrolled: 1-line block ×3, first 2 shown]
	s_delay_alu instid0(VALU_DEP_4) | instskip(NEXT) | instid1(VALU_DEP_4)
	v_or_b32_e32 v7, v23, v21
	v_and_b32_e32 v4, 0xffff, v4
	s_delay_alu instid0(VALU_DEP_4) | instskip(NEXT) | instid1(VALU_DEP_4)
	v_lshlrev_b32_e32 v5, 16, v5
	v_and_b32_e32 v6, 0xffff, v6
	s_delay_alu instid0(VALU_DEP_4) | instskip(NEXT) | instid1(VALU_DEP_3)
	v_lshlrev_b32_e32 v7, 16, v7
	v_or_b32_e32 v5, v4, v5
	s_delay_alu instid0(VALU_DEP_2)
	v_or_b32_e32 v43, v6, v7
.LBB1059_73:
	s_or_b32 exec_lo, exec_lo, s1
	v_add_nc_u32_e32 v4, 7, v41
	v_lshrrev_b32_e32 v6, 8, v3
	v_lshrrev_b32_e32 v7, 16, v3
	;; [unrolled: 1-line block ×3, first 2 shown]
                                        ; implicit-def: $vgpr44
	s_delay_alu instid0(VALU_DEP_4) | instskip(SKIP_1) | instid1(SALU_CYCLE_1)
	v_cmp_le_u32_e32 vcc_lo, s33, v4
                                        ; implicit-def: $vgpr4
	s_and_saveexec_b32 s0, vcc_lo
	s_xor_b32 s0, exec_lo, s0
	s_cbranch_execz .LBB1059_75
; %bb.74:
	v_lshlrev_b16 v3, 8, v3
	v_and_b32_e32 v4, 0xff, v7
                                        ; implicit-def: $vgpr7
	s_delay_alu instid0(VALU_DEP_1) | instskip(SKIP_2) | instid1(VALU_DEP_3)
	v_or_b32_e32 v3, v4, v3
	v_lshlrev_b16 v4, 8, v6
	v_and_b32_e32 v6, 0xff0000, v5
	v_lshlrev_b32_e32 v3, 16, v3
	s_delay_alu instid0(VALU_DEP_3) | instskip(NEXT) | instid1(VALU_DEP_3)
	v_and_b32_e32 v4, 0xffff, v4
	v_perm_b32 v44, v5, v6, 0x3020504
                                        ; implicit-def: $vgpr5
                                        ; implicit-def: $vgpr6
	s_delay_alu instid0(VALU_DEP_2)
	v_or_b32_e32 v4, v4, v3
                                        ; implicit-def: $vgpr3
.LBB1059_75:
	s_and_not1_saveexec_b32 s1, s0
	s_cbranch_execz .LBB1059_79
; %bb.76:
	v_add_nc_u32_e32 v4, s17, v14
	v_add_nc_u32_e32 v8, s19, v14
	s_mov_b32 s2, 0
	s_mov_b32 s3, exec_lo
	s_delay_alu instid0(VALU_DEP_2) | instskip(NEXT) | instid1(VALU_DEP_2)
	v_mul_lo_u32 v4, v4, s16
	v_mul_lo_u32 v8, v8, s18
	s_delay_alu instid0(VALU_DEP_1) | instskip(NEXT) | instid1(VALU_DEP_1)
	v_sub_nc_u32_e32 v4, v4, v8
	v_cmp_lt_u32_e32 vcc_lo, s20, v4
	v_cmpx_ge_u32_e64 s20, v4
	s_cbranch_execz .LBB1059_78
; %bb.77:
	v_add_nc_u32_e32 v4, s22, v14
	v_add_nc_u32_e32 v8, s42, v14
	s_delay_alu instid0(VALU_DEP_2) | instskip(NEXT) | instid1(VALU_DEP_2)
	v_mul_lo_u32 v4, v4, s21
	v_mul_lo_u32 v8, v8, s23
	s_delay_alu instid0(VALU_DEP_1) | instskip(NEXT) | instid1(VALU_DEP_1)
	v_sub_nc_u32_e32 v4, v4, v8
	v_cmp_lt_u32_e64 s0, s43, v4
	s_and_b32 s2, s0, exec_lo
.LBB1059_78:
	s_wait_alu 0xfffe
	s_or_b32 exec_lo, exec_lo, s3
	v_lshrrev_b32_e32 v4, 8, v5
	s_wait_alu 0xfffd
	v_cndmask_b32_e64 v8, 0, 1, vcc_lo
	v_lshrrev_b32_e32 v21, 16, v5
	v_cndmask_b32_e64 v22, 0, 1, s2
	v_and_b32_e32 v5, 0xff, v5
	v_lshlrev_b16 v4, 8, v4
	v_lshlrev_b16 v8, 8, v8
	v_and_b32_e32 v21, 0xff, v21
	v_lshlrev_b16 v3, 8, v3
	v_and_b32_e32 v7, 0xff, v7
	v_lshlrev_b16 v6, 8, v6
	v_or_b32_e32 v4, v5, v4
	v_or_b32_e32 v5, v21, v8
	s_delay_alu instid0(VALU_DEP_4) | instskip(NEXT) | instid1(VALU_DEP_4)
	v_or_b32_e32 v3, v7, v3
	v_or_b32_e32 v6, v22, v6
	s_delay_alu instid0(VALU_DEP_4) | instskip(NEXT) | instid1(VALU_DEP_4)
	v_and_b32_e32 v4, 0xffff, v4
	v_lshlrev_b32_e32 v5, 16, v5
	s_delay_alu instid0(VALU_DEP_4) | instskip(NEXT) | instid1(VALU_DEP_4)
	v_lshlrev_b32_e32 v3, 16, v3
	v_and_b32_e32 v6, 0xffff, v6
	s_delay_alu instid0(VALU_DEP_3) | instskip(NEXT) | instid1(VALU_DEP_2)
	v_or_b32_e32 v44, v4, v5
	v_or_b32_e32 v4, v6, v3
.LBB1059_79:
	s_or_b32 exec_lo, exec_lo, s1
	v_add_nc_u32_e32 v3, 8, v41
	s_delay_alu instid0(VALU_DEP_2)
	v_lshrrev_b32_e32 v5, 16, v4
	v_lshrrev_b32_e32 v6, 24, v4
	;; [unrolled: 1-line block ×4, first 2 shown]
	v_cmp_le_u32_e32 vcc_lo, s33, v3
	v_lshrrev_b32_e32 v7, 8, v2
                                        ; implicit-def: $vgpr2
                                        ; implicit-def: $vgpr3
	s_and_saveexec_b32 s0, vcc_lo
	s_delay_alu instid0(SALU_CYCLE_1)
	s_xor_b32 s0, exec_lo, s0
	s_cbranch_execz .LBB1059_81
; %bb.80:
	v_lshlrev_b16 v2, 8, v8
	v_and_b32_e32 v3, 0xff, v21
	v_lshlrev_b16 v7, 8, v7
	v_lshlrev_b16 v6, 8, v6
	v_perm_b32 v1, v1, v1, 0x3060504
                                        ; implicit-def: $vgpr8
                                        ; implicit-def: $vgpr21
	s_delay_alu instid0(VALU_DEP_4) | instskip(SKIP_2) | instid1(VALU_DEP_3)
	v_or_b32_e32 v2, v3, v2
	v_and_b32_e32 v3, 0xff, v5
	v_and_b32_e32 v5, 0xffff, v7
                                        ; implicit-def: $vgpr7
	v_lshlrev_b32_e32 v2, 16, v2
	s_delay_alu instid0(VALU_DEP_3) | instskip(NEXT) | instid1(VALU_DEP_2)
	v_or_b32_e32 v6, v3, v6
	v_or_b32_e32 v3, v5, v2
	s_delay_alu instid0(VALU_DEP_2)
	v_perm_b32 v2, v6, v4, 0x5040c00
                                        ; implicit-def: $vgpr4
                                        ; implicit-def: $vgpr5
                                        ; implicit-def: $vgpr6
.LBB1059_81:
	s_and_not1_saveexec_b32 s1, s0
	s_cbranch_execz .LBB1059_85
; %bb.82:
	v_add_nc_u32_e32 v2, s17, v11
	v_add_nc_u32_e32 v3, s19, v11
	s_mov_b32 s2, 0
	s_mov_b32 s3, exec_lo
	s_delay_alu instid0(VALU_DEP_2) | instskip(NEXT) | instid1(VALU_DEP_2)
	v_mul_lo_u32 v2, v2, s16
	v_mul_lo_u32 v3, v3, s18
	s_delay_alu instid0(VALU_DEP_1) | instskip(NEXT) | instid1(VALU_DEP_1)
	v_sub_nc_u32_e32 v2, v2, v3
	v_cmp_lt_u32_e32 vcc_lo, s20, v2
	v_cmpx_ge_u32_e64 s20, v2
	s_cbranch_execz .LBB1059_84
; %bb.83:
	v_add_nc_u32_e32 v2, s22, v11
	v_add_nc_u32_e32 v3, s42, v11
	s_delay_alu instid0(VALU_DEP_2) | instskip(NEXT) | instid1(VALU_DEP_2)
	v_mul_lo_u32 v2, v2, s21
	v_mul_lo_u32 v3, v3, s23
	s_delay_alu instid0(VALU_DEP_1) | instskip(NEXT) | instid1(VALU_DEP_1)
	v_sub_nc_u32_e32 v2, v2, v3
	v_cmp_lt_u32_e64 s0, s43, v2
	s_and_b32 s2, s0, exec_lo
.LBB1059_84:
	s_wait_alu 0xfffe
	s_or_b32 exec_lo, exec_lo, s3
	v_cndmask_b32_e64 v2, 0, 1, s2
	s_wait_alu 0xfffd
	v_cndmask_b32_e64 v3, 0, 1, vcc_lo
	v_lshlrev_b16 v8, 8, v8
	v_and_b32_e32 v21, 0xff, v21
	v_lshlrev_b16 v7, 8, v7
	v_lshlrev_b16 v2, 8, v2
	v_and_b32_e32 v4, 0xff, v4
	v_lshlrev_b16 v6, 8, v6
	v_and_b32_e32 v5, 0xff, v5
	v_or_b32_e32 v8, v21, v8
	v_or_b32_e32 v3, v3, v7
	;; [unrolled: 1-line block ×3, first 2 shown]
	s_delay_alu instid0(VALU_DEP_4) | instskip(NEXT) | instid1(VALU_DEP_4)
	v_or_b32_e32 v4, v5, v6
	v_lshlrev_b32_e32 v5, 16, v8
	s_delay_alu instid0(VALU_DEP_4) | instskip(NEXT) | instid1(VALU_DEP_4)
	v_and_b32_e32 v3, 0xffff, v3
	v_and_b32_e32 v2, 0xffff, v2
	s_delay_alu instid0(VALU_DEP_4) | instskip(NEXT) | instid1(VALU_DEP_3)
	v_lshlrev_b32_e32 v4, 16, v4
	v_or_b32_e32 v3, v3, v5
	s_delay_alu instid0(VALU_DEP_2)
	v_or_b32_e32 v2, v2, v4
.LBB1059_85:
	s_or_b32 exec_lo, exec_lo, s1
	v_add_nc_u32_e32 v4, 9, v41
	s_delay_alu instid0(VALU_DEP_2)
	v_lshrrev_b32_e32 v6, 8, v2
	v_lshrrev_b32_e32 v21, 24, v3
	;; [unrolled: 1-line block ×3, first 2 shown]
	v_and_b32_e32 v7, 0xff, v2
	v_cmp_le_u32_e32 vcc_lo, s33, v4
                                        ; implicit-def: $vgpr4
                                        ; implicit-def: $vgpr5
	s_and_saveexec_b32 s0, vcc_lo
	s_delay_alu instid0(SALU_CYCLE_1)
	s_xor_b32 s0, exec_lo, s0
	s_cbranch_execz .LBB1059_87
; %bb.86:
	v_lshlrev_b16 v4, 8, v6
	v_lshlrev_b16 v5, 8, v21
	v_and_b32_e32 v6, 0xff, v8
	v_perm_b32 v1, v1, v1, 0x3060504
                                        ; implicit-def: $vgpr21
                                        ; implicit-def: $vgpr8
	s_delay_alu instid0(VALU_DEP_4) | instskip(NEXT) | instid1(VALU_DEP_3)
	v_or_b32_e32 v4, v7, v4
                                        ; implicit-def: $vgpr7
	v_or_b32_e32 v5, v6, v5
                                        ; implicit-def: $vgpr6
	s_delay_alu instid0(VALU_DEP_2) | instskip(NEXT) | instid1(VALU_DEP_2)
	v_and_b32_e32 v4, 0xffff, v4
	v_perm_b32 v5, v5, v3, 0x5040c00
                                        ; implicit-def: $vgpr3
	s_delay_alu instid0(VALU_DEP_2)
	v_and_or_b32 v4, 0xff000000, v2, v4
                                        ; implicit-def: $vgpr2
.LBB1059_87:
	s_and_not1_saveexec_b32 s1, s0
	s_cbranch_execz .LBB1059_91
; %bb.88:
	v_add_nc_u32_e32 v4, s17, v12
	v_add_nc_u32_e32 v5, s19, v12
	s_mov_b32 s2, 0
	s_mov_b32 s3, exec_lo
	s_delay_alu instid0(VALU_DEP_2) | instskip(NEXT) | instid1(VALU_DEP_2)
	v_mul_lo_u32 v4, v4, s16
	v_mul_lo_u32 v5, v5, s18
	s_delay_alu instid0(VALU_DEP_1) | instskip(NEXT) | instid1(VALU_DEP_1)
	v_sub_nc_u32_e32 v4, v4, v5
	v_cmp_lt_u32_e32 vcc_lo, s20, v4
	v_cmpx_ge_u32_e64 s20, v4
	s_cbranch_execz .LBB1059_90
; %bb.89:
	v_add_nc_u32_e32 v4, s22, v12
	v_add_nc_u32_e32 v5, s42, v12
	s_delay_alu instid0(VALU_DEP_2) | instskip(NEXT) | instid1(VALU_DEP_2)
	v_mul_lo_u32 v4, v4, s21
	v_mul_lo_u32 v5, v5, s23
	s_delay_alu instid0(VALU_DEP_1) | instskip(NEXT) | instid1(VALU_DEP_1)
	v_sub_nc_u32_e32 v4, v4, v5
	v_cmp_lt_u32_e64 s0, s43, v4
	s_and_b32 s2, s0, exec_lo
.LBB1059_90:
	s_wait_alu 0xfffe
	s_or_b32 exec_lo, exec_lo, s3
	s_wait_alu 0xfffd
	v_cndmask_b32_e64 v4, 0, 1, vcc_lo
	v_lshrrev_b32_e32 v2, 24, v2
	v_cndmask_b32_e64 v5, 0, 1, s2
	v_lshlrev_b16 v21, 8, v21
	v_and_b32_e32 v8, 0xff, v8
	v_lshlrev_b16 v4, 8, v4
	v_lshlrev_b16 v6, 8, v6
	v_and_b32_e32 v3, 0xff, v3
	v_lshlrev_b16 v2, 8, v2
	v_or_b32_e32 v8, v8, v21
	s_delay_alu instid0(VALU_DEP_4) | instskip(NEXT) | instid1(VALU_DEP_4)
	v_or_b32_e32 v6, v7, v6
	v_or_b32_e32 v3, v3, v4
	s_delay_alu instid0(VALU_DEP_4) | instskip(NEXT) | instid1(VALU_DEP_4)
	v_or_b32_e32 v2, v5, v2
	v_lshlrev_b32_e32 v4, 16, v8
	s_delay_alu instid0(VALU_DEP_4) | instskip(NEXT) | instid1(VALU_DEP_4)
	v_and_b32_e32 v6, 0xffff, v6
	v_and_b32_e32 v3, 0xffff, v3
	s_delay_alu instid0(VALU_DEP_4) | instskip(NEXT) | instid1(VALU_DEP_2)
	v_lshlrev_b32_e32 v2, 16, v2
	v_or_b32_e32 v5, v3, v4
	s_delay_alu instid0(VALU_DEP_2)
	v_or_b32_e32 v4, v6, v2
.LBB1059_91:
	s_or_b32 exec_lo, exec_lo, s1
	v_add_nc_u32_e32 v2, 10, v41
	s_delay_alu instid0(VALU_DEP_3) | instskip(SKIP_1) | instid1(VALU_DEP_3)
	v_and_b32_e32 v3, 0xff, v5
	v_lshrrev_b32_e32 v6, 8, v5
                                        ; implicit-def: $vgpr46
	v_cmp_le_u32_e32 vcc_lo, s33, v2
                                        ; implicit-def: $vgpr2
	s_and_saveexec_b32 s0, vcc_lo
	s_delay_alu instid0(SALU_CYCLE_1)
	s_xor_b32 s0, exec_lo, s0
	s_cbranch_execz .LBB1059_93
; %bb.92:
	v_lshlrev_b16 v2, 8, v6
	v_perm_b32 v1, v1, v1, 0x3060504
                                        ; implicit-def: $vgpr6
	s_delay_alu instid0(VALU_DEP_2) | instskip(SKIP_1) | instid1(VALU_DEP_2)
	v_or_b32_e32 v2, v3, v2
	v_and_b32_e32 v3, 0xff0000, v4
	v_and_b32_e32 v2, 0xffff, v2
	s_delay_alu instid0(VALU_DEP_2) | instskip(NEXT) | instid1(VALU_DEP_2)
	v_perm_b32 v46, v4, v3, 0x3020504
                                        ; implicit-def: $vgpr3
                                        ; implicit-def: $vgpr4
	v_and_or_b32 v2, 0xff000000, v5, v2
                                        ; implicit-def: $vgpr5
.LBB1059_93:
	s_and_not1_saveexec_b32 s1, s0
	s_cbranch_execz .LBB1059_97
; %bb.94:
	v_add_nc_u32_e32 v2, s17, v9
	v_add_nc_u32_e32 v7, s19, v9
	s_mov_b32 s2, 0
	s_mov_b32 s3, exec_lo
	s_delay_alu instid0(VALU_DEP_2) | instskip(NEXT) | instid1(VALU_DEP_2)
	v_mul_lo_u32 v2, v2, s16
	v_mul_lo_u32 v7, v7, s18
	s_delay_alu instid0(VALU_DEP_1) | instskip(NEXT) | instid1(VALU_DEP_1)
	v_sub_nc_u32_e32 v2, v2, v7
	v_cmp_lt_u32_e32 vcc_lo, s20, v2
	v_cmpx_ge_u32_e64 s20, v2
	s_cbranch_execz .LBB1059_96
; %bb.95:
	v_add_nc_u32_e32 v2, s22, v9
	v_add_nc_u32_e32 v7, s42, v9
	s_delay_alu instid0(VALU_DEP_2) | instskip(NEXT) | instid1(VALU_DEP_2)
	v_mul_lo_u32 v2, v2, s21
	v_mul_lo_u32 v7, v7, s23
	s_delay_alu instid0(VALU_DEP_1) | instskip(NEXT) | instid1(VALU_DEP_1)
	v_sub_nc_u32_e32 v2, v2, v7
	v_cmp_lt_u32_e64 s0, s43, v2
	s_and_b32 s2, s0, exec_lo
.LBB1059_96:
	s_wait_alu 0xfffe
	s_or_b32 exec_lo, exec_lo, s3
	v_lshrrev_b32_e32 v5, 24, v5
	v_cndmask_b32_e64 v7, 0, 1, s2
	v_lshrrev_b32_e32 v8, 8, v4
	v_lshrrev_b32_e32 v21, 16, v4
	s_wait_alu 0xfffd
	v_cndmask_b32_e64 v2, 0, 1, vcc_lo
	v_lshlrev_b16 v6, 8, v6
	v_lshlrev_b16 v5, 8, v5
	v_and_b32_e32 v4, 0xff, v4
	v_lshlrev_b16 v8, 8, v8
	v_lshlrev_b16 v7, 8, v7
	v_and_b32_e32 v21, 0xff, v21
	v_or_b32_e32 v3, v3, v6
	v_or_b32_e32 v2, v2, v5
	v_or_b32_e32 v4, v4, v8
	s_delay_alu instid0(VALU_DEP_4) | instskip(NEXT) | instid1(VALU_DEP_4)
	v_or_b32_e32 v5, v21, v7
	v_and_b32_e32 v3, 0xffff, v3
	s_delay_alu instid0(VALU_DEP_4) | instskip(NEXT) | instid1(VALU_DEP_4)
	v_lshlrev_b32_e32 v2, 16, v2
	v_and_b32_e32 v4, 0xffff, v4
	s_delay_alu instid0(VALU_DEP_4) | instskip(NEXT) | instid1(VALU_DEP_3)
	v_lshlrev_b32_e32 v5, 16, v5
	v_or_b32_e32 v2, v3, v2
	s_delay_alu instid0(VALU_DEP_2)
	v_or_b32_e32 v46, v4, v5
.LBB1059_97:
	s_or_b32 exec_lo, exec_lo, s1
	v_add_nc_u32_e32 v3, 11, v41
	v_mov_b32_e32 v45, 0
	s_mov_b32 s0, exec_lo
                                        ; implicit-def: $vgpr47
	s_delay_alu instid0(VALU_DEP_2)
	v_cmpx_le_u32_e64 s33, v3
	s_xor_b32 s0, exec_lo, s0
; %bb.98:
	v_and_b32_e32 v3, 0xff0000, v2
	v_perm_b32 v1, v1, v1, 0x3060504
	s_delay_alu instid0(VALU_DEP_2)
	v_perm_b32 v47, v2, v3, 0x3020504
                                        ; implicit-def: $vgpr2
; %bb.99:
	s_and_not1_saveexec_b32 s1, s0
	s_cbranch_execz .LBB1059_103
; %bb.100:
	v_add_nc_u32_e32 v3, s17, v10
	v_add_nc_u32_e32 v4, s19, v10
	s_mov_b32 s2, 0
	s_mov_b32 s3, exec_lo
	s_delay_alu instid0(VALU_DEP_2) | instskip(NEXT) | instid1(VALU_DEP_2)
	v_mul_lo_u32 v3, v3, s16
	v_mul_lo_u32 v4, v4, s18
	s_delay_alu instid0(VALU_DEP_1) | instskip(NEXT) | instid1(VALU_DEP_1)
	v_sub_nc_u32_e32 v3, v3, v4
	v_cmp_lt_u32_e32 vcc_lo, s20, v3
	v_cmpx_ge_u32_e64 s20, v3
	s_cbranch_execz .LBB1059_102
; %bb.101:
	v_add_nc_u32_e32 v3, s22, v10
	v_add_nc_u32_e32 v4, s42, v10
	s_delay_alu instid0(VALU_DEP_2) | instskip(NEXT) | instid1(VALU_DEP_2)
	v_mul_lo_u32 v3, v3, s21
	v_mul_lo_u32 v4, v4, s23
	s_delay_alu instid0(VALU_DEP_1) | instskip(NEXT) | instid1(VALU_DEP_1)
	v_sub_nc_u32_e32 v3, v3, v4
	v_cmp_lt_u32_e64 s0, s43, v3
	s_and_b32 s2, s0, exec_lo
.LBB1059_102:
	s_wait_alu 0xfffe
	s_or_b32 exec_lo, exec_lo, s3
	v_lshrrev_b32_e32 v3, 8, v2
	s_wait_alu 0xfffd
	v_cndmask_b32_e64 v4, 0, 1, vcc_lo
	v_lshrrev_b32_e32 v5, 16, v2
	v_and_b32_e32 v2, 0xff, v2
	v_cndmask_b32_e64 v45, 0, 1, s2
	v_lshlrev_b16 v3, 8, v3
	v_lshlrev_b16 v4, 8, v4
	v_and_b32_e32 v5, 0xff, v5
	s_delay_alu instid0(VALU_DEP_3) | instskip(NEXT) | instid1(VALU_DEP_2)
	v_or_b32_e32 v2, v2, v3
	v_or_b32_e32 v3, v5, v4
	s_delay_alu instid0(VALU_DEP_2) | instskip(NEXT) | instid1(VALU_DEP_2)
	v_and_b32_e32 v2, 0xffff, v2
	v_lshlrev_b32_e32 v3, 16, v3
	s_delay_alu instid0(VALU_DEP_1)
	v_or_b32_e32 v47, v2, v3
.LBB1059_103:
	s_or_b32 exec_lo, exec_lo, s1
	v_add_nc_u32_e32 v4, 12, v41
	v_lshrrev_b32_e32 v2, 8, v1
	v_lshrrev_b32_e32 v3, 16, v1
	;; [unrolled: 1-line block ×3, first 2 shown]
	s_mov_b32 s0, exec_lo
                                        ; implicit-def: $vgpr49
	v_cmpx_le_u32_e64 s33, v4
	s_xor_b32 s0, exec_lo, s0
	s_cbranch_execz .LBB1059_105
; %bb.104:
	v_lshlrev_b16 v1, 8, v1
	v_and_b32_e32 v3, 0xff, v3
	v_lshlrev_b16 v2, 8, v2
	s_delay_alu instid0(VALU_DEP_2) | instskip(NEXT) | instid1(VALU_DEP_2)
	v_or_b32_e32 v1, v3, v1
	v_and_b32_e32 v2, 0xffff, v2
                                        ; implicit-def: $vgpr3
	s_delay_alu instid0(VALU_DEP_2) | instskip(NEXT) | instid1(VALU_DEP_1)
	v_lshlrev_b32_e32 v1, 16, v1
	v_or_b32_e32 v49, v2, v1
                                        ; implicit-def: $vgpr1
                                        ; implicit-def: $vgpr2
.LBB1059_105:
	s_or_saveexec_b32 s1, s0
	v_mov_b32_e32 v48, 0
	s_xor_b32 exec_lo, exec_lo, s1
	s_cbranch_execz .LBB1059_109
; %bb.106:
	v_add_nc_u32_e32 v4, s17, v40
	v_add_nc_u32_e32 v5, s19, v40
	s_mov_b32 s2, 0
	s_mov_b32 s3, exec_lo
	s_delay_alu instid0(VALU_DEP_2) | instskip(NEXT) | instid1(VALU_DEP_2)
	v_mul_lo_u32 v4, v4, s16
	v_mul_lo_u32 v5, v5, s18
	s_delay_alu instid0(VALU_DEP_1) | instskip(NEXT) | instid1(VALU_DEP_1)
	v_sub_nc_u32_e32 v4, v4, v5
	v_cmp_lt_u32_e32 vcc_lo, s20, v4
	v_cmpx_ge_u32_e64 s20, v4
	s_cbranch_execz .LBB1059_108
; %bb.107:
	v_add_nc_u32_e32 v4, s22, v40
	v_add_nc_u32_e32 v5, s42, v40
	s_delay_alu instid0(VALU_DEP_2) | instskip(NEXT) | instid1(VALU_DEP_2)
	v_mul_lo_u32 v4, v4, s21
	v_mul_lo_u32 v5, v5, s23
	s_delay_alu instid0(VALU_DEP_1) | instskip(NEXT) | instid1(VALU_DEP_1)
	v_sub_nc_u32_e32 v4, v4, v5
	v_cmp_lt_u32_e64 s0, s43, v4
	s_and_b32 s2, s0, exec_lo
.LBB1059_108:
	s_wait_alu 0xfffe
	s_or_b32 exec_lo, exec_lo, s3
	s_wait_alu 0xfffd
	v_cndmask_b32_e64 v4, 0, 1, vcc_lo
	v_lshlrev_b16 v1, 8, v1
	v_and_b32_e32 v3, 0xff, v3
	v_lshlrev_b16 v2, 8, v2
	v_cndmask_b32_e64 v48, 0, 1, s2
	s_delay_alu instid0(VALU_DEP_3) | instskip(NEXT) | instid1(VALU_DEP_3)
	v_or_b32_e32 v1, v3, v1
	v_or_b32_e32 v2, v4, v2
	s_delay_alu instid0(VALU_DEP_2) | instskip(NEXT) | instid1(VALU_DEP_2)
	v_lshlrev_b32_e32 v1, 16, v1
	v_and_b32_e32 v2, 0xffff, v2
	s_delay_alu instid0(VALU_DEP_1)
	v_or_b32_e32 v49, v2, v1
.LBB1059_109:
	s_or_b32 exec_lo, exec_lo, s1
.LBB1059_110:
	v_and_b32_e32 v72, 0xff, v42
	s_delay_alu instid0(VALU_DEP_2)
	v_bfe_u32 v73, v49, 8, 8
	v_bfe_u32 v70, v42, 8, 8
	;; [unrolled: 1-line block ×4, first 2 shown]
	v_lshrrev_b32_e32 v55, 24, v49
	v_lshrrev_b32_e32 v54, 24, v42
	v_and_b32_e32 v68, 0xff, v43
	v_and_b32_e32 v66, 0xff, v44
	v_bfe_u32 v67, v43, 8, 8
	v_add3_u32 v1, v70, v72, v69
	v_add3_u32 v2, v71, v73, v55
	v_bfe_u32 v64, v44, 8, 8
	v_bfe_u32 v65, v43, 16, 8
	;; [unrolled: 1-line block ×3, first 2 shown]
	v_lshrrev_b32_e32 v53, 24, v43
	v_add3_u32 v1, v1, v54, v66
	v_add3_u32 v2, v2, v68, v67
	v_lshrrev_b32_e32 v52, 24, v44
	v_and_b32_e32 v63, 0xff, v46
	v_and_b32_e32 v61, 0xff, v47
	v_bfe_u32 v62, v46, 8, 8
	v_add3_u32 v1, v1, v64, v59
	v_add3_u32 v2, v2, v65, v53
	v_bfe_u32 v58, v47, 8, 8
	v_bfe_u32 v60, v46, 16, 8
	;; [unrolled: 1-line block ×3, first 2 shown]
	v_lshrrev_b32_e32 v51, 24, v46
	v_add3_u32 v1, v1, v52, v61
	v_add3_u32 v2, v2, v63, v62
	v_mbcnt_lo_u32_b32 v74, -1, 0
	v_lshrrev_b32_e32 v50, 24, v47
	v_and_b32_e32 v57, 0xff, v45
	v_and_b32_e32 v3, 0xff, v49
	;; [unrolled: 1-line block ×3, first 2 shown]
	v_add3_u32 v1, v1, v58, v56
	v_add3_u32 v2, v2, v60, v51
	v_and_b32_e32 v76, 15, v74
	v_and_b32_e32 v78, 16, v74
	v_lshrrev_b32_e32 v75, 5, v0
	v_add3_u32 v79, v1, v50, v3
	v_add3_u32 v80, v2, v57, v4
	v_cmp_eq_u32_e64 s1, 0, v76
	v_cmp_lt_u32_e64 s0, 1, v76
	v_cmp_lt_u32_e64 s2, 3, v76
	v_or_b32_e32 v77, 31, v0
	s_cmp_lg_u32 ttmp9, 0
	s_mov_b32 s3, -1
	v_cmp_lt_u32_e32 vcc_lo, 7, v76
	s_cbranch_scc0 .LBB1059_131
; %bb.111:
	v_mov_b32_dpp v2, v79 row_shr:1 row_mask:0xf bank_mask:0xf
	v_mov_b32_dpp v1, v80 row_shr:1 row_mask:0xf bank_mask:0xf
	s_mov_b32 s3, exec_lo
	s_delay_alu instid0(VALU_DEP_2) | instskip(NEXT) | instid1(VALU_DEP_2)
	v_add_nc_u32_e32 v2, v2, v79
	v_add_nc_u32_e32 v1, v1, v80
	s_delay_alu instid0(VALU_DEP_2) | instskip(NEXT) | instid1(VALU_DEP_2)
	v_cndmask_b32_e64 v2, v2, v79, s1
	v_cndmask_b32_e64 v1, v1, v80, s1
	s_delay_alu instid0(VALU_DEP_2) | instskip(NEXT) | instid1(VALU_DEP_2)
	v_mov_b32_dpp v4, v2 row_shr:2 row_mask:0xf bank_mask:0xf
	v_mov_b32_dpp v3, v1 row_shr:2 row_mask:0xf bank_mask:0xf
	s_delay_alu instid0(VALU_DEP_2) | instskip(NEXT) | instid1(VALU_DEP_1)
	v_add_nc_u32_e32 v4, v2, v4
	v_cndmask_b32_e64 v2, v2, v4, s0
	s_delay_alu instid0(VALU_DEP_1) | instskip(NEXT) | instid1(VALU_DEP_1)
	v_mov_b32_dpp v4, v2 row_shr:4 row_mask:0xf bank_mask:0xf
	v_add_nc_u32_e32 v4, v2, v4
	s_wait_alu 0xf1ff
	s_delay_alu instid0(VALU_DEP_1) | instskip(NEXT) | instid1(VALU_DEP_1)
	v_cndmask_b32_e64 v2, v2, v4, s2
	v_mov_b32_dpp v4, v2 row_shr:8 row_mask:0xf bank_mask:0xf
	s_delay_alu instid0(VALU_DEP_1) | instskip(SKIP_1) | instid1(VALU_DEP_1)
	v_add_nc_u32_e32 v4, v2, v4
	s_wait_alu 0xfffd
	v_dual_cndmask_b32 v2, v2, v4 :: v_dual_add_nc_u32 v3, v1, v3
	s_delay_alu instid0(VALU_DEP_1) | instskip(SKIP_2) | instid1(VALU_DEP_1)
	v_cndmask_b32_e64 v1, v1, v3, s0
	ds_swizzle_b32 v4, v2 offset:swizzle(BROADCAST,32,15)
	v_mov_b32_dpp v3, v1 row_shr:4 row_mask:0xf bank_mask:0xf
	v_add_nc_u32_e32 v3, v1, v3
	s_delay_alu instid0(VALU_DEP_1) | instskip(NEXT) | instid1(VALU_DEP_1)
	v_cndmask_b32_e64 v1, v1, v3, s2
	v_mov_b32_dpp v3, v1 row_shr:8 row_mask:0xf bank_mask:0xf
	s_wait_dscnt 0x0
	v_add_nc_u32_e32 v4, v2, v4
	s_delay_alu instid0(VALU_DEP_2) | instskip(NEXT) | instid1(VALU_DEP_1)
	v_add_nc_u32_e32 v3, v1, v3
	v_cndmask_b32_e32 v1, v1, v3, vcc_lo
	v_cmp_eq_u32_e32 vcc_lo, 0, v78
	ds_swizzle_b32 v3, v1 offset:swizzle(BROADCAST,32,15)
	s_wait_dscnt 0x0
	v_add_nc_u32_e32 v3, v1, v3
	v_cmpx_eq_u32_e64 v0, v77
; %bb.112:
	s_wait_alu 0xfffd
	s_delay_alu instid0(VALU_DEP_2)
	v_dual_cndmask_b32 v6, v3, v1 :: v_dual_lshlrev_b32 v7, 3, v75
	v_cndmask_b32_e32 v5, v4, v2, vcc_lo
	ds_store_b64 v7, v[5:6]
; %bb.113:
	s_wait_alu 0xfffe
	s_or_b32 exec_lo, exec_lo, s3
	s_delay_alu instid0(SALU_CYCLE_1)
	s_mov_b32 s3, exec_lo
	s_wait_loadcnt_dscnt 0x0
	s_barrier_signal -1
	s_barrier_wait -1
	global_inv scope:SCOPE_SE
	v_cmpx_gt_u32_e32 8, v0
	s_cbranch_execz .LBB1059_115
; %bb.114:
	v_lshlrev_b32_e32 v7, 3, v0
	v_and_b32_e32 v22, 7, v74
	ds_load_b64 v[5:6], v7
	v_cmp_eq_u32_e64 s2, 0, v22
	s_wait_dscnt 0x0
	v_mov_b32_dpp v8, v5 row_shr:1 row_mask:0xf bank_mask:0xf
	v_mov_b32_dpp v21, v6 row_shr:1 row_mask:0xf bank_mask:0xf
	s_delay_alu instid0(VALU_DEP_2) | instskip(NEXT) | instid1(VALU_DEP_2)
	v_add_nc_u32_e32 v8, v8, v5
	v_add_nc_u32_e32 v21, v21, v6
	s_wait_alu 0xf1ff
	s_delay_alu instid0(VALU_DEP_2) | instskip(NEXT) | instid1(VALU_DEP_2)
	v_cndmask_b32_e64 v5, v8, v5, s2
	v_cndmask_b32_e64 v6, v21, v6, s2
	v_cmp_lt_u32_e64 s2, 1, v22
	s_delay_alu instid0(VALU_DEP_3) | instskip(NEXT) | instid1(VALU_DEP_3)
	v_mov_b32_dpp v8, v5 row_shr:2 row_mask:0xf bank_mask:0xf
	v_mov_b32_dpp v21, v6 row_shr:2 row_mask:0xf bank_mask:0xf
	s_delay_alu instid0(VALU_DEP_2) | instskip(NEXT) | instid1(VALU_DEP_2)
	v_add_nc_u32_e32 v8, v5, v8
	v_add_nc_u32_e32 v21, v6, v21
	s_wait_alu 0xf1ff
	s_delay_alu instid0(VALU_DEP_2) | instskip(NEXT) | instid1(VALU_DEP_2)
	v_cndmask_b32_e64 v5, v5, v8, s2
	v_cndmask_b32_e64 v6, v6, v21, s2
	v_cmp_lt_u32_e64 s2, 3, v22
	s_delay_alu instid0(VALU_DEP_3) | instskip(NEXT) | instid1(VALU_DEP_3)
	v_mov_b32_dpp v8, v5 row_shr:4 row_mask:0xf bank_mask:0xf
	v_mov_b32_dpp v21, v6 row_shr:4 row_mask:0xf bank_mask:0xf
	s_wait_alu 0xf1ff
	s_delay_alu instid0(VALU_DEP_2) | instskip(NEXT) | instid1(VALU_DEP_2)
	v_cndmask_b32_e64 v8, 0, v8, s2
	v_cndmask_b32_e64 v21, 0, v21, s2
	s_delay_alu instid0(VALU_DEP_2) | instskip(NEXT) | instid1(VALU_DEP_2)
	v_add_nc_u32_e32 v5, v8, v5
	v_add_nc_u32_e32 v6, v21, v6
	ds_store_b64 v7, v[5:6]
.LBB1059_115:
	s_wait_alu 0xfffe
	s_or_b32 exec_lo, exec_lo, s3
	v_dual_cndmask_b32 v1, v3, v1 :: v_dual_cndmask_b32 v2, v4, v2
	s_mov_b32 s3, exec_lo
	v_cmp_gt_u32_e32 vcc_lo, 32, v0
	s_wait_loadcnt_dscnt 0x0
	s_barrier_signal -1
	s_barrier_wait -1
	global_inv scope:SCOPE_SE
                                        ; implicit-def: $vgpr21
	v_cmpx_lt_u32_e32 31, v0
	s_cbranch_execz .LBB1059_117
; %bb.116:
	v_lshl_add_u32 v3, v75, 3, -8
	ds_load_b64 v[21:22], v3
	s_wait_dscnt 0x0
	v_add_nc_u32_e32 v1, v22, v1
	v_add_nc_u32_e32 v2, v21, v2
.LBB1059_117:
	s_wait_alu 0xfffe
	s_or_b32 exec_lo, exec_lo, s3
	v_sub_co_u32 v3, s2, v74, 1
	s_delay_alu instid0(VALU_DEP_1) | instskip(SKIP_1) | instid1(VALU_DEP_1)
	v_cmp_gt_i32_e64 s3, 0, v3
	s_wait_alu 0xf1ff
	v_cndmask_b32_e64 v3, v3, v74, s3
	s_delay_alu instid0(VALU_DEP_1)
	v_lshlrev_b32_e32 v3, 2, v3
	ds_bpermute_b32 v81, v3, v2
	ds_bpermute_b32 v82, v3, v1
	s_and_saveexec_b32 s3, vcc_lo
	s_cbranch_execz .LBB1059_136
; %bb.118:
	v_mov_b32_e32 v4, 0
	ds_load_b64 v[1:2], v4 offset:56
	s_and_saveexec_b32 s6, s2
	s_cbranch_execz .LBB1059_120
; %bb.119:
	s_add_co_i32 s8, ttmp9, 32
	s_mov_b32 s9, 0
	s_wait_alu 0xfffe
	s_lshl_b64 s[8:9], s[8:9], 4
	s_wait_kmcnt 0x0
	s_wait_alu 0xfffe
	s_add_nc_u64 s[8:9], s[4:5], s[8:9]
	v_mov_b32_e32 v3, 1
	s_wait_alu 0xfffe
	v_dual_mov_b32 v5, s8 :: v_dual_mov_b32 v6, s9
	s_wait_dscnt 0x0
	;;#ASMSTART
	global_store_b128 v[5:6], v[1:4] off scope:SCOPE_DEV	
s_wait_storecnt 0x0
	;;#ASMEND
.LBB1059_120:
	s_wait_alu 0xfffe
	s_or_b32 exec_lo, exec_lo, s6
	v_xad_u32 v23, v74, -1, ttmp9
	s_mov_b32 s7, 0
	s_mov_b32 s6, exec_lo
	s_delay_alu instid0(VALU_DEP_1) | instskip(NEXT) | instid1(VALU_DEP_1)
	v_add_nc_u32_e32 v3, 32, v23
	v_lshlrev_b64_e32 v[3:4], 4, v[3:4]
	s_wait_kmcnt 0x0
	s_delay_alu instid0(VALU_DEP_1) | instskip(SKIP_1) | instid1(VALU_DEP_2)
	v_add_co_u32 v3, vcc_lo, s4, v3
	s_wait_alu 0xfffd
	v_add_co_ci_u32_e64 v4, null, s5, v4, vcc_lo
	;;#ASMSTART
	global_load_b128 v[5:8], v[3:4] off scope:SCOPE_DEV	
s_wait_loadcnt 0x0
	;;#ASMEND
	v_and_b32_e32 v8, 0xff, v7
	s_delay_alu instid0(VALU_DEP_1)
	v_cmpx_eq_u16_e32 0, v8
	s_cbranch_execz .LBB1059_123
.LBB1059_121:                           ; =>This Inner Loop Header: Depth=1
	;;#ASMSTART
	global_load_b128 v[5:8], v[3:4] off scope:SCOPE_DEV	
s_wait_loadcnt 0x0
	;;#ASMEND
	v_and_b32_e32 v8, 0xff, v7
	s_delay_alu instid0(VALU_DEP_1)
	v_cmp_ne_u16_e32 vcc_lo, 0, v8
	s_wait_alu 0xfffe
	s_or_b32 s7, vcc_lo, s7
	s_wait_alu 0xfffe
	s_and_not1_b32 exec_lo, exec_lo, s7
	s_cbranch_execnz .LBB1059_121
; %bb.122:
	s_or_b32 exec_lo, exec_lo, s7
.LBB1059_123:
	s_wait_alu 0xfffe
	s_or_b32 exec_lo, exec_lo, s6
	v_cmp_ne_u32_e32 vcc_lo, 31, v74
	v_lshlrev_b32_e64 v84, v74, -1
	v_add_nc_u32_e32 v86, 2, v74
	v_add_nc_u32_e32 v88, 4, v74
	;; [unrolled: 1-line block ×3, first 2 shown]
	s_wait_alu 0xfffd
	v_add_co_ci_u32_e64 v3, null, 0, v74, vcc_lo
	v_lshl_or_b32 v91, v74, 2, 64
	v_add_nc_u32_e32 v92, 16, v74
	s_delay_alu instid0(VALU_DEP_3)
	v_lshlrev_b32_e32 v83, 2, v3
	v_and_b32_e32 v3, 0xff, v7
	ds_bpermute_b32 v4, v83, v6
	v_cmp_eq_u16_e32 vcc_lo, 2, v3
	s_wait_alu 0xfffd
	v_and_b32_e32 v8, vcc_lo, v84
	v_cmp_gt_u32_e32 vcc_lo, 30, v74
	s_delay_alu instid0(VALU_DEP_2) | instskip(SKIP_2) | instid1(VALU_DEP_2)
	v_or_b32_e32 v8, 0x80000000, v8
	s_wait_alu 0xfffd
	v_cndmask_b32_e64 v24, 0, 2, vcc_lo
	v_ctz_i32_b32_e32 v8, v8
	s_delay_alu instid0(VALU_DEP_2) | instskip(SKIP_2) | instid1(VALU_DEP_3)
	v_add_lshl_u32 v85, v24, v74, 2
	s_wait_dscnt 0x0
	v_add_nc_u32_e32 v4, v4, v6
	v_cmp_lt_u32_e32 vcc_lo, v74, v8
	s_wait_alu 0xfffd
	s_delay_alu instid0(VALU_DEP_2) | instskip(SKIP_3) | instid1(VALU_DEP_1)
	v_cndmask_b32_e32 v4, v6, v4, vcc_lo
	ds_bpermute_b32 v3, v83, v5
	s_wait_dscnt 0x0
	v_add_nc_u32_e32 v3, v3, v5
	v_cndmask_b32_e32 v3, v5, v3, vcc_lo
	ds_bpermute_b32 v5, v85, v4
	v_cmp_gt_u32_e32 vcc_lo, 28, v74
	ds_bpermute_b32 v6, v85, v3
	s_wait_alu 0xfffd
	v_cndmask_b32_e64 v24, 0, 4, vcc_lo
	v_cmp_gt_u32_e32 vcc_lo, v86, v8
	s_delay_alu instid0(VALU_DEP_2)
	v_add_lshl_u32 v87, v24, v74, 2
	s_wait_dscnt 0x1
	v_add_nc_u32_e32 v5, v4, v5
	s_wait_dscnt 0x0
	v_add_nc_u32_e32 v6, v3, v6
	s_wait_alu 0xfffd
	s_delay_alu instid0(VALU_DEP_1)
	v_dual_cndmask_b32 v4, v5, v4 :: v_dual_cndmask_b32 v3, v6, v3
	ds_bpermute_b32 v5, v87, v4
	v_cmp_gt_u32_e32 vcc_lo, 24, v74
	ds_bpermute_b32 v6, v87, v3
	s_wait_alu 0xfffd
	v_cndmask_b32_e64 v24, 0, 8, vcc_lo
	v_cmp_gt_u32_e32 vcc_lo, v88, v8
	s_delay_alu instid0(VALU_DEP_2)
	v_add_lshl_u32 v89, v24, v74, 2
	s_wait_dscnt 0x1
	v_dual_mov_b32 v24, 0 :: v_dual_add_nc_u32 v5, v4, v5
	s_wait_dscnt 0x0
	v_add_nc_u32_e32 v6, v3, v6
	s_wait_alu 0xfffd
	s_delay_alu instid0(VALU_DEP_1)
	v_dual_cndmask_b32 v4, v5, v4 :: v_dual_cndmask_b32 v3, v6, v3
	ds_bpermute_b32 v5, v89, v4
	v_cmp_gt_u32_e32 vcc_lo, v90, v8
	ds_bpermute_b32 v6, v89, v3
	s_wait_dscnt 0x1
	v_add_nc_u32_e32 v5, v4, v5
	s_wait_dscnt 0x0
	v_add_nc_u32_e32 v6, v3, v6
	s_wait_alu 0xfffd
	s_delay_alu instid0(VALU_DEP_1)
	v_dual_cndmask_b32 v4, v5, v4 :: v_dual_cndmask_b32 v3, v6, v3
	ds_bpermute_b32 v6, v91, v4
	v_cmp_le_u32_e32 vcc_lo, v92, v8
	ds_bpermute_b32 v5, v91, v3
	s_wait_dscnt 0x0
	s_wait_alu 0xfffd
	v_dual_cndmask_b32 v6, 0, v6 :: v_dual_cndmask_b32 v5, 0, v5
	s_delay_alu instid0(VALU_DEP_1) | instskip(NEXT) | instid1(VALU_DEP_2)
	v_add_nc_u32_e32 v6, v6, v4
	v_add_nc_u32_e32 v5, v5, v3
	s_branch .LBB1059_127
.LBB1059_124:                           ;   in Loop: Header=BB1059_127 Depth=1
	s_or_b32 exec_lo, exec_lo, s7
.LBB1059_125:                           ;   in Loop: Header=BB1059_127 Depth=1
	s_wait_alu 0xfffe
	s_or_b32 exec_lo, exec_lo, s6
	ds_bpermute_b32 v8, v83, v5
	ds_bpermute_b32 v25, v83, v6
	v_subrev_nc_u32_e32 v23, 32, v23
	s_mov_b32 s6, 0
	s_wait_dscnt 0x1
	v_add_nc_u32_e32 v8, v8, v5
	v_and_b32_e32 v26, 0xff, v7
	s_wait_dscnt 0x0
	v_add_nc_u32_e32 v25, v25, v6
	s_delay_alu instid0(VALU_DEP_2) | instskip(SKIP_2) | instid1(VALU_DEP_1)
	v_cmp_eq_u16_e32 vcc_lo, 2, v26
	s_wait_alu 0xfffd
	v_and_or_b32 v26, vcc_lo, v84, 0x80000000
	v_ctz_i32_b32_e32 v26, v26
	s_delay_alu instid0(VALU_DEP_1)
	v_cmp_lt_u32_e32 vcc_lo, v74, v26
	s_wait_alu 0xfffd
	v_dual_cndmask_b32 v6, v6, v25 :: v_dual_cndmask_b32 v5, v5, v8
	v_cmp_gt_u32_e32 vcc_lo, v86, v26
	ds_bpermute_b32 v25, v85, v6
	ds_bpermute_b32 v8, v85, v5
	s_wait_dscnt 0x1
	v_add_nc_u32_e32 v25, v6, v25
	s_wait_dscnt 0x0
	v_add_nc_u32_e32 v8, v5, v8
	s_wait_alu 0xfffd
	s_delay_alu instid0(VALU_DEP_1)
	v_dual_cndmask_b32 v6, v25, v6 :: v_dual_cndmask_b32 v5, v8, v5
	v_cmp_gt_u32_e32 vcc_lo, v88, v26
	ds_bpermute_b32 v25, v87, v6
	ds_bpermute_b32 v8, v87, v5
	s_wait_dscnt 0x1
	v_add_nc_u32_e32 v25, v6, v25
	s_wait_dscnt 0x0
	v_add_nc_u32_e32 v8, v5, v8
	s_wait_alu 0xfffd
	s_delay_alu instid0(VALU_DEP_1)
	;; [unrolled: 10-line block ×3, first 2 shown]
	v_dual_cndmask_b32 v6, v25, v6 :: v_dual_cndmask_b32 v5, v8, v5
	v_cmp_le_u32_e32 vcc_lo, v92, v26
	ds_bpermute_b32 v25, v91, v6
	ds_bpermute_b32 v8, v91, v5
	s_wait_dscnt 0x0
	s_wait_alu 0xfffd
	v_dual_cndmask_b32 v25, 0, v25 :: v_dual_cndmask_b32 v8, 0, v8
	s_delay_alu instid0(VALU_DEP_1) | instskip(NEXT) | instid1(VALU_DEP_2)
	v_add3_u32 v6, v6, v4, v25
	v_add3_u32 v5, v5, v3, v8
.LBB1059_126:                           ;   in Loop: Header=BB1059_127 Depth=1
	s_wait_alu 0xfffe
	s_and_b32 vcc_lo, exec_lo, s6
	s_wait_alu 0xfffe
	s_cbranch_vccnz .LBB1059_132
.LBB1059_127:                           ; =>This Loop Header: Depth=1
                                        ;     Child Loop BB1059_130 Depth 2
	v_and_b32_e32 v3, 0xff, v7
	s_mov_b32 s6, -1
                                        ; implicit-def: $vgpr7
	s_delay_alu instid0(VALU_DEP_1)
	v_cmp_ne_u16_e32 vcc_lo, 2, v3
	v_dual_mov_b32 v3, v5 :: v_dual_mov_b32 v4, v6
                                        ; implicit-def: $vgpr5_vgpr6
	s_cmp_lg_u32 vcc_lo, exec_lo
	s_cbranch_scc1 .LBB1059_126
; %bb.128:                              ;   in Loop: Header=BB1059_127 Depth=1
	v_lshlrev_b64_e32 v[5:6], 4, v[23:24]
	s_mov_b32 s6, exec_lo
	s_delay_alu instid0(VALU_DEP_1) | instskip(SKIP_1) | instid1(VALU_DEP_2)
	v_add_co_u32 v25, vcc_lo, s4, v5
	s_wait_alu 0xfffd
	v_add_co_ci_u32_e64 v26, null, s5, v6, vcc_lo
	;;#ASMSTART
	global_load_b128 v[5:8], v[25:26] off scope:SCOPE_DEV	
s_wait_loadcnt 0x0
	;;#ASMEND
	v_and_b32_e32 v8, 0xff, v7
	s_delay_alu instid0(VALU_DEP_1)
	v_cmpx_eq_u16_e32 0, v8
	s_cbranch_execz .LBB1059_125
; %bb.129:                              ;   in Loop: Header=BB1059_127 Depth=1
	s_mov_b32 s7, 0
.LBB1059_130:                           ;   Parent Loop BB1059_127 Depth=1
                                        ; =>  This Inner Loop Header: Depth=2
	;;#ASMSTART
	global_load_b128 v[5:8], v[25:26] off scope:SCOPE_DEV	
s_wait_loadcnt 0x0
	;;#ASMEND
	v_and_b32_e32 v8, 0xff, v7
	s_delay_alu instid0(VALU_DEP_1)
	v_cmp_ne_u16_e32 vcc_lo, 0, v8
	s_wait_alu 0xfffe
	s_or_b32 s7, vcc_lo, s7
	s_wait_alu 0xfffe
	s_and_not1_b32 exec_lo, exec_lo, s7
	s_cbranch_execnz .LBB1059_130
	s_branch .LBB1059_124
.LBB1059_131:
                                        ; implicit-def: $vgpr81
                                        ; implicit-def: $vgpr3
                                        ; implicit-def: $vgpr82
	s_wait_alu 0xfffe
	s_and_b32 vcc_lo, exec_lo, s3
	s_wait_alu 0xfffe
	s_cbranch_vccnz .LBB1059_137
	s_branch .LBB1059_146
.LBB1059_132:
	s_and_saveexec_b32 s6, s2
	s_cbranch_execnz .LBB1059_374
; %bb.133:
	s_wait_alu 0xfffe
	s_or_b32 exec_lo, exec_lo, s6
	s_and_saveexec_b32 s6, s2
	s_cbranch_execnz .LBB1059_375
.LBB1059_134:
	s_wait_alu 0xfffe
	s_or_b32 exec_lo, exec_lo, s6
	v_cmp_eq_u32_e32 vcc_lo, 0, v0
	s_and_b32 exec_lo, exec_lo, vcc_lo
.LBB1059_135:
	v_mov_b32_e32 v1, 0
	ds_store_b64 v1, v[3:4] offset:56
.LBB1059_136:
	s_wait_alu 0xfffe
	s_or_b32 exec_lo, exec_lo, s3
	s_wait_dscnt 0x0
	v_cndmask_b32_e64 v8, v82, v22, s2
	v_mov_b32_e32 v1, 0
	s_wait_loadcnt 0x0
	s_barrier_signal -1
	s_barrier_wait -1
	global_inv scope:SCOPE_SE
	ds_load_b64 v[5:6], v1 offset:56
	s_wait_loadcnt_dscnt 0x0
	s_barrier_signal -1
	s_barrier_wait -1
	global_inv scope:SCOPE_SE
	v_cndmask_b32_e64 v7, v81, v21, s2
	v_cmp_eq_u32_e32 vcc_lo, 0, v0
	v_add_nc_u32_e32 v8, v6, v8
	ds_load_b128 v[1:4], v1 offset:13312
	v_add_nc_u32_e32 v7, v5, v7
	s_wait_alu 0xfffd
	s_delay_alu instid0(VALU_DEP_1)
	v_dual_cndmask_b32 v81, v8, v6 :: v_dual_cndmask_b32 v82, v7, v5
	s_branch .LBB1059_146
.LBB1059_137:
	s_wait_dscnt 0x0
	v_mov_b32_dpp v2, v80 row_shr:1 row_mask:0xf bank_mask:0xf
	v_cmp_lt_u32_e32 vcc_lo, 3, v76
	v_mov_b32_dpp v1, v79 row_shr:1 row_mask:0xf bank_mask:0xf
	s_delay_alu instid0(VALU_DEP_3) | instskip(NEXT) | instid1(VALU_DEP_1)
	v_add_nc_u32_e32 v2, v2, v80
	v_cndmask_b32_e64 v2, v2, v80, s1
	s_delay_alu instid0(VALU_DEP_1) | instskip(NEXT) | instid1(VALU_DEP_1)
	v_mov_b32_dpp v4, v2 row_shr:2 row_mask:0xf bank_mask:0xf
	v_add_nc_u32_e32 v4, v2, v4
	s_delay_alu instid0(VALU_DEP_1) | instskip(NEXT) | instid1(VALU_DEP_1)
	v_cndmask_b32_e64 v2, v2, v4, s0
	v_mov_b32_dpp v4, v2 row_shr:4 row_mask:0xf bank_mask:0xf
	s_delay_alu instid0(VALU_DEP_1) | instskip(SKIP_1) | instid1(VALU_DEP_1)
	v_add_nc_u32_e32 v4, v2, v4
	s_wait_alu 0xfffd
	v_dual_cndmask_b32 v2, v2, v4 :: v_dual_add_nc_u32 v1, v1, v79
	s_delay_alu instid0(VALU_DEP_1) | instskip(SKIP_1) | instid1(VALU_DEP_2)
	v_cndmask_b32_e64 v1, v1, v79, s1
	s_mov_b32 s1, exec_lo
	v_mov_b32_dpp v4, v2 row_shr:8 row_mask:0xf bank_mask:0xf
	s_delay_alu instid0(VALU_DEP_2) | instskip(NEXT) | instid1(VALU_DEP_1)
	v_mov_b32_dpp v3, v1 row_shr:2 row_mask:0xf bank_mask:0xf
	v_add_nc_u32_e32 v3, v1, v3
	s_delay_alu instid0(VALU_DEP_1) | instskip(NEXT) | instid1(VALU_DEP_1)
	v_cndmask_b32_e64 v1, v1, v3, s0
	v_mov_b32_dpp v3, v1 row_shr:4 row_mask:0xf bank_mask:0xf
	s_delay_alu instid0(VALU_DEP_1) | instskip(NEXT) | instid1(VALU_DEP_1)
	v_add_nc_u32_e32 v3, v1, v3
	v_cndmask_b32_e32 v3, v1, v3, vcc_lo
	v_cmp_lt_u32_e32 vcc_lo, 7, v76
	s_delay_alu instid0(VALU_DEP_2) | instskip(NEXT) | instid1(VALU_DEP_1)
	v_mov_b32_dpp v1, v3 row_shr:8 row_mask:0xf bank_mask:0xf
	v_add_nc_u32_e32 v5, v3, v1
	v_add_nc_u32_e32 v1, v2, v4
	s_wait_alu 0xfffd
	s_delay_alu instid0(VALU_DEP_1) | instskip(NEXT) | instid1(VALU_DEP_3)
	v_cndmask_b32_e32 v1, v2, v1, vcc_lo
	v_cndmask_b32_e32 v2, v3, v5, vcc_lo
	v_cmp_eq_u32_e32 vcc_lo, 0, v78
	ds_swizzle_b32 v3, v1 offset:swizzle(BROADCAST,32,15)
	ds_swizzle_b32 v4, v2 offset:swizzle(BROADCAST,32,15)
	s_wait_dscnt 0x1
	v_add_nc_u32_e32 v3, v1, v3
	s_wait_dscnt 0x0
	v_add_nc_u32_e32 v4, v2, v4
	v_cmpx_eq_u32_e64 v0, v77
; %bb.138:
	s_wait_alu 0xfffd
	s_delay_alu instid0(VALU_DEP_2)
	v_dual_cndmask_b32 v5, v4, v2 :: v_dual_cndmask_b32 v6, v3, v1
	v_lshlrev_b32_e32 v7, 3, v75
	ds_store_b64 v7, v[5:6]
; %bb.139:
	s_wait_alu 0xfffe
	s_or_b32 exec_lo, exec_lo, s1
	s_delay_alu instid0(SALU_CYCLE_1)
	s_mov_b32 s1, exec_lo
	s_wait_loadcnt_dscnt 0x0
	s_barrier_signal -1
	s_barrier_wait -1
	global_inv scope:SCOPE_SE
	v_cmpx_gt_u32_e32 8, v0
	s_cbranch_execz .LBB1059_141
; %bb.140:
	v_lshlrev_b32_e32 v7, 3, v0
	v_and_b32_e32 v22, 7, v74
	ds_load_b64 v[5:6], v7
	v_cmp_eq_u32_e64 s0, 0, v22
	s_wait_dscnt 0x0
	v_mov_b32_dpp v8, v5 row_shr:1 row_mask:0xf bank_mask:0xf
	v_mov_b32_dpp v21, v6 row_shr:1 row_mask:0xf bank_mask:0xf
	s_delay_alu instid0(VALU_DEP_2) | instskip(NEXT) | instid1(VALU_DEP_2)
	v_add_nc_u32_e32 v8, v8, v5
	v_add_nc_u32_e32 v21, v21, v6
	s_wait_alu 0xf1ff
	s_delay_alu instid0(VALU_DEP_2) | instskip(NEXT) | instid1(VALU_DEP_2)
	v_cndmask_b32_e64 v5, v8, v5, s0
	v_cndmask_b32_e64 v6, v21, v6, s0
	v_cmp_lt_u32_e64 s0, 1, v22
	s_delay_alu instid0(VALU_DEP_3) | instskip(NEXT) | instid1(VALU_DEP_3)
	v_mov_b32_dpp v8, v5 row_shr:2 row_mask:0xf bank_mask:0xf
	v_mov_b32_dpp v21, v6 row_shr:2 row_mask:0xf bank_mask:0xf
	s_delay_alu instid0(VALU_DEP_2) | instskip(NEXT) | instid1(VALU_DEP_2)
	v_add_nc_u32_e32 v8, v5, v8
	v_add_nc_u32_e32 v21, v6, v21
	s_wait_alu 0xf1ff
	s_delay_alu instid0(VALU_DEP_2) | instskip(NEXT) | instid1(VALU_DEP_2)
	v_cndmask_b32_e64 v5, v5, v8, s0
	v_cndmask_b32_e64 v6, v6, v21, s0
	v_cmp_lt_u32_e64 s0, 3, v22
	s_delay_alu instid0(VALU_DEP_3) | instskip(NEXT) | instid1(VALU_DEP_3)
	v_mov_b32_dpp v8, v5 row_shr:4 row_mask:0xf bank_mask:0xf
	v_mov_b32_dpp v21, v6 row_shr:4 row_mask:0xf bank_mask:0xf
	s_wait_alu 0xf1ff
	s_delay_alu instid0(VALU_DEP_2) | instskip(NEXT) | instid1(VALU_DEP_2)
	v_cndmask_b32_e64 v8, 0, v8, s0
	v_cndmask_b32_e64 v21, 0, v21, s0
	s_delay_alu instid0(VALU_DEP_2) | instskip(NEXT) | instid1(VALU_DEP_2)
	v_add_nc_u32_e32 v5, v8, v5
	v_add_nc_u32_e32 v6, v21, v6
	ds_store_b64 v7, v[5:6]
.LBB1059_141:
	s_wait_alu 0xfffe
	s_or_b32 exec_lo, exec_lo, s1
	v_dual_mov_b32 v7, 0 :: v_dual_mov_b32 v6, 0
	v_mov_b32_e32 v5, 0
	s_mov_b32 s1, exec_lo
	s_wait_loadcnt_dscnt 0x0
	s_barrier_signal -1
	s_barrier_wait -1
	global_inv scope:SCOPE_SE
	v_cmpx_lt_u32_e32 31, v0
; %bb.142:
	v_lshl_add_u32 v5, v75, 3, -8
	ds_load_b64 v[5:6], v5
; %bb.143:
	s_wait_alu 0xfffe
	s_or_b32 exec_lo, exec_lo, s1
	v_sub_co_u32 v8, s0, v74, 1
	v_dual_cndmask_b32 v2, v4, v2 :: v_dual_cndmask_b32 v1, v3, v1
	v_cmp_eq_u32_e32 vcc_lo, 0, v0
	s_delay_alu instid0(VALU_DEP_3) | instskip(SKIP_1) | instid1(VALU_DEP_3)
	v_cmp_gt_i32_e64 s1, 0, v8
	s_wait_dscnt 0x0
	v_add_nc_u32_e32 v2, v5, v2
	v_add_nc_u32_e32 v1, v6, v1
	s_wait_alu 0xf1ff
	v_cndmask_b32_e64 v4, v8, v74, s1
	s_delay_alu instid0(VALU_DEP_1)
	v_lshlrev_b32_e32 v3, 2, v4
	ds_bpermute_b32 v8, v3, v2
	ds_bpermute_b32 v21, v3, v1
	ds_load_b64 v[1:2], v7 offset:56
	s_and_saveexec_b32 s1, vcc_lo
	s_cbranch_execz .LBB1059_145
; %bb.144:
	s_wait_kmcnt 0x0
	s_add_nc_u64 s[2:3], s[4:5], 0x200
	v_dual_mov_b32 v3, 2 :: v_dual_mov_b32 v4, 0
	s_wait_alu 0xfffe
	v_dual_mov_b32 v23, s3 :: v_dual_mov_b32 v22, s2
	s_wait_dscnt 0x0
	;;#ASMSTART
	global_store_b128 v[22:23], v[1:4] off scope:SCOPE_DEV	
s_wait_storecnt 0x0
	;;#ASMEND
.LBB1059_145:
	s_wait_alu 0xfffe
	s_or_b32 exec_lo, exec_lo, s1
	s_wait_dscnt 0x1
	v_cndmask_b32_e64 v3, v21, v6, s0
	v_cndmask_b32_e64 v5, v8, v5, s0
	v_mov_b32_e32 v4, 0
	s_wait_loadcnt_dscnt 0x0
	s_barrier_signal -1
	v_cndmask_b32_e64 v81, v3, 0, vcc_lo
	v_cndmask_b32_e64 v82, v5, 0, vcc_lo
	v_mov_b32_e32 v3, 0
	s_barrier_wait -1
	global_inv scope:SCOPE_SE
.LBB1059_146:
	v_lshrrev_b32_e32 v77, 8, v49
	s_delay_alu instid0(VALU_DEP_2)
	v_add_nc_u32_e32 v73, v81, v73
	s_wait_dscnt 0x0
	v_sub_nc_u32_e32 v81, v81, v4
	v_lshlrev_b32_e32 v84, 1, v1
	v_lshrrev_b32_e32 v75, 16, v49
	v_and_b32_e32 v77, 1, v77
	v_add_nc_u32_e32 v71, v73, v71
	v_add_nc_u32_e32 v81, v81, v1
	v_add3_u32 v87, v84, v2, v41
	v_and_b32_e32 v75, 1, v75
	v_cmp_eq_u32_e32 vcc_lo, 1, v77
	v_add_nc_u32_e32 v72, v82, v72
	v_sub_nc_u32_e32 v82, v82, v3
	v_sub_nc_u32_e32 v73, v73, v4
	v_lshrrev_b32_e32 v76, 8, v42
	v_lshrrev_b32_e32 v74, 16, v42
	v_and_b32_e32 v42, 1, v42
	v_add_nc_u32_e32 v41, v82, v81
	v_add_nc_u32_e32 v73, v73, v1
	v_and_b32_e32 v76, 1, v76
	s_wait_kmcnt 0x0
	v_add_co_u32 v5, s0, s28, v3
	v_sub_nc_u32_e32 v41, v87, v41
	s_wait_alu 0xf1ff
	v_add_co_ci_u32_e64 v6, null, s29, 0, s0
	v_sub_co_u32 v80, s0, s30, v1
	s_wait_alu 0xfffd
	v_cndmask_b32_e32 v41, v41, v81, vcc_lo
	v_cmp_eq_u32_e32 vcc_lo, 1, v75
	v_add_nc_u32_e32 v78, v71, v55
	v_sub_nc_u32_e32 v71, v71, v4
	s_wait_alu 0xf1ff
	v_sub_co_ci_u32_e64 v83, null, s31, 0, s0
	v_and_b32_e32 v55, 1, v55
	v_and_b32_e32 v74, 1, v74
	v_add_nc_u32_e32 v71, v71, v1
	v_add_nc_u32_e32 v70, v72, v70
	v_sub_nc_u32_e32 v72, v72, v3
	v_lshrrev_b32_e32 v26, 8, v43
	v_lshrrev_b32_e32 v25, 16, v43
	v_and_b32_e32 v43, 1, v43
	v_lshrrev_b32_e32 v23, 16, v44
	v_add_nc_u32_e32 v88, v73, v72
	v_and_b32_e32 v26, 1, v26
	v_lshrrev_b32_e32 v24, 8, v44
	v_and_b32_e32 v44, 1, v44
	v_lshrrev_b32_e32 v8, 16, v46
	v_sub_nc_u32_e32 v88, v87, v88
	v_lshrrev_b32_e32 v22, 8, v46
	v_and_b32_e32 v24, 1, v24
	v_lshrrev_b32_e32 v21, 8, v47
	v_and_b32_e32 v8, 1, v8
	v_add_nc_u32_e32 v88, 1, v88
	v_and_b32_e32 v22, 1, v22
	v_lshrrev_b32_e32 v7, 16, v47
	s_mov_b32 s41, 0
	s_wait_alu 0xfffd
	v_cndmask_b32_e32 v73, v88, v73, vcc_lo
	v_cmp_eq_u32_e32 vcc_lo, 1, v42
	v_add_nc_u32_e32 v68, v78, v68
	v_and_b32_e32 v7, 1, v7
	s_wait_alu 0xfffd
	v_cndmask_b32_e32 v81, v41, v82, vcc_lo
	v_cmp_eq_u32_e32 vcc_lo, 1, v76
	v_add_nc_u32_e32 v69, v70, v69
	v_sub_nc_u32_e32 v70, v70, v3
	v_sub_nc_u32_e32 v76, v78, v4
	s_wait_alu 0xfffd
	v_dual_cndmask_b32 v72, v73, v72 :: v_dual_add_nc_u32 v67, v68, v67
	v_add_co_u32 v41, vcc_lo, v80, v4
	v_add_nc_u32_e32 v75, v71, v70
	s_wait_alu 0xfffd
	v_add_co_ci_u32_e64 v42, null, 0, v83, vcc_lo
	v_cmp_eq_u32_e32 vcc_lo, 1, v55
	v_add_nc_u32_e32 v79, v69, v54
	v_sub_nc_u32_e32 v73, v87, v75
	v_sub_nc_u32_e32 v69, v69, v3
	;; [unrolled: 1-line block ×3, first 2 shown]
	v_lshlrev_b32_e32 v75, 2, v81
	v_lshlrev_b32_e32 v72, 2, v72
	v_add_nc_u32_e32 v73, 2, v73
	ds_store_b32 v75, v19
	ds_store_b32 v72, v20
	s_wait_alu 0xfffd
	v_dual_cndmask_b32 v55, v73, v71 :: v_dual_add_nc_u32 v68, v68, v1
	v_add_nc_u32_e32 v71, v76, v1
	v_cmp_eq_u32_e32 vcc_lo, 1, v74
	v_and_b32_e32 v54, 1, v54
	s_delay_alu instid0(VALU_DEP_3) | instskip(SKIP_4) | instid1(VALU_DEP_3)
	v_add_nc_u32_e32 v73, v69, v71
	s_wait_alu 0xfffd
	v_cndmask_b32_e32 v55, v55, v70, vcc_lo
	v_sub_nc_u32_e32 v70, v79, v3
	v_cmp_eq_u32_e32 vcc_lo, 1, v43
	v_lshlrev_b32_e32 v19, 2, v55
	s_delay_alu instid0(VALU_DEP_3)
	v_add_nc_u32_e32 v20, v70, v68
	v_sub_nc_u32_e32 v55, v87, v73
	ds_store_b32 v19, v17
	v_sub_nc_u32_e32 v20, v87, v20
	v_add_nc_u32_e32 v55, 3, v55
	v_and_b32_e32 v19, 1, v25
	s_wait_alu 0xfffd
	s_delay_alu instid0(VALU_DEP_2) | instskip(SKIP_2) | instid1(VALU_DEP_2)
	v_dual_cndmask_b32 v43, v55, v71 :: v_dual_add_nc_u32 v20, 4, v20
	v_cmp_eq_u32_e32 vcc_lo, 1, v26
	s_wait_alu 0xfffd
	v_cndmask_b32_e32 v20, v20, v68, vcc_lo
	v_cmp_eq_u32_e32 vcc_lo, 1, v54
	s_wait_alu 0xfffd
	v_cndmask_b32_e32 v26, v43, v69, vcc_lo
	v_cmp_eq_u32_e32 vcc_lo, 1, v44
	v_add_nc_u32_e32 v65, v67, v65
	v_sub_nc_u32_e32 v67, v67, v4
	s_delay_alu instid0(VALU_DEP_4)
	v_lshlrev_b32_e32 v17, 2, v26
	s_wait_alu 0xfffd
	v_cndmask_b32_e32 v20, v20, v70, vcc_lo
	v_cmp_eq_u32_e32 vcc_lo, 1, v19
	v_add_nc_u32_e32 v67, v67, v1
	v_add_nc_u32_e32 v66, v79, v66
	;; [unrolled: 1-line block ×3, first 2 shown]
	v_sub_nc_u32_e32 v26, v65, v4
	v_lshlrev_b32_e32 v20, 2, v20
	ds_store_b32 v17, v18
	ds_store_b32 v20, v15
	v_add_nc_u32_e32 v64, v66, v64
	v_sub_nc_u32_e32 v66, v66, v3
	v_add_nc_u32_e32 v26, v26, v1
	v_add_nc_u32_e32 v63, v85, v63
	v_and_b32_e32 v20, 1, v53
	s_delay_alu instid0(VALU_DEP_4) | instskip(NEXT) | instid1(VALU_DEP_1)
	v_add_nc_u32_e32 v55, v66, v67
	v_sub_nc_u32_e32 v43, v87, v55
	s_delay_alu instid0(VALU_DEP_1) | instskip(SKIP_2) | instid1(VALU_DEP_2)
	v_add_nc_u32_e32 v25, 5, v43
	v_sub_nc_u32_e32 v43, v85, v4
	s_wait_alu 0xfffd
	v_cndmask_b32_e32 v19, v25, v67, vcc_lo
	v_cmp_eq_u32_e32 vcc_lo, 1, v24
	s_delay_alu instid0(VALU_DEP_3) | instskip(SKIP_1) | instid1(VALU_DEP_3)
	v_add_nc_u32_e32 v43, v43, v1
	s_wait_alu 0xfffd
	v_cndmask_b32_e32 v19, v19, v66, vcc_lo
	v_add_nc_u32_e32 v59, v64, v59
	v_sub_nc_u32_e32 v25, v64, v3
	v_cmp_eq_u32_e32 vcc_lo, 1, v20
	v_and_b32_e32 v20, 1, v52
	v_lshlrev_b32_e32 v15, 2, v19
	v_sub_nc_u32_e32 v24, v59, v3
	v_add_nc_u32_e32 v44, v25, v26
	v_add_nc_u32_e32 v86, v59, v52
	v_and_b32_e32 v19, 1, v23
	v_sub_nc_u32_e32 v23, v63, v4
	v_add_nc_u32_e32 v17, v24, v43
	v_sub_nc_u32_e32 v18, v87, v44
	v_and_b32_e32 v44, 1, v46
	v_sub_nc_u32_e32 v46, v86, v3
	v_add_nc_u32_e32 v23, v23, v1
	v_sub_nc_u32_e32 v17, v87, v17
	v_add_nc_u32_e32 v18, 6, v18
	v_add_nc_u32_e32 v61, v86, v61
	s_wait_alu 0xfffd
	s_delay_alu instid0(VALU_DEP_2)
	v_dual_cndmask_b32 v18, v18, v26 :: v_dual_add_nc_u32 v17, 7, v17
	v_cmp_eq_u32_e32 vcc_lo, 1, v44
	v_add_nc_u32_e32 v26, v46, v23
	v_add_nc_u32_e32 v58, v61, v58
	s_wait_alu 0xfffd
	v_cndmask_b32_e32 v17, v17, v43, vcc_lo
	v_cmp_eq_u32_e32 vcc_lo, 1, v19
	v_sub_nc_u32_e32 v19, v87, v26
	s_wait_alu 0xfffd
	v_cndmask_b32_e32 v18, v18, v25, vcc_lo
	v_cmp_eq_u32_e32 vcc_lo, 1, v20
	v_add_nc_u32_e32 v62, v63, v62
	v_add_nc_u32_e32 v19, 8, v19
	v_sub_nc_u32_e32 v25, v61, v3
	s_wait_alu 0xfffd
	v_dual_cndmask_b32 v17, v17, v24 :: v_dual_lshlrev_b32 v18, 2, v18
	v_sub_nc_u32_e32 v20, v62, v4
	v_and_b32_e32 v24, 1, v47
	v_cmp_eq_u32_e32 vcc_lo, 1, v22
	s_delay_alu instid0(VALU_DEP_4) | instskip(NEXT) | instid1(VALU_DEP_4)
	v_lshlrev_b32_e32 v17, 2, v17
	v_add_nc_u32_e32 v20, v20, v1
	ds_store_b32 v15, v16
	ds_store_b32 v18, v13
	ds_store_b32 v17, v14
	s_wait_alu 0xfffd
	v_cndmask_b32_e32 v19, v19, v23, vcc_lo
	v_cmp_eq_u32_e32 vcc_lo, 1, v24
	v_add_nc_u32_e32 v60, v62, v60
	v_add_nc_u32_e32 v22, v25, v20
	v_sub_nc_u32_e32 v17, v58, v3
	v_and_b32_e32 v15, 1, v21
	s_wait_alu 0xfffd
	v_cndmask_b32_e32 v19, v19, v46, vcc_lo
	v_sub_nc_u32_e32 v16, v60, v4
	v_sub_nc_u32_e32 v13, v87, v22
	v_cmp_eq_u32_e32 vcc_lo, 1, v8
	v_add_nc_u32_e32 v89, v60, v51
	v_lshlrev_b32_e32 v14, 2, v19
	v_add_nc_u32_e32 v16, v16, v1
	v_add_nc_u32_e32 v13, 9, v13
	s_delay_alu instid0(VALU_DEP_4)
	v_sub_nc_u32_e32 v18, v89, v4
	ds_store_b32 v14, v11
	v_add_nc_u32_e32 v19, v17, v16
	s_wait_alu 0xfffd
	v_cndmask_b32_e32 v8, v13, v20, vcc_lo
	v_cmp_eq_u32_e32 vcc_lo, 1, v15
	v_and_b32_e32 v15, 1, v51
	v_and_b32_e32 v20, 1, v45
	v_sub_nc_u32_e32 v14, v87, v19
	v_add_nc_u32_e32 v18, v18, v1
	s_wait_alu 0xfffd
	v_cndmask_b32_e32 v8, v8, v25, vcc_lo
	v_cmp_eq_u32_e32 vcc_lo, 1, v15
	v_add_nc_u32_e32 v57, v89, v57
	v_add_nc_u32_e32 v14, 10, v14
	v_and_b32_e32 v15, 1, v50
	v_lshlrev_b32_e32 v8, 2, v8
	s_delay_alu instid0(VALU_DEP_4)
	v_sub_nc_u32_e32 v19, v57, v4
	s_wait_alu 0xfffd
	v_cndmask_b32_e32 v14, v14, v16, vcc_lo
	v_cmp_eq_u32_e32 vcc_lo, 1, v20
	v_add_nc_u32_e32 v56, v58, v56
	v_add_nc_u32_e32 v19, v19, v1
	s_delay_alu instid0(VALU_DEP_2) | instskip(NEXT) | instid1(VALU_DEP_1)
	v_sub_nc_u32_e32 v13, v56, v3
	v_add_nc_u32_e32 v11, v13, v18
	s_delay_alu instid0(VALU_DEP_1) | instskip(NEXT) | instid1(VALU_DEP_1)
	v_sub_nc_u32_e32 v11, v87, v11
	v_add_nc_u32_e32 v11, 11, v11
	s_wait_alu 0xfffd
	s_delay_alu instid0(VALU_DEP_1) | instskip(SKIP_2) | instid1(VALU_DEP_2)
	v_cndmask_b32_e32 v11, v11, v18, vcc_lo
	v_add_nc_u32_e32 v77, v56, v50
	v_cmp_eq_u32_e32 vcc_lo, 1, v7
	v_sub_nc_u32_e32 v3, v77, v3
	s_wait_alu 0xfffd
	v_cndmask_b32_e32 v7, v14, v17, vcc_lo
	v_cmp_eq_u32_e32 vcc_lo, 1, v15
	v_and_b32_e32 v15, 1, v49
	v_add_nc_u32_e32 v16, v3, v19
	s_delay_alu instid0(VALU_DEP_4) | instskip(SKIP_4) | instid1(VALU_DEP_3)
	v_lshlrev_b32_e32 v7, 2, v7
	s_wait_alu 0xfffd
	v_cndmask_b32_e32 v11, v11, v13, vcc_lo
	v_and_b32_e32 v13, 1, v48
	v_sub_nc_u32_e32 v14, v87, v16
	v_lshlrev_b32_e32 v11, 2, v11
	s_delay_alu instid0(VALU_DEP_3)
	v_cmp_eq_u32_e32 vcc_lo, 1, v13
	ds_store_b32 v8, v12
	ds_store_b32 v7, v9
	;; [unrolled: 1-line block ×3, first 2 shown]
	v_add_nc_u32_e32 v14, 12, v14
	v_add_co_u32 v7, s0, v2, v84
	s_wait_alu 0xf1ff
	v_add_co_ci_u32_e64 v8, null, 0, 0, s0
	s_wait_alu 0xfffd
	v_cndmask_b32_e32 v13, v14, v19, vcc_lo
	v_cmp_eq_u32_e32 vcc_lo, 1, v15
	s_wait_alu 0xfffe
	s_add_nc_u64 s[0:1], s[34:35], s[40:41]
	v_lshlrev_b64_e32 v[9:10], 2, v[5:6]
	v_add_nc_u32_e32 v12, v1, v2
	s_wait_alu 0xfffd
	v_cndmask_b32_e32 v3, v13, v3, vcc_lo
	v_add_co_u32 v7, vcc_lo, v7, v41
	s_wait_alu 0xfffd
	v_add_co_ci_u32_e64 v8, null, v8, v42, vcc_lo
	s_delay_alu instid0(VALU_DEP_3)
	v_lshlrev_b32_e32 v3, 2, v3
	ds_store_b32 v3, v40
	v_add_co_u32 v3, vcc_lo, v7, v5
	s_wait_alu 0xfffd
	v_add_co_ci_u32_e64 v7, null, v8, v6, vcc_lo
	s_wait_loadcnt_dscnt 0x0
	s_wait_alu 0xfffe
	v_sub_co_u32 v3, vcc_lo, s0, v3
	s_wait_alu 0xfffd
	v_sub_co_ci_u32_e64 v11, null, s1, v7, vcc_lo
	v_lshlrev_b64_e32 v[7:8], 2, v[41:42]
	v_add_co_u32 v9, s0, s36, v9
	s_wait_alu 0xf1ff
	v_add_co_ci_u32_e64 v10, null, s37, v10, s0
	s_mov_b32 s0, -1
	v_add_co_u32 v7, vcc_lo, s38, v7
	s_wait_alu 0xfffd
	v_add_co_ci_u32_e64 v8, null, s39, v8, vcc_lo
	v_cmp_ne_u32_e32 vcc_lo, 1, v39
	s_barrier_signal -1
	s_barrier_wait -1
	global_inv scope:SCOPE_SE
	s_cbranch_vccz .LBB1059_150
; %bb.147:
	s_wait_alu 0xfffe
	s_and_b32 vcc_lo, exec_lo, s0
	s_wait_alu 0xfffe
	s_cbranch_vccnz .LBB1059_255
.LBB1059_148:
	v_cmp_eq_u32_e32 vcc_lo, 0, v0
	s_and_b32 s0, vcc_lo, s15
	s_wait_alu 0xfffe
	s_and_saveexec_b32 s1, s0
	s_cbranch_execnz .LBB1059_373
.LBB1059_149:
	s_endpgm
.LBB1059_150:
	s_mov_b32 s0, exec_lo
	v_cmpx_ge_u32_e64 v0, v1
	s_wait_alu 0xfffe
	s_xor_b32 s0, exec_lo, s0
	s_cbranch_execz .LBB1059_156
; %bb.151:
	s_mov_b32 s1, exec_lo
	v_cmpx_ge_u32_e64 v0, v12
	s_wait_alu 0xfffe
	s_xor_b32 s1, exec_lo, s1
	s_cbranch_execz .LBB1059_153
; %bb.152:
	v_lshlrev_b32_e32 v13, 2, v0
	ds_load_b32 v15, v13
	v_add_co_u32 v13, vcc_lo, v3, v0
	s_wait_alu 0xfffd
	v_add_co_ci_u32_e64 v14, null, 0, v11, vcc_lo
	s_delay_alu instid0(VALU_DEP_1) | instskip(NEXT) | instid1(VALU_DEP_1)
	v_lshlrev_b64_e32 v[13:14], 2, v[13:14]
	v_sub_co_u32 v13, vcc_lo, s26, v13
	s_wait_alu 0xfffd
	s_delay_alu instid0(VALU_DEP_2)
	v_sub_co_ci_u32_e64 v14, null, s27, v14, vcc_lo
	s_wait_dscnt 0x0
	global_store_b32 v[13:14], v15, off offset:-4
.LBB1059_153:
	s_wait_alu 0xfffe
	s_and_not1_saveexec_b32 s1, s1
	s_cbranch_execz .LBB1059_155
; %bb.154:
	v_lshlrev_b32_e32 v13, 2, v0
	v_readfirstlane_b32 s2, v7
	v_readfirstlane_b32 s3, v8
	ds_load_b32 v14, v13
	s_wait_dscnt 0x0
	global_store_b32 v13, v14, s[2:3]
.LBB1059_155:
	s_wait_alu 0xfffe
	s_or_b32 exec_lo, exec_lo, s1
.LBB1059_156:
	s_wait_alu 0xfffe
	s_and_not1_saveexec_b32 s0, s0
	s_cbranch_execz .LBB1059_158
; %bb.157:
	v_lshlrev_b32_e32 v13, 2, v0
	v_readfirstlane_b32 s2, v9
	v_readfirstlane_b32 s3, v10
	ds_load_b32 v14, v13
	s_wait_dscnt 0x0
	global_store_b32 v13, v14, s[2:3]
.LBB1059_158:
	s_wait_alu 0xfffe
	s_or_b32 exec_lo, exec_lo, s0
	s_delay_alu instid0(SALU_CYCLE_1)
	s_mov_b32 s0, exec_lo
	v_cmpx_ge_u32_e64 v38, v1
	s_wait_alu 0xfffe
	s_xor_b32 s0, exec_lo, s0
	s_cbranch_execz .LBB1059_164
; %bb.159:
	s_mov_b32 s1, exec_lo
	v_cmpx_ge_u32_e64 v38, v12
	s_wait_alu 0xfffe
	s_xor_b32 s1, exec_lo, s1
	s_cbranch_execz .LBB1059_161
; %bb.160:
	v_lshlrev_b32_e32 v13, 2, v0
	ds_load_b32 v15, v13 offset:1024
	v_add_co_u32 v13, vcc_lo, v3, v0
	s_wait_alu 0xfffd
	v_add_co_ci_u32_e64 v14, null, 0, v11, vcc_lo
	s_delay_alu instid0(VALU_DEP_1) | instskip(NEXT) | instid1(VALU_DEP_1)
	v_lshlrev_b64_e32 v[13:14], 2, v[13:14]
	v_sub_co_u32 v13, vcc_lo, s26, v13
	s_wait_alu 0xfffd
	s_delay_alu instid0(VALU_DEP_2)
	v_sub_co_ci_u32_e64 v14, null, s27, v14, vcc_lo
	s_wait_dscnt 0x0
	global_store_b32 v[13:14], v15, off offset:-1028
.LBB1059_161:
	s_wait_alu 0xfffe
	s_and_not1_saveexec_b32 s1, s1
	s_cbranch_execz .LBB1059_163
; %bb.162:
	v_lshlrev_b32_e32 v13, 2, v0
	v_readfirstlane_b32 s2, v7
	v_readfirstlane_b32 s3, v8
	ds_load_b32 v14, v13 offset:1024
	s_wait_dscnt 0x0
	global_store_b32 v13, v14, s[2:3] offset:1024
.LBB1059_163:
	s_wait_alu 0xfffe
	s_or_b32 exec_lo, exec_lo, s1
.LBB1059_164:
	s_wait_alu 0xfffe
	s_and_not1_saveexec_b32 s0, s0
	s_cbranch_execz .LBB1059_166
; %bb.165:
	v_lshlrev_b32_e32 v13, 2, v0
	v_readfirstlane_b32 s2, v9
	v_readfirstlane_b32 s3, v10
	ds_load_b32 v14, v13 offset:1024
	s_wait_dscnt 0x0
	global_store_b32 v13, v14, s[2:3] offset:1024
.LBB1059_166:
	s_wait_alu 0xfffe
	s_or_b32 exec_lo, exec_lo, s0
	s_delay_alu instid0(SALU_CYCLE_1)
	s_mov_b32 s0, exec_lo
	v_cmpx_ge_u32_e64 v37, v1
	s_wait_alu 0xfffe
	s_xor_b32 s0, exec_lo, s0
	s_cbranch_execz .LBB1059_172
; %bb.167:
	s_mov_b32 s1, exec_lo
	v_cmpx_ge_u32_e64 v37, v12
	s_wait_alu 0xfffe
	s_xor_b32 s1, exec_lo, s1
	s_cbranch_execz .LBB1059_169
; %bb.168:
	v_lshlrev_b32_e32 v13, 2, v0
	ds_load_b32 v15, v13 offset:2048
	v_add_co_u32 v13, vcc_lo, v3, v0
	s_wait_alu 0xfffd
	v_add_co_ci_u32_e64 v14, null, 0, v11, vcc_lo
	s_delay_alu instid0(VALU_DEP_1) | instskip(NEXT) | instid1(VALU_DEP_1)
	v_lshlrev_b64_e32 v[13:14], 2, v[13:14]
	v_sub_co_u32 v13, vcc_lo, s26, v13
	s_wait_alu 0xfffd
	s_delay_alu instid0(VALU_DEP_2)
	v_sub_co_ci_u32_e64 v14, null, s27, v14, vcc_lo
	s_wait_dscnt 0x0
	global_store_b32 v[13:14], v15, off offset:-2052
.LBB1059_169:
	s_wait_alu 0xfffe
	s_and_not1_saveexec_b32 s1, s1
	s_cbranch_execz .LBB1059_171
; %bb.170:
	v_lshlrev_b32_e32 v13, 2, v0
	v_readfirstlane_b32 s2, v7
	v_readfirstlane_b32 s3, v8
	ds_load_b32 v14, v13 offset:2048
	s_wait_dscnt 0x0
	global_store_b32 v13, v14, s[2:3] offset:2048
.LBB1059_171:
	s_wait_alu 0xfffe
	s_or_b32 exec_lo, exec_lo, s1
.LBB1059_172:
	s_wait_alu 0xfffe
	s_and_not1_saveexec_b32 s0, s0
	s_cbranch_execz .LBB1059_174
; %bb.173:
	v_lshlrev_b32_e32 v13, 2, v0
	v_readfirstlane_b32 s2, v9
	v_readfirstlane_b32 s3, v10
	ds_load_b32 v14, v13 offset:2048
	s_wait_dscnt 0x0
	global_store_b32 v13, v14, s[2:3] offset:2048
.LBB1059_174:
	;; [unrolled: 54-line block ×12, first 2 shown]
	s_wait_alu 0xfffe
	s_or_b32 exec_lo, exec_lo, s0
	s_branch .LBB1059_148
.LBB1059_255:
	s_mov_b32 s0, exec_lo
	v_cmpx_gt_u32_e64 s33, v0
	s_cbranch_execz .LBB1059_264
; %bb.256:
	s_mov_b32 s1, exec_lo
	v_cmpx_ge_u32_e64 v0, v1
	s_wait_alu 0xfffe
	s_xor_b32 s1, exec_lo, s1
	s_cbranch_execz .LBB1059_262
; %bb.257:
	s_mov_b32 s2, exec_lo
	v_cmpx_ge_u32_e64 v0, v12
	s_wait_alu 0xfffe
	s_xor_b32 s2, exec_lo, s2
	s_cbranch_execz .LBB1059_259
; %bb.258:
	v_lshlrev_b32_e32 v13, 2, v0
	ds_load_b32 v15, v13
	v_add_co_u32 v13, vcc_lo, v3, v0
	s_wait_alu 0xfffd
	v_add_co_ci_u32_e64 v14, null, 0, v11, vcc_lo
	s_delay_alu instid0(VALU_DEP_1) | instskip(NEXT) | instid1(VALU_DEP_1)
	v_lshlrev_b64_e32 v[13:14], 2, v[13:14]
	v_sub_co_u32 v13, vcc_lo, s26, v13
	s_wait_alu 0xfffd
	s_delay_alu instid0(VALU_DEP_2)
	v_sub_co_ci_u32_e64 v14, null, s27, v14, vcc_lo
	s_wait_dscnt 0x0
	global_store_b32 v[13:14], v15, off offset:-4
.LBB1059_259:
	s_wait_alu 0xfffe
	s_and_not1_saveexec_b32 s2, s2
	s_cbranch_execz .LBB1059_261
; %bb.260:
	v_lshlrev_b32_e32 v13, 2, v0
	v_readfirstlane_b32 s4, v7
	v_readfirstlane_b32 s5, v8
	ds_load_b32 v14, v13
	s_wait_dscnt 0x0
	global_store_b32 v13, v14, s[4:5]
.LBB1059_261:
	s_wait_alu 0xfffe
	s_or_b32 exec_lo, exec_lo, s2
.LBB1059_262:
	s_wait_alu 0xfffe
	s_and_not1_saveexec_b32 s1, s1
	s_cbranch_execz .LBB1059_264
; %bb.263:
	v_lshlrev_b32_e32 v13, 2, v0
	v_readfirstlane_b32 s2, v9
	v_readfirstlane_b32 s3, v10
	ds_load_b32 v14, v13
	s_wait_dscnt 0x0
	global_store_b32 v13, v14, s[2:3]
.LBB1059_264:
	s_wait_alu 0xfffe
	s_or_b32 exec_lo, exec_lo, s0
	s_delay_alu instid0(SALU_CYCLE_1)
	s_mov_b32 s0, exec_lo
	v_cmpx_gt_u32_e64 s33, v38
	s_cbranch_execz .LBB1059_273
; %bb.265:
	s_mov_b32 s1, exec_lo
	v_cmpx_ge_u32_e64 v38, v1
	s_wait_alu 0xfffe
	s_xor_b32 s1, exec_lo, s1
	s_cbranch_execz .LBB1059_271
; %bb.266:
	s_mov_b32 s2, exec_lo
	v_cmpx_ge_u32_e64 v38, v12
	s_wait_alu 0xfffe
	s_xor_b32 s2, exec_lo, s2
	s_cbranch_execz .LBB1059_268
; %bb.267:
	v_lshlrev_b32_e32 v13, 2, v0
	ds_load_b32 v15, v13 offset:1024
	v_add_co_u32 v13, vcc_lo, v3, v0
	s_wait_alu 0xfffd
	v_add_co_ci_u32_e64 v14, null, 0, v11, vcc_lo
	s_delay_alu instid0(VALU_DEP_1) | instskip(NEXT) | instid1(VALU_DEP_1)
	v_lshlrev_b64_e32 v[13:14], 2, v[13:14]
	v_sub_co_u32 v13, vcc_lo, s26, v13
	s_wait_alu 0xfffd
	s_delay_alu instid0(VALU_DEP_2)
	v_sub_co_ci_u32_e64 v14, null, s27, v14, vcc_lo
	s_wait_dscnt 0x0
	global_store_b32 v[13:14], v15, off offset:-1028
.LBB1059_268:
	s_wait_alu 0xfffe
	s_and_not1_saveexec_b32 s2, s2
	s_cbranch_execz .LBB1059_270
; %bb.269:
	v_lshlrev_b32_e32 v13, 2, v0
	v_readfirstlane_b32 s4, v7
	v_readfirstlane_b32 s5, v8
	ds_load_b32 v14, v13 offset:1024
	s_wait_dscnt 0x0
	global_store_b32 v13, v14, s[4:5] offset:1024
.LBB1059_270:
	s_wait_alu 0xfffe
	s_or_b32 exec_lo, exec_lo, s2
.LBB1059_271:
	s_wait_alu 0xfffe
	s_and_not1_saveexec_b32 s1, s1
	s_cbranch_execz .LBB1059_273
; %bb.272:
	v_lshlrev_b32_e32 v13, 2, v0
	v_readfirstlane_b32 s2, v9
	v_readfirstlane_b32 s3, v10
	ds_load_b32 v14, v13 offset:1024
	s_wait_dscnt 0x0
	global_store_b32 v13, v14, s[2:3] offset:1024
.LBB1059_273:
	s_wait_alu 0xfffe
	s_or_b32 exec_lo, exec_lo, s0
	s_delay_alu instid0(SALU_CYCLE_1)
	s_mov_b32 s0, exec_lo
	v_cmpx_gt_u32_e64 s33, v37
	s_cbranch_execz .LBB1059_282
; %bb.274:
	s_mov_b32 s1, exec_lo
	v_cmpx_ge_u32_e64 v37, v1
	s_wait_alu 0xfffe
	s_xor_b32 s1, exec_lo, s1
	s_cbranch_execz .LBB1059_280
; %bb.275:
	s_mov_b32 s2, exec_lo
	v_cmpx_ge_u32_e64 v37, v12
	s_wait_alu 0xfffe
	s_xor_b32 s2, exec_lo, s2
	s_cbranch_execz .LBB1059_277
; %bb.276:
	v_lshlrev_b32_e32 v13, 2, v0
	ds_load_b32 v15, v13 offset:2048
	v_add_co_u32 v13, vcc_lo, v3, v0
	s_wait_alu 0xfffd
	v_add_co_ci_u32_e64 v14, null, 0, v11, vcc_lo
	s_delay_alu instid0(VALU_DEP_1) | instskip(NEXT) | instid1(VALU_DEP_1)
	v_lshlrev_b64_e32 v[13:14], 2, v[13:14]
	v_sub_co_u32 v13, vcc_lo, s26, v13
	s_wait_alu 0xfffd
	s_delay_alu instid0(VALU_DEP_2)
	v_sub_co_ci_u32_e64 v14, null, s27, v14, vcc_lo
	s_wait_dscnt 0x0
	global_store_b32 v[13:14], v15, off offset:-2052
.LBB1059_277:
	s_wait_alu 0xfffe
	s_and_not1_saveexec_b32 s2, s2
	s_cbranch_execz .LBB1059_279
; %bb.278:
	v_lshlrev_b32_e32 v13, 2, v0
	v_readfirstlane_b32 s4, v7
	v_readfirstlane_b32 s5, v8
	ds_load_b32 v14, v13 offset:2048
	s_wait_dscnt 0x0
	global_store_b32 v13, v14, s[4:5] offset:2048
.LBB1059_279:
	s_wait_alu 0xfffe
	s_or_b32 exec_lo, exec_lo, s2
.LBB1059_280:
	s_wait_alu 0xfffe
	s_and_not1_saveexec_b32 s1, s1
	s_cbranch_execz .LBB1059_282
; %bb.281:
	v_lshlrev_b32_e32 v13, 2, v0
	v_readfirstlane_b32 s2, v9
	v_readfirstlane_b32 s3, v10
	ds_load_b32 v14, v13 offset:2048
	s_wait_dscnt 0x0
	global_store_b32 v13, v14, s[2:3] offset:2048
.LBB1059_282:
	;; [unrolled: 58-line block ×11, first 2 shown]
	s_wait_alu 0xfffe
	s_or_b32 exec_lo, exec_lo, s0
	s_delay_alu instid0(SALU_CYCLE_1)
	s_mov_b32 s0, exec_lo
	v_cmpx_gt_u32_e64 s33, v27
	s_cbranch_execz .LBB1059_372
; %bb.364:
	s_mov_b32 s1, exec_lo
	v_cmpx_ge_u32_e64 v27, v1
	s_wait_alu 0xfffe
	s_xor_b32 s1, exec_lo, s1
	s_cbranch_execz .LBB1059_370
; %bb.365:
	s_mov_b32 s2, exec_lo
	v_cmpx_ge_u32_e64 v27, v12
	s_wait_alu 0xfffe
	s_xor_b32 s2, exec_lo, s2
	s_cbranch_execz .LBB1059_367
; %bb.366:
	v_lshlrev_b32_e32 v7, 2, v0
	ds_load_b32 v9, v7 offset:12288
	v_add_co_u32 v7, vcc_lo, v3, v0
	s_wait_alu 0xfffd
	v_add_co_ci_u32_e64 v8, null, 0, v11, vcc_lo
	s_delay_alu instid0(VALU_DEP_1) | instskip(NEXT) | instid1(VALU_DEP_1)
	v_lshlrev_b64_e32 v[7:8], 2, v[7:8]
	v_sub_co_u32 v7, vcc_lo, s26, v7
	s_wait_alu 0xfffd
	s_delay_alu instid0(VALU_DEP_2)
	v_sub_co_ci_u32_e64 v8, null, s27, v8, vcc_lo
	s_wait_dscnt 0x0
	global_store_b32 v[7:8], v9, off offset:-12292
                                        ; implicit-def: $vgpr7_vgpr8
.LBB1059_367:
	s_wait_alu 0xfffe
	s_and_not1_saveexec_b32 s2, s2
	s_cbranch_execz .LBB1059_369
; %bb.368:
	v_lshlrev_b32_e32 v3, 2, v0
	v_readfirstlane_b32 s4, v7
	v_readfirstlane_b32 s5, v8
	ds_load_b32 v9, v3 offset:12288
	s_wait_dscnt 0x0
	global_store_b32 v3, v9, s[4:5] offset:12288
.LBB1059_369:
	s_wait_alu 0xfffe
	s_or_b32 exec_lo, exec_lo, s2
                                        ; implicit-def: $vgpr9_vgpr10
.LBB1059_370:
	s_wait_alu 0xfffe
	s_and_not1_saveexec_b32 s1, s1
	s_cbranch_execz .LBB1059_372
; %bb.371:
	v_lshlrev_b32_e32 v3, 2, v0
	v_readfirstlane_b32 s2, v9
	v_readfirstlane_b32 s3, v10
	ds_load_b32 v7, v3 offset:12288
	s_wait_dscnt 0x0
	global_store_b32 v3, v7, s[2:3] offset:12288
.LBB1059_372:
	s_wait_alu 0xfffe
	s_or_b32 exec_lo, exec_lo, s0
	v_cmp_eq_u32_e32 vcc_lo, 0, v0
	s_and_b32 s0, vcc_lo, s15
	s_wait_alu 0xfffe
	s_and_saveexec_b32 s1, s0
	s_cbranch_execz .LBB1059_149
.LBB1059_373:
	v_add_co_u32 v0, s0, s30, v2
	s_wait_alu 0xf1ff
	v_add_co_ci_u32_e64 v3, null, s31, 0, s0
	v_mov_b32_e32 v7, 0
	s_delay_alu instid0(VALU_DEP_3) | instskip(SKIP_1) | instid1(VALU_DEP_3)
	v_add_co_u32 v2, vcc_lo, v0, v4
	s_wait_alu 0xfffd
	v_add_co_ci_u32_e64 v3, null, 0, v3, vcc_lo
	v_add_co_u32 v0, vcc_lo, v5, v1
	s_wait_alu 0xfffd
	v_add_co_ci_u32_e64 v1, null, 0, v6, vcc_lo
	global_store_b128 v7, v[0:3], s[24:25]
	s_endpgm
.LBB1059_374:
	s_add_co_i32 s8, ttmp9, 32
	s_mov_b32 s9, 0
	v_dual_mov_b32 v7, 2 :: v_dual_add_nc_u32 v6, v4, v2
	s_wait_alu 0xfffe
	s_lshl_b64 s[8:9], s[8:9], 4
	v_dual_mov_b32 v8, 0 :: v_dual_add_nc_u32 v5, v3, v1
	s_wait_alu 0xfffe
	s_add_nc_u64 s[8:9], s[4:5], s[8:9]
	s_wait_alu 0xfffe
	v_dual_mov_b32 v24, s9 :: v_dual_mov_b32 v23, s8
	;;#ASMSTART
	global_store_b128 v[23:24], v[5:8] off scope:SCOPE_DEV	
s_wait_storecnt 0x0
	;;#ASMEND
	s_or_b32 exec_lo, exec_lo, s6
	s_and_saveexec_b32 s6, s2
	s_cbranch_execz .LBB1059_134
.LBB1059_375:
	v_mov_b32_e32 v5, 0
	ds_store_b128 v5, v[1:4] offset:13312
	s_wait_alu 0xfffe
	s_or_b32 exec_lo, exec_lo, s6
	v_cmp_eq_u32_e32 vcc_lo, 0, v0
	s_and_b32 exec_lo, exec_lo, vcc_lo
	s_cbranch_execnz .LBB1059_135
	s_branch .LBB1059_136
	.section	.rodata,"a",@progbits
	.p2align	6, 0x0
	.amdhsa_kernel _ZN7rocprim17ROCPRIM_400000_NS6detail17trampoline_kernelINS0_13select_configILj256ELj13ELNS0_17block_load_methodE3ELS4_3ELS4_3ELNS0_20block_scan_algorithmE0ELj4294967295EEENS1_25partition_config_selectorILNS1_17partition_subalgoE4EjNS0_10empty_typeEbEEZZNS1_14partition_implILS8_4ELb0ES6_15HIP_vector_typeIjLj2EENS0_17counting_iteratorIjlEEPS9_SG_NS0_5tupleIJPjSI_NS0_16reverse_iteratorISI_EEEEENSH_IJSG_SG_SG_EEES9_SI_JZNS1_25segmented_radix_sort_implINS0_14default_configELb1EPKdPdPKlPlN2at6native12_GLOBAL__N_18offset_tEEE10hipError_tPvRmT1_PNSt15iterator_traitsIS12_E10value_typeET2_T3_PNS13_IS18_E10value_typeET4_jRbjT5_S1E_jjP12ihipStream_tbEUljE_ZNSN_ISO_Lb1ESQ_SR_ST_SU_SY_EESZ_S10_S11_S12_S16_S17_S18_S1B_S1C_jS1D_jS1E_S1E_jjS1G_bEUljE0_EEESZ_S10_S11_S18_S1C_S1E_T6_T7_T9_mT8_S1G_bDpT10_ENKUlT_T0_E_clISt17integral_constantIbLb0EES1U_EEDaS1P_S1Q_EUlS1P_E_NS1_11comp_targetILNS1_3genE10ELNS1_11target_archE1200ELNS1_3gpuE4ELNS1_3repE0EEENS1_30default_config_static_selectorELNS0_4arch9wavefront6targetE0EEEvS12_
		.amdhsa_group_segment_fixed_size 13328
		.amdhsa_private_segment_fixed_size 0
		.amdhsa_kernarg_size 176
		.amdhsa_user_sgpr_count 2
		.amdhsa_user_sgpr_dispatch_ptr 0
		.amdhsa_user_sgpr_queue_ptr 0
		.amdhsa_user_sgpr_kernarg_segment_ptr 1
		.amdhsa_user_sgpr_dispatch_id 0
		.amdhsa_user_sgpr_private_segment_size 0
		.amdhsa_wavefront_size32 1
		.amdhsa_uses_dynamic_stack 0
		.amdhsa_enable_private_segment 0
		.amdhsa_system_sgpr_workgroup_id_x 1
		.amdhsa_system_sgpr_workgroup_id_y 0
		.amdhsa_system_sgpr_workgroup_id_z 0
		.amdhsa_system_sgpr_workgroup_info 0
		.amdhsa_system_vgpr_workitem_id 0
		.amdhsa_next_free_vgpr 93
		.amdhsa_next_free_sgpr 58
		.amdhsa_reserve_vcc 1
		.amdhsa_float_round_mode_32 0
		.amdhsa_float_round_mode_16_64 0
		.amdhsa_float_denorm_mode_32 3
		.amdhsa_float_denorm_mode_16_64 3
		.amdhsa_fp16_overflow 0
		.amdhsa_workgroup_processor_mode 1
		.amdhsa_memory_ordered 1
		.amdhsa_forward_progress 1
		.amdhsa_inst_pref_size 148
		.amdhsa_round_robin_scheduling 0
		.amdhsa_exception_fp_ieee_invalid_op 0
		.amdhsa_exception_fp_denorm_src 0
		.amdhsa_exception_fp_ieee_div_zero 0
		.amdhsa_exception_fp_ieee_overflow 0
		.amdhsa_exception_fp_ieee_underflow 0
		.amdhsa_exception_fp_ieee_inexact 0
		.amdhsa_exception_int_div_zero 0
	.end_amdhsa_kernel
	.section	.text._ZN7rocprim17ROCPRIM_400000_NS6detail17trampoline_kernelINS0_13select_configILj256ELj13ELNS0_17block_load_methodE3ELS4_3ELS4_3ELNS0_20block_scan_algorithmE0ELj4294967295EEENS1_25partition_config_selectorILNS1_17partition_subalgoE4EjNS0_10empty_typeEbEEZZNS1_14partition_implILS8_4ELb0ES6_15HIP_vector_typeIjLj2EENS0_17counting_iteratorIjlEEPS9_SG_NS0_5tupleIJPjSI_NS0_16reverse_iteratorISI_EEEEENSH_IJSG_SG_SG_EEES9_SI_JZNS1_25segmented_radix_sort_implINS0_14default_configELb1EPKdPdPKlPlN2at6native12_GLOBAL__N_18offset_tEEE10hipError_tPvRmT1_PNSt15iterator_traitsIS12_E10value_typeET2_T3_PNS13_IS18_E10value_typeET4_jRbjT5_S1E_jjP12ihipStream_tbEUljE_ZNSN_ISO_Lb1ESQ_SR_ST_SU_SY_EESZ_S10_S11_S12_S16_S17_S18_S1B_S1C_jS1D_jS1E_S1E_jjS1G_bEUljE0_EEESZ_S10_S11_S18_S1C_S1E_T6_T7_T9_mT8_S1G_bDpT10_ENKUlT_T0_E_clISt17integral_constantIbLb0EES1U_EEDaS1P_S1Q_EUlS1P_E_NS1_11comp_targetILNS1_3genE10ELNS1_11target_archE1200ELNS1_3gpuE4ELNS1_3repE0EEENS1_30default_config_static_selectorELNS0_4arch9wavefront6targetE0EEEvS12_,"axG",@progbits,_ZN7rocprim17ROCPRIM_400000_NS6detail17trampoline_kernelINS0_13select_configILj256ELj13ELNS0_17block_load_methodE3ELS4_3ELS4_3ELNS0_20block_scan_algorithmE0ELj4294967295EEENS1_25partition_config_selectorILNS1_17partition_subalgoE4EjNS0_10empty_typeEbEEZZNS1_14partition_implILS8_4ELb0ES6_15HIP_vector_typeIjLj2EENS0_17counting_iteratorIjlEEPS9_SG_NS0_5tupleIJPjSI_NS0_16reverse_iteratorISI_EEEEENSH_IJSG_SG_SG_EEES9_SI_JZNS1_25segmented_radix_sort_implINS0_14default_configELb1EPKdPdPKlPlN2at6native12_GLOBAL__N_18offset_tEEE10hipError_tPvRmT1_PNSt15iterator_traitsIS12_E10value_typeET2_T3_PNS13_IS18_E10value_typeET4_jRbjT5_S1E_jjP12ihipStream_tbEUljE_ZNSN_ISO_Lb1ESQ_SR_ST_SU_SY_EESZ_S10_S11_S12_S16_S17_S18_S1B_S1C_jS1D_jS1E_S1E_jjS1G_bEUljE0_EEESZ_S10_S11_S18_S1C_S1E_T6_T7_T9_mT8_S1G_bDpT10_ENKUlT_T0_E_clISt17integral_constantIbLb0EES1U_EEDaS1P_S1Q_EUlS1P_E_NS1_11comp_targetILNS1_3genE10ELNS1_11target_archE1200ELNS1_3gpuE4ELNS1_3repE0EEENS1_30default_config_static_selectorELNS0_4arch9wavefront6targetE0EEEvS12_,comdat
.Lfunc_end1059:
	.size	_ZN7rocprim17ROCPRIM_400000_NS6detail17trampoline_kernelINS0_13select_configILj256ELj13ELNS0_17block_load_methodE3ELS4_3ELS4_3ELNS0_20block_scan_algorithmE0ELj4294967295EEENS1_25partition_config_selectorILNS1_17partition_subalgoE4EjNS0_10empty_typeEbEEZZNS1_14partition_implILS8_4ELb0ES6_15HIP_vector_typeIjLj2EENS0_17counting_iteratorIjlEEPS9_SG_NS0_5tupleIJPjSI_NS0_16reverse_iteratorISI_EEEEENSH_IJSG_SG_SG_EEES9_SI_JZNS1_25segmented_radix_sort_implINS0_14default_configELb1EPKdPdPKlPlN2at6native12_GLOBAL__N_18offset_tEEE10hipError_tPvRmT1_PNSt15iterator_traitsIS12_E10value_typeET2_T3_PNS13_IS18_E10value_typeET4_jRbjT5_S1E_jjP12ihipStream_tbEUljE_ZNSN_ISO_Lb1ESQ_SR_ST_SU_SY_EESZ_S10_S11_S12_S16_S17_S18_S1B_S1C_jS1D_jS1E_S1E_jjS1G_bEUljE0_EEESZ_S10_S11_S18_S1C_S1E_T6_T7_T9_mT8_S1G_bDpT10_ENKUlT_T0_E_clISt17integral_constantIbLb0EES1U_EEDaS1P_S1Q_EUlS1P_E_NS1_11comp_targetILNS1_3genE10ELNS1_11target_archE1200ELNS1_3gpuE4ELNS1_3repE0EEENS1_30default_config_static_selectorELNS0_4arch9wavefront6targetE0EEEvS12_, .Lfunc_end1059-_ZN7rocprim17ROCPRIM_400000_NS6detail17trampoline_kernelINS0_13select_configILj256ELj13ELNS0_17block_load_methodE3ELS4_3ELS4_3ELNS0_20block_scan_algorithmE0ELj4294967295EEENS1_25partition_config_selectorILNS1_17partition_subalgoE4EjNS0_10empty_typeEbEEZZNS1_14partition_implILS8_4ELb0ES6_15HIP_vector_typeIjLj2EENS0_17counting_iteratorIjlEEPS9_SG_NS0_5tupleIJPjSI_NS0_16reverse_iteratorISI_EEEEENSH_IJSG_SG_SG_EEES9_SI_JZNS1_25segmented_radix_sort_implINS0_14default_configELb1EPKdPdPKlPlN2at6native12_GLOBAL__N_18offset_tEEE10hipError_tPvRmT1_PNSt15iterator_traitsIS12_E10value_typeET2_T3_PNS13_IS18_E10value_typeET4_jRbjT5_S1E_jjP12ihipStream_tbEUljE_ZNSN_ISO_Lb1ESQ_SR_ST_SU_SY_EESZ_S10_S11_S12_S16_S17_S18_S1B_S1C_jS1D_jS1E_S1E_jjS1G_bEUljE0_EEESZ_S10_S11_S18_S1C_S1E_T6_T7_T9_mT8_S1G_bDpT10_ENKUlT_T0_E_clISt17integral_constantIbLb0EES1U_EEDaS1P_S1Q_EUlS1P_E_NS1_11comp_targetILNS1_3genE10ELNS1_11target_archE1200ELNS1_3gpuE4ELNS1_3repE0EEENS1_30default_config_static_selectorELNS0_4arch9wavefront6targetE0EEEvS12_
                                        ; -- End function
	.set _ZN7rocprim17ROCPRIM_400000_NS6detail17trampoline_kernelINS0_13select_configILj256ELj13ELNS0_17block_load_methodE3ELS4_3ELS4_3ELNS0_20block_scan_algorithmE0ELj4294967295EEENS1_25partition_config_selectorILNS1_17partition_subalgoE4EjNS0_10empty_typeEbEEZZNS1_14partition_implILS8_4ELb0ES6_15HIP_vector_typeIjLj2EENS0_17counting_iteratorIjlEEPS9_SG_NS0_5tupleIJPjSI_NS0_16reverse_iteratorISI_EEEEENSH_IJSG_SG_SG_EEES9_SI_JZNS1_25segmented_radix_sort_implINS0_14default_configELb1EPKdPdPKlPlN2at6native12_GLOBAL__N_18offset_tEEE10hipError_tPvRmT1_PNSt15iterator_traitsIS12_E10value_typeET2_T3_PNS13_IS18_E10value_typeET4_jRbjT5_S1E_jjP12ihipStream_tbEUljE_ZNSN_ISO_Lb1ESQ_SR_ST_SU_SY_EESZ_S10_S11_S12_S16_S17_S18_S1B_S1C_jS1D_jS1E_S1E_jjS1G_bEUljE0_EEESZ_S10_S11_S18_S1C_S1E_T6_T7_T9_mT8_S1G_bDpT10_ENKUlT_T0_E_clISt17integral_constantIbLb0EES1U_EEDaS1P_S1Q_EUlS1P_E_NS1_11comp_targetILNS1_3genE10ELNS1_11target_archE1200ELNS1_3gpuE4ELNS1_3repE0EEENS1_30default_config_static_selectorELNS0_4arch9wavefront6targetE0EEEvS12_.num_vgpr, 93
	.set _ZN7rocprim17ROCPRIM_400000_NS6detail17trampoline_kernelINS0_13select_configILj256ELj13ELNS0_17block_load_methodE3ELS4_3ELS4_3ELNS0_20block_scan_algorithmE0ELj4294967295EEENS1_25partition_config_selectorILNS1_17partition_subalgoE4EjNS0_10empty_typeEbEEZZNS1_14partition_implILS8_4ELb0ES6_15HIP_vector_typeIjLj2EENS0_17counting_iteratorIjlEEPS9_SG_NS0_5tupleIJPjSI_NS0_16reverse_iteratorISI_EEEEENSH_IJSG_SG_SG_EEES9_SI_JZNS1_25segmented_radix_sort_implINS0_14default_configELb1EPKdPdPKlPlN2at6native12_GLOBAL__N_18offset_tEEE10hipError_tPvRmT1_PNSt15iterator_traitsIS12_E10value_typeET2_T3_PNS13_IS18_E10value_typeET4_jRbjT5_S1E_jjP12ihipStream_tbEUljE_ZNSN_ISO_Lb1ESQ_SR_ST_SU_SY_EESZ_S10_S11_S12_S16_S17_S18_S1B_S1C_jS1D_jS1E_S1E_jjS1G_bEUljE0_EEESZ_S10_S11_S18_S1C_S1E_T6_T7_T9_mT8_S1G_bDpT10_ENKUlT_T0_E_clISt17integral_constantIbLb0EES1U_EEDaS1P_S1Q_EUlS1P_E_NS1_11comp_targetILNS1_3genE10ELNS1_11target_archE1200ELNS1_3gpuE4ELNS1_3repE0EEENS1_30default_config_static_selectorELNS0_4arch9wavefront6targetE0EEEvS12_.num_agpr, 0
	.set _ZN7rocprim17ROCPRIM_400000_NS6detail17trampoline_kernelINS0_13select_configILj256ELj13ELNS0_17block_load_methodE3ELS4_3ELS4_3ELNS0_20block_scan_algorithmE0ELj4294967295EEENS1_25partition_config_selectorILNS1_17partition_subalgoE4EjNS0_10empty_typeEbEEZZNS1_14partition_implILS8_4ELb0ES6_15HIP_vector_typeIjLj2EENS0_17counting_iteratorIjlEEPS9_SG_NS0_5tupleIJPjSI_NS0_16reverse_iteratorISI_EEEEENSH_IJSG_SG_SG_EEES9_SI_JZNS1_25segmented_radix_sort_implINS0_14default_configELb1EPKdPdPKlPlN2at6native12_GLOBAL__N_18offset_tEEE10hipError_tPvRmT1_PNSt15iterator_traitsIS12_E10value_typeET2_T3_PNS13_IS18_E10value_typeET4_jRbjT5_S1E_jjP12ihipStream_tbEUljE_ZNSN_ISO_Lb1ESQ_SR_ST_SU_SY_EESZ_S10_S11_S12_S16_S17_S18_S1B_S1C_jS1D_jS1E_S1E_jjS1G_bEUljE0_EEESZ_S10_S11_S18_S1C_S1E_T6_T7_T9_mT8_S1G_bDpT10_ENKUlT_T0_E_clISt17integral_constantIbLb0EES1U_EEDaS1P_S1Q_EUlS1P_E_NS1_11comp_targetILNS1_3genE10ELNS1_11target_archE1200ELNS1_3gpuE4ELNS1_3repE0EEENS1_30default_config_static_selectorELNS0_4arch9wavefront6targetE0EEEvS12_.numbered_sgpr, 58
	.set _ZN7rocprim17ROCPRIM_400000_NS6detail17trampoline_kernelINS0_13select_configILj256ELj13ELNS0_17block_load_methodE3ELS4_3ELS4_3ELNS0_20block_scan_algorithmE0ELj4294967295EEENS1_25partition_config_selectorILNS1_17partition_subalgoE4EjNS0_10empty_typeEbEEZZNS1_14partition_implILS8_4ELb0ES6_15HIP_vector_typeIjLj2EENS0_17counting_iteratorIjlEEPS9_SG_NS0_5tupleIJPjSI_NS0_16reverse_iteratorISI_EEEEENSH_IJSG_SG_SG_EEES9_SI_JZNS1_25segmented_radix_sort_implINS0_14default_configELb1EPKdPdPKlPlN2at6native12_GLOBAL__N_18offset_tEEE10hipError_tPvRmT1_PNSt15iterator_traitsIS12_E10value_typeET2_T3_PNS13_IS18_E10value_typeET4_jRbjT5_S1E_jjP12ihipStream_tbEUljE_ZNSN_ISO_Lb1ESQ_SR_ST_SU_SY_EESZ_S10_S11_S12_S16_S17_S18_S1B_S1C_jS1D_jS1E_S1E_jjS1G_bEUljE0_EEESZ_S10_S11_S18_S1C_S1E_T6_T7_T9_mT8_S1G_bDpT10_ENKUlT_T0_E_clISt17integral_constantIbLb0EES1U_EEDaS1P_S1Q_EUlS1P_E_NS1_11comp_targetILNS1_3genE10ELNS1_11target_archE1200ELNS1_3gpuE4ELNS1_3repE0EEENS1_30default_config_static_selectorELNS0_4arch9wavefront6targetE0EEEvS12_.num_named_barrier, 0
	.set _ZN7rocprim17ROCPRIM_400000_NS6detail17trampoline_kernelINS0_13select_configILj256ELj13ELNS0_17block_load_methodE3ELS4_3ELS4_3ELNS0_20block_scan_algorithmE0ELj4294967295EEENS1_25partition_config_selectorILNS1_17partition_subalgoE4EjNS0_10empty_typeEbEEZZNS1_14partition_implILS8_4ELb0ES6_15HIP_vector_typeIjLj2EENS0_17counting_iteratorIjlEEPS9_SG_NS0_5tupleIJPjSI_NS0_16reverse_iteratorISI_EEEEENSH_IJSG_SG_SG_EEES9_SI_JZNS1_25segmented_radix_sort_implINS0_14default_configELb1EPKdPdPKlPlN2at6native12_GLOBAL__N_18offset_tEEE10hipError_tPvRmT1_PNSt15iterator_traitsIS12_E10value_typeET2_T3_PNS13_IS18_E10value_typeET4_jRbjT5_S1E_jjP12ihipStream_tbEUljE_ZNSN_ISO_Lb1ESQ_SR_ST_SU_SY_EESZ_S10_S11_S12_S16_S17_S18_S1B_S1C_jS1D_jS1E_S1E_jjS1G_bEUljE0_EEESZ_S10_S11_S18_S1C_S1E_T6_T7_T9_mT8_S1G_bDpT10_ENKUlT_T0_E_clISt17integral_constantIbLb0EES1U_EEDaS1P_S1Q_EUlS1P_E_NS1_11comp_targetILNS1_3genE10ELNS1_11target_archE1200ELNS1_3gpuE4ELNS1_3repE0EEENS1_30default_config_static_selectorELNS0_4arch9wavefront6targetE0EEEvS12_.private_seg_size, 0
	.set _ZN7rocprim17ROCPRIM_400000_NS6detail17trampoline_kernelINS0_13select_configILj256ELj13ELNS0_17block_load_methodE3ELS4_3ELS4_3ELNS0_20block_scan_algorithmE0ELj4294967295EEENS1_25partition_config_selectorILNS1_17partition_subalgoE4EjNS0_10empty_typeEbEEZZNS1_14partition_implILS8_4ELb0ES6_15HIP_vector_typeIjLj2EENS0_17counting_iteratorIjlEEPS9_SG_NS0_5tupleIJPjSI_NS0_16reverse_iteratorISI_EEEEENSH_IJSG_SG_SG_EEES9_SI_JZNS1_25segmented_radix_sort_implINS0_14default_configELb1EPKdPdPKlPlN2at6native12_GLOBAL__N_18offset_tEEE10hipError_tPvRmT1_PNSt15iterator_traitsIS12_E10value_typeET2_T3_PNS13_IS18_E10value_typeET4_jRbjT5_S1E_jjP12ihipStream_tbEUljE_ZNSN_ISO_Lb1ESQ_SR_ST_SU_SY_EESZ_S10_S11_S12_S16_S17_S18_S1B_S1C_jS1D_jS1E_S1E_jjS1G_bEUljE0_EEESZ_S10_S11_S18_S1C_S1E_T6_T7_T9_mT8_S1G_bDpT10_ENKUlT_T0_E_clISt17integral_constantIbLb0EES1U_EEDaS1P_S1Q_EUlS1P_E_NS1_11comp_targetILNS1_3genE10ELNS1_11target_archE1200ELNS1_3gpuE4ELNS1_3repE0EEENS1_30default_config_static_selectorELNS0_4arch9wavefront6targetE0EEEvS12_.uses_vcc, 1
	.set _ZN7rocprim17ROCPRIM_400000_NS6detail17trampoline_kernelINS0_13select_configILj256ELj13ELNS0_17block_load_methodE3ELS4_3ELS4_3ELNS0_20block_scan_algorithmE0ELj4294967295EEENS1_25partition_config_selectorILNS1_17partition_subalgoE4EjNS0_10empty_typeEbEEZZNS1_14partition_implILS8_4ELb0ES6_15HIP_vector_typeIjLj2EENS0_17counting_iteratorIjlEEPS9_SG_NS0_5tupleIJPjSI_NS0_16reverse_iteratorISI_EEEEENSH_IJSG_SG_SG_EEES9_SI_JZNS1_25segmented_radix_sort_implINS0_14default_configELb1EPKdPdPKlPlN2at6native12_GLOBAL__N_18offset_tEEE10hipError_tPvRmT1_PNSt15iterator_traitsIS12_E10value_typeET2_T3_PNS13_IS18_E10value_typeET4_jRbjT5_S1E_jjP12ihipStream_tbEUljE_ZNSN_ISO_Lb1ESQ_SR_ST_SU_SY_EESZ_S10_S11_S12_S16_S17_S18_S1B_S1C_jS1D_jS1E_S1E_jjS1G_bEUljE0_EEESZ_S10_S11_S18_S1C_S1E_T6_T7_T9_mT8_S1G_bDpT10_ENKUlT_T0_E_clISt17integral_constantIbLb0EES1U_EEDaS1P_S1Q_EUlS1P_E_NS1_11comp_targetILNS1_3genE10ELNS1_11target_archE1200ELNS1_3gpuE4ELNS1_3repE0EEENS1_30default_config_static_selectorELNS0_4arch9wavefront6targetE0EEEvS12_.uses_flat_scratch, 0
	.set _ZN7rocprim17ROCPRIM_400000_NS6detail17trampoline_kernelINS0_13select_configILj256ELj13ELNS0_17block_load_methodE3ELS4_3ELS4_3ELNS0_20block_scan_algorithmE0ELj4294967295EEENS1_25partition_config_selectorILNS1_17partition_subalgoE4EjNS0_10empty_typeEbEEZZNS1_14partition_implILS8_4ELb0ES6_15HIP_vector_typeIjLj2EENS0_17counting_iteratorIjlEEPS9_SG_NS0_5tupleIJPjSI_NS0_16reverse_iteratorISI_EEEEENSH_IJSG_SG_SG_EEES9_SI_JZNS1_25segmented_radix_sort_implINS0_14default_configELb1EPKdPdPKlPlN2at6native12_GLOBAL__N_18offset_tEEE10hipError_tPvRmT1_PNSt15iterator_traitsIS12_E10value_typeET2_T3_PNS13_IS18_E10value_typeET4_jRbjT5_S1E_jjP12ihipStream_tbEUljE_ZNSN_ISO_Lb1ESQ_SR_ST_SU_SY_EESZ_S10_S11_S12_S16_S17_S18_S1B_S1C_jS1D_jS1E_S1E_jjS1G_bEUljE0_EEESZ_S10_S11_S18_S1C_S1E_T6_T7_T9_mT8_S1G_bDpT10_ENKUlT_T0_E_clISt17integral_constantIbLb0EES1U_EEDaS1P_S1Q_EUlS1P_E_NS1_11comp_targetILNS1_3genE10ELNS1_11target_archE1200ELNS1_3gpuE4ELNS1_3repE0EEENS1_30default_config_static_selectorELNS0_4arch9wavefront6targetE0EEEvS12_.has_dyn_sized_stack, 0
	.set _ZN7rocprim17ROCPRIM_400000_NS6detail17trampoline_kernelINS0_13select_configILj256ELj13ELNS0_17block_load_methodE3ELS4_3ELS4_3ELNS0_20block_scan_algorithmE0ELj4294967295EEENS1_25partition_config_selectorILNS1_17partition_subalgoE4EjNS0_10empty_typeEbEEZZNS1_14partition_implILS8_4ELb0ES6_15HIP_vector_typeIjLj2EENS0_17counting_iteratorIjlEEPS9_SG_NS0_5tupleIJPjSI_NS0_16reverse_iteratorISI_EEEEENSH_IJSG_SG_SG_EEES9_SI_JZNS1_25segmented_radix_sort_implINS0_14default_configELb1EPKdPdPKlPlN2at6native12_GLOBAL__N_18offset_tEEE10hipError_tPvRmT1_PNSt15iterator_traitsIS12_E10value_typeET2_T3_PNS13_IS18_E10value_typeET4_jRbjT5_S1E_jjP12ihipStream_tbEUljE_ZNSN_ISO_Lb1ESQ_SR_ST_SU_SY_EESZ_S10_S11_S12_S16_S17_S18_S1B_S1C_jS1D_jS1E_S1E_jjS1G_bEUljE0_EEESZ_S10_S11_S18_S1C_S1E_T6_T7_T9_mT8_S1G_bDpT10_ENKUlT_T0_E_clISt17integral_constantIbLb0EES1U_EEDaS1P_S1Q_EUlS1P_E_NS1_11comp_targetILNS1_3genE10ELNS1_11target_archE1200ELNS1_3gpuE4ELNS1_3repE0EEENS1_30default_config_static_selectorELNS0_4arch9wavefront6targetE0EEEvS12_.has_recursion, 0
	.set _ZN7rocprim17ROCPRIM_400000_NS6detail17trampoline_kernelINS0_13select_configILj256ELj13ELNS0_17block_load_methodE3ELS4_3ELS4_3ELNS0_20block_scan_algorithmE0ELj4294967295EEENS1_25partition_config_selectorILNS1_17partition_subalgoE4EjNS0_10empty_typeEbEEZZNS1_14partition_implILS8_4ELb0ES6_15HIP_vector_typeIjLj2EENS0_17counting_iteratorIjlEEPS9_SG_NS0_5tupleIJPjSI_NS0_16reverse_iteratorISI_EEEEENSH_IJSG_SG_SG_EEES9_SI_JZNS1_25segmented_radix_sort_implINS0_14default_configELb1EPKdPdPKlPlN2at6native12_GLOBAL__N_18offset_tEEE10hipError_tPvRmT1_PNSt15iterator_traitsIS12_E10value_typeET2_T3_PNS13_IS18_E10value_typeET4_jRbjT5_S1E_jjP12ihipStream_tbEUljE_ZNSN_ISO_Lb1ESQ_SR_ST_SU_SY_EESZ_S10_S11_S12_S16_S17_S18_S1B_S1C_jS1D_jS1E_S1E_jjS1G_bEUljE0_EEESZ_S10_S11_S18_S1C_S1E_T6_T7_T9_mT8_S1G_bDpT10_ENKUlT_T0_E_clISt17integral_constantIbLb0EES1U_EEDaS1P_S1Q_EUlS1P_E_NS1_11comp_targetILNS1_3genE10ELNS1_11target_archE1200ELNS1_3gpuE4ELNS1_3repE0EEENS1_30default_config_static_selectorELNS0_4arch9wavefront6targetE0EEEvS12_.has_indirect_call, 0
	.section	.AMDGPU.csdata,"",@progbits
; Kernel info:
; codeLenInByte = 18900
; TotalNumSgprs: 60
; NumVgprs: 93
; ScratchSize: 0
; MemoryBound: 0
; FloatMode: 240
; IeeeMode: 1
; LDSByteSize: 13328 bytes/workgroup (compile time only)
; SGPRBlocks: 0
; VGPRBlocks: 11
; NumSGPRsForWavesPerEU: 60
; NumVGPRsForWavesPerEU: 93
; Occupancy: 16
; WaveLimiterHint : 1
; COMPUTE_PGM_RSRC2:SCRATCH_EN: 0
; COMPUTE_PGM_RSRC2:USER_SGPR: 2
; COMPUTE_PGM_RSRC2:TRAP_HANDLER: 0
; COMPUTE_PGM_RSRC2:TGID_X_EN: 1
; COMPUTE_PGM_RSRC2:TGID_Y_EN: 0
; COMPUTE_PGM_RSRC2:TGID_Z_EN: 0
; COMPUTE_PGM_RSRC2:TIDIG_COMP_CNT: 0
	.section	.text._ZN7rocprim17ROCPRIM_400000_NS6detail17trampoline_kernelINS0_13select_configILj256ELj13ELNS0_17block_load_methodE3ELS4_3ELS4_3ELNS0_20block_scan_algorithmE0ELj4294967295EEENS1_25partition_config_selectorILNS1_17partition_subalgoE4EjNS0_10empty_typeEbEEZZNS1_14partition_implILS8_4ELb0ES6_15HIP_vector_typeIjLj2EENS0_17counting_iteratorIjlEEPS9_SG_NS0_5tupleIJPjSI_NS0_16reverse_iteratorISI_EEEEENSH_IJSG_SG_SG_EEES9_SI_JZNS1_25segmented_radix_sort_implINS0_14default_configELb1EPKdPdPKlPlN2at6native12_GLOBAL__N_18offset_tEEE10hipError_tPvRmT1_PNSt15iterator_traitsIS12_E10value_typeET2_T3_PNS13_IS18_E10value_typeET4_jRbjT5_S1E_jjP12ihipStream_tbEUljE_ZNSN_ISO_Lb1ESQ_SR_ST_SU_SY_EESZ_S10_S11_S12_S16_S17_S18_S1B_S1C_jS1D_jS1E_S1E_jjS1G_bEUljE0_EEESZ_S10_S11_S18_S1C_S1E_T6_T7_T9_mT8_S1G_bDpT10_ENKUlT_T0_E_clISt17integral_constantIbLb0EES1U_EEDaS1P_S1Q_EUlS1P_E_NS1_11comp_targetILNS1_3genE9ELNS1_11target_archE1100ELNS1_3gpuE3ELNS1_3repE0EEENS1_30default_config_static_selectorELNS0_4arch9wavefront6targetE0EEEvS12_,"axG",@progbits,_ZN7rocprim17ROCPRIM_400000_NS6detail17trampoline_kernelINS0_13select_configILj256ELj13ELNS0_17block_load_methodE3ELS4_3ELS4_3ELNS0_20block_scan_algorithmE0ELj4294967295EEENS1_25partition_config_selectorILNS1_17partition_subalgoE4EjNS0_10empty_typeEbEEZZNS1_14partition_implILS8_4ELb0ES6_15HIP_vector_typeIjLj2EENS0_17counting_iteratorIjlEEPS9_SG_NS0_5tupleIJPjSI_NS0_16reverse_iteratorISI_EEEEENSH_IJSG_SG_SG_EEES9_SI_JZNS1_25segmented_radix_sort_implINS0_14default_configELb1EPKdPdPKlPlN2at6native12_GLOBAL__N_18offset_tEEE10hipError_tPvRmT1_PNSt15iterator_traitsIS12_E10value_typeET2_T3_PNS13_IS18_E10value_typeET4_jRbjT5_S1E_jjP12ihipStream_tbEUljE_ZNSN_ISO_Lb1ESQ_SR_ST_SU_SY_EESZ_S10_S11_S12_S16_S17_S18_S1B_S1C_jS1D_jS1E_S1E_jjS1G_bEUljE0_EEESZ_S10_S11_S18_S1C_S1E_T6_T7_T9_mT8_S1G_bDpT10_ENKUlT_T0_E_clISt17integral_constantIbLb0EES1U_EEDaS1P_S1Q_EUlS1P_E_NS1_11comp_targetILNS1_3genE9ELNS1_11target_archE1100ELNS1_3gpuE3ELNS1_3repE0EEENS1_30default_config_static_selectorELNS0_4arch9wavefront6targetE0EEEvS12_,comdat
	.globl	_ZN7rocprim17ROCPRIM_400000_NS6detail17trampoline_kernelINS0_13select_configILj256ELj13ELNS0_17block_load_methodE3ELS4_3ELS4_3ELNS0_20block_scan_algorithmE0ELj4294967295EEENS1_25partition_config_selectorILNS1_17partition_subalgoE4EjNS0_10empty_typeEbEEZZNS1_14partition_implILS8_4ELb0ES6_15HIP_vector_typeIjLj2EENS0_17counting_iteratorIjlEEPS9_SG_NS0_5tupleIJPjSI_NS0_16reverse_iteratorISI_EEEEENSH_IJSG_SG_SG_EEES9_SI_JZNS1_25segmented_radix_sort_implINS0_14default_configELb1EPKdPdPKlPlN2at6native12_GLOBAL__N_18offset_tEEE10hipError_tPvRmT1_PNSt15iterator_traitsIS12_E10value_typeET2_T3_PNS13_IS18_E10value_typeET4_jRbjT5_S1E_jjP12ihipStream_tbEUljE_ZNSN_ISO_Lb1ESQ_SR_ST_SU_SY_EESZ_S10_S11_S12_S16_S17_S18_S1B_S1C_jS1D_jS1E_S1E_jjS1G_bEUljE0_EEESZ_S10_S11_S18_S1C_S1E_T6_T7_T9_mT8_S1G_bDpT10_ENKUlT_T0_E_clISt17integral_constantIbLb0EES1U_EEDaS1P_S1Q_EUlS1P_E_NS1_11comp_targetILNS1_3genE9ELNS1_11target_archE1100ELNS1_3gpuE3ELNS1_3repE0EEENS1_30default_config_static_selectorELNS0_4arch9wavefront6targetE0EEEvS12_ ; -- Begin function _ZN7rocprim17ROCPRIM_400000_NS6detail17trampoline_kernelINS0_13select_configILj256ELj13ELNS0_17block_load_methodE3ELS4_3ELS4_3ELNS0_20block_scan_algorithmE0ELj4294967295EEENS1_25partition_config_selectorILNS1_17partition_subalgoE4EjNS0_10empty_typeEbEEZZNS1_14partition_implILS8_4ELb0ES6_15HIP_vector_typeIjLj2EENS0_17counting_iteratorIjlEEPS9_SG_NS0_5tupleIJPjSI_NS0_16reverse_iteratorISI_EEEEENSH_IJSG_SG_SG_EEES9_SI_JZNS1_25segmented_radix_sort_implINS0_14default_configELb1EPKdPdPKlPlN2at6native12_GLOBAL__N_18offset_tEEE10hipError_tPvRmT1_PNSt15iterator_traitsIS12_E10value_typeET2_T3_PNS13_IS18_E10value_typeET4_jRbjT5_S1E_jjP12ihipStream_tbEUljE_ZNSN_ISO_Lb1ESQ_SR_ST_SU_SY_EESZ_S10_S11_S12_S16_S17_S18_S1B_S1C_jS1D_jS1E_S1E_jjS1G_bEUljE0_EEESZ_S10_S11_S18_S1C_S1E_T6_T7_T9_mT8_S1G_bDpT10_ENKUlT_T0_E_clISt17integral_constantIbLb0EES1U_EEDaS1P_S1Q_EUlS1P_E_NS1_11comp_targetILNS1_3genE9ELNS1_11target_archE1100ELNS1_3gpuE3ELNS1_3repE0EEENS1_30default_config_static_selectorELNS0_4arch9wavefront6targetE0EEEvS12_
	.p2align	8
	.type	_ZN7rocprim17ROCPRIM_400000_NS6detail17trampoline_kernelINS0_13select_configILj256ELj13ELNS0_17block_load_methodE3ELS4_3ELS4_3ELNS0_20block_scan_algorithmE0ELj4294967295EEENS1_25partition_config_selectorILNS1_17partition_subalgoE4EjNS0_10empty_typeEbEEZZNS1_14partition_implILS8_4ELb0ES6_15HIP_vector_typeIjLj2EENS0_17counting_iteratorIjlEEPS9_SG_NS0_5tupleIJPjSI_NS0_16reverse_iteratorISI_EEEEENSH_IJSG_SG_SG_EEES9_SI_JZNS1_25segmented_radix_sort_implINS0_14default_configELb1EPKdPdPKlPlN2at6native12_GLOBAL__N_18offset_tEEE10hipError_tPvRmT1_PNSt15iterator_traitsIS12_E10value_typeET2_T3_PNS13_IS18_E10value_typeET4_jRbjT5_S1E_jjP12ihipStream_tbEUljE_ZNSN_ISO_Lb1ESQ_SR_ST_SU_SY_EESZ_S10_S11_S12_S16_S17_S18_S1B_S1C_jS1D_jS1E_S1E_jjS1G_bEUljE0_EEESZ_S10_S11_S18_S1C_S1E_T6_T7_T9_mT8_S1G_bDpT10_ENKUlT_T0_E_clISt17integral_constantIbLb0EES1U_EEDaS1P_S1Q_EUlS1P_E_NS1_11comp_targetILNS1_3genE9ELNS1_11target_archE1100ELNS1_3gpuE3ELNS1_3repE0EEENS1_30default_config_static_selectorELNS0_4arch9wavefront6targetE0EEEvS12_,@function
_ZN7rocprim17ROCPRIM_400000_NS6detail17trampoline_kernelINS0_13select_configILj256ELj13ELNS0_17block_load_methodE3ELS4_3ELS4_3ELNS0_20block_scan_algorithmE0ELj4294967295EEENS1_25partition_config_selectorILNS1_17partition_subalgoE4EjNS0_10empty_typeEbEEZZNS1_14partition_implILS8_4ELb0ES6_15HIP_vector_typeIjLj2EENS0_17counting_iteratorIjlEEPS9_SG_NS0_5tupleIJPjSI_NS0_16reverse_iteratorISI_EEEEENSH_IJSG_SG_SG_EEES9_SI_JZNS1_25segmented_radix_sort_implINS0_14default_configELb1EPKdPdPKlPlN2at6native12_GLOBAL__N_18offset_tEEE10hipError_tPvRmT1_PNSt15iterator_traitsIS12_E10value_typeET2_T3_PNS13_IS18_E10value_typeET4_jRbjT5_S1E_jjP12ihipStream_tbEUljE_ZNSN_ISO_Lb1ESQ_SR_ST_SU_SY_EESZ_S10_S11_S12_S16_S17_S18_S1B_S1C_jS1D_jS1E_S1E_jjS1G_bEUljE0_EEESZ_S10_S11_S18_S1C_S1E_T6_T7_T9_mT8_S1G_bDpT10_ENKUlT_T0_E_clISt17integral_constantIbLb0EES1U_EEDaS1P_S1Q_EUlS1P_E_NS1_11comp_targetILNS1_3genE9ELNS1_11target_archE1100ELNS1_3gpuE3ELNS1_3repE0EEENS1_30default_config_static_selectorELNS0_4arch9wavefront6targetE0EEEvS12_: ; @_ZN7rocprim17ROCPRIM_400000_NS6detail17trampoline_kernelINS0_13select_configILj256ELj13ELNS0_17block_load_methodE3ELS4_3ELS4_3ELNS0_20block_scan_algorithmE0ELj4294967295EEENS1_25partition_config_selectorILNS1_17partition_subalgoE4EjNS0_10empty_typeEbEEZZNS1_14partition_implILS8_4ELb0ES6_15HIP_vector_typeIjLj2EENS0_17counting_iteratorIjlEEPS9_SG_NS0_5tupleIJPjSI_NS0_16reverse_iteratorISI_EEEEENSH_IJSG_SG_SG_EEES9_SI_JZNS1_25segmented_radix_sort_implINS0_14default_configELb1EPKdPdPKlPlN2at6native12_GLOBAL__N_18offset_tEEE10hipError_tPvRmT1_PNSt15iterator_traitsIS12_E10value_typeET2_T3_PNS13_IS18_E10value_typeET4_jRbjT5_S1E_jjP12ihipStream_tbEUljE_ZNSN_ISO_Lb1ESQ_SR_ST_SU_SY_EESZ_S10_S11_S12_S16_S17_S18_S1B_S1C_jS1D_jS1E_S1E_jjS1G_bEUljE0_EEESZ_S10_S11_S18_S1C_S1E_T6_T7_T9_mT8_S1G_bDpT10_ENKUlT_T0_E_clISt17integral_constantIbLb0EES1U_EEDaS1P_S1Q_EUlS1P_E_NS1_11comp_targetILNS1_3genE9ELNS1_11target_archE1100ELNS1_3gpuE3ELNS1_3repE0EEENS1_30default_config_static_selectorELNS0_4arch9wavefront6targetE0EEEvS12_
; %bb.0:
	.section	.rodata,"a",@progbits
	.p2align	6, 0x0
	.amdhsa_kernel _ZN7rocprim17ROCPRIM_400000_NS6detail17trampoline_kernelINS0_13select_configILj256ELj13ELNS0_17block_load_methodE3ELS4_3ELS4_3ELNS0_20block_scan_algorithmE0ELj4294967295EEENS1_25partition_config_selectorILNS1_17partition_subalgoE4EjNS0_10empty_typeEbEEZZNS1_14partition_implILS8_4ELb0ES6_15HIP_vector_typeIjLj2EENS0_17counting_iteratorIjlEEPS9_SG_NS0_5tupleIJPjSI_NS0_16reverse_iteratorISI_EEEEENSH_IJSG_SG_SG_EEES9_SI_JZNS1_25segmented_radix_sort_implINS0_14default_configELb1EPKdPdPKlPlN2at6native12_GLOBAL__N_18offset_tEEE10hipError_tPvRmT1_PNSt15iterator_traitsIS12_E10value_typeET2_T3_PNS13_IS18_E10value_typeET4_jRbjT5_S1E_jjP12ihipStream_tbEUljE_ZNSN_ISO_Lb1ESQ_SR_ST_SU_SY_EESZ_S10_S11_S12_S16_S17_S18_S1B_S1C_jS1D_jS1E_S1E_jjS1G_bEUljE0_EEESZ_S10_S11_S18_S1C_S1E_T6_T7_T9_mT8_S1G_bDpT10_ENKUlT_T0_E_clISt17integral_constantIbLb0EES1U_EEDaS1P_S1Q_EUlS1P_E_NS1_11comp_targetILNS1_3genE9ELNS1_11target_archE1100ELNS1_3gpuE3ELNS1_3repE0EEENS1_30default_config_static_selectorELNS0_4arch9wavefront6targetE0EEEvS12_
		.amdhsa_group_segment_fixed_size 0
		.amdhsa_private_segment_fixed_size 0
		.amdhsa_kernarg_size 176
		.amdhsa_user_sgpr_count 2
		.amdhsa_user_sgpr_dispatch_ptr 0
		.amdhsa_user_sgpr_queue_ptr 0
		.amdhsa_user_sgpr_kernarg_segment_ptr 1
		.amdhsa_user_sgpr_dispatch_id 0
		.amdhsa_user_sgpr_private_segment_size 0
		.amdhsa_wavefront_size32 1
		.amdhsa_uses_dynamic_stack 0
		.amdhsa_enable_private_segment 0
		.amdhsa_system_sgpr_workgroup_id_x 1
		.amdhsa_system_sgpr_workgroup_id_y 0
		.amdhsa_system_sgpr_workgroup_id_z 0
		.amdhsa_system_sgpr_workgroup_info 0
		.amdhsa_system_vgpr_workitem_id 0
		.amdhsa_next_free_vgpr 1
		.amdhsa_next_free_sgpr 1
		.amdhsa_reserve_vcc 0
		.amdhsa_float_round_mode_32 0
		.amdhsa_float_round_mode_16_64 0
		.amdhsa_float_denorm_mode_32 3
		.amdhsa_float_denorm_mode_16_64 3
		.amdhsa_fp16_overflow 0
		.amdhsa_workgroup_processor_mode 1
		.amdhsa_memory_ordered 1
		.amdhsa_forward_progress 1
		.amdhsa_inst_pref_size 0
		.amdhsa_round_robin_scheduling 0
		.amdhsa_exception_fp_ieee_invalid_op 0
		.amdhsa_exception_fp_denorm_src 0
		.amdhsa_exception_fp_ieee_div_zero 0
		.amdhsa_exception_fp_ieee_overflow 0
		.amdhsa_exception_fp_ieee_underflow 0
		.amdhsa_exception_fp_ieee_inexact 0
		.amdhsa_exception_int_div_zero 0
	.end_amdhsa_kernel
	.section	.text._ZN7rocprim17ROCPRIM_400000_NS6detail17trampoline_kernelINS0_13select_configILj256ELj13ELNS0_17block_load_methodE3ELS4_3ELS4_3ELNS0_20block_scan_algorithmE0ELj4294967295EEENS1_25partition_config_selectorILNS1_17partition_subalgoE4EjNS0_10empty_typeEbEEZZNS1_14partition_implILS8_4ELb0ES6_15HIP_vector_typeIjLj2EENS0_17counting_iteratorIjlEEPS9_SG_NS0_5tupleIJPjSI_NS0_16reverse_iteratorISI_EEEEENSH_IJSG_SG_SG_EEES9_SI_JZNS1_25segmented_radix_sort_implINS0_14default_configELb1EPKdPdPKlPlN2at6native12_GLOBAL__N_18offset_tEEE10hipError_tPvRmT1_PNSt15iterator_traitsIS12_E10value_typeET2_T3_PNS13_IS18_E10value_typeET4_jRbjT5_S1E_jjP12ihipStream_tbEUljE_ZNSN_ISO_Lb1ESQ_SR_ST_SU_SY_EESZ_S10_S11_S12_S16_S17_S18_S1B_S1C_jS1D_jS1E_S1E_jjS1G_bEUljE0_EEESZ_S10_S11_S18_S1C_S1E_T6_T7_T9_mT8_S1G_bDpT10_ENKUlT_T0_E_clISt17integral_constantIbLb0EES1U_EEDaS1P_S1Q_EUlS1P_E_NS1_11comp_targetILNS1_3genE9ELNS1_11target_archE1100ELNS1_3gpuE3ELNS1_3repE0EEENS1_30default_config_static_selectorELNS0_4arch9wavefront6targetE0EEEvS12_,"axG",@progbits,_ZN7rocprim17ROCPRIM_400000_NS6detail17trampoline_kernelINS0_13select_configILj256ELj13ELNS0_17block_load_methodE3ELS4_3ELS4_3ELNS0_20block_scan_algorithmE0ELj4294967295EEENS1_25partition_config_selectorILNS1_17partition_subalgoE4EjNS0_10empty_typeEbEEZZNS1_14partition_implILS8_4ELb0ES6_15HIP_vector_typeIjLj2EENS0_17counting_iteratorIjlEEPS9_SG_NS0_5tupleIJPjSI_NS0_16reverse_iteratorISI_EEEEENSH_IJSG_SG_SG_EEES9_SI_JZNS1_25segmented_radix_sort_implINS0_14default_configELb1EPKdPdPKlPlN2at6native12_GLOBAL__N_18offset_tEEE10hipError_tPvRmT1_PNSt15iterator_traitsIS12_E10value_typeET2_T3_PNS13_IS18_E10value_typeET4_jRbjT5_S1E_jjP12ihipStream_tbEUljE_ZNSN_ISO_Lb1ESQ_SR_ST_SU_SY_EESZ_S10_S11_S12_S16_S17_S18_S1B_S1C_jS1D_jS1E_S1E_jjS1G_bEUljE0_EEESZ_S10_S11_S18_S1C_S1E_T6_T7_T9_mT8_S1G_bDpT10_ENKUlT_T0_E_clISt17integral_constantIbLb0EES1U_EEDaS1P_S1Q_EUlS1P_E_NS1_11comp_targetILNS1_3genE9ELNS1_11target_archE1100ELNS1_3gpuE3ELNS1_3repE0EEENS1_30default_config_static_selectorELNS0_4arch9wavefront6targetE0EEEvS12_,comdat
.Lfunc_end1060:
	.size	_ZN7rocprim17ROCPRIM_400000_NS6detail17trampoline_kernelINS0_13select_configILj256ELj13ELNS0_17block_load_methodE3ELS4_3ELS4_3ELNS0_20block_scan_algorithmE0ELj4294967295EEENS1_25partition_config_selectorILNS1_17partition_subalgoE4EjNS0_10empty_typeEbEEZZNS1_14partition_implILS8_4ELb0ES6_15HIP_vector_typeIjLj2EENS0_17counting_iteratorIjlEEPS9_SG_NS0_5tupleIJPjSI_NS0_16reverse_iteratorISI_EEEEENSH_IJSG_SG_SG_EEES9_SI_JZNS1_25segmented_radix_sort_implINS0_14default_configELb1EPKdPdPKlPlN2at6native12_GLOBAL__N_18offset_tEEE10hipError_tPvRmT1_PNSt15iterator_traitsIS12_E10value_typeET2_T3_PNS13_IS18_E10value_typeET4_jRbjT5_S1E_jjP12ihipStream_tbEUljE_ZNSN_ISO_Lb1ESQ_SR_ST_SU_SY_EESZ_S10_S11_S12_S16_S17_S18_S1B_S1C_jS1D_jS1E_S1E_jjS1G_bEUljE0_EEESZ_S10_S11_S18_S1C_S1E_T6_T7_T9_mT8_S1G_bDpT10_ENKUlT_T0_E_clISt17integral_constantIbLb0EES1U_EEDaS1P_S1Q_EUlS1P_E_NS1_11comp_targetILNS1_3genE9ELNS1_11target_archE1100ELNS1_3gpuE3ELNS1_3repE0EEENS1_30default_config_static_selectorELNS0_4arch9wavefront6targetE0EEEvS12_, .Lfunc_end1060-_ZN7rocprim17ROCPRIM_400000_NS6detail17trampoline_kernelINS0_13select_configILj256ELj13ELNS0_17block_load_methodE3ELS4_3ELS4_3ELNS0_20block_scan_algorithmE0ELj4294967295EEENS1_25partition_config_selectorILNS1_17partition_subalgoE4EjNS0_10empty_typeEbEEZZNS1_14partition_implILS8_4ELb0ES6_15HIP_vector_typeIjLj2EENS0_17counting_iteratorIjlEEPS9_SG_NS0_5tupleIJPjSI_NS0_16reverse_iteratorISI_EEEEENSH_IJSG_SG_SG_EEES9_SI_JZNS1_25segmented_radix_sort_implINS0_14default_configELb1EPKdPdPKlPlN2at6native12_GLOBAL__N_18offset_tEEE10hipError_tPvRmT1_PNSt15iterator_traitsIS12_E10value_typeET2_T3_PNS13_IS18_E10value_typeET4_jRbjT5_S1E_jjP12ihipStream_tbEUljE_ZNSN_ISO_Lb1ESQ_SR_ST_SU_SY_EESZ_S10_S11_S12_S16_S17_S18_S1B_S1C_jS1D_jS1E_S1E_jjS1G_bEUljE0_EEESZ_S10_S11_S18_S1C_S1E_T6_T7_T9_mT8_S1G_bDpT10_ENKUlT_T0_E_clISt17integral_constantIbLb0EES1U_EEDaS1P_S1Q_EUlS1P_E_NS1_11comp_targetILNS1_3genE9ELNS1_11target_archE1100ELNS1_3gpuE3ELNS1_3repE0EEENS1_30default_config_static_selectorELNS0_4arch9wavefront6targetE0EEEvS12_
                                        ; -- End function
	.set _ZN7rocprim17ROCPRIM_400000_NS6detail17trampoline_kernelINS0_13select_configILj256ELj13ELNS0_17block_load_methodE3ELS4_3ELS4_3ELNS0_20block_scan_algorithmE0ELj4294967295EEENS1_25partition_config_selectorILNS1_17partition_subalgoE4EjNS0_10empty_typeEbEEZZNS1_14partition_implILS8_4ELb0ES6_15HIP_vector_typeIjLj2EENS0_17counting_iteratorIjlEEPS9_SG_NS0_5tupleIJPjSI_NS0_16reverse_iteratorISI_EEEEENSH_IJSG_SG_SG_EEES9_SI_JZNS1_25segmented_radix_sort_implINS0_14default_configELb1EPKdPdPKlPlN2at6native12_GLOBAL__N_18offset_tEEE10hipError_tPvRmT1_PNSt15iterator_traitsIS12_E10value_typeET2_T3_PNS13_IS18_E10value_typeET4_jRbjT5_S1E_jjP12ihipStream_tbEUljE_ZNSN_ISO_Lb1ESQ_SR_ST_SU_SY_EESZ_S10_S11_S12_S16_S17_S18_S1B_S1C_jS1D_jS1E_S1E_jjS1G_bEUljE0_EEESZ_S10_S11_S18_S1C_S1E_T6_T7_T9_mT8_S1G_bDpT10_ENKUlT_T0_E_clISt17integral_constantIbLb0EES1U_EEDaS1P_S1Q_EUlS1P_E_NS1_11comp_targetILNS1_3genE9ELNS1_11target_archE1100ELNS1_3gpuE3ELNS1_3repE0EEENS1_30default_config_static_selectorELNS0_4arch9wavefront6targetE0EEEvS12_.num_vgpr, 0
	.set _ZN7rocprim17ROCPRIM_400000_NS6detail17trampoline_kernelINS0_13select_configILj256ELj13ELNS0_17block_load_methodE3ELS4_3ELS4_3ELNS0_20block_scan_algorithmE0ELj4294967295EEENS1_25partition_config_selectorILNS1_17partition_subalgoE4EjNS0_10empty_typeEbEEZZNS1_14partition_implILS8_4ELb0ES6_15HIP_vector_typeIjLj2EENS0_17counting_iteratorIjlEEPS9_SG_NS0_5tupleIJPjSI_NS0_16reverse_iteratorISI_EEEEENSH_IJSG_SG_SG_EEES9_SI_JZNS1_25segmented_radix_sort_implINS0_14default_configELb1EPKdPdPKlPlN2at6native12_GLOBAL__N_18offset_tEEE10hipError_tPvRmT1_PNSt15iterator_traitsIS12_E10value_typeET2_T3_PNS13_IS18_E10value_typeET4_jRbjT5_S1E_jjP12ihipStream_tbEUljE_ZNSN_ISO_Lb1ESQ_SR_ST_SU_SY_EESZ_S10_S11_S12_S16_S17_S18_S1B_S1C_jS1D_jS1E_S1E_jjS1G_bEUljE0_EEESZ_S10_S11_S18_S1C_S1E_T6_T7_T9_mT8_S1G_bDpT10_ENKUlT_T0_E_clISt17integral_constantIbLb0EES1U_EEDaS1P_S1Q_EUlS1P_E_NS1_11comp_targetILNS1_3genE9ELNS1_11target_archE1100ELNS1_3gpuE3ELNS1_3repE0EEENS1_30default_config_static_selectorELNS0_4arch9wavefront6targetE0EEEvS12_.num_agpr, 0
	.set _ZN7rocprim17ROCPRIM_400000_NS6detail17trampoline_kernelINS0_13select_configILj256ELj13ELNS0_17block_load_methodE3ELS4_3ELS4_3ELNS0_20block_scan_algorithmE0ELj4294967295EEENS1_25partition_config_selectorILNS1_17partition_subalgoE4EjNS0_10empty_typeEbEEZZNS1_14partition_implILS8_4ELb0ES6_15HIP_vector_typeIjLj2EENS0_17counting_iteratorIjlEEPS9_SG_NS0_5tupleIJPjSI_NS0_16reverse_iteratorISI_EEEEENSH_IJSG_SG_SG_EEES9_SI_JZNS1_25segmented_radix_sort_implINS0_14default_configELb1EPKdPdPKlPlN2at6native12_GLOBAL__N_18offset_tEEE10hipError_tPvRmT1_PNSt15iterator_traitsIS12_E10value_typeET2_T3_PNS13_IS18_E10value_typeET4_jRbjT5_S1E_jjP12ihipStream_tbEUljE_ZNSN_ISO_Lb1ESQ_SR_ST_SU_SY_EESZ_S10_S11_S12_S16_S17_S18_S1B_S1C_jS1D_jS1E_S1E_jjS1G_bEUljE0_EEESZ_S10_S11_S18_S1C_S1E_T6_T7_T9_mT8_S1G_bDpT10_ENKUlT_T0_E_clISt17integral_constantIbLb0EES1U_EEDaS1P_S1Q_EUlS1P_E_NS1_11comp_targetILNS1_3genE9ELNS1_11target_archE1100ELNS1_3gpuE3ELNS1_3repE0EEENS1_30default_config_static_selectorELNS0_4arch9wavefront6targetE0EEEvS12_.numbered_sgpr, 0
	.set _ZN7rocprim17ROCPRIM_400000_NS6detail17trampoline_kernelINS0_13select_configILj256ELj13ELNS0_17block_load_methodE3ELS4_3ELS4_3ELNS0_20block_scan_algorithmE0ELj4294967295EEENS1_25partition_config_selectorILNS1_17partition_subalgoE4EjNS0_10empty_typeEbEEZZNS1_14partition_implILS8_4ELb0ES6_15HIP_vector_typeIjLj2EENS0_17counting_iteratorIjlEEPS9_SG_NS0_5tupleIJPjSI_NS0_16reverse_iteratorISI_EEEEENSH_IJSG_SG_SG_EEES9_SI_JZNS1_25segmented_radix_sort_implINS0_14default_configELb1EPKdPdPKlPlN2at6native12_GLOBAL__N_18offset_tEEE10hipError_tPvRmT1_PNSt15iterator_traitsIS12_E10value_typeET2_T3_PNS13_IS18_E10value_typeET4_jRbjT5_S1E_jjP12ihipStream_tbEUljE_ZNSN_ISO_Lb1ESQ_SR_ST_SU_SY_EESZ_S10_S11_S12_S16_S17_S18_S1B_S1C_jS1D_jS1E_S1E_jjS1G_bEUljE0_EEESZ_S10_S11_S18_S1C_S1E_T6_T7_T9_mT8_S1G_bDpT10_ENKUlT_T0_E_clISt17integral_constantIbLb0EES1U_EEDaS1P_S1Q_EUlS1P_E_NS1_11comp_targetILNS1_3genE9ELNS1_11target_archE1100ELNS1_3gpuE3ELNS1_3repE0EEENS1_30default_config_static_selectorELNS0_4arch9wavefront6targetE0EEEvS12_.num_named_barrier, 0
	.set _ZN7rocprim17ROCPRIM_400000_NS6detail17trampoline_kernelINS0_13select_configILj256ELj13ELNS0_17block_load_methodE3ELS4_3ELS4_3ELNS0_20block_scan_algorithmE0ELj4294967295EEENS1_25partition_config_selectorILNS1_17partition_subalgoE4EjNS0_10empty_typeEbEEZZNS1_14partition_implILS8_4ELb0ES6_15HIP_vector_typeIjLj2EENS0_17counting_iteratorIjlEEPS9_SG_NS0_5tupleIJPjSI_NS0_16reverse_iteratorISI_EEEEENSH_IJSG_SG_SG_EEES9_SI_JZNS1_25segmented_radix_sort_implINS0_14default_configELb1EPKdPdPKlPlN2at6native12_GLOBAL__N_18offset_tEEE10hipError_tPvRmT1_PNSt15iterator_traitsIS12_E10value_typeET2_T3_PNS13_IS18_E10value_typeET4_jRbjT5_S1E_jjP12ihipStream_tbEUljE_ZNSN_ISO_Lb1ESQ_SR_ST_SU_SY_EESZ_S10_S11_S12_S16_S17_S18_S1B_S1C_jS1D_jS1E_S1E_jjS1G_bEUljE0_EEESZ_S10_S11_S18_S1C_S1E_T6_T7_T9_mT8_S1G_bDpT10_ENKUlT_T0_E_clISt17integral_constantIbLb0EES1U_EEDaS1P_S1Q_EUlS1P_E_NS1_11comp_targetILNS1_3genE9ELNS1_11target_archE1100ELNS1_3gpuE3ELNS1_3repE0EEENS1_30default_config_static_selectorELNS0_4arch9wavefront6targetE0EEEvS12_.private_seg_size, 0
	.set _ZN7rocprim17ROCPRIM_400000_NS6detail17trampoline_kernelINS0_13select_configILj256ELj13ELNS0_17block_load_methodE3ELS4_3ELS4_3ELNS0_20block_scan_algorithmE0ELj4294967295EEENS1_25partition_config_selectorILNS1_17partition_subalgoE4EjNS0_10empty_typeEbEEZZNS1_14partition_implILS8_4ELb0ES6_15HIP_vector_typeIjLj2EENS0_17counting_iteratorIjlEEPS9_SG_NS0_5tupleIJPjSI_NS0_16reverse_iteratorISI_EEEEENSH_IJSG_SG_SG_EEES9_SI_JZNS1_25segmented_radix_sort_implINS0_14default_configELb1EPKdPdPKlPlN2at6native12_GLOBAL__N_18offset_tEEE10hipError_tPvRmT1_PNSt15iterator_traitsIS12_E10value_typeET2_T3_PNS13_IS18_E10value_typeET4_jRbjT5_S1E_jjP12ihipStream_tbEUljE_ZNSN_ISO_Lb1ESQ_SR_ST_SU_SY_EESZ_S10_S11_S12_S16_S17_S18_S1B_S1C_jS1D_jS1E_S1E_jjS1G_bEUljE0_EEESZ_S10_S11_S18_S1C_S1E_T6_T7_T9_mT8_S1G_bDpT10_ENKUlT_T0_E_clISt17integral_constantIbLb0EES1U_EEDaS1P_S1Q_EUlS1P_E_NS1_11comp_targetILNS1_3genE9ELNS1_11target_archE1100ELNS1_3gpuE3ELNS1_3repE0EEENS1_30default_config_static_selectorELNS0_4arch9wavefront6targetE0EEEvS12_.uses_vcc, 0
	.set _ZN7rocprim17ROCPRIM_400000_NS6detail17trampoline_kernelINS0_13select_configILj256ELj13ELNS0_17block_load_methodE3ELS4_3ELS4_3ELNS0_20block_scan_algorithmE0ELj4294967295EEENS1_25partition_config_selectorILNS1_17partition_subalgoE4EjNS0_10empty_typeEbEEZZNS1_14partition_implILS8_4ELb0ES6_15HIP_vector_typeIjLj2EENS0_17counting_iteratorIjlEEPS9_SG_NS0_5tupleIJPjSI_NS0_16reverse_iteratorISI_EEEEENSH_IJSG_SG_SG_EEES9_SI_JZNS1_25segmented_radix_sort_implINS0_14default_configELb1EPKdPdPKlPlN2at6native12_GLOBAL__N_18offset_tEEE10hipError_tPvRmT1_PNSt15iterator_traitsIS12_E10value_typeET2_T3_PNS13_IS18_E10value_typeET4_jRbjT5_S1E_jjP12ihipStream_tbEUljE_ZNSN_ISO_Lb1ESQ_SR_ST_SU_SY_EESZ_S10_S11_S12_S16_S17_S18_S1B_S1C_jS1D_jS1E_S1E_jjS1G_bEUljE0_EEESZ_S10_S11_S18_S1C_S1E_T6_T7_T9_mT8_S1G_bDpT10_ENKUlT_T0_E_clISt17integral_constantIbLb0EES1U_EEDaS1P_S1Q_EUlS1P_E_NS1_11comp_targetILNS1_3genE9ELNS1_11target_archE1100ELNS1_3gpuE3ELNS1_3repE0EEENS1_30default_config_static_selectorELNS0_4arch9wavefront6targetE0EEEvS12_.uses_flat_scratch, 0
	.set _ZN7rocprim17ROCPRIM_400000_NS6detail17trampoline_kernelINS0_13select_configILj256ELj13ELNS0_17block_load_methodE3ELS4_3ELS4_3ELNS0_20block_scan_algorithmE0ELj4294967295EEENS1_25partition_config_selectorILNS1_17partition_subalgoE4EjNS0_10empty_typeEbEEZZNS1_14partition_implILS8_4ELb0ES6_15HIP_vector_typeIjLj2EENS0_17counting_iteratorIjlEEPS9_SG_NS0_5tupleIJPjSI_NS0_16reverse_iteratorISI_EEEEENSH_IJSG_SG_SG_EEES9_SI_JZNS1_25segmented_radix_sort_implINS0_14default_configELb1EPKdPdPKlPlN2at6native12_GLOBAL__N_18offset_tEEE10hipError_tPvRmT1_PNSt15iterator_traitsIS12_E10value_typeET2_T3_PNS13_IS18_E10value_typeET4_jRbjT5_S1E_jjP12ihipStream_tbEUljE_ZNSN_ISO_Lb1ESQ_SR_ST_SU_SY_EESZ_S10_S11_S12_S16_S17_S18_S1B_S1C_jS1D_jS1E_S1E_jjS1G_bEUljE0_EEESZ_S10_S11_S18_S1C_S1E_T6_T7_T9_mT8_S1G_bDpT10_ENKUlT_T0_E_clISt17integral_constantIbLb0EES1U_EEDaS1P_S1Q_EUlS1P_E_NS1_11comp_targetILNS1_3genE9ELNS1_11target_archE1100ELNS1_3gpuE3ELNS1_3repE0EEENS1_30default_config_static_selectorELNS0_4arch9wavefront6targetE0EEEvS12_.has_dyn_sized_stack, 0
	.set _ZN7rocprim17ROCPRIM_400000_NS6detail17trampoline_kernelINS0_13select_configILj256ELj13ELNS0_17block_load_methodE3ELS4_3ELS4_3ELNS0_20block_scan_algorithmE0ELj4294967295EEENS1_25partition_config_selectorILNS1_17partition_subalgoE4EjNS0_10empty_typeEbEEZZNS1_14partition_implILS8_4ELb0ES6_15HIP_vector_typeIjLj2EENS0_17counting_iteratorIjlEEPS9_SG_NS0_5tupleIJPjSI_NS0_16reverse_iteratorISI_EEEEENSH_IJSG_SG_SG_EEES9_SI_JZNS1_25segmented_radix_sort_implINS0_14default_configELb1EPKdPdPKlPlN2at6native12_GLOBAL__N_18offset_tEEE10hipError_tPvRmT1_PNSt15iterator_traitsIS12_E10value_typeET2_T3_PNS13_IS18_E10value_typeET4_jRbjT5_S1E_jjP12ihipStream_tbEUljE_ZNSN_ISO_Lb1ESQ_SR_ST_SU_SY_EESZ_S10_S11_S12_S16_S17_S18_S1B_S1C_jS1D_jS1E_S1E_jjS1G_bEUljE0_EEESZ_S10_S11_S18_S1C_S1E_T6_T7_T9_mT8_S1G_bDpT10_ENKUlT_T0_E_clISt17integral_constantIbLb0EES1U_EEDaS1P_S1Q_EUlS1P_E_NS1_11comp_targetILNS1_3genE9ELNS1_11target_archE1100ELNS1_3gpuE3ELNS1_3repE0EEENS1_30default_config_static_selectorELNS0_4arch9wavefront6targetE0EEEvS12_.has_recursion, 0
	.set _ZN7rocprim17ROCPRIM_400000_NS6detail17trampoline_kernelINS0_13select_configILj256ELj13ELNS0_17block_load_methodE3ELS4_3ELS4_3ELNS0_20block_scan_algorithmE0ELj4294967295EEENS1_25partition_config_selectorILNS1_17partition_subalgoE4EjNS0_10empty_typeEbEEZZNS1_14partition_implILS8_4ELb0ES6_15HIP_vector_typeIjLj2EENS0_17counting_iteratorIjlEEPS9_SG_NS0_5tupleIJPjSI_NS0_16reverse_iteratorISI_EEEEENSH_IJSG_SG_SG_EEES9_SI_JZNS1_25segmented_radix_sort_implINS0_14default_configELb1EPKdPdPKlPlN2at6native12_GLOBAL__N_18offset_tEEE10hipError_tPvRmT1_PNSt15iterator_traitsIS12_E10value_typeET2_T3_PNS13_IS18_E10value_typeET4_jRbjT5_S1E_jjP12ihipStream_tbEUljE_ZNSN_ISO_Lb1ESQ_SR_ST_SU_SY_EESZ_S10_S11_S12_S16_S17_S18_S1B_S1C_jS1D_jS1E_S1E_jjS1G_bEUljE0_EEESZ_S10_S11_S18_S1C_S1E_T6_T7_T9_mT8_S1G_bDpT10_ENKUlT_T0_E_clISt17integral_constantIbLb0EES1U_EEDaS1P_S1Q_EUlS1P_E_NS1_11comp_targetILNS1_3genE9ELNS1_11target_archE1100ELNS1_3gpuE3ELNS1_3repE0EEENS1_30default_config_static_selectorELNS0_4arch9wavefront6targetE0EEEvS12_.has_indirect_call, 0
	.section	.AMDGPU.csdata,"",@progbits
; Kernel info:
; codeLenInByte = 0
; TotalNumSgprs: 0
; NumVgprs: 0
; ScratchSize: 0
; MemoryBound: 0
; FloatMode: 240
; IeeeMode: 1
; LDSByteSize: 0 bytes/workgroup (compile time only)
; SGPRBlocks: 0
; VGPRBlocks: 0
; NumSGPRsForWavesPerEU: 1
; NumVGPRsForWavesPerEU: 1
; Occupancy: 16
; WaveLimiterHint : 0
; COMPUTE_PGM_RSRC2:SCRATCH_EN: 0
; COMPUTE_PGM_RSRC2:USER_SGPR: 2
; COMPUTE_PGM_RSRC2:TRAP_HANDLER: 0
; COMPUTE_PGM_RSRC2:TGID_X_EN: 1
; COMPUTE_PGM_RSRC2:TGID_Y_EN: 0
; COMPUTE_PGM_RSRC2:TGID_Z_EN: 0
; COMPUTE_PGM_RSRC2:TIDIG_COMP_CNT: 0
	.section	.text._ZN7rocprim17ROCPRIM_400000_NS6detail17trampoline_kernelINS0_13select_configILj256ELj13ELNS0_17block_load_methodE3ELS4_3ELS4_3ELNS0_20block_scan_algorithmE0ELj4294967295EEENS1_25partition_config_selectorILNS1_17partition_subalgoE4EjNS0_10empty_typeEbEEZZNS1_14partition_implILS8_4ELb0ES6_15HIP_vector_typeIjLj2EENS0_17counting_iteratorIjlEEPS9_SG_NS0_5tupleIJPjSI_NS0_16reverse_iteratorISI_EEEEENSH_IJSG_SG_SG_EEES9_SI_JZNS1_25segmented_radix_sort_implINS0_14default_configELb1EPKdPdPKlPlN2at6native12_GLOBAL__N_18offset_tEEE10hipError_tPvRmT1_PNSt15iterator_traitsIS12_E10value_typeET2_T3_PNS13_IS18_E10value_typeET4_jRbjT5_S1E_jjP12ihipStream_tbEUljE_ZNSN_ISO_Lb1ESQ_SR_ST_SU_SY_EESZ_S10_S11_S12_S16_S17_S18_S1B_S1C_jS1D_jS1E_S1E_jjS1G_bEUljE0_EEESZ_S10_S11_S18_S1C_S1E_T6_T7_T9_mT8_S1G_bDpT10_ENKUlT_T0_E_clISt17integral_constantIbLb0EES1U_EEDaS1P_S1Q_EUlS1P_E_NS1_11comp_targetILNS1_3genE8ELNS1_11target_archE1030ELNS1_3gpuE2ELNS1_3repE0EEENS1_30default_config_static_selectorELNS0_4arch9wavefront6targetE0EEEvS12_,"axG",@progbits,_ZN7rocprim17ROCPRIM_400000_NS6detail17trampoline_kernelINS0_13select_configILj256ELj13ELNS0_17block_load_methodE3ELS4_3ELS4_3ELNS0_20block_scan_algorithmE0ELj4294967295EEENS1_25partition_config_selectorILNS1_17partition_subalgoE4EjNS0_10empty_typeEbEEZZNS1_14partition_implILS8_4ELb0ES6_15HIP_vector_typeIjLj2EENS0_17counting_iteratorIjlEEPS9_SG_NS0_5tupleIJPjSI_NS0_16reverse_iteratorISI_EEEEENSH_IJSG_SG_SG_EEES9_SI_JZNS1_25segmented_radix_sort_implINS0_14default_configELb1EPKdPdPKlPlN2at6native12_GLOBAL__N_18offset_tEEE10hipError_tPvRmT1_PNSt15iterator_traitsIS12_E10value_typeET2_T3_PNS13_IS18_E10value_typeET4_jRbjT5_S1E_jjP12ihipStream_tbEUljE_ZNSN_ISO_Lb1ESQ_SR_ST_SU_SY_EESZ_S10_S11_S12_S16_S17_S18_S1B_S1C_jS1D_jS1E_S1E_jjS1G_bEUljE0_EEESZ_S10_S11_S18_S1C_S1E_T6_T7_T9_mT8_S1G_bDpT10_ENKUlT_T0_E_clISt17integral_constantIbLb0EES1U_EEDaS1P_S1Q_EUlS1P_E_NS1_11comp_targetILNS1_3genE8ELNS1_11target_archE1030ELNS1_3gpuE2ELNS1_3repE0EEENS1_30default_config_static_selectorELNS0_4arch9wavefront6targetE0EEEvS12_,comdat
	.globl	_ZN7rocprim17ROCPRIM_400000_NS6detail17trampoline_kernelINS0_13select_configILj256ELj13ELNS0_17block_load_methodE3ELS4_3ELS4_3ELNS0_20block_scan_algorithmE0ELj4294967295EEENS1_25partition_config_selectorILNS1_17partition_subalgoE4EjNS0_10empty_typeEbEEZZNS1_14partition_implILS8_4ELb0ES6_15HIP_vector_typeIjLj2EENS0_17counting_iteratorIjlEEPS9_SG_NS0_5tupleIJPjSI_NS0_16reverse_iteratorISI_EEEEENSH_IJSG_SG_SG_EEES9_SI_JZNS1_25segmented_radix_sort_implINS0_14default_configELb1EPKdPdPKlPlN2at6native12_GLOBAL__N_18offset_tEEE10hipError_tPvRmT1_PNSt15iterator_traitsIS12_E10value_typeET2_T3_PNS13_IS18_E10value_typeET4_jRbjT5_S1E_jjP12ihipStream_tbEUljE_ZNSN_ISO_Lb1ESQ_SR_ST_SU_SY_EESZ_S10_S11_S12_S16_S17_S18_S1B_S1C_jS1D_jS1E_S1E_jjS1G_bEUljE0_EEESZ_S10_S11_S18_S1C_S1E_T6_T7_T9_mT8_S1G_bDpT10_ENKUlT_T0_E_clISt17integral_constantIbLb0EES1U_EEDaS1P_S1Q_EUlS1P_E_NS1_11comp_targetILNS1_3genE8ELNS1_11target_archE1030ELNS1_3gpuE2ELNS1_3repE0EEENS1_30default_config_static_selectorELNS0_4arch9wavefront6targetE0EEEvS12_ ; -- Begin function _ZN7rocprim17ROCPRIM_400000_NS6detail17trampoline_kernelINS0_13select_configILj256ELj13ELNS0_17block_load_methodE3ELS4_3ELS4_3ELNS0_20block_scan_algorithmE0ELj4294967295EEENS1_25partition_config_selectorILNS1_17partition_subalgoE4EjNS0_10empty_typeEbEEZZNS1_14partition_implILS8_4ELb0ES6_15HIP_vector_typeIjLj2EENS0_17counting_iteratorIjlEEPS9_SG_NS0_5tupleIJPjSI_NS0_16reverse_iteratorISI_EEEEENSH_IJSG_SG_SG_EEES9_SI_JZNS1_25segmented_radix_sort_implINS0_14default_configELb1EPKdPdPKlPlN2at6native12_GLOBAL__N_18offset_tEEE10hipError_tPvRmT1_PNSt15iterator_traitsIS12_E10value_typeET2_T3_PNS13_IS18_E10value_typeET4_jRbjT5_S1E_jjP12ihipStream_tbEUljE_ZNSN_ISO_Lb1ESQ_SR_ST_SU_SY_EESZ_S10_S11_S12_S16_S17_S18_S1B_S1C_jS1D_jS1E_S1E_jjS1G_bEUljE0_EEESZ_S10_S11_S18_S1C_S1E_T6_T7_T9_mT8_S1G_bDpT10_ENKUlT_T0_E_clISt17integral_constantIbLb0EES1U_EEDaS1P_S1Q_EUlS1P_E_NS1_11comp_targetILNS1_3genE8ELNS1_11target_archE1030ELNS1_3gpuE2ELNS1_3repE0EEENS1_30default_config_static_selectorELNS0_4arch9wavefront6targetE0EEEvS12_
	.p2align	8
	.type	_ZN7rocprim17ROCPRIM_400000_NS6detail17trampoline_kernelINS0_13select_configILj256ELj13ELNS0_17block_load_methodE3ELS4_3ELS4_3ELNS0_20block_scan_algorithmE0ELj4294967295EEENS1_25partition_config_selectorILNS1_17partition_subalgoE4EjNS0_10empty_typeEbEEZZNS1_14partition_implILS8_4ELb0ES6_15HIP_vector_typeIjLj2EENS0_17counting_iteratorIjlEEPS9_SG_NS0_5tupleIJPjSI_NS0_16reverse_iteratorISI_EEEEENSH_IJSG_SG_SG_EEES9_SI_JZNS1_25segmented_radix_sort_implINS0_14default_configELb1EPKdPdPKlPlN2at6native12_GLOBAL__N_18offset_tEEE10hipError_tPvRmT1_PNSt15iterator_traitsIS12_E10value_typeET2_T3_PNS13_IS18_E10value_typeET4_jRbjT5_S1E_jjP12ihipStream_tbEUljE_ZNSN_ISO_Lb1ESQ_SR_ST_SU_SY_EESZ_S10_S11_S12_S16_S17_S18_S1B_S1C_jS1D_jS1E_S1E_jjS1G_bEUljE0_EEESZ_S10_S11_S18_S1C_S1E_T6_T7_T9_mT8_S1G_bDpT10_ENKUlT_T0_E_clISt17integral_constantIbLb0EES1U_EEDaS1P_S1Q_EUlS1P_E_NS1_11comp_targetILNS1_3genE8ELNS1_11target_archE1030ELNS1_3gpuE2ELNS1_3repE0EEENS1_30default_config_static_selectorELNS0_4arch9wavefront6targetE0EEEvS12_,@function
_ZN7rocprim17ROCPRIM_400000_NS6detail17trampoline_kernelINS0_13select_configILj256ELj13ELNS0_17block_load_methodE3ELS4_3ELS4_3ELNS0_20block_scan_algorithmE0ELj4294967295EEENS1_25partition_config_selectorILNS1_17partition_subalgoE4EjNS0_10empty_typeEbEEZZNS1_14partition_implILS8_4ELb0ES6_15HIP_vector_typeIjLj2EENS0_17counting_iteratorIjlEEPS9_SG_NS0_5tupleIJPjSI_NS0_16reverse_iteratorISI_EEEEENSH_IJSG_SG_SG_EEES9_SI_JZNS1_25segmented_radix_sort_implINS0_14default_configELb1EPKdPdPKlPlN2at6native12_GLOBAL__N_18offset_tEEE10hipError_tPvRmT1_PNSt15iterator_traitsIS12_E10value_typeET2_T3_PNS13_IS18_E10value_typeET4_jRbjT5_S1E_jjP12ihipStream_tbEUljE_ZNSN_ISO_Lb1ESQ_SR_ST_SU_SY_EESZ_S10_S11_S12_S16_S17_S18_S1B_S1C_jS1D_jS1E_S1E_jjS1G_bEUljE0_EEESZ_S10_S11_S18_S1C_S1E_T6_T7_T9_mT8_S1G_bDpT10_ENKUlT_T0_E_clISt17integral_constantIbLb0EES1U_EEDaS1P_S1Q_EUlS1P_E_NS1_11comp_targetILNS1_3genE8ELNS1_11target_archE1030ELNS1_3gpuE2ELNS1_3repE0EEENS1_30default_config_static_selectorELNS0_4arch9wavefront6targetE0EEEvS12_: ; @_ZN7rocprim17ROCPRIM_400000_NS6detail17trampoline_kernelINS0_13select_configILj256ELj13ELNS0_17block_load_methodE3ELS4_3ELS4_3ELNS0_20block_scan_algorithmE0ELj4294967295EEENS1_25partition_config_selectorILNS1_17partition_subalgoE4EjNS0_10empty_typeEbEEZZNS1_14partition_implILS8_4ELb0ES6_15HIP_vector_typeIjLj2EENS0_17counting_iteratorIjlEEPS9_SG_NS0_5tupleIJPjSI_NS0_16reverse_iteratorISI_EEEEENSH_IJSG_SG_SG_EEES9_SI_JZNS1_25segmented_radix_sort_implINS0_14default_configELb1EPKdPdPKlPlN2at6native12_GLOBAL__N_18offset_tEEE10hipError_tPvRmT1_PNSt15iterator_traitsIS12_E10value_typeET2_T3_PNS13_IS18_E10value_typeET4_jRbjT5_S1E_jjP12ihipStream_tbEUljE_ZNSN_ISO_Lb1ESQ_SR_ST_SU_SY_EESZ_S10_S11_S12_S16_S17_S18_S1B_S1C_jS1D_jS1E_S1E_jjS1G_bEUljE0_EEESZ_S10_S11_S18_S1C_S1E_T6_T7_T9_mT8_S1G_bDpT10_ENKUlT_T0_E_clISt17integral_constantIbLb0EES1U_EEDaS1P_S1Q_EUlS1P_E_NS1_11comp_targetILNS1_3genE8ELNS1_11target_archE1030ELNS1_3gpuE2ELNS1_3repE0EEENS1_30default_config_static_selectorELNS0_4arch9wavefront6targetE0EEEvS12_
; %bb.0:
	.section	.rodata,"a",@progbits
	.p2align	6, 0x0
	.amdhsa_kernel _ZN7rocprim17ROCPRIM_400000_NS6detail17trampoline_kernelINS0_13select_configILj256ELj13ELNS0_17block_load_methodE3ELS4_3ELS4_3ELNS0_20block_scan_algorithmE0ELj4294967295EEENS1_25partition_config_selectorILNS1_17partition_subalgoE4EjNS0_10empty_typeEbEEZZNS1_14partition_implILS8_4ELb0ES6_15HIP_vector_typeIjLj2EENS0_17counting_iteratorIjlEEPS9_SG_NS0_5tupleIJPjSI_NS0_16reverse_iteratorISI_EEEEENSH_IJSG_SG_SG_EEES9_SI_JZNS1_25segmented_radix_sort_implINS0_14default_configELb1EPKdPdPKlPlN2at6native12_GLOBAL__N_18offset_tEEE10hipError_tPvRmT1_PNSt15iterator_traitsIS12_E10value_typeET2_T3_PNS13_IS18_E10value_typeET4_jRbjT5_S1E_jjP12ihipStream_tbEUljE_ZNSN_ISO_Lb1ESQ_SR_ST_SU_SY_EESZ_S10_S11_S12_S16_S17_S18_S1B_S1C_jS1D_jS1E_S1E_jjS1G_bEUljE0_EEESZ_S10_S11_S18_S1C_S1E_T6_T7_T9_mT8_S1G_bDpT10_ENKUlT_T0_E_clISt17integral_constantIbLb0EES1U_EEDaS1P_S1Q_EUlS1P_E_NS1_11comp_targetILNS1_3genE8ELNS1_11target_archE1030ELNS1_3gpuE2ELNS1_3repE0EEENS1_30default_config_static_selectorELNS0_4arch9wavefront6targetE0EEEvS12_
		.amdhsa_group_segment_fixed_size 0
		.amdhsa_private_segment_fixed_size 0
		.amdhsa_kernarg_size 176
		.amdhsa_user_sgpr_count 2
		.amdhsa_user_sgpr_dispatch_ptr 0
		.amdhsa_user_sgpr_queue_ptr 0
		.amdhsa_user_sgpr_kernarg_segment_ptr 1
		.amdhsa_user_sgpr_dispatch_id 0
		.amdhsa_user_sgpr_private_segment_size 0
		.amdhsa_wavefront_size32 1
		.amdhsa_uses_dynamic_stack 0
		.amdhsa_enable_private_segment 0
		.amdhsa_system_sgpr_workgroup_id_x 1
		.amdhsa_system_sgpr_workgroup_id_y 0
		.amdhsa_system_sgpr_workgroup_id_z 0
		.amdhsa_system_sgpr_workgroup_info 0
		.amdhsa_system_vgpr_workitem_id 0
		.amdhsa_next_free_vgpr 1
		.amdhsa_next_free_sgpr 1
		.amdhsa_reserve_vcc 0
		.amdhsa_float_round_mode_32 0
		.amdhsa_float_round_mode_16_64 0
		.amdhsa_float_denorm_mode_32 3
		.amdhsa_float_denorm_mode_16_64 3
		.amdhsa_fp16_overflow 0
		.amdhsa_workgroup_processor_mode 1
		.amdhsa_memory_ordered 1
		.amdhsa_forward_progress 1
		.amdhsa_inst_pref_size 0
		.amdhsa_round_robin_scheduling 0
		.amdhsa_exception_fp_ieee_invalid_op 0
		.amdhsa_exception_fp_denorm_src 0
		.amdhsa_exception_fp_ieee_div_zero 0
		.amdhsa_exception_fp_ieee_overflow 0
		.amdhsa_exception_fp_ieee_underflow 0
		.amdhsa_exception_fp_ieee_inexact 0
		.amdhsa_exception_int_div_zero 0
	.end_amdhsa_kernel
	.section	.text._ZN7rocprim17ROCPRIM_400000_NS6detail17trampoline_kernelINS0_13select_configILj256ELj13ELNS0_17block_load_methodE3ELS4_3ELS4_3ELNS0_20block_scan_algorithmE0ELj4294967295EEENS1_25partition_config_selectorILNS1_17partition_subalgoE4EjNS0_10empty_typeEbEEZZNS1_14partition_implILS8_4ELb0ES6_15HIP_vector_typeIjLj2EENS0_17counting_iteratorIjlEEPS9_SG_NS0_5tupleIJPjSI_NS0_16reverse_iteratorISI_EEEEENSH_IJSG_SG_SG_EEES9_SI_JZNS1_25segmented_radix_sort_implINS0_14default_configELb1EPKdPdPKlPlN2at6native12_GLOBAL__N_18offset_tEEE10hipError_tPvRmT1_PNSt15iterator_traitsIS12_E10value_typeET2_T3_PNS13_IS18_E10value_typeET4_jRbjT5_S1E_jjP12ihipStream_tbEUljE_ZNSN_ISO_Lb1ESQ_SR_ST_SU_SY_EESZ_S10_S11_S12_S16_S17_S18_S1B_S1C_jS1D_jS1E_S1E_jjS1G_bEUljE0_EEESZ_S10_S11_S18_S1C_S1E_T6_T7_T9_mT8_S1G_bDpT10_ENKUlT_T0_E_clISt17integral_constantIbLb0EES1U_EEDaS1P_S1Q_EUlS1P_E_NS1_11comp_targetILNS1_3genE8ELNS1_11target_archE1030ELNS1_3gpuE2ELNS1_3repE0EEENS1_30default_config_static_selectorELNS0_4arch9wavefront6targetE0EEEvS12_,"axG",@progbits,_ZN7rocprim17ROCPRIM_400000_NS6detail17trampoline_kernelINS0_13select_configILj256ELj13ELNS0_17block_load_methodE3ELS4_3ELS4_3ELNS0_20block_scan_algorithmE0ELj4294967295EEENS1_25partition_config_selectorILNS1_17partition_subalgoE4EjNS0_10empty_typeEbEEZZNS1_14partition_implILS8_4ELb0ES6_15HIP_vector_typeIjLj2EENS0_17counting_iteratorIjlEEPS9_SG_NS0_5tupleIJPjSI_NS0_16reverse_iteratorISI_EEEEENSH_IJSG_SG_SG_EEES9_SI_JZNS1_25segmented_radix_sort_implINS0_14default_configELb1EPKdPdPKlPlN2at6native12_GLOBAL__N_18offset_tEEE10hipError_tPvRmT1_PNSt15iterator_traitsIS12_E10value_typeET2_T3_PNS13_IS18_E10value_typeET4_jRbjT5_S1E_jjP12ihipStream_tbEUljE_ZNSN_ISO_Lb1ESQ_SR_ST_SU_SY_EESZ_S10_S11_S12_S16_S17_S18_S1B_S1C_jS1D_jS1E_S1E_jjS1G_bEUljE0_EEESZ_S10_S11_S18_S1C_S1E_T6_T7_T9_mT8_S1G_bDpT10_ENKUlT_T0_E_clISt17integral_constantIbLb0EES1U_EEDaS1P_S1Q_EUlS1P_E_NS1_11comp_targetILNS1_3genE8ELNS1_11target_archE1030ELNS1_3gpuE2ELNS1_3repE0EEENS1_30default_config_static_selectorELNS0_4arch9wavefront6targetE0EEEvS12_,comdat
.Lfunc_end1061:
	.size	_ZN7rocprim17ROCPRIM_400000_NS6detail17trampoline_kernelINS0_13select_configILj256ELj13ELNS0_17block_load_methodE3ELS4_3ELS4_3ELNS0_20block_scan_algorithmE0ELj4294967295EEENS1_25partition_config_selectorILNS1_17partition_subalgoE4EjNS0_10empty_typeEbEEZZNS1_14partition_implILS8_4ELb0ES6_15HIP_vector_typeIjLj2EENS0_17counting_iteratorIjlEEPS9_SG_NS0_5tupleIJPjSI_NS0_16reverse_iteratorISI_EEEEENSH_IJSG_SG_SG_EEES9_SI_JZNS1_25segmented_radix_sort_implINS0_14default_configELb1EPKdPdPKlPlN2at6native12_GLOBAL__N_18offset_tEEE10hipError_tPvRmT1_PNSt15iterator_traitsIS12_E10value_typeET2_T3_PNS13_IS18_E10value_typeET4_jRbjT5_S1E_jjP12ihipStream_tbEUljE_ZNSN_ISO_Lb1ESQ_SR_ST_SU_SY_EESZ_S10_S11_S12_S16_S17_S18_S1B_S1C_jS1D_jS1E_S1E_jjS1G_bEUljE0_EEESZ_S10_S11_S18_S1C_S1E_T6_T7_T9_mT8_S1G_bDpT10_ENKUlT_T0_E_clISt17integral_constantIbLb0EES1U_EEDaS1P_S1Q_EUlS1P_E_NS1_11comp_targetILNS1_3genE8ELNS1_11target_archE1030ELNS1_3gpuE2ELNS1_3repE0EEENS1_30default_config_static_selectorELNS0_4arch9wavefront6targetE0EEEvS12_, .Lfunc_end1061-_ZN7rocprim17ROCPRIM_400000_NS6detail17trampoline_kernelINS0_13select_configILj256ELj13ELNS0_17block_load_methodE3ELS4_3ELS4_3ELNS0_20block_scan_algorithmE0ELj4294967295EEENS1_25partition_config_selectorILNS1_17partition_subalgoE4EjNS0_10empty_typeEbEEZZNS1_14partition_implILS8_4ELb0ES6_15HIP_vector_typeIjLj2EENS0_17counting_iteratorIjlEEPS9_SG_NS0_5tupleIJPjSI_NS0_16reverse_iteratorISI_EEEEENSH_IJSG_SG_SG_EEES9_SI_JZNS1_25segmented_radix_sort_implINS0_14default_configELb1EPKdPdPKlPlN2at6native12_GLOBAL__N_18offset_tEEE10hipError_tPvRmT1_PNSt15iterator_traitsIS12_E10value_typeET2_T3_PNS13_IS18_E10value_typeET4_jRbjT5_S1E_jjP12ihipStream_tbEUljE_ZNSN_ISO_Lb1ESQ_SR_ST_SU_SY_EESZ_S10_S11_S12_S16_S17_S18_S1B_S1C_jS1D_jS1E_S1E_jjS1G_bEUljE0_EEESZ_S10_S11_S18_S1C_S1E_T6_T7_T9_mT8_S1G_bDpT10_ENKUlT_T0_E_clISt17integral_constantIbLb0EES1U_EEDaS1P_S1Q_EUlS1P_E_NS1_11comp_targetILNS1_3genE8ELNS1_11target_archE1030ELNS1_3gpuE2ELNS1_3repE0EEENS1_30default_config_static_selectorELNS0_4arch9wavefront6targetE0EEEvS12_
                                        ; -- End function
	.set _ZN7rocprim17ROCPRIM_400000_NS6detail17trampoline_kernelINS0_13select_configILj256ELj13ELNS0_17block_load_methodE3ELS4_3ELS4_3ELNS0_20block_scan_algorithmE0ELj4294967295EEENS1_25partition_config_selectorILNS1_17partition_subalgoE4EjNS0_10empty_typeEbEEZZNS1_14partition_implILS8_4ELb0ES6_15HIP_vector_typeIjLj2EENS0_17counting_iteratorIjlEEPS9_SG_NS0_5tupleIJPjSI_NS0_16reverse_iteratorISI_EEEEENSH_IJSG_SG_SG_EEES9_SI_JZNS1_25segmented_radix_sort_implINS0_14default_configELb1EPKdPdPKlPlN2at6native12_GLOBAL__N_18offset_tEEE10hipError_tPvRmT1_PNSt15iterator_traitsIS12_E10value_typeET2_T3_PNS13_IS18_E10value_typeET4_jRbjT5_S1E_jjP12ihipStream_tbEUljE_ZNSN_ISO_Lb1ESQ_SR_ST_SU_SY_EESZ_S10_S11_S12_S16_S17_S18_S1B_S1C_jS1D_jS1E_S1E_jjS1G_bEUljE0_EEESZ_S10_S11_S18_S1C_S1E_T6_T7_T9_mT8_S1G_bDpT10_ENKUlT_T0_E_clISt17integral_constantIbLb0EES1U_EEDaS1P_S1Q_EUlS1P_E_NS1_11comp_targetILNS1_3genE8ELNS1_11target_archE1030ELNS1_3gpuE2ELNS1_3repE0EEENS1_30default_config_static_selectorELNS0_4arch9wavefront6targetE0EEEvS12_.num_vgpr, 0
	.set _ZN7rocprim17ROCPRIM_400000_NS6detail17trampoline_kernelINS0_13select_configILj256ELj13ELNS0_17block_load_methodE3ELS4_3ELS4_3ELNS0_20block_scan_algorithmE0ELj4294967295EEENS1_25partition_config_selectorILNS1_17partition_subalgoE4EjNS0_10empty_typeEbEEZZNS1_14partition_implILS8_4ELb0ES6_15HIP_vector_typeIjLj2EENS0_17counting_iteratorIjlEEPS9_SG_NS0_5tupleIJPjSI_NS0_16reverse_iteratorISI_EEEEENSH_IJSG_SG_SG_EEES9_SI_JZNS1_25segmented_radix_sort_implINS0_14default_configELb1EPKdPdPKlPlN2at6native12_GLOBAL__N_18offset_tEEE10hipError_tPvRmT1_PNSt15iterator_traitsIS12_E10value_typeET2_T3_PNS13_IS18_E10value_typeET4_jRbjT5_S1E_jjP12ihipStream_tbEUljE_ZNSN_ISO_Lb1ESQ_SR_ST_SU_SY_EESZ_S10_S11_S12_S16_S17_S18_S1B_S1C_jS1D_jS1E_S1E_jjS1G_bEUljE0_EEESZ_S10_S11_S18_S1C_S1E_T6_T7_T9_mT8_S1G_bDpT10_ENKUlT_T0_E_clISt17integral_constantIbLb0EES1U_EEDaS1P_S1Q_EUlS1P_E_NS1_11comp_targetILNS1_3genE8ELNS1_11target_archE1030ELNS1_3gpuE2ELNS1_3repE0EEENS1_30default_config_static_selectorELNS0_4arch9wavefront6targetE0EEEvS12_.num_agpr, 0
	.set _ZN7rocprim17ROCPRIM_400000_NS6detail17trampoline_kernelINS0_13select_configILj256ELj13ELNS0_17block_load_methodE3ELS4_3ELS4_3ELNS0_20block_scan_algorithmE0ELj4294967295EEENS1_25partition_config_selectorILNS1_17partition_subalgoE4EjNS0_10empty_typeEbEEZZNS1_14partition_implILS8_4ELb0ES6_15HIP_vector_typeIjLj2EENS0_17counting_iteratorIjlEEPS9_SG_NS0_5tupleIJPjSI_NS0_16reverse_iteratorISI_EEEEENSH_IJSG_SG_SG_EEES9_SI_JZNS1_25segmented_radix_sort_implINS0_14default_configELb1EPKdPdPKlPlN2at6native12_GLOBAL__N_18offset_tEEE10hipError_tPvRmT1_PNSt15iterator_traitsIS12_E10value_typeET2_T3_PNS13_IS18_E10value_typeET4_jRbjT5_S1E_jjP12ihipStream_tbEUljE_ZNSN_ISO_Lb1ESQ_SR_ST_SU_SY_EESZ_S10_S11_S12_S16_S17_S18_S1B_S1C_jS1D_jS1E_S1E_jjS1G_bEUljE0_EEESZ_S10_S11_S18_S1C_S1E_T6_T7_T9_mT8_S1G_bDpT10_ENKUlT_T0_E_clISt17integral_constantIbLb0EES1U_EEDaS1P_S1Q_EUlS1P_E_NS1_11comp_targetILNS1_3genE8ELNS1_11target_archE1030ELNS1_3gpuE2ELNS1_3repE0EEENS1_30default_config_static_selectorELNS0_4arch9wavefront6targetE0EEEvS12_.numbered_sgpr, 0
	.set _ZN7rocprim17ROCPRIM_400000_NS6detail17trampoline_kernelINS0_13select_configILj256ELj13ELNS0_17block_load_methodE3ELS4_3ELS4_3ELNS0_20block_scan_algorithmE0ELj4294967295EEENS1_25partition_config_selectorILNS1_17partition_subalgoE4EjNS0_10empty_typeEbEEZZNS1_14partition_implILS8_4ELb0ES6_15HIP_vector_typeIjLj2EENS0_17counting_iteratorIjlEEPS9_SG_NS0_5tupleIJPjSI_NS0_16reverse_iteratorISI_EEEEENSH_IJSG_SG_SG_EEES9_SI_JZNS1_25segmented_radix_sort_implINS0_14default_configELb1EPKdPdPKlPlN2at6native12_GLOBAL__N_18offset_tEEE10hipError_tPvRmT1_PNSt15iterator_traitsIS12_E10value_typeET2_T3_PNS13_IS18_E10value_typeET4_jRbjT5_S1E_jjP12ihipStream_tbEUljE_ZNSN_ISO_Lb1ESQ_SR_ST_SU_SY_EESZ_S10_S11_S12_S16_S17_S18_S1B_S1C_jS1D_jS1E_S1E_jjS1G_bEUljE0_EEESZ_S10_S11_S18_S1C_S1E_T6_T7_T9_mT8_S1G_bDpT10_ENKUlT_T0_E_clISt17integral_constantIbLb0EES1U_EEDaS1P_S1Q_EUlS1P_E_NS1_11comp_targetILNS1_3genE8ELNS1_11target_archE1030ELNS1_3gpuE2ELNS1_3repE0EEENS1_30default_config_static_selectorELNS0_4arch9wavefront6targetE0EEEvS12_.num_named_barrier, 0
	.set _ZN7rocprim17ROCPRIM_400000_NS6detail17trampoline_kernelINS0_13select_configILj256ELj13ELNS0_17block_load_methodE3ELS4_3ELS4_3ELNS0_20block_scan_algorithmE0ELj4294967295EEENS1_25partition_config_selectorILNS1_17partition_subalgoE4EjNS0_10empty_typeEbEEZZNS1_14partition_implILS8_4ELb0ES6_15HIP_vector_typeIjLj2EENS0_17counting_iteratorIjlEEPS9_SG_NS0_5tupleIJPjSI_NS0_16reverse_iteratorISI_EEEEENSH_IJSG_SG_SG_EEES9_SI_JZNS1_25segmented_radix_sort_implINS0_14default_configELb1EPKdPdPKlPlN2at6native12_GLOBAL__N_18offset_tEEE10hipError_tPvRmT1_PNSt15iterator_traitsIS12_E10value_typeET2_T3_PNS13_IS18_E10value_typeET4_jRbjT5_S1E_jjP12ihipStream_tbEUljE_ZNSN_ISO_Lb1ESQ_SR_ST_SU_SY_EESZ_S10_S11_S12_S16_S17_S18_S1B_S1C_jS1D_jS1E_S1E_jjS1G_bEUljE0_EEESZ_S10_S11_S18_S1C_S1E_T6_T7_T9_mT8_S1G_bDpT10_ENKUlT_T0_E_clISt17integral_constantIbLb0EES1U_EEDaS1P_S1Q_EUlS1P_E_NS1_11comp_targetILNS1_3genE8ELNS1_11target_archE1030ELNS1_3gpuE2ELNS1_3repE0EEENS1_30default_config_static_selectorELNS0_4arch9wavefront6targetE0EEEvS12_.private_seg_size, 0
	.set _ZN7rocprim17ROCPRIM_400000_NS6detail17trampoline_kernelINS0_13select_configILj256ELj13ELNS0_17block_load_methodE3ELS4_3ELS4_3ELNS0_20block_scan_algorithmE0ELj4294967295EEENS1_25partition_config_selectorILNS1_17partition_subalgoE4EjNS0_10empty_typeEbEEZZNS1_14partition_implILS8_4ELb0ES6_15HIP_vector_typeIjLj2EENS0_17counting_iteratorIjlEEPS9_SG_NS0_5tupleIJPjSI_NS0_16reverse_iteratorISI_EEEEENSH_IJSG_SG_SG_EEES9_SI_JZNS1_25segmented_radix_sort_implINS0_14default_configELb1EPKdPdPKlPlN2at6native12_GLOBAL__N_18offset_tEEE10hipError_tPvRmT1_PNSt15iterator_traitsIS12_E10value_typeET2_T3_PNS13_IS18_E10value_typeET4_jRbjT5_S1E_jjP12ihipStream_tbEUljE_ZNSN_ISO_Lb1ESQ_SR_ST_SU_SY_EESZ_S10_S11_S12_S16_S17_S18_S1B_S1C_jS1D_jS1E_S1E_jjS1G_bEUljE0_EEESZ_S10_S11_S18_S1C_S1E_T6_T7_T9_mT8_S1G_bDpT10_ENKUlT_T0_E_clISt17integral_constantIbLb0EES1U_EEDaS1P_S1Q_EUlS1P_E_NS1_11comp_targetILNS1_3genE8ELNS1_11target_archE1030ELNS1_3gpuE2ELNS1_3repE0EEENS1_30default_config_static_selectorELNS0_4arch9wavefront6targetE0EEEvS12_.uses_vcc, 0
	.set _ZN7rocprim17ROCPRIM_400000_NS6detail17trampoline_kernelINS0_13select_configILj256ELj13ELNS0_17block_load_methodE3ELS4_3ELS4_3ELNS0_20block_scan_algorithmE0ELj4294967295EEENS1_25partition_config_selectorILNS1_17partition_subalgoE4EjNS0_10empty_typeEbEEZZNS1_14partition_implILS8_4ELb0ES6_15HIP_vector_typeIjLj2EENS0_17counting_iteratorIjlEEPS9_SG_NS0_5tupleIJPjSI_NS0_16reverse_iteratorISI_EEEEENSH_IJSG_SG_SG_EEES9_SI_JZNS1_25segmented_radix_sort_implINS0_14default_configELb1EPKdPdPKlPlN2at6native12_GLOBAL__N_18offset_tEEE10hipError_tPvRmT1_PNSt15iterator_traitsIS12_E10value_typeET2_T3_PNS13_IS18_E10value_typeET4_jRbjT5_S1E_jjP12ihipStream_tbEUljE_ZNSN_ISO_Lb1ESQ_SR_ST_SU_SY_EESZ_S10_S11_S12_S16_S17_S18_S1B_S1C_jS1D_jS1E_S1E_jjS1G_bEUljE0_EEESZ_S10_S11_S18_S1C_S1E_T6_T7_T9_mT8_S1G_bDpT10_ENKUlT_T0_E_clISt17integral_constantIbLb0EES1U_EEDaS1P_S1Q_EUlS1P_E_NS1_11comp_targetILNS1_3genE8ELNS1_11target_archE1030ELNS1_3gpuE2ELNS1_3repE0EEENS1_30default_config_static_selectorELNS0_4arch9wavefront6targetE0EEEvS12_.uses_flat_scratch, 0
	.set _ZN7rocprim17ROCPRIM_400000_NS6detail17trampoline_kernelINS0_13select_configILj256ELj13ELNS0_17block_load_methodE3ELS4_3ELS4_3ELNS0_20block_scan_algorithmE0ELj4294967295EEENS1_25partition_config_selectorILNS1_17partition_subalgoE4EjNS0_10empty_typeEbEEZZNS1_14partition_implILS8_4ELb0ES6_15HIP_vector_typeIjLj2EENS0_17counting_iteratorIjlEEPS9_SG_NS0_5tupleIJPjSI_NS0_16reverse_iteratorISI_EEEEENSH_IJSG_SG_SG_EEES9_SI_JZNS1_25segmented_radix_sort_implINS0_14default_configELb1EPKdPdPKlPlN2at6native12_GLOBAL__N_18offset_tEEE10hipError_tPvRmT1_PNSt15iterator_traitsIS12_E10value_typeET2_T3_PNS13_IS18_E10value_typeET4_jRbjT5_S1E_jjP12ihipStream_tbEUljE_ZNSN_ISO_Lb1ESQ_SR_ST_SU_SY_EESZ_S10_S11_S12_S16_S17_S18_S1B_S1C_jS1D_jS1E_S1E_jjS1G_bEUljE0_EEESZ_S10_S11_S18_S1C_S1E_T6_T7_T9_mT8_S1G_bDpT10_ENKUlT_T0_E_clISt17integral_constantIbLb0EES1U_EEDaS1P_S1Q_EUlS1P_E_NS1_11comp_targetILNS1_3genE8ELNS1_11target_archE1030ELNS1_3gpuE2ELNS1_3repE0EEENS1_30default_config_static_selectorELNS0_4arch9wavefront6targetE0EEEvS12_.has_dyn_sized_stack, 0
	.set _ZN7rocprim17ROCPRIM_400000_NS6detail17trampoline_kernelINS0_13select_configILj256ELj13ELNS0_17block_load_methodE3ELS4_3ELS4_3ELNS0_20block_scan_algorithmE0ELj4294967295EEENS1_25partition_config_selectorILNS1_17partition_subalgoE4EjNS0_10empty_typeEbEEZZNS1_14partition_implILS8_4ELb0ES6_15HIP_vector_typeIjLj2EENS0_17counting_iteratorIjlEEPS9_SG_NS0_5tupleIJPjSI_NS0_16reverse_iteratorISI_EEEEENSH_IJSG_SG_SG_EEES9_SI_JZNS1_25segmented_radix_sort_implINS0_14default_configELb1EPKdPdPKlPlN2at6native12_GLOBAL__N_18offset_tEEE10hipError_tPvRmT1_PNSt15iterator_traitsIS12_E10value_typeET2_T3_PNS13_IS18_E10value_typeET4_jRbjT5_S1E_jjP12ihipStream_tbEUljE_ZNSN_ISO_Lb1ESQ_SR_ST_SU_SY_EESZ_S10_S11_S12_S16_S17_S18_S1B_S1C_jS1D_jS1E_S1E_jjS1G_bEUljE0_EEESZ_S10_S11_S18_S1C_S1E_T6_T7_T9_mT8_S1G_bDpT10_ENKUlT_T0_E_clISt17integral_constantIbLb0EES1U_EEDaS1P_S1Q_EUlS1P_E_NS1_11comp_targetILNS1_3genE8ELNS1_11target_archE1030ELNS1_3gpuE2ELNS1_3repE0EEENS1_30default_config_static_selectorELNS0_4arch9wavefront6targetE0EEEvS12_.has_recursion, 0
	.set _ZN7rocprim17ROCPRIM_400000_NS6detail17trampoline_kernelINS0_13select_configILj256ELj13ELNS0_17block_load_methodE3ELS4_3ELS4_3ELNS0_20block_scan_algorithmE0ELj4294967295EEENS1_25partition_config_selectorILNS1_17partition_subalgoE4EjNS0_10empty_typeEbEEZZNS1_14partition_implILS8_4ELb0ES6_15HIP_vector_typeIjLj2EENS0_17counting_iteratorIjlEEPS9_SG_NS0_5tupleIJPjSI_NS0_16reverse_iteratorISI_EEEEENSH_IJSG_SG_SG_EEES9_SI_JZNS1_25segmented_radix_sort_implINS0_14default_configELb1EPKdPdPKlPlN2at6native12_GLOBAL__N_18offset_tEEE10hipError_tPvRmT1_PNSt15iterator_traitsIS12_E10value_typeET2_T3_PNS13_IS18_E10value_typeET4_jRbjT5_S1E_jjP12ihipStream_tbEUljE_ZNSN_ISO_Lb1ESQ_SR_ST_SU_SY_EESZ_S10_S11_S12_S16_S17_S18_S1B_S1C_jS1D_jS1E_S1E_jjS1G_bEUljE0_EEESZ_S10_S11_S18_S1C_S1E_T6_T7_T9_mT8_S1G_bDpT10_ENKUlT_T0_E_clISt17integral_constantIbLb0EES1U_EEDaS1P_S1Q_EUlS1P_E_NS1_11comp_targetILNS1_3genE8ELNS1_11target_archE1030ELNS1_3gpuE2ELNS1_3repE0EEENS1_30default_config_static_selectorELNS0_4arch9wavefront6targetE0EEEvS12_.has_indirect_call, 0
	.section	.AMDGPU.csdata,"",@progbits
; Kernel info:
; codeLenInByte = 0
; TotalNumSgprs: 0
; NumVgprs: 0
; ScratchSize: 0
; MemoryBound: 0
; FloatMode: 240
; IeeeMode: 1
; LDSByteSize: 0 bytes/workgroup (compile time only)
; SGPRBlocks: 0
; VGPRBlocks: 0
; NumSGPRsForWavesPerEU: 1
; NumVGPRsForWavesPerEU: 1
; Occupancy: 16
; WaveLimiterHint : 0
; COMPUTE_PGM_RSRC2:SCRATCH_EN: 0
; COMPUTE_PGM_RSRC2:USER_SGPR: 2
; COMPUTE_PGM_RSRC2:TRAP_HANDLER: 0
; COMPUTE_PGM_RSRC2:TGID_X_EN: 1
; COMPUTE_PGM_RSRC2:TGID_Y_EN: 0
; COMPUTE_PGM_RSRC2:TGID_Z_EN: 0
; COMPUTE_PGM_RSRC2:TIDIG_COMP_CNT: 0
	.section	.text._ZN7rocprim17ROCPRIM_400000_NS6detail17trampoline_kernelINS0_13select_configILj256ELj13ELNS0_17block_load_methodE3ELS4_3ELS4_3ELNS0_20block_scan_algorithmE0ELj4294967295EEENS1_25partition_config_selectorILNS1_17partition_subalgoE4EjNS0_10empty_typeEbEEZZNS1_14partition_implILS8_4ELb0ES6_15HIP_vector_typeIjLj2EENS0_17counting_iteratorIjlEEPS9_SG_NS0_5tupleIJPjSI_NS0_16reverse_iteratorISI_EEEEENSH_IJSG_SG_SG_EEES9_SI_JZNS1_25segmented_radix_sort_implINS0_14default_configELb1EPKdPdPKlPlN2at6native12_GLOBAL__N_18offset_tEEE10hipError_tPvRmT1_PNSt15iterator_traitsIS12_E10value_typeET2_T3_PNS13_IS18_E10value_typeET4_jRbjT5_S1E_jjP12ihipStream_tbEUljE_ZNSN_ISO_Lb1ESQ_SR_ST_SU_SY_EESZ_S10_S11_S12_S16_S17_S18_S1B_S1C_jS1D_jS1E_S1E_jjS1G_bEUljE0_EEESZ_S10_S11_S18_S1C_S1E_T6_T7_T9_mT8_S1G_bDpT10_ENKUlT_T0_E_clISt17integral_constantIbLb1EES1U_EEDaS1P_S1Q_EUlS1P_E_NS1_11comp_targetILNS1_3genE0ELNS1_11target_archE4294967295ELNS1_3gpuE0ELNS1_3repE0EEENS1_30default_config_static_selectorELNS0_4arch9wavefront6targetE0EEEvS12_,"axG",@progbits,_ZN7rocprim17ROCPRIM_400000_NS6detail17trampoline_kernelINS0_13select_configILj256ELj13ELNS0_17block_load_methodE3ELS4_3ELS4_3ELNS0_20block_scan_algorithmE0ELj4294967295EEENS1_25partition_config_selectorILNS1_17partition_subalgoE4EjNS0_10empty_typeEbEEZZNS1_14partition_implILS8_4ELb0ES6_15HIP_vector_typeIjLj2EENS0_17counting_iteratorIjlEEPS9_SG_NS0_5tupleIJPjSI_NS0_16reverse_iteratorISI_EEEEENSH_IJSG_SG_SG_EEES9_SI_JZNS1_25segmented_radix_sort_implINS0_14default_configELb1EPKdPdPKlPlN2at6native12_GLOBAL__N_18offset_tEEE10hipError_tPvRmT1_PNSt15iterator_traitsIS12_E10value_typeET2_T3_PNS13_IS18_E10value_typeET4_jRbjT5_S1E_jjP12ihipStream_tbEUljE_ZNSN_ISO_Lb1ESQ_SR_ST_SU_SY_EESZ_S10_S11_S12_S16_S17_S18_S1B_S1C_jS1D_jS1E_S1E_jjS1G_bEUljE0_EEESZ_S10_S11_S18_S1C_S1E_T6_T7_T9_mT8_S1G_bDpT10_ENKUlT_T0_E_clISt17integral_constantIbLb1EES1U_EEDaS1P_S1Q_EUlS1P_E_NS1_11comp_targetILNS1_3genE0ELNS1_11target_archE4294967295ELNS1_3gpuE0ELNS1_3repE0EEENS1_30default_config_static_selectorELNS0_4arch9wavefront6targetE0EEEvS12_,comdat
	.globl	_ZN7rocprim17ROCPRIM_400000_NS6detail17trampoline_kernelINS0_13select_configILj256ELj13ELNS0_17block_load_methodE3ELS4_3ELS4_3ELNS0_20block_scan_algorithmE0ELj4294967295EEENS1_25partition_config_selectorILNS1_17partition_subalgoE4EjNS0_10empty_typeEbEEZZNS1_14partition_implILS8_4ELb0ES6_15HIP_vector_typeIjLj2EENS0_17counting_iteratorIjlEEPS9_SG_NS0_5tupleIJPjSI_NS0_16reverse_iteratorISI_EEEEENSH_IJSG_SG_SG_EEES9_SI_JZNS1_25segmented_radix_sort_implINS0_14default_configELb1EPKdPdPKlPlN2at6native12_GLOBAL__N_18offset_tEEE10hipError_tPvRmT1_PNSt15iterator_traitsIS12_E10value_typeET2_T3_PNS13_IS18_E10value_typeET4_jRbjT5_S1E_jjP12ihipStream_tbEUljE_ZNSN_ISO_Lb1ESQ_SR_ST_SU_SY_EESZ_S10_S11_S12_S16_S17_S18_S1B_S1C_jS1D_jS1E_S1E_jjS1G_bEUljE0_EEESZ_S10_S11_S18_S1C_S1E_T6_T7_T9_mT8_S1G_bDpT10_ENKUlT_T0_E_clISt17integral_constantIbLb1EES1U_EEDaS1P_S1Q_EUlS1P_E_NS1_11comp_targetILNS1_3genE0ELNS1_11target_archE4294967295ELNS1_3gpuE0ELNS1_3repE0EEENS1_30default_config_static_selectorELNS0_4arch9wavefront6targetE0EEEvS12_ ; -- Begin function _ZN7rocprim17ROCPRIM_400000_NS6detail17trampoline_kernelINS0_13select_configILj256ELj13ELNS0_17block_load_methodE3ELS4_3ELS4_3ELNS0_20block_scan_algorithmE0ELj4294967295EEENS1_25partition_config_selectorILNS1_17partition_subalgoE4EjNS0_10empty_typeEbEEZZNS1_14partition_implILS8_4ELb0ES6_15HIP_vector_typeIjLj2EENS0_17counting_iteratorIjlEEPS9_SG_NS0_5tupleIJPjSI_NS0_16reverse_iteratorISI_EEEEENSH_IJSG_SG_SG_EEES9_SI_JZNS1_25segmented_radix_sort_implINS0_14default_configELb1EPKdPdPKlPlN2at6native12_GLOBAL__N_18offset_tEEE10hipError_tPvRmT1_PNSt15iterator_traitsIS12_E10value_typeET2_T3_PNS13_IS18_E10value_typeET4_jRbjT5_S1E_jjP12ihipStream_tbEUljE_ZNSN_ISO_Lb1ESQ_SR_ST_SU_SY_EESZ_S10_S11_S12_S16_S17_S18_S1B_S1C_jS1D_jS1E_S1E_jjS1G_bEUljE0_EEESZ_S10_S11_S18_S1C_S1E_T6_T7_T9_mT8_S1G_bDpT10_ENKUlT_T0_E_clISt17integral_constantIbLb1EES1U_EEDaS1P_S1Q_EUlS1P_E_NS1_11comp_targetILNS1_3genE0ELNS1_11target_archE4294967295ELNS1_3gpuE0ELNS1_3repE0EEENS1_30default_config_static_selectorELNS0_4arch9wavefront6targetE0EEEvS12_
	.p2align	8
	.type	_ZN7rocprim17ROCPRIM_400000_NS6detail17trampoline_kernelINS0_13select_configILj256ELj13ELNS0_17block_load_methodE3ELS4_3ELS4_3ELNS0_20block_scan_algorithmE0ELj4294967295EEENS1_25partition_config_selectorILNS1_17partition_subalgoE4EjNS0_10empty_typeEbEEZZNS1_14partition_implILS8_4ELb0ES6_15HIP_vector_typeIjLj2EENS0_17counting_iteratorIjlEEPS9_SG_NS0_5tupleIJPjSI_NS0_16reverse_iteratorISI_EEEEENSH_IJSG_SG_SG_EEES9_SI_JZNS1_25segmented_radix_sort_implINS0_14default_configELb1EPKdPdPKlPlN2at6native12_GLOBAL__N_18offset_tEEE10hipError_tPvRmT1_PNSt15iterator_traitsIS12_E10value_typeET2_T3_PNS13_IS18_E10value_typeET4_jRbjT5_S1E_jjP12ihipStream_tbEUljE_ZNSN_ISO_Lb1ESQ_SR_ST_SU_SY_EESZ_S10_S11_S12_S16_S17_S18_S1B_S1C_jS1D_jS1E_S1E_jjS1G_bEUljE0_EEESZ_S10_S11_S18_S1C_S1E_T6_T7_T9_mT8_S1G_bDpT10_ENKUlT_T0_E_clISt17integral_constantIbLb1EES1U_EEDaS1P_S1Q_EUlS1P_E_NS1_11comp_targetILNS1_3genE0ELNS1_11target_archE4294967295ELNS1_3gpuE0ELNS1_3repE0EEENS1_30default_config_static_selectorELNS0_4arch9wavefront6targetE0EEEvS12_,@function
_ZN7rocprim17ROCPRIM_400000_NS6detail17trampoline_kernelINS0_13select_configILj256ELj13ELNS0_17block_load_methodE3ELS4_3ELS4_3ELNS0_20block_scan_algorithmE0ELj4294967295EEENS1_25partition_config_selectorILNS1_17partition_subalgoE4EjNS0_10empty_typeEbEEZZNS1_14partition_implILS8_4ELb0ES6_15HIP_vector_typeIjLj2EENS0_17counting_iteratorIjlEEPS9_SG_NS0_5tupleIJPjSI_NS0_16reverse_iteratorISI_EEEEENSH_IJSG_SG_SG_EEES9_SI_JZNS1_25segmented_radix_sort_implINS0_14default_configELb1EPKdPdPKlPlN2at6native12_GLOBAL__N_18offset_tEEE10hipError_tPvRmT1_PNSt15iterator_traitsIS12_E10value_typeET2_T3_PNS13_IS18_E10value_typeET4_jRbjT5_S1E_jjP12ihipStream_tbEUljE_ZNSN_ISO_Lb1ESQ_SR_ST_SU_SY_EESZ_S10_S11_S12_S16_S17_S18_S1B_S1C_jS1D_jS1E_S1E_jjS1G_bEUljE0_EEESZ_S10_S11_S18_S1C_S1E_T6_T7_T9_mT8_S1G_bDpT10_ENKUlT_T0_E_clISt17integral_constantIbLb1EES1U_EEDaS1P_S1Q_EUlS1P_E_NS1_11comp_targetILNS1_3genE0ELNS1_11target_archE4294967295ELNS1_3gpuE0ELNS1_3repE0EEENS1_30default_config_static_selectorELNS0_4arch9wavefront6targetE0EEEvS12_: ; @_ZN7rocprim17ROCPRIM_400000_NS6detail17trampoline_kernelINS0_13select_configILj256ELj13ELNS0_17block_load_methodE3ELS4_3ELS4_3ELNS0_20block_scan_algorithmE0ELj4294967295EEENS1_25partition_config_selectorILNS1_17partition_subalgoE4EjNS0_10empty_typeEbEEZZNS1_14partition_implILS8_4ELb0ES6_15HIP_vector_typeIjLj2EENS0_17counting_iteratorIjlEEPS9_SG_NS0_5tupleIJPjSI_NS0_16reverse_iteratorISI_EEEEENSH_IJSG_SG_SG_EEES9_SI_JZNS1_25segmented_radix_sort_implINS0_14default_configELb1EPKdPdPKlPlN2at6native12_GLOBAL__N_18offset_tEEE10hipError_tPvRmT1_PNSt15iterator_traitsIS12_E10value_typeET2_T3_PNS13_IS18_E10value_typeET4_jRbjT5_S1E_jjP12ihipStream_tbEUljE_ZNSN_ISO_Lb1ESQ_SR_ST_SU_SY_EESZ_S10_S11_S12_S16_S17_S18_S1B_S1C_jS1D_jS1E_S1E_jjS1G_bEUljE0_EEESZ_S10_S11_S18_S1C_S1E_T6_T7_T9_mT8_S1G_bDpT10_ENKUlT_T0_E_clISt17integral_constantIbLb1EES1U_EEDaS1P_S1Q_EUlS1P_E_NS1_11comp_targetILNS1_3genE0ELNS1_11target_archE4294967295ELNS1_3gpuE0ELNS1_3repE0EEENS1_30default_config_static_selectorELNS0_4arch9wavefront6targetE0EEEvS12_
; %bb.0:
	.section	.rodata,"a",@progbits
	.p2align	6, 0x0
	.amdhsa_kernel _ZN7rocprim17ROCPRIM_400000_NS6detail17trampoline_kernelINS0_13select_configILj256ELj13ELNS0_17block_load_methodE3ELS4_3ELS4_3ELNS0_20block_scan_algorithmE0ELj4294967295EEENS1_25partition_config_selectorILNS1_17partition_subalgoE4EjNS0_10empty_typeEbEEZZNS1_14partition_implILS8_4ELb0ES6_15HIP_vector_typeIjLj2EENS0_17counting_iteratorIjlEEPS9_SG_NS0_5tupleIJPjSI_NS0_16reverse_iteratorISI_EEEEENSH_IJSG_SG_SG_EEES9_SI_JZNS1_25segmented_radix_sort_implINS0_14default_configELb1EPKdPdPKlPlN2at6native12_GLOBAL__N_18offset_tEEE10hipError_tPvRmT1_PNSt15iterator_traitsIS12_E10value_typeET2_T3_PNS13_IS18_E10value_typeET4_jRbjT5_S1E_jjP12ihipStream_tbEUljE_ZNSN_ISO_Lb1ESQ_SR_ST_SU_SY_EESZ_S10_S11_S12_S16_S17_S18_S1B_S1C_jS1D_jS1E_S1E_jjS1G_bEUljE0_EEESZ_S10_S11_S18_S1C_S1E_T6_T7_T9_mT8_S1G_bDpT10_ENKUlT_T0_E_clISt17integral_constantIbLb1EES1U_EEDaS1P_S1Q_EUlS1P_E_NS1_11comp_targetILNS1_3genE0ELNS1_11target_archE4294967295ELNS1_3gpuE0ELNS1_3repE0EEENS1_30default_config_static_selectorELNS0_4arch9wavefront6targetE0EEEvS12_
		.amdhsa_group_segment_fixed_size 0
		.amdhsa_private_segment_fixed_size 0
		.amdhsa_kernarg_size 184
		.amdhsa_user_sgpr_count 2
		.amdhsa_user_sgpr_dispatch_ptr 0
		.amdhsa_user_sgpr_queue_ptr 0
		.amdhsa_user_sgpr_kernarg_segment_ptr 1
		.amdhsa_user_sgpr_dispatch_id 0
		.amdhsa_user_sgpr_private_segment_size 0
		.amdhsa_wavefront_size32 1
		.amdhsa_uses_dynamic_stack 0
		.amdhsa_enable_private_segment 0
		.amdhsa_system_sgpr_workgroup_id_x 1
		.amdhsa_system_sgpr_workgroup_id_y 0
		.amdhsa_system_sgpr_workgroup_id_z 0
		.amdhsa_system_sgpr_workgroup_info 0
		.amdhsa_system_vgpr_workitem_id 0
		.amdhsa_next_free_vgpr 1
		.amdhsa_next_free_sgpr 1
		.amdhsa_reserve_vcc 0
		.amdhsa_float_round_mode_32 0
		.amdhsa_float_round_mode_16_64 0
		.amdhsa_float_denorm_mode_32 3
		.amdhsa_float_denorm_mode_16_64 3
		.amdhsa_fp16_overflow 0
		.amdhsa_workgroup_processor_mode 1
		.amdhsa_memory_ordered 1
		.amdhsa_forward_progress 1
		.amdhsa_inst_pref_size 0
		.amdhsa_round_robin_scheduling 0
		.amdhsa_exception_fp_ieee_invalid_op 0
		.amdhsa_exception_fp_denorm_src 0
		.amdhsa_exception_fp_ieee_div_zero 0
		.amdhsa_exception_fp_ieee_overflow 0
		.amdhsa_exception_fp_ieee_underflow 0
		.amdhsa_exception_fp_ieee_inexact 0
		.amdhsa_exception_int_div_zero 0
	.end_amdhsa_kernel
	.section	.text._ZN7rocprim17ROCPRIM_400000_NS6detail17trampoline_kernelINS0_13select_configILj256ELj13ELNS0_17block_load_methodE3ELS4_3ELS4_3ELNS0_20block_scan_algorithmE0ELj4294967295EEENS1_25partition_config_selectorILNS1_17partition_subalgoE4EjNS0_10empty_typeEbEEZZNS1_14partition_implILS8_4ELb0ES6_15HIP_vector_typeIjLj2EENS0_17counting_iteratorIjlEEPS9_SG_NS0_5tupleIJPjSI_NS0_16reverse_iteratorISI_EEEEENSH_IJSG_SG_SG_EEES9_SI_JZNS1_25segmented_radix_sort_implINS0_14default_configELb1EPKdPdPKlPlN2at6native12_GLOBAL__N_18offset_tEEE10hipError_tPvRmT1_PNSt15iterator_traitsIS12_E10value_typeET2_T3_PNS13_IS18_E10value_typeET4_jRbjT5_S1E_jjP12ihipStream_tbEUljE_ZNSN_ISO_Lb1ESQ_SR_ST_SU_SY_EESZ_S10_S11_S12_S16_S17_S18_S1B_S1C_jS1D_jS1E_S1E_jjS1G_bEUljE0_EEESZ_S10_S11_S18_S1C_S1E_T6_T7_T9_mT8_S1G_bDpT10_ENKUlT_T0_E_clISt17integral_constantIbLb1EES1U_EEDaS1P_S1Q_EUlS1P_E_NS1_11comp_targetILNS1_3genE0ELNS1_11target_archE4294967295ELNS1_3gpuE0ELNS1_3repE0EEENS1_30default_config_static_selectorELNS0_4arch9wavefront6targetE0EEEvS12_,"axG",@progbits,_ZN7rocprim17ROCPRIM_400000_NS6detail17trampoline_kernelINS0_13select_configILj256ELj13ELNS0_17block_load_methodE3ELS4_3ELS4_3ELNS0_20block_scan_algorithmE0ELj4294967295EEENS1_25partition_config_selectorILNS1_17partition_subalgoE4EjNS0_10empty_typeEbEEZZNS1_14partition_implILS8_4ELb0ES6_15HIP_vector_typeIjLj2EENS0_17counting_iteratorIjlEEPS9_SG_NS0_5tupleIJPjSI_NS0_16reverse_iteratorISI_EEEEENSH_IJSG_SG_SG_EEES9_SI_JZNS1_25segmented_radix_sort_implINS0_14default_configELb1EPKdPdPKlPlN2at6native12_GLOBAL__N_18offset_tEEE10hipError_tPvRmT1_PNSt15iterator_traitsIS12_E10value_typeET2_T3_PNS13_IS18_E10value_typeET4_jRbjT5_S1E_jjP12ihipStream_tbEUljE_ZNSN_ISO_Lb1ESQ_SR_ST_SU_SY_EESZ_S10_S11_S12_S16_S17_S18_S1B_S1C_jS1D_jS1E_S1E_jjS1G_bEUljE0_EEESZ_S10_S11_S18_S1C_S1E_T6_T7_T9_mT8_S1G_bDpT10_ENKUlT_T0_E_clISt17integral_constantIbLb1EES1U_EEDaS1P_S1Q_EUlS1P_E_NS1_11comp_targetILNS1_3genE0ELNS1_11target_archE4294967295ELNS1_3gpuE0ELNS1_3repE0EEENS1_30default_config_static_selectorELNS0_4arch9wavefront6targetE0EEEvS12_,comdat
.Lfunc_end1062:
	.size	_ZN7rocprim17ROCPRIM_400000_NS6detail17trampoline_kernelINS0_13select_configILj256ELj13ELNS0_17block_load_methodE3ELS4_3ELS4_3ELNS0_20block_scan_algorithmE0ELj4294967295EEENS1_25partition_config_selectorILNS1_17partition_subalgoE4EjNS0_10empty_typeEbEEZZNS1_14partition_implILS8_4ELb0ES6_15HIP_vector_typeIjLj2EENS0_17counting_iteratorIjlEEPS9_SG_NS0_5tupleIJPjSI_NS0_16reverse_iteratorISI_EEEEENSH_IJSG_SG_SG_EEES9_SI_JZNS1_25segmented_radix_sort_implINS0_14default_configELb1EPKdPdPKlPlN2at6native12_GLOBAL__N_18offset_tEEE10hipError_tPvRmT1_PNSt15iterator_traitsIS12_E10value_typeET2_T3_PNS13_IS18_E10value_typeET4_jRbjT5_S1E_jjP12ihipStream_tbEUljE_ZNSN_ISO_Lb1ESQ_SR_ST_SU_SY_EESZ_S10_S11_S12_S16_S17_S18_S1B_S1C_jS1D_jS1E_S1E_jjS1G_bEUljE0_EEESZ_S10_S11_S18_S1C_S1E_T6_T7_T9_mT8_S1G_bDpT10_ENKUlT_T0_E_clISt17integral_constantIbLb1EES1U_EEDaS1P_S1Q_EUlS1P_E_NS1_11comp_targetILNS1_3genE0ELNS1_11target_archE4294967295ELNS1_3gpuE0ELNS1_3repE0EEENS1_30default_config_static_selectorELNS0_4arch9wavefront6targetE0EEEvS12_, .Lfunc_end1062-_ZN7rocprim17ROCPRIM_400000_NS6detail17trampoline_kernelINS0_13select_configILj256ELj13ELNS0_17block_load_methodE3ELS4_3ELS4_3ELNS0_20block_scan_algorithmE0ELj4294967295EEENS1_25partition_config_selectorILNS1_17partition_subalgoE4EjNS0_10empty_typeEbEEZZNS1_14partition_implILS8_4ELb0ES6_15HIP_vector_typeIjLj2EENS0_17counting_iteratorIjlEEPS9_SG_NS0_5tupleIJPjSI_NS0_16reverse_iteratorISI_EEEEENSH_IJSG_SG_SG_EEES9_SI_JZNS1_25segmented_radix_sort_implINS0_14default_configELb1EPKdPdPKlPlN2at6native12_GLOBAL__N_18offset_tEEE10hipError_tPvRmT1_PNSt15iterator_traitsIS12_E10value_typeET2_T3_PNS13_IS18_E10value_typeET4_jRbjT5_S1E_jjP12ihipStream_tbEUljE_ZNSN_ISO_Lb1ESQ_SR_ST_SU_SY_EESZ_S10_S11_S12_S16_S17_S18_S1B_S1C_jS1D_jS1E_S1E_jjS1G_bEUljE0_EEESZ_S10_S11_S18_S1C_S1E_T6_T7_T9_mT8_S1G_bDpT10_ENKUlT_T0_E_clISt17integral_constantIbLb1EES1U_EEDaS1P_S1Q_EUlS1P_E_NS1_11comp_targetILNS1_3genE0ELNS1_11target_archE4294967295ELNS1_3gpuE0ELNS1_3repE0EEENS1_30default_config_static_selectorELNS0_4arch9wavefront6targetE0EEEvS12_
                                        ; -- End function
	.set _ZN7rocprim17ROCPRIM_400000_NS6detail17trampoline_kernelINS0_13select_configILj256ELj13ELNS0_17block_load_methodE3ELS4_3ELS4_3ELNS0_20block_scan_algorithmE0ELj4294967295EEENS1_25partition_config_selectorILNS1_17partition_subalgoE4EjNS0_10empty_typeEbEEZZNS1_14partition_implILS8_4ELb0ES6_15HIP_vector_typeIjLj2EENS0_17counting_iteratorIjlEEPS9_SG_NS0_5tupleIJPjSI_NS0_16reverse_iteratorISI_EEEEENSH_IJSG_SG_SG_EEES9_SI_JZNS1_25segmented_radix_sort_implINS0_14default_configELb1EPKdPdPKlPlN2at6native12_GLOBAL__N_18offset_tEEE10hipError_tPvRmT1_PNSt15iterator_traitsIS12_E10value_typeET2_T3_PNS13_IS18_E10value_typeET4_jRbjT5_S1E_jjP12ihipStream_tbEUljE_ZNSN_ISO_Lb1ESQ_SR_ST_SU_SY_EESZ_S10_S11_S12_S16_S17_S18_S1B_S1C_jS1D_jS1E_S1E_jjS1G_bEUljE0_EEESZ_S10_S11_S18_S1C_S1E_T6_T7_T9_mT8_S1G_bDpT10_ENKUlT_T0_E_clISt17integral_constantIbLb1EES1U_EEDaS1P_S1Q_EUlS1P_E_NS1_11comp_targetILNS1_3genE0ELNS1_11target_archE4294967295ELNS1_3gpuE0ELNS1_3repE0EEENS1_30default_config_static_selectorELNS0_4arch9wavefront6targetE0EEEvS12_.num_vgpr, 0
	.set _ZN7rocprim17ROCPRIM_400000_NS6detail17trampoline_kernelINS0_13select_configILj256ELj13ELNS0_17block_load_methodE3ELS4_3ELS4_3ELNS0_20block_scan_algorithmE0ELj4294967295EEENS1_25partition_config_selectorILNS1_17partition_subalgoE4EjNS0_10empty_typeEbEEZZNS1_14partition_implILS8_4ELb0ES6_15HIP_vector_typeIjLj2EENS0_17counting_iteratorIjlEEPS9_SG_NS0_5tupleIJPjSI_NS0_16reverse_iteratorISI_EEEEENSH_IJSG_SG_SG_EEES9_SI_JZNS1_25segmented_radix_sort_implINS0_14default_configELb1EPKdPdPKlPlN2at6native12_GLOBAL__N_18offset_tEEE10hipError_tPvRmT1_PNSt15iterator_traitsIS12_E10value_typeET2_T3_PNS13_IS18_E10value_typeET4_jRbjT5_S1E_jjP12ihipStream_tbEUljE_ZNSN_ISO_Lb1ESQ_SR_ST_SU_SY_EESZ_S10_S11_S12_S16_S17_S18_S1B_S1C_jS1D_jS1E_S1E_jjS1G_bEUljE0_EEESZ_S10_S11_S18_S1C_S1E_T6_T7_T9_mT8_S1G_bDpT10_ENKUlT_T0_E_clISt17integral_constantIbLb1EES1U_EEDaS1P_S1Q_EUlS1P_E_NS1_11comp_targetILNS1_3genE0ELNS1_11target_archE4294967295ELNS1_3gpuE0ELNS1_3repE0EEENS1_30default_config_static_selectorELNS0_4arch9wavefront6targetE0EEEvS12_.num_agpr, 0
	.set _ZN7rocprim17ROCPRIM_400000_NS6detail17trampoline_kernelINS0_13select_configILj256ELj13ELNS0_17block_load_methodE3ELS4_3ELS4_3ELNS0_20block_scan_algorithmE0ELj4294967295EEENS1_25partition_config_selectorILNS1_17partition_subalgoE4EjNS0_10empty_typeEbEEZZNS1_14partition_implILS8_4ELb0ES6_15HIP_vector_typeIjLj2EENS0_17counting_iteratorIjlEEPS9_SG_NS0_5tupleIJPjSI_NS0_16reverse_iteratorISI_EEEEENSH_IJSG_SG_SG_EEES9_SI_JZNS1_25segmented_radix_sort_implINS0_14default_configELb1EPKdPdPKlPlN2at6native12_GLOBAL__N_18offset_tEEE10hipError_tPvRmT1_PNSt15iterator_traitsIS12_E10value_typeET2_T3_PNS13_IS18_E10value_typeET4_jRbjT5_S1E_jjP12ihipStream_tbEUljE_ZNSN_ISO_Lb1ESQ_SR_ST_SU_SY_EESZ_S10_S11_S12_S16_S17_S18_S1B_S1C_jS1D_jS1E_S1E_jjS1G_bEUljE0_EEESZ_S10_S11_S18_S1C_S1E_T6_T7_T9_mT8_S1G_bDpT10_ENKUlT_T0_E_clISt17integral_constantIbLb1EES1U_EEDaS1P_S1Q_EUlS1P_E_NS1_11comp_targetILNS1_3genE0ELNS1_11target_archE4294967295ELNS1_3gpuE0ELNS1_3repE0EEENS1_30default_config_static_selectorELNS0_4arch9wavefront6targetE0EEEvS12_.numbered_sgpr, 0
	.set _ZN7rocprim17ROCPRIM_400000_NS6detail17trampoline_kernelINS0_13select_configILj256ELj13ELNS0_17block_load_methodE3ELS4_3ELS4_3ELNS0_20block_scan_algorithmE0ELj4294967295EEENS1_25partition_config_selectorILNS1_17partition_subalgoE4EjNS0_10empty_typeEbEEZZNS1_14partition_implILS8_4ELb0ES6_15HIP_vector_typeIjLj2EENS0_17counting_iteratorIjlEEPS9_SG_NS0_5tupleIJPjSI_NS0_16reverse_iteratorISI_EEEEENSH_IJSG_SG_SG_EEES9_SI_JZNS1_25segmented_radix_sort_implINS0_14default_configELb1EPKdPdPKlPlN2at6native12_GLOBAL__N_18offset_tEEE10hipError_tPvRmT1_PNSt15iterator_traitsIS12_E10value_typeET2_T3_PNS13_IS18_E10value_typeET4_jRbjT5_S1E_jjP12ihipStream_tbEUljE_ZNSN_ISO_Lb1ESQ_SR_ST_SU_SY_EESZ_S10_S11_S12_S16_S17_S18_S1B_S1C_jS1D_jS1E_S1E_jjS1G_bEUljE0_EEESZ_S10_S11_S18_S1C_S1E_T6_T7_T9_mT8_S1G_bDpT10_ENKUlT_T0_E_clISt17integral_constantIbLb1EES1U_EEDaS1P_S1Q_EUlS1P_E_NS1_11comp_targetILNS1_3genE0ELNS1_11target_archE4294967295ELNS1_3gpuE0ELNS1_3repE0EEENS1_30default_config_static_selectorELNS0_4arch9wavefront6targetE0EEEvS12_.num_named_barrier, 0
	.set _ZN7rocprim17ROCPRIM_400000_NS6detail17trampoline_kernelINS0_13select_configILj256ELj13ELNS0_17block_load_methodE3ELS4_3ELS4_3ELNS0_20block_scan_algorithmE0ELj4294967295EEENS1_25partition_config_selectorILNS1_17partition_subalgoE4EjNS0_10empty_typeEbEEZZNS1_14partition_implILS8_4ELb0ES6_15HIP_vector_typeIjLj2EENS0_17counting_iteratorIjlEEPS9_SG_NS0_5tupleIJPjSI_NS0_16reverse_iteratorISI_EEEEENSH_IJSG_SG_SG_EEES9_SI_JZNS1_25segmented_radix_sort_implINS0_14default_configELb1EPKdPdPKlPlN2at6native12_GLOBAL__N_18offset_tEEE10hipError_tPvRmT1_PNSt15iterator_traitsIS12_E10value_typeET2_T3_PNS13_IS18_E10value_typeET4_jRbjT5_S1E_jjP12ihipStream_tbEUljE_ZNSN_ISO_Lb1ESQ_SR_ST_SU_SY_EESZ_S10_S11_S12_S16_S17_S18_S1B_S1C_jS1D_jS1E_S1E_jjS1G_bEUljE0_EEESZ_S10_S11_S18_S1C_S1E_T6_T7_T9_mT8_S1G_bDpT10_ENKUlT_T0_E_clISt17integral_constantIbLb1EES1U_EEDaS1P_S1Q_EUlS1P_E_NS1_11comp_targetILNS1_3genE0ELNS1_11target_archE4294967295ELNS1_3gpuE0ELNS1_3repE0EEENS1_30default_config_static_selectorELNS0_4arch9wavefront6targetE0EEEvS12_.private_seg_size, 0
	.set _ZN7rocprim17ROCPRIM_400000_NS6detail17trampoline_kernelINS0_13select_configILj256ELj13ELNS0_17block_load_methodE3ELS4_3ELS4_3ELNS0_20block_scan_algorithmE0ELj4294967295EEENS1_25partition_config_selectorILNS1_17partition_subalgoE4EjNS0_10empty_typeEbEEZZNS1_14partition_implILS8_4ELb0ES6_15HIP_vector_typeIjLj2EENS0_17counting_iteratorIjlEEPS9_SG_NS0_5tupleIJPjSI_NS0_16reverse_iteratorISI_EEEEENSH_IJSG_SG_SG_EEES9_SI_JZNS1_25segmented_radix_sort_implINS0_14default_configELb1EPKdPdPKlPlN2at6native12_GLOBAL__N_18offset_tEEE10hipError_tPvRmT1_PNSt15iterator_traitsIS12_E10value_typeET2_T3_PNS13_IS18_E10value_typeET4_jRbjT5_S1E_jjP12ihipStream_tbEUljE_ZNSN_ISO_Lb1ESQ_SR_ST_SU_SY_EESZ_S10_S11_S12_S16_S17_S18_S1B_S1C_jS1D_jS1E_S1E_jjS1G_bEUljE0_EEESZ_S10_S11_S18_S1C_S1E_T6_T7_T9_mT8_S1G_bDpT10_ENKUlT_T0_E_clISt17integral_constantIbLb1EES1U_EEDaS1P_S1Q_EUlS1P_E_NS1_11comp_targetILNS1_3genE0ELNS1_11target_archE4294967295ELNS1_3gpuE0ELNS1_3repE0EEENS1_30default_config_static_selectorELNS0_4arch9wavefront6targetE0EEEvS12_.uses_vcc, 0
	.set _ZN7rocprim17ROCPRIM_400000_NS6detail17trampoline_kernelINS0_13select_configILj256ELj13ELNS0_17block_load_methodE3ELS4_3ELS4_3ELNS0_20block_scan_algorithmE0ELj4294967295EEENS1_25partition_config_selectorILNS1_17partition_subalgoE4EjNS0_10empty_typeEbEEZZNS1_14partition_implILS8_4ELb0ES6_15HIP_vector_typeIjLj2EENS0_17counting_iteratorIjlEEPS9_SG_NS0_5tupleIJPjSI_NS0_16reverse_iteratorISI_EEEEENSH_IJSG_SG_SG_EEES9_SI_JZNS1_25segmented_radix_sort_implINS0_14default_configELb1EPKdPdPKlPlN2at6native12_GLOBAL__N_18offset_tEEE10hipError_tPvRmT1_PNSt15iterator_traitsIS12_E10value_typeET2_T3_PNS13_IS18_E10value_typeET4_jRbjT5_S1E_jjP12ihipStream_tbEUljE_ZNSN_ISO_Lb1ESQ_SR_ST_SU_SY_EESZ_S10_S11_S12_S16_S17_S18_S1B_S1C_jS1D_jS1E_S1E_jjS1G_bEUljE0_EEESZ_S10_S11_S18_S1C_S1E_T6_T7_T9_mT8_S1G_bDpT10_ENKUlT_T0_E_clISt17integral_constantIbLb1EES1U_EEDaS1P_S1Q_EUlS1P_E_NS1_11comp_targetILNS1_3genE0ELNS1_11target_archE4294967295ELNS1_3gpuE0ELNS1_3repE0EEENS1_30default_config_static_selectorELNS0_4arch9wavefront6targetE0EEEvS12_.uses_flat_scratch, 0
	.set _ZN7rocprim17ROCPRIM_400000_NS6detail17trampoline_kernelINS0_13select_configILj256ELj13ELNS0_17block_load_methodE3ELS4_3ELS4_3ELNS0_20block_scan_algorithmE0ELj4294967295EEENS1_25partition_config_selectorILNS1_17partition_subalgoE4EjNS0_10empty_typeEbEEZZNS1_14partition_implILS8_4ELb0ES6_15HIP_vector_typeIjLj2EENS0_17counting_iteratorIjlEEPS9_SG_NS0_5tupleIJPjSI_NS0_16reverse_iteratorISI_EEEEENSH_IJSG_SG_SG_EEES9_SI_JZNS1_25segmented_radix_sort_implINS0_14default_configELb1EPKdPdPKlPlN2at6native12_GLOBAL__N_18offset_tEEE10hipError_tPvRmT1_PNSt15iterator_traitsIS12_E10value_typeET2_T3_PNS13_IS18_E10value_typeET4_jRbjT5_S1E_jjP12ihipStream_tbEUljE_ZNSN_ISO_Lb1ESQ_SR_ST_SU_SY_EESZ_S10_S11_S12_S16_S17_S18_S1B_S1C_jS1D_jS1E_S1E_jjS1G_bEUljE0_EEESZ_S10_S11_S18_S1C_S1E_T6_T7_T9_mT8_S1G_bDpT10_ENKUlT_T0_E_clISt17integral_constantIbLb1EES1U_EEDaS1P_S1Q_EUlS1P_E_NS1_11comp_targetILNS1_3genE0ELNS1_11target_archE4294967295ELNS1_3gpuE0ELNS1_3repE0EEENS1_30default_config_static_selectorELNS0_4arch9wavefront6targetE0EEEvS12_.has_dyn_sized_stack, 0
	.set _ZN7rocprim17ROCPRIM_400000_NS6detail17trampoline_kernelINS0_13select_configILj256ELj13ELNS0_17block_load_methodE3ELS4_3ELS4_3ELNS0_20block_scan_algorithmE0ELj4294967295EEENS1_25partition_config_selectorILNS1_17partition_subalgoE4EjNS0_10empty_typeEbEEZZNS1_14partition_implILS8_4ELb0ES6_15HIP_vector_typeIjLj2EENS0_17counting_iteratorIjlEEPS9_SG_NS0_5tupleIJPjSI_NS0_16reverse_iteratorISI_EEEEENSH_IJSG_SG_SG_EEES9_SI_JZNS1_25segmented_radix_sort_implINS0_14default_configELb1EPKdPdPKlPlN2at6native12_GLOBAL__N_18offset_tEEE10hipError_tPvRmT1_PNSt15iterator_traitsIS12_E10value_typeET2_T3_PNS13_IS18_E10value_typeET4_jRbjT5_S1E_jjP12ihipStream_tbEUljE_ZNSN_ISO_Lb1ESQ_SR_ST_SU_SY_EESZ_S10_S11_S12_S16_S17_S18_S1B_S1C_jS1D_jS1E_S1E_jjS1G_bEUljE0_EEESZ_S10_S11_S18_S1C_S1E_T6_T7_T9_mT8_S1G_bDpT10_ENKUlT_T0_E_clISt17integral_constantIbLb1EES1U_EEDaS1P_S1Q_EUlS1P_E_NS1_11comp_targetILNS1_3genE0ELNS1_11target_archE4294967295ELNS1_3gpuE0ELNS1_3repE0EEENS1_30default_config_static_selectorELNS0_4arch9wavefront6targetE0EEEvS12_.has_recursion, 0
	.set _ZN7rocprim17ROCPRIM_400000_NS6detail17trampoline_kernelINS0_13select_configILj256ELj13ELNS0_17block_load_methodE3ELS4_3ELS4_3ELNS0_20block_scan_algorithmE0ELj4294967295EEENS1_25partition_config_selectorILNS1_17partition_subalgoE4EjNS0_10empty_typeEbEEZZNS1_14partition_implILS8_4ELb0ES6_15HIP_vector_typeIjLj2EENS0_17counting_iteratorIjlEEPS9_SG_NS0_5tupleIJPjSI_NS0_16reverse_iteratorISI_EEEEENSH_IJSG_SG_SG_EEES9_SI_JZNS1_25segmented_radix_sort_implINS0_14default_configELb1EPKdPdPKlPlN2at6native12_GLOBAL__N_18offset_tEEE10hipError_tPvRmT1_PNSt15iterator_traitsIS12_E10value_typeET2_T3_PNS13_IS18_E10value_typeET4_jRbjT5_S1E_jjP12ihipStream_tbEUljE_ZNSN_ISO_Lb1ESQ_SR_ST_SU_SY_EESZ_S10_S11_S12_S16_S17_S18_S1B_S1C_jS1D_jS1E_S1E_jjS1G_bEUljE0_EEESZ_S10_S11_S18_S1C_S1E_T6_T7_T9_mT8_S1G_bDpT10_ENKUlT_T0_E_clISt17integral_constantIbLb1EES1U_EEDaS1P_S1Q_EUlS1P_E_NS1_11comp_targetILNS1_3genE0ELNS1_11target_archE4294967295ELNS1_3gpuE0ELNS1_3repE0EEENS1_30default_config_static_selectorELNS0_4arch9wavefront6targetE0EEEvS12_.has_indirect_call, 0
	.section	.AMDGPU.csdata,"",@progbits
; Kernel info:
; codeLenInByte = 0
; TotalNumSgprs: 0
; NumVgprs: 0
; ScratchSize: 0
; MemoryBound: 0
; FloatMode: 240
; IeeeMode: 1
; LDSByteSize: 0 bytes/workgroup (compile time only)
; SGPRBlocks: 0
; VGPRBlocks: 0
; NumSGPRsForWavesPerEU: 1
; NumVGPRsForWavesPerEU: 1
; Occupancy: 16
; WaveLimiterHint : 0
; COMPUTE_PGM_RSRC2:SCRATCH_EN: 0
; COMPUTE_PGM_RSRC2:USER_SGPR: 2
; COMPUTE_PGM_RSRC2:TRAP_HANDLER: 0
; COMPUTE_PGM_RSRC2:TGID_X_EN: 1
; COMPUTE_PGM_RSRC2:TGID_Y_EN: 0
; COMPUTE_PGM_RSRC2:TGID_Z_EN: 0
; COMPUTE_PGM_RSRC2:TIDIG_COMP_CNT: 0
	.section	.text._ZN7rocprim17ROCPRIM_400000_NS6detail17trampoline_kernelINS0_13select_configILj256ELj13ELNS0_17block_load_methodE3ELS4_3ELS4_3ELNS0_20block_scan_algorithmE0ELj4294967295EEENS1_25partition_config_selectorILNS1_17partition_subalgoE4EjNS0_10empty_typeEbEEZZNS1_14partition_implILS8_4ELb0ES6_15HIP_vector_typeIjLj2EENS0_17counting_iteratorIjlEEPS9_SG_NS0_5tupleIJPjSI_NS0_16reverse_iteratorISI_EEEEENSH_IJSG_SG_SG_EEES9_SI_JZNS1_25segmented_radix_sort_implINS0_14default_configELb1EPKdPdPKlPlN2at6native12_GLOBAL__N_18offset_tEEE10hipError_tPvRmT1_PNSt15iterator_traitsIS12_E10value_typeET2_T3_PNS13_IS18_E10value_typeET4_jRbjT5_S1E_jjP12ihipStream_tbEUljE_ZNSN_ISO_Lb1ESQ_SR_ST_SU_SY_EESZ_S10_S11_S12_S16_S17_S18_S1B_S1C_jS1D_jS1E_S1E_jjS1G_bEUljE0_EEESZ_S10_S11_S18_S1C_S1E_T6_T7_T9_mT8_S1G_bDpT10_ENKUlT_T0_E_clISt17integral_constantIbLb1EES1U_EEDaS1P_S1Q_EUlS1P_E_NS1_11comp_targetILNS1_3genE5ELNS1_11target_archE942ELNS1_3gpuE9ELNS1_3repE0EEENS1_30default_config_static_selectorELNS0_4arch9wavefront6targetE0EEEvS12_,"axG",@progbits,_ZN7rocprim17ROCPRIM_400000_NS6detail17trampoline_kernelINS0_13select_configILj256ELj13ELNS0_17block_load_methodE3ELS4_3ELS4_3ELNS0_20block_scan_algorithmE0ELj4294967295EEENS1_25partition_config_selectorILNS1_17partition_subalgoE4EjNS0_10empty_typeEbEEZZNS1_14partition_implILS8_4ELb0ES6_15HIP_vector_typeIjLj2EENS0_17counting_iteratorIjlEEPS9_SG_NS0_5tupleIJPjSI_NS0_16reverse_iteratorISI_EEEEENSH_IJSG_SG_SG_EEES9_SI_JZNS1_25segmented_radix_sort_implINS0_14default_configELb1EPKdPdPKlPlN2at6native12_GLOBAL__N_18offset_tEEE10hipError_tPvRmT1_PNSt15iterator_traitsIS12_E10value_typeET2_T3_PNS13_IS18_E10value_typeET4_jRbjT5_S1E_jjP12ihipStream_tbEUljE_ZNSN_ISO_Lb1ESQ_SR_ST_SU_SY_EESZ_S10_S11_S12_S16_S17_S18_S1B_S1C_jS1D_jS1E_S1E_jjS1G_bEUljE0_EEESZ_S10_S11_S18_S1C_S1E_T6_T7_T9_mT8_S1G_bDpT10_ENKUlT_T0_E_clISt17integral_constantIbLb1EES1U_EEDaS1P_S1Q_EUlS1P_E_NS1_11comp_targetILNS1_3genE5ELNS1_11target_archE942ELNS1_3gpuE9ELNS1_3repE0EEENS1_30default_config_static_selectorELNS0_4arch9wavefront6targetE0EEEvS12_,comdat
	.globl	_ZN7rocprim17ROCPRIM_400000_NS6detail17trampoline_kernelINS0_13select_configILj256ELj13ELNS0_17block_load_methodE3ELS4_3ELS4_3ELNS0_20block_scan_algorithmE0ELj4294967295EEENS1_25partition_config_selectorILNS1_17partition_subalgoE4EjNS0_10empty_typeEbEEZZNS1_14partition_implILS8_4ELb0ES6_15HIP_vector_typeIjLj2EENS0_17counting_iteratorIjlEEPS9_SG_NS0_5tupleIJPjSI_NS0_16reverse_iteratorISI_EEEEENSH_IJSG_SG_SG_EEES9_SI_JZNS1_25segmented_radix_sort_implINS0_14default_configELb1EPKdPdPKlPlN2at6native12_GLOBAL__N_18offset_tEEE10hipError_tPvRmT1_PNSt15iterator_traitsIS12_E10value_typeET2_T3_PNS13_IS18_E10value_typeET4_jRbjT5_S1E_jjP12ihipStream_tbEUljE_ZNSN_ISO_Lb1ESQ_SR_ST_SU_SY_EESZ_S10_S11_S12_S16_S17_S18_S1B_S1C_jS1D_jS1E_S1E_jjS1G_bEUljE0_EEESZ_S10_S11_S18_S1C_S1E_T6_T7_T9_mT8_S1G_bDpT10_ENKUlT_T0_E_clISt17integral_constantIbLb1EES1U_EEDaS1P_S1Q_EUlS1P_E_NS1_11comp_targetILNS1_3genE5ELNS1_11target_archE942ELNS1_3gpuE9ELNS1_3repE0EEENS1_30default_config_static_selectorELNS0_4arch9wavefront6targetE0EEEvS12_ ; -- Begin function _ZN7rocprim17ROCPRIM_400000_NS6detail17trampoline_kernelINS0_13select_configILj256ELj13ELNS0_17block_load_methodE3ELS4_3ELS4_3ELNS0_20block_scan_algorithmE0ELj4294967295EEENS1_25partition_config_selectorILNS1_17partition_subalgoE4EjNS0_10empty_typeEbEEZZNS1_14partition_implILS8_4ELb0ES6_15HIP_vector_typeIjLj2EENS0_17counting_iteratorIjlEEPS9_SG_NS0_5tupleIJPjSI_NS0_16reverse_iteratorISI_EEEEENSH_IJSG_SG_SG_EEES9_SI_JZNS1_25segmented_radix_sort_implINS0_14default_configELb1EPKdPdPKlPlN2at6native12_GLOBAL__N_18offset_tEEE10hipError_tPvRmT1_PNSt15iterator_traitsIS12_E10value_typeET2_T3_PNS13_IS18_E10value_typeET4_jRbjT5_S1E_jjP12ihipStream_tbEUljE_ZNSN_ISO_Lb1ESQ_SR_ST_SU_SY_EESZ_S10_S11_S12_S16_S17_S18_S1B_S1C_jS1D_jS1E_S1E_jjS1G_bEUljE0_EEESZ_S10_S11_S18_S1C_S1E_T6_T7_T9_mT8_S1G_bDpT10_ENKUlT_T0_E_clISt17integral_constantIbLb1EES1U_EEDaS1P_S1Q_EUlS1P_E_NS1_11comp_targetILNS1_3genE5ELNS1_11target_archE942ELNS1_3gpuE9ELNS1_3repE0EEENS1_30default_config_static_selectorELNS0_4arch9wavefront6targetE0EEEvS12_
	.p2align	8
	.type	_ZN7rocprim17ROCPRIM_400000_NS6detail17trampoline_kernelINS0_13select_configILj256ELj13ELNS0_17block_load_methodE3ELS4_3ELS4_3ELNS0_20block_scan_algorithmE0ELj4294967295EEENS1_25partition_config_selectorILNS1_17partition_subalgoE4EjNS0_10empty_typeEbEEZZNS1_14partition_implILS8_4ELb0ES6_15HIP_vector_typeIjLj2EENS0_17counting_iteratorIjlEEPS9_SG_NS0_5tupleIJPjSI_NS0_16reverse_iteratorISI_EEEEENSH_IJSG_SG_SG_EEES9_SI_JZNS1_25segmented_radix_sort_implINS0_14default_configELb1EPKdPdPKlPlN2at6native12_GLOBAL__N_18offset_tEEE10hipError_tPvRmT1_PNSt15iterator_traitsIS12_E10value_typeET2_T3_PNS13_IS18_E10value_typeET4_jRbjT5_S1E_jjP12ihipStream_tbEUljE_ZNSN_ISO_Lb1ESQ_SR_ST_SU_SY_EESZ_S10_S11_S12_S16_S17_S18_S1B_S1C_jS1D_jS1E_S1E_jjS1G_bEUljE0_EEESZ_S10_S11_S18_S1C_S1E_T6_T7_T9_mT8_S1G_bDpT10_ENKUlT_T0_E_clISt17integral_constantIbLb1EES1U_EEDaS1P_S1Q_EUlS1P_E_NS1_11comp_targetILNS1_3genE5ELNS1_11target_archE942ELNS1_3gpuE9ELNS1_3repE0EEENS1_30default_config_static_selectorELNS0_4arch9wavefront6targetE0EEEvS12_,@function
_ZN7rocprim17ROCPRIM_400000_NS6detail17trampoline_kernelINS0_13select_configILj256ELj13ELNS0_17block_load_methodE3ELS4_3ELS4_3ELNS0_20block_scan_algorithmE0ELj4294967295EEENS1_25partition_config_selectorILNS1_17partition_subalgoE4EjNS0_10empty_typeEbEEZZNS1_14partition_implILS8_4ELb0ES6_15HIP_vector_typeIjLj2EENS0_17counting_iteratorIjlEEPS9_SG_NS0_5tupleIJPjSI_NS0_16reverse_iteratorISI_EEEEENSH_IJSG_SG_SG_EEES9_SI_JZNS1_25segmented_radix_sort_implINS0_14default_configELb1EPKdPdPKlPlN2at6native12_GLOBAL__N_18offset_tEEE10hipError_tPvRmT1_PNSt15iterator_traitsIS12_E10value_typeET2_T3_PNS13_IS18_E10value_typeET4_jRbjT5_S1E_jjP12ihipStream_tbEUljE_ZNSN_ISO_Lb1ESQ_SR_ST_SU_SY_EESZ_S10_S11_S12_S16_S17_S18_S1B_S1C_jS1D_jS1E_S1E_jjS1G_bEUljE0_EEESZ_S10_S11_S18_S1C_S1E_T6_T7_T9_mT8_S1G_bDpT10_ENKUlT_T0_E_clISt17integral_constantIbLb1EES1U_EEDaS1P_S1Q_EUlS1P_E_NS1_11comp_targetILNS1_3genE5ELNS1_11target_archE942ELNS1_3gpuE9ELNS1_3repE0EEENS1_30default_config_static_selectorELNS0_4arch9wavefront6targetE0EEEvS12_: ; @_ZN7rocprim17ROCPRIM_400000_NS6detail17trampoline_kernelINS0_13select_configILj256ELj13ELNS0_17block_load_methodE3ELS4_3ELS4_3ELNS0_20block_scan_algorithmE0ELj4294967295EEENS1_25partition_config_selectorILNS1_17partition_subalgoE4EjNS0_10empty_typeEbEEZZNS1_14partition_implILS8_4ELb0ES6_15HIP_vector_typeIjLj2EENS0_17counting_iteratorIjlEEPS9_SG_NS0_5tupleIJPjSI_NS0_16reverse_iteratorISI_EEEEENSH_IJSG_SG_SG_EEES9_SI_JZNS1_25segmented_radix_sort_implINS0_14default_configELb1EPKdPdPKlPlN2at6native12_GLOBAL__N_18offset_tEEE10hipError_tPvRmT1_PNSt15iterator_traitsIS12_E10value_typeET2_T3_PNS13_IS18_E10value_typeET4_jRbjT5_S1E_jjP12ihipStream_tbEUljE_ZNSN_ISO_Lb1ESQ_SR_ST_SU_SY_EESZ_S10_S11_S12_S16_S17_S18_S1B_S1C_jS1D_jS1E_S1E_jjS1G_bEUljE0_EEESZ_S10_S11_S18_S1C_S1E_T6_T7_T9_mT8_S1G_bDpT10_ENKUlT_T0_E_clISt17integral_constantIbLb1EES1U_EEDaS1P_S1Q_EUlS1P_E_NS1_11comp_targetILNS1_3genE5ELNS1_11target_archE942ELNS1_3gpuE9ELNS1_3repE0EEENS1_30default_config_static_selectorELNS0_4arch9wavefront6targetE0EEEvS12_
; %bb.0:
	.section	.rodata,"a",@progbits
	.p2align	6, 0x0
	.amdhsa_kernel _ZN7rocprim17ROCPRIM_400000_NS6detail17trampoline_kernelINS0_13select_configILj256ELj13ELNS0_17block_load_methodE3ELS4_3ELS4_3ELNS0_20block_scan_algorithmE0ELj4294967295EEENS1_25partition_config_selectorILNS1_17partition_subalgoE4EjNS0_10empty_typeEbEEZZNS1_14partition_implILS8_4ELb0ES6_15HIP_vector_typeIjLj2EENS0_17counting_iteratorIjlEEPS9_SG_NS0_5tupleIJPjSI_NS0_16reverse_iteratorISI_EEEEENSH_IJSG_SG_SG_EEES9_SI_JZNS1_25segmented_radix_sort_implINS0_14default_configELb1EPKdPdPKlPlN2at6native12_GLOBAL__N_18offset_tEEE10hipError_tPvRmT1_PNSt15iterator_traitsIS12_E10value_typeET2_T3_PNS13_IS18_E10value_typeET4_jRbjT5_S1E_jjP12ihipStream_tbEUljE_ZNSN_ISO_Lb1ESQ_SR_ST_SU_SY_EESZ_S10_S11_S12_S16_S17_S18_S1B_S1C_jS1D_jS1E_S1E_jjS1G_bEUljE0_EEESZ_S10_S11_S18_S1C_S1E_T6_T7_T9_mT8_S1G_bDpT10_ENKUlT_T0_E_clISt17integral_constantIbLb1EES1U_EEDaS1P_S1Q_EUlS1P_E_NS1_11comp_targetILNS1_3genE5ELNS1_11target_archE942ELNS1_3gpuE9ELNS1_3repE0EEENS1_30default_config_static_selectorELNS0_4arch9wavefront6targetE0EEEvS12_
		.amdhsa_group_segment_fixed_size 0
		.amdhsa_private_segment_fixed_size 0
		.amdhsa_kernarg_size 184
		.amdhsa_user_sgpr_count 2
		.amdhsa_user_sgpr_dispatch_ptr 0
		.amdhsa_user_sgpr_queue_ptr 0
		.amdhsa_user_sgpr_kernarg_segment_ptr 1
		.amdhsa_user_sgpr_dispatch_id 0
		.amdhsa_user_sgpr_private_segment_size 0
		.amdhsa_wavefront_size32 1
		.amdhsa_uses_dynamic_stack 0
		.amdhsa_enable_private_segment 0
		.amdhsa_system_sgpr_workgroup_id_x 1
		.amdhsa_system_sgpr_workgroup_id_y 0
		.amdhsa_system_sgpr_workgroup_id_z 0
		.amdhsa_system_sgpr_workgroup_info 0
		.amdhsa_system_vgpr_workitem_id 0
		.amdhsa_next_free_vgpr 1
		.amdhsa_next_free_sgpr 1
		.amdhsa_reserve_vcc 0
		.amdhsa_float_round_mode_32 0
		.amdhsa_float_round_mode_16_64 0
		.amdhsa_float_denorm_mode_32 3
		.amdhsa_float_denorm_mode_16_64 3
		.amdhsa_fp16_overflow 0
		.amdhsa_workgroup_processor_mode 1
		.amdhsa_memory_ordered 1
		.amdhsa_forward_progress 1
		.amdhsa_inst_pref_size 0
		.amdhsa_round_robin_scheduling 0
		.amdhsa_exception_fp_ieee_invalid_op 0
		.amdhsa_exception_fp_denorm_src 0
		.amdhsa_exception_fp_ieee_div_zero 0
		.amdhsa_exception_fp_ieee_overflow 0
		.amdhsa_exception_fp_ieee_underflow 0
		.amdhsa_exception_fp_ieee_inexact 0
		.amdhsa_exception_int_div_zero 0
	.end_amdhsa_kernel
	.section	.text._ZN7rocprim17ROCPRIM_400000_NS6detail17trampoline_kernelINS0_13select_configILj256ELj13ELNS0_17block_load_methodE3ELS4_3ELS4_3ELNS0_20block_scan_algorithmE0ELj4294967295EEENS1_25partition_config_selectorILNS1_17partition_subalgoE4EjNS0_10empty_typeEbEEZZNS1_14partition_implILS8_4ELb0ES6_15HIP_vector_typeIjLj2EENS0_17counting_iteratorIjlEEPS9_SG_NS0_5tupleIJPjSI_NS0_16reverse_iteratorISI_EEEEENSH_IJSG_SG_SG_EEES9_SI_JZNS1_25segmented_radix_sort_implINS0_14default_configELb1EPKdPdPKlPlN2at6native12_GLOBAL__N_18offset_tEEE10hipError_tPvRmT1_PNSt15iterator_traitsIS12_E10value_typeET2_T3_PNS13_IS18_E10value_typeET4_jRbjT5_S1E_jjP12ihipStream_tbEUljE_ZNSN_ISO_Lb1ESQ_SR_ST_SU_SY_EESZ_S10_S11_S12_S16_S17_S18_S1B_S1C_jS1D_jS1E_S1E_jjS1G_bEUljE0_EEESZ_S10_S11_S18_S1C_S1E_T6_T7_T9_mT8_S1G_bDpT10_ENKUlT_T0_E_clISt17integral_constantIbLb1EES1U_EEDaS1P_S1Q_EUlS1P_E_NS1_11comp_targetILNS1_3genE5ELNS1_11target_archE942ELNS1_3gpuE9ELNS1_3repE0EEENS1_30default_config_static_selectorELNS0_4arch9wavefront6targetE0EEEvS12_,"axG",@progbits,_ZN7rocprim17ROCPRIM_400000_NS6detail17trampoline_kernelINS0_13select_configILj256ELj13ELNS0_17block_load_methodE3ELS4_3ELS4_3ELNS0_20block_scan_algorithmE0ELj4294967295EEENS1_25partition_config_selectorILNS1_17partition_subalgoE4EjNS0_10empty_typeEbEEZZNS1_14partition_implILS8_4ELb0ES6_15HIP_vector_typeIjLj2EENS0_17counting_iteratorIjlEEPS9_SG_NS0_5tupleIJPjSI_NS0_16reverse_iteratorISI_EEEEENSH_IJSG_SG_SG_EEES9_SI_JZNS1_25segmented_radix_sort_implINS0_14default_configELb1EPKdPdPKlPlN2at6native12_GLOBAL__N_18offset_tEEE10hipError_tPvRmT1_PNSt15iterator_traitsIS12_E10value_typeET2_T3_PNS13_IS18_E10value_typeET4_jRbjT5_S1E_jjP12ihipStream_tbEUljE_ZNSN_ISO_Lb1ESQ_SR_ST_SU_SY_EESZ_S10_S11_S12_S16_S17_S18_S1B_S1C_jS1D_jS1E_S1E_jjS1G_bEUljE0_EEESZ_S10_S11_S18_S1C_S1E_T6_T7_T9_mT8_S1G_bDpT10_ENKUlT_T0_E_clISt17integral_constantIbLb1EES1U_EEDaS1P_S1Q_EUlS1P_E_NS1_11comp_targetILNS1_3genE5ELNS1_11target_archE942ELNS1_3gpuE9ELNS1_3repE0EEENS1_30default_config_static_selectorELNS0_4arch9wavefront6targetE0EEEvS12_,comdat
.Lfunc_end1063:
	.size	_ZN7rocprim17ROCPRIM_400000_NS6detail17trampoline_kernelINS0_13select_configILj256ELj13ELNS0_17block_load_methodE3ELS4_3ELS4_3ELNS0_20block_scan_algorithmE0ELj4294967295EEENS1_25partition_config_selectorILNS1_17partition_subalgoE4EjNS0_10empty_typeEbEEZZNS1_14partition_implILS8_4ELb0ES6_15HIP_vector_typeIjLj2EENS0_17counting_iteratorIjlEEPS9_SG_NS0_5tupleIJPjSI_NS0_16reverse_iteratorISI_EEEEENSH_IJSG_SG_SG_EEES9_SI_JZNS1_25segmented_radix_sort_implINS0_14default_configELb1EPKdPdPKlPlN2at6native12_GLOBAL__N_18offset_tEEE10hipError_tPvRmT1_PNSt15iterator_traitsIS12_E10value_typeET2_T3_PNS13_IS18_E10value_typeET4_jRbjT5_S1E_jjP12ihipStream_tbEUljE_ZNSN_ISO_Lb1ESQ_SR_ST_SU_SY_EESZ_S10_S11_S12_S16_S17_S18_S1B_S1C_jS1D_jS1E_S1E_jjS1G_bEUljE0_EEESZ_S10_S11_S18_S1C_S1E_T6_T7_T9_mT8_S1G_bDpT10_ENKUlT_T0_E_clISt17integral_constantIbLb1EES1U_EEDaS1P_S1Q_EUlS1P_E_NS1_11comp_targetILNS1_3genE5ELNS1_11target_archE942ELNS1_3gpuE9ELNS1_3repE0EEENS1_30default_config_static_selectorELNS0_4arch9wavefront6targetE0EEEvS12_, .Lfunc_end1063-_ZN7rocprim17ROCPRIM_400000_NS6detail17trampoline_kernelINS0_13select_configILj256ELj13ELNS0_17block_load_methodE3ELS4_3ELS4_3ELNS0_20block_scan_algorithmE0ELj4294967295EEENS1_25partition_config_selectorILNS1_17partition_subalgoE4EjNS0_10empty_typeEbEEZZNS1_14partition_implILS8_4ELb0ES6_15HIP_vector_typeIjLj2EENS0_17counting_iteratorIjlEEPS9_SG_NS0_5tupleIJPjSI_NS0_16reverse_iteratorISI_EEEEENSH_IJSG_SG_SG_EEES9_SI_JZNS1_25segmented_radix_sort_implINS0_14default_configELb1EPKdPdPKlPlN2at6native12_GLOBAL__N_18offset_tEEE10hipError_tPvRmT1_PNSt15iterator_traitsIS12_E10value_typeET2_T3_PNS13_IS18_E10value_typeET4_jRbjT5_S1E_jjP12ihipStream_tbEUljE_ZNSN_ISO_Lb1ESQ_SR_ST_SU_SY_EESZ_S10_S11_S12_S16_S17_S18_S1B_S1C_jS1D_jS1E_S1E_jjS1G_bEUljE0_EEESZ_S10_S11_S18_S1C_S1E_T6_T7_T9_mT8_S1G_bDpT10_ENKUlT_T0_E_clISt17integral_constantIbLb1EES1U_EEDaS1P_S1Q_EUlS1P_E_NS1_11comp_targetILNS1_3genE5ELNS1_11target_archE942ELNS1_3gpuE9ELNS1_3repE0EEENS1_30default_config_static_selectorELNS0_4arch9wavefront6targetE0EEEvS12_
                                        ; -- End function
	.set _ZN7rocprim17ROCPRIM_400000_NS6detail17trampoline_kernelINS0_13select_configILj256ELj13ELNS0_17block_load_methodE3ELS4_3ELS4_3ELNS0_20block_scan_algorithmE0ELj4294967295EEENS1_25partition_config_selectorILNS1_17partition_subalgoE4EjNS0_10empty_typeEbEEZZNS1_14partition_implILS8_4ELb0ES6_15HIP_vector_typeIjLj2EENS0_17counting_iteratorIjlEEPS9_SG_NS0_5tupleIJPjSI_NS0_16reverse_iteratorISI_EEEEENSH_IJSG_SG_SG_EEES9_SI_JZNS1_25segmented_radix_sort_implINS0_14default_configELb1EPKdPdPKlPlN2at6native12_GLOBAL__N_18offset_tEEE10hipError_tPvRmT1_PNSt15iterator_traitsIS12_E10value_typeET2_T3_PNS13_IS18_E10value_typeET4_jRbjT5_S1E_jjP12ihipStream_tbEUljE_ZNSN_ISO_Lb1ESQ_SR_ST_SU_SY_EESZ_S10_S11_S12_S16_S17_S18_S1B_S1C_jS1D_jS1E_S1E_jjS1G_bEUljE0_EEESZ_S10_S11_S18_S1C_S1E_T6_T7_T9_mT8_S1G_bDpT10_ENKUlT_T0_E_clISt17integral_constantIbLb1EES1U_EEDaS1P_S1Q_EUlS1P_E_NS1_11comp_targetILNS1_3genE5ELNS1_11target_archE942ELNS1_3gpuE9ELNS1_3repE0EEENS1_30default_config_static_selectorELNS0_4arch9wavefront6targetE0EEEvS12_.num_vgpr, 0
	.set _ZN7rocprim17ROCPRIM_400000_NS6detail17trampoline_kernelINS0_13select_configILj256ELj13ELNS0_17block_load_methodE3ELS4_3ELS4_3ELNS0_20block_scan_algorithmE0ELj4294967295EEENS1_25partition_config_selectorILNS1_17partition_subalgoE4EjNS0_10empty_typeEbEEZZNS1_14partition_implILS8_4ELb0ES6_15HIP_vector_typeIjLj2EENS0_17counting_iteratorIjlEEPS9_SG_NS0_5tupleIJPjSI_NS0_16reverse_iteratorISI_EEEEENSH_IJSG_SG_SG_EEES9_SI_JZNS1_25segmented_radix_sort_implINS0_14default_configELb1EPKdPdPKlPlN2at6native12_GLOBAL__N_18offset_tEEE10hipError_tPvRmT1_PNSt15iterator_traitsIS12_E10value_typeET2_T3_PNS13_IS18_E10value_typeET4_jRbjT5_S1E_jjP12ihipStream_tbEUljE_ZNSN_ISO_Lb1ESQ_SR_ST_SU_SY_EESZ_S10_S11_S12_S16_S17_S18_S1B_S1C_jS1D_jS1E_S1E_jjS1G_bEUljE0_EEESZ_S10_S11_S18_S1C_S1E_T6_T7_T9_mT8_S1G_bDpT10_ENKUlT_T0_E_clISt17integral_constantIbLb1EES1U_EEDaS1P_S1Q_EUlS1P_E_NS1_11comp_targetILNS1_3genE5ELNS1_11target_archE942ELNS1_3gpuE9ELNS1_3repE0EEENS1_30default_config_static_selectorELNS0_4arch9wavefront6targetE0EEEvS12_.num_agpr, 0
	.set _ZN7rocprim17ROCPRIM_400000_NS6detail17trampoline_kernelINS0_13select_configILj256ELj13ELNS0_17block_load_methodE3ELS4_3ELS4_3ELNS0_20block_scan_algorithmE0ELj4294967295EEENS1_25partition_config_selectorILNS1_17partition_subalgoE4EjNS0_10empty_typeEbEEZZNS1_14partition_implILS8_4ELb0ES6_15HIP_vector_typeIjLj2EENS0_17counting_iteratorIjlEEPS9_SG_NS0_5tupleIJPjSI_NS0_16reverse_iteratorISI_EEEEENSH_IJSG_SG_SG_EEES9_SI_JZNS1_25segmented_radix_sort_implINS0_14default_configELb1EPKdPdPKlPlN2at6native12_GLOBAL__N_18offset_tEEE10hipError_tPvRmT1_PNSt15iterator_traitsIS12_E10value_typeET2_T3_PNS13_IS18_E10value_typeET4_jRbjT5_S1E_jjP12ihipStream_tbEUljE_ZNSN_ISO_Lb1ESQ_SR_ST_SU_SY_EESZ_S10_S11_S12_S16_S17_S18_S1B_S1C_jS1D_jS1E_S1E_jjS1G_bEUljE0_EEESZ_S10_S11_S18_S1C_S1E_T6_T7_T9_mT8_S1G_bDpT10_ENKUlT_T0_E_clISt17integral_constantIbLb1EES1U_EEDaS1P_S1Q_EUlS1P_E_NS1_11comp_targetILNS1_3genE5ELNS1_11target_archE942ELNS1_3gpuE9ELNS1_3repE0EEENS1_30default_config_static_selectorELNS0_4arch9wavefront6targetE0EEEvS12_.numbered_sgpr, 0
	.set _ZN7rocprim17ROCPRIM_400000_NS6detail17trampoline_kernelINS0_13select_configILj256ELj13ELNS0_17block_load_methodE3ELS4_3ELS4_3ELNS0_20block_scan_algorithmE0ELj4294967295EEENS1_25partition_config_selectorILNS1_17partition_subalgoE4EjNS0_10empty_typeEbEEZZNS1_14partition_implILS8_4ELb0ES6_15HIP_vector_typeIjLj2EENS0_17counting_iteratorIjlEEPS9_SG_NS0_5tupleIJPjSI_NS0_16reverse_iteratorISI_EEEEENSH_IJSG_SG_SG_EEES9_SI_JZNS1_25segmented_radix_sort_implINS0_14default_configELb1EPKdPdPKlPlN2at6native12_GLOBAL__N_18offset_tEEE10hipError_tPvRmT1_PNSt15iterator_traitsIS12_E10value_typeET2_T3_PNS13_IS18_E10value_typeET4_jRbjT5_S1E_jjP12ihipStream_tbEUljE_ZNSN_ISO_Lb1ESQ_SR_ST_SU_SY_EESZ_S10_S11_S12_S16_S17_S18_S1B_S1C_jS1D_jS1E_S1E_jjS1G_bEUljE0_EEESZ_S10_S11_S18_S1C_S1E_T6_T7_T9_mT8_S1G_bDpT10_ENKUlT_T0_E_clISt17integral_constantIbLb1EES1U_EEDaS1P_S1Q_EUlS1P_E_NS1_11comp_targetILNS1_3genE5ELNS1_11target_archE942ELNS1_3gpuE9ELNS1_3repE0EEENS1_30default_config_static_selectorELNS0_4arch9wavefront6targetE0EEEvS12_.num_named_barrier, 0
	.set _ZN7rocprim17ROCPRIM_400000_NS6detail17trampoline_kernelINS0_13select_configILj256ELj13ELNS0_17block_load_methodE3ELS4_3ELS4_3ELNS0_20block_scan_algorithmE0ELj4294967295EEENS1_25partition_config_selectorILNS1_17partition_subalgoE4EjNS0_10empty_typeEbEEZZNS1_14partition_implILS8_4ELb0ES6_15HIP_vector_typeIjLj2EENS0_17counting_iteratorIjlEEPS9_SG_NS0_5tupleIJPjSI_NS0_16reverse_iteratorISI_EEEEENSH_IJSG_SG_SG_EEES9_SI_JZNS1_25segmented_radix_sort_implINS0_14default_configELb1EPKdPdPKlPlN2at6native12_GLOBAL__N_18offset_tEEE10hipError_tPvRmT1_PNSt15iterator_traitsIS12_E10value_typeET2_T3_PNS13_IS18_E10value_typeET4_jRbjT5_S1E_jjP12ihipStream_tbEUljE_ZNSN_ISO_Lb1ESQ_SR_ST_SU_SY_EESZ_S10_S11_S12_S16_S17_S18_S1B_S1C_jS1D_jS1E_S1E_jjS1G_bEUljE0_EEESZ_S10_S11_S18_S1C_S1E_T6_T7_T9_mT8_S1G_bDpT10_ENKUlT_T0_E_clISt17integral_constantIbLb1EES1U_EEDaS1P_S1Q_EUlS1P_E_NS1_11comp_targetILNS1_3genE5ELNS1_11target_archE942ELNS1_3gpuE9ELNS1_3repE0EEENS1_30default_config_static_selectorELNS0_4arch9wavefront6targetE0EEEvS12_.private_seg_size, 0
	.set _ZN7rocprim17ROCPRIM_400000_NS6detail17trampoline_kernelINS0_13select_configILj256ELj13ELNS0_17block_load_methodE3ELS4_3ELS4_3ELNS0_20block_scan_algorithmE0ELj4294967295EEENS1_25partition_config_selectorILNS1_17partition_subalgoE4EjNS0_10empty_typeEbEEZZNS1_14partition_implILS8_4ELb0ES6_15HIP_vector_typeIjLj2EENS0_17counting_iteratorIjlEEPS9_SG_NS0_5tupleIJPjSI_NS0_16reverse_iteratorISI_EEEEENSH_IJSG_SG_SG_EEES9_SI_JZNS1_25segmented_radix_sort_implINS0_14default_configELb1EPKdPdPKlPlN2at6native12_GLOBAL__N_18offset_tEEE10hipError_tPvRmT1_PNSt15iterator_traitsIS12_E10value_typeET2_T3_PNS13_IS18_E10value_typeET4_jRbjT5_S1E_jjP12ihipStream_tbEUljE_ZNSN_ISO_Lb1ESQ_SR_ST_SU_SY_EESZ_S10_S11_S12_S16_S17_S18_S1B_S1C_jS1D_jS1E_S1E_jjS1G_bEUljE0_EEESZ_S10_S11_S18_S1C_S1E_T6_T7_T9_mT8_S1G_bDpT10_ENKUlT_T0_E_clISt17integral_constantIbLb1EES1U_EEDaS1P_S1Q_EUlS1P_E_NS1_11comp_targetILNS1_3genE5ELNS1_11target_archE942ELNS1_3gpuE9ELNS1_3repE0EEENS1_30default_config_static_selectorELNS0_4arch9wavefront6targetE0EEEvS12_.uses_vcc, 0
	.set _ZN7rocprim17ROCPRIM_400000_NS6detail17trampoline_kernelINS0_13select_configILj256ELj13ELNS0_17block_load_methodE3ELS4_3ELS4_3ELNS0_20block_scan_algorithmE0ELj4294967295EEENS1_25partition_config_selectorILNS1_17partition_subalgoE4EjNS0_10empty_typeEbEEZZNS1_14partition_implILS8_4ELb0ES6_15HIP_vector_typeIjLj2EENS0_17counting_iteratorIjlEEPS9_SG_NS0_5tupleIJPjSI_NS0_16reverse_iteratorISI_EEEEENSH_IJSG_SG_SG_EEES9_SI_JZNS1_25segmented_radix_sort_implINS0_14default_configELb1EPKdPdPKlPlN2at6native12_GLOBAL__N_18offset_tEEE10hipError_tPvRmT1_PNSt15iterator_traitsIS12_E10value_typeET2_T3_PNS13_IS18_E10value_typeET4_jRbjT5_S1E_jjP12ihipStream_tbEUljE_ZNSN_ISO_Lb1ESQ_SR_ST_SU_SY_EESZ_S10_S11_S12_S16_S17_S18_S1B_S1C_jS1D_jS1E_S1E_jjS1G_bEUljE0_EEESZ_S10_S11_S18_S1C_S1E_T6_T7_T9_mT8_S1G_bDpT10_ENKUlT_T0_E_clISt17integral_constantIbLb1EES1U_EEDaS1P_S1Q_EUlS1P_E_NS1_11comp_targetILNS1_3genE5ELNS1_11target_archE942ELNS1_3gpuE9ELNS1_3repE0EEENS1_30default_config_static_selectorELNS0_4arch9wavefront6targetE0EEEvS12_.uses_flat_scratch, 0
	.set _ZN7rocprim17ROCPRIM_400000_NS6detail17trampoline_kernelINS0_13select_configILj256ELj13ELNS0_17block_load_methodE3ELS4_3ELS4_3ELNS0_20block_scan_algorithmE0ELj4294967295EEENS1_25partition_config_selectorILNS1_17partition_subalgoE4EjNS0_10empty_typeEbEEZZNS1_14partition_implILS8_4ELb0ES6_15HIP_vector_typeIjLj2EENS0_17counting_iteratorIjlEEPS9_SG_NS0_5tupleIJPjSI_NS0_16reverse_iteratorISI_EEEEENSH_IJSG_SG_SG_EEES9_SI_JZNS1_25segmented_radix_sort_implINS0_14default_configELb1EPKdPdPKlPlN2at6native12_GLOBAL__N_18offset_tEEE10hipError_tPvRmT1_PNSt15iterator_traitsIS12_E10value_typeET2_T3_PNS13_IS18_E10value_typeET4_jRbjT5_S1E_jjP12ihipStream_tbEUljE_ZNSN_ISO_Lb1ESQ_SR_ST_SU_SY_EESZ_S10_S11_S12_S16_S17_S18_S1B_S1C_jS1D_jS1E_S1E_jjS1G_bEUljE0_EEESZ_S10_S11_S18_S1C_S1E_T6_T7_T9_mT8_S1G_bDpT10_ENKUlT_T0_E_clISt17integral_constantIbLb1EES1U_EEDaS1P_S1Q_EUlS1P_E_NS1_11comp_targetILNS1_3genE5ELNS1_11target_archE942ELNS1_3gpuE9ELNS1_3repE0EEENS1_30default_config_static_selectorELNS0_4arch9wavefront6targetE0EEEvS12_.has_dyn_sized_stack, 0
	.set _ZN7rocprim17ROCPRIM_400000_NS6detail17trampoline_kernelINS0_13select_configILj256ELj13ELNS0_17block_load_methodE3ELS4_3ELS4_3ELNS0_20block_scan_algorithmE0ELj4294967295EEENS1_25partition_config_selectorILNS1_17partition_subalgoE4EjNS0_10empty_typeEbEEZZNS1_14partition_implILS8_4ELb0ES6_15HIP_vector_typeIjLj2EENS0_17counting_iteratorIjlEEPS9_SG_NS0_5tupleIJPjSI_NS0_16reverse_iteratorISI_EEEEENSH_IJSG_SG_SG_EEES9_SI_JZNS1_25segmented_radix_sort_implINS0_14default_configELb1EPKdPdPKlPlN2at6native12_GLOBAL__N_18offset_tEEE10hipError_tPvRmT1_PNSt15iterator_traitsIS12_E10value_typeET2_T3_PNS13_IS18_E10value_typeET4_jRbjT5_S1E_jjP12ihipStream_tbEUljE_ZNSN_ISO_Lb1ESQ_SR_ST_SU_SY_EESZ_S10_S11_S12_S16_S17_S18_S1B_S1C_jS1D_jS1E_S1E_jjS1G_bEUljE0_EEESZ_S10_S11_S18_S1C_S1E_T6_T7_T9_mT8_S1G_bDpT10_ENKUlT_T0_E_clISt17integral_constantIbLb1EES1U_EEDaS1P_S1Q_EUlS1P_E_NS1_11comp_targetILNS1_3genE5ELNS1_11target_archE942ELNS1_3gpuE9ELNS1_3repE0EEENS1_30default_config_static_selectorELNS0_4arch9wavefront6targetE0EEEvS12_.has_recursion, 0
	.set _ZN7rocprim17ROCPRIM_400000_NS6detail17trampoline_kernelINS0_13select_configILj256ELj13ELNS0_17block_load_methodE3ELS4_3ELS4_3ELNS0_20block_scan_algorithmE0ELj4294967295EEENS1_25partition_config_selectorILNS1_17partition_subalgoE4EjNS0_10empty_typeEbEEZZNS1_14partition_implILS8_4ELb0ES6_15HIP_vector_typeIjLj2EENS0_17counting_iteratorIjlEEPS9_SG_NS0_5tupleIJPjSI_NS0_16reverse_iteratorISI_EEEEENSH_IJSG_SG_SG_EEES9_SI_JZNS1_25segmented_radix_sort_implINS0_14default_configELb1EPKdPdPKlPlN2at6native12_GLOBAL__N_18offset_tEEE10hipError_tPvRmT1_PNSt15iterator_traitsIS12_E10value_typeET2_T3_PNS13_IS18_E10value_typeET4_jRbjT5_S1E_jjP12ihipStream_tbEUljE_ZNSN_ISO_Lb1ESQ_SR_ST_SU_SY_EESZ_S10_S11_S12_S16_S17_S18_S1B_S1C_jS1D_jS1E_S1E_jjS1G_bEUljE0_EEESZ_S10_S11_S18_S1C_S1E_T6_T7_T9_mT8_S1G_bDpT10_ENKUlT_T0_E_clISt17integral_constantIbLb1EES1U_EEDaS1P_S1Q_EUlS1P_E_NS1_11comp_targetILNS1_3genE5ELNS1_11target_archE942ELNS1_3gpuE9ELNS1_3repE0EEENS1_30default_config_static_selectorELNS0_4arch9wavefront6targetE0EEEvS12_.has_indirect_call, 0
	.section	.AMDGPU.csdata,"",@progbits
; Kernel info:
; codeLenInByte = 0
; TotalNumSgprs: 0
; NumVgprs: 0
; ScratchSize: 0
; MemoryBound: 0
; FloatMode: 240
; IeeeMode: 1
; LDSByteSize: 0 bytes/workgroup (compile time only)
; SGPRBlocks: 0
; VGPRBlocks: 0
; NumSGPRsForWavesPerEU: 1
; NumVGPRsForWavesPerEU: 1
; Occupancy: 16
; WaveLimiterHint : 0
; COMPUTE_PGM_RSRC2:SCRATCH_EN: 0
; COMPUTE_PGM_RSRC2:USER_SGPR: 2
; COMPUTE_PGM_RSRC2:TRAP_HANDLER: 0
; COMPUTE_PGM_RSRC2:TGID_X_EN: 1
; COMPUTE_PGM_RSRC2:TGID_Y_EN: 0
; COMPUTE_PGM_RSRC2:TGID_Z_EN: 0
; COMPUTE_PGM_RSRC2:TIDIG_COMP_CNT: 0
	.section	.text._ZN7rocprim17ROCPRIM_400000_NS6detail17trampoline_kernelINS0_13select_configILj256ELj13ELNS0_17block_load_methodE3ELS4_3ELS4_3ELNS0_20block_scan_algorithmE0ELj4294967295EEENS1_25partition_config_selectorILNS1_17partition_subalgoE4EjNS0_10empty_typeEbEEZZNS1_14partition_implILS8_4ELb0ES6_15HIP_vector_typeIjLj2EENS0_17counting_iteratorIjlEEPS9_SG_NS0_5tupleIJPjSI_NS0_16reverse_iteratorISI_EEEEENSH_IJSG_SG_SG_EEES9_SI_JZNS1_25segmented_radix_sort_implINS0_14default_configELb1EPKdPdPKlPlN2at6native12_GLOBAL__N_18offset_tEEE10hipError_tPvRmT1_PNSt15iterator_traitsIS12_E10value_typeET2_T3_PNS13_IS18_E10value_typeET4_jRbjT5_S1E_jjP12ihipStream_tbEUljE_ZNSN_ISO_Lb1ESQ_SR_ST_SU_SY_EESZ_S10_S11_S12_S16_S17_S18_S1B_S1C_jS1D_jS1E_S1E_jjS1G_bEUljE0_EEESZ_S10_S11_S18_S1C_S1E_T6_T7_T9_mT8_S1G_bDpT10_ENKUlT_T0_E_clISt17integral_constantIbLb1EES1U_EEDaS1P_S1Q_EUlS1P_E_NS1_11comp_targetILNS1_3genE4ELNS1_11target_archE910ELNS1_3gpuE8ELNS1_3repE0EEENS1_30default_config_static_selectorELNS0_4arch9wavefront6targetE0EEEvS12_,"axG",@progbits,_ZN7rocprim17ROCPRIM_400000_NS6detail17trampoline_kernelINS0_13select_configILj256ELj13ELNS0_17block_load_methodE3ELS4_3ELS4_3ELNS0_20block_scan_algorithmE0ELj4294967295EEENS1_25partition_config_selectorILNS1_17partition_subalgoE4EjNS0_10empty_typeEbEEZZNS1_14partition_implILS8_4ELb0ES6_15HIP_vector_typeIjLj2EENS0_17counting_iteratorIjlEEPS9_SG_NS0_5tupleIJPjSI_NS0_16reverse_iteratorISI_EEEEENSH_IJSG_SG_SG_EEES9_SI_JZNS1_25segmented_radix_sort_implINS0_14default_configELb1EPKdPdPKlPlN2at6native12_GLOBAL__N_18offset_tEEE10hipError_tPvRmT1_PNSt15iterator_traitsIS12_E10value_typeET2_T3_PNS13_IS18_E10value_typeET4_jRbjT5_S1E_jjP12ihipStream_tbEUljE_ZNSN_ISO_Lb1ESQ_SR_ST_SU_SY_EESZ_S10_S11_S12_S16_S17_S18_S1B_S1C_jS1D_jS1E_S1E_jjS1G_bEUljE0_EEESZ_S10_S11_S18_S1C_S1E_T6_T7_T9_mT8_S1G_bDpT10_ENKUlT_T0_E_clISt17integral_constantIbLb1EES1U_EEDaS1P_S1Q_EUlS1P_E_NS1_11comp_targetILNS1_3genE4ELNS1_11target_archE910ELNS1_3gpuE8ELNS1_3repE0EEENS1_30default_config_static_selectorELNS0_4arch9wavefront6targetE0EEEvS12_,comdat
	.globl	_ZN7rocprim17ROCPRIM_400000_NS6detail17trampoline_kernelINS0_13select_configILj256ELj13ELNS0_17block_load_methodE3ELS4_3ELS4_3ELNS0_20block_scan_algorithmE0ELj4294967295EEENS1_25partition_config_selectorILNS1_17partition_subalgoE4EjNS0_10empty_typeEbEEZZNS1_14partition_implILS8_4ELb0ES6_15HIP_vector_typeIjLj2EENS0_17counting_iteratorIjlEEPS9_SG_NS0_5tupleIJPjSI_NS0_16reverse_iteratorISI_EEEEENSH_IJSG_SG_SG_EEES9_SI_JZNS1_25segmented_radix_sort_implINS0_14default_configELb1EPKdPdPKlPlN2at6native12_GLOBAL__N_18offset_tEEE10hipError_tPvRmT1_PNSt15iterator_traitsIS12_E10value_typeET2_T3_PNS13_IS18_E10value_typeET4_jRbjT5_S1E_jjP12ihipStream_tbEUljE_ZNSN_ISO_Lb1ESQ_SR_ST_SU_SY_EESZ_S10_S11_S12_S16_S17_S18_S1B_S1C_jS1D_jS1E_S1E_jjS1G_bEUljE0_EEESZ_S10_S11_S18_S1C_S1E_T6_T7_T9_mT8_S1G_bDpT10_ENKUlT_T0_E_clISt17integral_constantIbLb1EES1U_EEDaS1P_S1Q_EUlS1P_E_NS1_11comp_targetILNS1_3genE4ELNS1_11target_archE910ELNS1_3gpuE8ELNS1_3repE0EEENS1_30default_config_static_selectorELNS0_4arch9wavefront6targetE0EEEvS12_ ; -- Begin function _ZN7rocprim17ROCPRIM_400000_NS6detail17trampoline_kernelINS0_13select_configILj256ELj13ELNS0_17block_load_methodE3ELS4_3ELS4_3ELNS0_20block_scan_algorithmE0ELj4294967295EEENS1_25partition_config_selectorILNS1_17partition_subalgoE4EjNS0_10empty_typeEbEEZZNS1_14partition_implILS8_4ELb0ES6_15HIP_vector_typeIjLj2EENS0_17counting_iteratorIjlEEPS9_SG_NS0_5tupleIJPjSI_NS0_16reverse_iteratorISI_EEEEENSH_IJSG_SG_SG_EEES9_SI_JZNS1_25segmented_radix_sort_implINS0_14default_configELb1EPKdPdPKlPlN2at6native12_GLOBAL__N_18offset_tEEE10hipError_tPvRmT1_PNSt15iterator_traitsIS12_E10value_typeET2_T3_PNS13_IS18_E10value_typeET4_jRbjT5_S1E_jjP12ihipStream_tbEUljE_ZNSN_ISO_Lb1ESQ_SR_ST_SU_SY_EESZ_S10_S11_S12_S16_S17_S18_S1B_S1C_jS1D_jS1E_S1E_jjS1G_bEUljE0_EEESZ_S10_S11_S18_S1C_S1E_T6_T7_T9_mT8_S1G_bDpT10_ENKUlT_T0_E_clISt17integral_constantIbLb1EES1U_EEDaS1P_S1Q_EUlS1P_E_NS1_11comp_targetILNS1_3genE4ELNS1_11target_archE910ELNS1_3gpuE8ELNS1_3repE0EEENS1_30default_config_static_selectorELNS0_4arch9wavefront6targetE0EEEvS12_
	.p2align	8
	.type	_ZN7rocprim17ROCPRIM_400000_NS6detail17trampoline_kernelINS0_13select_configILj256ELj13ELNS0_17block_load_methodE3ELS4_3ELS4_3ELNS0_20block_scan_algorithmE0ELj4294967295EEENS1_25partition_config_selectorILNS1_17partition_subalgoE4EjNS0_10empty_typeEbEEZZNS1_14partition_implILS8_4ELb0ES6_15HIP_vector_typeIjLj2EENS0_17counting_iteratorIjlEEPS9_SG_NS0_5tupleIJPjSI_NS0_16reverse_iteratorISI_EEEEENSH_IJSG_SG_SG_EEES9_SI_JZNS1_25segmented_radix_sort_implINS0_14default_configELb1EPKdPdPKlPlN2at6native12_GLOBAL__N_18offset_tEEE10hipError_tPvRmT1_PNSt15iterator_traitsIS12_E10value_typeET2_T3_PNS13_IS18_E10value_typeET4_jRbjT5_S1E_jjP12ihipStream_tbEUljE_ZNSN_ISO_Lb1ESQ_SR_ST_SU_SY_EESZ_S10_S11_S12_S16_S17_S18_S1B_S1C_jS1D_jS1E_S1E_jjS1G_bEUljE0_EEESZ_S10_S11_S18_S1C_S1E_T6_T7_T9_mT8_S1G_bDpT10_ENKUlT_T0_E_clISt17integral_constantIbLb1EES1U_EEDaS1P_S1Q_EUlS1P_E_NS1_11comp_targetILNS1_3genE4ELNS1_11target_archE910ELNS1_3gpuE8ELNS1_3repE0EEENS1_30default_config_static_selectorELNS0_4arch9wavefront6targetE0EEEvS12_,@function
_ZN7rocprim17ROCPRIM_400000_NS6detail17trampoline_kernelINS0_13select_configILj256ELj13ELNS0_17block_load_methodE3ELS4_3ELS4_3ELNS0_20block_scan_algorithmE0ELj4294967295EEENS1_25partition_config_selectorILNS1_17partition_subalgoE4EjNS0_10empty_typeEbEEZZNS1_14partition_implILS8_4ELb0ES6_15HIP_vector_typeIjLj2EENS0_17counting_iteratorIjlEEPS9_SG_NS0_5tupleIJPjSI_NS0_16reverse_iteratorISI_EEEEENSH_IJSG_SG_SG_EEES9_SI_JZNS1_25segmented_radix_sort_implINS0_14default_configELb1EPKdPdPKlPlN2at6native12_GLOBAL__N_18offset_tEEE10hipError_tPvRmT1_PNSt15iterator_traitsIS12_E10value_typeET2_T3_PNS13_IS18_E10value_typeET4_jRbjT5_S1E_jjP12ihipStream_tbEUljE_ZNSN_ISO_Lb1ESQ_SR_ST_SU_SY_EESZ_S10_S11_S12_S16_S17_S18_S1B_S1C_jS1D_jS1E_S1E_jjS1G_bEUljE0_EEESZ_S10_S11_S18_S1C_S1E_T6_T7_T9_mT8_S1G_bDpT10_ENKUlT_T0_E_clISt17integral_constantIbLb1EES1U_EEDaS1P_S1Q_EUlS1P_E_NS1_11comp_targetILNS1_3genE4ELNS1_11target_archE910ELNS1_3gpuE8ELNS1_3repE0EEENS1_30default_config_static_selectorELNS0_4arch9wavefront6targetE0EEEvS12_: ; @_ZN7rocprim17ROCPRIM_400000_NS6detail17trampoline_kernelINS0_13select_configILj256ELj13ELNS0_17block_load_methodE3ELS4_3ELS4_3ELNS0_20block_scan_algorithmE0ELj4294967295EEENS1_25partition_config_selectorILNS1_17partition_subalgoE4EjNS0_10empty_typeEbEEZZNS1_14partition_implILS8_4ELb0ES6_15HIP_vector_typeIjLj2EENS0_17counting_iteratorIjlEEPS9_SG_NS0_5tupleIJPjSI_NS0_16reverse_iteratorISI_EEEEENSH_IJSG_SG_SG_EEES9_SI_JZNS1_25segmented_radix_sort_implINS0_14default_configELb1EPKdPdPKlPlN2at6native12_GLOBAL__N_18offset_tEEE10hipError_tPvRmT1_PNSt15iterator_traitsIS12_E10value_typeET2_T3_PNS13_IS18_E10value_typeET4_jRbjT5_S1E_jjP12ihipStream_tbEUljE_ZNSN_ISO_Lb1ESQ_SR_ST_SU_SY_EESZ_S10_S11_S12_S16_S17_S18_S1B_S1C_jS1D_jS1E_S1E_jjS1G_bEUljE0_EEESZ_S10_S11_S18_S1C_S1E_T6_T7_T9_mT8_S1G_bDpT10_ENKUlT_T0_E_clISt17integral_constantIbLb1EES1U_EEDaS1P_S1Q_EUlS1P_E_NS1_11comp_targetILNS1_3genE4ELNS1_11target_archE910ELNS1_3gpuE8ELNS1_3repE0EEENS1_30default_config_static_selectorELNS0_4arch9wavefront6targetE0EEEvS12_
; %bb.0:
	.section	.rodata,"a",@progbits
	.p2align	6, 0x0
	.amdhsa_kernel _ZN7rocprim17ROCPRIM_400000_NS6detail17trampoline_kernelINS0_13select_configILj256ELj13ELNS0_17block_load_methodE3ELS4_3ELS4_3ELNS0_20block_scan_algorithmE0ELj4294967295EEENS1_25partition_config_selectorILNS1_17partition_subalgoE4EjNS0_10empty_typeEbEEZZNS1_14partition_implILS8_4ELb0ES6_15HIP_vector_typeIjLj2EENS0_17counting_iteratorIjlEEPS9_SG_NS0_5tupleIJPjSI_NS0_16reverse_iteratorISI_EEEEENSH_IJSG_SG_SG_EEES9_SI_JZNS1_25segmented_radix_sort_implINS0_14default_configELb1EPKdPdPKlPlN2at6native12_GLOBAL__N_18offset_tEEE10hipError_tPvRmT1_PNSt15iterator_traitsIS12_E10value_typeET2_T3_PNS13_IS18_E10value_typeET4_jRbjT5_S1E_jjP12ihipStream_tbEUljE_ZNSN_ISO_Lb1ESQ_SR_ST_SU_SY_EESZ_S10_S11_S12_S16_S17_S18_S1B_S1C_jS1D_jS1E_S1E_jjS1G_bEUljE0_EEESZ_S10_S11_S18_S1C_S1E_T6_T7_T9_mT8_S1G_bDpT10_ENKUlT_T0_E_clISt17integral_constantIbLb1EES1U_EEDaS1P_S1Q_EUlS1P_E_NS1_11comp_targetILNS1_3genE4ELNS1_11target_archE910ELNS1_3gpuE8ELNS1_3repE0EEENS1_30default_config_static_selectorELNS0_4arch9wavefront6targetE0EEEvS12_
		.amdhsa_group_segment_fixed_size 0
		.amdhsa_private_segment_fixed_size 0
		.amdhsa_kernarg_size 184
		.amdhsa_user_sgpr_count 2
		.amdhsa_user_sgpr_dispatch_ptr 0
		.amdhsa_user_sgpr_queue_ptr 0
		.amdhsa_user_sgpr_kernarg_segment_ptr 1
		.amdhsa_user_sgpr_dispatch_id 0
		.amdhsa_user_sgpr_private_segment_size 0
		.amdhsa_wavefront_size32 1
		.amdhsa_uses_dynamic_stack 0
		.amdhsa_enable_private_segment 0
		.amdhsa_system_sgpr_workgroup_id_x 1
		.amdhsa_system_sgpr_workgroup_id_y 0
		.amdhsa_system_sgpr_workgroup_id_z 0
		.amdhsa_system_sgpr_workgroup_info 0
		.amdhsa_system_vgpr_workitem_id 0
		.amdhsa_next_free_vgpr 1
		.amdhsa_next_free_sgpr 1
		.amdhsa_reserve_vcc 0
		.amdhsa_float_round_mode_32 0
		.amdhsa_float_round_mode_16_64 0
		.amdhsa_float_denorm_mode_32 3
		.amdhsa_float_denorm_mode_16_64 3
		.amdhsa_fp16_overflow 0
		.amdhsa_workgroup_processor_mode 1
		.amdhsa_memory_ordered 1
		.amdhsa_forward_progress 1
		.amdhsa_inst_pref_size 0
		.amdhsa_round_robin_scheduling 0
		.amdhsa_exception_fp_ieee_invalid_op 0
		.amdhsa_exception_fp_denorm_src 0
		.amdhsa_exception_fp_ieee_div_zero 0
		.amdhsa_exception_fp_ieee_overflow 0
		.amdhsa_exception_fp_ieee_underflow 0
		.amdhsa_exception_fp_ieee_inexact 0
		.amdhsa_exception_int_div_zero 0
	.end_amdhsa_kernel
	.section	.text._ZN7rocprim17ROCPRIM_400000_NS6detail17trampoline_kernelINS0_13select_configILj256ELj13ELNS0_17block_load_methodE3ELS4_3ELS4_3ELNS0_20block_scan_algorithmE0ELj4294967295EEENS1_25partition_config_selectorILNS1_17partition_subalgoE4EjNS0_10empty_typeEbEEZZNS1_14partition_implILS8_4ELb0ES6_15HIP_vector_typeIjLj2EENS0_17counting_iteratorIjlEEPS9_SG_NS0_5tupleIJPjSI_NS0_16reverse_iteratorISI_EEEEENSH_IJSG_SG_SG_EEES9_SI_JZNS1_25segmented_radix_sort_implINS0_14default_configELb1EPKdPdPKlPlN2at6native12_GLOBAL__N_18offset_tEEE10hipError_tPvRmT1_PNSt15iterator_traitsIS12_E10value_typeET2_T3_PNS13_IS18_E10value_typeET4_jRbjT5_S1E_jjP12ihipStream_tbEUljE_ZNSN_ISO_Lb1ESQ_SR_ST_SU_SY_EESZ_S10_S11_S12_S16_S17_S18_S1B_S1C_jS1D_jS1E_S1E_jjS1G_bEUljE0_EEESZ_S10_S11_S18_S1C_S1E_T6_T7_T9_mT8_S1G_bDpT10_ENKUlT_T0_E_clISt17integral_constantIbLb1EES1U_EEDaS1P_S1Q_EUlS1P_E_NS1_11comp_targetILNS1_3genE4ELNS1_11target_archE910ELNS1_3gpuE8ELNS1_3repE0EEENS1_30default_config_static_selectorELNS0_4arch9wavefront6targetE0EEEvS12_,"axG",@progbits,_ZN7rocprim17ROCPRIM_400000_NS6detail17trampoline_kernelINS0_13select_configILj256ELj13ELNS0_17block_load_methodE3ELS4_3ELS4_3ELNS0_20block_scan_algorithmE0ELj4294967295EEENS1_25partition_config_selectorILNS1_17partition_subalgoE4EjNS0_10empty_typeEbEEZZNS1_14partition_implILS8_4ELb0ES6_15HIP_vector_typeIjLj2EENS0_17counting_iteratorIjlEEPS9_SG_NS0_5tupleIJPjSI_NS0_16reverse_iteratorISI_EEEEENSH_IJSG_SG_SG_EEES9_SI_JZNS1_25segmented_radix_sort_implINS0_14default_configELb1EPKdPdPKlPlN2at6native12_GLOBAL__N_18offset_tEEE10hipError_tPvRmT1_PNSt15iterator_traitsIS12_E10value_typeET2_T3_PNS13_IS18_E10value_typeET4_jRbjT5_S1E_jjP12ihipStream_tbEUljE_ZNSN_ISO_Lb1ESQ_SR_ST_SU_SY_EESZ_S10_S11_S12_S16_S17_S18_S1B_S1C_jS1D_jS1E_S1E_jjS1G_bEUljE0_EEESZ_S10_S11_S18_S1C_S1E_T6_T7_T9_mT8_S1G_bDpT10_ENKUlT_T0_E_clISt17integral_constantIbLb1EES1U_EEDaS1P_S1Q_EUlS1P_E_NS1_11comp_targetILNS1_3genE4ELNS1_11target_archE910ELNS1_3gpuE8ELNS1_3repE0EEENS1_30default_config_static_selectorELNS0_4arch9wavefront6targetE0EEEvS12_,comdat
.Lfunc_end1064:
	.size	_ZN7rocprim17ROCPRIM_400000_NS6detail17trampoline_kernelINS0_13select_configILj256ELj13ELNS0_17block_load_methodE3ELS4_3ELS4_3ELNS0_20block_scan_algorithmE0ELj4294967295EEENS1_25partition_config_selectorILNS1_17partition_subalgoE4EjNS0_10empty_typeEbEEZZNS1_14partition_implILS8_4ELb0ES6_15HIP_vector_typeIjLj2EENS0_17counting_iteratorIjlEEPS9_SG_NS0_5tupleIJPjSI_NS0_16reverse_iteratorISI_EEEEENSH_IJSG_SG_SG_EEES9_SI_JZNS1_25segmented_radix_sort_implINS0_14default_configELb1EPKdPdPKlPlN2at6native12_GLOBAL__N_18offset_tEEE10hipError_tPvRmT1_PNSt15iterator_traitsIS12_E10value_typeET2_T3_PNS13_IS18_E10value_typeET4_jRbjT5_S1E_jjP12ihipStream_tbEUljE_ZNSN_ISO_Lb1ESQ_SR_ST_SU_SY_EESZ_S10_S11_S12_S16_S17_S18_S1B_S1C_jS1D_jS1E_S1E_jjS1G_bEUljE0_EEESZ_S10_S11_S18_S1C_S1E_T6_T7_T9_mT8_S1G_bDpT10_ENKUlT_T0_E_clISt17integral_constantIbLb1EES1U_EEDaS1P_S1Q_EUlS1P_E_NS1_11comp_targetILNS1_3genE4ELNS1_11target_archE910ELNS1_3gpuE8ELNS1_3repE0EEENS1_30default_config_static_selectorELNS0_4arch9wavefront6targetE0EEEvS12_, .Lfunc_end1064-_ZN7rocprim17ROCPRIM_400000_NS6detail17trampoline_kernelINS0_13select_configILj256ELj13ELNS0_17block_load_methodE3ELS4_3ELS4_3ELNS0_20block_scan_algorithmE0ELj4294967295EEENS1_25partition_config_selectorILNS1_17partition_subalgoE4EjNS0_10empty_typeEbEEZZNS1_14partition_implILS8_4ELb0ES6_15HIP_vector_typeIjLj2EENS0_17counting_iteratorIjlEEPS9_SG_NS0_5tupleIJPjSI_NS0_16reverse_iteratorISI_EEEEENSH_IJSG_SG_SG_EEES9_SI_JZNS1_25segmented_radix_sort_implINS0_14default_configELb1EPKdPdPKlPlN2at6native12_GLOBAL__N_18offset_tEEE10hipError_tPvRmT1_PNSt15iterator_traitsIS12_E10value_typeET2_T3_PNS13_IS18_E10value_typeET4_jRbjT5_S1E_jjP12ihipStream_tbEUljE_ZNSN_ISO_Lb1ESQ_SR_ST_SU_SY_EESZ_S10_S11_S12_S16_S17_S18_S1B_S1C_jS1D_jS1E_S1E_jjS1G_bEUljE0_EEESZ_S10_S11_S18_S1C_S1E_T6_T7_T9_mT8_S1G_bDpT10_ENKUlT_T0_E_clISt17integral_constantIbLb1EES1U_EEDaS1P_S1Q_EUlS1P_E_NS1_11comp_targetILNS1_3genE4ELNS1_11target_archE910ELNS1_3gpuE8ELNS1_3repE0EEENS1_30default_config_static_selectorELNS0_4arch9wavefront6targetE0EEEvS12_
                                        ; -- End function
	.set _ZN7rocprim17ROCPRIM_400000_NS6detail17trampoline_kernelINS0_13select_configILj256ELj13ELNS0_17block_load_methodE3ELS4_3ELS4_3ELNS0_20block_scan_algorithmE0ELj4294967295EEENS1_25partition_config_selectorILNS1_17partition_subalgoE4EjNS0_10empty_typeEbEEZZNS1_14partition_implILS8_4ELb0ES6_15HIP_vector_typeIjLj2EENS0_17counting_iteratorIjlEEPS9_SG_NS0_5tupleIJPjSI_NS0_16reverse_iteratorISI_EEEEENSH_IJSG_SG_SG_EEES9_SI_JZNS1_25segmented_radix_sort_implINS0_14default_configELb1EPKdPdPKlPlN2at6native12_GLOBAL__N_18offset_tEEE10hipError_tPvRmT1_PNSt15iterator_traitsIS12_E10value_typeET2_T3_PNS13_IS18_E10value_typeET4_jRbjT5_S1E_jjP12ihipStream_tbEUljE_ZNSN_ISO_Lb1ESQ_SR_ST_SU_SY_EESZ_S10_S11_S12_S16_S17_S18_S1B_S1C_jS1D_jS1E_S1E_jjS1G_bEUljE0_EEESZ_S10_S11_S18_S1C_S1E_T6_T7_T9_mT8_S1G_bDpT10_ENKUlT_T0_E_clISt17integral_constantIbLb1EES1U_EEDaS1P_S1Q_EUlS1P_E_NS1_11comp_targetILNS1_3genE4ELNS1_11target_archE910ELNS1_3gpuE8ELNS1_3repE0EEENS1_30default_config_static_selectorELNS0_4arch9wavefront6targetE0EEEvS12_.num_vgpr, 0
	.set _ZN7rocprim17ROCPRIM_400000_NS6detail17trampoline_kernelINS0_13select_configILj256ELj13ELNS0_17block_load_methodE3ELS4_3ELS4_3ELNS0_20block_scan_algorithmE0ELj4294967295EEENS1_25partition_config_selectorILNS1_17partition_subalgoE4EjNS0_10empty_typeEbEEZZNS1_14partition_implILS8_4ELb0ES6_15HIP_vector_typeIjLj2EENS0_17counting_iteratorIjlEEPS9_SG_NS0_5tupleIJPjSI_NS0_16reverse_iteratorISI_EEEEENSH_IJSG_SG_SG_EEES9_SI_JZNS1_25segmented_radix_sort_implINS0_14default_configELb1EPKdPdPKlPlN2at6native12_GLOBAL__N_18offset_tEEE10hipError_tPvRmT1_PNSt15iterator_traitsIS12_E10value_typeET2_T3_PNS13_IS18_E10value_typeET4_jRbjT5_S1E_jjP12ihipStream_tbEUljE_ZNSN_ISO_Lb1ESQ_SR_ST_SU_SY_EESZ_S10_S11_S12_S16_S17_S18_S1B_S1C_jS1D_jS1E_S1E_jjS1G_bEUljE0_EEESZ_S10_S11_S18_S1C_S1E_T6_T7_T9_mT8_S1G_bDpT10_ENKUlT_T0_E_clISt17integral_constantIbLb1EES1U_EEDaS1P_S1Q_EUlS1P_E_NS1_11comp_targetILNS1_3genE4ELNS1_11target_archE910ELNS1_3gpuE8ELNS1_3repE0EEENS1_30default_config_static_selectorELNS0_4arch9wavefront6targetE0EEEvS12_.num_agpr, 0
	.set _ZN7rocprim17ROCPRIM_400000_NS6detail17trampoline_kernelINS0_13select_configILj256ELj13ELNS0_17block_load_methodE3ELS4_3ELS4_3ELNS0_20block_scan_algorithmE0ELj4294967295EEENS1_25partition_config_selectorILNS1_17partition_subalgoE4EjNS0_10empty_typeEbEEZZNS1_14partition_implILS8_4ELb0ES6_15HIP_vector_typeIjLj2EENS0_17counting_iteratorIjlEEPS9_SG_NS0_5tupleIJPjSI_NS0_16reverse_iteratorISI_EEEEENSH_IJSG_SG_SG_EEES9_SI_JZNS1_25segmented_radix_sort_implINS0_14default_configELb1EPKdPdPKlPlN2at6native12_GLOBAL__N_18offset_tEEE10hipError_tPvRmT1_PNSt15iterator_traitsIS12_E10value_typeET2_T3_PNS13_IS18_E10value_typeET4_jRbjT5_S1E_jjP12ihipStream_tbEUljE_ZNSN_ISO_Lb1ESQ_SR_ST_SU_SY_EESZ_S10_S11_S12_S16_S17_S18_S1B_S1C_jS1D_jS1E_S1E_jjS1G_bEUljE0_EEESZ_S10_S11_S18_S1C_S1E_T6_T7_T9_mT8_S1G_bDpT10_ENKUlT_T0_E_clISt17integral_constantIbLb1EES1U_EEDaS1P_S1Q_EUlS1P_E_NS1_11comp_targetILNS1_3genE4ELNS1_11target_archE910ELNS1_3gpuE8ELNS1_3repE0EEENS1_30default_config_static_selectorELNS0_4arch9wavefront6targetE0EEEvS12_.numbered_sgpr, 0
	.set _ZN7rocprim17ROCPRIM_400000_NS6detail17trampoline_kernelINS0_13select_configILj256ELj13ELNS0_17block_load_methodE3ELS4_3ELS4_3ELNS0_20block_scan_algorithmE0ELj4294967295EEENS1_25partition_config_selectorILNS1_17partition_subalgoE4EjNS0_10empty_typeEbEEZZNS1_14partition_implILS8_4ELb0ES6_15HIP_vector_typeIjLj2EENS0_17counting_iteratorIjlEEPS9_SG_NS0_5tupleIJPjSI_NS0_16reverse_iteratorISI_EEEEENSH_IJSG_SG_SG_EEES9_SI_JZNS1_25segmented_radix_sort_implINS0_14default_configELb1EPKdPdPKlPlN2at6native12_GLOBAL__N_18offset_tEEE10hipError_tPvRmT1_PNSt15iterator_traitsIS12_E10value_typeET2_T3_PNS13_IS18_E10value_typeET4_jRbjT5_S1E_jjP12ihipStream_tbEUljE_ZNSN_ISO_Lb1ESQ_SR_ST_SU_SY_EESZ_S10_S11_S12_S16_S17_S18_S1B_S1C_jS1D_jS1E_S1E_jjS1G_bEUljE0_EEESZ_S10_S11_S18_S1C_S1E_T6_T7_T9_mT8_S1G_bDpT10_ENKUlT_T0_E_clISt17integral_constantIbLb1EES1U_EEDaS1P_S1Q_EUlS1P_E_NS1_11comp_targetILNS1_3genE4ELNS1_11target_archE910ELNS1_3gpuE8ELNS1_3repE0EEENS1_30default_config_static_selectorELNS0_4arch9wavefront6targetE0EEEvS12_.num_named_barrier, 0
	.set _ZN7rocprim17ROCPRIM_400000_NS6detail17trampoline_kernelINS0_13select_configILj256ELj13ELNS0_17block_load_methodE3ELS4_3ELS4_3ELNS0_20block_scan_algorithmE0ELj4294967295EEENS1_25partition_config_selectorILNS1_17partition_subalgoE4EjNS0_10empty_typeEbEEZZNS1_14partition_implILS8_4ELb0ES6_15HIP_vector_typeIjLj2EENS0_17counting_iteratorIjlEEPS9_SG_NS0_5tupleIJPjSI_NS0_16reverse_iteratorISI_EEEEENSH_IJSG_SG_SG_EEES9_SI_JZNS1_25segmented_radix_sort_implINS0_14default_configELb1EPKdPdPKlPlN2at6native12_GLOBAL__N_18offset_tEEE10hipError_tPvRmT1_PNSt15iterator_traitsIS12_E10value_typeET2_T3_PNS13_IS18_E10value_typeET4_jRbjT5_S1E_jjP12ihipStream_tbEUljE_ZNSN_ISO_Lb1ESQ_SR_ST_SU_SY_EESZ_S10_S11_S12_S16_S17_S18_S1B_S1C_jS1D_jS1E_S1E_jjS1G_bEUljE0_EEESZ_S10_S11_S18_S1C_S1E_T6_T7_T9_mT8_S1G_bDpT10_ENKUlT_T0_E_clISt17integral_constantIbLb1EES1U_EEDaS1P_S1Q_EUlS1P_E_NS1_11comp_targetILNS1_3genE4ELNS1_11target_archE910ELNS1_3gpuE8ELNS1_3repE0EEENS1_30default_config_static_selectorELNS0_4arch9wavefront6targetE0EEEvS12_.private_seg_size, 0
	.set _ZN7rocprim17ROCPRIM_400000_NS6detail17trampoline_kernelINS0_13select_configILj256ELj13ELNS0_17block_load_methodE3ELS4_3ELS4_3ELNS0_20block_scan_algorithmE0ELj4294967295EEENS1_25partition_config_selectorILNS1_17partition_subalgoE4EjNS0_10empty_typeEbEEZZNS1_14partition_implILS8_4ELb0ES6_15HIP_vector_typeIjLj2EENS0_17counting_iteratorIjlEEPS9_SG_NS0_5tupleIJPjSI_NS0_16reverse_iteratorISI_EEEEENSH_IJSG_SG_SG_EEES9_SI_JZNS1_25segmented_radix_sort_implINS0_14default_configELb1EPKdPdPKlPlN2at6native12_GLOBAL__N_18offset_tEEE10hipError_tPvRmT1_PNSt15iterator_traitsIS12_E10value_typeET2_T3_PNS13_IS18_E10value_typeET4_jRbjT5_S1E_jjP12ihipStream_tbEUljE_ZNSN_ISO_Lb1ESQ_SR_ST_SU_SY_EESZ_S10_S11_S12_S16_S17_S18_S1B_S1C_jS1D_jS1E_S1E_jjS1G_bEUljE0_EEESZ_S10_S11_S18_S1C_S1E_T6_T7_T9_mT8_S1G_bDpT10_ENKUlT_T0_E_clISt17integral_constantIbLb1EES1U_EEDaS1P_S1Q_EUlS1P_E_NS1_11comp_targetILNS1_3genE4ELNS1_11target_archE910ELNS1_3gpuE8ELNS1_3repE0EEENS1_30default_config_static_selectorELNS0_4arch9wavefront6targetE0EEEvS12_.uses_vcc, 0
	.set _ZN7rocprim17ROCPRIM_400000_NS6detail17trampoline_kernelINS0_13select_configILj256ELj13ELNS0_17block_load_methodE3ELS4_3ELS4_3ELNS0_20block_scan_algorithmE0ELj4294967295EEENS1_25partition_config_selectorILNS1_17partition_subalgoE4EjNS0_10empty_typeEbEEZZNS1_14partition_implILS8_4ELb0ES6_15HIP_vector_typeIjLj2EENS0_17counting_iteratorIjlEEPS9_SG_NS0_5tupleIJPjSI_NS0_16reverse_iteratorISI_EEEEENSH_IJSG_SG_SG_EEES9_SI_JZNS1_25segmented_radix_sort_implINS0_14default_configELb1EPKdPdPKlPlN2at6native12_GLOBAL__N_18offset_tEEE10hipError_tPvRmT1_PNSt15iterator_traitsIS12_E10value_typeET2_T3_PNS13_IS18_E10value_typeET4_jRbjT5_S1E_jjP12ihipStream_tbEUljE_ZNSN_ISO_Lb1ESQ_SR_ST_SU_SY_EESZ_S10_S11_S12_S16_S17_S18_S1B_S1C_jS1D_jS1E_S1E_jjS1G_bEUljE0_EEESZ_S10_S11_S18_S1C_S1E_T6_T7_T9_mT8_S1G_bDpT10_ENKUlT_T0_E_clISt17integral_constantIbLb1EES1U_EEDaS1P_S1Q_EUlS1P_E_NS1_11comp_targetILNS1_3genE4ELNS1_11target_archE910ELNS1_3gpuE8ELNS1_3repE0EEENS1_30default_config_static_selectorELNS0_4arch9wavefront6targetE0EEEvS12_.uses_flat_scratch, 0
	.set _ZN7rocprim17ROCPRIM_400000_NS6detail17trampoline_kernelINS0_13select_configILj256ELj13ELNS0_17block_load_methodE3ELS4_3ELS4_3ELNS0_20block_scan_algorithmE0ELj4294967295EEENS1_25partition_config_selectorILNS1_17partition_subalgoE4EjNS0_10empty_typeEbEEZZNS1_14partition_implILS8_4ELb0ES6_15HIP_vector_typeIjLj2EENS0_17counting_iteratorIjlEEPS9_SG_NS0_5tupleIJPjSI_NS0_16reverse_iteratorISI_EEEEENSH_IJSG_SG_SG_EEES9_SI_JZNS1_25segmented_radix_sort_implINS0_14default_configELb1EPKdPdPKlPlN2at6native12_GLOBAL__N_18offset_tEEE10hipError_tPvRmT1_PNSt15iterator_traitsIS12_E10value_typeET2_T3_PNS13_IS18_E10value_typeET4_jRbjT5_S1E_jjP12ihipStream_tbEUljE_ZNSN_ISO_Lb1ESQ_SR_ST_SU_SY_EESZ_S10_S11_S12_S16_S17_S18_S1B_S1C_jS1D_jS1E_S1E_jjS1G_bEUljE0_EEESZ_S10_S11_S18_S1C_S1E_T6_T7_T9_mT8_S1G_bDpT10_ENKUlT_T0_E_clISt17integral_constantIbLb1EES1U_EEDaS1P_S1Q_EUlS1P_E_NS1_11comp_targetILNS1_3genE4ELNS1_11target_archE910ELNS1_3gpuE8ELNS1_3repE0EEENS1_30default_config_static_selectorELNS0_4arch9wavefront6targetE0EEEvS12_.has_dyn_sized_stack, 0
	.set _ZN7rocprim17ROCPRIM_400000_NS6detail17trampoline_kernelINS0_13select_configILj256ELj13ELNS0_17block_load_methodE3ELS4_3ELS4_3ELNS0_20block_scan_algorithmE0ELj4294967295EEENS1_25partition_config_selectorILNS1_17partition_subalgoE4EjNS0_10empty_typeEbEEZZNS1_14partition_implILS8_4ELb0ES6_15HIP_vector_typeIjLj2EENS0_17counting_iteratorIjlEEPS9_SG_NS0_5tupleIJPjSI_NS0_16reverse_iteratorISI_EEEEENSH_IJSG_SG_SG_EEES9_SI_JZNS1_25segmented_radix_sort_implINS0_14default_configELb1EPKdPdPKlPlN2at6native12_GLOBAL__N_18offset_tEEE10hipError_tPvRmT1_PNSt15iterator_traitsIS12_E10value_typeET2_T3_PNS13_IS18_E10value_typeET4_jRbjT5_S1E_jjP12ihipStream_tbEUljE_ZNSN_ISO_Lb1ESQ_SR_ST_SU_SY_EESZ_S10_S11_S12_S16_S17_S18_S1B_S1C_jS1D_jS1E_S1E_jjS1G_bEUljE0_EEESZ_S10_S11_S18_S1C_S1E_T6_T7_T9_mT8_S1G_bDpT10_ENKUlT_T0_E_clISt17integral_constantIbLb1EES1U_EEDaS1P_S1Q_EUlS1P_E_NS1_11comp_targetILNS1_3genE4ELNS1_11target_archE910ELNS1_3gpuE8ELNS1_3repE0EEENS1_30default_config_static_selectorELNS0_4arch9wavefront6targetE0EEEvS12_.has_recursion, 0
	.set _ZN7rocprim17ROCPRIM_400000_NS6detail17trampoline_kernelINS0_13select_configILj256ELj13ELNS0_17block_load_methodE3ELS4_3ELS4_3ELNS0_20block_scan_algorithmE0ELj4294967295EEENS1_25partition_config_selectorILNS1_17partition_subalgoE4EjNS0_10empty_typeEbEEZZNS1_14partition_implILS8_4ELb0ES6_15HIP_vector_typeIjLj2EENS0_17counting_iteratorIjlEEPS9_SG_NS0_5tupleIJPjSI_NS0_16reverse_iteratorISI_EEEEENSH_IJSG_SG_SG_EEES9_SI_JZNS1_25segmented_radix_sort_implINS0_14default_configELb1EPKdPdPKlPlN2at6native12_GLOBAL__N_18offset_tEEE10hipError_tPvRmT1_PNSt15iterator_traitsIS12_E10value_typeET2_T3_PNS13_IS18_E10value_typeET4_jRbjT5_S1E_jjP12ihipStream_tbEUljE_ZNSN_ISO_Lb1ESQ_SR_ST_SU_SY_EESZ_S10_S11_S12_S16_S17_S18_S1B_S1C_jS1D_jS1E_S1E_jjS1G_bEUljE0_EEESZ_S10_S11_S18_S1C_S1E_T6_T7_T9_mT8_S1G_bDpT10_ENKUlT_T0_E_clISt17integral_constantIbLb1EES1U_EEDaS1P_S1Q_EUlS1P_E_NS1_11comp_targetILNS1_3genE4ELNS1_11target_archE910ELNS1_3gpuE8ELNS1_3repE0EEENS1_30default_config_static_selectorELNS0_4arch9wavefront6targetE0EEEvS12_.has_indirect_call, 0
	.section	.AMDGPU.csdata,"",@progbits
; Kernel info:
; codeLenInByte = 0
; TotalNumSgprs: 0
; NumVgprs: 0
; ScratchSize: 0
; MemoryBound: 0
; FloatMode: 240
; IeeeMode: 1
; LDSByteSize: 0 bytes/workgroup (compile time only)
; SGPRBlocks: 0
; VGPRBlocks: 0
; NumSGPRsForWavesPerEU: 1
; NumVGPRsForWavesPerEU: 1
; Occupancy: 16
; WaveLimiterHint : 0
; COMPUTE_PGM_RSRC2:SCRATCH_EN: 0
; COMPUTE_PGM_RSRC2:USER_SGPR: 2
; COMPUTE_PGM_RSRC2:TRAP_HANDLER: 0
; COMPUTE_PGM_RSRC2:TGID_X_EN: 1
; COMPUTE_PGM_RSRC2:TGID_Y_EN: 0
; COMPUTE_PGM_RSRC2:TGID_Z_EN: 0
; COMPUTE_PGM_RSRC2:TIDIG_COMP_CNT: 0
	.section	.text._ZN7rocprim17ROCPRIM_400000_NS6detail17trampoline_kernelINS0_13select_configILj256ELj13ELNS0_17block_load_methodE3ELS4_3ELS4_3ELNS0_20block_scan_algorithmE0ELj4294967295EEENS1_25partition_config_selectorILNS1_17partition_subalgoE4EjNS0_10empty_typeEbEEZZNS1_14partition_implILS8_4ELb0ES6_15HIP_vector_typeIjLj2EENS0_17counting_iteratorIjlEEPS9_SG_NS0_5tupleIJPjSI_NS0_16reverse_iteratorISI_EEEEENSH_IJSG_SG_SG_EEES9_SI_JZNS1_25segmented_radix_sort_implINS0_14default_configELb1EPKdPdPKlPlN2at6native12_GLOBAL__N_18offset_tEEE10hipError_tPvRmT1_PNSt15iterator_traitsIS12_E10value_typeET2_T3_PNS13_IS18_E10value_typeET4_jRbjT5_S1E_jjP12ihipStream_tbEUljE_ZNSN_ISO_Lb1ESQ_SR_ST_SU_SY_EESZ_S10_S11_S12_S16_S17_S18_S1B_S1C_jS1D_jS1E_S1E_jjS1G_bEUljE0_EEESZ_S10_S11_S18_S1C_S1E_T6_T7_T9_mT8_S1G_bDpT10_ENKUlT_T0_E_clISt17integral_constantIbLb1EES1U_EEDaS1P_S1Q_EUlS1P_E_NS1_11comp_targetILNS1_3genE3ELNS1_11target_archE908ELNS1_3gpuE7ELNS1_3repE0EEENS1_30default_config_static_selectorELNS0_4arch9wavefront6targetE0EEEvS12_,"axG",@progbits,_ZN7rocprim17ROCPRIM_400000_NS6detail17trampoline_kernelINS0_13select_configILj256ELj13ELNS0_17block_load_methodE3ELS4_3ELS4_3ELNS0_20block_scan_algorithmE0ELj4294967295EEENS1_25partition_config_selectorILNS1_17partition_subalgoE4EjNS0_10empty_typeEbEEZZNS1_14partition_implILS8_4ELb0ES6_15HIP_vector_typeIjLj2EENS0_17counting_iteratorIjlEEPS9_SG_NS0_5tupleIJPjSI_NS0_16reverse_iteratorISI_EEEEENSH_IJSG_SG_SG_EEES9_SI_JZNS1_25segmented_radix_sort_implINS0_14default_configELb1EPKdPdPKlPlN2at6native12_GLOBAL__N_18offset_tEEE10hipError_tPvRmT1_PNSt15iterator_traitsIS12_E10value_typeET2_T3_PNS13_IS18_E10value_typeET4_jRbjT5_S1E_jjP12ihipStream_tbEUljE_ZNSN_ISO_Lb1ESQ_SR_ST_SU_SY_EESZ_S10_S11_S12_S16_S17_S18_S1B_S1C_jS1D_jS1E_S1E_jjS1G_bEUljE0_EEESZ_S10_S11_S18_S1C_S1E_T6_T7_T9_mT8_S1G_bDpT10_ENKUlT_T0_E_clISt17integral_constantIbLb1EES1U_EEDaS1P_S1Q_EUlS1P_E_NS1_11comp_targetILNS1_3genE3ELNS1_11target_archE908ELNS1_3gpuE7ELNS1_3repE0EEENS1_30default_config_static_selectorELNS0_4arch9wavefront6targetE0EEEvS12_,comdat
	.globl	_ZN7rocprim17ROCPRIM_400000_NS6detail17trampoline_kernelINS0_13select_configILj256ELj13ELNS0_17block_load_methodE3ELS4_3ELS4_3ELNS0_20block_scan_algorithmE0ELj4294967295EEENS1_25partition_config_selectorILNS1_17partition_subalgoE4EjNS0_10empty_typeEbEEZZNS1_14partition_implILS8_4ELb0ES6_15HIP_vector_typeIjLj2EENS0_17counting_iteratorIjlEEPS9_SG_NS0_5tupleIJPjSI_NS0_16reverse_iteratorISI_EEEEENSH_IJSG_SG_SG_EEES9_SI_JZNS1_25segmented_radix_sort_implINS0_14default_configELb1EPKdPdPKlPlN2at6native12_GLOBAL__N_18offset_tEEE10hipError_tPvRmT1_PNSt15iterator_traitsIS12_E10value_typeET2_T3_PNS13_IS18_E10value_typeET4_jRbjT5_S1E_jjP12ihipStream_tbEUljE_ZNSN_ISO_Lb1ESQ_SR_ST_SU_SY_EESZ_S10_S11_S12_S16_S17_S18_S1B_S1C_jS1D_jS1E_S1E_jjS1G_bEUljE0_EEESZ_S10_S11_S18_S1C_S1E_T6_T7_T9_mT8_S1G_bDpT10_ENKUlT_T0_E_clISt17integral_constantIbLb1EES1U_EEDaS1P_S1Q_EUlS1P_E_NS1_11comp_targetILNS1_3genE3ELNS1_11target_archE908ELNS1_3gpuE7ELNS1_3repE0EEENS1_30default_config_static_selectorELNS0_4arch9wavefront6targetE0EEEvS12_ ; -- Begin function _ZN7rocprim17ROCPRIM_400000_NS6detail17trampoline_kernelINS0_13select_configILj256ELj13ELNS0_17block_load_methodE3ELS4_3ELS4_3ELNS0_20block_scan_algorithmE0ELj4294967295EEENS1_25partition_config_selectorILNS1_17partition_subalgoE4EjNS0_10empty_typeEbEEZZNS1_14partition_implILS8_4ELb0ES6_15HIP_vector_typeIjLj2EENS0_17counting_iteratorIjlEEPS9_SG_NS0_5tupleIJPjSI_NS0_16reverse_iteratorISI_EEEEENSH_IJSG_SG_SG_EEES9_SI_JZNS1_25segmented_radix_sort_implINS0_14default_configELb1EPKdPdPKlPlN2at6native12_GLOBAL__N_18offset_tEEE10hipError_tPvRmT1_PNSt15iterator_traitsIS12_E10value_typeET2_T3_PNS13_IS18_E10value_typeET4_jRbjT5_S1E_jjP12ihipStream_tbEUljE_ZNSN_ISO_Lb1ESQ_SR_ST_SU_SY_EESZ_S10_S11_S12_S16_S17_S18_S1B_S1C_jS1D_jS1E_S1E_jjS1G_bEUljE0_EEESZ_S10_S11_S18_S1C_S1E_T6_T7_T9_mT8_S1G_bDpT10_ENKUlT_T0_E_clISt17integral_constantIbLb1EES1U_EEDaS1P_S1Q_EUlS1P_E_NS1_11comp_targetILNS1_3genE3ELNS1_11target_archE908ELNS1_3gpuE7ELNS1_3repE0EEENS1_30default_config_static_selectorELNS0_4arch9wavefront6targetE0EEEvS12_
	.p2align	8
	.type	_ZN7rocprim17ROCPRIM_400000_NS6detail17trampoline_kernelINS0_13select_configILj256ELj13ELNS0_17block_load_methodE3ELS4_3ELS4_3ELNS0_20block_scan_algorithmE0ELj4294967295EEENS1_25partition_config_selectorILNS1_17partition_subalgoE4EjNS0_10empty_typeEbEEZZNS1_14partition_implILS8_4ELb0ES6_15HIP_vector_typeIjLj2EENS0_17counting_iteratorIjlEEPS9_SG_NS0_5tupleIJPjSI_NS0_16reverse_iteratorISI_EEEEENSH_IJSG_SG_SG_EEES9_SI_JZNS1_25segmented_radix_sort_implINS0_14default_configELb1EPKdPdPKlPlN2at6native12_GLOBAL__N_18offset_tEEE10hipError_tPvRmT1_PNSt15iterator_traitsIS12_E10value_typeET2_T3_PNS13_IS18_E10value_typeET4_jRbjT5_S1E_jjP12ihipStream_tbEUljE_ZNSN_ISO_Lb1ESQ_SR_ST_SU_SY_EESZ_S10_S11_S12_S16_S17_S18_S1B_S1C_jS1D_jS1E_S1E_jjS1G_bEUljE0_EEESZ_S10_S11_S18_S1C_S1E_T6_T7_T9_mT8_S1G_bDpT10_ENKUlT_T0_E_clISt17integral_constantIbLb1EES1U_EEDaS1P_S1Q_EUlS1P_E_NS1_11comp_targetILNS1_3genE3ELNS1_11target_archE908ELNS1_3gpuE7ELNS1_3repE0EEENS1_30default_config_static_selectorELNS0_4arch9wavefront6targetE0EEEvS12_,@function
_ZN7rocprim17ROCPRIM_400000_NS6detail17trampoline_kernelINS0_13select_configILj256ELj13ELNS0_17block_load_methodE3ELS4_3ELS4_3ELNS0_20block_scan_algorithmE0ELj4294967295EEENS1_25partition_config_selectorILNS1_17partition_subalgoE4EjNS0_10empty_typeEbEEZZNS1_14partition_implILS8_4ELb0ES6_15HIP_vector_typeIjLj2EENS0_17counting_iteratorIjlEEPS9_SG_NS0_5tupleIJPjSI_NS0_16reverse_iteratorISI_EEEEENSH_IJSG_SG_SG_EEES9_SI_JZNS1_25segmented_radix_sort_implINS0_14default_configELb1EPKdPdPKlPlN2at6native12_GLOBAL__N_18offset_tEEE10hipError_tPvRmT1_PNSt15iterator_traitsIS12_E10value_typeET2_T3_PNS13_IS18_E10value_typeET4_jRbjT5_S1E_jjP12ihipStream_tbEUljE_ZNSN_ISO_Lb1ESQ_SR_ST_SU_SY_EESZ_S10_S11_S12_S16_S17_S18_S1B_S1C_jS1D_jS1E_S1E_jjS1G_bEUljE0_EEESZ_S10_S11_S18_S1C_S1E_T6_T7_T9_mT8_S1G_bDpT10_ENKUlT_T0_E_clISt17integral_constantIbLb1EES1U_EEDaS1P_S1Q_EUlS1P_E_NS1_11comp_targetILNS1_3genE3ELNS1_11target_archE908ELNS1_3gpuE7ELNS1_3repE0EEENS1_30default_config_static_selectorELNS0_4arch9wavefront6targetE0EEEvS12_: ; @_ZN7rocprim17ROCPRIM_400000_NS6detail17trampoline_kernelINS0_13select_configILj256ELj13ELNS0_17block_load_methodE3ELS4_3ELS4_3ELNS0_20block_scan_algorithmE0ELj4294967295EEENS1_25partition_config_selectorILNS1_17partition_subalgoE4EjNS0_10empty_typeEbEEZZNS1_14partition_implILS8_4ELb0ES6_15HIP_vector_typeIjLj2EENS0_17counting_iteratorIjlEEPS9_SG_NS0_5tupleIJPjSI_NS0_16reverse_iteratorISI_EEEEENSH_IJSG_SG_SG_EEES9_SI_JZNS1_25segmented_radix_sort_implINS0_14default_configELb1EPKdPdPKlPlN2at6native12_GLOBAL__N_18offset_tEEE10hipError_tPvRmT1_PNSt15iterator_traitsIS12_E10value_typeET2_T3_PNS13_IS18_E10value_typeET4_jRbjT5_S1E_jjP12ihipStream_tbEUljE_ZNSN_ISO_Lb1ESQ_SR_ST_SU_SY_EESZ_S10_S11_S12_S16_S17_S18_S1B_S1C_jS1D_jS1E_S1E_jjS1G_bEUljE0_EEESZ_S10_S11_S18_S1C_S1E_T6_T7_T9_mT8_S1G_bDpT10_ENKUlT_T0_E_clISt17integral_constantIbLb1EES1U_EEDaS1P_S1Q_EUlS1P_E_NS1_11comp_targetILNS1_3genE3ELNS1_11target_archE908ELNS1_3gpuE7ELNS1_3repE0EEENS1_30default_config_static_selectorELNS0_4arch9wavefront6targetE0EEEvS12_
; %bb.0:
	.section	.rodata,"a",@progbits
	.p2align	6, 0x0
	.amdhsa_kernel _ZN7rocprim17ROCPRIM_400000_NS6detail17trampoline_kernelINS0_13select_configILj256ELj13ELNS0_17block_load_methodE3ELS4_3ELS4_3ELNS0_20block_scan_algorithmE0ELj4294967295EEENS1_25partition_config_selectorILNS1_17partition_subalgoE4EjNS0_10empty_typeEbEEZZNS1_14partition_implILS8_4ELb0ES6_15HIP_vector_typeIjLj2EENS0_17counting_iteratorIjlEEPS9_SG_NS0_5tupleIJPjSI_NS0_16reverse_iteratorISI_EEEEENSH_IJSG_SG_SG_EEES9_SI_JZNS1_25segmented_radix_sort_implINS0_14default_configELb1EPKdPdPKlPlN2at6native12_GLOBAL__N_18offset_tEEE10hipError_tPvRmT1_PNSt15iterator_traitsIS12_E10value_typeET2_T3_PNS13_IS18_E10value_typeET4_jRbjT5_S1E_jjP12ihipStream_tbEUljE_ZNSN_ISO_Lb1ESQ_SR_ST_SU_SY_EESZ_S10_S11_S12_S16_S17_S18_S1B_S1C_jS1D_jS1E_S1E_jjS1G_bEUljE0_EEESZ_S10_S11_S18_S1C_S1E_T6_T7_T9_mT8_S1G_bDpT10_ENKUlT_T0_E_clISt17integral_constantIbLb1EES1U_EEDaS1P_S1Q_EUlS1P_E_NS1_11comp_targetILNS1_3genE3ELNS1_11target_archE908ELNS1_3gpuE7ELNS1_3repE0EEENS1_30default_config_static_selectorELNS0_4arch9wavefront6targetE0EEEvS12_
		.amdhsa_group_segment_fixed_size 0
		.amdhsa_private_segment_fixed_size 0
		.amdhsa_kernarg_size 184
		.amdhsa_user_sgpr_count 2
		.amdhsa_user_sgpr_dispatch_ptr 0
		.amdhsa_user_sgpr_queue_ptr 0
		.amdhsa_user_sgpr_kernarg_segment_ptr 1
		.amdhsa_user_sgpr_dispatch_id 0
		.amdhsa_user_sgpr_private_segment_size 0
		.amdhsa_wavefront_size32 1
		.amdhsa_uses_dynamic_stack 0
		.amdhsa_enable_private_segment 0
		.amdhsa_system_sgpr_workgroup_id_x 1
		.amdhsa_system_sgpr_workgroup_id_y 0
		.amdhsa_system_sgpr_workgroup_id_z 0
		.amdhsa_system_sgpr_workgroup_info 0
		.amdhsa_system_vgpr_workitem_id 0
		.amdhsa_next_free_vgpr 1
		.amdhsa_next_free_sgpr 1
		.amdhsa_reserve_vcc 0
		.amdhsa_float_round_mode_32 0
		.amdhsa_float_round_mode_16_64 0
		.amdhsa_float_denorm_mode_32 3
		.amdhsa_float_denorm_mode_16_64 3
		.amdhsa_fp16_overflow 0
		.amdhsa_workgroup_processor_mode 1
		.amdhsa_memory_ordered 1
		.amdhsa_forward_progress 1
		.amdhsa_inst_pref_size 0
		.amdhsa_round_robin_scheduling 0
		.amdhsa_exception_fp_ieee_invalid_op 0
		.amdhsa_exception_fp_denorm_src 0
		.amdhsa_exception_fp_ieee_div_zero 0
		.amdhsa_exception_fp_ieee_overflow 0
		.amdhsa_exception_fp_ieee_underflow 0
		.amdhsa_exception_fp_ieee_inexact 0
		.amdhsa_exception_int_div_zero 0
	.end_amdhsa_kernel
	.section	.text._ZN7rocprim17ROCPRIM_400000_NS6detail17trampoline_kernelINS0_13select_configILj256ELj13ELNS0_17block_load_methodE3ELS4_3ELS4_3ELNS0_20block_scan_algorithmE0ELj4294967295EEENS1_25partition_config_selectorILNS1_17partition_subalgoE4EjNS0_10empty_typeEbEEZZNS1_14partition_implILS8_4ELb0ES6_15HIP_vector_typeIjLj2EENS0_17counting_iteratorIjlEEPS9_SG_NS0_5tupleIJPjSI_NS0_16reverse_iteratorISI_EEEEENSH_IJSG_SG_SG_EEES9_SI_JZNS1_25segmented_radix_sort_implINS0_14default_configELb1EPKdPdPKlPlN2at6native12_GLOBAL__N_18offset_tEEE10hipError_tPvRmT1_PNSt15iterator_traitsIS12_E10value_typeET2_T3_PNS13_IS18_E10value_typeET4_jRbjT5_S1E_jjP12ihipStream_tbEUljE_ZNSN_ISO_Lb1ESQ_SR_ST_SU_SY_EESZ_S10_S11_S12_S16_S17_S18_S1B_S1C_jS1D_jS1E_S1E_jjS1G_bEUljE0_EEESZ_S10_S11_S18_S1C_S1E_T6_T7_T9_mT8_S1G_bDpT10_ENKUlT_T0_E_clISt17integral_constantIbLb1EES1U_EEDaS1P_S1Q_EUlS1P_E_NS1_11comp_targetILNS1_3genE3ELNS1_11target_archE908ELNS1_3gpuE7ELNS1_3repE0EEENS1_30default_config_static_selectorELNS0_4arch9wavefront6targetE0EEEvS12_,"axG",@progbits,_ZN7rocprim17ROCPRIM_400000_NS6detail17trampoline_kernelINS0_13select_configILj256ELj13ELNS0_17block_load_methodE3ELS4_3ELS4_3ELNS0_20block_scan_algorithmE0ELj4294967295EEENS1_25partition_config_selectorILNS1_17partition_subalgoE4EjNS0_10empty_typeEbEEZZNS1_14partition_implILS8_4ELb0ES6_15HIP_vector_typeIjLj2EENS0_17counting_iteratorIjlEEPS9_SG_NS0_5tupleIJPjSI_NS0_16reverse_iteratorISI_EEEEENSH_IJSG_SG_SG_EEES9_SI_JZNS1_25segmented_radix_sort_implINS0_14default_configELb1EPKdPdPKlPlN2at6native12_GLOBAL__N_18offset_tEEE10hipError_tPvRmT1_PNSt15iterator_traitsIS12_E10value_typeET2_T3_PNS13_IS18_E10value_typeET4_jRbjT5_S1E_jjP12ihipStream_tbEUljE_ZNSN_ISO_Lb1ESQ_SR_ST_SU_SY_EESZ_S10_S11_S12_S16_S17_S18_S1B_S1C_jS1D_jS1E_S1E_jjS1G_bEUljE0_EEESZ_S10_S11_S18_S1C_S1E_T6_T7_T9_mT8_S1G_bDpT10_ENKUlT_T0_E_clISt17integral_constantIbLb1EES1U_EEDaS1P_S1Q_EUlS1P_E_NS1_11comp_targetILNS1_3genE3ELNS1_11target_archE908ELNS1_3gpuE7ELNS1_3repE0EEENS1_30default_config_static_selectorELNS0_4arch9wavefront6targetE0EEEvS12_,comdat
.Lfunc_end1065:
	.size	_ZN7rocprim17ROCPRIM_400000_NS6detail17trampoline_kernelINS0_13select_configILj256ELj13ELNS0_17block_load_methodE3ELS4_3ELS4_3ELNS0_20block_scan_algorithmE0ELj4294967295EEENS1_25partition_config_selectorILNS1_17partition_subalgoE4EjNS0_10empty_typeEbEEZZNS1_14partition_implILS8_4ELb0ES6_15HIP_vector_typeIjLj2EENS0_17counting_iteratorIjlEEPS9_SG_NS0_5tupleIJPjSI_NS0_16reverse_iteratorISI_EEEEENSH_IJSG_SG_SG_EEES9_SI_JZNS1_25segmented_radix_sort_implINS0_14default_configELb1EPKdPdPKlPlN2at6native12_GLOBAL__N_18offset_tEEE10hipError_tPvRmT1_PNSt15iterator_traitsIS12_E10value_typeET2_T3_PNS13_IS18_E10value_typeET4_jRbjT5_S1E_jjP12ihipStream_tbEUljE_ZNSN_ISO_Lb1ESQ_SR_ST_SU_SY_EESZ_S10_S11_S12_S16_S17_S18_S1B_S1C_jS1D_jS1E_S1E_jjS1G_bEUljE0_EEESZ_S10_S11_S18_S1C_S1E_T6_T7_T9_mT8_S1G_bDpT10_ENKUlT_T0_E_clISt17integral_constantIbLb1EES1U_EEDaS1P_S1Q_EUlS1P_E_NS1_11comp_targetILNS1_3genE3ELNS1_11target_archE908ELNS1_3gpuE7ELNS1_3repE0EEENS1_30default_config_static_selectorELNS0_4arch9wavefront6targetE0EEEvS12_, .Lfunc_end1065-_ZN7rocprim17ROCPRIM_400000_NS6detail17trampoline_kernelINS0_13select_configILj256ELj13ELNS0_17block_load_methodE3ELS4_3ELS4_3ELNS0_20block_scan_algorithmE0ELj4294967295EEENS1_25partition_config_selectorILNS1_17partition_subalgoE4EjNS0_10empty_typeEbEEZZNS1_14partition_implILS8_4ELb0ES6_15HIP_vector_typeIjLj2EENS0_17counting_iteratorIjlEEPS9_SG_NS0_5tupleIJPjSI_NS0_16reverse_iteratorISI_EEEEENSH_IJSG_SG_SG_EEES9_SI_JZNS1_25segmented_radix_sort_implINS0_14default_configELb1EPKdPdPKlPlN2at6native12_GLOBAL__N_18offset_tEEE10hipError_tPvRmT1_PNSt15iterator_traitsIS12_E10value_typeET2_T3_PNS13_IS18_E10value_typeET4_jRbjT5_S1E_jjP12ihipStream_tbEUljE_ZNSN_ISO_Lb1ESQ_SR_ST_SU_SY_EESZ_S10_S11_S12_S16_S17_S18_S1B_S1C_jS1D_jS1E_S1E_jjS1G_bEUljE0_EEESZ_S10_S11_S18_S1C_S1E_T6_T7_T9_mT8_S1G_bDpT10_ENKUlT_T0_E_clISt17integral_constantIbLb1EES1U_EEDaS1P_S1Q_EUlS1P_E_NS1_11comp_targetILNS1_3genE3ELNS1_11target_archE908ELNS1_3gpuE7ELNS1_3repE0EEENS1_30default_config_static_selectorELNS0_4arch9wavefront6targetE0EEEvS12_
                                        ; -- End function
	.set _ZN7rocprim17ROCPRIM_400000_NS6detail17trampoline_kernelINS0_13select_configILj256ELj13ELNS0_17block_load_methodE3ELS4_3ELS4_3ELNS0_20block_scan_algorithmE0ELj4294967295EEENS1_25partition_config_selectorILNS1_17partition_subalgoE4EjNS0_10empty_typeEbEEZZNS1_14partition_implILS8_4ELb0ES6_15HIP_vector_typeIjLj2EENS0_17counting_iteratorIjlEEPS9_SG_NS0_5tupleIJPjSI_NS0_16reverse_iteratorISI_EEEEENSH_IJSG_SG_SG_EEES9_SI_JZNS1_25segmented_radix_sort_implINS0_14default_configELb1EPKdPdPKlPlN2at6native12_GLOBAL__N_18offset_tEEE10hipError_tPvRmT1_PNSt15iterator_traitsIS12_E10value_typeET2_T3_PNS13_IS18_E10value_typeET4_jRbjT5_S1E_jjP12ihipStream_tbEUljE_ZNSN_ISO_Lb1ESQ_SR_ST_SU_SY_EESZ_S10_S11_S12_S16_S17_S18_S1B_S1C_jS1D_jS1E_S1E_jjS1G_bEUljE0_EEESZ_S10_S11_S18_S1C_S1E_T6_T7_T9_mT8_S1G_bDpT10_ENKUlT_T0_E_clISt17integral_constantIbLb1EES1U_EEDaS1P_S1Q_EUlS1P_E_NS1_11comp_targetILNS1_3genE3ELNS1_11target_archE908ELNS1_3gpuE7ELNS1_3repE0EEENS1_30default_config_static_selectorELNS0_4arch9wavefront6targetE0EEEvS12_.num_vgpr, 0
	.set _ZN7rocprim17ROCPRIM_400000_NS6detail17trampoline_kernelINS0_13select_configILj256ELj13ELNS0_17block_load_methodE3ELS4_3ELS4_3ELNS0_20block_scan_algorithmE0ELj4294967295EEENS1_25partition_config_selectorILNS1_17partition_subalgoE4EjNS0_10empty_typeEbEEZZNS1_14partition_implILS8_4ELb0ES6_15HIP_vector_typeIjLj2EENS0_17counting_iteratorIjlEEPS9_SG_NS0_5tupleIJPjSI_NS0_16reverse_iteratorISI_EEEEENSH_IJSG_SG_SG_EEES9_SI_JZNS1_25segmented_radix_sort_implINS0_14default_configELb1EPKdPdPKlPlN2at6native12_GLOBAL__N_18offset_tEEE10hipError_tPvRmT1_PNSt15iterator_traitsIS12_E10value_typeET2_T3_PNS13_IS18_E10value_typeET4_jRbjT5_S1E_jjP12ihipStream_tbEUljE_ZNSN_ISO_Lb1ESQ_SR_ST_SU_SY_EESZ_S10_S11_S12_S16_S17_S18_S1B_S1C_jS1D_jS1E_S1E_jjS1G_bEUljE0_EEESZ_S10_S11_S18_S1C_S1E_T6_T7_T9_mT8_S1G_bDpT10_ENKUlT_T0_E_clISt17integral_constantIbLb1EES1U_EEDaS1P_S1Q_EUlS1P_E_NS1_11comp_targetILNS1_3genE3ELNS1_11target_archE908ELNS1_3gpuE7ELNS1_3repE0EEENS1_30default_config_static_selectorELNS0_4arch9wavefront6targetE0EEEvS12_.num_agpr, 0
	.set _ZN7rocprim17ROCPRIM_400000_NS6detail17trampoline_kernelINS0_13select_configILj256ELj13ELNS0_17block_load_methodE3ELS4_3ELS4_3ELNS0_20block_scan_algorithmE0ELj4294967295EEENS1_25partition_config_selectorILNS1_17partition_subalgoE4EjNS0_10empty_typeEbEEZZNS1_14partition_implILS8_4ELb0ES6_15HIP_vector_typeIjLj2EENS0_17counting_iteratorIjlEEPS9_SG_NS0_5tupleIJPjSI_NS0_16reverse_iteratorISI_EEEEENSH_IJSG_SG_SG_EEES9_SI_JZNS1_25segmented_radix_sort_implINS0_14default_configELb1EPKdPdPKlPlN2at6native12_GLOBAL__N_18offset_tEEE10hipError_tPvRmT1_PNSt15iterator_traitsIS12_E10value_typeET2_T3_PNS13_IS18_E10value_typeET4_jRbjT5_S1E_jjP12ihipStream_tbEUljE_ZNSN_ISO_Lb1ESQ_SR_ST_SU_SY_EESZ_S10_S11_S12_S16_S17_S18_S1B_S1C_jS1D_jS1E_S1E_jjS1G_bEUljE0_EEESZ_S10_S11_S18_S1C_S1E_T6_T7_T9_mT8_S1G_bDpT10_ENKUlT_T0_E_clISt17integral_constantIbLb1EES1U_EEDaS1P_S1Q_EUlS1P_E_NS1_11comp_targetILNS1_3genE3ELNS1_11target_archE908ELNS1_3gpuE7ELNS1_3repE0EEENS1_30default_config_static_selectorELNS0_4arch9wavefront6targetE0EEEvS12_.numbered_sgpr, 0
	.set _ZN7rocprim17ROCPRIM_400000_NS6detail17trampoline_kernelINS0_13select_configILj256ELj13ELNS0_17block_load_methodE3ELS4_3ELS4_3ELNS0_20block_scan_algorithmE0ELj4294967295EEENS1_25partition_config_selectorILNS1_17partition_subalgoE4EjNS0_10empty_typeEbEEZZNS1_14partition_implILS8_4ELb0ES6_15HIP_vector_typeIjLj2EENS0_17counting_iteratorIjlEEPS9_SG_NS0_5tupleIJPjSI_NS0_16reverse_iteratorISI_EEEEENSH_IJSG_SG_SG_EEES9_SI_JZNS1_25segmented_radix_sort_implINS0_14default_configELb1EPKdPdPKlPlN2at6native12_GLOBAL__N_18offset_tEEE10hipError_tPvRmT1_PNSt15iterator_traitsIS12_E10value_typeET2_T3_PNS13_IS18_E10value_typeET4_jRbjT5_S1E_jjP12ihipStream_tbEUljE_ZNSN_ISO_Lb1ESQ_SR_ST_SU_SY_EESZ_S10_S11_S12_S16_S17_S18_S1B_S1C_jS1D_jS1E_S1E_jjS1G_bEUljE0_EEESZ_S10_S11_S18_S1C_S1E_T6_T7_T9_mT8_S1G_bDpT10_ENKUlT_T0_E_clISt17integral_constantIbLb1EES1U_EEDaS1P_S1Q_EUlS1P_E_NS1_11comp_targetILNS1_3genE3ELNS1_11target_archE908ELNS1_3gpuE7ELNS1_3repE0EEENS1_30default_config_static_selectorELNS0_4arch9wavefront6targetE0EEEvS12_.num_named_barrier, 0
	.set _ZN7rocprim17ROCPRIM_400000_NS6detail17trampoline_kernelINS0_13select_configILj256ELj13ELNS0_17block_load_methodE3ELS4_3ELS4_3ELNS0_20block_scan_algorithmE0ELj4294967295EEENS1_25partition_config_selectorILNS1_17partition_subalgoE4EjNS0_10empty_typeEbEEZZNS1_14partition_implILS8_4ELb0ES6_15HIP_vector_typeIjLj2EENS0_17counting_iteratorIjlEEPS9_SG_NS0_5tupleIJPjSI_NS0_16reverse_iteratorISI_EEEEENSH_IJSG_SG_SG_EEES9_SI_JZNS1_25segmented_radix_sort_implINS0_14default_configELb1EPKdPdPKlPlN2at6native12_GLOBAL__N_18offset_tEEE10hipError_tPvRmT1_PNSt15iterator_traitsIS12_E10value_typeET2_T3_PNS13_IS18_E10value_typeET4_jRbjT5_S1E_jjP12ihipStream_tbEUljE_ZNSN_ISO_Lb1ESQ_SR_ST_SU_SY_EESZ_S10_S11_S12_S16_S17_S18_S1B_S1C_jS1D_jS1E_S1E_jjS1G_bEUljE0_EEESZ_S10_S11_S18_S1C_S1E_T6_T7_T9_mT8_S1G_bDpT10_ENKUlT_T0_E_clISt17integral_constantIbLb1EES1U_EEDaS1P_S1Q_EUlS1P_E_NS1_11comp_targetILNS1_3genE3ELNS1_11target_archE908ELNS1_3gpuE7ELNS1_3repE0EEENS1_30default_config_static_selectorELNS0_4arch9wavefront6targetE0EEEvS12_.private_seg_size, 0
	.set _ZN7rocprim17ROCPRIM_400000_NS6detail17trampoline_kernelINS0_13select_configILj256ELj13ELNS0_17block_load_methodE3ELS4_3ELS4_3ELNS0_20block_scan_algorithmE0ELj4294967295EEENS1_25partition_config_selectorILNS1_17partition_subalgoE4EjNS0_10empty_typeEbEEZZNS1_14partition_implILS8_4ELb0ES6_15HIP_vector_typeIjLj2EENS0_17counting_iteratorIjlEEPS9_SG_NS0_5tupleIJPjSI_NS0_16reverse_iteratorISI_EEEEENSH_IJSG_SG_SG_EEES9_SI_JZNS1_25segmented_radix_sort_implINS0_14default_configELb1EPKdPdPKlPlN2at6native12_GLOBAL__N_18offset_tEEE10hipError_tPvRmT1_PNSt15iterator_traitsIS12_E10value_typeET2_T3_PNS13_IS18_E10value_typeET4_jRbjT5_S1E_jjP12ihipStream_tbEUljE_ZNSN_ISO_Lb1ESQ_SR_ST_SU_SY_EESZ_S10_S11_S12_S16_S17_S18_S1B_S1C_jS1D_jS1E_S1E_jjS1G_bEUljE0_EEESZ_S10_S11_S18_S1C_S1E_T6_T7_T9_mT8_S1G_bDpT10_ENKUlT_T0_E_clISt17integral_constantIbLb1EES1U_EEDaS1P_S1Q_EUlS1P_E_NS1_11comp_targetILNS1_3genE3ELNS1_11target_archE908ELNS1_3gpuE7ELNS1_3repE0EEENS1_30default_config_static_selectorELNS0_4arch9wavefront6targetE0EEEvS12_.uses_vcc, 0
	.set _ZN7rocprim17ROCPRIM_400000_NS6detail17trampoline_kernelINS0_13select_configILj256ELj13ELNS0_17block_load_methodE3ELS4_3ELS4_3ELNS0_20block_scan_algorithmE0ELj4294967295EEENS1_25partition_config_selectorILNS1_17partition_subalgoE4EjNS0_10empty_typeEbEEZZNS1_14partition_implILS8_4ELb0ES6_15HIP_vector_typeIjLj2EENS0_17counting_iteratorIjlEEPS9_SG_NS0_5tupleIJPjSI_NS0_16reverse_iteratorISI_EEEEENSH_IJSG_SG_SG_EEES9_SI_JZNS1_25segmented_radix_sort_implINS0_14default_configELb1EPKdPdPKlPlN2at6native12_GLOBAL__N_18offset_tEEE10hipError_tPvRmT1_PNSt15iterator_traitsIS12_E10value_typeET2_T3_PNS13_IS18_E10value_typeET4_jRbjT5_S1E_jjP12ihipStream_tbEUljE_ZNSN_ISO_Lb1ESQ_SR_ST_SU_SY_EESZ_S10_S11_S12_S16_S17_S18_S1B_S1C_jS1D_jS1E_S1E_jjS1G_bEUljE0_EEESZ_S10_S11_S18_S1C_S1E_T6_T7_T9_mT8_S1G_bDpT10_ENKUlT_T0_E_clISt17integral_constantIbLb1EES1U_EEDaS1P_S1Q_EUlS1P_E_NS1_11comp_targetILNS1_3genE3ELNS1_11target_archE908ELNS1_3gpuE7ELNS1_3repE0EEENS1_30default_config_static_selectorELNS0_4arch9wavefront6targetE0EEEvS12_.uses_flat_scratch, 0
	.set _ZN7rocprim17ROCPRIM_400000_NS6detail17trampoline_kernelINS0_13select_configILj256ELj13ELNS0_17block_load_methodE3ELS4_3ELS4_3ELNS0_20block_scan_algorithmE0ELj4294967295EEENS1_25partition_config_selectorILNS1_17partition_subalgoE4EjNS0_10empty_typeEbEEZZNS1_14partition_implILS8_4ELb0ES6_15HIP_vector_typeIjLj2EENS0_17counting_iteratorIjlEEPS9_SG_NS0_5tupleIJPjSI_NS0_16reverse_iteratorISI_EEEEENSH_IJSG_SG_SG_EEES9_SI_JZNS1_25segmented_radix_sort_implINS0_14default_configELb1EPKdPdPKlPlN2at6native12_GLOBAL__N_18offset_tEEE10hipError_tPvRmT1_PNSt15iterator_traitsIS12_E10value_typeET2_T3_PNS13_IS18_E10value_typeET4_jRbjT5_S1E_jjP12ihipStream_tbEUljE_ZNSN_ISO_Lb1ESQ_SR_ST_SU_SY_EESZ_S10_S11_S12_S16_S17_S18_S1B_S1C_jS1D_jS1E_S1E_jjS1G_bEUljE0_EEESZ_S10_S11_S18_S1C_S1E_T6_T7_T9_mT8_S1G_bDpT10_ENKUlT_T0_E_clISt17integral_constantIbLb1EES1U_EEDaS1P_S1Q_EUlS1P_E_NS1_11comp_targetILNS1_3genE3ELNS1_11target_archE908ELNS1_3gpuE7ELNS1_3repE0EEENS1_30default_config_static_selectorELNS0_4arch9wavefront6targetE0EEEvS12_.has_dyn_sized_stack, 0
	.set _ZN7rocprim17ROCPRIM_400000_NS6detail17trampoline_kernelINS0_13select_configILj256ELj13ELNS0_17block_load_methodE3ELS4_3ELS4_3ELNS0_20block_scan_algorithmE0ELj4294967295EEENS1_25partition_config_selectorILNS1_17partition_subalgoE4EjNS0_10empty_typeEbEEZZNS1_14partition_implILS8_4ELb0ES6_15HIP_vector_typeIjLj2EENS0_17counting_iteratorIjlEEPS9_SG_NS0_5tupleIJPjSI_NS0_16reverse_iteratorISI_EEEEENSH_IJSG_SG_SG_EEES9_SI_JZNS1_25segmented_radix_sort_implINS0_14default_configELb1EPKdPdPKlPlN2at6native12_GLOBAL__N_18offset_tEEE10hipError_tPvRmT1_PNSt15iterator_traitsIS12_E10value_typeET2_T3_PNS13_IS18_E10value_typeET4_jRbjT5_S1E_jjP12ihipStream_tbEUljE_ZNSN_ISO_Lb1ESQ_SR_ST_SU_SY_EESZ_S10_S11_S12_S16_S17_S18_S1B_S1C_jS1D_jS1E_S1E_jjS1G_bEUljE0_EEESZ_S10_S11_S18_S1C_S1E_T6_T7_T9_mT8_S1G_bDpT10_ENKUlT_T0_E_clISt17integral_constantIbLb1EES1U_EEDaS1P_S1Q_EUlS1P_E_NS1_11comp_targetILNS1_3genE3ELNS1_11target_archE908ELNS1_3gpuE7ELNS1_3repE0EEENS1_30default_config_static_selectorELNS0_4arch9wavefront6targetE0EEEvS12_.has_recursion, 0
	.set _ZN7rocprim17ROCPRIM_400000_NS6detail17trampoline_kernelINS0_13select_configILj256ELj13ELNS0_17block_load_methodE3ELS4_3ELS4_3ELNS0_20block_scan_algorithmE0ELj4294967295EEENS1_25partition_config_selectorILNS1_17partition_subalgoE4EjNS0_10empty_typeEbEEZZNS1_14partition_implILS8_4ELb0ES6_15HIP_vector_typeIjLj2EENS0_17counting_iteratorIjlEEPS9_SG_NS0_5tupleIJPjSI_NS0_16reverse_iteratorISI_EEEEENSH_IJSG_SG_SG_EEES9_SI_JZNS1_25segmented_radix_sort_implINS0_14default_configELb1EPKdPdPKlPlN2at6native12_GLOBAL__N_18offset_tEEE10hipError_tPvRmT1_PNSt15iterator_traitsIS12_E10value_typeET2_T3_PNS13_IS18_E10value_typeET4_jRbjT5_S1E_jjP12ihipStream_tbEUljE_ZNSN_ISO_Lb1ESQ_SR_ST_SU_SY_EESZ_S10_S11_S12_S16_S17_S18_S1B_S1C_jS1D_jS1E_S1E_jjS1G_bEUljE0_EEESZ_S10_S11_S18_S1C_S1E_T6_T7_T9_mT8_S1G_bDpT10_ENKUlT_T0_E_clISt17integral_constantIbLb1EES1U_EEDaS1P_S1Q_EUlS1P_E_NS1_11comp_targetILNS1_3genE3ELNS1_11target_archE908ELNS1_3gpuE7ELNS1_3repE0EEENS1_30default_config_static_selectorELNS0_4arch9wavefront6targetE0EEEvS12_.has_indirect_call, 0
	.section	.AMDGPU.csdata,"",@progbits
; Kernel info:
; codeLenInByte = 0
; TotalNumSgprs: 0
; NumVgprs: 0
; ScratchSize: 0
; MemoryBound: 0
; FloatMode: 240
; IeeeMode: 1
; LDSByteSize: 0 bytes/workgroup (compile time only)
; SGPRBlocks: 0
; VGPRBlocks: 0
; NumSGPRsForWavesPerEU: 1
; NumVGPRsForWavesPerEU: 1
; Occupancy: 16
; WaveLimiterHint : 0
; COMPUTE_PGM_RSRC2:SCRATCH_EN: 0
; COMPUTE_PGM_RSRC2:USER_SGPR: 2
; COMPUTE_PGM_RSRC2:TRAP_HANDLER: 0
; COMPUTE_PGM_RSRC2:TGID_X_EN: 1
; COMPUTE_PGM_RSRC2:TGID_Y_EN: 0
; COMPUTE_PGM_RSRC2:TGID_Z_EN: 0
; COMPUTE_PGM_RSRC2:TIDIG_COMP_CNT: 0
	.section	.text._ZN7rocprim17ROCPRIM_400000_NS6detail17trampoline_kernelINS0_13select_configILj256ELj13ELNS0_17block_load_methodE3ELS4_3ELS4_3ELNS0_20block_scan_algorithmE0ELj4294967295EEENS1_25partition_config_selectorILNS1_17partition_subalgoE4EjNS0_10empty_typeEbEEZZNS1_14partition_implILS8_4ELb0ES6_15HIP_vector_typeIjLj2EENS0_17counting_iteratorIjlEEPS9_SG_NS0_5tupleIJPjSI_NS0_16reverse_iteratorISI_EEEEENSH_IJSG_SG_SG_EEES9_SI_JZNS1_25segmented_radix_sort_implINS0_14default_configELb1EPKdPdPKlPlN2at6native12_GLOBAL__N_18offset_tEEE10hipError_tPvRmT1_PNSt15iterator_traitsIS12_E10value_typeET2_T3_PNS13_IS18_E10value_typeET4_jRbjT5_S1E_jjP12ihipStream_tbEUljE_ZNSN_ISO_Lb1ESQ_SR_ST_SU_SY_EESZ_S10_S11_S12_S16_S17_S18_S1B_S1C_jS1D_jS1E_S1E_jjS1G_bEUljE0_EEESZ_S10_S11_S18_S1C_S1E_T6_T7_T9_mT8_S1G_bDpT10_ENKUlT_T0_E_clISt17integral_constantIbLb1EES1U_EEDaS1P_S1Q_EUlS1P_E_NS1_11comp_targetILNS1_3genE2ELNS1_11target_archE906ELNS1_3gpuE6ELNS1_3repE0EEENS1_30default_config_static_selectorELNS0_4arch9wavefront6targetE0EEEvS12_,"axG",@progbits,_ZN7rocprim17ROCPRIM_400000_NS6detail17trampoline_kernelINS0_13select_configILj256ELj13ELNS0_17block_load_methodE3ELS4_3ELS4_3ELNS0_20block_scan_algorithmE0ELj4294967295EEENS1_25partition_config_selectorILNS1_17partition_subalgoE4EjNS0_10empty_typeEbEEZZNS1_14partition_implILS8_4ELb0ES6_15HIP_vector_typeIjLj2EENS0_17counting_iteratorIjlEEPS9_SG_NS0_5tupleIJPjSI_NS0_16reverse_iteratorISI_EEEEENSH_IJSG_SG_SG_EEES9_SI_JZNS1_25segmented_radix_sort_implINS0_14default_configELb1EPKdPdPKlPlN2at6native12_GLOBAL__N_18offset_tEEE10hipError_tPvRmT1_PNSt15iterator_traitsIS12_E10value_typeET2_T3_PNS13_IS18_E10value_typeET4_jRbjT5_S1E_jjP12ihipStream_tbEUljE_ZNSN_ISO_Lb1ESQ_SR_ST_SU_SY_EESZ_S10_S11_S12_S16_S17_S18_S1B_S1C_jS1D_jS1E_S1E_jjS1G_bEUljE0_EEESZ_S10_S11_S18_S1C_S1E_T6_T7_T9_mT8_S1G_bDpT10_ENKUlT_T0_E_clISt17integral_constantIbLb1EES1U_EEDaS1P_S1Q_EUlS1P_E_NS1_11comp_targetILNS1_3genE2ELNS1_11target_archE906ELNS1_3gpuE6ELNS1_3repE0EEENS1_30default_config_static_selectorELNS0_4arch9wavefront6targetE0EEEvS12_,comdat
	.globl	_ZN7rocprim17ROCPRIM_400000_NS6detail17trampoline_kernelINS0_13select_configILj256ELj13ELNS0_17block_load_methodE3ELS4_3ELS4_3ELNS0_20block_scan_algorithmE0ELj4294967295EEENS1_25partition_config_selectorILNS1_17partition_subalgoE4EjNS0_10empty_typeEbEEZZNS1_14partition_implILS8_4ELb0ES6_15HIP_vector_typeIjLj2EENS0_17counting_iteratorIjlEEPS9_SG_NS0_5tupleIJPjSI_NS0_16reverse_iteratorISI_EEEEENSH_IJSG_SG_SG_EEES9_SI_JZNS1_25segmented_radix_sort_implINS0_14default_configELb1EPKdPdPKlPlN2at6native12_GLOBAL__N_18offset_tEEE10hipError_tPvRmT1_PNSt15iterator_traitsIS12_E10value_typeET2_T3_PNS13_IS18_E10value_typeET4_jRbjT5_S1E_jjP12ihipStream_tbEUljE_ZNSN_ISO_Lb1ESQ_SR_ST_SU_SY_EESZ_S10_S11_S12_S16_S17_S18_S1B_S1C_jS1D_jS1E_S1E_jjS1G_bEUljE0_EEESZ_S10_S11_S18_S1C_S1E_T6_T7_T9_mT8_S1G_bDpT10_ENKUlT_T0_E_clISt17integral_constantIbLb1EES1U_EEDaS1P_S1Q_EUlS1P_E_NS1_11comp_targetILNS1_3genE2ELNS1_11target_archE906ELNS1_3gpuE6ELNS1_3repE0EEENS1_30default_config_static_selectorELNS0_4arch9wavefront6targetE0EEEvS12_ ; -- Begin function _ZN7rocprim17ROCPRIM_400000_NS6detail17trampoline_kernelINS0_13select_configILj256ELj13ELNS0_17block_load_methodE3ELS4_3ELS4_3ELNS0_20block_scan_algorithmE0ELj4294967295EEENS1_25partition_config_selectorILNS1_17partition_subalgoE4EjNS0_10empty_typeEbEEZZNS1_14partition_implILS8_4ELb0ES6_15HIP_vector_typeIjLj2EENS0_17counting_iteratorIjlEEPS9_SG_NS0_5tupleIJPjSI_NS0_16reverse_iteratorISI_EEEEENSH_IJSG_SG_SG_EEES9_SI_JZNS1_25segmented_radix_sort_implINS0_14default_configELb1EPKdPdPKlPlN2at6native12_GLOBAL__N_18offset_tEEE10hipError_tPvRmT1_PNSt15iterator_traitsIS12_E10value_typeET2_T3_PNS13_IS18_E10value_typeET4_jRbjT5_S1E_jjP12ihipStream_tbEUljE_ZNSN_ISO_Lb1ESQ_SR_ST_SU_SY_EESZ_S10_S11_S12_S16_S17_S18_S1B_S1C_jS1D_jS1E_S1E_jjS1G_bEUljE0_EEESZ_S10_S11_S18_S1C_S1E_T6_T7_T9_mT8_S1G_bDpT10_ENKUlT_T0_E_clISt17integral_constantIbLb1EES1U_EEDaS1P_S1Q_EUlS1P_E_NS1_11comp_targetILNS1_3genE2ELNS1_11target_archE906ELNS1_3gpuE6ELNS1_3repE0EEENS1_30default_config_static_selectorELNS0_4arch9wavefront6targetE0EEEvS12_
	.p2align	8
	.type	_ZN7rocprim17ROCPRIM_400000_NS6detail17trampoline_kernelINS0_13select_configILj256ELj13ELNS0_17block_load_methodE3ELS4_3ELS4_3ELNS0_20block_scan_algorithmE0ELj4294967295EEENS1_25partition_config_selectorILNS1_17partition_subalgoE4EjNS0_10empty_typeEbEEZZNS1_14partition_implILS8_4ELb0ES6_15HIP_vector_typeIjLj2EENS0_17counting_iteratorIjlEEPS9_SG_NS0_5tupleIJPjSI_NS0_16reverse_iteratorISI_EEEEENSH_IJSG_SG_SG_EEES9_SI_JZNS1_25segmented_radix_sort_implINS0_14default_configELb1EPKdPdPKlPlN2at6native12_GLOBAL__N_18offset_tEEE10hipError_tPvRmT1_PNSt15iterator_traitsIS12_E10value_typeET2_T3_PNS13_IS18_E10value_typeET4_jRbjT5_S1E_jjP12ihipStream_tbEUljE_ZNSN_ISO_Lb1ESQ_SR_ST_SU_SY_EESZ_S10_S11_S12_S16_S17_S18_S1B_S1C_jS1D_jS1E_S1E_jjS1G_bEUljE0_EEESZ_S10_S11_S18_S1C_S1E_T6_T7_T9_mT8_S1G_bDpT10_ENKUlT_T0_E_clISt17integral_constantIbLb1EES1U_EEDaS1P_S1Q_EUlS1P_E_NS1_11comp_targetILNS1_3genE2ELNS1_11target_archE906ELNS1_3gpuE6ELNS1_3repE0EEENS1_30default_config_static_selectorELNS0_4arch9wavefront6targetE0EEEvS12_,@function
_ZN7rocprim17ROCPRIM_400000_NS6detail17trampoline_kernelINS0_13select_configILj256ELj13ELNS0_17block_load_methodE3ELS4_3ELS4_3ELNS0_20block_scan_algorithmE0ELj4294967295EEENS1_25partition_config_selectorILNS1_17partition_subalgoE4EjNS0_10empty_typeEbEEZZNS1_14partition_implILS8_4ELb0ES6_15HIP_vector_typeIjLj2EENS0_17counting_iteratorIjlEEPS9_SG_NS0_5tupleIJPjSI_NS0_16reverse_iteratorISI_EEEEENSH_IJSG_SG_SG_EEES9_SI_JZNS1_25segmented_radix_sort_implINS0_14default_configELb1EPKdPdPKlPlN2at6native12_GLOBAL__N_18offset_tEEE10hipError_tPvRmT1_PNSt15iterator_traitsIS12_E10value_typeET2_T3_PNS13_IS18_E10value_typeET4_jRbjT5_S1E_jjP12ihipStream_tbEUljE_ZNSN_ISO_Lb1ESQ_SR_ST_SU_SY_EESZ_S10_S11_S12_S16_S17_S18_S1B_S1C_jS1D_jS1E_S1E_jjS1G_bEUljE0_EEESZ_S10_S11_S18_S1C_S1E_T6_T7_T9_mT8_S1G_bDpT10_ENKUlT_T0_E_clISt17integral_constantIbLb1EES1U_EEDaS1P_S1Q_EUlS1P_E_NS1_11comp_targetILNS1_3genE2ELNS1_11target_archE906ELNS1_3gpuE6ELNS1_3repE0EEENS1_30default_config_static_selectorELNS0_4arch9wavefront6targetE0EEEvS12_: ; @_ZN7rocprim17ROCPRIM_400000_NS6detail17trampoline_kernelINS0_13select_configILj256ELj13ELNS0_17block_load_methodE3ELS4_3ELS4_3ELNS0_20block_scan_algorithmE0ELj4294967295EEENS1_25partition_config_selectorILNS1_17partition_subalgoE4EjNS0_10empty_typeEbEEZZNS1_14partition_implILS8_4ELb0ES6_15HIP_vector_typeIjLj2EENS0_17counting_iteratorIjlEEPS9_SG_NS0_5tupleIJPjSI_NS0_16reverse_iteratorISI_EEEEENSH_IJSG_SG_SG_EEES9_SI_JZNS1_25segmented_radix_sort_implINS0_14default_configELb1EPKdPdPKlPlN2at6native12_GLOBAL__N_18offset_tEEE10hipError_tPvRmT1_PNSt15iterator_traitsIS12_E10value_typeET2_T3_PNS13_IS18_E10value_typeET4_jRbjT5_S1E_jjP12ihipStream_tbEUljE_ZNSN_ISO_Lb1ESQ_SR_ST_SU_SY_EESZ_S10_S11_S12_S16_S17_S18_S1B_S1C_jS1D_jS1E_S1E_jjS1G_bEUljE0_EEESZ_S10_S11_S18_S1C_S1E_T6_T7_T9_mT8_S1G_bDpT10_ENKUlT_T0_E_clISt17integral_constantIbLb1EES1U_EEDaS1P_S1Q_EUlS1P_E_NS1_11comp_targetILNS1_3genE2ELNS1_11target_archE906ELNS1_3gpuE6ELNS1_3repE0EEENS1_30default_config_static_selectorELNS0_4arch9wavefront6targetE0EEEvS12_
; %bb.0:
	.section	.rodata,"a",@progbits
	.p2align	6, 0x0
	.amdhsa_kernel _ZN7rocprim17ROCPRIM_400000_NS6detail17trampoline_kernelINS0_13select_configILj256ELj13ELNS0_17block_load_methodE3ELS4_3ELS4_3ELNS0_20block_scan_algorithmE0ELj4294967295EEENS1_25partition_config_selectorILNS1_17partition_subalgoE4EjNS0_10empty_typeEbEEZZNS1_14partition_implILS8_4ELb0ES6_15HIP_vector_typeIjLj2EENS0_17counting_iteratorIjlEEPS9_SG_NS0_5tupleIJPjSI_NS0_16reverse_iteratorISI_EEEEENSH_IJSG_SG_SG_EEES9_SI_JZNS1_25segmented_radix_sort_implINS0_14default_configELb1EPKdPdPKlPlN2at6native12_GLOBAL__N_18offset_tEEE10hipError_tPvRmT1_PNSt15iterator_traitsIS12_E10value_typeET2_T3_PNS13_IS18_E10value_typeET4_jRbjT5_S1E_jjP12ihipStream_tbEUljE_ZNSN_ISO_Lb1ESQ_SR_ST_SU_SY_EESZ_S10_S11_S12_S16_S17_S18_S1B_S1C_jS1D_jS1E_S1E_jjS1G_bEUljE0_EEESZ_S10_S11_S18_S1C_S1E_T6_T7_T9_mT8_S1G_bDpT10_ENKUlT_T0_E_clISt17integral_constantIbLb1EES1U_EEDaS1P_S1Q_EUlS1P_E_NS1_11comp_targetILNS1_3genE2ELNS1_11target_archE906ELNS1_3gpuE6ELNS1_3repE0EEENS1_30default_config_static_selectorELNS0_4arch9wavefront6targetE0EEEvS12_
		.amdhsa_group_segment_fixed_size 0
		.amdhsa_private_segment_fixed_size 0
		.amdhsa_kernarg_size 184
		.amdhsa_user_sgpr_count 2
		.amdhsa_user_sgpr_dispatch_ptr 0
		.amdhsa_user_sgpr_queue_ptr 0
		.amdhsa_user_sgpr_kernarg_segment_ptr 1
		.amdhsa_user_sgpr_dispatch_id 0
		.amdhsa_user_sgpr_private_segment_size 0
		.amdhsa_wavefront_size32 1
		.amdhsa_uses_dynamic_stack 0
		.amdhsa_enable_private_segment 0
		.amdhsa_system_sgpr_workgroup_id_x 1
		.amdhsa_system_sgpr_workgroup_id_y 0
		.amdhsa_system_sgpr_workgroup_id_z 0
		.amdhsa_system_sgpr_workgroup_info 0
		.amdhsa_system_vgpr_workitem_id 0
		.amdhsa_next_free_vgpr 1
		.amdhsa_next_free_sgpr 1
		.amdhsa_reserve_vcc 0
		.amdhsa_float_round_mode_32 0
		.amdhsa_float_round_mode_16_64 0
		.amdhsa_float_denorm_mode_32 3
		.amdhsa_float_denorm_mode_16_64 3
		.amdhsa_fp16_overflow 0
		.amdhsa_workgroup_processor_mode 1
		.amdhsa_memory_ordered 1
		.amdhsa_forward_progress 1
		.amdhsa_inst_pref_size 0
		.amdhsa_round_robin_scheduling 0
		.amdhsa_exception_fp_ieee_invalid_op 0
		.amdhsa_exception_fp_denorm_src 0
		.amdhsa_exception_fp_ieee_div_zero 0
		.amdhsa_exception_fp_ieee_overflow 0
		.amdhsa_exception_fp_ieee_underflow 0
		.amdhsa_exception_fp_ieee_inexact 0
		.amdhsa_exception_int_div_zero 0
	.end_amdhsa_kernel
	.section	.text._ZN7rocprim17ROCPRIM_400000_NS6detail17trampoline_kernelINS0_13select_configILj256ELj13ELNS0_17block_load_methodE3ELS4_3ELS4_3ELNS0_20block_scan_algorithmE0ELj4294967295EEENS1_25partition_config_selectorILNS1_17partition_subalgoE4EjNS0_10empty_typeEbEEZZNS1_14partition_implILS8_4ELb0ES6_15HIP_vector_typeIjLj2EENS0_17counting_iteratorIjlEEPS9_SG_NS0_5tupleIJPjSI_NS0_16reverse_iteratorISI_EEEEENSH_IJSG_SG_SG_EEES9_SI_JZNS1_25segmented_radix_sort_implINS0_14default_configELb1EPKdPdPKlPlN2at6native12_GLOBAL__N_18offset_tEEE10hipError_tPvRmT1_PNSt15iterator_traitsIS12_E10value_typeET2_T3_PNS13_IS18_E10value_typeET4_jRbjT5_S1E_jjP12ihipStream_tbEUljE_ZNSN_ISO_Lb1ESQ_SR_ST_SU_SY_EESZ_S10_S11_S12_S16_S17_S18_S1B_S1C_jS1D_jS1E_S1E_jjS1G_bEUljE0_EEESZ_S10_S11_S18_S1C_S1E_T6_T7_T9_mT8_S1G_bDpT10_ENKUlT_T0_E_clISt17integral_constantIbLb1EES1U_EEDaS1P_S1Q_EUlS1P_E_NS1_11comp_targetILNS1_3genE2ELNS1_11target_archE906ELNS1_3gpuE6ELNS1_3repE0EEENS1_30default_config_static_selectorELNS0_4arch9wavefront6targetE0EEEvS12_,"axG",@progbits,_ZN7rocprim17ROCPRIM_400000_NS6detail17trampoline_kernelINS0_13select_configILj256ELj13ELNS0_17block_load_methodE3ELS4_3ELS4_3ELNS0_20block_scan_algorithmE0ELj4294967295EEENS1_25partition_config_selectorILNS1_17partition_subalgoE4EjNS0_10empty_typeEbEEZZNS1_14partition_implILS8_4ELb0ES6_15HIP_vector_typeIjLj2EENS0_17counting_iteratorIjlEEPS9_SG_NS0_5tupleIJPjSI_NS0_16reverse_iteratorISI_EEEEENSH_IJSG_SG_SG_EEES9_SI_JZNS1_25segmented_radix_sort_implINS0_14default_configELb1EPKdPdPKlPlN2at6native12_GLOBAL__N_18offset_tEEE10hipError_tPvRmT1_PNSt15iterator_traitsIS12_E10value_typeET2_T3_PNS13_IS18_E10value_typeET4_jRbjT5_S1E_jjP12ihipStream_tbEUljE_ZNSN_ISO_Lb1ESQ_SR_ST_SU_SY_EESZ_S10_S11_S12_S16_S17_S18_S1B_S1C_jS1D_jS1E_S1E_jjS1G_bEUljE0_EEESZ_S10_S11_S18_S1C_S1E_T6_T7_T9_mT8_S1G_bDpT10_ENKUlT_T0_E_clISt17integral_constantIbLb1EES1U_EEDaS1P_S1Q_EUlS1P_E_NS1_11comp_targetILNS1_3genE2ELNS1_11target_archE906ELNS1_3gpuE6ELNS1_3repE0EEENS1_30default_config_static_selectorELNS0_4arch9wavefront6targetE0EEEvS12_,comdat
.Lfunc_end1066:
	.size	_ZN7rocprim17ROCPRIM_400000_NS6detail17trampoline_kernelINS0_13select_configILj256ELj13ELNS0_17block_load_methodE3ELS4_3ELS4_3ELNS0_20block_scan_algorithmE0ELj4294967295EEENS1_25partition_config_selectorILNS1_17partition_subalgoE4EjNS0_10empty_typeEbEEZZNS1_14partition_implILS8_4ELb0ES6_15HIP_vector_typeIjLj2EENS0_17counting_iteratorIjlEEPS9_SG_NS0_5tupleIJPjSI_NS0_16reverse_iteratorISI_EEEEENSH_IJSG_SG_SG_EEES9_SI_JZNS1_25segmented_radix_sort_implINS0_14default_configELb1EPKdPdPKlPlN2at6native12_GLOBAL__N_18offset_tEEE10hipError_tPvRmT1_PNSt15iterator_traitsIS12_E10value_typeET2_T3_PNS13_IS18_E10value_typeET4_jRbjT5_S1E_jjP12ihipStream_tbEUljE_ZNSN_ISO_Lb1ESQ_SR_ST_SU_SY_EESZ_S10_S11_S12_S16_S17_S18_S1B_S1C_jS1D_jS1E_S1E_jjS1G_bEUljE0_EEESZ_S10_S11_S18_S1C_S1E_T6_T7_T9_mT8_S1G_bDpT10_ENKUlT_T0_E_clISt17integral_constantIbLb1EES1U_EEDaS1P_S1Q_EUlS1P_E_NS1_11comp_targetILNS1_3genE2ELNS1_11target_archE906ELNS1_3gpuE6ELNS1_3repE0EEENS1_30default_config_static_selectorELNS0_4arch9wavefront6targetE0EEEvS12_, .Lfunc_end1066-_ZN7rocprim17ROCPRIM_400000_NS6detail17trampoline_kernelINS0_13select_configILj256ELj13ELNS0_17block_load_methodE3ELS4_3ELS4_3ELNS0_20block_scan_algorithmE0ELj4294967295EEENS1_25partition_config_selectorILNS1_17partition_subalgoE4EjNS0_10empty_typeEbEEZZNS1_14partition_implILS8_4ELb0ES6_15HIP_vector_typeIjLj2EENS0_17counting_iteratorIjlEEPS9_SG_NS0_5tupleIJPjSI_NS0_16reverse_iteratorISI_EEEEENSH_IJSG_SG_SG_EEES9_SI_JZNS1_25segmented_radix_sort_implINS0_14default_configELb1EPKdPdPKlPlN2at6native12_GLOBAL__N_18offset_tEEE10hipError_tPvRmT1_PNSt15iterator_traitsIS12_E10value_typeET2_T3_PNS13_IS18_E10value_typeET4_jRbjT5_S1E_jjP12ihipStream_tbEUljE_ZNSN_ISO_Lb1ESQ_SR_ST_SU_SY_EESZ_S10_S11_S12_S16_S17_S18_S1B_S1C_jS1D_jS1E_S1E_jjS1G_bEUljE0_EEESZ_S10_S11_S18_S1C_S1E_T6_T7_T9_mT8_S1G_bDpT10_ENKUlT_T0_E_clISt17integral_constantIbLb1EES1U_EEDaS1P_S1Q_EUlS1P_E_NS1_11comp_targetILNS1_3genE2ELNS1_11target_archE906ELNS1_3gpuE6ELNS1_3repE0EEENS1_30default_config_static_selectorELNS0_4arch9wavefront6targetE0EEEvS12_
                                        ; -- End function
	.set _ZN7rocprim17ROCPRIM_400000_NS6detail17trampoline_kernelINS0_13select_configILj256ELj13ELNS0_17block_load_methodE3ELS4_3ELS4_3ELNS0_20block_scan_algorithmE0ELj4294967295EEENS1_25partition_config_selectorILNS1_17partition_subalgoE4EjNS0_10empty_typeEbEEZZNS1_14partition_implILS8_4ELb0ES6_15HIP_vector_typeIjLj2EENS0_17counting_iteratorIjlEEPS9_SG_NS0_5tupleIJPjSI_NS0_16reverse_iteratorISI_EEEEENSH_IJSG_SG_SG_EEES9_SI_JZNS1_25segmented_radix_sort_implINS0_14default_configELb1EPKdPdPKlPlN2at6native12_GLOBAL__N_18offset_tEEE10hipError_tPvRmT1_PNSt15iterator_traitsIS12_E10value_typeET2_T3_PNS13_IS18_E10value_typeET4_jRbjT5_S1E_jjP12ihipStream_tbEUljE_ZNSN_ISO_Lb1ESQ_SR_ST_SU_SY_EESZ_S10_S11_S12_S16_S17_S18_S1B_S1C_jS1D_jS1E_S1E_jjS1G_bEUljE0_EEESZ_S10_S11_S18_S1C_S1E_T6_T7_T9_mT8_S1G_bDpT10_ENKUlT_T0_E_clISt17integral_constantIbLb1EES1U_EEDaS1P_S1Q_EUlS1P_E_NS1_11comp_targetILNS1_3genE2ELNS1_11target_archE906ELNS1_3gpuE6ELNS1_3repE0EEENS1_30default_config_static_selectorELNS0_4arch9wavefront6targetE0EEEvS12_.num_vgpr, 0
	.set _ZN7rocprim17ROCPRIM_400000_NS6detail17trampoline_kernelINS0_13select_configILj256ELj13ELNS0_17block_load_methodE3ELS4_3ELS4_3ELNS0_20block_scan_algorithmE0ELj4294967295EEENS1_25partition_config_selectorILNS1_17partition_subalgoE4EjNS0_10empty_typeEbEEZZNS1_14partition_implILS8_4ELb0ES6_15HIP_vector_typeIjLj2EENS0_17counting_iteratorIjlEEPS9_SG_NS0_5tupleIJPjSI_NS0_16reverse_iteratorISI_EEEEENSH_IJSG_SG_SG_EEES9_SI_JZNS1_25segmented_radix_sort_implINS0_14default_configELb1EPKdPdPKlPlN2at6native12_GLOBAL__N_18offset_tEEE10hipError_tPvRmT1_PNSt15iterator_traitsIS12_E10value_typeET2_T3_PNS13_IS18_E10value_typeET4_jRbjT5_S1E_jjP12ihipStream_tbEUljE_ZNSN_ISO_Lb1ESQ_SR_ST_SU_SY_EESZ_S10_S11_S12_S16_S17_S18_S1B_S1C_jS1D_jS1E_S1E_jjS1G_bEUljE0_EEESZ_S10_S11_S18_S1C_S1E_T6_T7_T9_mT8_S1G_bDpT10_ENKUlT_T0_E_clISt17integral_constantIbLb1EES1U_EEDaS1P_S1Q_EUlS1P_E_NS1_11comp_targetILNS1_3genE2ELNS1_11target_archE906ELNS1_3gpuE6ELNS1_3repE0EEENS1_30default_config_static_selectorELNS0_4arch9wavefront6targetE0EEEvS12_.num_agpr, 0
	.set _ZN7rocprim17ROCPRIM_400000_NS6detail17trampoline_kernelINS0_13select_configILj256ELj13ELNS0_17block_load_methodE3ELS4_3ELS4_3ELNS0_20block_scan_algorithmE0ELj4294967295EEENS1_25partition_config_selectorILNS1_17partition_subalgoE4EjNS0_10empty_typeEbEEZZNS1_14partition_implILS8_4ELb0ES6_15HIP_vector_typeIjLj2EENS0_17counting_iteratorIjlEEPS9_SG_NS0_5tupleIJPjSI_NS0_16reverse_iteratorISI_EEEEENSH_IJSG_SG_SG_EEES9_SI_JZNS1_25segmented_radix_sort_implINS0_14default_configELb1EPKdPdPKlPlN2at6native12_GLOBAL__N_18offset_tEEE10hipError_tPvRmT1_PNSt15iterator_traitsIS12_E10value_typeET2_T3_PNS13_IS18_E10value_typeET4_jRbjT5_S1E_jjP12ihipStream_tbEUljE_ZNSN_ISO_Lb1ESQ_SR_ST_SU_SY_EESZ_S10_S11_S12_S16_S17_S18_S1B_S1C_jS1D_jS1E_S1E_jjS1G_bEUljE0_EEESZ_S10_S11_S18_S1C_S1E_T6_T7_T9_mT8_S1G_bDpT10_ENKUlT_T0_E_clISt17integral_constantIbLb1EES1U_EEDaS1P_S1Q_EUlS1P_E_NS1_11comp_targetILNS1_3genE2ELNS1_11target_archE906ELNS1_3gpuE6ELNS1_3repE0EEENS1_30default_config_static_selectorELNS0_4arch9wavefront6targetE0EEEvS12_.numbered_sgpr, 0
	.set _ZN7rocprim17ROCPRIM_400000_NS6detail17trampoline_kernelINS0_13select_configILj256ELj13ELNS0_17block_load_methodE3ELS4_3ELS4_3ELNS0_20block_scan_algorithmE0ELj4294967295EEENS1_25partition_config_selectorILNS1_17partition_subalgoE4EjNS0_10empty_typeEbEEZZNS1_14partition_implILS8_4ELb0ES6_15HIP_vector_typeIjLj2EENS0_17counting_iteratorIjlEEPS9_SG_NS0_5tupleIJPjSI_NS0_16reverse_iteratorISI_EEEEENSH_IJSG_SG_SG_EEES9_SI_JZNS1_25segmented_radix_sort_implINS0_14default_configELb1EPKdPdPKlPlN2at6native12_GLOBAL__N_18offset_tEEE10hipError_tPvRmT1_PNSt15iterator_traitsIS12_E10value_typeET2_T3_PNS13_IS18_E10value_typeET4_jRbjT5_S1E_jjP12ihipStream_tbEUljE_ZNSN_ISO_Lb1ESQ_SR_ST_SU_SY_EESZ_S10_S11_S12_S16_S17_S18_S1B_S1C_jS1D_jS1E_S1E_jjS1G_bEUljE0_EEESZ_S10_S11_S18_S1C_S1E_T6_T7_T9_mT8_S1G_bDpT10_ENKUlT_T0_E_clISt17integral_constantIbLb1EES1U_EEDaS1P_S1Q_EUlS1P_E_NS1_11comp_targetILNS1_3genE2ELNS1_11target_archE906ELNS1_3gpuE6ELNS1_3repE0EEENS1_30default_config_static_selectorELNS0_4arch9wavefront6targetE0EEEvS12_.num_named_barrier, 0
	.set _ZN7rocprim17ROCPRIM_400000_NS6detail17trampoline_kernelINS0_13select_configILj256ELj13ELNS0_17block_load_methodE3ELS4_3ELS4_3ELNS0_20block_scan_algorithmE0ELj4294967295EEENS1_25partition_config_selectorILNS1_17partition_subalgoE4EjNS0_10empty_typeEbEEZZNS1_14partition_implILS8_4ELb0ES6_15HIP_vector_typeIjLj2EENS0_17counting_iteratorIjlEEPS9_SG_NS0_5tupleIJPjSI_NS0_16reverse_iteratorISI_EEEEENSH_IJSG_SG_SG_EEES9_SI_JZNS1_25segmented_radix_sort_implINS0_14default_configELb1EPKdPdPKlPlN2at6native12_GLOBAL__N_18offset_tEEE10hipError_tPvRmT1_PNSt15iterator_traitsIS12_E10value_typeET2_T3_PNS13_IS18_E10value_typeET4_jRbjT5_S1E_jjP12ihipStream_tbEUljE_ZNSN_ISO_Lb1ESQ_SR_ST_SU_SY_EESZ_S10_S11_S12_S16_S17_S18_S1B_S1C_jS1D_jS1E_S1E_jjS1G_bEUljE0_EEESZ_S10_S11_S18_S1C_S1E_T6_T7_T9_mT8_S1G_bDpT10_ENKUlT_T0_E_clISt17integral_constantIbLb1EES1U_EEDaS1P_S1Q_EUlS1P_E_NS1_11comp_targetILNS1_3genE2ELNS1_11target_archE906ELNS1_3gpuE6ELNS1_3repE0EEENS1_30default_config_static_selectorELNS0_4arch9wavefront6targetE0EEEvS12_.private_seg_size, 0
	.set _ZN7rocprim17ROCPRIM_400000_NS6detail17trampoline_kernelINS0_13select_configILj256ELj13ELNS0_17block_load_methodE3ELS4_3ELS4_3ELNS0_20block_scan_algorithmE0ELj4294967295EEENS1_25partition_config_selectorILNS1_17partition_subalgoE4EjNS0_10empty_typeEbEEZZNS1_14partition_implILS8_4ELb0ES6_15HIP_vector_typeIjLj2EENS0_17counting_iteratorIjlEEPS9_SG_NS0_5tupleIJPjSI_NS0_16reverse_iteratorISI_EEEEENSH_IJSG_SG_SG_EEES9_SI_JZNS1_25segmented_radix_sort_implINS0_14default_configELb1EPKdPdPKlPlN2at6native12_GLOBAL__N_18offset_tEEE10hipError_tPvRmT1_PNSt15iterator_traitsIS12_E10value_typeET2_T3_PNS13_IS18_E10value_typeET4_jRbjT5_S1E_jjP12ihipStream_tbEUljE_ZNSN_ISO_Lb1ESQ_SR_ST_SU_SY_EESZ_S10_S11_S12_S16_S17_S18_S1B_S1C_jS1D_jS1E_S1E_jjS1G_bEUljE0_EEESZ_S10_S11_S18_S1C_S1E_T6_T7_T9_mT8_S1G_bDpT10_ENKUlT_T0_E_clISt17integral_constantIbLb1EES1U_EEDaS1P_S1Q_EUlS1P_E_NS1_11comp_targetILNS1_3genE2ELNS1_11target_archE906ELNS1_3gpuE6ELNS1_3repE0EEENS1_30default_config_static_selectorELNS0_4arch9wavefront6targetE0EEEvS12_.uses_vcc, 0
	.set _ZN7rocprim17ROCPRIM_400000_NS6detail17trampoline_kernelINS0_13select_configILj256ELj13ELNS0_17block_load_methodE3ELS4_3ELS4_3ELNS0_20block_scan_algorithmE0ELj4294967295EEENS1_25partition_config_selectorILNS1_17partition_subalgoE4EjNS0_10empty_typeEbEEZZNS1_14partition_implILS8_4ELb0ES6_15HIP_vector_typeIjLj2EENS0_17counting_iteratorIjlEEPS9_SG_NS0_5tupleIJPjSI_NS0_16reverse_iteratorISI_EEEEENSH_IJSG_SG_SG_EEES9_SI_JZNS1_25segmented_radix_sort_implINS0_14default_configELb1EPKdPdPKlPlN2at6native12_GLOBAL__N_18offset_tEEE10hipError_tPvRmT1_PNSt15iterator_traitsIS12_E10value_typeET2_T3_PNS13_IS18_E10value_typeET4_jRbjT5_S1E_jjP12ihipStream_tbEUljE_ZNSN_ISO_Lb1ESQ_SR_ST_SU_SY_EESZ_S10_S11_S12_S16_S17_S18_S1B_S1C_jS1D_jS1E_S1E_jjS1G_bEUljE0_EEESZ_S10_S11_S18_S1C_S1E_T6_T7_T9_mT8_S1G_bDpT10_ENKUlT_T0_E_clISt17integral_constantIbLb1EES1U_EEDaS1P_S1Q_EUlS1P_E_NS1_11comp_targetILNS1_3genE2ELNS1_11target_archE906ELNS1_3gpuE6ELNS1_3repE0EEENS1_30default_config_static_selectorELNS0_4arch9wavefront6targetE0EEEvS12_.uses_flat_scratch, 0
	.set _ZN7rocprim17ROCPRIM_400000_NS6detail17trampoline_kernelINS0_13select_configILj256ELj13ELNS0_17block_load_methodE3ELS4_3ELS4_3ELNS0_20block_scan_algorithmE0ELj4294967295EEENS1_25partition_config_selectorILNS1_17partition_subalgoE4EjNS0_10empty_typeEbEEZZNS1_14partition_implILS8_4ELb0ES6_15HIP_vector_typeIjLj2EENS0_17counting_iteratorIjlEEPS9_SG_NS0_5tupleIJPjSI_NS0_16reverse_iteratorISI_EEEEENSH_IJSG_SG_SG_EEES9_SI_JZNS1_25segmented_radix_sort_implINS0_14default_configELb1EPKdPdPKlPlN2at6native12_GLOBAL__N_18offset_tEEE10hipError_tPvRmT1_PNSt15iterator_traitsIS12_E10value_typeET2_T3_PNS13_IS18_E10value_typeET4_jRbjT5_S1E_jjP12ihipStream_tbEUljE_ZNSN_ISO_Lb1ESQ_SR_ST_SU_SY_EESZ_S10_S11_S12_S16_S17_S18_S1B_S1C_jS1D_jS1E_S1E_jjS1G_bEUljE0_EEESZ_S10_S11_S18_S1C_S1E_T6_T7_T9_mT8_S1G_bDpT10_ENKUlT_T0_E_clISt17integral_constantIbLb1EES1U_EEDaS1P_S1Q_EUlS1P_E_NS1_11comp_targetILNS1_3genE2ELNS1_11target_archE906ELNS1_3gpuE6ELNS1_3repE0EEENS1_30default_config_static_selectorELNS0_4arch9wavefront6targetE0EEEvS12_.has_dyn_sized_stack, 0
	.set _ZN7rocprim17ROCPRIM_400000_NS6detail17trampoline_kernelINS0_13select_configILj256ELj13ELNS0_17block_load_methodE3ELS4_3ELS4_3ELNS0_20block_scan_algorithmE0ELj4294967295EEENS1_25partition_config_selectorILNS1_17partition_subalgoE4EjNS0_10empty_typeEbEEZZNS1_14partition_implILS8_4ELb0ES6_15HIP_vector_typeIjLj2EENS0_17counting_iteratorIjlEEPS9_SG_NS0_5tupleIJPjSI_NS0_16reverse_iteratorISI_EEEEENSH_IJSG_SG_SG_EEES9_SI_JZNS1_25segmented_radix_sort_implINS0_14default_configELb1EPKdPdPKlPlN2at6native12_GLOBAL__N_18offset_tEEE10hipError_tPvRmT1_PNSt15iterator_traitsIS12_E10value_typeET2_T3_PNS13_IS18_E10value_typeET4_jRbjT5_S1E_jjP12ihipStream_tbEUljE_ZNSN_ISO_Lb1ESQ_SR_ST_SU_SY_EESZ_S10_S11_S12_S16_S17_S18_S1B_S1C_jS1D_jS1E_S1E_jjS1G_bEUljE0_EEESZ_S10_S11_S18_S1C_S1E_T6_T7_T9_mT8_S1G_bDpT10_ENKUlT_T0_E_clISt17integral_constantIbLb1EES1U_EEDaS1P_S1Q_EUlS1P_E_NS1_11comp_targetILNS1_3genE2ELNS1_11target_archE906ELNS1_3gpuE6ELNS1_3repE0EEENS1_30default_config_static_selectorELNS0_4arch9wavefront6targetE0EEEvS12_.has_recursion, 0
	.set _ZN7rocprim17ROCPRIM_400000_NS6detail17trampoline_kernelINS0_13select_configILj256ELj13ELNS0_17block_load_methodE3ELS4_3ELS4_3ELNS0_20block_scan_algorithmE0ELj4294967295EEENS1_25partition_config_selectorILNS1_17partition_subalgoE4EjNS0_10empty_typeEbEEZZNS1_14partition_implILS8_4ELb0ES6_15HIP_vector_typeIjLj2EENS0_17counting_iteratorIjlEEPS9_SG_NS0_5tupleIJPjSI_NS0_16reverse_iteratorISI_EEEEENSH_IJSG_SG_SG_EEES9_SI_JZNS1_25segmented_radix_sort_implINS0_14default_configELb1EPKdPdPKlPlN2at6native12_GLOBAL__N_18offset_tEEE10hipError_tPvRmT1_PNSt15iterator_traitsIS12_E10value_typeET2_T3_PNS13_IS18_E10value_typeET4_jRbjT5_S1E_jjP12ihipStream_tbEUljE_ZNSN_ISO_Lb1ESQ_SR_ST_SU_SY_EESZ_S10_S11_S12_S16_S17_S18_S1B_S1C_jS1D_jS1E_S1E_jjS1G_bEUljE0_EEESZ_S10_S11_S18_S1C_S1E_T6_T7_T9_mT8_S1G_bDpT10_ENKUlT_T0_E_clISt17integral_constantIbLb1EES1U_EEDaS1P_S1Q_EUlS1P_E_NS1_11comp_targetILNS1_3genE2ELNS1_11target_archE906ELNS1_3gpuE6ELNS1_3repE0EEENS1_30default_config_static_selectorELNS0_4arch9wavefront6targetE0EEEvS12_.has_indirect_call, 0
	.section	.AMDGPU.csdata,"",@progbits
; Kernel info:
; codeLenInByte = 0
; TotalNumSgprs: 0
; NumVgprs: 0
; ScratchSize: 0
; MemoryBound: 0
; FloatMode: 240
; IeeeMode: 1
; LDSByteSize: 0 bytes/workgroup (compile time only)
; SGPRBlocks: 0
; VGPRBlocks: 0
; NumSGPRsForWavesPerEU: 1
; NumVGPRsForWavesPerEU: 1
; Occupancy: 16
; WaveLimiterHint : 0
; COMPUTE_PGM_RSRC2:SCRATCH_EN: 0
; COMPUTE_PGM_RSRC2:USER_SGPR: 2
; COMPUTE_PGM_RSRC2:TRAP_HANDLER: 0
; COMPUTE_PGM_RSRC2:TGID_X_EN: 1
; COMPUTE_PGM_RSRC2:TGID_Y_EN: 0
; COMPUTE_PGM_RSRC2:TGID_Z_EN: 0
; COMPUTE_PGM_RSRC2:TIDIG_COMP_CNT: 0
	.section	.text._ZN7rocprim17ROCPRIM_400000_NS6detail17trampoline_kernelINS0_13select_configILj256ELj13ELNS0_17block_load_methodE3ELS4_3ELS4_3ELNS0_20block_scan_algorithmE0ELj4294967295EEENS1_25partition_config_selectorILNS1_17partition_subalgoE4EjNS0_10empty_typeEbEEZZNS1_14partition_implILS8_4ELb0ES6_15HIP_vector_typeIjLj2EENS0_17counting_iteratorIjlEEPS9_SG_NS0_5tupleIJPjSI_NS0_16reverse_iteratorISI_EEEEENSH_IJSG_SG_SG_EEES9_SI_JZNS1_25segmented_radix_sort_implINS0_14default_configELb1EPKdPdPKlPlN2at6native12_GLOBAL__N_18offset_tEEE10hipError_tPvRmT1_PNSt15iterator_traitsIS12_E10value_typeET2_T3_PNS13_IS18_E10value_typeET4_jRbjT5_S1E_jjP12ihipStream_tbEUljE_ZNSN_ISO_Lb1ESQ_SR_ST_SU_SY_EESZ_S10_S11_S12_S16_S17_S18_S1B_S1C_jS1D_jS1E_S1E_jjS1G_bEUljE0_EEESZ_S10_S11_S18_S1C_S1E_T6_T7_T9_mT8_S1G_bDpT10_ENKUlT_T0_E_clISt17integral_constantIbLb1EES1U_EEDaS1P_S1Q_EUlS1P_E_NS1_11comp_targetILNS1_3genE10ELNS1_11target_archE1200ELNS1_3gpuE4ELNS1_3repE0EEENS1_30default_config_static_selectorELNS0_4arch9wavefront6targetE0EEEvS12_,"axG",@progbits,_ZN7rocprim17ROCPRIM_400000_NS6detail17trampoline_kernelINS0_13select_configILj256ELj13ELNS0_17block_load_methodE3ELS4_3ELS4_3ELNS0_20block_scan_algorithmE0ELj4294967295EEENS1_25partition_config_selectorILNS1_17partition_subalgoE4EjNS0_10empty_typeEbEEZZNS1_14partition_implILS8_4ELb0ES6_15HIP_vector_typeIjLj2EENS0_17counting_iteratorIjlEEPS9_SG_NS0_5tupleIJPjSI_NS0_16reverse_iteratorISI_EEEEENSH_IJSG_SG_SG_EEES9_SI_JZNS1_25segmented_radix_sort_implINS0_14default_configELb1EPKdPdPKlPlN2at6native12_GLOBAL__N_18offset_tEEE10hipError_tPvRmT1_PNSt15iterator_traitsIS12_E10value_typeET2_T3_PNS13_IS18_E10value_typeET4_jRbjT5_S1E_jjP12ihipStream_tbEUljE_ZNSN_ISO_Lb1ESQ_SR_ST_SU_SY_EESZ_S10_S11_S12_S16_S17_S18_S1B_S1C_jS1D_jS1E_S1E_jjS1G_bEUljE0_EEESZ_S10_S11_S18_S1C_S1E_T6_T7_T9_mT8_S1G_bDpT10_ENKUlT_T0_E_clISt17integral_constantIbLb1EES1U_EEDaS1P_S1Q_EUlS1P_E_NS1_11comp_targetILNS1_3genE10ELNS1_11target_archE1200ELNS1_3gpuE4ELNS1_3repE0EEENS1_30default_config_static_selectorELNS0_4arch9wavefront6targetE0EEEvS12_,comdat
	.globl	_ZN7rocprim17ROCPRIM_400000_NS6detail17trampoline_kernelINS0_13select_configILj256ELj13ELNS0_17block_load_methodE3ELS4_3ELS4_3ELNS0_20block_scan_algorithmE0ELj4294967295EEENS1_25partition_config_selectorILNS1_17partition_subalgoE4EjNS0_10empty_typeEbEEZZNS1_14partition_implILS8_4ELb0ES6_15HIP_vector_typeIjLj2EENS0_17counting_iteratorIjlEEPS9_SG_NS0_5tupleIJPjSI_NS0_16reverse_iteratorISI_EEEEENSH_IJSG_SG_SG_EEES9_SI_JZNS1_25segmented_radix_sort_implINS0_14default_configELb1EPKdPdPKlPlN2at6native12_GLOBAL__N_18offset_tEEE10hipError_tPvRmT1_PNSt15iterator_traitsIS12_E10value_typeET2_T3_PNS13_IS18_E10value_typeET4_jRbjT5_S1E_jjP12ihipStream_tbEUljE_ZNSN_ISO_Lb1ESQ_SR_ST_SU_SY_EESZ_S10_S11_S12_S16_S17_S18_S1B_S1C_jS1D_jS1E_S1E_jjS1G_bEUljE0_EEESZ_S10_S11_S18_S1C_S1E_T6_T7_T9_mT8_S1G_bDpT10_ENKUlT_T0_E_clISt17integral_constantIbLb1EES1U_EEDaS1P_S1Q_EUlS1P_E_NS1_11comp_targetILNS1_3genE10ELNS1_11target_archE1200ELNS1_3gpuE4ELNS1_3repE0EEENS1_30default_config_static_selectorELNS0_4arch9wavefront6targetE0EEEvS12_ ; -- Begin function _ZN7rocprim17ROCPRIM_400000_NS6detail17trampoline_kernelINS0_13select_configILj256ELj13ELNS0_17block_load_methodE3ELS4_3ELS4_3ELNS0_20block_scan_algorithmE0ELj4294967295EEENS1_25partition_config_selectorILNS1_17partition_subalgoE4EjNS0_10empty_typeEbEEZZNS1_14partition_implILS8_4ELb0ES6_15HIP_vector_typeIjLj2EENS0_17counting_iteratorIjlEEPS9_SG_NS0_5tupleIJPjSI_NS0_16reverse_iteratorISI_EEEEENSH_IJSG_SG_SG_EEES9_SI_JZNS1_25segmented_radix_sort_implINS0_14default_configELb1EPKdPdPKlPlN2at6native12_GLOBAL__N_18offset_tEEE10hipError_tPvRmT1_PNSt15iterator_traitsIS12_E10value_typeET2_T3_PNS13_IS18_E10value_typeET4_jRbjT5_S1E_jjP12ihipStream_tbEUljE_ZNSN_ISO_Lb1ESQ_SR_ST_SU_SY_EESZ_S10_S11_S12_S16_S17_S18_S1B_S1C_jS1D_jS1E_S1E_jjS1G_bEUljE0_EEESZ_S10_S11_S18_S1C_S1E_T6_T7_T9_mT8_S1G_bDpT10_ENKUlT_T0_E_clISt17integral_constantIbLb1EES1U_EEDaS1P_S1Q_EUlS1P_E_NS1_11comp_targetILNS1_3genE10ELNS1_11target_archE1200ELNS1_3gpuE4ELNS1_3repE0EEENS1_30default_config_static_selectorELNS0_4arch9wavefront6targetE0EEEvS12_
	.p2align	8
	.type	_ZN7rocprim17ROCPRIM_400000_NS6detail17trampoline_kernelINS0_13select_configILj256ELj13ELNS0_17block_load_methodE3ELS4_3ELS4_3ELNS0_20block_scan_algorithmE0ELj4294967295EEENS1_25partition_config_selectorILNS1_17partition_subalgoE4EjNS0_10empty_typeEbEEZZNS1_14partition_implILS8_4ELb0ES6_15HIP_vector_typeIjLj2EENS0_17counting_iteratorIjlEEPS9_SG_NS0_5tupleIJPjSI_NS0_16reverse_iteratorISI_EEEEENSH_IJSG_SG_SG_EEES9_SI_JZNS1_25segmented_radix_sort_implINS0_14default_configELb1EPKdPdPKlPlN2at6native12_GLOBAL__N_18offset_tEEE10hipError_tPvRmT1_PNSt15iterator_traitsIS12_E10value_typeET2_T3_PNS13_IS18_E10value_typeET4_jRbjT5_S1E_jjP12ihipStream_tbEUljE_ZNSN_ISO_Lb1ESQ_SR_ST_SU_SY_EESZ_S10_S11_S12_S16_S17_S18_S1B_S1C_jS1D_jS1E_S1E_jjS1G_bEUljE0_EEESZ_S10_S11_S18_S1C_S1E_T6_T7_T9_mT8_S1G_bDpT10_ENKUlT_T0_E_clISt17integral_constantIbLb1EES1U_EEDaS1P_S1Q_EUlS1P_E_NS1_11comp_targetILNS1_3genE10ELNS1_11target_archE1200ELNS1_3gpuE4ELNS1_3repE0EEENS1_30default_config_static_selectorELNS0_4arch9wavefront6targetE0EEEvS12_,@function
_ZN7rocprim17ROCPRIM_400000_NS6detail17trampoline_kernelINS0_13select_configILj256ELj13ELNS0_17block_load_methodE3ELS4_3ELS4_3ELNS0_20block_scan_algorithmE0ELj4294967295EEENS1_25partition_config_selectorILNS1_17partition_subalgoE4EjNS0_10empty_typeEbEEZZNS1_14partition_implILS8_4ELb0ES6_15HIP_vector_typeIjLj2EENS0_17counting_iteratorIjlEEPS9_SG_NS0_5tupleIJPjSI_NS0_16reverse_iteratorISI_EEEEENSH_IJSG_SG_SG_EEES9_SI_JZNS1_25segmented_radix_sort_implINS0_14default_configELb1EPKdPdPKlPlN2at6native12_GLOBAL__N_18offset_tEEE10hipError_tPvRmT1_PNSt15iterator_traitsIS12_E10value_typeET2_T3_PNS13_IS18_E10value_typeET4_jRbjT5_S1E_jjP12ihipStream_tbEUljE_ZNSN_ISO_Lb1ESQ_SR_ST_SU_SY_EESZ_S10_S11_S12_S16_S17_S18_S1B_S1C_jS1D_jS1E_S1E_jjS1G_bEUljE0_EEESZ_S10_S11_S18_S1C_S1E_T6_T7_T9_mT8_S1G_bDpT10_ENKUlT_T0_E_clISt17integral_constantIbLb1EES1U_EEDaS1P_S1Q_EUlS1P_E_NS1_11comp_targetILNS1_3genE10ELNS1_11target_archE1200ELNS1_3gpuE4ELNS1_3repE0EEENS1_30default_config_static_selectorELNS0_4arch9wavefront6targetE0EEEvS12_: ; @_ZN7rocprim17ROCPRIM_400000_NS6detail17trampoline_kernelINS0_13select_configILj256ELj13ELNS0_17block_load_methodE3ELS4_3ELS4_3ELNS0_20block_scan_algorithmE0ELj4294967295EEENS1_25partition_config_selectorILNS1_17partition_subalgoE4EjNS0_10empty_typeEbEEZZNS1_14partition_implILS8_4ELb0ES6_15HIP_vector_typeIjLj2EENS0_17counting_iteratorIjlEEPS9_SG_NS0_5tupleIJPjSI_NS0_16reverse_iteratorISI_EEEEENSH_IJSG_SG_SG_EEES9_SI_JZNS1_25segmented_radix_sort_implINS0_14default_configELb1EPKdPdPKlPlN2at6native12_GLOBAL__N_18offset_tEEE10hipError_tPvRmT1_PNSt15iterator_traitsIS12_E10value_typeET2_T3_PNS13_IS18_E10value_typeET4_jRbjT5_S1E_jjP12ihipStream_tbEUljE_ZNSN_ISO_Lb1ESQ_SR_ST_SU_SY_EESZ_S10_S11_S12_S16_S17_S18_S1B_S1C_jS1D_jS1E_S1E_jjS1G_bEUljE0_EEESZ_S10_S11_S18_S1C_S1E_T6_T7_T9_mT8_S1G_bDpT10_ENKUlT_T0_E_clISt17integral_constantIbLb1EES1U_EEDaS1P_S1Q_EUlS1P_E_NS1_11comp_targetILNS1_3genE10ELNS1_11target_archE1200ELNS1_3gpuE4ELNS1_3repE0EEENS1_30default_config_static_selectorELNS0_4arch9wavefront6targetE0EEEvS12_
; %bb.0:
	s_endpgm
	.section	.rodata,"a",@progbits
	.p2align	6, 0x0
	.amdhsa_kernel _ZN7rocprim17ROCPRIM_400000_NS6detail17trampoline_kernelINS0_13select_configILj256ELj13ELNS0_17block_load_methodE3ELS4_3ELS4_3ELNS0_20block_scan_algorithmE0ELj4294967295EEENS1_25partition_config_selectorILNS1_17partition_subalgoE4EjNS0_10empty_typeEbEEZZNS1_14partition_implILS8_4ELb0ES6_15HIP_vector_typeIjLj2EENS0_17counting_iteratorIjlEEPS9_SG_NS0_5tupleIJPjSI_NS0_16reverse_iteratorISI_EEEEENSH_IJSG_SG_SG_EEES9_SI_JZNS1_25segmented_radix_sort_implINS0_14default_configELb1EPKdPdPKlPlN2at6native12_GLOBAL__N_18offset_tEEE10hipError_tPvRmT1_PNSt15iterator_traitsIS12_E10value_typeET2_T3_PNS13_IS18_E10value_typeET4_jRbjT5_S1E_jjP12ihipStream_tbEUljE_ZNSN_ISO_Lb1ESQ_SR_ST_SU_SY_EESZ_S10_S11_S12_S16_S17_S18_S1B_S1C_jS1D_jS1E_S1E_jjS1G_bEUljE0_EEESZ_S10_S11_S18_S1C_S1E_T6_T7_T9_mT8_S1G_bDpT10_ENKUlT_T0_E_clISt17integral_constantIbLb1EES1U_EEDaS1P_S1Q_EUlS1P_E_NS1_11comp_targetILNS1_3genE10ELNS1_11target_archE1200ELNS1_3gpuE4ELNS1_3repE0EEENS1_30default_config_static_selectorELNS0_4arch9wavefront6targetE0EEEvS12_
		.amdhsa_group_segment_fixed_size 0
		.amdhsa_private_segment_fixed_size 0
		.amdhsa_kernarg_size 184
		.amdhsa_user_sgpr_count 2
		.amdhsa_user_sgpr_dispatch_ptr 0
		.amdhsa_user_sgpr_queue_ptr 0
		.amdhsa_user_sgpr_kernarg_segment_ptr 1
		.amdhsa_user_sgpr_dispatch_id 0
		.amdhsa_user_sgpr_private_segment_size 0
		.amdhsa_wavefront_size32 1
		.amdhsa_uses_dynamic_stack 0
		.amdhsa_enable_private_segment 0
		.amdhsa_system_sgpr_workgroup_id_x 1
		.amdhsa_system_sgpr_workgroup_id_y 0
		.amdhsa_system_sgpr_workgroup_id_z 0
		.amdhsa_system_sgpr_workgroup_info 0
		.amdhsa_system_vgpr_workitem_id 0
		.amdhsa_next_free_vgpr 1
		.amdhsa_next_free_sgpr 1
		.amdhsa_reserve_vcc 0
		.amdhsa_float_round_mode_32 0
		.amdhsa_float_round_mode_16_64 0
		.amdhsa_float_denorm_mode_32 3
		.amdhsa_float_denorm_mode_16_64 3
		.amdhsa_fp16_overflow 0
		.amdhsa_workgroup_processor_mode 1
		.amdhsa_memory_ordered 1
		.amdhsa_forward_progress 1
		.amdhsa_inst_pref_size 1
		.amdhsa_round_robin_scheduling 0
		.amdhsa_exception_fp_ieee_invalid_op 0
		.amdhsa_exception_fp_denorm_src 0
		.amdhsa_exception_fp_ieee_div_zero 0
		.amdhsa_exception_fp_ieee_overflow 0
		.amdhsa_exception_fp_ieee_underflow 0
		.amdhsa_exception_fp_ieee_inexact 0
		.amdhsa_exception_int_div_zero 0
	.end_amdhsa_kernel
	.section	.text._ZN7rocprim17ROCPRIM_400000_NS6detail17trampoline_kernelINS0_13select_configILj256ELj13ELNS0_17block_load_methodE3ELS4_3ELS4_3ELNS0_20block_scan_algorithmE0ELj4294967295EEENS1_25partition_config_selectorILNS1_17partition_subalgoE4EjNS0_10empty_typeEbEEZZNS1_14partition_implILS8_4ELb0ES6_15HIP_vector_typeIjLj2EENS0_17counting_iteratorIjlEEPS9_SG_NS0_5tupleIJPjSI_NS0_16reverse_iteratorISI_EEEEENSH_IJSG_SG_SG_EEES9_SI_JZNS1_25segmented_radix_sort_implINS0_14default_configELb1EPKdPdPKlPlN2at6native12_GLOBAL__N_18offset_tEEE10hipError_tPvRmT1_PNSt15iterator_traitsIS12_E10value_typeET2_T3_PNS13_IS18_E10value_typeET4_jRbjT5_S1E_jjP12ihipStream_tbEUljE_ZNSN_ISO_Lb1ESQ_SR_ST_SU_SY_EESZ_S10_S11_S12_S16_S17_S18_S1B_S1C_jS1D_jS1E_S1E_jjS1G_bEUljE0_EEESZ_S10_S11_S18_S1C_S1E_T6_T7_T9_mT8_S1G_bDpT10_ENKUlT_T0_E_clISt17integral_constantIbLb1EES1U_EEDaS1P_S1Q_EUlS1P_E_NS1_11comp_targetILNS1_3genE10ELNS1_11target_archE1200ELNS1_3gpuE4ELNS1_3repE0EEENS1_30default_config_static_selectorELNS0_4arch9wavefront6targetE0EEEvS12_,"axG",@progbits,_ZN7rocprim17ROCPRIM_400000_NS6detail17trampoline_kernelINS0_13select_configILj256ELj13ELNS0_17block_load_methodE3ELS4_3ELS4_3ELNS0_20block_scan_algorithmE0ELj4294967295EEENS1_25partition_config_selectorILNS1_17partition_subalgoE4EjNS0_10empty_typeEbEEZZNS1_14partition_implILS8_4ELb0ES6_15HIP_vector_typeIjLj2EENS0_17counting_iteratorIjlEEPS9_SG_NS0_5tupleIJPjSI_NS0_16reverse_iteratorISI_EEEEENSH_IJSG_SG_SG_EEES9_SI_JZNS1_25segmented_radix_sort_implINS0_14default_configELb1EPKdPdPKlPlN2at6native12_GLOBAL__N_18offset_tEEE10hipError_tPvRmT1_PNSt15iterator_traitsIS12_E10value_typeET2_T3_PNS13_IS18_E10value_typeET4_jRbjT5_S1E_jjP12ihipStream_tbEUljE_ZNSN_ISO_Lb1ESQ_SR_ST_SU_SY_EESZ_S10_S11_S12_S16_S17_S18_S1B_S1C_jS1D_jS1E_S1E_jjS1G_bEUljE0_EEESZ_S10_S11_S18_S1C_S1E_T6_T7_T9_mT8_S1G_bDpT10_ENKUlT_T0_E_clISt17integral_constantIbLb1EES1U_EEDaS1P_S1Q_EUlS1P_E_NS1_11comp_targetILNS1_3genE10ELNS1_11target_archE1200ELNS1_3gpuE4ELNS1_3repE0EEENS1_30default_config_static_selectorELNS0_4arch9wavefront6targetE0EEEvS12_,comdat
.Lfunc_end1067:
	.size	_ZN7rocprim17ROCPRIM_400000_NS6detail17trampoline_kernelINS0_13select_configILj256ELj13ELNS0_17block_load_methodE3ELS4_3ELS4_3ELNS0_20block_scan_algorithmE0ELj4294967295EEENS1_25partition_config_selectorILNS1_17partition_subalgoE4EjNS0_10empty_typeEbEEZZNS1_14partition_implILS8_4ELb0ES6_15HIP_vector_typeIjLj2EENS0_17counting_iteratorIjlEEPS9_SG_NS0_5tupleIJPjSI_NS0_16reverse_iteratorISI_EEEEENSH_IJSG_SG_SG_EEES9_SI_JZNS1_25segmented_radix_sort_implINS0_14default_configELb1EPKdPdPKlPlN2at6native12_GLOBAL__N_18offset_tEEE10hipError_tPvRmT1_PNSt15iterator_traitsIS12_E10value_typeET2_T3_PNS13_IS18_E10value_typeET4_jRbjT5_S1E_jjP12ihipStream_tbEUljE_ZNSN_ISO_Lb1ESQ_SR_ST_SU_SY_EESZ_S10_S11_S12_S16_S17_S18_S1B_S1C_jS1D_jS1E_S1E_jjS1G_bEUljE0_EEESZ_S10_S11_S18_S1C_S1E_T6_T7_T9_mT8_S1G_bDpT10_ENKUlT_T0_E_clISt17integral_constantIbLb1EES1U_EEDaS1P_S1Q_EUlS1P_E_NS1_11comp_targetILNS1_3genE10ELNS1_11target_archE1200ELNS1_3gpuE4ELNS1_3repE0EEENS1_30default_config_static_selectorELNS0_4arch9wavefront6targetE0EEEvS12_, .Lfunc_end1067-_ZN7rocprim17ROCPRIM_400000_NS6detail17trampoline_kernelINS0_13select_configILj256ELj13ELNS0_17block_load_methodE3ELS4_3ELS4_3ELNS0_20block_scan_algorithmE0ELj4294967295EEENS1_25partition_config_selectorILNS1_17partition_subalgoE4EjNS0_10empty_typeEbEEZZNS1_14partition_implILS8_4ELb0ES6_15HIP_vector_typeIjLj2EENS0_17counting_iteratorIjlEEPS9_SG_NS0_5tupleIJPjSI_NS0_16reverse_iteratorISI_EEEEENSH_IJSG_SG_SG_EEES9_SI_JZNS1_25segmented_radix_sort_implINS0_14default_configELb1EPKdPdPKlPlN2at6native12_GLOBAL__N_18offset_tEEE10hipError_tPvRmT1_PNSt15iterator_traitsIS12_E10value_typeET2_T3_PNS13_IS18_E10value_typeET4_jRbjT5_S1E_jjP12ihipStream_tbEUljE_ZNSN_ISO_Lb1ESQ_SR_ST_SU_SY_EESZ_S10_S11_S12_S16_S17_S18_S1B_S1C_jS1D_jS1E_S1E_jjS1G_bEUljE0_EEESZ_S10_S11_S18_S1C_S1E_T6_T7_T9_mT8_S1G_bDpT10_ENKUlT_T0_E_clISt17integral_constantIbLb1EES1U_EEDaS1P_S1Q_EUlS1P_E_NS1_11comp_targetILNS1_3genE10ELNS1_11target_archE1200ELNS1_3gpuE4ELNS1_3repE0EEENS1_30default_config_static_selectorELNS0_4arch9wavefront6targetE0EEEvS12_
                                        ; -- End function
	.set _ZN7rocprim17ROCPRIM_400000_NS6detail17trampoline_kernelINS0_13select_configILj256ELj13ELNS0_17block_load_methodE3ELS4_3ELS4_3ELNS0_20block_scan_algorithmE0ELj4294967295EEENS1_25partition_config_selectorILNS1_17partition_subalgoE4EjNS0_10empty_typeEbEEZZNS1_14partition_implILS8_4ELb0ES6_15HIP_vector_typeIjLj2EENS0_17counting_iteratorIjlEEPS9_SG_NS0_5tupleIJPjSI_NS0_16reverse_iteratorISI_EEEEENSH_IJSG_SG_SG_EEES9_SI_JZNS1_25segmented_radix_sort_implINS0_14default_configELb1EPKdPdPKlPlN2at6native12_GLOBAL__N_18offset_tEEE10hipError_tPvRmT1_PNSt15iterator_traitsIS12_E10value_typeET2_T3_PNS13_IS18_E10value_typeET4_jRbjT5_S1E_jjP12ihipStream_tbEUljE_ZNSN_ISO_Lb1ESQ_SR_ST_SU_SY_EESZ_S10_S11_S12_S16_S17_S18_S1B_S1C_jS1D_jS1E_S1E_jjS1G_bEUljE0_EEESZ_S10_S11_S18_S1C_S1E_T6_T7_T9_mT8_S1G_bDpT10_ENKUlT_T0_E_clISt17integral_constantIbLb1EES1U_EEDaS1P_S1Q_EUlS1P_E_NS1_11comp_targetILNS1_3genE10ELNS1_11target_archE1200ELNS1_3gpuE4ELNS1_3repE0EEENS1_30default_config_static_selectorELNS0_4arch9wavefront6targetE0EEEvS12_.num_vgpr, 0
	.set _ZN7rocprim17ROCPRIM_400000_NS6detail17trampoline_kernelINS0_13select_configILj256ELj13ELNS0_17block_load_methodE3ELS4_3ELS4_3ELNS0_20block_scan_algorithmE0ELj4294967295EEENS1_25partition_config_selectorILNS1_17partition_subalgoE4EjNS0_10empty_typeEbEEZZNS1_14partition_implILS8_4ELb0ES6_15HIP_vector_typeIjLj2EENS0_17counting_iteratorIjlEEPS9_SG_NS0_5tupleIJPjSI_NS0_16reverse_iteratorISI_EEEEENSH_IJSG_SG_SG_EEES9_SI_JZNS1_25segmented_radix_sort_implINS0_14default_configELb1EPKdPdPKlPlN2at6native12_GLOBAL__N_18offset_tEEE10hipError_tPvRmT1_PNSt15iterator_traitsIS12_E10value_typeET2_T3_PNS13_IS18_E10value_typeET4_jRbjT5_S1E_jjP12ihipStream_tbEUljE_ZNSN_ISO_Lb1ESQ_SR_ST_SU_SY_EESZ_S10_S11_S12_S16_S17_S18_S1B_S1C_jS1D_jS1E_S1E_jjS1G_bEUljE0_EEESZ_S10_S11_S18_S1C_S1E_T6_T7_T9_mT8_S1G_bDpT10_ENKUlT_T0_E_clISt17integral_constantIbLb1EES1U_EEDaS1P_S1Q_EUlS1P_E_NS1_11comp_targetILNS1_3genE10ELNS1_11target_archE1200ELNS1_3gpuE4ELNS1_3repE0EEENS1_30default_config_static_selectorELNS0_4arch9wavefront6targetE0EEEvS12_.num_agpr, 0
	.set _ZN7rocprim17ROCPRIM_400000_NS6detail17trampoline_kernelINS0_13select_configILj256ELj13ELNS0_17block_load_methodE3ELS4_3ELS4_3ELNS0_20block_scan_algorithmE0ELj4294967295EEENS1_25partition_config_selectorILNS1_17partition_subalgoE4EjNS0_10empty_typeEbEEZZNS1_14partition_implILS8_4ELb0ES6_15HIP_vector_typeIjLj2EENS0_17counting_iteratorIjlEEPS9_SG_NS0_5tupleIJPjSI_NS0_16reverse_iteratorISI_EEEEENSH_IJSG_SG_SG_EEES9_SI_JZNS1_25segmented_radix_sort_implINS0_14default_configELb1EPKdPdPKlPlN2at6native12_GLOBAL__N_18offset_tEEE10hipError_tPvRmT1_PNSt15iterator_traitsIS12_E10value_typeET2_T3_PNS13_IS18_E10value_typeET4_jRbjT5_S1E_jjP12ihipStream_tbEUljE_ZNSN_ISO_Lb1ESQ_SR_ST_SU_SY_EESZ_S10_S11_S12_S16_S17_S18_S1B_S1C_jS1D_jS1E_S1E_jjS1G_bEUljE0_EEESZ_S10_S11_S18_S1C_S1E_T6_T7_T9_mT8_S1G_bDpT10_ENKUlT_T0_E_clISt17integral_constantIbLb1EES1U_EEDaS1P_S1Q_EUlS1P_E_NS1_11comp_targetILNS1_3genE10ELNS1_11target_archE1200ELNS1_3gpuE4ELNS1_3repE0EEENS1_30default_config_static_selectorELNS0_4arch9wavefront6targetE0EEEvS12_.numbered_sgpr, 0
	.set _ZN7rocprim17ROCPRIM_400000_NS6detail17trampoline_kernelINS0_13select_configILj256ELj13ELNS0_17block_load_methodE3ELS4_3ELS4_3ELNS0_20block_scan_algorithmE0ELj4294967295EEENS1_25partition_config_selectorILNS1_17partition_subalgoE4EjNS0_10empty_typeEbEEZZNS1_14partition_implILS8_4ELb0ES6_15HIP_vector_typeIjLj2EENS0_17counting_iteratorIjlEEPS9_SG_NS0_5tupleIJPjSI_NS0_16reverse_iteratorISI_EEEEENSH_IJSG_SG_SG_EEES9_SI_JZNS1_25segmented_radix_sort_implINS0_14default_configELb1EPKdPdPKlPlN2at6native12_GLOBAL__N_18offset_tEEE10hipError_tPvRmT1_PNSt15iterator_traitsIS12_E10value_typeET2_T3_PNS13_IS18_E10value_typeET4_jRbjT5_S1E_jjP12ihipStream_tbEUljE_ZNSN_ISO_Lb1ESQ_SR_ST_SU_SY_EESZ_S10_S11_S12_S16_S17_S18_S1B_S1C_jS1D_jS1E_S1E_jjS1G_bEUljE0_EEESZ_S10_S11_S18_S1C_S1E_T6_T7_T9_mT8_S1G_bDpT10_ENKUlT_T0_E_clISt17integral_constantIbLb1EES1U_EEDaS1P_S1Q_EUlS1P_E_NS1_11comp_targetILNS1_3genE10ELNS1_11target_archE1200ELNS1_3gpuE4ELNS1_3repE0EEENS1_30default_config_static_selectorELNS0_4arch9wavefront6targetE0EEEvS12_.num_named_barrier, 0
	.set _ZN7rocprim17ROCPRIM_400000_NS6detail17trampoline_kernelINS0_13select_configILj256ELj13ELNS0_17block_load_methodE3ELS4_3ELS4_3ELNS0_20block_scan_algorithmE0ELj4294967295EEENS1_25partition_config_selectorILNS1_17partition_subalgoE4EjNS0_10empty_typeEbEEZZNS1_14partition_implILS8_4ELb0ES6_15HIP_vector_typeIjLj2EENS0_17counting_iteratorIjlEEPS9_SG_NS0_5tupleIJPjSI_NS0_16reverse_iteratorISI_EEEEENSH_IJSG_SG_SG_EEES9_SI_JZNS1_25segmented_radix_sort_implINS0_14default_configELb1EPKdPdPKlPlN2at6native12_GLOBAL__N_18offset_tEEE10hipError_tPvRmT1_PNSt15iterator_traitsIS12_E10value_typeET2_T3_PNS13_IS18_E10value_typeET4_jRbjT5_S1E_jjP12ihipStream_tbEUljE_ZNSN_ISO_Lb1ESQ_SR_ST_SU_SY_EESZ_S10_S11_S12_S16_S17_S18_S1B_S1C_jS1D_jS1E_S1E_jjS1G_bEUljE0_EEESZ_S10_S11_S18_S1C_S1E_T6_T7_T9_mT8_S1G_bDpT10_ENKUlT_T0_E_clISt17integral_constantIbLb1EES1U_EEDaS1P_S1Q_EUlS1P_E_NS1_11comp_targetILNS1_3genE10ELNS1_11target_archE1200ELNS1_3gpuE4ELNS1_3repE0EEENS1_30default_config_static_selectorELNS0_4arch9wavefront6targetE0EEEvS12_.private_seg_size, 0
	.set _ZN7rocprim17ROCPRIM_400000_NS6detail17trampoline_kernelINS0_13select_configILj256ELj13ELNS0_17block_load_methodE3ELS4_3ELS4_3ELNS0_20block_scan_algorithmE0ELj4294967295EEENS1_25partition_config_selectorILNS1_17partition_subalgoE4EjNS0_10empty_typeEbEEZZNS1_14partition_implILS8_4ELb0ES6_15HIP_vector_typeIjLj2EENS0_17counting_iteratorIjlEEPS9_SG_NS0_5tupleIJPjSI_NS0_16reverse_iteratorISI_EEEEENSH_IJSG_SG_SG_EEES9_SI_JZNS1_25segmented_radix_sort_implINS0_14default_configELb1EPKdPdPKlPlN2at6native12_GLOBAL__N_18offset_tEEE10hipError_tPvRmT1_PNSt15iterator_traitsIS12_E10value_typeET2_T3_PNS13_IS18_E10value_typeET4_jRbjT5_S1E_jjP12ihipStream_tbEUljE_ZNSN_ISO_Lb1ESQ_SR_ST_SU_SY_EESZ_S10_S11_S12_S16_S17_S18_S1B_S1C_jS1D_jS1E_S1E_jjS1G_bEUljE0_EEESZ_S10_S11_S18_S1C_S1E_T6_T7_T9_mT8_S1G_bDpT10_ENKUlT_T0_E_clISt17integral_constantIbLb1EES1U_EEDaS1P_S1Q_EUlS1P_E_NS1_11comp_targetILNS1_3genE10ELNS1_11target_archE1200ELNS1_3gpuE4ELNS1_3repE0EEENS1_30default_config_static_selectorELNS0_4arch9wavefront6targetE0EEEvS12_.uses_vcc, 0
	.set _ZN7rocprim17ROCPRIM_400000_NS6detail17trampoline_kernelINS0_13select_configILj256ELj13ELNS0_17block_load_methodE3ELS4_3ELS4_3ELNS0_20block_scan_algorithmE0ELj4294967295EEENS1_25partition_config_selectorILNS1_17partition_subalgoE4EjNS0_10empty_typeEbEEZZNS1_14partition_implILS8_4ELb0ES6_15HIP_vector_typeIjLj2EENS0_17counting_iteratorIjlEEPS9_SG_NS0_5tupleIJPjSI_NS0_16reverse_iteratorISI_EEEEENSH_IJSG_SG_SG_EEES9_SI_JZNS1_25segmented_radix_sort_implINS0_14default_configELb1EPKdPdPKlPlN2at6native12_GLOBAL__N_18offset_tEEE10hipError_tPvRmT1_PNSt15iterator_traitsIS12_E10value_typeET2_T3_PNS13_IS18_E10value_typeET4_jRbjT5_S1E_jjP12ihipStream_tbEUljE_ZNSN_ISO_Lb1ESQ_SR_ST_SU_SY_EESZ_S10_S11_S12_S16_S17_S18_S1B_S1C_jS1D_jS1E_S1E_jjS1G_bEUljE0_EEESZ_S10_S11_S18_S1C_S1E_T6_T7_T9_mT8_S1G_bDpT10_ENKUlT_T0_E_clISt17integral_constantIbLb1EES1U_EEDaS1P_S1Q_EUlS1P_E_NS1_11comp_targetILNS1_3genE10ELNS1_11target_archE1200ELNS1_3gpuE4ELNS1_3repE0EEENS1_30default_config_static_selectorELNS0_4arch9wavefront6targetE0EEEvS12_.uses_flat_scratch, 0
	.set _ZN7rocprim17ROCPRIM_400000_NS6detail17trampoline_kernelINS0_13select_configILj256ELj13ELNS0_17block_load_methodE3ELS4_3ELS4_3ELNS0_20block_scan_algorithmE0ELj4294967295EEENS1_25partition_config_selectorILNS1_17partition_subalgoE4EjNS0_10empty_typeEbEEZZNS1_14partition_implILS8_4ELb0ES6_15HIP_vector_typeIjLj2EENS0_17counting_iteratorIjlEEPS9_SG_NS0_5tupleIJPjSI_NS0_16reverse_iteratorISI_EEEEENSH_IJSG_SG_SG_EEES9_SI_JZNS1_25segmented_radix_sort_implINS0_14default_configELb1EPKdPdPKlPlN2at6native12_GLOBAL__N_18offset_tEEE10hipError_tPvRmT1_PNSt15iterator_traitsIS12_E10value_typeET2_T3_PNS13_IS18_E10value_typeET4_jRbjT5_S1E_jjP12ihipStream_tbEUljE_ZNSN_ISO_Lb1ESQ_SR_ST_SU_SY_EESZ_S10_S11_S12_S16_S17_S18_S1B_S1C_jS1D_jS1E_S1E_jjS1G_bEUljE0_EEESZ_S10_S11_S18_S1C_S1E_T6_T7_T9_mT8_S1G_bDpT10_ENKUlT_T0_E_clISt17integral_constantIbLb1EES1U_EEDaS1P_S1Q_EUlS1P_E_NS1_11comp_targetILNS1_3genE10ELNS1_11target_archE1200ELNS1_3gpuE4ELNS1_3repE0EEENS1_30default_config_static_selectorELNS0_4arch9wavefront6targetE0EEEvS12_.has_dyn_sized_stack, 0
	.set _ZN7rocprim17ROCPRIM_400000_NS6detail17trampoline_kernelINS0_13select_configILj256ELj13ELNS0_17block_load_methodE3ELS4_3ELS4_3ELNS0_20block_scan_algorithmE0ELj4294967295EEENS1_25partition_config_selectorILNS1_17partition_subalgoE4EjNS0_10empty_typeEbEEZZNS1_14partition_implILS8_4ELb0ES6_15HIP_vector_typeIjLj2EENS0_17counting_iteratorIjlEEPS9_SG_NS0_5tupleIJPjSI_NS0_16reverse_iteratorISI_EEEEENSH_IJSG_SG_SG_EEES9_SI_JZNS1_25segmented_radix_sort_implINS0_14default_configELb1EPKdPdPKlPlN2at6native12_GLOBAL__N_18offset_tEEE10hipError_tPvRmT1_PNSt15iterator_traitsIS12_E10value_typeET2_T3_PNS13_IS18_E10value_typeET4_jRbjT5_S1E_jjP12ihipStream_tbEUljE_ZNSN_ISO_Lb1ESQ_SR_ST_SU_SY_EESZ_S10_S11_S12_S16_S17_S18_S1B_S1C_jS1D_jS1E_S1E_jjS1G_bEUljE0_EEESZ_S10_S11_S18_S1C_S1E_T6_T7_T9_mT8_S1G_bDpT10_ENKUlT_T0_E_clISt17integral_constantIbLb1EES1U_EEDaS1P_S1Q_EUlS1P_E_NS1_11comp_targetILNS1_3genE10ELNS1_11target_archE1200ELNS1_3gpuE4ELNS1_3repE0EEENS1_30default_config_static_selectorELNS0_4arch9wavefront6targetE0EEEvS12_.has_recursion, 0
	.set _ZN7rocprim17ROCPRIM_400000_NS6detail17trampoline_kernelINS0_13select_configILj256ELj13ELNS0_17block_load_methodE3ELS4_3ELS4_3ELNS0_20block_scan_algorithmE0ELj4294967295EEENS1_25partition_config_selectorILNS1_17partition_subalgoE4EjNS0_10empty_typeEbEEZZNS1_14partition_implILS8_4ELb0ES6_15HIP_vector_typeIjLj2EENS0_17counting_iteratorIjlEEPS9_SG_NS0_5tupleIJPjSI_NS0_16reverse_iteratorISI_EEEEENSH_IJSG_SG_SG_EEES9_SI_JZNS1_25segmented_radix_sort_implINS0_14default_configELb1EPKdPdPKlPlN2at6native12_GLOBAL__N_18offset_tEEE10hipError_tPvRmT1_PNSt15iterator_traitsIS12_E10value_typeET2_T3_PNS13_IS18_E10value_typeET4_jRbjT5_S1E_jjP12ihipStream_tbEUljE_ZNSN_ISO_Lb1ESQ_SR_ST_SU_SY_EESZ_S10_S11_S12_S16_S17_S18_S1B_S1C_jS1D_jS1E_S1E_jjS1G_bEUljE0_EEESZ_S10_S11_S18_S1C_S1E_T6_T7_T9_mT8_S1G_bDpT10_ENKUlT_T0_E_clISt17integral_constantIbLb1EES1U_EEDaS1P_S1Q_EUlS1P_E_NS1_11comp_targetILNS1_3genE10ELNS1_11target_archE1200ELNS1_3gpuE4ELNS1_3repE0EEENS1_30default_config_static_selectorELNS0_4arch9wavefront6targetE0EEEvS12_.has_indirect_call, 0
	.section	.AMDGPU.csdata,"",@progbits
; Kernel info:
; codeLenInByte = 4
; TotalNumSgprs: 0
; NumVgprs: 0
; ScratchSize: 0
; MemoryBound: 0
; FloatMode: 240
; IeeeMode: 1
; LDSByteSize: 0 bytes/workgroup (compile time only)
; SGPRBlocks: 0
; VGPRBlocks: 0
; NumSGPRsForWavesPerEU: 1
; NumVGPRsForWavesPerEU: 1
; Occupancy: 16
; WaveLimiterHint : 0
; COMPUTE_PGM_RSRC2:SCRATCH_EN: 0
; COMPUTE_PGM_RSRC2:USER_SGPR: 2
; COMPUTE_PGM_RSRC2:TRAP_HANDLER: 0
; COMPUTE_PGM_RSRC2:TGID_X_EN: 1
; COMPUTE_PGM_RSRC2:TGID_Y_EN: 0
; COMPUTE_PGM_RSRC2:TGID_Z_EN: 0
; COMPUTE_PGM_RSRC2:TIDIG_COMP_CNT: 0
	.section	.text._ZN7rocprim17ROCPRIM_400000_NS6detail17trampoline_kernelINS0_13select_configILj256ELj13ELNS0_17block_load_methodE3ELS4_3ELS4_3ELNS0_20block_scan_algorithmE0ELj4294967295EEENS1_25partition_config_selectorILNS1_17partition_subalgoE4EjNS0_10empty_typeEbEEZZNS1_14partition_implILS8_4ELb0ES6_15HIP_vector_typeIjLj2EENS0_17counting_iteratorIjlEEPS9_SG_NS0_5tupleIJPjSI_NS0_16reverse_iteratorISI_EEEEENSH_IJSG_SG_SG_EEES9_SI_JZNS1_25segmented_radix_sort_implINS0_14default_configELb1EPKdPdPKlPlN2at6native12_GLOBAL__N_18offset_tEEE10hipError_tPvRmT1_PNSt15iterator_traitsIS12_E10value_typeET2_T3_PNS13_IS18_E10value_typeET4_jRbjT5_S1E_jjP12ihipStream_tbEUljE_ZNSN_ISO_Lb1ESQ_SR_ST_SU_SY_EESZ_S10_S11_S12_S16_S17_S18_S1B_S1C_jS1D_jS1E_S1E_jjS1G_bEUljE0_EEESZ_S10_S11_S18_S1C_S1E_T6_T7_T9_mT8_S1G_bDpT10_ENKUlT_T0_E_clISt17integral_constantIbLb1EES1U_EEDaS1P_S1Q_EUlS1P_E_NS1_11comp_targetILNS1_3genE9ELNS1_11target_archE1100ELNS1_3gpuE3ELNS1_3repE0EEENS1_30default_config_static_selectorELNS0_4arch9wavefront6targetE0EEEvS12_,"axG",@progbits,_ZN7rocprim17ROCPRIM_400000_NS6detail17trampoline_kernelINS0_13select_configILj256ELj13ELNS0_17block_load_methodE3ELS4_3ELS4_3ELNS0_20block_scan_algorithmE0ELj4294967295EEENS1_25partition_config_selectorILNS1_17partition_subalgoE4EjNS0_10empty_typeEbEEZZNS1_14partition_implILS8_4ELb0ES6_15HIP_vector_typeIjLj2EENS0_17counting_iteratorIjlEEPS9_SG_NS0_5tupleIJPjSI_NS0_16reverse_iteratorISI_EEEEENSH_IJSG_SG_SG_EEES9_SI_JZNS1_25segmented_radix_sort_implINS0_14default_configELb1EPKdPdPKlPlN2at6native12_GLOBAL__N_18offset_tEEE10hipError_tPvRmT1_PNSt15iterator_traitsIS12_E10value_typeET2_T3_PNS13_IS18_E10value_typeET4_jRbjT5_S1E_jjP12ihipStream_tbEUljE_ZNSN_ISO_Lb1ESQ_SR_ST_SU_SY_EESZ_S10_S11_S12_S16_S17_S18_S1B_S1C_jS1D_jS1E_S1E_jjS1G_bEUljE0_EEESZ_S10_S11_S18_S1C_S1E_T6_T7_T9_mT8_S1G_bDpT10_ENKUlT_T0_E_clISt17integral_constantIbLb1EES1U_EEDaS1P_S1Q_EUlS1P_E_NS1_11comp_targetILNS1_3genE9ELNS1_11target_archE1100ELNS1_3gpuE3ELNS1_3repE0EEENS1_30default_config_static_selectorELNS0_4arch9wavefront6targetE0EEEvS12_,comdat
	.globl	_ZN7rocprim17ROCPRIM_400000_NS6detail17trampoline_kernelINS0_13select_configILj256ELj13ELNS0_17block_load_methodE3ELS4_3ELS4_3ELNS0_20block_scan_algorithmE0ELj4294967295EEENS1_25partition_config_selectorILNS1_17partition_subalgoE4EjNS0_10empty_typeEbEEZZNS1_14partition_implILS8_4ELb0ES6_15HIP_vector_typeIjLj2EENS0_17counting_iteratorIjlEEPS9_SG_NS0_5tupleIJPjSI_NS0_16reverse_iteratorISI_EEEEENSH_IJSG_SG_SG_EEES9_SI_JZNS1_25segmented_radix_sort_implINS0_14default_configELb1EPKdPdPKlPlN2at6native12_GLOBAL__N_18offset_tEEE10hipError_tPvRmT1_PNSt15iterator_traitsIS12_E10value_typeET2_T3_PNS13_IS18_E10value_typeET4_jRbjT5_S1E_jjP12ihipStream_tbEUljE_ZNSN_ISO_Lb1ESQ_SR_ST_SU_SY_EESZ_S10_S11_S12_S16_S17_S18_S1B_S1C_jS1D_jS1E_S1E_jjS1G_bEUljE0_EEESZ_S10_S11_S18_S1C_S1E_T6_T7_T9_mT8_S1G_bDpT10_ENKUlT_T0_E_clISt17integral_constantIbLb1EES1U_EEDaS1P_S1Q_EUlS1P_E_NS1_11comp_targetILNS1_3genE9ELNS1_11target_archE1100ELNS1_3gpuE3ELNS1_3repE0EEENS1_30default_config_static_selectorELNS0_4arch9wavefront6targetE0EEEvS12_ ; -- Begin function _ZN7rocprim17ROCPRIM_400000_NS6detail17trampoline_kernelINS0_13select_configILj256ELj13ELNS0_17block_load_methodE3ELS4_3ELS4_3ELNS0_20block_scan_algorithmE0ELj4294967295EEENS1_25partition_config_selectorILNS1_17partition_subalgoE4EjNS0_10empty_typeEbEEZZNS1_14partition_implILS8_4ELb0ES6_15HIP_vector_typeIjLj2EENS0_17counting_iteratorIjlEEPS9_SG_NS0_5tupleIJPjSI_NS0_16reverse_iteratorISI_EEEEENSH_IJSG_SG_SG_EEES9_SI_JZNS1_25segmented_radix_sort_implINS0_14default_configELb1EPKdPdPKlPlN2at6native12_GLOBAL__N_18offset_tEEE10hipError_tPvRmT1_PNSt15iterator_traitsIS12_E10value_typeET2_T3_PNS13_IS18_E10value_typeET4_jRbjT5_S1E_jjP12ihipStream_tbEUljE_ZNSN_ISO_Lb1ESQ_SR_ST_SU_SY_EESZ_S10_S11_S12_S16_S17_S18_S1B_S1C_jS1D_jS1E_S1E_jjS1G_bEUljE0_EEESZ_S10_S11_S18_S1C_S1E_T6_T7_T9_mT8_S1G_bDpT10_ENKUlT_T0_E_clISt17integral_constantIbLb1EES1U_EEDaS1P_S1Q_EUlS1P_E_NS1_11comp_targetILNS1_3genE9ELNS1_11target_archE1100ELNS1_3gpuE3ELNS1_3repE0EEENS1_30default_config_static_selectorELNS0_4arch9wavefront6targetE0EEEvS12_
	.p2align	8
	.type	_ZN7rocprim17ROCPRIM_400000_NS6detail17trampoline_kernelINS0_13select_configILj256ELj13ELNS0_17block_load_methodE3ELS4_3ELS4_3ELNS0_20block_scan_algorithmE0ELj4294967295EEENS1_25partition_config_selectorILNS1_17partition_subalgoE4EjNS0_10empty_typeEbEEZZNS1_14partition_implILS8_4ELb0ES6_15HIP_vector_typeIjLj2EENS0_17counting_iteratorIjlEEPS9_SG_NS0_5tupleIJPjSI_NS0_16reverse_iteratorISI_EEEEENSH_IJSG_SG_SG_EEES9_SI_JZNS1_25segmented_radix_sort_implINS0_14default_configELb1EPKdPdPKlPlN2at6native12_GLOBAL__N_18offset_tEEE10hipError_tPvRmT1_PNSt15iterator_traitsIS12_E10value_typeET2_T3_PNS13_IS18_E10value_typeET4_jRbjT5_S1E_jjP12ihipStream_tbEUljE_ZNSN_ISO_Lb1ESQ_SR_ST_SU_SY_EESZ_S10_S11_S12_S16_S17_S18_S1B_S1C_jS1D_jS1E_S1E_jjS1G_bEUljE0_EEESZ_S10_S11_S18_S1C_S1E_T6_T7_T9_mT8_S1G_bDpT10_ENKUlT_T0_E_clISt17integral_constantIbLb1EES1U_EEDaS1P_S1Q_EUlS1P_E_NS1_11comp_targetILNS1_3genE9ELNS1_11target_archE1100ELNS1_3gpuE3ELNS1_3repE0EEENS1_30default_config_static_selectorELNS0_4arch9wavefront6targetE0EEEvS12_,@function
_ZN7rocprim17ROCPRIM_400000_NS6detail17trampoline_kernelINS0_13select_configILj256ELj13ELNS0_17block_load_methodE3ELS4_3ELS4_3ELNS0_20block_scan_algorithmE0ELj4294967295EEENS1_25partition_config_selectorILNS1_17partition_subalgoE4EjNS0_10empty_typeEbEEZZNS1_14partition_implILS8_4ELb0ES6_15HIP_vector_typeIjLj2EENS0_17counting_iteratorIjlEEPS9_SG_NS0_5tupleIJPjSI_NS0_16reverse_iteratorISI_EEEEENSH_IJSG_SG_SG_EEES9_SI_JZNS1_25segmented_radix_sort_implINS0_14default_configELb1EPKdPdPKlPlN2at6native12_GLOBAL__N_18offset_tEEE10hipError_tPvRmT1_PNSt15iterator_traitsIS12_E10value_typeET2_T3_PNS13_IS18_E10value_typeET4_jRbjT5_S1E_jjP12ihipStream_tbEUljE_ZNSN_ISO_Lb1ESQ_SR_ST_SU_SY_EESZ_S10_S11_S12_S16_S17_S18_S1B_S1C_jS1D_jS1E_S1E_jjS1G_bEUljE0_EEESZ_S10_S11_S18_S1C_S1E_T6_T7_T9_mT8_S1G_bDpT10_ENKUlT_T0_E_clISt17integral_constantIbLb1EES1U_EEDaS1P_S1Q_EUlS1P_E_NS1_11comp_targetILNS1_3genE9ELNS1_11target_archE1100ELNS1_3gpuE3ELNS1_3repE0EEENS1_30default_config_static_selectorELNS0_4arch9wavefront6targetE0EEEvS12_: ; @_ZN7rocprim17ROCPRIM_400000_NS6detail17trampoline_kernelINS0_13select_configILj256ELj13ELNS0_17block_load_methodE3ELS4_3ELS4_3ELNS0_20block_scan_algorithmE0ELj4294967295EEENS1_25partition_config_selectorILNS1_17partition_subalgoE4EjNS0_10empty_typeEbEEZZNS1_14partition_implILS8_4ELb0ES6_15HIP_vector_typeIjLj2EENS0_17counting_iteratorIjlEEPS9_SG_NS0_5tupleIJPjSI_NS0_16reverse_iteratorISI_EEEEENSH_IJSG_SG_SG_EEES9_SI_JZNS1_25segmented_radix_sort_implINS0_14default_configELb1EPKdPdPKlPlN2at6native12_GLOBAL__N_18offset_tEEE10hipError_tPvRmT1_PNSt15iterator_traitsIS12_E10value_typeET2_T3_PNS13_IS18_E10value_typeET4_jRbjT5_S1E_jjP12ihipStream_tbEUljE_ZNSN_ISO_Lb1ESQ_SR_ST_SU_SY_EESZ_S10_S11_S12_S16_S17_S18_S1B_S1C_jS1D_jS1E_S1E_jjS1G_bEUljE0_EEESZ_S10_S11_S18_S1C_S1E_T6_T7_T9_mT8_S1G_bDpT10_ENKUlT_T0_E_clISt17integral_constantIbLb1EES1U_EEDaS1P_S1Q_EUlS1P_E_NS1_11comp_targetILNS1_3genE9ELNS1_11target_archE1100ELNS1_3gpuE3ELNS1_3repE0EEENS1_30default_config_static_selectorELNS0_4arch9wavefront6targetE0EEEvS12_
; %bb.0:
	.section	.rodata,"a",@progbits
	.p2align	6, 0x0
	.amdhsa_kernel _ZN7rocprim17ROCPRIM_400000_NS6detail17trampoline_kernelINS0_13select_configILj256ELj13ELNS0_17block_load_methodE3ELS4_3ELS4_3ELNS0_20block_scan_algorithmE0ELj4294967295EEENS1_25partition_config_selectorILNS1_17partition_subalgoE4EjNS0_10empty_typeEbEEZZNS1_14partition_implILS8_4ELb0ES6_15HIP_vector_typeIjLj2EENS0_17counting_iteratorIjlEEPS9_SG_NS0_5tupleIJPjSI_NS0_16reverse_iteratorISI_EEEEENSH_IJSG_SG_SG_EEES9_SI_JZNS1_25segmented_radix_sort_implINS0_14default_configELb1EPKdPdPKlPlN2at6native12_GLOBAL__N_18offset_tEEE10hipError_tPvRmT1_PNSt15iterator_traitsIS12_E10value_typeET2_T3_PNS13_IS18_E10value_typeET4_jRbjT5_S1E_jjP12ihipStream_tbEUljE_ZNSN_ISO_Lb1ESQ_SR_ST_SU_SY_EESZ_S10_S11_S12_S16_S17_S18_S1B_S1C_jS1D_jS1E_S1E_jjS1G_bEUljE0_EEESZ_S10_S11_S18_S1C_S1E_T6_T7_T9_mT8_S1G_bDpT10_ENKUlT_T0_E_clISt17integral_constantIbLb1EES1U_EEDaS1P_S1Q_EUlS1P_E_NS1_11comp_targetILNS1_3genE9ELNS1_11target_archE1100ELNS1_3gpuE3ELNS1_3repE0EEENS1_30default_config_static_selectorELNS0_4arch9wavefront6targetE0EEEvS12_
		.amdhsa_group_segment_fixed_size 0
		.amdhsa_private_segment_fixed_size 0
		.amdhsa_kernarg_size 184
		.amdhsa_user_sgpr_count 2
		.amdhsa_user_sgpr_dispatch_ptr 0
		.amdhsa_user_sgpr_queue_ptr 0
		.amdhsa_user_sgpr_kernarg_segment_ptr 1
		.amdhsa_user_sgpr_dispatch_id 0
		.amdhsa_user_sgpr_private_segment_size 0
		.amdhsa_wavefront_size32 1
		.amdhsa_uses_dynamic_stack 0
		.amdhsa_enable_private_segment 0
		.amdhsa_system_sgpr_workgroup_id_x 1
		.amdhsa_system_sgpr_workgroup_id_y 0
		.amdhsa_system_sgpr_workgroup_id_z 0
		.amdhsa_system_sgpr_workgroup_info 0
		.amdhsa_system_vgpr_workitem_id 0
		.amdhsa_next_free_vgpr 1
		.amdhsa_next_free_sgpr 1
		.amdhsa_reserve_vcc 0
		.amdhsa_float_round_mode_32 0
		.amdhsa_float_round_mode_16_64 0
		.amdhsa_float_denorm_mode_32 3
		.amdhsa_float_denorm_mode_16_64 3
		.amdhsa_fp16_overflow 0
		.amdhsa_workgroup_processor_mode 1
		.amdhsa_memory_ordered 1
		.amdhsa_forward_progress 1
		.amdhsa_inst_pref_size 0
		.amdhsa_round_robin_scheduling 0
		.amdhsa_exception_fp_ieee_invalid_op 0
		.amdhsa_exception_fp_denorm_src 0
		.amdhsa_exception_fp_ieee_div_zero 0
		.amdhsa_exception_fp_ieee_overflow 0
		.amdhsa_exception_fp_ieee_underflow 0
		.amdhsa_exception_fp_ieee_inexact 0
		.amdhsa_exception_int_div_zero 0
	.end_amdhsa_kernel
	.section	.text._ZN7rocprim17ROCPRIM_400000_NS6detail17trampoline_kernelINS0_13select_configILj256ELj13ELNS0_17block_load_methodE3ELS4_3ELS4_3ELNS0_20block_scan_algorithmE0ELj4294967295EEENS1_25partition_config_selectorILNS1_17partition_subalgoE4EjNS0_10empty_typeEbEEZZNS1_14partition_implILS8_4ELb0ES6_15HIP_vector_typeIjLj2EENS0_17counting_iteratorIjlEEPS9_SG_NS0_5tupleIJPjSI_NS0_16reverse_iteratorISI_EEEEENSH_IJSG_SG_SG_EEES9_SI_JZNS1_25segmented_radix_sort_implINS0_14default_configELb1EPKdPdPKlPlN2at6native12_GLOBAL__N_18offset_tEEE10hipError_tPvRmT1_PNSt15iterator_traitsIS12_E10value_typeET2_T3_PNS13_IS18_E10value_typeET4_jRbjT5_S1E_jjP12ihipStream_tbEUljE_ZNSN_ISO_Lb1ESQ_SR_ST_SU_SY_EESZ_S10_S11_S12_S16_S17_S18_S1B_S1C_jS1D_jS1E_S1E_jjS1G_bEUljE0_EEESZ_S10_S11_S18_S1C_S1E_T6_T7_T9_mT8_S1G_bDpT10_ENKUlT_T0_E_clISt17integral_constantIbLb1EES1U_EEDaS1P_S1Q_EUlS1P_E_NS1_11comp_targetILNS1_3genE9ELNS1_11target_archE1100ELNS1_3gpuE3ELNS1_3repE0EEENS1_30default_config_static_selectorELNS0_4arch9wavefront6targetE0EEEvS12_,"axG",@progbits,_ZN7rocprim17ROCPRIM_400000_NS6detail17trampoline_kernelINS0_13select_configILj256ELj13ELNS0_17block_load_methodE3ELS4_3ELS4_3ELNS0_20block_scan_algorithmE0ELj4294967295EEENS1_25partition_config_selectorILNS1_17partition_subalgoE4EjNS0_10empty_typeEbEEZZNS1_14partition_implILS8_4ELb0ES6_15HIP_vector_typeIjLj2EENS0_17counting_iteratorIjlEEPS9_SG_NS0_5tupleIJPjSI_NS0_16reverse_iteratorISI_EEEEENSH_IJSG_SG_SG_EEES9_SI_JZNS1_25segmented_radix_sort_implINS0_14default_configELb1EPKdPdPKlPlN2at6native12_GLOBAL__N_18offset_tEEE10hipError_tPvRmT1_PNSt15iterator_traitsIS12_E10value_typeET2_T3_PNS13_IS18_E10value_typeET4_jRbjT5_S1E_jjP12ihipStream_tbEUljE_ZNSN_ISO_Lb1ESQ_SR_ST_SU_SY_EESZ_S10_S11_S12_S16_S17_S18_S1B_S1C_jS1D_jS1E_S1E_jjS1G_bEUljE0_EEESZ_S10_S11_S18_S1C_S1E_T6_T7_T9_mT8_S1G_bDpT10_ENKUlT_T0_E_clISt17integral_constantIbLb1EES1U_EEDaS1P_S1Q_EUlS1P_E_NS1_11comp_targetILNS1_3genE9ELNS1_11target_archE1100ELNS1_3gpuE3ELNS1_3repE0EEENS1_30default_config_static_selectorELNS0_4arch9wavefront6targetE0EEEvS12_,comdat
.Lfunc_end1068:
	.size	_ZN7rocprim17ROCPRIM_400000_NS6detail17trampoline_kernelINS0_13select_configILj256ELj13ELNS0_17block_load_methodE3ELS4_3ELS4_3ELNS0_20block_scan_algorithmE0ELj4294967295EEENS1_25partition_config_selectorILNS1_17partition_subalgoE4EjNS0_10empty_typeEbEEZZNS1_14partition_implILS8_4ELb0ES6_15HIP_vector_typeIjLj2EENS0_17counting_iteratorIjlEEPS9_SG_NS0_5tupleIJPjSI_NS0_16reverse_iteratorISI_EEEEENSH_IJSG_SG_SG_EEES9_SI_JZNS1_25segmented_radix_sort_implINS0_14default_configELb1EPKdPdPKlPlN2at6native12_GLOBAL__N_18offset_tEEE10hipError_tPvRmT1_PNSt15iterator_traitsIS12_E10value_typeET2_T3_PNS13_IS18_E10value_typeET4_jRbjT5_S1E_jjP12ihipStream_tbEUljE_ZNSN_ISO_Lb1ESQ_SR_ST_SU_SY_EESZ_S10_S11_S12_S16_S17_S18_S1B_S1C_jS1D_jS1E_S1E_jjS1G_bEUljE0_EEESZ_S10_S11_S18_S1C_S1E_T6_T7_T9_mT8_S1G_bDpT10_ENKUlT_T0_E_clISt17integral_constantIbLb1EES1U_EEDaS1P_S1Q_EUlS1P_E_NS1_11comp_targetILNS1_3genE9ELNS1_11target_archE1100ELNS1_3gpuE3ELNS1_3repE0EEENS1_30default_config_static_selectorELNS0_4arch9wavefront6targetE0EEEvS12_, .Lfunc_end1068-_ZN7rocprim17ROCPRIM_400000_NS6detail17trampoline_kernelINS0_13select_configILj256ELj13ELNS0_17block_load_methodE3ELS4_3ELS4_3ELNS0_20block_scan_algorithmE0ELj4294967295EEENS1_25partition_config_selectorILNS1_17partition_subalgoE4EjNS0_10empty_typeEbEEZZNS1_14partition_implILS8_4ELb0ES6_15HIP_vector_typeIjLj2EENS0_17counting_iteratorIjlEEPS9_SG_NS0_5tupleIJPjSI_NS0_16reverse_iteratorISI_EEEEENSH_IJSG_SG_SG_EEES9_SI_JZNS1_25segmented_radix_sort_implINS0_14default_configELb1EPKdPdPKlPlN2at6native12_GLOBAL__N_18offset_tEEE10hipError_tPvRmT1_PNSt15iterator_traitsIS12_E10value_typeET2_T3_PNS13_IS18_E10value_typeET4_jRbjT5_S1E_jjP12ihipStream_tbEUljE_ZNSN_ISO_Lb1ESQ_SR_ST_SU_SY_EESZ_S10_S11_S12_S16_S17_S18_S1B_S1C_jS1D_jS1E_S1E_jjS1G_bEUljE0_EEESZ_S10_S11_S18_S1C_S1E_T6_T7_T9_mT8_S1G_bDpT10_ENKUlT_T0_E_clISt17integral_constantIbLb1EES1U_EEDaS1P_S1Q_EUlS1P_E_NS1_11comp_targetILNS1_3genE9ELNS1_11target_archE1100ELNS1_3gpuE3ELNS1_3repE0EEENS1_30default_config_static_selectorELNS0_4arch9wavefront6targetE0EEEvS12_
                                        ; -- End function
	.set _ZN7rocprim17ROCPRIM_400000_NS6detail17trampoline_kernelINS0_13select_configILj256ELj13ELNS0_17block_load_methodE3ELS4_3ELS4_3ELNS0_20block_scan_algorithmE0ELj4294967295EEENS1_25partition_config_selectorILNS1_17partition_subalgoE4EjNS0_10empty_typeEbEEZZNS1_14partition_implILS8_4ELb0ES6_15HIP_vector_typeIjLj2EENS0_17counting_iteratorIjlEEPS9_SG_NS0_5tupleIJPjSI_NS0_16reverse_iteratorISI_EEEEENSH_IJSG_SG_SG_EEES9_SI_JZNS1_25segmented_radix_sort_implINS0_14default_configELb1EPKdPdPKlPlN2at6native12_GLOBAL__N_18offset_tEEE10hipError_tPvRmT1_PNSt15iterator_traitsIS12_E10value_typeET2_T3_PNS13_IS18_E10value_typeET4_jRbjT5_S1E_jjP12ihipStream_tbEUljE_ZNSN_ISO_Lb1ESQ_SR_ST_SU_SY_EESZ_S10_S11_S12_S16_S17_S18_S1B_S1C_jS1D_jS1E_S1E_jjS1G_bEUljE0_EEESZ_S10_S11_S18_S1C_S1E_T6_T7_T9_mT8_S1G_bDpT10_ENKUlT_T0_E_clISt17integral_constantIbLb1EES1U_EEDaS1P_S1Q_EUlS1P_E_NS1_11comp_targetILNS1_3genE9ELNS1_11target_archE1100ELNS1_3gpuE3ELNS1_3repE0EEENS1_30default_config_static_selectorELNS0_4arch9wavefront6targetE0EEEvS12_.num_vgpr, 0
	.set _ZN7rocprim17ROCPRIM_400000_NS6detail17trampoline_kernelINS0_13select_configILj256ELj13ELNS0_17block_load_methodE3ELS4_3ELS4_3ELNS0_20block_scan_algorithmE0ELj4294967295EEENS1_25partition_config_selectorILNS1_17partition_subalgoE4EjNS0_10empty_typeEbEEZZNS1_14partition_implILS8_4ELb0ES6_15HIP_vector_typeIjLj2EENS0_17counting_iteratorIjlEEPS9_SG_NS0_5tupleIJPjSI_NS0_16reverse_iteratorISI_EEEEENSH_IJSG_SG_SG_EEES9_SI_JZNS1_25segmented_radix_sort_implINS0_14default_configELb1EPKdPdPKlPlN2at6native12_GLOBAL__N_18offset_tEEE10hipError_tPvRmT1_PNSt15iterator_traitsIS12_E10value_typeET2_T3_PNS13_IS18_E10value_typeET4_jRbjT5_S1E_jjP12ihipStream_tbEUljE_ZNSN_ISO_Lb1ESQ_SR_ST_SU_SY_EESZ_S10_S11_S12_S16_S17_S18_S1B_S1C_jS1D_jS1E_S1E_jjS1G_bEUljE0_EEESZ_S10_S11_S18_S1C_S1E_T6_T7_T9_mT8_S1G_bDpT10_ENKUlT_T0_E_clISt17integral_constantIbLb1EES1U_EEDaS1P_S1Q_EUlS1P_E_NS1_11comp_targetILNS1_3genE9ELNS1_11target_archE1100ELNS1_3gpuE3ELNS1_3repE0EEENS1_30default_config_static_selectorELNS0_4arch9wavefront6targetE0EEEvS12_.num_agpr, 0
	.set _ZN7rocprim17ROCPRIM_400000_NS6detail17trampoline_kernelINS0_13select_configILj256ELj13ELNS0_17block_load_methodE3ELS4_3ELS4_3ELNS0_20block_scan_algorithmE0ELj4294967295EEENS1_25partition_config_selectorILNS1_17partition_subalgoE4EjNS0_10empty_typeEbEEZZNS1_14partition_implILS8_4ELb0ES6_15HIP_vector_typeIjLj2EENS0_17counting_iteratorIjlEEPS9_SG_NS0_5tupleIJPjSI_NS0_16reverse_iteratorISI_EEEEENSH_IJSG_SG_SG_EEES9_SI_JZNS1_25segmented_radix_sort_implINS0_14default_configELb1EPKdPdPKlPlN2at6native12_GLOBAL__N_18offset_tEEE10hipError_tPvRmT1_PNSt15iterator_traitsIS12_E10value_typeET2_T3_PNS13_IS18_E10value_typeET4_jRbjT5_S1E_jjP12ihipStream_tbEUljE_ZNSN_ISO_Lb1ESQ_SR_ST_SU_SY_EESZ_S10_S11_S12_S16_S17_S18_S1B_S1C_jS1D_jS1E_S1E_jjS1G_bEUljE0_EEESZ_S10_S11_S18_S1C_S1E_T6_T7_T9_mT8_S1G_bDpT10_ENKUlT_T0_E_clISt17integral_constantIbLb1EES1U_EEDaS1P_S1Q_EUlS1P_E_NS1_11comp_targetILNS1_3genE9ELNS1_11target_archE1100ELNS1_3gpuE3ELNS1_3repE0EEENS1_30default_config_static_selectorELNS0_4arch9wavefront6targetE0EEEvS12_.numbered_sgpr, 0
	.set _ZN7rocprim17ROCPRIM_400000_NS6detail17trampoline_kernelINS0_13select_configILj256ELj13ELNS0_17block_load_methodE3ELS4_3ELS4_3ELNS0_20block_scan_algorithmE0ELj4294967295EEENS1_25partition_config_selectorILNS1_17partition_subalgoE4EjNS0_10empty_typeEbEEZZNS1_14partition_implILS8_4ELb0ES6_15HIP_vector_typeIjLj2EENS0_17counting_iteratorIjlEEPS9_SG_NS0_5tupleIJPjSI_NS0_16reverse_iteratorISI_EEEEENSH_IJSG_SG_SG_EEES9_SI_JZNS1_25segmented_radix_sort_implINS0_14default_configELb1EPKdPdPKlPlN2at6native12_GLOBAL__N_18offset_tEEE10hipError_tPvRmT1_PNSt15iterator_traitsIS12_E10value_typeET2_T3_PNS13_IS18_E10value_typeET4_jRbjT5_S1E_jjP12ihipStream_tbEUljE_ZNSN_ISO_Lb1ESQ_SR_ST_SU_SY_EESZ_S10_S11_S12_S16_S17_S18_S1B_S1C_jS1D_jS1E_S1E_jjS1G_bEUljE0_EEESZ_S10_S11_S18_S1C_S1E_T6_T7_T9_mT8_S1G_bDpT10_ENKUlT_T0_E_clISt17integral_constantIbLb1EES1U_EEDaS1P_S1Q_EUlS1P_E_NS1_11comp_targetILNS1_3genE9ELNS1_11target_archE1100ELNS1_3gpuE3ELNS1_3repE0EEENS1_30default_config_static_selectorELNS0_4arch9wavefront6targetE0EEEvS12_.num_named_barrier, 0
	.set _ZN7rocprim17ROCPRIM_400000_NS6detail17trampoline_kernelINS0_13select_configILj256ELj13ELNS0_17block_load_methodE3ELS4_3ELS4_3ELNS0_20block_scan_algorithmE0ELj4294967295EEENS1_25partition_config_selectorILNS1_17partition_subalgoE4EjNS0_10empty_typeEbEEZZNS1_14partition_implILS8_4ELb0ES6_15HIP_vector_typeIjLj2EENS0_17counting_iteratorIjlEEPS9_SG_NS0_5tupleIJPjSI_NS0_16reverse_iteratorISI_EEEEENSH_IJSG_SG_SG_EEES9_SI_JZNS1_25segmented_radix_sort_implINS0_14default_configELb1EPKdPdPKlPlN2at6native12_GLOBAL__N_18offset_tEEE10hipError_tPvRmT1_PNSt15iterator_traitsIS12_E10value_typeET2_T3_PNS13_IS18_E10value_typeET4_jRbjT5_S1E_jjP12ihipStream_tbEUljE_ZNSN_ISO_Lb1ESQ_SR_ST_SU_SY_EESZ_S10_S11_S12_S16_S17_S18_S1B_S1C_jS1D_jS1E_S1E_jjS1G_bEUljE0_EEESZ_S10_S11_S18_S1C_S1E_T6_T7_T9_mT8_S1G_bDpT10_ENKUlT_T0_E_clISt17integral_constantIbLb1EES1U_EEDaS1P_S1Q_EUlS1P_E_NS1_11comp_targetILNS1_3genE9ELNS1_11target_archE1100ELNS1_3gpuE3ELNS1_3repE0EEENS1_30default_config_static_selectorELNS0_4arch9wavefront6targetE0EEEvS12_.private_seg_size, 0
	.set _ZN7rocprim17ROCPRIM_400000_NS6detail17trampoline_kernelINS0_13select_configILj256ELj13ELNS0_17block_load_methodE3ELS4_3ELS4_3ELNS0_20block_scan_algorithmE0ELj4294967295EEENS1_25partition_config_selectorILNS1_17partition_subalgoE4EjNS0_10empty_typeEbEEZZNS1_14partition_implILS8_4ELb0ES6_15HIP_vector_typeIjLj2EENS0_17counting_iteratorIjlEEPS9_SG_NS0_5tupleIJPjSI_NS0_16reverse_iteratorISI_EEEEENSH_IJSG_SG_SG_EEES9_SI_JZNS1_25segmented_radix_sort_implINS0_14default_configELb1EPKdPdPKlPlN2at6native12_GLOBAL__N_18offset_tEEE10hipError_tPvRmT1_PNSt15iterator_traitsIS12_E10value_typeET2_T3_PNS13_IS18_E10value_typeET4_jRbjT5_S1E_jjP12ihipStream_tbEUljE_ZNSN_ISO_Lb1ESQ_SR_ST_SU_SY_EESZ_S10_S11_S12_S16_S17_S18_S1B_S1C_jS1D_jS1E_S1E_jjS1G_bEUljE0_EEESZ_S10_S11_S18_S1C_S1E_T6_T7_T9_mT8_S1G_bDpT10_ENKUlT_T0_E_clISt17integral_constantIbLb1EES1U_EEDaS1P_S1Q_EUlS1P_E_NS1_11comp_targetILNS1_3genE9ELNS1_11target_archE1100ELNS1_3gpuE3ELNS1_3repE0EEENS1_30default_config_static_selectorELNS0_4arch9wavefront6targetE0EEEvS12_.uses_vcc, 0
	.set _ZN7rocprim17ROCPRIM_400000_NS6detail17trampoline_kernelINS0_13select_configILj256ELj13ELNS0_17block_load_methodE3ELS4_3ELS4_3ELNS0_20block_scan_algorithmE0ELj4294967295EEENS1_25partition_config_selectorILNS1_17partition_subalgoE4EjNS0_10empty_typeEbEEZZNS1_14partition_implILS8_4ELb0ES6_15HIP_vector_typeIjLj2EENS0_17counting_iteratorIjlEEPS9_SG_NS0_5tupleIJPjSI_NS0_16reverse_iteratorISI_EEEEENSH_IJSG_SG_SG_EEES9_SI_JZNS1_25segmented_radix_sort_implINS0_14default_configELb1EPKdPdPKlPlN2at6native12_GLOBAL__N_18offset_tEEE10hipError_tPvRmT1_PNSt15iterator_traitsIS12_E10value_typeET2_T3_PNS13_IS18_E10value_typeET4_jRbjT5_S1E_jjP12ihipStream_tbEUljE_ZNSN_ISO_Lb1ESQ_SR_ST_SU_SY_EESZ_S10_S11_S12_S16_S17_S18_S1B_S1C_jS1D_jS1E_S1E_jjS1G_bEUljE0_EEESZ_S10_S11_S18_S1C_S1E_T6_T7_T9_mT8_S1G_bDpT10_ENKUlT_T0_E_clISt17integral_constantIbLb1EES1U_EEDaS1P_S1Q_EUlS1P_E_NS1_11comp_targetILNS1_3genE9ELNS1_11target_archE1100ELNS1_3gpuE3ELNS1_3repE0EEENS1_30default_config_static_selectorELNS0_4arch9wavefront6targetE0EEEvS12_.uses_flat_scratch, 0
	.set _ZN7rocprim17ROCPRIM_400000_NS6detail17trampoline_kernelINS0_13select_configILj256ELj13ELNS0_17block_load_methodE3ELS4_3ELS4_3ELNS0_20block_scan_algorithmE0ELj4294967295EEENS1_25partition_config_selectorILNS1_17partition_subalgoE4EjNS0_10empty_typeEbEEZZNS1_14partition_implILS8_4ELb0ES6_15HIP_vector_typeIjLj2EENS0_17counting_iteratorIjlEEPS9_SG_NS0_5tupleIJPjSI_NS0_16reverse_iteratorISI_EEEEENSH_IJSG_SG_SG_EEES9_SI_JZNS1_25segmented_radix_sort_implINS0_14default_configELb1EPKdPdPKlPlN2at6native12_GLOBAL__N_18offset_tEEE10hipError_tPvRmT1_PNSt15iterator_traitsIS12_E10value_typeET2_T3_PNS13_IS18_E10value_typeET4_jRbjT5_S1E_jjP12ihipStream_tbEUljE_ZNSN_ISO_Lb1ESQ_SR_ST_SU_SY_EESZ_S10_S11_S12_S16_S17_S18_S1B_S1C_jS1D_jS1E_S1E_jjS1G_bEUljE0_EEESZ_S10_S11_S18_S1C_S1E_T6_T7_T9_mT8_S1G_bDpT10_ENKUlT_T0_E_clISt17integral_constantIbLb1EES1U_EEDaS1P_S1Q_EUlS1P_E_NS1_11comp_targetILNS1_3genE9ELNS1_11target_archE1100ELNS1_3gpuE3ELNS1_3repE0EEENS1_30default_config_static_selectorELNS0_4arch9wavefront6targetE0EEEvS12_.has_dyn_sized_stack, 0
	.set _ZN7rocprim17ROCPRIM_400000_NS6detail17trampoline_kernelINS0_13select_configILj256ELj13ELNS0_17block_load_methodE3ELS4_3ELS4_3ELNS0_20block_scan_algorithmE0ELj4294967295EEENS1_25partition_config_selectorILNS1_17partition_subalgoE4EjNS0_10empty_typeEbEEZZNS1_14partition_implILS8_4ELb0ES6_15HIP_vector_typeIjLj2EENS0_17counting_iteratorIjlEEPS9_SG_NS0_5tupleIJPjSI_NS0_16reverse_iteratorISI_EEEEENSH_IJSG_SG_SG_EEES9_SI_JZNS1_25segmented_radix_sort_implINS0_14default_configELb1EPKdPdPKlPlN2at6native12_GLOBAL__N_18offset_tEEE10hipError_tPvRmT1_PNSt15iterator_traitsIS12_E10value_typeET2_T3_PNS13_IS18_E10value_typeET4_jRbjT5_S1E_jjP12ihipStream_tbEUljE_ZNSN_ISO_Lb1ESQ_SR_ST_SU_SY_EESZ_S10_S11_S12_S16_S17_S18_S1B_S1C_jS1D_jS1E_S1E_jjS1G_bEUljE0_EEESZ_S10_S11_S18_S1C_S1E_T6_T7_T9_mT8_S1G_bDpT10_ENKUlT_T0_E_clISt17integral_constantIbLb1EES1U_EEDaS1P_S1Q_EUlS1P_E_NS1_11comp_targetILNS1_3genE9ELNS1_11target_archE1100ELNS1_3gpuE3ELNS1_3repE0EEENS1_30default_config_static_selectorELNS0_4arch9wavefront6targetE0EEEvS12_.has_recursion, 0
	.set _ZN7rocprim17ROCPRIM_400000_NS6detail17trampoline_kernelINS0_13select_configILj256ELj13ELNS0_17block_load_methodE3ELS4_3ELS4_3ELNS0_20block_scan_algorithmE0ELj4294967295EEENS1_25partition_config_selectorILNS1_17partition_subalgoE4EjNS0_10empty_typeEbEEZZNS1_14partition_implILS8_4ELb0ES6_15HIP_vector_typeIjLj2EENS0_17counting_iteratorIjlEEPS9_SG_NS0_5tupleIJPjSI_NS0_16reverse_iteratorISI_EEEEENSH_IJSG_SG_SG_EEES9_SI_JZNS1_25segmented_radix_sort_implINS0_14default_configELb1EPKdPdPKlPlN2at6native12_GLOBAL__N_18offset_tEEE10hipError_tPvRmT1_PNSt15iterator_traitsIS12_E10value_typeET2_T3_PNS13_IS18_E10value_typeET4_jRbjT5_S1E_jjP12ihipStream_tbEUljE_ZNSN_ISO_Lb1ESQ_SR_ST_SU_SY_EESZ_S10_S11_S12_S16_S17_S18_S1B_S1C_jS1D_jS1E_S1E_jjS1G_bEUljE0_EEESZ_S10_S11_S18_S1C_S1E_T6_T7_T9_mT8_S1G_bDpT10_ENKUlT_T0_E_clISt17integral_constantIbLb1EES1U_EEDaS1P_S1Q_EUlS1P_E_NS1_11comp_targetILNS1_3genE9ELNS1_11target_archE1100ELNS1_3gpuE3ELNS1_3repE0EEENS1_30default_config_static_selectorELNS0_4arch9wavefront6targetE0EEEvS12_.has_indirect_call, 0
	.section	.AMDGPU.csdata,"",@progbits
; Kernel info:
; codeLenInByte = 0
; TotalNumSgprs: 0
; NumVgprs: 0
; ScratchSize: 0
; MemoryBound: 0
; FloatMode: 240
; IeeeMode: 1
; LDSByteSize: 0 bytes/workgroup (compile time only)
; SGPRBlocks: 0
; VGPRBlocks: 0
; NumSGPRsForWavesPerEU: 1
; NumVGPRsForWavesPerEU: 1
; Occupancy: 16
; WaveLimiterHint : 0
; COMPUTE_PGM_RSRC2:SCRATCH_EN: 0
; COMPUTE_PGM_RSRC2:USER_SGPR: 2
; COMPUTE_PGM_RSRC2:TRAP_HANDLER: 0
; COMPUTE_PGM_RSRC2:TGID_X_EN: 1
; COMPUTE_PGM_RSRC2:TGID_Y_EN: 0
; COMPUTE_PGM_RSRC2:TGID_Z_EN: 0
; COMPUTE_PGM_RSRC2:TIDIG_COMP_CNT: 0
	.section	.text._ZN7rocprim17ROCPRIM_400000_NS6detail17trampoline_kernelINS0_13select_configILj256ELj13ELNS0_17block_load_methodE3ELS4_3ELS4_3ELNS0_20block_scan_algorithmE0ELj4294967295EEENS1_25partition_config_selectorILNS1_17partition_subalgoE4EjNS0_10empty_typeEbEEZZNS1_14partition_implILS8_4ELb0ES6_15HIP_vector_typeIjLj2EENS0_17counting_iteratorIjlEEPS9_SG_NS0_5tupleIJPjSI_NS0_16reverse_iteratorISI_EEEEENSH_IJSG_SG_SG_EEES9_SI_JZNS1_25segmented_radix_sort_implINS0_14default_configELb1EPKdPdPKlPlN2at6native12_GLOBAL__N_18offset_tEEE10hipError_tPvRmT1_PNSt15iterator_traitsIS12_E10value_typeET2_T3_PNS13_IS18_E10value_typeET4_jRbjT5_S1E_jjP12ihipStream_tbEUljE_ZNSN_ISO_Lb1ESQ_SR_ST_SU_SY_EESZ_S10_S11_S12_S16_S17_S18_S1B_S1C_jS1D_jS1E_S1E_jjS1G_bEUljE0_EEESZ_S10_S11_S18_S1C_S1E_T6_T7_T9_mT8_S1G_bDpT10_ENKUlT_T0_E_clISt17integral_constantIbLb1EES1U_EEDaS1P_S1Q_EUlS1P_E_NS1_11comp_targetILNS1_3genE8ELNS1_11target_archE1030ELNS1_3gpuE2ELNS1_3repE0EEENS1_30default_config_static_selectorELNS0_4arch9wavefront6targetE0EEEvS12_,"axG",@progbits,_ZN7rocprim17ROCPRIM_400000_NS6detail17trampoline_kernelINS0_13select_configILj256ELj13ELNS0_17block_load_methodE3ELS4_3ELS4_3ELNS0_20block_scan_algorithmE0ELj4294967295EEENS1_25partition_config_selectorILNS1_17partition_subalgoE4EjNS0_10empty_typeEbEEZZNS1_14partition_implILS8_4ELb0ES6_15HIP_vector_typeIjLj2EENS0_17counting_iteratorIjlEEPS9_SG_NS0_5tupleIJPjSI_NS0_16reverse_iteratorISI_EEEEENSH_IJSG_SG_SG_EEES9_SI_JZNS1_25segmented_radix_sort_implINS0_14default_configELb1EPKdPdPKlPlN2at6native12_GLOBAL__N_18offset_tEEE10hipError_tPvRmT1_PNSt15iterator_traitsIS12_E10value_typeET2_T3_PNS13_IS18_E10value_typeET4_jRbjT5_S1E_jjP12ihipStream_tbEUljE_ZNSN_ISO_Lb1ESQ_SR_ST_SU_SY_EESZ_S10_S11_S12_S16_S17_S18_S1B_S1C_jS1D_jS1E_S1E_jjS1G_bEUljE0_EEESZ_S10_S11_S18_S1C_S1E_T6_T7_T9_mT8_S1G_bDpT10_ENKUlT_T0_E_clISt17integral_constantIbLb1EES1U_EEDaS1P_S1Q_EUlS1P_E_NS1_11comp_targetILNS1_3genE8ELNS1_11target_archE1030ELNS1_3gpuE2ELNS1_3repE0EEENS1_30default_config_static_selectorELNS0_4arch9wavefront6targetE0EEEvS12_,comdat
	.globl	_ZN7rocprim17ROCPRIM_400000_NS6detail17trampoline_kernelINS0_13select_configILj256ELj13ELNS0_17block_load_methodE3ELS4_3ELS4_3ELNS0_20block_scan_algorithmE0ELj4294967295EEENS1_25partition_config_selectorILNS1_17partition_subalgoE4EjNS0_10empty_typeEbEEZZNS1_14partition_implILS8_4ELb0ES6_15HIP_vector_typeIjLj2EENS0_17counting_iteratorIjlEEPS9_SG_NS0_5tupleIJPjSI_NS0_16reverse_iteratorISI_EEEEENSH_IJSG_SG_SG_EEES9_SI_JZNS1_25segmented_radix_sort_implINS0_14default_configELb1EPKdPdPKlPlN2at6native12_GLOBAL__N_18offset_tEEE10hipError_tPvRmT1_PNSt15iterator_traitsIS12_E10value_typeET2_T3_PNS13_IS18_E10value_typeET4_jRbjT5_S1E_jjP12ihipStream_tbEUljE_ZNSN_ISO_Lb1ESQ_SR_ST_SU_SY_EESZ_S10_S11_S12_S16_S17_S18_S1B_S1C_jS1D_jS1E_S1E_jjS1G_bEUljE0_EEESZ_S10_S11_S18_S1C_S1E_T6_T7_T9_mT8_S1G_bDpT10_ENKUlT_T0_E_clISt17integral_constantIbLb1EES1U_EEDaS1P_S1Q_EUlS1P_E_NS1_11comp_targetILNS1_3genE8ELNS1_11target_archE1030ELNS1_3gpuE2ELNS1_3repE0EEENS1_30default_config_static_selectorELNS0_4arch9wavefront6targetE0EEEvS12_ ; -- Begin function _ZN7rocprim17ROCPRIM_400000_NS6detail17trampoline_kernelINS0_13select_configILj256ELj13ELNS0_17block_load_methodE3ELS4_3ELS4_3ELNS0_20block_scan_algorithmE0ELj4294967295EEENS1_25partition_config_selectorILNS1_17partition_subalgoE4EjNS0_10empty_typeEbEEZZNS1_14partition_implILS8_4ELb0ES6_15HIP_vector_typeIjLj2EENS0_17counting_iteratorIjlEEPS9_SG_NS0_5tupleIJPjSI_NS0_16reverse_iteratorISI_EEEEENSH_IJSG_SG_SG_EEES9_SI_JZNS1_25segmented_radix_sort_implINS0_14default_configELb1EPKdPdPKlPlN2at6native12_GLOBAL__N_18offset_tEEE10hipError_tPvRmT1_PNSt15iterator_traitsIS12_E10value_typeET2_T3_PNS13_IS18_E10value_typeET4_jRbjT5_S1E_jjP12ihipStream_tbEUljE_ZNSN_ISO_Lb1ESQ_SR_ST_SU_SY_EESZ_S10_S11_S12_S16_S17_S18_S1B_S1C_jS1D_jS1E_S1E_jjS1G_bEUljE0_EEESZ_S10_S11_S18_S1C_S1E_T6_T7_T9_mT8_S1G_bDpT10_ENKUlT_T0_E_clISt17integral_constantIbLb1EES1U_EEDaS1P_S1Q_EUlS1P_E_NS1_11comp_targetILNS1_3genE8ELNS1_11target_archE1030ELNS1_3gpuE2ELNS1_3repE0EEENS1_30default_config_static_selectorELNS0_4arch9wavefront6targetE0EEEvS12_
	.p2align	8
	.type	_ZN7rocprim17ROCPRIM_400000_NS6detail17trampoline_kernelINS0_13select_configILj256ELj13ELNS0_17block_load_methodE3ELS4_3ELS4_3ELNS0_20block_scan_algorithmE0ELj4294967295EEENS1_25partition_config_selectorILNS1_17partition_subalgoE4EjNS0_10empty_typeEbEEZZNS1_14partition_implILS8_4ELb0ES6_15HIP_vector_typeIjLj2EENS0_17counting_iteratorIjlEEPS9_SG_NS0_5tupleIJPjSI_NS0_16reverse_iteratorISI_EEEEENSH_IJSG_SG_SG_EEES9_SI_JZNS1_25segmented_radix_sort_implINS0_14default_configELb1EPKdPdPKlPlN2at6native12_GLOBAL__N_18offset_tEEE10hipError_tPvRmT1_PNSt15iterator_traitsIS12_E10value_typeET2_T3_PNS13_IS18_E10value_typeET4_jRbjT5_S1E_jjP12ihipStream_tbEUljE_ZNSN_ISO_Lb1ESQ_SR_ST_SU_SY_EESZ_S10_S11_S12_S16_S17_S18_S1B_S1C_jS1D_jS1E_S1E_jjS1G_bEUljE0_EEESZ_S10_S11_S18_S1C_S1E_T6_T7_T9_mT8_S1G_bDpT10_ENKUlT_T0_E_clISt17integral_constantIbLb1EES1U_EEDaS1P_S1Q_EUlS1P_E_NS1_11comp_targetILNS1_3genE8ELNS1_11target_archE1030ELNS1_3gpuE2ELNS1_3repE0EEENS1_30default_config_static_selectorELNS0_4arch9wavefront6targetE0EEEvS12_,@function
_ZN7rocprim17ROCPRIM_400000_NS6detail17trampoline_kernelINS0_13select_configILj256ELj13ELNS0_17block_load_methodE3ELS4_3ELS4_3ELNS0_20block_scan_algorithmE0ELj4294967295EEENS1_25partition_config_selectorILNS1_17partition_subalgoE4EjNS0_10empty_typeEbEEZZNS1_14partition_implILS8_4ELb0ES6_15HIP_vector_typeIjLj2EENS0_17counting_iteratorIjlEEPS9_SG_NS0_5tupleIJPjSI_NS0_16reverse_iteratorISI_EEEEENSH_IJSG_SG_SG_EEES9_SI_JZNS1_25segmented_radix_sort_implINS0_14default_configELb1EPKdPdPKlPlN2at6native12_GLOBAL__N_18offset_tEEE10hipError_tPvRmT1_PNSt15iterator_traitsIS12_E10value_typeET2_T3_PNS13_IS18_E10value_typeET4_jRbjT5_S1E_jjP12ihipStream_tbEUljE_ZNSN_ISO_Lb1ESQ_SR_ST_SU_SY_EESZ_S10_S11_S12_S16_S17_S18_S1B_S1C_jS1D_jS1E_S1E_jjS1G_bEUljE0_EEESZ_S10_S11_S18_S1C_S1E_T6_T7_T9_mT8_S1G_bDpT10_ENKUlT_T0_E_clISt17integral_constantIbLb1EES1U_EEDaS1P_S1Q_EUlS1P_E_NS1_11comp_targetILNS1_3genE8ELNS1_11target_archE1030ELNS1_3gpuE2ELNS1_3repE0EEENS1_30default_config_static_selectorELNS0_4arch9wavefront6targetE0EEEvS12_: ; @_ZN7rocprim17ROCPRIM_400000_NS6detail17trampoline_kernelINS0_13select_configILj256ELj13ELNS0_17block_load_methodE3ELS4_3ELS4_3ELNS0_20block_scan_algorithmE0ELj4294967295EEENS1_25partition_config_selectorILNS1_17partition_subalgoE4EjNS0_10empty_typeEbEEZZNS1_14partition_implILS8_4ELb0ES6_15HIP_vector_typeIjLj2EENS0_17counting_iteratorIjlEEPS9_SG_NS0_5tupleIJPjSI_NS0_16reverse_iteratorISI_EEEEENSH_IJSG_SG_SG_EEES9_SI_JZNS1_25segmented_radix_sort_implINS0_14default_configELb1EPKdPdPKlPlN2at6native12_GLOBAL__N_18offset_tEEE10hipError_tPvRmT1_PNSt15iterator_traitsIS12_E10value_typeET2_T3_PNS13_IS18_E10value_typeET4_jRbjT5_S1E_jjP12ihipStream_tbEUljE_ZNSN_ISO_Lb1ESQ_SR_ST_SU_SY_EESZ_S10_S11_S12_S16_S17_S18_S1B_S1C_jS1D_jS1E_S1E_jjS1G_bEUljE0_EEESZ_S10_S11_S18_S1C_S1E_T6_T7_T9_mT8_S1G_bDpT10_ENKUlT_T0_E_clISt17integral_constantIbLb1EES1U_EEDaS1P_S1Q_EUlS1P_E_NS1_11comp_targetILNS1_3genE8ELNS1_11target_archE1030ELNS1_3gpuE2ELNS1_3repE0EEENS1_30default_config_static_selectorELNS0_4arch9wavefront6targetE0EEEvS12_
; %bb.0:
	.section	.rodata,"a",@progbits
	.p2align	6, 0x0
	.amdhsa_kernel _ZN7rocprim17ROCPRIM_400000_NS6detail17trampoline_kernelINS0_13select_configILj256ELj13ELNS0_17block_load_methodE3ELS4_3ELS4_3ELNS0_20block_scan_algorithmE0ELj4294967295EEENS1_25partition_config_selectorILNS1_17partition_subalgoE4EjNS0_10empty_typeEbEEZZNS1_14partition_implILS8_4ELb0ES6_15HIP_vector_typeIjLj2EENS0_17counting_iteratorIjlEEPS9_SG_NS0_5tupleIJPjSI_NS0_16reverse_iteratorISI_EEEEENSH_IJSG_SG_SG_EEES9_SI_JZNS1_25segmented_radix_sort_implINS0_14default_configELb1EPKdPdPKlPlN2at6native12_GLOBAL__N_18offset_tEEE10hipError_tPvRmT1_PNSt15iterator_traitsIS12_E10value_typeET2_T3_PNS13_IS18_E10value_typeET4_jRbjT5_S1E_jjP12ihipStream_tbEUljE_ZNSN_ISO_Lb1ESQ_SR_ST_SU_SY_EESZ_S10_S11_S12_S16_S17_S18_S1B_S1C_jS1D_jS1E_S1E_jjS1G_bEUljE0_EEESZ_S10_S11_S18_S1C_S1E_T6_T7_T9_mT8_S1G_bDpT10_ENKUlT_T0_E_clISt17integral_constantIbLb1EES1U_EEDaS1P_S1Q_EUlS1P_E_NS1_11comp_targetILNS1_3genE8ELNS1_11target_archE1030ELNS1_3gpuE2ELNS1_3repE0EEENS1_30default_config_static_selectorELNS0_4arch9wavefront6targetE0EEEvS12_
		.amdhsa_group_segment_fixed_size 0
		.amdhsa_private_segment_fixed_size 0
		.amdhsa_kernarg_size 184
		.amdhsa_user_sgpr_count 2
		.amdhsa_user_sgpr_dispatch_ptr 0
		.amdhsa_user_sgpr_queue_ptr 0
		.amdhsa_user_sgpr_kernarg_segment_ptr 1
		.amdhsa_user_sgpr_dispatch_id 0
		.amdhsa_user_sgpr_private_segment_size 0
		.amdhsa_wavefront_size32 1
		.amdhsa_uses_dynamic_stack 0
		.amdhsa_enable_private_segment 0
		.amdhsa_system_sgpr_workgroup_id_x 1
		.amdhsa_system_sgpr_workgroup_id_y 0
		.amdhsa_system_sgpr_workgroup_id_z 0
		.amdhsa_system_sgpr_workgroup_info 0
		.amdhsa_system_vgpr_workitem_id 0
		.amdhsa_next_free_vgpr 1
		.amdhsa_next_free_sgpr 1
		.amdhsa_reserve_vcc 0
		.amdhsa_float_round_mode_32 0
		.amdhsa_float_round_mode_16_64 0
		.amdhsa_float_denorm_mode_32 3
		.amdhsa_float_denorm_mode_16_64 3
		.amdhsa_fp16_overflow 0
		.amdhsa_workgroup_processor_mode 1
		.amdhsa_memory_ordered 1
		.amdhsa_forward_progress 1
		.amdhsa_inst_pref_size 0
		.amdhsa_round_robin_scheduling 0
		.amdhsa_exception_fp_ieee_invalid_op 0
		.amdhsa_exception_fp_denorm_src 0
		.amdhsa_exception_fp_ieee_div_zero 0
		.amdhsa_exception_fp_ieee_overflow 0
		.amdhsa_exception_fp_ieee_underflow 0
		.amdhsa_exception_fp_ieee_inexact 0
		.amdhsa_exception_int_div_zero 0
	.end_amdhsa_kernel
	.section	.text._ZN7rocprim17ROCPRIM_400000_NS6detail17trampoline_kernelINS0_13select_configILj256ELj13ELNS0_17block_load_methodE3ELS4_3ELS4_3ELNS0_20block_scan_algorithmE0ELj4294967295EEENS1_25partition_config_selectorILNS1_17partition_subalgoE4EjNS0_10empty_typeEbEEZZNS1_14partition_implILS8_4ELb0ES6_15HIP_vector_typeIjLj2EENS0_17counting_iteratorIjlEEPS9_SG_NS0_5tupleIJPjSI_NS0_16reverse_iteratorISI_EEEEENSH_IJSG_SG_SG_EEES9_SI_JZNS1_25segmented_radix_sort_implINS0_14default_configELb1EPKdPdPKlPlN2at6native12_GLOBAL__N_18offset_tEEE10hipError_tPvRmT1_PNSt15iterator_traitsIS12_E10value_typeET2_T3_PNS13_IS18_E10value_typeET4_jRbjT5_S1E_jjP12ihipStream_tbEUljE_ZNSN_ISO_Lb1ESQ_SR_ST_SU_SY_EESZ_S10_S11_S12_S16_S17_S18_S1B_S1C_jS1D_jS1E_S1E_jjS1G_bEUljE0_EEESZ_S10_S11_S18_S1C_S1E_T6_T7_T9_mT8_S1G_bDpT10_ENKUlT_T0_E_clISt17integral_constantIbLb1EES1U_EEDaS1P_S1Q_EUlS1P_E_NS1_11comp_targetILNS1_3genE8ELNS1_11target_archE1030ELNS1_3gpuE2ELNS1_3repE0EEENS1_30default_config_static_selectorELNS0_4arch9wavefront6targetE0EEEvS12_,"axG",@progbits,_ZN7rocprim17ROCPRIM_400000_NS6detail17trampoline_kernelINS0_13select_configILj256ELj13ELNS0_17block_load_methodE3ELS4_3ELS4_3ELNS0_20block_scan_algorithmE0ELj4294967295EEENS1_25partition_config_selectorILNS1_17partition_subalgoE4EjNS0_10empty_typeEbEEZZNS1_14partition_implILS8_4ELb0ES6_15HIP_vector_typeIjLj2EENS0_17counting_iteratorIjlEEPS9_SG_NS0_5tupleIJPjSI_NS0_16reverse_iteratorISI_EEEEENSH_IJSG_SG_SG_EEES9_SI_JZNS1_25segmented_radix_sort_implINS0_14default_configELb1EPKdPdPKlPlN2at6native12_GLOBAL__N_18offset_tEEE10hipError_tPvRmT1_PNSt15iterator_traitsIS12_E10value_typeET2_T3_PNS13_IS18_E10value_typeET4_jRbjT5_S1E_jjP12ihipStream_tbEUljE_ZNSN_ISO_Lb1ESQ_SR_ST_SU_SY_EESZ_S10_S11_S12_S16_S17_S18_S1B_S1C_jS1D_jS1E_S1E_jjS1G_bEUljE0_EEESZ_S10_S11_S18_S1C_S1E_T6_T7_T9_mT8_S1G_bDpT10_ENKUlT_T0_E_clISt17integral_constantIbLb1EES1U_EEDaS1P_S1Q_EUlS1P_E_NS1_11comp_targetILNS1_3genE8ELNS1_11target_archE1030ELNS1_3gpuE2ELNS1_3repE0EEENS1_30default_config_static_selectorELNS0_4arch9wavefront6targetE0EEEvS12_,comdat
.Lfunc_end1069:
	.size	_ZN7rocprim17ROCPRIM_400000_NS6detail17trampoline_kernelINS0_13select_configILj256ELj13ELNS0_17block_load_methodE3ELS4_3ELS4_3ELNS0_20block_scan_algorithmE0ELj4294967295EEENS1_25partition_config_selectorILNS1_17partition_subalgoE4EjNS0_10empty_typeEbEEZZNS1_14partition_implILS8_4ELb0ES6_15HIP_vector_typeIjLj2EENS0_17counting_iteratorIjlEEPS9_SG_NS0_5tupleIJPjSI_NS0_16reverse_iteratorISI_EEEEENSH_IJSG_SG_SG_EEES9_SI_JZNS1_25segmented_radix_sort_implINS0_14default_configELb1EPKdPdPKlPlN2at6native12_GLOBAL__N_18offset_tEEE10hipError_tPvRmT1_PNSt15iterator_traitsIS12_E10value_typeET2_T3_PNS13_IS18_E10value_typeET4_jRbjT5_S1E_jjP12ihipStream_tbEUljE_ZNSN_ISO_Lb1ESQ_SR_ST_SU_SY_EESZ_S10_S11_S12_S16_S17_S18_S1B_S1C_jS1D_jS1E_S1E_jjS1G_bEUljE0_EEESZ_S10_S11_S18_S1C_S1E_T6_T7_T9_mT8_S1G_bDpT10_ENKUlT_T0_E_clISt17integral_constantIbLb1EES1U_EEDaS1P_S1Q_EUlS1P_E_NS1_11comp_targetILNS1_3genE8ELNS1_11target_archE1030ELNS1_3gpuE2ELNS1_3repE0EEENS1_30default_config_static_selectorELNS0_4arch9wavefront6targetE0EEEvS12_, .Lfunc_end1069-_ZN7rocprim17ROCPRIM_400000_NS6detail17trampoline_kernelINS0_13select_configILj256ELj13ELNS0_17block_load_methodE3ELS4_3ELS4_3ELNS0_20block_scan_algorithmE0ELj4294967295EEENS1_25partition_config_selectorILNS1_17partition_subalgoE4EjNS0_10empty_typeEbEEZZNS1_14partition_implILS8_4ELb0ES6_15HIP_vector_typeIjLj2EENS0_17counting_iteratorIjlEEPS9_SG_NS0_5tupleIJPjSI_NS0_16reverse_iteratorISI_EEEEENSH_IJSG_SG_SG_EEES9_SI_JZNS1_25segmented_radix_sort_implINS0_14default_configELb1EPKdPdPKlPlN2at6native12_GLOBAL__N_18offset_tEEE10hipError_tPvRmT1_PNSt15iterator_traitsIS12_E10value_typeET2_T3_PNS13_IS18_E10value_typeET4_jRbjT5_S1E_jjP12ihipStream_tbEUljE_ZNSN_ISO_Lb1ESQ_SR_ST_SU_SY_EESZ_S10_S11_S12_S16_S17_S18_S1B_S1C_jS1D_jS1E_S1E_jjS1G_bEUljE0_EEESZ_S10_S11_S18_S1C_S1E_T6_T7_T9_mT8_S1G_bDpT10_ENKUlT_T0_E_clISt17integral_constantIbLb1EES1U_EEDaS1P_S1Q_EUlS1P_E_NS1_11comp_targetILNS1_3genE8ELNS1_11target_archE1030ELNS1_3gpuE2ELNS1_3repE0EEENS1_30default_config_static_selectorELNS0_4arch9wavefront6targetE0EEEvS12_
                                        ; -- End function
	.set _ZN7rocprim17ROCPRIM_400000_NS6detail17trampoline_kernelINS0_13select_configILj256ELj13ELNS0_17block_load_methodE3ELS4_3ELS4_3ELNS0_20block_scan_algorithmE0ELj4294967295EEENS1_25partition_config_selectorILNS1_17partition_subalgoE4EjNS0_10empty_typeEbEEZZNS1_14partition_implILS8_4ELb0ES6_15HIP_vector_typeIjLj2EENS0_17counting_iteratorIjlEEPS9_SG_NS0_5tupleIJPjSI_NS0_16reverse_iteratorISI_EEEEENSH_IJSG_SG_SG_EEES9_SI_JZNS1_25segmented_radix_sort_implINS0_14default_configELb1EPKdPdPKlPlN2at6native12_GLOBAL__N_18offset_tEEE10hipError_tPvRmT1_PNSt15iterator_traitsIS12_E10value_typeET2_T3_PNS13_IS18_E10value_typeET4_jRbjT5_S1E_jjP12ihipStream_tbEUljE_ZNSN_ISO_Lb1ESQ_SR_ST_SU_SY_EESZ_S10_S11_S12_S16_S17_S18_S1B_S1C_jS1D_jS1E_S1E_jjS1G_bEUljE0_EEESZ_S10_S11_S18_S1C_S1E_T6_T7_T9_mT8_S1G_bDpT10_ENKUlT_T0_E_clISt17integral_constantIbLb1EES1U_EEDaS1P_S1Q_EUlS1P_E_NS1_11comp_targetILNS1_3genE8ELNS1_11target_archE1030ELNS1_3gpuE2ELNS1_3repE0EEENS1_30default_config_static_selectorELNS0_4arch9wavefront6targetE0EEEvS12_.num_vgpr, 0
	.set _ZN7rocprim17ROCPRIM_400000_NS6detail17trampoline_kernelINS0_13select_configILj256ELj13ELNS0_17block_load_methodE3ELS4_3ELS4_3ELNS0_20block_scan_algorithmE0ELj4294967295EEENS1_25partition_config_selectorILNS1_17partition_subalgoE4EjNS0_10empty_typeEbEEZZNS1_14partition_implILS8_4ELb0ES6_15HIP_vector_typeIjLj2EENS0_17counting_iteratorIjlEEPS9_SG_NS0_5tupleIJPjSI_NS0_16reverse_iteratorISI_EEEEENSH_IJSG_SG_SG_EEES9_SI_JZNS1_25segmented_radix_sort_implINS0_14default_configELb1EPKdPdPKlPlN2at6native12_GLOBAL__N_18offset_tEEE10hipError_tPvRmT1_PNSt15iterator_traitsIS12_E10value_typeET2_T3_PNS13_IS18_E10value_typeET4_jRbjT5_S1E_jjP12ihipStream_tbEUljE_ZNSN_ISO_Lb1ESQ_SR_ST_SU_SY_EESZ_S10_S11_S12_S16_S17_S18_S1B_S1C_jS1D_jS1E_S1E_jjS1G_bEUljE0_EEESZ_S10_S11_S18_S1C_S1E_T6_T7_T9_mT8_S1G_bDpT10_ENKUlT_T0_E_clISt17integral_constantIbLb1EES1U_EEDaS1P_S1Q_EUlS1P_E_NS1_11comp_targetILNS1_3genE8ELNS1_11target_archE1030ELNS1_3gpuE2ELNS1_3repE0EEENS1_30default_config_static_selectorELNS0_4arch9wavefront6targetE0EEEvS12_.num_agpr, 0
	.set _ZN7rocprim17ROCPRIM_400000_NS6detail17trampoline_kernelINS0_13select_configILj256ELj13ELNS0_17block_load_methodE3ELS4_3ELS4_3ELNS0_20block_scan_algorithmE0ELj4294967295EEENS1_25partition_config_selectorILNS1_17partition_subalgoE4EjNS0_10empty_typeEbEEZZNS1_14partition_implILS8_4ELb0ES6_15HIP_vector_typeIjLj2EENS0_17counting_iteratorIjlEEPS9_SG_NS0_5tupleIJPjSI_NS0_16reverse_iteratorISI_EEEEENSH_IJSG_SG_SG_EEES9_SI_JZNS1_25segmented_radix_sort_implINS0_14default_configELb1EPKdPdPKlPlN2at6native12_GLOBAL__N_18offset_tEEE10hipError_tPvRmT1_PNSt15iterator_traitsIS12_E10value_typeET2_T3_PNS13_IS18_E10value_typeET4_jRbjT5_S1E_jjP12ihipStream_tbEUljE_ZNSN_ISO_Lb1ESQ_SR_ST_SU_SY_EESZ_S10_S11_S12_S16_S17_S18_S1B_S1C_jS1D_jS1E_S1E_jjS1G_bEUljE0_EEESZ_S10_S11_S18_S1C_S1E_T6_T7_T9_mT8_S1G_bDpT10_ENKUlT_T0_E_clISt17integral_constantIbLb1EES1U_EEDaS1P_S1Q_EUlS1P_E_NS1_11comp_targetILNS1_3genE8ELNS1_11target_archE1030ELNS1_3gpuE2ELNS1_3repE0EEENS1_30default_config_static_selectorELNS0_4arch9wavefront6targetE0EEEvS12_.numbered_sgpr, 0
	.set _ZN7rocprim17ROCPRIM_400000_NS6detail17trampoline_kernelINS0_13select_configILj256ELj13ELNS0_17block_load_methodE3ELS4_3ELS4_3ELNS0_20block_scan_algorithmE0ELj4294967295EEENS1_25partition_config_selectorILNS1_17partition_subalgoE4EjNS0_10empty_typeEbEEZZNS1_14partition_implILS8_4ELb0ES6_15HIP_vector_typeIjLj2EENS0_17counting_iteratorIjlEEPS9_SG_NS0_5tupleIJPjSI_NS0_16reverse_iteratorISI_EEEEENSH_IJSG_SG_SG_EEES9_SI_JZNS1_25segmented_radix_sort_implINS0_14default_configELb1EPKdPdPKlPlN2at6native12_GLOBAL__N_18offset_tEEE10hipError_tPvRmT1_PNSt15iterator_traitsIS12_E10value_typeET2_T3_PNS13_IS18_E10value_typeET4_jRbjT5_S1E_jjP12ihipStream_tbEUljE_ZNSN_ISO_Lb1ESQ_SR_ST_SU_SY_EESZ_S10_S11_S12_S16_S17_S18_S1B_S1C_jS1D_jS1E_S1E_jjS1G_bEUljE0_EEESZ_S10_S11_S18_S1C_S1E_T6_T7_T9_mT8_S1G_bDpT10_ENKUlT_T0_E_clISt17integral_constantIbLb1EES1U_EEDaS1P_S1Q_EUlS1P_E_NS1_11comp_targetILNS1_3genE8ELNS1_11target_archE1030ELNS1_3gpuE2ELNS1_3repE0EEENS1_30default_config_static_selectorELNS0_4arch9wavefront6targetE0EEEvS12_.num_named_barrier, 0
	.set _ZN7rocprim17ROCPRIM_400000_NS6detail17trampoline_kernelINS0_13select_configILj256ELj13ELNS0_17block_load_methodE3ELS4_3ELS4_3ELNS0_20block_scan_algorithmE0ELj4294967295EEENS1_25partition_config_selectorILNS1_17partition_subalgoE4EjNS0_10empty_typeEbEEZZNS1_14partition_implILS8_4ELb0ES6_15HIP_vector_typeIjLj2EENS0_17counting_iteratorIjlEEPS9_SG_NS0_5tupleIJPjSI_NS0_16reverse_iteratorISI_EEEEENSH_IJSG_SG_SG_EEES9_SI_JZNS1_25segmented_radix_sort_implINS0_14default_configELb1EPKdPdPKlPlN2at6native12_GLOBAL__N_18offset_tEEE10hipError_tPvRmT1_PNSt15iterator_traitsIS12_E10value_typeET2_T3_PNS13_IS18_E10value_typeET4_jRbjT5_S1E_jjP12ihipStream_tbEUljE_ZNSN_ISO_Lb1ESQ_SR_ST_SU_SY_EESZ_S10_S11_S12_S16_S17_S18_S1B_S1C_jS1D_jS1E_S1E_jjS1G_bEUljE0_EEESZ_S10_S11_S18_S1C_S1E_T6_T7_T9_mT8_S1G_bDpT10_ENKUlT_T0_E_clISt17integral_constantIbLb1EES1U_EEDaS1P_S1Q_EUlS1P_E_NS1_11comp_targetILNS1_3genE8ELNS1_11target_archE1030ELNS1_3gpuE2ELNS1_3repE0EEENS1_30default_config_static_selectorELNS0_4arch9wavefront6targetE0EEEvS12_.private_seg_size, 0
	.set _ZN7rocprim17ROCPRIM_400000_NS6detail17trampoline_kernelINS0_13select_configILj256ELj13ELNS0_17block_load_methodE3ELS4_3ELS4_3ELNS0_20block_scan_algorithmE0ELj4294967295EEENS1_25partition_config_selectorILNS1_17partition_subalgoE4EjNS0_10empty_typeEbEEZZNS1_14partition_implILS8_4ELb0ES6_15HIP_vector_typeIjLj2EENS0_17counting_iteratorIjlEEPS9_SG_NS0_5tupleIJPjSI_NS0_16reverse_iteratorISI_EEEEENSH_IJSG_SG_SG_EEES9_SI_JZNS1_25segmented_radix_sort_implINS0_14default_configELb1EPKdPdPKlPlN2at6native12_GLOBAL__N_18offset_tEEE10hipError_tPvRmT1_PNSt15iterator_traitsIS12_E10value_typeET2_T3_PNS13_IS18_E10value_typeET4_jRbjT5_S1E_jjP12ihipStream_tbEUljE_ZNSN_ISO_Lb1ESQ_SR_ST_SU_SY_EESZ_S10_S11_S12_S16_S17_S18_S1B_S1C_jS1D_jS1E_S1E_jjS1G_bEUljE0_EEESZ_S10_S11_S18_S1C_S1E_T6_T7_T9_mT8_S1G_bDpT10_ENKUlT_T0_E_clISt17integral_constantIbLb1EES1U_EEDaS1P_S1Q_EUlS1P_E_NS1_11comp_targetILNS1_3genE8ELNS1_11target_archE1030ELNS1_3gpuE2ELNS1_3repE0EEENS1_30default_config_static_selectorELNS0_4arch9wavefront6targetE0EEEvS12_.uses_vcc, 0
	.set _ZN7rocprim17ROCPRIM_400000_NS6detail17trampoline_kernelINS0_13select_configILj256ELj13ELNS0_17block_load_methodE3ELS4_3ELS4_3ELNS0_20block_scan_algorithmE0ELj4294967295EEENS1_25partition_config_selectorILNS1_17partition_subalgoE4EjNS0_10empty_typeEbEEZZNS1_14partition_implILS8_4ELb0ES6_15HIP_vector_typeIjLj2EENS0_17counting_iteratorIjlEEPS9_SG_NS0_5tupleIJPjSI_NS0_16reverse_iteratorISI_EEEEENSH_IJSG_SG_SG_EEES9_SI_JZNS1_25segmented_radix_sort_implINS0_14default_configELb1EPKdPdPKlPlN2at6native12_GLOBAL__N_18offset_tEEE10hipError_tPvRmT1_PNSt15iterator_traitsIS12_E10value_typeET2_T3_PNS13_IS18_E10value_typeET4_jRbjT5_S1E_jjP12ihipStream_tbEUljE_ZNSN_ISO_Lb1ESQ_SR_ST_SU_SY_EESZ_S10_S11_S12_S16_S17_S18_S1B_S1C_jS1D_jS1E_S1E_jjS1G_bEUljE0_EEESZ_S10_S11_S18_S1C_S1E_T6_T7_T9_mT8_S1G_bDpT10_ENKUlT_T0_E_clISt17integral_constantIbLb1EES1U_EEDaS1P_S1Q_EUlS1P_E_NS1_11comp_targetILNS1_3genE8ELNS1_11target_archE1030ELNS1_3gpuE2ELNS1_3repE0EEENS1_30default_config_static_selectorELNS0_4arch9wavefront6targetE0EEEvS12_.uses_flat_scratch, 0
	.set _ZN7rocprim17ROCPRIM_400000_NS6detail17trampoline_kernelINS0_13select_configILj256ELj13ELNS0_17block_load_methodE3ELS4_3ELS4_3ELNS0_20block_scan_algorithmE0ELj4294967295EEENS1_25partition_config_selectorILNS1_17partition_subalgoE4EjNS0_10empty_typeEbEEZZNS1_14partition_implILS8_4ELb0ES6_15HIP_vector_typeIjLj2EENS0_17counting_iteratorIjlEEPS9_SG_NS0_5tupleIJPjSI_NS0_16reverse_iteratorISI_EEEEENSH_IJSG_SG_SG_EEES9_SI_JZNS1_25segmented_radix_sort_implINS0_14default_configELb1EPKdPdPKlPlN2at6native12_GLOBAL__N_18offset_tEEE10hipError_tPvRmT1_PNSt15iterator_traitsIS12_E10value_typeET2_T3_PNS13_IS18_E10value_typeET4_jRbjT5_S1E_jjP12ihipStream_tbEUljE_ZNSN_ISO_Lb1ESQ_SR_ST_SU_SY_EESZ_S10_S11_S12_S16_S17_S18_S1B_S1C_jS1D_jS1E_S1E_jjS1G_bEUljE0_EEESZ_S10_S11_S18_S1C_S1E_T6_T7_T9_mT8_S1G_bDpT10_ENKUlT_T0_E_clISt17integral_constantIbLb1EES1U_EEDaS1P_S1Q_EUlS1P_E_NS1_11comp_targetILNS1_3genE8ELNS1_11target_archE1030ELNS1_3gpuE2ELNS1_3repE0EEENS1_30default_config_static_selectorELNS0_4arch9wavefront6targetE0EEEvS12_.has_dyn_sized_stack, 0
	.set _ZN7rocprim17ROCPRIM_400000_NS6detail17trampoline_kernelINS0_13select_configILj256ELj13ELNS0_17block_load_methodE3ELS4_3ELS4_3ELNS0_20block_scan_algorithmE0ELj4294967295EEENS1_25partition_config_selectorILNS1_17partition_subalgoE4EjNS0_10empty_typeEbEEZZNS1_14partition_implILS8_4ELb0ES6_15HIP_vector_typeIjLj2EENS0_17counting_iteratorIjlEEPS9_SG_NS0_5tupleIJPjSI_NS0_16reverse_iteratorISI_EEEEENSH_IJSG_SG_SG_EEES9_SI_JZNS1_25segmented_radix_sort_implINS0_14default_configELb1EPKdPdPKlPlN2at6native12_GLOBAL__N_18offset_tEEE10hipError_tPvRmT1_PNSt15iterator_traitsIS12_E10value_typeET2_T3_PNS13_IS18_E10value_typeET4_jRbjT5_S1E_jjP12ihipStream_tbEUljE_ZNSN_ISO_Lb1ESQ_SR_ST_SU_SY_EESZ_S10_S11_S12_S16_S17_S18_S1B_S1C_jS1D_jS1E_S1E_jjS1G_bEUljE0_EEESZ_S10_S11_S18_S1C_S1E_T6_T7_T9_mT8_S1G_bDpT10_ENKUlT_T0_E_clISt17integral_constantIbLb1EES1U_EEDaS1P_S1Q_EUlS1P_E_NS1_11comp_targetILNS1_3genE8ELNS1_11target_archE1030ELNS1_3gpuE2ELNS1_3repE0EEENS1_30default_config_static_selectorELNS0_4arch9wavefront6targetE0EEEvS12_.has_recursion, 0
	.set _ZN7rocprim17ROCPRIM_400000_NS6detail17trampoline_kernelINS0_13select_configILj256ELj13ELNS0_17block_load_methodE3ELS4_3ELS4_3ELNS0_20block_scan_algorithmE0ELj4294967295EEENS1_25partition_config_selectorILNS1_17partition_subalgoE4EjNS0_10empty_typeEbEEZZNS1_14partition_implILS8_4ELb0ES6_15HIP_vector_typeIjLj2EENS0_17counting_iteratorIjlEEPS9_SG_NS0_5tupleIJPjSI_NS0_16reverse_iteratorISI_EEEEENSH_IJSG_SG_SG_EEES9_SI_JZNS1_25segmented_radix_sort_implINS0_14default_configELb1EPKdPdPKlPlN2at6native12_GLOBAL__N_18offset_tEEE10hipError_tPvRmT1_PNSt15iterator_traitsIS12_E10value_typeET2_T3_PNS13_IS18_E10value_typeET4_jRbjT5_S1E_jjP12ihipStream_tbEUljE_ZNSN_ISO_Lb1ESQ_SR_ST_SU_SY_EESZ_S10_S11_S12_S16_S17_S18_S1B_S1C_jS1D_jS1E_S1E_jjS1G_bEUljE0_EEESZ_S10_S11_S18_S1C_S1E_T6_T7_T9_mT8_S1G_bDpT10_ENKUlT_T0_E_clISt17integral_constantIbLb1EES1U_EEDaS1P_S1Q_EUlS1P_E_NS1_11comp_targetILNS1_3genE8ELNS1_11target_archE1030ELNS1_3gpuE2ELNS1_3repE0EEENS1_30default_config_static_selectorELNS0_4arch9wavefront6targetE0EEEvS12_.has_indirect_call, 0
	.section	.AMDGPU.csdata,"",@progbits
; Kernel info:
; codeLenInByte = 0
; TotalNumSgprs: 0
; NumVgprs: 0
; ScratchSize: 0
; MemoryBound: 0
; FloatMode: 240
; IeeeMode: 1
; LDSByteSize: 0 bytes/workgroup (compile time only)
; SGPRBlocks: 0
; VGPRBlocks: 0
; NumSGPRsForWavesPerEU: 1
; NumVGPRsForWavesPerEU: 1
; Occupancy: 16
; WaveLimiterHint : 0
; COMPUTE_PGM_RSRC2:SCRATCH_EN: 0
; COMPUTE_PGM_RSRC2:USER_SGPR: 2
; COMPUTE_PGM_RSRC2:TRAP_HANDLER: 0
; COMPUTE_PGM_RSRC2:TGID_X_EN: 1
; COMPUTE_PGM_RSRC2:TGID_Y_EN: 0
; COMPUTE_PGM_RSRC2:TGID_Z_EN: 0
; COMPUTE_PGM_RSRC2:TIDIG_COMP_CNT: 0
	.section	.text._ZN7rocprim17ROCPRIM_400000_NS6detail17trampoline_kernelINS0_13select_configILj256ELj13ELNS0_17block_load_methodE3ELS4_3ELS4_3ELNS0_20block_scan_algorithmE0ELj4294967295EEENS1_25partition_config_selectorILNS1_17partition_subalgoE4EjNS0_10empty_typeEbEEZZNS1_14partition_implILS8_4ELb0ES6_15HIP_vector_typeIjLj2EENS0_17counting_iteratorIjlEEPS9_SG_NS0_5tupleIJPjSI_NS0_16reverse_iteratorISI_EEEEENSH_IJSG_SG_SG_EEES9_SI_JZNS1_25segmented_radix_sort_implINS0_14default_configELb1EPKdPdPKlPlN2at6native12_GLOBAL__N_18offset_tEEE10hipError_tPvRmT1_PNSt15iterator_traitsIS12_E10value_typeET2_T3_PNS13_IS18_E10value_typeET4_jRbjT5_S1E_jjP12ihipStream_tbEUljE_ZNSN_ISO_Lb1ESQ_SR_ST_SU_SY_EESZ_S10_S11_S12_S16_S17_S18_S1B_S1C_jS1D_jS1E_S1E_jjS1G_bEUljE0_EEESZ_S10_S11_S18_S1C_S1E_T6_T7_T9_mT8_S1G_bDpT10_ENKUlT_T0_E_clISt17integral_constantIbLb1EES1T_IbLb0EEEEDaS1P_S1Q_EUlS1P_E_NS1_11comp_targetILNS1_3genE0ELNS1_11target_archE4294967295ELNS1_3gpuE0ELNS1_3repE0EEENS1_30default_config_static_selectorELNS0_4arch9wavefront6targetE0EEEvS12_,"axG",@progbits,_ZN7rocprim17ROCPRIM_400000_NS6detail17trampoline_kernelINS0_13select_configILj256ELj13ELNS0_17block_load_methodE3ELS4_3ELS4_3ELNS0_20block_scan_algorithmE0ELj4294967295EEENS1_25partition_config_selectorILNS1_17partition_subalgoE4EjNS0_10empty_typeEbEEZZNS1_14partition_implILS8_4ELb0ES6_15HIP_vector_typeIjLj2EENS0_17counting_iteratorIjlEEPS9_SG_NS0_5tupleIJPjSI_NS0_16reverse_iteratorISI_EEEEENSH_IJSG_SG_SG_EEES9_SI_JZNS1_25segmented_radix_sort_implINS0_14default_configELb1EPKdPdPKlPlN2at6native12_GLOBAL__N_18offset_tEEE10hipError_tPvRmT1_PNSt15iterator_traitsIS12_E10value_typeET2_T3_PNS13_IS18_E10value_typeET4_jRbjT5_S1E_jjP12ihipStream_tbEUljE_ZNSN_ISO_Lb1ESQ_SR_ST_SU_SY_EESZ_S10_S11_S12_S16_S17_S18_S1B_S1C_jS1D_jS1E_S1E_jjS1G_bEUljE0_EEESZ_S10_S11_S18_S1C_S1E_T6_T7_T9_mT8_S1G_bDpT10_ENKUlT_T0_E_clISt17integral_constantIbLb1EES1T_IbLb0EEEEDaS1P_S1Q_EUlS1P_E_NS1_11comp_targetILNS1_3genE0ELNS1_11target_archE4294967295ELNS1_3gpuE0ELNS1_3repE0EEENS1_30default_config_static_selectorELNS0_4arch9wavefront6targetE0EEEvS12_,comdat
	.globl	_ZN7rocprim17ROCPRIM_400000_NS6detail17trampoline_kernelINS0_13select_configILj256ELj13ELNS0_17block_load_methodE3ELS4_3ELS4_3ELNS0_20block_scan_algorithmE0ELj4294967295EEENS1_25partition_config_selectorILNS1_17partition_subalgoE4EjNS0_10empty_typeEbEEZZNS1_14partition_implILS8_4ELb0ES6_15HIP_vector_typeIjLj2EENS0_17counting_iteratorIjlEEPS9_SG_NS0_5tupleIJPjSI_NS0_16reverse_iteratorISI_EEEEENSH_IJSG_SG_SG_EEES9_SI_JZNS1_25segmented_radix_sort_implINS0_14default_configELb1EPKdPdPKlPlN2at6native12_GLOBAL__N_18offset_tEEE10hipError_tPvRmT1_PNSt15iterator_traitsIS12_E10value_typeET2_T3_PNS13_IS18_E10value_typeET4_jRbjT5_S1E_jjP12ihipStream_tbEUljE_ZNSN_ISO_Lb1ESQ_SR_ST_SU_SY_EESZ_S10_S11_S12_S16_S17_S18_S1B_S1C_jS1D_jS1E_S1E_jjS1G_bEUljE0_EEESZ_S10_S11_S18_S1C_S1E_T6_T7_T9_mT8_S1G_bDpT10_ENKUlT_T0_E_clISt17integral_constantIbLb1EES1T_IbLb0EEEEDaS1P_S1Q_EUlS1P_E_NS1_11comp_targetILNS1_3genE0ELNS1_11target_archE4294967295ELNS1_3gpuE0ELNS1_3repE0EEENS1_30default_config_static_selectorELNS0_4arch9wavefront6targetE0EEEvS12_ ; -- Begin function _ZN7rocprim17ROCPRIM_400000_NS6detail17trampoline_kernelINS0_13select_configILj256ELj13ELNS0_17block_load_methodE3ELS4_3ELS4_3ELNS0_20block_scan_algorithmE0ELj4294967295EEENS1_25partition_config_selectorILNS1_17partition_subalgoE4EjNS0_10empty_typeEbEEZZNS1_14partition_implILS8_4ELb0ES6_15HIP_vector_typeIjLj2EENS0_17counting_iteratorIjlEEPS9_SG_NS0_5tupleIJPjSI_NS0_16reverse_iteratorISI_EEEEENSH_IJSG_SG_SG_EEES9_SI_JZNS1_25segmented_radix_sort_implINS0_14default_configELb1EPKdPdPKlPlN2at6native12_GLOBAL__N_18offset_tEEE10hipError_tPvRmT1_PNSt15iterator_traitsIS12_E10value_typeET2_T3_PNS13_IS18_E10value_typeET4_jRbjT5_S1E_jjP12ihipStream_tbEUljE_ZNSN_ISO_Lb1ESQ_SR_ST_SU_SY_EESZ_S10_S11_S12_S16_S17_S18_S1B_S1C_jS1D_jS1E_S1E_jjS1G_bEUljE0_EEESZ_S10_S11_S18_S1C_S1E_T6_T7_T9_mT8_S1G_bDpT10_ENKUlT_T0_E_clISt17integral_constantIbLb1EES1T_IbLb0EEEEDaS1P_S1Q_EUlS1P_E_NS1_11comp_targetILNS1_3genE0ELNS1_11target_archE4294967295ELNS1_3gpuE0ELNS1_3repE0EEENS1_30default_config_static_selectorELNS0_4arch9wavefront6targetE0EEEvS12_
	.p2align	8
	.type	_ZN7rocprim17ROCPRIM_400000_NS6detail17trampoline_kernelINS0_13select_configILj256ELj13ELNS0_17block_load_methodE3ELS4_3ELS4_3ELNS0_20block_scan_algorithmE0ELj4294967295EEENS1_25partition_config_selectorILNS1_17partition_subalgoE4EjNS0_10empty_typeEbEEZZNS1_14partition_implILS8_4ELb0ES6_15HIP_vector_typeIjLj2EENS0_17counting_iteratorIjlEEPS9_SG_NS0_5tupleIJPjSI_NS0_16reverse_iteratorISI_EEEEENSH_IJSG_SG_SG_EEES9_SI_JZNS1_25segmented_radix_sort_implINS0_14default_configELb1EPKdPdPKlPlN2at6native12_GLOBAL__N_18offset_tEEE10hipError_tPvRmT1_PNSt15iterator_traitsIS12_E10value_typeET2_T3_PNS13_IS18_E10value_typeET4_jRbjT5_S1E_jjP12ihipStream_tbEUljE_ZNSN_ISO_Lb1ESQ_SR_ST_SU_SY_EESZ_S10_S11_S12_S16_S17_S18_S1B_S1C_jS1D_jS1E_S1E_jjS1G_bEUljE0_EEESZ_S10_S11_S18_S1C_S1E_T6_T7_T9_mT8_S1G_bDpT10_ENKUlT_T0_E_clISt17integral_constantIbLb1EES1T_IbLb0EEEEDaS1P_S1Q_EUlS1P_E_NS1_11comp_targetILNS1_3genE0ELNS1_11target_archE4294967295ELNS1_3gpuE0ELNS1_3repE0EEENS1_30default_config_static_selectorELNS0_4arch9wavefront6targetE0EEEvS12_,@function
_ZN7rocprim17ROCPRIM_400000_NS6detail17trampoline_kernelINS0_13select_configILj256ELj13ELNS0_17block_load_methodE3ELS4_3ELS4_3ELNS0_20block_scan_algorithmE0ELj4294967295EEENS1_25partition_config_selectorILNS1_17partition_subalgoE4EjNS0_10empty_typeEbEEZZNS1_14partition_implILS8_4ELb0ES6_15HIP_vector_typeIjLj2EENS0_17counting_iteratorIjlEEPS9_SG_NS0_5tupleIJPjSI_NS0_16reverse_iteratorISI_EEEEENSH_IJSG_SG_SG_EEES9_SI_JZNS1_25segmented_radix_sort_implINS0_14default_configELb1EPKdPdPKlPlN2at6native12_GLOBAL__N_18offset_tEEE10hipError_tPvRmT1_PNSt15iterator_traitsIS12_E10value_typeET2_T3_PNS13_IS18_E10value_typeET4_jRbjT5_S1E_jjP12ihipStream_tbEUljE_ZNSN_ISO_Lb1ESQ_SR_ST_SU_SY_EESZ_S10_S11_S12_S16_S17_S18_S1B_S1C_jS1D_jS1E_S1E_jjS1G_bEUljE0_EEESZ_S10_S11_S18_S1C_S1E_T6_T7_T9_mT8_S1G_bDpT10_ENKUlT_T0_E_clISt17integral_constantIbLb1EES1T_IbLb0EEEEDaS1P_S1Q_EUlS1P_E_NS1_11comp_targetILNS1_3genE0ELNS1_11target_archE4294967295ELNS1_3gpuE0ELNS1_3repE0EEENS1_30default_config_static_selectorELNS0_4arch9wavefront6targetE0EEEvS12_: ; @_ZN7rocprim17ROCPRIM_400000_NS6detail17trampoline_kernelINS0_13select_configILj256ELj13ELNS0_17block_load_methodE3ELS4_3ELS4_3ELNS0_20block_scan_algorithmE0ELj4294967295EEENS1_25partition_config_selectorILNS1_17partition_subalgoE4EjNS0_10empty_typeEbEEZZNS1_14partition_implILS8_4ELb0ES6_15HIP_vector_typeIjLj2EENS0_17counting_iteratorIjlEEPS9_SG_NS0_5tupleIJPjSI_NS0_16reverse_iteratorISI_EEEEENSH_IJSG_SG_SG_EEES9_SI_JZNS1_25segmented_radix_sort_implINS0_14default_configELb1EPKdPdPKlPlN2at6native12_GLOBAL__N_18offset_tEEE10hipError_tPvRmT1_PNSt15iterator_traitsIS12_E10value_typeET2_T3_PNS13_IS18_E10value_typeET4_jRbjT5_S1E_jjP12ihipStream_tbEUljE_ZNSN_ISO_Lb1ESQ_SR_ST_SU_SY_EESZ_S10_S11_S12_S16_S17_S18_S1B_S1C_jS1D_jS1E_S1E_jjS1G_bEUljE0_EEESZ_S10_S11_S18_S1C_S1E_T6_T7_T9_mT8_S1G_bDpT10_ENKUlT_T0_E_clISt17integral_constantIbLb1EES1T_IbLb0EEEEDaS1P_S1Q_EUlS1P_E_NS1_11comp_targetILNS1_3genE0ELNS1_11target_archE4294967295ELNS1_3gpuE0ELNS1_3repE0EEENS1_30default_config_static_selectorELNS0_4arch9wavefront6targetE0EEEvS12_
; %bb.0:
	.section	.rodata,"a",@progbits
	.p2align	6, 0x0
	.amdhsa_kernel _ZN7rocprim17ROCPRIM_400000_NS6detail17trampoline_kernelINS0_13select_configILj256ELj13ELNS0_17block_load_methodE3ELS4_3ELS4_3ELNS0_20block_scan_algorithmE0ELj4294967295EEENS1_25partition_config_selectorILNS1_17partition_subalgoE4EjNS0_10empty_typeEbEEZZNS1_14partition_implILS8_4ELb0ES6_15HIP_vector_typeIjLj2EENS0_17counting_iteratorIjlEEPS9_SG_NS0_5tupleIJPjSI_NS0_16reverse_iteratorISI_EEEEENSH_IJSG_SG_SG_EEES9_SI_JZNS1_25segmented_radix_sort_implINS0_14default_configELb1EPKdPdPKlPlN2at6native12_GLOBAL__N_18offset_tEEE10hipError_tPvRmT1_PNSt15iterator_traitsIS12_E10value_typeET2_T3_PNS13_IS18_E10value_typeET4_jRbjT5_S1E_jjP12ihipStream_tbEUljE_ZNSN_ISO_Lb1ESQ_SR_ST_SU_SY_EESZ_S10_S11_S12_S16_S17_S18_S1B_S1C_jS1D_jS1E_S1E_jjS1G_bEUljE0_EEESZ_S10_S11_S18_S1C_S1E_T6_T7_T9_mT8_S1G_bDpT10_ENKUlT_T0_E_clISt17integral_constantIbLb1EES1T_IbLb0EEEEDaS1P_S1Q_EUlS1P_E_NS1_11comp_targetILNS1_3genE0ELNS1_11target_archE4294967295ELNS1_3gpuE0ELNS1_3repE0EEENS1_30default_config_static_selectorELNS0_4arch9wavefront6targetE0EEEvS12_
		.amdhsa_group_segment_fixed_size 0
		.amdhsa_private_segment_fixed_size 0
		.amdhsa_kernarg_size 176
		.amdhsa_user_sgpr_count 2
		.amdhsa_user_sgpr_dispatch_ptr 0
		.amdhsa_user_sgpr_queue_ptr 0
		.amdhsa_user_sgpr_kernarg_segment_ptr 1
		.amdhsa_user_sgpr_dispatch_id 0
		.amdhsa_user_sgpr_private_segment_size 0
		.amdhsa_wavefront_size32 1
		.amdhsa_uses_dynamic_stack 0
		.amdhsa_enable_private_segment 0
		.amdhsa_system_sgpr_workgroup_id_x 1
		.amdhsa_system_sgpr_workgroup_id_y 0
		.amdhsa_system_sgpr_workgroup_id_z 0
		.amdhsa_system_sgpr_workgroup_info 0
		.amdhsa_system_vgpr_workitem_id 0
		.amdhsa_next_free_vgpr 1
		.amdhsa_next_free_sgpr 1
		.amdhsa_reserve_vcc 0
		.amdhsa_float_round_mode_32 0
		.amdhsa_float_round_mode_16_64 0
		.amdhsa_float_denorm_mode_32 3
		.amdhsa_float_denorm_mode_16_64 3
		.amdhsa_fp16_overflow 0
		.amdhsa_workgroup_processor_mode 1
		.amdhsa_memory_ordered 1
		.amdhsa_forward_progress 1
		.amdhsa_inst_pref_size 0
		.amdhsa_round_robin_scheduling 0
		.amdhsa_exception_fp_ieee_invalid_op 0
		.amdhsa_exception_fp_denorm_src 0
		.amdhsa_exception_fp_ieee_div_zero 0
		.amdhsa_exception_fp_ieee_overflow 0
		.amdhsa_exception_fp_ieee_underflow 0
		.amdhsa_exception_fp_ieee_inexact 0
		.amdhsa_exception_int_div_zero 0
	.end_amdhsa_kernel
	.section	.text._ZN7rocprim17ROCPRIM_400000_NS6detail17trampoline_kernelINS0_13select_configILj256ELj13ELNS0_17block_load_methodE3ELS4_3ELS4_3ELNS0_20block_scan_algorithmE0ELj4294967295EEENS1_25partition_config_selectorILNS1_17partition_subalgoE4EjNS0_10empty_typeEbEEZZNS1_14partition_implILS8_4ELb0ES6_15HIP_vector_typeIjLj2EENS0_17counting_iteratorIjlEEPS9_SG_NS0_5tupleIJPjSI_NS0_16reverse_iteratorISI_EEEEENSH_IJSG_SG_SG_EEES9_SI_JZNS1_25segmented_radix_sort_implINS0_14default_configELb1EPKdPdPKlPlN2at6native12_GLOBAL__N_18offset_tEEE10hipError_tPvRmT1_PNSt15iterator_traitsIS12_E10value_typeET2_T3_PNS13_IS18_E10value_typeET4_jRbjT5_S1E_jjP12ihipStream_tbEUljE_ZNSN_ISO_Lb1ESQ_SR_ST_SU_SY_EESZ_S10_S11_S12_S16_S17_S18_S1B_S1C_jS1D_jS1E_S1E_jjS1G_bEUljE0_EEESZ_S10_S11_S18_S1C_S1E_T6_T7_T9_mT8_S1G_bDpT10_ENKUlT_T0_E_clISt17integral_constantIbLb1EES1T_IbLb0EEEEDaS1P_S1Q_EUlS1P_E_NS1_11comp_targetILNS1_3genE0ELNS1_11target_archE4294967295ELNS1_3gpuE0ELNS1_3repE0EEENS1_30default_config_static_selectorELNS0_4arch9wavefront6targetE0EEEvS12_,"axG",@progbits,_ZN7rocprim17ROCPRIM_400000_NS6detail17trampoline_kernelINS0_13select_configILj256ELj13ELNS0_17block_load_methodE3ELS4_3ELS4_3ELNS0_20block_scan_algorithmE0ELj4294967295EEENS1_25partition_config_selectorILNS1_17partition_subalgoE4EjNS0_10empty_typeEbEEZZNS1_14partition_implILS8_4ELb0ES6_15HIP_vector_typeIjLj2EENS0_17counting_iteratorIjlEEPS9_SG_NS0_5tupleIJPjSI_NS0_16reverse_iteratorISI_EEEEENSH_IJSG_SG_SG_EEES9_SI_JZNS1_25segmented_radix_sort_implINS0_14default_configELb1EPKdPdPKlPlN2at6native12_GLOBAL__N_18offset_tEEE10hipError_tPvRmT1_PNSt15iterator_traitsIS12_E10value_typeET2_T3_PNS13_IS18_E10value_typeET4_jRbjT5_S1E_jjP12ihipStream_tbEUljE_ZNSN_ISO_Lb1ESQ_SR_ST_SU_SY_EESZ_S10_S11_S12_S16_S17_S18_S1B_S1C_jS1D_jS1E_S1E_jjS1G_bEUljE0_EEESZ_S10_S11_S18_S1C_S1E_T6_T7_T9_mT8_S1G_bDpT10_ENKUlT_T0_E_clISt17integral_constantIbLb1EES1T_IbLb0EEEEDaS1P_S1Q_EUlS1P_E_NS1_11comp_targetILNS1_3genE0ELNS1_11target_archE4294967295ELNS1_3gpuE0ELNS1_3repE0EEENS1_30default_config_static_selectorELNS0_4arch9wavefront6targetE0EEEvS12_,comdat
.Lfunc_end1070:
	.size	_ZN7rocprim17ROCPRIM_400000_NS6detail17trampoline_kernelINS0_13select_configILj256ELj13ELNS0_17block_load_methodE3ELS4_3ELS4_3ELNS0_20block_scan_algorithmE0ELj4294967295EEENS1_25partition_config_selectorILNS1_17partition_subalgoE4EjNS0_10empty_typeEbEEZZNS1_14partition_implILS8_4ELb0ES6_15HIP_vector_typeIjLj2EENS0_17counting_iteratorIjlEEPS9_SG_NS0_5tupleIJPjSI_NS0_16reverse_iteratorISI_EEEEENSH_IJSG_SG_SG_EEES9_SI_JZNS1_25segmented_radix_sort_implINS0_14default_configELb1EPKdPdPKlPlN2at6native12_GLOBAL__N_18offset_tEEE10hipError_tPvRmT1_PNSt15iterator_traitsIS12_E10value_typeET2_T3_PNS13_IS18_E10value_typeET4_jRbjT5_S1E_jjP12ihipStream_tbEUljE_ZNSN_ISO_Lb1ESQ_SR_ST_SU_SY_EESZ_S10_S11_S12_S16_S17_S18_S1B_S1C_jS1D_jS1E_S1E_jjS1G_bEUljE0_EEESZ_S10_S11_S18_S1C_S1E_T6_T7_T9_mT8_S1G_bDpT10_ENKUlT_T0_E_clISt17integral_constantIbLb1EES1T_IbLb0EEEEDaS1P_S1Q_EUlS1P_E_NS1_11comp_targetILNS1_3genE0ELNS1_11target_archE4294967295ELNS1_3gpuE0ELNS1_3repE0EEENS1_30default_config_static_selectorELNS0_4arch9wavefront6targetE0EEEvS12_, .Lfunc_end1070-_ZN7rocprim17ROCPRIM_400000_NS6detail17trampoline_kernelINS0_13select_configILj256ELj13ELNS0_17block_load_methodE3ELS4_3ELS4_3ELNS0_20block_scan_algorithmE0ELj4294967295EEENS1_25partition_config_selectorILNS1_17partition_subalgoE4EjNS0_10empty_typeEbEEZZNS1_14partition_implILS8_4ELb0ES6_15HIP_vector_typeIjLj2EENS0_17counting_iteratorIjlEEPS9_SG_NS0_5tupleIJPjSI_NS0_16reverse_iteratorISI_EEEEENSH_IJSG_SG_SG_EEES9_SI_JZNS1_25segmented_radix_sort_implINS0_14default_configELb1EPKdPdPKlPlN2at6native12_GLOBAL__N_18offset_tEEE10hipError_tPvRmT1_PNSt15iterator_traitsIS12_E10value_typeET2_T3_PNS13_IS18_E10value_typeET4_jRbjT5_S1E_jjP12ihipStream_tbEUljE_ZNSN_ISO_Lb1ESQ_SR_ST_SU_SY_EESZ_S10_S11_S12_S16_S17_S18_S1B_S1C_jS1D_jS1E_S1E_jjS1G_bEUljE0_EEESZ_S10_S11_S18_S1C_S1E_T6_T7_T9_mT8_S1G_bDpT10_ENKUlT_T0_E_clISt17integral_constantIbLb1EES1T_IbLb0EEEEDaS1P_S1Q_EUlS1P_E_NS1_11comp_targetILNS1_3genE0ELNS1_11target_archE4294967295ELNS1_3gpuE0ELNS1_3repE0EEENS1_30default_config_static_selectorELNS0_4arch9wavefront6targetE0EEEvS12_
                                        ; -- End function
	.set _ZN7rocprim17ROCPRIM_400000_NS6detail17trampoline_kernelINS0_13select_configILj256ELj13ELNS0_17block_load_methodE3ELS4_3ELS4_3ELNS0_20block_scan_algorithmE0ELj4294967295EEENS1_25partition_config_selectorILNS1_17partition_subalgoE4EjNS0_10empty_typeEbEEZZNS1_14partition_implILS8_4ELb0ES6_15HIP_vector_typeIjLj2EENS0_17counting_iteratorIjlEEPS9_SG_NS0_5tupleIJPjSI_NS0_16reverse_iteratorISI_EEEEENSH_IJSG_SG_SG_EEES9_SI_JZNS1_25segmented_radix_sort_implINS0_14default_configELb1EPKdPdPKlPlN2at6native12_GLOBAL__N_18offset_tEEE10hipError_tPvRmT1_PNSt15iterator_traitsIS12_E10value_typeET2_T3_PNS13_IS18_E10value_typeET4_jRbjT5_S1E_jjP12ihipStream_tbEUljE_ZNSN_ISO_Lb1ESQ_SR_ST_SU_SY_EESZ_S10_S11_S12_S16_S17_S18_S1B_S1C_jS1D_jS1E_S1E_jjS1G_bEUljE0_EEESZ_S10_S11_S18_S1C_S1E_T6_T7_T9_mT8_S1G_bDpT10_ENKUlT_T0_E_clISt17integral_constantIbLb1EES1T_IbLb0EEEEDaS1P_S1Q_EUlS1P_E_NS1_11comp_targetILNS1_3genE0ELNS1_11target_archE4294967295ELNS1_3gpuE0ELNS1_3repE0EEENS1_30default_config_static_selectorELNS0_4arch9wavefront6targetE0EEEvS12_.num_vgpr, 0
	.set _ZN7rocprim17ROCPRIM_400000_NS6detail17trampoline_kernelINS0_13select_configILj256ELj13ELNS0_17block_load_methodE3ELS4_3ELS4_3ELNS0_20block_scan_algorithmE0ELj4294967295EEENS1_25partition_config_selectorILNS1_17partition_subalgoE4EjNS0_10empty_typeEbEEZZNS1_14partition_implILS8_4ELb0ES6_15HIP_vector_typeIjLj2EENS0_17counting_iteratorIjlEEPS9_SG_NS0_5tupleIJPjSI_NS0_16reverse_iteratorISI_EEEEENSH_IJSG_SG_SG_EEES9_SI_JZNS1_25segmented_radix_sort_implINS0_14default_configELb1EPKdPdPKlPlN2at6native12_GLOBAL__N_18offset_tEEE10hipError_tPvRmT1_PNSt15iterator_traitsIS12_E10value_typeET2_T3_PNS13_IS18_E10value_typeET4_jRbjT5_S1E_jjP12ihipStream_tbEUljE_ZNSN_ISO_Lb1ESQ_SR_ST_SU_SY_EESZ_S10_S11_S12_S16_S17_S18_S1B_S1C_jS1D_jS1E_S1E_jjS1G_bEUljE0_EEESZ_S10_S11_S18_S1C_S1E_T6_T7_T9_mT8_S1G_bDpT10_ENKUlT_T0_E_clISt17integral_constantIbLb1EES1T_IbLb0EEEEDaS1P_S1Q_EUlS1P_E_NS1_11comp_targetILNS1_3genE0ELNS1_11target_archE4294967295ELNS1_3gpuE0ELNS1_3repE0EEENS1_30default_config_static_selectorELNS0_4arch9wavefront6targetE0EEEvS12_.num_agpr, 0
	.set _ZN7rocprim17ROCPRIM_400000_NS6detail17trampoline_kernelINS0_13select_configILj256ELj13ELNS0_17block_load_methodE3ELS4_3ELS4_3ELNS0_20block_scan_algorithmE0ELj4294967295EEENS1_25partition_config_selectorILNS1_17partition_subalgoE4EjNS0_10empty_typeEbEEZZNS1_14partition_implILS8_4ELb0ES6_15HIP_vector_typeIjLj2EENS0_17counting_iteratorIjlEEPS9_SG_NS0_5tupleIJPjSI_NS0_16reverse_iteratorISI_EEEEENSH_IJSG_SG_SG_EEES9_SI_JZNS1_25segmented_radix_sort_implINS0_14default_configELb1EPKdPdPKlPlN2at6native12_GLOBAL__N_18offset_tEEE10hipError_tPvRmT1_PNSt15iterator_traitsIS12_E10value_typeET2_T3_PNS13_IS18_E10value_typeET4_jRbjT5_S1E_jjP12ihipStream_tbEUljE_ZNSN_ISO_Lb1ESQ_SR_ST_SU_SY_EESZ_S10_S11_S12_S16_S17_S18_S1B_S1C_jS1D_jS1E_S1E_jjS1G_bEUljE0_EEESZ_S10_S11_S18_S1C_S1E_T6_T7_T9_mT8_S1G_bDpT10_ENKUlT_T0_E_clISt17integral_constantIbLb1EES1T_IbLb0EEEEDaS1P_S1Q_EUlS1P_E_NS1_11comp_targetILNS1_3genE0ELNS1_11target_archE4294967295ELNS1_3gpuE0ELNS1_3repE0EEENS1_30default_config_static_selectorELNS0_4arch9wavefront6targetE0EEEvS12_.numbered_sgpr, 0
	.set _ZN7rocprim17ROCPRIM_400000_NS6detail17trampoline_kernelINS0_13select_configILj256ELj13ELNS0_17block_load_methodE3ELS4_3ELS4_3ELNS0_20block_scan_algorithmE0ELj4294967295EEENS1_25partition_config_selectorILNS1_17partition_subalgoE4EjNS0_10empty_typeEbEEZZNS1_14partition_implILS8_4ELb0ES6_15HIP_vector_typeIjLj2EENS0_17counting_iteratorIjlEEPS9_SG_NS0_5tupleIJPjSI_NS0_16reverse_iteratorISI_EEEEENSH_IJSG_SG_SG_EEES9_SI_JZNS1_25segmented_radix_sort_implINS0_14default_configELb1EPKdPdPKlPlN2at6native12_GLOBAL__N_18offset_tEEE10hipError_tPvRmT1_PNSt15iterator_traitsIS12_E10value_typeET2_T3_PNS13_IS18_E10value_typeET4_jRbjT5_S1E_jjP12ihipStream_tbEUljE_ZNSN_ISO_Lb1ESQ_SR_ST_SU_SY_EESZ_S10_S11_S12_S16_S17_S18_S1B_S1C_jS1D_jS1E_S1E_jjS1G_bEUljE0_EEESZ_S10_S11_S18_S1C_S1E_T6_T7_T9_mT8_S1G_bDpT10_ENKUlT_T0_E_clISt17integral_constantIbLb1EES1T_IbLb0EEEEDaS1P_S1Q_EUlS1P_E_NS1_11comp_targetILNS1_3genE0ELNS1_11target_archE4294967295ELNS1_3gpuE0ELNS1_3repE0EEENS1_30default_config_static_selectorELNS0_4arch9wavefront6targetE0EEEvS12_.num_named_barrier, 0
	.set _ZN7rocprim17ROCPRIM_400000_NS6detail17trampoline_kernelINS0_13select_configILj256ELj13ELNS0_17block_load_methodE3ELS4_3ELS4_3ELNS0_20block_scan_algorithmE0ELj4294967295EEENS1_25partition_config_selectorILNS1_17partition_subalgoE4EjNS0_10empty_typeEbEEZZNS1_14partition_implILS8_4ELb0ES6_15HIP_vector_typeIjLj2EENS0_17counting_iteratorIjlEEPS9_SG_NS0_5tupleIJPjSI_NS0_16reverse_iteratorISI_EEEEENSH_IJSG_SG_SG_EEES9_SI_JZNS1_25segmented_radix_sort_implINS0_14default_configELb1EPKdPdPKlPlN2at6native12_GLOBAL__N_18offset_tEEE10hipError_tPvRmT1_PNSt15iterator_traitsIS12_E10value_typeET2_T3_PNS13_IS18_E10value_typeET4_jRbjT5_S1E_jjP12ihipStream_tbEUljE_ZNSN_ISO_Lb1ESQ_SR_ST_SU_SY_EESZ_S10_S11_S12_S16_S17_S18_S1B_S1C_jS1D_jS1E_S1E_jjS1G_bEUljE0_EEESZ_S10_S11_S18_S1C_S1E_T6_T7_T9_mT8_S1G_bDpT10_ENKUlT_T0_E_clISt17integral_constantIbLb1EES1T_IbLb0EEEEDaS1P_S1Q_EUlS1P_E_NS1_11comp_targetILNS1_3genE0ELNS1_11target_archE4294967295ELNS1_3gpuE0ELNS1_3repE0EEENS1_30default_config_static_selectorELNS0_4arch9wavefront6targetE0EEEvS12_.private_seg_size, 0
	.set _ZN7rocprim17ROCPRIM_400000_NS6detail17trampoline_kernelINS0_13select_configILj256ELj13ELNS0_17block_load_methodE3ELS4_3ELS4_3ELNS0_20block_scan_algorithmE0ELj4294967295EEENS1_25partition_config_selectorILNS1_17partition_subalgoE4EjNS0_10empty_typeEbEEZZNS1_14partition_implILS8_4ELb0ES6_15HIP_vector_typeIjLj2EENS0_17counting_iteratorIjlEEPS9_SG_NS0_5tupleIJPjSI_NS0_16reverse_iteratorISI_EEEEENSH_IJSG_SG_SG_EEES9_SI_JZNS1_25segmented_radix_sort_implINS0_14default_configELb1EPKdPdPKlPlN2at6native12_GLOBAL__N_18offset_tEEE10hipError_tPvRmT1_PNSt15iterator_traitsIS12_E10value_typeET2_T3_PNS13_IS18_E10value_typeET4_jRbjT5_S1E_jjP12ihipStream_tbEUljE_ZNSN_ISO_Lb1ESQ_SR_ST_SU_SY_EESZ_S10_S11_S12_S16_S17_S18_S1B_S1C_jS1D_jS1E_S1E_jjS1G_bEUljE0_EEESZ_S10_S11_S18_S1C_S1E_T6_T7_T9_mT8_S1G_bDpT10_ENKUlT_T0_E_clISt17integral_constantIbLb1EES1T_IbLb0EEEEDaS1P_S1Q_EUlS1P_E_NS1_11comp_targetILNS1_3genE0ELNS1_11target_archE4294967295ELNS1_3gpuE0ELNS1_3repE0EEENS1_30default_config_static_selectorELNS0_4arch9wavefront6targetE0EEEvS12_.uses_vcc, 0
	.set _ZN7rocprim17ROCPRIM_400000_NS6detail17trampoline_kernelINS0_13select_configILj256ELj13ELNS0_17block_load_methodE3ELS4_3ELS4_3ELNS0_20block_scan_algorithmE0ELj4294967295EEENS1_25partition_config_selectorILNS1_17partition_subalgoE4EjNS0_10empty_typeEbEEZZNS1_14partition_implILS8_4ELb0ES6_15HIP_vector_typeIjLj2EENS0_17counting_iteratorIjlEEPS9_SG_NS0_5tupleIJPjSI_NS0_16reverse_iteratorISI_EEEEENSH_IJSG_SG_SG_EEES9_SI_JZNS1_25segmented_radix_sort_implINS0_14default_configELb1EPKdPdPKlPlN2at6native12_GLOBAL__N_18offset_tEEE10hipError_tPvRmT1_PNSt15iterator_traitsIS12_E10value_typeET2_T3_PNS13_IS18_E10value_typeET4_jRbjT5_S1E_jjP12ihipStream_tbEUljE_ZNSN_ISO_Lb1ESQ_SR_ST_SU_SY_EESZ_S10_S11_S12_S16_S17_S18_S1B_S1C_jS1D_jS1E_S1E_jjS1G_bEUljE0_EEESZ_S10_S11_S18_S1C_S1E_T6_T7_T9_mT8_S1G_bDpT10_ENKUlT_T0_E_clISt17integral_constantIbLb1EES1T_IbLb0EEEEDaS1P_S1Q_EUlS1P_E_NS1_11comp_targetILNS1_3genE0ELNS1_11target_archE4294967295ELNS1_3gpuE0ELNS1_3repE0EEENS1_30default_config_static_selectorELNS0_4arch9wavefront6targetE0EEEvS12_.uses_flat_scratch, 0
	.set _ZN7rocprim17ROCPRIM_400000_NS6detail17trampoline_kernelINS0_13select_configILj256ELj13ELNS0_17block_load_methodE3ELS4_3ELS4_3ELNS0_20block_scan_algorithmE0ELj4294967295EEENS1_25partition_config_selectorILNS1_17partition_subalgoE4EjNS0_10empty_typeEbEEZZNS1_14partition_implILS8_4ELb0ES6_15HIP_vector_typeIjLj2EENS0_17counting_iteratorIjlEEPS9_SG_NS0_5tupleIJPjSI_NS0_16reverse_iteratorISI_EEEEENSH_IJSG_SG_SG_EEES9_SI_JZNS1_25segmented_radix_sort_implINS0_14default_configELb1EPKdPdPKlPlN2at6native12_GLOBAL__N_18offset_tEEE10hipError_tPvRmT1_PNSt15iterator_traitsIS12_E10value_typeET2_T3_PNS13_IS18_E10value_typeET4_jRbjT5_S1E_jjP12ihipStream_tbEUljE_ZNSN_ISO_Lb1ESQ_SR_ST_SU_SY_EESZ_S10_S11_S12_S16_S17_S18_S1B_S1C_jS1D_jS1E_S1E_jjS1G_bEUljE0_EEESZ_S10_S11_S18_S1C_S1E_T6_T7_T9_mT8_S1G_bDpT10_ENKUlT_T0_E_clISt17integral_constantIbLb1EES1T_IbLb0EEEEDaS1P_S1Q_EUlS1P_E_NS1_11comp_targetILNS1_3genE0ELNS1_11target_archE4294967295ELNS1_3gpuE0ELNS1_3repE0EEENS1_30default_config_static_selectorELNS0_4arch9wavefront6targetE0EEEvS12_.has_dyn_sized_stack, 0
	.set _ZN7rocprim17ROCPRIM_400000_NS6detail17trampoline_kernelINS0_13select_configILj256ELj13ELNS0_17block_load_methodE3ELS4_3ELS4_3ELNS0_20block_scan_algorithmE0ELj4294967295EEENS1_25partition_config_selectorILNS1_17partition_subalgoE4EjNS0_10empty_typeEbEEZZNS1_14partition_implILS8_4ELb0ES6_15HIP_vector_typeIjLj2EENS0_17counting_iteratorIjlEEPS9_SG_NS0_5tupleIJPjSI_NS0_16reverse_iteratorISI_EEEEENSH_IJSG_SG_SG_EEES9_SI_JZNS1_25segmented_radix_sort_implINS0_14default_configELb1EPKdPdPKlPlN2at6native12_GLOBAL__N_18offset_tEEE10hipError_tPvRmT1_PNSt15iterator_traitsIS12_E10value_typeET2_T3_PNS13_IS18_E10value_typeET4_jRbjT5_S1E_jjP12ihipStream_tbEUljE_ZNSN_ISO_Lb1ESQ_SR_ST_SU_SY_EESZ_S10_S11_S12_S16_S17_S18_S1B_S1C_jS1D_jS1E_S1E_jjS1G_bEUljE0_EEESZ_S10_S11_S18_S1C_S1E_T6_T7_T9_mT8_S1G_bDpT10_ENKUlT_T0_E_clISt17integral_constantIbLb1EES1T_IbLb0EEEEDaS1P_S1Q_EUlS1P_E_NS1_11comp_targetILNS1_3genE0ELNS1_11target_archE4294967295ELNS1_3gpuE0ELNS1_3repE0EEENS1_30default_config_static_selectorELNS0_4arch9wavefront6targetE0EEEvS12_.has_recursion, 0
	.set _ZN7rocprim17ROCPRIM_400000_NS6detail17trampoline_kernelINS0_13select_configILj256ELj13ELNS0_17block_load_methodE3ELS4_3ELS4_3ELNS0_20block_scan_algorithmE0ELj4294967295EEENS1_25partition_config_selectorILNS1_17partition_subalgoE4EjNS0_10empty_typeEbEEZZNS1_14partition_implILS8_4ELb0ES6_15HIP_vector_typeIjLj2EENS0_17counting_iteratorIjlEEPS9_SG_NS0_5tupleIJPjSI_NS0_16reverse_iteratorISI_EEEEENSH_IJSG_SG_SG_EEES9_SI_JZNS1_25segmented_radix_sort_implINS0_14default_configELb1EPKdPdPKlPlN2at6native12_GLOBAL__N_18offset_tEEE10hipError_tPvRmT1_PNSt15iterator_traitsIS12_E10value_typeET2_T3_PNS13_IS18_E10value_typeET4_jRbjT5_S1E_jjP12ihipStream_tbEUljE_ZNSN_ISO_Lb1ESQ_SR_ST_SU_SY_EESZ_S10_S11_S12_S16_S17_S18_S1B_S1C_jS1D_jS1E_S1E_jjS1G_bEUljE0_EEESZ_S10_S11_S18_S1C_S1E_T6_T7_T9_mT8_S1G_bDpT10_ENKUlT_T0_E_clISt17integral_constantIbLb1EES1T_IbLb0EEEEDaS1P_S1Q_EUlS1P_E_NS1_11comp_targetILNS1_3genE0ELNS1_11target_archE4294967295ELNS1_3gpuE0ELNS1_3repE0EEENS1_30default_config_static_selectorELNS0_4arch9wavefront6targetE0EEEvS12_.has_indirect_call, 0
	.section	.AMDGPU.csdata,"",@progbits
; Kernel info:
; codeLenInByte = 0
; TotalNumSgprs: 0
; NumVgprs: 0
; ScratchSize: 0
; MemoryBound: 0
; FloatMode: 240
; IeeeMode: 1
; LDSByteSize: 0 bytes/workgroup (compile time only)
; SGPRBlocks: 0
; VGPRBlocks: 0
; NumSGPRsForWavesPerEU: 1
; NumVGPRsForWavesPerEU: 1
; Occupancy: 16
; WaveLimiterHint : 0
; COMPUTE_PGM_RSRC2:SCRATCH_EN: 0
; COMPUTE_PGM_RSRC2:USER_SGPR: 2
; COMPUTE_PGM_RSRC2:TRAP_HANDLER: 0
; COMPUTE_PGM_RSRC2:TGID_X_EN: 1
; COMPUTE_PGM_RSRC2:TGID_Y_EN: 0
; COMPUTE_PGM_RSRC2:TGID_Z_EN: 0
; COMPUTE_PGM_RSRC2:TIDIG_COMP_CNT: 0
	.section	.text._ZN7rocprim17ROCPRIM_400000_NS6detail17trampoline_kernelINS0_13select_configILj256ELj13ELNS0_17block_load_methodE3ELS4_3ELS4_3ELNS0_20block_scan_algorithmE0ELj4294967295EEENS1_25partition_config_selectorILNS1_17partition_subalgoE4EjNS0_10empty_typeEbEEZZNS1_14partition_implILS8_4ELb0ES6_15HIP_vector_typeIjLj2EENS0_17counting_iteratorIjlEEPS9_SG_NS0_5tupleIJPjSI_NS0_16reverse_iteratorISI_EEEEENSH_IJSG_SG_SG_EEES9_SI_JZNS1_25segmented_radix_sort_implINS0_14default_configELb1EPKdPdPKlPlN2at6native12_GLOBAL__N_18offset_tEEE10hipError_tPvRmT1_PNSt15iterator_traitsIS12_E10value_typeET2_T3_PNS13_IS18_E10value_typeET4_jRbjT5_S1E_jjP12ihipStream_tbEUljE_ZNSN_ISO_Lb1ESQ_SR_ST_SU_SY_EESZ_S10_S11_S12_S16_S17_S18_S1B_S1C_jS1D_jS1E_S1E_jjS1G_bEUljE0_EEESZ_S10_S11_S18_S1C_S1E_T6_T7_T9_mT8_S1G_bDpT10_ENKUlT_T0_E_clISt17integral_constantIbLb1EES1T_IbLb0EEEEDaS1P_S1Q_EUlS1P_E_NS1_11comp_targetILNS1_3genE5ELNS1_11target_archE942ELNS1_3gpuE9ELNS1_3repE0EEENS1_30default_config_static_selectorELNS0_4arch9wavefront6targetE0EEEvS12_,"axG",@progbits,_ZN7rocprim17ROCPRIM_400000_NS6detail17trampoline_kernelINS0_13select_configILj256ELj13ELNS0_17block_load_methodE3ELS4_3ELS4_3ELNS0_20block_scan_algorithmE0ELj4294967295EEENS1_25partition_config_selectorILNS1_17partition_subalgoE4EjNS0_10empty_typeEbEEZZNS1_14partition_implILS8_4ELb0ES6_15HIP_vector_typeIjLj2EENS0_17counting_iteratorIjlEEPS9_SG_NS0_5tupleIJPjSI_NS0_16reverse_iteratorISI_EEEEENSH_IJSG_SG_SG_EEES9_SI_JZNS1_25segmented_radix_sort_implINS0_14default_configELb1EPKdPdPKlPlN2at6native12_GLOBAL__N_18offset_tEEE10hipError_tPvRmT1_PNSt15iterator_traitsIS12_E10value_typeET2_T3_PNS13_IS18_E10value_typeET4_jRbjT5_S1E_jjP12ihipStream_tbEUljE_ZNSN_ISO_Lb1ESQ_SR_ST_SU_SY_EESZ_S10_S11_S12_S16_S17_S18_S1B_S1C_jS1D_jS1E_S1E_jjS1G_bEUljE0_EEESZ_S10_S11_S18_S1C_S1E_T6_T7_T9_mT8_S1G_bDpT10_ENKUlT_T0_E_clISt17integral_constantIbLb1EES1T_IbLb0EEEEDaS1P_S1Q_EUlS1P_E_NS1_11comp_targetILNS1_3genE5ELNS1_11target_archE942ELNS1_3gpuE9ELNS1_3repE0EEENS1_30default_config_static_selectorELNS0_4arch9wavefront6targetE0EEEvS12_,comdat
	.globl	_ZN7rocprim17ROCPRIM_400000_NS6detail17trampoline_kernelINS0_13select_configILj256ELj13ELNS0_17block_load_methodE3ELS4_3ELS4_3ELNS0_20block_scan_algorithmE0ELj4294967295EEENS1_25partition_config_selectorILNS1_17partition_subalgoE4EjNS0_10empty_typeEbEEZZNS1_14partition_implILS8_4ELb0ES6_15HIP_vector_typeIjLj2EENS0_17counting_iteratorIjlEEPS9_SG_NS0_5tupleIJPjSI_NS0_16reverse_iteratorISI_EEEEENSH_IJSG_SG_SG_EEES9_SI_JZNS1_25segmented_radix_sort_implINS0_14default_configELb1EPKdPdPKlPlN2at6native12_GLOBAL__N_18offset_tEEE10hipError_tPvRmT1_PNSt15iterator_traitsIS12_E10value_typeET2_T3_PNS13_IS18_E10value_typeET4_jRbjT5_S1E_jjP12ihipStream_tbEUljE_ZNSN_ISO_Lb1ESQ_SR_ST_SU_SY_EESZ_S10_S11_S12_S16_S17_S18_S1B_S1C_jS1D_jS1E_S1E_jjS1G_bEUljE0_EEESZ_S10_S11_S18_S1C_S1E_T6_T7_T9_mT8_S1G_bDpT10_ENKUlT_T0_E_clISt17integral_constantIbLb1EES1T_IbLb0EEEEDaS1P_S1Q_EUlS1P_E_NS1_11comp_targetILNS1_3genE5ELNS1_11target_archE942ELNS1_3gpuE9ELNS1_3repE0EEENS1_30default_config_static_selectorELNS0_4arch9wavefront6targetE0EEEvS12_ ; -- Begin function _ZN7rocprim17ROCPRIM_400000_NS6detail17trampoline_kernelINS0_13select_configILj256ELj13ELNS0_17block_load_methodE3ELS4_3ELS4_3ELNS0_20block_scan_algorithmE0ELj4294967295EEENS1_25partition_config_selectorILNS1_17partition_subalgoE4EjNS0_10empty_typeEbEEZZNS1_14partition_implILS8_4ELb0ES6_15HIP_vector_typeIjLj2EENS0_17counting_iteratorIjlEEPS9_SG_NS0_5tupleIJPjSI_NS0_16reverse_iteratorISI_EEEEENSH_IJSG_SG_SG_EEES9_SI_JZNS1_25segmented_radix_sort_implINS0_14default_configELb1EPKdPdPKlPlN2at6native12_GLOBAL__N_18offset_tEEE10hipError_tPvRmT1_PNSt15iterator_traitsIS12_E10value_typeET2_T3_PNS13_IS18_E10value_typeET4_jRbjT5_S1E_jjP12ihipStream_tbEUljE_ZNSN_ISO_Lb1ESQ_SR_ST_SU_SY_EESZ_S10_S11_S12_S16_S17_S18_S1B_S1C_jS1D_jS1E_S1E_jjS1G_bEUljE0_EEESZ_S10_S11_S18_S1C_S1E_T6_T7_T9_mT8_S1G_bDpT10_ENKUlT_T0_E_clISt17integral_constantIbLb1EES1T_IbLb0EEEEDaS1P_S1Q_EUlS1P_E_NS1_11comp_targetILNS1_3genE5ELNS1_11target_archE942ELNS1_3gpuE9ELNS1_3repE0EEENS1_30default_config_static_selectorELNS0_4arch9wavefront6targetE0EEEvS12_
	.p2align	8
	.type	_ZN7rocprim17ROCPRIM_400000_NS6detail17trampoline_kernelINS0_13select_configILj256ELj13ELNS0_17block_load_methodE3ELS4_3ELS4_3ELNS0_20block_scan_algorithmE0ELj4294967295EEENS1_25partition_config_selectorILNS1_17partition_subalgoE4EjNS0_10empty_typeEbEEZZNS1_14partition_implILS8_4ELb0ES6_15HIP_vector_typeIjLj2EENS0_17counting_iteratorIjlEEPS9_SG_NS0_5tupleIJPjSI_NS0_16reverse_iteratorISI_EEEEENSH_IJSG_SG_SG_EEES9_SI_JZNS1_25segmented_radix_sort_implINS0_14default_configELb1EPKdPdPKlPlN2at6native12_GLOBAL__N_18offset_tEEE10hipError_tPvRmT1_PNSt15iterator_traitsIS12_E10value_typeET2_T3_PNS13_IS18_E10value_typeET4_jRbjT5_S1E_jjP12ihipStream_tbEUljE_ZNSN_ISO_Lb1ESQ_SR_ST_SU_SY_EESZ_S10_S11_S12_S16_S17_S18_S1B_S1C_jS1D_jS1E_S1E_jjS1G_bEUljE0_EEESZ_S10_S11_S18_S1C_S1E_T6_T7_T9_mT8_S1G_bDpT10_ENKUlT_T0_E_clISt17integral_constantIbLb1EES1T_IbLb0EEEEDaS1P_S1Q_EUlS1P_E_NS1_11comp_targetILNS1_3genE5ELNS1_11target_archE942ELNS1_3gpuE9ELNS1_3repE0EEENS1_30default_config_static_selectorELNS0_4arch9wavefront6targetE0EEEvS12_,@function
_ZN7rocprim17ROCPRIM_400000_NS6detail17trampoline_kernelINS0_13select_configILj256ELj13ELNS0_17block_load_methodE3ELS4_3ELS4_3ELNS0_20block_scan_algorithmE0ELj4294967295EEENS1_25partition_config_selectorILNS1_17partition_subalgoE4EjNS0_10empty_typeEbEEZZNS1_14partition_implILS8_4ELb0ES6_15HIP_vector_typeIjLj2EENS0_17counting_iteratorIjlEEPS9_SG_NS0_5tupleIJPjSI_NS0_16reverse_iteratorISI_EEEEENSH_IJSG_SG_SG_EEES9_SI_JZNS1_25segmented_radix_sort_implINS0_14default_configELb1EPKdPdPKlPlN2at6native12_GLOBAL__N_18offset_tEEE10hipError_tPvRmT1_PNSt15iterator_traitsIS12_E10value_typeET2_T3_PNS13_IS18_E10value_typeET4_jRbjT5_S1E_jjP12ihipStream_tbEUljE_ZNSN_ISO_Lb1ESQ_SR_ST_SU_SY_EESZ_S10_S11_S12_S16_S17_S18_S1B_S1C_jS1D_jS1E_S1E_jjS1G_bEUljE0_EEESZ_S10_S11_S18_S1C_S1E_T6_T7_T9_mT8_S1G_bDpT10_ENKUlT_T0_E_clISt17integral_constantIbLb1EES1T_IbLb0EEEEDaS1P_S1Q_EUlS1P_E_NS1_11comp_targetILNS1_3genE5ELNS1_11target_archE942ELNS1_3gpuE9ELNS1_3repE0EEENS1_30default_config_static_selectorELNS0_4arch9wavefront6targetE0EEEvS12_: ; @_ZN7rocprim17ROCPRIM_400000_NS6detail17trampoline_kernelINS0_13select_configILj256ELj13ELNS0_17block_load_methodE3ELS4_3ELS4_3ELNS0_20block_scan_algorithmE0ELj4294967295EEENS1_25partition_config_selectorILNS1_17partition_subalgoE4EjNS0_10empty_typeEbEEZZNS1_14partition_implILS8_4ELb0ES6_15HIP_vector_typeIjLj2EENS0_17counting_iteratorIjlEEPS9_SG_NS0_5tupleIJPjSI_NS0_16reverse_iteratorISI_EEEEENSH_IJSG_SG_SG_EEES9_SI_JZNS1_25segmented_radix_sort_implINS0_14default_configELb1EPKdPdPKlPlN2at6native12_GLOBAL__N_18offset_tEEE10hipError_tPvRmT1_PNSt15iterator_traitsIS12_E10value_typeET2_T3_PNS13_IS18_E10value_typeET4_jRbjT5_S1E_jjP12ihipStream_tbEUljE_ZNSN_ISO_Lb1ESQ_SR_ST_SU_SY_EESZ_S10_S11_S12_S16_S17_S18_S1B_S1C_jS1D_jS1E_S1E_jjS1G_bEUljE0_EEESZ_S10_S11_S18_S1C_S1E_T6_T7_T9_mT8_S1G_bDpT10_ENKUlT_T0_E_clISt17integral_constantIbLb1EES1T_IbLb0EEEEDaS1P_S1Q_EUlS1P_E_NS1_11comp_targetILNS1_3genE5ELNS1_11target_archE942ELNS1_3gpuE9ELNS1_3repE0EEENS1_30default_config_static_selectorELNS0_4arch9wavefront6targetE0EEEvS12_
; %bb.0:
	.section	.rodata,"a",@progbits
	.p2align	6, 0x0
	.amdhsa_kernel _ZN7rocprim17ROCPRIM_400000_NS6detail17trampoline_kernelINS0_13select_configILj256ELj13ELNS0_17block_load_methodE3ELS4_3ELS4_3ELNS0_20block_scan_algorithmE0ELj4294967295EEENS1_25partition_config_selectorILNS1_17partition_subalgoE4EjNS0_10empty_typeEbEEZZNS1_14partition_implILS8_4ELb0ES6_15HIP_vector_typeIjLj2EENS0_17counting_iteratorIjlEEPS9_SG_NS0_5tupleIJPjSI_NS0_16reverse_iteratorISI_EEEEENSH_IJSG_SG_SG_EEES9_SI_JZNS1_25segmented_radix_sort_implINS0_14default_configELb1EPKdPdPKlPlN2at6native12_GLOBAL__N_18offset_tEEE10hipError_tPvRmT1_PNSt15iterator_traitsIS12_E10value_typeET2_T3_PNS13_IS18_E10value_typeET4_jRbjT5_S1E_jjP12ihipStream_tbEUljE_ZNSN_ISO_Lb1ESQ_SR_ST_SU_SY_EESZ_S10_S11_S12_S16_S17_S18_S1B_S1C_jS1D_jS1E_S1E_jjS1G_bEUljE0_EEESZ_S10_S11_S18_S1C_S1E_T6_T7_T9_mT8_S1G_bDpT10_ENKUlT_T0_E_clISt17integral_constantIbLb1EES1T_IbLb0EEEEDaS1P_S1Q_EUlS1P_E_NS1_11comp_targetILNS1_3genE5ELNS1_11target_archE942ELNS1_3gpuE9ELNS1_3repE0EEENS1_30default_config_static_selectorELNS0_4arch9wavefront6targetE0EEEvS12_
		.amdhsa_group_segment_fixed_size 0
		.amdhsa_private_segment_fixed_size 0
		.amdhsa_kernarg_size 176
		.amdhsa_user_sgpr_count 2
		.amdhsa_user_sgpr_dispatch_ptr 0
		.amdhsa_user_sgpr_queue_ptr 0
		.amdhsa_user_sgpr_kernarg_segment_ptr 1
		.amdhsa_user_sgpr_dispatch_id 0
		.amdhsa_user_sgpr_private_segment_size 0
		.amdhsa_wavefront_size32 1
		.amdhsa_uses_dynamic_stack 0
		.amdhsa_enable_private_segment 0
		.amdhsa_system_sgpr_workgroup_id_x 1
		.amdhsa_system_sgpr_workgroup_id_y 0
		.amdhsa_system_sgpr_workgroup_id_z 0
		.amdhsa_system_sgpr_workgroup_info 0
		.amdhsa_system_vgpr_workitem_id 0
		.amdhsa_next_free_vgpr 1
		.amdhsa_next_free_sgpr 1
		.amdhsa_reserve_vcc 0
		.amdhsa_float_round_mode_32 0
		.amdhsa_float_round_mode_16_64 0
		.amdhsa_float_denorm_mode_32 3
		.amdhsa_float_denorm_mode_16_64 3
		.amdhsa_fp16_overflow 0
		.amdhsa_workgroup_processor_mode 1
		.amdhsa_memory_ordered 1
		.amdhsa_forward_progress 1
		.amdhsa_inst_pref_size 0
		.amdhsa_round_robin_scheduling 0
		.amdhsa_exception_fp_ieee_invalid_op 0
		.amdhsa_exception_fp_denorm_src 0
		.amdhsa_exception_fp_ieee_div_zero 0
		.amdhsa_exception_fp_ieee_overflow 0
		.amdhsa_exception_fp_ieee_underflow 0
		.amdhsa_exception_fp_ieee_inexact 0
		.amdhsa_exception_int_div_zero 0
	.end_amdhsa_kernel
	.section	.text._ZN7rocprim17ROCPRIM_400000_NS6detail17trampoline_kernelINS0_13select_configILj256ELj13ELNS0_17block_load_methodE3ELS4_3ELS4_3ELNS0_20block_scan_algorithmE0ELj4294967295EEENS1_25partition_config_selectorILNS1_17partition_subalgoE4EjNS0_10empty_typeEbEEZZNS1_14partition_implILS8_4ELb0ES6_15HIP_vector_typeIjLj2EENS0_17counting_iteratorIjlEEPS9_SG_NS0_5tupleIJPjSI_NS0_16reverse_iteratorISI_EEEEENSH_IJSG_SG_SG_EEES9_SI_JZNS1_25segmented_radix_sort_implINS0_14default_configELb1EPKdPdPKlPlN2at6native12_GLOBAL__N_18offset_tEEE10hipError_tPvRmT1_PNSt15iterator_traitsIS12_E10value_typeET2_T3_PNS13_IS18_E10value_typeET4_jRbjT5_S1E_jjP12ihipStream_tbEUljE_ZNSN_ISO_Lb1ESQ_SR_ST_SU_SY_EESZ_S10_S11_S12_S16_S17_S18_S1B_S1C_jS1D_jS1E_S1E_jjS1G_bEUljE0_EEESZ_S10_S11_S18_S1C_S1E_T6_T7_T9_mT8_S1G_bDpT10_ENKUlT_T0_E_clISt17integral_constantIbLb1EES1T_IbLb0EEEEDaS1P_S1Q_EUlS1P_E_NS1_11comp_targetILNS1_3genE5ELNS1_11target_archE942ELNS1_3gpuE9ELNS1_3repE0EEENS1_30default_config_static_selectorELNS0_4arch9wavefront6targetE0EEEvS12_,"axG",@progbits,_ZN7rocprim17ROCPRIM_400000_NS6detail17trampoline_kernelINS0_13select_configILj256ELj13ELNS0_17block_load_methodE3ELS4_3ELS4_3ELNS0_20block_scan_algorithmE0ELj4294967295EEENS1_25partition_config_selectorILNS1_17partition_subalgoE4EjNS0_10empty_typeEbEEZZNS1_14partition_implILS8_4ELb0ES6_15HIP_vector_typeIjLj2EENS0_17counting_iteratorIjlEEPS9_SG_NS0_5tupleIJPjSI_NS0_16reverse_iteratorISI_EEEEENSH_IJSG_SG_SG_EEES9_SI_JZNS1_25segmented_radix_sort_implINS0_14default_configELb1EPKdPdPKlPlN2at6native12_GLOBAL__N_18offset_tEEE10hipError_tPvRmT1_PNSt15iterator_traitsIS12_E10value_typeET2_T3_PNS13_IS18_E10value_typeET4_jRbjT5_S1E_jjP12ihipStream_tbEUljE_ZNSN_ISO_Lb1ESQ_SR_ST_SU_SY_EESZ_S10_S11_S12_S16_S17_S18_S1B_S1C_jS1D_jS1E_S1E_jjS1G_bEUljE0_EEESZ_S10_S11_S18_S1C_S1E_T6_T7_T9_mT8_S1G_bDpT10_ENKUlT_T0_E_clISt17integral_constantIbLb1EES1T_IbLb0EEEEDaS1P_S1Q_EUlS1P_E_NS1_11comp_targetILNS1_3genE5ELNS1_11target_archE942ELNS1_3gpuE9ELNS1_3repE0EEENS1_30default_config_static_selectorELNS0_4arch9wavefront6targetE0EEEvS12_,comdat
.Lfunc_end1071:
	.size	_ZN7rocprim17ROCPRIM_400000_NS6detail17trampoline_kernelINS0_13select_configILj256ELj13ELNS0_17block_load_methodE3ELS4_3ELS4_3ELNS0_20block_scan_algorithmE0ELj4294967295EEENS1_25partition_config_selectorILNS1_17partition_subalgoE4EjNS0_10empty_typeEbEEZZNS1_14partition_implILS8_4ELb0ES6_15HIP_vector_typeIjLj2EENS0_17counting_iteratorIjlEEPS9_SG_NS0_5tupleIJPjSI_NS0_16reverse_iteratorISI_EEEEENSH_IJSG_SG_SG_EEES9_SI_JZNS1_25segmented_radix_sort_implINS0_14default_configELb1EPKdPdPKlPlN2at6native12_GLOBAL__N_18offset_tEEE10hipError_tPvRmT1_PNSt15iterator_traitsIS12_E10value_typeET2_T3_PNS13_IS18_E10value_typeET4_jRbjT5_S1E_jjP12ihipStream_tbEUljE_ZNSN_ISO_Lb1ESQ_SR_ST_SU_SY_EESZ_S10_S11_S12_S16_S17_S18_S1B_S1C_jS1D_jS1E_S1E_jjS1G_bEUljE0_EEESZ_S10_S11_S18_S1C_S1E_T6_T7_T9_mT8_S1G_bDpT10_ENKUlT_T0_E_clISt17integral_constantIbLb1EES1T_IbLb0EEEEDaS1P_S1Q_EUlS1P_E_NS1_11comp_targetILNS1_3genE5ELNS1_11target_archE942ELNS1_3gpuE9ELNS1_3repE0EEENS1_30default_config_static_selectorELNS0_4arch9wavefront6targetE0EEEvS12_, .Lfunc_end1071-_ZN7rocprim17ROCPRIM_400000_NS6detail17trampoline_kernelINS0_13select_configILj256ELj13ELNS0_17block_load_methodE3ELS4_3ELS4_3ELNS0_20block_scan_algorithmE0ELj4294967295EEENS1_25partition_config_selectorILNS1_17partition_subalgoE4EjNS0_10empty_typeEbEEZZNS1_14partition_implILS8_4ELb0ES6_15HIP_vector_typeIjLj2EENS0_17counting_iteratorIjlEEPS9_SG_NS0_5tupleIJPjSI_NS0_16reverse_iteratorISI_EEEEENSH_IJSG_SG_SG_EEES9_SI_JZNS1_25segmented_radix_sort_implINS0_14default_configELb1EPKdPdPKlPlN2at6native12_GLOBAL__N_18offset_tEEE10hipError_tPvRmT1_PNSt15iterator_traitsIS12_E10value_typeET2_T3_PNS13_IS18_E10value_typeET4_jRbjT5_S1E_jjP12ihipStream_tbEUljE_ZNSN_ISO_Lb1ESQ_SR_ST_SU_SY_EESZ_S10_S11_S12_S16_S17_S18_S1B_S1C_jS1D_jS1E_S1E_jjS1G_bEUljE0_EEESZ_S10_S11_S18_S1C_S1E_T6_T7_T9_mT8_S1G_bDpT10_ENKUlT_T0_E_clISt17integral_constantIbLb1EES1T_IbLb0EEEEDaS1P_S1Q_EUlS1P_E_NS1_11comp_targetILNS1_3genE5ELNS1_11target_archE942ELNS1_3gpuE9ELNS1_3repE0EEENS1_30default_config_static_selectorELNS0_4arch9wavefront6targetE0EEEvS12_
                                        ; -- End function
	.set _ZN7rocprim17ROCPRIM_400000_NS6detail17trampoline_kernelINS0_13select_configILj256ELj13ELNS0_17block_load_methodE3ELS4_3ELS4_3ELNS0_20block_scan_algorithmE0ELj4294967295EEENS1_25partition_config_selectorILNS1_17partition_subalgoE4EjNS0_10empty_typeEbEEZZNS1_14partition_implILS8_4ELb0ES6_15HIP_vector_typeIjLj2EENS0_17counting_iteratorIjlEEPS9_SG_NS0_5tupleIJPjSI_NS0_16reverse_iteratorISI_EEEEENSH_IJSG_SG_SG_EEES9_SI_JZNS1_25segmented_radix_sort_implINS0_14default_configELb1EPKdPdPKlPlN2at6native12_GLOBAL__N_18offset_tEEE10hipError_tPvRmT1_PNSt15iterator_traitsIS12_E10value_typeET2_T3_PNS13_IS18_E10value_typeET4_jRbjT5_S1E_jjP12ihipStream_tbEUljE_ZNSN_ISO_Lb1ESQ_SR_ST_SU_SY_EESZ_S10_S11_S12_S16_S17_S18_S1B_S1C_jS1D_jS1E_S1E_jjS1G_bEUljE0_EEESZ_S10_S11_S18_S1C_S1E_T6_T7_T9_mT8_S1G_bDpT10_ENKUlT_T0_E_clISt17integral_constantIbLb1EES1T_IbLb0EEEEDaS1P_S1Q_EUlS1P_E_NS1_11comp_targetILNS1_3genE5ELNS1_11target_archE942ELNS1_3gpuE9ELNS1_3repE0EEENS1_30default_config_static_selectorELNS0_4arch9wavefront6targetE0EEEvS12_.num_vgpr, 0
	.set _ZN7rocprim17ROCPRIM_400000_NS6detail17trampoline_kernelINS0_13select_configILj256ELj13ELNS0_17block_load_methodE3ELS4_3ELS4_3ELNS0_20block_scan_algorithmE0ELj4294967295EEENS1_25partition_config_selectorILNS1_17partition_subalgoE4EjNS0_10empty_typeEbEEZZNS1_14partition_implILS8_4ELb0ES6_15HIP_vector_typeIjLj2EENS0_17counting_iteratorIjlEEPS9_SG_NS0_5tupleIJPjSI_NS0_16reverse_iteratorISI_EEEEENSH_IJSG_SG_SG_EEES9_SI_JZNS1_25segmented_radix_sort_implINS0_14default_configELb1EPKdPdPKlPlN2at6native12_GLOBAL__N_18offset_tEEE10hipError_tPvRmT1_PNSt15iterator_traitsIS12_E10value_typeET2_T3_PNS13_IS18_E10value_typeET4_jRbjT5_S1E_jjP12ihipStream_tbEUljE_ZNSN_ISO_Lb1ESQ_SR_ST_SU_SY_EESZ_S10_S11_S12_S16_S17_S18_S1B_S1C_jS1D_jS1E_S1E_jjS1G_bEUljE0_EEESZ_S10_S11_S18_S1C_S1E_T6_T7_T9_mT8_S1G_bDpT10_ENKUlT_T0_E_clISt17integral_constantIbLb1EES1T_IbLb0EEEEDaS1P_S1Q_EUlS1P_E_NS1_11comp_targetILNS1_3genE5ELNS1_11target_archE942ELNS1_3gpuE9ELNS1_3repE0EEENS1_30default_config_static_selectorELNS0_4arch9wavefront6targetE0EEEvS12_.num_agpr, 0
	.set _ZN7rocprim17ROCPRIM_400000_NS6detail17trampoline_kernelINS0_13select_configILj256ELj13ELNS0_17block_load_methodE3ELS4_3ELS4_3ELNS0_20block_scan_algorithmE0ELj4294967295EEENS1_25partition_config_selectorILNS1_17partition_subalgoE4EjNS0_10empty_typeEbEEZZNS1_14partition_implILS8_4ELb0ES6_15HIP_vector_typeIjLj2EENS0_17counting_iteratorIjlEEPS9_SG_NS0_5tupleIJPjSI_NS0_16reverse_iteratorISI_EEEEENSH_IJSG_SG_SG_EEES9_SI_JZNS1_25segmented_radix_sort_implINS0_14default_configELb1EPKdPdPKlPlN2at6native12_GLOBAL__N_18offset_tEEE10hipError_tPvRmT1_PNSt15iterator_traitsIS12_E10value_typeET2_T3_PNS13_IS18_E10value_typeET4_jRbjT5_S1E_jjP12ihipStream_tbEUljE_ZNSN_ISO_Lb1ESQ_SR_ST_SU_SY_EESZ_S10_S11_S12_S16_S17_S18_S1B_S1C_jS1D_jS1E_S1E_jjS1G_bEUljE0_EEESZ_S10_S11_S18_S1C_S1E_T6_T7_T9_mT8_S1G_bDpT10_ENKUlT_T0_E_clISt17integral_constantIbLb1EES1T_IbLb0EEEEDaS1P_S1Q_EUlS1P_E_NS1_11comp_targetILNS1_3genE5ELNS1_11target_archE942ELNS1_3gpuE9ELNS1_3repE0EEENS1_30default_config_static_selectorELNS0_4arch9wavefront6targetE0EEEvS12_.numbered_sgpr, 0
	.set _ZN7rocprim17ROCPRIM_400000_NS6detail17trampoline_kernelINS0_13select_configILj256ELj13ELNS0_17block_load_methodE3ELS4_3ELS4_3ELNS0_20block_scan_algorithmE0ELj4294967295EEENS1_25partition_config_selectorILNS1_17partition_subalgoE4EjNS0_10empty_typeEbEEZZNS1_14partition_implILS8_4ELb0ES6_15HIP_vector_typeIjLj2EENS0_17counting_iteratorIjlEEPS9_SG_NS0_5tupleIJPjSI_NS0_16reverse_iteratorISI_EEEEENSH_IJSG_SG_SG_EEES9_SI_JZNS1_25segmented_radix_sort_implINS0_14default_configELb1EPKdPdPKlPlN2at6native12_GLOBAL__N_18offset_tEEE10hipError_tPvRmT1_PNSt15iterator_traitsIS12_E10value_typeET2_T3_PNS13_IS18_E10value_typeET4_jRbjT5_S1E_jjP12ihipStream_tbEUljE_ZNSN_ISO_Lb1ESQ_SR_ST_SU_SY_EESZ_S10_S11_S12_S16_S17_S18_S1B_S1C_jS1D_jS1E_S1E_jjS1G_bEUljE0_EEESZ_S10_S11_S18_S1C_S1E_T6_T7_T9_mT8_S1G_bDpT10_ENKUlT_T0_E_clISt17integral_constantIbLb1EES1T_IbLb0EEEEDaS1P_S1Q_EUlS1P_E_NS1_11comp_targetILNS1_3genE5ELNS1_11target_archE942ELNS1_3gpuE9ELNS1_3repE0EEENS1_30default_config_static_selectorELNS0_4arch9wavefront6targetE0EEEvS12_.num_named_barrier, 0
	.set _ZN7rocprim17ROCPRIM_400000_NS6detail17trampoline_kernelINS0_13select_configILj256ELj13ELNS0_17block_load_methodE3ELS4_3ELS4_3ELNS0_20block_scan_algorithmE0ELj4294967295EEENS1_25partition_config_selectorILNS1_17partition_subalgoE4EjNS0_10empty_typeEbEEZZNS1_14partition_implILS8_4ELb0ES6_15HIP_vector_typeIjLj2EENS0_17counting_iteratorIjlEEPS9_SG_NS0_5tupleIJPjSI_NS0_16reverse_iteratorISI_EEEEENSH_IJSG_SG_SG_EEES9_SI_JZNS1_25segmented_radix_sort_implINS0_14default_configELb1EPKdPdPKlPlN2at6native12_GLOBAL__N_18offset_tEEE10hipError_tPvRmT1_PNSt15iterator_traitsIS12_E10value_typeET2_T3_PNS13_IS18_E10value_typeET4_jRbjT5_S1E_jjP12ihipStream_tbEUljE_ZNSN_ISO_Lb1ESQ_SR_ST_SU_SY_EESZ_S10_S11_S12_S16_S17_S18_S1B_S1C_jS1D_jS1E_S1E_jjS1G_bEUljE0_EEESZ_S10_S11_S18_S1C_S1E_T6_T7_T9_mT8_S1G_bDpT10_ENKUlT_T0_E_clISt17integral_constantIbLb1EES1T_IbLb0EEEEDaS1P_S1Q_EUlS1P_E_NS1_11comp_targetILNS1_3genE5ELNS1_11target_archE942ELNS1_3gpuE9ELNS1_3repE0EEENS1_30default_config_static_selectorELNS0_4arch9wavefront6targetE0EEEvS12_.private_seg_size, 0
	.set _ZN7rocprim17ROCPRIM_400000_NS6detail17trampoline_kernelINS0_13select_configILj256ELj13ELNS0_17block_load_methodE3ELS4_3ELS4_3ELNS0_20block_scan_algorithmE0ELj4294967295EEENS1_25partition_config_selectorILNS1_17partition_subalgoE4EjNS0_10empty_typeEbEEZZNS1_14partition_implILS8_4ELb0ES6_15HIP_vector_typeIjLj2EENS0_17counting_iteratorIjlEEPS9_SG_NS0_5tupleIJPjSI_NS0_16reverse_iteratorISI_EEEEENSH_IJSG_SG_SG_EEES9_SI_JZNS1_25segmented_radix_sort_implINS0_14default_configELb1EPKdPdPKlPlN2at6native12_GLOBAL__N_18offset_tEEE10hipError_tPvRmT1_PNSt15iterator_traitsIS12_E10value_typeET2_T3_PNS13_IS18_E10value_typeET4_jRbjT5_S1E_jjP12ihipStream_tbEUljE_ZNSN_ISO_Lb1ESQ_SR_ST_SU_SY_EESZ_S10_S11_S12_S16_S17_S18_S1B_S1C_jS1D_jS1E_S1E_jjS1G_bEUljE0_EEESZ_S10_S11_S18_S1C_S1E_T6_T7_T9_mT8_S1G_bDpT10_ENKUlT_T0_E_clISt17integral_constantIbLb1EES1T_IbLb0EEEEDaS1P_S1Q_EUlS1P_E_NS1_11comp_targetILNS1_3genE5ELNS1_11target_archE942ELNS1_3gpuE9ELNS1_3repE0EEENS1_30default_config_static_selectorELNS0_4arch9wavefront6targetE0EEEvS12_.uses_vcc, 0
	.set _ZN7rocprim17ROCPRIM_400000_NS6detail17trampoline_kernelINS0_13select_configILj256ELj13ELNS0_17block_load_methodE3ELS4_3ELS4_3ELNS0_20block_scan_algorithmE0ELj4294967295EEENS1_25partition_config_selectorILNS1_17partition_subalgoE4EjNS0_10empty_typeEbEEZZNS1_14partition_implILS8_4ELb0ES6_15HIP_vector_typeIjLj2EENS0_17counting_iteratorIjlEEPS9_SG_NS0_5tupleIJPjSI_NS0_16reverse_iteratorISI_EEEEENSH_IJSG_SG_SG_EEES9_SI_JZNS1_25segmented_radix_sort_implINS0_14default_configELb1EPKdPdPKlPlN2at6native12_GLOBAL__N_18offset_tEEE10hipError_tPvRmT1_PNSt15iterator_traitsIS12_E10value_typeET2_T3_PNS13_IS18_E10value_typeET4_jRbjT5_S1E_jjP12ihipStream_tbEUljE_ZNSN_ISO_Lb1ESQ_SR_ST_SU_SY_EESZ_S10_S11_S12_S16_S17_S18_S1B_S1C_jS1D_jS1E_S1E_jjS1G_bEUljE0_EEESZ_S10_S11_S18_S1C_S1E_T6_T7_T9_mT8_S1G_bDpT10_ENKUlT_T0_E_clISt17integral_constantIbLb1EES1T_IbLb0EEEEDaS1P_S1Q_EUlS1P_E_NS1_11comp_targetILNS1_3genE5ELNS1_11target_archE942ELNS1_3gpuE9ELNS1_3repE0EEENS1_30default_config_static_selectorELNS0_4arch9wavefront6targetE0EEEvS12_.uses_flat_scratch, 0
	.set _ZN7rocprim17ROCPRIM_400000_NS6detail17trampoline_kernelINS0_13select_configILj256ELj13ELNS0_17block_load_methodE3ELS4_3ELS4_3ELNS0_20block_scan_algorithmE0ELj4294967295EEENS1_25partition_config_selectorILNS1_17partition_subalgoE4EjNS0_10empty_typeEbEEZZNS1_14partition_implILS8_4ELb0ES6_15HIP_vector_typeIjLj2EENS0_17counting_iteratorIjlEEPS9_SG_NS0_5tupleIJPjSI_NS0_16reverse_iteratorISI_EEEEENSH_IJSG_SG_SG_EEES9_SI_JZNS1_25segmented_radix_sort_implINS0_14default_configELb1EPKdPdPKlPlN2at6native12_GLOBAL__N_18offset_tEEE10hipError_tPvRmT1_PNSt15iterator_traitsIS12_E10value_typeET2_T3_PNS13_IS18_E10value_typeET4_jRbjT5_S1E_jjP12ihipStream_tbEUljE_ZNSN_ISO_Lb1ESQ_SR_ST_SU_SY_EESZ_S10_S11_S12_S16_S17_S18_S1B_S1C_jS1D_jS1E_S1E_jjS1G_bEUljE0_EEESZ_S10_S11_S18_S1C_S1E_T6_T7_T9_mT8_S1G_bDpT10_ENKUlT_T0_E_clISt17integral_constantIbLb1EES1T_IbLb0EEEEDaS1P_S1Q_EUlS1P_E_NS1_11comp_targetILNS1_3genE5ELNS1_11target_archE942ELNS1_3gpuE9ELNS1_3repE0EEENS1_30default_config_static_selectorELNS0_4arch9wavefront6targetE0EEEvS12_.has_dyn_sized_stack, 0
	.set _ZN7rocprim17ROCPRIM_400000_NS6detail17trampoline_kernelINS0_13select_configILj256ELj13ELNS0_17block_load_methodE3ELS4_3ELS4_3ELNS0_20block_scan_algorithmE0ELj4294967295EEENS1_25partition_config_selectorILNS1_17partition_subalgoE4EjNS0_10empty_typeEbEEZZNS1_14partition_implILS8_4ELb0ES6_15HIP_vector_typeIjLj2EENS0_17counting_iteratorIjlEEPS9_SG_NS0_5tupleIJPjSI_NS0_16reverse_iteratorISI_EEEEENSH_IJSG_SG_SG_EEES9_SI_JZNS1_25segmented_radix_sort_implINS0_14default_configELb1EPKdPdPKlPlN2at6native12_GLOBAL__N_18offset_tEEE10hipError_tPvRmT1_PNSt15iterator_traitsIS12_E10value_typeET2_T3_PNS13_IS18_E10value_typeET4_jRbjT5_S1E_jjP12ihipStream_tbEUljE_ZNSN_ISO_Lb1ESQ_SR_ST_SU_SY_EESZ_S10_S11_S12_S16_S17_S18_S1B_S1C_jS1D_jS1E_S1E_jjS1G_bEUljE0_EEESZ_S10_S11_S18_S1C_S1E_T6_T7_T9_mT8_S1G_bDpT10_ENKUlT_T0_E_clISt17integral_constantIbLb1EES1T_IbLb0EEEEDaS1P_S1Q_EUlS1P_E_NS1_11comp_targetILNS1_3genE5ELNS1_11target_archE942ELNS1_3gpuE9ELNS1_3repE0EEENS1_30default_config_static_selectorELNS0_4arch9wavefront6targetE0EEEvS12_.has_recursion, 0
	.set _ZN7rocprim17ROCPRIM_400000_NS6detail17trampoline_kernelINS0_13select_configILj256ELj13ELNS0_17block_load_methodE3ELS4_3ELS4_3ELNS0_20block_scan_algorithmE0ELj4294967295EEENS1_25partition_config_selectorILNS1_17partition_subalgoE4EjNS0_10empty_typeEbEEZZNS1_14partition_implILS8_4ELb0ES6_15HIP_vector_typeIjLj2EENS0_17counting_iteratorIjlEEPS9_SG_NS0_5tupleIJPjSI_NS0_16reverse_iteratorISI_EEEEENSH_IJSG_SG_SG_EEES9_SI_JZNS1_25segmented_radix_sort_implINS0_14default_configELb1EPKdPdPKlPlN2at6native12_GLOBAL__N_18offset_tEEE10hipError_tPvRmT1_PNSt15iterator_traitsIS12_E10value_typeET2_T3_PNS13_IS18_E10value_typeET4_jRbjT5_S1E_jjP12ihipStream_tbEUljE_ZNSN_ISO_Lb1ESQ_SR_ST_SU_SY_EESZ_S10_S11_S12_S16_S17_S18_S1B_S1C_jS1D_jS1E_S1E_jjS1G_bEUljE0_EEESZ_S10_S11_S18_S1C_S1E_T6_T7_T9_mT8_S1G_bDpT10_ENKUlT_T0_E_clISt17integral_constantIbLb1EES1T_IbLb0EEEEDaS1P_S1Q_EUlS1P_E_NS1_11comp_targetILNS1_3genE5ELNS1_11target_archE942ELNS1_3gpuE9ELNS1_3repE0EEENS1_30default_config_static_selectorELNS0_4arch9wavefront6targetE0EEEvS12_.has_indirect_call, 0
	.section	.AMDGPU.csdata,"",@progbits
; Kernel info:
; codeLenInByte = 0
; TotalNumSgprs: 0
; NumVgprs: 0
; ScratchSize: 0
; MemoryBound: 0
; FloatMode: 240
; IeeeMode: 1
; LDSByteSize: 0 bytes/workgroup (compile time only)
; SGPRBlocks: 0
; VGPRBlocks: 0
; NumSGPRsForWavesPerEU: 1
; NumVGPRsForWavesPerEU: 1
; Occupancy: 16
; WaveLimiterHint : 0
; COMPUTE_PGM_RSRC2:SCRATCH_EN: 0
; COMPUTE_PGM_RSRC2:USER_SGPR: 2
; COMPUTE_PGM_RSRC2:TRAP_HANDLER: 0
; COMPUTE_PGM_RSRC2:TGID_X_EN: 1
; COMPUTE_PGM_RSRC2:TGID_Y_EN: 0
; COMPUTE_PGM_RSRC2:TGID_Z_EN: 0
; COMPUTE_PGM_RSRC2:TIDIG_COMP_CNT: 0
	.section	.text._ZN7rocprim17ROCPRIM_400000_NS6detail17trampoline_kernelINS0_13select_configILj256ELj13ELNS0_17block_load_methodE3ELS4_3ELS4_3ELNS0_20block_scan_algorithmE0ELj4294967295EEENS1_25partition_config_selectorILNS1_17partition_subalgoE4EjNS0_10empty_typeEbEEZZNS1_14partition_implILS8_4ELb0ES6_15HIP_vector_typeIjLj2EENS0_17counting_iteratorIjlEEPS9_SG_NS0_5tupleIJPjSI_NS0_16reverse_iteratorISI_EEEEENSH_IJSG_SG_SG_EEES9_SI_JZNS1_25segmented_radix_sort_implINS0_14default_configELb1EPKdPdPKlPlN2at6native12_GLOBAL__N_18offset_tEEE10hipError_tPvRmT1_PNSt15iterator_traitsIS12_E10value_typeET2_T3_PNS13_IS18_E10value_typeET4_jRbjT5_S1E_jjP12ihipStream_tbEUljE_ZNSN_ISO_Lb1ESQ_SR_ST_SU_SY_EESZ_S10_S11_S12_S16_S17_S18_S1B_S1C_jS1D_jS1E_S1E_jjS1G_bEUljE0_EEESZ_S10_S11_S18_S1C_S1E_T6_T7_T9_mT8_S1G_bDpT10_ENKUlT_T0_E_clISt17integral_constantIbLb1EES1T_IbLb0EEEEDaS1P_S1Q_EUlS1P_E_NS1_11comp_targetILNS1_3genE4ELNS1_11target_archE910ELNS1_3gpuE8ELNS1_3repE0EEENS1_30default_config_static_selectorELNS0_4arch9wavefront6targetE0EEEvS12_,"axG",@progbits,_ZN7rocprim17ROCPRIM_400000_NS6detail17trampoline_kernelINS0_13select_configILj256ELj13ELNS0_17block_load_methodE3ELS4_3ELS4_3ELNS0_20block_scan_algorithmE0ELj4294967295EEENS1_25partition_config_selectorILNS1_17partition_subalgoE4EjNS0_10empty_typeEbEEZZNS1_14partition_implILS8_4ELb0ES6_15HIP_vector_typeIjLj2EENS0_17counting_iteratorIjlEEPS9_SG_NS0_5tupleIJPjSI_NS0_16reverse_iteratorISI_EEEEENSH_IJSG_SG_SG_EEES9_SI_JZNS1_25segmented_radix_sort_implINS0_14default_configELb1EPKdPdPKlPlN2at6native12_GLOBAL__N_18offset_tEEE10hipError_tPvRmT1_PNSt15iterator_traitsIS12_E10value_typeET2_T3_PNS13_IS18_E10value_typeET4_jRbjT5_S1E_jjP12ihipStream_tbEUljE_ZNSN_ISO_Lb1ESQ_SR_ST_SU_SY_EESZ_S10_S11_S12_S16_S17_S18_S1B_S1C_jS1D_jS1E_S1E_jjS1G_bEUljE0_EEESZ_S10_S11_S18_S1C_S1E_T6_T7_T9_mT8_S1G_bDpT10_ENKUlT_T0_E_clISt17integral_constantIbLb1EES1T_IbLb0EEEEDaS1P_S1Q_EUlS1P_E_NS1_11comp_targetILNS1_3genE4ELNS1_11target_archE910ELNS1_3gpuE8ELNS1_3repE0EEENS1_30default_config_static_selectorELNS0_4arch9wavefront6targetE0EEEvS12_,comdat
	.globl	_ZN7rocprim17ROCPRIM_400000_NS6detail17trampoline_kernelINS0_13select_configILj256ELj13ELNS0_17block_load_methodE3ELS4_3ELS4_3ELNS0_20block_scan_algorithmE0ELj4294967295EEENS1_25partition_config_selectorILNS1_17partition_subalgoE4EjNS0_10empty_typeEbEEZZNS1_14partition_implILS8_4ELb0ES6_15HIP_vector_typeIjLj2EENS0_17counting_iteratorIjlEEPS9_SG_NS0_5tupleIJPjSI_NS0_16reverse_iteratorISI_EEEEENSH_IJSG_SG_SG_EEES9_SI_JZNS1_25segmented_radix_sort_implINS0_14default_configELb1EPKdPdPKlPlN2at6native12_GLOBAL__N_18offset_tEEE10hipError_tPvRmT1_PNSt15iterator_traitsIS12_E10value_typeET2_T3_PNS13_IS18_E10value_typeET4_jRbjT5_S1E_jjP12ihipStream_tbEUljE_ZNSN_ISO_Lb1ESQ_SR_ST_SU_SY_EESZ_S10_S11_S12_S16_S17_S18_S1B_S1C_jS1D_jS1E_S1E_jjS1G_bEUljE0_EEESZ_S10_S11_S18_S1C_S1E_T6_T7_T9_mT8_S1G_bDpT10_ENKUlT_T0_E_clISt17integral_constantIbLb1EES1T_IbLb0EEEEDaS1P_S1Q_EUlS1P_E_NS1_11comp_targetILNS1_3genE4ELNS1_11target_archE910ELNS1_3gpuE8ELNS1_3repE0EEENS1_30default_config_static_selectorELNS0_4arch9wavefront6targetE0EEEvS12_ ; -- Begin function _ZN7rocprim17ROCPRIM_400000_NS6detail17trampoline_kernelINS0_13select_configILj256ELj13ELNS0_17block_load_methodE3ELS4_3ELS4_3ELNS0_20block_scan_algorithmE0ELj4294967295EEENS1_25partition_config_selectorILNS1_17partition_subalgoE4EjNS0_10empty_typeEbEEZZNS1_14partition_implILS8_4ELb0ES6_15HIP_vector_typeIjLj2EENS0_17counting_iteratorIjlEEPS9_SG_NS0_5tupleIJPjSI_NS0_16reverse_iteratorISI_EEEEENSH_IJSG_SG_SG_EEES9_SI_JZNS1_25segmented_radix_sort_implINS0_14default_configELb1EPKdPdPKlPlN2at6native12_GLOBAL__N_18offset_tEEE10hipError_tPvRmT1_PNSt15iterator_traitsIS12_E10value_typeET2_T3_PNS13_IS18_E10value_typeET4_jRbjT5_S1E_jjP12ihipStream_tbEUljE_ZNSN_ISO_Lb1ESQ_SR_ST_SU_SY_EESZ_S10_S11_S12_S16_S17_S18_S1B_S1C_jS1D_jS1E_S1E_jjS1G_bEUljE0_EEESZ_S10_S11_S18_S1C_S1E_T6_T7_T9_mT8_S1G_bDpT10_ENKUlT_T0_E_clISt17integral_constantIbLb1EES1T_IbLb0EEEEDaS1P_S1Q_EUlS1P_E_NS1_11comp_targetILNS1_3genE4ELNS1_11target_archE910ELNS1_3gpuE8ELNS1_3repE0EEENS1_30default_config_static_selectorELNS0_4arch9wavefront6targetE0EEEvS12_
	.p2align	8
	.type	_ZN7rocprim17ROCPRIM_400000_NS6detail17trampoline_kernelINS0_13select_configILj256ELj13ELNS0_17block_load_methodE3ELS4_3ELS4_3ELNS0_20block_scan_algorithmE0ELj4294967295EEENS1_25partition_config_selectorILNS1_17partition_subalgoE4EjNS0_10empty_typeEbEEZZNS1_14partition_implILS8_4ELb0ES6_15HIP_vector_typeIjLj2EENS0_17counting_iteratorIjlEEPS9_SG_NS0_5tupleIJPjSI_NS0_16reverse_iteratorISI_EEEEENSH_IJSG_SG_SG_EEES9_SI_JZNS1_25segmented_radix_sort_implINS0_14default_configELb1EPKdPdPKlPlN2at6native12_GLOBAL__N_18offset_tEEE10hipError_tPvRmT1_PNSt15iterator_traitsIS12_E10value_typeET2_T3_PNS13_IS18_E10value_typeET4_jRbjT5_S1E_jjP12ihipStream_tbEUljE_ZNSN_ISO_Lb1ESQ_SR_ST_SU_SY_EESZ_S10_S11_S12_S16_S17_S18_S1B_S1C_jS1D_jS1E_S1E_jjS1G_bEUljE0_EEESZ_S10_S11_S18_S1C_S1E_T6_T7_T9_mT8_S1G_bDpT10_ENKUlT_T0_E_clISt17integral_constantIbLb1EES1T_IbLb0EEEEDaS1P_S1Q_EUlS1P_E_NS1_11comp_targetILNS1_3genE4ELNS1_11target_archE910ELNS1_3gpuE8ELNS1_3repE0EEENS1_30default_config_static_selectorELNS0_4arch9wavefront6targetE0EEEvS12_,@function
_ZN7rocprim17ROCPRIM_400000_NS6detail17trampoline_kernelINS0_13select_configILj256ELj13ELNS0_17block_load_methodE3ELS4_3ELS4_3ELNS0_20block_scan_algorithmE0ELj4294967295EEENS1_25partition_config_selectorILNS1_17partition_subalgoE4EjNS0_10empty_typeEbEEZZNS1_14partition_implILS8_4ELb0ES6_15HIP_vector_typeIjLj2EENS0_17counting_iteratorIjlEEPS9_SG_NS0_5tupleIJPjSI_NS0_16reverse_iteratorISI_EEEEENSH_IJSG_SG_SG_EEES9_SI_JZNS1_25segmented_radix_sort_implINS0_14default_configELb1EPKdPdPKlPlN2at6native12_GLOBAL__N_18offset_tEEE10hipError_tPvRmT1_PNSt15iterator_traitsIS12_E10value_typeET2_T3_PNS13_IS18_E10value_typeET4_jRbjT5_S1E_jjP12ihipStream_tbEUljE_ZNSN_ISO_Lb1ESQ_SR_ST_SU_SY_EESZ_S10_S11_S12_S16_S17_S18_S1B_S1C_jS1D_jS1E_S1E_jjS1G_bEUljE0_EEESZ_S10_S11_S18_S1C_S1E_T6_T7_T9_mT8_S1G_bDpT10_ENKUlT_T0_E_clISt17integral_constantIbLb1EES1T_IbLb0EEEEDaS1P_S1Q_EUlS1P_E_NS1_11comp_targetILNS1_3genE4ELNS1_11target_archE910ELNS1_3gpuE8ELNS1_3repE0EEENS1_30default_config_static_selectorELNS0_4arch9wavefront6targetE0EEEvS12_: ; @_ZN7rocprim17ROCPRIM_400000_NS6detail17trampoline_kernelINS0_13select_configILj256ELj13ELNS0_17block_load_methodE3ELS4_3ELS4_3ELNS0_20block_scan_algorithmE0ELj4294967295EEENS1_25partition_config_selectorILNS1_17partition_subalgoE4EjNS0_10empty_typeEbEEZZNS1_14partition_implILS8_4ELb0ES6_15HIP_vector_typeIjLj2EENS0_17counting_iteratorIjlEEPS9_SG_NS0_5tupleIJPjSI_NS0_16reverse_iteratorISI_EEEEENSH_IJSG_SG_SG_EEES9_SI_JZNS1_25segmented_radix_sort_implINS0_14default_configELb1EPKdPdPKlPlN2at6native12_GLOBAL__N_18offset_tEEE10hipError_tPvRmT1_PNSt15iterator_traitsIS12_E10value_typeET2_T3_PNS13_IS18_E10value_typeET4_jRbjT5_S1E_jjP12ihipStream_tbEUljE_ZNSN_ISO_Lb1ESQ_SR_ST_SU_SY_EESZ_S10_S11_S12_S16_S17_S18_S1B_S1C_jS1D_jS1E_S1E_jjS1G_bEUljE0_EEESZ_S10_S11_S18_S1C_S1E_T6_T7_T9_mT8_S1G_bDpT10_ENKUlT_T0_E_clISt17integral_constantIbLb1EES1T_IbLb0EEEEDaS1P_S1Q_EUlS1P_E_NS1_11comp_targetILNS1_3genE4ELNS1_11target_archE910ELNS1_3gpuE8ELNS1_3repE0EEENS1_30default_config_static_selectorELNS0_4arch9wavefront6targetE0EEEvS12_
; %bb.0:
	.section	.rodata,"a",@progbits
	.p2align	6, 0x0
	.amdhsa_kernel _ZN7rocprim17ROCPRIM_400000_NS6detail17trampoline_kernelINS0_13select_configILj256ELj13ELNS0_17block_load_methodE3ELS4_3ELS4_3ELNS0_20block_scan_algorithmE0ELj4294967295EEENS1_25partition_config_selectorILNS1_17partition_subalgoE4EjNS0_10empty_typeEbEEZZNS1_14partition_implILS8_4ELb0ES6_15HIP_vector_typeIjLj2EENS0_17counting_iteratorIjlEEPS9_SG_NS0_5tupleIJPjSI_NS0_16reverse_iteratorISI_EEEEENSH_IJSG_SG_SG_EEES9_SI_JZNS1_25segmented_radix_sort_implINS0_14default_configELb1EPKdPdPKlPlN2at6native12_GLOBAL__N_18offset_tEEE10hipError_tPvRmT1_PNSt15iterator_traitsIS12_E10value_typeET2_T3_PNS13_IS18_E10value_typeET4_jRbjT5_S1E_jjP12ihipStream_tbEUljE_ZNSN_ISO_Lb1ESQ_SR_ST_SU_SY_EESZ_S10_S11_S12_S16_S17_S18_S1B_S1C_jS1D_jS1E_S1E_jjS1G_bEUljE0_EEESZ_S10_S11_S18_S1C_S1E_T6_T7_T9_mT8_S1G_bDpT10_ENKUlT_T0_E_clISt17integral_constantIbLb1EES1T_IbLb0EEEEDaS1P_S1Q_EUlS1P_E_NS1_11comp_targetILNS1_3genE4ELNS1_11target_archE910ELNS1_3gpuE8ELNS1_3repE0EEENS1_30default_config_static_selectorELNS0_4arch9wavefront6targetE0EEEvS12_
		.amdhsa_group_segment_fixed_size 0
		.amdhsa_private_segment_fixed_size 0
		.amdhsa_kernarg_size 176
		.amdhsa_user_sgpr_count 2
		.amdhsa_user_sgpr_dispatch_ptr 0
		.amdhsa_user_sgpr_queue_ptr 0
		.amdhsa_user_sgpr_kernarg_segment_ptr 1
		.amdhsa_user_sgpr_dispatch_id 0
		.amdhsa_user_sgpr_private_segment_size 0
		.amdhsa_wavefront_size32 1
		.amdhsa_uses_dynamic_stack 0
		.amdhsa_enable_private_segment 0
		.amdhsa_system_sgpr_workgroup_id_x 1
		.amdhsa_system_sgpr_workgroup_id_y 0
		.amdhsa_system_sgpr_workgroup_id_z 0
		.amdhsa_system_sgpr_workgroup_info 0
		.amdhsa_system_vgpr_workitem_id 0
		.amdhsa_next_free_vgpr 1
		.amdhsa_next_free_sgpr 1
		.amdhsa_reserve_vcc 0
		.amdhsa_float_round_mode_32 0
		.amdhsa_float_round_mode_16_64 0
		.amdhsa_float_denorm_mode_32 3
		.amdhsa_float_denorm_mode_16_64 3
		.amdhsa_fp16_overflow 0
		.amdhsa_workgroup_processor_mode 1
		.amdhsa_memory_ordered 1
		.amdhsa_forward_progress 1
		.amdhsa_inst_pref_size 0
		.amdhsa_round_robin_scheduling 0
		.amdhsa_exception_fp_ieee_invalid_op 0
		.amdhsa_exception_fp_denorm_src 0
		.amdhsa_exception_fp_ieee_div_zero 0
		.amdhsa_exception_fp_ieee_overflow 0
		.amdhsa_exception_fp_ieee_underflow 0
		.amdhsa_exception_fp_ieee_inexact 0
		.amdhsa_exception_int_div_zero 0
	.end_amdhsa_kernel
	.section	.text._ZN7rocprim17ROCPRIM_400000_NS6detail17trampoline_kernelINS0_13select_configILj256ELj13ELNS0_17block_load_methodE3ELS4_3ELS4_3ELNS0_20block_scan_algorithmE0ELj4294967295EEENS1_25partition_config_selectorILNS1_17partition_subalgoE4EjNS0_10empty_typeEbEEZZNS1_14partition_implILS8_4ELb0ES6_15HIP_vector_typeIjLj2EENS0_17counting_iteratorIjlEEPS9_SG_NS0_5tupleIJPjSI_NS0_16reverse_iteratorISI_EEEEENSH_IJSG_SG_SG_EEES9_SI_JZNS1_25segmented_radix_sort_implINS0_14default_configELb1EPKdPdPKlPlN2at6native12_GLOBAL__N_18offset_tEEE10hipError_tPvRmT1_PNSt15iterator_traitsIS12_E10value_typeET2_T3_PNS13_IS18_E10value_typeET4_jRbjT5_S1E_jjP12ihipStream_tbEUljE_ZNSN_ISO_Lb1ESQ_SR_ST_SU_SY_EESZ_S10_S11_S12_S16_S17_S18_S1B_S1C_jS1D_jS1E_S1E_jjS1G_bEUljE0_EEESZ_S10_S11_S18_S1C_S1E_T6_T7_T9_mT8_S1G_bDpT10_ENKUlT_T0_E_clISt17integral_constantIbLb1EES1T_IbLb0EEEEDaS1P_S1Q_EUlS1P_E_NS1_11comp_targetILNS1_3genE4ELNS1_11target_archE910ELNS1_3gpuE8ELNS1_3repE0EEENS1_30default_config_static_selectorELNS0_4arch9wavefront6targetE0EEEvS12_,"axG",@progbits,_ZN7rocprim17ROCPRIM_400000_NS6detail17trampoline_kernelINS0_13select_configILj256ELj13ELNS0_17block_load_methodE3ELS4_3ELS4_3ELNS0_20block_scan_algorithmE0ELj4294967295EEENS1_25partition_config_selectorILNS1_17partition_subalgoE4EjNS0_10empty_typeEbEEZZNS1_14partition_implILS8_4ELb0ES6_15HIP_vector_typeIjLj2EENS0_17counting_iteratorIjlEEPS9_SG_NS0_5tupleIJPjSI_NS0_16reverse_iteratorISI_EEEEENSH_IJSG_SG_SG_EEES9_SI_JZNS1_25segmented_radix_sort_implINS0_14default_configELb1EPKdPdPKlPlN2at6native12_GLOBAL__N_18offset_tEEE10hipError_tPvRmT1_PNSt15iterator_traitsIS12_E10value_typeET2_T3_PNS13_IS18_E10value_typeET4_jRbjT5_S1E_jjP12ihipStream_tbEUljE_ZNSN_ISO_Lb1ESQ_SR_ST_SU_SY_EESZ_S10_S11_S12_S16_S17_S18_S1B_S1C_jS1D_jS1E_S1E_jjS1G_bEUljE0_EEESZ_S10_S11_S18_S1C_S1E_T6_T7_T9_mT8_S1G_bDpT10_ENKUlT_T0_E_clISt17integral_constantIbLb1EES1T_IbLb0EEEEDaS1P_S1Q_EUlS1P_E_NS1_11comp_targetILNS1_3genE4ELNS1_11target_archE910ELNS1_3gpuE8ELNS1_3repE0EEENS1_30default_config_static_selectorELNS0_4arch9wavefront6targetE0EEEvS12_,comdat
.Lfunc_end1072:
	.size	_ZN7rocprim17ROCPRIM_400000_NS6detail17trampoline_kernelINS0_13select_configILj256ELj13ELNS0_17block_load_methodE3ELS4_3ELS4_3ELNS0_20block_scan_algorithmE0ELj4294967295EEENS1_25partition_config_selectorILNS1_17partition_subalgoE4EjNS0_10empty_typeEbEEZZNS1_14partition_implILS8_4ELb0ES6_15HIP_vector_typeIjLj2EENS0_17counting_iteratorIjlEEPS9_SG_NS0_5tupleIJPjSI_NS0_16reverse_iteratorISI_EEEEENSH_IJSG_SG_SG_EEES9_SI_JZNS1_25segmented_radix_sort_implINS0_14default_configELb1EPKdPdPKlPlN2at6native12_GLOBAL__N_18offset_tEEE10hipError_tPvRmT1_PNSt15iterator_traitsIS12_E10value_typeET2_T3_PNS13_IS18_E10value_typeET4_jRbjT5_S1E_jjP12ihipStream_tbEUljE_ZNSN_ISO_Lb1ESQ_SR_ST_SU_SY_EESZ_S10_S11_S12_S16_S17_S18_S1B_S1C_jS1D_jS1E_S1E_jjS1G_bEUljE0_EEESZ_S10_S11_S18_S1C_S1E_T6_T7_T9_mT8_S1G_bDpT10_ENKUlT_T0_E_clISt17integral_constantIbLb1EES1T_IbLb0EEEEDaS1P_S1Q_EUlS1P_E_NS1_11comp_targetILNS1_3genE4ELNS1_11target_archE910ELNS1_3gpuE8ELNS1_3repE0EEENS1_30default_config_static_selectorELNS0_4arch9wavefront6targetE0EEEvS12_, .Lfunc_end1072-_ZN7rocprim17ROCPRIM_400000_NS6detail17trampoline_kernelINS0_13select_configILj256ELj13ELNS0_17block_load_methodE3ELS4_3ELS4_3ELNS0_20block_scan_algorithmE0ELj4294967295EEENS1_25partition_config_selectorILNS1_17partition_subalgoE4EjNS0_10empty_typeEbEEZZNS1_14partition_implILS8_4ELb0ES6_15HIP_vector_typeIjLj2EENS0_17counting_iteratorIjlEEPS9_SG_NS0_5tupleIJPjSI_NS0_16reverse_iteratorISI_EEEEENSH_IJSG_SG_SG_EEES9_SI_JZNS1_25segmented_radix_sort_implINS0_14default_configELb1EPKdPdPKlPlN2at6native12_GLOBAL__N_18offset_tEEE10hipError_tPvRmT1_PNSt15iterator_traitsIS12_E10value_typeET2_T3_PNS13_IS18_E10value_typeET4_jRbjT5_S1E_jjP12ihipStream_tbEUljE_ZNSN_ISO_Lb1ESQ_SR_ST_SU_SY_EESZ_S10_S11_S12_S16_S17_S18_S1B_S1C_jS1D_jS1E_S1E_jjS1G_bEUljE0_EEESZ_S10_S11_S18_S1C_S1E_T6_T7_T9_mT8_S1G_bDpT10_ENKUlT_T0_E_clISt17integral_constantIbLb1EES1T_IbLb0EEEEDaS1P_S1Q_EUlS1P_E_NS1_11comp_targetILNS1_3genE4ELNS1_11target_archE910ELNS1_3gpuE8ELNS1_3repE0EEENS1_30default_config_static_selectorELNS0_4arch9wavefront6targetE0EEEvS12_
                                        ; -- End function
	.set _ZN7rocprim17ROCPRIM_400000_NS6detail17trampoline_kernelINS0_13select_configILj256ELj13ELNS0_17block_load_methodE3ELS4_3ELS4_3ELNS0_20block_scan_algorithmE0ELj4294967295EEENS1_25partition_config_selectorILNS1_17partition_subalgoE4EjNS0_10empty_typeEbEEZZNS1_14partition_implILS8_4ELb0ES6_15HIP_vector_typeIjLj2EENS0_17counting_iteratorIjlEEPS9_SG_NS0_5tupleIJPjSI_NS0_16reverse_iteratorISI_EEEEENSH_IJSG_SG_SG_EEES9_SI_JZNS1_25segmented_radix_sort_implINS0_14default_configELb1EPKdPdPKlPlN2at6native12_GLOBAL__N_18offset_tEEE10hipError_tPvRmT1_PNSt15iterator_traitsIS12_E10value_typeET2_T3_PNS13_IS18_E10value_typeET4_jRbjT5_S1E_jjP12ihipStream_tbEUljE_ZNSN_ISO_Lb1ESQ_SR_ST_SU_SY_EESZ_S10_S11_S12_S16_S17_S18_S1B_S1C_jS1D_jS1E_S1E_jjS1G_bEUljE0_EEESZ_S10_S11_S18_S1C_S1E_T6_T7_T9_mT8_S1G_bDpT10_ENKUlT_T0_E_clISt17integral_constantIbLb1EES1T_IbLb0EEEEDaS1P_S1Q_EUlS1P_E_NS1_11comp_targetILNS1_3genE4ELNS1_11target_archE910ELNS1_3gpuE8ELNS1_3repE0EEENS1_30default_config_static_selectorELNS0_4arch9wavefront6targetE0EEEvS12_.num_vgpr, 0
	.set _ZN7rocprim17ROCPRIM_400000_NS6detail17trampoline_kernelINS0_13select_configILj256ELj13ELNS0_17block_load_methodE3ELS4_3ELS4_3ELNS0_20block_scan_algorithmE0ELj4294967295EEENS1_25partition_config_selectorILNS1_17partition_subalgoE4EjNS0_10empty_typeEbEEZZNS1_14partition_implILS8_4ELb0ES6_15HIP_vector_typeIjLj2EENS0_17counting_iteratorIjlEEPS9_SG_NS0_5tupleIJPjSI_NS0_16reverse_iteratorISI_EEEEENSH_IJSG_SG_SG_EEES9_SI_JZNS1_25segmented_radix_sort_implINS0_14default_configELb1EPKdPdPKlPlN2at6native12_GLOBAL__N_18offset_tEEE10hipError_tPvRmT1_PNSt15iterator_traitsIS12_E10value_typeET2_T3_PNS13_IS18_E10value_typeET4_jRbjT5_S1E_jjP12ihipStream_tbEUljE_ZNSN_ISO_Lb1ESQ_SR_ST_SU_SY_EESZ_S10_S11_S12_S16_S17_S18_S1B_S1C_jS1D_jS1E_S1E_jjS1G_bEUljE0_EEESZ_S10_S11_S18_S1C_S1E_T6_T7_T9_mT8_S1G_bDpT10_ENKUlT_T0_E_clISt17integral_constantIbLb1EES1T_IbLb0EEEEDaS1P_S1Q_EUlS1P_E_NS1_11comp_targetILNS1_3genE4ELNS1_11target_archE910ELNS1_3gpuE8ELNS1_3repE0EEENS1_30default_config_static_selectorELNS0_4arch9wavefront6targetE0EEEvS12_.num_agpr, 0
	.set _ZN7rocprim17ROCPRIM_400000_NS6detail17trampoline_kernelINS0_13select_configILj256ELj13ELNS0_17block_load_methodE3ELS4_3ELS4_3ELNS0_20block_scan_algorithmE0ELj4294967295EEENS1_25partition_config_selectorILNS1_17partition_subalgoE4EjNS0_10empty_typeEbEEZZNS1_14partition_implILS8_4ELb0ES6_15HIP_vector_typeIjLj2EENS0_17counting_iteratorIjlEEPS9_SG_NS0_5tupleIJPjSI_NS0_16reverse_iteratorISI_EEEEENSH_IJSG_SG_SG_EEES9_SI_JZNS1_25segmented_radix_sort_implINS0_14default_configELb1EPKdPdPKlPlN2at6native12_GLOBAL__N_18offset_tEEE10hipError_tPvRmT1_PNSt15iterator_traitsIS12_E10value_typeET2_T3_PNS13_IS18_E10value_typeET4_jRbjT5_S1E_jjP12ihipStream_tbEUljE_ZNSN_ISO_Lb1ESQ_SR_ST_SU_SY_EESZ_S10_S11_S12_S16_S17_S18_S1B_S1C_jS1D_jS1E_S1E_jjS1G_bEUljE0_EEESZ_S10_S11_S18_S1C_S1E_T6_T7_T9_mT8_S1G_bDpT10_ENKUlT_T0_E_clISt17integral_constantIbLb1EES1T_IbLb0EEEEDaS1P_S1Q_EUlS1P_E_NS1_11comp_targetILNS1_3genE4ELNS1_11target_archE910ELNS1_3gpuE8ELNS1_3repE0EEENS1_30default_config_static_selectorELNS0_4arch9wavefront6targetE0EEEvS12_.numbered_sgpr, 0
	.set _ZN7rocprim17ROCPRIM_400000_NS6detail17trampoline_kernelINS0_13select_configILj256ELj13ELNS0_17block_load_methodE3ELS4_3ELS4_3ELNS0_20block_scan_algorithmE0ELj4294967295EEENS1_25partition_config_selectorILNS1_17partition_subalgoE4EjNS0_10empty_typeEbEEZZNS1_14partition_implILS8_4ELb0ES6_15HIP_vector_typeIjLj2EENS0_17counting_iteratorIjlEEPS9_SG_NS0_5tupleIJPjSI_NS0_16reverse_iteratorISI_EEEEENSH_IJSG_SG_SG_EEES9_SI_JZNS1_25segmented_radix_sort_implINS0_14default_configELb1EPKdPdPKlPlN2at6native12_GLOBAL__N_18offset_tEEE10hipError_tPvRmT1_PNSt15iterator_traitsIS12_E10value_typeET2_T3_PNS13_IS18_E10value_typeET4_jRbjT5_S1E_jjP12ihipStream_tbEUljE_ZNSN_ISO_Lb1ESQ_SR_ST_SU_SY_EESZ_S10_S11_S12_S16_S17_S18_S1B_S1C_jS1D_jS1E_S1E_jjS1G_bEUljE0_EEESZ_S10_S11_S18_S1C_S1E_T6_T7_T9_mT8_S1G_bDpT10_ENKUlT_T0_E_clISt17integral_constantIbLb1EES1T_IbLb0EEEEDaS1P_S1Q_EUlS1P_E_NS1_11comp_targetILNS1_3genE4ELNS1_11target_archE910ELNS1_3gpuE8ELNS1_3repE0EEENS1_30default_config_static_selectorELNS0_4arch9wavefront6targetE0EEEvS12_.num_named_barrier, 0
	.set _ZN7rocprim17ROCPRIM_400000_NS6detail17trampoline_kernelINS0_13select_configILj256ELj13ELNS0_17block_load_methodE3ELS4_3ELS4_3ELNS0_20block_scan_algorithmE0ELj4294967295EEENS1_25partition_config_selectorILNS1_17partition_subalgoE4EjNS0_10empty_typeEbEEZZNS1_14partition_implILS8_4ELb0ES6_15HIP_vector_typeIjLj2EENS0_17counting_iteratorIjlEEPS9_SG_NS0_5tupleIJPjSI_NS0_16reverse_iteratorISI_EEEEENSH_IJSG_SG_SG_EEES9_SI_JZNS1_25segmented_radix_sort_implINS0_14default_configELb1EPKdPdPKlPlN2at6native12_GLOBAL__N_18offset_tEEE10hipError_tPvRmT1_PNSt15iterator_traitsIS12_E10value_typeET2_T3_PNS13_IS18_E10value_typeET4_jRbjT5_S1E_jjP12ihipStream_tbEUljE_ZNSN_ISO_Lb1ESQ_SR_ST_SU_SY_EESZ_S10_S11_S12_S16_S17_S18_S1B_S1C_jS1D_jS1E_S1E_jjS1G_bEUljE0_EEESZ_S10_S11_S18_S1C_S1E_T6_T7_T9_mT8_S1G_bDpT10_ENKUlT_T0_E_clISt17integral_constantIbLb1EES1T_IbLb0EEEEDaS1P_S1Q_EUlS1P_E_NS1_11comp_targetILNS1_3genE4ELNS1_11target_archE910ELNS1_3gpuE8ELNS1_3repE0EEENS1_30default_config_static_selectorELNS0_4arch9wavefront6targetE0EEEvS12_.private_seg_size, 0
	.set _ZN7rocprim17ROCPRIM_400000_NS6detail17trampoline_kernelINS0_13select_configILj256ELj13ELNS0_17block_load_methodE3ELS4_3ELS4_3ELNS0_20block_scan_algorithmE0ELj4294967295EEENS1_25partition_config_selectorILNS1_17partition_subalgoE4EjNS0_10empty_typeEbEEZZNS1_14partition_implILS8_4ELb0ES6_15HIP_vector_typeIjLj2EENS0_17counting_iteratorIjlEEPS9_SG_NS0_5tupleIJPjSI_NS0_16reverse_iteratorISI_EEEEENSH_IJSG_SG_SG_EEES9_SI_JZNS1_25segmented_radix_sort_implINS0_14default_configELb1EPKdPdPKlPlN2at6native12_GLOBAL__N_18offset_tEEE10hipError_tPvRmT1_PNSt15iterator_traitsIS12_E10value_typeET2_T3_PNS13_IS18_E10value_typeET4_jRbjT5_S1E_jjP12ihipStream_tbEUljE_ZNSN_ISO_Lb1ESQ_SR_ST_SU_SY_EESZ_S10_S11_S12_S16_S17_S18_S1B_S1C_jS1D_jS1E_S1E_jjS1G_bEUljE0_EEESZ_S10_S11_S18_S1C_S1E_T6_T7_T9_mT8_S1G_bDpT10_ENKUlT_T0_E_clISt17integral_constantIbLb1EES1T_IbLb0EEEEDaS1P_S1Q_EUlS1P_E_NS1_11comp_targetILNS1_3genE4ELNS1_11target_archE910ELNS1_3gpuE8ELNS1_3repE0EEENS1_30default_config_static_selectorELNS0_4arch9wavefront6targetE0EEEvS12_.uses_vcc, 0
	.set _ZN7rocprim17ROCPRIM_400000_NS6detail17trampoline_kernelINS0_13select_configILj256ELj13ELNS0_17block_load_methodE3ELS4_3ELS4_3ELNS0_20block_scan_algorithmE0ELj4294967295EEENS1_25partition_config_selectorILNS1_17partition_subalgoE4EjNS0_10empty_typeEbEEZZNS1_14partition_implILS8_4ELb0ES6_15HIP_vector_typeIjLj2EENS0_17counting_iteratorIjlEEPS9_SG_NS0_5tupleIJPjSI_NS0_16reverse_iteratorISI_EEEEENSH_IJSG_SG_SG_EEES9_SI_JZNS1_25segmented_radix_sort_implINS0_14default_configELb1EPKdPdPKlPlN2at6native12_GLOBAL__N_18offset_tEEE10hipError_tPvRmT1_PNSt15iterator_traitsIS12_E10value_typeET2_T3_PNS13_IS18_E10value_typeET4_jRbjT5_S1E_jjP12ihipStream_tbEUljE_ZNSN_ISO_Lb1ESQ_SR_ST_SU_SY_EESZ_S10_S11_S12_S16_S17_S18_S1B_S1C_jS1D_jS1E_S1E_jjS1G_bEUljE0_EEESZ_S10_S11_S18_S1C_S1E_T6_T7_T9_mT8_S1G_bDpT10_ENKUlT_T0_E_clISt17integral_constantIbLb1EES1T_IbLb0EEEEDaS1P_S1Q_EUlS1P_E_NS1_11comp_targetILNS1_3genE4ELNS1_11target_archE910ELNS1_3gpuE8ELNS1_3repE0EEENS1_30default_config_static_selectorELNS0_4arch9wavefront6targetE0EEEvS12_.uses_flat_scratch, 0
	.set _ZN7rocprim17ROCPRIM_400000_NS6detail17trampoline_kernelINS0_13select_configILj256ELj13ELNS0_17block_load_methodE3ELS4_3ELS4_3ELNS0_20block_scan_algorithmE0ELj4294967295EEENS1_25partition_config_selectorILNS1_17partition_subalgoE4EjNS0_10empty_typeEbEEZZNS1_14partition_implILS8_4ELb0ES6_15HIP_vector_typeIjLj2EENS0_17counting_iteratorIjlEEPS9_SG_NS0_5tupleIJPjSI_NS0_16reverse_iteratorISI_EEEEENSH_IJSG_SG_SG_EEES9_SI_JZNS1_25segmented_radix_sort_implINS0_14default_configELb1EPKdPdPKlPlN2at6native12_GLOBAL__N_18offset_tEEE10hipError_tPvRmT1_PNSt15iterator_traitsIS12_E10value_typeET2_T3_PNS13_IS18_E10value_typeET4_jRbjT5_S1E_jjP12ihipStream_tbEUljE_ZNSN_ISO_Lb1ESQ_SR_ST_SU_SY_EESZ_S10_S11_S12_S16_S17_S18_S1B_S1C_jS1D_jS1E_S1E_jjS1G_bEUljE0_EEESZ_S10_S11_S18_S1C_S1E_T6_T7_T9_mT8_S1G_bDpT10_ENKUlT_T0_E_clISt17integral_constantIbLb1EES1T_IbLb0EEEEDaS1P_S1Q_EUlS1P_E_NS1_11comp_targetILNS1_3genE4ELNS1_11target_archE910ELNS1_3gpuE8ELNS1_3repE0EEENS1_30default_config_static_selectorELNS0_4arch9wavefront6targetE0EEEvS12_.has_dyn_sized_stack, 0
	.set _ZN7rocprim17ROCPRIM_400000_NS6detail17trampoline_kernelINS0_13select_configILj256ELj13ELNS0_17block_load_methodE3ELS4_3ELS4_3ELNS0_20block_scan_algorithmE0ELj4294967295EEENS1_25partition_config_selectorILNS1_17partition_subalgoE4EjNS0_10empty_typeEbEEZZNS1_14partition_implILS8_4ELb0ES6_15HIP_vector_typeIjLj2EENS0_17counting_iteratorIjlEEPS9_SG_NS0_5tupleIJPjSI_NS0_16reverse_iteratorISI_EEEEENSH_IJSG_SG_SG_EEES9_SI_JZNS1_25segmented_radix_sort_implINS0_14default_configELb1EPKdPdPKlPlN2at6native12_GLOBAL__N_18offset_tEEE10hipError_tPvRmT1_PNSt15iterator_traitsIS12_E10value_typeET2_T3_PNS13_IS18_E10value_typeET4_jRbjT5_S1E_jjP12ihipStream_tbEUljE_ZNSN_ISO_Lb1ESQ_SR_ST_SU_SY_EESZ_S10_S11_S12_S16_S17_S18_S1B_S1C_jS1D_jS1E_S1E_jjS1G_bEUljE0_EEESZ_S10_S11_S18_S1C_S1E_T6_T7_T9_mT8_S1G_bDpT10_ENKUlT_T0_E_clISt17integral_constantIbLb1EES1T_IbLb0EEEEDaS1P_S1Q_EUlS1P_E_NS1_11comp_targetILNS1_3genE4ELNS1_11target_archE910ELNS1_3gpuE8ELNS1_3repE0EEENS1_30default_config_static_selectorELNS0_4arch9wavefront6targetE0EEEvS12_.has_recursion, 0
	.set _ZN7rocprim17ROCPRIM_400000_NS6detail17trampoline_kernelINS0_13select_configILj256ELj13ELNS0_17block_load_methodE3ELS4_3ELS4_3ELNS0_20block_scan_algorithmE0ELj4294967295EEENS1_25partition_config_selectorILNS1_17partition_subalgoE4EjNS0_10empty_typeEbEEZZNS1_14partition_implILS8_4ELb0ES6_15HIP_vector_typeIjLj2EENS0_17counting_iteratorIjlEEPS9_SG_NS0_5tupleIJPjSI_NS0_16reverse_iteratorISI_EEEEENSH_IJSG_SG_SG_EEES9_SI_JZNS1_25segmented_radix_sort_implINS0_14default_configELb1EPKdPdPKlPlN2at6native12_GLOBAL__N_18offset_tEEE10hipError_tPvRmT1_PNSt15iterator_traitsIS12_E10value_typeET2_T3_PNS13_IS18_E10value_typeET4_jRbjT5_S1E_jjP12ihipStream_tbEUljE_ZNSN_ISO_Lb1ESQ_SR_ST_SU_SY_EESZ_S10_S11_S12_S16_S17_S18_S1B_S1C_jS1D_jS1E_S1E_jjS1G_bEUljE0_EEESZ_S10_S11_S18_S1C_S1E_T6_T7_T9_mT8_S1G_bDpT10_ENKUlT_T0_E_clISt17integral_constantIbLb1EES1T_IbLb0EEEEDaS1P_S1Q_EUlS1P_E_NS1_11comp_targetILNS1_3genE4ELNS1_11target_archE910ELNS1_3gpuE8ELNS1_3repE0EEENS1_30default_config_static_selectorELNS0_4arch9wavefront6targetE0EEEvS12_.has_indirect_call, 0
	.section	.AMDGPU.csdata,"",@progbits
; Kernel info:
; codeLenInByte = 0
; TotalNumSgprs: 0
; NumVgprs: 0
; ScratchSize: 0
; MemoryBound: 0
; FloatMode: 240
; IeeeMode: 1
; LDSByteSize: 0 bytes/workgroup (compile time only)
; SGPRBlocks: 0
; VGPRBlocks: 0
; NumSGPRsForWavesPerEU: 1
; NumVGPRsForWavesPerEU: 1
; Occupancy: 16
; WaveLimiterHint : 0
; COMPUTE_PGM_RSRC2:SCRATCH_EN: 0
; COMPUTE_PGM_RSRC2:USER_SGPR: 2
; COMPUTE_PGM_RSRC2:TRAP_HANDLER: 0
; COMPUTE_PGM_RSRC2:TGID_X_EN: 1
; COMPUTE_PGM_RSRC2:TGID_Y_EN: 0
; COMPUTE_PGM_RSRC2:TGID_Z_EN: 0
; COMPUTE_PGM_RSRC2:TIDIG_COMP_CNT: 0
	.section	.text._ZN7rocprim17ROCPRIM_400000_NS6detail17trampoline_kernelINS0_13select_configILj256ELj13ELNS0_17block_load_methodE3ELS4_3ELS4_3ELNS0_20block_scan_algorithmE0ELj4294967295EEENS1_25partition_config_selectorILNS1_17partition_subalgoE4EjNS0_10empty_typeEbEEZZNS1_14partition_implILS8_4ELb0ES6_15HIP_vector_typeIjLj2EENS0_17counting_iteratorIjlEEPS9_SG_NS0_5tupleIJPjSI_NS0_16reverse_iteratorISI_EEEEENSH_IJSG_SG_SG_EEES9_SI_JZNS1_25segmented_radix_sort_implINS0_14default_configELb1EPKdPdPKlPlN2at6native12_GLOBAL__N_18offset_tEEE10hipError_tPvRmT1_PNSt15iterator_traitsIS12_E10value_typeET2_T3_PNS13_IS18_E10value_typeET4_jRbjT5_S1E_jjP12ihipStream_tbEUljE_ZNSN_ISO_Lb1ESQ_SR_ST_SU_SY_EESZ_S10_S11_S12_S16_S17_S18_S1B_S1C_jS1D_jS1E_S1E_jjS1G_bEUljE0_EEESZ_S10_S11_S18_S1C_S1E_T6_T7_T9_mT8_S1G_bDpT10_ENKUlT_T0_E_clISt17integral_constantIbLb1EES1T_IbLb0EEEEDaS1P_S1Q_EUlS1P_E_NS1_11comp_targetILNS1_3genE3ELNS1_11target_archE908ELNS1_3gpuE7ELNS1_3repE0EEENS1_30default_config_static_selectorELNS0_4arch9wavefront6targetE0EEEvS12_,"axG",@progbits,_ZN7rocprim17ROCPRIM_400000_NS6detail17trampoline_kernelINS0_13select_configILj256ELj13ELNS0_17block_load_methodE3ELS4_3ELS4_3ELNS0_20block_scan_algorithmE0ELj4294967295EEENS1_25partition_config_selectorILNS1_17partition_subalgoE4EjNS0_10empty_typeEbEEZZNS1_14partition_implILS8_4ELb0ES6_15HIP_vector_typeIjLj2EENS0_17counting_iteratorIjlEEPS9_SG_NS0_5tupleIJPjSI_NS0_16reverse_iteratorISI_EEEEENSH_IJSG_SG_SG_EEES9_SI_JZNS1_25segmented_radix_sort_implINS0_14default_configELb1EPKdPdPKlPlN2at6native12_GLOBAL__N_18offset_tEEE10hipError_tPvRmT1_PNSt15iterator_traitsIS12_E10value_typeET2_T3_PNS13_IS18_E10value_typeET4_jRbjT5_S1E_jjP12ihipStream_tbEUljE_ZNSN_ISO_Lb1ESQ_SR_ST_SU_SY_EESZ_S10_S11_S12_S16_S17_S18_S1B_S1C_jS1D_jS1E_S1E_jjS1G_bEUljE0_EEESZ_S10_S11_S18_S1C_S1E_T6_T7_T9_mT8_S1G_bDpT10_ENKUlT_T0_E_clISt17integral_constantIbLb1EES1T_IbLb0EEEEDaS1P_S1Q_EUlS1P_E_NS1_11comp_targetILNS1_3genE3ELNS1_11target_archE908ELNS1_3gpuE7ELNS1_3repE0EEENS1_30default_config_static_selectorELNS0_4arch9wavefront6targetE0EEEvS12_,comdat
	.globl	_ZN7rocprim17ROCPRIM_400000_NS6detail17trampoline_kernelINS0_13select_configILj256ELj13ELNS0_17block_load_methodE3ELS4_3ELS4_3ELNS0_20block_scan_algorithmE0ELj4294967295EEENS1_25partition_config_selectorILNS1_17partition_subalgoE4EjNS0_10empty_typeEbEEZZNS1_14partition_implILS8_4ELb0ES6_15HIP_vector_typeIjLj2EENS0_17counting_iteratorIjlEEPS9_SG_NS0_5tupleIJPjSI_NS0_16reverse_iteratorISI_EEEEENSH_IJSG_SG_SG_EEES9_SI_JZNS1_25segmented_radix_sort_implINS0_14default_configELb1EPKdPdPKlPlN2at6native12_GLOBAL__N_18offset_tEEE10hipError_tPvRmT1_PNSt15iterator_traitsIS12_E10value_typeET2_T3_PNS13_IS18_E10value_typeET4_jRbjT5_S1E_jjP12ihipStream_tbEUljE_ZNSN_ISO_Lb1ESQ_SR_ST_SU_SY_EESZ_S10_S11_S12_S16_S17_S18_S1B_S1C_jS1D_jS1E_S1E_jjS1G_bEUljE0_EEESZ_S10_S11_S18_S1C_S1E_T6_T7_T9_mT8_S1G_bDpT10_ENKUlT_T0_E_clISt17integral_constantIbLb1EES1T_IbLb0EEEEDaS1P_S1Q_EUlS1P_E_NS1_11comp_targetILNS1_3genE3ELNS1_11target_archE908ELNS1_3gpuE7ELNS1_3repE0EEENS1_30default_config_static_selectorELNS0_4arch9wavefront6targetE0EEEvS12_ ; -- Begin function _ZN7rocprim17ROCPRIM_400000_NS6detail17trampoline_kernelINS0_13select_configILj256ELj13ELNS0_17block_load_methodE3ELS4_3ELS4_3ELNS0_20block_scan_algorithmE0ELj4294967295EEENS1_25partition_config_selectorILNS1_17partition_subalgoE4EjNS0_10empty_typeEbEEZZNS1_14partition_implILS8_4ELb0ES6_15HIP_vector_typeIjLj2EENS0_17counting_iteratorIjlEEPS9_SG_NS0_5tupleIJPjSI_NS0_16reverse_iteratorISI_EEEEENSH_IJSG_SG_SG_EEES9_SI_JZNS1_25segmented_radix_sort_implINS0_14default_configELb1EPKdPdPKlPlN2at6native12_GLOBAL__N_18offset_tEEE10hipError_tPvRmT1_PNSt15iterator_traitsIS12_E10value_typeET2_T3_PNS13_IS18_E10value_typeET4_jRbjT5_S1E_jjP12ihipStream_tbEUljE_ZNSN_ISO_Lb1ESQ_SR_ST_SU_SY_EESZ_S10_S11_S12_S16_S17_S18_S1B_S1C_jS1D_jS1E_S1E_jjS1G_bEUljE0_EEESZ_S10_S11_S18_S1C_S1E_T6_T7_T9_mT8_S1G_bDpT10_ENKUlT_T0_E_clISt17integral_constantIbLb1EES1T_IbLb0EEEEDaS1P_S1Q_EUlS1P_E_NS1_11comp_targetILNS1_3genE3ELNS1_11target_archE908ELNS1_3gpuE7ELNS1_3repE0EEENS1_30default_config_static_selectorELNS0_4arch9wavefront6targetE0EEEvS12_
	.p2align	8
	.type	_ZN7rocprim17ROCPRIM_400000_NS6detail17trampoline_kernelINS0_13select_configILj256ELj13ELNS0_17block_load_methodE3ELS4_3ELS4_3ELNS0_20block_scan_algorithmE0ELj4294967295EEENS1_25partition_config_selectorILNS1_17partition_subalgoE4EjNS0_10empty_typeEbEEZZNS1_14partition_implILS8_4ELb0ES6_15HIP_vector_typeIjLj2EENS0_17counting_iteratorIjlEEPS9_SG_NS0_5tupleIJPjSI_NS0_16reverse_iteratorISI_EEEEENSH_IJSG_SG_SG_EEES9_SI_JZNS1_25segmented_radix_sort_implINS0_14default_configELb1EPKdPdPKlPlN2at6native12_GLOBAL__N_18offset_tEEE10hipError_tPvRmT1_PNSt15iterator_traitsIS12_E10value_typeET2_T3_PNS13_IS18_E10value_typeET4_jRbjT5_S1E_jjP12ihipStream_tbEUljE_ZNSN_ISO_Lb1ESQ_SR_ST_SU_SY_EESZ_S10_S11_S12_S16_S17_S18_S1B_S1C_jS1D_jS1E_S1E_jjS1G_bEUljE0_EEESZ_S10_S11_S18_S1C_S1E_T6_T7_T9_mT8_S1G_bDpT10_ENKUlT_T0_E_clISt17integral_constantIbLb1EES1T_IbLb0EEEEDaS1P_S1Q_EUlS1P_E_NS1_11comp_targetILNS1_3genE3ELNS1_11target_archE908ELNS1_3gpuE7ELNS1_3repE0EEENS1_30default_config_static_selectorELNS0_4arch9wavefront6targetE0EEEvS12_,@function
_ZN7rocprim17ROCPRIM_400000_NS6detail17trampoline_kernelINS0_13select_configILj256ELj13ELNS0_17block_load_methodE3ELS4_3ELS4_3ELNS0_20block_scan_algorithmE0ELj4294967295EEENS1_25partition_config_selectorILNS1_17partition_subalgoE4EjNS0_10empty_typeEbEEZZNS1_14partition_implILS8_4ELb0ES6_15HIP_vector_typeIjLj2EENS0_17counting_iteratorIjlEEPS9_SG_NS0_5tupleIJPjSI_NS0_16reverse_iteratorISI_EEEEENSH_IJSG_SG_SG_EEES9_SI_JZNS1_25segmented_radix_sort_implINS0_14default_configELb1EPKdPdPKlPlN2at6native12_GLOBAL__N_18offset_tEEE10hipError_tPvRmT1_PNSt15iterator_traitsIS12_E10value_typeET2_T3_PNS13_IS18_E10value_typeET4_jRbjT5_S1E_jjP12ihipStream_tbEUljE_ZNSN_ISO_Lb1ESQ_SR_ST_SU_SY_EESZ_S10_S11_S12_S16_S17_S18_S1B_S1C_jS1D_jS1E_S1E_jjS1G_bEUljE0_EEESZ_S10_S11_S18_S1C_S1E_T6_T7_T9_mT8_S1G_bDpT10_ENKUlT_T0_E_clISt17integral_constantIbLb1EES1T_IbLb0EEEEDaS1P_S1Q_EUlS1P_E_NS1_11comp_targetILNS1_3genE3ELNS1_11target_archE908ELNS1_3gpuE7ELNS1_3repE0EEENS1_30default_config_static_selectorELNS0_4arch9wavefront6targetE0EEEvS12_: ; @_ZN7rocprim17ROCPRIM_400000_NS6detail17trampoline_kernelINS0_13select_configILj256ELj13ELNS0_17block_load_methodE3ELS4_3ELS4_3ELNS0_20block_scan_algorithmE0ELj4294967295EEENS1_25partition_config_selectorILNS1_17partition_subalgoE4EjNS0_10empty_typeEbEEZZNS1_14partition_implILS8_4ELb0ES6_15HIP_vector_typeIjLj2EENS0_17counting_iteratorIjlEEPS9_SG_NS0_5tupleIJPjSI_NS0_16reverse_iteratorISI_EEEEENSH_IJSG_SG_SG_EEES9_SI_JZNS1_25segmented_radix_sort_implINS0_14default_configELb1EPKdPdPKlPlN2at6native12_GLOBAL__N_18offset_tEEE10hipError_tPvRmT1_PNSt15iterator_traitsIS12_E10value_typeET2_T3_PNS13_IS18_E10value_typeET4_jRbjT5_S1E_jjP12ihipStream_tbEUljE_ZNSN_ISO_Lb1ESQ_SR_ST_SU_SY_EESZ_S10_S11_S12_S16_S17_S18_S1B_S1C_jS1D_jS1E_S1E_jjS1G_bEUljE0_EEESZ_S10_S11_S18_S1C_S1E_T6_T7_T9_mT8_S1G_bDpT10_ENKUlT_T0_E_clISt17integral_constantIbLb1EES1T_IbLb0EEEEDaS1P_S1Q_EUlS1P_E_NS1_11comp_targetILNS1_3genE3ELNS1_11target_archE908ELNS1_3gpuE7ELNS1_3repE0EEENS1_30default_config_static_selectorELNS0_4arch9wavefront6targetE0EEEvS12_
; %bb.0:
	.section	.rodata,"a",@progbits
	.p2align	6, 0x0
	.amdhsa_kernel _ZN7rocprim17ROCPRIM_400000_NS6detail17trampoline_kernelINS0_13select_configILj256ELj13ELNS0_17block_load_methodE3ELS4_3ELS4_3ELNS0_20block_scan_algorithmE0ELj4294967295EEENS1_25partition_config_selectorILNS1_17partition_subalgoE4EjNS0_10empty_typeEbEEZZNS1_14partition_implILS8_4ELb0ES6_15HIP_vector_typeIjLj2EENS0_17counting_iteratorIjlEEPS9_SG_NS0_5tupleIJPjSI_NS0_16reverse_iteratorISI_EEEEENSH_IJSG_SG_SG_EEES9_SI_JZNS1_25segmented_radix_sort_implINS0_14default_configELb1EPKdPdPKlPlN2at6native12_GLOBAL__N_18offset_tEEE10hipError_tPvRmT1_PNSt15iterator_traitsIS12_E10value_typeET2_T3_PNS13_IS18_E10value_typeET4_jRbjT5_S1E_jjP12ihipStream_tbEUljE_ZNSN_ISO_Lb1ESQ_SR_ST_SU_SY_EESZ_S10_S11_S12_S16_S17_S18_S1B_S1C_jS1D_jS1E_S1E_jjS1G_bEUljE0_EEESZ_S10_S11_S18_S1C_S1E_T6_T7_T9_mT8_S1G_bDpT10_ENKUlT_T0_E_clISt17integral_constantIbLb1EES1T_IbLb0EEEEDaS1P_S1Q_EUlS1P_E_NS1_11comp_targetILNS1_3genE3ELNS1_11target_archE908ELNS1_3gpuE7ELNS1_3repE0EEENS1_30default_config_static_selectorELNS0_4arch9wavefront6targetE0EEEvS12_
		.amdhsa_group_segment_fixed_size 0
		.amdhsa_private_segment_fixed_size 0
		.amdhsa_kernarg_size 176
		.amdhsa_user_sgpr_count 2
		.amdhsa_user_sgpr_dispatch_ptr 0
		.amdhsa_user_sgpr_queue_ptr 0
		.amdhsa_user_sgpr_kernarg_segment_ptr 1
		.amdhsa_user_sgpr_dispatch_id 0
		.amdhsa_user_sgpr_private_segment_size 0
		.amdhsa_wavefront_size32 1
		.amdhsa_uses_dynamic_stack 0
		.amdhsa_enable_private_segment 0
		.amdhsa_system_sgpr_workgroup_id_x 1
		.amdhsa_system_sgpr_workgroup_id_y 0
		.amdhsa_system_sgpr_workgroup_id_z 0
		.amdhsa_system_sgpr_workgroup_info 0
		.amdhsa_system_vgpr_workitem_id 0
		.amdhsa_next_free_vgpr 1
		.amdhsa_next_free_sgpr 1
		.amdhsa_reserve_vcc 0
		.amdhsa_float_round_mode_32 0
		.amdhsa_float_round_mode_16_64 0
		.amdhsa_float_denorm_mode_32 3
		.amdhsa_float_denorm_mode_16_64 3
		.amdhsa_fp16_overflow 0
		.amdhsa_workgroup_processor_mode 1
		.amdhsa_memory_ordered 1
		.amdhsa_forward_progress 1
		.amdhsa_inst_pref_size 0
		.amdhsa_round_robin_scheduling 0
		.amdhsa_exception_fp_ieee_invalid_op 0
		.amdhsa_exception_fp_denorm_src 0
		.amdhsa_exception_fp_ieee_div_zero 0
		.amdhsa_exception_fp_ieee_overflow 0
		.amdhsa_exception_fp_ieee_underflow 0
		.amdhsa_exception_fp_ieee_inexact 0
		.amdhsa_exception_int_div_zero 0
	.end_amdhsa_kernel
	.section	.text._ZN7rocprim17ROCPRIM_400000_NS6detail17trampoline_kernelINS0_13select_configILj256ELj13ELNS0_17block_load_methodE3ELS4_3ELS4_3ELNS0_20block_scan_algorithmE0ELj4294967295EEENS1_25partition_config_selectorILNS1_17partition_subalgoE4EjNS0_10empty_typeEbEEZZNS1_14partition_implILS8_4ELb0ES6_15HIP_vector_typeIjLj2EENS0_17counting_iteratorIjlEEPS9_SG_NS0_5tupleIJPjSI_NS0_16reverse_iteratorISI_EEEEENSH_IJSG_SG_SG_EEES9_SI_JZNS1_25segmented_radix_sort_implINS0_14default_configELb1EPKdPdPKlPlN2at6native12_GLOBAL__N_18offset_tEEE10hipError_tPvRmT1_PNSt15iterator_traitsIS12_E10value_typeET2_T3_PNS13_IS18_E10value_typeET4_jRbjT5_S1E_jjP12ihipStream_tbEUljE_ZNSN_ISO_Lb1ESQ_SR_ST_SU_SY_EESZ_S10_S11_S12_S16_S17_S18_S1B_S1C_jS1D_jS1E_S1E_jjS1G_bEUljE0_EEESZ_S10_S11_S18_S1C_S1E_T6_T7_T9_mT8_S1G_bDpT10_ENKUlT_T0_E_clISt17integral_constantIbLb1EES1T_IbLb0EEEEDaS1P_S1Q_EUlS1P_E_NS1_11comp_targetILNS1_3genE3ELNS1_11target_archE908ELNS1_3gpuE7ELNS1_3repE0EEENS1_30default_config_static_selectorELNS0_4arch9wavefront6targetE0EEEvS12_,"axG",@progbits,_ZN7rocprim17ROCPRIM_400000_NS6detail17trampoline_kernelINS0_13select_configILj256ELj13ELNS0_17block_load_methodE3ELS4_3ELS4_3ELNS0_20block_scan_algorithmE0ELj4294967295EEENS1_25partition_config_selectorILNS1_17partition_subalgoE4EjNS0_10empty_typeEbEEZZNS1_14partition_implILS8_4ELb0ES6_15HIP_vector_typeIjLj2EENS0_17counting_iteratorIjlEEPS9_SG_NS0_5tupleIJPjSI_NS0_16reverse_iteratorISI_EEEEENSH_IJSG_SG_SG_EEES9_SI_JZNS1_25segmented_radix_sort_implINS0_14default_configELb1EPKdPdPKlPlN2at6native12_GLOBAL__N_18offset_tEEE10hipError_tPvRmT1_PNSt15iterator_traitsIS12_E10value_typeET2_T3_PNS13_IS18_E10value_typeET4_jRbjT5_S1E_jjP12ihipStream_tbEUljE_ZNSN_ISO_Lb1ESQ_SR_ST_SU_SY_EESZ_S10_S11_S12_S16_S17_S18_S1B_S1C_jS1D_jS1E_S1E_jjS1G_bEUljE0_EEESZ_S10_S11_S18_S1C_S1E_T6_T7_T9_mT8_S1G_bDpT10_ENKUlT_T0_E_clISt17integral_constantIbLb1EES1T_IbLb0EEEEDaS1P_S1Q_EUlS1P_E_NS1_11comp_targetILNS1_3genE3ELNS1_11target_archE908ELNS1_3gpuE7ELNS1_3repE0EEENS1_30default_config_static_selectorELNS0_4arch9wavefront6targetE0EEEvS12_,comdat
.Lfunc_end1073:
	.size	_ZN7rocprim17ROCPRIM_400000_NS6detail17trampoline_kernelINS0_13select_configILj256ELj13ELNS0_17block_load_methodE3ELS4_3ELS4_3ELNS0_20block_scan_algorithmE0ELj4294967295EEENS1_25partition_config_selectorILNS1_17partition_subalgoE4EjNS0_10empty_typeEbEEZZNS1_14partition_implILS8_4ELb0ES6_15HIP_vector_typeIjLj2EENS0_17counting_iteratorIjlEEPS9_SG_NS0_5tupleIJPjSI_NS0_16reverse_iteratorISI_EEEEENSH_IJSG_SG_SG_EEES9_SI_JZNS1_25segmented_radix_sort_implINS0_14default_configELb1EPKdPdPKlPlN2at6native12_GLOBAL__N_18offset_tEEE10hipError_tPvRmT1_PNSt15iterator_traitsIS12_E10value_typeET2_T3_PNS13_IS18_E10value_typeET4_jRbjT5_S1E_jjP12ihipStream_tbEUljE_ZNSN_ISO_Lb1ESQ_SR_ST_SU_SY_EESZ_S10_S11_S12_S16_S17_S18_S1B_S1C_jS1D_jS1E_S1E_jjS1G_bEUljE0_EEESZ_S10_S11_S18_S1C_S1E_T6_T7_T9_mT8_S1G_bDpT10_ENKUlT_T0_E_clISt17integral_constantIbLb1EES1T_IbLb0EEEEDaS1P_S1Q_EUlS1P_E_NS1_11comp_targetILNS1_3genE3ELNS1_11target_archE908ELNS1_3gpuE7ELNS1_3repE0EEENS1_30default_config_static_selectorELNS0_4arch9wavefront6targetE0EEEvS12_, .Lfunc_end1073-_ZN7rocprim17ROCPRIM_400000_NS6detail17trampoline_kernelINS0_13select_configILj256ELj13ELNS0_17block_load_methodE3ELS4_3ELS4_3ELNS0_20block_scan_algorithmE0ELj4294967295EEENS1_25partition_config_selectorILNS1_17partition_subalgoE4EjNS0_10empty_typeEbEEZZNS1_14partition_implILS8_4ELb0ES6_15HIP_vector_typeIjLj2EENS0_17counting_iteratorIjlEEPS9_SG_NS0_5tupleIJPjSI_NS0_16reverse_iteratorISI_EEEEENSH_IJSG_SG_SG_EEES9_SI_JZNS1_25segmented_radix_sort_implINS0_14default_configELb1EPKdPdPKlPlN2at6native12_GLOBAL__N_18offset_tEEE10hipError_tPvRmT1_PNSt15iterator_traitsIS12_E10value_typeET2_T3_PNS13_IS18_E10value_typeET4_jRbjT5_S1E_jjP12ihipStream_tbEUljE_ZNSN_ISO_Lb1ESQ_SR_ST_SU_SY_EESZ_S10_S11_S12_S16_S17_S18_S1B_S1C_jS1D_jS1E_S1E_jjS1G_bEUljE0_EEESZ_S10_S11_S18_S1C_S1E_T6_T7_T9_mT8_S1G_bDpT10_ENKUlT_T0_E_clISt17integral_constantIbLb1EES1T_IbLb0EEEEDaS1P_S1Q_EUlS1P_E_NS1_11comp_targetILNS1_3genE3ELNS1_11target_archE908ELNS1_3gpuE7ELNS1_3repE0EEENS1_30default_config_static_selectorELNS0_4arch9wavefront6targetE0EEEvS12_
                                        ; -- End function
	.set _ZN7rocprim17ROCPRIM_400000_NS6detail17trampoline_kernelINS0_13select_configILj256ELj13ELNS0_17block_load_methodE3ELS4_3ELS4_3ELNS0_20block_scan_algorithmE0ELj4294967295EEENS1_25partition_config_selectorILNS1_17partition_subalgoE4EjNS0_10empty_typeEbEEZZNS1_14partition_implILS8_4ELb0ES6_15HIP_vector_typeIjLj2EENS0_17counting_iteratorIjlEEPS9_SG_NS0_5tupleIJPjSI_NS0_16reverse_iteratorISI_EEEEENSH_IJSG_SG_SG_EEES9_SI_JZNS1_25segmented_radix_sort_implINS0_14default_configELb1EPKdPdPKlPlN2at6native12_GLOBAL__N_18offset_tEEE10hipError_tPvRmT1_PNSt15iterator_traitsIS12_E10value_typeET2_T3_PNS13_IS18_E10value_typeET4_jRbjT5_S1E_jjP12ihipStream_tbEUljE_ZNSN_ISO_Lb1ESQ_SR_ST_SU_SY_EESZ_S10_S11_S12_S16_S17_S18_S1B_S1C_jS1D_jS1E_S1E_jjS1G_bEUljE0_EEESZ_S10_S11_S18_S1C_S1E_T6_T7_T9_mT8_S1G_bDpT10_ENKUlT_T0_E_clISt17integral_constantIbLb1EES1T_IbLb0EEEEDaS1P_S1Q_EUlS1P_E_NS1_11comp_targetILNS1_3genE3ELNS1_11target_archE908ELNS1_3gpuE7ELNS1_3repE0EEENS1_30default_config_static_selectorELNS0_4arch9wavefront6targetE0EEEvS12_.num_vgpr, 0
	.set _ZN7rocprim17ROCPRIM_400000_NS6detail17trampoline_kernelINS0_13select_configILj256ELj13ELNS0_17block_load_methodE3ELS4_3ELS4_3ELNS0_20block_scan_algorithmE0ELj4294967295EEENS1_25partition_config_selectorILNS1_17partition_subalgoE4EjNS0_10empty_typeEbEEZZNS1_14partition_implILS8_4ELb0ES6_15HIP_vector_typeIjLj2EENS0_17counting_iteratorIjlEEPS9_SG_NS0_5tupleIJPjSI_NS0_16reverse_iteratorISI_EEEEENSH_IJSG_SG_SG_EEES9_SI_JZNS1_25segmented_radix_sort_implINS0_14default_configELb1EPKdPdPKlPlN2at6native12_GLOBAL__N_18offset_tEEE10hipError_tPvRmT1_PNSt15iterator_traitsIS12_E10value_typeET2_T3_PNS13_IS18_E10value_typeET4_jRbjT5_S1E_jjP12ihipStream_tbEUljE_ZNSN_ISO_Lb1ESQ_SR_ST_SU_SY_EESZ_S10_S11_S12_S16_S17_S18_S1B_S1C_jS1D_jS1E_S1E_jjS1G_bEUljE0_EEESZ_S10_S11_S18_S1C_S1E_T6_T7_T9_mT8_S1G_bDpT10_ENKUlT_T0_E_clISt17integral_constantIbLb1EES1T_IbLb0EEEEDaS1P_S1Q_EUlS1P_E_NS1_11comp_targetILNS1_3genE3ELNS1_11target_archE908ELNS1_3gpuE7ELNS1_3repE0EEENS1_30default_config_static_selectorELNS0_4arch9wavefront6targetE0EEEvS12_.num_agpr, 0
	.set _ZN7rocprim17ROCPRIM_400000_NS6detail17trampoline_kernelINS0_13select_configILj256ELj13ELNS0_17block_load_methodE3ELS4_3ELS4_3ELNS0_20block_scan_algorithmE0ELj4294967295EEENS1_25partition_config_selectorILNS1_17partition_subalgoE4EjNS0_10empty_typeEbEEZZNS1_14partition_implILS8_4ELb0ES6_15HIP_vector_typeIjLj2EENS0_17counting_iteratorIjlEEPS9_SG_NS0_5tupleIJPjSI_NS0_16reverse_iteratorISI_EEEEENSH_IJSG_SG_SG_EEES9_SI_JZNS1_25segmented_radix_sort_implINS0_14default_configELb1EPKdPdPKlPlN2at6native12_GLOBAL__N_18offset_tEEE10hipError_tPvRmT1_PNSt15iterator_traitsIS12_E10value_typeET2_T3_PNS13_IS18_E10value_typeET4_jRbjT5_S1E_jjP12ihipStream_tbEUljE_ZNSN_ISO_Lb1ESQ_SR_ST_SU_SY_EESZ_S10_S11_S12_S16_S17_S18_S1B_S1C_jS1D_jS1E_S1E_jjS1G_bEUljE0_EEESZ_S10_S11_S18_S1C_S1E_T6_T7_T9_mT8_S1G_bDpT10_ENKUlT_T0_E_clISt17integral_constantIbLb1EES1T_IbLb0EEEEDaS1P_S1Q_EUlS1P_E_NS1_11comp_targetILNS1_3genE3ELNS1_11target_archE908ELNS1_3gpuE7ELNS1_3repE0EEENS1_30default_config_static_selectorELNS0_4arch9wavefront6targetE0EEEvS12_.numbered_sgpr, 0
	.set _ZN7rocprim17ROCPRIM_400000_NS6detail17trampoline_kernelINS0_13select_configILj256ELj13ELNS0_17block_load_methodE3ELS4_3ELS4_3ELNS0_20block_scan_algorithmE0ELj4294967295EEENS1_25partition_config_selectorILNS1_17partition_subalgoE4EjNS0_10empty_typeEbEEZZNS1_14partition_implILS8_4ELb0ES6_15HIP_vector_typeIjLj2EENS0_17counting_iteratorIjlEEPS9_SG_NS0_5tupleIJPjSI_NS0_16reverse_iteratorISI_EEEEENSH_IJSG_SG_SG_EEES9_SI_JZNS1_25segmented_radix_sort_implINS0_14default_configELb1EPKdPdPKlPlN2at6native12_GLOBAL__N_18offset_tEEE10hipError_tPvRmT1_PNSt15iterator_traitsIS12_E10value_typeET2_T3_PNS13_IS18_E10value_typeET4_jRbjT5_S1E_jjP12ihipStream_tbEUljE_ZNSN_ISO_Lb1ESQ_SR_ST_SU_SY_EESZ_S10_S11_S12_S16_S17_S18_S1B_S1C_jS1D_jS1E_S1E_jjS1G_bEUljE0_EEESZ_S10_S11_S18_S1C_S1E_T6_T7_T9_mT8_S1G_bDpT10_ENKUlT_T0_E_clISt17integral_constantIbLb1EES1T_IbLb0EEEEDaS1P_S1Q_EUlS1P_E_NS1_11comp_targetILNS1_3genE3ELNS1_11target_archE908ELNS1_3gpuE7ELNS1_3repE0EEENS1_30default_config_static_selectorELNS0_4arch9wavefront6targetE0EEEvS12_.num_named_barrier, 0
	.set _ZN7rocprim17ROCPRIM_400000_NS6detail17trampoline_kernelINS0_13select_configILj256ELj13ELNS0_17block_load_methodE3ELS4_3ELS4_3ELNS0_20block_scan_algorithmE0ELj4294967295EEENS1_25partition_config_selectorILNS1_17partition_subalgoE4EjNS0_10empty_typeEbEEZZNS1_14partition_implILS8_4ELb0ES6_15HIP_vector_typeIjLj2EENS0_17counting_iteratorIjlEEPS9_SG_NS0_5tupleIJPjSI_NS0_16reverse_iteratorISI_EEEEENSH_IJSG_SG_SG_EEES9_SI_JZNS1_25segmented_radix_sort_implINS0_14default_configELb1EPKdPdPKlPlN2at6native12_GLOBAL__N_18offset_tEEE10hipError_tPvRmT1_PNSt15iterator_traitsIS12_E10value_typeET2_T3_PNS13_IS18_E10value_typeET4_jRbjT5_S1E_jjP12ihipStream_tbEUljE_ZNSN_ISO_Lb1ESQ_SR_ST_SU_SY_EESZ_S10_S11_S12_S16_S17_S18_S1B_S1C_jS1D_jS1E_S1E_jjS1G_bEUljE0_EEESZ_S10_S11_S18_S1C_S1E_T6_T7_T9_mT8_S1G_bDpT10_ENKUlT_T0_E_clISt17integral_constantIbLb1EES1T_IbLb0EEEEDaS1P_S1Q_EUlS1P_E_NS1_11comp_targetILNS1_3genE3ELNS1_11target_archE908ELNS1_3gpuE7ELNS1_3repE0EEENS1_30default_config_static_selectorELNS0_4arch9wavefront6targetE0EEEvS12_.private_seg_size, 0
	.set _ZN7rocprim17ROCPRIM_400000_NS6detail17trampoline_kernelINS0_13select_configILj256ELj13ELNS0_17block_load_methodE3ELS4_3ELS4_3ELNS0_20block_scan_algorithmE0ELj4294967295EEENS1_25partition_config_selectorILNS1_17partition_subalgoE4EjNS0_10empty_typeEbEEZZNS1_14partition_implILS8_4ELb0ES6_15HIP_vector_typeIjLj2EENS0_17counting_iteratorIjlEEPS9_SG_NS0_5tupleIJPjSI_NS0_16reverse_iteratorISI_EEEEENSH_IJSG_SG_SG_EEES9_SI_JZNS1_25segmented_radix_sort_implINS0_14default_configELb1EPKdPdPKlPlN2at6native12_GLOBAL__N_18offset_tEEE10hipError_tPvRmT1_PNSt15iterator_traitsIS12_E10value_typeET2_T3_PNS13_IS18_E10value_typeET4_jRbjT5_S1E_jjP12ihipStream_tbEUljE_ZNSN_ISO_Lb1ESQ_SR_ST_SU_SY_EESZ_S10_S11_S12_S16_S17_S18_S1B_S1C_jS1D_jS1E_S1E_jjS1G_bEUljE0_EEESZ_S10_S11_S18_S1C_S1E_T6_T7_T9_mT8_S1G_bDpT10_ENKUlT_T0_E_clISt17integral_constantIbLb1EES1T_IbLb0EEEEDaS1P_S1Q_EUlS1P_E_NS1_11comp_targetILNS1_3genE3ELNS1_11target_archE908ELNS1_3gpuE7ELNS1_3repE0EEENS1_30default_config_static_selectorELNS0_4arch9wavefront6targetE0EEEvS12_.uses_vcc, 0
	.set _ZN7rocprim17ROCPRIM_400000_NS6detail17trampoline_kernelINS0_13select_configILj256ELj13ELNS0_17block_load_methodE3ELS4_3ELS4_3ELNS0_20block_scan_algorithmE0ELj4294967295EEENS1_25partition_config_selectorILNS1_17partition_subalgoE4EjNS0_10empty_typeEbEEZZNS1_14partition_implILS8_4ELb0ES6_15HIP_vector_typeIjLj2EENS0_17counting_iteratorIjlEEPS9_SG_NS0_5tupleIJPjSI_NS0_16reverse_iteratorISI_EEEEENSH_IJSG_SG_SG_EEES9_SI_JZNS1_25segmented_radix_sort_implINS0_14default_configELb1EPKdPdPKlPlN2at6native12_GLOBAL__N_18offset_tEEE10hipError_tPvRmT1_PNSt15iterator_traitsIS12_E10value_typeET2_T3_PNS13_IS18_E10value_typeET4_jRbjT5_S1E_jjP12ihipStream_tbEUljE_ZNSN_ISO_Lb1ESQ_SR_ST_SU_SY_EESZ_S10_S11_S12_S16_S17_S18_S1B_S1C_jS1D_jS1E_S1E_jjS1G_bEUljE0_EEESZ_S10_S11_S18_S1C_S1E_T6_T7_T9_mT8_S1G_bDpT10_ENKUlT_T0_E_clISt17integral_constantIbLb1EES1T_IbLb0EEEEDaS1P_S1Q_EUlS1P_E_NS1_11comp_targetILNS1_3genE3ELNS1_11target_archE908ELNS1_3gpuE7ELNS1_3repE0EEENS1_30default_config_static_selectorELNS0_4arch9wavefront6targetE0EEEvS12_.uses_flat_scratch, 0
	.set _ZN7rocprim17ROCPRIM_400000_NS6detail17trampoline_kernelINS0_13select_configILj256ELj13ELNS0_17block_load_methodE3ELS4_3ELS4_3ELNS0_20block_scan_algorithmE0ELj4294967295EEENS1_25partition_config_selectorILNS1_17partition_subalgoE4EjNS0_10empty_typeEbEEZZNS1_14partition_implILS8_4ELb0ES6_15HIP_vector_typeIjLj2EENS0_17counting_iteratorIjlEEPS9_SG_NS0_5tupleIJPjSI_NS0_16reverse_iteratorISI_EEEEENSH_IJSG_SG_SG_EEES9_SI_JZNS1_25segmented_radix_sort_implINS0_14default_configELb1EPKdPdPKlPlN2at6native12_GLOBAL__N_18offset_tEEE10hipError_tPvRmT1_PNSt15iterator_traitsIS12_E10value_typeET2_T3_PNS13_IS18_E10value_typeET4_jRbjT5_S1E_jjP12ihipStream_tbEUljE_ZNSN_ISO_Lb1ESQ_SR_ST_SU_SY_EESZ_S10_S11_S12_S16_S17_S18_S1B_S1C_jS1D_jS1E_S1E_jjS1G_bEUljE0_EEESZ_S10_S11_S18_S1C_S1E_T6_T7_T9_mT8_S1G_bDpT10_ENKUlT_T0_E_clISt17integral_constantIbLb1EES1T_IbLb0EEEEDaS1P_S1Q_EUlS1P_E_NS1_11comp_targetILNS1_3genE3ELNS1_11target_archE908ELNS1_3gpuE7ELNS1_3repE0EEENS1_30default_config_static_selectorELNS0_4arch9wavefront6targetE0EEEvS12_.has_dyn_sized_stack, 0
	.set _ZN7rocprim17ROCPRIM_400000_NS6detail17trampoline_kernelINS0_13select_configILj256ELj13ELNS0_17block_load_methodE3ELS4_3ELS4_3ELNS0_20block_scan_algorithmE0ELj4294967295EEENS1_25partition_config_selectorILNS1_17partition_subalgoE4EjNS0_10empty_typeEbEEZZNS1_14partition_implILS8_4ELb0ES6_15HIP_vector_typeIjLj2EENS0_17counting_iteratorIjlEEPS9_SG_NS0_5tupleIJPjSI_NS0_16reverse_iteratorISI_EEEEENSH_IJSG_SG_SG_EEES9_SI_JZNS1_25segmented_radix_sort_implINS0_14default_configELb1EPKdPdPKlPlN2at6native12_GLOBAL__N_18offset_tEEE10hipError_tPvRmT1_PNSt15iterator_traitsIS12_E10value_typeET2_T3_PNS13_IS18_E10value_typeET4_jRbjT5_S1E_jjP12ihipStream_tbEUljE_ZNSN_ISO_Lb1ESQ_SR_ST_SU_SY_EESZ_S10_S11_S12_S16_S17_S18_S1B_S1C_jS1D_jS1E_S1E_jjS1G_bEUljE0_EEESZ_S10_S11_S18_S1C_S1E_T6_T7_T9_mT8_S1G_bDpT10_ENKUlT_T0_E_clISt17integral_constantIbLb1EES1T_IbLb0EEEEDaS1P_S1Q_EUlS1P_E_NS1_11comp_targetILNS1_3genE3ELNS1_11target_archE908ELNS1_3gpuE7ELNS1_3repE0EEENS1_30default_config_static_selectorELNS0_4arch9wavefront6targetE0EEEvS12_.has_recursion, 0
	.set _ZN7rocprim17ROCPRIM_400000_NS6detail17trampoline_kernelINS0_13select_configILj256ELj13ELNS0_17block_load_methodE3ELS4_3ELS4_3ELNS0_20block_scan_algorithmE0ELj4294967295EEENS1_25partition_config_selectorILNS1_17partition_subalgoE4EjNS0_10empty_typeEbEEZZNS1_14partition_implILS8_4ELb0ES6_15HIP_vector_typeIjLj2EENS0_17counting_iteratorIjlEEPS9_SG_NS0_5tupleIJPjSI_NS0_16reverse_iteratorISI_EEEEENSH_IJSG_SG_SG_EEES9_SI_JZNS1_25segmented_radix_sort_implINS0_14default_configELb1EPKdPdPKlPlN2at6native12_GLOBAL__N_18offset_tEEE10hipError_tPvRmT1_PNSt15iterator_traitsIS12_E10value_typeET2_T3_PNS13_IS18_E10value_typeET4_jRbjT5_S1E_jjP12ihipStream_tbEUljE_ZNSN_ISO_Lb1ESQ_SR_ST_SU_SY_EESZ_S10_S11_S12_S16_S17_S18_S1B_S1C_jS1D_jS1E_S1E_jjS1G_bEUljE0_EEESZ_S10_S11_S18_S1C_S1E_T6_T7_T9_mT8_S1G_bDpT10_ENKUlT_T0_E_clISt17integral_constantIbLb1EES1T_IbLb0EEEEDaS1P_S1Q_EUlS1P_E_NS1_11comp_targetILNS1_3genE3ELNS1_11target_archE908ELNS1_3gpuE7ELNS1_3repE0EEENS1_30default_config_static_selectorELNS0_4arch9wavefront6targetE0EEEvS12_.has_indirect_call, 0
	.section	.AMDGPU.csdata,"",@progbits
; Kernel info:
; codeLenInByte = 0
; TotalNumSgprs: 0
; NumVgprs: 0
; ScratchSize: 0
; MemoryBound: 0
; FloatMode: 240
; IeeeMode: 1
; LDSByteSize: 0 bytes/workgroup (compile time only)
; SGPRBlocks: 0
; VGPRBlocks: 0
; NumSGPRsForWavesPerEU: 1
; NumVGPRsForWavesPerEU: 1
; Occupancy: 16
; WaveLimiterHint : 0
; COMPUTE_PGM_RSRC2:SCRATCH_EN: 0
; COMPUTE_PGM_RSRC2:USER_SGPR: 2
; COMPUTE_PGM_RSRC2:TRAP_HANDLER: 0
; COMPUTE_PGM_RSRC2:TGID_X_EN: 1
; COMPUTE_PGM_RSRC2:TGID_Y_EN: 0
; COMPUTE_PGM_RSRC2:TGID_Z_EN: 0
; COMPUTE_PGM_RSRC2:TIDIG_COMP_CNT: 0
	.section	.text._ZN7rocprim17ROCPRIM_400000_NS6detail17trampoline_kernelINS0_13select_configILj256ELj13ELNS0_17block_load_methodE3ELS4_3ELS4_3ELNS0_20block_scan_algorithmE0ELj4294967295EEENS1_25partition_config_selectorILNS1_17partition_subalgoE4EjNS0_10empty_typeEbEEZZNS1_14partition_implILS8_4ELb0ES6_15HIP_vector_typeIjLj2EENS0_17counting_iteratorIjlEEPS9_SG_NS0_5tupleIJPjSI_NS0_16reverse_iteratorISI_EEEEENSH_IJSG_SG_SG_EEES9_SI_JZNS1_25segmented_radix_sort_implINS0_14default_configELb1EPKdPdPKlPlN2at6native12_GLOBAL__N_18offset_tEEE10hipError_tPvRmT1_PNSt15iterator_traitsIS12_E10value_typeET2_T3_PNS13_IS18_E10value_typeET4_jRbjT5_S1E_jjP12ihipStream_tbEUljE_ZNSN_ISO_Lb1ESQ_SR_ST_SU_SY_EESZ_S10_S11_S12_S16_S17_S18_S1B_S1C_jS1D_jS1E_S1E_jjS1G_bEUljE0_EEESZ_S10_S11_S18_S1C_S1E_T6_T7_T9_mT8_S1G_bDpT10_ENKUlT_T0_E_clISt17integral_constantIbLb1EES1T_IbLb0EEEEDaS1P_S1Q_EUlS1P_E_NS1_11comp_targetILNS1_3genE2ELNS1_11target_archE906ELNS1_3gpuE6ELNS1_3repE0EEENS1_30default_config_static_selectorELNS0_4arch9wavefront6targetE0EEEvS12_,"axG",@progbits,_ZN7rocprim17ROCPRIM_400000_NS6detail17trampoline_kernelINS0_13select_configILj256ELj13ELNS0_17block_load_methodE3ELS4_3ELS4_3ELNS0_20block_scan_algorithmE0ELj4294967295EEENS1_25partition_config_selectorILNS1_17partition_subalgoE4EjNS0_10empty_typeEbEEZZNS1_14partition_implILS8_4ELb0ES6_15HIP_vector_typeIjLj2EENS0_17counting_iteratorIjlEEPS9_SG_NS0_5tupleIJPjSI_NS0_16reverse_iteratorISI_EEEEENSH_IJSG_SG_SG_EEES9_SI_JZNS1_25segmented_radix_sort_implINS0_14default_configELb1EPKdPdPKlPlN2at6native12_GLOBAL__N_18offset_tEEE10hipError_tPvRmT1_PNSt15iterator_traitsIS12_E10value_typeET2_T3_PNS13_IS18_E10value_typeET4_jRbjT5_S1E_jjP12ihipStream_tbEUljE_ZNSN_ISO_Lb1ESQ_SR_ST_SU_SY_EESZ_S10_S11_S12_S16_S17_S18_S1B_S1C_jS1D_jS1E_S1E_jjS1G_bEUljE0_EEESZ_S10_S11_S18_S1C_S1E_T6_T7_T9_mT8_S1G_bDpT10_ENKUlT_T0_E_clISt17integral_constantIbLb1EES1T_IbLb0EEEEDaS1P_S1Q_EUlS1P_E_NS1_11comp_targetILNS1_3genE2ELNS1_11target_archE906ELNS1_3gpuE6ELNS1_3repE0EEENS1_30default_config_static_selectorELNS0_4arch9wavefront6targetE0EEEvS12_,comdat
	.globl	_ZN7rocprim17ROCPRIM_400000_NS6detail17trampoline_kernelINS0_13select_configILj256ELj13ELNS0_17block_load_methodE3ELS4_3ELS4_3ELNS0_20block_scan_algorithmE0ELj4294967295EEENS1_25partition_config_selectorILNS1_17partition_subalgoE4EjNS0_10empty_typeEbEEZZNS1_14partition_implILS8_4ELb0ES6_15HIP_vector_typeIjLj2EENS0_17counting_iteratorIjlEEPS9_SG_NS0_5tupleIJPjSI_NS0_16reverse_iteratorISI_EEEEENSH_IJSG_SG_SG_EEES9_SI_JZNS1_25segmented_radix_sort_implINS0_14default_configELb1EPKdPdPKlPlN2at6native12_GLOBAL__N_18offset_tEEE10hipError_tPvRmT1_PNSt15iterator_traitsIS12_E10value_typeET2_T3_PNS13_IS18_E10value_typeET4_jRbjT5_S1E_jjP12ihipStream_tbEUljE_ZNSN_ISO_Lb1ESQ_SR_ST_SU_SY_EESZ_S10_S11_S12_S16_S17_S18_S1B_S1C_jS1D_jS1E_S1E_jjS1G_bEUljE0_EEESZ_S10_S11_S18_S1C_S1E_T6_T7_T9_mT8_S1G_bDpT10_ENKUlT_T0_E_clISt17integral_constantIbLb1EES1T_IbLb0EEEEDaS1P_S1Q_EUlS1P_E_NS1_11comp_targetILNS1_3genE2ELNS1_11target_archE906ELNS1_3gpuE6ELNS1_3repE0EEENS1_30default_config_static_selectorELNS0_4arch9wavefront6targetE0EEEvS12_ ; -- Begin function _ZN7rocprim17ROCPRIM_400000_NS6detail17trampoline_kernelINS0_13select_configILj256ELj13ELNS0_17block_load_methodE3ELS4_3ELS4_3ELNS0_20block_scan_algorithmE0ELj4294967295EEENS1_25partition_config_selectorILNS1_17partition_subalgoE4EjNS0_10empty_typeEbEEZZNS1_14partition_implILS8_4ELb0ES6_15HIP_vector_typeIjLj2EENS0_17counting_iteratorIjlEEPS9_SG_NS0_5tupleIJPjSI_NS0_16reverse_iteratorISI_EEEEENSH_IJSG_SG_SG_EEES9_SI_JZNS1_25segmented_radix_sort_implINS0_14default_configELb1EPKdPdPKlPlN2at6native12_GLOBAL__N_18offset_tEEE10hipError_tPvRmT1_PNSt15iterator_traitsIS12_E10value_typeET2_T3_PNS13_IS18_E10value_typeET4_jRbjT5_S1E_jjP12ihipStream_tbEUljE_ZNSN_ISO_Lb1ESQ_SR_ST_SU_SY_EESZ_S10_S11_S12_S16_S17_S18_S1B_S1C_jS1D_jS1E_S1E_jjS1G_bEUljE0_EEESZ_S10_S11_S18_S1C_S1E_T6_T7_T9_mT8_S1G_bDpT10_ENKUlT_T0_E_clISt17integral_constantIbLb1EES1T_IbLb0EEEEDaS1P_S1Q_EUlS1P_E_NS1_11comp_targetILNS1_3genE2ELNS1_11target_archE906ELNS1_3gpuE6ELNS1_3repE0EEENS1_30default_config_static_selectorELNS0_4arch9wavefront6targetE0EEEvS12_
	.p2align	8
	.type	_ZN7rocprim17ROCPRIM_400000_NS6detail17trampoline_kernelINS0_13select_configILj256ELj13ELNS0_17block_load_methodE3ELS4_3ELS4_3ELNS0_20block_scan_algorithmE0ELj4294967295EEENS1_25partition_config_selectorILNS1_17partition_subalgoE4EjNS0_10empty_typeEbEEZZNS1_14partition_implILS8_4ELb0ES6_15HIP_vector_typeIjLj2EENS0_17counting_iteratorIjlEEPS9_SG_NS0_5tupleIJPjSI_NS0_16reverse_iteratorISI_EEEEENSH_IJSG_SG_SG_EEES9_SI_JZNS1_25segmented_radix_sort_implINS0_14default_configELb1EPKdPdPKlPlN2at6native12_GLOBAL__N_18offset_tEEE10hipError_tPvRmT1_PNSt15iterator_traitsIS12_E10value_typeET2_T3_PNS13_IS18_E10value_typeET4_jRbjT5_S1E_jjP12ihipStream_tbEUljE_ZNSN_ISO_Lb1ESQ_SR_ST_SU_SY_EESZ_S10_S11_S12_S16_S17_S18_S1B_S1C_jS1D_jS1E_S1E_jjS1G_bEUljE0_EEESZ_S10_S11_S18_S1C_S1E_T6_T7_T9_mT8_S1G_bDpT10_ENKUlT_T0_E_clISt17integral_constantIbLb1EES1T_IbLb0EEEEDaS1P_S1Q_EUlS1P_E_NS1_11comp_targetILNS1_3genE2ELNS1_11target_archE906ELNS1_3gpuE6ELNS1_3repE0EEENS1_30default_config_static_selectorELNS0_4arch9wavefront6targetE0EEEvS12_,@function
_ZN7rocprim17ROCPRIM_400000_NS6detail17trampoline_kernelINS0_13select_configILj256ELj13ELNS0_17block_load_methodE3ELS4_3ELS4_3ELNS0_20block_scan_algorithmE0ELj4294967295EEENS1_25partition_config_selectorILNS1_17partition_subalgoE4EjNS0_10empty_typeEbEEZZNS1_14partition_implILS8_4ELb0ES6_15HIP_vector_typeIjLj2EENS0_17counting_iteratorIjlEEPS9_SG_NS0_5tupleIJPjSI_NS0_16reverse_iteratorISI_EEEEENSH_IJSG_SG_SG_EEES9_SI_JZNS1_25segmented_radix_sort_implINS0_14default_configELb1EPKdPdPKlPlN2at6native12_GLOBAL__N_18offset_tEEE10hipError_tPvRmT1_PNSt15iterator_traitsIS12_E10value_typeET2_T3_PNS13_IS18_E10value_typeET4_jRbjT5_S1E_jjP12ihipStream_tbEUljE_ZNSN_ISO_Lb1ESQ_SR_ST_SU_SY_EESZ_S10_S11_S12_S16_S17_S18_S1B_S1C_jS1D_jS1E_S1E_jjS1G_bEUljE0_EEESZ_S10_S11_S18_S1C_S1E_T6_T7_T9_mT8_S1G_bDpT10_ENKUlT_T0_E_clISt17integral_constantIbLb1EES1T_IbLb0EEEEDaS1P_S1Q_EUlS1P_E_NS1_11comp_targetILNS1_3genE2ELNS1_11target_archE906ELNS1_3gpuE6ELNS1_3repE0EEENS1_30default_config_static_selectorELNS0_4arch9wavefront6targetE0EEEvS12_: ; @_ZN7rocprim17ROCPRIM_400000_NS6detail17trampoline_kernelINS0_13select_configILj256ELj13ELNS0_17block_load_methodE3ELS4_3ELS4_3ELNS0_20block_scan_algorithmE0ELj4294967295EEENS1_25partition_config_selectorILNS1_17partition_subalgoE4EjNS0_10empty_typeEbEEZZNS1_14partition_implILS8_4ELb0ES6_15HIP_vector_typeIjLj2EENS0_17counting_iteratorIjlEEPS9_SG_NS0_5tupleIJPjSI_NS0_16reverse_iteratorISI_EEEEENSH_IJSG_SG_SG_EEES9_SI_JZNS1_25segmented_radix_sort_implINS0_14default_configELb1EPKdPdPKlPlN2at6native12_GLOBAL__N_18offset_tEEE10hipError_tPvRmT1_PNSt15iterator_traitsIS12_E10value_typeET2_T3_PNS13_IS18_E10value_typeET4_jRbjT5_S1E_jjP12ihipStream_tbEUljE_ZNSN_ISO_Lb1ESQ_SR_ST_SU_SY_EESZ_S10_S11_S12_S16_S17_S18_S1B_S1C_jS1D_jS1E_S1E_jjS1G_bEUljE0_EEESZ_S10_S11_S18_S1C_S1E_T6_T7_T9_mT8_S1G_bDpT10_ENKUlT_T0_E_clISt17integral_constantIbLb1EES1T_IbLb0EEEEDaS1P_S1Q_EUlS1P_E_NS1_11comp_targetILNS1_3genE2ELNS1_11target_archE906ELNS1_3gpuE6ELNS1_3repE0EEENS1_30default_config_static_selectorELNS0_4arch9wavefront6targetE0EEEvS12_
; %bb.0:
	.section	.rodata,"a",@progbits
	.p2align	6, 0x0
	.amdhsa_kernel _ZN7rocprim17ROCPRIM_400000_NS6detail17trampoline_kernelINS0_13select_configILj256ELj13ELNS0_17block_load_methodE3ELS4_3ELS4_3ELNS0_20block_scan_algorithmE0ELj4294967295EEENS1_25partition_config_selectorILNS1_17partition_subalgoE4EjNS0_10empty_typeEbEEZZNS1_14partition_implILS8_4ELb0ES6_15HIP_vector_typeIjLj2EENS0_17counting_iteratorIjlEEPS9_SG_NS0_5tupleIJPjSI_NS0_16reverse_iteratorISI_EEEEENSH_IJSG_SG_SG_EEES9_SI_JZNS1_25segmented_radix_sort_implINS0_14default_configELb1EPKdPdPKlPlN2at6native12_GLOBAL__N_18offset_tEEE10hipError_tPvRmT1_PNSt15iterator_traitsIS12_E10value_typeET2_T3_PNS13_IS18_E10value_typeET4_jRbjT5_S1E_jjP12ihipStream_tbEUljE_ZNSN_ISO_Lb1ESQ_SR_ST_SU_SY_EESZ_S10_S11_S12_S16_S17_S18_S1B_S1C_jS1D_jS1E_S1E_jjS1G_bEUljE0_EEESZ_S10_S11_S18_S1C_S1E_T6_T7_T9_mT8_S1G_bDpT10_ENKUlT_T0_E_clISt17integral_constantIbLb1EES1T_IbLb0EEEEDaS1P_S1Q_EUlS1P_E_NS1_11comp_targetILNS1_3genE2ELNS1_11target_archE906ELNS1_3gpuE6ELNS1_3repE0EEENS1_30default_config_static_selectorELNS0_4arch9wavefront6targetE0EEEvS12_
		.amdhsa_group_segment_fixed_size 0
		.amdhsa_private_segment_fixed_size 0
		.amdhsa_kernarg_size 176
		.amdhsa_user_sgpr_count 2
		.amdhsa_user_sgpr_dispatch_ptr 0
		.amdhsa_user_sgpr_queue_ptr 0
		.amdhsa_user_sgpr_kernarg_segment_ptr 1
		.amdhsa_user_sgpr_dispatch_id 0
		.amdhsa_user_sgpr_private_segment_size 0
		.amdhsa_wavefront_size32 1
		.amdhsa_uses_dynamic_stack 0
		.amdhsa_enable_private_segment 0
		.amdhsa_system_sgpr_workgroup_id_x 1
		.amdhsa_system_sgpr_workgroup_id_y 0
		.amdhsa_system_sgpr_workgroup_id_z 0
		.amdhsa_system_sgpr_workgroup_info 0
		.amdhsa_system_vgpr_workitem_id 0
		.amdhsa_next_free_vgpr 1
		.amdhsa_next_free_sgpr 1
		.amdhsa_reserve_vcc 0
		.amdhsa_float_round_mode_32 0
		.amdhsa_float_round_mode_16_64 0
		.amdhsa_float_denorm_mode_32 3
		.amdhsa_float_denorm_mode_16_64 3
		.amdhsa_fp16_overflow 0
		.amdhsa_workgroup_processor_mode 1
		.amdhsa_memory_ordered 1
		.amdhsa_forward_progress 1
		.amdhsa_inst_pref_size 0
		.amdhsa_round_robin_scheduling 0
		.amdhsa_exception_fp_ieee_invalid_op 0
		.amdhsa_exception_fp_denorm_src 0
		.amdhsa_exception_fp_ieee_div_zero 0
		.amdhsa_exception_fp_ieee_overflow 0
		.amdhsa_exception_fp_ieee_underflow 0
		.amdhsa_exception_fp_ieee_inexact 0
		.amdhsa_exception_int_div_zero 0
	.end_amdhsa_kernel
	.section	.text._ZN7rocprim17ROCPRIM_400000_NS6detail17trampoline_kernelINS0_13select_configILj256ELj13ELNS0_17block_load_methodE3ELS4_3ELS4_3ELNS0_20block_scan_algorithmE0ELj4294967295EEENS1_25partition_config_selectorILNS1_17partition_subalgoE4EjNS0_10empty_typeEbEEZZNS1_14partition_implILS8_4ELb0ES6_15HIP_vector_typeIjLj2EENS0_17counting_iteratorIjlEEPS9_SG_NS0_5tupleIJPjSI_NS0_16reverse_iteratorISI_EEEEENSH_IJSG_SG_SG_EEES9_SI_JZNS1_25segmented_radix_sort_implINS0_14default_configELb1EPKdPdPKlPlN2at6native12_GLOBAL__N_18offset_tEEE10hipError_tPvRmT1_PNSt15iterator_traitsIS12_E10value_typeET2_T3_PNS13_IS18_E10value_typeET4_jRbjT5_S1E_jjP12ihipStream_tbEUljE_ZNSN_ISO_Lb1ESQ_SR_ST_SU_SY_EESZ_S10_S11_S12_S16_S17_S18_S1B_S1C_jS1D_jS1E_S1E_jjS1G_bEUljE0_EEESZ_S10_S11_S18_S1C_S1E_T6_T7_T9_mT8_S1G_bDpT10_ENKUlT_T0_E_clISt17integral_constantIbLb1EES1T_IbLb0EEEEDaS1P_S1Q_EUlS1P_E_NS1_11comp_targetILNS1_3genE2ELNS1_11target_archE906ELNS1_3gpuE6ELNS1_3repE0EEENS1_30default_config_static_selectorELNS0_4arch9wavefront6targetE0EEEvS12_,"axG",@progbits,_ZN7rocprim17ROCPRIM_400000_NS6detail17trampoline_kernelINS0_13select_configILj256ELj13ELNS0_17block_load_methodE3ELS4_3ELS4_3ELNS0_20block_scan_algorithmE0ELj4294967295EEENS1_25partition_config_selectorILNS1_17partition_subalgoE4EjNS0_10empty_typeEbEEZZNS1_14partition_implILS8_4ELb0ES6_15HIP_vector_typeIjLj2EENS0_17counting_iteratorIjlEEPS9_SG_NS0_5tupleIJPjSI_NS0_16reverse_iteratorISI_EEEEENSH_IJSG_SG_SG_EEES9_SI_JZNS1_25segmented_radix_sort_implINS0_14default_configELb1EPKdPdPKlPlN2at6native12_GLOBAL__N_18offset_tEEE10hipError_tPvRmT1_PNSt15iterator_traitsIS12_E10value_typeET2_T3_PNS13_IS18_E10value_typeET4_jRbjT5_S1E_jjP12ihipStream_tbEUljE_ZNSN_ISO_Lb1ESQ_SR_ST_SU_SY_EESZ_S10_S11_S12_S16_S17_S18_S1B_S1C_jS1D_jS1E_S1E_jjS1G_bEUljE0_EEESZ_S10_S11_S18_S1C_S1E_T6_T7_T9_mT8_S1G_bDpT10_ENKUlT_T0_E_clISt17integral_constantIbLb1EES1T_IbLb0EEEEDaS1P_S1Q_EUlS1P_E_NS1_11comp_targetILNS1_3genE2ELNS1_11target_archE906ELNS1_3gpuE6ELNS1_3repE0EEENS1_30default_config_static_selectorELNS0_4arch9wavefront6targetE0EEEvS12_,comdat
.Lfunc_end1074:
	.size	_ZN7rocprim17ROCPRIM_400000_NS6detail17trampoline_kernelINS0_13select_configILj256ELj13ELNS0_17block_load_methodE3ELS4_3ELS4_3ELNS0_20block_scan_algorithmE0ELj4294967295EEENS1_25partition_config_selectorILNS1_17partition_subalgoE4EjNS0_10empty_typeEbEEZZNS1_14partition_implILS8_4ELb0ES6_15HIP_vector_typeIjLj2EENS0_17counting_iteratorIjlEEPS9_SG_NS0_5tupleIJPjSI_NS0_16reverse_iteratorISI_EEEEENSH_IJSG_SG_SG_EEES9_SI_JZNS1_25segmented_radix_sort_implINS0_14default_configELb1EPKdPdPKlPlN2at6native12_GLOBAL__N_18offset_tEEE10hipError_tPvRmT1_PNSt15iterator_traitsIS12_E10value_typeET2_T3_PNS13_IS18_E10value_typeET4_jRbjT5_S1E_jjP12ihipStream_tbEUljE_ZNSN_ISO_Lb1ESQ_SR_ST_SU_SY_EESZ_S10_S11_S12_S16_S17_S18_S1B_S1C_jS1D_jS1E_S1E_jjS1G_bEUljE0_EEESZ_S10_S11_S18_S1C_S1E_T6_T7_T9_mT8_S1G_bDpT10_ENKUlT_T0_E_clISt17integral_constantIbLb1EES1T_IbLb0EEEEDaS1P_S1Q_EUlS1P_E_NS1_11comp_targetILNS1_3genE2ELNS1_11target_archE906ELNS1_3gpuE6ELNS1_3repE0EEENS1_30default_config_static_selectorELNS0_4arch9wavefront6targetE0EEEvS12_, .Lfunc_end1074-_ZN7rocprim17ROCPRIM_400000_NS6detail17trampoline_kernelINS0_13select_configILj256ELj13ELNS0_17block_load_methodE3ELS4_3ELS4_3ELNS0_20block_scan_algorithmE0ELj4294967295EEENS1_25partition_config_selectorILNS1_17partition_subalgoE4EjNS0_10empty_typeEbEEZZNS1_14partition_implILS8_4ELb0ES6_15HIP_vector_typeIjLj2EENS0_17counting_iteratorIjlEEPS9_SG_NS0_5tupleIJPjSI_NS0_16reverse_iteratorISI_EEEEENSH_IJSG_SG_SG_EEES9_SI_JZNS1_25segmented_radix_sort_implINS0_14default_configELb1EPKdPdPKlPlN2at6native12_GLOBAL__N_18offset_tEEE10hipError_tPvRmT1_PNSt15iterator_traitsIS12_E10value_typeET2_T3_PNS13_IS18_E10value_typeET4_jRbjT5_S1E_jjP12ihipStream_tbEUljE_ZNSN_ISO_Lb1ESQ_SR_ST_SU_SY_EESZ_S10_S11_S12_S16_S17_S18_S1B_S1C_jS1D_jS1E_S1E_jjS1G_bEUljE0_EEESZ_S10_S11_S18_S1C_S1E_T6_T7_T9_mT8_S1G_bDpT10_ENKUlT_T0_E_clISt17integral_constantIbLb1EES1T_IbLb0EEEEDaS1P_S1Q_EUlS1P_E_NS1_11comp_targetILNS1_3genE2ELNS1_11target_archE906ELNS1_3gpuE6ELNS1_3repE0EEENS1_30default_config_static_selectorELNS0_4arch9wavefront6targetE0EEEvS12_
                                        ; -- End function
	.set _ZN7rocprim17ROCPRIM_400000_NS6detail17trampoline_kernelINS0_13select_configILj256ELj13ELNS0_17block_load_methodE3ELS4_3ELS4_3ELNS0_20block_scan_algorithmE0ELj4294967295EEENS1_25partition_config_selectorILNS1_17partition_subalgoE4EjNS0_10empty_typeEbEEZZNS1_14partition_implILS8_4ELb0ES6_15HIP_vector_typeIjLj2EENS0_17counting_iteratorIjlEEPS9_SG_NS0_5tupleIJPjSI_NS0_16reverse_iteratorISI_EEEEENSH_IJSG_SG_SG_EEES9_SI_JZNS1_25segmented_radix_sort_implINS0_14default_configELb1EPKdPdPKlPlN2at6native12_GLOBAL__N_18offset_tEEE10hipError_tPvRmT1_PNSt15iterator_traitsIS12_E10value_typeET2_T3_PNS13_IS18_E10value_typeET4_jRbjT5_S1E_jjP12ihipStream_tbEUljE_ZNSN_ISO_Lb1ESQ_SR_ST_SU_SY_EESZ_S10_S11_S12_S16_S17_S18_S1B_S1C_jS1D_jS1E_S1E_jjS1G_bEUljE0_EEESZ_S10_S11_S18_S1C_S1E_T6_T7_T9_mT8_S1G_bDpT10_ENKUlT_T0_E_clISt17integral_constantIbLb1EES1T_IbLb0EEEEDaS1P_S1Q_EUlS1P_E_NS1_11comp_targetILNS1_3genE2ELNS1_11target_archE906ELNS1_3gpuE6ELNS1_3repE0EEENS1_30default_config_static_selectorELNS0_4arch9wavefront6targetE0EEEvS12_.num_vgpr, 0
	.set _ZN7rocprim17ROCPRIM_400000_NS6detail17trampoline_kernelINS0_13select_configILj256ELj13ELNS0_17block_load_methodE3ELS4_3ELS4_3ELNS0_20block_scan_algorithmE0ELj4294967295EEENS1_25partition_config_selectorILNS1_17partition_subalgoE4EjNS0_10empty_typeEbEEZZNS1_14partition_implILS8_4ELb0ES6_15HIP_vector_typeIjLj2EENS0_17counting_iteratorIjlEEPS9_SG_NS0_5tupleIJPjSI_NS0_16reverse_iteratorISI_EEEEENSH_IJSG_SG_SG_EEES9_SI_JZNS1_25segmented_radix_sort_implINS0_14default_configELb1EPKdPdPKlPlN2at6native12_GLOBAL__N_18offset_tEEE10hipError_tPvRmT1_PNSt15iterator_traitsIS12_E10value_typeET2_T3_PNS13_IS18_E10value_typeET4_jRbjT5_S1E_jjP12ihipStream_tbEUljE_ZNSN_ISO_Lb1ESQ_SR_ST_SU_SY_EESZ_S10_S11_S12_S16_S17_S18_S1B_S1C_jS1D_jS1E_S1E_jjS1G_bEUljE0_EEESZ_S10_S11_S18_S1C_S1E_T6_T7_T9_mT8_S1G_bDpT10_ENKUlT_T0_E_clISt17integral_constantIbLb1EES1T_IbLb0EEEEDaS1P_S1Q_EUlS1P_E_NS1_11comp_targetILNS1_3genE2ELNS1_11target_archE906ELNS1_3gpuE6ELNS1_3repE0EEENS1_30default_config_static_selectorELNS0_4arch9wavefront6targetE0EEEvS12_.num_agpr, 0
	.set _ZN7rocprim17ROCPRIM_400000_NS6detail17trampoline_kernelINS0_13select_configILj256ELj13ELNS0_17block_load_methodE3ELS4_3ELS4_3ELNS0_20block_scan_algorithmE0ELj4294967295EEENS1_25partition_config_selectorILNS1_17partition_subalgoE4EjNS0_10empty_typeEbEEZZNS1_14partition_implILS8_4ELb0ES6_15HIP_vector_typeIjLj2EENS0_17counting_iteratorIjlEEPS9_SG_NS0_5tupleIJPjSI_NS0_16reverse_iteratorISI_EEEEENSH_IJSG_SG_SG_EEES9_SI_JZNS1_25segmented_radix_sort_implINS0_14default_configELb1EPKdPdPKlPlN2at6native12_GLOBAL__N_18offset_tEEE10hipError_tPvRmT1_PNSt15iterator_traitsIS12_E10value_typeET2_T3_PNS13_IS18_E10value_typeET4_jRbjT5_S1E_jjP12ihipStream_tbEUljE_ZNSN_ISO_Lb1ESQ_SR_ST_SU_SY_EESZ_S10_S11_S12_S16_S17_S18_S1B_S1C_jS1D_jS1E_S1E_jjS1G_bEUljE0_EEESZ_S10_S11_S18_S1C_S1E_T6_T7_T9_mT8_S1G_bDpT10_ENKUlT_T0_E_clISt17integral_constantIbLb1EES1T_IbLb0EEEEDaS1P_S1Q_EUlS1P_E_NS1_11comp_targetILNS1_3genE2ELNS1_11target_archE906ELNS1_3gpuE6ELNS1_3repE0EEENS1_30default_config_static_selectorELNS0_4arch9wavefront6targetE0EEEvS12_.numbered_sgpr, 0
	.set _ZN7rocprim17ROCPRIM_400000_NS6detail17trampoline_kernelINS0_13select_configILj256ELj13ELNS0_17block_load_methodE3ELS4_3ELS4_3ELNS0_20block_scan_algorithmE0ELj4294967295EEENS1_25partition_config_selectorILNS1_17partition_subalgoE4EjNS0_10empty_typeEbEEZZNS1_14partition_implILS8_4ELb0ES6_15HIP_vector_typeIjLj2EENS0_17counting_iteratorIjlEEPS9_SG_NS0_5tupleIJPjSI_NS0_16reverse_iteratorISI_EEEEENSH_IJSG_SG_SG_EEES9_SI_JZNS1_25segmented_radix_sort_implINS0_14default_configELb1EPKdPdPKlPlN2at6native12_GLOBAL__N_18offset_tEEE10hipError_tPvRmT1_PNSt15iterator_traitsIS12_E10value_typeET2_T3_PNS13_IS18_E10value_typeET4_jRbjT5_S1E_jjP12ihipStream_tbEUljE_ZNSN_ISO_Lb1ESQ_SR_ST_SU_SY_EESZ_S10_S11_S12_S16_S17_S18_S1B_S1C_jS1D_jS1E_S1E_jjS1G_bEUljE0_EEESZ_S10_S11_S18_S1C_S1E_T6_T7_T9_mT8_S1G_bDpT10_ENKUlT_T0_E_clISt17integral_constantIbLb1EES1T_IbLb0EEEEDaS1P_S1Q_EUlS1P_E_NS1_11comp_targetILNS1_3genE2ELNS1_11target_archE906ELNS1_3gpuE6ELNS1_3repE0EEENS1_30default_config_static_selectorELNS0_4arch9wavefront6targetE0EEEvS12_.num_named_barrier, 0
	.set _ZN7rocprim17ROCPRIM_400000_NS6detail17trampoline_kernelINS0_13select_configILj256ELj13ELNS0_17block_load_methodE3ELS4_3ELS4_3ELNS0_20block_scan_algorithmE0ELj4294967295EEENS1_25partition_config_selectorILNS1_17partition_subalgoE4EjNS0_10empty_typeEbEEZZNS1_14partition_implILS8_4ELb0ES6_15HIP_vector_typeIjLj2EENS0_17counting_iteratorIjlEEPS9_SG_NS0_5tupleIJPjSI_NS0_16reverse_iteratorISI_EEEEENSH_IJSG_SG_SG_EEES9_SI_JZNS1_25segmented_radix_sort_implINS0_14default_configELb1EPKdPdPKlPlN2at6native12_GLOBAL__N_18offset_tEEE10hipError_tPvRmT1_PNSt15iterator_traitsIS12_E10value_typeET2_T3_PNS13_IS18_E10value_typeET4_jRbjT5_S1E_jjP12ihipStream_tbEUljE_ZNSN_ISO_Lb1ESQ_SR_ST_SU_SY_EESZ_S10_S11_S12_S16_S17_S18_S1B_S1C_jS1D_jS1E_S1E_jjS1G_bEUljE0_EEESZ_S10_S11_S18_S1C_S1E_T6_T7_T9_mT8_S1G_bDpT10_ENKUlT_T0_E_clISt17integral_constantIbLb1EES1T_IbLb0EEEEDaS1P_S1Q_EUlS1P_E_NS1_11comp_targetILNS1_3genE2ELNS1_11target_archE906ELNS1_3gpuE6ELNS1_3repE0EEENS1_30default_config_static_selectorELNS0_4arch9wavefront6targetE0EEEvS12_.private_seg_size, 0
	.set _ZN7rocprim17ROCPRIM_400000_NS6detail17trampoline_kernelINS0_13select_configILj256ELj13ELNS0_17block_load_methodE3ELS4_3ELS4_3ELNS0_20block_scan_algorithmE0ELj4294967295EEENS1_25partition_config_selectorILNS1_17partition_subalgoE4EjNS0_10empty_typeEbEEZZNS1_14partition_implILS8_4ELb0ES6_15HIP_vector_typeIjLj2EENS0_17counting_iteratorIjlEEPS9_SG_NS0_5tupleIJPjSI_NS0_16reverse_iteratorISI_EEEEENSH_IJSG_SG_SG_EEES9_SI_JZNS1_25segmented_radix_sort_implINS0_14default_configELb1EPKdPdPKlPlN2at6native12_GLOBAL__N_18offset_tEEE10hipError_tPvRmT1_PNSt15iterator_traitsIS12_E10value_typeET2_T3_PNS13_IS18_E10value_typeET4_jRbjT5_S1E_jjP12ihipStream_tbEUljE_ZNSN_ISO_Lb1ESQ_SR_ST_SU_SY_EESZ_S10_S11_S12_S16_S17_S18_S1B_S1C_jS1D_jS1E_S1E_jjS1G_bEUljE0_EEESZ_S10_S11_S18_S1C_S1E_T6_T7_T9_mT8_S1G_bDpT10_ENKUlT_T0_E_clISt17integral_constantIbLb1EES1T_IbLb0EEEEDaS1P_S1Q_EUlS1P_E_NS1_11comp_targetILNS1_3genE2ELNS1_11target_archE906ELNS1_3gpuE6ELNS1_3repE0EEENS1_30default_config_static_selectorELNS0_4arch9wavefront6targetE0EEEvS12_.uses_vcc, 0
	.set _ZN7rocprim17ROCPRIM_400000_NS6detail17trampoline_kernelINS0_13select_configILj256ELj13ELNS0_17block_load_methodE3ELS4_3ELS4_3ELNS0_20block_scan_algorithmE0ELj4294967295EEENS1_25partition_config_selectorILNS1_17partition_subalgoE4EjNS0_10empty_typeEbEEZZNS1_14partition_implILS8_4ELb0ES6_15HIP_vector_typeIjLj2EENS0_17counting_iteratorIjlEEPS9_SG_NS0_5tupleIJPjSI_NS0_16reverse_iteratorISI_EEEEENSH_IJSG_SG_SG_EEES9_SI_JZNS1_25segmented_radix_sort_implINS0_14default_configELb1EPKdPdPKlPlN2at6native12_GLOBAL__N_18offset_tEEE10hipError_tPvRmT1_PNSt15iterator_traitsIS12_E10value_typeET2_T3_PNS13_IS18_E10value_typeET4_jRbjT5_S1E_jjP12ihipStream_tbEUljE_ZNSN_ISO_Lb1ESQ_SR_ST_SU_SY_EESZ_S10_S11_S12_S16_S17_S18_S1B_S1C_jS1D_jS1E_S1E_jjS1G_bEUljE0_EEESZ_S10_S11_S18_S1C_S1E_T6_T7_T9_mT8_S1G_bDpT10_ENKUlT_T0_E_clISt17integral_constantIbLb1EES1T_IbLb0EEEEDaS1P_S1Q_EUlS1P_E_NS1_11comp_targetILNS1_3genE2ELNS1_11target_archE906ELNS1_3gpuE6ELNS1_3repE0EEENS1_30default_config_static_selectorELNS0_4arch9wavefront6targetE0EEEvS12_.uses_flat_scratch, 0
	.set _ZN7rocprim17ROCPRIM_400000_NS6detail17trampoline_kernelINS0_13select_configILj256ELj13ELNS0_17block_load_methodE3ELS4_3ELS4_3ELNS0_20block_scan_algorithmE0ELj4294967295EEENS1_25partition_config_selectorILNS1_17partition_subalgoE4EjNS0_10empty_typeEbEEZZNS1_14partition_implILS8_4ELb0ES6_15HIP_vector_typeIjLj2EENS0_17counting_iteratorIjlEEPS9_SG_NS0_5tupleIJPjSI_NS0_16reverse_iteratorISI_EEEEENSH_IJSG_SG_SG_EEES9_SI_JZNS1_25segmented_radix_sort_implINS0_14default_configELb1EPKdPdPKlPlN2at6native12_GLOBAL__N_18offset_tEEE10hipError_tPvRmT1_PNSt15iterator_traitsIS12_E10value_typeET2_T3_PNS13_IS18_E10value_typeET4_jRbjT5_S1E_jjP12ihipStream_tbEUljE_ZNSN_ISO_Lb1ESQ_SR_ST_SU_SY_EESZ_S10_S11_S12_S16_S17_S18_S1B_S1C_jS1D_jS1E_S1E_jjS1G_bEUljE0_EEESZ_S10_S11_S18_S1C_S1E_T6_T7_T9_mT8_S1G_bDpT10_ENKUlT_T0_E_clISt17integral_constantIbLb1EES1T_IbLb0EEEEDaS1P_S1Q_EUlS1P_E_NS1_11comp_targetILNS1_3genE2ELNS1_11target_archE906ELNS1_3gpuE6ELNS1_3repE0EEENS1_30default_config_static_selectorELNS0_4arch9wavefront6targetE0EEEvS12_.has_dyn_sized_stack, 0
	.set _ZN7rocprim17ROCPRIM_400000_NS6detail17trampoline_kernelINS0_13select_configILj256ELj13ELNS0_17block_load_methodE3ELS4_3ELS4_3ELNS0_20block_scan_algorithmE0ELj4294967295EEENS1_25partition_config_selectorILNS1_17partition_subalgoE4EjNS0_10empty_typeEbEEZZNS1_14partition_implILS8_4ELb0ES6_15HIP_vector_typeIjLj2EENS0_17counting_iteratorIjlEEPS9_SG_NS0_5tupleIJPjSI_NS0_16reverse_iteratorISI_EEEEENSH_IJSG_SG_SG_EEES9_SI_JZNS1_25segmented_radix_sort_implINS0_14default_configELb1EPKdPdPKlPlN2at6native12_GLOBAL__N_18offset_tEEE10hipError_tPvRmT1_PNSt15iterator_traitsIS12_E10value_typeET2_T3_PNS13_IS18_E10value_typeET4_jRbjT5_S1E_jjP12ihipStream_tbEUljE_ZNSN_ISO_Lb1ESQ_SR_ST_SU_SY_EESZ_S10_S11_S12_S16_S17_S18_S1B_S1C_jS1D_jS1E_S1E_jjS1G_bEUljE0_EEESZ_S10_S11_S18_S1C_S1E_T6_T7_T9_mT8_S1G_bDpT10_ENKUlT_T0_E_clISt17integral_constantIbLb1EES1T_IbLb0EEEEDaS1P_S1Q_EUlS1P_E_NS1_11comp_targetILNS1_3genE2ELNS1_11target_archE906ELNS1_3gpuE6ELNS1_3repE0EEENS1_30default_config_static_selectorELNS0_4arch9wavefront6targetE0EEEvS12_.has_recursion, 0
	.set _ZN7rocprim17ROCPRIM_400000_NS6detail17trampoline_kernelINS0_13select_configILj256ELj13ELNS0_17block_load_methodE3ELS4_3ELS4_3ELNS0_20block_scan_algorithmE0ELj4294967295EEENS1_25partition_config_selectorILNS1_17partition_subalgoE4EjNS0_10empty_typeEbEEZZNS1_14partition_implILS8_4ELb0ES6_15HIP_vector_typeIjLj2EENS0_17counting_iteratorIjlEEPS9_SG_NS0_5tupleIJPjSI_NS0_16reverse_iteratorISI_EEEEENSH_IJSG_SG_SG_EEES9_SI_JZNS1_25segmented_radix_sort_implINS0_14default_configELb1EPKdPdPKlPlN2at6native12_GLOBAL__N_18offset_tEEE10hipError_tPvRmT1_PNSt15iterator_traitsIS12_E10value_typeET2_T3_PNS13_IS18_E10value_typeET4_jRbjT5_S1E_jjP12ihipStream_tbEUljE_ZNSN_ISO_Lb1ESQ_SR_ST_SU_SY_EESZ_S10_S11_S12_S16_S17_S18_S1B_S1C_jS1D_jS1E_S1E_jjS1G_bEUljE0_EEESZ_S10_S11_S18_S1C_S1E_T6_T7_T9_mT8_S1G_bDpT10_ENKUlT_T0_E_clISt17integral_constantIbLb1EES1T_IbLb0EEEEDaS1P_S1Q_EUlS1P_E_NS1_11comp_targetILNS1_3genE2ELNS1_11target_archE906ELNS1_3gpuE6ELNS1_3repE0EEENS1_30default_config_static_selectorELNS0_4arch9wavefront6targetE0EEEvS12_.has_indirect_call, 0
	.section	.AMDGPU.csdata,"",@progbits
; Kernel info:
; codeLenInByte = 0
; TotalNumSgprs: 0
; NumVgprs: 0
; ScratchSize: 0
; MemoryBound: 0
; FloatMode: 240
; IeeeMode: 1
; LDSByteSize: 0 bytes/workgroup (compile time only)
; SGPRBlocks: 0
; VGPRBlocks: 0
; NumSGPRsForWavesPerEU: 1
; NumVGPRsForWavesPerEU: 1
; Occupancy: 16
; WaveLimiterHint : 0
; COMPUTE_PGM_RSRC2:SCRATCH_EN: 0
; COMPUTE_PGM_RSRC2:USER_SGPR: 2
; COMPUTE_PGM_RSRC2:TRAP_HANDLER: 0
; COMPUTE_PGM_RSRC2:TGID_X_EN: 1
; COMPUTE_PGM_RSRC2:TGID_Y_EN: 0
; COMPUTE_PGM_RSRC2:TGID_Z_EN: 0
; COMPUTE_PGM_RSRC2:TIDIG_COMP_CNT: 0
	.section	.text._ZN7rocprim17ROCPRIM_400000_NS6detail17trampoline_kernelINS0_13select_configILj256ELj13ELNS0_17block_load_methodE3ELS4_3ELS4_3ELNS0_20block_scan_algorithmE0ELj4294967295EEENS1_25partition_config_selectorILNS1_17partition_subalgoE4EjNS0_10empty_typeEbEEZZNS1_14partition_implILS8_4ELb0ES6_15HIP_vector_typeIjLj2EENS0_17counting_iteratorIjlEEPS9_SG_NS0_5tupleIJPjSI_NS0_16reverse_iteratorISI_EEEEENSH_IJSG_SG_SG_EEES9_SI_JZNS1_25segmented_radix_sort_implINS0_14default_configELb1EPKdPdPKlPlN2at6native12_GLOBAL__N_18offset_tEEE10hipError_tPvRmT1_PNSt15iterator_traitsIS12_E10value_typeET2_T3_PNS13_IS18_E10value_typeET4_jRbjT5_S1E_jjP12ihipStream_tbEUljE_ZNSN_ISO_Lb1ESQ_SR_ST_SU_SY_EESZ_S10_S11_S12_S16_S17_S18_S1B_S1C_jS1D_jS1E_S1E_jjS1G_bEUljE0_EEESZ_S10_S11_S18_S1C_S1E_T6_T7_T9_mT8_S1G_bDpT10_ENKUlT_T0_E_clISt17integral_constantIbLb1EES1T_IbLb0EEEEDaS1P_S1Q_EUlS1P_E_NS1_11comp_targetILNS1_3genE10ELNS1_11target_archE1200ELNS1_3gpuE4ELNS1_3repE0EEENS1_30default_config_static_selectorELNS0_4arch9wavefront6targetE0EEEvS12_,"axG",@progbits,_ZN7rocprim17ROCPRIM_400000_NS6detail17trampoline_kernelINS0_13select_configILj256ELj13ELNS0_17block_load_methodE3ELS4_3ELS4_3ELNS0_20block_scan_algorithmE0ELj4294967295EEENS1_25partition_config_selectorILNS1_17partition_subalgoE4EjNS0_10empty_typeEbEEZZNS1_14partition_implILS8_4ELb0ES6_15HIP_vector_typeIjLj2EENS0_17counting_iteratorIjlEEPS9_SG_NS0_5tupleIJPjSI_NS0_16reverse_iteratorISI_EEEEENSH_IJSG_SG_SG_EEES9_SI_JZNS1_25segmented_radix_sort_implINS0_14default_configELb1EPKdPdPKlPlN2at6native12_GLOBAL__N_18offset_tEEE10hipError_tPvRmT1_PNSt15iterator_traitsIS12_E10value_typeET2_T3_PNS13_IS18_E10value_typeET4_jRbjT5_S1E_jjP12ihipStream_tbEUljE_ZNSN_ISO_Lb1ESQ_SR_ST_SU_SY_EESZ_S10_S11_S12_S16_S17_S18_S1B_S1C_jS1D_jS1E_S1E_jjS1G_bEUljE0_EEESZ_S10_S11_S18_S1C_S1E_T6_T7_T9_mT8_S1G_bDpT10_ENKUlT_T0_E_clISt17integral_constantIbLb1EES1T_IbLb0EEEEDaS1P_S1Q_EUlS1P_E_NS1_11comp_targetILNS1_3genE10ELNS1_11target_archE1200ELNS1_3gpuE4ELNS1_3repE0EEENS1_30default_config_static_selectorELNS0_4arch9wavefront6targetE0EEEvS12_,comdat
	.globl	_ZN7rocprim17ROCPRIM_400000_NS6detail17trampoline_kernelINS0_13select_configILj256ELj13ELNS0_17block_load_methodE3ELS4_3ELS4_3ELNS0_20block_scan_algorithmE0ELj4294967295EEENS1_25partition_config_selectorILNS1_17partition_subalgoE4EjNS0_10empty_typeEbEEZZNS1_14partition_implILS8_4ELb0ES6_15HIP_vector_typeIjLj2EENS0_17counting_iteratorIjlEEPS9_SG_NS0_5tupleIJPjSI_NS0_16reverse_iteratorISI_EEEEENSH_IJSG_SG_SG_EEES9_SI_JZNS1_25segmented_radix_sort_implINS0_14default_configELb1EPKdPdPKlPlN2at6native12_GLOBAL__N_18offset_tEEE10hipError_tPvRmT1_PNSt15iterator_traitsIS12_E10value_typeET2_T3_PNS13_IS18_E10value_typeET4_jRbjT5_S1E_jjP12ihipStream_tbEUljE_ZNSN_ISO_Lb1ESQ_SR_ST_SU_SY_EESZ_S10_S11_S12_S16_S17_S18_S1B_S1C_jS1D_jS1E_S1E_jjS1G_bEUljE0_EEESZ_S10_S11_S18_S1C_S1E_T6_T7_T9_mT8_S1G_bDpT10_ENKUlT_T0_E_clISt17integral_constantIbLb1EES1T_IbLb0EEEEDaS1P_S1Q_EUlS1P_E_NS1_11comp_targetILNS1_3genE10ELNS1_11target_archE1200ELNS1_3gpuE4ELNS1_3repE0EEENS1_30default_config_static_selectorELNS0_4arch9wavefront6targetE0EEEvS12_ ; -- Begin function _ZN7rocprim17ROCPRIM_400000_NS6detail17trampoline_kernelINS0_13select_configILj256ELj13ELNS0_17block_load_methodE3ELS4_3ELS4_3ELNS0_20block_scan_algorithmE0ELj4294967295EEENS1_25partition_config_selectorILNS1_17partition_subalgoE4EjNS0_10empty_typeEbEEZZNS1_14partition_implILS8_4ELb0ES6_15HIP_vector_typeIjLj2EENS0_17counting_iteratorIjlEEPS9_SG_NS0_5tupleIJPjSI_NS0_16reverse_iteratorISI_EEEEENSH_IJSG_SG_SG_EEES9_SI_JZNS1_25segmented_radix_sort_implINS0_14default_configELb1EPKdPdPKlPlN2at6native12_GLOBAL__N_18offset_tEEE10hipError_tPvRmT1_PNSt15iterator_traitsIS12_E10value_typeET2_T3_PNS13_IS18_E10value_typeET4_jRbjT5_S1E_jjP12ihipStream_tbEUljE_ZNSN_ISO_Lb1ESQ_SR_ST_SU_SY_EESZ_S10_S11_S12_S16_S17_S18_S1B_S1C_jS1D_jS1E_S1E_jjS1G_bEUljE0_EEESZ_S10_S11_S18_S1C_S1E_T6_T7_T9_mT8_S1G_bDpT10_ENKUlT_T0_E_clISt17integral_constantIbLb1EES1T_IbLb0EEEEDaS1P_S1Q_EUlS1P_E_NS1_11comp_targetILNS1_3genE10ELNS1_11target_archE1200ELNS1_3gpuE4ELNS1_3repE0EEENS1_30default_config_static_selectorELNS0_4arch9wavefront6targetE0EEEvS12_
	.p2align	8
	.type	_ZN7rocprim17ROCPRIM_400000_NS6detail17trampoline_kernelINS0_13select_configILj256ELj13ELNS0_17block_load_methodE3ELS4_3ELS4_3ELNS0_20block_scan_algorithmE0ELj4294967295EEENS1_25partition_config_selectorILNS1_17partition_subalgoE4EjNS0_10empty_typeEbEEZZNS1_14partition_implILS8_4ELb0ES6_15HIP_vector_typeIjLj2EENS0_17counting_iteratorIjlEEPS9_SG_NS0_5tupleIJPjSI_NS0_16reverse_iteratorISI_EEEEENSH_IJSG_SG_SG_EEES9_SI_JZNS1_25segmented_radix_sort_implINS0_14default_configELb1EPKdPdPKlPlN2at6native12_GLOBAL__N_18offset_tEEE10hipError_tPvRmT1_PNSt15iterator_traitsIS12_E10value_typeET2_T3_PNS13_IS18_E10value_typeET4_jRbjT5_S1E_jjP12ihipStream_tbEUljE_ZNSN_ISO_Lb1ESQ_SR_ST_SU_SY_EESZ_S10_S11_S12_S16_S17_S18_S1B_S1C_jS1D_jS1E_S1E_jjS1G_bEUljE0_EEESZ_S10_S11_S18_S1C_S1E_T6_T7_T9_mT8_S1G_bDpT10_ENKUlT_T0_E_clISt17integral_constantIbLb1EES1T_IbLb0EEEEDaS1P_S1Q_EUlS1P_E_NS1_11comp_targetILNS1_3genE10ELNS1_11target_archE1200ELNS1_3gpuE4ELNS1_3repE0EEENS1_30default_config_static_selectorELNS0_4arch9wavefront6targetE0EEEvS12_,@function
_ZN7rocprim17ROCPRIM_400000_NS6detail17trampoline_kernelINS0_13select_configILj256ELj13ELNS0_17block_load_methodE3ELS4_3ELS4_3ELNS0_20block_scan_algorithmE0ELj4294967295EEENS1_25partition_config_selectorILNS1_17partition_subalgoE4EjNS0_10empty_typeEbEEZZNS1_14partition_implILS8_4ELb0ES6_15HIP_vector_typeIjLj2EENS0_17counting_iteratorIjlEEPS9_SG_NS0_5tupleIJPjSI_NS0_16reverse_iteratorISI_EEEEENSH_IJSG_SG_SG_EEES9_SI_JZNS1_25segmented_radix_sort_implINS0_14default_configELb1EPKdPdPKlPlN2at6native12_GLOBAL__N_18offset_tEEE10hipError_tPvRmT1_PNSt15iterator_traitsIS12_E10value_typeET2_T3_PNS13_IS18_E10value_typeET4_jRbjT5_S1E_jjP12ihipStream_tbEUljE_ZNSN_ISO_Lb1ESQ_SR_ST_SU_SY_EESZ_S10_S11_S12_S16_S17_S18_S1B_S1C_jS1D_jS1E_S1E_jjS1G_bEUljE0_EEESZ_S10_S11_S18_S1C_S1E_T6_T7_T9_mT8_S1G_bDpT10_ENKUlT_T0_E_clISt17integral_constantIbLb1EES1T_IbLb0EEEEDaS1P_S1Q_EUlS1P_E_NS1_11comp_targetILNS1_3genE10ELNS1_11target_archE1200ELNS1_3gpuE4ELNS1_3repE0EEENS1_30default_config_static_selectorELNS0_4arch9wavefront6targetE0EEEvS12_: ; @_ZN7rocprim17ROCPRIM_400000_NS6detail17trampoline_kernelINS0_13select_configILj256ELj13ELNS0_17block_load_methodE3ELS4_3ELS4_3ELNS0_20block_scan_algorithmE0ELj4294967295EEENS1_25partition_config_selectorILNS1_17partition_subalgoE4EjNS0_10empty_typeEbEEZZNS1_14partition_implILS8_4ELb0ES6_15HIP_vector_typeIjLj2EENS0_17counting_iteratorIjlEEPS9_SG_NS0_5tupleIJPjSI_NS0_16reverse_iteratorISI_EEEEENSH_IJSG_SG_SG_EEES9_SI_JZNS1_25segmented_radix_sort_implINS0_14default_configELb1EPKdPdPKlPlN2at6native12_GLOBAL__N_18offset_tEEE10hipError_tPvRmT1_PNSt15iterator_traitsIS12_E10value_typeET2_T3_PNS13_IS18_E10value_typeET4_jRbjT5_S1E_jjP12ihipStream_tbEUljE_ZNSN_ISO_Lb1ESQ_SR_ST_SU_SY_EESZ_S10_S11_S12_S16_S17_S18_S1B_S1C_jS1D_jS1E_S1E_jjS1G_bEUljE0_EEESZ_S10_S11_S18_S1C_S1E_T6_T7_T9_mT8_S1G_bDpT10_ENKUlT_T0_E_clISt17integral_constantIbLb1EES1T_IbLb0EEEEDaS1P_S1Q_EUlS1P_E_NS1_11comp_targetILNS1_3genE10ELNS1_11target_archE1200ELNS1_3gpuE4ELNS1_3repE0EEENS1_30default_config_static_selectorELNS0_4arch9wavefront6targetE0EEEvS12_
; %bb.0:
	s_endpgm
	.section	.rodata,"a",@progbits
	.p2align	6, 0x0
	.amdhsa_kernel _ZN7rocprim17ROCPRIM_400000_NS6detail17trampoline_kernelINS0_13select_configILj256ELj13ELNS0_17block_load_methodE3ELS4_3ELS4_3ELNS0_20block_scan_algorithmE0ELj4294967295EEENS1_25partition_config_selectorILNS1_17partition_subalgoE4EjNS0_10empty_typeEbEEZZNS1_14partition_implILS8_4ELb0ES6_15HIP_vector_typeIjLj2EENS0_17counting_iteratorIjlEEPS9_SG_NS0_5tupleIJPjSI_NS0_16reverse_iteratorISI_EEEEENSH_IJSG_SG_SG_EEES9_SI_JZNS1_25segmented_radix_sort_implINS0_14default_configELb1EPKdPdPKlPlN2at6native12_GLOBAL__N_18offset_tEEE10hipError_tPvRmT1_PNSt15iterator_traitsIS12_E10value_typeET2_T3_PNS13_IS18_E10value_typeET4_jRbjT5_S1E_jjP12ihipStream_tbEUljE_ZNSN_ISO_Lb1ESQ_SR_ST_SU_SY_EESZ_S10_S11_S12_S16_S17_S18_S1B_S1C_jS1D_jS1E_S1E_jjS1G_bEUljE0_EEESZ_S10_S11_S18_S1C_S1E_T6_T7_T9_mT8_S1G_bDpT10_ENKUlT_T0_E_clISt17integral_constantIbLb1EES1T_IbLb0EEEEDaS1P_S1Q_EUlS1P_E_NS1_11comp_targetILNS1_3genE10ELNS1_11target_archE1200ELNS1_3gpuE4ELNS1_3repE0EEENS1_30default_config_static_selectorELNS0_4arch9wavefront6targetE0EEEvS12_
		.amdhsa_group_segment_fixed_size 0
		.amdhsa_private_segment_fixed_size 0
		.amdhsa_kernarg_size 176
		.amdhsa_user_sgpr_count 2
		.amdhsa_user_sgpr_dispatch_ptr 0
		.amdhsa_user_sgpr_queue_ptr 0
		.amdhsa_user_sgpr_kernarg_segment_ptr 1
		.amdhsa_user_sgpr_dispatch_id 0
		.amdhsa_user_sgpr_private_segment_size 0
		.amdhsa_wavefront_size32 1
		.amdhsa_uses_dynamic_stack 0
		.amdhsa_enable_private_segment 0
		.amdhsa_system_sgpr_workgroup_id_x 1
		.amdhsa_system_sgpr_workgroup_id_y 0
		.amdhsa_system_sgpr_workgroup_id_z 0
		.amdhsa_system_sgpr_workgroup_info 0
		.amdhsa_system_vgpr_workitem_id 0
		.amdhsa_next_free_vgpr 1
		.amdhsa_next_free_sgpr 1
		.amdhsa_reserve_vcc 0
		.amdhsa_float_round_mode_32 0
		.amdhsa_float_round_mode_16_64 0
		.amdhsa_float_denorm_mode_32 3
		.amdhsa_float_denorm_mode_16_64 3
		.amdhsa_fp16_overflow 0
		.amdhsa_workgroup_processor_mode 1
		.amdhsa_memory_ordered 1
		.amdhsa_forward_progress 1
		.amdhsa_inst_pref_size 1
		.amdhsa_round_robin_scheduling 0
		.amdhsa_exception_fp_ieee_invalid_op 0
		.amdhsa_exception_fp_denorm_src 0
		.amdhsa_exception_fp_ieee_div_zero 0
		.amdhsa_exception_fp_ieee_overflow 0
		.amdhsa_exception_fp_ieee_underflow 0
		.amdhsa_exception_fp_ieee_inexact 0
		.amdhsa_exception_int_div_zero 0
	.end_amdhsa_kernel
	.section	.text._ZN7rocprim17ROCPRIM_400000_NS6detail17trampoline_kernelINS0_13select_configILj256ELj13ELNS0_17block_load_methodE3ELS4_3ELS4_3ELNS0_20block_scan_algorithmE0ELj4294967295EEENS1_25partition_config_selectorILNS1_17partition_subalgoE4EjNS0_10empty_typeEbEEZZNS1_14partition_implILS8_4ELb0ES6_15HIP_vector_typeIjLj2EENS0_17counting_iteratorIjlEEPS9_SG_NS0_5tupleIJPjSI_NS0_16reverse_iteratorISI_EEEEENSH_IJSG_SG_SG_EEES9_SI_JZNS1_25segmented_radix_sort_implINS0_14default_configELb1EPKdPdPKlPlN2at6native12_GLOBAL__N_18offset_tEEE10hipError_tPvRmT1_PNSt15iterator_traitsIS12_E10value_typeET2_T3_PNS13_IS18_E10value_typeET4_jRbjT5_S1E_jjP12ihipStream_tbEUljE_ZNSN_ISO_Lb1ESQ_SR_ST_SU_SY_EESZ_S10_S11_S12_S16_S17_S18_S1B_S1C_jS1D_jS1E_S1E_jjS1G_bEUljE0_EEESZ_S10_S11_S18_S1C_S1E_T6_T7_T9_mT8_S1G_bDpT10_ENKUlT_T0_E_clISt17integral_constantIbLb1EES1T_IbLb0EEEEDaS1P_S1Q_EUlS1P_E_NS1_11comp_targetILNS1_3genE10ELNS1_11target_archE1200ELNS1_3gpuE4ELNS1_3repE0EEENS1_30default_config_static_selectorELNS0_4arch9wavefront6targetE0EEEvS12_,"axG",@progbits,_ZN7rocprim17ROCPRIM_400000_NS6detail17trampoline_kernelINS0_13select_configILj256ELj13ELNS0_17block_load_methodE3ELS4_3ELS4_3ELNS0_20block_scan_algorithmE0ELj4294967295EEENS1_25partition_config_selectorILNS1_17partition_subalgoE4EjNS0_10empty_typeEbEEZZNS1_14partition_implILS8_4ELb0ES6_15HIP_vector_typeIjLj2EENS0_17counting_iteratorIjlEEPS9_SG_NS0_5tupleIJPjSI_NS0_16reverse_iteratorISI_EEEEENSH_IJSG_SG_SG_EEES9_SI_JZNS1_25segmented_radix_sort_implINS0_14default_configELb1EPKdPdPKlPlN2at6native12_GLOBAL__N_18offset_tEEE10hipError_tPvRmT1_PNSt15iterator_traitsIS12_E10value_typeET2_T3_PNS13_IS18_E10value_typeET4_jRbjT5_S1E_jjP12ihipStream_tbEUljE_ZNSN_ISO_Lb1ESQ_SR_ST_SU_SY_EESZ_S10_S11_S12_S16_S17_S18_S1B_S1C_jS1D_jS1E_S1E_jjS1G_bEUljE0_EEESZ_S10_S11_S18_S1C_S1E_T6_T7_T9_mT8_S1G_bDpT10_ENKUlT_T0_E_clISt17integral_constantIbLb1EES1T_IbLb0EEEEDaS1P_S1Q_EUlS1P_E_NS1_11comp_targetILNS1_3genE10ELNS1_11target_archE1200ELNS1_3gpuE4ELNS1_3repE0EEENS1_30default_config_static_selectorELNS0_4arch9wavefront6targetE0EEEvS12_,comdat
.Lfunc_end1075:
	.size	_ZN7rocprim17ROCPRIM_400000_NS6detail17trampoline_kernelINS0_13select_configILj256ELj13ELNS0_17block_load_methodE3ELS4_3ELS4_3ELNS0_20block_scan_algorithmE0ELj4294967295EEENS1_25partition_config_selectorILNS1_17partition_subalgoE4EjNS0_10empty_typeEbEEZZNS1_14partition_implILS8_4ELb0ES6_15HIP_vector_typeIjLj2EENS0_17counting_iteratorIjlEEPS9_SG_NS0_5tupleIJPjSI_NS0_16reverse_iteratorISI_EEEEENSH_IJSG_SG_SG_EEES9_SI_JZNS1_25segmented_radix_sort_implINS0_14default_configELb1EPKdPdPKlPlN2at6native12_GLOBAL__N_18offset_tEEE10hipError_tPvRmT1_PNSt15iterator_traitsIS12_E10value_typeET2_T3_PNS13_IS18_E10value_typeET4_jRbjT5_S1E_jjP12ihipStream_tbEUljE_ZNSN_ISO_Lb1ESQ_SR_ST_SU_SY_EESZ_S10_S11_S12_S16_S17_S18_S1B_S1C_jS1D_jS1E_S1E_jjS1G_bEUljE0_EEESZ_S10_S11_S18_S1C_S1E_T6_T7_T9_mT8_S1G_bDpT10_ENKUlT_T0_E_clISt17integral_constantIbLb1EES1T_IbLb0EEEEDaS1P_S1Q_EUlS1P_E_NS1_11comp_targetILNS1_3genE10ELNS1_11target_archE1200ELNS1_3gpuE4ELNS1_3repE0EEENS1_30default_config_static_selectorELNS0_4arch9wavefront6targetE0EEEvS12_, .Lfunc_end1075-_ZN7rocprim17ROCPRIM_400000_NS6detail17trampoline_kernelINS0_13select_configILj256ELj13ELNS0_17block_load_methodE3ELS4_3ELS4_3ELNS0_20block_scan_algorithmE0ELj4294967295EEENS1_25partition_config_selectorILNS1_17partition_subalgoE4EjNS0_10empty_typeEbEEZZNS1_14partition_implILS8_4ELb0ES6_15HIP_vector_typeIjLj2EENS0_17counting_iteratorIjlEEPS9_SG_NS0_5tupleIJPjSI_NS0_16reverse_iteratorISI_EEEEENSH_IJSG_SG_SG_EEES9_SI_JZNS1_25segmented_radix_sort_implINS0_14default_configELb1EPKdPdPKlPlN2at6native12_GLOBAL__N_18offset_tEEE10hipError_tPvRmT1_PNSt15iterator_traitsIS12_E10value_typeET2_T3_PNS13_IS18_E10value_typeET4_jRbjT5_S1E_jjP12ihipStream_tbEUljE_ZNSN_ISO_Lb1ESQ_SR_ST_SU_SY_EESZ_S10_S11_S12_S16_S17_S18_S1B_S1C_jS1D_jS1E_S1E_jjS1G_bEUljE0_EEESZ_S10_S11_S18_S1C_S1E_T6_T7_T9_mT8_S1G_bDpT10_ENKUlT_T0_E_clISt17integral_constantIbLb1EES1T_IbLb0EEEEDaS1P_S1Q_EUlS1P_E_NS1_11comp_targetILNS1_3genE10ELNS1_11target_archE1200ELNS1_3gpuE4ELNS1_3repE0EEENS1_30default_config_static_selectorELNS0_4arch9wavefront6targetE0EEEvS12_
                                        ; -- End function
	.set _ZN7rocprim17ROCPRIM_400000_NS6detail17trampoline_kernelINS0_13select_configILj256ELj13ELNS0_17block_load_methodE3ELS4_3ELS4_3ELNS0_20block_scan_algorithmE0ELj4294967295EEENS1_25partition_config_selectorILNS1_17partition_subalgoE4EjNS0_10empty_typeEbEEZZNS1_14partition_implILS8_4ELb0ES6_15HIP_vector_typeIjLj2EENS0_17counting_iteratorIjlEEPS9_SG_NS0_5tupleIJPjSI_NS0_16reverse_iteratorISI_EEEEENSH_IJSG_SG_SG_EEES9_SI_JZNS1_25segmented_radix_sort_implINS0_14default_configELb1EPKdPdPKlPlN2at6native12_GLOBAL__N_18offset_tEEE10hipError_tPvRmT1_PNSt15iterator_traitsIS12_E10value_typeET2_T3_PNS13_IS18_E10value_typeET4_jRbjT5_S1E_jjP12ihipStream_tbEUljE_ZNSN_ISO_Lb1ESQ_SR_ST_SU_SY_EESZ_S10_S11_S12_S16_S17_S18_S1B_S1C_jS1D_jS1E_S1E_jjS1G_bEUljE0_EEESZ_S10_S11_S18_S1C_S1E_T6_T7_T9_mT8_S1G_bDpT10_ENKUlT_T0_E_clISt17integral_constantIbLb1EES1T_IbLb0EEEEDaS1P_S1Q_EUlS1P_E_NS1_11comp_targetILNS1_3genE10ELNS1_11target_archE1200ELNS1_3gpuE4ELNS1_3repE0EEENS1_30default_config_static_selectorELNS0_4arch9wavefront6targetE0EEEvS12_.num_vgpr, 0
	.set _ZN7rocprim17ROCPRIM_400000_NS6detail17trampoline_kernelINS0_13select_configILj256ELj13ELNS0_17block_load_methodE3ELS4_3ELS4_3ELNS0_20block_scan_algorithmE0ELj4294967295EEENS1_25partition_config_selectorILNS1_17partition_subalgoE4EjNS0_10empty_typeEbEEZZNS1_14partition_implILS8_4ELb0ES6_15HIP_vector_typeIjLj2EENS0_17counting_iteratorIjlEEPS9_SG_NS0_5tupleIJPjSI_NS0_16reverse_iteratorISI_EEEEENSH_IJSG_SG_SG_EEES9_SI_JZNS1_25segmented_radix_sort_implINS0_14default_configELb1EPKdPdPKlPlN2at6native12_GLOBAL__N_18offset_tEEE10hipError_tPvRmT1_PNSt15iterator_traitsIS12_E10value_typeET2_T3_PNS13_IS18_E10value_typeET4_jRbjT5_S1E_jjP12ihipStream_tbEUljE_ZNSN_ISO_Lb1ESQ_SR_ST_SU_SY_EESZ_S10_S11_S12_S16_S17_S18_S1B_S1C_jS1D_jS1E_S1E_jjS1G_bEUljE0_EEESZ_S10_S11_S18_S1C_S1E_T6_T7_T9_mT8_S1G_bDpT10_ENKUlT_T0_E_clISt17integral_constantIbLb1EES1T_IbLb0EEEEDaS1P_S1Q_EUlS1P_E_NS1_11comp_targetILNS1_3genE10ELNS1_11target_archE1200ELNS1_3gpuE4ELNS1_3repE0EEENS1_30default_config_static_selectorELNS0_4arch9wavefront6targetE0EEEvS12_.num_agpr, 0
	.set _ZN7rocprim17ROCPRIM_400000_NS6detail17trampoline_kernelINS0_13select_configILj256ELj13ELNS0_17block_load_methodE3ELS4_3ELS4_3ELNS0_20block_scan_algorithmE0ELj4294967295EEENS1_25partition_config_selectorILNS1_17partition_subalgoE4EjNS0_10empty_typeEbEEZZNS1_14partition_implILS8_4ELb0ES6_15HIP_vector_typeIjLj2EENS0_17counting_iteratorIjlEEPS9_SG_NS0_5tupleIJPjSI_NS0_16reverse_iteratorISI_EEEEENSH_IJSG_SG_SG_EEES9_SI_JZNS1_25segmented_radix_sort_implINS0_14default_configELb1EPKdPdPKlPlN2at6native12_GLOBAL__N_18offset_tEEE10hipError_tPvRmT1_PNSt15iterator_traitsIS12_E10value_typeET2_T3_PNS13_IS18_E10value_typeET4_jRbjT5_S1E_jjP12ihipStream_tbEUljE_ZNSN_ISO_Lb1ESQ_SR_ST_SU_SY_EESZ_S10_S11_S12_S16_S17_S18_S1B_S1C_jS1D_jS1E_S1E_jjS1G_bEUljE0_EEESZ_S10_S11_S18_S1C_S1E_T6_T7_T9_mT8_S1G_bDpT10_ENKUlT_T0_E_clISt17integral_constantIbLb1EES1T_IbLb0EEEEDaS1P_S1Q_EUlS1P_E_NS1_11comp_targetILNS1_3genE10ELNS1_11target_archE1200ELNS1_3gpuE4ELNS1_3repE0EEENS1_30default_config_static_selectorELNS0_4arch9wavefront6targetE0EEEvS12_.numbered_sgpr, 0
	.set _ZN7rocprim17ROCPRIM_400000_NS6detail17trampoline_kernelINS0_13select_configILj256ELj13ELNS0_17block_load_methodE3ELS4_3ELS4_3ELNS0_20block_scan_algorithmE0ELj4294967295EEENS1_25partition_config_selectorILNS1_17partition_subalgoE4EjNS0_10empty_typeEbEEZZNS1_14partition_implILS8_4ELb0ES6_15HIP_vector_typeIjLj2EENS0_17counting_iteratorIjlEEPS9_SG_NS0_5tupleIJPjSI_NS0_16reverse_iteratorISI_EEEEENSH_IJSG_SG_SG_EEES9_SI_JZNS1_25segmented_radix_sort_implINS0_14default_configELb1EPKdPdPKlPlN2at6native12_GLOBAL__N_18offset_tEEE10hipError_tPvRmT1_PNSt15iterator_traitsIS12_E10value_typeET2_T3_PNS13_IS18_E10value_typeET4_jRbjT5_S1E_jjP12ihipStream_tbEUljE_ZNSN_ISO_Lb1ESQ_SR_ST_SU_SY_EESZ_S10_S11_S12_S16_S17_S18_S1B_S1C_jS1D_jS1E_S1E_jjS1G_bEUljE0_EEESZ_S10_S11_S18_S1C_S1E_T6_T7_T9_mT8_S1G_bDpT10_ENKUlT_T0_E_clISt17integral_constantIbLb1EES1T_IbLb0EEEEDaS1P_S1Q_EUlS1P_E_NS1_11comp_targetILNS1_3genE10ELNS1_11target_archE1200ELNS1_3gpuE4ELNS1_3repE0EEENS1_30default_config_static_selectorELNS0_4arch9wavefront6targetE0EEEvS12_.num_named_barrier, 0
	.set _ZN7rocprim17ROCPRIM_400000_NS6detail17trampoline_kernelINS0_13select_configILj256ELj13ELNS0_17block_load_methodE3ELS4_3ELS4_3ELNS0_20block_scan_algorithmE0ELj4294967295EEENS1_25partition_config_selectorILNS1_17partition_subalgoE4EjNS0_10empty_typeEbEEZZNS1_14partition_implILS8_4ELb0ES6_15HIP_vector_typeIjLj2EENS0_17counting_iteratorIjlEEPS9_SG_NS0_5tupleIJPjSI_NS0_16reverse_iteratorISI_EEEEENSH_IJSG_SG_SG_EEES9_SI_JZNS1_25segmented_radix_sort_implINS0_14default_configELb1EPKdPdPKlPlN2at6native12_GLOBAL__N_18offset_tEEE10hipError_tPvRmT1_PNSt15iterator_traitsIS12_E10value_typeET2_T3_PNS13_IS18_E10value_typeET4_jRbjT5_S1E_jjP12ihipStream_tbEUljE_ZNSN_ISO_Lb1ESQ_SR_ST_SU_SY_EESZ_S10_S11_S12_S16_S17_S18_S1B_S1C_jS1D_jS1E_S1E_jjS1G_bEUljE0_EEESZ_S10_S11_S18_S1C_S1E_T6_T7_T9_mT8_S1G_bDpT10_ENKUlT_T0_E_clISt17integral_constantIbLb1EES1T_IbLb0EEEEDaS1P_S1Q_EUlS1P_E_NS1_11comp_targetILNS1_3genE10ELNS1_11target_archE1200ELNS1_3gpuE4ELNS1_3repE0EEENS1_30default_config_static_selectorELNS0_4arch9wavefront6targetE0EEEvS12_.private_seg_size, 0
	.set _ZN7rocprim17ROCPRIM_400000_NS6detail17trampoline_kernelINS0_13select_configILj256ELj13ELNS0_17block_load_methodE3ELS4_3ELS4_3ELNS0_20block_scan_algorithmE0ELj4294967295EEENS1_25partition_config_selectorILNS1_17partition_subalgoE4EjNS0_10empty_typeEbEEZZNS1_14partition_implILS8_4ELb0ES6_15HIP_vector_typeIjLj2EENS0_17counting_iteratorIjlEEPS9_SG_NS0_5tupleIJPjSI_NS0_16reverse_iteratorISI_EEEEENSH_IJSG_SG_SG_EEES9_SI_JZNS1_25segmented_radix_sort_implINS0_14default_configELb1EPKdPdPKlPlN2at6native12_GLOBAL__N_18offset_tEEE10hipError_tPvRmT1_PNSt15iterator_traitsIS12_E10value_typeET2_T3_PNS13_IS18_E10value_typeET4_jRbjT5_S1E_jjP12ihipStream_tbEUljE_ZNSN_ISO_Lb1ESQ_SR_ST_SU_SY_EESZ_S10_S11_S12_S16_S17_S18_S1B_S1C_jS1D_jS1E_S1E_jjS1G_bEUljE0_EEESZ_S10_S11_S18_S1C_S1E_T6_T7_T9_mT8_S1G_bDpT10_ENKUlT_T0_E_clISt17integral_constantIbLb1EES1T_IbLb0EEEEDaS1P_S1Q_EUlS1P_E_NS1_11comp_targetILNS1_3genE10ELNS1_11target_archE1200ELNS1_3gpuE4ELNS1_3repE0EEENS1_30default_config_static_selectorELNS0_4arch9wavefront6targetE0EEEvS12_.uses_vcc, 0
	.set _ZN7rocprim17ROCPRIM_400000_NS6detail17trampoline_kernelINS0_13select_configILj256ELj13ELNS0_17block_load_methodE3ELS4_3ELS4_3ELNS0_20block_scan_algorithmE0ELj4294967295EEENS1_25partition_config_selectorILNS1_17partition_subalgoE4EjNS0_10empty_typeEbEEZZNS1_14partition_implILS8_4ELb0ES6_15HIP_vector_typeIjLj2EENS0_17counting_iteratorIjlEEPS9_SG_NS0_5tupleIJPjSI_NS0_16reverse_iteratorISI_EEEEENSH_IJSG_SG_SG_EEES9_SI_JZNS1_25segmented_radix_sort_implINS0_14default_configELb1EPKdPdPKlPlN2at6native12_GLOBAL__N_18offset_tEEE10hipError_tPvRmT1_PNSt15iterator_traitsIS12_E10value_typeET2_T3_PNS13_IS18_E10value_typeET4_jRbjT5_S1E_jjP12ihipStream_tbEUljE_ZNSN_ISO_Lb1ESQ_SR_ST_SU_SY_EESZ_S10_S11_S12_S16_S17_S18_S1B_S1C_jS1D_jS1E_S1E_jjS1G_bEUljE0_EEESZ_S10_S11_S18_S1C_S1E_T6_T7_T9_mT8_S1G_bDpT10_ENKUlT_T0_E_clISt17integral_constantIbLb1EES1T_IbLb0EEEEDaS1P_S1Q_EUlS1P_E_NS1_11comp_targetILNS1_3genE10ELNS1_11target_archE1200ELNS1_3gpuE4ELNS1_3repE0EEENS1_30default_config_static_selectorELNS0_4arch9wavefront6targetE0EEEvS12_.uses_flat_scratch, 0
	.set _ZN7rocprim17ROCPRIM_400000_NS6detail17trampoline_kernelINS0_13select_configILj256ELj13ELNS0_17block_load_methodE3ELS4_3ELS4_3ELNS0_20block_scan_algorithmE0ELj4294967295EEENS1_25partition_config_selectorILNS1_17partition_subalgoE4EjNS0_10empty_typeEbEEZZNS1_14partition_implILS8_4ELb0ES6_15HIP_vector_typeIjLj2EENS0_17counting_iteratorIjlEEPS9_SG_NS0_5tupleIJPjSI_NS0_16reverse_iteratorISI_EEEEENSH_IJSG_SG_SG_EEES9_SI_JZNS1_25segmented_radix_sort_implINS0_14default_configELb1EPKdPdPKlPlN2at6native12_GLOBAL__N_18offset_tEEE10hipError_tPvRmT1_PNSt15iterator_traitsIS12_E10value_typeET2_T3_PNS13_IS18_E10value_typeET4_jRbjT5_S1E_jjP12ihipStream_tbEUljE_ZNSN_ISO_Lb1ESQ_SR_ST_SU_SY_EESZ_S10_S11_S12_S16_S17_S18_S1B_S1C_jS1D_jS1E_S1E_jjS1G_bEUljE0_EEESZ_S10_S11_S18_S1C_S1E_T6_T7_T9_mT8_S1G_bDpT10_ENKUlT_T0_E_clISt17integral_constantIbLb1EES1T_IbLb0EEEEDaS1P_S1Q_EUlS1P_E_NS1_11comp_targetILNS1_3genE10ELNS1_11target_archE1200ELNS1_3gpuE4ELNS1_3repE0EEENS1_30default_config_static_selectorELNS0_4arch9wavefront6targetE0EEEvS12_.has_dyn_sized_stack, 0
	.set _ZN7rocprim17ROCPRIM_400000_NS6detail17trampoline_kernelINS0_13select_configILj256ELj13ELNS0_17block_load_methodE3ELS4_3ELS4_3ELNS0_20block_scan_algorithmE0ELj4294967295EEENS1_25partition_config_selectorILNS1_17partition_subalgoE4EjNS0_10empty_typeEbEEZZNS1_14partition_implILS8_4ELb0ES6_15HIP_vector_typeIjLj2EENS0_17counting_iteratorIjlEEPS9_SG_NS0_5tupleIJPjSI_NS0_16reverse_iteratorISI_EEEEENSH_IJSG_SG_SG_EEES9_SI_JZNS1_25segmented_radix_sort_implINS0_14default_configELb1EPKdPdPKlPlN2at6native12_GLOBAL__N_18offset_tEEE10hipError_tPvRmT1_PNSt15iterator_traitsIS12_E10value_typeET2_T3_PNS13_IS18_E10value_typeET4_jRbjT5_S1E_jjP12ihipStream_tbEUljE_ZNSN_ISO_Lb1ESQ_SR_ST_SU_SY_EESZ_S10_S11_S12_S16_S17_S18_S1B_S1C_jS1D_jS1E_S1E_jjS1G_bEUljE0_EEESZ_S10_S11_S18_S1C_S1E_T6_T7_T9_mT8_S1G_bDpT10_ENKUlT_T0_E_clISt17integral_constantIbLb1EES1T_IbLb0EEEEDaS1P_S1Q_EUlS1P_E_NS1_11comp_targetILNS1_3genE10ELNS1_11target_archE1200ELNS1_3gpuE4ELNS1_3repE0EEENS1_30default_config_static_selectorELNS0_4arch9wavefront6targetE0EEEvS12_.has_recursion, 0
	.set _ZN7rocprim17ROCPRIM_400000_NS6detail17trampoline_kernelINS0_13select_configILj256ELj13ELNS0_17block_load_methodE3ELS4_3ELS4_3ELNS0_20block_scan_algorithmE0ELj4294967295EEENS1_25partition_config_selectorILNS1_17partition_subalgoE4EjNS0_10empty_typeEbEEZZNS1_14partition_implILS8_4ELb0ES6_15HIP_vector_typeIjLj2EENS0_17counting_iteratorIjlEEPS9_SG_NS0_5tupleIJPjSI_NS0_16reverse_iteratorISI_EEEEENSH_IJSG_SG_SG_EEES9_SI_JZNS1_25segmented_radix_sort_implINS0_14default_configELb1EPKdPdPKlPlN2at6native12_GLOBAL__N_18offset_tEEE10hipError_tPvRmT1_PNSt15iterator_traitsIS12_E10value_typeET2_T3_PNS13_IS18_E10value_typeET4_jRbjT5_S1E_jjP12ihipStream_tbEUljE_ZNSN_ISO_Lb1ESQ_SR_ST_SU_SY_EESZ_S10_S11_S12_S16_S17_S18_S1B_S1C_jS1D_jS1E_S1E_jjS1G_bEUljE0_EEESZ_S10_S11_S18_S1C_S1E_T6_T7_T9_mT8_S1G_bDpT10_ENKUlT_T0_E_clISt17integral_constantIbLb1EES1T_IbLb0EEEEDaS1P_S1Q_EUlS1P_E_NS1_11comp_targetILNS1_3genE10ELNS1_11target_archE1200ELNS1_3gpuE4ELNS1_3repE0EEENS1_30default_config_static_selectorELNS0_4arch9wavefront6targetE0EEEvS12_.has_indirect_call, 0
	.section	.AMDGPU.csdata,"",@progbits
; Kernel info:
; codeLenInByte = 4
; TotalNumSgprs: 0
; NumVgprs: 0
; ScratchSize: 0
; MemoryBound: 0
; FloatMode: 240
; IeeeMode: 1
; LDSByteSize: 0 bytes/workgroup (compile time only)
; SGPRBlocks: 0
; VGPRBlocks: 0
; NumSGPRsForWavesPerEU: 1
; NumVGPRsForWavesPerEU: 1
; Occupancy: 16
; WaveLimiterHint : 0
; COMPUTE_PGM_RSRC2:SCRATCH_EN: 0
; COMPUTE_PGM_RSRC2:USER_SGPR: 2
; COMPUTE_PGM_RSRC2:TRAP_HANDLER: 0
; COMPUTE_PGM_RSRC2:TGID_X_EN: 1
; COMPUTE_PGM_RSRC2:TGID_Y_EN: 0
; COMPUTE_PGM_RSRC2:TGID_Z_EN: 0
; COMPUTE_PGM_RSRC2:TIDIG_COMP_CNT: 0
	.section	.text._ZN7rocprim17ROCPRIM_400000_NS6detail17trampoline_kernelINS0_13select_configILj256ELj13ELNS0_17block_load_methodE3ELS4_3ELS4_3ELNS0_20block_scan_algorithmE0ELj4294967295EEENS1_25partition_config_selectorILNS1_17partition_subalgoE4EjNS0_10empty_typeEbEEZZNS1_14partition_implILS8_4ELb0ES6_15HIP_vector_typeIjLj2EENS0_17counting_iteratorIjlEEPS9_SG_NS0_5tupleIJPjSI_NS0_16reverse_iteratorISI_EEEEENSH_IJSG_SG_SG_EEES9_SI_JZNS1_25segmented_radix_sort_implINS0_14default_configELb1EPKdPdPKlPlN2at6native12_GLOBAL__N_18offset_tEEE10hipError_tPvRmT1_PNSt15iterator_traitsIS12_E10value_typeET2_T3_PNS13_IS18_E10value_typeET4_jRbjT5_S1E_jjP12ihipStream_tbEUljE_ZNSN_ISO_Lb1ESQ_SR_ST_SU_SY_EESZ_S10_S11_S12_S16_S17_S18_S1B_S1C_jS1D_jS1E_S1E_jjS1G_bEUljE0_EEESZ_S10_S11_S18_S1C_S1E_T6_T7_T9_mT8_S1G_bDpT10_ENKUlT_T0_E_clISt17integral_constantIbLb1EES1T_IbLb0EEEEDaS1P_S1Q_EUlS1P_E_NS1_11comp_targetILNS1_3genE9ELNS1_11target_archE1100ELNS1_3gpuE3ELNS1_3repE0EEENS1_30default_config_static_selectorELNS0_4arch9wavefront6targetE0EEEvS12_,"axG",@progbits,_ZN7rocprim17ROCPRIM_400000_NS6detail17trampoline_kernelINS0_13select_configILj256ELj13ELNS0_17block_load_methodE3ELS4_3ELS4_3ELNS0_20block_scan_algorithmE0ELj4294967295EEENS1_25partition_config_selectorILNS1_17partition_subalgoE4EjNS0_10empty_typeEbEEZZNS1_14partition_implILS8_4ELb0ES6_15HIP_vector_typeIjLj2EENS0_17counting_iteratorIjlEEPS9_SG_NS0_5tupleIJPjSI_NS0_16reverse_iteratorISI_EEEEENSH_IJSG_SG_SG_EEES9_SI_JZNS1_25segmented_radix_sort_implINS0_14default_configELb1EPKdPdPKlPlN2at6native12_GLOBAL__N_18offset_tEEE10hipError_tPvRmT1_PNSt15iterator_traitsIS12_E10value_typeET2_T3_PNS13_IS18_E10value_typeET4_jRbjT5_S1E_jjP12ihipStream_tbEUljE_ZNSN_ISO_Lb1ESQ_SR_ST_SU_SY_EESZ_S10_S11_S12_S16_S17_S18_S1B_S1C_jS1D_jS1E_S1E_jjS1G_bEUljE0_EEESZ_S10_S11_S18_S1C_S1E_T6_T7_T9_mT8_S1G_bDpT10_ENKUlT_T0_E_clISt17integral_constantIbLb1EES1T_IbLb0EEEEDaS1P_S1Q_EUlS1P_E_NS1_11comp_targetILNS1_3genE9ELNS1_11target_archE1100ELNS1_3gpuE3ELNS1_3repE0EEENS1_30default_config_static_selectorELNS0_4arch9wavefront6targetE0EEEvS12_,comdat
	.globl	_ZN7rocprim17ROCPRIM_400000_NS6detail17trampoline_kernelINS0_13select_configILj256ELj13ELNS0_17block_load_methodE3ELS4_3ELS4_3ELNS0_20block_scan_algorithmE0ELj4294967295EEENS1_25partition_config_selectorILNS1_17partition_subalgoE4EjNS0_10empty_typeEbEEZZNS1_14partition_implILS8_4ELb0ES6_15HIP_vector_typeIjLj2EENS0_17counting_iteratorIjlEEPS9_SG_NS0_5tupleIJPjSI_NS0_16reverse_iteratorISI_EEEEENSH_IJSG_SG_SG_EEES9_SI_JZNS1_25segmented_radix_sort_implINS0_14default_configELb1EPKdPdPKlPlN2at6native12_GLOBAL__N_18offset_tEEE10hipError_tPvRmT1_PNSt15iterator_traitsIS12_E10value_typeET2_T3_PNS13_IS18_E10value_typeET4_jRbjT5_S1E_jjP12ihipStream_tbEUljE_ZNSN_ISO_Lb1ESQ_SR_ST_SU_SY_EESZ_S10_S11_S12_S16_S17_S18_S1B_S1C_jS1D_jS1E_S1E_jjS1G_bEUljE0_EEESZ_S10_S11_S18_S1C_S1E_T6_T7_T9_mT8_S1G_bDpT10_ENKUlT_T0_E_clISt17integral_constantIbLb1EES1T_IbLb0EEEEDaS1P_S1Q_EUlS1P_E_NS1_11comp_targetILNS1_3genE9ELNS1_11target_archE1100ELNS1_3gpuE3ELNS1_3repE0EEENS1_30default_config_static_selectorELNS0_4arch9wavefront6targetE0EEEvS12_ ; -- Begin function _ZN7rocprim17ROCPRIM_400000_NS6detail17trampoline_kernelINS0_13select_configILj256ELj13ELNS0_17block_load_methodE3ELS4_3ELS4_3ELNS0_20block_scan_algorithmE0ELj4294967295EEENS1_25partition_config_selectorILNS1_17partition_subalgoE4EjNS0_10empty_typeEbEEZZNS1_14partition_implILS8_4ELb0ES6_15HIP_vector_typeIjLj2EENS0_17counting_iteratorIjlEEPS9_SG_NS0_5tupleIJPjSI_NS0_16reverse_iteratorISI_EEEEENSH_IJSG_SG_SG_EEES9_SI_JZNS1_25segmented_radix_sort_implINS0_14default_configELb1EPKdPdPKlPlN2at6native12_GLOBAL__N_18offset_tEEE10hipError_tPvRmT1_PNSt15iterator_traitsIS12_E10value_typeET2_T3_PNS13_IS18_E10value_typeET4_jRbjT5_S1E_jjP12ihipStream_tbEUljE_ZNSN_ISO_Lb1ESQ_SR_ST_SU_SY_EESZ_S10_S11_S12_S16_S17_S18_S1B_S1C_jS1D_jS1E_S1E_jjS1G_bEUljE0_EEESZ_S10_S11_S18_S1C_S1E_T6_T7_T9_mT8_S1G_bDpT10_ENKUlT_T0_E_clISt17integral_constantIbLb1EES1T_IbLb0EEEEDaS1P_S1Q_EUlS1P_E_NS1_11comp_targetILNS1_3genE9ELNS1_11target_archE1100ELNS1_3gpuE3ELNS1_3repE0EEENS1_30default_config_static_selectorELNS0_4arch9wavefront6targetE0EEEvS12_
	.p2align	8
	.type	_ZN7rocprim17ROCPRIM_400000_NS6detail17trampoline_kernelINS0_13select_configILj256ELj13ELNS0_17block_load_methodE3ELS4_3ELS4_3ELNS0_20block_scan_algorithmE0ELj4294967295EEENS1_25partition_config_selectorILNS1_17partition_subalgoE4EjNS0_10empty_typeEbEEZZNS1_14partition_implILS8_4ELb0ES6_15HIP_vector_typeIjLj2EENS0_17counting_iteratorIjlEEPS9_SG_NS0_5tupleIJPjSI_NS0_16reverse_iteratorISI_EEEEENSH_IJSG_SG_SG_EEES9_SI_JZNS1_25segmented_radix_sort_implINS0_14default_configELb1EPKdPdPKlPlN2at6native12_GLOBAL__N_18offset_tEEE10hipError_tPvRmT1_PNSt15iterator_traitsIS12_E10value_typeET2_T3_PNS13_IS18_E10value_typeET4_jRbjT5_S1E_jjP12ihipStream_tbEUljE_ZNSN_ISO_Lb1ESQ_SR_ST_SU_SY_EESZ_S10_S11_S12_S16_S17_S18_S1B_S1C_jS1D_jS1E_S1E_jjS1G_bEUljE0_EEESZ_S10_S11_S18_S1C_S1E_T6_T7_T9_mT8_S1G_bDpT10_ENKUlT_T0_E_clISt17integral_constantIbLb1EES1T_IbLb0EEEEDaS1P_S1Q_EUlS1P_E_NS1_11comp_targetILNS1_3genE9ELNS1_11target_archE1100ELNS1_3gpuE3ELNS1_3repE0EEENS1_30default_config_static_selectorELNS0_4arch9wavefront6targetE0EEEvS12_,@function
_ZN7rocprim17ROCPRIM_400000_NS6detail17trampoline_kernelINS0_13select_configILj256ELj13ELNS0_17block_load_methodE3ELS4_3ELS4_3ELNS0_20block_scan_algorithmE0ELj4294967295EEENS1_25partition_config_selectorILNS1_17partition_subalgoE4EjNS0_10empty_typeEbEEZZNS1_14partition_implILS8_4ELb0ES6_15HIP_vector_typeIjLj2EENS0_17counting_iteratorIjlEEPS9_SG_NS0_5tupleIJPjSI_NS0_16reverse_iteratorISI_EEEEENSH_IJSG_SG_SG_EEES9_SI_JZNS1_25segmented_radix_sort_implINS0_14default_configELb1EPKdPdPKlPlN2at6native12_GLOBAL__N_18offset_tEEE10hipError_tPvRmT1_PNSt15iterator_traitsIS12_E10value_typeET2_T3_PNS13_IS18_E10value_typeET4_jRbjT5_S1E_jjP12ihipStream_tbEUljE_ZNSN_ISO_Lb1ESQ_SR_ST_SU_SY_EESZ_S10_S11_S12_S16_S17_S18_S1B_S1C_jS1D_jS1E_S1E_jjS1G_bEUljE0_EEESZ_S10_S11_S18_S1C_S1E_T6_T7_T9_mT8_S1G_bDpT10_ENKUlT_T0_E_clISt17integral_constantIbLb1EES1T_IbLb0EEEEDaS1P_S1Q_EUlS1P_E_NS1_11comp_targetILNS1_3genE9ELNS1_11target_archE1100ELNS1_3gpuE3ELNS1_3repE0EEENS1_30default_config_static_selectorELNS0_4arch9wavefront6targetE0EEEvS12_: ; @_ZN7rocprim17ROCPRIM_400000_NS6detail17trampoline_kernelINS0_13select_configILj256ELj13ELNS0_17block_load_methodE3ELS4_3ELS4_3ELNS0_20block_scan_algorithmE0ELj4294967295EEENS1_25partition_config_selectorILNS1_17partition_subalgoE4EjNS0_10empty_typeEbEEZZNS1_14partition_implILS8_4ELb0ES6_15HIP_vector_typeIjLj2EENS0_17counting_iteratorIjlEEPS9_SG_NS0_5tupleIJPjSI_NS0_16reverse_iteratorISI_EEEEENSH_IJSG_SG_SG_EEES9_SI_JZNS1_25segmented_radix_sort_implINS0_14default_configELb1EPKdPdPKlPlN2at6native12_GLOBAL__N_18offset_tEEE10hipError_tPvRmT1_PNSt15iterator_traitsIS12_E10value_typeET2_T3_PNS13_IS18_E10value_typeET4_jRbjT5_S1E_jjP12ihipStream_tbEUljE_ZNSN_ISO_Lb1ESQ_SR_ST_SU_SY_EESZ_S10_S11_S12_S16_S17_S18_S1B_S1C_jS1D_jS1E_S1E_jjS1G_bEUljE0_EEESZ_S10_S11_S18_S1C_S1E_T6_T7_T9_mT8_S1G_bDpT10_ENKUlT_T0_E_clISt17integral_constantIbLb1EES1T_IbLb0EEEEDaS1P_S1Q_EUlS1P_E_NS1_11comp_targetILNS1_3genE9ELNS1_11target_archE1100ELNS1_3gpuE3ELNS1_3repE0EEENS1_30default_config_static_selectorELNS0_4arch9wavefront6targetE0EEEvS12_
; %bb.0:
	.section	.rodata,"a",@progbits
	.p2align	6, 0x0
	.amdhsa_kernel _ZN7rocprim17ROCPRIM_400000_NS6detail17trampoline_kernelINS0_13select_configILj256ELj13ELNS0_17block_load_methodE3ELS4_3ELS4_3ELNS0_20block_scan_algorithmE0ELj4294967295EEENS1_25partition_config_selectorILNS1_17partition_subalgoE4EjNS0_10empty_typeEbEEZZNS1_14partition_implILS8_4ELb0ES6_15HIP_vector_typeIjLj2EENS0_17counting_iteratorIjlEEPS9_SG_NS0_5tupleIJPjSI_NS0_16reverse_iteratorISI_EEEEENSH_IJSG_SG_SG_EEES9_SI_JZNS1_25segmented_radix_sort_implINS0_14default_configELb1EPKdPdPKlPlN2at6native12_GLOBAL__N_18offset_tEEE10hipError_tPvRmT1_PNSt15iterator_traitsIS12_E10value_typeET2_T3_PNS13_IS18_E10value_typeET4_jRbjT5_S1E_jjP12ihipStream_tbEUljE_ZNSN_ISO_Lb1ESQ_SR_ST_SU_SY_EESZ_S10_S11_S12_S16_S17_S18_S1B_S1C_jS1D_jS1E_S1E_jjS1G_bEUljE0_EEESZ_S10_S11_S18_S1C_S1E_T6_T7_T9_mT8_S1G_bDpT10_ENKUlT_T0_E_clISt17integral_constantIbLb1EES1T_IbLb0EEEEDaS1P_S1Q_EUlS1P_E_NS1_11comp_targetILNS1_3genE9ELNS1_11target_archE1100ELNS1_3gpuE3ELNS1_3repE0EEENS1_30default_config_static_selectorELNS0_4arch9wavefront6targetE0EEEvS12_
		.amdhsa_group_segment_fixed_size 0
		.amdhsa_private_segment_fixed_size 0
		.amdhsa_kernarg_size 176
		.amdhsa_user_sgpr_count 2
		.amdhsa_user_sgpr_dispatch_ptr 0
		.amdhsa_user_sgpr_queue_ptr 0
		.amdhsa_user_sgpr_kernarg_segment_ptr 1
		.amdhsa_user_sgpr_dispatch_id 0
		.amdhsa_user_sgpr_private_segment_size 0
		.amdhsa_wavefront_size32 1
		.amdhsa_uses_dynamic_stack 0
		.amdhsa_enable_private_segment 0
		.amdhsa_system_sgpr_workgroup_id_x 1
		.amdhsa_system_sgpr_workgroup_id_y 0
		.amdhsa_system_sgpr_workgroup_id_z 0
		.amdhsa_system_sgpr_workgroup_info 0
		.amdhsa_system_vgpr_workitem_id 0
		.amdhsa_next_free_vgpr 1
		.amdhsa_next_free_sgpr 1
		.amdhsa_reserve_vcc 0
		.amdhsa_float_round_mode_32 0
		.amdhsa_float_round_mode_16_64 0
		.amdhsa_float_denorm_mode_32 3
		.amdhsa_float_denorm_mode_16_64 3
		.amdhsa_fp16_overflow 0
		.amdhsa_workgroup_processor_mode 1
		.amdhsa_memory_ordered 1
		.amdhsa_forward_progress 1
		.amdhsa_inst_pref_size 0
		.amdhsa_round_robin_scheduling 0
		.amdhsa_exception_fp_ieee_invalid_op 0
		.amdhsa_exception_fp_denorm_src 0
		.amdhsa_exception_fp_ieee_div_zero 0
		.amdhsa_exception_fp_ieee_overflow 0
		.amdhsa_exception_fp_ieee_underflow 0
		.amdhsa_exception_fp_ieee_inexact 0
		.amdhsa_exception_int_div_zero 0
	.end_amdhsa_kernel
	.section	.text._ZN7rocprim17ROCPRIM_400000_NS6detail17trampoline_kernelINS0_13select_configILj256ELj13ELNS0_17block_load_methodE3ELS4_3ELS4_3ELNS0_20block_scan_algorithmE0ELj4294967295EEENS1_25partition_config_selectorILNS1_17partition_subalgoE4EjNS0_10empty_typeEbEEZZNS1_14partition_implILS8_4ELb0ES6_15HIP_vector_typeIjLj2EENS0_17counting_iteratorIjlEEPS9_SG_NS0_5tupleIJPjSI_NS0_16reverse_iteratorISI_EEEEENSH_IJSG_SG_SG_EEES9_SI_JZNS1_25segmented_radix_sort_implINS0_14default_configELb1EPKdPdPKlPlN2at6native12_GLOBAL__N_18offset_tEEE10hipError_tPvRmT1_PNSt15iterator_traitsIS12_E10value_typeET2_T3_PNS13_IS18_E10value_typeET4_jRbjT5_S1E_jjP12ihipStream_tbEUljE_ZNSN_ISO_Lb1ESQ_SR_ST_SU_SY_EESZ_S10_S11_S12_S16_S17_S18_S1B_S1C_jS1D_jS1E_S1E_jjS1G_bEUljE0_EEESZ_S10_S11_S18_S1C_S1E_T6_T7_T9_mT8_S1G_bDpT10_ENKUlT_T0_E_clISt17integral_constantIbLb1EES1T_IbLb0EEEEDaS1P_S1Q_EUlS1P_E_NS1_11comp_targetILNS1_3genE9ELNS1_11target_archE1100ELNS1_3gpuE3ELNS1_3repE0EEENS1_30default_config_static_selectorELNS0_4arch9wavefront6targetE0EEEvS12_,"axG",@progbits,_ZN7rocprim17ROCPRIM_400000_NS6detail17trampoline_kernelINS0_13select_configILj256ELj13ELNS0_17block_load_methodE3ELS4_3ELS4_3ELNS0_20block_scan_algorithmE0ELj4294967295EEENS1_25partition_config_selectorILNS1_17partition_subalgoE4EjNS0_10empty_typeEbEEZZNS1_14partition_implILS8_4ELb0ES6_15HIP_vector_typeIjLj2EENS0_17counting_iteratorIjlEEPS9_SG_NS0_5tupleIJPjSI_NS0_16reverse_iteratorISI_EEEEENSH_IJSG_SG_SG_EEES9_SI_JZNS1_25segmented_radix_sort_implINS0_14default_configELb1EPKdPdPKlPlN2at6native12_GLOBAL__N_18offset_tEEE10hipError_tPvRmT1_PNSt15iterator_traitsIS12_E10value_typeET2_T3_PNS13_IS18_E10value_typeET4_jRbjT5_S1E_jjP12ihipStream_tbEUljE_ZNSN_ISO_Lb1ESQ_SR_ST_SU_SY_EESZ_S10_S11_S12_S16_S17_S18_S1B_S1C_jS1D_jS1E_S1E_jjS1G_bEUljE0_EEESZ_S10_S11_S18_S1C_S1E_T6_T7_T9_mT8_S1G_bDpT10_ENKUlT_T0_E_clISt17integral_constantIbLb1EES1T_IbLb0EEEEDaS1P_S1Q_EUlS1P_E_NS1_11comp_targetILNS1_3genE9ELNS1_11target_archE1100ELNS1_3gpuE3ELNS1_3repE0EEENS1_30default_config_static_selectorELNS0_4arch9wavefront6targetE0EEEvS12_,comdat
.Lfunc_end1076:
	.size	_ZN7rocprim17ROCPRIM_400000_NS6detail17trampoline_kernelINS0_13select_configILj256ELj13ELNS0_17block_load_methodE3ELS4_3ELS4_3ELNS0_20block_scan_algorithmE0ELj4294967295EEENS1_25partition_config_selectorILNS1_17partition_subalgoE4EjNS0_10empty_typeEbEEZZNS1_14partition_implILS8_4ELb0ES6_15HIP_vector_typeIjLj2EENS0_17counting_iteratorIjlEEPS9_SG_NS0_5tupleIJPjSI_NS0_16reverse_iteratorISI_EEEEENSH_IJSG_SG_SG_EEES9_SI_JZNS1_25segmented_radix_sort_implINS0_14default_configELb1EPKdPdPKlPlN2at6native12_GLOBAL__N_18offset_tEEE10hipError_tPvRmT1_PNSt15iterator_traitsIS12_E10value_typeET2_T3_PNS13_IS18_E10value_typeET4_jRbjT5_S1E_jjP12ihipStream_tbEUljE_ZNSN_ISO_Lb1ESQ_SR_ST_SU_SY_EESZ_S10_S11_S12_S16_S17_S18_S1B_S1C_jS1D_jS1E_S1E_jjS1G_bEUljE0_EEESZ_S10_S11_S18_S1C_S1E_T6_T7_T9_mT8_S1G_bDpT10_ENKUlT_T0_E_clISt17integral_constantIbLb1EES1T_IbLb0EEEEDaS1P_S1Q_EUlS1P_E_NS1_11comp_targetILNS1_3genE9ELNS1_11target_archE1100ELNS1_3gpuE3ELNS1_3repE0EEENS1_30default_config_static_selectorELNS0_4arch9wavefront6targetE0EEEvS12_, .Lfunc_end1076-_ZN7rocprim17ROCPRIM_400000_NS6detail17trampoline_kernelINS0_13select_configILj256ELj13ELNS0_17block_load_methodE3ELS4_3ELS4_3ELNS0_20block_scan_algorithmE0ELj4294967295EEENS1_25partition_config_selectorILNS1_17partition_subalgoE4EjNS0_10empty_typeEbEEZZNS1_14partition_implILS8_4ELb0ES6_15HIP_vector_typeIjLj2EENS0_17counting_iteratorIjlEEPS9_SG_NS0_5tupleIJPjSI_NS0_16reverse_iteratorISI_EEEEENSH_IJSG_SG_SG_EEES9_SI_JZNS1_25segmented_radix_sort_implINS0_14default_configELb1EPKdPdPKlPlN2at6native12_GLOBAL__N_18offset_tEEE10hipError_tPvRmT1_PNSt15iterator_traitsIS12_E10value_typeET2_T3_PNS13_IS18_E10value_typeET4_jRbjT5_S1E_jjP12ihipStream_tbEUljE_ZNSN_ISO_Lb1ESQ_SR_ST_SU_SY_EESZ_S10_S11_S12_S16_S17_S18_S1B_S1C_jS1D_jS1E_S1E_jjS1G_bEUljE0_EEESZ_S10_S11_S18_S1C_S1E_T6_T7_T9_mT8_S1G_bDpT10_ENKUlT_T0_E_clISt17integral_constantIbLb1EES1T_IbLb0EEEEDaS1P_S1Q_EUlS1P_E_NS1_11comp_targetILNS1_3genE9ELNS1_11target_archE1100ELNS1_3gpuE3ELNS1_3repE0EEENS1_30default_config_static_selectorELNS0_4arch9wavefront6targetE0EEEvS12_
                                        ; -- End function
	.set _ZN7rocprim17ROCPRIM_400000_NS6detail17trampoline_kernelINS0_13select_configILj256ELj13ELNS0_17block_load_methodE3ELS4_3ELS4_3ELNS0_20block_scan_algorithmE0ELj4294967295EEENS1_25partition_config_selectorILNS1_17partition_subalgoE4EjNS0_10empty_typeEbEEZZNS1_14partition_implILS8_4ELb0ES6_15HIP_vector_typeIjLj2EENS0_17counting_iteratorIjlEEPS9_SG_NS0_5tupleIJPjSI_NS0_16reverse_iteratorISI_EEEEENSH_IJSG_SG_SG_EEES9_SI_JZNS1_25segmented_radix_sort_implINS0_14default_configELb1EPKdPdPKlPlN2at6native12_GLOBAL__N_18offset_tEEE10hipError_tPvRmT1_PNSt15iterator_traitsIS12_E10value_typeET2_T3_PNS13_IS18_E10value_typeET4_jRbjT5_S1E_jjP12ihipStream_tbEUljE_ZNSN_ISO_Lb1ESQ_SR_ST_SU_SY_EESZ_S10_S11_S12_S16_S17_S18_S1B_S1C_jS1D_jS1E_S1E_jjS1G_bEUljE0_EEESZ_S10_S11_S18_S1C_S1E_T6_T7_T9_mT8_S1G_bDpT10_ENKUlT_T0_E_clISt17integral_constantIbLb1EES1T_IbLb0EEEEDaS1P_S1Q_EUlS1P_E_NS1_11comp_targetILNS1_3genE9ELNS1_11target_archE1100ELNS1_3gpuE3ELNS1_3repE0EEENS1_30default_config_static_selectorELNS0_4arch9wavefront6targetE0EEEvS12_.num_vgpr, 0
	.set _ZN7rocprim17ROCPRIM_400000_NS6detail17trampoline_kernelINS0_13select_configILj256ELj13ELNS0_17block_load_methodE3ELS4_3ELS4_3ELNS0_20block_scan_algorithmE0ELj4294967295EEENS1_25partition_config_selectorILNS1_17partition_subalgoE4EjNS0_10empty_typeEbEEZZNS1_14partition_implILS8_4ELb0ES6_15HIP_vector_typeIjLj2EENS0_17counting_iteratorIjlEEPS9_SG_NS0_5tupleIJPjSI_NS0_16reverse_iteratorISI_EEEEENSH_IJSG_SG_SG_EEES9_SI_JZNS1_25segmented_radix_sort_implINS0_14default_configELb1EPKdPdPKlPlN2at6native12_GLOBAL__N_18offset_tEEE10hipError_tPvRmT1_PNSt15iterator_traitsIS12_E10value_typeET2_T3_PNS13_IS18_E10value_typeET4_jRbjT5_S1E_jjP12ihipStream_tbEUljE_ZNSN_ISO_Lb1ESQ_SR_ST_SU_SY_EESZ_S10_S11_S12_S16_S17_S18_S1B_S1C_jS1D_jS1E_S1E_jjS1G_bEUljE0_EEESZ_S10_S11_S18_S1C_S1E_T6_T7_T9_mT8_S1G_bDpT10_ENKUlT_T0_E_clISt17integral_constantIbLb1EES1T_IbLb0EEEEDaS1P_S1Q_EUlS1P_E_NS1_11comp_targetILNS1_3genE9ELNS1_11target_archE1100ELNS1_3gpuE3ELNS1_3repE0EEENS1_30default_config_static_selectorELNS0_4arch9wavefront6targetE0EEEvS12_.num_agpr, 0
	.set _ZN7rocprim17ROCPRIM_400000_NS6detail17trampoline_kernelINS0_13select_configILj256ELj13ELNS0_17block_load_methodE3ELS4_3ELS4_3ELNS0_20block_scan_algorithmE0ELj4294967295EEENS1_25partition_config_selectorILNS1_17partition_subalgoE4EjNS0_10empty_typeEbEEZZNS1_14partition_implILS8_4ELb0ES6_15HIP_vector_typeIjLj2EENS0_17counting_iteratorIjlEEPS9_SG_NS0_5tupleIJPjSI_NS0_16reverse_iteratorISI_EEEEENSH_IJSG_SG_SG_EEES9_SI_JZNS1_25segmented_radix_sort_implINS0_14default_configELb1EPKdPdPKlPlN2at6native12_GLOBAL__N_18offset_tEEE10hipError_tPvRmT1_PNSt15iterator_traitsIS12_E10value_typeET2_T3_PNS13_IS18_E10value_typeET4_jRbjT5_S1E_jjP12ihipStream_tbEUljE_ZNSN_ISO_Lb1ESQ_SR_ST_SU_SY_EESZ_S10_S11_S12_S16_S17_S18_S1B_S1C_jS1D_jS1E_S1E_jjS1G_bEUljE0_EEESZ_S10_S11_S18_S1C_S1E_T6_T7_T9_mT8_S1G_bDpT10_ENKUlT_T0_E_clISt17integral_constantIbLb1EES1T_IbLb0EEEEDaS1P_S1Q_EUlS1P_E_NS1_11comp_targetILNS1_3genE9ELNS1_11target_archE1100ELNS1_3gpuE3ELNS1_3repE0EEENS1_30default_config_static_selectorELNS0_4arch9wavefront6targetE0EEEvS12_.numbered_sgpr, 0
	.set _ZN7rocprim17ROCPRIM_400000_NS6detail17trampoline_kernelINS0_13select_configILj256ELj13ELNS0_17block_load_methodE3ELS4_3ELS4_3ELNS0_20block_scan_algorithmE0ELj4294967295EEENS1_25partition_config_selectorILNS1_17partition_subalgoE4EjNS0_10empty_typeEbEEZZNS1_14partition_implILS8_4ELb0ES6_15HIP_vector_typeIjLj2EENS0_17counting_iteratorIjlEEPS9_SG_NS0_5tupleIJPjSI_NS0_16reverse_iteratorISI_EEEEENSH_IJSG_SG_SG_EEES9_SI_JZNS1_25segmented_radix_sort_implINS0_14default_configELb1EPKdPdPKlPlN2at6native12_GLOBAL__N_18offset_tEEE10hipError_tPvRmT1_PNSt15iterator_traitsIS12_E10value_typeET2_T3_PNS13_IS18_E10value_typeET4_jRbjT5_S1E_jjP12ihipStream_tbEUljE_ZNSN_ISO_Lb1ESQ_SR_ST_SU_SY_EESZ_S10_S11_S12_S16_S17_S18_S1B_S1C_jS1D_jS1E_S1E_jjS1G_bEUljE0_EEESZ_S10_S11_S18_S1C_S1E_T6_T7_T9_mT8_S1G_bDpT10_ENKUlT_T0_E_clISt17integral_constantIbLb1EES1T_IbLb0EEEEDaS1P_S1Q_EUlS1P_E_NS1_11comp_targetILNS1_3genE9ELNS1_11target_archE1100ELNS1_3gpuE3ELNS1_3repE0EEENS1_30default_config_static_selectorELNS0_4arch9wavefront6targetE0EEEvS12_.num_named_barrier, 0
	.set _ZN7rocprim17ROCPRIM_400000_NS6detail17trampoline_kernelINS0_13select_configILj256ELj13ELNS0_17block_load_methodE3ELS4_3ELS4_3ELNS0_20block_scan_algorithmE0ELj4294967295EEENS1_25partition_config_selectorILNS1_17partition_subalgoE4EjNS0_10empty_typeEbEEZZNS1_14partition_implILS8_4ELb0ES6_15HIP_vector_typeIjLj2EENS0_17counting_iteratorIjlEEPS9_SG_NS0_5tupleIJPjSI_NS0_16reverse_iteratorISI_EEEEENSH_IJSG_SG_SG_EEES9_SI_JZNS1_25segmented_radix_sort_implINS0_14default_configELb1EPKdPdPKlPlN2at6native12_GLOBAL__N_18offset_tEEE10hipError_tPvRmT1_PNSt15iterator_traitsIS12_E10value_typeET2_T3_PNS13_IS18_E10value_typeET4_jRbjT5_S1E_jjP12ihipStream_tbEUljE_ZNSN_ISO_Lb1ESQ_SR_ST_SU_SY_EESZ_S10_S11_S12_S16_S17_S18_S1B_S1C_jS1D_jS1E_S1E_jjS1G_bEUljE0_EEESZ_S10_S11_S18_S1C_S1E_T6_T7_T9_mT8_S1G_bDpT10_ENKUlT_T0_E_clISt17integral_constantIbLb1EES1T_IbLb0EEEEDaS1P_S1Q_EUlS1P_E_NS1_11comp_targetILNS1_3genE9ELNS1_11target_archE1100ELNS1_3gpuE3ELNS1_3repE0EEENS1_30default_config_static_selectorELNS0_4arch9wavefront6targetE0EEEvS12_.private_seg_size, 0
	.set _ZN7rocprim17ROCPRIM_400000_NS6detail17trampoline_kernelINS0_13select_configILj256ELj13ELNS0_17block_load_methodE3ELS4_3ELS4_3ELNS0_20block_scan_algorithmE0ELj4294967295EEENS1_25partition_config_selectorILNS1_17partition_subalgoE4EjNS0_10empty_typeEbEEZZNS1_14partition_implILS8_4ELb0ES6_15HIP_vector_typeIjLj2EENS0_17counting_iteratorIjlEEPS9_SG_NS0_5tupleIJPjSI_NS0_16reverse_iteratorISI_EEEEENSH_IJSG_SG_SG_EEES9_SI_JZNS1_25segmented_radix_sort_implINS0_14default_configELb1EPKdPdPKlPlN2at6native12_GLOBAL__N_18offset_tEEE10hipError_tPvRmT1_PNSt15iterator_traitsIS12_E10value_typeET2_T3_PNS13_IS18_E10value_typeET4_jRbjT5_S1E_jjP12ihipStream_tbEUljE_ZNSN_ISO_Lb1ESQ_SR_ST_SU_SY_EESZ_S10_S11_S12_S16_S17_S18_S1B_S1C_jS1D_jS1E_S1E_jjS1G_bEUljE0_EEESZ_S10_S11_S18_S1C_S1E_T6_T7_T9_mT8_S1G_bDpT10_ENKUlT_T0_E_clISt17integral_constantIbLb1EES1T_IbLb0EEEEDaS1P_S1Q_EUlS1P_E_NS1_11comp_targetILNS1_3genE9ELNS1_11target_archE1100ELNS1_3gpuE3ELNS1_3repE0EEENS1_30default_config_static_selectorELNS0_4arch9wavefront6targetE0EEEvS12_.uses_vcc, 0
	.set _ZN7rocprim17ROCPRIM_400000_NS6detail17trampoline_kernelINS0_13select_configILj256ELj13ELNS0_17block_load_methodE3ELS4_3ELS4_3ELNS0_20block_scan_algorithmE0ELj4294967295EEENS1_25partition_config_selectorILNS1_17partition_subalgoE4EjNS0_10empty_typeEbEEZZNS1_14partition_implILS8_4ELb0ES6_15HIP_vector_typeIjLj2EENS0_17counting_iteratorIjlEEPS9_SG_NS0_5tupleIJPjSI_NS0_16reverse_iteratorISI_EEEEENSH_IJSG_SG_SG_EEES9_SI_JZNS1_25segmented_radix_sort_implINS0_14default_configELb1EPKdPdPKlPlN2at6native12_GLOBAL__N_18offset_tEEE10hipError_tPvRmT1_PNSt15iterator_traitsIS12_E10value_typeET2_T3_PNS13_IS18_E10value_typeET4_jRbjT5_S1E_jjP12ihipStream_tbEUljE_ZNSN_ISO_Lb1ESQ_SR_ST_SU_SY_EESZ_S10_S11_S12_S16_S17_S18_S1B_S1C_jS1D_jS1E_S1E_jjS1G_bEUljE0_EEESZ_S10_S11_S18_S1C_S1E_T6_T7_T9_mT8_S1G_bDpT10_ENKUlT_T0_E_clISt17integral_constantIbLb1EES1T_IbLb0EEEEDaS1P_S1Q_EUlS1P_E_NS1_11comp_targetILNS1_3genE9ELNS1_11target_archE1100ELNS1_3gpuE3ELNS1_3repE0EEENS1_30default_config_static_selectorELNS0_4arch9wavefront6targetE0EEEvS12_.uses_flat_scratch, 0
	.set _ZN7rocprim17ROCPRIM_400000_NS6detail17trampoline_kernelINS0_13select_configILj256ELj13ELNS0_17block_load_methodE3ELS4_3ELS4_3ELNS0_20block_scan_algorithmE0ELj4294967295EEENS1_25partition_config_selectorILNS1_17partition_subalgoE4EjNS0_10empty_typeEbEEZZNS1_14partition_implILS8_4ELb0ES6_15HIP_vector_typeIjLj2EENS0_17counting_iteratorIjlEEPS9_SG_NS0_5tupleIJPjSI_NS0_16reverse_iteratorISI_EEEEENSH_IJSG_SG_SG_EEES9_SI_JZNS1_25segmented_radix_sort_implINS0_14default_configELb1EPKdPdPKlPlN2at6native12_GLOBAL__N_18offset_tEEE10hipError_tPvRmT1_PNSt15iterator_traitsIS12_E10value_typeET2_T3_PNS13_IS18_E10value_typeET4_jRbjT5_S1E_jjP12ihipStream_tbEUljE_ZNSN_ISO_Lb1ESQ_SR_ST_SU_SY_EESZ_S10_S11_S12_S16_S17_S18_S1B_S1C_jS1D_jS1E_S1E_jjS1G_bEUljE0_EEESZ_S10_S11_S18_S1C_S1E_T6_T7_T9_mT8_S1G_bDpT10_ENKUlT_T0_E_clISt17integral_constantIbLb1EES1T_IbLb0EEEEDaS1P_S1Q_EUlS1P_E_NS1_11comp_targetILNS1_3genE9ELNS1_11target_archE1100ELNS1_3gpuE3ELNS1_3repE0EEENS1_30default_config_static_selectorELNS0_4arch9wavefront6targetE0EEEvS12_.has_dyn_sized_stack, 0
	.set _ZN7rocprim17ROCPRIM_400000_NS6detail17trampoline_kernelINS0_13select_configILj256ELj13ELNS0_17block_load_methodE3ELS4_3ELS4_3ELNS0_20block_scan_algorithmE0ELj4294967295EEENS1_25partition_config_selectorILNS1_17partition_subalgoE4EjNS0_10empty_typeEbEEZZNS1_14partition_implILS8_4ELb0ES6_15HIP_vector_typeIjLj2EENS0_17counting_iteratorIjlEEPS9_SG_NS0_5tupleIJPjSI_NS0_16reverse_iteratorISI_EEEEENSH_IJSG_SG_SG_EEES9_SI_JZNS1_25segmented_radix_sort_implINS0_14default_configELb1EPKdPdPKlPlN2at6native12_GLOBAL__N_18offset_tEEE10hipError_tPvRmT1_PNSt15iterator_traitsIS12_E10value_typeET2_T3_PNS13_IS18_E10value_typeET4_jRbjT5_S1E_jjP12ihipStream_tbEUljE_ZNSN_ISO_Lb1ESQ_SR_ST_SU_SY_EESZ_S10_S11_S12_S16_S17_S18_S1B_S1C_jS1D_jS1E_S1E_jjS1G_bEUljE0_EEESZ_S10_S11_S18_S1C_S1E_T6_T7_T9_mT8_S1G_bDpT10_ENKUlT_T0_E_clISt17integral_constantIbLb1EES1T_IbLb0EEEEDaS1P_S1Q_EUlS1P_E_NS1_11comp_targetILNS1_3genE9ELNS1_11target_archE1100ELNS1_3gpuE3ELNS1_3repE0EEENS1_30default_config_static_selectorELNS0_4arch9wavefront6targetE0EEEvS12_.has_recursion, 0
	.set _ZN7rocprim17ROCPRIM_400000_NS6detail17trampoline_kernelINS0_13select_configILj256ELj13ELNS0_17block_load_methodE3ELS4_3ELS4_3ELNS0_20block_scan_algorithmE0ELj4294967295EEENS1_25partition_config_selectorILNS1_17partition_subalgoE4EjNS0_10empty_typeEbEEZZNS1_14partition_implILS8_4ELb0ES6_15HIP_vector_typeIjLj2EENS0_17counting_iteratorIjlEEPS9_SG_NS0_5tupleIJPjSI_NS0_16reverse_iteratorISI_EEEEENSH_IJSG_SG_SG_EEES9_SI_JZNS1_25segmented_radix_sort_implINS0_14default_configELb1EPKdPdPKlPlN2at6native12_GLOBAL__N_18offset_tEEE10hipError_tPvRmT1_PNSt15iterator_traitsIS12_E10value_typeET2_T3_PNS13_IS18_E10value_typeET4_jRbjT5_S1E_jjP12ihipStream_tbEUljE_ZNSN_ISO_Lb1ESQ_SR_ST_SU_SY_EESZ_S10_S11_S12_S16_S17_S18_S1B_S1C_jS1D_jS1E_S1E_jjS1G_bEUljE0_EEESZ_S10_S11_S18_S1C_S1E_T6_T7_T9_mT8_S1G_bDpT10_ENKUlT_T0_E_clISt17integral_constantIbLb1EES1T_IbLb0EEEEDaS1P_S1Q_EUlS1P_E_NS1_11comp_targetILNS1_3genE9ELNS1_11target_archE1100ELNS1_3gpuE3ELNS1_3repE0EEENS1_30default_config_static_selectorELNS0_4arch9wavefront6targetE0EEEvS12_.has_indirect_call, 0
	.section	.AMDGPU.csdata,"",@progbits
; Kernel info:
; codeLenInByte = 0
; TotalNumSgprs: 0
; NumVgprs: 0
; ScratchSize: 0
; MemoryBound: 0
; FloatMode: 240
; IeeeMode: 1
; LDSByteSize: 0 bytes/workgroup (compile time only)
; SGPRBlocks: 0
; VGPRBlocks: 0
; NumSGPRsForWavesPerEU: 1
; NumVGPRsForWavesPerEU: 1
; Occupancy: 16
; WaveLimiterHint : 0
; COMPUTE_PGM_RSRC2:SCRATCH_EN: 0
; COMPUTE_PGM_RSRC2:USER_SGPR: 2
; COMPUTE_PGM_RSRC2:TRAP_HANDLER: 0
; COMPUTE_PGM_RSRC2:TGID_X_EN: 1
; COMPUTE_PGM_RSRC2:TGID_Y_EN: 0
; COMPUTE_PGM_RSRC2:TGID_Z_EN: 0
; COMPUTE_PGM_RSRC2:TIDIG_COMP_CNT: 0
	.section	.text._ZN7rocprim17ROCPRIM_400000_NS6detail17trampoline_kernelINS0_13select_configILj256ELj13ELNS0_17block_load_methodE3ELS4_3ELS4_3ELNS0_20block_scan_algorithmE0ELj4294967295EEENS1_25partition_config_selectorILNS1_17partition_subalgoE4EjNS0_10empty_typeEbEEZZNS1_14partition_implILS8_4ELb0ES6_15HIP_vector_typeIjLj2EENS0_17counting_iteratorIjlEEPS9_SG_NS0_5tupleIJPjSI_NS0_16reverse_iteratorISI_EEEEENSH_IJSG_SG_SG_EEES9_SI_JZNS1_25segmented_radix_sort_implINS0_14default_configELb1EPKdPdPKlPlN2at6native12_GLOBAL__N_18offset_tEEE10hipError_tPvRmT1_PNSt15iterator_traitsIS12_E10value_typeET2_T3_PNS13_IS18_E10value_typeET4_jRbjT5_S1E_jjP12ihipStream_tbEUljE_ZNSN_ISO_Lb1ESQ_SR_ST_SU_SY_EESZ_S10_S11_S12_S16_S17_S18_S1B_S1C_jS1D_jS1E_S1E_jjS1G_bEUljE0_EEESZ_S10_S11_S18_S1C_S1E_T6_T7_T9_mT8_S1G_bDpT10_ENKUlT_T0_E_clISt17integral_constantIbLb1EES1T_IbLb0EEEEDaS1P_S1Q_EUlS1P_E_NS1_11comp_targetILNS1_3genE8ELNS1_11target_archE1030ELNS1_3gpuE2ELNS1_3repE0EEENS1_30default_config_static_selectorELNS0_4arch9wavefront6targetE0EEEvS12_,"axG",@progbits,_ZN7rocprim17ROCPRIM_400000_NS6detail17trampoline_kernelINS0_13select_configILj256ELj13ELNS0_17block_load_methodE3ELS4_3ELS4_3ELNS0_20block_scan_algorithmE0ELj4294967295EEENS1_25partition_config_selectorILNS1_17partition_subalgoE4EjNS0_10empty_typeEbEEZZNS1_14partition_implILS8_4ELb0ES6_15HIP_vector_typeIjLj2EENS0_17counting_iteratorIjlEEPS9_SG_NS0_5tupleIJPjSI_NS0_16reverse_iteratorISI_EEEEENSH_IJSG_SG_SG_EEES9_SI_JZNS1_25segmented_radix_sort_implINS0_14default_configELb1EPKdPdPKlPlN2at6native12_GLOBAL__N_18offset_tEEE10hipError_tPvRmT1_PNSt15iterator_traitsIS12_E10value_typeET2_T3_PNS13_IS18_E10value_typeET4_jRbjT5_S1E_jjP12ihipStream_tbEUljE_ZNSN_ISO_Lb1ESQ_SR_ST_SU_SY_EESZ_S10_S11_S12_S16_S17_S18_S1B_S1C_jS1D_jS1E_S1E_jjS1G_bEUljE0_EEESZ_S10_S11_S18_S1C_S1E_T6_T7_T9_mT8_S1G_bDpT10_ENKUlT_T0_E_clISt17integral_constantIbLb1EES1T_IbLb0EEEEDaS1P_S1Q_EUlS1P_E_NS1_11comp_targetILNS1_3genE8ELNS1_11target_archE1030ELNS1_3gpuE2ELNS1_3repE0EEENS1_30default_config_static_selectorELNS0_4arch9wavefront6targetE0EEEvS12_,comdat
	.globl	_ZN7rocprim17ROCPRIM_400000_NS6detail17trampoline_kernelINS0_13select_configILj256ELj13ELNS0_17block_load_methodE3ELS4_3ELS4_3ELNS0_20block_scan_algorithmE0ELj4294967295EEENS1_25partition_config_selectorILNS1_17partition_subalgoE4EjNS0_10empty_typeEbEEZZNS1_14partition_implILS8_4ELb0ES6_15HIP_vector_typeIjLj2EENS0_17counting_iteratorIjlEEPS9_SG_NS0_5tupleIJPjSI_NS0_16reverse_iteratorISI_EEEEENSH_IJSG_SG_SG_EEES9_SI_JZNS1_25segmented_radix_sort_implINS0_14default_configELb1EPKdPdPKlPlN2at6native12_GLOBAL__N_18offset_tEEE10hipError_tPvRmT1_PNSt15iterator_traitsIS12_E10value_typeET2_T3_PNS13_IS18_E10value_typeET4_jRbjT5_S1E_jjP12ihipStream_tbEUljE_ZNSN_ISO_Lb1ESQ_SR_ST_SU_SY_EESZ_S10_S11_S12_S16_S17_S18_S1B_S1C_jS1D_jS1E_S1E_jjS1G_bEUljE0_EEESZ_S10_S11_S18_S1C_S1E_T6_T7_T9_mT8_S1G_bDpT10_ENKUlT_T0_E_clISt17integral_constantIbLb1EES1T_IbLb0EEEEDaS1P_S1Q_EUlS1P_E_NS1_11comp_targetILNS1_3genE8ELNS1_11target_archE1030ELNS1_3gpuE2ELNS1_3repE0EEENS1_30default_config_static_selectorELNS0_4arch9wavefront6targetE0EEEvS12_ ; -- Begin function _ZN7rocprim17ROCPRIM_400000_NS6detail17trampoline_kernelINS0_13select_configILj256ELj13ELNS0_17block_load_methodE3ELS4_3ELS4_3ELNS0_20block_scan_algorithmE0ELj4294967295EEENS1_25partition_config_selectorILNS1_17partition_subalgoE4EjNS0_10empty_typeEbEEZZNS1_14partition_implILS8_4ELb0ES6_15HIP_vector_typeIjLj2EENS0_17counting_iteratorIjlEEPS9_SG_NS0_5tupleIJPjSI_NS0_16reverse_iteratorISI_EEEEENSH_IJSG_SG_SG_EEES9_SI_JZNS1_25segmented_radix_sort_implINS0_14default_configELb1EPKdPdPKlPlN2at6native12_GLOBAL__N_18offset_tEEE10hipError_tPvRmT1_PNSt15iterator_traitsIS12_E10value_typeET2_T3_PNS13_IS18_E10value_typeET4_jRbjT5_S1E_jjP12ihipStream_tbEUljE_ZNSN_ISO_Lb1ESQ_SR_ST_SU_SY_EESZ_S10_S11_S12_S16_S17_S18_S1B_S1C_jS1D_jS1E_S1E_jjS1G_bEUljE0_EEESZ_S10_S11_S18_S1C_S1E_T6_T7_T9_mT8_S1G_bDpT10_ENKUlT_T0_E_clISt17integral_constantIbLb1EES1T_IbLb0EEEEDaS1P_S1Q_EUlS1P_E_NS1_11comp_targetILNS1_3genE8ELNS1_11target_archE1030ELNS1_3gpuE2ELNS1_3repE0EEENS1_30default_config_static_selectorELNS0_4arch9wavefront6targetE0EEEvS12_
	.p2align	8
	.type	_ZN7rocprim17ROCPRIM_400000_NS6detail17trampoline_kernelINS0_13select_configILj256ELj13ELNS0_17block_load_methodE3ELS4_3ELS4_3ELNS0_20block_scan_algorithmE0ELj4294967295EEENS1_25partition_config_selectorILNS1_17partition_subalgoE4EjNS0_10empty_typeEbEEZZNS1_14partition_implILS8_4ELb0ES6_15HIP_vector_typeIjLj2EENS0_17counting_iteratorIjlEEPS9_SG_NS0_5tupleIJPjSI_NS0_16reverse_iteratorISI_EEEEENSH_IJSG_SG_SG_EEES9_SI_JZNS1_25segmented_radix_sort_implINS0_14default_configELb1EPKdPdPKlPlN2at6native12_GLOBAL__N_18offset_tEEE10hipError_tPvRmT1_PNSt15iterator_traitsIS12_E10value_typeET2_T3_PNS13_IS18_E10value_typeET4_jRbjT5_S1E_jjP12ihipStream_tbEUljE_ZNSN_ISO_Lb1ESQ_SR_ST_SU_SY_EESZ_S10_S11_S12_S16_S17_S18_S1B_S1C_jS1D_jS1E_S1E_jjS1G_bEUljE0_EEESZ_S10_S11_S18_S1C_S1E_T6_T7_T9_mT8_S1G_bDpT10_ENKUlT_T0_E_clISt17integral_constantIbLb1EES1T_IbLb0EEEEDaS1P_S1Q_EUlS1P_E_NS1_11comp_targetILNS1_3genE8ELNS1_11target_archE1030ELNS1_3gpuE2ELNS1_3repE0EEENS1_30default_config_static_selectorELNS0_4arch9wavefront6targetE0EEEvS12_,@function
_ZN7rocprim17ROCPRIM_400000_NS6detail17trampoline_kernelINS0_13select_configILj256ELj13ELNS0_17block_load_methodE3ELS4_3ELS4_3ELNS0_20block_scan_algorithmE0ELj4294967295EEENS1_25partition_config_selectorILNS1_17partition_subalgoE4EjNS0_10empty_typeEbEEZZNS1_14partition_implILS8_4ELb0ES6_15HIP_vector_typeIjLj2EENS0_17counting_iteratorIjlEEPS9_SG_NS0_5tupleIJPjSI_NS0_16reverse_iteratorISI_EEEEENSH_IJSG_SG_SG_EEES9_SI_JZNS1_25segmented_radix_sort_implINS0_14default_configELb1EPKdPdPKlPlN2at6native12_GLOBAL__N_18offset_tEEE10hipError_tPvRmT1_PNSt15iterator_traitsIS12_E10value_typeET2_T3_PNS13_IS18_E10value_typeET4_jRbjT5_S1E_jjP12ihipStream_tbEUljE_ZNSN_ISO_Lb1ESQ_SR_ST_SU_SY_EESZ_S10_S11_S12_S16_S17_S18_S1B_S1C_jS1D_jS1E_S1E_jjS1G_bEUljE0_EEESZ_S10_S11_S18_S1C_S1E_T6_T7_T9_mT8_S1G_bDpT10_ENKUlT_T0_E_clISt17integral_constantIbLb1EES1T_IbLb0EEEEDaS1P_S1Q_EUlS1P_E_NS1_11comp_targetILNS1_3genE8ELNS1_11target_archE1030ELNS1_3gpuE2ELNS1_3repE0EEENS1_30default_config_static_selectorELNS0_4arch9wavefront6targetE0EEEvS12_: ; @_ZN7rocprim17ROCPRIM_400000_NS6detail17trampoline_kernelINS0_13select_configILj256ELj13ELNS0_17block_load_methodE3ELS4_3ELS4_3ELNS0_20block_scan_algorithmE0ELj4294967295EEENS1_25partition_config_selectorILNS1_17partition_subalgoE4EjNS0_10empty_typeEbEEZZNS1_14partition_implILS8_4ELb0ES6_15HIP_vector_typeIjLj2EENS0_17counting_iteratorIjlEEPS9_SG_NS0_5tupleIJPjSI_NS0_16reverse_iteratorISI_EEEEENSH_IJSG_SG_SG_EEES9_SI_JZNS1_25segmented_radix_sort_implINS0_14default_configELb1EPKdPdPKlPlN2at6native12_GLOBAL__N_18offset_tEEE10hipError_tPvRmT1_PNSt15iterator_traitsIS12_E10value_typeET2_T3_PNS13_IS18_E10value_typeET4_jRbjT5_S1E_jjP12ihipStream_tbEUljE_ZNSN_ISO_Lb1ESQ_SR_ST_SU_SY_EESZ_S10_S11_S12_S16_S17_S18_S1B_S1C_jS1D_jS1E_S1E_jjS1G_bEUljE0_EEESZ_S10_S11_S18_S1C_S1E_T6_T7_T9_mT8_S1G_bDpT10_ENKUlT_T0_E_clISt17integral_constantIbLb1EES1T_IbLb0EEEEDaS1P_S1Q_EUlS1P_E_NS1_11comp_targetILNS1_3genE8ELNS1_11target_archE1030ELNS1_3gpuE2ELNS1_3repE0EEENS1_30default_config_static_selectorELNS0_4arch9wavefront6targetE0EEEvS12_
; %bb.0:
	.section	.rodata,"a",@progbits
	.p2align	6, 0x0
	.amdhsa_kernel _ZN7rocprim17ROCPRIM_400000_NS6detail17trampoline_kernelINS0_13select_configILj256ELj13ELNS0_17block_load_methodE3ELS4_3ELS4_3ELNS0_20block_scan_algorithmE0ELj4294967295EEENS1_25partition_config_selectorILNS1_17partition_subalgoE4EjNS0_10empty_typeEbEEZZNS1_14partition_implILS8_4ELb0ES6_15HIP_vector_typeIjLj2EENS0_17counting_iteratorIjlEEPS9_SG_NS0_5tupleIJPjSI_NS0_16reverse_iteratorISI_EEEEENSH_IJSG_SG_SG_EEES9_SI_JZNS1_25segmented_radix_sort_implINS0_14default_configELb1EPKdPdPKlPlN2at6native12_GLOBAL__N_18offset_tEEE10hipError_tPvRmT1_PNSt15iterator_traitsIS12_E10value_typeET2_T3_PNS13_IS18_E10value_typeET4_jRbjT5_S1E_jjP12ihipStream_tbEUljE_ZNSN_ISO_Lb1ESQ_SR_ST_SU_SY_EESZ_S10_S11_S12_S16_S17_S18_S1B_S1C_jS1D_jS1E_S1E_jjS1G_bEUljE0_EEESZ_S10_S11_S18_S1C_S1E_T6_T7_T9_mT8_S1G_bDpT10_ENKUlT_T0_E_clISt17integral_constantIbLb1EES1T_IbLb0EEEEDaS1P_S1Q_EUlS1P_E_NS1_11comp_targetILNS1_3genE8ELNS1_11target_archE1030ELNS1_3gpuE2ELNS1_3repE0EEENS1_30default_config_static_selectorELNS0_4arch9wavefront6targetE0EEEvS12_
		.amdhsa_group_segment_fixed_size 0
		.amdhsa_private_segment_fixed_size 0
		.amdhsa_kernarg_size 176
		.amdhsa_user_sgpr_count 2
		.amdhsa_user_sgpr_dispatch_ptr 0
		.amdhsa_user_sgpr_queue_ptr 0
		.amdhsa_user_sgpr_kernarg_segment_ptr 1
		.amdhsa_user_sgpr_dispatch_id 0
		.amdhsa_user_sgpr_private_segment_size 0
		.amdhsa_wavefront_size32 1
		.amdhsa_uses_dynamic_stack 0
		.amdhsa_enable_private_segment 0
		.amdhsa_system_sgpr_workgroup_id_x 1
		.amdhsa_system_sgpr_workgroup_id_y 0
		.amdhsa_system_sgpr_workgroup_id_z 0
		.amdhsa_system_sgpr_workgroup_info 0
		.amdhsa_system_vgpr_workitem_id 0
		.amdhsa_next_free_vgpr 1
		.amdhsa_next_free_sgpr 1
		.amdhsa_reserve_vcc 0
		.amdhsa_float_round_mode_32 0
		.amdhsa_float_round_mode_16_64 0
		.amdhsa_float_denorm_mode_32 3
		.amdhsa_float_denorm_mode_16_64 3
		.amdhsa_fp16_overflow 0
		.amdhsa_workgroup_processor_mode 1
		.amdhsa_memory_ordered 1
		.amdhsa_forward_progress 1
		.amdhsa_inst_pref_size 0
		.amdhsa_round_robin_scheduling 0
		.amdhsa_exception_fp_ieee_invalid_op 0
		.amdhsa_exception_fp_denorm_src 0
		.amdhsa_exception_fp_ieee_div_zero 0
		.amdhsa_exception_fp_ieee_overflow 0
		.amdhsa_exception_fp_ieee_underflow 0
		.amdhsa_exception_fp_ieee_inexact 0
		.amdhsa_exception_int_div_zero 0
	.end_amdhsa_kernel
	.section	.text._ZN7rocprim17ROCPRIM_400000_NS6detail17trampoline_kernelINS0_13select_configILj256ELj13ELNS0_17block_load_methodE3ELS4_3ELS4_3ELNS0_20block_scan_algorithmE0ELj4294967295EEENS1_25partition_config_selectorILNS1_17partition_subalgoE4EjNS0_10empty_typeEbEEZZNS1_14partition_implILS8_4ELb0ES6_15HIP_vector_typeIjLj2EENS0_17counting_iteratorIjlEEPS9_SG_NS0_5tupleIJPjSI_NS0_16reverse_iteratorISI_EEEEENSH_IJSG_SG_SG_EEES9_SI_JZNS1_25segmented_radix_sort_implINS0_14default_configELb1EPKdPdPKlPlN2at6native12_GLOBAL__N_18offset_tEEE10hipError_tPvRmT1_PNSt15iterator_traitsIS12_E10value_typeET2_T3_PNS13_IS18_E10value_typeET4_jRbjT5_S1E_jjP12ihipStream_tbEUljE_ZNSN_ISO_Lb1ESQ_SR_ST_SU_SY_EESZ_S10_S11_S12_S16_S17_S18_S1B_S1C_jS1D_jS1E_S1E_jjS1G_bEUljE0_EEESZ_S10_S11_S18_S1C_S1E_T6_T7_T9_mT8_S1G_bDpT10_ENKUlT_T0_E_clISt17integral_constantIbLb1EES1T_IbLb0EEEEDaS1P_S1Q_EUlS1P_E_NS1_11comp_targetILNS1_3genE8ELNS1_11target_archE1030ELNS1_3gpuE2ELNS1_3repE0EEENS1_30default_config_static_selectorELNS0_4arch9wavefront6targetE0EEEvS12_,"axG",@progbits,_ZN7rocprim17ROCPRIM_400000_NS6detail17trampoline_kernelINS0_13select_configILj256ELj13ELNS0_17block_load_methodE3ELS4_3ELS4_3ELNS0_20block_scan_algorithmE0ELj4294967295EEENS1_25partition_config_selectorILNS1_17partition_subalgoE4EjNS0_10empty_typeEbEEZZNS1_14partition_implILS8_4ELb0ES6_15HIP_vector_typeIjLj2EENS0_17counting_iteratorIjlEEPS9_SG_NS0_5tupleIJPjSI_NS0_16reverse_iteratorISI_EEEEENSH_IJSG_SG_SG_EEES9_SI_JZNS1_25segmented_radix_sort_implINS0_14default_configELb1EPKdPdPKlPlN2at6native12_GLOBAL__N_18offset_tEEE10hipError_tPvRmT1_PNSt15iterator_traitsIS12_E10value_typeET2_T3_PNS13_IS18_E10value_typeET4_jRbjT5_S1E_jjP12ihipStream_tbEUljE_ZNSN_ISO_Lb1ESQ_SR_ST_SU_SY_EESZ_S10_S11_S12_S16_S17_S18_S1B_S1C_jS1D_jS1E_S1E_jjS1G_bEUljE0_EEESZ_S10_S11_S18_S1C_S1E_T6_T7_T9_mT8_S1G_bDpT10_ENKUlT_T0_E_clISt17integral_constantIbLb1EES1T_IbLb0EEEEDaS1P_S1Q_EUlS1P_E_NS1_11comp_targetILNS1_3genE8ELNS1_11target_archE1030ELNS1_3gpuE2ELNS1_3repE0EEENS1_30default_config_static_selectorELNS0_4arch9wavefront6targetE0EEEvS12_,comdat
.Lfunc_end1077:
	.size	_ZN7rocprim17ROCPRIM_400000_NS6detail17trampoline_kernelINS0_13select_configILj256ELj13ELNS0_17block_load_methodE3ELS4_3ELS4_3ELNS0_20block_scan_algorithmE0ELj4294967295EEENS1_25partition_config_selectorILNS1_17partition_subalgoE4EjNS0_10empty_typeEbEEZZNS1_14partition_implILS8_4ELb0ES6_15HIP_vector_typeIjLj2EENS0_17counting_iteratorIjlEEPS9_SG_NS0_5tupleIJPjSI_NS0_16reverse_iteratorISI_EEEEENSH_IJSG_SG_SG_EEES9_SI_JZNS1_25segmented_radix_sort_implINS0_14default_configELb1EPKdPdPKlPlN2at6native12_GLOBAL__N_18offset_tEEE10hipError_tPvRmT1_PNSt15iterator_traitsIS12_E10value_typeET2_T3_PNS13_IS18_E10value_typeET4_jRbjT5_S1E_jjP12ihipStream_tbEUljE_ZNSN_ISO_Lb1ESQ_SR_ST_SU_SY_EESZ_S10_S11_S12_S16_S17_S18_S1B_S1C_jS1D_jS1E_S1E_jjS1G_bEUljE0_EEESZ_S10_S11_S18_S1C_S1E_T6_T7_T9_mT8_S1G_bDpT10_ENKUlT_T0_E_clISt17integral_constantIbLb1EES1T_IbLb0EEEEDaS1P_S1Q_EUlS1P_E_NS1_11comp_targetILNS1_3genE8ELNS1_11target_archE1030ELNS1_3gpuE2ELNS1_3repE0EEENS1_30default_config_static_selectorELNS0_4arch9wavefront6targetE0EEEvS12_, .Lfunc_end1077-_ZN7rocprim17ROCPRIM_400000_NS6detail17trampoline_kernelINS0_13select_configILj256ELj13ELNS0_17block_load_methodE3ELS4_3ELS4_3ELNS0_20block_scan_algorithmE0ELj4294967295EEENS1_25partition_config_selectorILNS1_17partition_subalgoE4EjNS0_10empty_typeEbEEZZNS1_14partition_implILS8_4ELb0ES6_15HIP_vector_typeIjLj2EENS0_17counting_iteratorIjlEEPS9_SG_NS0_5tupleIJPjSI_NS0_16reverse_iteratorISI_EEEEENSH_IJSG_SG_SG_EEES9_SI_JZNS1_25segmented_radix_sort_implINS0_14default_configELb1EPKdPdPKlPlN2at6native12_GLOBAL__N_18offset_tEEE10hipError_tPvRmT1_PNSt15iterator_traitsIS12_E10value_typeET2_T3_PNS13_IS18_E10value_typeET4_jRbjT5_S1E_jjP12ihipStream_tbEUljE_ZNSN_ISO_Lb1ESQ_SR_ST_SU_SY_EESZ_S10_S11_S12_S16_S17_S18_S1B_S1C_jS1D_jS1E_S1E_jjS1G_bEUljE0_EEESZ_S10_S11_S18_S1C_S1E_T6_T7_T9_mT8_S1G_bDpT10_ENKUlT_T0_E_clISt17integral_constantIbLb1EES1T_IbLb0EEEEDaS1P_S1Q_EUlS1P_E_NS1_11comp_targetILNS1_3genE8ELNS1_11target_archE1030ELNS1_3gpuE2ELNS1_3repE0EEENS1_30default_config_static_selectorELNS0_4arch9wavefront6targetE0EEEvS12_
                                        ; -- End function
	.set _ZN7rocprim17ROCPRIM_400000_NS6detail17trampoline_kernelINS0_13select_configILj256ELj13ELNS0_17block_load_methodE3ELS4_3ELS4_3ELNS0_20block_scan_algorithmE0ELj4294967295EEENS1_25partition_config_selectorILNS1_17partition_subalgoE4EjNS0_10empty_typeEbEEZZNS1_14partition_implILS8_4ELb0ES6_15HIP_vector_typeIjLj2EENS0_17counting_iteratorIjlEEPS9_SG_NS0_5tupleIJPjSI_NS0_16reverse_iteratorISI_EEEEENSH_IJSG_SG_SG_EEES9_SI_JZNS1_25segmented_radix_sort_implINS0_14default_configELb1EPKdPdPKlPlN2at6native12_GLOBAL__N_18offset_tEEE10hipError_tPvRmT1_PNSt15iterator_traitsIS12_E10value_typeET2_T3_PNS13_IS18_E10value_typeET4_jRbjT5_S1E_jjP12ihipStream_tbEUljE_ZNSN_ISO_Lb1ESQ_SR_ST_SU_SY_EESZ_S10_S11_S12_S16_S17_S18_S1B_S1C_jS1D_jS1E_S1E_jjS1G_bEUljE0_EEESZ_S10_S11_S18_S1C_S1E_T6_T7_T9_mT8_S1G_bDpT10_ENKUlT_T0_E_clISt17integral_constantIbLb1EES1T_IbLb0EEEEDaS1P_S1Q_EUlS1P_E_NS1_11comp_targetILNS1_3genE8ELNS1_11target_archE1030ELNS1_3gpuE2ELNS1_3repE0EEENS1_30default_config_static_selectorELNS0_4arch9wavefront6targetE0EEEvS12_.num_vgpr, 0
	.set _ZN7rocprim17ROCPRIM_400000_NS6detail17trampoline_kernelINS0_13select_configILj256ELj13ELNS0_17block_load_methodE3ELS4_3ELS4_3ELNS0_20block_scan_algorithmE0ELj4294967295EEENS1_25partition_config_selectorILNS1_17partition_subalgoE4EjNS0_10empty_typeEbEEZZNS1_14partition_implILS8_4ELb0ES6_15HIP_vector_typeIjLj2EENS0_17counting_iteratorIjlEEPS9_SG_NS0_5tupleIJPjSI_NS0_16reverse_iteratorISI_EEEEENSH_IJSG_SG_SG_EEES9_SI_JZNS1_25segmented_radix_sort_implINS0_14default_configELb1EPKdPdPKlPlN2at6native12_GLOBAL__N_18offset_tEEE10hipError_tPvRmT1_PNSt15iterator_traitsIS12_E10value_typeET2_T3_PNS13_IS18_E10value_typeET4_jRbjT5_S1E_jjP12ihipStream_tbEUljE_ZNSN_ISO_Lb1ESQ_SR_ST_SU_SY_EESZ_S10_S11_S12_S16_S17_S18_S1B_S1C_jS1D_jS1E_S1E_jjS1G_bEUljE0_EEESZ_S10_S11_S18_S1C_S1E_T6_T7_T9_mT8_S1G_bDpT10_ENKUlT_T0_E_clISt17integral_constantIbLb1EES1T_IbLb0EEEEDaS1P_S1Q_EUlS1P_E_NS1_11comp_targetILNS1_3genE8ELNS1_11target_archE1030ELNS1_3gpuE2ELNS1_3repE0EEENS1_30default_config_static_selectorELNS0_4arch9wavefront6targetE0EEEvS12_.num_agpr, 0
	.set _ZN7rocprim17ROCPRIM_400000_NS6detail17trampoline_kernelINS0_13select_configILj256ELj13ELNS0_17block_load_methodE3ELS4_3ELS4_3ELNS0_20block_scan_algorithmE0ELj4294967295EEENS1_25partition_config_selectorILNS1_17partition_subalgoE4EjNS0_10empty_typeEbEEZZNS1_14partition_implILS8_4ELb0ES6_15HIP_vector_typeIjLj2EENS0_17counting_iteratorIjlEEPS9_SG_NS0_5tupleIJPjSI_NS0_16reverse_iteratorISI_EEEEENSH_IJSG_SG_SG_EEES9_SI_JZNS1_25segmented_radix_sort_implINS0_14default_configELb1EPKdPdPKlPlN2at6native12_GLOBAL__N_18offset_tEEE10hipError_tPvRmT1_PNSt15iterator_traitsIS12_E10value_typeET2_T3_PNS13_IS18_E10value_typeET4_jRbjT5_S1E_jjP12ihipStream_tbEUljE_ZNSN_ISO_Lb1ESQ_SR_ST_SU_SY_EESZ_S10_S11_S12_S16_S17_S18_S1B_S1C_jS1D_jS1E_S1E_jjS1G_bEUljE0_EEESZ_S10_S11_S18_S1C_S1E_T6_T7_T9_mT8_S1G_bDpT10_ENKUlT_T0_E_clISt17integral_constantIbLb1EES1T_IbLb0EEEEDaS1P_S1Q_EUlS1P_E_NS1_11comp_targetILNS1_3genE8ELNS1_11target_archE1030ELNS1_3gpuE2ELNS1_3repE0EEENS1_30default_config_static_selectorELNS0_4arch9wavefront6targetE0EEEvS12_.numbered_sgpr, 0
	.set _ZN7rocprim17ROCPRIM_400000_NS6detail17trampoline_kernelINS0_13select_configILj256ELj13ELNS0_17block_load_methodE3ELS4_3ELS4_3ELNS0_20block_scan_algorithmE0ELj4294967295EEENS1_25partition_config_selectorILNS1_17partition_subalgoE4EjNS0_10empty_typeEbEEZZNS1_14partition_implILS8_4ELb0ES6_15HIP_vector_typeIjLj2EENS0_17counting_iteratorIjlEEPS9_SG_NS0_5tupleIJPjSI_NS0_16reverse_iteratorISI_EEEEENSH_IJSG_SG_SG_EEES9_SI_JZNS1_25segmented_radix_sort_implINS0_14default_configELb1EPKdPdPKlPlN2at6native12_GLOBAL__N_18offset_tEEE10hipError_tPvRmT1_PNSt15iterator_traitsIS12_E10value_typeET2_T3_PNS13_IS18_E10value_typeET4_jRbjT5_S1E_jjP12ihipStream_tbEUljE_ZNSN_ISO_Lb1ESQ_SR_ST_SU_SY_EESZ_S10_S11_S12_S16_S17_S18_S1B_S1C_jS1D_jS1E_S1E_jjS1G_bEUljE0_EEESZ_S10_S11_S18_S1C_S1E_T6_T7_T9_mT8_S1G_bDpT10_ENKUlT_T0_E_clISt17integral_constantIbLb1EES1T_IbLb0EEEEDaS1P_S1Q_EUlS1P_E_NS1_11comp_targetILNS1_3genE8ELNS1_11target_archE1030ELNS1_3gpuE2ELNS1_3repE0EEENS1_30default_config_static_selectorELNS0_4arch9wavefront6targetE0EEEvS12_.num_named_barrier, 0
	.set _ZN7rocprim17ROCPRIM_400000_NS6detail17trampoline_kernelINS0_13select_configILj256ELj13ELNS0_17block_load_methodE3ELS4_3ELS4_3ELNS0_20block_scan_algorithmE0ELj4294967295EEENS1_25partition_config_selectorILNS1_17partition_subalgoE4EjNS0_10empty_typeEbEEZZNS1_14partition_implILS8_4ELb0ES6_15HIP_vector_typeIjLj2EENS0_17counting_iteratorIjlEEPS9_SG_NS0_5tupleIJPjSI_NS0_16reverse_iteratorISI_EEEEENSH_IJSG_SG_SG_EEES9_SI_JZNS1_25segmented_radix_sort_implINS0_14default_configELb1EPKdPdPKlPlN2at6native12_GLOBAL__N_18offset_tEEE10hipError_tPvRmT1_PNSt15iterator_traitsIS12_E10value_typeET2_T3_PNS13_IS18_E10value_typeET4_jRbjT5_S1E_jjP12ihipStream_tbEUljE_ZNSN_ISO_Lb1ESQ_SR_ST_SU_SY_EESZ_S10_S11_S12_S16_S17_S18_S1B_S1C_jS1D_jS1E_S1E_jjS1G_bEUljE0_EEESZ_S10_S11_S18_S1C_S1E_T6_T7_T9_mT8_S1G_bDpT10_ENKUlT_T0_E_clISt17integral_constantIbLb1EES1T_IbLb0EEEEDaS1P_S1Q_EUlS1P_E_NS1_11comp_targetILNS1_3genE8ELNS1_11target_archE1030ELNS1_3gpuE2ELNS1_3repE0EEENS1_30default_config_static_selectorELNS0_4arch9wavefront6targetE0EEEvS12_.private_seg_size, 0
	.set _ZN7rocprim17ROCPRIM_400000_NS6detail17trampoline_kernelINS0_13select_configILj256ELj13ELNS0_17block_load_methodE3ELS4_3ELS4_3ELNS0_20block_scan_algorithmE0ELj4294967295EEENS1_25partition_config_selectorILNS1_17partition_subalgoE4EjNS0_10empty_typeEbEEZZNS1_14partition_implILS8_4ELb0ES6_15HIP_vector_typeIjLj2EENS0_17counting_iteratorIjlEEPS9_SG_NS0_5tupleIJPjSI_NS0_16reverse_iteratorISI_EEEEENSH_IJSG_SG_SG_EEES9_SI_JZNS1_25segmented_radix_sort_implINS0_14default_configELb1EPKdPdPKlPlN2at6native12_GLOBAL__N_18offset_tEEE10hipError_tPvRmT1_PNSt15iterator_traitsIS12_E10value_typeET2_T3_PNS13_IS18_E10value_typeET4_jRbjT5_S1E_jjP12ihipStream_tbEUljE_ZNSN_ISO_Lb1ESQ_SR_ST_SU_SY_EESZ_S10_S11_S12_S16_S17_S18_S1B_S1C_jS1D_jS1E_S1E_jjS1G_bEUljE0_EEESZ_S10_S11_S18_S1C_S1E_T6_T7_T9_mT8_S1G_bDpT10_ENKUlT_T0_E_clISt17integral_constantIbLb1EES1T_IbLb0EEEEDaS1P_S1Q_EUlS1P_E_NS1_11comp_targetILNS1_3genE8ELNS1_11target_archE1030ELNS1_3gpuE2ELNS1_3repE0EEENS1_30default_config_static_selectorELNS0_4arch9wavefront6targetE0EEEvS12_.uses_vcc, 0
	.set _ZN7rocprim17ROCPRIM_400000_NS6detail17trampoline_kernelINS0_13select_configILj256ELj13ELNS0_17block_load_methodE3ELS4_3ELS4_3ELNS0_20block_scan_algorithmE0ELj4294967295EEENS1_25partition_config_selectorILNS1_17partition_subalgoE4EjNS0_10empty_typeEbEEZZNS1_14partition_implILS8_4ELb0ES6_15HIP_vector_typeIjLj2EENS0_17counting_iteratorIjlEEPS9_SG_NS0_5tupleIJPjSI_NS0_16reverse_iteratorISI_EEEEENSH_IJSG_SG_SG_EEES9_SI_JZNS1_25segmented_radix_sort_implINS0_14default_configELb1EPKdPdPKlPlN2at6native12_GLOBAL__N_18offset_tEEE10hipError_tPvRmT1_PNSt15iterator_traitsIS12_E10value_typeET2_T3_PNS13_IS18_E10value_typeET4_jRbjT5_S1E_jjP12ihipStream_tbEUljE_ZNSN_ISO_Lb1ESQ_SR_ST_SU_SY_EESZ_S10_S11_S12_S16_S17_S18_S1B_S1C_jS1D_jS1E_S1E_jjS1G_bEUljE0_EEESZ_S10_S11_S18_S1C_S1E_T6_T7_T9_mT8_S1G_bDpT10_ENKUlT_T0_E_clISt17integral_constantIbLb1EES1T_IbLb0EEEEDaS1P_S1Q_EUlS1P_E_NS1_11comp_targetILNS1_3genE8ELNS1_11target_archE1030ELNS1_3gpuE2ELNS1_3repE0EEENS1_30default_config_static_selectorELNS0_4arch9wavefront6targetE0EEEvS12_.uses_flat_scratch, 0
	.set _ZN7rocprim17ROCPRIM_400000_NS6detail17trampoline_kernelINS0_13select_configILj256ELj13ELNS0_17block_load_methodE3ELS4_3ELS4_3ELNS0_20block_scan_algorithmE0ELj4294967295EEENS1_25partition_config_selectorILNS1_17partition_subalgoE4EjNS0_10empty_typeEbEEZZNS1_14partition_implILS8_4ELb0ES6_15HIP_vector_typeIjLj2EENS0_17counting_iteratorIjlEEPS9_SG_NS0_5tupleIJPjSI_NS0_16reverse_iteratorISI_EEEEENSH_IJSG_SG_SG_EEES9_SI_JZNS1_25segmented_radix_sort_implINS0_14default_configELb1EPKdPdPKlPlN2at6native12_GLOBAL__N_18offset_tEEE10hipError_tPvRmT1_PNSt15iterator_traitsIS12_E10value_typeET2_T3_PNS13_IS18_E10value_typeET4_jRbjT5_S1E_jjP12ihipStream_tbEUljE_ZNSN_ISO_Lb1ESQ_SR_ST_SU_SY_EESZ_S10_S11_S12_S16_S17_S18_S1B_S1C_jS1D_jS1E_S1E_jjS1G_bEUljE0_EEESZ_S10_S11_S18_S1C_S1E_T6_T7_T9_mT8_S1G_bDpT10_ENKUlT_T0_E_clISt17integral_constantIbLb1EES1T_IbLb0EEEEDaS1P_S1Q_EUlS1P_E_NS1_11comp_targetILNS1_3genE8ELNS1_11target_archE1030ELNS1_3gpuE2ELNS1_3repE0EEENS1_30default_config_static_selectorELNS0_4arch9wavefront6targetE0EEEvS12_.has_dyn_sized_stack, 0
	.set _ZN7rocprim17ROCPRIM_400000_NS6detail17trampoline_kernelINS0_13select_configILj256ELj13ELNS0_17block_load_methodE3ELS4_3ELS4_3ELNS0_20block_scan_algorithmE0ELj4294967295EEENS1_25partition_config_selectorILNS1_17partition_subalgoE4EjNS0_10empty_typeEbEEZZNS1_14partition_implILS8_4ELb0ES6_15HIP_vector_typeIjLj2EENS0_17counting_iteratorIjlEEPS9_SG_NS0_5tupleIJPjSI_NS0_16reverse_iteratorISI_EEEEENSH_IJSG_SG_SG_EEES9_SI_JZNS1_25segmented_radix_sort_implINS0_14default_configELb1EPKdPdPKlPlN2at6native12_GLOBAL__N_18offset_tEEE10hipError_tPvRmT1_PNSt15iterator_traitsIS12_E10value_typeET2_T3_PNS13_IS18_E10value_typeET4_jRbjT5_S1E_jjP12ihipStream_tbEUljE_ZNSN_ISO_Lb1ESQ_SR_ST_SU_SY_EESZ_S10_S11_S12_S16_S17_S18_S1B_S1C_jS1D_jS1E_S1E_jjS1G_bEUljE0_EEESZ_S10_S11_S18_S1C_S1E_T6_T7_T9_mT8_S1G_bDpT10_ENKUlT_T0_E_clISt17integral_constantIbLb1EES1T_IbLb0EEEEDaS1P_S1Q_EUlS1P_E_NS1_11comp_targetILNS1_3genE8ELNS1_11target_archE1030ELNS1_3gpuE2ELNS1_3repE0EEENS1_30default_config_static_selectorELNS0_4arch9wavefront6targetE0EEEvS12_.has_recursion, 0
	.set _ZN7rocprim17ROCPRIM_400000_NS6detail17trampoline_kernelINS0_13select_configILj256ELj13ELNS0_17block_load_methodE3ELS4_3ELS4_3ELNS0_20block_scan_algorithmE0ELj4294967295EEENS1_25partition_config_selectorILNS1_17partition_subalgoE4EjNS0_10empty_typeEbEEZZNS1_14partition_implILS8_4ELb0ES6_15HIP_vector_typeIjLj2EENS0_17counting_iteratorIjlEEPS9_SG_NS0_5tupleIJPjSI_NS0_16reverse_iteratorISI_EEEEENSH_IJSG_SG_SG_EEES9_SI_JZNS1_25segmented_radix_sort_implINS0_14default_configELb1EPKdPdPKlPlN2at6native12_GLOBAL__N_18offset_tEEE10hipError_tPvRmT1_PNSt15iterator_traitsIS12_E10value_typeET2_T3_PNS13_IS18_E10value_typeET4_jRbjT5_S1E_jjP12ihipStream_tbEUljE_ZNSN_ISO_Lb1ESQ_SR_ST_SU_SY_EESZ_S10_S11_S12_S16_S17_S18_S1B_S1C_jS1D_jS1E_S1E_jjS1G_bEUljE0_EEESZ_S10_S11_S18_S1C_S1E_T6_T7_T9_mT8_S1G_bDpT10_ENKUlT_T0_E_clISt17integral_constantIbLb1EES1T_IbLb0EEEEDaS1P_S1Q_EUlS1P_E_NS1_11comp_targetILNS1_3genE8ELNS1_11target_archE1030ELNS1_3gpuE2ELNS1_3repE0EEENS1_30default_config_static_selectorELNS0_4arch9wavefront6targetE0EEEvS12_.has_indirect_call, 0
	.section	.AMDGPU.csdata,"",@progbits
; Kernel info:
; codeLenInByte = 0
; TotalNumSgprs: 0
; NumVgprs: 0
; ScratchSize: 0
; MemoryBound: 0
; FloatMode: 240
; IeeeMode: 1
; LDSByteSize: 0 bytes/workgroup (compile time only)
; SGPRBlocks: 0
; VGPRBlocks: 0
; NumSGPRsForWavesPerEU: 1
; NumVGPRsForWavesPerEU: 1
; Occupancy: 16
; WaveLimiterHint : 0
; COMPUTE_PGM_RSRC2:SCRATCH_EN: 0
; COMPUTE_PGM_RSRC2:USER_SGPR: 2
; COMPUTE_PGM_RSRC2:TRAP_HANDLER: 0
; COMPUTE_PGM_RSRC2:TGID_X_EN: 1
; COMPUTE_PGM_RSRC2:TGID_Y_EN: 0
; COMPUTE_PGM_RSRC2:TGID_Z_EN: 0
; COMPUTE_PGM_RSRC2:TIDIG_COMP_CNT: 0
	.section	.text._ZN7rocprim17ROCPRIM_400000_NS6detail17trampoline_kernelINS0_13select_configILj256ELj13ELNS0_17block_load_methodE3ELS4_3ELS4_3ELNS0_20block_scan_algorithmE0ELj4294967295EEENS1_25partition_config_selectorILNS1_17partition_subalgoE4EjNS0_10empty_typeEbEEZZNS1_14partition_implILS8_4ELb0ES6_15HIP_vector_typeIjLj2EENS0_17counting_iteratorIjlEEPS9_SG_NS0_5tupleIJPjSI_NS0_16reverse_iteratorISI_EEEEENSH_IJSG_SG_SG_EEES9_SI_JZNS1_25segmented_radix_sort_implINS0_14default_configELb1EPKdPdPKlPlN2at6native12_GLOBAL__N_18offset_tEEE10hipError_tPvRmT1_PNSt15iterator_traitsIS12_E10value_typeET2_T3_PNS13_IS18_E10value_typeET4_jRbjT5_S1E_jjP12ihipStream_tbEUljE_ZNSN_ISO_Lb1ESQ_SR_ST_SU_SY_EESZ_S10_S11_S12_S16_S17_S18_S1B_S1C_jS1D_jS1E_S1E_jjS1G_bEUljE0_EEESZ_S10_S11_S18_S1C_S1E_T6_T7_T9_mT8_S1G_bDpT10_ENKUlT_T0_E_clISt17integral_constantIbLb0EES1T_IbLb1EEEEDaS1P_S1Q_EUlS1P_E_NS1_11comp_targetILNS1_3genE0ELNS1_11target_archE4294967295ELNS1_3gpuE0ELNS1_3repE0EEENS1_30default_config_static_selectorELNS0_4arch9wavefront6targetE0EEEvS12_,"axG",@progbits,_ZN7rocprim17ROCPRIM_400000_NS6detail17trampoline_kernelINS0_13select_configILj256ELj13ELNS0_17block_load_methodE3ELS4_3ELS4_3ELNS0_20block_scan_algorithmE0ELj4294967295EEENS1_25partition_config_selectorILNS1_17partition_subalgoE4EjNS0_10empty_typeEbEEZZNS1_14partition_implILS8_4ELb0ES6_15HIP_vector_typeIjLj2EENS0_17counting_iteratorIjlEEPS9_SG_NS0_5tupleIJPjSI_NS0_16reverse_iteratorISI_EEEEENSH_IJSG_SG_SG_EEES9_SI_JZNS1_25segmented_radix_sort_implINS0_14default_configELb1EPKdPdPKlPlN2at6native12_GLOBAL__N_18offset_tEEE10hipError_tPvRmT1_PNSt15iterator_traitsIS12_E10value_typeET2_T3_PNS13_IS18_E10value_typeET4_jRbjT5_S1E_jjP12ihipStream_tbEUljE_ZNSN_ISO_Lb1ESQ_SR_ST_SU_SY_EESZ_S10_S11_S12_S16_S17_S18_S1B_S1C_jS1D_jS1E_S1E_jjS1G_bEUljE0_EEESZ_S10_S11_S18_S1C_S1E_T6_T7_T9_mT8_S1G_bDpT10_ENKUlT_T0_E_clISt17integral_constantIbLb0EES1T_IbLb1EEEEDaS1P_S1Q_EUlS1P_E_NS1_11comp_targetILNS1_3genE0ELNS1_11target_archE4294967295ELNS1_3gpuE0ELNS1_3repE0EEENS1_30default_config_static_selectorELNS0_4arch9wavefront6targetE0EEEvS12_,comdat
	.globl	_ZN7rocprim17ROCPRIM_400000_NS6detail17trampoline_kernelINS0_13select_configILj256ELj13ELNS0_17block_load_methodE3ELS4_3ELS4_3ELNS0_20block_scan_algorithmE0ELj4294967295EEENS1_25partition_config_selectorILNS1_17partition_subalgoE4EjNS0_10empty_typeEbEEZZNS1_14partition_implILS8_4ELb0ES6_15HIP_vector_typeIjLj2EENS0_17counting_iteratorIjlEEPS9_SG_NS0_5tupleIJPjSI_NS0_16reverse_iteratorISI_EEEEENSH_IJSG_SG_SG_EEES9_SI_JZNS1_25segmented_radix_sort_implINS0_14default_configELb1EPKdPdPKlPlN2at6native12_GLOBAL__N_18offset_tEEE10hipError_tPvRmT1_PNSt15iterator_traitsIS12_E10value_typeET2_T3_PNS13_IS18_E10value_typeET4_jRbjT5_S1E_jjP12ihipStream_tbEUljE_ZNSN_ISO_Lb1ESQ_SR_ST_SU_SY_EESZ_S10_S11_S12_S16_S17_S18_S1B_S1C_jS1D_jS1E_S1E_jjS1G_bEUljE0_EEESZ_S10_S11_S18_S1C_S1E_T6_T7_T9_mT8_S1G_bDpT10_ENKUlT_T0_E_clISt17integral_constantIbLb0EES1T_IbLb1EEEEDaS1P_S1Q_EUlS1P_E_NS1_11comp_targetILNS1_3genE0ELNS1_11target_archE4294967295ELNS1_3gpuE0ELNS1_3repE0EEENS1_30default_config_static_selectorELNS0_4arch9wavefront6targetE0EEEvS12_ ; -- Begin function _ZN7rocprim17ROCPRIM_400000_NS6detail17trampoline_kernelINS0_13select_configILj256ELj13ELNS0_17block_load_methodE3ELS4_3ELS4_3ELNS0_20block_scan_algorithmE0ELj4294967295EEENS1_25partition_config_selectorILNS1_17partition_subalgoE4EjNS0_10empty_typeEbEEZZNS1_14partition_implILS8_4ELb0ES6_15HIP_vector_typeIjLj2EENS0_17counting_iteratorIjlEEPS9_SG_NS0_5tupleIJPjSI_NS0_16reverse_iteratorISI_EEEEENSH_IJSG_SG_SG_EEES9_SI_JZNS1_25segmented_radix_sort_implINS0_14default_configELb1EPKdPdPKlPlN2at6native12_GLOBAL__N_18offset_tEEE10hipError_tPvRmT1_PNSt15iterator_traitsIS12_E10value_typeET2_T3_PNS13_IS18_E10value_typeET4_jRbjT5_S1E_jjP12ihipStream_tbEUljE_ZNSN_ISO_Lb1ESQ_SR_ST_SU_SY_EESZ_S10_S11_S12_S16_S17_S18_S1B_S1C_jS1D_jS1E_S1E_jjS1G_bEUljE0_EEESZ_S10_S11_S18_S1C_S1E_T6_T7_T9_mT8_S1G_bDpT10_ENKUlT_T0_E_clISt17integral_constantIbLb0EES1T_IbLb1EEEEDaS1P_S1Q_EUlS1P_E_NS1_11comp_targetILNS1_3genE0ELNS1_11target_archE4294967295ELNS1_3gpuE0ELNS1_3repE0EEENS1_30default_config_static_selectorELNS0_4arch9wavefront6targetE0EEEvS12_
	.p2align	8
	.type	_ZN7rocprim17ROCPRIM_400000_NS6detail17trampoline_kernelINS0_13select_configILj256ELj13ELNS0_17block_load_methodE3ELS4_3ELS4_3ELNS0_20block_scan_algorithmE0ELj4294967295EEENS1_25partition_config_selectorILNS1_17partition_subalgoE4EjNS0_10empty_typeEbEEZZNS1_14partition_implILS8_4ELb0ES6_15HIP_vector_typeIjLj2EENS0_17counting_iteratorIjlEEPS9_SG_NS0_5tupleIJPjSI_NS0_16reverse_iteratorISI_EEEEENSH_IJSG_SG_SG_EEES9_SI_JZNS1_25segmented_radix_sort_implINS0_14default_configELb1EPKdPdPKlPlN2at6native12_GLOBAL__N_18offset_tEEE10hipError_tPvRmT1_PNSt15iterator_traitsIS12_E10value_typeET2_T3_PNS13_IS18_E10value_typeET4_jRbjT5_S1E_jjP12ihipStream_tbEUljE_ZNSN_ISO_Lb1ESQ_SR_ST_SU_SY_EESZ_S10_S11_S12_S16_S17_S18_S1B_S1C_jS1D_jS1E_S1E_jjS1G_bEUljE0_EEESZ_S10_S11_S18_S1C_S1E_T6_T7_T9_mT8_S1G_bDpT10_ENKUlT_T0_E_clISt17integral_constantIbLb0EES1T_IbLb1EEEEDaS1P_S1Q_EUlS1P_E_NS1_11comp_targetILNS1_3genE0ELNS1_11target_archE4294967295ELNS1_3gpuE0ELNS1_3repE0EEENS1_30default_config_static_selectorELNS0_4arch9wavefront6targetE0EEEvS12_,@function
_ZN7rocprim17ROCPRIM_400000_NS6detail17trampoline_kernelINS0_13select_configILj256ELj13ELNS0_17block_load_methodE3ELS4_3ELS4_3ELNS0_20block_scan_algorithmE0ELj4294967295EEENS1_25partition_config_selectorILNS1_17partition_subalgoE4EjNS0_10empty_typeEbEEZZNS1_14partition_implILS8_4ELb0ES6_15HIP_vector_typeIjLj2EENS0_17counting_iteratorIjlEEPS9_SG_NS0_5tupleIJPjSI_NS0_16reverse_iteratorISI_EEEEENSH_IJSG_SG_SG_EEES9_SI_JZNS1_25segmented_radix_sort_implINS0_14default_configELb1EPKdPdPKlPlN2at6native12_GLOBAL__N_18offset_tEEE10hipError_tPvRmT1_PNSt15iterator_traitsIS12_E10value_typeET2_T3_PNS13_IS18_E10value_typeET4_jRbjT5_S1E_jjP12ihipStream_tbEUljE_ZNSN_ISO_Lb1ESQ_SR_ST_SU_SY_EESZ_S10_S11_S12_S16_S17_S18_S1B_S1C_jS1D_jS1E_S1E_jjS1G_bEUljE0_EEESZ_S10_S11_S18_S1C_S1E_T6_T7_T9_mT8_S1G_bDpT10_ENKUlT_T0_E_clISt17integral_constantIbLb0EES1T_IbLb1EEEEDaS1P_S1Q_EUlS1P_E_NS1_11comp_targetILNS1_3genE0ELNS1_11target_archE4294967295ELNS1_3gpuE0ELNS1_3repE0EEENS1_30default_config_static_selectorELNS0_4arch9wavefront6targetE0EEEvS12_: ; @_ZN7rocprim17ROCPRIM_400000_NS6detail17trampoline_kernelINS0_13select_configILj256ELj13ELNS0_17block_load_methodE3ELS4_3ELS4_3ELNS0_20block_scan_algorithmE0ELj4294967295EEENS1_25partition_config_selectorILNS1_17partition_subalgoE4EjNS0_10empty_typeEbEEZZNS1_14partition_implILS8_4ELb0ES6_15HIP_vector_typeIjLj2EENS0_17counting_iteratorIjlEEPS9_SG_NS0_5tupleIJPjSI_NS0_16reverse_iteratorISI_EEEEENSH_IJSG_SG_SG_EEES9_SI_JZNS1_25segmented_radix_sort_implINS0_14default_configELb1EPKdPdPKlPlN2at6native12_GLOBAL__N_18offset_tEEE10hipError_tPvRmT1_PNSt15iterator_traitsIS12_E10value_typeET2_T3_PNS13_IS18_E10value_typeET4_jRbjT5_S1E_jjP12ihipStream_tbEUljE_ZNSN_ISO_Lb1ESQ_SR_ST_SU_SY_EESZ_S10_S11_S12_S16_S17_S18_S1B_S1C_jS1D_jS1E_S1E_jjS1G_bEUljE0_EEESZ_S10_S11_S18_S1C_S1E_T6_T7_T9_mT8_S1G_bDpT10_ENKUlT_T0_E_clISt17integral_constantIbLb0EES1T_IbLb1EEEEDaS1P_S1Q_EUlS1P_E_NS1_11comp_targetILNS1_3genE0ELNS1_11target_archE4294967295ELNS1_3gpuE0ELNS1_3repE0EEENS1_30default_config_static_selectorELNS0_4arch9wavefront6targetE0EEEvS12_
; %bb.0:
	.section	.rodata,"a",@progbits
	.p2align	6, 0x0
	.amdhsa_kernel _ZN7rocprim17ROCPRIM_400000_NS6detail17trampoline_kernelINS0_13select_configILj256ELj13ELNS0_17block_load_methodE3ELS4_3ELS4_3ELNS0_20block_scan_algorithmE0ELj4294967295EEENS1_25partition_config_selectorILNS1_17partition_subalgoE4EjNS0_10empty_typeEbEEZZNS1_14partition_implILS8_4ELb0ES6_15HIP_vector_typeIjLj2EENS0_17counting_iteratorIjlEEPS9_SG_NS0_5tupleIJPjSI_NS0_16reverse_iteratorISI_EEEEENSH_IJSG_SG_SG_EEES9_SI_JZNS1_25segmented_radix_sort_implINS0_14default_configELb1EPKdPdPKlPlN2at6native12_GLOBAL__N_18offset_tEEE10hipError_tPvRmT1_PNSt15iterator_traitsIS12_E10value_typeET2_T3_PNS13_IS18_E10value_typeET4_jRbjT5_S1E_jjP12ihipStream_tbEUljE_ZNSN_ISO_Lb1ESQ_SR_ST_SU_SY_EESZ_S10_S11_S12_S16_S17_S18_S1B_S1C_jS1D_jS1E_S1E_jjS1G_bEUljE0_EEESZ_S10_S11_S18_S1C_S1E_T6_T7_T9_mT8_S1G_bDpT10_ENKUlT_T0_E_clISt17integral_constantIbLb0EES1T_IbLb1EEEEDaS1P_S1Q_EUlS1P_E_NS1_11comp_targetILNS1_3genE0ELNS1_11target_archE4294967295ELNS1_3gpuE0ELNS1_3repE0EEENS1_30default_config_static_selectorELNS0_4arch9wavefront6targetE0EEEvS12_
		.amdhsa_group_segment_fixed_size 0
		.amdhsa_private_segment_fixed_size 0
		.amdhsa_kernarg_size 184
		.amdhsa_user_sgpr_count 2
		.amdhsa_user_sgpr_dispatch_ptr 0
		.amdhsa_user_sgpr_queue_ptr 0
		.amdhsa_user_sgpr_kernarg_segment_ptr 1
		.amdhsa_user_sgpr_dispatch_id 0
		.amdhsa_user_sgpr_private_segment_size 0
		.amdhsa_wavefront_size32 1
		.amdhsa_uses_dynamic_stack 0
		.amdhsa_enable_private_segment 0
		.amdhsa_system_sgpr_workgroup_id_x 1
		.amdhsa_system_sgpr_workgroup_id_y 0
		.amdhsa_system_sgpr_workgroup_id_z 0
		.amdhsa_system_sgpr_workgroup_info 0
		.amdhsa_system_vgpr_workitem_id 0
		.amdhsa_next_free_vgpr 1
		.amdhsa_next_free_sgpr 1
		.amdhsa_reserve_vcc 0
		.amdhsa_float_round_mode_32 0
		.amdhsa_float_round_mode_16_64 0
		.amdhsa_float_denorm_mode_32 3
		.amdhsa_float_denorm_mode_16_64 3
		.amdhsa_fp16_overflow 0
		.amdhsa_workgroup_processor_mode 1
		.amdhsa_memory_ordered 1
		.amdhsa_forward_progress 1
		.amdhsa_inst_pref_size 0
		.amdhsa_round_robin_scheduling 0
		.amdhsa_exception_fp_ieee_invalid_op 0
		.amdhsa_exception_fp_denorm_src 0
		.amdhsa_exception_fp_ieee_div_zero 0
		.amdhsa_exception_fp_ieee_overflow 0
		.amdhsa_exception_fp_ieee_underflow 0
		.amdhsa_exception_fp_ieee_inexact 0
		.amdhsa_exception_int_div_zero 0
	.end_amdhsa_kernel
	.section	.text._ZN7rocprim17ROCPRIM_400000_NS6detail17trampoline_kernelINS0_13select_configILj256ELj13ELNS0_17block_load_methodE3ELS4_3ELS4_3ELNS0_20block_scan_algorithmE0ELj4294967295EEENS1_25partition_config_selectorILNS1_17partition_subalgoE4EjNS0_10empty_typeEbEEZZNS1_14partition_implILS8_4ELb0ES6_15HIP_vector_typeIjLj2EENS0_17counting_iteratorIjlEEPS9_SG_NS0_5tupleIJPjSI_NS0_16reverse_iteratorISI_EEEEENSH_IJSG_SG_SG_EEES9_SI_JZNS1_25segmented_radix_sort_implINS0_14default_configELb1EPKdPdPKlPlN2at6native12_GLOBAL__N_18offset_tEEE10hipError_tPvRmT1_PNSt15iterator_traitsIS12_E10value_typeET2_T3_PNS13_IS18_E10value_typeET4_jRbjT5_S1E_jjP12ihipStream_tbEUljE_ZNSN_ISO_Lb1ESQ_SR_ST_SU_SY_EESZ_S10_S11_S12_S16_S17_S18_S1B_S1C_jS1D_jS1E_S1E_jjS1G_bEUljE0_EEESZ_S10_S11_S18_S1C_S1E_T6_T7_T9_mT8_S1G_bDpT10_ENKUlT_T0_E_clISt17integral_constantIbLb0EES1T_IbLb1EEEEDaS1P_S1Q_EUlS1P_E_NS1_11comp_targetILNS1_3genE0ELNS1_11target_archE4294967295ELNS1_3gpuE0ELNS1_3repE0EEENS1_30default_config_static_selectorELNS0_4arch9wavefront6targetE0EEEvS12_,"axG",@progbits,_ZN7rocprim17ROCPRIM_400000_NS6detail17trampoline_kernelINS0_13select_configILj256ELj13ELNS0_17block_load_methodE3ELS4_3ELS4_3ELNS0_20block_scan_algorithmE0ELj4294967295EEENS1_25partition_config_selectorILNS1_17partition_subalgoE4EjNS0_10empty_typeEbEEZZNS1_14partition_implILS8_4ELb0ES6_15HIP_vector_typeIjLj2EENS0_17counting_iteratorIjlEEPS9_SG_NS0_5tupleIJPjSI_NS0_16reverse_iteratorISI_EEEEENSH_IJSG_SG_SG_EEES9_SI_JZNS1_25segmented_radix_sort_implINS0_14default_configELb1EPKdPdPKlPlN2at6native12_GLOBAL__N_18offset_tEEE10hipError_tPvRmT1_PNSt15iterator_traitsIS12_E10value_typeET2_T3_PNS13_IS18_E10value_typeET4_jRbjT5_S1E_jjP12ihipStream_tbEUljE_ZNSN_ISO_Lb1ESQ_SR_ST_SU_SY_EESZ_S10_S11_S12_S16_S17_S18_S1B_S1C_jS1D_jS1E_S1E_jjS1G_bEUljE0_EEESZ_S10_S11_S18_S1C_S1E_T6_T7_T9_mT8_S1G_bDpT10_ENKUlT_T0_E_clISt17integral_constantIbLb0EES1T_IbLb1EEEEDaS1P_S1Q_EUlS1P_E_NS1_11comp_targetILNS1_3genE0ELNS1_11target_archE4294967295ELNS1_3gpuE0ELNS1_3repE0EEENS1_30default_config_static_selectorELNS0_4arch9wavefront6targetE0EEEvS12_,comdat
.Lfunc_end1078:
	.size	_ZN7rocprim17ROCPRIM_400000_NS6detail17trampoline_kernelINS0_13select_configILj256ELj13ELNS0_17block_load_methodE3ELS4_3ELS4_3ELNS0_20block_scan_algorithmE0ELj4294967295EEENS1_25partition_config_selectorILNS1_17partition_subalgoE4EjNS0_10empty_typeEbEEZZNS1_14partition_implILS8_4ELb0ES6_15HIP_vector_typeIjLj2EENS0_17counting_iteratorIjlEEPS9_SG_NS0_5tupleIJPjSI_NS0_16reverse_iteratorISI_EEEEENSH_IJSG_SG_SG_EEES9_SI_JZNS1_25segmented_radix_sort_implINS0_14default_configELb1EPKdPdPKlPlN2at6native12_GLOBAL__N_18offset_tEEE10hipError_tPvRmT1_PNSt15iterator_traitsIS12_E10value_typeET2_T3_PNS13_IS18_E10value_typeET4_jRbjT5_S1E_jjP12ihipStream_tbEUljE_ZNSN_ISO_Lb1ESQ_SR_ST_SU_SY_EESZ_S10_S11_S12_S16_S17_S18_S1B_S1C_jS1D_jS1E_S1E_jjS1G_bEUljE0_EEESZ_S10_S11_S18_S1C_S1E_T6_T7_T9_mT8_S1G_bDpT10_ENKUlT_T0_E_clISt17integral_constantIbLb0EES1T_IbLb1EEEEDaS1P_S1Q_EUlS1P_E_NS1_11comp_targetILNS1_3genE0ELNS1_11target_archE4294967295ELNS1_3gpuE0ELNS1_3repE0EEENS1_30default_config_static_selectorELNS0_4arch9wavefront6targetE0EEEvS12_, .Lfunc_end1078-_ZN7rocprim17ROCPRIM_400000_NS6detail17trampoline_kernelINS0_13select_configILj256ELj13ELNS0_17block_load_methodE3ELS4_3ELS4_3ELNS0_20block_scan_algorithmE0ELj4294967295EEENS1_25partition_config_selectorILNS1_17partition_subalgoE4EjNS0_10empty_typeEbEEZZNS1_14partition_implILS8_4ELb0ES6_15HIP_vector_typeIjLj2EENS0_17counting_iteratorIjlEEPS9_SG_NS0_5tupleIJPjSI_NS0_16reverse_iteratorISI_EEEEENSH_IJSG_SG_SG_EEES9_SI_JZNS1_25segmented_radix_sort_implINS0_14default_configELb1EPKdPdPKlPlN2at6native12_GLOBAL__N_18offset_tEEE10hipError_tPvRmT1_PNSt15iterator_traitsIS12_E10value_typeET2_T3_PNS13_IS18_E10value_typeET4_jRbjT5_S1E_jjP12ihipStream_tbEUljE_ZNSN_ISO_Lb1ESQ_SR_ST_SU_SY_EESZ_S10_S11_S12_S16_S17_S18_S1B_S1C_jS1D_jS1E_S1E_jjS1G_bEUljE0_EEESZ_S10_S11_S18_S1C_S1E_T6_T7_T9_mT8_S1G_bDpT10_ENKUlT_T0_E_clISt17integral_constantIbLb0EES1T_IbLb1EEEEDaS1P_S1Q_EUlS1P_E_NS1_11comp_targetILNS1_3genE0ELNS1_11target_archE4294967295ELNS1_3gpuE0ELNS1_3repE0EEENS1_30default_config_static_selectorELNS0_4arch9wavefront6targetE0EEEvS12_
                                        ; -- End function
	.set _ZN7rocprim17ROCPRIM_400000_NS6detail17trampoline_kernelINS0_13select_configILj256ELj13ELNS0_17block_load_methodE3ELS4_3ELS4_3ELNS0_20block_scan_algorithmE0ELj4294967295EEENS1_25partition_config_selectorILNS1_17partition_subalgoE4EjNS0_10empty_typeEbEEZZNS1_14partition_implILS8_4ELb0ES6_15HIP_vector_typeIjLj2EENS0_17counting_iteratorIjlEEPS9_SG_NS0_5tupleIJPjSI_NS0_16reverse_iteratorISI_EEEEENSH_IJSG_SG_SG_EEES9_SI_JZNS1_25segmented_radix_sort_implINS0_14default_configELb1EPKdPdPKlPlN2at6native12_GLOBAL__N_18offset_tEEE10hipError_tPvRmT1_PNSt15iterator_traitsIS12_E10value_typeET2_T3_PNS13_IS18_E10value_typeET4_jRbjT5_S1E_jjP12ihipStream_tbEUljE_ZNSN_ISO_Lb1ESQ_SR_ST_SU_SY_EESZ_S10_S11_S12_S16_S17_S18_S1B_S1C_jS1D_jS1E_S1E_jjS1G_bEUljE0_EEESZ_S10_S11_S18_S1C_S1E_T6_T7_T9_mT8_S1G_bDpT10_ENKUlT_T0_E_clISt17integral_constantIbLb0EES1T_IbLb1EEEEDaS1P_S1Q_EUlS1P_E_NS1_11comp_targetILNS1_3genE0ELNS1_11target_archE4294967295ELNS1_3gpuE0ELNS1_3repE0EEENS1_30default_config_static_selectorELNS0_4arch9wavefront6targetE0EEEvS12_.num_vgpr, 0
	.set _ZN7rocprim17ROCPRIM_400000_NS6detail17trampoline_kernelINS0_13select_configILj256ELj13ELNS0_17block_load_methodE3ELS4_3ELS4_3ELNS0_20block_scan_algorithmE0ELj4294967295EEENS1_25partition_config_selectorILNS1_17partition_subalgoE4EjNS0_10empty_typeEbEEZZNS1_14partition_implILS8_4ELb0ES6_15HIP_vector_typeIjLj2EENS0_17counting_iteratorIjlEEPS9_SG_NS0_5tupleIJPjSI_NS0_16reverse_iteratorISI_EEEEENSH_IJSG_SG_SG_EEES9_SI_JZNS1_25segmented_radix_sort_implINS0_14default_configELb1EPKdPdPKlPlN2at6native12_GLOBAL__N_18offset_tEEE10hipError_tPvRmT1_PNSt15iterator_traitsIS12_E10value_typeET2_T3_PNS13_IS18_E10value_typeET4_jRbjT5_S1E_jjP12ihipStream_tbEUljE_ZNSN_ISO_Lb1ESQ_SR_ST_SU_SY_EESZ_S10_S11_S12_S16_S17_S18_S1B_S1C_jS1D_jS1E_S1E_jjS1G_bEUljE0_EEESZ_S10_S11_S18_S1C_S1E_T6_T7_T9_mT8_S1G_bDpT10_ENKUlT_T0_E_clISt17integral_constantIbLb0EES1T_IbLb1EEEEDaS1P_S1Q_EUlS1P_E_NS1_11comp_targetILNS1_3genE0ELNS1_11target_archE4294967295ELNS1_3gpuE0ELNS1_3repE0EEENS1_30default_config_static_selectorELNS0_4arch9wavefront6targetE0EEEvS12_.num_agpr, 0
	.set _ZN7rocprim17ROCPRIM_400000_NS6detail17trampoline_kernelINS0_13select_configILj256ELj13ELNS0_17block_load_methodE3ELS4_3ELS4_3ELNS0_20block_scan_algorithmE0ELj4294967295EEENS1_25partition_config_selectorILNS1_17partition_subalgoE4EjNS0_10empty_typeEbEEZZNS1_14partition_implILS8_4ELb0ES6_15HIP_vector_typeIjLj2EENS0_17counting_iteratorIjlEEPS9_SG_NS0_5tupleIJPjSI_NS0_16reverse_iteratorISI_EEEEENSH_IJSG_SG_SG_EEES9_SI_JZNS1_25segmented_radix_sort_implINS0_14default_configELb1EPKdPdPKlPlN2at6native12_GLOBAL__N_18offset_tEEE10hipError_tPvRmT1_PNSt15iterator_traitsIS12_E10value_typeET2_T3_PNS13_IS18_E10value_typeET4_jRbjT5_S1E_jjP12ihipStream_tbEUljE_ZNSN_ISO_Lb1ESQ_SR_ST_SU_SY_EESZ_S10_S11_S12_S16_S17_S18_S1B_S1C_jS1D_jS1E_S1E_jjS1G_bEUljE0_EEESZ_S10_S11_S18_S1C_S1E_T6_T7_T9_mT8_S1G_bDpT10_ENKUlT_T0_E_clISt17integral_constantIbLb0EES1T_IbLb1EEEEDaS1P_S1Q_EUlS1P_E_NS1_11comp_targetILNS1_3genE0ELNS1_11target_archE4294967295ELNS1_3gpuE0ELNS1_3repE0EEENS1_30default_config_static_selectorELNS0_4arch9wavefront6targetE0EEEvS12_.numbered_sgpr, 0
	.set _ZN7rocprim17ROCPRIM_400000_NS6detail17trampoline_kernelINS0_13select_configILj256ELj13ELNS0_17block_load_methodE3ELS4_3ELS4_3ELNS0_20block_scan_algorithmE0ELj4294967295EEENS1_25partition_config_selectorILNS1_17partition_subalgoE4EjNS0_10empty_typeEbEEZZNS1_14partition_implILS8_4ELb0ES6_15HIP_vector_typeIjLj2EENS0_17counting_iteratorIjlEEPS9_SG_NS0_5tupleIJPjSI_NS0_16reverse_iteratorISI_EEEEENSH_IJSG_SG_SG_EEES9_SI_JZNS1_25segmented_radix_sort_implINS0_14default_configELb1EPKdPdPKlPlN2at6native12_GLOBAL__N_18offset_tEEE10hipError_tPvRmT1_PNSt15iterator_traitsIS12_E10value_typeET2_T3_PNS13_IS18_E10value_typeET4_jRbjT5_S1E_jjP12ihipStream_tbEUljE_ZNSN_ISO_Lb1ESQ_SR_ST_SU_SY_EESZ_S10_S11_S12_S16_S17_S18_S1B_S1C_jS1D_jS1E_S1E_jjS1G_bEUljE0_EEESZ_S10_S11_S18_S1C_S1E_T6_T7_T9_mT8_S1G_bDpT10_ENKUlT_T0_E_clISt17integral_constantIbLb0EES1T_IbLb1EEEEDaS1P_S1Q_EUlS1P_E_NS1_11comp_targetILNS1_3genE0ELNS1_11target_archE4294967295ELNS1_3gpuE0ELNS1_3repE0EEENS1_30default_config_static_selectorELNS0_4arch9wavefront6targetE0EEEvS12_.num_named_barrier, 0
	.set _ZN7rocprim17ROCPRIM_400000_NS6detail17trampoline_kernelINS0_13select_configILj256ELj13ELNS0_17block_load_methodE3ELS4_3ELS4_3ELNS0_20block_scan_algorithmE0ELj4294967295EEENS1_25partition_config_selectorILNS1_17partition_subalgoE4EjNS0_10empty_typeEbEEZZNS1_14partition_implILS8_4ELb0ES6_15HIP_vector_typeIjLj2EENS0_17counting_iteratorIjlEEPS9_SG_NS0_5tupleIJPjSI_NS0_16reverse_iteratorISI_EEEEENSH_IJSG_SG_SG_EEES9_SI_JZNS1_25segmented_radix_sort_implINS0_14default_configELb1EPKdPdPKlPlN2at6native12_GLOBAL__N_18offset_tEEE10hipError_tPvRmT1_PNSt15iterator_traitsIS12_E10value_typeET2_T3_PNS13_IS18_E10value_typeET4_jRbjT5_S1E_jjP12ihipStream_tbEUljE_ZNSN_ISO_Lb1ESQ_SR_ST_SU_SY_EESZ_S10_S11_S12_S16_S17_S18_S1B_S1C_jS1D_jS1E_S1E_jjS1G_bEUljE0_EEESZ_S10_S11_S18_S1C_S1E_T6_T7_T9_mT8_S1G_bDpT10_ENKUlT_T0_E_clISt17integral_constantIbLb0EES1T_IbLb1EEEEDaS1P_S1Q_EUlS1P_E_NS1_11comp_targetILNS1_3genE0ELNS1_11target_archE4294967295ELNS1_3gpuE0ELNS1_3repE0EEENS1_30default_config_static_selectorELNS0_4arch9wavefront6targetE0EEEvS12_.private_seg_size, 0
	.set _ZN7rocprim17ROCPRIM_400000_NS6detail17trampoline_kernelINS0_13select_configILj256ELj13ELNS0_17block_load_methodE3ELS4_3ELS4_3ELNS0_20block_scan_algorithmE0ELj4294967295EEENS1_25partition_config_selectorILNS1_17partition_subalgoE4EjNS0_10empty_typeEbEEZZNS1_14partition_implILS8_4ELb0ES6_15HIP_vector_typeIjLj2EENS0_17counting_iteratorIjlEEPS9_SG_NS0_5tupleIJPjSI_NS0_16reverse_iteratorISI_EEEEENSH_IJSG_SG_SG_EEES9_SI_JZNS1_25segmented_radix_sort_implINS0_14default_configELb1EPKdPdPKlPlN2at6native12_GLOBAL__N_18offset_tEEE10hipError_tPvRmT1_PNSt15iterator_traitsIS12_E10value_typeET2_T3_PNS13_IS18_E10value_typeET4_jRbjT5_S1E_jjP12ihipStream_tbEUljE_ZNSN_ISO_Lb1ESQ_SR_ST_SU_SY_EESZ_S10_S11_S12_S16_S17_S18_S1B_S1C_jS1D_jS1E_S1E_jjS1G_bEUljE0_EEESZ_S10_S11_S18_S1C_S1E_T6_T7_T9_mT8_S1G_bDpT10_ENKUlT_T0_E_clISt17integral_constantIbLb0EES1T_IbLb1EEEEDaS1P_S1Q_EUlS1P_E_NS1_11comp_targetILNS1_3genE0ELNS1_11target_archE4294967295ELNS1_3gpuE0ELNS1_3repE0EEENS1_30default_config_static_selectorELNS0_4arch9wavefront6targetE0EEEvS12_.uses_vcc, 0
	.set _ZN7rocprim17ROCPRIM_400000_NS6detail17trampoline_kernelINS0_13select_configILj256ELj13ELNS0_17block_load_methodE3ELS4_3ELS4_3ELNS0_20block_scan_algorithmE0ELj4294967295EEENS1_25partition_config_selectorILNS1_17partition_subalgoE4EjNS0_10empty_typeEbEEZZNS1_14partition_implILS8_4ELb0ES6_15HIP_vector_typeIjLj2EENS0_17counting_iteratorIjlEEPS9_SG_NS0_5tupleIJPjSI_NS0_16reverse_iteratorISI_EEEEENSH_IJSG_SG_SG_EEES9_SI_JZNS1_25segmented_radix_sort_implINS0_14default_configELb1EPKdPdPKlPlN2at6native12_GLOBAL__N_18offset_tEEE10hipError_tPvRmT1_PNSt15iterator_traitsIS12_E10value_typeET2_T3_PNS13_IS18_E10value_typeET4_jRbjT5_S1E_jjP12ihipStream_tbEUljE_ZNSN_ISO_Lb1ESQ_SR_ST_SU_SY_EESZ_S10_S11_S12_S16_S17_S18_S1B_S1C_jS1D_jS1E_S1E_jjS1G_bEUljE0_EEESZ_S10_S11_S18_S1C_S1E_T6_T7_T9_mT8_S1G_bDpT10_ENKUlT_T0_E_clISt17integral_constantIbLb0EES1T_IbLb1EEEEDaS1P_S1Q_EUlS1P_E_NS1_11comp_targetILNS1_3genE0ELNS1_11target_archE4294967295ELNS1_3gpuE0ELNS1_3repE0EEENS1_30default_config_static_selectorELNS0_4arch9wavefront6targetE0EEEvS12_.uses_flat_scratch, 0
	.set _ZN7rocprim17ROCPRIM_400000_NS6detail17trampoline_kernelINS0_13select_configILj256ELj13ELNS0_17block_load_methodE3ELS4_3ELS4_3ELNS0_20block_scan_algorithmE0ELj4294967295EEENS1_25partition_config_selectorILNS1_17partition_subalgoE4EjNS0_10empty_typeEbEEZZNS1_14partition_implILS8_4ELb0ES6_15HIP_vector_typeIjLj2EENS0_17counting_iteratorIjlEEPS9_SG_NS0_5tupleIJPjSI_NS0_16reverse_iteratorISI_EEEEENSH_IJSG_SG_SG_EEES9_SI_JZNS1_25segmented_radix_sort_implINS0_14default_configELb1EPKdPdPKlPlN2at6native12_GLOBAL__N_18offset_tEEE10hipError_tPvRmT1_PNSt15iterator_traitsIS12_E10value_typeET2_T3_PNS13_IS18_E10value_typeET4_jRbjT5_S1E_jjP12ihipStream_tbEUljE_ZNSN_ISO_Lb1ESQ_SR_ST_SU_SY_EESZ_S10_S11_S12_S16_S17_S18_S1B_S1C_jS1D_jS1E_S1E_jjS1G_bEUljE0_EEESZ_S10_S11_S18_S1C_S1E_T6_T7_T9_mT8_S1G_bDpT10_ENKUlT_T0_E_clISt17integral_constantIbLb0EES1T_IbLb1EEEEDaS1P_S1Q_EUlS1P_E_NS1_11comp_targetILNS1_3genE0ELNS1_11target_archE4294967295ELNS1_3gpuE0ELNS1_3repE0EEENS1_30default_config_static_selectorELNS0_4arch9wavefront6targetE0EEEvS12_.has_dyn_sized_stack, 0
	.set _ZN7rocprim17ROCPRIM_400000_NS6detail17trampoline_kernelINS0_13select_configILj256ELj13ELNS0_17block_load_methodE3ELS4_3ELS4_3ELNS0_20block_scan_algorithmE0ELj4294967295EEENS1_25partition_config_selectorILNS1_17partition_subalgoE4EjNS0_10empty_typeEbEEZZNS1_14partition_implILS8_4ELb0ES6_15HIP_vector_typeIjLj2EENS0_17counting_iteratorIjlEEPS9_SG_NS0_5tupleIJPjSI_NS0_16reverse_iteratorISI_EEEEENSH_IJSG_SG_SG_EEES9_SI_JZNS1_25segmented_radix_sort_implINS0_14default_configELb1EPKdPdPKlPlN2at6native12_GLOBAL__N_18offset_tEEE10hipError_tPvRmT1_PNSt15iterator_traitsIS12_E10value_typeET2_T3_PNS13_IS18_E10value_typeET4_jRbjT5_S1E_jjP12ihipStream_tbEUljE_ZNSN_ISO_Lb1ESQ_SR_ST_SU_SY_EESZ_S10_S11_S12_S16_S17_S18_S1B_S1C_jS1D_jS1E_S1E_jjS1G_bEUljE0_EEESZ_S10_S11_S18_S1C_S1E_T6_T7_T9_mT8_S1G_bDpT10_ENKUlT_T0_E_clISt17integral_constantIbLb0EES1T_IbLb1EEEEDaS1P_S1Q_EUlS1P_E_NS1_11comp_targetILNS1_3genE0ELNS1_11target_archE4294967295ELNS1_3gpuE0ELNS1_3repE0EEENS1_30default_config_static_selectorELNS0_4arch9wavefront6targetE0EEEvS12_.has_recursion, 0
	.set _ZN7rocprim17ROCPRIM_400000_NS6detail17trampoline_kernelINS0_13select_configILj256ELj13ELNS0_17block_load_methodE3ELS4_3ELS4_3ELNS0_20block_scan_algorithmE0ELj4294967295EEENS1_25partition_config_selectorILNS1_17partition_subalgoE4EjNS0_10empty_typeEbEEZZNS1_14partition_implILS8_4ELb0ES6_15HIP_vector_typeIjLj2EENS0_17counting_iteratorIjlEEPS9_SG_NS0_5tupleIJPjSI_NS0_16reverse_iteratorISI_EEEEENSH_IJSG_SG_SG_EEES9_SI_JZNS1_25segmented_radix_sort_implINS0_14default_configELb1EPKdPdPKlPlN2at6native12_GLOBAL__N_18offset_tEEE10hipError_tPvRmT1_PNSt15iterator_traitsIS12_E10value_typeET2_T3_PNS13_IS18_E10value_typeET4_jRbjT5_S1E_jjP12ihipStream_tbEUljE_ZNSN_ISO_Lb1ESQ_SR_ST_SU_SY_EESZ_S10_S11_S12_S16_S17_S18_S1B_S1C_jS1D_jS1E_S1E_jjS1G_bEUljE0_EEESZ_S10_S11_S18_S1C_S1E_T6_T7_T9_mT8_S1G_bDpT10_ENKUlT_T0_E_clISt17integral_constantIbLb0EES1T_IbLb1EEEEDaS1P_S1Q_EUlS1P_E_NS1_11comp_targetILNS1_3genE0ELNS1_11target_archE4294967295ELNS1_3gpuE0ELNS1_3repE0EEENS1_30default_config_static_selectorELNS0_4arch9wavefront6targetE0EEEvS12_.has_indirect_call, 0
	.section	.AMDGPU.csdata,"",@progbits
; Kernel info:
; codeLenInByte = 0
; TotalNumSgprs: 0
; NumVgprs: 0
; ScratchSize: 0
; MemoryBound: 0
; FloatMode: 240
; IeeeMode: 1
; LDSByteSize: 0 bytes/workgroup (compile time only)
; SGPRBlocks: 0
; VGPRBlocks: 0
; NumSGPRsForWavesPerEU: 1
; NumVGPRsForWavesPerEU: 1
; Occupancy: 16
; WaveLimiterHint : 0
; COMPUTE_PGM_RSRC2:SCRATCH_EN: 0
; COMPUTE_PGM_RSRC2:USER_SGPR: 2
; COMPUTE_PGM_RSRC2:TRAP_HANDLER: 0
; COMPUTE_PGM_RSRC2:TGID_X_EN: 1
; COMPUTE_PGM_RSRC2:TGID_Y_EN: 0
; COMPUTE_PGM_RSRC2:TGID_Z_EN: 0
; COMPUTE_PGM_RSRC2:TIDIG_COMP_CNT: 0
	.section	.text._ZN7rocprim17ROCPRIM_400000_NS6detail17trampoline_kernelINS0_13select_configILj256ELj13ELNS0_17block_load_methodE3ELS4_3ELS4_3ELNS0_20block_scan_algorithmE0ELj4294967295EEENS1_25partition_config_selectorILNS1_17partition_subalgoE4EjNS0_10empty_typeEbEEZZNS1_14partition_implILS8_4ELb0ES6_15HIP_vector_typeIjLj2EENS0_17counting_iteratorIjlEEPS9_SG_NS0_5tupleIJPjSI_NS0_16reverse_iteratorISI_EEEEENSH_IJSG_SG_SG_EEES9_SI_JZNS1_25segmented_radix_sort_implINS0_14default_configELb1EPKdPdPKlPlN2at6native12_GLOBAL__N_18offset_tEEE10hipError_tPvRmT1_PNSt15iterator_traitsIS12_E10value_typeET2_T3_PNS13_IS18_E10value_typeET4_jRbjT5_S1E_jjP12ihipStream_tbEUljE_ZNSN_ISO_Lb1ESQ_SR_ST_SU_SY_EESZ_S10_S11_S12_S16_S17_S18_S1B_S1C_jS1D_jS1E_S1E_jjS1G_bEUljE0_EEESZ_S10_S11_S18_S1C_S1E_T6_T7_T9_mT8_S1G_bDpT10_ENKUlT_T0_E_clISt17integral_constantIbLb0EES1T_IbLb1EEEEDaS1P_S1Q_EUlS1P_E_NS1_11comp_targetILNS1_3genE5ELNS1_11target_archE942ELNS1_3gpuE9ELNS1_3repE0EEENS1_30default_config_static_selectorELNS0_4arch9wavefront6targetE0EEEvS12_,"axG",@progbits,_ZN7rocprim17ROCPRIM_400000_NS6detail17trampoline_kernelINS0_13select_configILj256ELj13ELNS0_17block_load_methodE3ELS4_3ELS4_3ELNS0_20block_scan_algorithmE0ELj4294967295EEENS1_25partition_config_selectorILNS1_17partition_subalgoE4EjNS0_10empty_typeEbEEZZNS1_14partition_implILS8_4ELb0ES6_15HIP_vector_typeIjLj2EENS0_17counting_iteratorIjlEEPS9_SG_NS0_5tupleIJPjSI_NS0_16reverse_iteratorISI_EEEEENSH_IJSG_SG_SG_EEES9_SI_JZNS1_25segmented_radix_sort_implINS0_14default_configELb1EPKdPdPKlPlN2at6native12_GLOBAL__N_18offset_tEEE10hipError_tPvRmT1_PNSt15iterator_traitsIS12_E10value_typeET2_T3_PNS13_IS18_E10value_typeET4_jRbjT5_S1E_jjP12ihipStream_tbEUljE_ZNSN_ISO_Lb1ESQ_SR_ST_SU_SY_EESZ_S10_S11_S12_S16_S17_S18_S1B_S1C_jS1D_jS1E_S1E_jjS1G_bEUljE0_EEESZ_S10_S11_S18_S1C_S1E_T6_T7_T9_mT8_S1G_bDpT10_ENKUlT_T0_E_clISt17integral_constantIbLb0EES1T_IbLb1EEEEDaS1P_S1Q_EUlS1P_E_NS1_11comp_targetILNS1_3genE5ELNS1_11target_archE942ELNS1_3gpuE9ELNS1_3repE0EEENS1_30default_config_static_selectorELNS0_4arch9wavefront6targetE0EEEvS12_,comdat
	.globl	_ZN7rocprim17ROCPRIM_400000_NS6detail17trampoline_kernelINS0_13select_configILj256ELj13ELNS0_17block_load_methodE3ELS4_3ELS4_3ELNS0_20block_scan_algorithmE0ELj4294967295EEENS1_25partition_config_selectorILNS1_17partition_subalgoE4EjNS0_10empty_typeEbEEZZNS1_14partition_implILS8_4ELb0ES6_15HIP_vector_typeIjLj2EENS0_17counting_iteratorIjlEEPS9_SG_NS0_5tupleIJPjSI_NS0_16reverse_iteratorISI_EEEEENSH_IJSG_SG_SG_EEES9_SI_JZNS1_25segmented_radix_sort_implINS0_14default_configELb1EPKdPdPKlPlN2at6native12_GLOBAL__N_18offset_tEEE10hipError_tPvRmT1_PNSt15iterator_traitsIS12_E10value_typeET2_T3_PNS13_IS18_E10value_typeET4_jRbjT5_S1E_jjP12ihipStream_tbEUljE_ZNSN_ISO_Lb1ESQ_SR_ST_SU_SY_EESZ_S10_S11_S12_S16_S17_S18_S1B_S1C_jS1D_jS1E_S1E_jjS1G_bEUljE0_EEESZ_S10_S11_S18_S1C_S1E_T6_T7_T9_mT8_S1G_bDpT10_ENKUlT_T0_E_clISt17integral_constantIbLb0EES1T_IbLb1EEEEDaS1P_S1Q_EUlS1P_E_NS1_11comp_targetILNS1_3genE5ELNS1_11target_archE942ELNS1_3gpuE9ELNS1_3repE0EEENS1_30default_config_static_selectorELNS0_4arch9wavefront6targetE0EEEvS12_ ; -- Begin function _ZN7rocprim17ROCPRIM_400000_NS6detail17trampoline_kernelINS0_13select_configILj256ELj13ELNS0_17block_load_methodE3ELS4_3ELS4_3ELNS0_20block_scan_algorithmE0ELj4294967295EEENS1_25partition_config_selectorILNS1_17partition_subalgoE4EjNS0_10empty_typeEbEEZZNS1_14partition_implILS8_4ELb0ES6_15HIP_vector_typeIjLj2EENS0_17counting_iteratorIjlEEPS9_SG_NS0_5tupleIJPjSI_NS0_16reverse_iteratorISI_EEEEENSH_IJSG_SG_SG_EEES9_SI_JZNS1_25segmented_radix_sort_implINS0_14default_configELb1EPKdPdPKlPlN2at6native12_GLOBAL__N_18offset_tEEE10hipError_tPvRmT1_PNSt15iterator_traitsIS12_E10value_typeET2_T3_PNS13_IS18_E10value_typeET4_jRbjT5_S1E_jjP12ihipStream_tbEUljE_ZNSN_ISO_Lb1ESQ_SR_ST_SU_SY_EESZ_S10_S11_S12_S16_S17_S18_S1B_S1C_jS1D_jS1E_S1E_jjS1G_bEUljE0_EEESZ_S10_S11_S18_S1C_S1E_T6_T7_T9_mT8_S1G_bDpT10_ENKUlT_T0_E_clISt17integral_constantIbLb0EES1T_IbLb1EEEEDaS1P_S1Q_EUlS1P_E_NS1_11comp_targetILNS1_3genE5ELNS1_11target_archE942ELNS1_3gpuE9ELNS1_3repE0EEENS1_30default_config_static_selectorELNS0_4arch9wavefront6targetE0EEEvS12_
	.p2align	8
	.type	_ZN7rocprim17ROCPRIM_400000_NS6detail17trampoline_kernelINS0_13select_configILj256ELj13ELNS0_17block_load_methodE3ELS4_3ELS4_3ELNS0_20block_scan_algorithmE0ELj4294967295EEENS1_25partition_config_selectorILNS1_17partition_subalgoE4EjNS0_10empty_typeEbEEZZNS1_14partition_implILS8_4ELb0ES6_15HIP_vector_typeIjLj2EENS0_17counting_iteratorIjlEEPS9_SG_NS0_5tupleIJPjSI_NS0_16reverse_iteratorISI_EEEEENSH_IJSG_SG_SG_EEES9_SI_JZNS1_25segmented_radix_sort_implINS0_14default_configELb1EPKdPdPKlPlN2at6native12_GLOBAL__N_18offset_tEEE10hipError_tPvRmT1_PNSt15iterator_traitsIS12_E10value_typeET2_T3_PNS13_IS18_E10value_typeET4_jRbjT5_S1E_jjP12ihipStream_tbEUljE_ZNSN_ISO_Lb1ESQ_SR_ST_SU_SY_EESZ_S10_S11_S12_S16_S17_S18_S1B_S1C_jS1D_jS1E_S1E_jjS1G_bEUljE0_EEESZ_S10_S11_S18_S1C_S1E_T6_T7_T9_mT8_S1G_bDpT10_ENKUlT_T0_E_clISt17integral_constantIbLb0EES1T_IbLb1EEEEDaS1P_S1Q_EUlS1P_E_NS1_11comp_targetILNS1_3genE5ELNS1_11target_archE942ELNS1_3gpuE9ELNS1_3repE0EEENS1_30default_config_static_selectorELNS0_4arch9wavefront6targetE0EEEvS12_,@function
_ZN7rocprim17ROCPRIM_400000_NS6detail17trampoline_kernelINS0_13select_configILj256ELj13ELNS0_17block_load_methodE3ELS4_3ELS4_3ELNS0_20block_scan_algorithmE0ELj4294967295EEENS1_25partition_config_selectorILNS1_17partition_subalgoE4EjNS0_10empty_typeEbEEZZNS1_14partition_implILS8_4ELb0ES6_15HIP_vector_typeIjLj2EENS0_17counting_iteratorIjlEEPS9_SG_NS0_5tupleIJPjSI_NS0_16reverse_iteratorISI_EEEEENSH_IJSG_SG_SG_EEES9_SI_JZNS1_25segmented_radix_sort_implINS0_14default_configELb1EPKdPdPKlPlN2at6native12_GLOBAL__N_18offset_tEEE10hipError_tPvRmT1_PNSt15iterator_traitsIS12_E10value_typeET2_T3_PNS13_IS18_E10value_typeET4_jRbjT5_S1E_jjP12ihipStream_tbEUljE_ZNSN_ISO_Lb1ESQ_SR_ST_SU_SY_EESZ_S10_S11_S12_S16_S17_S18_S1B_S1C_jS1D_jS1E_S1E_jjS1G_bEUljE0_EEESZ_S10_S11_S18_S1C_S1E_T6_T7_T9_mT8_S1G_bDpT10_ENKUlT_T0_E_clISt17integral_constantIbLb0EES1T_IbLb1EEEEDaS1P_S1Q_EUlS1P_E_NS1_11comp_targetILNS1_3genE5ELNS1_11target_archE942ELNS1_3gpuE9ELNS1_3repE0EEENS1_30default_config_static_selectorELNS0_4arch9wavefront6targetE0EEEvS12_: ; @_ZN7rocprim17ROCPRIM_400000_NS6detail17trampoline_kernelINS0_13select_configILj256ELj13ELNS0_17block_load_methodE3ELS4_3ELS4_3ELNS0_20block_scan_algorithmE0ELj4294967295EEENS1_25partition_config_selectorILNS1_17partition_subalgoE4EjNS0_10empty_typeEbEEZZNS1_14partition_implILS8_4ELb0ES6_15HIP_vector_typeIjLj2EENS0_17counting_iteratorIjlEEPS9_SG_NS0_5tupleIJPjSI_NS0_16reverse_iteratorISI_EEEEENSH_IJSG_SG_SG_EEES9_SI_JZNS1_25segmented_radix_sort_implINS0_14default_configELb1EPKdPdPKlPlN2at6native12_GLOBAL__N_18offset_tEEE10hipError_tPvRmT1_PNSt15iterator_traitsIS12_E10value_typeET2_T3_PNS13_IS18_E10value_typeET4_jRbjT5_S1E_jjP12ihipStream_tbEUljE_ZNSN_ISO_Lb1ESQ_SR_ST_SU_SY_EESZ_S10_S11_S12_S16_S17_S18_S1B_S1C_jS1D_jS1E_S1E_jjS1G_bEUljE0_EEESZ_S10_S11_S18_S1C_S1E_T6_T7_T9_mT8_S1G_bDpT10_ENKUlT_T0_E_clISt17integral_constantIbLb0EES1T_IbLb1EEEEDaS1P_S1Q_EUlS1P_E_NS1_11comp_targetILNS1_3genE5ELNS1_11target_archE942ELNS1_3gpuE9ELNS1_3repE0EEENS1_30default_config_static_selectorELNS0_4arch9wavefront6targetE0EEEvS12_
; %bb.0:
	.section	.rodata,"a",@progbits
	.p2align	6, 0x0
	.amdhsa_kernel _ZN7rocprim17ROCPRIM_400000_NS6detail17trampoline_kernelINS0_13select_configILj256ELj13ELNS0_17block_load_methodE3ELS4_3ELS4_3ELNS0_20block_scan_algorithmE0ELj4294967295EEENS1_25partition_config_selectorILNS1_17partition_subalgoE4EjNS0_10empty_typeEbEEZZNS1_14partition_implILS8_4ELb0ES6_15HIP_vector_typeIjLj2EENS0_17counting_iteratorIjlEEPS9_SG_NS0_5tupleIJPjSI_NS0_16reverse_iteratorISI_EEEEENSH_IJSG_SG_SG_EEES9_SI_JZNS1_25segmented_radix_sort_implINS0_14default_configELb1EPKdPdPKlPlN2at6native12_GLOBAL__N_18offset_tEEE10hipError_tPvRmT1_PNSt15iterator_traitsIS12_E10value_typeET2_T3_PNS13_IS18_E10value_typeET4_jRbjT5_S1E_jjP12ihipStream_tbEUljE_ZNSN_ISO_Lb1ESQ_SR_ST_SU_SY_EESZ_S10_S11_S12_S16_S17_S18_S1B_S1C_jS1D_jS1E_S1E_jjS1G_bEUljE0_EEESZ_S10_S11_S18_S1C_S1E_T6_T7_T9_mT8_S1G_bDpT10_ENKUlT_T0_E_clISt17integral_constantIbLb0EES1T_IbLb1EEEEDaS1P_S1Q_EUlS1P_E_NS1_11comp_targetILNS1_3genE5ELNS1_11target_archE942ELNS1_3gpuE9ELNS1_3repE0EEENS1_30default_config_static_selectorELNS0_4arch9wavefront6targetE0EEEvS12_
		.amdhsa_group_segment_fixed_size 0
		.amdhsa_private_segment_fixed_size 0
		.amdhsa_kernarg_size 184
		.amdhsa_user_sgpr_count 2
		.amdhsa_user_sgpr_dispatch_ptr 0
		.amdhsa_user_sgpr_queue_ptr 0
		.amdhsa_user_sgpr_kernarg_segment_ptr 1
		.amdhsa_user_sgpr_dispatch_id 0
		.amdhsa_user_sgpr_private_segment_size 0
		.amdhsa_wavefront_size32 1
		.amdhsa_uses_dynamic_stack 0
		.amdhsa_enable_private_segment 0
		.amdhsa_system_sgpr_workgroup_id_x 1
		.amdhsa_system_sgpr_workgroup_id_y 0
		.amdhsa_system_sgpr_workgroup_id_z 0
		.amdhsa_system_sgpr_workgroup_info 0
		.amdhsa_system_vgpr_workitem_id 0
		.amdhsa_next_free_vgpr 1
		.amdhsa_next_free_sgpr 1
		.amdhsa_reserve_vcc 0
		.amdhsa_float_round_mode_32 0
		.amdhsa_float_round_mode_16_64 0
		.amdhsa_float_denorm_mode_32 3
		.amdhsa_float_denorm_mode_16_64 3
		.amdhsa_fp16_overflow 0
		.amdhsa_workgroup_processor_mode 1
		.amdhsa_memory_ordered 1
		.amdhsa_forward_progress 1
		.amdhsa_inst_pref_size 0
		.amdhsa_round_robin_scheduling 0
		.amdhsa_exception_fp_ieee_invalid_op 0
		.amdhsa_exception_fp_denorm_src 0
		.amdhsa_exception_fp_ieee_div_zero 0
		.amdhsa_exception_fp_ieee_overflow 0
		.amdhsa_exception_fp_ieee_underflow 0
		.amdhsa_exception_fp_ieee_inexact 0
		.amdhsa_exception_int_div_zero 0
	.end_amdhsa_kernel
	.section	.text._ZN7rocprim17ROCPRIM_400000_NS6detail17trampoline_kernelINS0_13select_configILj256ELj13ELNS0_17block_load_methodE3ELS4_3ELS4_3ELNS0_20block_scan_algorithmE0ELj4294967295EEENS1_25partition_config_selectorILNS1_17partition_subalgoE4EjNS0_10empty_typeEbEEZZNS1_14partition_implILS8_4ELb0ES6_15HIP_vector_typeIjLj2EENS0_17counting_iteratorIjlEEPS9_SG_NS0_5tupleIJPjSI_NS0_16reverse_iteratorISI_EEEEENSH_IJSG_SG_SG_EEES9_SI_JZNS1_25segmented_radix_sort_implINS0_14default_configELb1EPKdPdPKlPlN2at6native12_GLOBAL__N_18offset_tEEE10hipError_tPvRmT1_PNSt15iterator_traitsIS12_E10value_typeET2_T3_PNS13_IS18_E10value_typeET4_jRbjT5_S1E_jjP12ihipStream_tbEUljE_ZNSN_ISO_Lb1ESQ_SR_ST_SU_SY_EESZ_S10_S11_S12_S16_S17_S18_S1B_S1C_jS1D_jS1E_S1E_jjS1G_bEUljE0_EEESZ_S10_S11_S18_S1C_S1E_T6_T7_T9_mT8_S1G_bDpT10_ENKUlT_T0_E_clISt17integral_constantIbLb0EES1T_IbLb1EEEEDaS1P_S1Q_EUlS1P_E_NS1_11comp_targetILNS1_3genE5ELNS1_11target_archE942ELNS1_3gpuE9ELNS1_3repE0EEENS1_30default_config_static_selectorELNS0_4arch9wavefront6targetE0EEEvS12_,"axG",@progbits,_ZN7rocprim17ROCPRIM_400000_NS6detail17trampoline_kernelINS0_13select_configILj256ELj13ELNS0_17block_load_methodE3ELS4_3ELS4_3ELNS0_20block_scan_algorithmE0ELj4294967295EEENS1_25partition_config_selectorILNS1_17partition_subalgoE4EjNS0_10empty_typeEbEEZZNS1_14partition_implILS8_4ELb0ES6_15HIP_vector_typeIjLj2EENS0_17counting_iteratorIjlEEPS9_SG_NS0_5tupleIJPjSI_NS0_16reverse_iteratorISI_EEEEENSH_IJSG_SG_SG_EEES9_SI_JZNS1_25segmented_radix_sort_implINS0_14default_configELb1EPKdPdPKlPlN2at6native12_GLOBAL__N_18offset_tEEE10hipError_tPvRmT1_PNSt15iterator_traitsIS12_E10value_typeET2_T3_PNS13_IS18_E10value_typeET4_jRbjT5_S1E_jjP12ihipStream_tbEUljE_ZNSN_ISO_Lb1ESQ_SR_ST_SU_SY_EESZ_S10_S11_S12_S16_S17_S18_S1B_S1C_jS1D_jS1E_S1E_jjS1G_bEUljE0_EEESZ_S10_S11_S18_S1C_S1E_T6_T7_T9_mT8_S1G_bDpT10_ENKUlT_T0_E_clISt17integral_constantIbLb0EES1T_IbLb1EEEEDaS1P_S1Q_EUlS1P_E_NS1_11comp_targetILNS1_3genE5ELNS1_11target_archE942ELNS1_3gpuE9ELNS1_3repE0EEENS1_30default_config_static_selectorELNS0_4arch9wavefront6targetE0EEEvS12_,comdat
.Lfunc_end1079:
	.size	_ZN7rocprim17ROCPRIM_400000_NS6detail17trampoline_kernelINS0_13select_configILj256ELj13ELNS0_17block_load_methodE3ELS4_3ELS4_3ELNS0_20block_scan_algorithmE0ELj4294967295EEENS1_25partition_config_selectorILNS1_17partition_subalgoE4EjNS0_10empty_typeEbEEZZNS1_14partition_implILS8_4ELb0ES6_15HIP_vector_typeIjLj2EENS0_17counting_iteratorIjlEEPS9_SG_NS0_5tupleIJPjSI_NS0_16reverse_iteratorISI_EEEEENSH_IJSG_SG_SG_EEES9_SI_JZNS1_25segmented_radix_sort_implINS0_14default_configELb1EPKdPdPKlPlN2at6native12_GLOBAL__N_18offset_tEEE10hipError_tPvRmT1_PNSt15iterator_traitsIS12_E10value_typeET2_T3_PNS13_IS18_E10value_typeET4_jRbjT5_S1E_jjP12ihipStream_tbEUljE_ZNSN_ISO_Lb1ESQ_SR_ST_SU_SY_EESZ_S10_S11_S12_S16_S17_S18_S1B_S1C_jS1D_jS1E_S1E_jjS1G_bEUljE0_EEESZ_S10_S11_S18_S1C_S1E_T6_T7_T9_mT8_S1G_bDpT10_ENKUlT_T0_E_clISt17integral_constantIbLb0EES1T_IbLb1EEEEDaS1P_S1Q_EUlS1P_E_NS1_11comp_targetILNS1_3genE5ELNS1_11target_archE942ELNS1_3gpuE9ELNS1_3repE0EEENS1_30default_config_static_selectorELNS0_4arch9wavefront6targetE0EEEvS12_, .Lfunc_end1079-_ZN7rocprim17ROCPRIM_400000_NS6detail17trampoline_kernelINS0_13select_configILj256ELj13ELNS0_17block_load_methodE3ELS4_3ELS4_3ELNS0_20block_scan_algorithmE0ELj4294967295EEENS1_25partition_config_selectorILNS1_17partition_subalgoE4EjNS0_10empty_typeEbEEZZNS1_14partition_implILS8_4ELb0ES6_15HIP_vector_typeIjLj2EENS0_17counting_iteratorIjlEEPS9_SG_NS0_5tupleIJPjSI_NS0_16reverse_iteratorISI_EEEEENSH_IJSG_SG_SG_EEES9_SI_JZNS1_25segmented_radix_sort_implINS0_14default_configELb1EPKdPdPKlPlN2at6native12_GLOBAL__N_18offset_tEEE10hipError_tPvRmT1_PNSt15iterator_traitsIS12_E10value_typeET2_T3_PNS13_IS18_E10value_typeET4_jRbjT5_S1E_jjP12ihipStream_tbEUljE_ZNSN_ISO_Lb1ESQ_SR_ST_SU_SY_EESZ_S10_S11_S12_S16_S17_S18_S1B_S1C_jS1D_jS1E_S1E_jjS1G_bEUljE0_EEESZ_S10_S11_S18_S1C_S1E_T6_T7_T9_mT8_S1G_bDpT10_ENKUlT_T0_E_clISt17integral_constantIbLb0EES1T_IbLb1EEEEDaS1P_S1Q_EUlS1P_E_NS1_11comp_targetILNS1_3genE5ELNS1_11target_archE942ELNS1_3gpuE9ELNS1_3repE0EEENS1_30default_config_static_selectorELNS0_4arch9wavefront6targetE0EEEvS12_
                                        ; -- End function
	.set _ZN7rocprim17ROCPRIM_400000_NS6detail17trampoline_kernelINS0_13select_configILj256ELj13ELNS0_17block_load_methodE3ELS4_3ELS4_3ELNS0_20block_scan_algorithmE0ELj4294967295EEENS1_25partition_config_selectorILNS1_17partition_subalgoE4EjNS0_10empty_typeEbEEZZNS1_14partition_implILS8_4ELb0ES6_15HIP_vector_typeIjLj2EENS0_17counting_iteratorIjlEEPS9_SG_NS0_5tupleIJPjSI_NS0_16reverse_iteratorISI_EEEEENSH_IJSG_SG_SG_EEES9_SI_JZNS1_25segmented_radix_sort_implINS0_14default_configELb1EPKdPdPKlPlN2at6native12_GLOBAL__N_18offset_tEEE10hipError_tPvRmT1_PNSt15iterator_traitsIS12_E10value_typeET2_T3_PNS13_IS18_E10value_typeET4_jRbjT5_S1E_jjP12ihipStream_tbEUljE_ZNSN_ISO_Lb1ESQ_SR_ST_SU_SY_EESZ_S10_S11_S12_S16_S17_S18_S1B_S1C_jS1D_jS1E_S1E_jjS1G_bEUljE0_EEESZ_S10_S11_S18_S1C_S1E_T6_T7_T9_mT8_S1G_bDpT10_ENKUlT_T0_E_clISt17integral_constantIbLb0EES1T_IbLb1EEEEDaS1P_S1Q_EUlS1P_E_NS1_11comp_targetILNS1_3genE5ELNS1_11target_archE942ELNS1_3gpuE9ELNS1_3repE0EEENS1_30default_config_static_selectorELNS0_4arch9wavefront6targetE0EEEvS12_.num_vgpr, 0
	.set _ZN7rocprim17ROCPRIM_400000_NS6detail17trampoline_kernelINS0_13select_configILj256ELj13ELNS0_17block_load_methodE3ELS4_3ELS4_3ELNS0_20block_scan_algorithmE0ELj4294967295EEENS1_25partition_config_selectorILNS1_17partition_subalgoE4EjNS0_10empty_typeEbEEZZNS1_14partition_implILS8_4ELb0ES6_15HIP_vector_typeIjLj2EENS0_17counting_iteratorIjlEEPS9_SG_NS0_5tupleIJPjSI_NS0_16reverse_iteratorISI_EEEEENSH_IJSG_SG_SG_EEES9_SI_JZNS1_25segmented_radix_sort_implINS0_14default_configELb1EPKdPdPKlPlN2at6native12_GLOBAL__N_18offset_tEEE10hipError_tPvRmT1_PNSt15iterator_traitsIS12_E10value_typeET2_T3_PNS13_IS18_E10value_typeET4_jRbjT5_S1E_jjP12ihipStream_tbEUljE_ZNSN_ISO_Lb1ESQ_SR_ST_SU_SY_EESZ_S10_S11_S12_S16_S17_S18_S1B_S1C_jS1D_jS1E_S1E_jjS1G_bEUljE0_EEESZ_S10_S11_S18_S1C_S1E_T6_T7_T9_mT8_S1G_bDpT10_ENKUlT_T0_E_clISt17integral_constantIbLb0EES1T_IbLb1EEEEDaS1P_S1Q_EUlS1P_E_NS1_11comp_targetILNS1_3genE5ELNS1_11target_archE942ELNS1_3gpuE9ELNS1_3repE0EEENS1_30default_config_static_selectorELNS0_4arch9wavefront6targetE0EEEvS12_.num_agpr, 0
	.set _ZN7rocprim17ROCPRIM_400000_NS6detail17trampoline_kernelINS0_13select_configILj256ELj13ELNS0_17block_load_methodE3ELS4_3ELS4_3ELNS0_20block_scan_algorithmE0ELj4294967295EEENS1_25partition_config_selectorILNS1_17partition_subalgoE4EjNS0_10empty_typeEbEEZZNS1_14partition_implILS8_4ELb0ES6_15HIP_vector_typeIjLj2EENS0_17counting_iteratorIjlEEPS9_SG_NS0_5tupleIJPjSI_NS0_16reverse_iteratorISI_EEEEENSH_IJSG_SG_SG_EEES9_SI_JZNS1_25segmented_radix_sort_implINS0_14default_configELb1EPKdPdPKlPlN2at6native12_GLOBAL__N_18offset_tEEE10hipError_tPvRmT1_PNSt15iterator_traitsIS12_E10value_typeET2_T3_PNS13_IS18_E10value_typeET4_jRbjT5_S1E_jjP12ihipStream_tbEUljE_ZNSN_ISO_Lb1ESQ_SR_ST_SU_SY_EESZ_S10_S11_S12_S16_S17_S18_S1B_S1C_jS1D_jS1E_S1E_jjS1G_bEUljE0_EEESZ_S10_S11_S18_S1C_S1E_T6_T7_T9_mT8_S1G_bDpT10_ENKUlT_T0_E_clISt17integral_constantIbLb0EES1T_IbLb1EEEEDaS1P_S1Q_EUlS1P_E_NS1_11comp_targetILNS1_3genE5ELNS1_11target_archE942ELNS1_3gpuE9ELNS1_3repE0EEENS1_30default_config_static_selectorELNS0_4arch9wavefront6targetE0EEEvS12_.numbered_sgpr, 0
	.set _ZN7rocprim17ROCPRIM_400000_NS6detail17trampoline_kernelINS0_13select_configILj256ELj13ELNS0_17block_load_methodE3ELS4_3ELS4_3ELNS0_20block_scan_algorithmE0ELj4294967295EEENS1_25partition_config_selectorILNS1_17partition_subalgoE4EjNS0_10empty_typeEbEEZZNS1_14partition_implILS8_4ELb0ES6_15HIP_vector_typeIjLj2EENS0_17counting_iteratorIjlEEPS9_SG_NS0_5tupleIJPjSI_NS0_16reverse_iteratorISI_EEEEENSH_IJSG_SG_SG_EEES9_SI_JZNS1_25segmented_radix_sort_implINS0_14default_configELb1EPKdPdPKlPlN2at6native12_GLOBAL__N_18offset_tEEE10hipError_tPvRmT1_PNSt15iterator_traitsIS12_E10value_typeET2_T3_PNS13_IS18_E10value_typeET4_jRbjT5_S1E_jjP12ihipStream_tbEUljE_ZNSN_ISO_Lb1ESQ_SR_ST_SU_SY_EESZ_S10_S11_S12_S16_S17_S18_S1B_S1C_jS1D_jS1E_S1E_jjS1G_bEUljE0_EEESZ_S10_S11_S18_S1C_S1E_T6_T7_T9_mT8_S1G_bDpT10_ENKUlT_T0_E_clISt17integral_constantIbLb0EES1T_IbLb1EEEEDaS1P_S1Q_EUlS1P_E_NS1_11comp_targetILNS1_3genE5ELNS1_11target_archE942ELNS1_3gpuE9ELNS1_3repE0EEENS1_30default_config_static_selectorELNS0_4arch9wavefront6targetE0EEEvS12_.num_named_barrier, 0
	.set _ZN7rocprim17ROCPRIM_400000_NS6detail17trampoline_kernelINS0_13select_configILj256ELj13ELNS0_17block_load_methodE3ELS4_3ELS4_3ELNS0_20block_scan_algorithmE0ELj4294967295EEENS1_25partition_config_selectorILNS1_17partition_subalgoE4EjNS0_10empty_typeEbEEZZNS1_14partition_implILS8_4ELb0ES6_15HIP_vector_typeIjLj2EENS0_17counting_iteratorIjlEEPS9_SG_NS0_5tupleIJPjSI_NS0_16reverse_iteratorISI_EEEEENSH_IJSG_SG_SG_EEES9_SI_JZNS1_25segmented_radix_sort_implINS0_14default_configELb1EPKdPdPKlPlN2at6native12_GLOBAL__N_18offset_tEEE10hipError_tPvRmT1_PNSt15iterator_traitsIS12_E10value_typeET2_T3_PNS13_IS18_E10value_typeET4_jRbjT5_S1E_jjP12ihipStream_tbEUljE_ZNSN_ISO_Lb1ESQ_SR_ST_SU_SY_EESZ_S10_S11_S12_S16_S17_S18_S1B_S1C_jS1D_jS1E_S1E_jjS1G_bEUljE0_EEESZ_S10_S11_S18_S1C_S1E_T6_T7_T9_mT8_S1G_bDpT10_ENKUlT_T0_E_clISt17integral_constantIbLb0EES1T_IbLb1EEEEDaS1P_S1Q_EUlS1P_E_NS1_11comp_targetILNS1_3genE5ELNS1_11target_archE942ELNS1_3gpuE9ELNS1_3repE0EEENS1_30default_config_static_selectorELNS0_4arch9wavefront6targetE0EEEvS12_.private_seg_size, 0
	.set _ZN7rocprim17ROCPRIM_400000_NS6detail17trampoline_kernelINS0_13select_configILj256ELj13ELNS0_17block_load_methodE3ELS4_3ELS4_3ELNS0_20block_scan_algorithmE0ELj4294967295EEENS1_25partition_config_selectorILNS1_17partition_subalgoE4EjNS0_10empty_typeEbEEZZNS1_14partition_implILS8_4ELb0ES6_15HIP_vector_typeIjLj2EENS0_17counting_iteratorIjlEEPS9_SG_NS0_5tupleIJPjSI_NS0_16reverse_iteratorISI_EEEEENSH_IJSG_SG_SG_EEES9_SI_JZNS1_25segmented_radix_sort_implINS0_14default_configELb1EPKdPdPKlPlN2at6native12_GLOBAL__N_18offset_tEEE10hipError_tPvRmT1_PNSt15iterator_traitsIS12_E10value_typeET2_T3_PNS13_IS18_E10value_typeET4_jRbjT5_S1E_jjP12ihipStream_tbEUljE_ZNSN_ISO_Lb1ESQ_SR_ST_SU_SY_EESZ_S10_S11_S12_S16_S17_S18_S1B_S1C_jS1D_jS1E_S1E_jjS1G_bEUljE0_EEESZ_S10_S11_S18_S1C_S1E_T6_T7_T9_mT8_S1G_bDpT10_ENKUlT_T0_E_clISt17integral_constantIbLb0EES1T_IbLb1EEEEDaS1P_S1Q_EUlS1P_E_NS1_11comp_targetILNS1_3genE5ELNS1_11target_archE942ELNS1_3gpuE9ELNS1_3repE0EEENS1_30default_config_static_selectorELNS0_4arch9wavefront6targetE0EEEvS12_.uses_vcc, 0
	.set _ZN7rocprim17ROCPRIM_400000_NS6detail17trampoline_kernelINS0_13select_configILj256ELj13ELNS0_17block_load_methodE3ELS4_3ELS4_3ELNS0_20block_scan_algorithmE0ELj4294967295EEENS1_25partition_config_selectorILNS1_17partition_subalgoE4EjNS0_10empty_typeEbEEZZNS1_14partition_implILS8_4ELb0ES6_15HIP_vector_typeIjLj2EENS0_17counting_iteratorIjlEEPS9_SG_NS0_5tupleIJPjSI_NS0_16reverse_iteratorISI_EEEEENSH_IJSG_SG_SG_EEES9_SI_JZNS1_25segmented_radix_sort_implINS0_14default_configELb1EPKdPdPKlPlN2at6native12_GLOBAL__N_18offset_tEEE10hipError_tPvRmT1_PNSt15iterator_traitsIS12_E10value_typeET2_T3_PNS13_IS18_E10value_typeET4_jRbjT5_S1E_jjP12ihipStream_tbEUljE_ZNSN_ISO_Lb1ESQ_SR_ST_SU_SY_EESZ_S10_S11_S12_S16_S17_S18_S1B_S1C_jS1D_jS1E_S1E_jjS1G_bEUljE0_EEESZ_S10_S11_S18_S1C_S1E_T6_T7_T9_mT8_S1G_bDpT10_ENKUlT_T0_E_clISt17integral_constantIbLb0EES1T_IbLb1EEEEDaS1P_S1Q_EUlS1P_E_NS1_11comp_targetILNS1_3genE5ELNS1_11target_archE942ELNS1_3gpuE9ELNS1_3repE0EEENS1_30default_config_static_selectorELNS0_4arch9wavefront6targetE0EEEvS12_.uses_flat_scratch, 0
	.set _ZN7rocprim17ROCPRIM_400000_NS6detail17trampoline_kernelINS0_13select_configILj256ELj13ELNS0_17block_load_methodE3ELS4_3ELS4_3ELNS0_20block_scan_algorithmE0ELj4294967295EEENS1_25partition_config_selectorILNS1_17partition_subalgoE4EjNS0_10empty_typeEbEEZZNS1_14partition_implILS8_4ELb0ES6_15HIP_vector_typeIjLj2EENS0_17counting_iteratorIjlEEPS9_SG_NS0_5tupleIJPjSI_NS0_16reverse_iteratorISI_EEEEENSH_IJSG_SG_SG_EEES9_SI_JZNS1_25segmented_radix_sort_implINS0_14default_configELb1EPKdPdPKlPlN2at6native12_GLOBAL__N_18offset_tEEE10hipError_tPvRmT1_PNSt15iterator_traitsIS12_E10value_typeET2_T3_PNS13_IS18_E10value_typeET4_jRbjT5_S1E_jjP12ihipStream_tbEUljE_ZNSN_ISO_Lb1ESQ_SR_ST_SU_SY_EESZ_S10_S11_S12_S16_S17_S18_S1B_S1C_jS1D_jS1E_S1E_jjS1G_bEUljE0_EEESZ_S10_S11_S18_S1C_S1E_T6_T7_T9_mT8_S1G_bDpT10_ENKUlT_T0_E_clISt17integral_constantIbLb0EES1T_IbLb1EEEEDaS1P_S1Q_EUlS1P_E_NS1_11comp_targetILNS1_3genE5ELNS1_11target_archE942ELNS1_3gpuE9ELNS1_3repE0EEENS1_30default_config_static_selectorELNS0_4arch9wavefront6targetE0EEEvS12_.has_dyn_sized_stack, 0
	.set _ZN7rocprim17ROCPRIM_400000_NS6detail17trampoline_kernelINS0_13select_configILj256ELj13ELNS0_17block_load_methodE3ELS4_3ELS4_3ELNS0_20block_scan_algorithmE0ELj4294967295EEENS1_25partition_config_selectorILNS1_17partition_subalgoE4EjNS0_10empty_typeEbEEZZNS1_14partition_implILS8_4ELb0ES6_15HIP_vector_typeIjLj2EENS0_17counting_iteratorIjlEEPS9_SG_NS0_5tupleIJPjSI_NS0_16reverse_iteratorISI_EEEEENSH_IJSG_SG_SG_EEES9_SI_JZNS1_25segmented_radix_sort_implINS0_14default_configELb1EPKdPdPKlPlN2at6native12_GLOBAL__N_18offset_tEEE10hipError_tPvRmT1_PNSt15iterator_traitsIS12_E10value_typeET2_T3_PNS13_IS18_E10value_typeET4_jRbjT5_S1E_jjP12ihipStream_tbEUljE_ZNSN_ISO_Lb1ESQ_SR_ST_SU_SY_EESZ_S10_S11_S12_S16_S17_S18_S1B_S1C_jS1D_jS1E_S1E_jjS1G_bEUljE0_EEESZ_S10_S11_S18_S1C_S1E_T6_T7_T9_mT8_S1G_bDpT10_ENKUlT_T0_E_clISt17integral_constantIbLb0EES1T_IbLb1EEEEDaS1P_S1Q_EUlS1P_E_NS1_11comp_targetILNS1_3genE5ELNS1_11target_archE942ELNS1_3gpuE9ELNS1_3repE0EEENS1_30default_config_static_selectorELNS0_4arch9wavefront6targetE0EEEvS12_.has_recursion, 0
	.set _ZN7rocprim17ROCPRIM_400000_NS6detail17trampoline_kernelINS0_13select_configILj256ELj13ELNS0_17block_load_methodE3ELS4_3ELS4_3ELNS0_20block_scan_algorithmE0ELj4294967295EEENS1_25partition_config_selectorILNS1_17partition_subalgoE4EjNS0_10empty_typeEbEEZZNS1_14partition_implILS8_4ELb0ES6_15HIP_vector_typeIjLj2EENS0_17counting_iteratorIjlEEPS9_SG_NS0_5tupleIJPjSI_NS0_16reverse_iteratorISI_EEEEENSH_IJSG_SG_SG_EEES9_SI_JZNS1_25segmented_radix_sort_implINS0_14default_configELb1EPKdPdPKlPlN2at6native12_GLOBAL__N_18offset_tEEE10hipError_tPvRmT1_PNSt15iterator_traitsIS12_E10value_typeET2_T3_PNS13_IS18_E10value_typeET4_jRbjT5_S1E_jjP12ihipStream_tbEUljE_ZNSN_ISO_Lb1ESQ_SR_ST_SU_SY_EESZ_S10_S11_S12_S16_S17_S18_S1B_S1C_jS1D_jS1E_S1E_jjS1G_bEUljE0_EEESZ_S10_S11_S18_S1C_S1E_T6_T7_T9_mT8_S1G_bDpT10_ENKUlT_T0_E_clISt17integral_constantIbLb0EES1T_IbLb1EEEEDaS1P_S1Q_EUlS1P_E_NS1_11comp_targetILNS1_3genE5ELNS1_11target_archE942ELNS1_3gpuE9ELNS1_3repE0EEENS1_30default_config_static_selectorELNS0_4arch9wavefront6targetE0EEEvS12_.has_indirect_call, 0
	.section	.AMDGPU.csdata,"",@progbits
; Kernel info:
; codeLenInByte = 0
; TotalNumSgprs: 0
; NumVgprs: 0
; ScratchSize: 0
; MemoryBound: 0
; FloatMode: 240
; IeeeMode: 1
; LDSByteSize: 0 bytes/workgroup (compile time only)
; SGPRBlocks: 0
; VGPRBlocks: 0
; NumSGPRsForWavesPerEU: 1
; NumVGPRsForWavesPerEU: 1
; Occupancy: 16
; WaveLimiterHint : 0
; COMPUTE_PGM_RSRC2:SCRATCH_EN: 0
; COMPUTE_PGM_RSRC2:USER_SGPR: 2
; COMPUTE_PGM_RSRC2:TRAP_HANDLER: 0
; COMPUTE_PGM_RSRC2:TGID_X_EN: 1
; COMPUTE_PGM_RSRC2:TGID_Y_EN: 0
; COMPUTE_PGM_RSRC2:TGID_Z_EN: 0
; COMPUTE_PGM_RSRC2:TIDIG_COMP_CNT: 0
	.section	.text._ZN7rocprim17ROCPRIM_400000_NS6detail17trampoline_kernelINS0_13select_configILj256ELj13ELNS0_17block_load_methodE3ELS4_3ELS4_3ELNS0_20block_scan_algorithmE0ELj4294967295EEENS1_25partition_config_selectorILNS1_17partition_subalgoE4EjNS0_10empty_typeEbEEZZNS1_14partition_implILS8_4ELb0ES6_15HIP_vector_typeIjLj2EENS0_17counting_iteratorIjlEEPS9_SG_NS0_5tupleIJPjSI_NS0_16reverse_iteratorISI_EEEEENSH_IJSG_SG_SG_EEES9_SI_JZNS1_25segmented_radix_sort_implINS0_14default_configELb1EPKdPdPKlPlN2at6native12_GLOBAL__N_18offset_tEEE10hipError_tPvRmT1_PNSt15iterator_traitsIS12_E10value_typeET2_T3_PNS13_IS18_E10value_typeET4_jRbjT5_S1E_jjP12ihipStream_tbEUljE_ZNSN_ISO_Lb1ESQ_SR_ST_SU_SY_EESZ_S10_S11_S12_S16_S17_S18_S1B_S1C_jS1D_jS1E_S1E_jjS1G_bEUljE0_EEESZ_S10_S11_S18_S1C_S1E_T6_T7_T9_mT8_S1G_bDpT10_ENKUlT_T0_E_clISt17integral_constantIbLb0EES1T_IbLb1EEEEDaS1P_S1Q_EUlS1P_E_NS1_11comp_targetILNS1_3genE4ELNS1_11target_archE910ELNS1_3gpuE8ELNS1_3repE0EEENS1_30default_config_static_selectorELNS0_4arch9wavefront6targetE0EEEvS12_,"axG",@progbits,_ZN7rocprim17ROCPRIM_400000_NS6detail17trampoline_kernelINS0_13select_configILj256ELj13ELNS0_17block_load_methodE3ELS4_3ELS4_3ELNS0_20block_scan_algorithmE0ELj4294967295EEENS1_25partition_config_selectorILNS1_17partition_subalgoE4EjNS0_10empty_typeEbEEZZNS1_14partition_implILS8_4ELb0ES6_15HIP_vector_typeIjLj2EENS0_17counting_iteratorIjlEEPS9_SG_NS0_5tupleIJPjSI_NS0_16reverse_iteratorISI_EEEEENSH_IJSG_SG_SG_EEES9_SI_JZNS1_25segmented_radix_sort_implINS0_14default_configELb1EPKdPdPKlPlN2at6native12_GLOBAL__N_18offset_tEEE10hipError_tPvRmT1_PNSt15iterator_traitsIS12_E10value_typeET2_T3_PNS13_IS18_E10value_typeET4_jRbjT5_S1E_jjP12ihipStream_tbEUljE_ZNSN_ISO_Lb1ESQ_SR_ST_SU_SY_EESZ_S10_S11_S12_S16_S17_S18_S1B_S1C_jS1D_jS1E_S1E_jjS1G_bEUljE0_EEESZ_S10_S11_S18_S1C_S1E_T6_T7_T9_mT8_S1G_bDpT10_ENKUlT_T0_E_clISt17integral_constantIbLb0EES1T_IbLb1EEEEDaS1P_S1Q_EUlS1P_E_NS1_11comp_targetILNS1_3genE4ELNS1_11target_archE910ELNS1_3gpuE8ELNS1_3repE0EEENS1_30default_config_static_selectorELNS0_4arch9wavefront6targetE0EEEvS12_,comdat
	.globl	_ZN7rocprim17ROCPRIM_400000_NS6detail17trampoline_kernelINS0_13select_configILj256ELj13ELNS0_17block_load_methodE3ELS4_3ELS4_3ELNS0_20block_scan_algorithmE0ELj4294967295EEENS1_25partition_config_selectorILNS1_17partition_subalgoE4EjNS0_10empty_typeEbEEZZNS1_14partition_implILS8_4ELb0ES6_15HIP_vector_typeIjLj2EENS0_17counting_iteratorIjlEEPS9_SG_NS0_5tupleIJPjSI_NS0_16reverse_iteratorISI_EEEEENSH_IJSG_SG_SG_EEES9_SI_JZNS1_25segmented_radix_sort_implINS0_14default_configELb1EPKdPdPKlPlN2at6native12_GLOBAL__N_18offset_tEEE10hipError_tPvRmT1_PNSt15iterator_traitsIS12_E10value_typeET2_T3_PNS13_IS18_E10value_typeET4_jRbjT5_S1E_jjP12ihipStream_tbEUljE_ZNSN_ISO_Lb1ESQ_SR_ST_SU_SY_EESZ_S10_S11_S12_S16_S17_S18_S1B_S1C_jS1D_jS1E_S1E_jjS1G_bEUljE0_EEESZ_S10_S11_S18_S1C_S1E_T6_T7_T9_mT8_S1G_bDpT10_ENKUlT_T0_E_clISt17integral_constantIbLb0EES1T_IbLb1EEEEDaS1P_S1Q_EUlS1P_E_NS1_11comp_targetILNS1_3genE4ELNS1_11target_archE910ELNS1_3gpuE8ELNS1_3repE0EEENS1_30default_config_static_selectorELNS0_4arch9wavefront6targetE0EEEvS12_ ; -- Begin function _ZN7rocprim17ROCPRIM_400000_NS6detail17trampoline_kernelINS0_13select_configILj256ELj13ELNS0_17block_load_methodE3ELS4_3ELS4_3ELNS0_20block_scan_algorithmE0ELj4294967295EEENS1_25partition_config_selectorILNS1_17partition_subalgoE4EjNS0_10empty_typeEbEEZZNS1_14partition_implILS8_4ELb0ES6_15HIP_vector_typeIjLj2EENS0_17counting_iteratorIjlEEPS9_SG_NS0_5tupleIJPjSI_NS0_16reverse_iteratorISI_EEEEENSH_IJSG_SG_SG_EEES9_SI_JZNS1_25segmented_radix_sort_implINS0_14default_configELb1EPKdPdPKlPlN2at6native12_GLOBAL__N_18offset_tEEE10hipError_tPvRmT1_PNSt15iterator_traitsIS12_E10value_typeET2_T3_PNS13_IS18_E10value_typeET4_jRbjT5_S1E_jjP12ihipStream_tbEUljE_ZNSN_ISO_Lb1ESQ_SR_ST_SU_SY_EESZ_S10_S11_S12_S16_S17_S18_S1B_S1C_jS1D_jS1E_S1E_jjS1G_bEUljE0_EEESZ_S10_S11_S18_S1C_S1E_T6_T7_T9_mT8_S1G_bDpT10_ENKUlT_T0_E_clISt17integral_constantIbLb0EES1T_IbLb1EEEEDaS1P_S1Q_EUlS1P_E_NS1_11comp_targetILNS1_3genE4ELNS1_11target_archE910ELNS1_3gpuE8ELNS1_3repE0EEENS1_30default_config_static_selectorELNS0_4arch9wavefront6targetE0EEEvS12_
	.p2align	8
	.type	_ZN7rocprim17ROCPRIM_400000_NS6detail17trampoline_kernelINS0_13select_configILj256ELj13ELNS0_17block_load_methodE3ELS4_3ELS4_3ELNS0_20block_scan_algorithmE0ELj4294967295EEENS1_25partition_config_selectorILNS1_17partition_subalgoE4EjNS0_10empty_typeEbEEZZNS1_14partition_implILS8_4ELb0ES6_15HIP_vector_typeIjLj2EENS0_17counting_iteratorIjlEEPS9_SG_NS0_5tupleIJPjSI_NS0_16reverse_iteratorISI_EEEEENSH_IJSG_SG_SG_EEES9_SI_JZNS1_25segmented_radix_sort_implINS0_14default_configELb1EPKdPdPKlPlN2at6native12_GLOBAL__N_18offset_tEEE10hipError_tPvRmT1_PNSt15iterator_traitsIS12_E10value_typeET2_T3_PNS13_IS18_E10value_typeET4_jRbjT5_S1E_jjP12ihipStream_tbEUljE_ZNSN_ISO_Lb1ESQ_SR_ST_SU_SY_EESZ_S10_S11_S12_S16_S17_S18_S1B_S1C_jS1D_jS1E_S1E_jjS1G_bEUljE0_EEESZ_S10_S11_S18_S1C_S1E_T6_T7_T9_mT8_S1G_bDpT10_ENKUlT_T0_E_clISt17integral_constantIbLb0EES1T_IbLb1EEEEDaS1P_S1Q_EUlS1P_E_NS1_11comp_targetILNS1_3genE4ELNS1_11target_archE910ELNS1_3gpuE8ELNS1_3repE0EEENS1_30default_config_static_selectorELNS0_4arch9wavefront6targetE0EEEvS12_,@function
_ZN7rocprim17ROCPRIM_400000_NS6detail17trampoline_kernelINS0_13select_configILj256ELj13ELNS0_17block_load_methodE3ELS4_3ELS4_3ELNS0_20block_scan_algorithmE0ELj4294967295EEENS1_25partition_config_selectorILNS1_17partition_subalgoE4EjNS0_10empty_typeEbEEZZNS1_14partition_implILS8_4ELb0ES6_15HIP_vector_typeIjLj2EENS0_17counting_iteratorIjlEEPS9_SG_NS0_5tupleIJPjSI_NS0_16reverse_iteratorISI_EEEEENSH_IJSG_SG_SG_EEES9_SI_JZNS1_25segmented_radix_sort_implINS0_14default_configELb1EPKdPdPKlPlN2at6native12_GLOBAL__N_18offset_tEEE10hipError_tPvRmT1_PNSt15iterator_traitsIS12_E10value_typeET2_T3_PNS13_IS18_E10value_typeET4_jRbjT5_S1E_jjP12ihipStream_tbEUljE_ZNSN_ISO_Lb1ESQ_SR_ST_SU_SY_EESZ_S10_S11_S12_S16_S17_S18_S1B_S1C_jS1D_jS1E_S1E_jjS1G_bEUljE0_EEESZ_S10_S11_S18_S1C_S1E_T6_T7_T9_mT8_S1G_bDpT10_ENKUlT_T0_E_clISt17integral_constantIbLb0EES1T_IbLb1EEEEDaS1P_S1Q_EUlS1P_E_NS1_11comp_targetILNS1_3genE4ELNS1_11target_archE910ELNS1_3gpuE8ELNS1_3repE0EEENS1_30default_config_static_selectorELNS0_4arch9wavefront6targetE0EEEvS12_: ; @_ZN7rocprim17ROCPRIM_400000_NS6detail17trampoline_kernelINS0_13select_configILj256ELj13ELNS0_17block_load_methodE3ELS4_3ELS4_3ELNS0_20block_scan_algorithmE0ELj4294967295EEENS1_25partition_config_selectorILNS1_17partition_subalgoE4EjNS0_10empty_typeEbEEZZNS1_14partition_implILS8_4ELb0ES6_15HIP_vector_typeIjLj2EENS0_17counting_iteratorIjlEEPS9_SG_NS0_5tupleIJPjSI_NS0_16reverse_iteratorISI_EEEEENSH_IJSG_SG_SG_EEES9_SI_JZNS1_25segmented_radix_sort_implINS0_14default_configELb1EPKdPdPKlPlN2at6native12_GLOBAL__N_18offset_tEEE10hipError_tPvRmT1_PNSt15iterator_traitsIS12_E10value_typeET2_T3_PNS13_IS18_E10value_typeET4_jRbjT5_S1E_jjP12ihipStream_tbEUljE_ZNSN_ISO_Lb1ESQ_SR_ST_SU_SY_EESZ_S10_S11_S12_S16_S17_S18_S1B_S1C_jS1D_jS1E_S1E_jjS1G_bEUljE0_EEESZ_S10_S11_S18_S1C_S1E_T6_T7_T9_mT8_S1G_bDpT10_ENKUlT_T0_E_clISt17integral_constantIbLb0EES1T_IbLb1EEEEDaS1P_S1Q_EUlS1P_E_NS1_11comp_targetILNS1_3genE4ELNS1_11target_archE910ELNS1_3gpuE8ELNS1_3repE0EEENS1_30default_config_static_selectorELNS0_4arch9wavefront6targetE0EEEvS12_
; %bb.0:
	.section	.rodata,"a",@progbits
	.p2align	6, 0x0
	.amdhsa_kernel _ZN7rocprim17ROCPRIM_400000_NS6detail17trampoline_kernelINS0_13select_configILj256ELj13ELNS0_17block_load_methodE3ELS4_3ELS4_3ELNS0_20block_scan_algorithmE0ELj4294967295EEENS1_25partition_config_selectorILNS1_17partition_subalgoE4EjNS0_10empty_typeEbEEZZNS1_14partition_implILS8_4ELb0ES6_15HIP_vector_typeIjLj2EENS0_17counting_iteratorIjlEEPS9_SG_NS0_5tupleIJPjSI_NS0_16reverse_iteratorISI_EEEEENSH_IJSG_SG_SG_EEES9_SI_JZNS1_25segmented_radix_sort_implINS0_14default_configELb1EPKdPdPKlPlN2at6native12_GLOBAL__N_18offset_tEEE10hipError_tPvRmT1_PNSt15iterator_traitsIS12_E10value_typeET2_T3_PNS13_IS18_E10value_typeET4_jRbjT5_S1E_jjP12ihipStream_tbEUljE_ZNSN_ISO_Lb1ESQ_SR_ST_SU_SY_EESZ_S10_S11_S12_S16_S17_S18_S1B_S1C_jS1D_jS1E_S1E_jjS1G_bEUljE0_EEESZ_S10_S11_S18_S1C_S1E_T6_T7_T9_mT8_S1G_bDpT10_ENKUlT_T0_E_clISt17integral_constantIbLb0EES1T_IbLb1EEEEDaS1P_S1Q_EUlS1P_E_NS1_11comp_targetILNS1_3genE4ELNS1_11target_archE910ELNS1_3gpuE8ELNS1_3repE0EEENS1_30default_config_static_selectorELNS0_4arch9wavefront6targetE0EEEvS12_
		.amdhsa_group_segment_fixed_size 0
		.amdhsa_private_segment_fixed_size 0
		.amdhsa_kernarg_size 184
		.amdhsa_user_sgpr_count 2
		.amdhsa_user_sgpr_dispatch_ptr 0
		.amdhsa_user_sgpr_queue_ptr 0
		.amdhsa_user_sgpr_kernarg_segment_ptr 1
		.amdhsa_user_sgpr_dispatch_id 0
		.amdhsa_user_sgpr_private_segment_size 0
		.amdhsa_wavefront_size32 1
		.amdhsa_uses_dynamic_stack 0
		.amdhsa_enable_private_segment 0
		.amdhsa_system_sgpr_workgroup_id_x 1
		.amdhsa_system_sgpr_workgroup_id_y 0
		.amdhsa_system_sgpr_workgroup_id_z 0
		.amdhsa_system_sgpr_workgroup_info 0
		.amdhsa_system_vgpr_workitem_id 0
		.amdhsa_next_free_vgpr 1
		.amdhsa_next_free_sgpr 1
		.amdhsa_reserve_vcc 0
		.amdhsa_float_round_mode_32 0
		.amdhsa_float_round_mode_16_64 0
		.amdhsa_float_denorm_mode_32 3
		.amdhsa_float_denorm_mode_16_64 3
		.amdhsa_fp16_overflow 0
		.amdhsa_workgroup_processor_mode 1
		.amdhsa_memory_ordered 1
		.amdhsa_forward_progress 1
		.amdhsa_inst_pref_size 0
		.amdhsa_round_robin_scheduling 0
		.amdhsa_exception_fp_ieee_invalid_op 0
		.amdhsa_exception_fp_denorm_src 0
		.amdhsa_exception_fp_ieee_div_zero 0
		.amdhsa_exception_fp_ieee_overflow 0
		.amdhsa_exception_fp_ieee_underflow 0
		.amdhsa_exception_fp_ieee_inexact 0
		.amdhsa_exception_int_div_zero 0
	.end_amdhsa_kernel
	.section	.text._ZN7rocprim17ROCPRIM_400000_NS6detail17trampoline_kernelINS0_13select_configILj256ELj13ELNS0_17block_load_methodE3ELS4_3ELS4_3ELNS0_20block_scan_algorithmE0ELj4294967295EEENS1_25partition_config_selectorILNS1_17partition_subalgoE4EjNS0_10empty_typeEbEEZZNS1_14partition_implILS8_4ELb0ES6_15HIP_vector_typeIjLj2EENS0_17counting_iteratorIjlEEPS9_SG_NS0_5tupleIJPjSI_NS0_16reverse_iteratorISI_EEEEENSH_IJSG_SG_SG_EEES9_SI_JZNS1_25segmented_radix_sort_implINS0_14default_configELb1EPKdPdPKlPlN2at6native12_GLOBAL__N_18offset_tEEE10hipError_tPvRmT1_PNSt15iterator_traitsIS12_E10value_typeET2_T3_PNS13_IS18_E10value_typeET4_jRbjT5_S1E_jjP12ihipStream_tbEUljE_ZNSN_ISO_Lb1ESQ_SR_ST_SU_SY_EESZ_S10_S11_S12_S16_S17_S18_S1B_S1C_jS1D_jS1E_S1E_jjS1G_bEUljE0_EEESZ_S10_S11_S18_S1C_S1E_T6_T7_T9_mT8_S1G_bDpT10_ENKUlT_T0_E_clISt17integral_constantIbLb0EES1T_IbLb1EEEEDaS1P_S1Q_EUlS1P_E_NS1_11comp_targetILNS1_3genE4ELNS1_11target_archE910ELNS1_3gpuE8ELNS1_3repE0EEENS1_30default_config_static_selectorELNS0_4arch9wavefront6targetE0EEEvS12_,"axG",@progbits,_ZN7rocprim17ROCPRIM_400000_NS6detail17trampoline_kernelINS0_13select_configILj256ELj13ELNS0_17block_load_methodE3ELS4_3ELS4_3ELNS0_20block_scan_algorithmE0ELj4294967295EEENS1_25partition_config_selectorILNS1_17partition_subalgoE4EjNS0_10empty_typeEbEEZZNS1_14partition_implILS8_4ELb0ES6_15HIP_vector_typeIjLj2EENS0_17counting_iteratorIjlEEPS9_SG_NS0_5tupleIJPjSI_NS0_16reverse_iteratorISI_EEEEENSH_IJSG_SG_SG_EEES9_SI_JZNS1_25segmented_radix_sort_implINS0_14default_configELb1EPKdPdPKlPlN2at6native12_GLOBAL__N_18offset_tEEE10hipError_tPvRmT1_PNSt15iterator_traitsIS12_E10value_typeET2_T3_PNS13_IS18_E10value_typeET4_jRbjT5_S1E_jjP12ihipStream_tbEUljE_ZNSN_ISO_Lb1ESQ_SR_ST_SU_SY_EESZ_S10_S11_S12_S16_S17_S18_S1B_S1C_jS1D_jS1E_S1E_jjS1G_bEUljE0_EEESZ_S10_S11_S18_S1C_S1E_T6_T7_T9_mT8_S1G_bDpT10_ENKUlT_T0_E_clISt17integral_constantIbLb0EES1T_IbLb1EEEEDaS1P_S1Q_EUlS1P_E_NS1_11comp_targetILNS1_3genE4ELNS1_11target_archE910ELNS1_3gpuE8ELNS1_3repE0EEENS1_30default_config_static_selectorELNS0_4arch9wavefront6targetE0EEEvS12_,comdat
.Lfunc_end1080:
	.size	_ZN7rocprim17ROCPRIM_400000_NS6detail17trampoline_kernelINS0_13select_configILj256ELj13ELNS0_17block_load_methodE3ELS4_3ELS4_3ELNS0_20block_scan_algorithmE0ELj4294967295EEENS1_25partition_config_selectorILNS1_17partition_subalgoE4EjNS0_10empty_typeEbEEZZNS1_14partition_implILS8_4ELb0ES6_15HIP_vector_typeIjLj2EENS0_17counting_iteratorIjlEEPS9_SG_NS0_5tupleIJPjSI_NS0_16reverse_iteratorISI_EEEEENSH_IJSG_SG_SG_EEES9_SI_JZNS1_25segmented_radix_sort_implINS0_14default_configELb1EPKdPdPKlPlN2at6native12_GLOBAL__N_18offset_tEEE10hipError_tPvRmT1_PNSt15iterator_traitsIS12_E10value_typeET2_T3_PNS13_IS18_E10value_typeET4_jRbjT5_S1E_jjP12ihipStream_tbEUljE_ZNSN_ISO_Lb1ESQ_SR_ST_SU_SY_EESZ_S10_S11_S12_S16_S17_S18_S1B_S1C_jS1D_jS1E_S1E_jjS1G_bEUljE0_EEESZ_S10_S11_S18_S1C_S1E_T6_T7_T9_mT8_S1G_bDpT10_ENKUlT_T0_E_clISt17integral_constantIbLb0EES1T_IbLb1EEEEDaS1P_S1Q_EUlS1P_E_NS1_11comp_targetILNS1_3genE4ELNS1_11target_archE910ELNS1_3gpuE8ELNS1_3repE0EEENS1_30default_config_static_selectorELNS0_4arch9wavefront6targetE0EEEvS12_, .Lfunc_end1080-_ZN7rocprim17ROCPRIM_400000_NS6detail17trampoline_kernelINS0_13select_configILj256ELj13ELNS0_17block_load_methodE3ELS4_3ELS4_3ELNS0_20block_scan_algorithmE0ELj4294967295EEENS1_25partition_config_selectorILNS1_17partition_subalgoE4EjNS0_10empty_typeEbEEZZNS1_14partition_implILS8_4ELb0ES6_15HIP_vector_typeIjLj2EENS0_17counting_iteratorIjlEEPS9_SG_NS0_5tupleIJPjSI_NS0_16reverse_iteratorISI_EEEEENSH_IJSG_SG_SG_EEES9_SI_JZNS1_25segmented_radix_sort_implINS0_14default_configELb1EPKdPdPKlPlN2at6native12_GLOBAL__N_18offset_tEEE10hipError_tPvRmT1_PNSt15iterator_traitsIS12_E10value_typeET2_T3_PNS13_IS18_E10value_typeET4_jRbjT5_S1E_jjP12ihipStream_tbEUljE_ZNSN_ISO_Lb1ESQ_SR_ST_SU_SY_EESZ_S10_S11_S12_S16_S17_S18_S1B_S1C_jS1D_jS1E_S1E_jjS1G_bEUljE0_EEESZ_S10_S11_S18_S1C_S1E_T6_T7_T9_mT8_S1G_bDpT10_ENKUlT_T0_E_clISt17integral_constantIbLb0EES1T_IbLb1EEEEDaS1P_S1Q_EUlS1P_E_NS1_11comp_targetILNS1_3genE4ELNS1_11target_archE910ELNS1_3gpuE8ELNS1_3repE0EEENS1_30default_config_static_selectorELNS0_4arch9wavefront6targetE0EEEvS12_
                                        ; -- End function
	.set _ZN7rocprim17ROCPRIM_400000_NS6detail17trampoline_kernelINS0_13select_configILj256ELj13ELNS0_17block_load_methodE3ELS4_3ELS4_3ELNS0_20block_scan_algorithmE0ELj4294967295EEENS1_25partition_config_selectorILNS1_17partition_subalgoE4EjNS0_10empty_typeEbEEZZNS1_14partition_implILS8_4ELb0ES6_15HIP_vector_typeIjLj2EENS0_17counting_iteratorIjlEEPS9_SG_NS0_5tupleIJPjSI_NS0_16reverse_iteratorISI_EEEEENSH_IJSG_SG_SG_EEES9_SI_JZNS1_25segmented_radix_sort_implINS0_14default_configELb1EPKdPdPKlPlN2at6native12_GLOBAL__N_18offset_tEEE10hipError_tPvRmT1_PNSt15iterator_traitsIS12_E10value_typeET2_T3_PNS13_IS18_E10value_typeET4_jRbjT5_S1E_jjP12ihipStream_tbEUljE_ZNSN_ISO_Lb1ESQ_SR_ST_SU_SY_EESZ_S10_S11_S12_S16_S17_S18_S1B_S1C_jS1D_jS1E_S1E_jjS1G_bEUljE0_EEESZ_S10_S11_S18_S1C_S1E_T6_T7_T9_mT8_S1G_bDpT10_ENKUlT_T0_E_clISt17integral_constantIbLb0EES1T_IbLb1EEEEDaS1P_S1Q_EUlS1P_E_NS1_11comp_targetILNS1_3genE4ELNS1_11target_archE910ELNS1_3gpuE8ELNS1_3repE0EEENS1_30default_config_static_selectorELNS0_4arch9wavefront6targetE0EEEvS12_.num_vgpr, 0
	.set _ZN7rocprim17ROCPRIM_400000_NS6detail17trampoline_kernelINS0_13select_configILj256ELj13ELNS0_17block_load_methodE3ELS4_3ELS4_3ELNS0_20block_scan_algorithmE0ELj4294967295EEENS1_25partition_config_selectorILNS1_17partition_subalgoE4EjNS0_10empty_typeEbEEZZNS1_14partition_implILS8_4ELb0ES6_15HIP_vector_typeIjLj2EENS0_17counting_iteratorIjlEEPS9_SG_NS0_5tupleIJPjSI_NS0_16reverse_iteratorISI_EEEEENSH_IJSG_SG_SG_EEES9_SI_JZNS1_25segmented_radix_sort_implINS0_14default_configELb1EPKdPdPKlPlN2at6native12_GLOBAL__N_18offset_tEEE10hipError_tPvRmT1_PNSt15iterator_traitsIS12_E10value_typeET2_T3_PNS13_IS18_E10value_typeET4_jRbjT5_S1E_jjP12ihipStream_tbEUljE_ZNSN_ISO_Lb1ESQ_SR_ST_SU_SY_EESZ_S10_S11_S12_S16_S17_S18_S1B_S1C_jS1D_jS1E_S1E_jjS1G_bEUljE0_EEESZ_S10_S11_S18_S1C_S1E_T6_T7_T9_mT8_S1G_bDpT10_ENKUlT_T0_E_clISt17integral_constantIbLb0EES1T_IbLb1EEEEDaS1P_S1Q_EUlS1P_E_NS1_11comp_targetILNS1_3genE4ELNS1_11target_archE910ELNS1_3gpuE8ELNS1_3repE0EEENS1_30default_config_static_selectorELNS0_4arch9wavefront6targetE0EEEvS12_.num_agpr, 0
	.set _ZN7rocprim17ROCPRIM_400000_NS6detail17trampoline_kernelINS0_13select_configILj256ELj13ELNS0_17block_load_methodE3ELS4_3ELS4_3ELNS0_20block_scan_algorithmE0ELj4294967295EEENS1_25partition_config_selectorILNS1_17partition_subalgoE4EjNS0_10empty_typeEbEEZZNS1_14partition_implILS8_4ELb0ES6_15HIP_vector_typeIjLj2EENS0_17counting_iteratorIjlEEPS9_SG_NS0_5tupleIJPjSI_NS0_16reverse_iteratorISI_EEEEENSH_IJSG_SG_SG_EEES9_SI_JZNS1_25segmented_radix_sort_implINS0_14default_configELb1EPKdPdPKlPlN2at6native12_GLOBAL__N_18offset_tEEE10hipError_tPvRmT1_PNSt15iterator_traitsIS12_E10value_typeET2_T3_PNS13_IS18_E10value_typeET4_jRbjT5_S1E_jjP12ihipStream_tbEUljE_ZNSN_ISO_Lb1ESQ_SR_ST_SU_SY_EESZ_S10_S11_S12_S16_S17_S18_S1B_S1C_jS1D_jS1E_S1E_jjS1G_bEUljE0_EEESZ_S10_S11_S18_S1C_S1E_T6_T7_T9_mT8_S1G_bDpT10_ENKUlT_T0_E_clISt17integral_constantIbLb0EES1T_IbLb1EEEEDaS1P_S1Q_EUlS1P_E_NS1_11comp_targetILNS1_3genE4ELNS1_11target_archE910ELNS1_3gpuE8ELNS1_3repE0EEENS1_30default_config_static_selectorELNS0_4arch9wavefront6targetE0EEEvS12_.numbered_sgpr, 0
	.set _ZN7rocprim17ROCPRIM_400000_NS6detail17trampoline_kernelINS0_13select_configILj256ELj13ELNS0_17block_load_methodE3ELS4_3ELS4_3ELNS0_20block_scan_algorithmE0ELj4294967295EEENS1_25partition_config_selectorILNS1_17partition_subalgoE4EjNS0_10empty_typeEbEEZZNS1_14partition_implILS8_4ELb0ES6_15HIP_vector_typeIjLj2EENS0_17counting_iteratorIjlEEPS9_SG_NS0_5tupleIJPjSI_NS0_16reverse_iteratorISI_EEEEENSH_IJSG_SG_SG_EEES9_SI_JZNS1_25segmented_radix_sort_implINS0_14default_configELb1EPKdPdPKlPlN2at6native12_GLOBAL__N_18offset_tEEE10hipError_tPvRmT1_PNSt15iterator_traitsIS12_E10value_typeET2_T3_PNS13_IS18_E10value_typeET4_jRbjT5_S1E_jjP12ihipStream_tbEUljE_ZNSN_ISO_Lb1ESQ_SR_ST_SU_SY_EESZ_S10_S11_S12_S16_S17_S18_S1B_S1C_jS1D_jS1E_S1E_jjS1G_bEUljE0_EEESZ_S10_S11_S18_S1C_S1E_T6_T7_T9_mT8_S1G_bDpT10_ENKUlT_T0_E_clISt17integral_constantIbLb0EES1T_IbLb1EEEEDaS1P_S1Q_EUlS1P_E_NS1_11comp_targetILNS1_3genE4ELNS1_11target_archE910ELNS1_3gpuE8ELNS1_3repE0EEENS1_30default_config_static_selectorELNS0_4arch9wavefront6targetE0EEEvS12_.num_named_barrier, 0
	.set _ZN7rocprim17ROCPRIM_400000_NS6detail17trampoline_kernelINS0_13select_configILj256ELj13ELNS0_17block_load_methodE3ELS4_3ELS4_3ELNS0_20block_scan_algorithmE0ELj4294967295EEENS1_25partition_config_selectorILNS1_17partition_subalgoE4EjNS0_10empty_typeEbEEZZNS1_14partition_implILS8_4ELb0ES6_15HIP_vector_typeIjLj2EENS0_17counting_iteratorIjlEEPS9_SG_NS0_5tupleIJPjSI_NS0_16reverse_iteratorISI_EEEEENSH_IJSG_SG_SG_EEES9_SI_JZNS1_25segmented_radix_sort_implINS0_14default_configELb1EPKdPdPKlPlN2at6native12_GLOBAL__N_18offset_tEEE10hipError_tPvRmT1_PNSt15iterator_traitsIS12_E10value_typeET2_T3_PNS13_IS18_E10value_typeET4_jRbjT5_S1E_jjP12ihipStream_tbEUljE_ZNSN_ISO_Lb1ESQ_SR_ST_SU_SY_EESZ_S10_S11_S12_S16_S17_S18_S1B_S1C_jS1D_jS1E_S1E_jjS1G_bEUljE0_EEESZ_S10_S11_S18_S1C_S1E_T6_T7_T9_mT8_S1G_bDpT10_ENKUlT_T0_E_clISt17integral_constantIbLb0EES1T_IbLb1EEEEDaS1P_S1Q_EUlS1P_E_NS1_11comp_targetILNS1_3genE4ELNS1_11target_archE910ELNS1_3gpuE8ELNS1_3repE0EEENS1_30default_config_static_selectorELNS0_4arch9wavefront6targetE0EEEvS12_.private_seg_size, 0
	.set _ZN7rocprim17ROCPRIM_400000_NS6detail17trampoline_kernelINS0_13select_configILj256ELj13ELNS0_17block_load_methodE3ELS4_3ELS4_3ELNS0_20block_scan_algorithmE0ELj4294967295EEENS1_25partition_config_selectorILNS1_17partition_subalgoE4EjNS0_10empty_typeEbEEZZNS1_14partition_implILS8_4ELb0ES6_15HIP_vector_typeIjLj2EENS0_17counting_iteratorIjlEEPS9_SG_NS0_5tupleIJPjSI_NS0_16reverse_iteratorISI_EEEEENSH_IJSG_SG_SG_EEES9_SI_JZNS1_25segmented_radix_sort_implINS0_14default_configELb1EPKdPdPKlPlN2at6native12_GLOBAL__N_18offset_tEEE10hipError_tPvRmT1_PNSt15iterator_traitsIS12_E10value_typeET2_T3_PNS13_IS18_E10value_typeET4_jRbjT5_S1E_jjP12ihipStream_tbEUljE_ZNSN_ISO_Lb1ESQ_SR_ST_SU_SY_EESZ_S10_S11_S12_S16_S17_S18_S1B_S1C_jS1D_jS1E_S1E_jjS1G_bEUljE0_EEESZ_S10_S11_S18_S1C_S1E_T6_T7_T9_mT8_S1G_bDpT10_ENKUlT_T0_E_clISt17integral_constantIbLb0EES1T_IbLb1EEEEDaS1P_S1Q_EUlS1P_E_NS1_11comp_targetILNS1_3genE4ELNS1_11target_archE910ELNS1_3gpuE8ELNS1_3repE0EEENS1_30default_config_static_selectorELNS0_4arch9wavefront6targetE0EEEvS12_.uses_vcc, 0
	.set _ZN7rocprim17ROCPRIM_400000_NS6detail17trampoline_kernelINS0_13select_configILj256ELj13ELNS0_17block_load_methodE3ELS4_3ELS4_3ELNS0_20block_scan_algorithmE0ELj4294967295EEENS1_25partition_config_selectorILNS1_17partition_subalgoE4EjNS0_10empty_typeEbEEZZNS1_14partition_implILS8_4ELb0ES6_15HIP_vector_typeIjLj2EENS0_17counting_iteratorIjlEEPS9_SG_NS0_5tupleIJPjSI_NS0_16reverse_iteratorISI_EEEEENSH_IJSG_SG_SG_EEES9_SI_JZNS1_25segmented_radix_sort_implINS0_14default_configELb1EPKdPdPKlPlN2at6native12_GLOBAL__N_18offset_tEEE10hipError_tPvRmT1_PNSt15iterator_traitsIS12_E10value_typeET2_T3_PNS13_IS18_E10value_typeET4_jRbjT5_S1E_jjP12ihipStream_tbEUljE_ZNSN_ISO_Lb1ESQ_SR_ST_SU_SY_EESZ_S10_S11_S12_S16_S17_S18_S1B_S1C_jS1D_jS1E_S1E_jjS1G_bEUljE0_EEESZ_S10_S11_S18_S1C_S1E_T6_T7_T9_mT8_S1G_bDpT10_ENKUlT_T0_E_clISt17integral_constantIbLb0EES1T_IbLb1EEEEDaS1P_S1Q_EUlS1P_E_NS1_11comp_targetILNS1_3genE4ELNS1_11target_archE910ELNS1_3gpuE8ELNS1_3repE0EEENS1_30default_config_static_selectorELNS0_4arch9wavefront6targetE0EEEvS12_.uses_flat_scratch, 0
	.set _ZN7rocprim17ROCPRIM_400000_NS6detail17trampoline_kernelINS0_13select_configILj256ELj13ELNS0_17block_load_methodE3ELS4_3ELS4_3ELNS0_20block_scan_algorithmE0ELj4294967295EEENS1_25partition_config_selectorILNS1_17partition_subalgoE4EjNS0_10empty_typeEbEEZZNS1_14partition_implILS8_4ELb0ES6_15HIP_vector_typeIjLj2EENS0_17counting_iteratorIjlEEPS9_SG_NS0_5tupleIJPjSI_NS0_16reverse_iteratorISI_EEEEENSH_IJSG_SG_SG_EEES9_SI_JZNS1_25segmented_radix_sort_implINS0_14default_configELb1EPKdPdPKlPlN2at6native12_GLOBAL__N_18offset_tEEE10hipError_tPvRmT1_PNSt15iterator_traitsIS12_E10value_typeET2_T3_PNS13_IS18_E10value_typeET4_jRbjT5_S1E_jjP12ihipStream_tbEUljE_ZNSN_ISO_Lb1ESQ_SR_ST_SU_SY_EESZ_S10_S11_S12_S16_S17_S18_S1B_S1C_jS1D_jS1E_S1E_jjS1G_bEUljE0_EEESZ_S10_S11_S18_S1C_S1E_T6_T7_T9_mT8_S1G_bDpT10_ENKUlT_T0_E_clISt17integral_constantIbLb0EES1T_IbLb1EEEEDaS1P_S1Q_EUlS1P_E_NS1_11comp_targetILNS1_3genE4ELNS1_11target_archE910ELNS1_3gpuE8ELNS1_3repE0EEENS1_30default_config_static_selectorELNS0_4arch9wavefront6targetE0EEEvS12_.has_dyn_sized_stack, 0
	.set _ZN7rocprim17ROCPRIM_400000_NS6detail17trampoline_kernelINS0_13select_configILj256ELj13ELNS0_17block_load_methodE3ELS4_3ELS4_3ELNS0_20block_scan_algorithmE0ELj4294967295EEENS1_25partition_config_selectorILNS1_17partition_subalgoE4EjNS0_10empty_typeEbEEZZNS1_14partition_implILS8_4ELb0ES6_15HIP_vector_typeIjLj2EENS0_17counting_iteratorIjlEEPS9_SG_NS0_5tupleIJPjSI_NS0_16reverse_iteratorISI_EEEEENSH_IJSG_SG_SG_EEES9_SI_JZNS1_25segmented_radix_sort_implINS0_14default_configELb1EPKdPdPKlPlN2at6native12_GLOBAL__N_18offset_tEEE10hipError_tPvRmT1_PNSt15iterator_traitsIS12_E10value_typeET2_T3_PNS13_IS18_E10value_typeET4_jRbjT5_S1E_jjP12ihipStream_tbEUljE_ZNSN_ISO_Lb1ESQ_SR_ST_SU_SY_EESZ_S10_S11_S12_S16_S17_S18_S1B_S1C_jS1D_jS1E_S1E_jjS1G_bEUljE0_EEESZ_S10_S11_S18_S1C_S1E_T6_T7_T9_mT8_S1G_bDpT10_ENKUlT_T0_E_clISt17integral_constantIbLb0EES1T_IbLb1EEEEDaS1P_S1Q_EUlS1P_E_NS1_11comp_targetILNS1_3genE4ELNS1_11target_archE910ELNS1_3gpuE8ELNS1_3repE0EEENS1_30default_config_static_selectorELNS0_4arch9wavefront6targetE0EEEvS12_.has_recursion, 0
	.set _ZN7rocprim17ROCPRIM_400000_NS6detail17trampoline_kernelINS0_13select_configILj256ELj13ELNS0_17block_load_methodE3ELS4_3ELS4_3ELNS0_20block_scan_algorithmE0ELj4294967295EEENS1_25partition_config_selectorILNS1_17partition_subalgoE4EjNS0_10empty_typeEbEEZZNS1_14partition_implILS8_4ELb0ES6_15HIP_vector_typeIjLj2EENS0_17counting_iteratorIjlEEPS9_SG_NS0_5tupleIJPjSI_NS0_16reverse_iteratorISI_EEEEENSH_IJSG_SG_SG_EEES9_SI_JZNS1_25segmented_radix_sort_implINS0_14default_configELb1EPKdPdPKlPlN2at6native12_GLOBAL__N_18offset_tEEE10hipError_tPvRmT1_PNSt15iterator_traitsIS12_E10value_typeET2_T3_PNS13_IS18_E10value_typeET4_jRbjT5_S1E_jjP12ihipStream_tbEUljE_ZNSN_ISO_Lb1ESQ_SR_ST_SU_SY_EESZ_S10_S11_S12_S16_S17_S18_S1B_S1C_jS1D_jS1E_S1E_jjS1G_bEUljE0_EEESZ_S10_S11_S18_S1C_S1E_T6_T7_T9_mT8_S1G_bDpT10_ENKUlT_T0_E_clISt17integral_constantIbLb0EES1T_IbLb1EEEEDaS1P_S1Q_EUlS1P_E_NS1_11comp_targetILNS1_3genE4ELNS1_11target_archE910ELNS1_3gpuE8ELNS1_3repE0EEENS1_30default_config_static_selectorELNS0_4arch9wavefront6targetE0EEEvS12_.has_indirect_call, 0
	.section	.AMDGPU.csdata,"",@progbits
; Kernel info:
; codeLenInByte = 0
; TotalNumSgprs: 0
; NumVgprs: 0
; ScratchSize: 0
; MemoryBound: 0
; FloatMode: 240
; IeeeMode: 1
; LDSByteSize: 0 bytes/workgroup (compile time only)
; SGPRBlocks: 0
; VGPRBlocks: 0
; NumSGPRsForWavesPerEU: 1
; NumVGPRsForWavesPerEU: 1
; Occupancy: 16
; WaveLimiterHint : 0
; COMPUTE_PGM_RSRC2:SCRATCH_EN: 0
; COMPUTE_PGM_RSRC2:USER_SGPR: 2
; COMPUTE_PGM_RSRC2:TRAP_HANDLER: 0
; COMPUTE_PGM_RSRC2:TGID_X_EN: 1
; COMPUTE_PGM_RSRC2:TGID_Y_EN: 0
; COMPUTE_PGM_RSRC2:TGID_Z_EN: 0
; COMPUTE_PGM_RSRC2:TIDIG_COMP_CNT: 0
	.section	.text._ZN7rocprim17ROCPRIM_400000_NS6detail17trampoline_kernelINS0_13select_configILj256ELj13ELNS0_17block_load_methodE3ELS4_3ELS4_3ELNS0_20block_scan_algorithmE0ELj4294967295EEENS1_25partition_config_selectorILNS1_17partition_subalgoE4EjNS0_10empty_typeEbEEZZNS1_14partition_implILS8_4ELb0ES6_15HIP_vector_typeIjLj2EENS0_17counting_iteratorIjlEEPS9_SG_NS0_5tupleIJPjSI_NS0_16reverse_iteratorISI_EEEEENSH_IJSG_SG_SG_EEES9_SI_JZNS1_25segmented_radix_sort_implINS0_14default_configELb1EPKdPdPKlPlN2at6native12_GLOBAL__N_18offset_tEEE10hipError_tPvRmT1_PNSt15iterator_traitsIS12_E10value_typeET2_T3_PNS13_IS18_E10value_typeET4_jRbjT5_S1E_jjP12ihipStream_tbEUljE_ZNSN_ISO_Lb1ESQ_SR_ST_SU_SY_EESZ_S10_S11_S12_S16_S17_S18_S1B_S1C_jS1D_jS1E_S1E_jjS1G_bEUljE0_EEESZ_S10_S11_S18_S1C_S1E_T6_T7_T9_mT8_S1G_bDpT10_ENKUlT_T0_E_clISt17integral_constantIbLb0EES1T_IbLb1EEEEDaS1P_S1Q_EUlS1P_E_NS1_11comp_targetILNS1_3genE3ELNS1_11target_archE908ELNS1_3gpuE7ELNS1_3repE0EEENS1_30default_config_static_selectorELNS0_4arch9wavefront6targetE0EEEvS12_,"axG",@progbits,_ZN7rocprim17ROCPRIM_400000_NS6detail17trampoline_kernelINS0_13select_configILj256ELj13ELNS0_17block_load_methodE3ELS4_3ELS4_3ELNS0_20block_scan_algorithmE0ELj4294967295EEENS1_25partition_config_selectorILNS1_17partition_subalgoE4EjNS0_10empty_typeEbEEZZNS1_14partition_implILS8_4ELb0ES6_15HIP_vector_typeIjLj2EENS0_17counting_iteratorIjlEEPS9_SG_NS0_5tupleIJPjSI_NS0_16reverse_iteratorISI_EEEEENSH_IJSG_SG_SG_EEES9_SI_JZNS1_25segmented_radix_sort_implINS0_14default_configELb1EPKdPdPKlPlN2at6native12_GLOBAL__N_18offset_tEEE10hipError_tPvRmT1_PNSt15iterator_traitsIS12_E10value_typeET2_T3_PNS13_IS18_E10value_typeET4_jRbjT5_S1E_jjP12ihipStream_tbEUljE_ZNSN_ISO_Lb1ESQ_SR_ST_SU_SY_EESZ_S10_S11_S12_S16_S17_S18_S1B_S1C_jS1D_jS1E_S1E_jjS1G_bEUljE0_EEESZ_S10_S11_S18_S1C_S1E_T6_T7_T9_mT8_S1G_bDpT10_ENKUlT_T0_E_clISt17integral_constantIbLb0EES1T_IbLb1EEEEDaS1P_S1Q_EUlS1P_E_NS1_11comp_targetILNS1_3genE3ELNS1_11target_archE908ELNS1_3gpuE7ELNS1_3repE0EEENS1_30default_config_static_selectorELNS0_4arch9wavefront6targetE0EEEvS12_,comdat
	.globl	_ZN7rocprim17ROCPRIM_400000_NS6detail17trampoline_kernelINS0_13select_configILj256ELj13ELNS0_17block_load_methodE3ELS4_3ELS4_3ELNS0_20block_scan_algorithmE0ELj4294967295EEENS1_25partition_config_selectorILNS1_17partition_subalgoE4EjNS0_10empty_typeEbEEZZNS1_14partition_implILS8_4ELb0ES6_15HIP_vector_typeIjLj2EENS0_17counting_iteratorIjlEEPS9_SG_NS0_5tupleIJPjSI_NS0_16reverse_iteratorISI_EEEEENSH_IJSG_SG_SG_EEES9_SI_JZNS1_25segmented_radix_sort_implINS0_14default_configELb1EPKdPdPKlPlN2at6native12_GLOBAL__N_18offset_tEEE10hipError_tPvRmT1_PNSt15iterator_traitsIS12_E10value_typeET2_T3_PNS13_IS18_E10value_typeET4_jRbjT5_S1E_jjP12ihipStream_tbEUljE_ZNSN_ISO_Lb1ESQ_SR_ST_SU_SY_EESZ_S10_S11_S12_S16_S17_S18_S1B_S1C_jS1D_jS1E_S1E_jjS1G_bEUljE0_EEESZ_S10_S11_S18_S1C_S1E_T6_T7_T9_mT8_S1G_bDpT10_ENKUlT_T0_E_clISt17integral_constantIbLb0EES1T_IbLb1EEEEDaS1P_S1Q_EUlS1P_E_NS1_11comp_targetILNS1_3genE3ELNS1_11target_archE908ELNS1_3gpuE7ELNS1_3repE0EEENS1_30default_config_static_selectorELNS0_4arch9wavefront6targetE0EEEvS12_ ; -- Begin function _ZN7rocprim17ROCPRIM_400000_NS6detail17trampoline_kernelINS0_13select_configILj256ELj13ELNS0_17block_load_methodE3ELS4_3ELS4_3ELNS0_20block_scan_algorithmE0ELj4294967295EEENS1_25partition_config_selectorILNS1_17partition_subalgoE4EjNS0_10empty_typeEbEEZZNS1_14partition_implILS8_4ELb0ES6_15HIP_vector_typeIjLj2EENS0_17counting_iteratorIjlEEPS9_SG_NS0_5tupleIJPjSI_NS0_16reverse_iteratorISI_EEEEENSH_IJSG_SG_SG_EEES9_SI_JZNS1_25segmented_radix_sort_implINS0_14default_configELb1EPKdPdPKlPlN2at6native12_GLOBAL__N_18offset_tEEE10hipError_tPvRmT1_PNSt15iterator_traitsIS12_E10value_typeET2_T3_PNS13_IS18_E10value_typeET4_jRbjT5_S1E_jjP12ihipStream_tbEUljE_ZNSN_ISO_Lb1ESQ_SR_ST_SU_SY_EESZ_S10_S11_S12_S16_S17_S18_S1B_S1C_jS1D_jS1E_S1E_jjS1G_bEUljE0_EEESZ_S10_S11_S18_S1C_S1E_T6_T7_T9_mT8_S1G_bDpT10_ENKUlT_T0_E_clISt17integral_constantIbLb0EES1T_IbLb1EEEEDaS1P_S1Q_EUlS1P_E_NS1_11comp_targetILNS1_3genE3ELNS1_11target_archE908ELNS1_3gpuE7ELNS1_3repE0EEENS1_30default_config_static_selectorELNS0_4arch9wavefront6targetE0EEEvS12_
	.p2align	8
	.type	_ZN7rocprim17ROCPRIM_400000_NS6detail17trampoline_kernelINS0_13select_configILj256ELj13ELNS0_17block_load_methodE3ELS4_3ELS4_3ELNS0_20block_scan_algorithmE0ELj4294967295EEENS1_25partition_config_selectorILNS1_17partition_subalgoE4EjNS0_10empty_typeEbEEZZNS1_14partition_implILS8_4ELb0ES6_15HIP_vector_typeIjLj2EENS0_17counting_iteratorIjlEEPS9_SG_NS0_5tupleIJPjSI_NS0_16reverse_iteratorISI_EEEEENSH_IJSG_SG_SG_EEES9_SI_JZNS1_25segmented_radix_sort_implINS0_14default_configELb1EPKdPdPKlPlN2at6native12_GLOBAL__N_18offset_tEEE10hipError_tPvRmT1_PNSt15iterator_traitsIS12_E10value_typeET2_T3_PNS13_IS18_E10value_typeET4_jRbjT5_S1E_jjP12ihipStream_tbEUljE_ZNSN_ISO_Lb1ESQ_SR_ST_SU_SY_EESZ_S10_S11_S12_S16_S17_S18_S1B_S1C_jS1D_jS1E_S1E_jjS1G_bEUljE0_EEESZ_S10_S11_S18_S1C_S1E_T6_T7_T9_mT8_S1G_bDpT10_ENKUlT_T0_E_clISt17integral_constantIbLb0EES1T_IbLb1EEEEDaS1P_S1Q_EUlS1P_E_NS1_11comp_targetILNS1_3genE3ELNS1_11target_archE908ELNS1_3gpuE7ELNS1_3repE0EEENS1_30default_config_static_selectorELNS0_4arch9wavefront6targetE0EEEvS12_,@function
_ZN7rocprim17ROCPRIM_400000_NS6detail17trampoline_kernelINS0_13select_configILj256ELj13ELNS0_17block_load_methodE3ELS4_3ELS4_3ELNS0_20block_scan_algorithmE0ELj4294967295EEENS1_25partition_config_selectorILNS1_17partition_subalgoE4EjNS0_10empty_typeEbEEZZNS1_14partition_implILS8_4ELb0ES6_15HIP_vector_typeIjLj2EENS0_17counting_iteratorIjlEEPS9_SG_NS0_5tupleIJPjSI_NS0_16reverse_iteratorISI_EEEEENSH_IJSG_SG_SG_EEES9_SI_JZNS1_25segmented_radix_sort_implINS0_14default_configELb1EPKdPdPKlPlN2at6native12_GLOBAL__N_18offset_tEEE10hipError_tPvRmT1_PNSt15iterator_traitsIS12_E10value_typeET2_T3_PNS13_IS18_E10value_typeET4_jRbjT5_S1E_jjP12ihipStream_tbEUljE_ZNSN_ISO_Lb1ESQ_SR_ST_SU_SY_EESZ_S10_S11_S12_S16_S17_S18_S1B_S1C_jS1D_jS1E_S1E_jjS1G_bEUljE0_EEESZ_S10_S11_S18_S1C_S1E_T6_T7_T9_mT8_S1G_bDpT10_ENKUlT_T0_E_clISt17integral_constantIbLb0EES1T_IbLb1EEEEDaS1P_S1Q_EUlS1P_E_NS1_11comp_targetILNS1_3genE3ELNS1_11target_archE908ELNS1_3gpuE7ELNS1_3repE0EEENS1_30default_config_static_selectorELNS0_4arch9wavefront6targetE0EEEvS12_: ; @_ZN7rocprim17ROCPRIM_400000_NS6detail17trampoline_kernelINS0_13select_configILj256ELj13ELNS0_17block_load_methodE3ELS4_3ELS4_3ELNS0_20block_scan_algorithmE0ELj4294967295EEENS1_25partition_config_selectorILNS1_17partition_subalgoE4EjNS0_10empty_typeEbEEZZNS1_14partition_implILS8_4ELb0ES6_15HIP_vector_typeIjLj2EENS0_17counting_iteratorIjlEEPS9_SG_NS0_5tupleIJPjSI_NS0_16reverse_iteratorISI_EEEEENSH_IJSG_SG_SG_EEES9_SI_JZNS1_25segmented_radix_sort_implINS0_14default_configELb1EPKdPdPKlPlN2at6native12_GLOBAL__N_18offset_tEEE10hipError_tPvRmT1_PNSt15iterator_traitsIS12_E10value_typeET2_T3_PNS13_IS18_E10value_typeET4_jRbjT5_S1E_jjP12ihipStream_tbEUljE_ZNSN_ISO_Lb1ESQ_SR_ST_SU_SY_EESZ_S10_S11_S12_S16_S17_S18_S1B_S1C_jS1D_jS1E_S1E_jjS1G_bEUljE0_EEESZ_S10_S11_S18_S1C_S1E_T6_T7_T9_mT8_S1G_bDpT10_ENKUlT_T0_E_clISt17integral_constantIbLb0EES1T_IbLb1EEEEDaS1P_S1Q_EUlS1P_E_NS1_11comp_targetILNS1_3genE3ELNS1_11target_archE908ELNS1_3gpuE7ELNS1_3repE0EEENS1_30default_config_static_selectorELNS0_4arch9wavefront6targetE0EEEvS12_
; %bb.0:
	.section	.rodata,"a",@progbits
	.p2align	6, 0x0
	.amdhsa_kernel _ZN7rocprim17ROCPRIM_400000_NS6detail17trampoline_kernelINS0_13select_configILj256ELj13ELNS0_17block_load_methodE3ELS4_3ELS4_3ELNS0_20block_scan_algorithmE0ELj4294967295EEENS1_25partition_config_selectorILNS1_17partition_subalgoE4EjNS0_10empty_typeEbEEZZNS1_14partition_implILS8_4ELb0ES6_15HIP_vector_typeIjLj2EENS0_17counting_iteratorIjlEEPS9_SG_NS0_5tupleIJPjSI_NS0_16reverse_iteratorISI_EEEEENSH_IJSG_SG_SG_EEES9_SI_JZNS1_25segmented_radix_sort_implINS0_14default_configELb1EPKdPdPKlPlN2at6native12_GLOBAL__N_18offset_tEEE10hipError_tPvRmT1_PNSt15iterator_traitsIS12_E10value_typeET2_T3_PNS13_IS18_E10value_typeET4_jRbjT5_S1E_jjP12ihipStream_tbEUljE_ZNSN_ISO_Lb1ESQ_SR_ST_SU_SY_EESZ_S10_S11_S12_S16_S17_S18_S1B_S1C_jS1D_jS1E_S1E_jjS1G_bEUljE0_EEESZ_S10_S11_S18_S1C_S1E_T6_T7_T9_mT8_S1G_bDpT10_ENKUlT_T0_E_clISt17integral_constantIbLb0EES1T_IbLb1EEEEDaS1P_S1Q_EUlS1P_E_NS1_11comp_targetILNS1_3genE3ELNS1_11target_archE908ELNS1_3gpuE7ELNS1_3repE0EEENS1_30default_config_static_selectorELNS0_4arch9wavefront6targetE0EEEvS12_
		.amdhsa_group_segment_fixed_size 0
		.amdhsa_private_segment_fixed_size 0
		.amdhsa_kernarg_size 184
		.amdhsa_user_sgpr_count 2
		.amdhsa_user_sgpr_dispatch_ptr 0
		.amdhsa_user_sgpr_queue_ptr 0
		.amdhsa_user_sgpr_kernarg_segment_ptr 1
		.amdhsa_user_sgpr_dispatch_id 0
		.amdhsa_user_sgpr_private_segment_size 0
		.amdhsa_wavefront_size32 1
		.amdhsa_uses_dynamic_stack 0
		.amdhsa_enable_private_segment 0
		.amdhsa_system_sgpr_workgroup_id_x 1
		.amdhsa_system_sgpr_workgroup_id_y 0
		.amdhsa_system_sgpr_workgroup_id_z 0
		.amdhsa_system_sgpr_workgroup_info 0
		.amdhsa_system_vgpr_workitem_id 0
		.amdhsa_next_free_vgpr 1
		.amdhsa_next_free_sgpr 1
		.amdhsa_reserve_vcc 0
		.amdhsa_float_round_mode_32 0
		.amdhsa_float_round_mode_16_64 0
		.amdhsa_float_denorm_mode_32 3
		.amdhsa_float_denorm_mode_16_64 3
		.amdhsa_fp16_overflow 0
		.amdhsa_workgroup_processor_mode 1
		.amdhsa_memory_ordered 1
		.amdhsa_forward_progress 1
		.amdhsa_inst_pref_size 0
		.amdhsa_round_robin_scheduling 0
		.amdhsa_exception_fp_ieee_invalid_op 0
		.amdhsa_exception_fp_denorm_src 0
		.amdhsa_exception_fp_ieee_div_zero 0
		.amdhsa_exception_fp_ieee_overflow 0
		.amdhsa_exception_fp_ieee_underflow 0
		.amdhsa_exception_fp_ieee_inexact 0
		.amdhsa_exception_int_div_zero 0
	.end_amdhsa_kernel
	.section	.text._ZN7rocprim17ROCPRIM_400000_NS6detail17trampoline_kernelINS0_13select_configILj256ELj13ELNS0_17block_load_methodE3ELS4_3ELS4_3ELNS0_20block_scan_algorithmE0ELj4294967295EEENS1_25partition_config_selectorILNS1_17partition_subalgoE4EjNS0_10empty_typeEbEEZZNS1_14partition_implILS8_4ELb0ES6_15HIP_vector_typeIjLj2EENS0_17counting_iteratorIjlEEPS9_SG_NS0_5tupleIJPjSI_NS0_16reverse_iteratorISI_EEEEENSH_IJSG_SG_SG_EEES9_SI_JZNS1_25segmented_radix_sort_implINS0_14default_configELb1EPKdPdPKlPlN2at6native12_GLOBAL__N_18offset_tEEE10hipError_tPvRmT1_PNSt15iterator_traitsIS12_E10value_typeET2_T3_PNS13_IS18_E10value_typeET4_jRbjT5_S1E_jjP12ihipStream_tbEUljE_ZNSN_ISO_Lb1ESQ_SR_ST_SU_SY_EESZ_S10_S11_S12_S16_S17_S18_S1B_S1C_jS1D_jS1E_S1E_jjS1G_bEUljE0_EEESZ_S10_S11_S18_S1C_S1E_T6_T7_T9_mT8_S1G_bDpT10_ENKUlT_T0_E_clISt17integral_constantIbLb0EES1T_IbLb1EEEEDaS1P_S1Q_EUlS1P_E_NS1_11comp_targetILNS1_3genE3ELNS1_11target_archE908ELNS1_3gpuE7ELNS1_3repE0EEENS1_30default_config_static_selectorELNS0_4arch9wavefront6targetE0EEEvS12_,"axG",@progbits,_ZN7rocprim17ROCPRIM_400000_NS6detail17trampoline_kernelINS0_13select_configILj256ELj13ELNS0_17block_load_methodE3ELS4_3ELS4_3ELNS0_20block_scan_algorithmE0ELj4294967295EEENS1_25partition_config_selectorILNS1_17partition_subalgoE4EjNS0_10empty_typeEbEEZZNS1_14partition_implILS8_4ELb0ES6_15HIP_vector_typeIjLj2EENS0_17counting_iteratorIjlEEPS9_SG_NS0_5tupleIJPjSI_NS0_16reverse_iteratorISI_EEEEENSH_IJSG_SG_SG_EEES9_SI_JZNS1_25segmented_radix_sort_implINS0_14default_configELb1EPKdPdPKlPlN2at6native12_GLOBAL__N_18offset_tEEE10hipError_tPvRmT1_PNSt15iterator_traitsIS12_E10value_typeET2_T3_PNS13_IS18_E10value_typeET4_jRbjT5_S1E_jjP12ihipStream_tbEUljE_ZNSN_ISO_Lb1ESQ_SR_ST_SU_SY_EESZ_S10_S11_S12_S16_S17_S18_S1B_S1C_jS1D_jS1E_S1E_jjS1G_bEUljE0_EEESZ_S10_S11_S18_S1C_S1E_T6_T7_T9_mT8_S1G_bDpT10_ENKUlT_T0_E_clISt17integral_constantIbLb0EES1T_IbLb1EEEEDaS1P_S1Q_EUlS1P_E_NS1_11comp_targetILNS1_3genE3ELNS1_11target_archE908ELNS1_3gpuE7ELNS1_3repE0EEENS1_30default_config_static_selectorELNS0_4arch9wavefront6targetE0EEEvS12_,comdat
.Lfunc_end1081:
	.size	_ZN7rocprim17ROCPRIM_400000_NS6detail17trampoline_kernelINS0_13select_configILj256ELj13ELNS0_17block_load_methodE3ELS4_3ELS4_3ELNS0_20block_scan_algorithmE0ELj4294967295EEENS1_25partition_config_selectorILNS1_17partition_subalgoE4EjNS0_10empty_typeEbEEZZNS1_14partition_implILS8_4ELb0ES6_15HIP_vector_typeIjLj2EENS0_17counting_iteratorIjlEEPS9_SG_NS0_5tupleIJPjSI_NS0_16reverse_iteratorISI_EEEEENSH_IJSG_SG_SG_EEES9_SI_JZNS1_25segmented_radix_sort_implINS0_14default_configELb1EPKdPdPKlPlN2at6native12_GLOBAL__N_18offset_tEEE10hipError_tPvRmT1_PNSt15iterator_traitsIS12_E10value_typeET2_T3_PNS13_IS18_E10value_typeET4_jRbjT5_S1E_jjP12ihipStream_tbEUljE_ZNSN_ISO_Lb1ESQ_SR_ST_SU_SY_EESZ_S10_S11_S12_S16_S17_S18_S1B_S1C_jS1D_jS1E_S1E_jjS1G_bEUljE0_EEESZ_S10_S11_S18_S1C_S1E_T6_T7_T9_mT8_S1G_bDpT10_ENKUlT_T0_E_clISt17integral_constantIbLb0EES1T_IbLb1EEEEDaS1P_S1Q_EUlS1P_E_NS1_11comp_targetILNS1_3genE3ELNS1_11target_archE908ELNS1_3gpuE7ELNS1_3repE0EEENS1_30default_config_static_selectorELNS0_4arch9wavefront6targetE0EEEvS12_, .Lfunc_end1081-_ZN7rocprim17ROCPRIM_400000_NS6detail17trampoline_kernelINS0_13select_configILj256ELj13ELNS0_17block_load_methodE3ELS4_3ELS4_3ELNS0_20block_scan_algorithmE0ELj4294967295EEENS1_25partition_config_selectorILNS1_17partition_subalgoE4EjNS0_10empty_typeEbEEZZNS1_14partition_implILS8_4ELb0ES6_15HIP_vector_typeIjLj2EENS0_17counting_iteratorIjlEEPS9_SG_NS0_5tupleIJPjSI_NS0_16reverse_iteratorISI_EEEEENSH_IJSG_SG_SG_EEES9_SI_JZNS1_25segmented_radix_sort_implINS0_14default_configELb1EPKdPdPKlPlN2at6native12_GLOBAL__N_18offset_tEEE10hipError_tPvRmT1_PNSt15iterator_traitsIS12_E10value_typeET2_T3_PNS13_IS18_E10value_typeET4_jRbjT5_S1E_jjP12ihipStream_tbEUljE_ZNSN_ISO_Lb1ESQ_SR_ST_SU_SY_EESZ_S10_S11_S12_S16_S17_S18_S1B_S1C_jS1D_jS1E_S1E_jjS1G_bEUljE0_EEESZ_S10_S11_S18_S1C_S1E_T6_T7_T9_mT8_S1G_bDpT10_ENKUlT_T0_E_clISt17integral_constantIbLb0EES1T_IbLb1EEEEDaS1P_S1Q_EUlS1P_E_NS1_11comp_targetILNS1_3genE3ELNS1_11target_archE908ELNS1_3gpuE7ELNS1_3repE0EEENS1_30default_config_static_selectorELNS0_4arch9wavefront6targetE0EEEvS12_
                                        ; -- End function
	.set _ZN7rocprim17ROCPRIM_400000_NS6detail17trampoline_kernelINS0_13select_configILj256ELj13ELNS0_17block_load_methodE3ELS4_3ELS4_3ELNS0_20block_scan_algorithmE0ELj4294967295EEENS1_25partition_config_selectorILNS1_17partition_subalgoE4EjNS0_10empty_typeEbEEZZNS1_14partition_implILS8_4ELb0ES6_15HIP_vector_typeIjLj2EENS0_17counting_iteratorIjlEEPS9_SG_NS0_5tupleIJPjSI_NS0_16reverse_iteratorISI_EEEEENSH_IJSG_SG_SG_EEES9_SI_JZNS1_25segmented_radix_sort_implINS0_14default_configELb1EPKdPdPKlPlN2at6native12_GLOBAL__N_18offset_tEEE10hipError_tPvRmT1_PNSt15iterator_traitsIS12_E10value_typeET2_T3_PNS13_IS18_E10value_typeET4_jRbjT5_S1E_jjP12ihipStream_tbEUljE_ZNSN_ISO_Lb1ESQ_SR_ST_SU_SY_EESZ_S10_S11_S12_S16_S17_S18_S1B_S1C_jS1D_jS1E_S1E_jjS1G_bEUljE0_EEESZ_S10_S11_S18_S1C_S1E_T6_T7_T9_mT8_S1G_bDpT10_ENKUlT_T0_E_clISt17integral_constantIbLb0EES1T_IbLb1EEEEDaS1P_S1Q_EUlS1P_E_NS1_11comp_targetILNS1_3genE3ELNS1_11target_archE908ELNS1_3gpuE7ELNS1_3repE0EEENS1_30default_config_static_selectorELNS0_4arch9wavefront6targetE0EEEvS12_.num_vgpr, 0
	.set _ZN7rocprim17ROCPRIM_400000_NS6detail17trampoline_kernelINS0_13select_configILj256ELj13ELNS0_17block_load_methodE3ELS4_3ELS4_3ELNS0_20block_scan_algorithmE0ELj4294967295EEENS1_25partition_config_selectorILNS1_17partition_subalgoE4EjNS0_10empty_typeEbEEZZNS1_14partition_implILS8_4ELb0ES6_15HIP_vector_typeIjLj2EENS0_17counting_iteratorIjlEEPS9_SG_NS0_5tupleIJPjSI_NS0_16reverse_iteratorISI_EEEEENSH_IJSG_SG_SG_EEES9_SI_JZNS1_25segmented_radix_sort_implINS0_14default_configELb1EPKdPdPKlPlN2at6native12_GLOBAL__N_18offset_tEEE10hipError_tPvRmT1_PNSt15iterator_traitsIS12_E10value_typeET2_T3_PNS13_IS18_E10value_typeET4_jRbjT5_S1E_jjP12ihipStream_tbEUljE_ZNSN_ISO_Lb1ESQ_SR_ST_SU_SY_EESZ_S10_S11_S12_S16_S17_S18_S1B_S1C_jS1D_jS1E_S1E_jjS1G_bEUljE0_EEESZ_S10_S11_S18_S1C_S1E_T6_T7_T9_mT8_S1G_bDpT10_ENKUlT_T0_E_clISt17integral_constantIbLb0EES1T_IbLb1EEEEDaS1P_S1Q_EUlS1P_E_NS1_11comp_targetILNS1_3genE3ELNS1_11target_archE908ELNS1_3gpuE7ELNS1_3repE0EEENS1_30default_config_static_selectorELNS0_4arch9wavefront6targetE0EEEvS12_.num_agpr, 0
	.set _ZN7rocprim17ROCPRIM_400000_NS6detail17trampoline_kernelINS0_13select_configILj256ELj13ELNS0_17block_load_methodE3ELS4_3ELS4_3ELNS0_20block_scan_algorithmE0ELj4294967295EEENS1_25partition_config_selectorILNS1_17partition_subalgoE4EjNS0_10empty_typeEbEEZZNS1_14partition_implILS8_4ELb0ES6_15HIP_vector_typeIjLj2EENS0_17counting_iteratorIjlEEPS9_SG_NS0_5tupleIJPjSI_NS0_16reverse_iteratorISI_EEEEENSH_IJSG_SG_SG_EEES9_SI_JZNS1_25segmented_radix_sort_implINS0_14default_configELb1EPKdPdPKlPlN2at6native12_GLOBAL__N_18offset_tEEE10hipError_tPvRmT1_PNSt15iterator_traitsIS12_E10value_typeET2_T3_PNS13_IS18_E10value_typeET4_jRbjT5_S1E_jjP12ihipStream_tbEUljE_ZNSN_ISO_Lb1ESQ_SR_ST_SU_SY_EESZ_S10_S11_S12_S16_S17_S18_S1B_S1C_jS1D_jS1E_S1E_jjS1G_bEUljE0_EEESZ_S10_S11_S18_S1C_S1E_T6_T7_T9_mT8_S1G_bDpT10_ENKUlT_T0_E_clISt17integral_constantIbLb0EES1T_IbLb1EEEEDaS1P_S1Q_EUlS1P_E_NS1_11comp_targetILNS1_3genE3ELNS1_11target_archE908ELNS1_3gpuE7ELNS1_3repE0EEENS1_30default_config_static_selectorELNS0_4arch9wavefront6targetE0EEEvS12_.numbered_sgpr, 0
	.set _ZN7rocprim17ROCPRIM_400000_NS6detail17trampoline_kernelINS0_13select_configILj256ELj13ELNS0_17block_load_methodE3ELS4_3ELS4_3ELNS0_20block_scan_algorithmE0ELj4294967295EEENS1_25partition_config_selectorILNS1_17partition_subalgoE4EjNS0_10empty_typeEbEEZZNS1_14partition_implILS8_4ELb0ES6_15HIP_vector_typeIjLj2EENS0_17counting_iteratorIjlEEPS9_SG_NS0_5tupleIJPjSI_NS0_16reverse_iteratorISI_EEEEENSH_IJSG_SG_SG_EEES9_SI_JZNS1_25segmented_radix_sort_implINS0_14default_configELb1EPKdPdPKlPlN2at6native12_GLOBAL__N_18offset_tEEE10hipError_tPvRmT1_PNSt15iterator_traitsIS12_E10value_typeET2_T3_PNS13_IS18_E10value_typeET4_jRbjT5_S1E_jjP12ihipStream_tbEUljE_ZNSN_ISO_Lb1ESQ_SR_ST_SU_SY_EESZ_S10_S11_S12_S16_S17_S18_S1B_S1C_jS1D_jS1E_S1E_jjS1G_bEUljE0_EEESZ_S10_S11_S18_S1C_S1E_T6_T7_T9_mT8_S1G_bDpT10_ENKUlT_T0_E_clISt17integral_constantIbLb0EES1T_IbLb1EEEEDaS1P_S1Q_EUlS1P_E_NS1_11comp_targetILNS1_3genE3ELNS1_11target_archE908ELNS1_3gpuE7ELNS1_3repE0EEENS1_30default_config_static_selectorELNS0_4arch9wavefront6targetE0EEEvS12_.num_named_barrier, 0
	.set _ZN7rocprim17ROCPRIM_400000_NS6detail17trampoline_kernelINS0_13select_configILj256ELj13ELNS0_17block_load_methodE3ELS4_3ELS4_3ELNS0_20block_scan_algorithmE0ELj4294967295EEENS1_25partition_config_selectorILNS1_17partition_subalgoE4EjNS0_10empty_typeEbEEZZNS1_14partition_implILS8_4ELb0ES6_15HIP_vector_typeIjLj2EENS0_17counting_iteratorIjlEEPS9_SG_NS0_5tupleIJPjSI_NS0_16reverse_iteratorISI_EEEEENSH_IJSG_SG_SG_EEES9_SI_JZNS1_25segmented_radix_sort_implINS0_14default_configELb1EPKdPdPKlPlN2at6native12_GLOBAL__N_18offset_tEEE10hipError_tPvRmT1_PNSt15iterator_traitsIS12_E10value_typeET2_T3_PNS13_IS18_E10value_typeET4_jRbjT5_S1E_jjP12ihipStream_tbEUljE_ZNSN_ISO_Lb1ESQ_SR_ST_SU_SY_EESZ_S10_S11_S12_S16_S17_S18_S1B_S1C_jS1D_jS1E_S1E_jjS1G_bEUljE0_EEESZ_S10_S11_S18_S1C_S1E_T6_T7_T9_mT8_S1G_bDpT10_ENKUlT_T0_E_clISt17integral_constantIbLb0EES1T_IbLb1EEEEDaS1P_S1Q_EUlS1P_E_NS1_11comp_targetILNS1_3genE3ELNS1_11target_archE908ELNS1_3gpuE7ELNS1_3repE0EEENS1_30default_config_static_selectorELNS0_4arch9wavefront6targetE0EEEvS12_.private_seg_size, 0
	.set _ZN7rocprim17ROCPRIM_400000_NS6detail17trampoline_kernelINS0_13select_configILj256ELj13ELNS0_17block_load_methodE3ELS4_3ELS4_3ELNS0_20block_scan_algorithmE0ELj4294967295EEENS1_25partition_config_selectorILNS1_17partition_subalgoE4EjNS0_10empty_typeEbEEZZNS1_14partition_implILS8_4ELb0ES6_15HIP_vector_typeIjLj2EENS0_17counting_iteratorIjlEEPS9_SG_NS0_5tupleIJPjSI_NS0_16reverse_iteratorISI_EEEEENSH_IJSG_SG_SG_EEES9_SI_JZNS1_25segmented_radix_sort_implINS0_14default_configELb1EPKdPdPKlPlN2at6native12_GLOBAL__N_18offset_tEEE10hipError_tPvRmT1_PNSt15iterator_traitsIS12_E10value_typeET2_T3_PNS13_IS18_E10value_typeET4_jRbjT5_S1E_jjP12ihipStream_tbEUljE_ZNSN_ISO_Lb1ESQ_SR_ST_SU_SY_EESZ_S10_S11_S12_S16_S17_S18_S1B_S1C_jS1D_jS1E_S1E_jjS1G_bEUljE0_EEESZ_S10_S11_S18_S1C_S1E_T6_T7_T9_mT8_S1G_bDpT10_ENKUlT_T0_E_clISt17integral_constantIbLb0EES1T_IbLb1EEEEDaS1P_S1Q_EUlS1P_E_NS1_11comp_targetILNS1_3genE3ELNS1_11target_archE908ELNS1_3gpuE7ELNS1_3repE0EEENS1_30default_config_static_selectorELNS0_4arch9wavefront6targetE0EEEvS12_.uses_vcc, 0
	.set _ZN7rocprim17ROCPRIM_400000_NS6detail17trampoline_kernelINS0_13select_configILj256ELj13ELNS0_17block_load_methodE3ELS4_3ELS4_3ELNS0_20block_scan_algorithmE0ELj4294967295EEENS1_25partition_config_selectorILNS1_17partition_subalgoE4EjNS0_10empty_typeEbEEZZNS1_14partition_implILS8_4ELb0ES6_15HIP_vector_typeIjLj2EENS0_17counting_iteratorIjlEEPS9_SG_NS0_5tupleIJPjSI_NS0_16reverse_iteratorISI_EEEEENSH_IJSG_SG_SG_EEES9_SI_JZNS1_25segmented_radix_sort_implINS0_14default_configELb1EPKdPdPKlPlN2at6native12_GLOBAL__N_18offset_tEEE10hipError_tPvRmT1_PNSt15iterator_traitsIS12_E10value_typeET2_T3_PNS13_IS18_E10value_typeET4_jRbjT5_S1E_jjP12ihipStream_tbEUljE_ZNSN_ISO_Lb1ESQ_SR_ST_SU_SY_EESZ_S10_S11_S12_S16_S17_S18_S1B_S1C_jS1D_jS1E_S1E_jjS1G_bEUljE0_EEESZ_S10_S11_S18_S1C_S1E_T6_T7_T9_mT8_S1G_bDpT10_ENKUlT_T0_E_clISt17integral_constantIbLb0EES1T_IbLb1EEEEDaS1P_S1Q_EUlS1P_E_NS1_11comp_targetILNS1_3genE3ELNS1_11target_archE908ELNS1_3gpuE7ELNS1_3repE0EEENS1_30default_config_static_selectorELNS0_4arch9wavefront6targetE0EEEvS12_.uses_flat_scratch, 0
	.set _ZN7rocprim17ROCPRIM_400000_NS6detail17trampoline_kernelINS0_13select_configILj256ELj13ELNS0_17block_load_methodE3ELS4_3ELS4_3ELNS0_20block_scan_algorithmE0ELj4294967295EEENS1_25partition_config_selectorILNS1_17partition_subalgoE4EjNS0_10empty_typeEbEEZZNS1_14partition_implILS8_4ELb0ES6_15HIP_vector_typeIjLj2EENS0_17counting_iteratorIjlEEPS9_SG_NS0_5tupleIJPjSI_NS0_16reverse_iteratorISI_EEEEENSH_IJSG_SG_SG_EEES9_SI_JZNS1_25segmented_radix_sort_implINS0_14default_configELb1EPKdPdPKlPlN2at6native12_GLOBAL__N_18offset_tEEE10hipError_tPvRmT1_PNSt15iterator_traitsIS12_E10value_typeET2_T3_PNS13_IS18_E10value_typeET4_jRbjT5_S1E_jjP12ihipStream_tbEUljE_ZNSN_ISO_Lb1ESQ_SR_ST_SU_SY_EESZ_S10_S11_S12_S16_S17_S18_S1B_S1C_jS1D_jS1E_S1E_jjS1G_bEUljE0_EEESZ_S10_S11_S18_S1C_S1E_T6_T7_T9_mT8_S1G_bDpT10_ENKUlT_T0_E_clISt17integral_constantIbLb0EES1T_IbLb1EEEEDaS1P_S1Q_EUlS1P_E_NS1_11comp_targetILNS1_3genE3ELNS1_11target_archE908ELNS1_3gpuE7ELNS1_3repE0EEENS1_30default_config_static_selectorELNS0_4arch9wavefront6targetE0EEEvS12_.has_dyn_sized_stack, 0
	.set _ZN7rocprim17ROCPRIM_400000_NS6detail17trampoline_kernelINS0_13select_configILj256ELj13ELNS0_17block_load_methodE3ELS4_3ELS4_3ELNS0_20block_scan_algorithmE0ELj4294967295EEENS1_25partition_config_selectorILNS1_17partition_subalgoE4EjNS0_10empty_typeEbEEZZNS1_14partition_implILS8_4ELb0ES6_15HIP_vector_typeIjLj2EENS0_17counting_iteratorIjlEEPS9_SG_NS0_5tupleIJPjSI_NS0_16reverse_iteratorISI_EEEEENSH_IJSG_SG_SG_EEES9_SI_JZNS1_25segmented_radix_sort_implINS0_14default_configELb1EPKdPdPKlPlN2at6native12_GLOBAL__N_18offset_tEEE10hipError_tPvRmT1_PNSt15iterator_traitsIS12_E10value_typeET2_T3_PNS13_IS18_E10value_typeET4_jRbjT5_S1E_jjP12ihipStream_tbEUljE_ZNSN_ISO_Lb1ESQ_SR_ST_SU_SY_EESZ_S10_S11_S12_S16_S17_S18_S1B_S1C_jS1D_jS1E_S1E_jjS1G_bEUljE0_EEESZ_S10_S11_S18_S1C_S1E_T6_T7_T9_mT8_S1G_bDpT10_ENKUlT_T0_E_clISt17integral_constantIbLb0EES1T_IbLb1EEEEDaS1P_S1Q_EUlS1P_E_NS1_11comp_targetILNS1_3genE3ELNS1_11target_archE908ELNS1_3gpuE7ELNS1_3repE0EEENS1_30default_config_static_selectorELNS0_4arch9wavefront6targetE0EEEvS12_.has_recursion, 0
	.set _ZN7rocprim17ROCPRIM_400000_NS6detail17trampoline_kernelINS0_13select_configILj256ELj13ELNS0_17block_load_methodE3ELS4_3ELS4_3ELNS0_20block_scan_algorithmE0ELj4294967295EEENS1_25partition_config_selectorILNS1_17partition_subalgoE4EjNS0_10empty_typeEbEEZZNS1_14partition_implILS8_4ELb0ES6_15HIP_vector_typeIjLj2EENS0_17counting_iteratorIjlEEPS9_SG_NS0_5tupleIJPjSI_NS0_16reverse_iteratorISI_EEEEENSH_IJSG_SG_SG_EEES9_SI_JZNS1_25segmented_radix_sort_implINS0_14default_configELb1EPKdPdPKlPlN2at6native12_GLOBAL__N_18offset_tEEE10hipError_tPvRmT1_PNSt15iterator_traitsIS12_E10value_typeET2_T3_PNS13_IS18_E10value_typeET4_jRbjT5_S1E_jjP12ihipStream_tbEUljE_ZNSN_ISO_Lb1ESQ_SR_ST_SU_SY_EESZ_S10_S11_S12_S16_S17_S18_S1B_S1C_jS1D_jS1E_S1E_jjS1G_bEUljE0_EEESZ_S10_S11_S18_S1C_S1E_T6_T7_T9_mT8_S1G_bDpT10_ENKUlT_T0_E_clISt17integral_constantIbLb0EES1T_IbLb1EEEEDaS1P_S1Q_EUlS1P_E_NS1_11comp_targetILNS1_3genE3ELNS1_11target_archE908ELNS1_3gpuE7ELNS1_3repE0EEENS1_30default_config_static_selectorELNS0_4arch9wavefront6targetE0EEEvS12_.has_indirect_call, 0
	.section	.AMDGPU.csdata,"",@progbits
; Kernel info:
; codeLenInByte = 0
; TotalNumSgprs: 0
; NumVgprs: 0
; ScratchSize: 0
; MemoryBound: 0
; FloatMode: 240
; IeeeMode: 1
; LDSByteSize: 0 bytes/workgroup (compile time only)
; SGPRBlocks: 0
; VGPRBlocks: 0
; NumSGPRsForWavesPerEU: 1
; NumVGPRsForWavesPerEU: 1
; Occupancy: 16
; WaveLimiterHint : 0
; COMPUTE_PGM_RSRC2:SCRATCH_EN: 0
; COMPUTE_PGM_RSRC2:USER_SGPR: 2
; COMPUTE_PGM_RSRC2:TRAP_HANDLER: 0
; COMPUTE_PGM_RSRC2:TGID_X_EN: 1
; COMPUTE_PGM_RSRC2:TGID_Y_EN: 0
; COMPUTE_PGM_RSRC2:TGID_Z_EN: 0
; COMPUTE_PGM_RSRC2:TIDIG_COMP_CNT: 0
	.section	.text._ZN7rocprim17ROCPRIM_400000_NS6detail17trampoline_kernelINS0_13select_configILj256ELj13ELNS0_17block_load_methodE3ELS4_3ELS4_3ELNS0_20block_scan_algorithmE0ELj4294967295EEENS1_25partition_config_selectorILNS1_17partition_subalgoE4EjNS0_10empty_typeEbEEZZNS1_14partition_implILS8_4ELb0ES6_15HIP_vector_typeIjLj2EENS0_17counting_iteratorIjlEEPS9_SG_NS0_5tupleIJPjSI_NS0_16reverse_iteratorISI_EEEEENSH_IJSG_SG_SG_EEES9_SI_JZNS1_25segmented_radix_sort_implINS0_14default_configELb1EPKdPdPKlPlN2at6native12_GLOBAL__N_18offset_tEEE10hipError_tPvRmT1_PNSt15iterator_traitsIS12_E10value_typeET2_T3_PNS13_IS18_E10value_typeET4_jRbjT5_S1E_jjP12ihipStream_tbEUljE_ZNSN_ISO_Lb1ESQ_SR_ST_SU_SY_EESZ_S10_S11_S12_S16_S17_S18_S1B_S1C_jS1D_jS1E_S1E_jjS1G_bEUljE0_EEESZ_S10_S11_S18_S1C_S1E_T6_T7_T9_mT8_S1G_bDpT10_ENKUlT_T0_E_clISt17integral_constantIbLb0EES1T_IbLb1EEEEDaS1P_S1Q_EUlS1P_E_NS1_11comp_targetILNS1_3genE2ELNS1_11target_archE906ELNS1_3gpuE6ELNS1_3repE0EEENS1_30default_config_static_selectorELNS0_4arch9wavefront6targetE0EEEvS12_,"axG",@progbits,_ZN7rocprim17ROCPRIM_400000_NS6detail17trampoline_kernelINS0_13select_configILj256ELj13ELNS0_17block_load_methodE3ELS4_3ELS4_3ELNS0_20block_scan_algorithmE0ELj4294967295EEENS1_25partition_config_selectorILNS1_17partition_subalgoE4EjNS0_10empty_typeEbEEZZNS1_14partition_implILS8_4ELb0ES6_15HIP_vector_typeIjLj2EENS0_17counting_iteratorIjlEEPS9_SG_NS0_5tupleIJPjSI_NS0_16reverse_iteratorISI_EEEEENSH_IJSG_SG_SG_EEES9_SI_JZNS1_25segmented_radix_sort_implINS0_14default_configELb1EPKdPdPKlPlN2at6native12_GLOBAL__N_18offset_tEEE10hipError_tPvRmT1_PNSt15iterator_traitsIS12_E10value_typeET2_T3_PNS13_IS18_E10value_typeET4_jRbjT5_S1E_jjP12ihipStream_tbEUljE_ZNSN_ISO_Lb1ESQ_SR_ST_SU_SY_EESZ_S10_S11_S12_S16_S17_S18_S1B_S1C_jS1D_jS1E_S1E_jjS1G_bEUljE0_EEESZ_S10_S11_S18_S1C_S1E_T6_T7_T9_mT8_S1G_bDpT10_ENKUlT_T0_E_clISt17integral_constantIbLb0EES1T_IbLb1EEEEDaS1P_S1Q_EUlS1P_E_NS1_11comp_targetILNS1_3genE2ELNS1_11target_archE906ELNS1_3gpuE6ELNS1_3repE0EEENS1_30default_config_static_selectorELNS0_4arch9wavefront6targetE0EEEvS12_,comdat
	.globl	_ZN7rocprim17ROCPRIM_400000_NS6detail17trampoline_kernelINS0_13select_configILj256ELj13ELNS0_17block_load_methodE3ELS4_3ELS4_3ELNS0_20block_scan_algorithmE0ELj4294967295EEENS1_25partition_config_selectorILNS1_17partition_subalgoE4EjNS0_10empty_typeEbEEZZNS1_14partition_implILS8_4ELb0ES6_15HIP_vector_typeIjLj2EENS0_17counting_iteratorIjlEEPS9_SG_NS0_5tupleIJPjSI_NS0_16reverse_iteratorISI_EEEEENSH_IJSG_SG_SG_EEES9_SI_JZNS1_25segmented_radix_sort_implINS0_14default_configELb1EPKdPdPKlPlN2at6native12_GLOBAL__N_18offset_tEEE10hipError_tPvRmT1_PNSt15iterator_traitsIS12_E10value_typeET2_T3_PNS13_IS18_E10value_typeET4_jRbjT5_S1E_jjP12ihipStream_tbEUljE_ZNSN_ISO_Lb1ESQ_SR_ST_SU_SY_EESZ_S10_S11_S12_S16_S17_S18_S1B_S1C_jS1D_jS1E_S1E_jjS1G_bEUljE0_EEESZ_S10_S11_S18_S1C_S1E_T6_T7_T9_mT8_S1G_bDpT10_ENKUlT_T0_E_clISt17integral_constantIbLb0EES1T_IbLb1EEEEDaS1P_S1Q_EUlS1P_E_NS1_11comp_targetILNS1_3genE2ELNS1_11target_archE906ELNS1_3gpuE6ELNS1_3repE0EEENS1_30default_config_static_selectorELNS0_4arch9wavefront6targetE0EEEvS12_ ; -- Begin function _ZN7rocprim17ROCPRIM_400000_NS6detail17trampoline_kernelINS0_13select_configILj256ELj13ELNS0_17block_load_methodE3ELS4_3ELS4_3ELNS0_20block_scan_algorithmE0ELj4294967295EEENS1_25partition_config_selectorILNS1_17partition_subalgoE4EjNS0_10empty_typeEbEEZZNS1_14partition_implILS8_4ELb0ES6_15HIP_vector_typeIjLj2EENS0_17counting_iteratorIjlEEPS9_SG_NS0_5tupleIJPjSI_NS0_16reverse_iteratorISI_EEEEENSH_IJSG_SG_SG_EEES9_SI_JZNS1_25segmented_radix_sort_implINS0_14default_configELb1EPKdPdPKlPlN2at6native12_GLOBAL__N_18offset_tEEE10hipError_tPvRmT1_PNSt15iterator_traitsIS12_E10value_typeET2_T3_PNS13_IS18_E10value_typeET4_jRbjT5_S1E_jjP12ihipStream_tbEUljE_ZNSN_ISO_Lb1ESQ_SR_ST_SU_SY_EESZ_S10_S11_S12_S16_S17_S18_S1B_S1C_jS1D_jS1E_S1E_jjS1G_bEUljE0_EEESZ_S10_S11_S18_S1C_S1E_T6_T7_T9_mT8_S1G_bDpT10_ENKUlT_T0_E_clISt17integral_constantIbLb0EES1T_IbLb1EEEEDaS1P_S1Q_EUlS1P_E_NS1_11comp_targetILNS1_3genE2ELNS1_11target_archE906ELNS1_3gpuE6ELNS1_3repE0EEENS1_30default_config_static_selectorELNS0_4arch9wavefront6targetE0EEEvS12_
	.p2align	8
	.type	_ZN7rocprim17ROCPRIM_400000_NS6detail17trampoline_kernelINS0_13select_configILj256ELj13ELNS0_17block_load_methodE3ELS4_3ELS4_3ELNS0_20block_scan_algorithmE0ELj4294967295EEENS1_25partition_config_selectorILNS1_17partition_subalgoE4EjNS0_10empty_typeEbEEZZNS1_14partition_implILS8_4ELb0ES6_15HIP_vector_typeIjLj2EENS0_17counting_iteratorIjlEEPS9_SG_NS0_5tupleIJPjSI_NS0_16reverse_iteratorISI_EEEEENSH_IJSG_SG_SG_EEES9_SI_JZNS1_25segmented_radix_sort_implINS0_14default_configELb1EPKdPdPKlPlN2at6native12_GLOBAL__N_18offset_tEEE10hipError_tPvRmT1_PNSt15iterator_traitsIS12_E10value_typeET2_T3_PNS13_IS18_E10value_typeET4_jRbjT5_S1E_jjP12ihipStream_tbEUljE_ZNSN_ISO_Lb1ESQ_SR_ST_SU_SY_EESZ_S10_S11_S12_S16_S17_S18_S1B_S1C_jS1D_jS1E_S1E_jjS1G_bEUljE0_EEESZ_S10_S11_S18_S1C_S1E_T6_T7_T9_mT8_S1G_bDpT10_ENKUlT_T0_E_clISt17integral_constantIbLb0EES1T_IbLb1EEEEDaS1P_S1Q_EUlS1P_E_NS1_11comp_targetILNS1_3genE2ELNS1_11target_archE906ELNS1_3gpuE6ELNS1_3repE0EEENS1_30default_config_static_selectorELNS0_4arch9wavefront6targetE0EEEvS12_,@function
_ZN7rocprim17ROCPRIM_400000_NS6detail17trampoline_kernelINS0_13select_configILj256ELj13ELNS0_17block_load_methodE3ELS4_3ELS4_3ELNS0_20block_scan_algorithmE0ELj4294967295EEENS1_25partition_config_selectorILNS1_17partition_subalgoE4EjNS0_10empty_typeEbEEZZNS1_14partition_implILS8_4ELb0ES6_15HIP_vector_typeIjLj2EENS0_17counting_iteratorIjlEEPS9_SG_NS0_5tupleIJPjSI_NS0_16reverse_iteratorISI_EEEEENSH_IJSG_SG_SG_EEES9_SI_JZNS1_25segmented_radix_sort_implINS0_14default_configELb1EPKdPdPKlPlN2at6native12_GLOBAL__N_18offset_tEEE10hipError_tPvRmT1_PNSt15iterator_traitsIS12_E10value_typeET2_T3_PNS13_IS18_E10value_typeET4_jRbjT5_S1E_jjP12ihipStream_tbEUljE_ZNSN_ISO_Lb1ESQ_SR_ST_SU_SY_EESZ_S10_S11_S12_S16_S17_S18_S1B_S1C_jS1D_jS1E_S1E_jjS1G_bEUljE0_EEESZ_S10_S11_S18_S1C_S1E_T6_T7_T9_mT8_S1G_bDpT10_ENKUlT_T0_E_clISt17integral_constantIbLb0EES1T_IbLb1EEEEDaS1P_S1Q_EUlS1P_E_NS1_11comp_targetILNS1_3genE2ELNS1_11target_archE906ELNS1_3gpuE6ELNS1_3repE0EEENS1_30default_config_static_selectorELNS0_4arch9wavefront6targetE0EEEvS12_: ; @_ZN7rocprim17ROCPRIM_400000_NS6detail17trampoline_kernelINS0_13select_configILj256ELj13ELNS0_17block_load_methodE3ELS4_3ELS4_3ELNS0_20block_scan_algorithmE0ELj4294967295EEENS1_25partition_config_selectorILNS1_17partition_subalgoE4EjNS0_10empty_typeEbEEZZNS1_14partition_implILS8_4ELb0ES6_15HIP_vector_typeIjLj2EENS0_17counting_iteratorIjlEEPS9_SG_NS0_5tupleIJPjSI_NS0_16reverse_iteratorISI_EEEEENSH_IJSG_SG_SG_EEES9_SI_JZNS1_25segmented_radix_sort_implINS0_14default_configELb1EPKdPdPKlPlN2at6native12_GLOBAL__N_18offset_tEEE10hipError_tPvRmT1_PNSt15iterator_traitsIS12_E10value_typeET2_T3_PNS13_IS18_E10value_typeET4_jRbjT5_S1E_jjP12ihipStream_tbEUljE_ZNSN_ISO_Lb1ESQ_SR_ST_SU_SY_EESZ_S10_S11_S12_S16_S17_S18_S1B_S1C_jS1D_jS1E_S1E_jjS1G_bEUljE0_EEESZ_S10_S11_S18_S1C_S1E_T6_T7_T9_mT8_S1G_bDpT10_ENKUlT_T0_E_clISt17integral_constantIbLb0EES1T_IbLb1EEEEDaS1P_S1Q_EUlS1P_E_NS1_11comp_targetILNS1_3genE2ELNS1_11target_archE906ELNS1_3gpuE6ELNS1_3repE0EEENS1_30default_config_static_selectorELNS0_4arch9wavefront6targetE0EEEvS12_
; %bb.0:
	.section	.rodata,"a",@progbits
	.p2align	6, 0x0
	.amdhsa_kernel _ZN7rocprim17ROCPRIM_400000_NS6detail17trampoline_kernelINS0_13select_configILj256ELj13ELNS0_17block_load_methodE3ELS4_3ELS4_3ELNS0_20block_scan_algorithmE0ELj4294967295EEENS1_25partition_config_selectorILNS1_17partition_subalgoE4EjNS0_10empty_typeEbEEZZNS1_14partition_implILS8_4ELb0ES6_15HIP_vector_typeIjLj2EENS0_17counting_iteratorIjlEEPS9_SG_NS0_5tupleIJPjSI_NS0_16reverse_iteratorISI_EEEEENSH_IJSG_SG_SG_EEES9_SI_JZNS1_25segmented_radix_sort_implINS0_14default_configELb1EPKdPdPKlPlN2at6native12_GLOBAL__N_18offset_tEEE10hipError_tPvRmT1_PNSt15iterator_traitsIS12_E10value_typeET2_T3_PNS13_IS18_E10value_typeET4_jRbjT5_S1E_jjP12ihipStream_tbEUljE_ZNSN_ISO_Lb1ESQ_SR_ST_SU_SY_EESZ_S10_S11_S12_S16_S17_S18_S1B_S1C_jS1D_jS1E_S1E_jjS1G_bEUljE0_EEESZ_S10_S11_S18_S1C_S1E_T6_T7_T9_mT8_S1G_bDpT10_ENKUlT_T0_E_clISt17integral_constantIbLb0EES1T_IbLb1EEEEDaS1P_S1Q_EUlS1P_E_NS1_11comp_targetILNS1_3genE2ELNS1_11target_archE906ELNS1_3gpuE6ELNS1_3repE0EEENS1_30default_config_static_selectorELNS0_4arch9wavefront6targetE0EEEvS12_
		.amdhsa_group_segment_fixed_size 0
		.amdhsa_private_segment_fixed_size 0
		.amdhsa_kernarg_size 184
		.amdhsa_user_sgpr_count 2
		.amdhsa_user_sgpr_dispatch_ptr 0
		.amdhsa_user_sgpr_queue_ptr 0
		.amdhsa_user_sgpr_kernarg_segment_ptr 1
		.amdhsa_user_sgpr_dispatch_id 0
		.amdhsa_user_sgpr_private_segment_size 0
		.amdhsa_wavefront_size32 1
		.amdhsa_uses_dynamic_stack 0
		.amdhsa_enable_private_segment 0
		.amdhsa_system_sgpr_workgroup_id_x 1
		.amdhsa_system_sgpr_workgroup_id_y 0
		.amdhsa_system_sgpr_workgroup_id_z 0
		.amdhsa_system_sgpr_workgroup_info 0
		.amdhsa_system_vgpr_workitem_id 0
		.amdhsa_next_free_vgpr 1
		.amdhsa_next_free_sgpr 1
		.amdhsa_reserve_vcc 0
		.amdhsa_float_round_mode_32 0
		.amdhsa_float_round_mode_16_64 0
		.amdhsa_float_denorm_mode_32 3
		.amdhsa_float_denorm_mode_16_64 3
		.amdhsa_fp16_overflow 0
		.amdhsa_workgroup_processor_mode 1
		.amdhsa_memory_ordered 1
		.amdhsa_forward_progress 1
		.amdhsa_inst_pref_size 0
		.amdhsa_round_robin_scheduling 0
		.amdhsa_exception_fp_ieee_invalid_op 0
		.amdhsa_exception_fp_denorm_src 0
		.amdhsa_exception_fp_ieee_div_zero 0
		.amdhsa_exception_fp_ieee_overflow 0
		.amdhsa_exception_fp_ieee_underflow 0
		.amdhsa_exception_fp_ieee_inexact 0
		.amdhsa_exception_int_div_zero 0
	.end_amdhsa_kernel
	.section	.text._ZN7rocprim17ROCPRIM_400000_NS6detail17trampoline_kernelINS0_13select_configILj256ELj13ELNS0_17block_load_methodE3ELS4_3ELS4_3ELNS0_20block_scan_algorithmE0ELj4294967295EEENS1_25partition_config_selectorILNS1_17partition_subalgoE4EjNS0_10empty_typeEbEEZZNS1_14partition_implILS8_4ELb0ES6_15HIP_vector_typeIjLj2EENS0_17counting_iteratorIjlEEPS9_SG_NS0_5tupleIJPjSI_NS0_16reverse_iteratorISI_EEEEENSH_IJSG_SG_SG_EEES9_SI_JZNS1_25segmented_radix_sort_implINS0_14default_configELb1EPKdPdPKlPlN2at6native12_GLOBAL__N_18offset_tEEE10hipError_tPvRmT1_PNSt15iterator_traitsIS12_E10value_typeET2_T3_PNS13_IS18_E10value_typeET4_jRbjT5_S1E_jjP12ihipStream_tbEUljE_ZNSN_ISO_Lb1ESQ_SR_ST_SU_SY_EESZ_S10_S11_S12_S16_S17_S18_S1B_S1C_jS1D_jS1E_S1E_jjS1G_bEUljE0_EEESZ_S10_S11_S18_S1C_S1E_T6_T7_T9_mT8_S1G_bDpT10_ENKUlT_T0_E_clISt17integral_constantIbLb0EES1T_IbLb1EEEEDaS1P_S1Q_EUlS1P_E_NS1_11comp_targetILNS1_3genE2ELNS1_11target_archE906ELNS1_3gpuE6ELNS1_3repE0EEENS1_30default_config_static_selectorELNS0_4arch9wavefront6targetE0EEEvS12_,"axG",@progbits,_ZN7rocprim17ROCPRIM_400000_NS6detail17trampoline_kernelINS0_13select_configILj256ELj13ELNS0_17block_load_methodE3ELS4_3ELS4_3ELNS0_20block_scan_algorithmE0ELj4294967295EEENS1_25partition_config_selectorILNS1_17partition_subalgoE4EjNS0_10empty_typeEbEEZZNS1_14partition_implILS8_4ELb0ES6_15HIP_vector_typeIjLj2EENS0_17counting_iteratorIjlEEPS9_SG_NS0_5tupleIJPjSI_NS0_16reverse_iteratorISI_EEEEENSH_IJSG_SG_SG_EEES9_SI_JZNS1_25segmented_radix_sort_implINS0_14default_configELb1EPKdPdPKlPlN2at6native12_GLOBAL__N_18offset_tEEE10hipError_tPvRmT1_PNSt15iterator_traitsIS12_E10value_typeET2_T3_PNS13_IS18_E10value_typeET4_jRbjT5_S1E_jjP12ihipStream_tbEUljE_ZNSN_ISO_Lb1ESQ_SR_ST_SU_SY_EESZ_S10_S11_S12_S16_S17_S18_S1B_S1C_jS1D_jS1E_S1E_jjS1G_bEUljE0_EEESZ_S10_S11_S18_S1C_S1E_T6_T7_T9_mT8_S1G_bDpT10_ENKUlT_T0_E_clISt17integral_constantIbLb0EES1T_IbLb1EEEEDaS1P_S1Q_EUlS1P_E_NS1_11comp_targetILNS1_3genE2ELNS1_11target_archE906ELNS1_3gpuE6ELNS1_3repE0EEENS1_30default_config_static_selectorELNS0_4arch9wavefront6targetE0EEEvS12_,comdat
.Lfunc_end1082:
	.size	_ZN7rocprim17ROCPRIM_400000_NS6detail17trampoline_kernelINS0_13select_configILj256ELj13ELNS0_17block_load_methodE3ELS4_3ELS4_3ELNS0_20block_scan_algorithmE0ELj4294967295EEENS1_25partition_config_selectorILNS1_17partition_subalgoE4EjNS0_10empty_typeEbEEZZNS1_14partition_implILS8_4ELb0ES6_15HIP_vector_typeIjLj2EENS0_17counting_iteratorIjlEEPS9_SG_NS0_5tupleIJPjSI_NS0_16reverse_iteratorISI_EEEEENSH_IJSG_SG_SG_EEES9_SI_JZNS1_25segmented_radix_sort_implINS0_14default_configELb1EPKdPdPKlPlN2at6native12_GLOBAL__N_18offset_tEEE10hipError_tPvRmT1_PNSt15iterator_traitsIS12_E10value_typeET2_T3_PNS13_IS18_E10value_typeET4_jRbjT5_S1E_jjP12ihipStream_tbEUljE_ZNSN_ISO_Lb1ESQ_SR_ST_SU_SY_EESZ_S10_S11_S12_S16_S17_S18_S1B_S1C_jS1D_jS1E_S1E_jjS1G_bEUljE0_EEESZ_S10_S11_S18_S1C_S1E_T6_T7_T9_mT8_S1G_bDpT10_ENKUlT_T0_E_clISt17integral_constantIbLb0EES1T_IbLb1EEEEDaS1P_S1Q_EUlS1P_E_NS1_11comp_targetILNS1_3genE2ELNS1_11target_archE906ELNS1_3gpuE6ELNS1_3repE0EEENS1_30default_config_static_selectorELNS0_4arch9wavefront6targetE0EEEvS12_, .Lfunc_end1082-_ZN7rocprim17ROCPRIM_400000_NS6detail17trampoline_kernelINS0_13select_configILj256ELj13ELNS0_17block_load_methodE3ELS4_3ELS4_3ELNS0_20block_scan_algorithmE0ELj4294967295EEENS1_25partition_config_selectorILNS1_17partition_subalgoE4EjNS0_10empty_typeEbEEZZNS1_14partition_implILS8_4ELb0ES6_15HIP_vector_typeIjLj2EENS0_17counting_iteratorIjlEEPS9_SG_NS0_5tupleIJPjSI_NS0_16reverse_iteratorISI_EEEEENSH_IJSG_SG_SG_EEES9_SI_JZNS1_25segmented_radix_sort_implINS0_14default_configELb1EPKdPdPKlPlN2at6native12_GLOBAL__N_18offset_tEEE10hipError_tPvRmT1_PNSt15iterator_traitsIS12_E10value_typeET2_T3_PNS13_IS18_E10value_typeET4_jRbjT5_S1E_jjP12ihipStream_tbEUljE_ZNSN_ISO_Lb1ESQ_SR_ST_SU_SY_EESZ_S10_S11_S12_S16_S17_S18_S1B_S1C_jS1D_jS1E_S1E_jjS1G_bEUljE0_EEESZ_S10_S11_S18_S1C_S1E_T6_T7_T9_mT8_S1G_bDpT10_ENKUlT_T0_E_clISt17integral_constantIbLb0EES1T_IbLb1EEEEDaS1P_S1Q_EUlS1P_E_NS1_11comp_targetILNS1_3genE2ELNS1_11target_archE906ELNS1_3gpuE6ELNS1_3repE0EEENS1_30default_config_static_selectorELNS0_4arch9wavefront6targetE0EEEvS12_
                                        ; -- End function
	.set _ZN7rocprim17ROCPRIM_400000_NS6detail17trampoline_kernelINS0_13select_configILj256ELj13ELNS0_17block_load_methodE3ELS4_3ELS4_3ELNS0_20block_scan_algorithmE0ELj4294967295EEENS1_25partition_config_selectorILNS1_17partition_subalgoE4EjNS0_10empty_typeEbEEZZNS1_14partition_implILS8_4ELb0ES6_15HIP_vector_typeIjLj2EENS0_17counting_iteratorIjlEEPS9_SG_NS0_5tupleIJPjSI_NS0_16reverse_iteratorISI_EEEEENSH_IJSG_SG_SG_EEES9_SI_JZNS1_25segmented_radix_sort_implINS0_14default_configELb1EPKdPdPKlPlN2at6native12_GLOBAL__N_18offset_tEEE10hipError_tPvRmT1_PNSt15iterator_traitsIS12_E10value_typeET2_T3_PNS13_IS18_E10value_typeET4_jRbjT5_S1E_jjP12ihipStream_tbEUljE_ZNSN_ISO_Lb1ESQ_SR_ST_SU_SY_EESZ_S10_S11_S12_S16_S17_S18_S1B_S1C_jS1D_jS1E_S1E_jjS1G_bEUljE0_EEESZ_S10_S11_S18_S1C_S1E_T6_T7_T9_mT8_S1G_bDpT10_ENKUlT_T0_E_clISt17integral_constantIbLb0EES1T_IbLb1EEEEDaS1P_S1Q_EUlS1P_E_NS1_11comp_targetILNS1_3genE2ELNS1_11target_archE906ELNS1_3gpuE6ELNS1_3repE0EEENS1_30default_config_static_selectorELNS0_4arch9wavefront6targetE0EEEvS12_.num_vgpr, 0
	.set _ZN7rocprim17ROCPRIM_400000_NS6detail17trampoline_kernelINS0_13select_configILj256ELj13ELNS0_17block_load_methodE3ELS4_3ELS4_3ELNS0_20block_scan_algorithmE0ELj4294967295EEENS1_25partition_config_selectorILNS1_17partition_subalgoE4EjNS0_10empty_typeEbEEZZNS1_14partition_implILS8_4ELb0ES6_15HIP_vector_typeIjLj2EENS0_17counting_iteratorIjlEEPS9_SG_NS0_5tupleIJPjSI_NS0_16reverse_iteratorISI_EEEEENSH_IJSG_SG_SG_EEES9_SI_JZNS1_25segmented_radix_sort_implINS0_14default_configELb1EPKdPdPKlPlN2at6native12_GLOBAL__N_18offset_tEEE10hipError_tPvRmT1_PNSt15iterator_traitsIS12_E10value_typeET2_T3_PNS13_IS18_E10value_typeET4_jRbjT5_S1E_jjP12ihipStream_tbEUljE_ZNSN_ISO_Lb1ESQ_SR_ST_SU_SY_EESZ_S10_S11_S12_S16_S17_S18_S1B_S1C_jS1D_jS1E_S1E_jjS1G_bEUljE0_EEESZ_S10_S11_S18_S1C_S1E_T6_T7_T9_mT8_S1G_bDpT10_ENKUlT_T0_E_clISt17integral_constantIbLb0EES1T_IbLb1EEEEDaS1P_S1Q_EUlS1P_E_NS1_11comp_targetILNS1_3genE2ELNS1_11target_archE906ELNS1_3gpuE6ELNS1_3repE0EEENS1_30default_config_static_selectorELNS0_4arch9wavefront6targetE0EEEvS12_.num_agpr, 0
	.set _ZN7rocprim17ROCPRIM_400000_NS6detail17trampoline_kernelINS0_13select_configILj256ELj13ELNS0_17block_load_methodE3ELS4_3ELS4_3ELNS0_20block_scan_algorithmE0ELj4294967295EEENS1_25partition_config_selectorILNS1_17partition_subalgoE4EjNS0_10empty_typeEbEEZZNS1_14partition_implILS8_4ELb0ES6_15HIP_vector_typeIjLj2EENS0_17counting_iteratorIjlEEPS9_SG_NS0_5tupleIJPjSI_NS0_16reverse_iteratorISI_EEEEENSH_IJSG_SG_SG_EEES9_SI_JZNS1_25segmented_radix_sort_implINS0_14default_configELb1EPKdPdPKlPlN2at6native12_GLOBAL__N_18offset_tEEE10hipError_tPvRmT1_PNSt15iterator_traitsIS12_E10value_typeET2_T3_PNS13_IS18_E10value_typeET4_jRbjT5_S1E_jjP12ihipStream_tbEUljE_ZNSN_ISO_Lb1ESQ_SR_ST_SU_SY_EESZ_S10_S11_S12_S16_S17_S18_S1B_S1C_jS1D_jS1E_S1E_jjS1G_bEUljE0_EEESZ_S10_S11_S18_S1C_S1E_T6_T7_T9_mT8_S1G_bDpT10_ENKUlT_T0_E_clISt17integral_constantIbLb0EES1T_IbLb1EEEEDaS1P_S1Q_EUlS1P_E_NS1_11comp_targetILNS1_3genE2ELNS1_11target_archE906ELNS1_3gpuE6ELNS1_3repE0EEENS1_30default_config_static_selectorELNS0_4arch9wavefront6targetE0EEEvS12_.numbered_sgpr, 0
	.set _ZN7rocprim17ROCPRIM_400000_NS6detail17trampoline_kernelINS0_13select_configILj256ELj13ELNS0_17block_load_methodE3ELS4_3ELS4_3ELNS0_20block_scan_algorithmE0ELj4294967295EEENS1_25partition_config_selectorILNS1_17partition_subalgoE4EjNS0_10empty_typeEbEEZZNS1_14partition_implILS8_4ELb0ES6_15HIP_vector_typeIjLj2EENS0_17counting_iteratorIjlEEPS9_SG_NS0_5tupleIJPjSI_NS0_16reverse_iteratorISI_EEEEENSH_IJSG_SG_SG_EEES9_SI_JZNS1_25segmented_radix_sort_implINS0_14default_configELb1EPKdPdPKlPlN2at6native12_GLOBAL__N_18offset_tEEE10hipError_tPvRmT1_PNSt15iterator_traitsIS12_E10value_typeET2_T3_PNS13_IS18_E10value_typeET4_jRbjT5_S1E_jjP12ihipStream_tbEUljE_ZNSN_ISO_Lb1ESQ_SR_ST_SU_SY_EESZ_S10_S11_S12_S16_S17_S18_S1B_S1C_jS1D_jS1E_S1E_jjS1G_bEUljE0_EEESZ_S10_S11_S18_S1C_S1E_T6_T7_T9_mT8_S1G_bDpT10_ENKUlT_T0_E_clISt17integral_constantIbLb0EES1T_IbLb1EEEEDaS1P_S1Q_EUlS1P_E_NS1_11comp_targetILNS1_3genE2ELNS1_11target_archE906ELNS1_3gpuE6ELNS1_3repE0EEENS1_30default_config_static_selectorELNS0_4arch9wavefront6targetE0EEEvS12_.num_named_barrier, 0
	.set _ZN7rocprim17ROCPRIM_400000_NS6detail17trampoline_kernelINS0_13select_configILj256ELj13ELNS0_17block_load_methodE3ELS4_3ELS4_3ELNS0_20block_scan_algorithmE0ELj4294967295EEENS1_25partition_config_selectorILNS1_17partition_subalgoE4EjNS0_10empty_typeEbEEZZNS1_14partition_implILS8_4ELb0ES6_15HIP_vector_typeIjLj2EENS0_17counting_iteratorIjlEEPS9_SG_NS0_5tupleIJPjSI_NS0_16reverse_iteratorISI_EEEEENSH_IJSG_SG_SG_EEES9_SI_JZNS1_25segmented_radix_sort_implINS0_14default_configELb1EPKdPdPKlPlN2at6native12_GLOBAL__N_18offset_tEEE10hipError_tPvRmT1_PNSt15iterator_traitsIS12_E10value_typeET2_T3_PNS13_IS18_E10value_typeET4_jRbjT5_S1E_jjP12ihipStream_tbEUljE_ZNSN_ISO_Lb1ESQ_SR_ST_SU_SY_EESZ_S10_S11_S12_S16_S17_S18_S1B_S1C_jS1D_jS1E_S1E_jjS1G_bEUljE0_EEESZ_S10_S11_S18_S1C_S1E_T6_T7_T9_mT8_S1G_bDpT10_ENKUlT_T0_E_clISt17integral_constantIbLb0EES1T_IbLb1EEEEDaS1P_S1Q_EUlS1P_E_NS1_11comp_targetILNS1_3genE2ELNS1_11target_archE906ELNS1_3gpuE6ELNS1_3repE0EEENS1_30default_config_static_selectorELNS0_4arch9wavefront6targetE0EEEvS12_.private_seg_size, 0
	.set _ZN7rocprim17ROCPRIM_400000_NS6detail17trampoline_kernelINS0_13select_configILj256ELj13ELNS0_17block_load_methodE3ELS4_3ELS4_3ELNS0_20block_scan_algorithmE0ELj4294967295EEENS1_25partition_config_selectorILNS1_17partition_subalgoE4EjNS0_10empty_typeEbEEZZNS1_14partition_implILS8_4ELb0ES6_15HIP_vector_typeIjLj2EENS0_17counting_iteratorIjlEEPS9_SG_NS0_5tupleIJPjSI_NS0_16reverse_iteratorISI_EEEEENSH_IJSG_SG_SG_EEES9_SI_JZNS1_25segmented_radix_sort_implINS0_14default_configELb1EPKdPdPKlPlN2at6native12_GLOBAL__N_18offset_tEEE10hipError_tPvRmT1_PNSt15iterator_traitsIS12_E10value_typeET2_T3_PNS13_IS18_E10value_typeET4_jRbjT5_S1E_jjP12ihipStream_tbEUljE_ZNSN_ISO_Lb1ESQ_SR_ST_SU_SY_EESZ_S10_S11_S12_S16_S17_S18_S1B_S1C_jS1D_jS1E_S1E_jjS1G_bEUljE0_EEESZ_S10_S11_S18_S1C_S1E_T6_T7_T9_mT8_S1G_bDpT10_ENKUlT_T0_E_clISt17integral_constantIbLb0EES1T_IbLb1EEEEDaS1P_S1Q_EUlS1P_E_NS1_11comp_targetILNS1_3genE2ELNS1_11target_archE906ELNS1_3gpuE6ELNS1_3repE0EEENS1_30default_config_static_selectorELNS0_4arch9wavefront6targetE0EEEvS12_.uses_vcc, 0
	.set _ZN7rocprim17ROCPRIM_400000_NS6detail17trampoline_kernelINS0_13select_configILj256ELj13ELNS0_17block_load_methodE3ELS4_3ELS4_3ELNS0_20block_scan_algorithmE0ELj4294967295EEENS1_25partition_config_selectorILNS1_17partition_subalgoE4EjNS0_10empty_typeEbEEZZNS1_14partition_implILS8_4ELb0ES6_15HIP_vector_typeIjLj2EENS0_17counting_iteratorIjlEEPS9_SG_NS0_5tupleIJPjSI_NS0_16reverse_iteratorISI_EEEEENSH_IJSG_SG_SG_EEES9_SI_JZNS1_25segmented_radix_sort_implINS0_14default_configELb1EPKdPdPKlPlN2at6native12_GLOBAL__N_18offset_tEEE10hipError_tPvRmT1_PNSt15iterator_traitsIS12_E10value_typeET2_T3_PNS13_IS18_E10value_typeET4_jRbjT5_S1E_jjP12ihipStream_tbEUljE_ZNSN_ISO_Lb1ESQ_SR_ST_SU_SY_EESZ_S10_S11_S12_S16_S17_S18_S1B_S1C_jS1D_jS1E_S1E_jjS1G_bEUljE0_EEESZ_S10_S11_S18_S1C_S1E_T6_T7_T9_mT8_S1G_bDpT10_ENKUlT_T0_E_clISt17integral_constantIbLb0EES1T_IbLb1EEEEDaS1P_S1Q_EUlS1P_E_NS1_11comp_targetILNS1_3genE2ELNS1_11target_archE906ELNS1_3gpuE6ELNS1_3repE0EEENS1_30default_config_static_selectorELNS0_4arch9wavefront6targetE0EEEvS12_.uses_flat_scratch, 0
	.set _ZN7rocprim17ROCPRIM_400000_NS6detail17trampoline_kernelINS0_13select_configILj256ELj13ELNS0_17block_load_methodE3ELS4_3ELS4_3ELNS0_20block_scan_algorithmE0ELj4294967295EEENS1_25partition_config_selectorILNS1_17partition_subalgoE4EjNS0_10empty_typeEbEEZZNS1_14partition_implILS8_4ELb0ES6_15HIP_vector_typeIjLj2EENS0_17counting_iteratorIjlEEPS9_SG_NS0_5tupleIJPjSI_NS0_16reverse_iteratorISI_EEEEENSH_IJSG_SG_SG_EEES9_SI_JZNS1_25segmented_radix_sort_implINS0_14default_configELb1EPKdPdPKlPlN2at6native12_GLOBAL__N_18offset_tEEE10hipError_tPvRmT1_PNSt15iterator_traitsIS12_E10value_typeET2_T3_PNS13_IS18_E10value_typeET4_jRbjT5_S1E_jjP12ihipStream_tbEUljE_ZNSN_ISO_Lb1ESQ_SR_ST_SU_SY_EESZ_S10_S11_S12_S16_S17_S18_S1B_S1C_jS1D_jS1E_S1E_jjS1G_bEUljE0_EEESZ_S10_S11_S18_S1C_S1E_T6_T7_T9_mT8_S1G_bDpT10_ENKUlT_T0_E_clISt17integral_constantIbLb0EES1T_IbLb1EEEEDaS1P_S1Q_EUlS1P_E_NS1_11comp_targetILNS1_3genE2ELNS1_11target_archE906ELNS1_3gpuE6ELNS1_3repE0EEENS1_30default_config_static_selectorELNS0_4arch9wavefront6targetE0EEEvS12_.has_dyn_sized_stack, 0
	.set _ZN7rocprim17ROCPRIM_400000_NS6detail17trampoline_kernelINS0_13select_configILj256ELj13ELNS0_17block_load_methodE3ELS4_3ELS4_3ELNS0_20block_scan_algorithmE0ELj4294967295EEENS1_25partition_config_selectorILNS1_17partition_subalgoE4EjNS0_10empty_typeEbEEZZNS1_14partition_implILS8_4ELb0ES6_15HIP_vector_typeIjLj2EENS0_17counting_iteratorIjlEEPS9_SG_NS0_5tupleIJPjSI_NS0_16reverse_iteratorISI_EEEEENSH_IJSG_SG_SG_EEES9_SI_JZNS1_25segmented_radix_sort_implINS0_14default_configELb1EPKdPdPKlPlN2at6native12_GLOBAL__N_18offset_tEEE10hipError_tPvRmT1_PNSt15iterator_traitsIS12_E10value_typeET2_T3_PNS13_IS18_E10value_typeET4_jRbjT5_S1E_jjP12ihipStream_tbEUljE_ZNSN_ISO_Lb1ESQ_SR_ST_SU_SY_EESZ_S10_S11_S12_S16_S17_S18_S1B_S1C_jS1D_jS1E_S1E_jjS1G_bEUljE0_EEESZ_S10_S11_S18_S1C_S1E_T6_T7_T9_mT8_S1G_bDpT10_ENKUlT_T0_E_clISt17integral_constantIbLb0EES1T_IbLb1EEEEDaS1P_S1Q_EUlS1P_E_NS1_11comp_targetILNS1_3genE2ELNS1_11target_archE906ELNS1_3gpuE6ELNS1_3repE0EEENS1_30default_config_static_selectorELNS0_4arch9wavefront6targetE0EEEvS12_.has_recursion, 0
	.set _ZN7rocprim17ROCPRIM_400000_NS6detail17trampoline_kernelINS0_13select_configILj256ELj13ELNS0_17block_load_methodE3ELS4_3ELS4_3ELNS0_20block_scan_algorithmE0ELj4294967295EEENS1_25partition_config_selectorILNS1_17partition_subalgoE4EjNS0_10empty_typeEbEEZZNS1_14partition_implILS8_4ELb0ES6_15HIP_vector_typeIjLj2EENS0_17counting_iteratorIjlEEPS9_SG_NS0_5tupleIJPjSI_NS0_16reverse_iteratorISI_EEEEENSH_IJSG_SG_SG_EEES9_SI_JZNS1_25segmented_radix_sort_implINS0_14default_configELb1EPKdPdPKlPlN2at6native12_GLOBAL__N_18offset_tEEE10hipError_tPvRmT1_PNSt15iterator_traitsIS12_E10value_typeET2_T3_PNS13_IS18_E10value_typeET4_jRbjT5_S1E_jjP12ihipStream_tbEUljE_ZNSN_ISO_Lb1ESQ_SR_ST_SU_SY_EESZ_S10_S11_S12_S16_S17_S18_S1B_S1C_jS1D_jS1E_S1E_jjS1G_bEUljE0_EEESZ_S10_S11_S18_S1C_S1E_T6_T7_T9_mT8_S1G_bDpT10_ENKUlT_T0_E_clISt17integral_constantIbLb0EES1T_IbLb1EEEEDaS1P_S1Q_EUlS1P_E_NS1_11comp_targetILNS1_3genE2ELNS1_11target_archE906ELNS1_3gpuE6ELNS1_3repE0EEENS1_30default_config_static_selectorELNS0_4arch9wavefront6targetE0EEEvS12_.has_indirect_call, 0
	.section	.AMDGPU.csdata,"",@progbits
; Kernel info:
; codeLenInByte = 0
; TotalNumSgprs: 0
; NumVgprs: 0
; ScratchSize: 0
; MemoryBound: 0
; FloatMode: 240
; IeeeMode: 1
; LDSByteSize: 0 bytes/workgroup (compile time only)
; SGPRBlocks: 0
; VGPRBlocks: 0
; NumSGPRsForWavesPerEU: 1
; NumVGPRsForWavesPerEU: 1
; Occupancy: 16
; WaveLimiterHint : 0
; COMPUTE_PGM_RSRC2:SCRATCH_EN: 0
; COMPUTE_PGM_RSRC2:USER_SGPR: 2
; COMPUTE_PGM_RSRC2:TRAP_HANDLER: 0
; COMPUTE_PGM_RSRC2:TGID_X_EN: 1
; COMPUTE_PGM_RSRC2:TGID_Y_EN: 0
; COMPUTE_PGM_RSRC2:TGID_Z_EN: 0
; COMPUTE_PGM_RSRC2:TIDIG_COMP_CNT: 0
	.section	.text._ZN7rocprim17ROCPRIM_400000_NS6detail17trampoline_kernelINS0_13select_configILj256ELj13ELNS0_17block_load_methodE3ELS4_3ELS4_3ELNS0_20block_scan_algorithmE0ELj4294967295EEENS1_25partition_config_selectorILNS1_17partition_subalgoE4EjNS0_10empty_typeEbEEZZNS1_14partition_implILS8_4ELb0ES6_15HIP_vector_typeIjLj2EENS0_17counting_iteratorIjlEEPS9_SG_NS0_5tupleIJPjSI_NS0_16reverse_iteratorISI_EEEEENSH_IJSG_SG_SG_EEES9_SI_JZNS1_25segmented_radix_sort_implINS0_14default_configELb1EPKdPdPKlPlN2at6native12_GLOBAL__N_18offset_tEEE10hipError_tPvRmT1_PNSt15iterator_traitsIS12_E10value_typeET2_T3_PNS13_IS18_E10value_typeET4_jRbjT5_S1E_jjP12ihipStream_tbEUljE_ZNSN_ISO_Lb1ESQ_SR_ST_SU_SY_EESZ_S10_S11_S12_S16_S17_S18_S1B_S1C_jS1D_jS1E_S1E_jjS1G_bEUljE0_EEESZ_S10_S11_S18_S1C_S1E_T6_T7_T9_mT8_S1G_bDpT10_ENKUlT_T0_E_clISt17integral_constantIbLb0EES1T_IbLb1EEEEDaS1P_S1Q_EUlS1P_E_NS1_11comp_targetILNS1_3genE10ELNS1_11target_archE1200ELNS1_3gpuE4ELNS1_3repE0EEENS1_30default_config_static_selectorELNS0_4arch9wavefront6targetE0EEEvS12_,"axG",@progbits,_ZN7rocprim17ROCPRIM_400000_NS6detail17trampoline_kernelINS0_13select_configILj256ELj13ELNS0_17block_load_methodE3ELS4_3ELS4_3ELNS0_20block_scan_algorithmE0ELj4294967295EEENS1_25partition_config_selectorILNS1_17partition_subalgoE4EjNS0_10empty_typeEbEEZZNS1_14partition_implILS8_4ELb0ES6_15HIP_vector_typeIjLj2EENS0_17counting_iteratorIjlEEPS9_SG_NS0_5tupleIJPjSI_NS0_16reverse_iteratorISI_EEEEENSH_IJSG_SG_SG_EEES9_SI_JZNS1_25segmented_radix_sort_implINS0_14default_configELb1EPKdPdPKlPlN2at6native12_GLOBAL__N_18offset_tEEE10hipError_tPvRmT1_PNSt15iterator_traitsIS12_E10value_typeET2_T3_PNS13_IS18_E10value_typeET4_jRbjT5_S1E_jjP12ihipStream_tbEUljE_ZNSN_ISO_Lb1ESQ_SR_ST_SU_SY_EESZ_S10_S11_S12_S16_S17_S18_S1B_S1C_jS1D_jS1E_S1E_jjS1G_bEUljE0_EEESZ_S10_S11_S18_S1C_S1E_T6_T7_T9_mT8_S1G_bDpT10_ENKUlT_T0_E_clISt17integral_constantIbLb0EES1T_IbLb1EEEEDaS1P_S1Q_EUlS1P_E_NS1_11comp_targetILNS1_3genE10ELNS1_11target_archE1200ELNS1_3gpuE4ELNS1_3repE0EEENS1_30default_config_static_selectorELNS0_4arch9wavefront6targetE0EEEvS12_,comdat
	.globl	_ZN7rocprim17ROCPRIM_400000_NS6detail17trampoline_kernelINS0_13select_configILj256ELj13ELNS0_17block_load_methodE3ELS4_3ELS4_3ELNS0_20block_scan_algorithmE0ELj4294967295EEENS1_25partition_config_selectorILNS1_17partition_subalgoE4EjNS0_10empty_typeEbEEZZNS1_14partition_implILS8_4ELb0ES6_15HIP_vector_typeIjLj2EENS0_17counting_iteratorIjlEEPS9_SG_NS0_5tupleIJPjSI_NS0_16reverse_iteratorISI_EEEEENSH_IJSG_SG_SG_EEES9_SI_JZNS1_25segmented_radix_sort_implINS0_14default_configELb1EPKdPdPKlPlN2at6native12_GLOBAL__N_18offset_tEEE10hipError_tPvRmT1_PNSt15iterator_traitsIS12_E10value_typeET2_T3_PNS13_IS18_E10value_typeET4_jRbjT5_S1E_jjP12ihipStream_tbEUljE_ZNSN_ISO_Lb1ESQ_SR_ST_SU_SY_EESZ_S10_S11_S12_S16_S17_S18_S1B_S1C_jS1D_jS1E_S1E_jjS1G_bEUljE0_EEESZ_S10_S11_S18_S1C_S1E_T6_T7_T9_mT8_S1G_bDpT10_ENKUlT_T0_E_clISt17integral_constantIbLb0EES1T_IbLb1EEEEDaS1P_S1Q_EUlS1P_E_NS1_11comp_targetILNS1_3genE10ELNS1_11target_archE1200ELNS1_3gpuE4ELNS1_3repE0EEENS1_30default_config_static_selectorELNS0_4arch9wavefront6targetE0EEEvS12_ ; -- Begin function _ZN7rocprim17ROCPRIM_400000_NS6detail17trampoline_kernelINS0_13select_configILj256ELj13ELNS0_17block_load_methodE3ELS4_3ELS4_3ELNS0_20block_scan_algorithmE0ELj4294967295EEENS1_25partition_config_selectorILNS1_17partition_subalgoE4EjNS0_10empty_typeEbEEZZNS1_14partition_implILS8_4ELb0ES6_15HIP_vector_typeIjLj2EENS0_17counting_iteratorIjlEEPS9_SG_NS0_5tupleIJPjSI_NS0_16reverse_iteratorISI_EEEEENSH_IJSG_SG_SG_EEES9_SI_JZNS1_25segmented_radix_sort_implINS0_14default_configELb1EPKdPdPKlPlN2at6native12_GLOBAL__N_18offset_tEEE10hipError_tPvRmT1_PNSt15iterator_traitsIS12_E10value_typeET2_T3_PNS13_IS18_E10value_typeET4_jRbjT5_S1E_jjP12ihipStream_tbEUljE_ZNSN_ISO_Lb1ESQ_SR_ST_SU_SY_EESZ_S10_S11_S12_S16_S17_S18_S1B_S1C_jS1D_jS1E_S1E_jjS1G_bEUljE0_EEESZ_S10_S11_S18_S1C_S1E_T6_T7_T9_mT8_S1G_bDpT10_ENKUlT_T0_E_clISt17integral_constantIbLb0EES1T_IbLb1EEEEDaS1P_S1Q_EUlS1P_E_NS1_11comp_targetILNS1_3genE10ELNS1_11target_archE1200ELNS1_3gpuE4ELNS1_3repE0EEENS1_30default_config_static_selectorELNS0_4arch9wavefront6targetE0EEEvS12_
	.p2align	8
	.type	_ZN7rocprim17ROCPRIM_400000_NS6detail17trampoline_kernelINS0_13select_configILj256ELj13ELNS0_17block_load_methodE3ELS4_3ELS4_3ELNS0_20block_scan_algorithmE0ELj4294967295EEENS1_25partition_config_selectorILNS1_17partition_subalgoE4EjNS0_10empty_typeEbEEZZNS1_14partition_implILS8_4ELb0ES6_15HIP_vector_typeIjLj2EENS0_17counting_iteratorIjlEEPS9_SG_NS0_5tupleIJPjSI_NS0_16reverse_iteratorISI_EEEEENSH_IJSG_SG_SG_EEES9_SI_JZNS1_25segmented_radix_sort_implINS0_14default_configELb1EPKdPdPKlPlN2at6native12_GLOBAL__N_18offset_tEEE10hipError_tPvRmT1_PNSt15iterator_traitsIS12_E10value_typeET2_T3_PNS13_IS18_E10value_typeET4_jRbjT5_S1E_jjP12ihipStream_tbEUljE_ZNSN_ISO_Lb1ESQ_SR_ST_SU_SY_EESZ_S10_S11_S12_S16_S17_S18_S1B_S1C_jS1D_jS1E_S1E_jjS1G_bEUljE0_EEESZ_S10_S11_S18_S1C_S1E_T6_T7_T9_mT8_S1G_bDpT10_ENKUlT_T0_E_clISt17integral_constantIbLb0EES1T_IbLb1EEEEDaS1P_S1Q_EUlS1P_E_NS1_11comp_targetILNS1_3genE10ELNS1_11target_archE1200ELNS1_3gpuE4ELNS1_3repE0EEENS1_30default_config_static_selectorELNS0_4arch9wavefront6targetE0EEEvS12_,@function
_ZN7rocprim17ROCPRIM_400000_NS6detail17trampoline_kernelINS0_13select_configILj256ELj13ELNS0_17block_load_methodE3ELS4_3ELS4_3ELNS0_20block_scan_algorithmE0ELj4294967295EEENS1_25partition_config_selectorILNS1_17partition_subalgoE4EjNS0_10empty_typeEbEEZZNS1_14partition_implILS8_4ELb0ES6_15HIP_vector_typeIjLj2EENS0_17counting_iteratorIjlEEPS9_SG_NS0_5tupleIJPjSI_NS0_16reverse_iteratorISI_EEEEENSH_IJSG_SG_SG_EEES9_SI_JZNS1_25segmented_radix_sort_implINS0_14default_configELb1EPKdPdPKlPlN2at6native12_GLOBAL__N_18offset_tEEE10hipError_tPvRmT1_PNSt15iterator_traitsIS12_E10value_typeET2_T3_PNS13_IS18_E10value_typeET4_jRbjT5_S1E_jjP12ihipStream_tbEUljE_ZNSN_ISO_Lb1ESQ_SR_ST_SU_SY_EESZ_S10_S11_S12_S16_S17_S18_S1B_S1C_jS1D_jS1E_S1E_jjS1G_bEUljE0_EEESZ_S10_S11_S18_S1C_S1E_T6_T7_T9_mT8_S1G_bDpT10_ENKUlT_T0_E_clISt17integral_constantIbLb0EES1T_IbLb1EEEEDaS1P_S1Q_EUlS1P_E_NS1_11comp_targetILNS1_3genE10ELNS1_11target_archE1200ELNS1_3gpuE4ELNS1_3repE0EEENS1_30default_config_static_selectorELNS0_4arch9wavefront6targetE0EEEvS12_: ; @_ZN7rocprim17ROCPRIM_400000_NS6detail17trampoline_kernelINS0_13select_configILj256ELj13ELNS0_17block_load_methodE3ELS4_3ELS4_3ELNS0_20block_scan_algorithmE0ELj4294967295EEENS1_25partition_config_selectorILNS1_17partition_subalgoE4EjNS0_10empty_typeEbEEZZNS1_14partition_implILS8_4ELb0ES6_15HIP_vector_typeIjLj2EENS0_17counting_iteratorIjlEEPS9_SG_NS0_5tupleIJPjSI_NS0_16reverse_iteratorISI_EEEEENSH_IJSG_SG_SG_EEES9_SI_JZNS1_25segmented_radix_sort_implINS0_14default_configELb1EPKdPdPKlPlN2at6native12_GLOBAL__N_18offset_tEEE10hipError_tPvRmT1_PNSt15iterator_traitsIS12_E10value_typeET2_T3_PNS13_IS18_E10value_typeET4_jRbjT5_S1E_jjP12ihipStream_tbEUljE_ZNSN_ISO_Lb1ESQ_SR_ST_SU_SY_EESZ_S10_S11_S12_S16_S17_S18_S1B_S1C_jS1D_jS1E_S1E_jjS1G_bEUljE0_EEESZ_S10_S11_S18_S1C_S1E_T6_T7_T9_mT8_S1G_bDpT10_ENKUlT_T0_E_clISt17integral_constantIbLb0EES1T_IbLb1EEEEDaS1P_S1Q_EUlS1P_E_NS1_11comp_targetILNS1_3genE10ELNS1_11target_archE1200ELNS1_3gpuE4ELNS1_3repE0EEENS1_30default_config_static_selectorELNS0_4arch9wavefront6targetE0EEEvS12_
; %bb.0:
	s_clause 0x7
	s_load_b64 s[34:35], s[0:1], 0x10
	s_load_b128 s[28:31], s[0:1], 0x28
	s_load_b64 s[14:15], s[0:1], 0x38
	s_load_b128 s[24:27], s[0:1], 0x58
	s_load_b64 s[4:5], s[0:1], 0x68
	s_load_b64 s[36:37], s[0:1], 0x78
	;; [unrolled: 1-line block ×3, first 2 shown]
	s_load_b256 s[16:23], s[0:1], 0x90
	v_cmp_eq_u32_e64 s2, 0, v0
	s_and_saveexec_b32 s3, s2
	s_cbranch_execz .LBB1083_4
; %bb.1:
	s_mov_b32 s7, exec_lo
	s_mov_b32 s6, exec_lo
	v_mbcnt_lo_u32_b32 v1, s7, 0
                                        ; implicit-def: $vgpr2
	s_delay_alu instid0(VALU_DEP_1)
	v_cmpx_eq_u32_e32 0, v1
	s_cbranch_execz .LBB1083_3
; %bb.2:
	s_load_b64 s[8:9], s[0:1], 0x88
	s_bcnt1_i32_b32 s7, s7
	s_wait_alu 0xfffe
	v_dual_mov_b32 v2, 0 :: v_dual_mov_b32 v3, s7
	s_wait_kmcnt 0x0
	global_atomic_add_u32 v2, v2, v3, s[8:9] th:TH_ATOMIC_RETURN scope:SCOPE_DEV
.LBB1083_3:
	s_or_b32 exec_lo, exec_lo, s6
	s_wait_loadcnt 0x0
	v_readfirstlane_b32 s6, v2
	s_wait_alu 0xf1ff
	s_delay_alu instid0(VALU_DEP_1)
	v_dual_mov_b32 v2, 0 :: v_dual_add_nc_u32 v1, s6, v1
	ds_store_b32 v2, v1
.LBB1083_4:
	s_or_b32 exec_lo, exec_lo, s3
	v_mov_b32_e32 v1, 0
	s_clause 0x1
	s_load_b32 s3, s[0:1], 0x8
	s_load_b32 s0, s[0:1], 0x80
	s_wait_dscnt 0x0
	s_barrier_signal -1
	s_barrier_wait -1
	global_inv scope:SCOPE_SE
	ds_load_b32 v5, v1
	s_wait_loadcnt_dscnt 0x0
	s_barrier_signal -1
	s_barrier_wait -1
	global_inv scope:SCOPE_SE
	s_wait_kmcnt 0x0
	global_load_b128 v[1:4], v1, s[26:27]
	s_mov_b32 s1, 0
	s_add_co_i32 s3, s3, s34
	s_add_co_i32 s6, s0, -1
	s_mulk_i32 s0, 0xd00
	s_delay_alu instid0(SALU_CYCLE_1)
	s_add_co_i32 s7, s0, s34
	s_add_nc_u64 s[0:1], s[34:35], s[0:1]
	v_readfirstlane_b32 s33, v5
	v_cmp_gt_u64_e64 s0, s[4:5], s[0:1]
	s_wait_alu 0xfffe
	s_sub_co_i32 s27, s4, s7
	v_cmp_ne_u32_e32 vcc_lo, s6, v5
	v_mul_lo_u32 v43, 0xd00, v5
	s_addk_co_i32 s27, 0xd00
	s_cmp_eq_u32 s33, s6
	s_mov_b32 s4, -1
	s_cselect_b32 s26, -1, 0
	s_or_b32 s1, s0, vcc_lo
	s_wait_alu 0xfffe
	s_and_b32 vcc_lo, exec_lo, s1
	s_cbranch_vccz .LBB1083_6
; %bb.5:
	v_add3_u32 v5, v43, s3, v0
	v_lshlrev_b32_e32 v14, 2, v0
	s_mov_b32 s4, 0
	s_delay_alu instid0(VALU_DEP_2)
	v_add_nc_u32_e32 v6, 0x100, v5
	v_add_nc_u32_e32 v7, 0x200, v5
	;; [unrolled: 1-line block ×12, first 2 shown]
	ds_store_2addr_stride64_b32 v14, v5, v6 offset1:4
	ds_store_2addr_stride64_b32 v14, v7, v8 offset0:8 offset1:12
	ds_store_2addr_stride64_b32 v14, v9, v10 offset0:16 offset1:20
	ds_store_2addr_stride64_b32 v14, v11, v12 offset0:24 offset1:28
	ds_store_2addr_stride64_b32 v14, v13, v15 offset0:32 offset1:36
	ds_store_2addr_stride64_b32 v14, v16, v17 offset0:40 offset1:44
	ds_store_b32 v14, v18 offset:12288
	s_wait_loadcnt_dscnt 0x0
	s_barrier_signal -1
	s_barrier_wait -1
.LBB1083_6:
	v_cmp_gt_u32_e64 s0, s27, v0
	v_or_b32_e32 v42, 0x100, v0
	v_or_b32_e32 v41, 0x200, v0
	;; [unrolled: 1-line block ×12, first 2 shown]
	s_wait_alu 0xfffe
	s_and_not1_b32 vcc_lo, exec_lo, s4
	s_cbranch_vccnz .LBB1083_8
; %bb.7:
	v_add_nc_u32_e32 v5, s3, v43
	v_cmp_gt_u32_e32 vcc_lo, s27, v42
	s_delay_alu instid0(VALU_DEP_2) | instskip(NEXT) | instid1(VALU_DEP_1)
	v_add_nc_u32_e32 v7, v5, v42
	v_dual_cndmask_b32 v7, 0, v7 :: v_dual_add_nc_u32 v8, v5, v41
	v_cmp_gt_u32_e32 vcc_lo, s27, v41
	s_wait_alu 0xfffd
	s_delay_alu instid0(VALU_DEP_2)
	v_cndmask_b32_e32 v8, 0, v8, vcc_lo
	v_cmp_gt_u32_e32 vcc_lo, s27, v40
	v_add_nc_u32_e32 v17, v5, v32
	v_add_nc_u32_e32 v14, v5, v35
	;; [unrolled: 1-line block ×9, first 2 shown]
	s_wait_alu 0xfffd
	v_cndmask_b32_e32 v9, 0, v9, vcc_lo
	v_cmp_gt_u32_e32 vcc_lo, s27, v39
	v_cndmask_b32_e64 v6, 0, v6, s0
	s_wait_alu 0xfffd
	v_cndmask_b32_e32 v10, 0, v10, vcc_lo
	v_cmp_gt_u32_e32 vcc_lo, s27, v38
	v_add_nc_u32_e32 v12, v5, v37
	v_add_nc_u32_e32 v5, v5, v31
	s_wait_alu 0xfffd
	v_cndmask_b32_e32 v11, 0, v11, vcc_lo
	v_cmp_gt_u32_e32 vcc_lo, s27, v37
	s_wait_alu 0xfffd
	v_cndmask_b32_e32 v12, 0, v12, vcc_lo
	v_cmp_gt_u32_e32 vcc_lo, s27, v36
	;; [unrolled: 3-line block ×7, first 2 shown]
	s_wait_alu 0xfffd
	v_dual_cndmask_b32 v5, 0, v5 :: v_dual_lshlrev_b32 v18, 2, v0
	ds_store_2addr_stride64_b32 v18, v6, v7 offset1:4
	ds_store_2addr_stride64_b32 v18, v8, v9 offset0:8 offset1:12
	ds_store_2addr_stride64_b32 v18, v10, v11 offset0:16 offset1:20
	;; [unrolled: 1-line block ×5, first 2 shown]
	ds_store_b32 v18, v5 offset:12288
	s_wait_loadcnt_dscnt 0x0
	s_barrier_signal -1
	s_barrier_wait -1
.LBB1083_8:
	v_mul_u32_u24_e32 v46, 13, v0
	s_wait_loadcnt 0x0
	global_inv scope:SCOPE_SE
	v_cndmask_b32_e64 v44, 0, 1, s1
	s_and_not1_b32 vcc_lo, exec_lo, s1
	v_lshlrev_b32_e32 v5, 2, v46
	ds_load_2addr_b32 v[23:24], v5 offset1:1
	ds_load_2addr_b32 v[21:22], v5 offset0:2 offset1:3
	ds_load_2addr_b32 v[19:20], v5 offset0:4 offset1:5
	;; [unrolled: 1-line block ×5, first 2 shown]
	ds_load_b32 v45, v5 offset:48
	s_wait_loadcnt_dscnt 0x0
	s_barrier_signal -1
	s_barrier_wait -1
	global_inv scope:SCOPE_SE
	s_wait_alu 0xfffe
	s_cbranch_vccnz .LBB1083_36
; %bb.9:
	v_add_nc_u32_e32 v5, s17, v23
	v_add_nc_u32_e32 v6, s19, v23
	s_mov_b32 s41, 0
	s_mov_b32 s40, 0
	s_mov_b32 s1, exec_lo
	v_mul_lo_u32 v5, v5, s16
	v_mul_lo_u32 v6, v6, s18
	s_delay_alu instid0(VALU_DEP_1) | instskip(NEXT) | instid1(VALU_DEP_1)
	v_sub_nc_u32_e32 v5, v5, v6
	v_cmp_lt_u32_e32 vcc_lo, s20, v5
	v_cmpx_ge_u32_e64 s20, v5
	s_cbranch_execz .LBB1083_11
; %bb.10:
	v_add_nc_u32_e32 v5, s22, v23
	v_add_nc_u32_e32 v6, s38, v23
	s_delay_alu instid0(VALU_DEP_2) | instskip(NEXT) | instid1(VALU_DEP_2)
	v_mul_lo_u32 v5, v5, s21
	v_mul_lo_u32 v6, v6, s23
	s_delay_alu instid0(VALU_DEP_1) | instskip(NEXT) | instid1(VALU_DEP_1)
	v_sub_nc_u32_e32 v5, v5, v6
	v_cmp_lt_u32_e64 s0, s39, v5
	s_and_b32 s40, s0, exec_lo
.LBB1083_11:
	s_wait_alu 0xfffe
	s_or_b32 exec_lo, exec_lo, s1
	v_add_nc_u32_e32 v5, s17, v24
	v_add_nc_u32_e32 v6, s19, v24
	s_mov_b32 s3, exec_lo
	s_delay_alu instid0(VALU_DEP_2) | instskip(NEXT) | instid1(VALU_DEP_2)
	v_mul_lo_u32 v5, v5, s16
	v_mul_lo_u32 v6, v6, s18
	s_delay_alu instid0(VALU_DEP_1) | instskip(NEXT) | instid1(VALU_DEP_1)
	v_sub_nc_u32_e32 v5, v5, v6
	v_cmp_lt_u32_e64 s0, s20, v5
	v_cmpx_ge_u32_e64 s20, v5
	s_cbranch_execz .LBB1083_13
; %bb.12:
	v_add_nc_u32_e32 v5, s22, v24
	v_add_nc_u32_e32 v6, s38, v24
	s_delay_alu instid0(VALU_DEP_2) | instskip(NEXT) | instid1(VALU_DEP_2)
	v_mul_lo_u32 v5, v5, s21
	v_mul_lo_u32 v6, v6, s23
	s_delay_alu instid0(VALU_DEP_1) | instskip(NEXT) | instid1(VALU_DEP_1)
	v_sub_nc_u32_e32 v5, v5, v6
	v_cmp_lt_u32_e64 s1, s39, v5
	s_and_b32 s41, s1, exec_lo
.LBB1083_13:
	s_wait_alu 0xfffe
	s_or_b32 exec_lo, exec_lo, s3
	v_add_nc_u32_e32 v5, s17, v21
	v_add_nc_u32_e32 v6, s19, v21
	s_mov_b32 s43, 0
	s_mov_b32 s42, 0
	s_mov_b32 s4, exec_lo
	v_mul_lo_u32 v5, v5, s16
	v_mul_lo_u32 v6, v6, s18
	s_delay_alu instid0(VALU_DEP_1) | instskip(NEXT) | instid1(VALU_DEP_1)
	v_sub_nc_u32_e32 v5, v5, v6
	v_cmp_lt_u32_e64 s1, s20, v5
	v_cmpx_ge_u32_e64 s20, v5
	s_cbranch_execz .LBB1083_15
; %bb.14:
	v_add_nc_u32_e32 v5, s22, v21
	v_add_nc_u32_e32 v6, s38, v21
	s_delay_alu instid0(VALU_DEP_2) | instskip(NEXT) | instid1(VALU_DEP_2)
	v_mul_lo_u32 v5, v5, s21
	v_mul_lo_u32 v6, v6, s23
	s_delay_alu instid0(VALU_DEP_1) | instskip(NEXT) | instid1(VALU_DEP_1)
	v_sub_nc_u32_e32 v5, v5, v6
	v_cmp_lt_u32_e64 s3, s39, v5
	s_and_b32 s42, s3, exec_lo
.LBB1083_15:
	s_wait_alu 0xfffe
	s_or_b32 exec_lo, exec_lo, s4
	v_add_nc_u32_e32 v5, s17, v22
	v_add_nc_u32_e32 v6, s19, v22
	s_mov_b32 s5, exec_lo
	s_delay_alu instid0(VALU_DEP_2) | instskip(NEXT) | instid1(VALU_DEP_2)
	v_mul_lo_u32 v5, v5, s16
	v_mul_lo_u32 v6, v6, s18
	s_delay_alu instid0(VALU_DEP_1) | instskip(NEXT) | instid1(VALU_DEP_1)
	v_sub_nc_u32_e32 v5, v5, v6
	v_cmp_lt_u32_e64 s3, s20, v5
	v_cmpx_ge_u32_e64 s20, v5
	s_cbranch_execz .LBB1083_17
; %bb.16:
	v_add_nc_u32_e32 v5, s22, v22
	v_add_nc_u32_e32 v6, s38, v22
	s_delay_alu instid0(VALU_DEP_2) | instskip(NEXT) | instid1(VALU_DEP_2)
	v_mul_lo_u32 v5, v5, s21
	v_mul_lo_u32 v6, v6, s23
	s_delay_alu instid0(VALU_DEP_1) | instskip(NEXT) | instid1(VALU_DEP_1)
	v_sub_nc_u32_e32 v5, v5, v6
	v_cmp_lt_u32_e64 s4, s39, v5
	s_and_b32 s43, s4, exec_lo
.LBB1083_17:
	s_wait_alu 0xfffe
	s_or_b32 exec_lo, exec_lo, s5
	v_add_nc_u32_e32 v5, s17, v19
	v_add_nc_u32_e32 v6, s19, v19
	s_mov_b32 s45, 0
	s_mov_b32 s44, 0
	s_mov_b32 s6, exec_lo
	v_mul_lo_u32 v5, v5, s16
	v_mul_lo_u32 v6, v6, s18
	s_delay_alu instid0(VALU_DEP_1) | instskip(NEXT) | instid1(VALU_DEP_1)
	v_sub_nc_u32_e32 v5, v5, v6
	v_cmp_lt_u32_e64 s4, s20, v5
	;; [unrolled: 49-line block ×3, first 2 shown]
	v_cmpx_ge_u32_e64 s20, v5
	s_cbranch_execz .LBB1083_23
; %bb.22:
	v_add_nc_u32_e32 v5, s22, v17
	v_add_nc_u32_e32 v6, s38, v17
	s_delay_alu instid0(VALU_DEP_2) | instskip(NEXT) | instid1(VALU_DEP_2)
	v_mul_lo_u32 v5, v5, s21
	v_mul_lo_u32 v6, v6, s23
	s_delay_alu instid0(VALU_DEP_1) | instskip(NEXT) | instid1(VALU_DEP_1)
	v_sub_nc_u32_e32 v5, v5, v6
	v_cmp_lt_u32_e64 s7, s39, v5
	s_and_b32 s46, s7, exec_lo
.LBB1083_23:
	s_or_b32 exec_lo, exec_lo, s8
	v_add_nc_u32_e32 v5, s17, v18
	v_add_nc_u32_e32 v6, s19, v18
	s_mov_b32 s9, exec_lo
	s_delay_alu instid0(VALU_DEP_2) | instskip(NEXT) | instid1(VALU_DEP_2)
	v_mul_lo_u32 v5, v5, s16
	v_mul_lo_u32 v6, v6, s18
	s_delay_alu instid0(VALU_DEP_1) | instskip(NEXT) | instid1(VALU_DEP_1)
	v_sub_nc_u32_e32 v5, v5, v6
	v_cmp_lt_u32_e64 s7, s20, v5
	v_cmpx_ge_u32_e64 s20, v5
	s_cbranch_execz .LBB1083_25
; %bb.24:
	v_add_nc_u32_e32 v5, s22, v18
	v_add_nc_u32_e32 v6, s38, v18
	s_delay_alu instid0(VALU_DEP_2) | instskip(NEXT) | instid1(VALU_DEP_2)
	v_mul_lo_u32 v5, v5, s21
	v_mul_lo_u32 v6, v6, s23
	s_delay_alu instid0(VALU_DEP_1) | instskip(NEXT) | instid1(VALU_DEP_1)
	v_sub_nc_u32_e32 v5, v5, v6
	v_cmp_lt_u32_e64 s8, s39, v5
	s_and_b32 s47, s8, exec_lo
.LBB1083_25:
	s_or_b32 exec_lo, exec_lo, s9
	v_add_nc_u32_e32 v5, s17, v15
	v_add_nc_u32_e32 v6, s19, v15
	s_mov_b32 s50, 0
	s_mov_b32 s49, 0
	s_mov_b32 s10, exec_lo
	v_mul_lo_u32 v5, v5, s16
	v_mul_lo_u32 v6, v6, s18
	s_delay_alu instid0(VALU_DEP_1) | instskip(NEXT) | instid1(VALU_DEP_1)
	v_sub_nc_u32_e32 v5, v5, v6
	v_cmp_lt_u32_e64 s8, s20, v5
	v_cmpx_ge_u32_e64 s20, v5
	s_cbranch_execz .LBB1083_27
; %bb.26:
	v_add_nc_u32_e32 v5, s22, v15
	v_add_nc_u32_e32 v6, s38, v15
	s_delay_alu instid0(VALU_DEP_2) | instskip(NEXT) | instid1(VALU_DEP_2)
	v_mul_lo_u32 v5, v5, s21
	v_mul_lo_u32 v6, v6, s23
	s_delay_alu instid0(VALU_DEP_1) | instskip(NEXT) | instid1(VALU_DEP_1)
	v_sub_nc_u32_e32 v5, v5, v6
	v_cmp_lt_u32_e64 s9, s39, v5
	s_and_b32 s49, s9, exec_lo
.LBB1083_27:
	s_or_b32 exec_lo, exec_lo, s10
	v_add_nc_u32_e32 v5, s17, v16
	v_add_nc_u32_e32 v6, s19, v16
	s_mov_b32 s11, exec_lo
	s_delay_alu instid0(VALU_DEP_2) | instskip(NEXT) | instid1(VALU_DEP_2)
	v_mul_lo_u32 v5, v5, s16
	v_mul_lo_u32 v6, v6, s18
	s_delay_alu instid0(VALU_DEP_1) | instskip(NEXT) | instid1(VALU_DEP_1)
	v_sub_nc_u32_e32 v5, v5, v6
	v_cmp_lt_u32_e64 s9, s20, v5
	v_cmpx_ge_u32_e64 s20, v5
	s_cbranch_execz .LBB1083_29
; %bb.28:
	v_add_nc_u32_e32 v5, s22, v16
	v_add_nc_u32_e32 v6, s38, v16
	s_delay_alu instid0(VALU_DEP_2) | instskip(NEXT) | instid1(VALU_DEP_2)
	v_mul_lo_u32 v5, v5, s21
	v_mul_lo_u32 v6, v6, s23
	s_delay_alu instid0(VALU_DEP_1) | instskip(NEXT) | instid1(VALU_DEP_1)
	v_sub_nc_u32_e32 v5, v5, v6
	v_cmp_lt_u32_e64 s10, s39, v5
	s_and_b32 s50, s10, exec_lo
.LBB1083_29:
	s_or_b32 exec_lo, exec_lo, s11
	v_add_nc_u32_e32 v5, s17, v13
	v_add_nc_u32_e32 v6, s19, v13
	s_mov_b32 s51, 0
	s_mov_b32 s52, 0
	s_mov_b32 s12, exec_lo
	v_mul_lo_u32 v5, v5, s16
	v_mul_lo_u32 v6, v6, s18
	s_delay_alu instid0(VALU_DEP_1) | instskip(NEXT) | instid1(VALU_DEP_1)
	v_sub_nc_u32_e32 v5, v5, v6
	v_cmp_lt_u32_e64 s10, s20, v5
	;; [unrolled: 47-line block ×3, first 2 shown]
	v_cmpx_ge_u32_e64 s20, v5
	s_cbranch_execz .LBB1083_35
; %bb.34:
	v_add_nc_u32_e32 v5, s22, v45
	v_add_nc_u32_e32 v6, s38, v45
	s_delay_alu instid0(VALU_DEP_2) | instskip(NEXT) | instid1(VALU_DEP_2)
	v_mul_lo_u32 v5, v5, s21
	v_mul_lo_u32 v6, v6, s23
	s_delay_alu instid0(VALU_DEP_1) | instskip(NEXT) | instid1(VALU_DEP_1)
	v_sub_nc_u32_e32 v5, v5, v6
	v_cmp_lt_u32_e64 s13, s39, v5
	s_and_b32 s53, s13, exec_lo
.LBB1083_35:
	s_or_b32 exec_lo, exec_lo, s54
	v_cndmask_b32_e64 v6, 0, 1, s0
	v_cndmask_b32_e64 v8, 0, 1, s3
	s_wait_alu 0xfffd
	v_cndmask_b32_e64 v5, 0, 1, vcc_lo
	v_cndmask_b32_e64 v7, 0, 1, s1
	v_cndmask_b32_e64 v10, 0, 1, s5
	v_lshlrev_b16 v6, 8, v6
	v_lshlrev_b16 v8, 8, v8
	s_wait_alu 0xf1ff
	v_cndmask_b32_e64 v12, 0, 1, s7
	v_cndmask_b32_e64 v26, 0, 1, s9
	;; [unrolled: 1-line block ×3, first 2 shown]
	v_or_b32_e32 v5, v5, v6
	v_or_b32_e32 v6, v7, v8
	v_cndmask_b32_e64 v56, 0, 1, s40
	v_cndmask_b32_e64 v9, 0, 1, s4
	;; [unrolled: 1-line block ×3, first 2 shown]
	v_and_b32_e32 v5, 0xffff, v5
	v_lshlrev_b32_e32 v6, 16, v6
	v_cndmask_b32_e64 v25, 0, 1, s8
	v_cndmask_b32_e64 v27, 0, 1, s10
	;; [unrolled: 1-line block ×8, first 2 shown]
	v_or_b32_e32 v47, v5, v6
	v_lshlrev_b16 v5, 8, v10
	v_lshlrev_b16 v6, 8, v12
	;; [unrolled: 1-line block ×5, first 2 shown]
	v_cndmask_b32_e64 v30, 0, 1, s50
	v_cndmask_b32_e64 v49, 0, 1, s47
	;; [unrolled: 1-line block ×5, first 2 shown]
	v_or_b32_e32 v5, v9, v5
	v_or_b32_e32 v6, v11, v6
	;; [unrolled: 1-line block ×5, first 2 shown]
	v_lshlrev_b16 v8, 8, v8
	v_lshlrev_b16 v12, 8, v54
	;; [unrolled: 1-line block ×5, first 2 shown]
	v_or_b32_e32 v8, v55, v8
	v_or_b32_e32 v7, v7, v12
	;; [unrolled: 1-line block ×5, first 2 shown]
	v_and_b32_e32 v5, 0xffff, v5
	v_lshlrev_b32_e32 v6, 16, v6
	v_and_b32_e32 v9, 0xffff, v9
	v_lshlrev_b32_e32 v10, 16, v10
	;; [unrolled: 2-line block ×5, first 2 shown]
	v_cndmask_b32_e64 v50, 0, 1, s51
	v_cndmask_b32_e64 v53, 0, 1, s53
	v_or_b32_e32 v49, v5, v6
	v_or_b32_e32 v52, v9, v10
	;; [unrolled: 1-line block ×5, first 2 shown]
	s_and_b32 vcc_lo, exec_lo, s48
	s_wait_alu 0xfffe
	s_cbranch_vccnz .LBB1083_37
	s_branch .LBB1083_114
.LBB1083_36:
                                        ; implicit-def: $vgpr53
                                        ; implicit-def: $vgpr50
                                        ; implicit-def: $vgpr51
                                        ; implicit-def: $vgpr48
                                        ; implicit-def: $vgpr54
                                        ; implicit-def: $vgpr52
                                        ; implicit-def: $vgpr49
                                        ; implicit-def: $vgpr47
	s_cbranch_execz .LBB1083_114
.LBB1083_37:
	v_dual_mov_b32 v6, 0 :: v_dual_mov_b32 v5, 0
	s_mov_b32 s1, exec_lo
	v_cmpx_gt_u32_e64 s27, v46
	s_cbranch_execz .LBB1083_41
; %bb.38:
	v_add_nc_u32_e32 v5, s17, v23
	v_add_nc_u32_e32 v6, s19, v23
	s_mov_b32 s4, 0
	s_mov_b32 s3, exec_lo
	s_delay_alu instid0(VALU_DEP_2) | instskip(NEXT) | instid1(VALU_DEP_2)
	v_mul_lo_u32 v5, v5, s16
	v_mul_lo_u32 v6, v6, s18
	s_delay_alu instid0(VALU_DEP_1) | instskip(NEXT) | instid1(VALU_DEP_1)
	v_sub_nc_u32_e32 v5, v5, v6
	v_cmp_lt_u32_e32 vcc_lo, s20, v5
	v_cmpx_ge_u32_e64 s20, v5
	s_cbranch_execz .LBB1083_40
; %bb.39:
	v_add_nc_u32_e32 v5, s22, v23
	v_add_nc_u32_e32 v6, s38, v23
	s_delay_alu instid0(VALU_DEP_2) | instskip(NEXT) | instid1(VALU_DEP_2)
	v_mul_lo_u32 v5, v5, s21
	v_mul_lo_u32 v6, v6, s23
	s_delay_alu instid0(VALU_DEP_1) | instskip(NEXT) | instid1(VALU_DEP_1)
	v_sub_nc_u32_e32 v5, v5, v6
	v_cmp_lt_u32_e64 s0, s39, v5
	s_and_b32 s4, s0, exec_lo
.LBB1083_40:
	s_wait_alu 0xfffe
	s_or_b32 exec_lo, exec_lo, s3
	v_cndmask_b32_e64 v6, 0, 1, s4
	s_wait_alu 0xfffd
	v_cndmask_b32_e64 v5, 0, 1, vcc_lo
.LBB1083_41:
	s_wait_alu 0xfffe
	s_or_b32 exec_lo, exec_lo, s1
	v_lshlrev_b16 v6, 8, v6
	v_add_nc_u32_e32 v7, 1, v46
	v_and_b32_e32 v10, 0xff, v5
	v_lshlrev_b16 v5, 8, 0
                                        ; implicit-def: $vgpr9
                                        ; implicit-def: $vgpr12
                                        ; implicit-def: $vgpr8
	s_delay_alu instid0(VALU_DEP_4) | instskip(NEXT) | instid1(VALU_DEP_4)
	v_and_b32_e32 v6, 0xffff, v6
	v_cmp_le_u32_e32 vcc_lo, s27, v7
                                        ; implicit-def: $vgpr7
	s_delay_alu instid0(VALU_DEP_2)
	v_lshrrev_b32_e32 v25, 8, v6
	v_and_b32_e32 v11, 0xff, v6
                                        ; implicit-def: $vgpr6
	s_and_saveexec_b32 s0, vcc_lo
	s_wait_alu 0xfffe
	s_xor_b32 s0, exec_lo, s0
	s_cbranch_execz .LBB1083_43
; %bb.42:
	v_lshlrev_b16 v6, 8, v25
	v_and_b32_e32 v8, 0xffff, v5
                                        ; implicit-def: $vgpr25
	v_mov_b32_e32 v9, 0
	s_delay_alu instid0(VALU_DEP_3) | instskip(SKIP_1) | instid1(VALU_DEP_2)
	v_or_b32_e32 v7, v11, v6
	v_mov_b32_e32 v6, 0
                                        ; implicit-def: $vgpr11
	v_and_b32_e32 v12, 0xffff, v7
	v_and_b32_e32 v7, 0xffff, v5
                                        ; implicit-def: $vgpr5
.LBB1083_43:
	s_wait_alu 0xfffe
	s_and_not1_saveexec_b32 s1, s0
	s_cbranch_execz .LBB1083_47
; %bb.44:
	v_add_nc_u32_e32 v6, s17, v24
	v_add_nc_u32_e32 v7, s19, v24
	s_mov_b32 s3, 0
	s_mov_b32 s4, exec_lo
	s_delay_alu instid0(VALU_DEP_2) | instskip(NEXT) | instid1(VALU_DEP_2)
	v_mul_lo_u32 v6, v6, s16
	v_mul_lo_u32 v7, v7, s18
	s_delay_alu instid0(VALU_DEP_1) | instskip(NEXT) | instid1(VALU_DEP_1)
	v_sub_nc_u32_e32 v6, v6, v7
	v_cmp_lt_u32_e32 vcc_lo, s20, v6
	v_cmpx_ge_u32_e64 s20, v6
	s_cbranch_execz .LBB1083_46
; %bb.45:
	v_add_nc_u32_e32 v6, s22, v24
	v_add_nc_u32_e32 v7, s38, v24
	s_delay_alu instid0(VALU_DEP_2) | instskip(NEXT) | instid1(VALU_DEP_2)
	v_mul_lo_u32 v6, v6, s21
	v_mul_lo_u32 v7, v7, s23
	s_delay_alu instid0(VALU_DEP_1) | instskip(NEXT) | instid1(VALU_DEP_1)
	v_sub_nc_u32_e32 v6, v6, v7
	v_cmp_lt_u32_e64 s0, s39, v6
	s_and_b32 s3, s0, exec_lo
.LBB1083_46:
	s_wait_alu 0xfffe
	s_or_b32 exec_lo, exec_lo, s4
	s_wait_alu 0xfffd
	v_cndmask_b32_e64 v6, 0, 1, vcc_lo
	v_lshlrev_b16 v7, 8, v25
	v_dual_mov_b32 v9, 0 :: v_dual_and_b32 v8, 0xffff, v5
	s_delay_alu instid0(VALU_DEP_3) | instskip(NEXT) | instid1(VALU_DEP_3)
	v_lshlrev_b16 v6, 8, v6
	v_or_b32_e32 v7, v11, v7
	v_cndmask_b32_e64 v11, 0, 1, s3
	s_delay_alu instid0(VALU_DEP_3) | instskip(NEXT) | instid1(VALU_DEP_3)
	v_or_b32_e32 v10, v10, v6
	v_dual_mov_b32 v6, 0 :: v_dual_and_b32 v7, 0xffff, v7
	s_delay_alu instid0(VALU_DEP_2) | instskip(NEXT) | instid1(VALU_DEP_2)
	v_and_b32_e32 v10, 0xffff, v10
	v_lshl_or_b32 v12, v11, 16, v7
	v_and_b32_e32 v7, 0xffff, v5
.LBB1083_47:
	s_wait_alu 0xfffe
	s_or_b32 exec_lo, exec_lo, s1
	v_add_nc_u32_e32 v5, 2, v46
	v_and_b32_e32 v25, 0xff, v10
	v_lshrrev_b32_e32 v26, 8, v10
                                        ; implicit-def: $vgpr11
	s_delay_alu instid0(VALU_DEP_3)
	v_cmp_le_u32_e32 vcc_lo, s27, v5
                                        ; implicit-def: $vgpr5
	s_and_saveexec_b32 s0, vcc_lo
	s_wait_alu 0xfffe
	s_xor_b32 s0, exec_lo, s0
	s_cbranch_execz .LBB1083_49
; %bb.48:
	v_lshlrev_b16 v5, 8, v26
	v_perm_b32 v8, v8, v8, 0x3060504
                                        ; implicit-def: $vgpr26
	s_delay_alu instid0(VALU_DEP_2) | instskip(SKIP_1) | instid1(VALU_DEP_2)
	v_or_b32_e32 v5, v25, v5
	v_and_b32_e32 v25, 0xff0000, v12
	v_and_b32_e32 v5, 0xffff, v5
	s_delay_alu instid0(VALU_DEP_1) | instskip(NEXT) | instid1(VALU_DEP_3)
	v_and_or_b32 v11, 0xff000000, v10, v5
	v_perm_b32 v5, v12, v25, 0x3020504
                                        ; implicit-def: $vgpr25
                                        ; implicit-def: $vgpr10
                                        ; implicit-def: $vgpr12
.LBB1083_49:
	s_wait_alu 0xfffe
	s_and_not1_saveexec_b32 s1, s0
	s_cbranch_execz .LBB1083_53
; %bb.50:
	v_add_nc_u32_e32 v5, s17, v21
	v_add_nc_u32_e32 v11, s19, v21
	s_mov_b32 s3, 0
	s_mov_b32 s4, exec_lo
	s_delay_alu instid0(VALU_DEP_2) | instskip(NEXT) | instid1(VALU_DEP_2)
	v_mul_lo_u32 v5, v5, s16
	v_mul_lo_u32 v11, v11, s18
	s_delay_alu instid0(VALU_DEP_1) | instskip(NEXT) | instid1(VALU_DEP_1)
	v_sub_nc_u32_e32 v5, v5, v11
	v_cmp_lt_u32_e32 vcc_lo, s20, v5
	v_cmpx_ge_u32_e64 s20, v5
	s_cbranch_execz .LBB1083_52
; %bb.51:
	v_add_nc_u32_e32 v5, s22, v21
	v_add_nc_u32_e32 v11, s38, v21
	s_delay_alu instid0(VALU_DEP_2) | instskip(NEXT) | instid1(VALU_DEP_2)
	v_mul_lo_u32 v5, v5, s21
	v_mul_lo_u32 v11, v11, s23
	s_delay_alu instid0(VALU_DEP_1) | instskip(NEXT) | instid1(VALU_DEP_1)
	v_sub_nc_u32_e32 v5, v5, v11
	v_cmp_lt_u32_e64 s0, s39, v5
	s_and_b32 s3, s0, exec_lo
.LBB1083_52:
	s_wait_alu 0xfffe
	s_or_b32 exec_lo, exec_lo, s4
	v_lshrrev_b32_e32 v10, 24, v10
	v_cndmask_b32_e64 v11, 0, 1, s3
	v_lshrrev_b32_e32 v27, 8, v12
	v_lshrrev_b32_e32 v28, 16, v12
	s_wait_alu 0xfffd
	v_cndmask_b32_e64 v5, 0, 1, vcc_lo
	v_lshlrev_b16 v26, 8, v26
	v_lshlrev_b16 v10, 8, v10
	v_and_b32_e32 v12, 0xff, v12
	v_lshlrev_b16 v27, 8, v27
	v_lshlrev_b16 v11, 8, v11
	v_and_b32_e32 v28, 0xff, v28
	v_or_b32_e32 v25, v25, v26
	v_or_b32_e32 v5, v5, v10
	;; [unrolled: 1-line block ×3, first 2 shown]
	s_delay_alu instid0(VALU_DEP_4) | instskip(NEXT) | instid1(VALU_DEP_4)
	v_or_b32_e32 v11, v28, v11
	v_and_b32_e32 v12, 0xffff, v25
	s_delay_alu instid0(VALU_DEP_4) | instskip(NEXT) | instid1(VALU_DEP_4)
	v_lshlrev_b32_e32 v5, 16, v5
	v_and_b32_e32 v10, 0xffff, v10
	s_delay_alu instid0(VALU_DEP_4) | instskip(NEXT) | instid1(VALU_DEP_3)
	v_lshlrev_b32_e32 v25, 16, v11
	v_or_b32_e32 v11, v12, v5
	s_delay_alu instid0(VALU_DEP_2)
	v_or_b32_e32 v5, v10, v25
.LBB1083_53:
	s_wait_alu 0xfffe
	s_or_b32 exec_lo, exec_lo, s1
	v_add_nc_u32_e32 v10, 3, v46
	v_lshrrev_b32_e32 v12, 24, v9
	v_lshrrev_b32_e32 v25, 16, v9
	;; [unrolled: 1-line block ×3, first 2 shown]
                                        ; implicit-def: $vgpr47
	s_delay_alu instid0(VALU_DEP_4)
	v_cmp_le_u32_e32 vcc_lo, s27, v10
                                        ; implicit-def: $vgpr10
	s_and_saveexec_b32 s0, vcc_lo
	s_wait_alu 0xfffe
	s_xor_b32 s0, exec_lo, s0
	s_cbranch_execz .LBB1083_55
; %bb.54:
	v_lshlrev_b16 v10, 8, v12
	v_and_b32_e32 v12, 0xff, v25
	v_lshlrev_b16 v9, 8, v9
	v_perm_b32 v8, v8, v8, 0x3060504
	v_perm_b32 v7, v7, v7, 0x3060504
                                        ; implicit-def: $vgpr25
	s_delay_alu instid0(VALU_DEP_4) | instskip(SKIP_2) | instid1(VALU_DEP_3)
	v_or_b32_e32 v10, v12, v10
	v_and_b32_e32 v12, 0xff0000, v11
	v_and_b32_e32 v9, 0xffff, v9
	v_lshlrev_b32_e32 v10, 16, v10
	s_delay_alu instid0(VALU_DEP_3) | instskip(NEXT) | instid1(VALU_DEP_2)
	v_perm_b32 v47, v11, v12, 0x3020504
                                        ; implicit-def: $vgpr11
                                        ; implicit-def: $vgpr12
	v_or_b32_e32 v10, v9, v10
                                        ; implicit-def: $vgpr9
.LBB1083_55:
	s_wait_alu 0xfffe
	s_and_not1_saveexec_b32 s1, s0
	s_cbranch_execz .LBB1083_59
; %bb.56:
	v_add_nc_u32_e32 v10, s17, v22
	v_add_nc_u32_e32 v26, s19, v22
	s_mov_b32 s3, 0
	s_mov_b32 s4, exec_lo
	s_delay_alu instid0(VALU_DEP_2) | instskip(NEXT) | instid1(VALU_DEP_2)
	v_mul_lo_u32 v10, v10, s16
	v_mul_lo_u32 v26, v26, s18
	s_delay_alu instid0(VALU_DEP_1) | instskip(NEXT) | instid1(VALU_DEP_1)
	v_sub_nc_u32_e32 v10, v10, v26
	v_cmp_lt_u32_e32 vcc_lo, s20, v10
	v_cmpx_ge_u32_e64 s20, v10
	s_cbranch_execz .LBB1083_58
; %bb.57:
	v_add_nc_u32_e32 v10, s22, v22
	v_add_nc_u32_e32 v26, s38, v22
	s_delay_alu instid0(VALU_DEP_2) | instskip(NEXT) | instid1(VALU_DEP_2)
	v_mul_lo_u32 v10, v10, s21
	v_mul_lo_u32 v26, v26, s23
	s_delay_alu instid0(VALU_DEP_1) | instskip(NEXT) | instid1(VALU_DEP_1)
	v_sub_nc_u32_e32 v10, v10, v26
	v_cmp_lt_u32_e64 s0, s39, v10
	s_and_b32 s3, s0, exec_lo
.LBB1083_58:
	s_wait_alu 0xfffe
	s_or_b32 exec_lo, exec_lo, s4
	v_lshrrev_b32_e32 v10, 8, v11
	s_wait_alu 0xfffd
	v_cndmask_b32_e64 v26, 0, 1, vcc_lo
	v_lshrrev_b32_e32 v27, 16, v11
	v_cndmask_b32_e64 v28, 0, 1, s3
	v_and_b32_e32 v11, 0xff, v11
	v_lshlrev_b16 v10, 8, v10
	v_lshlrev_b16 v26, 8, v26
	v_and_b32_e32 v27, 0xff, v27
	v_lshlrev_b16 v12, 8, v12
	v_and_b32_e32 v25, 0xff, v25
	v_lshlrev_b16 v9, 8, v9
	v_or_b32_e32 v10, v11, v10
	v_or_b32_e32 v11, v27, v26
	s_delay_alu instid0(VALU_DEP_4) | instskip(NEXT) | instid1(VALU_DEP_4)
	v_or_b32_e32 v12, v25, v12
	v_or_b32_e32 v9, v28, v9
	s_delay_alu instid0(VALU_DEP_4) | instskip(NEXT) | instid1(VALU_DEP_4)
	v_and_b32_e32 v10, 0xffff, v10
	v_lshlrev_b32_e32 v11, 16, v11
	s_delay_alu instid0(VALU_DEP_4) | instskip(NEXT) | instid1(VALU_DEP_4)
	v_lshlrev_b32_e32 v12, 16, v12
	v_and_b32_e32 v9, 0xffff, v9
	s_delay_alu instid0(VALU_DEP_3) | instskip(NEXT) | instid1(VALU_DEP_2)
	v_or_b32_e32 v47, v10, v11
	v_or_b32_e32 v10, v9, v12
.LBB1083_59:
	s_wait_alu 0xfffe
	s_or_b32 exec_lo, exec_lo, s1
	v_add_nc_u32_e32 v9, 4, v46
	v_lshrrev_b32_e32 v25, 8, v8
	v_lshrrev_b32_e32 v26, 16, v8
	;; [unrolled: 1-line block ×4, first 2 shown]
	v_cmp_le_u32_e32 vcc_lo, s27, v9
	v_lshrrev_b32_e32 v12, 16, v10
                                        ; implicit-def: $vgpr8
                                        ; implicit-def: $vgpr9
	s_and_saveexec_b32 s0, vcc_lo
	s_wait_alu 0xfffe
	s_xor_b32 s0, exec_lo, s0
	s_cbranch_execz .LBB1083_61
; %bb.60:
	v_lshlrev_b16 v8, 8, v27
	v_and_b32_e32 v9, 0xff, v26
	v_lshlrev_b16 v25, 8, v25
	v_lshlrev_b16 v11, 8, v11
	v_and_b32_e32 v12, 0xff, v12
	v_perm_b32 v7, v7, v7, 0x3060504
	v_or_b32_e32 v8, v9, v8
	v_and_b32_e32 v9, 0xffff, v25
                                        ; implicit-def: $vgpr25
                                        ; implicit-def: $vgpr26
                                        ; implicit-def: $vgpr27
	s_delay_alu instid0(VALU_DEP_4) | instskip(NEXT) | instid1(VALU_DEP_3)
	v_or_b32_e32 v11, v12, v11
	v_lshlrev_b32_e32 v12, 16, v8
	s_delay_alu instid0(VALU_DEP_2) | instskip(NEXT) | instid1(VALU_DEP_2)
	v_perm_b32 v8, v11, v10, 0x5040c00
                                        ; implicit-def: $vgpr10
                                        ; implicit-def: $vgpr11
	v_or_b32_e32 v9, v9, v12
                                        ; implicit-def: $vgpr12
.LBB1083_61:
	s_wait_alu 0xfffe
	s_and_not1_saveexec_b32 s1, s0
	s_cbranch_execz .LBB1083_65
; %bb.62:
	v_add_nc_u32_e32 v8, s17, v19
	v_add_nc_u32_e32 v9, s19, v19
	s_mov_b32 s3, 0
	s_mov_b32 s4, exec_lo
	s_delay_alu instid0(VALU_DEP_2) | instskip(NEXT) | instid1(VALU_DEP_2)
	v_mul_lo_u32 v8, v8, s16
	v_mul_lo_u32 v9, v9, s18
	s_delay_alu instid0(VALU_DEP_1) | instskip(NEXT) | instid1(VALU_DEP_1)
	v_sub_nc_u32_e32 v8, v8, v9
	v_cmp_lt_u32_e32 vcc_lo, s20, v8
	v_cmpx_ge_u32_e64 s20, v8
	s_cbranch_execz .LBB1083_64
; %bb.63:
	v_add_nc_u32_e32 v8, s22, v19
	v_add_nc_u32_e32 v9, s38, v19
	s_delay_alu instid0(VALU_DEP_2) | instskip(NEXT) | instid1(VALU_DEP_2)
	v_mul_lo_u32 v8, v8, s21
	v_mul_lo_u32 v9, v9, s23
	s_delay_alu instid0(VALU_DEP_1) | instskip(NEXT) | instid1(VALU_DEP_1)
	v_sub_nc_u32_e32 v8, v8, v9
	v_cmp_lt_u32_e64 s0, s39, v8
	s_and_b32 s3, s0, exec_lo
.LBB1083_64:
	s_wait_alu 0xfffe
	s_or_b32 exec_lo, exec_lo, s4
	v_cndmask_b32_e64 v8, 0, 1, s3
	s_wait_alu 0xfffd
	v_cndmask_b32_e64 v9, 0, 1, vcc_lo
	v_lshlrev_b16 v27, 8, v27
	v_and_b32_e32 v26, 0xff, v26
	v_lshlrev_b16 v25, 8, v25
	v_lshlrev_b16 v8, 8, v8
	v_and_b32_e32 v10, 0xff, v10
	v_lshlrev_b16 v11, 8, v11
	v_and_b32_e32 v12, 0xff, v12
	v_or_b32_e32 v26, v26, v27
	v_or_b32_e32 v9, v9, v25
	;; [unrolled: 1-line block ×3, first 2 shown]
	s_delay_alu instid0(VALU_DEP_4) | instskip(NEXT) | instid1(VALU_DEP_4)
	v_or_b32_e32 v10, v12, v11
	v_lshlrev_b32_e32 v11, 16, v26
	s_delay_alu instid0(VALU_DEP_4) | instskip(NEXT) | instid1(VALU_DEP_4)
	v_and_b32_e32 v9, 0xffff, v9
	v_and_b32_e32 v8, 0xffff, v8
	s_delay_alu instid0(VALU_DEP_4) | instskip(NEXT) | instid1(VALU_DEP_3)
	v_lshlrev_b32_e32 v10, 16, v10
	v_or_b32_e32 v9, v9, v11
	s_delay_alu instid0(VALU_DEP_2)
	v_or_b32_e32 v8, v8, v10
.LBB1083_65:
	s_wait_alu 0xfffe
	s_or_b32 exec_lo, exec_lo, s1
	v_add_nc_u32_e32 v10, 5, v46
	v_lshrrev_b32_e32 v25, 16, v9
	v_lshrrev_b32_e32 v27, 24, v9
	v_and_b32_e32 v12, 0xff, v8
	v_lshrrev_b32_e32 v26, 8, v8
	v_cmp_le_u32_e32 vcc_lo, s27, v10
                                        ; implicit-def: $vgpr10
                                        ; implicit-def: $vgpr11
	s_and_saveexec_b32 s0, vcc_lo
	s_wait_alu 0xfffe
	s_xor_b32 s0, exec_lo, s0
	s_cbranch_execz .LBB1083_67
; %bb.66:
	v_lshlrev_b16 v10, 8, v26
	v_lshlrev_b16 v11, 8, v27
	v_and_b32_e32 v25, 0xff, v25
	v_perm_b32 v7, v7, v7, 0x3060504
                                        ; implicit-def: $vgpr27
                                        ; implicit-def: $vgpr26
	s_delay_alu instid0(VALU_DEP_4) | instskip(NEXT) | instid1(VALU_DEP_3)
	v_or_b32_e32 v10, v12, v10
                                        ; implicit-def: $vgpr12
	v_or_b32_e32 v11, v25, v11
                                        ; implicit-def: $vgpr25
	s_delay_alu instid0(VALU_DEP_2) | instskip(NEXT) | instid1(VALU_DEP_2)
	v_and_b32_e32 v10, 0xffff, v10
	v_perm_b32 v11, v11, v9, 0x5040c00
                                        ; implicit-def: $vgpr9
	s_delay_alu instid0(VALU_DEP_2)
	v_and_or_b32 v10, 0xff000000, v8, v10
                                        ; implicit-def: $vgpr8
.LBB1083_67:
	s_wait_alu 0xfffe
	s_and_not1_saveexec_b32 s1, s0
	s_cbranch_execz .LBB1083_71
; %bb.68:
	v_add_nc_u32_e32 v10, s17, v20
	v_add_nc_u32_e32 v11, s19, v20
	s_mov_b32 s3, 0
	s_mov_b32 s4, exec_lo
	s_delay_alu instid0(VALU_DEP_2) | instskip(NEXT) | instid1(VALU_DEP_2)
	v_mul_lo_u32 v10, v10, s16
	v_mul_lo_u32 v11, v11, s18
	s_delay_alu instid0(VALU_DEP_1) | instskip(NEXT) | instid1(VALU_DEP_1)
	v_sub_nc_u32_e32 v10, v10, v11
	v_cmp_lt_u32_e32 vcc_lo, s20, v10
	v_cmpx_ge_u32_e64 s20, v10
	s_cbranch_execz .LBB1083_70
; %bb.69:
	v_add_nc_u32_e32 v10, s22, v20
	v_add_nc_u32_e32 v11, s38, v20
	s_delay_alu instid0(VALU_DEP_2) | instskip(NEXT) | instid1(VALU_DEP_2)
	v_mul_lo_u32 v10, v10, s21
	v_mul_lo_u32 v11, v11, s23
	s_delay_alu instid0(VALU_DEP_1) | instskip(NEXT) | instid1(VALU_DEP_1)
	v_sub_nc_u32_e32 v10, v10, v11
	v_cmp_lt_u32_e64 s0, s39, v10
	s_and_b32 s3, s0, exec_lo
.LBB1083_70:
	s_wait_alu 0xfffe
	s_or_b32 exec_lo, exec_lo, s4
	s_wait_alu 0xfffd
	v_cndmask_b32_e64 v10, 0, 1, vcc_lo
	v_lshrrev_b32_e32 v8, 24, v8
	v_cndmask_b32_e64 v11, 0, 1, s3
	v_lshlrev_b16 v27, 8, v27
	v_and_b32_e32 v25, 0xff, v25
	v_lshlrev_b16 v10, 8, v10
	v_lshlrev_b16 v26, 8, v26
	v_and_b32_e32 v9, 0xff, v9
	v_lshlrev_b16 v8, 8, v8
	v_or_b32_e32 v25, v25, v27
	s_delay_alu instid0(VALU_DEP_4) | instskip(NEXT) | instid1(VALU_DEP_4)
	v_or_b32_e32 v12, v12, v26
	v_or_b32_e32 v9, v9, v10
	s_delay_alu instid0(VALU_DEP_4) | instskip(NEXT) | instid1(VALU_DEP_4)
	v_or_b32_e32 v8, v11, v8
	v_lshlrev_b32_e32 v10, 16, v25
	s_delay_alu instid0(VALU_DEP_4) | instskip(NEXT) | instid1(VALU_DEP_4)
	v_and_b32_e32 v12, 0xffff, v12
	v_and_b32_e32 v9, 0xffff, v9
	s_delay_alu instid0(VALU_DEP_4) | instskip(NEXT) | instid1(VALU_DEP_2)
	v_lshlrev_b32_e32 v8, 16, v8
	v_or_b32_e32 v11, v9, v10
	s_delay_alu instid0(VALU_DEP_2)
	v_or_b32_e32 v10, v12, v8
.LBB1083_71:
	s_wait_alu 0xfffe
	s_or_b32 exec_lo, exec_lo, s1
	v_add_nc_u32_e32 v8, 6, v46
	v_lshrrev_b32_e32 v12, 8, v11
                                        ; implicit-def: $vgpr48
                                        ; implicit-def: $vgpr9
	s_delay_alu instid0(VALU_DEP_2)
	v_cmp_le_u32_e32 vcc_lo, s27, v8
	v_and_b32_e32 v8, 0xff, v11
	s_and_saveexec_b32 s0, vcc_lo
	s_wait_alu 0xfffe
	s_xor_b32 s0, exec_lo, s0
	s_cbranch_execz .LBB1083_73
; %bb.72:
	v_lshlrev_b16 v9, 8, v12
	v_perm_b32 v7, v7, v7, 0x3060504
                                        ; implicit-def: $vgpr12
	s_delay_alu instid0(VALU_DEP_2) | instskip(SKIP_1) | instid1(VALU_DEP_2)
	v_or_b32_e32 v8, v8, v9
	v_and_b32_e32 v9, 0xff0000, v10
	v_and_b32_e32 v8, 0xffff, v8
	s_delay_alu instid0(VALU_DEP_2) | instskip(NEXT) | instid1(VALU_DEP_2)
	v_perm_b32 v48, v10, v9, 0x3020504
                                        ; implicit-def: $vgpr10
	v_and_or_b32 v9, 0xff000000, v11, v8
                                        ; implicit-def: $vgpr8
                                        ; implicit-def: $vgpr11
.LBB1083_73:
	s_wait_alu 0xfffe
	s_and_not1_saveexec_b32 s1, s0
	s_cbranch_execz .LBB1083_77
; %bb.74:
	v_add_nc_u32_e32 v9, s17, v17
	v_add_nc_u32_e32 v25, s19, v17
	s_mov_b32 s3, 0
	s_mov_b32 s4, exec_lo
	s_delay_alu instid0(VALU_DEP_2) | instskip(NEXT) | instid1(VALU_DEP_2)
	v_mul_lo_u32 v9, v9, s16
	v_mul_lo_u32 v25, v25, s18
	s_delay_alu instid0(VALU_DEP_1) | instskip(NEXT) | instid1(VALU_DEP_1)
	v_sub_nc_u32_e32 v9, v9, v25
	v_cmp_lt_u32_e32 vcc_lo, s20, v9
	v_cmpx_ge_u32_e64 s20, v9
	s_cbranch_execz .LBB1083_76
; %bb.75:
	v_add_nc_u32_e32 v9, s22, v17
	v_add_nc_u32_e32 v25, s38, v17
	s_delay_alu instid0(VALU_DEP_2) | instskip(NEXT) | instid1(VALU_DEP_2)
	v_mul_lo_u32 v9, v9, s21
	v_mul_lo_u32 v25, v25, s23
	s_delay_alu instid0(VALU_DEP_1) | instskip(NEXT) | instid1(VALU_DEP_1)
	v_sub_nc_u32_e32 v9, v9, v25
	v_cmp_lt_u32_e64 s0, s39, v9
	s_and_b32 s3, s0, exec_lo
.LBB1083_76:
	s_wait_alu 0xfffe
	s_or_b32 exec_lo, exec_lo, s4
	v_lshrrev_b32_e32 v11, 24, v11
	v_cndmask_b32_e64 v25, 0, 1, s3
	v_lshrrev_b32_e32 v26, 8, v10
	v_lshrrev_b32_e32 v27, 16, v10
	s_wait_alu 0xfffd
	v_cndmask_b32_e64 v9, 0, 1, vcc_lo
	v_lshlrev_b16 v12, 8, v12
	v_lshlrev_b16 v11, 8, v11
	v_and_b32_e32 v10, 0xff, v10
	v_lshlrev_b16 v26, 8, v26
	v_lshlrev_b16 v25, 8, v25
	v_and_b32_e32 v27, 0xff, v27
	v_or_b32_e32 v8, v8, v12
	v_or_b32_e32 v9, v9, v11
	;; [unrolled: 1-line block ×3, first 2 shown]
	s_delay_alu instid0(VALU_DEP_4) | instskip(NEXT) | instid1(VALU_DEP_4)
	v_or_b32_e32 v11, v27, v25
	v_and_b32_e32 v8, 0xffff, v8
	s_delay_alu instid0(VALU_DEP_4) | instskip(NEXT) | instid1(VALU_DEP_4)
	v_lshlrev_b32_e32 v9, 16, v9
	v_and_b32_e32 v10, 0xffff, v10
	s_delay_alu instid0(VALU_DEP_4) | instskip(NEXT) | instid1(VALU_DEP_3)
	v_lshlrev_b32_e32 v11, 16, v11
	v_or_b32_e32 v9, v8, v9
	s_delay_alu instid0(VALU_DEP_2)
	v_or_b32_e32 v48, v10, v11
.LBB1083_77:
	s_wait_alu 0xfffe
	s_or_b32 exec_lo, exec_lo, s1
	v_add_nc_u32_e32 v8, 7, v46
	v_lshrrev_b32_e32 v10, 8, v7
	v_lshrrev_b32_e32 v11, 16, v7
	;; [unrolled: 1-line block ×3, first 2 shown]
                                        ; implicit-def: $vgpr49
	s_delay_alu instid0(VALU_DEP_4)
	v_cmp_le_u32_e32 vcc_lo, s27, v8
                                        ; implicit-def: $vgpr8
	s_and_saveexec_b32 s0, vcc_lo
	s_wait_alu 0xfffe
	s_xor_b32 s0, exec_lo, s0
	s_cbranch_execz .LBB1083_79
; %bb.78:
	v_lshlrev_b16 v7, 8, v7
	v_and_b32_e32 v8, 0xff, v11
                                        ; implicit-def: $vgpr11
	s_delay_alu instid0(VALU_DEP_1) | instskip(SKIP_2) | instid1(VALU_DEP_3)
	v_or_b32_e32 v7, v8, v7
	v_lshlrev_b16 v8, 8, v10
	v_and_b32_e32 v10, 0xff0000, v9
	v_lshlrev_b32_e32 v7, 16, v7
	s_delay_alu instid0(VALU_DEP_3) | instskip(NEXT) | instid1(VALU_DEP_3)
	v_and_b32_e32 v8, 0xffff, v8
	v_perm_b32 v49, v9, v10, 0x3020504
                                        ; implicit-def: $vgpr9
                                        ; implicit-def: $vgpr10
	s_delay_alu instid0(VALU_DEP_2)
	v_or_b32_e32 v8, v8, v7
                                        ; implicit-def: $vgpr7
.LBB1083_79:
	s_wait_alu 0xfffe
	s_and_not1_saveexec_b32 s1, s0
	s_cbranch_execz .LBB1083_83
; %bb.80:
	v_add_nc_u32_e32 v8, s17, v18
	v_add_nc_u32_e32 v12, s19, v18
	s_mov_b32 s3, 0
	s_mov_b32 s4, exec_lo
	s_delay_alu instid0(VALU_DEP_2) | instskip(NEXT) | instid1(VALU_DEP_2)
	v_mul_lo_u32 v8, v8, s16
	v_mul_lo_u32 v12, v12, s18
	s_delay_alu instid0(VALU_DEP_1) | instskip(NEXT) | instid1(VALU_DEP_1)
	v_sub_nc_u32_e32 v8, v8, v12
	v_cmp_lt_u32_e32 vcc_lo, s20, v8
	v_cmpx_ge_u32_e64 s20, v8
	s_cbranch_execz .LBB1083_82
; %bb.81:
	v_add_nc_u32_e32 v8, s22, v18
	v_add_nc_u32_e32 v12, s38, v18
	s_delay_alu instid0(VALU_DEP_2) | instskip(NEXT) | instid1(VALU_DEP_2)
	v_mul_lo_u32 v8, v8, s21
	v_mul_lo_u32 v12, v12, s23
	s_delay_alu instid0(VALU_DEP_1) | instskip(NEXT) | instid1(VALU_DEP_1)
	v_sub_nc_u32_e32 v8, v8, v12
	v_cmp_lt_u32_e64 s0, s39, v8
	s_and_b32 s3, s0, exec_lo
.LBB1083_82:
	s_wait_alu 0xfffe
	s_or_b32 exec_lo, exec_lo, s4
	v_lshrrev_b32_e32 v8, 8, v9
	s_wait_alu 0xfffd
	v_cndmask_b32_e64 v12, 0, 1, vcc_lo
	v_lshrrev_b32_e32 v25, 16, v9
	v_cndmask_b32_e64 v26, 0, 1, s3
	v_and_b32_e32 v9, 0xff, v9
	v_lshlrev_b16 v8, 8, v8
	v_lshlrev_b16 v12, 8, v12
	v_and_b32_e32 v25, 0xff, v25
	v_lshlrev_b16 v7, 8, v7
	v_and_b32_e32 v11, 0xff, v11
	v_lshlrev_b16 v10, 8, v10
	v_or_b32_e32 v8, v9, v8
	v_or_b32_e32 v9, v25, v12
	s_delay_alu instid0(VALU_DEP_4) | instskip(NEXT) | instid1(VALU_DEP_4)
	v_or_b32_e32 v7, v11, v7
	v_or_b32_e32 v10, v26, v10
	s_delay_alu instid0(VALU_DEP_4) | instskip(NEXT) | instid1(VALU_DEP_4)
	v_and_b32_e32 v8, 0xffff, v8
	v_lshlrev_b32_e32 v9, 16, v9
	s_delay_alu instid0(VALU_DEP_4) | instskip(NEXT) | instid1(VALU_DEP_4)
	v_lshlrev_b32_e32 v7, 16, v7
	v_and_b32_e32 v10, 0xffff, v10
	s_delay_alu instid0(VALU_DEP_3) | instskip(NEXT) | instid1(VALU_DEP_2)
	v_or_b32_e32 v49, v8, v9
	v_or_b32_e32 v8, v10, v7
.LBB1083_83:
	s_wait_alu 0xfffe
	s_or_b32 exec_lo, exec_lo, s1
	v_add_nc_u32_e32 v7, 8, v46
	s_delay_alu instid0(VALU_DEP_2)
	v_lshrrev_b32_e32 v9, 16, v8
	v_lshrrev_b32_e32 v10, 24, v8
	;; [unrolled: 1-line block ×4, first 2 shown]
	v_cmp_le_u32_e32 vcc_lo, s27, v7
	v_lshrrev_b32_e32 v11, 8, v6
                                        ; implicit-def: $vgpr6
                                        ; implicit-def: $vgpr7
	s_and_saveexec_b32 s0, vcc_lo
	s_wait_alu 0xfffe
	s_xor_b32 s0, exec_lo, s0
	s_cbranch_execz .LBB1083_85
; %bb.84:
	v_lshlrev_b16 v6, 8, v12
	v_and_b32_e32 v7, 0xff, v25
	v_lshlrev_b16 v11, 8, v11
	v_lshlrev_b16 v10, 8, v10
	v_perm_b32 v5, v5, v5, 0x3060504
                                        ; implicit-def: $vgpr12
                                        ; implicit-def: $vgpr25
	s_delay_alu instid0(VALU_DEP_4) | instskip(SKIP_2) | instid1(VALU_DEP_3)
	v_or_b32_e32 v6, v7, v6
	v_and_b32_e32 v7, 0xff, v9
	v_and_b32_e32 v9, 0xffff, v11
                                        ; implicit-def: $vgpr11
	v_lshlrev_b32_e32 v6, 16, v6
	s_delay_alu instid0(VALU_DEP_3) | instskip(NEXT) | instid1(VALU_DEP_2)
	v_or_b32_e32 v10, v7, v10
	v_or_b32_e32 v7, v9, v6
	s_delay_alu instid0(VALU_DEP_2)
	v_perm_b32 v6, v10, v8, 0x5040c00
                                        ; implicit-def: $vgpr8
                                        ; implicit-def: $vgpr9
                                        ; implicit-def: $vgpr10
.LBB1083_85:
	s_wait_alu 0xfffe
	s_and_not1_saveexec_b32 s1, s0
	s_cbranch_execz .LBB1083_89
; %bb.86:
	v_add_nc_u32_e32 v6, s17, v15
	v_add_nc_u32_e32 v7, s19, v15
	s_mov_b32 s3, 0
	s_mov_b32 s4, exec_lo
	s_delay_alu instid0(VALU_DEP_2) | instskip(NEXT) | instid1(VALU_DEP_2)
	v_mul_lo_u32 v6, v6, s16
	v_mul_lo_u32 v7, v7, s18
	s_delay_alu instid0(VALU_DEP_1) | instskip(NEXT) | instid1(VALU_DEP_1)
	v_sub_nc_u32_e32 v6, v6, v7
	v_cmp_lt_u32_e32 vcc_lo, s20, v6
	v_cmpx_ge_u32_e64 s20, v6
	s_cbranch_execz .LBB1083_88
; %bb.87:
	v_add_nc_u32_e32 v6, s22, v15
	v_add_nc_u32_e32 v7, s38, v15
	s_delay_alu instid0(VALU_DEP_2) | instskip(NEXT) | instid1(VALU_DEP_2)
	v_mul_lo_u32 v6, v6, s21
	v_mul_lo_u32 v7, v7, s23
	s_delay_alu instid0(VALU_DEP_1) | instskip(NEXT) | instid1(VALU_DEP_1)
	v_sub_nc_u32_e32 v6, v6, v7
	v_cmp_lt_u32_e64 s0, s39, v6
	s_and_b32 s3, s0, exec_lo
.LBB1083_88:
	s_wait_alu 0xfffe
	s_or_b32 exec_lo, exec_lo, s4
	v_cndmask_b32_e64 v6, 0, 1, s3
	s_wait_alu 0xfffd
	v_cndmask_b32_e64 v7, 0, 1, vcc_lo
	v_lshlrev_b16 v12, 8, v12
	v_and_b32_e32 v25, 0xff, v25
	v_lshlrev_b16 v11, 8, v11
	v_lshlrev_b16 v6, 8, v6
	v_and_b32_e32 v8, 0xff, v8
	v_lshlrev_b16 v10, 8, v10
	v_and_b32_e32 v9, 0xff, v9
	v_or_b32_e32 v12, v25, v12
	v_or_b32_e32 v7, v7, v11
	v_or_b32_e32 v6, v8, v6
	s_delay_alu instid0(VALU_DEP_4) | instskip(NEXT) | instid1(VALU_DEP_4)
	v_or_b32_e32 v8, v9, v10
	v_lshlrev_b32_e32 v9, 16, v12
	s_delay_alu instid0(VALU_DEP_4) | instskip(NEXT) | instid1(VALU_DEP_4)
	v_and_b32_e32 v7, 0xffff, v7
	v_and_b32_e32 v6, 0xffff, v6
	s_delay_alu instid0(VALU_DEP_4) | instskip(NEXT) | instid1(VALU_DEP_3)
	v_lshlrev_b32_e32 v8, 16, v8
	v_or_b32_e32 v7, v7, v9
	s_delay_alu instid0(VALU_DEP_2)
	v_or_b32_e32 v6, v6, v8
.LBB1083_89:
	s_wait_alu 0xfffe
	s_or_b32 exec_lo, exec_lo, s1
	v_add_nc_u32_e32 v8, 9, v46
	s_delay_alu instid0(VALU_DEP_2)
	v_lshrrev_b32_e32 v10, 8, v6
	v_lshrrev_b32_e32 v25, 24, v7
	;; [unrolled: 1-line block ×3, first 2 shown]
	v_and_b32_e32 v11, 0xff, v6
	v_cmp_le_u32_e32 vcc_lo, s27, v8
                                        ; implicit-def: $vgpr8
                                        ; implicit-def: $vgpr9
	s_and_saveexec_b32 s0, vcc_lo
	s_wait_alu 0xfffe
	s_xor_b32 s0, exec_lo, s0
	s_cbranch_execz .LBB1083_91
; %bb.90:
	v_lshlrev_b16 v8, 8, v10
	v_lshlrev_b16 v9, 8, v25
	v_and_b32_e32 v10, 0xff, v12
	v_perm_b32 v5, v5, v5, 0x3060504
                                        ; implicit-def: $vgpr25
                                        ; implicit-def: $vgpr12
	s_delay_alu instid0(VALU_DEP_4) | instskip(NEXT) | instid1(VALU_DEP_3)
	v_or_b32_e32 v8, v11, v8
                                        ; implicit-def: $vgpr11
	v_or_b32_e32 v9, v10, v9
                                        ; implicit-def: $vgpr10
	s_delay_alu instid0(VALU_DEP_2) | instskip(NEXT) | instid1(VALU_DEP_2)
	v_and_b32_e32 v8, 0xffff, v8
	v_perm_b32 v9, v9, v7, 0x5040c00
                                        ; implicit-def: $vgpr7
	s_delay_alu instid0(VALU_DEP_2)
	v_and_or_b32 v8, 0xff000000, v6, v8
                                        ; implicit-def: $vgpr6
.LBB1083_91:
	s_wait_alu 0xfffe
	s_and_not1_saveexec_b32 s1, s0
	s_cbranch_execz .LBB1083_95
; %bb.92:
	v_add_nc_u32_e32 v8, s17, v16
	v_add_nc_u32_e32 v9, s19, v16
	s_mov_b32 s3, 0
	s_mov_b32 s4, exec_lo
	s_delay_alu instid0(VALU_DEP_2) | instskip(NEXT) | instid1(VALU_DEP_2)
	v_mul_lo_u32 v8, v8, s16
	v_mul_lo_u32 v9, v9, s18
	s_delay_alu instid0(VALU_DEP_1) | instskip(NEXT) | instid1(VALU_DEP_1)
	v_sub_nc_u32_e32 v8, v8, v9
	v_cmp_lt_u32_e32 vcc_lo, s20, v8
	v_cmpx_ge_u32_e64 s20, v8
	s_cbranch_execz .LBB1083_94
; %bb.93:
	v_add_nc_u32_e32 v8, s22, v16
	v_add_nc_u32_e32 v9, s38, v16
	s_delay_alu instid0(VALU_DEP_2) | instskip(NEXT) | instid1(VALU_DEP_2)
	v_mul_lo_u32 v8, v8, s21
	v_mul_lo_u32 v9, v9, s23
	s_delay_alu instid0(VALU_DEP_1) | instskip(NEXT) | instid1(VALU_DEP_1)
	v_sub_nc_u32_e32 v8, v8, v9
	v_cmp_lt_u32_e64 s0, s39, v8
	s_and_b32 s3, s0, exec_lo
.LBB1083_94:
	s_wait_alu 0xfffe
	s_or_b32 exec_lo, exec_lo, s4
	s_wait_alu 0xfffd
	v_cndmask_b32_e64 v8, 0, 1, vcc_lo
	v_lshrrev_b32_e32 v6, 24, v6
	v_cndmask_b32_e64 v9, 0, 1, s3
	v_lshlrev_b16 v25, 8, v25
	v_and_b32_e32 v12, 0xff, v12
	v_lshlrev_b16 v8, 8, v8
	v_lshlrev_b16 v10, 8, v10
	v_and_b32_e32 v7, 0xff, v7
	v_lshlrev_b16 v6, 8, v6
	v_or_b32_e32 v12, v12, v25
	s_delay_alu instid0(VALU_DEP_4) | instskip(NEXT) | instid1(VALU_DEP_4)
	v_or_b32_e32 v10, v11, v10
	v_or_b32_e32 v7, v7, v8
	s_delay_alu instid0(VALU_DEP_4) | instskip(NEXT) | instid1(VALU_DEP_4)
	v_or_b32_e32 v6, v9, v6
	v_lshlrev_b32_e32 v8, 16, v12
	s_delay_alu instid0(VALU_DEP_4) | instskip(NEXT) | instid1(VALU_DEP_4)
	v_and_b32_e32 v10, 0xffff, v10
	v_and_b32_e32 v7, 0xffff, v7
	s_delay_alu instid0(VALU_DEP_4) | instskip(NEXT) | instid1(VALU_DEP_2)
	v_lshlrev_b32_e32 v6, 16, v6
	v_or_b32_e32 v9, v7, v8
	s_delay_alu instid0(VALU_DEP_2)
	v_or_b32_e32 v8, v10, v6
.LBB1083_95:
	s_wait_alu 0xfffe
	s_or_b32 exec_lo, exec_lo, s1
	v_add_nc_u32_e32 v6, 10, v46
	v_and_b32_e32 v7, 0xff, v9
	v_lshrrev_b32_e32 v10, 8, v9
                                        ; implicit-def: $vgpr51
	s_delay_alu instid0(VALU_DEP_3)
	v_cmp_le_u32_e32 vcc_lo, s27, v6
                                        ; implicit-def: $vgpr6
	s_and_saveexec_b32 s0, vcc_lo
	s_wait_alu 0xfffe
	s_xor_b32 s0, exec_lo, s0
	s_cbranch_execz .LBB1083_97
; %bb.96:
	v_lshlrev_b16 v6, 8, v10
	v_perm_b32 v5, v5, v5, 0x3060504
                                        ; implicit-def: $vgpr10
	s_delay_alu instid0(VALU_DEP_2) | instskip(SKIP_1) | instid1(VALU_DEP_2)
	v_or_b32_e32 v6, v7, v6
	v_and_b32_e32 v7, 0xff0000, v8
	v_and_b32_e32 v6, 0xffff, v6
	s_delay_alu instid0(VALU_DEP_2) | instskip(NEXT) | instid1(VALU_DEP_2)
	v_perm_b32 v51, v8, v7, 0x3020504
                                        ; implicit-def: $vgpr7
                                        ; implicit-def: $vgpr8
	v_and_or_b32 v6, 0xff000000, v9, v6
                                        ; implicit-def: $vgpr9
.LBB1083_97:
	s_wait_alu 0xfffe
	s_and_not1_saveexec_b32 s1, s0
	s_cbranch_execz .LBB1083_101
; %bb.98:
	v_add_nc_u32_e32 v6, s17, v13
	v_add_nc_u32_e32 v11, s19, v13
	s_mov_b32 s3, 0
	s_mov_b32 s4, exec_lo
	s_delay_alu instid0(VALU_DEP_2) | instskip(NEXT) | instid1(VALU_DEP_2)
	v_mul_lo_u32 v6, v6, s16
	v_mul_lo_u32 v11, v11, s18
	s_delay_alu instid0(VALU_DEP_1) | instskip(NEXT) | instid1(VALU_DEP_1)
	v_sub_nc_u32_e32 v6, v6, v11
	v_cmp_lt_u32_e32 vcc_lo, s20, v6
	v_cmpx_ge_u32_e64 s20, v6
	s_cbranch_execz .LBB1083_100
; %bb.99:
	v_add_nc_u32_e32 v6, s22, v13
	v_add_nc_u32_e32 v11, s38, v13
	s_delay_alu instid0(VALU_DEP_2) | instskip(NEXT) | instid1(VALU_DEP_2)
	v_mul_lo_u32 v6, v6, s21
	v_mul_lo_u32 v11, v11, s23
	s_delay_alu instid0(VALU_DEP_1) | instskip(NEXT) | instid1(VALU_DEP_1)
	v_sub_nc_u32_e32 v6, v6, v11
	v_cmp_lt_u32_e64 s0, s39, v6
	s_and_b32 s3, s0, exec_lo
.LBB1083_100:
	s_wait_alu 0xfffe
	s_or_b32 exec_lo, exec_lo, s4
	v_lshrrev_b32_e32 v9, 24, v9
	v_cndmask_b32_e64 v11, 0, 1, s3
	v_lshrrev_b32_e32 v12, 8, v8
	v_lshrrev_b32_e32 v25, 16, v8
	s_wait_alu 0xfffd
	v_cndmask_b32_e64 v6, 0, 1, vcc_lo
	v_lshlrev_b16 v10, 8, v10
	v_lshlrev_b16 v9, 8, v9
	v_and_b32_e32 v8, 0xff, v8
	v_lshlrev_b16 v12, 8, v12
	v_lshlrev_b16 v11, 8, v11
	v_and_b32_e32 v25, 0xff, v25
	v_or_b32_e32 v7, v7, v10
	v_or_b32_e32 v6, v6, v9
	;; [unrolled: 1-line block ×3, first 2 shown]
	s_delay_alu instid0(VALU_DEP_4) | instskip(NEXT) | instid1(VALU_DEP_4)
	v_or_b32_e32 v9, v25, v11
	v_and_b32_e32 v7, 0xffff, v7
	s_delay_alu instid0(VALU_DEP_4) | instskip(NEXT) | instid1(VALU_DEP_4)
	v_lshlrev_b32_e32 v6, 16, v6
	v_and_b32_e32 v8, 0xffff, v8
	s_delay_alu instid0(VALU_DEP_4) | instskip(NEXT) | instid1(VALU_DEP_3)
	v_lshlrev_b32_e32 v9, 16, v9
	v_or_b32_e32 v6, v7, v6
	s_delay_alu instid0(VALU_DEP_2)
	v_or_b32_e32 v51, v8, v9
.LBB1083_101:
	s_wait_alu 0xfffe
	s_or_b32 exec_lo, exec_lo, s1
	v_dual_mov_b32 v50, 0 :: v_dual_add_nc_u32 v7, 11, v46
	s_mov_b32 s0, exec_lo
                                        ; implicit-def: $vgpr52
	s_delay_alu instid0(VALU_DEP_1)
	v_cmpx_le_u32_e64 s27, v7
	s_wait_alu 0xfffe
	s_xor_b32 s0, exec_lo, s0
; %bb.102:
	v_and_b32_e32 v7, 0xff0000, v6
	v_perm_b32 v5, v5, v5, 0x3060504
	s_delay_alu instid0(VALU_DEP_2)
	v_perm_b32 v52, v6, v7, 0x3020504
                                        ; implicit-def: $vgpr6
; %bb.103:
	s_wait_alu 0xfffe
	s_and_not1_saveexec_b32 s1, s0
	s_cbranch_execz .LBB1083_107
; %bb.104:
	v_add_nc_u32_e32 v7, s17, v14
	v_add_nc_u32_e32 v8, s19, v14
	s_mov_b32 s3, 0
	s_mov_b32 s4, exec_lo
	s_delay_alu instid0(VALU_DEP_2) | instskip(NEXT) | instid1(VALU_DEP_2)
	v_mul_lo_u32 v7, v7, s16
	v_mul_lo_u32 v8, v8, s18
	s_delay_alu instid0(VALU_DEP_1) | instskip(NEXT) | instid1(VALU_DEP_1)
	v_sub_nc_u32_e32 v7, v7, v8
	v_cmp_lt_u32_e32 vcc_lo, s20, v7
	v_cmpx_ge_u32_e64 s20, v7
	s_cbranch_execz .LBB1083_106
; %bb.105:
	v_add_nc_u32_e32 v7, s22, v14
	v_add_nc_u32_e32 v8, s38, v14
	s_delay_alu instid0(VALU_DEP_2) | instskip(NEXT) | instid1(VALU_DEP_2)
	v_mul_lo_u32 v7, v7, s21
	v_mul_lo_u32 v8, v8, s23
	s_delay_alu instid0(VALU_DEP_1) | instskip(NEXT) | instid1(VALU_DEP_1)
	v_sub_nc_u32_e32 v7, v7, v8
	v_cmp_lt_u32_e64 s0, s39, v7
	s_and_b32 s3, s0, exec_lo
.LBB1083_106:
	s_wait_alu 0xfffe
	s_or_b32 exec_lo, exec_lo, s4
	v_lshrrev_b32_e32 v7, 8, v6
	s_wait_alu 0xfffd
	v_cndmask_b32_e64 v8, 0, 1, vcc_lo
	v_lshrrev_b32_e32 v9, 16, v6
	v_and_b32_e32 v6, 0xff, v6
	v_cndmask_b32_e64 v50, 0, 1, s3
	v_lshlrev_b16 v7, 8, v7
	v_lshlrev_b16 v8, 8, v8
	v_and_b32_e32 v9, 0xff, v9
	s_delay_alu instid0(VALU_DEP_3) | instskip(NEXT) | instid1(VALU_DEP_2)
	v_or_b32_e32 v6, v6, v7
	v_or_b32_e32 v7, v9, v8
	s_delay_alu instid0(VALU_DEP_2) | instskip(NEXT) | instid1(VALU_DEP_2)
	v_and_b32_e32 v6, 0xffff, v6
	v_lshlrev_b32_e32 v7, 16, v7
	s_delay_alu instid0(VALU_DEP_1)
	v_or_b32_e32 v52, v6, v7
.LBB1083_107:
	s_wait_alu 0xfffe
	s_or_b32 exec_lo, exec_lo, s1
	v_add_nc_u32_e32 v8, 12, v46
	v_lshrrev_b32_e32 v6, 8, v5
	v_lshrrev_b32_e32 v7, 16, v5
	;; [unrolled: 1-line block ×3, first 2 shown]
	s_mov_b32 s0, exec_lo
                                        ; implicit-def: $vgpr54
	v_cmpx_le_u32_e64 s27, v8
	s_wait_alu 0xfffe
	s_xor_b32 s0, exec_lo, s0
	s_cbranch_execz .LBB1083_109
; %bb.108:
	v_lshlrev_b16 v5, 8, v5
	v_and_b32_e32 v7, 0xff, v7
	v_lshlrev_b16 v6, 8, v6
	s_delay_alu instid0(VALU_DEP_2) | instskip(NEXT) | instid1(VALU_DEP_2)
	v_or_b32_e32 v5, v7, v5
	v_and_b32_e32 v6, 0xffff, v6
                                        ; implicit-def: $vgpr7
	s_delay_alu instid0(VALU_DEP_2) | instskip(NEXT) | instid1(VALU_DEP_1)
	v_lshlrev_b32_e32 v5, 16, v5
	v_or_b32_e32 v54, v6, v5
                                        ; implicit-def: $vgpr5
                                        ; implicit-def: $vgpr6
.LBB1083_109:
	s_wait_alu 0xfffe
	s_or_saveexec_b32 s1, s0
	v_mov_b32_e32 v53, 0
	s_wait_alu 0xfffe
	s_xor_b32 exec_lo, exec_lo, s1
	s_cbranch_execz .LBB1083_113
; %bb.110:
	v_add_nc_u32_e32 v8, s17, v45
	v_add_nc_u32_e32 v9, s19, v45
	s_mov_b32 s3, 0
	s_mov_b32 s4, exec_lo
	s_delay_alu instid0(VALU_DEP_2) | instskip(NEXT) | instid1(VALU_DEP_2)
	v_mul_lo_u32 v8, v8, s16
	v_mul_lo_u32 v9, v9, s18
	s_delay_alu instid0(VALU_DEP_1) | instskip(NEXT) | instid1(VALU_DEP_1)
	v_sub_nc_u32_e32 v8, v8, v9
	v_cmp_lt_u32_e32 vcc_lo, s20, v8
	v_cmpx_ge_u32_e64 s20, v8
	s_cbranch_execz .LBB1083_112
; %bb.111:
	v_add_nc_u32_e32 v8, s22, v45
	v_add_nc_u32_e32 v9, s38, v45
	s_delay_alu instid0(VALU_DEP_2) | instskip(NEXT) | instid1(VALU_DEP_2)
	v_mul_lo_u32 v8, v8, s21
	v_mul_lo_u32 v9, v9, s23
	s_delay_alu instid0(VALU_DEP_1) | instskip(NEXT) | instid1(VALU_DEP_1)
	v_sub_nc_u32_e32 v8, v8, v9
	v_cmp_lt_u32_e64 s0, s39, v8
	s_and_b32 s3, s0, exec_lo
.LBB1083_112:
	s_wait_alu 0xfffe
	s_or_b32 exec_lo, exec_lo, s4
	s_wait_alu 0xfffd
	v_cndmask_b32_e64 v8, 0, 1, vcc_lo
	v_lshlrev_b16 v5, 8, v5
	v_and_b32_e32 v7, 0xff, v7
	v_lshlrev_b16 v6, 8, v6
	v_cndmask_b32_e64 v53, 0, 1, s3
	s_delay_alu instid0(VALU_DEP_3) | instskip(NEXT) | instid1(VALU_DEP_3)
	v_or_b32_e32 v5, v7, v5
	v_or_b32_e32 v6, v8, v6
	s_delay_alu instid0(VALU_DEP_2) | instskip(NEXT) | instid1(VALU_DEP_2)
	v_lshlrev_b32_e32 v5, 16, v5
	v_and_b32_e32 v6, 0xffff, v6
	s_delay_alu instid0(VALU_DEP_1)
	v_or_b32_e32 v54, v6, v5
.LBB1083_113:
	s_or_b32 exec_lo, exec_lo, s1
.LBB1083_114:
	v_and_b32_e32 v77, 0xff, v47
	s_delay_alu instid0(VALU_DEP_2)
	v_bfe_u32 v78, v54, 8, 8
	v_bfe_u32 v74, v47, 8, 8
	;; [unrolled: 1-line block ×4, first 2 shown]
	v_lshrrev_b32_e32 v60, 24, v54
	v_lshrrev_b32_e32 v59, 24, v47
	v_and_b32_e32 v73, 0xff, v48
	v_and_b32_e32 v71, 0xff, v49
	v_bfe_u32 v72, v48, 8, 8
	v_add3_u32 v5, v74, v77, v76
	v_add3_u32 v6, v75, v78, v60
	v_bfe_u32 v69, v49, 8, 8
	v_bfe_u32 v70, v48, 16, 8
	;; [unrolled: 1-line block ×3, first 2 shown]
	v_lshrrev_b32_e32 v58, 24, v48
	v_add3_u32 v5, v5, v59, v71
	v_add3_u32 v6, v6, v73, v72
	v_lshrrev_b32_e32 v57, 24, v49
	v_and_b32_e32 v68, 0xff, v51
	v_and_b32_e32 v66, 0xff, v52
	v_bfe_u32 v67, v51, 8, 8
	v_add3_u32 v5, v5, v69, v65
	v_add3_u32 v6, v6, v70, v58
	v_bfe_u32 v63, v52, 8, 8
	v_bfe_u32 v64, v51, 16, 8
	v_bfe_u32 v62, v52, 16, 8
	v_lshrrev_b32_e32 v56, 24, v51
	v_add3_u32 v5, v5, v57, v66
	v_add3_u32 v6, v6, v68, v67
	v_mbcnt_lo_u32_b32 v79, -1, 0
	v_lshrrev_b32_e32 v55, 24, v52
	v_and_b32_e32 v61, 0xff, v50
	v_and_b32_e32 v7, 0xff, v54
	;; [unrolled: 1-line block ×3, first 2 shown]
	v_add3_u32 v5, v5, v63, v62
	v_add3_u32 v6, v6, v64, v56
	v_and_b32_e32 v81, 15, v79
	v_and_b32_e32 v83, 16, v79
	v_lshrrev_b32_e32 v80, 5, v0
	v_add3_u32 v84, v5, v55, v7
	v_add3_u32 v85, v6, v61, v8
	v_cmp_eq_u32_e64 s1, 0, v81
	v_cmp_lt_u32_e64 s0, 1, v81
	v_cmp_lt_u32_e64 s3, 3, v81
	v_or_b32_e32 v82, 31, v0
	s_cmp_lg_u32 s33, 0
	s_mov_b32 s4, -1
	v_cmp_lt_u32_e32 vcc_lo, 7, v81
	s_cbranch_scc0 .LBB1083_135
; %bb.115:
	v_mov_b32_dpp v6, v84 row_shr:1 row_mask:0xf bank_mask:0xf
	v_mov_b32_dpp v5, v85 row_shr:1 row_mask:0xf bank_mask:0xf
	s_mov_b32 s4, exec_lo
	s_delay_alu instid0(VALU_DEP_2) | instskip(SKIP_1) | instid1(VALU_DEP_1)
	v_add_nc_u32_e32 v6, v6, v84
	s_wait_alu 0xf1ff
	v_cndmask_b32_e64 v6, v6, v84, s1
	s_delay_alu instid0(VALU_DEP_1) | instskip(NEXT) | instid1(VALU_DEP_1)
	v_mov_b32_dpp v8, v6 row_shr:2 row_mask:0xf bank_mask:0xf
	v_add_nc_u32_e32 v8, v6, v8
	s_delay_alu instid0(VALU_DEP_1) | instskip(NEXT) | instid1(VALU_DEP_1)
	v_cndmask_b32_e64 v6, v6, v8, s0
	v_mov_b32_dpp v8, v6 row_shr:4 row_mask:0xf bank_mask:0xf
	s_delay_alu instid0(VALU_DEP_1) | instskip(NEXT) | instid1(VALU_DEP_1)
	v_add_nc_u32_e32 v8, v6, v8
	v_cndmask_b32_e64 v6, v6, v8, s3
	s_delay_alu instid0(VALU_DEP_1) | instskip(NEXT) | instid1(VALU_DEP_1)
	v_mov_b32_dpp v8, v6 row_shr:8 row_mask:0xf bank_mask:0xf
	v_add_nc_u32_e32 v8, v6, v8
	s_wait_alu 0xfffd
	s_delay_alu instid0(VALU_DEP_1) | instskip(NEXT) | instid1(VALU_DEP_1)
	v_dual_cndmask_b32 v6, v6, v8 :: v_dual_add_nc_u32 v5, v5, v85
	v_cndmask_b32_e64 v5, v5, v85, s1
	ds_swizzle_b32 v8, v6 offset:swizzle(BROADCAST,32,15)
	v_mov_b32_dpp v7, v5 row_shr:2 row_mask:0xf bank_mask:0xf
	s_delay_alu instid0(VALU_DEP_1) | instskip(NEXT) | instid1(VALU_DEP_1)
	v_add_nc_u32_e32 v7, v5, v7
	v_cndmask_b32_e64 v5, v5, v7, s0
	s_delay_alu instid0(VALU_DEP_1) | instskip(SKIP_2) | instid1(VALU_DEP_2)
	v_mov_b32_dpp v7, v5 row_shr:4 row_mask:0xf bank_mask:0xf
	s_wait_dscnt 0x0
	v_add_nc_u32_e32 v8, v6, v8
	v_add_nc_u32_e32 v7, v5, v7
	s_delay_alu instid0(VALU_DEP_1) | instskip(NEXT) | instid1(VALU_DEP_1)
	v_cndmask_b32_e64 v5, v5, v7, s3
	v_mov_b32_dpp v7, v5 row_shr:8 row_mask:0xf bank_mask:0xf
	s_delay_alu instid0(VALU_DEP_1) | instskip(NEXT) | instid1(VALU_DEP_1)
	v_add_nc_u32_e32 v7, v5, v7
	v_cndmask_b32_e32 v5, v5, v7, vcc_lo
	v_cmp_eq_u32_e32 vcc_lo, 0, v83
	ds_swizzle_b32 v7, v5 offset:swizzle(BROADCAST,32,15)
	s_wait_dscnt 0x0
	v_add_nc_u32_e32 v7, v5, v7
	v_cmpx_eq_u32_e64 v0, v82
; %bb.116:
	s_wait_alu 0xfffd
	s_delay_alu instid0(VALU_DEP_2)
	v_dual_cndmask_b32 v10, v7, v5 :: v_dual_lshlrev_b32 v11, 3, v80
	v_cndmask_b32_e32 v9, v8, v6, vcc_lo
	ds_store_b64 v11, v[9:10]
; %bb.117:
	s_wait_alu 0xfffe
	s_or_b32 exec_lo, exec_lo, s4
	s_delay_alu instid0(SALU_CYCLE_1)
	s_mov_b32 s4, exec_lo
	s_wait_loadcnt_dscnt 0x0
	s_barrier_signal -1
	s_barrier_wait -1
	global_inv scope:SCOPE_SE
	v_cmpx_gt_u32_e32 8, v0
	s_cbranch_execz .LBB1083_119
; %bb.118:
	v_lshlrev_b32_e32 v11, 3, v0
	v_and_b32_e32 v26, 7, v79
	ds_load_b64 v[9:10], v11
	v_cmp_eq_u32_e64 s3, 0, v26
	s_wait_dscnt 0x0
	v_mov_b32_dpp v12, v9 row_shr:1 row_mask:0xf bank_mask:0xf
	v_mov_b32_dpp v25, v10 row_shr:1 row_mask:0xf bank_mask:0xf
	s_delay_alu instid0(VALU_DEP_2) | instskip(NEXT) | instid1(VALU_DEP_2)
	v_add_nc_u32_e32 v12, v12, v9
	v_add_nc_u32_e32 v25, v25, v10
	s_wait_alu 0xf1ff
	s_delay_alu instid0(VALU_DEP_2) | instskip(NEXT) | instid1(VALU_DEP_2)
	v_cndmask_b32_e64 v9, v12, v9, s3
	v_cndmask_b32_e64 v10, v25, v10, s3
	v_cmp_lt_u32_e64 s3, 1, v26
	s_delay_alu instid0(VALU_DEP_3) | instskip(NEXT) | instid1(VALU_DEP_3)
	v_mov_b32_dpp v12, v9 row_shr:2 row_mask:0xf bank_mask:0xf
	v_mov_b32_dpp v25, v10 row_shr:2 row_mask:0xf bank_mask:0xf
	s_delay_alu instid0(VALU_DEP_2) | instskip(NEXT) | instid1(VALU_DEP_2)
	v_add_nc_u32_e32 v12, v9, v12
	v_add_nc_u32_e32 v25, v10, v25
	s_wait_alu 0xf1ff
	s_delay_alu instid0(VALU_DEP_2) | instskip(NEXT) | instid1(VALU_DEP_2)
	v_cndmask_b32_e64 v9, v9, v12, s3
	v_cndmask_b32_e64 v10, v10, v25, s3
	v_cmp_lt_u32_e64 s3, 3, v26
	s_delay_alu instid0(VALU_DEP_3) | instskip(NEXT) | instid1(VALU_DEP_3)
	v_mov_b32_dpp v12, v9 row_shr:4 row_mask:0xf bank_mask:0xf
	v_mov_b32_dpp v25, v10 row_shr:4 row_mask:0xf bank_mask:0xf
	s_wait_alu 0xf1ff
	s_delay_alu instid0(VALU_DEP_2) | instskip(NEXT) | instid1(VALU_DEP_2)
	v_cndmask_b32_e64 v12, 0, v12, s3
	v_cndmask_b32_e64 v25, 0, v25, s3
	s_delay_alu instid0(VALU_DEP_2) | instskip(NEXT) | instid1(VALU_DEP_2)
	v_add_nc_u32_e32 v9, v12, v9
	v_add_nc_u32_e32 v10, v25, v10
	ds_store_b64 v11, v[9:10]
.LBB1083_119:
	s_wait_alu 0xfffe
	s_or_b32 exec_lo, exec_lo, s4
	v_dual_cndmask_b32 v5, v7, v5 :: v_dual_cndmask_b32 v6, v8, v6
	s_mov_b32 s4, exec_lo
	v_cmp_gt_u32_e32 vcc_lo, 32, v0
	s_wait_loadcnt_dscnt 0x0
	s_barrier_signal -1
	s_barrier_wait -1
	global_inv scope:SCOPE_SE
                                        ; implicit-def: $vgpr25
	v_cmpx_lt_u32_e32 31, v0
	s_cbranch_execz .LBB1083_121
; %bb.120:
	v_lshl_add_u32 v7, v80, 3, -8
	ds_load_b64 v[25:26], v7
	s_wait_dscnt 0x0
	v_add_nc_u32_e32 v5, v26, v5
	v_add_nc_u32_e32 v6, v25, v6
.LBB1083_121:
	s_wait_alu 0xfffe
	s_or_b32 exec_lo, exec_lo, s4
	v_sub_co_u32 v7, s3, v79, 1
	s_delay_alu instid0(VALU_DEP_1) | instskip(SKIP_1) | instid1(VALU_DEP_1)
	v_cmp_gt_i32_e64 s4, 0, v7
	s_wait_alu 0xf1ff
	v_cndmask_b32_e64 v7, v7, v79, s4
	s_delay_alu instid0(VALU_DEP_1)
	v_lshlrev_b32_e32 v7, 2, v7
	ds_bpermute_b32 v86, v7, v6
	ds_bpermute_b32 v87, v7, v5
	s_and_saveexec_b32 s4, vcc_lo
	s_cbranch_execz .LBB1083_140
; %bb.122:
	v_mov_b32_e32 v8, 0
	ds_load_b64 v[5:6], v8 offset:56
	s_and_saveexec_b32 s5, s3
	s_cbranch_execz .LBB1083_124
; %bb.123:
	s_add_co_i32 s6, s33, 32
	s_mov_b32 s7, 0
	s_wait_alu 0xfffe
	s_lshl_b64 s[6:7], s[6:7], 4
	s_wait_alu 0xfffe
	s_add_nc_u64 s[6:7], s[36:37], s[6:7]
	s_wait_alu 0xfffe
	v_dual_mov_b32 v7, 1 :: v_dual_mov_b32 v10, s7
	v_mov_b32_e32 v9, s6
	s_wait_dscnt 0x0
	;;#ASMSTART
	global_store_b128 v[9:10], v[5:8] off scope:SCOPE_DEV	
s_wait_storecnt 0x0
	;;#ASMEND
.LBB1083_124:
	s_wait_alu 0xfffe
	s_or_b32 exec_lo, exec_lo, s5
	v_xad_u32 v27, v79, -1, s33
	s_mov_b32 s6, 0
	s_mov_b32 s5, exec_lo
	s_delay_alu instid0(VALU_DEP_1) | instskip(NEXT) | instid1(VALU_DEP_1)
	v_add_nc_u32_e32 v7, 32, v27
	v_lshlrev_b64_e32 v[7:8], 4, v[7:8]
	s_delay_alu instid0(VALU_DEP_1) | instskip(SKIP_1) | instid1(VALU_DEP_2)
	v_add_co_u32 v7, vcc_lo, s36, v7
	s_wait_alu 0xfffd
	v_add_co_ci_u32_e64 v8, null, s37, v8, vcc_lo
	;;#ASMSTART
	global_load_b128 v[9:12], v[7:8] off scope:SCOPE_DEV	
s_wait_loadcnt 0x0
	;;#ASMEND
	v_and_b32_e32 v12, 0xff, v11
	s_delay_alu instid0(VALU_DEP_1)
	v_cmpx_eq_u16_e32 0, v12
	s_cbranch_execz .LBB1083_127
.LBB1083_125:                           ; =>This Inner Loop Header: Depth=1
	;;#ASMSTART
	global_load_b128 v[9:12], v[7:8] off scope:SCOPE_DEV	
s_wait_loadcnt 0x0
	;;#ASMEND
	v_and_b32_e32 v12, 0xff, v11
	s_delay_alu instid0(VALU_DEP_1)
	v_cmp_ne_u16_e32 vcc_lo, 0, v12
	s_wait_alu 0xfffe
	s_or_b32 s6, vcc_lo, s6
	s_wait_alu 0xfffe
	s_and_not1_b32 exec_lo, exec_lo, s6
	s_cbranch_execnz .LBB1083_125
; %bb.126:
	s_or_b32 exec_lo, exec_lo, s6
.LBB1083_127:
	s_wait_alu 0xfffe
	s_or_b32 exec_lo, exec_lo, s5
	v_cmp_ne_u32_e32 vcc_lo, 31, v79
	v_lshlrev_b32_e64 v89, v79, -1
	v_add_nc_u32_e32 v91, 2, v79
	v_add_nc_u32_e32 v93, 4, v79
	v_add_nc_u32_e32 v95, 8, v79
	s_wait_alu 0xfffd
	v_add_co_ci_u32_e64 v7, null, 0, v79, vcc_lo
	v_lshl_or_b32 v96, v79, 2, 64
	v_add_nc_u32_e32 v97, 16, v79
	s_delay_alu instid0(VALU_DEP_3) | instskip(SKIP_4) | instid1(VALU_DEP_1)
	v_lshlrev_b32_e32 v88, 2, v7
	ds_bpermute_b32 v8, v88, v10
	s_wait_dscnt 0x0
	v_add_nc_u32_e32 v8, v8, v10
	v_and_b32_e32 v7, 0xff, v11
	v_cmp_eq_u16_e32 vcc_lo, 2, v7
	ds_bpermute_b32 v7, v88, v9
	s_wait_dscnt 0x0
	v_add_nc_u32_e32 v7, v7, v9
	s_wait_alu 0xfffd
	v_and_b32_e32 v12, vcc_lo, v89
	v_cmp_gt_u32_e32 vcc_lo, 30, v79
	s_delay_alu instid0(VALU_DEP_2) | instskip(SKIP_2) | instid1(VALU_DEP_2)
	v_or_b32_e32 v12, 0x80000000, v12
	s_wait_alu 0xfffd
	v_cndmask_b32_e64 v28, 0, 2, vcc_lo
	v_ctz_i32_b32_e32 v12, v12
	s_delay_alu instid0(VALU_DEP_2) | instskip(NEXT) | instid1(VALU_DEP_2)
	v_add_lshl_u32 v90, v28, v79, 2
	v_cmp_lt_u32_e32 vcc_lo, v79, v12
	s_wait_alu 0xfffd
	v_dual_cndmask_b32 v8, v10, v8 :: v_dual_cndmask_b32 v7, v9, v7
	v_cmp_gt_u32_e32 vcc_lo, 28, v79
	ds_bpermute_b32 v9, v90, v8
	ds_bpermute_b32 v10, v90, v7
	s_wait_alu 0xfffd
	v_cndmask_b32_e64 v28, 0, 4, vcc_lo
	v_cmp_gt_u32_e32 vcc_lo, v91, v12
	s_delay_alu instid0(VALU_DEP_2)
	v_add_lshl_u32 v92, v28, v79, 2
	s_wait_dscnt 0x1
	v_add_nc_u32_e32 v9, v8, v9
	s_wait_dscnt 0x0
	v_add_nc_u32_e32 v10, v7, v10
	s_wait_alu 0xfffd
	s_delay_alu instid0(VALU_DEP_1)
	v_dual_cndmask_b32 v8, v9, v8 :: v_dual_cndmask_b32 v7, v10, v7
	v_cmp_gt_u32_e32 vcc_lo, 24, v79
	ds_bpermute_b32 v9, v92, v8
	ds_bpermute_b32 v10, v92, v7
	s_wait_alu 0xfffd
	v_cndmask_b32_e64 v28, 0, 8, vcc_lo
	v_cmp_gt_u32_e32 vcc_lo, v93, v12
	s_delay_alu instid0(VALU_DEP_2)
	v_add_lshl_u32 v94, v28, v79, 2
	s_wait_dscnt 0x1
	v_dual_mov_b32 v28, 0 :: v_dual_add_nc_u32 v9, v8, v9
	s_wait_dscnt 0x0
	v_add_nc_u32_e32 v10, v7, v10
	s_wait_alu 0xfffd
	s_delay_alu instid0(VALU_DEP_1)
	v_dual_cndmask_b32 v8, v9, v8 :: v_dual_cndmask_b32 v7, v10, v7
	v_cmp_gt_u32_e32 vcc_lo, v95, v12
	ds_bpermute_b32 v9, v94, v8
	ds_bpermute_b32 v10, v94, v7
	s_wait_dscnt 0x1
	v_add_nc_u32_e32 v9, v8, v9
	s_wait_dscnt 0x0
	v_add_nc_u32_e32 v10, v7, v10
	s_wait_alu 0xfffd
	s_delay_alu instid0(VALU_DEP_1)
	v_dual_cndmask_b32 v8, v9, v8 :: v_dual_cndmask_b32 v7, v10, v7
	v_cmp_le_u32_e32 vcc_lo, v97, v12
	ds_bpermute_b32 v10, v96, v8
	ds_bpermute_b32 v9, v96, v7
	s_wait_dscnt 0x0
	s_wait_alu 0xfffd
	v_dual_cndmask_b32 v10, 0, v10 :: v_dual_cndmask_b32 v9, 0, v9
	s_delay_alu instid0(VALU_DEP_1) | instskip(NEXT) | instid1(VALU_DEP_2)
	v_add_nc_u32_e32 v10, v10, v8
	v_add_nc_u32_e32 v9, v9, v7
	s_branch .LBB1083_131
.LBB1083_128:                           ;   in Loop: Header=BB1083_131 Depth=1
	s_or_b32 exec_lo, exec_lo, s6
.LBB1083_129:                           ;   in Loop: Header=BB1083_131 Depth=1
	s_wait_alu 0xfffe
	s_or_b32 exec_lo, exec_lo, s5
	ds_bpermute_b32 v12, v88, v9
	ds_bpermute_b32 v29, v88, v10
	v_subrev_nc_u32_e32 v27, 32, v27
	s_mov_b32 s5, 0
	s_wait_dscnt 0x1
	v_add_nc_u32_e32 v12, v12, v9
	v_and_b32_e32 v30, 0xff, v11
	s_wait_dscnt 0x0
	v_add_nc_u32_e32 v29, v29, v10
	s_delay_alu instid0(VALU_DEP_2) | instskip(SKIP_2) | instid1(VALU_DEP_1)
	v_cmp_eq_u16_e32 vcc_lo, 2, v30
	s_wait_alu 0xfffd
	v_and_or_b32 v30, vcc_lo, v89, 0x80000000
	v_ctz_i32_b32_e32 v30, v30
	s_delay_alu instid0(VALU_DEP_1)
	v_cmp_lt_u32_e32 vcc_lo, v79, v30
	s_wait_alu 0xfffd
	v_dual_cndmask_b32 v10, v10, v29 :: v_dual_cndmask_b32 v9, v9, v12
	v_cmp_gt_u32_e32 vcc_lo, v91, v30
	ds_bpermute_b32 v29, v90, v10
	ds_bpermute_b32 v12, v90, v9
	s_wait_dscnt 0x1
	v_add_nc_u32_e32 v29, v10, v29
	s_wait_dscnt 0x0
	v_add_nc_u32_e32 v12, v9, v12
	s_wait_alu 0xfffd
	s_delay_alu instid0(VALU_DEP_1)
	v_dual_cndmask_b32 v10, v29, v10 :: v_dual_cndmask_b32 v9, v12, v9
	v_cmp_gt_u32_e32 vcc_lo, v93, v30
	ds_bpermute_b32 v29, v92, v10
	ds_bpermute_b32 v12, v92, v9
	s_wait_dscnt 0x1
	v_add_nc_u32_e32 v29, v10, v29
	s_wait_dscnt 0x0
	v_add_nc_u32_e32 v12, v9, v12
	s_wait_alu 0xfffd
	s_delay_alu instid0(VALU_DEP_1)
	;; [unrolled: 10-line block ×3, first 2 shown]
	v_dual_cndmask_b32 v10, v29, v10 :: v_dual_cndmask_b32 v9, v12, v9
	v_cmp_le_u32_e32 vcc_lo, v97, v30
	ds_bpermute_b32 v29, v96, v10
	ds_bpermute_b32 v12, v96, v9
	s_wait_dscnt 0x0
	s_wait_alu 0xfffd
	v_dual_cndmask_b32 v29, 0, v29 :: v_dual_cndmask_b32 v12, 0, v12
	s_delay_alu instid0(VALU_DEP_1) | instskip(NEXT) | instid1(VALU_DEP_2)
	v_add3_u32 v10, v10, v8, v29
	v_add3_u32 v9, v9, v7, v12
.LBB1083_130:                           ;   in Loop: Header=BB1083_131 Depth=1
	s_wait_alu 0xfffe
	s_and_b32 vcc_lo, exec_lo, s5
	s_wait_alu 0xfffe
	s_cbranch_vccnz .LBB1083_136
.LBB1083_131:                           ; =>This Loop Header: Depth=1
                                        ;     Child Loop BB1083_134 Depth 2
	v_and_b32_e32 v7, 0xff, v11
	s_mov_b32 s5, -1
                                        ; implicit-def: $vgpr11
	s_delay_alu instid0(VALU_DEP_1)
	v_cmp_ne_u16_e32 vcc_lo, 2, v7
	v_dual_mov_b32 v7, v9 :: v_dual_mov_b32 v8, v10
                                        ; implicit-def: $vgpr9_vgpr10
	s_cmp_lg_u32 vcc_lo, exec_lo
	s_cbranch_scc1 .LBB1083_130
; %bb.132:                              ;   in Loop: Header=BB1083_131 Depth=1
	v_lshlrev_b64_e32 v[9:10], 4, v[27:28]
	s_mov_b32 s5, exec_lo
	s_delay_alu instid0(VALU_DEP_1) | instskip(SKIP_1) | instid1(VALU_DEP_2)
	v_add_co_u32 v29, vcc_lo, s36, v9
	s_wait_alu 0xfffd
	v_add_co_ci_u32_e64 v30, null, s37, v10, vcc_lo
	;;#ASMSTART
	global_load_b128 v[9:12], v[29:30] off scope:SCOPE_DEV	
s_wait_loadcnt 0x0
	;;#ASMEND
	v_and_b32_e32 v12, 0xff, v11
	s_delay_alu instid0(VALU_DEP_1)
	v_cmpx_eq_u16_e32 0, v12
	s_cbranch_execz .LBB1083_129
; %bb.133:                              ;   in Loop: Header=BB1083_131 Depth=1
	s_mov_b32 s6, 0
.LBB1083_134:                           ;   Parent Loop BB1083_131 Depth=1
                                        ; =>  This Inner Loop Header: Depth=2
	;;#ASMSTART
	global_load_b128 v[9:12], v[29:30] off scope:SCOPE_DEV	
s_wait_loadcnt 0x0
	;;#ASMEND
	v_and_b32_e32 v12, 0xff, v11
	s_delay_alu instid0(VALU_DEP_1)
	v_cmp_ne_u16_e32 vcc_lo, 0, v12
	s_wait_alu 0xfffe
	s_or_b32 s6, vcc_lo, s6
	s_wait_alu 0xfffe
	s_and_not1_b32 exec_lo, exec_lo, s6
	s_cbranch_execnz .LBB1083_134
	s_branch .LBB1083_128
.LBB1083_135:
                                        ; implicit-def: $vgpr29
                                        ; implicit-def: $vgpr7
                                        ; implicit-def: $vgpr86
	s_wait_alu 0xfffe
	s_and_b32 vcc_lo, exec_lo, s4
	s_wait_alu 0xfffe
	s_cbranch_vccnz .LBB1083_141
	s_branch .LBB1083_150
.LBB1083_136:
	s_and_saveexec_b32 s5, s3
	s_cbranch_execnz .LBB1083_378
; %bb.137:
	s_wait_alu 0xfffe
	s_or_b32 exec_lo, exec_lo, s5
	s_and_saveexec_b32 s5, s3
	s_cbranch_execnz .LBB1083_379
.LBB1083_138:
	s_wait_alu 0xfffe
	s_or_b32 exec_lo, exec_lo, s5
	s_delay_alu instid0(SALU_CYCLE_1)
	s_and_b32 exec_lo, exec_lo, s2
.LBB1083_139:
	v_mov_b32_e32 v5, 0
	ds_store_b64 v5, v[7:8] offset:56
.LBB1083_140:
	s_wait_alu 0xfffe
	s_or_b32 exec_lo, exec_lo, s4
	s_wait_dscnt 0x1
	v_cndmask_b32_e64 v12, v86, v25, s3
	v_mov_b32_e32 v5, 0
	s_wait_loadcnt_dscnt 0x0
	s_barrier_signal -1
	s_barrier_wait -1
	global_inv scope:SCOPE_SE
	ds_load_b64 v[9:10], v5 offset:56
	s_wait_loadcnt_dscnt 0x0
	s_barrier_signal -1
	s_barrier_wait -1
	global_inv scope:SCOPE_SE
	v_cndmask_b32_e64 v11, v87, v26, s3
	v_add_nc_u32_e32 v12, v9, v12
	ds_load_b128 v[5:8], v5 offset:13312
	v_add_nc_u32_e32 v11, v10, v11
	v_cndmask_b32_e64 v86, v12, v9, s2
	s_delay_alu instid0(VALU_DEP_2)
	v_cndmask_b32_e64 v29, v11, v10, s2
	s_branch .LBB1083_150
.LBB1083_141:
	s_wait_dscnt 0x0
	v_mov_b32_dpp v5, v84 row_shr:1 row_mask:0xf bank_mask:0xf
	v_cmp_lt_u32_e32 vcc_lo, 3, v81
	v_mov_b32_dpp v6, v85 row_shr:1 row_mask:0xf bank_mask:0xf
	s_delay_alu instid0(VALU_DEP_3) | instskip(NEXT) | instid1(VALU_DEP_1)
	v_add_nc_u32_e32 v5, v5, v84
	v_cndmask_b32_e64 v5, v5, v84, s1
	s_delay_alu instid0(VALU_DEP_1) | instskip(NEXT) | instid1(VALU_DEP_1)
	v_mov_b32_dpp v7, v5 row_shr:2 row_mask:0xf bank_mask:0xf
	v_add_nc_u32_e32 v7, v5, v7
	s_delay_alu instid0(VALU_DEP_1) | instskip(NEXT) | instid1(VALU_DEP_1)
	v_cndmask_b32_e64 v5, v5, v7, s0
	v_mov_b32_dpp v7, v5 row_shr:4 row_mask:0xf bank_mask:0xf
	s_delay_alu instid0(VALU_DEP_1) | instskip(SKIP_1) | instid1(VALU_DEP_1)
	v_add_nc_u32_e32 v7, v5, v7
	s_wait_alu 0xfffd
	v_dual_cndmask_b32 v7, v5, v7 :: v_dual_add_nc_u32 v6, v6, v85
	s_delay_alu instid0(VALU_DEP_1) | instskip(SKIP_1) | instid1(VALU_DEP_2)
	v_cndmask_b32_e64 v6, v6, v85, s1
	s_mov_b32 s1, exec_lo
	v_mov_b32_dpp v5, v7 row_shr:8 row_mask:0xf bank_mask:0xf
	s_delay_alu instid0(VALU_DEP_2) | instskip(NEXT) | instid1(VALU_DEP_2)
	v_mov_b32_dpp v8, v6 row_shr:2 row_mask:0xf bank_mask:0xf
	v_add_nc_u32_e32 v9, v7, v5
	s_delay_alu instid0(VALU_DEP_2) | instskip(NEXT) | instid1(VALU_DEP_1)
	v_add_nc_u32_e32 v8, v6, v8
	v_cndmask_b32_e64 v6, v6, v8, s0
	s_delay_alu instid0(VALU_DEP_1) | instskip(NEXT) | instid1(VALU_DEP_1)
	v_mov_b32_dpp v8, v6 row_shr:4 row_mask:0xf bank_mask:0xf
	v_add_nc_u32_e32 v8, v6, v8
	s_delay_alu instid0(VALU_DEP_1) | instskip(SKIP_1) | instid1(VALU_DEP_2)
	v_cndmask_b32_e32 v6, v6, v8, vcc_lo
	v_cmp_lt_u32_e32 vcc_lo, 7, v81
	v_mov_b32_dpp v8, v6 row_shr:8 row_mask:0xf bank_mask:0xf
	s_delay_alu instid0(VALU_DEP_1) | instskip(SKIP_1) | instid1(VALU_DEP_1)
	v_add_nc_u32_e32 v5, v6, v8
	s_wait_alu 0xfffd
	v_cndmask_b32_e32 v5, v6, v5, vcc_lo
	v_cndmask_b32_e32 v6, v7, v9, vcc_lo
	v_cmp_eq_u32_e32 vcc_lo, 0, v83
	ds_swizzle_b32 v7, v5 offset:swizzle(BROADCAST,32,15)
	ds_swizzle_b32 v8, v6 offset:swizzle(BROADCAST,32,15)
	s_wait_dscnt 0x1
	v_add_nc_u32_e32 v7, v5, v7
	s_wait_dscnt 0x0
	v_add_nc_u32_e32 v8, v6, v8
	v_cmpx_eq_u32_e64 v0, v82
; %bb.142:
	s_wait_alu 0xfffd
	s_delay_alu instid0(VALU_DEP_2)
	v_dual_cndmask_b32 v9, v8, v6 :: v_dual_cndmask_b32 v10, v7, v5
	v_lshlrev_b32_e32 v11, 3, v80
	ds_store_b64 v11, v[9:10]
; %bb.143:
	s_wait_alu 0xfffe
	s_or_b32 exec_lo, exec_lo, s1
	s_delay_alu instid0(SALU_CYCLE_1)
	s_mov_b32 s1, exec_lo
	s_wait_loadcnt_dscnt 0x0
	s_barrier_signal -1
	s_barrier_wait -1
	global_inv scope:SCOPE_SE
	v_cmpx_gt_u32_e32 8, v0
	s_cbranch_execz .LBB1083_145
; %bb.144:
	v_lshlrev_b32_e32 v11, 3, v0
	v_and_b32_e32 v26, 7, v79
	ds_load_b64 v[9:10], v11
	v_cmp_eq_u32_e64 s0, 0, v26
	s_wait_dscnt 0x0
	v_mov_b32_dpp v12, v9 row_shr:1 row_mask:0xf bank_mask:0xf
	v_mov_b32_dpp v25, v10 row_shr:1 row_mask:0xf bank_mask:0xf
	s_delay_alu instid0(VALU_DEP_2) | instskip(NEXT) | instid1(VALU_DEP_2)
	v_add_nc_u32_e32 v12, v12, v9
	v_add_nc_u32_e32 v25, v25, v10
	s_wait_alu 0xf1ff
	s_delay_alu instid0(VALU_DEP_2) | instskip(NEXT) | instid1(VALU_DEP_2)
	v_cndmask_b32_e64 v9, v12, v9, s0
	v_cndmask_b32_e64 v10, v25, v10, s0
	v_cmp_lt_u32_e64 s0, 1, v26
	s_delay_alu instid0(VALU_DEP_3) | instskip(NEXT) | instid1(VALU_DEP_3)
	v_mov_b32_dpp v12, v9 row_shr:2 row_mask:0xf bank_mask:0xf
	v_mov_b32_dpp v25, v10 row_shr:2 row_mask:0xf bank_mask:0xf
	s_delay_alu instid0(VALU_DEP_2) | instskip(NEXT) | instid1(VALU_DEP_2)
	v_add_nc_u32_e32 v12, v9, v12
	v_add_nc_u32_e32 v25, v10, v25
	s_wait_alu 0xf1ff
	s_delay_alu instid0(VALU_DEP_2) | instskip(NEXT) | instid1(VALU_DEP_2)
	v_cndmask_b32_e64 v9, v9, v12, s0
	v_cndmask_b32_e64 v10, v10, v25, s0
	v_cmp_lt_u32_e64 s0, 3, v26
	s_delay_alu instid0(VALU_DEP_3) | instskip(NEXT) | instid1(VALU_DEP_3)
	v_mov_b32_dpp v12, v9 row_shr:4 row_mask:0xf bank_mask:0xf
	v_mov_b32_dpp v25, v10 row_shr:4 row_mask:0xf bank_mask:0xf
	s_wait_alu 0xf1ff
	s_delay_alu instid0(VALU_DEP_2) | instskip(NEXT) | instid1(VALU_DEP_2)
	v_cndmask_b32_e64 v12, 0, v12, s0
	v_cndmask_b32_e64 v25, 0, v25, s0
	s_delay_alu instid0(VALU_DEP_2) | instskip(NEXT) | instid1(VALU_DEP_2)
	v_add_nc_u32_e32 v9, v12, v9
	v_add_nc_u32_e32 v10, v25, v10
	ds_store_b64 v11, v[9:10]
.LBB1083_145:
	s_wait_alu 0xfffe
	s_or_b32 exec_lo, exec_lo, s1
	v_dual_mov_b32 v11, 0 :: v_dual_mov_b32 v10, 0
	v_mov_b32_e32 v9, 0
	s_mov_b32 s1, exec_lo
	s_wait_loadcnt_dscnt 0x0
	s_barrier_signal -1
	s_barrier_wait -1
	global_inv scope:SCOPE_SE
	v_cmpx_lt_u32_e32 31, v0
; %bb.146:
	v_lshl_add_u32 v9, v80, 3, -8
	ds_load_b64 v[9:10], v9
; %bb.147:
	s_wait_alu 0xfffe
	s_or_b32 exec_lo, exec_lo, s1
	v_sub_co_u32 v12, s0, v79, 1
	v_dual_cndmask_b32 v6, v8, v6 :: v_dual_cndmask_b32 v5, v7, v5
	s_delay_alu instid0(VALU_DEP_2) | instskip(SKIP_1) | instid1(VALU_DEP_2)
	v_cmp_gt_i32_e64 s1, 0, v12
	s_wait_dscnt 0x0
	v_add_nc_u32_e32 v6, v9, v6
	s_delay_alu instid0(VALU_DEP_3) | instskip(SKIP_2) | instid1(VALU_DEP_1)
	v_add_nc_u32_e32 v5, v10, v5
	s_wait_alu 0xf1ff
	v_cndmask_b32_e64 v8, v12, v79, s1
	v_lshlrev_b32_e32 v7, 2, v8
	ds_bpermute_b32 v12, v7, v6
	ds_bpermute_b32 v25, v7, v5
	ds_load_b64 v[5:6], v11 offset:56
	s_and_saveexec_b32 s1, s2
	s_cbranch_execz .LBB1083_149
; %bb.148:
	s_add_nc_u64 s[4:5], s[36:37], 0x200
	v_dual_mov_b32 v7, 2 :: v_dual_mov_b32 v8, 0
	s_wait_alu 0xfffe
	v_dual_mov_b32 v27, s5 :: v_dual_mov_b32 v26, s4
	s_wait_dscnt 0x0
	;;#ASMSTART
	global_store_b128 v[26:27], v[5:8] off scope:SCOPE_DEV	
s_wait_storecnt 0x0
	;;#ASMEND
.LBB1083_149:
	s_wait_alu 0xfffe
	s_or_b32 exec_lo, exec_lo, s1
	s_wait_dscnt 0x1
	v_cndmask_b32_e64 v7, v25, v10, s0
	v_cndmask_b32_e64 v9, v12, v9, s0
	v_mov_b32_e32 v8, 0
	s_wait_loadcnt_dscnt 0x0
	s_barrier_signal -1
	v_cndmask_b32_e64 v29, v7, 0, s2
	v_cndmask_b32_e64 v86, v9, 0, s2
	v_mov_b32_e32 v7, 0
	s_barrier_wait -1
	global_inv scope:SCOPE_SE
.LBB1083_150:
	v_lshrrev_b32_e32 v81, 8, v54
	s_wait_dscnt 0x0
	v_add_co_u32 v1, vcc_lo, v1, v7
	s_wait_alu 0xfffd
	v_add_co_ci_u32_e64 v2, null, 0, v2, vcc_lo
	v_and_b32_e32 v81, 1, v81
	v_sub_co_u32 v84, vcc_lo, v3, v5
	s_wait_alu 0xfffd
	v_subrev_co_ci_u32_e64 v85, null, 0, v4, vcc_lo
	s_delay_alu instid0(VALU_DEP_3)
	v_cmp_eq_u32_e32 vcc_lo, 1, v81
	v_add_nc_u32_e32 v78, v29, v78
	v_sub_nc_u32_e32 v29, v29, v8
	v_lshlrev_b32_e32 v87, 1, v5
	v_lshrrev_b32_e32 v79, 16, v54
	v_lshrrev_b32_e32 v80, 8, v47
	v_add_nc_u32_e32 v75, v78, v75
	v_sub_nc_u32_e32 v78, v78, v8
	v_add_nc_u32_e32 v29, v29, v5
	v_add3_u32 v90, v87, v6, v46
	v_and_b32_e32 v79, 1, v79
	v_lshrrev_b32_e32 v30, 16, v47
	v_add_nc_u32_e32 v78, v78, v5
	v_add_nc_u32_e32 v77, v86, v77
	v_sub_nc_u32_e32 v86, v86, v7
	v_and_b32_e32 v47, 1, v47
	v_and_b32_e32 v80, 1, v80
	;; [unrolled: 1-line block ×3, first 2 shown]
	v_add_nc_u32_e32 v74, v77, v74
	v_sub_nc_u32_e32 v77, v77, v7
	v_add_nc_u32_e32 v46, v86, v29
	v_lshrrev_b32_e32 v28, 8, v48
	v_lshrrev_b32_e32 v27, 16, v48
	v_and_b32_e32 v48, 1, v48
	v_add_nc_u32_e32 v91, v78, v77
	v_sub_nc_u32_e32 v46, v90, v46
	v_and_b32_e32 v28, 1, v28
	v_lshrrev_b32_e32 v25, 16, v49
	v_lshrrev_b32_e32 v26, 8, v49
	v_sub_nc_u32_e32 v91, v90, v91
	s_wait_alu 0xfffd
	v_cndmask_b32_e32 v29, v46, v29, vcc_lo
	v_cmp_eq_u32_e32 vcc_lo, 1, v79
	v_lshrrev_b32_e32 v12, 8, v51
	v_and_b32_e32 v26, 1, v26
	v_add_nc_u32_e32 v91, 1, v91
	v_lshrrev_b32_e32 v10, 16, v51
	v_lshrrev_b32_e32 v11, 8, v52
	v_and_b32_e32 v12, 1, v12
	v_lshrrev_b32_e32 v9, 16, v52
	s_wait_alu 0xfffd
	v_cndmask_b32_e32 v46, v91, v78, vcc_lo
	v_cmp_eq_u32_e32 vcc_lo, 1, v47
	v_add_nc_u32_e32 v82, v75, v60
	v_sub_nc_u32_e32 v75, v75, v8
	v_and_b32_e32 v60, 1, v60
	v_and_b32_e32 v10, 1, v10
	s_wait_alu 0xfffd
	v_cndmask_b32_e32 v29, v29, v86, vcc_lo
	v_cmp_eq_u32_e32 vcc_lo, 1, v80
	v_add_nc_u32_e32 v75, v75, v5
	v_sub_nc_u32_e32 v80, v82, v8
	v_and_b32_e32 v11, 1, v11
	v_lshlrev_b32_e32 v29, 2, v29
	s_wait_alu 0xfffd
	v_cndmask_b32_e32 v77, v46, v77, vcc_lo
	v_add_nc_u32_e32 v76, v74, v76
	v_sub_nc_u32_e32 v74, v74, v7
	v_add_co_u32 v46, vcc_lo, v84, v8
	s_wait_alu 0xfffd
	v_add_co_ci_u32_e64 v47, null, 0, v85, vcc_lo
	s_delay_alu instid0(VALU_DEP_3)
	v_add_nc_u32_e32 v79, v75, v74
	v_cmp_eq_u32_e32 vcc_lo, 1, v60
	v_add_nc_u32_e32 v83, v76, v59
	v_lshlrev_b32_e32 v77, 2, v77
	ds_store_b32 v29, v23
	ds_store_b32 v77, v24
	v_sub_nc_u32_e32 v79, v90, v79
	v_and_b32_e32 v9, 1, v9
	s_delay_alu instid0(VALU_DEP_2) | instskip(SKIP_1) | instid1(VALU_DEP_1)
	v_add_nc_u32_e32 v79, 2, v79
	s_wait_alu 0xfffd
	v_dual_cndmask_b32 v60, v79, v75 :: v_dual_add_nc_u32 v73, v82, v73
	s_delay_alu instid0(VALU_DEP_1)
	v_add_nc_u32_e32 v72, v73, v72
	v_sub_nc_u32_e32 v75, v76, v7
	v_sub_nc_u32_e32 v73, v73, v8
	v_add_nc_u32_e32 v76, v80, v5
	v_cmp_eq_u32_e32 vcc_lo, 1, v30
	s_wait_alu 0xfffd
	s_delay_alu instid0(VALU_DEP_3)
	v_dual_cndmask_b32 v30, v60, v74 :: v_dual_add_nc_u32 v73, v73, v5
	v_sub_nc_u32_e32 v60, v83, v7
	v_add_nc_u32_e32 v74, v75, v76
	v_cmp_eq_u32_e32 vcc_lo, 1, v48
	v_and_b32_e32 v48, 1, v49
	v_lshlrev_b32_e32 v23, 2, v30
	v_add_nc_u32_e32 v24, v60, v73
	v_sub_nc_u32_e32 v29, v90, v74
	v_and_b32_e32 v30, 1, v59
	v_sub_nc_u32_e32 v59, v72, v8
	ds_store_b32 v23, v21
	v_sub_nc_u32_e32 v24, v90, v24
	v_add_nc_u32_e32 v29, 3, v29
	v_and_b32_e32 v23, 1, v27
	v_add_nc_u32_e32 v59, v59, v5
	s_delay_alu instid0(VALU_DEP_4)
	v_add_nc_u32_e32 v24, 4, v24
	s_wait_alu 0xfffd
	v_cndmask_b32_e32 v29, v29, v76, vcc_lo
	v_cmp_eq_u32_e32 vcc_lo, 1, v28
	s_wait_alu 0xfffd
	v_dual_cndmask_b32 v24, v24, v73 :: v_dual_add_nc_u32 v71, v83, v71
	s_delay_alu instid0(VALU_DEP_1) | instskip(SKIP_2) | instid1(VALU_DEP_3)
	v_add_nc_u32_e32 v69, v71, v69
	v_sub_nc_u32_e32 v71, v71, v7
	v_cmp_eq_u32_e32 vcc_lo, 1, v30
	v_add_nc_u32_e32 v65, v69, v65
	s_delay_alu instid0(VALU_DEP_3)
	v_add_nc_u32_e32 v49, v71, v59
	s_wait_alu 0xfffd
	v_cndmask_b32_e32 v28, v29, v75, vcc_lo
	v_cmp_eq_u32_e32 vcc_lo, 1, v48
	v_add_nc_u32_e32 v89, v65, v57
	v_sub_nc_u32_e32 v29, v90, v49
	s_delay_alu instid0(VALU_DEP_4)
	v_lshlrev_b32_e32 v21, 2, v28
	s_wait_alu 0xfffd
	v_cndmask_b32_e32 v24, v24, v60, vcc_lo
	v_cmp_eq_u32_e32 vcc_lo, 1, v23
	v_sub_nc_u32_e32 v48, v89, v7
	v_add_nc_u32_e32 v27, 5, v29
	v_add_nc_u32_e32 v66, v89, v66
	v_lshlrev_b32_e32 v24, 2, v24
	ds_store_b32 v21, v22
	ds_store_b32 v24, v19
	s_wait_alu 0xfffd
	v_cndmask_b32_e32 v23, v27, v59, vcc_lo
	v_cmp_eq_u32_e32 vcc_lo, 1, v26
	v_sub_nc_u32_e32 v27, v69, v7
	v_sub_nc_u32_e32 v26, v65, v7
	v_and_b32_e32 v24, 1, v58
	v_add_nc_u32_e32 v63, v66, v63
	s_wait_alu 0xfffd
	v_dual_cndmask_b32 v23, v23, v71 :: v_dual_add_nc_u32 v70, v72, v70
	s_delay_alu instid0(VALU_DEP_3) | instskip(SKIP_1) | instid1(VALU_DEP_3)
	v_cmp_eq_u32_e32 vcc_lo, 1, v24
	v_and_b32_e32 v24, 1, v57
	v_lshlrev_b32_e32 v19, 2, v23
	s_delay_alu instid0(VALU_DEP_4) | instskip(SKIP_3) | instid1(VALU_DEP_4)
	v_add_nc_u32_e32 v88, v70, v58
	v_sub_nc_u32_e32 v28, v70, v8
	v_and_b32_e32 v23, 1, v25
	v_add_nc_u32_e32 v62, v63, v62
	v_sub_nc_u32_e32 v29, v88, v8
	s_delay_alu instid0(VALU_DEP_4) | instskip(SKIP_1) | instid1(VALU_DEP_4)
	v_add_nc_u32_e32 v28, v28, v5
	v_add_nc_u32_e32 v68, v88, v68
	;; [unrolled: 1-line block ×3, first 2 shown]
	s_delay_alu instid0(VALU_DEP_4) | instskip(NEXT) | instid1(VALU_DEP_4)
	v_add_nc_u32_e32 v29, v29, v5
	v_add_nc_u32_e32 v30, v27, v28
	s_delay_alu instid0(VALU_DEP_4) | instskip(SKIP_1) | instid1(VALU_DEP_4)
	v_sub_nc_u32_e32 v25, v68, v8
	v_add_nc_u32_e32 v67, v68, v67
	v_add_nc_u32_e32 v21, v26, v29
	s_delay_alu instid0(VALU_DEP_4)
	v_sub_nc_u32_e32 v22, v90, v30
	v_and_b32_e32 v30, 1, v51
	v_add_nc_u32_e32 v25, v25, v5
	v_add_nc_u32_e32 v64, v67, v64
	v_sub_nc_u32_e32 v21, v90, v21
	v_add_nc_u32_e32 v22, 6, v22
	s_delay_alu instid0(VALU_DEP_3) | instskip(SKIP_1) | instid1(VALU_DEP_2)
	v_add_nc_u32_e32 v92, v64, v56
	s_wait_alu 0xfffd
	v_dual_cndmask_b32 v22, v22, v28 :: v_dual_add_nc_u32 v21, 7, v21
	v_cmp_eq_u32_e32 vcc_lo, 1, v30
	v_add_nc_u32_e32 v28, v48, v25
	v_add_nc_u32_e32 v61, v92, v61
	s_wait_alu 0xfffd
	v_cndmask_b32_e32 v21, v21, v29, vcc_lo
	v_cmp_eq_u32_e32 vcc_lo, 1, v23
	v_sub_nc_u32_e32 v23, v90, v28
	s_wait_alu 0xfffd
	v_cndmask_b32_e32 v22, v22, v27, vcc_lo
	v_cmp_eq_u32_e32 vcc_lo, 1, v24
	v_sub_nc_u32_e32 v24, v67, v8
	v_add_nc_u32_e32 v23, 8, v23
	v_sub_nc_u32_e32 v27, v66, v7
	v_lshlrev_b32_e32 v22, 2, v22
	s_wait_alu 0xfffd
	v_dual_cndmask_b32 v21, v21, v26 :: v_dual_add_nc_u32 v24, v24, v5
	v_cmp_eq_u32_e32 vcc_lo, 1, v12
	v_and_b32_e32 v26, 1, v52
	s_delay_alu instid0(VALU_DEP_3)
	v_lshlrev_b32_e32 v21, 2, v21
	ds_store_b32 v19, v20
	ds_store_b32 v22, v17
	;; [unrolled: 1-line block ×3, first 2 shown]
	s_wait_alu 0xfffd
	v_cndmask_b32_e32 v12, v23, v25, vcc_lo
	v_add_nc_u32_e32 v23, v27, v24
	v_cmp_eq_u32_e32 vcc_lo, 1, v26
	v_sub_nc_u32_e32 v18, v64, v8
	v_sub_nc_u32_e32 v19, v63, v7
	;; [unrolled: 1-line block ×4, first 2 shown]
	s_wait_alu 0xfffd
	v_cndmask_b32_e32 v12, v12, v48, vcc_lo
	v_add_nc_u32_e32 v18, v18, v5
	v_cmp_eq_u32_e32 vcc_lo, 1, v10
	v_add_nc_u32_e32 v20, v20, v5
	v_add_nc_u32_e32 v17, 9, v17
	v_lshlrev_b32_e32 v12, 2, v12
	v_add_nc_u32_e32 v21, v19, v18
	v_and_b32_e32 v22, 1, v50
	s_wait_alu 0xfffd
	v_cndmask_b32_e32 v10, v17, v24, vcc_lo
	v_sub_nc_u32_e32 v17, v62, v7
	ds_store_b32 v12, v15
	v_cmp_eq_u32_e32 vcc_lo, 1, v11
	v_sub_nc_u32_e32 v12, v90, v21
	v_and_b32_e32 v15, 1, v56
	v_add_nc_u32_e32 v11, v17, v20
	v_sub_nc_u32_e32 v21, v61, v8
	s_wait_alu 0xfffd
	v_cndmask_b32_e32 v10, v10, v27, vcc_lo
	v_add_nc_u32_e32 v12, 10, v12
	v_cmp_eq_u32_e32 vcc_lo, 1, v15
	v_sub_nc_u32_e32 v11, v90, v11
	v_sub_nc_u32_e32 v7, v78, v7
	v_add_nc_u32_e32 v21, v21, v5
	s_wait_alu 0xfffd
	v_dual_cndmask_b32 v12, v12, v18 :: v_dual_and_b32 v15, 1, v55
	v_add_nc_u32_e32 v11, 11, v11
	v_cmp_eq_u32_e32 vcc_lo, 1, v22
	v_add_nc_u32_e32 v18, v7, v21
	s_wait_alu 0xfffd
	s_delay_alu instid0(VALU_DEP_3)
	v_dual_cndmask_b32 v11, v11, v20 :: v_dual_lshlrev_b32 v10, 2, v10
	v_cmp_eq_u32_e32 vcc_lo, 1, v9
	s_wait_alu 0xfffd
	v_cndmask_b32_e32 v9, v12, v19, vcc_lo
	v_cmp_eq_u32_e32 vcc_lo, 1, v15
	v_sub_nc_u32_e32 v12, v90, v18
	v_and_b32_e32 v15, 1, v53
	s_delay_alu instid0(VALU_DEP_4) | instskip(SKIP_1) | instid1(VALU_DEP_3)
	v_lshlrev_b32_e32 v9, 2, v9
	s_wait_alu 0xfffd
	v_dual_cndmask_b32 v11, v11, v17 :: v_dual_add_nc_u32 v12, 12, v12
	v_and_b32_e32 v17, 1, v54
	v_cmp_eq_u32_e32 vcc_lo, 1, v15
	s_delay_alu instid0(VALU_DEP_3)
	v_lshlrev_b32_e32 v11, 2, v11
	ds_store_b32 v10, v16
	ds_store_b32 v9, v13
	;; [unrolled: 1-line block ×3, first 2 shown]
	s_wait_alu 0xfffd
	v_cndmask_b32_e32 v12, v12, v21, vcc_lo
	v_cmp_eq_u32_e32 vcc_lo, 1, v17
	v_add_co_u32 v9, s0, v6, v87
	s_wait_alu 0xf1ff
	v_add_co_ci_u32_e64 v10, null, 0, 0, s0
	s_wait_alu 0xfffd
	v_cndmask_b32_e32 v7, v12, v7, vcc_lo
	v_add_co_u32 v9, vcc_lo, v9, v46
	s_wait_alu 0xfffd
	v_add_co_ci_u32_e64 v10, null, v10, v47, vcc_lo
	s_delay_alu instid0(VALU_DEP_3)
	v_lshlrev_b32_e32 v7, 2, v7
	v_add_co_u32 v11, s0, s34, v43
	v_add_co_u32 v9, vcc_lo, v9, v1
	s_wait_alu 0xf1ff
	v_add_co_ci_u32_e64 v12, null, s35, 0, s0
	s_wait_alu 0xfffd
	v_add_co_ci_u32_e64 v10, null, v10, v2, vcc_lo
	ds_store_b32 v7, v45
	v_sub_co_u32 v7, vcc_lo, v11, v9
	s_wait_alu 0xfffd
	v_sub_co_ci_u32_e64 v13, null, v12, v10, vcc_lo
	v_lshlrev_b64_e32 v[9:10], 2, v[46:47]
	v_lshlrev_b64_e32 v[11:12], 2, v[1:2]
	v_add_nc_u32_e32 v14, v5, v6
	s_wait_loadcnt_dscnt 0x0
	s_barrier_signal -1
	s_barrier_wait -1
	v_add_co_u32 v9, vcc_lo, s30, v9
	s_wait_alu 0xfffd
	v_add_co_ci_u32_e64 v10, null, s31, v10, vcc_lo
	v_cmp_ne_u32_e32 vcc_lo, 1, v44
	v_add_co_u32 v11, s0, s28, v11
	s_wait_alu 0xf1ff
	v_add_co_ci_u32_e64 v12, null, s29, v12, s0
	s_mov_b32 s0, -1
	global_inv scope:SCOPE_SE
	s_cbranch_vccz .LBB1083_154
; %bb.151:
	s_wait_alu 0xfffe
	s_and_b32 vcc_lo, exec_lo, s0
	s_wait_alu 0xfffe
	s_cbranch_vccnz .LBB1083_259
.LBB1083_152:
	s_and_b32 s0, s2, s26
	s_wait_alu 0xfffe
	s_and_saveexec_b32 s1, s0
	s_cbranch_execnz .LBB1083_377
.LBB1083_153:
	s_nop 0
	s_sendmsg sendmsg(MSG_DEALLOC_VGPRS)
	s_endpgm
.LBB1083_154:
	s_mov_b32 s0, exec_lo
	v_cmpx_ge_u32_e64 v0, v5
	s_wait_alu 0xfffe
	s_xor_b32 s0, exec_lo, s0
	s_cbranch_execz .LBB1083_160
; %bb.155:
	s_mov_b32 s1, exec_lo
	v_cmpx_ge_u32_e64 v0, v14
	s_wait_alu 0xfffe
	s_xor_b32 s1, exec_lo, s1
	s_cbranch_execz .LBB1083_157
; %bb.156:
	v_lshlrev_b32_e32 v15, 2, v0
	ds_load_b32 v17, v15
	v_add_co_u32 v15, vcc_lo, v7, v0
	s_wait_alu 0xfffd
	v_add_co_ci_u32_e64 v16, null, 0, v13, vcc_lo
	s_delay_alu instid0(VALU_DEP_1) | instskip(NEXT) | instid1(VALU_DEP_1)
	v_lshlrev_b64_e32 v[15:16], 2, v[15:16]
	v_sub_co_u32 v15, vcc_lo, s14, v15
	s_wait_alu 0xfffd
	s_delay_alu instid0(VALU_DEP_2)
	v_sub_co_ci_u32_e64 v16, null, s15, v16, vcc_lo
	s_wait_dscnt 0x0
	global_store_b32 v[15:16], v17, off offset:-4
.LBB1083_157:
	s_wait_alu 0xfffe
	s_and_not1_saveexec_b32 s1, s1
	s_cbranch_execz .LBB1083_159
; %bb.158:
	v_lshlrev_b32_e32 v15, 2, v0
	v_readfirstlane_b32 s4, v9
	v_readfirstlane_b32 s5, v10
	ds_load_b32 v16, v15
	s_wait_dscnt 0x0
	global_store_b32 v15, v16, s[4:5]
.LBB1083_159:
	s_wait_alu 0xfffe
	s_or_b32 exec_lo, exec_lo, s1
.LBB1083_160:
	s_wait_alu 0xfffe
	s_and_not1_saveexec_b32 s0, s0
	s_cbranch_execz .LBB1083_162
; %bb.161:
	v_lshlrev_b32_e32 v15, 2, v0
	v_readfirstlane_b32 s4, v11
	v_readfirstlane_b32 s5, v12
	ds_load_b32 v16, v15
	s_wait_dscnt 0x0
	global_store_b32 v15, v16, s[4:5]
.LBB1083_162:
	s_wait_alu 0xfffe
	s_or_b32 exec_lo, exec_lo, s0
	s_delay_alu instid0(SALU_CYCLE_1)
	s_mov_b32 s0, exec_lo
	v_cmpx_ge_u32_e64 v42, v5
	s_wait_alu 0xfffe
	s_xor_b32 s0, exec_lo, s0
	s_cbranch_execz .LBB1083_168
; %bb.163:
	s_mov_b32 s1, exec_lo
	v_cmpx_ge_u32_e64 v42, v14
	s_wait_alu 0xfffe
	s_xor_b32 s1, exec_lo, s1
	s_cbranch_execz .LBB1083_165
; %bb.164:
	v_lshlrev_b32_e32 v15, 2, v0
	ds_load_b32 v17, v15 offset:1024
	v_add_co_u32 v15, vcc_lo, v7, v0
	s_wait_alu 0xfffd
	v_add_co_ci_u32_e64 v16, null, 0, v13, vcc_lo
	s_delay_alu instid0(VALU_DEP_1) | instskip(NEXT) | instid1(VALU_DEP_1)
	v_lshlrev_b64_e32 v[15:16], 2, v[15:16]
	v_sub_co_u32 v15, vcc_lo, s14, v15
	s_wait_alu 0xfffd
	s_delay_alu instid0(VALU_DEP_2)
	v_sub_co_ci_u32_e64 v16, null, s15, v16, vcc_lo
	s_wait_dscnt 0x0
	global_store_b32 v[15:16], v17, off offset:-1028
.LBB1083_165:
	s_wait_alu 0xfffe
	s_and_not1_saveexec_b32 s1, s1
	s_cbranch_execz .LBB1083_167
; %bb.166:
	v_lshlrev_b32_e32 v15, 2, v0
	v_readfirstlane_b32 s4, v9
	v_readfirstlane_b32 s5, v10
	ds_load_b32 v16, v15 offset:1024
	s_wait_dscnt 0x0
	global_store_b32 v15, v16, s[4:5] offset:1024
.LBB1083_167:
	s_wait_alu 0xfffe
	s_or_b32 exec_lo, exec_lo, s1
.LBB1083_168:
	s_wait_alu 0xfffe
	s_and_not1_saveexec_b32 s0, s0
	s_cbranch_execz .LBB1083_170
; %bb.169:
	v_lshlrev_b32_e32 v15, 2, v0
	v_readfirstlane_b32 s4, v11
	v_readfirstlane_b32 s5, v12
	ds_load_b32 v16, v15 offset:1024
	s_wait_dscnt 0x0
	global_store_b32 v15, v16, s[4:5] offset:1024
.LBB1083_170:
	s_wait_alu 0xfffe
	s_or_b32 exec_lo, exec_lo, s0
	s_delay_alu instid0(SALU_CYCLE_1)
	s_mov_b32 s0, exec_lo
	v_cmpx_ge_u32_e64 v41, v5
	s_wait_alu 0xfffe
	s_xor_b32 s0, exec_lo, s0
	s_cbranch_execz .LBB1083_176
; %bb.171:
	s_mov_b32 s1, exec_lo
	v_cmpx_ge_u32_e64 v41, v14
	s_wait_alu 0xfffe
	s_xor_b32 s1, exec_lo, s1
	s_cbranch_execz .LBB1083_173
; %bb.172:
	v_lshlrev_b32_e32 v15, 2, v0
	ds_load_b32 v17, v15 offset:2048
	v_add_co_u32 v15, vcc_lo, v7, v0
	s_wait_alu 0xfffd
	v_add_co_ci_u32_e64 v16, null, 0, v13, vcc_lo
	s_delay_alu instid0(VALU_DEP_1) | instskip(NEXT) | instid1(VALU_DEP_1)
	v_lshlrev_b64_e32 v[15:16], 2, v[15:16]
	v_sub_co_u32 v15, vcc_lo, s14, v15
	s_wait_alu 0xfffd
	s_delay_alu instid0(VALU_DEP_2)
	v_sub_co_ci_u32_e64 v16, null, s15, v16, vcc_lo
	s_wait_dscnt 0x0
	global_store_b32 v[15:16], v17, off offset:-2052
.LBB1083_173:
	s_wait_alu 0xfffe
	s_and_not1_saveexec_b32 s1, s1
	s_cbranch_execz .LBB1083_175
; %bb.174:
	v_lshlrev_b32_e32 v15, 2, v0
	v_readfirstlane_b32 s4, v9
	v_readfirstlane_b32 s5, v10
	ds_load_b32 v16, v15 offset:2048
	s_wait_dscnt 0x0
	global_store_b32 v15, v16, s[4:5] offset:2048
.LBB1083_175:
	s_wait_alu 0xfffe
	s_or_b32 exec_lo, exec_lo, s1
.LBB1083_176:
	s_wait_alu 0xfffe
	s_and_not1_saveexec_b32 s0, s0
	s_cbranch_execz .LBB1083_178
; %bb.177:
	v_lshlrev_b32_e32 v15, 2, v0
	v_readfirstlane_b32 s4, v11
	v_readfirstlane_b32 s5, v12
	ds_load_b32 v16, v15 offset:2048
	s_wait_dscnt 0x0
	global_store_b32 v15, v16, s[4:5] offset:2048
.LBB1083_178:
	;; [unrolled: 54-line block ×12, first 2 shown]
	s_wait_alu 0xfffe
	s_or_b32 exec_lo, exec_lo, s0
	s_branch .LBB1083_152
.LBB1083_259:
	s_mov_b32 s0, exec_lo
	v_cmpx_gt_u32_e64 s27, v0
	s_cbranch_execz .LBB1083_268
; %bb.260:
	s_mov_b32 s1, exec_lo
	v_cmpx_ge_u32_e64 v0, v5
	s_wait_alu 0xfffe
	s_xor_b32 s1, exec_lo, s1
	s_cbranch_execz .LBB1083_266
; %bb.261:
	s_mov_b32 s3, exec_lo
	v_cmpx_ge_u32_e64 v0, v14
	s_wait_alu 0xfffe
	s_xor_b32 s3, exec_lo, s3
	s_cbranch_execz .LBB1083_263
; %bb.262:
	v_lshlrev_b32_e32 v15, 2, v0
	ds_load_b32 v17, v15
	v_add_co_u32 v15, vcc_lo, v7, v0
	s_wait_alu 0xfffd
	v_add_co_ci_u32_e64 v16, null, 0, v13, vcc_lo
	s_delay_alu instid0(VALU_DEP_1) | instskip(NEXT) | instid1(VALU_DEP_1)
	v_lshlrev_b64_e32 v[15:16], 2, v[15:16]
	v_sub_co_u32 v15, vcc_lo, s14, v15
	s_wait_alu 0xfffd
	s_delay_alu instid0(VALU_DEP_2)
	v_sub_co_ci_u32_e64 v16, null, s15, v16, vcc_lo
	s_wait_dscnt 0x0
	global_store_b32 v[15:16], v17, off offset:-4
.LBB1083_263:
	s_wait_alu 0xfffe
	s_and_not1_saveexec_b32 s3, s3
	s_cbranch_execz .LBB1083_265
; %bb.264:
	v_lshlrev_b32_e32 v15, 2, v0
	v_readfirstlane_b32 s4, v9
	v_readfirstlane_b32 s5, v10
	ds_load_b32 v16, v15
	s_wait_dscnt 0x0
	global_store_b32 v15, v16, s[4:5]
.LBB1083_265:
	s_wait_alu 0xfffe
	s_or_b32 exec_lo, exec_lo, s3
.LBB1083_266:
	s_wait_alu 0xfffe
	s_and_not1_saveexec_b32 s1, s1
	s_cbranch_execz .LBB1083_268
; %bb.267:
	v_lshlrev_b32_e32 v15, 2, v0
	v_readfirstlane_b32 s4, v11
	v_readfirstlane_b32 s5, v12
	ds_load_b32 v16, v15
	s_wait_dscnt 0x0
	global_store_b32 v15, v16, s[4:5]
.LBB1083_268:
	s_wait_alu 0xfffe
	s_or_b32 exec_lo, exec_lo, s0
	s_delay_alu instid0(SALU_CYCLE_1)
	s_mov_b32 s0, exec_lo
	v_cmpx_gt_u32_e64 s27, v42
	s_cbranch_execz .LBB1083_277
; %bb.269:
	s_mov_b32 s1, exec_lo
	v_cmpx_ge_u32_e64 v42, v5
	s_wait_alu 0xfffe
	s_xor_b32 s1, exec_lo, s1
	s_cbranch_execz .LBB1083_275
; %bb.270:
	s_mov_b32 s3, exec_lo
	v_cmpx_ge_u32_e64 v42, v14
	s_wait_alu 0xfffe
	s_xor_b32 s3, exec_lo, s3
	s_cbranch_execz .LBB1083_272
; %bb.271:
	v_lshlrev_b32_e32 v15, 2, v0
	ds_load_b32 v17, v15 offset:1024
	v_add_co_u32 v15, vcc_lo, v7, v0
	s_wait_alu 0xfffd
	v_add_co_ci_u32_e64 v16, null, 0, v13, vcc_lo
	s_delay_alu instid0(VALU_DEP_1) | instskip(NEXT) | instid1(VALU_DEP_1)
	v_lshlrev_b64_e32 v[15:16], 2, v[15:16]
	v_sub_co_u32 v15, vcc_lo, s14, v15
	s_wait_alu 0xfffd
	s_delay_alu instid0(VALU_DEP_2)
	v_sub_co_ci_u32_e64 v16, null, s15, v16, vcc_lo
	s_wait_dscnt 0x0
	global_store_b32 v[15:16], v17, off offset:-1028
.LBB1083_272:
	s_wait_alu 0xfffe
	s_and_not1_saveexec_b32 s3, s3
	s_cbranch_execz .LBB1083_274
; %bb.273:
	v_lshlrev_b32_e32 v15, 2, v0
	v_readfirstlane_b32 s4, v9
	v_readfirstlane_b32 s5, v10
	ds_load_b32 v16, v15 offset:1024
	s_wait_dscnt 0x0
	global_store_b32 v15, v16, s[4:5] offset:1024
.LBB1083_274:
	s_wait_alu 0xfffe
	s_or_b32 exec_lo, exec_lo, s3
.LBB1083_275:
	s_wait_alu 0xfffe
	s_and_not1_saveexec_b32 s1, s1
	s_cbranch_execz .LBB1083_277
; %bb.276:
	v_lshlrev_b32_e32 v15, 2, v0
	v_readfirstlane_b32 s4, v11
	v_readfirstlane_b32 s5, v12
	ds_load_b32 v16, v15 offset:1024
	s_wait_dscnt 0x0
	global_store_b32 v15, v16, s[4:5] offset:1024
.LBB1083_277:
	s_wait_alu 0xfffe
	s_or_b32 exec_lo, exec_lo, s0
	s_delay_alu instid0(SALU_CYCLE_1)
	s_mov_b32 s0, exec_lo
	v_cmpx_gt_u32_e64 s27, v41
	s_cbranch_execz .LBB1083_286
; %bb.278:
	s_mov_b32 s1, exec_lo
	v_cmpx_ge_u32_e64 v41, v5
	s_wait_alu 0xfffe
	s_xor_b32 s1, exec_lo, s1
	s_cbranch_execz .LBB1083_284
; %bb.279:
	s_mov_b32 s3, exec_lo
	v_cmpx_ge_u32_e64 v41, v14
	s_wait_alu 0xfffe
	s_xor_b32 s3, exec_lo, s3
	s_cbranch_execz .LBB1083_281
; %bb.280:
	v_lshlrev_b32_e32 v15, 2, v0
	ds_load_b32 v17, v15 offset:2048
	v_add_co_u32 v15, vcc_lo, v7, v0
	s_wait_alu 0xfffd
	v_add_co_ci_u32_e64 v16, null, 0, v13, vcc_lo
	s_delay_alu instid0(VALU_DEP_1) | instskip(NEXT) | instid1(VALU_DEP_1)
	v_lshlrev_b64_e32 v[15:16], 2, v[15:16]
	v_sub_co_u32 v15, vcc_lo, s14, v15
	s_wait_alu 0xfffd
	s_delay_alu instid0(VALU_DEP_2)
	v_sub_co_ci_u32_e64 v16, null, s15, v16, vcc_lo
	s_wait_dscnt 0x0
	global_store_b32 v[15:16], v17, off offset:-2052
.LBB1083_281:
	s_wait_alu 0xfffe
	s_and_not1_saveexec_b32 s3, s3
	s_cbranch_execz .LBB1083_283
; %bb.282:
	v_lshlrev_b32_e32 v15, 2, v0
	v_readfirstlane_b32 s4, v9
	v_readfirstlane_b32 s5, v10
	ds_load_b32 v16, v15 offset:2048
	s_wait_dscnt 0x0
	global_store_b32 v15, v16, s[4:5] offset:2048
.LBB1083_283:
	s_wait_alu 0xfffe
	s_or_b32 exec_lo, exec_lo, s3
.LBB1083_284:
	s_wait_alu 0xfffe
	s_and_not1_saveexec_b32 s1, s1
	s_cbranch_execz .LBB1083_286
; %bb.285:
	v_lshlrev_b32_e32 v15, 2, v0
	v_readfirstlane_b32 s4, v11
	v_readfirstlane_b32 s5, v12
	ds_load_b32 v16, v15 offset:2048
	s_wait_dscnt 0x0
	global_store_b32 v15, v16, s[4:5] offset:2048
.LBB1083_286:
	;; [unrolled: 58-line block ×11, first 2 shown]
	s_wait_alu 0xfffe
	s_or_b32 exec_lo, exec_lo, s0
	s_delay_alu instid0(SALU_CYCLE_1)
	s_mov_b32 s0, exec_lo
	v_cmpx_gt_u32_e64 s27, v31
	s_cbranch_execz .LBB1083_376
; %bb.368:
	s_mov_b32 s1, exec_lo
	v_cmpx_ge_u32_e64 v31, v5
	s_wait_alu 0xfffe
	s_xor_b32 s1, exec_lo, s1
	s_cbranch_execz .LBB1083_374
; %bb.369:
	s_mov_b32 s3, exec_lo
	v_cmpx_ge_u32_e64 v31, v14
	s_wait_alu 0xfffe
	s_xor_b32 s3, exec_lo, s3
	s_cbranch_execz .LBB1083_371
; %bb.370:
	v_lshlrev_b32_e32 v9, 2, v0
	ds_load_b32 v11, v9 offset:12288
	v_add_co_u32 v9, vcc_lo, v7, v0
	s_wait_alu 0xfffd
	v_add_co_ci_u32_e64 v10, null, 0, v13, vcc_lo
                                        ; implicit-def: $vgpr0
	s_delay_alu instid0(VALU_DEP_1) | instskip(NEXT) | instid1(VALU_DEP_1)
	v_lshlrev_b64_e32 v[9:10], 2, v[9:10]
	v_sub_co_u32 v9, vcc_lo, s14, v9
	s_wait_alu 0xfffd
	s_delay_alu instid0(VALU_DEP_2)
	v_sub_co_ci_u32_e64 v10, null, s15, v10, vcc_lo
	s_wait_dscnt 0x0
	global_store_b32 v[9:10], v11, off offset:-12292
                                        ; implicit-def: $vgpr9_vgpr10
.LBB1083_371:
	s_wait_alu 0xfffe
	s_and_not1_saveexec_b32 s3, s3
	s_cbranch_execz .LBB1083_373
; %bb.372:
	v_lshlrev_b32_e32 v0, 2, v0
	v_readfirstlane_b32 s4, v9
	v_readfirstlane_b32 s5, v10
	ds_load_b32 v7, v0 offset:12288
	s_wait_dscnt 0x0
	global_store_b32 v0, v7, s[4:5] offset:12288
.LBB1083_373:
	s_wait_alu 0xfffe
	s_or_b32 exec_lo, exec_lo, s3
                                        ; implicit-def: $vgpr0
                                        ; implicit-def: $vgpr11_vgpr12
.LBB1083_374:
	s_wait_alu 0xfffe
	s_and_not1_saveexec_b32 s1, s1
	s_cbranch_execz .LBB1083_376
; %bb.375:
	v_lshlrev_b32_e32 v0, 2, v0
	v_readfirstlane_b32 s4, v11
	v_readfirstlane_b32 s5, v12
	ds_load_b32 v7, v0 offset:12288
	s_wait_dscnt 0x0
	global_store_b32 v0, v7, s[4:5] offset:12288
.LBB1083_376:
	s_wait_alu 0xfffe
	s_or_b32 exec_lo, exec_lo, s0
	s_and_b32 s0, s2, s26
	s_wait_alu 0xfffe
	s_and_saveexec_b32 s1, s0
	s_cbranch_execz .LBB1083_153
.LBB1083_377:
	v_add_co_u32 v0, vcc_lo, v3, v6
	s_wait_alu 0xfffd
	v_add_co_ci_u32_e64 v4, null, 0, v4, vcc_lo
	v_mov_b32_e32 v6, 0
	s_delay_alu instid0(VALU_DEP_3) | instskip(SKIP_1) | instid1(VALU_DEP_3)
	v_add_co_u32 v3, vcc_lo, v0, v8
	s_wait_alu 0xfffd
	v_add_co_ci_u32_e64 v4, null, 0, v4, vcc_lo
	v_add_co_u32 v1, vcc_lo, v1, v5
	s_wait_alu 0xfffd
	v_add_co_ci_u32_e64 v2, null, 0, v2, vcc_lo
	global_store_b128 v6, v[1:4], s[24:25]
	s_nop 0
	s_sendmsg sendmsg(MSG_DEALLOC_VGPRS)
	s_endpgm
.LBB1083_378:
	s_add_co_i32 s6, s33, 32
	s_mov_b32 s7, 0
	v_dual_mov_b32 v11, 2 :: v_dual_add_nc_u32 v10, v8, v6
	s_wait_alu 0xfffe
	s_lshl_b64 s[6:7], s[6:7], 4
	v_dual_mov_b32 v12, 0 :: v_dual_add_nc_u32 v9, v7, v5
	s_wait_alu 0xfffe
	s_add_nc_u64 s[6:7], s[36:37], s[6:7]
	s_wait_alu 0xfffe
	v_dual_mov_b32 v28, s7 :: v_dual_mov_b32 v27, s6
	;;#ASMSTART
	global_store_b128 v[27:28], v[9:12] off scope:SCOPE_DEV	
s_wait_storecnt 0x0
	;;#ASMEND
	s_or_b32 exec_lo, exec_lo, s5
	s_and_saveexec_b32 s5, s3
	s_cbranch_execz .LBB1083_138
.LBB1083_379:
	v_mov_b32_e32 v9, 0
	ds_store_b128 v9, v[5:8] offset:13312
	s_wait_alu 0xfffe
	s_or_b32 exec_lo, exec_lo, s5
	s_delay_alu instid0(SALU_CYCLE_1)
	s_and_b32 exec_lo, exec_lo, s2
	s_cbranch_execnz .LBB1083_139
	s_branch .LBB1083_140
	.section	.rodata,"a",@progbits
	.p2align	6, 0x0
	.amdhsa_kernel _ZN7rocprim17ROCPRIM_400000_NS6detail17trampoline_kernelINS0_13select_configILj256ELj13ELNS0_17block_load_methodE3ELS4_3ELS4_3ELNS0_20block_scan_algorithmE0ELj4294967295EEENS1_25partition_config_selectorILNS1_17partition_subalgoE4EjNS0_10empty_typeEbEEZZNS1_14partition_implILS8_4ELb0ES6_15HIP_vector_typeIjLj2EENS0_17counting_iteratorIjlEEPS9_SG_NS0_5tupleIJPjSI_NS0_16reverse_iteratorISI_EEEEENSH_IJSG_SG_SG_EEES9_SI_JZNS1_25segmented_radix_sort_implINS0_14default_configELb1EPKdPdPKlPlN2at6native12_GLOBAL__N_18offset_tEEE10hipError_tPvRmT1_PNSt15iterator_traitsIS12_E10value_typeET2_T3_PNS13_IS18_E10value_typeET4_jRbjT5_S1E_jjP12ihipStream_tbEUljE_ZNSN_ISO_Lb1ESQ_SR_ST_SU_SY_EESZ_S10_S11_S12_S16_S17_S18_S1B_S1C_jS1D_jS1E_S1E_jjS1G_bEUljE0_EEESZ_S10_S11_S18_S1C_S1E_T6_T7_T9_mT8_S1G_bDpT10_ENKUlT_T0_E_clISt17integral_constantIbLb0EES1T_IbLb1EEEEDaS1P_S1Q_EUlS1P_E_NS1_11comp_targetILNS1_3genE10ELNS1_11target_archE1200ELNS1_3gpuE4ELNS1_3repE0EEENS1_30default_config_static_selectorELNS0_4arch9wavefront6targetE0EEEvS12_
		.amdhsa_group_segment_fixed_size 13328
		.amdhsa_private_segment_fixed_size 0
		.amdhsa_kernarg_size 184
		.amdhsa_user_sgpr_count 2
		.amdhsa_user_sgpr_dispatch_ptr 0
		.amdhsa_user_sgpr_queue_ptr 0
		.amdhsa_user_sgpr_kernarg_segment_ptr 1
		.amdhsa_user_sgpr_dispatch_id 0
		.amdhsa_user_sgpr_private_segment_size 0
		.amdhsa_wavefront_size32 1
		.amdhsa_uses_dynamic_stack 0
		.amdhsa_enable_private_segment 0
		.amdhsa_system_sgpr_workgroup_id_x 1
		.amdhsa_system_sgpr_workgroup_id_y 0
		.amdhsa_system_sgpr_workgroup_id_z 0
		.amdhsa_system_sgpr_workgroup_info 0
		.amdhsa_system_vgpr_workitem_id 0
		.amdhsa_next_free_vgpr 98
		.amdhsa_next_free_sgpr 55
		.amdhsa_reserve_vcc 1
		.amdhsa_float_round_mode_32 0
		.amdhsa_float_round_mode_16_64 0
		.amdhsa_float_denorm_mode_32 3
		.amdhsa_float_denorm_mode_16_64 3
		.amdhsa_fp16_overflow 0
		.amdhsa_workgroup_processor_mode 1
		.amdhsa_memory_ordered 1
		.amdhsa_forward_progress 1
		.amdhsa_inst_pref_size 151
		.amdhsa_round_robin_scheduling 0
		.amdhsa_exception_fp_ieee_invalid_op 0
		.amdhsa_exception_fp_denorm_src 0
		.amdhsa_exception_fp_ieee_div_zero 0
		.amdhsa_exception_fp_ieee_overflow 0
		.amdhsa_exception_fp_ieee_underflow 0
		.amdhsa_exception_fp_ieee_inexact 0
		.amdhsa_exception_int_div_zero 0
	.end_amdhsa_kernel
	.section	.text._ZN7rocprim17ROCPRIM_400000_NS6detail17trampoline_kernelINS0_13select_configILj256ELj13ELNS0_17block_load_methodE3ELS4_3ELS4_3ELNS0_20block_scan_algorithmE0ELj4294967295EEENS1_25partition_config_selectorILNS1_17partition_subalgoE4EjNS0_10empty_typeEbEEZZNS1_14partition_implILS8_4ELb0ES6_15HIP_vector_typeIjLj2EENS0_17counting_iteratorIjlEEPS9_SG_NS0_5tupleIJPjSI_NS0_16reverse_iteratorISI_EEEEENSH_IJSG_SG_SG_EEES9_SI_JZNS1_25segmented_radix_sort_implINS0_14default_configELb1EPKdPdPKlPlN2at6native12_GLOBAL__N_18offset_tEEE10hipError_tPvRmT1_PNSt15iterator_traitsIS12_E10value_typeET2_T3_PNS13_IS18_E10value_typeET4_jRbjT5_S1E_jjP12ihipStream_tbEUljE_ZNSN_ISO_Lb1ESQ_SR_ST_SU_SY_EESZ_S10_S11_S12_S16_S17_S18_S1B_S1C_jS1D_jS1E_S1E_jjS1G_bEUljE0_EEESZ_S10_S11_S18_S1C_S1E_T6_T7_T9_mT8_S1G_bDpT10_ENKUlT_T0_E_clISt17integral_constantIbLb0EES1T_IbLb1EEEEDaS1P_S1Q_EUlS1P_E_NS1_11comp_targetILNS1_3genE10ELNS1_11target_archE1200ELNS1_3gpuE4ELNS1_3repE0EEENS1_30default_config_static_selectorELNS0_4arch9wavefront6targetE0EEEvS12_,"axG",@progbits,_ZN7rocprim17ROCPRIM_400000_NS6detail17trampoline_kernelINS0_13select_configILj256ELj13ELNS0_17block_load_methodE3ELS4_3ELS4_3ELNS0_20block_scan_algorithmE0ELj4294967295EEENS1_25partition_config_selectorILNS1_17partition_subalgoE4EjNS0_10empty_typeEbEEZZNS1_14partition_implILS8_4ELb0ES6_15HIP_vector_typeIjLj2EENS0_17counting_iteratorIjlEEPS9_SG_NS0_5tupleIJPjSI_NS0_16reverse_iteratorISI_EEEEENSH_IJSG_SG_SG_EEES9_SI_JZNS1_25segmented_radix_sort_implINS0_14default_configELb1EPKdPdPKlPlN2at6native12_GLOBAL__N_18offset_tEEE10hipError_tPvRmT1_PNSt15iterator_traitsIS12_E10value_typeET2_T3_PNS13_IS18_E10value_typeET4_jRbjT5_S1E_jjP12ihipStream_tbEUljE_ZNSN_ISO_Lb1ESQ_SR_ST_SU_SY_EESZ_S10_S11_S12_S16_S17_S18_S1B_S1C_jS1D_jS1E_S1E_jjS1G_bEUljE0_EEESZ_S10_S11_S18_S1C_S1E_T6_T7_T9_mT8_S1G_bDpT10_ENKUlT_T0_E_clISt17integral_constantIbLb0EES1T_IbLb1EEEEDaS1P_S1Q_EUlS1P_E_NS1_11comp_targetILNS1_3genE10ELNS1_11target_archE1200ELNS1_3gpuE4ELNS1_3repE0EEENS1_30default_config_static_selectorELNS0_4arch9wavefront6targetE0EEEvS12_,comdat
.Lfunc_end1083:
	.size	_ZN7rocprim17ROCPRIM_400000_NS6detail17trampoline_kernelINS0_13select_configILj256ELj13ELNS0_17block_load_methodE3ELS4_3ELS4_3ELNS0_20block_scan_algorithmE0ELj4294967295EEENS1_25partition_config_selectorILNS1_17partition_subalgoE4EjNS0_10empty_typeEbEEZZNS1_14partition_implILS8_4ELb0ES6_15HIP_vector_typeIjLj2EENS0_17counting_iteratorIjlEEPS9_SG_NS0_5tupleIJPjSI_NS0_16reverse_iteratorISI_EEEEENSH_IJSG_SG_SG_EEES9_SI_JZNS1_25segmented_radix_sort_implINS0_14default_configELb1EPKdPdPKlPlN2at6native12_GLOBAL__N_18offset_tEEE10hipError_tPvRmT1_PNSt15iterator_traitsIS12_E10value_typeET2_T3_PNS13_IS18_E10value_typeET4_jRbjT5_S1E_jjP12ihipStream_tbEUljE_ZNSN_ISO_Lb1ESQ_SR_ST_SU_SY_EESZ_S10_S11_S12_S16_S17_S18_S1B_S1C_jS1D_jS1E_S1E_jjS1G_bEUljE0_EEESZ_S10_S11_S18_S1C_S1E_T6_T7_T9_mT8_S1G_bDpT10_ENKUlT_T0_E_clISt17integral_constantIbLb0EES1T_IbLb1EEEEDaS1P_S1Q_EUlS1P_E_NS1_11comp_targetILNS1_3genE10ELNS1_11target_archE1200ELNS1_3gpuE4ELNS1_3repE0EEENS1_30default_config_static_selectorELNS0_4arch9wavefront6targetE0EEEvS12_, .Lfunc_end1083-_ZN7rocprim17ROCPRIM_400000_NS6detail17trampoline_kernelINS0_13select_configILj256ELj13ELNS0_17block_load_methodE3ELS4_3ELS4_3ELNS0_20block_scan_algorithmE0ELj4294967295EEENS1_25partition_config_selectorILNS1_17partition_subalgoE4EjNS0_10empty_typeEbEEZZNS1_14partition_implILS8_4ELb0ES6_15HIP_vector_typeIjLj2EENS0_17counting_iteratorIjlEEPS9_SG_NS0_5tupleIJPjSI_NS0_16reverse_iteratorISI_EEEEENSH_IJSG_SG_SG_EEES9_SI_JZNS1_25segmented_radix_sort_implINS0_14default_configELb1EPKdPdPKlPlN2at6native12_GLOBAL__N_18offset_tEEE10hipError_tPvRmT1_PNSt15iterator_traitsIS12_E10value_typeET2_T3_PNS13_IS18_E10value_typeET4_jRbjT5_S1E_jjP12ihipStream_tbEUljE_ZNSN_ISO_Lb1ESQ_SR_ST_SU_SY_EESZ_S10_S11_S12_S16_S17_S18_S1B_S1C_jS1D_jS1E_S1E_jjS1G_bEUljE0_EEESZ_S10_S11_S18_S1C_S1E_T6_T7_T9_mT8_S1G_bDpT10_ENKUlT_T0_E_clISt17integral_constantIbLb0EES1T_IbLb1EEEEDaS1P_S1Q_EUlS1P_E_NS1_11comp_targetILNS1_3genE10ELNS1_11target_archE1200ELNS1_3gpuE4ELNS1_3repE0EEENS1_30default_config_static_selectorELNS0_4arch9wavefront6targetE0EEEvS12_
                                        ; -- End function
	.set _ZN7rocprim17ROCPRIM_400000_NS6detail17trampoline_kernelINS0_13select_configILj256ELj13ELNS0_17block_load_methodE3ELS4_3ELS4_3ELNS0_20block_scan_algorithmE0ELj4294967295EEENS1_25partition_config_selectorILNS1_17partition_subalgoE4EjNS0_10empty_typeEbEEZZNS1_14partition_implILS8_4ELb0ES6_15HIP_vector_typeIjLj2EENS0_17counting_iteratorIjlEEPS9_SG_NS0_5tupleIJPjSI_NS0_16reverse_iteratorISI_EEEEENSH_IJSG_SG_SG_EEES9_SI_JZNS1_25segmented_radix_sort_implINS0_14default_configELb1EPKdPdPKlPlN2at6native12_GLOBAL__N_18offset_tEEE10hipError_tPvRmT1_PNSt15iterator_traitsIS12_E10value_typeET2_T3_PNS13_IS18_E10value_typeET4_jRbjT5_S1E_jjP12ihipStream_tbEUljE_ZNSN_ISO_Lb1ESQ_SR_ST_SU_SY_EESZ_S10_S11_S12_S16_S17_S18_S1B_S1C_jS1D_jS1E_S1E_jjS1G_bEUljE0_EEESZ_S10_S11_S18_S1C_S1E_T6_T7_T9_mT8_S1G_bDpT10_ENKUlT_T0_E_clISt17integral_constantIbLb0EES1T_IbLb1EEEEDaS1P_S1Q_EUlS1P_E_NS1_11comp_targetILNS1_3genE10ELNS1_11target_archE1200ELNS1_3gpuE4ELNS1_3repE0EEENS1_30default_config_static_selectorELNS0_4arch9wavefront6targetE0EEEvS12_.num_vgpr, 98
	.set _ZN7rocprim17ROCPRIM_400000_NS6detail17trampoline_kernelINS0_13select_configILj256ELj13ELNS0_17block_load_methodE3ELS4_3ELS4_3ELNS0_20block_scan_algorithmE0ELj4294967295EEENS1_25partition_config_selectorILNS1_17partition_subalgoE4EjNS0_10empty_typeEbEEZZNS1_14partition_implILS8_4ELb0ES6_15HIP_vector_typeIjLj2EENS0_17counting_iteratorIjlEEPS9_SG_NS0_5tupleIJPjSI_NS0_16reverse_iteratorISI_EEEEENSH_IJSG_SG_SG_EEES9_SI_JZNS1_25segmented_radix_sort_implINS0_14default_configELb1EPKdPdPKlPlN2at6native12_GLOBAL__N_18offset_tEEE10hipError_tPvRmT1_PNSt15iterator_traitsIS12_E10value_typeET2_T3_PNS13_IS18_E10value_typeET4_jRbjT5_S1E_jjP12ihipStream_tbEUljE_ZNSN_ISO_Lb1ESQ_SR_ST_SU_SY_EESZ_S10_S11_S12_S16_S17_S18_S1B_S1C_jS1D_jS1E_S1E_jjS1G_bEUljE0_EEESZ_S10_S11_S18_S1C_S1E_T6_T7_T9_mT8_S1G_bDpT10_ENKUlT_T0_E_clISt17integral_constantIbLb0EES1T_IbLb1EEEEDaS1P_S1Q_EUlS1P_E_NS1_11comp_targetILNS1_3genE10ELNS1_11target_archE1200ELNS1_3gpuE4ELNS1_3repE0EEENS1_30default_config_static_selectorELNS0_4arch9wavefront6targetE0EEEvS12_.num_agpr, 0
	.set _ZN7rocprim17ROCPRIM_400000_NS6detail17trampoline_kernelINS0_13select_configILj256ELj13ELNS0_17block_load_methodE3ELS4_3ELS4_3ELNS0_20block_scan_algorithmE0ELj4294967295EEENS1_25partition_config_selectorILNS1_17partition_subalgoE4EjNS0_10empty_typeEbEEZZNS1_14partition_implILS8_4ELb0ES6_15HIP_vector_typeIjLj2EENS0_17counting_iteratorIjlEEPS9_SG_NS0_5tupleIJPjSI_NS0_16reverse_iteratorISI_EEEEENSH_IJSG_SG_SG_EEES9_SI_JZNS1_25segmented_radix_sort_implINS0_14default_configELb1EPKdPdPKlPlN2at6native12_GLOBAL__N_18offset_tEEE10hipError_tPvRmT1_PNSt15iterator_traitsIS12_E10value_typeET2_T3_PNS13_IS18_E10value_typeET4_jRbjT5_S1E_jjP12ihipStream_tbEUljE_ZNSN_ISO_Lb1ESQ_SR_ST_SU_SY_EESZ_S10_S11_S12_S16_S17_S18_S1B_S1C_jS1D_jS1E_S1E_jjS1G_bEUljE0_EEESZ_S10_S11_S18_S1C_S1E_T6_T7_T9_mT8_S1G_bDpT10_ENKUlT_T0_E_clISt17integral_constantIbLb0EES1T_IbLb1EEEEDaS1P_S1Q_EUlS1P_E_NS1_11comp_targetILNS1_3genE10ELNS1_11target_archE1200ELNS1_3gpuE4ELNS1_3repE0EEENS1_30default_config_static_selectorELNS0_4arch9wavefront6targetE0EEEvS12_.numbered_sgpr, 55
	.set _ZN7rocprim17ROCPRIM_400000_NS6detail17trampoline_kernelINS0_13select_configILj256ELj13ELNS0_17block_load_methodE3ELS4_3ELS4_3ELNS0_20block_scan_algorithmE0ELj4294967295EEENS1_25partition_config_selectorILNS1_17partition_subalgoE4EjNS0_10empty_typeEbEEZZNS1_14partition_implILS8_4ELb0ES6_15HIP_vector_typeIjLj2EENS0_17counting_iteratorIjlEEPS9_SG_NS0_5tupleIJPjSI_NS0_16reverse_iteratorISI_EEEEENSH_IJSG_SG_SG_EEES9_SI_JZNS1_25segmented_radix_sort_implINS0_14default_configELb1EPKdPdPKlPlN2at6native12_GLOBAL__N_18offset_tEEE10hipError_tPvRmT1_PNSt15iterator_traitsIS12_E10value_typeET2_T3_PNS13_IS18_E10value_typeET4_jRbjT5_S1E_jjP12ihipStream_tbEUljE_ZNSN_ISO_Lb1ESQ_SR_ST_SU_SY_EESZ_S10_S11_S12_S16_S17_S18_S1B_S1C_jS1D_jS1E_S1E_jjS1G_bEUljE0_EEESZ_S10_S11_S18_S1C_S1E_T6_T7_T9_mT8_S1G_bDpT10_ENKUlT_T0_E_clISt17integral_constantIbLb0EES1T_IbLb1EEEEDaS1P_S1Q_EUlS1P_E_NS1_11comp_targetILNS1_3genE10ELNS1_11target_archE1200ELNS1_3gpuE4ELNS1_3repE0EEENS1_30default_config_static_selectorELNS0_4arch9wavefront6targetE0EEEvS12_.num_named_barrier, 0
	.set _ZN7rocprim17ROCPRIM_400000_NS6detail17trampoline_kernelINS0_13select_configILj256ELj13ELNS0_17block_load_methodE3ELS4_3ELS4_3ELNS0_20block_scan_algorithmE0ELj4294967295EEENS1_25partition_config_selectorILNS1_17partition_subalgoE4EjNS0_10empty_typeEbEEZZNS1_14partition_implILS8_4ELb0ES6_15HIP_vector_typeIjLj2EENS0_17counting_iteratorIjlEEPS9_SG_NS0_5tupleIJPjSI_NS0_16reverse_iteratorISI_EEEEENSH_IJSG_SG_SG_EEES9_SI_JZNS1_25segmented_radix_sort_implINS0_14default_configELb1EPKdPdPKlPlN2at6native12_GLOBAL__N_18offset_tEEE10hipError_tPvRmT1_PNSt15iterator_traitsIS12_E10value_typeET2_T3_PNS13_IS18_E10value_typeET4_jRbjT5_S1E_jjP12ihipStream_tbEUljE_ZNSN_ISO_Lb1ESQ_SR_ST_SU_SY_EESZ_S10_S11_S12_S16_S17_S18_S1B_S1C_jS1D_jS1E_S1E_jjS1G_bEUljE0_EEESZ_S10_S11_S18_S1C_S1E_T6_T7_T9_mT8_S1G_bDpT10_ENKUlT_T0_E_clISt17integral_constantIbLb0EES1T_IbLb1EEEEDaS1P_S1Q_EUlS1P_E_NS1_11comp_targetILNS1_3genE10ELNS1_11target_archE1200ELNS1_3gpuE4ELNS1_3repE0EEENS1_30default_config_static_selectorELNS0_4arch9wavefront6targetE0EEEvS12_.private_seg_size, 0
	.set _ZN7rocprim17ROCPRIM_400000_NS6detail17trampoline_kernelINS0_13select_configILj256ELj13ELNS0_17block_load_methodE3ELS4_3ELS4_3ELNS0_20block_scan_algorithmE0ELj4294967295EEENS1_25partition_config_selectorILNS1_17partition_subalgoE4EjNS0_10empty_typeEbEEZZNS1_14partition_implILS8_4ELb0ES6_15HIP_vector_typeIjLj2EENS0_17counting_iteratorIjlEEPS9_SG_NS0_5tupleIJPjSI_NS0_16reverse_iteratorISI_EEEEENSH_IJSG_SG_SG_EEES9_SI_JZNS1_25segmented_radix_sort_implINS0_14default_configELb1EPKdPdPKlPlN2at6native12_GLOBAL__N_18offset_tEEE10hipError_tPvRmT1_PNSt15iterator_traitsIS12_E10value_typeET2_T3_PNS13_IS18_E10value_typeET4_jRbjT5_S1E_jjP12ihipStream_tbEUljE_ZNSN_ISO_Lb1ESQ_SR_ST_SU_SY_EESZ_S10_S11_S12_S16_S17_S18_S1B_S1C_jS1D_jS1E_S1E_jjS1G_bEUljE0_EEESZ_S10_S11_S18_S1C_S1E_T6_T7_T9_mT8_S1G_bDpT10_ENKUlT_T0_E_clISt17integral_constantIbLb0EES1T_IbLb1EEEEDaS1P_S1Q_EUlS1P_E_NS1_11comp_targetILNS1_3genE10ELNS1_11target_archE1200ELNS1_3gpuE4ELNS1_3repE0EEENS1_30default_config_static_selectorELNS0_4arch9wavefront6targetE0EEEvS12_.uses_vcc, 1
	.set _ZN7rocprim17ROCPRIM_400000_NS6detail17trampoline_kernelINS0_13select_configILj256ELj13ELNS0_17block_load_methodE3ELS4_3ELS4_3ELNS0_20block_scan_algorithmE0ELj4294967295EEENS1_25partition_config_selectorILNS1_17partition_subalgoE4EjNS0_10empty_typeEbEEZZNS1_14partition_implILS8_4ELb0ES6_15HIP_vector_typeIjLj2EENS0_17counting_iteratorIjlEEPS9_SG_NS0_5tupleIJPjSI_NS0_16reverse_iteratorISI_EEEEENSH_IJSG_SG_SG_EEES9_SI_JZNS1_25segmented_radix_sort_implINS0_14default_configELb1EPKdPdPKlPlN2at6native12_GLOBAL__N_18offset_tEEE10hipError_tPvRmT1_PNSt15iterator_traitsIS12_E10value_typeET2_T3_PNS13_IS18_E10value_typeET4_jRbjT5_S1E_jjP12ihipStream_tbEUljE_ZNSN_ISO_Lb1ESQ_SR_ST_SU_SY_EESZ_S10_S11_S12_S16_S17_S18_S1B_S1C_jS1D_jS1E_S1E_jjS1G_bEUljE0_EEESZ_S10_S11_S18_S1C_S1E_T6_T7_T9_mT8_S1G_bDpT10_ENKUlT_T0_E_clISt17integral_constantIbLb0EES1T_IbLb1EEEEDaS1P_S1Q_EUlS1P_E_NS1_11comp_targetILNS1_3genE10ELNS1_11target_archE1200ELNS1_3gpuE4ELNS1_3repE0EEENS1_30default_config_static_selectorELNS0_4arch9wavefront6targetE0EEEvS12_.uses_flat_scratch, 0
	.set _ZN7rocprim17ROCPRIM_400000_NS6detail17trampoline_kernelINS0_13select_configILj256ELj13ELNS0_17block_load_methodE3ELS4_3ELS4_3ELNS0_20block_scan_algorithmE0ELj4294967295EEENS1_25partition_config_selectorILNS1_17partition_subalgoE4EjNS0_10empty_typeEbEEZZNS1_14partition_implILS8_4ELb0ES6_15HIP_vector_typeIjLj2EENS0_17counting_iteratorIjlEEPS9_SG_NS0_5tupleIJPjSI_NS0_16reverse_iteratorISI_EEEEENSH_IJSG_SG_SG_EEES9_SI_JZNS1_25segmented_radix_sort_implINS0_14default_configELb1EPKdPdPKlPlN2at6native12_GLOBAL__N_18offset_tEEE10hipError_tPvRmT1_PNSt15iterator_traitsIS12_E10value_typeET2_T3_PNS13_IS18_E10value_typeET4_jRbjT5_S1E_jjP12ihipStream_tbEUljE_ZNSN_ISO_Lb1ESQ_SR_ST_SU_SY_EESZ_S10_S11_S12_S16_S17_S18_S1B_S1C_jS1D_jS1E_S1E_jjS1G_bEUljE0_EEESZ_S10_S11_S18_S1C_S1E_T6_T7_T9_mT8_S1G_bDpT10_ENKUlT_T0_E_clISt17integral_constantIbLb0EES1T_IbLb1EEEEDaS1P_S1Q_EUlS1P_E_NS1_11comp_targetILNS1_3genE10ELNS1_11target_archE1200ELNS1_3gpuE4ELNS1_3repE0EEENS1_30default_config_static_selectorELNS0_4arch9wavefront6targetE0EEEvS12_.has_dyn_sized_stack, 0
	.set _ZN7rocprim17ROCPRIM_400000_NS6detail17trampoline_kernelINS0_13select_configILj256ELj13ELNS0_17block_load_methodE3ELS4_3ELS4_3ELNS0_20block_scan_algorithmE0ELj4294967295EEENS1_25partition_config_selectorILNS1_17partition_subalgoE4EjNS0_10empty_typeEbEEZZNS1_14partition_implILS8_4ELb0ES6_15HIP_vector_typeIjLj2EENS0_17counting_iteratorIjlEEPS9_SG_NS0_5tupleIJPjSI_NS0_16reverse_iteratorISI_EEEEENSH_IJSG_SG_SG_EEES9_SI_JZNS1_25segmented_radix_sort_implINS0_14default_configELb1EPKdPdPKlPlN2at6native12_GLOBAL__N_18offset_tEEE10hipError_tPvRmT1_PNSt15iterator_traitsIS12_E10value_typeET2_T3_PNS13_IS18_E10value_typeET4_jRbjT5_S1E_jjP12ihipStream_tbEUljE_ZNSN_ISO_Lb1ESQ_SR_ST_SU_SY_EESZ_S10_S11_S12_S16_S17_S18_S1B_S1C_jS1D_jS1E_S1E_jjS1G_bEUljE0_EEESZ_S10_S11_S18_S1C_S1E_T6_T7_T9_mT8_S1G_bDpT10_ENKUlT_T0_E_clISt17integral_constantIbLb0EES1T_IbLb1EEEEDaS1P_S1Q_EUlS1P_E_NS1_11comp_targetILNS1_3genE10ELNS1_11target_archE1200ELNS1_3gpuE4ELNS1_3repE0EEENS1_30default_config_static_selectorELNS0_4arch9wavefront6targetE0EEEvS12_.has_recursion, 0
	.set _ZN7rocprim17ROCPRIM_400000_NS6detail17trampoline_kernelINS0_13select_configILj256ELj13ELNS0_17block_load_methodE3ELS4_3ELS4_3ELNS0_20block_scan_algorithmE0ELj4294967295EEENS1_25partition_config_selectorILNS1_17partition_subalgoE4EjNS0_10empty_typeEbEEZZNS1_14partition_implILS8_4ELb0ES6_15HIP_vector_typeIjLj2EENS0_17counting_iteratorIjlEEPS9_SG_NS0_5tupleIJPjSI_NS0_16reverse_iteratorISI_EEEEENSH_IJSG_SG_SG_EEES9_SI_JZNS1_25segmented_radix_sort_implINS0_14default_configELb1EPKdPdPKlPlN2at6native12_GLOBAL__N_18offset_tEEE10hipError_tPvRmT1_PNSt15iterator_traitsIS12_E10value_typeET2_T3_PNS13_IS18_E10value_typeET4_jRbjT5_S1E_jjP12ihipStream_tbEUljE_ZNSN_ISO_Lb1ESQ_SR_ST_SU_SY_EESZ_S10_S11_S12_S16_S17_S18_S1B_S1C_jS1D_jS1E_S1E_jjS1G_bEUljE0_EEESZ_S10_S11_S18_S1C_S1E_T6_T7_T9_mT8_S1G_bDpT10_ENKUlT_T0_E_clISt17integral_constantIbLb0EES1T_IbLb1EEEEDaS1P_S1Q_EUlS1P_E_NS1_11comp_targetILNS1_3genE10ELNS1_11target_archE1200ELNS1_3gpuE4ELNS1_3repE0EEENS1_30default_config_static_selectorELNS0_4arch9wavefront6targetE0EEEvS12_.has_indirect_call, 0
	.section	.AMDGPU.csdata,"",@progbits
; Kernel info:
; codeLenInByte = 19208
; TotalNumSgprs: 57
; NumVgprs: 98
; ScratchSize: 0
; MemoryBound: 0
; FloatMode: 240
; IeeeMode: 1
; LDSByteSize: 13328 bytes/workgroup (compile time only)
; SGPRBlocks: 0
; VGPRBlocks: 12
; NumSGPRsForWavesPerEU: 57
; NumVGPRsForWavesPerEU: 98
; Occupancy: 12
; WaveLimiterHint : 1
; COMPUTE_PGM_RSRC2:SCRATCH_EN: 0
; COMPUTE_PGM_RSRC2:USER_SGPR: 2
; COMPUTE_PGM_RSRC2:TRAP_HANDLER: 0
; COMPUTE_PGM_RSRC2:TGID_X_EN: 1
; COMPUTE_PGM_RSRC2:TGID_Y_EN: 0
; COMPUTE_PGM_RSRC2:TGID_Z_EN: 0
; COMPUTE_PGM_RSRC2:TIDIG_COMP_CNT: 0
	.section	.text._ZN7rocprim17ROCPRIM_400000_NS6detail17trampoline_kernelINS0_13select_configILj256ELj13ELNS0_17block_load_methodE3ELS4_3ELS4_3ELNS0_20block_scan_algorithmE0ELj4294967295EEENS1_25partition_config_selectorILNS1_17partition_subalgoE4EjNS0_10empty_typeEbEEZZNS1_14partition_implILS8_4ELb0ES6_15HIP_vector_typeIjLj2EENS0_17counting_iteratorIjlEEPS9_SG_NS0_5tupleIJPjSI_NS0_16reverse_iteratorISI_EEEEENSH_IJSG_SG_SG_EEES9_SI_JZNS1_25segmented_radix_sort_implINS0_14default_configELb1EPKdPdPKlPlN2at6native12_GLOBAL__N_18offset_tEEE10hipError_tPvRmT1_PNSt15iterator_traitsIS12_E10value_typeET2_T3_PNS13_IS18_E10value_typeET4_jRbjT5_S1E_jjP12ihipStream_tbEUljE_ZNSN_ISO_Lb1ESQ_SR_ST_SU_SY_EESZ_S10_S11_S12_S16_S17_S18_S1B_S1C_jS1D_jS1E_S1E_jjS1G_bEUljE0_EEESZ_S10_S11_S18_S1C_S1E_T6_T7_T9_mT8_S1G_bDpT10_ENKUlT_T0_E_clISt17integral_constantIbLb0EES1T_IbLb1EEEEDaS1P_S1Q_EUlS1P_E_NS1_11comp_targetILNS1_3genE9ELNS1_11target_archE1100ELNS1_3gpuE3ELNS1_3repE0EEENS1_30default_config_static_selectorELNS0_4arch9wavefront6targetE0EEEvS12_,"axG",@progbits,_ZN7rocprim17ROCPRIM_400000_NS6detail17trampoline_kernelINS0_13select_configILj256ELj13ELNS0_17block_load_methodE3ELS4_3ELS4_3ELNS0_20block_scan_algorithmE0ELj4294967295EEENS1_25partition_config_selectorILNS1_17partition_subalgoE4EjNS0_10empty_typeEbEEZZNS1_14partition_implILS8_4ELb0ES6_15HIP_vector_typeIjLj2EENS0_17counting_iteratorIjlEEPS9_SG_NS0_5tupleIJPjSI_NS0_16reverse_iteratorISI_EEEEENSH_IJSG_SG_SG_EEES9_SI_JZNS1_25segmented_radix_sort_implINS0_14default_configELb1EPKdPdPKlPlN2at6native12_GLOBAL__N_18offset_tEEE10hipError_tPvRmT1_PNSt15iterator_traitsIS12_E10value_typeET2_T3_PNS13_IS18_E10value_typeET4_jRbjT5_S1E_jjP12ihipStream_tbEUljE_ZNSN_ISO_Lb1ESQ_SR_ST_SU_SY_EESZ_S10_S11_S12_S16_S17_S18_S1B_S1C_jS1D_jS1E_S1E_jjS1G_bEUljE0_EEESZ_S10_S11_S18_S1C_S1E_T6_T7_T9_mT8_S1G_bDpT10_ENKUlT_T0_E_clISt17integral_constantIbLb0EES1T_IbLb1EEEEDaS1P_S1Q_EUlS1P_E_NS1_11comp_targetILNS1_3genE9ELNS1_11target_archE1100ELNS1_3gpuE3ELNS1_3repE0EEENS1_30default_config_static_selectorELNS0_4arch9wavefront6targetE0EEEvS12_,comdat
	.globl	_ZN7rocprim17ROCPRIM_400000_NS6detail17trampoline_kernelINS0_13select_configILj256ELj13ELNS0_17block_load_methodE3ELS4_3ELS4_3ELNS0_20block_scan_algorithmE0ELj4294967295EEENS1_25partition_config_selectorILNS1_17partition_subalgoE4EjNS0_10empty_typeEbEEZZNS1_14partition_implILS8_4ELb0ES6_15HIP_vector_typeIjLj2EENS0_17counting_iteratorIjlEEPS9_SG_NS0_5tupleIJPjSI_NS0_16reverse_iteratorISI_EEEEENSH_IJSG_SG_SG_EEES9_SI_JZNS1_25segmented_radix_sort_implINS0_14default_configELb1EPKdPdPKlPlN2at6native12_GLOBAL__N_18offset_tEEE10hipError_tPvRmT1_PNSt15iterator_traitsIS12_E10value_typeET2_T3_PNS13_IS18_E10value_typeET4_jRbjT5_S1E_jjP12ihipStream_tbEUljE_ZNSN_ISO_Lb1ESQ_SR_ST_SU_SY_EESZ_S10_S11_S12_S16_S17_S18_S1B_S1C_jS1D_jS1E_S1E_jjS1G_bEUljE0_EEESZ_S10_S11_S18_S1C_S1E_T6_T7_T9_mT8_S1G_bDpT10_ENKUlT_T0_E_clISt17integral_constantIbLb0EES1T_IbLb1EEEEDaS1P_S1Q_EUlS1P_E_NS1_11comp_targetILNS1_3genE9ELNS1_11target_archE1100ELNS1_3gpuE3ELNS1_3repE0EEENS1_30default_config_static_selectorELNS0_4arch9wavefront6targetE0EEEvS12_ ; -- Begin function _ZN7rocprim17ROCPRIM_400000_NS6detail17trampoline_kernelINS0_13select_configILj256ELj13ELNS0_17block_load_methodE3ELS4_3ELS4_3ELNS0_20block_scan_algorithmE0ELj4294967295EEENS1_25partition_config_selectorILNS1_17partition_subalgoE4EjNS0_10empty_typeEbEEZZNS1_14partition_implILS8_4ELb0ES6_15HIP_vector_typeIjLj2EENS0_17counting_iteratorIjlEEPS9_SG_NS0_5tupleIJPjSI_NS0_16reverse_iteratorISI_EEEEENSH_IJSG_SG_SG_EEES9_SI_JZNS1_25segmented_radix_sort_implINS0_14default_configELb1EPKdPdPKlPlN2at6native12_GLOBAL__N_18offset_tEEE10hipError_tPvRmT1_PNSt15iterator_traitsIS12_E10value_typeET2_T3_PNS13_IS18_E10value_typeET4_jRbjT5_S1E_jjP12ihipStream_tbEUljE_ZNSN_ISO_Lb1ESQ_SR_ST_SU_SY_EESZ_S10_S11_S12_S16_S17_S18_S1B_S1C_jS1D_jS1E_S1E_jjS1G_bEUljE0_EEESZ_S10_S11_S18_S1C_S1E_T6_T7_T9_mT8_S1G_bDpT10_ENKUlT_T0_E_clISt17integral_constantIbLb0EES1T_IbLb1EEEEDaS1P_S1Q_EUlS1P_E_NS1_11comp_targetILNS1_3genE9ELNS1_11target_archE1100ELNS1_3gpuE3ELNS1_3repE0EEENS1_30default_config_static_selectorELNS0_4arch9wavefront6targetE0EEEvS12_
	.p2align	8
	.type	_ZN7rocprim17ROCPRIM_400000_NS6detail17trampoline_kernelINS0_13select_configILj256ELj13ELNS0_17block_load_methodE3ELS4_3ELS4_3ELNS0_20block_scan_algorithmE0ELj4294967295EEENS1_25partition_config_selectorILNS1_17partition_subalgoE4EjNS0_10empty_typeEbEEZZNS1_14partition_implILS8_4ELb0ES6_15HIP_vector_typeIjLj2EENS0_17counting_iteratorIjlEEPS9_SG_NS0_5tupleIJPjSI_NS0_16reverse_iteratorISI_EEEEENSH_IJSG_SG_SG_EEES9_SI_JZNS1_25segmented_radix_sort_implINS0_14default_configELb1EPKdPdPKlPlN2at6native12_GLOBAL__N_18offset_tEEE10hipError_tPvRmT1_PNSt15iterator_traitsIS12_E10value_typeET2_T3_PNS13_IS18_E10value_typeET4_jRbjT5_S1E_jjP12ihipStream_tbEUljE_ZNSN_ISO_Lb1ESQ_SR_ST_SU_SY_EESZ_S10_S11_S12_S16_S17_S18_S1B_S1C_jS1D_jS1E_S1E_jjS1G_bEUljE0_EEESZ_S10_S11_S18_S1C_S1E_T6_T7_T9_mT8_S1G_bDpT10_ENKUlT_T0_E_clISt17integral_constantIbLb0EES1T_IbLb1EEEEDaS1P_S1Q_EUlS1P_E_NS1_11comp_targetILNS1_3genE9ELNS1_11target_archE1100ELNS1_3gpuE3ELNS1_3repE0EEENS1_30default_config_static_selectorELNS0_4arch9wavefront6targetE0EEEvS12_,@function
_ZN7rocprim17ROCPRIM_400000_NS6detail17trampoline_kernelINS0_13select_configILj256ELj13ELNS0_17block_load_methodE3ELS4_3ELS4_3ELNS0_20block_scan_algorithmE0ELj4294967295EEENS1_25partition_config_selectorILNS1_17partition_subalgoE4EjNS0_10empty_typeEbEEZZNS1_14partition_implILS8_4ELb0ES6_15HIP_vector_typeIjLj2EENS0_17counting_iteratorIjlEEPS9_SG_NS0_5tupleIJPjSI_NS0_16reverse_iteratorISI_EEEEENSH_IJSG_SG_SG_EEES9_SI_JZNS1_25segmented_radix_sort_implINS0_14default_configELb1EPKdPdPKlPlN2at6native12_GLOBAL__N_18offset_tEEE10hipError_tPvRmT1_PNSt15iterator_traitsIS12_E10value_typeET2_T3_PNS13_IS18_E10value_typeET4_jRbjT5_S1E_jjP12ihipStream_tbEUljE_ZNSN_ISO_Lb1ESQ_SR_ST_SU_SY_EESZ_S10_S11_S12_S16_S17_S18_S1B_S1C_jS1D_jS1E_S1E_jjS1G_bEUljE0_EEESZ_S10_S11_S18_S1C_S1E_T6_T7_T9_mT8_S1G_bDpT10_ENKUlT_T0_E_clISt17integral_constantIbLb0EES1T_IbLb1EEEEDaS1P_S1Q_EUlS1P_E_NS1_11comp_targetILNS1_3genE9ELNS1_11target_archE1100ELNS1_3gpuE3ELNS1_3repE0EEENS1_30default_config_static_selectorELNS0_4arch9wavefront6targetE0EEEvS12_: ; @_ZN7rocprim17ROCPRIM_400000_NS6detail17trampoline_kernelINS0_13select_configILj256ELj13ELNS0_17block_load_methodE3ELS4_3ELS4_3ELNS0_20block_scan_algorithmE0ELj4294967295EEENS1_25partition_config_selectorILNS1_17partition_subalgoE4EjNS0_10empty_typeEbEEZZNS1_14partition_implILS8_4ELb0ES6_15HIP_vector_typeIjLj2EENS0_17counting_iteratorIjlEEPS9_SG_NS0_5tupleIJPjSI_NS0_16reverse_iteratorISI_EEEEENSH_IJSG_SG_SG_EEES9_SI_JZNS1_25segmented_radix_sort_implINS0_14default_configELb1EPKdPdPKlPlN2at6native12_GLOBAL__N_18offset_tEEE10hipError_tPvRmT1_PNSt15iterator_traitsIS12_E10value_typeET2_T3_PNS13_IS18_E10value_typeET4_jRbjT5_S1E_jjP12ihipStream_tbEUljE_ZNSN_ISO_Lb1ESQ_SR_ST_SU_SY_EESZ_S10_S11_S12_S16_S17_S18_S1B_S1C_jS1D_jS1E_S1E_jjS1G_bEUljE0_EEESZ_S10_S11_S18_S1C_S1E_T6_T7_T9_mT8_S1G_bDpT10_ENKUlT_T0_E_clISt17integral_constantIbLb0EES1T_IbLb1EEEEDaS1P_S1Q_EUlS1P_E_NS1_11comp_targetILNS1_3genE9ELNS1_11target_archE1100ELNS1_3gpuE3ELNS1_3repE0EEENS1_30default_config_static_selectorELNS0_4arch9wavefront6targetE0EEEvS12_
; %bb.0:
	.section	.rodata,"a",@progbits
	.p2align	6, 0x0
	.amdhsa_kernel _ZN7rocprim17ROCPRIM_400000_NS6detail17trampoline_kernelINS0_13select_configILj256ELj13ELNS0_17block_load_methodE3ELS4_3ELS4_3ELNS0_20block_scan_algorithmE0ELj4294967295EEENS1_25partition_config_selectorILNS1_17partition_subalgoE4EjNS0_10empty_typeEbEEZZNS1_14partition_implILS8_4ELb0ES6_15HIP_vector_typeIjLj2EENS0_17counting_iteratorIjlEEPS9_SG_NS0_5tupleIJPjSI_NS0_16reverse_iteratorISI_EEEEENSH_IJSG_SG_SG_EEES9_SI_JZNS1_25segmented_radix_sort_implINS0_14default_configELb1EPKdPdPKlPlN2at6native12_GLOBAL__N_18offset_tEEE10hipError_tPvRmT1_PNSt15iterator_traitsIS12_E10value_typeET2_T3_PNS13_IS18_E10value_typeET4_jRbjT5_S1E_jjP12ihipStream_tbEUljE_ZNSN_ISO_Lb1ESQ_SR_ST_SU_SY_EESZ_S10_S11_S12_S16_S17_S18_S1B_S1C_jS1D_jS1E_S1E_jjS1G_bEUljE0_EEESZ_S10_S11_S18_S1C_S1E_T6_T7_T9_mT8_S1G_bDpT10_ENKUlT_T0_E_clISt17integral_constantIbLb0EES1T_IbLb1EEEEDaS1P_S1Q_EUlS1P_E_NS1_11comp_targetILNS1_3genE9ELNS1_11target_archE1100ELNS1_3gpuE3ELNS1_3repE0EEENS1_30default_config_static_selectorELNS0_4arch9wavefront6targetE0EEEvS12_
		.amdhsa_group_segment_fixed_size 0
		.amdhsa_private_segment_fixed_size 0
		.amdhsa_kernarg_size 184
		.amdhsa_user_sgpr_count 2
		.amdhsa_user_sgpr_dispatch_ptr 0
		.amdhsa_user_sgpr_queue_ptr 0
		.amdhsa_user_sgpr_kernarg_segment_ptr 1
		.amdhsa_user_sgpr_dispatch_id 0
		.amdhsa_user_sgpr_private_segment_size 0
		.amdhsa_wavefront_size32 1
		.amdhsa_uses_dynamic_stack 0
		.amdhsa_enable_private_segment 0
		.amdhsa_system_sgpr_workgroup_id_x 1
		.amdhsa_system_sgpr_workgroup_id_y 0
		.amdhsa_system_sgpr_workgroup_id_z 0
		.amdhsa_system_sgpr_workgroup_info 0
		.amdhsa_system_vgpr_workitem_id 0
		.amdhsa_next_free_vgpr 1
		.amdhsa_next_free_sgpr 1
		.amdhsa_reserve_vcc 0
		.amdhsa_float_round_mode_32 0
		.amdhsa_float_round_mode_16_64 0
		.amdhsa_float_denorm_mode_32 3
		.amdhsa_float_denorm_mode_16_64 3
		.amdhsa_fp16_overflow 0
		.amdhsa_workgroup_processor_mode 1
		.amdhsa_memory_ordered 1
		.amdhsa_forward_progress 1
		.amdhsa_inst_pref_size 0
		.amdhsa_round_robin_scheduling 0
		.amdhsa_exception_fp_ieee_invalid_op 0
		.amdhsa_exception_fp_denorm_src 0
		.amdhsa_exception_fp_ieee_div_zero 0
		.amdhsa_exception_fp_ieee_overflow 0
		.amdhsa_exception_fp_ieee_underflow 0
		.amdhsa_exception_fp_ieee_inexact 0
		.amdhsa_exception_int_div_zero 0
	.end_amdhsa_kernel
	.section	.text._ZN7rocprim17ROCPRIM_400000_NS6detail17trampoline_kernelINS0_13select_configILj256ELj13ELNS0_17block_load_methodE3ELS4_3ELS4_3ELNS0_20block_scan_algorithmE0ELj4294967295EEENS1_25partition_config_selectorILNS1_17partition_subalgoE4EjNS0_10empty_typeEbEEZZNS1_14partition_implILS8_4ELb0ES6_15HIP_vector_typeIjLj2EENS0_17counting_iteratorIjlEEPS9_SG_NS0_5tupleIJPjSI_NS0_16reverse_iteratorISI_EEEEENSH_IJSG_SG_SG_EEES9_SI_JZNS1_25segmented_radix_sort_implINS0_14default_configELb1EPKdPdPKlPlN2at6native12_GLOBAL__N_18offset_tEEE10hipError_tPvRmT1_PNSt15iterator_traitsIS12_E10value_typeET2_T3_PNS13_IS18_E10value_typeET4_jRbjT5_S1E_jjP12ihipStream_tbEUljE_ZNSN_ISO_Lb1ESQ_SR_ST_SU_SY_EESZ_S10_S11_S12_S16_S17_S18_S1B_S1C_jS1D_jS1E_S1E_jjS1G_bEUljE0_EEESZ_S10_S11_S18_S1C_S1E_T6_T7_T9_mT8_S1G_bDpT10_ENKUlT_T0_E_clISt17integral_constantIbLb0EES1T_IbLb1EEEEDaS1P_S1Q_EUlS1P_E_NS1_11comp_targetILNS1_3genE9ELNS1_11target_archE1100ELNS1_3gpuE3ELNS1_3repE0EEENS1_30default_config_static_selectorELNS0_4arch9wavefront6targetE0EEEvS12_,"axG",@progbits,_ZN7rocprim17ROCPRIM_400000_NS6detail17trampoline_kernelINS0_13select_configILj256ELj13ELNS0_17block_load_methodE3ELS4_3ELS4_3ELNS0_20block_scan_algorithmE0ELj4294967295EEENS1_25partition_config_selectorILNS1_17partition_subalgoE4EjNS0_10empty_typeEbEEZZNS1_14partition_implILS8_4ELb0ES6_15HIP_vector_typeIjLj2EENS0_17counting_iteratorIjlEEPS9_SG_NS0_5tupleIJPjSI_NS0_16reverse_iteratorISI_EEEEENSH_IJSG_SG_SG_EEES9_SI_JZNS1_25segmented_radix_sort_implINS0_14default_configELb1EPKdPdPKlPlN2at6native12_GLOBAL__N_18offset_tEEE10hipError_tPvRmT1_PNSt15iterator_traitsIS12_E10value_typeET2_T3_PNS13_IS18_E10value_typeET4_jRbjT5_S1E_jjP12ihipStream_tbEUljE_ZNSN_ISO_Lb1ESQ_SR_ST_SU_SY_EESZ_S10_S11_S12_S16_S17_S18_S1B_S1C_jS1D_jS1E_S1E_jjS1G_bEUljE0_EEESZ_S10_S11_S18_S1C_S1E_T6_T7_T9_mT8_S1G_bDpT10_ENKUlT_T0_E_clISt17integral_constantIbLb0EES1T_IbLb1EEEEDaS1P_S1Q_EUlS1P_E_NS1_11comp_targetILNS1_3genE9ELNS1_11target_archE1100ELNS1_3gpuE3ELNS1_3repE0EEENS1_30default_config_static_selectorELNS0_4arch9wavefront6targetE0EEEvS12_,comdat
.Lfunc_end1084:
	.size	_ZN7rocprim17ROCPRIM_400000_NS6detail17trampoline_kernelINS0_13select_configILj256ELj13ELNS0_17block_load_methodE3ELS4_3ELS4_3ELNS0_20block_scan_algorithmE0ELj4294967295EEENS1_25partition_config_selectorILNS1_17partition_subalgoE4EjNS0_10empty_typeEbEEZZNS1_14partition_implILS8_4ELb0ES6_15HIP_vector_typeIjLj2EENS0_17counting_iteratorIjlEEPS9_SG_NS0_5tupleIJPjSI_NS0_16reverse_iteratorISI_EEEEENSH_IJSG_SG_SG_EEES9_SI_JZNS1_25segmented_radix_sort_implINS0_14default_configELb1EPKdPdPKlPlN2at6native12_GLOBAL__N_18offset_tEEE10hipError_tPvRmT1_PNSt15iterator_traitsIS12_E10value_typeET2_T3_PNS13_IS18_E10value_typeET4_jRbjT5_S1E_jjP12ihipStream_tbEUljE_ZNSN_ISO_Lb1ESQ_SR_ST_SU_SY_EESZ_S10_S11_S12_S16_S17_S18_S1B_S1C_jS1D_jS1E_S1E_jjS1G_bEUljE0_EEESZ_S10_S11_S18_S1C_S1E_T6_T7_T9_mT8_S1G_bDpT10_ENKUlT_T0_E_clISt17integral_constantIbLb0EES1T_IbLb1EEEEDaS1P_S1Q_EUlS1P_E_NS1_11comp_targetILNS1_3genE9ELNS1_11target_archE1100ELNS1_3gpuE3ELNS1_3repE0EEENS1_30default_config_static_selectorELNS0_4arch9wavefront6targetE0EEEvS12_, .Lfunc_end1084-_ZN7rocprim17ROCPRIM_400000_NS6detail17trampoline_kernelINS0_13select_configILj256ELj13ELNS0_17block_load_methodE3ELS4_3ELS4_3ELNS0_20block_scan_algorithmE0ELj4294967295EEENS1_25partition_config_selectorILNS1_17partition_subalgoE4EjNS0_10empty_typeEbEEZZNS1_14partition_implILS8_4ELb0ES6_15HIP_vector_typeIjLj2EENS0_17counting_iteratorIjlEEPS9_SG_NS0_5tupleIJPjSI_NS0_16reverse_iteratorISI_EEEEENSH_IJSG_SG_SG_EEES9_SI_JZNS1_25segmented_radix_sort_implINS0_14default_configELb1EPKdPdPKlPlN2at6native12_GLOBAL__N_18offset_tEEE10hipError_tPvRmT1_PNSt15iterator_traitsIS12_E10value_typeET2_T3_PNS13_IS18_E10value_typeET4_jRbjT5_S1E_jjP12ihipStream_tbEUljE_ZNSN_ISO_Lb1ESQ_SR_ST_SU_SY_EESZ_S10_S11_S12_S16_S17_S18_S1B_S1C_jS1D_jS1E_S1E_jjS1G_bEUljE0_EEESZ_S10_S11_S18_S1C_S1E_T6_T7_T9_mT8_S1G_bDpT10_ENKUlT_T0_E_clISt17integral_constantIbLb0EES1T_IbLb1EEEEDaS1P_S1Q_EUlS1P_E_NS1_11comp_targetILNS1_3genE9ELNS1_11target_archE1100ELNS1_3gpuE3ELNS1_3repE0EEENS1_30default_config_static_selectorELNS0_4arch9wavefront6targetE0EEEvS12_
                                        ; -- End function
	.set _ZN7rocprim17ROCPRIM_400000_NS6detail17trampoline_kernelINS0_13select_configILj256ELj13ELNS0_17block_load_methodE3ELS4_3ELS4_3ELNS0_20block_scan_algorithmE0ELj4294967295EEENS1_25partition_config_selectorILNS1_17partition_subalgoE4EjNS0_10empty_typeEbEEZZNS1_14partition_implILS8_4ELb0ES6_15HIP_vector_typeIjLj2EENS0_17counting_iteratorIjlEEPS9_SG_NS0_5tupleIJPjSI_NS0_16reverse_iteratorISI_EEEEENSH_IJSG_SG_SG_EEES9_SI_JZNS1_25segmented_radix_sort_implINS0_14default_configELb1EPKdPdPKlPlN2at6native12_GLOBAL__N_18offset_tEEE10hipError_tPvRmT1_PNSt15iterator_traitsIS12_E10value_typeET2_T3_PNS13_IS18_E10value_typeET4_jRbjT5_S1E_jjP12ihipStream_tbEUljE_ZNSN_ISO_Lb1ESQ_SR_ST_SU_SY_EESZ_S10_S11_S12_S16_S17_S18_S1B_S1C_jS1D_jS1E_S1E_jjS1G_bEUljE0_EEESZ_S10_S11_S18_S1C_S1E_T6_T7_T9_mT8_S1G_bDpT10_ENKUlT_T0_E_clISt17integral_constantIbLb0EES1T_IbLb1EEEEDaS1P_S1Q_EUlS1P_E_NS1_11comp_targetILNS1_3genE9ELNS1_11target_archE1100ELNS1_3gpuE3ELNS1_3repE0EEENS1_30default_config_static_selectorELNS0_4arch9wavefront6targetE0EEEvS12_.num_vgpr, 0
	.set _ZN7rocprim17ROCPRIM_400000_NS6detail17trampoline_kernelINS0_13select_configILj256ELj13ELNS0_17block_load_methodE3ELS4_3ELS4_3ELNS0_20block_scan_algorithmE0ELj4294967295EEENS1_25partition_config_selectorILNS1_17partition_subalgoE4EjNS0_10empty_typeEbEEZZNS1_14partition_implILS8_4ELb0ES6_15HIP_vector_typeIjLj2EENS0_17counting_iteratorIjlEEPS9_SG_NS0_5tupleIJPjSI_NS0_16reverse_iteratorISI_EEEEENSH_IJSG_SG_SG_EEES9_SI_JZNS1_25segmented_radix_sort_implINS0_14default_configELb1EPKdPdPKlPlN2at6native12_GLOBAL__N_18offset_tEEE10hipError_tPvRmT1_PNSt15iterator_traitsIS12_E10value_typeET2_T3_PNS13_IS18_E10value_typeET4_jRbjT5_S1E_jjP12ihipStream_tbEUljE_ZNSN_ISO_Lb1ESQ_SR_ST_SU_SY_EESZ_S10_S11_S12_S16_S17_S18_S1B_S1C_jS1D_jS1E_S1E_jjS1G_bEUljE0_EEESZ_S10_S11_S18_S1C_S1E_T6_T7_T9_mT8_S1G_bDpT10_ENKUlT_T0_E_clISt17integral_constantIbLb0EES1T_IbLb1EEEEDaS1P_S1Q_EUlS1P_E_NS1_11comp_targetILNS1_3genE9ELNS1_11target_archE1100ELNS1_3gpuE3ELNS1_3repE0EEENS1_30default_config_static_selectorELNS0_4arch9wavefront6targetE0EEEvS12_.num_agpr, 0
	.set _ZN7rocprim17ROCPRIM_400000_NS6detail17trampoline_kernelINS0_13select_configILj256ELj13ELNS0_17block_load_methodE3ELS4_3ELS4_3ELNS0_20block_scan_algorithmE0ELj4294967295EEENS1_25partition_config_selectorILNS1_17partition_subalgoE4EjNS0_10empty_typeEbEEZZNS1_14partition_implILS8_4ELb0ES6_15HIP_vector_typeIjLj2EENS0_17counting_iteratorIjlEEPS9_SG_NS0_5tupleIJPjSI_NS0_16reverse_iteratorISI_EEEEENSH_IJSG_SG_SG_EEES9_SI_JZNS1_25segmented_radix_sort_implINS0_14default_configELb1EPKdPdPKlPlN2at6native12_GLOBAL__N_18offset_tEEE10hipError_tPvRmT1_PNSt15iterator_traitsIS12_E10value_typeET2_T3_PNS13_IS18_E10value_typeET4_jRbjT5_S1E_jjP12ihipStream_tbEUljE_ZNSN_ISO_Lb1ESQ_SR_ST_SU_SY_EESZ_S10_S11_S12_S16_S17_S18_S1B_S1C_jS1D_jS1E_S1E_jjS1G_bEUljE0_EEESZ_S10_S11_S18_S1C_S1E_T6_T7_T9_mT8_S1G_bDpT10_ENKUlT_T0_E_clISt17integral_constantIbLb0EES1T_IbLb1EEEEDaS1P_S1Q_EUlS1P_E_NS1_11comp_targetILNS1_3genE9ELNS1_11target_archE1100ELNS1_3gpuE3ELNS1_3repE0EEENS1_30default_config_static_selectorELNS0_4arch9wavefront6targetE0EEEvS12_.numbered_sgpr, 0
	.set _ZN7rocprim17ROCPRIM_400000_NS6detail17trampoline_kernelINS0_13select_configILj256ELj13ELNS0_17block_load_methodE3ELS4_3ELS4_3ELNS0_20block_scan_algorithmE0ELj4294967295EEENS1_25partition_config_selectorILNS1_17partition_subalgoE4EjNS0_10empty_typeEbEEZZNS1_14partition_implILS8_4ELb0ES6_15HIP_vector_typeIjLj2EENS0_17counting_iteratorIjlEEPS9_SG_NS0_5tupleIJPjSI_NS0_16reverse_iteratorISI_EEEEENSH_IJSG_SG_SG_EEES9_SI_JZNS1_25segmented_radix_sort_implINS0_14default_configELb1EPKdPdPKlPlN2at6native12_GLOBAL__N_18offset_tEEE10hipError_tPvRmT1_PNSt15iterator_traitsIS12_E10value_typeET2_T3_PNS13_IS18_E10value_typeET4_jRbjT5_S1E_jjP12ihipStream_tbEUljE_ZNSN_ISO_Lb1ESQ_SR_ST_SU_SY_EESZ_S10_S11_S12_S16_S17_S18_S1B_S1C_jS1D_jS1E_S1E_jjS1G_bEUljE0_EEESZ_S10_S11_S18_S1C_S1E_T6_T7_T9_mT8_S1G_bDpT10_ENKUlT_T0_E_clISt17integral_constantIbLb0EES1T_IbLb1EEEEDaS1P_S1Q_EUlS1P_E_NS1_11comp_targetILNS1_3genE9ELNS1_11target_archE1100ELNS1_3gpuE3ELNS1_3repE0EEENS1_30default_config_static_selectorELNS0_4arch9wavefront6targetE0EEEvS12_.num_named_barrier, 0
	.set _ZN7rocprim17ROCPRIM_400000_NS6detail17trampoline_kernelINS0_13select_configILj256ELj13ELNS0_17block_load_methodE3ELS4_3ELS4_3ELNS0_20block_scan_algorithmE0ELj4294967295EEENS1_25partition_config_selectorILNS1_17partition_subalgoE4EjNS0_10empty_typeEbEEZZNS1_14partition_implILS8_4ELb0ES6_15HIP_vector_typeIjLj2EENS0_17counting_iteratorIjlEEPS9_SG_NS0_5tupleIJPjSI_NS0_16reverse_iteratorISI_EEEEENSH_IJSG_SG_SG_EEES9_SI_JZNS1_25segmented_radix_sort_implINS0_14default_configELb1EPKdPdPKlPlN2at6native12_GLOBAL__N_18offset_tEEE10hipError_tPvRmT1_PNSt15iterator_traitsIS12_E10value_typeET2_T3_PNS13_IS18_E10value_typeET4_jRbjT5_S1E_jjP12ihipStream_tbEUljE_ZNSN_ISO_Lb1ESQ_SR_ST_SU_SY_EESZ_S10_S11_S12_S16_S17_S18_S1B_S1C_jS1D_jS1E_S1E_jjS1G_bEUljE0_EEESZ_S10_S11_S18_S1C_S1E_T6_T7_T9_mT8_S1G_bDpT10_ENKUlT_T0_E_clISt17integral_constantIbLb0EES1T_IbLb1EEEEDaS1P_S1Q_EUlS1P_E_NS1_11comp_targetILNS1_3genE9ELNS1_11target_archE1100ELNS1_3gpuE3ELNS1_3repE0EEENS1_30default_config_static_selectorELNS0_4arch9wavefront6targetE0EEEvS12_.private_seg_size, 0
	.set _ZN7rocprim17ROCPRIM_400000_NS6detail17trampoline_kernelINS0_13select_configILj256ELj13ELNS0_17block_load_methodE3ELS4_3ELS4_3ELNS0_20block_scan_algorithmE0ELj4294967295EEENS1_25partition_config_selectorILNS1_17partition_subalgoE4EjNS0_10empty_typeEbEEZZNS1_14partition_implILS8_4ELb0ES6_15HIP_vector_typeIjLj2EENS0_17counting_iteratorIjlEEPS9_SG_NS0_5tupleIJPjSI_NS0_16reverse_iteratorISI_EEEEENSH_IJSG_SG_SG_EEES9_SI_JZNS1_25segmented_radix_sort_implINS0_14default_configELb1EPKdPdPKlPlN2at6native12_GLOBAL__N_18offset_tEEE10hipError_tPvRmT1_PNSt15iterator_traitsIS12_E10value_typeET2_T3_PNS13_IS18_E10value_typeET4_jRbjT5_S1E_jjP12ihipStream_tbEUljE_ZNSN_ISO_Lb1ESQ_SR_ST_SU_SY_EESZ_S10_S11_S12_S16_S17_S18_S1B_S1C_jS1D_jS1E_S1E_jjS1G_bEUljE0_EEESZ_S10_S11_S18_S1C_S1E_T6_T7_T9_mT8_S1G_bDpT10_ENKUlT_T0_E_clISt17integral_constantIbLb0EES1T_IbLb1EEEEDaS1P_S1Q_EUlS1P_E_NS1_11comp_targetILNS1_3genE9ELNS1_11target_archE1100ELNS1_3gpuE3ELNS1_3repE0EEENS1_30default_config_static_selectorELNS0_4arch9wavefront6targetE0EEEvS12_.uses_vcc, 0
	.set _ZN7rocprim17ROCPRIM_400000_NS6detail17trampoline_kernelINS0_13select_configILj256ELj13ELNS0_17block_load_methodE3ELS4_3ELS4_3ELNS0_20block_scan_algorithmE0ELj4294967295EEENS1_25partition_config_selectorILNS1_17partition_subalgoE4EjNS0_10empty_typeEbEEZZNS1_14partition_implILS8_4ELb0ES6_15HIP_vector_typeIjLj2EENS0_17counting_iteratorIjlEEPS9_SG_NS0_5tupleIJPjSI_NS0_16reverse_iteratorISI_EEEEENSH_IJSG_SG_SG_EEES9_SI_JZNS1_25segmented_radix_sort_implINS0_14default_configELb1EPKdPdPKlPlN2at6native12_GLOBAL__N_18offset_tEEE10hipError_tPvRmT1_PNSt15iterator_traitsIS12_E10value_typeET2_T3_PNS13_IS18_E10value_typeET4_jRbjT5_S1E_jjP12ihipStream_tbEUljE_ZNSN_ISO_Lb1ESQ_SR_ST_SU_SY_EESZ_S10_S11_S12_S16_S17_S18_S1B_S1C_jS1D_jS1E_S1E_jjS1G_bEUljE0_EEESZ_S10_S11_S18_S1C_S1E_T6_T7_T9_mT8_S1G_bDpT10_ENKUlT_T0_E_clISt17integral_constantIbLb0EES1T_IbLb1EEEEDaS1P_S1Q_EUlS1P_E_NS1_11comp_targetILNS1_3genE9ELNS1_11target_archE1100ELNS1_3gpuE3ELNS1_3repE0EEENS1_30default_config_static_selectorELNS0_4arch9wavefront6targetE0EEEvS12_.uses_flat_scratch, 0
	.set _ZN7rocprim17ROCPRIM_400000_NS6detail17trampoline_kernelINS0_13select_configILj256ELj13ELNS0_17block_load_methodE3ELS4_3ELS4_3ELNS0_20block_scan_algorithmE0ELj4294967295EEENS1_25partition_config_selectorILNS1_17partition_subalgoE4EjNS0_10empty_typeEbEEZZNS1_14partition_implILS8_4ELb0ES6_15HIP_vector_typeIjLj2EENS0_17counting_iteratorIjlEEPS9_SG_NS0_5tupleIJPjSI_NS0_16reverse_iteratorISI_EEEEENSH_IJSG_SG_SG_EEES9_SI_JZNS1_25segmented_radix_sort_implINS0_14default_configELb1EPKdPdPKlPlN2at6native12_GLOBAL__N_18offset_tEEE10hipError_tPvRmT1_PNSt15iterator_traitsIS12_E10value_typeET2_T3_PNS13_IS18_E10value_typeET4_jRbjT5_S1E_jjP12ihipStream_tbEUljE_ZNSN_ISO_Lb1ESQ_SR_ST_SU_SY_EESZ_S10_S11_S12_S16_S17_S18_S1B_S1C_jS1D_jS1E_S1E_jjS1G_bEUljE0_EEESZ_S10_S11_S18_S1C_S1E_T6_T7_T9_mT8_S1G_bDpT10_ENKUlT_T0_E_clISt17integral_constantIbLb0EES1T_IbLb1EEEEDaS1P_S1Q_EUlS1P_E_NS1_11comp_targetILNS1_3genE9ELNS1_11target_archE1100ELNS1_3gpuE3ELNS1_3repE0EEENS1_30default_config_static_selectorELNS0_4arch9wavefront6targetE0EEEvS12_.has_dyn_sized_stack, 0
	.set _ZN7rocprim17ROCPRIM_400000_NS6detail17trampoline_kernelINS0_13select_configILj256ELj13ELNS0_17block_load_methodE3ELS4_3ELS4_3ELNS0_20block_scan_algorithmE0ELj4294967295EEENS1_25partition_config_selectorILNS1_17partition_subalgoE4EjNS0_10empty_typeEbEEZZNS1_14partition_implILS8_4ELb0ES6_15HIP_vector_typeIjLj2EENS0_17counting_iteratorIjlEEPS9_SG_NS0_5tupleIJPjSI_NS0_16reverse_iteratorISI_EEEEENSH_IJSG_SG_SG_EEES9_SI_JZNS1_25segmented_radix_sort_implINS0_14default_configELb1EPKdPdPKlPlN2at6native12_GLOBAL__N_18offset_tEEE10hipError_tPvRmT1_PNSt15iterator_traitsIS12_E10value_typeET2_T3_PNS13_IS18_E10value_typeET4_jRbjT5_S1E_jjP12ihipStream_tbEUljE_ZNSN_ISO_Lb1ESQ_SR_ST_SU_SY_EESZ_S10_S11_S12_S16_S17_S18_S1B_S1C_jS1D_jS1E_S1E_jjS1G_bEUljE0_EEESZ_S10_S11_S18_S1C_S1E_T6_T7_T9_mT8_S1G_bDpT10_ENKUlT_T0_E_clISt17integral_constantIbLb0EES1T_IbLb1EEEEDaS1P_S1Q_EUlS1P_E_NS1_11comp_targetILNS1_3genE9ELNS1_11target_archE1100ELNS1_3gpuE3ELNS1_3repE0EEENS1_30default_config_static_selectorELNS0_4arch9wavefront6targetE0EEEvS12_.has_recursion, 0
	.set _ZN7rocprim17ROCPRIM_400000_NS6detail17trampoline_kernelINS0_13select_configILj256ELj13ELNS0_17block_load_methodE3ELS4_3ELS4_3ELNS0_20block_scan_algorithmE0ELj4294967295EEENS1_25partition_config_selectorILNS1_17partition_subalgoE4EjNS0_10empty_typeEbEEZZNS1_14partition_implILS8_4ELb0ES6_15HIP_vector_typeIjLj2EENS0_17counting_iteratorIjlEEPS9_SG_NS0_5tupleIJPjSI_NS0_16reverse_iteratorISI_EEEEENSH_IJSG_SG_SG_EEES9_SI_JZNS1_25segmented_radix_sort_implINS0_14default_configELb1EPKdPdPKlPlN2at6native12_GLOBAL__N_18offset_tEEE10hipError_tPvRmT1_PNSt15iterator_traitsIS12_E10value_typeET2_T3_PNS13_IS18_E10value_typeET4_jRbjT5_S1E_jjP12ihipStream_tbEUljE_ZNSN_ISO_Lb1ESQ_SR_ST_SU_SY_EESZ_S10_S11_S12_S16_S17_S18_S1B_S1C_jS1D_jS1E_S1E_jjS1G_bEUljE0_EEESZ_S10_S11_S18_S1C_S1E_T6_T7_T9_mT8_S1G_bDpT10_ENKUlT_T0_E_clISt17integral_constantIbLb0EES1T_IbLb1EEEEDaS1P_S1Q_EUlS1P_E_NS1_11comp_targetILNS1_3genE9ELNS1_11target_archE1100ELNS1_3gpuE3ELNS1_3repE0EEENS1_30default_config_static_selectorELNS0_4arch9wavefront6targetE0EEEvS12_.has_indirect_call, 0
	.section	.AMDGPU.csdata,"",@progbits
; Kernel info:
; codeLenInByte = 0
; TotalNumSgprs: 0
; NumVgprs: 0
; ScratchSize: 0
; MemoryBound: 0
; FloatMode: 240
; IeeeMode: 1
; LDSByteSize: 0 bytes/workgroup (compile time only)
; SGPRBlocks: 0
; VGPRBlocks: 0
; NumSGPRsForWavesPerEU: 1
; NumVGPRsForWavesPerEU: 1
; Occupancy: 16
; WaveLimiterHint : 0
; COMPUTE_PGM_RSRC2:SCRATCH_EN: 0
; COMPUTE_PGM_RSRC2:USER_SGPR: 2
; COMPUTE_PGM_RSRC2:TRAP_HANDLER: 0
; COMPUTE_PGM_RSRC2:TGID_X_EN: 1
; COMPUTE_PGM_RSRC2:TGID_Y_EN: 0
; COMPUTE_PGM_RSRC2:TGID_Z_EN: 0
; COMPUTE_PGM_RSRC2:TIDIG_COMP_CNT: 0
	.section	.text._ZN7rocprim17ROCPRIM_400000_NS6detail17trampoline_kernelINS0_13select_configILj256ELj13ELNS0_17block_load_methodE3ELS4_3ELS4_3ELNS0_20block_scan_algorithmE0ELj4294967295EEENS1_25partition_config_selectorILNS1_17partition_subalgoE4EjNS0_10empty_typeEbEEZZNS1_14partition_implILS8_4ELb0ES6_15HIP_vector_typeIjLj2EENS0_17counting_iteratorIjlEEPS9_SG_NS0_5tupleIJPjSI_NS0_16reverse_iteratorISI_EEEEENSH_IJSG_SG_SG_EEES9_SI_JZNS1_25segmented_radix_sort_implINS0_14default_configELb1EPKdPdPKlPlN2at6native12_GLOBAL__N_18offset_tEEE10hipError_tPvRmT1_PNSt15iterator_traitsIS12_E10value_typeET2_T3_PNS13_IS18_E10value_typeET4_jRbjT5_S1E_jjP12ihipStream_tbEUljE_ZNSN_ISO_Lb1ESQ_SR_ST_SU_SY_EESZ_S10_S11_S12_S16_S17_S18_S1B_S1C_jS1D_jS1E_S1E_jjS1G_bEUljE0_EEESZ_S10_S11_S18_S1C_S1E_T6_T7_T9_mT8_S1G_bDpT10_ENKUlT_T0_E_clISt17integral_constantIbLb0EES1T_IbLb1EEEEDaS1P_S1Q_EUlS1P_E_NS1_11comp_targetILNS1_3genE8ELNS1_11target_archE1030ELNS1_3gpuE2ELNS1_3repE0EEENS1_30default_config_static_selectorELNS0_4arch9wavefront6targetE0EEEvS12_,"axG",@progbits,_ZN7rocprim17ROCPRIM_400000_NS6detail17trampoline_kernelINS0_13select_configILj256ELj13ELNS0_17block_load_methodE3ELS4_3ELS4_3ELNS0_20block_scan_algorithmE0ELj4294967295EEENS1_25partition_config_selectorILNS1_17partition_subalgoE4EjNS0_10empty_typeEbEEZZNS1_14partition_implILS8_4ELb0ES6_15HIP_vector_typeIjLj2EENS0_17counting_iteratorIjlEEPS9_SG_NS0_5tupleIJPjSI_NS0_16reverse_iteratorISI_EEEEENSH_IJSG_SG_SG_EEES9_SI_JZNS1_25segmented_radix_sort_implINS0_14default_configELb1EPKdPdPKlPlN2at6native12_GLOBAL__N_18offset_tEEE10hipError_tPvRmT1_PNSt15iterator_traitsIS12_E10value_typeET2_T3_PNS13_IS18_E10value_typeET4_jRbjT5_S1E_jjP12ihipStream_tbEUljE_ZNSN_ISO_Lb1ESQ_SR_ST_SU_SY_EESZ_S10_S11_S12_S16_S17_S18_S1B_S1C_jS1D_jS1E_S1E_jjS1G_bEUljE0_EEESZ_S10_S11_S18_S1C_S1E_T6_T7_T9_mT8_S1G_bDpT10_ENKUlT_T0_E_clISt17integral_constantIbLb0EES1T_IbLb1EEEEDaS1P_S1Q_EUlS1P_E_NS1_11comp_targetILNS1_3genE8ELNS1_11target_archE1030ELNS1_3gpuE2ELNS1_3repE0EEENS1_30default_config_static_selectorELNS0_4arch9wavefront6targetE0EEEvS12_,comdat
	.globl	_ZN7rocprim17ROCPRIM_400000_NS6detail17trampoline_kernelINS0_13select_configILj256ELj13ELNS0_17block_load_methodE3ELS4_3ELS4_3ELNS0_20block_scan_algorithmE0ELj4294967295EEENS1_25partition_config_selectorILNS1_17partition_subalgoE4EjNS0_10empty_typeEbEEZZNS1_14partition_implILS8_4ELb0ES6_15HIP_vector_typeIjLj2EENS0_17counting_iteratorIjlEEPS9_SG_NS0_5tupleIJPjSI_NS0_16reverse_iteratorISI_EEEEENSH_IJSG_SG_SG_EEES9_SI_JZNS1_25segmented_radix_sort_implINS0_14default_configELb1EPKdPdPKlPlN2at6native12_GLOBAL__N_18offset_tEEE10hipError_tPvRmT1_PNSt15iterator_traitsIS12_E10value_typeET2_T3_PNS13_IS18_E10value_typeET4_jRbjT5_S1E_jjP12ihipStream_tbEUljE_ZNSN_ISO_Lb1ESQ_SR_ST_SU_SY_EESZ_S10_S11_S12_S16_S17_S18_S1B_S1C_jS1D_jS1E_S1E_jjS1G_bEUljE0_EEESZ_S10_S11_S18_S1C_S1E_T6_T7_T9_mT8_S1G_bDpT10_ENKUlT_T0_E_clISt17integral_constantIbLb0EES1T_IbLb1EEEEDaS1P_S1Q_EUlS1P_E_NS1_11comp_targetILNS1_3genE8ELNS1_11target_archE1030ELNS1_3gpuE2ELNS1_3repE0EEENS1_30default_config_static_selectorELNS0_4arch9wavefront6targetE0EEEvS12_ ; -- Begin function _ZN7rocprim17ROCPRIM_400000_NS6detail17trampoline_kernelINS0_13select_configILj256ELj13ELNS0_17block_load_methodE3ELS4_3ELS4_3ELNS0_20block_scan_algorithmE0ELj4294967295EEENS1_25partition_config_selectorILNS1_17partition_subalgoE4EjNS0_10empty_typeEbEEZZNS1_14partition_implILS8_4ELb0ES6_15HIP_vector_typeIjLj2EENS0_17counting_iteratorIjlEEPS9_SG_NS0_5tupleIJPjSI_NS0_16reverse_iteratorISI_EEEEENSH_IJSG_SG_SG_EEES9_SI_JZNS1_25segmented_radix_sort_implINS0_14default_configELb1EPKdPdPKlPlN2at6native12_GLOBAL__N_18offset_tEEE10hipError_tPvRmT1_PNSt15iterator_traitsIS12_E10value_typeET2_T3_PNS13_IS18_E10value_typeET4_jRbjT5_S1E_jjP12ihipStream_tbEUljE_ZNSN_ISO_Lb1ESQ_SR_ST_SU_SY_EESZ_S10_S11_S12_S16_S17_S18_S1B_S1C_jS1D_jS1E_S1E_jjS1G_bEUljE0_EEESZ_S10_S11_S18_S1C_S1E_T6_T7_T9_mT8_S1G_bDpT10_ENKUlT_T0_E_clISt17integral_constantIbLb0EES1T_IbLb1EEEEDaS1P_S1Q_EUlS1P_E_NS1_11comp_targetILNS1_3genE8ELNS1_11target_archE1030ELNS1_3gpuE2ELNS1_3repE0EEENS1_30default_config_static_selectorELNS0_4arch9wavefront6targetE0EEEvS12_
	.p2align	8
	.type	_ZN7rocprim17ROCPRIM_400000_NS6detail17trampoline_kernelINS0_13select_configILj256ELj13ELNS0_17block_load_methodE3ELS4_3ELS4_3ELNS0_20block_scan_algorithmE0ELj4294967295EEENS1_25partition_config_selectorILNS1_17partition_subalgoE4EjNS0_10empty_typeEbEEZZNS1_14partition_implILS8_4ELb0ES6_15HIP_vector_typeIjLj2EENS0_17counting_iteratorIjlEEPS9_SG_NS0_5tupleIJPjSI_NS0_16reverse_iteratorISI_EEEEENSH_IJSG_SG_SG_EEES9_SI_JZNS1_25segmented_radix_sort_implINS0_14default_configELb1EPKdPdPKlPlN2at6native12_GLOBAL__N_18offset_tEEE10hipError_tPvRmT1_PNSt15iterator_traitsIS12_E10value_typeET2_T3_PNS13_IS18_E10value_typeET4_jRbjT5_S1E_jjP12ihipStream_tbEUljE_ZNSN_ISO_Lb1ESQ_SR_ST_SU_SY_EESZ_S10_S11_S12_S16_S17_S18_S1B_S1C_jS1D_jS1E_S1E_jjS1G_bEUljE0_EEESZ_S10_S11_S18_S1C_S1E_T6_T7_T9_mT8_S1G_bDpT10_ENKUlT_T0_E_clISt17integral_constantIbLb0EES1T_IbLb1EEEEDaS1P_S1Q_EUlS1P_E_NS1_11comp_targetILNS1_3genE8ELNS1_11target_archE1030ELNS1_3gpuE2ELNS1_3repE0EEENS1_30default_config_static_selectorELNS0_4arch9wavefront6targetE0EEEvS12_,@function
_ZN7rocprim17ROCPRIM_400000_NS6detail17trampoline_kernelINS0_13select_configILj256ELj13ELNS0_17block_load_methodE3ELS4_3ELS4_3ELNS0_20block_scan_algorithmE0ELj4294967295EEENS1_25partition_config_selectorILNS1_17partition_subalgoE4EjNS0_10empty_typeEbEEZZNS1_14partition_implILS8_4ELb0ES6_15HIP_vector_typeIjLj2EENS0_17counting_iteratorIjlEEPS9_SG_NS0_5tupleIJPjSI_NS0_16reverse_iteratorISI_EEEEENSH_IJSG_SG_SG_EEES9_SI_JZNS1_25segmented_radix_sort_implINS0_14default_configELb1EPKdPdPKlPlN2at6native12_GLOBAL__N_18offset_tEEE10hipError_tPvRmT1_PNSt15iterator_traitsIS12_E10value_typeET2_T3_PNS13_IS18_E10value_typeET4_jRbjT5_S1E_jjP12ihipStream_tbEUljE_ZNSN_ISO_Lb1ESQ_SR_ST_SU_SY_EESZ_S10_S11_S12_S16_S17_S18_S1B_S1C_jS1D_jS1E_S1E_jjS1G_bEUljE0_EEESZ_S10_S11_S18_S1C_S1E_T6_T7_T9_mT8_S1G_bDpT10_ENKUlT_T0_E_clISt17integral_constantIbLb0EES1T_IbLb1EEEEDaS1P_S1Q_EUlS1P_E_NS1_11comp_targetILNS1_3genE8ELNS1_11target_archE1030ELNS1_3gpuE2ELNS1_3repE0EEENS1_30default_config_static_selectorELNS0_4arch9wavefront6targetE0EEEvS12_: ; @_ZN7rocprim17ROCPRIM_400000_NS6detail17trampoline_kernelINS0_13select_configILj256ELj13ELNS0_17block_load_methodE3ELS4_3ELS4_3ELNS0_20block_scan_algorithmE0ELj4294967295EEENS1_25partition_config_selectorILNS1_17partition_subalgoE4EjNS0_10empty_typeEbEEZZNS1_14partition_implILS8_4ELb0ES6_15HIP_vector_typeIjLj2EENS0_17counting_iteratorIjlEEPS9_SG_NS0_5tupleIJPjSI_NS0_16reverse_iteratorISI_EEEEENSH_IJSG_SG_SG_EEES9_SI_JZNS1_25segmented_radix_sort_implINS0_14default_configELb1EPKdPdPKlPlN2at6native12_GLOBAL__N_18offset_tEEE10hipError_tPvRmT1_PNSt15iterator_traitsIS12_E10value_typeET2_T3_PNS13_IS18_E10value_typeET4_jRbjT5_S1E_jjP12ihipStream_tbEUljE_ZNSN_ISO_Lb1ESQ_SR_ST_SU_SY_EESZ_S10_S11_S12_S16_S17_S18_S1B_S1C_jS1D_jS1E_S1E_jjS1G_bEUljE0_EEESZ_S10_S11_S18_S1C_S1E_T6_T7_T9_mT8_S1G_bDpT10_ENKUlT_T0_E_clISt17integral_constantIbLb0EES1T_IbLb1EEEEDaS1P_S1Q_EUlS1P_E_NS1_11comp_targetILNS1_3genE8ELNS1_11target_archE1030ELNS1_3gpuE2ELNS1_3repE0EEENS1_30default_config_static_selectorELNS0_4arch9wavefront6targetE0EEEvS12_
; %bb.0:
	.section	.rodata,"a",@progbits
	.p2align	6, 0x0
	.amdhsa_kernel _ZN7rocprim17ROCPRIM_400000_NS6detail17trampoline_kernelINS0_13select_configILj256ELj13ELNS0_17block_load_methodE3ELS4_3ELS4_3ELNS0_20block_scan_algorithmE0ELj4294967295EEENS1_25partition_config_selectorILNS1_17partition_subalgoE4EjNS0_10empty_typeEbEEZZNS1_14partition_implILS8_4ELb0ES6_15HIP_vector_typeIjLj2EENS0_17counting_iteratorIjlEEPS9_SG_NS0_5tupleIJPjSI_NS0_16reverse_iteratorISI_EEEEENSH_IJSG_SG_SG_EEES9_SI_JZNS1_25segmented_radix_sort_implINS0_14default_configELb1EPKdPdPKlPlN2at6native12_GLOBAL__N_18offset_tEEE10hipError_tPvRmT1_PNSt15iterator_traitsIS12_E10value_typeET2_T3_PNS13_IS18_E10value_typeET4_jRbjT5_S1E_jjP12ihipStream_tbEUljE_ZNSN_ISO_Lb1ESQ_SR_ST_SU_SY_EESZ_S10_S11_S12_S16_S17_S18_S1B_S1C_jS1D_jS1E_S1E_jjS1G_bEUljE0_EEESZ_S10_S11_S18_S1C_S1E_T6_T7_T9_mT8_S1G_bDpT10_ENKUlT_T0_E_clISt17integral_constantIbLb0EES1T_IbLb1EEEEDaS1P_S1Q_EUlS1P_E_NS1_11comp_targetILNS1_3genE8ELNS1_11target_archE1030ELNS1_3gpuE2ELNS1_3repE0EEENS1_30default_config_static_selectorELNS0_4arch9wavefront6targetE0EEEvS12_
		.amdhsa_group_segment_fixed_size 0
		.amdhsa_private_segment_fixed_size 0
		.amdhsa_kernarg_size 184
		.amdhsa_user_sgpr_count 2
		.amdhsa_user_sgpr_dispatch_ptr 0
		.amdhsa_user_sgpr_queue_ptr 0
		.amdhsa_user_sgpr_kernarg_segment_ptr 1
		.amdhsa_user_sgpr_dispatch_id 0
		.amdhsa_user_sgpr_private_segment_size 0
		.amdhsa_wavefront_size32 1
		.amdhsa_uses_dynamic_stack 0
		.amdhsa_enable_private_segment 0
		.amdhsa_system_sgpr_workgroup_id_x 1
		.amdhsa_system_sgpr_workgroup_id_y 0
		.amdhsa_system_sgpr_workgroup_id_z 0
		.amdhsa_system_sgpr_workgroup_info 0
		.amdhsa_system_vgpr_workitem_id 0
		.amdhsa_next_free_vgpr 1
		.amdhsa_next_free_sgpr 1
		.amdhsa_reserve_vcc 0
		.amdhsa_float_round_mode_32 0
		.amdhsa_float_round_mode_16_64 0
		.amdhsa_float_denorm_mode_32 3
		.amdhsa_float_denorm_mode_16_64 3
		.amdhsa_fp16_overflow 0
		.amdhsa_workgroup_processor_mode 1
		.amdhsa_memory_ordered 1
		.amdhsa_forward_progress 1
		.amdhsa_inst_pref_size 0
		.amdhsa_round_robin_scheduling 0
		.amdhsa_exception_fp_ieee_invalid_op 0
		.amdhsa_exception_fp_denorm_src 0
		.amdhsa_exception_fp_ieee_div_zero 0
		.amdhsa_exception_fp_ieee_overflow 0
		.amdhsa_exception_fp_ieee_underflow 0
		.amdhsa_exception_fp_ieee_inexact 0
		.amdhsa_exception_int_div_zero 0
	.end_amdhsa_kernel
	.section	.text._ZN7rocprim17ROCPRIM_400000_NS6detail17trampoline_kernelINS0_13select_configILj256ELj13ELNS0_17block_load_methodE3ELS4_3ELS4_3ELNS0_20block_scan_algorithmE0ELj4294967295EEENS1_25partition_config_selectorILNS1_17partition_subalgoE4EjNS0_10empty_typeEbEEZZNS1_14partition_implILS8_4ELb0ES6_15HIP_vector_typeIjLj2EENS0_17counting_iteratorIjlEEPS9_SG_NS0_5tupleIJPjSI_NS0_16reverse_iteratorISI_EEEEENSH_IJSG_SG_SG_EEES9_SI_JZNS1_25segmented_radix_sort_implINS0_14default_configELb1EPKdPdPKlPlN2at6native12_GLOBAL__N_18offset_tEEE10hipError_tPvRmT1_PNSt15iterator_traitsIS12_E10value_typeET2_T3_PNS13_IS18_E10value_typeET4_jRbjT5_S1E_jjP12ihipStream_tbEUljE_ZNSN_ISO_Lb1ESQ_SR_ST_SU_SY_EESZ_S10_S11_S12_S16_S17_S18_S1B_S1C_jS1D_jS1E_S1E_jjS1G_bEUljE0_EEESZ_S10_S11_S18_S1C_S1E_T6_T7_T9_mT8_S1G_bDpT10_ENKUlT_T0_E_clISt17integral_constantIbLb0EES1T_IbLb1EEEEDaS1P_S1Q_EUlS1P_E_NS1_11comp_targetILNS1_3genE8ELNS1_11target_archE1030ELNS1_3gpuE2ELNS1_3repE0EEENS1_30default_config_static_selectorELNS0_4arch9wavefront6targetE0EEEvS12_,"axG",@progbits,_ZN7rocprim17ROCPRIM_400000_NS6detail17trampoline_kernelINS0_13select_configILj256ELj13ELNS0_17block_load_methodE3ELS4_3ELS4_3ELNS0_20block_scan_algorithmE0ELj4294967295EEENS1_25partition_config_selectorILNS1_17partition_subalgoE4EjNS0_10empty_typeEbEEZZNS1_14partition_implILS8_4ELb0ES6_15HIP_vector_typeIjLj2EENS0_17counting_iteratorIjlEEPS9_SG_NS0_5tupleIJPjSI_NS0_16reverse_iteratorISI_EEEEENSH_IJSG_SG_SG_EEES9_SI_JZNS1_25segmented_radix_sort_implINS0_14default_configELb1EPKdPdPKlPlN2at6native12_GLOBAL__N_18offset_tEEE10hipError_tPvRmT1_PNSt15iterator_traitsIS12_E10value_typeET2_T3_PNS13_IS18_E10value_typeET4_jRbjT5_S1E_jjP12ihipStream_tbEUljE_ZNSN_ISO_Lb1ESQ_SR_ST_SU_SY_EESZ_S10_S11_S12_S16_S17_S18_S1B_S1C_jS1D_jS1E_S1E_jjS1G_bEUljE0_EEESZ_S10_S11_S18_S1C_S1E_T6_T7_T9_mT8_S1G_bDpT10_ENKUlT_T0_E_clISt17integral_constantIbLb0EES1T_IbLb1EEEEDaS1P_S1Q_EUlS1P_E_NS1_11comp_targetILNS1_3genE8ELNS1_11target_archE1030ELNS1_3gpuE2ELNS1_3repE0EEENS1_30default_config_static_selectorELNS0_4arch9wavefront6targetE0EEEvS12_,comdat
.Lfunc_end1085:
	.size	_ZN7rocprim17ROCPRIM_400000_NS6detail17trampoline_kernelINS0_13select_configILj256ELj13ELNS0_17block_load_methodE3ELS4_3ELS4_3ELNS0_20block_scan_algorithmE0ELj4294967295EEENS1_25partition_config_selectorILNS1_17partition_subalgoE4EjNS0_10empty_typeEbEEZZNS1_14partition_implILS8_4ELb0ES6_15HIP_vector_typeIjLj2EENS0_17counting_iteratorIjlEEPS9_SG_NS0_5tupleIJPjSI_NS0_16reverse_iteratorISI_EEEEENSH_IJSG_SG_SG_EEES9_SI_JZNS1_25segmented_radix_sort_implINS0_14default_configELb1EPKdPdPKlPlN2at6native12_GLOBAL__N_18offset_tEEE10hipError_tPvRmT1_PNSt15iterator_traitsIS12_E10value_typeET2_T3_PNS13_IS18_E10value_typeET4_jRbjT5_S1E_jjP12ihipStream_tbEUljE_ZNSN_ISO_Lb1ESQ_SR_ST_SU_SY_EESZ_S10_S11_S12_S16_S17_S18_S1B_S1C_jS1D_jS1E_S1E_jjS1G_bEUljE0_EEESZ_S10_S11_S18_S1C_S1E_T6_T7_T9_mT8_S1G_bDpT10_ENKUlT_T0_E_clISt17integral_constantIbLb0EES1T_IbLb1EEEEDaS1P_S1Q_EUlS1P_E_NS1_11comp_targetILNS1_3genE8ELNS1_11target_archE1030ELNS1_3gpuE2ELNS1_3repE0EEENS1_30default_config_static_selectorELNS0_4arch9wavefront6targetE0EEEvS12_, .Lfunc_end1085-_ZN7rocprim17ROCPRIM_400000_NS6detail17trampoline_kernelINS0_13select_configILj256ELj13ELNS0_17block_load_methodE3ELS4_3ELS4_3ELNS0_20block_scan_algorithmE0ELj4294967295EEENS1_25partition_config_selectorILNS1_17partition_subalgoE4EjNS0_10empty_typeEbEEZZNS1_14partition_implILS8_4ELb0ES6_15HIP_vector_typeIjLj2EENS0_17counting_iteratorIjlEEPS9_SG_NS0_5tupleIJPjSI_NS0_16reverse_iteratorISI_EEEEENSH_IJSG_SG_SG_EEES9_SI_JZNS1_25segmented_radix_sort_implINS0_14default_configELb1EPKdPdPKlPlN2at6native12_GLOBAL__N_18offset_tEEE10hipError_tPvRmT1_PNSt15iterator_traitsIS12_E10value_typeET2_T3_PNS13_IS18_E10value_typeET4_jRbjT5_S1E_jjP12ihipStream_tbEUljE_ZNSN_ISO_Lb1ESQ_SR_ST_SU_SY_EESZ_S10_S11_S12_S16_S17_S18_S1B_S1C_jS1D_jS1E_S1E_jjS1G_bEUljE0_EEESZ_S10_S11_S18_S1C_S1E_T6_T7_T9_mT8_S1G_bDpT10_ENKUlT_T0_E_clISt17integral_constantIbLb0EES1T_IbLb1EEEEDaS1P_S1Q_EUlS1P_E_NS1_11comp_targetILNS1_3genE8ELNS1_11target_archE1030ELNS1_3gpuE2ELNS1_3repE0EEENS1_30default_config_static_selectorELNS0_4arch9wavefront6targetE0EEEvS12_
                                        ; -- End function
	.set _ZN7rocprim17ROCPRIM_400000_NS6detail17trampoline_kernelINS0_13select_configILj256ELj13ELNS0_17block_load_methodE3ELS4_3ELS4_3ELNS0_20block_scan_algorithmE0ELj4294967295EEENS1_25partition_config_selectorILNS1_17partition_subalgoE4EjNS0_10empty_typeEbEEZZNS1_14partition_implILS8_4ELb0ES6_15HIP_vector_typeIjLj2EENS0_17counting_iteratorIjlEEPS9_SG_NS0_5tupleIJPjSI_NS0_16reverse_iteratorISI_EEEEENSH_IJSG_SG_SG_EEES9_SI_JZNS1_25segmented_radix_sort_implINS0_14default_configELb1EPKdPdPKlPlN2at6native12_GLOBAL__N_18offset_tEEE10hipError_tPvRmT1_PNSt15iterator_traitsIS12_E10value_typeET2_T3_PNS13_IS18_E10value_typeET4_jRbjT5_S1E_jjP12ihipStream_tbEUljE_ZNSN_ISO_Lb1ESQ_SR_ST_SU_SY_EESZ_S10_S11_S12_S16_S17_S18_S1B_S1C_jS1D_jS1E_S1E_jjS1G_bEUljE0_EEESZ_S10_S11_S18_S1C_S1E_T6_T7_T9_mT8_S1G_bDpT10_ENKUlT_T0_E_clISt17integral_constantIbLb0EES1T_IbLb1EEEEDaS1P_S1Q_EUlS1P_E_NS1_11comp_targetILNS1_3genE8ELNS1_11target_archE1030ELNS1_3gpuE2ELNS1_3repE0EEENS1_30default_config_static_selectorELNS0_4arch9wavefront6targetE0EEEvS12_.num_vgpr, 0
	.set _ZN7rocprim17ROCPRIM_400000_NS6detail17trampoline_kernelINS0_13select_configILj256ELj13ELNS0_17block_load_methodE3ELS4_3ELS4_3ELNS0_20block_scan_algorithmE0ELj4294967295EEENS1_25partition_config_selectorILNS1_17partition_subalgoE4EjNS0_10empty_typeEbEEZZNS1_14partition_implILS8_4ELb0ES6_15HIP_vector_typeIjLj2EENS0_17counting_iteratorIjlEEPS9_SG_NS0_5tupleIJPjSI_NS0_16reverse_iteratorISI_EEEEENSH_IJSG_SG_SG_EEES9_SI_JZNS1_25segmented_radix_sort_implINS0_14default_configELb1EPKdPdPKlPlN2at6native12_GLOBAL__N_18offset_tEEE10hipError_tPvRmT1_PNSt15iterator_traitsIS12_E10value_typeET2_T3_PNS13_IS18_E10value_typeET4_jRbjT5_S1E_jjP12ihipStream_tbEUljE_ZNSN_ISO_Lb1ESQ_SR_ST_SU_SY_EESZ_S10_S11_S12_S16_S17_S18_S1B_S1C_jS1D_jS1E_S1E_jjS1G_bEUljE0_EEESZ_S10_S11_S18_S1C_S1E_T6_T7_T9_mT8_S1G_bDpT10_ENKUlT_T0_E_clISt17integral_constantIbLb0EES1T_IbLb1EEEEDaS1P_S1Q_EUlS1P_E_NS1_11comp_targetILNS1_3genE8ELNS1_11target_archE1030ELNS1_3gpuE2ELNS1_3repE0EEENS1_30default_config_static_selectorELNS0_4arch9wavefront6targetE0EEEvS12_.num_agpr, 0
	.set _ZN7rocprim17ROCPRIM_400000_NS6detail17trampoline_kernelINS0_13select_configILj256ELj13ELNS0_17block_load_methodE3ELS4_3ELS4_3ELNS0_20block_scan_algorithmE0ELj4294967295EEENS1_25partition_config_selectorILNS1_17partition_subalgoE4EjNS0_10empty_typeEbEEZZNS1_14partition_implILS8_4ELb0ES6_15HIP_vector_typeIjLj2EENS0_17counting_iteratorIjlEEPS9_SG_NS0_5tupleIJPjSI_NS0_16reverse_iteratorISI_EEEEENSH_IJSG_SG_SG_EEES9_SI_JZNS1_25segmented_radix_sort_implINS0_14default_configELb1EPKdPdPKlPlN2at6native12_GLOBAL__N_18offset_tEEE10hipError_tPvRmT1_PNSt15iterator_traitsIS12_E10value_typeET2_T3_PNS13_IS18_E10value_typeET4_jRbjT5_S1E_jjP12ihipStream_tbEUljE_ZNSN_ISO_Lb1ESQ_SR_ST_SU_SY_EESZ_S10_S11_S12_S16_S17_S18_S1B_S1C_jS1D_jS1E_S1E_jjS1G_bEUljE0_EEESZ_S10_S11_S18_S1C_S1E_T6_T7_T9_mT8_S1G_bDpT10_ENKUlT_T0_E_clISt17integral_constantIbLb0EES1T_IbLb1EEEEDaS1P_S1Q_EUlS1P_E_NS1_11comp_targetILNS1_3genE8ELNS1_11target_archE1030ELNS1_3gpuE2ELNS1_3repE0EEENS1_30default_config_static_selectorELNS0_4arch9wavefront6targetE0EEEvS12_.numbered_sgpr, 0
	.set _ZN7rocprim17ROCPRIM_400000_NS6detail17trampoline_kernelINS0_13select_configILj256ELj13ELNS0_17block_load_methodE3ELS4_3ELS4_3ELNS0_20block_scan_algorithmE0ELj4294967295EEENS1_25partition_config_selectorILNS1_17partition_subalgoE4EjNS0_10empty_typeEbEEZZNS1_14partition_implILS8_4ELb0ES6_15HIP_vector_typeIjLj2EENS0_17counting_iteratorIjlEEPS9_SG_NS0_5tupleIJPjSI_NS0_16reverse_iteratorISI_EEEEENSH_IJSG_SG_SG_EEES9_SI_JZNS1_25segmented_radix_sort_implINS0_14default_configELb1EPKdPdPKlPlN2at6native12_GLOBAL__N_18offset_tEEE10hipError_tPvRmT1_PNSt15iterator_traitsIS12_E10value_typeET2_T3_PNS13_IS18_E10value_typeET4_jRbjT5_S1E_jjP12ihipStream_tbEUljE_ZNSN_ISO_Lb1ESQ_SR_ST_SU_SY_EESZ_S10_S11_S12_S16_S17_S18_S1B_S1C_jS1D_jS1E_S1E_jjS1G_bEUljE0_EEESZ_S10_S11_S18_S1C_S1E_T6_T7_T9_mT8_S1G_bDpT10_ENKUlT_T0_E_clISt17integral_constantIbLb0EES1T_IbLb1EEEEDaS1P_S1Q_EUlS1P_E_NS1_11comp_targetILNS1_3genE8ELNS1_11target_archE1030ELNS1_3gpuE2ELNS1_3repE0EEENS1_30default_config_static_selectorELNS0_4arch9wavefront6targetE0EEEvS12_.num_named_barrier, 0
	.set _ZN7rocprim17ROCPRIM_400000_NS6detail17trampoline_kernelINS0_13select_configILj256ELj13ELNS0_17block_load_methodE3ELS4_3ELS4_3ELNS0_20block_scan_algorithmE0ELj4294967295EEENS1_25partition_config_selectorILNS1_17partition_subalgoE4EjNS0_10empty_typeEbEEZZNS1_14partition_implILS8_4ELb0ES6_15HIP_vector_typeIjLj2EENS0_17counting_iteratorIjlEEPS9_SG_NS0_5tupleIJPjSI_NS0_16reverse_iteratorISI_EEEEENSH_IJSG_SG_SG_EEES9_SI_JZNS1_25segmented_radix_sort_implINS0_14default_configELb1EPKdPdPKlPlN2at6native12_GLOBAL__N_18offset_tEEE10hipError_tPvRmT1_PNSt15iterator_traitsIS12_E10value_typeET2_T3_PNS13_IS18_E10value_typeET4_jRbjT5_S1E_jjP12ihipStream_tbEUljE_ZNSN_ISO_Lb1ESQ_SR_ST_SU_SY_EESZ_S10_S11_S12_S16_S17_S18_S1B_S1C_jS1D_jS1E_S1E_jjS1G_bEUljE0_EEESZ_S10_S11_S18_S1C_S1E_T6_T7_T9_mT8_S1G_bDpT10_ENKUlT_T0_E_clISt17integral_constantIbLb0EES1T_IbLb1EEEEDaS1P_S1Q_EUlS1P_E_NS1_11comp_targetILNS1_3genE8ELNS1_11target_archE1030ELNS1_3gpuE2ELNS1_3repE0EEENS1_30default_config_static_selectorELNS0_4arch9wavefront6targetE0EEEvS12_.private_seg_size, 0
	.set _ZN7rocprim17ROCPRIM_400000_NS6detail17trampoline_kernelINS0_13select_configILj256ELj13ELNS0_17block_load_methodE3ELS4_3ELS4_3ELNS0_20block_scan_algorithmE0ELj4294967295EEENS1_25partition_config_selectorILNS1_17partition_subalgoE4EjNS0_10empty_typeEbEEZZNS1_14partition_implILS8_4ELb0ES6_15HIP_vector_typeIjLj2EENS0_17counting_iteratorIjlEEPS9_SG_NS0_5tupleIJPjSI_NS0_16reverse_iteratorISI_EEEEENSH_IJSG_SG_SG_EEES9_SI_JZNS1_25segmented_radix_sort_implINS0_14default_configELb1EPKdPdPKlPlN2at6native12_GLOBAL__N_18offset_tEEE10hipError_tPvRmT1_PNSt15iterator_traitsIS12_E10value_typeET2_T3_PNS13_IS18_E10value_typeET4_jRbjT5_S1E_jjP12ihipStream_tbEUljE_ZNSN_ISO_Lb1ESQ_SR_ST_SU_SY_EESZ_S10_S11_S12_S16_S17_S18_S1B_S1C_jS1D_jS1E_S1E_jjS1G_bEUljE0_EEESZ_S10_S11_S18_S1C_S1E_T6_T7_T9_mT8_S1G_bDpT10_ENKUlT_T0_E_clISt17integral_constantIbLb0EES1T_IbLb1EEEEDaS1P_S1Q_EUlS1P_E_NS1_11comp_targetILNS1_3genE8ELNS1_11target_archE1030ELNS1_3gpuE2ELNS1_3repE0EEENS1_30default_config_static_selectorELNS0_4arch9wavefront6targetE0EEEvS12_.uses_vcc, 0
	.set _ZN7rocprim17ROCPRIM_400000_NS6detail17trampoline_kernelINS0_13select_configILj256ELj13ELNS0_17block_load_methodE3ELS4_3ELS4_3ELNS0_20block_scan_algorithmE0ELj4294967295EEENS1_25partition_config_selectorILNS1_17partition_subalgoE4EjNS0_10empty_typeEbEEZZNS1_14partition_implILS8_4ELb0ES6_15HIP_vector_typeIjLj2EENS0_17counting_iteratorIjlEEPS9_SG_NS0_5tupleIJPjSI_NS0_16reverse_iteratorISI_EEEEENSH_IJSG_SG_SG_EEES9_SI_JZNS1_25segmented_radix_sort_implINS0_14default_configELb1EPKdPdPKlPlN2at6native12_GLOBAL__N_18offset_tEEE10hipError_tPvRmT1_PNSt15iterator_traitsIS12_E10value_typeET2_T3_PNS13_IS18_E10value_typeET4_jRbjT5_S1E_jjP12ihipStream_tbEUljE_ZNSN_ISO_Lb1ESQ_SR_ST_SU_SY_EESZ_S10_S11_S12_S16_S17_S18_S1B_S1C_jS1D_jS1E_S1E_jjS1G_bEUljE0_EEESZ_S10_S11_S18_S1C_S1E_T6_T7_T9_mT8_S1G_bDpT10_ENKUlT_T0_E_clISt17integral_constantIbLb0EES1T_IbLb1EEEEDaS1P_S1Q_EUlS1P_E_NS1_11comp_targetILNS1_3genE8ELNS1_11target_archE1030ELNS1_3gpuE2ELNS1_3repE0EEENS1_30default_config_static_selectorELNS0_4arch9wavefront6targetE0EEEvS12_.uses_flat_scratch, 0
	.set _ZN7rocprim17ROCPRIM_400000_NS6detail17trampoline_kernelINS0_13select_configILj256ELj13ELNS0_17block_load_methodE3ELS4_3ELS4_3ELNS0_20block_scan_algorithmE0ELj4294967295EEENS1_25partition_config_selectorILNS1_17partition_subalgoE4EjNS0_10empty_typeEbEEZZNS1_14partition_implILS8_4ELb0ES6_15HIP_vector_typeIjLj2EENS0_17counting_iteratorIjlEEPS9_SG_NS0_5tupleIJPjSI_NS0_16reverse_iteratorISI_EEEEENSH_IJSG_SG_SG_EEES9_SI_JZNS1_25segmented_radix_sort_implINS0_14default_configELb1EPKdPdPKlPlN2at6native12_GLOBAL__N_18offset_tEEE10hipError_tPvRmT1_PNSt15iterator_traitsIS12_E10value_typeET2_T3_PNS13_IS18_E10value_typeET4_jRbjT5_S1E_jjP12ihipStream_tbEUljE_ZNSN_ISO_Lb1ESQ_SR_ST_SU_SY_EESZ_S10_S11_S12_S16_S17_S18_S1B_S1C_jS1D_jS1E_S1E_jjS1G_bEUljE0_EEESZ_S10_S11_S18_S1C_S1E_T6_T7_T9_mT8_S1G_bDpT10_ENKUlT_T0_E_clISt17integral_constantIbLb0EES1T_IbLb1EEEEDaS1P_S1Q_EUlS1P_E_NS1_11comp_targetILNS1_3genE8ELNS1_11target_archE1030ELNS1_3gpuE2ELNS1_3repE0EEENS1_30default_config_static_selectorELNS0_4arch9wavefront6targetE0EEEvS12_.has_dyn_sized_stack, 0
	.set _ZN7rocprim17ROCPRIM_400000_NS6detail17trampoline_kernelINS0_13select_configILj256ELj13ELNS0_17block_load_methodE3ELS4_3ELS4_3ELNS0_20block_scan_algorithmE0ELj4294967295EEENS1_25partition_config_selectorILNS1_17partition_subalgoE4EjNS0_10empty_typeEbEEZZNS1_14partition_implILS8_4ELb0ES6_15HIP_vector_typeIjLj2EENS0_17counting_iteratorIjlEEPS9_SG_NS0_5tupleIJPjSI_NS0_16reverse_iteratorISI_EEEEENSH_IJSG_SG_SG_EEES9_SI_JZNS1_25segmented_radix_sort_implINS0_14default_configELb1EPKdPdPKlPlN2at6native12_GLOBAL__N_18offset_tEEE10hipError_tPvRmT1_PNSt15iterator_traitsIS12_E10value_typeET2_T3_PNS13_IS18_E10value_typeET4_jRbjT5_S1E_jjP12ihipStream_tbEUljE_ZNSN_ISO_Lb1ESQ_SR_ST_SU_SY_EESZ_S10_S11_S12_S16_S17_S18_S1B_S1C_jS1D_jS1E_S1E_jjS1G_bEUljE0_EEESZ_S10_S11_S18_S1C_S1E_T6_T7_T9_mT8_S1G_bDpT10_ENKUlT_T0_E_clISt17integral_constantIbLb0EES1T_IbLb1EEEEDaS1P_S1Q_EUlS1P_E_NS1_11comp_targetILNS1_3genE8ELNS1_11target_archE1030ELNS1_3gpuE2ELNS1_3repE0EEENS1_30default_config_static_selectorELNS0_4arch9wavefront6targetE0EEEvS12_.has_recursion, 0
	.set _ZN7rocprim17ROCPRIM_400000_NS6detail17trampoline_kernelINS0_13select_configILj256ELj13ELNS0_17block_load_methodE3ELS4_3ELS4_3ELNS0_20block_scan_algorithmE0ELj4294967295EEENS1_25partition_config_selectorILNS1_17partition_subalgoE4EjNS0_10empty_typeEbEEZZNS1_14partition_implILS8_4ELb0ES6_15HIP_vector_typeIjLj2EENS0_17counting_iteratorIjlEEPS9_SG_NS0_5tupleIJPjSI_NS0_16reverse_iteratorISI_EEEEENSH_IJSG_SG_SG_EEES9_SI_JZNS1_25segmented_radix_sort_implINS0_14default_configELb1EPKdPdPKlPlN2at6native12_GLOBAL__N_18offset_tEEE10hipError_tPvRmT1_PNSt15iterator_traitsIS12_E10value_typeET2_T3_PNS13_IS18_E10value_typeET4_jRbjT5_S1E_jjP12ihipStream_tbEUljE_ZNSN_ISO_Lb1ESQ_SR_ST_SU_SY_EESZ_S10_S11_S12_S16_S17_S18_S1B_S1C_jS1D_jS1E_S1E_jjS1G_bEUljE0_EEESZ_S10_S11_S18_S1C_S1E_T6_T7_T9_mT8_S1G_bDpT10_ENKUlT_T0_E_clISt17integral_constantIbLb0EES1T_IbLb1EEEEDaS1P_S1Q_EUlS1P_E_NS1_11comp_targetILNS1_3genE8ELNS1_11target_archE1030ELNS1_3gpuE2ELNS1_3repE0EEENS1_30default_config_static_selectorELNS0_4arch9wavefront6targetE0EEEvS12_.has_indirect_call, 0
	.section	.AMDGPU.csdata,"",@progbits
; Kernel info:
; codeLenInByte = 0
; TotalNumSgprs: 0
; NumVgprs: 0
; ScratchSize: 0
; MemoryBound: 0
; FloatMode: 240
; IeeeMode: 1
; LDSByteSize: 0 bytes/workgroup (compile time only)
; SGPRBlocks: 0
; VGPRBlocks: 0
; NumSGPRsForWavesPerEU: 1
; NumVGPRsForWavesPerEU: 1
; Occupancy: 16
; WaveLimiterHint : 0
; COMPUTE_PGM_RSRC2:SCRATCH_EN: 0
; COMPUTE_PGM_RSRC2:USER_SGPR: 2
; COMPUTE_PGM_RSRC2:TRAP_HANDLER: 0
; COMPUTE_PGM_RSRC2:TGID_X_EN: 1
; COMPUTE_PGM_RSRC2:TGID_Y_EN: 0
; COMPUTE_PGM_RSRC2:TGID_Z_EN: 0
; COMPUTE_PGM_RSRC2:TIDIG_COMP_CNT: 0
	.section	.text._ZN7rocprim17ROCPRIM_400000_NS6detail17trampoline_kernelINS0_13select_configILj256ELj13ELNS0_17block_load_methodE3ELS4_3ELS4_3ELNS0_20block_scan_algorithmE0ELj4294967295EEENS1_25partition_config_selectorILNS1_17partition_subalgoE3EjNS0_10empty_typeEbEEZZNS1_14partition_implILS8_3ELb0ES6_jNS0_17counting_iteratorIjlEEPS9_SE_NS0_5tupleIJPjSE_EEENSF_IJSE_SE_EEES9_SG_JZNS1_25segmented_radix_sort_implINS0_14default_configELb1EPKdPdPKlPlN2at6native12_GLOBAL__N_18offset_tEEE10hipError_tPvRmT1_PNSt15iterator_traitsISY_E10value_typeET2_T3_PNSZ_IS14_E10value_typeET4_jRbjT5_S1A_jjP12ihipStream_tbEUljE_EEESV_SW_SX_S14_S18_S1A_T6_T7_T9_mT8_S1C_bDpT10_ENKUlT_T0_E_clISt17integral_constantIbLb0EES1P_EEDaS1K_S1L_EUlS1K_E_NS1_11comp_targetILNS1_3genE0ELNS1_11target_archE4294967295ELNS1_3gpuE0ELNS1_3repE0EEENS1_30default_config_static_selectorELNS0_4arch9wavefront6targetE0EEEvSY_,"axG",@progbits,_ZN7rocprim17ROCPRIM_400000_NS6detail17trampoline_kernelINS0_13select_configILj256ELj13ELNS0_17block_load_methodE3ELS4_3ELS4_3ELNS0_20block_scan_algorithmE0ELj4294967295EEENS1_25partition_config_selectorILNS1_17partition_subalgoE3EjNS0_10empty_typeEbEEZZNS1_14partition_implILS8_3ELb0ES6_jNS0_17counting_iteratorIjlEEPS9_SE_NS0_5tupleIJPjSE_EEENSF_IJSE_SE_EEES9_SG_JZNS1_25segmented_radix_sort_implINS0_14default_configELb1EPKdPdPKlPlN2at6native12_GLOBAL__N_18offset_tEEE10hipError_tPvRmT1_PNSt15iterator_traitsISY_E10value_typeET2_T3_PNSZ_IS14_E10value_typeET4_jRbjT5_S1A_jjP12ihipStream_tbEUljE_EEESV_SW_SX_S14_S18_S1A_T6_T7_T9_mT8_S1C_bDpT10_ENKUlT_T0_E_clISt17integral_constantIbLb0EES1P_EEDaS1K_S1L_EUlS1K_E_NS1_11comp_targetILNS1_3genE0ELNS1_11target_archE4294967295ELNS1_3gpuE0ELNS1_3repE0EEENS1_30default_config_static_selectorELNS0_4arch9wavefront6targetE0EEEvSY_,comdat
	.globl	_ZN7rocprim17ROCPRIM_400000_NS6detail17trampoline_kernelINS0_13select_configILj256ELj13ELNS0_17block_load_methodE3ELS4_3ELS4_3ELNS0_20block_scan_algorithmE0ELj4294967295EEENS1_25partition_config_selectorILNS1_17partition_subalgoE3EjNS0_10empty_typeEbEEZZNS1_14partition_implILS8_3ELb0ES6_jNS0_17counting_iteratorIjlEEPS9_SE_NS0_5tupleIJPjSE_EEENSF_IJSE_SE_EEES9_SG_JZNS1_25segmented_radix_sort_implINS0_14default_configELb1EPKdPdPKlPlN2at6native12_GLOBAL__N_18offset_tEEE10hipError_tPvRmT1_PNSt15iterator_traitsISY_E10value_typeET2_T3_PNSZ_IS14_E10value_typeET4_jRbjT5_S1A_jjP12ihipStream_tbEUljE_EEESV_SW_SX_S14_S18_S1A_T6_T7_T9_mT8_S1C_bDpT10_ENKUlT_T0_E_clISt17integral_constantIbLb0EES1P_EEDaS1K_S1L_EUlS1K_E_NS1_11comp_targetILNS1_3genE0ELNS1_11target_archE4294967295ELNS1_3gpuE0ELNS1_3repE0EEENS1_30default_config_static_selectorELNS0_4arch9wavefront6targetE0EEEvSY_ ; -- Begin function _ZN7rocprim17ROCPRIM_400000_NS6detail17trampoline_kernelINS0_13select_configILj256ELj13ELNS0_17block_load_methodE3ELS4_3ELS4_3ELNS0_20block_scan_algorithmE0ELj4294967295EEENS1_25partition_config_selectorILNS1_17partition_subalgoE3EjNS0_10empty_typeEbEEZZNS1_14partition_implILS8_3ELb0ES6_jNS0_17counting_iteratorIjlEEPS9_SE_NS0_5tupleIJPjSE_EEENSF_IJSE_SE_EEES9_SG_JZNS1_25segmented_radix_sort_implINS0_14default_configELb1EPKdPdPKlPlN2at6native12_GLOBAL__N_18offset_tEEE10hipError_tPvRmT1_PNSt15iterator_traitsISY_E10value_typeET2_T3_PNSZ_IS14_E10value_typeET4_jRbjT5_S1A_jjP12ihipStream_tbEUljE_EEESV_SW_SX_S14_S18_S1A_T6_T7_T9_mT8_S1C_bDpT10_ENKUlT_T0_E_clISt17integral_constantIbLb0EES1P_EEDaS1K_S1L_EUlS1K_E_NS1_11comp_targetILNS1_3genE0ELNS1_11target_archE4294967295ELNS1_3gpuE0ELNS1_3repE0EEENS1_30default_config_static_selectorELNS0_4arch9wavefront6targetE0EEEvSY_
	.p2align	8
	.type	_ZN7rocprim17ROCPRIM_400000_NS6detail17trampoline_kernelINS0_13select_configILj256ELj13ELNS0_17block_load_methodE3ELS4_3ELS4_3ELNS0_20block_scan_algorithmE0ELj4294967295EEENS1_25partition_config_selectorILNS1_17partition_subalgoE3EjNS0_10empty_typeEbEEZZNS1_14partition_implILS8_3ELb0ES6_jNS0_17counting_iteratorIjlEEPS9_SE_NS0_5tupleIJPjSE_EEENSF_IJSE_SE_EEES9_SG_JZNS1_25segmented_radix_sort_implINS0_14default_configELb1EPKdPdPKlPlN2at6native12_GLOBAL__N_18offset_tEEE10hipError_tPvRmT1_PNSt15iterator_traitsISY_E10value_typeET2_T3_PNSZ_IS14_E10value_typeET4_jRbjT5_S1A_jjP12ihipStream_tbEUljE_EEESV_SW_SX_S14_S18_S1A_T6_T7_T9_mT8_S1C_bDpT10_ENKUlT_T0_E_clISt17integral_constantIbLb0EES1P_EEDaS1K_S1L_EUlS1K_E_NS1_11comp_targetILNS1_3genE0ELNS1_11target_archE4294967295ELNS1_3gpuE0ELNS1_3repE0EEENS1_30default_config_static_selectorELNS0_4arch9wavefront6targetE0EEEvSY_,@function
_ZN7rocprim17ROCPRIM_400000_NS6detail17trampoline_kernelINS0_13select_configILj256ELj13ELNS0_17block_load_methodE3ELS4_3ELS4_3ELNS0_20block_scan_algorithmE0ELj4294967295EEENS1_25partition_config_selectorILNS1_17partition_subalgoE3EjNS0_10empty_typeEbEEZZNS1_14partition_implILS8_3ELb0ES6_jNS0_17counting_iteratorIjlEEPS9_SE_NS0_5tupleIJPjSE_EEENSF_IJSE_SE_EEES9_SG_JZNS1_25segmented_radix_sort_implINS0_14default_configELb1EPKdPdPKlPlN2at6native12_GLOBAL__N_18offset_tEEE10hipError_tPvRmT1_PNSt15iterator_traitsISY_E10value_typeET2_T3_PNSZ_IS14_E10value_typeET4_jRbjT5_S1A_jjP12ihipStream_tbEUljE_EEESV_SW_SX_S14_S18_S1A_T6_T7_T9_mT8_S1C_bDpT10_ENKUlT_T0_E_clISt17integral_constantIbLb0EES1P_EEDaS1K_S1L_EUlS1K_E_NS1_11comp_targetILNS1_3genE0ELNS1_11target_archE4294967295ELNS1_3gpuE0ELNS1_3repE0EEENS1_30default_config_static_selectorELNS0_4arch9wavefront6targetE0EEEvSY_: ; @_ZN7rocprim17ROCPRIM_400000_NS6detail17trampoline_kernelINS0_13select_configILj256ELj13ELNS0_17block_load_methodE3ELS4_3ELS4_3ELNS0_20block_scan_algorithmE0ELj4294967295EEENS1_25partition_config_selectorILNS1_17partition_subalgoE3EjNS0_10empty_typeEbEEZZNS1_14partition_implILS8_3ELb0ES6_jNS0_17counting_iteratorIjlEEPS9_SE_NS0_5tupleIJPjSE_EEENSF_IJSE_SE_EEES9_SG_JZNS1_25segmented_radix_sort_implINS0_14default_configELb1EPKdPdPKlPlN2at6native12_GLOBAL__N_18offset_tEEE10hipError_tPvRmT1_PNSt15iterator_traitsISY_E10value_typeET2_T3_PNSZ_IS14_E10value_typeET4_jRbjT5_S1A_jjP12ihipStream_tbEUljE_EEESV_SW_SX_S14_S18_S1A_T6_T7_T9_mT8_S1C_bDpT10_ENKUlT_T0_E_clISt17integral_constantIbLb0EES1P_EEDaS1K_S1L_EUlS1K_E_NS1_11comp_targetILNS1_3genE0ELNS1_11target_archE4294967295ELNS1_3gpuE0ELNS1_3repE0EEENS1_30default_config_static_selectorELNS0_4arch9wavefront6targetE0EEEvSY_
; %bb.0:
	.section	.rodata,"a",@progbits
	.p2align	6, 0x0
	.amdhsa_kernel _ZN7rocprim17ROCPRIM_400000_NS6detail17trampoline_kernelINS0_13select_configILj256ELj13ELNS0_17block_load_methodE3ELS4_3ELS4_3ELNS0_20block_scan_algorithmE0ELj4294967295EEENS1_25partition_config_selectorILNS1_17partition_subalgoE3EjNS0_10empty_typeEbEEZZNS1_14partition_implILS8_3ELb0ES6_jNS0_17counting_iteratorIjlEEPS9_SE_NS0_5tupleIJPjSE_EEENSF_IJSE_SE_EEES9_SG_JZNS1_25segmented_radix_sort_implINS0_14default_configELb1EPKdPdPKlPlN2at6native12_GLOBAL__N_18offset_tEEE10hipError_tPvRmT1_PNSt15iterator_traitsISY_E10value_typeET2_T3_PNSZ_IS14_E10value_typeET4_jRbjT5_S1A_jjP12ihipStream_tbEUljE_EEESV_SW_SX_S14_S18_S1A_T6_T7_T9_mT8_S1C_bDpT10_ENKUlT_T0_E_clISt17integral_constantIbLb0EES1P_EEDaS1K_S1L_EUlS1K_E_NS1_11comp_targetILNS1_3genE0ELNS1_11target_archE4294967295ELNS1_3gpuE0ELNS1_3repE0EEENS1_30default_config_static_selectorELNS0_4arch9wavefront6targetE0EEEvSY_
		.amdhsa_group_segment_fixed_size 0
		.amdhsa_private_segment_fixed_size 0
		.amdhsa_kernarg_size 144
		.amdhsa_user_sgpr_count 2
		.amdhsa_user_sgpr_dispatch_ptr 0
		.amdhsa_user_sgpr_queue_ptr 0
		.amdhsa_user_sgpr_kernarg_segment_ptr 1
		.amdhsa_user_sgpr_dispatch_id 0
		.amdhsa_user_sgpr_private_segment_size 0
		.amdhsa_wavefront_size32 1
		.amdhsa_uses_dynamic_stack 0
		.amdhsa_enable_private_segment 0
		.amdhsa_system_sgpr_workgroup_id_x 1
		.amdhsa_system_sgpr_workgroup_id_y 0
		.amdhsa_system_sgpr_workgroup_id_z 0
		.amdhsa_system_sgpr_workgroup_info 0
		.amdhsa_system_vgpr_workitem_id 0
		.amdhsa_next_free_vgpr 1
		.amdhsa_next_free_sgpr 1
		.amdhsa_reserve_vcc 0
		.amdhsa_float_round_mode_32 0
		.amdhsa_float_round_mode_16_64 0
		.amdhsa_float_denorm_mode_32 3
		.amdhsa_float_denorm_mode_16_64 3
		.amdhsa_fp16_overflow 0
		.amdhsa_workgroup_processor_mode 1
		.amdhsa_memory_ordered 1
		.amdhsa_forward_progress 1
		.amdhsa_inst_pref_size 0
		.amdhsa_round_robin_scheduling 0
		.amdhsa_exception_fp_ieee_invalid_op 0
		.amdhsa_exception_fp_denorm_src 0
		.amdhsa_exception_fp_ieee_div_zero 0
		.amdhsa_exception_fp_ieee_overflow 0
		.amdhsa_exception_fp_ieee_underflow 0
		.amdhsa_exception_fp_ieee_inexact 0
		.amdhsa_exception_int_div_zero 0
	.end_amdhsa_kernel
	.section	.text._ZN7rocprim17ROCPRIM_400000_NS6detail17trampoline_kernelINS0_13select_configILj256ELj13ELNS0_17block_load_methodE3ELS4_3ELS4_3ELNS0_20block_scan_algorithmE0ELj4294967295EEENS1_25partition_config_selectorILNS1_17partition_subalgoE3EjNS0_10empty_typeEbEEZZNS1_14partition_implILS8_3ELb0ES6_jNS0_17counting_iteratorIjlEEPS9_SE_NS0_5tupleIJPjSE_EEENSF_IJSE_SE_EEES9_SG_JZNS1_25segmented_radix_sort_implINS0_14default_configELb1EPKdPdPKlPlN2at6native12_GLOBAL__N_18offset_tEEE10hipError_tPvRmT1_PNSt15iterator_traitsISY_E10value_typeET2_T3_PNSZ_IS14_E10value_typeET4_jRbjT5_S1A_jjP12ihipStream_tbEUljE_EEESV_SW_SX_S14_S18_S1A_T6_T7_T9_mT8_S1C_bDpT10_ENKUlT_T0_E_clISt17integral_constantIbLb0EES1P_EEDaS1K_S1L_EUlS1K_E_NS1_11comp_targetILNS1_3genE0ELNS1_11target_archE4294967295ELNS1_3gpuE0ELNS1_3repE0EEENS1_30default_config_static_selectorELNS0_4arch9wavefront6targetE0EEEvSY_,"axG",@progbits,_ZN7rocprim17ROCPRIM_400000_NS6detail17trampoline_kernelINS0_13select_configILj256ELj13ELNS0_17block_load_methodE3ELS4_3ELS4_3ELNS0_20block_scan_algorithmE0ELj4294967295EEENS1_25partition_config_selectorILNS1_17partition_subalgoE3EjNS0_10empty_typeEbEEZZNS1_14partition_implILS8_3ELb0ES6_jNS0_17counting_iteratorIjlEEPS9_SE_NS0_5tupleIJPjSE_EEENSF_IJSE_SE_EEES9_SG_JZNS1_25segmented_radix_sort_implINS0_14default_configELb1EPKdPdPKlPlN2at6native12_GLOBAL__N_18offset_tEEE10hipError_tPvRmT1_PNSt15iterator_traitsISY_E10value_typeET2_T3_PNSZ_IS14_E10value_typeET4_jRbjT5_S1A_jjP12ihipStream_tbEUljE_EEESV_SW_SX_S14_S18_S1A_T6_T7_T9_mT8_S1C_bDpT10_ENKUlT_T0_E_clISt17integral_constantIbLb0EES1P_EEDaS1K_S1L_EUlS1K_E_NS1_11comp_targetILNS1_3genE0ELNS1_11target_archE4294967295ELNS1_3gpuE0ELNS1_3repE0EEENS1_30default_config_static_selectorELNS0_4arch9wavefront6targetE0EEEvSY_,comdat
.Lfunc_end1086:
	.size	_ZN7rocprim17ROCPRIM_400000_NS6detail17trampoline_kernelINS0_13select_configILj256ELj13ELNS0_17block_load_methodE3ELS4_3ELS4_3ELNS0_20block_scan_algorithmE0ELj4294967295EEENS1_25partition_config_selectorILNS1_17partition_subalgoE3EjNS0_10empty_typeEbEEZZNS1_14partition_implILS8_3ELb0ES6_jNS0_17counting_iteratorIjlEEPS9_SE_NS0_5tupleIJPjSE_EEENSF_IJSE_SE_EEES9_SG_JZNS1_25segmented_radix_sort_implINS0_14default_configELb1EPKdPdPKlPlN2at6native12_GLOBAL__N_18offset_tEEE10hipError_tPvRmT1_PNSt15iterator_traitsISY_E10value_typeET2_T3_PNSZ_IS14_E10value_typeET4_jRbjT5_S1A_jjP12ihipStream_tbEUljE_EEESV_SW_SX_S14_S18_S1A_T6_T7_T9_mT8_S1C_bDpT10_ENKUlT_T0_E_clISt17integral_constantIbLb0EES1P_EEDaS1K_S1L_EUlS1K_E_NS1_11comp_targetILNS1_3genE0ELNS1_11target_archE4294967295ELNS1_3gpuE0ELNS1_3repE0EEENS1_30default_config_static_selectorELNS0_4arch9wavefront6targetE0EEEvSY_, .Lfunc_end1086-_ZN7rocprim17ROCPRIM_400000_NS6detail17trampoline_kernelINS0_13select_configILj256ELj13ELNS0_17block_load_methodE3ELS4_3ELS4_3ELNS0_20block_scan_algorithmE0ELj4294967295EEENS1_25partition_config_selectorILNS1_17partition_subalgoE3EjNS0_10empty_typeEbEEZZNS1_14partition_implILS8_3ELb0ES6_jNS0_17counting_iteratorIjlEEPS9_SE_NS0_5tupleIJPjSE_EEENSF_IJSE_SE_EEES9_SG_JZNS1_25segmented_radix_sort_implINS0_14default_configELb1EPKdPdPKlPlN2at6native12_GLOBAL__N_18offset_tEEE10hipError_tPvRmT1_PNSt15iterator_traitsISY_E10value_typeET2_T3_PNSZ_IS14_E10value_typeET4_jRbjT5_S1A_jjP12ihipStream_tbEUljE_EEESV_SW_SX_S14_S18_S1A_T6_T7_T9_mT8_S1C_bDpT10_ENKUlT_T0_E_clISt17integral_constantIbLb0EES1P_EEDaS1K_S1L_EUlS1K_E_NS1_11comp_targetILNS1_3genE0ELNS1_11target_archE4294967295ELNS1_3gpuE0ELNS1_3repE0EEENS1_30default_config_static_selectorELNS0_4arch9wavefront6targetE0EEEvSY_
                                        ; -- End function
	.set _ZN7rocprim17ROCPRIM_400000_NS6detail17trampoline_kernelINS0_13select_configILj256ELj13ELNS0_17block_load_methodE3ELS4_3ELS4_3ELNS0_20block_scan_algorithmE0ELj4294967295EEENS1_25partition_config_selectorILNS1_17partition_subalgoE3EjNS0_10empty_typeEbEEZZNS1_14partition_implILS8_3ELb0ES6_jNS0_17counting_iteratorIjlEEPS9_SE_NS0_5tupleIJPjSE_EEENSF_IJSE_SE_EEES9_SG_JZNS1_25segmented_radix_sort_implINS0_14default_configELb1EPKdPdPKlPlN2at6native12_GLOBAL__N_18offset_tEEE10hipError_tPvRmT1_PNSt15iterator_traitsISY_E10value_typeET2_T3_PNSZ_IS14_E10value_typeET4_jRbjT5_S1A_jjP12ihipStream_tbEUljE_EEESV_SW_SX_S14_S18_S1A_T6_T7_T9_mT8_S1C_bDpT10_ENKUlT_T0_E_clISt17integral_constantIbLb0EES1P_EEDaS1K_S1L_EUlS1K_E_NS1_11comp_targetILNS1_3genE0ELNS1_11target_archE4294967295ELNS1_3gpuE0ELNS1_3repE0EEENS1_30default_config_static_selectorELNS0_4arch9wavefront6targetE0EEEvSY_.num_vgpr, 0
	.set _ZN7rocprim17ROCPRIM_400000_NS6detail17trampoline_kernelINS0_13select_configILj256ELj13ELNS0_17block_load_methodE3ELS4_3ELS4_3ELNS0_20block_scan_algorithmE0ELj4294967295EEENS1_25partition_config_selectorILNS1_17partition_subalgoE3EjNS0_10empty_typeEbEEZZNS1_14partition_implILS8_3ELb0ES6_jNS0_17counting_iteratorIjlEEPS9_SE_NS0_5tupleIJPjSE_EEENSF_IJSE_SE_EEES9_SG_JZNS1_25segmented_radix_sort_implINS0_14default_configELb1EPKdPdPKlPlN2at6native12_GLOBAL__N_18offset_tEEE10hipError_tPvRmT1_PNSt15iterator_traitsISY_E10value_typeET2_T3_PNSZ_IS14_E10value_typeET4_jRbjT5_S1A_jjP12ihipStream_tbEUljE_EEESV_SW_SX_S14_S18_S1A_T6_T7_T9_mT8_S1C_bDpT10_ENKUlT_T0_E_clISt17integral_constantIbLb0EES1P_EEDaS1K_S1L_EUlS1K_E_NS1_11comp_targetILNS1_3genE0ELNS1_11target_archE4294967295ELNS1_3gpuE0ELNS1_3repE0EEENS1_30default_config_static_selectorELNS0_4arch9wavefront6targetE0EEEvSY_.num_agpr, 0
	.set _ZN7rocprim17ROCPRIM_400000_NS6detail17trampoline_kernelINS0_13select_configILj256ELj13ELNS0_17block_load_methodE3ELS4_3ELS4_3ELNS0_20block_scan_algorithmE0ELj4294967295EEENS1_25partition_config_selectorILNS1_17partition_subalgoE3EjNS0_10empty_typeEbEEZZNS1_14partition_implILS8_3ELb0ES6_jNS0_17counting_iteratorIjlEEPS9_SE_NS0_5tupleIJPjSE_EEENSF_IJSE_SE_EEES9_SG_JZNS1_25segmented_radix_sort_implINS0_14default_configELb1EPKdPdPKlPlN2at6native12_GLOBAL__N_18offset_tEEE10hipError_tPvRmT1_PNSt15iterator_traitsISY_E10value_typeET2_T3_PNSZ_IS14_E10value_typeET4_jRbjT5_S1A_jjP12ihipStream_tbEUljE_EEESV_SW_SX_S14_S18_S1A_T6_T7_T9_mT8_S1C_bDpT10_ENKUlT_T0_E_clISt17integral_constantIbLb0EES1P_EEDaS1K_S1L_EUlS1K_E_NS1_11comp_targetILNS1_3genE0ELNS1_11target_archE4294967295ELNS1_3gpuE0ELNS1_3repE0EEENS1_30default_config_static_selectorELNS0_4arch9wavefront6targetE0EEEvSY_.numbered_sgpr, 0
	.set _ZN7rocprim17ROCPRIM_400000_NS6detail17trampoline_kernelINS0_13select_configILj256ELj13ELNS0_17block_load_methodE3ELS4_3ELS4_3ELNS0_20block_scan_algorithmE0ELj4294967295EEENS1_25partition_config_selectorILNS1_17partition_subalgoE3EjNS0_10empty_typeEbEEZZNS1_14partition_implILS8_3ELb0ES6_jNS0_17counting_iteratorIjlEEPS9_SE_NS0_5tupleIJPjSE_EEENSF_IJSE_SE_EEES9_SG_JZNS1_25segmented_radix_sort_implINS0_14default_configELb1EPKdPdPKlPlN2at6native12_GLOBAL__N_18offset_tEEE10hipError_tPvRmT1_PNSt15iterator_traitsISY_E10value_typeET2_T3_PNSZ_IS14_E10value_typeET4_jRbjT5_S1A_jjP12ihipStream_tbEUljE_EEESV_SW_SX_S14_S18_S1A_T6_T7_T9_mT8_S1C_bDpT10_ENKUlT_T0_E_clISt17integral_constantIbLb0EES1P_EEDaS1K_S1L_EUlS1K_E_NS1_11comp_targetILNS1_3genE0ELNS1_11target_archE4294967295ELNS1_3gpuE0ELNS1_3repE0EEENS1_30default_config_static_selectorELNS0_4arch9wavefront6targetE0EEEvSY_.num_named_barrier, 0
	.set _ZN7rocprim17ROCPRIM_400000_NS6detail17trampoline_kernelINS0_13select_configILj256ELj13ELNS0_17block_load_methodE3ELS4_3ELS4_3ELNS0_20block_scan_algorithmE0ELj4294967295EEENS1_25partition_config_selectorILNS1_17partition_subalgoE3EjNS0_10empty_typeEbEEZZNS1_14partition_implILS8_3ELb0ES6_jNS0_17counting_iteratorIjlEEPS9_SE_NS0_5tupleIJPjSE_EEENSF_IJSE_SE_EEES9_SG_JZNS1_25segmented_radix_sort_implINS0_14default_configELb1EPKdPdPKlPlN2at6native12_GLOBAL__N_18offset_tEEE10hipError_tPvRmT1_PNSt15iterator_traitsISY_E10value_typeET2_T3_PNSZ_IS14_E10value_typeET4_jRbjT5_S1A_jjP12ihipStream_tbEUljE_EEESV_SW_SX_S14_S18_S1A_T6_T7_T9_mT8_S1C_bDpT10_ENKUlT_T0_E_clISt17integral_constantIbLb0EES1P_EEDaS1K_S1L_EUlS1K_E_NS1_11comp_targetILNS1_3genE0ELNS1_11target_archE4294967295ELNS1_3gpuE0ELNS1_3repE0EEENS1_30default_config_static_selectorELNS0_4arch9wavefront6targetE0EEEvSY_.private_seg_size, 0
	.set _ZN7rocprim17ROCPRIM_400000_NS6detail17trampoline_kernelINS0_13select_configILj256ELj13ELNS0_17block_load_methodE3ELS4_3ELS4_3ELNS0_20block_scan_algorithmE0ELj4294967295EEENS1_25partition_config_selectorILNS1_17partition_subalgoE3EjNS0_10empty_typeEbEEZZNS1_14partition_implILS8_3ELb0ES6_jNS0_17counting_iteratorIjlEEPS9_SE_NS0_5tupleIJPjSE_EEENSF_IJSE_SE_EEES9_SG_JZNS1_25segmented_radix_sort_implINS0_14default_configELb1EPKdPdPKlPlN2at6native12_GLOBAL__N_18offset_tEEE10hipError_tPvRmT1_PNSt15iterator_traitsISY_E10value_typeET2_T3_PNSZ_IS14_E10value_typeET4_jRbjT5_S1A_jjP12ihipStream_tbEUljE_EEESV_SW_SX_S14_S18_S1A_T6_T7_T9_mT8_S1C_bDpT10_ENKUlT_T0_E_clISt17integral_constantIbLb0EES1P_EEDaS1K_S1L_EUlS1K_E_NS1_11comp_targetILNS1_3genE0ELNS1_11target_archE4294967295ELNS1_3gpuE0ELNS1_3repE0EEENS1_30default_config_static_selectorELNS0_4arch9wavefront6targetE0EEEvSY_.uses_vcc, 0
	.set _ZN7rocprim17ROCPRIM_400000_NS6detail17trampoline_kernelINS0_13select_configILj256ELj13ELNS0_17block_load_methodE3ELS4_3ELS4_3ELNS0_20block_scan_algorithmE0ELj4294967295EEENS1_25partition_config_selectorILNS1_17partition_subalgoE3EjNS0_10empty_typeEbEEZZNS1_14partition_implILS8_3ELb0ES6_jNS0_17counting_iteratorIjlEEPS9_SE_NS0_5tupleIJPjSE_EEENSF_IJSE_SE_EEES9_SG_JZNS1_25segmented_radix_sort_implINS0_14default_configELb1EPKdPdPKlPlN2at6native12_GLOBAL__N_18offset_tEEE10hipError_tPvRmT1_PNSt15iterator_traitsISY_E10value_typeET2_T3_PNSZ_IS14_E10value_typeET4_jRbjT5_S1A_jjP12ihipStream_tbEUljE_EEESV_SW_SX_S14_S18_S1A_T6_T7_T9_mT8_S1C_bDpT10_ENKUlT_T0_E_clISt17integral_constantIbLb0EES1P_EEDaS1K_S1L_EUlS1K_E_NS1_11comp_targetILNS1_3genE0ELNS1_11target_archE4294967295ELNS1_3gpuE0ELNS1_3repE0EEENS1_30default_config_static_selectorELNS0_4arch9wavefront6targetE0EEEvSY_.uses_flat_scratch, 0
	.set _ZN7rocprim17ROCPRIM_400000_NS6detail17trampoline_kernelINS0_13select_configILj256ELj13ELNS0_17block_load_methodE3ELS4_3ELS4_3ELNS0_20block_scan_algorithmE0ELj4294967295EEENS1_25partition_config_selectorILNS1_17partition_subalgoE3EjNS0_10empty_typeEbEEZZNS1_14partition_implILS8_3ELb0ES6_jNS0_17counting_iteratorIjlEEPS9_SE_NS0_5tupleIJPjSE_EEENSF_IJSE_SE_EEES9_SG_JZNS1_25segmented_radix_sort_implINS0_14default_configELb1EPKdPdPKlPlN2at6native12_GLOBAL__N_18offset_tEEE10hipError_tPvRmT1_PNSt15iterator_traitsISY_E10value_typeET2_T3_PNSZ_IS14_E10value_typeET4_jRbjT5_S1A_jjP12ihipStream_tbEUljE_EEESV_SW_SX_S14_S18_S1A_T6_T7_T9_mT8_S1C_bDpT10_ENKUlT_T0_E_clISt17integral_constantIbLb0EES1P_EEDaS1K_S1L_EUlS1K_E_NS1_11comp_targetILNS1_3genE0ELNS1_11target_archE4294967295ELNS1_3gpuE0ELNS1_3repE0EEENS1_30default_config_static_selectorELNS0_4arch9wavefront6targetE0EEEvSY_.has_dyn_sized_stack, 0
	.set _ZN7rocprim17ROCPRIM_400000_NS6detail17trampoline_kernelINS0_13select_configILj256ELj13ELNS0_17block_load_methodE3ELS4_3ELS4_3ELNS0_20block_scan_algorithmE0ELj4294967295EEENS1_25partition_config_selectorILNS1_17partition_subalgoE3EjNS0_10empty_typeEbEEZZNS1_14partition_implILS8_3ELb0ES6_jNS0_17counting_iteratorIjlEEPS9_SE_NS0_5tupleIJPjSE_EEENSF_IJSE_SE_EEES9_SG_JZNS1_25segmented_radix_sort_implINS0_14default_configELb1EPKdPdPKlPlN2at6native12_GLOBAL__N_18offset_tEEE10hipError_tPvRmT1_PNSt15iterator_traitsISY_E10value_typeET2_T3_PNSZ_IS14_E10value_typeET4_jRbjT5_S1A_jjP12ihipStream_tbEUljE_EEESV_SW_SX_S14_S18_S1A_T6_T7_T9_mT8_S1C_bDpT10_ENKUlT_T0_E_clISt17integral_constantIbLb0EES1P_EEDaS1K_S1L_EUlS1K_E_NS1_11comp_targetILNS1_3genE0ELNS1_11target_archE4294967295ELNS1_3gpuE0ELNS1_3repE0EEENS1_30default_config_static_selectorELNS0_4arch9wavefront6targetE0EEEvSY_.has_recursion, 0
	.set _ZN7rocprim17ROCPRIM_400000_NS6detail17trampoline_kernelINS0_13select_configILj256ELj13ELNS0_17block_load_methodE3ELS4_3ELS4_3ELNS0_20block_scan_algorithmE0ELj4294967295EEENS1_25partition_config_selectorILNS1_17partition_subalgoE3EjNS0_10empty_typeEbEEZZNS1_14partition_implILS8_3ELb0ES6_jNS0_17counting_iteratorIjlEEPS9_SE_NS0_5tupleIJPjSE_EEENSF_IJSE_SE_EEES9_SG_JZNS1_25segmented_radix_sort_implINS0_14default_configELb1EPKdPdPKlPlN2at6native12_GLOBAL__N_18offset_tEEE10hipError_tPvRmT1_PNSt15iterator_traitsISY_E10value_typeET2_T3_PNSZ_IS14_E10value_typeET4_jRbjT5_S1A_jjP12ihipStream_tbEUljE_EEESV_SW_SX_S14_S18_S1A_T6_T7_T9_mT8_S1C_bDpT10_ENKUlT_T0_E_clISt17integral_constantIbLb0EES1P_EEDaS1K_S1L_EUlS1K_E_NS1_11comp_targetILNS1_3genE0ELNS1_11target_archE4294967295ELNS1_3gpuE0ELNS1_3repE0EEENS1_30default_config_static_selectorELNS0_4arch9wavefront6targetE0EEEvSY_.has_indirect_call, 0
	.section	.AMDGPU.csdata,"",@progbits
; Kernel info:
; codeLenInByte = 0
; TotalNumSgprs: 0
; NumVgprs: 0
; ScratchSize: 0
; MemoryBound: 0
; FloatMode: 240
; IeeeMode: 1
; LDSByteSize: 0 bytes/workgroup (compile time only)
; SGPRBlocks: 0
; VGPRBlocks: 0
; NumSGPRsForWavesPerEU: 1
; NumVGPRsForWavesPerEU: 1
; Occupancy: 16
; WaveLimiterHint : 0
; COMPUTE_PGM_RSRC2:SCRATCH_EN: 0
; COMPUTE_PGM_RSRC2:USER_SGPR: 2
; COMPUTE_PGM_RSRC2:TRAP_HANDLER: 0
; COMPUTE_PGM_RSRC2:TGID_X_EN: 1
; COMPUTE_PGM_RSRC2:TGID_Y_EN: 0
; COMPUTE_PGM_RSRC2:TGID_Z_EN: 0
; COMPUTE_PGM_RSRC2:TIDIG_COMP_CNT: 0
	.section	.text._ZN7rocprim17ROCPRIM_400000_NS6detail17trampoline_kernelINS0_13select_configILj256ELj13ELNS0_17block_load_methodE3ELS4_3ELS4_3ELNS0_20block_scan_algorithmE0ELj4294967295EEENS1_25partition_config_selectorILNS1_17partition_subalgoE3EjNS0_10empty_typeEbEEZZNS1_14partition_implILS8_3ELb0ES6_jNS0_17counting_iteratorIjlEEPS9_SE_NS0_5tupleIJPjSE_EEENSF_IJSE_SE_EEES9_SG_JZNS1_25segmented_radix_sort_implINS0_14default_configELb1EPKdPdPKlPlN2at6native12_GLOBAL__N_18offset_tEEE10hipError_tPvRmT1_PNSt15iterator_traitsISY_E10value_typeET2_T3_PNSZ_IS14_E10value_typeET4_jRbjT5_S1A_jjP12ihipStream_tbEUljE_EEESV_SW_SX_S14_S18_S1A_T6_T7_T9_mT8_S1C_bDpT10_ENKUlT_T0_E_clISt17integral_constantIbLb0EES1P_EEDaS1K_S1L_EUlS1K_E_NS1_11comp_targetILNS1_3genE5ELNS1_11target_archE942ELNS1_3gpuE9ELNS1_3repE0EEENS1_30default_config_static_selectorELNS0_4arch9wavefront6targetE0EEEvSY_,"axG",@progbits,_ZN7rocprim17ROCPRIM_400000_NS6detail17trampoline_kernelINS0_13select_configILj256ELj13ELNS0_17block_load_methodE3ELS4_3ELS4_3ELNS0_20block_scan_algorithmE0ELj4294967295EEENS1_25partition_config_selectorILNS1_17partition_subalgoE3EjNS0_10empty_typeEbEEZZNS1_14partition_implILS8_3ELb0ES6_jNS0_17counting_iteratorIjlEEPS9_SE_NS0_5tupleIJPjSE_EEENSF_IJSE_SE_EEES9_SG_JZNS1_25segmented_radix_sort_implINS0_14default_configELb1EPKdPdPKlPlN2at6native12_GLOBAL__N_18offset_tEEE10hipError_tPvRmT1_PNSt15iterator_traitsISY_E10value_typeET2_T3_PNSZ_IS14_E10value_typeET4_jRbjT5_S1A_jjP12ihipStream_tbEUljE_EEESV_SW_SX_S14_S18_S1A_T6_T7_T9_mT8_S1C_bDpT10_ENKUlT_T0_E_clISt17integral_constantIbLb0EES1P_EEDaS1K_S1L_EUlS1K_E_NS1_11comp_targetILNS1_3genE5ELNS1_11target_archE942ELNS1_3gpuE9ELNS1_3repE0EEENS1_30default_config_static_selectorELNS0_4arch9wavefront6targetE0EEEvSY_,comdat
	.globl	_ZN7rocprim17ROCPRIM_400000_NS6detail17trampoline_kernelINS0_13select_configILj256ELj13ELNS0_17block_load_methodE3ELS4_3ELS4_3ELNS0_20block_scan_algorithmE0ELj4294967295EEENS1_25partition_config_selectorILNS1_17partition_subalgoE3EjNS0_10empty_typeEbEEZZNS1_14partition_implILS8_3ELb0ES6_jNS0_17counting_iteratorIjlEEPS9_SE_NS0_5tupleIJPjSE_EEENSF_IJSE_SE_EEES9_SG_JZNS1_25segmented_radix_sort_implINS0_14default_configELb1EPKdPdPKlPlN2at6native12_GLOBAL__N_18offset_tEEE10hipError_tPvRmT1_PNSt15iterator_traitsISY_E10value_typeET2_T3_PNSZ_IS14_E10value_typeET4_jRbjT5_S1A_jjP12ihipStream_tbEUljE_EEESV_SW_SX_S14_S18_S1A_T6_T7_T9_mT8_S1C_bDpT10_ENKUlT_T0_E_clISt17integral_constantIbLb0EES1P_EEDaS1K_S1L_EUlS1K_E_NS1_11comp_targetILNS1_3genE5ELNS1_11target_archE942ELNS1_3gpuE9ELNS1_3repE0EEENS1_30default_config_static_selectorELNS0_4arch9wavefront6targetE0EEEvSY_ ; -- Begin function _ZN7rocprim17ROCPRIM_400000_NS6detail17trampoline_kernelINS0_13select_configILj256ELj13ELNS0_17block_load_methodE3ELS4_3ELS4_3ELNS0_20block_scan_algorithmE0ELj4294967295EEENS1_25partition_config_selectorILNS1_17partition_subalgoE3EjNS0_10empty_typeEbEEZZNS1_14partition_implILS8_3ELb0ES6_jNS0_17counting_iteratorIjlEEPS9_SE_NS0_5tupleIJPjSE_EEENSF_IJSE_SE_EEES9_SG_JZNS1_25segmented_radix_sort_implINS0_14default_configELb1EPKdPdPKlPlN2at6native12_GLOBAL__N_18offset_tEEE10hipError_tPvRmT1_PNSt15iterator_traitsISY_E10value_typeET2_T3_PNSZ_IS14_E10value_typeET4_jRbjT5_S1A_jjP12ihipStream_tbEUljE_EEESV_SW_SX_S14_S18_S1A_T6_T7_T9_mT8_S1C_bDpT10_ENKUlT_T0_E_clISt17integral_constantIbLb0EES1P_EEDaS1K_S1L_EUlS1K_E_NS1_11comp_targetILNS1_3genE5ELNS1_11target_archE942ELNS1_3gpuE9ELNS1_3repE0EEENS1_30default_config_static_selectorELNS0_4arch9wavefront6targetE0EEEvSY_
	.p2align	8
	.type	_ZN7rocprim17ROCPRIM_400000_NS6detail17trampoline_kernelINS0_13select_configILj256ELj13ELNS0_17block_load_methodE3ELS4_3ELS4_3ELNS0_20block_scan_algorithmE0ELj4294967295EEENS1_25partition_config_selectorILNS1_17partition_subalgoE3EjNS0_10empty_typeEbEEZZNS1_14partition_implILS8_3ELb0ES6_jNS0_17counting_iteratorIjlEEPS9_SE_NS0_5tupleIJPjSE_EEENSF_IJSE_SE_EEES9_SG_JZNS1_25segmented_radix_sort_implINS0_14default_configELb1EPKdPdPKlPlN2at6native12_GLOBAL__N_18offset_tEEE10hipError_tPvRmT1_PNSt15iterator_traitsISY_E10value_typeET2_T3_PNSZ_IS14_E10value_typeET4_jRbjT5_S1A_jjP12ihipStream_tbEUljE_EEESV_SW_SX_S14_S18_S1A_T6_T7_T9_mT8_S1C_bDpT10_ENKUlT_T0_E_clISt17integral_constantIbLb0EES1P_EEDaS1K_S1L_EUlS1K_E_NS1_11comp_targetILNS1_3genE5ELNS1_11target_archE942ELNS1_3gpuE9ELNS1_3repE0EEENS1_30default_config_static_selectorELNS0_4arch9wavefront6targetE0EEEvSY_,@function
_ZN7rocprim17ROCPRIM_400000_NS6detail17trampoline_kernelINS0_13select_configILj256ELj13ELNS0_17block_load_methodE3ELS4_3ELS4_3ELNS0_20block_scan_algorithmE0ELj4294967295EEENS1_25partition_config_selectorILNS1_17partition_subalgoE3EjNS0_10empty_typeEbEEZZNS1_14partition_implILS8_3ELb0ES6_jNS0_17counting_iteratorIjlEEPS9_SE_NS0_5tupleIJPjSE_EEENSF_IJSE_SE_EEES9_SG_JZNS1_25segmented_radix_sort_implINS0_14default_configELb1EPKdPdPKlPlN2at6native12_GLOBAL__N_18offset_tEEE10hipError_tPvRmT1_PNSt15iterator_traitsISY_E10value_typeET2_T3_PNSZ_IS14_E10value_typeET4_jRbjT5_S1A_jjP12ihipStream_tbEUljE_EEESV_SW_SX_S14_S18_S1A_T6_T7_T9_mT8_S1C_bDpT10_ENKUlT_T0_E_clISt17integral_constantIbLb0EES1P_EEDaS1K_S1L_EUlS1K_E_NS1_11comp_targetILNS1_3genE5ELNS1_11target_archE942ELNS1_3gpuE9ELNS1_3repE0EEENS1_30default_config_static_selectorELNS0_4arch9wavefront6targetE0EEEvSY_: ; @_ZN7rocprim17ROCPRIM_400000_NS6detail17trampoline_kernelINS0_13select_configILj256ELj13ELNS0_17block_load_methodE3ELS4_3ELS4_3ELNS0_20block_scan_algorithmE0ELj4294967295EEENS1_25partition_config_selectorILNS1_17partition_subalgoE3EjNS0_10empty_typeEbEEZZNS1_14partition_implILS8_3ELb0ES6_jNS0_17counting_iteratorIjlEEPS9_SE_NS0_5tupleIJPjSE_EEENSF_IJSE_SE_EEES9_SG_JZNS1_25segmented_radix_sort_implINS0_14default_configELb1EPKdPdPKlPlN2at6native12_GLOBAL__N_18offset_tEEE10hipError_tPvRmT1_PNSt15iterator_traitsISY_E10value_typeET2_T3_PNSZ_IS14_E10value_typeET4_jRbjT5_S1A_jjP12ihipStream_tbEUljE_EEESV_SW_SX_S14_S18_S1A_T6_T7_T9_mT8_S1C_bDpT10_ENKUlT_T0_E_clISt17integral_constantIbLb0EES1P_EEDaS1K_S1L_EUlS1K_E_NS1_11comp_targetILNS1_3genE5ELNS1_11target_archE942ELNS1_3gpuE9ELNS1_3repE0EEENS1_30default_config_static_selectorELNS0_4arch9wavefront6targetE0EEEvSY_
; %bb.0:
	.section	.rodata,"a",@progbits
	.p2align	6, 0x0
	.amdhsa_kernel _ZN7rocprim17ROCPRIM_400000_NS6detail17trampoline_kernelINS0_13select_configILj256ELj13ELNS0_17block_load_methodE3ELS4_3ELS4_3ELNS0_20block_scan_algorithmE0ELj4294967295EEENS1_25partition_config_selectorILNS1_17partition_subalgoE3EjNS0_10empty_typeEbEEZZNS1_14partition_implILS8_3ELb0ES6_jNS0_17counting_iteratorIjlEEPS9_SE_NS0_5tupleIJPjSE_EEENSF_IJSE_SE_EEES9_SG_JZNS1_25segmented_radix_sort_implINS0_14default_configELb1EPKdPdPKlPlN2at6native12_GLOBAL__N_18offset_tEEE10hipError_tPvRmT1_PNSt15iterator_traitsISY_E10value_typeET2_T3_PNSZ_IS14_E10value_typeET4_jRbjT5_S1A_jjP12ihipStream_tbEUljE_EEESV_SW_SX_S14_S18_S1A_T6_T7_T9_mT8_S1C_bDpT10_ENKUlT_T0_E_clISt17integral_constantIbLb0EES1P_EEDaS1K_S1L_EUlS1K_E_NS1_11comp_targetILNS1_3genE5ELNS1_11target_archE942ELNS1_3gpuE9ELNS1_3repE0EEENS1_30default_config_static_selectorELNS0_4arch9wavefront6targetE0EEEvSY_
		.amdhsa_group_segment_fixed_size 0
		.amdhsa_private_segment_fixed_size 0
		.amdhsa_kernarg_size 144
		.amdhsa_user_sgpr_count 2
		.amdhsa_user_sgpr_dispatch_ptr 0
		.amdhsa_user_sgpr_queue_ptr 0
		.amdhsa_user_sgpr_kernarg_segment_ptr 1
		.amdhsa_user_sgpr_dispatch_id 0
		.amdhsa_user_sgpr_private_segment_size 0
		.amdhsa_wavefront_size32 1
		.amdhsa_uses_dynamic_stack 0
		.amdhsa_enable_private_segment 0
		.amdhsa_system_sgpr_workgroup_id_x 1
		.amdhsa_system_sgpr_workgroup_id_y 0
		.amdhsa_system_sgpr_workgroup_id_z 0
		.amdhsa_system_sgpr_workgroup_info 0
		.amdhsa_system_vgpr_workitem_id 0
		.amdhsa_next_free_vgpr 1
		.amdhsa_next_free_sgpr 1
		.amdhsa_reserve_vcc 0
		.amdhsa_float_round_mode_32 0
		.amdhsa_float_round_mode_16_64 0
		.amdhsa_float_denorm_mode_32 3
		.amdhsa_float_denorm_mode_16_64 3
		.amdhsa_fp16_overflow 0
		.amdhsa_workgroup_processor_mode 1
		.amdhsa_memory_ordered 1
		.amdhsa_forward_progress 1
		.amdhsa_inst_pref_size 0
		.amdhsa_round_robin_scheduling 0
		.amdhsa_exception_fp_ieee_invalid_op 0
		.amdhsa_exception_fp_denorm_src 0
		.amdhsa_exception_fp_ieee_div_zero 0
		.amdhsa_exception_fp_ieee_overflow 0
		.amdhsa_exception_fp_ieee_underflow 0
		.amdhsa_exception_fp_ieee_inexact 0
		.amdhsa_exception_int_div_zero 0
	.end_amdhsa_kernel
	.section	.text._ZN7rocprim17ROCPRIM_400000_NS6detail17trampoline_kernelINS0_13select_configILj256ELj13ELNS0_17block_load_methodE3ELS4_3ELS4_3ELNS0_20block_scan_algorithmE0ELj4294967295EEENS1_25partition_config_selectorILNS1_17partition_subalgoE3EjNS0_10empty_typeEbEEZZNS1_14partition_implILS8_3ELb0ES6_jNS0_17counting_iteratorIjlEEPS9_SE_NS0_5tupleIJPjSE_EEENSF_IJSE_SE_EEES9_SG_JZNS1_25segmented_radix_sort_implINS0_14default_configELb1EPKdPdPKlPlN2at6native12_GLOBAL__N_18offset_tEEE10hipError_tPvRmT1_PNSt15iterator_traitsISY_E10value_typeET2_T3_PNSZ_IS14_E10value_typeET4_jRbjT5_S1A_jjP12ihipStream_tbEUljE_EEESV_SW_SX_S14_S18_S1A_T6_T7_T9_mT8_S1C_bDpT10_ENKUlT_T0_E_clISt17integral_constantIbLb0EES1P_EEDaS1K_S1L_EUlS1K_E_NS1_11comp_targetILNS1_3genE5ELNS1_11target_archE942ELNS1_3gpuE9ELNS1_3repE0EEENS1_30default_config_static_selectorELNS0_4arch9wavefront6targetE0EEEvSY_,"axG",@progbits,_ZN7rocprim17ROCPRIM_400000_NS6detail17trampoline_kernelINS0_13select_configILj256ELj13ELNS0_17block_load_methodE3ELS4_3ELS4_3ELNS0_20block_scan_algorithmE0ELj4294967295EEENS1_25partition_config_selectorILNS1_17partition_subalgoE3EjNS0_10empty_typeEbEEZZNS1_14partition_implILS8_3ELb0ES6_jNS0_17counting_iteratorIjlEEPS9_SE_NS0_5tupleIJPjSE_EEENSF_IJSE_SE_EEES9_SG_JZNS1_25segmented_radix_sort_implINS0_14default_configELb1EPKdPdPKlPlN2at6native12_GLOBAL__N_18offset_tEEE10hipError_tPvRmT1_PNSt15iterator_traitsISY_E10value_typeET2_T3_PNSZ_IS14_E10value_typeET4_jRbjT5_S1A_jjP12ihipStream_tbEUljE_EEESV_SW_SX_S14_S18_S1A_T6_T7_T9_mT8_S1C_bDpT10_ENKUlT_T0_E_clISt17integral_constantIbLb0EES1P_EEDaS1K_S1L_EUlS1K_E_NS1_11comp_targetILNS1_3genE5ELNS1_11target_archE942ELNS1_3gpuE9ELNS1_3repE0EEENS1_30default_config_static_selectorELNS0_4arch9wavefront6targetE0EEEvSY_,comdat
.Lfunc_end1087:
	.size	_ZN7rocprim17ROCPRIM_400000_NS6detail17trampoline_kernelINS0_13select_configILj256ELj13ELNS0_17block_load_methodE3ELS4_3ELS4_3ELNS0_20block_scan_algorithmE0ELj4294967295EEENS1_25partition_config_selectorILNS1_17partition_subalgoE3EjNS0_10empty_typeEbEEZZNS1_14partition_implILS8_3ELb0ES6_jNS0_17counting_iteratorIjlEEPS9_SE_NS0_5tupleIJPjSE_EEENSF_IJSE_SE_EEES9_SG_JZNS1_25segmented_radix_sort_implINS0_14default_configELb1EPKdPdPKlPlN2at6native12_GLOBAL__N_18offset_tEEE10hipError_tPvRmT1_PNSt15iterator_traitsISY_E10value_typeET2_T3_PNSZ_IS14_E10value_typeET4_jRbjT5_S1A_jjP12ihipStream_tbEUljE_EEESV_SW_SX_S14_S18_S1A_T6_T7_T9_mT8_S1C_bDpT10_ENKUlT_T0_E_clISt17integral_constantIbLb0EES1P_EEDaS1K_S1L_EUlS1K_E_NS1_11comp_targetILNS1_3genE5ELNS1_11target_archE942ELNS1_3gpuE9ELNS1_3repE0EEENS1_30default_config_static_selectorELNS0_4arch9wavefront6targetE0EEEvSY_, .Lfunc_end1087-_ZN7rocprim17ROCPRIM_400000_NS6detail17trampoline_kernelINS0_13select_configILj256ELj13ELNS0_17block_load_methodE3ELS4_3ELS4_3ELNS0_20block_scan_algorithmE0ELj4294967295EEENS1_25partition_config_selectorILNS1_17partition_subalgoE3EjNS0_10empty_typeEbEEZZNS1_14partition_implILS8_3ELb0ES6_jNS0_17counting_iteratorIjlEEPS9_SE_NS0_5tupleIJPjSE_EEENSF_IJSE_SE_EEES9_SG_JZNS1_25segmented_radix_sort_implINS0_14default_configELb1EPKdPdPKlPlN2at6native12_GLOBAL__N_18offset_tEEE10hipError_tPvRmT1_PNSt15iterator_traitsISY_E10value_typeET2_T3_PNSZ_IS14_E10value_typeET4_jRbjT5_S1A_jjP12ihipStream_tbEUljE_EEESV_SW_SX_S14_S18_S1A_T6_T7_T9_mT8_S1C_bDpT10_ENKUlT_T0_E_clISt17integral_constantIbLb0EES1P_EEDaS1K_S1L_EUlS1K_E_NS1_11comp_targetILNS1_3genE5ELNS1_11target_archE942ELNS1_3gpuE9ELNS1_3repE0EEENS1_30default_config_static_selectorELNS0_4arch9wavefront6targetE0EEEvSY_
                                        ; -- End function
	.set _ZN7rocprim17ROCPRIM_400000_NS6detail17trampoline_kernelINS0_13select_configILj256ELj13ELNS0_17block_load_methodE3ELS4_3ELS4_3ELNS0_20block_scan_algorithmE0ELj4294967295EEENS1_25partition_config_selectorILNS1_17partition_subalgoE3EjNS0_10empty_typeEbEEZZNS1_14partition_implILS8_3ELb0ES6_jNS0_17counting_iteratorIjlEEPS9_SE_NS0_5tupleIJPjSE_EEENSF_IJSE_SE_EEES9_SG_JZNS1_25segmented_radix_sort_implINS0_14default_configELb1EPKdPdPKlPlN2at6native12_GLOBAL__N_18offset_tEEE10hipError_tPvRmT1_PNSt15iterator_traitsISY_E10value_typeET2_T3_PNSZ_IS14_E10value_typeET4_jRbjT5_S1A_jjP12ihipStream_tbEUljE_EEESV_SW_SX_S14_S18_S1A_T6_T7_T9_mT8_S1C_bDpT10_ENKUlT_T0_E_clISt17integral_constantIbLb0EES1P_EEDaS1K_S1L_EUlS1K_E_NS1_11comp_targetILNS1_3genE5ELNS1_11target_archE942ELNS1_3gpuE9ELNS1_3repE0EEENS1_30default_config_static_selectorELNS0_4arch9wavefront6targetE0EEEvSY_.num_vgpr, 0
	.set _ZN7rocprim17ROCPRIM_400000_NS6detail17trampoline_kernelINS0_13select_configILj256ELj13ELNS0_17block_load_methodE3ELS4_3ELS4_3ELNS0_20block_scan_algorithmE0ELj4294967295EEENS1_25partition_config_selectorILNS1_17partition_subalgoE3EjNS0_10empty_typeEbEEZZNS1_14partition_implILS8_3ELb0ES6_jNS0_17counting_iteratorIjlEEPS9_SE_NS0_5tupleIJPjSE_EEENSF_IJSE_SE_EEES9_SG_JZNS1_25segmented_radix_sort_implINS0_14default_configELb1EPKdPdPKlPlN2at6native12_GLOBAL__N_18offset_tEEE10hipError_tPvRmT1_PNSt15iterator_traitsISY_E10value_typeET2_T3_PNSZ_IS14_E10value_typeET4_jRbjT5_S1A_jjP12ihipStream_tbEUljE_EEESV_SW_SX_S14_S18_S1A_T6_T7_T9_mT8_S1C_bDpT10_ENKUlT_T0_E_clISt17integral_constantIbLb0EES1P_EEDaS1K_S1L_EUlS1K_E_NS1_11comp_targetILNS1_3genE5ELNS1_11target_archE942ELNS1_3gpuE9ELNS1_3repE0EEENS1_30default_config_static_selectorELNS0_4arch9wavefront6targetE0EEEvSY_.num_agpr, 0
	.set _ZN7rocprim17ROCPRIM_400000_NS6detail17trampoline_kernelINS0_13select_configILj256ELj13ELNS0_17block_load_methodE3ELS4_3ELS4_3ELNS0_20block_scan_algorithmE0ELj4294967295EEENS1_25partition_config_selectorILNS1_17partition_subalgoE3EjNS0_10empty_typeEbEEZZNS1_14partition_implILS8_3ELb0ES6_jNS0_17counting_iteratorIjlEEPS9_SE_NS0_5tupleIJPjSE_EEENSF_IJSE_SE_EEES9_SG_JZNS1_25segmented_radix_sort_implINS0_14default_configELb1EPKdPdPKlPlN2at6native12_GLOBAL__N_18offset_tEEE10hipError_tPvRmT1_PNSt15iterator_traitsISY_E10value_typeET2_T3_PNSZ_IS14_E10value_typeET4_jRbjT5_S1A_jjP12ihipStream_tbEUljE_EEESV_SW_SX_S14_S18_S1A_T6_T7_T9_mT8_S1C_bDpT10_ENKUlT_T0_E_clISt17integral_constantIbLb0EES1P_EEDaS1K_S1L_EUlS1K_E_NS1_11comp_targetILNS1_3genE5ELNS1_11target_archE942ELNS1_3gpuE9ELNS1_3repE0EEENS1_30default_config_static_selectorELNS0_4arch9wavefront6targetE0EEEvSY_.numbered_sgpr, 0
	.set _ZN7rocprim17ROCPRIM_400000_NS6detail17trampoline_kernelINS0_13select_configILj256ELj13ELNS0_17block_load_methodE3ELS4_3ELS4_3ELNS0_20block_scan_algorithmE0ELj4294967295EEENS1_25partition_config_selectorILNS1_17partition_subalgoE3EjNS0_10empty_typeEbEEZZNS1_14partition_implILS8_3ELb0ES6_jNS0_17counting_iteratorIjlEEPS9_SE_NS0_5tupleIJPjSE_EEENSF_IJSE_SE_EEES9_SG_JZNS1_25segmented_radix_sort_implINS0_14default_configELb1EPKdPdPKlPlN2at6native12_GLOBAL__N_18offset_tEEE10hipError_tPvRmT1_PNSt15iterator_traitsISY_E10value_typeET2_T3_PNSZ_IS14_E10value_typeET4_jRbjT5_S1A_jjP12ihipStream_tbEUljE_EEESV_SW_SX_S14_S18_S1A_T6_T7_T9_mT8_S1C_bDpT10_ENKUlT_T0_E_clISt17integral_constantIbLb0EES1P_EEDaS1K_S1L_EUlS1K_E_NS1_11comp_targetILNS1_3genE5ELNS1_11target_archE942ELNS1_3gpuE9ELNS1_3repE0EEENS1_30default_config_static_selectorELNS0_4arch9wavefront6targetE0EEEvSY_.num_named_barrier, 0
	.set _ZN7rocprim17ROCPRIM_400000_NS6detail17trampoline_kernelINS0_13select_configILj256ELj13ELNS0_17block_load_methodE3ELS4_3ELS4_3ELNS0_20block_scan_algorithmE0ELj4294967295EEENS1_25partition_config_selectorILNS1_17partition_subalgoE3EjNS0_10empty_typeEbEEZZNS1_14partition_implILS8_3ELb0ES6_jNS0_17counting_iteratorIjlEEPS9_SE_NS0_5tupleIJPjSE_EEENSF_IJSE_SE_EEES9_SG_JZNS1_25segmented_radix_sort_implINS0_14default_configELb1EPKdPdPKlPlN2at6native12_GLOBAL__N_18offset_tEEE10hipError_tPvRmT1_PNSt15iterator_traitsISY_E10value_typeET2_T3_PNSZ_IS14_E10value_typeET4_jRbjT5_S1A_jjP12ihipStream_tbEUljE_EEESV_SW_SX_S14_S18_S1A_T6_T7_T9_mT8_S1C_bDpT10_ENKUlT_T0_E_clISt17integral_constantIbLb0EES1P_EEDaS1K_S1L_EUlS1K_E_NS1_11comp_targetILNS1_3genE5ELNS1_11target_archE942ELNS1_3gpuE9ELNS1_3repE0EEENS1_30default_config_static_selectorELNS0_4arch9wavefront6targetE0EEEvSY_.private_seg_size, 0
	.set _ZN7rocprim17ROCPRIM_400000_NS6detail17trampoline_kernelINS0_13select_configILj256ELj13ELNS0_17block_load_methodE3ELS4_3ELS4_3ELNS0_20block_scan_algorithmE0ELj4294967295EEENS1_25partition_config_selectorILNS1_17partition_subalgoE3EjNS0_10empty_typeEbEEZZNS1_14partition_implILS8_3ELb0ES6_jNS0_17counting_iteratorIjlEEPS9_SE_NS0_5tupleIJPjSE_EEENSF_IJSE_SE_EEES9_SG_JZNS1_25segmented_radix_sort_implINS0_14default_configELb1EPKdPdPKlPlN2at6native12_GLOBAL__N_18offset_tEEE10hipError_tPvRmT1_PNSt15iterator_traitsISY_E10value_typeET2_T3_PNSZ_IS14_E10value_typeET4_jRbjT5_S1A_jjP12ihipStream_tbEUljE_EEESV_SW_SX_S14_S18_S1A_T6_T7_T9_mT8_S1C_bDpT10_ENKUlT_T0_E_clISt17integral_constantIbLb0EES1P_EEDaS1K_S1L_EUlS1K_E_NS1_11comp_targetILNS1_3genE5ELNS1_11target_archE942ELNS1_3gpuE9ELNS1_3repE0EEENS1_30default_config_static_selectorELNS0_4arch9wavefront6targetE0EEEvSY_.uses_vcc, 0
	.set _ZN7rocprim17ROCPRIM_400000_NS6detail17trampoline_kernelINS0_13select_configILj256ELj13ELNS0_17block_load_methodE3ELS4_3ELS4_3ELNS0_20block_scan_algorithmE0ELj4294967295EEENS1_25partition_config_selectorILNS1_17partition_subalgoE3EjNS0_10empty_typeEbEEZZNS1_14partition_implILS8_3ELb0ES6_jNS0_17counting_iteratorIjlEEPS9_SE_NS0_5tupleIJPjSE_EEENSF_IJSE_SE_EEES9_SG_JZNS1_25segmented_radix_sort_implINS0_14default_configELb1EPKdPdPKlPlN2at6native12_GLOBAL__N_18offset_tEEE10hipError_tPvRmT1_PNSt15iterator_traitsISY_E10value_typeET2_T3_PNSZ_IS14_E10value_typeET4_jRbjT5_S1A_jjP12ihipStream_tbEUljE_EEESV_SW_SX_S14_S18_S1A_T6_T7_T9_mT8_S1C_bDpT10_ENKUlT_T0_E_clISt17integral_constantIbLb0EES1P_EEDaS1K_S1L_EUlS1K_E_NS1_11comp_targetILNS1_3genE5ELNS1_11target_archE942ELNS1_3gpuE9ELNS1_3repE0EEENS1_30default_config_static_selectorELNS0_4arch9wavefront6targetE0EEEvSY_.uses_flat_scratch, 0
	.set _ZN7rocprim17ROCPRIM_400000_NS6detail17trampoline_kernelINS0_13select_configILj256ELj13ELNS0_17block_load_methodE3ELS4_3ELS4_3ELNS0_20block_scan_algorithmE0ELj4294967295EEENS1_25partition_config_selectorILNS1_17partition_subalgoE3EjNS0_10empty_typeEbEEZZNS1_14partition_implILS8_3ELb0ES6_jNS0_17counting_iteratorIjlEEPS9_SE_NS0_5tupleIJPjSE_EEENSF_IJSE_SE_EEES9_SG_JZNS1_25segmented_radix_sort_implINS0_14default_configELb1EPKdPdPKlPlN2at6native12_GLOBAL__N_18offset_tEEE10hipError_tPvRmT1_PNSt15iterator_traitsISY_E10value_typeET2_T3_PNSZ_IS14_E10value_typeET4_jRbjT5_S1A_jjP12ihipStream_tbEUljE_EEESV_SW_SX_S14_S18_S1A_T6_T7_T9_mT8_S1C_bDpT10_ENKUlT_T0_E_clISt17integral_constantIbLb0EES1P_EEDaS1K_S1L_EUlS1K_E_NS1_11comp_targetILNS1_3genE5ELNS1_11target_archE942ELNS1_3gpuE9ELNS1_3repE0EEENS1_30default_config_static_selectorELNS0_4arch9wavefront6targetE0EEEvSY_.has_dyn_sized_stack, 0
	.set _ZN7rocprim17ROCPRIM_400000_NS6detail17trampoline_kernelINS0_13select_configILj256ELj13ELNS0_17block_load_methodE3ELS4_3ELS4_3ELNS0_20block_scan_algorithmE0ELj4294967295EEENS1_25partition_config_selectorILNS1_17partition_subalgoE3EjNS0_10empty_typeEbEEZZNS1_14partition_implILS8_3ELb0ES6_jNS0_17counting_iteratorIjlEEPS9_SE_NS0_5tupleIJPjSE_EEENSF_IJSE_SE_EEES9_SG_JZNS1_25segmented_radix_sort_implINS0_14default_configELb1EPKdPdPKlPlN2at6native12_GLOBAL__N_18offset_tEEE10hipError_tPvRmT1_PNSt15iterator_traitsISY_E10value_typeET2_T3_PNSZ_IS14_E10value_typeET4_jRbjT5_S1A_jjP12ihipStream_tbEUljE_EEESV_SW_SX_S14_S18_S1A_T6_T7_T9_mT8_S1C_bDpT10_ENKUlT_T0_E_clISt17integral_constantIbLb0EES1P_EEDaS1K_S1L_EUlS1K_E_NS1_11comp_targetILNS1_3genE5ELNS1_11target_archE942ELNS1_3gpuE9ELNS1_3repE0EEENS1_30default_config_static_selectorELNS0_4arch9wavefront6targetE0EEEvSY_.has_recursion, 0
	.set _ZN7rocprim17ROCPRIM_400000_NS6detail17trampoline_kernelINS0_13select_configILj256ELj13ELNS0_17block_load_methodE3ELS4_3ELS4_3ELNS0_20block_scan_algorithmE0ELj4294967295EEENS1_25partition_config_selectorILNS1_17partition_subalgoE3EjNS0_10empty_typeEbEEZZNS1_14partition_implILS8_3ELb0ES6_jNS0_17counting_iteratorIjlEEPS9_SE_NS0_5tupleIJPjSE_EEENSF_IJSE_SE_EEES9_SG_JZNS1_25segmented_radix_sort_implINS0_14default_configELb1EPKdPdPKlPlN2at6native12_GLOBAL__N_18offset_tEEE10hipError_tPvRmT1_PNSt15iterator_traitsISY_E10value_typeET2_T3_PNSZ_IS14_E10value_typeET4_jRbjT5_S1A_jjP12ihipStream_tbEUljE_EEESV_SW_SX_S14_S18_S1A_T6_T7_T9_mT8_S1C_bDpT10_ENKUlT_T0_E_clISt17integral_constantIbLb0EES1P_EEDaS1K_S1L_EUlS1K_E_NS1_11comp_targetILNS1_3genE5ELNS1_11target_archE942ELNS1_3gpuE9ELNS1_3repE0EEENS1_30default_config_static_selectorELNS0_4arch9wavefront6targetE0EEEvSY_.has_indirect_call, 0
	.section	.AMDGPU.csdata,"",@progbits
; Kernel info:
; codeLenInByte = 0
; TotalNumSgprs: 0
; NumVgprs: 0
; ScratchSize: 0
; MemoryBound: 0
; FloatMode: 240
; IeeeMode: 1
; LDSByteSize: 0 bytes/workgroup (compile time only)
; SGPRBlocks: 0
; VGPRBlocks: 0
; NumSGPRsForWavesPerEU: 1
; NumVGPRsForWavesPerEU: 1
; Occupancy: 16
; WaveLimiterHint : 0
; COMPUTE_PGM_RSRC2:SCRATCH_EN: 0
; COMPUTE_PGM_RSRC2:USER_SGPR: 2
; COMPUTE_PGM_RSRC2:TRAP_HANDLER: 0
; COMPUTE_PGM_RSRC2:TGID_X_EN: 1
; COMPUTE_PGM_RSRC2:TGID_Y_EN: 0
; COMPUTE_PGM_RSRC2:TGID_Z_EN: 0
; COMPUTE_PGM_RSRC2:TIDIG_COMP_CNT: 0
	.section	.text._ZN7rocprim17ROCPRIM_400000_NS6detail17trampoline_kernelINS0_13select_configILj256ELj13ELNS0_17block_load_methodE3ELS4_3ELS4_3ELNS0_20block_scan_algorithmE0ELj4294967295EEENS1_25partition_config_selectorILNS1_17partition_subalgoE3EjNS0_10empty_typeEbEEZZNS1_14partition_implILS8_3ELb0ES6_jNS0_17counting_iteratorIjlEEPS9_SE_NS0_5tupleIJPjSE_EEENSF_IJSE_SE_EEES9_SG_JZNS1_25segmented_radix_sort_implINS0_14default_configELb1EPKdPdPKlPlN2at6native12_GLOBAL__N_18offset_tEEE10hipError_tPvRmT1_PNSt15iterator_traitsISY_E10value_typeET2_T3_PNSZ_IS14_E10value_typeET4_jRbjT5_S1A_jjP12ihipStream_tbEUljE_EEESV_SW_SX_S14_S18_S1A_T6_T7_T9_mT8_S1C_bDpT10_ENKUlT_T0_E_clISt17integral_constantIbLb0EES1P_EEDaS1K_S1L_EUlS1K_E_NS1_11comp_targetILNS1_3genE4ELNS1_11target_archE910ELNS1_3gpuE8ELNS1_3repE0EEENS1_30default_config_static_selectorELNS0_4arch9wavefront6targetE0EEEvSY_,"axG",@progbits,_ZN7rocprim17ROCPRIM_400000_NS6detail17trampoline_kernelINS0_13select_configILj256ELj13ELNS0_17block_load_methodE3ELS4_3ELS4_3ELNS0_20block_scan_algorithmE0ELj4294967295EEENS1_25partition_config_selectorILNS1_17partition_subalgoE3EjNS0_10empty_typeEbEEZZNS1_14partition_implILS8_3ELb0ES6_jNS0_17counting_iteratorIjlEEPS9_SE_NS0_5tupleIJPjSE_EEENSF_IJSE_SE_EEES9_SG_JZNS1_25segmented_radix_sort_implINS0_14default_configELb1EPKdPdPKlPlN2at6native12_GLOBAL__N_18offset_tEEE10hipError_tPvRmT1_PNSt15iterator_traitsISY_E10value_typeET2_T3_PNSZ_IS14_E10value_typeET4_jRbjT5_S1A_jjP12ihipStream_tbEUljE_EEESV_SW_SX_S14_S18_S1A_T6_T7_T9_mT8_S1C_bDpT10_ENKUlT_T0_E_clISt17integral_constantIbLb0EES1P_EEDaS1K_S1L_EUlS1K_E_NS1_11comp_targetILNS1_3genE4ELNS1_11target_archE910ELNS1_3gpuE8ELNS1_3repE0EEENS1_30default_config_static_selectorELNS0_4arch9wavefront6targetE0EEEvSY_,comdat
	.globl	_ZN7rocprim17ROCPRIM_400000_NS6detail17trampoline_kernelINS0_13select_configILj256ELj13ELNS0_17block_load_methodE3ELS4_3ELS4_3ELNS0_20block_scan_algorithmE0ELj4294967295EEENS1_25partition_config_selectorILNS1_17partition_subalgoE3EjNS0_10empty_typeEbEEZZNS1_14partition_implILS8_3ELb0ES6_jNS0_17counting_iteratorIjlEEPS9_SE_NS0_5tupleIJPjSE_EEENSF_IJSE_SE_EEES9_SG_JZNS1_25segmented_radix_sort_implINS0_14default_configELb1EPKdPdPKlPlN2at6native12_GLOBAL__N_18offset_tEEE10hipError_tPvRmT1_PNSt15iterator_traitsISY_E10value_typeET2_T3_PNSZ_IS14_E10value_typeET4_jRbjT5_S1A_jjP12ihipStream_tbEUljE_EEESV_SW_SX_S14_S18_S1A_T6_T7_T9_mT8_S1C_bDpT10_ENKUlT_T0_E_clISt17integral_constantIbLb0EES1P_EEDaS1K_S1L_EUlS1K_E_NS1_11comp_targetILNS1_3genE4ELNS1_11target_archE910ELNS1_3gpuE8ELNS1_3repE0EEENS1_30default_config_static_selectorELNS0_4arch9wavefront6targetE0EEEvSY_ ; -- Begin function _ZN7rocprim17ROCPRIM_400000_NS6detail17trampoline_kernelINS0_13select_configILj256ELj13ELNS0_17block_load_methodE3ELS4_3ELS4_3ELNS0_20block_scan_algorithmE0ELj4294967295EEENS1_25partition_config_selectorILNS1_17partition_subalgoE3EjNS0_10empty_typeEbEEZZNS1_14partition_implILS8_3ELb0ES6_jNS0_17counting_iteratorIjlEEPS9_SE_NS0_5tupleIJPjSE_EEENSF_IJSE_SE_EEES9_SG_JZNS1_25segmented_radix_sort_implINS0_14default_configELb1EPKdPdPKlPlN2at6native12_GLOBAL__N_18offset_tEEE10hipError_tPvRmT1_PNSt15iterator_traitsISY_E10value_typeET2_T3_PNSZ_IS14_E10value_typeET4_jRbjT5_S1A_jjP12ihipStream_tbEUljE_EEESV_SW_SX_S14_S18_S1A_T6_T7_T9_mT8_S1C_bDpT10_ENKUlT_T0_E_clISt17integral_constantIbLb0EES1P_EEDaS1K_S1L_EUlS1K_E_NS1_11comp_targetILNS1_3genE4ELNS1_11target_archE910ELNS1_3gpuE8ELNS1_3repE0EEENS1_30default_config_static_selectorELNS0_4arch9wavefront6targetE0EEEvSY_
	.p2align	8
	.type	_ZN7rocprim17ROCPRIM_400000_NS6detail17trampoline_kernelINS0_13select_configILj256ELj13ELNS0_17block_load_methodE3ELS4_3ELS4_3ELNS0_20block_scan_algorithmE0ELj4294967295EEENS1_25partition_config_selectorILNS1_17partition_subalgoE3EjNS0_10empty_typeEbEEZZNS1_14partition_implILS8_3ELb0ES6_jNS0_17counting_iteratorIjlEEPS9_SE_NS0_5tupleIJPjSE_EEENSF_IJSE_SE_EEES9_SG_JZNS1_25segmented_radix_sort_implINS0_14default_configELb1EPKdPdPKlPlN2at6native12_GLOBAL__N_18offset_tEEE10hipError_tPvRmT1_PNSt15iterator_traitsISY_E10value_typeET2_T3_PNSZ_IS14_E10value_typeET4_jRbjT5_S1A_jjP12ihipStream_tbEUljE_EEESV_SW_SX_S14_S18_S1A_T6_T7_T9_mT8_S1C_bDpT10_ENKUlT_T0_E_clISt17integral_constantIbLb0EES1P_EEDaS1K_S1L_EUlS1K_E_NS1_11comp_targetILNS1_3genE4ELNS1_11target_archE910ELNS1_3gpuE8ELNS1_3repE0EEENS1_30default_config_static_selectorELNS0_4arch9wavefront6targetE0EEEvSY_,@function
_ZN7rocprim17ROCPRIM_400000_NS6detail17trampoline_kernelINS0_13select_configILj256ELj13ELNS0_17block_load_methodE3ELS4_3ELS4_3ELNS0_20block_scan_algorithmE0ELj4294967295EEENS1_25partition_config_selectorILNS1_17partition_subalgoE3EjNS0_10empty_typeEbEEZZNS1_14partition_implILS8_3ELb0ES6_jNS0_17counting_iteratorIjlEEPS9_SE_NS0_5tupleIJPjSE_EEENSF_IJSE_SE_EEES9_SG_JZNS1_25segmented_radix_sort_implINS0_14default_configELb1EPKdPdPKlPlN2at6native12_GLOBAL__N_18offset_tEEE10hipError_tPvRmT1_PNSt15iterator_traitsISY_E10value_typeET2_T3_PNSZ_IS14_E10value_typeET4_jRbjT5_S1A_jjP12ihipStream_tbEUljE_EEESV_SW_SX_S14_S18_S1A_T6_T7_T9_mT8_S1C_bDpT10_ENKUlT_T0_E_clISt17integral_constantIbLb0EES1P_EEDaS1K_S1L_EUlS1K_E_NS1_11comp_targetILNS1_3genE4ELNS1_11target_archE910ELNS1_3gpuE8ELNS1_3repE0EEENS1_30default_config_static_selectorELNS0_4arch9wavefront6targetE0EEEvSY_: ; @_ZN7rocprim17ROCPRIM_400000_NS6detail17trampoline_kernelINS0_13select_configILj256ELj13ELNS0_17block_load_methodE3ELS4_3ELS4_3ELNS0_20block_scan_algorithmE0ELj4294967295EEENS1_25partition_config_selectorILNS1_17partition_subalgoE3EjNS0_10empty_typeEbEEZZNS1_14partition_implILS8_3ELb0ES6_jNS0_17counting_iteratorIjlEEPS9_SE_NS0_5tupleIJPjSE_EEENSF_IJSE_SE_EEES9_SG_JZNS1_25segmented_radix_sort_implINS0_14default_configELb1EPKdPdPKlPlN2at6native12_GLOBAL__N_18offset_tEEE10hipError_tPvRmT1_PNSt15iterator_traitsISY_E10value_typeET2_T3_PNSZ_IS14_E10value_typeET4_jRbjT5_S1A_jjP12ihipStream_tbEUljE_EEESV_SW_SX_S14_S18_S1A_T6_T7_T9_mT8_S1C_bDpT10_ENKUlT_T0_E_clISt17integral_constantIbLb0EES1P_EEDaS1K_S1L_EUlS1K_E_NS1_11comp_targetILNS1_3genE4ELNS1_11target_archE910ELNS1_3gpuE8ELNS1_3repE0EEENS1_30default_config_static_selectorELNS0_4arch9wavefront6targetE0EEEvSY_
; %bb.0:
	.section	.rodata,"a",@progbits
	.p2align	6, 0x0
	.amdhsa_kernel _ZN7rocprim17ROCPRIM_400000_NS6detail17trampoline_kernelINS0_13select_configILj256ELj13ELNS0_17block_load_methodE3ELS4_3ELS4_3ELNS0_20block_scan_algorithmE0ELj4294967295EEENS1_25partition_config_selectorILNS1_17partition_subalgoE3EjNS0_10empty_typeEbEEZZNS1_14partition_implILS8_3ELb0ES6_jNS0_17counting_iteratorIjlEEPS9_SE_NS0_5tupleIJPjSE_EEENSF_IJSE_SE_EEES9_SG_JZNS1_25segmented_radix_sort_implINS0_14default_configELb1EPKdPdPKlPlN2at6native12_GLOBAL__N_18offset_tEEE10hipError_tPvRmT1_PNSt15iterator_traitsISY_E10value_typeET2_T3_PNSZ_IS14_E10value_typeET4_jRbjT5_S1A_jjP12ihipStream_tbEUljE_EEESV_SW_SX_S14_S18_S1A_T6_T7_T9_mT8_S1C_bDpT10_ENKUlT_T0_E_clISt17integral_constantIbLb0EES1P_EEDaS1K_S1L_EUlS1K_E_NS1_11comp_targetILNS1_3genE4ELNS1_11target_archE910ELNS1_3gpuE8ELNS1_3repE0EEENS1_30default_config_static_selectorELNS0_4arch9wavefront6targetE0EEEvSY_
		.amdhsa_group_segment_fixed_size 0
		.amdhsa_private_segment_fixed_size 0
		.amdhsa_kernarg_size 144
		.amdhsa_user_sgpr_count 2
		.amdhsa_user_sgpr_dispatch_ptr 0
		.amdhsa_user_sgpr_queue_ptr 0
		.amdhsa_user_sgpr_kernarg_segment_ptr 1
		.amdhsa_user_sgpr_dispatch_id 0
		.amdhsa_user_sgpr_private_segment_size 0
		.amdhsa_wavefront_size32 1
		.amdhsa_uses_dynamic_stack 0
		.amdhsa_enable_private_segment 0
		.amdhsa_system_sgpr_workgroup_id_x 1
		.amdhsa_system_sgpr_workgroup_id_y 0
		.amdhsa_system_sgpr_workgroup_id_z 0
		.amdhsa_system_sgpr_workgroup_info 0
		.amdhsa_system_vgpr_workitem_id 0
		.amdhsa_next_free_vgpr 1
		.amdhsa_next_free_sgpr 1
		.amdhsa_reserve_vcc 0
		.amdhsa_float_round_mode_32 0
		.amdhsa_float_round_mode_16_64 0
		.amdhsa_float_denorm_mode_32 3
		.amdhsa_float_denorm_mode_16_64 3
		.amdhsa_fp16_overflow 0
		.amdhsa_workgroup_processor_mode 1
		.amdhsa_memory_ordered 1
		.amdhsa_forward_progress 1
		.amdhsa_inst_pref_size 0
		.amdhsa_round_robin_scheduling 0
		.amdhsa_exception_fp_ieee_invalid_op 0
		.amdhsa_exception_fp_denorm_src 0
		.amdhsa_exception_fp_ieee_div_zero 0
		.amdhsa_exception_fp_ieee_overflow 0
		.amdhsa_exception_fp_ieee_underflow 0
		.amdhsa_exception_fp_ieee_inexact 0
		.amdhsa_exception_int_div_zero 0
	.end_amdhsa_kernel
	.section	.text._ZN7rocprim17ROCPRIM_400000_NS6detail17trampoline_kernelINS0_13select_configILj256ELj13ELNS0_17block_load_methodE3ELS4_3ELS4_3ELNS0_20block_scan_algorithmE0ELj4294967295EEENS1_25partition_config_selectorILNS1_17partition_subalgoE3EjNS0_10empty_typeEbEEZZNS1_14partition_implILS8_3ELb0ES6_jNS0_17counting_iteratorIjlEEPS9_SE_NS0_5tupleIJPjSE_EEENSF_IJSE_SE_EEES9_SG_JZNS1_25segmented_radix_sort_implINS0_14default_configELb1EPKdPdPKlPlN2at6native12_GLOBAL__N_18offset_tEEE10hipError_tPvRmT1_PNSt15iterator_traitsISY_E10value_typeET2_T3_PNSZ_IS14_E10value_typeET4_jRbjT5_S1A_jjP12ihipStream_tbEUljE_EEESV_SW_SX_S14_S18_S1A_T6_T7_T9_mT8_S1C_bDpT10_ENKUlT_T0_E_clISt17integral_constantIbLb0EES1P_EEDaS1K_S1L_EUlS1K_E_NS1_11comp_targetILNS1_3genE4ELNS1_11target_archE910ELNS1_3gpuE8ELNS1_3repE0EEENS1_30default_config_static_selectorELNS0_4arch9wavefront6targetE0EEEvSY_,"axG",@progbits,_ZN7rocprim17ROCPRIM_400000_NS6detail17trampoline_kernelINS0_13select_configILj256ELj13ELNS0_17block_load_methodE3ELS4_3ELS4_3ELNS0_20block_scan_algorithmE0ELj4294967295EEENS1_25partition_config_selectorILNS1_17partition_subalgoE3EjNS0_10empty_typeEbEEZZNS1_14partition_implILS8_3ELb0ES6_jNS0_17counting_iteratorIjlEEPS9_SE_NS0_5tupleIJPjSE_EEENSF_IJSE_SE_EEES9_SG_JZNS1_25segmented_radix_sort_implINS0_14default_configELb1EPKdPdPKlPlN2at6native12_GLOBAL__N_18offset_tEEE10hipError_tPvRmT1_PNSt15iterator_traitsISY_E10value_typeET2_T3_PNSZ_IS14_E10value_typeET4_jRbjT5_S1A_jjP12ihipStream_tbEUljE_EEESV_SW_SX_S14_S18_S1A_T6_T7_T9_mT8_S1C_bDpT10_ENKUlT_T0_E_clISt17integral_constantIbLb0EES1P_EEDaS1K_S1L_EUlS1K_E_NS1_11comp_targetILNS1_3genE4ELNS1_11target_archE910ELNS1_3gpuE8ELNS1_3repE0EEENS1_30default_config_static_selectorELNS0_4arch9wavefront6targetE0EEEvSY_,comdat
.Lfunc_end1088:
	.size	_ZN7rocprim17ROCPRIM_400000_NS6detail17trampoline_kernelINS0_13select_configILj256ELj13ELNS0_17block_load_methodE3ELS4_3ELS4_3ELNS0_20block_scan_algorithmE0ELj4294967295EEENS1_25partition_config_selectorILNS1_17partition_subalgoE3EjNS0_10empty_typeEbEEZZNS1_14partition_implILS8_3ELb0ES6_jNS0_17counting_iteratorIjlEEPS9_SE_NS0_5tupleIJPjSE_EEENSF_IJSE_SE_EEES9_SG_JZNS1_25segmented_radix_sort_implINS0_14default_configELb1EPKdPdPKlPlN2at6native12_GLOBAL__N_18offset_tEEE10hipError_tPvRmT1_PNSt15iterator_traitsISY_E10value_typeET2_T3_PNSZ_IS14_E10value_typeET4_jRbjT5_S1A_jjP12ihipStream_tbEUljE_EEESV_SW_SX_S14_S18_S1A_T6_T7_T9_mT8_S1C_bDpT10_ENKUlT_T0_E_clISt17integral_constantIbLb0EES1P_EEDaS1K_S1L_EUlS1K_E_NS1_11comp_targetILNS1_3genE4ELNS1_11target_archE910ELNS1_3gpuE8ELNS1_3repE0EEENS1_30default_config_static_selectorELNS0_4arch9wavefront6targetE0EEEvSY_, .Lfunc_end1088-_ZN7rocprim17ROCPRIM_400000_NS6detail17trampoline_kernelINS0_13select_configILj256ELj13ELNS0_17block_load_methodE3ELS4_3ELS4_3ELNS0_20block_scan_algorithmE0ELj4294967295EEENS1_25partition_config_selectorILNS1_17partition_subalgoE3EjNS0_10empty_typeEbEEZZNS1_14partition_implILS8_3ELb0ES6_jNS0_17counting_iteratorIjlEEPS9_SE_NS0_5tupleIJPjSE_EEENSF_IJSE_SE_EEES9_SG_JZNS1_25segmented_radix_sort_implINS0_14default_configELb1EPKdPdPKlPlN2at6native12_GLOBAL__N_18offset_tEEE10hipError_tPvRmT1_PNSt15iterator_traitsISY_E10value_typeET2_T3_PNSZ_IS14_E10value_typeET4_jRbjT5_S1A_jjP12ihipStream_tbEUljE_EEESV_SW_SX_S14_S18_S1A_T6_T7_T9_mT8_S1C_bDpT10_ENKUlT_T0_E_clISt17integral_constantIbLb0EES1P_EEDaS1K_S1L_EUlS1K_E_NS1_11comp_targetILNS1_3genE4ELNS1_11target_archE910ELNS1_3gpuE8ELNS1_3repE0EEENS1_30default_config_static_selectorELNS0_4arch9wavefront6targetE0EEEvSY_
                                        ; -- End function
	.set _ZN7rocprim17ROCPRIM_400000_NS6detail17trampoline_kernelINS0_13select_configILj256ELj13ELNS0_17block_load_methodE3ELS4_3ELS4_3ELNS0_20block_scan_algorithmE0ELj4294967295EEENS1_25partition_config_selectorILNS1_17partition_subalgoE3EjNS0_10empty_typeEbEEZZNS1_14partition_implILS8_3ELb0ES6_jNS0_17counting_iteratorIjlEEPS9_SE_NS0_5tupleIJPjSE_EEENSF_IJSE_SE_EEES9_SG_JZNS1_25segmented_radix_sort_implINS0_14default_configELb1EPKdPdPKlPlN2at6native12_GLOBAL__N_18offset_tEEE10hipError_tPvRmT1_PNSt15iterator_traitsISY_E10value_typeET2_T3_PNSZ_IS14_E10value_typeET4_jRbjT5_S1A_jjP12ihipStream_tbEUljE_EEESV_SW_SX_S14_S18_S1A_T6_T7_T9_mT8_S1C_bDpT10_ENKUlT_T0_E_clISt17integral_constantIbLb0EES1P_EEDaS1K_S1L_EUlS1K_E_NS1_11comp_targetILNS1_3genE4ELNS1_11target_archE910ELNS1_3gpuE8ELNS1_3repE0EEENS1_30default_config_static_selectorELNS0_4arch9wavefront6targetE0EEEvSY_.num_vgpr, 0
	.set _ZN7rocprim17ROCPRIM_400000_NS6detail17trampoline_kernelINS0_13select_configILj256ELj13ELNS0_17block_load_methodE3ELS4_3ELS4_3ELNS0_20block_scan_algorithmE0ELj4294967295EEENS1_25partition_config_selectorILNS1_17partition_subalgoE3EjNS0_10empty_typeEbEEZZNS1_14partition_implILS8_3ELb0ES6_jNS0_17counting_iteratorIjlEEPS9_SE_NS0_5tupleIJPjSE_EEENSF_IJSE_SE_EEES9_SG_JZNS1_25segmented_radix_sort_implINS0_14default_configELb1EPKdPdPKlPlN2at6native12_GLOBAL__N_18offset_tEEE10hipError_tPvRmT1_PNSt15iterator_traitsISY_E10value_typeET2_T3_PNSZ_IS14_E10value_typeET4_jRbjT5_S1A_jjP12ihipStream_tbEUljE_EEESV_SW_SX_S14_S18_S1A_T6_T7_T9_mT8_S1C_bDpT10_ENKUlT_T0_E_clISt17integral_constantIbLb0EES1P_EEDaS1K_S1L_EUlS1K_E_NS1_11comp_targetILNS1_3genE4ELNS1_11target_archE910ELNS1_3gpuE8ELNS1_3repE0EEENS1_30default_config_static_selectorELNS0_4arch9wavefront6targetE0EEEvSY_.num_agpr, 0
	.set _ZN7rocprim17ROCPRIM_400000_NS6detail17trampoline_kernelINS0_13select_configILj256ELj13ELNS0_17block_load_methodE3ELS4_3ELS4_3ELNS0_20block_scan_algorithmE0ELj4294967295EEENS1_25partition_config_selectorILNS1_17partition_subalgoE3EjNS0_10empty_typeEbEEZZNS1_14partition_implILS8_3ELb0ES6_jNS0_17counting_iteratorIjlEEPS9_SE_NS0_5tupleIJPjSE_EEENSF_IJSE_SE_EEES9_SG_JZNS1_25segmented_radix_sort_implINS0_14default_configELb1EPKdPdPKlPlN2at6native12_GLOBAL__N_18offset_tEEE10hipError_tPvRmT1_PNSt15iterator_traitsISY_E10value_typeET2_T3_PNSZ_IS14_E10value_typeET4_jRbjT5_S1A_jjP12ihipStream_tbEUljE_EEESV_SW_SX_S14_S18_S1A_T6_T7_T9_mT8_S1C_bDpT10_ENKUlT_T0_E_clISt17integral_constantIbLb0EES1P_EEDaS1K_S1L_EUlS1K_E_NS1_11comp_targetILNS1_3genE4ELNS1_11target_archE910ELNS1_3gpuE8ELNS1_3repE0EEENS1_30default_config_static_selectorELNS0_4arch9wavefront6targetE0EEEvSY_.numbered_sgpr, 0
	.set _ZN7rocprim17ROCPRIM_400000_NS6detail17trampoline_kernelINS0_13select_configILj256ELj13ELNS0_17block_load_methodE3ELS4_3ELS4_3ELNS0_20block_scan_algorithmE0ELj4294967295EEENS1_25partition_config_selectorILNS1_17partition_subalgoE3EjNS0_10empty_typeEbEEZZNS1_14partition_implILS8_3ELb0ES6_jNS0_17counting_iteratorIjlEEPS9_SE_NS0_5tupleIJPjSE_EEENSF_IJSE_SE_EEES9_SG_JZNS1_25segmented_radix_sort_implINS0_14default_configELb1EPKdPdPKlPlN2at6native12_GLOBAL__N_18offset_tEEE10hipError_tPvRmT1_PNSt15iterator_traitsISY_E10value_typeET2_T3_PNSZ_IS14_E10value_typeET4_jRbjT5_S1A_jjP12ihipStream_tbEUljE_EEESV_SW_SX_S14_S18_S1A_T6_T7_T9_mT8_S1C_bDpT10_ENKUlT_T0_E_clISt17integral_constantIbLb0EES1P_EEDaS1K_S1L_EUlS1K_E_NS1_11comp_targetILNS1_3genE4ELNS1_11target_archE910ELNS1_3gpuE8ELNS1_3repE0EEENS1_30default_config_static_selectorELNS0_4arch9wavefront6targetE0EEEvSY_.num_named_barrier, 0
	.set _ZN7rocprim17ROCPRIM_400000_NS6detail17trampoline_kernelINS0_13select_configILj256ELj13ELNS0_17block_load_methodE3ELS4_3ELS4_3ELNS0_20block_scan_algorithmE0ELj4294967295EEENS1_25partition_config_selectorILNS1_17partition_subalgoE3EjNS0_10empty_typeEbEEZZNS1_14partition_implILS8_3ELb0ES6_jNS0_17counting_iteratorIjlEEPS9_SE_NS0_5tupleIJPjSE_EEENSF_IJSE_SE_EEES9_SG_JZNS1_25segmented_radix_sort_implINS0_14default_configELb1EPKdPdPKlPlN2at6native12_GLOBAL__N_18offset_tEEE10hipError_tPvRmT1_PNSt15iterator_traitsISY_E10value_typeET2_T3_PNSZ_IS14_E10value_typeET4_jRbjT5_S1A_jjP12ihipStream_tbEUljE_EEESV_SW_SX_S14_S18_S1A_T6_T7_T9_mT8_S1C_bDpT10_ENKUlT_T0_E_clISt17integral_constantIbLb0EES1P_EEDaS1K_S1L_EUlS1K_E_NS1_11comp_targetILNS1_3genE4ELNS1_11target_archE910ELNS1_3gpuE8ELNS1_3repE0EEENS1_30default_config_static_selectorELNS0_4arch9wavefront6targetE0EEEvSY_.private_seg_size, 0
	.set _ZN7rocprim17ROCPRIM_400000_NS6detail17trampoline_kernelINS0_13select_configILj256ELj13ELNS0_17block_load_methodE3ELS4_3ELS4_3ELNS0_20block_scan_algorithmE0ELj4294967295EEENS1_25partition_config_selectorILNS1_17partition_subalgoE3EjNS0_10empty_typeEbEEZZNS1_14partition_implILS8_3ELb0ES6_jNS0_17counting_iteratorIjlEEPS9_SE_NS0_5tupleIJPjSE_EEENSF_IJSE_SE_EEES9_SG_JZNS1_25segmented_radix_sort_implINS0_14default_configELb1EPKdPdPKlPlN2at6native12_GLOBAL__N_18offset_tEEE10hipError_tPvRmT1_PNSt15iterator_traitsISY_E10value_typeET2_T3_PNSZ_IS14_E10value_typeET4_jRbjT5_S1A_jjP12ihipStream_tbEUljE_EEESV_SW_SX_S14_S18_S1A_T6_T7_T9_mT8_S1C_bDpT10_ENKUlT_T0_E_clISt17integral_constantIbLb0EES1P_EEDaS1K_S1L_EUlS1K_E_NS1_11comp_targetILNS1_3genE4ELNS1_11target_archE910ELNS1_3gpuE8ELNS1_3repE0EEENS1_30default_config_static_selectorELNS0_4arch9wavefront6targetE0EEEvSY_.uses_vcc, 0
	.set _ZN7rocprim17ROCPRIM_400000_NS6detail17trampoline_kernelINS0_13select_configILj256ELj13ELNS0_17block_load_methodE3ELS4_3ELS4_3ELNS0_20block_scan_algorithmE0ELj4294967295EEENS1_25partition_config_selectorILNS1_17partition_subalgoE3EjNS0_10empty_typeEbEEZZNS1_14partition_implILS8_3ELb0ES6_jNS0_17counting_iteratorIjlEEPS9_SE_NS0_5tupleIJPjSE_EEENSF_IJSE_SE_EEES9_SG_JZNS1_25segmented_radix_sort_implINS0_14default_configELb1EPKdPdPKlPlN2at6native12_GLOBAL__N_18offset_tEEE10hipError_tPvRmT1_PNSt15iterator_traitsISY_E10value_typeET2_T3_PNSZ_IS14_E10value_typeET4_jRbjT5_S1A_jjP12ihipStream_tbEUljE_EEESV_SW_SX_S14_S18_S1A_T6_T7_T9_mT8_S1C_bDpT10_ENKUlT_T0_E_clISt17integral_constantIbLb0EES1P_EEDaS1K_S1L_EUlS1K_E_NS1_11comp_targetILNS1_3genE4ELNS1_11target_archE910ELNS1_3gpuE8ELNS1_3repE0EEENS1_30default_config_static_selectorELNS0_4arch9wavefront6targetE0EEEvSY_.uses_flat_scratch, 0
	.set _ZN7rocprim17ROCPRIM_400000_NS6detail17trampoline_kernelINS0_13select_configILj256ELj13ELNS0_17block_load_methodE3ELS4_3ELS4_3ELNS0_20block_scan_algorithmE0ELj4294967295EEENS1_25partition_config_selectorILNS1_17partition_subalgoE3EjNS0_10empty_typeEbEEZZNS1_14partition_implILS8_3ELb0ES6_jNS0_17counting_iteratorIjlEEPS9_SE_NS0_5tupleIJPjSE_EEENSF_IJSE_SE_EEES9_SG_JZNS1_25segmented_radix_sort_implINS0_14default_configELb1EPKdPdPKlPlN2at6native12_GLOBAL__N_18offset_tEEE10hipError_tPvRmT1_PNSt15iterator_traitsISY_E10value_typeET2_T3_PNSZ_IS14_E10value_typeET4_jRbjT5_S1A_jjP12ihipStream_tbEUljE_EEESV_SW_SX_S14_S18_S1A_T6_T7_T9_mT8_S1C_bDpT10_ENKUlT_T0_E_clISt17integral_constantIbLb0EES1P_EEDaS1K_S1L_EUlS1K_E_NS1_11comp_targetILNS1_3genE4ELNS1_11target_archE910ELNS1_3gpuE8ELNS1_3repE0EEENS1_30default_config_static_selectorELNS0_4arch9wavefront6targetE0EEEvSY_.has_dyn_sized_stack, 0
	.set _ZN7rocprim17ROCPRIM_400000_NS6detail17trampoline_kernelINS0_13select_configILj256ELj13ELNS0_17block_load_methodE3ELS4_3ELS4_3ELNS0_20block_scan_algorithmE0ELj4294967295EEENS1_25partition_config_selectorILNS1_17partition_subalgoE3EjNS0_10empty_typeEbEEZZNS1_14partition_implILS8_3ELb0ES6_jNS0_17counting_iteratorIjlEEPS9_SE_NS0_5tupleIJPjSE_EEENSF_IJSE_SE_EEES9_SG_JZNS1_25segmented_radix_sort_implINS0_14default_configELb1EPKdPdPKlPlN2at6native12_GLOBAL__N_18offset_tEEE10hipError_tPvRmT1_PNSt15iterator_traitsISY_E10value_typeET2_T3_PNSZ_IS14_E10value_typeET4_jRbjT5_S1A_jjP12ihipStream_tbEUljE_EEESV_SW_SX_S14_S18_S1A_T6_T7_T9_mT8_S1C_bDpT10_ENKUlT_T0_E_clISt17integral_constantIbLb0EES1P_EEDaS1K_S1L_EUlS1K_E_NS1_11comp_targetILNS1_3genE4ELNS1_11target_archE910ELNS1_3gpuE8ELNS1_3repE0EEENS1_30default_config_static_selectorELNS0_4arch9wavefront6targetE0EEEvSY_.has_recursion, 0
	.set _ZN7rocprim17ROCPRIM_400000_NS6detail17trampoline_kernelINS0_13select_configILj256ELj13ELNS0_17block_load_methodE3ELS4_3ELS4_3ELNS0_20block_scan_algorithmE0ELj4294967295EEENS1_25partition_config_selectorILNS1_17partition_subalgoE3EjNS0_10empty_typeEbEEZZNS1_14partition_implILS8_3ELb0ES6_jNS0_17counting_iteratorIjlEEPS9_SE_NS0_5tupleIJPjSE_EEENSF_IJSE_SE_EEES9_SG_JZNS1_25segmented_radix_sort_implINS0_14default_configELb1EPKdPdPKlPlN2at6native12_GLOBAL__N_18offset_tEEE10hipError_tPvRmT1_PNSt15iterator_traitsISY_E10value_typeET2_T3_PNSZ_IS14_E10value_typeET4_jRbjT5_S1A_jjP12ihipStream_tbEUljE_EEESV_SW_SX_S14_S18_S1A_T6_T7_T9_mT8_S1C_bDpT10_ENKUlT_T0_E_clISt17integral_constantIbLb0EES1P_EEDaS1K_S1L_EUlS1K_E_NS1_11comp_targetILNS1_3genE4ELNS1_11target_archE910ELNS1_3gpuE8ELNS1_3repE0EEENS1_30default_config_static_selectorELNS0_4arch9wavefront6targetE0EEEvSY_.has_indirect_call, 0
	.section	.AMDGPU.csdata,"",@progbits
; Kernel info:
; codeLenInByte = 0
; TotalNumSgprs: 0
; NumVgprs: 0
; ScratchSize: 0
; MemoryBound: 0
; FloatMode: 240
; IeeeMode: 1
; LDSByteSize: 0 bytes/workgroup (compile time only)
; SGPRBlocks: 0
; VGPRBlocks: 0
; NumSGPRsForWavesPerEU: 1
; NumVGPRsForWavesPerEU: 1
; Occupancy: 16
; WaveLimiterHint : 0
; COMPUTE_PGM_RSRC2:SCRATCH_EN: 0
; COMPUTE_PGM_RSRC2:USER_SGPR: 2
; COMPUTE_PGM_RSRC2:TRAP_HANDLER: 0
; COMPUTE_PGM_RSRC2:TGID_X_EN: 1
; COMPUTE_PGM_RSRC2:TGID_Y_EN: 0
; COMPUTE_PGM_RSRC2:TGID_Z_EN: 0
; COMPUTE_PGM_RSRC2:TIDIG_COMP_CNT: 0
	.section	.text._ZN7rocprim17ROCPRIM_400000_NS6detail17trampoline_kernelINS0_13select_configILj256ELj13ELNS0_17block_load_methodE3ELS4_3ELS4_3ELNS0_20block_scan_algorithmE0ELj4294967295EEENS1_25partition_config_selectorILNS1_17partition_subalgoE3EjNS0_10empty_typeEbEEZZNS1_14partition_implILS8_3ELb0ES6_jNS0_17counting_iteratorIjlEEPS9_SE_NS0_5tupleIJPjSE_EEENSF_IJSE_SE_EEES9_SG_JZNS1_25segmented_radix_sort_implINS0_14default_configELb1EPKdPdPKlPlN2at6native12_GLOBAL__N_18offset_tEEE10hipError_tPvRmT1_PNSt15iterator_traitsISY_E10value_typeET2_T3_PNSZ_IS14_E10value_typeET4_jRbjT5_S1A_jjP12ihipStream_tbEUljE_EEESV_SW_SX_S14_S18_S1A_T6_T7_T9_mT8_S1C_bDpT10_ENKUlT_T0_E_clISt17integral_constantIbLb0EES1P_EEDaS1K_S1L_EUlS1K_E_NS1_11comp_targetILNS1_3genE3ELNS1_11target_archE908ELNS1_3gpuE7ELNS1_3repE0EEENS1_30default_config_static_selectorELNS0_4arch9wavefront6targetE0EEEvSY_,"axG",@progbits,_ZN7rocprim17ROCPRIM_400000_NS6detail17trampoline_kernelINS0_13select_configILj256ELj13ELNS0_17block_load_methodE3ELS4_3ELS4_3ELNS0_20block_scan_algorithmE0ELj4294967295EEENS1_25partition_config_selectorILNS1_17partition_subalgoE3EjNS0_10empty_typeEbEEZZNS1_14partition_implILS8_3ELb0ES6_jNS0_17counting_iteratorIjlEEPS9_SE_NS0_5tupleIJPjSE_EEENSF_IJSE_SE_EEES9_SG_JZNS1_25segmented_radix_sort_implINS0_14default_configELb1EPKdPdPKlPlN2at6native12_GLOBAL__N_18offset_tEEE10hipError_tPvRmT1_PNSt15iterator_traitsISY_E10value_typeET2_T3_PNSZ_IS14_E10value_typeET4_jRbjT5_S1A_jjP12ihipStream_tbEUljE_EEESV_SW_SX_S14_S18_S1A_T6_T7_T9_mT8_S1C_bDpT10_ENKUlT_T0_E_clISt17integral_constantIbLb0EES1P_EEDaS1K_S1L_EUlS1K_E_NS1_11comp_targetILNS1_3genE3ELNS1_11target_archE908ELNS1_3gpuE7ELNS1_3repE0EEENS1_30default_config_static_selectorELNS0_4arch9wavefront6targetE0EEEvSY_,comdat
	.globl	_ZN7rocprim17ROCPRIM_400000_NS6detail17trampoline_kernelINS0_13select_configILj256ELj13ELNS0_17block_load_methodE3ELS4_3ELS4_3ELNS0_20block_scan_algorithmE0ELj4294967295EEENS1_25partition_config_selectorILNS1_17partition_subalgoE3EjNS0_10empty_typeEbEEZZNS1_14partition_implILS8_3ELb0ES6_jNS0_17counting_iteratorIjlEEPS9_SE_NS0_5tupleIJPjSE_EEENSF_IJSE_SE_EEES9_SG_JZNS1_25segmented_radix_sort_implINS0_14default_configELb1EPKdPdPKlPlN2at6native12_GLOBAL__N_18offset_tEEE10hipError_tPvRmT1_PNSt15iterator_traitsISY_E10value_typeET2_T3_PNSZ_IS14_E10value_typeET4_jRbjT5_S1A_jjP12ihipStream_tbEUljE_EEESV_SW_SX_S14_S18_S1A_T6_T7_T9_mT8_S1C_bDpT10_ENKUlT_T0_E_clISt17integral_constantIbLb0EES1P_EEDaS1K_S1L_EUlS1K_E_NS1_11comp_targetILNS1_3genE3ELNS1_11target_archE908ELNS1_3gpuE7ELNS1_3repE0EEENS1_30default_config_static_selectorELNS0_4arch9wavefront6targetE0EEEvSY_ ; -- Begin function _ZN7rocprim17ROCPRIM_400000_NS6detail17trampoline_kernelINS0_13select_configILj256ELj13ELNS0_17block_load_methodE3ELS4_3ELS4_3ELNS0_20block_scan_algorithmE0ELj4294967295EEENS1_25partition_config_selectorILNS1_17partition_subalgoE3EjNS0_10empty_typeEbEEZZNS1_14partition_implILS8_3ELb0ES6_jNS0_17counting_iteratorIjlEEPS9_SE_NS0_5tupleIJPjSE_EEENSF_IJSE_SE_EEES9_SG_JZNS1_25segmented_radix_sort_implINS0_14default_configELb1EPKdPdPKlPlN2at6native12_GLOBAL__N_18offset_tEEE10hipError_tPvRmT1_PNSt15iterator_traitsISY_E10value_typeET2_T3_PNSZ_IS14_E10value_typeET4_jRbjT5_S1A_jjP12ihipStream_tbEUljE_EEESV_SW_SX_S14_S18_S1A_T6_T7_T9_mT8_S1C_bDpT10_ENKUlT_T0_E_clISt17integral_constantIbLb0EES1P_EEDaS1K_S1L_EUlS1K_E_NS1_11comp_targetILNS1_3genE3ELNS1_11target_archE908ELNS1_3gpuE7ELNS1_3repE0EEENS1_30default_config_static_selectorELNS0_4arch9wavefront6targetE0EEEvSY_
	.p2align	8
	.type	_ZN7rocprim17ROCPRIM_400000_NS6detail17trampoline_kernelINS0_13select_configILj256ELj13ELNS0_17block_load_methodE3ELS4_3ELS4_3ELNS0_20block_scan_algorithmE0ELj4294967295EEENS1_25partition_config_selectorILNS1_17partition_subalgoE3EjNS0_10empty_typeEbEEZZNS1_14partition_implILS8_3ELb0ES6_jNS0_17counting_iteratorIjlEEPS9_SE_NS0_5tupleIJPjSE_EEENSF_IJSE_SE_EEES9_SG_JZNS1_25segmented_radix_sort_implINS0_14default_configELb1EPKdPdPKlPlN2at6native12_GLOBAL__N_18offset_tEEE10hipError_tPvRmT1_PNSt15iterator_traitsISY_E10value_typeET2_T3_PNSZ_IS14_E10value_typeET4_jRbjT5_S1A_jjP12ihipStream_tbEUljE_EEESV_SW_SX_S14_S18_S1A_T6_T7_T9_mT8_S1C_bDpT10_ENKUlT_T0_E_clISt17integral_constantIbLb0EES1P_EEDaS1K_S1L_EUlS1K_E_NS1_11comp_targetILNS1_3genE3ELNS1_11target_archE908ELNS1_3gpuE7ELNS1_3repE0EEENS1_30default_config_static_selectorELNS0_4arch9wavefront6targetE0EEEvSY_,@function
_ZN7rocprim17ROCPRIM_400000_NS6detail17trampoline_kernelINS0_13select_configILj256ELj13ELNS0_17block_load_methodE3ELS4_3ELS4_3ELNS0_20block_scan_algorithmE0ELj4294967295EEENS1_25partition_config_selectorILNS1_17partition_subalgoE3EjNS0_10empty_typeEbEEZZNS1_14partition_implILS8_3ELb0ES6_jNS0_17counting_iteratorIjlEEPS9_SE_NS0_5tupleIJPjSE_EEENSF_IJSE_SE_EEES9_SG_JZNS1_25segmented_radix_sort_implINS0_14default_configELb1EPKdPdPKlPlN2at6native12_GLOBAL__N_18offset_tEEE10hipError_tPvRmT1_PNSt15iterator_traitsISY_E10value_typeET2_T3_PNSZ_IS14_E10value_typeET4_jRbjT5_S1A_jjP12ihipStream_tbEUljE_EEESV_SW_SX_S14_S18_S1A_T6_T7_T9_mT8_S1C_bDpT10_ENKUlT_T0_E_clISt17integral_constantIbLb0EES1P_EEDaS1K_S1L_EUlS1K_E_NS1_11comp_targetILNS1_3genE3ELNS1_11target_archE908ELNS1_3gpuE7ELNS1_3repE0EEENS1_30default_config_static_selectorELNS0_4arch9wavefront6targetE0EEEvSY_: ; @_ZN7rocprim17ROCPRIM_400000_NS6detail17trampoline_kernelINS0_13select_configILj256ELj13ELNS0_17block_load_methodE3ELS4_3ELS4_3ELNS0_20block_scan_algorithmE0ELj4294967295EEENS1_25partition_config_selectorILNS1_17partition_subalgoE3EjNS0_10empty_typeEbEEZZNS1_14partition_implILS8_3ELb0ES6_jNS0_17counting_iteratorIjlEEPS9_SE_NS0_5tupleIJPjSE_EEENSF_IJSE_SE_EEES9_SG_JZNS1_25segmented_radix_sort_implINS0_14default_configELb1EPKdPdPKlPlN2at6native12_GLOBAL__N_18offset_tEEE10hipError_tPvRmT1_PNSt15iterator_traitsISY_E10value_typeET2_T3_PNSZ_IS14_E10value_typeET4_jRbjT5_S1A_jjP12ihipStream_tbEUljE_EEESV_SW_SX_S14_S18_S1A_T6_T7_T9_mT8_S1C_bDpT10_ENKUlT_T0_E_clISt17integral_constantIbLb0EES1P_EEDaS1K_S1L_EUlS1K_E_NS1_11comp_targetILNS1_3genE3ELNS1_11target_archE908ELNS1_3gpuE7ELNS1_3repE0EEENS1_30default_config_static_selectorELNS0_4arch9wavefront6targetE0EEEvSY_
; %bb.0:
	.section	.rodata,"a",@progbits
	.p2align	6, 0x0
	.amdhsa_kernel _ZN7rocprim17ROCPRIM_400000_NS6detail17trampoline_kernelINS0_13select_configILj256ELj13ELNS0_17block_load_methodE3ELS4_3ELS4_3ELNS0_20block_scan_algorithmE0ELj4294967295EEENS1_25partition_config_selectorILNS1_17partition_subalgoE3EjNS0_10empty_typeEbEEZZNS1_14partition_implILS8_3ELb0ES6_jNS0_17counting_iteratorIjlEEPS9_SE_NS0_5tupleIJPjSE_EEENSF_IJSE_SE_EEES9_SG_JZNS1_25segmented_radix_sort_implINS0_14default_configELb1EPKdPdPKlPlN2at6native12_GLOBAL__N_18offset_tEEE10hipError_tPvRmT1_PNSt15iterator_traitsISY_E10value_typeET2_T3_PNSZ_IS14_E10value_typeET4_jRbjT5_S1A_jjP12ihipStream_tbEUljE_EEESV_SW_SX_S14_S18_S1A_T6_T7_T9_mT8_S1C_bDpT10_ENKUlT_T0_E_clISt17integral_constantIbLb0EES1P_EEDaS1K_S1L_EUlS1K_E_NS1_11comp_targetILNS1_3genE3ELNS1_11target_archE908ELNS1_3gpuE7ELNS1_3repE0EEENS1_30default_config_static_selectorELNS0_4arch9wavefront6targetE0EEEvSY_
		.amdhsa_group_segment_fixed_size 0
		.amdhsa_private_segment_fixed_size 0
		.amdhsa_kernarg_size 144
		.amdhsa_user_sgpr_count 2
		.amdhsa_user_sgpr_dispatch_ptr 0
		.amdhsa_user_sgpr_queue_ptr 0
		.amdhsa_user_sgpr_kernarg_segment_ptr 1
		.amdhsa_user_sgpr_dispatch_id 0
		.amdhsa_user_sgpr_private_segment_size 0
		.amdhsa_wavefront_size32 1
		.amdhsa_uses_dynamic_stack 0
		.amdhsa_enable_private_segment 0
		.amdhsa_system_sgpr_workgroup_id_x 1
		.amdhsa_system_sgpr_workgroup_id_y 0
		.amdhsa_system_sgpr_workgroup_id_z 0
		.amdhsa_system_sgpr_workgroup_info 0
		.amdhsa_system_vgpr_workitem_id 0
		.amdhsa_next_free_vgpr 1
		.amdhsa_next_free_sgpr 1
		.amdhsa_reserve_vcc 0
		.amdhsa_float_round_mode_32 0
		.amdhsa_float_round_mode_16_64 0
		.amdhsa_float_denorm_mode_32 3
		.amdhsa_float_denorm_mode_16_64 3
		.amdhsa_fp16_overflow 0
		.amdhsa_workgroup_processor_mode 1
		.amdhsa_memory_ordered 1
		.amdhsa_forward_progress 1
		.amdhsa_inst_pref_size 0
		.amdhsa_round_robin_scheduling 0
		.amdhsa_exception_fp_ieee_invalid_op 0
		.amdhsa_exception_fp_denorm_src 0
		.amdhsa_exception_fp_ieee_div_zero 0
		.amdhsa_exception_fp_ieee_overflow 0
		.amdhsa_exception_fp_ieee_underflow 0
		.amdhsa_exception_fp_ieee_inexact 0
		.amdhsa_exception_int_div_zero 0
	.end_amdhsa_kernel
	.section	.text._ZN7rocprim17ROCPRIM_400000_NS6detail17trampoline_kernelINS0_13select_configILj256ELj13ELNS0_17block_load_methodE3ELS4_3ELS4_3ELNS0_20block_scan_algorithmE0ELj4294967295EEENS1_25partition_config_selectorILNS1_17partition_subalgoE3EjNS0_10empty_typeEbEEZZNS1_14partition_implILS8_3ELb0ES6_jNS0_17counting_iteratorIjlEEPS9_SE_NS0_5tupleIJPjSE_EEENSF_IJSE_SE_EEES9_SG_JZNS1_25segmented_radix_sort_implINS0_14default_configELb1EPKdPdPKlPlN2at6native12_GLOBAL__N_18offset_tEEE10hipError_tPvRmT1_PNSt15iterator_traitsISY_E10value_typeET2_T3_PNSZ_IS14_E10value_typeET4_jRbjT5_S1A_jjP12ihipStream_tbEUljE_EEESV_SW_SX_S14_S18_S1A_T6_T7_T9_mT8_S1C_bDpT10_ENKUlT_T0_E_clISt17integral_constantIbLb0EES1P_EEDaS1K_S1L_EUlS1K_E_NS1_11comp_targetILNS1_3genE3ELNS1_11target_archE908ELNS1_3gpuE7ELNS1_3repE0EEENS1_30default_config_static_selectorELNS0_4arch9wavefront6targetE0EEEvSY_,"axG",@progbits,_ZN7rocprim17ROCPRIM_400000_NS6detail17trampoline_kernelINS0_13select_configILj256ELj13ELNS0_17block_load_methodE3ELS4_3ELS4_3ELNS0_20block_scan_algorithmE0ELj4294967295EEENS1_25partition_config_selectorILNS1_17partition_subalgoE3EjNS0_10empty_typeEbEEZZNS1_14partition_implILS8_3ELb0ES6_jNS0_17counting_iteratorIjlEEPS9_SE_NS0_5tupleIJPjSE_EEENSF_IJSE_SE_EEES9_SG_JZNS1_25segmented_radix_sort_implINS0_14default_configELb1EPKdPdPKlPlN2at6native12_GLOBAL__N_18offset_tEEE10hipError_tPvRmT1_PNSt15iterator_traitsISY_E10value_typeET2_T3_PNSZ_IS14_E10value_typeET4_jRbjT5_S1A_jjP12ihipStream_tbEUljE_EEESV_SW_SX_S14_S18_S1A_T6_T7_T9_mT8_S1C_bDpT10_ENKUlT_T0_E_clISt17integral_constantIbLb0EES1P_EEDaS1K_S1L_EUlS1K_E_NS1_11comp_targetILNS1_3genE3ELNS1_11target_archE908ELNS1_3gpuE7ELNS1_3repE0EEENS1_30default_config_static_selectorELNS0_4arch9wavefront6targetE0EEEvSY_,comdat
.Lfunc_end1089:
	.size	_ZN7rocprim17ROCPRIM_400000_NS6detail17trampoline_kernelINS0_13select_configILj256ELj13ELNS0_17block_load_methodE3ELS4_3ELS4_3ELNS0_20block_scan_algorithmE0ELj4294967295EEENS1_25partition_config_selectorILNS1_17partition_subalgoE3EjNS0_10empty_typeEbEEZZNS1_14partition_implILS8_3ELb0ES6_jNS0_17counting_iteratorIjlEEPS9_SE_NS0_5tupleIJPjSE_EEENSF_IJSE_SE_EEES9_SG_JZNS1_25segmented_radix_sort_implINS0_14default_configELb1EPKdPdPKlPlN2at6native12_GLOBAL__N_18offset_tEEE10hipError_tPvRmT1_PNSt15iterator_traitsISY_E10value_typeET2_T3_PNSZ_IS14_E10value_typeET4_jRbjT5_S1A_jjP12ihipStream_tbEUljE_EEESV_SW_SX_S14_S18_S1A_T6_T7_T9_mT8_S1C_bDpT10_ENKUlT_T0_E_clISt17integral_constantIbLb0EES1P_EEDaS1K_S1L_EUlS1K_E_NS1_11comp_targetILNS1_3genE3ELNS1_11target_archE908ELNS1_3gpuE7ELNS1_3repE0EEENS1_30default_config_static_selectorELNS0_4arch9wavefront6targetE0EEEvSY_, .Lfunc_end1089-_ZN7rocprim17ROCPRIM_400000_NS6detail17trampoline_kernelINS0_13select_configILj256ELj13ELNS0_17block_load_methodE3ELS4_3ELS4_3ELNS0_20block_scan_algorithmE0ELj4294967295EEENS1_25partition_config_selectorILNS1_17partition_subalgoE3EjNS0_10empty_typeEbEEZZNS1_14partition_implILS8_3ELb0ES6_jNS0_17counting_iteratorIjlEEPS9_SE_NS0_5tupleIJPjSE_EEENSF_IJSE_SE_EEES9_SG_JZNS1_25segmented_radix_sort_implINS0_14default_configELb1EPKdPdPKlPlN2at6native12_GLOBAL__N_18offset_tEEE10hipError_tPvRmT1_PNSt15iterator_traitsISY_E10value_typeET2_T3_PNSZ_IS14_E10value_typeET4_jRbjT5_S1A_jjP12ihipStream_tbEUljE_EEESV_SW_SX_S14_S18_S1A_T6_T7_T9_mT8_S1C_bDpT10_ENKUlT_T0_E_clISt17integral_constantIbLb0EES1P_EEDaS1K_S1L_EUlS1K_E_NS1_11comp_targetILNS1_3genE3ELNS1_11target_archE908ELNS1_3gpuE7ELNS1_3repE0EEENS1_30default_config_static_selectorELNS0_4arch9wavefront6targetE0EEEvSY_
                                        ; -- End function
	.set _ZN7rocprim17ROCPRIM_400000_NS6detail17trampoline_kernelINS0_13select_configILj256ELj13ELNS0_17block_load_methodE3ELS4_3ELS4_3ELNS0_20block_scan_algorithmE0ELj4294967295EEENS1_25partition_config_selectorILNS1_17partition_subalgoE3EjNS0_10empty_typeEbEEZZNS1_14partition_implILS8_3ELb0ES6_jNS0_17counting_iteratorIjlEEPS9_SE_NS0_5tupleIJPjSE_EEENSF_IJSE_SE_EEES9_SG_JZNS1_25segmented_radix_sort_implINS0_14default_configELb1EPKdPdPKlPlN2at6native12_GLOBAL__N_18offset_tEEE10hipError_tPvRmT1_PNSt15iterator_traitsISY_E10value_typeET2_T3_PNSZ_IS14_E10value_typeET4_jRbjT5_S1A_jjP12ihipStream_tbEUljE_EEESV_SW_SX_S14_S18_S1A_T6_T7_T9_mT8_S1C_bDpT10_ENKUlT_T0_E_clISt17integral_constantIbLb0EES1P_EEDaS1K_S1L_EUlS1K_E_NS1_11comp_targetILNS1_3genE3ELNS1_11target_archE908ELNS1_3gpuE7ELNS1_3repE0EEENS1_30default_config_static_selectorELNS0_4arch9wavefront6targetE0EEEvSY_.num_vgpr, 0
	.set _ZN7rocprim17ROCPRIM_400000_NS6detail17trampoline_kernelINS0_13select_configILj256ELj13ELNS0_17block_load_methodE3ELS4_3ELS4_3ELNS0_20block_scan_algorithmE0ELj4294967295EEENS1_25partition_config_selectorILNS1_17partition_subalgoE3EjNS0_10empty_typeEbEEZZNS1_14partition_implILS8_3ELb0ES6_jNS0_17counting_iteratorIjlEEPS9_SE_NS0_5tupleIJPjSE_EEENSF_IJSE_SE_EEES9_SG_JZNS1_25segmented_radix_sort_implINS0_14default_configELb1EPKdPdPKlPlN2at6native12_GLOBAL__N_18offset_tEEE10hipError_tPvRmT1_PNSt15iterator_traitsISY_E10value_typeET2_T3_PNSZ_IS14_E10value_typeET4_jRbjT5_S1A_jjP12ihipStream_tbEUljE_EEESV_SW_SX_S14_S18_S1A_T6_T7_T9_mT8_S1C_bDpT10_ENKUlT_T0_E_clISt17integral_constantIbLb0EES1P_EEDaS1K_S1L_EUlS1K_E_NS1_11comp_targetILNS1_3genE3ELNS1_11target_archE908ELNS1_3gpuE7ELNS1_3repE0EEENS1_30default_config_static_selectorELNS0_4arch9wavefront6targetE0EEEvSY_.num_agpr, 0
	.set _ZN7rocprim17ROCPRIM_400000_NS6detail17trampoline_kernelINS0_13select_configILj256ELj13ELNS0_17block_load_methodE3ELS4_3ELS4_3ELNS0_20block_scan_algorithmE0ELj4294967295EEENS1_25partition_config_selectorILNS1_17partition_subalgoE3EjNS0_10empty_typeEbEEZZNS1_14partition_implILS8_3ELb0ES6_jNS0_17counting_iteratorIjlEEPS9_SE_NS0_5tupleIJPjSE_EEENSF_IJSE_SE_EEES9_SG_JZNS1_25segmented_radix_sort_implINS0_14default_configELb1EPKdPdPKlPlN2at6native12_GLOBAL__N_18offset_tEEE10hipError_tPvRmT1_PNSt15iterator_traitsISY_E10value_typeET2_T3_PNSZ_IS14_E10value_typeET4_jRbjT5_S1A_jjP12ihipStream_tbEUljE_EEESV_SW_SX_S14_S18_S1A_T6_T7_T9_mT8_S1C_bDpT10_ENKUlT_T0_E_clISt17integral_constantIbLb0EES1P_EEDaS1K_S1L_EUlS1K_E_NS1_11comp_targetILNS1_3genE3ELNS1_11target_archE908ELNS1_3gpuE7ELNS1_3repE0EEENS1_30default_config_static_selectorELNS0_4arch9wavefront6targetE0EEEvSY_.numbered_sgpr, 0
	.set _ZN7rocprim17ROCPRIM_400000_NS6detail17trampoline_kernelINS0_13select_configILj256ELj13ELNS0_17block_load_methodE3ELS4_3ELS4_3ELNS0_20block_scan_algorithmE0ELj4294967295EEENS1_25partition_config_selectorILNS1_17partition_subalgoE3EjNS0_10empty_typeEbEEZZNS1_14partition_implILS8_3ELb0ES6_jNS0_17counting_iteratorIjlEEPS9_SE_NS0_5tupleIJPjSE_EEENSF_IJSE_SE_EEES9_SG_JZNS1_25segmented_radix_sort_implINS0_14default_configELb1EPKdPdPKlPlN2at6native12_GLOBAL__N_18offset_tEEE10hipError_tPvRmT1_PNSt15iterator_traitsISY_E10value_typeET2_T3_PNSZ_IS14_E10value_typeET4_jRbjT5_S1A_jjP12ihipStream_tbEUljE_EEESV_SW_SX_S14_S18_S1A_T6_T7_T9_mT8_S1C_bDpT10_ENKUlT_T0_E_clISt17integral_constantIbLb0EES1P_EEDaS1K_S1L_EUlS1K_E_NS1_11comp_targetILNS1_3genE3ELNS1_11target_archE908ELNS1_3gpuE7ELNS1_3repE0EEENS1_30default_config_static_selectorELNS0_4arch9wavefront6targetE0EEEvSY_.num_named_barrier, 0
	.set _ZN7rocprim17ROCPRIM_400000_NS6detail17trampoline_kernelINS0_13select_configILj256ELj13ELNS0_17block_load_methodE3ELS4_3ELS4_3ELNS0_20block_scan_algorithmE0ELj4294967295EEENS1_25partition_config_selectorILNS1_17partition_subalgoE3EjNS0_10empty_typeEbEEZZNS1_14partition_implILS8_3ELb0ES6_jNS0_17counting_iteratorIjlEEPS9_SE_NS0_5tupleIJPjSE_EEENSF_IJSE_SE_EEES9_SG_JZNS1_25segmented_radix_sort_implINS0_14default_configELb1EPKdPdPKlPlN2at6native12_GLOBAL__N_18offset_tEEE10hipError_tPvRmT1_PNSt15iterator_traitsISY_E10value_typeET2_T3_PNSZ_IS14_E10value_typeET4_jRbjT5_S1A_jjP12ihipStream_tbEUljE_EEESV_SW_SX_S14_S18_S1A_T6_T7_T9_mT8_S1C_bDpT10_ENKUlT_T0_E_clISt17integral_constantIbLb0EES1P_EEDaS1K_S1L_EUlS1K_E_NS1_11comp_targetILNS1_3genE3ELNS1_11target_archE908ELNS1_3gpuE7ELNS1_3repE0EEENS1_30default_config_static_selectorELNS0_4arch9wavefront6targetE0EEEvSY_.private_seg_size, 0
	.set _ZN7rocprim17ROCPRIM_400000_NS6detail17trampoline_kernelINS0_13select_configILj256ELj13ELNS0_17block_load_methodE3ELS4_3ELS4_3ELNS0_20block_scan_algorithmE0ELj4294967295EEENS1_25partition_config_selectorILNS1_17partition_subalgoE3EjNS0_10empty_typeEbEEZZNS1_14partition_implILS8_3ELb0ES6_jNS0_17counting_iteratorIjlEEPS9_SE_NS0_5tupleIJPjSE_EEENSF_IJSE_SE_EEES9_SG_JZNS1_25segmented_radix_sort_implINS0_14default_configELb1EPKdPdPKlPlN2at6native12_GLOBAL__N_18offset_tEEE10hipError_tPvRmT1_PNSt15iterator_traitsISY_E10value_typeET2_T3_PNSZ_IS14_E10value_typeET4_jRbjT5_S1A_jjP12ihipStream_tbEUljE_EEESV_SW_SX_S14_S18_S1A_T6_T7_T9_mT8_S1C_bDpT10_ENKUlT_T0_E_clISt17integral_constantIbLb0EES1P_EEDaS1K_S1L_EUlS1K_E_NS1_11comp_targetILNS1_3genE3ELNS1_11target_archE908ELNS1_3gpuE7ELNS1_3repE0EEENS1_30default_config_static_selectorELNS0_4arch9wavefront6targetE0EEEvSY_.uses_vcc, 0
	.set _ZN7rocprim17ROCPRIM_400000_NS6detail17trampoline_kernelINS0_13select_configILj256ELj13ELNS0_17block_load_methodE3ELS4_3ELS4_3ELNS0_20block_scan_algorithmE0ELj4294967295EEENS1_25partition_config_selectorILNS1_17partition_subalgoE3EjNS0_10empty_typeEbEEZZNS1_14partition_implILS8_3ELb0ES6_jNS0_17counting_iteratorIjlEEPS9_SE_NS0_5tupleIJPjSE_EEENSF_IJSE_SE_EEES9_SG_JZNS1_25segmented_radix_sort_implINS0_14default_configELb1EPKdPdPKlPlN2at6native12_GLOBAL__N_18offset_tEEE10hipError_tPvRmT1_PNSt15iterator_traitsISY_E10value_typeET2_T3_PNSZ_IS14_E10value_typeET4_jRbjT5_S1A_jjP12ihipStream_tbEUljE_EEESV_SW_SX_S14_S18_S1A_T6_T7_T9_mT8_S1C_bDpT10_ENKUlT_T0_E_clISt17integral_constantIbLb0EES1P_EEDaS1K_S1L_EUlS1K_E_NS1_11comp_targetILNS1_3genE3ELNS1_11target_archE908ELNS1_3gpuE7ELNS1_3repE0EEENS1_30default_config_static_selectorELNS0_4arch9wavefront6targetE0EEEvSY_.uses_flat_scratch, 0
	.set _ZN7rocprim17ROCPRIM_400000_NS6detail17trampoline_kernelINS0_13select_configILj256ELj13ELNS0_17block_load_methodE3ELS4_3ELS4_3ELNS0_20block_scan_algorithmE0ELj4294967295EEENS1_25partition_config_selectorILNS1_17partition_subalgoE3EjNS0_10empty_typeEbEEZZNS1_14partition_implILS8_3ELb0ES6_jNS0_17counting_iteratorIjlEEPS9_SE_NS0_5tupleIJPjSE_EEENSF_IJSE_SE_EEES9_SG_JZNS1_25segmented_radix_sort_implINS0_14default_configELb1EPKdPdPKlPlN2at6native12_GLOBAL__N_18offset_tEEE10hipError_tPvRmT1_PNSt15iterator_traitsISY_E10value_typeET2_T3_PNSZ_IS14_E10value_typeET4_jRbjT5_S1A_jjP12ihipStream_tbEUljE_EEESV_SW_SX_S14_S18_S1A_T6_T7_T9_mT8_S1C_bDpT10_ENKUlT_T0_E_clISt17integral_constantIbLb0EES1P_EEDaS1K_S1L_EUlS1K_E_NS1_11comp_targetILNS1_3genE3ELNS1_11target_archE908ELNS1_3gpuE7ELNS1_3repE0EEENS1_30default_config_static_selectorELNS0_4arch9wavefront6targetE0EEEvSY_.has_dyn_sized_stack, 0
	.set _ZN7rocprim17ROCPRIM_400000_NS6detail17trampoline_kernelINS0_13select_configILj256ELj13ELNS0_17block_load_methodE3ELS4_3ELS4_3ELNS0_20block_scan_algorithmE0ELj4294967295EEENS1_25partition_config_selectorILNS1_17partition_subalgoE3EjNS0_10empty_typeEbEEZZNS1_14partition_implILS8_3ELb0ES6_jNS0_17counting_iteratorIjlEEPS9_SE_NS0_5tupleIJPjSE_EEENSF_IJSE_SE_EEES9_SG_JZNS1_25segmented_radix_sort_implINS0_14default_configELb1EPKdPdPKlPlN2at6native12_GLOBAL__N_18offset_tEEE10hipError_tPvRmT1_PNSt15iterator_traitsISY_E10value_typeET2_T3_PNSZ_IS14_E10value_typeET4_jRbjT5_S1A_jjP12ihipStream_tbEUljE_EEESV_SW_SX_S14_S18_S1A_T6_T7_T9_mT8_S1C_bDpT10_ENKUlT_T0_E_clISt17integral_constantIbLb0EES1P_EEDaS1K_S1L_EUlS1K_E_NS1_11comp_targetILNS1_3genE3ELNS1_11target_archE908ELNS1_3gpuE7ELNS1_3repE0EEENS1_30default_config_static_selectorELNS0_4arch9wavefront6targetE0EEEvSY_.has_recursion, 0
	.set _ZN7rocprim17ROCPRIM_400000_NS6detail17trampoline_kernelINS0_13select_configILj256ELj13ELNS0_17block_load_methodE3ELS4_3ELS4_3ELNS0_20block_scan_algorithmE0ELj4294967295EEENS1_25partition_config_selectorILNS1_17partition_subalgoE3EjNS0_10empty_typeEbEEZZNS1_14partition_implILS8_3ELb0ES6_jNS0_17counting_iteratorIjlEEPS9_SE_NS0_5tupleIJPjSE_EEENSF_IJSE_SE_EEES9_SG_JZNS1_25segmented_radix_sort_implINS0_14default_configELb1EPKdPdPKlPlN2at6native12_GLOBAL__N_18offset_tEEE10hipError_tPvRmT1_PNSt15iterator_traitsISY_E10value_typeET2_T3_PNSZ_IS14_E10value_typeET4_jRbjT5_S1A_jjP12ihipStream_tbEUljE_EEESV_SW_SX_S14_S18_S1A_T6_T7_T9_mT8_S1C_bDpT10_ENKUlT_T0_E_clISt17integral_constantIbLb0EES1P_EEDaS1K_S1L_EUlS1K_E_NS1_11comp_targetILNS1_3genE3ELNS1_11target_archE908ELNS1_3gpuE7ELNS1_3repE0EEENS1_30default_config_static_selectorELNS0_4arch9wavefront6targetE0EEEvSY_.has_indirect_call, 0
	.section	.AMDGPU.csdata,"",@progbits
; Kernel info:
; codeLenInByte = 0
; TotalNumSgprs: 0
; NumVgprs: 0
; ScratchSize: 0
; MemoryBound: 0
; FloatMode: 240
; IeeeMode: 1
; LDSByteSize: 0 bytes/workgroup (compile time only)
; SGPRBlocks: 0
; VGPRBlocks: 0
; NumSGPRsForWavesPerEU: 1
; NumVGPRsForWavesPerEU: 1
; Occupancy: 16
; WaveLimiterHint : 0
; COMPUTE_PGM_RSRC2:SCRATCH_EN: 0
; COMPUTE_PGM_RSRC2:USER_SGPR: 2
; COMPUTE_PGM_RSRC2:TRAP_HANDLER: 0
; COMPUTE_PGM_RSRC2:TGID_X_EN: 1
; COMPUTE_PGM_RSRC2:TGID_Y_EN: 0
; COMPUTE_PGM_RSRC2:TGID_Z_EN: 0
; COMPUTE_PGM_RSRC2:TIDIG_COMP_CNT: 0
	.section	.text._ZN7rocprim17ROCPRIM_400000_NS6detail17trampoline_kernelINS0_13select_configILj256ELj13ELNS0_17block_load_methodE3ELS4_3ELS4_3ELNS0_20block_scan_algorithmE0ELj4294967295EEENS1_25partition_config_selectorILNS1_17partition_subalgoE3EjNS0_10empty_typeEbEEZZNS1_14partition_implILS8_3ELb0ES6_jNS0_17counting_iteratorIjlEEPS9_SE_NS0_5tupleIJPjSE_EEENSF_IJSE_SE_EEES9_SG_JZNS1_25segmented_radix_sort_implINS0_14default_configELb1EPKdPdPKlPlN2at6native12_GLOBAL__N_18offset_tEEE10hipError_tPvRmT1_PNSt15iterator_traitsISY_E10value_typeET2_T3_PNSZ_IS14_E10value_typeET4_jRbjT5_S1A_jjP12ihipStream_tbEUljE_EEESV_SW_SX_S14_S18_S1A_T6_T7_T9_mT8_S1C_bDpT10_ENKUlT_T0_E_clISt17integral_constantIbLb0EES1P_EEDaS1K_S1L_EUlS1K_E_NS1_11comp_targetILNS1_3genE2ELNS1_11target_archE906ELNS1_3gpuE6ELNS1_3repE0EEENS1_30default_config_static_selectorELNS0_4arch9wavefront6targetE0EEEvSY_,"axG",@progbits,_ZN7rocprim17ROCPRIM_400000_NS6detail17trampoline_kernelINS0_13select_configILj256ELj13ELNS0_17block_load_methodE3ELS4_3ELS4_3ELNS0_20block_scan_algorithmE0ELj4294967295EEENS1_25partition_config_selectorILNS1_17partition_subalgoE3EjNS0_10empty_typeEbEEZZNS1_14partition_implILS8_3ELb0ES6_jNS0_17counting_iteratorIjlEEPS9_SE_NS0_5tupleIJPjSE_EEENSF_IJSE_SE_EEES9_SG_JZNS1_25segmented_radix_sort_implINS0_14default_configELb1EPKdPdPKlPlN2at6native12_GLOBAL__N_18offset_tEEE10hipError_tPvRmT1_PNSt15iterator_traitsISY_E10value_typeET2_T3_PNSZ_IS14_E10value_typeET4_jRbjT5_S1A_jjP12ihipStream_tbEUljE_EEESV_SW_SX_S14_S18_S1A_T6_T7_T9_mT8_S1C_bDpT10_ENKUlT_T0_E_clISt17integral_constantIbLb0EES1P_EEDaS1K_S1L_EUlS1K_E_NS1_11comp_targetILNS1_3genE2ELNS1_11target_archE906ELNS1_3gpuE6ELNS1_3repE0EEENS1_30default_config_static_selectorELNS0_4arch9wavefront6targetE0EEEvSY_,comdat
	.globl	_ZN7rocprim17ROCPRIM_400000_NS6detail17trampoline_kernelINS0_13select_configILj256ELj13ELNS0_17block_load_methodE3ELS4_3ELS4_3ELNS0_20block_scan_algorithmE0ELj4294967295EEENS1_25partition_config_selectorILNS1_17partition_subalgoE3EjNS0_10empty_typeEbEEZZNS1_14partition_implILS8_3ELb0ES6_jNS0_17counting_iteratorIjlEEPS9_SE_NS0_5tupleIJPjSE_EEENSF_IJSE_SE_EEES9_SG_JZNS1_25segmented_radix_sort_implINS0_14default_configELb1EPKdPdPKlPlN2at6native12_GLOBAL__N_18offset_tEEE10hipError_tPvRmT1_PNSt15iterator_traitsISY_E10value_typeET2_T3_PNSZ_IS14_E10value_typeET4_jRbjT5_S1A_jjP12ihipStream_tbEUljE_EEESV_SW_SX_S14_S18_S1A_T6_T7_T9_mT8_S1C_bDpT10_ENKUlT_T0_E_clISt17integral_constantIbLb0EES1P_EEDaS1K_S1L_EUlS1K_E_NS1_11comp_targetILNS1_3genE2ELNS1_11target_archE906ELNS1_3gpuE6ELNS1_3repE0EEENS1_30default_config_static_selectorELNS0_4arch9wavefront6targetE0EEEvSY_ ; -- Begin function _ZN7rocprim17ROCPRIM_400000_NS6detail17trampoline_kernelINS0_13select_configILj256ELj13ELNS0_17block_load_methodE3ELS4_3ELS4_3ELNS0_20block_scan_algorithmE0ELj4294967295EEENS1_25partition_config_selectorILNS1_17partition_subalgoE3EjNS0_10empty_typeEbEEZZNS1_14partition_implILS8_3ELb0ES6_jNS0_17counting_iteratorIjlEEPS9_SE_NS0_5tupleIJPjSE_EEENSF_IJSE_SE_EEES9_SG_JZNS1_25segmented_radix_sort_implINS0_14default_configELb1EPKdPdPKlPlN2at6native12_GLOBAL__N_18offset_tEEE10hipError_tPvRmT1_PNSt15iterator_traitsISY_E10value_typeET2_T3_PNSZ_IS14_E10value_typeET4_jRbjT5_S1A_jjP12ihipStream_tbEUljE_EEESV_SW_SX_S14_S18_S1A_T6_T7_T9_mT8_S1C_bDpT10_ENKUlT_T0_E_clISt17integral_constantIbLb0EES1P_EEDaS1K_S1L_EUlS1K_E_NS1_11comp_targetILNS1_3genE2ELNS1_11target_archE906ELNS1_3gpuE6ELNS1_3repE0EEENS1_30default_config_static_selectorELNS0_4arch9wavefront6targetE0EEEvSY_
	.p2align	8
	.type	_ZN7rocprim17ROCPRIM_400000_NS6detail17trampoline_kernelINS0_13select_configILj256ELj13ELNS0_17block_load_methodE3ELS4_3ELS4_3ELNS0_20block_scan_algorithmE0ELj4294967295EEENS1_25partition_config_selectorILNS1_17partition_subalgoE3EjNS0_10empty_typeEbEEZZNS1_14partition_implILS8_3ELb0ES6_jNS0_17counting_iteratorIjlEEPS9_SE_NS0_5tupleIJPjSE_EEENSF_IJSE_SE_EEES9_SG_JZNS1_25segmented_radix_sort_implINS0_14default_configELb1EPKdPdPKlPlN2at6native12_GLOBAL__N_18offset_tEEE10hipError_tPvRmT1_PNSt15iterator_traitsISY_E10value_typeET2_T3_PNSZ_IS14_E10value_typeET4_jRbjT5_S1A_jjP12ihipStream_tbEUljE_EEESV_SW_SX_S14_S18_S1A_T6_T7_T9_mT8_S1C_bDpT10_ENKUlT_T0_E_clISt17integral_constantIbLb0EES1P_EEDaS1K_S1L_EUlS1K_E_NS1_11comp_targetILNS1_3genE2ELNS1_11target_archE906ELNS1_3gpuE6ELNS1_3repE0EEENS1_30default_config_static_selectorELNS0_4arch9wavefront6targetE0EEEvSY_,@function
_ZN7rocprim17ROCPRIM_400000_NS6detail17trampoline_kernelINS0_13select_configILj256ELj13ELNS0_17block_load_methodE3ELS4_3ELS4_3ELNS0_20block_scan_algorithmE0ELj4294967295EEENS1_25partition_config_selectorILNS1_17partition_subalgoE3EjNS0_10empty_typeEbEEZZNS1_14partition_implILS8_3ELb0ES6_jNS0_17counting_iteratorIjlEEPS9_SE_NS0_5tupleIJPjSE_EEENSF_IJSE_SE_EEES9_SG_JZNS1_25segmented_radix_sort_implINS0_14default_configELb1EPKdPdPKlPlN2at6native12_GLOBAL__N_18offset_tEEE10hipError_tPvRmT1_PNSt15iterator_traitsISY_E10value_typeET2_T3_PNSZ_IS14_E10value_typeET4_jRbjT5_S1A_jjP12ihipStream_tbEUljE_EEESV_SW_SX_S14_S18_S1A_T6_T7_T9_mT8_S1C_bDpT10_ENKUlT_T0_E_clISt17integral_constantIbLb0EES1P_EEDaS1K_S1L_EUlS1K_E_NS1_11comp_targetILNS1_3genE2ELNS1_11target_archE906ELNS1_3gpuE6ELNS1_3repE0EEENS1_30default_config_static_selectorELNS0_4arch9wavefront6targetE0EEEvSY_: ; @_ZN7rocprim17ROCPRIM_400000_NS6detail17trampoline_kernelINS0_13select_configILj256ELj13ELNS0_17block_load_methodE3ELS4_3ELS4_3ELNS0_20block_scan_algorithmE0ELj4294967295EEENS1_25partition_config_selectorILNS1_17partition_subalgoE3EjNS0_10empty_typeEbEEZZNS1_14partition_implILS8_3ELb0ES6_jNS0_17counting_iteratorIjlEEPS9_SE_NS0_5tupleIJPjSE_EEENSF_IJSE_SE_EEES9_SG_JZNS1_25segmented_radix_sort_implINS0_14default_configELb1EPKdPdPKlPlN2at6native12_GLOBAL__N_18offset_tEEE10hipError_tPvRmT1_PNSt15iterator_traitsISY_E10value_typeET2_T3_PNSZ_IS14_E10value_typeET4_jRbjT5_S1A_jjP12ihipStream_tbEUljE_EEESV_SW_SX_S14_S18_S1A_T6_T7_T9_mT8_S1C_bDpT10_ENKUlT_T0_E_clISt17integral_constantIbLb0EES1P_EEDaS1K_S1L_EUlS1K_E_NS1_11comp_targetILNS1_3genE2ELNS1_11target_archE906ELNS1_3gpuE6ELNS1_3repE0EEENS1_30default_config_static_selectorELNS0_4arch9wavefront6targetE0EEEvSY_
; %bb.0:
	.section	.rodata,"a",@progbits
	.p2align	6, 0x0
	.amdhsa_kernel _ZN7rocprim17ROCPRIM_400000_NS6detail17trampoline_kernelINS0_13select_configILj256ELj13ELNS0_17block_load_methodE3ELS4_3ELS4_3ELNS0_20block_scan_algorithmE0ELj4294967295EEENS1_25partition_config_selectorILNS1_17partition_subalgoE3EjNS0_10empty_typeEbEEZZNS1_14partition_implILS8_3ELb0ES6_jNS0_17counting_iteratorIjlEEPS9_SE_NS0_5tupleIJPjSE_EEENSF_IJSE_SE_EEES9_SG_JZNS1_25segmented_radix_sort_implINS0_14default_configELb1EPKdPdPKlPlN2at6native12_GLOBAL__N_18offset_tEEE10hipError_tPvRmT1_PNSt15iterator_traitsISY_E10value_typeET2_T3_PNSZ_IS14_E10value_typeET4_jRbjT5_S1A_jjP12ihipStream_tbEUljE_EEESV_SW_SX_S14_S18_S1A_T6_T7_T9_mT8_S1C_bDpT10_ENKUlT_T0_E_clISt17integral_constantIbLb0EES1P_EEDaS1K_S1L_EUlS1K_E_NS1_11comp_targetILNS1_3genE2ELNS1_11target_archE906ELNS1_3gpuE6ELNS1_3repE0EEENS1_30default_config_static_selectorELNS0_4arch9wavefront6targetE0EEEvSY_
		.amdhsa_group_segment_fixed_size 0
		.amdhsa_private_segment_fixed_size 0
		.amdhsa_kernarg_size 144
		.amdhsa_user_sgpr_count 2
		.amdhsa_user_sgpr_dispatch_ptr 0
		.amdhsa_user_sgpr_queue_ptr 0
		.amdhsa_user_sgpr_kernarg_segment_ptr 1
		.amdhsa_user_sgpr_dispatch_id 0
		.amdhsa_user_sgpr_private_segment_size 0
		.amdhsa_wavefront_size32 1
		.amdhsa_uses_dynamic_stack 0
		.amdhsa_enable_private_segment 0
		.amdhsa_system_sgpr_workgroup_id_x 1
		.amdhsa_system_sgpr_workgroup_id_y 0
		.amdhsa_system_sgpr_workgroup_id_z 0
		.amdhsa_system_sgpr_workgroup_info 0
		.amdhsa_system_vgpr_workitem_id 0
		.amdhsa_next_free_vgpr 1
		.amdhsa_next_free_sgpr 1
		.amdhsa_reserve_vcc 0
		.amdhsa_float_round_mode_32 0
		.amdhsa_float_round_mode_16_64 0
		.amdhsa_float_denorm_mode_32 3
		.amdhsa_float_denorm_mode_16_64 3
		.amdhsa_fp16_overflow 0
		.amdhsa_workgroup_processor_mode 1
		.amdhsa_memory_ordered 1
		.amdhsa_forward_progress 1
		.amdhsa_inst_pref_size 0
		.amdhsa_round_robin_scheduling 0
		.amdhsa_exception_fp_ieee_invalid_op 0
		.amdhsa_exception_fp_denorm_src 0
		.amdhsa_exception_fp_ieee_div_zero 0
		.amdhsa_exception_fp_ieee_overflow 0
		.amdhsa_exception_fp_ieee_underflow 0
		.amdhsa_exception_fp_ieee_inexact 0
		.amdhsa_exception_int_div_zero 0
	.end_amdhsa_kernel
	.section	.text._ZN7rocprim17ROCPRIM_400000_NS6detail17trampoline_kernelINS0_13select_configILj256ELj13ELNS0_17block_load_methodE3ELS4_3ELS4_3ELNS0_20block_scan_algorithmE0ELj4294967295EEENS1_25partition_config_selectorILNS1_17partition_subalgoE3EjNS0_10empty_typeEbEEZZNS1_14partition_implILS8_3ELb0ES6_jNS0_17counting_iteratorIjlEEPS9_SE_NS0_5tupleIJPjSE_EEENSF_IJSE_SE_EEES9_SG_JZNS1_25segmented_radix_sort_implINS0_14default_configELb1EPKdPdPKlPlN2at6native12_GLOBAL__N_18offset_tEEE10hipError_tPvRmT1_PNSt15iterator_traitsISY_E10value_typeET2_T3_PNSZ_IS14_E10value_typeET4_jRbjT5_S1A_jjP12ihipStream_tbEUljE_EEESV_SW_SX_S14_S18_S1A_T6_T7_T9_mT8_S1C_bDpT10_ENKUlT_T0_E_clISt17integral_constantIbLb0EES1P_EEDaS1K_S1L_EUlS1K_E_NS1_11comp_targetILNS1_3genE2ELNS1_11target_archE906ELNS1_3gpuE6ELNS1_3repE0EEENS1_30default_config_static_selectorELNS0_4arch9wavefront6targetE0EEEvSY_,"axG",@progbits,_ZN7rocprim17ROCPRIM_400000_NS6detail17trampoline_kernelINS0_13select_configILj256ELj13ELNS0_17block_load_methodE3ELS4_3ELS4_3ELNS0_20block_scan_algorithmE0ELj4294967295EEENS1_25partition_config_selectorILNS1_17partition_subalgoE3EjNS0_10empty_typeEbEEZZNS1_14partition_implILS8_3ELb0ES6_jNS0_17counting_iteratorIjlEEPS9_SE_NS0_5tupleIJPjSE_EEENSF_IJSE_SE_EEES9_SG_JZNS1_25segmented_radix_sort_implINS0_14default_configELb1EPKdPdPKlPlN2at6native12_GLOBAL__N_18offset_tEEE10hipError_tPvRmT1_PNSt15iterator_traitsISY_E10value_typeET2_T3_PNSZ_IS14_E10value_typeET4_jRbjT5_S1A_jjP12ihipStream_tbEUljE_EEESV_SW_SX_S14_S18_S1A_T6_T7_T9_mT8_S1C_bDpT10_ENKUlT_T0_E_clISt17integral_constantIbLb0EES1P_EEDaS1K_S1L_EUlS1K_E_NS1_11comp_targetILNS1_3genE2ELNS1_11target_archE906ELNS1_3gpuE6ELNS1_3repE0EEENS1_30default_config_static_selectorELNS0_4arch9wavefront6targetE0EEEvSY_,comdat
.Lfunc_end1090:
	.size	_ZN7rocprim17ROCPRIM_400000_NS6detail17trampoline_kernelINS0_13select_configILj256ELj13ELNS0_17block_load_methodE3ELS4_3ELS4_3ELNS0_20block_scan_algorithmE0ELj4294967295EEENS1_25partition_config_selectorILNS1_17partition_subalgoE3EjNS0_10empty_typeEbEEZZNS1_14partition_implILS8_3ELb0ES6_jNS0_17counting_iteratorIjlEEPS9_SE_NS0_5tupleIJPjSE_EEENSF_IJSE_SE_EEES9_SG_JZNS1_25segmented_radix_sort_implINS0_14default_configELb1EPKdPdPKlPlN2at6native12_GLOBAL__N_18offset_tEEE10hipError_tPvRmT1_PNSt15iterator_traitsISY_E10value_typeET2_T3_PNSZ_IS14_E10value_typeET4_jRbjT5_S1A_jjP12ihipStream_tbEUljE_EEESV_SW_SX_S14_S18_S1A_T6_T7_T9_mT8_S1C_bDpT10_ENKUlT_T0_E_clISt17integral_constantIbLb0EES1P_EEDaS1K_S1L_EUlS1K_E_NS1_11comp_targetILNS1_3genE2ELNS1_11target_archE906ELNS1_3gpuE6ELNS1_3repE0EEENS1_30default_config_static_selectorELNS0_4arch9wavefront6targetE0EEEvSY_, .Lfunc_end1090-_ZN7rocprim17ROCPRIM_400000_NS6detail17trampoline_kernelINS0_13select_configILj256ELj13ELNS0_17block_load_methodE3ELS4_3ELS4_3ELNS0_20block_scan_algorithmE0ELj4294967295EEENS1_25partition_config_selectorILNS1_17partition_subalgoE3EjNS0_10empty_typeEbEEZZNS1_14partition_implILS8_3ELb0ES6_jNS0_17counting_iteratorIjlEEPS9_SE_NS0_5tupleIJPjSE_EEENSF_IJSE_SE_EEES9_SG_JZNS1_25segmented_radix_sort_implINS0_14default_configELb1EPKdPdPKlPlN2at6native12_GLOBAL__N_18offset_tEEE10hipError_tPvRmT1_PNSt15iterator_traitsISY_E10value_typeET2_T3_PNSZ_IS14_E10value_typeET4_jRbjT5_S1A_jjP12ihipStream_tbEUljE_EEESV_SW_SX_S14_S18_S1A_T6_T7_T9_mT8_S1C_bDpT10_ENKUlT_T0_E_clISt17integral_constantIbLb0EES1P_EEDaS1K_S1L_EUlS1K_E_NS1_11comp_targetILNS1_3genE2ELNS1_11target_archE906ELNS1_3gpuE6ELNS1_3repE0EEENS1_30default_config_static_selectorELNS0_4arch9wavefront6targetE0EEEvSY_
                                        ; -- End function
	.set _ZN7rocprim17ROCPRIM_400000_NS6detail17trampoline_kernelINS0_13select_configILj256ELj13ELNS0_17block_load_methodE3ELS4_3ELS4_3ELNS0_20block_scan_algorithmE0ELj4294967295EEENS1_25partition_config_selectorILNS1_17partition_subalgoE3EjNS0_10empty_typeEbEEZZNS1_14partition_implILS8_3ELb0ES6_jNS0_17counting_iteratorIjlEEPS9_SE_NS0_5tupleIJPjSE_EEENSF_IJSE_SE_EEES9_SG_JZNS1_25segmented_radix_sort_implINS0_14default_configELb1EPKdPdPKlPlN2at6native12_GLOBAL__N_18offset_tEEE10hipError_tPvRmT1_PNSt15iterator_traitsISY_E10value_typeET2_T3_PNSZ_IS14_E10value_typeET4_jRbjT5_S1A_jjP12ihipStream_tbEUljE_EEESV_SW_SX_S14_S18_S1A_T6_T7_T9_mT8_S1C_bDpT10_ENKUlT_T0_E_clISt17integral_constantIbLb0EES1P_EEDaS1K_S1L_EUlS1K_E_NS1_11comp_targetILNS1_3genE2ELNS1_11target_archE906ELNS1_3gpuE6ELNS1_3repE0EEENS1_30default_config_static_selectorELNS0_4arch9wavefront6targetE0EEEvSY_.num_vgpr, 0
	.set _ZN7rocprim17ROCPRIM_400000_NS6detail17trampoline_kernelINS0_13select_configILj256ELj13ELNS0_17block_load_methodE3ELS4_3ELS4_3ELNS0_20block_scan_algorithmE0ELj4294967295EEENS1_25partition_config_selectorILNS1_17partition_subalgoE3EjNS0_10empty_typeEbEEZZNS1_14partition_implILS8_3ELb0ES6_jNS0_17counting_iteratorIjlEEPS9_SE_NS0_5tupleIJPjSE_EEENSF_IJSE_SE_EEES9_SG_JZNS1_25segmented_radix_sort_implINS0_14default_configELb1EPKdPdPKlPlN2at6native12_GLOBAL__N_18offset_tEEE10hipError_tPvRmT1_PNSt15iterator_traitsISY_E10value_typeET2_T3_PNSZ_IS14_E10value_typeET4_jRbjT5_S1A_jjP12ihipStream_tbEUljE_EEESV_SW_SX_S14_S18_S1A_T6_T7_T9_mT8_S1C_bDpT10_ENKUlT_T0_E_clISt17integral_constantIbLb0EES1P_EEDaS1K_S1L_EUlS1K_E_NS1_11comp_targetILNS1_3genE2ELNS1_11target_archE906ELNS1_3gpuE6ELNS1_3repE0EEENS1_30default_config_static_selectorELNS0_4arch9wavefront6targetE0EEEvSY_.num_agpr, 0
	.set _ZN7rocprim17ROCPRIM_400000_NS6detail17trampoline_kernelINS0_13select_configILj256ELj13ELNS0_17block_load_methodE3ELS4_3ELS4_3ELNS0_20block_scan_algorithmE0ELj4294967295EEENS1_25partition_config_selectorILNS1_17partition_subalgoE3EjNS0_10empty_typeEbEEZZNS1_14partition_implILS8_3ELb0ES6_jNS0_17counting_iteratorIjlEEPS9_SE_NS0_5tupleIJPjSE_EEENSF_IJSE_SE_EEES9_SG_JZNS1_25segmented_radix_sort_implINS0_14default_configELb1EPKdPdPKlPlN2at6native12_GLOBAL__N_18offset_tEEE10hipError_tPvRmT1_PNSt15iterator_traitsISY_E10value_typeET2_T3_PNSZ_IS14_E10value_typeET4_jRbjT5_S1A_jjP12ihipStream_tbEUljE_EEESV_SW_SX_S14_S18_S1A_T6_T7_T9_mT8_S1C_bDpT10_ENKUlT_T0_E_clISt17integral_constantIbLb0EES1P_EEDaS1K_S1L_EUlS1K_E_NS1_11comp_targetILNS1_3genE2ELNS1_11target_archE906ELNS1_3gpuE6ELNS1_3repE0EEENS1_30default_config_static_selectorELNS0_4arch9wavefront6targetE0EEEvSY_.numbered_sgpr, 0
	.set _ZN7rocprim17ROCPRIM_400000_NS6detail17trampoline_kernelINS0_13select_configILj256ELj13ELNS0_17block_load_methodE3ELS4_3ELS4_3ELNS0_20block_scan_algorithmE0ELj4294967295EEENS1_25partition_config_selectorILNS1_17partition_subalgoE3EjNS0_10empty_typeEbEEZZNS1_14partition_implILS8_3ELb0ES6_jNS0_17counting_iteratorIjlEEPS9_SE_NS0_5tupleIJPjSE_EEENSF_IJSE_SE_EEES9_SG_JZNS1_25segmented_radix_sort_implINS0_14default_configELb1EPKdPdPKlPlN2at6native12_GLOBAL__N_18offset_tEEE10hipError_tPvRmT1_PNSt15iterator_traitsISY_E10value_typeET2_T3_PNSZ_IS14_E10value_typeET4_jRbjT5_S1A_jjP12ihipStream_tbEUljE_EEESV_SW_SX_S14_S18_S1A_T6_T7_T9_mT8_S1C_bDpT10_ENKUlT_T0_E_clISt17integral_constantIbLb0EES1P_EEDaS1K_S1L_EUlS1K_E_NS1_11comp_targetILNS1_3genE2ELNS1_11target_archE906ELNS1_3gpuE6ELNS1_3repE0EEENS1_30default_config_static_selectorELNS0_4arch9wavefront6targetE0EEEvSY_.num_named_barrier, 0
	.set _ZN7rocprim17ROCPRIM_400000_NS6detail17trampoline_kernelINS0_13select_configILj256ELj13ELNS0_17block_load_methodE3ELS4_3ELS4_3ELNS0_20block_scan_algorithmE0ELj4294967295EEENS1_25partition_config_selectorILNS1_17partition_subalgoE3EjNS0_10empty_typeEbEEZZNS1_14partition_implILS8_3ELb0ES6_jNS0_17counting_iteratorIjlEEPS9_SE_NS0_5tupleIJPjSE_EEENSF_IJSE_SE_EEES9_SG_JZNS1_25segmented_radix_sort_implINS0_14default_configELb1EPKdPdPKlPlN2at6native12_GLOBAL__N_18offset_tEEE10hipError_tPvRmT1_PNSt15iterator_traitsISY_E10value_typeET2_T3_PNSZ_IS14_E10value_typeET4_jRbjT5_S1A_jjP12ihipStream_tbEUljE_EEESV_SW_SX_S14_S18_S1A_T6_T7_T9_mT8_S1C_bDpT10_ENKUlT_T0_E_clISt17integral_constantIbLb0EES1P_EEDaS1K_S1L_EUlS1K_E_NS1_11comp_targetILNS1_3genE2ELNS1_11target_archE906ELNS1_3gpuE6ELNS1_3repE0EEENS1_30default_config_static_selectorELNS0_4arch9wavefront6targetE0EEEvSY_.private_seg_size, 0
	.set _ZN7rocprim17ROCPRIM_400000_NS6detail17trampoline_kernelINS0_13select_configILj256ELj13ELNS0_17block_load_methodE3ELS4_3ELS4_3ELNS0_20block_scan_algorithmE0ELj4294967295EEENS1_25partition_config_selectorILNS1_17partition_subalgoE3EjNS0_10empty_typeEbEEZZNS1_14partition_implILS8_3ELb0ES6_jNS0_17counting_iteratorIjlEEPS9_SE_NS0_5tupleIJPjSE_EEENSF_IJSE_SE_EEES9_SG_JZNS1_25segmented_radix_sort_implINS0_14default_configELb1EPKdPdPKlPlN2at6native12_GLOBAL__N_18offset_tEEE10hipError_tPvRmT1_PNSt15iterator_traitsISY_E10value_typeET2_T3_PNSZ_IS14_E10value_typeET4_jRbjT5_S1A_jjP12ihipStream_tbEUljE_EEESV_SW_SX_S14_S18_S1A_T6_T7_T9_mT8_S1C_bDpT10_ENKUlT_T0_E_clISt17integral_constantIbLb0EES1P_EEDaS1K_S1L_EUlS1K_E_NS1_11comp_targetILNS1_3genE2ELNS1_11target_archE906ELNS1_3gpuE6ELNS1_3repE0EEENS1_30default_config_static_selectorELNS0_4arch9wavefront6targetE0EEEvSY_.uses_vcc, 0
	.set _ZN7rocprim17ROCPRIM_400000_NS6detail17trampoline_kernelINS0_13select_configILj256ELj13ELNS0_17block_load_methodE3ELS4_3ELS4_3ELNS0_20block_scan_algorithmE0ELj4294967295EEENS1_25partition_config_selectorILNS1_17partition_subalgoE3EjNS0_10empty_typeEbEEZZNS1_14partition_implILS8_3ELb0ES6_jNS0_17counting_iteratorIjlEEPS9_SE_NS0_5tupleIJPjSE_EEENSF_IJSE_SE_EEES9_SG_JZNS1_25segmented_radix_sort_implINS0_14default_configELb1EPKdPdPKlPlN2at6native12_GLOBAL__N_18offset_tEEE10hipError_tPvRmT1_PNSt15iterator_traitsISY_E10value_typeET2_T3_PNSZ_IS14_E10value_typeET4_jRbjT5_S1A_jjP12ihipStream_tbEUljE_EEESV_SW_SX_S14_S18_S1A_T6_T7_T9_mT8_S1C_bDpT10_ENKUlT_T0_E_clISt17integral_constantIbLb0EES1P_EEDaS1K_S1L_EUlS1K_E_NS1_11comp_targetILNS1_3genE2ELNS1_11target_archE906ELNS1_3gpuE6ELNS1_3repE0EEENS1_30default_config_static_selectorELNS0_4arch9wavefront6targetE0EEEvSY_.uses_flat_scratch, 0
	.set _ZN7rocprim17ROCPRIM_400000_NS6detail17trampoline_kernelINS0_13select_configILj256ELj13ELNS0_17block_load_methodE3ELS4_3ELS4_3ELNS0_20block_scan_algorithmE0ELj4294967295EEENS1_25partition_config_selectorILNS1_17partition_subalgoE3EjNS0_10empty_typeEbEEZZNS1_14partition_implILS8_3ELb0ES6_jNS0_17counting_iteratorIjlEEPS9_SE_NS0_5tupleIJPjSE_EEENSF_IJSE_SE_EEES9_SG_JZNS1_25segmented_radix_sort_implINS0_14default_configELb1EPKdPdPKlPlN2at6native12_GLOBAL__N_18offset_tEEE10hipError_tPvRmT1_PNSt15iterator_traitsISY_E10value_typeET2_T3_PNSZ_IS14_E10value_typeET4_jRbjT5_S1A_jjP12ihipStream_tbEUljE_EEESV_SW_SX_S14_S18_S1A_T6_T7_T9_mT8_S1C_bDpT10_ENKUlT_T0_E_clISt17integral_constantIbLb0EES1P_EEDaS1K_S1L_EUlS1K_E_NS1_11comp_targetILNS1_3genE2ELNS1_11target_archE906ELNS1_3gpuE6ELNS1_3repE0EEENS1_30default_config_static_selectorELNS0_4arch9wavefront6targetE0EEEvSY_.has_dyn_sized_stack, 0
	.set _ZN7rocprim17ROCPRIM_400000_NS6detail17trampoline_kernelINS0_13select_configILj256ELj13ELNS0_17block_load_methodE3ELS4_3ELS4_3ELNS0_20block_scan_algorithmE0ELj4294967295EEENS1_25partition_config_selectorILNS1_17partition_subalgoE3EjNS0_10empty_typeEbEEZZNS1_14partition_implILS8_3ELb0ES6_jNS0_17counting_iteratorIjlEEPS9_SE_NS0_5tupleIJPjSE_EEENSF_IJSE_SE_EEES9_SG_JZNS1_25segmented_radix_sort_implINS0_14default_configELb1EPKdPdPKlPlN2at6native12_GLOBAL__N_18offset_tEEE10hipError_tPvRmT1_PNSt15iterator_traitsISY_E10value_typeET2_T3_PNSZ_IS14_E10value_typeET4_jRbjT5_S1A_jjP12ihipStream_tbEUljE_EEESV_SW_SX_S14_S18_S1A_T6_T7_T9_mT8_S1C_bDpT10_ENKUlT_T0_E_clISt17integral_constantIbLb0EES1P_EEDaS1K_S1L_EUlS1K_E_NS1_11comp_targetILNS1_3genE2ELNS1_11target_archE906ELNS1_3gpuE6ELNS1_3repE0EEENS1_30default_config_static_selectorELNS0_4arch9wavefront6targetE0EEEvSY_.has_recursion, 0
	.set _ZN7rocprim17ROCPRIM_400000_NS6detail17trampoline_kernelINS0_13select_configILj256ELj13ELNS0_17block_load_methodE3ELS4_3ELS4_3ELNS0_20block_scan_algorithmE0ELj4294967295EEENS1_25partition_config_selectorILNS1_17partition_subalgoE3EjNS0_10empty_typeEbEEZZNS1_14partition_implILS8_3ELb0ES6_jNS0_17counting_iteratorIjlEEPS9_SE_NS0_5tupleIJPjSE_EEENSF_IJSE_SE_EEES9_SG_JZNS1_25segmented_radix_sort_implINS0_14default_configELb1EPKdPdPKlPlN2at6native12_GLOBAL__N_18offset_tEEE10hipError_tPvRmT1_PNSt15iterator_traitsISY_E10value_typeET2_T3_PNSZ_IS14_E10value_typeET4_jRbjT5_S1A_jjP12ihipStream_tbEUljE_EEESV_SW_SX_S14_S18_S1A_T6_T7_T9_mT8_S1C_bDpT10_ENKUlT_T0_E_clISt17integral_constantIbLb0EES1P_EEDaS1K_S1L_EUlS1K_E_NS1_11comp_targetILNS1_3genE2ELNS1_11target_archE906ELNS1_3gpuE6ELNS1_3repE0EEENS1_30default_config_static_selectorELNS0_4arch9wavefront6targetE0EEEvSY_.has_indirect_call, 0
	.section	.AMDGPU.csdata,"",@progbits
; Kernel info:
; codeLenInByte = 0
; TotalNumSgprs: 0
; NumVgprs: 0
; ScratchSize: 0
; MemoryBound: 0
; FloatMode: 240
; IeeeMode: 1
; LDSByteSize: 0 bytes/workgroup (compile time only)
; SGPRBlocks: 0
; VGPRBlocks: 0
; NumSGPRsForWavesPerEU: 1
; NumVGPRsForWavesPerEU: 1
; Occupancy: 16
; WaveLimiterHint : 0
; COMPUTE_PGM_RSRC2:SCRATCH_EN: 0
; COMPUTE_PGM_RSRC2:USER_SGPR: 2
; COMPUTE_PGM_RSRC2:TRAP_HANDLER: 0
; COMPUTE_PGM_RSRC2:TGID_X_EN: 1
; COMPUTE_PGM_RSRC2:TGID_Y_EN: 0
; COMPUTE_PGM_RSRC2:TGID_Z_EN: 0
; COMPUTE_PGM_RSRC2:TIDIG_COMP_CNT: 0
	.section	.text._ZN7rocprim17ROCPRIM_400000_NS6detail17trampoline_kernelINS0_13select_configILj256ELj13ELNS0_17block_load_methodE3ELS4_3ELS4_3ELNS0_20block_scan_algorithmE0ELj4294967295EEENS1_25partition_config_selectorILNS1_17partition_subalgoE3EjNS0_10empty_typeEbEEZZNS1_14partition_implILS8_3ELb0ES6_jNS0_17counting_iteratorIjlEEPS9_SE_NS0_5tupleIJPjSE_EEENSF_IJSE_SE_EEES9_SG_JZNS1_25segmented_radix_sort_implINS0_14default_configELb1EPKdPdPKlPlN2at6native12_GLOBAL__N_18offset_tEEE10hipError_tPvRmT1_PNSt15iterator_traitsISY_E10value_typeET2_T3_PNSZ_IS14_E10value_typeET4_jRbjT5_S1A_jjP12ihipStream_tbEUljE_EEESV_SW_SX_S14_S18_S1A_T6_T7_T9_mT8_S1C_bDpT10_ENKUlT_T0_E_clISt17integral_constantIbLb0EES1P_EEDaS1K_S1L_EUlS1K_E_NS1_11comp_targetILNS1_3genE10ELNS1_11target_archE1200ELNS1_3gpuE4ELNS1_3repE0EEENS1_30default_config_static_selectorELNS0_4arch9wavefront6targetE0EEEvSY_,"axG",@progbits,_ZN7rocprim17ROCPRIM_400000_NS6detail17trampoline_kernelINS0_13select_configILj256ELj13ELNS0_17block_load_methodE3ELS4_3ELS4_3ELNS0_20block_scan_algorithmE0ELj4294967295EEENS1_25partition_config_selectorILNS1_17partition_subalgoE3EjNS0_10empty_typeEbEEZZNS1_14partition_implILS8_3ELb0ES6_jNS0_17counting_iteratorIjlEEPS9_SE_NS0_5tupleIJPjSE_EEENSF_IJSE_SE_EEES9_SG_JZNS1_25segmented_radix_sort_implINS0_14default_configELb1EPKdPdPKlPlN2at6native12_GLOBAL__N_18offset_tEEE10hipError_tPvRmT1_PNSt15iterator_traitsISY_E10value_typeET2_T3_PNSZ_IS14_E10value_typeET4_jRbjT5_S1A_jjP12ihipStream_tbEUljE_EEESV_SW_SX_S14_S18_S1A_T6_T7_T9_mT8_S1C_bDpT10_ENKUlT_T0_E_clISt17integral_constantIbLb0EES1P_EEDaS1K_S1L_EUlS1K_E_NS1_11comp_targetILNS1_3genE10ELNS1_11target_archE1200ELNS1_3gpuE4ELNS1_3repE0EEENS1_30default_config_static_selectorELNS0_4arch9wavefront6targetE0EEEvSY_,comdat
	.globl	_ZN7rocprim17ROCPRIM_400000_NS6detail17trampoline_kernelINS0_13select_configILj256ELj13ELNS0_17block_load_methodE3ELS4_3ELS4_3ELNS0_20block_scan_algorithmE0ELj4294967295EEENS1_25partition_config_selectorILNS1_17partition_subalgoE3EjNS0_10empty_typeEbEEZZNS1_14partition_implILS8_3ELb0ES6_jNS0_17counting_iteratorIjlEEPS9_SE_NS0_5tupleIJPjSE_EEENSF_IJSE_SE_EEES9_SG_JZNS1_25segmented_radix_sort_implINS0_14default_configELb1EPKdPdPKlPlN2at6native12_GLOBAL__N_18offset_tEEE10hipError_tPvRmT1_PNSt15iterator_traitsISY_E10value_typeET2_T3_PNSZ_IS14_E10value_typeET4_jRbjT5_S1A_jjP12ihipStream_tbEUljE_EEESV_SW_SX_S14_S18_S1A_T6_T7_T9_mT8_S1C_bDpT10_ENKUlT_T0_E_clISt17integral_constantIbLb0EES1P_EEDaS1K_S1L_EUlS1K_E_NS1_11comp_targetILNS1_3genE10ELNS1_11target_archE1200ELNS1_3gpuE4ELNS1_3repE0EEENS1_30default_config_static_selectorELNS0_4arch9wavefront6targetE0EEEvSY_ ; -- Begin function _ZN7rocprim17ROCPRIM_400000_NS6detail17trampoline_kernelINS0_13select_configILj256ELj13ELNS0_17block_load_methodE3ELS4_3ELS4_3ELNS0_20block_scan_algorithmE0ELj4294967295EEENS1_25partition_config_selectorILNS1_17partition_subalgoE3EjNS0_10empty_typeEbEEZZNS1_14partition_implILS8_3ELb0ES6_jNS0_17counting_iteratorIjlEEPS9_SE_NS0_5tupleIJPjSE_EEENSF_IJSE_SE_EEES9_SG_JZNS1_25segmented_radix_sort_implINS0_14default_configELb1EPKdPdPKlPlN2at6native12_GLOBAL__N_18offset_tEEE10hipError_tPvRmT1_PNSt15iterator_traitsISY_E10value_typeET2_T3_PNSZ_IS14_E10value_typeET4_jRbjT5_S1A_jjP12ihipStream_tbEUljE_EEESV_SW_SX_S14_S18_S1A_T6_T7_T9_mT8_S1C_bDpT10_ENKUlT_T0_E_clISt17integral_constantIbLb0EES1P_EEDaS1K_S1L_EUlS1K_E_NS1_11comp_targetILNS1_3genE10ELNS1_11target_archE1200ELNS1_3gpuE4ELNS1_3repE0EEENS1_30default_config_static_selectorELNS0_4arch9wavefront6targetE0EEEvSY_
	.p2align	8
	.type	_ZN7rocprim17ROCPRIM_400000_NS6detail17trampoline_kernelINS0_13select_configILj256ELj13ELNS0_17block_load_methodE3ELS4_3ELS4_3ELNS0_20block_scan_algorithmE0ELj4294967295EEENS1_25partition_config_selectorILNS1_17partition_subalgoE3EjNS0_10empty_typeEbEEZZNS1_14partition_implILS8_3ELb0ES6_jNS0_17counting_iteratorIjlEEPS9_SE_NS0_5tupleIJPjSE_EEENSF_IJSE_SE_EEES9_SG_JZNS1_25segmented_radix_sort_implINS0_14default_configELb1EPKdPdPKlPlN2at6native12_GLOBAL__N_18offset_tEEE10hipError_tPvRmT1_PNSt15iterator_traitsISY_E10value_typeET2_T3_PNSZ_IS14_E10value_typeET4_jRbjT5_S1A_jjP12ihipStream_tbEUljE_EEESV_SW_SX_S14_S18_S1A_T6_T7_T9_mT8_S1C_bDpT10_ENKUlT_T0_E_clISt17integral_constantIbLb0EES1P_EEDaS1K_S1L_EUlS1K_E_NS1_11comp_targetILNS1_3genE10ELNS1_11target_archE1200ELNS1_3gpuE4ELNS1_3repE0EEENS1_30default_config_static_selectorELNS0_4arch9wavefront6targetE0EEEvSY_,@function
_ZN7rocprim17ROCPRIM_400000_NS6detail17trampoline_kernelINS0_13select_configILj256ELj13ELNS0_17block_load_methodE3ELS4_3ELS4_3ELNS0_20block_scan_algorithmE0ELj4294967295EEENS1_25partition_config_selectorILNS1_17partition_subalgoE3EjNS0_10empty_typeEbEEZZNS1_14partition_implILS8_3ELb0ES6_jNS0_17counting_iteratorIjlEEPS9_SE_NS0_5tupleIJPjSE_EEENSF_IJSE_SE_EEES9_SG_JZNS1_25segmented_radix_sort_implINS0_14default_configELb1EPKdPdPKlPlN2at6native12_GLOBAL__N_18offset_tEEE10hipError_tPvRmT1_PNSt15iterator_traitsISY_E10value_typeET2_T3_PNSZ_IS14_E10value_typeET4_jRbjT5_S1A_jjP12ihipStream_tbEUljE_EEESV_SW_SX_S14_S18_S1A_T6_T7_T9_mT8_S1C_bDpT10_ENKUlT_T0_E_clISt17integral_constantIbLb0EES1P_EEDaS1K_S1L_EUlS1K_E_NS1_11comp_targetILNS1_3genE10ELNS1_11target_archE1200ELNS1_3gpuE4ELNS1_3repE0EEENS1_30default_config_static_selectorELNS0_4arch9wavefront6targetE0EEEvSY_: ; @_ZN7rocprim17ROCPRIM_400000_NS6detail17trampoline_kernelINS0_13select_configILj256ELj13ELNS0_17block_load_methodE3ELS4_3ELS4_3ELNS0_20block_scan_algorithmE0ELj4294967295EEENS1_25partition_config_selectorILNS1_17partition_subalgoE3EjNS0_10empty_typeEbEEZZNS1_14partition_implILS8_3ELb0ES6_jNS0_17counting_iteratorIjlEEPS9_SE_NS0_5tupleIJPjSE_EEENSF_IJSE_SE_EEES9_SG_JZNS1_25segmented_radix_sort_implINS0_14default_configELb1EPKdPdPKlPlN2at6native12_GLOBAL__N_18offset_tEEE10hipError_tPvRmT1_PNSt15iterator_traitsISY_E10value_typeET2_T3_PNSZ_IS14_E10value_typeET4_jRbjT5_S1A_jjP12ihipStream_tbEUljE_EEESV_SW_SX_S14_S18_S1A_T6_T7_T9_mT8_S1C_bDpT10_ENKUlT_T0_E_clISt17integral_constantIbLb0EES1P_EEDaS1K_S1L_EUlS1K_E_NS1_11comp_targetILNS1_3genE10ELNS1_11target_archE1200ELNS1_3gpuE4ELNS1_3repE0EEENS1_30default_config_static_selectorELNS0_4arch9wavefront6targetE0EEEvSY_
; %bb.0:
	s_clause 0x6
	s_load_b32 s2, s[0:1], 0x70
	s_load_b128 s[8:11], s[0:1], 0x48
	s_load_b64 s[12:13], s[0:1], 0x10
	s_load_b64 s[14:15], s[0:1], 0x58
	s_load_b32 s20, s[0:1], 0x8
	s_load_b32 s3, s[0:1], 0x88
	s_load_b128 s[4:7], s[0:1], 0x78
	s_mov_b32 s17, 0
	v_lshlrev_b32_e32 v42, 2, v0
	s_wait_kmcnt 0x0
	s_mul_i32 s16, s2, 0xd00
	s_load_b64 s[18:19], s[10:11], 0x0
	s_add_co_i32 s10, s16, s12
	s_add_co_i32 s2, s2, -1
	s_sub_co_i32 s23, s14, s10
	s_add_nc_u64 s[10:11], s[12:13], s[16:17]
	s_addk_co_i32 s23, 0xd00
	s_cmp_eq_u32 ttmp9, s2
	s_mul_i32 s16, ttmp9, 0xd00
	s_cselect_b32 s22, -1, 0
	s_cmp_lg_u32 ttmp9, s2
	v_cmp_gt_u64_e64 s10, s[14:15], s[10:11]
	s_cselect_b32 s2, -1, 0
	s_add_co_i32 s11, s20, s16
	s_mov_b32 s17, -1
	s_wait_alu 0xfffe
	s_add_co_i32 s11, s11, s12
	s_wait_alu 0xfffe
	v_add_nc_u32_e32 v1, s11, v0
	s_or_b32 s10, s2, s10
	s_wait_alu 0xfffe
	s_and_b32 vcc_lo, exec_lo, s10
	s_cbranch_vccz .LBB1091_2
; %bb.1:
	v_add_nc_u32_e32 v2, 0x100, v1
	v_add_nc_u32_e32 v3, 0x200, v1
	;; [unrolled: 1-line block ×12, first 2 shown]
	ds_store_2addr_stride64_b32 v42, v1, v2 offset1:4
	ds_store_2addr_stride64_b32 v42, v3, v4 offset0:8 offset1:12
	ds_store_2addr_stride64_b32 v42, v5, v6 offset0:16 offset1:20
	;; [unrolled: 1-line block ×5, first 2 shown]
	ds_store_b32 v42, v13 offset:12288
	s_wait_dscnt 0x0
	s_barrier_signal -1
	s_mov_b32 s17, 0
	s_barrier_wait -1
.LBB1091_2:
	v_cmp_gt_u32_e64 s2, s23, v0
	v_or_b32_e32 v41, 0x100, v0
	v_or_b32_e32 v40, 0x200, v0
	;; [unrolled: 1-line block ×12, first 2 shown]
	s_and_not1_b32 vcc_lo, exec_lo, s17
	s_cbranch_vccnz .LBB1091_4
; %bb.3:
	v_cmp_gt_u32_e32 vcc_lo, s23, v41
	v_add_nc_u32_e32 v3, s11, v40
	v_add_nc_u32_e32 v2, s11, v41
	v_cndmask_b32_e64 v1, 0, v1, s2
	s_delay_alu instid0(VALU_DEP_2)
	v_cndmask_b32_e32 v2, 0, v2, vcc_lo
	v_cmp_gt_u32_e32 vcc_lo, s23, v40
	s_wait_alu 0xfffd
	v_cndmask_b32_e32 v3, 0, v3, vcc_lo
	v_cmp_gt_u32_e32 vcc_lo, s23, v39
	v_add_nc_u32_e32 v5, s11, v38
	v_add_nc_u32_e32 v4, s11, v39
	s_wait_alu 0xfffd
	s_delay_alu instid0(VALU_DEP_1)
	v_cndmask_b32_e32 v4, 0, v4, vcc_lo
	v_cmp_gt_u32_e32 vcc_lo, s23, v38
	s_wait_alu 0xfffd
	v_cndmask_b32_e32 v5, 0, v5, vcc_lo
	v_cmp_gt_u32_e32 vcc_lo, s23, v37
	v_add_nc_u32_e32 v7, s11, v36
	v_add_nc_u32_e32 v6, s11, v37
	s_wait_alu 0xfffd
	s_delay_alu instid0(VALU_DEP_1)
	;; [unrolled: 9-line block ×5, first 2 shown]
	v_cndmask_b32_e32 v12, 0, v12, vcc_lo
	v_cmp_gt_u32_e32 vcc_lo, s23, v30
	s_wait_alu 0xfffd
	v_cndmask_b32_e32 v13, 0, v13, vcc_lo
	ds_store_2addr_stride64_b32 v42, v1, v2 offset1:4
	ds_store_2addr_stride64_b32 v42, v3, v4 offset0:8 offset1:12
	ds_store_2addr_stride64_b32 v42, v5, v6 offset0:16 offset1:20
	ds_store_2addr_stride64_b32 v42, v7, v8 offset0:24 offset1:28
	ds_store_2addr_stride64_b32 v42, v9, v10 offset0:32 offset1:36
	ds_store_2addr_stride64_b32 v42, v11, v12 offset0:40 offset1:44
	ds_store_b32 v42, v13 offset:12288
	s_wait_dscnt 0x0
	s_barrier_signal -1
	s_barrier_wait -1
.LBB1091_4:
	v_mul_u32_u24_e32 v45, 13, v0
	global_inv scope:SCOPE_SE
	v_cndmask_b32_e64 v43, 0, 1, s10
	s_and_not1_b32 vcc_lo, exec_lo, s10
	v_lshlrev_b32_e32 v1, 2, v45
	ds_load_2addr_b32 v[26:27], v1 offset0:2 offset1:3
	ds_load_2addr_b32 v[22:23], v1 offset0:6 offset1:7
	;; [unrolled: 1-line block ×3, first 2 shown]
	ds_load_2addr_b32 v[28:29], v1 offset1:1
	ds_load_2addr_b32 v[18:19], v1 offset0:10 offset1:11
	ds_load_b32 v44, v1 offset:48
	ds_load_2addr_b32 v[20:21], v1 offset0:8 offset1:9
	s_wait_loadcnt_dscnt 0x0
	s_barrier_signal -1
	s_barrier_wait -1
	global_inv scope:SCOPE_SE
	s_wait_alu 0xfffe
	s_cbranch_vccnz .LBB1091_6
; %bb.5:
	v_add_nc_u32_e32 v1, s5, v27
	v_add_nc_u32_e32 v2, s7, v27
	v_add_nc_u32_e32 v4, s5, v28
	v_add_nc_u32_e32 v5, s5, v26
	v_add_nc_u32_e32 v7, s7, v28
	v_mul_lo_u32 v1, v1, s4
	v_mul_lo_u32 v2, v2, s6
	v_add_nc_u32_e32 v8, s7, v26
	v_add_nc_u32_e32 v3, s5, v29
	;; [unrolled: 1-line block ×3, first 2 shown]
	v_mul_lo_u32 v5, v5, s4
	v_mul_lo_u32 v4, v4, s4
	v_add_nc_u32_e32 v9, s5, v24
	v_mul_lo_u32 v3, v3, s4
	v_sub_nc_u32_e32 v1, v1, v2
	v_mul_lo_u32 v2, v7, s6
	v_mul_lo_u32 v7, v8, s6
	;; [unrolled: 1-line block ×3, first 2 shown]
	v_add_nc_u32_e32 v8, s5, v25
	v_add_nc_u32_e32 v10, s7, v24
	v_mul_lo_u32 v9, v9, s4
	v_cmp_lt_u32_e32 vcc_lo, s3, v1
	v_add_nc_u32_e32 v14, s7, v19
	v_sub_nc_u32_e32 v2, v4, v2
	v_sub_nc_u32_e32 v4, v5, v7
	v_add_nc_u32_e32 v5, s7, v25
	v_sub_nc_u32_e32 v3, v3, v6
	v_add_nc_u32_e32 v6, s5, v23
	v_add_nc_u32_e32 v7, s7, v23
	v_mul_lo_u32 v8, v8, s4
	v_mul_lo_u32 v5, v5, s6
	;; [unrolled: 1-line block ×5, first 2 shown]
	s_wait_alu 0xfffd
	v_cndmask_b32_e64 v1, 0, 1, vcc_lo
	v_cmp_lt_u32_e32 vcc_lo, s3, v3
	v_mul_lo_u32 v14, v14, s6
	v_add_nc_u32_e32 v15, s7, v21
	v_sub_nc_u32_e32 v5, v8, v5
	v_add_nc_u32_e32 v8, s7, v22
	s_wait_alu 0xfffd
	v_cndmask_b32_e64 v3, 0, 1, vcc_lo
	v_sub_nc_u32_e32 v6, v6, v7
	v_mul_lo_u32 v15, v15, s6
	v_cmp_lt_u32_e32 vcc_lo, s3, v5
	v_mul_lo_u32 v7, v8, s6
	v_sub_nc_u32_e32 v8, v9, v10
	v_add_nc_u32_e32 v9, s5, v19
	v_add_nc_u32_e32 v10, s5, v21
	s_wait_alu 0xfffd
	v_cndmask_b32_e64 v5, 0, 1, vcc_lo
	v_cmp_lt_u32_e32 vcc_lo, s3, v6
	v_add_nc_u32_e32 v11, s5, v22
	v_mul_lo_u32 v9, v9, s4
	v_mul_lo_u32 v10, v10, s4
	v_add_nc_u32_e32 v12, s5, v20
	s_wait_alu 0xfffd
	v_cndmask_b32_e64 v6, 0, 1, vcc_lo
	v_mul_lo_u32 v11, v11, s4
	v_add_nc_u32_e32 v16, s7, v20
	v_lshlrev_b16 v3, 8, v3
	v_add_nc_u32_e32 v13, s5, v18
	v_sub_nc_u32_e32 v9, v9, v14
	v_sub_nc_u32_e32 v10, v10, v15
	v_add_nc_u32_e32 v17, s7, v18
	v_mul_lo_u32 v12, v12, s4
	v_mul_lo_u32 v16, v16, s6
	v_cmp_lt_u32_e32 vcc_lo, s3, v9
	v_sub_nc_u32_e32 v7, v11, v7
	v_lshrrev_b32_e32 v3, 8, v3
	v_mul_lo_u32 v11, v13, s4
	v_mul_lo_u32 v13, v17, s6
	s_wait_alu 0xfffd
	v_cndmask_b32_e64 v9, 0, 1, vcc_lo
	v_cmp_lt_u32_e32 vcc_lo, s3, v2
	v_sub_nc_u32_e32 v12, v12, v16
	v_lshlrev_b16 v3, 8, v3
	v_lshlrev_b16 v1, 8, v1
	;; [unrolled: 1-line block ×3, first 2 shown]
	s_wait_alu 0xfffd
	v_cndmask_b32_e64 v2, 0, 1, vcc_lo
	v_cmp_lt_u32_e32 vcc_lo, s3, v10
	v_sub_nc_u32_e32 v11, v11, v13
	v_add_nc_u32_e32 v14, s5, v44
	v_add_nc_u32_e32 v15, s7, v44
	v_or_b32_e32 v2, v2, v3
	s_wait_alu 0xfffd
	v_cndmask_b32_e64 v10, 0, 1, vcc_lo
	v_cmp_lt_u32_e32 vcc_lo, s3, v4
	v_lshlrev_b16 v3, 8, v9
	v_lshrrev_b32_e32 v5, 8, v5
	v_lshrrev_b32_e32 v1, 8, v1
	v_lshlrev_b16 v9, 8, v10
	s_wait_alu 0xfffd
	v_cndmask_b32_e64 v4, 0, 1, vcc_lo
	v_cmp_lt_u32_e32 vcc_lo, s3, v8
	v_lshrrev_b32_e32 v3, 8, v3
	v_mul_lo_u32 v14, v14, s4
	v_lshrrev_b32_e32 v9, 8, v9
	v_mul_lo_u32 v15, v15, s6
	s_wait_alu 0xfffd
	v_cndmask_b32_e64 v8, 0, 1, vcc_lo
	v_cmp_lt_u32_e32 vcc_lo, s3, v7
	v_lshlrev_b16 v6, 8, v6
	v_lshlrev_b16 v1, 8, v1
	;; [unrolled: 1-line block ×4, first 2 shown]
	s_wait_alu 0xfffd
	v_cndmask_b32_e64 v7, 0, 1, vcc_lo
	v_cmp_lt_u32_e32 vcc_lo, s3, v12
	v_lshlrev_b16 v3, 8, v3
	v_sub_nc_u32_e32 v10, v14, v15
	v_or_b32_e32 v1, v4, v1
	v_or_b32_e32 v4, v8, v5
	s_wait_alu 0xfffd
	v_cndmask_b32_e64 v12, 0, 1, vcc_lo
	v_cmp_lt_u32_e32 vcc_lo, s3, v11
	v_or_b32_e32 v5, v7, v6
	v_and_b32_e32 v2, 0xffff, v2
	v_lshlrev_b32_e32 v1, 16, v1
	v_or_b32_e32 v6, v12, v9
	s_wait_alu 0xfffd
	v_cndmask_b32_e64 v11, 0, 1, vcc_lo
	v_and_b32_e32 v4, 0xffff, v4
	v_lshlrev_b32_e32 v5, 16, v5
	v_cmp_lt_u32_e32 vcc_lo, s3, v10
	v_and_b32_e32 v6, 0xffff, v6
	v_or_b32_e32 v3, v11, v3
	v_or_b32_e32 v51, v2, v1
	;; [unrolled: 1-line block ×3, first 2 shown]
	s_wait_alu 0xfffd
	v_cndmask_b32_e64 v46, 0, 1, vcc_lo
	v_lshlrev_b32_e32 v3, 16, v3
	s_delay_alu instid0(VALU_DEP_1)
	v_or_b32_e32 v47, v6, v3
	s_clause 0x1
	s_load_b64 s[10:11], s[0:1], 0x28
	s_load_b64 s[20:21], s[0:1], 0x68
	s_cbranch_execz .LBB1091_7
	s_branch .LBB1091_34
.LBB1091_6:
                                        ; implicit-def: $vgpr46
                                        ; implicit-def: $vgpr47
                                        ; implicit-def: $vgpr49
                                        ; implicit-def: $vgpr51
	s_clause 0x1
	s_load_b64 s[10:11], s[0:1], 0x28
	s_load_b64 s[20:21], s[0:1], 0x68
.LBB1091_7:
	v_dual_mov_b32 v2, 0 :: v_dual_mov_b32 v1, 0
	s_mov_b32 s0, exec_lo
	v_cmpx_gt_u32_e64 s23, v45
	s_cbranch_execz .LBB1091_9
; %bb.8:
	v_add_nc_u32_e32 v1, s5, v28
	v_add_nc_u32_e32 v3, s7, v28
	s_delay_alu instid0(VALU_DEP_2) | instskip(NEXT) | instid1(VALU_DEP_2)
	v_mul_lo_u32 v1, v1, s4
	v_mul_lo_u32 v3, v3, s6
	s_delay_alu instid0(VALU_DEP_1) | instskip(NEXT) | instid1(VALU_DEP_1)
	v_sub_nc_u32_e32 v1, v1, v3
	v_cmp_lt_u32_e32 vcc_lo, s3, v1
	s_wait_alu 0xfffd
	v_cndmask_b32_e64 v1, 0, 1, vcc_lo
.LBB1091_9:
	s_or_b32 exec_lo, exec_lo, s0
	v_add_nc_u32_e32 v3, 1, v45
	s_mov_b32 s0, exec_lo
	s_delay_alu instid0(VALU_DEP_1)
	v_cmpx_gt_u32_e64 s23, v3
	s_cbranch_execz .LBB1091_11
; %bb.10:
	v_add_nc_u32_e32 v2, s5, v29
	v_add_nc_u32_e32 v3, s7, v29
	s_delay_alu instid0(VALU_DEP_2) | instskip(NEXT) | instid1(VALU_DEP_2)
	v_mul_lo_u32 v2, v2, s4
	v_mul_lo_u32 v3, v3, s6
	s_delay_alu instid0(VALU_DEP_1) | instskip(NEXT) | instid1(VALU_DEP_1)
	v_sub_nc_u32_e32 v2, v2, v3
	v_cmp_lt_u32_e32 vcc_lo, s3, v2
	s_wait_alu 0xfffd
	v_cndmask_b32_e64 v2, 0, 1, vcc_lo
.LBB1091_11:
	s_or_b32 exec_lo, exec_lo, s0
	v_dual_mov_b32 v4, 0 :: v_dual_add_nc_u32 v3, 2, v45
	s_delay_alu instid0(VALU_DEP_1)
	v_cmp_gt_u32_e32 vcc_lo, s23, v3
	v_mov_b32_e32 v3, 0
	s_and_saveexec_b32 s0, vcc_lo
	s_cbranch_execz .LBB1091_13
; %bb.12:
	v_add_nc_u32_e32 v3, s5, v26
	v_add_nc_u32_e32 v5, s7, v26
	s_delay_alu instid0(VALU_DEP_2) | instskip(NEXT) | instid1(VALU_DEP_2)
	v_mul_lo_u32 v3, v3, s4
	v_mul_lo_u32 v5, v5, s6
	s_delay_alu instid0(VALU_DEP_1) | instskip(NEXT) | instid1(VALU_DEP_1)
	v_sub_nc_u32_e32 v3, v3, v5
	v_cmp_lt_u32_e32 vcc_lo, s3, v3
	s_wait_alu 0xfffd
	v_cndmask_b32_e64 v3, 0, 1, vcc_lo
.LBB1091_13:
	s_or_b32 exec_lo, exec_lo, s0
	v_add_nc_u32_e32 v5, 3, v45
	s_mov_b32 s0, exec_lo
	s_delay_alu instid0(VALU_DEP_1)
	v_cmpx_gt_u32_e64 s23, v5
	s_cbranch_execz .LBB1091_15
; %bb.14:
	v_add_nc_u32_e32 v4, s5, v27
	v_add_nc_u32_e32 v5, s7, v27
	s_delay_alu instid0(VALU_DEP_2) | instskip(NEXT) | instid1(VALU_DEP_2)
	v_mul_lo_u32 v4, v4, s4
	v_mul_lo_u32 v5, v5, s6
	s_delay_alu instid0(VALU_DEP_1) | instskip(NEXT) | instid1(VALU_DEP_1)
	v_sub_nc_u32_e32 v4, v4, v5
	v_cmp_lt_u32_e32 vcc_lo, s3, v4
	s_wait_alu 0xfffd
	v_cndmask_b32_e64 v4, 0, 1, vcc_lo
.LBB1091_15:
	s_or_b32 exec_lo, exec_lo, s0
	v_dual_mov_b32 v6, 0 :: v_dual_add_nc_u32 v5, 4, v45
	s_delay_alu instid0(VALU_DEP_1)
	v_cmp_gt_u32_e32 vcc_lo, s23, v5
	v_mov_b32_e32 v5, 0
	s_and_saveexec_b32 s0, vcc_lo
	;; [unrolled: 37-line block ×5, first 2 shown]
	s_cbranch_execz .LBB1091_29
; %bb.28:
	v_add_nc_u32_e32 v11, s5, v18
	v_add_nc_u32_e32 v13, s7, v18
	s_delay_alu instid0(VALU_DEP_2) | instskip(NEXT) | instid1(VALU_DEP_2)
	v_mul_lo_u32 v11, v11, s4
	v_mul_lo_u32 v13, v13, s6
	s_delay_alu instid0(VALU_DEP_1) | instskip(NEXT) | instid1(VALU_DEP_1)
	v_sub_nc_u32_e32 v11, v11, v13
	v_cmp_lt_u32_e32 vcc_lo, s3, v11
	s_wait_alu 0xfffd
	v_cndmask_b32_e64 v11, 0, 1, vcc_lo
.LBB1091_29:
	s_or_b32 exec_lo, exec_lo, s0
	v_add_nc_u32_e32 v13, 11, v45
	s_mov_b32 s0, exec_lo
	s_delay_alu instid0(VALU_DEP_1)
	v_cmpx_gt_u32_e64 s23, v13
	s_cbranch_execz .LBB1091_31
; %bb.30:
	v_add_nc_u32_e32 v12, s5, v19
	v_add_nc_u32_e32 v13, s7, v19
	s_delay_alu instid0(VALU_DEP_2) | instskip(NEXT) | instid1(VALU_DEP_2)
	v_mul_lo_u32 v12, v12, s4
	v_mul_lo_u32 v13, v13, s6
	s_delay_alu instid0(VALU_DEP_1) | instskip(NEXT) | instid1(VALU_DEP_1)
	v_sub_nc_u32_e32 v12, v12, v13
	v_cmp_lt_u32_e32 vcc_lo, s3, v12
	s_wait_alu 0xfffd
	v_cndmask_b32_e64 v12, 0, 1, vcc_lo
.LBB1091_31:
	s_or_b32 exec_lo, exec_lo, s0
	v_dual_mov_b32 v46, 0 :: v_dual_add_nc_u32 v13, 12, v45
	s_mov_b32 s0, exec_lo
	s_delay_alu instid0(VALU_DEP_1)
	v_cmpx_gt_u32_e64 s23, v13
	s_cbranch_execz .LBB1091_33
; %bb.32:
	v_add_nc_u32_e32 v13, s5, v44
	v_add_nc_u32_e32 v14, s7, v44
	s_delay_alu instid0(VALU_DEP_2) | instskip(NEXT) | instid1(VALU_DEP_2)
	v_mul_lo_u32 v13, v13, s4
	v_mul_lo_u32 v14, v14, s6
	s_delay_alu instid0(VALU_DEP_1) | instskip(NEXT) | instid1(VALU_DEP_1)
	v_sub_nc_u32_e32 v13, v13, v14
	v_cmp_lt_u32_e32 vcc_lo, s3, v13
	s_wait_alu 0xfffd
	v_cndmask_b32_e64 v46, 0, 1, vcc_lo
.LBB1091_33:
	s_or_b32 exec_lo, exec_lo, s0
	v_lshlrev_b16 v2, 8, v2
	v_lshlrev_b16 v4, 8, v4
	;; [unrolled: 1-line block ×5, first 2 shown]
	v_or_b32_e32 v1, v1, v2
	v_lshlrev_b16 v2, 8, v12
	v_or_b32_e32 v3, v3, v4
	v_or_b32_e32 v4, v5, v6
	;; [unrolled: 1-line block ×5, first 2 shown]
	v_and_b32_e32 v1, 0xffff, v1
	v_lshlrev_b32_e32 v3, 16, v3
	v_and_b32_e32 v4, 0xffff, v4
	v_lshlrev_b32_e32 v5, 16, v5
	v_and_b32_e32 v6, 0xffff, v6
	v_lshlrev_b32_e32 v2, 16, v2
	v_or_b32_e32 v51, v1, v3
	s_delay_alu instid0(VALU_DEP_4) | instskip(NEXT) | instid1(VALU_DEP_3)
	v_or_b32_e32 v49, v4, v5
	v_or_b32_e32 v47, v6, v2
.LBB1091_34:
	s_delay_alu instid0(VALU_DEP_3)
	v_and_b32_e32 v53, 0xff, v51
	v_bfe_u32 v54, v51, 8, 8
	v_bfe_u32 v55, v51, 16, 8
	v_lshrrev_b32_e32 v52, 24, v51
	v_and_b32_e32 v56, 0xff, v49
	v_bfe_u32 v57, v49, 8, 8
	v_bfe_u32 v58, v49, 16, 8
	v_add3_u32 v1, v54, v53, v55
	v_lshrrev_b32_e32 v50, 24, v49
	v_and_b32_e32 v59, 0xff, v47
	v_bfe_u32 v60, v47, 8, 8
	v_mbcnt_lo_u32_b32 v62, -1, 0
	v_add3_u32 v1, v1, v52, v56
	v_bfe_u32 v61, v47, 16, 8
	v_lshrrev_b32_e32 v48, 24, v47
	v_and_b32_e32 v2, 0xff, v46
	v_and_b32_e32 v3, 15, v62
	v_add3_u32 v1, v1, v57, v58
	v_or_b32_e32 v4, 31, v0
	v_and_b32_e32 v5, 16, v62
	v_lshrrev_b32_e32 v63, 5, v0
	v_cmp_eq_u32_e64 s5, 0, v3
	v_add3_u32 v1, v1, v50, v59
	v_cmp_lt_u32_e64 s4, 1, v3
	v_cmp_lt_u32_e64 s3, 3, v3
	;; [unrolled: 1-line block ×3, first 2 shown]
	v_cmp_eq_u32_e64 s1, 0, v5
	v_add3_u32 v1, v1, v60, v61
	v_cmp_eq_u32_e64 s0, v0, v4
	s_cmp_lg_u32 ttmp9, 0
	s_mov_b32 s6, -1
	v_add3_u32 v64, v1, v48, v2
	s_cbranch_scc0 .LBB1091_55
; %bb.35:
	s_delay_alu instid0(VALU_DEP_1) | instskip(SKIP_1) | instid1(VALU_DEP_1)
	v_mov_b32_dpp v1, v64 row_shr:1 row_mask:0xf bank_mask:0xf
	s_wait_alu 0xf1ff
	v_cndmask_b32_e64 v1, v1, 0, s5
	s_delay_alu instid0(VALU_DEP_1) | instskip(NEXT) | instid1(VALU_DEP_1)
	v_add_nc_u32_e32 v1, v1, v64
	v_mov_b32_dpp v2, v1 row_shr:2 row_mask:0xf bank_mask:0xf
	s_delay_alu instid0(VALU_DEP_1) | instskip(NEXT) | instid1(VALU_DEP_1)
	v_cndmask_b32_e64 v2, 0, v2, s4
	v_add_nc_u32_e32 v1, v1, v2
	s_delay_alu instid0(VALU_DEP_1) | instskip(NEXT) | instid1(VALU_DEP_1)
	v_mov_b32_dpp v2, v1 row_shr:4 row_mask:0xf bank_mask:0xf
	v_cndmask_b32_e64 v2, 0, v2, s3
	s_delay_alu instid0(VALU_DEP_1) | instskip(NEXT) | instid1(VALU_DEP_1)
	v_add_nc_u32_e32 v1, v1, v2
	v_mov_b32_dpp v2, v1 row_shr:8 row_mask:0xf bank_mask:0xf
	s_delay_alu instid0(VALU_DEP_1) | instskip(NEXT) | instid1(VALU_DEP_1)
	v_cndmask_b32_e64 v2, 0, v2, s2
	v_add_nc_u32_e32 v1, v1, v2
	ds_swizzle_b32 v2, v1 offset:swizzle(BROADCAST,32,15)
	s_wait_dscnt 0x0
	v_cndmask_b32_e64 v2, v2, 0, s1
	s_delay_alu instid0(VALU_DEP_1)
	v_add_nc_u32_e32 v1, v1, v2
	s_and_saveexec_b32 s6, s0
; %bb.36:
	v_lshlrev_b32_e32 v2, 2, v63
	ds_store_b32 v2, v1
; %bb.37:
	s_wait_alu 0xfffe
	s_or_b32 exec_lo, exec_lo, s6
	s_delay_alu instid0(SALU_CYCLE_1)
	s_mov_b32 s6, exec_lo
	s_wait_loadcnt_dscnt 0x0
	s_barrier_signal -1
	s_barrier_wait -1
	global_inv scope:SCOPE_SE
	v_cmpx_gt_u32_e32 8, v0
	s_cbranch_execz .LBB1091_39
; %bb.38:
	ds_load_b32 v2, v42
	s_wait_dscnt 0x0
	v_mov_b32_dpp v4, v2 row_shr:1 row_mask:0xf bank_mask:0xf
	v_and_b32_e32 v3, 7, v62
	s_delay_alu instid0(VALU_DEP_1) | instskip(SKIP_1) | instid1(VALU_DEP_3)
	v_cmp_ne_u32_e32 vcc_lo, 0, v3
	s_wait_alu 0xfffd
	v_cndmask_b32_e32 v4, 0, v4, vcc_lo
	v_cmp_lt_u32_e32 vcc_lo, 1, v3
	s_delay_alu instid0(VALU_DEP_2) | instskip(NEXT) | instid1(VALU_DEP_1)
	v_add_nc_u32_e32 v2, v4, v2
	v_mov_b32_dpp v4, v2 row_shr:2 row_mask:0xf bank_mask:0xf
	s_wait_alu 0xfffd
	s_delay_alu instid0(VALU_DEP_1) | instskip(SKIP_1) | instid1(VALU_DEP_2)
	v_cndmask_b32_e32 v4, 0, v4, vcc_lo
	v_cmp_lt_u32_e32 vcc_lo, 3, v3
	v_add_nc_u32_e32 v2, v2, v4
	s_delay_alu instid0(VALU_DEP_1) | instskip(SKIP_1) | instid1(VALU_DEP_1)
	v_mov_b32_dpp v4, v2 row_shr:4 row_mask:0xf bank_mask:0xf
	s_wait_alu 0xfffd
	v_cndmask_b32_e32 v3, 0, v4, vcc_lo
	s_delay_alu instid0(VALU_DEP_1)
	v_add_nc_u32_e32 v2, v2, v3
	ds_store_b32 v42, v2
.LBB1091_39:
	s_wait_alu 0xfffe
	s_or_b32 exec_lo, exec_lo, s6
	s_delay_alu instid0(SALU_CYCLE_1)
	s_mov_b32 s7, exec_lo
	v_cmp_gt_u32_e32 vcc_lo, 32, v0
	s_wait_loadcnt_dscnt 0x0
	s_barrier_signal -1
	s_barrier_wait -1
	global_inv scope:SCOPE_SE
                                        ; implicit-def: $vgpr9
	v_cmpx_lt_u32_e32 31, v0
	s_cbranch_execz .LBB1091_41
; %bb.40:
	v_lshl_add_u32 v2, v63, 2, -4
	ds_load_b32 v9, v2
	s_wait_dscnt 0x0
	v_add_nc_u32_e32 v1, v9, v1
.LBB1091_41:
	s_wait_alu 0xfffe
	s_or_b32 exec_lo, exec_lo, s7
	v_sub_co_u32 v2, s6, v62, 1
	s_delay_alu instid0(VALU_DEP_1) | instskip(SKIP_1) | instid1(VALU_DEP_1)
	v_cmp_gt_i32_e64 s7, 0, v2
	s_wait_alu 0xf1ff
	v_cndmask_b32_e64 v2, v2, v62, s7
	s_delay_alu instid0(VALU_DEP_1)
	v_lshlrev_b32_e32 v2, 2, v2
	ds_bpermute_b32 v10, v2, v1
	s_and_saveexec_b32 s7, vcc_lo
	s_cbranch_execz .LBB1091_60
; %bb.42:
	v_mov_b32_e32 v5, 0
	ds_load_b32 v1, v5 offset:28
	s_and_saveexec_b32 s17, s6
	s_cbranch_execz .LBB1091_44
; %bb.43:
	s_add_co_i32 s24, ttmp9, 32
	s_mov_b32 s25, 0
	v_mov_b32_e32 v2, 1
	s_lshl_b64 s[24:25], s[24:25], 3
	s_wait_kmcnt 0x0
	s_add_nc_u64 s[24:25], s[20:21], s[24:25]
	s_wait_dscnt 0x0
	global_store_b64 v5, v[1:2], s[24:25] scope:SCOPE_DEV
.LBB1091_44:
	s_or_b32 exec_lo, exec_lo, s17
	v_xad_u32 v3, v62, -1, ttmp9
	s_mov_b32 s24, 0
	s_mov_b32 s17, exec_lo
	s_delay_alu instid0(VALU_DEP_1) | instskip(NEXT) | instid1(VALU_DEP_1)
	v_add_nc_u32_e32 v4, 32, v3
	v_lshlrev_b64_e32 v[4:5], 3, v[4:5]
	s_wait_kmcnt 0x0
	s_delay_alu instid0(VALU_DEP_1) | instskip(SKIP_1) | instid1(VALU_DEP_2)
	v_add_co_u32 v7, vcc_lo, s20, v4
	s_wait_alu 0xfffd
	v_add_co_ci_u32_e64 v8, null, s21, v5, vcc_lo
	global_load_b64 v[5:6], v[7:8], off scope:SCOPE_DEV
	s_wait_loadcnt 0x0
	v_and_b32_e32 v2, 0xff, v6
	s_delay_alu instid0(VALU_DEP_1)
	v_cmpx_eq_u16_e32 0, v2
	s_cbranch_execz .LBB1091_47
.LBB1091_45:                            ; =>This Inner Loop Header: Depth=1
	global_load_b64 v[5:6], v[7:8], off scope:SCOPE_DEV
	s_wait_loadcnt 0x0
	v_and_b32_e32 v2, 0xff, v6
	s_delay_alu instid0(VALU_DEP_1) | instskip(SKIP_1) | instid1(SALU_CYCLE_1)
	v_cmp_ne_u16_e32 vcc_lo, 0, v2
	s_or_b32 s24, vcc_lo, s24
	s_and_not1_b32 exec_lo, exec_lo, s24
	s_cbranch_execnz .LBB1091_45
; %bb.46:
	s_or_b32 exec_lo, exec_lo, s24
.LBB1091_47:
	s_delay_alu instid0(SALU_CYCLE_1)
	s_or_b32 exec_lo, exec_lo, s17
	v_cmp_ne_u32_e32 vcc_lo, 31, v62
	v_lshlrev_b32_e64 v12, v62, -1
	v_add_nc_u32_e32 v14, 2, v62
	v_add_nc_u32_e32 v16, 4, v62
	;; [unrolled: 1-line block ×3, first 2 shown]
	s_wait_alu 0xfffd
	v_add_co_ci_u32_e64 v2, null, 0, v62, vcc_lo
	v_lshl_or_b32 v66, v62, 2, 64
	v_add_nc_u32_e32 v67, 16, v62
	s_delay_alu instid0(VALU_DEP_3)
	v_lshlrev_b32_e32 v11, 2, v2
	v_and_b32_e32 v2, 0xff, v6
	ds_bpermute_b32 v4, v11, v5
	v_cmp_eq_u16_e32 vcc_lo, 2, v2
	s_wait_alu 0xfffd
	v_and_or_b32 v2, vcc_lo, v12, 0x80000000
	v_cmp_gt_u32_e32 vcc_lo, 30, v62
	s_delay_alu instid0(VALU_DEP_2) | instskip(SKIP_2) | instid1(VALU_DEP_2)
	v_ctz_i32_b32_e32 v2, v2
	s_wait_alu 0xfffd
	v_cndmask_b32_e64 v7, 0, 2, vcc_lo
	v_cmp_lt_u32_e32 vcc_lo, v62, v2
	s_delay_alu instid0(VALU_DEP_2) | instskip(SKIP_4) | instid1(VALU_DEP_2)
	v_add_lshl_u32 v13, v7, v62, 2
	s_wait_dscnt 0x0
	s_wait_alu 0xfffd
	v_cndmask_b32_e32 v4, 0, v4, vcc_lo
	v_cmp_gt_u32_e32 vcc_lo, 28, v62
	v_add_nc_u32_e32 v4, v4, v5
	s_wait_alu 0xfffd
	v_cndmask_b32_e64 v7, 0, 4, vcc_lo
	v_cmp_le_u32_e32 vcc_lo, v14, v2
	ds_bpermute_b32 v5, v13, v4
	v_add_lshl_u32 v15, v7, v62, 2
	s_wait_dscnt 0x0
	s_wait_alu 0xfffd
	v_cndmask_b32_e32 v5, 0, v5, vcc_lo
	v_cmp_gt_u32_e32 vcc_lo, 24, v62
	s_delay_alu instid0(VALU_DEP_2)
	v_add_nc_u32_e32 v4, v4, v5
	s_wait_alu 0xfffd
	v_cndmask_b32_e64 v7, 0, 8, vcc_lo
	v_cmp_le_u32_e32 vcc_lo, v16, v2
	ds_bpermute_b32 v5, v15, v4
	v_add_lshl_u32 v17, v7, v62, 2
	s_wait_dscnt 0x0
	s_wait_alu 0xfffd
	v_cndmask_b32_e32 v5, 0, v5, vcc_lo
	v_cmp_le_u32_e32 vcc_lo, v65, v2
	s_delay_alu instid0(VALU_DEP_2)
	v_add_nc_u32_e32 v4, v4, v5
	ds_bpermute_b32 v5, v17, v4
	s_wait_dscnt 0x0
	s_wait_alu 0xfffd
	v_cndmask_b32_e32 v5, 0, v5, vcc_lo
	v_cmp_le_u32_e32 vcc_lo, v67, v2
	s_delay_alu instid0(VALU_DEP_2) | instskip(SKIP_4) | instid1(VALU_DEP_1)
	v_add_nc_u32_e32 v4, v4, v5
	ds_bpermute_b32 v5, v66, v4
	s_wait_dscnt 0x0
	s_wait_alu 0xfffd
	v_cndmask_b32_e32 v2, 0, v5, vcc_lo
	v_dual_mov_b32 v4, 0 :: v_dual_add_nc_u32 v5, v4, v2
	s_branch .LBB1091_51
.LBB1091_48:                            ;   in Loop: Header=BB1091_51 Depth=1
	s_or_b32 exec_lo, exec_lo, s24
.LBB1091_49:                            ;   in Loop: Header=BB1091_51 Depth=1
	s_delay_alu instid0(SALU_CYCLE_1) | instskip(SKIP_4) | instid1(VALU_DEP_2)
	s_or_b32 exec_lo, exec_lo, s17
	ds_bpermute_b32 v8, v11, v5
	v_and_b32_e32 v7, 0xff, v6
	v_subrev_nc_u32_e32 v3, 32, v3
	s_mov_b32 s17, 0
	v_cmp_eq_u16_e32 vcc_lo, 2, v7
	s_wait_alu 0xfffd
	v_and_or_b32 v7, vcc_lo, v12, 0x80000000
	s_delay_alu instid0(VALU_DEP_1) | instskip(NEXT) | instid1(VALU_DEP_1)
	v_ctz_i32_b32_e32 v7, v7
	v_cmp_lt_u32_e32 vcc_lo, v62, v7
	s_wait_dscnt 0x0
	s_wait_alu 0xfffd
	v_cndmask_b32_e32 v8, 0, v8, vcc_lo
	v_cmp_le_u32_e32 vcc_lo, v14, v7
	s_delay_alu instid0(VALU_DEP_2)
	v_add_nc_u32_e32 v5, v8, v5
	ds_bpermute_b32 v8, v13, v5
	s_wait_dscnt 0x0
	s_wait_alu 0xfffd
	v_cndmask_b32_e32 v8, 0, v8, vcc_lo
	v_cmp_le_u32_e32 vcc_lo, v16, v7
	s_delay_alu instid0(VALU_DEP_2)
	v_add_nc_u32_e32 v5, v5, v8
	ds_bpermute_b32 v8, v15, v5
	;; [unrolled: 7-line block ×3, first 2 shown]
	s_wait_dscnt 0x0
	s_wait_alu 0xfffd
	v_cndmask_b32_e32 v8, 0, v8, vcc_lo
	v_cmp_le_u32_e32 vcc_lo, v67, v7
	s_delay_alu instid0(VALU_DEP_2) | instskip(SKIP_4) | instid1(VALU_DEP_1)
	v_add_nc_u32_e32 v5, v5, v8
	ds_bpermute_b32 v8, v66, v5
	s_wait_dscnt 0x0
	s_wait_alu 0xfffd
	v_cndmask_b32_e32 v7, 0, v8, vcc_lo
	v_add3_u32 v5, v7, v2, v5
.LBB1091_50:                            ;   in Loop: Header=BB1091_51 Depth=1
	s_and_b32 vcc_lo, exec_lo, s17
	s_wait_alu 0xfffe
	s_cbranch_vccnz .LBB1091_56
.LBB1091_51:                            ; =>This Loop Header: Depth=1
                                        ;     Child Loop BB1091_54 Depth 2
	v_and_b32_e32 v2, 0xff, v6
	s_mov_b32 s17, -1
                                        ; implicit-def: $vgpr6
	s_delay_alu instid0(VALU_DEP_1)
	v_cmp_ne_u16_e32 vcc_lo, 2, v2
	v_mov_b32_e32 v2, v5
                                        ; implicit-def: $vgpr5
	s_cmp_lg_u32 vcc_lo, exec_lo
	s_cbranch_scc1 .LBB1091_50
; %bb.52:                               ;   in Loop: Header=BB1091_51 Depth=1
	v_lshlrev_b64_e32 v[5:6], 3, v[3:4]
	s_mov_b32 s17, exec_lo
	s_delay_alu instid0(VALU_DEP_1) | instskip(SKIP_1) | instid1(VALU_DEP_2)
	v_add_co_u32 v7, vcc_lo, s20, v5
	s_wait_alu 0xfffd
	v_add_co_ci_u32_e64 v8, null, s21, v6, vcc_lo
	global_load_b64 v[5:6], v[7:8], off scope:SCOPE_DEV
	s_wait_loadcnt 0x0
	v_and_b32_e32 v68, 0xff, v6
	s_delay_alu instid0(VALU_DEP_1)
	v_cmpx_eq_u16_e32 0, v68
	s_cbranch_execz .LBB1091_49
; %bb.53:                               ;   in Loop: Header=BB1091_51 Depth=1
	s_mov_b32 s24, 0
.LBB1091_54:                            ;   Parent Loop BB1091_51 Depth=1
                                        ; =>  This Inner Loop Header: Depth=2
	global_load_b64 v[5:6], v[7:8], off scope:SCOPE_DEV
	s_wait_loadcnt 0x0
	v_and_b32_e32 v68, 0xff, v6
	s_delay_alu instid0(VALU_DEP_1) | instskip(SKIP_1) | instid1(SALU_CYCLE_1)
	v_cmp_ne_u16_e32 vcc_lo, 0, v68
	s_or_b32 s24, vcc_lo, s24
	s_and_not1_b32 exec_lo, exec_lo, s24
	s_cbranch_execnz .LBB1091_54
	s_branch .LBB1091_48
.LBB1091_55:
                                        ; implicit-def: $vgpr17
                                        ; implicit-def: $vgpr1_vgpr2_vgpr3_vgpr4_vgpr5_vgpr6_vgpr7_vgpr8_vgpr9_vgpr10_vgpr11_vgpr12_vgpr13_vgpr14_vgpr15_vgpr16
	s_wait_alu 0xfffe
	s_and_b32 vcc_lo, exec_lo, s6
	s_wait_alu 0xfffe
	s_cbranch_vccnz .LBB1091_61
	s_branch .LBB1091_70
.LBB1091_56:
	s_and_saveexec_b32 s17, s6
	s_cbranch_execz .LBB1091_58
; %bb.57:
	s_add_co_i32 s24, ttmp9, 32
	s_mov_b32 s25, 0
	v_dual_mov_b32 v4, 2 :: v_dual_add_nc_u32 v3, v2, v1
	v_mov_b32_e32 v5, 0
	s_lshl_b64 s[24:25], s[24:25], 3
	s_delay_alu instid0(SALU_CYCLE_1)
	s_add_nc_u64 s[24:25], s[20:21], s[24:25]
	global_store_b64 v5, v[3:4], s[24:25] scope:SCOPE_DEV
	ds_store_b64 v5, v[1:2] offset:13312
.LBB1091_58:
	s_or_b32 exec_lo, exec_lo, s17
	v_cmp_eq_u32_e32 vcc_lo, 0, v0
	s_and_b32 exec_lo, exec_lo, vcc_lo
; %bb.59:
	v_mov_b32_e32 v1, 0
	ds_store_b32 v1, v2 offset:28
.LBB1091_60:
	s_wait_alu 0xfffe
	s_or_b32 exec_lo, exec_lo, s7
	s_wait_dscnt 0x0
	v_cndmask_b32_e64 v2, v10, v9, s6
	v_cmp_ne_u32_e32 vcc_lo, 0, v0
	v_mov_b32_e32 v11, 0
	s_wait_loadcnt 0x0
	s_wait_storecnt 0x0
	s_barrier_signal -1
	s_barrier_wait -1
	global_inv scope:SCOPE_SE
	s_wait_alu 0xfffd
	v_cndmask_b32_e32 v2, 0, v2, vcc_lo
	ds_load_b32 v1, v11 offset:28
	s_wait_loadcnt_dscnt 0x0
	s_barrier_signal -1
	s_barrier_wait -1
	global_inv scope:SCOPE_SE
	ds_load_b64 v[16:17], v11 offset:13312
	v_add_nc_u32_e32 v1, v1, v2
	s_delay_alu instid0(VALU_DEP_1) | instskip(NEXT) | instid1(VALU_DEP_1)
	v_add_nc_u32_e32 v2, v1, v53
	v_add_nc_u32_e32 v3, v2, v54
	s_delay_alu instid0(VALU_DEP_1) | instskip(NEXT) | instid1(VALU_DEP_1)
	v_add_nc_u32_e32 v4, v3, v55
	;; [unrolled: 3-line block ×6, first 2 shown]
	v_add_nc_u32_e32 v13, v12, v48
	s_branch .LBB1091_70
.LBB1091_61:
	v_mov_b32_dpp v1, v64 row_shr:1 row_mask:0xf bank_mask:0xf
	s_delay_alu instid0(VALU_DEP_1) | instskip(NEXT) | instid1(VALU_DEP_1)
	v_cndmask_b32_e64 v1, v1, 0, s5
	v_add_nc_u32_e32 v1, v1, v64
	s_delay_alu instid0(VALU_DEP_1) | instskip(NEXT) | instid1(VALU_DEP_1)
	v_mov_b32_dpp v2, v1 row_shr:2 row_mask:0xf bank_mask:0xf
	v_cndmask_b32_e64 v2, 0, v2, s4
	s_delay_alu instid0(VALU_DEP_1) | instskip(NEXT) | instid1(VALU_DEP_1)
	v_add_nc_u32_e32 v1, v1, v2
	v_mov_b32_dpp v2, v1 row_shr:4 row_mask:0xf bank_mask:0xf
	s_delay_alu instid0(VALU_DEP_1) | instskip(NEXT) | instid1(VALU_DEP_1)
	v_cndmask_b32_e64 v2, 0, v2, s3
	v_add_nc_u32_e32 v1, v1, v2
	s_delay_alu instid0(VALU_DEP_1) | instskip(NEXT) | instid1(VALU_DEP_1)
	v_mov_b32_dpp v2, v1 row_shr:8 row_mask:0xf bank_mask:0xf
	v_cndmask_b32_e64 v2, 0, v2, s2
	s_delay_alu instid0(VALU_DEP_1) | instskip(SKIP_3) | instid1(VALU_DEP_1)
	v_add_nc_u32_e32 v1, v1, v2
	ds_swizzle_b32 v2, v1 offset:swizzle(BROADCAST,32,15)
	s_wait_dscnt 0x0
	v_cndmask_b32_e64 v2, v2, 0, s1
	v_add_nc_u32_e32 v1, v1, v2
	s_and_saveexec_b32 s1, s0
; %bb.62:
	v_lshlrev_b32_e32 v2, 2, v63
	ds_store_b32 v2, v1
; %bb.63:
	s_wait_alu 0xfffe
	s_or_b32 exec_lo, exec_lo, s1
	s_delay_alu instid0(SALU_CYCLE_1)
	s_mov_b32 s0, exec_lo
	s_wait_loadcnt_dscnt 0x0
	s_barrier_signal -1
	s_barrier_wait -1
	global_inv scope:SCOPE_SE
	v_cmpx_gt_u32_e32 8, v0
	s_cbranch_execz .LBB1091_65
; %bb.64:
	ds_load_b32 v2, v42
	s_wait_dscnt 0x0
	v_mov_b32_dpp v4, v2 row_shr:1 row_mask:0xf bank_mask:0xf
	v_and_b32_e32 v3, 7, v62
	s_delay_alu instid0(VALU_DEP_1) | instskip(SKIP_1) | instid1(VALU_DEP_3)
	v_cmp_ne_u32_e32 vcc_lo, 0, v3
	s_wait_alu 0xfffd
	v_cndmask_b32_e32 v4, 0, v4, vcc_lo
	v_cmp_lt_u32_e32 vcc_lo, 1, v3
	s_delay_alu instid0(VALU_DEP_2) | instskip(NEXT) | instid1(VALU_DEP_1)
	v_add_nc_u32_e32 v2, v4, v2
	v_mov_b32_dpp v4, v2 row_shr:2 row_mask:0xf bank_mask:0xf
	s_wait_alu 0xfffd
	s_delay_alu instid0(VALU_DEP_1) | instskip(SKIP_1) | instid1(VALU_DEP_2)
	v_cndmask_b32_e32 v4, 0, v4, vcc_lo
	v_cmp_lt_u32_e32 vcc_lo, 3, v3
	v_add_nc_u32_e32 v2, v2, v4
	s_delay_alu instid0(VALU_DEP_1) | instskip(SKIP_1) | instid1(VALU_DEP_1)
	v_mov_b32_dpp v4, v2 row_shr:4 row_mask:0xf bank_mask:0xf
	s_wait_alu 0xfffd
	v_cndmask_b32_e32 v3, 0, v4, vcc_lo
	s_delay_alu instid0(VALU_DEP_1)
	v_add_nc_u32_e32 v2, v2, v3
	ds_store_b32 v42, v2
.LBB1091_65:
	s_wait_alu 0xfffe
	s_or_b32 exec_lo, exec_lo, s0
	v_dual_mov_b32 v3, 0 :: v_dual_mov_b32 v2, 0
	s_mov_b32 s0, exec_lo
	s_wait_loadcnt_dscnt 0x0
	s_barrier_signal -1
	s_barrier_wait -1
	global_inv scope:SCOPE_SE
	v_cmpx_lt_u32_e32 31, v0
; %bb.66:
	v_lshl_add_u32 v2, v63, 2, -4
	ds_load_b32 v2, v2
; %bb.67:
	s_wait_alu 0xfffe
	s_or_b32 exec_lo, exec_lo, s0
	v_sub_co_u32 v4, vcc_lo, v62, 1
	s_wait_dscnt 0x0
	v_add_nc_u32_e32 v1, v2, v1
	ds_load_b32 v16, v3 offset:28
	v_cmp_gt_i32_e64 s0, 0, v4
	s_wait_alu 0xf1ff
	s_delay_alu instid0(VALU_DEP_1) | instskip(SKIP_1) | instid1(VALU_DEP_2)
	v_cndmask_b32_e64 v4, v4, v62, s0
	v_cmp_eq_u32_e64 s0, 0, v0
	v_lshlrev_b32_e32 v4, 2, v4
	ds_bpermute_b32 v1, v4, v1
	s_and_saveexec_b32 s1, s0
	s_cbranch_execz .LBB1091_69
; %bb.68:
	v_mov_b32_e32 v3, 0
	v_mov_b32_e32 v17, 2
	s_wait_dscnt 0x1
	s_wait_kmcnt 0x0
	global_store_b64 v3, v[16:17], s[20:21] offset:256 scope:SCOPE_DEV
.LBB1091_69:
	s_wait_alu 0xfffe
	s_or_b32 exec_lo, exec_lo, s1
	s_wait_dscnt 0x0
	s_wait_alu 0xfffd
	v_cndmask_b32_e32 v1, v1, v2, vcc_lo
	s_wait_loadcnt 0x0
	s_wait_storecnt 0x0
	s_barrier_signal -1
	s_barrier_wait -1
	global_inv scope:SCOPE_SE
	v_cndmask_b32_e64 v1, v1, 0, s0
	s_delay_alu instid0(VALU_DEP_1) | instskip(NEXT) | instid1(VALU_DEP_1)
	v_dual_mov_b32 v17, 0 :: v_dual_add_nc_u32 v2, v1, v53
	v_add_nc_u32_e32 v3, v2, v54
	s_delay_alu instid0(VALU_DEP_1) | instskip(NEXT) | instid1(VALU_DEP_1)
	v_add_nc_u32_e32 v4, v3, v55
	v_add_nc_u32_e32 v5, v4, v52
	s_delay_alu instid0(VALU_DEP_1) | instskip(NEXT) | instid1(VALU_DEP_1)
	v_add_nc_u32_e32 v6, v5, v56
	;; [unrolled: 3-line block ×5, first 2 shown]
	v_add_nc_u32_e32 v13, v12, v48
.LBB1091_70:
	v_lshrrev_b32_e32 v56, 8, v51
	v_lshrrev_b32_e32 v55, 16, v51
	s_wait_dscnt 0x0
	v_sub_nc_u32_e32 v1, v1, v17
	v_and_b32_e32 v51, 1, v51
	v_sub_nc_u32_e32 v3, v3, v17
	v_add_nc_u32_e32 v45, v16, v45
	v_sub_nc_u32_e32 v2, v2, v17
	v_sub_nc_u32_e32 v4, v4, v17
	v_cmp_eq_u32_e32 vcc_lo, 1, v51
	v_and_b32_e32 v51, 1, v55
	v_sub_nc_u32_e32 v57, v45, v1
	v_and_b32_e32 v56, 1, v56
	v_sub_nc_u32_e32 v55, v45, v2
	v_lshrrev_b32_e32 v54, 8, v49
	v_lshrrev_b32_e32 v53, 16, v49
	s_wait_alu 0xfffd
	v_cndmask_b32_e32 v1, v57, v1, vcc_lo
	v_sub_nc_u32_e32 v57, v45, v3
	v_add_nc_u32_e32 v55, 1, v55
	v_cmp_eq_u32_e32 vcc_lo, 1, v56
	v_and_b32_e32 v52, 1, v52
	v_lshlrev_b32_e32 v1, 2, v1
	v_add_nc_u32_e32 v57, 2, v57
	v_lshrrev_b32_e32 v15, 8, v47
	v_lshrrev_b32_e32 v14, 16, v47
	ds_store_b32 v1, v28
	s_wait_alu 0xfffd
	v_cndmask_b32_e32 v1, v55, v2, vcc_lo
	v_cmp_eq_u32_e32 vcc_lo, 1, v51
	s_wait_alu 0xfffd
	s_delay_alu instid0(VALU_DEP_2)
	v_dual_cndmask_b32 v2, v57, v3 :: v_dual_lshlrev_b32 v1, 2, v1
	v_sub_nc_u32_e32 v58, v45, v4
	v_cmp_eq_u32_e32 vcc_lo, 1, v52
	ds_store_b32 v1, v29
	v_lshlrev_b32_e32 v2, 2, v2
	v_add_nc_u32_e32 v58, 3, v58
	s_wait_alu 0xfffd
	s_delay_alu instid0(VALU_DEP_1) | instskip(SKIP_2) | instid1(VALU_DEP_3)
	v_cndmask_b32_e32 v3, v58, v4, vcc_lo
	v_sub_nc_u32_e32 v4, v5, v17
	v_sub_nc_u32_e32 v5, v6, v17
	v_lshlrev_b32_e32 v3, 2, v3
	s_delay_alu instid0(VALU_DEP_3) | instskip(NEXT) | instid1(VALU_DEP_3)
	v_sub_nc_u32_e32 v1, v45, v4
	v_sub_nc_u32_e32 v6, v45, v5
	ds_store_b32 v2, v26
	ds_store_b32 v3, v27
	v_and_b32_e32 v2, 1, v49
	v_add_nc_u32_e32 v1, 4, v1
	v_add_nc_u32_e32 v3, 5, v6
	v_sub_nc_u32_e32 v6, v7, v17
	v_and_b32_e32 v7, 1, v54
	v_cmp_eq_u32_e32 vcc_lo, 1, v2
	v_sub_nc_u32_e32 v2, v8, v17
	s_wait_alu 0xfffd
	v_dual_cndmask_b32 v1, v1, v4 :: v_dual_and_b32 v8, 1, v50
	v_sub_nc_u32_e32 v4, v45, v6
	v_cmp_eq_u32_e32 vcc_lo, 1, v7
	v_and_b32_e32 v7, 1, v53
	s_delay_alu instid0(VALU_DEP_4)
	v_lshlrev_b32_e32 v1, 2, v1
	s_wait_alu 0xfffd
	v_dual_cndmask_b32 v3, v3, v5 :: v_dual_add_nc_u32 v4, 6, v4
	v_sub_nc_u32_e32 v5, v45, v2
	v_cmp_eq_u32_e32 vcc_lo, 1, v7
	v_sub_nc_u32_e32 v7, v13, v17
	s_delay_alu instid0(VALU_DEP_4)
	v_lshlrev_b32_e32 v3, 2, v3
	s_wait_alu 0xfffd
	v_dual_cndmask_b32 v4, v4, v6 :: v_dual_add_nc_u32 v5, 7, v5
	v_cmp_eq_u32_e32 vcc_lo, 1, v8
	v_sub_nc_u32_e32 v6, v9, v17
	ds_store_b32 v1, v24
	ds_store_b32 v3, v25
	s_wait_alu 0xfffd
	v_dual_cndmask_b32 v2, v5, v2 :: v_dual_lshlrev_b32 v3, 2, v4
	v_and_b32_e32 v5, 1, v47
	v_sub_nc_u32_e32 v1, v45, v6
	v_sub_nc_u32_e32 v4, v10, v17
	v_and_b32_e32 v10, 1, v48
	s_delay_alu instid0(VALU_DEP_4) | instskip(SKIP_2) | instid1(VALU_DEP_2)
	v_cmp_eq_u32_e32 vcc_lo, 1, v5
	v_sub_nc_u32_e32 v5, v12, v17
	v_add_nc_u32_e32 v1, 8, v1
	v_sub_nc_u32_e32 v9, v45, v5
	s_wait_alu 0xfffd
	s_delay_alu instid0(VALU_DEP_2)
	v_dual_cndmask_b32 v1, v1, v6 :: v_dual_and_b32 v6, 1, v15
	s_wait_kmcnt 0x0
	v_add_co_u32 v15, s0, s18, v17
	v_add_nc_u32_e32 v9, 11, v9
	v_lshlrev_b32_e32 v2, 2, v2
	ds_store_b32 v3, v22
	ds_store_b32 v2, v23
	v_sub_nc_u32_e32 v3, v11, v17
	v_sub_nc_u32_e32 v2, v45, v4
	v_cmp_eq_u32_e32 vcc_lo, 1, v6
	v_and_b32_e32 v11, 1, v46
	v_lshlrev_b32_e32 v1, 2, v1
	v_sub_nc_u32_e32 v8, v45, v3
	v_add_nc_u32_e32 v2, 9, v2
	s_wait_alu 0xf1ff
	v_add_co_ci_u32_e64 v17, null, s19, 0, s0
	s_delay_alu instid0(VALU_DEP_3) | instskip(SKIP_4) | instid1(VALU_DEP_3)
	v_add_nc_u32_e32 v6, 10, v8
	v_and_b32_e32 v8, 1, v14
	s_wait_alu 0xfffd
	v_cndmask_b32_e32 v2, v2, v4, vcc_lo
	v_sub_nc_u32_e32 v4, v45, v7
	v_cmp_eq_u32_e32 vcc_lo, 1, v8
	s_delay_alu instid0(VALU_DEP_3) | instskip(SKIP_1) | instid1(VALU_DEP_3)
	v_lshlrev_b32_e32 v2, 2, v2
	s_wait_alu 0xfffd
	v_dual_cndmask_b32 v3, v6, v3 :: v_dual_add_nc_u32 v4, 12, v4
	v_cmp_eq_u32_e32 vcc_lo, 1, v10
	s_delay_alu instid0(VALU_DEP_2) | instskip(SKIP_4) | instid1(VALU_DEP_2)
	v_lshlrev_b32_e32 v3, 2, v3
	s_wait_alu 0xfffd
	v_cndmask_b32_e32 v5, v9, v5, vcc_lo
	v_cmp_eq_u32_e32 vcc_lo, 1, v11
	s_wait_alu 0xfffd
	v_dual_cndmask_b32 v4, v4, v7 :: v_dual_lshlrev_b32 v5, 2, v5
	v_cmp_ne_u32_e32 vcc_lo, 1, v43
	s_delay_alu instid0(VALU_DEP_2)
	v_lshlrev_b32_e32 v4, 2, v4
	ds_store_b32 v1, v20
	ds_store_b32 v2, v21
	;; [unrolled: 1-line block ×5, first 2 shown]
	s_wait_loadcnt_dscnt 0x0
	s_barrier_signal -1
	s_barrier_wait -1
	global_inv scope:SCOPE_SE
	ds_load_2addr_stride64_b32 v[11:12], v42 offset1:4
	ds_load_2addr_stride64_b32 v[9:10], v42 offset0:8 offset1:12
	ds_load_2addr_stride64_b32 v[7:8], v42 offset0:16 offset1:20
	;; [unrolled: 1-line block ×5, first 2 shown]
	ds_load_b32 v18, v42 offset:12288
	s_cbranch_vccnz .LBB1091_124
; %bb.71:
	s_mov_b32 s17, 0
	v_sub_co_u32 v13, vcc_lo, v15, s12
	s_sub_nc_u64 s[0:1], s[14:15], s[16:17]
	s_wait_alu 0xfffd
	v_subrev_co_ci_u32_e64 v14, null, s13, v17, vcc_lo
	s_wait_alu 0xfffe
	v_add_co_u32 v19, s0, s0, v16
	s_wait_alu 0xf1ff
	v_add_co_ci_u32_e64 v20, null, s1, 0, s0
	s_mov_b32 s0, exec_lo
	v_add_co_u32 v19, vcc_lo, v19, v13
	s_wait_alu 0xfffd
	v_add_co_ci_u32_e64 v20, null, v20, v14, vcc_lo
                                        ; implicit-def: $vgpr13_vgpr14
	v_cmpx_ge_u32_e64 v0, v16
	s_wait_alu 0xfffe
	s_xor_b32 s0, exec_lo, s0
; %bb.72:
	v_not_b32_e32 v13, v0
	s_delay_alu instid0(VALU_DEP_1) | instskip(SKIP_2) | instid1(VALU_DEP_2)
	v_ashrrev_i32_e32 v14, 31, v13
	v_add_co_u32 v13, vcc_lo, v19, v13
	s_wait_alu 0xfffd
	v_add_co_ci_u32_e64 v14, null, v20, v14, vcc_lo
; %bb.73:
	s_wait_alu 0xfffe
	s_and_not1_saveexec_b32 s0, s0
; %bb.74:
	v_add_co_u32 v13, vcc_lo, v15, v0
	s_wait_alu 0xfffd
	v_add_co_ci_u32_e64 v14, null, 0, v17, vcc_lo
; %bb.75:
	s_wait_alu 0xfffe
	s_or_b32 exec_lo, exec_lo, s0
	s_delay_alu instid0(VALU_DEP_1) | instskip(SKIP_1) | instid1(VALU_DEP_1)
	v_lshlrev_b64_e32 v[13:14], 2, v[13:14]
	s_mov_b32 s0, exec_lo
	v_add_co_u32 v13, vcc_lo, s10, v13
	s_wait_alu 0xfffd
	s_delay_alu instid0(VALU_DEP_2)
	v_add_co_ci_u32_e64 v14, null, s11, v14, vcc_lo
	s_wait_dscnt 0x6
	global_store_b32 v[13:14], v11, off
                                        ; implicit-def: $vgpr13_vgpr14
	v_cmpx_ge_u32_e64 v41, v16
	s_wait_alu 0xfffe
	s_xor_b32 s0, exec_lo, s0
; %bb.76:
	v_xor_b32_e32 v13, 0xfffffeff, v0
	s_delay_alu instid0(VALU_DEP_1) | instskip(SKIP_2) | instid1(VALU_DEP_2)
	v_ashrrev_i32_e32 v14, 31, v13
	v_add_co_u32 v13, vcc_lo, v19, v13
	s_wait_alu 0xfffd
	v_add_co_ci_u32_e64 v14, null, v20, v14, vcc_lo
; %bb.77:
	s_wait_alu 0xfffe
	s_and_not1_saveexec_b32 s0, s0
; %bb.78:
	v_add_co_u32 v13, vcc_lo, v15, v41
	s_wait_alu 0xfffd
	v_add_co_ci_u32_e64 v14, null, 0, v17, vcc_lo
; %bb.79:
	s_wait_alu 0xfffe
	s_or_b32 exec_lo, exec_lo, s0
	s_delay_alu instid0(VALU_DEP_1) | instskip(SKIP_1) | instid1(VALU_DEP_1)
	v_lshlrev_b64_e32 v[13:14], 2, v[13:14]
	s_mov_b32 s0, exec_lo
	v_add_co_u32 v13, vcc_lo, s10, v13
	s_wait_alu 0xfffd
	s_delay_alu instid0(VALU_DEP_2)
	v_add_co_ci_u32_e64 v14, null, s11, v14, vcc_lo
	global_store_b32 v[13:14], v12, off
                                        ; implicit-def: $vgpr13_vgpr14
	v_cmpx_ge_u32_e64 v40, v16
	s_wait_alu 0xfffe
	s_xor_b32 s0, exec_lo, s0
; %bb.80:
	v_xor_b32_e32 v13, 0xfffffdff, v0
	s_delay_alu instid0(VALU_DEP_1) | instskip(SKIP_2) | instid1(VALU_DEP_2)
	v_ashrrev_i32_e32 v14, 31, v13
	v_add_co_u32 v13, vcc_lo, v19, v13
	s_wait_alu 0xfffd
	v_add_co_ci_u32_e64 v14, null, v20, v14, vcc_lo
; %bb.81:
	s_wait_alu 0xfffe
	s_and_not1_saveexec_b32 s0, s0
; %bb.82:
	v_add_co_u32 v13, vcc_lo, v15, v40
	s_wait_alu 0xfffd
	v_add_co_ci_u32_e64 v14, null, 0, v17, vcc_lo
; %bb.83:
	s_wait_alu 0xfffe
	s_or_b32 exec_lo, exec_lo, s0
	s_delay_alu instid0(VALU_DEP_1) | instskip(SKIP_1) | instid1(VALU_DEP_1)
	v_lshlrev_b64_e32 v[13:14], 2, v[13:14]
	s_mov_b32 s0, exec_lo
	v_add_co_u32 v13, vcc_lo, s10, v13
	s_wait_alu 0xfffd
	s_delay_alu instid0(VALU_DEP_2)
	v_add_co_ci_u32_e64 v14, null, s11, v14, vcc_lo
	s_wait_dscnt 0x5
	global_store_b32 v[13:14], v9, off
                                        ; implicit-def: $vgpr13_vgpr14
	v_cmpx_ge_u32_e64 v39, v16
	s_wait_alu 0xfffe
	s_xor_b32 s0, exec_lo, s0
; %bb.84:
	v_xor_b32_e32 v13, 0xfffffcff, v0
	s_delay_alu instid0(VALU_DEP_1) | instskip(SKIP_2) | instid1(VALU_DEP_2)
	v_ashrrev_i32_e32 v14, 31, v13
	v_add_co_u32 v13, vcc_lo, v19, v13
	s_wait_alu 0xfffd
	v_add_co_ci_u32_e64 v14, null, v20, v14, vcc_lo
; %bb.85:
	s_wait_alu 0xfffe
	s_and_not1_saveexec_b32 s0, s0
; %bb.86:
	v_add_co_u32 v13, vcc_lo, v15, v39
	s_wait_alu 0xfffd
	v_add_co_ci_u32_e64 v14, null, 0, v17, vcc_lo
; %bb.87:
	s_wait_alu 0xfffe
	s_or_b32 exec_lo, exec_lo, s0
	s_delay_alu instid0(VALU_DEP_1) | instskip(SKIP_1) | instid1(VALU_DEP_1)
	v_lshlrev_b64_e32 v[13:14], 2, v[13:14]
	s_mov_b32 s0, exec_lo
	v_add_co_u32 v13, vcc_lo, s10, v13
	s_wait_alu 0xfffd
	s_delay_alu instid0(VALU_DEP_2)
	v_add_co_ci_u32_e64 v14, null, s11, v14, vcc_lo
	global_store_b32 v[13:14], v10, off
                                        ; implicit-def: $vgpr13_vgpr14
	v_cmpx_ge_u32_e64 v38, v16
	s_wait_alu 0xfffe
	s_xor_b32 s0, exec_lo, s0
; %bb.88:
	v_xor_b32_e32 v13, 0xfffffbff, v0
	;; [unrolled: 59-line block ×6, first 2 shown]
	s_delay_alu instid0(VALU_DEP_1) | instskip(SKIP_2) | instid1(VALU_DEP_2)
	v_ashrrev_i32_e32 v14, 31, v13
	v_add_co_u32 v13, vcc_lo, v19, v13
	s_wait_alu 0xfffd
	v_add_co_ci_u32_e64 v14, null, v20, v14, vcc_lo
; %bb.121:
	s_wait_alu 0xfffe
	s_and_not1_saveexec_b32 s0, s0
; %bb.122:
	v_add_co_u32 v13, vcc_lo, v15, v30
	s_wait_alu 0xfffd
	v_add_co_ci_u32_e64 v14, null, 0, v17, vcc_lo
; %bb.123:
	s_wait_alu 0xfffe
	s_or_b32 exec_lo, exec_lo, s0
	s_mov_b32 s0, -1
	s_branch .LBB1091_204
.LBB1091_124:
	s_mov_b32 s0, 0
                                        ; implicit-def: $vgpr13_vgpr14
	s_cbranch_execz .LBB1091_204
; %bb.125:
	s_mov_b32 s17, 0
	s_delay_alu instid0(SALU_CYCLE_1)
	s_add_nc_u64 s[2:3], s[12:13], s[16:17]
	s_wait_alu 0xfffe
	s_sub_nc_u64 s[2:3], s[14:15], s[2:3]
	s_wait_alu 0xfffe
	v_add_co_u32 v13, s1, s2, v16
	s_wait_alu 0xf1ff
	v_add_co_ci_u32_e64 v14, null, s3, 0, s1
	s_mov_b32 s1, exec_lo
	v_add_co_u32 v19, vcc_lo, v13, v15
	s_wait_alu 0xfffd
	v_add_co_ci_u32_e64 v20, null, v14, v17, vcc_lo
	v_cmpx_gt_u32_e64 s23, v0
	s_cbranch_execz .LBB1091_161
; %bb.126:
	s_mov_b32 s2, exec_lo
                                        ; implicit-def: $vgpr13_vgpr14
	v_cmpx_ge_u32_e64 v0, v16
	s_wait_alu 0xfffe
	s_xor_b32 s2, exec_lo, s2
; %bb.127:
	v_not_b32_e32 v13, v0
	s_delay_alu instid0(VALU_DEP_1) | instskip(SKIP_2) | instid1(VALU_DEP_2)
	v_ashrrev_i32_e32 v14, 31, v13
	v_add_co_u32 v13, vcc_lo, v19, v13
	s_wait_alu 0xfffd
	v_add_co_ci_u32_e64 v14, null, v20, v14, vcc_lo
; %bb.128:
	s_wait_alu 0xfffe
	s_and_not1_saveexec_b32 s2, s2
; %bb.129:
	v_add_co_u32 v13, vcc_lo, v15, v0
	s_wait_alu 0xfffd
	v_add_co_ci_u32_e64 v14, null, 0, v17, vcc_lo
; %bb.130:
	s_wait_alu 0xfffe
	s_or_b32 exec_lo, exec_lo, s2
	s_delay_alu instid0(VALU_DEP_1) | instskip(NEXT) | instid1(VALU_DEP_1)
	v_lshlrev_b64_e32 v[13:14], 2, v[13:14]
	v_add_co_u32 v13, vcc_lo, s10, v13
	s_wait_alu 0xfffd
	s_delay_alu instid0(VALU_DEP_2) | instskip(SKIP_3) | instid1(SALU_CYCLE_1)
	v_add_co_ci_u32_e64 v14, null, s11, v14, vcc_lo
	s_wait_dscnt 0x6
	global_store_b32 v[13:14], v11, off
	s_or_b32 exec_lo, exec_lo, s1
	s_mov_b32 s1, exec_lo
	v_cmpx_gt_u32_e64 s23, v41
	s_cbranch_execnz .LBB1091_162
.LBB1091_131:
	s_wait_alu 0xfffe
	s_or_b32 exec_lo, exec_lo, s1
	s_delay_alu instid0(SALU_CYCLE_1)
	s_mov_b32 s1, exec_lo
	v_cmpx_gt_u32_e64 s23, v40
	s_cbranch_execz .LBB1091_167
.LBB1091_132:
	s_mov_b32 s2, exec_lo
                                        ; implicit-def: $vgpr11_vgpr12
	v_cmpx_ge_u32_e64 v40, v16
	s_wait_alu 0xfffe
	s_xor_b32 s2, exec_lo, s2
	s_cbranch_execz .LBB1091_134
; %bb.133:
	s_wait_dscnt 0x6
	v_xor_b32_e32 v11, 0xfffffdff, v0
                                        ; implicit-def: $vgpr40
	s_delay_alu instid0(VALU_DEP_1) | instskip(SKIP_2) | instid1(VALU_DEP_2)
	v_ashrrev_i32_e32 v12, 31, v11
	v_add_co_u32 v11, vcc_lo, v19, v11
	s_wait_alu 0xfffd
	v_add_co_ci_u32_e64 v12, null, v20, v12, vcc_lo
.LBB1091_134:
	s_wait_alu 0xfffe
	s_and_not1_saveexec_b32 s2, s2
	s_cbranch_execz .LBB1091_136
; %bb.135:
	s_wait_dscnt 0x6
	v_add_co_u32 v11, vcc_lo, v15, v40
	s_wait_alu 0xfffd
	v_add_co_ci_u32_e64 v12, null, 0, v17, vcc_lo
.LBB1091_136:
	s_wait_alu 0xfffe
	s_or_b32 exec_lo, exec_lo, s2
	s_wait_dscnt 0x6
	s_delay_alu instid0(VALU_DEP_1) | instskip(NEXT) | instid1(VALU_DEP_1)
	v_lshlrev_b64_e32 v[11:12], 2, v[11:12]
	v_add_co_u32 v11, vcc_lo, s10, v11
	s_wait_alu 0xfffd
	s_delay_alu instid0(VALU_DEP_2) | instskip(SKIP_3) | instid1(SALU_CYCLE_1)
	v_add_co_ci_u32_e64 v12, null, s11, v12, vcc_lo
	s_wait_dscnt 0x5
	global_store_b32 v[11:12], v9, off
	s_or_b32 exec_lo, exec_lo, s1
	s_mov_b32 s1, exec_lo
	v_cmpx_gt_u32_e64 s23, v39
	s_cbranch_execnz .LBB1091_168
.LBB1091_137:
	s_wait_alu 0xfffe
	s_or_b32 exec_lo, exec_lo, s1
	s_delay_alu instid0(SALU_CYCLE_1)
	s_mov_b32 s1, exec_lo
	v_cmpx_gt_u32_e64 s23, v38
	s_cbranch_execz .LBB1091_173
.LBB1091_138:
	s_mov_b32 s2, exec_lo
                                        ; implicit-def: $vgpr9_vgpr10
	v_cmpx_ge_u32_e64 v38, v16
	s_wait_alu 0xfffe
	s_xor_b32 s2, exec_lo, s2
	s_cbranch_execz .LBB1091_140
; %bb.139:
	s_wait_dscnt 0x5
	v_xor_b32_e32 v9, 0xfffffbff, v0
                                        ; implicit-def: $vgpr38
	s_delay_alu instid0(VALU_DEP_1) | instskip(SKIP_2) | instid1(VALU_DEP_2)
	v_ashrrev_i32_e32 v10, 31, v9
	v_add_co_u32 v9, vcc_lo, v19, v9
	s_wait_alu 0xfffd
	v_add_co_ci_u32_e64 v10, null, v20, v10, vcc_lo
.LBB1091_140:
	s_wait_alu 0xfffe
	s_and_not1_saveexec_b32 s2, s2
	s_cbranch_execz .LBB1091_142
; %bb.141:
	s_wait_dscnt 0x5
	v_add_co_u32 v9, vcc_lo, v15, v38
	s_wait_alu 0xfffd
	v_add_co_ci_u32_e64 v10, null, 0, v17, vcc_lo
.LBB1091_142:
	s_wait_alu 0xfffe
	s_or_b32 exec_lo, exec_lo, s2
	s_wait_dscnt 0x5
	s_delay_alu instid0(VALU_DEP_1) | instskip(NEXT) | instid1(VALU_DEP_1)
	v_lshlrev_b64_e32 v[9:10], 2, v[9:10]
	v_add_co_u32 v9, vcc_lo, s10, v9
	s_wait_alu 0xfffd
	s_delay_alu instid0(VALU_DEP_2) | instskip(SKIP_3) | instid1(SALU_CYCLE_1)
	v_add_co_ci_u32_e64 v10, null, s11, v10, vcc_lo
	s_wait_dscnt 0x4
	global_store_b32 v[9:10], v7, off
	s_or_b32 exec_lo, exec_lo, s1
	s_mov_b32 s1, exec_lo
	v_cmpx_gt_u32_e64 s23, v37
	s_cbranch_execnz .LBB1091_174
.LBB1091_143:
	s_wait_alu 0xfffe
	s_or_b32 exec_lo, exec_lo, s1
	s_delay_alu instid0(SALU_CYCLE_1)
	s_mov_b32 s1, exec_lo
	v_cmpx_gt_u32_e64 s23, v36
	s_cbranch_execz .LBB1091_179
.LBB1091_144:
	s_mov_b32 s2, exec_lo
                                        ; implicit-def: $vgpr7_vgpr8
	v_cmpx_ge_u32_e64 v36, v16
	s_wait_alu 0xfffe
	s_xor_b32 s2, exec_lo, s2
	s_cbranch_execz .LBB1091_146
; %bb.145:
	s_wait_dscnt 0x4
	v_xor_b32_e32 v7, 0xfffff9ff, v0
                                        ; implicit-def: $vgpr36
	s_delay_alu instid0(VALU_DEP_1) | instskip(SKIP_2) | instid1(VALU_DEP_2)
	v_ashrrev_i32_e32 v8, 31, v7
	v_add_co_u32 v7, vcc_lo, v19, v7
	s_wait_alu 0xfffd
	v_add_co_ci_u32_e64 v8, null, v20, v8, vcc_lo
.LBB1091_146:
	s_wait_alu 0xfffe
	s_and_not1_saveexec_b32 s2, s2
	s_cbranch_execz .LBB1091_148
; %bb.147:
	s_wait_dscnt 0x4
	v_add_co_u32 v7, vcc_lo, v15, v36
	s_wait_alu 0xfffd
	v_add_co_ci_u32_e64 v8, null, 0, v17, vcc_lo
.LBB1091_148:
	s_wait_alu 0xfffe
	s_or_b32 exec_lo, exec_lo, s2
	s_wait_dscnt 0x4
	s_delay_alu instid0(VALU_DEP_1) | instskip(NEXT) | instid1(VALU_DEP_1)
	v_lshlrev_b64_e32 v[7:8], 2, v[7:8]
	v_add_co_u32 v7, vcc_lo, s10, v7
	s_wait_alu 0xfffd
	s_delay_alu instid0(VALU_DEP_2) | instskip(SKIP_3) | instid1(SALU_CYCLE_1)
	v_add_co_ci_u32_e64 v8, null, s11, v8, vcc_lo
	s_wait_dscnt 0x3
	global_store_b32 v[7:8], v5, off
	s_or_b32 exec_lo, exec_lo, s1
	s_mov_b32 s1, exec_lo
	v_cmpx_gt_u32_e64 s23, v35
	s_cbranch_execnz .LBB1091_180
.LBB1091_149:
	s_wait_alu 0xfffe
	s_or_b32 exec_lo, exec_lo, s1
	s_delay_alu instid0(SALU_CYCLE_1)
	s_mov_b32 s1, exec_lo
	v_cmpx_gt_u32_e64 s23, v34
	s_cbranch_execz .LBB1091_185
.LBB1091_150:
	s_mov_b32 s2, exec_lo
                                        ; implicit-def: $vgpr5_vgpr6
	v_cmpx_ge_u32_e64 v34, v16
	s_wait_alu 0xfffe
	s_xor_b32 s2, exec_lo, s2
	s_cbranch_execz .LBB1091_152
; %bb.151:
	s_wait_dscnt 0x3
	v_xor_b32_e32 v5, 0xfffff7ff, v0
                                        ; implicit-def: $vgpr34
	s_delay_alu instid0(VALU_DEP_1) | instskip(SKIP_2) | instid1(VALU_DEP_2)
	v_ashrrev_i32_e32 v6, 31, v5
	v_add_co_u32 v5, vcc_lo, v19, v5
	s_wait_alu 0xfffd
	v_add_co_ci_u32_e64 v6, null, v20, v6, vcc_lo
.LBB1091_152:
	s_wait_alu 0xfffe
	s_and_not1_saveexec_b32 s2, s2
	s_cbranch_execz .LBB1091_154
; %bb.153:
	s_wait_dscnt 0x3
	v_add_co_u32 v5, vcc_lo, v15, v34
	s_wait_alu 0xfffd
	v_add_co_ci_u32_e64 v6, null, 0, v17, vcc_lo
.LBB1091_154:
	s_wait_alu 0xfffe
	s_or_b32 exec_lo, exec_lo, s2
	s_wait_dscnt 0x3
	s_delay_alu instid0(VALU_DEP_1) | instskip(NEXT) | instid1(VALU_DEP_1)
	v_lshlrev_b64_e32 v[5:6], 2, v[5:6]
	v_add_co_u32 v5, vcc_lo, s10, v5
	s_wait_alu 0xfffd
	s_delay_alu instid0(VALU_DEP_2) | instskip(SKIP_3) | instid1(SALU_CYCLE_1)
	v_add_co_ci_u32_e64 v6, null, s11, v6, vcc_lo
	s_wait_dscnt 0x2
	global_store_b32 v[5:6], v3, off
	s_or_b32 exec_lo, exec_lo, s1
	s_mov_b32 s1, exec_lo
	v_cmpx_gt_u32_e64 s23, v33
	s_cbranch_execnz .LBB1091_186
.LBB1091_155:
	s_wait_alu 0xfffe
	s_or_b32 exec_lo, exec_lo, s1
	s_delay_alu instid0(SALU_CYCLE_1)
	s_mov_b32 s1, exec_lo
	v_cmpx_gt_u32_e64 s23, v32
	s_cbranch_execz .LBB1091_191
.LBB1091_156:
	s_mov_b32 s2, exec_lo
                                        ; implicit-def: $vgpr3_vgpr4
	v_cmpx_ge_u32_e64 v32, v16
	s_wait_alu 0xfffe
	s_xor_b32 s2, exec_lo, s2
	s_cbranch_execz .LBB1091_158
; %bb.157:
	s_wait_dscnt 0x2
	v_xor_b32_e32 v3, 0xfffff5ff, v0
                                        ; implicit-def: $vgpr32
	s_delay_alu instid0(VALU_DEP_1) | instskip(SKIP_2) | instid1(VALU_DEP_2)
	v_ashrrev_i32_e32 v4, 31, v3
	v_add_co_u32 v3, vcc_lo, v19, v3
	s_wait_alu 0xfffd
	v_add_co_ci_u32_e64 v4, null, v20, v4, vcc_lo
.LBB1091_158:
	s_wait_alu 0xfffe
	s_and_not1_saveexec_b32 s2, s2
	s_cbranch_execz .LBB1091_160
; %bb.159:
	s_wait_dscnt 0x2
	v_add_co_u32 v3, vcc_lo, v15, v32
	s_wait_alu 0xfffd
	v_add_co_ci_u32_e64 v4, null, 0, v17, vcc_lo
.LBB1091_160:
	s_wait_alu 0xfffe
	s_or_b32 exec_lo, exec_lo, s2
	s_wait_dscnt 0x2
	s_delay_alu instid0(VALU_DEP_1) | instskip(NEXT) | instid1(VALU_DEP_1)
	v_lshlrev_b64_e32 v[3:4], 2, v[3:4]
	v_add_co_u32 v3, vcc_lo, s10, v3
	s_wait_alu 0xfffd
	s_delay_alu instid0(VALU_DEP_2) | instskip(SKIP_3) | instid1(SALU_CYCLE_1)
	v_add_co_ci_u32_e64 v4, null, s11, v4, vcc_lo
	s_wait_dscnt 0x1
	global_store_b32 v[3:4], v1, off
	s_or_b32 exec_lo, exec_lo, s1
	s_mov_b32 s1, exec_lo
	v_cmpx_gt_u32_e64 s23, v31
	s_cbranch_execz .LBB1091_197
	s_branch .LBB1091_192
.LBB1091_161:
	s_wait_alu 0xfffe
	s_or_b32 exec_lo, exec_lo, s1
	s_delay_alu instid0(SALU_CYCLE_1)
	s_mov_b32 s1, exec_lo
	v_cmpx_gt_u32_e64 s23, v41
	s_cbranch_execz .LBB1091_131
.LBB1091_162:
	s_mov_b32 s2, exec_lo
                                        ; implicit-def: $vgpr13_vgpr14
	v_cmpx_ge_u32_e64 v41, v16
	s_wait_alu 0xfffe
	s_xor_b32 s2, exec_lo, s2
	s_cbranch_execz .LBB1091_164
; %bb.163:
	s_wait_dscnt 0x6
	v_xor_b32_e32 v11, 0xfffffeff, v0
                                        ; implicit-def: $vgpr41
	s_delay_alu instid0(VALU_DEP_1) | instskip(SKIP_2) | instid1(VALU_DEP_2)
	v_ashrrev_i32_e32 v14, 31, v11
	v_add_co_u32 v13, vcc_lo, v19, v11
	s_wait_alu 0xfffd
	v_add_co_ci_u32_e64 v14, null, v20, v14, vcc_lo
.LBB1091_164:
	s_wait_alu 0xfffe
	s_and_not1_saveexec_b32 s2, s2
; %bb.165:
	v_add_co_u32 v13, vcc_lo, v15, v41
	s_wait_alu 0xfffd
	v_add_co_ci_u32_e64 v14, null, 0, v17, vcc_lo
; %bb.166:
	s_wait_alu 0xfffe
	s_or_b32 exec_lo, exec_lo, s2
	s_delay_alu instid0(VALU_DEP_1) | instskip(NEXT) | instid1(VALU_DEP_1)
	v_lshlrev_b64_e32 v[13:14], 2, v[13:14]
	v_add_co_u32 v13, vcc_lo, s10, v13
	s_wait_alu 0xfffd
	s_delay_alu instid0(VALU_DEP_2) | instskip(SKIP_3) | instid1(SALU_CYCLE_1)
	v_add_co_ci_u32_e64 v14, null, s11, v14, vcc_lo
	s_wait_dscnt 0x6
	global_store_b32 v[13:14], v12, off
	s_or_b32 exec_lo, exec_lo, s1
	s_mov_b32 s1, exec_lo
	v_cmpx_gt_u32_e64 s23, v40
	s_cbranch_execnz .LBB1091_132
.LBB1091_167:
	s_wait_alu 0xfffe
	s_or_b32 exec_lo, exec_lo, s1
	s_delay_alu instid0(SALU_CYCLE_1)
	s_mov_b32 s1, exec_lo
	v_cmpx_gt_u32_e64 s23, v39
	s_cbranch_execz .LBB1091_137
.LBB1091_168:
	s_mov_b32 s2, exec_lo
                                        ; implicit-def: $vgpr11_vgpr12
	v_cmpx_ge_u32_e64 v39, v16
	s_wait_alu 0xfffe
	s_xor_b32 s2, exec_lo, s2
	s_cbranch_execz .LBB1091_170
; %bb.169:
	s_wait_dscnt 0x5
	v_xor_b32_e32 v9, 0xfffffcff, v0
                                        ; implicit-def: $vgpr39
	s_delay_alu instid0(VALU_DEP_1) | instskip(SKIP_2) | instid1(VALU_DEP_2)
	v_ashrrev_i32_e32 v12, 31, v9
	v_add_co_u32 v11, vcc_lo, v19, v9
	s_wait_alu 0xfffd
	v_add_co_ci_u32_e64 v12, null, v20, v12, vcc_lo
.LBB1091_170:
	s_wait_alu 0xfffe
	s_and_not1_saveexec_b32 s2, s2
	s_cbranch_execz .LBB1091_172
; %bb.171:
	s_wait_dscnt 0x6
	v_add_co_u32 v11, vcc_lo, v15, v39
	s_wait_alu 0xfffd
	v_add_co_ci_u32_e64 v12, null, 0, v17, vcc_lo
.LBB1091_172:
	s_wait_alu 0xfffe
	s_or_b32 exec_lo, exec_lo, s2
	s_wait_dscnt 0x6
	s_delay_alu instid0(VALU_DEP_1) | instskip(NEXT) | instid1(VALU_DEP_1)
	v_lshlrev_b64_e32 v[11:12], 2, v[11:12]
	v_add_co_u32 v11, vcc_lo, s10, v11
	s_wait_alu 0xfffd
	s_delay_alu instid0(VALU_DEP_2) | instskip(SKIP_3) | instid1(SALU_CYCLE_1)
	v_add_co_ci_u32_e64 v12, null, s11, v12, vcc_lo
	s_wait_dscnt 0x5
	global_store_b32 v[11:12], v10, off
	s_or_b32 exec_lo, exec_lo, s1
	s_mov_b32 s1, exec_lo
	v_cmpx_gt_u32_e64 s23, v38
	s_cbranch_execnz .LBB1091_138
.LBB1091_173:
	s_wait_alu 0xfffe
	s_or_b32 exec_lo, exec_lo, s1
	s_delay_alu instid0(SALU_CYCLE_1)
	s_mov_b32 s1, exec_lo
	v_cmpx_gt_u32_e64 s23, v37
	s_cbranch_execz .LBB1091_143
.LBB1091_174:
	s_mov_b32 s2, exec_lo
                                        ; implicit-def: $vgpr9_vgpr10
	v_cmpx_ge_u32_e64 v37, v16
	s_wait_alu 0xfffe
	s_xor_b32 s2, exec_lo, s2
	s_cbranch_execz .LBB1091_176
; %bb.175:
	s_wait_dscnt 0x4
	v_xor_b32_e32 v7, 0xfffffaff, v0
                                        ; implicit-def: $vgpr37
	s_delay_alu instid0(VALU_DEP_1) | instskip(SKIP_2) | instid1(VALU_DEP_2)
	v_ashrrev_i32_e32 v10, 31, v7
	v_add_co_u32 v9, vcc_lo, v19, v7
	s_wait_alu 0xfffd
	v_add_co_ci_u32_e64 v10, null, v20, v10, vcc_lo
.LBB1091_176:
	s_wait_alu 0xfffe
	s_and_not1_saveexec_b32 s2, s2
	s_cbranch_execz .LBB1091_178
; %bb.177:
	s_wait_dscnt 0x5
	v_add_co_u32 v9, vcc_lo, v15, v37
	s_wait_alu 0xfffd
	v_add_co_ci_u32_e64 v10, null, 0, v17, vcc_lo
.LBB1091_178:
	s_wait_alu 0xfffe
	s_or_b32 exec_lo, exec_lo, s2
	s_wait_dscnt 0x5
	s_delay_alu instid0(VALU_DEP_1) | instskip(NEXT) | instid1(VALU_DEP_1)
	v_lshlrev_b64_e32 v[9:10], 2, v[9:10]
	v_add_co_u32 v9, vcc_lo, s10, v9
	s_wait_alu 0xfffd
	s_delay_alu instid0(VALU_DEP_2) | instskip(SKIP_3) | instid1(SALU_CYCLE_1)
	v_add_co_ci_u32_e64 v10, null, s11, v10, vcc_lo
	s_wait_dscnt 0x4
	global_store_b32 v[9:10], v8, off
	s_or_b32 exec_lo, exec_lo, s1
	s_mov_b32 s1, exec_lo
	v_cmpx_gt_u32_e64 s23, v36
	s_cbranch_execnz .LBB1091_144
.LBB1091_179:
	s_wait_alu 0xfffe
	s_or_b32 exec_lo, exec_lo, s1
	s_delay_alu instid0(SALU_CYCLE_1)
	s_mov_b32 s1, exec_lo
	v_cmpx_gt_u32_e64 s23, v35
	s_cbranch_execz .LBB1091_149
.LBB1091_180:
	s_mov_b32 s2, exec_lo
                                        ; implicit-def: $vgpr7_vgpr8
	v_cmpx_ge_u32_e64 v35, v16
	s_wait_alu 0xfffe
	s_xor_b32 s2, exec_lo, s2
	s_cbranch_execz .LBB1091_182
; %bb.181:
	s_wait_dscnt 0x3
	v_xor_b32_e32 v5, 0xfffff8ff, v0
                                        ; implicit-def: $vgpr35
	s_delay_alu instid0(VALU_DEP_1) | instskip(SKIP_2) | instid1(VALU_DEP_2)
	v_ashrrev_i32_e32 v8, 31, v5
	v_add_co_u32 v7, vcc_lo, v19, v5
	s_wait_alu 0xfffd
	v_add_co_ci_u32_e64 v8, null, v20, v8, vcc_lo
.LBB1091_182:
	s_wait_alu 0xfffe
	s_and_not1_saveexec_b32 s2, s2
	s_cbranch_execz .LBB1091_184
; %bb.183:
	s_wait_dscnt 0x4
	v_add_co_u32 v7, vcc_lo, v15, v35
	s_wait_alu 0xfffd
	v_add_co_ci_u32_e64 v8, null, 0, v17, vcc_lo
.LBB1091_184:
	s_wait_alu 0xfffe
	s_or_b32 exec_lo, exec_lo, s2
	s_wait_dscnt 0x4
	s_delay_alu instid0(VALU_DEP_1) | instskip(NEXT) | instid1(VALU_DEP_1)
	v_lshlrev_b64_e32 v[7:8], 2, v[7:8]
	v_add_co_u32 v7, vcc_lo, s10, v7
	s_wait_alu 0xfffd
	s_delay_alu instid0(VALU_DEP_2) | instskip(SKIP_3) | instid1(SALU_CYCLE_1)
	v_add_co_ci_u32_e64 v8, null, s11, v8, vcc_lo
	s_wait_dscnt 0x3
	global_store_b32 v[7:8], v6, off
	s_or_b32 exec_lo, exec_lo, s1
	s_mov_b32 s1, exec_lo
	v_cmpx_gt_u32_e64 s23, v34
	s_cbranch_execnz .LBB1091_150
.LBB1091_185:
	s_wait_alu 0xfffe
	s_or_b32 exec_lo, exec_lo, s1
	s_delay_alu instid0(SALU_CYCLE_1)
	s_mov_b32 s1, exec_lo
	v_cmpx_gt_u32_e64 s23, v33
	s_cbranch_execz .LBB1091_155
.LBB1091_186:
	s_mov_b32 s2, exec_lo
                                        ; implicit-def: $vgpr5_vgpr6
	v_cmpx_ge_u32_e64 v33, v16
	s_wait_alu 0xfffe
	s_xor_b32 s2, exec_lo, s2
	s_cbranch_execz .LBB1091_188
; %bb.187:
	s_wait_dscnt 0x2
	v_xor_b32_e32 v3, 0xfffff6ff, v0
                                        ; implicit-def: $vgpr33
	s_delay_alu instid0(VALU_DEP_1) | instskip(SKIP_2) | instid1(VALU_DEP_2)
	v_ashrrev_i32_e32 v6, 31, v3
	v_add_co_u32 v5, vcc_lo, v19, v3
	s_wait_alu 0xfffd
	v_add_co_ci_u32_e64 v6, null, v20, v6, vcc_lo
.LBB1091_188:
	s_wait_alu 0xfffe
	s_and_not1_saveexec_b32 s2, s2
	s_cbranch_execz .LBB1091_190
; %bb.189:
	s_wait_dscnt 0x3
	v_add_co_u32 v5, vcc_lo, v15, v33
	s_wait_alu 0xfffd
	v_add_co_ci_u32_e64 v6, null, 0, v17, vcc_lo
.LBB1091_190:
	s_wait_alu 0xfffe
	s_or_b32 exec_lo, exec_lo, s2
	s_wait_dscnt 0x3
	s_delay_alu instid0(VALU_DEP_1) | instskip(NEXT) | instid1(VALU_DEP_1)
	v_lshlrev_b64_e32 v[5:6], 2, v[5:6]
	v_add_co_u32 v5, vcc_lo, s10, v5
	s_wait_alu 0xfffd
	s_delay_alu instid0(VALU_DEP_2) | instskip(SKIP_3) | instid1(SALU_CYCLE_1)
	v_add_co_ci_u32_e64 v6, null, s11, v6, vcc_lo
	s_wait_dscnt 0x2
	global_store_b32 v[5:6], v4, off
	s_or_b32 exec_lo, exec_lo, s1
	s_mov_b32 s1, exec_lo
	v_cmpx_gt_u32_e64 s23, v32
	s_cbranch_execnz .LBB1091_156
.LBB1091_191:
	s_wait_alu 0xfffe
	s_or_b32 exec_lo, exec_lo, s1
	s_delay_alu instid0(SALU_CYCLE_1)
	s_mov_b32 s1, exec_lo
	v_cmpx_gt_u32_e64 s23, v31
	s_cbranch_execz .LBB1091_197
.LBB1091_192:
	s_mov_b32 s2, exec_lo
                                        ; implicit-def: $vgpr3_vgpr4
	v_cmpx_ge_u32_e64 v31, v16
	s_wait_alu 0xfffe
	s_xor_b32 s2, exec_lo, s2
	s_cbranch_execz .LBB1091_194
; %bb.193:
	s_wait_dscnt 0x1
	v_xor_b32_e32 v1, 0xfffff4ff, v0
                                        ; implicit-def: $vgpr31
	s_delay_alu instid0(VALU_DEP_1) | instskip(SKIP_2) | instid1(VALU_DEP_2)
	v_ashrrev_i32_e32 v4, 31, v1
	v_add_co_u32 v3, vcc_lo, v19, v1
	s_wait_alu 0xfffd
	v_add_co_ci_u32_e64 v4, null, v20, v4, vcc_lo
.LBB1091_194:
	s_wait_alu 0xfffe
	s_and_not1_saveexec_b32 s2, s2
	s_cbranch_execz .LBB1091_196
; %bb.195:
	s_wait_dscnt 0x2
	v_add_co_u32 v3, vcc_lo, v15, v31
	s_wait_alu 0xfffd
	v_add_co_ci_u32_e64 v4, null, 0, v17, vcc_lo
.LBB1091_196:
	s_wait_alu 0xfffe
	s_or_b32 exec_lo, exec_lo, s2
	s_wait_dscnt 0x2
	s_delay_alu instid0(VALU_DEP_1) | instskip(NEXT) | instid1(VALU_DEP_1)
	v_lshlrev_b64_e32 v[3:4], 2, v[3:4]
	v_add_co_u32 v3, vcc_lo, s10, v3
	s_wait_alu 0xfffd
	s_delay_alu instid0(VALU_DEP_2)
	v_add_co_ci_u32_e64 v4, null, s11, v4, vcc_lo
	s_wait_dscnt 0x1
	global_store_b32 v[3:4], v2, off
.LBB1091_197:
	s_wait_alu 0xfffe
	s_or_b32 exec_lo, exec_lo, s1
	s_delay_alu instid0(SALU_CYCLE_1)
	s_mov_b32 s1, exec_lo
                                        ; implicit-def: $vgpr13_vgpr14
	v_cmpx_gt_u32_e64 s23, v30
	s_cbranch_execz .LBB1091_203
; %bb.198:
	s_mov_b32 s2, exec_lo
                                        ; implicit-def: $vgpr13_vgpr14
	v_cmpx_ge_u32_e64 v30, v16
	s_wait_alu 0xfffe
	s_xor_b32 s2, exec_lo, s2
	s_cbranch_execz .LBB1091_200
; %bb.199:
	s_wait_dscnt 0x1
	v_xor_b32_e32 v1, 0xfffff3ff, v0
                                        ; implicit-def: $vgpr30
	s_delay_alu instid0(VALU_DEP_1) | instskip(SKIP_2) | instid1(VALU_DEP_2)
	v_ashrrev_i32_e32 v2, 31, v1
	v_add_co_u32 v13, vcc_lo, v19, v1
	s_wait_alu 0xfffd
	v_add_co_ci_u32_e64 v14, null, v20, v2, vcc_lo
.LBB1091_200:
	s_wait_alu 0xfffe
	s_and_not1_saveexec_b32 s2, s2
; %bb.201:
	v_add_co_u32 v13, vcc_lo, v15, v30
	s_wait_alu 0xfffd
	v_add_co_ci_u32_e64 v14, null, 0, v17, vcc_lo
; %bb.202:
	s_wait_alu 0xfffe
	s_or_b32 exec_lo, exec_lo, s2
	s_delay_alu instid0(SALU_CYCLE_1)
	s_or_b32 s0, s0, exec_lo
.LBB1091_203:
	s_wait_alu 0xfffe
	s_or_b32 exec_lo, exec_lo, s1
.LBB1091_204:
	s_wait_alu 0xfffe
	s_and_saveexec_b32 s1, s0
	s_cbranch_execz .LBB1091_206
; %bb.205:
	s_wait_dscnt 0x1
	v_lshlrev_b64_e32 v[1:2], 2, v[13:14]
	s_delay_alu instid0(VALU_DEP_1) | instskip(SKIP_1) | instid1(VALU_DEP_2)
	v_add_co_u32 v1, vcc_lo, s10, v1
	s_wait_alu 0xfffd
	v_add_co_ci_u32_e64 v2, null, s11, v2, vcc_lo
	s_wait_dscnt 0x0
	global_store_b32 v[1:2], v18, off
.LBB1091_206:
	s_wait_alu 0xfffe
	s_or_b32 exec_lo, exec_lo, s1
	v_cmp_eq_u32_e32 vcc_lo, 0, v0
	s_and_b32 s0, vcc_lo, s22
	s_wait_alu 0xfffe
	s_and_saveexec_b32 s1, s0
	s_cbranch_execz .LBB1091_208
; %bb.207:
	v_add_co_u32 v0, vcc_lo, v15, v16
	s_wait_dscnt 0x1
	v_mov_b32_e32 v2, 0
	s_wait_alu 0xfffd
	v_add_co_ci_u32_e64 v1, null, 0, v17, vcc_lo
	global_store_b64 v2, v[0:1], s[8:9]
.LBB1091_208:
	s_endpgm
	.section	.rodata,"a",@progbits
	.p2align	6, 0x0
	.amdhsa_kernel _ZN7rocprim17ROCPRIM_400000_NS6detail17trampoline_kernelINS0_13select_configILj256ELj13ELNS0_17block_load_methodE3ELS4_3ELS4_3ELNS0_20block_scan_algorithmE0ELj4294967295EEENS1_25partition_config_selectorILNS1_17partition_subalgoE3EjNS0_10empty_typeEbEEZZNS1_14partition_implILS8_3ELb0ES6_jNS0_17counting_iteratorIjlEEPS9_SE_NS0_5tupleIJPjSE_EEENSF_IJSE_SE_EEES9_SG_JZNS1_25segmented_radix_sort_implINS0_14default_configELb1EPKdPdPKlPlN2at6native12_GLOBAL__N_18offset_tEEE10hipError_tPvRmT1_PNSt15iterator_traitsISY_E10value_typeET2_T3_PNSZ_IS14_E10value_typeET4_jRbjT5_S1A_jjP12ihipStream_tbEUljE_EEESV_SW_SX_S14_S18_S1A_T6_T7_T9_mT8_S1C_bDpT10_ENKUlT_T0_E_clISt17integral_constantIbLb0EES1P_EEDaS1K_S1L_EUlS1K_E_NS1_11comp_targetILNS1_3genE10ELNS1_11target_archE1200ELNS1_3gpuE4ELNS1_3repE0EEENS1_30default_config_static_selectorELNS0_4arch9wavefront6targetE0EEEvSY_
		.amdhsa_group_segment_fixed_size 13320
		.amdhsa_private_segment_fixed_size 0
		.amdhsa_kernarg_size 144
		.amdhsa_user_sgpr_count 2
		.amdhsa_user_sgpr_dispatch_ptr 0
		.amdhsa_user_sgpr_queue_ptr 0
		.amdhsa_user_sgpr_kernarg_segment_ptr 1
		.amdhsa_user_sgpr_dispatch_id 0
		.amdhsa_user_sgpr_private_segment_size 0
		.amdhsa_wavefront_size32 1
		.amdhsa_uses_dynamic_stack 0
		.amdhsa_enable_private_segment 0
		.amdhsa_system_sgpr_workgroup_id_x 1
		.amdhsa_system_sgpr_workgroup_id_y 0
		.amdhsa_system_sgpr_workgroup_id_z 0
		.amdhsa_system_sgpr_workgroup_info 0
		.amdhsa_system_vgpr_workitem_id 0
		.amdhsa_next_free_vgpr 69
		.amdhsa_next_free_sgpr 26
		.amdhsa_reserve_vcc 1
		.amdhsa_float_round_mode_32 0
		.amdhsa_float_round_mode_16_64 0
		.amdhsa_float_denorm_mode_32 3
		.amdhsa_float_denorm_mode_16_64 3
		.amdhsa_fp16_overflow 0
		.amdhsa_workgroup_processor_mode 1
		.amdhsa_memory_ordered 1
		.amdhsa_forward_progress 1
		.amdhsa_inst_pref_size 84
		.amdhsa_round_robin_scheduling 0
		.amdhsa_exception_fp_ieee_invalid_op 0
		.amdhsa_exception_fp_denorm_src 0
		.amdhsa_exception_fp_ieee_div_zero 0
		.amdhsa_exception_fp_ieee_overflow 0
		.amdhsa_exception_fp_ieee_underflow 0
		.amdhsa_exception_fp_ieee_inexact 0
		.amdhsa_exception_int_div_zero 0
	.end_amdhsa_kernel
	.section	.text._ZN7rocprim17ROCPRIM_400000_NS6detail17trampoline_kernelINS0_13select_configILj256ELj13ELNS0_17block_load_methodE3ELS4_3ELS4_3ELNS0_20block_scan_algorithmE0ELj4294967295EEENS1_25partition_config_selectorILNS1_17partition_subalgoE3EjNS0_10empty_typeEbEEZZNS1_14partition_implILS8_3ELb0ES6_jNS0_17counting_iteratorIjlEEPS9_SE_NS0_5tupleIJPjSE_EEENSF_IJSE_SE_EEES9_SG_JZNS1_25segmented_radix_sort_implINS0_14default_configELb1EPKdPdPKlPlN2at6native12_GLOBAL__N_18offset_tEEE10hipError_tPvRmT1_PNSt15iterator_traitsISY_E10value_typeET2_T3_PNSZ_IS14_E10value_typeET4_jRbjT5_S1A_jjP12ihipStream_tbEUljE_EEESV_SW_SX_S14_S18_S1A_T6_T7_T9_mT8_S1C_bDpT10_ENKUlT_T0_E_clISt17integral_constantIbLb0EES1P_EEDaS1K_S1L_EUlS1K_E_NS1_11comp_targetILNS1_3genE10ELNS1_11target_archE1200ELNS1_3gpuE4ELNS1_3repE0EEENS1_30default_config_static_selectorELNS0_4arch9wavefront6targetE0EEEvSY_,"axG",@progbits,_ZN7rocprim17ROCPRIM_400000_NS6detail17trampoline_kernelINS0_13select_configILj256ELj13ELNS0_17block_load_methodE3ELS4_3ELS4_3ELNS0_20block_scan_algorithmE0ELj4294967295EEENS1_25partition_config_selectorILNS1_17partition_subalgoE3EjNS0_10empty_typeEbEEZZNS1_14partition_implILS8_3ELb0ES6_jNS0_17counting_iteratorIjlEEPS9_SE_NS0_5tupleIJPjSE_EEENSF_IJSE_SE_EEES9_SG_JZNS1_25segmented_radix_sort_implINS0_14default_configELb1EPKdPdPKlPlN2at6native12_GLOBAL__N_18offset_tEEE10hipError_tPvRmT1_PNSt15iterator_traitsISY_E10value_typeET2_T3_PNSZ_IS14_E10value_typeET4_jRbjT5_S1A_jjP12ihipStream_tbEUljE_EEESV_SW_SX_S14_S18_S1A_T6_T7_T9_mT8_S1C_bDpT10_ENKUlT_T0_E_clISt17integral_constantIbLb0EES1P_EEDaS1K_S1L_EUlS1K_E_NS1_11comp_targetILNS1_3genE10ELNS1_11target_archE1200ELNS1_3gpuE4ELNS1_3repE0EEENS1_30default_config_static_selectorELNS0_4arch9wavefront6targetE0EEEvSY_,comdat
.Lfunc_end1091:
	.size	_ZN7rocprim17ROCPRIM_400000_NS6detail17trampoline_kernelINS0_13select_configILj256ELj13ELNS0_17block_load_methodE3ELS4_3ELS4_3ELNS0_20block_scan_algorithmE0ELj4294967295EEENS1_25partition_config_selectorILNS1_17partition_subalgoE3EjNS0_10empty_typeEbEEZZNS1_14partition_implILS8_3ELb0ES6_jNS0_17counting_iteratorIjlEEPS9_SE_NS0_5tupleIJPjSE_EEENSF_IJSE_SE_EEES9_SG_JZNS1_25segmented_radix_sort_implINS0_14default_configELb1EPKdPdPKlPlN2at6native12_GLOBAL__N_18offset_tEEE10hipError_tPvRmT1_PNSt15iterator_traitsISY_E10value_typeET2_T3_PNSZ_IS14_E10value_typeET4_jRbjT5_S1A_jjP12ihipStream_tbEUljE_EEESV_SW_SX_S14_S18_S1A_T6_T7_T9_mT8_S1C_bDpT10_ENKUlT_T0_E_clISt17integral_constantIbLb0EES1P_EEDaS1K_S1L_EUlS1K_E_NS1_11comp_targetILNS1_3genE10ELNS1_11target_archE1200ELNS1_3gpuE4ELNS1_3repE0EEENS1_30default_config_static_selectorELNS0_4arch9wavefront6targetE0EEEvSY_, .Lfunc_end1091-_ZN7rocprim17ROCPRIM_400000_NS6detail17trampoline_kernelINS0_13select_configILj256ELj13ELNS0_17block_load_methodE3ELS4_3ELS4_3ELNS0_20block_scan_algorithmE0ELj4294967295EEENS1_25partition_config_selectorILNS1_17partition_subalgoE3EjNS0_10empty_typeEbEEZZNS1_14partition_implILS8_3ELb0ES6_jNS0_17counting_iteratorIjlEEPS9_SE_NS0_5tupleIJPjSE_EEENSF_IJSE_SE_EEES9_SG_JZNS1_25segmented_radix_sort_implINS0_14default_configELb1EPKdPdPKlPlN2at6native12_GLOBAL__N_18offset_tEEE10hipError_tPvRmT1_PNSt15iterator_traitsISY_E10value_typeET2_T3_PNSZ_IS14_E10value_typeET4_jRbjT5_S1A_jjP12ihipStream_tbEUljE_EEESV_SW_SX_S14_S18_S1A_T6_T7_T9_mT8_S1C_bDpT10_ENKUlT_T0_E_clISt17integral_constantIbLb0EES1P_EEDaS1K_S1L_EUlS1K_E_NS1_11comp_targetILNS1_3genE10ELNS1_11target_archE1200ELNS1_3gpuE4ELNS1_3repE0EEENS1_30default_config_static_selectorELNS0_4arch9wavefront6targetE0EEEvSY_
                                        ; -- End function
	.set _ZN7rocprim17ROCPRIM_400000_NS6detail17trampoline_kernelINS0_13select_configILj256ELj13ELNS0_17block_load_methodE3ELS4_3ELS4_3ELNS0_20block_scan_algorithmE0ELj4294967295EEENS1_25partition_config_selectorILNS1_17partition_subalgoE3EjNS0_10empty_typeEbEEZZNS1_14partition_implILS8_3ELb0ES6_jNS0_17counting_iteratorIjlEEPS9_SE_NS0_5tupleIJPjSE_EEENSF_IJSE_SE_EEES9_SG_JZNS1_25segmented_radix_sort_implINS0_14default_configELb1EPKdPdPKlPlN2at6native12_GLOBAL__N_18offset_tEEE10hipError_tPvRmT1_PNSt15iterator_traitsISY_E10value_typeET2_T3_PNSZ_IS14_E10value_typeET4_jRbjT5_S1A_jjP12ihipStream_tbEUljE_EEESV_SW_SX_S14_S18_S1A_T6_T7_T9_mT8_S1C_bDpT10_ENKUlT_T0_E_clISt17integral_constantIbLb0EES1P_EEDaS1K_S1L_EUlS1K_E_NS1_11comp_targetILNS1_3genE10ELNS1_11target_archE1200ELNS1_3gpuE4ELNS1_3repE0EEENS1_30default_config_static_selectorELNS0_4arch9wavefront6targetE0EEEvSY_.num_vgpr, 69
	.set _ZN7rocprim17ROCPRIM_400000_NS6detail17trampoline_kernelINS0_13select_configILj256ELj13ELNS0_17block_load_methodE3ELS4_3ELS4_3ELNS0_20block_scan_algorithmE0ELj4294967295EEENS1_25partition_config_selectorILNS1_17partition_subalgoE3EjNS0_10empty_typeEbEEZZNS1_14partition_implILS8_3ELb0ES6_jNS0_17counting_iteratorIjlEEPS9_SE_NS0_5tupleIJPjSE_EEENSF_IJSE_SE_EEES9_SG_JZNS1_25segmented_radix_sort_implINS0_14default_configELb1EPKdPdPKlPlN2at6native12_GLOBAL__N_18offset_tEEE10hipError_tPvRmT1_PNSt15iterator_traitsISY_E10value_typeET2_T3_PNSZ_IS14_E10value_typeET4_jRbjT5_S1A_jjP12ihipStream_tbEUljE_EEESV_SW_SX_S14_S18_S1A_T6_T7_T9_mT8_S1C_bDpT10_ENKUlT_T0_E_clISt17integral_constantIbLb0EES1P_EEDaS1K_S1L_EUlS1K_E_NS1_11comp_targetILNS1_3genE10ELNS1_11target_archE1200ELNS1_3gpuE4ELNS1_3repE0EEENS1_30default_config_static_selectorELNS0_4arch9wavefront6targetE0EEEvSY_.num_agpr, 0
	.set _ZN7rocprim17ROCPRIM_400000_NS6detail17trampoline_kernelINS0_13select_configILj256ELj13ELNS0_17block_load_methodE3ELS4_3ELS4_3ELNS0_20block_scan_algorithmE0ELj4294967295EEENS1_25partition_config_selectorILNS1_17partition_subalgoE3EjNS0_10empty_typeEbEEZZNS1_14partition_implILS8_3ELb0ES6_jNS0_17counting_iteratorIjlEEPS9_SE_NS0_5tupleIJPjSE_EEENSF_IJSE_SE_EEES9_SG_JZNS1_25segmented_radix_sort_implINS0_14default_configELb1EPKdPdPKlPlN2at6native12_GLOBAL__N_18offset_tEEE10hipError_tPvRmT1_PNSt15iterator_traitsISY_E10value_typeET2_T3_PNSZ_IS14_E10value_typeET4_jRbjT5_S1A_jjP12ihipStream_tbEUljE_EEESV_SW_SX_S14_S18_S1A_T6_T7_T9_mT8_S1C_bDpT10_ENKUlT_T0_E_clISt17integral_constantIbLb0EES1P_EEDaS1K_S1L_EUlS1K_E_NS1_11comp_targetILNS1_3genE10ELNS1_11target_archE1200ELNS1_3gpuE4ELNS1_3repE0EEENS1_30default_config_static_selectorELNS0_4arch9wavefront6targetE0EEEvSY_.numbered_sgpr, 26
	.set _ZN7rocprim17ROCPRIM_400000_NS6detail17trampoline_kernelINS0_13select_configILj256ELj13ELNS0_17block_load_methodE3ELS4_3ELS4_3ELNS0_20block_scan_algorithmE0ELj4294967295EEENS1_25partition_config_selectorILNS1_17partition_subalgoE3EjNS0_10empty_typeEbEEZZNS1_14partition_implILS8_3ELb0ES6_jNS0_17counting_iteratorIjlEEPS9_SE_NS0_5tupleIJPjSE_EEENSF_IJSE_SE_EEES9_SG_JZNS1_25segmented_radix_sort_implINS0_14default_configELb1EPKdPdPKlPlN2at6native12_GLOBAL__N_18offset_tEEE10hipError_tPvRmT1_PNSt15iterator_traitsISY_E10value_typeET2_T3_PNSZ_IS14_E10value_typeET4_jRbjT5_S1A_jjP12ihipStream_tbEUljE_EEESV_SW_SX_S14_S18_S1A_T6_T7_T9_mT8_S1C_bDpT10_ENKUlT_T0_E_clISt17integral_constantIbLb0EES1P_EEDaS1K_S1L_EUlS1K_E_NS1_11comp_targetILNS1_3genE10ELNS1_11target_archE1200ELNS1_3gpuE4ELNS1_3repE0EEENS1_30default_config_static_selectorELNS0_4arch9wavefront6targetE0EEEvSY_.num_named_barrier, 0
	.set _ZN7rocprim17ROCPRIM_400000_NS6detail17trampoline_kernelINS0_13select_configILj256ELj13ELNS0_17block_load_methodE3ELS4_3ELS4_3ELNS0_20block_scan_algorithmE0ELj4294967295EEENS1_25partition_config_selectorILNS1_17partition_subalgoE3EjNS0_10empty_typeEbEEZZNS1_14partition_implILS8_3ELb0ES6_jNS0_17counting_iteratorIjlEEPS9_SE_NS0_5tupleIJPjSE_EEENSF_IJSE_SE_EEES9_SG_JZNS1_25segmented_radix_sort_implINS0_14default_configELb1EPKdPdPKlPlN2at6native12_GLOBAL__N_18offset_tEEE10hipError_tPvRmT1_PNSt15iterator_traitsISY_E10value_typeET2_T3_PNSZ_IS14_E10value_typeET4_jRbjT5_S1A_jjP12ihipStream_tbEUljE_EEESV_SW_SX_S14_S18_S1A_T6_T7_T9_mT8_S1C_bDpT10_ENKUlT_T0_E_clISt17integral_constantIbLb0EES1P_EEDaS1K_S1L_EUlS1K_E_NS1_11comp_targetILNS1_3genE10ELNS1_11target_archE1200ELNS1_3gpuE4ELNS1_3repE0EEENS1_30default_config_static_selectorELNS0_4arch9wavefront6targetE0EEEvSY_.private_seg_size, 0
	.set _ZN7rocprim17ROCPRIM_400000_NS6detail17trampoline_kernelINS0_13select_configILj256ELj13ELNS0_17block_load_methodE3ELS4_3ELS4_3ELNS0_20block_scan_algorithmE0ELj4294967295EEENS1_25partition_config_selectorILNS1_17partition_subalgoE3EjNS0_10empty_typeEbEEZZNS1_14partition_implILS8_3ELb0ES6_jNS0_17counting_iteratorIjlEEPS9_SE_NS0_5tupleIJPjSE_EEENSF_IJSE_SE_EEES9_SG_JZNS1_25segmented_radix_sort_implINS0_14default_configELb1EPKdPdPKlPlN2at6native12_GLOBAL__N_18offset_tEEE10hipError_tPvRmT1_PNSt15iterator_traitsISY_E10value_typeET2_T3_PNSZ_IS14_E10value_typeET4_jRbjT5_S1A_jjP12ihipStream_tbEUljE_EEESV_SW_SX_S14_S18_S1A_T6_T7_T9_mT8_S1C_bDpT10_ENKUlT_T0_E_clISt17integral_constantIbLb0EES1P_EEDaS1K_S1L_EUlS1K_E_NS1_11comp_targetILNS1_3genE10ELNS1_11target_archE1200ELNS1_3gpuE4ELNS1_3repE0EEENS1_30default_config_static_selectorELNS0_4arch9wavefront6targetE0EEEvSY_.uses_vcc, 1
	.set _ZN7rocprim17ROCPRIM_400000_NS6detail17trampoline_kernelINS0_13select_configILj256ELj13ELNS0_17block_load_methodE3ELS4_3ELS4_3ELNS0_20block_scan_algorithmE0ELj4294967295EEENS1_25partition_config_selectorILNS1_17partition_subalgoE3EjNS0_10empty_typeEbEEZZNS1_14partition_implILS8_3ELb0ES6_jNS0_17counting_iteratorIjlEEPS9_SE_NS0_5tupleIJPjSE_EEENSF_IJSE_SE_EEES9_SG_JZNS1_25segmented_radix_sort_implINS0_14default_configELb1EPKdPdPKlPlN2at6native12_GLOBAL__N_18offset_tEEE10hipError_tPvRmT1_PNSt15iterator_traitsISY_E10value_typeET2_T3_PNSZ_IS14_E10value_typeET4_jRbjT5_S1A_jjP12ihipStream_tbEUljE_EEESV_SW_SX_S14_S18_S1A_T6_T7_T9_mT8_S1C_bDpT10_ENKUlT_T0_E_clISt17integral_constantIbLb0EES1P_EEDaS1K_S1L_EUlS1K_E_NS1_11comp_targetILNS1_3genE10ELNS1_11target_archE1200ELNS1_3gpuE4ELNS1_3repE0EEENS1_30default_config_static_selectorELNS0_4arch9wavefront6targetE0EEEvSY_.uses_flat_scratch, 0
	.set _ZN7rocprim17ROCPRIM_400000_NS6detail17trampoline_kernelINS0_13select_configILj256ELj13ELNS0_17block_load_methodE3ELS4_3ELS4_3ELNS0_20block_scan_algorithmE0ELj4294967295EEENS1_25partition_config_selectorILNS1_17partition_subalgoE3EjNS0_10empty_typeEbEEZZNS1_14partition_implILS8_3ELb0ES6_jNS0_17counting_iteratorIjlEEPS9_SE_NS0_5tupleIJPjSE_EEENSF_IJSE_SE_EEES9_SG_JZNS1_25segmented_radix_sort_implINS0_14default_configELb1EPKdPdPKlPlN2at6native12_GLOBAL__N_18offset_tEEE10hipError_tPvRmT1_PNSt15iterator_traitsISY_E10value_typeET2_T3_PNSZ_IS14_E10value_typeET4_jRbjT5_S1A_jjP12ihipStream_tbEUljE_EEESV_SW_SX_S14_S18_S1A_T6_T7_T9_mT8_S1C_bDpT10_ENKUlT_T0_E_clISt17integral_constantIbLb0EES1P_EEDaS1K_S1L_EUlS1K_E_NS1_11comp_targetILNS1_3genE10ELNS1_11target_archE1200ELNS1_3gpuE4ELNS1_3repE0EEENS1_30default_config_static_selectorELNS0_4arch9wavefront6targetE0EEEvSY_.has_dyn_sized_stack, 0
	.set _ZN7rocprim17ROCPRIM_400000_NS6detail17trampoline_kernelINS0_13select_configILj256ELj13ELNS0_17block_load_methodE3ELS4_3ELS4_3ELNS0_20block_scan_algorithmE0ELj4294967295EEENS1_25partition_config_selectorILNS1_17partition_subalgoE3EjNS0_10empty_typeEbEEZZNS1_14partition_implILS8_3ELb0ES6_jNS0_17counting_iteratorIjlEEPS9_SE_NS0_5tupleIJPjSE_EEENSF_IJSE_SE_EEES9_SG_JZNS1_25segmented_radix_sort_implINS0_14default_configELb1EPKdPdPKlPlN2at6native12_GLOBAL__N_18offset_tEEE10hipError_tPvRmT1_PNSt15iterator_traitsISY_E10value_typeET2_T3_PNSZ_IS14_E10value_typeET4_jRbjT5_S1A_jjP12ihipStream_tbEUljE_EEESV_SW_SX_S14_S18_S1A_T6_T7_T9_mT8_S1C_bDpT10_ENKUlT_T0_E_clISt17integral_constantIbLb0EES1P_EEDaS1K_S1L_EUlS1K_E_NS1_11comp_targetILNS1_3genE10ELNS1_11target_archE1200ELNS1_3gpuE4ELNS1_3repE0EEENS1_30default_config_static_selectorELNS0_4arch9wavefront6targetE0EEEvSY_.has_recursion, 0
	.set _ZN7rocprim17ROCPRIM_400000_NS6detail17trampoline_kernelINS0_13select_configILj256ELj13ELNS0_17block_load_methodE3ELS4_3ELS4_3ELNS0_20block_scan_algorithmE0ELj4294967295EEENS1_25partition_config_selectorILNS1_17partition_subalgoE3EjNS0_10empty_typeEbEEZZNS1_14partition_implILS8_3ELb0ES6_jNS0_17counting_iteratorIjlEEPS9_SE_NS0_5tupleIJPjSE_EEENSF_IJSE_SE_EEES9_SG_JZNS1_25segmented_radix_sort_implINS0_14default_configELb1EPKdPdPKlPlN2at6native12_GLOBAL__N_18offset_tEEE10hipError_tPvRmT1_PNSt15iterator_traitsISY_E10value_typeET2_T3_PNSZ_IS14_E10value_typeET4_jRbjT5_S1A_jjP12ihipStream_tbEUljE_EEESV_SW_SX_S14_S18_S1A_T6_T7_T9_mT8_S1C_bDpT10_ENKUlT_T0_E_clISt17integral_constantIbLb0EES1P_EEDaS1K_S1L_EUlS1K_E_NS1_11comp_targetILNS1_3genE10ELNS1_11target_archE1200ELNS1_3gpuE4ELNS1_3repE0EEENS1_30default_config_static_selectorELNS0_4arch9wavefront6targetE0EEEvSY_.has_indirect_call, 0
	.section	.AMDGPU.csdata,"",@progbits
; Kernel info:
; codeLenInByte = 10676
; TotalNumSgprs: 28
; NumVgprs: 69
; ScratchSize: 0
; MemoryBound: 0
; FloatMode: 240
; IeeeMode: 1
; LDSByteSize: 13320 bytes/workgroup (compile time only)
; SGPRBlocks: 0
; VGPRBlocks: 8
; NumSGPRsForWavesPerEU: 28
; NumVGPRsForWavesPerEU: 69
; Occupancy: 16
; WaveLimiterHint : 0
; COMPUTE_PGM_RSRC2:SCRATCH_EN: 0
; COMPUTE_PGM_RSRC2:USER_SGPR: 2
; COMPUTE_PGM_RSRC2:TRAP_HANDLER: 0
; COMPUTE_PGM_RSRC2:TGID_X_EN: 1
; COMPUTE_PGM_RSRC2:TGID_Y_EN: 0
; COMPUTE_PGM_RSRC2:TGID_Z_EN: 0
; COMPUTE_PGM_RSRC2:TIDIG_COMP_CNT: 0
	.section	.text._ZN7rocprim17ROCPRIM_400000_NS6detail17trampoline_kernelINS0_13select_configILj256ELj13ELNS0_17block_load_methodE3ELS4_3ELS4_3ELNS0_20block_scan_algorithmE0ELj4294967295EEENS1_25partition_config_selectorILNS1_17partition_subalgoE3EjNS0_10empty_typeEbEEZZNS1_14partition_implILS8_3ELb0ES6_jNS0_17counting_iteratorIjlEEPS9_SE_NS0_5tupleIJPjSE_EEENSF_IJSE_SE_EEES9_SG_JZNS1_25segmented_radix_sort_implINS0_14default_configELb1EPKdPdPKlPlN2at6native12_GLOBAL__N_18offset_tEEE10hipError_tPvRmT1_PNSt15iterator_traitsISY_E10value_typeET2_T3_PNSZ_IS14_E10value_typeET4_jRbjT5_S1A_jjP12ihipStream_tbEUljE_EEESV_SW_SX_S14_S18_S1A_T6_T7_T9_mT8_S1C_bDpT10_ENKUlT_T0_E_clISt17integral_constantIbLb0EES1P_EEDaS1K_S1L_EUlS1K_E_NS1_11comp_targetILNS1_3genE9ELNS1_11target_archE1100ELNS1_3gpuE3ELNS1_3repE0EEENS1_30default_config_static_selectorELNS0_4arch9wavefront6targetE0EEEvSY_,"axG",@progbits,_ZN7rocprim17ROCPRIM_400000_NS6detail17trampoline_kernelINS0_13select_configILj256ELj13ELNS0_17block_load_methodE3ELS4_3ELS4_3ELNS0_20block_scan_algorithmE0ELj4294967295EEENS1_25partition_config_selectorILNS1_17partition_subalgoE3EjNS0_10empty_typeEbEEZZNS1_14partition_implILS8_3ELb0ES6_jNS0_17counting_iteratorIjlEEPS9_SE_NS0_5tupleIJPjSE_EEENSF_IJSE_SE_EEES9_SG_JZNS1_25segmented_radix_sort_implINS0_14default_configELb1EPKdPdPKlPlN2at6native12_GLOBAL__N_18offset_tEEE10hipError_tPvRmT1_PNSt15iterator_traitsISY_E10value_typeET2_T3_PNSZ_IS14_E10value_typeET4_jRbjT5_S1A_jjP12ihipStream_tbEUljE_EEESV_SW_SX_S14_S18_S1A_T6_T7_T9_mT8_S1C_bDpT10_ENKUlT_T0_E_clISt17integral_constantIbLb0EES1P_EEDaS1K_S1L_EUlS1K_E_NS1_11comp_targetILNS1_3genE9ELNS1_11target_archE1100ELNS1_3gpuE3ELNS1_3repE0EEENS1_30default_config_static_selectorELNS0_4arch9wavefront6targetE0EEEvSY_,comdat
	.globl	_ZN7rocprim17ROCPRIM_400000_NS6detail17trampoline_kernelINS0_13select_configILj256ELj13ELNS0_17block_load_methodE3ELS4_3ELS4_3ELNS0_20block_scan_algorithmE0ELj4294967295EEENS1_25partition_config_selectorILNS1_17partition_subalgoE3EjNS0_10empty_typeEbEEZZNS1_14partition_implILS8_3ELb0ES6_jNS0_17counting_iteratorIjlEEPS9_SE_NS0_5tupleIJPjSE_EEENSF_IJSE_SE_EEES9_SG_JZNS1_25segmented_radix_sort_implINS0_14default_configELb1EPKdPdPKlPlN2at6native12_GLOBAL__N_18offset_tEEE10hipError_tPvRmT1_PNSt15iterator_traitsISY_E10value_typeET2_T3_PNSZ_IS14_E10value_typeET4_jRbjT5_S1A_jjP12ihipStream_tbEUljE_EEESV_SW_SX_S14_S18_S1A_T6_T7_T9_mT8_S1C_bDpT10_ENKUlT_T0_E_clISt17integral_constantIbLb0EES1P_EEDaS1K_S1L_EUlS1K_E_NS1_11comp_targetILNS1_3genE9ELNS1_11target_archE1100ELNS1_3gpuE3ELNS1_3repE0EEENS1_30default_config_static_selectorELNS0_4arch9wavefront6targetE0EEEvSY_ ; -- Begin function _ZN7rocprim17ROCPRIM_400000_NS6detail17trampoline_kernelINS0_13select_configILj256ELj13ELNS0_17block_load_methodE3ELS4_3ELS4_3ELNS0_20block_scan_algorithmE0ELj4294967295EEENS1_25partition_config_selectorILNS1_17partition_subalgoE3EjNS0_10empty_typeEbEEZZNS1_14partition_implILS8_3ELb0ES6_jNS0_17counting_iteratorIjlEEPS9_SE_NS0_5tupleIJPjSE_EEENSF_IJSE_SE_EEES9_SG_JZNS1_25segmented_radix_sort_implINS0_14default_configELb1EPKdPdPKlPlN2at6native12_GLOBAL__N_18offset_tEEE10hipError_tPvRmT1_PNSt15iterator_traitsISY_E10value_typeET2_T3_PNSZ_IS14_E10value_typeET4_jRbjT5_S1A_jjP12ihipStream_tbEUljE_EEESV_SW_SX_S14_S18_S1A_T6_T7_T9_mT8_S1C_bDpT10_ENKUlT_T0_E_clISt17integral_constantIbLb0EES1P_EEDaS1K_S1L_EUlS1K_E_NS1_11comp_targetILNS1_3genE9ELNS1_11target_archE1100ELNS1_3gpuE3ELNS1_3repE0EEENS1_30default_config_static_selectorELNS0_4arch9wavefront6targetE0EEEvSY_
	.p2align	8
	.type	_ZN7rocprim17ROCPRIM_400000_NS6detail17trampoline_kernelINS0_13select_configILj256ELj13ELNS0_17block_load_methodE3ELS4_3ELS4_3ELNS0_20block_scan_algorithmE0ELj4294967295EEENS1_25partition_config_selectorILNS1_17partition_subalgoE3EjNS0_10empty_typeEbEEZZNS1_14partition_implILS8_3ELb0ES6_jNS0_17counting_iteratorIjlEEPS9_SE_NS0_5tupleIJPjSE_EEENSF_IJSE_SE_EEES9_SG_JZNS1_25segmented_radix_sort_implINS0_14default_configELb1EPKdPdPKlPlN2at6native12_GLOBAL__N_18offset_tEEE10hipError_tPvRmT1_PNSt15iterator_traitsISY_E10value_typeET2_T3_PNSZ_IS14_E10value_typeET4_jRbjT5_S1A_jjP12ihipStream_tbEUljE_EEESV_SW_SX_S14_S18_S1A_T6_T7_T9_mT8_S1C_bDpT10_ENKUlT_T0_E_clISt17integral_constantIbLb0EES1P_EEDaS1K_S1L_EUlS1K_E_NS1_11comp_targetILNS1_3genE9ELNS1_11target_archE1100ELNS1_3gpuE3ELNS1_3repE0EEENS1_30default_config_static_selectorELNS0_4arch9wavefront6targetE0EEEvSY_,@function
_ZN7rocprim17ROCPRIM_400000_NS6detail17trampoline_kernelINS0_13select_configILj256ELj13ELNS0_17block_load_methodE3ELS4_3ELS4_3ELNS0_20block_scan_algorithmE0ELj4294967295EEENS1_25partition_config_selectorILNS1_17partition_subalgoE3EjNS0_10empty_typeEbEEZZNS1_14partition_implILS8_3ELb0ES6_jNS0_17counting_iteratorIjlEEPS9_SE_NS0_5tupleIJPjSE_EEENSF_IJSE_SE_EEES9_SG_JZNS1_25segmented_radix_sort_implINS0_14default_configELb1EPKdPdPKlPlN2at6native12_GLOBAL__N_18offset_tEEE10hipError_tPvRmT1_PNSt15iterator_traitsISY_E10value_typeET2_T3_PNSZ_IS14_E10value_typeET4_jRbjT5_S1A_jjP12ihipStream_tbEUljE_EEESV_SW_SX_S14_S18_S1A_T6_T7_T9_mT8_S1C_bDpT10_ENKUlT_T0_E_clISt17integral_constantIbLb0EES1P_EEDaS1K_S1L_EUlS1K_E_NS1_11comp_targetILNS1_3genE9ELNS1_11target_archE1100ELNS1_3gpuE3ELNS1_3repE0EEENS1_30default_config_static_selectorELNS0_4arch9wavefront6targetE0EEEvSY_: ; @_ZN7rocprim17ROCPRIM_400000_NS6detail17trampoline_kernelINS0_13select_configILj256ELj13ELNS0_17block_load_methodE3ELS4_3ELS4_3ELNS0_20block_scan_algorithmE0ELj4294967295EEENS1_25partition_config_selectorILNS1_17partition_subalgoE3EjNS0_10empty_typeEbEEZZNS1_14partition_implILS8_3ELb0ES6_jNS0_17counting_iteratorIjlEEPS9_SE_NS0_5tupleIJPjSE_EEENSF_IJSE_SE_EEES9_SG_JZNS1_25segmented_radix_sort_implINS0_14default_configELb1EPKdPdPKlPlN2at6native12_GLOBAL__N_18offset_tEEE10hipError_tPvRmT1_PNSt15iterator_traitsISY_E10value_typeET2_T3_PNSZ_IS14_E10value_typeET4_jRbjT5_S1A_jjP12ihipStream_tbEUljE_EEESV_SW_SX_S14_S18_S1A_T6_T7_T9_mT8_S1C_bDpT10_ENKUlT_T0_E_clISt17integral_constantIbLb0EES1P_EEDaS1K_S1L_EUlS1K_E_NS1_11comp_targetILNS1_3genE9ELNS1_11target_archE1100ELNS1_3gpuE3ELNS1_3repE0EEENS1_30default_config_static_selectorELNS0_4arch9wavefront6targetE0EEEvSY_
; %bb.0:
	.section	.rodata,"a",@progbits
	.p2align	6, 0x0
	.amdhsa_kernel _ZN7rocprim17ROCPRIM_400000_NS6detail17trampoline_kernelINS0_13select_configILj256ELj13ELNS0_17block_load_methodE3ELS4_3ELS4_3ELNS0_20block_scan_algorithmE0ELj4294967295EEENS1_25partition_config_selectorILNS1_17partition_subalgoE3EjNS0_10empty_typeEbEEZZNS1_14partition_implILS8_3ELb0ES6_jNS0_17counting_iteratorIjlEEPS9_SE_NS0_5tupleIJPjSE_EEENSF_IJSE_SE_EEES9_SG_JZNS1_25segmented_radix_sort_implINS0_14default_configELb1EPKdPdPKlPlN2at6native12_GLOBAL__N_18offset_tEEE10hipError_tPvRmT1_PNSt15iterator_traitsISY_E10value_typeET2_T3_PNSZ_IS14_E10value_typeET4_jRbjT5_S1A_jjP12ihipStream_tbEUljE_EEESV_SW_SX_S14_S18_S1A_T6_T7_T9_mT8_S1C_bDpT10_ENKUlT_T0_E_clISt17integral_constantIbLb0EES1P_EEDaS1K_S1L_EUlS1K_E_NS1_11comp_targetILNS1_3genE9ELNS1_11target_archE1100ELNS1_3gpuE3ELNS1_3repE0EEENS1_30default_config_static_selectorELNS0_4arch9wavefront6targetE0EEEvSY_
		.amdhsa_group_segment_fixed_size 0
		.amdhsa_private_segment_fixed_size 0
		.amdhsa_kernarg_size 144
		.amdhsa_user_sgpr_count 2
		.amdhsa_user_sgpr_dispatch_ptr 0
		.amdhsa_user_sgpr_queue_ptr 0
		.amdhsa_user_sgpr_kernarg_segment_ptr 1
		.amdhsa_user_sgpr_dispatch_id 0
		.amdhsa_user_sgpr_private_segment_size 0
		.amdhsa_wavefront_size32 1
		.amdhsa_uses_dynamic_stack 0
		.amdhsa_enable_private_segment 0
		.amdhsa_system_sgpr_workgroup_id_x 1
		.amdhsa_system_sgpr_workgroup_id_y 0
		.amdhsa_system_sgpr_workgroup_id_z 0
		.amdhsa_system_sgpr_workgroup_info 0
		.amdhsa_system_vgpr_workitem_id 0
		.amdhsa_next_free_vgpr 1
		.amdhsa_next_free_sgpr 1
		.amdhsa_reserve_vcc 0
		.amdhsa_float_round_mode_32 0
		.amdhsa_float_round_mode_16_64 0
		.amdhsa_float_denorm_mode_32 3
		.amdhsa_float_denorm_mode_16_64 3
		.amdhsa_fp16_overflow 0
		.amdhsa_workgroup_processor_mode 1
		.amdhsa_memory_ordered 1
		.amdhsa_forward_progress 1
		.amdhsa_inst_pref_size 0
		.amdhsa_round_robin_scheduling 0
		.amdhsa_exception_fp_ieee_invalid_op 0
		.amdhsa_exception_fp_denorm_src 0
		.amdhsa_exception_fp_ieee_div_zero 0
		.amdhsa_exception_fp_ieee_overflow 0
		.amdhsa_exception_fp_ieee_underflow 0
		.amdhsa_exception_fp_ieee_inexact 0
		.amdhsa_exception_int_div_zero 0
	.end_amdhsa_kernel
	.section	.text._ZN7rocprim17ROCPRIM_400000_NS6detail17trampoline_kernelINS0_13select_configILj256ELj13ELNS0_17block_load_methodE3ELS4_3ELS4_3ELNS0_20block_scan_algorithmE0ELj4294967295EEENS1_25partition_config_selectorILNS1_17partition_subalgoE3EjNS0_10empty_typeEbEEZZNS1_14partition_implILS8_3ELb0ES6_jNS0_17counting_iteratorIjlEEPS9_SE_NS0_5tupleIJPjSE_EEENSF_IJSE_SE_EEES9_SG_JZNS1_25segmented_radix_sort_implINS0_14default_configELb1EPKdPdPKlPlN2at6native12_GLOBAL__N_18offset_tEEE10hipError_tPvRmT1_PNSt15iterator_traitsISY_E10value_typeET2_T3_PNSZ_IS14_E10value_typeET4_jRbjT5_S1A_jjP12ihipStream_tbEUljE_EEESV_SW_SX_S14_S18_S1A_T6_T7_T9_mT8_S1C_bDpT10_ENKUlT_T0_E_clISt17integral_constantIbLb0EES1P_EEDaS1K_S1L_EUlS1K_E_NS1_11comp_targetILNS1_3genE9ELNS1_11target_archE1100ELNS1_3gpuE3ELNS1_3repE0EEENS1_30default_config_static_selectorELNS0_4arch9wavefront6targetE0EEEvSY_,"axG",@progbits,_ZN7rocprim17ROCPRIM_400000_NS6detail17trampoline_kernelINS0_13select_configILj256ELj13ELNS0_17block_load_methodE3ELS4_3ELS4_3ELNS0_20block_scan_algorithmE0ELj4294967295EEENS1_25partition_config_selectorILNS1_17partition_subalgoE3EjNS0_10empty_typeEbEEZZNS1_14partition_implILS8_3ELb0ES6_jNS0_17counting_iteratorIjlEEPS9_SE_NS0_5tupleIJPjSE_EEENSF_IJSE_SE_EEES9_SG_JZNS1_25segmented_radix_sort_implINS0_14default_configELb1EPKdPdPKlPlN2at6native12_GLOBAL__N_18offset_tEEE10hipError_tPvRmT1_PNSt15iterator_traitsISY_E10value_typeET2_T3_PNSZ_IS14_E10value_typeET4_jRbjT5_S1A_jjP12ihipStream_tbEUljE_EEESV_SW_SX_S14_S18_S1A_T6_T7_T9_mT8_S1C_bDpT10_ENKUlT_T0_E_clISt17integral_constantIbLb0EES1P_EEDaS1K_S1L_EUlS1K_E_NS1_11comp_targetILNS1_3genE9ELNS1_11target_archE1100ELNS1_3gpuE3ELNS1_3repE0EEENS1_30default_config_static_selectorELNS0_4arch9wavefront6targetE0EEEvSY_,comdat
.Lfunc_end1092:
	.size	_ZN7rocprim17ROCPRIM_400000_NS6detail17trampoline_kernelINS0_13select_configILj256ELj13ELNS0_17block_load_methodE3ELS4_3ELS4_3ELNS0_20block_scan_algorithmE0ELj4294967295EEENS1_25partition_config_selectorILNS1_17partition_subalgoE3EjNS0_10empty_typeEbEEZZNS1_14partition_implILS8_3ELb0ES6_jNS0_17counting_iteratorIjlEEPS9_SE_NS0_5tupleIJPjSE_EEENSF_IJSE_SE_EEES9_SG_JZNS1_25segmented_radix_sort_implINS0_14default_configELb1EPKdPdPKlPlN2at6native12_GLOBAL__N_18offset_tEEE10hipError_tPvRmT1_PNSt15iterator_traitsISY_E10value_typeET2_T3_PNSZ_IS14_E10value_typeET4_jRbjT5_S1A_jjP12ihipStream_tbEUljE_EEESV_SW_SX_S14_S18_S1A_T6_T7_T9_mT8_S1C_bDpT10_ENKUlT_T0_E_clISt17integral_constantIbLb0EES1P_EEDaS1K_S1L_EUlS1K_E_NS1_11comp_targetILNS1_3genE9ELNS1_11target_archE1100ELNS1_3gpuE3ELNS1_3repE0EEENS1_30default_config_static_selectorELNS0_4arch9wavefront6targetE0EEEvSY_, .Lfunc_end1092-_ZN7rocprim17ROCPRIM_400000_NS6detail17trampoline_kernelINS0_13select_configILj256ELj13ELNS0_17block_load_methodE3ELS4_3ELS4_3ELNS0_20block_scan_algorithmE0ELj4294967295EEENS1_25partition_config_selectorILNS1_17partition_subalgoE3EjNS0_10empty_typeEbEEZZNS1_14partition_implILS8_3ELb0ES6_jNS0_17counting_iteratorIjlEEPS9_SE_NS0_5tupleIJPjSE_EEENSF_IJSE_SE_EEES9_SG_JZNS1_25segmented_radix_sort_implINS0_14default_configELb1EPKdPdPKlPlN2at6native12_GLOBAL__N_18offset_tEEE10hipError_tPvRmT1_PNSt15iterator_traitsISY_E10value_typeET2_T3_PNSZ_IS14_E10value_typeET4_jRbjT5_S1A_jjP12ihipStream_tbEUljE_EEESV_SW_SX_S14_S18_S1A_T6_T7_T9_mT8_S1C_bDpT10_ENKUlT_T0_E_clISt17integral_constantIbLb0EES1P_EEDaS1K_S1L_EUlS1K_E_NS1_11comp_targetILNS1_3genE9ELNS1_11target_archE1100ELNS1_3gpuE3ELNS1_3repE0EEENS1_30default_config_static_selectorELNS0_4arch9wavefront6targetE0EEEvSY_
                                        ; -- End function
	.set _ZN7rocprim17ROCPRIM_400000_NS6detail17trampoline_kernelINS0_13select_configILj256ELj13ELNS0_17block_load_methodE3ELS4_3ELS4_3ELNS0_20block_scan_algorithmE0ELj4294967295EEENS1_25partition_config_selectorILNS1_17partition_subalgoE3EjNS0_10empty_typeEbEEZZNS1_14partition_implILS8_3ELb0ES6_jNS0_17counting_iteratorIjlEEPS9_SE_NS0_5tupleIJPjSE_EEENSF_IJSE_SE_EEES9_SG_JZNS1_25segmented_radix_sort_implINS0_14default_configELb1EPKdPdPKlPlN2at6native12_GLOBAL__N_18offset_tEEE10hipError_tPvRmT1_PNSt15iterator_traitsISY_E10value_typeET2_T3_PNSZ_IS14_E10value_typeET4_jRbjT5_S1A_jjP12ihipStream_tbEUljE_EEESV_SW_SX_S14_S18_S1A_T6_T7_T9_mT8_S1C_bDpT10_ENKUlT_T0_E_clISt17integral_constantIbLb0EES1P_EEDaS1K_S1L_EUlS1K_E_NS1_11comp_targetILNS1_3genE9ELNS1_11target_archE1100ELNS1_3gpuE3ELNS1_3repE0EEENS1_30default_config_static_selectorELNS0_4arch9wavefront6targetE0EEEvSY_.num_vgpr, 0
	.set _ZN7rocprim17ROCPRIM_400000_NS6detail17trampoline_kernelINS0_13select_configILj256ELj13ELNS0_17block_load_methodE3ELS4_3ELS4_3ELNS0_20block_scan_algorithmE0ELj4294967295EEENS1_25partition_config_selectorILNS1_17partition_subalgoE3EjNS0_10empty_typeEbEEZZNS1_14partition_implILS8_3ELb0ES6_jNS0_17counting_iteratorIjlEEPS9_SE_NS0_5tupleIJPjSE_EEENSF_IJSE_SE_EEES9_SG_JZNS1_25segmented_radix_sort_implINS0_14default_configELb1EPKdPdPKlPlN2at6native12_GLOBAL__N_18offset_tEEE10hipError_tPvRmT1_PNSt15iterator_traitsISY_E10value_typeET2_T3_PNSZ_IS14_E10value_typeET4_jRbjT5_S1A_jjP12ihipStream_tbEUljE_EEESV_SW_SX_S14_S18_S1A_T6_T7_T9_mT8_S1C_bDpT10_ENKUlT_T0_E_clISt17integral_constantIbLb0EES1P_EEDaS1K_S1L_EUlS1K_E_NS1_11comp_targetILNS1_3genE9ELNS1_11target_archE1100ELNS1_3gpuE3ELNS1_3repE0EEENS1_30default_config_static_selectorELNS0_4arch9wavefront6targetE0EEEvSY_.num_agpr, 0
	.set _ZN7rocprim17ROCPRIM_400000_NS6detail17trampoline_kernelINS0_13select_configILj256ELj13ELNS0_17block_load_methodE3ELS4_3ELS4_3ELNS0_20block_scan_algorithmE0ELj4294967295EEENS1_25partition_config_selectorILNS1_17partition_subalgoE3EjNS0_10empty_typeEbEEZZNS1_14partition_implILS8_3ELb0ES6_jNS0_17counting_iteratorIjlEEPS9_SE_NS0_5tupleIJPjSE_EEENSF_IJSE_SE_EEES9_SG_JZNS1_25segmented_radix_sort_implINS0_14default_configELb1EPKdPdPKlPlN2at6native12_GLOBAL__N_18offset_tEEE10hipError_tPvRmT1_PNSt15iterator_traitsISY_E10value_typeET2_T3_PNSZ_IS14_E10value_typeET4_jRbjT5_S1A_jjP12ihipStream_tbEUljE_EEESV_SW_SX_S14_S18_S1A_T6_T7_T9_mT8_S1C_bDpT10_ENKUlT_T0_E_clISt17integral_constantIbLb0EES1P_EEDaS1K_S1L_EUlS1K_E_NS1_11comp_targetILNS1_3genE9ELNS1_11target_archE1100ELNS1_3gpuE3ELNS1_3repE0EEENS1_30default_config_static_selectorELNS0_4arch9wavefront6targetE0EEEvSY_.numbered_sgpr, 0
	.set _ZN7rocprim17ROCPRIM_400000_NS6detail17trampoline_kernelINS0_13select_configILj256ELj13ELNS0_17block_load_methodE3ELS4_3ELS4_3ELNS0_20block_scan_algorithmE0ELj4294967295EEENS1_25partition_config_selectorILNS1_17partition_subalgoE3EjNS0_10empty_typeEbEEZZNS1_14partition_implILS8_3ELb0ES6_jNS0_17counting_iteratorIjlEEPS9_SE_NS0_5tupleIJPjSE_EEENSF_IJSE_SE_EEES9_SG_JZNS1_25segmented_radix_sort_implINS0_14default_configELb1EPKdPdPKlPlN2at6native12_GLOBAL__N_18offset_tEEE10hipError_tPvRmT1_PNSt15iterator_traitsISY_E10value_typeET2_T3_PNSZ_IS14_E10value_typeET4_jRbjT5_S1A_jjP12ihipStream_tbEUljE_EEESV_SW_SX_S14_S18_S1A_T6_T7_T9_mT8_S1C_bDpT10_ENKUlT_T0_E_clISt17integral_constantIbLb0EES1P_EEDaS1K_S1L_EUlS1K_E_NS1_11comp_targetILNS1_3genE9ELNS1_11target_archE1100ELNS1_3gpuE3ELNS1_3repE0EEENS1_30default_config_static_selectorELNS0_4arch9wavefront6targetE0EEEvSY_.num_named_barrier, 0
	.set _ZN7rocprim17ROCPRIM_400000_NS6detail17trampoline_kernelINS0_13select_configILj256ELj13ELNS0_17block_load_methodE3ELS4_3ELS4_3ELNS0_20block_scan_algorithmE0ELj4294967295EEENS1_25partition_config_selectorILNS1_17partition_subalgoE3EjNS0_10empty_typeEbEEZZNS1_14partition_implILS8_3ELb0ES6_jNS0_17counting_iteratorIjlEEPS9_SE_NS0_5tupleIJPjSE_EEENSF_IJSE_SE_EEES9_SG_JZNS1_25segmented_radix_sort_implINS0_14default_configELb1EPKdPdPKlPlN2at6native12_GLOBAL__N_18offset_tEEE10hipError_tPvRmT1_PNSt15iterator_traitsISY_E10value_typeET2_T3_PNSZ_IS14_E10value_typeET4_jRbjT5_S1A_jjP12ihipStream_tbEUljE_EEESV_SW_SX_S14_S18_S1A_T6_T7_T9_mT8_S1C_bDpT10_ENKUlT_T0_E_clISt17integral_constantIbLb0EES1P_EEDaS1K_S1L_EUlS1K_E_NS1_11comp_targetILNS1_3genE9ELNS1_11target_archE1100ELNS1_3gpuE3ELNS1_3repE0EEENS1_30default_config_static_selectorELNS0_4arch9wavefront6targetE0EEEvSY_.private_seg_size, 0
	.set _ZN7rocprim17ROCPRIM_400000_NS6detail17trampoline_kernelINS0_13select_configILj256ELj13ELNS0_17block_load_methodE3ELS4_3ELS4_3ELNS0_20block_scan_algorithmE0ELj4294967295EEENS1_25partition_config_selectorILNS1_17partition_subalgoE3EjNS0_10empty_typeEbEEZZNS1_14partition_implILS8_3ELb0ES6_jNS0_17counting_iteratorIjlEEPS9_SE_NS0_5tupleIJPjSE_EEENSF_IJSE_SE_EEES9_SG_JZNS1_25segmented_radix_sort_implINS0_14default_configELb1EPKdPdPKlPlN2at6native12_GLOBAL__N_18offset_tEEE10hipError_tPvRmT1_PNSt15iterator_traitsISY_E10value_typeET2_T3_PNSZ_IS14_E10value_typeET4_jRbjT5_S1A_jjP12ihipStream_tbEUljE_EEESV_SW_SX_S14_S18_S1A_T6_T7_T9_mT8_S1C_bDpT10_ENKUlT_T0_E_clISt17integral_constantIbLb0EES1P_EEDaS1K_S1L_EUlS1K_E_NS1_11comp_targetILNS1_3genE9ELNS1_11target_archE1100ELNS1_3gpuE3ELNS1_3repE0EEENS1_30default_config_static_selectorELNS0_4arch9wavefront6targetE0EEEvSY_.uses_vcc, 0
	.set _ZN7rocprim17ROCPRIM_400000_NS6detail17trampoline_kernelINS0_13select_configILj256ELj13ELNS0_17block_load_methodE3ELS4_3ELS4_3ELNS0_20block_scan_algorithmE0ELj4294967295EEENS1_25partition_config_selectorILNS1_17partition_subalgoE3EjNS0_10empty_typeEbEEZZNS1_14partition_implILS8_3ELb0ES6_jNS0_17counting_iteratorIjlEEPS9_SE_NS0_5tupleIJPjSE_EEENSF_IJSE_SE_EEES9_SG_JZNS1_25segmented_radix_sort_implINS0_14default_configELb1EPKdPdPKlPlN2at6native12_GLOBAL__N_18offset_tEEE10hipError_tPvRmT1_PNSt15iterator_traitsISY_E10value_typeET2_T3_PNSZ_IS14_E10value_typeET4_jRbjT5_S1A_jjP12ihipStream_tbEUljE_EEESV_SW_SX_S14_S18_S1A_T6_T7_T9_mT8_S1C_bDpT10_ENKUlT_T0_E_clISt17integral_constantIbLb0EES1P_EEDaS1K_S1L_EUlS1K_E_NS1_11comp_targetILNS1_3genE9ELNS1_11target_archE1100ELNS1_3gpuE3ELNS1_3repE0EEENS1_30default_config_static_selectorELNS0_4arch9wavefront6targetE0EEEvSY_.uses_flat_scratch, 0
	.set _ZN7rocprim17ROCPRIM_400000_NS6detail17trampoline_kernelINS0_13select_configILj256ELj13ELNS0_17block_load_methodE3ELS4_3ELS4_3ELNS0_20block_scan_algorithmE0ELj4294967295EEENS1_25partition_config_selectorILNS1_17partition_subalgoE3EjNS0_10empty_typeEbEEZZNS1_14partition_implILS8_3ELb0ES6_jNS0_17counting_iteratorIjlEEPS9_SE_NS0_5tupleIJPjSE_EEENSF_IJSE_SE_EEES9_SG_JZNS1_25segmented_radix_sort_implINS0_14default_configELb1EPKdPdPKlPlN2at6native12_GLOBAL__N_18offset_tEEE10hipError_tPvRmT1_PNSt15iterator_traitsISY_E10value_typeET2_T3_PNSZ_IS14_E10value_typeET4_jRbjT5_S1A_jjP12ihipStream_tbEUljE_EEESV_SW_SX_S14_S18_S1A_T6_T7_T9_mT8_S1C_bDpT10_ENKUlT_T0_E_clISt17integral_constantIbLb0EES1P_EEDaS1K_S1L_EUlS1K_E_NS1_11comp_targetILNS1_3genE9ELNS1_11target_archE1100ELNS1_3gpuE3ELNS1_3repE0EEENS1_30default_config_static_selectorELNS0_4arch9wavefront6targetE0EEEvSY_.has_dyn_sized_stack, 0
	.set _ZN7rocprim17ROCPRIM_400000_NS6detail17trampoline_kernelINS0_13select_configILj256ELj13ELNS0_17block_load_methodE3ELS4_3ELS4_3ELNS0_20block_scan_algorithmE0ELj4294967295EEENS1_25partition_config_selectorILNS1_17partition_subalgoE3EjNS0_10empty_typeEbEEZZNS1_14partition_implILS8_3ELb0ES6_jNS0_17counting_iteratorIjlEEPS9_SE_NS0_5tupleIJPjSE_EEENSF_IJSE_SE_EEES9_SG_JZNS1_25segmented_radix_sort_implINS0_14default_configELb1EPKdPdPKlPlN2at6native12_GLOBAL__N_18offset_tEEE10hipError_tPvRmT1_PNSt15iterator_traitsISY_E10value_typeET2_T3_PNSZ_IS14_E10value_typeET4_jRbjT5_S1A_jjP12ihipStream_tbEUljE_EEESV_SW_SX_S14_S18_S1A_T6_T7_T9_mT8_S1C_bDpT10_ENKUlT_T0_E_clISt17integral_constantIbLb0EES1P_EEDaS1K_S1L_EUlS1K_E_NS1_11comp_targetILNS1_3genE9ELNS1_11target_archE1100ELNS1_3gpuE3ELNS1_3repE0EEENS1_30default_config_static_selectorELNS0_4arch9wavefront6targetE0EEEvSY_.has_recursion, 0
	.set _ZN7rocprim17ROCPRIM_400000_NS6detail17trampoline_kernelINS0_13select_configILj256ELj13ELNS0_17block_load_methodE3ELS4_3ELS4_3ELNS0_20block_scan_algorithmE0ELj4294967295EEENS1_25partition_config_selectorILNS1_17partition_subalgoE3EjNS0_10empty_typeEbEEZZNS1_14partition_implILS8_3ELb0ES6_jNS0_17counting_iteratorIjlEEPS9_SE_NS0_5tupleIJPjSE_EEENSF_IJSE_SE_EEES9_SG_JZNS1_25segmented_radix_sort_implINS0_14default_configELb1EPKdPdPKlPlN2at6native12_GLOBAL__N_18offset_tEEE10hipError_tPvRmT1_PNSt15iterator_traitsISY_E10value_typeET2_T3_PNSZ_IS14_E10value_typeET4_jRbjT5_S1A_jjP12ihipStream_tbEUljE_EEESV_SW_SX_S14_S18_S1A_T6_T7_T9_mT8_S1C_bDpT10_ENKUlT_T0_E_clISt17integral_constantIbLb0EES1P_EEDaS1K_S1L_EUlS1K_E_NS1_11comp_targetILNS1_3genE9ELNS1_11target_archE1100ELNS1_3gpuE3ELNS1_3repE0EEENS1_30default_config_static_selectorELNS0_4arch9wavefront6targetE0EEEvSY_.has_indirect_call, 0
	.section	.AMDGPU.csdata,"",@progbits
; Kernel info:
; codeLenInByte = 0
; TotalNumSgprs: 0
; NumVgprs: 0
; ScratchSize: 0
; MemoryBound: 0
; FloatMode: 240
; IeeeMode: 1
; LDSByteSize: 0 bytes/workgroup (compile time only)
; SGPRBlocks: 0
; VGPRBlocks: 0
; NumSGPRsForWavesPerEU: 1
; NumVGPRsForWavesPerEU: 1
; Occupancy: 16
; WaveLimiterHint : 0
; COMPUTE_PGM_RSRC2:SCRATCH_EN: 0
; COMPUTE_PGM_RSRC2:USER_SGPR: 2
; COMPUTE_PGM_RSRC2:TRAP_HANDLER: 0
; COMPUTE_PGM_RSRC2:TGID_X_EN: 1
; COMPUTE_PGM_RSRC2:TGID_Y_EN: 0
; COMPUTE_PGM_RSRC2:TGID_Z_EN: 0
; COMPUTE_PGM_RSRC2:TIDIG_COMP_CNT: 0
	.section	.text._ZN7rocprim17ROCPRIM_400000_NS6detail17trampoline_kernelINS0_13select_configILj256ELj13ELNS0_17block_load_methodE3ELS4_3ELS4_3ELNS0_20block_scan_algorithmE0ELj4294967295EEENS1_25partition_config_selectorILNS1_17partition_subalgoE3EjNS0_10empty_typeEbEEZZNS1_14partition_implILS8_3ELb0ES6_jNS0_17counting_iteratorIjlEEPS9_SE_NS0_5tupleIJPjSE_EEENSF_IJSE_SE_EEES9_SG_JZNS1_25segmented_radix_sort_implINS0_14default_configELb1EPKdPdPKlPlN2at6native12_GLOBAL__N_18offset_tEEE10hipError_tPvRmT1_PNSt15iterator_traitsISY_E10value_typeET2_T3_PNSZ_IS14_E10value_typeET4_jRbjT5_S1A_jjP12ihipStream_tbEUljE_EEESV_SW_SX_S14_S18_S1A_T6_T7_T9_mT8_S1C_bDpT10_ENKUlT_T0_E_clISt17integral_constantIbLb0EES1P_EEDaS1K_S1L_EUlS1K_E_NS1_11comp_targetILNS1_3genE8ELNS1_11target_archE1030ELNS1_3gpuE2ELNS1_3repE0EEENS1_30default_config_static_selectorELNS0_4arch9wavefront6targetE0EEEvSY_,"axG",@progbits,_ZN7rocprim17ROCPRIM_400000_NS6detail17trampoline_kernelINS0_13select_configILj256ELj13ELNS0_17block_load_methodE3ELS4_3ELS4_3ELNS0_20block_scan_algorithmE0ELj4294967295EEENS1_25partition_config_selectorILNS1_17partition_subalgoE3EjNS0_10empty_typeEbEEZZNS1_14partition_implILS8_3ELb0ES6_jNS0_17counting_iteratorIjlEEPS9_SE_NS0_5tupleIJPjSE_EEENSF_IJSE_SE_EEES9_SG_JZNS1_25segmented_radix_sort_implINS0_14default_configELb1EPKdPdPKlPlN2at6native12_GLOBAL__N_18offset_tEEE10hipError_tPvRmT1_PNSt15iterator_traitsISY_E10value_typeET2_T3_PNSZ_IS14_E10value_typeET4_jRbjT5_S1A_jjP12ihipStream_tbEUljE_EEESV_SW_SX_S14_S18_S1A_T6_T7_T9_mT8_S1C_bDpT10_ENKUlT_T0_E_clISt17integral_constantIbLb0EES1P_EEDaS1K_S1L_EUlS1K_E_NS1_11comp_targetILNS1_3genE8ELNS1_11target_archE1030ELNS1_3gpuE2ELNS1_3repE0EEENS1_30default_config_static_selectorELNS0_4arch9wavefront6targetE0EEEvSY_,comdat
	.globl	_ZN7rocprim17ROCPRIM_400000_NS6detail17trampoline_kernelINS0_13select_configILj256ELj13ELNS0_17block_load_methodE3ELS4_3ELS4_3ELNS0_20block_scan_algorithmE0ELj4294967295EEENS1_25partition_config_selectorILNS1_17partition_subalgoE3EjNS0_10empty_typeEbEEZZNS1_14partition_implILS8_3ELb0ES6_jNS0_17counting_iteratorIjlEEPS9_SE_NS0_5tupleIJPjSE_EEENSF_IJSE_SE_EEES9_SG_JZNS1_25segmented_radix_sort_implINS0_14default_configELb1EPKdPdPKlPlN2at6native12_GLOBAL__N_18offset_tEEE10hipError_tPvRmT1_PNSt15iterator_traitsISY_E10value_typeET2_T3_PNSZ_IS14_E10value_typeET4_jRbjT5_S1A_jjP12ihipStream_tbEUljE_EEESV_SW_SX_S14_S18_S1A_T6_T7_T9_mT8_S1C_bDpT10_ENKUlT_T0_E_clISt17integral_constantIbLb0EES1P_EEDaS1K_S1L_EUlS1K_E_NS1_11comp_targetILNS1_3genE8ELNS1_11target_archE1030ELNS1_3gpuE2ELNS1_3repE0EEENS1_30default_config_static_selectorELNS0_4arch9wavefront6targetE0EEEvSY_ ; -- Begin function _ZN7rocprim17ROCPRIM_400000_NS6detail17trampoline_kernelINS0_13select_configILj256ELj13ELNS0_17block_load_methodE3ELS4_3ELS4_3ELNS0_20block_scan_algorithmE0ELj4294967295EEENS1_25partition_config_selectorILNS1_17partition_subalgoE3EjNS0_10empty_typeEbEEZZNS1_14partition_implILS8_3ELb0ES6_jNS0_17counting_iteratorIjlEEPS9_SE_NS0_5tupleIJPjSE_EEENSF_IJSE_SE_EEES9_SG_JZNS1_25segmented_radix_sort_implINS0_14default_configELb1EPKdPdPKlPlN2at6native12_GLOBAL__N_18offset_tEEE10hipError_tPvRmT1_PNSt15iterator_traitsISY_E10value_typeET2_T3_PNSZ_IS14_E10value_typeET4_jRbjT5_S1A_jjP12ihipStream_tbEUljE_EEESV_SW_SX_S14_S18_S1A_T6_T7_T9_mT8_S1C_bDpT10_ENKUlT_T0_E_clISt17integral_constantIbLb0EES1P_EEDaS1K_S1L_EUlS1K_E_NS1_11comp_targetILNS1_3genE8ELNS1_11target_archE1030ELNS1_3gpuE2ELNS1_3repE0EEENS1_30default_config_static_selectorELNS0_4arch9wavefront6targetE0EEEvSY_
	.p2align	8
	.type	_ZN7rocprim17ROCPRIM_400000_NS6detail17trampoline_kernelINS0_13select_configILj256ELj13ELNS0_17block_load_methodE3ELS4_3ELS4_3ELNS0_20block_scan_algorithmE0ELj4294967295EEENS1_25partition_config_selectorILNS1_17partition_subalgoE3EjNS0_10empty_typeEbEEZZNS1_14partition_implILS8_3ELb0ES6_jNS0_17counting_iteratorIjlEEPS9_SE_NS0_5tupleIJPjSE_EEENSF_IJSE_SE_EEES9_SG_JZNS1_25segmented_radix_sort_implINS0_14default_configELb1EPKdPdPKlPlN2at6native12_GLOBAL__N_18offset_tEEE10hipError_tPvRmT1_PNSt15iterator_traitsISY_E10value_typeET2_T3_PNSZ_IS14_E10value_typeET4_jRbjT5_S1A_jjP12ihipStream_tbEUljE_EEESV_SW_SX_S14_S18_S1A_T6_T7_T9_mT8_S1C_bDpT10_ENKUlT_T0_E_clISt17integral_constantIbLb0EES1P_EEDaS1K_S1L_EUlS1K_E_NS1_11comp_targetILNS1_3genE8ELNS1_11target_archE1030ELNS1_3gpuE2ELNS1_3repE0EEENS1_30default_config_static_selectorELNS0_4arch9wavefront6targetE0EEEvSY_,@function
_ZN7rocprim17ROCPRIM_400000_NS6detail17trampoline_kernelINS0_13select_configILj256ELj13ELNS0_17block_load_methodE3ELS4_3ELS4_3ELNS0_20block_scan_algorithmE0ELj4294967295EEENS1_25partition_config_selectorILNS1_17partition_subalgoE3EjNS0_10empty_typeEbEEZZNS1_14partition_implILS8_3ELb0ES6_jNS0_17counting_iteratorIjlEEPS9_SE_NS0_5tupleIJPjSE_EEENSF_IJSE_SE_EEES9_SG_JZNS1_25segmented_radix_sort_implINS0_14default_configELb1EPKdPdPKlPlN2at6native12_GLOBAL__N_18offset_tEEE10hipError_tPvRmT1_PNSt15iterator_traitsISY_E10value_typeET2_T3_PNSZ_IS14_E10value_typeET4_jRbjT5_S1A_jjP12ihipStream_tbEUljE_EEESV_SW_SX_S14_S18_S1A_T6_T7_T9_mT8_S1C_bDpT10_ENKUlT_T0_E_clISt17integral_constantIbLb0EES1P_EEDaS1K_S1L_EUlS1K_E_NS1_11comp_targetILNS1_3genE8ELNS1_11target_archE1030ELNS1_3gpuE2ELNS1_3repE0EEENS1_30default_config_static_selectorELNS0_4arch9wavefront6targetE0EEEvSY_: ; @_ZN7rocprim17ROCPRIM_400000_NS6detail17trampoline_kernelINS0_13select_configILj256ELj13ELNS0_17block_load_methodE3ELS4_3ELS4_3ELNS0_20block_scan_algorithmE0ELj4294967295EEENS1_25partition_config_selectorILNS1_17partition_subalgoE3EjNS0_10empty_typeEbEEZZNS1_14partition_implILS8_3ELb0ES6_jNS0_17counting_iteratorIjlEEPS9_SE_NS0_5tupleIJPjSE_EEENSF_IJSE_SE_EEES9_SG_JZNS1_25segmented_radix_sort_implINS0_14default_configELb1EPKdPdPKlPlN2at6native12_GLOBAL__N_18offset_tEEE10hipError_tPvRmT1_PNSt15iterator_traitsISY_E10value_typeET2_T3_PNSZ_IS14_E10value_typeET4_jRbjT5_S1A_jjP12ihipStream_tbEUljE_EEESV_SW_SX_S14_S18_S1A_T6_T7_T9_mT8_S1C_bDpT10_ENKUlT_T0_E_clISt17integral_constantIbLb0EES1P_EEDaS1K_S1L_EUlS1K_E_NS1_11comp_targetILNS1_3genE8ELNS1_11target_archE1030ELNS1_3gpuE2ELNS1_3repE0EEENS1_30default_config_static_selectorELNS0_4arch9wavefront6targetE0EEEvSY_
; %bb.0:
	.section	.rodata,"a",@progbits
	.p2align	6, 0x0
	.amdhsa_kernel _ZN7rocprim17ROCPRIM_400000_NS6detail17trampoline_kernelINS0_13select_configILj256ELj13ELNS0_17block_load_methodE3ELS4_3ELS4_3ELNS0_20block_scan_algorithmE0ELj4294967295EEENS1_25partition_config_selectorILNS1_17partition_subalgoE3EjNS0_10empty_typeEbEEZZNS1_14partition_implILS8_3ELb0ES6_jNS0_17counting_iteratorIjlEEPS9_SE_NS0_5tupleIJPjSE_EEENSF_IJSE_SE_EEES9_SG_JZNS1_25segmented_radix_sort_implINS0_14default_configELb1EPKdPdPKlPlN2at6native12_GLOBAL__N_18offset_tEEE10hipError_tPvRmT1_PNSt15iterator_traitsISY_E10value_typeET2_T3_PNSZ_IS14_E10value_typeET4_jRbjT5_S1A_jjP12ihipStream_tbEUljE_EEESV_SW_SX_S14_S18_S1A_T6_T7_T9_mT8_S1C_bDpT10_ENKUlT_T0_E_clISt17integral_constantIbLb0EES1P_EEDaS1K_S1L_EUlS1K_E_NS1_11comp_targetILNS1_3genE8ELNS1_11target_archE1030ELNS1_3gpuE2ELNS1_3repE0EEENS1_30default_config_static_selectorELNS0_4arch9wavefront6targetE0EEEvSY_
		.amdhsa_group_segment_fixed_size 0
		.amdhsa_private_segment_fixed_size 0
		.amdhsa_kernarg_size 144
		.amdhsa_user_sgpr_count 2
		.amdhsa_user_sgpr_dispatch_ptr 0
		.amdhsa_user_sgpr_queue_ptr 0
		.amdhsa_user_sgpr_kernarg_segment_ptr 1
		.amdhsa_user_sgpr_dispatch_id 0
		.amdhsa_user_sgpr_private_segment_size 0
		.amdhsa_wavefront_size32 1
		.amdhsa_uses_dynamic_stack 0
		.amdhsa_enable_private_segment 0
		.amdhsa_system_sgpr_workgroup_id_x 1
		.amdhsa_system_sgpr_workgroup_id_y 0
		.amdhsa_system_sgpr_workgroup_id_z 0
		.amdhsa_system_sgpr_workgroup_info 0
		.amdhsa_system_vgpr_workitem_id 0
		.amdhsa_next_free_vgpr 1
		.amdhsa_next_free_sgpr 1
		.amdhsa_reserve_vcc 0
		.amdhsa_float_round_mode_32 0
		.amdhsa_float_round_mode_16_64 0
		.amdhsa_float_denorm_mode_32 3
		.amdhsa_float_denorm_mode_16_64 3
		.amdhsa_fp16_overflow 0
		.amdhsa_workgroup_processor_mode 1
		.amdhsa_memory_ordered 1
		.amdhsa_forward_progress 1
		.amdhsa_inst_pref_size 0
		.amdhsa_round_robin_scheduling 0
		.amdhsa_exception_fp_ieee_invalid_op 0
		.amdhsa_exception_fp_denorm_src 0
		.amdhsa_exception_fp_ieee_div_zero 0
		.amdhsa_exception_fp_ieee_overflow 0
		.amdhsa_exception_fp_ieee_underflow 0
		.amdhsa_exception_fp_ieee_inexact 0
		.amdhsa_exception_int_div_zero 0
	.end_amdhsa_kernel
	.section	.text._ZN7rocprim17ROCPRIM_400000_NS6detail17trampoline_kernelINS0_13select_configILj256ELj13ELNS0_17block_load_methodE3ELS4_3ELS4_3ELNS0_20block_scan_algorithmE0ELj4294967295EEENS1_25partition_config_selectorILNS1_17partition_subalgoE3EjNS0_10empty_typeEbEEZZNS1_14partition_implILS8_3ELb0ES6_jNS0_17counting_iteratorIjlEEPS9_SE_NS0_5tupleIJPjSE_EEENSF_IJSE_SE_EEES9_SG_JZNS1_25segmented_radix_sort_implINS0_14default_configELb1EPKdPdPKlPlN2at6native12_GLOBAL__N_18offset_tEEE10hipError_tPvRmT1_PNSt15iterator_traitsISY_E10value_typeET2_T3_PNSZ_IS14_E10value_typeET4_jRbjT5_S1A_jjP12ihipStream_tbEUljE_EEESV_SW_SX_S14_S18_S1A_T6_T7_T9_mT8_S1C_bDpT10_ENKUlT_T0_E_clISt17integral_constantIbLb0EES1P_EEDaS1K_S1L_EUlS1K_E_NS1_11comp_targetILNS1_3genE8ELNS1_11target_archE1030ELNS1_3gpuE2ELNS1_3repE0EEENS1_30default_config_static_selectorELNS0_4arch9wavefront6targetE0EEEvSY_,"axG",@progbits,_ZN7rocprim17ROCPRIM_400000_NS6detail17trampoline_kernelINS0_13select_configILj256ELj13ELNS0_17block_load_methodE3ELS4_3ELS4_3ELNS0_20block_scan_algorithmE0ELj4294967295EEENS1_25partition_config_selectorILNS1_17partition_subalgoE3EjNS0_10empty_typeEbEEZZNS1_14partition_implILS8_3ELb0ES6_jNS0_17counting_iteratorIjlEEPS9_SE_NS0_5tupleIJPjSE_EEENSF_IJSE_SE_EEES9_SG_JZNS1_25segmented_radix_sort_implINS0_14default_configELb1EPKdPdPKlPlN2at6native12_GLOBAL__N_18offset_tEEE10hipError_tPvRmT1_PNSt15iterator_traitsISY_E10value_typeET2_T3_PNSZ_IS14_E10value_typeET4_jRbjT5_S1A_jjP12ihipStream_tbEUljE_EEESV_SW_SX_S14_S18_S1A_T6_T7_T9_mT8_S1C_bDpT10_ENKUlT_T0_E_clISt17integral_constantIbLb0EES1P_EEDaS1K_S1L_EUlS1K_E_NS1_11comp_targetILNS1_3genE8ELNS1_11target_archE1030ELNS1_3gpuE2ELNS1_3repE0EEENS1_30default_config_static_selectorELNS0_4arch9wavefront6targetE0EEEvSY_,comdat
.Lfunc_end1093:
	.size	_ZN7rocprim17ROCPRIM_400000_NS6detail17trampoline_kernelINS0_13select_configILj256ELj13ELNS0_17block_load_methodE3ELS4_3ELS4_3ELNS0_20block_scan_algorithmE0ELj4294967295EEENS1_25partition_config_selectorILNS1_17partition_subalgoE3EjNS0_10empty_typeEbEEZZNS1_14partition_implILS8_3ELb0ES6_jNS0_17counting_iteratorIjlEEPS9_SE_NS0_5tupleIJPjSE_EEENSF_IJSE_SE_EEES9_SG_JZNS1_25segmented_radix_sort_implINS0_14default_configELb1EPKdPdPKlPlN2at6native12_GLOBAL__N_18offset_tEEE10hipError_tPvRmT1_PNSt15iterator_traitsISY_E10value_typeET2_T3_PNSZ_IS14_E10value_typeET4_jRbjT5_S1A_jjP12ihipStream_tbEUljE_EEESV_SW_SX_S14_S18_S1A_T6_T7_T9_mT8_S1C_bDpT10_ENKUlT_T0_E_clISt17integral_constantIbLb0EES1P_EEDaS1K_S1L_EUlS1K_E_NS1_11comp_targetILNS1_3genE8ELNS1_11target_archE1030ELNS1_3gpuE2ELNS1_3repE0EEENS1_30default_config_static_selectorELNS0_4arch9wavefront6targetE0EEEvSY_, .Lfunc_end1093-_ZN7rocprim17ROCPRIM_400000_NS6detail17trampoline_kernelINS0_13select_configILj256ELj13ELNS0_17block_load_methodE3ELS4_3ELS4_3ELNS0_20block_scan_algorithmE0ELj4294967295EEENS1_25partition_config_selectorILNS1_17partition_subalgoE3EjNS0_10empty_typeEbEEZZNS1_14partition_implILS8_3ELb0ES6_jNS0_17counting_iteratorIjlEEPS9_SE_NS0_5tupleIJPjSE_EEENSF_IJSE_SE_EEES9_SG_JZNS1_25segmented_radix_sort_implINS0_14default_configELb1EPKdPdPKlPlN2at6native12_GLOBAL__N_18offset_tEEE10hipError_tPvRmT1_PNSt15iterator_traitsISY_E10value_typeET2_T3_PNSZ_IS14_E10value_typeET4_jRbjT5_S1A_jjP12ihipStream_tbEUljE_EEESV_SW_SX_S14_S18_S1A_T6_T7_T9_mT8_S1C_bDpT10_ENKUlT_T0_E_clISt17integral_constantIbLb0EES1P_EEDaS1K_S1L_EUlS1K_E_NS1_11comp_targetILNS1_3genE8ELNS1_11target_archE1030ELNS1_3gpuE2ELNS1_3repE0EEENS1_30default_config_static_selectorELNS0_4arch9wavefront6targetE0EEEvSY_
                                        ; -- End function
	.set _ZN7rocprim17ROCPRIM_400000_NS6detail17trampoline_kernelINS0_13select_configILj256ELj13ELNS0_17block_load_methodE3ELS4_3ELS4_3ELNS0_20block_scan_algorithmE0ELj4294967295EEENS1_25partition_config_selectorILNS1_17partition_subalgoE3EjNS0_10empty_typeEbEEZZNS1_14partition_implILS8_3ELb0ES6_jNS0_17counting_iteratorIjlEEPS9_SE_NS0_5tupleIJPjSE_EEENSF_IJSE_SE_EEES9_SG_JZNS1_25segmented_radix_sort_implINS0_14default_configELb1EPKdPdPKlPlN2at6native12_GLOBAL__N_18offset_tEEE10hipError_tPvRmT1_PNSt15iterator_traitsISY_E10value_typeET2_T3_PNSZ_IS14_E10value_typeET4_jRbjT5_S1A_jjP12ihipStream_tbEUljE_EEESV_SW_SX_S14_S18_S1A_T6_T7_T9_mT8_S1C_bDpT10_ENKUlT_T0_E_clISt17integral_constantIbLb0EES1P_EEDaS1K_S1L_EUlS1K_E_NS1_11comp_targetILNS1_3genE8ELNS1_11target_archE1030ELNS1_3gpuE2ELNS1_3repE0EEENS1_30default_config_static_selectorELNS0_4arch9wavefront6targetE0EEEvSY_.num_vgpr, 0
	.set _ZN7rocprim17ROCPRIM_400000_NS6detail17trampoline_kernelINS0_13select_configILj256ELj13ELNS0_17block_load_methodE3ELS4_3ELS4_3ELNS0_20block_scan_algorithmE0ELj4294967295EEENS1_25partition_config_selectorILNS1_17partition_subalgoE3EjNS0_10empty_typeEbEEZZNS1_14partition_implILS8_3ELb0ES6_jNS0_17counting_iteratorIjlEEPS9_SE_NS0_5tupleIJPjSE_EEENSF_IJSE_SE_EEES9_SG_JZNS1_25segmented_radix_sort_implINS0_14default_configELb1EPKdPdPKlPlN2at6native12_GLOBAL__N_18offset_tEEE10hipError_tPvRmT1_PNSt15iterator_traitsISY_E10value_typeET2_T3_PNSZ_IS14_E10value_typeET4_jRbjT5_S1A_jjP12ihipStream_tbEUljE_EEESV_SW_SX_S14_S18_S1A_T6_T7_T9_mT8_S1C_bDpT10_ENKUlT_T0_E_clISt17integral_constantIbLb0EES1P_EEDaS1K_S1L_EUlS1K_E_NS1_11comp_targetILNS1_3genE8ELNS1_11target_archE1030ELNS1_3gpuE2ELNS1_3repE0EEENS1_30default_config_static_selectorELNS0_4arch9wavefront6targetE0EEEvSY_.num_agpr, 0
	.set _ZN7rocprim17ROCPRIM_400000_NS6detail17trampoline_kernelINS0_13select_configILj256ELj13ELNS0_17block_load_methodE3ELS4_3ELS4_3ELNS0_20block_scan_algorithmE0ELj4294967295EEENS1_25partition_config_selectorILNS1_17partition_subalgoE3EjNS0_10empty_typeEbEEZZNS1_14partition_implILS8_3ELb0ES6_jNS0_17counting_iteratorIjlEEPS9_SE_NS0_5tupleIJPjSE_EEENSF_IJSE_SE_EEES9_SG_JZNS1_25segmented_radix_sort_implINS0_14default_configELb1EPKdPdPKlPlN2at6native12_GLOBAL__N_18offset_tEEE10hipError_tPvRmT1_PNSt15iterator_traitsISY_E10value_typeET2_T3_PNSZ_IS14_E10value_typeET4_jRbjT5_S1A_jjP12ihipStream_tbEUljE_EEESV_SW_SX_S14_S18_S1A_T6_T7_T9_mT8_S1C_bDpT10_ENKUlT_T0_E_clISt17integral_constantIbLb0EES1P_EEDaS1K_S1L_EUlS1K_E_NS1_11comp_targetILNS1_3genE8ELNS1_11target_archE1030ELNS1_3gpuE2ELNS1_3repE0EEENS1_30default_config_static_selectorELNS0_4arch9wavefront6targetE0EEEvSY_.numbered_sgpr, 0
	.set _ZN7rocprim17ROCPRIM_400000_NS6detail17trampoline_kernelINS0_13select_configILj256ELj13ELNS0_17block_load_methodE3ELS4_3ELS4_3ELNS0_20block_scan_algorithmE0ELj4294967295EEENS1_25partition_config_selectorILNS1_17partition_subalgoE3EjNS0_10empty_typeEbEEZZNS1_14partition_implILS8_3ELb0ES6_jNS0_17counting_iteratorIjlEEPS9_SE_NS0_5tupleIJPjSE_EEENSF_IJSE_SE_EEES9_SG_JZNS1_25segmented_radix_sort_implINS0_14default_configELb1EPKdPdPKlPlN2at6native12_GLOBAL__N_18offset_tEEE10hipError_tPvRmT1_PNSt15iterator_traitsISY_E10value_typeET2_T3_PNSZ_IS14_E10value_typeET4_jRbjT5_S1A_jjP12ihipStream_tbEUljE_EEESV_SW_SX_S14_S18_S1A_T6_T7_T9_mT8_S1C_bDpT10_ENKUlT_T0_E_clISt17integral_constantIbLb0EES1P_EEDaS1K_S1L_EUlS1K_E_NS1_11comp_targetILNS1_3genE8ELNS1_11target_archE1030ELNS1_3gpuE2ELNS1_3repE0EEENS1_30default_config_static_selectorELNS0_4arch9wavefront6targetE0EEEvSY_.num_named_barrier, 0
	.set _ZN7rocprim17ROCPRIM_400000_NS6detail17trampoline_kernelINS0_13select_configILj256ELj13ELNS0_17block_load_methodE3ELS4_3ELS4_3ELNS0_20block_scan_algorithmE0ELj4294967295EEENS1_25partition_config_selectorILNS1_17partition_subalgoE3EjNS0_10empty_typeEbEEZZNS1_14partition_implILS8_3ELb0ES6_jNS0_17counting_iteratorIjlEEPS9_SE_NS0_5tupleIJPjSE_EEENSF_IJSE_SE_EEES9_SG_JZNS1_25segmented_radix_sort_implINS0_14default_configELb1EPKdPdPKlPlN2at6native12_GLOBAL__N_18offset_tEEE10hipError_tPvRmT1_PNSt15iterator_traitsISY_E10value_typeET2_T3_PNSZ_IS14_E10value_typeET4_jRbjT5_S1A_jjP12ihipStream_tbEUljE_EEESV_SW_SX_S14_S18_S1A_T6_T7_T9_mT8_S1C_bDpT10_ENKUlT_T0_E_clISt17integral_constantIbLb0EES1P_EEDaS1K_S1L_EUlS1K_E_NS1_11comp_targetILNS1_3genE8ELNS1_11target_archE1030ELNS1_3gpuE2ELNS1_3repE0EEENS1_30default_config_static_selectorELNS0_4arch9wavefront6targetE0EEEvSY_.private_seg_size, 0
	.set _ZN7rocprim17ROCPRIM_400000_NS6detail17trampoline_kernelINS0_13select_configILj256ELj13ELNS0_17block_load_methodE3ELS4_3ELS4_3ELNS0_20block_scan_algorithmE0ELj4294967295EEENS1_25partition_config_selectorILNS1_17partition_subalgoE3EjNS0_10empty_typeEbEEZZNS1_14partition_implILS8_3ELb0ES6_jNS0_17counting_iteratorIjlEEPS9_SE_NS0_5tupleIJPjSE_EEENSF_IJSE_SE_EEES9_SG_JZNS1_25segmented_radix_sort_implINS0_14default_configELb1EPKdPdPKlPlN2at6native12_GLOBAL__N_18offset_tEEE10hipError_tPvRmT1_PNSt15iterator_traitsISY_E10value_typeET2_T3_PNSZ_IS14_E10value_typeET4_jRbjT5_S1A_jjP12ihipStream_tbEUljE_EEESV_SW_SX_S14_S18_S1A_T6_T7_T9_mT8_S1C_bDpT10_ENKUlT_T0_E_clISt17integral_constantIbLb0EES1P_EEDaS1K_S1L_EUlS1K_E_NS1_11comp_targetILNS1_3genE8ELNS1_11target_archE1030ELNS1_3gpuE2ELNS1_3repE0EEENS1_30default_config_static_selectorELNS0_4arch9wavefront6targetE0EEEvSY_.uses_vcc, 0
	.set _ZN7rocprim17ROCPRIM_400000_NS6detail17trampoline_kernelINS0_13select_configILj256ELj13ELNS0_17block_load_methodE3ELS4_3ELS4_3ELNS0_20block_scan_algorithmE0ELj4294967295EEENS1_25partition_config_selectorILNS1_17partition_subalgoE3EjNS0_10empty_typeEbEEZZNS1_14partition_implILS8_3ELb0ES6_jNS0_17counting_iteratorIjlEEPS9_SE_NS0_5tupleIJPjSE_EEENSF_IJSE_SE_EEES9_SG_JZNS1_25segmented_radix_sort_implINS0_14default_configELb1EPKdPdPKlPlN2at6native12_GLOBAL__N_18offset_tEEE10hipError_tPvRmT1_PNSt15iterator_traitsISY_E10value_typeET2_T3_PNSZ_IS14_E10value_typeET4_jRbjT5_S1A_jjP12ihipStream_tbEUljE_EEESV_SW_SX_S14_S18_S1A_T6_T7_T9_mT8_S1C_bDpT10_ENKUlT_T0_E_clISt17integral_constantIbLb0EES1P_EEDaS1K_S1L_EUlS1K_E_NS1_11comp_targetILNS1_3genE8ELNS1_11target_archE1030ELNS1_3gpuE2ELNS1_3repE0EEENS1_30default_config_static_selectorELNS0_4arch9wavefront6targetE0EEEvSY_.uses_flat_scratch, 0
	.set _ZN7rocprim17ROCPRIM_400000_NS6detail17trampoline_kernelINS0_13select_configILj256ELj13ELNS0_17block_load_methodE3ELS4_3ELS4_3ELNS0_20block_scan_algorithmE0ELj4294967295EEENS1_25partition_config_selectorILNS1_17partition_subalgoE3EjNS0_10empty_typeEbEEZZNS1_14partition_implILS8_3ELb0ES6_jNS0_17counting_iteratorIjlEEPS9_SE_NS0_5tupleIJPjSE_EEENSF_IJSE_SE_EEES9_SG_JZNS1_25segmented_radix_sort_implINS0_14default_configELb1EPKdPdPKlPlN2at6native12_GLOBAL__N_18offset_tEEE10hipError_tPvRmT1_PNSt15iterator_traitsISY_E10value_typeET2_T3_PNSZ_IS14_E10value_typeET4_jRbjT5_S1A_jjP12ihipStream_tbEUljE_EEESV_SW_SX_S14_S18_S1A_T6_T7_T9_mT8_S1C_bDpT10_ENKUlT_T0_E_clISt17integral_constantIbLb0EES1P_EEDaS1K_S1L_EUlS1K_E_NS1_11comp_targetILNS1_3genE8ELNS1_11target_archE1030ELNS1_3gpuE2ELNS1_3repE0EEENS1_30default_config_static_selectorELNS0_4arch9wavefront6targetE0EEEvSY_.has_dyn_sized_stack, 0
	.set _ZN7rocprim17ROCPRIM_400000_NS6detail17trampoline_kernelINS0_13select_configILj256ELj13ELNS0_17block_load_methodE3ELS4_3ELS4_3ELNS0_20block_scan_algorithmE0ELj4294967295EEENS1_25partition_config_selectorILNS1_17partition_subalgoE3EjNS0_10empty_typeEbEEZZNS1_14partition_implILS8_3ELb0ES6_jNS0_17counting_iteratorIjlEEPS9_SE_NS0_5tupleIJPjSE_EEENSF_IJSE_SE_EEES9_SG_JZNS1_25segmented_radix_sort_implINS0_14default_configELb1EPKdPdPKlPlN2at6native12_GLOBAL__N_18offset_tEEE10hipError_tPvRmT1_PNSt15iterator_traitsISY_E10value_typeET2_T3_PNSZ_IS14_E10value_typeET4_jRbjT5_S1A_jjP12ihipStream_tbEUljE_EEESV_SW_SX_S14_S18_S1A_T6_T7_T9_mT8_S1C_bDpT10_ENKUlT_T0_E_clISt17integral_constantIbLb0EES1P_EEDaS1K_S1L_EUlS1K_E_NS1_11comp_targetILNS1_3genE8ELNS1_11target_archE1030ELNS1_3gpuE2ELNS1_3repE0EEENS1_30default_config_static_selectorELNS0_4arch9wavefront6targetE0EEEvSY_.has_recursion, 0
	.set _ZN7rocprim17ROCPRIM_400000_NS6detail17trampoline_kernelINS0_13select_configILj256ELj13ELNS0_17block_load_methodE3ELS4_3ELS4_3ELNS0_20block_scan_algorithmE0ELj4294967295EEENS1_25partition_config_selectorILNS1_17partition_subalgoE3EjNS0_10empty_typeEbEEZZNS1_14partition_implILS8_3ELb0ES6_jNS0_17counting_iteratorIjlEEPS9_SE_NS0_5tupleIJPjSE_EEENSF_IJSE_SE_EEES9_SG_JZNS1_25segmented_radix_sort_implINS0_14default_configELb1EPKdPdPKlPlN2at6native12_GLOBAL__N_18offset_tEEE10hipError_tPvRmT1_PNSt15iterator_traitsISY_E10value_typeET2_T3_PNSZ_IS14_E10value_typeET4_jRbjT5_S1A_jjP12ihipStream_tbEUljE_EEESV_SW_SX_S14_S18_S1A_T6_T7_T9_mT8_S1C_bDpT10_ENKUlT_T0_E_clISt17integral_constantIbLb0EES1P_EEDaS1K_S1L_EUlS1K_E_NS1_11comp_targetILNS1_3genE8ELNS1_11target_archE1030ELNS1_3gpuE2ELNS1_3repE0EEENS1_30default_config_static_selectorELNS0_4arch9wavefront6targetE0EEEvSY_.has_indirect_call, 0
	.section	.AMDGPU.csdata,"",@progbits
; Kernel info:
; codeLenInByte = 0
; TotalNumSgprs: 0
; NumVgprs: 0
; ScratchSize: 0
; MemoryBound: 0
; FloatMode: 240
; IeeeMode: 1
; LDSByteSize: 0 bytes/workgroup (compile time only)
; SGPRBlocks: 0
; VGPRBlocks: 0
; NumSGPRsForWavesPerEU: 1
; NumVGPRsForWavesPerEU: 1
; Occupancy: 16
; WaveLimiterHint : 0
; COMPUTE_PGM_RSRC2:SCRATCH_EN: 0
; COMPUTE_PGM_RSRC2:USER_SGPR: 2
; COMPUTE_PGM_RSRC2:TRAP_HANDLER: 0
; COMPUTE_PGM_RSRC2:TGID_X_EN: 1
; COMPUTE_PGM_RSRC2:TGID_Y_EN: 0
; COMPUTE_PGM_RSRC2:TGID_Z_EN: 0
; COMPUTE_PGM_RSRC2:TIDIG_COMP_CNT: 0
	.section	.text._ZN7rocprim17ROCPRIM_400000_NS6detail17trampoline_kernelINS0_13select_configILj256ELj13ELNS0_17block_load_methodE3ELS4_3ELS4_3ELNS0_20block_scan_algorithmE0ELj4294967295EEENS1_25partition_config_selectorILNS1_17partition_subalgoE3EjNS0_10empty_typeEbEEZZNS1_14partition_implILS8_3ELb0ES6_jNS0_17counting_iteratorIjlEEPS9_SE_NS0_5tupleIJPjSE_EEENSF_IJSE_SE_EEES9_SG_JZNS1_25segmented_radix_sort_implINS0_14default_configELb1EPKdPdPKlPlN2at6native12_GLOBAL__N_18offset_tEEE10hipError_tPvRmT1_PNSt15iterator_traitsISY_E10value_typeET2_T3_PNSZ_IS14_E10value_typeET4_jRbjT5_S1A_jjP12ihipStream_tbEUljE_EEESV_SW_SX_S14_S18_S1A_T6_T7_T9_mT8_S1C_bDpT10_ENKUlT_T0_E_clISt17integral_constantIbLb1EES1P_EEDaS1K_S1L_EUlS1K_E_NS1_11comp_targetILNS1_3genE0ELNS1_11target_archE4294967295ELNS1_3gpuE0ELNS1_3repE0EEENS1_30default_config_static_selectorELNS0_4arch9wavefront6targetE0EEEvSY_,"axG",@progbits,_ZN7rocprim17ROCPRIM_400000_NS6detail17trampoline_kernelINS0_13select_configILj256ELj13ELNS0_17block_load_methodE3ELS4_3ELS4_3ELNS0_20block_scan_algorithmE0ELj4294967295EEENS1_25partition_config_selectorILNS1_17partition_subalgoE3EjNS0_10empty_typeEbEEZZNS1_14partition_implILS8_3ELb0ES6_jNS0_17counting_iteratorIjlEEPS9_SE_NS0_5tupleIJPjSE_EEENSF_IJSE_SE_EEES9_SG_JZNS1_25segmented_radix_sort_implINS0_14default_configELb1EPKdPdPKlPlN2at6native12_GLOBAL__N_18offset_tEEE10hipError_tPvRmT1_PNSt15iterator_traitsISY_E10value_typeET2_T3_PNSZ_IS14_E10value_typeET4_jRbjT5_S1A_jjP12ihipStream_tbEUljE_EEESV_SW_SX_S14_S18_S1A_T6_T7_T9_mT8_S1C_bDpT10_ENKUlT_T0_E_clISt17integral_constantIbLb1EES1P_EEDaS1K_S1L_EUlS1K_E_NS1_11comp_targetILNS1_3genE0ELNS1_11target_archE4294967295ELNS1_3gpuE0ELNS1_3repE0EEENS1_30default_config_static_selectorELNS0_4arch9wavefront6targetE0EEEvSY_,comdat
	.globl	_ZN7rocprim17ROCPRIM_400000_NS6detail17trampoline_kernelINS0_13select_configILj256ELj13ELNS0_17block_load_methodE3ELS4_3ELS4_3ELNS0_20block_scan_algorithmE0ELj4294967295EEENS1_25partition_config_selectorILNS1_17partition_subalgoE3EjNS0_10empty_typeEbEEZZNS1_14partition_implILS8_3ELb0ES6_jNS0_17counting_iteratorIjlEEPS9_SE_NS0_5tupleIJPjSE_EEENSF_IJSE_SE_EEES9_SG_JZNS1_25segmented_radix_sort_implINS0_14default_configELb1EPKdPdPKlPlN2at6native12_GLOBAL__N_18offset_tEEE10hipError_tPvRmT1_PNSt15iterator_traitsISY_E10value_typeET2_T3_PNSZ_IS14_E10value_typeET4_jRbjT5_S1A_jjP12ihipStream_tbEUljE_EEESV_SW_SX_S14_S18_S1A_T6_T7_T9_mT8_S1C_bDpT10_ENKUlT_T0_E_clISt17integral_constantIbLb1EES1P_EEDaS1K_S1L_EUlS1K_E_NS1_11comp_targetILNS1_3genE0ELNS1_11target_archE4294967295ELNS1_3gpuE0ELNS1_3repE0EEENS1_30default_config_static_selectorELNS0_4arch9wavefront6targetE0EEEvSY_ ; -- Begin function _ZN7rocprim17ROCPRIM_400000_NS6detail17trampoline_kernelINS0_13select_configILj256ELj13ELNS0_17block_load_methodE3ELS4_3ELS4_3ELNS0_20block_scan_algorithmE0ELj4294967295EEENS1_25partition_config_selectorILNS1_17partition_subalgoE3EjNS0_10empty_typeEbEEZZNS1_14partition_implILS8_3ELb0ES6_jNS0_17counting_iteratorIjlEEPS9_SE_NS0_5tupleIJPjSE_EEENSF_IJSE_SE_EEES9_SG_JZNS1_25segmented_radix_sort_implINS0_14default_configELb1EPKdPdPKlPlN2at6native12_GLOBAL__N_18offset_tEEE10hipError_tPvRmT1_PNSt15iterator_traitsISY_E10value_typeET2_T3_PNSZ_IS14_E10value_typeET4_jRbjT5_S1A_jjP12ihipStream_tbEUljE_EEESV_SW_SX_S14_S18_S1A_T6_T7_T9_mT8_S1C_bDpT10_ENKUlT_T0_E_clISt17integral_constantIbLb1EES1P_EEDaS1K_S1L_EUlS1K_E_NS1_11comp_targetILNS1_3genE0ELNS1_11target_archE4294967295ELNS1_3gpuE0ELNS1_3repE0EEENS1_30default_config_static_selectorELNS0_4arch9wavefront6targetE0EEEvSY_
	.p2align	8
	.type	_ZN7rocprim17ROCPRIM_400000_NS6detail17trampoline_kernelINS0_13select_configILj256ELj13ELNS0_17block_load_methodE3ELS4_3ELS4_3ELNS0_20block_scan_algorithmE0ELj4294967295EEENS1_25partition_config_selectorILNS1_17partition_subalgoE3EjNS0_10empty_typeEbEEZZNS1_14partition_implILS8_3ELb0ES6_jNS0_17counting_iteratorIjlEEPS9_SE_NS0_5tupleIJPjSE_EEENSF_IJSE_SE_EEES9_SG_JZNS1_25segmented_radix_sort_implINS0_14default_configELb1EPKdPdPKlPlN2at6native12_GLOBAL__N_18offset_tEEE10hipError_tPvRmT1_PNSt15iterator_traitsISY_E10value_typeET2_T3_PNSZ_IS14_E10value_typeET4_jRbjT5_S1A_jjP12ihipStream_tbEUljE_EEESV_SW_SX_S14_S18_S1A_T6_T7_T9_mT8_S1C_bDpT10_ENKUlT_T0_E_clISt17integral_constantIbLb1EES1P_EEDaS1K_S1L_EUlS1K_E_NS1_11comp_targetILNS1_3genE0ELNS1_11target_archE4294967295ELNS1_3gpuE0ELNS1_3repE0EEENS1_30default_config_static_selectorELNS0_4arch9wavefront6targetE0EEEvSY_,@function
_ZN7rocprim17ROCPRIM_400000_NS6detail17trampoline_kernelINS0_13select_configILj256ELj13ELNS0_17block_load_methodE3ELS4_3ELS4_3ELNS0_20block_scan_algorithmE0ELj4294967295EEENS1_25partition_config_selectorILNS1_17partition_subalgoE3EjNS0_10empty_typeEbEEZZNS1_14partition_implILS8_3ELb0ES6_jNS0_17counting_iteratorIjlEEPS9_SE_NS0_5tupleIJPjSE_EEENSF_IJSE_SE_EEES9_SG_JZNS1_25segmented_radix_sort_implINS0_14default_configELb1EPKdPdPKlPlN2at6native12_GLOBAL__N_18offset_tEEE10hipError_tPvRmT1_PNSt15iterator_traitsISY_E10value_typeET2_T3_PNSZ_IS14_E10value_typeET4_jRbjT5_S1A_jjP12ihipStream_tbEUljE_EEESV_SW_SX_S14_S18_S1A_T6_T7_T9_mT8_S1C_bDpT10_ENKUlT_T0_E_clISt17integral_constantIbLb1EES1P_EEDaS1K_S1L_EUlS1K_E_NS1_11comp_targetILNS1_3genE0ELNS1_11target_archE4294967295ELNS1_3gpuE0ELNS1_3repE0EEENS1_30default_config_static_selectorELNS0_4arch9wavefront6targetE0EEEvSY_: ; @_ZN7rocprim17ROCPRIM_400000_NS6detail17trampoline_kernelINS0_13select_configILj256ELj13ELNS0_17block_load_methodE3ELS4_3ELS4_3ELNS0_20block_scan_algorithmE0ELj4294967295EEENS1_25partition_config_selectorILNS1_17partition_subalgoE3EjNS0_10empty_typeEbEEZZNS1_14partition_implILS8_3ELb0ES6_jNS0_17counting_iteratorIjlEEPS9_SE_NS0_5tupleIJPjSE_EEENSF_IJSE_SE_EEES9_SG_JZNS1_25segmented_radix_sort_implINS0_14default_configELb1EPKdPdPKlPlN2at6native12_GLOBAL__N_18offset_tEEE10hipError_tPvRmT1_PNSt15iterator_traitsISY_E10value_typeET2_T3_PNSZ_IS14_E10value_typeET4_jRbjT5_S1A_jjP12ihipStream_tbEUljE_EEESV_SW_SX_S14_S18_S1A_T6_T7_T9_mT8_S1C_bDpT10_ENKUlT_T0_E_clISt17integral_constantIbLb1EES1P_EEDaS1K_S1L_EUlS1K_E_NS1_11comp_targetILNS1_3genE0ELNS1_11target_archE4294967295ELNS1_3gpuE0ELNS1_3repE0EEENS1_30default_config_static_selectorELNS0_4arch9wavefront6targetE0EEEvSY_
; %bb.0:
	.section	.rodata,"a",@progbits
	.p2align	6, 0x0
	.amdhsa_kernel _ZN7rocprim17ROCPRIM_400000_NS6detail17trampoline_kernelINS0_13select_configILj256ELj13ELNS0_17block_load_methodE3ELS4_3ELS4_3ELNS0_20block_scan_algorithmE0ELj4294967295EEENS1_25partition_config_selectorILNS1_17partition_subalgoE3EjNS0_10empty_typeEbEEZZNS1_14partition_implILS8_3ELb0ES6_jNS0_17counting_iteratorIjlEEPS9_SE_NS0_5tupleIJPjSE_EEENSF_IJSE_SE_EEES9_SG_JZNS1_25segmented_radix_sort_implINS0_14default_configELb1EPKdPdPKlPlN2at6native12_GLOBAL__N_18offset_tEEE10hipError_tPvRmT1_PNSt15iterator_traitsISY_E10value_typeET2_T3_PNSZ_IS14_E10value_typeET4_jRbjT5_S1A_jjP12ihipStream_tbEUljE_EEESV_SW_SX_S14_S18_S1A_T6_T7_T9_mT8_S1C_bDpT10_ENKUlT_T0_E_clISt17integral_constantIbLb1EES1P_EEDaS1K_S1L_EUlS1K_E_NS1_11comp_targetILNS1_3genE0ELNS1_11target_archE4294967295ELNS1_3gpuE0ELNS1_3repE0EEENS1_30default_config_static_selectorELNS0_4arch9wavefront6targetE0EEEvSY_
		.amdhsa_group_segment_fixed_size 0
		.amdhsa_private_segment_fixed_size 0
		.amdhsa_kernarg_size 152
		.amdhsa_user_sgpr_count 2
		.amdhsa_user_sgpr_dispatch_ptr 0
		.amdhsa_user_sgpr_queue_ptr 0
		.amdhsa_user_sgpr_kernarg_segment_ptr 1
		.amdhsa_user_sgpr_dispatch_id 0
		.amdhsa_user_sgpr_private_segment_size 0
		.amdhsa_wavefront_size32 1
		.amdhsa_uses_dynamic_stack 0
		.amdhsa_enable_private_segment 0
		.amdhsa_system_sgpr_workgroup_id_x 1
		.amdhsa_system_sgpr_workgroup_id_y 0
		.amdhsa_system_sgpr_workgroup_id_z 0
		.amdhsa_system_sgpr_workgroup_info 0
		.amdhsa_system_vgpr_workitem_id 0
		.amdhsa_next_free_vgpr 1
		.amdhsa_next_free_sgpr 1
		.amdhsa_reserve_vcc 0
		.amdhsa_float_round_mode_32 0
		.amdhsa_float_round_mode_16_64 0
		.amdhsa_float_denorm_mode_32 3
		.amdhsa_float_denorm_mode_16_64 3
		.amdhsa_fp16_overflow 0
		.amdhsa_workgroup_processor_mode 1
		.amdhsa_memory_ordered 1
		.amdhsa_forward_progress 1
		.amdhsa_inst_pref_size 0
		.amdhsa_round_robin_scheduling 0
		.amdhsa_exception_fp_ieee_invalid_op 0
		.amdhsa_exception_fp_denorm_src 0
		.amdhsa_exception_fp_ieee_div_zero 0
		.amdhsa_exception_fp_ieee_overflow 0
		.amdhsa_exception_fp_ieee_underflow 0
		.amdhsa_exception_fp_ieee_inexact 0
		.amdhsa_exception_int_div_zero 0
	.end_amdhsa_kernel
	.section	.text._ZN7rocprim17ROCPRIM_400000_NS6detail17trampoline_kernelINS0_13select_configILj256ELj13ELNS0_17block_load_methodE3ELS4_3ELS4_3ELNS0_20block_scan_algorithmE0ELj4294967295EEENS1_25partition_config_selectorILNS1_17partition_subalgoE3EjNS0_10empty_typeEbEEZZNS1_14partition_implILS8_3ELb0ES6_jNS0_17counting_iteratorIjlEEPS9_SE_NS0_5tupleIJPjSE_EEENSF_IJSE_SE_EEES9_SG_JZNS1_25segmented_radix_sort_implINS0_14default_configELb1EPKdPdPKlPlN2at6native12_GLOBAL__N_18offset_tEEE10hipError_tPvRmT1_PNSt15iterator_traitsISY_E10value_typeET2_T3_PNSZ_IS14_E10value_typeET4_jRbjT5_S1A_jjP12ihipStream_tbEUljE_EEESV_SW_SX_S14_S18_S1A_T6_T7_T9_mT8_S1C_bDpT10_ENKUlT_T0_E_clISt17integral_constantIbLb1EES1P_EEDaS1K_S1L_EUlS1K_E_NS1_11comp_targetILNS1_3genE0ELNS1_11target_archE4294967295ELNS1_3gpuE0ELNS1_3repE0EEENS1_30default_config_static_selectorELNS0_4arch9wavefront6targetE0EEEvSY_,"axG",@progbits,_ZN7rocprim17ROCPRIM_400000_NS6detail17trampoline_kernelINS0_13select_configILj256ELj13ELNS0_17block_load_methodE3ELS4_3ELS4_3ELNS0_20block_scan_algorithmE0ELj4294967295EEENS1_25partition_config_selectorILNS1_17partition_subalgoE3EjNS0_10empty_typeEbEEZZNS1_14partition_implILS8_3ELb0ES6_jNS0_17counting_iteratorIjlEEPS9_SE_NS0_5tupleIJPjSE_EEENSF_IJSE_SE_EEES9_SG_JZNS1_25segmented_radix_sort_implINS0_14default_configELb1EPKdPdPKlPlN2at6native12_GLOBAL__N_18offset_tEEE10hipError_tPvRmT1_PNSt15iterator_traitsISY_E10value_typeET2_T3_PNSZ_IS14_E10value_typeET4_jRbjT5_S1A_jjP12ihipStream_tbEUljE_EEESV_SW_SX_S14_S18_S1A_T6_T7_T9_mT8_S1C_bDpT10_ENKUlT_T0_E_clISt17integral_constantIbLb1EES1P_EEDaS1K_S1L_EUlS1K_E_NS1_11comp_targetILNS1_3genE0ELNS1_11target_archE4294967295ELNS1_3gpuE0ELNS1_3repE0EEENS1_30default_config_static_selectorELNS0_4arch9wavefront6targetE0EEEvSY_,comdat
.Lfunc_end1094:
	.size	_ZN7rocprim17ROCPRIM_400000_NS6detail17trampoline_kernelINS0_13select_configILj256ELj13ELNS0_17block_load_methodE3ELS4_3ELS4_3ELNS0_20block_scan_algorithmE0ELj4294967295EEENS1_25partition_config_selectorILNS1_17partition_subalgoE3EjNS0_10empty_typeEbEEZZNS1_14partition_implILS8_3ELb0ES6_jNS0_17counting_iteratorIjlEEPS9_SE_NS0_5tupleIJPjSE_EEENSF_IJSE_SE_EEES9_SG_JZNS1_25segmented_radix_sort_implINS0_14default_configELb1EPKdPdPKlPlN2at6native12_GLOBAL__N_18offset_tEEE10hipError_tPvRmT1_PNSt15iterator_traitsISY_E10value_typeET2_T3_PNSZ_IS14_E10value_typeET4_jRbjT5_S1A_jjP12ihipStream_tbEUljE_EEESV_SW_SX_S14_S18_S1A_T6_T7_T9_mT8_S1C_bDpT10_ENKUlT_T0_E_clISt17integral_constantIbLb1EES1P_EEDaS1K_S1L_EUlS1K_E_NS1_11comp_targetILNS1_3genE0ELNS1_11target_archE4294967295ELNS1_3gpuE0ELNS1_3repE0EEENS1_30default_config_static_selectorELNS0_4arch9wavefront6targetE0EEEvSY_, .Lfunc_end1094-_ZN7rocprim17ROCPRIM_400000_NS6detail17trampoline_kernelINS0_13select_configILj256ELj13ELNS0_17block_load_methodE3ELS4_3ELS4_3ELNS0_20block_scan_algorithmE0ELj4294967295EEENS1_25partition_config_selectorILNS1_17partition_subalgoE3EjNS0_10empty_typeEbEEZZNS1_14partition_implILS8_3ELb0ES6_jNS0_17counting_iteratorIjlEEPS9_SE_NS0_5tupleIJPjSE_EEENSF_IJSE_SE_EEES9_SG_JZNS1_25segmented_radix_sort_implINS0_14default_configELb1EPKdPdPKlPlN2at6native12_GLOBAL__N_18offset_tEEE10hipError_tPvRmT1_PNSt15iterator_traitsISY_E10value_typeET2_T3_PNSZ_IS14_E10value_typeET4_jRbjT5_S1A_jjP12ihipStream_tbEUljE_EEESV_SW_SX_S14_S18_S1A_T6_T7_T9_mT8_S1C_bDpT10_ENKUlT_T0_E_clISt17integral_constantIbLb1EES1P_EEDaS1K_S1L_EUlS1K_E_NS1_11comp_targetILNS1_3genE0ELNS1_11target_archE4294967295ELNS1_3gpuE0ELNS1_3repE0EEENS1_30default_config_static_selectorELNS0_4arch9wavefront6targetE0EEEvSY_
                                        ; -- End function
	.set _ZN7rocprim17ROCPRIM_400000_NS6detail17trampoline_kernelINS0_13select_configILj256ELj13ELNS0_17block_load_methodE3ELS4_3ELS4_3ELNS0_20block_scan_algorithmE0ELj4294967295EEENS1_25partition_config_selectorILNS1_17partition_subalgoE3EjNS0_10empty_typeEbEEZZNS1_14partition_implILS8_3ELb0ES6_jNS0_17counting_iteratorIjlEEPS9_SE_NS0_5tupleIJPjSE_EEENSF_IJSE_SE_EEES9_SG_JZNS1_25segmented_radix_sort_implINS0_14default_configELb1EPKdPdPKlPlN2at6native12_GLOBAL__N_18offset_tEEE10hipError_tPvRmT1_PNSt15iterator_traitsISY_E10value_typeET2_T3_PNSZ_IS14_E10value_typeET4_jRbjT5_S1A_jjP12ihipStream_tbEUljE_EEESV_SW_SX_S14_S18_S1A_T6_T7_T9_mT8_S1C_bDpT10_ENKUlT_T0_E_clISt17integral_constantIbLb1EES1P_EEDaS1K_S1L_EUlS1K_E_NS1_11comp_targetILNS1_3genE0ELNS1_11target_archE4294967295ELNS1_3gpuE0ELNS1_3repE0EEENS1_30default_config_static_selectorELNS0_4arch9wavefront6targetE0EEEvSY_.num_vgpr, 0
	.set _ZN7rocprim17ROCPRIM_400000_NS6detail17trampoline_kernelINS0_13select_configILj256ELj13ELNS0_17block_load_methodE3ELS4_3ELS4_3ELNS0_20block_scan_algorithmE0ELj4294967295EEENS1_25partition_config_selectorILNS1_17partition_subalgoE3EjNS0_10empty_typeEbEEZZNS1_14partition_implILS8_3ELb0ES6_jNS0_17counting_iteratorIjlEEPS9_SE_NS0_5tupleIJPjSE_EEENSF_IJSE_SE_EEES9_SG_JZNS1_25segmented_radix_sort_implINS0_14default_configELb1EPKdPdPKlPlN2at6native12_GLOBAL__N_18offset_tEEE10hipError_tPvRmT1_PNSt15iterator_traitsISY_E10value_typeET2_T3_PNSZ_IS14_E10value_typeET4_jRbjT5_S1A_jjP12ihipStream_tbEUljE_EEESV_SW_SX_S14_S18_S1A_T6_T7_T9_mT8_S1C_bDpT10_ENKUlT_T0_E_clISt17integral_constantIbLb1EES1P_EEDaS1K_S1L_EUlS1K_E_NS1_11comp_targetILNS1_3genE0ELNS1_11target_archE4294967295ELNS1_3gpuE0ELNS1_3repE0EEENS1_30default_config_static_selectorELNS0_4arch9wavefront6targetE0EEEvSY_.num_agpr, 0
	.set _ZN7rocprim17ROCPRIM_400000_NS6detail17trampoline_kernelINS0_13select_configILj256ELj13ELNS0_17block_load_methodE3ELS4_3ELS4_3ELNS0_20block_scan_algorithmE0ELj4294967295EEENS1_25partition_config_selectorILNS1_17partition_subalgoE3EjNS0_10empty_typeEbEEZZNS1_14partition_implILS8_3ELb0ES6_jNS0_17counting_iteratorIjlEEPS9_SE_NS0_5tupleIJPjSE_EEENSF_IJSE_SE_EEES9_SG_JZNS1_25segmented_radix_sort_implINS0_14default_configELb1EPKdPdPKlPlN2at6native12_GLOBAL__N_18offset_tEEE10hipError_tPvRmT1_PNSt15iterator_traitsISY_E10value_typeET2_T3_PNSZ_IS14_E10value_typeET4_jRbjT5_S1A_jjP12ihipStream_tbEUljE_EEESV_SW_SX_S14_S18_S1A_T6_T7_T9_mT8_S1C_bDpT10_ENKUlT_T0_E_clISt17integral_constantIbLb1EES1P_EEDaS1K_S1L_EUlS1K_E_NS1_11comp_targetILNS1_3genE0ELNS1_11target_archE4294967295ELNS1_3gpuE0ELNS1_3repE0EEENS1_30default_config_static_selectorELNS0_4arch9wavefront6targetE0EEEvSY_.numbered_sgpr, 0
	.set _ZN7rocprim17ROCPRIM_400000_NS6detail17trampoline_kernelINS0_13select_configILj256ELj13ELNS0_17block_load_methodE3ELS4_3ELS4_3ELNS0_20block_scan_algorithmE0ELj4294967295EEENS1_25partition_config_selectorILNS1_17partition_subalgoE3EjNS0_10empty_typeEbEEZZNS1_14partition_implILS8_3ELb0ES6_jNS0_17counting_iteratorIjlEEPS9_SE_NS0_5tupleIJPjSE_EEENSF_IJSE_SE_EEES9_SG_JZNS1_25segmented_radix_sort_implINS0_14default_configELb1EPKdPdPKlPlN2at6native12_GLOBAL__N_18offset_tEEE10hipError_tPvRmT1_PNSt15iterator_traitsISY_E10value_typeET2_T3_PNSZ_IS14_E10value_typeET4_jRbjT5_S1A_jjP12ihipStream_tbEUljE_EEESV_SW_SX_S14_S18_S1A_T6_T7_T9_mT8_S1C_bDpT10_ENKUlT_T0_E_clISt17integral_constantIbLb1EES1P_EEDaS1K_S1L_EUlS1K_E_NS1_11comp_targetILNS1_3genE0ELNS1_11target_archE4294967295ELNS1_3gpuE0ELNS1_3repE0EEENS1_30default_config_static_selectorELNS0_4arch9wavefront6targetE0EEEvSY_.num_named_barrier, 0
	.set _ZN7rocprim17ROCPRIM_400000_NS6detail17trampoline_kernelINS0_13select_configILj256ELj13ELNS0_17block_load_methodE3ELS4_3ELS4_3ELNS0_20block_scan_algorithmE0ELj4294967295EEENS1_25partition_config_selectorILNS1_17partition_subalgoE3EjNS0_10empty_typeEbEEZZNS1_14partition_implILS8_3ELb0ES6_jNS0_17counting_iteratorIjlEEPS9_SE_NS0_5tupleIJPjSE_EEENSF_IJSE_SE_EEES9_SG_JZNS1_25segmented_radix_sort_implINS0_14default_configELb1EPKdPdPKlPlN2at6native12_GLOBAL__N_18offset_tEEE10hipError_tPvRmT1_PNSt15iterator_traitsISY_E10value_typeET2_T3_PNSZ_IS14_E10value_typeET4_jRbjT5_S1A_jjP12ihipStream_tbEUljE_EEESV_SW_SX_S14_S18_S1A_T6_T7_T9_mT8_S1C_bDpT10_ENKUlT_T0_E_clISt17integral_constantIbLb1EES1P_EEDaS1K_S1L_EUlS1K_E_NS1_11comp_targetILNS1_3genE0ELNS1_11target_archE4294967295ELNS1_3gpuE0ELNS1_3repE0EEENS1_30default_config_static_selectorELNS0_4arch9wavefront6targetE0EEEvSY_.private_seg_size, 0
	.set _ZN7rocprim17ROCPRIM_400000_NS6detail17trampoline_kernelINS0_13select_configILj256ELj13ELNS0_17block_load_methodE3ELS4_3ELS4_3ELNS0_20block_scan_algorithmE0ELj4294967295EEENS1_25partition_config_selectorILNS1_17partition_subalgoE3EjNS0_10empty_typeEbEEZZNS1_14partition_implILS8_3ELb0ES6_jNS0_17counting_iteratorIjlEEPS9_SE_NS0_5tupleIJPjSE_EEENSF_IJSE_SE_EEES9_SG_JZNS1_25segmented_radix_sort_implINS0_14default_configELb1EPKdPdPKlPlN2at6native12_GLOBAL__N_18offset_tEEE10hipError_tPvRmT1_PNSt15iterator_traitsISY_E10value_typeET2_T3_PNSZ_IS14_E10value_typeET4_jRbjT5_S1A_jjP12ihipStream_tbEUljE_EEESV_SW_SX_S14_S18_S1A_T6_T7_T9_mT8_S1C_bDpT10_ENKUlT_T0_E_clISt17integral_constantIbLb1EES1P_EEDaS1K_S1L_EUlS1K_E_NS1_11comp_targetILNS1_3genE0ELNS1_11target_archE4294967295ELNS1_3gpuE0ELNS1_3repE0EEENS1_30default_config_static_selectorELNS0_4arch9wavefront6targetE0EEEvSY_.uses_vcc, 0
	.set _ZN7rocprim17ROCPRIM_400000_NS6detail17trampoline_kernelINS0_13select_configILj256ELj13ELNS0_17block_load_methodE3ELS4_3ELS4_3ELNS0_20block_scan_algorithmE0ELj4294967295EEENS1_25partition_config_selectorILNS1_17partition_subalgoE3EjNS0_10empty_typeEbEEZZNS1_14partition_implILS8_3ELb0ES6_jNS0_17counting_iteratorIjlEEPS9_SE_NS0_5tupleIJPjSE_EEENSF_IJSE_SE_EEES9_SG_JZNS1_25segmented_radix_sort_implINS0_14default_configELb1EPKdPdPKlPlN2at6native12_GLOBAL__N_18offset_tEEE10hipError_tPvRmT1_PNSt15iterator_traitsISY_E10value_typeET2_T3_PNSZ_IS14_E10value_typeET4_jRbjT5_S1A_jjP12ihipStream_tbEUljE_EEESV_SW_SX_S14_S18_S1A_T6_T7_T9_mT8_S1C_bDpT10_ENKUlT_T0_E_clISt17integral_constantIbLb1EES1P_EEDaS1K_S1L_EUlS1K_E_NS1_11comp_targetILNS1_3genE0ELNS1_11target_archE4294967295ELNS1_3gpuE0ELNS1_3repE0EEENS1_30default_config_static_selectorELNS0_4arch9wavefront6targetE0EEEvSY_.uses_flat_scratch, 0
	.set _ZN7rocprim17ROCPRIM_400000_NS6detail17trampoline_kernelINS0_13select_configILj256ELj13ELNS0_17block_load_methodE3ELS4_3ELS4_3ELNS0_20block_scan_algorithmE0ELj4294967295EEENS1_25partition_config_selectorILNS1_17partition_subalgoE3EjNS0_10empty_typeEbEEZZNS1_14partition_implILS8_3ELb0ES6_jNS0_17counting_iteratorIjlEEPS9_SE_NS0_5tupleIJPjSE_EEENSF_IJSE_SE_EEES9_SG_JZNS1_25segmented_radix_sort_implINS0_14default_configELb1EPKdPdPKlPlN2at6native12_GLOBAL__N_18offset_tEEE10hipError_tPvRmT1_PNSt15iterator_traitsISY_E10value_typeET2_T3_PNSZ_IS14_E10value_typeET4_jRbjT5_S1A_jjP12ihipStream_tbEUljE_EEESV_SW_SX_S14_S18_S1A_T6_T7_T9_mT8_S1C_bDpT10_ENKUlT_T0_E_clISt17integral_constantIbLb1EES1P_EEDaS1K_S1L_EUlS1K_E_NS1_11comp_targetILNS1_3genE0ELNS1_11target_archE4294967295ELNS1_3gpuE0ELNS1_3repE0EEENS1_30default_config_static_selectorELNS0_4arch9wavefront6targetE0EEEvSY_.has_dyn_sized_stack, 0
	.set _ZN7rocprim17ROCPRIM_400000_NS6detail17trampoline_kernelINS0_13select_configILj256ELj13ELNS0_17block_load_methodE3ELS4_3ELS4_3ELNS0_20block_scan_algorithmE0ELj4294967295EEENS1_25partition_config_selectorILNS1_17partition_subalgoE3EjNS0_10empty_typeEbEEZZNS1_14partition_implILS8_3ELb0ES6_jNS0_17counting_iteratorIjlEEPS9_SE_NS0_5tupleIJPjSE_EEENSF_IJSE_SE_EEES9_SG_JZNS1_25segmented_radix_sort_implINS0_14default_configELb1EPKdPdPKlPlN2at6native12_GLOBAL__N_18offset_tEEE10hipError_tPvRmT1_PNSt15iterator_traitsISY_E10value_typeET2_T3_PNSZ_IS14_E10value_typeET4_jRbjT5_S1A_jjP12ihipStream_tbEUljE_EEESV_SW_SX_S14_S18_S1A_T6_T7_T9_mT8_S1C_bDpT10_ENKUlT_T0_E_clISt17integral_constantIbLb1EES1P_EEDaS1K_S1L_EUlS1K_E_NS1_11comp_targetILNS1_3genE0ELNS1_11target_archE4294967295ELNS1_3gpuE0ELNS1_3repE0EEENS1_30default_config_static_selectorELNS0_4arch9wavefront6targetE0EEEvSY_.has_recursion, 0
	.set _ZN7rocprim17ROCPRIM_400000_NS6detail17trampoline_kernelINS0_13select_configILj256ELj13ELNS0_17block_load_methodE3ELS4_3ELS4_3ELNS0_20block_scan_algorithmE0ELj4294967295EEENS1_25partition_config_selectorILNS1_17partition_subalgoE3EjNS0_10empty_typeEbEEZZNS1_14partition_implILS8_3ELb0ES6_jNS0_17counting_iteratorIjlEEPS9_SE_NS0_5tupleIJPjSE_EEENSF_IJSE_SE_EEES9_SG_JZNS1_25segmented_radix_sort_implINS0_14default_configELb1EPKdPdPKlPlN2at6native12_GLOBAL__N_18offset_tEEE10hipError_tPvRmT1_PNSt15iterator_traitsISY_E10value_typeET2_T3_PNSZ_IS14_E10value_typeET4_jRbjT5_S1A_jjP12ihipStream_tbEUljE_EEESV_SW_SX_S14_S18_S1A_T6_T7_T9_mT8_S1C_bDpT10_ENKUlT_T0_E_clISt17integral_constantIbLb1EES1P_EEDaS1K_S1L_EUlS1K_E_NS1_11comp_targetILNS1_3genE0ELNS1_11target_archE4294967295ELNS1_3gpuE0ELNS1_3repE0EEENS1_30default_config_static_selectorELNS0_4arch9wavefront6targetE0EEEvSY_.has_indirect_call, 0
	.section	.AMDGPU.csdata,"",@progbits
; Kernel info:
; codeLenInByte = 0
; TotalNumSgprs: 0
; NumVgprs: 0
; ScratchSize: 0
; MemoryBound: 0
; FloatMode: 240
; IeeeMode: 1
; LDSByteSize: 0 bytes/workgroup (compile time only)
; SGPRBlocks: 0
; VGPRBlocks: 0
; NumSGPRsForWavesPerEU: 1
; NumVGPRsForWavesPerEU: 1
; Occupancy: 16
; WaveLimiterHint : 0
; COMPUTE_PGM_RSRC2:SCRATCH_EN: 0
; COMPUTE_PGM_RSRC2:USER_SGPR: 2
; COMPUTE_PGM_RSRC2:TRAP_HANDLER: 0
; COMPUTE_PGM_RSRC2:TGID_X_EN: 1
; COMPUTE_PGM_RSRC2:TGID_Y_EN: 0
; COMPUTE_PGM_RSRC2:TGID_Z_EN: 0
; COMPUTE_PGM_RSRC2:TIDIG_COMP_CNT: 0
	.section	.text._ZN7rocprim17ROCPRIM_400000_NS6detail17trampoline_kernelINS0_13select_configILj256ELj13ELNS0_17block_load_methodE3ELS4_3ELS4_3ELNS0_20block_scan_algorithmE0ELj4294967295EEENS1_25partition_config_selectorILNS1_17partition_subalgoE3EjNS0_10empty_typeEbEEZZNS1_14partition_implILS8_3ELb0ES6_jNS0_17counting_iteratorIjlEEPS9_SE_NS0_5tupleIJPjSE_EEENSF_IJSE_SE_EEES9_SG_JZNS1_25segmented_radix_sort_implINS0_14default_configELb1EPKdPdPKlPlN2at6native12_GLOBAL__N_18offset_tEEE10hipError_tPvRmT1_PNSt15iterator_traitsISY_E10value_typeET2_T3_PNSZ_IS14_E10value_typeET4_jRbjT5_S1A_jjP12ihipStream_tbEUljE_EEESV_SW_SX_S14_S18_S1A_T6_T7_T9_mT8_S1C_bDpT10_ENKUlT_T0_E_clISt17integral_constantIbLb1EES1P_EEDaS1K_S1L_EUlS1K_E_NS1_11comp_targetILNS1_3genE5ELNS1_11target_archE942ELNS1_3gpuE9ELNS1_3repE0EEENS1_30default_config_static_selectorELNS0_4arch9wavefront6targetE0EEEvSY_,"axG",@progbits,_ZN7rocprim17ROCPRIM_400000_NS6detail17trampoline_kernelINS0_13select_configILj256ELj13ELNS0_17block_load_methodE3ELS4_3ELS4_3ELNS0_20block_scan_algorithmE0ELj4294967295EEENS1_25partition_config_selectorILNS1_17partition_subalgoE3EjNS0_10empty_typeEbEEZZNS1_14partition_implILS8_3ELb0ES6_jNS0_17counting_iteratorIjlEEPS9_SE_NS0_5tupleIJPjSE_EEENSF_IJSE_SE_EEES9_SG_JZNS1_25segmented_radix_sort_implINS0_14default_configELb1EPKdPdPKlPlN2at6native12_GLOBAL__N_18offset_tEEE10hipError_tPvRmT1_PNSt15iterator_traitsISY_E10value_typeET2_T3_PNSZ_IS14_E10value_typeET4_jRbjT5_S1A_jjP12ihipStream_tbEUljE_EEESV_SW_SX_S14_S18_S1A_T6_T7_T9_mT8_S1C_bDpT10_ENKUlT_T0_E_clISt17integral_constantIbLb1EES1P_EEDaS1K_S1L_EUlS1K_E_NS1_11comp_targetILNS1_3genE5ELNS1_11target_archE942ELNS1_3gpuE9ELNS1_3repE0EEENS1_30default_config_static_selectorELNS0_4arch9wavefront6targetE0EEEvSY_,comdat
	.globl	_ZN7rocprim17ROCPRIM_400000_NS6detail17trampoline_kernelINS0_13select_configILj256ELj13ELNS0_17block_load_methodE3ELS4_3ELS4_3ELNS0_20block_scan_algorithmE0ELj4294967295EEENS1_25partition_config_selectorILNS1_17partition_subalgoE3EjNS0_10empty_typeEbEEZZNS1_14partition_implILS8_3ELb0ES6_jNS0_17counting_iteratorIjlEEPS9_SE_NS0_5tupleIJPjSE_EEENSF_IJSE_SE_EEES9_SG_JZNS1_25segmented_radix_sort_implINS0_14default_configELb1EPKdPdPKlPlN2at6native12_GLOBAL__N_18offset_tEEE10hipError_tPvRmT1_PNSt15iterator_traitsISY_E10value_typeET2_T3_PNSZ_IS14_E10value_typeET4_jRbjT5_S1A_jjP12ihipStream_tbEUljE_EEESV_SW_SX_S14_S18_S1A_T6_T7_T9_mT8_S1C_bDpT10_ENKUlT_T0_E_clISt17integral_constantIbLb1EES1P_EEDaS1K_S1L_EUlS1K_E_NS1_11comp_targetILNS1_3genE5ELNS1_11target_archE942ELNS1_3gpuE9ELNS1_3repE0EEENS1_30default_config_static_selectorELNS0_4arch9wavefront6targetE0EEEvSY_ ; -- Begin function _ZN7rocprim17ROCPRIM_400000_NS6detail17trampoline_kernelINS0_13select_configILj256ELj13ELNS0_17block_load_methodE3ELS4_3ELS4_3ELNS0_20block_scan_algorithmE0ELj4294967295EEENS1_25partition_config_selectorILNS1_17partition_subalgoE3EjNS0_10empty_typeEbEEZZNS1_14partition_implILS8_3ELb0ES6_jNS0_17counting_iteratorIjlEEPS9_SE_NS0_5tupleIJPjSE_EEENSF_IJSE_SE_EEES9_SG_JZNS1_25segmented_radix_sort_implINS0_14default_configELb1EPKdPdPKlPlN2at6native12_GLOBAL__N_18offset_tEEE10hipError_tPvRmT1_PNSt15iterator_traitsISY_E10value_typeET2_T3_PNSZ_IS14_E10value_typeET4_jRbjT5_S1A_jjP12ihipStream_tbEUljE_EEESV_SW_SX_S14_S18_S1A_T6_T7_T9_mT8_S1C_bDpT10_ENKUlT_T0_E_clISt17integral_constantIbLb1EES1P_EEDaS1K_S1L_EUlS1K_E_NS1_11comp_targetILNS1_3genE5ELNS1_11target_archE942ELNS1_3gpuE9ELNS1_3repE0EEENS1_30default_config_static_selectorELNS0_4arch9wavefront6targetE0EEEvSY_
	.p2align	8
	.type	_ZN7rocprim17ROCPRIM_400000_NS6detail17trampoline_kernelINS0_13select_configILj256ELj13ELNS0_17block_load_methodE3ELS4_3ELS4_3ELNS0_20block_scan_algorithmE0ELj4294967295EEENS1_25partition_config_selectorILNS1_17partition_subalgoE3EjNS0_10empty_typeEbEEZZNS1_14partition_implILS8_3ELb0ES6_jNS0_17counting_iteratorIjlEEPS9_SE_NS0_5tupleIJPjSE_EEENSF_IJSE_SE_EEES9_SG_JZNS1_25segmented_radix_sort_implINS0_14default_configELb1EPKdPdPKlPlN2at6native12_GLOBAL__N_18offset_tEEE10hipError_tPvRmT1_PNSt15iterator_traitsISY_E10value_typeET2_T3_PNSZ_IS14_E10value_typeET4_jRbjT5_S1A_jjP12ihipStream_tbEUljE_EEESV_SW_SX_S14_S18_S1A_T6_T7_T9_mT8_S1C_bDpT10_ENKUlT_T0_E_clISt17integral_constantIbLb1EES1P_EEDaS1K_S1L_EUlS1K_E_NS1_11comp_targetILNS1_3genE5ELNS1_11target_archE942ELNS1_3gpuE9ELNS1_3repE0EEENS1_30default_config_static_selectorELNS0_4arch9wavefront6targetE0EEEvSY_,@function
_ZN7rocprim17ROCPRIM_400000_NS6detail17trampoline_kernelINS0_13select_configILj256ELj13ELNS0_17block_load_methodE3ELS4_3ELS4_3ELNS0_20block_scan_algorithmE0ELj4294967295EEENS1_25partition_config_selectorILNS1_17partition_subalgoE3EjNS0_10empty_typeEbEEZZNS1_14partition_implILS8_3ELb0ES6_jNS0_17counting_iteratorIjlEEPS9_SE_NS0_5tupleIJPjSE_EEENSF_IJSE_SE_EEES9_SG_JZNS1_25segmented_radix_sort_implINS0_14default_configELb1EPKdPdPKlPlN2at6native12_GLOBAL__N_18offset_tEEE10hipError_tPvRmT1_PNSt15iterator_traitsISY_E10value_typeET2_T3_PNSZ_IS14_E10value_typeET4_jRbjT5_S1A_jjP12ihipStream_tbEUljE_EEESV_SW_SX_S14_S18_S1A_T6_T7_T9_mT8_S1C_bDpT10_ENKUlT_T0_E_clISt17integral_constantIbLb1EES1P_EEDaS1K_S1L_EUlS1K_E_NS1_11comp_targetILNS1_3genE5ELNS1_11target_archE942ELNS1_3gpuE9ELNS1_3repE0EEENS1_30default_config_static_selectorELNS0_4arch9wavefront6targetE0EEEvSY_: ; @_ZN7rocprim17ROCPRIM_400000_NS6detail17trampoline_kernelINS0_13select_configILj256ELj13ELNS0_17block_load_methodE3ELS4_3ELS4_3ELNS0_20block_scan_algorithmE0ELj4294967295EEENS1_25partition_config_selectorILNS1_17partition_subalgoE3EjNS0_10empty_typeEbEEZZNS1_14partition_implILS8_3ELb0ES6_jNS0_17counting_iteratorIjlEEPS9_SE_NS0_5tupleIJPjSE_EEENSF_IJSE_SE_EEES9_SG_JZNS1_25segmented_radix_sort_implINS0_14default_configELb1EPKdPdPKlPlN2at6native12_GLOBAL__N_18offset_tEEE10hipError_tPvRmT1_PNSt15iterator_traitsISY_E10value_typeET2_T3_PNSZ_IS14_E10value_typeET4_jRbjT5_S1A_jjP12ihipStream_tbEUljE_EEESV_SW_SX_S14_S18_S1A_T6_T7_T9_mT8_S1C_bDpT10_ENKUlT_T0_E_clISt17integral_constantIbLb1EES1P_EEDaS1K_S1L_EUlS1K_E_NS1_11comp_targetILNS1_3genE5ELNS1_11target_archE942ELNS1_3gpuE9ELNS1_3repE0EEENS1_30default_config_static_selectorELNS0_4arch9wavefront6targetE0EEEvSY_
; %bb.0:
	.section	.rodata,"a",@progbits
	.p2align	6, 0x0
	.amdhsa_kernel _ZN7rocprim17ROCPRIM_400000_NS6detail17trampoline_kernelINS0_13select_configILj256ELj13ELNS0_17block_load_methodE3ELS4_3ELS4_3ELNS0_20block_scan_algorithmE0ELj4294967295EEENS1_25partition_config_selectorILNS1_17partition_subalgoE3EjNS0_10empty_typeEbEEZZNS1_14partition_implILS8_3ELb0ES6_jNS0_17counting_iteratorIjlEEPS9_SE_NS0_5tupleIJPjSE_EEENSF_IJSE_SE_EEES9_SG_JZNS1_25segmented_radix_sort_implINS0_14default_configELb1EPKdPdPKlPlN2at6native12_GLOBAL__N_18offset_tEEE10hipError_tPvRmT1_PNSt15iterator_traitsISY_E10value_typeET2_T3_PNSZ_IS14_E10value_typeET4_jRbjT5_S1A_jjP12ihipStream_tbEUljE_EEESV_SW_SX_S14_S18_S1A_T6_T7_T9_mT8_S1C_bDpT10_ENKUlT_T0_E_clISt17integral_constantIbLb1EES1P_EEDaS1K_S1L_EUlS1K_E_NS1_11comp_targetILNS1_3genE5ELNS1_11target_archE942ELNS1_3gpuE9ELNS1_3repE0EEENS1_30default_config_static_selectorELNS0_4arch9wavefront6targetE0EEEvSY_
		.amdhsa_group_segment_fixed_size 0
		.amdhsa_private_segment_fixed_size 0
		.amdhsa_kernarg_size 152
		.amdhsa_user_sgpr_count 2
		.amdhsa_user_sgpr_dispatch_ptr 0
		.amdhsa_user_sgpr_queue_ptr 0
		.amdhsa_user_sgpr_kernarg_segment_ptr 1
		.amdhsa_user_sgpr_dispatch_id 0
		.amdhsa_user_sgpr_private_segment_size 0
		.amdhsa_wavefront_size32 1
		.amdhsa_uses_dynamic_stack 0
		.amdhsa_enable_private_segment 0
		.amdhsa_system_sgpr_workgroup_id_x 1
		.amdhsa_system_sgpr_workgroup_id_y 0
		.amdhsa_system_sgpr_workgroup_id_z 0
		.amdhsa_system_sgpr_workgroup_info 0
		.amdhsa_system_vgpr_workitem_id 0
		.amdhsa_next_free_vgpr 1
		.amdhsa_next_free_sgpr 1
		.amdhsa_reserve_vcc 0
		.amdhsa_float_round_mode_32 0
		.amdhsa_float_round_mode_16_64 0
		.amdhsa_float_denorm_mode_32 3
		.amdhsa_float_denorm_mode_16_64 3
		.amdhsa_fp16_overflow 0
		.amdhsa_workgroup_processor_mode 1
		.amdhsa_memory_ordered 1
		.amdhsa_forward_progress 1
		.amdhsa_inst_pref_size 0
		.amdhsa_round_robin_scheduling 0
		.amdhsa_exception_fp_ieee_invalid_op 0
		.amdhsa_exception_fp_denorm_src 0
		.amdhsa_exception_fp_ieee_div_zero 0
		.amdhsa_exception_fp_ieee_overflow 0
		.amdhsa_exception_fp_ieee_underflow 0
		.amdhsa_exception_fp_ieee_inexact 0
		.amdhsa_exception_int_div_zero 0
	.end_amdhsa_kernel
	.section	.text._ZN7rocprim17ROCPRIM_400000_NS6detail17trampoline_kernelINS0_13select_configILj256ELj13ELNS0_17block_load_methodE3ELS4_3ELS4_3ELNS0_20block_scan_algorithmE0ELj4294967295EEENS1_25partition_config_selectorILNS1_17partition_subalgoE3EjNS0_10empty_typeEbEEZZNS1_14partition_implILS8_3ELb0ES6_jNS0_17counting_iteratorIjlEEPS9_SE_NS0_5tupleIJPjSE_EEENSF_IJSE_SE_EEES9_SG_JZNS1_25segmented_radix_sort_implINS0_14default_configELb1EPKdPdPKlPlN2at6native12_GLOBAL__N_18offset_tEEE10hipError_tPvRmT1_PNSt15iterator_traitsISY_E10value_typeET2_T3_PNSZ_IS14_E10value_typeET4_jRbjT5_S1A_jjP12ihipStream_tbEUljE_EEESV_SW_SX_S14_S18_S1A_T6_T7_T9_mT8_S1C_bDpT10_ENKUlT_T0_E_clISt17integral_constantIbLb1EES1P_EEDaS1K_S1L_EUlS1K_E_NS1_11comp_targetILNS1_3genE5ELNS1_11target_archE942ELNS1_3gpuE9ELNS1_3repE0EEENS1_30default_config_static_selectorELNS0_4arch9wavefront6targetE0EEEvSY_,"axG",@progbits,_ZN7rocprim17ROCPRIM_400000_NS6detail17trampoline_kernelINS0_13select_configILj256ELj13ELNS0_17block_load_methodE3ELS4_3ELS4_3ELNS0_20block_scan_algorithmE0ELj4294967295EEENS1_25partition_config_selectorILNS1_17partition_subalgoE3EjNS0_10empty_typeEbEEZZNS1_14partition_implILS8_3ELb0ES6_jNS0_17counting_iteratorIjlEEPS9_SE_NS0_5tupleIJPjSE_EEENSF_IJSE_SE_EEES9_SG_JZNS1_25segmented_radix_sort_implINS0_14default_configELb1EPKdPdPKlPlN2at6native12_GLOBAL__N_18offset_tEEE10hipError_tPvRmT1_PNSt15iterator_traitsISY_E10value_typeET2_T3_PNSZ_IS14_E10value_typeET4_jRbjT5_S1A_jjP12ihipStream_tbEUljE_EEESV_SW_SX_S14_S18_S1A_T6_T7_T9_mT8_S1C_bDpT10_ENKUlT_T0_E_clISt17integral_constantIbLb1EES1P_EEDaS1K_S1L_EUlS1K_E_NS1_11comp_targetILNS1_3genE5ELNS1_11target_archE942ELNS1_3gpuE9ELNS1_3repE0EEENS1_30default_config_static_selectorELNS0_4arch9wavefront6targetE0EEEvSY_,comdat
.Lfunc_end1095:
	.size	_ZN7rocprim17ROCPRIM_400000_NS6detail17trampoline_kernelINS0_13select_configILj256ELj13ELNS0_17block_load_methodE3ELS4_3ELS4_3ELNS0_20block_scan_algorithmE0ELj4294967295EEENS1_25partition_config_selectorILNS1_17partition_subalgoE3EjNS0_10empty_typeEbEEZZNS1_14partition_implILS8_3ELb0ES6_jNS0_17counting_iteratorIjlEEPS9_SE_NS0_5tupleIJPjSE_EEENSF_IJSE_SE_EEES9_SG_JZNS1_25segmented_radix_sort_implINS0_14default_configELb1EPKdPdPKlPlN2at6native12_GLOBAL__N_18offset_tEEE10hipError_tPvRmT1_PNSt15iterator_traitsISY_E10value_typeET2_T3_PNSZ_IS14_E10value_typeET4_jRbjT5_S1A_jjP12ihipStream_tbEUljE_EEESV_SW_SX_S14_S18_S1A_T6_T7_T9_mT8_S1C_bDpT10_ENKUlT_T0_E_clISt17integral_constantIbLb1EES1P_EEDaS1K_S1L_EUlS1K_E_NS1_11comp_targetILNS1_3genE5ELNS1_11target_archE942ELNS1_3gpuE9ELNS1_3repE0EEENS1_30default_config_static_selectorELNS0_4arch9wavefront6targetE0EEEvSY_, .Lfunc_end1095-_ZN7rocprim17ROCPRIM_400000_NS6detail17trampoline_kernelINS0_13select_configILj256ELj13ELNS0_17block_load_methodE3ELS4_3ELS4_3ELNS0_20block_scan_algorithmE0ELj4294967295EEENS1_25partition_config_selectorILNS1_17partition_subalgoE3EjNS0_10empty_typeEbEEZZNS1_14partition_implILS8_3ELb0ES6_jNS0_17counting_iteratorIjlEEPS9_SE_NS0_5tupleIJPjSE_EEENSF_IJSE_SE_EEES9_SG_JZNS1_25segmented_radix_sort_implINS0_14default_configELb1EPKdPdPKlPlN2at6native12_GLOBAL__N_18offset_tEEE10hipError_tPvRmT1_PNSt15iterator_traitsISY_E10value_typeET2_T3_PNSZ_IS14_E10value_typeET4_jRbjT5_S1A_jjP12ihipStream_tbEUljE_EEESV_SW_SX_S14_S18_S1A_T6_T7_T9_mT8_S1C_bDpT10_ENKUlT_T0_E_clISt17integral_constantIbLb1EES1P_EEDaS1K_S1L_EUlS1K_E_NS1_11comp_targetILNS1_3genE5ELNS1_11target_archE942ELNS1_3gpuE9ELNS1_3repE0EEENS1_30default_config_static_selectorELNS0_4arch9wavefront6targetE0EEEvSY_
                                        ; -- End function
	.set _ZN7rocprim17ROCPRIM_400000_NS6detail17trampoline_kernelINS0_13select_configILj256ELj13ELNS0_17block_load_methodE3ELS4_3ELS4_3ELNS0_20block_scan_algorithmE0ELj4294967295EEENS1_25partition_config_selectorILNS1_17partition_subalgoE3EjNS0_10empty_typeEbEEZZNS1_14partition_implILS8_3ELb0ES6_jNS0_17counting_iteratorIjlEEPS9_SE_NS0_5tupleIJPjSE_EEENSF_IJSE_SE_EEES9_SG_JZNS1_25segmented_radix_sort_implINS0_14default_configELb1EPKdPdPKlPlN2at6native12_GLOBAL__N_18offset_tEEE10hipError_tPvRmT1_PNSt15iterator_traitsISY_E10value_typeET2_T3_PNSZ_IS14_E10value_typeET4_jRbjT5_S1A_jjP12ihipStream_tbEUljE_EEESV_SW_SX_S14_S18_S1A_T6_T7_T9_mT8_S1C_bDpT10_ENKUlT_T0_E_clISt17integral_constantIbLb1EES1P_EEDaS1K_S1L_EUlS1K_E_NS1_11comp_targetILNS1_3genE5ELNS1_11target_archE942ELNS1_3gpuE9ELNS1_3repE0EEENS1_30default_config_static_selectorELNS0_4arch9wavefront6targetE0EEEvSY_.num_vgpr, 0
	.set _ZN7rocprim17ROCPRIM_400000_NS6detail17trampoline_kernelINS0_13select_configILj256ELj13ELNS0_17block_load_methodE3ELS4_3ELS4_3ELNS0_20block_scan_algorithmE0ELj4294967295EEENS1_25partition_config_selectorILNS1_17partition_subalgoE3EjNS0_10empty_typeEbEEZZNS1_14partition_implILS8_3ELb0ES6_jNS0_17counting_iteratorIjlEEPS9_SE_NS0_5tupleIJPjSE_EEENSF_IJSE_SE_EEES9_SG_JZNS1_25segmented_radix_sort_implINS0_14default_configELb1EPKdPdPKlPlN2at6native12_GLOBAL__N_18offset_tEEE10hipError_tPvRmT1_PNSt15iterator_traitsISY_E10value_typeET2_T3_PNSZ_IS14_E10value_typeET4_jRbjT5_S1A_jjP12ihipStream_tbEUljE_EEESV_SW_SX_S14_S18_S1A_T6_T7_T9_mT8_S1C_bDpT10_ENKUlT_T0_E_clISt17integral_constantIbLb1EES1P_EEDaS1K_S1L_EUlS1K_E_NS1_11comp_targetILNS1_3genE5ELNS1_11target_archE942ELNS1_3gpuE9ELNS1_3repE0EEENS1_30default_config_static_selectorELNS0_4arch9wavefront6targetE0EEEvSY_.num_agpr, 0
	.set _ZN7rocprim17ROCPRIM_400000_NS6detail17trampoline_kernelINS0_13select_configILj256ELj13ELNS0_17block_load_methodE3ELS4_3ELS4_3ELNS0_20block_scan_algorithmE0ELj4294967295EEENS1_25partition_config_selectorILNS1_17partition_subalgoE3EjNS0_10empty_typeEbEEZZNS1_14partition_implILS8_3ELb0ES6_jNS0_17counting_iteratorIjlEEPS9_SE_NS0_5tupleIJPjSE_EEENSF_IJSE_SE_EEES9_SG_JZNS1_25segmented_radix_sort_implINS0_14default_configELb1EPKdPdPKlPlN2at6native12_GLOBAL__N_18offset_tEEE10hipError_tPvRmT1_PNSt15iterator_traitsISY_E10value_typeET2_T3_PNSZ_IS14_E10value_typeET4_jRbjT5_S1A_jjP12ihipStream_tbEUljE_EEESV_SW_SX_S14_S18_S1A_T6_T7_T9_mT8_S1C_bDpT10_ENKUlT_T0_E_clISt17integral_constantIbLb1EES1P_EEDaS1K_S1L_EUlS1K_E_NS1_11comp_targetILNS1_3genE5ELNS1_11target_archE942ELNS1_3gpuE9ELNS1_3repE0EEENS1_30default_config_static_selectorELNS0_4arch9wavefront6targetE0EEEvSY_.numbered_sgpr, 0
	.set _ZN7rocprim17ROCPRIM_400000_NS6detail17trampoline_kernelINS0_13select_configILj256ELj13ELNS0_17block_load_methodE3ELS4_3ELS4_3ELNS0_20block_scan_algorithmE0ELj4294967295EEENS1_25partition_config_selectorILNS1_17partition_subalgoE3EjNS0_10empty_typeEbEEZZNS1_14partition_implILS8_3ELb0ES6_jNS0_17counting_iteratorIjlEEPS9_SE_NS0_5tupleIJPjSE_EEENSF_IJSE_SE_EEES9_SG_JZNS1_25segmented_radix_sort_implINS0_14default_configELb1EPKdPdPKlPlN2at6native12_GLOBAL__N_18offset_tEEE10hipError_tPvRmT1_PNSt15iterator_traitsISY_E10value_typeET2_T3_PNSZ_IS14_E10value_typeET4_jRbjT5_S1A_jjP12ihipStream_tbEUljE_EEESV_SW_SX_S14_S18_S1A_T6_T7_T9_mT8_S1C_bDpT10_ENKUlT_T0_E_clISt17integral_constantIbLb1EES1P_EEDaS1K_S1L_EUlS1K_E_NS1_11comp_targetILNS1_3genE5ELNS1_11target_archE942ELNS1_3gpuE9ELNS1_3repE0EEENS1_30default_config_static_selectorELNS0_4arch9wavefront6targetE0EEEvSY_.num_named_barrier, 0
	.set _ZN7rocprim17ROCPRIM_400000_NS6detail17trampoline_kernelINS0_13select_configILj256ELj13ELNS0_17block_load_methodE3ELS4_3ELS4_3ELNS0_20block_scan_algorithmE0ELj4294967295EEENS1_25partition_config_selectorILNS1_17partition_subalgoE3EjNS0_10empty_typeEbEEZZNS1_14partition_implILS8_3ELb0ES6_jNS0_17counting_iteratorIjlEEPS9_SE_NS0_5tupleIJPjSE_EEENSF_IJSE_SE_EEES9_SG_JZNS1_25segmented_radix_sort_implINS0_14default_configELb1EPKdPdPKlPlN2at6native12_GLOBAL__N_18offset_tEEE10hipError_tPvRmT1_PNSt15iterator_traitsISY_E10value_typeET2_T3_PNSZ_IS14_E10value_typeET4_jRbjT5_S1A_jjP12ihipStream_tbEUljE_EEESV_SW_SX_S14_S18_S1A_T6_T7_T9_mT8_S1C_bDpT10_ENKUlT_T0_E_clISt17integral_constantIbLb1EES1P_EEDaS1K_S1L_EUlS1K_E_NS1_11comp_targetILNS1_3genE5ELNS1_11target_archE942ELNS1_3gpuE9ELNS1_3repE0EEENS1_30default_config_static_selectorELNS0_4arch9wavefront6targetE0EEEvSY_.private_seg_size, 0
	.set _ZN7rocprim17ROCPRIM_400000_NS6detail17trampoline_kernelINS0_13select_configILj256ELj13ELNS0_17block_load_methodE3ELS4_3ELS4_3ELNS0_20block_scan_algorithmE0ELj4294967295EEENS1_25partition_config_selectorILNS1_17partition_subalgoE3EjNS0_10empty_typeEbEEZZNS1_14partition_implILS8_3ELb0ES6_jNS0_17counting_iteratorIjlEEPS9_SE_NS0_5tupleIJPjSE_EEENSF_IJSE_SE_EEES9_SG_JZNS1_25segmented_radix_sort_implINS0_14default_configELb1EPKdPdPKlPlN2at6native12_GLOBAL__N_18offset_tEEE10hipError_tPvRmT1_PNSt15iterator_traitsISY_E10value_typeET2_T3_PNSZ_IS14_E10value_typeET4_jRbjT5_S1A_jjP12ihipStream_tbEUljE_EEESV_SW_SX_S14_S18_S1A_T6_T7_T9_mT8_S1C_bDpT10_ENKUlT_T0_E_clISt17integral_constantIbLb1EES1P_EEDaS1K_S1L_EUlS1K_E_NS1_11comp_targetILNS1_3genE5ELNS1_11target_archE942ELNS1_3gpuE9ELNS1_3repE0EEENS1_30default_config_static_selectorELNS0_4arch9wavefront6targetE0EEEvSY_.uses_vcc, 0
	.set _ZN7rocprim17ROCPRIM_400000_NS6detail17trampoline_kernelINS0_13select_configILj256ELj13ELNS0_17block_load_methodE3ELS4_3ELS4_3ELNS0_20block_scan_algorithmE0ELj4294967295EEENS1_25partition_config_selectorILNS1_17partition_subalgoE3EjNS0_10empty_typeEbEEZZNS1_14partition_implILS8_3ELb0ES6_jNS0_17counting_iteratorIjlEEPS9_SE_NS0_5tupleIJPjSE_EEENSF_IJSE_SE_EEES9_SG_JZNS1_25segmented_radix_sort_implINS0_14default_configELb1EPKdPdPKlPlN2at6native12_GLOBAL__N_18offset_tEEE10hipError_tPvRmT1_PNSt15iterator_traitsISY_E10value_typeET2_T3_PNSZ_IS14_E10value_typeET4_jRbjT5_S1A_jjP12ihipStream_tbEUljE_EEESV_SW_SX_S14_S18_S1A_T6_T7_T9_mT8_S1C_bDpT10_ENKUlT_T0_E_clISt17integral_constantIbLb1EES1P_EEDaS1K_S1L_EUlS1K_E_NS1_11comp_targetILNS1_3genE5ELNS1_11target_archE942ELNS1_3gpuE9ELNS1_3repE0EEENS1_30default_config_static_selectorELNS0_4arch9wavefront6targetE0EEEvSY_.uses_flat_scratch, 0
	.set _ZN7rocprim17ROCPRIM_400000_NS6detail17trampoline_kernelINS0_13select_configILj256ELj13ELNS0_17block_load_methodE3ELS4_3ELS4_3ELNS0_20block_scan_algorithmE0ELj4294967295EEENS1_25partition_config_selectorILNS1_17partition_subalgoE3EjNS0_10empty_typeEbEEZZNS1_14partition_implILS8_3ELb0ES6_jNS0_17counting_iteratorIjlEEPS9_SE_NS0_5tupleIJPjSE_EEENSF_IJSE_SE_EEES9_SG_JZNS1_25segmented_radix_sort_implINS0_14default_configELb1EPKdPdPKlPlN2at6native12_GLOBAL__N_18offset_tEEE10hipError_tPvRmT1_PNSt15iterator_traitsISY_E10value_typeET2_T3_PNSZ_IS14_E10value_typeET4_jRbjT5_S1A_jjP12ihipStream_tbEUljE_EEESV_SW_SX_S14_S18_S1A_T6_T7_T9_mT8_S1C_bDpT10_ENKUlT_T0_E_clISt17integral_constantIbLb1EES1P_EEDaS1K_S1L_EUlS1K_E_NS1_11comp_targetILNS1_3genE5ELNS1_11target_archE942ELNS1_3gpuE9ELNS1_3repE0EEENS1_30default_config_static_selectorELNS0_4arch9wavefront6targetE0EEEvSY_.has_dyn_sized_stack, 0
	.set _ZN7rocprim17ROCPRIM_400000_NS6detail17trampoline_kernelINS0_13select_configILj256ELj13ELNS0_17block_load_methodE3ELS4_3ELS4_3ELNS0_20block_scan_algorithmE0ELj4294967295EEENS1_25partition_config_selectorILNS1_17partition_subalgoE3EjNS0_10empty_typeEbEEZZNS1_14partition_implILS8_3ELb0ES6_jNS0_17counting_iteratorIjlEEPS9_SE_NS0_5tupleIJPjSE_EEENSF_IJSE_SE_EEES9_SG_JZNS1_25segmented_radix_sort_implINS0_14default_configELb1EPKdPdPKlPlN2at6native12_GLOBAL__N_18offset_tEEE10hipError_tPvRmT1_PNSt15iterator_traitsISY_E10value_typeET2_T3_PNSZ_IS14_E10value_typeET4_jRbjT5_S1A_jjP12ihipStream_tbEUljE_EEESV_SW_SX_S14_S18_S1A_T6_T7_T9_mT8_S1C_bDpT10_ENKUlT_T0_E_clISt17integral_constantIbLb1EES1P_EEDaS1K_S1L_EUlS1K_E_NS1_11comp_targetILNS1_3genE5ELNS1_11target_archE942ELNS1_3gpuE9ELNS1_3repE0EEENS1_30default_config_static_selectorELNS0_4arch9wavefront6targetE0EEEvSY_.has_recursion, 0
	.set _ZN7rocprim17ROCPRIM_400000_NS6detail17trampoline_kernelINS0_13select_configILj256ELj13ELNS0_17block_load_methodE3ELS4_3ELS4_3ELNS0_20block_scan_algorithmE0ELj4294967295EEENS1_25partition_config_selectorILNS1_17partition_subalgoE3EjNS0_10empty_typeEbEEZZNS1_14partition_implILS8_3ELb0ES6_jNS0_17counting_iteratorIjlEEPS9_SE_NS0_5tupleIJPjSE_EEENSF_IJSE_SE_EEES9_SG_JZNS1_25segmented_radix_sort_implINS0_14default_configELb1EPKdPdPKlPlN2at6native12_GLOBAL__N_18offset_tEEE10hipError_tPvRmT1_PNSt15iterator_traitsISY_E10value_typeET2_T3_PNSZ_IS14_E10value_typeET4_jRbjT5_S1A_jjP12ihipStream_tbEUljE_EEESV_SW_SX_S14_S18_S1A_T6_T7_T9_mT8_S1C_bDpT10_ENKUlT_T0_E_clISt17integral_constantIbLb1EES1P_EEDaS1K_S1L_EUlS1K_E_NS1_11comp_targetILNS1_3genE5ELNS1_11target_archE942ELNS1_3gpuE9ELNS1_3repE0EEENS1_30default_config_static_selectorELNS0_4arch9wavefront6targetE0EEEvSY_.has_indirect_call, 0
	.section	.AMDGPU.csdata,"",@progbits
; Kernel info:
; codeLenInByte = 0
; TotalNumSgprs: 0
; NumVgprs: 0
; ScratchSize: 0
; MemoryBound: 0
; FloatMode: 240
; IeeeMode: 1
; LDSByteSize: 0 bytes/workgroup (compile time only)
; SGPRBlocks: 0
; VGPRBlocks: 0
; NumSGPRsForWavesPerEU: 1
; NumVGPRsForWavesPerEU: 1
; Occupancy: 16
; WaveLimiterHint : 0
; COMPUTE_PGM_RSRC2:SCRATCH_EN: 0
; COMPUTE_PGM_RSRC2:USER_SGPR: 2
; COMPUTE_PGM_RSRC2:TRAP_HANDLER: 0
; COMPUTE_PGM_RSRC2:TGID_X_EN: 1
; COMPUTE_PGM_RSRC2:TGID_Y_EN: 0
; COMPUTE_PGM_RSRC2:TGID_Z_EN: 0
; COMPUTE_PGM_RSRC2:TIDIG_COMP_CNT: 0
	.section	.text._ZN7rocprim17ROCPRIM_400000_NS6detail17trampoline_kernelINS0_13select_configILj256ELj13ELNS0_17block_load_methodE3ELS4_3ELS4_3ELNS0_20block_scan_algorithmE0ELj4294967295EEENS1_25partition_config_selectorILNS1_17partition_subalgoE3EjNS0_10empty_typeEbEEZZNS1_14partition_implILS8_3ELb0ES6_jNS0_17counting_iteratorIjlEEPS9_SE_NS0_5tupleIJPjSE_EEENSF_IJSE_SE_EEES9_SG_JZNS1_25segmented_radix_sort_implINS0_14default_configELb1EPKdPdPKlPlN2at6native12_GLOBAL__N_18offset_tEEE10hipError_tPvRmT1_PNSt15iterator_traitsISY_E10value_typeET2_T3_PNSZ_IS14_E10value_typeET4_jRbjT5_S1A_jjP12ihipStream_tbEUljE_EEESV_SW_SX_S14_S18_S1A_T6_T7_T9_mT8_S1C_bDpT10_ENKUlT_T0_E_clISt17integral_constantIbLb1EES1P_EEDaS1K_S1L_EUlS1K_E_NS1_11comp_targetILNS1_3genE4ELNS1_11target_archE910ELNS1_3gpuE8ELNS1_3repE0EEENS1_30default_config_static_selectorELNS0_4arch9wavefront6targetE0EEEvSY_,"axG",@progbits,_ZN7rocprim17ROCPRIM_400000_NS6detail17trampoline_kernelINS0_13select_configILj256ELj13ELNS0_17block_load_methodE3ELS4_3ELS4_3ELNS0_20block_scan_algorithmE0ELj4294967295EEENS1_25partition_config_selectorILNS1_17partition_subalgoE3EjNS0_10empty_typeEbEEZZNS1_14partition_implILS8_3ELb0ES6_jNS0_17counting_iteratorIjlEEPS9_SE_NS0_5tupleIJPjSE_EEENSF_IJSE_SE_EEES9_SG_JZNS1_25segmented_radix_sort_implINS0_14default_configELb1EPKdPdPKlPlN2at6native12_GLOBAL__N_18offset_tEEE10hipError_tPvRmT1_PNSt15iterator_traitsISY_E10value_typeET2_T3_PNSZ_IS14_E10value_typeET4_jRbjT5_S1A_jjP12ihipStream_tbEUljE_EEESV_SW_SX_S14_S18_S1A_T6_T7_T9_mT8_S1C_bDpT10_ENKUlT_T0_E_clISt17integral_constantIbLb1EES1P_EEDaS1K_S1L_EUlS1K_E_NS1_11comp_targetILNS1_3genE4ELNS1_11target_archE910ELNS1_3gpuE8ELNS1_3repE0EEENS1_30default_config_static_selectorELNS0_4arch9wavefront6targetE0EEEvSY_,comdat
	.globl	_ZN7rocprim17ROCPRIM_400000_NS6detail17trampoline_kernelINS0_13select_configILj256ELj13ELNS0_17block_load_methodE3ELS4_3ELS4_3ELNS0_20block_scan_algorithmE0ELj4294967295EEENS1_25partition_config_selectorILNS1_17partition_subalgoE3EjNS0_10empty_typeEbEEZZNS1_14partition_implILS8_3ELb0ES6_jNS0_17counting_iteratorIjlEEPS9_SE_NS0_5tupleIJPjSE_EEENSF_IJSE_SE_EEES9_SG_JZNS1_25segmented_radix_sort_implINS0_14default_configELb1EPKdPdPKlPlN2at6native12_GLOBAL__N_18offset_tEEE10hipError_tPvRmT1_PNSt15iterator_traitsISY_E10value_typeET2_T3_PNSZ_IS14_E10value_typeET4_jRbjT5_S1A_jjP12ihipStream_tbEUljE_EEESV_SW_SX_S14_S18_S1A_T6_T7_T9_mT8_S1C_bDpT10_ENKUlT_T0_E_clISt17integral_constantIbLb1EES1P_EEDaS1K_S1L_EUlS1K_E_NS1_11comp_targetILNS1_3genE4ELNS1_11target_archE910ELNS1_3gpuE8ELNS1_3repE0EEENS1_30default_config_static_selectorELNS0_4arch9wavefront6targetE0EEEvSY_ ; -- Begin function _ZN7rocprim17ROCPRIM_400000_NS6detail17trampoline_kernelINS0_13select_configILj256ELj13ELNS0_17block_load_methodE3ELS4_3ELS4_3ELNS0_20block_scan_algorithmE0ELj4294967295EEENS1_25partition_config_selectorILNS1_17partition_subalgoE3EjNS0_10empty_typeEbEEZZNS1_14partition_implILS8_3ELb0ES6_jNS0_17counting_iteratorIjlEEPS9_SE_NS0_5tupleIJPjSE_EEENSF_IJSE_SE_EEES9_SG_JZNS1_25segmented_radix_sort_implINS0_14default_configELb1EPKdPdPKlPlN2at6native12_GLOBAL__N_18offset_tEEE10hipError_tPvRmT1_PNSt15iterator_traitsISY_E10value_typeET2_T3_PNSZ_IS14_E10value_typeET4_jRbjT5_S1A_jjP12ihipStream_tbEUljE_EEESV_SW_SX_S14_S18_S1A_T6_T7_T9_mT8_S1C_bDpT10_ENKUlT_T0_E_clISt17integral_constantIbLb1EES1P_EEDaS1K_S1L_EUlS1K_E_NS1_11comp_targetILNS1_3genE4ELNS1_11target_archE910ELNS1_3gpuE8ELNS1_3repE0EEENS1_30default_config_static_selectorELNS0_4arch9wavefront6targetE0EEEvSY_
	.p2align	8
	.type	_ZN7rocprim17ROCPRIM_400000_NS6detail17trampoline_kernelINS0_13select_configILj256ELj13ELNS0_17block_load_methodE3ELS4_3ELS4_3ELNS0_20block_scan_algorithmE0ELj4294967295EEENS1_25partition_config_selectorILNS1_17partition_subalgoE3EjNS0_10empty_typeEbEEZZNS1_14partition_implILS8_3ELb0ES6_jNS0_17counting_iteratorIjlEEPS9_SE_NS0_5tupleIJPjSE_EEENSF_IJSE_SE_EEES9_SG_JZNS1_25segmented_radix_sort_implINS0_14default_configELb1EPKdPdPKlPlN2at6native12_GLOBAL__N_18offset_tEEE10hipError_tPvRmT1_PNSt15iterator_traitsISY_E10value_typeET2_T3_PNSZ_IS14_E10value_typeET4_jRbjT5_S1A_jjP12ihipStream_tbEUljE_EEESV_SW_SX_S14_S18_S1A_T6_T7_T9_mT8_S1C_bDpT10_ENKUlT_T0_E_clISt17integral_constantIbLb1EES1P_EEDaS1K_S1L_EUlS1K_E_NS1_11comp_targetILNS1_3genE4ELNS1_11target_archE910ELNS1_3gpuE8ELNS1_3repE0EEENS1_30default_config_static_selectorELNS0_4arch9wavefront6targetE0EEEvSY_,@function
_ZN7rocprim17ROCPRIM_400000_NS6detail17trampoline_kernelINS0_13select_configILj256ELj13ELNS0_17block_load_methodE3ELS4_3ELS4_3ELNS0_20block_scan_algorithmE0ELj4294967295EEENS1_25partition_config_selectorILNS1_17partition_subalgoE3EjNS0_10empty_typeEbEEZZNS1_14partition_implILS8_3ELb0ES6_jNS0_17counting_iteratorIjlEEPS9_SE_NS0_5tupleIJPjSE_EEENSF_IJSE_SE_EEES9_SG_JZNS1_25segmented_radix_sort_implINS0_14default_configELb1EPKdPdPKlPlN2at6native12_GLOBAL__N_18offset_tEEE10hipError_tPvRmT1_PNSt15iterator_traitsISY_E10value_typeET2_T3_PNSZ_IS14_E10value_typeET4_jRbjT5_S1A_jjP12ihipStream_tbEUljE_EEESV_SW_SX_S14_S18_S1A_T6_T7_T9_mT8_S1C_bDpT10_ENKUlT_T0_E_clISt17integral_constantIbLb1EES1P_EEDaS1K_S1L_EUlS1K_E_NS1_11comp_targetILNS1_3genE4ELNS1_11target_archE910ELNS1_3gpuE8ELNS1_3repE0EEENS1_30default_config_static_selectorELNS0_4arch9wavefront6targetE0EEEvSY_: ; @_ZN7rocprim17ROCPRIM_400000_NS6detail17trampoline_kernelINS0_13select_configILj256ELj13ELNS0_17block_load_methodE3ELS4_3ELS4_3ELNS0_20block_scan_algorithmE0ELj4294967295EEENS1_25partition_config_selectorILNS1_17partition_subalgoE3EjNS0_10empty_typeEbEEZZNS1_14partition_implILS8_3ELb0ES6_jNS0_17counting_iteratorIjlEEPS9_SE_NS0_5tupleIJPjSE_EEENSF_IJSE_SE_EEES9_SG_JZNS1_25segmented_radix_sort_implINS0_14default_configELb1EPKdPdPKlPlN2at6native12_GLOBAL__N_18offset_tEEE10hipError_tPvRmT1_PNSt15iterator_traitsISY_E10value_typeET2_T3_PNSZ_IS14_E10value_typeET4_jRbjT5_S1A_jjP12ihipStream_tbEUljE_EEESV_SW_SX_S14_S18_S1A_T6_T7_T9_mT8_S1C_bDpT10_ENKUlT_T0_E_clISt17integral_constantIbLb1EES1P_EEDaS1K_S1L_EUlS1K_E_NS1_11comp_targetILNS1_3genE4ELNS1_11target_archE910ELNS1_3gpuE8ELNS1_3repE0EEENS1_30default_config_static_selectorELNS0_4arch9wavefront6targetE0EEEvSY_
; %bb.0:
	.section	.rodata,"a",@progbits
	.p2align	6, 0x0
	.amdhsa_kernel _ZN7rocprim17ROCPRIM_400000_NS6detail17trampoline_kernelINS0_13select_configILj256ELj13ELNS0_17block_load_methodE3ELS4_3ELS4_3ELNS0_20block_scan_algorithmE0ELj4294967295EEENS1_25partition_config_selectorILNS1_17partition_subalgoE3EjNS0_10empty_typeEbEEZZNS1_14partition_implILS8_3ELb0ES6_jNS0_17counting_iteratorIjlEEPS9_SE_NS0_5tupleIJPjSE_EEENSF_IJSE_SE_EEES9_SG_JZNS1_25segmented_radix_sort_implINS0_14default_configELb1EPKdPdPKlPlN2at6native12_GLOBAL__N_18offset_tEEE10hipError_tPvRmT1_PNSt15iterator_traitsISY_E10value_typeET2_T3_PNSZ_IS14_E10value_typeET4_jRbjT5_S1A_jjP12ihipStream_tbEUljE_EEESV_SW_SX_S14_S18_S1A_T6_T7_T9_mT8_S1C_bDpT10_ENKUlT_T0_E_clISt17integral_constantIbLb1EES1P_EEDaS1K_S1L_EUlS1K_E_NS1_11comp_targetILNS1_3genE4ELNS1_11target_archE910ELNS1_3gpuE8ELNS1_3repE0EEENS1_30default_config_static_selectorELNS0_4arch9wavefront6targetE0EEEvSY_
		.amdhsa_group_segment_fixed_size 0
		.amdhsa_private_segment_fixed_size 0
		.amdhsa_kernarg_size 152
		.amdhsa_user_sgpr_count 2
		.amdhsa_user_sgpr_dispatch_ptr 0
		.amdhsa_user_sgpr_queue_ptr 0
		.amdhsa_user_sgpr_kernarg_segment_ptr 1
		.amdhsa_user_sgpr_dispatch_id 0
		.amdhsa_user_sgpr_private_segment_size 0
		.amdhsa_wavefront_size32 1
		.amdhsa_uses_dynamic_stack 0
		.amdhsa_enable_private_segment 0
		.amdhsa_system_sgpr_workgroup_id_x 1
		.amdhsa_system_sgpr_workgroup_id_y 0
		.amdhsa_system_sgpr_workgroup_id_z 0
		.amdhsa_system_sgpr_workgroup_info 0
		.amdhsa_system_vgpr_workitem_id 0
		.amdhsa_next_free_vgpr 1
		.amdhsa_next_free_sgpr 1
		.amdhsa_reserve_vcc 0
		.amdhsa_float_round_mode_32 0
		.amdhsa_float_round_mode_16_64 0
		.amdhsa_float_denorm_mode_32 3
		.amdhsa_float_denorm_mode_16_64 3
		.amdhsa_fp16_overflow 0
		.amdhsa_workgroup_processor_mode 1
		.amdhsa_memory_ordered 1
		.amdhsa_forward_progress 1
		.amdhsa_inst_pref_size 0
		.amdhsa_round_robin_scheduling 0
		.amdhsa_exception_fp_ieee_invalid_op 0
		.amdhsa_exception_fp_denorm_src 0
		.amdhsa_exception_fp_ieee_div_zero 0
		.amdhsa_exception_fp_ieee_overflow 0
		.amdhsa_exception_fp_ieee_underflow 0
		.amdhsa_exception_fp_ieee_inexact 0
		.amdhsa_exception_int_div_zero 0
	.end_amdhsa_kernel
	.section	.text._ZN7rocprim17ROCPRIM_400000_NS6detail17trampoline_kernelINS0_13select_configILj256ELj13ELNS0_17block_load_methodE3ELS4_3ELS4_3ELNS0_20block_scan_algorithmE0ELj4294967295EEENS1_25partition_config_selectorILNS1_17partition_subalgoE3EjNS0_10empty_typeEbEEZZNS1_14partition_implILS8_3ELb0ES6_jNS0_17counting_iteratorIjlEEPS9_SE_NS0_5tupleIJPjSE_EEENSF_IJSE_SE_EEES9_SG_JZNS1_25segmented_radix_sort_implINS0_14default_configELb1EPKdPdPKlPlN2at6native12_GLOBAL__N_18offset_tEEE10hipError_tPvRmT1_PNSt15iterator_traitsISY_E10value_typeET2_T3_PNSZ_IS14_E10value_typeET4_jRbjT5_S1A_jjP12ihipStream_tbEUljE_EEESV_SW_SX_S14_S18_S1A_T6_T7_T9_mT8_S1C_bDpT10_ENKUlT_T0_E_clISt17integral_constantIbLb1EES1P_EEDaS1K_S1L_EUlS1K_E_NS1_11comp_targetILNS1_3genE4ELNS1_11target_archE910ELNS1_3gpuE8ELNS1_3repE0EEENS1_30default_config_static_selectorELNS0_4arch9wavefront6targetE0EEEvSY_,"axG",@progbits,_ZN7rocprim17ROCPRIM_400000_NS6detail17trampoline_kernelINS0_13select_configILj256ELj13ELNS0_17block_load_methodE3ELS4_3ELS4_3ELNS0_20block_scan_algorithmE0ELj4294967295EEENS1_25partition_config_selectorILNS1_17partition_subalgoE3EjNS0_10empty_typeEbEEZZNS1_14partition_implILS8_3ELb0ES6_jNS0_17counting_iteratorIjlEEPS9_SE_NS0_5tupleIJPjSE_EEENSF_IJSE_SE_EEES9_SG_JZNS1_25segmented_radix_sort_implINS0_14default_configELb1EPKdPdPKlPlN2at6native12_GLOBAL__N_18offset_tEEE10hipError_tPvRmT1_PNSt15iterator_traitsISY_E10value_typeET2_T3_PNSZ_IS14_E10value_typeET4_jRbjT5_S1A_jjP12ihipStream_tbEUljE_EEESV_SW_SX_S14_S18_S1A_T6_T7_T9_mT8_S1C_bDpT10_ENKUlT_T0_E_clISt17integral_constantIbLb1EES1P_EEDaS1K_S1L_EUlS1K_E_NS1_11comp_targetILNS1_3genE4ELNS1_11target_archE910ELNS1_3gpuE8ELNS1_3repE0EEENS1_30default_config_static_selectorELNS0_4arch9wavefront6targetE0EEEvSY_,comdat
.Lfunc_end1096:
	.size	_ZN7rocprim17ROCPRIM_400000_NS6detail17trampoline_kernelINS0_13select_configILj256ELj13ELNS0_17block_load_methodE3ELS4_3ELS4_3ELNS0_20block_scan_algorithmE0ELj4294967295EEENS1_25partition_config_selectorILNS1_17partition_subalgoE3EjNS0_10empty_typeEbEEZZNS1_14partition_implILS8_3ELb0ES6_jNS0_17counting_iteratorIjlEEPS9_SE_NS0_5tupleIJPjSE_EEENSF_IJSE_SE_EEES9_SG_JZNS1_25segmented_radix_sort_implINS0_14default_configELb1EPKdPdPKlPlN2at6native12_GLOBAL__N_18offset_tEEE10hipError_tPvRmT1_PNSt15iterator_traitsISY_E10value_typeET2_T3_PNSZ_IS14_E10value_typeET4_jRbjT5_S1A_jjP12ihipStream_tbEUljE_EEESV_SW_SX_S14_S18_S1A_T6_T7_T9_mT8_S1C_bDpT10_ENKUlT_T0_E_clISt17integral_constantIbLb1EES1P_EEDaS1K_S1L_EUlS1K_E_NS1_11comp_targetILNS1_3genE4ELNS1_11target_archE910ELNS1_3gpuE8ELNS1_3repE0EEENS1_30default_config_static_selectorELNS0_4arch9wavefront6targetE0EEEvSY_, .Lfunc_end1096-_ZN7rocprim17ROCPRIM_400000_NS6detail17trampoline_kernelINS0_13select_configILj256ELj13ELNS0_17block_load_methodE3ELS4_3ELS4_3ELNS0_20block_scan_algorithmE0ELj4294967295EEENS1_25partition_config_selectorILNS1_17partition_subalgoE3EjNS0_10empty_typeEbEEZZNS1_14partition_implILS8_3ELb0ES6_jNS0_17counting_iteratorIjlEEPS9_SE_NS0_5tupleIJPjSE_EEENSF_IJSE_SE_EEES9_SG_JZNS1_25segmented_radix_sort_implINS0_14default_configELb1EPKdPdPKlPlN2at6native12_GLOBAL__N_18offset_tEEE10hipError_tPvRmT1_PNSt15iterator_traitsISY_E10value_typeET2_T3_PNSZ_IS14_E10value_typeET4_jRbjT5_S1A_jjP12ihipStream_tbEUljE_EEESV_SW_SX_S14_S18_S1A_T6_T7_T9_mT8_S1C_bDpT10_ENKUlT_T0_E_clISt17integral_constantIbLb1EES1P_EEDaS1K_S1L_EUlS1K_E_NS1_11comp_targetILNS1_3genE4ELNS1_11target_archE910ELNS1_3gpuE8ELNS1_3repE0EEENS1_30default_config_static_selectorELNS0_4arch9wavefront6targetE0EEEvSY_
                                        ; -- End function
	.set _ZN7rocprim17ROCPRIM_400000_NS6detail17trampoline_kernelINS0_13select_configILj256ELj13ELNS0_17block_load_methodE3ELS4_3ELS4_3ELNS0_20block_scan_algorithmE0ELj4294967295EEENS1_25partition_config_selectorILNS1_17partition_subalgoE3EjNS0_10empty_typeEbEEZZNS1_14partition_implILS8_3ELb0ES6_jNS0_17counting_iteratorIjlEEPS9_SE_NS0_5tupleIJPjSE_EEENSF_IJSE_SE_EEES9_SG_JZNS1_25segmented_radix_sort_implINS0_14default_configELb1EPKdPdPKlPlN2at6native12_GLOBAL__N_18offset_tEEE10hipError_tPvRmT1_PNSt15iterator_traitsISY_E10value_typeET2_T3_PNSZ_IS14_E10value_typeET4_jRbjT5_S1A_jjP12ihipStream_tbEUljE_EEESV_SW_SX_S14_S18_S1A_T6_T7_T9_mT8_S1C_bDpT10_ENKUlT_T0_E_clISt17integral_constantIbLb1EES1P_EEDaS1K_S1L_EUlS1K_E_NS1_11comp_targetILNS1_3genE4ELNS1_11target_archE910ELNS1_3gpuE8ELNS1_3repE0EEENS1_30default_config_static_selectorELNS0_4arch9wavefront6targetE0EEEvSY_.num_vgpr, 0
	.set _ZN7rocprim17ROCPRIM_400000_NS6detail17trampoline_kernelINS0_13select_configILj256ELj13ELNS0_17block_load_methodE3ELS4_3ELS4_3ELNS0_20block_scan_algorithmE0ELj4294967295EEENS1_25partition_config_selectorILNS1_17partition_subalgoE3EjNS0_10empty_typeEbEEZZNS1_14partition_implILS8_3ELb0ES6_jNS0_17counting_iteratorIjlEEPS9_SE_NS0_5tupleIJPjSE_EEENSF_IJSE_SE_EEES9_SG_JZNS1_25segmented_radix_sort_implINS0_14default_configELb1EPKdPdPKlPlN2at6native12_GLOBAL__N_18offset_tEEE10hipError_tPvRmT1_PNSt15iterator_traitsISY_E10value_typeET2_T3_PNSZ_IS14_E10value_typeET4_jRbjT5_S1A_jjP12ihipStream_tbEUljE_EEESV_SW_SX_S14_S18_S1A_T6_T7_T9_mT8_S1C_bDpT10_ENKUlT_T0_E_clISt17integral_constantIbLb1EES1P_EEDaS1K_S1L_EUlS1K_E_NS1_11comp_targetILNS1_3genE4ELNS1_11target_archE910ELNS1_3gpuE8ELNS1_3repE0EEENS1_30default_config_static_selectorELNS0_4arch9wavefront6targetE0EEEvSY_.num_agpr, 0
	.set _ZN7rocprim17ROCPRIM_400000_NS6detail17trampoline_kernelINS0_13select_configILj256ELj13ELNS0_17block_load_methodE3ELS4_3ELS4_3ELNS0_20block_scan_algorithmE0ELj4294967295EEENS1_25partition_config_selectorILNS1_17partition_subalgoE3EjNS0_10empty_typeEbEEZZNS1_14partition_implILS8_3ELb0ES6_jNS0_17counting_iteratorIjlEEPS9_SE_NS0_5tupleIJPjSE_EEENSF_IJSE_SE_EEES9_SG_JZNS1_25segmented_radix_sort_implINS0_14default_configELb1EPKdPdPKlPlN2at6native12_GLOBAL__N_18offset_tEEE10hipError_tPvRmT1_PNSt15iterator_traitsISY_E10value_typeET2_T3_PNSZ_IS14_E10value_typeET4_jRbjT5_S1A_jjP12ihipStream_tbEUljE_EEESV_SW_SX_S14_S18_S1A_T6_T7_T9_mT8_S1C_bDpT10_ENKUlT_T0_E_clISt17integral_constantIbLb1EES1P_EEDaS1K_S1L_EUlS1K_E_NS1_11comp_targetILNS1_3genE4ELNS1_11target_archE910ELNS1_3gpuE8ELNS1_3repE0EEENS1_30default_config_static_selectorELNS0_4arch9wavefront6targetE0EEEvSY_.numbered_sgpr, 0
	.set _ZN7rocprim17ROCPRIM_400000_NS6detail17trampoline_kernelINS0_13select_configILj256ELj13ELNS0_17block_load_methodE3ELS4_3ELS4_3ELNS0_20block_scan_algorithmE0ELj4294967295EEENS1_25partition_config_selectorILNS1_17partition_subalgoE3EjNS0_10empty_typeEbEEZZNS1_14partition_implILS8_3ELb0ES6_jNS0_17counting_iteratorIjlEEPS9_SE_NS0_5tupleIJPjSE_EEENSF_IJSE_SE_EEES9_SG_JZNS1_25segmented_radix_sort_implINS0_14default_configELb1EPKdPdPKlPlN2at6native12_GLOBAL__N_18offset_tEEE10hipError_tPvRmT1_PNSt15iterator_traitsISY_E10value_typeET2_T3_PNSZ_IS14_E10value_typeET4_jRbjT5_S1A_jjP12ihipStream_tbEUljE_EEESV_SW_SX_S14_S18_S1A_T6_T7_T9_mT8_S1C_bDpT10_ENKUlT_T0_E_clISt17integral_constantIbLb1EES1P_EEDaS1K_S1L_EUlS1K_E_NS1_11comp_targetILNS1_3genE4ELNS1_11target_archE910ELNS1_3gpuE8ELNS1_3repE0EEENS1_30default_config_static_selectorELNS0_4arch9wavefront6targetE0EEEvSY_.num_named_barrier, 0
	.set _ZN7rocprim17ROCPRIM_400000_NS6detail17trampoline_kernelINS0_13select_configILj256ELj13ELNS0_17block_load_methodE3ELS4_3ELS4_3ELNS0_20block_scan_algorithmE0ELj4294967295EEENS1_25partition_config_selectorILNS1_17partition_subalgoE3EjNS0_10empty_typeEbEEZZNS1_14partition_implILS8_3ELb0ES6_jNS0_17counting_iteratorIjlEEPS9_SE_NS0_5tupleIJPjSE_EEENSF_IJSE_SE_EEES9_SG_JZNS1_25segmented_radix_sort_implINS0_14default_configELb1EPKdPdPKlPlN2at6native12_GLOBAL__N_18offset_tEEE10hipError_tPvRmT1_PNSt15iterator_traitsISY_E10value_typeET2_T3_PNSZ_IS14_E10value_typeET4_jRbjT5_S1A_jjP12ihipStream_tbEUljE_EEESV_SW_SX_S14_S18_S1A_T6_T7_T9_mT8_S1C_bDpT10_ENKUlT_T0_E_clISt17integral_constantIbLb1EES1P_EEDaS1K_S1L_EUlS1K_E_NS1_11comp_targetILNS1_3genE4ELNS1_11target_archE910ELNS1_3gpuE8ELNS1_3repE0EEENS1_30default_config_static_selectorELNS0_4arch9wavefront6targetE0EEEvSY_.private_seg_size, 0
	.set _ZN7rocprim17ROCPRIM_400000_NS6detail17trampoline_kernelINS0_13select_configILj256ELj13ELNS0_17block_load_methodE3ELS4_3ELS4_3ELNS0_20block_scan_algorithmE0ELj4294967295EEENS1_25partition_config_selectorILNS1_17partition_subalgoE3EjNS0_10empty_typeEbEEZZNS1_14partition_implILS8_3ELb0ES6_jNS0_17counting_iteratorIjlEEPS9_SE_NS0_5tupleIJPjSE_EEENSF_IJSE_SE_EEES9_SG_JZNS1_25segmented_radix_sort_implINS0_14default_configELb1EPKdPdPKlPlN2at6native12_GLOBAL__N_18offset_tEEE10hipError_tPvRmT1_PNSt15iterator_traitsISY_E10value_typeET2_T3_PNSZ_IS14_E10value_typeET4_jRbjT5_S1A_jjP12ihipStream_tbEUljE_EEESV_SW_SX_S14_S18_S1A_T6_T7_T9_mT8_S1C_bDpT10_ENKUlT_T0_E_clISt17integral_constantIbLb1EES1P_EEDaS1K_S1L_EUlS1K_E_NS1_11comp_targetILNS1_3genE4ELNS1_11target_archE910ELNS1_3gpuE8ELNS1_3repE0EEENS1_30default_config_static_selectorELNS0_4arch9wavefront6targetE0EEEvSY_.uses_vcc, 0
	.set _ZN7rocprim17ROCPRIM_400000_NS6detail17trampoline_kernelINS0_13select_configILj256ELj13ELNS0_17block_load_methodE3ELS4_3ELS4_3ELNS0_20block_scan_algorithmE0ELj4294967295EEENS1_25partition_config_selectorILNS1_17partition_subalgoE3EjNS0_10empty_typeEbEEZZNS1_14partition_implILS8_3ELb0ES6_jNS0_17counting_iteratorIjlEEPS9_SE_NS0_5tupleIJPjSE_EEENSF_IJSE_SE_EEES9_SG_JZNS1_25segmented_radix_sort_implINS0_14default_configELb1EPKdPdPKlPlN2at6native12_GLOBAL__N_18offset_tEEE10hipError_tPvRmT1_PNSt15iterator_traitsISY_E10value_typeET2_T3_PNSZ_IS14_E10value_typeET4_jRbjT5_S1A_jjP12ihipStream_tbEUljE_EEESV_SW_SX_S14_S18_S1A_T6_T7_T9_mT8_S1C_bDpT10_ENKUlT_T0_E_clISt17integral_constantIbLb1EES1P_EEDaS1K_S1L_EUlS1K_E_NS1_11comp_targetILNS1_3genE4ELNS1_11target_archE910ELNS1_3gpuE8ELNS1_3repE0EEENS1_30default_config_static_selectorELNS0_4arch9wavefront6targetE0EEEvSY_.uses_flat_scratch, 0
	.set _ZN7rocprim17ROCPRIM_400000_NS6detail17trampoline_kernelINS0_13select_configILj256ELj13ELNS0_17block_load_methodE3ELS4_3ELS4_3ELNS0_20block_scan_algorithmE0ELj4294967295EEENS1_25partition_config_selectorILNS1_17partition_subalgoE3EjNS0_10empty_typeEbEEZZNS1_14partition_implILS8_3ELb0ES6_jNS0_17counting_iteratorIjlEEPS9_SE_NS0_5tupleIJPjSE_EEENSF_IJSE_SE_EEES9_SG_JZNS1_25segmented_radix_sort_implINS0_14default_configELb1EPKdPdPKlPlN2at6native12_GLOBAL__N_18offset_tEEE10hipError_tPvRmT1_PNSt15iterator_traitsISY_E10value_typeET2_T3_PNSZ_IS14_E10value_typeET4_jRbjT5_S1A_jjP12ihipStream_tbEUljE_EEESV_SW_SX_S14_S18_S1A_T6_T7_T9_mT8_S1C_bDpT10_ENKUlT_T0_E_clISt17integral_constantIbLb1EES1P_EEDaS1K_S1L_EUlS1K_E_NS1_11comp_targetILNS1_3genE4ELNS1_11target_archE910ELNS1_3gpuE8ELNS1_3repE0EEENS1_30default_config_static_selectorELNS0_4arch9wavefront6targetE0EEEvSY_.has_dyn_sized_stack, 0
	.set _ZN7rocprim17ROCPRIM_400000_NS6detail17trampoline_kernelINS0_13select_configILj256ELj13ELNS0_17block_load_methodE3ELS4_3ELS4_3ELNS0_20block_scan_algorithmE0ELj4294967295EEENS1_25partition_config_selectorILNS1_17partition_subalgoE3EjNS0_10empty_typeEbEEZZNS1_14partition_implILS8_3ELb0ES6_jNS0_17counting_iteratorIjlEEPS9_SE_NS0_5tupleIJPjSE_EEENSF_IJSE_SE_EEES9_SG_JZNS1_25segmented_radix_sort_implINS0_14default_configELb1EPKdPdPKlPlN2at6native12_GLOBAL__N_18offset_tEEE10hipError_tPvRmT1_PNSt15iterator_traitsISY_E10value_typeET2_T3_PNSZ_IS14_E10value_typeET4_jRbjT5_S1A_jjP12ihipStream_tbEUljE_EEESV_SW_SX_S14_S18_S1A_T6_T7_T9_mT8_S1C_bDpT10_ENKUlT_T0_E_clISt17integral_constantIbLb1EES1P_EEDaS1K_S1L_EUlS1K_E_NS1_11comp_targetILNS1_3genE4ELNS1_11target_archE910ELNS1_3gpuE8ELNS1_3repE0EEENS1_30default_config_static_selectorELNS0_4arch9wavefront6targetE0EEEvSY_.has_recursion, 0
	.set _ZN7rocprim17ROCPRIM_400000_NS6detail17trampoline_kernelINS0_13select_configILj256ELj13ELNS0_17block_load_methodE3ELS4_3ELS4_3ELNS0_20block_scan_algorithmE0ELj4294967295EEENS1_25partition_config_selectorILNS1_17partition_subalgoE3EjNS0_10empty_typeEbEEZZNS1_14partition_implILS8_3ELb0ES6_jNS0_17counting_iteratorIjlEEPS9_SE_NS0_5tupleIJPjSE_EEENSF_IJSE_SE_EEES9_SG_JZNS1_25segmented_radix_sort_implINS0_14default_configELb1EPKdPdPKlPlN2at6native12_GLOBAL__N_18offset_tEEE10hipError_tPvRmT1_PNSt15iterator_traitsISY_E10value_typeET2_T3_PNSZ_IS14_E10value_typeET4_jRbjT5_S1A_jjP12ihipStream_tbEUljE_EEESV_SW_SX_S14_S18_S1A_T6_T7_T9_mT8_S1C_bDpT10_ENKUlT_T0_E_clISt17integral_constantIbLb1EES1P_EEDaS1K_S1L_EUlS1K_E_NS1_11comp_targetILNS1_3genE4ELNS1_11target_archE910ELNS1_3gpuE8ELNS1_3repE0EEENS1_30default_config_static_selectorELNS0_4arch9wavefront6targetE0EEEvSY_.has_indirect_call, 0
	.section	.AMDGPU.csdata,"",@progbits
; Kernel info:
; codeLenInByte = 0
; TotalNumSgprs: 0
; NumVgprs: 0
; ScratchSize: 0
; MemoryBound: 0
; FloatMode: 240
; IeeeMode: 1
; LDSByteSize: 0 bytes/workgroup (compile time only)
; SGPRBlocks: 0
; VGPRBlocks: 0
; NumSGPRsForWavesPerEU: 1
; NumVGPRsForWavesPerEU: 1
; Occupancy: 16
; WaveLimiterHint : 0
; COMPUTE_PGM_RSRC2:SCRATCH_EN: 0
; COMPUTE_PGM_RSRC2:USER_SGPR: 2
; COMPUTE_PGM_RSRC2:TRAP_HANDLER: 0
; COMPUTE_PGM_RSRC2:TGID_X_EN: 1
; COMPUTE_PGM_RSRC2:TGID_Y_EN: 0
; COMPUTE_PGM_RSRC2:TGID_Z_EN: 0
; COMPUTE_PGM_RSRC2:TIDIG_COMP_CNT: 0
	.section	.text._ZN7rocprim17ROCPRIM_400000_NS6detail17trampoline_kernelINS0_13select_configILj256ELj13ELNS0_17block_load_methodE3ELS4_3ELS4_3ELNS0_20block_scan_algorithmE0ELj4294967295EEENS1_25partition_config_selectorILNS1_17partition_subalgoE3EjNS0_10empty_typeEbEEZZNS1_14partition_implILS8_3ELb0ES6_jNS0_17counting_iteratorIjlEEPS9_SE_NS0_5tupleIJPjSE_EEENSF_IJSE_SE_EEES9_SG_JZNS1_25segmented_radix_sort_implINS0_14default_configELb1EPKdPdPKlPlN2at6native12_GLOBAL__N_18offset_tEEE10hipError_tPvRmT1_PNSt15iterator_traitsISY_E10value_typeET2_T3_PNSZ_IS14_E10value_typeET4_jRbjT5_S1A_jjP12ihipStream_tbEUljE_EEESV_SW_SX_S14_S18_S1A_T6_T7_T9_mT8_S1C_bDpT10_ENKUlT_T0_E_clISt17integral_constantIbLb1EES1P_EEDaS1K_S1L_EUlS1K_E_NS1_11comp_targetILNS1_3genE3ELNS1_11target_archE908ELNS1_3gpuE7ELNS1_3repE0EEENS1_30default_config_static_selectorELNS0_4arch9wavefront6targetE0EEEvSY_,"axG",@progbits,_ZN7rocprim17ROCPRIM_400000_NS6detail17trampoline_kernelINS0_13select_configILj256ELj13ELNS0_17block_load_methodE3ELS4_3ELS4_3ELNS0_20block_scan_algorithmE0ELj4294967295EEENS1_25partition_config_selectorILNS1_17partition_subalgoE3EjNS0_10empty_typeEbEEZZNS1_14partition_implILS8_3ELb0ES6_jNS0_17counting_iteratorIjlEEPS9_SE_NS0_5tupleIJPjSE_EEENSF_IJSE_SE_EEES9_SG_JZNS1_25segmented_radix_sort_implINS0_14default_configELb1EPKdPdPKlPlN2at6native12_GLOBAL__N_18offset_tEEE10hipError_tPvRmT1_PNSt15iterator_traitsISY_E10value_typeET2_T3_PNSZ_IS14_E10value_typeET4_jRbjT5_S1A_jjP12ihipStream_tbEUljE_EEESV_SW_SX_S14_S18_S1A_T6_T7_T9_mT8_S1C_bDpT10_ENKUlT_T0_E_clISt17integral_constantIbLb1EES1P_EEDaS1K_S1L_EUlS1K_E_NS1_11comp_targetILNS1_3genE3ELNS1_11target_archE908ELNS1_3gpuE7ELNS1_3repE0EEENS1_30default_config_static_selectorELNS0_4arch9wavefront6targetE0EEEvSY_,comdat
	.globl	_ZN7rocprim17ROCPRIM_400000_NS6detail17trampoline_kernelINS0_13select_configILj256ELj13ELNS0_17block_load_methodE3ELS4_3ELS4_3ELNS0_20block_scan_algorithmE0ELj4294967295EEENS1_25partition_config_selectorILNS1_17partition_subalgoE3EjNS0_10empty_typeEbEEZZNS1_14partition_implILS8_3ELb0ES6_jNS0_17counting_iteratorIjlEEPS9_SE_NS0_5tupleIJPjSE_EEENSF_IJSE_SE_EEES9_SG_JZNS1_25segmented_radix_sort_implINS0_14default_configELb1EPKdPdPKlPlN2at6native12_GLOBAL__N_18offset_tEEE10hipError_tPvRmT1_PNSt15iterator_traitsISY_E10value_typeET2_T3_PNSZ_IS14_E10value_typeET4_jRbjT5_S1A_jjP12ihipStream_tbEUljE_EEESV_SW_SX_S14_S18_S1A_T6_T7_T9_mT8_S1C_bDpT10_ENKUlT_T0_E_clISt17integral_constantIbLb1EES1P_EEDaS1K_S1L_EUlS1K_E_NS1_11comp_targetILNS1_3genE3ELNS1_11target_archE908ELNS1_3gpuE7ELNS1_3repE0EEENS1_30default_config_static_selectorELNS0_4arch9wavefront6targetE0EEEvSY_ ; -- Begin function _ZN7rocprim17ROCPRIM_400000_NS6detail17trampoline_kernelINS0_13select_configILj256ELj13ELNS0_17block_load_methodE3ELS4_3ELS4_3ELNS0_20block_scan_algorithmE0ELj4294967295EEENS1_25partition_config_selectorILNS1_17partition_subalgoE3EjNS0_10empty_typeEbEEZZNS1_14partition_implILS8_3ELb0ES6_jNS0_17counting_iteratorIjlEEPS9_SE_NS0_5tupleIJPjSE_EEENSF_IJSE_SE_EEES9_SG_JZNS1_25segmented_radix_sort_implINS0_14default_configELb1EPKdPdPKlPlN2at6native12_GLOBAL__N_18offset_tEEE10hipError_tPvRmT1_PNSt15iterator_traitsISY_E10value_typeET2_T3_PNSZ_IS14_E10value_typeET4_jRbjT5_S1A_jjP12ihipStream_tbEUljE_EEESV_SW_SX_S14_S18_S1A_T6_T7_T9_mT8_S1C_bDpT10_ENKUlT_T0_E_clISt17integral_constantIbLb1EES1P_EEDaS1K_S1L_EUlS1K_E_NS1_11comp_targetILNS1_3genE3ELNS1_11target_archE908ELNS1_3gpuE7ELNS1_3repE0EEENS1_30default_config_static_selectorELNS0_4arch9wavefront6targetE0EEEvSY_
	.p2align	8
	.type	_ZN7rocprim17ROCPRIM_400000_NS6detail17trampoline_kernelINS0_13select_configILj256ELj13ELNS0_17block_load_methodE3ELS4_3ELS4_3ELNS0_20block_scan_algorithmE0ELj4294967295EEENS1_25partition_config_selectorILNS1_17partition_subalgoE3EjNS0_10empty_typeEbEEZZNS1_14partition_implILS8_3ELb0ES6_jNS0_17counting_iteratorIjlEEPS9_SE_NS0_5tupleIJPjSE_EEENSF_IJSE_SE_EEES9_SG_JZNS1_25segmented_radix_sort_implINS0_14default_configELb1EPKdPdPKlPlN2at6native12_GLOBAL__N_18offset_tEEE10hipError_tPvRmT1_PNSt15iterator_traitsISY_E10value_typeET2_T3_PNSZ_IS14_E10value_typeET4_jRbjT5_S1A_jjP12ihipStream_tbEUljE_EEESV_SW_SX_S14_S18_S1A_T6_T7_T9_mT8_S1C_bDpT10_ENKUlT_T0_E_clISt17integral_constantIbLb1EES1P_EEDaS1K_S1L_EUlS1K_E_NS1_11comp_targetILNS1_3genE3ELNS1_11target_archE908ELNS1_3gpuE7ELNS1_3repE0EEENS1_30default_config_static_selectorELNS0_4arch9wavefront6targetE0EEEvSY_,@function
_ZN7rocprim17ROCPRIM_400000_NS6detail17trampoline_kernelINS0_13select_configILj256ELj13ELNS0_17block_load_methodE3ELS4_3ELS4_3ELNS0_20block_scan_algorithmE0ELj4294967295EEENS1_25partition_config_selectorILNS1_17partition_subalgoE3EjNS0_10empty_typeEbEEZZNS1_14partition_implILS8_3ELb0ES6_jNS0_17counting_iteratorIjlEEPS9_SE_NS0_5tupleIJPjSE_EEENSF_IJSE_SE_EEES9_SG_JZNS1_25segmented_radix_sort_implINS0_14default_configELb1EPKdPdPKlPlN2at6native12_GLOBAL__N_18offset_tEEE10hipError_tPvRmT1_PNSt15iterator_traitsISY_E10value_typeET2_T3_PNSZ_IS14_E10value_typeET4_jRbjT5_S1A_jjP12ihipStream_tbEUljE_EEESV_SW_SX_S14_S18_S1A_T6_T7_T9_mT8_S1C_bDpT10_ENKUlT_T0_E_clISt17integral_constantIbLb1EES1P_EEDaS1K_S1L_EUlS1K_E_NS1_11comp_targetILNS1_3genE3ELNS1_11target_archE908ELNS1_3gpuE7ELNS1_3repE0EEENS1_30default_config_static_selectorELNS0_4arch9wavefront6targetE0EEEvSY_: ; @_ZN7rocprim17ROCPRIM_400000_NS6detail17trampoline_kernelINS0_13select_configILj256ELj13ELNS0_17block_load_methodE3ELS4_3ELS4_3ELNS0_20block_scan_algorithmE0ELj4294967295EEENS1_25partition_config_selectorILNS1_17partition_subalgoE3EjNS0_10empty_typeEbEEZZNS1_14partition_implILS8_3ELb0ES6_jNS0_17counting_iteratorIjlEEPS9_SE_NS0_5tupleIJPjSE_EEENSF_IJSE_SE_EEES9_SG_JZNS1_25segmented_radix_sort_implINS0_14default_configELb1EPKdPdPKlPlN2at6native12_GLOBAL__N_18offset_tEEE10hipError_tPvRmT1_PNSt15iterator_traitsISY_E10value_typeET2_T3_PNSZ_IS14_E10value_typeET4_jRbjT5_S1A_jjP12ihipStream_tbEUljE_EEESV_SW_SX_S14_S18_S1A_T6_T7_T9_mT8_S1C_bDpT10_ENKUlT_T0_E_clISt17integral_constantIbLb1EES1P_EEDaS1K_S1L_EUlS1K_E_NS1_11comp_targetILNS1_3genE3ELNS1_11target_archE908ELNS1_3gpuE7ELNS1_3repE0EEENS1_30default_config_static_selectorELNS0_4arch9wavefront6targetE0EEEvSY_
; %bb.0:
	.section	.rodata,"a",@progbits
	.p2align	6, 0x0
	.amdhsa_kernel _ZN7rocprim17ROCPRIM_400000_NS6detail17trampoline_kernelINS0_13select_configILj256ELj13ELNS0_17block_load_methodE3ELS4_3ELS4_3ELNS0_20block_scan_algorithmE0ELj4294967295EEENS1_25partition_config_selectorILNS1_17partition_subalgoE3EjNS0_10empty_typeEbEEZZNS1_14partition_implILS8_3ELb0ES6_jNS0_17counting_iteratorIjlEEPS9_SE_NS0_5tupleIJPjSE_EEENSF_IJSE_SE_EEES9_SG_JZNS1_25segmented_radix_sort_implINS0_14default_configELb1EPKdPdPKlPlN2at6native12_GLOBAL__N_18offset_tEEE10hipError_tPvRmT1_PNSt15iterator_traitsISY_E10value_typeET2_T3_PNSZ_IS14_E10value_typeET4_jRbjT5_S1A_jjP12ihipStream_tbEUljE_EEESV_SW_SX_S14_S18_S1A_T6_T7_T9_mT8_S1C_bDpT10_ENKUlT_T0_E_clISt17integral_constantIbLb1EES1P_EEDaS1K_S1L_EUlS1K_E_NS1_11comp_targetILNS1_3genE3ELNS1_11target_archE908ELNS1_3gpuE7ELNS1_3repE0EEENS1_30default_config_static_selectorELNS0_4arch9wavefront6targetE0EEEvSY_
		.amdhsa_group_segment_fixed_size 0
		.amdhsa_private_segment_fixed_size 0
		.amdhsa_kernarg_size 152
		.amdhsa_user_sgpr_count 2
		.amdhsa_user_sgpr_dispatch_ptr 0
		.amdhsa_user_sgpr_queue_ptr 0
		.amdhsa_user_sgpr_kernarg_segment_ptr 1
		.amdhsa_user_sgpr_dispatch_id 0
		.amdhsa_user_sgpr_private_segment_size 0
		.amdhsa_wavefront_size32 1
		.amdhsa_uses_dynamic_stack 0
		.amdhsa_enable_private_segment 0
		.amdhsa_system_sgpr_workgroup_id_x 1
		.amdhsa_system_sgpr_workgroup_id_y 0
		.amdhsa_system_sgpr_workgroup_id_z 0
		.amdhsa_system_sgpr_workgroup_info 0
		.amdhsa_system_vgpr_workitem_id 0
		.amdhsa_next_free_vgpr 1
		.amdhsa_next_free_sgpr 1
		.amdhsa_reserve_vcc 0
		.amdhsa_float_round_mode_32 0
		.amdhsa_float_round_mode_16_64 0
		.amdhsa_float_denorm_mode_32 3
		.amdhsa_float_denorm_mode_16_64 3
		.amdhsa_fp16_overflow 0
		.amdhsa_workgroup_processor_mode 1
		.amdhsa_memory_ordered 1
		.amdhsa_forward_progress 1
		.amdhsa_inst_pref_size 0
		.amdhsa_round_robin_scheduling 0
		.amdhsa_exception_fp_ieee_invalid_op 0
		.amdhsa_exception_fp_denorm_src 0
		.amdhsa_exception_fp_ieee_div_zero 0
		.amdhsa_exception_fp_ieee_overflow 0
		.amdhsa_exception_fp_ieee_underflow 0
		.amdhsa_exception_fp_ieee_inexact 0
		.amdhsa_exception_int_div_zero 0
	.end_amdhsa_kernel
	.section	.text._ZN7rocprim17ROCPRIM_400000_NS6detail17trampoline_kernelINS0_13select_configILj256ELj13ELNS0_17block_load_methodE3ELS4_3ELS4_3ELNS0_20block_scan_algorithmE0ELj4294967295EEENS1_25partition_config_selectorILNS1_17partition_subalgoE3EjNS0_10empty_typeEbEEZZNS1_14partition_implILS8_3ELb0ES6_jNS0_17counting_iteratorIjlEEPS9_SE_NS0_5tupleIJPjSE_EEENSF_IJSE_SE_EEES9_SG_JZNS1_25segmented_radix_sort_implINS0_14default_configELb1EPKdPdPKlPlN2at6native12_GLOBAL__N_18offset_tEEE10hipError_tPvRmT1_PNSt15iterator_traitsISY_E10value_typeET2_T3_PNSZ_IS14_E10value_typeET4_jRbjT5_S1A_jjP12ihipStream_tbEUljE_EEESV_SW_SX_S14_S18_S1A_T6_T7_T9_mT8_S1C_bDpT10_ENKUlT_T0_E_clISt17integral_constantIbLb1EES1P_EEDaS1K_S1L_EUlS1K_E_NS1_11comp_targetILNS1_3genE3ELNS1_11target_archE908ELNS1_3gpuE7ELNS1_3repE0EEENS1_30default_config_static_selectorELNS0_4arch9wavefront6targetE0EEEvSY_,"axG",@progbits,_ZN7rocprim17ROCPRIM_400000_NS6detail17trampoline_kernelINS0_13select_configILj256ELj13ELNS0_17block_load_methodE3ELS4_3ELS4_3ELNS0_20block_scan_algorithmE0ELj4294967295EEENS1_25partition_config_selectorILNS1_17partition_subalgoE3EjNS0_10empty_typeEbEEZZNS1_14partition_implILS8_3ELb0ES6_jNS0_17counting_iteratorIjlEEPS9_SE_NS0_5tupleIJPjSE_EEENSF_IJSE_SE_EEES9_SG_JZNS1_25segmented_radix_sort_implINS0_14default_configELb1EPKdPdPKlPlN2at6native12_GLOBAL__N_18offset_tEEE10hipError_tPvRmT1_PNSt15iterator_traitsISY_E10value_typeET2_T3_PNSZ_IS14_E10value_typeET4_jRbjT5_S1A_jjP12ihipStream_tbEUljE_EEESV_SW_SX_S14_S18_S1A_T6_T7_T9_mT8_S1C_bDpT10_ENKUlT_T0_E_clISt17integral_constantIbLb1EES1P_EEDaS1K_S1L_EUlS1K_E_NS1_11comp_targetILNS1_3genE3ELNS1_11target_archE908ELNS1_3gpuE7ELNS1_3repE0EEENS1_30default_config_static_selectorELNS0_4arch9wavefront6targetE0EEEvSY_,comdat
.Lfunc_end1097:
	.size	_ZN7rocprim17ROCPRIM_400000_NS6detail17trampoline_kernelINS0_13select_configILj256ELj13ELNS0_17block_load_methodE3ELS4_3ELS4_3ELNS0_20block_scan_algorithmE0ELj4294967295EEENS1_25partition_config_selectorILNS1_17partition_subalgoE3EjNS0_10empty_typeEbEEZZNS1_14partition_implILS8_3ELb0ES6_jNS0_17counting_iteratorIjlEEPS9_SE_NS0_5tupleIJPjSE_EEENSF_IJSE_SE_EEES9_SG_JZNS1_25segmented_radix_sort_implINS0_14default_configELb1EPKdPdPKlPlN2at6native12_GLOBAL__N_18offset_tEEE10hipError_tPvRmT1_PNSt15iterator_traitsISY_E10value_typeET2_T3_PNSZ_IS14_E10value_typeET4_jRbjT5_S1A_jjP12ihipStream_tbEUljE_EEESV_SW_SX_S14_S18_S1A_T6_T7_T9_mT8_S1C_bDpT10_ENKUlT_T0_E_clISt17integral_constantIbLb1EES1P_EEDaS1K_S1L_EUlS1K_E_NS1_11comp_targetILNS1_3genE3ELNS1_11target_archE908ELNS1_3gpuE7ELNS1_3repE0EEENS1_30default_config_static_selectorELNS0_4arch9wavefront6targetE0EEEvSY_, .Lfunc_end1097-_ZN7rocprim17ROCPRIM_400000_NS6detail17trampoline_kernelINS0_13select_configILj256ELj13ELNS0_17block_load_methodE3ELS4_3ELS4_3ELNS0_20block_scan_algorithmE0ELj4294967295EEENS1_25partition_config_selectorILNS1_17partition_subalgoE3EjNS0_10empty_typeEbEEZZNS1_14partition_implILS8_3ELb0ES6_jNS0_17counting_iteratorIjlEEPS9_SE_NS0_5tupleIJPjSE_EEENSF_IJSE_SE_EEES9_SG_JZNS1_25segmented_radix_sort_implINS0_14default_configELb1EPKdPdPKlPlN2at6native12_GLOBAL__N_18offset_tEEE10hipError_tPvRmT1_PNSt15iterator_traitsISY_E10value_typeET2_T3_PNSZ_IS14_E10value_typeET4_jRbjT5_S1A_jjP12ihipStream_tbEUljE_EEESV_SW_SX_S14_S18_S1A_T6_T7_T9_mT8_S1C_bDpT10_ENKUlT_T0_E_clISt17integral_constantIbLb1EES1P_EEDaS1K_S1L_EUlS1K_E_NS1_11comp_targetILNS1_3genE3ELNS1_11target_archE908ELNS1_3gpuE7ELNS1_3repE0EEENS1_30default_config_static_selectorELNS0_4arch9wavefront6targetE0EEEvSY_
                                        ; -- End function
	.set _ZN7rocprim17ROCPRIM_400000_NS6detail17trampoline_kernelINS0_13select_configILj256ELj13ELNS0_17block_load_methodE3ELS4_3ELS4_3ELNS0_20block_scan_algorithmE0ELj4294967295EEENS1_25partition_config_selectorILNS1_17partition_subalgoE3EjNS0_10empty_typeEbEEZZNS1_14partition_implILS8_3ELb0ES6_jNS0_17counting_iteratorIjlEEPS9_SE_NS0_5tupleIJPjSE_EEENSF_IJSE_SE_EEES9_SG_JZNS1_25segmented_radix_sort_implINS0_14default_configELb1EPKdPdPKlPlN2at6native12_GLOBAL__N_18offset_tEEE10hipError_tPvRmT1_PNSt15iterator_traitsISY_E10value_typeET2_T3_PNSZ_IS14_E10value_typeET4_jRbjT5_S1A_jjP12ihipStream_tbEUljE_EEESV_SW_SX_S14_S18_S1A_T6_T7_T9_mT8_S1C_bDpT10_ENKUlT_T0_E_clISt17integral_constantIbLb1EES1P_EEDaS1K_S1L_EUlS1K_E_NS1_11comp_targetILNS1_3genE3ELNS1_11target_archE908ELNS1_3gpuE7ELNS1_3repE0EEENS1_30default_config_static_selectorELNS0_4arch9wavefront6targetE0EEEvSY_.num_vgpr, 0
	.set _ZN7rocprim17ROCPRIM_400000_NS6detail17trampoline_kernelINS0_13select_configILj256ELj13ELNS0_17block_load_methodE3ELS4_3ELS4_3ELNS0_20block_scan_algorithmE0ELj4294967295EEENS1_25partition_config_selectorILNS1_17partition_subalgoE3EjNS0_10empty_typeEbEEZZNS1_14partition_implILS8_3ELb0ES6_jNS0_17counting_iteratorIjlEEPS9_SE_NS0_5tupleIJPjSE_EEENSF_IJSE_SE_EEES9_SG_JZNS1_25segmented_radix_sort_implINS0_14default_configELb1EPKdPdPKlPlN2at6native12_GLOBAL__N_18offset_tEEE10hipError_tPvRmT1_PNSt15iterator_traitsISY_E10value_typeET2_T3_PNSZ_IS14_E10value_typeET4_jRbjT5_S1A_jjP12ihipStream_tbEUljE_EEESV_SW_SX_S14_S18_S1A_T6_T7_T9_mT8_S1C_bDpT10_ENKUlT_T0_E_clISt17integral_constantIbLb1EES1P_EEDaS1K_S1L_EUlS1K_E_NS1_11comp_targetILNS1_3genE3ELNS1_11target_archE908ELNS1_3gpuE7ELNS1_3repE0EEENS1_30default_config_static_selectorELNS0_4arch9wavefront6targetE0EEEvSY_.num_agpr, 0
	.set _ZN7rocprim17ROCPRIM_400000_NS6detail17trampoline_kernelINS0_13select_configILj256ELj13ELNS0_17block_load_methodE3ELS4_3ELS4_3ELNS0_20block_scan_algorithmE0ELj4294967295EEENS1_25partition_config_selectorILNS1_17partition_subalgoE3EjNS0_10empty_typeEbEEZZNS1_14partition_implILS8_3ELb0ES6_jNS0_17counting_iteratorIjlEEPS9_SE_NS0_5tupleIJPjSE_EEENSF_IJSE_SE_EEES9_SG_JZNS1_25segmented_radix_sort_implINS0_14default_configELb1EPKdPdPKlPlN2at6native12_GLOBAL__N_18offset_tEEE10hipError_tPvRmT1_PNSt15iterator_traitsISY_E10value_typeET2_T3_PNSZ_IS14_E10value_typeET4_jRbjT5_S1A_jjP12ihipStream_tbEUljE_EEESV_SW_SX_S14_S18_S1A_T6_T7_T9_mT8_S1C_bDpT10_ENKUlT_T0_E_clISt17integral_constantIbLb1EES1P_EEDaS1K_S1L_EUlS1K_E_NS1_11comp_targetILNS1_3genE3ELNS1_11target_archE908ELNS1_3gpuE7ELNS1_3repE0EEENS1_30default_config_static_selectorELNS0_4arch9wavefront6targetE0EEEvSY_.numbered_sgpr, 0
	.set _ZN7rocprim17ROCPRIM_400000_NS6detail17trampoline_kernelINS0_13select_configILj256ELj13ELNS0_17block_load_methodE3ELS4_3ELS4_3ELNS0_20block_scan_algorithmE0ELj4294967295EEENS1_25partition_config_selectorILNS1_17partition_subalgoE3EjNS0_10empty_typeEbEEZZNS1_14partition_implILS8_3ELb0ES6_jNS0_17counting_iteratorIjlEEPS9_SE_NS0_5tupleIJPjSE_EEENSF_IJSE_SE_EEES9_SG_JZNS1_25segmented_radix_sort_implINS0_14default_configELb1EPKdPdPKlPlN2at6native12_GLOBAL__N_18offset_tEEE10hipError_tPvRmT1_PNSt15iterator_traitsISY_E10value_typeET2_T3_PNSZ_IS14_E10value_typeET4_jRbjT5_S1A_jjP12ihipStream_tbEUljE_EEESV_SW_SX_S14_S18_S1A_T6_T7_T9_mT8_S1C_bDpT10_ENKUlT_T0_E_clISt17integral_constantIbLb1EES1P_EEDaS1K_S1L_EUlS1K_E_NS1_11comp_targetILNS1_3genE3ELNS1_11target_archE908ELNS1_3gpuE7ELNS1_3repE0EEENS1_30default_config_static_selectorELNS0_4arch9wavefront6targetE0EEEvSY_.num_named_barrier, 0
	.set _ZN7rocprim17ROCPRIM_400000_NS6detail17trampoline_kernelINS0_13select_configILj256ELj13ELNS0_17block_load_methodE3ELS4_3ELS4_3ELNS0_20block_scan_algorithmE0ELj4294967295EEENS1_25partition_config_selectorILNS1_17partition_subalgoE3EjNS0_10empty_typeEbEEZZNS1_14partition_implILS8_3ELb0ES6_jNS0_17counting_iteratorIjlEEPS9_SE_NS0_5tupleIJPjSE_EEENSF_IJSE_SE_EEES9_SG_JZNS1_25segmented_radix_sort_implINS0_14default_configELb1EPKdPdPKlPlN2at6native12_GLOBAL__N_18offset_tEEE10hipError_tPvRmT1_PNSt15iterator_traitsISY_E10value_typeET2_T3_PNSZ_IS14_E10value_typeET4_jRbjT5_S1A_jjP12ihipStream_tbEUljE_EEESV_SW_SX_S14_S18_S1A_T6_T7_T9_mT8_S1C_bDpT10_ENKUlT_T0_E_clISt17integral_constantIbLb1EES1P_EEDaS1K_S1L_EUlS1K_E_NS1_11comp_targetILNS1_3genE3ELNS1_11target_archE908ELNS1_3gpuE7ELNS1_3repE0EEENS1_30default_config_static_selectorELNS0_4arch9wavefront6targetE0EEEvSY_.private_seg_size, 0
	.set _ZN7rocprim17ROCPRIM_400000_NS6detail17trampoline_kernelINS0_13select_configILj256ELj13ELNS0_17block_load_methodE3ELS4_3ELS4_3ELNS0_20block_scan_algorithmE0ELj4294967295EEENS1_25partition_config_selectorILNS1_17partition_subalgoE3EjNS0_10empty_typeEbEEZZNS1_14partition_implILS8_3ELb0ES6_jNS0_17counting_iteratorIjlEEPS9_SE_NS0_5tupleIJPjSE_EEENSF_IJSE_SE_EEES9_SG_JZNS1_25segmented_radix_sort_implINS0_14default_configELb1EPKdPdPKlPlN2at6native12_GLOBAL__N_18offset_tEEE10hipError_tPvRmT1_PNSt15iterator_traitsISY_E10value_typeET2_T3_PNSZ_IS14_E10value_typeET4_jRbjT5_S1A_jjP12ihipStream_tbEUljE_EEESV_SW_SX_S14_S18_S1A_T6_T7_T9_mT8_S1C_bDpT10_ENKUlT_T0_E_clISt17integral_constantIbLb1EES1P_EEDaS1K_S1L_EUlS1K_E_NS1_11comp_targetILNS1_3genE3ELNS1_11target_archE908ELNS1_3gpuE7ELNS1_3repE0EEENS1_30default_config_static_selectorELNS0_4arch9wavefront6targetE0EEEvSY_.uses_vcc, 0
	.set _ZN7rocprim17ROCPRIM_400000_NS6detail17trampoline_kernelINS0_13select_configILj256ELj13ELNS0_17block_load_methodE3ELS4_3ELS4_3ELNS0_20block_scan_algorithmE0ELj4294967295EEENS1_25partition_config_selectorILNS1_17partition_subalgoE3EjNS0_10empty_typeEbEEZZNS1_14partition_implILS8_3ELb0ES6_jNS0_17counting_iteratorIjlEEPS9_SE_NS0_5tupleIJPjSE_EEENSF_IJSE_SE_EEES9_SG_JZNS1_25segmented_radix_sort_implINS0_14default_configELb1EPKdPdPKlPlN2at6native12_GLOBAL__N_18offset_tEEE10hipError_tPvRmT1_PNSt15iterator_traitsISY_E10value_typeET2_T3_PNSZ_IS14_E10value_typeET4_jRbjT5_S1A_jjP12ihipStream_tbEUljE_EEESV_SW_SX_S14_S18_S1A_T6_T7_T9_mT8_S1C_bDpT10_ENKUlT_T0_E_clISt17integral_constantIbLb1EES1P_EEDaS1K_S1L_EUlS1K_E_NS1_11comp_targetILNS1_3genE3ELNS1_11target_archE908ELNS1_3gpuE7ELNS1_3repE0EEENS1_30default_config_static_selectorELNS0_4arch9wavefront6targetE0EEEvSY_.uses_flat_scratch, 0
	.set _ZN7rocprim17ROCPRIM_400000_NS6detail17trampoline_kernelINS0_13select_configILj256ELj13ELNS0_17block_load_methodE3ELS4_3ELS4_3ELNS0_20block_scan_algorithmE0ELj4294967295EEENS1_25partition_config_selectorILNS1_17partition_subalgoE3EjNS0_10empty_typeEbEEZZNS1_14partition_implILS8_3ELb0ES6_jNS0_17counting_iteratorIjlEEPS9_SE_NS0_5tupleIJPjSE_EEENSF_IJSE_SE_EEES9_SG_JZNS1_25segmented_radix_sort_implINS0_14default_configELb1EPKdPdPKlPlN2at6native12_GLOBAL__N_18offset_tEEE10hipError_tPvRmT1_PNSt15iterator_traitsISY_E10value_typeET2_T3_PNSZ_IS14_E10value_typeET4_jRbjT5_S1A_jjP12ihipStream_tbEUljE_EEESV_SW_SX_S14_S18_S1A_T6_T7_T9_mT8_S1C_bDpT10_ENKUlT_T0_E_clISt17integral_constantIbLb1EES1P_EEDaS1K_S1L_EUlS1K_E_NS1_11comp_targetILNS1_3genE3ELNS1_11target_archE908ELNS1_3gpuE7ELNS1_3repE0EEENS1_30default_config_static_selectorELNS0_4arch9wavefront6targetE0EEEvSY_.has_dyn_sized_stack, 0
	.set _ZN7rocprim17ROCPRIM_400000_NS6detail17trampoline_kernelINS0_13select_configILj256ELj13ELNS0_17block_load_methodE3ELS4_3ELS4_3ELNS0_20block_scan_algorithmE0ELj4294967295EEENS1_25partition_config_selectorILNS1_17partition_subalgoE3EjNS0_10empty_typeEbEEZZNS1_14partition_implILS8_3ELb0ES6_jNS0_17counting_iteratorIjlEEPS9_SE_NS0_5tupleIJPjSE_EEENSF_IJSE_SE_EEES9_SG_JZNS1_25segmented_radix_sort_implINS0_14default_configELb1EPKdPdPKlPlN2at6native12_GLOBAL__N_18offset_tEEE10hipError_tPvRmT1_PNSt15iterator_traitsISY_E10value_typeET2_T3_PNSZ_IS14_E10value_typeET4_jRbjT5_S1A_jjP12ihipStream_tbEUljE_EEESV_SW_SX_S14_S18_S1A_T6_T7_T9_mT8_S1C_bDpT10_ENKUlT_T0_E_clISt17integral_constantIbLb1EES1P_EEDaS1K_S1L_EUlS1K_E_NS1_11comp_targetILNS1_3genE3ELNS1_11target_archE908ELNS1_3gpuE7ELNS1_3repE0EEENS1_30default_config_static_selectorELNS0_4arch9wavefront6targetE0EEEvSY_.has_recursion, 0
	.set _ZN7rocprim17ROCPRIM_400000_NS6detail17trampoline_kernelINS0_13select_configILj256ELj13ELNS0_17block_load_methodE3ELS4_3ELS4_3ELNS0_20block_scan_algorithmE0ELj4294967295EEENS1_25partition_config_selectorILNS1_17partition_subalgoE3EjNS0_10empty_typeEbEEZZNS1_14partition_implILS8_3ELb0ES6_jNS0_17counting_iteratorIjlEEPS9_SE_NS0_5tupleIJPjSE_EEENSF_IJSE_SE_EEES9_SG_JZNS1_25segmented_radix_sort_implINS0_14default_configELb1EPKdPdPKlPlN2at6native12_GLOBAL__N_18offset_tEEE10hipError_tPvRmT1_PNSt15iterator_traitsISY_E10value_typeET2_T3_PNSZ_IS14_E10value_typeET4_jRbjT5_S1A_jjP12ihipStream_tbEUljE_EEESV_SW_SX_S14_S18_S1A_T6_T7_T9_mT8_S1C_bDpT10_ENKUlT_T0_E_clISt17integral_constantIbLb1EES1P_EEDaS1K_S1L_EUlS1K_E_NS1_11comp_targetILNS1_3genE3ELNS1_11target_archE908ELNS1_3gpuE7ELNS1_3repE0EEENS1_30default_config_static_selectorELNS0_4arch9wavefront6targetE0EEEvSY_.has_indirect_call, 0
	.section	.AMDGPU.csdata,"",@progbits
; Kernel info:
; codeLenInByte = 0
; TotalNumSgprs: 0
; NumVgprs: 0
; ScratchSize: 0
; MemoryBound: 0
; FloatMode: 240
; IeeeMode: 1
; LDSByteSize: 0 bytes/workgroup (compile time only)
; SGPRBlocks: 0
; VGPRBlocks: 0
; NumSGPRsForWavesPerEU: 1
; NumVGPRsForWavesPerEU: 1
; Occupancy: 16
; WaveLimiterHint : 0
; COMPUTE_PGM_RSRC2:SCRATCH_EN: 0
; COMPUTE_PGM_RSRC2:USER_SGPR: 2
; COMPUTE_PGM_RSRC2:TRAP_HANDLER: 0
; COMPUTE_PGM_RSRC2:TGID_X_EN: 1
; COMPUTE_PGM_RSRC2:TGID_Y_EN: 0
; COMPUTE_PGM_RSRC2:TGID_Z_EN: 0
; COMPUTE_PGM_RSRC2:TIDIG_COMP_CNT: 0
	.section	.text._ZN7rocprim17ROCPRIM_400000_NS6detail17trampoline_kernelINS0_13select_configILj256ELj13ELNS0_17block_load_methodE3ELS4_3ELS4_3ELNS0_20block_scan_algorithmE0ELj4294967295EEENS1_25partition_config_selectorILNS1_17partition_subalgoE3EjNS0_10empty_typeEbEEZZNS1_14partition_implILS8_3ELb0ES6_jNS0_17counting_iteratorIjlEEPS9_SE_NS0_5tupleIJPjSE_EEENSF_IJSE_SE_EEES9_SG_JZNS1_25segmented_radix_sort_implINS0_14default_configELb1EPKdPdPKlPlN2at6native12_GLOBAL__N_18offset_tEEE10hipError_tPvRmT1_PNSt15iterator_traitsISY_E10value_typeET2_T3_PNSZ_IS14_E10value_typeET4_jRbjT5_S1A_jjP12ihipStream_tbEUljE_EEESV_SW_SX_S14_S18_S1A_T6_T7_T9_mT8_S1C_bDpT10_ENKUlT_T0_E_clISt17integral_constantIbLb1EES1P_EEDaS1K_S1L_EUlS1K_E_NS1_11comp_targetILNS1_3genE2ELNS1_11target_archE906ELNS1_3gpuE6ELNS1_3repE0EEENS1_30default_config_static_selectorELNS0_4arch9wavefront6targetE0EEEvSY_,"axG",@progbits,_ZN7rocprim17ROCPRIM_400000_NS6detail17trampoline_kernelINS0_13select_configILj256ELj13ELNS0_17block_load_methodE3ELS4_3ELS4_3ELNS0_20block_scan_algorithmE0ELj4294967295EEENS1_25partition_config_selectorILNS1_17partition_subalgoE3EjNS0_10empty_typeEbEEZZNS1_14partition_implILS8_3ELb0ES6_jNS0_17counting_iteratorIjlEEPS9_SE_NS0_5tupleIJPjSE_EEENSF_IJSE_SE_EEES9_SG_JZNS1_25segmented_radix_sort_implINS0_14default_configELb1EPKdPdPKlPlN2at6native12_GLOBAL__N_18offset_tEEE10hipError_tPvRmT1_PNSt15iterator_traitsISY_E10value_typeET2_T3_PNSZ_IS14_E10value_typeET4_jRbjT5_S1A_jjP12ihipStream_tbEUljE_EEESV_SW_SX_S14_S18_S1A_T6_T7_T9_mT8_S1C_bDpT10_ENKUlT_T0_E_clISt17integral_constantIbLb1EES1P_EEDaS1K_S1L_EUlS1K_E_NS1_11comp_targetILNS1_3genE2ELNS1_11target_archE906ELNS1_3gpuE6ELNS1_3repE0EEENS1_30default_config_static_selectorELNS0_4arch9wavefront6targetE0EEEvSY_,comdat
	.globl	_ZN7rocprim17ROCPRIM_400000_NS6detail17trampoline_kernelINS0_13select_configILj256ELj13ELNS0_17block_load_methodE3ELS4_3ELS4_3ELNS0_20block_scan_algorithmE0ELj4294967295EEENS1_25partition_config_selectorILNS1_17partition_subalgoE3EjNS0_10empty_typeEbEEZZNS1_14partition_implILS8_3ELb0ES6_jNS0_17counting_iteratorIjlEEPS9_SE_NS0_5tupleIJPjSE_EEENSF_IJSE_SE_EEES9_SG_JZNS1_25segmented_radix_sort_implINS0_14default_configELb1EPKdPdPKlPlN2at6native12_GLOBAL__N_18offset_tEEE10hipError_tPvRmT1_PNSt15iterator_traitsISY_E10value_typeET2_T3_PNSZ_IS14_E10value_typeET4_jRbjT5_S1A_jjP12ihipStream_tbEUljE_EEESV_SW_SX_S14_S18_S1A_T6_T7_T9_mT8_S1C_bDpT10_ENKUlT_T0_E_clISt17integral_constantIbLb1EES1P_EEDaS1K_S1L_EUlS1K_E_NS1_11comp_targetILNS1_3genE2ELNS1_11target_archE906ELNS1_3gpuE6ELNS1_3repE0EEENS1_30default_config_static_selectorELNS0_4arch9wavefront6targetE0EEEvSY_ ; -- Begin function _ZN7rocprim17ROCPRIM_400000_NS6detail17trampoline_kernelINS0_13select_configILj256ELj13ELNS0_17block_load_methodE3ELS4_3ELS4_3ELNS0_20block_scan_algorithmE0ELj4294967295EEENS1_25partition_config_selectorILNS1_17partition_subalgoE3EjNS0_10empty_typeEbEEZZNS1_14partition_implILS8_3ELb0ES6_jNS0_17counting_iteratorIjlEEPS9_SE_NS0_5tupleIJPjSE_EEENSF_IJSE_SE_EEES9_SG_JZNS1_25segmented_radix_sort_implINS0_14default_configELb1EPKdPdPKlPlN2at6native12_GLOBAL__N_18offset_tEEE10hipError_tPvRmT1_PNSt15iterator_traitsISY_E10value_typeET2_T3_PNSZ_IS14_E10value_typeET4_jRbjT5_S1A_jjP12ihipStream_tbEUljE_EEESV_SW_SX_S14_S18_S1A_T6_T7_T9_mT8_S1C_bDpT10_ENKUlT_T0_E_clISt17integral_constantIbLb1EES1P_EEDaS1K_S1L_EUlS1K_E_NS1_11comp_targetILNS1_3genE2ELNS1_11target_archE906ELNS1_3gpuE6ELNS1_3repE0EEENS1_30default_config_static_selectorELNS0_4arch9wavefront6targetE0EEEvSY_
	.p2align	8
	.type	_ZN7rocprim17ROCPRIM_400000_NS6detail17trampoline_kernelINS0_13select_configILj256ELj13ELNS0_17block_load_methodE3ELS4_3ELS4_3ELNS0_20block_scan_algorithmE0ELj4294967295EEENS1_25partition_config_selectorILNS1_17partition_subalgoE3EjNS0_10empty_typeEbEEZZNS1_14partition_implILS8_3ELb0ES6_jNS0_17counting_iteratorIjlEEPS9_SE_NS0_5tupleIJPjSE_EEENSF_IJSE_SE_EEES9_SG_JZNS1_25segmented_radix_sort_implINS0_14default_configELb1EPKdPdPKlPlN2at6native12_GLOBAL__N_18offset_tEEE10hipError_tPvRmT1_PNSt15iterator_traitsISY_E10value_typeET2_T3_PNSZ_IS14_E10value_typeET4_jRbjT5_S1A_jjP12ihipStream_tbEUljE_EEESV_SW_SX_S14_S18_S1A_T6_T7_T9_mT8_S1C_bDpT10_ENKUlT_T0_E_clISt17integral_constantIbLb1EES1P_EEDaS1K_S1L_EUlS1K_E_NS1_11comp_targetILNS1_3genE2ELNS1_11target_archE906ELNS1_3gpuE6ELNS1_3repE0EEENS1_30default_config_static_selectorELNS0_4arch9wavefront6targetE0EEEvSY_,@function
_ZN7rocprim17ROCPRIM_400000_NS6detail17trampoline_kernelINS0_13select_configILj256ELj13ELNS0_17block_load_methodE3ELS4_3ELS4_3ELNS0_20block_scan_algorithmE0ELj4294967295EEENS1_25partition_config_selectorILNS1_17partition_subalgoE3EjNS0_10empty_typeEbEEZZNS1_14partition_implILS8_3ELb0ES6_jNS0_17counting_iteratorIjlEEPS9_SE_NS0_5tupleIJPjSE_EEENSF_IJSE_SE_EEES9_SG_JZNS1_25segmented_radix_sort_implINS0_14default_configELb1EPKdPdPKlPlN2at6native12_GLOBAL__N_18offset_tEEE10hipError_tPvRmT1_PNSt15iterator_traitsISY_E10value_typeET2_T3_PNSZ_IS14_E10value_typeET4_jRbjT5_S1A_jjP12ihipStream_tbEUljE_EEESV_SW_SX_S14_S18_S1A_T6_T7_T9_mT8_S1C_bDpT10_ENKUlT_T0_E_clISt17integral_constantIbLb1EES1P_EEDaS1K_S1L_EUlS1K_E_NS1_11comp_targetILNS1_3genE2ELNS1_11target_archE906ELNS1_3gpuE6ELNS1_3repE0EEENS1_30default_config_static_selectorELNS0_4arch9wavefront6targetE0EEEvSY_: ; @_ZN7rocprim17ROCPRIM_400000_NS6detail17trampoline_kernelINS0_13select_configILj256ELj13ELNS0_17block_load_methodE3ELS4_3ELS4_3ELNS0_20block_scan_algorithmE0ELj4294967295EEENS1_25partition_config_selectorILNS1_17partition_subalgoE3EjNS0_10empty_typeEbEEZZNS1_14partition_implILS8_3ELb0ES6_jNS0_17counting_iteratorIjlEEPS9_SE_NS0_5tupleIJPjSE_EEENSF_IJSE_SE_EEES9_SG_JZNS1_25segmented_radix_sort_implINS0_14default_configELb1EPKdPdPKlPlN2at6native12_GLOBAL__N_18offset_tEEE10hipError_tPvRmT1_PNSt15iterator_traitsISY_E10value_typeET2_T3_PNSZ_IS14_E10value_typeET4_jRbjT5_S1A_jjP12ihipStream_tbEUljE_EEESV_SW_SX_S14_S18_S1A_T6_T7_T9_mT8_S1C_bDpT10_ENKUlT_T0_E_clISt17integral_constantIbLb1EES1P_EEDaS1K_S1L_EUlS1K_E_NS1_11comp_targetILNS1_3genE2ELNS1_11target_archE906ELNS1_3gpuE6ELNS1_3repE0EEENS1_30default_config_static_selectorELNS0_4arch9wavefront6targetE0EEEvSY_
; %bb.0:
	.section	.rodata,"a",@progbits
	.p2align	6, 0x0
	.amdhsa_kernel _ZN7rocprim17ROCPRIM_400000_NS6detail17trampoline_kernelINS0_13select_configILj256ELj13ELNS0_17block_load_methodE3ELS4_3ELS4_3ELNS0_20block_scan_algorithmE0ELj4294967295EEENS1_25partition_config_selectorILNS1_17partition_subalgoE3EjNS0_10empty_typeEbEEZZNS1_14partition_implILS8_3ELb0ES6_jNS0_17counting_iteratorIjlEEPS9_SE_NS0_5tupleIJPjSE_EEENSF_IJSE_SE_EEES9_SG_JZNS1_25segmented_radix_sort_implINS0_14default_configELb1EPKdPdPKlPlN2at6native12_GLOBAL__N_18offset_tEEE10hipError_tPvRmT1_PNSt15iterator_traitsISY_E10value_typeET2_T3_PNSZ_IS14_E10value_typeET4_jRbjT5_S1A_jjP12ihipStream_tbEUljE_EEESV_SW_SX_S14_S18_S1A_T6_T7_T9_mT8_S1C_bDpT10_ENKUlT_T0_E_clISt17integral_constantIbLb1EES1P_EEDaS1K_S1L_EUlS1K_E_NS1_11comp_targetILNS1_3genE2ELNS1_11target_archE906ELNS1_3gpuE6ELNS1_3repE0EEENS1_30default_config_static_selectorELNS0_4arch9wavefront6targetE0EEEvSY_
		.amdhsa_group_segment_fixed_size 0
		.amdhsa_private_segment_fixed_size 0
		.amdhsa_kernarg_size 152
		.amdhsa_user_sgpr_count 2
		.amdhsa_user_sgpr_dispatch_ptr 0
		.amdhsa_user_sgpr_queue_ptr 0
		.amdhsa_user_sgpr_kernarg_segment_ptr 1
		.amdhsa_user_sgpr_dispatch_id 0
		.amdhsa_user_sgpr_private_segment_size 0
		.amdhsa_wavefront_size32 1
		.amdhsa_uses_dynamic_stack 0
		.amdhsa_enable_private_segment 0
		.amdhsa_system_sgpr_workgroup_id_x 1
		.amdhsa_system_sgpr_workgroup_id_y 0
		.amdhsa_system_sgpr_workgroup_id_z 0
		.amdhsa_system_sgpr_workgroup_info 0
		.amdhsa_system_vgpr_workitem_id 0
		.amdhsa_next_free_vgpr 1
		.amdhsa_next_free_sgpr 1
		.amdhsa_reserve_vcc 0
		.amdhsa_float_round_mode_32 0
		.amdhsa_float_round_mode_16_64 0
		.amdhsa_float_denorm_mode_32 3
		.amdhsa_float_denorm_mode_16_64 3
		.amdhsa_fp16_overflow 0
		.amdhsa_workgroup_processor_mode 1
		.amdhsa_memory_ordered 1
		.amdhsa_forward_progress 1
		.amdhsa_inst_pref_size 0
		.amdhsa_round_robin_scheduling 0
		.amdhsa_exception_fp_ieee_invalid_op 0
		.amdhsa_exception_fp_denorm_src 0
		.amdhsa_exception_fp_ieee_div_zero 0
		.amdhsa_exception_fp_ieee_overflow 0
		.amdhsa_exception_fp_ieee_underflow 0
		.amdhsa_exception_fp_ieee_inexact 0
		.amdhsa_exception_int_div_zero 0
	.end_amdhsa_kernel
	.section	.text._ZN7rocprim17ROCPRIM_400000_NS6detail17trampoline_kernelINS0_13select_configILj256ELj13ELNS0_17block_load_methodE3ELS4_3ELS4_3ELNS0_20block_scan_algorithmE0ELj4294967295EEENS1_25partition_config_selectorILNS1_17partition_subalgoE3EjNS0_10empty_typeEbEEZZNS1_14partition_implILS8_3ELb0ES6_jNS0_17counting_iteratorIjlEEPS9_SE_NS0_5tupleIJPjSE_EEENSF_IJSE_SE_EEES9_SG_JZNS1_25segmented_radix_sort_implINS0_14default_configELb1EPKdPdPKlPlN2at6native12_GLOBAL__N_18offset_tEEE10hipError_tPvRmT1_PNSt15iterator_traitsISY_E10value_typeET2_T3_PNSZ_IS14_E10value_typeET4_jRbjT5_S1A_jjP12ihipStream_tbEUljE_EEESV_SW_SX_S14_S18_S1A_T6_T7_T9_mT8_S1C_bDpT10_ENKUlT_T0_E_clISt17integral_constantIbLb1EES1P_EEDaS1K_S1L_EUlS1K_E_NS1_11comp_targetILNS1_3genE2ELNS1_11target_archE906ELNS1_3gpuE6ELNS1_3repE0EEENS1_30default_config_static_selectorELNS0_4arch9wavefront6targetE0EEEvSY_,"axG",@progbits,_ZN7rocprim17ROCPRIM_400000_NS6detail17trampoline_kernelINS0_13select_configILj256ELj13ELNS0_17block_load_methodE3ELS4_3ELS4_3ELNS0_20block_scan_algorithmE0ELj4294967295EEENS1_25partition_config_selectorILNS1_17partition_subalgoE3EjNS0_10empty_typeEbEEZZNS1_14partition_implILS8_3ELb0ES6_jNS0_17counting_iteratorIjlEEPS9_SE_NS0_5tupleIJPjSE_EEENSF_IJSE_SE_EEES9_SG_JZNS1_25segmented_radix_sort_implINS0_14default_configELb1EPKdPdPKlPlN2at6native12_GLOBAL__N_18offset_tEEE10hipError_tPvRmT1_PNSt15iterator_traitsISY_E10value_typeET2_T3_PNSZ_IS14_E10value_typeET4_jRbjT5_S1A_jjP12ihipStream_tbEUljE_EEESV_SW_SX_S14_S18_S1A_T6_T7_T9_mT8_S1C_bDpT10_ENKUlT_T0_E_clISt17integral_constantIbLb1EES1P_EEDaS1K_S1L_EUlS1K_E_NS1_11comp_targetILNS1_3genE2ELNS1_11target_archE906ELNS1_3gpuE6ELNS1_3repE0EEENS1_30default_config_static_selectorELNS0_4arch9wavefront6targetE0EEEvSY_,comdat
.Lfunc_end1098:
	.size	_ZN7rocprim17ROCPRIM_400000_NS6detail17trampoline_kernelINS0_13select_configILj256ELj13ELNS0_17block_load_methodE3ELS4_3ELS4_3ELNS0_20block_scan_algorithmE0ELj4294967295EEENS1_25partition_config_selectorILNS1_17partition_subalgoE3EjNS0_10empty_typeEbEEZZNS1_14partition_implILS8_3ELb0ES6_jNS0_17counting_iteratorIjlEEPS9_SE_NS0_5tupleIJPjSE_EEENSF_IJSE_SE_EEES9_SG_JZNS1_25segmented_radix_sort_implINS0_14default_configELb1EPKdPdPKlPlN2at6native12_GLOBAL__N_18offset_tEEE10hipError_tPvRmT1_PNSt15iterator_traitsISY_E10value_typeET2_T3_PNSZ_IS14_E10value_typeET4_jRbjT5_S1A_jjP12ihipStream_tbEUljE_EEESV_SW_SX_S14_S18_S1A_T6_T7_T9_mT8_S1C_bDpT10_ENKUlT_T0_E_clISt17integral_constantIbLb1EES1P_EEDaS1K_S1L_EUlS1K_E_NS1_11comp_targetILNS1_3genE2ELNS1_11target_archE906ELNS1_3gpuE6ELNS1_3repE0EEENS1_30default_config_static_selectorELNS0_4arch9wavefront6targetE0EEEvSY_, .Lfunc_end1098-_ZN7rocprim17ROCPRIM_400000_NS6detail17trampoline_kernelINS0_13select_configILj256ELj13ELNS0_17block_load_methodE3ELS4_3ELS4_3ELNS0_20block_scan_algorithmE0ELj4294967295EEENS1_25partition_config_selectorILNS1_17partition_subalgoE3EjNS0_10empty_typeEbEEZZNS1_14partition_implILS8_3ELb0ES6_jNS0_17counting_iteratorIjlEEPS9_SE_NS0_5tupleIJPjSE_EEENSF_IJSE_SE_EEES9_SG_JZNS1_25segmented_radix_sort_implINS0_14default_configELb1EPKdPdPKlPlN2at6native12_GLOBAL__N_18offset_tEEE10hipError_tPvRmT1_PNSt15iterator_traitsISY_E10value_typeET2_T3_PNSZ_IS14_E10value_typeET4_jRbjT5_S1A_jjP12ihipStream_tbEUljE_EEESV_SW_SX_S14_S18_S1A_T6_T7_T9_mT8_S1C_bDpT10_ENKUlT_T0_E_clISt17integral_constantIbLb1EES1P_EEDaS1K_S1L_EUlS1K_E_NS1_11comp_targetILNS1_3genE2ELNS1_11target_archE906ELNS1_3gpuE6ELNS1_3repE0EEENS1_30default_config_static_selectorELNS0_4arch9wavefront6targetE0EEEvSY_
                                        ; -- End function
	.set _ZN7rocprim17ROCPRIM_400000_NS6detail17trampoline_kernelINS0_13select_configILj256ELj13ELNS0_17block_load_methodE3ELS4_3ELS4_3ELNS0_20block_scan_algorithmE0ELj4294967295EEENS1_25partition_config_selectorILNS1_17partition_subalgoE3EjNS0_10empty_typeEbEEZZNS1_14partition_implILS8_3ELb0ES6_jNS0_17counting_iteratorIjlEEPS9_SE_NS0_5tupleIJPjSE_EEENSF_IJSE_SE_EEES9_SG_JZNS1_25segmented_radix_sort_implINS0_14default_configELb1EPKdPdPKlPlN2at6native12_GLOBAL__N_18offset_tEEE10hipError_tPvRmT1_PNSt15iterator_traitsISY_E10value_typeET2_T3_PNSZ_IS14_E10value_typeET4_jRbjT5_S1A_jjP12ihipStream_tbEUljE_EEESV_SW_SX_S14_S18_S1A_T6_T7_T9_mT8_S1C_bDpT10_ENKUlT_T0_E_clISt17integral_constantIbLb1EES1P_EEDaS1K_S1L_EUlS1K_E_NS1_11comp_targetILNS1_3genE2ELNS1_11target_archE906ELNS1_3gpuE6ELNS1_3repE0EEENS1_30default_config_static_selectorELNS0_4arch9wavefront6targetE0EEEvSY_.num_vgpr, 0
	.set _ZN7rocprim17ROCPRIM_400000_NS6detail17trampoline_kernelINS0_13select_configILj256ELj13ELNS0_17block_load_methodE3ELS4_3ELS4_3ELNS0_20block_scan_algorithmE0ELj4294967295EEENS1_25partition_config_selectorILNS1_17partition_subalgoE3EjNS0_10empty_typeEbEEZZNS1_14partition_implILS8_3ELb0ES6_jNS0_17counting_iteratorIjlEEPS9_SE_NS0_5tupleIJPjSE_EEENSF_IJSE_SE_EEES9_SG_JZNS1_25segmented_radix_sort_implINS0_14default_configELb1EPKdPdPKlPlN2at6native12_GLOBAL__N_18offset_tEEE10hipError_tPvRmT1_PNSt15iterator_traitsISY_E10value_typeET2_T3_PNSZ_IS14_E10value_typeET4_jRbjT5_S1A_jjP12ihipStream_tbEUljE_EEESV_SW_SX_S14_S18_S1A_T6_T7_T9_mT8_S1C_bDpT10_ENKUlT_T0_E_clISt17integral_constantIbLb1EES1P_EEDaS1K_S1L_EUlS1K_E_NS1_11comp_targetILNS1_3genE2ELNS1_11target_archE906ELNS1_3gpuE6ELNS1_3repE0EEENS1_30default_config_static_selectorELNS0_4arch9wavefront6targetE0EEEvSY_.num_agpr, 0
	.set _ZN7rocprim17ROCPRIM_400000_NS6detail17trampoline_kernelINS0_13select_configILj256ELj13ELNS0_17block_load_methodE3ELS4_3ELS4_3ELNS0_20block_scan_algorithmE0ELj4294967295EEENS1_25partition_config_selectorILNS1_17partition_subalgoE3EjNS0_10empty_typeEbEEZZNS1_14partition_implILS8_3ELb0ES6_jNS0_17counting_iteratorIjlEEPS9_SE_NS0_5tupleIJPjSE_EEENSF_IJSE_SE_EEES9_SG_JZNS1_25segmented_radix_sort_implINS0_14default_configELb1EPKdPdPKlPlN2at6native12_GLOBAL__N_18offset_tEEE10hipError_tPvRmT1_PNSt15iterator_traitsISY_E10value_typeET2_T3_PNSZ_IS14_E10value_typeET4_jRbjT5_S1A_jjP12ihipStream_tbEUljE_EEESV_SW_SX_S14_S18_S1A_T6_T7_T9_mT8_S1C_bDpT10_ENKUlT_T0_E_clISt17integral_constantIbLb1EES1P_EEDaS1K_S1L_EUlS1K_E_NS1_11comp_targetILNS1_3genE2ELNS1_11target_archE906ELNS1_3gpuE6ELNS1_3repE0EEENS1_30default_config_static_selectorELNS0_4arch9wavefront6targetE0EEEvSY_.numbered_sgpr, 0
	.set _ZN7rocprim17ROCPRIM_400000_NS6detail17trampoline_kernelINS0_13select_configILj256ELj13ELNS0_17block_load_methodE3ELS4_3ELS4_3ELNS0_20block_scan_algorithmE0ELj4294967295EEENS1_25partition_config_selectorILNS1_17partition_subalgoE3EjNS0_10empty_typeEbEEZZNS1_14partition_implILS8_3ELb0ES6_jNS0_17counting_iteratorIjlEEPS9_SE_NS0_5tupleIJPjSE_EEENSF_IJSE_SE_EEES9_SG_JZNS1_25segmented_radix_sort_implINS0_14default_configELb1EPKdPdPKlPlN2at6native12_GLOBAL__N_18offset_tEEE10hipError_tPvRmT1_PNSt15iterator_traitsISY_E10value_typeET2_T3_PNSZ_IS14_E10value_typeET4_jRbjT5_S1A_jjP12ihipStream_tbEUljE_EEESV_SW_SX_S14_S18_S1A_T6_T7_T9_mT8_S1C_bDpT10_ENKUlT_T0_E_clISt17integral_constantIbLb1EES1P_EEDaS1K_S1L_EUlS1K_E_NS1_11comp_targetILNS1_3genE2ELNS1_11target_archE906ELNS1_3gpuE6ELNS1_3repE0EEENS1_30default_config_static_selectorELNS0_4arch9wavefront6targetE0EEEvSY_.num_named_barrier, 0
	.set _ZN7rocprim17ROCPRIM_400000_NS6detail17trampoline_kernelINS0_13select_configILj256ELj13ELNS0_17block_load_methodE3ELS4_3ELS4_3ELNS0_20block_scan_algorithmE0ELj4294967295EEENS1_25partition_config_selectorILNS1_17partition_subalgoE3EjNS0_10empty_typeEbEEZZNS1_14partition_implILS8_3ELb0ES6_jNS0_17counting_iteratorIjlEEPS9_SE_NS0_5tupleIJPjSE_EEENSF_IJSE_SE_EEES9_SG_JZNS1_25segmented_radix_sort_implINS0_14default_configELb1EPKdPdPKlPlN2at6native12_GLOBAL__N_18offset_tEEE10hipError_tPvRmT1_PNSt15iterator_traitsISY_E10value_typeET2_T3_PNSZ_IS14_E10value_typeET4_jRbjT5_S1A_jjP12ihipStream_tbEUljE_EEESV_SW_SX_S14_S18_S1A_T6_T7_T9_mT8_S1C_bDpT10_ENKUlT_T0_E_clISt17integral_constantIbLb1EES1P_EEDaS1K_S1L_EUlS1K_E_NS1_11comp_targetILNS1_3genE2ELNS1_11target_archE906ELNS1_3gpuE6ELNS1_3repE0EEENS1_30default_config_static_selectorELNS0_4arch9wavefront6targetE0EEEvSY_.private_seg_size, 0
	.set _ZN7rocprim17ROCPRIM_400000_NS6detail17trampoline_kernelINS0_13select_configILj256ELj13ELNS0_17block_load_methodE3ELS4_3ELS4_3ELNS0_20block_scan_algorithmE0ELj4294967295EEENS1_25partition_config_selectorILNS1_17partition_subalgoE3EjNS0_10empty_typeEbEEZZNS1_14partition_implILS8_3ELb0ES6_jNS0_17counting_iteratorIjlEEPS9_SE_NS0_5tupleIJPjSE_EEENSF_IJSE_SE_EEES9_SG_JZNS1_25segmented_radix_sort_implINS0_14default_configELb1EPKdPdPKlPlN2at6native12_GLOBAL__N_18offset_tEEE10hipError_tPvRmT1_PNSt15iterator_traitsISY_E10value_typeET2_T3_PNSZ_IS14_E10value_typeET4_jRbjT5_S1A_jjP12ihipStream_tbEUljE_EEESV_SW_SX_S14_S18_S1A_T6_T7_T9_mT8_S1C_bDpT10_ENKUlT_T0_E_clISt17integral_constantIbLb1EES1P_EEDaS1K_S1L_EUlS1K_E_NS1_11comp_targetILNS1_3genE2ELNS1_11target_archE906ELNS1_3gpuE6ELNS1_3repE0EEENS1_30default_config_static_selectorELNS0_4arch9wavefront6targetE0EEEvSY_.uses_vcc, 0
	.set _ZN7rocprim17ROCPRIM_400000_NS6detail17trampoline_kernelINS0_13select_configILj256ELj13ELNS0_17block_load_methodE3ELS4_3ELS4_3ELNS0_20block_scan_algorithmE0ELj4294967295EEENS1_25partition_config_selectorILNS1_17partition_subalgoE3EjNS0_10empty_typeEbEEZZNS1_14partition_implILS8_3ELb0ES6_jNS0_17counting_iteratorIjlEEPS9_SE_NS0_5tupleIJPjSE_EEENSF_IJSE_SE_EEES9_SG_JZNS1_25segmented_radix_sort_implINS0_14default_configELb1EPKdPdPKlPlN2at6native12_GLOBAL__N_18offset_tEEE10hipError_tPvRmT1_PNSt15iterator_traitsISY_E10value_typeET2_T3_PNSZ_IS14_E10value_typeET4_jRbjT5_S1A_jjP12ihipStream_tbEUljE_EEESV_SW_SX_S14_S18_S1A_T6_T7_T9_mT8_S1C_bDpT10_ENKUlT_T0_E_clISt17integral_constantIbLb1EES1P_EEDaS1K_S1L_EUlS1K_E_NS1_11comp_targetILNS1_3genE2ELNS1_11target_archE906ELNS1_3gpuE6ELNS1_3repE0EEENS1_30default_config_static_selectorELNS0_4arch9wavefront6targetE0EEEvSY_.uses_flat_scratch, 0
	.set _ZN7rocprim17ROCPRIM_400000_NS6detail17trampoline_kernelINS0_13select_configILj256ELj13ELNS0_17block_load_methodE3ELS4_3ELS4_3ELNS0_20block_scan_algorithmE0ELj4294967295EEENS1_25partition_config_selectorILNS1_17partition_subalgoE3EjNS0_10empty_typeEbEEZZNS1_14partition_implILS8_3ELb0ES6_jNS0_17counting_iteratorIjlEEPS9_SE_NS0_5tupleIJPjSE_EEENSF_IJSE_SE_EEES9_SG_JZNS1_25segmented_radix_sort_implINS0_14default_configELb1EPKdPdPKlPlN2at6native12_GLOBAL__N_18offset_tEEE10hipError_tPvRmT1_PNSt15iterator_traitsISY_E10value_typeET2_T3_PNSZ_IS14_E10value_typeET4_jRbjT5_S1A_jjP12ihipStream_tbEUljE_EEESV_SW_SX_S14_S18_S1A_T6_T7_T9_mT8_S1C_bDpT10_ENKUlT_T0_E_clISt17integral_constantIbLb1EES1P_EEDaS1K_S1L_EUlS1K_E_NS1_11comp_targetILNS1_3genE2ELNS1_11target_archE906ELNS1_3gpuE6ELNS1_3repE0EEENS1_30default_config_static_selectorELNS0_4arch9wavefront6targetE0EEEvSY_.has_dyn_sized_stack, 0
	.set _ZN7rocprim17ROCPRIM_400000_NS6detail17trampoline_kernelINS0_13select_configILj256ELj13ELNS0_17block_load_methodE3ELS4_3ELS4_3ELNS0_20block_scan_algorithmE0ELj4294967295EEENS1_25partition_config_selectorILNS1_17partition_subalgoE3EjNS0_10empty_typeEbEEZZNS1_14partition_implILS8_3ELb0ES6_jNS0_17counting_iteratorIjlEEPS9_SE_NS0_5tupleIJPjSE_EEENSF_IJSE_SE_EEES9_SG_JZNS1_25segmented_radix_sort_implINS0_14default_configELb1EPKdPdPKlPlN2at6native12_GLOBAL__N_18offset_tEEE10hipError_tPvRmT1_PNSt15iterator_traitsISY_E10value_typeET2_T3_PNSZ_IS14_E10value_typeET4_jRbjT5_S1A_jjP12ihipStream_tbEUljE_EEESV_SW_SX_S14_S18_S1A_T6_T7_T9_mT8_S1C_bDpT10_ENKUlT_T0_E_clISt17integral_constantIbLb1EES1P_EEDaS1K_S1L_EUlS1K_E_NS1_11comp_targetILNS1_3genE2ELNS1_11target_archE906ELNS1_3gpuE6ELNS1_3repE0EEENS1_30default_config_static_selectorELNS0_4arch9wavefront6targetE0EEEvSY_.has_recursion, 0
	.set _ZN7rocprim17ROCPRIM_400000_NS6detail17trampoline_kernelINS0_13select_configILj256ELj13ELNS0_17block_load_methodE3ELS4_3ELS4_3ELNS0_20block_scan_algorithmE0ELj4294967295EEENS1_25partition_config_selectorILNS1_17partition_subalgoE3EjNS0_10empty_typeEbEEZZNS1_14partition_implILS8_3ELb0ES6_jNS0_17counting_iteratorIjlEEPS9_SE_NS0_5tupleIJPjSE_EEENSF_IJSE_SE_EEES9_SG_JZNS1_25segmented_radix_sort_implINS0_14default_configELb1EPKdPdPKlPlN2at6native12_GLOBAL__N_18offset_tEEE10hipError_tPvRmT1_PNSt15iterator_traitsISY_E10value_typeET2_T3_PNSZ_IS14_E10value_typeET4_jRbjT5_S1A_jjP12ihipStream_tbEUljE_EEESV_SW_SX_S14_S18_S1A_T6_T7_T9_mT8_S1C_bDpT10_ENKUlT_T0_E_clISt17integral_constantIbLb1EES1P_EEDaS1K_S1L_EUlS1K_E_NS1_11comp_targetILNS1_3genE2ELNS1_11target_archE906ELNS1_3gpuE6ELNS1_3repE0EEENS1_30default_config_static_selectorELNS0_4arch9wavefront6targetE0EEEvSY_.has_indirect_call, 0
	.section	.AMDGPU.csdata,"",@progbits
; Kernel info:
; codeLenInByte = 0
; TotalNumSgprs: 0
; NumVgprs: 0
; ScratchSize: 0
; MemoryBound: 0
; FloatMode: 240
; IeeeMode: 1
; LDSByteSize: 0 bytes/workgroup (compile time only)
; SGPRBlocks: 0
; VGPRBlocks: 0
; NumSGPRsForWavesPerEU: 1
; NumVGPRsForWavesPerEU: 1
; Occupancy: 16
; WaveLimiterHint : 0
; COMPUTE_PGM_RSRC2:SCRATCH_EN: 0
; COMPUTE_PGM_RSRC2:USER_SGPR: 2
; COMPUTE_PGM_RSRC2:TRAP_HANDLER: 0
; COMPUTE_PGM_RSRC2:TGID_X_EN: 1
; COMPUTE_PGM_RSRC2:TGID_Y_EN: 0
; COMPUTE_PGM_RSRC2:TGID_Z_EN: 0
; COMPUTE_PGM_RSRC2:TIDIG_COMP_CNT: 0
	.section	.text._ZN7rocprim17ROCPRIM_400000_NS6detail17trampoline_kernelINS0_13select_configILj256ELj13ELNS0_17block_load_methodE3ELS4_3ELS4_3ELNS0_20block_scan_algorithmE0ELj4294967295EEENS1_25partition_config_selectorILNS1_17partition_subalgoE3EjNS0_10empty_typeEbEEZZNS1_14partition_implILS8_3ELb0ES6_jNS0_17counting_iteratorIjlEEPS9_SE_NS0_5tupleIJPjSE_EEENSF_IJSE_SE_EEES9_SG_JZNS1_25segmented_radix_sort_implINS0_14default_configELb1EPKdPdPKlPlN2at6native12_GLOBAL__N_18offset_tEEE10hipError_tPvRmT1_PNSt15iterator_traitsISY_E10value_typeET2_T3_PNSZ_IS14_E10value_typeET4_jRbjT5_S1A_jjP12ihipStream_tbEUljE_EEESV_SW_SX_S14_S18_S1A_T6_T7_T9_mT8_S1C_bDpT10_ENKUlT_T0_E_clISt17integral_constantIbLb1EES1P_EEDaS1K_S1L_EUlS1K_E_NS1_11comp_targetILNS1_3genE10ELNS1_11target_archE1200ELNS1_3gpuE4ELNS1_3repE0EEENS1_30default_config_static_selectorELNS0_4arch9wavefront6targetE0EEEvSY_,"axG",@progbits,_ZN7rocprim17ROCPRIM_400000_NS6detail17trampoline_kernelINS0_13select_configILj256ELj13ELNS0_17block_load_methodE3ELS4_3ELS4_3ELNS0_20block_scan_algorithmE0ELj4294967295EEENS1_25partition_config_selectorILNS1_17partition_subalgoE3EjNS0_10empty_typeEbEEZZNS1_14partition_implILS8_3ELb0ES6_jNS0_17counting_iteratorIjlEEPS9_SE_NS0_5tupleIJPjSE_EEENSF_IJSE_SE_EEES9_SG_JZNS1_25segmented_radix_sort_implINS0_14default_configELb1EPKdPdPKlPlN2at6native12_GLOBAL__N_18offset_tEEE10hipError_tPvRmT1_PNSt15iterator_traitsISY_E10value_typeET2_T3_PNSZ_IS14_E10value_typeET4_jRbjT5_S1A_jjP12ihipStream_tbEUljE_EEESV_SW_SX_S14_S18_S1A_T6_T7_T9_mT8_S1C_bDpT10_ENKUlT_T0_E_clISt17integral_constantIbLb1EES1P_EEDaS1K_S1L_EUlS1K_E_NS1_11comp_targetILNS1_3genE10ELNS1_11target_archE1200ELNS1_3gpuE4ELNS1_3repE0EEENS1_30default_config_static_selectorELNS0_4arch9wavefront6targetE0EEEvSY_,comdat
	.globl	_ZN7rocprim17ROCPRIM_400000_NS6detail17trampoline_kernelINS0_13select_configILj256ELj13ELNS0_17block_load_methodE3ELS4_3ELS4_3ELNS0_20block_scan_algorithmE0ELj4294967295EEENS1_25partition_config_selectorILNS1_17partition_subalgoE3EjNS0_10empty_typeEbEEZZNS1_14partition_implILS8_3ELb0ES6_jNS0_17counting_iteratorIjlEEPS9_SE_NS0_5tupleIJPjSE_EEENSF_IJSE_SE_EEES9_SG_JZNS1_25segmented_radix_sort_implINS0_14default_configELb1EPKdPdPKlPlN2at6native12_GLOBAL__N_18offset_tEEE10hipError_tPvRmT1_PNSt15iterator_traitsISY_E10value_typeET2_T3_PNSZ_IS14_E10value_typeET4_jRbjT5_S1A_jjP12ihipStream_tbEUljE_EEESV_SW_SX_S14_S18_S1A_T6_T7_T9_mT8_S1C_bDpT10_ENKUlT_T0_E_clISt17integral_constantIbLb1EES1P_EEDaS1K_S1L_EUlS1K_E_NS1_11comp_targetILNS1_3genE10ELNS1_11target_archE1200ELNS1_3gpuE4ELNS1_3repE0EEENS1_30default_config_static_selectorELNS0_4arch9wavefront6targetE0EEEvSY_ ; -- Begin function _ZN7rocprim17ROCPRIM_400000_NS6detail17trampoline_kernelINS0_13select_configILj256ELj13ELNS0_17block_load_methodE3ELS4_3ELS4_3ELNS0_20block_scan_algorithmE0ELj4294967295EEENS1_25partition_config_selectorILNS1_17partition_subalgoE3EjNS0_10empty_typeEbEEZZNS1_14partition_implILS8_3ELb0ES6_jNS0_17counting_iteratorIjlEEPS9_SE_NS0_5tupleIJPjSE_EEENSF_IJSE_SE_EEES9_SG_JZNS1_25segmented_radix_sort_implINS0_14default_configELb1EPKdPdPKlPlN2at6native12_GLOBAL__N_18offset_tEEE10hipError_tPvRmT1_PNSt15iterator_traitsISY_E10value_typeET2_T3_PNSZ_IS14_E10value_typeET4_jRbjT5_S1A_jjP12ihipStream_tbEUljE_EEESV_SW_SX_S14_S18_S1A_T6_T7_T9_mT8_S1C_bDpT10_ENKUlT_T0_E_clISt17integral_constantIbLb1EES1P_EEDaS1K_S1L_EUlS1K_E_NS1_11comp_targetILNS1_3genE10ELNS1_11target_archE1200ELNS1_3gpuE4ELNS1_3repE0EEENS1_30default_config_static_selectorELNS0_4arch9wavefront6targetE0EEEvSY_
	.p2align	8
	.type	_ZN7rocprim17ROCPRIM_400000_NS6detail17trampoline_kernelINS0_13select_configILj256ELj13ELNS0_17block_load_methodE3ELS4_3ELS4_3ELNS0_20block_scan_algorithmE0ELj4294967295EEENS1_25partition_config_selectorILNS1_17partition_subalgoE3EjNS0_10empty_typeEbEEZZNS1_14partition_implILS8_3ELb0ES6_jNS0_17counting_iteratorIjlEEPS9_SE_NS0_5tupleIJPjSE_EEENSF_IJSE_SE_EEES9_SG_JZNS1_25segmented_radix_sort_implINS0_14default_configELb1EPKdPdPKlPlN2at6native12_GLOBAL__N_18offset_tEEE10hipError_tPvRmT1_PNSt15iterator_traitsISY_E10value_typeET2_T3_PNSZ_IS14_E10value_typeET4_jRbjT5_S1A_jjP12ihipStream_tbEUljE_EEESV_SW_SX_S14_S18_S1A_T6_T7_T9_mT8_S1C_bDpT10_ENKUlT_T0_E_clISt17integral_constantIbLb1EES1P_EEDaS1K_S1L_EUlS1K_E_NS1_11comp_targetILNS1_3genE10ELNS1_11target_archE1200ELNS1_3gpuE4ELNS1_3repE0EEENS1_30default_config_static_selectorELNS0_4arch9wavefront6targetE0EEEvSY_,@function
_ZN7rocprim17ROCPRIM_400000_NS6detail17trampoline_kernelINS0_13select_configILj256ELj13ELNS0_17block_load_methodE3ELS4_3ELS4_3ELNS0_20block_scan_algorithmE0ELj4294967295EEENS1_25partition_config_selectorILNS1_17partition_subalgoE3EjNS0_10empty_typeEbEEZZNS1_14partition_implILS8_3ELb0ES6_jNS0_17counting_iteratorIjlEEPS9_SE_NS0_5tupleIJPjSE_EEENSF_IJSE_SE_EEES9_SG_JZNS1_25segmented_radix_sort_implINS0_14default_configELb1EPKdPdPKlPlN2at6native12_GLOBAL__N_18offset_tEEE10hipError_tPvRmT1_PNSt15iterator_traitsISY_E10value_typeET2_T3_PNSZ_IS14_E10value_typeET4_jRbjT5_S1A_jjP12ihipStream_tbEUljE_EEESV_SW_SX_S14_S18_S1A_T6_T7_T9_mT8_S1C_bDpT10_ENKUlT_T0_E_clISt17integral_constantIbLb1EES1P_EEDaS1K_S1L_EUlS1K_E_NS1_11comp_targetILNS1_3genE10ELNS1_11target_archE1200ELNS1_3gpuE4ELNS1_3repE0EEENS1_30default_config_static_selectorELNS0_4arch9wavefront6targetE0EEEvSY_: ; @_ZN7rocprim17ROCPRIM_400000_NS6detail17trampoline_kernelINS0_13select_configILj256ELj13ELNS0_17block_load_methodE3ELS4_3ELS4_3ELNS0_20block_scan_algorithmE0ELj4294967295EEENS1_25partition_config_selectorILNS1_17partition_subalgoE3EjNS0_10empty_typeEbEEZZNS1_14partition_implILS8_3ELb0ES6_jNS0_17counting_iteratorIjlEEPS9_SE_NS0_5tupleIJPjSE_EEENSF_IJSE_SE_EEES9_SG_JZNS1_25segmented_radix_sort_implINS0_14default_configELb1EPKdPdPKlPlN2at6native12_GLOBAL__N_18offset_tEEE10hipError_tPvRmT1_PNSt15iterator_traitsISY_E10value_typeET2_T3_PNSZ_IS14_E10value_typeET4_jRbjT5_S1A_jjP12ihipStream_tbEUljE_EEESV_SW_SX_S14_S18_S1A_T6_T7_T9_mT8_S1C_bDpT10_ENKUlT_T0_E_clISt17integral_constantIbLb1EES1P_EEDaS1K_S1L_EUlS1K_E_NS1_11comp_targetILNS1_3genE10ELNS1_11target_archE1200ELNS1_3gpuE4ELNS1_3repE0EEENS1_30default_config_static_selectorELNS0_4arch9wavefront6targetE0EEEvSY_
; %bb.0:
	s_endpgm
	.section	.rodata,"a",@progbits
	.p2align	6, 0x0
	.amdhsa_kernel _ZN7rocprim17ROCPRIM_400000_NS6detail17trampoline_kernelINS0_13select_configILj256ELj13ELNS0_17block_load_methodE3ELS4_3ELS4_3ELNS0_20block_scan_algorithmE0ELj4294967295EEENS1_25partition_config_selectorILNS1_17partition_subalgoE3EjNS0_10empty_typeEbEEZZNS1_14partition_implILS8_3ELb0ES6_jNS0_17counting_iteratorIjlEEPS9_SE_NS0_5tupleIJPjSE_EEENSF_IJSE_SE_EEES9_SG_JZNS1_25segmented_radix_sort_implINS0_14default_configELb1EPKdPdPKlPlN2at6native12_GLOBAL__N_18offset_tEEE10hipError_tPvRmT1_PNSt15iterator_traitsISY_E10value_typeET2_T3_PNSZ_IS14_E10value_typeET4_jRbjT5_S1A_jjP12ihipStream_tbEUljE_EEESV_SW_SX_S14_S18_S1A_T6_T7_T9_mT8_S1C_bDpT10_ENKUlT_T0_E_clISt17integral_constantIbLb1EES1P_EEDaS1K_S1L_EUlS1K_E_NS1_11comp_targetILNS1_3genE10ELNS1_11target_archE1200ELNS1_3gpuE4ELNS1_3repE0EEENS1_30default_config_static_selectorELNS0_4arch9wavefront6targetE0EEEvSY_
		.amdhsa_group_segment_fixed_size 0
		.amdhsa_private_segment_fixed_size 0
		.amdhsa_kernarg_size 152
		.amdhsa_user_sgpr_count 2
		.amdhsa_user_sgpr_dispatch_ptr 0
		.amdhsa_user_sgpr_queue_ptr 0
		.amdhsa_user_sgpr_kernarg_segment_ptr 1
		.amdhsa_user_sgpr_dispatch_id 0
		.amdhsa_user_sgpr_private_segment_size 0
		.amdhsa_wavefront_size32 1
		.amdhsa_uses_dynamic_stack 0
		.amdhsa_enable_private_segment 0
		.amdhsa_system_sgpr_workgroup_id_x 1
		.amdhsa_system_sgpr_workgroup_id_y 0
		.amdhsa_system_sgpr_workgroup_id_z 0
		.amdhsa_system_sgpr_workgroup_info 0
		.amdhsa_system_vgpr_workitem_id 0
		.amdhsa_next_free_vgpr 1
		.amdhsa_next_free_sgpr 1
		.amdhsa_reserve_vcc 0
		.amdhsa_float_round_mode_32 0
		.amdhsa_float_round_mode_16_64 0
		.amdhsa_float_denorm_mode_32 3
		.amdhsa_float_denorm_mode_16_64 3
		.amdhsa_fp16_overflow 0
		.amdhsa_workgroup_processor_mode 1
		.amdhsa_memory_ordered 1
		.amdhsa_forward_progress 1
		.amdhsa_inst_pref_size 1
		.amdhsa_round_robin_scheduling 0
		.amdhsa_exception_fp_ieee_invalid_op 0
		.amdhsa_exception_fp_denorm_src 0
		.amdhsa_exception_fp_ieee_div_zero 0
		.amdhsa_exception_fp_ieee_overflow 0
		.amdhsa_exception_fp_ieee_underflow 0
		.amdhsa_exception_fp_ieee_inexact 0
		.amdhsa_exception_int_div_zero 0
	.end_amdhsa_kernel
	.section	.text._ZN7rocprim17ROCPRIM_400000_NS6detail17trampoline_kernelINS0_13select_configILj256ELj13ELNS0_17block_load_methodE3ELS4_3ELS4_3ELNS0_20block_scan_algorithmE0ELj4294967295EEENS1_25partition_config_selectorILNS1_17partition_subalgoE3EjNS0_10empty_typeEbEEZZNS1_14partition_implILS8_3ELb0ES6_jNS0_17counting_iteratorIjlEEPS9_SE_NS0_5tupleIJPjSE_EEENSF_IJSE_SE_EEES9_SG_JZNS1_25segmented_radix_sort_implINS0_14default_configELb1EPKdPdPKlPlN2at6native12_GLOBAL__N_18offset_tEEE10hipError_tPvRmT1_PNSt15iterator_traitsISY_E10value_typeET2_T3_PNSZ_IS14_E10value_typeET4_jRbjT5_S1A_jjP12ihipStream_tbEUljE_EEESV_SW_SX_S14_S18_S1A_T6_T7_T9_mT8_S1C_bDpT10_ENKUlT_T0_E_clISt17integral_constantIbLb1EES1P_EEDaS1K_S1L_EUlS1K_E_NS1_11comp_targetILNS1_3genE10ELNS1_11target_archE1200ELNS1_3gpuE4ELNS1_3repE0EEENS1_30default_config_static_selectorELNS0_4arch9wavefront6targetE0EEEvSY_,"axG",@progbits,_ZN7rocprim17ROCPRIM_400000_NS6detail17trampoline_kernelINS0_13select_configILj256ELj13ELNS0_17block_load_methodE3ELS4_3ELS4_3ELNS0_20block_scan_algorithmE0ELj4294967295EEENS1_25partition_config_selectorILNS1_17partition_subalgoE3EjNS0_10empty_typeEbEEZZNS1_14partition_implILS8_3ELb0ES6_jNS0_17counting_iteratorIjlEEPS9_SE_NS0_5tupleIJPjSE_EEENSF_IJSE_SE_EEES9_SG_JZNS1_25segmented_radix_sort_implINS0_14default_configELb1EPKdPdPKlPlN2at6native12_GLOBAL__N_18offset_tEEE10hipError_tPvRmT1_PNSt15iterator_traitsISY_E10value_typeET2_T3_PNSZ_IS14_E10value_typeET4_jRbjT5_S1A_jjP12ihipStream_tbEUljE_EEESV_SW_SX_S14_S18_S1A_T6_T7_T9_mT8_S1C_bDpT10_ENKUlT_T0_E_clISt17integral_constantIbLb1EES1P_EEDaS1K_S1L_EUlS1K_E_NS1_11comp_targetILNS1_3genE10ELNS1_11target_archE1200ELNS1_3gpuE4ELNS1_3repE0EEENS1_30default_config_static_selectorELNS0_4arch9wavefront6targetE0EEEvSY_,comdat
.Lfunc_end1099:
	.size	_ZN7rocprim17ROCPRIM_400000_NS6detail17trampoline_kernelINS0_13select_configILj256ELj13ELNS0_17block_load_methodE3ELS4_3ELS4_3ELNS0_20block_scan_algorithmE0ELj4294967295EEENS1_25partition_config_selectorILNS1_17partition_subalgoE3EjNS0_10empty_typeEbEEZZNS1_14partition_implILS8_3ELb0ES6_jNS0_17counting_iteratorIjlEEPS9_SE_NS0_5tupleIJPjSE_EEENSF_IJSE_SE_EEES9_SG_JZNS1_25segmented_radix_sort_implINS0_14default_configELb1EPKdPdPKlPlN2at6native12_GLOBAL__N_18offset_tEEE10hipError_tPvRmT1_PNSt15iterator_traitsISY_E10value_typeET2_T3_PNSZ_IS14_E10value_typeET4_jRbjT5_S1A_jjP12ihipStream_tbEUljE_EEESV_SW_SX_S14_S18_S1A_T6_T7_T9_mT8_S1C_bDpT10_ENKUlT_T0_E_clISt17integral_constantIbLb1EES1P_EEDaS1K_S1L_EUlS1K_E_NS1_11comp_targetILNS1_3genE10ELNS1_11target_archE1200ELNS1_3gpuE4ELNS1_3repE0EEENS1_30default_config_static_selectorELNS0_4arch9wavefront6targetE0EEEvSY_, .Lfunc_end1099-_ZN7rocprim17ROCPRIM_400000_NS6detail17trampoline_kernelINS0_13select_configILj256ELj13ELNS0_17block_load_methodE3ELS4_3ELS4_3ELNS0_20block_scan_algorithmE0ELj4294967295EEENS1_25partition_config_selectorILNS1_17partition_subalgoE3EjNS0_10empty_typeEbEEZZNS1_14partition_implILS8_3ELb0ES6_jNS0_17counting_iteratorIjlEEPS9_SE_NS0_5tupleIJPjSE_EEENSF_IJSE_SE_EEES9_SG_JZNS1_25segmented_radix_sort_implINS0_14default_configELb1EPKdPdPKlPlN2at6native12_GLOBAL__N_18offset_tEEE10hipError_tPvRmT1_PNSt15iterator_traitsISY_E10value_typeET2_T3_PNSZ_IS14_E10value_typeET4_jRbjT5_S1A_jjP12ihipStream_tbEUljE_EEESV_SW_SX_S14_S18_S1A_T6_T7_T9_mT8_S1C_bDpT10_ENKUlT_T0_E_clISt17integral_constantIbLb1EES1P_EEDaS1K_S1L_EUlS1K_E_NS1_11comp_targetILNS1_3genE10ELNS1_11target_archE1200ELNS1_3gpuE4ELNS1_3repE0EEENS1_30default_config_static_selectorELNS0_4arch9wavefront6targetE0EEEvSY_
                                        ; -- End function
	.set _ZN7rocprim17ROCPRIM_400000_NS6detail17trampoline_kernelINS0_13select_configILj256ELj13ELNS0_17block_load_methodE3ELS4_3ELS4_3ELNS0_20block_scan_algorithmE0ELj4294967295EEENS1_25partition_config_selectorILNS1_17partition_subalgoE3EjNS0_10empty_typeEbEEZZNS1_14partition_implILS8_3ELb0ES6_jNS0_17counting_iteratorIjlEEPS9_SE_NS0_5tupleIJPjSE_EEENSF_IJSE_SE_EEES9_SG_JZNS1_25segmented_radix_sort_implINS0_14default_configELb1EPKdPdPKlPlN2at6native12_GLOBAL__N_18offset_tEEE10hipError_tPvRmT1_PNSt15iterator_traitsISY_E10value_typeET2_T3_PNSZ_IS14_E10value_typeET4_jRbjT5_S1A_jjP12ihipStream_tbEUljE_EEESV_SW_SX_S14_S18_S1A_T6_T7_T9_mT8_S1C_bDpT10_ENKUlT_T0_E_clISt17integral_constantIbLb1EES1P_EEDaS1K_S1L_EUlS1K_E_NS1_11comp_targetILNS1_3genE10ELNS1_11target_archE1200ELNS1_3gpuE4ELNS1_3repE0EEENS1_30default_config_static_selectorELNS0_4arch9wavefront6targetE0EEEvSY_.num_vgpr, 0
	.set _ZN7rocprim17ROCPRIM_400000_NS6detail17trampoline_kernelINS0_13select_configILj256ELj13ELNS0_17block_load_methodE3ELS4_3ELS4_3ELNS0_20block_scan_algorithmE0ELj4294967295EEENS1_25partition_config_selectorILNS1_17partition_subalgoE3EjNS0_10empty_typeEbEEZZNS1_14partition_implILS8_3ELb0ES6_jNS0_17counting_iteratorIjlEEPS9_SE_NS0_5tupleIJPjSE_EEENSF_IJSE_SE_EEES9_SG_JZNS1_25segmented_radix_sort_implINS0_14default_configELb1EPKdPdPKlPlN2at6native12_GLOBAL__N_18offset_tEEE10hipError_tPvRmT1_PNSt15iterator_traitsISY_E10value_typeET2_T3_PNSZ_IS14_E10value_typeET4_jRbjT5_S1A_jjP12ihipStream_tbEUljE_EEESV_SW_SX_S14_S18_S1A_T6_T7_T9_mT8_S1C_bDpT10_ENKUlT_T0_E_clISt17integral_constantIbLb1EES1P_EEDaS1K_S1L_EUlS1K_E_NS1_11comp_targetILNS1_3genE10ELNS1_11target_archE1200ELNS1_3gpuE4ELNS1_3repE0EEENS1_30default_config_static_selectorELNS0_4arch9wavefront6targetE0EEEvSY_.num_agpr, 0
	.set _ZN7rocprim17ROCPRIM_400000_NS6detail17trampoline_kernelINS0_13select_configILj256ELj13ELNS0_17block_load_methodE3ELS4_3ELS4_3ELNS0_20block_scan_algorithmE0ELj4294967295EEENS1_25partition_config_selectorILNS1_17partition_subalgoE3EjNS0_10empty_typeEbEEZZNS1_14partition_implILS8_3ELb0ES6_jNS0_17counting_iteratorIjlEEPS9_SE_NS0_5tupleIJPjSE_EEENSF_IJSE_SE_EEES9_SG_JZNS1_25segmented_radix_sort_implINS0_14default_configELb1EPKdPdPKlPlN2at6native12_GLOBAL__N_18offset_tEEE10hipError_tPvRmT1_PNSt15iterator_traitsISY_E10value_typeET2_T3_PNSZ_IS14_E10value_typeET4_jRbjT5_S1A_jjP12ihipStream_tbEUljE_EEESV_SW_SX_S14_S18_S1A_T6_T7_T9_mT8_S1C_bDpT10_ENKUlT_T0_E_clISt17integral_constantIbLb1EES1P_EEDaS1K_S1L_EUlS1K_E_NS1_11comp_targetILNS1_3genE10ELNS1_11target_archE1200ELNS1_3gpuE4ELNS1_3repE0EEENS1_30default_config_static_selectorELNS0_4arch9wavefront6targetE0EEEvSY_.numbered_sgpr, 0
	.set _ZN7rocprim17ROCPRIM_400000_NS6detail17trampoline_kernelINS0_13select_configILj256ELj13ELNS0_17block_load_methodE3ELS4_3ELS4_3ELNS0_20block_scan_algorithmE0ELj4294967295EEENS1_25partition_config_selectorILNS1_17partition_subalgoE3EjNS0_10empty_typeEbEEZZNS1_14partition_implILS8_3ELb0ES6_jNS0_17counting_iteratorIjlEEPS9_SE_NS0_5tupleIJPjSE_EEENSF_IJSE_SE_EEES9_SG_JZNS1_25segmented_radix_sort_implINS0_14default_configELb1EPKdPdPKlPlN2at6native12_GLOBAL__N_18offset_tEEE10hipError_tPvRmT1_PNSt15iterator_traitsISY_E10value_typeET2_T3_PNSZ_IS14_E10value_typeET4_jRbjT5_S1A_jjP12ihipStream_tbEUljE_EEESV_SW_SX_S14_S18_S1A_T6_T7_T9_mT8_S1C_bDpT10_ENKUlT_T0_E_clISt17integral_constantIbLb1EES1P_EEDaS1K_S1L_EUlS1K_E_NS1_11comp_targetILNS1_3genE10ELNS1_11target_archE1200ELNS1_3gpuE4ELNS1_3repE0EEENS1_30default_config_static_selectorELNS0_4arch9wavefront6targetE0EEEvSY_.num_named_barrier, 0
	.set _ZN7rocprim17ROCPRIM_400000_NS6detail17trampoline_kernelINS0_13select_configILj256ELj13ELNS0_17block_load_methodE3ELS4_3ELS4_3ELNS0_20block_scan_algorithmE0ELj4294967295EEENS1_25partition_config_selectorILNS1_17partition_subalgoE3EjNS0_10empty_typeEbEEZZNS1_14partition_implILS8_3ELb0ES6_jNS0_17counting_iteratorIjlEEPS9_SE_NS0_5tupleIJPjSE_EEENSF_IJSE_SE_EEES9_SG_JZNS1_25segmented_radix_sort_implINS0_14default_configELb1EPKdPdPKlPlN2at6native12_GLOBAL__N_18offset_tEEE10hipError_tPvRmT1_PNSt15iterator_traitsISY_E10value_typeET2_T3_PNSZ_IS14_E10value_typeET4_jRbjT5_S1A_jjP12ihipStream_tbEUljE_EEESV_SW_SX_S14_S18_S1A_T6_T7_T9_mT8_S1C_bDpT10_ENKUlT_T0_E_clISt17integral_constantIbLb1EES1P_EEDaS1K_S1L_EUlS1K_E_NS1_11comp_targetILNS1_3genE10ELNS1_11target_archE1200ELNS1_3gpuE4ELNS1_3repE0EEENS1_30default_config_static_selectorELNS0_4arch9wavefront6targetE0EEEvSY_.private_seg_size, 0
	.set _ZN7rocprim17ROCPRIM_400000_NS6detail17trampoline_kernelINS0_13select_configILj256ELj13ELNS0_17block_load_methodE3ELS4_3ELS4_3ELNS0_20block_scan_algorithmE0ELj4294967295EEENS1_25partition_config_selectorILNS1_17partition_subalgoE3EjNS0_10empty_typeEbEEZZNS1_14partition_implILS8_3ELb0ES6_jNS0_17counting_iteratorIjlEEPS9_SE_NS0_5tupleIJPjSE_EEENSF_IJSE_SE_EEES9_SG_JZNS1_25segmented_radix_sort_implINS0_14default_configELb1EPKdPdPKlPlN2at6native12_GLOBAL__N_18offset_tEEE10hipError_tPvRmT1_PNSt15iterator_traitsISY_E10value_typeET2_T3_PNSZ_IS14_E10value_typeET4_jRbjT5_S1A_jjP12ihipStream_tbEUljE_EEESV_SW_SX_S14_S18_S1A_T6_T7_T9_mT8_S1C_bDpT10_ENKUlT_T0_E_clISt17integral_constantIbLb1EES1P_EEDaS1K_S1L_EUlS1K_E_NS1_11comp_targetILNS1_3genE10ELNS1_11target_archE1200ELNS1_3gpuE4ELNS1_3repE0EEENS1_30default_config_static_selectorELNS0_4arch9wavefront6targetE0EEEvSY_.uses_vcc, 0
	.set _ZN7rocprim17ROCPRIM_400000_NS6detail17trampoline_kernelINS0_13select_configILj256ELj13ELNS0_17block_load_methodE3ELS4_3ELS4_3ELNS0_20block_scan_algorithmE0ELj4294967295EEENS1_25partition_config_selectorILNS1_17partition_subalgoE3EjNS0_10empty_typeEbEEZZNS1_14partition_implILS8_3ELb0ES6_jNS0_17counting_iteratorIjlEEPS9_SE_NS0_5tupleIJPjSE_EEENSF_IJSE_SE_EEES9_SG_JZNS1_25segmented_radix_sort_implINS0_14default_configELb1EPKdPdPKlPlN2at6native12_GLOBAL__N_18offset_tEEE10hipError_tPvRmT1_PNSt15iterator_traitsISY_E10value_typeET2_T3_PNSZ_IS14_E10value_typeET4_jRbjT5_S1A_jjP12ihipStream_tbEUljE_EEESV_SW_SX_S14_S18_S1A_T6_T7_T9_mT8_S1C_bDpT10_ENKUlT_T0_E_clISt17integral_constantIbLb1EES1P_EEDaS1K_S1L_EUlS1K_E_NS1_11comp_targetILNS1_3genE10ELNS1_11target_archE1200ELNS1_3gpuE4ELNS1_3repE0EEENS1_30default_config_static_selectorELNS0_4arch9wavefront6targetE0EEEvSY_.uses_flat_scratch, 0
	.set _ZN7rocprim17ROCPRIM_400000_NS6detail17trampoline_kernelINS0_13select_configILj256ELj13ELNS0_17block_load_methodE3ELS4_3ELS4_3ELNS0_20block_scan_algorithmE0ELj4294967295EEENS1_25partition_config_selectorILNS1_17partition_subalgoE3EjNS0_10empty_typeEbEEZZNS1_14partition_implILS8_3ELb0ES6_jNS0_17counting_iteratorIjlEEPS9_SE_NS0_5tupleIJPjSE_EEENSF_IJSE_SE_EEES9_SG_JZNS1_25segmented_radix_sort_implINS0_14default_configELb1EPKdPdPKlPlN2at6native12_GLOBAL__N_18offset_tEEE10hipError_tPvRmT1_PNSt15iterator_traitsISY_E10value_typeET2_T3_PNSZ_IS14_E10value_typeET4_jRbjT5_S1A_jjP12ihipStream_tbEUljE_EEESV_SW_SX_S14_S18_S1A_T6_T7_T9_mT8_S1C_bDpT10_ENKUlT_T0_E_clISt17integral_constantIbLb1EES1P_EEDaS1K_S1L_EUlS1K_E_NS1_11comp_targetILNS1_3genE10ELNS1_11target_archE1200ELNS1_3gpuE4ELNS1_3repE0EEENS1_30default_config_static_selectorELNS0_4arch9wavefront6targetE0EEEvSY_.has_dyn_sized_stack, 0
	.set _ZN7rocprim17ROCPRIM_400000_NS6detail17trampoline_kernelINS0_13select_configILj256ELj13ELNS0_17block_load_methodE3ELS4_3ELS4_3ELNS0_20block_scan_algorithmE0ELj4294967295EEENS1_25partition_config_selectorILNS1_17partition_subalgoE3EjNS0_10empty_typeEbEEZZNS1_14partition_implILS8_3ELb0ES6_jNS0_17counting_iteratorIjlEEPS9_SE_NS0_5tupleIJPjSE_EEENSF_IJSE_SE_EEES9_SG_JZNS1_25segmented_radix_sort_implINS0_14default_configELb1EPKdPdPKlPlN2at6native12_GLOBAL__N_18offset_tEEE10hipError_tPvRmT1_PNSt15iterator_traitsISY_E10value_typeET2_T3_PNSZ_IS14_E10value_typeET4_jRbjT5_S1A_jjP12ihipStream_tbEUljE_EEESV_SW_SX_S14_S18_S1A_T6_T7_T9_mT8_S1C_bDpT10_ENKUlT_T0_E_clISt17integral_constantIbLb1EES1P_EEDaS1K_S1L_EUlS1K_E_NS1_11comp_targetILNS1_3genE10ELNS1_11target_archE1200ELNS1_3gpuE4ELNS1_3repE0EEENS1_30default_config_static_selectorELNS0_4arch9wavefront6targetE0EEEvSY_.has_recursion, 0
	.set _ZN7rocprim17ROCPRIM_400000_NS6detail17trampoline_kernelINS0_13select_configILj256ELj13ELNS0_17block_load_methodE3ELS4_3ELS4_3ELNS0_20block_scan_algorithmE0ELj4294967295EEENS1_25partition_config_selectorILNS1_17partition_subalgoE3EjNS0_10empty_typeEbEEZZNS1_14partition_implILS8_3ELb0ES6_jNS0_17counting_iteratorIjlEEPS9_SE_NS0_5tupleIJPjSE_EEENSF_IJSE_SE_EEES9_SG_JZNS1_25segmented_radix_sort_implINS0_14default_configELb1EPKdPdPKlPlN2at6native12_GLOBAL__N_18offset_tEEE10hipError_tPvRmT1_PNSt15iterator_traitsISY_E10value_typeET2_T3_PNSZ_IS14_E10value_typeET4_jRbjT5_S1A_jjP12ihipStream_tbEUljE_EEESV_SW_SX_S14_S18_S1A_T6_T7_T9_mT8_S1C_bDpT10_ENKUlT_T0_E_clISt17integral_constantIbLb1EES1P_EEDaS1K_S1L_EUlS1K_E_NS1_11comp_targetILNS1_3genE10ELNS1_11target_archE1200ELNS1_3gpuE4ELNS1_3repE0EEENS1_30default_config_static_selectorELNS0_4arch9wavefront6targetE0EEEvSY_.has_indirect_call, 0
	.section	.AMDGPU.csdata,"",@progbits
; Kernel info:
; codeLenInByte = 4
; TotalNumSgprs: 0
; NumVgprs: 0
; ScratchSize: 0
; MemoryBound: 0
; FloatMode: 240
; IeeeMode: 1
; LDSByteSize: 0 bytes/workgroup (compile time only)
; SGPRBlocks: 0
; VGPRBlocks: 0
; NumSGPRsForWavesPerEU: 1
; NumVGPRsForWavesPerEU: 1
; Occupancy: 16
; WaveLimiterHint : 0
; COMPUTE_PGM_RSRC2:SCRATCH_EN: 0
; COMPUTE_PGM_RSRC2:USER_SGPR: 2
; COMPUTE_PGM_RSRC2:TRAP_HANDLER: 0
; COMPUTE_PGM_RSRC2:TGID_X_EN: 1
; COMPUTE_PGM_RSRC2:TGID_Y_EN: 0
; COMPUTE_PGM_RSRC2:TGID_Z_EN: 0
; COMPUTE_PGM_RSRC2:TIDIG_COMP_CNT: 0
	.section	.text._ZN7rocprim17ROCPRIM_400000_NS6detail17trampoline_kernelINS0_13select_configILj256ELj13ELNS0_17block_load_methodE3ELS4_3ELS4_3ELNS0_20block_scan_algorithmE0ELj4294967295EEENS1_25partition_config_selectorILNS1_17partition_subalgoE3EjNS0_10empty_typeEbEEZZNS1_14partition_implILS8_3ELb0ES6_jNS0_17counting_iteratorIjlEEPS9_SE_NS0_5tupleIJPjSE_EEENSF_IJSE_SE_EEES9_SG_JZNS1_25segmented_radix_sort_implINS0_14default_configELb1EPKdPdPKlPlN2at6native12_GLOBAL__N_18offset_tEEE10hipError_tPvRmT1_PNSt15iterator_traitsISY_E10value_typeET2_T3_PNSZ_IS14_E10value_typeET4_jRbjT5_S1A_jjP12ihipStream_tbEUljE_EEESV_SW_SX_S14_S18_S1A_T6_T7_T9_mT8_S1C_bDpT10_ENKUlT_T0_E_clISt17integral_constantIbLb1EES1P_EEDaS1K_S1L_EUlS1K_E_NS1_11comp_targetILNS1_3genE9ELNS1_11target_archE1100ELNS1_3gpuE3ELNS1_3repE0EEENS1_30default_config_static_selectorELNS0_4arch9wavefront6targetE0EEEvSY_,"axG",@progbits,_ZN7rocprim17ROCPRIM_400000_NS6detail17trampoline_kernelINS0_13select_configILj256ELj13ELNS0_17block_load_methodE3ELS4_3ELS4_3ELNS0_20block_scan_algorithmE0ELj4294967295EEENS1_25partition_config_selectorILNS1_17partition_subalgoE3EjNS0_10empty_typeEbEEZZNS1_14partition_implILS8_3ELb0ES6_jNS0_17counting_iteratorIjlEEPS9_SE_NS0_5tupleIJPjSE_EEENSF_IJSE_SE_EEES9_SG_JZNS1_25segmented_radix_sort_implINS0_14default_configELb1EPKdPdPKlPlN2at6native12_GLOBAL__N_18offset_tEEE10hipError_tPvRmT1_PNSt15iterator_traitsISY_E10value_typeET2_T3_PNSZ_IS14_E10value_typeET4_jRbjT5_S1A_jjP12ihipStream_tbEUljE_EEESV_SW_SX_S14_S18_S1A_T6_T7_T9_mT8_S1C_bDpT10_ENKUlT_T0_E_clISt17integral_constantIbLb1EES1P_EEDaS1K_S1L_EUlS1K_E_NS1_11comp_targetILNS1_3genE9ELNS1_11target_archE1100ELNS1_3gpuE3ELNS1_3repE0EEENS1_30default_config_static_selectorELNS0_4arch9wavefront6targetE0EEEvSY_,comdat
	.globl	_ZN7rocprim17ROCPRIM_400000_NS6detail17trampoline_kernelINS0_13select_configILj256ELj13ELNS0_17block_load_methodE3ELS4_3ELS4_3ELNS0_20block_scan_algorithmE0ELj4294967295EEENS1_25partition_config_selectorILNS1_17partition_subalgoE3EjNS0_10empty_typeEbEEZZNS1_14partition_implILS8_3ELb0ES6_jNS0_17counting_iteratorIjlEEPS9_SE_NS0_5tupleIJPjSE_EEENSF_IJSE_SE_EEES9_SG_JZNS1_25segmented_radix_sort_implINS0_14default_configELb1EPKdPdPKlPlN2at6native12_GLOBAL__N_18offset_tEEE10hipError_tPvRmT1_PNSt15iterator_traitsISY_E10value_typeET2_T3_PNSZ_IS14_E10value_typeET4_jRbjT5_S1A_jjP12ihipStream_tbEUljE_EEESV_SW_SX_S14_S18_S1A_T6_T7_T9_mT8_S1C_bDpT10_ENKUlT_T0_E_clISt17integral_constantIbLb1EES1P_EEDaS1K_S1L_EUlS1K_E_NS1_11comp_targetILNS1_3genE9ELNS1_11target_archE1100ELNS1_3gpuE3ELNS1_3repE0EEENS1_30default_config_static_selectorELNS0_4arch9wavefront6targetE0EEEvSY_ ; -- Begin function _ZN7rocprim17ROCPRIM_400000_NS6detail17trampoline_kernelINS0_13select_configILj256ELj13ELNS0_17block_load_methodE3ELS4_3ELS4_3ELNS0_20block_scan_algorithmE0ELj4294967295EEENS1_25partition_config_selectorILNS1_17partition_subalgoE3EjNS0_10empty_typeEbEEZZNS1_14partition_implILS8_3ELb0ES6_jNS0_17counting_iteratorIjlEEPS9_SE_NS0_5tupleIJPjSE_EEENSF_IJSE_SE_EEES9_SG_JZNS1_25segmented_radix_sort_implINS0_14default_configELb1EPKdPdPKlPlN2at6native12_GLOBAL__N_18offset_tEEE10hipError_tPvRmT1_PNSt15iterator_traitsISY_E10value_typeET2_T3_PNSZ_IS14_E10value_typeET4_jRbjT5_S1A_jjP12ihipStream_tbEUljE_EEESV_SW_SX_S14_S18_S1A_T6_T7_T9_mT8_S1C_bDpT10_ENKUlT_T0_E_clISt17integral_constantIbLb1EES1P_EEDaS1K_S1L_EUlS1K_E_NS1_11comp_targetILNS1_3genE9ELNS1_11target_archE1100ELNS1_3gpuE3ELNS1_3repE0EEENS1_30default_config_static_selectorELNS0_4arch9wavefront6targetE0EEEvSY_
	.p2align	8
	.type	_ZN7rocprim17ROCPRIM_400000_NS6detail17trampoline_kernelINS0_13select_configILj256ELj13ELNS0_17block_load_methodE3ELS4_3ELS4_3ELNS0_20block_scan_algorithmE0ELj4294967295EEENS1_25partition_config_selectorILNS1_17partition_subalgoE3EjNS0_10empty_typeEbEEZZNS1_14partition_implILS8_3ELb0ES6_jNS0_17counting_iteratorIjlEEPS9_SE_NS0_5tupleIJPjSE_EEENSF_IJSE_SE_EEES9_SG_JZNS1_25segmented_radix_sort_implINS0_14default_configELb1EPKdPdPKlPlN2at6native12_GLOBAL__N_18offset_tEEE10hipError_tPvRmT1_PNSt15iterator_traitsISY_E10value_typeET2_T3_PNSZ_IS14_E10value_typeET4_jRbjT5_S1A_jjP12ihipStream_tbEUljE_EEESV_SW_SX_S14_S18_S1A_T6_T7_T9_mT8_S1C_bDpT10_ENKUlT_T0_E_clISt17integral_constantIbLb1EES1P_EEDaS1K_S1L_EUlS1K_E_NS1_11comp_targetILNS1_3genE9ELNS1_11target_archE1100ELNS1_3gpuE3ELNS1_3repE0EEENS1_30default_config_static_selectorELNS0_4arch9wavefront6targetE0EEEvSY_,@function
_ZN7rocprim17ROCPRIM_400000_NS6detail17trampoline_kernelINS0_13select_configILj256ELj13ELNS0_17block_load_methodE3ELS4_3ELS4_3ELNS0_20block_scan_algorithmE0ELj4294967295EEENS1_25partition_config_selectorILNS1_17partition_subalgoE3EjNS0_10empty_typeEbEEZZNS1_14partition_implILS8_3ELb0ES6_jNS0_17counting_iteratorIjlEEPS9_SE_NS0_5tupleIJPjSE_EEENSF_IJSE_SE_EEES9_SG_JZNS1_25segmented_radix_sort_implINS0_14default_configELb1EPKdPdPKlPlN2at6native12_GLOBAL__N_18offset_tEEE10hipError_tPvRmT1_PNSt15iterator_traitsISY_E10value_typeET2_T3_PNSZ_IS14_E10value_typeET4_jRbjT5_S1A_jjP12ihipStream_tbEUljE_EEESV_SW_SX_S14_S18_S1A_T6_T7_T9_mT8_S1C_bDpT10_ENKUlT_T0_E_clISt17integral_constantIbLb1EES1P_EEDaS1K_S1L_EUlS1K_E_NS1_11comp_targetILNS1_3genE9ELNS1_11target_archE1100ELNS1_3gpuE3ELNS1_3repE0EEENS1_30default_config_static_selectorELNS0_4arch9wavefront6targetE0EEEvSY_: ; @_ZN7rocprim17ROCPRIM_400000_NS6detail17trampoline_kernelINS0_13select_configILj256ELj13ELNS0_17block_load_methodE3ELS4_3ELS4_3ELNS0_20block_scan_algorithmE0ELj4294967295EEENS1_25partition_config_selectorILNS1_17partition_subalgoE3EjNS0_10empty_typeEbEEZZNS1_14partition_implILS8_3ELb0ES6_jNS0_17counting_iteratorIjlEEPS9_SE_NS0_5tupleIJPjSE_EEENSF_IJSE_SE_EEES9_SG_JZNS1_25segmented_radix_sort_implINS0_14default_configELb1EPKdPdPKlPlN2at6native12_GLOBAL__N_18offset_tEEE10hipError_tPvRmT1_PNSt15iterator_traitsISY_E10value_typeET2_T3_PNSZ_IS14_E10value_typeET4_jRbjT5_S1A_jjP12ihipStream_tbEUljE_EEESV_SW_SX_S14_S18_S1A_T6_T7_T9_mT8_S1C_bDpT10_ENKUlT_T0_E_clISt17integral_constantIbLb1EES1P_EEDaS1K_S1L_EUlS1K_E_NS1_11comp_targetILNS1_3genE9ELNS1_11target_archE1100ELNS1_3gpuE3ELNS1_3repE0EEENS1_30default_config_static_selectorELNS0_4arch9wavefront6targetE0EEEvSY_
; %bb.0:
	.section	.rodata,"a",@progbits
	.p2align	6, 0x0
	.amdhsa_kernel _ZN7rocprim17ROCPRIM_400000_NS6detail17trampoline_kernelINS0_13select_configILj256ELj13ELNS0_17block_load_methodE3ELS4_3ELS4_3ELNS0_20block_scan_algorithmE0ELj4294967295EEENS1_25partition_config_selectorILNS1_17partition_subalgoE3EjNS0_10empty_typeEbEEZZNS1_14partition_implILS8_3ELb0ES6_jNS0_17counting_iteratorIjlEEPS9_SE_NS0_5tupleIJPjSE_EEENSF_IJSE_SE_EEES9_SG_JZNS1_25segmented_radix_sort_implINS0_14default_configELb1EPKdPdPKlPlN2at6native12_GLOBAL__N_18offset_tEEE10hipError_tPvRmT1_PNSt15iterator_traitsISY_E10value_typeET2_T3_PNSZ_IS14_E10value_typeET4_jRbjT5_S1A_jjP12ihipStream_tbEUljE_EEESV_SW_SX_S14_S18_S1A_T6_T7_T9_mT8_S1C_bDpT10_ENKUlT_T0_E_clISt17integral_constantIbLb1EES1P_EEDaS1K_S1L_EUlS1K_E_NS1_11comp_targetILNS1_3genE9ELNS1_11target_archE1100ELNS1_3gpuE3ELNS1_3repE0EEENS1_30default_config_static_selectorELNS0_4arch9wavefront6targetE0EEEvSY_
		.amdhsa_group_segment_fixed_size 0
		.amdhsa_private_segment_fixed_size 0
		.amdhsa_kernarg_size 152
		.amdhsa_user_sgpr_count 2
		.amdhsa_user_sgpr_dispatch_ptr 0
		.amdhsa_user_sgpr_queue_ptr 0
		.amdhsa_user_sgpr_kernarg_segment_ptr 1
		.amdhsa_user_sgpr_dispatch_id 0
		.amdhsa_user_sgpr_private_segment_size 0
		.amdhsa_wavefront_size32 1
		.amdhsa_uses_dynamic_stack 0
		.amdhsa_enable_private_segment 0
		.amdhsa_system_sgpr_workgroup_id_x 1
		.amdhsa_system_sgpr_workgroup_id_y 0
		.amdhsa_system_sgpr_workgroup_id_z 0
		.amdhsa_system_sgpr_workgroup_info 0
		.amdhsa_system_vgpr_workitem_id 0
		.amdhsa_next_free_vgpr 1
		.amdhsa_next_free_sgpr 1
		.amdhsa_reserve_vcc 0
		.amdhsa_float_round_mode_32 0
		.amdhsa_float_round_mode_16_64 0
		.amdhsa_float_denorm_mode_32 3
		.amdhsa_float_denorm_mode_16_64 3
		.amdhsa_fp16_overflow 0
		.amdhsa_workgroup_processor_mode 1
		.amdhsa_memory_ordered 1
		.amdhsa_forward_progress 1
		.amdhsa_inst_pref_size 0
		.amdhsa_round_robin_scheduling 0
		.amdhsa_exception_fp_ieee_invalid_op 0
		.amdhsa_exception_fp_denorm_src 0
		.amdhsa_exception_fp_ieee_div_zero 0
		.amdhsa_exception_fp_ieee_overflow 0
		.amdhsa_exception_fp_ieee_underflow 0
		.amdhsa_exception_fp_ieee_inexact 0
		.amdhsa_exception_int_div_zero 0
	.end_amdhsa_kernel
	.section	.text._ZN7rocprim17ROCPRIM_400000_NS6detail17trampoline_kernelINS0_13select_configILj256ELj13ELNS0_17block_load_methodE3ELS4_3ELS4_3ELNS0_20block_scan_algorithmE0ELj4294967295EEENS1_25partition_config_selectorILNS1_17partition_subalgoE3EjNS0_10empty_typeEbEEZZNS1_14partition_implILS8_3ELb0ES6_jNS0_17counting_iteratorIjlEEPS9_SE_NS0_5tupleIJPjSE_EEENSF_IJSE_SE_EEES9_SG_JZNS1_25segmented_radix_sort_implINS0_14default_configELb1EPKdPdPKlPlN2at6native12_GLOBAL__N_18offset_tEEE10hipError_tPvRmT1_PNSt15iterator_traitsISY_E10value_typeET2_T3_PNSZ_IS14_E10value_typeET4_jRbjT5_S1A_jjP12ihipStream_tbEUljE_EEESV_SW_SX_S14_S18_S1A_T6_T7_T9_mT8_S1C_bDpT10_ENKUlT_T0_E_clISt17integral_constantIbLb1EES1P_EEDaS1K_S1L_EUlS1K_E_NS1_11comp_targetILNS1_3genE9ELNS1_11target_archE1100ELNS1_3gpuE3ELNS1_3repE0EEENS1_30default_config_static_selectorELNS0_4arch9wavefront6targetE0EEEvSY_,"axG",@progbits,_ZN7rocprim17ROCPRIM_400000_NS6detail17trampoline_kernelINS0_13select_configILj256ELj13ELNS0_17block_load_methodE3ELS4_3ELS4_3ELNS0_20block_scan_algorithmE0ELj4294967295EEENS1_25partition_config_selectorILNS1_17partition_subalgoE3EjNS0_10empty_typeEbEEZZNS1_14partition_implILS8_3ELb0ES6_jNS0_17counting_iteratorIjlEEPS9_SE_NS0_5tupleIJPjSE_EEENSF_IJSE_SE_EEES9_SG_JZNS1_25segmented_radix_sort_implINS0_14default_configELb1EPKdPdPKlPlN2at6native12_GLOBAL__N_18offset_tEEE10hipError_tPvRmT1_PNSt15iterator_traitsISY_E10value_typeET2_T3_PNSZ_IS14_E10value_typeET4_jRbjT5_S1A_jjP12ihipStream_tbEUljE_EEESV_SW_SX_S14_S18_S1A_T6_T7_T9_mT8_S1C_bDpT10_ENKUlT_T0_E_clISt17integral_constantIbLb1EES1P_EEDaS1K_S1L_EUlS1K_E_NS1_11comp_targetILNS1_3genE9ELNS1_11target_archE1100ELNS1_3gpuE3ELNS1_3repE0EEENS1_30default_config_static_selectorELNS0_4arch9wavefront6targetE0EEEvSY_,comdat
.Lfunc_end1100:
	.size	_ZN7rocprim17ROCPRIM_400000_NS6detail17trampoline_kernelINS0_13select_configILj256ELj13ELNS0_17block_load_methodE3ELS4_3ELS4_3ELNS0_20block_scan_algorithmE0ELj4294967295EEENS1_25partition_config_selectorILNS1_17partition_subalgoE3EjNS0_10empty_typeEbEEZZNS1_14partition_implILS8_3ELb0ES6_jNS0_17counting_iteratorIjlEEPS9_SE_NS0_5tupleIJPjSE_EEENSF_IJSE_SE_EEES9_SG_JZNS1_25segmented_radix_sort_implINS0_14default_configELb1EPKdPdPKlPlN2at6native12_GLOBAL__N_18offset_tEEE10hipError_tPvRmT1_PNSt15iterator_traitsISY_E10value_typeET2_T3_PNSZ_IS14_E10value_typeET4_jRbjT5_S1A_jjP12ihipStream_tbEUljE_EEESV_SW_SX_S14_S18_S1A_T6_T7_T9_mT8_S1C_bDpT10_ENKUlT_T0_E_clISt17integral_constantIbLb1EES1P_EEDaS1K_S1L_EUlS1K_E_NS1_11comp_targetILNS1_3genE9ELNS1_11target_archE1100ELNS1_3gpuE3ELNS1_3repE0EEENS1_30default_config_static_selectorELNS0_4arch9wavefront6targetE0EEEvSY_, .Lfunc_end1100-_ZN7rocprim17ROCPRIM_400000_NS6detail17trampoline_kernelINS0_13select_configILj256ELj13ELNS0_17block_load_methodE3ELS4_3ELS4_3ELNS0_20block_scan_algorithmE0ELj4294967295EEENS1_25partition_config_selectorILNS1_17partition_subalgoE3EjNS0_10empty_typeEbEEZZNS1_14partition_implILS8_3ELb0ES6_jNS0_17counting_iteratorIjlEEPS9_SE_NS0_5tupleIJPjSE_EEENSF_IJSE_SE_EEES9_SG_JZNS1_25segmented_radix_sort_implINS0_14default_configELb1EPKdPdPKlPlN2at6native12_GLOBAL__N_18offset_tEEE10hipError_tPvRmT1_PNSt15iterator_traitsISY_E10value_typeET2_T3_PNSZ_IS14_E10value_typeET4_jRbjT5_S1A_jjP12ihipStream_tbEUljE_EEESV_SW_SX_S14_S18_S1A_T6_T7_T9_mT8_S1C_bDpT10_ENKUlT_T0_E_clISt17integral_constantIbLb1EES1P_EEDaS1K_S1L_EUlS1K_E_NS1_11comp_targetILNS1_3genE9ELNS1_11target_archE1100ELNS1_3gpuE3ELNS1_3repE0EEENS1_30default_config_static_selectorELNS0_4arch9wavefront6targetE0EEEvSY_
                                        ; -- End function
	.set _ZN7rocprim17ROCPRIM_400000_NS6detail17trampoline_kernelINS0_13select_configILj256ELj13ELNS0_17block_load_methodE3ELS4_3ELS4_3ELNS0_20block_scan_algorithmE0ELj4294967295EEENS1_25partition_config_selectorILNS1_17partition_subalgoE3EjNS0_10empty_typeEbEEZZNS1_14partition_implILS8_3ELb0ES6_jNS0_17counting_iteratorIjlEEPS9_SE_NS0_5tupleIJPjSE_EEENSF_IJSE_SE_EEES9_SG_JZNS1_25segmented_radix_sort_implINS0_14default_configELb1EPKdPdPKlPlN2at6native12_GLOBAL__N_18offset_tEEE10hipError_tPvRmT1_PNSt15iterator_traitsISY_E10value_typeET2_T3_PNSZ_IS14_E10value_typeET4_jRbjT5_S1A_jjP12ihipStream_tbEUljE_EEESV_SW_SX_S14_S18_S1A_T6_T7_T9_mT8_S1C_bDpT10_ENKUlT_T0_E_clISt17integral_constantIbLb1EES1P_EEDaS1K_S1L_EUlS1K_E_NS1_11comp_targetILNS1_3genE9ELNS1_11target_archE1100ELNS1_3gpuE3ELNS1_3repE0EEENS1_30default_config_static_selectorELNS0_4arch9wavefront6targetE0EEEvSY_.num_vgpr, 0
	.set _ZN7rocprim17ROCPRIM_400000_NS6detail17trampoline_kernelINS0_13select_configILj256ELj13ELNS0_17block_load_methodE3ELS4_3ELS4_3ELNS0_20block_scan_algorithmE0ELj4294967295EEENS1_25partition_config_selectorILNS1_17partition_subalgoE3EjNS0_10empty_typeEbEEZZNS1_14partition_implILS8_3ELb0ES6_jNS0_17counting_iteratorIjlEEPS9_SE_NS0_5tupleIJPjSE_EEENSF_IJSE_SE_EEES9_SG_JZNS1_25segmented_radix_sort_implINS0_14default_configELb1EPKdPdPKlPlN2at6native12_GLOBAL__N_18offset_tEEE10hipError_tPvRmT1_PNSt15iterator_traitsISY_E10value_typeET2_T3_PNSZ_IS14_E10value_typeET4_jRbjT5_S1A_jjP12ihipStream_tbEUljE_EEESV_SW_SX_S14_S18_S1A_T6_T7_T9_mT8_S1C_bDpT10_ENKUlT_T0_E_clISt17integral_constantIbLb1EES1P_EEDaS1K_S1L_EUlS1K_E_NS1_11comp_targetILNS1_3genE9ELNS1_11target_archE1100ELNS1_3gpuE3ELNS1_3repE0EEENS1_30default_config_static_selectorELNS0_4arch9wavefront6targetE0EEEvSY_.num_agpr, 0
	.set _ZN7rocprim17ROCPRIM_400000_NS6detail17trampoline_kernelINS0_13select_configILj256ELj13ELNS0_17block_load_methodE3ELS4_3ELS4_3ELNS0_20block_scan_algorithmE0ELj4294967295EEENS1_25partition_config_selectorILNS1_17partition_subalgoE3EjNS0_10empty_typeEbEEZZNS1_14partition_implILS8_3ELb0ES6_jNS0_17counting_iteratorIjlEEPS9_SE_NS0_5tupleIJPjSE_EEENSF_IJSE_SE_EEES9_SG_JZNS1_25segmented_radix_sort_implINS0_14default_configELb1EPKdPdPKlPlN2at6native12_GLOBAL__N_18offset_tEEE10hipError_tPvRmT1_PNSt15iterator_traitsISY_E10value_typeET2_T3_PNSZ_IS14_E10value_typeET4_jRbjT5_S1A_jjP12ihipStream_tbEUljE_EEESV_SW_SX_S14_S18_S1A_T6_T7_T9_mT8_S1C_bDpT10_ENKUlT_T0_E_clISt17integral_constantIbLb1EES1P_EEDaS1K_S1L_EUlS1K_E_NS1_11comp_targetILNS1_3genE9ELNS1_11target_archE1100ELNS1_3gpuE3ELNS1_3repE0EEENS1_30default_config_static_selectorELNS0_4arch9wavefront6targetE0EEEvSY_.numbered_sgpr, 0
	.set _ZN7rocprim17ROCPRIM_400000_NS6detail17trampoline_kernelINS0_13select_configILj256ELj13ELNS0_17block_load_methodE3ELS4_3ELS4_3ELNS0_20block_scan_algorithmE0ELj4294967295EEENS1_25partition_config_selectorILNS1_17partition_subalgoE3EjNS0_10empty_typeEbEEZZNS1_14partition_implILS8_3ELb0ES6_jNS0_17counting_iteratorIjlEEPS9_SE_NS0_5tupleIJPjSE_EEENSF_IJSE_SE_EEES9_SG_JZNS1_25segmented_radix_sort_implINS0_14default_configELb1EPKdPdPKlPlN2at6native12_GLOBAL__N_18offset_tEEE10hipError_tPvRmT1_PNSt15iterator_traitsISY_E10value_typeET2_T3_PNSZ_IS14_E10value_typeET4_jRbjT5_S1A_jjP12ihipStream_tbEUljE_EEESV_SW_SX_S14_S18_S1A_T6_T7_T9_mT8_S1C_bDpT10_ENKUlT_T0_E_clISt17integral_constantIbLb1EES1P_EEDaS1K_S1L_EUlS1K_E_NS1_11comp_targetILNS1_3genE9ELNS1_11target_archE1100ELNS1_3gpuE3ELNS1_3repE0EEENS1_30default_config_static_selectorELNS0_4arch9wavefront6targetE0EEEvSY_.num_named_barrier, 0
	.set _ZN7rocprim17ROCPRIM_400000_NS6detail17trampoline_kernelINS0_13select_configILj256ELj13ELNS0_17block_load_methodE3ELS4_3ELS4_3ELNS0_20block_scan_algorithmE0ELj4294967295EEENS1_25partition_config_selectorILNS1_17partition_subalgoE3EjNS0_10empty_typeEbEEZZNS1_14partition_implILS8_3ELb0ES6_jNS0_17counting_iteratorIjlEEPS9_SE_NS0_5tupleIJPjSE_EEENSF_IJSE_SE_EEES9_SG_JZNS1_25segmented_radix_sort_implINS0_14default_configELb1EPKdPdPKlPlN2at6native12_GLOBAL__N_18offset_tEEE10hipError_tPvRmT1_PNSt15iterator_traitsISY_E10value_typeET2_T3_PNSZ_IS14_E10value_typeET4_jRbjT5_S1A_jjP12ihipStream_tbEUljE_EEESV_SW_SX_S14_S18_S1A_T6_T7_T9_mT8_S1C_bDpT10_ENKUlT_T0_E_clISt17integral_constantIbLb1EES1P_EEDaS1K_S1L_EUlS1K_E_NS1_11comp_targetILNS1_3genE9ELNS1_11target_archE1100ELNS1_3gpuE3ELNS1_3repE0EEENS1_30default_config_static_selectorELNS0_4arch9wavefront6targetE0EEEvSY_.private_seg_size, 0
	.set _ZN7rocprim17ROCPRIM_400000_NS6detail17trampoline_kernelINS0_13select_configILj256ELj13ELNS0_17block_load_methodE3ELS4_3ELS4_3ELNS0_20block_scan_algorithmE0ELj4294967295EEENS1_25partition_config_selectorILNS1_17partition_subalgoE3EjNS0_10empty_typeEbEEZZNS1_14partition_implILS8_3ELb0ES6_jNS0_17counting_iteratorIjlEEPS9_SE_NS0_5tupleIJPjSE_EEENSF_IJSE_SE_EEES9_SG_JZNS1_25segmented_radix_sort_implINS0_14default_configELb1EPKdPdPKlPlN2at6native12_GLOBAL__N_18offset_tEEE10hipError_tPvRmT1_PNSt15iterator_traitsISY_E10value_typeET2_T3_PNSZ_IS14_E10value_typeET4_jRbjT5_S1A_jjP12ihipStream_tbEUljE_EEESV_SW_SX_S14_S18_S1A_T6_T7_T9_mT8_S1C_bDpT10_ENKUlT_T0_E_clISt17integral_constantIbLb1EES1P_EEDaS1K_S1L_EUlS1K_E_NS1_11comp_targetILNS1_3genE9ELNS1_11target_archE1100ELNS1_3gpuE3ELNS1_3repE0EEENS1_30default_config_static_selectorELNS0_4arch9wavefront6targetE0EEEvSY_.uses_vcc, 0
	.set _ZN7rocprim17ROCPRIM_400000_NS6detail17trampoline_kernelINS0_13select_configILj256ELj13ELNS0_17block_load_methodE3ELS4_3ELS4_3ELNS0_20block_scan_algorithmE0ELj4294967295EEENS1_25partition_config_selectorILNS1_17partition_subalgoE3EjNS0_10empty_typeEbEEZZNS1_14partition_implILS8_3ELb0ES6_jNS0_17counting_iteratorIjlEEPS9_SE_NS0_5tupleIJPjSE_EEENSF_IJSE_SE_EEES9_SG_JZNS1_25segmented_radix_sort_implINS0_14default_configELb1EPKdPdPKlPlN2at6native12_GLOBAL__N_18offset_tEEE10hipError_tPvRmT1_PNSt15iterator_traitsISY_E10value_typeET2_T3_PNSZ_IS14_E10value_typeET4_jRbjT5_S1A_jjP12ihipStream_tbEUljE_EEESV_SW_SX_S14_S18_S1A_T6_T7_T9_mT8_S1C_bDpT10_ENKUlT_T0_E_clISt17integral_constantIbLb1EES1P_EEDaS1K_S1L_EUlS1K_E_NS1_11comp_targetILNS1_3genE9ELNS1_11target_archE1100ELNS1_3gpuE3ELNS1_3repE0EEENS1_30default_config_static_selectorELNS0_4arch9wavefront6targetE0EEEvSY_.uses_flat_scratch, 0
	.set _ZN7rocprim17ROCPRIM_400000_NS6detail17trampoline_kernelINS0_13select_configILj256ELj13ELNS0_17block_load_methodE3ELS4_3ELS4_3ELNS0_20block_scan_algorithmE0ELj4294967295EEENS1_25partition_config_selectorILNS1_17partition_subalgoE3EjNS0_10empty_typeEbEEZZNS1_14partition_implILS8_3ELb0ES6_jNS0_17counting_iteratorIjlEEPS9_SE_NS0_5tupleIJPjSE_EEENSF_IJSE_SE_EEES9_SG_JZNS1_25segmented_radix_sort_implINS0_14default_configELb1EPKdPdPKlPlN2at6native12_GLOBAL__N_18offset_tEEE10hipError_tPvRmT1_PNSt15iterator_traitsISY_E10value_typeET2_T3_PNSZ_IS14_E10value_typeET4_jRbjT5_S1A_jjP12ihipStream_tbEUljE_EEESV_SW_SX_S14_S18_S1A_T6_T7_T9_mT8_S1C_bDpT10_ENKUlT_T0_E_clISt17integral_constantIbLb1EES1P_EEDaS1K_S1L_EUlS1K_E_NS1_11comp_targetILNS1_3genE9ELNS1_11target_archE1100ELNS1_3gpuE3ELNS1_3repE0EEENS1_30default_config_static_selectorELNS0_4arch9wavefront6targetE0EEEvSY_.has_dyn_sized_stack, 0
	.set _ZN7rocprim17ROCPRIM_400000_NS6detail17trampoline_kernelINS0_13select_configILj256ELj13ELNS0_17block_load_methodE3ELS4_3ELS4_3ELNS0_20block_scan_algorithmE0ELj4294967295EEENS1_25partition_config_selectorILNS1_17partition_subalgoE3EjNS0_10empty_typeEbEEZZNS1_14partition_implILS8_3ELb0ES6_jNS0_17counting_iteratorIjlEEPS9_SE_NS0_5tupleIJPjSE_EEENSF_IJSE_SE_EEES9_SG_JZNS1_25segmented_radix_sort_implINS0_14default_configELb1EPKdPdPKlPlN2at6native12_GLOBAL__N_18offset_tEEE10hipError_tPvRmT1_PNSt15iterator_traitsISY_E10value_typeET2_T3_PNSZ_IS14_E10value_typeET4_jRbjT5_S1A_jjP12ihipStream_tbEUljE_EEESV_SW_SX_S14_S18_S1A_T6_T7_T9_mT8_S1C_bDpT10_ENKUlT_T0_E_clISt17integral_constantIbLb1EES1P_EEDaS1K_S1L_EUlS1K_E_NS1_11comp_targetILNS1_3genE9ELNS1_11target_archE1100ELNS1_3gpuE3ELNS1_3repE0EEENS1_30default_config_static_selectorELNS0_4arch9wavefront6targetE0EEEvSY_.has_recursion, 0
	.set _ZN7rocprim17ROCPRIM_400000_NS6detail17trampoline_kernelINS0_13select_configILj256ELj13ELNS0_17block_load_methodE3ELS4_3ELS4_3ELNS0_20block_scan_algorithmE0ELj4294967295EEENS1_25partition_config_selectorILNS1_17partition_subalgoE3EjNS0_10empty_typeEbEEZZNS1_14partition_implILS8_3ELb0ES6_jNS0_17counting_iteratorIjlEEPS9_SE_NS0_5tupleIJPjSE_EEENSF_IJSE_SE_EEES9_SG_JZNS1_25segmented_radix_sort_implINS0_14default_configELb1EPKdPdPKlPlN2at6native12_GLOBAL__N_18offset_tEEE10hipError_tPvRmT1_PNSt15iterator_traitsISY_E10value_typeET2_T3_PNSZ_IS14_E10value_typeET4_jRbjT5_S1A_jjP12ihipStream_tbEUljE_EEESV_SW_SX_S14_S18_S1A_T6_T7_T9_mT8_S1C_bDpT10_ENKUlT_T0_E_clISt17integral_constantIbLb1EES1P_EEDaS1K_S1L_EUlS1K_E_NS1_11comp_targetILNS1_3genE9ELNS1_11target_archE1100ELNS1_3gpuE3ELNS1_3repE0EEENS1_30default_config_static_selectorELNS0_4arch9wavefront6targetE0EEEvSY_.has_indirect_call, 0
	.section	.AMDGPU.csdata,"",@progbits
; Kernel info:
; codeLenInByte = 0
; TotalNumSgprs: 0
; NumVgprs: 0
; ScratchSize: 0
; MemoryBound: 0
; FloatMode: 240
; IeeeMode: 1
; LDSByteSize: 0 bytes/workgroup (compile time only)
; SGPRBlocks: 0
; VGPRBlocks: 0
; NumSGPRsForWavesPerEU: 1
; NumVGPRsForWavesPerEU: 1
; Occupancy: 16
; WaveLimiterHint : 0
; COMPUTE_PGM_RSRC2:SCRATCH_EN: 0
; COMPUTE_PGM_RSRC2:USER_SGPR: 2
; COMPUTE_PGM_RSRC2:TRAP_HANDLER: 0
; COMPUTE_PGM_RSRC2:TGID_X_EN: 1
; COMPUTE_PGM_RSRC2:TGID_Y_EN: 0
; COMPUTE_PGM_RSRC2:TGID_Z_EN: 0
; COMPUTE_PGM_RSRC2:TIDIG_COMP_CNT: 0
	.section	.text._ZN7rocprim17ROCPRIM_400000_NS6detail17trampoline_kernelINS0_13select_configILj256ELj13ELNS0_17block_load_methodE3ELS4_3ELS4_3ELNS0_20block_scan_algorithmE0ELj4294967295EEENS1_25partition_config_selectorILNS1_17partition_subalgoE3EjNS0_10empty_typeEbEEZZNS1_14partition_implILS8_3ELb0ES6_jNS0_17counting_iteratorIjlEEPS9_SE_NS0_5tupleIJPjSE_EEENSF_IJSE_SE_EEES9_SG_JZNS1_25segmented_radix_sort_implINS0_14default_configELb1EPKdPdPKlPlN2at6native12_GLOBAL__N_18offset_tEEE10hipError_tPvRmT1_PNSt15iterator_traitsISY_E10value_typeET2_T3_PNSZ_IS14_E10value_typeET4_jRbjT5_S1A_jjP12ihipStream_tbEUljE_EEESV_SW_SX_S14_S18_S1A_T6_T7_T9_mT8_S1C_bDpT10_ENKUlT_T0_E_clISt17integral_constantIbLb1EES1P_EEDaS1K_S1L_EUlS1K_E_NS1_11comp_targetILNS1_3genE8ELNS1_11target_archE1030ELNS1_3gpuE2ELNS1_3repE0EEENS1_30default_config_static_selectorELNS0_4arch9wavefront6targetE0EEEvSY_,"axG",@progbits,_ZN7rocprim17ROCPRIM_400000_NS6detail17trampoline_kernelINS0_13select_configILj256ELj13ELNS0_17block_load_methodE3ELS4_3ELS4_3ELNS0_20block_scan_algorithmE0ELj4294967295EEENS1_25partition_config_selectorILNS1_17partition_subalgoE3EjNS0_10empty_typeEbEEZZNS1_14partition_implILS8_3ELb0ES6_jNS0_17counting_iteratorIjlEEPS9_SE_NS0_5tupleIJPjSE_EEENSF_IJSE_SE_EEES9_SG_JZNS1_25segmented_radix_sort_implINS0_14default_configELb1EPKdPdPKlPlN2at6native12_GLOBAL__N_18offset_tEEE10hipError_tPvRmT1_PNSt15iterator_traitsISY_E10value_typeET2_T3_PNSZ_IS14_E10value_typeET4_jRbjT5_S1A_jjP12ihipStream_tbEUljE_EEESV_SW_SX_S14_S18_S1A_T6_T7_T9_mT8_S1C_bDpT10_ENKUlT_T0_E_clISt17integral_constantIbLb1EES1P_EEDaS1K_S1L_EUlS1K_E_NS1_11comp_targetILNS1_3genE8ELNS1_11target_archE1030ELNS1_3gpuE2ELNS1_3repE0EEENS1_30default_config_static_selectorELNS0_4arch9wavefront6targetE0EEEvSY_,comdat
	.globl	_ZN7rocprim17ROCPRIM_400000_NS6detail17trampoline_kernelINS0_13select_configILj256ELj13ELNS0_17block_load_methodE3ELS4_3ELS4_3ELNS0_20block_scan_algorithmE0ELj4294967295EEENS1_25partition_config_selectorILNS1_17partition_subalgoE3EjNS0_10empty_typeEbEEZZNS1_14partition_implILS8_3ELb0ES6_jNS0_17counting_iteratorIjlEEPS9_SE_NS0_5tupleIJPjSE_EEENSF_IJSE_SE_EEES9_SG_JZNS1_25segmented_radix_sort_implINS0_14default_configELb1EPKdPdPKlPlN2at6native12_GLOBAL__N_18offset_tEEE10hipError_tPvRmT1_PNSt15iterator_traitsISY_E10value_typeET2_T3_PNSZ_IS14_E10value_typeET4_jRbjT5_S1A_jjP12ihipStream_tbEUljE_EEESV_SW_SX_S14_S18_S1A_T6_T7_T9_mT8_S1C_bDpT10_ENKUlT_T0_E_clISt17integral_constantIbLb1EES1P_EEDaS1K_S1L_EUlS1K_E_NS1_11comp_targetILNS1_3genE8ELNS1_11target_archE1030ELNS1_3gpuE2ELNS1_3repE0EEENS1_30default_config_static_selectorELNS0_4arch9wavefront6targetE0EEEvSY_ ; -- Begin function _ZN7rocprim17ROCPRIM_400000_NS6detail17trampoline_kernelINS0_13select_configILj256ELj13ELNS0_17block_load_methodE3ELS4_3ELS4_3ELNS0_20block_scan_algorithmE0ELj4294967295EEENS1_25partition_config_selectorILNS1_17partition_subalgoE3EjNS0_10empty_typeEbEEZZNS1_14partition_implILS8_3ELb0ES6_jNS0_17counting_iteratorIjlEEPS9_SE_NS0_5tupleIJPjSE_EEENSF_IJSE_SE_EEES9_SG_JZNS1_25segmented_radix_sort_implINS0_14default_configELb1EPKdPdPKlPlN2at6native12_GLOBAL__N_18offset_tEEE10hipError_tPvRmT1_PNSt15iterator_traitsISY_E10value_typeET2_T3_PNSZ_IS14_E10value_typeET4_jRbjT5_S1A_jjP12ihipStream_tbEUljE_EEESV_SW_SX_S14_S18_S1A_T6_T7_T9_mT8_S1C_bDpT10_ENKUlT_T0_E_clISt17integral_constantIbLb1EES1P_EEDaS1K_S1L_EUlS1K_E_NS1_11comp_targetILNS1_3genE8ELNS1_11target_archE1030ELNS1_3gpuE2ELNS1_3repE0EEENS1_30default_config_static_selectorELNS0_4arch9wavefront6targetE0EEEvSY_
	.p2align	8
	.type	_ZN7rocprim17ROCPRIM_400000_NS6detail17trampoline_kernelINS0_13select_configILj256ELj13ELNS0_17block_load_methodE3ELS4_3ELS4_3ELNS0_20block_scan_algorithmE0ELj4294967295EEENS1_25partition_config_selectorILNS1_17partition_subalgoE3EjNS0_10empty_typeEbEEZZNS1_14partition_implILS8_3ELb0ES6_jNS0_17counting_iteratorIjlEEPS9_SE_NS0_5tupleIJPjSE_EEENSF_IJSE_SE_EEES9_SG_JZNS1_25segmented_radix_sort_implINS0_14default_configELb1EPKdPdPKlPlN2at6native12_GLOBAL__N_18offset_tEEE10hipError_tPvRmT1_PNSt15iterator_traitsISY_E10value_typeET2_T3_PNSZ_IS14_E10value_typeET4_jRbjT5_S1A_jjP12ihipStream_tbEUljE_EEESV_SW_SX_S14_S18_S1A_T6_T7_T9_mT8_S1C_bDpT10_ENKUlT_T0_E_clISt17integral_constantIbLb1EES1P_EEDaS1K_S1L_EUlS1K_E_NS1_11comp_targetILNS1_3genE8ELNS1_11target_archE1030ELNS1_3gpuE2ELNS1_3repE0EEENS1_30default_config_static_selectorELNS0_4arch9wavefront6targetE0EEEvSY_,@function
_ZN7rocprim17ROCPRIM_400000_NS6detail17trampoline_kernelINS0_13select_configILj256ELj13ELNS0_17block_load_methodE3ELS4_3ELS4_3ELNS0_20block_scan_algorithmE0ELj4294967295EEENS1_25partition_config_selectorILNS1_17partition_subalgoE3EjNS0_10empty_typeEbEEZZNS1_14partition_implILS8_3ELb0ES6_jNS0_17counting_iteratorIjlEEPS9_SE_NS0_5tupleIJPjSE_EEENSF_IJSE_SE_EEES9_SG_JZNS1_25segmented_radix_sort_implINS0_14default_configELb1EPKdPdPKlPlN2at6native12_GLOBAL__N_18offset_tEEE10hipError_tPvRmT1_PNSt15iterator_traitsISY_E10value_typeET2_T3_PNSZ_IS14_E10value_typeET4_jRbjT5_S1A_jjP12ihipStream_tbEUljE_EEESV_SW_SX_S14_S18_S1A_T6_T7_T9_mT8_S1C_bDpT10_ENKUlT_T0_E_clISt17integral_constantIbLb1EES1P_EEDaS1K_S1L_EUlS1K_E_NS1_11comp_targetILNS1_3genE8ELNS1_11target_archE1030ELNS1_3gpuE2ELNS1_3repE0EEENS1_30default_config_static_selectorELNS0_4arch9wavefront6targetE0EEEvSY_: ; @_ZN7rocprim17ROCPRIM_400000_NS6detail17trampoline_kernelINS0_13select_configILj256ELj13ELNS0_17block_load_methodE3ELS4_3ELS4_3ELNS0_20block_scan_algorithmE0ELj4294967295EEENS1_25partition_config_selectorILNS1_17partition_subalgoE3EjNS0_10empty_typeEbEEZZNS1_14partition_implILS8_3ELb0ES6_jNS0_17counting_iteratorIjlEEPS9_SE_NS0_5tupleIJPjSE_EEENSF_IJSE_SE_EEES9_SG_JZNS1_25segmented_radix_sort_implINS0_14default_configELb1EPKdPdPKlPlN2at6native12_GLOBAL__N_18offset_tEEE10hipError_tPvRmT1_PNSt15iterator_traitsISY_E10value_typeET2_T3_PNSZ_IS14_E10value_typeET4_jRbjT5_S1A_jjP12ihipStream_tbEUljE_EEESV_SW_SX_S14_S18_S1A_T6_T7_T9_mT8_S1C_bDpT10_ENKUlT_T0_E_clISt17integral_constantIbLb1EES1P_EEDaS1K_S1L_EUlS1K_E_NS1_11comp_targetILNS1_3genE8ELNS1_11target_archE1030ELNS1_3gpuE2ELNS1_3repE0EEENS1_30default_config_static_selectorELNS0_4arch9wavefront6targetE0EEEvSY_
; %bb.0:
	.section	.rodata,"a",@progbits
	.p2align	6, 0x0
	.amdhsa_kernel _ZN7rocprim17ROCPRIM_400000_NS6detail17trampoline_kernelINS0_13select_configILj256ELj13ELNS0_17block_load_methodE3ELS4_3ELS4_3ELNS0_20block_scan_algorithmE0ELj4294967295EEENS1_25partition_config_selectorILNS1_17partition_subalgoE3EjNS0_10empty_typeEbEEZZNS1_14partition_implILS8_3ELb0ES6_jNS0_17counting_iteratorIjlEEPS9_SE_NS0_5tupleIJPjSE_EEENSF_IJSE_SE_EEES9_SG_JZNS1_25segmented_radix_sort_implINS0_14default_configELb1EPKdPdPKlPlN2at6native12_GLOBAL__N_18offset_tEEE10hipError_tPvRmT1_PNSt15iterator_traitsISY_E10value_typeET2_T3_PNSZ_IS14_E10value_typeET4_jRbjT5_S1A_jjP12ihipStream_tbEUljE_EEESV_SW_SX_S14_S18_S1A_T6_T7_T9_mT8_S1C_bDpT10_ENKUlT_T0_E_clISt17integral_constantIbLb1EES1P_EEDaS1K_S1L_EUlS1K_E_NS1_11comp_targetILNS1_3genE8ELNS1_11target_archE1030ELNS1_3gpuE2ELNS1_3repE0EEENS1_30default_config_static_selectorELNS0_4arch9wavefront6targetE0EEEvSY_
		.amdhsa_group_segment_fixed_size 0
		.amdhsa_private_segment_fixed_size 0
		.amdhsa_kernarg_size 152
		.amdhsa_user_sgpr_count 2
		.amdhsa_user_sgpr_dispatch_ptr 0
		.amdhsa_user_sgpr_queue_ptr 0
		.amdhsa_user_sgpr_kernarg_segment_ptr 1
		.amdhsa_user_sgpr_dispatch_id 0
		.amdhsa_user_sgpr_private_segment_size 0
		.amdhsa_wavefront_size32 1
		.amdhsa_uses_dynamic_stack 0
		.amdhsa_enable_private_segment 0
		.amdhsa_system_sgpr_workgroup_id_x 1
		.amdhsa_system_sgpr_workgroup_id_y 0
		.amdhsa_system_sgpr_workgroup_id_z 0
		.amdhsa_system_sgpr_workgroup_info 0
		.amdhsa_system_vgpr_workitem_id 0
		.amdhsa_next_free_vgpr 1
		.amdhsa_next_free_sgpr 1
		.amdhsa_reserve_vcc 0
		.amdhsa_float_round_mode_32 0
		.amdhsa_float_round_mode_16_64 0
		.amdhsa_float_denorm_mode_32 3
		.amdhsa_float_denorm_mode_16_64 3
		.amdhsa_fp16_overflow 0
		.amdhsa_workgroup_processor_mode 1
		.amdhsa_memory_ordered 1
		.amdhsa_forward_progress 1
		.amdhsa_inst_pref_size 0
		.amdhsa_round_robin_scheduling 0
		.amdhsa_exception_fp_ieee_invalid_op 0
		.amdhsa_exception_fp_denorm_src 0
		.amdhsa_exception_fp_ieee_div_zero 0
		.amdhsa_exception_fp_ieee_overflow 0
		.amdhsa_exception_fp_ieee_underflow 0
		.amdhsa_exception_fp_ieee_inexact 0
		.amdhsa_exception_int_div_zero 0
	.end_amdhsa_kernel
	.section	.text._ZN7rocprim17ROCPRIM_400000_NS6detail17trampoline_kernelINS0_13select_configILj256ELj13ELNS0_17block_load_methodE3ELS4_3ELS4_3ELNS0_20block_scan_algorithmE0ELj4294967295EEENS1_25partition_config_selectorILNS1_17partition_subalgoE3EjNS0_10empty_typeEbEEZZNS1_14partition_implILS8_3ELb0ES6_jNS0_17counting_iteratorIjlEEPS9_SE_NS0_5tupleIJPjSE_EEENSF_IJSE_SE_EEES9_SG_JZNS1_25segmented_radix_sort_implINS0_14default_configELb1EPKdPdPKlPlN2at6native12_GLOBAL__N_18offset_tEEE10hipError_tPvRmT1_PNSt15iterator_traitsISY_E10value_typeET2_T3_PNSZ_IS14_E10value_typeET4_jRbjT5_S1A_jjP12ihipStream_tbEUljE_EEESV_SW_SX_S14_S18_S1A_T6_T7_T9_mT8_S1C_bDpT10_ENKUlT_T0_E_clISt17integral_constantIbLb1EES1P_EEDaS1K_S1L_EUlS1K_E_NS1_11comp_targetILNS1_3genE8ELNS1_11target_archE1030ELNS1_3gpuE2ELNS1_3repE0EEENS1_30default_config_static_selectorELNS0_4arch9wavefront6targetE0EEEvSY_,"axG",@progbits,_ZN7rocprim17ROCPRIM_400000_NS6detail17trampoline_kernelINS0_13select_configILj256ELj13ELNS0_17block_load_methodE3ELS4_3ELS4_3ELNS0_20block_scan_algorithmE0ELj4294967295EEENS1_25partition_config_selectorILNS1_17partition_subalgoE3EjNS0_10empty_typeEbEEZZNS1_14partition_implILS8_3ELb0ES6_jNS0_17counting_iteratorIjlEEPS9_SE_NS0_5tupleIJPjSE_EEENSF_IJSE_SE_EEES9_SG_JZNS1_25segmented_radix_sort_implINS0_14default_configELb1EPKdPdPKlPlN2at6native12_GLOBAL__N_18offset_tEEE10hipError_tPvRmT1_PNSt15iterator_traitsISY_E10value_typeET2_T3_PNSZ_IS14_E10value_typeET4_jRbjT5_S1A_jjP12ihipStream_tbEUljE_EEESV_SW_SX_S14_S18_S1A_T6_T7_T9_mT8_S1C_bDpT10_ENKUlT_T0_E_clISt17integral_constantIbLb1EES1P_EEDaS1K_S1L_EUlS1K_E_NS1_11comp_targetILNS1_3genE8ELNS1_11target_archE1030ELNS1_3gpuE2ELNS1_3repE0EEENS1_30default_config_static_selectorELNS0_4arch9wavefront6targetE0EEEvSY_,comdat
.Lfunc_end1101:
	.size	_ZN7rocprim17ROCPRIM_400000_NS6detail17trampoline_kernelINS0_13select_configILj256ELj13ELNS0_17block_load_methodE3ELS4_3ELS4_3ELNS0_20block_scan_algorithmE0ELj4294967295EEENS1_25partition_config_selectorILNS1_17partition_subalgoE3EjNS0_10empty_typeEbEEZZNS1_14partition_implILS8_3ELb0ES6_jNS0_17counting_iteratorIjlEEPS9_SE_NS0_5tupleIJPjSE_EEENSF_IJSE_SE_EEES9_SG_JZNS1_25segmented_radix_sort_implINS0_14default_configELb1EPKdPdPKlPlN2at6native12_GLOBAL__N_18offset_tEEE10hipError_tPvRmT1_PNSt15iterator_traitsISY_E10value_typeET2_T3_PNSZ_IS14_E10value_typeET4_jRbjT5_S1A_jjP12ihipStream_tbEUljE_EEESV_SW_SX_S14_S18_S1A_T6_T7_T9_mT8_S1C_bDpT10_ENKUlT_T0_E_clISt17integral_constantIbLb1EES1P_EEDaS1K_S1L_EUlS1K_E_NS1_11comp_targetILNS1_3genE8ELNS1_11target_archE1030ELNS1_3gpuE2ELNS1_3repE0EEENS1_30default_config_static_selectorELNS0_4arch9wavefront6targetE0EEEvSY_, .Lfunc_end1101-_ZN7rocprim17ROCPRIM_400000_NS6detail17trampoline_kernelINS0_13select_configILj256ELj13ELNS0_17block_load_methodE3ELS4_3ELS4_3ELNS0_20block_scan_algorithmE0ELj4294967295EEENS1_25partition_config_selectorILNS1_17partition_subalgoE3EjNS0_10empty_typeEbEEZZNS1_14partition_implILS8_3ELb0ES6_jNS0_17counting_iteratorIjlEEPS9_SE_NS0_5tupleIJPjSE_EEENSF_IJSE_SE_EEES9_SG_JZNS1_25segmented_radix_sort_implINS0_14default_configELb1EPKdPdPKlPlN2at6native12_GLOBAL__N_18offset_tEEE10hipError_tPvRmT1_PNSt15iterator_traitsISY_E10value_typeET2_T3_PNSZ_IS14_E10value_typeET4_jRbjT5_S1A_jjP12ihipStream_tbEUljE_EEESV_SW_SX_S14_S18_S1A_T6_T7_T9_mT8_S1C_bDpT10_ENKUlT_T0_E_clISt17integral_constantIbLb1EES1P_EEDaS1K_S1L_EUlS1K_E_NS1_11comp_targetILNS1_3genE8ELNS1_11target_archE1030ELNS1_3gpuE2ELNS1_3repE0EEENS1_30default_config_static_selectorELNS0_4arch9wavefront6targetE0EEEvSY_
                                        ; -- End function
	.set _ZN7rocprim17ROCPRIM_400000_NS6detail17trampoline_kernelINS0_13select_configILj256ELj13ELNS0_17block_load_methodE3ELS4_3ELS4_3ELNS0_20block_scan_algorithmE0ELj4294967295EEENS1_25partition_config_selectorILNS1_17partition_subalgoE3EjNS0_10empty_typeEbEEZZNS1_14partition_implILS8_3ELb0ES6_jNS0_17counting_iteratorIjlEEPS9_SE_NS0_5tupleIJPjSE_EEENSF_IJSE_SE_EEES9_SG_JZNS1_25segmented_radix_sort_implINS0_14default_configELb1EPKdPdPKlPlN2at6native12_GLOBAL__N_18offset_tEEE10hipError_tPvRmT1_PNSt15iterator_traitsISY_E10value_typeET2_T3_PNSZ_IS14_E10value_typeET4_jRbjT5_S1A_jjP12ihipStream_tbEUljE_EEESV_SW_SX_S14_S18_S1A_T6_T7_T9_mT8_S1C_bDpT10_ENKUlT_T0_E_clISt17integral_constantIbLb1EES1P_EEDaS1K_S1L_EUlS1K_E_NS1_11comp_targetILNS1_3genE8ELNS1_11target_archE1030ELNS1_3gpuE2ELNS1_3repE0EEENS1_30default_config_static_selectorELNS0_4arch9wavefront6targetE0EEEvSY_.num_vgpr, 0
	.set _ZN7rocprim17ROCPRIM_400000_NS6detail17trampoline_kernelINS0_13select_configILj256ELj13ELNS0_17block_load_methodE3ELS4_3ELS4_3ELNS0_20block_scan_algorithmE0ELj4294967295EEENS1_25partition_config_selectorILNS1_17partition_subalgoE3EjNS0_10empty_typeEbEEZZNS1_14partition_implILS8_3ELb0ES6_jNS0_17counting_iteratorIjlEEPS9_SE_NS0_5tupleIJPjSE_EEENSF_IJSE_SE_EEES9_SG_JZNS1_25segmented_radix_sort_implINS0_14default_configELb1EPKdPdPKlPlN2at6native12_GLOBAL__N_18offset_tEEE10hipError_tPvRmT1_PNSt15iterator_traitsISY_E10value_typeET2_T3_PNSZ_IS14_E10value_typeET4_jRbjT5_S1A_jjP12ihipStream_tbEUljE_EEESV_SW_SX_S14_S18_S1A_T6_T7_T9_mT8_S1C_bDpT10_ENKUlT_T0_E_clISt17integral_constantIbLb1EES1P_EEDaS1K_S1L_EUlS1K_E_NS1_11comp_targetILNS1_3genE8ELNS1_11target_archE1030ELNS1_3gpuE2ELNS1_3repE0EEENS1_30default_config_static_selectorELNS0_4arch9wavefront6targetE0EEEvSY_.num_agpr, 0
	.set _ZN7rocprim17ROCPRIM_400000_NS6detail17trampoline_kernelINS0_13select_configILj256ELj13ELNS0_17block_load_methodE3ELS4_3ELS4_3ELNS0_20block_scan_algorithmE0ELj4294967295EEENS1_25partition_config_selectorILNS1_17partition_subalgoE3EjNS0_10empty_typeEbEEZZNS1_14partition_implILS8_3ELb0ES6_jNS0_17counting_iteratorIjlEEPS9_SE_NS0_5tupleIJPjSE_EEENSF_IJSE_SE_EEES9_SG_JZNS1_25segmented_radix_sort_implINS0_14default_configELb1EPKdPdPKlPlN2at6native12_GLOBAL__N_18offset_tEEE10hipError_tPvRmT1_PNSt15iterator_traitsISY_E10value_typeET2_T3_PNSZ_IS14_E10value_typeET4_jRbjT5_S1A_jjP12ihipStream_tbEUljE_EEESV_SW_SX_S14_S18_S1A_T6_T7_T9_mT8_S1C_bDpT10_ENKUlT_T0_E_clISt17integral_constantIbLb1EES1P_EEDaS1K_S1L_EUlS1K_E_NS1_11comp_targetILNS1_3genE8ELNS1_11target_archE1030ELNS1_3gpuE2ELNS1_3repE0EEENS1_30default_config_static_selectorELNS0_4arch9wavefront6targetE0EEEvSY_.numbered_sgpr, 0
	.set _ZN7rocprim17ROCPRIM_400000_NS6detail17trampoline_kernelINS0_13select_configILj256ELj13ELNS0_17block_load_methodE3ELS4_3ELS4_3ELNS0_20block_scan_algorithmE0ELj4294967295EEENS1_25partition_config_selectorILNS1_17partition_subalgoE3EjNS0_10empty_typeEbEEZZNS1_14partition_implILS8_3ELb0ES6_jNS0_17counting_iteratorIjlEEPS9_SE_NS0_5tupleIJPjSE_EEENSF_IJSE_SE_EEES9_SG_JZNS1_25segmented_radix_sort_implINS0_14default_configELb1EPKdPdPKlPlN2at6native12_GLOBAL__N_18offset_tEEE10hipError_tPvRmT1_PNSt15iterator_traitsISY_E10value_typeET2_T3_PNSZ_IS14_E10value_typeET4_jRbjT5_S1A_jjP12ihipStream_tbEUljE_EEESV_SW_SX_S14_S18_S1A_T6_T7_T9_mT8_S1C_bDpT10_ENKUlT_T0_E_clISt17integral_constantIbLb1EES1P_EEDaS1K_S1L_EUlS1K_E_NS1_11comp_targetILNS1_3genE8ELNS1_11target_archE1030ELNS1_3gpuE2ELNS1_3repE0EEENS1_30default_config_static_selectorELNS0_4arch9wavefront6targetE0EEEvSY_.num_named_barrier, 0
	.set _ZN7rocprim17ROCPRIM_400000_NS6detail17trampoline_kernelINS0_13select_configILj256ELj13ELNS0_17block_load_methodE3ELS4_3ELS4_3ELNS0_20block_scan_algorithmE0ELj4294967295EEENS1_25partition_config_selectorILNS1_17partition_subalgoE3EjNS0_10empty_typeEbEEZZNS1_14partition_implILS8_3ELb0ES6_jNS0_17counting_iteratorIjlEEPS9_SE_NS0_5tupleIJPjSE_EEENSF_IJSE_SE_EEES9_SG_JZNS1_25segmented_radix_sort_implINS0_14default_configELb1EPKdPdPKlPlN2at6native12_GLOBAL__N_18offset_tEEE10hipError_tPvRmT1_PNSt15iterator_traitsISY_E10value_typeET2_T3_PNSZ_IS14_E10value_typeET4_jRbjT5_S1A_jjP12ihipStream_tbEUljE_EEESV_SW_SX_S14_S18_S1A_T6_T7_T9_mT8_S1C_bDpT10_ENKUlT_T0_E_clISt17integral_constantIbLb1EES1P_EEDaS1K_S1L_EUlS1K_E_NS1_11comp_targetILNS1_3genE8ELNS1_11target_archE1030ELNS1_3gpuE2ELNS1_3repE0EEENS1_30default_config_static_selectorELNS0_4arch9wavefront6targetE0EEEvSY_.private_seg_size, 0
	.set _ZN7rocprim17ROCPRIM_400000_NS6detail17trampoline_kernelINS0_13select_configILj256ELj13ELNS0_17block_load_methodE3ELS4_3ELS4_3ELNS0_20block_scan_algorithmE0ELj4294967295EEENS1_25partition_config_selectorILNS1_17partition_subalgoE3EjNS0_10empty_typeEbEEZZNS1_14partition_implILS8_3ELb0ES6_jNS0_17counting_iteratorIjlEEPS9_SE_NS0_5tupleIJPjSE_EEENSF_IJSE_SE_EEES9_SG_JZNS1_25segmented_radix_sort_implINS0_14default_configELb1EPKdPdPKlPlN2at6native12_GLOBAL__N_18offset_tEEE10hipError_tPvRmT1_PNSt15iterator_traitsISY_E10value_typeET2_T3_PNSZ_IS14_E10value_typeET4_jRbjT5_S1A_jjP12ihipStream_tbEUljE_EEESV_SW_SX_S14_S18_S1A_T6_T7_T9_mT8_S1C_bDpT10_ENKUlT_T0_E_clISt17integral_constantIbLb1EES1P_EEDaS1K_S1L_EUlS1K_E_NS1_11comp_targetILNS1_3genE8ELNS1_11target_archE1030ELNS1_3gpuE2ELNS1_3repE0EEENS1_30default_config_static_selectorELNS0_4arch9wavefront6targetE0EEEvSY_.uses_vcc, 0
	.set _ZN7rocprim17ROCPRIM_400000_NS6detail17trampoline_kernelINS0_13select_configILj256ELj13ELNS0_17block_load_methodE3ELS4_3ELS4_3ELNS0_20block_scan_algorithmE0ELj4294967295EEENS1_25partition_config_selectorILNS1_17partition_subalgoE3EjNS0_10empty_typeEbEEZZNS1_14partition_implILS8_3ELb0ES6_jNS0_17counting_iteratorIjlEEPS9_SE_NS0_5tupleIJPjSE_EEENSF_IJSE_SE_EEES9_SG_JZNS1_25segmented_radix_sort_implINS0_14default_configELb1EPKdPdPKlPlN2at6native12_GLOBAL__N_18offset_tEEE10hipError_tPvRmT1_PNSt15iterator_traitsISY_E10value_typeET2_T3_PNSZ_IS14_E10value_typeET4_jRbjT5_S1A_jjP12ihipStream_tbEUljE_EEESV_SW_SX_S14_S18_S1A_T6_T7_T9_mT8_S1C_bDpT10_ENKUlT_T0_E_clISt17integral_constantIbLb1EES1P_EEDaS1K_S1L_EUlS1K_E_NS1_11comp_targetILNS1_3genE8ELNS1_11target_archE1030ELNS1_3gpuE2ELNS1_3repE0EEENS1_30default_config_static_selectorELNS0_4arch9wavefront6targetE0EEEvSY_.uses_flat_scratch, 0
	.set _ZN7rocprim17ROCPRIM_400000_NS6detail17trampoline_kernelINS0_13select_configILj256ELj13ELNS0_17block_load_methodE3ELS4_3ELS4_3ELNS0_20block_scan_algorithmE0ELj4294967295EEENS1_25partition_config_selectorILNS1_17partition_subalgoE3EjNS0_10empty_typeEbEEZZNS1_14partition_implILS8_3ELb0ES6_jNS0_17counting_iteratorIjlEEPS9_SE_NS0_5tupleIJPjSE_EEENSF_IJSE_SE_EEES9_SG_JZNS1_25segmented_radix_sort_implINS0_14default_configELb1EPKdPdPKlPlN2at6native12_GLOBAL__N_18offset_tEEE10hipError_tPvRmT1_PNSt15iterator_traitsISY_E10value_typeET2_T3_PNSZ_IS14_E10value_typeET4_jRbjT5_S1A_jjP12ihipStream_tbEUljE_EEESV_SW_SX_S14_S18_S1A_T6_T7_T9_mT8_S1C_bDpT10_ENKUlT_T0_E_clISt17integral_constantIbLb1EES1P_EEDaS1K_S1L_EUlS1K_E_NS1_11comp_targetILNS1_3genE8ELNS1_11target_archE1030ELNS1_3gpuE2ELNS1_3repE0EEENS1_30default_config_static_selectorELNS0_4arch9wavefront6targetE0EEEvSY_.has_dyn_sized_stack, 0
	.set _ZN7rocprim17ROCPRIM_400000_NS6detail17trampoline_kernelINS0_13select_configILj256ELj13ELNS0_17block_load_methodE3ELS4_3ELS4_3ELNS0_20block_scan_algorithmE0ELj4294967295EEENS1_25partition_config_selectorILNS1_17partition_subalgoE3EjNS0_10empty_typeEbEEZZNS1_14partition_implILS8_3ELb0ES6_jNS0_17counting_iteratorIjlEEPS9_SE_NS0_5tupleIJPjSE_EEENSF_IJSE_SE_EEES9_SG_JZNS1_25segmented_radix_sort_implINS0_14default_configELb1EPKdPdPKlPlN2at6native12_GLOBAL__N_18offset_tEEE10hipError_tPvRmT1_PNSt15iterator_traitsISY_E10value_typeET2_T3_PNSZ_IS14_E10value_typeET4_jRbjT5_S1A_jjP12ihipStream_tbEUljE_EEESV_SW_SX_S14_S18_S1A_T6_T7_T9_mT8_S1C_bDpT10_ENKUlT_T0_E_clISt17integral_constantIbLb1EES1P_EEDaS1K_S1L_EUlS1K_E_NS1_11comp_targetILNS1_3genE8ELNS1_11target_archE1030ELNS1_3gpuE2ELNS1_3repE0EEENS1_30default_config_static_selectorELNS0_4arch9wavefront6targetE0EEEvSY_.has_recursion, 0
	.set _ZN7rocprim17ROCPRIM_400000_NS6detail17trampoline_kernelINS0_13select_configILj256ELj13ELNS0_17block_load_methodE3ELS4_3ELS4_3ELNS0_20block_scan_algorithmE0ELj4294967295EEENS1_25partition_config_selectorILNS1_17partition_subalgoE3EjNS0_10empty_typeEbEEZZNS1_14partition_implILS8_3ELb0ES6_jNS0_17counting_iteratorIjlEEPS9_SE_NS0_5tupleIJPjSE_EEENSF_IJSE_SE_EEES9_SG_JZNS1_25segmented_radix_sort_implINS0_14default_configELb1EPKdPdPKlPlN2at6native12_GLOBAL__N_18offset_tEEE10hipError_tPvRmT1_PNSt15iterator_traitsISY_E10value_typeET2_T3_PNSZ_IS14_E10value_typeET4_jRbjT5_S1A_jjP12ihipStream_tbEUljE_EEESV_SW_SX_S14_S18_S1A_T6_T7_T9_mT8_S1C_bDpT10_ENKUlT_T0_E_clISt17integral_constantIbLb1EES1P_EEDaS1K_S1L_EUlS1K_E_NS1_11comp_targetILNS1_3genE8ELNS1_11target_archE1030ELNS1_3gpuE2ELNS1_3repE0EEENS1_30default_config_static_selectorELNS0_4arch9wavefront6targetE0EEEvSY_.has_indirect_call, 0
	.section	.AMDGPU.csdata,"",@progbits
; Kernel info:
; codeLenInByte = 0
; TotalNumSgprs: 0
; NumVgprs: 0
; ScratchSize: 0
; MemoryBound: 0
; FloatMode: 240
; IeeeMode: 1
; LDSByteSize: 0 bytes/workgroup (compile time only)
; SGPRBlocks: 0
; VGPRBlocks: 0
; NumSGPRsForWavesPerEU: 1
; NumVGPRsForWavesPerEU: 1
; Occupancy: 16
; WaveLimiterHint : 0
; COMPUTE_PGM_RSRC2:SCRATCH_EN: 0
; COMPUTE_PGM_RSRC2:USER_SGPR: 2
; COMPUTE_PGM_RSRC2:TRAP_HANDLER: 0
; COMPUTE_PGM_RSRC2:TGID_X_EN: 1
; COMPUTE_PGM_RSRC2:TGID_Y_EN: 0
; COMPUTE_PGM_RSRC2:TGID_Z_EN: 0
; COMPUTE_PGM_RSRC2:TIDIG_COMP_CNT: 0
	.section	.text._ZN7rocprim17ROCPRIM_400000_NS6detail17trampoline_kernelINS0_13select_configILj256ELj13ELNS0_17block_load_methodE3ELS4_3ELS4_3ELNS0_20block_scan_algorithmE0ELj4294967295EEENS1_25partition_config_selectorILNS1_17partition_subalgoE3EjNS0_10empty_typeEbEEZZNS1_14partition_implILS8_3ELb0ES6_jNS0_17counting_iteratorIjlEEPS9_SE_NS0_5tupleIJPjSE_EEENSF_IJSE_SE_EEES9_SG_JZNS1_25segmented_radix_sort_implINS0_14default_configELb1EPKdPdPKlPlN2at6native12_GLOBAL__N_18offset_tEEE10hipError_tPvRmT1_PNSt15iterator_traitsISY_E10value_typeET2_T3_PNSZ_IS14_E10value_typeET4_jRbjT5_S1A_jjP12ihipStream_tbEUljE_EEESV_SW_SX_S14_S18_S1A_T6_T7_T9_mT8_S1C_bDpT10_ENKUlT_T0_E_clISt17integral_constantIbLb1EES1O_IbLb0EEEEDaS1K_S1L_EUlS1K_E_NS1_11comp_targetILNS1_3genE0ELNS1_11target_archE4294967295ELNS1_3gpuE0ELNS1_3repE0EEENS1_30default_config_static_selectorELNS0_4arch9wavefront6targetE0EEEvSY_,"axG",@progbits,_ZN7rocprim17ROCPRIM_400000_NS6detail17trampoline_kernelINS0_13select_configILj256ELj13ELNS0_17block_load_methodE3ELS4_3ELS4_3ELNS0_20block_scan_algorithmE0ELj4294967295EEENS1_25partition_config_selectorILNS1_17partition_subalgoE3EjNS0_10empty_typeEbEEZZNS1_14partition_implILS8_3ELb0ES6_jNS0_17counting_iteratorIjlEEPS9_SE_NS0_5tupleIJPjSE_EEENSF_IJSE_SE_EEES9_SG_JZNS1_25segmented_radix_sort_implINS0_14default_configELb1EPKdPdPKlPlN2at6native12_GLOBAL__N_18offset_tEEE10hipError_tPvRmT1_PNSt15iterator_traitsISY_E10value_typeET2_T3_PNSZ_IS14_E10value_typeET4_jRbjT5_S1A_jjP12ihipStream_tbEUljE_EEESV_SW_SX_S14_S18_S1A_T6_T7_T9_mT8_S1C_bDpT10_ENKUlT_T0_E_clISt17integral_constantIbLb1EES1O_IbLb0EEEEDaS1K_S1L_EUlS1K_E_NS1_11comp_targetILNS1_3genE0ELNS1_11target_archE4294967295ELNS1_3gpuE0ELNS1_3repE0EEENS1_30default_config_static_selectorELNS0_4arch9wavefront6targetE0EEEvSY_,comdat
	.globl	_ZN7rocprim17ROCPRIM_400000_NS6detail17trampoline_kernelINS0_13select_configILj256ELj13ELNS0_17block_load_methodE3ELS4_3ELS4_3ELNS0_20block_scan_algorithmE0ELj4294967295EEENS1_25partition_config_selectorILNS1_17partition_subalgoE3EjNS0_10empty_typeEbEEZZNS1_14partition_implILS8_3ELb0ES6_jNS0_17counting_iteratorIjlEEPS9_SE_NS0_5tupleIJPjSE_EEENSF_IJSE_SE_EEES9_SG_JZNS1_25segmented_radix_sort_implINS0_14default_configELb1EPKdPdPKlPlN2at6native12_GLOBAL__N_18offset_tEEE10hipError_tPvRmT1_PNSt15iterator_traitsISY_E10value_typeET2_T3_PNSZ_IS14_E10value_typeET4_jRbjT5_S1A_jjP12ihipStream_tbEUljE_EEESV_SW_SX_S14_S18_S1A_T6_T7_T9_mT8_S1C_bDpT10_ENKUlT_T0_E_clISt17integral_constantIbLb1EES1O_IbLb0EEEEDaS1K_S1L_EUlS1K_E_NS1_11comp_targetILNS1_3genE0ELNS1_11target_archE4294967295ELNS1_3gpuE0ELNS1_3repE0EEENS1_30default_config_static_selectorELNS0_4arch9wavefront6targetE0EEEvSY_ ; -- Begin function _ZN7rocprim17ROCPRIM_400000_NS6detail17trampoline_kernelINS0_13select_configILj256ELj13ELNS0_17block_load_methodE3ELS4_3ELS4_3ELNS0_20block_scan_algorithmE0ELj4294967295EEENS1_25partition_config_selectorILNS1_17partition_subalgoE3EjNS0_10empty_typeEbEEZZNS1_14partition_implILS8_3ELb0ES6_jNS0_17counting_iteratorIjlEEPS9_SE_NS0_5tupleIJPjSE_EEENSF_IJSE_SE_EEES9_SG_JZNS1_25segmented_radix_sort_implINS0_14default_configELb1EPKdPdPKlPlN2at6native12_GLOBAL__N_18offset_tEEE10hipError_tPvRmT1_PNSt15iterator_traitsISY_E10value_typeET2_T3_PNSZ_IS14_E10value_typeET4_jRbjT5_S1A_jjP12ihipStream_tbEUljE_EEESV_SW_SX_S14_S18_S1A_T6_T7_T9_mT8_S1C_bDpT10_ENKUlT_T0_E_clISt17integral_constantIbLb1EES1O_IbLb0EEEEDaS1K_S1L_EUlS1K_E_NS1_11comp_targetILNS1_3genE0ELNS1_11target_archE4294967295ELNS1_3gpuE0ELNS1_3repE0EEENS1_30default_config_static_selectorELNS0_4arch9wavefront6targetE0EEEvSY_
	.p2align	8
	.type	_ZN7rocprim17ROCPRIM_400000_NS6detail17trampoline_kernelINS0_13select_configILj256ELj13ELNS0_17block_load_methodE3ELS4_3ELS4_3ELNS0_20block_scan_algorithmE0ELj4294967295EEENS1_25partition_config_selectorILNS1_17partition_subalgoE3EjNS0_10empty_typeEbEEZZNS1_14partition_implILS8_3ELb0ES6_jNS0_17counting_iteratorIjlEEPS9_SE_NS0_5tupleIJPjSE_EEENSF_IJSE_SE_EEES9_SG_JZNS1_25segmented_radix_sort_implINS0_14default_configELb1EPKdPdPKlPlN2at6native12_GLOBAL__N_18offset_tEEE10hipError_tPvRmT1_PNSt15iterator_traitsISY_E10value_typeET2_T3_PNSZ_IS14_E10value_typeET4_jRbjT5_S1A_jjP12ihipStream_tbEUljE_EEESV_SW_SX_S14_S18_S1A_T6_T7_T9_mT8_S1C_bDpT10_ENKUlT_T0_E_clISt17integral_constantIbLb1EES1O_IbLb0EEEEDaS1K_S1L_EUlS1K_E_NS1_11comp_targetILNS1_3genE0ELNS1_11target_archE4294967295ELNS1_3gpuE0ELNS1_3repE0EEENS1_30default_config_static_selectorELNS0_4arch9wavefront6targetE0EEEvSY_,@function
_ZN7rocprim17ROCPRIM_400000_NS6detail17trampoline_kernelINS0_13select_configILj256ELj13ELNS0_17block_load_methodE3ELS4_3ELS4_3ELNS0_20block_scan_algorithmE0ELj4294967295EEENS1_25partition_config_selectorILNS1_17partition_subalgoE3EjNS0_10empty_typeEbEEZZNS1_14partition_implILS8_3ELb0ES6_jNS0_17counting_iteratorIjlEEPS9_SE_NS0_5tupleIJPjSE_EEENSF_IJSE_SE_EEES9_SG_JZNS1_25segmented_radix_sort_implINS0_14default_configELb1EPKdPdPKlPlN2at6native12_GLOBAL__N_18offset_tEEE10hipError_tPvRmT1_PNSt15iterator_traitsISY_E10value_typeET2_T3_PNSZ_IS14_E10value_typeET4_jRbjT5_S1A_jjP12ihipStream_tbEUljE_EEESV_SW_SX_S14_S18_S1A_T6_T7_T9_mT8_S1C_bDpT10_ENKUlT_T0_E_clISt17integral_constantIbLb1EES1O_IbLb0EEEEDaS1K_S1L_EUlS1K_E_NS1_11comp_targetILNS1_3genE0ELNS1_11target_archE4294967295ELNS1_3gpuE0ELNS1_3repE0EEENS1_30default_config_static_selectorELNS0_4arch9wavefront6targetE0EEEvSY_: ; @_ZN7rocprim17ROCPRIM_400000_NS6detail17trampoline_kernelINS0_13select_configILj256ELj13ELNS0_17block_load_methodE3ELS4_3ELS4_3ELNS0_20block_scan_algorithmE0ELj4294967295EEENS1_25partition_config_selectorILNS1_17partition_subalgoE3EjNS0_10empty_typeEbEEZZNS1_14partition_implILS8_3ELb0ES6_jNS0_17counting_iteratorIjlEEPS9_SE_NS0_5tupleIJPjSE_EEENSF_IJSE_SE_EEES9_SG_JZNS1_25segmented_radix_sort_implINS0_14default_configELb1EPKdPdPKlPlN2at6native12_GLOBAL__N_18offset_tEEE10hipError_tPvRmT1_PNSt15iterator_traitsISY_E10value_typeET2_T3_PNSZ_IS14_E10value_typeET4_jRbjT5_S1A_jjP12ihipStream_tbEUljE_EEESV_SW_SX_S14_S18_S1A_T6_T7_T9_mT8_S1C_bDpT10_ENKUlT_T0_E_clISt17integral_constantIbLb1EES1O_IbLb0EEEEDaS1K_S1L_EUlS1K_E_NS1_11comp_targetILNS1_3genE0ELNS1_11target_archE4294967295ELNS1_3gpuE0ELNS1_3repE0EEENS1_30default_config_static_selectorELNS0_4arch9wavefront6targetE0EEEvSY_
; %bb.0:
	.section	.rodata,"a",@progbits
	.p2align	6, 0x0
	.amdhsa_kernel _ZN7rocprim17ROCPRIM_400000_NS6detail17trampoline_kernelINS0_13select_configILj256ELj13ELNS0_17block_load_methodE3ELS4_3ELS4_3ELNS0_20block_scan_algorithmE0ELj4294967295EEENS1_25partition_config_selectorILNS1_17partition_subalgoE3EjNS0_10empty_typeEbEEZZNS1_14partition_implILS8_3ELb0ES6_jNS0_17counting_iteratorIjlEEPS9_SE_NS0_5tupleIJPjSE_EEENSF_IJSE_SE_EEES9_SG_JZNS1_25segmented_radix_sort_implINS0_14default_configELb1EPKdPdPKlPlN2at6native12_GLOBAL__N_18offset_tEEE10hipError_tPvRmT1_PNSt15iterator_traitsISY_E10value_typeET2_T3_PNSZ_IS14_E10value_typeET4_jRbjT5_S1A_jjP12ihipStream_tbEUljE_EEESV_SW_SX_S14_S18_S1A_T6_T7_T9_mT8_S1C_bDpT10_ENKUlT_T0_E_clISt17integral_constantIbLb1EES1O_IbLb0EEEEDaS1K_S1L_EUlS1K_E_NS1_11comp_targetILNS1_3genE0ELNS1_11target_archE4294967295ELNS1_3gpuE0ELNS1_3repE0EEENS1_30default_config_static_selectorELNS0_4arch9wavefront6targetE0EEEvSY_
		.amdhsa_group_segment_fixed_size 0
		.amdhsa_private_segment_fixed_size 0
		.amdhsa_kernarg_size 144
		.amdhsa_user_sgpr_count 2
		.amdhsa_user_sgpr_dispatch_ptr 0
		.amdhsa_user_sgpr_queue_ptr 0
		.amdhsa_user_sgpr_kernarg_segment_ptr 1
		.amdhsa_user_sgpr_dispatch_id 0
		.amdhsa_user_sgpr_private_segment_size 0
		.amdhsa_wavefront_size32 1
		.amdhsa_uses_dynamic_stack 0
		.amdhsa_enable_private_segment 0
		.amdhsa_system_sgpr_workgroup_id_x 1
		.amdhsa_system_sgpr_workgroup_id_y 0
		.amdhsa_system_sgpr_workgroup_id_z 0
		.amdhsa_system_sgpr_workgroup_info 0
		.amdhsa_system_vgpr_workitem_id 0
		.amdhsa_next_free_vgpr 1
		.amdhsa_next_free_sgpr 1
		.amdhsa_reserve_vcc 0
		.amdhsa_float_round_mode_32 0
		.amdhsa_float_round_mode_16_64 0
		.amdhsa_float_denorm_mode_32 3
		.amdhsa_float_denorm_mode_16_64 3
		.amdhsa_fp16_overflow 0
		.amdhsa_workgroup_processor_mode 1
		.amdhsa_memory_ordered 1
		.amdhsa_forward_progress 1
		.amdhsa_inst_pref_size 0
		.amdhsa_round_robin_scheduling 0
		.amdhsa_exception_fp_ieee_invalid_op 0
		.amdhsa_exception_fp_denorm_src 0
		.amdhsa_exception_fp_ieee_div_zero 0
		.amdhsa_exception_fp_ieee_overflow 0
		.amdhsa_exception_fp_ieee_underflow 0
		.amdhsa_exception_fp_ieee_inexact 0
		.amdhsa_exception_int_div_zero 0
	.end_amdhsa_kernel
	.section	.text._ZN7rocprim17ROCPRIM_400000_NS6detail17trampoline_kernelINS0_13select_configILj256ELj13ELNS0_17block_load_methodE3ELS4_3ELS4_3ELNS0_20block_scan_algorithmE0ELj4294967295EEENS1_25partition_config_selectorILNS1_17partition_subalgoE3EjNS0_10empty_typeEbEEZZNS1_14partition_implILS8_3ELb0ES6_jNS0_17counting_iteratorIjlEEPS9_SE_NS0_5tupleIJPjSE_EEENSF_IJSE_SE_EEES9_SG_JZNS1_25segmented_radix_sort_implINS0_14default_configELb1EPKdPdPKlPlN2at6native12_GLOBAL__N_18offset_tEEE10hipError_tPvRmT1_PNSt15iterator_traitsISY_E10value_typeET2_T3_PNSZ_IS14_E10value_typeET4_jRbjT5_S1A_jjP12ihipStream_tbEUljE_EEESV_SW_SX_S14_S18_S1A_T6_T7_T9_mT8_S1C_bDpT10_ENKUlT_T0_E_clISt17integral_constantIbLb1EES1O_IbLb0EEEEDaS1K_S1L_EUlS1K_E_NS1_11comp_targetILNS1_3genE0ELNS1_11target_archE4294967295ELNS1_3gpuE0ELNS1_3repE0EEENS1_30default_config_static_selectorELNS0_4arch9wavefront6targetE0EEEvSY_,"axG",@progbits,_ZN7rocprim17ROCPRIM_400000_NS6detail17trampoline_kernelINS0_13select_configILj256ELj13ELNS0_17block_load_methodE3ELS4_3ELS4_3ELNS0_20block_scan_algorithmE0ELj4294967295EEENS1_25partition_config_selectorILNS1_17partition_subalgoE3EjNS0_10empty_typeEbEEZZNS1_14partition_implILS8_3ELb0ES6_jNS0_17counting_iteratorIjlEEPS9_SE_NS0_5tupleIJPjSE_EEENSF_IJSE_SE_EEES9_SG_JZNS1_25segmented_radix_sort_implINS0_14default_configELb1EPKdPdPKlPlN2at6native12_GLOBAL__N_18offset_tEEE10hipError_tPvRmT1_PNSt15iterator_traitsISY_E10value_typeET2_T3_PNSZ_IS14_E10value_typeET4_jRbjT5_S1A_jjP12ihipStream_tbEUljE_EEESV_SW_SX_S14_S18_S1A_T6_T7_T9_mT8_S1C_bDpT10_ENKUlT_T0_E_clISt17integral_constantIbLb1EES1O_IbLb0EEEEDaS1K_S1L_EUlS1K_E_NS1_11comp_targetILNS1_3genE0ELNS1_11target_archE4294967295ELNS1_3gpuE0ELNS1_3repE0EEENS1_30default_config_static_selectorELNS0_4arch9wavefront6targetE0EEEvSY_,comdat
.Lfunc_end1102:
	.size	_ZN7rocprim17ROCPRIM_400000_NS6detail17trampoline_kernelINS0_13select_configILj256ELj13ELNS0_17block_load_methodE3ELS4_3ELS4_3ELNS0_20block_scan_algorithmE0ELj4294967295EEENS1_25partition_config_selectorILNS1_17partition_subalgoE3EjNS0_10empty_typeEbEEZZNS1_14partition_implILS8_3ELb0ES6_jNS0_17counting_iteratorIjlEEPS9_SE_NS0_5tupleIJPjSE_EEENSF_IJSE_SE_EEES9_SG_JZNS1_25segmented_radix_sort_implINS0_14default_configELb1EPKdPdPKlPlN2at6native12_GLOBAL__N_18offset_tEEE10hipError_tPvRmT1_PNSt15iterator_traitsISY_E10value_typeET2_T3_PNSZ_IS14_E10value_typeET4_jRbjT5_S1A_jjP12ihipStream_tbEUljE_EEESV_SW_SX_S14_S18_S1A_T6_T7_T9_mT8_S1C_bDpT10_ENKUlT_T0_E_clISt17integral_constantIbLb1EES1O_IbLb0EEEEDaS1K_S1L_EUlS1K_E_NS1_11comp_targetILNS1_3genE0ELNS1_11target_archE4294967295ELNS1_3gpuE0ELNS1_3repE0EEENS1_30default_config_static_selectorELNS0_4arch9wavefront6targetE0EEEvSY_, .Lfunc_end1102-_ZN7rocprim17ROCPRIM_400000_NS6detail17trampoline_kernelINS0_13select_configILj256ELj13ELNS0_17block_load_methodE3ELS4_3ELS4_3ELNS0_20block_scan_algorithmE0ELj4294967295EEENS1_25partition_config_selectorILNS1_17partition_subalgoE3EjNS0_10empty_typeEbEEZZNS1_14partition_implILS8_3ELb0ES6_jNS0_17counting_iteratorIjlEEPS9_SE_NS0_5tupleIJPjSE_EEENSF_IJSE_SE_EEES9_SG_JZNS1_25segmented_radix_sort_implINS0_14default_configELb1EPKdPdPKlPlN2at6native12_GLOBAL__N_18offset_tEEE10hipError_tPvRmT1_PNSt15iterator_traitsISY_E10value_typeET2_T3_PNSZ_IS14_E10value_typeET4_jRbjT5_S1A_jjP12ihipStream_tbEUljE_EEESV_SW_SX_S14_S18_S1A_T6_T7_T9_mT8_S1C_bDpT10_ENKUlT_T0_E_clISt17integral_constantIbLb1EES1O_IbLb0EEEEDaS1K_S1L_EUlS1K_E_NS1_11comp_targetILNS1_3genE0ELNS1_11target_archE4294967295ELNS1_3gpuE0ELNS1_3repE0EEENS1_30default_config_static_selectorELNS0_4arch9wavefront6targetE0EEEvSY_
                                        ; -- End function
	.set _ZN7rocprim17ROCPRIM_400000_NS6detail17trampoline_kernelINS0_13select_configILj256ELj13ELNS0_17block_load_methodE3ELS4_3ELS4_3ELNS0_20block_scan_algorithmE0ELj4294967295EEENS1_25partition_config_selectorILNS1_17partition_subalgoE3EjNS0_10empty_typeEbEEZZNS1_14partition_implILS8_3ELb0ES6_jNS0_17counting_iteratorIjlEEPS9_SE_NS0_5tupleIJPjSE_EEENSF_IJSE_SE_EEES9_SG_JZNS1_25segmented_radix_sort_implINS0_14default_configELb1EPKdPdPKlPlN2at6native12_GLOBAL__N_18offset_tEEE10hipError_tPvRmT1_PNSt15iterator_traitsISY_E10value_typeET2_T3_PNSZ_IS14_E10value_typeET4_jRbjT5_S1A_jjP12ihipStream_tbEUljE_EEESV_SW_SX_S14_S18_S1A_T6_T7_T9_mT8_S1C_bDpT10_ENKUlT_T0_E_clISt17integral_constantIbLb1EES1O_IbLb0EEEEDaS1K_S1L_EUlS1K_E_NS1_11comp_targetILNS1_3genE0ELNS1_11target_archE4294967295ELNS1_3gpuE0ELNS1_3repE0EEENS1_30default_config_static_selectorELNS0_4arch9wavefront6targetE0EEEvSY_.num_vgpr, 0
	.set _ZN7rocprim17ROCPRIM_400000_NS6detail17trampoline_kernelINS0_13select_configILj256ELj13ELNS0_17block_load_methodE3ELS4_3ELS4_3ELNS0_20block_scan_algorithmE0ELj4294967295EEENS1_25partition_config_selectorILNS1_17partition_subalgoE3EjNS0_10empty_typeEbEEZZNS1_14partition_implILS8_3ELb0ES6_jNS0_17counting_iteratorIjlEEPS9_SE_NS0_5tupleIJPjSE_EEENSF_IJSE_SE_EEES9_SG_JZNS1_25segmented_radix_sort_implINS0_14default_configELb1EPKdPdPKlPlN2at6native12_GLOBAL__N_18offset_tEEE10hipError_tPvRmT1_PNSt15iterator_traitsISY_E10value_typeET2_T3_PNSZ_IS14_E10value_typeET4_jRbjT5_S1A_jjP12ihipStream_tbEUljE_EEESV_SW_SX_S14_S18_S1A_T6_T7_T9_mT8_S1C_bDpT10_ENKUlT_T0_E_clISt17integral_constantIbLb1EES1O_IbLb0EEEEDaS1K_S1L_EUlS1K_E_NS1_11comp_targetILNS1_3genE0ELNS1_11target_archE4294967295ELNS1_3gpuE0ELNS1_3repE0EEENS1_30default_config_static_selectorELNS0_4arch9wavefront6targetE0EEEvSY_.num_agpr, 0
	.set _ZN7rocprim17ROCPRIM_400000_NS6detail17trampoline_kernelINS0_13select_configILj256ELj13ELNS0_17block_load_methodE3ELS4_3ELS4_3ELNS0_20block_scan_algorithmE0ELj4294967295EEENS1_25partition_config_selectorILNS1_17partition_subalgoE3EjNS0_10empty_typeEbEEZZNS1_14partition_implILS8_3ELb0ES6_jNS0_17counting_iteratorIjlEEPS9_SE_NS0_5tupleIJPjSE_EEENSF_IJSE_SE_EEES9_SG_JZNS1_25segmented_radix_sort_implINS0_14default_configELb1EPKdPdPKlPlN2at6native12_GLOBAL__N_18offset_tEEE10hipError_tPvRmT1_PNSt15iterator_traitsISY_E10value_typeET2_T3_PNSZ_IS14_E10value_typeET4_jRbjT5_S1A_jjP12ihipStream_tbEUljE_EEESV_SW_SX_S14_S18_S1A_T6_T7_T9_mT8_S1C_bDpT10_ENKUlT_T0_E_clISt17integral_constantIbLb1EES1O_IbLb0EEEEDaS1K_S1L_EUlS1K_E_NS1_11comp_targetILNS1_3genE0ELNS1_11target_archE4294967295ELNS1_3gpuE0ELNS1_3repE0EEENS1_30default_config_static_selectorELNS0_4arch9wavefront6targetE0EEEvSY_.numbered_sgpr, 0
	.set _ZN7rocprim17ROCPRIM_400000_NS6detail17trampoline_kernelINS0_13select_configILj256ELj13ELNS0_17block_load_methodE3ELS4_3ELS4_3ELNS0_20block_scan_algorithmE0ELj4294967295EEENS1_25partition_config_selectorILNS1_17partition_subalgoE3EjNS0_10empty_typeEbEEZZNS1_14partition_implILS8_3ELb0ES6_jNS0_17counting_iteratorIjlEEPS9_SE_NS0_5tupleIJPjSE_EEENSF_IJSE_SE_EEES9_SG_JZNS1_25segmented_radix_sort_implINS0_14default_configELb1EPKdPdPKlPlN2at6native12_GLOBAL__N_18offset_tEEE10hipError_tPvRmT1_PNSt15iterator_traitsISY_E10value_typeET2_T3_PNSZ_IS14_E10value_typeET4_jRbjT5_S1A_jjP12ihipStream_tbEUljE_EEESV_SW_SX_S14_S18_S1A_T6_T7_T9_mT8_S1C_bDpT10_ENKUlT_T0_E_clISt17integral_constantIbLb1EES1O_IbLb0EEEEDaS1K_S1L_EUlS1K_E_NS1_11comp_targetILNS1_3genE0ELNS1_11target_archE4294967295ELNS1_3gpuE0ELNS1_3repE0EEENS1_30default_config_static_selectorELNS0_4arch9wavefront6targetE0EEEvSY_.num_named_barrier, 0
	.set _ZN7rocprim17ROCPRIM_400000_NS6detail17trampoline_kernelINS0_13select_configILj256ELj13ELNS0_17block_load_methodE3ELS4_3ELS4_3ELNS0_20block_scan_algorithmE0ELj4294967295EEENS1_25partition_config_selectorILNS1_17partition_subalgoE3EjNS0_10empty_typeEbEEZZNS1_14partition_implILS8_3ELb0ES6_jNS0_17counting_iteratorIjlEEPS9_SE_NS0_5tupleIJPjSE_EEENSF_IJSE_SE_EEES9_SG_JZNS1_25segmented_radix_sort_implINS0_14default_configELb1EPKdPdPKlPlN2at6native12_GLOBAL__N_18offset_tEEE10hipError_tPvRmT1_PNSt15iterator_traitsISY_E10value_typeET2_T3_PNSZ_IS14_E10value_typeET4_jRbjT5_S1A_jjP12ihipStream_tbEUljE_EEESV_SW_SX_S14_S18_S1A_T6_T7_T9_mT8_S1C_bDpT10_ENKUlT_T0_E_clISt17integral_constantIbLb1EES1O_IbLb0EEEEDaS1K_S1L_EUlS1K_E_NS1_11comp_targetILNS1_3genE0ELNS1_11target_archE4294967295ELNS1_3gpuE0ELNS1_3repE0EEENS1_30default_config_static_selectorELNS0_4arch9wavefront6targetE0EEEvSY_.private_seg_size, 0
	.set _ZN7rocprim17ROCPRIM_400000_NS6detail17trampoline_kernelINS0_13select_configILj256ELj13ELNS0_17block_load_methodE3ELS4_3ELS4_3ELNS0_20block_scan_algorithmE0ELj4294967295EEENS1_25partition_config_selectorILNS1_17partition_subalgoE3EjNS0_10empty_typeEbEEZZNS1_14partition_implILS8_3ELb0ES6_jNS0_17counting_iteratorIjlEEPS9_SE_NS0_5tupleIJPjSE_EEENSF_IJSE_SE_EEES9_SG_JZNS1_25segmented_radix_sort_implINS0_14default_configELb1EPKdPdPKlPlN2at6native12_GLOBAL__N_18offset_tEEE10hipError_tPvRmT1_PNSt15iterator_traitsISY_E10value_typeET2_T3_PNSZ_IS14_E10value_typeET4_jRbjT5_S1A_jjP12ihipStream_tbEUljE_EEESV_SW_SX_S14_S18_S1A_T6_T7_T9_mT8_S1C_bDpT10_ENKUlT_T0_E_clISt17integral_constantIbLb1EES1O_IbLb0EEEEDaS1K_S1L_EUlS1K_E_NS1_11comp_targetILNS1_3genE0ELNS1_11target_archE4294967295ELNS1_3gpuE0ELNS1_3repE0EEENS1_30default_config_static_selectorELNS0_4arch9wavefront6targetE0EEEvSY_.uses_vcc, 0
	.set _ZN7rocprim17ROCPRIM_400000_NS6detail17trampoline_kernelINS0_13select_configILj256ELj13ELNS0_17block_load_methodE3ELS4_3ELS4_3ELNS0_20block_scan_algorithmE0ELj4294967295EEENS1_25partition_config_selectorILNS1_17partition_subalgoE3EjNS0_10empty_typeEbEEZZNS1_14partition_implILS8_3ELb0ES6_jNS0_17counting_iteratorIjlEEPS9_SE_NS0_5tupleIJPjSE_EEENSF_IJSE_SE_EEES9_SG_JZNS1_25segmented_radix_sort_implINS0_14default_configELb1EPKdPdPKlPlN2at6native12_GLOBAL__N_18offset_tEEE10hipError_tPvRmT1_PNSt15iterator_traitsISY_E10value_typeET2_T3_PNSZ_IS14_E10value_typeET4_jRbjT5_S1A_jjP12ihipStream_tbEUljE_EEESV_SW_SX_S14_S18_S1A_T6_T7_T9_mT8_S1C_bDpT10_ENKUlT_T0_E_clISt17integral_constantIbLb1EES1O_IbLb0EEEEDaS1K_S1L_EUlS1K_E_NS1_11comp_targetILNS1_3genE0ELNS1_11target_archE4294967295ELNS1_3gpuE0ELNS1_3repE0EEENS1_30default_config_static_selectorELNS0_4arch9wavefront6targetE0EEEvSY_.uses_flat_scratch, 0
	.set _ZN7rocprim17ROCPRIM_400000_NS6detail17trampoline_kernelINS0_13select_configILj256ELj13ELNS0_17block_load_methodE3ELS4_3ELS4_3ELNS0_20block_scan_algorithmE0ELj4294967295EEENS1_25partition_config_selectorILNS1_17partition_subalgoE3EjNS0_10empty_typeEbEEZZNS1_14partition_implILS8_3ELb0ES6_jNS0_17counting_iteratorIjlEEPS9_SE_NS0_5tupleIJPjSE_EEENSF_IJSE_SE_EEES9_SG_JZNS1_25segmented_radix_sort_implINS0_14default_configELb1EPKdPdPKlPlN2at6native12_GLOBAL__N_18offset_tEEE10hipError_tPvRmT1_PNSt15iterator_traitsISY_E10value_typeET2_T3_PNSZ_IS14_E10value_typeET4_jRbjT5_S1A_jjP12ihipStream_tbEUljE_EEESV_SW_SX_S14_S18_S1A_T6_T7_T9_mT8_S1C_bDpT10_ENKUlT_T0_E_clISt17integral_constantIbLb1EES1O_IbLb0EEEEDaS1K_S1L_EUlS1K_E_NS1_11comp_targetILNS1_3genE0ELNS1_11target_archE4294967295ELNS1_3gpuE0ELNS1_3repE0EEENS1_30default_config_static_selectorELNS0_4arch9wavefront6targetE0EEEvSY_.has_dyn_sized_stack, 0
	.set _ZN7rocprim17ROCPRIM_400000_NS6detail17trampoline_kernelINS0_13select_configILj256ELj13ELNS0_17block_load_methodE3ELS4_3ELS4_3ELNS0_20block_scan_algorithmE0ELj4294967295EEENS1_25partition_config_selectorILNS1_17partition_subalgoE3EjNS0_10empty_typeEbEEZZNS1_14partition_implILS8_3ELb0ES6_jNS0_17counting_iteratorIjlEEPS9_SE_NS0_5tupleIJPjSE_EEENSF_IJSE_SE_EEES9_SG_JZNS1_25segmented_radix_sort_implINS0_14default_configELb1EPKdPdPKlPlN2at6native12_GLOBAL__N_18offset_tEEE10hipError_tPvRmT1_PNSt15iterator_traitsISY_E10value_typeET2_T3_PNSZ_IS14_E10value_typeET4_jRbjT5_S1A_jjP12ihipStream_tbEUljE_EEESV_SW_SX_S14_S18_S1A_T6_T7_T9_mT8_S1C_bDpT10_ENKUlT_T0_E_clISt17integral_constantIbLb1EES1O_IbLb0EEEEDaS1K_S1L_EUlS1K_E_NS1_11comp_targetILNS1_3genE0ELNS1_11target_archE4294967295ELNS1_3gpuE0ELNS1_3repE0EEENS1_30default_config_static_selectorELNS0_4arch9wavefront6targetE0EEEvSY_.has_recursion, 0
	.set _ZN7rocprim17ROCPRIM_400000_NS6detail17trampoline_kernelINS0_13select_configILj256ELj13ELNS0_17block_load_methodE3ELS4_3ELS4_3ELNS0_20block_scan_algorithmE0ELj4294967295EEENS1_25partition_config_selectorILNS1_17partition_subalgoE3EjNS0_10empty_typeEbEEZZNS1_14partition_implILS8_3ELb0ES6_jNS0_17counting_iteratorIjlEEPS9_SE_NS0_5tupleIJPjSE_EEENSF_IJSE_SE_EEES9_SG_JZNS1_25segmented_radix_sort_implINS0_14default_configELb1EPKdPdPKlPlN2at6native12_GLOBAL__N_18offset_tEEE10hipError_tPvRmT1_PNSt15iterator_traitsISY_E10value_typeET2_T3_PNSZ_IS14_E10value_typeET4_jRbjT5_S1A_jjP12ihipStream_tbEUljE_EEESV_SW_SX_S14_S18_S1A_T6_T7_T9_mT8_S1C_bDpT10_ENKUlT_T0_E_clISt17integral_constantIbLb1EES1O_IbLb0EEEEDaS1K_S1L_EUlS1K_E_NS1_11comp_targetILNS1_3genE0ELNS1_11target_archE4294967295ELNS1_3gpuE0ELNS1_3repE0EEENS1_30default_config_static_selectorELNS0_4arch9wavefront6targetE0EEEvSY_.has_indirect_call, 0
	.section	.AMDGPU.csdata,"",@progbits
; Kernel info:
; codeLenInByte = 0
; TotalNumSgprs: 0
; NumVgprs: 0
; ScratchSize: 0
; MemoryBound: 0
; FloatMode: 240
; IeeeMode: 1
; LDSByteSize: 0 bytes/workgroup (compile time only)
; SGPRBlocks: 0
; VGPRBlocks: 0
; NumSGPRsForWavesPerEU: 1
; NumVGPRsForWavesPerEU: 1
; Occupancy: 16
; WaveLimiterHint : 0
; COMPUTE_PGM_RSRC2:SCRATCH_EN: 0
; COMPUTE_PGM_RSRC2:USER_SGPR: 2
; COMPUTE_PGM_RSRC2:TRAP_HANDLER: 0
; COMPUTE_PGM_RSRC2:TGID_X_EN: 1
; COMPUTE_PGM_RSRC2:TGID_Y_EN: 0
; COMPUTE_PGM_RSRC2:TGID_Z_EN: 0
; COMPUTE_PGM_RSRC2:TIDIG_COMP_CNT: 0
	.section	.text._ZN7rocprim17ROCPRIM_400000_NS6detail17trampoline_kernelINS0_13select_configILj256ELj13ELNS0_17block_load_methodE3ELS4_3ELS4_3ELNS0_20block_scan_algorithmE0ELj4294967295EEENS1_25partition_config_selectorILNS1_17partition_subalgoE3EjNS0_10empty_typeEbEEZZNS1_14partition_implILS8_3ELb0ES6_jNS0_17counting_iteratorIjlEEPS9_SE_NS0_5tupleIJPjSE_EEENSF_IJSE_SE_EEES9_SG_JZNS1_25segmented_radix_sort_implINS0_14default_configELb1EPKdPdPKlPlN2at6native12_GLOBAL__N_18offset_tEEE10hipError_tPvRmT1_PNSt15iterator_traitsISY_E10value_typeET2_T3_PNSZ_IS14_E10value_typeET4_jRbjT5_S1A_jjP12ihipStream_tbEUljE_EEESV_SW_SX_S14_S18_S1A_T6_T7_T9_mT8_S1C_bDpT10_ENKUlT_T0_E_clISt17integral_constantIbLb1EES1O_IbLb0EEEEDaS1K_S1L_EUlS1K_E_NS1_11comp_targetILNS1_3genE5ELNS1_11target_archE942ELNS1_3gpuE9ELNS1_3repE0EEENS1_30default_config_static_selectorELNS0_4arch9wavefront6targetE0EEEvSY_,"axG",@progbits,_ZN7rocprim17ROCPRIM_400000_NS6detail17trampoline_kernelINS0_13select_configILj256ELj13ELNS0_17block_load_methodE3ELS4_3ELS4_3ELNS0_20block_scan_algorithmE0ELj4294967295EEENS1_25partition_config_selectorILNS1_17partition_subalgoE3EjNS0_10empty_typeEbEEZZNS1_14partition_implILS8_3ELb0ES6_jNS0_17counting_iteratorIjlEEPS9_SE_NS0_5tupleIJPjSE_EEENSF_IJSE_SE_EEES9_SG_JZNS1_25segmented_radix_sort_implINS0_14default_configELb1EPKdPdPKlPlN2at6native12_GLOBAL__N_18offset_tEEE10hipError_tPvRmT1_PNSt15iterator_traitsISY_E10value_typeET2_T3_PNSZ_IS14_E10value_typeET4_jRbjT5_S1A_jjP12ihipStream_tbEUljE_EEESV_SW_SX_S14_S18_S1A_T6_T7_T9_mT8_S1C_bDpT10_ENKUlT_T0_E_clISt17integral_constantIbLb1EES1O_IbLb0EEEEDaS1K_S1L_EUlS1K_E_NS1_11comp_targetILNS1_3genE5ELNS1_11target_archE942ELNS1_3gpuE9ELNS1_3repE0EEENS1_30default_config_static_selectorELNS0_4arch9wavefront6targetE0EEEvSY_,comdat
	.globl	_ZN7rocprim17ROCPRIM_400000_NS6detail17trampoline_kernelINS0_13select_configILj256ELj13ELNS0_17block_load_methodE3ELS4_3ELS4_3ELNS0_20block_scan_algorithmE0ELj4294967295EEENS1_25partition_config_selectorILNS1_17partition_subalgoE3EjNS0_10empty_typeEbEEZZNS1_14partition_implILS8_3ELb0ES6_jNS0_17counting_iteratorIjlEEPS9_SE_NS0_5tupleIJPjSE_EEENSF_IJSE_SE_EEES9_SG_JZNS1_25segmented_radix_sort_implINS0_14default_configELb1EPKdPdPKlPlN2at6native12_GLOBAL__N_18offset_tEEE10hipError_tPvRmT1_PNSt15iterator_traitsISY_E10value_typeET2_T3_PNSZ_IS14_E10value_typeET4_jRbjT5_S1A_jjP12ihipStream_tbEUljE_EEESV_SW_SX_S14_S18_S1A_T6_T7_T9_mT8_S1C_bDpT10_ENKUlT_T0_E_clISt17integral_constantIbLb1EES1O_IbLb0EEEEDaS1K_S1L_EUlS1K_E_NS1_11comp_targetILNS1_3genE5ELNS1_11target_archE942ELNS1_3gpuE9ELNS1_3repE0EEENS1_30default_config_static_selectorELNS0_4arch9wavefront6targetE0EEEvSY_ ; -- Begin function _ZN7rocprim17ROCPRIM_400000_NS6detail17trampoline_kernelINS0_13select_configILj256ELj13ELNS0_17block_load_methodE3ELS4_3ELS4_3ELNS0_20block_scan_algorithmE0ELj4294967295EEENS1_25partition_config_selectorILNS1_17partition_subalgoE3EjNS0_10empty_typeEbEEZZNS1_14partition_implILS8_3ELb0ES6_jNS0_17counting_iteratorIjlEEPS9_SE_NS0_5tupleIJPjSE_EEENSF_IJSE_SE_EEES9_SG_JZNS1_25segmented_radix_sort_implINS0_14default_configELb1EPKdPdPKlPlN2at6native12_GLOBAL__N_18offset_tEEE10hipError_tPvRmT1_PNSt15iterator_traitsISY_E10value_typeET2_T3_PNSZ_IS14_E10value_typeET4_jRbjT5_S1A_jjP12ihipStream_tbEUljE_EEESV_SW_SX_S14_S18_S1A_T6_T7_T9_mT8_S1C_bDpT10_ENKUlT_T0_E_clISt17integral_constantIbLb1EES1O_IbLb0EEEEDaS1K_S1L_EUlS1K_E_NS1_11comp_targetILNS1_3genE5ELNS1_11target_archE942ELNS1_3gpuE9ELNS1_3repE0EEENS1_30default_config_static_selectorELNS0_4arch9wavefront6targetE0EEEvSY_
	.p2align	8
	.type	_ZN7rocprim17ROCPRIM_400000_NS6detail17trampoline_kernelINS0_13select_configILj256ELj13ELNS0_17block_load_methodE3ELS4_3ELS4_3ELNS0_20block_scan_algorithmE0ELj4294967295EEENS1_25partition_config_selectorILNS1_17partition_subalgoE3EjNS0_10empty_typeEbEEZZNS1_14partition_implILS8_3ELb0ES6_jNS0_17counting_iteratorIjlEEPS9_SE_NS0_5tupleIJPjSE_EEENSF_IJSE_SE_EEES9_SG_JZNS1_25segmented_radix_sort_implINS0_14default_configELb1EPKdPdPKlPlN2at6native12_GLOBAL__N_18offset_tEEE10hipError_tPvRmT1_PNSt15iterator_traitsISY_E10value_typeET2_T3_PNSZ_IS14_E10value_typeET4_jRbjT5_S1A_jjP12ihipStream_tbEUljE_EEESV_SW_SX_S14_S18_S1A_T6_T7_T9_mT8_S1C_bDpT10_ENKUlT_T0_E_clISt17integral_constantIbLb1EES1O_IbLb0EEEEDaS1K_S1L_EUlS1K_E_NS1_11comp_targetILNS1_3genE5ELNS1_11target_archE942ELNS1_3gpuE9ELNS1_3repE0EEENS1_30default_config_static_selectorELNS0_4arch9wavefront6targetE0EEEvSY_,@function
_ZN7rocprim17ROCPRIM_400000_NS6detail17trampoline_kernelINS0_13select_configILj256ELj13ELNS0_17block_load_methodE3ELS4_3ELS4_3ELNS0_20block_scan_algorithmE0ELj4294967295EEENS1_25partition_config_selectorILNS1_17partition_subalgoE3EjNS0_10empty_typeEbEEZZNS1_14partition_implILS8_3ELb0ES6_jNS0_17counting_iteratorIjlEEPS9_SE_NS0_5tupleIJPjSE_EEENSF_IJSE_SE_EEES9_SG_JZNS1_25segmented_radix_sort_implINS0_14default_configELb1EPKdPdPKlPlN2at6native12_GLOBAL__N_18offset_tEEE10hipError_tPvRmT1_PNSt15iterator_traitsISY_E10value_typeET2_T3_PNSZ_IS14_E10value_typeET4_jRbjT5_S1A_jjP12ihipStream_tbEUljE_EEESV_SW_SX_S14_S18_S1A_T6_T7_T9_mT8_S1C_bDpT10_ENKUlT_T0_E_clISt17integral_constantIbLb1EES1O_IbLb0EEEEDaS1K_S1L_EUlS1K_E_NS1_11comp_targetILNS1_3genE5ELNS1_11target_archE942ELNS1_3gpuE9ELNS1_3repE0EEENS1_30default_config_static_selectorELNS0_4arch9wavefront6targetE0EEEvSY_: ; @_ZN7rocprim17ROCPRIM_400000_NS6detail17trampoline_kernelINS0_13select_configILj256ELj13ELNS0_17block_load_methodE3ELS4_3ELS4_3ELNS0_20block_scan_algorithmE0ELj4294967295EEENS1_25partition_config_selectorILNS1_17partition_subalgoE3EjNS0_10empty_typeEbEEZZNS1_14partition_implILS8_3ELb0ES6_jNS0_17counting_iteratorIjlEEPS9_SE_NS0_5tupleIJPjSE_EEENSF_IJSE_SE_EEES9_SG_JZNS1_25segmented_radix_sort_implINS0_14default_configELb1EPKdPdPKlPlN2at6native12_GLOBAL__N_18offset_tEEE10hipError_tPvRmT1_PNSt15iterator_traitsISY_E10value_typeET2_T3_PNSZ_IS14_E10value_typeET4_jRbjT5_S1A_jjP12ihipStream_tbEUljE_EEESV_SW_SX_S14_S18_S1A_T6_T7_T9_mT8_S1C_bDpT10_ENKUlT_T0_E_clISt17integral_constantIbLb1EES1O_IbLb0EEEEDaS1K_S1L_EUlS1K_E_NS1_11comp_targetILNS1_3genE5ELNS1_11target_archE942ELNS1_3gpuE9ELNS1_3repE0EEENS1_30default_config_static_selectorELNS0_4arch9wavefront6targetE0EEEvSY_
; %bb.0:
	.section	.rodata,"a",@progbits
	.p2align	6, 0x0
	.amdhsa_kernel _ZN7rocprim17ROCPRIM_400000_NS6detail17trampoline_kernelINS0_13select_configILj256ELj13ELNS0_17block_load_methodE3ELS4_3ELS4_3ELNS0_20block_scan_algorithmE0ELj4294967295EEENS1_25partition_config_selectorILNS1_17partition_subalgoE3EjNS0_10empty_typeEbEEZZNS1_14partition_implILS8_3ELb0ES6_jNS0_17counting_iteratorIjlEEPS9_SE_NS0_5tupleIJPjSE_EEENSF_IJSE_SE_EEES9_SG_JZNS1_25segmented_radix_sort_implINS0_14default_configELb1EPKdPdPKlPlN2at6native12_GLOBAL__N_18offset_tEEE10hipError_tPvRmT1_PNSt15iterator_traitsISY_E10value_typeET2_T3_PNSZ_IS14_E10value_typeET4_jRbjT5_S1A_jjP12ihipStream_tbEUljE_EEESV_SW_SX_S14_S18_S1A_T6_T7_T9_mT8_S1C_bDpT10_ENKUlT_T0_E_clISt17integral_constantIbLb1EES1O_IbLb0EEEEDaS1K_S1L_EUlS1K_E_NS1_11comp_targetILNS1_3genE5ELNS1_11target_archE942ELNS1_3gpuE9ELNS1_3repE0EEENS1_30default_config_static_selectorELNS0_4arch9wavefront6targetE0EEEvSY_
		.amdhsa_group_segment_fixed_size 0
		.amdhsa_private_segment_fixed_size 0
		.amdhsa_kernarg_size 144
		.amdhsa_user_sgpr_count 2
		.amdhsa_user_sgpr_dispatch_ptr 0
		.amdhsa_user_sgpr_queue_ptr 0
		.amdhsa_user_sgpr_kernarg_segment_ptr 1
		.amdhsa_user_sgpr_dispatch_id 0
		.amdhsa_user_sgpr_private_segment_size 0
		.amdhsa_wavefront_size32 1
		.amdhsa_uses_dynamic_stack 0
		.amdhsa_enable_private_segment 0
		.amdhsa_system_sgpr_workgroup_id_x 1
		.amdhsa_system_sgpr_workgroup_id_y 0
		.amdhsa_system_sgpr_workgroup_id_z 0
		.amdhsa_system_sgpr_workgroup_info 0
		.amdhsa_system_vgpr_workitem_id 0
		.amdhsa_next_free_vgpr 1
		.amdhsa_next_free_sgpr 1
		.amdhsa_reserve_vcc 0
		.amdhsa_float_round_mode_32 0
		.amdhsa_float_round_mode_16_64 0
		.amdhsa_float_denorm_mode_32 3
		.amdhsa_float_denorm_mode_16_64 3
		.amdhsa_fp16_overflow 0
		.amdhsa_workgroup_processor_mode 1
		.amdhsa_memory_ordered 1
		.amdhsa_forward_progress 1
		.amdhsa_inst_pref_size 0
		.amdhsa_round_robin_scheduling 0
		.amdhsa_exception_fp_ieee_invalid_op 0
		.amdhsa_exception_fp_denorm_src 0
		.amdhsa_exception_fp_ieee_div_zero 0
		.amdhsa_exception_fp_ieee_overflow 0
		.amdhsa_exception_fp_ieee_underflow 0
		.amdhsa_exception_fp_ieee_inexact 0
		.amdhsa_exception_int_div_zero 0
	.end_amdhsa_kernel
	.section	.text._ZN7rocprim17ROCPRIM_400000_NS6detail17trampoline_kernelINS0_13select_configILj256ELj13ELNS0_17block_load_methodE3ELS4_3ELS4_3ELNS0_20block_scan_algorithmE0ELj4294967295EEENS1_25partition_config_selectorILNS1_17partition_subalgoE3EjNS0_10empty_typeEbEEZZNS1_14partition_implILS8_3ELb0ES6_jNS0_17counting_iteratorIjlEEPS9_SE_NS0_5tupleIJPjSE_EEENSF_IJSE_SE_EEES9_SG_JZNS1_25segmented_radix_sort_implINS0_14default_configELb1EPKdPdPKlPlN2at6native12_GLOBAL__N_18offset_tEEE10hipError_tPvRmT1_PNSt15iterator_traitsISY_E10value_typeET2_T3_PNSZ_IS14_E10value_typeET4_jRbjT5_S1A_jjP12ihipStream_tbEUljE_EEESV_SW_SX_S14_S18_S1A_T6_T7_T9_mT8_S1C_bDpT10_ENKUlT_T0_E_clISt17integral_constantIbLb1EES1O_IbLb0EEEEDaS1K_S1L_EUlS1K_E_NS1_11comp_targetILNS1_3genE5ELNS1_11target_archE942ELNS1_3gpuE9ELNS1_3repE0EEENS1_30default_config_static_selectorELNS0_4arch9wavefront6targetE0EEEvSY_,"axG",@progbits,_ZN7rocprim17ROCPRIM_400000_NS6detail17trampoline_kernelINS0_13select_configILj256ELj13ELNS0_17block_load_methodE3ELS4_3ELS4_3ELNS0_20block_scan_algorithmE0ELj4294967295EEENS1_25partition_config_selectorILNS1_17partition_subalgoE3EjNS0_10empty_typeEbEEZZNS1_14partition_implILS8_3ELb0ES6_jNS0_17counting_iteratorIjlEEPS9_SE_NS0_5tupleIJPjSE_EEENSF_IJSE_SE_EEES9_SG_JZNS1_25segmented_radix_sort_implINS0_14default_configELb1EPKdPdPKlPlN2at6native12_GLOBAL__N_18offset_tEEE10hipError_tPvRmT1_PNSt15iterator_traitsISY_E10value_typeET2_T3_PNSZ_IS14_E10value_typeET4_jRbjT5_S1A_jjP12ihipStream_tbEUljE_EEESV_SW_SX_S14_S18_S1A_T6_T7_T9_mT8_S1C_bDpT10_ENKUlT_T0_E_clISt17integral_constantIbLb1EES1O_IbLb0EEEEDaS1K_S1L_EUlS1K_E_NS1_11comp_targetILNS1_3genE5ELNS1_11target_archE942ELNS1_3gpuE9ELNS1_3repE0EEENS1_30default_config_static_selectorELNS0_4arch9wavefront6targetE0EEEvSY_,comdat
.Lfunc_end1103:
	.size	_ZN7rocprim17ROCPRIM_400000_NS6detail17trampoline_kernelINS0_13select_configILj256ELj13ELNS0_17block_load_methodE3ELS4_3ELS4_3ELNS0_20block_scan_algorithmE0ELj4294967295EEENS1_25partition_config_selectorILNS1_17partition_subalgoE3EjNS0_10empty_typeEbEEZZNS1_14partition_implILS8_3ELb0ES6_jNS0_17counting_iteratorIjlEEPS9_SE_NS0_5tupleIJPjSE_EEENSF_IJSE_SE_EEES9_SG_JZNS1_25segmented_radix_sort_implINS0_14default_configELb1EPKdPdPKlPlN2at6native12_GLOBAL__N_18offset_tEEE10hipError_tPvRmT1_PNSt15iterator_traitsISY_E10value_typeET2_T3_PNSZ_IS14_E10value_typeET4_jRbjT5_S1A_jjP12ihipStream_tbEUljE_EEESV_SW_SX_S14_S18_S1A_T6_T7_T9_mT8_S1C_bDpT10_ENKUlT_T0_E_clISt17integral_constantIbLb1EES1O_IbLb0EEEEDaS1K_S1L_EUlS1K_E_NS1_11comp_targetILNS1_3genE5ELNS1_11target_archE942ELNS1_3gpuE9ELNS1_3repE0EEENS1_30default_config_static_selectorELNS0_4arch9wavefront6targetE0EEEvSY_, .Lfunc_end1103-_ZN7rocprim17ROCPRIM_400000_NS6detail17trampoline_kernelINS0_13select_configILj256ELj13ELNS0_17block_load_methodE3ELS4_3ELS4_3ELNS0_20block_scan_algorithmE0ELj4294967295EEENS1_25partition_config_selectorILNS1_17partition_subalgoE3EjNS0_10empty_typeEbEEZZNS1_14partition_implILS8_3ELb0ES6_jNS0_17counting_iteratorIjlEEPS9_SE_NS0_5tupleIJPjSE_EEENSF_IJSE_SE_EEES9_SG_JZNS1_25segmented_radix_sort_implINS0_14default_configELb1EPKdPdPKlPlN2at6native12_GLOBAL__N_18offset_tEEE10hipError_tPvRmT1_PNSt15iterator_traitsISY_E10value_typeET2_T3_PNSZ_IS14_E10value_typeET4_jRbjT5_S1A_jjP12ihipStream_tbEUljE_EEESV_SW_SX_S14_S18_S1A_T6_T7_T9_mT8_S1C_bDpT10_ENKUlT_T0_E_clISt17integral_constantIbLb1EES1O_IbLb0EEEEDaS1K_S1L_EUlS1K_E_NS1_11comp_targetILNS1_3genE5ELNS1_11target_archE942ELNS1_3gpuE9ELNS1_3repE0EEENS1_30default_config_static_selectorELNS0_4arch9wavefront6targetE0EEEvSY_
                                        ; -- End function
	.set _ZN7rocprim17ROCPRIM_400000_NS6detail17trampoline_kernelINS0_13select_configILj256ELj13ELNS0_17block_load_methodE3ELS4_3ELS4_3ELNS0_20block_scan_algorithmE0ELj4294967295EEENS1_25partition_config_selectorILNS1_17partition_subalgoE3EjNS0_10empty_typeEbEEZZNS1_14partition_implILS8_3ELb0ES6_jNS0_17counting_iteratorIjlEEPS9_SE_NS0_5tupleIJPjSE_EEENSF_IJSE_SE_EEES9_SG_JZNS1_25segmented_radix_sort_implINS0_14default_configELb1EPKdPdPKlPlN2at6native12_GLOBAL__N_18offset_tEEE10hipError_tPvRmT1_PNSt15iterator_traitsISY_E10value_typeET2_T3_PNSZ_IS14_E10value_typeET4_jRbjT5_S1A_jjP12ihipStream_tbEUljE_EEESV_SW_SX_S14_S18_S1A_T6_T7_T9_mT8_S1C_bDpT10_ENKUlT_T0_E_clISt17integral_constantIbLb1EES1O_IbLb0EEEEDaS1K_S1L_EUlS1K_E_NS1_11comp_targetILNS1_3genE5ELNS1_11target_archE942ELNS1_3gpuE9ELNS1_3repE0EEENS1_30default_config_static_selectorELNS0_4arch9wavefront6targetE0EEEvSY_.num_vgpr, 0
	.set _ZN7rocprim17ROCPRIM_400000_NS6detail17trampoline_kernelINS0_13select_configILj256ELj13ELNS0_17block_load_methodE3ELS4_3ELS4_3ELNS0_20block_scan_algorithmE0ELj4294967295EEENS1_25partition_config_selectorILNS1_17partition_subalgoE3EjNS0_10empty_typeEbEEZZNS1_14partition_implILS8_3ELb0ES6_jNS0_17counting_iteratorIjlEEPS9_SE_NS0_5tupleIJPjSE_EEENSF_IJSE_SE_EEES9_SG_JZNS1_25segmented_radix_sort_implINS0_14default_configELb1EPKdPdPKlPlN2at6native12_GLOBAL__N_18offset_tEEE10hipError_tPvRmT1_PNSt15iterator_traitsISY_E10value_typeET2_T3_PNSZ_IS14_E10value_typeET4_jRbjT5_S1A_jjP12ihipStream_tbEUljE_EEESV_SW_SX_S14_S18_S1A_T6_T7_T9_mT8_S1C_bDpT10_ENKUlT_T0_E_clISt17integral_constantIbLb1EES1O_IbLb0EEEEDaS1K_S1L_EUlS1K_E_NS1_11comp_targetILNS1_3genE5ELNS1_11target_archE942ELNS1_3gpuE9ELNS1_3repE0EEENS1_30default_config_static_selectorELNS0_4arch9wavefront6targetE0EEEvSY_.num_agpr, 0
	.set _ZN7rocprim17ROCPRIM_400000_NS6detail17trampoline_kernelINS0_13select_configILj256ELj13ELNS0_17block_load_methodE3ELS4_3ELS4_3ELNS0_20block_scan_algorithmE0ELj4294967295EEENS1_25partition_config_selectorILNS1_17partition_subalgoE3EjNS0_10empty_typeEbEEZZNS1_14partition_implILS8_3ELb0ES6_jNS0_17counting_iteratorIjlEEPS9_SE_NS0_5tupleIJPjSE_EEENSF_IJSE_SE_EEES9_SG_JZNS1_25segmented_radix_sort_implINS0_14default_configELb1EPKdPdPKlPlN2at6native12_GLOBAL__N_18offset_tEEE10hipError_tPvRmT1_PNSt15iterator_traitsISY_E10value_typeET2_T3_PNSZ_IS14_E10value_typeET4_jRbjT5_S1A_jjP12ihipStream_tbEUljE_EEESV_SW_SX_S14_S18_S1A_T6_T7_T9_mT8_S1C_bDpT10_ENKUlT_T0_E_clISt17integral_constantIbLb1EES1O_IbLb0EEEEDaS1K_S1L_EUlS1K_E_NS1_11comp_targetILNS1_3genE5ELNS1_11target_archE942ELNS1_3gpuE9ELNS1_3repE0EEENS1_30default_config_static_selectorELNS0_4arch9wavefront6targetE0EEEvSY_.numbered_sgpr, 0
	.set _ZN7rocprim17ROCPRIM_400000_NS6detail17trampoline_kernelINS0_13select_configILj256ELj13ELNS0_17block_load_methodE3ELS4_3ELS4_3ELNS0_20block_scan_algorithmE0ELj4294967295EEENS1_25partition_config_selectorILNS1_17partition_subalgoE3EjNS0_10empty_typeEbEEZZNS1_14partition_implILS8_3ELb0ES6_jNS0_17counting_iteratorIjlEEPS9_SE_NS0_5tupleIJPjSE_EEENSF_IJSE_SE_EEES9_SG_JZNS1_25segmented_radix_sort_implINS0_14default_configELb1EPKdPdPKlPlN2at6native12_GLOBAL__N_18offset_tEEE10hipError_tPvRmT1_PNSt15iterator_traitsISY_E10value_typeET2_T3_PNSZ_IS14_E10value_typeET4_jRbjT5_S1A_jjP12ihipStream_tbEUljE_EEESV_SW_SX_S14_S18_S1A_T6_T7_T9_mT8_S1C_bDpT10_ENKUlT_T0_E_clISt17integral_constantIbLb1EES1O_IbLb0EEEEDaS1K_S1L_EUlS1K_E_NS1_11comp_targetILNS1_3genE5ELNS1_11target_archE942ELNS1_3gpuE9ELNS1_3repE0EEENS1_30default_config_static_selectorELNS0_4arch9wavefront6targetE0EEEvSY_.num_named_barrier, 0
	.set _ZN7rocprim17ROCPRIM_400000_NS6detail17trampoline_kernelINS0_13select_configILj256ELj13ELNS0_17block_load_methodE3ELS4_3ELS4_3ELNS0_20block_scan_algorithmE0ELj4294967295EEENS1_25partition_config_selectorILNS1_17partition_subalgoE3EjNS0_10empty_typeEbEEZZNS1_14partition_implILS8_3ELb0ES6_jNS0_17counting_iteratorIjlEEPS9_SE_NS0_5tupleIJPjSE_EEENSF_IJSE_SE_EEES9_SG_JZNS1_25segmented_radix_sort_implINS0_14default_configELb1EPKdPdPKlPlN2at6native12_GLOBAL__N_18offset_tEEE10hipError_tPvRmT1_PNSt15iterator_traitsISY_E10value_typeET2_T3_PNSZ_IS14_E10value_typeET4_jRbjT5_S1A_jjP12ihipStream_tbEUljE_EEESV_SW_SX_S14_S18_S1A_T6_T7_T9_mT8_S1C_bDpT10_ENKUlT_T0_E_clISt17integral_constantIbLb1EES1O_IbLb0EEEEDaS1K_S1L_EUlS1K_E_NS1_11comp_targetILNS1_3genE5ELNS1_11target_archE942ELNS1_3gpuE9ELNS1_3repE0EEENS1_30default_config_static_selectorELNS0_4arch9wavefront6targetE0EEEvSY_.private_seg_size, 0
	.set _ZN7rocprim17ROCPRIM_400000_NS6detail17trampoline_kernelINS0_13select_configILj256ELj13ELNS0_17block_load_methodE3ELS4_3ELS4_3ELNS0_20block_scan_algorithmE0ELj4294967295EEENS1_25partition_config_selectorILNS1_17partition_subalgoE3EjNS0_10empty_typeEbEEZZNS1_14partition_implILS8_3ELb0ES6_jNS0_17counting_iteratorIjlEEPS9_SE_NS0_5tupleIJPjSE_EEENSF_IJSE_SE_EEES9_SG_JZNS1_25segmented_radix_sort_implINS0_14default_configELb1EPKdPdPKlPlN2at6native12_GLOBAL__N_18offset_tEEE10hipError_tPvRmT1_PNSt15iterator_traitsISY_E10value_typeET2_T3_PNSZ_IS14_E10value_typeET4_jRbjT5_S1A_jjP12ihipStream_tbEUljE_EEESV_SW_SX_S14_S18_S1A_T6_T7_T9_mT8_S1C_bDpT10_ENKUlT_T0_E_clISt17integral_constantIbLb1EES1O_IbLb0EEEEDaS1K_S1L_EUlS1K_E_NS1_11comp_targetILNS1_3genE5ELNS1_11target_archE942ELNS1_3gpuE9ELNS1_3repE0EEENS1_30default_config_static_selectorELNS0_4arch9wavefront6targetE0EEEvSY_.uses_vcc, 0
	.set _ZN7rocprim17ROCPRIM_400000_NS6detail17trampoline_kernelINS0_13select_configILj256ELj13ELNS0_17block_load_methodE3ELS4_3ELS4_3ELNS0_20block_scan_algorithmE0ELj4294967295EEENS1_25partition_config_selectorILNS1_17partition_subalgoE3EjNS0_10empty_typeEbEEZZNS1_14partition_implILS8_3ELb0ES6_jNS0_17counting_iteratorIjlEEPS9_SE_NS0_5tupleIJPjSE_EEENSF_IJSE_SE_EEES9_SG_JZNS1_25segmented_radix_sort_implINS0_14default_configELb1EPKdPdPKlPlN2at6native12_GLOBAL__N_18offset_tEEE10hipError_tPvRmT1_PNSt15iterator_traitsISY_E10value_typeET2_T3_PNSZ_IS14_E10value_typeET4_jRbjT5_S1A_jjP12ihipStream_tbEUljE_EEESV_SW_SX_S14_S18_S1A_T6_T7_T9_mT8_S1C_bDpT10_ENKUlT_T0_E_clISt17integral_constantIbLb1EES1O_IbLb0EEEEDaS1K_S1L_EUlS1K_E_NS1_11comp_targetILNS1_3genE5ELNS1_11target_archE942ELNS1_3gpuE9ELNS1_3repE0EEENS1_30default_config_static_selectorELNS0_4arch9wavefront6targetE0EEEvSY_.uses_flat_scratch, 0
	.set _ZN7rocprim17ROCPRIM_400000_NS6detail17trampoline_kernelINS0_13select_configILj256ELj13ELNS0_17block_load_methodE3ELS4_3ELS4_3ELNS0_20block_scan_algorithmE0ELj4294967295EEENS1_25partition_config_selectorILNS1_17partition_subalgoE3EjNS0_10empty_typeEbEEZZNS1_14partition_implILS8_3ELb0ES6_jNS0_17counting_iteratorIjlEEPS9_SE_NS0_5tupleIJPjSE_EEENSF_IJSE_SE_EEES9_SG_JZNS1_25segmented_radix_sort_implINS0_14default_configELb1EPKdPdPKlPlN2at6native12_GLOBAL__N_18offset_tEEE10hipError_tPvRmT1_PNSt15iterator_traitsISY_E10value_typeET2_T3_PNSZ_IS14_E10value_typeET4_jRbjT5_S1A_jjP12ihipStream_tbEUljE_EEESV_SW_SX_S14_S18_S1A_T6_T7_T9_mT8_S1C_bDpT10_ENKUlT_T0_E_clISt17integral_constantIbLb1EES1O_IbLb0EEEEDaS1K_S1L_EUlS1K_E_NS1_11comp_targetILNS1_3genE5ELNS1_11target_archE942ELNS1_3gpuE9ELNS1_3repE0EEENS1_30default_config_static_selectorELNS0_4arch9wavefront6targetE0EEEvSY_.has_dyn_sized_stack, 0
	.set _ZN7rocprim17ROCPRIM_400000_NS6detail17trampoline_kernelINS0_13select_configILj256ELj13ELNS0_17block_load_methodE3ELS4_3ELS4_3ELNS0_20block_scan_algorithmE0ELj4294967295EEENS1_25partition_config_selectorILNS1_17partition_subalgoE3EjNS0_10empty_typeEbEEZZNS1_14partition_implILS8_3ELb0ES6_jNS0_17counting_iteratorIjlEEPS9_SE_NS0_5tupleIJPjSE_EEENSF_IJSE_SE_EEES9_SG_JZNS1_25segmented_radix_sort_implINS0_14default_configELb1EPKdPdPKlPlN2at6native12_GLOBAL__N_18offset_tEEE10hipError_tPvRmT1_PNSt15iterator_traitsISY_E10value_typeET2_T3_PNSZ_IS14_E10value_typeET4_jRbjT5_S1A_jjP12ihipStream_tbEUljE_EEESV_SW_SX_S14_S18_S1A_T6_T7_T9_mT8_S1C_bDpT10_ENKUlT_T0_E_clISt17integral_constantIbLb1EES1O_IbLb0EEEEDaS1K_S1L_EUlS1K_E_NS1_11comp_targetILNS1_3genE5ELNS1_11target_archE942ELNS1_3gpuE9ELNS1_3repE0EEENS1_30default_config_static_selectorELNS0_4arch9wavefront6targetE0EEEvSY_.has_recursion, 0
	.set _ZN7rocprim17ROCPRIM_400000_NS6detail17trampoline_kernelINS0_13select_configILj256ELj13ELNS0_17block_load_methodE3ELS4_3ELS4_3ELNS0_20block_scan_algorithmE0ELj4294967295EEENS1_25partition_config_selectorILNS1_17partition_subalgoE3EjNS0_10empty_typeEbEEZZNS1_14partition_implILS8_3ELb0ES6_jNS0_17counting_iteratorIjlEEPS9_SE_NS0_5tupleIJPjSE_EEENSF_IJSE_SE_EEES9_SG_JZNS1_25segmented_radix_sort_implINS0_14default_configELb1EPKdPdPKlPlN2at6native12_GLOBAL__N_18offset_tEEE10hipError_tPvRmT1_PNSt15iterator_traitsISY_E10value_typeET2_T3_PNSZ_IS14_E10value_typeET4_jRbjT5_S1A_jjP12ihipStream_tbEUljE_EEESV_SW_SX_S14_S18_S1A_T6_T7_T9_mT8_S1C_bDpT10_ENKUlT_T0_E_clISt17integral_constantIbLb1EES1O_IbLb0EEEEDaS1K_S1L_EUlS1K_E_NS1_11comp_targetILNS1_3genE5ELNS1_11target_archE942ELNS1_3gpuE9ELNS1_3repE0EEENS1_30default_config_static_selectorELNS0_4arch9wavefront6targetE0EEEvSY_.has_indirect_call, 0
	.section	.AMDGPU.csdata,"",@progbits
; Kernel info:
; codeLenInByte = 0
; TotalNumSgprs: 0
; NumVgprs: 0
; ScratchSize: 0
; MemoryBound: 0
; FloatMode: 240
; IeeeMode: 1
; LDSByteSize: 0 bytes/workgroup (compile time only)
; SGPRBlocks: 0
; VGPRBlocks: 0
; NumSGPRsForWavesPerEU: 1
; NumVGPRsForWavesPerEU: 1
; Occupancy: 16
; WaveLimiterHint : 0
; COMPUTE_PGM_RSRC2:SCRATCH_EN: 0
; COMPUTE_PGM_RSRC2:USER_SGPR: 2
; COMPUTE_PGM_RSRC2:TRAP_HANDLER: 0
; COMPUTE_PGM_RSRC2:TGID_X_EN: 1
; COMPUTE_PGM_RSRC2:TGID_Y_EN: 0
; COMPUTE_PGM_RSRC2:TGID_Z_EN: 0
; COMPUTE_PGM_RSRC2:TIDIG_COMP_CNT: 0
	.section	.text._ZN7rocprim17ROCPRIM_400000_NS6detail17trampoline_kernelINS0_13select_configILj256ELj13ELNS0_17block_load_methodE3ELS4_3ELS4_3ELNS0_20block_scan_algorithmE0ELj4294967295EEENS1_25partition_config_selectorILNS1_17partition_subalgoE3EjNS0_10empty_typeEbEEZZNS1_14partition_implILS8_3ELb0ES6_jNS0_17counting_iteratorIjlEEPS9_SE_NS0_5tupleIJPjSE_EEENSF_IJSE_SE_EEES9_SG_JZNS1_25segmented_radix_sort_implINS0_14default_configELb1EPKdPdPKlPlN2at6native12_GLOBAL__N_18offset_tEEE10hipError_tPvRmT1_PNSt15iterator_traitsISY_E10value_typeET2_T3_PNSZ_IS14_E10value_typeET4_jRbjT5_S1A_jjP12ihipStream_tbEUljE_EEESV_SW_SX_S14_S18_S1A_T6_T7_T9_mT8_S1C_bDpT10_ENKUlT_T0_E_clISt17integral_constantIbLb1EES1O_IbLb0EEEEDaS1K_S1L_EUlS1K_E_NS1_11comp_targetILNS1_3genE4ELNS1_11target_archE910ELNS1_3gpuE8ELNS1_3repE0EEENS1_30default_config_static_selectorELNS0_4arch9wavefront6targetE0EEEvSY_,"axG",@progbits,_ZN7rocprim17ROCPRIM_400000_NS6detail17trampoline_kernelINS0_13select_configILj256ELj13ELNS0_17block_load_methodE3ELS4_3ELS4_3ELNS0_20block_scan_algorithmE0ELj4294967295EEENS1_25partition_config_selectorILNS1_17partition_subalgoE3EjNS0_10empty_typeEbEEZZNS1_14partition_implILS8_3ELb0ES6_jNS0_17counting_iteratorIjlEEPS9_SE_NS0_5tupleIJPjSE_EEENSF_IJSE_SE_EEES9_SG_JZNS1_25segmented_radix_sort_implINS0_14default_configELb1EPKdPdPKlPlN2at6native12_GLOBAL__N_18offset_tEEE10hipError_tPvRmT1_PNSt15iterator_traitsISY_E10value_typeET2_T3_PNSZ_IS14_E10value_typeET4_jRbjT5_S1A_jjP12ihipStream_tbEUljE_EEESV_SW_SX_S14_S18_S1A_T6_T7_T9_mT8_S1C_bDpT10_ENKUlT_T0_E_clISt17integral_constantIbLb1EES1O_IbLb0EEEEDaS1K_S1L_EUlS1K_E_NS1_11comp_targetILNS1_3genE4ELNS1_11target_archE910ELNS1_3gpuE8ELNS1_3repE0EEENS1_30default_config_static_selectorELNS0_4arch9wavefront6targetE0EEEvSY_,comdat
	.globl	_ZN7rocprim17ROCPRIM_400000_NS6detail17trampoline_kernelINS0_13select_configILj256ELj13ELNS0_17block_load_methodE3ELS4_3ELS4_3ELNS0_20block_scan_algorithmE0ELj4294967295EEENS1_25partition_config_selectorILNS1_17partition_subalgoE3EjNS0_10empty_typeEbEEZZNS1_14partition_implILS8_3ELb0ES6_jNS0_17counting_iteratorIjlEEPS9_SE_NS0_5tupleIJPjSE_EEENSF_IJSE_SE_EEES9_SG_JZNS1_25segmented_radix_sort_implINS0_14default_configELb1EPKdPdPKlPlN2at6native12_GLOBAL__N_18offset_tEEE10hipError_tPvRmT1_PNSt15iterator_traitsISY_E10value_typeET2_T3_PNSZ_IS14_E10value_typeET4_jRbjT5_S1A_jjP12ihipStream_tbEUljE_EEESV_SW_SX_S14_S18_S1A_T6_T7_T9_mT8_S1C_bDpT10_ENKUlT_T0_E_clISt17integral_constantIbLb1EES1O_IbLb0EEEEDaS1K_S1L_EUlS1K_E_NS1_11comp_targetILNS1_3genE4ELNS1_11target_archE910ELNS1_3gpuE8ELNS1_3repE0EEENS1_30default_config_static_selectorELNS0_4arch9wavefront6targetE0EEEvSY_ ; -- Begin function _ZN7rocprim17ROCPRIM_400000_NS6detail17trampoline_kernelINS0_13select_configILj256ELj13ELNS0_17block_load_methodE3ELS4_3ELS4_3ELNS0_20block_scan_algorithmE0ELj4294967295EEENS1_25partition_config_selectorILNS1_17partition_subalgoE3EjNS0_10empty_typeEbEEZZNS1_14partition_implILS8_3ELb0ES6_jNS0_17counting_iteratorIjlEEPS9_SE_NS0_5tupleIJPjSE_EEENSF_IJSE_SE_EEES9_SG_JZNS1_25segmented_radix_sort_implINS0_14default_configELb1EPKdPdPKlPlN2at6native12_GLOBAL__N_18offset_tEEE10hipError_tPvRmT1_PNSt15iterator_traitsISY_E10value_typeET2_T3_PNSZ_IS14_E10value_typeET4_jRbjT5_S1A_jjP12ihipStream_tbEUljE_EEESV_SW_SX_S14_S18_S1A_T6_T7_T9_mT8_S1C_bDpT10_ENKUlT_T0_E_clISt17integral_constantIbLb1EES1O_IbLb0EEEEDaS1K_S1L_EUlS1K_E_NS1_11comp_targetILNS1_3genE4ELNS1_11target_archE910ELNS1_3gpuE8ELNS1_3repE0EEENS1_30default_config_static_selectorELNS0_4arch9wavefront6targetE0EEEvSY_
	.p2align	8
	.type	_ZN7rocprim17ROCPRIM_400000_NS6detail17trampoline_kernelINS0_13select_configILj256ELj13ELNS0_17block_load_methodE3ELS4_3ELS4_3ELNS0_20block_scan_algorithmE0ELj4294967295EEENS1_25partition_config_selectorILNS1_17partition_subalgoE3EjNS0_10empty_typeEbEEZZNS1_14partition_implILS8_3ELb0ES6_jNS0_17counting_iteratorIjlEEPS9_SE_NS0_5tupleIJPjSE_EEENSF_IJSE_SE_EEES9_SG_JZNS1_25segmented_radix_sort_implINS0_14default_configELb1EPKdPdPKlPlN2at6native12_GLOBAL__N_18offset_tEEE10hipError_tPvRmT1_PNSt15iterator_traitsISY_E10value_typeET2_T3_PNSZ_IS14_E10value_typeET4_jRbjT5_S1A_jjP12ihipStream_tbEUljE_EEESV_SW_SX_S14_S18_S1A_T6_T7_T9_mT8_S1C_bDpT10_ENKUlT_T0_E_clISt17integral_constantIbLb1EES1O_IbLb0EEEEDaS1K_S1L_EUlS1K_E_NS1_11comp_targetILNS1_3genE4ELNS1_11target_archE910ELNS1_3gpuE8ELNS1_3repE0EEENS1_30default_config_static_selectorELNS0_4arch9wavefront6targetE0EEEvSY_,@function
_ZN7rocprim17ROCPRIM_400000_NS6detail17trampoline_kernelINS0_13select_configILj256ELj13ELNS0_17block_load_methodE3ELS4_3ELS4_3ELNS0_20block_scan_algorithmE0ELj4294967295EEENS1_25partition_config_selectorILNS1_17partition_subalgoE3EjNS0_10empty_typeEbEEZZNS1_14partition_implILS8_3ELb0ES6_jNS0_17counting_iteratorIjlEEPS9_SE_NS0_5tupleIJPjSE_EEENSF_IJSE_SE_EEES9_SG_JZNS1_25segmented_radix_sort_implINS0_14default_configELb1EPKdPdPKlPlN2at6native12_GLOBAL__N_18offset_tEEE10hipError_tPvRmT1_PNSt15iterator_traitsISY_E10value_typeET2_T3_PNSZ_IS14_E10value_typeET4_jRbjT5_S1A_jjP12ihipStream_tbEUljE_EEESV_SW_SX_S14_S18_S1A_T6_T7_T9_mT8_S1C_bDpT10_ENKUlT_T0_E_clISt17integral_constantIbLb1EES1O_IbLb0EEEEDaS1K_S1L_EUlS1K_E_NS1_11comp_targetILNS1_3genE4ELNS1_11target_archE910ELNS1_3gpuE8ELNS1_3repE0EEENS1_30default_config_static_selectorELNS0_4arch9wavefront6targetE0EEEvSY_: ; @_ZN7rocprim17ROCPRIM_400000_NS6detail17trampoline_kernelINS0_13select_configILj256ELj13ELNS0_17block_load_methodE3ELS4_3ELS4_3ELNS0_20block_scan_algorithmE0ELj4294967295EEENS1_25partition_config_selectorILNS1_17partition_subalgoE3EjNS0_10empty_typeEbEEZZNS1_14partition_implILS8_3ELb0ES6_jNS0_17counting_iteratorIjlEEPS9_SE_NS0_5tupleIJPjSE_EEENSF_IJSE_SE_EEES9_SG_JZNS1_25segmented_radix_sort_implINS0_14default_configELb1EPKdPdPKlPlN2at6native12_GLOBAL__N_18offset_tEEE10hipError_tPvRmT1_PNSt15iterator_traitsISY_E10value_typeET2_T3_PNSZ_IS14_E10value_typeET4_jRbjT5_S1A_jjP12ihipStream_tbEUljE_EEESV_SW_SX_S14_S18_S1A_T6_T7_T9_mT8_S1C_bDpT10_ENKUlT_T0_E_clISt17integral_constantIbLb1EES1O_IbLb0EEEEDaS1K_S1L_EUlS1K_E_NS1_11comp_targetILNS1_3genE4ELNS1_11target_archE910ELNS1_3gpuE8ELNS1_3repE0EEENS1_30default_config_static_selectorELNS0_4arch9wavefront6targetE0EEEvSY_
; %bb.0:
	.section	.rodata,"a",@progbits
	.p2align	6, 0x0
	.amdhsa_kernel _ZN7rocprim17ROCPRIM_400000_NS6detail17trampoline_kernelINS0_13select_configILj256ELj13ELNS0_17block_load_methodE3ELS4_3ELS4_3ELNS0_20block_scan_algorithmE0ELj4294967295EEENS1_25partition_config_selectorILNS1_17partition_subalgoE3EjNS0_10empty_typeEbEEZZNS1_14partition_implILS8_3ELb0ES6_jNS0_17counting_iteratorIjlEEPS9_SE_NS0_5tupleIJPjSE_EEENSF_IJSE_SE_EEES9_SG_JZNS1_25segmented_radix_sort_implINS0_14default_configELb1EPKdPdPKlPlN2at6native12_GLOBAL__N_18offset_tEEE10hipError_tPvRmT1_PNSt15iterator_traitsISY_E10value_typeET2_T3_PNSZ_IS14_E10value_typeET4_jRbjT5_S1A_jjP12ihipStream_tbEUljE_EEESV_SW_SX_S14_S18_S1A_T6_T7_T9_mT8_S1C_bDpT10_ENKUlT_T0_E_clISt17integral_constantIbLb1EES1O_IbLb0EEEEDaS1K_S1L_EUlS1K_E_NS1_11comp_targetILNS1_3genE4ELNS1_11target_archE910ELNS1_3gpuE8ELNS1_3repE0EEENS1_30default_config_static_selectorELNS0_4arch9wavefront6targetE0EEEvSY_
		.amdhsa_group_segment_fixed_size 0
		.amdhsa_private_segment_fixed_size 0
		.amdhsa_kernarg_size 144
		.amdhsa_user_sgpr_count 2
		.amdhsa_user_sgpr_dispatch_ptr 0
		.amdhsa_user_sgpr_queue_ptr 0
		.amdhsa_user_sgpr_kernarg_segment_ptr 1
		.amdhsa_user_sgpr_dispatch_id 0
		.amdhsa_user_sgpr_private_segment_size 0
		.amdhsa_wavefront_size32 1
		.amdhsa_uses_dynamic_stack 0
		.amdhsa_enable_private_segment 0
		.amdhsa_system_sgpr_workgroup_id_x 1
		.amdhsa_system_sgpr_workgroup_id_y 0
		.amdhsa_system_sgpr_workgroup_id_z 0
		.amdhsa_system_sgpr_workgroup_info 0
		.amdhsa_system_vgpr_workitem_id 0
		.amdhsa_next_free_vgpr 1
		.amdhsa_next_free_sgpr 1
		.amdhsa_reserve_vcc 0
		.amdhsa_float_round_mode_32 0
		.amdhsa_float_round_mode_16_64 0
		.amdhsa_float_denorm_mode_32 3
		.amdhsa_float_denorm_mode_16_64 3
		.amdhsa_fp16_overflow 0
		.amdhsa_workgroup_processor_mode 1
		.amdhsa_memory_ordered 1
		.amdhsa_forward_progress 1
		.amdhsa_inst_pref_size 0
		.amdhsa_round_robin_scheduling 0
		.amdhsa_exception_fp_ieee_invalid_op 0
		.amdhsa_exception_fp_denorm_src 0
		.amdhsa_exception_fp_ieee_div_zero 0
		.amdhsa_exception_fp_ieee_overflow 0
		.amdhsa_exception_fp_ieee_underflow 0
		.amdhsa_exception_fp_ieee_inexact 0
		.amdhsa_exception_int_div_zero 0
	.end_amdhsa_kernel
	.section	.text._ZN7rocprim17ROCPRIM_400000_NS6detail17trampoline_kernelINS0_13select_configILj256ELj13ELNS0_17block_load_methodE3ELS4_3ELS4_3ELNS0_20block_scan_algorithmE0ELj4294967295EEENS1_25partition_config_selectorILNS1_17partition_subalgoE3EjNS0_10empty_typeEbEEZZNS1_14partition_implILS8_3ELb0ES6_jNS0_17counting_iteratorIjlEEPS9_SE_NS0_5tupleIJPjSE_EEENSF_IJSE_SE_EEES9_SG_JZNS1_25segmented_radix_sort_implINS0_14default_configELb1EPKdPdPKlPlN2at6native12_GLOBAL__N_18offset_tEEE10hipError_tPvRmT1_PNSt15iterator_traitsISY_E10value_typeET2_T3_PNSZ_IS14_E10value_typeET4_jRbjT5_S1A_jjP12ihipStream_tbEUljE_EEESV_SW_SX_S14_S18_S1A_T6_T7_T9_mT8_S1C_bDpT10_ENKUlT_T0_E_clISt17integral_constantIbLb1EES1O_IbLb0EEEEDaS1K_S1L_EUlS1K_E_NS1_11comp_targetILNS1_3genE4ELNS1_11target_archE910ELNS1_3gpuE8ELNS1_3repE0EEENS1_30default_config_static_selectorELNS0_4arch9wavefront6targetE0EEEvSY_,"axG",@progbits,_ZN7rocprim17ROCPRIM_400000_NS6detail17trampoline_kernelINS0_13select_configILj256ELj13ELNS0_17block_load_methodE3ELS4_3ELS4_3ELNS0_20block_scan_algorithmE0ELj4294967295EEENS1_25partition_config_selectorILNS1_17partition_subalgoE3EjNS0_10empty_typeEbEEZZNS1_14partition_implILS8_3ELb0ES6_jNS0_17counting_iteratorIjlEEPS9_SE_NS0_5tupleIJPjSE_EEENSF_IJSE_SE_EEES9_SG_JZNS1_25segmented_radix_sort_implINS0_14default_configELb1EPKdPdPKlPlN2at6native12_GLOBAL__N_18offset_tEEE10hipError_tPvRmT1_PNSt15iterator_traitsISY_E10value_typeET2_T3_PNSZ_IS14_E10value_typeET4_jRbjT5_S1A_jjP12ihipStream_tbEUljE_EEESV_SW_SX_S14_S18_S1A_T6_T7_T9_mT8_S1C_bDpT10_ENKUlT_T0_E_clISt17integral_constantIbLb1EES1O_IbLb0EEEEDaS1K_S1L_EUlS1K_E_NS1_11comp_targetILNS1_3genE4ELNS1_11target_archE910ELNS1_3gpuE8ELNS1_3repE0EEENS1_30default_config_static_selectorELNS0_4arch9wavefront6targetE0EEEvSY_,comdat
.Lfunc_end1104:
	.size	_ZN7rocprim17ROCPRIM_400000_NS6detail17trampoline_kernelINS0_13select_configILj256ELj13ELNS0_17block_load_methodE3ELS4_3ELS4_3ELNS0_20block_scan_algorithmE0ELj4294967295EEENS1_25partition_config_selectorILNS1_17partition_subalgoE3EjNS0_10empty_typeEbEEZZNS1_14partition_implILS8_3ELb0ES6_jNS0_17counting_iteratorIjlEEPS9_SE_NS0_5tupleIJPjSE_EEENSF_IJSE_SE_EEES9_SG_JZNS1_25segmented_radix_sort_implINS0_14default_configELb1EPKdPdPKlPlN2at6native12_GLOBAL__N_18offset_tEEE10hipError_tPvRmT1_PNSt15iterator_traitsISY_E10value_typeET2_T3_PNSZ_IS14_E10value_typeET4_jRbjT5_S1A_jjP12ihipStream_tbEUljE_EEESV_SW_SX_S14_S18_S1A_T6_T7_T9_mT8_S1C_bDpT10_ENKUlT_T0_E_clISt17integral_constantIbLb1EES1O_IbLb0EEEEDaS1K_S1L_EUlS1K_E_NS1_11comp_targetILNS1_3genE4ELNS1_11target_archE910ELNS1_3gpuE8ELNS1_3repE0EEENS1_30default_config_static_selectorELNS0_4arch9wavefront6targetE0EEEvSY_, .Lfunc_end1104-_ZN7rocprim17ROCPRIM_400000_NS6detail17trampoline_kernelINS0_13select_configILj256ELj13ELNS0_17block_load_methodE3ELS4_3ELS4_3ELNS0_20block_scan_algorithmE0ELj4294967295EEENS1_25partition_config_selectorILNS1_17partition_subalgoE3EjNS0_10empty_typeEbEEZZNS1_14partition_implILS8_3ELb0ES6_jNS0_17counting_iteratorIjlEEPS9_SE_NS0_5tupleIJPjSE_EEENSF_IJSE_SE_EEES9_SG_JZNS1_25segmented_radix_sort_implINS0_14default_configELb1EPKdPdPKlPlN2at6native12_GLOBAL__N_18offset_tEEE10hipError_tPvRmT1_PNSt15iterator_traitsISY_E10value_typeET2_T3_PNSZ_IS14_E10value_typeET4_jRbjT5_S1A_jjP12ihipStream_tbEUljE_EEESV_SW_SX_S14_S18_S1A_T6_T7_T9_mT8_S1C_bDpT10_ENKUlT_T0_E_clISt17integral_constantIbLb1EES1O_IbLb0EEEEDaS1K_S1L_EUlS1K_E_NS1_11comp_targetILNS1_3genE4ELNS1_11target_archE910ELNS1_3gpuE8ELNS1_3repE0EEENS1_30default_config_static_selectorELNS0_4arch9wavefront6targetE0EEEvSY_
                                        ; -- End function
	.set _ZN7rocprim17ROCPRIM_400000_NS6detail17trampoline_kernelINS0_13select_configILj256ELj13ELNS0_17block_load_methodE3ELS4_3ELS4_3ELNS0_20block_scan_algorithmE0ELj4294967295EEENS1_25partition_config_selectorILNS1_17partition_subalgoE3EjNS0_10empty_typeEbEEZZNS1_14partition_implILS8_3ELb0ES6_jNS0_17counting_iteratorIjlEEPS9_SE_NS0_5tupleIJPjSE_EEENSF_IJSE_SE_EEES9_SG_JZNS1_25segmented_radix_sort_implINS0_14default_configELb1EPKdPdPKlPlN2at6native12_GLOBAL__N_18offset_tEEE10hipError_tPvRmT1_PNSt15iterator_traitsISY_E10value_typeET2_T3_PNSZ_IS14_E10value_typeET4_jRbjT5_S1A_jjP12ihipStream_tbEUljE_EEESV_SW_SX_S14_S18_S1A_T6_T7_T9_mT8_S1C_bDpT10_ENKUlT_T0_E_clISt17integral_constantIbLb1EES1O_IbLb0EEEEDaS1K_S1L_EUlS1K_E_NS1_11comp_targetILNS1_3genE4ELNS1_11target_archE910ELNS1_3gpuE8ELNS1_3repE0EEENS1_30default_config_static_selectorELNS0_4arch9wavefront6targetE0EEEvSY_.num_vgpr, 0
	.set _ZN7rocprim17ROCPRIM_400000_NS6detail17trampoline_kernelINS0_13select_configILj256ELj13ELNS0_17block_load_methodE3ELS4_3ELS4_3ELNS0_20block_scan_algorithmE0ELj4294967295EEENS1_25partition_config_selectorILNS1_17partition_subalgoE3EjNS0_10empty_typeEbEEZZNS1_14partition_implILS8_3ELb0ES6_jNS0_17counting_iteratorIjlEEPS9_SE_NS0_5tupleIJPjSE_EEENSF_IJSE_SE_EEES9_SG_JZNS1_25segmented_radix_sort_implINS0_14default_configELb1EPKdPdPKlPlN2at6native12_GLOBAL__N_18offset_tEEE10hipError_tPvRmT1_PNSt15iterator_traitsISY_E10value_typeET2_T3_PNSZ_IS14_E10value_typeET4_jRbjT5_S1A_jjP12ihipStream_tbEUljE_EEESV_SW_SX_S14_S18_S1A_T6_T7_T9_mT8_S1C_bDpT10_ENKUlT_T0_E_clISt17integral_constantIbLb1EES1O_IbLb0EEEEDaS1K_S1L_EUlS1K_E_NS1_11comp_targetILNS1_3genE4ELNS1_11target_archE910ELNS1_3gpuE8ELNS1_3repE0EEENS1_30default_config_static_selectorELNS0_4arch9wavefront6targetE0EEEvSY_.num_agpr, 0
	.set _ZN7rocprim17ROCPRIM_400000_NS6detail17trampoline_kernelINS0_13select_configILj256ELj13ELNS0_17block_load_methodE3ELS4_3ELS4_3ELNS0_20block_scan_algorithmE0ELj4294967295EEENS1_25partition_config_selectorILNS1_17partition_subalgoE3EjNS0_10empty_typeEbEEZZNS1_14partition_implILS8_3ELb0ES6_jNS0_17counting_iteratorIjlEEPS9_SE_NS0_5tupleIJPjSE_EEENSF_IJSE_SE_EEES9_SG_JZNS1_25segmented_radix_sort_implINS0_14default_configELb1EPKdPdPKlPlN2at6native12_GLOBAL__N_18offset_tEEE10hipError_tPvRmT1_PNSt15iterator_traitsISY_E10value_typeET2_T3_PNSZ_IS14_E10value_typeET4_jRbjT5_S1A_jjP12ihipStream_tbEUljE_EEESV_SW_SX_S14_S18_S1A_T6_T7_T9_mT8_S1C_bDpT10_ENKUlT_T0_E_clISt17integral_constantIbLb1EES1O_IbLb0EEEEDaS1K_S1L_EUlS1K_E_NS1_11comp_targetILNS1_3genE4ELNS1_11target_archE910ELNS1_3gpuE8ELNS1_3repE0EEENS1_30default_config_static_selectorELNS0_4arch9wavefront6targetE0EEEvSY_.numbered_sgpr, 0
	.set _ZN7rocprim17ROCPRIM_400000_NS6detail17trampoline_kernelINS0_13select_configILj256ELj13ELNS0_17block_load_methodE3ELS4_3ELS4_3ELNS0_20block_scan_algorithmE0ELj4294967295EEENS1_25partition_config_selectorILNS1_17partition_subalgoE3EjNS0_10empty_typeEbEEZZNS1_14partition_implILS8_3ELb0ES6_jNS0_17counting_iteratorIjlEEPS9_SE_NS0_5tupleIJPjSE_EEENSF_IJSE_SE_EEES9_SG_JZNS1_25segmented_radix_sort_implINS0_14default_configELb1EPKdPdPKlPlN2at6native12_GLOBAL__N_18offset_tEEE10hipError_tPvRmT1_PNSt15iterator_traitsISY_E10value_typeET2_T3_PNSZ_IS14_E10value_typeET4_jRbjT5_S1A_jjP12ihipStream_tbEUljE_EEESV_SW_SX_S14_S18_S1A_T6_T7_T9_mT8_S1C_bDpT10_ENKUlT_T0_E_clISt17integral_constantIbLb1EES1O_IbLb0EEEEDaS1K_S1L_EUlS1K_E_NS1_11comp_targetILNS1_3genE4ELNS1_11target_archE910ELNS1_3gpuE8ELNS1_3repE0EEENS1_30default_config_static_selectorELNS0_4arch9wavefront6targetE0EEEvSY_.num_named_barrier, 0
	.set _ZN7rocprim17ROCPRIM_400000_NS6detail17trampoline_kernelINS0_13select_configILj256ELj13ELNS0_17block_load_methodE3ELS4_3ELS4_3ELNS0_20block_scan_algorithmE0ELj4294967295EEENS1_25partition_config_selectorILNS1_17partition_subalgoE3EjNS0_10empty_typeEbEEZZNS1_14partition_implILS8_3ELb0ES6_jNS0_17counting_iteratorIjlEEPS9_SE_NS0_5tupleIJPjSE_EEENSF_IJSE_SE_EEES9_SG_JZNS1_25segmented_radix_sort_implINS0_14default_configELb1EPKdPdPKlPlN2at6native12_GLOBAL__N_18offset_tEEE10hipError_tPvRmT1_PNSt15iterator_traitsISY_E10value_typeET2_T3_PNSZ_IS14_E10value_typeET4_jRbjT5_S1A_jjP12ihipStream_tbEUljE_EEESV_SW_SX_S14_S18_S1A_T6_T7_T9_mT8_S1C_bDpT10_ENKUlT_T0_E_clISt17integral_constantIbLb1EES1O_IbLb0EEEEDaS1K_S1L_EUlS1K_E_NS1_11comp_targetILNS1_3genE4ELNS1_11target_archE910ELNS1_3gpuE8ELNS1_3repE0EEENS1_30default_config_static_selectorELNS0_4arch9wavefront6targetE0EEEvSY_.private_seg_size, 0
	.set _ZN7rocprim17ROCPRIM_400000_NS6detail17trampoline_kernelINS0_13select_configILj256ELj13ELNS0_17block_load_methodE3ELS4_3ELS4_3ELNS0_20block_scan_algorithmE0ELj4294967295EEENS1_25partition_config_selectorILNS1_17partition_subalgoE3EjNS0_10empty_typeEbEEZZNS1_14partition_implILS8_3ELb0ES6_jNS0_17counting_iteratorIjlEEPS9_SE_NS0_5tupleIJPjSE_EEENSF_IJSE_SE_EEES9_SG_JZNS1_25segmented_radix_sort_implINS0_14default_configELb1EPKdPdPKlPlN2at6native12_GLOBAL__N_18offset_tEEE10hipError_tPvRmT1_PNSt15iterator_traitsISY_E10value_typeET2_T3_PNSZ_IS14_E10value_typeET4_jRbjT5_S1A_jjP12ihipStream_tbEUljE_EEESV_SW_SX_S14_S18_S1A_T6_T7_T9_mT8_S1C_bDpT10_ENKUlT_T0_E_clISt17integral_constantIbLb1EES1O_IbLb0EEEEDaS1K_S1L_EUlS1K_E_NS1_11comp_targetILNS1_3genE4ELNS1_11target_archE910ELNS1_3gpuE8ELNS1_3repE0EEENS1_30default_config_static_selectorELNS0_4arch9wavefront6targetE0EEEvSY_.uses_vcc, 0
	.set _ZN7rocprim17ROCPRIM_400000_NS6detail17trampoline_kernelINS0_13select_configILj256ELj13ELNS0_17block_load_methodE3ELS4_3ELS4_3ELNS0_20block_scan_algorithmE0ELj4294967295EEENS1_25partition_config_selectorILNS1_17partition_subalgoE3EjNS0_10empty_typeEbEEZZNS1_14partition_implILS8_3ELb0ES6_jNS0_17counting_iteratorIjlEEPS9_SE_NS0_5tupleIJPjSE_EEENSF_IJSE_SE_EEES9_SG_JZNS1_25segmented_radix_sort_implINS0_14default_configELb1EPKdPdPKlPlN2at6native12_GLOBAL__N_18offset_tEEE10hipError_tPvRmT1_PNSt15iterator_traitsISY_E10value_typeET2_T3_PNSZ_IS14_E10value_typeET4_jRbjT5_S1A_jjP12ihipStream_tbEUljE_EEESV_SW_SX_S14_S18_S1A_T6_T7_T9_mT8_S1C_bDpT10_ENKUlT_T0_E_clISt17integral_constantIbLb1EES1O_IbLb0EEEEDaS1K_S1L_EUlS1K_E_NS1_11comp_targetILNS1_3genE4ELNS1_11target_archE910ELNS1_3gpuE8ELNS1_3repE0EEENS1_30default_config_static_selectorELNS0_4arch9wavefront6targetE0EEEvSY_.uses_flat_scratch, 0
	.set _ZN7rocprim17ROCPRIM_400000_NS6detail17trampoline_kernelINS0_13select_configILj256ELj13ELNS0_17block_load_methodE3ELS4_3ELS4_3ELNS0_20block_scan_algorithmE0ELj4294967295EEENS1_25partition_config_selectorILNS1_17partition_subalgoE3EjNS0_10empty_typeEbEEZZNS1_14partition_implILS8_3ELb0ES6_jNS0_17counting_iteratorIjlEEPS9_SE_NS0_5tupleIJPjSE_EEENSF_IJSE_SE_EEES9_SG_JZNS1_25segmented_radix_sort_implINS0_14default_configELb1EPKdPdPKlPlN2at6native12_GLOBAL__N_18offset_tEEE10hipError_tPvRmT1_PNSt15iterator_traitsISY_E10value_typeET2_T3_PNSZ_IS14_E10value_typeET4_jRbjT5_S1A_jjP12ihipStream_tbEUljE_EEESV_SW_SX_S14_S18_S1A_T6_T7_T9_mT8_S1C_bDpT10_ENKUlT_T0_E_clISt17integral_constantIbLb1EES1O_IbLb0EEEEDaS1K_S1L_EUlS1K_E_NS1_11comp_targetILNS1_3genE4ELNS1_11target_archE910ELNS1_3gpuE8ELNS1_3repE0EEENS1_30default_config_static_selectorELNS0_4arch9wavefront6targetE0EEEvSY_.has_dyn_sized_stack, 0
	.set _ZN7rocprim17ROCPRIM_400000_NS6detail17trampoline_kernelINS0_13select_configILj256ELj13ELNS0_17block_load_methodE3ELS4_3ELS4_3ELNS0_20block_scan_algorithmE0ELj4294967295EEENS1_25partition_config_selectorILNS1_17partition_subalgoE3EjNS0_10empty_typeEbEEZZNS1_14partition_implILS8_3ELb0ES6_jNS0_17counting_iteratorIjlEEPS9_SE_NS0_5tupleIJPjSE_EEENSF_IJSE_SE_EEES9_SG_JZNS1_25segmented_radix_sort_implINS0_14default_configELb1EPKdPdPKlPlN2at6native12_GLOBAL__N_18offset_tEEE10hipError_tPvRmT1_PNSt15iterator_traitsISY_E10value_typeET2_T3_PNSZ_IS14_E10value_typeET4_jRbjT5_S1A_jjP12ihipStream_tbEUljE_EEESV_SW_SX_S14_S18_S1A_T6_T7_T9_mT8_S1C_bDpT10_ENKUlT_T0_E_clISt17integral_constantIbLb1EES1O_IbLb0EEEEDaS1K_S1L_EUlS1K_E_NS1_11comp_targetILNS1_3genE4ELNS1_11target_archE910ELNS1_3gpuE8ELNS1_3repE0EEENS1_30default_config_static_selectorELNS0_4arch9wavefront6targetE0EEEvSY_.has_recursion, 0
	.set _ZN7rocprim17ROCPRIM_400000_NS6detail17trampoline_kernelINS0_13select_configILj256ELj13ELNS0_17block_load_methodE3ELS4_3ELS4_3ELNS0_20block_scan_algorithmE0ELj4294967295EEENS1_25partition_config_selectorILNS1_17partition_subalgoE3EjNS0_10empty_typeEbEEZZNS1_14partition_implILS8_3ELb0ES6_jNS0_17counting_iteratorIjlEEPS9_SE_NS0_5tupleIJPjSE_EEENSF_IJSE_SE_EEES9_SG_JZNS1_25segmented_radix_sort_implINS0_14default_configELb1EPKdPdPKlPlN2at6native12_GLOBAL__N_18offset_tEEE10hipError_tPvRmT1_PNSt15iterator_traitsISY_E10value_typeET2_T3_PNSZ_IS14_E10value_typeET4_jRbjT5_S1A_jjP12ihipStream_tbEUljE_EEESV_SW_SX_S14_S18_S1A_T6_T7_T9_mT8_S1C_bDpT10_ENKUlT_T0_E_clISt17integral_constantIbLb1EES1O_IbLb0EEEEDaS1K_S1L_EUlS1K_E_NS1_11comp_targetILNS1_3genE4ELNS1_11target_archE910ELNS1_3gpuE8ELNS1_3repE0EEENS1_30default_config_static_selectorELNS0_4arch9wavefront6targetE0EEEvSY_.has_indirect_call, 0
	.section	.AMDGPU.csdata,"",@progbits
; Kernel info:
; codeLenInByte = 0
; TotalNumSgprs: 0
; NumVgprs: 0
; ScratchSize: 0
; MemoryBound: 0
; FloatMode: 240
; IeeeMode: 1
; LDSByteSize: 0 bytes/workgroup (compile time only)
; SGPRBlocks: 0
; VGPRBlocks: 0
; NumSGPRsForWavesPerEU: 1
; NumVGPRsForWavesPerEU: 1
; Occupancy: 16
; WaveLimiterHint : 0
; COMPUTE_PGM_RSRC2:SCRATCH_EN: 0
; COMPUTE_PGM_RSRC2:USER_SGPR: 2
; COMPUTE_PGM_RSRC2:TRAP_HANDLER: 0
; COMPUTE_PGM_RSRC2:TGID_X_EN: 1
; COMPUTE_PGM_RSRC2:TGID_Y_EN: 0
; COMPUTE_PGM_RSRC2:TGID_Z_EN: 0
; COMPUTE_PGM_RSRC2:TIDIG_COMP_CNT: 0
	.section	.text._ZN7rocprim17ROCPRIM_400000_NS6detail17trampoline_kernelINS0_13select_configILj256ELj13ELNS0_17block_load_methodE3ELS4_3ELS4_3ELNS0_20block_scan_algorithmE0ELj4294967295EEENS1_25partition_config_selectorILNS1_17partition_subalgoE3EjNS0_10empty_typeEbEEZZNS1_14partition_implILS8_3ELb0ES6_jNS0_17counting_iteratorIjlEEPS9_SE_NS0_5tupleIJPjSE_EEENSF_IJSE_SE_EEES9_SG_JZNS1_25segmented_radix_sort_implINS0_14default_configELb1EPKdPdPKlPlN2at6native12_GLOBAL__N_18offset_tEEE10hipError_tPvRmT1_PNSt15iterator_traitsISY_E10value_typeET2_T3_PNSZ_IS14_E10value_typeET4_jRbjT5_S1A_jjP12ihipStream_tbEUljE_EEESV_SW_SX_S14_S18_S1A_T6_T7_T9_mT8_S1C_bDpT10_ENKUlT_T0_E_clISt17integral_constantIbLb1EES1O_IbLb0EEEEDaS1K_S1L_EUlS1K_E_NS1_11comp_targetILNS1_3genE3ELNS1_11target_archE908ELNS1_3gpuE7ELNS1_3repE0EEENS1_30default_config_static_selectorELNS0_4arch9wavefront6targetE0EEEvSY_,"axG",@progbits,_ZN7rocprim17ROCPRIM_400000_NS6detail17trampoline_kernelINS0_13select_configILj256ELj13ELNS0_17block_load_methodE3ELS4_3ELS4_3ELNS0_20block_scan_algorithmE0ELj4294967295EEENS1_25partition_config_selectorILNS1_17partition_subalgoE3EjNS0_10empty_typeEbEEZZNS1_14partition_implILS8_3ELb0ES6_jNS0_17counting_iteratorIjlEEPS9_SE_NS0_5tupleIJPjSE_EEENSF_IJSE_SE_EEES9_SG_JZNS1_25segmented_radix_sort_implINS0_14default_configELb1EPKdPdPKlPlN2at6native12_GLOBAL__N_18offset_tEEE10hipError_tPvRmT1_PNSt15iterator_traitsISY_E10value_typeET2_T3_PNSZ_IS14_E10value_typeET4_jRbjT5_S1A_jjP12ihipStream_tbEUljE_EEESV_SW_SX_S14_S18_S1A_T6_T7_T9_mT8_S1C_bDpT10_ENKUlT_T0_E_clISt17integral_constantIbLb1EES1O_IbLb0EEEEDaS1K_S1L_EUlS1K_E_NS1_11comp_targetILNS1_3genE3ELNS1_11target_archE908ELNS1_3gpuE7ELNS1_3repE0EEENS1_30default_config_static_selectorELNS0_4arch9wavefront6targetE0EEEvSY_,comdat
	.globl	_ZN7rocprim17ROCPRIM_400000_NS6detail17trampoline_kernelINS0_13select_configILj256ELj13ELNS0_17block_load_methodE3ELS4_3ELS4_3ELNS0_20block_scan_algorithmE0ELj4294967295EEENS1_25partition_config_selectorILNS1_17partition_subalgoE3EjNS0_10empty_typeEbEEZZNS1_14partition_implILS8_3ELb0ES6_jNS0_17counting_iteratorIjlEEPS9_SE_NS0_5tupleIJPjSE_EEENSF_IJSE_SE_EEES9_SG_JZNS1_25segmented_radix_sort_implINS0_14default_configELb1EPKdPdPKlPlN2at6native12_GLOBAL__N_18offset_tEEE10hipError_tPvRmT1_PNSt15iterator_traitsISY_E10value_typeET2_T3_PNSZ_IS14_E10value_typeET4_jRbjT5_S1A_jjP12ihipStream_tbEUljE_EEESV_SW_SX_S14_S18_S1A_T6_T7_T9_mT8_S1C_bDpT10_ENKUlT_T0_E_clISt17integral_constantIbLb1EES1O_IbLb0EEEEDaS1K_S1L_EUlS1K_E_NS1_11comp_targetILNS1_3genE3ELNS1_11target_archE908ELNS1_3gpuE7ELNS1_3repE0EEENS1_30default_config_static_selectorELNS0_4arch9wavefront6targetE0EEEvSY_ ; -- Begin function _ZN7rocprim17ROCPRIM_400000_NS6detail17trampoline_kernelINS0_13select_configILj256ELj13ELNS0_17block_load_methodE3ELS4_3ELS4_3ELNS0_20block_scan_algorithmE0ELj4294967295EEENS1_25partition_config_selectorILNS1_17partition_subalgoE3EjNS0_10empty_typeEbEEZZNS1_14partition_implILS8_3ELb0ES6_jNS0_17counting_iteratorIjlEEPS9_SE_NS0_5tupleIJPjSE_EEENSF_IJSE_SE_EEES9_SG_JZNS1_25segmented_radix_sort_implINS0_14default_configELb1EPKdPdPKlPlN2at6native12_GLOBAL__N_18offset_tEEE10hipError_tPvRmT1_PNSt15iterator_traitsISY_E10value_typeET2_T3_PNSZ_IS14_E10value_typeET4_jRbjT5_S1A_jjP12ihipStream_tbEUljE_EEESV_SW_SX_S14_S18_S1A_T6_T7_T9_mT8_S1C_bDpT10_ENKUlT_T0_E_clISt17integral_constantIbLb1EES1O_IbLb0EEEEDaS1K_S1L_EUlS1K_E_NS1_11comp_targetILNS1_3genE3ELNS1_11target_archE908ELNS1_3gpuE7ELNS1_3repE0EEENS1_30default_config_static_selectorELNS0_4arch9wavefront6targetE0EEEvSY_
	.p2align	8
	.type	_ZN7rocprim17ROCPRIM_400000_NS6detail17trampoline_kernelINS0_13select_configILj256ELj13ELNS0_17block_load_methodE3ELS4_3ELS4_3ELNS0_20block_scan_algorithmE0ELj4294967295EEENS1_25partition_config_selectorILNS1_17partition_subalgoE3EjNS0_10empty_typeEbEEZZNS1_14partition_implILS8_3ELb0ES6_jNS0_17counting_iteratorIjlEEPS9_SE_NS0_5tupleIJPjSE_EEENSF_IJSE_SE_EEES9_SG_JZNS1_25segmented_radix_sort_implINS0_14default_configELb1EPKdPdPKlPlN2at6native12_GLOBAL__N_18offset_tEEE10hipError_tPvRmT1_PNSt15iterator_traitsISY_E10value_typeET2_T3_PNSZ_IS14_E10value_typeET4_jRbjT5_S1A_jjP12ihipStream_tbEUljE_EEESV_SW_SX_S14_S18_S1A_T6_T7_T9_mT8_S1C_bDpT10_ENKUlT_T0_E_clISt17integral_constantIbLb1EES1O_IbLb0EEEEDaS1K_S1L_EUlS1K_E_NS1_11comp_targetILNS1_3genE3ELNS1_11target_archE908ELNS1_3gpuE7ELNS1_3repE0EEENS1_30default_config_static_selectorELNS0_4arch9wavefront6targetE0EEEvSY_,@function
_ZN7rocprim17ROCPRIM_400000_NS6detail17trampoline_kernelINS0_13select_configILj256ELj13ELNS0_17block_load_methodE3ELS4_3ELS4_3ELNS0_20block_scan_algorithmE0ELj4294967295EEENS1_25partition_config_selectorILNS1_17partition_subalgoE3EjNS0_10empty_typeEbEEZZNS1_14partition_implILS8_3ELb0ES6_jNS0_17counting_iteratorIjlEEPS9_SE_NS0_5tupleIJPjSE_EEENSF_IJSE_SE_EEES9_SG_JZNS1_25segmented_radix_sort_implINS0_14default_configELb1EPKdPdPKlPlN2at6native12_GLOBAL__N_18offset_tEEE10hipError_tPvRmT1_PNSt15iterator_traitsISY_E10value_typeET2_T3_PNSZ_IS14_E10value_typeET4_jRbjT5_S1A_jjP12ihipStream_tbEUljE_EEESV_SW_SX_S14_S18_S1A_T6_T7_T9_mT8_S1C_bDpT10_ENKUlT_T0_E_clISt17integral_constantIbLb1EES1O_IbLb0EEEEDaS1K_S1L_EUlS1K_E_NS1_11comp_targetILNS1_3genE3ELNS1_11target_archE908ELNS1_3gpuE7ELNS1_3repE0EEENS1_30default_config_static_selectorELNS0_4arch9wavefront6targetE0EEEvSY_: ; @_ZN7rocprim17ROCPRIM_400000_NS6detail17trampoline_kernelINS0_13select_configILj256ELj13ELNS0_17block_load_methodE3ELS4_3ELS4_3ELNS0_20block_scan_algorithmE0ELj4294967295EEENS1_25partition_config_selectorILNS1_17partition_subalgoE3EjNS0_10empty_typeEbEEZZNS1_14partition_implILS8_3ELb0ES6_jNS0_17counting_iteratorIjlEEPS9_SE_NS0_5tupleIJPjSE_EEENSF_IJSE_SE_EEES9_SG_JZNS1_25segmented_radix_sort_implINS0_14default_configELb1EPKdPdPKlPlN2at6native12_GLOBAL__N_18offset_tEEE10hipError_tPvRmT1_PNSt15iterator_traitsISY_E10value_typeET2_T3_PNSZ_IS14_E10value_typeET4_jRbjT5_S1A_jjP12ihipStream_tbEUljE_EEESV_SW_SX_S14_S18_S1A_T6_T7_T9_mT8_S1C_bDpT10_ENKUlT_T0_E_clISt17integral_constantIbLb1EES1O_IbLb0EEEEDaS1K_S1L_EUlS1K_E_NS1_11comp_targetILNS1_3genE3ELNS1_11target_archE908ELNS1_3gpuE7ELNS1_3repE0EEENS1_30default_config_static_selectorELNS0_4arch9wavefront6targetE0EEEvSY_
; %bb.0:
	.section	.rodata,"a",@progbits
	.p2align	6, 0x0
	.amdhsa_kernel _ZN7rocprim17ROCPRIM_400000_NS6detail17trampoline_kernelINS0_13select_configILj256ELj13ELNS0_17block_load_methodE3ELS4_3ELS4_3ELNS0_20block_scan_algorithmE0ELj4294967295EEENS1_25partition_config_selectorILNS1_17partition_subalgoE3EjNS0_10empty_typeEbEEZZNS1_14partition_implILS8_3ELb0ES6_jNS0_17counting_iteratorIjlEEPS9_SE_NS0_5tupleIJPjSE_EEENSF_IJSE_SE_EEES9_SG_JZNS1_25segmented_radix_sort_implINS0_14default_configELb1EPKdPdPKlPlN2at6native12_GLOBAL__N_18offset_tEEE10hipError_tPvRmT1_PNSt15iterator_traitsISY_E10value_typeET2_T3_PNSZ_IS14_E10value_typeET4_jRbjT5_S1A_jjP12ihipStream_tbEUljE_EEESV_SW_SX_S14_S18_S1A_T6_T7_T9_mT8_S1C_bDpT10_ENKUlT_T0_E_clISt17integral_constantIbLb1EES1O_IbLb0EEEEDaS1K_S1L_EUlS1K_E_NS1_11comp_targetILNS1_3genE3ELNS1_11target_archE908ELNS1_3gpuE7ELNS1_3repE0EEENS1_30default_config_static_selectorELNS0_4arch9wavefront6targetE0EEEvSY_
		.amdhsa_group_segment_fixed_size 0
		.amdhsa_private_segment_fixed_size 0
		.amdhsa_kernarg_size 144
		.amdhsa_user_sgpr_count 2
		.amdhsa_user_sgpr_dispatch_ptr 0
		.amdhsa_user_sgpr_queue_ptr 0
		.amdhsa_user_sgpr_kernarg_segment_ptr 1
		.amdhsa_user_sgpr_dispatch_id 0
		.amdhsa_user_sgpr_private_segment_size 0
		.amdhsa_wavefront_size32 1
		.amdhsa_uses_dynamic_stack 0
		.amdhsa_enable_private_segment 0
		.amdhsa_system_sgpr_workgroup_id_x 1
		.amdhsa_system_sgpr_workgroup_id_y 0
		.amdhsa_system_sgpr_workgroup_id_z 0
		.amdhsa_system_sgpr_workgroup_info 0
		.amdhsa_system_vgpr_workitem_id 0
		.amdhsa_next_free_vgpr 1
		.amdhsa_next_free_sgpr 1
		.amdhsa_reserve_vcc 0
		.amdhsa_float_round_mode_32 0
		.amdhsa_float_round_mode_16_64 0
		.amdhsa_float_denorm_mode_32 3
		.amdhsa_float_denorm_mode_16_64 3
		.amdhsa_fp16_overflow 0
		.amdhsa_workgroup_processor_mode 1
		.amdhsa_memory_ordered 1
		.amdhsa_forward_progress 1
		.amdhsa_inst_pref_size 0
		.amdhsa_round_robin_scheduling 0
		.amdhsa_exception_fp_ieee_invalid_op 0
		.amdhsa_exception_fp_denorm_src 0
		.amdhsa_exception_fp_ieee_div_zero 0
		.amdhsa_exception_fp_ieee_overflow 0
		.amdhsa_exception_fp_ieee_underflow 0
		.amdhsa_exception_fp_ieee_inexact 0
		.amdhsa_exception_int_div_zero 0
	.end_amdhsa_kernel
	.section	.text._ZN7rocprim17ROCPRIM_400000_NS6detail17trampoline_kernelINS0_13select_configILj256ELj13ELNS0_17block_load_methodE3ELS4_3ELS4_3ELNS0_20block_scan_algorithmE0ELj4294967295EEENS1_25partition_config_selectorILNS1_17partition_subalgoE3EjNS0_10empty_typeEbEEZZNS1_14partition_implILS8_3ELb0ES6_jNS0_17counting_iteratorIjlEEPS9_SE_NS0_5tupleIJPjSE_EEENSF_IJSE_SE_EEES9_SG_JZNS1_25segmented_radix_sort_implINS0_14default_configELb1EPKdPdPKlPlN2at6native12_GLOBAL__N_18offset_tEEE10hipError_tPvRmT1_PNSt15iterator_traitsISY_E10value_typeET2_T3_PNSZ_IS14_E10value_typeET4_jRbjT5_S1A_jjP12ihipStream_tbEUljE_EEESV_SW_SX_S14_S18_S1A_T6_T7_T9_mT8_S1C_bDpT10_ENKUlT_T0_E_clISt17integral_constantIbLb1EES1O_IbLb0EEEEDaS1K_S1L_EUlS1K_E_NS1_11comp_targetILNS1_3genE3ELNS1_11target_archE908ELNS1_3gpuE7ELNS1_3repE0EEENS1_30default_config_static_selectorELNS0_4arch9wavefront6targetE0EEEvSY_,"axG",@progbits,_ZN7rocprim17ROCPRIM_400000_NS6detail17trampoline_kernelINS0_13select_configILj256ELj13ELNS0_17block_load_methodE3ELS4_3ELS4_3ELNS0_20block_scan_algorithmE0ELj4294967295EEENS1_25partition_config_selectorILNS1_17partition_subalgoE3EjNS0_10empty_typeEbEEZZNS1_14partition_implILS8_3ELb0ES6_jNS0_17counting_iteratorIjlEEPS9_SE_NS0_5tupleIJPjSE_EEENSF_IJSE_SE_EEES9_SG_JZNS1_25segmented_radix_sort_implINS0_14default_configELb1EPKdPdPKlPlN2at6native12_GLOBAL__N_18offset_tEEE10hipError_tPvRmT1_PNSt15iterator_traitsISY_E10value_typeET2_T3_PNSZ_IS14_E10value_typeET4_jRbjT5_S1A_jjP12ihipStream_tbEUljE_EEESV_SW_SX_S14_S18_S1A_T6_T7_T9_mT8_S1C_bDpT10_ENKUlT_T0_E_clISt17integral_constantIbLb1EES1O_IbLb0EEEEDaS1K_S1L_EUlS1K_E_NS1_11comp_targetILNS1_3genE3ELNS1_11target_archE908ELNS1_3gpuE7ELNS1_3repE0EEENS1_30default_config_static_selectorELNS0_4arch9wavefront6targetE0EEEvSY_,comdat
.Lfunc_end1105:
	.size	_ZN7rocprim17ROCPRIM_400000_NS6detail17trampoline_kernelINS0_13select_configILj256ELj13ELNS0_17block_load_methodE3ELS4_3ELS4_3ELNS0_20block_scan_algorithmE0ELj4294967295EEENS1_25partition_config_selectorILNS1_17partition_subalgoE3EjNS0_10empty_typeEbEEZZNS1_14partition_implILS8_3ELb0ES6_jNS0_17counting_iteratorIjlEEPS9_SE_NS0_5tupleIJPjSE_EEENSF_IJSE_SE_EEES9_SG_JZNS1_25segmented_radix_sort_implINS0_14default_configELb1EPKdPdPKlPlN2at6native12_GLOBAL__N_18offset_tEEE10hipError_tPvRmT1_PNSt15iterator_traitsISY_E10value_typeET2_T3_PNSZ_IS14_E10value_typeET4_jRbjT5_S1A_jjP12ihipStream_tbEUljE_EEESV_SW_SX_S14_S18_S1A_T6_T7_T9_mT8_S1C_bDpT10_ENKUlT_T0_E_clISt17integral_constantIbLb1EES1O_IbLb0EEEEDaS1K_S1L_EUlS1K_E_NS1_11comp_targetILNS1_3genE3ELNS1_11target_archE908ELNS1_3gpuE7ELNS1_3repE0EEENS1_30default_config_static_selectorELNS0_4arch9wavefront6targetE0EEEvSY_, .Lfunc_end1105-_ZN7rocprim17ROCPRIM_400000_NS6detail17trampoline_kernelINS0_13select_configILj256ELj13ELNS0_17block_load_methodE3ELS4_3ELS4_3ELNS0_20block_scan_algorithmE0ELj4294967295EEENS1_25partition_config_selectorILNS1_17partition_subalgoE3EjNS0_10empty_typeEbEEZZNS1_14partition_implILS8_3ELb0ES6_jNS0_17counting_iteratorIjlEEPS9_SE_NS0_5tupleIJPjSE_EEENSF_IJSE_SE_EEES9_SG_JZNS1_25segmented_radix_sort_implINS0_14default_configELb1EPKdPdPKlPlN2at6native12_GLOBAL__N_18offset_tEEE10hipError_tPvRmT1_PNSt15iterator_traitsISY_E10value_typeET2_T3_PNSZ_IS14_E10value_typeET4_jRbjT5_S1A_jjP12ihipStream_tbEUljE_EEESV_SW_SX_S14_S18_S1A_T6_T7_T9_mT8_S1C_bDpT10_ENKUlT_T0_E_clISt17integral_constantIbLb1EES1O_IbLb0EEEEDaS1K_S1L_EUlS1K_E_NS1_11comp_targetILNS1_3genE3ELNS1_11target_archE908ELNS1_3gpuE7ELNS1_3repE0EEENS1_30default_config_static_selectorELNS0_4arch9wavefront6targetE0EEEvSY_
                                        ; -- End function
	.set _ZN7rocprim17ROCPRIM_400000_NS6detail17trampoline_kernelINS0_13select_configILj256ELj13ELNS0_17block_load_methodE3ELS4_3ELS4_3ELNS0_20block_scan_algorithmE0ELj4294967295EEENS1_25partition_config_selectorILNS1_17partition_subalgoE3EjNS0_10empty_typeEbEEZZNS1_14partition_implILS8_3ELb0ES6_jNS0_17counting_iteratorIjlEEPS9_SE_NS0_5tupleIJPjSE_EEENSF_IJSE_SE_EEES9_SG_JZNS1_25segmented_radix_sort_implINS0_14default_configELb1EPKdPdPKlPlN2at6native12_GLOBAL__N_18offset_tEEE10hipError_tPvRmT1_PNSt15iterator_traitsISY_E10value_typeET2_T3_PNSZ_IS14_E10value_typeET4_jRbjT5_S1A_jjP12ihipStream_tbEUljE_EEESV_SW_SX_S14_S18_S1A_T6_T7_T9_mT8_S1C_bDpT10_ENKUlT_T0_E_clISt17integral_constantIbLb1EES1O_IbLb0EEEEDaS1K_S1L_EUlS1K_E_NS1_11comp_targetILNS1_3genE3ELNS1_11target_archE908ELNS1_3gpuE7ELNS1_3repE0EEENS1_30default_config_static_selectorELNS0_4arch9wavefront6targetE0EEEvSY_.num_vgpr, 0
	.set _ZN7rocprim17ROCPRIM_400000_NS6detail17trampoline_kernelINS0_13select_configILj256ELj13ELNS0_17block_load_methodE3ELS4_3ELS4_3ELNS0_20block_scan_algorithmE0ELj4294967295EEENS1_25partition_config_selectorILNS1_17partition_subalgoE3EjNS0_10empty_typeEbEEZZNS1_14partition_implILS8_3ELb0ES6_jNS0_17counting_iteratorIjlEEPS9_SE_NS0_5tupleIJPjSE_EEENSF_IJSE_SE_EEES9_SG_JZNS1_25segmented_radix_sort_implINS0_14default_configELb1EPKdPdPKlPlN2at6native12_GLOBAL__N_18offset_tEEE10hipError_tPvRmT1_PNSt15iterator_traitsISY_E10value_typeET2_T3_PNSZ_IS14_E10value_typeET4_jRbjT5_S1A_jjP12ihipStream_tbEUljE_EEESV_SW_SX_S14_S18_S1A_T6_T7_T9_mT8_S1C_bDpT10_ENKUlT_T0_E_clISt17integral_constantIbLb1EES1O_IbLb0EEEEDaS1K_S1L_EUlS1K_E_NS1_11comp_targetILNS1_3genE3ELNS1_11target_archE908ELNS1_3gpuE7ELNS1_3repE0EEENS1_30default_config_static_selectorELNS0_4arch9wavefront6targetE0EEEvSY_.num_agpr, 0
	.set _ZN7rocprim17ROCPRIM_400000_NS6detail17trampoline_kernelINS0_13select_configILj256ELj13ELNS0_17block_load_methodE3ELS4_3ELS4_3ELNS0_20block_scan_algorithmE0ELj4294967295EEENS1_25partition_config_selectorILNS1_17partition_subalgoE3EjNS0_10empty_typeEbEEZZNS1_14partition_implILS8_3ELb0ES6_jNS0_17counting_iteratorIjlEEPS9_SE_NS0_5tupleIJPjSE_EEENSF_IJSE_SE_EEES9_SG_JZNS1_25segmented_radix_sort_implINS0_14default_configELb1EPKdPdPKlPlN2at6native12_GLOBAL__N_18offset_tEEE10hipError_tPvRmT1_PNSt15iterator_traitsISY_E10value_typeET2_T3_PNSZ_IS14_E10value_typeET4_jRbjT5_S1A_jjP12ihipStream_tbEUljE_EEESV_SW_SX_S14_S18_S1A_T6_T7_T9_mT8_S1C_bDpT10_ENKUlT_T0_E_clISt17integral_constantIbLb1EES1O_IbLb0EEEEDaS1K_S1L_EUlS1K_E_NS1_11comp_targetILNS1_3genE3ELNS1_11target_archE908ELNS1_3gpuE7ELNS1_3repE0EEENS1_30default_config_static_selectorELNS0_4arch9wavefront6targetE0EEEvSY_.numbered_sgpr, 0
	.set _ZN7rocprim17ROCPRIM_400000_NS6detail17trampoline_kernelINS0_13select_configILj256ELj13ELNS0_17block_load_methodE3ELS4_3ELS4_3ELNS0_20block_scan_algorithmE0ELj4294967295EEENS1_25partition_config_selectorILNS1_17partition_subalgoE3EjNS0_10empty_typeEbEEZZNS1_14partition_implILS8_3ELb0ES6_jNS0_17counting_iteratorIjlEEPS9_SE_NS0_5tupleIJPjSE_EEENSF_IJSE_SE_EEES9_SG_JZNS1_25segmented_radix_sort_implINS0_14default_configELb1EPKdPdPKlPlN2at6native12_GLOBAL__N_18offset_tEEE10hipError_tPvRmT1_PNSt15iterator_traitsISY_E10value_typeET2_T3_PNSZ_IS14_E10value_typeET4_jRbjT5_S1A_jjP12ihipStream_tbEUljE_EEESV_SW_SX_S14_S18_S1A_T6_T7_T9_mT8_S1C_bDpT10_ENKUlT_T0_E_clISt17integral_constantIbLb1EES1O_IbLb0EEEEDaS1K_S1L_EUlS1K_E_NS1_11comp_targetILNS1_3genE3ELNS1_11target_archE908ELNS1_3gpuE7ELNS1_3repE0EEENS1_30default_config_static_selectorELNS0_4arch9wavefront6targetE0EEEvSY_.num_named_barrier, 0
	.set _ZN7rocprim17ROCPRIM_400000_NS6detail17trampoline_kernelINS0_13select_configILj256ELj13ELNS0_17block_load_methodE3ELS4_3ELS4_3ELNS0_20block_scan_algorithmE0ELj4294967295EEENS1_25partition_config_selectorILNS1_17partition_subalgoE3EjNS0_10empty_typeEbEEZZNS1_14partition_implILS8_3ELb0ES6_jNS0_17counting_iteratorIjlEEPS9_SE_NS0_5tupleIJPjSE_EEENSF_IJSE_SE_EEES9_SG_JZNS1_25segmented_radix_sort_implINS0_14default_configELb1EPKdPdPKlPlN2at6native12_GLOBAL__N_18offset_tEEE10hipError_tPvRmT1_PNSt15iterator_traitsISY_E10value_typeET2_T3_PNSZ_IS14_E10value_typeET4_jRbjT5_S1A_jjP12ihipStream_tbEUljE_EEESV_SW_SX_S14_S18_S1A_T6_T7_T9_mT8_S1C_bDpT10_ENKUlT_T0_E_clISt17integral_constantIbLb1EES1O_IbLb0EEEEDaS1K_S1L_EUlS1K_E_NS1_11comp_targetILNS1_3genE3ELNS1_11target_archE908ELNS1_3gpuE7ELNS1_3repE0EEENS1_30default_config_static_selectorELNS0_4arch9wavefront6targetE0EEEvSY_.private_seg_size, 0
	.set _ZN7rocprim17ROCPRIM_400000_NS6detail17trampoline_kernelINS0_13select_configILj256ELj13ELNS0_17block_load_methodE3ELS4_3ELS4_3ELNS0_20block_scan_algorithmE0ELj4294967295EEENS1_25partition_config_selectorILNS1_17partition_subalgoE3EjNS0_10empty_typeEbEEZZNS1_14partition_implILS8_3ELb0ES6_jNS0_17counting_iteratorIjlEEPS9_SE_NS0_5tupleIJPjSE_EEENSF_IJSE_SE_EEES9_SG_JZNS1_25segmented_radix_sort_implINS0_14default_configELb1EPKdPdPKlPlN2at6native12_GLOBAL__N_18offset_tEEE10hipError_tPvRmT1_PNSt15iterator_traitsISY_E10value_typeET2_T3_PNSZ_IS14_E10value_typeET4_jRbjT5_S1A_jjP12ihipStream_tbEUljE_EEESV_SW_SX_S14_S18_S1A_T6_T7_T9_mT8_S1C_bDpT10_ENKUlT_T0_E_clISt17integral_constantIbLb1EES1O_IbLb0EEEEDaS1K_S1L_EUlS1K_E_NS1_11comp_targetILNS1_3genE3ELNS1_11target_archE908ELNS1_3gpuE7ELNS1_3repE0EEENS1_30default_config_static_selectorELNS0_4arch9wavefront6targetE0EEEvSY_.uses_vcc, 0
	.set _ZN7rocprim17ROCPRIM_400000_NS6detail17trampoline_kernelINS0_13select_configILj256ELj13ELNS0_17block_load_methodE3ELS4_3ELS4_3ELNS0_20block_scan_algorithmE0ELj4294967295EEENS1_25partition_config_selectorILNS1_17partition_subalgoE3EjNS0_10empty_typeEbEEZZNS1_14partition_implILS8_3ELb0ES6_jNS0_17counting_iteratorIjlEEPS9_SE_NS0_5tupleIJPjSE_EEENSF_IJSE_SE_EEES9_SG_JZNS1_25segmented_radix_sort_implINS0_14default_configELb1EPKdPdPKlPlN2at6native12_GLOBAL__N_18offset_tEEE10hipError_tPvRmT1_PNSt15iterator_traitsISY_E10value_typeET2_T3_PNSZ_IS14_E10value_typeET4_jRbjT5_S1A_jjP12ihipStream_tbEUljE_EEESV_SW_SX_S14_S18_S1A_T6_T7_T9_mT8_S1C_bDpT10_ENKUlT_T0_E_clISt17integral_constantIbLb1EES1O_IbLb0EEEEDaS1K_S1L_EUlS1K_E_NS1_11comp_targetILNS1_3genE3ELNS1_11target_archE908ELNS1_3gpuE7ELNS1_3repE0EEENS1_30default_config_static_selectorELNS0_4arch9wavefront6targetE0EEEvSY_.uses_flat_scratch, 0
	.set _ZN7rocprim17ROCPRIM_400000_NS6detail17trampoline_kernelINS0_13select_configILj256ELj13ELNS0_17block_load_methodE3ELS4_3ELS4_3ELNS0_20block_scan_algorithmE0ELj4294967295EEENS1_25partition_config_selectorILNS1_17partition_subalgoE3EjNS0_10empty_typeEbEEZZNS1_14partition_implILS8_3ELb0ES6_jNS0_17counting_iteratorIjlEEPS9_SE_NS0_5tupleIJPjSE_EEENSF_IJSE_SE_EEES9_SG_JZNS1_25segmented_radix_sort_implINS0_14default_configELb1EPKdPdPKlPlN2at6native12_GLOBAL__N_18offset_tEEE10hipError_tPvRmT1_PNSt15iterator_traitsISY_E10value_typeET2_T3_PNSZ_IS14_E10value_typeET4_jRbjT5_S1A_jjP12ihipStream_tbEUljE_EEESV_SW_SX_S14_S18_S1A_T6_T7_T9_mT8_S1C_bDpT10_ENKUlT_T0_E_clISt17integral_constantIbLb1EES1O_IbLb0EEEEDaS1K_S1L_EUlS1K_E_NS1_11comp_targetILNS1_3genE3ELNS1_11target_archE908ELNS1_3gpuE7ELNS1_3repE0EEENS1_30default_config_static_selectorELNS0_4arch9wavefront6targetE0EEEvSY_.has_dyn_sized_stack, 0
	.set _ZN7rocprim17ROCPRIM_400000_NS6detail17trampoline_kernelINS0_13select_configILj256ELj13ELNS0_17block_load_methodE3ELS4_3ELS4_3ELNS0_20block_scan_algorithmE0ELj4294967295EEENS1_25partition_config_selectorILNS1_17partition_subalgoE3EjNS0_10empty_typeEbEEZZNS1_14partition_implILS8_3ELb0ES6_jNS0_17counting_iteratorIjlEEPS9_SE_NS0_5tupleIJPjSE_EEENSF_IJSE_SE_EEES9_SG_JZNS1_25segmented_radix_sort_implINS0_14default_configELb1EPKdPdPKlPlN2at6native12_GLOBAL__N_18offset_tEEE10hipError_tPvRmT1_PNSt15iterator_traitsISY_E10value_typeET2_T3_PNSZ_IS14_E10value_typeET4_jRbjT5_S1A_jjP12ihipStream_tbEUljE_EEESV_SW_SX_S14_S18_S1A_T6_T7_T9_mT8_S1C_bDpT10_ENKUlT_T0_E_clISt17integral_constantIbLb1EES1O_IbLb0EEEEDaS1K_S1L_EUlS1K_E_NS1_11comp_targetILNS1_3genE3ELNS1_11target_archE908ELNS1_3gpuE7ELNS1_3repE0EEENS1_30default_config_static_selectorELNS0_4arch9wavefront6targetE0EEEvSY_.has_recursion, 0
	.set _ZN7rocprim17ROCPRIM_400000_NS6detail17trampoline_kernelINS0_13select_configILj256ELj13ELNS0_17block_load_methodE3ELS4_3ELS4_3ELNS0_20block_scan_algorithmE0ELj4294967295EEENS1_25partition_config_selectorILNS1_17partition_subalgoE3EjNS0_10empty_typeEbEEZZNS1_14partition_implILS8_3ELb0ES6_jNS0_17counting_iteratorIjlEEPS9_SE_NS0_5tupleIJPjSE_EEENSF_IJSE_SE_EEES9_SG_JZNS1_25segmented_radix_sort_implINS0_14default_configELb1EPKdPdPKlPlN2at6native12_GLOBAL__N_18offset_tEEE10hipError_tPvRmT1_PNSt15iterator_traitsISY_E10value_typeET2_T3_PNSZ_IS14_E10value_typeET4_jRbjT5_S1A_jjP12ihipStream_tbEUljE_EEESV_SW_SX_S14_S18_S1A_T6_T7_T9_mT8_S1C_bDpT10_ENKUlT_T0_E_clISt17integral_constantIbLb1EES1O_IbLb0EEEEDaS1K_S1L_EUlS1K_E_NS1_11comp_targetILNS1_3genE3ELNS1_11target_archE908ELNS1_3gpuE7ELNS1_3repE0EEENS1_30default_config_static_selectorELNS0_4arch9wavefront6targetE0EEEvSY_.has_indirect_call, 0
	.section	.AMDGPU.csdata,"",@progbits
; Kernel info:
; codeLenInByte = 0
; TotalNumSgprs: 0
; NumVgprs: 0
; ScratchSize: 0
; MemoryBound: 0
; FloatMode: 240
; IeeeMode: 1
; LDSByteSize: 0 bytes/workgroup (compile time only)
; SGPRBlocks: 0
; VGPRBlocks: 0
; NumSGPRsForWavesPerEU: 1
; NumVGPRsForWavesPerEU: 1
; Occupancy: 16
; WaveLimiterHint : 0
; COMPUTE_PGM_RSRC2:SCRATCH_EN: 0
; COMPUTE_PGM_RSRC2:USER_SGPR: 2
; COMPUTE_PGM_RSRC2:TRAP_HANDLER: 0
; COMPUTE_PGM_RSRC2:TGID_X_EN: 1
; COMPUTE_PGM_RSRC2:TGID_Y_EN: 0
; COMPUTE_PGM_RSRC2:TGID_Z_EN: 0
; COMPUTE_PGM_RSRC2:TIDIG_COMP_CNT: 0
	.section	.text._ZN7rocprim17ROCPRIM_400000_NS6detail17trampoline_kernelINS0_13select_configILj256ELj13ELNS0_17block_load_methodE3ELS4_3ELS4_3ELNS0_20block_scan_algorithmE0ELj4294967295EEENS1_25partition_config_selectorILNS1_17partition_subalgoE3EjNS0_10empty_typeEbEEZZNS1_14partition_implILS8_3ELb0ES6_jNS0_17counting_iteratorIjlEEPS9_SE_NS0_5tupleIJPjSE_EEENSF_IJSE_SE_EEES9_SG_JZNS1_25segmented_radix_sort_implINS0_14default_configELb1EPKdPdPKlPlN2at6native12_GLOBAL__N_18offset_tEEE10hipError_tPvRmT1_PNSt15iterator_traitsISY_E10value_typeET2_T3_PNSZ_IS14_E10value_typeET4_jRbjT5_S1A_jjP12ihipStream_tbEUljE_EEESV_SW_SX_S14_S18_S1A_T6_T7_T9_mT8_S1C_bDpT10_ENKUlT_T0_E_clISt17integral_constantIbLb1EES1O_IbLb0EEEEDaS1K_S1L_EUlS1K_E_NS1_11comp_targetILNS1_3genE2ELNS1_11target_archE906ELNS1_3gpuE6ELNS1_3repE0EEENS1_30default_config_static_selectorELNS0_4arch9wavefront6targetE0EEEvSY_,"axG",@progbits,_ZN7rocprim17ROCPRIM_400000_NS6detail17trampoline_kernelINS0_13select_configILj256ELj13ELNS0_17block_load_methodE3ELS4_3ELS4_3ELNS0_20block_scan_algorithmE0ELj4294967295EEENS1_25partition_config_selectorILNS1_17partition_subalgoE3EjNS0_10empty_typeEbEEZZNS1_14partition_implILS8_3ELb0ES6_jNS0_17counting_iteratorIjlEEPS9_SE_NS0_5tupleIJPjSE_EEENSF_IJSE_SE_EEES9_SG_JZNS1_25segmented_radix_sort_implINS0_14default_configELb1EPKdPdPKlPlN2at6native12_GLOBAL__N_18offset_tEEE10hipError_tPvRmT1_PNSt15iterator_traitsISY_E10value_typeET2_T3_PNSZ_IS14_E10value_typeET4_jRbjT5_S1A_jjP12ihipStream_tbEUljE_EEESV_SW_SX_S14_S18_S1A_T6_T7_T9_mT8_S1C_bDpT10_ENKUlT_T0_E_clISt17integral_constantIbLb1EES1O_IbLb0EEEEDaS1K_S1L_EUlS1K_E_NS1_11comp_targetILNS1_3genE2ELNS1_11target_archE906ELNS1_3gpuE6ELNS1_3repE0EEENS1_30default_config_static_selectorELNS0_4arch9wavefront6targetE0EEEvSY_,comdat
	.globl	_ZN7rocprim17ROCPRIM_400000_NS6detail17trampoline_kernelINS0_13select_configILj256ELj13ELNS0_17block_load_methodE3ELS4_3ELS4_3ELNS0_20block_scan_algorithmE0ELj4294967295EEENS1_25partition_config_selectorILNS1_17partition_subalgoE3EjNS0_10empty_typeEbEEZZNS1_14partition_implILS8_3ELb0ES6_jNS0_17counting_iteratorIjlEEPS9_SE_NS0_5tupleIJPjSE_EEENSF_IJSE_SE_EEES9_SG_JZNS1_25segmented_radix_sort_implINS0_14default_configELb1EPKdPdPKlPlN2at6native12_GLOBAL__N_18offset_tEEE10hipError_tPvRmT1_PNSt15iterator_traitsISY_E10value_typeET2_T3_PNSZ_IS14_E10value_typeET4_jRbjT5_S1A_jjP12ihipStream_tbEUljE_EEESV_SW_SX_S14_S18_S1A_T6_T7_T9_mT8_S1C_bDpT10_ENKUlT_T0_E_clISt17integral_constantIbLb1EES1O_IbLb0EEEEDaS1K_S1L_EUlS1K_E_NS1_11comp_targetILNS1_3genE2ELNS1_11target_archE906ELNS1_3gpuE6ELNS1_3repE0EEENS1_30default_config_static_selectorELNS0_4arch9wavefront6targetE0EEEvSY_ ; -- Begin function _ZN7rocprim17ROCPRIM_400000_NS6detail17trampoline_kernelINS0_13select_configILj256ELj13ELNS0_17block_load_methodE3ELS4_3ELS4_3ELNS0_20block_scan_algorithmE0ELj4294967295EEENS1_25partition_config_selectorILNS1_17partition_subalgoE3EjNS0_10empty_typeEbEEZZNS1_14partition_implILS8_3ELb0ES6_jNS0_17counting_iteratorIjlEEPS9_SE_NS0_5tupleIJPjSE_EEENSF_IJSE_SE_EEES9_SG_JZNS1_25segmented_radix_sort_implINS0_14default_configELb1EPKdPdPKlPlN2at6native12_GLOBAL__N_18offset_tEEE10hipError_tPvRmT1_PNSt15iterator_traitsISY_E10value_typeET2_T3_PNSZ_IS14_E10value_typeET4_jRbjT5_S1A_jjP12ihipStream_tbEUljE_EEESV_SW_SX_S14_S18_S1A_T6_T7_T9_mT8_S1C_bDpT10_ENKUlT_T0_E_clISt17integral_constantIbLb1EES1O_IbLb0EEEEDaS1K_S1L_EUlS1K_E_NS1_11comp_targetILNS1_3genE2ELNS1_11target_archE906ELNS1_3gpuE6ELNS1_3repE0EEENS1_30default_config_static_selectorELNS0_4arch9wavefront6targetE0EEEvSY_
	.p2align	8
	.type	_ZN7rocprim17ROCPRIM_400000_NS6detail17trampoline_kernelINS0_13select_configILj256ELj13ELNS0_17block_load_methodE3ELS4_3ELS4_3ELNS0_20block_scan_algorithmE0ELj4294967295EEENS1_25partition_config_selectorILNS1_17partition_subalgoE3EjNS0_10empty_typeEbEEZZNS1_14partition_implILS8_3ELb0ES6_jNS0_17counting_iteratorIjlEEPS9_SE_NS0_5tupleIJPjSE_EEENSF_IJSE_SE_EEES9_SG_JZNS1_25segmented_radix_sort_implINS0_14default_configELb1EPKdPdPKlPlN2at6native12_GLOBAL__N_18offset_tEEE10hipError_tPvRmT1_PNSt15iterator_traitsISY_E10value_typeET2_T3_PNSZ_IS14_E10value_typeET4_jRbjT5_S1A_jjP12ihipStream_tbEUljE_EEESV_SW_SX_S14_S18_S1A_T6_T7_T9_mT8_S1C_bDpT10_ENKUlT_T0_E_clISt17integral_constantIbLb1EES1O_IbLb0EEEEDaS1K_S1L_EUlS1K_E_NS1_11comp_targetILNS1_3genE2ELNS1_11target_archE906ELNS1_3gpuE6ELNS1_3repE0EEENS1_30default_config_static_selectorELNS0_4arch9wavefront6targetE0EEEvSY_,@function
_ZN7rocprim17ROCPRIM_400000_NS6detail17trampoline_kernelINS0_13select_configILj256ELj13ELNS0_17block_load_methodE3ELS4_3ELS4_3ELNS0_20block_scan_algorithmE0ELj4294967295EEENS1_25partition_config_selectorILNS1_17partition_subalgoE3EjNS0_10empty_typeEbEEZZNS1_14partition_implILS8_3ELb0ES6_jNS0_17counting_iteratorIjlEEPS9_SE_NS0_5tupleIJPjSE_EEENSF_IJSE_SE_EEES9_SG_JZNS1_25segmented_radix_sort_implINS0_14default_configELb1EPKdPdPKlPlN2at6native12_GLOBAL__N_18offset_tEEE10hipError_tPvRmT1_PNSt15iterator_traitsISY_E10value_typeET2_T3_PNSZ_IS14_E10value_typeET4_jRbjT5_S1A_jjP12ihipStream_tbEUljE_EEESV_SW_SX_S14_S18_S1A_T6_T7_T9_mT8_S1C_bDpT10_ENKUlT_T0_E_clISt17integral_constantIbLb1EES1O_IbLb0EEEEDaS1K_S1L_EUlS1K_E_NS1_11comp_targetILNS1_3genE2ELNS1_11target_archE906ELNS1_3gpuE6ELNS1_3repE0EEENS1_30default_config_static_selectorELNS0_4arch9wavefront6targetE0EEEvSY_: ; @_ZN7rocprim17ROCPRIM_400000_NS6detail17trampoline_kernelINS0_13select_configILj256ELj13ELNS0_17block_load_methodE3ELS4_3ELS4_3ELNS0_20block_scan_algorithmE0ELj4294967295EEENS1_25partition_config_selectorILNS1_17partition_subalgoE3EjNS0_10empty_typeEbEEZZNS1_14partition_implILS8_3ELb0ES6_jNS0_17counting_iteratorIjlEEPS9_SE_NS0_5tupleIJPjSE_EEENSF_IJSE_SE_EEES9_SG_JZNS1_25segmented_radix_sort_implINS0_14default_configELb1EPKdPdPKlPlN2at6native12_GLOBAL__N_18offset_tEEE10hipError_tPvRmT1_PNSt15iterator_traitsISY_E10value_typeET2_T3_PNSZ_IS14_E10value_typeET4_jRbjT5_S1A_jjP12ihipStream_tbEUljE_EEESV_SW_SX_S14_S18_S1A_T6_T7_T9_mT8_S1C_bDpT10_ENKUlT_T0_E_clISt17integral_constantIbLb1EES1O_IbLb0EEEEDaS1K_S1L_EUlS1K_E_NS1_11comp_targetILNS1_3genE2ELNS1_11target_archE906ELNS1_3gpuE6ELNS1_3repE0EEENS1_30default_config_static_selectorELNS0_4arch9wavefront6targetE0EEEvSY_
; %bb.0:
	.section	.rodata,"a",@progbits
	.p2align	6, 0x0
	.amdhsa_kernel _ZN7rocprim17ROCPRIM_400000_NS6detail17trampoline_kernelINS0_13select_configILj256ELj13ELNS0_17block_load_methodE3ELS4_3ELS4_3ELNS0_20block_scan_algorithmE0ELj4294967295EEENS1_25partition_config_selectorILNS1_17partition_subalgoE3EjNS0_10empty_typeEbEEZZNS1_14partition_implILS8_3ELb0ES6_jNS0_17counting_iteratorIjlEEPS9_SE_NS0_5tupleIJPjSE_EEENSF_IJSE_SE_EEES9_SG_JZNS1_25segmented_radix_sort_implINS0_14default_configELb1EPKdPdPKlPlN2at6native12_GLOBAL__N_18offset_tEEE10hipError_tPvRmT1_PNSt15iterator_traitsISY_E10value_typeET2_T3_PNSZ_IS14_E10value_typeET4_jRbjT5_S1A_jjP12ihipStream_tbEUljE_EEESV_SW_SX_S14_S18_S1A_T6_T7_T9_mT8_S1C_bDpT10_ENKUlT_T0_E_clISt17integral_constantIbLb1EES1O_IbLb0EEEEDaS1K_S1L_EUlS1K_E_NS1_11comp_targetILNS1_3genE2ELNS1_11target_archE906ELNS1_3gpuE6ELNS1_3repE0EEENS1_30default_config_static_selectorELNS0_4arch9wavefront6targetE0EEEvSY_
		.amdhsa_group_segment_fixed_size 0
		.amdhsa_private_segment_fixed_size 0
		.amdhsa_kernarg_size 144
		.amdhsa_user_sgpr_count 2
		.amdhsa_user_sgpr_dispatch_ptr 0
		.amdhsa_user_sgpr_queue_ptr 0
		.amdhsa_user_sgpr_kernarg_segment_ptr 1
		.amdhsa_user_sgpr_dispatch_id 0
		.amdhsa_user_sgpr_private_segment_size 0
		.amdhsa_wavefront_size32 1
		.amdhsa_uses_dynamic_stack 0
		.amdhsa_enable_private_segment 0
		.amdhsa_system_sgpr_workgroup_id_x 1
		.amdhsa_system_sgpr_workgroup_id_y 0
		.amdhsa_system_sgpr_workgroup_id_z 0
		.amdhsa_system_sgpr_workgroup_info 0
		.amdhsa_system_vgpr_workitem_id 0
		.amdhsa_next_free_vgpr 1
		.amdhsa_next_free_sgpr 1
		.amdhsa_reserve_vcc 0
		.amdhsa_float_round_mode_32 0
		.amdhsa_float_round_mode_16_64 0
		.amdhsa_float_denorm_mode_32 3
		.amdhsa_float_denorm_mode_16_64 3
		.amdhsa_fp16_overflow 0
		.amdhsa_workgroup_processor_mode 1
		.amdhsa_memory_ordered 1
		.amdhsa_forward_progress 1
		.amdhsa_inst_pref_size 0
		.amdhsa_round_robin_scheduling 0
		.amdhsa_exception_fp_ieee_invalid_op 0
		.amdhsa_exception_fp_denorm_src 0
		.amdhsa_exception_fp_ieee_div_zero 0
		.amdhsa_exception_fp_ieee_overflow 0
		.amdhsa_exception_fp_ieee_underflow 0
		.amdhsa_exception_fp_ieee_inexact 0
		.amdhsa_exception_int_div_zero 0
	.end_amdhsa_kernel
	.section	.text._ZN7rocprim17ROCPRIM_400000_NS6detail17trampoline_kernelINS0_13select_configILj256ELj13ELNS0_17block_load_methodE3ELS4_3ELS4_3ELNS0_20block_scan_algorithmE0ELj4294967295EEENS1_25partition_config_selectorILNS1_17partition_subalgoE3EjNS0_10empty_typeEbEEZZNS1_14partition_implILS8_3ELb0ES6_jNS0_17counting_iteratorIjlEEPS9_SE_NS0_5tupleIJPjSE_EEENSF_IJSE_SE_EEES9_SG_JZNS1_25segmented_radix_sort_implINS0_14default_configELb1EPKdPdPKlPlN2at6native12_GLOBAL__N_18offset_tEEE10hipError_tPvRmT1_PNSt15iterator_traitsISY_E10value_typeET2_T3_PNSZ_IS14_E10value_typeET4_jRbjT5_S1A_jjP12ihipStream_tbEUljE_EEESV_SW_SX_S14_S18_S1A_T6_T7_T9_mT8_S1C_bDpT10_ENKUlT_T0_E_clISt17integral_constantIbLb1EES1O_IbLb0EEEEDaS1K_S1L_EUlS1K_E_NS1_11comp_targetILNS1_3genE2ELNS1_11target_archE906ELNS1_3gpuE6ELNS1_3repE0EEENS1_30default_config_static_selectorELNS0_4arch9wavefront6targetE0EEEvSY_,"axG",@progbits,_ZN7rocprim17ROCPRIM_400000_NS6detail17trampoline_kernelINS0_13select_configILj256ELj13ELNS0_17block_load_methodE3ELS4_3ELS4_3ELNS0_20block_scan_algorithmE0ELj4294967295EEENS1_25partition_config_selectorILNS1_17partition_subalgoE3EjNS0_10empty_typeEbEEZZNS1_14partition_implILS8_3ELb0ES6_jNS0_17counting_iteratorIjlEEPS9_SE_NS0_5tupleIJPjSE_EEENSF_IJSE_SE_EEES9_SG_JZNS1_25segmented_radix_sort_implINS0_14default_configELb1EPKdPdPKlPlN2at6native12_GLOBAL__N_18offset_tEEE10hipError_tPvRmT1_PNSt15iterator_traitsISY_E10value_typeET2_T3_PNSZ_IS14_E10value_typeET4_jRbjT5_S1A_jjP12ihipStream_tbEUljE_EEESV_SW_SX_S14_S18_S1A_T6_T7_T9_mT8_S1C_bDpT10_ENKUlT_T0_E_clISt17integral_constantIbLb1EES1O_IbLb0EEEEDaS1K_S1L_EUlS1K_E_NS1_11comp_targetILNS1_3genE2ELNS1_11target_archE906ELNS1_3gpuE6ELNS1_3repE0EEENS1_30default_config_static_selectorELNS0_4arch9wavefront6targetE0EEEvSY_,comdat
.Lfunc_end1106:
	.size	_ZN7rocprim17ROCPRIM_400000_NS6detail17trampoline_kernelINS0_13select_configILj256ELj13ELNS0_17block_load_methodE3ELS4_3ELS4_3ELNS0_20block_scan_algorithmE0ELj4294967295EEENS1_25partition_config_selectorILNS1_17partition_subalgoE3EjNS0_10empty_typeEbEEZZNS1_14partition_implILS8_3ELb0ES6_jNS0_17counting_iteratorIjlEEPS9_SE_NS0_5tupleIJPjSE_EEENSF_IJSE_SE_EEES9_SG_JZNS1_25segmented_radix_sort_implINS0_14default_configELb1EPKdPdPKlPlN2at6native12_GLOBAL__N_18offset_tEEE10hipError_tPvRmT1_PNSt15iterator_traitsISY_E10value_typeET2_T3_PNSZ_IS14_E10value_typeET4_jRbjT5_S1A_jjP12ihipStream_tbEUljE_EEESV_SW_SX_S14_S18_S1A_T6_T7_T9_mT8_S1C_bDpT10_ENKUlT_T0_E_clISt17integral_constantIbLb1EES1O_IbLb0EEEEDaS1K_S1L_EUlS1K_E_NS1_11comp_targetILNS1_3genE2ELNS1_11target_archE906ELNS1_3gpuE6ELNS1_3repE0EEENS1_30default_config_static_selectorELNS0_4arch9wavefront6targetE0EEEvSY_, .Lfunc_end1106-_ZN7rocprim17ROCPRIM_400000_NS6detail17trampoline_kernelINS0_13select_configILj256ELj13ELNS0_17block_load_methodE3ELS4_3ELS4_3ELNS0_20block_scan_algorithmE0ELj4294967295EEENS1_25partition_config_selectorILNS1_17partition_subalgoE3EjNS0_10empty_typeEbEEZZNS1_14partition_implILS8_3ELb0ES6_jNS0_17counting_iteratorIjlEEPS9_SE_NS0_5tupleIJPjSE_EEENSF_IJSE_SE_EEES9_SG_JZNS1_25segmented_radix_sort_implINS0_14default_configELb1EPKdPdPKlPlN2at6native12_GLOBAL__N_18offset_tEEE10hipError_tPvRmT1_PNSt15iterator_traitsISY_E10value_typeET2_T3_PNSZ_IS14_E10value_typeET4_jRbjT5_S1A_jjP12ihipStream_tbEUljE_EEESV_SW_SX_S14_S18_S1A_T6_T7_T9_mT8_S1C_bDpT10_ENKUlT_T0_E_clISt17integral_constantIbLb1EES1O_IbLb0EEEEDaS1K_S1L_EUlS1K_E_NS1_11comp_targetILNS1_3genE2ELNS1_11target_archE906ELNS1_3gpuE6ELNS1_3repE0EEENS1_30default_config_static_selectorELNS0_4arch9wavefront6targetE0EEEvSY_
                                        ; -- End function
	.set _ZN7rocprim17ROCPRIM_400000_NS6detail17trampoline_kernelINS0_13select_configILj256ELj13ELNS0_17block_load_methodE3ELS4_3ELS4_3ELNS0_20block_scan_algorithmE0ELj4294967295EEENS1_25partition_config_selectorILNS1_17partition_subalgoE3EjNS0_10empty_typeEbEEZZNS1_14partition_implILS8_3ELb0ES6_jNS0_17counting_iteratorIjlEEPS9_SE_NS0_5tupleIJPjSE_EEENSF_IJSE_SE_EEES9_SG_JZNS1_25segmented_radix_sort_implINS0_14default_configELb1EPKdPdPKlPlN2at6native12_GLOBAL__N_18offset_tEEE10hipError_tPvRmT1_PNSt15iterator_traitsISY_E10value_typeET2_T3_PNSZ_IS14_E10value_typeET4_jRbjT5_S1A_jjP12ihipStream_tbEUljE_EEESV_SW_SX_S14_S18_S1A_T6_T7_T9_mT8_S1C_bDpT10_ENKUlT_T0_E_clISt17integral_constantIbLb1EES1O_IbLb0EEEEDaS1K_S1L_EUlS1K_E_NS1_11comp_targetILNS1_3genE2ELNS1_11target_archE906ELNS1_3gpuE6ELNS1_3repE0EEENS1_30default_config_static_selectorELNS0_4arch9wavefront6targetE0EEEvSY_.num_vgpr, 0
	.set _ZN7rocprim17ROCPRIM_400000_NS6detail17trampoline_kernelINS0_13select_configILj256ELj13ELNS0_17block_load_methodE3ELS4_3ELS4_3ELNS0_20block_scan_algorithmE0ELj4294967295EEENS1_25partition_config_selectorILNS1_17partition_subalgoE3EjNS0_10empty_typeEbEEZZNS1_14partition_implILS8_3ELb0ES6_jNS0_17counting_iteratorIjlEEPS9_SE_NS0_5tupleIJPjSE_EEENSF_IJSE_SE_EEES9_SG_JZNS1_25segmented_radix_sort_implINS0_14default_configELb1EPKdPdPKlPlN2at6native12_GLOBAL__N_18offset_tEEE10hipError_tPvRmT1_PNSt15iterator_traitsISY_E10value_typeET2_T3_PNSZ_IS14_E10value_typeET4_jRbjT5_S1A_jjP12ihipStream_tbEUljE_EEESV_SW_SX_S14_S18_S1A_T6_T7_T9_mT8_S1C_bDpT10_ENKUlT_T0_E_clISt17integral_constantIbLb1EES1O_IbLb0EEEEDaS1K_S1L_EUlS1K_E_NS1_11comp_targetILNS1_3genE2ELNS1_11target_archE906ELNS1_3gpuE6ELNS1_3repE0EEENS1_30default_config_static_selectorELNS0_4arch9wavefront6targetE0EEEvSY_.num_agpr, 0
	.set _ZN7rocprim17ROCPRIM_400000_NS6detail17trampoline_kernelINS0_13select_configILj256ELj13ELNS0_17block_load_methodE3ELS4_3ELS4_3ELNS0_20block_scan_algorithmE0ELj4294967295EEENS1_25partition_config_selectorILNS1_17partition_subalgoE3EjNS0_10empty_typeEbEEZZNS1_14partition_implILS8_3ELb0ES6_jNS0_17counting_iteratorIjlEEPS9_SE_NS0_5tupleIJPjSE_EEENSF_IJSE_SE_EEES9_SG_JZNS1_25segmented_radix_sort_implINS0_14default_configELb1EPKdPdPKlPlN2at6native12_GLOBAL__N_18offset_tEEE10hipError_tPvRmT1_PNSt15iterator_traitsISY_E10value_typeET2_T3_PNSZ_IS14_E10value_typeET4_jRbjT5_S1A_jjP12ihipStream_tbEUljE_EEESV_SW_SX_S14_S18_S1A_T6_T7_T9_mT8_S1C_bDpT10_ENKUlT_T0_E_clISt17integral_constantIbLb1EES1O_IbLb0EEEEDaS1K_S1L_EUlS1K_E_NS1_11comp_targetILNS1_3genE2ELNS1_11target_archE906ELNS1_3gpuE6ELNS1_3repE0EEENS1_30default_config_static_selectorELNS0_4arch9wavefront6targetE0EEEvSY_.numbered_sgpr, 0
	.set _ZN7rocprim17ROCPRIM_400000_NS6detail17trampoline_kernelINS0_13select_configILj256ELj13ELNS0_17block_load_methodE3ELS4_3ELS4_3ELNS0_20block_scan_algorithmE0ELj4294967295EEENS1_25partition_config_selectorILNS1_17partition_subalgoE3EjNS0_10empty_typeEbEEZZNS1_14partition_implILS8_3ELb0ES6_jNS0_17counting_iteratorIjlEEPS9_SE_NS0_5tupleIJPjSE_EEENSF_IJSE_SE_EEES9_SG_JZNS1_25segmented_radix_sort_implINS0_14default_configELb1EPKdPdPKlPlN2at6native12_GLOBAL__N_18offset_tEEE10hipError_tPvRmT1_PNSt15iterator_traitsISY_E10value_typeET2_T3_PNSZ_IS14_E10value_typeET4_jRbjT5_S1A_jjP12ihipStream_tbEUljE_EEESV_SW_SX_S14_S18_S1A_T6_T7_T9_mT8_S1C_bDpT10_ENKUlT_T0_E_clISt17integral_constantIbLb1EES1O_IbLb0EEEEDaS1K_S1L_EUlS1K_E_NS1_11comp_targetILNS1_3genE2ELNS1_11target_archE906ELNS1_3gpuE6ELNS1_3repE0EEENS1_30default_config_static_selectorELNS0_4arch9wavefront6targetE0EEEvSY_.num_named_barrier, 0
	.set _ZN7rocprim17ROCPRIM_400000_NS6detail17trampoline_kernelINS0_13select_configILj256ELj13ELNS0_17block_load_methodE3ELS4_3ELS4_3ELNS0_20block_scan_algorithmE0ELj4294967295EEENS1_25partition_config_selectorILNS1_17partition_subalgoE3EjNS0_10empty_typeEbEEZZNS1_14partition_implILS8_3ELb0ES6_jNS0_17counting_iteratorIjlEEPS9_SE_NS0_5tupleIJPjSE_EEENSF_IJSE_SE_EEES9_SG_JZNS1_25segmented_radix_sort_implINS0_14default_configELb1EPKdPdPKlPlN2at6native12_GLOBAL__N_18offset_tEEE10hipError_tPvRmT1_PNSt15iterator_traitsISY_E10value_typeET2_T3_PNSZ_IS14_E10value_typeET4_jRbjT5_S1A_jjP12ihipStream_tbEUljE_EEESV_SW_SX_S14_S18_S1A_T6_T7_T9_mT8_S1C_bDpT10_ENKUlT_T0_E_clISt17integral_constantIbLb1EES1O_IbLb0EEEEDaS1K_S1L_EUlS1K_E_NS1_11comp_targetILNS1_3genE2ELNS1_11target_archE906ELNS1_3gpuE6ELNS1_3repE0EEENS1_30default_config_static_selectorELNS0_4arch9wavefront6targetE0EEEvSY_.private_seg_size, 0
	.set _ZN7rocprim17ROCPRIM_400000_NS6detail17trampoline_kernelINS0_13select_configILj256ELj13ELNS0_17block_load_methodE3ELS4_3ELS4_3ELNS0_20block_scan_algorithmE0ELj4294967295EEENS1_25partition_config_selectorILNS1_17partition_subalgoE3EjNS0_10empty_typeEbEEZZNS1_14partition_implILS8_3ELb0ES6_jNS0_17counting_iteratorIjlEEPS9_SE_NS0_5tupleIJPjSE_EEENSF_IJSE_SE_EEES9_SG_JZNS1_25segmented_radix_sort_implINS0_14default_configELb1EPKdPdPKlPlN2at6native12_GLOBAL__N_18offset_tEEE10hipError_tPvRmT1_PNSt15iterator_traitsISY_E10value_typeET2_T3_PNSZ_IS14_E10value_typeET4_jRbjT5_S1A_jjP12ihipStream_tbEUljE_EEESV_SW_SX_S14_S18_S1A_T6_T7_T9_mT8_S1C_bDpT10_ENKUlT_T0_E_clISt17integral_constantIbLb1EES1O_IbLb0EEEEDaS1K_S1L_EUlS1K_E_NS1_11comp_targetILNS1_3genE2ELNS1_11target_archE906ELNS1_3gpuE6ELNS1_3repE0EEENS1_30default_config_static_selectorELNS0_4arch9wavefront6targetE0EEEvSY_.uses_vcc, 0
	.set _ZN7rocprim17ROCPRIM_400000_NS6detail17trampoline_kernelINS0_13select_configILj256ELj13ELNS0_17block_load_methodE3ELS4_3ELS4_3ELNS0_20block_scan_algorithmE0ELj4294967295EEENS1_25partition_config_selectorILNS1_17partition_subalgoE3EjNS0_10empty_typeEbEEZZNS1_14partition_implILS8_3ELb0ES6_jNS0_17counting_iteratorIjlEEPS9_SE_NS0_5tupleIJPjSE_EEENSF_IJSE_SE_EEES9_SG_JZNS1_25segmented_radix_sort_implINS0_14default_configELb1EPKdPdPKlPlN2at6native12_GLOBAL__N_18offset_tEEE10hipError_tPvRmT1_PNSt15iterator_traitsISY_E10value_typeET2_T3_PNSZ_IS14_E10value_typeET4_jRbjT5_S1A_jjP12ihipStream_tbEUljE_EEESV_SW_SX_S14_S18_S1A_T6_T7_T9_mT8_S1C_bDpT10_ENKUlT_T0_E_clISt17integral_constantIbLb1EES1O_IbLb0EEEEDaS1K_S1L_EUlS1K_E_NS1_11comp_targetILNS1_3genE2ELNS1_11target_archE906ELNS1_3gpuE6ELNS1_3repE0EEENS1_30default_config_static_selectorELNS0_4arch9wavefront6targetE0EEEvSY_.uses_flat_scratch, 0
	.set _ZN7rocprim17ROCPRIM_400000_NS6detail17trampoline_kernelINS0_13select_configILj256ELj13ELNS0_17block_load_methodE3ELS4_3ELS4_3ELNS0_20block_scan_algorithmE0ELj4294967295EEENS1_25partition_config_selectorILNS1_17partition_subalgoE3EjNS0_10empty_typeEbEEZZNS1_14partition_implILS8_3ELb0ES6_jNS0_17counting_iteratorIjlEEPS9_SE_NS0_5tupleIJPjSE_EEENSF_IJSE_SE_EEES9_SG_JZNS1_25segmented_radix_sort_implINS0_14default_configELb1EPKdPdPKlPlN2at6native12_GLOBAL__N_18offset_tEEE10hipError_tPvRmT1_PNSt15iterator_traitsISY_E10value_typeET2_T3_PNSZ_IS14_E10value_typeET4_jRbjT5_S1A_jjP12ihipStream_tbEUljE_EEESV_SW_SX_S14_S18_S1A_T6_T7_T9_mT8_S1C_bDpT10_ENKUlT_T0_E_clISt17integral_constantIbLb1EES1O_IbLb0EEEEDaS1K_S1L_EUlS1K_E_NS1_11comp_targetILNS1_3genE2ELNS1_11target_archE906ELNS1_3gpuE6ELNS1_3repE0EEENS1_30default_config_static_selectorELNS0_4arch9wavefront6targetE0EEEvSY_.has_dyn_sized_stack, 0
	.set _ZN7rocprim17ROCPRIM_400000_NS6detail17trampoline_kernelINS0_13select_configILj256ELj13ELNS0_17block_load_methodE3ELS4_3ELS4_3ELNS0_20block_scan_algorithmE0ELj4294967295EEENS1_25partition_config_selectorILNS1_17partition_subalgoE3EjNS0_10empty_typeEbEEZZNS1_14partition_implILS8_3ELb0ES6_jNS0_17counting_iteratorIjlEEPS9_SE_NS0_5tupleIJPjSE_EEENSF_IJSE_SE_EEES9_SG_JZNS1_25segmented_radix_sort_implINS0_14default_configELb1EPKdPdPKlPlN2at6native12_GLOBAL__N_18offset_tEEE10hipError_tPvRmT1_PNSt15iterator_traitsISY_E10value_typeET2_T3_PNSZ_IS14_E10value_typeET4_jRbjT5_S1A_jjP12ihipStream_tbEUljE_EEESV_SW_SX_S14_S18_S1A_T6_T7_T9_mT8_S1C_bDpT10_ENKUlT_T0_E_clISt17integral_constantIbLb1EES1O_IbLb0EEEEDaS1K_S1L_EUlS1K_E_NS1_11comp_targetILNS1_3genE2ELNS1_11target_archE906ELNS1_3gpuE6ELNS1_3repE0EEENS1_30default_config_static_selectorELNS0_4arch9wavefront6targetE0EEEvSY_.has_recursion, 0
	.set _ZN7rocprim17ROCPRIM_400000_NS6detail17trampoline_kernelINS0_13select_configILj256ELj13ELNS0_17block_load_methodE3ELS4_3ELS4_3ELNS0_20block_scan_algorithmE0ELj4294967295EEENS1_25partition_config_selectorILNS1_17partition_subalgoE3EjNS0_10empty_typeEbEEZZNS1_14partition_implILS8_3ELb0ES6_jNS0_17counting_iteratorIjlEEPS9_SE_NS0_5tupleIJPjSE_EEENSF_IJSE_SE_EEES9_SG_JZNS1_25segmented_radix_sort_implINS0_14default_configELb1EPKdPdPKlPlN2at6native12_GLOBAL__N_18offset_tEEE10hipError_tPvRmT1_PNSt15iterator_traitsISY_E10value_typeET2_T3_PNSZ_IS14_E10value_typeET4_jRbjT5_S1A_jjP12ihipStream_tbEUljE_EEESV_SW_SX_S14_S18_S1A_T6_T7_T9_mT8_S1C_bDpT10_ENKUlT_T0_E_clISt17integral_constantIbLb1EES1O_IbLb0EEEEDaS1K_S1L_EUlS1K_E_NS1_11comp_targetILNS1_3genE2ELNS1_11target_archE906ELNS1_3gpuE6ELNS1_3repE0EEENS1_30default_config_static_selectorELNS0_4arch9wavefront6targetE0EEEvSY_.has_indirect_call, 0
	.section	.AMDGPU.csdata,"",@progbits
; Kernel info:
; codeLenInByte = 0
; TotalNumSgprs: 0
; NumVgprs: 0
; ScratchSize: 0
; MemoryBound: 0
; FloatMode: 240
; IeeeMode: 1
; LDSByteSize: 0 bytes/workgroup (compile time only)
; SGPRBlocks: 0
; VGPRBlocks: 0
; NumSGPRsForWavesPerEU: 1
; NumVGPRsForWavesPerEU: 1
; Occupancy: 16
; WaveLimiterHint : 0
; COMPUTE_PGM_RSRC2:SCRATCH_EN: 0
; COMPUTE_PGM_RSRC2:USER_SGPR: 2
; COMPUTE_PGM_RSRC2:TRAP_HANDLER: 0
; COMPUTE_PGM_RSRC2:TGID_X_EN: 1
; COMPUTE_PGM_RSRC2:TGID_Y_EN: 0
; COMPUTE_PGM_RSRC2:TGID_Z_EN: 0
; COMPUTE_PGM_RSRC2:TIDIG_COMP_CNT: 0
	.section	.text._ZN7rocprim17ROCPRIM_400000_NS6detail17trampoline_kernelINS0_13select_configILj256ELj13ELNS0_17block_load_methodE3ELS4_3ELS4_3ELNS0_20block_scan_algorithmE0ELj4294967295EEENS1_25partition_config_selectorILNS1_17partition_subalgoE3EjNS0_10empty_typeEbEEZZNS1_14partition_implILS8_3ELb0ES6_jNS0_17counting_iteratorIjlEEPS9_SE_NS0_5tupleIJPjSE_EEENSF_IJSE_SE_EEES9_SG_JZNS1_25segmented_radix_sort_implINS0_14default_configELb1EPKdPdPKlPlN2at6native12_GLOBAL__N_18offset_tEEE10hipError_tPvRmT1_PNSt15iterator_traitsISY_E10value_typeET2_T3_PNSZ_IS14_E10value_typeET4_jRbjT5_S1A_jjP12ihipStream_tbEUljE_EEESV_SW_SX_S14_S18_S1A_T6_T7_T9_mT8_S1C_bDpT10_ENKUlT_T0_E_clISt17integral_constantIbLb1EES1O_IbLb0EEEEDaS1K_S1L_EUlS1K_E_NS1_11comp_targetILNS1_3genE10ELNS1_11target_archE1200ELNS1_3gpuE4ELNS1_3repE0EEENS1_30default_config_static_selectorELNS0_4arch9wavefront6targetE0EEEvSY_,"axG",@progbits,_ZN7rocprim17ROCPRIM_400000_NS6detail17trampoline_kernelINS0_13select_configILj256ELj13ELNS0_17block_load_methodE3ELS4_3ELS4_3ELNS0_20block_scan_algorithmE0ELj4294967295EEENS1_25partition_config_selectorILNS1_17partition_subalgoE3EjNS0_10empty_typeEbEEZZNS1_14partition_implILS8_3ELb0ES6_jNS0_17counting_iteratorIjlEEPS9_SE_NS0_5tupleIJPjSE_EEENSF_IJSE_SE_EEES9_SG_JZNS1_25segmented_radix_sort_implINS0_14default_configELb1EPKdPdPKlPlN2at6native12_GLOBAL__N_18offset_tEEE10hipError_tPvRmT1_PNSt15iterator_traitsISY_E10value_typeET2_T3_PNSZ_IS14_E10value_typeET4_jRbjT5_S1A_jjP12ihipStream_tbEUljE_EEESV_SW_SX_S14_S18_S1A_T6_T7_T9_mT8_S1C_bDpT10_ENKUlT_T0_E_clISt17integral_constantIbLb1EES1O_IbLb0EEEEDaS1K_S1L_EUlS1K_E_NS1_11comp_targetILNS1_3genE10ELNS1_11target_archE1200ELNS1_3gpuE4ELNS1_3repE0EEENS1_30default_config_static_selectorELNS0_4arch9wavefront6targetE0EEEvSY_,comdat
	.globl	_ZN7rocprim17ROCPRIM_400000_NS6detail17trampoline_kernelINS0_13select_configILj256ELj13ELNS0_17block_load_methodE3ELS4_3ELS4_3ELNS0_20block_scan_algorithmE0ELj4294967295EEENS1_25partition_config_selectorILNS1_17partition_subalgoE3EjNS0_10empty_typeEbEEZZNS1_14partition_implILS8_3ELb0ES6_jNS0_17counting_iteratorIjlEEPS9_SE_NS0_5tupleIJPjSE_EEENSF_IJSE_SE_EEES9_SG_JZNS1_25segmented_radix_sort_implINS0_14default_configELb1EPKdPdPKlPlN2at6native12_GLOBAL__N_18offset_tEEE10hipError_tPvRmT1_PNSt15iterator_traitsISY_E10value_typeET2_T3_PNSZ_IS14_E10value_typeET4_jRbjT5_S1A_jjP12ihipStream_tbEUljE_EEESV_SW_SX_S14_S18_S1A_T6_T7_T9_mT8_S1C_bDpT10_ENKUlT_T0_E_clISt17integral_constantIbLb1EES1O_IbLb0EEEEDaS1K_S1L_EUlS1K_E_NS1_11comp_targetILNS1_3genE10ELNS1_11target_archE1200ELNS1_3gpuE4ELNS1_3repE0EEENS1_30default_config_static_selectorELNS0_4arch9wavefront6targetE0EEEvSY_ ; -- Begin function _ZN7rocprim17ROCPRIM_400000_NS6detail17trampoline_kernelINS0_13select_configILj256ELj13ELNS0_17block_load_methodE3ELS4_3ELS4_3ELNS0_20block_scan_algorithmE0ELj4294967295EEENS1_25partition_config_selectorILNS1_17partition_subalgoE3EjNS0_10empty_typeEbEEZZNS1_14partition_implILS8_3ELb0ES6_jNS0_17counting_iteratorIjlEEPS9_SE_NS0_5tupleIJPjSE_EEENSF_IJSE_SE_EEES9_SG_JZNS1_25segmented_radix_sort_implINS0_14default_configELb1EPKdPdPKlPlN2at6native12_GLOBAL__N_18offset_tEEE10hipError_tPvRmT1_PNSt15iterator_traitsISY_E10value_typeET2_T3_PNSZ_IS14_E10value_typeET4_jRbjT5_S1A_jjP12ihipStream_tbEUljE_EEESV_SW_SX_S14_S18_S1A_T6_T7_T9_mT8_S1C_bDpT10_ENKUlT_T0_E_clISt17integral_constantIbLb1EES1O_IbLb0EEEEDaS1K_S1L_EUlS1K_E_NS1_11comp_targetILNS1_3genE10ELNS1_11target_archE1200ELNS1_3gpuE4ELNS1_3repE0EEENS1_30default_config_static_selectorELNS0_4arch9wavefront6targetE0EEEvSY_
	.p2align	8
	.type	_ZN7rocprim17ROCPRIM_400000_NS6detail17trampoline_kernelINS0_13select_configILj256ELj13ELNS0_17block_load_methodE3ELS4_3ELS4_3ELNS0_20block_scan_algorithmE0ELj4294967295EEENS1_25partition_config_selectorILNS1_17partition_subalgoE3EjNS0_10empty_typeEbEEZZNS1_14partition_implILS8_3ELb0ES6_jNS0_17counting_iteratorIjlEEPS9_SE_NS0_5tupleIJPjSE_EEENSF_IJSE_SE_EEES9_SG_JZNS1_25segmented_radix_sort_implINS0_14default_configELb1EPKdPdPKlPlN2at6native12_GLOBAL__N_18offset_tEEE10hipError_tPvRmT1_PNSt15iterator_traitsISY_E10value_typeET2_T3_PNSZ_IS14_E10value_typeET4_jRbjT5_S1A_jjP12ihipStream_tbEUljE_EEESV_SW_SX_S14_S18_S1A_T6_T7_T9_mT8_S1C_bDpT10_ENKUlT_T0_E_clISt17integral_constantIbLb1EES1O_IbLb0EEEEDaS1K_S1L_EUlS1K_E_NS1_11comp_targetILNS1_3genE10ELNS1_11target_archE1200ELNS1_3gpuE4ELNS1_3repE0EEENS1_30default_config_static_selectorELNS0_4arch9wavefront6targetE0EEEvSY_,@function
_ZN7rocprim17ROCPRIM_400000_NS6detail17trampoline_kernelINS0_13select_configILj256ELj13ELNS0_17block_load_methodE3ELS4_3ELS4_3ELNS0_20block_scan_algorithmE0ELj4294967295EEENS1_25partition_config_selectorILNS1_17partition_subalgoE3EjNS0_10empty_typeEbEEZZNS1_14partition_implILS8_3ELb0ES6_jNS0_17counting_iteratorIjlEEPS9_SE_NS0_5tupleIJPjSE_EEENSF_IJSE_SE_EEES9_SG_JZNS1_25segmented_radix_sort_implINS0_14default_configELb1EPKdPdPKlPlN2at6native12_GLOBAL__N_18offset_tEEE10hipError_tPvRmT1_PNSt15iterator_traitsISY_E10value_typeET2_T3_PNSZ_IS14_E10value_typeET4_jRbjT5_S1A_jjP12ihipStream_tbEUljE_EEESV_SW_SX_S14_S18_S1A_T6_T7_T9_mT8_S1C_bDpT10_ENKUlT_T0_E_clISt17integral_constantIbLb1EES1O_IbLb0EEEEDaS1K_S1L_EUlS1K_E_NS1_11comp_targetILNS1_3genE10ELNS1_11target_archE1200ELNS1_3gpuE4ELNS1_3repE0EEENS1_30default_config_static_selectorELNS0_4arch9wavefront6targetE0EEEvSY_: ; @_ZN7rocprim17ROCPRIM_400000_NS6detail17trampoline_kernelINS0_13select_configILj256ELj13ELNS0_17block_load_methodE3ELS4_3ELS4_3ELNS0_20block_scan_algorithmE0ELj4294967295EEENS1_25partition_config_selectorILNS1_17partition_subalgoE3EjNS0_10empty_typeEbEEZZNS1_14partition_implILS8_3ELb0ES6_jNS0_17counting_iteratorIjlEEPS9_SE_NS0_5tupleIJPjSE_EEENSF_IJSE_SE_EEES9_SG_JZNS1_25segmented_radix_sort_implINS0_14default_configELb1EPKdPdPKlPlN2at6native12_GLOBAL__N_18offset_tEEE10hipError_tPvRmT1_PNSt15iterator_traitsISY_E10value_typeET2_T3_PNSZ_IS14_E10value_typeET4_jRbjT5_S1A_jjP12ihipStream_tbEUljE_EEESV_SW_SX_S14_S18_S1A_T6_T7_T9_mT8_S1C_bDpT10_ENKUlT_T0_E_clISt17integral_constantIbLb1EES1O_IbLb0EEEEDaS1K_S1L_EUlS1K_E_NS1_11comp_targetILNS1_3genE10ELNS1_11target_archE1200ELNS1_3gpuE4ELNS1_3repE0EEENS1_30default_config_static_selectorELNS0_4arch9wavefront6targetE0EEEvSY_
; %bb.0:
	s_endpgm
	.section	.rodata,"a",@progbits
	.p2align	6, 0x0
	.amdhsa_kernel _ZN7rocprim17ROCPRIM_400000_NS6detail17trampoline_kernelINS0_13select_configILj256ELj13ELNS0_17block_load_methodE3ELS4_3ELS4_3ELNS0_20block_scan_algorithmE0ELj4294967295EEENS1_25partition_config_selectorILNS1_17partition_subalgoE3EjNS0_10empty_typeEbEEZZNS1_14partition_implILS8_3ELb0ES6_jNS0_17counting_iteratorIjlEEPS9_SE_NS0_5tupleIJPjSE_EEENSF_IJSE_SE_EEES9_SG_JZNS1_25segmented_radix_sort_implINS0_14default_configELb1EPKdPdPKlPlN2at6native12_GLOBAL__N_18offset_tEEE10hipError_tPvRmT1_PNSt15iterator_traitsISY_E10value_typeET2_T3_PNSZ_IS14_E10value_typeET4_jRbjT5_S1A_jjP12ihipStream_tbEUljE_EEESV_SW_SX_S14_S18_S1A_T6_T7_T9_mT8_S1C_bDpT10_ENKUlT_T0_E_clISt17integral_constantIbLb1EES1O_IbLb0EEEEDaS1K_S1L_EUlS1K_E_NS1_11comp_targetILNS1_3genE10ELNS1_11target_archE1200ELNS1_3gpuE4ELNS1_3repE0EEENS1_30default_config_static_selectorELNS0_4arch9wavefront6targetE0EEEvSY_
		.amdhsa_group_segment_fixed_size 0
		.amdhsa_private_segment_fixed_size 0
		.amdhsa_kernarg_size 144
		.amdhsa_user_sgpr_count 2
		.amdhsa_user_sgpr_dispatch_ptr 0
		.amdhsa_user_sgpr_queue_ptr 0
		.amdhsa_user_sgpr_kernarg_segment_ptr 1
		.amdhsa_user_sgpr_dispatch_id 0
		.amdhsa_user_sgpr_private_segment_size 0
		.amdhsa_wavefront_size32 1
		.amdhsa_uses_dynamic_stack 0
		.amdhsa_enable_private_segment 0
		.amdhsa_system_sgpr_workgroup_id_x 1
		.amdhsa_system_sgpr_workgroup_id_y 0
		.amdhsa_system_sgpr_workgroup_id_z 0
		.amdhsa_system_sgpr_workgroup_info 0
		.amdhsa_system_vgpr_workitem_id 0
		.amdhsa_next_free_vgpr 1
		.amdhsa_next_free_sgpr 1
		.amdhsa_reserve_vcc 0
		.amdhsa_float_round_mode_32 0
		.amdhsa_float_round_mode_16_64 0
		.amdhsa_float_denorm_mode_32 3
		.amdhsa_float_denorm_mode_16_64 3
		.amdhsa_fp16_overflow 0
		.amdhsa_workgroup_processor_mode 1
		.amdhsa_memory_ordered 1
		.amdhsa_forward_progress 1
		.amdhsa_inst_pref_size 1
		.amdhsa_round_robin_scheduling 0
		.amdhsa_exception_fp_ieee_invalid_op 0
		.amdhsa_exception_fp_denorm_src 0
		.amdhsa_exception_fp_ieee_div_zero 0
		.amdhsa_exception_fp_ieee_overflow 0
		.amdhsa_exception_fp_ieee_underflow 0
		.amdhsa_exception_fp_ieee_inexact 0
		.amdhsa_exception_int_div_zero 0
	.end_amdhsa_kernel
	.section	.text._ZN7rocprim17ROCPRIM_400000_NS6detail17trampoline_kernelINS0_13select_configILj256ELj13ELNS0_17block_load_methodE3ELS4_3ELS4_3ELNS0_20block_scan_algorithmE0ELj4294967295EEENS1_25partition_config_selectorILNS1_17partition_subalgoE3EjNS0_10empty_typeEbEEZZNS1_14partition_implILS8_3ELb0ES6_jNS0_17counting_iteratorIjlEEPS9_SE_NS0_5tupleIJPjSE_EEENSF_IJSE_SE_EEES9_SG_JZNS1_25segmented_radix_sort_implINS0_14default_configELb1EPKdPdPKlPlN2at6native12_GLOBAL__N_18offset_tEEE10hipError_tPvRmT1_PNSt15iterator_traitsISY_E10value_typeET2_T3_PNSZ_IS14_E10value_typeET4_jRbjT5_S1A_jjP12ihipStream_tbEUljE_EEESV_SW_SX_S14_S18_S1A_T6_T7_T9_mT8_S1C_bDpT10_ENKUlT_T0_E_clISt17integral_constantIbLb1EES1O_IbLb0EEEEDaS1K_S1L_EUlS1K_E_NS1_11comp_targetILNS1_3genE10ELNS1_11target_archE1200ELNS1_3gpuE4ELNS1_3repE0EEENS1_30default_config_static_selectorELNS0_4arch9wavefront6targetE0EEEvSY_,"axG",@progbits,_ZN7rocprim17ROCPRIM_400000_NS6detail17trampoline_kernelINS0_13select_configILj256ELj13ELNS0_17block_load_methodE3ELS4_3ELS4_3ELNS0_20block_scan_algorithmE0ELj4294967295EEENS1_25partition_config_selectorILNS1_17partition_subalgoE3EjNS0_10empty_typeEbEEZZNS1_14partition_implILS8_3ELb0ES6_jNS0_17counting_iteratorIjlEEPS9_SE_NS0_5tupleIJPjSE_EEENSF_IJSE_SE_EEES9_SG_JZNS1_25segmented_radix_sort_implINS0_14default_configELb1EPKdPdPKlPlN2at6native12_GLOBAL__N_18offset_tEEE10hipError_tPvRmT1_PNSt15iterator_traitsISY_E10value_typeET2_T3_PNSZ_IS14_E10value_typeET4_jRbjT5_S1A_jjP12ihipStream_tbEUljE_EEESV_SW_SX_S14_S18_S1A_T6_T7_T9_mT8_S1C_bDpT10_ENKUlT_T0_E_clISt17integral_constantIbLb1EES1O_IbLb0EEEEDaS1K_S1L_EUlS1K_E_NS1_11comp_targetILNS1_3genE10ELNS1_11target_archE1200ELNS1_3gpuE4ELNS1_3repE0EEENS1_30default_config_static_selectorELNS0_4arch9wavefront6targetE0EEEvSY_,comdat
.Lfunc_end1107:
	.size	_ZN7rocprim17ROCPRIM_400000_NS6detail17trampoline_kernelINS0_13select_configILj256ELj13ELNS0_17block_load_methodE3ELS4_3ELS4_3ELNS0_20block_scan_algorithmE0ELj4294967295EEENS1_25partition_config_selectorILNS1_17partition_subalgoE3EjNS0_10empty_typeEbEEZZNS1_14partition_implILS8_3ELb0ES6_jNS0_17counting_iteratorIjlEEPS9_SE_NS0_5tupleIJPjSE_EEENSF_IJSE_SE_EEES9_SG_JZNS1_25segmented_radix_sort_implINS0_14default_configELb1EPKdPdPKlPlN2at6native12_GLOBAL__N_18offset_tEEE10hipError_tPvRmT1_PNSt15iterator_traitsISY_E10value_typeET2_T3_PNSZ_IS14_E10value_typeET4_jRbjT5_S1A_jjP12ihipStream_tbEUljE_EEESV_SW_SX_S14_S18_S1A_T6_T7_T9_mT8_S1C_bDpT10_ENKUlT_T0_E_clISt17integral_constantIbLb1EES1O_IbLb0EEEEDaS1K_S1L_EUlS1K_E_NS1_11comp_targetILNS1_3genE10ELNS1_11target_archE1200ELNS1_3gpuE4ELNS1_3repE0EEENS1_30default_config_static_selectorELNS0_4arch9wavefront6targetE0EEEvSY_, .Lfunc_end1107-_ZN7rocprim17ROCPRIM_400000_NS6detail17trampoline_kernelINS0_13select_configILj256ELj13ELNS0_17block_load_methodE3ELS4_3ELS4_3ELNS0_20block_scan_algorithmE0ELj4294967295EEENS1_25partition_config_selectorILNS1_17partition_subalgoE3EjNS0_10empty_typeEbEEZZNS1_14partition_implILS8_3ELb0ES6_jNS0_17counting_iteratorIjlEEPS9_SE_NS0_5tupleIJPjSE_EEENSF_IJSE_SE_EEES9_SG_JZNS1_25segmented_radix_sort_implINS0_14default_configELb1EPKdPdPKlPlN2at6native12_GLOBAL__N_18offset_tEEE10hipError_tPvRmT1_PNSt15iterator_traitsISY_E10value_typeET2_T3_PNSZ_IS14_E10value_typeET4_jRbjT5_S1A_jjP12ihipStream_tbEUljE_EEESV_SW_SX_S14_S18_S1A_T6_T7_T9_mT8_S1C_bDpT10_ENKUlT_T0_E_clISt17integral_constantIbLb1EES1O_IbLb0EEEEDaS1K_S1L_EUlS1K_E_NS1_11comp_targetILNS1_3genE10ELNS1_11target_archE1200ELNS1_3gpuE4ELNS1_3repE0EEENS1_30default_config_static_selectorELNS0_4arch9wavefront6targetE0EEEvSY_
                                        ; -- End function
	.set _ZN7rocprim17ROCPRIM_400000_NS6detail17trampoline_kernelINS0_13select_configILj256ELj13ELNS0_17block_load_methodE3ELS4_3ELS4_3ELNS0_20block_scan_algorithmE0ELj4294967295EEENS1_25partition_config_selectorILNS1_17partition_subalgoE3EjNS0_10empty_typeEbEEZZNS1_14partition_implILS8_3ELb0ES6_jNS0_17counting_iteratorIjlEEPS9_SE_NS0_5tupleIJPjSE_EEENSF_IJSE_SE_EEES9_SG_JZNS1_25segmented_radix_sort_implINS0_14default_configELb1EPKdPdPKlPlN2at6native12_GLOBAL__N_18offset_tEEE10hipError_tPvRmT1_PNSt15iterator_traitsISY_E10value_typeET2_T3_PNSZ_IS14_E10value_typeET4_jRbjT5_S1A_jjP12ihipStream_tbEUljE_EEESV_SW_SX_S14_S18_S1A_T6_T7_T9_mT8_S1C_bDpT10_ENKUlT_T0_E_clISt17integral_constantIbLb1EES1O_IbLb0EEEEDaS1K_S1L_EUlS1K_E_NS1_11comp_targetILNS1_3genE10ELNS1_11target_archE1200ELNS1_3gpuE4ELNS1_3repE0EEENS1_30default_config_static_selectorELNS0_4arch9wavefront6targetE0EEEvSY_.num_vgpr, 0
	.set _ZN7rocprim17ROCPRIM_400000_NS6detail17trampoline_kernelINS0_13select_configILj256ELj13ELNS0_17block_load_methodE3ELS4_3ELS4_3ELNS0_20block_scan_algorithmE0ELj4294967295EEENS1_25partition_config_selectorILNS1_17partition_subalgoE3EjNS0_10empty_typeEbEEZZNS1_14partition_implILS8_3ELb0ES6_jNS0_17counting_iteratorIjlEEPS9_SE_NS0_5tupleIJPjSE_EEENSF_IJSE_SE_EEES9_SG_JZNS1_25segmented_radix_sort_implINS0_14default_configELb1EPKdPdPKlPlN2at6native12_GLOBAL__N_18offset_tEEE10hipError_tPvRmT1_PNSt15iterator_traitsISY_E10value_typeET2_T3_PNSZ_IS14_E10value_typeET4_jRbjT5_S1A_jjP12ihipStream_tbEUljE_EEESV_SW_SX_S14_S18_S1A_T6_T7_T9_mT8_S1C_bDpT10_ENKUlT_T0_E_clISt17integral_constantIbLb1EES1O_IbLb0EEEEDaS1K_S1L_EUlS1K_E_NS1_11comp_targetILNS1_3genE10ELNS1_11target_archE1200ELNS1_3gpuE4ELNS1_3repE0EEENS1_30default_config_static_selectorELNS0_4arch9wavefront6targetE0EEEvSY_.num_agpr, 0
	.set _ZN7rocprim17ROCPRIM_400000_NS6detail17trampoline_kernelINS0_13select_configILj256ELj13ELNS0_17block_load_methodE3ELS4_3ELS4_3ELNS0_20block_scan_algorithmE0ELj4294967295EEENS1_25partition_config_selectorILNS1_17partition_subalgoE3EjNS0_10empty_typeEbEEZZNS1_14partition_implILS8_3ELb0ES6_jNS0_17counting_iteratorIjlEEPS9_SE_NS0_5tupleIJPjSE_EEENSF_IJSE_SE_EEES9_SG_JZNS1_25segmented_radix_sort_implINS0_14default_configELb1EPKdPdPKlPlN2at6native12_GLOBAL__N_18offset_tEEE10hipError_tPvRmT1_PNSt15iterator_traitsISY_E10value_typeET2_T3_PNSZ_IS14_E10value_typeET4_jRbjT5_S1A_jjP12ihipStream_tbEUljE_EEESV_SW_SX_S14_S18_S1A_T6_T7_T9_mT8_S1C_bDpT10_ENKUlT_T0_E_clISt17integral_constantIbLb1EES1O_IbLb0EEEEDaS1K_S1L_EUlS1K_E_NS1_11comp_targetILNS1_3genE10ELNS1_11target_archE1200ELNS1_3gpuE4ELNS1_3repE0EEENS1_30default_config_static_selectorELNS0_4arch9wavefront6targetE0EEEvSY_.numbered_sgpr, 0
	.set _ZN7rocprim17ROCPRIM_400000_NS6detail17trampoline_kernelINS0_13select_configILj256ELj13ELNS0_17block_load_methodE3ELS4_3ELS4_3ELNS0_20block_scan_algorithmE0ELj4294967295EEENS1_25partition_config_selectorILNS1_17partition_subalgoE3EjNS0_10empty_typeEbEEZZNS1_14partition_implILS8_3ELb0ES6_jNS0_17counting_iteratorIjlEEPS9_SE_NS0_5tupleIJPjSE_EEENSF_IJSE_SE_EEES9_SG_JZNS1_25segmented_radix_sort_implINS0_14default_configELb1EPKdPdPKlPlN2at6native12_GLOBAL__N_18offset_tEEE10hipError_tPvRmT1_PNSt15iterator_traitsISY_E10value_typeET2_T3_PNSZ_IS14_E10value_typeET4_jRbjT5_S1A_jjP12ihipStream_tbEUljE_EEESV_SW_SX_S14_S18_S1A_T6_T7_T9_mT8_S1C_bDpT10_ENKUlT_T0_E_clISt17integral_constantIbLb1EES1O_IbLb0EEEEDaS1K_S1L_EUlS1K_E_NS1_11comp_targetILNS1_3genE10ELNS1_11target_archE1200ELNS1_3gpuE4ELNS1_3repE0EEENS1_30default_config_static_selectorELNS0_4arch9wavefront6targetE0EEEvSY_.num_named_barrier, 0
	.set _ZN7rocprim17ROCPRIM_400000_NS6detail17trampoline_kernelINS0_13select_configILj256ELj13ELNS0_17block_load_methodE3ELS4_3ELS4_3ELNS0_20block_scan_algorithmE0ELj4294967295EEENS1_25partition_config_selectorILNS1_17partition_subalgoE3EjNS0_10empty_typeEbEEZZNS1_14partition_implILS8_3ELb0ES6_jNS0_17counting_iteratorIjlEEPS9_SE_NS0_5tupleIJPjSE_EEENSF_IJSE_SE_EEES9_SG_JZNS1_25segmented_radix_sort_implINS0_14default_configELb1EPKdPdPKlPlN2at6native12_GLOBAL__N_18offset_tEEE10hipError_tPvRmT1_PNSt15iterator_traitsISY_E10value_typeET2_T3_PNSZ_IS14_E10value_typeET4_jRbjT5_S1A_jjP12ihipStream_tbEUljE_EEESV_SW_SX_S14_S18_S1A_T6_T7_T9_mT8_S1C_bDpT10_ENKUlT_T0_E_clISt17integral_constantIbLb1EES1O_IbLb0EEEEDaS1K_S1L_EUlS1K_E_NS1_11comp_targetILNS1_3genE10ELNS1_11target_archE1200ELNS1_3gpuE4ELNS1_3repE0EEENS1_30default_config_static_selectorELNS0_4arch9wavefront6targetE0EEEvSY_.private_seg_size, 0
	.set _ZN7rocprim17ROCPRIM_400000_NS6detail17trampoline_kernelINS0_13select_configILj256ELj13ELNS0_17block_load_methodE3ELS4_3ELS4_3ELNS0_20block_scan_algorithmE0ELj4294967295EEENS1_25partition_config_selectorILNS1_17partition_subalgoE3EjNS0_10empty_typeEbEEZZNS1_14partition_implILS8_3ELb0ES6_jNS0_17counting_iteratorIjlEEPS9_SE_NS0_5tupleIJPjSE_EEENSF_IJSE_SE_EEES9_SG_JZNS1_25segmented_radix_sort_implINS0_14default_configELb1EPKdPdPKlPlN2at6native12_GLOBAL__N_18offset_tEEE10hipError_tPvRmT1_PNSt15iterator_traitsISY_E10value_typeET2_T3_PNSZ_IS14_E10value_typeET4_jRbjT5_S1A_jjP12ihipStream_tbEUljE_EEESV_SW_SX_S14_S18_S1A_T6_T7_T9_mT8_S1C_bDpT10_ENKUlT_T0_E_clISt17integral_constantIbLb1EES1O_IbLb0EEEEDaS1K_S1L_EUlS1K_E_NS1_11comp_targetILNS1_3genE10ELNS1_11target_archE1200ELNS1_3gpuE4ELNS1_3repE0EEENS1_30default_config_static_selectorELNS0_4arch9wavefront6targetE0EEEvSY_.uses_vcc, 0
	.set _ZN7rocprim17ROCPRIM_400000_NS6detail17trampoline_kernelINS0_13select_configILj256ELj13ELNS0_17block_load_methodE3ELS4_3ELS4_3ELNS0_20block_scan_algorithmE0ELj4294967295EEENS1_25partition_config_selectorILNS1_17partition_subalgoE3EjNS0_10empty_typeEbEEZZNS1_14partition_implILS8_3ELb0ES6_jNS0_17counting_iteratorIjlEEPS9_SE_NS0_5tupleIJPjSE_EEENSF_IJSE_SE_EEES9_SG_JZNS1_25segmented_radix_sort_implINS0_14default_configELb1EPKdPdPKlPlN2at6native12_GLOBAL__N_18offset_tEEE10hipError_tPvRmT1_PNSt15iterator_traitsISY_E10value_typeET2_T3_PNSZ_IS14_E10value_typeET4_jRbjT5_S1A_jjP12ihipStream_tbEUljE_EEESV_SW_SX_S14_S18_S1A_T6_T7_T9_mT8_S1C_bDpT10_ENKUlT_T0_E_clISt17integral_constantIbLb1EES1O_IbLb0EEEEDaS1K_S1L_EUlS1K_E_NS1_11comp_targetILNS1_3genE10ELNS1_11target_archE1200ELNS1_3gpuE4ELNS1_3repE0EEENS1_30default_config_static_selectorELNS0_4arch9wavefront6targetE0EEEvSY_.uses_flat_scratch, 0
	.set _ZN7rocprim17ROCPRIM_400000_NS6detail17trampoline_kernelINS0_13select_configILj256ELj13ELNS0_17block_load_methodE3ELS4_3ELS4_3ELNS0_20block_scan_algorithmE0ELj4294967295EEENS1_25partition_config_selectorILNS1_17partition_subalgoE3EjNS0_10empty_typeEbEEZZNS1_14partition_implILS8_3ELb0ES6_jNS0_17counting_iteratorIjlEEPS9_SE_NS0_5tupleIJPjSE_EEENSF_IJSE_SE_EEES9_SG_JZNS1_25segmented_radix_sort_implINS0_14default_configELb1EPKdPdPKlPlN2at6native12_GLOBAL__N_18offset_tEEE10hipError_tPvRmT1_PNSt15iterator_traitsISY_E10value_typeET2_T3_PNSZ_IS14_E10value_typeET4_jRbjT5_S1A_jjP12ihipStream_tbEUljE_EEESV_SW_SX_S14_S18_S1A_T6_T7_T9_mT8_S1C_bDpT10_ENKUlT_T0_E_clISt17integral_constantIbLb1EES1O_IbLb0EEEEDaS1K_S1L_EUlS1K_E_NS1_11comp_targetILNS1_3genE10ELNS1_11target_archE1200ELNS1_3gpuE4ELNS1_3repE0EEENS1_30default_config_static_selectorELNS0_4arch9wavefront6targetE0EEEvSY_.has_dyn_sized_stack, 0
	.set _ZN7rocprim17ROCPRIM_400000_NS6detail17trampoline_kernelINS0_13select_configILj256ELj13ELNS0_17block_load_methodE3ELS4_3ELS4_3ELNS0_20block_scan_algorithmE0ELj4294967295EEENS1_25partition_config_selectorILNS1_17partition_subalgoE3EjNS0_10empty_typeEbEEZZNS1_14partition_implILS8_3ELb0ES6_jNS0_17counting_iteratorIjlEEPS9_SE_NS0_5tupleIJPjSE_EEENSF_IJSE_SE_EEES9_SG_JZNS1_25segmented_radix_sort_implINS0_14default_configELb1EPKdPdPKlPlN2at6native12_GLOBAL__N_18offset_tEEE10hipError_tPvRmT1_PNSt15iterator_traitsISY_E10value_typeET2_T3_PNSZ_IS14_E10value_typeET4_jRbjT5_S1A_jjP12ihipStream_tbEUljE_EEESV_SW_SX_S14_S18_S1A_T6_T7_T9_mT8_S1C_bDpT10_ENKUlT_T0_E_clISt17integral_constantIbLb1EES1O_IbLb0EEEEDaS1K_S1L_EUlS1K_E_NS1_11comp_targetILNS1_3genE10ELNS1_11target_archE1200ELNS1_3gpuE4ELNS1_3repE0EEENS1_30default_config_static_selectorELNS0_4arch9wavefront6targetE0EEEvSY_.has_recursion, 0
	.set _ZN7rocprim17ROCPRIM_400000_NS6detail17trampoline_kernelINS0_13select_configILj256ELj13ELNS0_17block_load_methodE3ELS4_3ELS4_3ELNS0_20block_scan_algorithmE0ELj4294967295EEENS1_25partition_config_selectorILNS1_17partition_subalgoE3EjNS0_10empty_typeEbEEZZNS1_14partition_implILS8_3ELb0ES6_jNS0_17counting_iteratorIjlEEPS9_SE_NS0_5tupleIJPjSE_EEENSF_IJSE_SE_EEES9_SG_JZNS1_25segmented_radix_sort_implINS0_14default_configELb1EPKdPdPKlPlN2at6native12_GLOBAL__N_18offset_tEEE10hipError_tPvRmT1_PNSt15iterator_traitsISY_E10value_typeET2_T3_PNSZ_IS14_E10value_typeET4_jRbjT5_S1A_jjP12ihipStream_tbEUljE_EEESV_SW_SX_S14_S18_S1A_T6_T7_T9_mT8_S1C_bDpT10_ENKUlT_T0_E_clISt17integral_constantIbLb1EES1O_IbLb0EEEEDaS1K_S1L_EUlS1K_E_NS1_11comp_targetILNS1_3genE10ELNS1_11target_archE1200ELNS1_3gpuE4ELNS1_3repE0EEENS1_30default_config_static_selectorELNS0_4arch9wavefront6targetE0EEEvSY_.has_indirect_call, 0
	.section	.AMDGPU.csdata,"",@progbits
; Kernel info:
; codeLenInByte = 4
; TotalNumSgprs: 0
; NumVgprs: 0
; ScratchSize: 0
; MemoryBound: 0
; FloatMode: 240
; IeeeMode: 1
; LDSByteSize: 0 bytes/workgroup (compile time only)
; SGPRBlocks: 0
; VGPRBlocks: 0
; NumSGPRsForWavesPerEU: 1
; NumVGPRsForWavesPerEU: 1
; Occupancy: 16
; WaveLimiterHint : 0
; COMPUTE_PGM_RSRC2:SCRATCH_EN: 0
; COMPUTE_PGM_RSRC2:USER_SGPR: 2
; COMPUTE_PGM_RSRC2:TRAP_HANDLER: 0
; COMPUTE_PGM_RSRC2:TGID_X_EN: 1
; COMPUTE_PGM_RSRC2:TGID_Y_EN: 0
; COMPUTE_PGM_RSRC2:TGID_Z_EN: 0
; COMPUTE_PGM_RSRC2:TIDIG_COMP_CNT: 0
	.section	.text._ZN7rocprim17ROCPRIM_400000_NS6detail17trampoline_kernelINS0_13select_configILj256ELj13ELNS0_17block_load_methodE3ELS4_3ELS4_3ELNS0_20block_scan_algorithmE0ELj4294967295EEENS1_25partition_config_selectorILNS1_17partition_subalgoE3EjNS0_10empty_typeEbEEZZNS1_14partition_implILS8_3ELb0ES6_jNS0_17counting_iteratorIjlEEPS9_SE_NS0_5tupleIJPjSE_EEENSF_IJSE_SE_EEES9_SG_JZNS1_25segmented_radix_sort_implINS0_14default_configELb1EPKdPdPKlPlN2at6native12_GLOBAL__N_18offset_tEEE10hipError_tPvRmT1_PNSt15iterator_traitsISY_E10value_typeET2_T3_PNSZ_IS14_E10value_typeET4_jRbjT5_S1A_jjP12ihipStream_tbEUljE_EEESV_SW_SX_S14_S18_S1A_T6_T7_T9_mT8_S1C_bDpT10_ENKUlT_T0_E_clISt17integral_constantIbLb1EES1O_IbLb0EEEEDaS1K_S1L_EUlS1K_E_NS1_11comp_targetILNS1_3genE9ELNS1_11target_archE1100ELNS1_3gpuE3ELNS1_3repE0EEENS1_30default_config_static_selectorELNS0_4arch9wavefront6targetE0EEEvSY_,"axG",@progbits,_ZN7rocprim17ROCPRIM_400000_NS6detail17trampoline_kernelINS0_13select_configILj256ELj13ELNS0_17block_load_methodE3ELS4_3ELS4_3ELNS0_20block_scan_algorithmE0ELj4294967295EEENS1_25partition_config_selectorILNS1_17partition_subalgoE3EjNS0_10empty_typeEbEEZZNS1_14partition_implILS8_3ELb0ES6_jNS0_17counting_iteratorIjlEEPS9_SE_NS0_5tupleIJPjSE_EEENSF_IJSE_SE_EEES9_SG_JZNS1_25segmented_radix_sort_implINS0_14default_configELb1EPKdPdPKlPlN2at6native12_GLOBAL__N_18offset_tEEE10hipError_tPvRmT1_PNSt15iterator_traitsISY_E10value_typeET2_T3_PNSZ_IS14_E10value_typeET4_jRbjT5_S1A_jjP12ihipStream_tbEUljE_EEESV_SW_SX_S14_S18_S1A_T6_T7_T9_mT8_S1C_bDpT10_ENKUlT_T0_E_clISt17integral_constantIbLb1EES1O_IbLb0EEEEDaS1K_S1L_EUlS1K_E_NS1_11comp_targetILNS1_3genE9ELNS1_11target_archE1100ELNS1_3gpuE3ELNS1_3repE0EEENS1_30default_config_static_selectorELNS0_4arch9wavefront6targetE0EEEvSY_,comdat
	.globl	_ZN7rocprim17ROCPRIM_400000_NS6detail17trampoline_kernelINS0_13select_configILj256ELj13ELNS0_17block_load_methodE3ELS4_3ELS4_3ELNS0_20block_scan_algorithmE0ELj4294967295EEENS1_25partition_config_selectorILNS1_17partition_subalgoE3EjNS0_10empty_typeEbEEZZNS1_14partition_implILS8_3ELb0ES6_jNS0_17counting_iteratorIjlEEPS9_SE_NS0_5tupleIJPjSE_EEENSF_IJSE_SE_EEES9_SG_JZNS1_25segmented_radix_sort_implINS0_14default_configELb1EPKdPdPKlPlN2at6native12_GLOBAL__N_18offset_tEEE10hipError_tPvRmT1_PNSt15iterator_traitsISY_E10value_typeET2_T3_PNSZ_IS14_E10value_typeET4_jRbjT5_S1A_jjP12ihipStream_tbEUljE_EEESV_SW_SX_S14_S18_S1A_T6_T7_T9_mT8_S1C_bDpT10_ENKUlT_T0_E_clISt17integral_constantIbLb1EES1O_IbLb0EEEEDaS1K_S1L_EUlS1K_E_NS1_11comp_targetILNS1_3genE9ELNS1_11target_archE1100ELNS1_3gpuE3ELNS1_3repE0EEENS1_30default_config_static_selectorELNS0_4arch9wavefront6targetE0EEEvSY_ ; -- Begin function _ZN7rocprim17ROCPRIM_400000_NS6detail17trampoline_kernelINS0_13select_configILj256ELj13ELNS0_17block_load_methodE3ELS4_3ELS4_3ELNS0_20block_scan_algorithmE0ELj4294967295EEENS1_25partition_config_selectorILNS1_17partition_subalgoE3EjNS0_10empty_typeEbEEZZNS1_14partition_implILS8_3ELb0ES6_jNS0_17counting_iteratorIjlEEPS9_SE_NS0_5tupleIJPjSE_EEENSF_IJSE_SE_EEES9_SG_JZNS1_25segmented_radix_sort_implINS0_14default_configELb1EPKdPdPKlPlN2at6native12_GLOBAL__N_18offset_tEEE10hipError_tPvRmT1_PNSt15iterator_traitsISY_E10value_typeET2_T3_PNSZ_IS14_E10value_typeET4_jRbjT5_S1A_jjP12ihipStream_tbEUljE_EEESV_SW_SX_S14_S18_S1A_T6_T7_T9_mT8_S1C_bDpT10_ENKUlT_T0_E_clISt17integral_constantIbLb1EES1O_IbLb0EEEEDaS1K_S1L_EUlS1K_E_NS1_11comp_targetILNS1_3genE9ELNS1_11target_archE1100ELNS1_3gpuE3ELNS1_3repE0EEENS1_30default_config_static_selectorELNS0_4arch9wavefront6targetE0EEEvSY_
	.p2align	8
	.type	_ZN7rocprim17ROCPRIM_400000_NS6detail17trampoline_kernelINS0_13select_configILj256ELj13ELNS0_17block_load_methodE3ELS4_3ELS4_3ELNS0_20block_scan_algorithmE0ELj4294967295EEENS1_25partition_config_selectorILNS1_17partition_subalgoE3EjNS0_10empty_typeEbEEZZNS1_14partition_implILS8_3ELb0ES6_jNS0_17counting_iteratorIjlEEPS9_SE_NS0_5tupleIJPjSE_EEENSF_IJSE_SE_EEES9_SG_JZNS1_25segmented_radix_sort_implINS0_14default_configELb1EPKdPdPKlPlN2at6native12_GLOBAL__N_18offset_tEEE10hipError_tPvRmT1_PNSt15iterator_traitsISY_E10value_typeET2_T3_PNSZ_IS14_E10value_typeET4_jRbjT5_S1A_jjP12ihipStream_tbEUljE_EEESV_SW_SX_S14_S18_S1A_T6_T7_T9_mT8_S1C_bDpT10_ENKUlT_T0_E_clISt17integral_constantIbLb1EES1O_IbLb0EEEEDaS1K_S1L_EUlS1K_E_NS1_11comp_targetILNS1_3genE9ELNS1_11target_archE1100ELNS1_3gpuE3ELNS1_3repE0EEENS1_30default_config_static_selectorELNS0_4arch9wavefront6targetE0EEEvSY_,@function
_ZN7rocprim17ROCPRIM_400000_NS6detail17trampoline_kernelINS0_13select_configILj256ELj13ELNS0_17block_load_methodE3ELS4_3ELS4_3ELNS0_20block_scan_algorithmE0ELj4294967295EEENS1_25partition_config_selectorILNS1_17partition_subalgoE3EjNS0_10empty_typeEbEEZZNS1_14partition_implILS8_3ELb0ES6_jNS0_17counting_iteratorIjlEEPS9_SE_NS0_5tupleIJPjSE_EEENSF_IJSE_SE_EEES9_SG_JZNS1_25segmented_radix_sort_implINS0_14default_configELb1EPKdPdPKlPlN2at6native12_GLOBAL__N_18offset_tEEE10hipError_tPvRmT1_PNSt15iterator_traitsISY_E10value_typeET2_T3_PNSZ_IS14_E10value_typeET4_jRbjT5_S1A_jjP12ihipStream_tbEUljE_EEESV_SW_SX_S14_S18_S1A_T6_T7_T9_mT8_S1C_bDpT10_ENKUlT_T0_E_clISt17integral_constantIbLb1EES1O_IbLb0EEEEDaS1K_S1L_EUlS1K_E_NS1_11comp_targetILNS1_3genE9ELNS1_11target_archE1100ELNS1_3gpuE3ELNS1_3repE0EEENS1_30default_config_static_selectorELNS0_4arch9wavefront6targetE0EEEvSY_: ; @_ZN7rocprim17ROCPRIM_400000_NS6detail17trampoline_kernelINS0_13select_configILj256ELj13ELNS0_17block_load_methodE3ELS4_3ELS4_3ELNS0_20block_scan_algorithmE0ELj4294967295EEENS1_25partition_config_selectorILNS1_17partition_subalgoE3EjNS0_10empty_typeEbEEZZNS1_14partition_implILS8_3ELb0ES6_jNS0_17counting_iteratorIjlEEPS9_SE_NS0_5tupleIJPjSE_EEENSF_IJSE_SE_EEES9_SG_JZNS1_25segmented_radix_sort_implINS0_14default_configELb1EPKdPdPKlPlN2at6native12_GLOBAL__N_18offset_tEEE10hipError_tPvRmT1_PNSt15iterator_traitsISY_E10value_typeET2_T3_PNSZ_IS14_E10value_typeET4_jRbjT5_S1A_jjP12ihipStream_tbEUljE_EEESV_SW_SX_S14_S18_S1A_T6_T7_T9_mT8_S1C_bDpT10_ENKUlT_T0_E_clISt17integral_constantIbLb1EES1O_IbLb0EEEEDaS1K_S1L_EUlS1K_E_NS1_11comp_targetILNS1_3genE9ELNS1_11target_archE1100ELNS1_3gpuE3ELNS1_3repE0EEENS1_30default_config_static_selectorELNS0_4arch9wavefront6targetE0EEEvSY_
; %bb.0:
	.section	.rodata,"a",@progbits
	.p2align	6, 0x0
	.amdhsa_kernel _ZN7rocprim17ROCPRIM_400000_NS6detail17trampoline_kernelINS0_13select_configILj256ELj13ELNS0_17block_load_methodE3ELS4_3ELS4_3ELNS0_20block_scan_algorithmE0ELj4294967295EEENS1_25partition_config_selectorILNS1_17partition_subalgoE3EjNS0_10empty_typeEbEEZZNS1_14partition_implILS8_3ELb0ES6_jNS0_17counting_iteratorIjlEEPS9_SE_NS0_5tupleIJPjSE_EEENSF_IJSE_SE_EEES9_SG_JZNS1_25segmented_radix_sort_implINS0_14default_configELb1EPKdPdPKlPlN2at6native12_GLOBAL__N_18offset_tEEE10hipError_tPvRmT1_PNSt15iterator_traitsISY_E10value_typeET2_T3_PNSZ_IS14_E10value_typeET4_jRbjT5_S1A_jjP12ihipStream_tbEUljE_EEESV_SW_SX_S14_S18_S1A_T6_T7_T9_mT8_S1C_bDpT10_ENKUlT_T0_E_clISt17integral_constantIbLb1EES1O_IbLb0EEEEDaS1K_S1L_EUlS1K_E_NS1_11comp_targetILNS1_3genE9ELNS1_11target_archE1100ELNS1_3gpuE3ELNS1_3repE0EEENS1_30default_config_static_selectorELNS0_4arch9wavefront6targetE0EEEvSY_
		.amdhsa_group_segment_fixed_size 0
		.amdhsa_private_segment_fixed_size 0
		.amdhsa_kernarg_size 144
		.amdhsa_user_sgpr_count 2
		.amdhsa_user_sgpr_dispatch_ptr 0
		.amdhsa_user_sgpr_queue_ptr 0
		.amdhsa_user_sgpr_kernarg_segment_ptr 1
		.amdhsa_user_sgpr_dispatch_id 0
		.amdhsa_user_sgpr_private_segment_size 0
		.amdhsa_wavefront_size32 1
		.amdhsa_uses_dynamic_stack 0
		.amdhsa_enable_private_segment 0
		.amdhsa_system_sgpr_workgroup_id_x 1
		.amdhsa_system_sgpr_workgroup_id_y 0
		.amdhsa_system_sgpr_workgroup_id_z 0
		.amdhsa_system_sgpr_workgroup_info 0
		.amdhsa_system_vgpr_workitem_id 0
		.amdhsa_next_free_vgpr 1
		.amdhsa_next_free_sgpr 1
		.amdhsa_reserve_vcc 0
		.amdhsa_float_round_mode_32 0
		.amdhsa_float_round_mode_16_64 0
		.amdhsa_float_denorm_mode_32 3
		.amdhsa_float_denorm_mode_16_64 3
		.amdhsa_fp16_overflow 0
		.amdhsa_workgroup_processor_mode 1
		.amdhsa_memory_ordered 1
		.amdhsa_forward_progress 1
		.amdhsa_inst_pref_size 0
		.amdhsa_round_robin_scheduling 0
		.amdhsa_exception_fp_ieee_invalid_op 0
		.amdhsa_exception_fp_denorm_src 0
		.amdhsa_exception_fp_ieee_div_zero 0
		.amdhsa_exception_fp_ieee_overflow 0
		.amdhsa_exception_fp_ieee_underflow 0
		.amdhsa_exception_fp_ieee_inexact 0
		.amdhsa_exception_int_div_zero 0
	.end_amdhsa_kernel
	.section	.text._ZN7rocprim17ROCPRIM_400000_NS6detail17trampoline_kernelINS0_13select_configILj256ELj13ELNS0_17block_load_methodE3ELS4_3ELS4_3ELNS0_20block_scan_algorithmE0ELj4294967295EEENS1_25partition_config_selectorILNS1_17partition_subalgoE3EjNS0_10empty_typeEbEEZZNS1_14partition_implILS8_3ELb0ES6_jNS0_17counting_iteratorIjlEEPS9_SE_NS0_5tupleIJPjSE_EEENSF_IJSE_SE_EEES9_SG_JZNS1_25segmented_radix_sort_implINS0_14default_configELb1EPKdPdPKlPlN2at6native12_GLOBAL__N_18offset_tEEE10hipError_tPvRmT1_PNSt15iterator_traitsISY_E10value_typeET2_T3_PNSZ_IS14_E10value_typeET4_jRbjT5_S1A_jjP12ihipStream_tbEUljE_EEESV_SW_SX_S14_S18_S1A_T6_T7_T9_mT8_S1C_bDpT10_ENKUlT_T0_E_clISt17integral_constantIbLb1EES1O_IbLb0EEEEDaS1K_S1L_EUlS1K_E_NS1_11comp_targetILNS1_3genE9ELNS1_11target_archE1100ELNS1_3gpuE3ELNS1_3repE0EEENS1_30default_config_static_selectorELNS0_4arch9wavefront6targetE0EEEvSY_,"axG",@progbits,_ZN7rocprim17ROCPRIM_400000_NS6detail17trampoline_kernelINS0_13select_configILj256ELj13ELNS0_17block_load_methodE3ELS4_3ELS4_3ELNS0_20block_scan_algorithmE0ELj4294967295EEENS1_25partition_config_selectorILNS1_17partition_subalgoE3EjNS0_10empty_typeEbEEZZNS1_14partition_implILS8_3ELb0ES6_jNS0_17counting_iteratorIjlEEPS9_SE_NS0_5tupleIJPjSE_EEENSF_IJSE_SE_EEES9_SG_JZNS1_25segmented_radix_sort_implINS0_14default_configELb1EPKdPdPKlPlN2at6native12_GLOBAL__N_18offset_tEEE10hipError_tPvRmT1_PNSt15iterator_traitsISY_E10value_typeET2_T3_PNSZ_IS14_E10value_typeET4_jRbjT5_S1A_jjP12ihipStream_tbEUljE_EEESV_SW_SX_S14_S18_S1A_T6_T7_T9_mT8_S1C_bDpT10_ENKUlT_T0_E_clISt17integral_constantIbLb1EES1O_IbLb0EEEEDaS1K_S1L_EUlS1K_E_NS1_11comp_targetILNS1_3genE9ELNS1_11target_archE1100ELNS1_3gpuE3ELNS1_3repE0EEENS1_30default_config_static_selectorELNS0_4arch9wavefront6targetE0EEEvSY_,comdat
.Lfunc_end1108:
	.size	_ZN7rocprim17ROCPRIM_400000_NS6detail17trampoline_kernelINS0_13select_configILj256ELj13ELNS0_17block_load_methodE3ELS4_3ELS4_3ELNS0_20block_scan_algorithmE0ELj4294967295EEENS1_25partition_config_selectorILNS1_17partition_subalgoE3EjNS0_10empty_typeEbEEZZNS1_14partition_implILS8_3ELb0ES6_jNS0_17counting_iteratorIjlEEPS9_SE_NS0_5tupleIJPjSE_EEENSF_IJSE_SE_EEES9_SG_JZNS1_25segmented_radix_sort_implINS0_14default_configELb1EPKdPdPKlPlN2at6native12_GLOBAL__N_18offset_tEEE10hipError_tPvRmT1_PNSt15iterator_traitsISY_E10value_typeET2_T3_PNSZ_IS14_E10value_typeET4_jRbjT5_S1A_jjP12ihipStream_tbEUljE_EEESV_SW_SX_S14_S18_S1A_T6_T7_T9_mT8_S1C_bDpT10_ENKUlT_T0_E_clISt17integral_constantIbLb1EES1O_IbLb0EEEEDaS1K_S1L_EUlS1K_E_NS1_11comp_targetILNS1_3genE9ELNS1_11target_archE1100ELNS1_3gpuE3ELNS1_3repE0EEENS1_30default_config_static_selectorELNS0_4arch9wavefront6targetE0EEEvSY_, .Lfunc_end1108-_ZN7rocprim17ROCPRIM_400000_NS6detail17trampoline_kernelINS0_13select_configILj256ELj13ELNS0_17block_load_methodE3ELS4_3ELS4_3ELNS0_20block_scan_algorithmE0ELj4294967295EEENS1_25partition_config_selectorILNS1_17partition_subalgoE3EjNS0_10empty_typeEbEEZZNS1_14partition_implILS8_3ELb0ES6_jNS0_17counting_iteratorIjlEEPS9_SE_NS0_5tupleIJPjSE_EEENSF_IJSE_SE_EEES9_SG_JZNS1_25segmented_radix_sort_implINS0_14default_configELb1EPKdPdPKlPlN2at6native12_GLOBAL__N_18offset_tEEE10hipError_tPvRmT1_PNSt15iterator_traitsISY_E10value_typeET2_T3_PNSZ_IS14_E10value_typeET4_jRbjT5_S1A_jjP12ihipStream_tbEUljE_EEESV_SW_SX_S14_S18_S1A_T6_T7_T9_mT8_S1C_bDpT10_ENKUlT_T0_E_clISt17integral_constantIbLb1EES1O_IbLb0EEEEDaS1K_S1L_EUlS1K_E_NS1_11comp_targetILNS1_3genE9ELNS1_11target_archE1100ELNS1_3gpuE3ELNS1_3repE0EEENS1_30default_config_static_selectorELNS0_4arch9wavefront6targetE0EEEvSY_
                                        ; -- End function
	.set _ZN7rocprim17ROCPRIM_400000_NS6detail17trampoline_kernelINS0_13select_configILj256ELj13ELNS0_17block_load_methodE3ELS4_3ELS4_3ELNS0_20block_scan_algorithmE0ELj4294967295EEENS1_25partition_config_selectorILNS1_17partition_subalgoE3EjNS0_10empty_typeEbEEZZNS1_14partition_implILS8_3ELb0ES6_jNS0_17counting_iteratorIjlEEPS9_SE_NS0_5tupleIJPjSE_EEENSF_IJSE_SE_EEES9_SG_JZNS1_25segmented_radix_sort_implINS0_14default_configELb1EPKdPdPKlPlN2at6native12_GLOBAL__N_18offset_tEEE10hipError_tPvRmT1_PNSt15iterator_traitsISY_E10value_typeET2_T3_PNSZ_IS14_E10value_typeET4_jRbjT5_S1A_jjP12ihipStream_tbEUljE_EEESV_SW_SX_S14_S18_S1A_T6_T7_T9_mT8_S1C_bDpT10_ENKUlT_T0_E_clISt17integral_constantIbLb1EES1O_IbLb0EEEEDaS1K_S1L_EUlS1K_E_NS1_11comp_targetILNS1_3genE9ELNS1_11target_archE1100ELNS1_3gpuE3ELNS1_3repE0EEENS1_30default_config_static_selectorELNS0_4arch9wavefront6targetE0EEEvSY_.num_vgpr, 0
	.set _ZN7rocprim17ROCPRIM_400000_NS6detail17trampoline_kernelINS0_13select_configILj256ELj13ELNS0_17block_load_methodE3ELS4_3ELS4_3ELNS0_20block_scan_algorithmE0ELj4294967295EEENS1_25partition_config_selectorILNS1_17partition_subalgoE3EjNS0_10empty_typeEbEEZZNS1_14partition_implILS8_3ELb0ES6_jNS0_17counting_iteratorIjlEEPS9_SE_NS0_5tupleIJPjSE_EEENSF_IJSE_SE_EEES9_SG_JZNS1_25segmented_radix_sort_implINS0_14default_configELb1EPKdPdPKlPlN2at6native12_GLOBAL__N_18offset_tEEE10hipError_tPvRmT1_PNSt15iterator_traitsISY_E10value_typeET2_T3_PNSZ_IS14_E10value_typeET4_jRbjT5_S1A_jjP12ihipStream_tbEUljE_EEESV_SW_SX_S14_S18_S1A_T6_T7_T9_mT8_S1C_bDpT10_ENKUlT_T0_E_clISt17integral_constantIbLb1EES1O_IbLb0EEEEDaS1K_S1L_EUlS1K_E_NS1_11comp_targetILNS1_3genE9ELNS1_11target_archE1100ELNS1_3gpuE3ELNS1_3repE0EEENS1_30default_config_static_selectorELNS0_4arch9wavefront6targetE0EEEvSY_.num_agpr, 0
	.set _ZN7rocprim17ROCPRIM_400000_NS6detail17trampoline_kernelINS0_13select_configILj256ELj13ELNS0_17block_load_methodE3ELS4_3ELS4_3ELNS0_20block_scan_algorithmE0ELj4294967295EEENS1_25partition_config_selectorILNS1_17partition_subalgoE3EjNS0_10empty_typeEbEEZZNS1_14partition_implILS8_3ELb0ES6_jNS0_17counting_iteratorIjlEEPS9_SE_NS0_5tupleIJPjSE_EEENSF_IJSE_SE_EEES9_SG_JZNS1_25segmented_radix_sort_implINS0_14default_configELb1EPKdPdPKlPlN2at6native12_GLOBAL__N_18offset_tEEE10hipError_tPvRmT1_PNSt15iterator_traitsISY_E10value_typeET2_T3_PNSZ_IS14_E10value_typeET4_jRbjT5_S1A_jjP12ihipStream_tbEUljE_EEESV_SW_SX_S14_S18_S1A_T6_T7_T9_mT8_S1C_bDpT10_ENKUlT_T0_E_clISt17integral_constantIbLb1EES1O_IbLb0EEEEDaS1K_S1L_EUlS1K_E_NS1_11comp_targetILNS1_3genE9ELNS1_11target_archE1100ELNS1_3gpuE3ELNS1_3repE0EEENS1_30default_config_static_selectorELNS0_4arch9wavefront6targetE0EEEvSY_.numbered_sgpr, 0
	.set _ZN7rocprim17ROCPRIM_400000_NS6detail17trampoline_kernelINS0_13select_configILj256ELj13ELNS0_17block_load_methodE3ELS4_3ELS4_3ELNS0_20block_scan_algorithmE0ELj4294967295EEENS1_25partition_config_selectorILNS1_17partition_subalgoE3EjNS0_10empty_typeEbEEZZNS1_14partition_implILS8_3ELb0ES6_jNS0_17counting_iteratorIjlEEPS9_SE_NS0_5tupleIJPjSE_EEENSF_IJSE_SE_EEES9_SG_JZNS1_25segmented_radix_sort_implINS0_14default_configELb1EPKdPdPKlPlN2at6native12_GLOBAL__N_18offset_tEEE10hipError_tPvRmT1_PNSt15iterator_traitsISY_E10value_typeET2_T3_PNSZ_IS14_E10value_typeET4_jRbjT5_S1A_jjP12ihipStream_tbEUljE_EEESV_SW_SX_S14_S18_S1A_T6_T7_T9_mT8_S1C_bDpT10_ENKUlT_T0_E_clISt17integral_constantIbLb1EES1O_IbLb0EEEEDaS1K_S1L_EUlS1K_E_NS1_11comp_targetILNS1_3genE9ELNS1_11target_archE1100ELNS1_3gpuE3ELNS1_3repE0EEENS1_30default_config_static_selectorELNS0_4arch9wavefront6targetE0EEEvSY_.num_named_barrier, 0
	.set _ZN7rocprim17ROCPRIM_400000_NS6detail17trampoline_kernelINS0_13select_configILj256ELj13ELNS0_17block_load_methodE3ELS4_3ELS4_3ELNS0_20block_scan_algorithmE0ELj4294967295EEENS1_25partition_config_selectorILNS1_17partition_subalgoE3EjNS0_10empty_typeEbEEZZNS1_14partition_implILS8_3ELb0ES6_jNS0_17counting_iteratorIjlEEPS9_SE_NS0_5tupleIJPjSE_EEENSF_IJSE_SE_EEES9_SG_JZNS1_25segmented_radix_sort_implINS0_14default_configELb1EPKdPdPKlPlN2at6native12_GLOBAL__N_18offset_tEEE10hipError_tPvRmT1_PNSt15iterator_traitsISY_E10value_typeET2_T3_PNSZ_IS14_E10value_typeET4_jRbjT5_S1A_jjP12ihipStream_tbEUljE_EEESV_SW_SX_S14_S18_S1A_T6_T7_T9_mT8_S1C_bDpT10_ENKUlT_T0_E_clISt17integral_constantIbLb1EES1O_IbLb0EEEEDaS1K_S1L_EUlS1K_E_NS1_11comp_targetILNS1_3genE9ELNS1_11target_archE1100ELNS1_3gpuE3ELNS1_3repE0EEENS1_30default_config_static_selectorELNS0_4arch9wavefront6targetE0EEEvSY_.private_seg_size, 0
	.set _ZN7rocprim17ROCPRIM_400000_NS6detail17trampoline_kernelINS0_13select_configILj256ELj13ELNS0_17block_load_methodE3ELS4_3ELS4_3ELNS0_20block_scan_algorithmE0ELj4294967295EEENS1_25partition_config_selectorILNS1_17partition_subalgoE3EjNS0_10empty_typeEbEEZZNS1_14partition_implILS8_3ELb0ES6_jNS0_17counting_iteratorIjlEEPS9_SE_NS0_5tupleIJPjSE_EEENSF_IJSE_SE_EEES9_SG_JZNS1_25segmented_radix_sort_implINS0_14default_configELb1EPKdPdPKlPlN2at6native12_GLOBAL__N_18offset_tEEE10hipError_tPvRmT1_PNSt15iterator_traitsISY_E10value_typeET2_T3_PNSZ_IS14_E10value_typeET4_jRbjT5_S1A_jjP12ihipStream_tbEUljE_EEESV_SW_SX_S14_S18_S1A_T6_T7_T9_mT8_S1C_bDpT10_ENKUlT_T0_E_clISt17integral_constantIbLb1EES1O_IbLb0EEEEDaS1K_S1L_EUlS1K_E_NS1_11comp_targetILNS1_3genE9ELNS1_11target_archE1100ELNS1_3gpuE3ELNS1_3repE0EEENS1_30default_config_static_selectorELNS0_4arch9wavefront6targetE0EEEvSY_.uses_vcc, 0
	.set _ZN7rocprim17ROCPRIM_400000_NS6detail17trampoline_kernelINS0_13select_configILj256ELj13ELNS0_17block_load_methodE3ELS4_3ELS4_3ELNS0_20block_scan_algorithmE0ELj4294967295EEENS1_25partition_config_selectorILNS1_17partition_subalgoE3EjNS0_10empty_typeEbEEZZNS1_14partition_implILS8_3ELb0ES6_jNS0_17counting_iteratorIjlEEPS9_SE_NS0_5tupleIJPjSE_EEENSF_IJSE_SE_EEES9_SG_JZNS1_25segmented_radix_sort_implINS0_14default_configELb1EPKdPdPKlPlN2at6native12_GLOBAL__N_18offset_tEEE10hipError_tPvRmT1_PNSt15iterator_traitsISY_E10value_typeET2_T3_PNSZ_IS14_E10value_typeET4_jRbjT5_S1A_jjP12ihipStream_tbEUljE_EEESV_SW_SX_S14_S18_S1A_T6_T7_T9_mT8_S1C_bDpT10_ENKUlT_T0_E_clISt17integral_constantIbLb1EES1O_IbLb0EEEEDaS1K_S1L_EUlS1K_E_NS1_11comp_targetILNS1_3genE9ELNS1_11target_archE1100ELNS1_3gpuE3ELNS1_3repE0EEENS1_30default_config_static_selectorELNS0_4arch9wavefront6targetE0EEEvSY_.uses_flat_scratch, 0
	.set _ZN7rocprim17ROCPRIM_400000_NS6detail17trampoline_kernelINS0_13select_configILj256ELj13ELNS0_17block_load_methodE3ELS4_3ELS4_3ELNS0_20block_scan_algorithmE0ELj4294967295EEENS1_25partition_config_selectorILNS1_17partition_subalgoE3EjNS0_10empty_typeEbEEZZNS1_14partition_implILS8_3ELb0ES6_jNS0_17counting_iteratorIjlEEPS9_SE_NS0_5tupleIJPjSE_EEENSF_IJSE_SE_EEES9_SG_JZNS1_25segmented_radix_sort_implINS0_14default_configELb1EPKdPdPKlPlN2at6native12_GLOBAL__N_18offset_tEEE10hipError_tPvRmT1_PNSt15iterator_traitsISY_E10value_typeET2_T3_PNSZ_IS14_E10value_typeET4_jRbjT5_S1A_jjP12ihipStream_tbEUljE_EEESV_SW_SX_S14_S18_S1A_T6_T7_T9_mT8_S1C_bDpT10_ENKUlT_T0_E_clISt17integral_constantIbLb1EES1O_IbLb0EEEEDaS1K_S1L_EUlS1K_E_NS1_11comp_targetILNS1_3genE9ELNS1_11target_archE1100ELNS1_3gpuE3ELNS1_3repE0EEENS1_30default_config_static_selectorELNS0_4arch9wavefront6targetE0EEEvSY_.has_dyn_sized_stack, 0
	.set _ZN7rocprim17ROCPRIM_400000_NS6detail17trampoline_kernelINS0_13select_configILj256ELj13ELNS0_17block_load_methodE3ELS4_3ELS4_3ELNS0_20block_scan_algorithmE0ELj4294967295EEENS1_25partition_config_selectorILNS1_17partition_subalgoE3EjNS0_10empty_typeEbEEZZNS1_14partition_implILS8_3ELb0ES6_jNS0_17counting_iteratorIjlEEPS9_SE_NS0_5tupleIJPjSE_EEENSF_IJSE_SE_EEES9_SG_JZNS1_25segmented_radix_sort_implINS0_14default_configELb1EPKdPdPKlPlN2at6native12_GLOBAL__N_18offset_tEEE10hipError_tPvRmT1_PNSt15iterator_traitsISY_E10value_typeET2_T3_PNSZ_IS14_E10value_typeET4_jRbjT5_S1A_jjP12ihipStream_tbEUljE_EEESV_SW_SX_S14_S18_S1A_T6_T7_T9_mT8_S1C_bDpT10_ENKUlT_T0_E_clISt17integral_constantIbLb1EES1O_IbLb0EEEEDaS1K_S1L_EUlS1K_E_NS1_11comp_targetILNS1_3genE9ELNS1_11target_archE1100ELNS1_3gpuE3ELNS1_3repE0EEENS1_30default_config_static_selectorELNS0_4arch9wavefront6targetE0EEEvSY_.has_recursion, 0
	.set _ZN7rocprim17ROCPRIM_400000_NS6detail17trampoline_kernelINS0_13select_configILj256ELj13ELNS0_17block_load_methodE3ELS4_3ELS4_3ELNS0_20block_scan_algorithmE0ELj4294967295EEENS1_25partition_config_selectorILNS1_17partition_subalgoE3EjNS0_10empty_typeEbEEZZNS1_14partition_implILS8_3ELb0ES6_jNS0_17counting_iteratorIjlEEPS9_SE_NS0_5tupleIJPjSE_EEENSF_IJSE_SE_EEES9_SG_JZNS1_25segmented_radix_sort_implINS0_14default_configELb1EPKdPdPKlPlN2at6native12_GLOBAL__N_18offset_tEEE10hipError_tPvRmT1_PNSt15iterator_traitsISY_E10value_typeET2_T3_PNSZ_IS14_E10value_typeET4_jRbjT5_S1A_jjP12ihipStream_tbEUljE_EEESV_SW_SX_S14_S18_S1A_T6_T7_T9_mT8_S1C_bDpT10_ENKUlT_T0_E_clISt17integral_constantIbLb1EES1O_IbLb0EEEEDaS1K_S1L_EUlS1K_E_NS1_11comp_targetILNS1_3genE9ELNS1_11target_archE1100ELNS1_3gpuE3ELNS1_3repE0EEENS1_30default_config_static_selectorELNS0_4arch9wavefront6targetE0EEEvSY_.has_indirect_call, 0
	.section	.AMDGPU.csdata,"",@progbits
; Kernel info:
; codeLenInByte = 0
; TotalNumSgprs: 0
; NumVgprs: 0
; ScratchSize: 0
; MemoryBound: 0
; FloatMode: 240
; IeeeMode: 1
; LDSByteSize: 0 bytes/workgroup (compile time only)
; SGPRBlocks: 0
; VGPRBlocks: 0
; NumSGPRsForWavesPerEU: 1
; NumVGPRsForWavesPerEU: 1
; Occupancy: 16
; WaveLimiterHint : 0
; COMPUTE_PGM_RSRC2:SCRATCH_EN: 0
; COMPUTE_PGM_RSRC2:USER_SGPR: 2
; COMPUTE_PGM_RSRC2:TRAP_HANDLER: 0
; COMPUTE_PGM_RSRC2:TGID_X_EN: 1
; COMPUTE_PGM_RSRC2:TGID_Y_EN: 0
; COMPUTE_PGM_RSRC2:TGID_Z_EN: 0
; COMPUTE_PGM_RSRC2:TIDIG_COMP_CNT: 0
	.section	.text._ZN7rocprim17ROCPRIM_400000_NS6detail17trampoline_kernelINS0_13select_configILj256ELj13ELNS0_17block_load_methodE3ELS4_3ELS4_3ELNS0_20block_scan_algorithmE0ELj4294967295EEENS1_25partition_config_selectorILNS1_17partition_subalgoE3EjNS0_10empty_typeEbEEZZNS1_14partition_implILS8_3ELb0ES6_jNS0_17counting_iteratorIjlEEPS9_SE_NS0_5tupleIJPjSE_EEENSF_IJSE_SE_EEES9_SG_JZNS1_25segmented_radix_sort_implINS0_14default_configELb1EPKdPdPKlPlN2at6native12_GLOBAL__N_18offset_tEEE10hipError_tPvRmT1_PNSt15iterator_traitsISY_E10value_typeET2_T3_PNSZ_IS14_E10value_typeET4_jRbjT5_S1A_jjP12ihipStream_tbEUljE_EEESV_SW_SX_S14_S18_S1A_T6_T7_T9_mT8_S1C_bDpT10_ENKUlT_T0_E_clISt17integral_constantIbLb1EES1O_IbLb0EEEEDaS1K_S1L_EUlS1K_E_NS1_11comp_targetILNS1_3genE8ELNS1_11target_archE1030ELNS1_3gpuE2ELNS1_3repE0EEENS1_30default_config_static_selectorELNS0_4arch9wavefront6targetE0EEEvSY_,"axG",@progbits,_ZN7rocprim17ROCPRIM_400000_NS6detail17trampoline_kernelINS0_13select_configILj256ELj13ELNS0_17block_load_methodE3ELS4_3ELS4_3ELNS0_20block_scan_algorithmE0ELj4294967295EEENS1_25partition_config_selectorILNS1_17partition_subalgoE3EjNS0_10empty_typeEbEEZZNS1_14partition_implILS8_3ELb0ES6_jNS0_17counting_iteratorIjlEEPS9_SE_NS0_5tupleIJPjSE_EEENSF_IJSE_SE_EEES9_SG_JZNS1_25segmented_radix_sort_implINS0_14default_configELb1EPKdPdPKlPlN2at6native12_GLOBAL__N_18offset_tEEE10hipError_tPvRmT1_PNSt15iterator_traitsISY_E10value_typeET2_T3_PNSZ_IS14_E10value_typeET4_jRbjT5_S1A_jjP12ihipStream_tbEUljE_EEESV_SW_SX_S14_S18_S1A_T6_T7_T9_mT8_S1C_bDpT10_ENKUlT_T0_E_clISt17integral_constantIbLb1EES1O_IbLb0EEEEDaS1K_S1L_EUlS1K_E_NS1_11comp_targetILNS1_3genE8ELNS1_11target_archE1030ELNS1_3gpuE2ELNS1_3repE0EEENS1_30default_config_static_selectorELNS0_4arch9wavefront6targetE0EEEvSY_,comdat
	.globl	_ZN7rocprim17ROCPRIM_400000_NS6detail17trampoline_kernelINS0_13select_configILj256ELj13ELNS0_17block_load_methodE3ELS4_3ELS4_3ELNS0_20block_scan_algorithmE0ELj4294967295EEENS1_25partition_config_selectorILNS1_17partition_subalgoE3EjNS0_10empty_typeEbEEZZNS1_14partition_implILS8_3ELb0ES6_jNS0_17counting_iteratorIjlEEPS9_SE_NS0_5tupleIJPjSE_EEENSF_IJSE_SE_EEES9_SG_JZNS1_25segmented_radix_sort_implINS0_14default_configELb1EPKdPdPKlPlN2at6native12_GLOBAL__N_18offset_tEEE10hipError_tPvRmT1_PNSt15iterator_traitsISY_E10value_typeET2_T3_PNSZ_IS14_E10value_typeET4_jRbjT5_S1A_jjP12ihipStream_tbEUljE_EEESV_SW_SX_S14_S18_S1A_T6_T7_T9_mT8_S1C_bDpT10_ENKUlT_T0_E_clISt17integral_constantIbLb1EES1O_IbLb0EEEEDaS1K_S1L_EUlS1K_E_NS1_11comp_targetILNS1_3genE8ELNS1_11target_archE1030ELNS1_3gpuE2ELNS1_3repE0EEENS1_30default_config_static_selectorELNS0_4arch9wavefront6targetE0EEEvSY_ ; -- Begin function _ZN7rocprim17ROCPRIM_400000_NS6detail17trampoline_kernelINS0_13select_configILj256ELj13ELNS0_17block_load_methodE3ELS4_3ELS4_3ELNS0_20block_scan_algorithmE0ELj4294967295EEENS1_25partition_config_selectorILNS1_17partition_subalgoE3EjNS0_10empty_typeEbEEZZNS1_14partition_implILS8_3ELb0ES6_jNS0_17counting_iteratorIjlEEPS9_SE_NS0_5tupleIJPjSE_EEENSF_IJSE_SE_EEES9_SG_JZNS1_25segmented_radix_sort_implINS0_14default_configELb1EPKdPdPKlPlN2at6native12_GLOBAL__N_18offset_tEEE10hipError_tPvRmT1_PNSt15iterator_traitsISY_E10value_typeET2_T3_PNSZ_IS14_E10value_typeET4_jRbjT5_S1A_jjP12ihipStream_tbEUljE_EEESV_SW_SX_S14_S18_S1A_T6_T7_T9_mT8_S1C_bDpT10_ENKUlT_T0_E_clISt17integral_constantIbLb1EES1O_IbLb0EEEEDaS1K_S1L_EUlS1K_E_NS1_11comp_targetILNS1_3genE8ELNS1_11target_archE1030ELNS1_3gpuE2ELNS1_3repE0EEENS1_30default_config_static_selectorELNS0_4arch9wavefront6targetE0EEEvSY_
	.p2align	8
	.type	_ZN7rocprim17ROCPRIM_400000_NS6detail17trampoline_kernelINS0_13select_configILj256ELj13ELNS0_17block_load_methodE3ELS4_3ELS4_3ELNS0_20block_scan_algorithmE0ELj4294967295EEENS1_25partition_config_selectorILNS1_17partition_subalgoE3EjNS0_10empty_typeEbEEZZNS1_14partition_implILS8_3ELb0ES6_jNS0_17counting_iteratorIjlEEPS9_SE_NS0_5tupleIJPjSE_EEENSF_IJSE_SE_EEES9_SG_JZNS1_25segmented_radix_sort_implINS0_14default_configELb1EPKdPdPKlPlN2at6native12_GLOBAL__N_18offset_tEEE10hipError_tPvRmT1_PNSt15iterator_traitsISY_E10value_typeET2_T3_PNSZ_IS14_E10value_typeET4_jRbjT5_S1A_jjP12ihipStream_tbEUljE_EEESV_SW_SX_S14_S18_S1A_T6_T7_T9_mT8_S1C_bDpT10_ENKUlT_T0_E_clISt17integral_constantIbLb1EES1O_IbLb0EEEEDaS1K_S1L_EUlS1K_E_NS1_11comp_targetILNS1_3genE8ELNS1_11target_archE1030ELNS1_3gpuE2ELNS1_3repE0EEENS1_30default_config_static_selectorELNS0_4arch9wavefront6targetE0EEEvSY_,@function
_ZN7rocprim17ROCPRIM_400000_NS6detail17trampoline_kernelINS0_13select_configILj256ELj13ELNS0_17block_load_methodE3ELS4_3ELS4_3ELNS0_20block_scan_algorithmE0ELj4294967295EEENS1_25partition_config_selectorILNS1_17partition_subalgoE3EjNS0_10empty_typeEbEEZZNS1_14partition_implILS8_3ELb0ES6_jNS0_17counting_iteratorIjlEEPS9_SE_NS0_5tupleIJPjSE_EEENSF_IJSE_SE_EEES9_SG_JZNS1_25segmented_radix_sort_implINS0_14default_configELb1EPKdPdPKlPlN2at6native12_GLOBAL__N_18offset_tEEE10hipError_tPvRmT1_PNSt15iterator_traitsISY_E10value_typeET2_T3_PNSZ_IS14_E10value_typeET4_jRbjT5_S1A_jjP12ihipStream_tbEUljE_EEESV_SW_SX_S14_S18_S1A_T6_T7_T9_mT8_S1C_bDpT10_ENKUlT_T0_E_clISt17integral_constantIbLb1EES1O_IbLb0EEEEDaS1K_S1L_EUlS1K_E_NS1_11comp_targetILNS1_3genE8ELNS1_11target_archE1030ELNS1_3gpuE2ELNS1_3repE0EEENS1_30default_config_static_selectorELNS0_4arch9wavefront6targetE0EEEvSY_: ; @_ZN7rocprim17ROCPRIM_400000_NS6detail17trampoline_kernelINS0_13select_configILj256ELj13ELNS0_17block_load_methodE3ELS4_3ELS4_3ELNS0_20block_scan_algorithmE0ELj4294967295EEENS1_25partition_config_selectorILNS1_17partition_subalgoE3EjNS0_10empty_typeEbEEZZNS1_14partition_implILS8_3ELb0ES6_jNS0_17counting_iteratorIjlEEPS9_SE_NS0_5tupleIJPjSE_EEENSF_IJSE_SE_EEES9_SG_JZNS1_25segmented_radix_sort_implINS0_14default_configELb1EPKdPdPKlPlN2at6native12_GLOBAL__N_18offset_tEEE10hipError_tPvRmT1_PNSt15iterator_traitsISY_E10value_typeET2_T3_PNSZ_IS14_E10value_typeET4_jRbjT5_S1A_jjP12ihipStream_tbEUljE_EEESV_SW_SX_S14_S18_S1A_T6_T7_T9_mT8_S1C_bDpT10_ENKUlT_T0_E_clISt17integral_constantIbLb1EES1O_IbLb0EEEEDaS1K_S1L_EUlS1K_E_NS1_11comp_targetILNS1_3genE8ELNS1_11target_archE1030ELNS1_3gpuE2ELNS1_3repE0EEENS1_30default_config_static_selectorELNS0_4arch9wavefront6targetE0EEEvSY_
; %bb.0:
	.section	.rodata,"a",@progbits
	.p2align	6, 0x0
	.amdhsa_kernel _ZN7rocprim17ROCPRIM_400000_NS6detail17trampoline_kernelINS0_13select_configILj256ELj13ELNS0_17block_load_methodE3ELS4_3ELS4_3ELNS0_20block_scan_algorithmE0ELj4294967295EEENS1_25partition_config_selectorILNS1_17partition_subalgoE3EjNS0_10empty_typeEbEEZZNS1_14partition_implILS8_3ELb0ES6_jNS0_17counting_iteratorIjlEEPS9_SE_NS0_5tupleIJPjSE_EEENSF_IJSE_SE_EEES9_SG_JZNS1_25segmented_radix_sort_implINS0_14default_configELb1EPKdPdPKlPlN2at6native12_GLOBAL__N_18offset_tEEE10hipError_tPvRmT1_PNSt15iterator_traitsISY_E10value_typeET2_T3_PNSZ_IS14_E10value_typeET4_jRbjT5_S1A_jjP12ihipStream_tbEUljE_EEESV_SW_SX_S14_S18_S1A_T6_T7_T9_mT8_S1C_bDpT10_ENKUlT_T0_E_clISt17integral_constantIbLb1EES1O_IbLb0EEEEDaS1K_S1L_EUlS1K_E_NS1_11comp_targetILNS1_3genE8ELNS1_11target_archE1030ELNS1_3gpuE2ELNS1_3repE0EEENS1_30default_config_static_selectorELNS0_4arch9wavefront6targetE0EEEvSY_
		.amdhsa_group_segment_fixed_size 0
		.amdhsa_private_segment_fixed_size 0
		.amdhsa_kernarg_size 144
		.amdhsa_user_sgpr_count 2
		.amdhsa_user_sgpr_dispatch_ptr 0
		.amdhsa_user_sgpr_queue_ptr 0
		.amdhsa_user_sgpr_kernarg_segment_ptr 1
		.amdhsa_user_sgpr_dispatch_id 0
		.amdhsa_user_sgpr_private_segment_size 0
		.amdhsa_wavefront_size32 1
		.amdhsa_uses_dynamic_stack 0
		.amdhsa_enable_private_segment 0
		.amdhsa_system_sgpr_workgroup_id_x 1
		.amdhsa_system_sgpr_workgroup_id_y 0
		.amdhsa_system_sgpr_workgroup_id_z 0
		.amdhsa_system_sgpr_workgroup_info 0
		.amdhsa_system_vgpr_workitem_id 0
		.amdhsa_next_free_vgpr 1
		.amdhsa_next_free_sgpr 1
		.amdhsa_reserve_vcc 0
		.amdhsa_float_round_mode_32 0
		.amdhsa_float_round_mode_16_64 0
		.amdhsa_float_denorm_mode_32 3
		.amdhsa_float_denorm_mode_16_64 3
		.amdhsa_fp16_overflow 0
		.amdhsa_workgroup_processor_mode 1
		.amdhsa_memory_ordered 1
		.amdhsa_forward_progress 1
		.amdhsa_inst_pref_size 0
		.amdhsa_round_robin_scheduling 0
		.amdhsa_exception_fp_ieee_invalid_op 0
		.amdhsa_exception_fp_denorm_src 0
		.amdhsa_exception_fp_ieee_div_zero 0
		.amdhsa_exception_fp_ieee_overflow 0
		.amdhsa_exception_fp_ieee_underflow 0
		.amdhsa_exception_fp_ieee_inexact 0
		.amdhsa_exception_int_div_zero 0
	.end_amdhsa_kernel
	.section	.text._ZN7rocprim17ROCPRIM_400000_NS6detail17trampoline_kernelINS0_13select_configILj256ELj13ELNS0_17block_load_methodE3ELS4_3ELS4_3ELNS0_20block_scan_algorithmE0ELj4294967295EEENS1_25partition_config_selectorILNS1_17partition_subalgoE3EjNS0_10empty_typeEbEEZZNS1_14partition_implILS8_3ELb0ES6_jNS0_17counting_iteratorIjlEEPS9_SE_NS0_5tupleIJPjSE_EEENSF_IJSE_SE_EEES9_SG_JZNS1_25segmented_radix_sort_implINS0_14default_configELb1EPKdPdPKlPlN2at6native12_GLOBAL__N_18offset_tEEE10hipError_tPvRmT1_PNSt15iterator_traitsISY_E10value_typeET2_T3_PNSZ_IS14_E10value_typeET4_jRbjT5_S1A_jjP12ihipStream_tbEUljE_EEESV_SW_SX_S14_S18_S1A_T6_T7_T9_mT8_S1C_bDpT10_ENKUlT_T0_E_clISt17integral_constantIbLb1EES1O_IbLb0EEEEDaS1K_S1L_EUlS1K_E_NS1_11comp_targetILNS1_3genE8ELNS1_11target_archE1030ELNS1_3gpuE2ELNS1_3repE0EEENS1_30default_config_static_selectorELNS0_4arch9wavefront6targetE0EEEvSY_,"axG",@progbits,_ZN7rocprim17ROCPRIM_400000_NS6detail17trampoline_kernelINS0_13select_configILj256ELj13ELNS0_17block_load_methodE3ELS4_3ELS4_3ELNS0_20block_scan_algorithmE0ELj4294967295EEENS1_25partition_config_selectorILNS1_17partition_subalgoE3EjNS0_10empty_typeEbEEZZNS1_14partition_implILS8_3ELb0ES6_jNS0_17counting_iteratorIjlEEPS9_SE_NS0_5tupleIJPjSE_EEENSF_IJSE_SE_EEES9_SG_JZNS1_25segmented_radix_sort_implINS0_14default_configELb1EPKdPdPKlPlN2at6native12_GLOBAL__N_18offset_tEEE10hipError_tPvRmT1_PNSt15iterator_traitsISY_E10value_typeET2_T3_PNSZ_IS14_E10value_typeET4_jRbjT5_S1A_jjP12ihipStream_tbEUljE_EEESV_SW_SX_S14_S18_S1A_T6_T7_T9_mT8_S1C_bDpT10_ENKUlT_T0_E_clISt17integral_constantIbLb1EES1O_IbLb0EEEEDaS1K_S1L_EUlS1K_E_NS1_11comp_targetILNS1_3genE8ELNS1_11target_archE1030ELNS1_3gpuE2ELNS1_3repE0EEENS1_30default_config_static_selectorELNS0_4arch9wavefront6targetE0EEEvSY_,comdat
.Lfunc_end1109:
	.size	_ZN7rocprim17ROCPRIM_400000_NS6detail17trampoline_kernelINS0_13select_configILj256ELj13ELNS0_17block_load_methodE3ELS4_3ELS4_3ELNS0_20block_scan_algorithmE0ELj4294967295EEENS1_25partition_config_selectorILNS1_17partition_subalgoE3EjNS0_10empty_typeEbEEZZNS1_14partition_implILS8_3ELb0ES6_jNS0_17counting_iteratorIjlEEPS9_SE_NS0_5tupleIJPjSE_EEENSF_IJSE_SE_EEES9_SG_JZNS1_25segmented_radix_sort_implINS0_14default_configELb1EPKdPdPKlPlN2at6native12_GLOBAL__N_18offset_tEEE10hipError_tPvRmT1_PNSt15iterator_traitsISY_E10value_typeET2_T3_PNSZ_IS14_E10value_typeET4_jRbjT5_S1A_jjP12ihipStream_tbEUljE_EEESV_SW_SX_S14_S18_S1A_T6_T7_T9_mT8_S1C_bDpT10_ENKUlT_T0_E_clISt17integral_constantIbLb1EES1O_IbLb0EEEEDaS1K_S1L_EUlS1K_E_NS1_11comp_targetILNS1_3genE8ELNS1_11target_archE1030ELNS1_3gpuE2ELNS1_3repE0EEENS1_30default_config_static_selectorELNS0_4arch9wavefront6targetE0EEEvSY_, .Lfunc_end1109-_ZN7rocprim17ROCPRIM_400000_NS6detail17trampoline_kernelINS0_13select_configILj256ELj13ELNS0_17block_load_methodE3ELS4_3ELS4_3ELNS0_20block_scan_algorithmE0ELj4294967295EEENS1_25partition_config_selectorILNS1_17partition_subalgoE3EjNS0_10empty_typeEbEEZZNS1_14partition_implILS8_3ELb0ES6_jNS0_17counting_iteratorIjlEEPS9_SE_NS0_5tupleIJPjSE_EEENSF_IJSE_SE_EEES9_SG_JZNS1_25segmented_radix_sort_implINS0_14default_configELb1EPKdPdPKlPlN2at6native12_GLOBAL__N_18offset_tEEE10hipError_tPvRmT1_PNSt15iterator_traitsISY_E10value_typeET2_T3_PNSZ_IS14_E10value_typeET4_jRbjT5_S1A_jjP12ihipStream_tbEUljE_EEESV_SW_SX_S14_S18_S1A_T6_T7_T9_mT8_S1C_bDpT10_ENKUlT_T0_E_clISt17integral_constantIbLb1EES1O_IbLb0EEEEDaS1K_S1L_EUlS1K_E_NS1_11comp_targetILNS1_3genE8ELNS1_11target_archE1030ELNS1_3gpuE2ELNS1_3repE0EEENS1_30default_config_static_selectorELNS0_4arch9wavefront6targetE0EEEvSY_
                                        ; -- End function
	.set _ZN7rocprim17ROCPRIM_400000_NS6detail17trampoline_kernelINS0_13select_configILj256ELj13ELNS0_17block_load_methodE3ELS4_3ELS4_3ELNS0_20block_scan_algorithmE0ELj4294967295EEENS1_25partition_config_selectorILNS1_17partition_subalgoE3EjNS0_10empty_typeEbEEZZNS1_14partition_implILS8_3ELb0ES6_jNS0_17counting_iteratorIjlEEPS9_SE_NS0_5tupleIJPjSE_EEENSF_IJSE_SE_EEES9_SG_JZNS1_25segmented_radix_sort_implINS0_14default_configELb1EPKdPdPKlPlN2at6native12_GLOBAL__N_18offset_tEEE10hipError_tPvRmT1_PNSt15iterator_traitsISY_E10value_typeET2_T3_PNSZ_IS14_E10value_typeET4_jRbjT5_S1A_jjP12ihipStream_tbEUljE_EEESV_SW_SX_S14_S18_S1A_T6_T7_T9_mT8_S1C_bDpT10_ENKUlT_T0_E_clISt17integral_constantIbLb1EES1O_IbLb0EEEEDaS1K_S1L_EUlS1K_E_NS1_11comp_targetILNS1_3genE8ELNS1_11target_archE1030ELNS1_3gpuE2ELNS1_3repE0EEENS1_30default_config_static_selectorELNS0_4arch9wavefront6targetE0EEEvSY_.num_vgpr, 0
	.set _ZN7rocprim17ROCPRIM_400000_NS6detail17trampoline_kernelINS0_13select_configILj256ELj13ELNS0_17block_load_methodE3ELS4_3ELS4_3ELNS0_20block_scan_algorithmE0ELj4294967295EEENS1_25partition_config_selectorILNS1_17partition_subalgoE3EjNS0_10empty_typeEbEEZZNS1_14partition_implILS8_3ELb0ES6_jNS0_17counting_iteratorIjlEEPS9_SE_NS0_5tupleIJPjSE_EEENSF_IJSE_SE_EEES9_SG_JZNS1_25segmented_radix_sort_implINS0_14default_configELb1EPKdPdPKlPlN2at6native12_GLOBAL__N_18offset_tEEE10hipError_tPvRmT1_PNSt15iterator_traitsISY_E10value_typeET2_T3_PNSZ_IS14_E10value_typeET4_jRbjT5_S1A_jjP12ihipStream_tbEUljE_EEESV_SW_SX_S14_S18_S1A_T6_T7_T9_mT8_S1C_bDpT10_ENKUlT_T0_E_clISt17integral_constantIbLb1EES1O_IbLb0EEEEDaS1K_S1L_EUlS1K_E_NS1_11comp_targetILNS1_3genE8ELNS1_11target_archE1030ELNS1_3gpuE2ELNS1_3repE0EEENS1_30default_config_static_selectorELNS0_4arch9wavefront6targetE0EEEvSY_.num_agpr, 0
	.set _ZN7rocprim17ROCPRIM_400000_NS6detail17trampoline_kernelINS0_13select_configILj256ELj13ELNS0_17block_load_methodE3ELS4_3ELS4_3ELNS0_20block_scan_algorithmE0ELj4294967295EEENS1_25partition_config_selectorILNS1_17partition_subalgoE3EjNS0_10empty_typeEbEEZZNS1_14partition_implILS8_3ELb0ES6_jNS0_17counting_iteratorIjlEEPS9_SE_NS0_5tupleIJPjSE_EEENSF_IJSE_SE_EEES9_SG_JZNS1_25segmented_radix_sort_implINS0_14default_configELb1EPKdPdPKlPlN2at6native12_GLOBAL__N_18offset_tEEE10hipError_tPvRmT1_PNSt15iterator_traitsISY_E10value_typeET2_T3_PNSZ_IS14_E10value_typeET4_jRbjT5_S1A_jjP12ihipStream_tbEUljE_EEESV_SW_SX_S14_S18_S1A_T6_T7_T9_mT8_S1C_bDpT10_ENKUlT_T0_E_clISt17integral_constantIbLb1EES1O_IbLb0EEEEDaS1K_S1L_EUlS1K_E_NS1_11comp_targetILNS1_3genE8ELNS1_11target_archE1030ELNS1_3gpuE2ELNS1_3repE0EEENS1_30default_config_static_selectorELNS0_4arch9wavefront6targetE0EEEvSY_.numbered_sgpr, 0
	.set _ZN7rocprim17ROCPRIM_400000_NS6detail17trampoline_kernelINS0_13select_configILj256ELj13ELNS0_17block_load_methodE3ELS4_3ELS4_3ELNS0_20block_scan_algorithmE0ELj4294967295EEENS1_25partition_config_selectorILNS1_17partition_subalgoE3EjNS0_10empty_typeEbEEZZNS1_14partition_implILS8_3ELb0ES6_jNS0_17counting_iteratorIjlEEPS9_SE_NS0_5tupleIJPjSE_EEENSF_IJSE_SE_EEES9_SG_JZNS1_25segmented_radix_sort_implINS0_14default_configELb1EPKdPdPKlPlN2at6native12_GLOBAL__N_18offset_tEEE10hipError_tPvRmT1_PNSt15iterator_traitsISY_E10value_typeET2_T3_PNSZ_IS14_E10value_typeET4_jRbjT5_S1A_jjP12ihipStream_tbEUljE_EEESV_SW_SX_S14_S18_S1A_T6_T7_T9_mT8_S1C_bDpT10_ENKUlT_T0_E_clISt17integral_constantIbLb1EES1O_IbLb0EEEEDaS1K_S1L_EUlS1K_E_NS1_11comp_targetILNS1_3genE8ELNS1_11target_archE1030ELNS1_3gpuE2ELNS1_3repE0EEENS1_30default_config_static_selectorELNS0_4arch9wavefront6targetE0EEEvSY_.num_named_barrier, 0
	.set _ZN7rocprim17ROCPRIM_400000_NS6detail17trampoline_kernelINS0_13select_configILj256ELj13ELNS0_17block_load_methodE3ELS4_3ELS4_3ELNS0_20block_scan_algorithmE0ELj4294967295EEENS1_25partition_config_selectorILNS1_17partition_subalgoE3EjNS0_10empty_typeEbEEZZNS1_14partition_implILS8_3ELb0ES6_jNS0_17counting_iteratorIjlEEPS9_SE_NS0_5tupleIJPjSE_EEENSF_IJSE_SE_EEES9_SG_JZNS1_25segmented_radix_sort_implINS0_14default_configELb1EPKdPdPKlPlN2at6native12_GLOBAL__N_18offset_tEEE10hipError_tPvRmT1_PNSt15iterator_traitsISY_E10value_typeET2_T3_PNSZ_IS14_E10value_typeET4_jRbjT5_S1A_jjP12ihipStream_tbEUljE_EEESV_SW_SX_S14_S18_S1A_T6_T7_T9_mT8_S1C_bDpT10_ENKUlT_T0_E_clISt17integral_constantIbLb1EES1O_IbLb0EEEEDaS1K_S1L_EUlS1K_E_NS1_11comp_targetILNS1_3genE8ELNS1_11target_archE1030ELNS1_3gpuE2ELNS1_3repE0EEENS1_30default_config_static_selectorELNS0_4arch9wavefront6targetE0EEEvSY_.private_seg_size, 0
	.set _ZN7rocprim17ROCPRIM_400000_NS6detail17trampoline_kernelINS0_13select_configILj256ELj13ELNS0_17block_load_methodE3ELS4_3ELS4_3ELNS0_20block_scan_algorithmE0ELj4294967295EEENS1_25partition_config_selectorILNS1_17partition_subalgoE3EjNS0_10empty_typeEbEEZZNS1_14partition_implILS8_3ELb0ES6_jNS0_17counting_iteratorIjlEEPS9_SE_NS0_5tupleIJPjSE_EEENSF_IJSE_SE_EEES9_SG_JZNS1_25segmented_radix_sort_implINS0_14default_configELb1EPKdPdPKlPlN2at6native12_GLOBAL__N_18offset_tEEE10hipError_tPvRmT1_PNSt15iterator_traitsISY_E10value_typeET2_T3_PNSZ_IS14_E10value_typeET4_jRbjT5_S1A_jjP12ihipStream_tbEUljE_EEESV_SW_SX_S14_S18_S1A_T6_T7_T9_mT8_S1C_bDpT10_ENKUlT_T0_E_clISt17integral_constantIbLb1EES1O_IbLb0EEEEDaS1K_S1L_EUlS1K_E_NS1_11comp_targetILNS1_3genE8ELNS1_11target_archE1030ELNS1_3gpuE2ELNS1_3repE0EEENS1_30default_config_static_selectorELNS0_4arch9wavefront6targetE0EEEvSY_.uses_vcc, 0
	.set _ZN7rocprim17ROCPRIM_400000_NS6detail17trampoline_kernelINS0_13select_configILj256ELj13ELNS0_17block_load_methodE3ELS4_3ELS4_3ELNS0_20block_scan_algorithmE0ELj4294967295EEENS1_25partition_config_selectorILNS1_17partition_subalgoE3EjNS0_10empty_typeEbEEZZNS1_14partition_implILS8_3ELb0ES6_jNS0_17counting_iteratorIjlEEPS9_SE_NS0_5tupleIJPjSE_EEENSF_IJSE_SE_EEES9_SG_JZNS1_25segmented_radix_sort_implINS0_14default_configELb1EPKdPdPKlPlN2at6native12_GLOBAL__N_18offset_tEEE10hipError_tPvRmT1_PNSt15iterator_traitsISY_E10value_typeET2_T3_PNSZ_IS14_E10value_typeET4_jRbjT5_S1A_jjP12ihipStream_tbEUljE_EEESV_SW_SX_S14_S18_S1A_T6_T7_T9_mT8_S1C_bDpT10_ENKUlT_T0_E_clISt17integral_constantIbLb1EES1O_IbLb0EEEEDaS1K_S1L_EUlS1K_E_NS1_11comp_targetILNS1_3genE8ELNS1_11target_archE1030ELNS1_3gpuE2ELNS1_3repE0EEENS1_30default_config_static_selectorELNS0_4arch9wavefront6targetE0EEEvSY_.uses_flat_scratch, 0
	.set _ZN7rocprim17ROCPRIM_400000_NS6detail17trampoline_kernelINS0_13select_configILj256ELj13ELNS0_17block_load_methodE3ELS4_3ELS4_3ELNS0_20block_scan_algorithmE0ELj4294967295EEENS1_25partition_config_selectorILNS1_17partition_subalgoE3EjNS0_10empty_typeEbEEZZNS1_14partition_implILS8_3ELb0ES6_jNS0_17counting_iteratorIjlEEPS9_SE_NS0_5tupleIJPjSE_EEENSF_IJSE_SE_EEES9_SG_JZNS1_25segmented_radix_sort_implINS0_14default_configELb1EPKdPdPKlPlN2at6native12_GLOBAL__N_18offset_tEEE10hipError_tPvRmT1_PNSt15iterator_traitsISY_E10value_typeET2_T3_PNSZ_IS14_E10value_typeET4_jRbjT5_S1A_jjP12ihipStream_tbEUljE_EEESV_SW_SX_S14_S18_S1A_T6_T7_T9_mT8_S1C_bDpT10_ENKUlT_T0_E_clISt17integral_constantIbLb1EES1O_IbLb0EEEEDaS1K_S1L_EUlS1K_E_NS1_11comp_targetILNS1_3genE8ELNS1_11target_archE1030ELNS1_3gpuE2ELNS1_3repE0EEENS1_30default_config_static_selectorELNS0_4arch9wavefront6targetE0EEEvSY_.has_dyn_sized_stack, 0
	.set _ZN7rocprim17ROCPRIM_400000_NS6detail17trampoline_kernelINS0_13select_configILj256ELj13ELNS0_17block_load_methodE3ELS4_3ELS4_3ELNS0_20block_scan_algorithmE0ELj4294967295EEENS1_25partition_config_selectorILNS1_17partition_subalgoE3EjNS0_10empty_typeEbEEZZNS1_14partition_implILS8_3ELb0ES6_jNS0_17counting_iteratorIjlEEPS9_SE_NS0_5tupleIJPjSE_EEENSF_IJSE_SE_EEES9_SG_JZNS1_25segmented_radix_sort_implINS0_14default_configELb1EPKdPdPKlPlN2at6native12_GLOBAL__N_18offset_tEEE10hipError_tPvRmT1_PNSt15iterator_traitsISY_E10value_typeET2_T3_PNSZ_IS14_E10value_typeET4_jRbjT5_S1A_jjP12ihipStream_tbEUljE_EEESV_SW_SX_S14_S18_S1A_T6_T7_T9_mT8_S1C_bDpT10_ENKUlT_T0_E_clISt17integral_constantIbLb1EES1O_IbLb0EEEEDaS1K_S1L_EUlS1K_E_NS1_11comp_targetILNS1_3genE8ELNS1_11target_archE1030ELNS1_3gpuE2ELNS1_3repE0EEENS1_30default_config_static_selectorELNS0_4arch9wavefront6targetE0EEEvSY_.has_recursion, 0
	.set _ZN7rocprim17ROCPRIM_400000_NS6detail17trampoline_kernelINS0_13select_configILj256ELj13ELNS0_17block_load_methodE3ELS4_3ELS4_3ELNS0_20block_scan_algorithmE0ELj4294967295EEENS1_25partition_config_selectorILNS1_17partition_subalgoE3EjNS0_10empty_typeEbEEZZNS1_14partition_implILS8_3ELb0ES6_jNS0_17counting_iteratorIjlEEPS9_SE_NS0_5tupleIJPjSE_EEENSF_IJSE_SE_EEES9_SG_JZNS1_25segmented_radix_sort_implINS0_14default_configELb1EPKdPdPKlPlN2at6native12_GLOBAL__N_18offset_tEEE10hipError_tPvRmT1_PNSt15iterator_traitsISY_E10value_typeET2_T3_PNSZ_IS14_E10value_typeET4_jRbjT5_S1A_jjP12ihipStream_tbEUljE_EEESV_SW_SX_S14_S18_S1A_T6_T7_T9_mT8_S1C_bDpT10_ENKUlT_T0_E_clISt17integral_constantIbLb1EES1O_IbLb0EEEEDaS1K_S1L_EUlS1K_E_NS1_11comp_targetILNS1_3genE8ELNS1_11target_archE1030ELNS1_3gpuE2ELNS1_3repE0EEENS1_30default_config_static_selectorELNS0_4arch9wavefront6targetE0EEEvSY_.has_indirect_call, 0
	.section	.AMDGPU.csdata,"",@progbits
; Kernel info:
; codeLenInByte = 0
; TotalNumSgprs: 0
; NumVgprs: 0
; ScratchSize: 0
; MemoryBound: 0
; FloatMode: 240
; IeeeMode: 1
; LDSByteSize: 0 bytes/workgroup (compile time only)
; SGPRBlocks: 0
; VGPRBlocks: 0
; NumSGPRsForWavesPerEU: 1
; NumVGPRsForWavesPerEU: 1
; Occupancy: 16
; WaveLimiterHint : 0
; COMPUTE_PGM_RSRC2:SCRATCH_EN: 0
; COMPUTE_PGM_RSRC2:USER_SGPR: 2
; COMPUTE_PGM_RSRC2:TRAP_HANDLER: 0
; COMPUTE_PGM_RSRC2:TGID_X_EN: 1
; COMPUTE_PGM_RSRC2:TGID_Y_EN: 0
; COMPUTE_PGM_RSRC2:TGID_Z_EN: 0
; COMPUTE_PGM_RSRC2:TIDIG_COMP_CNT: 0
	.section	.text._ZN7rocprim17ROCPRIM_400000_NS6detail17trampoline_kernelINS0_13select_configILj256ELj13ELNS0_17block_load_methodE3ELS4_3ELS4_3ELNS0_20block_scan_algorithmE0ELj4294967295EEENS1_25partition_config_selectorILNS1_17partition_subalgoE3EjNS0_10empty_typeEbEEZZNS1_14partition_implILS8_3ELb0ES6_jNS0_17counting_iteratorIjlEEPS9_SE_NS0_5tupleIJPjSE_EEENSF_IJSE_SE_EEES9_SG_JZNS1_25segmented_radix_sort_implINS0_14default_configELb1EPKdPdPKlPlN2at6native12_GLOBAL__N_18offset_tEEE10hipError_tPvRmT1_PNSt15iterator_traitsISY_E10value_typeET2_T3_PNSZ_IS14_E10value_typeET4_jRbjT5_S1A_jjP12ihipStream_tbEUljE_EEESV_SW_SX_S14_S18_S1A_T6_T7_T9_mT8_S1C_bDpT10_ENKUlT_T0_E_clISt17integral_constantIbLb0EES1O_IbLb1EEEEDaS1K_S1L_EUlS1K_E_NS1_11comp_targetILNS1_3genE0ELNS1_11target_archE4294967295ELNS1_3gpuE0ELNS1_3repE0EEENS1_30default_config_static_selectorELNS0_4arch9wavefront6targetE0EEEvSY_,"axG",@progbits,_ZN7rocprim17ROCPRIM_400000_NS6detail17trampoline_kernelINS0_13select_configILj256ELj13ELNS0_17block_load_methodE3ELS4_3ELS4_3ELNS0_20block_scan_algorithmE0ELj4294967295EEENS1_25partition_config_selectorILNS1_17partition_subalgoE3EjNS0_10empty_typeEbEEZZNS1_14partition_implILS8_3ELb0ES6_jNS0_17counting_iteratorIjlEEPS9_SE_NS0_5tupleIJPjSE_EEENSF_IJSE_SE_EEES9_SG_JZNS1_25segmented_radix_sort_implINS0_14default_configELb1EPKdPdPKlPlN2at6native12_GLOBAL__N_18offset_tEEE10hipError_tPvRmT1_PNSt15iterator_traitsISY_E10value_typeET2_T3_PNSZ_IS14_E10value_typeET4_jRbjT5_S1A_jjP12ihipStream_tbEUljE_EEESV_SW_SX_S14_S18_S1A_T6_T7_T9_mT8_S1C_bDpT10_ENKUlT_T0_E_clISt17integral_constantIbLb0EES1O_IbLb1EEEEDaS1K_S1L_EUlS1K_E_NS1_11comp_targetILNS1_3genE0ELNS1_11target_archE4294967295ELNS1_3gpuE0ELNS1_3repE0EEENS1_30default_config_static_selectorELNS0_4arch9wavefront6targetE0EEEvSY_,comdat
	.globl	_ZN7rocprim17ROCPRIM_400000_NS6detail17trampoline_kernelINS0_13select_configILj256ELj13ELNS0_17block_load_methodE3ELS4_3ELS4_3ELNS0_20block_scan_algorithmE0ELj4294967295EEENS1_25partition_config_selectorILNS1_17partition_subalgoE3EjNS0_10empty_typeEbEEZZNS1_14partition_implILS8_3ELb0ES6_jNS0_17counting_iteratorIjlEEPS9_SE_NS0_5tupleIJPjSE_EEENSF_IJSE_SE_EEES9_SG_JZNS1_25segmented_radix_sort_implINS0_14default_configELb1EPKdPdPKlPlN2at6native12_GLOBAL__N_18offset_tEEE10hipError_tPvRmT1_PNSt15iterator_traitsISY_E10value_typeET2_T3_PNSZ_IS14_E10value_typeET4_jRbjT5_S1A_jjP12ihipStream_tbEUljE_EEESV_SW_SX_S14_S18_S1A_T6_T7_T9_mT8_S1C_bDpT10_ENKUlT_T0_E_clISt17integral_constantIbLb0EES1O_IbLb1EEEEDaS1K_S1L_EUlS1K_E_NS1_11comp_targetILNS1_3genE0ELNS1_11target_archE4294967295ELNS1_3gpuE0ELNS1_3repE0EEENS1_30default_config_static_selectorELNS0_4arch9wavefront6targetE0EEEvSY_ ; -- Begin function _ZN7rocprim17ROCPRIM_400000_NS6detail17trampoline_kernelINS0_13select_configILj256ELj13ELNS0_17block_load_methodE3ELS4_3ELS4_3ELNS0_20block_scan_algorithmE0ELj4294967295EEENS1_25partition_config_selectorILNS1_17partition_subalgoE3EjNS0_10empty_typeEbEEZZNS1_14partition_implILS8_3ELb0ES6_jNS0_17counting_iteratorIjlEEPS9_SE_NS0_5tupleIJPjSE_EEENSF_IJSE_SE_EEES9_SG_JZNS1_25segmented_radix_sort_implINS0_14default_configELb1EPKdPdPKlPlN2at6native12_GLOBAL__N_18offset_tEEE10hipError_tPvRmT1_PNSt15iterator_traitsISY_E10value_typeET2_T3_PNSZ_IS14_E10value_typeET4_jRbjT5_S1A_jjP12ihipStream_tbEUljE_EEESV_SW_SX_S14_S18_S1A_T6_T7_T9_mT8_S1C_bDpT10_ENKUlT_T0_E_clISt17integral_constantIbLb0EES1O_IbLb1EEEEDaS1K_S1L_EUlS1K_E_NS1_11comp_targetILNS1_3genE0ELNS1_11target_archE4294967295ELNS1_3gpuE0ELNS1_3repE0EEENS1_30default_config_static_selectorELNS0_4arch9wavefront6targetE0EEEvSY_
	.p2align	8
	.type	_ZN7rocprim17ROCPRIM_400000_NS6detail17trampoline_kernelINS0_13select_configILj256ELj13ELNS0_17block_load_methodE3ELS4_3ELS4_3ELNS0_20block_scan_algorithmE0ELj4294967295EEENS1_25partition_config_selectorILNS1_17partition_subalgoE3EjNS0_10empty_typeEbEEZZNS1_14partition_implILS8_3ELb0ES6_jNS0_17counting_iteratorIjlEEPS9_SE_NS0_5tupleIJPjSE_EEENSF_IJSE_SE_EEES9_SG_JZNS1_25segmented_radix_sort_implINS0_14default_configELb1EPKdPdPKlPlN2at6native12_GLOBAL__N_18offset_tEEE10hipError_tPvRmT1_PNSt15iterator_traitsISY_E10value_typeET2_T3_PNSZ_IS14_E10value_typeET4_jRbjT5_S1A_jjP12ihipStream_tbEUljE_EEESV_SW_SX_S14_S18_S1A_T6_T7_T9_mT8_S1C_bDpT10_ENKUlT_T0_E_clISt17integral_constantIbLb0EES1O_IbLb1EEEEDaS1K_S1L_EUlS1K_E_NS1_11comp_targetILNS1_3genE0ELNS1_11target_archE4294967295ELNS1_3gpuE0ELNS1_3repE0EEENS1_30default_config_static_selectorELNS0_4arch9wavefront6targetE0EEEvSY_,@function
_ZN7rocprim17ROCPRIM_400000_NS6detail17trampoline_kernelINS0_13select_configILj256ELj13ELNS0_17block_load_methodE3ELS4_3ELS4_3ELNS0_20block_scan_algorithmE0ELj4294967295EEENS1_25partition_config_selectorILNS1_17partition_subalgoE3EjNS0_10empty_typeEbEEZZNS1_14partition_implILS8_3ELb0ES6_jNS0_17counting_iteratorIjlEEPS9_SE_NS0_5tupleIJPjSE_EEENSF_IJSE_SE_EEES9_SG_JZNS1_25segmented_radix_sort_implINS0_14default_configELb1EPKdPdPKlPlN2at6native12_GLOBAL__N_18offset_tEEE10hipError_tPvRmT1_PNSt15iterator_traitsISY_E10value_typeET2_T3_PNSZ_IS14_E10value_typeET4_jRbjT5_S1A_jjP12ihipStream_tbEUljE_EEESV_SW_SX_S14_S18_S1A_T6_T7_T9_mT8_S1C_bDpT10_ENKUlT_T0_E_clISt17integral_constantIbLb0EES1O_IbLb1EEEEDaS1K_S1L_EUlS1K_E_NS1_11comp_targetILNS1_3genE0ELNS1_11target_archE4294967295ELNS1_3gpuE0ELNS1_3repE0EEENS1_30default_config_static_selectorELNS0_4arch9wavefront6targetE0EEEvSY_: ; @_ZN7rocprim17ROCPRIM_400000_NS6detail17trampoline_kernelINS0_13select_configILj256ELj13ELNS0_17block_load_methodE3ELS4_3ELS4_3ELNS0_20block_scan_algorithmE0ELj4294967295EEENS1_25partition_config_selectorILNS1_17partition_subalgoE3EjNS0_10empty_typeEbEEZZNS1_14partition_implILS8_3ELb0ES6_jNS0_17counting_iteratorIjlEEPS9_SE_NS0_5tupleIJPjSE_EEENSF_IJSE_SE_EEES9_SG_JZNS1_25segmented_radix_sort_implINS0_14default_configELb1EPKdPdPKlPlN2at6native12_GLOBAL__N_18offset_tEEE10hipError_tPvRmT1_PNSt15iterator_traitsISY_E10value_typeET2_T3_PNSZ_IS14_E10value_typeET4_jRbjT5_S1A_jjP12ihipStream_tbEUljE_EEESV_SW_SX_S14_S18_S1A_T6_T7_T9_mT8_S1C_bDpT10_ENKUlT_T0_E_clISt17integral_constantIbLb0EES1O_IbLb1EEEEDaS1K_S1L_EUlS1K_E_NS1_11comp_targetILNS1_3genE0ELNS1_11target_archE4294967295ELNS1_3gpuE0ELNS1_3repE0EEENS1_30default_config_static_selectorELNS0_4arch9wavefront6targetE0EEEvSY_
; %bb.0:
	.section	.rodata,"a",@progbits
	.p2align	6, 0x0
	.amdhsa_kernel _ZN7rocprim17ROCPRIM_400000_NS6detail17trampoline_kernelINS0_13select_configILj256ELj13ELNS0_17block_load_methodE3ELS4_3ELS4_3ELNS0_20block_scan_algorithmE0ELj4294967295EEENS1_25partition_config_selectorILNS1_17partition_subalgoE3EjNS0_10empty_typeEbEEZZNS1_14partition_implILS8_3ELb0ES6_jNS0_17counting_iteratorIjlEEPS9_SE_NS0_5tupleIJPjSE_EEENSF_IJSE_SE_EEES9_SG_JZNS1_25segmented_radix_sort_implINS0_14default_configELb1EPKdPdPKlPlN2at6native12_GLOBAL__N_18offset_tEEE10hipError_tPvRmT1_PNSt15iterator_traitsISY_E10value_typeET2_T3_PNSZ_IS14_E10value_typeET4_jRbjT5_S1A_jjP12ihipStream_tbEUljE_EEESV_SW_SX_S14_S18_S1A_T6_T7_T9_mT8_S1C_bDpT10_ENKUlT_T0_E_clISt17integral_constantIbLb0EES1O_IbLb1EEEEDaS1K_S1L_EUlS1K_E_NS1_11comp_targetILNS1_3genE0ELNS1_11target_archE4294967295ELNS1_3gpuE0ELNS1_3repE0EEENS1_30default_config_static_selectorELNS0_4arch9wavefront6targetE0EEEvSY_
		.amdhsa_group_segment_fixed_size 0
		.amdhsa_private_segment_fixed_size 0
		.amdhsa_kernarg_size 152
		.amdhsa_user_sgpr_count 2
		.amdhsa_user_sgpr_dispatch_ptr 0
		.amdhsa_user_sgpr_queue_ptr 0
		.amdhsa_user_sgpr_kernarg_segment_ptr 1
		.amdhsa_user_sgpr_dispatch_id 0
		.amdhsa_user_sgpr_private_segment_size 0
		.amdhsa_wavefront_size32 1
		.amdhsa_uses_dynamic_stack 0
		.amdhsa_enable_private_segment 0
		.amdhsa_system_sgpr_workgroup_id_x 1
		.amdhsa_system_sgpr_workgroup_id_y 0
		.amdhsa_system_sgpr_workgroup_id_z 0
		.amdhsa_system_sgpr_workgroup_info 0
		.amdhsa_system_vgpr_workitem_id 0
		.amdhsa_next_free_vgpr 1
		.amdhsa_next_free_sgpr 1
		.amdhsa_reserve_vcc 0
		.amdhsa_float_round_mode_32 0
		.amdhsa_float_round_mode_16_64 0
		.amdhsa_float_denorm_mode_32 3
		.amdhsa_float_denorm_mode_16_64 3
		.amdhsa_fp16_overflow 0
		.amdhsa_workgroup_processor_mode 1
		.amdhsa_memory_ordered 1
		.amdhsa_forward_progress 1
		.amdhsa_inst_pref_size 0
		.amdhsa_round_robin_scheduling 0
		.amdhsa_exception_fp_ieee_invalid_op 0
		.amdhsa_exception_fp_denorm_src 0
		.amdhsa_exception_fp_ieee_div_zero 0
		.amdhsa_exception_fp_ieee_overflow 0
		.amdhsa_exception_fp_ieee_underflow 0
		.amdhsa_exception_fp_ieee_inexact 0
		.amdhsa_exception_int_div_zero 0
	.end_amdhsa_kernel
	.section	.text._ZN7rocprim17ROCPRIM_400000_NS6detail17trampoline_kernelINS0_13select_configILj256ELj13ELNS0_17block_load_methodE3ELS4_3ELS4_3ELNS0_20block_scan_algorithmE0ELj4294967295EEENS1_25partition_config_selectorILNS1_17partition_subalgoE3EjNS0_10empty_typeEbEEZZNS1_14partition_implILS8_3ELb0ES6_jNS0_17counting_iteratorIjlEEPS9_SE_NS0_5tupleIJPjSE_EEENSF_IJSE_SE_EEES9_SG_JZNS1_25segmented_radix_sort_implINS0_14default_configELb1EPKdPdPKlPlN2at6native12_GLOBAL__N_18offset_tEEE10hipError_tPvRmT1_PNSt15iterator_traitsISY_E10value_typeET2_T3_PNSZ_IS14_E10value_typeET4_jRbjT5_S1A_jjP12ihipStream_tbEUljE_EEESV_SW_SX_S14_S18_S1A_T6_T7_T9_mT8_S1C_bDpT10_ENKUlT_T0_E_clISt17integral_constantIbLb0EES1O_IbLb1EEEEDaS1K_S1L_EUlS1K_E_NS1_11comp_targetILNS1_3genE0ELNS1_11target_archE4294967295ELNS1_3gpuE0ELNS1_3repE0EEENS1_30default_config_static_selectorELNS0_4arch9wavefront6targetE0EEEvSY_,"axG",@progbits,_ZN7rocprim17ROCPRIM_400000_NS6detail17trampoline_kernelINS0_13select_configILj256ELj13ELNS0_17block_load_methodE3ELS4_3ELS4_3ELNS0_20block_scan_algorithmE0ELj4294967295EEENS1_25partition_config_selectorILNS1_17partition_subalgoE3EjNS0_10empty_typeEbEEZZNS1_14partition_implILS8_3ELb0ES6_jNS0_17counting_iteratorIjlEEPS9_SE_NS0_5tupleIJPjSE_EEENSF_IJSE_SE_EEES9_SG_JZNS1_25segmented_radix_sort_implINS0_14default_configELb1EPKdPdPKlPlN2at6native12_GLOBAL__N_18offset_tEEE10hipError_tPvRmT1_PNSt15iterator_traitsISY_E10value_typeET2_T3_PNSZ_IS14_E10value_typeET4_jRbjT5_S1A_jjP12ihipStream_tbEUljE_EEESV_SW_SX_S14_S18_S1A_T6_T7_T9_mT8_S1C_bDpT10_ENKUlT_T0_E_clISt17integral_constantIbLb0EES1O_IbLb1EEEEDaS1K_S1L_EUlS1K_E_NS1_11comp_targetILNS1_3genE0ELNS1_11target_archE4294967295ELNS1_3gpuE0ELNS1_3repE0EEENS1_30default_config_static_selectorELNS0_4arch9wavefront6targetE0EEEvSY_,comdat
.Lfunc_end1110:
	.size	_ZN7rocprim17ROCPRIM_400000_NS6detail17trampoline_kernelINS0_13select_configILj256ELj13ELNS0_17block_load_methodE3ELS4_3ELS4_3ELNS0_20block_scan_algorithmE0ELj4294967295EEENS1_25partition_config_selectorILNS1_17partition_subalgoE3EjNS0_10empty_typeEbEEZZNS1_14partition_implILS8_3ELb0ES6_jNS0_17counting_iteratorIjlEEPS9_SE_NS0_5tupleIJPjSE_EEENSF_IJSE_SE_EEES9_SG_JZNS1_25segmented_radix_sort_implINS0_14default_configELb1EPKdPdPKlPlN2at6native12_GLOBAL__N_18offset_tEEE10hipError_tPvRmT1_PNSt15iterator_traitsISY_E10value_typeET2_T3_PNSZ_IS14_E10value_typeET4_jRbjT5_S1A_jjP12ihipStream_tbEUljE_EEESV_SW_SX_S14_S18_S1A_T6_T7_T9_mT8_S1C_bDpT10_ENKUlT_T0_E_clISt17integral_constantIbLb0EES1O_IbLb1EEEEDaS1K_S1L_EUlS1K_E_NS1_11comp_targetILNS1_3genE0ELNS1_11target_archE4294967295ELNS1_3gpuE0ELNS1_3repE0EEENS1_30default_config_static_selectorELNS0_4arch9wavefront6targetE0EEEvSY_, .Lfunc_end1110-_ZN7rocprim17ROCPRIM_400000_NS6detail17trampoline_kernelINS0_13select_configILj256ELj13ELNS0_17block_load_methodE3ELS4_3ELS4_3ELNS0_20block_scan_algorithmE0ELj4294967295EEENS1_25partition_config_selectorILNS1_17partition_subalgoE3EjNS0_10empty_typeEbEEZZNS1_14partition_implILS8_3ELb0ES6_jNS0_17counting_iteratorIjlEEPS9_SE_NS0_5tupleIJPjSE_EEENSF_IJSE_SE_EEES9_SG_JZNS1_25segmented_radix_sort_implINS0_14default_configELb1EPKdPdPKlPlN2at6native12_GLOBAL__N_18offset_tEEE10hipError_tPvRmT1_PNSt15iterator_traitsISY_E10value_typeET2_T3_PNSZ_IS14_E10value_typeET4_jRbjT5_S1A_jjP12ihipStream_tbEUljE_EEESV_SW_SX_S14_S18_S1A_T6_T7_T9_mT8_S1C_bDpT10_ENKUlT_T0_E_clISt17integral_constantIbLb0EES1O_IbLb1EEEEDaS1K_S1L_EUlS1K_E_NS1_11comp_targetILNS1_3genE0ELNS1_11target_archE4294967295ELNS1_3gpuE0ELNS1_3repE0EEENS1_30default_config_static_selectorELNS0_4arch9wavefront6targetE0EEEvSY_
                                        ; -- End function
	.set _ZN7rocprim17ROCPRIM_400000_NS6detail17trampoline_kernelINS0_13select_configILj256ELj13ELNS0_17block_load_methodE3ELS4_3ELS4_3ELNS0_20block_scan_algorithmE0ELj4294967295EEENS1_25partition_config_selectorILNS1_17partition_subalgoE3EjNS0_10empty_typeEbEEZZNS1_14partition_implILS8_3ELb0ES6_jNS0_17counting_iteratorIjlEEPS9_SE_NS0_5tupleIJPjSE_EEENSF_IJSE_SE_EEES9_SG_JZNS1_25segmented_radix_sort_implINS0_14default_configELb1EPKdPdPKlPlN2at6native12_GLOBAL__N_18offset_tEEE10hipError_tPvRmT1_PNSt15iterator_traitsISY_E10value_typeET2_T3_PNSZ_IS14_E10value_typeET4_jRbjT5_S1A_jjP12ihipStream_tbEUljE_EEESV_SW_SX_S14_S18_S1A_T6_T7_T9_mT8_S1C_bDpT10_ENKUlT_T0_E_clISt17integral_constantIbLb0EES1O_IbLb1EEEEDaS1K_S1L_EUlS1K_E_NS1_11comp_targetILNS1_3genE0ELNS1_11target_archE4294967295ELNS1_3gpuE0ELNS1_3repE0EEENS1_30default_config_static_selectorELNS0_4arch9wavefront6targetE0EEEvSY_.num_vgpr, 0
	.set _ZN7rocprim17ROCPRIM_400000_NS6detail17trampoline_kernelINS0_13select_configILj256ELj13ELNS0_17block_load_methodE3ELS4_3ELS4_3ELNS0_20block_scan_algorithmE0ELj4294967295EEENS1_25partition_config_selectorILNS1_17partition_subalgoE3EjNS0_10empty_typeEbEEZZNS1_14partition_implILS8_3ELb0ES6_jNS0_17counting_iteratorIjlEEPS9_SE_NS0_5tupleIJPjSE_EEENSF_IJSE_SE_EEES9_SG_JZNS1_25segmented_radix_sort_implINS0_14default_configELb1EPKdPdPKlPlN2at6native12_GLOBAL__N_18offset_tEEE10hipError_tPvRmT1_PNSt15iterator_traitsISY_E10value_typeET2_T3_PNSZ_IS14_E10value_typeET4_jRbjT5_S1A_jjP12ihipStream_tbEUljE_EEESV_SW_SX_S14_S18_S1A_T6_T7_T9_mT8_S1C_bDpT10_ENKUlT_T0_E_clISt17integral_constantIbLb0EES1O_IbLb1EEEEDaS1K_S1L_EUlS1K_E_NS1_11comp_targetILNS1_3genE0ELNS1_11target_archE4294967295ELNS1_3gpuE0ELNS1_3repE0EEENS1_30default_config_static_selectorELNS0_4arch9wavefront6targetE0EEEvSY_.num_agpr, 0
	.set _ZN7rocprim17ROCPRIM_400000_NS6detail17trampoline_kernelINS0_13select_configILj256ELj13ELNS0_17block_load_methodE3ELS4_3ELS4_3ELNS0_20block_scan_algorithmE0ELj4294967295EEENS1_25partition_config_selectorILNS1_17partition_subalgoE3EjNS0_10empty_typeEbEEZZNS1_14partition_implILS8_3ELb0ES6_jNS0_17counting_iteratorIjlEEPS9_SE_NS0_5tupleIJPjSE_EEENSF_IJSE_SE_EEES9_SG_JZNS1_25segmented_radix_sort_implINS0_14default_configELb1EPKdPdPKlPlN2at6native12_GLOBAL__N_18offset_tEEE10hipError_tPvRmT1_PNSt15iterator_traitsISY_E10value_typeET2_T3_PNSZ_IS14_E10value_typeET4_jRbjT5_S1A_jjP12ihipStream_tbEUljE_EEESV_SW_SX_S14_S18_S1A_T6_T7_T9_mT8_S1C_bDpT10_ENKUlT_T0_E_clISt17integral_constantIbLb0EES1O_IbLb1EEEEDaS1K_S1L_EUlS1K_E_NS1_11comp_targetILNS1_3genE0ELNS1_11target_archE4294967295ELNS1_3gpuE0ELNS1_3repE0EEENS1_30default_config_static_selectorELNS0_4arch9wavefront6targetE0EEEvSY_.numbered_sgpr, 0
	.set _ZN7rocprim17ROCPRIM_400000_NS6detail17trampoline_kernelINS0_13select_configILj256ELj13ELNS0_17block_load_methodE3ELS4_3ELS4_3ELNS0_20block_scan_algorithmE0ELj4294967295EEENS1_25partition_config_selectorILNS1_17partition_subalgoE3EjNS0_10empty_typeEbEEZZNS1_14partition_implILS8_3ELb0ES6_jNS0_17counting_iteratorIjlEEPS9_SE_NS0_5tupleIJPjSE_EEENSF_IJSE_SE_EEES9_SG_JZNS1_25segmented_radix_sort_implINS0_14default_configELb1EPKdPdPKlPlN2at6native12_GLOBAL__N_18offset_tEEE10hipError_tPvRmT1_PNSt15iterator_traitsISY_E10value_typeET2_T3_PNSZ_IS14_E10value_typeET4_jRbjT5_S1A_jjP12ihipStream_tbEUljE_EEESV_SW_SX_S14_S18_S1A_T6_T7_T9_mT8_S1C_bDpT10_ENKUlT_T0_E_clISt17integral_constantIbLb0EES1O_IbLb1EEEEDaS1K_S1L_EUlS1K_E_NS1_11comp_targetILNS1_3genE0ELNS1_11target_archE4294967295ELNS1_3gpuE0ELNS1_3repE0EEENS1_30default_config_static_selectorELNS0_4arch9wavefront6targetE0EEEvSY_.num_named_barrier, 0
	.set _ZN7rocprim17ROCPRIM_400000_NS6detail17trampoline_kernelINS0_13select_configILj256ELj13ELNS0_17block_load_methodE3ELS4_3ELS4_3ELNS0_20block_scan_algorithmE0ELj4294967295EEENS1_25partition_config_selectorILNS1_17partition_subalgoE3EjNS0_10empty_typeEbEEZZNS1_14partition_implILS8_3ELb0ES6_jNS0_17counting_iteratorIjlEEPS9_SE_NS0_5tupleIJPjSE_EEENSF_IJSE_SE_EEES9_SG_JZNS1_25segmented_radix_sort_implINS0_14default_configELb1EPKdPdPKlPlN2at6native12_GLOBAL__N_18offset_tEEE10hipError_tPvRmT1_PNSt15iterator_traitsISY_E10value_typeET2_T3_PNSZ_IS14_E10value_typeET4_jRbjT5_S1A_jjP12ihipStream_tbEUljE_EEESV_SW_SX_S14_S18_S1A_T6_T7_T9_mT8_S1C_bDpT10_ENKUlT_T0_E_clISt17integral_constantIbLb0EES1O_IbLb1EEEEDaS1K_S1L_EUlS1K_E_NS1_11comp_targetILNS1_3genE0ELNS1_11target_archE4294967295ELNS1_3gpuE0ELNS1_3repE0EEENS1_30default_config_static_selectorELNS0_4arch9wavefront6targetE0EEEvSY_.private_seg_size, 0
	.set _ZN7rocprim17ROCPRIM_400000_NS6detail17trampoline_kernelINS0_13select_configILj256ELj13ELNS0_17block_load_methodE3ELS4_3ELS4_3ELNS0_20block_scan_algorithmE0ELj4294967295EEENS1_25partition_config_selectorILNS1_17partition_subalgoE3EjNS0_10empty_typeEbEEZZNS1_14partition_implILS8_3ELb0ES6_jNS0_17counting_iteratorIjlEEPS9_SE_NS0_5tupleIJPjSE_EEENSF_IJSE_SE_EEES9_SG_JZNS1_25segmented_radix_sort_implINS0_14default_configELb1EPKdPdPKlPlN2at6native12_GLOBAL__N_18offset_tEEE10hipError_tPvRmT1_PNSt15iterator_traitsISY_E10value_typeET2_T3_PNSZ_IS14_E10value_typeET4_jRbjT5_S1A_jjP12ihipStream_tbEUljE_EEESV_SW_SX_S14_S18_S1A_T6_T7_T9_mT8_S1C_bDpT10_ENKUlT_T0_E_clISt17integral_constantIbLb0EES1O_IbLb1EEEEDaS1K_S1L_EUlS1K_E_NS1_11comp_targetILNS1_3genE0ELNS1_11target_archE4294967295ELNS1_3gpuE0ELNS1_3repE0EEENS1_30default_config_static_selectorELNS0_4arch9wavefront6targetE0EEEvSY_.uses_vcc, 0
	.set _ZN7rocprim17ROCPRIM_400000_NS6detail17trampoline_kernelINS0_13select_configILj256ELj13ELNS0_17block_load_methodE3ELS4_3ELS4_3ELNS0_20block_scan_algorithmE0ELj4294967295EEENS1_25partition_config_selectorILNS1_17partition_subalgoE3EjNS0_10empty_typeEbEEZZNS1_14partition_implILS8_3ELb0ES6_jNS0_17counting_iteratorIjlEEPS9_SE_NS0_5tupleIJPjSE_EEENSF_IJSE_SE_EEES9_SG_JZNS1_25segmented_radix_sort_implINS0_14default_configELb1EPKdPdPKlPlN2at6native12_GLOBAL__N_18offset_tEEE10hipError_tPvRmT1_PNSt15iterator_traitsISY_E10value_typeET2_T3_PNSZ_IS14_E10value_typeET4_jRbjT5_S1A_jjP12ihipStream_tbEUljE_EEESV_SW_SX_S14_S18_S1A_T6_T7_T9_mT8_S1C_bDpT10_ENKUlT_T0_E_clISt17integral_constantIbLb0EES1O_IbLb1EEEEDaS1K_S1L_EUlS1K_E_NS1_11comp_targetILNS1_3genE0ELNS1_11target_archE4294967295ELNS1_3gpuE0ELNS1_3repE0EEENS1_30default_config_static_selectorELNS0_4arch9wavefront6targetE0EEEvSY_.uses_flat_scratch, 0
	.set _ZN7rocprim17ROCPRIM_400000_NS6detail17trampoline_kernelINS0_13select_configILj256ELj13ELNS0_17block_load_methodE3ELS4_3ELS4_3ELNS0_20block_scan_algorithmE0ELj4294967295EEENS1_25partition_config_selectorILNS1_17partition_subalgoE3EjNS0_10empty_typeEbEEZZNS1_14partition_implILS8_3ELb0ES6_jNS0_17counting_iteratorIjlEEPS9_SE_NS0_5tupleIJPjSE_EEENSF_IJSE_SE_EEES9_SG_JZNS1_25segmented_radix_sort_implINS0_14default_configELb1EPKdPdPKlPlN2at6native12_GLOBAL__N_18offset_tEEE10hipError_tPvRmT1_PNSt15iterator_traitsISY_E10value_typeET2_T3_PNSZ_IS14_E10value_typeET4_jRbjT5_S1A_jjP12ihipStream_tbEUljE_EEESV_SW_SX_S14_S18_S1A_T6_T7_T9_mT8_S1C_bDpT10_ENKUlT_T0_E_clISt17integral_constantIbLb0EES1O_IbLb1EEEEDaS1K_S1L_EUlS1K_E_NS1_11comp_targetILNS1_3genE0ELNS1_11target_archE4294967295ELNS1_3gpuE0ELNS1_3repE0EEENS1_30default_config_static_selectorELNS0_4arch9wavefront6targetE0EEEvSY_.has_dyn_sized_stack, 0
	.set _ZN7rocprim17ROCPRIM_400000_NS6detail17trampoline_kernelINS0_13select_configILj256ELj13ELNS0_17block_load_methodE3ELS4_3ELS4_3ELNS0_20block_scan_algorithmE0ELj4294967295EEENS1_25partition_config_selectorILNS1_17partition_subalgoE3EjNS0_10empty_typeEbEEZZNS1_14partition_implILS8_3ELb0ES6_jNS0_17counting_iteratorIjlEEPS9_SE_NS0_5tupleIJPjSE_EEENSF_IJSE_SE_EEES9_SG_JZNS1_25segmented_radix_sort_implINS0_14default_configELb1EPKdPdPKlPlN2at6native12_GLOBAL__N_18offset_tEEE10hipError_tPvRmT1_PNSt15iterator_traitsISY_E10value_typeET2_T3_PNSZ_IS14_E10value_typeET4_jRbjT5_S1A_jjP12ihipStream_tbEUljE_EEESV_SW_SX_S14_S18_S1A_T6_T7_T9_mT8_S1C_bDpT10_ENKUlT_T0_E_clISt17integral_constantIbLb0EES1O_IbLb1EEEEDaS1K_S1L_EUlS1K_E_NS1_11comp_targetILNS1_3genE0ELNS1_11target_archE4294967295ELNS1_3gpuE0ELNS1_3repE0EEENS1_30default_config_static_selectorELNS0_4arch9wavefront6targetE0EEEvSY_.has_recursion, 0
	.set _ZN7rocprim17ROCPRIM_400000_NS6detail17trampoline_kernelINS0_13select_configILj256ELj13ELNS0_17block_load_methodE3ELS4_3ELS4_3ELNS0_20block_scan_algorithmE0ELj4294967295EEENS1_25partition_config_selectorILNS1_17partition_subalgoE3EjNS0_10empty_typeEbEEZZNS1_14partition_implILS8_3ELb0ES6_jNS0_17counting_iteratorIjlEEPS9_SE_NS0_5tupleIJPjSE_EEENSF_IJSE_SE_EEES9_SG_JZNS1_25segmented_radix_sort_implINS0_14default_configELb1EPKdPdPKlPlN2at6native12_GLOBAL__N_18offset_tEEE10hipError_tPvRmT1_PNSt15iterator_traitsISY_E10value_typeET2_T3_PNSZ_IS14_E10value_typeET4_jRbjT5_S1A_jjP12ihipStream_tbEUljE_EEESV_SW_SX_S14_S18_S1A_T6_T7_T9_mT8_S1C_bDpT10_ENKUlT_T0_E_clISt17integral_constantIbLb0EES1O_IbLb1EEEEDaS1K_S1L_EUlS1K_E_NS1_11comp_targetILNS1_3genE0ELNS1_11target_archE4294967295ELNS1_3gpuE0ELNS1_3repE0EEENS1_30default_config_static_selectorELNS0_4arch9wavefront6targetE0EEEvSY_.has_indirect_call, 0
	.section	.AMDGPU.csdata,"",@progbits
; Kernel info:
; codeLenInByte = 0
; TotalNumSgprs: 0
; NumVgprs: 0
; ScratchSize: 0
; MemoryBound: 0
; FloatMode: 240
; IeeeMode: 1
; LDSByteSize: 0 bytes/workgroup (compile time only)
; SGPRBlocks: 0
; VGPRBlocks: 0
; NumSGPRsForWavesPerEU: 1
; NumVGPRsForWavesPerEU: 1
; Occupancy: 16
; WaveLimiterHint : 0
; COMPUTE_PGM_RSRC2:SCRATCH_EN: 0
; COMPUTE_PGM_RSRC2:USER_SGPR: 2
; COMPUTE_PGM_RSRC2:TRAP_HANDLER: 0
; COMPUTE_PGM_RSRC2:TGID_X_EN: 1
; COMPUTE_PGM_RSRC2:TGID_Y_EN: 0
; COMPUTE_PGM_RSRC2:TGID_Z_EN: 0
; COMPUTE_PGM_RSRC2:TIDIG_COMP_CNT: 0
	.section	.text._ZN7rocprim17ROCPRIM_400000_NS6detail17trampoline_kernelINS0_13select_configILj256ELj13ELNS0_17block_load_methodE3ELS4_3ELS4_3ELNS0_20block_scan_algorithmE0ELj4294967295EEENS1_25partition_config_selectorILNS1_17partition_subalgoE3EjNS0_10empty_typeEbEEZZNS1_14partition_implILS8_3ELb0ES6_jNS0_17counting_iteratorIjlEEPS9_SE_NS0_5tupleIJPjSE_EEENSF_IJSE_SE_EEES9_SG_JZNS1_25segmented_radix_sort_implINS0_14default_configELb1EPKdPdPKlPlN2at6native12_GLOBAL__N_18offset_tEEE10hipError_tPvRmT1_PNSt15iterator_traitsISY_E10value_typeET2_T3_PNSZ_IS14_E10value_typeET4_jRbjT5_S1A_jjP12ihipStream_tbEUljE_EEESV_SW_SX_S14_S18_S1A_T6_T7_T9_mT8_S1C_bDpT10_ENKUlT_T0_E_clISt17integral_constantIbLb0EES1O_IbLb1EEEEDaS1K_S1L_EUlS1K_E_NS1_11comp_targetILNS1_3genE5ELNS1_11target_archE942ELNS1_3gpuE9ELNS1_3repE0EEENS1_30default_config_static_selectorELNS0_4arch9wavefront6targetE0EEEvSY_,"axG",@progbits,_ZN7rocprim17ROCPRIM_400000_NS6detail17trampoline_kernelINS0_13select_configILj256ELj13ELNS0_17block_load_methodE3ELS4_3ELS4_3ELNS0_20block_scan_algorithmE0ELj4294967295EEENS1_25partition_config_selectorILNS1_17partition_subalgoE3EjNS0_10empty_typeEbEEZZNS1_14partition_implILS8_3ELb0ES6_jNS0_17counting_iteratorIjlEEPS9_SE_NS0_5tupleIJPjSE_EEENSF_IJSE_SE_EEES9_SG_JZNS1_25segmented_radix_sort_implINS0_14default_configELb1EPKdPdPKlPlN2at6native12_GLOBAL__N_18offset_tEEE10hipError_tPvRmT1_PNSt15iterator_traitsISY_E10value_typeET2_T3_PNSZ_IS14_E10value_typeET4_jRbjT5_S1A_jjP12ihipStream_tbEUljE_EEESV_SW_SX_S14_S18_S1A_T6_T7_T9_mT8_S1C_bDpT10_ENKUlT_T0_E_clISt17integral_constantIbLb0EES1O_IbLb1EEEEDaS1K_S1L_EUlS1K_E_NS1_11comp_targetILNS1_3genE5ELNS1_11target_archE942ELNS1_3gpuE9ELNS1_3repE0EEENS1_30default_config_static_selectorELNS0_4arch9wavefront6targetE0EEEvSY_,comdat
	.globl	_ZN7rocprim17ROCPRIM_400000_NS6detail17trampoline_kernelINS0_13select_configILj256ELj13ELNS0_17block_load_methodE3ELS4_3ELS4_3ELNS0_20block_scan_algorithmE0ELj4294967295EEENS1_25partition_config_selectorILNS1_17partition_subalgoE3EjNS0_10empty_typeEbEEZZNS1_14partition_implILS8_3ELb0ES6_jNS0_17counting_iteratorIjlEEPS9_SE_NS0_5tupleIJPjSE_EEENSF_IJSE_SE_EEES9_SG_JZNS1_25segmented_radix_sort_implINS0_14default_configELb1EPKdPdPKlPlN2at6native12_GLOBAL__N_18offset_tEEE10hipError_tPvRmT1_PNSt15iterator_traitsISY_E10value_typeET2_T3_PNSZ_IS14_E10value_typeET4_jRbjT5_S1A_jjP12ihipStream_tbEUljE_EEESV_SW_SX_S14_S18_S1A_T6_T7_T9_mT8_S1C_bDpT10_ENKUlT_T0_E_clISt17integral_constantIbLb0EES1O_IbLb1EEEEDaS1K_S1L_EUlS1K_E_NS1_11comp_targetILNS1_3genE5ELNS1_11target_archE942ELNS1_3gpuE9ELNS1_3repE0EEENS1_30default_config_static_selectorELNS0_4arch9wavefront6targetE0EEEvSY_ ; -- Begin function _ZN7rocprim17ROCPRIM_400000_NS6detail17trampoline_kernelINS0_13select_configILj256ELj13ELNS0_17block_load_methodE3ELS4_3ELS4_3ELNS0_20block_scan_algorithmE0ELj4294967295EEENS1_25partition_config_selectorILNS1_17partition_subalgoE3EjNS0_10empty_typeEbEEZZNS1_14partition_implILS8_3ELb0ES6_jNS0_17counting_iteratorIjlEEPS9_SE_NS0_5tupleIJPjSE_EEENSF_IJSE_SE_EEES9_SG_JZNS1_25segmented_radix_sort_implINS0_14default_configELb1EPKdPdPKlPlN2at6native12_GLOBAL__N_18offset_tEEE10hipError_tPvRmT1_PNSt15iterator_traitsISY_E10value_typeET2_T3_PNSZ_IS14_E10value_typeET4_jRbjT5_S1A_jjP12ihipStream_tbEUljE_EEESV_SW_SX_S14_S18_S1A_T6_T7_T9_mT8_S1C_bDpT10_ENKUlT_T0_E_clISt17integral_constantIbLb0EES1O_IbLb1EEEEDaS1K_S1L_EUlS1K_E_NS1_11comp_targetILNS1_3genE5ELNS1_11target_archE942ELNS1_3gpuE9ELNS1_3repE0EEENS1_30default_config_static_selectorELNS0_4arch9wavefront6targetE0EEEvSY_
	.p2align	8
	.type	_ZN7rocprim17ROCPRIM_400000_NS6detail17trampoline_kernelINS0_13select_configILj256ELj13ELNS0_17block_load_methodE3ELS4_3ELS4_3ELNS0_20block_scan_algorithmE0ELj4294967295EEENS1_25partition_config_selectorILNS1_17partition_subalgoE3EjNS0_10empty_typeEbEEZZNS1_14partition_implILS8_3ELb0ES6_jNS0_17counting_iteratorIjlEEPS9_SE_NS0_5tupleIJPjSE_EEENSF_IJSE_SE_EEES9_SG_JZNS1_25segmented_radix_sort_implINS0_14default_configELb1EPKdPdPKlPlN2at6native12_GLOBAL__N_18offset_tEEE10hipError_tPvRmT1_PNSt15iterator_traitsISY_E10value_typeET2_T3_PNSZ_IS14_E10value_typeET4_jRbjT5_S1A_jjP12ihipStream_tbEUljE_EEESV_SW_SX_S14_S18_S1A_T6_T7_T9_mT8_S1C_bDpT10_ENKUlT_T0_E_clISt17integral_constantIbLb0EES1O_IbLb1EEEEDaS1K_S1L_EUlS1K_E_NS1_11comp_targetILNS1_3genE5ELNS1_11target_archE942ELNS1_3gpuE9ELNS1_3repE0EEENS1_30default_config_static_selectorELNS0_4arch9wavefront6targetE0EEEvSY_,@function
_ZN7rocprim17ROCPRIM_400000_NS6detail17trampoline_kernelINS0_13select_configILj256ELj13ELNS0_17block_load_methodE3ELS4_3ELS4_3ELNS0_20block_scan_algorithmE0ELj4294967295EEENS1_25partition_config_selectorILNS1_17partition_subalgoE3EjNS0_10empty_typeEbEEZZNS1_14partition_implILS8_3ELb0ES6_jNS0_17counting_iteratorIjlEEPS9_SE_NS0_5tupleIJPjSE_EEENSF_IJSE_SE_EEES9_SG_JZNS1_25segmented_radix_sort_implINS0_14default_configELb1EPKdPdPKlPlN2at6native12_GLOBAL__N_18offset_tEEE10hipError_tPvRmT1_PNSt15iterator_traitsISY_E10value_typeET2_T3_PNSZ_IS14_E10value_typeET4_jRbjT5_S1A_jjP12ihipStream_tbEUljE_EEESV_SW_SX_S14_S18_S1A_T6_T7_T9_mT8_S1C_bDpT10_ENKUlT_T0_E_clISt17integral_constantIbLb0EES1O_IbLb1EEEEDaS1K_S1L_EUlS1K_E_NS1_11comp_targetILNS1_3genE5ELNS1_11target_archE942ELNS1_3gpuE9ELNS1_3repE0EEENS1_30default_config_static_selectorELNS0_4arch9wavefront6targetE0EEEvSY_: ; @_ZN7rocprim17ROCPRIM_400000_NS6detail17trampoline_kernelINS0_13select_configILj256ELj13ELNS0_17block_load_methodE3ELS4_3ELS4_3ELNS0_20block_scan_algorithmE0ELj4294967295EEENS1_25partition_config_selectorILNS1_17partition_subalgoE3EjNS0_10empty_typeEbEEZZNS1_14partition_implILS8_3ELb0ES6_jNS0_17counting_iteratorIjlEEPS9_SE_NS0_5tupleIJPjSE_EEENSF_IJSE_SE_EEES9_SG_JZNS1_25segmented_radix_sort_implINS0_14default_configELb1EPKdPdPKlPlN2at6native12_GLOBAL__N_18offset_tEEE10hipError_tPvRmT1_PNSt15iterator_traitsISY_E10value_typeET2_T3_PNSZ_IS14_E10value_typeET4_jRbjT5_S1A_jjP12ihipStream_tbEUljE_EEESV_SW_SX_S14_S18_S1A_T6_T7_T9_mT8_S1C_bDpT10_ENKUlT_T0_E_clISt17integral_constantIbLb0EES1O_IbLb1EEEEDaS1K_S1L_EUlS1K_E_NS1_11comp_targetILNS1_3genE5ELNS1_11target_archE942ELNS1_3gpuE9ELNS1_3repE0EEENS1_30default_config_static_selectorELNS0_4arch9wavefront6targetE0EEEvSY_
; %bb.0:
	.section	.rodata,"a",@progbits
	.p2align	6, 0x0
	.amdhsa_kernel _ZN7rocprim17ROCPRIM_400000_NS6detail17trampoline_kernelINS0_13select_configILj256ELj13ELNS0_17block_load_methodE3ELS4_3ELS4_3ELNS0_20block_scan_algorithmE0ELj4294967295EEENS1_25partition_config_selectorILNS1_17partition_subalgoE3EjNS0_10empty_typeEbEEZZNS1_14partition_implILS8_3ELb0ES6_jNS0_17counting_iteratorIjlEEPS9_SE_NS0_5tupleIJPjSE_EEENSF_IJSE_SE_EEES9_SG_JZNS1_25segmented_radix_sort_implINS0_14default_configELb1EPKdPdPKlPlN2at6native12_GLOBAL__N_18offset_tEEE10hipError_tPvRmT1_PNSt15iterator_traitsISY_E10value_typeET2_T3_PNSZ_IS14_E10value_typeET4_jRbjT5_S1A_jjP12ihipStream_tbEUljE_EEESV_SW_SX_S14_S18_S1A_T6_T7_T9_mT8_S1C_bDpT10_ENKUlT_T0_E_clISt17integral_constantIbLb0EES1O_IbLb1EEEEDaS1K_S1L_EUlS1K_E_NS1_11comp_targetILNS1_3genE5ELNS1_11target_archE942ELNS1_3gpuE9ELNS1_3repE0EEENS1_30default_config_static_selectorELNS0_4arch9wavefront6targetE0EEEvSY_
		.amdhsa_group_segment_fixed_size 0
		.amdhsa_private_segment_fixed_size 0
		.amdhsa_kernarg_size 152
		.amdhsa_user_sgpr_count 2
		.amdhsa_user_sgpr_dispatch_ptr 0
		.amdhsa_user_sgpr_queue_ptr 0
		.amdhsa_user_sgpr_kernarg_segment_ptr 1
		.amdhsa_user_sgpr_dispatch_id 0
		.amdhsa_user_sgpr_private_segment_size 0
		.amdhsa_wavefront_size32 1
		.amdhsa_uses_dynamic_stack 0
		.amdhsa_enable_private_segment 0
		.amdhsa_system_sgpr_workgroup_id_x 1
		.amdhsa_system_sgpr_workgroup_id_y 0
		.amdhsa_system_sgpr_workgroup_id_z 0
		.amdhsa_system_sgpr_workgroup_info 0
		.amdhsa_system_vgpr_workitem_id 0
		.amdhsa_next_free_vgpr 1
		.amdhsa_next_free_sgpr 1
		.amdhsa_reserve_vcc 0
		.amdhsa_float_round_mode_32 0
		.amdhsa_float_round_mode_16_64 0
		.amdhsa_float_denorm_mode_32 3
		.amdhsa_float_denorm_mode_16_64 3
		.amdhsa_fp16_overflow 0
		.amdhsa_workgroup_processor_mode 1
		.amdhsa_memory_ordered 1
		.amdhsa_forward_progress 1
		.amdhsa_inst_pref_size 0
		.amdhsa_round_robin_scheduling 0
		.amdhsa_exception_fp_ieee_invalid_op 0
		.amdhsa_exception_fp_denorm_src 0
		.amdhsa_exception_fp_ieee_div_zero 0
		.amdhsa_exception_fp_ieee_overflow 0
		.amdhsa_exception_fp_ieee_underflow 0
		.amdhsa_exception_fp_ieee_inexact 0
		.amdhsa_exception_int_div_zero 0
	.end_amdhsa_kernel
	.section	.text._ZN7rocprim17ROCPRIM_400000_NS6detail17trampoline_kernelINS0_13select_configILj256ELj13ELNS0_17block_load_methodE3ELS4_3ELS4_3ELNS0_20block_scan_algorithmE0ELj4294967295EEENS1_25partition_config_selectorILNS1_17partition_subalgoE3EjNS0_10empty_typeEbEEZZNS1_14partition_implILS8_3ELb0ES6_jNS0_17counting_iteratorIjlEEPS9_SE_NS0_5tupleIJPjSE_EEENSF_IJSE_SE_EEES9_SG_JZNS1_25segmented_radix_sort_implINS0_14default_configELb1EPKdPdPKlPlN2at6native12_GLOBAL__N_18offset_tEEE10hipError_tPvRmT1_PNSt15iterator_traitsISY_E10value_typeET2_T3_PNSZ_IS14_E10value_typeET4_jRbjT5_S1A_jjP12ihipStream_tbEUljE_EEESV_SW_SX_S14_S18_S1A_T6_T7_T9_mT8_S1C_bDpT10_ENKUlT_T0_E_clISt17integral_constantIbLb0EES1O_IbLb1EEEEDaS1K_S1L_EUlS1K_E_NS1_11comp_targetILNS1_3genE5ELNS1_11target_archE942ELNS1_3gpuE9ELNS1_3repE0EEENS1_30default_config_static_selectorELNS0_4arch9wavefront6targetE0EEEvSY_,"axG",@progbits,_ZN7rocprim17ROCPRIM_400000_NS6detail17trampoline_kernelINS0_13select_configILj256ELj13ELNS0_17block_load_methodE3ELS4_3ELS4_3ELNS0_20block_scan_algorithmE0ELj4294967295EEENS1_25partition_config_selectorILNS1_17partition_subalgoE3EjNS0_10empty_typeEbEEZZNS1_14partition_implILS8_3ELb0ES6_jNS0_17counting_iteratorIjlEEPS9_SE_NS0_5tupleIJPjSE_EEENSF_IJSE_SE_EEES9_SG_JZNS1_25segmented_radix_sort_implINS0_14default_configELb1EPKdPdPKlPlN2at6native12_GLOBAL__N_18offset_tEEE10hipError_tPvRmT1_PNSt15iterator_traitsISY_E10value_typeET2_T3_PNSZ_IS14_E10value_typeET4_jRbjT5_S1A_jjP12ihipStream_tbEUljE_EEESV_SW_SX_S14_S18_S1A_T6_T7_T9_mT8_S1C_bDpT10_ENKUlT_T0_E_clISt17integral_constantIbLb0EES1O_IbLb1EEEEDaS1K_S1L_EUlS1K_E_NS1_11comp_targetILNS1_3genE5ELNS1_11target_archE942ELNS1_3gpuE9ELNS1_3repE0EEENS1_30default_config_static_selectorELNS0_4arch9wavefront6targetE0EEEvSY_,comdat
.Lfunc_end1111:
	.size	_ZN7rocprim17ROCPRIM_400000_NS6detail17trampoline_kernelINS0_13select_configILj256ELj13ELNS0_17block_load_methodE3ELS4_3ELS4_3ELNS0_20block_scan_algorithmE0ELj4294967295EEENS1_25partition_config_selectorILNS1_17partition_subalgoE3EjNS0_10empty_typeEbEEZZNS1_14partition_implILS8_3ELb0ES6_jNS0_17counting_iteratorIjlEEPS9_SE_NS0_5tupleIJPjSE_EEENSF_IJSE_SE_EEES9_SG_JZNS1_25segmented_radix_sort_implINS0_14default_configELb1EPKdPdPKlPlN2at6native12_GLOBAL__N_18offset_tEEE10hipError_tPvRmT1_PNSt15iterator_traitsISY_E10value_typeET2_T3_PNSZ_IS14_E10value_typeET4_jRbjT5_S1A_jjP12ihipStream_tbEUljE_EEESV_SW_SX_S14_S18_S1A_T6_T7_T9_mT8_S1C_bDpT10_ENKUlT_T0_E_clISt17integral_constantIbLb0EES1O_IbLb1EEEEDaS1K_S1L_EUlS1K_E_NS1_11comp_targetILNS1_3genE5ELNS1_11target_archE942ELNS1_3gpuE9ELNS1_3repE0EEENS1_30default_config_static_selectorELNS0_4arch9wavefront6targetE0EEEvSY_, .Lfunc_end1111-_ZN7rocprim17ROCPRIM_400000_NS6detail17trampoline_kernelINS0_13select_configILj256ELj13ELNS0_17block_load_methodE3ELS4_3ELS4_3ELNS0_20block_scan_algorithmE0ELj4294967295EEENS1_25partition_config_selectorILNS1_17partition_subalgoE3EjNS0_10empty_typeEbEEZZNS1_14partition_implILS8_3ELb0ES6_jNS0_17counting_iteratorIjlEEPS9_SE_NS0_5tupleIJPjSE_EEENSF_IJSE_SE_EEES9_SG_JZNS1_25segmented_radix_sort_implINS0_14default_configELb1EPKdPdPKlPlN2at6native12_GLOBAL__N_18offset_tEEE10hipError_tPvRmT1_PNSt15iterator_traitsISY_E10value_typeET2_T3_PNSZ_IS14_E10value_typeET4_jRbjT5_S1A_jjP12ihipStream_tbEUljE_EEESV_SW_SX_S14_S18_S1A_T6_T7_T9_mT8_S1C_bDpT10_ENKUlT_T0_E_clISt17integral_constantIbLb0EES1O_IbLb1EEEEDaS1K_S1L_EUlS1K_E_NS1_11comp_targetILNS1_3genE5ELNS1_11target_archE942ELNS1_3gpuE9ELNS1_3repE0EEENS1_30default_config_static_selectorELNS0_4arch9wavefront6targetE0EEEvSY_
                                        ; -- End function
	.set _ZN7rocprim17ROCPRIM_400000_NS6detail17trampoline_kernelINS0_13select_configILj256ELj13ELNS0_17block_load_methodE3ELS4_3ELS4_3ELNS0_20block_scan_algorithmE0ELj4294967295EEENS1_25partition_config_selectorILNS1_17partition_subalgoE3EjNS0_10empty_typeEbEEZZNS1_14partition_implILS8_3ELb0ES6_jNS0_17counting_iteratorIjlEEPS9_SE_NS0_5tupleIJPjSE_EEENSF_IJSE_SE_EEES9_SG_JZNS1_25segmented_radix_sort_implINS0_14default_configELb1EPKdPdPKlPlN2at6native12_GLOBAL__N_18offset_tEEE10hipError_tPvRmT1_PNSt15iterator_traitsISY_E10value_typeET2_T3_PNSZ_IS14_E10value_typeET4_jRbjT5_S1A_jjP12ihipStream_tbEUljE_EEESV_SW_SX_S14_S18_S1A_T6_T7_T9_mT8_S1C_bDpT10_ENKUlT_T0_E_clISt17integral_constantIbLb0EES1O_IbLb1EEEEDaS1K_S1L_EUlS1K_E_NS1_11comp_targetILNS1_3genE5ELNS1_11target_archE942ELNS1_3gpuE9ELNS1_3repE0EEENS1_30default_config_static_selectorELNS0_4arch9wavefront6targetE0EEEvSY_.num_vgpr, 0
	.set _ZN7rocprim17ROCPRIM_400000_NS6detail17trampoline_kernelINS0_13select_configILj256ELj13ELNS0_17block_load_methodE3ELS4_3ELS4_3ELNS0_20block_scan_algorithmE0ELj4294967295EEENS1_25partition_config_selectorILNS1_17partition_subalgoE3EjNS0_10empty_typeEbEEZZNS1_14partition_implILS8_3ELb0ES6_jNS0_17counting_iteratorIjlEEPS9_SE_NS0_5tupleIJPjSE_EEENSF_IJSE_SE_EEES9_SG_JZNS1_25segmented_radix_sort_implINS0_14default_configELb1EPKdPdPKlPlN2at6native12_GLOBAL__N_18offset_tEEE10hipError_tPvRmT1_PNSt15iterator_traitsISY_E10value_typeET2_T3_PNSZ_IS14_E10value_typeET4_jRbjT5_S1A_jjP12ihipStream_tbEUljE_EEESV_SW_SX_S14_S18_S1A_T6_T7_T9_mT8_S1C_bDpT10_ENKUlT_T0_E_clISt17integral_constantIbLb0EES1O_IbLb1EEEEDaS1K_S1L_EUlS1K_E_NS1_11comp_targetILNS1_3genE5ELNS1_11target_archE942ELNS1_3gpuE9ELNS1_3repE0EEENS1_30default_config_static_selectorELNS0_4arch9wavefront6targetE0EEEvSY_.num_agpr, 0
	.set _ZN7rocprim17ROCPRIM_400000_NS6detail17trampoline_kernelINS0_13select_configILj256ELj13ELNS0_17block_load_methodE3ELS4_3ELS4_3ELNS0_20block_scan_algorithmE0ELj4294967295EEENS1_25partition_config_selectorILNS1_17partition_subalgoE3EjNS0_10empty_typeEbEEZZNS1_14partition_implILS8_3ELb0ES6_jNS0_17counting_iteratorIjlEEPS9_SE_NS0_5tupleIJPjSE_EEENSF_IJSE_SE_EEES9_SG_JZNS1_25segmented_radix_sort_implINS0_14default_configELb1EPKdPdPKlPlN2at6native12_GLOBAL__N_18offset_tEEE10hipError_tPvRmT1_PNSt15iterator_traitsISY_E10value_typeET2_T3_PNSZ_IS14_E10value_typeET4_jRbjT5_S1A_jjP12ihipStream_tbEUljE_EEESV_SW_SX_S14_S18_S1A_T6_T7_T9_mT8_S1C_bDpT10_ENKUlT_T0_E_clISt17integral_constantIbLb0EES1O_IbLb1EEEEDaS1K_S1L_EUlS1K_E_NS1_11comp_targetILNS1_3genE5ELNS1_11target_archE942ELNS1_3gpuE9ELNS1_3repE0EEENS1_30default_config_static_selectorELNS0_4arch9wavefront6targetE0EEEvSY_.numbered_sgpr, 0
	.set _ZN7rocprim17ROCPRIM_400000_NS6detail17trampoline_kernelINS0_13select_configILj256ELj13ELNS0_17block_load_methodE3ELS4_3ELS4_3ELNS0_20block_scan_algorithmE0ELj4294967295EEENS1_25partition_config_selectorILNS1_17partition_subalgoE3EjNS0_10empty_typeEbEEZZNS1_14partition_implILS8_3ELb0ES6_jNS0_17counting_iteratorIjlEEPS9_SE_NS0_5tupleIJPjSE_EEENSF_IJSE_SE_EEES9_SG_JZNS1_25segmented_radix_sort_implINS0_14default_configELb1EPKdPdPKlPlN2at6native12_GLOBAL__N_18offset_tEEE10hipError_tPvRmT1_PNSt15iterator_traitsISY_E10value_typeET2_T3_PNSZ_IS14_E10value_typeET4_jRbjT5_S1A_jjP12ihipStream_tbEUljE_EEESV_SW_SX_S14_S18_S1A_T6_T7_T9_mT8_S1C_bDpT10_ENKUlT_T0_E_clISt17integral_constantIbLb0EES1O_IbLb1EEEEDaS1K_S1L_EUlS1K_E_NS1_11comp_targetILNS1_3genE5ELNS1_11target_archE942ELNS1_3gpuE9ELNS1_3repE0EEENS1_30default_config_static_selectorELNS0_4arch9wavefront6targetE0EEEvSY_.num_named_barrier, 0
	.set _ZN7rocprim17ROCPRIM_400000_NS6detail17trampoline_kernelINS0_13select_configILj256ELj13ELNS0_17block_load_methodE3ELS4_3ELS4_3ELNS0_20block_scan_algorithmE0ELj4294967295EEENS1_25partition_config_selectorILNS1_17partition_subalgoE3EjNS0_10empty_typeEbEEZZNS1_14partition_implILS8_3ELb0ES6_jNS0_17counting_iteratorIjlEEPS9_SE_NS0_5tupleIJPjSE_EEENSF_IJSE_SE_EEES9_SG_JZNS1_25segmented_radix_sort_implINS0_14default_configELb1EPKdPdPKlPlN2at6native12_GLOBAL__N_18offset_tEEE10hipError_tPvRmT1_PNSt15iterator_traitsISY_E10value_typeET2_T3_PNSZ_IS14_E10value_typeET4_jRbjT5_S1A_jjP12ihipStream_tbEUljE_EEESV_SW_SX_S14_S18_S1A_T6_T7_T9_mT8_S1C_bDpT10_ENKUlT_T0_E_clISt17integral_constantIbLb0EES1O_IbLb1EEEEDaS1K_S1L_EUlS1K_E_NS1_11comp_targetILNS1_3genE5ELNS1_11target_archE942ELNS1_3gpuE9ELNS1_3repE0EEENS1_30default_config_static_selectorELNS0_4arch9wavefront6targetE0EEEvSY_.private_seg_size, 0
	.set _ZN7rocprim17ROCPRIM_400000_NS6detail17trampoline_kernelINS0_13select_configILj256ELj13ELNS0_17block_load_methodE3ELS4_3ELS4_3ELNS0_20block_scan_algorithmE0ELj4294967295EEENS1_25partition_config_selectorILNS1_17partition_subalgoE3EjNS0_10empty_typeEbEEZZNS1_14partition_implILS8_3ELb0ES6_jNS0_17counting_iteratorIjlEEPS9_SE_NS0_5tupleIJPjSE_EEENSF_IJSE_SE_EEES9_SG_JZNS1_25segmented_radix_sort_implINS0_14default_configELb1EPKdPdPKlPlN2at6native12_GLOBAL__N_18offset_tEEE10hipError_tPvRmT1_PNSt15iterator_traitsISY_E10value_typeET2_T3_PNSZ_IS14_E10value_typeET4_jRbjT5_S1A_jjP12ihipStream_tbEUljE_EEESV_SW_SX_S14_S18_S1A_T6_T7_T9_mT8_S1C_bDpT10_ENKUlT_T0_E_clISt17integral_constantIbLb0EES1O_IbLb1EEEEDaS1K_S1L_EUlS1K_E_NS1_11comp_targetILNS1_3genE5ELNS1_11target_archE942ELNS1_3gpuE9ELNS1_3repE0EEENS1_30default_config_static_selectorELNS0_4arch9wavefront6targetE0EEEvSY_.uses_vcc, 0
	.set _ZN7rocprim17ROCPRIM_400000_NS6detail17trampoline_kernelINS0_13select_configILj256ELj13ELNS0_17block_load_methodE3ELS4_3ELS4_3ELNS0_20block_scan_algorithmE0ELj4294967295EEENS1_25partition_config_selectorILNS1_17partition_subalgoE3EjNS0_10empty_typeEbEEZZNS1_14partition_implILS8_3ELb0ES6_jNS0_17counting_iteratorIjlEEPS9_SE_NS0_5tupleIJPjSE_EEENSF_IJSE_SE_EEES9_SG_JZNS1_25segmented_radix_sort_implINS0_14default_configELb1EPKdPdPKlPlN2at6native12_GLOBAL__N_18offset_tEEE10hipError_tPvRmT1_PNSt15iterator_traitsISY_E10value_typeET2_T3_PNSZ_IS14_E10value_typeET4_jRbjT5_S1A_jjP12ihipStream_tbEUljE_EEESV_SW_SX_S14_S18_S1A_T6_T7_T9_mT8_S1C_bDpT10_ENKUlT_T0_E_clISt17integral_constantIbLb0EES1O_IbLb1EEEEDaS1K_S1L_EUlS1K_E_NS1_11comp_targetILNS1_3genE5ELNS1_11target_archE942ELNS1_3gpuE9ELNS1_3repE0EEENS1_30default_config_static_selectorELNS0_4arch9wavefront6targetE0EEEvSY_.uses_flat_scratch, 0
	.set _ZN7rocprim17ROCPRIM_400000_NS6detail17trampoline_kernelINS0_13select_configILj256ELj13ELNS0_17block_load_methodE3ELS4_3ELS4_3ELNS0_20block_scan_algorithmE0ELj4294967295EEENS1_25partition_config_selectorILNS1_17partition_subalgoE3EjNS0_10empty_typeEbEEZZNS1_14partition_implILS8_3ELb0ES6_jNS0_17counting_iteratorIjlEEPS9_SE_NS0_5tupleIJPjSE_EEENSF_IJSE_SE_EEES9_SG_JZNS1_25segmented_radix_sort_implINS0_14default_configELb1EPKdPdPKlPlN2at6native12_GLOBAL__N_18offset_tEEE10hipError_tPvRmT1_PNSt15iterator_traitsISY_E10value_typeET2_T3_PNSZ_IS14_E10value_typeET4_jRbjT5_S1A_jjP12ihipStream_tbEUljE_EEESV_SW_SX_S14_S18_S1A_T6_T7_T9_mT8_S1C_bDpT10_ENKUlT_T0_E_clISt17integral_constantIbLb0EES1O_IbLb1EEEEDaS1K_S1L_EUlS1K_E_NS1_11comp_targetILNS1_3genE5ELNS1_11target_archE942ELNS1_3gpuE9ELNS1_3repE0EEENS1_30default_config_static_selectorELNS0_4arch9wavefront6targetE0EEEvSY_.has_dyn_sized_stack, 0
	.set _ZN7rocprim17ROCPRIM_400000_NS6detail17trampoline_kernelINS0_13select_configILj256ELj13ELNS0_17block_load_methodE3ELS4_3ELS4_3ELNS0_20block_scan_algorithmE0ELj4294967295EEENS1_25partition_config_selectorILNS1_17partition_subalgoE3EjNS0_10empty_typeEbEEZZNS1_14partition_implILS8_3ELb0ES6_jNS0_17counting_iteratorIjlEEPS9_SE_NS0_5tupleIJPjSE_EEENSF_IJSE_SE_EEES9_SG_JZNS1_25segmented_radix_sort_implINS0_14default_configELb1EPKdPdPKlPlN2at6native12_GLOBAL__N_18offset_tEEE10hipError_tPvRmT1_PNSt15iterator_traitsISY_E10value_typeET2_T3_PNSZ_IS14_E10value_typeET4_jRbjT5_S1A_jjP12ihipStream_tbEUljE_EEESV_SW_SX_S14_S18_S1A_T6_T7_T9_mT8_S1C_bDpT10_ENKUlT_T0_E_clISt17integral_constantIbLb0EES1O_IbLb1EEEEDaS1K_S1L_EUlS1K_E_NS1_11comp_targetILNS1_3genE5ELNS1_11target_archE942ELNS1_3gpuE9ELNS1_3repE0EEENS1_30default_config_static_selectorELNS0_4arch9wavefront6targetE0EEEvSY_.has_recursion, 0
	.set _ZN7rocprim17ROCPRIM_400000_NS6detail17trampoline_kernelINS0_13select_configILj256ELj13ELNS0_17block_load_methodE3ELS4_3ELS4_3ELNS0_20block_scan_algorithmE0ELj4294967295EEENS1_25partition_config_selectorILNS1_17partition_subalgoE3EjNS0_10empty_typeEbEEZZNS1_14partition_implILS8_3ELb0ES6_jNS0_17counting_iteratorIjlEEPS9_SE_NS0_5tupleIJPjSE_EEENSF_IJSE_SE_EEES9_SG_JZNS1_25segmented_radix_sort_implINS0_14default_configELb1EPKdPdPKlPlN2at6native12_GLOBAL__N_18offset_tEEE10hipError_tPvRmT1_PNSt15iterator_traitsISY_E10value_typeET2_T3_PNSZ_IS14_E10value_typeET4_jRbjT5_S1A_jjP12ihipStream_tbEUljE_EEESV_SW_SX_S14_S18_S1A_T6_T7_T9_mT8_S1C_bDpT10_ENKUlT_T0_E_clISt17integral_constantIbLb0EES1O_IbLb1EEEEDaS1K_S1L_EUlS1K_E_NS1_11comp_targetILNS1_3genE5ELNS1_11target_archE942ELNS1_3gpuE9ELNS1_3repE0EEENS1_30default_config_static_selectorELNS0_4arch9wavefront6targetE0EEEvSY_.has_indirect_call, 0
	.section	.AMDGPU.csdata,"",@progbits
; Kernel info:
; codeLenInByte = 0
; TotalNumSgprs: 0
; NumVgprs: 0
; ScratchSize: 0
; MemoryBound: 0
; FloatMode: 240
; IeeeMode: 1
; LDSByteSize: 0 bytes/workgroup (compile time only)
; SGPRBlocks: 0
; VGPRBlocks: 0
; NumSGPRsForWavesPerEU: 1
; NumVGPRsForWavesPerEU: 1
; Occupancy: 16
; WaveLimiterHint : 0
; COMPUTE_PGM_RSRC2:SCRATCH_EN: 0
; COMPUTE_PGM_RSRC2:USER_SGPR: 2
; COMPUTE_PGM_RSRC2:TRAP_HANDLER: 0
; COMPUTE_PGM_RSRC2:TGID_X_EN: 1
; COMPUTE_PGM_RSRC2:TGID_Y_EN: 0
; COMPUTE_PGM_RSRC2:TGID_Z_EN: 0
; COMPUTE_PGM_RSRC2:TIDIG_COMP_CNT: 0
	.section	.text._ZN7rocprim17ROCPRIM_400000_NS6detail17trampoline_kernelINS0_13select_configILj256ELj13ELNS0_17block_load_methodE3ELS4_3ELS4_3ELNS0_20block_scan_algorithmE0ELj4294967295EEENS1_25partition_config_selectorILNS1_17partition_subalgoE3EjNS0_10empty_typeEbEEZZNS1_14partition_implILS8_3ELb0ES6_jNS0_17counting_iteratorIjlEEPS9_SE_NS0_5tupleIJPjSE_EEENSF_IJSE_SE_EEES9_SG_JZNS1_25segmented_radix_sort_implINS0_14default_configELb1EPKdPdPKlPlN2at6native12_GLOBAL__N_18offset_tEEE10hipError_tPvRmT1_PNSt15iterator_traitsISY_E10value_typeET2_T3_PNSZ_IS14_E10value_typeET4_jRbjT5_S1A_jjP12ihipStream_tbEUljE_EEESV_SW_SX_S14_S18_S1A_T6_T7_T9_mT8_S1C_bDpT10_ENKUlT_T0_E_clISt17integral_constantIbLb0EES1O_IbLb1EEEEDaS1K_S1L_EUlS1K_E_NS1_11comp_targetILNS1_3genE4ELNS1_11target_archE910ELNS1_3gpuE8ELNS1_3repE0EEENS1_30default_config_static_selectorELNS0_4arch9wavefront6targetE0EEEvSY_,"axG",@progbits,_ZN7rocprim17ROCPRIM_400000_NS6detail17trampoline_kernelINS0_13select_configILj256ELj13ELNS0_17block_load_methodE3ELS4_3ELS4_3ELNS0_20block_scan_algorithmE0ELj4294967295EEENS1_25partition_config_selectorILNS1_17partition_subalgoE3EjNS0_10empty_typeEbEEZZNS1_14partition_implILS8_3ELb0ES6_jNS0_17counting_iteratorIjlEEPS9_SE_NS0_5tupleIJPjSE_EEENSF_IJSE_SE_EEES9_SG_JZNS1_25segmented_radix_sort_implINS0_14default_configELb1EPKdPdPKlPlN2at6native12_GLOBAL__N_18offset_tEEE10hipError_tPvRmT1_PNSt15iterator_traitsISY_E10value_typeET2_T3_PNSZ_IS14_E10value_typeET4_jRbjT5_S1A_jjP12ihipStream_tbEUljE_EEESV_SW_SX_S14_S18_S1A_T6_T7_T9_mT8_S1C_bDpT10_ENKUlT_T0_E_clISt17integral_constantIbLb0EES1O_IbLb1EEEEDaS1K_S1L_EUlS1K_E_NS1_11comp_targetILNS1_3genE4ELNS1_11target_archE910ELNS1_3gpuE8ELNS1_3repE0EEENS1_30default_config_static_selectorELNS0_4arch9wavefront6targetE0EEEvSY_,comdat
	.globl	_ZN7rocprim17ROCPRIM_400000_NS6detail17trampoline_kernelINS0_13select_configILj256ELj13ELNS0_17block_load_methodE3ELS4_3ELS4_3ELNS0_20block_scan_algorithmE0ELj4294967295EEENS1_25partition_config_selectorILNS1_17partition_subalgoE3EjNS0_10empty_typeEbEEZZNS1_14partition_implILS8_3ELb0ES6_jNS0_17counting_iteratorIjlEEPS9_SE_NS0_5tupleIJPjSE_EEENSF_IJSE_SE_EEES9_SG_JZNS1_25segmented_radix_sort_implINS0_14default_configELb1EPKdPdPKlPlN2at6native12_GLOBAL__N_18offset_tEEE10hipError_tPvRmT1_PNSt15iterator_traitsISY_E10value_typeET2_T3_PNSZ_IS14_E10value_typeET4_jRbjT5_S1A_jjP12ihipStream_tbEUljE_EEESV_SW_SX_S14_S18_S1A_T6_T7_T9_mT8_S1C_bDpT10_ENKUlT_T0_E_clISt17integral_constantIbLb0EES1O_IbLb1EEEEDaS1K_S1L_EUlS1K_E_NS1_11comp_targetILNS1_3genE4ELNS1_11target_archE910ELNS1_3gpuE8ELNS1_3repE0EEENS1_30default_config_static_selectorELNS0_4arch9wavefront6targetE0EEEvSY_ ; -- Begin function _ZN7rocprim17ROCPRIM_400000_NS6detail17trampoline_kernelINS0_13select_configILj256ELj13ELNS0_17block_load_methodE3ELS4_3ELS4_3ELNS0_20block_scan_algorithmE0ELj4294967295EEENS1_25partition_config_selectorILNS1_17partition_subalgoE3EjNS0_10empty_typeEbEEZZNS1_14partition_implILS8_3ELb0ES6_jNS0_17counting_iteratorIjlEEPS9_SE_NS0_5tupleIJPjSE_EEENSF_IJSE_SE_EEES9_SG_JZNS1_25segmented_radix_sort_implINS0_14default_configELb1EPKdPdPKlPlN2at6native12_GLOBAL__N_18offset_tEEE10hipError_tPvRmT1_PNSt15iterator_traitsISY_E10value_typeET2_T3_PNSZ_IS14_E10value_typeET4_jRbjT5_S1A_jjP12ihipStream_tbEUljE_EEESV_SW_SX_S14_S18_S1A_T6_T7_T9_mT8_S1C_bDpT10_ENKUlT_T0_E_clISt17integral_constantIbLb0EES1O_IbLb1EEEEDaS1K_S1L_EUlS1K_E_NS1_11comp_targetILNS1_3genE4ELNS1_11target_archE910ELNS1_3gpuE8ELNS1_3repE0EEENS1_30default_config_static_selectorELNS0_4arch9wavefront6targetE0EEEvSY_
	.p2align	8
	.type	_ZN7rocprim17ROCPRIM_400000_NS6detail17trampoline_kernelINS0_13select_configILj256ELj13ELNS0_17block_load_methodE3ELS4_3ELS4_3ELNS0_20block_scan_algorithmE0ELj4294967295EEENS1_25partition_config_selectorILNS1_17partition_subalgoE3EjNS0_10empty_typeEbEEZZNS1_14partition_implILS8_3ELb0ES6_jNS0_17counting_iteratorIjlEEPS9_SE_NS0_5tupleIJPjSE_EEENSF_IJSE_SE_EEES9_SG_JZNS1_25segmented_radix_sort_implINS0_14default_configELb1EPKdPdPKlPlN2at6native12_GLOBAL__N_18offset_tEEE10hipError_tPvRmT1_PNSt15iterator_traitsISY_E10value_typeET2_T3_PNSZ_IS14_E10value_typeET4_jRbjT5_S1A_jjP12ihipStream_tbEUljE_EEESV_SW_SX_S14_S18_S1A_T6_T7_T9_mT8_S1C_bDpT10_ENKUlT_T0_E_clISt17integral_constantIbLb0EES1O_IbLb1EEEEDaS1K_S1L_EUlS1K_E_NS1_11comp_targetILNS1_3genE4ELNS1_11target_archE910ELNS1_3gpuE8ELNS1_3repE0EEENS1_30default_config_static_selectorELNS0_4arch9wavefront6targetE0EEEvSY_,@function
_ZN7rocprim17ROCPRIM_400000_NS6detail17trampoline_kernelINS0_13select_configILj256ELj13ELNS0_17block_load_methodE3ELS4_3ELS4_3ELNS0_20block_scan_algorithmE0ELj4294967295EEENS1_25partition_config_selectorILNS1_17partition_subalgoE3EjNS0_10empty_typeEbEEZZNS1_14partition_implILS8_3ELb0ES6_jNS0_17counting_iteratorIjlEEPS9_SE_NS0_5tupleIJPjSE_EEENSF_IJSE_SE_EEES9_SG_JZNS1_25segmented_radix_sort_implINS0_14default_configELb1EPKdPdPKlPlN2at6native12_GLOBAL__N_18offset_tEEE10hipError_tPvRmT1_PNSt15iterator_traitsISY_E10value_typeET2_T3_PNSZ_IS14_E10value_typeET4_jRbjT5_S1A_jjP12ihipStream_tbEUljE_EEESV_SW_SX_S14_S18_S1A_T6_T7_T9_mT8_S1C_bDpT10_ENKUlT_T0_E_clISt17integral_constantIbLb0EES1O_IbLb1EEEEDaS1K_S1L_EUlS1K_E_NS1_11comp_targetILNS1_3genE4ELNS1_11target_archE910ELNS1_3gpuE8ELNS1_3repE0EEENS1_30default_config_static_selectorELNS0_4arch9wavefront6targetE0EEEvSY_: ; @_ZN7rocprim17ROCPRIM_400000_NS6detail17trampoline_kernelINS0_13select_configILj256ELj13ELNS0_17block_load_methodE3ELS4_3ELS4_3ELNS0_20block_scan_algorithmE0ELj4294967295EEENS1_25partition_config_selectorILNS1_17partition_subalgoE3EjNS0_10empty_typeEbEEZZNS1_14partition_implILS8_3ELb0ES6_jNS0_17counting_iteratorIjlEEPS9_SE_NS0_5tupleIJPjSE_EEENSF_IJSE_SE_EEES9_SG_JZNS1_25segmented_radix_sort_implINS0_14default_configELb1EPKdPdPKlPlN2at6native12_GLOBAL__N_18offset_tEEE10hipError_tPvRmT1_PNSt15iterator_traitsISY_E10value_typeET2_T3_PNSZ_IS14_E10value_typeET4_jRbjT5_S1A_jjP12ihipStream_tbEUljE_EEESV_SW_SX_S14_S18_S1A_T6_T7_T9_mT8_S1C_bDpT10_ENKUlT_T0_E_clISt17integral_constantIbLb0EES1O_IbLb1EEEEDaS1K_S1L_EUlS1K_E_NS1_11comp_targetILNS1_3genE4ELNS1_11target_archE910ELNS1_3gpuE8ELNS1_3repE0EEENS1_30default_config_static_selectorELNS0_4arch9wavefront6targetE0EEEvSY_
; %bb.0:
	.section	.rodata,"a",@progbits
	.p2align	6, 0x0
	.amdhsa_kernel _ZN7rocprim17ROCPRIM_400000_NS6detail17trampoline_kernelINS0_13select_configILj256ELj13ELNS0_17block_load_methodE3ELS4_3ELS4_3ELNS0_20block_scan_algorithmE0ELj4294967295EEENS1_25partition_config_selectorILNS1_17partition_subalgoE3EjNS0_10empty_typeEbEEZZNS1_14partition_implILS8_3ELb0ES6_jNS0_17counting_iteratorIjlEEPS9_SE_NS0_5tupleIJPjSE_EEENSF_IJSE_SE_EEES9_SG_JZNS1_25segmented_radix_sort_implINS0_14default_configELb1EPKdPdPKlPlN2at6native12_GLOBAL__N_18offset_tEEE10hipError_tPvRmT1_PNSt15iterator_traitsISY_E10value_typeET2_T3_PNSZ_IS14_E10value_typeET4_jRbjT5_S1A_jjP12ihipStream_tbEUljE_EEESV_SW_SX_S14_S18_S1A_T6_T7_T9_mT8_S1C_bDpT10_ENKUlT_T0_E_clISt17integral_constantIbLb0EES1O_IbLb1EEEEDaS1K_S1L_EUlS1K_E_NS1_11comp_targetILNS1_3genE4ELNS1_11target_archE910ELNS1_3gpuE8ELNS1_3repE0EEENS1_30default_config_static_selectorELNS0_4arch9wavefront6targetE0EEEvSY_
		.amdhsa_group_segment_fixed_size 0
		.amdhsa_private_segment_fixed_size 0
		.amdhsa_kernarg_size 152
		.amdhsa_user_sgpr_count 2
		.amdhsa_user_sgpr_dispatch_ptr 0
		.amdhsa_user_sgpr_queue_ptr 0
		.amdhsa_user_sgpr_kernarg_segment_ptr 1
		.amdhsa_user_sgpr_dispatch_id 0
		.amdhsa_user_sgpr_private_segment_size 0
		.amdhsa_wavefront_size32 1
		.amdhsa_uses_dynamic_stack 0
		.amdhsa_enable_private_segment 0
		.amdhsa_system_sgpr_workgroup_id_x 1
		.amdhsa_system_sgpr_workgroup_id_y 0
		.amdhsa_system_sgpr_workgroup_id_z 0
		.amdhsa_system_sgpr_workgroup_info 0
		.amdhsa_system_vgpr_workitem_id 0
		.amdhsa_next_free_vgpr 1
		.amdhsa_next_free_sgpr 1
		.amdhsa_reserve_vcc 0
		.amdhsa_float_round_mode_32 0
		.amdhsa_float_round_mode_16_64 0
		.amdhsa_float_denorm_mode_32 3
		.amdhsa_float_denorm_mode_16_64 3
		.amdhsa_fp16_overflow 0
		.amdhsa_workgroup_processor_mode 1
		.amdhsa_memory_ordered 1
		.amdhsa_forward_progress 1
		.amdhsa_inst_pref_size 0
		.amdhsa_round_robin_scheduling 0
		.amdhsa_exception_fp_ieee_invalid_op 0
		.amdhsa_exception_fp_denorm_src 0
		.amdhsa_exception_fp_ieee_div_zero 0
		.amdhsa_exception_fp_ieee_overflow 0
		.amdhsa_exception_fp_ieee_underflow 0
		.amdhsa_exception_fp_ieee_inexact 0
		.amdhsa_exception_int_div_zero 0
	.end_amdhsa_kernel
	.section	.text._ZN7rocprim17ROCPRIM_400000_NS6detail17trampoline_kernelINS0_13select_configILj256ELj13ELNS0_17block_load_methodE3ELS4_3ELS4_3ELNS0_20block_scan_algorithmE0ELj4294967295EEENS1_25partition_config_selectorILNS1_17partition_subalgoE3EjNS0_10empty_typeEbEEZZNS1_14partition_implILS8_3ELb0ES6_jNS0_17counting_iteratorIjlEEPS9_SE_NS0_5tupleIJPjSE_EEENSF_IJSE_SE_EEES9_SG_JZNS1_25segmented_radix_sort_implINS0_14default_configELb1EPKdPdPKlPlN2at6native12_GLOBAL__N_18offset_tEEE10hipError_tPvRmT1_PNSt15iterator_traitsISY_E10value_typeET2_T3_PNSZ_IS14_E10value_typeET4_jRbjT5_S1A_jjP12ihipStream_tbEUljE_EEESV_SW_SX_S14_S18_S1A_T6_T7_T9_mT8_S1C_bDpT10_ENKUlT_T0_E_clISt17integral_constantIbLb0EES1O_IbLb1EEEEDaS1K_S1L_EUlS1K_E_NS1_11comp_targetILNS1_3genE4ELNS1_11target_archE910ELNS1_3gpuE8ELNS1_3repE0EEENS1_30default_config_static_selectorELNS0_4arch9wavefront6targetE0EEEvSY_,"axG",@progbits,_ZN7rocprim17ROCPRIM_400000_NS6detail17trampoline_kernelINS0_13select_configILj256ELj13ELNS0_17block_load_methodE3ELS4_3ELS4_3ELNS0_20block_scan_algorithmE0ELj4294967295EEENS1_25partition_config_selectorILNS1_17partition_subalgoE3EjNS0_10empty_typeEbEEZZNS1_14partition_implILS8_3ELb0ES6_jNS0_17counting_iteratorIjlEEPS9_SE_NS0_5tupleIJPjSE_EEENSF_IJSE_SE_EEES9_SG_JZNS1_25segmented_radix_sort_implINS0_14default_configELb1EPKdPdPKlPlN2at6native12_GLOBAL__N_18offset_tEEE10hipError_tPvRmT1_PNSt15iterator_traitsISY_E10value_typeET2_T3_PNSZ_IS14_E10value_typeET4_jRbjT5_S1A_jjP12ihipStream_tbEUljE_EEESV_SW_SX_S14_S18_S1A_T6_T7_T9_mT8_S1C_bDpT10_ENKUlT_T0_E_clISt17integral_constantIbLb0EES1O_IbLb1EEEEDaS1K_S1L_EUlS1K_E_NS1_11comp_targetILNS1_3genE4ELNS1_11target_archE910ELNS1_3gpuE8ELNS1_3repE0EEENS1_30default_config_static_selectorELNS0_4arch9wavefront6targetE0EEEvSY_,comdat
.Lfunc_end1112:
	.size	_ZN7rocprim17ROCPRIM_400000_NS6detail17trampoline_kernelINS0_13select_configILj256ELj13ELNS0_17block_load_methodE3ELS4_3ELS4_3ELNS0_20block_scan_algorithmE0ELj4294967295EEENS1_25partition_config_selectorILNS1_17partition_subalgoE3EjNS0_10empty_typeEbEEZZNS1_14partition_implILS8_3ELb0ES6_jNS0_17counting_iteratorIjlEEPS9_SE_NS0_5tupleIJPjSE_EEENSF_IJSE_SE_EEES9_SG_JZNS1_25segmented_radix_sort_implINS0_14default_configELb1EPKdPdPKlPlN2at6native12_GLOBAL__N_18offset_tEEE10hipError_tPvRmT1_PNSt15iterator_traitsISY_E10value_typeET2_T3_PNSZ_IS14_E10value_typeET4_jRbjT5_S1A_jjP12ihipStream_tbEUljE_EEESV_SW_SX_S14_S18_S1A_T6_T7_T9_mT8_S1C_bDpT10_ENKUlT_T0_E_clISt17integral_constantIbLb0EES1O_IbLb1EEEEDaS1K_S1L_EUlS1K_E_NS1_11comp_targetILNS1_3genE4ELNS1_11target_archE910ELNS1_3gpuE8ELNS1_3repE0EEENS1_30default_config_static_selectorELNS0_4arch9wavefront6targetE0EEEvSY_, .Lfunc_end1112-_ZN7rocprim17ROCPRIM_400000_NS6detail17trampoline_kernelINS0_13select_configILj256ELj13ELNS0_17block_load_methodE3ELS4_3ELS4_3ELNS0_20block_scan_algorithmE0ELj4294967295EEENS1_25partition_config_selectorILNS1_17partition_subalgoE3EjNS0_10empty_typeEbEEZZNS1_14partition_implILS8_3ELb0ES6_jNS0_17counting_iteratorIjlEEPS9_SE_NS0_5tupleIJPjSE_EEENSF_IJSE_SE_EEES9_SG_JZNS1_25segmented_radix_sort_implINS0_14default_configELb1EPKdPdPKlPlN2at6native12_GLOBAL__N_18offset_tEEE10hipError_tPvRmT1_PNSt15iterator_traitsISY_E10value_typeET2_T3_PNSZ_IS14_E10value_typeET4_jRbjT5_S1A_jjP12ihipStream_tbEUljE_EEESV_SW_SX_S14_S18_S1A_T6_T7_T9_mT8_S1C_bDpT10_ENKUlT_T0_E_clISt17integral_constantIbLb0EES1O_IbLb1EEEEDaS1K_S1L_EUlS1K_E_NS1_11comp_targetILNS1_3genE4ELNS1_11target_archE910ELNS1_3gpuE8ELNS1_3repE0EEENS1_30default_config_static_selectorELNS0_4arch9wavefront6targetE0EEEvSY_
                                        ; -- End function
	.set _ZN7rocprim17ROCPRIM_400000_NS6detail17trampoline_kernelINS0_13select_configILj256ELj13ELNS0_17block_load_methodE3ELS4_3ELS4_3ELNS0_20block_scan_algorithmE0ELj4294967295EEENS1_25partition_config_selectorILNS1_17partition_subalgoE3EjNS0_10empty_typeEbEEZZNS1_14partition_implILS8_3ELb0ES6_jNS0_17counting_iteratorIjlEEPS9_SE_NS0_5tupleIJPjSE_EEENSF_IJSE_SE_EEES9_SG_JZNS1_25segmented_radix_sort_implINS0_14default_configELb1EPKdPdPKlPlN2at6native12_GLOBAL__N_18offset_tEEE10hipError_tPvRmT1_PNSt15iterator_traitsISY_E10value_typeET2_T3_PNSZ_IS14_E10value_typeET4_jRbjT5_S1A_jjP12ihipStream_tbEUljE_EEESV_SW_SX_S14_S18_S1A_T6_T7_T9_mT8_S1C_bDpT10_ENKUlT_T0_E_clISt17integral_constantIbLb0EES1O_IbLb1EEEEDaS1K_S1L_EUlS1K_E_NS1_11comp_targetILNS1_3genE4ELNS1_11target_archE910ELNS1_3gpuE8ELNS1_3repE0EEENS1_30default_config_static_selectorELNS0_4arch9wavefront6targetE0EEEvSY_.num_vgpr, 0
	.set _ZN7rocprim17ROCPRIM_400000_NS6detail17trampoline_kernelINS0_13select_configILj256ELj13ELNS0_17block_load_methodE3ELS4_3ELS4_3ELNS0_20block_scan_algorithmE0ELj4294967295EEENS1_25partition_config_selectorILNS1_17partition_subalgoE3EjNS0_10empty_typeEbEEZZNS1_14partition_implILS8_3ELb0ES6_jNS0_17counting_iteratorIjlEEPS9_SE_NS0_5tupleIJPjSE_EEENSF_IJSE_SE_EEES9_SG_JZNS1_25segmented_radix_sort_implINS0_14default_configELb1EPKdPdPKlPlN2at6native12_GLOBAL__N_18offset_tEEE10hipError_tPvRmT1_PNSt15iterator_traitsISY_E10value_typeET2_T3_PNSZ_IS14_E10value_typeET4_jRbjT5_S1A_jjP12ihipStream_tbEUljE_EEESV_SW_SX_S14_S18_S1A_T6_T7_T9_mT8_S1C_bDpT10_ENKUlT_T0_E_clISt17integral_constantIbLb0EES1O_IbLb1EEEEDaS1K_S1L_EUlS1K_E_NS1_11comp_targetILNS1_3genE4ELNS1_11target_archE910ELNS1_3gpuE8ELNS1_3repE0EEENS1_30default_config_static_selectorELNS0_4arch9wavefront6targetE0EEEvSY_.num_agpr, 0
	.set _ZN7rocprim17ROCPRIM_400000_NS6detail17trampoline_kernelINS0_13select_configILj256ELj13ELNS0_17block_load_methodE3ELS4_3ELS4_3ELNS0_20block_scan_algorithmE0ELj4294967295EEENS1_25partition_config_selectorILNS1_17partition_subalgoE3EjNS0_10empty_typeEbEEZZNS1_14partition_implILS8_3ELb0ES6_jNS0_17counting_iteratorIjlEEPS9_SE_NS0_5tupleIJPjSE_EEENSF_IJSE_SE_EEES9_SG_JZNS1_25segmented_radix_sort_implINS0_14default_configELb1EPKdPdPKlPlN2at6native12_GLOBAL__N_18offset_tEEE10hipError_tPvRmT1_PNSt15iterator_traitsISY_E10value_typeET2_T3_PNSZ_IS14_E10value_typeET4_jRbjT5_S1A_jjP12ihipStream_tbEUljE_EEESV_SW_SX_S14_S18_S1A_T6_T7_T9_mT8_S1C_bDpT10_ENKUlT_T0_E_clISt17integral_constantIbLb0EES1O_IbLb1EEEEDaS1K_S1L_EUlS1K_E_NS1_11comp_targetILNS1_3genE4ELNS1_11target_archE910ELNS1_3gpuE8ELNS1_3repE0EEENS1_30default_config_static_selectorELNS0_4arch9wavefront6targetE0EEEvSY_.numbered_sgpr, 0
	.set _ZN7rocprim17ROCPRIM_400000_NS6detail17trampoline_kernelINS0_13select_configILj256ELj13ELNS0_17block_load_methodE3ELS4_3ELS4_3ELNS0_20block_scan_algorithmE0ELj4294967295EEENS1_25partition_config_selectorILNS1_17partition_subalgoE3EjNS0_10empty_typeEbEEZZNS1_14partition_implILS8_3ELb0ES6_jNS0_17counting_iteratorIjlEEPS9_SE_NS0_5tupleIJPjSE_EEENSF_IJSE_SE_EEES9_SG_JZNS1_25segmented_radix_sort_implINS0_14default_configELb1EPKdPdPKlPlN2at6native12_GLOBAL__N_18offset_tEEE10hipError_tPvRmT1_PNSt15iterator_traitsISY_E10value_typeET2_T3_PNSZ_IS14_E10value_typeET4_jRbjT5_S1A_jjP12ihipStream_tbEUljE_EEESV_SW_SX_S14_S18_S1A_T6_T7_T9_mT8_S1C_bDpT10_ENKUlT_T0_E_clISt17integral_constantIbLb0EES1O_IbLb1EEEEDaS1K_S1L_EUlS1K_E_NS1_11comp_targetILNS1_3genE4ELNS1_11target_archE910ELNS1_3gpuE8ELNS1_3repE0EEENS1_30default_config_static_selectorELNS0_4arch9wavefront6targetE0EEEvSY_.num_named_barrier, 0
	.set _ZN7rocprim17ROCPRIM_400000_NS6detail17trampoline_kernelINS0_13select_configILj256ELj13ELNS0_17block_load_methodE3ELS4_3ELS4_3ELNS0_20block_scan_algorithmE0ELj4294967295EEENS1_25partition_config_selectorILNS1_17partition_subalgoE3EjNS0_10empty_typeEbEEZZNS1_14partition_implILS8_3ELb0ES6_jNS0_17counting_iteratorIjlEEPS9_SE_NS0_5tupleIJPjSE_EEENSF_IJSE_SE_EEES9_SG_JZNS1_25segmented_radix_sort_implINS0_14default_configELb1EPKdPdPKlPlN2at6native12_GLOBAL__N_18offset_tEEE10hipError_tPvRmT1_PNSt15iterator_traitsISY_E10value_typeET2_T3_PNSZ_IS14_E10value_typeET4_jRbjT5_S1A_jjP12ihipStream_tbEUljE_EEESV_SW_SX_S14_S18_S1A_T6_T7_T9_mT8_S1C_bDpT10_ENKUlT_T0_E_clISt17integral_constantIbLb0EES1O_IbLb1EEEEDaS1K_S1L_EUlS1K_E_NS1_11comp_targetILNS1_3genE4ELNS1_11target_archE910ELNS1_3gpuE8ELNS1_3repE0EEENS1_30default_config_static_selectorELNS0_4arch9wavefront6targetE0EEEvSY_.private_seg_size, 0
	.set _ZN7rocprim17ROCPRIM_400000_NS6detail17trampoline_kernelINS0_13select_configILj256ELj13ELNS0_17block_load_methodE3ELS4_3ELS4_3ELNS0_20block_scan_algorithmE0ELj4294967295EEENS1_25partition_config_selectorILNS1_17partition_subalgoE3EjNS0_10empty_typeEbEEZZNS1_14partition_implILS8_3ELb0ES6_jNS0_17counting_iteratorIjlEEPS9_SE_NS0_5tupleIJPjSE_EEENSF_IJSE_SE_EEES9_SG_JZNS1_25segmented_radix_sort_implINS0_14default_configELb1EPKdPdPKlPlN2at6native12_GLOBAL__N_18offset_tEEE10hipError_tPvRmT1_PNSt15iterator_traitsISY_E10value_typeET2_T3_PNSZ_IS14_E10value_typeET4_jRbjT5_S1A_jjP12ihipStream_tbEUljE_EEESV_SW_SX_S14_S18_S1A_T6_T7_T9_mT8_S1C_bDpT10_ENKUlT_T0_E_clISt17integral_constantIbLb0EES1O_IbLb1EEEEDaS1K_S1L_EUlS1K_E_NS1_11comp_targetILNS1_3genE4ELNS1_11target_archE910ELNS1_3gpuE8ELNS1_3repE0EEENS1_30default_config_static_selectorELNS0_4arch9wavefront6targetE0EEEvSY_.uses_vcc, 0
	.set _ZN7rocprim17ROCPRIM_400000_NS6detail17trampoline_kernelINS0_13select_configILj256ELj13ELNS0_17block_load_methodE3ELS4_3ELS4_3ELNS0_20block_scan_algorithmE0ELj4294967295EEENS1_25partition_config_selectorILNS1_17partition_subalgoE3EjNS0_10empty_typeEbEEZZNS1_14partition_implILS8_3ELb0ES6_jNS0_17counting_iteratorIjlEEPS9_SE_NS0_5tupleIJPjSE_EEENSF_IJSE_SE_EEES9_SG_JZNS1_25segmented_radix_sort_implINS0_14default_configELb1EPKdPdPKlPlN2at6native12_GLOBAL__N_18offset_tEEE10hipError_tPvRmT1_PNSt15iterator_traitsISY_E10value_typeET2_T3_PNSZ_IS14_E10value_typeET4_jRbjT5_S1A_jjP12ihipStream_tbEUljE_EEESV_SW_SX_S14_S18_S1A_T6_T7_T9_mT8_S1C_bDpT10_ENKUlT_T0_E_clISt17integral_constantIbLb0EES1O_IbLb1EEEEDaS1K_S1L_EUlS1K_E_NS1_11comp_targetILNS1_3genE4ELNS1_11target_archE910ELNS1_3gpuE8ELNS1_3repE0EEENS1_30default_config_static_selectorELNS0_4arch9wavefront6targetE0EEEvSY_.uses_flat_scratch, 0
	.set _ZN7rocprim17ROCPRIM_400000_NS6detail17trampoline_kernelINS0_13select_configILj256ELj13ELNS0_17block_load_methodE3ELS4_3ELS4_3ELNS0_20block_scan_algorithmE0ELj4294967295EEENS1_25partition_config_selectorILNS1_17partition_subalgoE3EjNS0_10empty_typeEbEEZZNS1_14partition_implILS8_3ELb0ES6_jNS0_17counting_iteratorIjlEEPS9_SE_NS0_5tupleIJPjSE_EEENSF_IJSE_SE_EEES9_SG_JZNS1_25segmented_radix_sort_implINS0_14default_configELb1EPKdPdPKlPlN2at6native12_GLOBAL__N_18offset_tEEE10hipError_tPvRmT1_PNSt15iterator_traitsISY_E10value_typeET2_T3_PNSZ_IS14_E10value_typeET4_jRbjT5_S1A_jjP12ihipStream_tbEUljE_EEESV_SW_SX_S14_S18_S1A_T6_T7_T9_mT8_S1C_bDpT10_ENKUlT_T0_E_clISt17integral_constantIbLb0EES1O_IbLb1EEEEDaS1K_S1L_EUlS1K_E_NS1_11comp_targetILNS1_3genE4ELNS1_11target_archE910ELNS1_3gpuE8ELNS1_3repE0EEENS1_30default_config_static_selectorELNS0_4arch9wavefront6targetE0EEEvSY_.has_dyn_sized_stack, 0
	.set _ZN7rocprim17ROCPRIM_400000_NS6detail17trampoline_kernelINS0_13select_configILj256ELj13ELNS0_17block_load_methodE3ELS4_3ELS4_3ELNS0_20block_scan_algorithmE0ELj4294967295EEENS1_25partition_config_selectorILNS1_17partition_subalgoE3EjNS0_10empty_typeEbEEZZNS1_14partition_implILS8_3ELb0ES6_jNS0_17counting_iteratorIjlEEPS9_SE_NS0_5tupleIJPjSE_EEENSF_IJSE_SE_EEES9_SG_JZNS1_25segmented_radix_sort_implINS0_14default_configELb1EPKdPdPKlPlN2at6native12_GLOBAL__N_18offset_tEEE10hipError_tPvRmT1_PNSt15iterator_traitsISY_E10value_typeET2_T3_PNSZ_IS14_E10value_typeET4_jRbjT5_S1A_jjP12ihipStream_tbEUljE_EEESV_SW_SX_S14_S18_S1A_T6_T7_T9_mT8_S1C_bDpT10_ENKUlT_T0_E_clISt17integral_constantIbLb0EES1O_IbLb1EEEEDaS1K_S1L_EUlS1K_E_NS1_11comp_targetILNS1_3genE4ELNS1_11target_archE910ELNS1_3gpuE8ELNS1_3repE0EEENS1_30default_config_static_selectorELNS0_4arch9wavefront6targetE0EEEvSY_.has_recursion, 0
	.set _ZN7rocprim17ROCPRIM_400000_NS6detail17trampoline_kernelINS0_13select_configILj256ELj13ELNS0_17block_load_methodE3ELS4_3ELS4_3ELNS0_20block_scan_algorithmE0ELj4294967295EEENS1_25partition_config_selectorILNS1_17partition_subalgoE3EjNS0_10empty_typeEbEEZZNS1_14partition_implILS8_3ELb0ES6_jNS0_17counting_iteratorIjlEEPS9_SE_NS0_5tupleIJPjSE_EEENSF_IJSE_SE_EEES9_SG_JZNS1_25segmented_radix_sort_implINS0_14default_configELb1EPKdPdPKlPlN2at6native12_GLOBAL__N_18offset_tEEE10hipError_tPvRmT1_PNSt15iterator_traitsISY_E10value_typeET2_T3_PNSZ_IS14_E10value_typeET4_jRbjT5_S1A_jjP12ihipStream_tbEUljE_EEESV_SW_SX_S14_S18_S1A_T6_T7_T9_mT8_S1C_bDpT10_ENKUlT_T0_E_clISt17integral_constantIbLb0EES1O_IbLb1EEEEDaS1K_S1L_EUlS1K_E_NS1_11comp_targetILNS1_3genE4ELNS1_11target_archE910ELNS1_3gpuE8ELNS1_3repE0EEENS1_30default_config_static_selectorELNS0_4arch9wavefront6targetE0EEEvSY_.has_indirect_call, 0
	.section	.AMDGPU.csdata,"",@progbits
; Kernel info:
; codeLenInByte = 0
; TotalNumSgprs: 0
; NumVgprs: 0
; ScratchSize: 0
; MemoryBound: 0
; FloatMode: 240
; IeeeMode: 1
; LDSByteSize: 0 bytes/workgroup (compile time only)
; SGPRBlocks: 0
; VGPRBlocks: 0
; NumSGPRsForWavesPerEU: 1
; NumVGPRsForWavesPerEU: 1
; Occupancy: 16
; WaveLimiterHint : 0
; COMPUTE_PGM_RSRC2:SCRATCH_EN: 0
; COMPUTE_PGM_RSRC2:USER_SGPR: 2
; COMPUTE_PGM_RSRC2:TRAP_HANDLER: 0
; COMPUTE_PGM_RSRC2:TGID_X_EN: 1
; COMPUTE_PGM_RSRC2:TGID_Y_EN: 0
; COMPUTE_PGM_RSRC2:TGID_Z_EN: 0
; COMPUTE_PGM_RSRC2:TIDIG_COMP_CNT: 0
	.section	.text._ZN7rocprim17ROCPRIM_400000_NS6detail17trampoline_kernelINS0_13select_configILj256ELj13ELNS0_17block_load_methodE3ELS4_3ELS4_3ELNS0_20block_scan_algorithmE0ELj4294967295EEENS1_25partition_config_selectorILNS1_17partition_subalgoE3EjNS0_10empty_typeEbEEZZNS1_14partition_implILS8_3ELb0ES6_jNS0_17counting_iteratorIjlEEPS9_SE_NS0_5tupleIJPjSE_EEENSF_IJSE_SE_EEES9_SG_JZNS1_25segmented_radix_sort_implINS0_14default_configELb1EPKdPdPKlPlN2at6native12_GLOBAL__N_18offset_tEEE10hipError_tPvRmT1_PNSt15iterator_traitsISY_E10value_typeET2_T3_PNSZ_IS14_E10value_typeET4_jRbjT5_S1A_jjP12ihipStream_tbEUljE_EEESV_SW_SX_S14_S18_S1A_T6_T7_T9_mT8_S1C_bDpT10_ENKUlT_T0_E_clISt17integral_constantIbLb0EES1O_IbLb1EEEEDaS1K_S1L_EUlS1K_E_NS1_11comp_targetILNS1_3genE3ELNS1_11target_archE908ELNS1_3gpuE7ELNS1_3repE0EEENS1_30default_config_static_selectorELNS0_4arch9wavefront6targetE0EEEvSY_,"axG",@progbits,_ZN7rocprim17ROCPRIM_400000_NS6detail17trampoline_kernelINS0_13select_configILj256ELj13ELNS0_17block_load_methodE3ELS4_3ELS4_3ELNS0_20block_scan_algorithmE0ELj4294967295EEENS1_25partition_config_selectorILNS1_17partition_subalgoE3EjNS0_10empty_typeEbEEZZNS1_14partition_implILS8_3ELb0ES6_jNS0_17counting_iteratorIjlEEPS9_SE_NS0_5tupleIJPjSE_EEENSF_IJSE_SE_EEES9_SG_JZNS1_25segmented_radix_sort_implINS0_14default_configELb1EPKdPdPKlPlN2at6native12_GLOBAL__N_18offset_tEEE10hipError_tPvRmT1_PNSt15iterator_traitsISY_E10value_typeET2_T3_PNSZ_IS14_E10value_typeET4_jRbjT5_S1A_jjP12ihipStream_tbEUljE_EEESV_SW_SX_S14_S18_S1A_T6_T7_T9_mT8_S1C_bDpT10_ENKUlT_T0_E_clISt17integral_constantIbLb0EES1O_IbLb1EEEEDaS1K_S1L_EUlS1K_E_NS1_11comp_targetILNS1_3genE3ELNS1_11target_archE908ELNS1_3gpuE7ELNS1_3repE0EEENS1_30default_config_static_selectorELNS0_4arch9wavefront6targetE0EEEvSY_,comdat
	.globl	_ZN7rocprim17ROCPRIM_400000_NS6detail17trampoline_kernelINS0_13select_configILj256ELj13ELNS0_17block_load_methodE3ELS4_3ELS4_3ELNS0_20block_scan_algorithmE0ELj4294967295EEENS1_25partition_config_selectorILNS1_17partition_subalgoE3EjNS0_10empty_typeEbEEZZNS1_14partition_implILS8_3ELb0ES6_jNS0_17counting_iteratorIjlEEPS9_SE_NS0_5tupleIJPjSE_EEENSF_IJSE_SE_EEES9_SG_JZNS1_25segmented_radix_sort_implINS0_14default_configELb1EPKdPdPKlPlN2at6native12_GLOBAL__N_18offset_tEEE10hipError_tPvRmT1_PNSt15iterator_traitsISY_E10value_typeET2_T3_PNSZ_IS14_E10value_typeET4_jRbjT5_S1A_jjP12ihipStream_tbEUljE_EEESV_SW_SX_S14_S18_S1A_T6_T7_T9_mT8_S1C_bDpT10_ENKUlT_T0_E_clISt17integral_constantIbLb0EES1O_IbLb1EEEEDaS1K_S1L_EUlS1K_E_NS1_11comp_targetILNS1_3genE3ELNS1_11target_archE908ELNS1_3gpuE7ELNS1_3repE0EEENS1_30default_config_static_selectorELNS0_4arch9wavefront6targetE0EEEvSY_ ; -- Begin function _ZN7rocprim17ROCPRIM_400000_NS6detail17trampoline_kernelINS0_13select_configILj256ELj13ELNS0_17block_load_methodE3ELS4_3ELS4_3ELNS0_20block_scan_algorithmE0ELj4294967295EEENS1_25partition_config_selectorILNS1_17partition_subalgoE3EjNS0_10empty_typeEbEEZZNS1_14partition_implILS8_3ELb0ES6_jNS0_17counting_iteratorIjlEEPS9_SE_NS0_5tupleIJPjSE_EEENSF_IJSE_SE_EEES9_SG_JZNS1_25segmented_radix_sort_implINS0_14default_configELb1EPKdPdPKlPlN2at6native12_GLOBAL__N_18offset_tEEE10hipError_tPvRmT1_PNSt15iterator_traitsISY_E10value_typeET2_T3_PNSZ_IS14_E10value_typeET4_jRbjT5_S1A_jjP12ihipStream_tbEUljE_EEESV_SW_SX_S14_S18_S1A_T6_T7_T9_mT8_S1C_bDpT10_ENKUlT_T0_E_clISt17integral_constantIbLb0EES1O_IbLb1EEEEDaS1K_S1L_EUlS1K_E_NS1_11comp_targetILNS1_3genE3ELNS1_11target_archE908ELNS1_3gpuE7ELNS1_3repE0EEENS1_30default_config_static_selectorELNS0_4arch9wavefront6targetE0EEEvSY_
	.p2align	8
	.type	_ZN7rocprim17ROCPRIM_400000_NS6detail17trampoline_kernelINS0_13select_configILj256ELj13ELNS0_17block_load_methodE3ELS4_3ELS4_3ELNS0_20block_scan_algorithmE0ELj4294967295EEENS1_25partition_config_selectorILNS1_17partition_subalgoE3EjNS0_10empty_typeEbEEZZNS1_14partition_implILS8_3ELb0ES6_jNS0_17counting_iteratorIjlEEPS9_SE_NS0_5tupleIJPjSE_EEENSF_IJSE_SE_EEES9_SG_JZNS1_25segmented_radix_sort_implINS0_14default_configELb1EPKdPdPKlPlN2at6native12_GLOBAL__N_18offset_tEEE10hipError_tPvRmT1_PNSt15iterator_traitsISY_E10value_typeET2_T3_PNSZ_IS14_E10value_typeET4_jRbjT5_S1A_jjP12ihipStream_tbEUljE_EEESV_SW_SX_S14_S18_S1A_T6_T7_T9_mT8_S1C_bDpT10_ENKUlT_T0_E_clISt17integral_constantIbLb0EES1O_IbLb1EEEEDaS1K_S1L_EUlS1K_E_NS1_11comp_targetILNS1_3genE3ELNS1_11target_archE908ELNS1_3gpuE7ELNS1_3repE0EEENS1_30default_config_static_selectorELNS0_4arch9wavefront6targetE0EEEvSY_,@function
_ZN7rocprim17ROCPRIM_400000_NS6detail17trampoline_kernelINS0_13select_configILj256ELj13ELNS0_17block_load_methodE3ELS4_3ELS4_3ELNS0_20block_scan_algorithmE0ELj4294967295EEENS1_25partition_config_selectorILNS1_17partition_subalgoE3EjNS0_10empty_typeEbEEZZNS1_14partition_implILS8_3ELb0ES6_jNS0_17counting_iteratorIjlEEPS9_SE_NS0_5tupleIJPjSE_EEENSF_IJSE_SE_EEES9_SG_JZNS1_25segmented_radix_sort_implINS0_14default_configELb1EPKdPdPKlPlN2at6native12_GLOBAL__N_18offset_tEEE10hipError_tPvRmT1_PNSt15iterator_traitsISY_E10value_typeET2_T3_PNSZ_IS14_E10value_typeET4_jRbjT5_S1A_jjP12ihipStream_tbEUljE_EEESV_SW_SX_S14_S18_S1A_T6_T7_T9_mT8_S1C_bDpT10_ENKUlT_T0_E_clISt17integral_constantIbLb0EES1O_IbLb1EEEEDaS1K_S1L_EUlS1K_E_NS1_11comp_targetILNS1_3genE3ELNS1_11target_archE908ELNS1_3gpuE7ELNS1_3repE0EEENS1_30default_config_static_selectorELNS0_4arch9wavefront6targetE0EEEvSY_: ; @_ZN7rocprim17ROCPRIM_400000_NS6detail17trampoline_kernelINS0_13select_configILj256ELj13ELNS0_17block_load_methodE3ELS4_3ELS4_3ELNS0_20block_scan_algorithmE0ELj4294967295EEENS1_25partition_config_selectorILNS1_17partition_subalgoE3EjNS0_10empty_typeEbEEZZNS1_14partition_implILS8_3ELb0ES6_jNS0_17counting_iteratorIjlEEPS9_SE_NS0_5tupleIJPjSE_EEENSF_IJSE_SE_EEES9_SG_JZNS1_25segmented_radix_sort_implINS0_14default_configELb1EPKdPdPKlPlN2at6native12_GLOBAL__N_18offset_tEEE10hipError_tPvRmT1_PNSt15iterator_traitsISY_E10value_typeET2_T3_PNSZ_IS14_E10value_typeET4_jRbjT5_S1A_jjP12ihipStream_tbEUljE_EEESV_SW_SX_S14_S18_S1A_T6_T7_T9_mT8_S1C_bDpT10_ENKUlT_T0_E_clISt17integral_constantIbLb0EES1O_IbLb1EEEEDaS1K_S1L_EUlS1K_E_NS1_11comp_targetILNS1_3genE3ELNS1_11target_archE908ELNS1_3gpuE7ELNS1_3repE0EEENS1_30default_config_static_selectorELNS0_4arch9wavefront6targetE0EEEvSY_
; %bb.0:
	.section	.rodata,"a",@progbits
	.p2align	6, 0x0
	.amdhsa_kernel _ZN7rocprim17ROCPRIM_400000_NS6detail17trampoline_kernelINS0_13select_configILj256ELj13ELNS0_17block_load_methodE3ELS4_3ELS4_3ELNS0_20block_scan_algorithmE0ELj4294967295EEENS1_25partition_config_selectorILNS1_17partition_subalgoE3EjNS0_10empty_typeEbEEZZNS1_14partition_implILS8_3ELb0ES6_jNS0_17counting_iteratorIjlEEPS9_SE_NS0_5tupleIJPjSE_EEENSF_IJSE_SE_EEES9_SG_JZNS1_25segmented_radix_sort_implINS0_14default_configELb1EPKdPdPKlPlN2at6native12_GLOBAL__N_18offset_tEEE10hipError_tPvRmT1_PNSt15iterator_traitsISY_E10value_typeET2_T3_PNSZ_IS14_E10value_typeET4_jRbjT5_S1A_jjP12ihipStream_tbEUljE_EEESV_SW_SX_S14_S18_S1A_T6_T7_T9_mT8_S1C_bDpT10_ENKUlT_T0_E_clISt17integral_constantIbLb0EES1O_IbLb1EEEEDaS1K_S1L_EUlS1K_E_NS1_11comp_targetILNS1_3genE3ELNS1_11target_archE908ELNS1_3gpuE7ELNS1_3repE0EEENS1_30default_config_static_selectorELNS0_4arch9wavefront6targetE0EEEvSY_
		.amdhsa_group_segment_fixed_size 0
		.amdhsa_private_segment_fixed_size 0
		.amdhsa_kernarg_size 152
		.amdhsa_user_sgpr_count 2
		.amdhsa_user_sgpr_dispatch_ptr 0
		.amdhsa_user_sgpr_queue_ptr 0
		.amdhsa_user_sgpr_kernarg_segment_ptr 1
		.amdhsa_user_sgpr_dispatch_id 0
		.amdhsa_user_sgpr_private_segment_size 0
		.amdhsa_wavefront_size32 1
		.amdhsa_uses_dynamic_stack 0
		.amdhsa_enable_private_segment 0
		.amdhsa_system_sgpr_workgroup_id_x 1
		.amdhsa_system_sgpr_workgroup_id_y 0
		.amdhsa_system_sgpr_workgroup_id_z 0
		.amdhsa_system_sgpr_workgroup_info 0
		.amdhsa_system_vgpr_workitem_id 0
		.amdhsa_next_free_vgpr 1
		.amdhsa_next_free_sgpr 1
		.amdhsa_reserve_vcc 0
		.amdhsa_float_round_mode_32 0
		.amdhsa_float_round_mode_16_64 0
		.amdhsa_float_denorm_mode_32 3
		.amdhsa_float_denorm_mode_16_64 3
		.amdhsa_fp16_overflow 0
		.amdhsa_workgroup_processor_mode 1
		.amdhsa_memory_ordered 1
		.amdhsa_forward_progress 1
		.amdhsa_inst_pref_size 0
		.amdhsa_round_robin_scheduling 0
		.amdhsa_exception_fp_ieee_invalid_op 0
		.amdhsa_exception_fp_denorm_src 0
		.amdhsa_exception_fp_ieee_div_zero 0
		.amdhsa_exception_fp_ieee_overflow 0
		.amdhsa_exception_fp_ieee_underflow 0
		.amdhsa_exception_fp_ieee_inexact 0
		.amdhsa_exception_int_div_zero 0
	.end_amdhsa_kernel
	.section	.text._ZN7rocprim17ROCPRIM_400000_NS6detail17trampoline_kernelINS0_13select_configILj256ELj13ELNS0_17block_load_methodE3ELS4_3ELS4_3ELNS0_20block_scan_algorithmE0ELj4294967295EEENS1_25partition_config_selectorILNS1_17partition_subalgoE3EjNS0_10empty_typeEbEEZZNS1_14partition_implILS8_3ELb0ES6_jNS0_17counting_iteratorIjlEEPS9_SE_NS0_5tupleIJPjSE_EEENSF_IJSE_SE_EEES9_SG_JZNS1_25segmented_radix_sort_implINS0_14default_configELb1EPKdPdPKlPlN2at6native12_GLOBAL__N_18offset_tEEE10hipError_tPvRmT1_PNSt15iterator_traitsISY_E10value_typeET2_T3_PNSZ_IS14_E10value_typeET4_jRbjT5_S1A_jjP12ihipStream_tbEUljE_EEESV_SW_SX_S14_S18_S1A_T6_T7_T9_mT8_S1C_bDpT10_ENKUlT_T0_E_clISt17integral_constantIbLb0EES1O_IbLb1EEEEDaS1K_S1L_EUlS1K_E_NS1_11comp_targetILNS1_3genE3ELNS1_11target_archE908ELNS1_3gpuE7ELNS1_3repE0EEENS1_30default_config_static_selectorELNS0_4arch9wavefront6targetE0EEEvSY_,"axG",@progbits,_ZN7rocprim17ROCPRIM_400000_NS6detail17trampoline_kernelINS0_13select_configILj256ELj13ELNS0_17block_load_methodE3ELS4_3ELS4_3ELNS0_20block_scan_algorithmE0ELj4294967295EEENS1_25partition_config_selectorILNS1_17partition_subalgoE3EjNS0_10empty_typeEbEEZZNS1_14partition_implILS8_3ELb0ES6_jNS0_17counting_iteratorIjlEEPS9_SE_NS0_5tupleIJPjSE_EEENSF_IJSE_SE_EEES9_SG_JZNS1_25segmented_radix_sort_implINS0_14default_configELb1EPKdPdPKlPlN2at6native12_GLOBAL__N_18offset_tEEE10hipError_tPvRmT1_PNSt15iterator_traitsISY_E10value_typeET2_T3_PNSZ_IS14_E10value_typeET4_jRbjT5_S1A_jjP12ihipStream_tbEUljE_EEESV_SW_SX_S14_S18_S1A_T6_T7_T9_mT8_S1C_bDpT10_ENKUlT_T0_E_clISt17integral_constantIbLb0EES1O_IbLb1EEEEDaS1K_S1L_EUlS1K_E_NS1_11comp_targetILNS1_3genE3ELNS1_11target_archE908ELNS1_3gpuE7ELNS1_3repE0EEENS1_30default_config_static_selectorELNS0_4arch9wavefront6targetE0EEEvSY_,comdat
.Lfunc_end1113:
	.size	_ZN7rocprim17ROCPRIM_400000_NS6detail17trampoline_kernelINS0_13select_configILj256ELj13ELNS0_17block_load_methodE3ELS4_3ELS4_3ELNS0_20block_scan_algorithmE0ELj4294967295EEENS1_25partition_config_selectorILNS1_17partition_subalgoE3EjNS0_10empty_typeEbEEZZNS1_14partition_implILS8_3ELb0ES6_jNS0_17counting_iteratorIjlEEPS9_SE_NS0_5tupleIJPjSE_EEENSF_IJSE_SE_EEES9_SG_JZNS1_25segmented_radix_sort_implINS0_14default_configELb1EPKdPdPKlPlN2at6native12_GLOBAL__N_18offset_tEEE10hipError_tPvRmT1_PNSt15iterator_traitsISY_E10value_typeET2_T3_PNSZ_IS14_E10value_typeET4_jRbjT5_S1A_jjP12ihipStream_tbEUljE_EEESV_SW_SX_S14_S18_S1A_T6_T7_T9_mT8_S1C_bDpT10_ENKUlT_T0_E_clISt17integral_constantIbLb0EES1O_IbLb1EEEEDaS1K_S1L_EUlS1K_E_NS1_11comp_targetILNS1_3genE3ELNS1_11target_archE908ELNS1_3gpuE7ELNS1_3repE0EEENS1_30default_config_static_selectorELNS0_4arch9wavefront6targetE0EEEvSY_, .Lfunc_end1113-_ZN7rocprim17ROCPRIM_400000_NS6detail17trampoline_kernelINS0_13select_configILj256ELj13ELNS0_17block_load_methodE3ELS4_3ELS4_3ELNS0_20block_scan_algorithmE0ELj4294967295EEENS1_25partition_config_selectorILNS1_17partition_subalgoE3EjNS0_10empty_typeEbEEZZNS1_14partition_implILS8_3ELb0ES6_jNS0_17counting_iteratorIjlEEPS9_SE_NS0_5tupleIJPjSE_EEENSF_IJSE_SE_EEES9_SG_JZNS1_25segmented_radix_sort_implINS0_14default_configELb1EPKdPdPKlPlN2at6native12_GLOBAL__N_18offset_tEEE10hipError_tPvRmT1_PNSt15iterator_traitsISY_E10value_typeET2_T3_PNSZ_IS14_E10value_typeET4_jRbjT5_S1A_jjP12ihipStream_tbEUljE_EEESV_SW_SX_S14_S18_S1A_T6_T7_T9_mT8_S1C_bDpT10_ENKUlT_T0_E_clISt17integral_constantIbLb0EES1O_IbLb1EEEEDaS1K_S1L_EUlS1K_E_NS1_11comp_targetILNS1_3genE3ELNS1_11target_archE908ELNS1_3gpuE7ELNS1_3repE0EEENS1_30default_config_static_selectorELNS0_4arch9wavefront6targetE0EEEvSY_
                                        ; -- End function
	.set _ZN7rocprim17ROCPRIM_400000_NS6detail17trampoline_kernelINS0_13select_configILj256ELj13ELNS0_17block_load_methodE3ELS4_3ELS4_3ELNS0_20block_scan_algorithmE0ELj4294967295EEENS1_25partition_config_selectorILNS1_17partition_subalgoE3EjNS0_10empty_typeEbEEZZNS1_14partition_implILS8_3ELb0ES6_jNS0_17counting_iteratorIjlEEPS9_SE_NS0_5tupleIJPjSE_EEENSF_IJSE_SE_EEES9_SG_JZNS1_25segmented_radix_sort_implINS0_14default_configELb1EPKdPdPKlPlN2at6native12_GLOBAL__N_18offset_tEEE10hipError_tPvRmT1_PNSt15iterator_traitsISY_E10value_typeET2_T3_PNSZ_IS14_E10value_typeET4_jRbjT5_S1A_jjP12ihipStream_tbEUljE_EEESV_SW_SX_S14_S18_S1A_T6_T7_T9_mT8_S1C_bDpT10_ENKUlT_T0_E_clISt17integral_constantIbLb0EES1O_IbLb1EEEEDaS1K_S1L_EUlS1K_E_NS1_11comp_targetILNS1_3genE3ELNS1_11target_archE908ELNS1_3gpuE7ELNS1_3repE0EEENS1_30default_config_static_selectorELNS0_4arch9wavefront6targetE0EEEvSY_.num_vgpr, 0
	.set _ZN7rocprim17ROCPRIM_400000_NS6detail17trampoline_kernelINS0_13select_configILj256ELj13ELNS0_17block_load_methodE3ELS4_3ELS4_3ELNS0_20block_scan_algorithmE0ELj4294967295EEENS1_25partition_config_selectorILNS1_17partition_subalgoE3EjNS0_10empty_typeEbEEZZNS1_14partition_implILS8_3ELb0ES6_jNS0_17counting_iteratorIjlEEPS9_SE_NS0_5tupleIJPjSE_EEENSF_IJSE_SE_EEES9_SG_JZNS1_25segmented_radix_sort_implINS0_14default_configELb1EPKdPdPKlPlN2at6native12_GLOBAL__N_18offset_tEEE10hipError_tPvRmT1_PNSt15iterator_traitsISY_E10value_typeET2_T3_PNSZ_IS14_E10value_typeET4_jRbjT5_S1A_jjP12ihipStream_tbEUljE_EEESV_SW_SX_S14_S18_S1A_T6_T7_T9_mT8_S1C_bDpT10_ENKUlT_T0_E_clISt17integral_constantIbLb0EES1O_IbLb1EEEEDaS1K_S1L_EUlS1K_E_NS1_11comp_targetILNS1_3genE3ELNS1_11target_archE908ELNS1_3gpuE7ELNS1_3repE0EEENS1_30default_config_static_selectorELNS0_4arch9wavefront6targetE0EEEvSY_.num_agpr, 0
	.set _ZN7rocprim17ROCPRIM_400000_NS6detail17trampoline_kernelINS0_13select_configILj256ELj13ELNS0_17block_load_methodE3ELS4_3ELS4_3ELNS0_20block_scan_algorithmE0ELj4294967295EEENS1_25partition_config_selectorILNS1_17partition_subalgoE3EjNS0_10empty_typeEbEEZZNS1_14partition_implILS8_3ELb0ES6_jNS0_17counting_iteratorIjlEEPS9_SE_NS0_5tupleIJPjSE_EEENSF_IJSE_SE_EEES9_SG_JZNS1_25segmented_radix_sort_implINS0_14default_configELb1EPKdPdPKlPlN2at6native12_GLOBAL__N_18offset_tEEE10hipError_tPvRmT1_PNSt15iterator_traitsISY_E10value_typeET2_T3_PNSZ_IS14_E10value_typeET4_jRbjT5_S1A_jjP12ihipStream_tbEUljE_EEESV_SW_SX_S14_S18_S1A_T6_T7_T9_mT8_S1C_bDpT10_ENKUlT_T0_E_clISt17integral_constantIbLb0EES1O_IbLb1EEEEDaS1K_S1L_EUlS1K_E_NS1_11comp_targetILNS1_3genE3ELNS1_11target_archE908ELNS1_3gpuE7ELNS1_3repE0EEENS1_30default_config_static_selectorELNS0_4arch9wavefront6targetE0EEEvSY_.numbered_sgpr, 0
	.set _ZN7rocprim17ROCPRIM_400000_NS6detail17trampoline_kernelINS0_13select_configILj256ELj13ELNS0_17block_load_methodE3ELS4_3ELS4_3ELNS0_20block_scan_algorithmE0ELj4294967295EEENS1_25partition_config_selectorILNS1_17partition_subalgoE3EjNS0_10empty_typeEbEEZZNS1_14partition_implILS8_3ELb0ES6_jNS0_17counting_iteratorIjlEEPS9_SE_NS0_5tupleIJPjSE_EEENSF_IJSE_SE_EEES9_SG_JZNS1_25segmented_radix_sort_implINS0_14default_configELb1EPKdPdPKlPlN2at6native12_GLOBAL__N_18offset_tEEE10hipError_tPvRmT1_PNSt15iterator_traitsISY_E10value_typeET2_T3_PNSZ_IS14_E10value_typeET4_jRbjT5_S1A_jjP12ihipStream_tbEUljE_EEESV_SW_SX_S14_S18_S1A_T6_T7_T9_mT8_S1C_bDpT10_ENKUlT_T0_E_clISt17integral_constantIbLb0EES1O_IbLb1EEEEDaS1K_S1L_EUlS1K_E_NS1_11comp_targetILNS1_3genE3ELNS1_11target_archE908ELNS1_3gpuE7ELNS1_3repE0EEENS1_30default_config_static_selectorELNS0_4arch9wavefront6targetE0EEEvSY_.num_named_barrier, 0
	.set _ZN7rocprim17ROCPRIM_400000_NS6detail17trampoline_kernelINS0_13select_configILj256ELj13ELNS0_17block_load_methodE3ELS4_3ELS4_3ELNS0_20block_scan_algorithmE0ELj4294967295EEENS1_25partition_config_selectorILNS1_17partition_subalgoE3EjNS0_10empty_typeEbEEZZNS1_14partition_implILS8_3ELb0ES6_jNS0_17counting_iteratorIjlEEPS9_SE_NS0_5tupleIJPjSE_EEENSF_IJSE_SE_EEES9_SG_JZNS1_25segmented_radix_sort_implINS0_14default_configELb1EPKdPdPKlPlN2at6native12_GLOBAL__N_18offset_tEEE10hipError_tPvRmT1_PNSt15iterator_traitsISY_E10value_typeET2_T3_PNSZ_IS14_E10value_typeET4_jRbjT5_S1A_jjP12ihipStream_tbEUljE_EEESV_SW_SX_S14_S18_S1A_T6_T7_T9_mT8_S1C_bDpT10_ENKUlT_T0_E_clISt17integral_constantIbLb0EES1O_IbLb1EEEEDaS1K_S1L_EUlS1K_E_NS1_11comp_targetILNS1_3genE3ELNS1_11target_archE908ELNS1_3gpuE7ELNS1_3repE0EEENS1_30default_config_static_selectorELNS0_4arch9wavefront6targetE0EEEvSY_.private_seg_size, 0
	.set _ZN7rocprim17ROCPRIM_400000_NS6detail17trampoline_kernelINS0_13select_configILj256ELj13ELNS0_17block_load_methodE3ELS4_3ELS4_3ELNS0_20block_scan_algorithmE0ELj4294967295EEENS1_25partition_config_selectorILNS1_17partition_subalgoE3EjNS0_10empty_typeEbEEZZNS1_14partition_implILS8_3ELb0ES6_jNS0_17counting_iteratorIjlEEPS9_SE_NS0_5tupleIJPjSE_EEENSF_IJSE_SE_EEES9_SG_JZNS1_25segmented_radix_sort_implINS0_14default_configELb1EPKdPdPKlPlN2at6native12_GLOBAL__N_18offset_tEEE10hipError_tPvRmT1_PNSt15iterator_traitsISY_E10value_typeET2_T3_PNSZ_IS14_E10value_typeET4_jRbjT5_S1A_jjP12ihipStream_tbEUljE_EEESV_SW_SX_S14_S18_S1A_T6_T7_T9_mT8_S1C_bDpT10_ENKUlT_T0_E_clISt17integral_constantIbLb0EES1O_IbLb1EEEEDaS1K_S1L_EUlS1K_E_NS1_11comp_targetILNS1_3genE3ELNS1_11target_archE908ELNS1_3gpuE7ELNS1_3repE0EEENS1_30default_config_static_selectorELNS0_4arch9wavefront6targetE0EEEvSY_.uses_vcc, 0
	.set _ZN7rocprim17ROCPRIM_400000_NS6detail17trampoline_kernelINS0_13select_configILj256ELj13ELNS0_17block_load_methodE3ELS4_3ELS4_3ELNS0_20block_scan_algorithmE0ELj4294967295EEENS1_25partition_config_selectorILNS1_17partition_subalgoE3EjNS0_10empty_typeEbEEZZNS1_14partition_implILS8_3ELb0ES6_jNS0_17counting_iteratorIjlEEPS9_SE_NS0_5tupleIJPjSE_EEENSF_IJSE_SE_EEES9_SG_JZNS1_25segmented_radix_sort_implINS0_14default_configELb1EPKdPdPKlPlN2at6native12_GLOBAL__N_18offset_tEEE10hipError_tPvRmT1_PNSt15iterator_traitsISY_E10value_typeET2_T3_PNSZ_IS14_E10value_typeET4_jRbjT5_S1A_jjP12ihipStream_tbEUljE_EEESV_SW_SX_S14_S18_S1A_T6_T7_T9_mT8_S1C_bDpT10_ENKUlT_T0_E_clISt17integral_constantIbLb0EES1O_IbLb1EEEEDaS1K_S1L_EUlS1K_E_NS1_11comp_targetILNS1_3genE3ELNS1_11target_archE908ELNS1_3gpuE7ELNS1_3repE0EEENS1_30default_config_static_selectorELNS0_4arch9wavefront6targetE0EEEvSY_.uses_flat_scratch, 0
	.set _ZN7rocprim17ROCPRIM_400000_NS6detail17trampoline_kernelINS0_13select_configILj256ELj13ELNS0_17block_load_methodE3ELS4_3ELS4_3ELNS0_20block_scan_algorithmE0ELj4294967295EEENS1_25partition_config_selectorILNS1_17partition_subalgoE3EjNS0_10empty_typeEbEEZZNS1_14partition_implILS8_3ELb0ES6_jNS0_17counting_iteratorIjlEEPS9_SE_NS0_5tupleIJPjSE_EEENSF_IJSE_SE_EEES9_SG_JZNS1_25segmented_radix_sort_implINS0_14default_configELb1EPKdPdPKlPlN2at6native12_GLOBAL__N_18offset_tEEE10hipError_tPvRmT1_PNSt15iterator_traitsISY_E10value_typeET2_T3_PNSZ_IS14_E10value_typeET4_jRbjT5_S1A_jjP12ihipStream_tbEUljE_EEESV_SW_SX_S14_S18_S1A_T6_T7_T9_mT8_S1C_bDpT10_ENKUlT_T0_E_clISt17integral_constantIbLb0EES1O_IbLb1EEEEDaS1K_S1L_EUlS1K_E_NS1_11comp_targetILNS1_3genE3ELNS1_11target_archE908ELNS1_3gpuE7ELNS1_3repE0EEENS1_30default_config_static_selectorELNS0_4arch9wavefront6targetE0EEEvSY_.has_dyn_sized_stack, 0
	.set _ZN7rocprim17ROCPRIM_400000_NS6detail17trampoline_kernelINS0_13select_configILj256ELj13ELNS0_17block_load_methodE3ELS4_3ELS4_3ELNS0_20block_scan_algorithmE0ELj4294967295EEENS1_25partition_config_selectorILNS1_17partition_subalgoE3EjNS0_10empty_typeEbEEZZNS1_14partition_implILS8_3ELb0ES6_jNS0_17counting_iteratorIjlEEPS9_SE_NS0_5tupleIJPjSE_EEENSF_IJSE_SE_EEES9_SG_JZNS1_25segmented_radix_sort_implINS0_14default_configELb1EPKdPdPKlPlN2at6native12_GLOBAL__N_18offset_tEEE10hipError_tPvRmT1_PNSt15iterator_traitsISY_E10value_typeET2_T3_PNSZ_IS14_E10value_typeET4_jRbjT5_S1A_jjP12ihipStream_tbEUljE_EEESV_SW_SX_S14_S18_S1A_T6_T7_T9_mT8_S1C_bDpT10_ENKUlT_T0_E_clISt17integral_constantIbLb0EES1O_IbLb1EEEEDaS1K_S1L_EUlS1K_E_NS1_11comp_targetILNS1_3genE3ELNS1_11target_archE908ELNS1_3gpuE7ELNS1_3repE0EEENS1_30default_config_static_selectorELNS0_4arch9wavefront6targetE0EEEvSY_.has_recursion, 0
	.set _ZN7rocprim17ROCPRIM_400000_NS6detail17trampoline_kernelINS0_13select_configILj256ELj13ELNS0_17block_load_methodE3ELS4_3ELS4_3ELNS0_20block_scan_algorithmE0ELj4294967295EEENS1_25partition_config_selectorILNS1_17partition_subalgoE3EjNS0_10empty_typeEbEEZZNS1_14partition_implILS8_3ELb0ES6_jNS0_17counting_iteratorIjlEEPS9_SE_NS0_5tupleIJPjSE_EEENSF_IJSE_SE_EEES9_SG_JZNS1_25segmented_radix_sort_implINS0_14default_configELb1EPKdPdPKlPlN2at6native12_GLOBAL__N_18offset_tEEE10hipError_tPvRmT1_PNSt15iterator_traitsISY_E10value_typeET2_T3_PNSZ_IS14_E10value_typeET4_jRbjT5_S1A_jjP12ihipStream_tbEUljE_EEESV_SW_SX_S14_S18_S1A_T6_T7_T9_mT8_S1C_bDpT10_ENKUlT_T0_E_clISt17integral_constantIbLb0EES1O_IbLb1EEEEDaS1K_S1L_EUlS1K_E_NS1_11comp_targetILNS1_3genE3ELNS1_11target_archE908ELNS1_3gpuE7ELNS1_3repE0EEENS1_30default_config_static_selectorELNS0_4arch9wavefront6targetE0EEEvSY_.has_indirect_call, 0
	.section	.AMDGPU.csdata,"",@progbits
; Kernel info:
; codeLenInByte = 0
; TotalNumSgprs: 0
; NumVgprs: 0
; ScratchSize: 0
; MemoryBound: 0
; FloatMode: 240
; IeeeMode: 1
; LDSByteSize: 0 bytes/workgroup (compile time only)
; SGPRBlocks: 0
; VGPRBlocks: 0
; NumSGPRsForWavesPerEU: 1
; NumVGPRsForWavesPerEU: 1
; Occupancy: 16
; WaveLimiterHint : 0
; COMPUTE_PGM_RSRC2:SCRATCH_EN: 0
; COMPUTE_PGM_RSRC2:USER_SGPR: 2
; COMPUTE_PGM_RSRC2:TRAP_HANDLER: 0
; COMPUTE_PGM_RSRC2:TGID_X_EN: 1
; COMPUTE_PGM_RSRC2:TGID_Y_EN: 0
; COMPUTE_PGM_RSRC2:TGID_Z_EN: 0
; COMPUTE_PGM_RSRC2:TIDIG_COMP_CNT: 0
	.section	.text._ZN7rocprim17ROCPRIM_400000_NS6detail17trampoline_kernelINS0_13select_configILj256ELj13ELNS0_17block_load_methodE3ELS4_3ELS4_3ELNS0_20block_scan_algorithmE0ELj4294967295EEENS1_25partition_config_selectorILNS1_17partition_subalgoE3EjNS0_10empty_typeEbEEZZNS1_14partition_implILS8_3ELb0ES6_jNS0_17counting_iteratorIjlEEPS9_SE_NS0_5tupleIJPjSE_EEENSF_IJSE_SE_EEES9_SG_JZNS1_25segmented_radix_sort_implINS0_14default_configELb1EPKdPdPKlPlN2at6native12_GLOBAL__N_18offset_tEEE10hipError_tPvRmT1_PNSt15iterator_traitsISY_E10value_typeET2_T3_PNSZ_IS14_E10value_typeET4_jRbjT5_S1A_jjP12ihipStream_tbEUljE_EEESV_SW_SX_S14_S18_S1A_T6_T7_T9_mT8_S1C_bDpT10_ENKUlT_T0_E_clISt17integral_constantIbLb0EES1O_IbLb1EEEEDaS1K_S1L_EUlS1K_E_NS1_11comp_targetILNS1_3genE2ELNS1_11target_archE906ELNS1_3gpuE6ELNS1_3repE0EEENS1_30default_config_static_selectorELNS0_4arch9wavefront6targetE0EEEvSY_,"axG",@progbits,_ZN7rocprim17ROCPRIM_400000_NS6detail17trampoline_kernelINS0_13select_configILj256ELj13ELNS0_17block_load_methodE3ELS4_3ELS4_3ELNS0_20block_scan_algorithmE0ELj4294967295EEENS1_25partition_config_selectorILNS1_17partition_subalgoE3EjNS0_10empty_typeEbEEZZNS1_14partition_implILS8_3ELb0ES6_jNS0_17counting_iteratorIjlEEPS9_SE_NS0_5tupleIJPjSE_EEENSF_IJSE_SE_EEES9_SG_JZNS1_25segmented_radix_sort_implINS0_14default_configELb1EPKdPdPKlPlN2at6native12_GLOBAL__N_18offset_tEEE10hipError_tPvRmT1_PNSt15iterator_traitsISY_E10value_typeET2_T3_PNSZ_IS14_E10value_typeET4_jRbjT5_S1A_jjP12ihipStream_tbEUljE_EEESV_SW_SX_S14_S18_S1A_T6_T7_T9_mT8_S1C_bDpT10_ENKUlT_T0_E_clISt17integral_constantIbLb0EES1O_IbLb1EEEEDaS1K_S1L_EUlS1K_E_NS1_11comp_targetILNS1_3genE2ELNS1_11target_archE906ELNS1_3gpuE6ELNS1_3repE0EEENS1_30default_config_static_selectorELNS0_4arch9wavefront6targetE0EEEvSY_,comdat
	.globl	_ZN7rocprim17ROCPRIM_400000_NS6detail17trampoline_kernelINS0_13select_configILj256ELj13ELNS0_17block_load_methodE3ELS4_3ELS4_3ELNS0_20block_scan_algorithmE0ELj4294967295EEENS1_25partition_config_selectorILNS1_17partition_subalgoE3EjNS0_10empty_typeEbEEZZNS1_14partition_implILS8_3ELb0ES6_jNS0_17counting_iteratorIjlEEPS9_SE_NS0_5tupleIJPjSE_EEENSF_IJSE_SE_EEES9_SG_JZNS1_25segmented_radix_sort_implINS0_14default_configELb1EPKdPdPKlPlN2at6native12_GLOBAL__N_18offset_tEEE10hipError_tPvRmT1_PNSt15iterator_traitsISY_E10value_typeET2_T3_PNSZ_IS14_E10value_typeET4_jRbjT5_S1A_jjP12ihipStream_tbEUljE_EEESV_SW_SX_S14_S18_S1A_T6_T7_T9_mT8_S1C_bDpT10_ENKUlT_T0_E_clISt17integral_constantIbLb0EES1O_IbLb1EEEEDaS1K_S1L_EUlS1K_E_NS1_11comp_targetILNS1_3genE2ELNS1_11target_archE906ELNS1_3gpuE6ELNS1_3repE0EEENS1_30default_config_static_selectorELNS0_4arch9wavefront6targetE0EEEvSY_ ; -- Begin function _ZN7rocprim17ROCPRIM_400000_NS6detail17trampoline_kernelINS0_13select_configILj256ELj13ELNS0_17block_load_methodE3ELS4_3ELS4_3ELNS0_20block_scan_algorithmE0ELj4294967295EEENS1_25partition_config_selectorILNS1_17partition_subalgoE3EjNS0_10empty_typeEbEEZZNS1_14partition_implILS8_3ELb0ES6_jNS0_17counting_iteratorIjlEEPS9_SE_NS0_5tupleIJPjSE_EEENSF_IJSE_SE_EEES9_SG_JZNS1_25segmented_radix_sort_implINS0_14default_configELb1EPKdPdPKlPlN2at6native12_GLOBAL__N_18offset_tEEE10hipError_tPvRmT1_PNSt15iterator_traitsISY_E10value_typeET2_T3_PNSZ_IS14_E10value_typeET4_jRbjT5_S1A_jjP12ihipStream_tbEUljE_EEESV_SW_SX_S14_S18_S1A_T6_T7_T9_mT8_S1C_bDpT10_ENKUlT_T0_E_clISt17integral_constantIbLb0EES1O_IbLb1EEEEDaS1K_S1L_EUlS1K_E_NS1_11comp_targetILNS1_3genE2ELNS1_11target_archE906ELNS1_3gpuE6ELNS1_3repE0EEENS1_30default_config_static_selectorELNS0_4arch9wavefront6targetE0EEEvSY_
	.p2align	8
	.type	_ZN7rocprim17ROCPRIM_400000_NS6detail17trampoline_kernelINS0_13select_configILj256ELj13ELNS0_17block_load_methodE3ELS4_3ELS4_3ELNS0_20block_scan_algorithmE0ELj4294967295EEENS1_25partition_config_selectorILNS1_17partition_subalgoE3EjNS0_10empty_typeEbEEZZNS1_14partition_implILS8_3ELb0ES6_jNS0_17counting_iteratorIjlEEPS9_SE_NS0_5tupleIJPjSE_EEENSF_IJSE_SE_EEES9_SG_JZNS1_25segmented_radix_sort_implINS0_14default_configELb1EPKdPdPKlPlN2at6native12_GLOBAL__N_18offset_tEEE10hipError_tPvRmT1_PNSt15iterator_traitsISY_E10value_typeET2_T3_PNSZ_IS14_E10value_typeET4_jRbjT5_S1A_jjP12ihipStream_tbEUljE_EEESV_SW_SX_S14_S18_S1A_T6_T7_T9_mT8_S1C_bDpT10_ENKUlT_T0_E_clISt17integral_constantIbLb0EES1O_IbLb1EEEEDaS1K_S1L_EUlS1K_E_NS1_11comp_targetILNS1_3genE2ELNS1_11target_archE906ELNS1_3gpuE6ELNS1_3repE0EEENS1_30default_config_static_selectorELNS0_4arch9wavefront6targetE0EEEvSY_,@function
_ZN7rocprim17ROCPRIM_400000_NS6detail17trampoline_kernelINS0_13select_configILj256ELj13ELNS0_17block_load_methodE3ELS4_3ELS4_3ELNS0_20block_scan_algorithmE0ELj4294967295EEENS1_25partition_config_selectorILNS1_17partition_subalgoE3EjNS0_10empty_typeEbEEZZNS1_14partition_implILS8_3ELb0ES6_jNS0_17counting_iteratorIjlEEPS9_SE_NS0_5tupleIJPjSE_EEENSF_IJSE_SE_EEES9_SG_JZNS1_25segmented_radix_sort_implINS0_14default_configELb1EPKdPdPKlPlN2at6native12_GLOBAL__N_18offset_tEEE10hipError_tPvRmT1_PNSt15iterator_traitsISY_E10value_typeET2_T3_PNSZ_IS14_E10value_typeET4_jRbjT5_S1A_jjP12ihipStream_tbEUljE_EEESV_SW_SX_S14_S18_S1A_T6_T7_T9_mT8_S1C_bDpT10_ENKUlT_T0_E_clISt17integral_constantIbLb0EES1O_IbLb1EEEEDaS1K_S1L_EUlS1K_E_NS1_11comp_targetILNS1_3genE2ELNS1_11target_archE906ELNS1_3gpuE6ELNS1_3repE0EEENS1_30default_config_static_selectorELNS0_4arch9wavefront6targetE0EEEvSY_: ; @_ZN7rocprim17ROCPRIM_400000_NS6detail17trampoline_kernelINS0_13select_configILj256ELj13ELNS0_17block_load_methodE3ELS4_3ELS4_3ELNS0_20block_scan_algorithmE0ELj4294967295EEENS1_25partition_config_selectorILNS1_17partition_subalgoE3EjNS0_10empty_typeEbEEZZNS1_14partition_implILS8_3ELb0ES6_jNS0_17counting_iteratorIjlEEPS9_SE_NS0_5tupleIJPjSE_EEENSF_IJSE_SE_EEES9_SG_JZNS1_25segmented_radix_sort_implINS0_14default_configELb1EPKdPdPKlPlN2at6native12_GLOBAL__N_18offset_tEEE10hipError_tPvRmT1_PNSt15iterator_traitsISY_E10value_typeET2_T3_PNSZ_IS14_E10value_typeET4_jRbjT5_S1A_jjP12ihipStream_tbEUljE_EEESV_SW_SX_S14_S18_S1A_T6_T7_T9_mT8_S1C_bDpT10_ENKUlT_T0_E_clISt17integral_constantIbLb0EES1O_IbLb1EEEEDaS1K_S1L_EUlS1K_E_NS1_11comp_targetILNS1_3genE2ELNS1_11target_archE906ELNS1_3gpuE6ELNS1_3repE0EEENS1_30default_config_static_selectorELNS0_4arch9wavefront6targetE0EEEvSY_
; %bb.0:
	.section	.rodata,"a",@progbits
	.p2align	6, 0x0
	.amdhsa_kernel _ZN7rocprim17ROCPRIM_400000_NS6detail17trampoline_kernelINS0_13select_configILj256ELj13ELNS0_17block_load_methodE3ELS4_3ELS4_3ELNS0_20block_scan_algorithmE0ELj4294967295EEENS1_25partition_config_selectorILNS1_17partition_subalgoE3EjNS0_10empty_typeEbEEZZNS1_14partition_implILS8_3ELb0ES6_jNS0_17counting_iteratorIjlEEPS9_SE_NS0_5tupleIJPjSE_EEENSF_IJSE_SE_EEES9_SG_JZNS1_25segmented_radix_sort_implINS0_14default_configELb1EPKdPdPKlPlN2at6native12_GLOBAL__N_18offset_tEEE10hipError_tPvRmT1_PNSt15iterator_traitsISY_E10value_typeET2_T3_PNSZ_IS14_E10value_typeET4_jRbjT5_S1A_jjP12ihipStream_tbEUljE_EEESV_SW_SX_S14_S18_S1A_T6_T7_T9_mT8_S1C_bDpT10_ENKUlT_T0_E_clISt17integral_constantIbLb0EES1O_IbLb1EEEEDaS1K_S1L_EUlS1K_E_NS1_11comp_targetILNS1_3genE2ELNS1_11target_archE906ELNS1_3gpuE6ELNS1_3repE0EEENS1_30default_config_static_selectorELNS0_4arch9wavefront6targetE0EEEvSY_
		.amdhsa_group_segment_fixed_size 0
		.amdhsa_private_segment_fixed_size 0
		.amdhsa_kernarg_size 152
		.amdhsa_user_sgpr_count 2
		.amdhsa_user_sgpr_dispatch_ptr 0
		.amdhsa_user_sgpr_queue_ptr 0
		.amdhsa_user_sgpr_kernarg_segment_ptr 1
		.amdhsa_user_sgpr_dispatch_id 0
		.amdhsa_user_sgpr_private_segment_size 0
		.amdhsa_wavefront_size32 1
		.amdhsa_uses_dynamic_stack 0
		.amdhsa_enable_private_segment 0
		.amdhsa_system_sgpr_workgroup_id_x 1
		.amdhsa_system_sgpr_workgroup_id_y 0
		.amdhsa_system_sgpr_workgroup_id_z 0
		.amdhsa_system_sgpr_workgroup_info 0
		.amdhsa_system_vgpr_workitem_id 0
		.amdhsa_next_free_vgpr 1
		.amdhsa_next_free_sgpr 1
		.amdhsa_reserve_vcc 0
		.amdhsa_float_round_mode_32 0
		.amdhsa_float_round_mode_16_64 0
		.amdhsa_float_denorm_mode_32 3
		.amdhsa_float_denorm_mode_16_64 3
		.amdhsa_fp16_overflow 0
		.amdhsa_workgroup_processor_mode 1
		.amdhsa_memory_ordered 1
		.amdhsa_forward_progress 1
		.amdhsa_inst_pref_size 0
		.amdhsa_round_robin_scheduling 0
		.amdhsa_exception_fp_ieee_invalid_op 0
		.amdhsa_exception_fp_denorm_src 0
		.amdhsa_exception_fp_ieee_div_zero 0
		.amdhsa_exception_fp_ieee_overflow 0
		.amdhsa_exception_fp_ieee_underflow 0
		.amdhsa_exception_fp_ieee_inexact 0
		.amdhsa_exception_int_div_zero 0
	.end_amdhsa_kernel
	.section	.text._ZN7rocprim17ROCPRIM_400000_NS6detail17trampoline_kernelINS0_13select_configILj256ELj13ELNS0_17block_load_methodE3ELS4_3ELS4_3ELNS0_20block_scan_algorithmE0ELj4294967295EEENS1_25partition_config_selectorILNS1_17partition_subalgoE3EjNS0_10empty_typeEbEEZZNS1_14partition_implILS8_3ELb0ES6_jNS0_17counting_iteratorIjlEEPS9_SE_NS0_5tupleIJPjSE_EEENSF_IJSE_SE_EEES9_SG_JZNS1_25segmented_radix_sort_implINS0_14default_configELb1EPKdPdPKlPlN2at6native12_GLOBAL__N_18offset_tEEE10hipError_tPvRmT1_PNSt15iterator_traitsISY_E10value_typeET2_T3_PNSZ_IS14_E10value_typeET4_jRbjT5_S1A_jjP12ihipStream_tbEUljE_EEESV_SW_SX_S14_S18_S1A_T6_T7_T9_mT8_S1C_bDpT10_ENKUlT_T0_E_clISt17integral_constantIbLb0EES1O_IbLb1EEEEDaS1K_S1L_EUlS1K_E_NS1_11comp_targetILNS1_3genE2ELNS1_11target_archE906ELNS1_3gpuE6ELNS1_3repE0EEENS1_30default_config_static_selectorELNS0_4arch9wavefront6targetE0EEEvSY_,"axG",@progbits,_ZN7rocprim17ROCPRIM_400000_NS6detail17trampoline_kernelINS0_13select_configILj256ELj13ELNS0_17block_load_methodE3ELS4_3ELS4_3ELNS0_20block_scan_algorithmE0ELj4294967295EEENS1_25partition_config_selectorILNS1_17partition_subalgoE3EjNS0_10empty_typeEbEEZZNS1_14partition_implILS8_3ELb0ES6_jNS0_17counting_iteratorIjlEEPS9_SE_NS0_5tupleIJPjSE_EEENSF_IJSE_SE_EEES9_SG_JZNS1_25segmented_radix_sort_implINS0_14default_configELb1EPKdPdPKlPlN2at6native12_GLOBAL__N_18offset_tEEE10hipError_tPvRmT1_PNSt15iterator_traitsISY_E10value_typeET2_T3_PNSZ_IS14_E10value_typeET4_jRbjT5_S1A_jjP12ihipStream_tbEUljE_EEESV_SW_SX_S14_S18_S1A_T6_T7_T9_mT8_S1C_bDpT10_ENKUlT_T0_E_clISt17integral_constantIbLb0EES1O_IbLb1EEEEDaS1K_S1L_EUlS1K_E_NS1_11comp_targetILNS1_3genE2ELNS1_11target_archE906ELNS1_3gpuE6ELNS1_3repE0EEENS1_30default_config_static_selectorELNS0_4arch9wavefront6targetE0EEEvSY_,comdat
.Lfunc_end1114:
	.size	_ZN7rocprim17ROCPRIM_400000_NS6detail17trampoline_kernelINS0_13select_configILj256ELj13ELNS0_17block_load_methodE3ELS4_3ELS4_3ELNS0_20block_scan_algorithmE0ELj4294967295EEENS1_25partition_config_selectorILNS1_17partition_subalgoE3EjNS0_10empty_typeEbEEZZNS1_14partition_implILS8_3ELb0ES6_jNS0_17counting_iteratorIjlEEPS9_SE_NS0_5tupleIJPjSE_EEENSF_IJSE_SE_EEES9_SG_JZNS1_25segmented_radix_sort_implINS0_14default_configELb1EPKdPdPKlPlN2at6native12_GLOBAL__N_18offset_tEEE10hipError_tPvRmT1_PNSt15iterator_traitsISY_E10value_typeET2_T3_PNSZ_IS14_E10value_typeET4_jRbjT5_S1A_jjP12ihipStream_tbEUljE_EEESV_SW_SX_S14_S18_S1A_T6_T7_T9_mT8_S1C_bDpT10_ENKUlT_T0_E_clISt17integral_constantIbLb0EES1O_IbLb1EEEEDaS1K_S1L_EUlS1K_E_NS1_11comp_targetILNS1_3genE2ELNS1_11target_archE906ELNS1_3gpuE6ELNS1_3repE0EEENS1_30default_config_static_selectorELNS0_4arch9wavefront6targetE0EEEvSY_, .Lfunc_end1114-_ZN7rocprim17ROCPRIM_400000_NS6detail17trampoline_kernelINS0_13select_configILj256ELj13ELNS0_17block_load_methodE3ELS4_3ELS4_3ELNS0_20block_scan_algorithmE0ELj4294967295EEENS1_25partition_config_selectorILNS1_17partition_subalgoE3EjNS0_10empty_typeEbEEZZNS1_14partition_implILS8_3ELb0ES6_jNS0_17counting_iteratorIjlEEPS9_SE_NS0_5tupleIJPjSE_EEENSF_IJSE_SE_EEES9_SG_JZNS1_25segmented_radix_sort_implINS0_14default_configELb1EPKdPdPKlPlN2at6native12_GLOBAL__N_18offset_tEEE10hipError_tPvRmT1_PNSt15iterator_traitsISY_E10value_typeET2_T3_PNSZ_IS14_E10value_typeET4_jRbjT5_S1A_jjP12ihipStream_tbEUljE_EEESV_SW_SX_S14_S18_S1A_T6_T7_T9_mT8_S1C_bDpT10_ENKUlT_T0_E_clISt17integral_constantIbLb0EES1O_IbLb1EEEEDaS1K_S1L_EUlS1K_E_NS1_11comp_targetILNS1_3genE2ELNS1_11target_archE906ELNS1_3gpuE6ELNS1_3repE0EEENS1_30default_config_static_selectorELNS0_4arch9wavefront6targetE0EEEvSY_
                                        ; -- End function
	.set _ZN7rocprim17ROCPRIM_400000_NS6detail17trampoline_kernelINS0_13select_configILj256ELj13ELNS0_17block_load_methodE3ELS4_3ELS4_3ELNS0_20block_scan_algorithmE0ELj4294967295EEENS1_25partition_config_selectorILNS1_17partition_subalgoE3EjNS0_10empty_typeEbEEZZNS1_14partition_implILS8_3ELb0ES6_jNS0_17counting_iteratorIjlEEPS9_SE_NS0_5tupleIJPjSE_EEENSF_IJSE_SE_EEES9_SG_JZNS1_25segmented_radix_sort_implINS0_14default_configELb1EPKdPdPKlPlN2at6native12_GLOBAL__N_18offset_tEEE10hipError_tPvRmT1_PNSt15iterator_traitsISY_E10value_typeET2_T3_PNSZ_IS14_E10value_typeET4_jRbjT5_S1A_jjP12ihipStream_tbEUljE_EEESV_SW_SX_S14_S18_S1A_T6_T7_T9_mT8_S1C_bDpT10_ENKUlT_T0_E_clISt17integral_constantIbLb0EES1O_IbLb1EEEEDaS1K_S1L_EUlS1K_E_NS1_11comp_targetILNS1_3genE2ELNS1_11target_archE906ELNS1_3gpuE6ELNS1_3repE0EEENS1_30default_config_static_selectorELNS0_4arch9wavefront6targetE0EEEvSY_.num_vgpr, 0
	.set _ZN7rocprim17ROCPRIM_400000_NS6detail17trampoline_kernelINS0_13select_configILj256ELj13ELNS0_17block_load_methodE3ELS4_3ELS4_3ELNS0_20block_scan_algorithmE0ELj4294967295EEENS1_25partition_config_selectorILNS1_17partition_subalgoE3EjNS0_10empty_typeEbEEZZNS1_14partition_implILS8_3ELb0ES6_jNS0_17counting_iteratorIjlEEPS9_SE_NS0_5tupleIJPjSE_EEENSF_IJSE_SE_EEES9_SG_JZNS1_25segmented_radix_sort_implINS0_14default_configELb1EPKdPdPKlPlN2at6native12_GLOBAL__N_18offset_tEEE10hipError_tPvRmT1_PNSt15iterator_traitsISY_E10value_typeET2_T3_PNSZ_IS14_E10value_typeET4_jRbjT5_S1A_jjP12ihipStream_tbEUljE_EEESV_SW_SX_S14_S18_S1A_T6_T7_T9_mT8_S1C_bDpT10_ENKUlT_T0_E_clISt17integral_constantIbLb0EES1O_IbLb1EEEEDaS1K_S1L_EUlS1K_E_NS1_11comp_targetILNS1_3genE2ELNS1_11target_archE906ELNS1_3gpuE6ELNS1_3repE0EEENS1_30default_config_static_selectorELNS0_4arch9wavefront6targetE0EEEvSY_.num_agpr, 0
	.set _ZN7rocprim17ROCPRIM_400000_NS6detail17trampoline_kernelINS0_13select_configILj256ELj13ELNS0_17block_load_methodE3ELS4_3ELS4_3ELNS0_20block_scan_algorithmE0ELj4294967295EEENS1_25partition_config_selectorILNS1_17partition_subalgoE3EjNS0_10empty_typeEbEEZZNS1_14partition_implILS8_3ELb0ES6_jNS0_17counting_iteratorIjlEEPS9_SE_NS0_5tupleIJPjSE_EEENSF_IJSE_SE_EEES9_SG_JZNS1_25segmented_radix_sort_implINS0_14default_configELb1EPKdPdPKlPlN2at6native12_GLOBAL__N_18offset_tEEE10hipError_tPvRmT1_PNSt15iterator_traitsISY_E10value_typeET2_T3_PNSZ_IS14_E10value_typeET4_jRbjT5_S1A_jjP12ihipStream_tbEUljE_EEESV_SW_SX_S14_S18_S1A_T6_T7_T9_mT8_S1C_bDpT10_ENKUlT_T0_E_clISt17integral_constantIbLb0EES1O_IbLb1EEEEDaS1K_S1L_EUlS1K_E_NS1_11comp_targetILNS1_3genE2ELNS1_11target_archE906ELNS1_3gpuE6ELNS1_3repE0EEENS1_30default_config_static_selectorELNS0_4arch9wavefront6targetE0EEEvSY_.numbered_sgpr, 0
	.set _ZN7rocprim17ROCPRIM_400000_NS6detail17trampoline_kernelINS0_13select_configILj256ELj13ELNS0_17block_load_methodE3ELS4_3ELS4_3ELNS0_20block_scan_algorithmE0ELj4294967295EEENS1_25partition_config_selectorILNS1_17partition_subalgoE3EjNS0_10empty_typeEbEEZZNS1_14partition_implILS8_3ELb0ES6_jNS0_17counting_iteratorIjlEEPS9_SE_NS0_5tupleIJPjSE_EEENSF_IJSE_SE_EEES9_SG_JZNS1_25segmented_radix_sort_implINS0_14default_configELb1EPKdPdPKlPlN2at6native12_GLOBAL__N_18offset_tEEE10hipError_tPvRmT1_PNSt15iterator_traitsISY_E10value_typeET2_T3_PNSZ_IS14_E10value_typeET4_jRbjT5_S1A_jjP12ihipStream_tbEUljE_EEESV_SW_SX_S14_S18_S1A_T6_T7_T9_mT8_S1C_bDpT10_ENKUlT_T0_E_clISt17integral_constantIbLb0EES1O_IbLb1EEEEDaS1K_S1L_EUlS1K_E_NS1_11comp_targetILNS1_3genE2ELNS1_11target_archE906ELNS1_3gpuE6ELNS1_3repE0EEENS1_30default_config_static_selectorELNS0_4arch9wavefront6targetE0EEEvSY_.num_named_barrier, 0
	.set _ZN7rocprim17ROCPRIM_400000_NS6detail17trampoline_kernelINS0_13select_configILj256ELj13ELNS0_17block_load_methodE3ELS4_3ELS4_3ELNS0_20block_scan_algorithmE0ELj4294967295EEENS1_25partition_config_selectorILNS1_17partition_subalgoE3EjNS0_10empty_typeEbEEZZNS1_14partition_implILS8_3ELb0ES6_jNS0_17counting_iteratorIjlEEPS9_SE_NS0_5tupleIJPjSE_EEENSF_IJSE_SE_EEES9_SG_JZNS1_25segmented_radix_sort_implINS0_14default_configELb1EPKdPdPKlPlN2at6native12_GLOBAL__N_18offset_tEEE10hipError_tPvRmT1_PNSt15iterator_traitsISY_E10value_typeET2_T3_PNSZ_IS14_E10value_typeET4_jRbjT5_S1A_jjP12ihipStream_tbEUljE_EEESV_SW_SX_S14_S18_S1A_T6_T7_T9_mT8_S1C_bDpT10_ENKUlT_T0_E_clISt17integral_constantIbLb0EES1O_IbLb1EEEEDaS1K_S1L_EUlS1K_E_NS1_11comp_targetILNS1_3genE2ELNS1_11target_archE906ELNS1_3gpuE6ELNS1_3repE0EEENS1_30default_config_static_selectorELNS0_4arch9wavefront6targetE0EEEvSY_.private_seg_size, 0
	.set _ZN7rocprim17ROCPRIM_400000_NS6detail17trampoline_kernelINS0_13select_configILj256ELj13ELNS0_17block_load_methodE3ELS4_3ELS4_3ELNS0_20block_scan_algorithmE0ELj4294967295EEENS1_25partition_config_selectorILNS1_17partition_subalgoE3EjNS0_10empty_typeEbEEZZNS1_14partition_implILS8_3ELb0ES6_jNS0_17counting_iteratorIjlEEPS9_SE_NS0_5tupleIJPjSE_EEENSF_IJSE_SE_EEES9_SG_JZNS1_25segmented_radix_sort_implINS0_14default_configELb1EPKdPdPKlPlN2at6native12_GLOBAL__N_18offset_tEEE10hipError_tPvRmT1_PNSt15iterator_traitsISY_E10value_typeET2_T3_PNSZ_IS14_E10value_typeET4_jRbjT5_S1A_jjP12ihipStream_tbEUljE_EEESV_SW_SX_S14_S18_S1A_T6_T7_T9_mT8_S1C_bDpT10_ENKUlT_T0_E_clISt17integral_constantIbLb0EES1O_IbLb1EEEEDaS1K_S1L_EUlS1K_E_NS1_11comp_targetILNS1_3genE2ELNS1_11target_archE906ELNS1_3gpuE6ELNS1_3repE0EEENS1_30default_config_static_selectorELNS0_4arch9wavefront6targetE0EEEvSY_.uses_vcc, 0
	.set _ZN7rocprim17ROCPRIM_400000_NS6detail17trampoline_kernelINS0_13select_configILj256ELj13ELNS0_17block_load_methodE3ELS4_3ELS4_3ELNS0_20block_scan_algorithmE0ELj4294967295EEENS1_25partition_config_selectorILNS1_17partition_subalgoE3EjNS0_10empty_typeEbEEZZNS1_14partition_implILS8_3ELb0ES6_jNS0_17counting_iteratorIjlEEPS9_SE_NS0_5tupleIJPjSE_EEENSF_IJSE_SE_EEES9_SG_JZNS1_25segmented_radix_sort_implINS0_14default_configELb1EPKdPdPKlPlN2at6native12_GLOBAL__N_18offset_tEEE10hipError_tPvRmT1_PNSt15iterator_traitsISY_E10value_typeET2_T3_PNSZ_IS14_E10value_typeET4_jRbjT5_S1A_jjP12ihipStream_tbEUljE_EEESV_SW_SX_S14_S18_S1A_T6_T7_T9_mT8_S1C_bDpT10_ENKUlT_T0_E_clISt17integral_constantIbLb0EES1O_IbLb1EEEEDaS1K_S1L_EUlS1K_E_NS1_11comp_targetILNS1_3genE2ELNS1_11target_archE906ELNS1_3gpuE6ELNS1_3repE0EEENS1_30default_config_static_selectorELNS0_4arch9wavefront6targetE0EEEvSY_.uses_flat_scratch, 0
	.set _ZN7rocprim17ROCPRIM_400000_NS6detail17trampoline_kernelINS0_13select_configILj256ELj13ELNS0_17block_load_methodE3ELS4_3ELS4_3ELNS0_20block_scan_algorithmE0ELj4294967295EEENS1_25partition_config_selectorILNS1_17partition_subalgoE3EjNS0_10empty_typeEbEEZZNS1_14partition_implILS8_3ELb0ES6_jNS0_17counting_iteratorIjlEEPS9_SE_NS0_5tupleIJPjSE_EEENSF_IJSE_SE_EEES9_SG_JZNS1_25segmented_radix_sort_implINS0_14default_configELb1EPKdPdPKlPlN2at6native12_GLOBAL__N_18offset_tEEE10hipError_tPvRmT1_PNSt15iterator_traitsISY_E10value_typeET2_T3_PNSZ_IS14_E10value_typeET4_jRbjT5_S1A_jjP12ihipStream_tbEUljE_EEESV_SW_SX_S14_S18_S1A_T6_T7_T9_mT8_S1C_bDpT10_ENKUlT_T0_E_clISt17integral_constantIbLb0EES1O_IbLb1EEEEDaS1K_S1L_EUlS1K_E_NS1_11comp_targetILNS1_3genE2ELNS1_11target_archE906ELNS1_3gpuE6ELNS1_3repE0EEENS1_30default_config_static_selectorELNS0_4arch9wavefront6targetE0EEEvSY_.has_dyn_sized_stack, 0
	.set _ZN7rocprim17ROCPRIM_400000_NS6detail17trampoline_kernelINS0_13select_configILj256ELj13ELNS0_17block_load_methodE3ELS4_3ELS4_3ELNS0_20block_scan_algorithmE0ELj4294967295EEENS1_25partition_config_selectorILNS1_17partition_subalgoE3EjNS0_10empty_typeEbEEZZNS1_14partition_implILS8_3ELb0ES6_jNS0_17counting_iteratorIjlEEPS9_SE_NS0_5tupleIJPjSE_EEENSF_IJSE_SE_EEES9_SG_JZNS1_25segmented_radix_sort_implINS0_14default_configELb1EPKdPdPKlPlN2at6native12_GLOBAL__N_18offset_tEEE10hipError_tPvRmT1_PNSt15iterator_traitsISY_E10value_typeET2_T3_PNSZ_IS14_E10value_typeET4_jRbjT5_S1A_jjP12ihipStream_tbEUljE_EEESV_SW_SX_S14_S18_S1A_T6_T7_T9_mT8_S1C_bDpT10_ENKUlT_T0_E_clISt17integral_constantIbLb0EES1O_IbLb1EEEEDaS1K_S1L_EUlS1K_E_NS1_11comp_targetILNS1_3genE2ELNS1_11target_archE906ELNS1_3gpuE6ELNS1_3repE0EEENS1_30default_config_static_selectorELNS0_4arch9wavefront6targetE0EEEvSY_.has_recursion, 0
	.set _ZN7rocprim17ROCPRIM_400000_NS6detail17trampoline_kernelINS0_13select_configILj256ELj13ELNS0_17block_load_methodE3ELS4_3ELS4_3ELNS0_20block_scan_algorithmE0ELj4294967295EEENS1_25partition_config_selectorILNS1_17partition_subalgoE3EjNS0_10empty_typeEbEEZZNS1_14partition_implILS8_3ELb0ES6_jNS0_17counting_iteratorIjlEEPS9_SE_NS0_5tupleIJPjSE_EEENSF_IJSE_SE_EEES9_SG_JZNS1_25segmented_radix_sort_implINS0_14default_configELb1EPKdPdPKlPlN2at6native12_GLOBAL__N_18offset_tEEE10hipError_tPvRmT1_PNSt15iterator_traitsISY_E10value_typeET2_T3_PNSZ_IS14_E10value_typeET4_jRbjT5_S1A_jjP12ihipStream_tbEUljE_EEESV_SW_SX_S14_S18_S1A_T6_T7_T9_mT8_S1C_bDpT10_ENKUlT_T0_E_clISt17integral_constantIbLb0EES1O_IbLb1EEEEDaS1K_S1L_EUlS1K_E_NS1_11comp_targetILNS1_3genE2ELNS1_11target_archE906ELNS1_3gpuE6ELNS1_3repE0EEENS1_30default_config_static_selectorELNS0_4arch9wavefront6targetE0EEEvSY_.has_indirect_call, 0
	.section	.AMDGPU.csdata,"",@progbits
; Kernel info:
; codeLenInByte = 0
; TotalNumSgprs: 0
; NumVgprs: 0
; ScratchSize: 0
; MemoryBound: 0
; FloatMode: 240
; IeeeMode: 1
; LDSByteSize: 0 bytes/workgroup (compile time only)
; SGPRBlocks: 0
; VGPRBlocks: 0
; NumSGPRsForWavesPerEU: 1
; NumVGPRsForWavesPerEU: 1
; Occupancy: 16
; WaveLimiterHint : 0
; COMPUTE_PGM_RSRC2:SCRATCH_EN: 0
; COMPUTE_PGM_RSRC2:USER_SGPR: 2
; COMPUTE_PGM_RSRC2:TRAP_HANDLER: 0
; COMPUTE_PGM_RSRC2:TGID_X_EN: 1
; COMPUTE_PGM_RSRC2:TGID_Y_EN: 0
; COMPUTE_PGM_RSRC2:TGID_Z_EN: 0
; COMPUTE_PGM_RSRC2:TIDIG_COMP_CNT: 0
	.section	.text._ZN7rocprim17ROCPRIM_400000_NS6detail17trampoline_kernelINS0_13select_configILj256ELj13ELNS0_17block_load_methodE3ELS4_3ELS4_3ELNS0_20block_scan_algorithmE0ELj4294967295EEENS1_25partition_config_selectorILNS1_17partition_subalgoE3EjNS0_10empty_typeEbEEZZNS1_14partition_implILS8_3ELb0ES6_jNS0_17counting_iteratorIjlEEPS9_SE_NS0_5tupleIJPjSE_EEENSF_IJSE_SE_EEES9_SG_JZNS1_25segmented_radix_sort_implINS0_14default_configELb1EPKdPdPKlPlN2at6native12_GLOBAL__N_18offset_tEEE10hipError_tPvRmT1_PNSt15iterator_traitsISY_E10value_typeET2_T3_PNSZ_IS14_E10value_typeET4_jRbjT5_S1A_jjP12ihipStream_tbEUljE_EEESV_SW_SX_S14_S18_S1A_T6_T7_T9_mT8_S1C_bDpT10_ENKUlT_T0_E_clISt17integral_constantIbLb0EES1O_IbLb1EEEEDaS1K_S1L_EUlS1K_E_NS1_11comp_targetILNS1_3genE10ELNS1_11target_archE1200ELNS1_3gpuE4ELNS1_3repE0EEENS1_30default_config_static_selectorELNS0_4arch9wavefront6targetE0EEEvSY_,"axG",@progbits,_ZN7rocprim17ROCPRIM_400000_NS6detail17trampoline_kernelINS0_13select_configILj256ELj13ELNS0_17block_load_methodE3ELS4_3ELS4_3ELNS0_20block_scan_algorithmE0ELj4294967295EEENS1_25partition_config_selectorILNS1_17partition_subalgoE3EjNS0_10empty_typeEbEEZZNS1_14partition_implILS8_3ELb0ES6_jNS0_17counting_iteratorIjlEEPS9_SE_NS0_5tupleIJPjSE_EEENSF_IJSE_SE_EEES9_SG_JZNS1_25segmented_radix_sort_implINS0_14default_configELb1EPKdPdPKlPlN2at6native12_GLOBAL__N_18offset_tEEE10hipError_tPvRmT1_PNSt15iterator_traitsISY_E10value_typeET2_T3_PNSZ_IS14_E10value_typeET4_jRbjT5_S1A_jjP12ihipStream_tbEUljE_EEESV_SW_SX_S14_S18_S1A_T6_T7_T9_mT8_S1C_bDpT10_ENKUlT_T0_E_clISt17integral_constantIbLb0EES1O_IbLb1EEEEDaS1K_S1L_EUlS1K_E_NS1_11comp_targetILNS1_3genE10ELNS1_11target_archE1200ELNS1_3gpuE4ELNS1_3repE0EEENS1_30default_config_static_selectorELNS0_4arch9wavefront6targetE0EEEvSY_,comdat
	.globl	_ZN7rocprim17ROCPRIM_400000_NS6detail17trampoline_kernelINS0_13select_configILj256ELj13ELNS0_17block_load_methodE3ELS4_3ELS4_3ELNS0_20block_scan_algorithmE0ELj4294967295EEENS1_25partition_config_selectorILNS1_17partition_subalgoE3EjNS0_10empty_typeEbEEZZNS1_14partition_implILS8_3ELb0ES6_jNS0_17counting_iteratorIjlEEPS9_SE_NS0_5tupleIJPjSE_EEENSF_IJSE_SE_EEES9_SG_JZNS1_25segmented_radix_sort_implINS0_14default_configELb1EPKdPdPKlPlN2at6native12_GLOBAL__N_18offset_tEEE10hipError_tPvRmT1_PNSt15iterator_traitsISY_E10value_typeET2_T3_PNSZ_IS14_E10value_typeET4_jRbjT5_S1A_jjP12ihipStream_tbEUljE_EEESV_SW_SX_S14_S18_S1A_T6_T7_T9_mT8_S1C_bDpT10_ENKUlT_T0_E_clISt17integral_constantIbLb0EES1O_IbLb1EEEEDaS1K_S1L_EUlS1K_E_NS1_11comp_targetILNS1_3genE10ELNS1_11target_archE1200ELNS1_3gpuE4ELNS1_3repE0EEENS1_30default_config_static_selectorELNS0_4arch9wavefront6targetE0EEEvSY_ ; -- Begin function _ZN7rocprim17ROCPRIM_400000_NS6detail17trampoline_kernelINS0_13select_configILj256ELj13ELNS0_17block_load_methodE3ELS4_3ELS4_3ELNS0_20block_scan_algorithmE0ELj4294967295EEENS1_25partition_config_selectorILNS1_17partition_subalgoE3EjNS0_10empty_typeEbEEZZNS1_14partition_implILS8_3ELb0ES6_jNS0_17counting_iteratorIjlEEPS9_SE_NS0_5tupleIJPjSE_EEENSF_IJSE_SE_EEES9_SG_JZNS1_25segmented_radix_sort_implINS0_14default_configELb1EPKdPdPKlPlN2at6native12_GLOBAL__N_18offset_tEEE10hipError_tPvRmT1_PNSt15iterator_traitsISY_E10value_typeET2_T3_PNSZ_IS14_E10value_typeET4_jRbjT5_S1A_jjP12ihipStream_tbEUljE_EEESV_SW_SX_S14_S18_S1A_T6_T7_T9_mT8_S1C_bDpT10_ENKUlT_T0_E_clISt17integral_constantIbLb0EES1O_IbLb1EEEEDaS1K_S1L_EUlS1K_E_NS1_11comp_targetILNS1_3genE10ELNS1_11target_archE1200ELNS1_3gpuE4ELNS1_3repE0EEENS1_30default_config_static_selectorELNS0_4arch9wavefront6targetE0EEEvSY_
	.p2align	8
	.type	_ZN7rocprim17ROCPRIM_400000_NS6detail17trampoline_kernelINS0_13select_configILj256ELj13ELNS0_17block_load_methodE3ELS4_3ELS4_3ELNS0_20block_scan_algorithmE0ELj4294967295EEENS1_25partition_config_selectorILNS1_17partition_subalgoE3EjNS0_10empty_typeEbEEZZNS1_14partition_implILS8_3ELb0ES6_jNS0_17counting_iteratorIjlEEPS9_SE_NS0_5tupleIJPjSE_EEENSF_IJSE_SE_EEES9_SG_JZNS1_25segmented_radix_sort_implINS0_14default_configELb1EPKdPdPKlPlN2at6native12_GLOBAL__N_18offset_tEEE10hipError_tPvRmT1_PNSt15iterator_traitsISY_E10value_typeET2_T3_PNSZ_IS14_E10value_typeET4_jRbjT5_S1A_jjP12ihipStream_tbEUljE_EEESV_SW_SX_S14_S18_S1A_T6_T7_T9_mT8_S1C_bDpT10_ENKUlT_T0_E_clISt17integral_constantIbLb0EES1O_IbLb1EEEEDaS1K_S1L_EUlS1K_E_NS1_11comp_targetILNS1_3genE10ELNS1_11target_archE1200ELNS1_3gpuE4ELNS1_3repE0EEENS1_30default_config_static_selectorELNS0_4arch9wavefront6targetE0EEEvSY_,@function
_ZN7rocprim17ROCPRIM_400000_NS6detail17trampoline_kernelINS0_13select_configILj256ELj13ELNS0_17block_load_methodE3ELS4_3ELS4_3ELNS0_20block_scan_algorithmE0ELj4294967295EEENS1_25partition_config_selectorILNS1_17partition_subalgoE3EjNS0_10empty_typeEbEEZZNS1_14partition_implILS8_3ELb0ES6_jNS0_17counting_iteratorIjlEEPS9_SE_NS0_5tupleIJPjSE_EEENSF_IJSE_SE_EEES9_SG_JZNS1_25segmented_radix_sort_implINS0_14default_configELb1EPKdPdPKlPlN2at6native12_GLOBAL__N_18offset_tEEE10hipError_tPvRmT1_PNSt15iterator_traitsISY_E10value_typeET2_T3_PNSZ_IS14_E10value_typeET4_jRbjT5_S1A_jjP12ihipStream_tbEUljE_EEESV_SW_SX_S14_S18_S1A_T6_T7_T9_mT8_S1C_bDpT10_ENKUlT_T0_E_clISt17integral_constantIbLb0EES1O_IbLb1EEEEDaS1K_S1L_EUlS1K_E_NS1_11comp_targetILNS1_3genE10ELNS1_11target_archE1200ELNS1_3gpuE4ELNS1_3repE0EEENS1_30default_config_static_selectorELNS0_4arch9wavefront6targetE0EEEvSY_: ; @_ZN7rocprim17ROCPRIM_400000_NS6detail17trampoline_kernelINS0_13select_configILj256ELj13ELNS0_17block_load_methodE3ELS4_3ELS4_3ELNS0_20block_scan_algorithmE0ELj4294967295EEENS1_25partition_config_selectorILNS1_17partition_subalgoE3EjNS0_10empty_typeEbEEZZNS1_14partition_implILS8_3ELb0ES6_jNS0_17counting_iteratorIjlEEPS9_SE_NS0_5tupleIJPjSE_EEENSF_IJSE_SE_EEES9_SG_JZNS1_25segmented_radix_sort_implINS0_14default_configELb1EPKdPdPKlPlN2at6native12_GLOBAL__N_18offset_tEEE10hipError_tPvRmT1_PNSt15iterator_traitsISY_E10value_typeET2_T3_PNSZ_IS14_E10value_typeET4_jRbjT5_S1A_jjP12ihipStream_tbEUljE_EEESV_SW_SX_S14_S18_S1A_T6_T7_T9_mT8_S1C_bDpT10_ENKUlT_T0_E_clISt17integral_constantIbLb0EES1O_IbLb1EEEEDaS1K_S1L_EUlS1K_E_NS1_11comp_targetILNS1_3genE10ELNS1_11target_archE1200ELNS1_3gpuE4ELNS1_3repE0EEENS1_30default_config_static_selectorELNS0_4arch9wavefront6targetE0EEEvSY_
; %bb.0:
	s_clause 0x6
	s_load_b64 s[16:17], s[0:1], 0x10
	s_load_b64 s[10:11], s[0:1], 0x28
	;; [unrolled: 1-line block ×3, first 2 shown]
	s_load_b128 s[12:15], s[0:1], 0x48
	s_load_b32 s3, s[0:1], 0x90
	s_load_b64 s[20:21], s[0:1], 0x68
	s_load_b128 s[4:7], s[0:1], 0x80
	v_cmp_eq_u32_e64 s2, 0, v0
	s_and_saveexec_b32 s8, s2
	s_cbranch_execz .LBB1115_4
; %bb.1:
	s_mov_b32 s22, exec_lo
	s_mov_b32 s9, exec_lo
	v_mbcnt_lo_u32_b32 v1, s22, 0
                                        ; implicit-def: $vgpr2
	s_delay_alu instid0(VALU_DEP_1)
	v_cmpx_eq_u32_e32 0, v1
	s_cbranch_execz .LBB1115_3
; %bb.2:
	s_load_b64 s[24:25], s[0:1], 0x78
	s_bcnt1_i32_b32 s22, s22
	s_wait_alu 0xfffe
	v_dual_mov_b32 v2, 0 :: v_dual_mov_b32 v3, s22
	s_wait_kmcnt 0x0
	global_atomic_add_u32 v2, v2, v3, s[24:25] th:TH_ATOMIC_RETURN scope:SCOPE_DEV
.LBB1115_3:
	s_or_b32 exec_lo, exec_lo, s9
	s_wait_loadcnt 0x0
	v_readfirstlane_b32 s9, v2
	s_delay_alu instid0(VALU_DEP_1)
	v_dual_mov_b32 v2, 0 :: v_dual_add_nc_u32 v1, s9, v1
	ds_store_b32 v2, v1
.LBB1115_4:
	s_or_b32 exec_lo, exec_lo, s8
	v_mov_b32_e32 v1, 0
	s_clause 0x1
	s_load_b32 s8, s[0:1], 0x8
	s_load_b32 s0, s[0:1], 0x70
	s_wait_dscnt 0x0
	s_barrier_signal -1
	s_barrier_wait -1
	global_inv scope:SCOPE_SE
	ds_load_b32 v2, v1
	s_wait_loadcnt_dscnt 0x0
	s_barrier_signal -1
	s_barrier_wait -1
	global_inv scope:SCOPE_SE
	s_wait_kmcnt 0x0
	global_load_b64 v[17:18], v1, s[14:15]
	s_mov_b32 s1, 0
	v_lshlrev_b32_e32 v45, 2, v0
	s_mov_b32 s23, -1
	s_add_co_i32 s8, s8, s16
	s_add_co_i32 s9, s0, -1
	s_mulk_i32 s0, 0xd00
	s_delay_alu instid0(SALU_CYCLE_1)
	s_add_co_i32 s14, s0, s16
	s_add_nc_u64 s[0:1], s[16:17], s[0:1]
	v_readfirstlane_b32 s15, v2
	v_cmp_gt_u64_e64 s0, s[18:19], s[0:1]
	s_sub_co_i32 s22, s18, s14
	s_wait_alu 0xfffe
	v_cmp_ne_u32_e32 vcc_lo, s9, v2
	s_addk_co_i32 s22, 0xd00
	s_cmp_eq_u32 s15, s9
	s_mul_i32 s14, s15, 0xd00
	s_cselect_b32 s9, -1, 0
	s_or_b32 s1, s0, vcc_lo
	s_wait_alu 0xfffe
	s_and_b32 vcc_lo, exec_lo, s1
	s_cbranch_vccz .LBB1115_6
; %bb.5:
	v_add3_u32 v1, s14, s8, v0
	s_mov_b32 s23, 0
	s_delay_alu instid0(VALU_DEP_1)
	v_add_nc_u32_e32 v2, 0x100, v1
	v_add_nc_u32_e32 v3, 0x200, v1
	;; [unrolled: 1-line block ×12, first 2 shown]
	ds_store_2addr_stride64_b32 v45, v1, v2 offset1:4
	ds_store_2addr_stride64_b32 v45, v3, v4 offset0:8 offset1:12
	ds_store_2addr_stride64_b32 v45, v5, v6 offset0:16 offset1:20
	;; [unrolled: 1-line block ×5, first 2 shown]
	ds_store_b32 v45, v13 offset:12288
	s_wait_loadcnt_dscnt 0x0
	s_barrier_signal -1
	s_barrier_wait -1
.LBB1115_6:
	v_cmp_gt_u32_e64 s0, s22, v0
	v_or_b32_e32 v44, 0x100, v0
	v_or_b32_e32 v43, 0x200, v0
	;; [unrolled: 1-line block ×12, first 2 shown]
	s_wait_alu 0xfffe
	s_and_not1_b32 vcc_lo, exec_lo, s23
	s_cbranch_vccnz .LBB1115_8
; %bb.7:
	s_add_co_i32 s8, s14, s8
	v_cmp_gt_u32_e32 vcc_lo, s22, v44
	s_wait_alu 0xfffe
	v_add_nc_u32_e32 v13, s8, v33
	v_add_nc_u32_e32 v12, s8, v34
	;; [unrolled: 1-line block ×12, first 2 shown]
	s_delay_alu instid0(VALU_DEP_1) | instskip(SKIP_1) | instid1(VALU_DEP_2)
	v_dual_cndmask_b32 v2, 0, v2 :: v_dual_add_nc_u32 v1, s8, v0
	v_cmp_gt_u32_e32 vcc_lo, s22, v43
	v_cndmask_b32_e64 v1, 0, v1, s0
	s_wait_alu 0xfffd
	v_cndmask_b32_e32 v3, 0, v3, vcc_lo
	v_cmp_gt_u32_e32 vcc_lo, s22, v42
	s_wait_alu 0xfffd
	v_cndmask_b32_e32 v4, 0, v4, vcc_lo
	v_cmp_gt_u32_e32 vcc_lo, s22, v41
	;; [unrolled: 3-line block ×10, first 2 shown]
	s_wait_alu 0xfffd
	v_cndmask_b32_e32 v13, 0, v13, vcc_lo
	ds_store_2addr_stride64_b32 v45, v1, v2 offset1:4
	ds_store_2addr_stride64_b32 v45, v3, v4 offset0:8 offset1:12
	ds_store_2addr_stride64_b32 v45, v5, v6 offset0:16 offset1:20
	;; [unrolled: 1-line block ×5, first 2 shown]
	ds_store_b32 v45, v13 offset:12288
	s_wait_loadcnt_dscnt 0x0
	s_barrier_signal -1
	s_barrier_wait -1
.LBB1115_8:
	v_mul_u32_u24_e32 v48, 13, v0
	s_wait_loadcnt 0x0
	global_inv scope:SCOPE_SE
	v_cndmask_b32_e64 v46, 0, 1, s1
	s_and_not1_b32 vcc_lo, exec_lo, s1
	v_lshlrev_b32_e32 v1, 2, v48
	ds_load_2addr_b32 v[29:30], v1 offset0:2 offset1:3
	ds_load_2addr_b32 v[25:26], v1 offset0:6 offset1:7
	;; [unrolled: 1-line block ×3, first 2 shown]
	ds_load_2addr_b32 v[31:32], v1 offset1:1
	ds_load_2addr_b32 v[21:22], v1 offset0:10 offset1:11
	ds_load_b32 v47, v1 offset:48
	ds_load_2addr_b32 v[23:24], v1 offset0:8 offset1:9
	s_wait_loadcnt_dscnt 0x0
	s_barrier_signal -1
	s_barrier_wait -1
	global_inv scope:SCOPE_SE
	s_wait_alu 0xfffe
	s_cbranch_vccnz .LBB1115_10
; %bb.9:
	v_add_nc_u32_e32 v1, s5, v30
	v_add_nc_u32_e32 v2, s7, v30
	;; [unrolled: 1-line block ×5, first 2 shown]
	v_mul_lo_u32 v1, v1, s4
	v_mul_lo_u32 v2, v2, s6
	v_add_nc_u32_e32 v8, s7, v29
	v_add_nc_u32_e32 v3, s5, v32
	;; [unrolled: 1-line block ×3, first 2 shown]
	v_mul_lo_u32 v5, v5, s4
	v_mul_lo_u32 v4, v4, s4
	v_add_nc_u32_e32 v9, s5, v27
	v_mul_lo_u32 v3, v3, s4
	v_sub_nc_u32_e32 v1, v1, v2
	v_mul_lo_u32 v2, v7, s6
	v_mul_lo_u32 v7, v8, s6
	;; [unrolled: 1-line block ×3, first 2 shown]
	v_add_nc_u32_e32 v8, s5, v28
	v_add_nc_u32_e32 v10, s7, v27
	v_mul_lo_u32 v9, v9, s4
	v_cmp_lt_u32_e32 vcc_lo, s3, v1
	v_add_nc_u32_e32 v14, s7, v22
	v_sub_nc_u32_e32 v2, v4, v2
	v_sub_nc_u32_e32 v4, v5, v7
	v_add_nc_u32_e32 v5, s7, v28
	v_sub_nc_u32_e32 v3, v3, v6
	v_add_nc_u32_e32 v6, s5, v26
	v_add_nc_u32_e32 v7, s7, v26
	v_mul_lo_u32 v8, v8, s4
	v_mul_lo_u32 v5, v5, s6
	;; [unrolled: 1-line block ×5, first 2 shown]
	s_wait_alu 0xfffd
	v_cndmask_b32_e64 v1, 0, 1, vcc_lo
	v_cmp_lt_u32_e32 vcc_lo, s3, v3
	v_mul_lo_u32 v14, v14, s6
	v_add_nc_u32_e32 v15, s7, v24
	v_sub_nc_u32_e32 v5, v8, v5
	v_add_nc_u32_e32 v8, s7, v25
	s_wait_alu 0xfffd
	v_cndmask_b32_e64 v3, 0, 1, vcc_lo
	v_sub_nc_u32_e32 v6, v6, v7
	v_mul_lo_u32 v15, v15, s6
	v_cmp_lt_u32_e32 vcc_lo, s3, v5
	v_mul_lo_u32 v7, v8, s6
	v_sub_nc_u32_e32 v8, v9, v10
	v_add_nc_u32_e32 v9, s5, v22
	v_add_nc_u32_e32 v10, s5, v24
	s_wait_alu 0xfffd
	v_cndmask_b32_e64 v5, 0, 1, vcc_lo
	v_cmp_lt_u32_e32 vcc_lo, s3, v6
	v_add_nc_u32_e32 v11, s5, v25
	v_mul_lo_u32 v9, v9, s4
	v_mul_lo_u32 v10, v10, s4
	v_add_nc_u32_e32 v12, s5, v23
	s_wait_alu 0xfffd
	v_cndmask_b32_e64 v6, 0, 1, vcc_lo
	v_mul_lo_u32 v11, v11, s4
	v_add_nc_u32_e32 v16, s7, v23
	v_lshlrev_b16 v3, 8, v3
	v_add_nc_u32_e32 v13, s5, v21
	v_sub_nc_u32_e32 v9, v9, v14
	v_sub_nc_u32_e32 v10, v10, v15
	v_add_nc_u32_e32 v19, s7, v21
	v_mul_lo_u32 v12, v12, s4
	v_mul_lo_u32 v16, v16, s6
	v_cmp_lt_u32_e32 vcc_lo, s3, v9
	v_sub_nc_u32_e32 v7, v11, v7
	v_lshrrev_b32_e32 v3, 8, v3
	v_mul_lo_u32 v11, v13, s4
	v_mul_lo_u32 v13, v19, s6
	s_wait_alu 0xfffd
	v_cndmask_b32_e64 v9, 0, 1, vcc_lo
	v_cmp_lt_u32_e32 vcc_lo, s3, v2
	v_sub_nc_u32_e32 v12, v12, v16
	v_lshlrev_b16 v3, 8, v3
	v_lshlrev_b16 v1, 8, v1
	;; [unrolled: 1-line block ×3, first 2 shown]
	s_wait_alu 0xfffd
	v_cndmask_b32_e64 v2, 0, 1, vcc_lo
	v_cmp_lt_u32_e32 vcc_lo, s3, v10
	v_sub_nc_u32_e32 v11, v11, v13
	v_add_nc_u32_e32 v14, s5, v47
	v_add_nc_u32_e32 v15, s7, v47
	v_or_b32_e32 v2, v2, v3
	s_wait_alu 0xfffd
	v_cndmask_b32_e64 v10, 0, 1, vcc_lo
	v_cmp_lt_u32_e32 vcc_lo, s3, v4
	v_lshlrev_b16 v3, 8, v9
	v_lshrrev_b32_e32 v5, 8, v5
	v_lshrrev_b32_e32 v1, 8, v1
	v_lshlrev_b16 v9, 8, v10
	s_wait_alu 0xfffd
	v_cndmask_b32_e64 v4, 0, 1, vcc_lo
	v_cmp_lt_u32_e32 vcc_lo, s3, v8
	v_lshrrev_b32_e32 v3, 8, v3
	v_mul_lo_u32 v14, v14, s4
	v_lshrrev_b32_e32 v9, 8, v9
	v_mul_lo_u32 v15, v15, s6
	s_wait_alu 0xfffd
	v_cndmask_b32_e64 v8, 0, 1, vcc_lo
	v_cmp_lt_u32_e32 vcc_lo, s3, v7
	v_lshlrev_b16 v6, 8, v6
	v_lshlrev_b16 v1, 8, v1
	;; [unrolled: 1-line block ×4, first 2 shown]
	s_wait_alu 0xfffd
	v_cndmask_b32_e64 v7, 0, 1, vcc_lo
	v_cmp_lt_u32_e32 vcc_lo, s3, v12
	v_lshlrev_b16 v3, 8, v3
	v_sub_nc_u32_e32 v10, v14, v15
	v_or_b32_e32 v1, v4, v1
	v_or_b32_e32 v4, v8, v5
	s_wait_alu 0xfffd
	v_cndmask_b32_e64 v12, 0, 1, vcc_lo
	v_cmp_lt_u32_e32 vcc_lo, s3, v11
	v_or_b32_e32 v5, v7, v6
	v_and_b32_e32 v2, 0xffff, v2
	v_lshlrev_b32_e32 v1, 16, v1
	v_or_b32_e32 v6, v12, v9
	s_wait_alu 0xfffd
	v_cndmask_b32_e64 v11, 0, 1, vcc_lo
	v_and_b32_e32 v4, 0xffff, v4
	v_lshlrev_b32_e32 v5, 16, v5
	v_cmp_lt_u32_e32 vcc_lo, s3, v10
	v_and_b32_e32 v6, 0xffff, v6
	v_or_b32_e32 v3, v11, v3
	v_or_b32_e32 v54, v2, v1
	;; [unrolled: 1-line block ×3, first 2 shown]
	s_wait_alu 0xfffd
	v_cndmask_b32_e64 v49, 0, 1, vcc_lo
	v_lshlrev_b32_e32 v3, 16, v3
	s_delay_alu instid0(VALU_DEP_1)
	v_or_b32_e32 v50, v6, v3
	s_cbranch_execz .LBB1115_11
	s_branch .LBB1115_38
.LBB1115_10:
                                        ; implicit-def: $vgpr49
                                        ; implicit-def: $vgpr50
                                        ; implicit-def: $vgpr52
                                        ; implicit-def: $vgpr54
.LBB1115_11:
	v_dual_mov_b32 v2, 0 :: v_dual_mov_b32 v1, 0
	s_mov_b32 s0, exec_lo
	v_cmpx_gt_u32_e64 s22, v48
	s_cbranch_execz .LBB1115_13
; %bb.12:
	v_add_nc_u32_e32 v1, s5, v31
	v_add_nc_u32_e32 v3, s7, v31
	s_delay_alu instid0(VALU_DEP_2) | instskip(NEXT) | instid1(VALU_DEP_2)
	v_mul_lo_u32 v1, v1, s4
	v_mul_lo_u32 v3, v3, s6
	s_delay_alu instid0(VALU_DEP_1) | instskip(NEXT) | instid1(VALU_DEP_1)
	v_sub_nc_u32_e32 v1, v1, v3
	v_cmp_lt_u32_e32 vcc_lo, s3, v1
	s_wait_alu 0xfffd
	v_cndmask_b32_e64 v1, 0, 1, vcc_lo
.LBB1115_13:
	s_wait_alu 0xfffe
	s_or_b32 exec_lo, exec_lo, s0
	v_add_nc_u32_e32 v3, 1, v48
	s_mov_b32 s0, exec_lo
	s_delay_alu instid0(VALU_DEP_1)
	v_cmpx_gt_u32_e64 s22, v3
	s_cbranch_execz .LBB1115_15
; %bb.14:
	v_add_nc_u32_e32 v2, s5, v32
	v_add_nc_u32_e32 v3, s7, v32
	s_delay_alu instid0(VALU_DEP_2) | instskip(NEXT) | instid1(VALU_DEP_2)
	v_mul_lo_u32 v2, v2, s4
	v_mul_lo_u32 v3, v3, s6
	s_delay_alu instid0(VALU_DEP_1) | instskip(NEXT) | instid1(VALU_DEP_1)
	v_sub_nc_u32_e32 v2, v2, v3
	v_cmp_lt_u32_e32 vcc_lo, s3, v2
	s_wait_alu 0xfffd
	v_cndmask_b32_e64 v2, 0, 1, vcc_lo
.LBB1115_15:
	s_wait_alu 0xfffe
	s_or_b32 exec_lo, exec_lo, s0
	v_dual_mov_b32 v4, 0 :: v_dual_add_nc_u32 v3, 2, v48
	s_delay_alu instid0(VALU_DEP_1)
	v_cmp_gt_u32_e32 vcc_lo, s22, v3
	v_mov_b32_e32 v3, 0
	s_and_saveexec_b32 s0, vcc_lo
	s_cbranch_execz .LBB1115_17
; %bb.16:
	v_add_nc_u32_e32 v3, s5, v29
	v_add_nc_u32_e32 v5, s7, v29
	s_delay_alu instid0(VALU_DEP_2) | instskip(NEXT) | instid1(VALU_DEP_2)
	v_mul_lo_u32 v3, v3, s4
	v_mul_lo_u32 v5, v5, s6
	s_delay_alu instid0(VALU_DEP_1) | instskip(NEXT) | instid1(VALU_DEP_1)
	v_sub_nc_u32_e32 v3, v3, v5
	v_cmp_lt_u32_e32 vcc_lo, s3, v3
	s_wait_alu 0xfffd
	v_cndmask_b32_e64 v3, 0, 1, vcc_lo
.LBB1115_17:
	s_wait_alu 0xfffe
	s_or_b32 exec_lo, exec_lo, s0
	v_add_nc_u32_e32 v5, 3, v48
	s_mov_b32 s0, exec_lo
	s_delay_alu instid0(VALU_DEP_1)
	v_cmpx_gt_u32_e64 s22, v5
	s_cbranch_execz .LBB1115_19
; %bb.18:
	v_add_nc_u32_e32 v4, s5, v30
	v_add_nc_u32_e32 v5, s7, v30
	s_delay_alu instid0(VALU_DEP_2) | instskip(NEXT) | instid1(VALU_DEP_2)
	v_mul_lo_u32 v4, v4, s4
	v_mul_lo_u32 v5, v5, s6
	s_delay_alu instid0(VALU_DEP_1) | instskip(NEXT) | instid1(VALU_DEP_1)
	v_sub_nc_u32_e32 v4, v4, v5
	v_cmp_lt_u32_e32 vcc_lo, s3, v4
	s_wait_alu 0xfffd
	v_cndmask_b32_e64 v4, 0, 1, vcc_lo
.LBB1115_19:
	s_wait_alu 0xfffe
	s_or_b32 exec_lo, exec_lo, s0
	v_dual_mov_b32 v6, 0 :: v_dual_add_nc_u32 v5, 4, v48
	s_delay_alu instid0(VALU_DEP_1)
	v_cmp_gt_u32_e32 vcc_lo, s22, v5
	v_mov_b32_e32 v5, 0
	s_and_saveexec_b32 s0, vcc_lo
	;; [unrolled: 39-line block ×5, first 2 shown]
	s_cbranch_execz .LBB1115_33
; %bb.32:
	v_add_nc_u32_e32 v11, s5, v21
	v_add_nc_u32_e32 v13, s7, v21
	s_delay_alu instid0(VALU_DEP_2) | instskip(NEXT) | instid1(VALU_DEP_2)
	v_mul_lo_u32 v11, v11, s4
	v_mul_lo_u32 v13, v13, s6
	s_delay_alu instid0(VALU_DEP_1) | instskip(NEXT) | instid1(VALU_DEP_1)
	v_sub_nc_u32_e32 v11, v11, v13
	v_cmp_lt_u32_e32 vcc_lo, s3, v11
	s_wait_alu 0xfffd
	v_cndmask_b32_e64 v11, 0, 1, vcc_lo
.LBB1115_33:
	s_wait_alu 0xfffe
	s_or_b32 exec_lo, exec_lo, s0
	v_add_nc_u32_e32 v13, 11, v48
	s_mov_b32 s0, exec_lo
	s_delay_alu instid0(VALU_DEP_1)
	v_cmpx_gt_u32_e64 s22, v13
	s_cbranch_execz .LBB1115_35
; %bb.34:
	v_add_nc_u32_e32 v12, s5, v22
	v_add_nc_u32_e32 v13, s7, v22
	s_delay_alu instid0(VALU_DEP_2) | instskip(NEXT) | instid1(VALU_DEP_2)
	v_mul_lo_u32 v12, v12, s4
	v_mul_lo_u32 v13, v13, s6
	s_delay_alu instid0(VALU_DEP_1) | instskip(NEXT) | instid1(VALU_DEP_1)
	v_sub_nc_u32_e32 v12, v12, v13
	v_cmp_lt_u32_e32 vcc_lo, s3, v12
	s_wait_alu 0xfffd
	v_cndmask_b32_e64 v12, 0, 1, vcc_lo
.LBB1115_35:
	s_wait_alu 0xfffe
	s_or_b32 exec_lo, exec_lo, s0
	v_add_nc_u32_e32 v13, 12, v48
	v_mov_b32_e32 v49, 0
	s_mov_b32 s0, exec_lo
	s_delay_alu instid0(VALU_DEP_2)
	v_cmpx_gt_u32_e64 s22, v13
	s_cbranch_execz .LBB1115_37
; %bb.36:
	v_add_nc_u32_e32 v13, s5, v47
	v_add_nc_u32_e32 v14, s7, v47
	s_delay_alu instid0(VALU_DEP_2) | instskip(NEXT) | instid1(VALU_DEP_2)
	v_mul_lo_u32 v13, v13, s4
	v_mul_lo_u32 v14, v14, s6
	s_delay_alu instid0(VALU_DEP_1) | instskip(NEXT) | instid1(VALU_DEP_1)
	v_sub_nc_u32_e32 v13, v13, v14
	v_cmp_lt_u32_e32 vcc_lo, s3, v13
	s_wait_alu 0xfffd
	v_cndmask_b32_e64 v49, 0, 1, vcc_lo
.LBB1115_37:
	s_wait_alu 0xfffe
	s_or_b32 exec_lo, exec_lo, s0
	v_lshlrev_b16 v2, 8, v2
	v_lshlrev_b16 v4, 8, v4
	;; [unrolled: 1-line block ×5, first 2 shown]
	v_or_b32_e32 v1, v1, v2
	v_lshlrev_b16 v2, 8, v12
	v_or_b32_e32 v3, v3, v4
	v_or_b32_e32 v4, v5, v6
	;; [unrolled: 1-line block ×5, first 2 shown]
	v_and_b32_e32 v1, 0xffff, v1
	v_lshlrev_b32_e32 v3, 16, v3
	v_and_b32_e32 v4, 0xffff, v4
	v_lshlrev_b32_e32 v5, 16, v5
	;; [unrolled: 2-line block ×3, first 2 shown]
	v_or_b32_e32 v54, v1, v3
	s_delay_alu instid0(VALU_DEP_4) | instskip(NEXT) | instid1(VALU_DEP_3)
	v_or_b32_e32 v52, v4, v5
	v_or_b32_e32 v50, v6, v2
.LBB1115_38:
	s_delay_alu instid0(VALU_DEP_3)
	v_and_b32_e32 v56, 0xff, v54
	v_bfe_u32 v57, v54, 8, 8
	v_bfe_u32 v58, v54, 16, 8
	v_lshrrev_b32_e32 v55, 24, v54
	v_and_b32_e32 v59, 0xff, v52
	v_bfe_u32 v60, v52, 8, 8
	v_bfe_u32 v61, v52, 16, 8
	v_add3_u32 v1, v57, v56, v58
	v_lshrrev_b32_e32 v53, 24, v52
	v_and_b32_e32 v62, 0xff, v50
	v_bfe_u32 v63, v50, 8, 8
	v_mbcnt_lo_u32_b32 v65, -1, 0
	v_add3_u32 v1, v1, v55, v59
	v_bfe_u32 v64, v50, 16, 8
	v_lshrrev_b32_e32 v51, 24, v50
	v_and_b32_e32 v2, 0xff, v49
	v_and_b32_e32 v3, 15, v65
	v_add3_u32 v1, v1, v60, v61
	v_or_b32_e32 v4, 31, v0
	v_and_b32_e32 v5, 16, v65
	v_lshrrev_b32_e32 v66, 5, v0
	v_cmp_eq_u32_e64 s6, 0, v3
	v_add3_u32 v1, v1, v53, v62
	v_cmp_lt_u32_e64 s5, 1, v3
	v_cmp_lt_u32_e64 s4, 3, v3
	;; [unrolled: 1-line block ×3, first 2 shown]
	v_cmp_eq_u32_e64 s1, 0, v5
	v_add3_u32 v1, v1, v63, v64
	v_cmp_eq_u32_e64 s0, v0, v4
	s_cmp_lg_u32 s15, 0
	s_mov_b32 s7, -1
	v_add3_u32 v67, v1, v51, v2
	s_cbranch_scc0 .LBB1115_59
; %bb.39:
	s_delay_alu instid0(VALU_DEP_1) | instskip(NEXT) | instid1(VALU_DEP_1)
	v_mov_b32_dpp v1, v67 row_shr:1 row_mask:0xf bank_mask:0xf
	v_cndmask_b32_e64 v1, v1, 0, s6
	s_delay_alu instid0(VALU_DEP_1) | instskip(NEXT) | instid1(VALU_DEP_1)
	v_add_nc_u32_e32 v1, v1, v67
	v_mov_b32_dpp v2, v1 row_shr:2 row_mask:0xf bank_mask:0xf
	s_delay_alu instid0(VALU_DEP_1) | instskip(NEXT) | instid1(VALU_DEP_1)
	v_cndmask_b32_e64 v2, 0, v2, s5
	v_add_nc_u32_e32 v1, v1, v2
	s_delay_alu instid0(VALU_DEP_1) | instskip(NEXT) | instid1(VALU_DEP_1)
	v_mov_b32_dpp v2, v1 row_shr:4 row_mask:0xf bank_mask:0xf
	v_cndmask_b32_e64 v2, 0, v2, s4
	s_delay_alu instid0(VALU_DEP_1) | instskip(NEXT) | instid1(VALU_DEP_1)
	v_add_nc_u32_e32 v1, v1, v2
	v_mov_b32_dpp v2, v1 row_shr:8 row_mask:0xf bank_mask:0xf
	s_delay_alu instid0(VALU_DEP_1) | instskip(NEXT) | instid1(VALU_DEP_1)
	v_cndmask_b32_e64 v2, 0, v2, s3
	v_add_nc_u32_e32 v1, v1, v2
	ds_swizzle_b32 v2, v1 offset:swizzle(BROADCAST,32,15)
	s_wait_dscnt 0x0
	v_cndmask_b32_e64 v2, v2, 0, s1
	s_delay_alu instid0(VALU_DEP_1)
	v_add_nc_u32_e32 v1, v1, v2
	s_and_saveexec_b32 s7, s0
; %bb.40:
	v_lshlrev_b32_e32 v2, 2, v66
	ds_store_b32 v2, v1
; %bb.41:
	s_wait_alu 0xfffe
	s_or_b32 exec_lo, exec_lo, s7
	s_delay_alu instid0(SALU_CYCLE_1)
	s_mov_b32 s7, exec_lo
	s_wait_loadcnt_dscnt 0x0
	s_barrier_signal -1
	s_barrier_wait -1
	global_inv scope:SCOPE_SE
	v_cmpx_gt_u32_e32 8, v0
	s_cbranch_execz .LBB1115_43
; %bb.42:
	ds_load_b32 v2, v45
	s_wait_dscnt 0x0
	v_mov_b32_dpp v4, v2 row_shr:1 row_mask:0xf bank_mask:0xf
	v_and_b32_e32 v3, 7, v65
	s_delay_alu instid0(VALU_DEP_1) | instskip(SKIP_1) | instid1(VALU_DEP_3)
	v_cmp_ne_u32_e32 vcc_lo, 0, v3
	s_wait_alu 0xfffd
	v_cndmask_b32_e32 v4, 0, v4, vcc_lo
	v_cmp_lt_u32_e32 vcc_lo, 1, v3
	s_delay_alu instid0(VALU_DEP_2) | instskip(NEXT) | instid1(VALU_DEP_1)
	v_add_nc_u32_e32 v2, v4, v2
	v_mov_b32_dpp v4, v2 row_shr:2 row_mask:0xf bank_mask:0xf
	s_wait_alu 0xfffd
	s_delay_alu instid0(VALU_DEP_1) | instskip(SKIP_1) | instid1(VALU_DEP_2)
	v_cndmask_b32_e32 v4, 0, v4, vcc_lo
	v_cmp_lt_u32_e32 vcc_lo, 3, v3
	v_add_nc_u32_e32 v2, v2, v4
	s_delay_alu instid0(VALU_DEP_1) | instskip(SKIP_1) | instid1(VALU_DEP_1)
	v_mov_b32_dpp v4, v2 row_shr:4 row_mask:0xf bank_mask:0xf
	s_wait_alu 0xfffd
	v_cndmask_b32_e32 v3, 0, v4, vcc_lo
	s_delay_alu instid0(VALU_DEP_1)
	v_add_nc_u32_e32 v2, v2, v3
	ds_store_b32 v45, v2
.LBB1115_43:
	s_wait_alu 0xfffe
	s_or_b32 exec_lo, exec_lo, s7
	s_delay_alu instid0(SALU_CYCLE_1)
	s_mov_b32 s8, exec_lo
	v_cmp_gt_u32_e32 vcc_lo, 32, v0
	s_wait_loadcnt_dscnt 0x0
	s_barrier_signal -1
	s_barrier_wait -1
	global_inv scope:SCOPE_SE
                                        ; implicit-def: $vgpr9
	v_cmpx_lt_u32_e32 31, v0
	s_cbranch_execz .LBB1115_45
; %bb.44:
	v_lshl_add_u32 v2, v66, 2, -4
	ds_load_b32 v9, v2
	s_wait_dscnt 0x0
	v_add_nc_u32_e32 v1, v9, v1
.LBB1115_45:
	s_wait_alu 0xfffe
	s_or_b32 exec_lo, exec_lo, s8
	v_sub_co_u32 v2, s7, v65, 1
	s_delay_alu instid0(VALU_DEP_1) | instskip(SKIP_1) | instid1(VALU_DEP_1)
	v_cmp_gt_i32_e64 s8, 0, v2
	s_wait_alu 0xf1ff
	v_cndmask_b32_e64 v2, v2, v65, s8
	s_delay_alu instid0(VALU_DEP_1)
	v_lshlrev_b32_e32 v2, 2, v2
	ds_bpermute_b32 v10, v2, v1
	s_and_saveexec_b32 s8, vcc_lo
	s_cbranch_execz .LBB1115_64
; %bb.46:
	v_mov_b32_e32 v5, 0
	ds_load_b32 v1, v5 offset:28
	s_and_saveexec_b32 s23, s7
	s_cbranch_execz .LBB1115_48
; %bb.47:
	s_add_co_i32 s24, s15, 32
	s_mov_b32 s25, 0
	v_mov_b32_e32 v2, 1
	s_lshl_b64 s[24:25], s[24:25], 3
	s_delay_alu instid0(SALU_CYCLE_1)
	s_add_nc_u64 s[24:25], s[20:21], s[24:25]
	s_wait_dscnt 0x0
	global_store_b64 v5, v[1:2], s[24:25] scope:SCOPE_DEV
.LBB1115_48:
	s_wait_alu 0xfffe
	s_or_b32 exec_lo, exec_lo, s23
	v_xad_u32 v3, v65, -1, s15
	s_mov_b32 s24, 0
	s_mov_b32 s23, exec_lo
	s_delay_alu instid0(VALU_DEP_1) | instskip(NEXT) | instid1(VALU_DEP_1)
	v_add_nc_u32_e32 v4, 32, v3
	v_lshlrev_b64_e32 v[4:5], 3, v[4:5]
	s_delay_alu instid0(VALU_DEP_1) | instskip(SKIP_1) | instid1(VALU_DEP_2)
	v_add_co_u32 v7, vcc_lo, s20, v4
	s_wait_alu 0xfffd
	v_add_co_ci_u32_e64 v8, null, s21, v5, vcc_lo
	global_load_b64 v[5:6], v[7:8], off scope:SCOPE_DEV
	s_wait_loadcnt 0x0
	v_and_b32_e32 v2, 0xff, v6
	s_delay_alu instid0(VALU_DEP_1)
	v_cmpx_eq_u16_e32 0, v2
	s_cbranch_execz .LBB1115_51
.LBB1115_49:                            ; =>This Inner Loop Header: Depth=1
	global_load_b64 v[5:6], v[7:8], off scope:SCOPE_DEV
	s_wait_loadcnt 0x0
	v_and_b32_e32 v2, 0xff, v6
	s_delay_alu instid0(VALU_DEP_1) | instskip(SKIP_1) | instid1(SALU_CYCLE_1)
	v_cmp_ne_u16_e32 vcc_lo, 0, v2
	s_or_b32 s24, vcc_lo, s24
	s_and_not1_b32 exec_lo, exec_lo, s24
	s_cbranch_execnz .LBB1115_49
; %bb.50:
	s_or_b32 exec_lo, exec_lo, s24
.LBB1115_51:
	s_wait_alu 0xfffe
	s_or_b32 exec_lo, exec_lo, s23
	v_cmp_ne_u32_e32 vcc_lo, 31, v65
	v_lshlrev_b32_e64 v12, v65, -1
	v_add_nc_u32_e32 v14, 2, v65
	v_add_nc_u32_e32 v16, 4, v65
	;; [unrolled: 1-line block ×3, first 2 shown]
	s_wait_alu 0xfffd
	v_add_co_ci_u32_e64 v2, null, 0, v65, vcc_lo
	v_lshl_or_b32 v68, v65, 2, 64
	v_add_nc_u32_e32 v69, 16, v65
	s_delay_alu instid0(VALU_DEP_3)
	v_lshlrev_b32_e32 v11, 2, v2
	v_and_b32_e32 v2, 0xff, v6
	ds_bpermute_b32 v4, v11, v5
	v_cmp_eq_u16_e32 vcc_lo, 2, v2
	s_wait_alu 0xfffd
	v_and_or_b32 v2, vcc_lo, v12, 0x80000000
	v_cmp_gt_u32_e32 vcc_lo, 30, v65
	s_delay_alu instid0(VALU_DEP_2) | instskip(SKIP_2) | instid1(VALU_DEP_2)
	v_ctz_i32_b32_e32 v2, v2
	s_wait_alu 0xfffd
	v_cndmask_b32_e64 v7, 0, 2, vcc_lo
	v_cmp_lt_u32_e32 vcc_lo, v65, v2
	s_delay_alu instid0(VALU_DEP_2) | instskip(SKIP_4) | instid1(VALU_DEP_2)
	v_add_lshl_u32 v13, v7, v65, 2
	s_wait_dscnt 0x0
	s_wait_alu 0xfffd
	v_cndmask_b32_e32 v4, 0, v4, vcc_lo
	v_cmp_gt_u32_e32 vcc_lo, 28, v65
	v_add_nc_u32_e32 v4, v4, v5
	s_wait_alu 0xfffd
	v_cndmask_b32_e64 v7, 0, 4, vcc_lo
	v_cmp_le_u32_e32 vcc_lo, v14, v2
	ds_bpermute_b32 v5, v13, v4
	v_add_lshl_u32 v15, v7, v65, 2
	s_wait_dscnt 0x0
	s_wait_alu 0xfffd
	v_cndmask_b32_e32 v5, 0, v5, vcc_lo
	v_cmp_gt_u32_e32 vcc_lo, 24, v65
	s_delay_alu instid0(VALU_DEP_2)
	v_add_nc_u32_e32 v4, v4, v5
	s_wait_alu 0xfffd
	v_cndmask_b32_e64 v7, 0, 8, vcc_lo
	v_cmp_le_u32_e32 vcc_lo, v16, v2
	ds_bpermute_b32 v5, v15, v4
	v_add_lshl_u32 v19, v7, v65, 2
	s_wait_dscnt 0x0
	s_wait_alu 0xfffd
	v_cndmask_b32_e32 v5, 0, v5, vcc_lo
	v_cmp_le_u32_e32 vcc_lo, v20, v2
	s_delay_alu instid0(VALU_DEP_2)
	v_add_nc_u32_e32 v4, v4, v5
	ds_bpermute_b32 v5, v19, v4
	s_wait_dscnt 0x0
	s_wait_alu 0xfffd
	v_cndmask_b32_e32 v5, 0, v5, vcc_lo
	v_cmp_le_u32_e32 vcc_lo, v69, v2
	s_delay_alu instid0(VALU_DEP_2) | instskip(SKIP_4) | instid1(VALU_DEP_1)
	v_add_nc_u32_e32 v4, v4, v5
	ds_bpermute_b32 v5, v68, v4
	s_wait_dscnt 0x0
	s_wait_alu 0xfffd
	v_cndmask_b32_e32 v2, 0, v5, vcc_lo
	v_dual_mov_b32 v4, 0 :: v_dual_add_nc_u32 v5, v4, v2
	s_branch .LBB1115_55
.LBB1115_52:                            ;   in Loop: Header=BB1115_55 Depth=1
	s_or_b32 exec_lo, exec_lo, s24
.LBB1115_53:                            ;   in Loop: Header=BB1115_55 Depth=1
	s_wait_alu 0xfffe
	s_or_b32 exec_lo, exec_lo, s23
	ds_bpermute_b32 v8, v11, v5
	v_and_b32_e32 v7, 0xff, v6
	v_subrev_nc_u32_e32 v3, 32, v3
	s_mov_b32 s23, 0
	s_delay_alu instid0(VALU_DEP_2) | instskip(SKIP_2) | instid1(VALU_DEP_1)
	v_cmp_eq_u16_e32 vcc_lo, 2, v7
	s_wait_alu 0xfffd
	v_and_or_b32 v7, vcc_lo, v12, 0x80000000
	v_ctz_i32_b32_e32 v7, v7
	s_delay_alu instid0(VALU_DEP_1) | instskip(SKIP_4) | instid1(VALU_DEP_2)
	v_cmp_lt_u32_e32 vcc_lo, v65, v7
	s_wait_dscnt 0x0
	s_wait_alu 0xfffd
	v_cndmask_b32_e32 v8, 0, v8, vcc_lo
	v_cmp_le_u32_e32 vcc_lo, v14, v7
	v_add_nc_u32_e32 v5, v8, v5
	ds_bpermute_b32 v8, v13, v5
	s_wait_dscnt 0x0
	s_wait_alu 0xfffd
	v_cndmask_b32_e32 v8, 0, v8, vcc_lo
	v_cmp_le_u32_e32 vcc_lo, v16, v7
	s_delay_alu instid0(VALU_DEP_2)
	v_add_nc_u32_e32 v5, v5, v8
	ds_bpermute_b32 v8, v15, v5
	s_wait_dscnt 0x0
	s_wait_alu 0xfffd
	v_cndmask_b32_e32 v8, 0, v8, vcc_lo
	v_cmp_le_u32_e32 vcc_lo, v20, v7
	s_delay_alu instid0(VALU_DEP_2)
	v_add_nc_u32_e32 v5, v5, v8
	ds_bpermute_b32 v8, v19, v5
	s_wait_dscnt 0x0
	s_wait_alu 0xfffd
	v_cndmask_b32_e32 v8, 0, v8, vcc_lo
	v_cmp_le_u32_e32 vcc_lo, v69, v7
	s_delay_alu instid0(VALU_DEP_2) | instskip(SKIP_4) | instid1(VALU_DEP_1)
	v_add_nc_u32_e32 v5, v5, v8
	ds_bpermute_b32 v8, v68, v5
	s_wait_dscnt 0x0
	s_wait_alu 0xfffd
	v_cndmask_b32_e32 v7, 0, v8, vcc_lo
	v_add3_u32 v5, v7, v2, v5
.LBB1115_54:                            ;   in Loop: Header=BB1115_55 Depth=1
	s_wait_alu 0xfffe
	s_and_b32 vcc_lo, exec_lo, s23
	s_wait_alu 0xfffe
	s_cbranch_vccnz .LBB1115_60
.LBB1115_55:                            ; =>This Loop Header: Depth=1
                                        ;     Child Loop BB1115_58 Depth 2
	v_and_b32_e32 v2, 0xff, v6
	s_mov_b32 s23, -1
                                        ; implicit-def: $vgpr6
	s_delay_alu instid0(VALU_DEP_1)
	v_cmp_ne_u16_e32 vcc_lo, 2, v2
	v_mov_b32_e32 v2, v5
                                        ; implicit-def: $vgpr5
	s_cmp_lg_u32 vcc_lo, exec_lo
	s_cbranch_scc1 .LBB1115_54
; %bb.56:                               ;   in Loop: Header=BB1115_55 Depth=1
	v_lshlrev_b64_e32 v[5:6], 3, v[3:4]
	s_mov_b32 s23, exec_lo
	s_delay_alu instid0(VALU_DEP_1) | instskip(SKIP_1) | instid1(VALU_DEP_2)
	v_add_co_u32 v7, vcc_lo, s20, v5
	s_wait_alu 0xfffd
	v_add_co_ci_u32_e64 v8, null, s21, v6, vcc_lo
	global_load_b64 v[5:6], v[7:8], off scope:SCOPE_DEV
	s_wait_loadcnt 0x0
	v_and_b32_e32 v70, 0xff, v6
	s_delay_alu instid0(VALU_DEP_1)
	v_cmpx_eq_u16_e32 0, v70
	s_cbranch_execz .LBB1115_53
; %bb.57:                               ;   in Loop: Header=BB1115_55 Depth=1
	s_mov_b32 s24, 0
.LBB1115_58:                            ;   Parent Loop BB1115_55 Depth=1
                                        ; =>  This Inner Loop Header: Depth=2
	global_load_b64 v[5:6], v[7:8], off scope:SCOPE_DEV
	s_wait_loadcnt 0x0
	v_and_b32_e32 v70, 0xff, v6
	s_delay_alu instid0(VALU_DEP_1) | instskip(SKIP_1) | instid1(SALU_CYCLE_1)
	v_cmp_ne_u16_e32 vcc_lo, 0, v70
	s_or_b32 s24, vcc_lo, s24
	s_and_not1_b32 exec_lo, exec_lo, s24
	s_cbranch_execnz .LBB1115_58
	s_branch .LBB1115_52
.LBB1115_59:
                                        ; implicit-def: $vgpr20
                                        ; implicit-def: $vgpr1_vgpr2_vgpr3_vgpr4_vgpr5_vgpr6_vgpr7_vgpr8_vgpr9_vgpr10_vgpr11_vgpr12_vgpr13_vgpr14_vgpr15_vgpr16
	s_wait_alu 0xfffe
	s_and_b32 vcc_lo, exec_lo, s7
	s_wait_alu 0xfffe
	s_cbranch_vccnz .LBB1115_65
	s_branch .LBB1115_74
.LBB1115_60:
	s_and_saveexec_b32 s23, s7
	s_cbranch_execz .LBB1115_62
; %bb.61:
	s_add_co_i32 s24, s15, 32
	s_mov_b32 s25, 0
	v_dual_mov_b32 v4, 2 :: v_dual_add_nc_u32 v3, v2, v1
	v_mov_b32_e32 v5, 0
	s_lshl_b64 s[24:25], s[24:25], 3
	s_delay_alu instid0(SALU_CYCLE_1)
	s_add_nc_u64 s[24:25], s[20:21], s[24:25]
	global_store_b64 v5, v[3:4], s[24:25] scope:SCOPE_DEV
	ds_store_b64 v5, v[1:2] offset:13312
.LBB1115_62:
	s_wait_alu 0xfffe
	s_or_b32 exec_lo, exec_lo, s23
	s_delay_alu instid0(SALU_CYCLE_1)
	s_and_b32 exec_lo, exec_lo, s2
; %bb.63:
	v_mov_b32_e32 v1, 0
	ds_store_b32 v1, v2 offset:28
.LBB1115_64:
	s_wait_alu 0xfffe
	s_or_b32 exec_lo, exec_lo, s8
	v_mov_b32_e32 v11, 0
	s_wait_storecnt 0x0
	s_wait_loadcnt_dscnt 0x0
	s_barrier_signal -1
	s_barrier_wait -1
	global_inv scope:SCOPE_SE
	ds_load_b32 v1, v11 offset:28
	v_cndmask_b32_e64 v2, v10, v9, s7
	s_wait_loadcnt_dscnt 0x0
	s_barrier_signal -1
	s_barrier_wait -1
	global_inv scope:SCOPE_SE
	v_cndmask_b32_e64 v2, v2, 0, s2
	s_delay_alu instid0(VALU_DEP_1) | instskip(NEXT) | instid1(VALU_DEP_1)
	v_add_nc_u32_e32 v1, v1, v2
	v_add_nc_u32_e32 v2, v1, v56
	ds_load_b64 v[19:20], v11 offset:13312
	v_add_nc_u32_e32 v3, v2, v57
	s_delay_alu instid0(VALU_DEP_1) | instskip(NEXT) | instid1(VALU_DEP_1)
	v_add_nc_u32_e32 v4, v3, v58
	v_add_nc_u32_e32 v5, v4, v55
	s_delay_alu instid0(VALU_DEP_1) | instskip(NEXT) | instid1(VALU_DEP_1)
	v_add_nc_u32_e32 v6, v5, v59
	;; [unrolled: 3-line block ×5, first 2 shown]
	v_add_nc_u32_e32 v13, v12, v51
	s_branch .LBB1115_74
.LBB1115_65:
	v_mov_b32_dpp v1, v67 row_shr:1 row_mask:0xf bank_mask:0xf
	s_delay_alu instid0(VALU_DEP_1) | instskip(NEXT) | instid1(VALU_DEP_1)
	v_cndmask_b32_e64 v1, v1, 0, s6
	v_add_nc_u32_e32 v1, v1, v67
	s_delay_alu instid0(VALU_DEP_1) | instskip(NEXT) | instid1(VALU_DEP_1)
	v_mov_b32_dpp v2, v1 row_shr:2 row_mask:0xf bank_mask:0xf
	v_cndmask_b32_e64 v2, 0, v2, s5
	s_delay_alu instid0(VALU_DEP_1) | instskip(NEXT) | instid1(VALU_DEP_1)
	v_add_nc_u32_e32 v1, v1, v2
	v_mov_b32_dpp v2, v1 row_shr:4 row_mask:0xf bank_mask:0xf
	s_delay_alu instid0(VALU_DEP_1) | instskip(NEXT) | instid1(VALU_DEP_1)
	v_cndmask_b32_e64 v2, 0, v2, s4
	v_add_nc_u32_e32 v1, v1, v2
	s_delay_alu instid0(VALU_DEP_1) | instskip(NEXT) | instid1(VALU_DEP_1)
	v_mov_b32_dpp v2, v1 row_shr:8 row_mask:0xf bank_mask:0xf
	v_cndmask_b32_e64 v2, 0, v2, s3
	s_delay_alu instid0(VALU_DEP_1) | instskip(SKIP_3) | instid1(VALU_DEP_1)
	v_add_nc_u32_e32 v1, v1, v2
	ds_swizzle_b32 v2, v1 offset:swizzle(BROADCAST,32,15)
	s_wait_dscnt 0x0
	v_cndmask_b32_e64 v2, v2, 0, s1
	v_add_nc_u32_e32 v1, v1, v2
	s_and_saveexec_b32 s1, s0
; %bb.66:
	v_lshlrev_b32_e32 v2, 2, v66
	ds_store_b32 v2, v1
; %bb.67:
	s_wait_alu 0xfffe
	s_or_b32 exec_lo, exec_lo, s1
	s_delay_alu instid0(SALU_CYCLE_1)
	s_mov_b32 s0, exec_lo
	s_wait_loadcnt_dscnt 0x0
	s_barrier_signal -1
	s_barrier_wait -1
	global_inv scope:SCOPE_SE
	v_cmpx_gt_u32_e32 8, v0
	s_cbranch_execz .LBB1115_69
; %bb.68:
	ds_load_b32 v2, v45
	s_wait_dscnt 0x0
	v_mov_b32_dpp v4, v2 row_shr:1 row_mask:0xf bank_mask:0xf
	v_and_b32_e32 v3, 7, v65
	s_delay_alu instid0(VALU_DEP_1) | instskip(SKIP_1) | instid1(VALU_DEP_3)
	v_cmp_ne_u32_e32 vcc_lo, 0, v3
	s_wait_alu 0xfffd
	v_cndmask_b32_e32 v4, 0, v4, vcc_lo
	v_cmp_lt_u32_e32 vcc_lo, 1, v3
	s_delay_alu instid0(VALU_DEP_2) | instskip(NEXT) | instid1(VALU_DEP_1)
	v_add_nc_u32_e32 v2, v4, v2
	v_mov_b32_dpp v4, v2 row_shr:2 row_mask:0xf bank_mask:0xf
	s_wait_alu 0xfffd
	s_delay_alu instid0(VALU_DEP_1) | instskip(SKIP_1) | instid1(VALU_DEP_2)
	v_cndmask_b32_e32 v4, 0, v4, vcc_lo
	v_cmp_lt_u32_e32 vcc_lo, 3, v3
	v_add_nc_u32_e32 v2, v2, v4
	s_delay_alu instid0(VALU_DEP_1) | instskip(SKIP_1) | instid1(VALU_DEP_1)
	v_mov_b32_dpp v4, v2 row_shr:4 row_mask:0xf bank_mask:0xf
	s_wait_alu 0xfffd
	v_cndmask_b32_e32 v3, 0, v4, vcc_lo
	s_delay_alu instid0(VALU_DEP_1)
	v_add_nc_u32_e32 v2, v2, v3
	ds_store_b32 v45, v2
.LBB1115_69:
	s_wait_alu 0xfffe
	s_or_b32 exec_lo, exec_lo, s0
	v_dual_mov_b32 v3, 0 :: v_dual_mov_b32 v2, 0
	s_mov_b32 s0, exec_lo
	s_wait_loadcnt_dscnt 0x0
	s_barrier_signal -1
	s_barrier_wait -1
	global_inv scope:SCOPE_SE
	v_cmpx_lt_u32_e32 31, v0
; %bb.70:
	v_lshl_add_u32 v2, v66, 2, -4
	ds_load_b32 v2, v2
; %bb.71:
	s_wait_alu 0xfffe
	s_or_b32 exec_lo, exec_lo, s0
	v_sub_co_u32 v4, vcc_lo, v65, 1
	s_wait_dscnt 0x0
	v_add_nc_u32_e32 v1, v2, v1
	ds_load_b32 v19, v3 offset:28
	v_cmp_gt_i32_e64 s0, 0, v4
	s_wait_alu 0xf1ff
	s_delay_alu instid0(VALU_DEP_1) | instskip(NEXT) | instid1(VALU_DEP_1)
	v_cndmask_b32_e64 v4, v4, v65, s0
	v_lshlrev_b32_e32 v4, 2, v4
	ds_bpermute_b32 v1, v4, v1
	s_and_saveexec_b32 s0, s2
	s_cbranch_execz .LBB1115_73
; %bb.72:
	v_dual_mov_b32 v3, 0 :: v_dual_mov_b32 v20, 2
	s_wait_dscnt 0x1
	global_store_b64 v3, v[19:20], s[20:21] offset:256 scope:SCOPE_DEV
.LBB1115_73:
	s_wait_alu 0xfffe
	s_or_b32 exec_lo, exec_lo, s0
	s_wait_dscnt 0x0
	s_wait_alu 0xfffd
	v_cndmask_b32_e32 v1, v1, v2, vcc_lo
	s_wait_loadcnt 0x0
	s_wait_storecnt 0x0
	s_barrier_signal -1
	s_barrier_wait -1
	global_inv scope:SCOPE_SE
	v_cndmask_b32_e64 v1, v1, 0, s2
	v_mov_b32_e32 v20, 0
	s_delay_alu instid0(VALU_DEP_2) | instskip(NEXT) | instid1(VALU_DEP_1)
	v_add_nc_u32_e32 v2, v1, v56
	v_add_nc_u32_e32 v3, v2, v57
	s_delay_alu instid0(VALU_DEP_1) | instskip(NEXT) | instid1(VALU_DEP_1)
	v_add_nc_u32_e32 v4, v3, v58
	v_add_nc_u32_e32 v5, v4, v55
	s_delay_alu instid0(VALU_DEP_1) | instskip(NEXT) | instid1(VALU_DEP_1)
	;; [unrolled: 3-line block ×5, first 2 shown]
	v_add_nc_u32_e32 v12, v11, v64
	v_add_nc_u32_e32 v13, v12, v51
.LBB1115_74:
	s_wait_dscnt 0x0
	v_sub_nc_u32_e32 v1, v1, v20
	v_sub_nc_u32_e32 v2, v2, v20
	v_add_nc_u32_e32 v48, v19, v48
	v_lshrrev_b32_e32 v58, 8, v54
	v_lshrrev_b32_e32 v57, 16, v54
	v_sub_nc_u32_e32 v4, v4, v20
	v_sub_nc_u32_e32 v3, v3, v20
	;; [unrolled: 1-line block ×3, first 2 shown]
	v_and_b32_e32 v54, 1, v54
	v_and_b32_e32 v58, 1, v58
	;; [unrolled: 1-line block ×3, first 2 shown]
	v_lshrrev_b32_e32 v56, 8, v52
	v_lshrrev_b32_e32 v16, 16, v52
	v_cmp_eq_u32_e32 vcc_lo, 1, v54
	v_and_b32_e32 v54, 1, v57
	v_sub_nc_u32_e32 v57, v48, v2
	v_lshrrev_b32_e32 v15, 8, v50
	v_lshrrev_b32_e32 v14, 16, v50
	s_wait_alu 0xfffd
	v_cndmask_b32_e32 v1, v59, v1, vcc_lo
	v_cmp_eq_u32_e32 vcc_lo, 1, v58
	v_add_nc_u32_e32 v57, 1, v57
	s_delay_alu instid0(VALU_DEP_3)
	v_lshlrev_b32_e32 v1, 2, v1
	ds_store_b32 v1, v31
	s_wait_alu 0xfffd
	v_cndmask_b32_e32 v1, v57, v2, vcc_lo
	v_sub_nc_u32_e32 v59, v48, v3
	v_sub_nc_u32_e32 v60, v48, v4
	v_cmp_eq_u32_e32 vcc_lo, 1, v54
	s_delay_alu instid0(VALU_DEP_4) | instskip(NEXT) | instid1(VALU_DEP_4)
	v_lshlrev_b32_e32 v1, 2, v1
	v_add_nc_u32_e32 v59, 2, v59
	s_delay_alu instid0(VALU_DEP_4)
	v_add_nc_u32_e32 v60, 3, v60
	ds_store_b32 v1, v32
	s_wait_alu 0xfffd
	v_cndmask_b32_e32 v2, v59, v3, vcc_lo
	v_cmp_eq_u32_e32 vcc_lo, 1, v55
	s_wait_alu 0xfffd
	s_delay_alu instid0(VALU_DEP_2) | instskip(SKIP_2) | instid1(VALU_DEP_3)
	v_dual_cndmask_b32 v3, v60, v4 :: v_dual_lshlrev_b32 v2, 2, v2
	v_sub_nc_u32_e32 v4, v5, v20
	v_sub_nc_u32_e32 v5, v6, v20
	v_lshlrev_b32_e32 v3, 2, v3
	s_delay_alu instid0(VALU_DEP_3) | instskip(NEXT) | instid1(VALU_DEP_3)
	v_sub_nc_u32_e32 v1, v48, v4
	v_sub_nc_u32_e32 v6, v48, v5
	ds_store_b32 v2, v29
	ds_store_b32 v3, v30
	v_and_b32_e32 v2, 1, v52
	v_add_nc_u32_e32 v1, 4, v1
	v_add_nc_u32_e32 v3, 5, v6
	v_sub_nc_u32_e32 v6, v7, v20
	v_and_b32_e32 v7, 1, v56
	v_cmp_eq_u32_e32 vcc_lo, 1, v2
	v_sub_nc_u32_e32 v2, v8, v20
	s_wait_alu 0xfffd
	v_dual_cndmask_b32 v1, v1, v4 :: v_dual_and_b32 v8, 1, v53
	v_sub_nc_u32_e32 v4, v48, v6
	v_cmp_eq_u32_e32 vcc_lo, 1, v7
	v_and_b32_e32 v7, 1, v16
	s_delay_alu instid0(VALU_DEP_4)
	v_lshlrev_b32_e32 v1, 2, v1
	s_wait_alu 0xfffd
	v_dual_cndmask_b32 v3, v3, v5 :: v_dual_add_nc_u32 v4, 6, v4
	v_sub_nc_u32_e32 v5, v48, v2
	v_cmp_eq_u32_e32 vcc_lo, 1, v7
	v_sub_nc_u32_e32 v7, v13, v20
	s_delay_alu instid0(VALU_DEP_4)
	v_lshlrev_b32_e32 v3, 2, v3
	s_wait_alu 0xfffd
	v_dual_cndmask_b32 v4, v4, v6 :: v_dual_add_nc_u32 v5, 7, v5
	v_cmp_eq_u32_e32 vcc_lo, 1, v8
	v_sub_nc_u32_e32 v6, v9, v20
	ds_store_b32 v1, v27
	ds_store_b32 v3, v28
	s_wait_alu 0xfffd
	v_dual_cndmask_b32 v2, v5, v2 :: v_dual_lshlrev_b32 v3, 2, v4
	v_sub_nc_u32_e32 v1, v48, v6
	v_and_b32_e32 v5, 1, v50
	v_sub_nc_u32_e32 v4, v10, v20
	v_and_b32_e32 v10, 1, v51
	v_lshlrev_b32_e32 v2, 2, v2
	v_add_nc_u32_e32 v1, 8, v1
	ds_store_b32 v3, v25
	ds_store_b32 v2, v26
	v_cmp_eq_u32_e32 vcc_lo, 1, v5
	v_sub_nc_u32_e32 v3, v11, v20
	v_sub_nc_u32_e32 v2, v48, v4
	;; [unrolled: 1-line block ×3, first 2 shown]
	v_and_b32_e32 v11, 1, v49
	s_wait_alu 0xfffd
	v_dual_cndmask_b32 v1, v1, v6 :: v_dual_and_b32 v6, 1, v15
	v_sub_nc_u32_e32 v8, v48, v3
	v_add_nc_u32_e32 v2, 9, v2
	v_sub_nc_u32_e32 v9, v48, v5
	s_delay_alu instid0(VALU_DEP_4)
	v_lshlrev_b32_e32 v1, 2, v1
	v_cmp_eq_u32_e32 vcc_lo, 1, v6
	v_add_nc_u32_e32 v6, 10, v8
	v_and_b32_e32 v8, 1, v14
	v_add_nc_u32_e32 v9, 11, v9
	v_add_co_u32 v15, s0, v17, v20
	s_wait_alu 0xfffd
	v_cndmask_b32_e32 v2, v2, v4, vcc_lo
	v_cmp_eq_u32_e32 vcc_lo, 1, v8
	v_sub_nc_u32_e32 v4, v48, v7
	s_wait_alu 0xf1ff
	v_add_co_ci_u32_e64 v16, null, 0, v18, s0
	s_wait_alu 0xfffd
	v_dual_cndmask_b32 v3, v6, v3 :: v_dual_lshlrev_b32 v2, 2, v2
	v_cmp_eq_u32_e32 vcc_lo, 1, v10
	v_add_nc_u32_e32 v4, 12, v4
	s_delay_alu instid0(VALU_DEP_3) | instskip(SKIP_4) | instid1(VALU_DEP_2)
	v_lshlrev_b32_e32 v3, 2, v3
	s_wait_alu 0xfffd
	v_cndmask_b32_e32 v5, v9, v5, vcc_lo
	v_cmp_eq_u32_e32 vcc_lo, 1, v11
	s_wait_alu 0xfffd
	v_dual_cndmask_b32 v4, v4, v7 :: v_dual_lshlrev_b32 v5, 2, v5
	v_cmp_ne_u32_e32 vcc_lo, 1, v46
	s_delay_alu instid0(VALU_DEP_2)
	v_lshlrev_b32_e32 v4, 2, v4
	ds_store_b32 v1, v23
	ds_store_b32 v2, v24
	;; [unrolled: 1-line block ×5, first 2 shown]
	s_wait_loadcnt_dscnt 0x0
	s_barrier_signal -1
	s_barrier_wait -1
	global_inv scope:SCOPE_SE
	ds_load_2addr_stride64_b32 v[11:12], v45 offset1:4
	ds_load_2addr_stride64_b32 v[9:10], v45 offset0:8 offset1:12
	ds_load_2addr_stride64_b32 v[7:8], v45 offset0:16 offset1:20
	;; [unrolled: 1-line block ×5, first 2 shown]
	ds_load_b32 v21, v45 offset:12288
	s_cbranch_vccnz .LBB1115_131
; %bb.75:
	s_mov_b32 s15, 0
	v_sub_co_u32 v13, vcc_lo, v15, s16
	s_wait_alu 0xfffe
	s_sub_nc_u64 s[0:1], s[18:19], s[14:15]
	s_wait_alu 0xfffd
	v_subrev_co_ci_u32_e64 v14, null, s17, v16, vcc_lo
	s_wait_alu 0xfffe
	v_add_co_u32 v17, s0, s0, v19
	s_wait_alu 0xf1ff
	v_add_co_ci_u32_e64 v18, null, s1, 0, s0
	s_mov_b32 s0, exec_lo
	v_add_co_u32 v17, vcc_lo, v17, v13
	s_wait_alu 0xfffd
	v_add_co_ci_u32_e64 v18, null, v18, v14, vcc_lo
                                        ; implicit-def: $vgpr13_vgpr14
	v_cmpx_ge_u32_e64 v0, v19
	s_wait_alu 0xfffe
	s_xor_b32 s0, exec_lo, s0
; %bb.76:
	v_not_b32_e32 v13, v0
	s_delay_alu instid0(VALU_DEP_1) | instskip(SKIP_2) | instid1(VALU_DEP_2)
	v_ashrrev_i32_e32 v14, 31, v13
	v_add_co_u32 v13, vcc_lo, v17, v13
	s_wait_alu 0xfffd
	v_add_co_ci_u32_e64 v14, null, v18, v14, vcc_lo
; %bb.77:
	s_wait_alu 0xfffe
	s_and_not1_saveexec_b32 s0, s0
; %bb.78:
	v_add_co_u32 v13, vcc_lo, v15, v0
	s_wait_alu 0xfffd
	v_add_co_ci_u32_e64 v14, null, 0, v16, vcc_lo
; %bb.79:
	s_wait_alu 0xfffe
	s_or_b32 exec_lo, exec_lo, s0
	s_delay_alu instid0(VALU_DEP_1) | instskip(SKIP_1) | instid1(VALU_DEP_1)
	v_lshlrev_b64_e32 v[13:14], 2, v[13:14]
	s_mov_b32 s0, exec_lo
	v_add_co_u32 v13, vcc_lo, s10, v13
	s_wait_alu 0xfffd
	s_delay_alu instid0(VALU_DEP_2)
	v_add_co_ci_u32_e64 v14, null, s11, v14, vcc_lo
	s_wait_dscnt 0x6
	global_store_b32 v[13:14], v11, off
                                        ; implicit-def: $vgpr13_vgpr14
	v_cmpx_ge_u32_e64 v44, v19
	s_wait_alu 0xfffe
	s_xor_b32 s0, exec_lo, s0
; %bb.80:
	v_xor_b32_e32 v13, 0xfffffeff, v0
	s_delay_alu instid0(VALU_DEP_1) | instskip(SKIP_2) | instid1(VALU_DEP_2)
	v_ashrrev_i32_e32 v14, 31, v13
	v_add_co_u32 v13, vcc_lo, v17, v13
	s_wait_alu 0xfffd
	v_add_co_ci_u32_e64 v14, null, v18, v14, vcc_lo
; %bb.81:
	s_wait_alu 0xfffe
	s_and_not1_saveexec_b32 s0, s0
; %bb.82:
	v_add_co_u32 v13, vcc_lo, v15, v44
	s_wait_alu 0xfffd
	v_add_co_ci_u32_e64 v14, null, 0, v16, vcc_lo
; %bb.83:
	s_wait_alu 0xfffe
	s_or_b32 exec_lo, exec_lo, s0
	s_delay_alu instid0(VALU_DEP_1) | instskip(SKIP_1) | instid1(VALU_DEP_1)
	v_lshlrev_b64_e32 v[13:14], 2, v[13:14]
	s_mov_b32 s0, exec_lo
	v_add_co_u32 v13, vcc_lo, s10, v13
	s_wait_alu 0xfffd
	s_delay_alu instid0(VALU_DEP_2)
	v_add_co_ci_u32_e64 v14, null, s11, v14, vcc_lo
	global_store_b32 v[13:14], v12, off
                                        ; implicit-def: $vgpr13_vgpr14
	v_cmpx_ge_u32_e64 v43, v19
	s_wait_alu 0xfffe
	s_xor_b32 s0, exec_lo, s0
; %bb.84:
	v_xor_b32_e32 v13, 0xfffffdff, v0
	s_delay_alu instid0(VALU_DEP_1) | instskip(SKIP_2) | instid1(VALU_DEP_2)
	v_ashrrev_i32_e32 v14, 31, v13
	v_add_co_u32 v13, vcc_lo, v17, v13
	s_wait_alu 0xfffd
	v_add_co_ci_u32_e64 v14, null, v18, v14, vcc_lo
; %bb.85:
	s_wait_alu 0xfffe
	s_and_not1_saveexec_b32 s0, s0
; %bb.86:
	v_add_co_u32 v13, vcc_lo, v15, v43
	s_wait_alu 0xfffd
	v_add_co_ci_u32_e64 v14, null, 0, v16, vcc_lo
; %bb.87:
	s_wait_alu 0xfffe
	s_or_b32 exec_lo, exec_lo, s0
	s_delay_alu instid0(VALU_DEP_1) | instskip(SKIP_1) | instid1(VALU_DEP_1)
	v_lshlrev_b64_e32 v[13:14], 2, v[13:14]
	s_mov_b32 s0, exec_lo
	v_add_co_u32 v13, vcc_lo, s10, v13
	s_wait_alu 0xfffd
	s_delay_alu instid0(VALU_DEP_2)
	v_add_co_ci_u32_e64 v14, null, s11, v14, vcc_lo
	s_wait_dscnt 0x5
	global_store_b32 v[13:14], v9, off
                                        ; implicit-def: $vgpr13_vgpr14
	v_cmpx_ge_u32_e64 v42, v19
	s_wait_alu 0xfffe
	s_xor_b32 s0, exec_lo, s0
; %bb.88:
	v_xor_b32_e32 v13, 0xfffffcff, v0
	s_delay_alu instid0(VALU_DEP_1) | instskip(SKIP_2) | instid1(VALU_DEP_2)
	v_ashrrev_i32_e32 v14, 31, v13
	v_add_co_u32 v13, vcc_lo, v17, v13
	s_wait_alu 0xfffd
	v_add_co_ci_u32_e64 v14, null, v18, v14, vcc_lo
; %bb.89:
	s_wait_alu 0xfffe
	s_and_not1_saveexec_b32 s0, s0
; %bb.90:
	v_add_co_u32 v13, vcc_lo, v15, v42
	s_wait_alu 0xfffd
	v_add_co_ci_u32_e64 v14, null, 0, v16, vcc_lo
; %bb.91:
	s_wait_alu 0xfffe
	s_or_b32 exec_lo, exec_lo, s0
	s_delay_alu instid0(VALU_DEP_1) | instskip(SKIP_1) | instid1(VALU_DEP_1)
	v_lshlrev_b64_e32 v[13:14], 2, v[13:14]
	s_mov_b32 s0, exec_lo
	v_add_co_u32 v13, vcc_lo, s10, v13
	s_wait_alu 0xfffd
	s_delay_alu instid0(VALU_DEP_2)
	v_add_co_ci_u32_e64 v14, null, s11, v14, vcc_lo
	global_store_b32 v[13:14], v10, off
                                        ; implicit-def: $vgpr13_vgpr14
	v_cmpx_ge_u32_e64 v41, v19
	s_wait_alu 0xfffe
	s_xor_b32 s0, exec_lo, s0
; %bb.92:
	v_xor_b32_e32 v13, 0xfffffbff, v0
	;; [unrolled: 59-line block ×6, first 2 shown]
	s_delay_alu instid0(VALU_DEP_1) | instskip(SKIP_2) | instid1(VALU_DEP_2)
	v_ashrrev_i32_e32 v14, 31, v13
	v_add_co_u32 v13, vcc_lo, v17, v13
	s_wait_alu 0xfffd
	v_add_co_ci_u32_e64 v14, null, v18, v14, vcc_lo
; %bb.125:
	s_wait_alu 0xfffe
	s_and_not1_saveexec_b32 s0, s0
; %bb.126:
	v_add_co_u32 v13, vcc_lo, v15, v33
	s_wait_alu 0xfffd
	v_add_co_ci_u32_e64 v14, null, 0, v16, vcc_lo
; %bb.127:
	s_wait_alu 0xfffe
	s_or_b32 exec_lo, exec_lo, s0
	s_mov_b32 s0, -1
.LBB1115_128:
	s_wait_alu 0xfffe
	s_and_saveexec_b32 s1, s0
	s_cbranch_execz .LBB1115_211
.LBB1115_129:
	s_wait_dscnt 0x1
	v_lshlrev_b64_e32 v[0:1], 2, v[13:14]
	s_delay_alu instid0(VALU_DEP_1) | instskip(SKIP_1) | instid1(VALU_DEP_2)
	v_add_co_u32 v0, vcc_lo, s10, v0
	s_wait_alu 0xfffd
	v_add_co_ci_u32_e64 v1, null, s11, v1, vcc_lo
	s_wait_dscnt 0x0
	global_store_b32 v[0:1], v21, off
	s_wait_alu 0xfffe
	s_or_b32 exec_lo, exec_lo, s1
	s_and_b32 s0, s2, s9
	s_wait_alu 0xfffe
	s_and_saveexec_b32 s1, s0
	s_cbranch_execnz .LBB1115_212
.LBB1115_130:
	s_endpgm
.LBB1115_131:
	s_mov_b32 s0, 0
                                        ; implicit-def: $vgpr13_vgpr14
	s_cbranch_execz .LBB1115_128
; %bb.132:
	s_mov_b32 s15, 0
	s_wait_alu 0xfffe
	s_add_nc_u64 s[4:5], s[16:17], s[14:15]
	s_wait_alu 0xfffe
	s_sub_nc_u64 s[4:5], s[18:19], s[4:5]
	s_wait_alu 0xfffe
	v_add_co_u32 v13, s1, s4, v19
	s_wait_alu 0xf1ff
	v_add_co_ci_u32_e64 v14, null, s5, 0, s1
	s_mov_b32 s1, exec_lo
	v_add_co_u32 v17, vcc_lo, v13, v15
	s_wait_alu 0xfffd
	v_add_co_ci_u32_e64 v18, null, v14, v16, vcc_lo
	v_cmpx_gt_u32_e64 s22, v0
	s_cbranch_execz .LBB1115_168
; %bb.133:
	s_mov_b32 s3, exec_lo
                                        ; implicit-def: $vgpr13_vgpr14
	v_cmpx_ge_u32_e64 v0, v19
	s_wait_alu 0xfffe
	s_xor_b32 s3, exec_lo, s3
; %bb.134:
	v_not_b32_e32 v13, v0
	s_delay_alu instid0(VALU_DEP_1) | instskip(SKIP_2) | instid1(VALU_DEP_2)
	v_ashrrev_i32_e32 v14, 31, v13
	v_add_co_u32 v13, vcc_lo, v17, v13
	s_wait_alu 0xfffd
	v_add_co_ci_u32_e64 v14, null, v18, v14, vcc_lo
; %bb.135:
	s_wait_alu 0xfffe
	s_and_not1_saveexec_b32 s3, s3
; %bb.136:
	v_add_co_u32 v13, vcc_lo, v15, v0
	s_wait_alu 0xfffd
	v_add_co_ci_u32_e64 v14, null, 0, v16, vcc_lo
; %bb.137:
	s_wait_alu 0xfffe
	s_or_b32 exec_lo, exec_lo, s3
	s_delay_alu instid0(VALU_DEP_1) | instskip(NEXT) | instid1(VALU_DEP_1)
	v_lshlrev_b64_e32 v[13:14], 2, v[13:14]
	v_add_co_u32 v13, vcc_lo, s10, v13
	s_wait_alu 0xfffd
	s_delay_alu instid0(VALU_DEP_2) | instskip(SKIP_3) | instid1(SALU_CYCLE_1)
	v_add_co_ci_u32_e64 v14, null, s11, v14, vcc_lo
	s_wait_dscnt 0x6
	global_store_b32 v[13:14], v11, off
	s_or_b32 exec_lo, exec_lo, s1
	s_mov_b32 s1, exec_lo
	v_cmpx_gt_u32_e64 s22, v44
	s_cbranch_execnz .LBB1115_169
.LBB1115_138:
	s_wait_alu 0xfffe
	s_or_b32 exec_lo, exec_lo, s1
	s_delay_alu instid0(SALU_CYCLE_1)
	s_mov_b32 s1, exec_lo
	v_cmpx_gt_u32_e64 s22, v43
	s_cbranch_execz .LBB1115_174
.LBB1115_139:
	s_mov_b32 s3, exec_lo
                                        ; implicit-def: $vgpr11_vgpr12
	v_cmpx_ge_u32_e64 v43, v19
	s_wait_alu 0xfffe
	s_xor_b32 s3, exec_lo, s3
	s_cbranch_execz .LBB1115_141
; %bb.140:
	s_wait_dscnt 0x6
	v_xor_b32_e32 v11, 0xfffffdff, v0
                                        ; implicit-def: $vgpr43
	s_delay_alu instid0(VALU_DEP_1) | instskip(SKIP_2) | instid1(VALU_DEP_2)
	v_ashrrev_i32_e32 v12, 31, v11
	v_add_co_u32 v11, vcc_lo, v17, v11
	s_wait_alu 0xfffd
	v_add_co_ci_u32_e64 v12, null, v18, v12, vcc_lo
.LBB1115_141:
	s_wait_alu 0xfffe
	s_and_not1_saveexec_b32 s3, s3
	s_cbranch_execz .LBB1115_143
; %bb.142:
	s_wait_dscnt 0x6
	v_add_co_u32 v11, vcc_lo, v15, v43
	s_wait_alu 0xfffd
	v_add_co_ci_u32_e64 v12, null, 0, v16, vcc_lo
.LBB1115_143:
	s_wait_alu 0xfffe
	s_or_b32 exec_lo, exec_lo, s3
	s_wait_dscnt 0x6
	s_delay_alu instid0(VALU_DEP_1) | instskip(NEXT) | instid1(VALU_DEP_1)
	v_lshlrev_b64_e32 v[11:12], 2, v[11:12]
	v_add_co_u32 v11, vcc_lo, s10, v11
	s_wait_alu 0xfffd
	s_delay_alu instid0(VALU_DEP_2) | instskip(SKIP_3) | instid1(SALU_CYCLE_1)
	v_add_co_ci_u32_e64 v12, null, s11, v12, vcc_lo
	s_wait_dscnt 0x5
	global_store_b32 v[11:12], v9, off
	s_or_b32 exec_lo, exec_lo, s1
	s_mov_b32 s1, exec_lo
	v_cmpx_gt_u32_e64 s22, v42
	s_cbranch_execnz .LBB1115_175
.LBB1115_144:
	s_wait_alu 0xfffe
	s_or_b32 exec_lo, exec_lo, s1
	s_delay_alu instid0(SALU_CYCLE_1)
	s_mov_b32 s1, exec_lo
	v_cmpx_gt_u32_e64 s22, v41
	s_cbranch_execz .LBB1115_180
.LBB1115_145:
	s_mov_b32 s3, exec_lo
                                        ; implicit-def: $vgpr9_vgpr10
	v_cmpx_ge_u32_e64 v41, v19
	s_wait_alu 0xfffe
	s_xor_b32 s3, exec_lo, s3
	s_cbranch_execz .LBB1115_147
; %bb.146:
	s_wait_dscnt 0x5
	v_xor_b32_e32 v9, 0xfffffbff, v0
                                        ; implicit-def: $vgpr41
	s_delay_alu instid0(VALU_DEP_1) | instskip(SKIP_2) | instid1(VALU_DEP_2)
	v_ashrrev_i32_e32 v10, 31, v9
	v_add_co_u32 v9, vcc_lo, v17, v9
	s_wait_alu 0xfffd
	v_add_co_ci_u32_e64 v10, null, v18, v10, vcc_lo
.LBB1115_147:
	s_wait_alu 0xfffe
	s_and_not1_saveexec_b32 s3, s3
	s_cbranch_execz .LBB1115_149
; %bb.148:
	s_wait_dscnt 0x5
	v_add_co_u32 v9, vcc_lo, v15, v41
	s_wait_alu 0xfffd
	v_add_co_ci_u32_e64 v10, null, 0, v16, vcc_lo
.LBB1115_149:
	s_wait_alu 0xfffe
	s_or_b32 exec_lo, exec_lo, s3
	s_wait_dscnt 0x5
	s_delay_alu instid0(VALU_DEP_1) | instskip(NEXT) | instid1(VALU_DEP_1)
	v_lshlrev_b64_e32 v[9:10], 2, v[9:10]
	v_add_co_u32 v9, vcc_lo, s10, v9
	s_wait_alu 0xfffd
	s_delay_alu instid0(VALU_DEP_2) | instskip(SKIP_3) | instid1(SALU_CYCLE_1)
	v_add_co_ci_u32_e64 v10, null, s11, v10, vcc_lo
	s_wait_dscnt 0x4
	global_store_b32 v[9:10], v7, off
	s_or_b32 exec_lo, exec_lo, s1
	s_mov_b32 s1, exec_lo
	v_cmpx_gt_u32_e64 s22, v40
	s_cbranch_execnz .LBB1115_181
.LBB1115_150:
	s_wait_alu 0xfffe
	s_or_b32 exec_lo, exec_lo, s1
	s_delay_alu instid0(SALU_CYCLE_1)
	s_mov_b32 s1, exec_lo
	v_cmpx_gt_u32_e64 s22, v39
	s_cbranch_execz .LBB1115_186
.LBB1115_151:
	s_mov_b32 s3, exec_lo
                                        ; implicit-def: $vgpr7_vgpr8
	v_cmpx_ge_u32_e64 v39, v19
	s_wait_alu 0xfffe
	s_xor_b32 s3, exec_lo, s3
	s_cbranch_execz .LBB1115_153
; %bb.152:
	s_wait_dscnt 0x4
	v_xor_b32_e32 v7, 0xfffff9ff, v0
                                        ; implicit-def: $vgpr39
	s_delay_alu instid0(VALU_DEP_1) | instskip(SKIP_2) | instid1(VALU_DEP_2)
	v_ashrrev_i32_e32 v8, 31, v7
	v_add_co_u32 v7, vcc_lo, v17, v7
	s_wait_alu 0xfffd
	v_add_co_ci_u32_e64 v8, null, v18, v8, vcc_lo
.LBB1115_153:
	s_wait_alu 0xfffe
	s_and_not1_saveexec_b32 s3, s3
	s_cbranch_execz .LBB1115_155
; %bb.154:
	s_wait_dscnt 0x4
	v_add_co_u32 v7, vcc_lo, v15, v39
	s_wait_alu 0xfffd
	v_add_co_ci_u32_e64 v8, null, 0, v16, vcc_lo
.LBB1115_155:
	s_wait_alu 0xfffe
	s_or_b32 exec_lo, exec_lo, s3
	s_wait_dscnt 0x4
	s_delay_alu instid0(VALU_DEP_1) | instskip(NEXT) | instid1(VALU_DEP_1)
	v_lshlrev_b64_e32 v[7:8], 2, v[7:8]
	v_add_co_u32 v7, vcc_lo, s10, v7
	s_wait_alu 0xfffd
	s_delay_alu instid0(VALU_DEP_2) | instskip(SKIP_3) | instid1(SALU_CYCLE_1)
	v_add_co_ci_u32_e64 v8, null, s11, v8, vcc_lo
	s_wait_dscnt 0x3
	global_store_b32 v[7:8], v5, off
	s_or_b32 exec_lo, exec_lo, s1
	s_mov_b32 s1, exec_lo
	v_cmpx_gt_u32_e64 s22, v38
	s_cbranch_execnz .LBB1115_187
.LBB1115_156:
	s_wait_alu 0xfffe
	s_or_b32 exec_lo, exec_lo, s1
	s_delay_alu instid0(SALU_CYCLE_1)
	s_mov_b32 s1, exec_lo
	v_cmpx_gt_u32_e64 s22, v37
	s_cbranch_execz .LBB1115_192
.LBB1115_157:
	s_mov_b32 s3, exec_lo
                                        ; implicit-def: $vgpr5_vgpr6
	v_cmpx_ge_u32_e64 v37, v19
	s_wait_alu 0xfffe
	s_xor_b32 s3, exec_lo, s3
	s_cbranch_execz .LBB1115_159
; %bb.158:
	s_wait_dscnt 0x3
	v_xor_b32_e32 v5, 0xfffff7ff, v0
                                        ; implicit-def: $vgpr37
	s_delay_alu instid0(VALU_DEP_1) | instskip(SKIP_2) | instid1(VALU_DEP_2)
	v_ashrrev_i32_e32 v6, 31, v5
	v_add_co_u32 v5, vcc_lo, v17, v5
	s_wait_alu 0xfffd
	v_add_co_ci_u32_e64 v6, null, v18, v6, vcc_lo
.LBB1115_159:
	s_wait_alu 0xfffe
	s_and_not1_saveexec_b32 s3, s3
	s_cbranch_execz .LBB1115_161
; %bb.160:
	s_wait_dscnt 0x3
	v_add_co_u32 v5, vcc_lo, v15, v37
	s_wait_alu 0xfffd
	v_add_co_ci_u32_e64 v6, null, 0, v16, vcc_lo
.LBB1115_161:
	s_wait_alu 0xfffe
	s_or_b32 exec_lo, exec_lo, s3
	s_wait_dscnt 0x3
	s_delay_alu instid0(VALU_DEP_1) | instskip(NEXT) | instid1(VALU_DEP_1)
	v_lshlrev_b64_e32 v[5:6], 2, v[5:6]
	v_add_co_u32 v5, vcc_lo, s10, v5
	s_wait_alu 0xfffd
	s_delay_alu instid0(VALU_DEP_2) | instskip(SKIP_3) | instid1(SALU_CYCLE_1)
	v_add_co_ci_u32_e64 v6, null, s11, v6, vcc_lo
	s_wait_dscnt 0x2
	global_store_b32 v[5:6], v3, off
	s_or_b32 exec_lo, exec_lo, s1
	s_mov_b32 s1, exec_lo
	v_cmpx_gt_u32_e64 s22, v36
	s_cbranch_execnz .LBB1115_193
.LBB1115_162:
	s_wait_alu 0xfffe
	s_or_b32 exec_lo, exec_lo, s1
	s_delay_alu instid0(SALU_CYCLE_1)
	s_mov_b32 s1, exec_lo
	v_cmpx_gt_u32_e64 s22, v35
	s_cbranch_execz .LBB1115_198
.LBB1115_163:
	s_mov_b32 s3, exec_lo
                                        ; implicit-def: $vgpr3_vgpr4
	v_cmpx_ge_u32_e64 v35, v19
	s_wait_alu 0xfffe
	s_xor_b32 s3, exec_lo, s3
	s_cbranch_execz .LBB1115_165
; %bb.164:
	s_wait_dscnt 0x2
	v_xor_b32_e32 v3, 0xfffff5ff, v0
                                        ; implicit-def: $vgpr35
	s_delay_alu instid0(VALU_DEP_1) | instskip(SKIP_2) | instid1(VALU_DEP_2)
	v_ashrrev_i32_e32 v4, 31, v3
	v_add_co_u32 v3, vcc_lo, v17, v3
	s_wait_alu 0xfffd
	v_add_co_ci_u32_e64 v4, null, v18, v4, vcc_lo
.LBB1115_165:
	s_wait_alu 0xfffe
	s_and_not1_saveexec_b32 s3, s3
	s_cbranch_execz .LBB1115_167
; %bb.166:
	s_wait_dscnt 0x2
	v_add_co_u32 v3, vcc_lo, v15, v35
	s_wait_alu 0xfffd
	v_add_co_ci_u32_e64 v4, null, 0, v16, vcc_lo
.LBB1115_167:
	s_wait_alu 0xfffe
	s_or_b32 exec_lo, exec_lo, s3
	s_wait_dscnt 0x2
	s_delay_alu instid0(VALU_DEP_1) | instskip(NEXT) | instid1(VALU_DEP_1)
	v_lshlrev_b64_e32 v[3:4], 2, v[3:4]
	v_add_co_u32 v3, vcc_lo, s10, v3
	s_wait_alu 0xfffd
	s_delay_alu instid0(VALU_DEP_2) | instskip(SKIP_3) | instid1(SALU_CYCLE_1)
	v_add_co_ci_u32_e64 v4, null, s11, v4, vcc_lo
	s_wait_dscnt 0x1
	global_store_b32 v[3:4], v1, off
	s_or_b32 exec_lo, exec_lo, s1
	s_mov_b32 s1, exec_lo
	v_cmpx_gt_u32_e64 s22, v34
	s_cbranch_execz .LBB1115_204
	s_branch .LBB1115_199
.LBB1115_168:
	s_wait_alu 0xfffe
	s_or_b32 exec_lo, exec_lo, s1
	s_delay_alu instid0(SALU_CYCLE_1)
	s_mov_b32 s1, exec_lo
	v_cmpx_gt_u32_e64 s22, v44
	s_cbranch_execz .LBB1115_138
.LBB1115_169:
	s_mov_b32 s3, exec_lo
                                        ; implicit-def: $vgpr13_vgpr14
	v_cmpx_ge_u32_e64 v44, v19
	s_wait_alu 0xfffe
	s_xor_b32 s3, exec_lo, s3
	s_cbranch_execz .LBB1115_171
; %bb.170:
	s_wait_dscnt 0x6
	v_xor_b32_e32 v11, 0xfffffeff, v0
                                        ; implicit-def: $vgpr44
	s_delay_alu instid0(VALU_DEP_1) | instskip(SKIP_2) | instid1(VALU_DEP_2)
	v_ashrrev_i32_e32 v14, 31, v11
	v_add_co_u32 v13, vcc_lo, v17, v11
	s_wait_alu 0xfffd
	v_add_co_ci_u32_e64 v14, null, v18, v14, vcc_lo
.LBB1115_171:
	s_wait_alu 0xfffe
	s_and_not1_saveexec_b32 s3, s3
; %bb.172:
	v_add_co_u32 v13, vcc_lo, v15, v44
	s_wait_alu 0xfffd
	v_add_co_ci_u32_e64 v14, null, 0, v16, vcc_lo
; %bb.173:
	s_wait_alu 0xfffe
	s_or_b32 exec_lo, exec_lo, s3
	s_delay_alu instid0(VALU_DEP_1) | instskip(NEXT) | instid1(VALU_DEP_1)
	v_lshlrev_b64_e32 v[13:14], 2, v[13:14]
	v_add_co_u32 v13, vcc_lo, s10, v13
	s_wait_alu 0xfffd
	s_delay_alu instid0(VALU_DEP_2) | instskip(SKIP_3) | instid1(SALU_CYCLE_1)
	v_add_co_ci_u32_e64 v14, null, s11, v14, vcc_lo
	s_wait_dscnt 0x6
	global_store_b32 v[13:14], v12, off
	s_or_b32 exec_lo, exec_lo, s1
	s_mov_b32 s1, exec_lo
	v_cmpx_gt_u32_e64 s22, v43
	s_cbranch_execnz .LBB1115_139
.LBB1115_174:
	s_wait_alu 0xfffe
	s_or_b32 exec_lo, exec_lo, s1
	s_delay_alu instid0(SALU_CYCLE_1)
	s_mov_b32 s1, exec_lo
	v_cmpx_gt_u32_e64 s22, v42
	s_cbranch_execz .LBB1115_144
.LBB1115_175:
	s_mov_b32 s3, exec_lo
                                        ; implicit-def: $vgpr11_vgpr12
	v_cmpx_ge_u32_e64 v42, v19
	s_wait_alu 0xfffe
	s_xor_b32 s3, exec_lo, s3
	s_cbranch_execz .LBB1115_177
; %bb.176:
	s_wait_dscnt 0x5
	v_xor_b32_e32 v9, 0xfffffcff, v0
                                        ; implicit-def: $vgpr42
	s_delay_alu instid0(VALU_DEP_1) | instskip(SKIP_2) | instid1(VALU_DEP_2)
	v_ashrrev_i32_e32 v12, 31, v9
	v_add_co_u32 v11, vcc_lo, v17, v9
	s_wait_alu 0xfffd
	v_add_co_ci_u32_e64 v12, null, v18, v12, vcc_lo
.LBB1115_177:
	s_wait_alu 0xfffe
	s_and_not1_saveexec_b32 s3, s3
	s_cbranch_execz .LBB1115_179
; %bb.178:
	s_wait_dscnt 0x6
	v_add_co_u32 v11, vcc_lo, v15, v42
	s_wait_alu 0xfffd
	v_add_co_ci_u32_e64 v12, null, 0, v16, vcc_lo
.LBB1115_179:
	s_wait_alu 0xfffe
	s_or_b32 exec_lo, exec_lo, s3
	s_wait_dscnt 0x6
	s_delay_alu instid0(VALU_DEP_1) | instskip(NEXT) | instid1(VALU_DEP_1)
	v_lshlrev_b64_e32 v[11:12], 2, v[11:12]
	v_add_co_u32 v11, vcc_lo, s10, v11
	s_wait_alu 0xfffd
	s_delay_alu instid0(VALU_DEP_2) | instskip(SKIP_3) | instid1(SALU_CYCLE_1)
	v_add_co_ci_u32_e64 v12, null, s11, v12, vcc_lo
	s_wait_dscnt 0x5
	global_store_b32 v[11:12], v10, off
	s_or_b32 exec_lo, exec_lo, s1
	s_mov_b32 s1, exec_lo
	v_cmpx_gt_u32_e64 s22, v41
	s_cbranch_execnz .LBB1115_145
.LBB1115_180:
	s_wait_alu 0xfffe
	s_or_b32 exec_lo, exec_lo, s1
	s_delay_alu instid0(SALU_CYCLE_1)
	s_mov_b32 s1, exec_lo
	v_cmpx_gt_u32_e64 s22, v40
	s_cbranch_execz .LBB1115_150
.LBB1115_181:
	s_mov_b32 s3, exec_lo
                                        ; implicit-def: $vgpr9_vgpr10
	v_cmpx_ge_u32_e64 v40, v19
	s_wait_alu 0xfffe
	s_xor_b32 s3, exec_lo, s3
	s_cbranch_execz .LBB1115_183
; %bb.182:
	s_wait_dscnt 0x4
	v_xor_b32_e32 v7, 0xfffffaff, v0
                                        ; implicit-def: $vgpr40
	s_delay_alu instid0(VALU_DEP_1) | instskip(SKIP_2) | instid1(VALU_DEP_2)
	v_ashrrev_i32_e32 v10, 31, v7
	v_add_co_u32 v9, vcc_lo, v17, v7
	s_wait_alu 0xfffd
	v_add_co_ci_u32_e64 v10, null, v18, v10, vcc_lo
.LBB1115_183:
	s_wait_alu 0xfffe
	s_and_not1_saveexec_b32 s3, s3
	s_cbranch_execz .LBB1115_185
; %bb.184:
	s_wait_dscnt 0x5
	v_add_co_u32 v9, vcc_lo, v15, v40
	s_wait_alu 0xfffd
	v_add_co_ci_u32_e64 v10, null, 0, v16, vcc_lo
.LBB1115_185:
	s_wait_alu 0xfffe
	s_or_b32 exec_lo, exec_lo, s3
	s_wait_dscnt 0x5
	s_delay_alu instid0(VALU_DEP_1) | instskip(NEXT) | instid1(VALU_DEP_1)
	v_lshlrev_b64_e32 v[9:10], 2, v[9:10]
	v_add_co_u32 v9, vcc_lo, s10, v9
	s_wait_alu 0xfffd
	s_delay_alu instid0(VALU_DEP_2) | instskip(SKIP_3) | instid1(SALU_CYCLE_1)
	v_add_co_ci_u32_e64 v10, null, s11, v10, vcc_lo
	s_wait_dscnt 0x4
	global_store_b32 v[9:10], v8, off
	s_or_b32 exec_lo, exec_lo, s1
	s_mov_b32 s1, exec_lo
	v_cmpx_gt_u32_e64 s22, v39
	s_cbranch_execnz .LBB1115_151
.LBB1115_186:
	s_wait_alu 0xfffe
	s_or_b32 exec_lo, exec_lo, s1
	s_delay_alu instid0(SALU_CYCLE_1)
	s_mov_b32 s1, exec_lo
	v_cmpx_gt_u32_e64 s22, v38
	s_cbranch_execz .LBB1115_156
.LBB1115_187:
	s_mov_b32 s3, exec_lo
                                        ; implicit-def: $vgpr7_vgpr8
	v_cmpx_ge_u32_e64 v38, v19
	s_wait_alu 0xfffe
	s_xor_b32 s3, exec_lo, s3
	s_cbranch_execz .LBB1115_189
; %bb.188:
	s_wait_dscnt 0x3
	v_xor_b32_e32 v5, 0xfffff8ff, v0
                                        ; implicit-def: $vgpr38
	s_delay_alu instid0(VALU_DEP_1) | instskip(SKIP_2) | instid1(VALU_DEP_2)
	v_ashrrev_i32_e32 v8, 31, v5
	v_add_co_u32 v7, vcc_lo, v17, v5
	s_wait_alu 0xfffd
	v_add_co_ci_u32_e64 v8, null, v18, v8, vcc_lo
.LBB1115_189:
	s_wait_alu 0xfffe
	s_and_not1_saveexec_b32 s3, s3
	s_cbranch_execz .LBB1115_191
; %bb.190:
	s_wait_dscnt 0x4
	v_add_co_u32 v7, vcc_lo, v15, v38
	s_wait_alu 0xfffd
	v_add_co_ci_u32_e64 v8, null, 0, v16, vcc_lo
.LBB1115_191:
	s_wait_alu 0xfffe
	s_or_b32 exec_lo, exec_lo, s3
	s_wait_dscnt 0x4
	s_delay_alu instid0(VALU_DEP_1) | instskip(NEXT) | instid1(VALU_DEP_1)
	v_lshlrev_b64_e32 v[7:8], 2, v[7:8]
	v_add_co_u32 v7, vcc_lo, s10, v7
	s_wait_alu 0xfffd
	s_delay_alu instid0(VALU_DEP_2) | instskip(SKIP_3) | instid1(SALU_CYCLE_1)
	v_add_co_ci_u32_e64 v8, null, s11, v8, vcc_lo
	s_wait_dscnt 0x3
	global_store_b32 v[7:8], v6, off
	s_or_b32 exec_lo, exec_lo, s1
	s_mov_b32 s1, exec_lo
	v_cmpx_gt_u32_e64 s22, v37
	s_cbranch_execnz .LBB1115_157
.LBB1115_192:
	s_wait_alu 0xfffe
	s_or_b32 exec_lo, exec_lo, s1
	s_delay_alu instid0(SALU_CYCLE_1)
	s_mov_b32 s1, exec_lo
	v_cmpx_gt_u32_e64 s22, v36
	s_cbranch_execz .LBB1115_162
.LBB1115_193:
	s_mov_b32 s3, exec_lo
                                        ; implicit-def: $vgpr5_vgpr6
	v_cmpx_ge_u32_e64 v36, v19
	s_wait_alu 0xfffe
	s_xor_b32 s3, exec_lo, s3
	s_cbranch_execz .LBB1115_195
; %bb.194:
	s_wait_dscnt 0x2
	v_xor_b32_e32 v3, 0xfffff6ff, v0
                                        ; implicit-def: $vgpr36
	s_delay_alu instid0(VALU_DEP_1) | instskip(SKIP_2) | instid1(VALU_DEP_2)
	v_ashrrev_i32_e32 v6, 31, v3
	v_add_co_u32 v5, vcc_lo, v17, v3
	s_wait_alu 0xfffd
	v_add_co_ci_u32_e64 v6, null, v18, v6, vcc_lo
.LBB1115_195:
	s_wait_alu 0xfffe
	s_and_not1_saveexec_b32 s3, s3
	s_cbranch_execz .LBB1115_197
; %bb.196:
	s_wait_dscnt 0x3
	v_add_co_u32 v5, vcc_lo, v15, v36
	s_wait_alu 0xfffd
	v_add_co_ci_u32_e64 v6, null, 0, v16, vcc_lo
.LBB1115_197:
	s_wait_alu 0xfffe
	s_or_b32 exec_lo, exec_lo, s3
	s_wait_dscnt 0x3
	s_delay_alu instid0(VALU_DEP_1) | instskip(NEXT) | instid1(VALU_DEP_1)
	v_lshlrev_b64_e32 v[5:6], 2, v[5:6]
	v_add_co_u32 v5, vcc_lo, s10, v5
	s_wait_alu 0xfffd
	s_delay_alu instid0(VALU_DEP_2) | instskip(SKIP_3) | instid1(SALU_CYCLE_1)
	v_add_co_ci_u32_e64 v6, null, s11, v6, vcc_lo
	s_wait_dscnt 0x2
	global_store_b32 v[5:6], v4, off
	s_or_b32 exec_lo, exec_lo, s1
	s_mov_b32 s1, exec_lo
	v_cmpx_gt_u32_e64 s22, v35
	s_cbranch_execnz .LBB1115_163
.LBB1115_198:
	s_wait_alu 0xfffe
	s_or_b32 exec_lo, exec_lo, s1
	s_delay_alu instid0(SALU_CYCLE_1)
	s_mov_b32 s1, exec_lo
	v_cmpx_gt_u32_e64 s22, v34
	s_cbranch_execz .LBB1115_204
.LBB1115_199:
	s_mov_b32 s3, exec_lo
                                        ; implicit-def: $vgpr3_vgpr4
	v_cmpx_ge_u32_e64 v34, v19
	s_wait_alu 0xfffe
	s_xor_b32 s3, exec_lo, s3
	s_cbranch_execz .LBB1115_201
; %bb.200:
	s_wait_dscnt 0x1
	v_xor_b32_e32 v1, 0xfffff4ff, v0
                                        ; implicit-def: $vgpr34
	s_delay_alu instid0(VALU_DEP_1) | instskip(SKIP_2) | instid1(VALU_DEP_2)
	v_ashrrev_i32_e32 v4, 31, v1
	v_add_co_u32 v3, vcc_lo, v17, v1
	s_wait_alu 0xfffd
	v_add_co_ci_u32_e64 v4, null, v18, v4, vcc_lo
.LBB1115_201:
	s_wait_alu 0xfffe
	s_and_not1_saveexec_b32 s3, s3
	s_cbranch_execz .LBB1115_203
; %bb.202:
	s_wait_dscnt 0x2
	v_add_co_u32 v3, vcc_lo, v15, v34
	s_wait_alu 0xfffd
	v_add_co_ci_u32_e64 v4, null, 0, v16, vcc_lo
.LBB1115_203:
	s_wait_alu 0xfffe
	s_or_b32 exec_lo, exec_lo, s3
	s_wait_dscnt 0x2
	s_delay_alu instid0(VALU_DEP_1) | instskip(NEXT) | instid1(VALU_DEP_1)
	v_lshlrev_b64_e32 v[3:4], 2, v[3:4]
	v_add_co_u32 v3, vcc_lo, s10, v3
	s_wait_alu 0xfffd
	s_delay_alu instid0(VALU_DEP_2)
	v_add_co_ci_u32_e64 v4, null, s11, v4, vcc_lo
	s_wait_dscnt 0x1
	global_store_b32 v[3:4], v2, off
.LBB1115_204:
	s_wait_alu 0xfffe
	s_or_b32 exec_lo, exec_lo, s1
	s_delay_alu instid0(SALU_CYCLE_1)
	s_mov_b32 s1, exec_lo
                                        ; implicit-def: $vgpr13_vgpr14
	v_cmpx_gt_u32_e64 s22, v33
	s_cbranch_execz .LBB1115_210
; %bb.205:
	s_mov_b32 s3, exec_lo
                                        ; implicit-def: $vgpr13_vgpr14
	v_cmpx_ge_u32_e64 v33, v19
	s_wait_alu 0xfffe
	s_xor_b32 s3, exec_lo, s3
	s_cbranch_execz .LBB1115_207
; %bb.206:
	v_xor_b32_e32 v0, 0xfffff3ff, v0
                                        ; implicit-def: $vgpr33
	s_wait_dscnt 0x1
	s_delay_alu instid0(VALU_DEP_1) | instskip(SKIP_2) | instid1(VALU_DEP_2)
	v_ashrrev_i32_e32 v1, 31, v0
	v_add_co_u32 v13, vcc_lo, v17, v0
	s_wait_alu 0xfffd
	v_add_co_ci_u32_e64 v14, null, v18, v1, vcc_lo
.LBB1115_207:
	s_wait_alu 0xfffe
	s_and_not1_saveexec_b32 s3, s3
; %bb.208:
	v_add_co_u32 v13, vcc_lo, v15, v33
	s_wait_alu 0xfffd
	v_add_co_ci_u32_e64 v14, null, 0, v16, vcc_lo
; %bb.209:
	s_wait_alu 0xfffe
	s_or_b32 exec_lo, exec_lo, s3
	s_delay_alu instid0(SALU_CYCLE_1)
	s_or_b32 s0, s0, exec_lo
.LBB1115_210:
	s_wait_alu 0xfffe
	s_or_b32 exec_lo, exec_lo, s1
	s_and_saveexec_b32 s1, s0
	s_cbranch_execnz .LBB1115_129
.LBB1115_211:
	s_wait_alu 0xfffe
	s_or_b32 exec_lo, exec_lo, s1
	s_and_b32 s0, s2, s9
	s_wait_alu 0xfffe
	s_and_saveexec_b32 s1, s0
	s_cbranch_execz .LBB1115_130
.LBB1115_212:
	v_add_co_u32 v0, vcc_lo, v15, v19
	s_wait_dscnt 0x1
	v_mov_b32_e32 v2, 0
	s_wait_alu 0xfffd
	v_add_co_ci_u32_e64 v1, null, 0, v16, vcc_lo
	global_store_b64 v2, v[0:1], s[12:13]
	s_endpgm
	.section	.rodata,"a",@progbits
	.p2align	6, 0x0
	.amdhsa_kernel _ZN7rocprim17ROCPRIM_400000_NS6detail17trampoline_kernelINS0_13select_configILj256ELj13ELNS0_17block_load_methodE3ELS4_3ELS4_3ELNS0_20block_scan_algorithmE0ELj4294967295EEENS1_25partition_config_selectorILNS1_17partition_subalgoE3EjNS0_10empty_typeEbEEZZNS1_14partition_implILS8_3ELb0ES6_jNS0_17counting_iteratorIjlEEPS9_SE_NS0_5tupleIJPjSE_EEENSF_IJSE_SE_EEES9_SG_JZNS1_25segmented_radix_sort_implINS0_14default_configELb1EPKdPdPKlPlN2at6native12_GLOBAL__N_18offset_tEEE10hipError_tPvRmT1_PNSt15iterator_traitsISY_E10value_typeET2_T3_PNSZ_IS14_E10value_typeET4_jRbjT5_S1A_jjP12ihipStream_tbEUljE_EEESV_SW_SX_S14_S18_S1A_T6_T7_T9_mT8_S1C_bDpT10_ENKUlT_T0_E_clISt17integral_constantIbLb0EES1O_IbLb1EEEEDaS1K_S1L_EUlS1K_E_NS1_11comp_targetILNS1_3genE10ELNS1_11target_archE1200ELNS1_3gpuE4ELNS1_3repE0EEENS1_30default_config_static_selectorELNS0_4arch9wavefront6targetE0EEEvSY_
		.amdhsa_group_segment_fixed_size 13320
		.amdhsa_private_segment_fixed_size 0
		.amdhsa_kernarg_size 152
		.amdhsa_user_sgpr_count 2
		.amdhsa_user_sgpr_dispatch_ptr 0
		.amdhsa_user_sgpr_queue_ptr 0
		.amdhsa_user_sgpr_kernarg_segment_ptr 1
		.amdhsa_user_sgpr_dispatch_id 0
		.amdhsa_user_sgpr_private_segment_size 0
		.amdhsa_wavefront_size32 1
		.amdhsa_uses_dynamic_stack 0
		.amdhsa_enable_private_segment 0
		.amdhsa_system_sgpr_workgroup_id_x 1
		.amdhsa_system_sgpr_workgroup_id_y 0
		.amdhsa_system_sgpr_workgroup_id_z 0
		.amdhsa_system_sgpr_workgroup_info 0
		.amdhsa_system_vgpr_workitem_id 0
		.amdhsa_next_free_vgpr 71
		.amdhsa_next_free_sgpr 26
		.amdhsa_reserve_vcc 1
		.amdhsa_float_round_mode_32 0
		.amdhsa_float_round_mode_16_64 0
		.amdhsa_float_denorm_mode_32 3
		.amdhsa_float_denorm_mode_16_64 3
		.amdhsa_fp16_overflow 0
		.amdhsa_workgroup_processor_mode 1
		.amdhsa_memory_ordered 1
		.amdhsa_forward_progress 1
		.amdhsa_inst_pref_size 86
		.amdhsa_round_robin_scheduling 0
		.amdhsa_exception_fp_ieee_invalid_op 0
		.amdhsa_exception_fp_denorm_src 0
		.amdhsa_exception_fp_ieee_div_zero 0
		.amdhsa_exception_fp_ieee_overflow 0
		.amdhsa_exception_fp_ieee_underflow 0
		.amdhsa_exception_fp_ieee_inexact 0
		.amdhsa_exception_int_div_zero 0
	.end_amdhsa_kernel
	.section	.text._ZN7rocprim17ROCPRIM_400000_NS6detail17trampoline_kernelINS0_13select_configILj256ELj13ELNS0_17block_load_methodE3ELS4_3ELS4_3ELNS0_20block_scan_algorithmE0ELj4294967295EEENS1_25partition_config_selectorILNS1_17partition_subalgoE3EjNS0_10empty_typeEbEEZZNS1_14partition_implILS8_3ELb0ES6_jNS0_17counting_iteratorIjlEEPS9_SE_NS0_5tupleIJPjSE_EEENSF_IJSE_SE_EEES9_SG_JZNS1_25segmented_radix_sort_implINS0_14default_configELb1EPKdPdPKlPlN2at6native12_GLOBAL__N_18offset_tEEE10hipError_tPvRmT1_PNSt15iterator_traitsISY_E10value_typeET2_T3_PNSZ_IS14_E10value_typeET4_jRbjT5_S1A_jjP12ihipStream_tbEUljE_EEESV_SW_SX_S14_S18_S1A_T6_T7_T9_mT8_S1C_bDpT10_ENKUlT_T0_E_clISt17integral_constantIbLb0EES1O_IbLb1EEEEDaS1K_S1L_EUlS1K_E_NS1_11comp_targetILNS1_3genE10ELNS1_11target_archE1200ELNS1_3gpuE4ELNS1_3repE0EEENS1_30default_config_static_selectorELNS0_4arch9wavefront6targetE0EEEvSY_,"axG",@progbits,_ZN7rocprim17ROCPRIM_400000_NS6detail17trampoline_kernelINS0_13select_configILj256ELj13ELNS0_17block_load_methodE3ELS4_3ELS4_3ELNS0_20block_scan_algorithmE0ELj4294967295EEENS1_25partition_config_selectorILNS1_17partition_subalgoE3EjNS0_10empty_typeEbEEZZNS1_14partition_implILS8_3ELb0ES6_jNS0_17counting_iteratorIjlEEPS9_SE_NS0_5tupleIJPjSE_EEENSF_IJSE_SE_EEES9_SG_JZNS1_25segmented_radix_sort_implINS0_14default_configELb1EPKdPdPKlPlN2at6native12_GLOBAL__N_18offset_tEEE10hipError_tPvRmT1_PNSt15iterator_traitsISY_E10value_typeET2_T3_PNSZ_IS14_E10value_typeET4_jRbjT5_S1A_jjP12ihipStream_tbEUljE_EEESV_SW_SX_S14_S18_S1A_T6_T7_T9_mT8_S1C_bDpT10_ENKUlT_T0_E_clISt17integral_constantIbLb0EES1O_IbLb1EEEEDaS1K_S1L_EUlS1K_E_NS1_11comp_targetILNS1_3genE10ELNS1_11target_archE1200ELNS1_3gpuE4ELNS1_3repE0EEENS1_30default_config_static_selectorELNS0_4arch9wavefront6targetE0EEEvSY_,comdat
.Lfunc_end1115:
	.size	_ZN7rocprim17ROCPRIM_400000_NS6detail17trampoline_kernelINS0_13select_configILj256ELj13ELNS0_17block_load_methodE3ELS4_3ELS4_3ELNS0_20block_scan_algorithmE0ELj4294967295EEENS1_25partition_config_selectorILNS1_17partition_subalgoE3EjNS0_10empty_typeEbEEZZNS1_14partition_implILS8_3ELb0ES6_jNS0_17counting_iteratorIjlEEPS9_SE_NS0_5tupleIJPjSE_EEENSF_IJSE_SE_EEES9_SG_JZNS1_25segmented_radix_sort_implINS0_14default_configELb1EPKdPdPKlPlN2at6native12_GLOBAL__N_18offset_tEEE10hipError_tPvRmT1_PNSt15iterator_traitsISY_E10value_typeET2_T3_PNSZ_IS14_E10value_typeET4_jRbjT5_S1A_jjP12ihipStream_tbEUljE_EEESV_SW_SX_S14_S18_S1A_T6_T7_T9_mT8_S1C_bDpT10_ENKUlT_T0_E_clISt17integral_constantIbLb0EES1O_IbLb1EEEEDaS1K_S1L_EUlS1K_E_NS1_11comp_targetILNS1_3genE10ELNS1_11target_archE1200ELNS1_3gpuE4ELNS1_3repE0EEENS1_30default_config_static_selectorELNS0_4arch9wavefront6targetE0EEEvSY_, .Lfunc_end1115-_ZN7rocprim17ROCPRIM_400000_NS6detail17trampoline_kernelINS0_13select_configILj256ELj13ELNS0_17block_load_methodE3ELS4_3ELS4_3ELNS0_20block_scan_algorithmE0ELj4294967295EEENS1_25partition_config_selectorILNS1_17partition_subalgoE3EjNS0_10empty_typeEbEEZZNS1_14partition_implILS8_3ELb0ES6_jNS0_17counting_iteratorIjlEEPS9_SE_NS0_5tupleIJPjSE_EEENSF_IJSE_SE_EEES9_SG_JZNS1_25segmented_radix_sort_implINS0_14default_configELb1EPKdPdPKlPlN2at6native12_GLOBAL__N_18offset_tEEE10hipError_tPvRmT1_PNSt15iterator_traitsISY_E10value_typeET2_T3_PNSZ_IS14_E10value_typeET4_jRbjT5_S1A_jjP12ihipStream_tbEUljE_EEESV_SW_SX_S14_S18_S1A_T6_T7_T9_mT8_S1C_bDpT10_ENKUlT_T0_E_clISt17integral_constantIbLb0EES1O_IbLb1EEEEDaS1K_S1L_EUlS1K_E_NS1_11comp_targetILNS1_3genE10ELNS1_11target_archE1200ELNS1_3gpuE4ELNS1_3repE0EEENS1_30default_config_static_selectorELNS0_4arch9wavefront6targetE0EEEvSY_
                                        ; -- End function
	.set _ZN7rocprim17ROCPRIM_400000_NS6detail17trampoline_kernelINS0_13select_configILj256ELj13ELNS0_17block_load_methodE3ELS4_3ELS4_3ELNS0_20block_scan_algorithmE0ELj4294967295EEENS1_25partition_config_selectorILNS1_17partition_subalgoE3EjNS0_10empty_typeEbEEZZNS1_14partition_implILS8_3ELb0ES6_jNS0_17counting_iteratorIjlEEPS9_SE_NS0_5tupleIJPjSE_EEENSF_IJSE_SE_EEES9_SG_JZNS1_25segmented_radix_sort_implINS0_14default_configELb1EPKdPdPKlPlN2at6native12_GLOBAL__N_18offset_tEEE10hipError_tPvRmT1_PNSt15iterator_traitsISY_E10value_typeET2_T3_PNSZ_IS14_E10value_typeET4_jRbjT5_S1A_jjP12ihipStream_tbEUljE_EEESV_SW_SX_S14_S18_S1A_T6_T7_T9_mT8_S1C_bDpT10_ENKUlT_T0_E_clISt17integral_constantIbLb0EES1O_IbLb1EEEEDaS1K_S1L_EUlS1K_E_NS1_11comp_targetILNS1_3genE10ELNS1_11target_archE1200ELNS1_3gpuE4ELNS1_3repE0EEENS1_30default_config_static_selectorELNS0_4arch9wavefront6targetE0EEEvSY_.num_vgpr, 71
	.set _ZN7rocprim17ROCPRIM_400000_NS6detail17trampoline_kernelINS0_13select_configILj256ELj13ELNS0_17block_load_methodE3ELS4_3ELS4_3ELNS0_20block_scan_algorithmE0ELj4294967295EEENS1_25partition_config_selectorILNS1_17partition_subalgoE3EjNS0_10empty_typeEbEEZZNS1_14partition_implILS8_3ELb0ES6_jNS0_17counting_iteratorIjlEEPS9_SE_NS0_5tupleIJPjSE_EEENSF_IJSE_SE_EEES9_SG_JZNS1_25segmented_radix_sort_implINS0_14default_configELb1EPKdPdPKlPlN2at6native12_GLOBAL__N_18offset_tEEE10hipError_tPvRmT1_PNSt15iterator_traitsISY_E10value_typeET2_T3_PNSZ_IS14_E10value_typeET4_jRbjT5_S1A_jjP12ihipStream_tbEUljE_EEESV_SW_SX_S14_S18_S1A_T6_T7_T9_mT8_S1C_bDpT10_ENKUlT_T0_E_clISt17integral_constantIbLb0EES1O_IbLb1EEEEDaS1K_S1L_EUlS1K_E_NS1_11comp_targetILNS1_3genE10ELNS1_11target_archE1200ELNS1_3gpuE4ELNS1_3repE0EEENS1_30default_config_static_selectorELNS0_4arch9wavefront6targetE0EEEvSY_.num_agpr, 0
	.set _ZN7rocprim17ROCPRIM_400000_NS6detail17trampoline_kernelINS0_13select_configILj256ELj13ELNS0_17block_load_methodE3ELS4_3ELS4_3ELNS0_20block_scan_algorithmE0ELj4294967295EEENS1_25partition_config_selectorILNS1_17partition_subalgoE3EjNS0_10empty_typeEbEEZZNS1_14partition_implILS8_3ELb0ES6_jNS0_17counting_iteratorIjlEEPS9_SE_NS0_5tupleIJPjSE_EEENSF_IJSE_SE_EEES9_SG_JZNS1_25segmented_radix_sort_implINS0_14default_configELb1EPKdPdPKlPlN2at6native12_GLOBAL__N_18offset_tEEE10hipError_tPvRmT1_PNSt15iterator_traitsISY_E10value_typeET2_T3_PNSZ_IS14_E10value_typeET4_jRbjT5_S1A_jjP12ihipStream_tbEUljE_EEESV_SW_SX_S14_S18_S1A_T6_T7_T9_mT8_S1C_bDpT10_ENKUlT_T0_E_clISt17integral_constantIbLb0EES1O_IbLb1EEEEDaS1K_S1L_EUlS1K_E_NS1_11comp_targetILNS1_3genE10ELNS1_11target_archE1200ELNS1_3gpuE4ELNS1_3repE0EEENS1_30default_config_static_selectorELNS0_4arch9wavefront6targetE0EEEvSY_.numbered_sgpr, 26
	.set _ZN7rocprim17ROCPRIM_400000_NS6detail17trampoline_kernelINS0_13select_configILj256ELj13ELNS0_17block_load_methodE3ELS4_3ELS4_3ELNS0_20block_scan_algorithmE0ELj4294967295EEENS1_25partition_config_selectorILNS1_17partition_subalgoE3EjNS0_10empty_typeEbEEZZNS1_14partition_implILS8_3ELb0ES6_jNS0_17counting_iteratorIjlEEPS9_SE_NS0_5tupleIJPjSE_EEENSF_IJSE_SE_EEES9_SG_JZNS1_25segmented_radix_sort_implINS0_14default_configELb1EPKdPdPKlPlN2at6native12_GLOBAL__N_18offset_tEEE10hipError_tPvRmT1_PNSt15iterator_traitsISY_E10value_typeET2_T3_PNSZ_IS14_E10value_typeET4_jRbjT5_S1A_jjP12ihipStream_tbEUljE_EEESV_SW_SX_S14_S18_S1A_T6_T7_T9_mT8_S1C_bDpT10_ENKUlT_T0_E_clISt17integral_constantIbLb0EES1O_IbLb1EEEEDaS1K_S1L_EUlS1K_E_NS1_11comp_targetILNS1_3genE10ELNS1_11target_archE1200ELNS1_3gpuE4ELNS1_3repE0EEENS1_30default_config_static_selectorELNS0_4arch9wavefront6targetE0EEEvSY_.num_named_barrier, 0
	.set _ZN7rocprim17ROCPRIM_400000_NS6detail17trampoline_kernelINS0_13select_configILj256ELj13ELNS0_17block_load_methodE3ELS4_3ELS4_3ELNS0_20block_scan_algorithmE0ELj4294967295EEENS1_25partition_config_selectorILNS1_17partition_subalgoE3EjNS0_10empty_typeEbEEZZNS1_14partition_implILS8_3ELb0ES6_jNS0_17counting_iteratorIjlEEPS9_SE_NS0_5tupleIJPjSE_EEENSF_IJSE_SE_EEES9_SG_JZNS1_25segmented_radix_sort_implINS0_14default_configELb1EPKdPdPKlPlN2at6native12_GLOBAL__N_18offset_tEEE10hipError_tPvRmT1_PNSt15iterator_traitsISY_E10value_typeET2_T3_PNSZ_IS14_E10value_typeET4_jRbjT5_S1A_jjP12ihipStream_tbEUljE_EEESV_SW_SX_S14_S18_S1A_T6_T7_T9_mT8_S1C_bDpT10_ENKUlT_T0_E_clISt17integral_constantIbLb0EES1O_IbLb1EEEEDaS1K_S1L_EUlS1K_E_NS1_11comp_targetILNS1_3genE10ELNS1_11target_archE1200ELNS1_3gpuE4ELNS1_3repE0EEENS1_30default_config_static_selectorELNS0_4arch9wavefront6targetE0EEEvSY_.private_seg_size, 0
	.set _ZN7rocprim17ROCPRIM_400000_NS6detail17trampoline_kernelINS0_13select_configILj256ELj13ELNS0_17block_load_methodE3ELS4_3ELS4_3ELNS0_20block_scan_algorithmE0ELj4294967295EEENS1_25partition_config_selectorILNS1_17partition_subalgoE3EjNS0_10empty_typeEbEEZZNS1_14partition_implILS8_3ELb0ES6_jNS0_17counting_iteratorIjlEEPS9_SE_NS0_5tupleIJPjSE_EEENSF_IJSE_SE_EEES9_SG_JZNS1_25segmented_radix_sort_implINS0_14default_configELb1EPKdPdPKlPlN2at6native12_GLOBAL__N_18offset_tEEE10hipError_tPvRmT1_PNSt15iterator_traitsISY_E10value_typeET2_T3_PNSZ_IS14_E10value_typeET4_jRbjT5_S1A_jjP12ihipStream_tbEUljE_EEESV_SW_SX_S14_S18_S1A_T6_T7_T9_mT8_S1C_bDpT10_ENKUlT_T0_E_clISt17integral_constantIbLb0EES1O_IbLb1EEEEDaS1K_S1L_EUlS1K_E_NS1_11comp_targetILNS1_3genE10ELNS1_11target_archE1200ELNS1_3gpuE4ELNS1_3repE0EEENS1_30default_config_static_selectorELNS0_4arch9wavefront6targetE0EEEvSY_.uses_vcc, 1
	.set _ZN7rocprim17ROCPRIM_400000_NS6detail17trampoline_kernelINS0_13select_configILj256ELj13ELNS0_17block_load_methodE3ELS4_3ELS4_3ELNS0_20block_scan_algorithmE0ELj4294967295EEENS1_25partition_config_selectorILNS1_17partition_subalgoE3EjNS0_10empty_typeEbEEZZNS1_14partition_implILS8_3ELb0ES6_jNS0_17counting_iteratorIjlEEPS9_SE_NS0_5tupleIJPjSE_EEENSF_IJSE_SE_EEES9_SG_JZNS1_25segmented_radix_sort_implINS0_14default_configELb1EPKdPdPKlPlN2at6native12_GLOBAL__N_18offset_tEEE10hipError_tPvRmT1_PNSt15iterator_traitsISY_E10value_typeET2_T3_PNSZ_IS14_E10value_typeET4_jRbjT5_S1A_jjP12ihipStream_tbEUljE_EEESV_SW_SX_S14_S18_S1A_T6_T7_T9_mT8_S1C_bDpT10_ENKUlT_T0_E_clISt17integral_constantIbLb0EES1O_IbLb1EEEEDaS1K_S1L_EUlS1K_E_NS1_11comp_targetILNS1_3genE10ELNS1_11target_archE1200ELNS1_3gpuE4ELNS1_3repE0EEENS1_30default_config_static_selectorELNS0_4arch9wavefront6targetE0EEEvSY_.uses_flat_scratch, 0
	.set _ZN7rocprim17ROCPRIM_400000_NS6detail17trampoline_kernelINS0_13select_configILj256ELj13ELNS0_17block_load_methodE3ELS4_3ELS4_3ELNS0_20block_scan_algorithmE0ELj4294967295EEENS1_25partition_config_selectorILNS1_17partition_subalgoE3EjNS0_10empty_typeEbEEZZNS1_14partition_implILS8_3ELb0ES6_jNS0_17counting_iteratorIjlEEPS9_SE_NS0_5tupleIJPjSE_EEENSF_IJSE_SE_EEES9_SG_JZNS1_25segmented_radix_sort_implINS0_14default_configELb1EPKdPdPKlPlN2at6native12_GLOBAL__N_18offset_tEEE10hipError_tPvRmT1_PNSt15iterator_traitsISY_E10value_typeET2_T3_PNSZ_IS14_E10value_typeET4_jRbjT5_S1A_jjP12ihipStream_tbEUljE_EEESV_SW_SX_S14_S18_S1A_T6_T7_T9_mT8_S1C_bDpT10_ENKUlT_T0_E_clISt17integral_constantIbLb0EES1O_IbLb1EEEEDaS1K_S1L_EUlS1K_E_NS1_11comp_targetILNS1_3genE10ELNS1_11target_archE1200ELNS1_3gpuE4ELNS1_3repE0EEENS1_30default_config_static_selectorELNS0_4arch9wavefront6targetE0EEEvSY_.has_dyn_sized_stack, 0
	.set _ZN7rocprim17ROCPRIM_400000_NS6detail17trampoline_kernelINS0_13select_configILj256ELj13ELNS0_17block_load_methodE3ELS4_3ELS4_3ELNS0_20block_scan_algorithmE0ELj4294967295EEENS1_25partition_config_selectorILNS1_17partition_subalgoE3EjNS0_10empty_typeEbEEZZNS1_14partition_implILS8_3ELb0ES6_jNS0_17counting_iteratorIjlEEPS9_SE_NS0_5tupleIJPjSE_EEENSF_IJSE_SE_EEES9_SG_JZNS1_25segmented_radix_sort_implINS0_14default_configELb1EPKdPdPKlPlN2at6native12_GLOBAL__N_18offset_tEEE10hipError_tPvRmT1_PNSt15iterator_traitsISY_E10value_typeET2_T3_PNSZ_IS14_E10value_typeET4_jRbjT5_S1A_jjP12ihipStream_tbEUljE_EEESV_SW_SX_S14_S18_S1A_T6_T7_T9_mT8_S1C_bDpT10_ENKUlT_T0_E_clISt17integral_constantIbLb0EES1O_IbLb1EEEEDaS1K_S1L_EUlS1K_E_NS1_11comp_targetILNS1_3genE10ELNS1_11target_archE1200ELNS1_3gpuE4ELNS1_3repE0EEENS1_30default_config_static_selectorELNS0_4arch9wavefront6targetE0EEEvSY_.has_recursion, 0
	.set _ZN7rocprim17ROCPRIM_400000_NS6detail17trampoline_kernelINS0_13select_configILj256ELj13ELNS0_17block_load_methodE3ELS4_3ELS4_3ELNS0_20block_scan_algorithmE0ELj4294967295EEENS1_25partition_config_selectorILNS1_17partition_subalgoE3EjNS0_10empty_typeEbEEZZNS1_14partition_implILS8_3ELb0ES6_jNS0_17counting_iteratorIjlEEPS9_SE_NS0_5tupleIJPjSE_EEENSF_IJSE_SE_EEES9_SG_JZNS1_25segmented_radix_sort_implINS0_14default_configELb1EPKdPdPKlPlN2at6native12_GLOBAL__N_18offset_tEEE10hipError_tPvRmT1_PNSt15iterator_traitsISY_E10value_typeET2_T3_PNSZ_IS14_E10value_typeET4_jRbjT5_S1A_jjP12ihipStream_tbEUljE_EEESV_SW_SX_S14_S18_S1A_T6_T7_T9_mT8_S1C_bDpT10_ENKUlT_T0_E_clISt17integral_constantIbLb0EES1O_IbLb1EEEEDaS1K_S1L_EUlS1K_E_NS1_11comp_targetILNS1_3genE10ELNS1_11target_archE1200ELNS1_3gpuE4ELNS1_3repE0EEENS1_30default_config_static_selectorELNS0_4arch9wavefront6targetE0EEEvSY_.has_indirect_call, 0
	.section	.AMDGPU.csdata,"",@progbits
; Kernel info:
; codeLenInByte = 10900
; TotalNumSgprs: 28
; NumVgprs: 71
; ScratchSize: 0
; MemoryBound: 0
; FloatMode: 240
; IeeeMode: 1
; LDSByteSize: 13320 bytes/workgroup (compile time only)
; SGPRBlocks: 0
; VGPRBlocks: 8
; NumSGPRsForWavesPerEU: 28
; NumVGPRsForWavesPerEU: 71
; Occupancy: 16
; WaveLimiterHint : 0
; COMPUTE_PGM_RSRC2:SCRATCH_EN: 0
; COMPUTE_PGM_RSRC2:USER_SGPR: 2
; COMPUTE_PGM_RSRC2:TRAP_HANDLER: 0
; COMPUTE_PGM_RSRC2:TGID_X_EN: 1
; COMPUTE_PGM_RSRC2:TGID_Y_EN: 0
; COMPUTE_PGM_RSRC2:TGID_Z_EN: 0
; COMPUTE_PGM_RSRC2:TIDIG_COMP_CNT: 0
	.section	.text._ZN7rocprim17ROCPRIM_400000_NS6detail17trampoline_kernelINS0_13select_configILj256ELj13ELNS0_17block_load_methodE3ELS4_3ELS4_3ELNS0_20block_scan_algorithmE0ELj4294967295EEENS1_25partition_config_selectorILNS1_17partition_subalgoE3EjNS0_10empty_typeEbEEZZNS1_14partition_implILS8_3ELb0ES6_jNS0_17counting_iteratorIjlEEPS9_SE_NS0_5tupleIJPjSE_EEENSF_IJSE_SE_EEES9_SG_JZNS1_25segmented_radix_sort_implINS0_14default_configELb1EPKdPdPKlPlN2at6native12_GLOBAL__N_18offset_tEEE10hipError_tPvRmT1_PNSt15iterator_traitsISY_E10value_typeET2_T3_PNSZ_IS14_E10value_typeET4_jRbjT5_S1A_jjP12ihipStream_tbEUljE_EEESV_SW_SX_S14_S18_S1A_T6_T7_T9_mT8_S1C_bDpT10_ENKUlT_T0_E_clISt17integral_constantIbLb0EES1O_IbLb1EEEEDaS1K_S1L_EUlS1K_E_NS1_11comp_targetILNS1_3genE9ELNS1_11target_archE1100ELNS1_3gpuE3ELNS1_3repE0EEENS1_30default_config_static_selectorELNS0_4arch9wavefront6targetE0EEEvSY_,"axG",@progbits,_ZN7rocprim17ROCPRIM_400000_NS6detail17trampoline_kernelINS0_13select_configILj256ELj13ELNS0_17block_load_methodE3ELS4_3ELS4_3ELNS0_20block_scan_algorithmE0ELj4294967295EEENS1_25partition_config_selectorILNS1_17partition_subalgoE3EjNS0_10empty_typeEbEEZZNS1_14partition_implILS8_3ELb0ES6_jNS0_17counting_iteratorIjlEEPS9_SE_NS0_5tupleIJPjSE_EEENSF_IJSE_SE_EEES9_SG_JZNS1_25segmented_radix_sort_implINS0_14default_configELb1EPKdPdPKlPlN2at6native12_GLOBAL__N_18offset_tEEE10hipError_tPvRmT1_PNSt15iterator_traitsISY_E10value_typeET2_T3_PNSZ_IS14_E10value_typeET4_jRbjT5_S1A_jjP12ihipStream_tbEUljE_EEESV_SW_SX_S14_S18_S1A_T6_T7_T9_mT8_S1C_bDpT10_ENKUlT_T0_E_clISt17integral_constantIbLb0EES1O_IbLb1EEEEDaS1K_S1L_EUlS1K_E_NS1_11comp_targetILNS1_3genE9ELNS1_11target_archE1100ELNS1_3gpuE3ELNS1_3repE0EEENS1_30default_config_static_selectorELNS0_4arch9wavefront6targetE0EEEvSY_,comdat
	.globl	_ZN7rocprim17ROCPRIM_400000_NS6detail17trampoline_kernelINS0_13select_configILj256ELj13ELNS0_17block_load_methodE3ELS4_3ELS4_3ELNS0_20block_scan_algorithmE0ELj4294967295EEENS1_25partition_config_selectorILNS1_17partition_subalgoE3EjNS0_10empty_typeEbEEZZNS1_14partition_implILS8_3ELb0ES6_jNS0_17counting_iteratorIjlEEPS9_SE_NS0_5tupleIJPjSE_EEENSF_IJSE_SE_EEES9_SG_JZNS1_25segmented_radix_sort_implINS0_14default_configELb1EPKdPdPKlPlN2at6native12_GLOBAL__N_18offset_tEEE10hipError_tPvRmT1_PNSt15iterator_traitsISY_E10value_typeET2_T3_PNSZ_IS14_E10value_typeET4_jRbjT5_S1A_jjP12ihipStream_tbEUljE_EEESV_SW_SX_S14_S18_S1A_T6_T7_T9_mT8_S1C_bDpT10_ENKUlT_T0_E_clISt17integral_constantIbLb0EES1O_IbLb1EEEEDaS1K_S1L_EUlS1K_E_NS1_11comp_targetILNS1_3genE9ELNS1_11target_archE1100ELNS1_3gpuE3ELNS1_3repE0EEENS1_30default_config_static_selectorELNS0_4arch9wavefront6targetE0EEEvSY_ ; -- Begin function _ZN7rocprim17ROCPRIM_400000_NS6detail17trampoline_kernelINS0_13select_configILj256ELj13ELNS0_17block_load_methodE3ELS4_3ELS4_3ELNS0_20block_scan_algorithmE0ELj4294967295EEENS1_25partition_config_selectorILNS1_17partition_subalgoE3EjNS0_10empty_typeEbEEZZNS1_14partition_implILS8_3ELb0ES6_jNS0_17counting_iteratorIjlEEPS9_SE_NS0_5tupleIJPjSE_EEENSF_IJSE_SE_EEES9_SG_JZNS1_25segmented_radix_sort_implINS0_14default_configELb1EPKdPdPKlPlN2at6native12_GLOBAL__N_18offset_tEEE10hipError_tPvRmT1_PNSt15iterator_traitsISY_E10value_typeET2_T3_PNSZ_IS14_E10value_typeET4_jRbjT5_S1A_jjP12ihipStream_tbEUljE_EEESV_SW_SX_S14_S18_S1A_T6_T7_T9_mT8_S1C_bDpT10_ENKUlT_T0_E_clISt17integral_constantIbLb0EES1O_IbLb1EEEEDaS1K_S1L_EUlS1K_E_NS1_11comp_targetILNS1_3genE9ELNS1_11target_archE1100ELNS1_3gpuE3ELNS1_3repE0EEENS1_30default_config_static_selectorELNS0_4arch9wavefront6targetE0EEEvSY_
	.p2align	8
	.type	_ZN7rocprim17ROCPRIM_400000_NS6detail17trampoline_kernelINS0_13select_configILj256ELj13ELNS0_17block_load_methodE3ELS4_3ELS4_3ELNS0_20block_scan_algorithmE0ELj4294967295EEENS1_25partition_config_selectorILNS1_17partition_subalgoE3EjNS0_10empty_typeEbEEZZNS1_14partition_implILS8_3ELb0ES6_jNS0_17counting_iteratorIjlEEPS9_SE_NS0_5tupleIJPjSE_EEENSF_IJSE_SE_EEES9_SG_JZNS1_25segmented_radix_sort_implINS0_14default_configELb1EPKdPdPKlPlN2at6native12_GLOBAL__N_18offset_tEEE10hipError_tPvRmT1_PNSt15iterator_traitsISY_E10value_typeET2_T3_PNSZ_IS14_E10value_typeET4_jRbjT5_S1A_jjP12ihipStream_tbEUljE_EEESV_SW_SX_S14_S18_S1A_T6_T7_T9_mT8_S1C_bDpT10_ENKUlT_T0_E_clISt17integral_constantIbLb0EES1O_IbLb1EEEEDaS1K_S1L_EUlS1K_E_NS1_11comp_targetILNS1_3genE9ELNS1_11target_archE1100ELNS1_3gpuE3ELNS1_3repE0EEENS1_30default_config_static_selectorELNS0_4arch9wavefront6targetE0EEEvSY_,@function
_ZN7rocprim17ROCPRIM_400000_NS6detail17trampoline_kernelINS0_13select_configILj256ELj13ELNS0_17block_load_methodE3ELS4_3ELS4_3ELNS0_20block_scan_algorithmE0ELj4294967295EEENS1_25partition_config_selectorILNS1_17partition_subalgoE3EjNS0_10empty_typeEbEEZZNS1_14partition_implILS8_3ELb0ES6_jNS0_17counting_iteratorIjlEEPS9_SE_NS0_5tupleIJPjSE_EEENSF_IJSE_SE_EEES9_SG_JZNS1_25segmented_radix_sort_implINS0_14default_configELb1EPKdPdPKlPlN2at6native12_GLOBAL__N_18offset_tEEE10hipError_tPvRmT1_PNSt15iterator_traitsISY_E10value_typeET2_T3_PNSZ_IS14_E10value_typeET4_jRbjT5_S1A_jjP12ihipStream_tbEUljE_EEESV_SW_SX_S14_S18_S1A_T6_T7_T9_mT8_S1C_bDpT10_ENKUlT_T0_E_clISt17integral_constantIbLb0EES1O_IbLb1EEEEDaS1K_S1L_EUlS1K_E_NS1_11comp_targetILNS1_3genE9ELNS1_11target_archE1100ELNS1_3gpuE3ELNS1_3repE0EEENS1_30default_config_static_selectorELNS0_4arch9wavefront6targetE0EEEvSY_: ; @_ZN7rocprim17ROCPRIM_400000_NS6detail17trampoline_kernelINS0_13select_configILj256ELj13ELNS0_17block_load_methodE3ELS4_3ELS4_3ELNS0_20block_scan_algorithmE0ELj4294967295EEENS1_25partition_config_selectorILNS1_17partition_subalgoE3EjNS0_10empty_typeEbEEZZNS1_14partition_implILS8_3ELb0ES6_jNS0_17counting_iteratorIjlEEPS9_SE_NS0_5tupleIJPjSE_EEENSF_IJSE_SE_EEES9_SG_JZNS1_25segmented_radix_sort_implINS0_14default_configELb1EPKdPdPKlPlN2at6native12_GLOBAL__N_18offset_tEEE10hipError_tPvRmT1_PNSt15iterator_traitsISY_E10value_typeET2_T3_PNSZ_IS14_E10value_typeET4_jRbjT5_S1A_jjP12ihipStream_tbEUljE_EEESV_SW_SX_S14_S18_S1A_T6_T7_T9_mT8_S1C_bDpT10_ENKUlT_T0_E_clISt17integral_constantIbLb0EES1O_IbLb1EEEEDaS1K_S1L_EUlS1K_E_NS1_11comp_targetILNS1_3genE9ELNS1_11target_archE1100ELNS1_3gpuE3ELNS1_3repE0EEENS1_30default_config_static_selectorELNS0_4arch9wavefront6targetE0EEEvSY_
; %bb.0:
	.section	.rodata,"a",@progbits
	.p2align	6, 0x0
	.amdhsa_kernel _ZN7rocprim17ROCPRIM_400000_NS6detail17trampoline_kernelINS0_13select_configILj256ELj13ELNS0_17block_load_methodE3ELS4_3ELS4_3ELNS0_20block_scan_algorithmE0ELj4294967295EEENS1_25partition_config_selectorILNS1_17partition_subalgoE3EjNS0_10empty_typeEbEEZZNS1_14partition_implILS8_3ELb0ES6_jNS0_17counting_iteratorIjlEEPS9_SE_NS0_5tupleIJPjSE_EEENSF_IJSE_SE_EEES9_SG_JZNS1_25segmented_radix_sort_implINS0_14default_configELb1EPKdPdPKlPlN2at6native12_GLOBAL__N_18offset_tEEE10hipError_tPvRmT1_PNSt15iterator_traitsISY_E10value_typeET2_T3_PNSZ_IS14_E10value_typeET4_jRbjT5_S1A_jjP12ihipStream_tbEUljE_EEESV_SW_SX_S14_S18_S1A_T6_T7_T9_mT8_S1C_bDpT10_ENKUlT_T0_E_clISt17integral_constantIbLb0EES1O_IbLb1EEEEDaS1K_S1L_EUlS1K_E_NS1_11comp_targetILNS1_3genE9ELNS1_11target_archE1100ELNS1_3gpuE3ELNS1_3repE0EEENS1_30default_config_static_selectorELNS0_4arch9wavefront6targetE0EEEvSY_
		.amdhsa_group_segment_fixed_size 0
		.amdhsa_private_segment_fixed_size 0
		.amdhsa_kernarg_size 152
		.amdhsa_user_sgpr_count 2
		.amdhsa_user_sgpr_dispatch_ptr 0
		.amdhsa_user_sgpr_queue_ptr 0
		.amdhsa_user_sgpr_kernarg_segment_ptr 1
		.amdhsa_user_sgpr_dispatch_id 0
		.amdhsa_user_sgpr_private_segment_size 0
		.amdhsa_wavefront_size32 1
		.amdhsa_uses_dynamic_stack 0
		.amdhsa_enable_private_segment 0
		.amdhsa_system_sgpr_workgroup_id_x 1
		.amdhsa_system_sgpr_workgroup_id_y 0
		.amdhsa_system_sgpr_workgroup_id_z 0
		.amdhsa_system_sgpr_workgroup_info 0
		.amdhsa_system_vgpr_workitem_id 0
		.amdhsa_next_free_vgpr 1
		.amdhsa_next_free_sgpr 1
		.amdhsa_reserve_vcc 0
		.amdhsa_float_round_mode_32 0
		.amdhsa_float_round_mode_16_64 0
		.amdhsa_float_denorm_mode_32 3
		.amdhsa_float_denorm_mode_16_64 3
		.amdhsa_fp16_overflow 0
		.amdhsa_workgroup_processor_mode 1
		.amdhsa_memory_ordered 1
		.amdhsa_forward_progress 1
		.amdhsa_inst_pref_size 0
		.amdhsa_round_robin_scheduling 0
		.amdhsa_exception_fp_ieee_invalid_op 0
		.amdhsa_exception_fp_denorm_src 0
		.amdhsa_exception_fp_ieee_div_zero 0
		.amdhsa_exception_fp_ieee_overflow 0
		.amdhsa_exception_fp_ieee_underflow 0
		.amdhsa_exception_fp_ieee_inexact 0
		.amdhsa_exception_int_div_zero 0
	.end_amdhsa_kernel
	.section	.text._ZN7rocprim17ROCPRIM_400000_NS6detail17trampoline_kernelINS0_13select_configILj256ELj13ELNS0_17block_load_methodE3ELS4_3ELS4_3ELNS0_20block_scan_algorithmE0ELj4294967295EEENS1_25partition_config_selectorILNS1_17partition_subalgoE3EjNS0_10empty_typeEbEEZZNS1_14partition_implILS8_3ELb0ES6_jNS0_17counting_iteratorIjlEEPS9_SE_NS0_5tupleIJPjSE_EEENSF_IJSE_SE_EEES9_SG_JZNS1_25segmented_radix_sort_implINS0_14default_configELb1EPKdPdPKlPlN2at6native12_GLOBAL__N_18offset_tEEE10hipError_tPvRmT1_PNSt15iterator_traitsISY_E10value_typeET2_T3_PNSZ_IS14_E10value_typeET4_jRbjT5_S1A_jjP12ihipStream_tbEUljE_EEESV_SW_SX_S14_S18_S1A_T6_T7_T9_mT8_S1C_bDpT10_ENKUlT_T0_E_clISt17integral_constantIbLb0EES1O_IbLb1EEEEDaS1K_S1L_EUlS1K_E_NS1_11comp_targetILNS1_3genE9ELNS1_11target_archE1100ELNS1_3gpuE3ELNS1_3repE0EEENS1_30default_config_static_selectorELNS0_4arch9wavefront6targetE0EEEvSY_,"axG",@progbits,_ZN7rocprim17ROCPRIM_400000_NS6detail17trampoline_kernelINS0_13select_configILj256ELj13ELNS0_17block_load_methodE3ELS4_3ELS4_3ELNS0_20block_scan_algorithmE0ELj4294967295EEENS1_25partition_config_selectorILNS1_17partition_subalgoE3EjNS0_10empty_typeEbEEZZNS1_14partition_implILS8_3ELb0ES6_jNS0_17counting_iteratorIjlEEPS9_SE_NS0_5tupleIJPjSE_EEENSF_IJSE_SE_EEES9_SG_JZNS1_25segmented_radix_sort_implINS0_14default_configELb1EPKdPdPKlPlN2at6native12_GLOBAL__N_18offset_tEEE10hipError_tPvRmT1_PNSt15iterator_traitsISY_E10value_typeET2_T3_PNSZ_IS14_E10value_typeET4_jRbjT5_S1A_jjP12ihipStream_tbEUljE_EEESV_SW_SX_S14_S18_S1A_T6_T7_T9_mT8_S1C_bDpT10_ENKUlT_T0_E_clISt17integral_constantIbLb0EES1O_IbLb1EEEEDaS1K_S1L_EUlS1K_E_NS1_11comp_targetILNS1_3genE9ELNS1_11target_archE1100ELNS1_3gpuE3ELNS1_3repE0EEENS1_30default_config_static_selectorELNS0_4arch9wavefront6targetE0EEEvSY_,comdat
.Lfunc_end1116:
	.size	_ZN7rocprim17ROCPRIM_400000_NS6detail17trampoline_kernelINS0_13select_configILj256ELj13ELNS0_17block_load_methodE3ELS4_3ELS4_3ELNS0_20block_scan_algorithmE0ELj4294967295EEENS1_25partition_config_selectorILNS1_17partition_subalgoE3EjNS0_10empty_typeEbEEZZNS1_14partition_implILS8_3ELb0ES6_jNS0_17counting_iteratorIjlEEPS9_SE_NS0_5tupleIJPjSE_EEENSF_IJSE_SE_EEES9_SG_JZNS1_25segmented_radix_sort_implINS0_14default_configELb1EPKdPdPKlPlN2at6native12_GLOBAL__N_18offset_tEEE10hipError_tPvRmT1_PNSt15iterator_traitsISY_E10value_typeET2_T3_PNSZ_IS14_E10value_typeET4_jRbjT5_S1A_jjP12ihipStream_tbEUljE_EEESV_SW_SX_S14_S18_S1A_T6_T7_T9_mT8_S1C_bDpT10_ENKUlT_T0_E_clISt17integral_constantIbLb0EES1O_IbLb1EEEEDaS1K_S1L_EUlS1K_E_NS1_11comp_targetILNS1_3genE9ELNS1_11target_archE1100ELNS1_3gpuE3ELNS1_3repE0EEENS1_30default_config_static_selectorELNS0_4arch9wavefront6targetE0EEEvSY_, .Lfunc_end1116-_ZN7rocprim17ROCPRIM_400000_NS6detail17trampoline_kernelINS0_13select_configILj256ELj13ELNS0_17block_load_methodE3ELS4_3ELS4_3ELNS0_20block_scan_algorithmE0ELj4294967295EEENS1_25partition_config_selectorILNS1_17partition_subalgoE3EjNS0_10empty_typeEbEEZZNS1_14partition_implILS8_3ELb0ES6_jNS0_17counting_iteratorIjlEEPS9_SE_NS0_5tupleIJPjSE_EEENSF_IJSE_SE_EEES9_SG_JZNS1_25segmented_radix_sort_implINS0_14default_configELb1EPKdPdPKlPlN2at6native12_GLOBAL__N_18offset_tEEE10hipError_tPvRmT1_PNSt15iterator_traitsISY_E10value_typeET2_T3_PNSZ_IS14_E10value_typeET4_jRbjT5_S1A_jjP12ihipStream_tbEUljE_EEESV_SW_SX_S14_S18_S1A_T6_T7_T9_mT8_S1C_bDpT10_ENKUlT_T0_E_clISt17integral_constantIbLb0EES1O_IbLb1EEEEDaS1K_S1L_EUlS1K_E_NS1_11comp_targetILNS1_3genE9ELNS1_11target_archE1100ELNS1_3gpuE3ELNS1_3repE0EEENS1_30default_config_static_selectorELNS0_4arch9wavefront6targetE0EEEvSY_
                                        ; -- End function
	.set _ZN7rocprim17ROCPRIM_400000_NS6detail17trampoline_kernelINS0_13select_configILj256ELj13ELNS0_17block_load_methodE3ELS4_3ELS4_3ELNS0_20block_scan_algorithmE0ELj4294967295EEENS1_25partition_config_selectorILNS1_17partition_subalgoE3EjNS0_10empty_typeEbEEZZNS1_14partition_implILS8_3ELb0ES6_jNS0_17counting_iteratorIjlEEPS9_SE_NS0_5tupleIJPjSE_EEENSF_IJSE_SE_EEES9_SG_JZNS1_25segmented_radix_sort_implINS0_14default_configELb1EPKdPdPKlPlN2at6native12_GLOBAL__N_18offset_tEEE10hipError_tPvRmT1_PNSt15iterator_traitsISY_E10value_typeET2_T3_PNSZ_IS14_E10value_typeET4_jRbjT5_S1A_jjP12ihipStream_tbEUljE_EEESV_SW_SX_S14_S18_S1A_T6_T7_T9_mT8_S1C_bDpT10_ENKUlT_T0_E_clISt17integral_constantIbLb0EES1O_IbLb1EEEEDaS1K_S1L_EUlS1K_E_NS1_11comp_targetILNS1_3genE9ELNS1_11target_archE1100ELNS1_3gpuE3ELNS1_3repE0EEENS1_30default_config_static_selectorELNS0_4arch9wavefront6targetE0EEEvSY_.num_vgpr, 0
	.set _ZN7rocprim17ROCPRIM_400000_NS6detail17trampoline_kernelINS0_13select_configILj256ELj13ELNS0_17block_load_methodE3ELS4_3ELS4_3ELNS0_20block_scan_algorithmE0ELj4294967295EEENS1_25partition_config_selectorILNS1_17partition_subalgoE3EjNS0_10empty_typeEbEEZZNS1_14partition_implILS8_3ELb0ES6_jNS0_17counting_iteratorIjlEEPS9_SE_NS0_5tupleIJPjSE_EEENSF_IJSE_SE_EEES9_SG_JZNS1_25segmented_radix_sort_implINS0_14default_configELb1EPKdPdPKlPlN2at6native12_GLOBAL__N_18offset_tEEE10hipError_tPvRmT1_PNSt15iterator_traitsISY_E10value_typeET2_T3_PNSZ_IS14_E10value_typeET4_jRbjT5_S1A_jjP12ihipStream_tbEUljE_EEESV_SW_SX_S14_S18_S1A_T6_T7_T9_mT8_S1C_bDpT10_ENKUlT_T0_E_clISt17integral_constantIbLb0EES1O_IbLb1EEEEDaS1K_S1L_EUlS1K_E_NS1_11comp_targetILNS1_3genE9ELNS1_11target_archE1100ELNS1_3gpuE3ELNS1_3repE0EEENS1_30default_config_static_selectorELNS0_4arch9wavefront6targetE0EEEvSY_.num_agpr, 0
	.set _ZN7rocprim17ROCPRIM_400000_NS6detail17trampoline_kernelINS0_13select_configILj256ELj13ELNS0_17block_load_methodE3ELS4_3ELS4_3ELNS0_20block_scan_algorithmE0ELj4294967295EEENS1_25partition_config_selectorILNS1_17partition_subalgoE3EjNS0_10empty_typeEbEEZZNS1_14partition_implILS8_3ELb0ES6_jNS0_17counting_iteratorIjlEEPS9_SE_NS0_5tupleIJPjSE_EEENSF_IJSE_SE_EEES9_SG_JZNS1_25segmented_radix_sort_implINS0_14default_configELb1EPKdPdPKlPlN2at6native12_GLOBAL__N_18offset_tEEE10hipError_tPvRmT1_PNSt15iterator_traitsISY_E10value_typeET2_T3_PNSZ_IS14_E10value_typeET4_jRbjT5_S1A_jjP12ihipStream_tbEUljE_EEESV_SW_SX_S14_S18_S1A_T6_T7_T9_mT8_S1C_bDpT10_ENKUlT_T0_E_clISt17integral_constantIbLb0EES1O_IbLb1EEEEDaS1K_S1L_EUlS1K_E_NS1_11comp_targetILNS1_3genE9ELNS1_11target_archE1100ELNS1_3gpuE3ELNS1_3repE0EEENS1_30default_config_static_selectorELNS0_4arch9wavefront6targetE0EEEvSY_.numbered_sgpr, 0
	.set _ZN7rocprim17ROCPRIM_400000_NS6detail17trampoline_kernelINS0_13select_configILj256ELj13ELNS0_17block_load_methodE3ELS4_3ELS4_3ELNS0_20block_scan_algorithmE0ELj4294967295EEENS1_25partition_config_selectorILNS1_17partition_subalgoE3EjNS0_10empty_typeEbEEZZNS1_14partition_implILS8_3ELb0ES6_jNS0_17counting_iteratorIjlEEPS9_SE_NS0_5tupleIJPjSE_EEENSF_IJSE_SE_EEES9_SG_JZNS1_25segmented_radix_sort_implINS0_14default_configELb1EPKdPdPKlPlN2at6native12_GLOBAL__N_18offset_tEEE10hipError_tPvRmT1_PNSt15iterator_traitsISY_E10value_typeET2_T3_PNSZ_IS14_E10value_typeET4_jRbjT5_S1A_jjP12ihipStream_tbEUljE_EEESV_SW_SX_S14_S18_S1A_T6_T7_T9_mT8_S1C_bDpT10_ENKUlT_T0_E_clISt17integral_constantIbLb0EES1O_IbLb1EEEEDaS1K_S1L_EUlS1K_E_NS1_11comp_targetILNS1_3genE9ELNS1_11target_archE1100ELNS1_3gpuE3ELNS1_3repE0EEENS1_30default_config_static_selectorELNS0_4arch9wavefront6targetE0EEEvSY_.num_named_barrier, 0
	.set _ZN7rocprim17ROCPRIM_400000_NS6detail17trampoline_kernelINS0_13select_configILj256ELj13ELNS0_17block_load_methodE3ELS4_3ELS4_3ELNS0_20block_scan_algorithmE0ELj4294967295EEENS1_25partition_config_selectorILNS1_17partition_subalgoE3EjNS0_10empty_typeEbEEZZNS1_14partition_implILS8_3ELb0ES6_jNS0_17counting_iteratorIjlEEPS9_SE_NS0_5tupleIJPjSE_EEENSF_IJSE_SE_EEES9_SG_JZNS1_25segmented_radix_sort_implINS0_14default_configELb1EPKdPdPKlPlN2at6native12_GLOBAL__N_18offset_tEEE10hipError_tPvRmT1_PNSt15iterator_traitsISY_E10value_typeET2_T3_PNSZ_IS14_E10value_typeET4_jRbjT5_S1A_jjP12ihipStream_tbEUljE_EEESV_SW_SX_S14_S18_S1A_T6_T7_T9_mT8_S1C_bDpT10_ENKUlT_T0_E_clISt17integral_constantIbLb0EES1O_IbLb1EEEEDaS1K_S1L_EUlS1K_E_NS1_11comp_targetILNS1_3genE9ELNS1_11target_archE1100ELNS1_3gpuE3ELNS1_3repE0EEENS1_30default_config_static_selectorELNS0_4arch9wavefront6targetE0EEEvSY_.private_seg_size, 0
	.set _ZN7rocprim17ROCPRIM_400000_NS6detail17trampoline_kernelINS0_13select_configILj256ELj13ELNS0_17block_load_methodE3ELS4_3ELS4_3ELNS0_20block_scan_algorithmE0ELj4294967295EEENS1_25partition_config_selectorILNS1_17partition_subalgoE3EjNS0_10empty_typeEbEEZZNS1_14partition_implILS8_3ELb0ES6_jNS0_17counting_iteratorIjlEEPS9_SE_NS0_5tupleIJPjSE_EEENSF_IJSE_SE_EEES9_SG_JZNS1_25segmented_radix_sort_implINS0_14default_configELb1EPKdPdPKlPlN2at6native12_GLOBAL__N_18offset_tEEE10hipError_tPvRmT1_PNSt15iterator_traitsISY_E10value_typeET2_T3_PNSZ_IS14_E10value_typeET4_jRbjT5_S1A_jjP12ihipStream_tbEUljE_EEESV_SW_SX_S14_S18_S1A_T6_T7_T9_mT8_S1C_bDpT10_ENKUlT_T0_E_clISt17integral_constantIbLb0EES1O_IbLb1EEEEDaS1K_S1L_EUlS1K_E_NS1_11comp_targetILNS1_3genE9ELNS1_11target_archE1100ELNS1_3gpuE3ELNS1_3repE0EEENS1_30default_config_static_selectorELNS0_4arch9wavefront6targetE0EEEvSY_.uses_vcc, 0
	.set _ZN7rocprim17ROCPRIM_400000_NS6detail17trampoline_kernelINS0_13select_configILj256ELj13ELNS0_17block_load_methodE3ELS4_3ELS4_3ELNS0_20block_scan_algorithmE0ELj4294967295EEENS1_25partition_config_selectorILNS1_17partition_subalgoE3EjNS0_10empty_typeEbEEZZNS1_14partition_implILS8_3ELb0ES6_jNS0_17counting_iteratorIjlEEPS9_SE_NS0_5tupleIJPjSE_EEENSF_IJSE_SE_EEES9_SG_JZNS1_25segmented_radix_sort_implINS0_14default_configELb1EPKdPdPKlPlN2at6native12_GLOBAL__N_18offset_tEEE10hipError_tPvRmT1_PNSt15iterator_traitsISY_E10value_typeET2_T3_PNSZ_IS14_E10value_typeET4_jRbjT5_S1A_jjP12ihipStream_tbEUljE_EEESV_SW_SX_S14_S18_S1A_T6_T7_T9_mT8_S1C_bDpT10_ENKUlT_T0_E_clISt17integral_constantIbLb0EES1O_IbLb1EEEEDaS1K_S1L_EUlS1K_E_NS1_11comp_targetILNS1_3genE9ELNS1_11target_archE1100ELNS1_3gpuE3ELNS1_3repE0EEENS1_30default_config_static_selectorELNS0_4arch9wavefront6targetE0EEEvSY_.uses_flat_scratch, 0
	.set _ZN7rocprim17ROCPRIM_400000_NS6detail17trampoline_kernelINS0_13select_configILj256ELj13ELNS0_17block_load_methodE3ELS4_3ELS4_3ELNS0_20block_scan_algorithmE0ELj4294967295EEENS1_25partition_config_selectorILNS1_17partition_subalgoE3EjNS0_10empty_typeEbEEZZNS1_14partition_implILS8_3ELb0ES6_jNS0_17counting_iteratorIjlEEPS9_SE_NS0_5tupleIJPjSE_EEENSF_IJSE_SE_EEES9_SG_JZNS1_25segmented_radix_sort_implINS0_14default_configELb1EPKdPdPKlPlN2at6native12_GLOBAL__N_18offset_tEEE10hipError_tPvRmT1_PNSt15iterator_traitsISY_E10value_typeET2_T3_PNSZ_IS14_E10value_typeET4_jRbjT5_S1A_jjP12ihipStream_tbEUljE_EEESV_SW_SX_S14_S18_S1A_T6_T7_T9_mT8_S1C_bDpT10_ENKUlT_T0_E_clISt17integral_constantIbLb0EES1O_IbLb1EEEEDaS1K_S1L_EUlS1K_E_NS1_11comp_targetILNS1_3genE9ELNS1_11target_archE1100ELNS1_3gpuE3ELNS1_3repE0EEENS1_30default_config_static_selectorELNS0_4arch9wavefront6targetE0EEEvSY_.has_dyn_sized_stack, 0
	.set _ZN7rocprim17ROCPRIM_400000_NS6detail17trampoline_kernelINS0_13select_configILj256ELj13ELNS0_17block_load_methodE3ELS4_3ELS4_3ELNS0_20block_scan_algorithmE0ELj4294967295EEENS1_25partition_config_selectorILNS1_17partition_subalgoE3EjNS0_10empty_typeEbEEZZNS1_14partition_implILS8_3ELb0ES6_jNS0_17counting_iteratorIjlEEPS9_SE_NS0_5tupleIJPjSE_EEENSF_IJSE_SE_EEES9_SG_JZNS1_25segmented_radix_sort_implINS0_14default_configELb1EPKdPdPKlPlN2at6native12_GLOBAL__N_18offset_tEEE10hipError_tPvRmT1_PNSt15iterator_traitsISY_E10value_typeET2_T3_PNSZ_IS14_E10value_typeET4_jRbjT5_S1A_jjP12ihipStream_tbEUljE_EEESV_SW_SX_S14_S18_S1A_T6_T7_T9_mT8_S1C_bDpT10_ENKUlT_T0_E_clISt17integral_constantIbLb0EES1O_IbLb1EEEEDaS1K_S1L_EUlS1K_E_NS1_11comp_targetILNS1_3genE9ELNS1_11target_archE1100ELNS1_3gpuE3ELNS1_3repE0EEENS1_30default_config_static_selectorELNS0_4arch9wavefront6targetE0EEEvSY_.has_recursion, 0
	.set _ZN7rocprim17ROCPRIM_400000_NS6detail17trampoline_kernelINS0_13select_configILj256ELj13ELNS0_17block_load_methodE3ELS4_3ELS4_3ELNS0_20block_scan_algorithmE0ELj4294967295EEENS1_25partition_config_selectorILNS1_17partition_subalgoE3EjNS0_10empty_typeEbEEZZNS1_14partition_implILS8_3ELb0ES6_jNS0_17counting_iteratorIjlEEPS9_SE_NS0_5tupleIJPjSE_EEENSF_IJSE_SE_EEES9_SG_JZNS1_25segmented_radix_sort_implINS0_14default_configELb1EPKdPdPKlPlN2at6native12_GLOBAL__N_18offset_tEEE10hipError_tPvRmT1_PNSt15iterator_traitsISY_E10value_typeET2_T3_PNSZ_IS14_E10value_typeET4_jRbjT5_S1A_jjP12ihipStream_tbEUljE_EEESV_SW_SX_S14_S18_S1A_T6_T7_T9_mT8_S1C_bDpT10_ENKUlT_T0_E_clISt17integral_constantIbLb0EES1O_IbLb1EEEEDaS1K_S1L_EUlS1K_E_NS1_11comp_targetILNS1_3genE9ELNS1_11target_archE1100ELNS1_3gpuE3ELNS1_3repE0EEENS1_30default_config_static_selectorELNS0_4arch9wavefront6targetE0EEEvSY_.has_indirect_call, 0
	.section	.AMDGPU.csdata,"",@progbits
; Kernel info:
; codeLenInByte = 0
; TotalNumSgprs: 0
; NumVgprs: 0
; ScratchSize: 0
; MemoryBound: 0
; FloatMode: 240
; IeeeMode: 1
; LDSByteSize: 0 bytes/workgroup (compile time only)
; SGPRBlocks: 0
; VGPRBlocks: 0
; NumSGPRsForWavesPerEU: 1
; NumVGPRsForWavesPerEU: 1
; Occupancy: 16
; WaveLimiterHint : 0
; COMPUTE_PGM_RSRC2:SCRATCH_EN: 0
; COMPUTE_PGM_RSRC2:USER_SGPR: 2
; COMPUTE_PGM_RSRC2:TRAP_HANDLER: 0
; COMPUTE_PGM_RSRC2:TGID_X_EN: 1
; COMPUTE_PGM_RSRC2:TGID_Y_EN: 0
; COMPUTE_PGM_RSRC2:TGID_Z_EN: 0
; COMPUTE_PGM_RSRC2:TIDIG_COMP_CNT: 0
	.section	.text._ZN7rocprim17ROCPRIM_400000_NS6detail17trampoline_kernelINS0_13select_configILj256ELj13ELNS0_17block_load_methodE3ELS4_3ELS4_3ELNS0_20block_scan_algorithmE0ELj4294967295EEENS1_25partition_config_selectorILNS1_17partition_subalgoE3EjNS0_10empty_typeEbEEZZNS1_14partition_implILS8_3ELb0ES6_jNS0_17counting_iteratorIjlEEPS9_SE_NS0_5tupleIJPjSE_EEENSF_IJSE_SE_EEES9_SG_JZNS1_25segmented_radix_sort_implINS0_14default_configELb1EPKdPdPKlPlN2at6native12_GLOBAL__N_18offset_tEEE10hipError_tPvRmT1_PNSt15iterator_traitsISY_E10value_typeET2_T3_PNSZ_IS14_E10value_typeET4_jRbjT5_S1A_jjP12ihipStream_tbEUljE_EEESV_SW_SX_S14_S18_S1A_T6_T7_T9_mT8_S1C_bDpT10_ENKUlT_T0_E_clISt17integral_constantIbLb0EES1O_IbLb1EEEEDaS1K_S1L_EUlS1K_E_NS1_11comp_targetILNS1_3genE8ELNS1_11target_archE1030ELNS1_3gpuE2ELNS1_3repE0EEENS1_30default_config_static_selectorELNS0_4arch9wavefront6targetE0EEEvSY_,"axG",@progbits,_ZN7rocprim17ROCPRIM_400000_NS6detail17trampoline_kernelINS0_13select_configILj256ELj13ELNS0_17block_load_methodE3ELS4_3ELS4_3ELNS0_20block_scan_algorithmE0ELj4294967295EEENS1_25partition_config_selectorILNS1_17partition_subalgoE3EjNS0_10empty_typeEbEEZZNS1_14partition_implILS8_3ELb0ES6_jNS0_17counting_iteratorIjlEEPS9_SE_NS0_5tupleIJPjSE_EEENSF_IJSE_SE_EEES9_SG_JZNS1_25segmented_radix_sort_implINS0_14default_configELb1EPKdPdPKlPlN2at6native12_GLOBAL__N_18offset_tEEE10hipError_tPvRmT1_PNSt15iterator_traitsISY_E10value_typeET2_T3_PNSZ_IS14_E10value_typeET4_jRbjT5_S1A_jjP12ihipStream_tbEUljE_EEESV_SW_SX_S14_S18_S1A_T6_T7_T9_mT8_S1C_bDpT10_ENKUlT_T0_E_clISt17integral_constantIbLb0EES1O_IbLb1EEEEDaS1K_S1L_EUlS1K_E_NS1_11comp_targetILNS1_3genE8ELNS1_11target_archE1030ELNS1_3gpuE2ELNS1_3repE0EEENS1_30default_config_static_selectorELNS0_4arch9wavefront6targetE0EEEvSY_,comdat
	.globl	_ZN7rocprim17ROCPRIM_400000_NS6detail17trampoline_kernelINS0_13select_configILj256ELj13ELNS0_17block_load_methodE3ELS4_3ELS4_3ELNS0_20block_scan_algorithmE0ELj4294967295EEENS1_25partition_config_selectorILNS1_17partition_subalgoE3EjNS0_10empty_typeEbEEZZNS1_14partition_implILS8_3ELb0ES6_jNS0_17counting_iteratorIjlEEPS9_SE_NS0_5tupleIJPjSE_EEENSF_IJSE_SE_EEES9_SG_JZNS1_25segmented_radix_sort_implINS0_14default_configELb1EPKdPdPKlPlN2at6native12_GLOBAL__N_18offset_tEEE10hipError_tPvRmT1_PNSt15iterator_traitsISY_E10value_typeET2_T3_PNSZ_IS14_E10value_typeET4_jRbjT5_S1A_jjP12ihipStream_tbEUljE_EEESV_SW_SX_S14_S18_S1A_T6_T7_T9_mT8_S1C_bDpT10_ENKUlT_T0_E_clISt17integral_constantIbLb0EES1O_IbLb1EEEEDaS1K_S1L_EUlS1K_E_NS1_11comp_targetILNS1_3genE8ELNS1_11target_archE1030ELNS1_3gpuE2ELNS1_3repE0EEENS1_30default_config_static_selectorELNS0_4arch9wavefront6targetE0EEEvSY_ ; -- Begin function _ZN7rocprim17ROCPRIM_400000_NS6detail17trampoline_kernelINS0_13select_configILj256ELj13ELNS0_17block_load_methodE3ELS4_3ELS4_3ELNS0_20block_scan_algorithmE0ELj4294967295EEENS1_25partition_config_selectorILNS1_17partition_subalgoE3EjNS0_10empty_typeEbEEZZNS1_14partition_implILS8_3ELb0ES6_jNS0_17counting_iteratorIjlEEPS9_SE_NS0_5tupleIJPjSE_EEENSF_IJSE_SE_EEES9_SG_JZNS1_25segmented_radix_sort_implINS0_14default_configELb1EPKdPdPKlPlN2at6native12_GLOBAL__N_18offset_tEEE10hipError_tPvRmT1_PNSt15iterator_traitsISY_E10value_typeET2_T3_PNSZ_IS14_E10value_typeET4_jRbjT5_S1A_jjP12ihipStream_tbEUljE_EEESV_SW_SX_S14_S18_S1A_T6_T7_T9_mT8_S1C_bDpT10_ENKUlT_T0_E_clISt17integral_constantIbLb0EES1O_IbLb1EEEEDaS1K_S1L_EUlS1K_E_NS1_11comp_targetILNS1_3genE8ELNS1_11target_archE1030ELNS1_3gpuE2ELNS1_3repE0EEENS1_30default_config_static_selectorELNS0_4arch9wavefront6targetE0EEEvSY_
	.p2align	8
	.type	_ZN7rocprim17ROCPRIM_400000_NS6detail17trampoline_kernelINS0_13select_configILj256ELj13ELNS0_17block_load_methodE3ELS4_3ELS4_3ELNS0_20block_scan_algorithmE0ELj4294967295EEENS1_25partition_config_selectorILNS1_17partition_subalgoE3EjNS0_10empty_typeEbEEZZNS1_14partition_implILS8_3ELb0ES6_jNS0_17counting_iteratorIjlEEPS9_SE_NS0_5tupleIJPjSE_EEENSF_IJSE_SE_EEES9_SG_JZNS1_25segmented_radix_sort_implINS0_14default_configELb1EPKdPdPKlPlN2at6native12_GLOBAL__N_18offset_tEEE10hipError_tPvRmT1_PNSt15iterator_traitsISY_E10value_typeET2_T3_PNSZ_IS14_E10value_typeET4_jRbjT5_S1A_jjP12ihipStream_tbEUljE_EEESV_SW_SX_S14_S18_S1A_T6_T7_T9_mT8_S1C_bDpT10_ENKUlT_T0_E_clISt17integral_constantIbLb0EES1O_IbLb1EEEEDaS1K_S1L_EUlS1K_E_NS1_11comp_targetILNS1_3genE8ELNS1_11target_archE1030ELNS1_3gpuE2ELNS1_3repE0EEENS1_30default_config_static_selectorELNS0_4arch9wavefront6targetE0EEEvSY_,@function
_ZN7rocprim17ROCPRIM_400000_NS6detail17trampoline_kernelINS0_13select_configILj256ELj13ELNS0_17block_load_methodE3ELS4_3ELS4_3ELNS0_20block_scan_algorithmE0ELj4294967295EEENS1_25partition_config_selectorILNS1_17partition_subalgoE3EjNS0_10empty_typeEbEEZZNS1_14partition_implILS8_3ELb0ES6_jNS0_17counting_iteratorIjlEEPS9_SE_NS0_5tupleIJPjSE_EEENSF_IJSE_SE_EEES9_SG_JZNS1_25segmented_radix_sort_implINS0_14default_configELb1EPKdPdPKlPlN2at6native12_GLOBAL__N_18offset_tEEE10hipError_tPvRmT1_PNSt15iterator_traitsISY_E10value_typeET2_T3_PNSZ_IS14_E10value_typeET4_jRbjT5_S1A_jjP12ihipStream_tbEUljE_EEESV_SW_SX_S14_S18_S1A_T6_T7_T9_mT8_S1C_bDpT10_ENKUlT_T0_E_clISt17integral_constantIbLb0EES1O_IbLb1EEEEDaS1K_S1L_EUlS1K_E_NS1_11comp_targetILNS1_3genE8ELNS1_11target_archE1030ELNS1_3gpuE2ELNS1_3repE0EEENS1_30default_config_static_selectorELNS0_4arch9wavefront6targetE0EEEvSY_: ; @_ZN7rocprim17ROCPRIM_400000_NS6detail17trampoline_kernelINS0_13select_configILj256ELj13ELNS0_17block_load_methodE3ELS4_3ELS4_3ELNS0_20block_scan_algorithmE0ELj4294967295EEENS1_25partition_config_selectorILNS1_17partition_subalgoE3EjNS0_10empty_typeEbEEZZNS1_14partition_implILS8_3ELb0ES6_jNS0_17counting_iteratorIjlEEPS9_SE_NS0_5tupleIJPjSE_EEENSF_IJSE_SE_EEES9_SG_JZNS1_25segmented_radix_sort_implINS0_14default_configELb1EPKdPdPKlPlN2at6native12_GLOBAL__N_18offset_tEEE10hipError_tPvRmT1_PNSt15iterator_traitsISY_E10value_typeET2_T3_PNSZ_IS14_E10value_typeET4_jRbjT5_S1A_jjP12ihipStream_tbEUljE_EEESV_SW_SX_S14_S18_S1A_T6_T7_T9_mT8_S1C_bDpT10_ENKUlT_T0_E_clISt17integral_constantIbLb0EES1O_IbLb1EEEEDaS1K_S1L_EUlS1K_E_NS1_11comp_targetILNS1_3genE8ELNS1_11target_archE1030ELNS1_3gpuE2ELNS1_3repE0EEENS1_30default_config_static_selectorELNS0_4arch9wavefront6targetE0EEEvSY_
; %bb.0:
	.section	.rodata,"a",@progbits
	.p2align	6, 0x0
	.amdhsa_kernel _ZN7rocprim17ROCPRIM_400000_NS6detail17trampoline_kernelINS0_13select_configILj256ELj13ELNS0_17block_load_methodE3ELS4_3ELS4_3ELNS0_20block_scan_algorithmE0ELj4294967295EEENS1_25partition_config_selectorILNS1_17partition_subalgoE3EjNS0_10empty_typeEbEEZZNS1_14partition_implILS8_3ELb0ES6_jNS0_17counting_iteratorIjlEEPS9_SE_NS0_5tupleIJPjSE_EEENSF_IJSE_SE_EEES9_SG_JZNS1_25segmented_radix_sort_implINS0_14default_configELb1EPKdPdPKlPlN2at6native12_GLOBAL__N_18offset_tEEE10hipError_tPvRmT1_PNSt15iterator_traitsISY_E10value_typeET2_T3_PNSZ_IS14_E10value_typeET4_jRbjT5_S1A_jjP12ihipStream_tbEUljE_EEESV_SW_SX_S14_S18_S1A_T6_T7_T9_mT8_S1C_bDpT10_ENKUlT_T0_E_clISt17integral_constantIbLb0EES1O_IbLb1EEEEDaS1K_S1L_EUlS1K_E_NS1_11comp_targetILNS1_3genE8ELNS1_11target_archE1030ELNS1_3gpuE2ELNS1_3repE0EEENS1_30default_config_static_selectorELNS0_4arch9wavefront6targetE0EEEvSY_
		.amdhsa_group_segment_fixed_size 0
		.amdhsa_private_segment_fixed_size 0
		.amdhsa_kernarg_size 152
		.amdhsa_user_sgpr_count 2
		.amdhsa_user_sgpr_dispatch_ptr 0
		.amdhsa_user_sgpr_queue_ptr 0
		.amdhsa_user_sgpr_kernarg_segment_ptr 1
		.amdhsa_user_sgpr_dispatch_id 0
		.amdhsa_user_sgpr_private_segment_size 0
		.amdhsa_wavefront_size32 1
		.amdhsa_uses_dynamic_stack 0
		.amdhsa_enable_private_segment 0
		.amdhsa_system_sgpr_workgroup_id_x 1
		.amdhsa_system_sgpr_workgroup_id_y 0
		.amdhsa_system_sgpr_workgroup_id_z 0
		.amdhsa_system_sgpr_workgroup_info 0
		.amdhsa_system_vgpr_workitem_id 0
		.amdhsa_next_free_vgpr 1
		.amdhsa_next_free_sgpr 1
		.amdhsa_reserve_vcc 0
		.amdhsa_float_round_mode_32 0
		.amdhsa_float_round_mode_16_64 0
		.amdhsa_float_denorm_mode_32 3
		.amdhsa_float_denorm_mode_16_64 3
		.amdhsa_fp16_overflow 0
		.amdhsa_workgroup_processor_mode 1
		.amdhsa_memory_ordered 1
		.amdhsa_forward_progress 1
		.amdhsa_inst_pref_size 0
		.amdhsa_round_robin_scheduling 0
		.amdhsa_exception_fp_ieee_invalid_op 0
		.amdhsa_exception_fp_denorm_src 0
		.amdhsa_exception_fp_ieee_div_zero 0
		.amdhsa_exception_fp_ieee_overflow 0
		.amdhsa_exception_fp_ieee_underflow 0
		.amdhsa_exception_fp_ieee_inexact 0
		.amdhsa_exception_int_div_zero 0
	.end_amdhsa_kernel
	.section	.text._ZN7rocprim17ROCPRIM_400000_NS6detail17trampoline_kernelINS0_13select_configILj256ELj13ELNS0_17block_load_methodE3ELS4_3ELS4_3ELNS0_20block_scan_algorithmE0ELj4294967295EEENS1_25partition_config_selectorILNS1_17partition_subalgoE3EjNS0_10empty_typeEbEEZZNS1_14partition_implILS8_3ELb0ES6_jNS0_17counting_iteratorIjlEEPS9_SE_NS0_5tupleIJPjSE_EEENSF_IJSE_SE_EEES9_SG_JZNS1_25segmented_radix_sort_implINS0_14default_configELb1EPKdPdPKlPlN2at6native12_GLOBAL__N_18offset_tEEE10hipError_tPvRmT1_PNSt15iterator_traitsISY_E10value_typeET2_T3_PNSZ_IS14_E10value_typeET4_jRbjT5_S1A_jjP12ihipStream_tbEUljE_EEESV_SW_SX_S14_S18_S1A_T6_T7_T9_mT8_S1C_bDpT10_ENKUlT_T0_E_clISt17integral_constantIbLb0EES1O_IbLb1EEEEDaS1K_S1L_EUlS1K_E_NS1_11comp_targetILNS1_3genE8ELNS1_11target_archE1030ELNS1_3gpuE2ELNS1_3repE0EEENS1_30default_config_static_selectorELNS0_4arch9wavefront6targetE0EEEvSY_,"axG",@progbits,_ZN7rocprim17ROCPRIM_400000_NS6detail17trampoline_kernelINS0_13select_configILj256ELj13ELNS0_17block_load_methodE3ELS4_3ELS4_3ELNS0_20block_scan_algorithmE0ELj4294967295EEENS1_25partition_config_selectorILNS1_17partition_subalgoE3EjNS0_10empty_typeEbEEZZNS1_14partition_implILS8_3ELb0ES6_jNS0_17counting_iteratorIjlEEPS9_SE_NS0_5tupleIJPjSE_EEENSF_IJSE_SE_EEES9_SG_JZNS1_25segmented_radix_sort_implINS0_14default_configELb1EPKdPdPKlPlN2at6native12_GLOBAL__N_18offset_tEEE10hipError_tPvRmT1_PNSt15iterator_traitsISY_E10value_typeET2_T3_PNSZ_IS14_E10value_typeET4_jRbjT5_S1A_jjP12ihipStream_tbEUljE_EEESV_SW_SX_S14_S18_S1A_T6_T7_T9_mT8_S1C_bDpT10_ENKUlT_T0_E_clISt17integral_constantIbLb0EES1O_IbLb1EEEEDaS1K_S1L_EUlS1K_E_NS1_11comp_targetILNS1_3genE8ELNS1_11target_archE1030ELNS1_3gpuE2ELNS1_3repE0EEENS1_30default_config_static_selectorELNS0_4arch9wavefront6targetE0EEEvSY_,comdat
.Lfunc_end1117:
	.size	_ZN7rocprim17ROCPRIM_400000_NS6detail17trampoline_kernelINS0_13select_configILj256ELj13ELNS0_17block_load_methodE3ELS4_3ELS4_3ELNS0_20block_scan_algorithmE0ELj4294967295EEENS1_25partition_config_selectorILNS1_17partition_subalgoE3EjNS0_10empty_typeEbEEZZNS1_14partition_implILS8_3ELb0ES6_jNS0_17counting_iteratorIjlEEPS9_SE_NS0_5tupleIJPjSE_EEENSF_IJSE_SE_EEES9_SG_JZNS1_25segmented_radix_sort_implINS0_14default_configELb1EPKdPdPKlPlN2at6native12_GLOBAL__N_18offset_tEEE10hipError_tPvRmT1_PNSt15iterator_traitsISY_E10value_typeET2_T3_PNSZ_IS14_E10value_typeET4_jRbjT5_S1A_jjP12ihipStream_tbEUljE_EEESV_SW_SX_S14_S18_S1A_T6_T7_T9_mT8_S1C_bDpT10_ENKUlT_T0_E_clISt17integral_constantIbLb0EES1O_IbLb1EEEEDaS1K_S1L_EUlS1K_E_NS1_11comp_targetILNS1_3genE8ELNS1_11target_archE1030ELNS1_3gpuE2ELNS1_3repE0EEENS1_30default_config_static_selectorELNS0_4arch9wavefront6targetE0EEEvSY_, .Lfunc_end1117-_ZN7rocprim17ROCPRIM_400000_NS6detail17trampoline_kernelINS0_13select_configILj256ELj13ELNS0_17block_load_methodE3ELS4_3ELS4_3ELNS0_20block_scan_algorithmE0ELj4294967295EEENS1_25partition_config_selectorILNS1_17partition_subalgoE3EjNS0_10empty_typeEbEEZZNS1_14partition_implILS8_3ELb0ES6_jNS0_17counting_iteratorIjlEEPS9_SE_NS0_5tupleIJPjSE_EEENSF_IJSE_SE_EEES9_SG_JZNS1_25segmented_radix_sort_implINS0_14default_configELb1EPKdPdPKlPlN2at6native12_GLOBAL__N_18offset_tEEE10hipError_tPvRmT1_PNSt15iterator_traitsISY_E10value_typeET2_T3_PNSZ_IS14_E10value_typeET4_jRbjT5_S1A_jjP12ihipStream_tbEUljE_EEESV_SW_SX_S14_S18_S1A_T6_T7_T9_mT8_S1C_bDpT10_ENKUlT_T0_E_clISt17integral_constantIbLb0EES1O_IbLb1EEEEDaS1K_S1L_EUlS1K_E_NS1_11comp_targetILNS1_3genE8ELNS1_11target_archE1030ELNS1_3gpuE2ELNS1_3repE0EEENS1_30default_config_static_selectorELNS0_4arch9wavefront6targetE0EEEvSY_
                                        ; -- End function
	.set _ZN7rocprim17ROCPRIM_400000_NS6detail17trampoline_kernelINS0_13select_configILj256ELj13ELNS0_17block_load_methodE3ELS4_3ELS4_3ELNS0_20block_scan_algorithmE0ELj4294967295EEENS1_25partition_config_selectorILNS1_17partition_subalgoE3EjNS0_10empty_typeEbEEZZNS1_14partition_implILS8_3ELb0ES6_jNS0_17counting_iteratorIjlEEPS9_SE_NS0_5tupleIJPjSE_EEENSF_IJSE_SE_EEES9_SG_JZNS1_25segmented_radix_sort_implINS0_14default_configELb1EPKdPdPKlPlN2at6native12_GLOBAL__N_18offset_tEEE10hipError_tPvRmT1_PNSt15iterator_traitsISY_E10value_typeET2_T3_PNSZ_IS14_E10value_typeET4_jRbjT5_S1A_jjP12ihipStream_tbEUljE_EEESV_SW_SX_S14_S18_S1A_T6_T7_T9_mT8_S1C_bDpT10_ENKUlT_T0_E_clISt17integral_constantIbLb0EES1O_IbLb1EEEEDaS1K_S1L_EUlS1K_E_NS1_11comp_targetILNS1_3genE8ELNS1_11target_archE1030ELNS1_3gpuE2ELNS1_3repE0EEENS1_30default_config_static_selectorELNS0_4arch9wavefront6targetE0EEEvSY_.num_vgpr, 0
	.set _ZN7rocprim17ROCPRIM_400000_NS6detail17trampoline_kernelINS0_13select_configILj256ELj13ELNS0_17block_load_methodE3ELS4_3ELS4_3ELNS0_20block_scan_algorithmE0ELj4294967295EEENS1_25partition_config_selectorILNS1_17partition_subalgoE3EjNS0_10empty_typeEbEEZZNS1_14partition_implILS8_3ELb0ES6_jNS0_17counting_iteratorIjlEEPS9_SE_NS0_5tupleIJPjSE_EEENSF_IJSE_SE_EEES9_SG_JZNS1_25segmented_radix_sort_implINS0_14default_configELb1EPKdPdPKlPlN2at6native12_GLOBAL__N_18offset_tEEE10hipError_tPvRmT1_PNSt15iterator_traitsISY_E10value_typeET2_T3_PNSZ_IS14_E10value_typeET4_jRbjT5_S1A_jjP12ihipStream_tbEUljE_EEESV_SW_SX_S14_S18_S1A_T6_T7_T9_mT8_S1C_bDpT10_ENKUlT_T0_E_clISt17integral_constantIbLb0EES1O_IbLb1EEEEDaS1K_S1L_EUlS1K_E_NS1_11comp_targetILNS1_3genE8ELNS1_11target_archE1030ELNS1_3gpuE2ELNS1_3repE0EEENS1_30default_config_static_selectorELNS0_4arch9wavefront6targetE0EEEvSY_.num_agpr, 0
	.set _ZN7rocprim17ROCPRIM_400000_NS6detail17trampoline_kernelINS0_13select_configILj256ELj13ELNS0_17block_load_methodE3ELS4_3ELS4_3ELNS0_20block_scan_algorithmE0ELj4294967295EEENS1_25partition_config_selectorILNS1_17partition_subalgoE3EjNS0_10empty_typeEbEEZZNS1_14partition_implILS8_3ELb0ES6_jNS0_17counting_iteratorIjlEEPS9_SE_NS0_5tupleIJPjSE_EEENSF_IJSE_SE_EEES9_SG_JZNS1_25segmented_radix_sort_implINS0_14default_configELb1EPKdPdPKlPlN2at6native12_GLOBAL__N_18offset_tEEE10hipError_tPvRmT1_PNSt15iterator_traitsISY_E10value_typeET2_T3_PNSZ_IS14_E10value_typeET4_jRbjT5_S1A_jjP12ihipStream_tbEUljE_EEESV_SW_SX_S14_S18_S1A_T6_T7_T9_mT8_S1C_bDpT10_ENKUlT_T0_E_clISt17integral_constantIbLb0EES1O_IbLb1EEEEDaS1K_S1L_EUlS1K_E_NS1_11comp_targetILNS1_3genE8ELNS1_11target_archE1030ELNS1_3gpuE2ELNS1_3repE0EEENS1_30default_config_static_selectorELNS0_4arch9wavefront6targetE0EEEvSY_.numbered_sgpr, 0
	.set _ZN7rocprim17ROCPRIM_400000_NS6detail17trampoline_kernelINS0_13select_configILj256ELj13ELNS0_17block_load_methodE3ELS4_3ELS4_3ELNS0_20block_scan_algorithmE0ELj4294967295EEENS1_25partition_config_selectorILNS1_17partition_subalgoE3EjNS0_10empty_typeEbEEZZNS1_14partition_implILS8_3ELb0ES6_jNS0_17counting_iteratorIjlEEPS9_SE_NS0_5tupleIJPjSE_EEENSF_IJSE_SE_EEES9_SG_JZNS1_25segmented_radix_sort_implINS0_14default_configELb1EPKdPdPKlPlN2at6native12_GLOBAL__N_18offset_tEEE10hipError_tPvRmT1_PNSt15iterator_traitsISY_E10value_typeET2_T3_PNSZ_IS14_E10value_typeET4_jRbjT5_S1A_jjP12ihipStream_tbEUljE_EEESV_SW_SX_S14_S18_S1A_T6_T7_T9_mT8_S1C_bDpT10_ENKUlT_T0_E_clISt17integral_constantIbLb0EES1O_IbLb1EEEEDaS1K_S1L_EUlS1K_E_NS1_11comp_targetILNS1_3genE8ELNS1_11target_archE1030ELNS1_3gpuE2ELNS1_3repE0EEENS1_30default_config_static_selectorELNS0_4arch9wavefront6targetE0EEEvSY_.num_named_barrier, 0
	.set _ZN7rocprim17ROCPRIM_400000_NS6detail17trampoline_kernelINS0_13select_configILj256ELj13ELNS0_17block_load_methodE3ELS4_3ELS4_3ELNS0_20block_scan_algorithmE0ELj4294967295EEENS1_25partition_config_selectorILNS1_17partition_subalgoE3EjNS0_10empty_typeEbEEZZNS1_14partition_implILS8_3ELb0ES6_jNS0_17counting_iteratorIjlEEPS9_SE_NS0_5tupleIJPjSE_EEENSF_IJSE_SE_EEES9_SG_JZNS1_25segmented_radix_sort_implINS0_14default_configELb1EPKdPdPKlPlN2at6native12_GLOBAL__N_18offset_tEEE10hipError_tPvRmT1_PNSt15iterator_traitsISY_E10value_typeET2_T3_PNSZ_IS14_E10value_typeET4_jRbjT5_S1A_jjP12ihipStream_tbEUljE_EEESV_SW_SX_S14_S18_S1A_T6_T7_T9_mT8_S1C_bDpT10_ENKUlT_T0_E_clISt17integral_constantIbLb0EES1O_IbLb1EEEEDaS1K_S1L_EUlS1K_E_NS1_11comp_targetILNS1_3genE8ELNS1_11target_archE1030ELNS1_3gpuE2ELNS1_3repE0EEENS1_30default_config_static_selectorELNS0_4arch9wavefront6targetE0EEEvSY_.private_seg_size, 0
	.set _ZN7rocprim17ROCPRIM_400000_NS6detail17trampoline_kernelINS0_13select_configILj256ELj13ELNS0_17block_load_methodE3ELS4_3ELS4_3ELNS0_20block_scan_algorithmE0ELj4294967295EEENS1_25partition_config_selectorILNS1_17partition_subalgoE3EjNS0_10empty_typeEbEEZZNS1_14partition_implILS8_3ELb0ES6_jNS0_17counting_iteratorIjlEEPS9_SE_NS0_5tupleIJPjSE_EEENSF_IJSE_SE_EEES9_SG_JZNS1_25segmented_radix_sort_implINS0_14default_configELb1EPKdPdPKlPlN2at6native12_GLOBAL__N_18offset_tEEE10hipError_tPvRmT1_PNSt15iterator_traitsISY_E10value_typeET2_T3_PNSZ_IS14_E10value_typeET4_jRbjT5_S1A_jjP12ihipStream_tbEUljE_EEESV_SW_SX_S14_S18_S1A_T6_T7_T9_mT8_S1C_bDpT10_ENKUlT_T0_E_clISt17integral_constantIbLb0EES1O_IbLb1EEEEDaS1K_S1L_EUlS1K_E_NS1_11comp_targetILNS1_3genE8ELNS1_11target_archE1030ELNS1_3gpuE2ELNS1_3repE0EEENS1_30default_config_static_selectorELNS0_4arch9wavefront6targetE0EEEvSY_.uses_vcc, 0
	.set _ZN7rocprim17ROCPRIM_400000_NS6detail17trampoline_kernelINS0_13select_configILj256ELj13ELNS0_17block_load_methodE3ELS4_3ELS4_3ELNS0_20block_scan_algorithmE0ELj4294967295EEENS1_25partition_config_selectorILNS1_17partition_subalgoE3EjNS0_10empty_typeEbEEZZNS1_14partition_implILS8_3ELb0ES6_jNS0_17counting_iteratorIjlEEPS9_SE_NS0_5tupleIJPjSE_EEENSF_IJSE_SE_EEES9_SG_JZNS1_25segmented_radix_sort_implINS0_14default_configELb1EPKdPdPKlPlN2at6native12_GLOBAL__N_18offset_tEEE10hipError_tPvRmT1_PNSt15iterator_traitsISY_E10value_typeET2_T3_PNSZ_IS14_E10value_typeET4_jRbjT5_S1A_jjP12ihipStream_tbEUljE_EEESV_SW_SX_S14_S18_S1A_T6_T7_T9_mT8_S1C_bDpT10_ENKUlT_T0_E_clISt17integral_constantIbLb0EES1O_IbLb1EEEEDaS1K_S1L_EUlS1K_E_NS1_11comp_targetILNS1_3genE8ELNS1_11target_archE1030ELNS1_3gpuE2ELNS1_3repE0EEENS1_30default_config_static_selectorELNS0_4arch9wavefront6targetE0EEEvSY_.uses_flat_scratch, 0
	.set _ZN7rocprim17ROCPRIM_400000_NS6detail17trampoline_kernelINS0_13select_configILj256ELj13ELNS0_17block_load_methodE3ELS4_3ELS4_3ELNS0_20block_scan_algorithmE0ELj4294967295EEENS1_25partition_config_selectorILNS1_17partition_subalgoE3EjNS0_10empty_typeEbEEZZNS1_14partition_implILS8_3ELb0ES6_jNS0_17counting_iteratorIjlEEPS9_SE_NS0_5tupleIJPjSE_EEENSF_IJSE_SE_EEES9_SG_JZNS1_25segmented_radix_sort_implINS0_14default_configELb1EPKdPdPKlPlN2at6native12_GLOBAL__N_18offset_tEEE10hipError_tPvRmT1_PNSt15iterator_traitsISY_E10value_typeET2_T3_PNSZ_IS14_E10value_typeET4_jRbjT5_S1A_jjP12ihipStream_tbEUljE_EEESV_SW_SX_S14_S18_S1A_T6_T7_T9_mT8_S1C_bDpT10_ENKUlT_T0_E_clISt17integral_constantIbLb0EES1O_IbLb1EEEEDaS1K_S1L_EUlS1K_E_NS1_11comp_targetILNS1_3genE8ELNS1_11target_archE1030ELNS1_3gpuE2ELNS1_3repE0EEENS1_30default_config_static_selectorELNS0_4arch9wavefront6targetE0EEEvSY_.has_dyn_sized_stack, 0
	.set _ZN7rocprim17ROCPRIM_400000_NS6detail17trampoline_kernelINS0_13select_configILj256ELj13ELNS0_17block_load_methodE3ELS4_3ELS4_3ELNS0_20block_scan_algorithmE0ELj4294967295EEENS1_25partition_config_selectorILNS1_17partition_subalgoE3EjNS0_10empty_typeEbEEZZNS1_14partition_implILS8_3ELb0ES6_jNS0_17counting_iteratorIjlEEPS9_SE_NS0_5tupleIJPjSE_EEENSF_IJSE_SE_EEES9_SG_JZNS1_25segmented_radix_sort_implINS0_14default_configELb1EPKdPdPKlPlN2at6native12_GLOBAL__N_18offset_tEEE10hipError_tPvRmT1_PNSt15iterator_traitsISY_E10value_typeET2_T3_PNSZ_IS14_E10value_typeET4_jRbjT5_S1A_jjP12ihipStream_tbEUljE_EEESV_SW_SX_S14_S18_S1A_T6_T7_T9_mT8_S1C_bDpT10_ENKUlT_T0_E_clISt17integral_constantIbLb0EES1O_IbLb1EEEEDaS1K_S1L_EUlS1K_E_NS1_11comp_targetILNS1_3genE8ELNS1_11target_archE1030ELNS1_3gpuE2ELNS1_3repE0EEENS1_30default_config_static_selectorELNS0_4arch9wavefront6targetE0EEEvSY_.has_recursion, 0
	.set _ZN7rocprim17ROCPRIM_400000_NS6detail17trampoline_kernelINS0_13select_configILj256ELj13ELNS0_17block_load_methodE3ELS4_3ELS4_3ELNS0_20block_scan_algorithmE0ELj4294967295EEENS1_25partition_config_selectorILNS1_17partition_subalgoE3EjNS0_10empty_typeEbEEZZNS1_14partition_implILS8_3ELb0ES6_jNS0_17counting_iteratorIjlEEPS9_SE_NS0_5tupleIJPjSE_EEENSF_IJSE_SE_EEES9_SG_JZNS1_25segmented_radix_sort_implINS0_14default_configELb1EPKdPdPKlPlN2at6native12_GLOBAL__N_18offset_tEEE10hipError_tPvRmT1_PNSt15iterator_traitsISY_E10value_typeET2_T3_PNSZ_IS14_E10value_typeET4_jRbjT5_S1A_jjP12ihipStream_tbEUljE_EEESV_SW_SX_S14_S18_S1A_T6_T7_T9_mT8_S1C_bDpT10_ENKUlT_T0_E_clISt17integral_constantIbLb0EES1O_IbLb1EEEEDaS1K_S1L_EUlS1K_E_NS1_11comp_targetILNS1_3genE8ELNS1_11target_archE1030ELNS1_3gpuE2ELNS1_3repE0EEENS1_30default_config_static_selectorELNS0_4arch9wavefront6targetE0EEEvSY_.has_indirect_call, 0
	.section	.AMDGPU.csdata,"",@progbits
; Kernel info:
; codeLenInByte = 0
; TotalNumSgprs: 0
; NumVgprs: 0
; ScratchSize: 0
; MemoryBound: 0
; FloatMode: 240
; IeeeMode: 1
; LDSByteSize: 0 bytes/workgroup (compile time only)
; SGPRBlocks: 0
; VGPRBlocks: 0
; NumSGPRsForWavesPerEU: 1
; NumVGPRsForWavesPerEU: 1
; Occupancy: 16
; WaveLimiterHint : 0
; COMPUTE_PGM_RSRC2:SCRATCH_EN: 0
; COMPUTE_PGM_RSRC2:USER_SGPR: 2
; COMPUTE_PGM_RSRC2:TRAP_HANDLER: 0
; COMPUTE_PGM_RSRC2:TGID_X_EN: 1
; COMPUTE_PGM_RSRC2:TGID_Y_EN: 0
; COMPUTE_PGM_RSRC2:TGID_Z_EN: 0
; COMPUTE_PGM_RSRC2:TIDIG_COMP_CNT: 0
	.section	.text._ZN7rocprim17ROCPRIM_400000_NS6detail17trampoline_kernelINS0_14default_configENS1_36segmented_radix_sort_config_selectorIdlEEZNS1_25segmented_radix_sort_implIS3_Lb1EPKdPdPKlPlN2at6native12_GLOBAL__N_18offset_tEEE10hipError_tPvRmT1_PNSt15iterator_traitsISK_E10value_typeET2_T3_PNSL_ISQ_E10value_typeET4_jRbjT5_SW_jjP12ihipStream_tbEUlT_E_NS1_11comp_targetILNS1_3genE0ELNS1_11target_archE4294967295ELNS1_3gpuE0ELNS1_3repE0EEENS1_30default_config_static_selectorELNS0_4arch9wavefront6targetE0EEEvSK_,"axG",@progbits,_ZN7rocprim17ROCPRIM_400000_NS6detail17trampoline_kernelINS0_14default_configENS1_36segmented_radix_sort_config_selectorIdlEEZNS1_25segmented_radix_sort_implIS3_Lb1EPKdPdPKlPlN2at6native12_GLOBAL__N_18offset_tEEE10hipError_tPvRmT1_PNSt15iterator_traitsISK_E10value_typeET2_T3_PNSL_ISQ_E10value_typeET4_jRbjT5_SW_jjP12ihipStream_tbEUlT_E_NS1_11comp_targetILNS1_3genE0ELNS1_11target_archE4294967295ELNS1_3gpuE0ELNS1_3repE0EEENS1_30default_config_static_selectorELNS0_4arch9wavefront6targetE0EEEvSK_,comdat
	.globl	_ZN7rocprim17ROCPRIM_400000_NS6detail17trampoline_kernelINS0_14default_configENS1_36segmented_radix_sort_config_selectorIdlEEZNS1_25segmented_radix_sort_implIS3_Lb1EPKdPdPKlPlN2at6native12_GLOBAL__N_18offset_tEEE10hipError_tPvRmT1_PNSt15iterator_traitsISK_E10value_typeET2_T3_PNSL_ISQ_E10value_typeET4_jRbjT5_SW_jjP12ihipStream_tbEUlT_E_NS1_11comp_targetILNS1_3genE0ELNS1_11target_archE4294967295ELNS1_3gpuE0ELNS1_3repE0EEENS1_30default_config_static_selectorELNS0_4arch9wavefront6targetE0EEEvSK_ ; -- Begin function _ZN7rocprim17ROCPRIM_400000_NS6detail17trampoline_kernelINS0_14default_configENS1_36segmented_radix_sort_config_selectorIdlEEZNS1_25segmented_radix_sort_implIS3_Lb1EPKdPdPKlPlN2at6native12_GLOBAL__N_18offset_tEEE10hipError_tPvRmT1_PNSt15iterator_traitsISK_E10value_typeET2_T3_PNSL_ISQ_E10value_typeET4_jRbjT5_SW_jjP12ihipStream_tbEUlT_E_NS1_11comp_targetILNS1_3genE0ELNS1_11target_archE4294967295ELNS1_3gpuE0ELNS1_3repE0EEENS1_30default_config_static_selectorELNS0_4arch9wavefront6targetE0EEEvSK_
	.p2align	8
	.type	_ZN7rocprim17ROCPRIM_400000_NS6detail17trampoline_kernelINS0_14default_configENS1_36segmented_radix_sort_config_selectorIdlEEZNS1_25segmented_radix_sort_implIS3_Lb1EPKdPdPKlPlN2at6native12_GLOBAL__N_18offset_tEEE10hipError_tPvRmT1_PNSt15iterator_traitsISK_E10value_typeET2_T3_PNSL_ISQ_E10value_typeET4_jRbjT5_SW_jjP12ihipStream_tbEUlT_E_NS1_11comp_targetILNS1_3genE0ELNS1_11target_archE4294967295ELNS1_3gpuE0ELNS1_3repE0EEENS1_30default_config_static_selectorELNS0_4arch9wavefront6targetE0EEEvSK_,@function
_ZN7rocprim17ROCPRIM_400000_NS6detail17trampoline_kernelINS0_14default_configENS1_36segmented_radix_sort_config_selectorIdlEEZNS1_25segmented_radix_sort_implIS3_Lb1EPKdPdPKlPlN2at6native12_GLOBAL__N_18offset_tEEE10hipError_tPvRmT1_PNSt15iterator_traitsISK_E10value_typeET2_T3_PNSL_ISQ_E10value_typeET4_jRbjT5_SW_jjP12ihipStream_tbEUlT_E_NS1_11comp_targetILNS1_3genE0ELNS1_11target_archE4294967295ELNS1_3gpuE0ELNS1_3repE0EEENS1_30default_config_static_selectorELNS0_4arch9wavefront6targetE0EEEvSK_: ; @_ZN7rocprim17ROCPRIM_400000_NS6detail17trampoline_kernelINS0_14default_configENS1_36segmented_radix_sort_config_selectorIdlEEZNS1_25segmented_radix_sort_implIS3_Lb1EPKdPdPKlPlN2at6native12_GLOBAL__N_18offset_tEEE10hipError_tPvRmT1_PNSt15iterator_traitsISK_E10value_typeET2_T3_PNSL_ISQ_E10value_typeET4_jRbjT5_SW_jjP12ihipStream_tbEUlT_E_NS1_11comp_targetILNS1_3genE0ELNS1_11target_archE4294967295ELNS1_3gpuE0ELNS1_3repE0EEENS1_30default_config_static_selectorELNS0_4arch9wavefront6targetE0EEEvSK_
; %bb.0:
	.section	.rodata,"a",@progbits
	.p2align	6, 0x0
	.amdhsa_kernel _ZN7rocprim17ROCPRIM_400000_NS6detail17trampoline_kernelINS0_14default_configENS1_36segmented_radix_sort_config_selectorIdlEEZNS1_25segmented_radix_sort_implIS3_Lb1EPKdPdPKlPlN2at6native12_GLOBAL__N_18offset_tEEE10hipError_tPvRmT1_PNSt15iterator_traitsISK_E10value_typeET2_T3_PNSL_ISQ_E10value_typeET4_jRbjT5_SW_jjP12ihipStream_tbEUlT_E_NS1_11comp_targetILNS1_3genE0ELNS1_11target_archE4294967295ELNS1_3gpuE0ELNS1_3repE0EEENS1_30default_config_static_selectorELNS0_4arch9wavefront6targetE0EEEvSK_
		.amdhsa_group_segment_fixed_size 0
		.amdhsa_private_segment_fixed_size 0
		.amdhsa_kernarg_size 96
		.amdhsa_user_sgpr_count 2
		.amdhsa_user_sgpr_dispatch_ptr 0
		.amdhsa_user_sgpr_queue_ptr 0
		.amdhsa_user_sgpr_kernarg_segment_ptr 1
		.amdhsa_user_sgpr_dispatch_id 0
		.amdhsa_user_sgpr_private_segment_size 0
		.amdhsa_wavefront_size32 1
		.amdhsa_uses_dynamic_stack 0
		.amdhsa_enable_private_segment 0
		.amdhsa_system_sgpr_workgroup_id_x 1
		.amdhsa_system_sgpr_workgroup_id_y 0
		.amdhsa_system_sgpr_workgroup_id_z 0
		.amdhsa_system_sgpr_workgroup_info 0
		.amdhsa_system_vgpr_workitem_id 0
		.amdhsa_next_free_vgpr 1
		.amdhsa_next_free_sgpr 1
		.amdhsa_reserve_vcc 0
		.amdhsa_float_round_mode_32 0
		.amdhsa_float_round_mode_16_64 0
		.amdhsa_float_denorm_mode_32 3
		.amdhsa_float_denorm_mode_16_64 3
		.amdhsa_fp16_overflow 0
		.amdhsa_workgroup_processor_mode 1
		.amdhsa_memory_ordered 1
		.amdhsa_forward_progress 1
		.amdhsa_inst_pref_size 0
		.amdhsa_round_robin_scheduling 0
		.amdhsa_exception_fp_ieee_invalid_op 0
		.amdhsa_exception_fp_denorm_src 0
		.amdhsa_exception_fp_ieee_div_zero 0
		.amdhsa_exception_fp_ieee_overflow 0
		.amdhsa_exception_fp_ieee_underflow 0
		.amdhsa_exception_fp_ieee_inexact 0
		.amdhsa_exception_int_div_zero 0
	.end_amdhsa_kernel
	.section	.text._ZN7rocprim17ROCPRIM_400000_NS6detail17trampoline_kernelINS0_14default_configENS1_36segmented_radix_sort_config_selectorIdlEEZNS1_25segmented_radix_sort_implIS3_Lb1EPKdPdPKlPlN2at6native12_GLOBAL__N_18offset_tEEE10hipError_tPvRmT1_PNSt15iterator_traitsISK_E10value_typeET2_T3_PNSL_ISQ_E10value_typeET4_jRbjT5_SW_jjP12ihipStream_tbEUlT_E_NS1_11comp_targetILNS1_3genE0ELNS1_11target_archE4294967295ELNS1_3gpuE0ELNS1_3repE0EEENS1_30default_config_static_selectorELNS0_4arch9wavefront6targetE0EEEvSK_,"axG",@progbits,_ZN7rocprim17ROCPRIM_400000_NS6detail17trampoline_kernelINS0_14default_configENS1_36segmented_radix_sort_config_selectorIdlEEZNS1_25segmented_radix_sort_implIS3_Lb1EPKdPdPKlPlN2at6native12_GLOBAL__N_18offset_tEEE10hipError_tPvRmT1_PNSt15iterator_traitsISK_E10value_typeET2_T3_PNSL_ISQ_E10value_typeET4_jRbjT5_SW_jjP12ihipStream_tbEUlT_E_NS1_11comp_targetILNS1_3genE0ELNS1_11target_archE4294967295ELNS1_3gpuE0ELNS1_3repE0EEENS1_30default_config_static_selectorELNS0_4arch9wavefront6targetE0EEEvSK_,comdat
.Lfunc_end1118:
	.size	_ZN7rocprim17ROCPRIM_400000_NS6detail17trampoline_kernelINS0_14default_configENS1_36segmented_radix_sort_config_selectorIdlEEZNS1_25segmented_radix_sort_implIS3_Lb1EPKdPdPKlPlN2at6native12_GLOBAL__N_18offset_tEEE10hipError_tPvRmT1_PNSt15iterator_traitsISK_E10value_typeET2_T3_PNSL_ISQ_E10value_typeET4_jRbjT5_SW_jjP12ihipStream_tbEUlT_E_NS1_11comp_targetILNS1_3genE0ELNS1_11target_archE4294967295ELNS1_3gpuE0ELNS1_3repE0EEENS1_30default_config_static_selectorELNS0_4arch9wavefront6targetE0EEEvSK_, .Lfunc_end1118-_ZN7rocprim17ROCPRIM_400000_NS6detail17trampoline_kernelINS0_14default_configENS1_36segmented_radix_sort_config_selectorIdlEEZNS1_25segmented_radix_sort_implIS3_Lb1EPKdPdPKlPlN2at6native12_GLOBAL__N_18offset_tEEE10hipError_tPvRmT1_PNSt15iterator_traitsISK_E10value_typeET2_T3_PNSL_ISQ_E10value_typeET4_jRbjT5_SW_jjP12ihipStream_tbEUlT_E_NS1_11comp_targetILNS1_3genE0ELNS1_11target_archE4294967295ELNS1_3gpuE0ELNS1_3repE0EEENS1_30default_config_static_selectorELNS0_4arch9wavefront6targetE0EEEvSK_
                                        ; -- End function
	.set _ZN7rocprim17ROCPRIM_400000_NS6detail17trampoline_kernelINS0_14default_configENS1_36segmented_radix_sort_config_selectorIdlEEZNS1_25segmented_radix_sort_implIS3_Lb1EPKdPdPKlPlN2at6native12_GLOBAL__N_18offset_tEEE10hipError_tPvRmT1_PNSt15iterator_traitsISK_E10value_typeET2_T3_PNSL_ISQ_E10value_typeET4_jRbjT5_SW_jjP12ihipStream_tbEUlT_E_NS1_11comp_targetILNS1_3genE0ELNS1_11target_archE4294967295ELNS1_3gpuE0ELNS1_3repE0EEENS1_30default_config_static_selectorELNS0_4arch9wavefront6targetE0EEEvSK_.num_vgpr, 0
	.set _ZN7rocprim17ROCPRIM_400000_NS6detail17trampoline_kernelINS0_14default_configENS1_36segmented_radix_sort_config_selectorIdlEEZNS1_25segmented_radix_sort_implIS3_Lb1EPKdPdPKlPlN2at6native12_GLOBAL__N_18offset_tEEE10hipError_tPvRmT1_PNSt15iterator_traitsISK_E10value_typeET2_T3_PNSL_ISQ_E10value_typeET4_jRbjT5_SW_jjP12ihipStream_tbEUlT_E_NS1_11comp_targetILNS1_3genE0ELNS1_11target_archE4294967295ELNS1_3gpuE0ELNS1_3repE0EEENS1_30default_config_static_selectorELNS0_4arch9wavefront6targetE0EEEvSK_.num_agpr, 0
	.set _ZN7rocprim17ROCPRIM_400000_NS6detail17trampoline_kernelINS0_14default_configENS1_36segmented_radix_sort_config_selectorIdlEEZNS1_25segmented_radix_sort_implIS3_Lb1EPKdPdPKlPlN2at6native12_GLOBAL__N_18offset_tEEE10hipError_tPvRmT1_PNSt15iterator_traitsISK_E10value_typeET2_T3_PNSL_ISQ_E10value_typeET4_jRbjT5_SW_jjP12ihipStream_tbEUlT_E_NS1_11comp_targetILNS1_3genE0ELNS1_11target_archE4294967295ELNS1_3gpuE0ELNS1_3repE0EEENS1_30default_config_static_selectorELNS0_4arch9wavefront6targetE0EEEvSK_.numbered_sgpr, 0
	.set _ZN7rocprim17ROCPRIM_400000_NS6detail17trampoline_kernelINS0_14default_configENS1_36segmented_radix_sort_config_selectorIdlEEZNS1_25segmented_radix_sort_implIS3_Lb1EPKdPdPKlPlN2at6native12_GLOBAL__N_18offset_tEEE10hipError_tPvRmT1_PNSt15iterator_traitsISK_E10value_typeET2_T3_PNSL_ISQ_E10value_typeET4_jRbjT5_SW_jjP12ihipStream_tbEUlT_E_NS1_11comp_targetILNS1_3genE0ELNS1_11target_archE4294967295ELNS1_3gpuE0ELNS1_3repE0EEENS1_30default_config_static_selectorELNS0_4arch9wavefront6targetE0EEEvSK_.num_named_barrier, 0
	.set _ZN7rocprim17ROCPRIM_400000_NS6detail17trampoline_kernelINS0_14default_configENS1_36segmented_radix_sort_config_selectorIdlEEZNS1_25segmented_radix_sort_implIS3_Lb1EPKdPdPKlPlN2at6native12_GLOBAL__N_18offset_tEEE10hipError_tPvRmT1_PNSt15iterator_traitsISK_E10value_typeET2_T3_PNSL_ISQ_E10value_typeET4_jRbjT5_SW_jjP12ihipStream_tbEUlT_E_NS1_11comp_targetILNS1_3genE0ELNS1_11target_archE4294967295ELNS1_3gpuE0ELNS1_3repE0EEENS1_30default_config_static_selectorELNS0_4arch9wavefront6targetE0EEEvSK_.private_seg_size, 0
	.set _ZN7rocprim17ROCPRIM_400000_NS6detail17trampoline_kernelINS0_14default_configENS1_36segmented_radix_sort_config_selectorIdlEEZNS1_25segmented_radix_sort_implIS3_Lb1EPKdPdPKlPlN2at6native12_GLOBAL__N_18offset_tEEE10hipError_tPvRmT1_PNSt15iterator_traitsISK_E10value_typeET2_T3_PNSL_ISQ_E10value_typeET4_jRbjT5_SW_jjP12ihipStream_tbEUlT_E_NS1_11comp_targetILNS1_3genE0ELNS1_11target_archE4294967295ELNS1_3gpuE0ELNS1_3repE0EEENS1_30default_config_static_selectorELNS0_4arch9wavefront6targetE0EEEvSK_.uses_vcc, 0
	.set _ZN7rocprim17ROCPRIM_400000_NS6detail17trampoline_kernelINS0_14default_configENS1_36segmented_radix_sort_config_selectorIdlEEZNS1_25segmented_radix_sort_implIS3_Lb1EPKdPdPKlPlN2at6native12_GLOBAL__N_18offset_tEEE10hipError_tPvRmT1_PNSt15iterator_traitsISK_E10value_typeET2_T3_PNSL_ISQ_E10value_typeET4_jRbjT5_SW_jjP12ihipStream_tbEUlT_E_NS1_11comp_targetILNS1_3genE0ELNS1_11target_archE4294967295ELNS1_3gpuE0ELNS1_3repE0EEENS1_30default_config_static_selectorELNS0_4arch9wavefront6targetE0EEEvSK_.uses_flat_scratch, 0
	.set _ZN7rocprim17ROCPRIM_400000_NS6detail17trampoline_kernelINS0_14default_configENS1_36segmented_radix_sort_config_selectorIdlEEZNS1_25segmented_radix_sort_implIS3_Lb1EPKdPdPKlPlN2at6native12_GLOBAL__N_18offset_tEEE10hipError_tPvRmT1_PNSt15iterator_traitsISK_E10value_typeET2_T3_PNSL_ISQ_E10value_typeET4_jRbjT5_SW_jjP12ihipStream_tbEUlT_E_NS1_11comp_targetILNS1_3genE0ELNS1_11target_archE4294967295ELNS1_3gpuE0ELNS1_3repE0EEENS1_30default_config_static_selectorELNS0_4arch9wavefront6targetE0EEEvSK_.has_dyn_sized_stack, 0
	.set _ZN7rocprim17ROCPRIM_400000_NS6detail17trampoline_kernelINS0_14default_configENS1_36segmented_radix_sort_config_selectorIdlEEZNS1_25segmented_radix_sort_implIS3_Lb1EPKdPdPKlPlN2at6native12_GLOBAL__N_18offset_tEEE10hipError_tPvRmT1_PNSt15iterator_traitsISK_E10value_typeET2_T3_PNSL_ISQ_E10value_typeET4_jRbjT5_SW_jjP12ihipStream_tbEUlT_E_NS1_11comp_targetILNS1_3genE0ELNS1_11target_archE4294967295ELNS1_3gpuE0ELNS1_3repE0EEENS1_30default_config_static_selectorELNS0_4arch9wavefront6targetE0EEEvSK_.has_recursion, 0
	.set _ZN7rocprim17ROCPRIM_400000_NS6detail17trampoline_kernelINS0_14default_configENS1_36segmented_radix_sort_config_selectorIdlEEZNS1_25segmented_radix_sort_implIS3_Lb1EPKdPdPKlPlN2at6native12_GLOBAL__N_18offset_tEEE10hipError_tPvRmT1_PNSt15iterator_traitsISK_E10value_typeET2_T3_PNSL_ISQ_E10value_typeET4_jRbjT5_SW_jjP12ihipStream_tbEUlT_E_NS1_11comp_targetILNS1_3genE0ELNS1_11target_archE4294967295ELNS1_3gpuE0ELNS1_3repE0EEENS1_30default_config_static_selectorELNS0_4arch9wavefront6targetE0EEEvSK_.has_indirect_call, 0
	.section	.AMDGPU.csdata,"",@progbits
; Kernel info:
; codeLenInByte = 0
; TotalNumSgprs: 0
; NumVgprs: 0
; ScratchSize: 0
; MemoryBound: 0
; FloatMode: 240
; IeeeMode: 1
; LDSByteSize: 0 bytes/workgroup (compile time only)
; SGPRBlocks: 0
; VGPRBlocks: 0
; NumSGPRsForWavesPerEU: 1
; NumVGPRsForWavesPerEU: 1
; Occupancy: 16
; WaveLimiterHint : 0
; COMPUTE_PGM_RSRC2:SCRATCH_EN: 0
; COMPUTE_PGM_RSRC2:USER_SGPR: 2
; COMPUTE_PGM_RSRC2:TRAP_HANDLER: 0
; COMPUTE_PGM_RSRC2:TGID_X_EN: 1
; COMPUTE_PGM_RSRC2:TGID_Y_EN: 0
; COMPUTE_PGM_RSRC2:TGID_Z_EN: 0
; COMPUTE_PGM_RSRC2:TIDIG_COMP_CNT: 0
	.section	.text._ZN7rocprim17ROCPRIM_400000_NS6detail17trampoline_kernelINS0_14default_configENS1_36segmented_radix_sort_config_selectorIdlEEZNS1_25segmented_radix_sort_implIS3_Lb1EPKdPdPKlPlN2at6native12_GLOBAL__N_18offset_tEEE10hipError_tPvRmT1_PNSt15iterator_traitsISK_E10value_typeET2_T3_PNSL_ISQ_E10value_typeET4_jRbjT5_SW_jjP12ihipStream_tbEUlT_E_NS1_11comp_targetILNS1_3genE5ELNS1_11target_archE942ELNS1_3gpuE9ELNS1_3repE0EEENS1_30default_config_static_selectorELNS0_4arch9wavefront6targetE0EEEvSK_,"axG",@progbits,_ZN7rocprim17ROCPRIM_400000_NS6detail17trampoline_kernelINS0_14default_configENS1_36segmented_radix_sort_config_selectorIdlEEZNS1_25segmented_radix_sort_implIS3_Lb1EPKdPdPKlPlN2at6native12_GLOBAL__N_18offset_tEEE10hipError_tPvRmT1_PNSt15iterator_traitsISK_E10value_typeET2_T3_PNSL_ISQ_E10value_typeET4_jRbjT5_SW_jjP12ihipStream_tbEUlT_E_NS1_11comp_targetILNS1_3genE5ELNS1_11target_archE942ELNS1_3gpuE9ELNS1_3repE0EEENS1_30default_config_static_selectorELNS0_4arch9wavefront6targetE0EEEvSK_,comdat
	.globl	_ZN7rocprim17ROCPRIM_400000_NS6detail17trampoline_kernelINS0_14default_configENS1_36segmented_radix_sort_config_selectorIdlEEZNS1_25segmented_radix_sort_implIS3_Lb1EPKdPdPKlPlN2at6native12_GLOBAL__N_18offset_tEEE10hipError_tPvRmT1_PNSt15iterator_traitsISK_E10value_typeET2_T3_PNSL_ISQ_E10value_typeET4_jRbjT5_SW_jjP12ihipStream_tbEUlT_E_NS1_11comp_targetILNS1_3genE5ELNS1_11target_archE942ELNS1_3gpuE9ELNS1_3repE0EEENS1_30default_config_static_selectorELNS0_4arch9wavefront6targetE0EEEvSK_ ; -- Begin function _ZN7rocprim17ROCPRIM_400000_NS6detail17trampoline_kernelINS0_14default_configENS1_36segmented_radix_sort_config_selectorIdlEEZNS1_25segmented_radix_sort_implIS3_Lb1EPKdPdPKlPlN2at6native12_GLOBAL__N_18offset_tEEE10hipError_tPvRmT1_PNSt15iterator_traitsISK_E10value_typeET2_T3_PNSL_ISQ_E10value_typeET4_jRbjT5_SW_jjP12ihipStream_tbEUlT_E_NS1_11comp_targetILNS1_3genE5ELNS1_11target_archE942ELNS1_3gpuE9ELNS1_3repE0EEENS1_30default_config_static_selectorELNS0_4arch9wavefront6targetE0EEEvSK_
	.p2align	8
	.type	_ZN7rocprim17ROCPRIM_400000_NS6detail17trampoline_kernelINS0_14default_configENS1_36segmented_radix_sort_config_selectorIdlEEZNS1_25segmented_radix_sort_implIS3_Lb1EPKdPdPKlPlN2at6native12_GLOBAL__N_18offset_tEEE10hipError_tPvRmT1_PNSt15iterator_traitsISK_E10value_typeET2_T3_PNSL_ISQ_E10value_typeET4_jRbjT5_SW_jjP12ihipStream_tbEUlT_E_NS1_11comp_targetILNS1_3genE5ELNS1_11target_archE942ELNS1_3gpuE9ELNS1_3repE0EEENS1_30default_config_static_selectorELNS0_4arch9wavefront6targetE0EEEvSK_,@function
_ZN7rocprim17ROCPRIM_400000_NS6detail17trampoline_kernelINS0_14default_configENS1_36segmented_radix_sort_config_selectorIdlEEZNS1_25segmented_radix_sort_implIS3_Lb1EPKdPdPKlPlN2at6native12_GLOBAL__N_18offset_tEEE10hipError_tPvRmT1_PNSt15iterator_traitsISK_E10value_typeET2_T3_PNSL_ISQ_E10value_typeET4_jRbjT5_SW_jjP12ihipStream_tbEUlT_E_NS1_11comp_targetILNS1_3genE5ELNS1_11target_archE942ELNS1_3gpuE9ELNS1_3repE0EEENS1_30default_config_static_selectorELNS0_4arch9wavefront6targetE0EEEvSK_: ; @_ZN7rocprim17ROCPRIM_400000_NS6detail17trampoline_kernelINS0_14default_configENS1_36segmented_radix_sort_config_selectorIdlEEZNS1_25segmented_radix_sort_implIS3_Lb1EPKdPdPKlPlN2at6native12_GLOBAL__N_18offset_tEEE10hipError_tPvRmT1_PNSt15iterator_traitsISK_E10value_typeET2_T3_PNSL_ISQ_E10value_typeET4_jRbjT5_SW_jjP12ihipStream_tbEUlT_E_NS1_11comp_targetILNS1_3genE5ELNS1_11target_archE942ELNS1_3gpuE9ELNS1_3repE0EEENS1_30default_config_static_selectorELNS0_4arch9wavefront6targetE0EEEvSK_
; %bb.0:
	.section	.rodata,"a",@progbits
	.p2align	6, 0x0
	.amdhsa_kernel _ZN7rocprim17ROCPRIM_400000_NS6detail17trampoline_kernelINS0_14default_configENS1_36segmented_radix_sort_config_selectorIdlEEZNS1_25segmented_radix_sort_implIS3_Lb1EPKdPdPKlPlN2at6native12_GLOBAL__N_18offset_tEEE10hipError_tPvRmT1_PNSt15iterator_traitsISK_E10value_typeET2_T3_PNSL_ISQ_E10value_typeET4_jRbjT5_SW_jjP12ihipStream_tbEUlT_E_NS1_11comp_targetILNS1_3genE5ELNS1_11target_archE942ELNS1_3gpuE9ELNS1_3repE0EEENS1_30default_config_static_selectorELNS0_4arch9wavefront6targetE0EEEvSK_
		.amdhsa_group_segment_fixed_size 0
		.amdhsa_private_segment_fixed_size 0
		.amdhsa_kernarg_size 96
		.amdhsa_user_sgpr_count 2
		.amdhsa_user_sgpr_dispatch_ptr 0
		.amdhsa_user_sgpr_queue_ptr 0
		.amdhsa_user_sgpr_kernarg_segment_ptr 1
		.amdhsa_user_sgpr_dispatch_id 0
		.amdhsa_user_sgpr_private_segment_size 0
		.amdhsa_wavefront_size32 1
		.amdhsa_uses_dynamic_stack 0
		.amdhsa_enable_private_segment 0
		.amdhsa_system_sgpr_workgroup_id_x 1
		.amdhsa_system_sgpr_workgroup_id_y 0
		.amdhsa_system_sgpr_workgroup_id_z 0
		.amdhsa_system_sgpr_workgroup_info 0
		.amdhsa_system_vgpr_workitem_id 0
		.amdhsa_next_free_vgpr 1
		.amdhsa_next_free_sgpr 1
		.amdhsa_reserve_vcc 0
		.amdhsa_float_round_mode_32 0
		.amdhsa_float_round_mode_16_64 0
		.amdhsa_float_denorm_mode_32 3
		.amdhsa_float_denorm_mode_16_64 3
		.amdhsa_fp16_overflow 0
		.amdhsa_workgroup_processor_mode 1
		.amdhsa_memory_ordered 1
		.amdhsa_forward_progress 1
		.amdhsa_inst_pref_size 0
		.amdhsa_round_robin_scheduling 0
		.amdhsa_exception_fp_ieee_invalid_op 0
		.amdhsa_exception_fp_denorm_src 0
		.amdhsa_exception_fp_ieee_div_zero 0
		.amdhsa_exception_fp_ieee_overflow 0
		.amdhsa_exception_fp_ieee_underflow 0
		.amdhsa_exception_fp_ieee_inexact 0
		.amdhsa_exception_int_div_zero 0
	.end_amdhsa_kernel
	.section	.text._ZN7rocprim17ROCPRIM_400000_NS6detail17trampoline_kernelINS0_14default_configENS1_36segmented_radix_sort_config_selectorIdlEEZNS1_25segmented_radix_sort_implIS3_Lb1EPKdPdPKlPlN2at6native12_GLOBAL__N_18offset_tEEE10hipError_tPvRmT1_PNSt15iterator_traitsISK_E10value_typeET2_T3_PNSL_ISQ_E10value_typeET4_jRbjT5_SW_jjP12ihipStream_tbEUlT_E_NS1_11comp_targetILNS1_3genE5ELNS1_11target_archE942ELNS1_3gpuE9ELNS1_3repE0EEENS1_30default_config_static_selectorELNS0_4arch9wavefront6targetE0EEEvSK_,"axG",@progbits,_ZN7rocprim17ROCPRIM_400000_NS6detail17trampoline_kernelINS0_14default_configENS1_36segmented_radix_sort_config_selectorIdlEEZNS1_25segmented_radix_sort_implIS3_Lb1EPKdPdPKlPlN2at6native12_GLOBAL__N_18offset_tEEE10hipError_tPvRmT1_PNSt15iterator_traitsISK_E10value_typeET2_T3_PNSL_ISQ_E10value_typeET4_jRbjT5_SW_jjP12ihipStream_tbEUlT_E_NS1_11comp_targetILNS1_3genE5ELNS1_11target_archE942ELNS1_3gpuE9ELNS1_3repE0EEENS1_30default_config_static_selectorELNS0_4arch9wavefront6targetE0EEEvSK_,comdat
.Lfunc_end1119:
	.size	_ZN7rocprim17ROCPRIM_400000_NS6detail17trampoline_kernelINS0_14default_configENS1_36segmented_radix_sort_config_selectorIdlEEZNS1_25segmented_radix_sort_implIS3_Lb1EPKdPdPKlPlN2at6native12_GLOBAL__N_18offset_tEEE10hipError_tPvRmT1_PNSt15iterator_traitsISK_E10value_typeET2_T3_PNSL_ISQ_E10value_typeET4_jRbjT5_SW_jjP12ihipStream_tbEUlT_E_NS1_11comp_targetILNS1_3genE5ELNS1_11target_archE942ELNS1_3gpuE9ELNS1_3repE0EEENS1_30default_config_static_selectorELNS0_4arch9wavefront6targetE0EEEvSK_, .Lfunc_end1119-_ZN7rocprim17ROCPRIM_400000_NS6detail17trampoline_kernelINS0_14default_configENS1_36segmented_radix_sort_config_selectorIdlEEZNS1_25segmented_radix_sort_implIS3_Lb1EPKdPdPKlPlN2at6native12_GLOBAL__N_18offset_tEEE10hipError_tPvRmT1_PNSt15iterator_traitsISK_E10value_typeET2_T3_PNSL_ISQ_E10value_typeET4_jRbjT5_SW_jjP12ihipStream_tbEUlT_E_NS1_11comp_targetILNS1_3genE5ELNS1_11target_archE942ELNS1_3gpuE9ELNS1_3repE0EEENS1_30default_config_static_selectorELNS0_4arch9wavefront6targetE0EEEvSK_
                                        ; -- End function
	.set _ZN7rocprim17ROCPRIM_400000_NS6detail17trampoline_kernelINS0_14default_configENS1_36segmented_radix_sort_config_selectorIdlEEZNS1_25segmented_radix_sort_implIS3_Lb1EPKdPdPKlPlN2at6native12_GLOBAL__N_18offset_tEEE10hipError_tPvRmT1_PNSt15iterator_traitsISK_E10value_typeET2_T3_PNSL_ISQ_E10value_typeET4_jRbjT5_SW_jjP12ihipStream_tbEUlT_E_NS1_11comp_targetILNS1_3genE5ELNS1_11target_archE942ELNS1_3gpuE9ELNS1_3repE0EEENS1_30default_config_static_selectorELNS0_4arch9wavefront6targetE0EEEvSK_.num_vgpr, 0
	.set _ZN7rocprim17ROCPRIM_400000_NS6detail17trampoline_kernelINS0_14default_configENS1_36segmented_radix_sort_config_selectorIdlEEZNS1_25segmented_radix_sort_implIS3_Lb1EPKdPdPKlPlN2at6native12_GLOBAL__N_18offset_tEEE10hipError_tPvRmT1_PNSt15iterator_traitsISK_E10value_typeET2_T3_PNSL_ISQ_E10value_typeET4_jRbjT5_SW_jjP12ihipStream_tbEUlT_E_NS1_11comp_targetILNS1_3genE5ELNS1_11target_archE942ELNS1_3gpuE9ELNS1_3repE0EEENS1_30default_config_static_selectorELNS0_4arch9wavefront6targetE0EEEvSK_.num_agpr, 0
	.set _ZN7rocprim17ROCPRIM_400000_NS6detail17trampoline_kernelINS0_14default_configENS1_36segmented_radix_sort_config_selectorIdlEEZNS1_25segmented_radix_sort_implIS3_Lb1EPKdPdPKlPlN2at6native12_GLOBAL__N_18offset_tEEE10hipError_tPvRmT1_PNSt15iterator_traitsISK_E10value_typeET2_T3_PNSL_ISQ_E10value_typeET4_jRbjT5_SW_jjP12ihipStream_tbEUlT_E_NS1_11comp_targetILNS1_3genE5ELNS1_11target_archE942ELNS1_3gpuE9ELNS1_3repE0EEENS1_30default_config_static_selectorELNS0_4arch9wavefront6targetE0EEEvSK_.numbered_sgpr, 0
	.set _ZN7rocprim17ROCPRIM_400000_NS6detail17trampoline_kernelINS0_14default_configENS1_36segmented_radix_sort_config_selectorIdlEEZNS1_25segmented_radix_sort_implIS3_Lb1EPKdPdPKlPlN2at6native12_GLOBAL__N_18offset_tEEE10hipError_tPvRmT1_PNSt15iterator_traitsISK_E10value_typeET2_T3_PNSL_ISQ_E10value_typeET4_jRbjT5_SW_jjP12ihipStream_tbEUlT_E_NS1_11comp_targetILNS1_3genE5ELNS1_11target_archE942ELNS1_3gpuE9ELNS1_3repE0EEENS1_30default_config_static_selectorELNS0_4arch9wavefront6targetE0EEEvSK_.num_named_barrier, 0
	.set _ZN7rocprim17ROCPRIM_400000_NS6detail17trampoline_kernelINS0_14default_configENS1_36segmented_radix_sort_config_selectorIdlEEZNS1_25segmented_radix_sort_implIS3_Lb1EPKdPdPKlPlN2at6native12_GLOBAL__N_18offset_tEEE10hipError_tPvRmT1_PNSt15iterator_traitsISK_E10value_typeET2_T3_PNSL_ISQ_E10value_typeET4_jRbjT5_SW_jjP12ihipStream_tbEUlT_E_NS1_11comp_targetILNS1_3genE5ELNS1_11target_archE942ELNS1_3gpuE9ELNS1_3repE0EEENS1_30default_config_static_selectorELNS0_4arch9wavefront6targetE0EEEvSK_.private_seg_size, 0
	.set _ZN7rocprim17ROCPRIM_400000_NS6detail17trampoline_kernelINS0_14default_configENS1_36segmented_radix_sort_config_selectorIdlEEZNS1_25segmented_radix_sort_implIS3_Lb1EPKdPdPKlPlN2at6native12_GLOBAL__N_18offset_tEEE10hipError_tPvRmT1_PNSt15iterator_traitsISK_E10value_typeET2_T3_PNSL_ISQ_E10value_typeET4_jRbjT5_SW_jjP12ihipStream_tbEUlT_E_NS1_11comp_targetILNS1_3genE5ELNS1_11target_archE942ELNS1_3gpuE9ELNS1_3repE0EEENS1_30default_config_static_selectorELNS0_4arch9wavefront6targetE0EEEvSK_.uses_vcc, 0
	.set _ZN7rocprim17ROCPRIM_400000_NS6detail17trampoline_kernelINS0_14default_configENS1_36segmented_radix_sort_config_selectorIdlEEZNS1_25segmented_radix_sort_implIS3_Lb1EPKdPdPKlPlN2at6native12_GLOBAL__N_18offset_tEEE10hipError_tPvRmT1_PNSt15iterator_traitsISK_E10value_typeET2_T3_PNSL_ISQ_E10value_typeET4_jRbjT5_SW_jjP12ihipStream_tbEUlT_E_NS1_11comp_targetILNS1_3genE5ELNS1_11target_archE942ELNS1_3gpuE9ELNS1_3repE0EEENS1_30default_config_static_selectorELNS0_4arch9wavefront6targetE0EEEvSK_.uses_flat_scratch, 0
	.set _ZN7rocprim17ROCPRIM_400000_NS6detail17trampoline_kernelINS0_14default_configENS1_36segmented_radix_sort_config_selectorIdlEEZNS1_25segmented_radix_sort_implIS3_Lb1EPKdPdPKlPlN2at6native12_GLOBAL__N_18offset_tEEE10hipError_tPvRmT1_PNSt15iterator_traitsISK_E10value_typeET2_T3_PNSL_ISQ_E10value_typeET4_jRbjT5_SW_jjP12ihipStream_tbEUlT_E_NS1_11comp_targetILNS1_3genE5ELNS1_11target_archE942ELNS1_3gpuE9ELNS1_3repE0EEENS1_30default_config_static_selectorELNS0_4arch9wavefront6targetE0EEEvSK_.has_dyn_sized_stack, 0
	.set _ZN7rocprim17ROCPRIM_400000_NS6detail17trampoline_kernelINS0_14default_configENS1_36segmented_radix_sort_config_selectorIdlEEZNS1_25segmented_radix_sort_implIS3_Lb1EPKdPdPKlPlN2at6native12_GLOBAL__N_18offset_tEEE10hipError_tPvRmT1_PNSt15iterator_traitsISK_E10value_typeET2_T3_PNSL_ISQ_E10value_typeET4_jRbjT5_SW_jjP12ihipStream_tbEUlT_E_NS1_11comp_targetILNS1_3genE5ELNS1_11target_archE942ELNS1_3gpuE9ELNS1_3repE0EEENS1_30default_config_static_selectorELNS0_4arch9wavefront6targetE0EEEvSK_.has_recursion, 0
	.set _ZN7rocprim17ROCPRIM_400000_NS6detail17trampoline_kernelINS0_14default_configENS1_36segmented_radix_sort_config_selectorIdlEEZNS1_25segmented_radix_sort_implIS3_Lb1EPKdPdPKlPlN2at6native12_GLOBAL__N_18offset_tEEE10hipError_tPvRmT1_PNSt15iterator_traitsISK_E10value_typeET2_T3_PNSL_ISQ_E10value_typeET4_jRbjT5_SW_jjP12ihipStream_tbEUlT_E_NS1_11comp_targetILNS1_3genE5ELNS1_11target_archE942ELNS1_3gpuE9ELNS1_3repE0EEENS1_30default_config_static_selectorELNS0_4arch9wavefront6targetE0EEEvSK_.has_indirect_call, 0
	.section	.AMDGPU.csdata,"",@progbits
; Kernel info:
; codeLenInByte = 0
; TotalNumSgprs: 0
; NumVgprs: 0
; ScratchSize: 0
; MemoryBound: 0
; FloatMode: 240
; IeeeMode: 1
; LDSByteSize: 0 bytes/workgroup (compile time only)
; SGPRBlocks: 0
; VGPRBlocks: 0
; NumSGPRsForWavesPerEU: 1
; NumVGPRsForWavesPerEU: 1
; Occupancy: 16
; WaveLimiterHint : 0
; COMPUTE_PGM_RSRC2:SCRATCH_EN: 0
; COMPUTE_PGM_RSRC2:USER_SGPR: 2
; COMPUTE_PGM_RSRC2:TRAP_HANDLER: 0
; COMPUTE_PGM_RSRC2:TGID_X_EN: 1
; COMPUTE_PGM_RSRC2:TGID_Y_EN: 0
; COMPUTE_PGM_RSRC2:TGID_Z_EN: 0
; COMPUTE_PGM_RSRC2:TIDIG_COMP_CNT: 0
	.section	.text._ZN7rocprim17ROCPRIM_400000_NS6detail17trampoline_kernelINS0_14default_configENS1_36segmented_radix_sort_config_selectorIdlEEZNS1_25segmented_radix_sort_implIS3_Lb1EPKdPdPKlPlN2at6native12_GLOBAL__N_18offset_tEEE10hipError_tPvRmT1_PNSt15iterator_traitsISK_E10value_typeET2_T3_PNSL_ISQ_E10value_typeET4_jRbjT5_SW_jjP12ihipStream_tbEUlT_E_NS1_11comp_targetILNS1_3genE4ELNS1_11target_archE910ELNS1_3gpuE8ELNS1_3repE0EEENS1_30default_config_static_selectorELNS0_4arch9wavefront6targetE0EEEvSK_,"axG",@progbits,_ZN7rocprim17ROCPRIM_400000_NS6detail17trampoline_kernelINS0_14default_configENS1_36segmented_radix_sort_config_selectorIdlEEZNS1_25segmented_radix_sort_implIS3_Lb1EPKdPdPKlPlN2at6native12_GLOBAL__N_18offset_tEEE10hipError_tPvRmT1_PNSt15iterator_traitsISK_E10value_typeET2_T3_PNSL_ISQ_E10value_typeET4_jRbjT5_SW_jjP12ihipStream_tbEUlT_E_NS1_11comp_targetILNS1_3genE4ELNS1_11target_archE910ELNS1_3gpuE8ELNS1_3repE0EEENS1_30default_config_static_selectorELNS0_4arch9wavefront6targetE0EEEvSK_,comdat
	.globl	_ZN7rocprim17ROCPRIM_400000_NS6detail17trampoline_kernelINS0_14default_configENS1_36segmented_radix_sort_config_selectorIdlEEZNS1_25segmented_radix_sort_implIS3_Lb1EPKdPdPKlPlN2at6native12_GLOBAL__N_18offset_tEEE10hipError_tPvRmT1_PNSt15iterator_traitsISK_E10value_typeET2_T3_PNSL_ISQ_E10value_typeET4_jRbjT5_SW_jjP12ihipStream_tbEUlT_E_NS1_11comp_targetILNS1_3genE4ELNS1_11target_archE910ELNS1_3gpuE8ELNS1_3repE0EEENS1_30default_config_static_selectorELNS0_4arch9wavefront6targetE0EEEvSK_ ; -- Begin function _ZN7rocprim17ROCPRIM_400000_NS6detail17trampoline_kernelINS0_14default_configENS1_36segmented_radix_sort_config_selectorIdlEEZNS1_25segmented_radix_sort_implIS3_Lb1EPKdPdPKlPlN2at6native12_GLOBAL__N_18offset_tEEE10hipError_tPvRmT1_PNSt15iterator_traitsISK_E10value_typeET2_T3_PNSL_ISQ_E10value_typeET4_jRbjT5_SW_jjP12ihipStream_tbEUlT_E_NS1_11comp_targetILNS1_3genE4ELNS1_11target_archE910ELNS1_3gpuE8ELNS1_3repE0EEENS1_30default_config_static_selectorELNS0_4arch9wavefront6targetE0EEEvSK_
	.p2align	8
	.type	_ZN7rocprim17ROCPRIM_400000_NS6detail17trampoline_kernelINS0_14default_configENS1_36segmented_radix_sort_config_selectorIdlEEZNS1_25segmented_radix_sort_implIS3_Lb1EPKdPdPKlPlN2at6native12_GLOBAL__N_18offset_tEEE10hipError_tPvRmT1_PNSt15iterator_traitsISK_E10value_typeET2_T3_PNSL_ISQ_E10value_typeET4_jRbjT5_SW_jjP12ihipStream_tbEUlT_E_NS1_11comp_targetILNS1_3genE4ELNS1_11target_archE910ELNS1_3gpuE8ELNS1_3repE0EEENS1_30default_config_static_selectorELNS0_4arch9wavefront6targetE0EEEvSK_,@function
_ZN7rocprim17ROCPRIM_400000_NS6detail17trampoline_kernelINS0_14default_configENS1_36segmented_radix_sort_config_selectorIdlEEZNS1_25segmented_radix_sort_implIS3_Lb1EPKdPdPKlPlN2at6native12_GLOBAL__N_18offset_tEEE10hipError_tPvRmT1_PNSt15iterator_traitsISK_E10value_typeET2_T3_PNSL_ISQ_E10value_typeET4_jRbjT5_SW_jjP12ihipStream_tbEUlT_E_NS1_11comp_targetILNS1_3genE4ELNS1_11target_archE910ELNS1_3gpuE8ELNS1_3repE0EEENS1_30default_config_static_selectorELNS0_4arch9wavefront6targetE0EEEvSK_: ; @_ZN7rocprim17ROCPRIM_400000_NS6detail17trampoline_kernelINS0_14default_configENS1_36segmented_radix_sort_config_selectorIdlEEZNS1_25segmented_radix_sort_implIS3_Lb1EPKdPdPKlPlN2at6native12_GLOBAL__N_18offset_tEEE10hipError_tPvRmT1_PNSt15iterator_traitsISK_E10value_typeET2_T3_PNSL_ISQ_E10value_typeET4_jRbjT5_SW_jjP12ihipStream_tbEUlT_E_NS1_11comp_targetILNS1_3genE4ELNS1_11target_archE910ELNS1_3gpuE8ELNS1_3repE0EEENS1_30default_config_static_selectorELNS0_4arch9wavefront6targetE0EEEvSK_
; %bb.0:
	.section	.rodata,"a",@progbits
	.p2align	6, 0x0
	.amdhsa_kernel _ZN7rocprim17ROCPRIM_400000_NS6detail17trampoline_kernelINS0_14default_configENS1_36segmented_radix_sort_config_selectorIdlEEZNS1_25segmented_radix_sort_implIS3_Lb1EPKdPdPKlPlN2at6native12_GLOBAL__N_18offset_tEEE10hipError_tPvRmT1_PNSt15iterator_traitsISK_E10value_typeET2_T3_PNSL_ISQ_E10value_typeET4_jRbjT5_SW_jjP12ihipStream_tbEUlT_E_NS1_11comp_targetILNS1_3genE4ELNS1_11target_archE910ELNS1_3gpuE8ELNS1_3repE0EEENS1_30default_config_static_selectorELNS0_4arch9wavefront6targetE0EEEvSK_
		.amdhsa_group_segment_fixed_size 0
		.amdhsa_private_segment_fixed_size 0
		.amdhsa_kernarg_size 96
		.amdhsa_user_sgpr_count 2
		.amdhsa_user_sgpr_dispatch_ptr 0
		.amdhsa_user_sgpr_queue_ptr 0
		.amdhsa_user_sgpr_kernarg_segment_ptr 1
		.amdhsa_user_sgpr_dispatch_id 0
		.amdhsa_user_sgpr_private_segment_size 0
		.amdhsa_wavefront_size32 1
		.amdhsa_uses_dynamic_stack 0
		.amdhsa_enable_private_segment 0
		.amdhsa_system_sgpr_workgroup_id_x 1
		.amdhsa_system_sgpr_workgroup_id_y 0
		.amdhsa_system_sgpr_workgroup_id_z 0
		.amdhsa_system_sgpr_workgroup_info 0
		.amdhsa_system_vgpr_workitem_id 0
		.amdhsa_next_free_vgpr 1
		.amdhsa_next_free_sgpr 1
		.amdhsa_reserve_vcc 0
		.amdhsa_float_round_mode_32 0
		.amdhsa_float_round_mode_16_64 0
		.amdhsa_float_denorm_mode_32 3
		.amdhsa_float_denorm_mode_16_64 3
		.amdhsa_fp16_overflow 0
		.amdhsa_workgroup_processor_mode 1
		.amdhsa_memory_ordered 1
		.amdhsa_forward_progress 1
		.amdhsa_inst_pref_size 0
		.amdhsa_round_robin_scheduling 0
		.amdhsa_exception_fp_ieee_invalid_op 0
		.amdhsa_exception_fp_denorm_src 0
		.amdhsa_exception_fp_ieee_div_zero 0
		.amdhsa_exception_fp_ieee_overflow 0
		.amdhsa_exception_fp_ieee_underflow 0
		.amdhsa_exception_fp_ieee_inexact 0
		.amdhsa_exception_int_div_zero 0
	.end_amdhsa_kernel
	.section	.text._ZN7rocprim17ROCPRIM_400000_NS6detail17trampoline_kernelINS0_14default_configENS1_36segmented_radix_sort_config_selectorIdlEEZNS1_25segmented_radix_sort_implIS3_Lb1EPKdPdPKlPlN2at6native12_GLOBAL__N_18offset_tEEE10hipError_tPvRmT1_PNSt15iterator_traitsISK_E10value_typeET2_T3_PNSL_ISQ_E10value_typeET4_jRbjT5_SW_jjP12ihipStream_tbEUlT_E_NS1_11comp_targetILNS1_3genE4ELNS1_11target_archE910ELNS1_3gpuE8ELNS1_3repE0EEENS1_30default_config_static_selectorELNS0_4arch9wavefront6targetE0EEEvSK_,"axG",@progbits,_ZN7rocprim17ROCPRIM_400000_NS6detail17trampoline_kernelINS0_14default_configENS1_36segmented_radix_sort_config_selectorIdlEEZNS1_25segmented_radix_sort_implIS3_Lb1EPKdPdPKlPlN2at6native12_GLOBAL__N_18offset_tEEE10hipError_tPvRmT1_PNSt15iterator_traitsISK_E10value_typeET2_T3_PNSL_ISQ_E10value_typeET4_jRbjT5_SW_jjP12ihipStream_tbEUlT_E_NS1_11comp_targetILNS1_3genE4ELNS1_11target_archE910ELNS1_3gpuE8ELNS1_3repE0EEENS1_30default_config_static_selectorELNS0_4arch9wavefront6targetE0EEEvSK_,comdat
.Lfunc_end1120:
	.size	_ZN7rocprim17ROCPRIM_400000_NS6detail17trampoline_kernelINS0_14default_configENS1_36segmented_radix_sort_config_selectorIdlEEZNS1_25segmented_radix_sort_implIS3_Lb1EPKdPdPKlPlN2at6native12_GLOBAL__N_18offset_tEEE10hipError_tPvRmT1_PNSt15iterator_traitsISK_E10value_typeET2_T3_PNSL_ISQ_E10value_typeET4_jRbjT5_SW_jjP12ihipStream_tbEUlT_E_NS1_11comp_targetILNS1_3genE4ELNS1_11target_archE910ELNS1_3gpuE8ELNS1_3repE0EEENS1_30default_config_static_selectorELNS0_4arch9wavefront6targetE0EEEvSK_, .Lfunc_end1120-_ZN7rocprim17ROCPRIM_400000_NS6detail17trampoline_kernelINS0_14default_configENS1_36segmented_radix_sort_config_selectorIdlEEZNS1_25segmented_radix_sort_implIS3_Lb1EPKdPdPKlPlN2at6native12_GLOBAL__N_18offset_tEEE10hipError_tPvRmT1_PNSt15iterator_traitsISK_E10value_typeET2_T3_PNSL_ISQ_E10value_typeET4_jRbjT5_SW_jjP12ihipStream_tbEUlT_E_NS1_11comp_targetILNS1_3genE4ELNS1_11target_archE910ELNS1_3gpuE8ELNS1_3repE0EEENS1_30default_config_static_selectorELNS0_4arch9wavefront6targetE0EEEvSK_
                                        ; -- End function
	.set _ZN7rocprim17ROCPRIM_400000_NS6detail17trampoline_kernelINS0_14default_configENS1_36segmented_radix_sort_config_selectorIdlEEZNS1_25segmented_radix_sort_implIS3_Lb1EPKdPdPKlPlN2at6native12_GLOBAL__N_18offset_tEEE10hipError_tPvRmT1_PNSt15iterator_traitsISK_E10value_typeET2_T3_PNSL_ISQ_E10value_typeET4_jRbjT5_SW_jjP12ihipStream_tbEUlT_E_NS1_11comp_targetILNS1_3genE4ELNS1_11target_archE910ELNS1_3gpuE8ELNS1_3repE0EEENS1_30default_config_static_selectorELNS0_4arch9wavefront6targetE0EEEvSK_.num_vgpr, 0
	.set _ZN7rocprim17ROCPRIM_400000_NS6detail17trampoline_kernelINS0_14default_configENS1_36segmented_radix_sort_config_selectorIdlEEZNS1_25segmented_radix_sort_implIS3_Lb1EPKdPdPKlPlN2at6native12_GLOBAL__N_18offset_tEEE10hipError_tPvRmT1_PNSt15iterator_traitsISK_E10value_typeET2_T3_PNSL_ISQ_E10value_typeET4_jRbjT5_SW_jjP12ihipStream_tbEUlT_E_NS1_11comp_targetILNS1_3genE4ELNS1_11target_archE910ELNS1_3gpuE8ELNS1_3repE0EEENS1_30default_config_static_selectorELNS0_4arch9wavefront6targetE0EEEvSK_.num_agpr, 0
	.set _ZN7rocprim17ROCPRIM_400000_NS6detail17trampoline_kernelINS0_14default_configENS1_36segmented_radix_sort_config_selectorIdlEEZNS1_25segmented_radix_sort_implIS3_Lb1EPKdPdPKlPlN2at6native12_GLOBAL__N_18offset_tEEE10hipError_tPvRmT1_PNSt15iterator_traitsISK_E10value_typeET2_T3_PNSL_ISQ_E10value_typeET4_jRbjT5_SW_jjP12ihipStream_tbEUlT_E_NS1_11comp_targetILNS1_3genE4ELNS1_11target_archE910ELNS1_3gpuE8ELNS1_3repE0EEENS1_30default_config_static_selectorELNS0_4arch9wavefront6targetE0EEEvSK_.numbered_sgpr, 0
	.set _ZN7rocprim17ROCPRIM_400000_NS6detail17trampoline_kernelINS0_14default_configENS1_36segmented_radix_sort_config_selectorIdlEEZNS1_25segmented_radix_sort_implIS3_Lb1EPKdPdPKlPlN2at6native12_GLOBAL__N_18offset_tEEE10hipError_tPvRmT1_PNSt15iterator_traitsISK_E10value_typeET2_T3_PNSL_ISQ_E10value_typeET4_jRbjT5_SW_jjP12ihipStream_tbEUlT_E_NS1_11comp_targetILNS1_3genE4ELNS1_11target_archE910ELNS1_3gpuE8ELNS1_3repE0EEENS1_30default_config_static_selectorELNS0_4arch9wavefront6targetE0EEEvSK_.num_named_barrier, 0
	.set _ZN7rocprim17ROCPRIM_400000_NS6detail17trampoline_kernelINS0_14default_configENS1_36segmented_radix_sort_config_selectorIdlEEZNS1_25segmented_radix_sort_implIS3_Lb1EPKdPdPKlPlN2at6native12_GLOBAL__N_18offset_tEEE10hipError_tPvRmT1_PNSt15iterator_traitsISK_E10value_typeET2_T3_PNSL_ISQ_E10value_typeET4_jRbjT5_SW_jjP12ihipStream_tbEUlT_E_NS1_11comp_targetILNS1_3genE4ELNS1_11target_archE910ELNS1_3gpuE8ELNS1_3repE0EEENS1_30default_config_static_selectorELNS0_4arch9wavefront6targetE0EEEvSK_.private_seg_size, 0
	.set _ZN7rocprim17ROCPRIM_400000_NS6detail17trampoline_kernelINS0_14default_configENS1_36segmented_radix_sort_config_selectorIdlEEZNS1_25segmented_radix_sort_implIS3_Lb1EPKdPdPKlPlN2at6native12_GLOBAL__N_18offset_tEEE10hipError_tPvRmT1_PNSt15iterator_traitsISK_E10value_typeET2_T3_PNSL_ISQ_E10value_typeET4_jRbjT5_SW_jjP12ihipStream_tbEUlT_E_NS1_11comp_targetILNS1_3genE4ELNS1_11target_archE910ELNS1_3gpuE8ELNS1_3repE0EEENS1_30default_config_static_selectorELNS0_4arch9wavefront6targetE0EEEvSK_.uses_vcc, 0
	.set _ZN7rocprim17ROCPRIM_400000_NS6detail17trampoline_kernelINS0_14default_configENS1_36segmented_radix_sort_config_selectorIdlEEZNS1_25segmented_radix_sort_implIS3_Lb1EPKdPdPKlPlN2at6native12_GLOBAL__N_18offset_tEEE10hipError_tPvRmT1_PNSt15iterator_traitsISK_E10value_typeET2_T3_PNSL_ISQ_E10value_typeET4_jRbjT5_SW_jjP12ihipStream_tbEUlT_E_NS1_11comp_targetILNS1_3genE4ELNS1_11target_archE910ELNS1_3gpuE8ELNS1_3repE0EEENS1_30default_config_static_selectorELNS0_4arch9wavefront6targetE0EEEvSK_.uses_flat_scratch, 0
	.set _ZN7rocprim17ROCPRIM_400000_NS6detail17trampoline_kernelINS0_14default_configENS1_36segmented_radix_sort_config_selectorIdlEEZNS1_25segmented_radix_sort_implIS3_Lb1EPKdPdPKlPlN2at6native12_GLOBAL__N_18offset_tEEE10hipError_tPvRmT1_PNSt15iterator_traitsISK_E10value_typeET2_T3_PNSL_ISQ_E10value_typeET4_jRbjT5_SW_jjP12ihipStream_tbEUlT_E_NS1_11comp_targetILNS1_3genE4ELNS1_11target_archE910ELNS1_3gpuE8ELNS1_3repE0EEENS1_30default_config_static_selectorELNS0_4arch9wavefront6targetE0EEEvSK_.has_dyn_sized_stack, 0
	.set _ZN7rocprim17ROCPRIM_400000_NS6detail17trampoline_kernelINS0_14default_configENS1_36segmented_radix_sort_config_selectorIdlEEZNS1_25segmented_radix_sort_implIS3_Lb1EPKdPdPKlPlN2at6native12_GLOBAL__N_18offset_tEEE10hipError_tPvRmT1_PNSt15iterator_traitsISK_E10value_typeET2_T3_PNSL_ISQ_E10value_typeET4_jRbjT5_SW_jjP12ihipStream_tbEUlT_E_NS1_11comp_targetILNS1_3genE4ELNS1_11target_archE910ELNS1_3gpuE8ELNS1_3repE0EEENS1_30default_config_static_selectorELNS0_4arch9wavefront6targetE0EEEvSK_.has_recursion, 0
	.set _ZN7rocprim17ROCPRIM_400000_NS6detail17trampoline_kernelINS0_14default_configENS1_36segmented_radix_sort_config_selectorIdlEEZNS1_25segmented_radix_sort_implIS3_Lb1EPKdPdPKlPlN2at6native12_GLOBAL__N_18offset_tEEE10hipError_tPvRmT1_PNSt15iterator_traitsISK_E10value_typeET2_T3_PNSL_ISQ_E10value_typeET4_jRbjT5_SW_jjP12ihipStream_tbEUlT_E_NS1_11comp_targetILNS1_3genE4ELNS1_11target_archE910ELNS1_3gpuE8ELNS1_3repE0EEENS1_30default_config_static_selectorELNS0_4arch9wavefront6targetE0EEEvSK_.has_indirect_call, 0
	.section	.AMDGPU.csdata,"",@progbits
; Kernel info:
; codeLenInByte = 0
; TotalNumSgprs: 0
; NumVgprs: 0
; ScratchSize: 0
; MemoryBound: 0
; FloatMode: 240
; IeeeMode: 1
; LDSByteSize: 0 bytes/workgroup (compile time only)
; SGPRBlocks: 0
; VGPRBlocks: 0
; NumSGPRsForWavesPerEU: 1
; NumVGPRsForWavesPerEU: 1
; Occupancy: 16
; WaveLimiterHint : 0
; COMPUTE_PGM_RSRC2:SCRATCH_EN: 0
; COMPUTE_PGM_RSRC2:USER_SGPR: 2
; COMPUTE_PGM_RSRC2:TRAP_HANDLER: 0
; COMPUTE_PGM_RSRC2:TGID_X_EN: 1
; COMPUTE_PGM_RSRC2:TGID_Y_EN: 0
; COMPUTE_PGM_RSRC2:TGID_Z_EN: 0
; COMPUTE_PGM_RSRC2:TIDIG_COMP_CNT: 0
	.section	.text._ZN7rocprim17ROCPRIM_400000_NS6detail17trampoline_kernelINS0_14default_configENS1_36segmented_radix_sort_config_selectorIdlEEZNS1_25segmented_radix_sort_implIS3_Lb1EPKdPdPKlPlN2at6native12_GLOBAL__N_18offset_tEEE10hipError_tPvRmT1_PNSt15iterator_traitsISK_E10value_typeET2_T3_PNSL_ISQ_E10value_typeET4_jRbjT5_SW_jjP12ihipStream_tbEUlT_E_NS1_11comp_targetILNS1_3genE3ELNS1_11target_archE908ELNS1_3gpuE7ELNS1_3repE0EEENS1_30default_config_static_selectorELNS0_4arch9wavefront6targetE0EEEvSK_,"axG",@progbits,_ZN7rocprim17ROCPRIM_400000_NS6detail17trampoline_kernelINS0_14default_configENS1_36segmented_radix_sort_config_selectorIdlEEZNS1_25segmented_radix_sort_implIS3_Lb1EPKdPdPKlPlN2at6native12_GLOBAL__N_18offset_tEEE10hipError_tPvRmT1_PNSt15iterator_traitsISK_E10value_typeET2_T3_PNSL_ISQ_E10value_typeET4_jRbjT5_SW_jjP12ihipStream_tbEUlT_E_NS1_11comp_targetILNS1_3genE3ELNS1_11target_archE908ELNS1_3gpuE7ELNS1_3repE0EEENS1_30default_config_static_selectorELNS0_4arch9wavefront6targetE0EEEvSK_,comdat
	.globl	_ZN7rocprim17ROCPRIM_400000_NS6detail17trampoline_kernelINS0_14default_configENS1_36segmented_radix_sort_config_selectorIdlEEZNS1_25segmented_radix_sort_implIS3_Lb1EPKdPdPKlPlN2at6native12_GLOBAL__N_18offset_tEEE10hipError_tPvRmT1_PNSt15iterator_traitsISK_E10value_typeET2_T3_PNSL_ISQ_E10value_typeET4_jRbjT5_SW_jjP12ihipStream_tbEUlT_E_NS1_11comp_targetILNS1_3genE3ELNS1_11target_archE908ELNS1_3gpuE7ELNS1_3repE0EEENS1_30default_config_static_selectorELNS0_4arch9wavefront6targetE0EEEvSK_ ; -- Begin function _ZN7rocprim17ROCPRIM_400000_NS6detail17trampoline_kernelINS0_14default_configENS1_36segmented_radix_sort_config_selectorIdlEEZNS1_25segmented_radix_sort_implIS3_Lb1EPKdPdPKlPlN2at6native12_GLOBAL__N_18offset_tEEE10hipError_tPvRmT1_PNSt15iterator_traitsISK_E10value_typeET2_T3_PNSL_ISQ_E10value_typeET4_jRbjT5_SW_jjP12ihipStream_tbEUlT_E_NS1_11comp_targetILNS1_3genE3ELNS1_11target_archE908ELNS1_3gpuE7ELNS1_3repE0EEENS1_30default_config_static_selectorELNS0_4arch9wavefront6targetE0EEEvSK_
	.p2align	8
	.type	_ZN7rocprim17ROCPRIM_400000_NS6detail17trampoline_kernelINS0_14default_configENS1_36segmented_radix_sort_config_selectorIdlEEZNS1_25segmented_radix_sort_implIS3_Lb1EPKdPdPKlPlN2at6native12_GLOBAL__N_18offset_tEEE10hipError_tPvRmT1_PNSt15iterator_traitsISK_E10value_typeET2_T3_PNSL_ISQ_E10value_typeET4_jRbjT5_SW_jjP12ihipStream_tbEUlT_E_NS1_11comp_targetILNS1_3genE3ELNS1_11target_archE908ELNS1_3gpuE7ELNS1_3repE0EEENS1_30default_config_static_selectorELNS0_4arch9wavefront6targetE0EEEvSK_,@function
_ZN7rocprim17ROCPRIM_400000_NS6detail17trampoline_kernelINS0_14default_configENS1_36segmented_radix_sort_config_selectorIdlEEZNS1_25segmented_radix_sort_implIS3_Lb1EPKdPdPKlPlN2at6native12_GLOBAL__N_18offset_tEEE10hipError_tPvRmT1_PNSt15iterator_traitsISK_E10value_typeET2_T3_PNSL_ISQ_E10value_typeET4_jRbjT5_SW_jjP12ihipStream_tbEUlT_E_NS1_11comp_targetILNS1_3genE3ELNS1_11target_archE908ELNS1_3gpuE7ELNS1_3repE0EEENS1_30default_config_static_selectorELNS0_4arch9wavefront6targetE0EEEvSK_: ; @_ZN7rocprim17ROCPRIM_400000_NS6detail17trampoline_kernelINS0_14default_configENS1_36segmented_radix_sort_config_selectorIdlEEZNS1_25segmented_radix_sort_implIS3_Lb1EPKdPdPKlPlN2at6native12_GLOBAL__N_18offset_tEEE10hipError_tPvRmT1_PNSt15iterator_traitsISK_E10value_typeET2_T3_PNSL_ISQ_E10value_typeET4_jRbjT5_SW_jjP12ihipStream_tbEUlT_E_NS1_11comp_targetILNS1_3genE3ELNS1_11target_archE908ELNS1_3gpuE7ELNS1_3repE0EEENS1_30default_config_static_selectorELNS0_4arch9wavefront6targetE0EEEvSK_
; %bb.0:
	.section	.rodata,"a",@progbits
	.p2align	6, 0x0
	.amdhsa_kernel _ZN7rocprim17ROCPRIM_400000_NS6detail17trampoline_kernelINS0_14default_configENS1_36segmented_radix_sort_config_selectorIdlEEZNS1_25segmented_radix_sort_implIS3_Lb1EPKdPdPKlPlN2at6native12_GLOBAL__N_18offset_tEEE10hipError_tPvRmT1_PNSt15iterator_traitsISK_E10value_typeET2_T3_PNSL_ISQ_E10value_typeET4_jRbjT5_SW_jjP12ihipStream_tbEUlT_E_NS1_11comp_targetILNS1_3genE3ELNS1_11target_archE908ELNS1_3gpuE7ELNS1_3repE0EEENS1_30default_config_static_selectorELNS0_4arch9wavefront6targetE0EEEvSK_
		.amdhsa_group_segment_fixed_size 0
		.amdhsa_private_segment_fixed_size 0
		.amdhsa_kernarg_size 96
		.amdhsa_user_sgpr_count 2
		.amdhsa_user_sgpr_dispatch_ptr 0
		.amdhsa_user_sgpr_queue_ptr 0
		.amdhsa_user_sgpr_kernarg_segment_ptr 1
		.amdhsa_user_sgpr_dispatch_id 0
		.amdhsa_user_sgpr_private_segment_size 0
		.amdhsa_wavefront_size32 1
		.amdhsa_uses_dynamic_stack 0
		.amdhsa_enable_private_segment 0
		.amdhsa_system_sgpr_workgroup_id_x 1
		.amdhsa_system_sgpr_workgroup_id_y 0
		.amdhsa_system_sgpr_workgroup_id_z 0
		.amdhsa_system_sgpr_workgroup_info 0
		.amdhsa_system_vgpr_workitem_id 0
		.amdhsa_next_free_vgpr 1
		.amdhsa_next_free_sgpr 1
		.amdhsa_reserve_vcc 0
		.amdhsa_float_round_mode_32 0
		.amdhsa_float_round_mode_16_64 0
		.amdhsa_float_denorm_mode_32 3
		.amdhsa_float_denorm_mode_16_64 3
		.amdhsa_fp16_overflow 0
		.amdhsa_workgroup_processor_mode 1
		.amdhsa_memory_ordered 1
		.amdhsa_forward_progress 1
		.amdhsa_inst_pref_size 0
		.amdhsa_round_robin_scheduling 0
		.amdhsa_exception_fp_ieee_invalid_op 0
		.amdhsa_exception_fp_denorm_src 0
		.amdhsa_exception_fp_ieee_div_zero 0
		.amdhsa_exception_fp_ieee_overflow 0
		.amdhsa_exception_fp_ieee_underflow 0
		.amdhsa_exception_fp_ieee_inexact 0
		.amdhsa_exception_int_div_zero 0
	.end_amdhsa_kernel
	.section	.text._ZN7rocprim17ROCPRIM_400000_NS6detail17trampoline_kernelINS0_14default_configENS1_36segmented_radix_sort_config_selectorIdlEEZNS1_25segmented_radix_sort_implIS3_Lb1EPKdPdPKlPlN2at6native12_GLOBAL__N_18offset_tEEE10hipError_tPvRmT1_PNSt15iterator_traitsISK_E10value_typeET2_T3_PNSL_ISQ_E10value_typeET4_jRbjT5_SW_jjP12ihipStream_tbEUlT_E_NS1_11comp_targetILNS1_3genE3ELNS1_11target_archE908ELNS1_3gpuE7ELNS1_3repE0EEENS1_30default_config_static_selectorELNS0_4arch9wavefront6targetE0EEEvSK_,"axG",@progbits,_ZN7rocprim17ROCPRIM_400000_NS6detail17trampoline_kernelINS0_14default_configENS1_36segmented_radix_sort_config_selectorIdlEEZNS1_25segmented_radix_sort_implIS3_Lb1EPKdPdPKlPlN2at6native12_GLOBAL__N_18offset_tEEE10hipError_tPvRmT1_PNSt15iterator_traitsISK_E10value_typeET2_T3_PNSL_ISQ_E10value_typeET4_jRbjT5_SW_jjP12ihipStream_tbEUlT_E_NS1_11comp_targetILNS1_3genE3ELNS1_11target_archE908ELNS1_3gpuE7ELNS1_3repE0EEENS1_30default_config_static_selectorELNS0_4arch9wavefront6targetE0EEEvSK_,comdat
.Lfunc_end1121:
	.size	_ZN7rocprim17ROCPRIM_400000_NS6detail17trampoline_kernelINS0_14default_configENS1_36segmented_radix_sort_config_selectorIdlEEZNS1_25segmented_radix_sort_implIS3_Lb1EPKdPdPKlPlN2at6native12_GLOBAL__N_18offset_tEEE10hipError_tPvRmT1_PNSt15iterator_traitsISK_E10value_typeET2_T3_PNSL_ISQ_E10value_typeET4_jRbjT5_SW_jjP12ihipStream_tbEUlT_E_NS1_11comp_targetILNS1_3genE3ELNS1_11target_archE908ELNS1_3gpuE7ELNS1_3repE0EEENS1_30default_config_static_selectorELNS0_4arch9wavefront6targetE0EEEvSK_, .Lfunc_end1121-_ZN7rocprim17ROCPRIM_400000_NS6detail17trampoline_kernelINS0_14default_configENS1_36segmented_radix_sort_config_selectorIdlEEZNS1_25segmented_radix_sort_implIS3_Lb1EPKdPdPKlPlN2at6native12_GLOBAL__N_18offset_tEEE10hipError_tPvRmT1_PNSt15iterator_traitsISK_E10value_typeET2_T3_PNSL_ISQ_E10value_typeET4_jRbjT5_SW_jjP12ihipStream_tbEUlT_E_NS1_11comp_targetILNS1_3genE3ELNS1_11target_archE908ELNS1_3gpuE7ELNS1_3repE0EEENS1_30default_config_static_selectorELNS0_4arch9wavefront6targetE0EEEvSK_
                                        ; -- End function
	.set _ZN7rocprim17ROCPRIM_400000_NS6detail17trampoline_kernelINS0_14default_configENS1_36segmented_radix_sort_config_selectorIdlEEZNS1_25segmented_radix_sort_implIS3_Lb1EPKdPdPKlPlN2at6native12_GLOBAL__N_18offset_tEEE10hipError_tPvRmT1_PNSt15iterator_traitsISK_E10value_typeET2_T3_PNSL_ISQ_E10value_typeET4_jRbjT5_SW_jjP12ihipStream_tbEUlT_E_NS1_11comp_targetILNS1_3genE3ELNS1_11target_archE908ELNS1_3gpuE7ELNS1_3repE0EEENS1_30default_config_static_selectorELNS0_4arch9wavefront6targetE0EEEvSK_.num_vgpr, 0
	.set _ZN7rocprim17ROCPRIM_400000_NS6detail17trampoline_kernelINS0_14default_configENS1_36segmented_radix_sort_config_selectorIdlEEZNS1_25segmented_radix_sort_implIS3_Lb1EPKdPdPKlPlN2at6native12_GLOBAL__N_18offset_tEEE10hipError_tPvRmT1_PNSt15iterator_traitsISK_E10value_typeET2_T3_PNSL_ISQ_E10value_typeET4_jRbjT5_SW_jjP12ihipStream_tbEUlT_E_NS1_11comp_targetILNS1_3genE3ELNS1_11target_archE908ELNS1_3gpuE7ELNS1_3repE0EEENS1_30default_config_static_selectorELNS0_4arch9wavefront6targetE0EEEvSK_.num_agpr, 0
	.set _ZN7rocprim17ROCPRIM_400000_NS6detail17trampoline_kernelINS0_14default_configENS1_36segmented_radix_sort_config_selectorIdlEEZNS1_25segmented_radix_sort_implIS3_Lb1EPKdPdPKlPlN2at6native12_GLOBAL__N_18offset_tEEE10hipError_tPvRmT1_PNSt15iterator_traitsISK_E10value_typeET2_T3_PNSL_ISQ_E10value_typeET4_jRbjT5_SW_jjP12ihipStream_tbEUlT_E_NS1_11comp_targetILNS1_3genE3ELNS1_11target_archE908ELNS1_3gpuE7ELNS1_3repE0EEENS1_30default_config_static_selectorELNS0_4arch9wavefront6targetE0EEEvSK_.numbered_sgpr, 0
	.set _ZN7rocprim17ROCPRIM_400000_NS6detail17trampoline_kernelINS0_14default_configENS1_36segmented_radix_sort_config_selectorIdlEEZNS1_25segmented_radix_sort_implIS3_Lb1EPKdPdPKlPlN2at6native12_GLOBAL__N_18offset_tEEE10hipError_tPvRmT1_PNSt15iterator_traitsISK_E10value_typeET2_T3_PNSL_ISQ_E10value_typeET4_jRbjT5_SW_jjP12ihipStream_tbEUlT_E_NS1_11comp_targetILNS1_3genE3ELNS1_11target_archE908ELNS1_3gpuE7ELNS1_3repE0EEENS1_30default_config_static_selectorELNS0_4arch9wavefront6targetE0EEEvSK_.num_named_barrier, 0
	.set _ZN7rocprim17ROCPRIM_400000_NS6detail17trampoline_kernelINS0_14default_configENS1_36segmented_radix_sort_config_selectorIdlEEZNS1_25segmented_radix_sort_implIS3_Lb1EPKdPdPKlPlN2at6native12_GLOBAL__N_18offset_tEEE10hipError_tPvRmT1_PNSt15iterator_traitsISK_E10value_typeET2_T3_PNSL_ISQ_E10value_typeET4_jRbjT5_SW_jjP12ihipStream_tbEUlT_E_NS1_11comp_targetILNS1_3genE3ELNS1_11target_archE908ELNS1_3gpuE7ELNS1_3repE0EEENS1_30default_config_static_selectorELNS0_4arch9wavefront6targetE0EEEvSK_.private_seg_size, 0
	.set _ZN7rocprim17ROCPRIM_400000_NS6detail17trampoline_kernelINS0_14default_configENS1_36segmented_radix_sort_config_selectorIdlEEZNS1_25segmented_radix_sort_implIS3_Lb1EPKdPdPKlPlN2at6native12_GLOBAL__N_18offset_tEEE10hipError_tPvRmT1_PNSt15iterator_traitsISK_E10value_typeET2_T3_PNSL_ISQ_E10value_typeET4_jRbjT5_SW_jjP12ihipStream_tbEUlT_E_NS1_11comp_targetILNS1_3genE3ELNS1_11target_archE908ELNS1_3gpuE7ELNS1_3repE0EEENS1_30default_config_static_selectorELNS0_4arch9wavefront6targetE0EEEvSK_.uses_vcc, 0
	.set _ZN7rocprim17ROCPRIM_400000_NS6detail17trampoline_kernelINS0_14default_configENS1_36segmented_radix_sort_config_selectorIdlEEZNS1_25segmented_radix_sort_implIS3_Lb1EPKdPdPKlPlN2at6native12_GLOBAL__N_18offset_tEEE10hipError_tPvRmT1_PNSt15iterator_traitsISK_E10value_typeET2_T3_PNSL_ISQ_E10value_typeET4_jRbjT5_SW_jjP12ihipStream_tbEUlT_E_NS1_11comp_targetILNS1_3genE3ELNS1_11target_archE908ELNS1_3gpuE7ELNS1_3repE0EEENS1_30default_config_static_selectorELNS0_4arch9wavefront6targetE0EEEvSK_.uses_flat_scratch, 0
	.set _ZN7rocprim17ROCPRIM_400000_NS6detail17trampoline_kernelINS0_14default_configENS1_36segmented_radix_sort_config_selectorIdlEEZNS1_25segmented_radix_sort_implIS3_Lb1EPKdPdPKlPlN2at6native12_GLOBAL__N_18offset_tEEE10hipError_tPvRmT1_PNSt15iterator_traitsISK_E10value_typeET2_T3_PNSL_ISQ_E10value_typeET4_jRbjT5_SW_jjP12ihipStream_tbEUlT_E_NS1_11comp_targetILNS1_3genE3ELNS1_11target_archE908ELNS1_3gpuE7ELNS1_3repE0EEENS1_30default_config_static_selectorELNS0_4arch9wavefront6targetE0EEEvSK_.has_dyn_sized_stack, 0
	.set _ZN7rocprim17ROCPRIM_400000_NS6detail17trampoline_kernelINS0_14default_configENS1_36segmented_radix_sort_config_selectorIdlEEZNS1_25segmented_radix_sort_implIS3_Lb1EPKdPdPKlPlN2at6native12_GLOBAL__N_18offset_tEEE10hipError_tPvRmT1_PNSt15iterator_traitsISK_E10value_typeET2_T3_PNSL_ISQ_E10value_typeET4_jRbjT5_SW_jjP12ihipStream_tbEUlT_E_NS1_11comp_targetILNS1_3genE3ELNS1_11target_archE908ELNS1_3gpuE7ELNS1_3repE0EEENS1_30default_config_static_selectorELNS0_4arch9wavefront6targetE0EEEvSK_.has_recursion, 0
	.set _ZN7rocprim17ROCPRIM_400000_NS6detail17trampoline_kernelINS0_14default_configENS1_36segmented_radix_sort_config_selectorIdlEEZNS1_25segmented_radix_sort_implIS3_Lb1EPKdPdPKlPlN2at6native12_GLOBAL__N_18offset_tEEE10hipError_tPvRmT1_PNSt15iterator_traitsISK_E10value_typeET2_T3_PNSL_ISQ_E10value_typeET4_jRbjT5_SW_jjP12ihipStream_tbEUlT_E_NS1_11comp_targetILNS1_3genE3ELNS1_11target_archE908ELNS1_3gpuE7ELNS1_3repE0EEENS1_30default_config_static_selectorELNS0_4arch9wavefront6targetE0EEEvSK_.has_indirect_call, 0
	.section	.AMDGPU.csdata,"",@progbits
; Kernel info:
; codeLenInByte = 0
; TotalNumSgprs: 0
; NumVgprs: 0
; ScratchSize: 0
; MemoryBound: 0
; FloatMode: 240
; IeeeMode: 1
; LDSByteSize: 0 bytes/workgroup (compile time only)
; SGPRBlocks: 0
; VGPRBlocks: 0
; NumSGPRsForWavesPerEU: 1
; NumVGPRsForWavesPerEU: 1
; Occupancy: 16
; WaveLimiterHint : 0
; COMPUTE_PGM_RSRC2:SCRATCH_EN: 0
; COMPUTE_PGM_RSRC2:USER_SGPR: 2
; COMPUTE_PGM_RSRC2:TRAP_HANDLER: 0
; COMPUTE_PGM_RSRC2:TGID_X_EN: 1
; COMPUTE_PGM_RSRC2:TGID_Y_EN: 0
; COMPUTE_PGM_RSRC2:TGID_Z_EN: 0
; COMPUTE_PGM_RSRC2:TIDIG_COMP_CNT: 0
	.section	.text._ZN7rocprim17ROCPRIM_400000_NS6detail17trampoline_kernelINS0_14default_configENS1_36segmented_radix_sort_config_selectorIdlEEZNS1_25segmented_radix_sort_implIS3_Lb1EPKdPdPKlPlN2at6native12_GLOBAL__N_18offset_tEEE10hipError_tPvRmT1_PNSt15iterator_traitsISK_E10value_typeET2_T3_PNSL_ISQ_E10value_typeET4_jRbjT5_SW_jjP12ihipStream_tbEUlT_E_NS1_11comp_targetILNS1_3genE2ELNS1_11target_archE906ELNS1_3gpuE6ELNS1_3repE0EEENS1_30default_config_static_selectorELNS0_4arch9wavefront6targetE0EEEvSK_,"axG",@progbits,_ZN7rocprim17ROCPRIM_400000_NS6detail17trampoline_kernelINS0_14default_configENS1_36segmented_radix_sort_config_selectorIdlEEZNS1_25segmented_radix_sort_implIS3_Lb1EPKdPdPKlPlN2at6native12_GLOBAL__N_18offset_tEEE10hipError_tPvRmT1_PNSt15iterator_traitsISK_E10value_typeET2_T3_PNSL_ISQ_E10value_typeET4_jRbjT5_SW_jjP12ihipStream_tbEUlT_E_NS1_11comp_targetILNS1_3genE2ELNS1_11target_archE906ELNS1_3gpuE6ELNS1_3repE0EEENS1_30default_config_static_selectorELNS0_4arch9wavefront6targetE0EEEvSK_,comdat
	.globl	_ZN7rocprim17ROCPRIM_400000_NS6detail17trampoline_kernelINS0_14default_configENS1_36segmented_radix_sort_config_selectorIdlEEZNS1_25segmented_radix_sort_implIS3_Lb1EPKdPdPKlPlN2at6native12_GLOBAL__N_18offset_tEEE10hipError_tPvRmT1_PNSt15iterator_traitsISK_E10value_typeET2_T3_PNSL_ISQ_E10value_typeET4_jRbjT5_SW_jjP12ihipStream_tbEUlT_E_NS1_11comp_targetILNS1_3genE2ELNS1_11target_archE906ELNS1_3gpuE6ELNS1_3repE0EEENS1_30default_config_static_selectorELNS0_4arch9wavefront6targetE0EEEvSK_ ; -- Begin function _ZN7rocprim17ROCPRIM_400000_NS6detail17trampoline_kernelINS0_14default_configENS1_36segmented_radix_sort_config_selectorIdlEEZNS1_25segmented_radix_sort_implIS3_Lb1EPKdPdPKlPlN2at6native12_GLOBAL__N_18offset_tEEE10hipError_tPvRmT1_PNSt15iterator_traitsISK_E10value_typeET2_T3_PNSL_ISQ_E10value_typeET4_jRbjT5_SW_jjP12ihipStream_tbEUlT_E_NS1_11comp_targetILNS1_3genE2ELNS1_11target_archE906ELNS1_3gpuE6ELNS1_3repE0EEENS1_30default_config_static_selectorELNS0_4arch9wavefront6targetE0EEEvSK_
	.p2align	8
	.type	_ZN7rocprim17ROCPRIM_400000_NS6detail17trampoline_kernelINS0_14default_configENS1_36segmented_radix_sort_config_selectorIdlEEZNS1_25segmented_radix_sort_implIS3_Lb1EPKdPdPKlPlN2at6native12_GLOBAL__N_18offset_tEEE10hipError_tPvRmT1_PNSt15iterator_traitsISK_E10value_typeET2_T3_PNSL_ISQ_E10value_typeET4_jRbjT5_SW_jjP12ihipStream_tbEUlT_E_NS1_11comp_targetILNS1_3genE2ELNS1_11target_archE906ELNS1_3gpuE6ELNS1_3repE0EEENS1_30default_config_static_selectorELNS0_4arch9wavefront6targetE0EEEvSK_,@function
_ZN7rocprim17ROCPRIM_400000_NS6detail17trampoline_kernelINS0_14default_configENS1_36segmented_radix_sort_config_selectorIdlEEZNS1_25segmented_radix_sort_implIS3_Lb1EPKdPdPKlPlN2at6native12_GLOBAL__N_18offset_tEEE10hipError_tPvRmT1_PNSt15iterator_traitsISK_E10value_typeET2_T3_PNSL_ISQ_E10value_typeET4_jRbjT5_SW_jjP12ihipStream_tbEUlT_E_NS1_11comp_targetILNS1_3genE2ELNS1_11target_archE906ELNS1_3gpuE6ELNS1_3repE0EEENS1_30default_config_static_selectorELNS0_4arch9wavefront6targetE0EEEvSK_: ; @_ZN7rocprim17ROCPRIM_400000_NS6detail17trampoline_kernelINS0_14default_configENS1_36segmented_radix_sort_config_selectorIdlEEZNS1_25segmented_radix_sort_implIS3_Lb1EPKdPdPKlPlN2at6native12_GLOBAL__N_18offset_tEEE10hipError_tPvRmT1_PNSt15iterator_traitsISK_E10value_typeET2_T3_PNSL_ISQ_E10value_typeET4_jRbjT5_SW_jjP12ihipStream_tbEUlT_E_NS1_11comp_targetILNS1_3genE2ELNS1_11target_archE906ELNS1_3gpuE6ELNS1_3repE0EEENS1_30default_config_static_selectorELNS0_4arch9wavefront6targetE0EEEvSK_
; %bb.0:
	.section	.rodata,"a",@progbits
	.p2align	6, 0x0
	.amdhsa_kernel _ZN7rocprim17ROCPRIM_400000_NS6detail17trampoline_kernelINS0_14default_configENS1_36segmented_radix_sort_config_selectorIdlEEZNS1_25segmented_radix_sort_implIS3_Lb1EPKdPdPKlPlN2at6native12_GLOBAL__N_18offset_tEEE10hipError_tPvRmT1_PNSt15iterator_traitsISK_E10value_typeET2_T3_PNSL_ISQ_E10value_typeET4_jRbjT5_SW_jjP12ihipStream_tbEUlT_E_NS1_11comp_targetILNS1_3genE2ELNS1_11target_archE906ELNS1_3gpuE6ELNS1_3repE0EEENS1_30default_config_static_selectorELNS0_4arch9wavefront6targetE0EEEvSK_
		.amdhsa_group_segment_fixed_size 0
		.amdhsa_private_segment_fixed_size 0
		.amdhsa_kernarg_size 96
		.amdhsa_user_sgpr_count 2
		.amdhsa_user_sgpr_dispatch_ptr 0
		.amdhsa_user_sgpr_queue_ptr 0
		.amdhsa_user_sgpr_kernarg_segment_ptr 1
		.amdhsa_user_sgpr_dispatch_id 0
		.amdhsa_user_sgpr_private_segment_size 0
		.amdhsa_wavefront_size32 1
		.amdhsa_uses_dynamic_stack 0
		.amdhsa_enable_private_segment 0
		.amdhsa_system_sgpr_workgroup_id_x 1
		.amdhsa_system_sgpr_workgroup_id_y 0
		.amdhsa_system_sgpr_workgroup_id_z 0
		.amdhsa_system_sgpr_workgroup_info 0
		.amdhsa_system_vgpr_workitem_id 0
		.amdhsa_next_free_vgpr 1
		.amdhsa_next_free_sgpr 1
		.amdhsa_reserve_vcc 0
		.amdhsa_float_round_mode_32 0
		.amdhsa_float_round_mode_16_64 0
		.amdhsa_float_denorm_mode_32 3
		.amdhsa_float_denorm_mode_16_64 3
		.amdhsa_fp16_overflow 0
		.amdhsa_workgroup_processor_mode 1
		.amdhsa_memory_ordered 1
		.amdhsa_forward_progress 1
		.amdhsa_inst_pref_size 0
		.amdhsa_round_robin_scheduling 0
		.amdhsa_exception_fp_ieee_invalid_op 0
		.amdhsa_exception_fp_denorm_src 0
		.amdhsa_exception_fp_ieee_div_zero 0
		.amdhsa_exception_fp_ieee_overflow 0
		.amdhsa_exception_fp_ieee_underflow 0
		.amdhsa_exception_fp_ieee_inexact 0
		.amdhsa_exception_int_div_zero 0
	.end_amdhsa_kernel
	.section	.text._ZN7rocprim17ROCPRIM_400000_NS6detail17trampoline_kernelINS0_14default_configENS1_36segmented_radix_sort_config_selectorIdlEEZNS1_25segmented_radix_sort_implIS3_Lb1EPKdPdPKlPlN2at6native12_GLOBAL__N_18offset_tEEE10hipError_tPvRmT1_PNSt15iterator_traitsISK_E10value_typeET2_T3_PNSL_ISQ_E10value_typeET4_jRbjT5_SW_jjP12ihipStream_tbEUlT_E_NS1_11comp_targetILNS1_3genE2ELNS1_11target_archE906ELNS1_3gpuE6ELNS1_3repE0EEENS1_30default_config_static_selectorELNS0_4arch9wavefront6targetE0EEEvSK_,"axG",@progbits,_ZN7rocprim17ROCPRIM_400000_NS6detail17trampoline_kernelINS0_14default_configENS1_36segmented_radix_sort_config_selectorIdlEEZNS1_25segmented_radix_sort_implIS3_Lb1EPKdPdPKlPlN2at6native12_GLOBAL__N_18offset_tEEE10hipError_tPvRmT1_PNSt15iterator_traitsISK_E10value_typeET2_T3_PNSL_ISQ_E10value_typeET4_jRbjT5_SW_jjP12ihipStream_tbEUlT_E_NS1_11comp_targetILNS1_3genE2ELNS1_11target_archE906ELNS1_3gpuE6ELNS1_3repE0EEENS1_30default_config_static_selectorELNS0_4arch9wavefront6targetE0EEEvSK_,comdat
.Lfunc_end1122:
	.size	_ZN7rocprim17ROCPRIM_400000_NS6detail17trampoline_kernelINS0_14default_configENS1_36segmented_radix_sort_config_selectorIdlEEZNS1_25segmented_radix_sort_implIS3_Lb1EPKdPdPKlPlN2at6native12_GLOBAL__N_18offset_tEEE10hipError_tPvRmT1_PNSt15iterator_traitsISK_E10value_typeET2_T3_PNSL_ISQ_E10value_typeET4_jRbjT5_SW_jjP12ihipStream_tbEUlT_E_NS1_11comp_targetILNS1_3genE2ELNS1_11target_archE906ELNS1_3gpuE6ELNS1_3repE0EEENS1_30default_config_static_selectorELNS0_4arch9wavefront6targetE0EEEvSK_, .Lfunc_end1122-_ZN7rocprim17ROCPRIM_400000_NS6detail17trampoline_kernelINS0_14default_configENS1_36segmented_radix_sort_config_selectorIdlEEZNS1_25segmented_radix_sort_implIS3_Lb1EPKdPdPKlPlN2at6native12_GLOBAL__N_18offset_tEEE10hipError_tPvRmT1_PNSt15iterator_traitsISK_E10value_typeET2_T3_PNSL_ISQ_E10value_typeET4_jRbjT5_SW_jjP12ihipStream_tbEUlT_E_NS1_11comp_targetILNS1_3genE2ELNS1_11target_archE906ELNS1_3gpuE6ELNS1_3repE0EEENS1_30default_config_static_selectorELNS0_4arch9wavefront6targetE0EEEvSK_
                                        ; -- End function
	.set _ZN7rocprim17ROCPRIM_400000_NS6detail17trampoline_kernelINS0_14default_configENS1_36segmented_radix_sort_config_selectorIdlEEZNS1_25segmented_radix_sort_implIS3_Lb1EPKdPdPKlPlN2at6native12_GLOBAL__N_18offset_tEEE10hipError_tPvRmT1_PNSt15iterator_traitsISK_E10value_typeET2_T3_PNSL_ISQ_E10value_typeET4_jRbjT5_SW_jjP12ihipStream_tbEUlT_E_NS1_11comp_targetILNS1_3genE2ELNS1_11target_archE906ELNS1_3gpuE6ELNS1_3repE0EEENS1_30default_config_static_selectorELNS0_4arch9wavefront6targetE0EEEvSK_.num_vgpr, 0
	.set _ZN7rocprim17ROCPRIM_400000_NS6detail17trampoline_kernelINS0_14default_configENS1_36segmented_radix_sort_config_selectorIdlEEZNS1_25segmented_radix_sort_implIS3_Lb1EPKdPdPKlPlN2at6native12_GLOBAL__N_18offset_tEEE10hipError_tPvRmT1_PNSt15iterator_traitsISK_E10value_typeET2_T3_PNSL_ISQ_E10value_typeET4_jRbjT5_SW_jjP12ihipStream_tbEUlT_E_NS1_11comp_targetILNS1_3genE2ELNS1_11target_archE906ELNS1_3gpuE6ELNS1_3repE0EEENS1_30default_config_static_selectorELNS0_4arch9wavefront6targetE0EEEvSK_.num_agpr, 0
	.set _ZN7rocprim17ROCPRIM_400000_NS6detail17trampoline_kernelINS0_14default_configENS1_36segmented_radix_sort_config_selectorIdlEEZNS1_25segmented_radix_sort_implIS3_Lb1EPKdPdPKlPlN2at6native12_GLOBAL__N_18offset_tEEE10hipError_tPvRmT1_PNSt15iterator_traitsISK_E10value_typeET2_T3_PNSL_ISQ_E10value_typeET4_jRbjT5_SW_jjP12ihipStream_tbEUlT_E_NS1_11comp_targetILNS1_3genE2ELNS1_11target_archE906ELNS1_3gpuE6ELNS1_3repE0EEENS1_30default_config_static_selectorELNS0_4arch9wavefront6targetE0EEEvSK_.numbered_sgpr, 0
	.set _ZN7rocprim17ROCPRIM_400000_NS6detail17trampoline_kernelINS0_14default_configENS1_36segmented_radix_sort_config_selectorIdlEEZNS1_25segmented_radix_sort_implIS3_Lb1EPKdPdPKlPlN2at6native12_GLOBAL__N_18offset_tEEE10hipError_tPvRmT1_PNSt15iterator_traitsISK_E10value_typeET2_T3_PNSL_ISQ_E10value_typeET4_jRbjT5_SW_jjP12ihipStream_tbEUlT_E_NS1_11comp_targetILNS1_3genE2ELNS1_11target_archE906ELNS1_3gpuE6ELNS1_3repE0EEENS1_30default_config_static_selectorELNS0_4arch9wavefront6targetE0EEEvSK_.num_named_barrier, 0
	.set _ZN7rocprim17ROCPRIM_400000_NS6detail17trampoline_kernelINS0_14default_configENS1_36segmented_radix_sort_config_selectorIdlEEZNS1_25segmented_radix_sort_implIS3_Lb1EPKdPdPKlPlN2at6native12_GLOBAL__N_18offset_tEEE10hipError_tPvRmT1_PNSt15iterator_traitsISK_E10value_typeET2_T3_PNSL_ISQ_E10value_typeET4_jRbjT5_SW_jjP12ihipStream_tbEUlT_E_NS1_11comp_targetILNS1_3genE2ELNS1_11target_archE906ELNS1_3gpuE6ELNS1_3repE0EEENS1_30default_config_static_selectorELNS0_4arch9wavefront6targetE0EEEvSK_.private_seg_size, 0
	.set _ZN7rocprim17ROCPRIM_400000_NS6detail17trampoline_kernelINS0_14default_configENS1_36segmented_radix_sort_config_selectorIdlEEZNS1_25segmented_radix_sort_implIS3_Lb1EPKdPdPKlPlN2at6native12_GLOBAL__N_18offset_tEEE10hipError_tPvRmT1_PNSt15iterator_traitsISK_E10value_typeET2_T3_PNSL_ISQ_E10value_typeET4_jRbjT5_SW_jjP12ihipStream_tbEUlT_E_NS1_11comp_targetILNS1_3genE2ELNS1_11target_archE906ELNS1_3gpuE6ELNS1_3repE0EEENS1_30default_config_static_selectorELNS0_4arch9wavefront6targetE0EEEvSK_.uses_vcc, 0
	.set _ZN7rocprim17ROCPRIM_400000_NS6detail17trampoline_kernelINS0_14default_configENS1_36segmented_radix_sort_config_selectorIdlEEZNS1_25segmented_radix_sort_implIS3_Lb1EPKdPdPKlPlN2at6native12_GLOBAL__N_18offset_tEEE10hipError_tPvRmT1_PNSt15iterator_traitsISK_E10value_typeET2_T3_PNSL_ISQ_E10value_typeET4_jRbjT5_SW_jjP12ihipStream_tbEUlT_E_NS1_11comp_targetILNS1_3genE2ELNS1_11target_archE906ELNS1_3gpuE6ELNS1_3repE0EEENS1_30default_config_static_selectorELNS0_4arch9wavefront6targetE0EEEvSK_.uses_flat_scratch, 0
	.set _ZN7rocprim17ROCPRIM_400000_NS6detail17trampoline_kernelINS0_14default_configENS1_36segmented_radix_sort_config_selectorIdlEEZNS1_25segmented_radix_sort_implIS3_Lb1EPKdPdPKlPlN2at6native12_GLOBAL__N_18offset_tEEE10hipError_tPvRmT1_PNSt15iterator_traitsISK_E10value_typeET2_T3_PNSL_ISQ_E10value_typeET4_jRbjT5_SW_jjP12ihipStream_tbEUlT_E_NS1_11comp_targetILNS1_3genE2ELNS1_11target_archE906ELNS1_3gpuE6ELNS1_3repE0EEENS1_30default_config_static_selectorELNS0_4arch9wavefront6targetE0EEEvSK_.has_dyn_sized_stack, 0
	.set _ZN7rocprim17ROCPRIM_400000_NS6detail17trampoline_kernelINS0_14default_configENS1_36segmented_radix_sort_config_selectorIdlEEZNS1_25segmented_radix_sort_implIS3_Lb1EPKdPdPKlPlN2at6native12_GLOBAL__N_18offset_tEEE10hipError_tPvRmT1_PNSt15iterator_traitsISK_E10value_typeET2_T3_PNSL_ISQ_E10value_typeET4_jRbjT5_SW_jjP12ihipStream_tbEUlT_E_NS1_11comp_targetILNS1_3genE2ELNS1_11target_archE906ELNS1_3gpuE6ELNS1_3repE0EEENS1_30default_config_static_selectorELNS0_4arch9wavefront6targetE0EEEvSK_.has_recursion, 0
	.set _ZN7rocprim17ROCPRIM_400000_NS6detail17trampoline_kernelINS0_14default_configENS1_36segmented_radix_sort_config_selectorIdlEEZNS1_25segmented_radix_sort_implIS3_Lb1EPKdPdPKlPlN2at6native12_GLOBAL__N_18offset_tEEE10hipError_tPvRmT1_PNSt15iterator_traitsISK_E10value_typeET2_T3_PNSL_ISQ_E10value_typeET4_jRbjT5_SW_jjP12ihipStream_tbEUlT_E_NS1_11comp_targetILNS1_3genE2ELNS1_11target_archE906ELNS1_3gpuE6ELNS1_3repE0EEENS1_30default_config_static_selectorELNS0_4arch9wavefront6targetE0EEEvSK_.has_indirect_call, 0
	.section	.AMDGPU.csdata,"",@progbits
; Kernel info:
; codeLenInByte = 0
; TotalNumSgprs: 0
; NumVgprs: 0
; ScratchSize: 0
; MemoryBound: 0
; FloatMode: 240
; IeeeMode: 1
; LDSByteSize: 0 bytes/workgroup (compile time only)
; SGPRBlocks: 0
; VGPRBlocks: 0
; NumSGPRsForWavesPerEU: 1
; NumVGPRsForWavesPerEU: 1
; Occupancy: 16
; WaveLimiterHint : 0
; COMPUTE_PGM_RSRC2:SCRATCH_EN: 0
; COMPUTE_PGM_RSRC2:USER_SGPR: 2
; COMPUTE_PGM_RSRC2:TRAP_HANDLER: 0
; COMPUTE_PGM_RSRC2:TGID_X_EN: 1
; COMPUTE_PGM_RSRC2:TGID_Y_EN: 0
; COMPUTE_PGM_RSRC2:TGID_Z_EN: 0
; COMPUTE_PGM_RSRC2:TIDIG_COMP_CNT: 0
	.text
	.p2align	2                               ; -- Begin function _ZN7rocprim17ROCPRIM_400000_NS6detail40segmented_radix_sort_single_block_helperIdlLj256ELj16ELb1EE4sortIPKdPdPKlPlEEbT_T0_T1_T2_jjjjRNS3_12storage_typeE
	.type	_ZN7rocprim17ROCPRIM_400000_NS6detail40segmented_radix_sort_single_block_helperIdlLj256ELj16ELb1EE4sortIPKdPdPKlPlEEbT_T0_T1_T2_jjjjRNS3_12storage_typeE,@function
_ZN7rocprim17ROCPRIM_400000_NS6detail40segmented_radix_sort_single_block_helperIdlLj256ELj16ELb1EE4sortIPKdPdPKlPlEEbT_T0_T1_T2_jjjjRNS3_12storage_typeE: ; @_ZN7rocprim17ROCPRIM_400000_NS6detail40segmented_radix_sort_single_block_helperIdlLj256ELj16ELb1EE4sortIPKdPdPKlPlEEbT_T0_T1_T2_jjjjRNS3_12storage_typeE
; %bb.0:
	s_wait_loadcnt_dscnt 0x0
	s_wait_expcnt 0x0
	s_wait_samplecnt 0x0
	s_wait_bvhcnt 0x0
	s_wait_kmcnt 0x0
	s_clause 0x1f
	scratch_store_b32 off, v40, s32 offset:168
	; meta instruction
	scratch_store_b32 off, v41, s32 offset:164
	; meta instruction
	;; [unrolled: 2-line block ×31, first 2 shown]
	scratch_store_b32 off, v95, s32 offset:44
	s_clause 0xa
	scratch_store_b32 off, v104, s32 offset:40
	; meta instruction
	scratch_store_b32 off, v105, s32 offset:36
	; meta instruction
	;; [unrolled: 2-line block ×10, first 2 shown]
	scratch_store_b32 off, v122, s32
	v_sub_nc_u32_e32 v119, v9, v8
	s_mov_b32 s18, exec_lo
	s_delay_alu instid0(VALU_DEP_1)
	v_cmpx_gt_u32_e32 0x1001, v119
	s_cbranch_execz .LBB1123_372
; %bb.1:
	v_bfe_u32 v9, v31, 10, 10
	v_bfe_u32 v13, v31, 20, 10
	v_and_b32_e32 v21, 0x3ff, v31
	v_mbcnt_lo_u32_b32 v54, -1, 0
	s_mov_b32 s0, exec_lo
	v_cmpx_lt_u32_e32 0x800, v119
	s_wait_alu 0xfffe
	s_xor_b32 s19, exec_lo, s0
	s_cbranch_execz .LBB1123_143
; %bb.2:
	s_load_b64 s[0:1], s[8:9], 0x0
	s_and_b32 s2, ttmp7, 0xffff
	s_mov_b32 s3, 0
	v_mov_b32_e32 v15, -1
	v_dual_mov_b32 v16, -1 :: v_dual_lshlrev_b32 v55, 3, v54
	s_wait_kmcnt 0x0
	s_wait_alu 0xfffe
	s_cmp_lt_u32 s2, s1
	s_cselect_b32 s2, 14, 20
	s_cmp_lt_u32 ttmp9, s0
	s_wait_alu 0xfffe
	s_add_nc_u64 s[4:5], s[8:9], s[2:3]
	s_cselect_b32 s2, 12, 18
	s_load_u16 s4, s[4:5], 0x0
	s_add_nc_u64 s[0:1], s[8:9], s[2:3]
	s_load_u16 s0, s[0:1], 0x0
	s_wait_kmcnt 0x0
	v_mad_u32_u24 v9, v13, s4, v9
	s_delay_alu instid0(VALU_DEP_1) | instskip(SKIP_1) | instid1(VALU_DEP_2)
	v_mad_co_u64_u32 v[114:115], null, v9, s0, v[21:22]
	v_mov_b32_e32 v9, 0
	v_lshlrev_b32_e32 v17, 4, v114
	v_mov_b32_e32 v13, -1
	v_mov_b32_e32 v14, -1
	s_delay_alu instid0(VALU_DEP_4) | instskip(NEXT) | instid1(VALU_DEP_4)
	v_lshlrev_b64_e32 v[112:113], 3, v[8:9]
	v_and_b32_e32 v8, 0xfffffe00, v17
	s_delay_alu instid0(VALU_DEP_2) | instskip(SKIP_1) | instid1(VALU_DEP_3)
	v_add_co_u32 v0, vcc_lo, v0, v112
	s_wait_alu 0xfffd
	v_add_co_ci_u32_e64 v1, null, v1, v113, vcc_lo
	s_delay_alu instid0(VALU_DEP_3) | instskip(NEXT) | instid1(VALU_DEP_3)
	v_lshlrev_b64_e32 v[50:51], 3, v[8:9]
	v_add_co_u32 v0, vcc_lo, v0, v55
	s_wait_alu 0xfffd
	s_delay_alu instid0(VALU_DEP_3) | instskip(SKIP_1) | instid1(VALU_DEP_3)
	v_add_co_ci_u32_e64 v1, null, 0, v1, vcc_lo
	v_or_b32_e32 v64, v8, v54
	v_add_co_u32 v52, vcc_lo, v0, v50
	s_wait_alu 0xfffd
	s_delay_alu instid0(VALU_DEP_3) | instskip(NEXT) | instid1(VALU_DEP_3)
	v_add_co_ci_u32_e64 v53, null, v1, v51, vcc_lo
	v_cmp_lt_u32_e32 vcc_lo, v64, v119
	s_and_saveexec_b32 s0, vcc_lo
	s_cbranch_execz .LBB1123_4
; %bb.3:
	flat_load_b64 v[15:16], v[52:53]
.LBB1123_4:
	s_wait_alu 0xfffe
	s_or_b32 exec_lo, exec_lo, s0
	v_or_b32_e32 v0, 32, v64
	s_delay_alu instid0(VALU_DEP_1)
	v_cmp_lt_u32_e64 s0, v0, v119
	s_and_saveexec_b32 s1, s0
	s_cbranch_execz .LBB1123_6
; %bb.5:
	flat_load_b64 v[13:14], v[52:53] offset:256
.LBB1123_6:
	s_wait_alu 0xfffe
	s_or_b32 exec_lo, exec_lo, s1
	v_or_b32_e32 v17, 64, v64
	v_mov_b32_e32 v0, -1
	v_dual_mov_b32 v1, -1 :: v_dual_mov_b32 v8, -1
	v_mov_b32_e32 v9, -1
	s_delay_alu instid0(VALU_DEP_4)
	v_cmp_lt_u32_e64 s1, v17, v119
	s_and_saveexec_b32 s2, s1
	s_cbranch_execz .LBB1123_8
; %bb.7:
	flat_load_b64 v[8:9], v[52:53] offset:512
.LBB1123_8:
	s_wait_alu 0xfffe
	s_or_b32 exec_lo, exec_lo, s2
	v_or_b32_e32 v17, 0x60, v64
	s_delay_alu instid0(VALU_DEP_1)
	v_cmp_lt_u32_e64 s2, v17, v119
	s_and_saveexec_b32 s3, s2
	s_cbranch_execz .LBB1123_10
; %bb.9:
	flat_load_b64 v[0:1], v[52:53] offset:768
.LBB1123_10:
	s_wait_alu 0xfffe
	s_or_b32 exec_lo, exec_lo, s3
	v_or_b32_e32 v19, 0x80, v64
	v_dual_mov_b32 v17, -1 :: v_dual_mov_b32 v30, -1
	v_dual_mov_b32 v18, -1 :: v_dual_mov_b32 v31, -1
	s_delay_alu instid0(VALU_DEP_3)
	v_cmp_lt_u32_e64 s3, v19, v119
	s_and_saveexec_b32 s4, s3
	s_cbranch_execz .LBB1123_12
; %bb.11:
	flat_load_b64 v[30:31], v[52:53] offset:1024
.LBB1123_12:
	s_wait_alu 0xfffe
	s_or_b32 exec_lo, exec_lo, s4
	v_or_b32_e32 v19, 0xa0, v64
	s_delay_alu instid0(VALU_DEP_1)
	v_cmp_lt_u32_e64 s4, v19, v119
	s_and_saveexec_b32 s5, s4
	s_cbranch_execz .LBB1123_14
; %bb.13:
	flat_load_b64 v[17:18], v[52:53] offset:1280
.LBB1123_14:
	s_wait_alu 0xfffe
	s_or_b32 exec_lo, exec_lo, s5
	v_or_b32_e32 v22, 0xc0, v64
	v_dual_mov_b32 v19, -1 :: v_dual_mov_b32 v32, -1
	v_dual_mov_b32 v20, -1 :: v_dual_mov_b32 v33, -1
	s_delay_alu instid0(VALU_DEP_3)
	v_cmp_lt_u32_e64 s5, v22, v119
	s_and_saveexec_b32 s6, s5
	s_cbranch_execz .LBB1123_16
; %bb.15:
	flat_load_b64 v[32:33], v[52:53] offset:1536
.LBB1123_16:
	s_wait_alu 0xfffe
	s_or_b32 exec_lo, exec_lo, s6
	v_or_b32_e32 v22, 0xe0, v64
	s_delay_alu instid0(VALU_DEP_1)
	v_cmp_lt_u32_e64 s6, v22, v119
	s_and_saveexec_b32 s7, s6
	s_cbranch_execz .LBB1123_18
; %bb.17:
	flat_load_b64 v[19:20], v[52:53] offset:1792
.LBB1123_18:
	s_wait_alu 0xfffe
	s_or_b32 exec_lo, exec_lo, s7
	v_or_b32_e32 v26, 0x100, v64
	v_mov_b32_e32 v22, -1
	v_dual_mov_b32 v23, -1 :: v_dual_mov_b32 v24, -1
	v_mov_b32_e32 v25, -1
	s_delay_alu instid0(VALU_DEP_4)
	v_cmp_lt_u32_e64 s7, v26, v119
	s_and_saveexec_b32 s10, s7
	s_cbranch_execz .LBB1123_20
; %bb.19:
	flat_load_b64 v[24:25], v[52:53] offset:2048
.LBB1123_20:
	s_wait_alu 0xfffe
	s_or_b32 exec_lo, exec_lo, s10
	v_or_b32_e32 v26, 0x120, v64
	s_delay_alu instid0(VALU_DEP_1)
	v_cmp_lt_u32_e64 s10, v26, v119
	s_and_saveexec_b32 s11, s10
	s_cbranch_execz .LBB1123_22
; %bb.21:
	flat_load_b64 v[22:23], v[52:53] offset:2304
.LBB1123_22:
	s_wait_alu 0xfffe
	s_or_b32 exec_lo, exec_lo, s11
	v_or_b32_e32 v28, 0x140, v64
	v_mov_b32_e32 v26, -1
	v_dual_mov_b32 v27, -1 :: v_dual_mov_b32 v38, -1
	v_mov_b32_e32 v39, -1
	s_delay_alu instid0(VALU_DEP_4)
	;; [unrolled: 23-line block ×4, first 2 shown]
	v_cmp_lt_u32_e64 s15, v65, v119
	s_and_saveexec_b32 s16, s15
	s_cbranch_execz .LBB1123_32
; %bb.31:
	flat_load_b64 v[36:37], v[52:53] offset:3584
.LBB1123_32:
	s_wait_alu 0xfffe
	s_or_b32 exec_lo, exec_lo, s16
	v_or_b32_e32 v64, 0x1e0, v64
	s_delay_alu instid0(VALU_DEP_1)
	v_cmp_lt_u32_e64 s16, v64, v119
	s_and_saveexec_b32 s17, s16
	s_cbranch_execz .LBB1123_34
; %bb.33:
	flat_load_b64 v[34:35], v[52:53] offset:3840
.LBB1123_34:
	s_wait_alu 0xfffe
	s_or_b32 exec_lo, exec_lo, s17
	v_add_co_u32 v4, s17, v4, v112
	s_wait_alu 0xf1ff
	v_add_co_ci_u32_e64 v5, null, v5, v113, s17
                                        ; implicit-def: $vgpr117_vgpr118
	s_delay_alu instid0(VALU_DEP_2) | instskip(SKIP_1) | instid1(VALU_DEP_2)
	v_add_co_u32 v4, s17, v4, v55
	s_wait_alu 0xf1ff
	v_add_co_ci_u32_e64 v5, null, 0, v5, s17
	s_delay_alu instid0(VALU_DEP_2) | instskip(SKIP_1) | instid1(VALU_DEP_2)
	v_add_co_u32 v4, s17, v4, v50
	s_wait_alu 0xf1ff
	v_add_co_ci_u32_e64 v5, null, v5, v51, s17
	s_and_saveexec_b32 s17, vcc_lo
	s_cbranch_execnz .LBB1123_196
; %bb.35:
	s_wait_alu 0xfffe
	s_or_b32 exec_lo, exec_lo, s17
                                        ; implicit-def: $vgpr130_vgpr131
	s_and_saveexec_b32 s17, s0
	s_cbranch_execnz .LBB1123_197
.LBB1123_36:
	s_wait_alu 0xfffe
	s_or_b32 exec_lo, exec_lo, s17
                                        ; implicit-def: $vgpr134_vgpr135
	s_and_saveexec_b32 s0, s1
	s_cbranch_execnz .LBB1123_198
.LBB1123_37:
	s_wait_alu 0xfffe
	s_or_b32 exec_lo, exec_lo, s0
                                        ; implicit-def: $vgpr128_vgpr129
	s_and_saveexec_b32 s0, s2
	s_cbranch_execnz .LBB1123_199
.LBB1123_38:
	s_wait_alu 0xfffe
	s_or_b32 exec_lo, exec_lo, s0
                                        ; implicit-def: $vgpr132_vgpr133
	s_and_saveexec_b32 s0, s3
	s_cbranch_execnz .LBB1123_200
.LBB1123_39:
	s_wait_alu 0xfffe
	s_or_b32 exec_lo, exec_lo, s0
                                        ; implicit-def: $vgpr144_vgpr145
	s_and_saveexec_b32 s0, s4
	s_cbranch_execnz .LBB1123_201
.LBB1123_40:
	s_wait_alu 0xfffe
	s_or_b32 exec_lo, exec_lo, s0
                                        ; implicit-def: $vgpr146_vgpr147
	s_and_saveexec_b32 s0, s5
	s_cbranch_execnz .LBB1123_202
.LBB1123_41:
	s_wait_alu 0xfffe
	s_or_b32 exec_lo, exec_lo, s0
                                        ; implicit-def: $vgpr148_vgpr149
	s_and_saveexec_b32 s0, s6
	s_cbranch_execnz .LBB1123_203
.LBB1123_42:
	s_wait_alu 0xfffe
	s_or_b32 exec_lo, exec_lo, s0
                                        ; implicit-def: $vgpr150_vgpr151
	s_and_saveexec_b32 s0, s7
	s_cbranch_execnz .LBB1123_204
.LBB1123_43:
	s_wait_alu 0xfffe
	s_or_b32 exec_lo, exec_lo, s0
                                        ; implicit-def: $vgpr160_vgpr161
	s_and_saveexec_b32 s0, s10
	s_cbranch_execnz .LBB1123_205
.LBB1123_44:
	s_wait_alu 0xfffe
	s_or_b32 exec_lo, exec_lo, s0
                                        ; implicit-def: $vgpr162_vgpr163
	s_and_saveexec_b32 s0, s11
	s_cbranch_execnz .LBB1123_206
.LBB1123_45:
	s_wait_alu 0xfffe
	s_or_b32 exec_lo, exec_lo, s0
                                        ; implicit-def: $vgpr164_vgpr165
	s_and_saveexec_b32 s0, s12
	s_cbranch_execnz .LBB1123_207
.LBB1123_46:
	s_wait_alu 0xfffe
	s_or_b32 exec_lo, exec_lo, s0
                                        ; implicit-def: $vgpr166_vgpr167
	s_and_saveexec_b32 s0, s13
	s_cbranch_execnz .LBB1123_208
.LBB1123_47:
	s_wait_alu 0xfffe
	s_or_b32 exec_lo, exec_lo, s0
                                        ; implicit-def: $vgpr176_vgpr177
	s_and_saveexec_b32 s0, s14
	s_cbranch_execnz .LBB1123_209
.LBB1123_48:
	s_wait_alu 0xfffe
	s_or_b32 exec_lo, exec_lo, s0
                                        ; implicit-def: $vgpr178_vgpr179
	s_and_saveexec_b32 s0, s15
	s_cbranch_execnz .LBB1123_210
.LBB1123_49:
	s_wait_alu 0xfffe
	s_or_b32 exec_lo, exec_lo, s0
                                        ; implicit-def: $vgpr192_vgpr193
	s_and_saveexec_b32 s0, s16
	s_cbranch_execz .LBB1123_51
.LBB1123_50:
	flat_load_b64 v[192:193], v[4:5] offset:3840
.LBB1123_51:
	s_wait_alu 0xfffe
	s_or_b32 exec_lo, exec_lo, s0
	s_wait_loadcnt_dscnt 0x0
	v_cmp_gt_i64_e32 vcc_lo, 0, v[15:16]
	v_ashrrev_i32_e32 v4, 31, v16
	v_ashrrev_i32_e32 v50, 31, v14
	s_getpc_b64 s[0:1]
	s_wait_alu 0xfffe
	s_sext_i32_i16 s1, s1
	s_add_co_u32 s0, s0, _ZN7rocprim17ROCPRIM_400000_NS16block_radix_sortIdLj256ELj16ElLj1ELj1ELj8ELNS0_26block_radix_rank_algorithmE2ELNS0_18block_padding_hintE2ELNS0_4arch9wavefront6targetE0EE19radix_bits_per_passE@rel32@lo+12
	s_wait_alu 0xfffe
	s_add_co_ci_u32 s1, s1, _ZN7rocprim17ROCPRIM_400000_NS16block_radix_sortIdLj256ELj16ElLj1ELj1ELj8ELNS0_26block_radix_rank_algorithmE2ELNS0_18block_padding_hintE2ELNS0_4arch9wavefront6targetE0EE19radix_bits_per_passE@rel32@hi+24
	v_lshrrev_b32_e32 v46, 5, v114
	s_load_b32 s20, s[0:1], 0x0
	v_cndmask_b32_e64 v5, 0x7fffffff, 0, vcc_lo
	v_cmp_gt_i64_e32 vcc_lo, 0, v[13:14]
	v_not_b32_e32 v4, v4
	v_cmp_lt_u32_e64 s7, 31, v21
	v_cmp_eq_u32_e64 s10, 0, v21
	v_xor_b32_e32 v199, v5, v16
	v_not_b32_e32 v5, v50
	v_xor_b32_e32 v198, v4, v15
	s_wait_alu 0xfffd
	v_cndmask_b32_e64 v4, 0x7fffffff, 0, vcc_lo
	v_cmp_gt_i64_e32 vcc_lo, 0, v[8:9]
	v_ashrrev_i32_e32 v15, 31, v9
	v_xor_b32_e32 v180, v5, v13
	v_ashrrev_i32_e32 v13, 31, v31
	v_xor_b32_e32 v181, v4, v14
	v_ashrrev_i32_e32 v5, 31, v1
	s_wait_alu 0xfffd
	v_cndmask_b32_e64 v16, 0x7fffffff, 0, vcc_lo
	v_cmp_gt_i64_e32 vcc_lo, 0, v[0:1]
	v_not_b32_e32 v4, v15
	v_lshl_add_u32 v57, v21, 2, v12
	v_not_b32_e32 v5, v5
	v_xor_b32_e32 v183, v16, v9
	v_sub_nc_u32_e32 v91, v11, v10
	s_wait_alu 0xfffd
	v_cndmask_b32_e64 v9, 0x7fffffff, 0, vcc_lo
	v_cmp_gt_i64_e32 vcc_lo, 0, v[30:31]
	v_xor_b32_e32 v182, v4, v8
	v_not_b32_e32 v4, v13
	v_xor_b32_e32 v194, v5, v0
	v_xor_b32_e32 v195, v9, v1
	v_ashrrev_i32_e32 v1, 31, v33
	s_wait_alu 0xfffd
	v_cndmask_b32_e64 v14, 0x7fffffff, 0, vcc_lo
	v_cmp_gt_i64_e32 vcc_lo, 0, v[17:18]
	v_xor_b32_e32 v196, v4, v30
	v_ashrrev_i32_e32 v0, 31, v18
	v_not_b32_e32 v1, v1
	v_xor_b32_e32 v197, v14, v31
	s_mov_b32 s16, 0
	s_wait_alu 0xfffd
	v_cndmask_b32_e64 v4, 0x7fffffff, 0, vcc_lo
	v_cmp_gt_i64_e32 vcc_lo, 0, v[32:33]
	v_not_b32_e32 v0, v0
	v_xor_b32_e32 v210, v1, v32
	s_brev_b32 s17, 1
	v_xor_b32_e32 v209, v4, v18
	v_ashrrev_i32_e32 v4, 31, v25
	s_wait_alu 0xfffd
	v_cndmask_b32_e64 v5, 0x7fffffff, 0, vcc_lo
	v_cmp_gt_i64_e32 vcc_lo, 0, v[19:20]
	v_xor_b32_e32 v208, v0, v17
	v_ashrrev_i32_e32 v0, 31, v20
	s_wait_alu 0xfffe
	s_mov_b32 s21, s16
	v_xor_b32_e32 v211, v5, v33
	s_wait_storecnt 0x0
	s_wait_alu 0xfffd
	v_cndmask_b32_e64 v1, 0x7fffffff, 0, vcc_lo
	v_cmp_gt_i64_e32 vcc_lo, 0, v[24:25]
	v_not_b32_e32 v0, v0
	s_barrier_signal -1
	s_barrier_wait -1
	v_xor_b32_e32 v213, v1, v20
	v_ashrrev_i32_e32 v1, 31, v23
	s_wait_alu 0xfffd
	v_cndmask_b32_e64 v5, 0x7fffffff, 0, vcc_lo
	v_cmp_gt_i64_e32 vcc_lo, 0, v[22:23]
	v_xor_b32_e32 v212, v0, v19
	v_not_b32_e32 v0, v4
	v_not_b32_e32 v1, v1
	v_xor_b32_e32 v215, v5, v25
	v_ashrrev_i32_e32 v5, 31, v39
	s_wait_alu 0xfffd
	v_cndmask_b32_e64 v4, 0x7fffffff, 0, vcc_lo
	v_cmp_gt_i64_e32 vcc_lo, 0, v[38:39]
	v_xor_b32_e32 v214, v0, v24
	v_xor_b32_e32 v226, v1, v22
	v_not_b32_e32 v0, v5
	v_xor_b32_e32 v227, v4, v23
	v_ashrrev_i32_e32 v1, 31, v27
	s_wait_alu 0xfffd
	v_cndmask_b32_e64 v8, 0x7fffffff, 0, vcc_lo
	v_cmp_gt_i64_e32 vcc_lo, 0, v[26:27]
	v_xor_b32_e32 v224, v0, v38
	v_ashrrev_i32_e32 v0, 31, v49
	v_not_b32_e32 v1, v1
	v_xor_b32_e32 v225, v8, v39
	global_inv scope:SCOPE_SE
	s_wait_alu 0xfffd
	v_cndmask_b32_e64 v4, 0x7fffffff, 0, vcc_lo
	v_cmp_gt_i64_e32 vcc_lo, 0, v[48:49]
	v_not_b32_e32 v0, v0
	v_xor_b32_e32 v228, v1, v26
	v_ashrrev_i32_e32 v1, 31, v29
	v_xor_b32_e32 v229, v4, v27
	v_ashrrev_i32_e32 v4, 31, v37
	s_wait_alu 0xfffd
	v_cndmask_b32_e64 v5, 0x7fffffff, 0, vcc_lo
	v_cmp_gt_i64_e32 vcc_lo, 0, v[28:29]
	v_xor_b32_e32 v230, v0, v48
	v_not_b32_e32 v1, v1
	s_delay_alu instid0(VALU_DEP_4)
	v_xor_b32_e32 v231, v5, v49
	s_wait_alu 0xfffd
	v_cndmask_b32_e64 v0, 0x7fffffff, 0, vcc_lo
	v_cmp_gt_i64_e32 vcc_lo, 0, v[36:37]
	v_xor_b32_e32 v240, v1, v28
	v_not_b32_e32 v1, v4
	s_delay_alu instid0(VALU_DEP_4)
	v_xor_b32_e32 v241, v0, v29
	v_ashrrev_i32_e32 v0, 31, v35
	s_wait_alu 0xfffd
	v_cndmask_b32_e64 v5, 0x7fffffff, 0, vcc_lo
	v_cmp_gt_i64_e32 vcc_lo, 0, v[34:35]
	v_xor_b32_e32 v242, v1, v36
	v_and_b32_e32 v1, 15, v54
	v_not_b32_e32 v0, v0
	v_xor_b32_e32 v243, v5, v37
	v_lshl_add_u32 v5, v21, 5, v12
	s_wait_alu 0xfffd
	v_cndmask_b32_e64 v4, 0x7fffffff, 0, vcc_lo
	v_cmp_eq_u32_e32 vcc_lo, 0, v1
	v_xor_b32_e32 v244, v0, v34
	v_and_b32_e32 v0, 0x3e0, v21
	v_add_nc_u32_e32 v246, 32, v5
	v_xor_b32_e32 v245, v4, v35
	v_and_b32_e32 v4, 16, v54
	v_add_nc_u32_e32 v247, 36, v5
	v_min_u32_e32 v0, 0xe0, v0
	v_add_nc_u32_e32 v40, 40, v5
	v_add_nc_u32_e32 v41, 44, v5
	v_add_nc_u32_e32 v42, 48, v5
	v_add_nc_u32_e32 v43, 52, v5
	v_or_b32_e32 v0, 31, v0
	v_add_nc_u32_e32 v44, 56, v5
	v_add_nc_u32_e32 v45, 60, v5
	v_sub_co_u32 v5, s2, v54, 1
	v_cmp_eq_u32_e64 s4, 0, v4
	v_cmp_eq_u32_e64 s5, v21, v0
	v_lshrrev_b32_e32 v0, 3, v21
	v_lshlrev_b32_e32 v4, 4, v21
	v_cmp_gt_i32_e64 s6, 0, v5
	v_cmp_lt_u32_e64 s0, 1, v1
	v_cmp_lt_u32_e64 s1, 3, v1
	v_and_b32_e32 v0, 0x7c, v0
	v_and_or_b32 v4, 0x3e00, v4, v54
	v_cmp_lt_u32_e64 s3, 7, v1
	s_wait_alu 0xf1ff
	v_cndmask_b32_e64 v1, v5, v54, s6
	v_and_b32_e32 v5, 7, v54
	v_add_nc_u32_e32 v56, v12, v0
	v_lshl_add_u32 v58, v4, 3, v12
	v_cmp_gt_u32_e64 s6, 8, v21
	v_lshlrev_b32_e32 v47, 2, v1
	v_mov_b32_e32 v1, 0
	v_cmp_eq_u32_e64 s11, 0, v5
	v_cmp_lt_u32_e64 s12, 1, v5
	v_cmp_lt_u32_e64 s13, 3, v5
	v_add_nc_u32_e32 v59, -4, v56
	v_add_nc_u32_e32 v60, 0x100, v58
	v_add_nc_u32_e32 v61, 0x200, v58
	v_add_nc_u32_e32 v62, 0x300, v58
	v_add_nc_u32_e32 v63, 0x400, v58
	v_add_nc_u32_e32 v72, 0x500, v58
	v_add_nc_u32_e32 v73, 0x600, v58
	v_add_nc_u32_e32 v74, 0x700, v58
	v_add_nc_u32_e32 v75, 0x800, v58
	v_add_nc_u32_e32 v76, 0x900, v58
	v_add_nc_u32_e32 v77, 0xa00, v58
	v_add_nc_u32_e32 v78, 0xb00, v58
	v_add_nc_u32_e32 v79, 0xc00, v58
	v_add_nc_u32_e32 v88, 0xd00, v58
	v_add_nc_u32_e32 v89, 0xe00, v58
	v_add_nc_u32_e32 v90, 0xf00, v58
	s_branch .LBB1123_53
.LBB1123_52:                            ;   in Loop: Header=BB1123_53 Depth=1
	s_wait_alu 0xfffe
	s_or_b32 exec_lo, exec_lo, s15
	s_delay_alu instid0(SALU_CYCLE_1)
	s_and_b32 s14, exec_lo, s22
	s_wait_alu 0xfffe
	s_or_b32 s21, s14, s21
	s_wait_alu 0xfffe
	s_and_not1_b32 exec_lo, exec_lo, s21
	s_cbranch_execz .LBB1123_93
.LBB1123_53:                            ; =>This Inner Loop Header: Depth=1
	v_dual_mov_b32 v36, v198 :: v_dual_mov_b32 v37, v199
	s_wait_kmcnt 0x0
	v_min_u32_e32 v0, s20, v91
	v_dual_mov_b32 v8, v130 :: v_dual_mov_b32 v9, v131
	v_dual_mov_b32 v13, v117 :: v_dual_mov_b32 v14, v118
	v_cmp_ne_u64_e64 s14, s[16:17], v[36:37]
	s_delay_alu instid0(VALU_DEP_4)
	v_lshlrev_b32_e64 v0, v0, -1
	v_dual_mov_b32 v15, v128 :: v_dual_mov_b32 v16, v129
	v_mov_b32_e32 v50, v178
	v_mov_b32_e32 v48, v192
	s_wait_alu 0xf1ff
	v_cndmask_b32_e64 v29, 0x7fffffff, v37, s14
	v_cndmask_b32_e64 v28, -1, v36, s14
	v_not_b32_e32 v130, v0
	v_mov_b32_e32 v64, v182
	v_mov_b32_e32 v52, v196
	;; [unrolled: 1-line block ×3, first 2 shown]
	v_lshrrev_b64 v[38:39], v10, v[28:29]
	v_mov_b32_e32 v68, v210
	v_dual_mov_b32 v4, v134 :: v_dual_mov_b32 v5, v135
	v_mov_b32_e32 v115, v176
	v_dual_mov_b32 v19, v132 :: v_dual_mov_b32 v20, v133
	v_and_b32_e32 v0, v38, v130
	v_dual_mov_b32 v54, v194 :: v_dual_mov_b32 v55, v195
	v_dual_mov_b32 v38, v180 :: v_dual_mov_b32 v65, v183
	s_delay_alu instid0(VALU_DEP_3)
	v_and_b32_e32 v66, 1, v0
	v_lshlrev_b32_e32 v83, 30, v0
	v_lshlrev_b32_e32 v96, 28, v0
	;; [unrolled: 1-line block ×4, first 2 shown]
	v_add_co_u32 v82, s14, v66, -1
	s_wait_alu 0xf1ff
	v_cndmask_b32_e64 v80, 0, 1, s14
	v_not_b32_e32 v84, v83
	v_lshlrev_b32_e32 v85, 29, v0
	v_cmp_gt_i32_e64 s15, 0, v83
	v_lshlrev_b32_e32 v128, 24, v0
	v_cmp_ne_u32_e64 s14, 0, v80
	v_mov_b32_e32 v80, v214
	v_ashrrev_i32_e32 v84, 31, v84
	v_not_b32_e32 v87, v85
	v_not_b32_e32 v131, v128
	s_wait_alu 0xf1ff
	v_xor_b32_e32 v86, s14, v82
	v_cmp_gt_i32_e64 s14, 0, v85
	v_xor_b32_e32 v97, s15, v84
	v_ashrrev_i32_e32 v87, 31, v87
	v_dual_mov_b32 v66, v212 :: v_dual_mov_b32 v81, v215
	v_and_b32_e32 v86, exec_lo, v86
	v_dual_mov_b32 v84, v224 :: v_dual_mov_b32 v85, v225
	v_not_b32_e32 v98, v96
	s_wait_alu 0xf1ff
	v_xor_b32_e32 v100, s14, v87
	v_and_b32_e32 v97, v86, v97
	v_cmp_gt_i32_e64 s14, 0, v96
	v_mov_b32_e32 v86, v228
	v_ashrrev_i32_e32 v96, 31, v98
	v_not_b32_e32 v98, v99
	v_dual_mov_b32 v17, v144 :: v_dual_and_b32 v100, v97, v100
	v_mov_b32_e32 v18, v145
	s_wait_alu 0xf1ff
	v_xor_b32_e32 v102, s14, v96
	v_cmp_gt_i32_e64 s14, 0, v99
	v_ashrrev_i32_e32 v98, 31, v98
	v_mov_b32_e32 v96, v230
	v_not_b32_e32 v99, v101
	v_dual_mov_b32 v97, v231 :: v_dual_and_b32 v100, v100, v102
	s_wait_alu 0xf1ff
	v_xor_b32_e32 v103, s14, v98
	v_cmp_gt_i32_e64 s14, 0, v101
	v_ashrrev_i32_e32 v101, 31, v99
	v_lshlrev_b32_e32 v102, 25, v0
	v_dual_mov_b32 v98, v240 :: v_dual_mov_b32 v99, v241
	v_and_b32_e32 v118, v100, v103
	s_wait_alu 0xf1ff
	v_xor_b32_e32 v129, s14, v101
	v_dual_mov_b32 v100, v242 :: v_dual_mov_b32 v101, v243
	v_not_b32_e32 v117, v102
	v_cmp_gt_i32_e64 s14, 0, v102
	s_delay_alu instid0(VALU_DEP_4)
	v_and_b32_e32 v118, v118, v129
	v_lshl_add_u32 v0, v0, 3, v46
	v_dual_mov_b32 v26, v146 :: v_dual_mov_b32 v27, v147
	v_ashrrev_i32_e32 v117, 31, v117
	v_dual_mov_b32 v24, v148 :: v_dual_mov_b32 v25, v149
	v_dual_mov_b32 v22, v150 :: v_dual_mov_b32 v23, v151
	s_wait_alu 0xf1ff
	s_delay_alu instid0(VALU_DEP_3)
	v_xor_b32_e32 v117, s14, v117
	v_cmp_gt_i32_e64 s14, 0, v128
	v_ashrrev_i32_e32 v128, 31, v131
	v_mov_b32_e32 v102, v244
	v_dual_mov_b32 v34, v160 :: v_dual_mov_b32 v35, v161
	v_and_b32_e32 v117, v118, v117
	s_wait_alu 0xf1ff
	v_xor_b32_e32 v118, s14, v128
	v_lshlrev_b64_e32 v[128:129], 2, v[0:1]
	v_dual_mov_b32 v32, v162 :: v_dual_mov_b32 v33, v163
	v_dual_mov_b32 v30, v164 :: v_dual_mov_b32 v31, v165
	s_delay_alu instid0(VALU_DEP_4) | instskip(NEXT) | instid1(VALU_DEP_4)
	v_and_b32_e32 v118, v117, v118
	v_add_co_u32 v117, null, v12, v128
	v_dual_mov_b32 v28, v166 :: v_dual_mov_b32 v29, v167
	s_delay_alu instid0(VALU_DEP_3) | instskip(SKIP_3) | instid1(VALU_DEP_4)
	v_mbcnt_lo_u32_b32 v0, v118, 0
	v_cmp_ne_u32_e64 s15, 0, v118
	v_dual_mov_b32 v116, v177 :: v_dual_mov_b32 v51, v179
	v_mov_b32_e32 v49, v193
	v_cmp_eq_u32_e64 s14, 0, v0
	v_mov_b32_e32 v39, v181
	v_mov_b32_e32 v53, v197
	;; [unrolled: 1-line block ×4, first 2 shown]
	v_dual_mov_b32 v67, v213 :: v_dual_mov_b32 v82, v226
	v_mov_b32_e32 v83, v227
	v_mov_b32_e32 v87, v229
	;; [unrolled: 1-line block ×3, first 2 shown]
	v_add_co_u32 v117, null, v117, 32
	s_and_b32 s15, s15, s14
	ds_store_b32 v246, v1
	ds_store_b32 v247, v1
	;; [unrolled: 1-line block ×8, first 2 shown]
	s_wait_loadcnt_dscnt 0x0
	s_barrier_signal -1
	s_barrier_wait -1
	global_inv scope:SCOPE_SE
	; wave barrier
	s_wait_alu 0xfffe
	s_and_saveexec_b32 s14, s15
; %bb.54:                               ;   in Loop: Header=BB1123_53 Depth=1
	v_bcnt_u32_b32 v118, v118, 0
	ds_store_b32 v117, v118
; %bb.55:                               ;   in Loop: Header=BB1123_53 Depth=1
	s_wait_alu 0xfffe
	s_or_b32 exec_lo, exec_lo, s14
	v_cmp_ne_u64_e64 s14, s[16:17], v[38:39]
	; wave barrier
	s_wait_alu 0xf1ff
	s_delay_alu instid0(VALU_DEP_1) | instskip(SKIP_1) | instid1(VALU_DEP_1)
	v_cndmask_b32_e64 v129, 0x7fffffff, v39, s14
	v_cndmask_b32_e64 v128, -1, v38, s14
	v_lshrrev_b64 v[128:129], v10, v[128:129]
	s_delay_alu instid0(VALU_DEP_1) | instskip(NEXT) | instid1(VALU_DEP_1)
	v_and_b32_e32 v118, v128, v130
	v_and_b32_e32 v128, 1, v118
	v_lshlrev_b32_e32 v129, 30, v118
	v_lshlrev_b32_e32 v131, 29, v118
	;; [unrolled: 1-line block ×4, first 2 shown]
	v_add_co_u32 v128, s14, v128, -1
	s_wait_alu 0xf1ff
	v_cndmask_b32_e64 v133, 0, 1, s14
	v_not_b32_e32 v145, v129
	v_cmp_gt_i32_e64 s15, 0, v129
	v_not_b32_e32 v129, v131
	v_lshlrev_b32_e32 v135, 26, v118
	v_cmp_ne_u32_e64 s14, 0, v133
	v_ashrrev_i32_e32 v145, 31, v145
	v_lshlrev_b32_e32 v144, 25, v118
	v_ashrrev_i32_e32 v129, 31, v129
	v_lshlrev_b32_e32 v133, 24, v118
	s_wait_alu 0xf1ff
	v_xor_b32_e32 v128, s14, v128
	v_cmp_gt_i32_e64 s14, 0, v131
	v_not_b32_e32 v131, v132
	v_xor_b32_e32 v145, s15, v145
	v_cmp_gt_i32_e64 s15, 0, v132
	v_and_b32_e32 v128, exec_lo, v128
	v_not_b32_e32 v132, v134
	v_ashrrev_i32_e32 v131, 31, v131
	s_wait_alu 0xf1ff
	v_xor_b32_e32 v129, s14, v129
	v_cmp_gt_i32_e64 s14, 0, v134
	v_and_b32_e32 v128, v128, v145
	v_not_b32_e32 v134, v135
	v_ashrrev_i32_e32 v132, 31, v132
	v_xor_b32_e32 v131, s15, v131
	v_cmp_gt_i32_e64 s15, 0, v135
	v_and_b32_e32 v128, v128, v129
	v_not_b32_e32 v129, v144
	v_ashrrev_i32_e32 v134, 31, v134
	s_wait_alu 0xf1ff
	v_xor_b32_e32 v132, s14, v132
	v_cmp_gt_i32_e64 s14, 0, v144
	v_and_b32_e32 v128, v128, v131
	v_not_b32_e32 v131, v133
	v_ashrrev_i32_e32 v129, 31, v129
	v_xor_b32_e32 v134, s15, v134
	v_lshl_add_u32 v118, v118, 3, v46
	v_and_b32_e32 v128, v128, v132
	v_cmp_gt_i32_e64 s15, 0, v133
	v_ashrrev_i32_e32 v131, 31, v131
	s_wait_alu 0xf1ff
	v_xor_b32_e32 v129, s14, v129
	v_lshl_add_u32 v132, v118, 2, v12
	v_and_b32_e32 v128, v128, v134
	v_xor_b32_e32 v131, s15, v131
	ds_load_b32 v118, v132 offset:32
	v_and_b32_e32 v128, v128, v129
	v_add_nc_u32_e32 v129, 32, v132
	; wave barrier
	s_delay_alu instid0(VALU_DEP_2) | instskip(NEXT) | instid1(VALU_DEP_1)
	v_and_b32_e32 v131, v128, v131
	v_mbcnt_lo_u32_b32 v128, v131, 0
	v_cmp_ne_u32_e64 s15, 0, v131
	s_delay_alu instid0(VALU_DEP_2)
	v_cmp_eq_u32_e64 s14, 0, v128
	s_and_b32 s15, s15, s14
	s_wait_alu 0xfffe
	s_and_saveexec_b32 s14, s15
	s_cbranch_execz .LBB1123_57
; %bb.56:                               ;   in Loop: Header=BB1123_53 Depth=1
	s_wait_dscnt 0x0
	v_bcnt_u32_b32 v131, v131, v118
	ds_store_b32 v129, v131
.LBB1123_57:                            ;   in Loop: Header=BB1123_53 Depth=1
	s_wait_alu 0xfffe
	s_or_b32 exec_lo, exec_lo, s14
	v_cmp_ne_u64_e64 s14, s[16:17], v[64:65]
	; wave barrier
	s_wait_alu 0xf1ff
	s_delay_alu instid0(VALU_DEP_1) | instskip(SKIP_1) | instid1(VALU_DEP_1)
	v_cndmask_b32_e64 v132, 0x7fffffff, v65, s14
	v_cndmask_b32_e64 v131, -1, v64, s14
	v_lshrrev_b64 v[131:132], v10, v[131:132]
	s_delay_alu instid0(VALU_DEP_1) | instskip(NEXT) | instid1(VALU_DEP_1)
	v_and_b32_e32 v131, v131, v130
	v_and_b32_e32 v132, 1, v131
	v_lshlrev_b32_e32 v133, 30, v131
	v_lshlrev_b32_e32 v134, 29, v131
	;; [unrolled: 1-line block ×4, first 2 shown]
	v_add_co_u32 v132, s14, v132, -1
	s_wait_alu 0xf1ff
	v_cndmask_b32_e64 v144, 0, 1, s14
	v_not_b32_e32 v148, v133
	v_cmp_gt_i32_e64 s15, 0, v133
	v_not_b32_e32 v133, v134
	v_lshlrev_b32_e32 v146, 26, v131
	v_cmp_ne_u32_e64 s14, 0, v144
	v_ashrrev_i32_e32 v148, 31, v148
	v_lshlrev_b32_e32 v147, 25, v131
	v_ashrrev_i32_e32 v133, 31, v133
	v_lshlrev_b32_e32 v144, 24, v131
	s_wait_alu 0xf1ff
	v_xor_b32_e32 v132, s14, v132
	v_cmp_gt_i32_e64 s14, 0, v134
	v_not_b32_e32 v134, v135
	v_xor_b32_e32 v148, s15, v148
	v_cmp_gt_i32_e64 s15, 0, v135
	v_and_b32_e32 v132, exec_lo, v132
	v_not_b32_e32 v135, v145
	v_ashrrev_i32_e32 v134, 31, v134
	s_wait_alu 0xf1ff
	v_xor_b32_e32 v133, s14, v133
	v_cmp_gt_i32_e64 s14, 0, v145
	v_and_b32_e32 v132, v132, v148
	v_not_b32_e32 v145, v146
	v_ashrrev_i32_e32 v135, 31, v135
	v_xor_b32_e32 v134, s15, v134
	v_cmp_gt_i32_e64 s15, 0, v146
	v_and_b32_e32 v132, v132, v133
	v_not_b32_e32 v133, v147
	v_ashrrev_i32_e32 v145, 31, v145
	s_wait_alu 0xf1ff
	v_xor_b32_e32 v135, s14, v135
	v_cmp_gt_i32_e64 s14, 0, v147
	v_and_b32_e32 v132, v132, v134
	v_not_b32_e32 v134, v144
	v_ashrrev_i32_e32 v133, 31, v133
	v_xor_b32_e32 v145, s15, v145
	v_lshl_add_u32 v131, v131, 3, v46
	v_and_b32_e32 v132, v132, v135
	v_cmp_gt_i32_e64 s15, 0, v144
	v_ashrrev_i32_e32 v134, 31, v134
	s_wait_alu 0xf1ff
	v_xor_b32_e32 v133, s14, v133
	v_lshl_add_u32 v135, v131, 2, v12
	v_and_b32_e32 v132, v132, v145
	v_xor_b32_e32 v134, s15, v134
	ds_load_b32 v131, v135 offset:32
	v_and_b32_e32 v132, v132, v133
	v_add_nc_u32_e32 v133, 32, v135
	; wave barrier
	s_delay_alu instid0(VALU_DEP_2) | instskip(NEXT) | instid1(VALU_DEP_1)
	v_and_b32_e32 v134, v132, v134
	v_mbcnt_lo_u32_b32 v132, v134, 0
	v_cmp_ne_u32_e64 s15, 0, v134
	s_delay_alu instid0(VALU_DEP_2)
	v_cmp_eq_u32_e64 s14, 0, v132
	s_and_b32 s15, s15, s14
	s_wait_alu 0xfffe
	s_and_saveexec_b32 s14, s15
	s_cbranch_execz .LBB1123_59
; %bb.58:                               ;   in Loop: Header=BB1123_53 Depth=1
	s_wait_dscnt 0x0
	v_bcnt_u32_b32 v134, v134, v131
	ds_store_b32 v133, v134
.LBB1123_59:                            ;   in Loop: Header=BB1123_53 Depth=1
	s_wait_alu 0xfffe
	s_or_b32 exec_lo, exec_lo, s14
	v_cmp_ne_u64_e64 s14, s[16:17], v[54:55]
	; wave barrier
	s_wait_alu 0xf1ff
	s_delay_alu instid0(VALU_DEP_1) | instskip(SKIP_1) | instid1(VALU_DEP_1)
	v_cndmask_b32_e64 v135, 0x7fffffff, v55, s14
	v_cndmask_b32_e64 v134, -1, v54, s14
	v_lshrrev_b64 v[134:135], v10, v[134:135]
	s_delay_alu instid0(VALU_DEP_1) | instskip(NEXT) | instid1(VALU_DEP_1)
	v_and_b32_e32 v134, v134, v130
	v_and_b32_e32 v135, 1, v134
	v_lshlrev_b32_e32 v144, 30, v134
	v_lshlrev_b32_e32 v145, 29, v134
	;; [unrolled: 1-line block ×4, first 2 shown]
	v_add_co_u32 v135, s14, v135, -1
	s_wait_alu 0xf1ff
	v_cndmask_b32_e64 v147, 0, 1, s14
	v_not_b32_e32 v151, v144
	v_cmp_gt_i32_e64 s15, 0, v144
	v_not_b32_e32 v144, v145
	v_lshlrev_b32_e32 v149, 26, v134
	v_cmp_ne_u32_e64 s14, 0, v147
	v_ashrrev_i32_e32 v151, 31, v151
	v_lshlrev_b32_e32 v150, 25, v134
	v_ashrrev_i32_e32 v144, 31, v144
	v_lshlrev_b32_e32 v147, 24, v134
	s_wait_alu 0xf1ff
	v_xor_b32_e32 v135, s14, v135
	v_cmp_gt_i32_e64 s14, 0, v145
	v_not_b32_e32 v145, v146
	v_xor_b32_e32 v151, s15, v151
	v_cmp_gt_i32_e64 s15, 0, v146
	v_and_b32_e32 v135, exec_lo, v135
	v_not_b32_e32 v146, v148
	v_ashrrev_i32_e32 v145, 31, v145
	s_wait_alu 0xf1ff
	v_xor_b32_e32 v144, s14, v144
	v_cmp_gt_i32_e64 s14, 0, v148
	v_and_b32_e32 v135, v135, v151
	v_not_b32_e32 v148, v149
	v_ashrrev_i32_e32 v146, 31, v146
	v_xor_b32_e32 v145, s15, v145
	v_cmp_gt_i32_e64 s15, 0, v149
	v_and_b32_e32 v135, v135, v144
	v_not_b32_e32 v144, v150
	v_ashrrev_i32_e32 v148, 31, v148
	s_wait_alu 0xf1ff
	v_xor_b32_e32 v146, s14, v146
	v_cmp_gt_i32_e64 s14, 0, v150
	v_and_b32_e32 v135, v135, v145
	v_not_b32_e32 v145, v147
	v_ashrrev_i32_e32 v144, 31, v144
	v_xor_b32_e32 v148, s15, v148
	v_lshl_add_u32 v134, v134, 3, v46
	v_and_b32_e32 v135, v135, v146
	v_cmp_gt_i32_e64 s15, 0, v147
	v_ashrrev_i32_e32 v145, 31, v145
	s_wait_alu 0xf1ff
	v_xor_b32_e32 v144, s14, v144
	v_lshl_add_u32 v146, v134, 2, v12
	v_and_b32_e32 v135, v135, v148
	v_xor_b32_e32 v145, s15, v145
	ds_load_b32 v134, v146 offset:32
	v_and_b32_e32 v135, v135, v144
	v_add_nc_u32_e32 v144, 32, v146
	; wave barrier
	s_delay_alu instid0(VALU_DEP_2) | instskip(NEXT) | instid1(VALU_DEP_1)
	v_and_b32_e32 v145, v135, v145
	v_mbcnt_lo_u32_b32 v135, v145, 0
	v_cmp_ne_u32_e64 s15, 0, v145
	s_delay_alu instid0(VALU_DEP_2)
	v_cmp_eq_u32_e64 s14, 0, v135
	s_and_b32 s15, s15, s14
	s_wait_alu 0xfffe
	s_and_saveexec_b32 s14, s15
	s_cbranch_execz .LBB1123_61
; %bb.60:                               ;   in Loop: Header=BB1123_53 Depth=1
	s_wait_dscnt 0x0
	v_bcnt_u32_b32 v145, v145, v134
	ds_store_b32 v144, v145
.LBB1123_61:                            ;   in Loop: Header=BB1123_53 Depth=1
	s_wait_alu 0xfffe
	s_or_b32 exec_lo, exec_lo, s14
	v_cmp_ne_u64_e64 s14, s[16:17], v[52:53]
	; wave barrier
	s_wait_alu 0xf1ff
	s_delay_alu instid0(VALU_DEP_1) | instskip(SKIP_1) | instid1(VALU_DEP_1)
	v_cndmask_b32_e64 v146, 0x7fffffff, v53, s14
	v_cndmask_b32_e64 v145, -1, v52, s14
	v_lshrrev_b64 v[145:146], v10, v[145:146]
	s_delay_alu instid0(VALU_DEP_1) | instskip(NEXT) | instid1(VALU_DEP_1)
	v_and_b32_e32 v145, v145, v130
	v_and_b32_e32 v146, 1, v145
	v_lshlrev_b32_e32 v147, 30, v145
	v_lshlrev_b32_e32 v148, 29, v145
	;; [unrolled: 1-line block ×4, first 2 shown]
	v_add_co_u32 v146, s14, v146, -1
	s_wait_alu 0xf1ff
	v_cndmask_b32_e64 v150, 0, 1, s14
	v_not_b32_e32 v162, v147
	v_cmp_gt_i32_e64 s15, 0, v147
	v_not_b32_e32 v147, v148
	v_lshlrev_b32_e32 v160, 26, v145
	v_cmp_ne_u32_e64 s14, 0, v150
	v_ashrrev_i32_e32 v162, 31, v162
	v_lshlrev_b32_e32 v161, 25, v145
	v_ashrrev_i32_e32 v147, 31, v147
	v_lshlrev_b32_e32 v150, 24, v145
	s_wait_alu 0xf1ff
	v_xor_b32_e32 v146, s14, v146
	v_cmp_gt_i32_e64 s14, 0, v148
	v_not_b32_e32 v148, v149
	v_xor_b32_e32 v162, s15, v162
	v_cmp_gt_i32_e64 s15, 0, v149
	v_and_b32_e32 v146, exec_lo, v146
	v_not_b32_e32 v149, v151
	v_ashrrev_i32_e32 v148, 31, v148
	s_wait_alu 0xf1ff
	v_xor_b32_e32 v147, s14, v147
	v_cmp_gt_i32_e64 s14, 0, v151
	v_and_b32_e32 v146, v146, v162
	v_not_b32_e32 v151, v160
	v_ashrrev_i32_e32 v149, 31, v149
	v_xor_b32_e32 v148, s15, v148
	v_cmp_gt_i32_e64 s15, 0, v160
	v_and_b32_e32 v146, v146, v147
	v_not_b32_e32 v147, v161
	v_ashrrev_i32_e32 v151, 31, v151
	s_wait_alu 0xf1ff
	v_xor_b32_e32 v149, s14, v149
	v_cmp_gt_i32_e64 s14, 0, v161
	v_and_b32_e32 v146, v146, v148
	v_not_b32_e32 v148, v150
	v_ashrrev_i32_e32 v147, 31, v147
	v_xor_b32_e32 v151, s15, v151
	v_lshl_add_u32 v145, v145, 3, v46
	v_and_b32_e32 v146, v146, v149
	v_cmp_gt_i32_e64 s15, 0, v150
	v_ashrrev_i32_e32 v148, 31, v148
	s_wait_alu 0xf1ff
	v_xor_b32_e32 v147, s14, v147
	v_lshl_add_u32 v149, v145, 2, v12
	v_and_b32_e32 v146, v146, v151
	v_xor_b32_e32 v148, s15, v148
	ds_load_b32 v145, v149 offset:32
	v_and_b32_e32 v146, v146, v147
	v_add_nc_u32_e32 v147, 32, v149
	; wave barrier
	s_delay_alu instid0(VALU_DEP_2) | instskip(NEXT) | instid1(VALU_DEP_1)
	v_and_b32_e32 v148, v146, v148
	v_mbcnt_lo_u32_b32 v146, v148, 0
	v_cmp_ne_u32_e64 s15, 0, v148
	s_delay_alu instid0(VALU_DEP_2)
	v_cmp_eq_u32_e64 s14, 0, v146
	s_and_b32 s15, s15, s14
	s_wait_alu 0xfffe
	s_and_saveexec_b32 s14, s15
	s_cbranch_execz .LBB1123_63
; %bb.62:                               ;   in Loop: Header=BB1123_53 Depth=1
	s_wait_dscnt 0x0
	v_bcnt_u32_b32 v148, v148, v145
	ds_store_b32 v147, v148
.LBB1123_63:                            ;   in Loop: Header=BB1123_53 Depth=1
	s_wait_alu 0xfffe
	s_or_b32 exec_lo, exec_lo, s14
	v_cmp_ne_u64_e64 s14, s[16:17], v[70:71]
	; wave barrier
	s_wait_alu 0xf1ff
	s_delay_alu instid0(VALU_DEP_1) | instskip(SKIP_1) | instid1(VALU_DEP_1)
	v_cndmask_b32_e64 v149, 0x7fffffff, v71, s14
	v_cndmask_b32_e64 v148, -1, v70, s14
	v_lshrrev_b64 v[148:149], v10, v[148:149]
	s_delay_alu instid0(VALU_DEP_1) | instskip(NEXT) | instid1(VALU_DEP_1)
	v_and_b32_e32 v148, v148, v130
	v_and_b32_e32 v149, 1, v148
	v_lshlrev_b32_e32 v150, 30, v148
	v_lshlrev_b32_e32 v151, 29, v148
	;; [unrolled: 1-line block ×4, first 2 shown]
	v_add_co_u32 v149, s14, v149, -1
	s_wait_alu 0xf1ff
	v_cndmask_b32_e64 v161, 0, 1, s14
	v_not_b32_e32 v165, v150
	v_cmp_gt_i32_e64 s15, 0, v150
	v_not_b32_e32 v150, v151
	v_lshlrev_b32_e32 v163, 26, v148
	v_cmp_ne_u32_e64 s14, 0, v161
	v_ashrrev_i32_e32 v165, 31, v165
	v_lshlrev_b32_e32 v164, 25, v148
	v_ashrrev_i32_e32 v150, 31, v150
	v_lshlrev_b32_e32 v161, 24, v148
	s_wait_alu 0xf1ff
	v_xor_b32_e32 v149, s14, v149
	v_cmp_gt_i32_e64 s14, 0, v151
	v_not_b32_e32 v151, v160
	v_xor_b32_e32 v165, s15, v165
	v_cmp_gt_i32_e64 s15, 0, v160
	v_and_b32_e32 v149, exec_lo, v149
	v_not_b32_e32 v160, v162
	v_ashrrev_i32_e32 v151, 31, v151
	s_wait_alu 0xf1ff
	v_xor_b32_e32 v150, s14, v150
	v_cmp_gt_i32_e64 s14, 0, v162
	v_and_b32_e32 v149, v149, v165
	v_not_b32_e32 v162, v163
	v_ashrrev_i32_e32 v160, 31, v160
	v_xor_b32_e32 v151, s15, v151
	v_cmp_gt_i32_e64 s15, 0, v163
	v_and_b32_e32 v149, v149, v150
	v_not_b32_e32 v150, v164
	v_ashrrev_i32_e32 v162, 31, v162
	s_wait_alu 0xf1ff
	v_xor_b32_e32 v160, s14, v160
	v_cmp_gt_i32_e64 s14, 0, v164
	v_and_b32_e32 v149, v149, v151
	v_not_b32_e32 v151, v161
	v_ashrrev_i32_e32 v150, 31, v150
	v_xor_b32_e32 v162, s15, v162
	v_lshl_add_u32 v148, v148, 3, v46
	v_and_b32_e32 v149, v149, v160
	v_cmp_gt_i32_e64 s15, 0, v161
	v_ashrrev_i32_e32 v151, 31, v151
	s_wait_alu 0xf1ff
	v_xor_b32_e32 v150, s14, v150
	v_lshl_add_u32 v160, v148, 2, v12
	v_and_b32_e32 v149, v149, v162
	v_xor_b32_e32 v151, s15, v151
	ds_load_b32 v148, v160 offset:32
	v_and_b32_e32 v149, v149, v150
	v_add_nc_u32_e32 v150, 32, v160
	; wave barrier
	s_delay_alu instid0(VALU_DEP_2) | instskip(NEXT) | instid1(VALU_DEP_1)
	v_and_b32_e32 v151, v149, v151
	v_mbcnt_lo_u32_b32 v149, v151, 0
	v_cmp_ne_u32_e64 s15, 0, v151
	s_delay_alu instid0(VALU_DEP_2)
	v_cmp_eq_u32_e64 s14, 0, v149
	s_and_b32 s15, s15, s14
	s_wait_alu 0xfffe
	s_and_saveexec_b32 s14, s15
	s_cbranch_execz .LBB1123_65
; %bb.64:                               ;   in Loop: Header=BB1123_53 Depth=1
	s_wait_dscnt 0x0
	v_bcnt_u32_b32 v151, v151, v148
	ds_store_b32 v150, v151
.LBB1123_65:                            ;   in Loop: Header=BB1123_53 Depth=1
	s_wait_alu 0xfffe
	s_or_b32 exec_lo, exec_lo, s14
	v_cmp_ne_u64_e64 s14, s[16:17], v[68:69]
	; wave barrier
	s_wait_alu 0xf1ff
	s_delay_alu instid0(VALU_DEP_1) | instskip(SKIP_1) | instid1(VALU_DEP_1)
	v_cndmask_b32_e64 v161, 0x7fffffff, v69, s14
	v_cndmask_b32_e64 v160, -1, v68, s14
	v_lshrrev_b64 v[160:161], v10, v[160:161]
	s_delay_alu instid0(VALU_DEP_1) | instskip(NEXT) | instid1(VALU_DEP_1)
	v_and_b32_e32 v151, v160, v130
	v_and_b32_e32 v160, 1, v151
	v_lshlrev_b32_e32 v161, 30, v151
	v_lshlrev_b32_e32 v162, 29, v151
	v_lshlrev_b32_e32 v163, 28, v151
	v_lshlrev_b32_e32 v165, 27, v151
	v_add_co_u32 v160, s14, v160, -1
	s_wait_alu 0xf1ff
	v_cndmask_b32_e64 v164, 0, 1, s14
	v_not_b32_e32 v176, v161
	v_cmp_gt_i32_e64 s15, 0, v161
	v_not_b32_e32 v161, v162
	v_lshlrev_b32_e32 v166, 26, v151
	v_cmp_ne_u32_e64 s14, 0, v164
	v_ashrrev_i32_e32 v176, 31, v176
	v_lshlrev_b32_e32 v167, 25, v151
	v_ashrrev_i32_e32 v161, 31, v161
	v_lshlrev_b32_e32 v164, 24, v151
	s_wait_alu 0xf1ff
	v_xor_b32_e32 v160, s14, v160
	v_cmp_gt_i32_e64 s14, 0, v162
	v_not_b32_e32 v162, v163
	v_xor_b32_e32 v176, s15, v176
	v_cmp_gt_i32_e64 s15, 0, v163
	v_and_b32_e32 v160, exec_lo, v160
	v_not_b32_e32 v163, v165
	v_ashrrev_i32_e32 v162, 31, v162
	s_wait_alu 0xf1ff
	v_xor_b32_e32 v161, s14, v161
	v_cmp_gt_i32_e64 s14, 0, v165
	v_and_b32_e32 v160, v160, v176
	v_not_b32_e32 v165, v166
	v_ashrrev_i32_e32 v163, 31, v163
	v_xor_b32_e32 v162, s15, v162
	v_cmp_gt_i32_e64 s15, 0, v166
	v_and_b32_e32 v160, v160, v161
	v_not_b32_e32 v161, v167
	v_ashrrev_i32_e32 v165, 31, v165
	s_wait_alu 0xf1ff
	v_xor_b32_e32 v163, s14, v163
	v_cmp_gt_i32_e64 s14, 0, v167
	v_and_b32_e32 v160, v160, v162
	v_not_b32_e32 v162, v164
	v_ashrrev_i32_e32 v161, 31, v161
	v_xor_b32_e32 v165, s15, v165
	v_lshl_add_u32 v151, v151, 3, v46
	v_and_b32_e32 v160, v160, v163
	v_cmp_gt_i32_e64 s15, 0, v164
	v_ashrrev_i32_e32 v162, 31, v162
	s_wait_alu 0xf1ff
	v_xor_b32_e32 v161, s14, v161
	v_lshl_add_u32 v163, v151, 2, v12
	v_and_b32_e32 v160, v160, v165
	v_xor_b32_e32 v162, s15, v162
	ds_load_b32 v151, v163 offset:32
	v_and_b32_e32 v160, v160, v161
	v_add_nc_u32_e32 v161, 32, v163
	; wave barrier
	s_delay_alu instid0(VALU_DEP_2) | instskip(NEXT) | instid1(VALU_DEP_1)
	v_and_b32_e32 v162, v160, v162
	v_mbcnt_lo_u32_b32 v160, v162, 0
	v_cmp_ne_u32_e64 s15, 0, v162
	s_delay_alu instid0(VALU_DEP_2)
	v_cmp_eq_u32_e64 s14, 0, v160
	s_and_b32 s15, s15, s14
	s_wait_alu 0xfffe
	s_and_saveexec_b32 s14, s15
	s_cbranch_execz .LBB1123_67
; %bb.66:                               ;   in Loop: Header=BB1123_53 Depth=1
	s_wait_dscnt 0x0
	v_bcnt_u32_b32 v162, v162, v151
	ds_store_b32 v161, v162
.LBB1123_67:                            ;   in Loop: Header=BB1123_53 Depth=1
	s_wait_alu 0xfffe
	s_or_b32 exec_lo, exec_lo, s14
	v_cmp_ne_u64_e64 s14, s[16:17], v[66:67]
	; wave barrier
	s_wait_alu 0xf1ff
	s_delay_alu instid0(VALU_DEP_1) | instskip(SKIP_1) | instid1(VALU_DEP_1)
	v_cndmask_b32_e64 v163, 0x7fffffff, v67, s14
	v_cndmask_b32_e64 v162, -1, v66, s14
	v_lshrrev_b64 v[162:163], v10, v[162:163]
	s_delay_alu instid0(VALU_DEP_1) | instskip(NEXT) | instid1(VALU_DEP_1)
	v_and_b32_e32 v162, v162, v130
	v_and_b32_e32 v163, 1, v162
	v_lshlrev_b32_e32 v164, 30, v162
	v_lshlrev_b32_e32 v165, 29, v162
	;; [unrolled: 1-line block ×4, first 2 shown]
	v_add_co_u32 v163, s14, v163, -1
	s_wait_alu 0xf1ff
	v_cndmask_b32_e64 v167, 0, 1, s14
	v_not_b32_e32 v179, v164
	v_cmp_gt_i32_e64 s15, 0, v164
	v_not_b32_e32 v164, v165
	v_lshlrev_b32_e32 v177, 26, v162
	v_cmp_ne_u32_e64 s14, 0, v167
	v_ashrrev_i32_e32 v179, 31, v179
	v_lshlrev_b32_e32 v178, 25, v162
	v_ashrrev_i32_e32 v164, 31, v164
	v_lshlrev_b32_e32 v167, 24, v162
	s_wait_alu 0xf1ff
	v_xor_b32_e32 v163, s14, v163
	v_cmp_gt_i32_e64 s14, 0, v165
	v_not_b32_e32 v165, v166
	v_xor_b32_e32 v179, s15, v179
	v_cmp_gt_i32_e64 s15, 0, v166
	v_and_b32_e32 v163, exec_lo, v163
	v_not_b32_e32 v166, v176
	v_ashrrev_i32_e32 v165, 31, v165
	s_wait_alu 0xf1ff
	v_xor_b32_e32 v164, s14, v164
	v_cmp_gt_i32_e64 s14, 0, v176
	v_and_b32_e32 v163, v163, v179
	v_not_b32_e32 v176, v177
	v_ashrrev_i32_e32 v166, 31, v166
	v_xor_b32_e32 v165, s15, v165
	v_cmp_gt_i32_e64 s15, 0, v177
	v_and_b32_e32 v163, v163, v164
	v_not_b32_e32 v164, v178
	v_ashrrev_i32_e32 v176, 31, v176
	s_wait_alu 0xf1ff
	v_xor_b32_e32 v166, s14, v166
	v_cmp_gt_i32_e64 s14, 0, v178
	v_and_b32_e32 v163, v163, v165
	v_not_b32_e32 v165, v167
	v_ashrrev_i32_e32 v164, 31, v164
	v_xor_b32_e32 v176, s15, v176
	v_lshl_add_u32 v162, v162, 3, v46
	v_and_b32_e32 v163, v163, v166
	v_cmp_gt_i32_e64 s15, 0, v167
	v_ashrrev_i32_e32 v165, 31, v165
	s_wait_alu 0xf1ff
	v_xor_b32_e32 v164, s14, v164
	v_lshl_add_u32 v166, v162, 2, v12
	v_and_b32_e32 v163, v163, v176
	v_xor_b32_e32 v165, s15, v165
	ds_load_b32 v162, v166 offset:32
	v_and_b32_e32 v163, v163, v164
	v_add_nc_u32_e32 v164, 32, v166
	; wave barrier
	s_delay_alu instid0(VALU_DEP_2) | instskip(NEXT) | instid1(VALU_DEP_1)
	v_and_b32_e32 v165, v163, v165
	v_mbcnt_lo_u32_b32 v163, v165, 0
	v_cmp_ne_u32_e64 s15, 0, v165
	s_delay_alu instid0(VALU_DEP_2)
	v_cmp_eq_u32_e64 s14, 0, v163
	s_and_b32 s15, s15, s14
	s_wait_alu 0xfffe
	s_and_saveexec_b32 s14, s15
	s_cbranch_execz .LBB1123_69
; %bb.68:                               ;   in Loop: Header=BB1123_53 Depth=1
	s_wait_dscnt 0x0
	v_bcnt_u32_b32 v165, v165, v162
	ds_store_b32 v164, v165
.LBB1123_69:                            ;   in Loop: Header=BB1123_53 Depth=1
	s_wait_alu 0xfffe
	s_or_b32 exec_lo, exec_lo, s14
	v_cmp_ne_u64_e64 s14, s[16:17], v[80:81]
	; wave barrier
	s_wait_alu 0xf1ff
	s_delay_alu instid0(VALU_DEP_1) | instskip(SKIP_1) | instid1(VALU_DEP_1)
	v_cndmask_b32_e64 v166, 0x7fffffff, v81, s14
	v_cndmask_b32_e64 v165, -1, v80, s14
	v_lshrrev_b64 v[165:166], v10, v[165:166]
	s_delay_alu instid0(VALU_DEP_1) | instskip(NEXT) | instid1(VALU_DEP_1)
	v_and_b32_e32 v165, v165, v130
	v_and_b32_e32 v166, 1, v165
	v_lshlrev_b32_e32 v167, 30, v165
	v_lshlrev_b32_e32 v176, 29, v165
	;; [unrolled: 1-line block ×4, first 2 shown]
	v_add_co_u32 v166, s14, v166, -1
	s_wait_alu 0xf1ff
	v_cndmask_b32_e64 v178, 0, 1, s14
	v_not_b32_e32 v182, v167
	v_cmp_gt_i32_e64 s15, 0, v167
	v_not_b32_e32 v167, v176
	v_lshlrev_b32_e32 v180, 26, v165
	v_cmp_ne_u32_e64 s14, 0, v178
	v_ashrrev_i32_e32 v182, 31, v182
	v_lshlrev_b32_e32 v181, 25, v165
	v_ashrrev_i32_e32 v167, 31, v167
	v_lshlrev_b32_e32 v178, 24, v165
	s_wait_alu 0xf1ff
	v_xor_b32_e32 v166, s14, v166
	v_cmp_gt_i32_e64 s14, 0, v176
	v_not_b32_e32 v176, v177
	v_xor_b32_e32 v182, s15, v182
	v_cmp_gt_i32_e64 s15, 0, v177
	v_and_b32_e32 v166, exec_lo, v166
	v_not_b32_e32 v177, v179
	v_ashrrev_i32_e32 v176, 31, v176
	s_wait_alu 0xf1ff
	v_xor_b32_e32 v167, s14, v167
	v_cmp_gt_i32_e64 s14, 0, v179
	v_and_b32_e32 v166, v166, v182
	v_not_b32_e32 v179, v180
	v_ashrrev_i32_e32 v177, 31, v177
	v_xor_b32_e32 v176, s15, v176
	v_cmp_gt_i32_e64 s15, 0, v180
	v_and_b32_e32 v166, v166, v167
	v_not_b32_e32 v167, v181
	v_ashrrev_i32_e32 v179, 31, v179
	s_wait_alu 0xf1ff
	v_xor_b32_e32 v177, s14, v177
	v_cmp_gt_i32_e64 s14, 0, v181
	v_and_b32_e32 v166, v166, v176
	v_not_b32_e32 v176, v178
	v_ashrrev_i32_e32 v167, 31, v167
	v_xor_b32_e32 v179, s15, v179
	v_lshl_add_u32 v165, v165, 3, v46
	v_and_b32_e32 v166, v166, v177
	v_cmp_gt_i32_e64 s15, 0, v178
	v_ashrrev_i32_e32 v176, 31, v176
	s_wait_alu 0xf1ff
	v_xor_b32_e32 v167, s14, v167
	v_lshl_add_u32 v177, v165, 2, v12
	v_and_b32_e32 v166, v166, v179
	v_xor_b32_e32 v176, s15, v176
	ds_load_b32 v165, v177 offset:32
	v_and_b32_e32 v166, v166, v167
	v_add_nc_u32_e32 v167, 32, v177
	; wave barrier
	s_delay_alu instid0(VALU_DEP_2) | instskip(NEXT) | instid1(VALU_DEP_1)
	v_and_b32_e32 v176, v166, v176
	v_mbcnt_lo_u32_b32 v166, v176, 0
	v_cmp_ne_u32_e64 s15, 0, v176
	s_delay_alu instid0(VALU_DEP_2)
	v_cmp_eq_u32_e64 s14, 0, v166
	s_and_b32 s15, s15, s14
	s_wait_alu 0xfffe
	s_and_saveexec_b32 s14, s15
	s_cbranch_execz .LBB1123_71
; %bb.70:                               ;   in Loop: Header=BB1123_53 Depth=1
	s_wait_dscnt 0x0
	v_bcnt_u32_b32 v176, v176, v165
	ds_store_b32 v167, v176
.LBB1123_71:                            ;   in Loop: Header=BB1123_53 Depth=1
	s_wait_alu 0xfffe
	s_or_b32 exec_lo, exec_lo, s14
	v_cmp_ne_u64_e64 s14, s[16:17], v[82:83]
	; wave barrier
	s_wait_alu 0xf1ff
	s_delay_alu instid0(VALU_DEP_1) | instskip(SKIP_1) | instid1(VALU_DEP_1)
	v_cndmask_b32_e64 v177, 0x7fffffff, v83, s14
	v_cndmask_b32_e64 v176, -1, v82, s14
	v_lshrrev_b64 v[176:177], v10, v[176:177]
	s_delay_alu instid0(VALU_DEP_1) | instskip(NEXT) | instid1(VALU_DEP_1)
	v_and_b32_e32 v176, v176, v130
	v_and_b32_e32 v177, 1, v176
	v_lshlrev_b32_e32 v178, 30, v176
	v_lshlrev_b32_e32 v179, 29, v176
	;; [unrolled: 1-line block ×4, first 2 shown]
	v_add_co_u32 v177, s14, v177, -1
	s_wait_alu 0xf1ff
	v_cndmask_b32_e64 v181, 0, 1, s14
	v_not_b32_e32 v193, v178
	v_cmp_gt_i32_e64 s15, 0, v178
	v_not_b32_e32 v178, v179
	v_lshlrev_b32_e32 v183, 26, v176
	v_cmp_ne_u32_e64 s14, 0, v181
	v_ashrrev_i32_e32 v193, 31, v193
	v_lshlrev_b32_e32 v192, 25, v176
	v_ashrrev_i32_e32 v178, 31, v178
	v_lshlrev_b32_e32 v181, 24, v176
	s_wait_alu 0xf1ff
	v_xor_b32_e32 v177, s14, v177
	v_cmp_gt_i32_e64 s14, 0, v179
	v_not_b32_e32 v179, v180
	v_xor_b32_e32 v193, s15, v193
	v_cmp_gt_i32_e64 s15, 0, v180
	v_and_b32_e32 v177, exec_lo, v177
	v_not_b32_e32 v180, v182
	v_ashrrev_i32_e32 v179, 31, v179
	s_wait_alu 0xf1ff
	v_xor_b32_e32 v178, s14, v178
	v_cmp_gt_i32_e64 s14, 0, v182
	v_and_b32_e32 v177, v177, v193
	v_not_b32_e32 v182, v183
	v_ashrrev_i32_e32 v180, 31, v180
	v_xor_b32_e32 v179, s15, v179
	v_cmp_gt_i32_e64 s15, 0, v183
	v_and_b32_e32 v177, v177, v178
	v_not_b32_e32 v178, v192
	v_ashrrev_i32_e32 v182, 31, v182
	s_wait_alu 0xf1ff
	v_xor_b32_e32 v180, s14, v180
	v_cmp_gt_i32_e64 s14, 0, v192
	v_and_b32_e32 v177, v177, v179
	v_not_b32_e32 v179, v181
	v_ashrrev_i32_e32 v178, 31, v178
	v_xor_b32_e32 v182, s15, v182
	v_lshl_add_u32 v176, v176, 3, v46
	v_and_b32_e32 v177, v177, v180
	v_cmp_gt_i32_e64 s15, 0, v181
	v_ashrrev_i32_e32 v179, 31, v179
	s_wait_alu 0xf1ff
	v_xor_b32_e32 v178, s14, v178
	v_lshl_add_u32 v180, v176, 2, v12
	v_and_b32_e32 v177, v177, v182
	v_xor_b32_e32 v179, s15, v179
	ds_load_b32 v176, v180 offset:32
	v_and_b32_e32 v177, v177, v178
	v_add_nc_u32_e32 v178, 32, v180
	; wave barrier
	s_delay_alu instid0(VALU_DEP_2) | instskip(NEXT) | instid1(VALU_DEP_1)
	v_and_b32_e32 v179, v177, v179
	v_mbcnt_lo_u32_b32 v177, v179, 0
	v_cmp_ne_u32_e64 s15, 0, v179
	s_delay_alu instid0(VALU_DEP_2)
	v_cmp_eq_u32_e64 s14, 0, v177
	s_and_b32 s15, s15, s14
	s_wait_alu 0xfffe
	s_and_saveexec_b32 s14, s15
	s_cbranch_execz .LBB1123_73
; %bb.72:                               ;   in Loop: Header=BB1123_53 Depth=1
	s_wait_dscnt 0x0
	v_bcnt_u32_b32 v179, v179, v176
	ds_store_b32 v178, v179
.LBB1123_73:                            ;   in Loop: Header=BB1123_53 Depth=1
	s_wait_alu 0xfffe
	s_or_b32 exec_lo, exec_lo, s14
	v_cmp_ne_u64_e64 s14, s[16:17], v[84:85]
	; wave barrier
	s_wait_alu 0xf1ff
	s_delay_alu instid0(VALU_DEP_1) | instskip(SKIP_1) | instid1(VALU_DEP_1)
	v_cndmask_b32_e64 v180, 0x7fffffff, v85, s14
	v_cndmask_b32_e64 v179, -1, v84, s14
	v_lshrrev_b64 v[179:180], v10, v[179:180]
	s_delay_alu instid0(VALU_DEP_1) | instskip(NEXT) | instid1(VALU_DEP_1)
	v_and_b32_e32 v179, v179, v130
	v_and_b32_e32 v180, 1, v179
	v_lshlrev_b32_e32 v181, 30, v179
	v_lshlrev_b32_e32 v182, 29, v179
	;; [unrolled: 1-line block ×4, first 2 shown]
	v_add_co_u32 v180, s14, v180, -1
	s_wait_alu 0xf1ff
	v_cndmask_b32_e64 v192, 0, 1, s14
	v_not_b32_e32 v196, v181
	v_cmp_gt_i32_e64 s15, 0, v181
	v_not_b32_e32 v181, v182
	v_lshlrev_b32_e32 v194, 26, v179
	v_cmp_ne_u32_e64 s14, 0, v192
	v_ashrrev_i32_e32 v196, 31, v196
	v_lshlrev_b32_e32 v195, 25, v179
	v_ashrrev_i32_e32 v181, 31, v181
	v_lshlrev_b32_e32 v192, 24, v179
	s_wait_alu 0xf1ff
	v_xor_b32_e32 v180, s14, v180
	v_cmp_gt_i32_e64 s14, 0, v182
	v_not_b32_e32 v182, v183
	v_xor_b32_e32 v196, s15, v196
	v_cmp_gt_i32_e64 s15, 0, v183
	v_and_b32_e32 v180, exec_lo, v180
	v_not_b32_e32 v183, v193
	v_ashrrev_i32_e32 v182, 31, v182
	s_wait_alu 0xf1ff
	v_xor_b32_e32 v181, s14, v181
	v_cmp_gt_i32_e64 s14, 0, v193
	v_and_b32_e32 v180, v180, v196
	v_not_b32_e32 v193, v194
	v_ashrrev_i32_e32 v183, 31, v183
	v_xor_b32_e32 v182, s15, v182
	v_cmp_gt_i32_e64 s15, 0, v194
	v_and_b32_e32 v180, v180, v181
	v_not_b32_e32 v181, v195
	v_ashrrev_i32_e32 v193, 31, v193
	s_wait_alu 0xf1ff
	v_xor_b32_e32 v183, s14, v183
	v_cmp_gt_i32_e64 s14, 0, v195
	v_and_b32_e32 v180, v180, v182
	v_not_b32_e32 v182, v192
	v_ashrrev_i32_e32 v181, 31, v181
	v_xor_b32_e32 v193, s15, v193
	v_lshl_add_u32 v179, v179, 3, v46
	v_and_b32_e32 v180, v180, v183
	v_cmp_gt_i32_e64 s15, 0, v192
	v_ashrrev_i32_e32 v182, 31, v182
	s_wait_alu 0xf1ff
	v_xor_b32_e32 v181, s14, v181
	v_lshl_add_u32 v183, v179, 2, v12
	v_and_b32_e32 v180, v180, v193
	v_xor_b32_e32 v182, s15, v182
	ds_load_b32 v179, v183 offset:32
	v_and_b32_e32 v180, v180, v181
	v_add_nc_u32_e32 v181, 32, v183
	; wave barrier
	s_delay_alu instid0(VALU_DEP_2) | instskip(NEXT) | instid1(VALU_DEP_1)
	v_and_b32_e32 v182, v180, v182
	v_mbcnt_lo_u32_b32 v180, v182, 0
	v_cmp_ne_u32_e64 s15, 0, v182
	s_delay_alu instid0(VALU_DEP_2)
	v_cmp_eq_u32_e64 s14, 0, v180
	s_and_b32 s15, s15, s14
	s_wait_alu 0xfffe
	s_and_saveexec_b32 s14, s15
	s_cbranch_execz .LBB1123_75
; %bb.74:                               ;   in Loop: Header=BB1123_53 Depth=1
	s_wait_dscnt 0x0
	v_bcnt_u32_b32 v182, v182, v179
	ds_store_b32 v181, v182
.LBB1123_75:                            ;   in Loop: Header=BB1123_53 Depth=1
	s_wait_alu 0xfffe
	s_or_b32 exec_lo, exec_lo, s14
	v_cmp_ne_u64_e64 s14, s[16:17], v[86:87]
	; wave barrier
	s_wait_alu 0xf1ff
	s_delay_alu instid0(VALU_DEP_1) | instskip(SKIP_1) | instid1(VALU_DEP_1)
	v_cndmask_b32_e64 v183, 0x7fffffff, v87, s14
	v_cndmask_b32_e64 v182, -1, v86, s14
	v_lshrrev_b64 v[182:183], v10, v[182:183]
	s_delay_alu instid0(VALU_DEP_1) | instskip(NEXT) | instid1(VALU_DEP_1)
	v_and_b32_e32 v182, v182, v130
	v_and_b32_e32 v183, 1, v182
	v_lshlrev_b32_e32 v192, 30, v182
	v_lshlrev_b32_e32 v193, 29, v182
	;; [unrolled: 1-line block ×4, first 2 shown]
	v_add_co_u32 v183, s14, v183, -1
	s_wait_alu 0xf1ff
	v_cndmask_b32_e64 v195, 0, 1, s14
	v_not_b32_e32 v199, v192
	v_cmp_gt_i32_e64 s15, 0, v192
	v_not_b32_e32 v192, v193
	v_lshlrev_b32_e32 v197, 26, v182
	v_cmp_ne_u32_e64 s14, 0, v195
	v_ashrrev_i32_e32 v199, 31, v199
	v_lshlrev_b32_e32 v198, 25, v182
	v_ashrrev_i32_e32 v192, 31, v192
	v_lshlrev_b32_e32 v195, 24, v182
	s_wait_alu 0xf1ff
	v_xor_b32_e32 v183, s14, v183
	v_cmp_gt_i32_e64 s14, 0, v193
	v_not_b32_e32 v193, v194
	v_xor_b32_e32 v199, s15, v199
	v_cmp_gt_i32_e64 s15, 0, v194
	v_and_b32_e32 v183, exec_lo, v183
	v_not_b32_e32 v194, v196
	v_ashrrev_i32_e32 v193, 31, v193
	s_wait_alu 0xf1ff
	v_xor_b32_e32 v192, s14, v192
	v_cmp_gt_i32_e64 s14, 0, v196
	v_and_b32_e32 v183, v183, v199
	v_not_b32_e32 v196, v197
	v_ashrrev_i32_e32 v194, 31, v194
	v_xor_b32_e32 v193, s15, v193
	v_cmp_gt_i32_e64 s15, 0, v197
	v_and_b32_e32 v183, v183, v192
	v_not_b32_e32 v192, v198
	v_ashrrev_i32_e32 v196, 31, v196
	s_wait_alu 0xf1ff
	v_xor_b32_e32 v194, s14, v194
	v_cmp_gt_i32_e64 s14, 0, v198
	v_and_b32_e32 v183, v183, v193
	v_not_b32_e32 v193, v195
	v_ashrrev_i32_e32 v192, 31, v192
	v_xor_b32_e32 v196, s15, v196
	v_lshl_add_u32 v182, v182, 3, v46
	v_and_b32_e32 v183, v183, v194
	v_cmp_gt_i32_e64 s15, 0, v195
	v_ashrrev_i32_e32 v193, 31, v193
	s_wait_alu 0xf1ff
	v_xor_b32_e32 v192, s14, v192
	v_lshl_add_u32 v194, v182, 2, v12
	v_and_b32_e32 v183, v183, v196
	v_xor_b32_e32 v193, s15, v193
	ds_load_b32 v182, v194 offset:32
	v_and_b32_e32 v183, v183, v192
	v_add_nc_u32_e32 v192, 32, v194
	; wave barrier
	s_delay_alu instid0(VALU_DEP_2) | instskip(NEXT) | instid1(VALU_DEP_1)
	v_and_b32_e32 v193, v183, v193
	v_mbcnt_lo_u32_b32 v183, v193, 0
	v_cmp_ne_u32_e64 s15, 0, v193
	s_delay_alu instid0(VALU_DEP_2)
	v_cmp_eq_u32_e64 s14, 0, v183
	s_and_b32 s15, s15, s14
	s_wait_alu 0xfffe
	s_and_saveexec_b32 s14, s15
	s_cbranch_execz .LBB1123_77
; %bb.76:                               ;   in Loop: Header=BB1123_53 Depth=1
	s_wait_dscnt 0x0
	v_bcnt_u32_b32 v193, v193, v182
	ds_store_b32 v192, v193
.LBB1123_77:                            ;   in Loop: Header=BB1123_53 Depth=1
	s_wait_alu 0xfffe
	s_or_b32 exec_lo, exec_lo, s14
	v_cmp_ne_u64_e64 s14, s[16:17], v[96:97]
	; wave barrier
	s_wait_alu 0xf1ff
	s_delay_alu instid0(VALU_DEP_1) | instskip(SKIP_1) | instid1(VALU_DEP_1)
	v_cndmask_b32_e64 v194, 0x7fffffff, v97, s14
	v_cndmask_b32_e64 v193, -1, v96, s14
	v_lshrrev_b64 v[193:194], v10, v[193:194]
	s_delay_alu instid0(VALU_DEP_1) | instskip(NEXT) | instid1(VALU_DEP_1)
	v_and_b32_e32 v193, v193, v130
	v_and_b32_e32 v194, 1, v193
	v_lshlrev_b32_e32 v195, 30, v193
	v_lshlrev_b32_e32 v196, 29, v193
	;; [unrolled: 1-line block ×4, first 2 shown]
	v_add_co_u32 v194, s14, v194, -1
	s_wait_alu 0xf1ff
	v_cndmask_b32_e64 v198, 0, 1, s14
	v_not_b32_e32 v210, v195
	v_cmp_gt_i32_e64 s15, 0, v195
	v_not_b32_e32 v195, v196
	v_lshlrev_b32_e32 v208, 26, v193
	v_cmp_ne_u32_e64 s14, 0, v198
	v_ashrrev_i32_e32 v210, 31, v210
	v_lshlrev_b32_e32 v209, 25, v193
	v_ashrrev_i32_e32 v195, 31, v195
	v_lshlrev_b32_e32 v198, 24, v193
	s_wait_alu 0xf1ff
	v_xor_b32_e32 v194, s14, v194
	v_cmp_gt_i32_e64 s14, 0, v196
	v_not_b32_e32 v196, v197
	v_xor_b32_e32 v210, s15, v210
	v_cmp_gt_i32_e64 s15, 0, v197
	v_and_b32_e32 v194, exec_lo, v194
	v_not_b32_e32 v197, v199
	v_ashrrev_i32_e32 v196, 31, v196
	s_wait_alu 0xf1ff
	v_xor_b32_e32 v195, s14, v195
	v_cmp_gt_i32_e64 s14, 0, v199
	v_and_b32_e32 v194, v194, v210
	v_not_b32_e32 v199, v208
	v_ashrrev_i32_e32 v197, 31, v197
	v_xor_b32_e32 v196, s15, v196
	v_cmp_gt_i32_e64 s15, 0, v208
	v_and_b32_e32 v194, v194, v195
	v_not_b32_e32 v195, v209
	v_ashrrev_i32_e32 v199, 31, v199
	s_wait_alu 0xf1ff
	v_xor_b32_e32 v197, s14, v197
	v_cmp_gt_i32_e64 s14, 0, v209
	v_and_b32_e32 v194, v194, v196
	v_not_b32_e32 v196, v198
	v_ashrrev_i32_e32 v195, 31, v195
	v_xor_b32_e32 v199, s15, v199
	v_lshl_add_u32 v193, v193, 3, v46
	v_and_b32_e32 v194, v194, v197
	v_cmp_gt_i32_e64 s15, 0, v198
	v_ashrrev_i32_e32 v196, 31, v196
	s_wait_alu 0xf1ff
	v_xor_b32_e32 v195, s14, v195
	v_lshl_add_u32 v197, v193, 2, v12
	v_and_b32_e32 v194, v194, v199
	v_xor_b32_e32 v196, s15, v196
	ds_load_b32 v193, v197 offset:32
	v_and_b32_e32 v194, v194, v195
	v_add_nc_u32_e32 v195, 32, v197
	; wave barrier
	s_delay_alu instid0(VALU_DEP_2) | instskip(NEXT) | instid1(VALU_DEP_1)
	v_and_b32_e32 v196, v194, v196
	v_mbcnt_lo_u32_b32 v194, v196, 0
	v_cmp_ne_u32_e64 s15, 0, v196
	s_delay_alu instid0(VALU_DEP_2)
	v_cmp_eq_u32_e64 s14, 0, v194
	s_and_b32 s15, s15, s14
	s_wait_alu 0xfffe
	s_and_saveexec_b32 s14, s15
	s_cbranch_execz .LBB1123_79
; %bb.78:                               ;   in Loop: Header=BB1123_53 Depth=1
	s_wait_dscnt 0x0
	v_bcnt_u32_b32 v196, v196, v193
	ds_store_b32 v195, v196
.LBB1123_79:                            ;   in Loop: Header=BB1123_53 Depth=1
	s_wait_alu 0xfffe
	s_or_b32 exec_lo, exec_lo, s14
	v_cmp_ne_u64_e64 s14, s[16:17], v[98:99]
	; wave barrier
	s_wait_alu 0xf1ff
	s_delay_alu instid0(VALU_DEP_1) | instskip(SKIP_1) | instid1(VALU_DEP_1)
	v_cndmask_b32_e64 v197, 0x7fffffff, v99, s14
	v_cndmask_b32_e64 v196, -1, v98, s14
	v_lshrrev_b64 v[196:197], v10, v[196:197]
	s_delay_alu instid0(VALU_DEP_1) | instskip(NEXT) | instid1(VALU_DEP_1)
	v_and_b32_e32 v196, v196, v130
	v_and_b32_e32 v197, 1, v196
	v_lshlrev_b32_e32 v198, 30, v196
	v_lshlrev_b32_e32 v199, 29, v196
	;; [unrolled: 1-line block ×4, first 2 shown]
	v_add_co_u32 v197, s14, v197, -1
	s_wait_alu 0xf1ff
	v_cndmask_b32_e64 v209, 0, 1, s14
	v_not_b32_e32 v213, v198
	v_cmp_gt_i32_e64 s15, 0, v198
	v_not_b32_e32 v198, v199
	v_lshlrev_b32_e32 v211, 26, v196
	v_cmp_ne_u32_e64 s14, 0, v209
	v_ashrrev_i32_e32 v213, 31, v213
	v_lshlrev_b32_e32 v212, 25, v196
	v_ashrrev_i32_e32 v198, 31, v198
	v_lshlrev_b32_e32 v209, 24, v196
	s_wait_alu 0xf1ff
	v_xor_b32_e32 v197, s14, v197
	v_cmp_gt_i32_e64 s14, 0, v199
	v_not_b32_e32 v199, v208
	v_xor_b32_e32 v213, s15, v213
	v_cmp_gt_i32_e64 s15, 0, v208
	v_and_b32_e32 v197, exec_lo, v197
	v_not_b32_e32 v208, v210
	v_ashrrev_i32_e32 v199, 31, v199
	s_wait_alu 0xf1ff
	v_xor_b32_e32 v198, s14, v198
	v_cmp_gt_i32_e64 s14, 0, v210
	v_and_b32_e32 v197, v197, v213
	v_not_b32_e32 v210, v211
	v_ashrrev_i32_e32 v208, 31, v208
	v_xor_b32_e32 v199, s15, v199
	v_cmp_gt_i32_e64 s15, 0, v211
	v_and_b32_e32 v197, v197, v198
	v_not_b32_e32 v198, v212
	v_ashrrev_i32_e32 v210, 31, v210
	s_wait_alu 0xf1ff
	v_xor_b32_e32 v208, s14, v208
	v_cmp_gt_i32_e64 s14, 0, v212
	v_and_b32_e32 v197, v197, v199
	v_not_b32_e32 v199, v209
	v_ashrrev_i32_e32 v198, 31, v198
	v_xor_b32_e32 v210, s15, v210
	v_lshl_add_u32 v196, v196, 3, v46
	v_and_b32_e32 v197, v197, v208
	v_cmp_gt_i32_e64 s15, 0, v209
	v_ashrrev_i32_e32 v199, 31, v199
	s_wait_alu 0xf1ff
	v_xor_b32_e32 v198, s14, v198
	v_lshl_add_u32 v208, v196, 2, v12
	v_and_b32_e32 v197, v197, v210
	v_xor_b32_e32 v199, s15, v199
	ds_load_b32 v196, v208 offset:32
	v_and_b32_e32 v197, v197, v198
	v_add_nc_u32_e32 v198, 32, v208
	; wave barrier
	s_delay_alu instid0(VALU_DEP_2) | instskip(NEXT) | instid1(VALU_DEP_1)
	v_and_b32_e32 v199, v197, v199
	v_mbcnt_lo_u32_b32 v197, v199, 0
	v_cmp_ne_u32_e64 s15, 0, v199
	s_delay_alu instid0(VALU_DEP_2)
	v_cmp_eq_u32_e64 s14, 0, v197
	s_and_b32 s15, s15, s14
	s_wait_alu 0xfffe
	s_and_saveexec_b32 s14, s15
	s_cbranch_execz .LBB1123_81
; %bb.80:                               ;   in Loop: Header=BB1123_53 Depth=1
	s_wait_dscnt 0x0
	v_bcnt_u32_b32 v199, v199, v196
	ds_store_b32 v198, v199
.LBB1123_81:                            ;   in Loop: Header=BB1123_53 Depth=1
	s_wait_alu 0xfffe
	s_or_b32 exec_lo, exec_lo, s14
	v_cmp_ne_u64_e64 s14, s[16:17], v[100:101]
	; wave barrier
	s_wait_alu 0xf1ff
	s_delay_alu instid0(VALU_DEP_1) | instskip(SKIP_1) | instid1(VALU_DEP_1)
	v_cndmask_b32_e64 v209, 0x7fffffff, v101, s14
	v_cndmask_b32_e64 v208, -1, v100, s14
	v_lshrrev_b64 v[208:209], v10, v[208:209]
	s_delay_alu instid0(VALU_DEP_1) | instskip(NEXT) | instid1(VALU_DEP_1)
	v_and_b32_e32 v199, v208, v130
	v_and_b32_e32 v208, 1, v199
	v_lshlrev_b32_e32 v209, 30, v199
	v_lshlrev_b32_e32 v210, 29, v199
	;; [unrolled: 1-line block ×4, first 2 shown]
	v_add_co_u32 v208, s14, v208, -1
	s_wait_alu 0xf1ff
	v_cndmask_b32_e64 v212, 0, 1, s14
	v_not_b32_e32 v224, v209
	v_cmp_gt_i32_e64 s15, 0, v209
	v_not_b32_e32 v209, v210
	v_lshlrev_b32_e32 v214, 26, v199
	v_cmp_ne_u32_e64 s14, 0, v212
	v_ashrrev_i32_e32 v224, 31, v224
	v_lshlrev_b32_e32 v215, 25, v199
	v_ashrrev_i32_e32 v209, 31, v209
	v_lshlrev_b32_e32 v212, 24, v199
	s_wait_alu 0xf1ff
	v_xor_b32_e32 v208, s14, v208
	v_cmp_gt_i32_e64 s14, 0, v210
	v_not_b32_e32 v210, v211
	v_xor_b32_e32 v224, s15, v224
	v_cmp_gt_i32_e64 s15, 0, v211
	v_and_b32_e32 v208, exec_lo, v208
	v_not_b32_e32 v211, v213
	v_ashrrev_i32_e32 v210, 31, v210
	s_wait_alu 0xf1ff
	v_xor_b32_e32 v209, s14, v209
	v_cmp_gt_i32_e64 s14, 0, v213
	v_and_b32_e32 v208, v208, v224
	v_not_b32_e32 v213, v214
	v_ashrrev_i32_e32 v211, 31, v211
	v_xor_b32_e32 v210, s15, v210
	v_cmp_gt_i32_e64 s15, 0, v214
	v_and_b32_e32 v208, v208, v209
	v_not_b32_e32 v209, v215
	v_ashrrev_i32_e32 v213, 31, v213
	s_wait_alu 0xf1ff
	v_xor_b32_e32 v211, s14, v211
	v_cmp_gt_i32_e64 s14, 0, v215
	v_and_b32_e32 v208, v208, v210
	v_not_b32_e32 v210, v212
	v_ashrrev_i32_e32 v209, 31, v209
	v_xor_b32_e32 v213, s15, v213
	v_lshl_add_u32 v199, v199, 3, v46
	v_and_b32_e32 v208, v208, v211
	v_cmp_gt_i32_e64 s15, 0, v212
	v_ashrrev_i32_e32 v210, 31, v210
	s_wait_alu 0xf1ff
	v_xor_b32_e32 v209, s14, v209
	v_lshl_add_u32 v211, v199, 2, v12
	v_and_b32_e32 v208, v208, v213
	v_xor_b32_e32 v210, s15, v210
	ds_load_b32 v199, v211 offset:32
	v_and_b32_e32 v208, v208, v209
	v_add_nc_u32_e32 v209, 32, v211
	; wave barrier
	s_delay_alu instid0(VALU_DEP_2) | instskip(NEXT) | instid1(VALU_DEP_1)
	v_and_b32_e32 v210, v208, v210
	v_mbcnt_lo_u32_b32 v208, v210, 0
	v_cmp_ne_u32_e64 s15, 0, v210
	s_delay_alu instid0(VALU_DEP_2)
	v_cmp_eq_u32_e64 s14, 0, v208
	s_and_b32 s15, s15, s14
	s_wait_alu 0xfffe
	s_and_saveexec_b32 s14, s15
	s_cbranch_execz .LBB1123_83
; %bb.82:                               ;   in Loop: Header=BB1123_53 Depth=1
	s_wait_dscnt 0x0
	v_bcnt_u32_b32 v210, v210, v199
	ds_store_b32 v209, v210
.LBB1123_83:                            ;   in Loop: Header=BB1123_53 Depth=1
	s_wait_alu 0xfffe
	s_or_b32 exec_lo, exec_lo, s14
	v_cmp_ne_u64_e64 s14, s[16:17], v[102:103]
	; wave barrier
	s_wait_alu 0xf1ff
	s_delay_alu instid0(VALU_DEP_1) | instskip(SKIP_1) | instid1(VALU_DEP_1)
	v_cndmask_b32_e64 v211, 0x7fffffff, v103, s14
	v_cndmask_b32_e64 v210, -1, v102, s14
	v_lshrrev_b64 v[210:211], v10, v[210:211]
	s_delay_alu instid0(VALU_DEP_1) | instskip(NEXT) | instid1(VALU_DEP_1)
	v_and_b32_e32 v130, v210, v130
	v_and_b32_e32 v210, 1, v130
	v_lshlrev_b32_e32 v211, 30, v130
	v_lshlrev_b32_e32 v212, 29, v130
	;; [unrolled: 1-line block ×4, first 2 shown]
	v_add_co_u32 v210, s14, v210, -1
	s_wait_alu 0xf1ff
	v_cndmask_b32_e64 v214, 0, 1, s14
	v_not_b32_e32 v226, v211
	v_cmp_gt_i32_e64 s15, 0, v211
	v_not_b32_e32 v211, v212
	v_lshlrev_b32_e32 v224, 26, v130
	v_cmp_ne_u32_e64 s14, 0, v214
	v_ashrrev_i32_e32 v226, 31, v226
	v_lshlrev_b32_e32 v225, 25, v130
	v_ashrrev_i32_e32 v211, 31, v211
	v_lshlrev_b32_e32 v214, 24, v130
	s_wait_alu 0xf1ff
	v_xor_b32_e32 v210, s14, v210
	v_cmp_gt_i32_e64 s14, 0, v212
	v_not_b32_e32 v212, v213
	v_xor_b32_e32 v226, s15, v226
	v_cmp_gt_i32_e64 s15, 0, v213
	v_and_b32_e32 v210, exec_lo, v210
	v_not_b32_e32 v213, v215
	v_ashrrev_i32_e32 v212, 31, v212
	s_wait_alu 0xf1ff
	v_xor_b32_e32 v211, s14, v211
	v_cmp_gt_i32_e64 s14, 0, v215
	v_and_b32_e32 v210, v210, v226
	v_not_b32_e32 v215, v224
	v_ashrrev_i32_e32 v213, 31, v213
	v_xor_b32_e32 v212, s15, v212
	v_cmp_gt_i32_e64 s15, 0, v224
	v_and_b32_e32 v210, v210, v211
	v_not_b32_e32 v211, v225
	v_ashrrev_i32_e32 v215, 31, v215
	s_wait_alu 0xf1ff
	v_xor_b32_e32 v213, s14, v213
	v_cmp_gt_i32_e64 s14, 0, v225
	v_and_b32_e32 v210, v210, v212
	v_not_b32_e32 v212, v214
	v_ashrrev_i32_e32 v211, 31, v211
	v_xor_b32_e32 v215, s15, v215
	v_lshl_add_u32 v130, v130, 3, v46
	v_and_b32_e32 v210, v210, v213
	v_cmp_gt_i32_e64 s15, 0, v214
	v_ashrrev_i32_e32 v212, 31, v212
	s_wait_alu 0xf1ff
	v_xor_b32_e32 v211, s14, v211
	v_lshl_add_u32 v213, v130, 2, v12
	v_and_b32_e32 v210, v210, v215
	v_xor_b32_e32 v212, s15, v212
	ds_load_b32 v130, v213 offset:32
	v_and_b32_e32 v210, v210, v211
	v_add_nc_u32_e32 v211, 32, v213
	; wave barrier
	s_delay_alu instid0(VALU_DEP_2) | instskip(NEXT) | instid1(VALU_DEP_1)
	v_and_b32_e32 v212, v210, v212
	v_mbcnt_lo_u32_b32 v210, v212, 0
	v_cmp_ne_u32_e64 s15, 0, v212
	s_delay_alu instid0(VALU_DEP_2)
	v_cmp_eq_u32_e64 s14, 0, v210
	s_and_b32 s15, s15, s14
	s_wait_alu 0xfffe
	s_and_saveexec_b32 s14, s15
	s_cbranch_execz .LBB1123_85
; %bb.84:                               ;   in Loop: Header=BB1123_53 Depth=1
	s_wait_dscnt 0x0
	v_bcnt_u32_b32 v212, v212, v130
	ds_store_b32 v211, v212
.LBB1123_85:                            ;   in Loop: Header=BB1123_53 Depth=1
	s_wait_alu 0xfffe
	s_or_b32 exec_lo, exec_lo, s14
	; wave barrier
	s_wait_loadcnt_dscnt 0x0
	s_barrier_signal -1
	s_barrier_wait -1
	global_inv scope:SCOPE_SE
	ds_load_b32 v224, v246
	ds_load_b32 v225, v247
	;; [unrolled: 1-line block ×8, first 2 shown]
	s_wait_dscnt 0x6
	v_add_nc_u32_e32 v228, v225, v224
	s_wait_dscnt 0x4
	s_delay_alu instid0(VALU_DEP_1) | instskip(SKIP_1) | instid1(VALU_DEP_1)
	v_add3_u32 v228, v228, v226, v215
	s_wait_dscnt 0x2
	v_add3_u32 v228, v228, v214, v213
	s_wait_dscnt 0x0
	s_delay_alu instid0(VALU_DEP_1) | instskip(NEXT) | instid1(VALU_DEP_1)
	v_add3_u32 v227, v228, v212, v227
	v_mov_b32_dpp v228, v227 row_shr:1 row_mask:0xf bank_mask:0xf
	s_wait_alu 0xfffd
	s_delay_alu instid0(VALU_DEP_1) | instskip(NEXT) | instid1(VALU_DEP_1)
	v_cndmask_b32_e64 v228, v228, 0, vcc_lo
	v_add_nc_u32_e32 v227, v228, v227
	s_delay_alu instid0(VALU_DEP_1) | instskip(NEXT) | instid1(VALU_DEP_1)
	v_mov_b32_dpp v228, v227 row_shr:2 row_mask:0xf bank_mask:0xf
	v_cndmask_b32_e64 v228, 0, v228, s0
	s_delay_alu instid0(VALU_DEP_1) | instskip(NEXT) | instid1(VALU_DEP_1)
	v_add_nc_u32_e32 v227, v227, v228
	v_mov_b32_dpp v228, v227 row_shr:4 row_mask:0xf bank_mask:0xf
	s_delay_alu instid0(VALU_DEP_1) | instskip(NEXT) | instid1(VALU_DEP_1)
	v_cndmask_b32_e64 v228, 0, v228, s1
	v_add_nc_u32_e32 v227, v227, v228
	s_delay_alu instid0(VALU_DEP_1) | instskip(NEXT) | instid1(VALU_DEP_1)
	v_mov_b32_dpp v228, v227 row_shr:8 row_mask:0xf bank_mask:0xf
	v_cndmask_b32_e64 v228, 0, v228, s3
	s_delay_alu instid0(VALU_DEP_1) | instskip(SKIP_3) | instid1(VALU_DEP_1)
	v_add_nc_u32_e32 v227, v227, v228
	ds_swizzle_b32 v228, v227 offset:swizzle(BROADCAST,32,15)
	s_wait_dscnt 0x0
	v_cndmask_b32_e64 v228, v228, 0, s4
	v_add_nc_u32_e32 v227, v227, v228
	s_and_saveexec_b32 s14, s5
; %bb.86:                               ;   in Loop: Header=BB1123_53 Depth=1
	ds_store_b32 v56, v227
; %bb.87:                               ;   in Loop: Header=BB1123_53 Depth=1
	s_wait_alu 0xfffe
	s_or_b32 exec_lo, exec_lo, s14
	s_wait_loadcnt_dscnt 0x0
	s_barrier_signal -1
	s_barrier_wait -1
	global_inv scope:SCOPE_SE
	s_and_saveexec_b32 s14, s6
	s_cbranch_execz .LBB1123_89
; %bb.88:                               ;   in Loop: Header=BB1123_53 Depth=1
	ds_load_b32 v228, v57
	s_wait_dscnt 0x0
	v_mov_b32_dpp v229, v228 row_shr:1 row_mask:0xf bank_mask:0xf
	s_delay_alu instid0(VALU_DEP_1) | instskip(NEXT) | instid1(VALU_DEP_1)
	v_cndmask_b32_e64 v229, v229, 0, s11
	v_add_nc_u32_e32 v228, v229, v228
	s_delay_alu instid0(VALU_DEP_1) | instskip(NEXT) | instid1(VALU_DEP_1)
	v_mov_b32_dpp v229, v228 row_shr:2 row_mask:0xf bank_mask:0xf
	v_cndmask_b32_e64 v229, 0, v229, s12
	s_delay_alu instid0(VALU_DEP_1) | instskip(NEXT) | instid1(VALU_DEP_1)
	v_add_nc_u32_e32 v228, v228, v229
	v_mov_b32_dpp v229, v228 row_shr:4 row_mask:0xf bank_mask:0xf
	s_delay_alu instid0(VALU_DEP_1) | instskip(NEXT) | instid1(VALU_DEP_1)
	v_cndmask_b32_e64 v229, 0, v229, s13
	v_add_nc_u32_e32 v228, v228, v229
	ds_store_b32 v57, v228
.LBB1123_89:                            ;   in Loop: Header=BB1123_53 Depth=1
	s_wait_alu 0xfffe
	s_or_b32 exec_lo, exec_lo, s14
	v_mov_b32_e32 v228, 0
	s_wait_loadcnt_dscnt 0x0
	s_barrier_signal -1
	s_barrier_wait -1
	global_inv scope:SCOPE_SE
	s_and_saveexec_b32 s14, s7
; %bb.90:                               ;   in Loop: Header=BB1123_53 Depth=1
	ds_load_b32 v228, v59
; %bb.91:                               ;   in Loop: Header=BB1123_53 Depth=1
	s_wait_alu 0xfffe
	s_or_b32 exec_lo, exec_lo, s14
	s_wait_dscnt 0x0
	v_add_nc_u32_e32 v227, v228, v227
	v_dual_mov_b32 v229, v1 :: v_dual_add_nc_u32 v10, 8, v10
	s_mov_b32 s22, -1
	v_mov_b32_e32 v231, v1
	ds_bpermute_b32 v227, v47, v227
	v_cmp_lt_u32_e64 s14, v10, v11
	v_mov_b32_e32 v241, v1
	s_wait_dscnt 0x0
	v_cndmask_b32_e64 v227, v227, v228, s2
	s_delay_alu instid0(VALU_DEP_1) | instskip(NEXT) | instid1(VALU_DEP_1)
	v_cndmask_b32_e64 v228, v227, 0, s10
	v_dual_mov_b32 v227, v1 :: v_dual_add_nc_u32 v224, v228, v224
	s_delay_alu instid0(VALU_DEP_1) | instskip(NEXT) | instid1(VALU_DEP_1)
	v_dual_mov_b32 v225, v1 :: v_dual_add_nc_u32 v230, v224, v225
	v_add_nc_u32_e32 v226, v230, v226
	s_delay_alu instid0(VALU_DEP_1) | instskip(SKIP_4) | instid1(VALU_DEP_1)
	v_dual_mov_b32 v215, v1 :: v_dual_add_nc_u32 v240, v226, v215
	ds_store_b32 v246, v228
	ds_store_b32 v247, v224
	;; [unrolled: 1-line block ×3, first 2 shown]
	v_dual_mov_b32 v243, v1 :: v_dual_add_nc_u32 v214, v240, v214
	v_dual_mov_b32 v245, v1 :: v_dual_add_nc_u32 v242, v214, v213
	s_delay_alu instid0(VALU_DEP_1)
	v_dual_mov_b32 v213, v1 :: v_dual_add_nc_u32 v212, v242, v212
	ds_store_b32 v41, v226
	ds_store_b32 v42, v240
	;; [unrolled: 1-line block ×5, first 2 shown]
	s_wait_loadcnt_dscnt 0x0
	s_barrier_signal -1
	s_barrier_wait -1
	global_inv scope:SCOPE_SE
	ds_load_b32 v117, v117
	ds_load_b32 v212, v129
	;; [unrolled: 1-line block ×16, first 2 shown]
	v_mov_b32_e32 v129, v1
	v_mov_b32_e32 v133, v1
	;; [unrolled: 1-line block ×3, first 2 shown]
	s_wait_loadcnt_dscnt 0x0
	v_add_nc_u32_e32 v0, v117, v0
	v_add3_u32 v214, v128, v118, v212
	v_add3_u32 v224, v132, v131, v224
	;; [unrolled: 1-line block ×8, first 2 shown]
	v_lshlrev_b64_e32 v[144:145], 3, v[0:1]
	v_add3_u32 v128, v180, v179, v181
	v_add3_u32 v132, v183, v182, v192
	;; [unrolled: 1-line block ×5, first 2 shown]
	v_lshlrev_b64_e32 v[128:129], 3, v[128:129]
	v_add3_u32 v134, v210, v130, v211
	v_lshlrev_b64_e32 v[129:130], 3, v[132:133]
	v_mov_b32_e32 v132, v1
	v_add3_u32 v117, v197, v196, v198
	v_lshlrev_b64_e32 v[160:161], 3, v[228:229]
	v_dual_mov_b32 v118, v1 :: v_dual_mov_b32 v135, v1
	v_lshlrev_b64_e32 v[161:162], 3, v[230:231]
	v_lshlrev_b64_e32 v[162:163], 3, v[240:241]
	;; [unrolled: 1-line block ×6, first 2 shown]
	v_add_co_u32 v109, null, v12, v128
	v_add_co_u32 v110, null, v12, v129
	v_lshlrev_b64_e32 v[128:129], 3, v[131:132]
	v_lshlrev_b64_e32 v[150:151], 3, v[226:227]
	;; [unrolled: 1-line block ×3, first 2 shown]
	v_add_co_u32 v0, null, v12, v144
	v_lshlrev_b64_e32 v[144:145], 3, v[146:147]
	v_lshlrev_b64_e32 v[117:118], 3, v[117:118]
	;; [unrolled: 1-line block ×3, first 2 shown]
	v_add_co_u32 v92, null, v12, v148
	v_add_co_u32 v93, null, v12, v149
	;; [unrolled: 1-line block ×13, first 2 shown]
                                        ; implicit-def: $vgpr117_vgpr118
                                        ; implicit-def: $vgpr130_vgpr131
                                        ; implicit-def: $vgpr134_vgpr135
                                        ; implicit-def: $vgpr128_vgpr129
                                        ; implicit-def: $vgpr132_vgpr133
                                        ; implicit-def: $vgpr144_vgpr145
                                        ; implicit-def: $vgpr146_vgpr147
                                        ; implicit-def: $vgpr148_vgpr149
                                        ; implicit-def: $vgpr150_vgpr151
                                        ; implicit-def: $vgpr160_vgpr161
                                        ; implicit-def: $vgpr162_vgpr163
                                        ; implicit-def: $vgpr164_vgpr165
                                        ; implicit-def: $vgpr166_vgpr167
                                        ; implicit-def: $vgpr176_vgpr177
                                        ; implicit-def: $vgpr178_vgpr179
                                        ; implicit-def: $vgpr192_vgpr193
                                        ; implicit-def: $vgpr198_vgpr199
                                        ; implicit-def: $vgpr180_vgpr181
                                        ; implicit-def: $vgpr182_vgpr183
                                        ; implicit-def: $vgpr194_vgpr195
                                        ; implicit-def: $vgpr196_vgpr197
                                        ; implicit-def: $vgpr208_vgpr209
                                        ; implicit-def: $vgpr210_vgpr211
                                        ; implicit-def: $vgpr212_vgpr213
                                        ; implicit-def: $vgpr214_vgpr215
                                        ; implicit-def: $vgpr226_vgpr227
                                        ; implicit-def: $vgpr224_vgpr225
                                        ; implicit-def: $vgpr228_vgpr229
                                        ; implicit-def: $vgpr230_vgpr231
                                        ; implicit-def: $vgpr240_vgpr241
                                        ; implicit-def: $vgpr242_vgpr243
                                        ; implicit-def: $vgpr244_vgpr245
	s_and_saveexec_b32 s15, s14
	s_cbranch_execz .LBB1123_52
; %bb.92:                               ;   in Loop: Header=BB1123_53 Depth=1
	s_barrier_signal -1
	s_barrier_wait -1
	global_inv scope:SCOPE_SE
	ds_store_b64 v0, v[36:37]
	ds_store_b64 v92, v[38:39]
	;; [unrolled: 1-line block ×16, first 2 shown]
	s_wait_loadcnt_dscnt 0x0
	s_barrier_signal -1
	s_barrier_wait -1
	global_inv scope:SCOPE_SE
	ds_load_b64 v[198:199], v58
	ds_load_b64 v[180:181], v60
	;; [unrolled: 1-line block ×16, first 2 shown]
	s_wait_loadcnt_dscnt 0x0
	s_barrier_signal -1
	s_barrier_wait -1
	global_inv scope:SCOPE_SE
	ds_store_b64 v0, v[13:14]
	ds_store_b64 v92, v[8:9]
	;; [unrolled: 1-line block ×16, first 2 shown]
	s_wait_loadcnt_dscnt 0x0
	s_barrier_signal -1
	s_barrier_wait -1
	global_inv scope:SCOPE_SE
	ds_load_b64 v[117:118], v58
	ds_load_b64 v[130:131], v60
	;; [unrolled: 1-line block ×16, first 2 shown]
	v_add_nc_u32_e32 v91, -8, v91
	s_xor_b32 s22, exec_lo, -1
	s_wait_loadcnt_dscnt 0x0
	s_barrier_signal -1
	s_barrier_wait -1
	global_inv scope:SCOPE_SE
	s_branch .LBB1123_52
.LBB1123_93:
	s_or_b32 exec_lo, exec_lo, s21
	v_lshl_add_u32 v1, v21, 3, v12
	s_barrier_signal -1
	s_barrier_wait -1
	s_wait_loadcnt 0x0
	global_inv scope:SCOPE_SE
	ds_store_b64 v0, v[36:37]
	ds_store_b64 v92, v[38:39]
	;; [unrolled: 1-line block ×16, first 2 shown]
	s_wait_loadcnt_dscnt 0x0
	s_barrier_signal -1
	s_barrier_wait -1
	global_inv scope:SCOPE_SE
	ds_load_2addr_stride64_b64 v[100:103], v1 offset1:4
	ds_load_2addr_stride64_b64 v[96:99], v1 offset0:8 offset1:12
	ds_load_2addr_stride64_b64 v[84:87], v1 offset0:16 offset1:20
	;; [unrolled: 1-line block ×7, first 2 shown]
	s_wait_loadcnt_dscnt 0x0
	s_barrier_signal -1
	s_barrier_wait -1
	global_inv scope:SCOPE_SE
	ds_store_b64 v0, v[13:14]
	ds_store_b64 v92, v[8:9]
	;; [unrolled: 1-line block ×16, first 2 shown]
	s_wait_loadcnt_dscnt 0x0
	s_barrier_signal -1
	s_barrier_wait -1
	global_inv scope:SCOPE_SE
	ds_load_2addr_stride64_b64 v[48:51], v1 offset1:4
	ds_load_2addr_stride64_b64 v[32:35], v1 offset0:8 offset1:12
	ds_load_2addr_stride64_b64 v[28:31], v1 offset0:16 offset1:20
	;; [unrolled: 1-line block ×7, first 2 shown]
	v_mov_b32_e32 v115, 0
	v_add_co_u32 v2, vcc_lo, v2, v112
	s_wait_alu 0xfffd
	v_add_co_ci_u32_e64 v3, null, v3, v113, vcc_lo
	s_delay_alu instid0(VALU_DEP_3)
	v_lshlrev_b64_e32 v[0:1], 3, v[114:115]
	s_wait_loadcnt_dscnt 0x0
	s_barrier_signal -1
	s_barrier_wait -1
	global_inv scope:SCOPE_SE
	v_add_co_u32 v2, vcc_lo, v2, v0
	s_wait_alu 0xfffd
	v_add_co_ci_u32_e64 v3, null, v3, v1, vcc_lo
	v_cmp_lt_u32_e32 vcc_lo, v114, v119
	s_and_saveexec_b32 s1, vcc_lo
	s_cbranch_execz .LBB1123_95
; %bb.94:
	v_cmp_gt_i64_e64 s0, 0, v[100:101]
	v_ashrrev_i32_e32 v4, 31, v101
	s_delay_alu instid0(VALU_DEP_1) | instskip(SKIP_1) | instid1(VALU_DEP_3)
	v_not_b32_e32 v4, v4
	s_wait_alu 0xf1ff
	v_cndmask_b32_e64 v5, 0x7fffffff, 0, s0
	s_delay_alu instid0(VALU_DEP_2) | instskip(NEXT) | instid1(VALU_DEP_2)
	v_xor_b32_e32 v4, v4, v100
	v_xor_b32_e32 v5, v5, v101
	flat_store_b64 v[2:3], v[4:5]
.LBB1123_95:
	s_wait_alu 0xfffe
	s_or_b32 exec_lo, exec_lo, s1
	v_add_nc_u32_e32 v4, 0x100, v114
	s_delay_alu instid0(VALU_DEP_1)
	v_cmp_lt_u32_e64 s0, v4, v119
	s_and_saveexec_b32 s2, s0
	s_cbranch_execz .LBB1123_97
; %bb.96:
	v_cmp_gt_i64_e64 s1, 0, v[102:103]
	v_ashrrev_i32_e32 v4, 31, v103
	s_delay_alu instid0(VALU_DEP_1) | instskip(SKIP_1) | instid1(VALU_DEP_3)
	v_not_b32_e32 v4, v4
	s_wait_alu 0xf1ff
	v_cndmask_b32_e64 v5, 0x7fffffff, 0, s1
	s_delay_alu instid0(VALU_DEP_2) | instskip(NEXT) | instid1(VALU_DEP_2)
	v_xor_b32_e32 v4, v4, v102
	v_xor_b32_e32 v5, v5, v103
	flat_store_b64 v[2:3], v[4:5] offset:2048
.LBB1123_97:
	s_wait_alu 0xfffe
	s_or_b32 exec_lo, exec_lo, s2
	v_add_nc_u32_e32 v4, 0x200, v114
	s_delay_alu instid0(VALU_DEP_1)
	v_cmp_lt_u32_e64 s1, v4, v119
	s_and_saveexec_b32 s3, s1
	s_cbranch_execz .LBB1123_99
; %bb.98:
	v_cmp_gt_i64_e64 s2, 0, v[96:97]
	v_ashrrev_i32_e32 v4, 31, v97
	s_delay_alu instid0(VALU_DEP_1) | instskip(SKIP_1) | instid1(VALU_DEP_3)
	v_not_b32_e32 v4, v4
	s_wait_alu 0xf1ff
	v_cndmask_b32_e64 v5, 0x7fffffff, 0, s2
	s_delay_alu instid0(VALU_DEP_2) | instskip(NEXT) | instid1(VALU_DEP_2)
	v_xor_b32_e32 v4, v4, v96
	v_xor_b32_e32 v5, v5, v97
	flat_store_b64 v[2:3], v[4:5] offset:4096
.LBB1123_99:
	;; [unrolled: 19-line block ×15, first 2 shown]
	s_wait_alu 0xfffe
	s_or_b32 exec_lo, exec_lo, s20
	v_add_co_u32 v2, s17, v6, v112
	s_wait_alu 0xf1ff
	v_add_co_ci_u32_e64 v3, null, v7, v113, s17
	s_delay_alu instid0(VALU_DEP_2) | instskip(SKIP_1) | instid1(VALU_DEP_2)
	v_add_co_u32 v0, s17, v2, v0
	s_wait_alu 0xf1ff
	v_add_co_ci_u32_e64 v1, null, v3, v1, s17
	s_and_saveexec_b32 s17, vcc_lo
	s_cbranch_execnz .LBB1123_211
; %bb.126:
	s_wait_alu 0xfffe
	s_or_b32 exec_lo, exec_lo, s17
	s_and_saveexec_b32 s17, s0
	s_cbranch_execnz .LBB1123_212
.LBB1123_127:
	s_wait_alu 0xfffe
	s_or_b32 exec_lo, exec_lo, s17
	s_and_saveexec_b32 s0, s1
	s_cbranch_execnz .LBB1123_213
.LBB1123_128:
	s_wait_alu 0xfffe
	s_or_b32 exec_lo, exec_lo, s0
	s_and_saveexec_b32 s0, s2
	s_cbranch_execnz .LBB1123_214
.LBB1123_129:
	s_wait_alu 0xfffe
	s_or_b32 exec_lo, exec_lo, s0
	s_and_saveexec_b32 s0, s3
	s_cbranch_execnz .LBB1123_215
.LBB1123_130:
	s_wait_alu 0xfffe
	s_or_b32 exec_lo, exec_lo, s0
	s_and_saveexec_b32 s0, s4
	s_cbranch_execnz .LBB1123_216
.LBB1123_131:
	s_wait_alu 0xfffe
	s_or_b32 exec_lo, exec_lo, s0
	s_and_saveexec_b32 s0, s5
	s_cbranch_execnz .LBB1123_217
.LBB1123_132:
	s_wait_alu 0xfffe
	s_or_b32 exec_lo, exec_lo, s0
	s_and_saveexec_b32 s0, s6
	s_cbranch_execnz .LBB1123_218
.LBB1123_133:
	s_wait_alu 0xfffe
	s_or_b32 exec_lo, exec_lo, s0
	s_and_saveexec_b32 s0, s7
	s_cbranch_execnz .LBB1123_219
.LBB1123_134:
	s_wait_alu 0xfffe
	s_or_b32 exec_lo, exec_lo, s0
	s_and_saveexec_b32 s0, s10
	s_cbranch_execnz .LBB1123_220
.LBB1123_135:
	s_wait_alu 0xfffe
	s_or_b32 exec_lo, exec_lo, s0
	s_and_saveexec_b32 s0, s11
	s_cbranch_execnz .LBB1123_221
.LBB1123_136:
	s_wait_alu 0xfffe
	s_or_b32 exec_lo, exec_lo, s0
	s_and_saveexec_b32 s0, s12
	s_cbranch_execnz .LBB1123_222
.LBB1123_137:
	s_wait_alu 0xfffe
	s_or_b32 exec_lo, exec_lo, s0
	s_and_saveexec_b32 s0, s13
	s_cbranch_execnz .LBB1123_223
.LBB1123_138:
	s_wait_alu 0xfffe
	s_or_b32 exec_lo, exec_lo, s0
	s_and_saveexec_b32 s0, s14
	s_cbranch_execnz .LBB1123_224
.LBB1123_139:
	s_wait_alu 0xfffe
	s_or_b32 exec_lo, exec_lo, s0
	s_and_saveexec_b32 s0, s15
	s_cbranch_execnz .LBB1123_225
.LBB1123_140:
	s_wait_alu 0xfffe
	s_or_b32 exec_lo, exec_lo, s0
	s_and_saveexec_b32 s0, s16
	s_cbranch_execz .LBB1123_142
.LBB1123_141:
	flat_store_b64 v[0:1], v[10:11] offset:30720
.LBB1123_142:
	s_wait_alu 0xfffe
	s_or_b32 exec_lo, exec_lo, s0
                                        ; implicit-def: $vgpr119
                                        ; implicit-def: $vgpr0
                                        ; implicit-def: $vgpr1
                                        ; implicit-def: $vgpr2
                                        ; implicit-def: $vgpr3
                                        ; implicit-def: $vgpr4
                                        ; implicit-def: $vgpr5
                                        ; implicit-def: $vgpr6
                                        ; implicit-def: $vgpr7
                                        ; implicit-def: $vgpr8
                                        ; implicit-def: $vgpr10
                                        ; implicit-def: $vgpr11
                                        ; implicit-def: $vgpr12
                                        ; implicit-def: $vgpr9
                                        ; implicit-def: $vgpr13
                                        ; implicit-def: $vgpr21
                                        ; implicit-def: $vgpr54
.LBB1123_143:
	s_wait_alu 0xfffe
	s_and_not1_saveexec_b32 s0, s19
	s_cbranch_execz .LBB1123_372
; %bb.144:
	s_mov_b32 s0, exec_lo
	v_cmpx_lt_u32_e32 0x400, v119
	s_wait_alu 0xfffe
	s_xor_b32 s19, exec_lo, s0
	s_cbranch_execz .LBB1123_252
; %bb.145:
	s_load_b64 s[0:1], s[8:9], 0x0
	s_and_b32 s2, ttmp7, 0xffff
	s_mov_b32 s3, 0
	v_lshlrev_b32_e32 v30, 3, v54
	s_wait_kmcnt 0x0
	s_wait_alu 0xfffe
	s_cmp_lt_u32 s2, s1
	s_cselect_b32 s2, 14, 20
	s_cmp_lt_u32 ttmp9, s0
	s_wait_alu 0xfffe
	s_add_nc_u64 s[4:5], s[8:9], s[2:3]
	s_cselect_b32 s2, 12, 18
	s_load_u16 s4, s[4:5], 0x0
	s_add_nc_u64 s[0:1], s[8:9], s[2:3]
	s_load_u16 s0, s[0:1], 0x0
	s_wait_kmcnt 0x0
	v_mad_u32_u24 v9, v13, s4, v9
	v_mov_b32_e32 v13, -1
	v_mov_b32_e32 v14, -1
	s_delay_alu instid0(VALU_DEP_3) | instskip(SKIP_1) | instid1(VALU_DEP_1)
	v_mad_co_u64_u32 v[50:51], null, v9, s0, v[21:22]
	v_mov_b32_e32 v9, 0
	v_lshlrev_b64_e32 v[48:49], 3, v[8:9]
	s_delay_alu instid0(VALU_DEP_3) | instskip(SKIP_2) | instid1(VALU_DEP_4)
	v_lshlrev_b32_e32 v17, 3, v50
	v_mov_b32_e32 v15, -1
	v_mov_b32_e32 v16, -1
	v_add_co_u32 v0, vcc_lo, v0, v48
	s_delay_alu instid0(VALU_DEP_4) | instskip(SKIP_2) | instid1(VALU_DEP_3)
	v_and_b32_e32 v8, 0xffffff00, v17
	s_wait_alu 0xfffd
	v_add_co_ci_u32_e64 v1, null, v1, v49, vcc_lo
	v_add_co_u32 v0, vcc_lo, v0, v30
	s_delay_alu instid0(VALU_DEP_3) | instskip(SKIP_1) | instid1(VALU_DEP_3)
	v_lshlrev_b64_e32 v[26:27], 3, v[8:9]
	s_wait_alu 0xfffd
	v_add_co_ci_u32_e64 v1, null, 0, v1, vcc_lo
	v_or_b32_e32 v31, v8, v54
	s_delay_alu instid0(VALU_DEP_3) | instskip(SKIP_1) | instid1(VALU_DEP_3)
	v_add_co_u32 v28, vcc_lo, v0, v26
	s_wait_alu 0xfffd
	v_add_co_ci_u32_e64 v29, null, v1, v27, vcc_lo
	s_delay_alu instid0(VALU_DEP_3)
	v_cmp_lt_u32_e32 vcc_lo, v31, v119
	s_and_saveexec_b32 s0, vcc_lo
	s_cbranch_execz .LBB1123_147
; %bb.146:
	flat_load_b64 v[15:16], v[28:29]
.LBB1123_147:
	s_wait_alu 0xfffe
	s_or_b32 exec_lo, exec_lo, s0
	v_or_b32_e32 v0, 32, v31
	s_delay_alu instid0(VALU_DEP_1)
	v_cmp_lt_u32_e64 s0, v0, v119
	s_and_saveexec_b32 s1, s0
	s_cbranch_execz .LBB1123_149
; %bb.148:
	flat_load_b64 v[13:14], v[28:29] offset:256
.LBB1123_149:
	s_wait_alu 0xfffe
	s_or_b32 exec_lo, exec_lo, s1
	v_or_b32_e32 v8, 64, v31
	v_mov_b32_e32 v0, -1
	v_dual_mov_b32 v1, -1 :: v_dual_mov_b32 v22, -1
	v_mov_b32_e32 v23, -1
	s_delay_alu instid0(VALU_DEP_4)
	v_cmp_lt_u32_e64 s1, v8, v119
	s_and_saveexec_b32 s2, s1
	s_cbranch_execz .LBB1123_151
; %bb.150:
	flat_load_b64 v[22:23], v[28:29] offset:512
.LBB1123_151:
	s_wait_alu 0xfffe
	s_or_b32 exec_lo, exec_lo, s2
	v_or_b32_e32 v8, 0x60, v31
	s_delay_alu instid0(VALU_DEP_1)
	v_cmp_lt_u32_e64 s2, v8, v119
	s_and_saveexec_b32 s3, s2
	s_cbranch_execz .LBB1123_153
; %bb.152:
	flat_load_b64 v[0:1], v[28:29] offset:768
.LBB1123_153:
	s_wait_alu 0xfffe
	s_or_b32 exec_lo, exec_lo, s3
	v_or_b32_e32 v17, 0x80, v31
	v_mov_b32_e32 v8, -1
	v_dual_mov_b32 v9, -1 :: v_dual_mov_b32 v24, -1
	v_mov_b32_e32 v25, -1
	s_delay_alu instid0(VALU_DEP_4)
	v_cmp_lt_u32_e64 s3, v17, v119
	s_and_saveexec_b32 s4, s3
	s_cbranch_execz .LBB1123_155
; %bb.154:
	flat_load_b64 v[24:25], v[28:29] offset:1024
.LBB1123_155:
	;; [unrolled: 23-line block ×3, first 2 shown]
	s_wait_alu 0xfffe
	s_or_b32 exec_lo, exec_lo, s6
	v_or_b32_e32 v31, 0xe0, v31
	s_delay_alu instid0(VALU_DEP_1)
	v_cmp_lt_u32_e64 s6, v31, v119
	s_and_saveexec_b32 s7, s6
	s_cbranch_execz .LBB1123_161
; %bb.160:
	flat_load_b64 v[17:18], v[28:29] offset:1792
.LBB1123_161:
	s_wait_alu 0xfffe
	s_or_b32 exec_lo, exec_lo, s7
	v_add_co_u32 v4, s7, v4, v48
	s_wait_alu 0xf1ff
	v_add_co_ci_u32_e64 v5, null, v5, v49, s7
                                        ; implicit-def: $vgpr38_vgpr39
	s_delay_alu instid0(VALU_DEP_2) | instskip(SKIP_1) | instid1(VALU_DEP_2)
	v_add_co_u32 v4, s7, v4, v30
	s_wait_alu 0xf1ff
	v_add_co_ci_u32_e64 v5, null, 0, v5, s7
	s_delay_alu instid0(VALU_DEP_2) | instskip(SKIP_1) | instid1(VALU_DEP_2)
	v_add_co_u32 v4, s7, v4, v26
	s_wait_alu 0xf1ff
	v_add_co_ci_u32_e64 v5, null, v5, v27, s7
	s_and_saveexec_b32 s7, vcc_lo
	s_cbranch_execnz .LBB1123_285
; %bb.162:
	s_wait_alu 0xfffe
	s_or_b32 exec_lo, exec_lo, s7
                                        ; implicit-def: $vgpr64_vgpr65
	s_and_saveexec_b32 s7, s0
	s_cbranch_execnz .LBB1123_286
.LBB1123_163:
	s_wait_alu 0xfffe
	s_or_b32 exec_lo, exec_lo, s7
                                        ; implicit-def: $vgpr66_vgpr67
	s_and_saveexec_b32 s0, s1
	s_cbranch_execnz .LBB1123_287
.LBB1123_164:
	s_wait_alu 0xfffe
	s_or_b32 exec_lo, exec_lo, s0
                                        ; implicit-def: $vgpr68_vgpr69
	s_and_saveexec_b32 s0, s2
	s_cbranch_execnz .LBB1123_288
.LBB1123_165:
	s_wait_alu 0xfffe
	s_or_b32 exec_lo, exec_lo, s0
                                        ; implicit-def: $vgpr70_vgpr71
	s_and_saveexec_b32 s0, s3
	s_cbranch_execnz .LBB1123_289
.LBB1123_166:
	s_wait_alu 0xfffe
	s_or_b32 exec_lo, exec_lo, s0
                                        ; implicit-def: $vgpr80_vgpr81
	s_and_saveexec_b32 s0, s4
	s_cbranch_execnz .LBB1123_290
.LBB1123_167:
	s_wait_alu 0xfffe
	s_or_b32 exec_lo, exec_lo, s0
                                        ; implicit-def: $vgpr82_vgpr83
	s_and_saveexec_b32 s0, s5
	s_cbranch_execnz .LBB1123_291
.LBB1123_168:
	s_wait_alu 0xfffe
	s_or_b32 exec_lo, exec_lo, s0
                                        ; implicit-def: $vgpr84_vgpr85
	s_and_saveexec_b32 s0, s6
	s_cbranch_execz .LBB1123_170
.LBB1123_169:
	flat_load_b64 v[84:85], v[4:5] offset:1792
.LBB1123_170:
	s_wait_alu 0xfffe
	s_or_b32 exec_lo, exec_lo, s0
	s_wait_loadcnt_dscnt 0x0
	v_cmp_gt_i64_e32 vcc_lo, 0, v[15:16]
	v_ashrrev_i32_e32 v4, 31, v16
	v_ashrrev_i32_e32 v26, 31, v14
	s_getpc_b64 s[0:1]
	s_wait_alu 0xfffe
	s_sext_i32_i16 s1, s1
	s_add_co_u32 s0, s0, _ZN7rocprim17ROCPRIM_400000_NS16block_radix_sortIdLj256ELj8ElLj1ELj1ELj8ELNS0_26block_radix_rank_algorithmE2ELNS0_18block_padding_hintE2ELNS0_4arch9wavefront6targetE0EE19radix_bits_per_passE@rel32@lo+12
	s_wait_alu 0xfffe
	s_add_co_ci_u32 s1, s1, _ZN7rocprim17ROCPRIM_400000_NS16block_radix_sortIdLj256ELj8ElLj1ELj1ELj8ELNS0_26block_radix_rank_algorithmE2ELNS0_18block_padding_hintE2ELNS0_4arch9wavefront6targetE0EE19radix_bits_per_passE@rel32@hi+24
	v_lshrrev_b32_e32 v134, 5, v50
	s_load_b32 s20, s[0:1], 0x0
	v_cndmask_b32_e64 v5, 0x7fffffff, 0, vcc_lo
	v_cmp_gt_i64_e32 vcc_lo, 0, v[13:14]
	v_not_b32_e32 v4, v4
	v_not_b32_e32 v26, v26
	v_cmp_gt_u32_e64 s6, 8, v21
	v_xor_b32_e32 v101, v5, v16
	v_ashrrev_i32_e32 v16, 31, v23
	s_wait_alu 0xfffd
	v_cndmask_b32_e64 v5, 0x7fffffff, 0, vcc_lo
	v_cmp_gt_i64_e32 vcc_lo, 0, v[22:23]
	v_xor_b32_e32 v100, v4, v15
	v_xor_b32_e32 v96, v26, v13
	v_not_b32_e32 v4, v16
	v_xor_b32_e32 v97, v5, v14
	v_ashrrev_i32_e32 v5, 31, v1
	s_wait_alu 0xfffd
	v_cndmask_b32_e64 v27, 0x7fffffff, 0, vcc_lo
	v_cmp_gt_i64_e32 vcc_lo, 0, v[0:1]
	v_xor_b32_e32 v98, v4, v22
	v_ashrrev_i32_e32 v4, 31, v25
	v_not_b32_e32 v5, v5
	v_xor_b32_e32 v99, v27, v23
	v_cmp_lt_u32_e64 s7, 31, v21
	s_wait_alu 0xfffd
	v_cndmask_b32_e64 v13, 0x7fffffff, 0, vcc_lo
	v_cmp_gt_i64_e32 vcc_lo, 0, v[24:25]
	v_not_b32_e32 v4, v4
	v_xor_b32_e32 v102, v5, v0
	v_ashrrev_i32_e32 v0, 31, v9
	v_xor_b32_e32 v103, v13, v1
	v_cmp_eq_u32_e64 s10, 0, v21
	s_wait_alu 0xfffd
	v_cndmask_b32_e64 v14, 0x7fffffff, 0, vcc_lo
	v_cmp_gt_i64_e32 vcc_lo, 0, v[8:9]
	v_xor_b32_e32 v112, v4, v24
	v_ashrrev_i32_e32 v4, 31, v20
	v_not_b32_e32 v0, v0
	v_xor_b32_e32 v113, v14, v25
	v_lshl_add_u32 v145, v21, 2, v12
	s_wait_alu 0xfffd
	v_cndmask_b32_e64 v1, 0x7fffffff, 0, vcc_lo
	v_cmp_gt_i64_e32 vcc_lo, 0, v[19:20]
	v_xor_b32_e32 v114, v0, v8
	v_ashrrev_i32_e32 v0, 31, v18
	v_sub_co_u32 v8, s2, v54, 1
	v_xor_b32_e32 v115, v1, v9
	v_not_b32_e32 v1, v4
	s_wait_alu 0xfffd
	v_cndmask_b32_e64 v5, 0x7fffffff, 0, vcc_lo
	v_cmp_gt_i64_e32 vcc_lo, 0, v[17:18]
	v_not_b32_e32 v0, v0
	v_cmp_gt_i32_e64 s5, 0, v8
	v_xor_b32_e32 v116, v1, v19
	v_lshl_add_u32 v1, v21, 5, v12
	v_xor_b32_e32 v117, v5, v20
	s_wait_alu 0xfffd
	v_cndmask_b32_e64 v4, 0x7fffffff, 0, vcc_lo
	v_and_b32_e32 v5, 16, v54
	v_xor_b32_e32 v86, v0, v17
	v_add_nc_u32_e32 v55, 32, v1
	v_add_nc_u32_e32 v118, 36, v1
	;; [unrolled: 1-line block ×8, first 2 shown]
	v_and_b32_e32 v1, 0x3e0, v21
	v_xor_b32_e32 v87, v4, v18
	v_and_b32_e32 v4, 15, v54
	v_lshlrev_b32_e32 v0, 3, v21
	v_cmp_eq_u32_e64 s4, 0, v5
	v_min_u32_e32 v1, 0xe0, v1
	s_wait_alu 0xf1ff
	v_cndmask_b32_e64 v5, v8, v54, s5
	v_cmp_eq_u32_e32 vcc_lo, 0, v4
	v_cmp_lt_u32_e64 s0, 1, v4
	v_cmp_lt_u32_e64 s1, 3, v4
	v_cmp_lt_u32_e64 s3, 7, v4
	v_or_b32_e32 v1, 31, v1
	v_lshrrev_b32_e32 v4, 3, v21
	v_lshlrev_b32_e32 v135, 2, v5
	v_sub_nc_u32_e32 v163, v11, v10
	s_mov_b32 s16, 0
	v_cmp_eq_u32_e64 s5, v21, v1
	v_and_b32_e32 v1, 0x7c, v4
	v_and_b32_e32 v4, 7, v54
	s_brev_b32 s17, 1
	s_wait_alu 0xfffe
	s_mov_b32 s21, s16
	s_wait_storecnt 0x0
	v_dual_mov_b32 v1, 0 :: v_dual_add_nc_u32 v144, v12, v1
	v_and_or_b32 v0, 0x1f00, v0, v54
	v_cmp_eq_u32_e64 s11, 0, v4
	v_cmp_lt_u32_e64 s12, 1, v4
	v_cmp_lt_u32_e64 s13, 3, v4
	v_add_nc_u32_e32 v147, -4, v144
	v_lshl_add_u32 v146, v0, 3, v12
	s_barrier_signal -1
	s_barrier_wait -1
	global_inv scope:SCOPE_SE
	v_add_nc_u32_e32 v148, 0x100, v146
	v_add_nc_u32_e32 v149, 0x200, v146
	;; [unrolled: 1-line block ×7, first 2 shown]
	s_branch .LBB1123_172
.LBB1123_171:                           ;   in Loop: Header=BB1123_172 Depth=1
	s_wait_alu 0xfffe
	s_or_b32 exec_lo, exec_lo, s15
	s_delay_alu instid0(SALU_CYCLE_1)
	s_and_b32 s14, exec_lo, s22
	s_wait_alu 0xfffe
	s_or_b32 s21, s14, s21
	s_wait_alu 0xfffe
	s_and_not1_b32 exec_lo, exec_lo, s21
	s_cbranch_execz .LBB1123_226
.LBB1123_172:                           ; =>This Inner Loop Header: Depth=1
	v_dual_mov_b32 v22, v100 :: v_dual_mov_b32 v23, v101
	s_wait_kmcnt 0x0
	v_min_u32_e32 v0, s20, v163
	v_dual_mov_b32 v13, v64 :: v_dual_mov_b32 v14, v65
	v_mov_b32_e32 v34, v102
	v_cmp_ne_u64_e64 s14, s[16:17], v[22:23]
	s_delay_alu instid0(VALU_DEP_4) | instskip(SKIP_3) | instid1(VALU_DEP_4)
	v_lshlrev_b32_e64 v0, v0, -1
	v_dual_mov_b32 v4, v38 :: v_dual_mov_b32 v5, v39
	v_dual_mov_b32 v19, v68 :: v_dual_mov_b32 v20, v69
	s_wait_alu 0xf1ff
	v_cndmask_b32_e64 v25, 0x7fffffff, v23, s14
	v_cndmask_b32_e64 v24, -1, v22, s14
	v_not_b32_e32 v65, v0
	v_dual_mov_b32 v8, v66 :: v_dual_mov_b32 v9, v67
	v_mov_b32_e32 v32, v112
	s_delay_alu instid0(VALU_DEP_4) | instskip(SKIP_3) | instid1(VALU_DEP_4)
	v_lshrrev_b64 v[28:29], v10, v[24:25]
	v_dual_mov_b32 v30, v114 :: v_dual_mov_b32 v17, v70
	v_dual_mov_b32 v18, v71 :: v_dual_mov_b32 v35, v103
	;; [unrolled: 1-line block ×3, first 2 shown]
	v_and_b32_e32 v0, v28, v65
	v_dual_mov_b32 v28, v116 :: v_dual_mov_b32 v53, v82
	v_dual_mov_b32 v54, v83 :: v_dual_mov_b32 v51, v84
	v_mov_b32_e32 v52, v85
	s_delay_alu instid0(VALU_DEP_4)
	v_and_b32_e32 v36, 1, v0
	v_lshlrev_b32_e32 v37, 30, v0
	v_lshlrev_b32_e32 v38, 29, v0
	;; [unrolled: 1-line block ×4, first 2 shown]
	v_add_co_u32 v36, s14, v36, -1
	s_wait_alu 0xf1ff
	v_cndmask_b32_e64 v64, 0, 1, s14
	v_not_b32_e32 v69, v37
	v_cmp_gt_i32_e64 s15, 0, v37
	v_not_b32_e32 v37, v38
	v_lshlrev_b32_e32 v67, 26, v0
	v_cmp_ne_u32_e64 s14, 0, v64
	v_ashrrev_i32_e32 v69, 31, v69
	v_lshlrev_b32_e32 v68, 25, v0
	v_ashrrev_i32_e32 v37, 31, v37
	v_lshlrev_b32_e32 v64, 24, v0
	s_wait_alu 0xf1ff
	v_xor_b32_e32 v36, s14, v36
	v_cmp_gt_i32_e64 s14, 0, v38
	v_not_b32_e32 v38, v39
	v_xor_b32_e32 v69, s15, v69
	v_cmp_gt_i32_e64 s15, 0, v39
	v_and_b32_e32 v36, exec_lo, v36
	v_not_b32_e32 v39, v66
	v_ashrrev_i32_e32 v38, 31, v38
	s_wait_alu 0xf1ff
	v_xor_b32_e32 v37, s14, v37
	v_cmp_gt_i32_e64 s14, 0, v66
	v_and_b32_e32 v36, v36, v69
	v_not_b32_e32 v66, v67
	v_ashrrev_i32_e32 v39, 31, v39
	v_xor_b32_e32 v38, s15, v38
	v_cmp_gt_i32_e64 s15, 0, v67
	v_and_b32_e32 v36, v36, v37
	v_not_b32_e32 v37, v68
	v_ashrrev_i32_e32 v66, 31, v66
	s_wait_alu 0xf1ff
	v_xor_b32_e32 v39, s14, v39
	v_cmp_gt_i32_e64 s14, 0, v68
	v_and_b32_e32 v36, v36, v38
	v_not_b32_e32 v38, v64
	v_ashrrev_i32_e32 v67, 31, v37
	v_xor_b32_e32 v66, s15, v66
	v_cmp_gt_i32_e64 s15, 0, v64
	v_and_b32_e32 v39, v36, v39
	v_ashrrev_i32_e32 v38, 31, v38
	s_wait_alu 0xf1ff
	v_xor_b32_e32 v64, s14, v67
	v_lshl_add_u32 v0, v0, 3, v134
	v_dual_mov_b32 v36, v86 :: v_dual_and_b32 v39, v39, v66
	v_xor_b32_e32 v38, s15, v38
	v_dual_mov_b32 v26, v96 :: v_dual_mov_b32 v27, v97
	s_delay_alu instid0(VALU_DEP_4) | instskip(NEXT) | instid1(VALU_DEP_4)
	v_lshlrev_b64_e32 v[66:67], 2, v[0:1]
	v_dual_mov_b32 v24, v98 :: v_dual_and_b32 v39, v39, v64
	v_mov_b32_e32 v25, v99
	v_mov_b32_e32 v33, v113
	;; [unrolled: 1-line block ×3, first 2 shown]
	s_delay_alu instid0(VALU_DEP_4) | instskip(SKIP_3) | instid1(VALU_DEP_4)
	v_and_b32_e32 v39, v39, v38
	v_add_co_u32 v38, null, v12, v66
	v_mov_b32_e32 v29, v117
	v_mov_b32_e32 v37, v87
	v_mbcnt_lo_u32_b32 v0, v39, 0
	v_cmp_ne_u32_e64 s15, 0, v39
	v_add_co_u32 v38, null, v38, 32
	ds_store_b32 v55, v1
	ds_store_b32 v118, v1
	;; [unrolled: 1-line block ×3, first 2 shown]
	v_cmp_eq_u32_e64 s14, 0, v0
	ds_store_b32 v129, v1
	ds_store_b32 v130, v1
	;; [unrolled: 1-line block ×5, first 2 shown]
	s_and_b32 s15, s15, s14
	s_wait_loadcnt_dscnt 0x0
	s_barrier_signal -1
	s_barrier_wait -1
	global_inv scope:SCOPE_SE
	; wave barrier
	s_wait_alu 0xfffe
	s_and_saveexec_b32 s14, s15
; %bb.173:                              ;   in Loop: Header=BB1123_172 Depth=1
	v_bcnt_u32_b32 v39, v39, 0
	ds_store_b32 v38, v39
; %bb.174:                              ;   in Loop: Header=BB1123_172 Depth=1
	s_wait_alu 0xfffe
	s_or_b32 exec_lo, exec_lo, s14
	v_cmp_ne_u64_e64 s14, s[16:17], v[26:27]
	; wave barrier
	s_wait_alu 0xf1ff
	s_delay_alu instid0(VALU_DEP_1) | instskip(SKIP_1) | instid1(VALU_DEP_1)
	v_cndmask_b32_e64 v67, 0x7fffffff, v27, s14
	v_cndmask_b32_e64 v66, -1, v26, s14
	v_lshrrev_b64 v[66:67], v10, v[66:67]
	s_delay_alu instid0(VALU_DEP_1) | instskip(NEXT) | instid1(VALU_DEP_1)
	v_and_b32_e32 v39, v66, v65
	v_and_b32_e32 v64, 1, v39
	v_lshlrev_b32_e32 v66, 30, v39
	v_lshlrev_b32_e32 v67, 29, v39
	;; [unrolled: 1-line block ×4, first 2 shown]
	v_add_co_u32 v64, s14, v64, -1
	s_wait_alu 0xf1ff
	v_cndmask_b32_e64 v69, 0, 1, s14
	v_not_b32_e32 v81, v66
	v_cmp_gt_i32_e64 s15, 0, v66
	v_not_b32_e32 v66, v67
	v_lshlrev_b32_e32 v71, 26, v39
	v_cmp_ne_u32_e64 s14, 0, v69
	v_ashrrev_i32_e32 v81, 31, v81
	v_lshlrev_b32_e32 v80, 25, v39
	v_ashrrev_i32_e32 v66, 31, v66
	v_lshlrev_b32_e32 v69, 24, v39
	s_wait_alu 0xf1ff
	v_xor_b32_e32 v64, s14, v64
	v_cmp_gt_i32_e64 s14, 0, v67
	v_not_b32_e32 v67, v68
	v_xor_b32_e32 v81, s15, v81
	v_cmp_gt_i32_e64 s15, 0, v68
	v_and_b32_e32 v64, exec_lo, v64
	v_not_b32_e32 v68, v70
	v_ashrrev_i32_e32 v67, 31, v67
	s_wait_alu 0xf1ff
	v_xor_b32_e32 v66, s14, v66
	v_cmp_gt_i32_e64 s14, 0, v70
	v_and_b32_e32 v64, v64, v81
	v_not_b32_e32 v70, v71
	v_ashrrev_i32_e32 v68, 31, v68
	v_xor_b32_e32 v67, s15, v67
	v_cmp_gt_i32_e64 s15, 0, v71
	v_and_b32_e32 v64, v64, v66
	v_not_b32_e32 v66, v80
	v_ashrrev_i32_e32 v70, 31, v70
	s_wait_alu 0xf1ff
	v_xor_b32_e32 v68, s14, v68
	v_cmp_gt_i32_e64 s14, 0, v80
	v_and_b32_e32 v64, v64, v67
	v_not_b32_e32 v67, v69
	v_ashrrev_i32_e32 v66, 31, v66
	v_xor_b32_e32 v70, s15, v70
	v_lshl_add_u32 v39, v39, 3, v134
	v_and_b32_e32 v64, v64, v68
	v_cmp_gt_i32_e64 s15, 0, v69
	v_ashrrev_i32_e32 v67, 31, v67
	s_wait_alu 0xf1ff
	v_xor_b32_e32 v66, s14, v66
	v_lshl_add_u32 v68, v39, 2, v12
	v_and_b32_e32 v64, v64, v70
	v_xor_b32_e32 v67, s15, v67
	ds_load_b32 v39, v68 offset:32
	v_and_b32_e32 v64, v64, v66
	v_add_nc_u32_e32 v66, 32, v68
	; wave barrier
	s_delay_alu instid0(VALU_DEP_2) | instskip(NEXT) | instid1(VALU_DEP_1)
	v_and_b32_e32 v67, v64, v67
	v_mbcnt_lo_u32_b32 v64, v67, 0
	v_cmp_ne_u32_e64 s15, 0, v67
	s_delay_alu instid0(VALU_DEP_2)
	v_cmp_eq_u32_e64 s14, 0, v64
	s_and_b32 s15, s15, s14
	s_wait_alu 0xfffe
	s_and_saveexec_b32 s14, s15
	s_cbranch_execz .LBB1123_176
; %bb.175:                              ;   in Loop: Header=BB1123_172 Depth=1
	s_wait_dscnt 0x0
	v_bcnt_u32_b32 v67, v67, v39
	ds_store_b32 v66, v67
.LBB1123_176:                           ;   in Loop: Header=BB1123_172 Depth=1
	s_wait_alu 0xfffe
	s_or_b32 exec_lo, exec_lo, s14
	v_cmp_ne_u64_e64 s14, s[16:17], v[24:25]
	; wave barrier
	s_wait_alu 0xf1ff
	s_delay_alu instid0(VALU_DEP_1) | instskip(SKIP_1) | instid1(VALU_DEP_1)
	v_cndmask_b32_e64 v68, 0x7fffffff, v25, s14
	v_cndmask_b32_e64 v67, -1, v24, s14
	v_lshrrev_b64 v[67:68], v10, v[67:68]
	s_delay_alu instid0(VALU_DEP_1) | instskip(NEXT) | instid1(VALU_DEP_1)
	v_and_b32_e32 v67, v67, v65
	v_and_b32_e32 v68, 1, v67
	v_lshlrev_b32_e32 v69, 30, v67
	v_lshlrev_b32_e32 v70, 29, v67
	;; [unrolled: 1-line block ×4, first 2 shown]
	v_add_co_u32 v68, s14, v68, -1
	s_wait_alu 0xf1ff
	v_cndmask_b32_e64 v80, 0, 1, s14
	v_not_b32_e32 v84, v69
	v_cmp_gt_i32_e64 s15, 0, v69
	v_not_b32_e32 v69, v70
	v_lshlrev_b32_e32 v82, 26, v67
	v_cmp_ne_u32_e64 s14, 0, v80
	v_ashrrev_i32_e32 v84, 31, v84
	v_lshlrev_b32_e32 v83, 25, v67
	v_ashrrev_i32_e32 v69, 31, v69
	v_lshlrev_b32_e32 v80, 24, v67
	s_wait_alu 0xf1ff
	v_xor_b32_e32 v68, s14, v68
	v_cmp_gt_i32_e64 s14, 0, v70
	v_not_b32_e32 v70, v71
	v_xor_b32_e32 v84, s15, v84
	v_cmp_gt_i32_e64 s15, 0, v71
	v_and_b32_e32 v68, exec_lo, v68
	v_not_b32_e32 v71, v81
	v_ashrrev_i32_e32 v70, 31, v70
	s_wait_alu 0xf1ff
	v_xor_b32_e32 v69, s14, v69
	v_cmp_gt_i32_e64 s14, 0, v81
	v_and_b32_e32 v68, v68, v84
	v_not_b32_e32 v81, v82
	v_ashrrev_i32_e32 v71, 31, v71
	v_xor_b32_e32 v70, s15, v70
	v_cmp_gt_i32_e64 s15, 0, v82
	v_and_b32_e32 v68, v68, v69
	v_not_b32_e32 v69, v83
	v_ashrrev_i32_e32 v81, 31, v81
	s_wait_alu 0xf1ff
	v_xor_b32_e32 v71, s14, v71
	v_cmp_gt_i32_e64 s14, 0, v83
	v_and_b32_e32 v68, v68, v70
	v_not_b32_e32 v70, v80
	v_ashrrev_i32_e32 v69, 31, v69
	v_xor_b32_e32 v81, s15, v81
	v_lshl_add_u32 v67, v67, 3, v134
	v_and_b32_e32 v68, v68, v71
	v_cmp_gt_i32_e64 s15, 0, v80
	v_ashrrev_i32_e32 v70, 31, v70
	s_wait_alu 0xf1ff
	v_xor_b32_e32 v69, s14, v69
	v_lshl_add_u32 v71, v67, 2, v12
	v_and_b32_e32 v68, v68, v81
	v_xor_b32_e32 v70, s15, v70
	ds_load_b32 v67, v71 offset:32
	v_and_b32_e32 v68, v68, v69
	v_add_nc_u32_e32 v69, 32, v71
	; wave barrier
	s_delay_alu instid0(VALU_DEP_2) | instskip(NEXT) | instid1(VALU_DEP_1)
	v_and_b32_e32 v70, v68, v70
	v_mbcnt_lo_u32_b32 v68, v70, 0
	v_cmp_ne_u32_e64 s15, 0, v70
	s_delay_alu instid0(VALU_DEP_2)
	v_cmp_eq_u32_e64 s14, 0, v68
	s_and_b32 s15, s15, s14
	s_wait_alu 0xfffe
	s_and_saveexec_b32 s14, s15
	s_cbranch_execz .LBB1123_178
; %bb.177:                              ;   in Loop: Header=BB1123_172 Depth=1
	s_wait_dscnt 0x0
	v_bcnt_u32_b32 v70, v70, v67
	ds_store_b32 v69, v70
.LBB1123_178:                           ;   in Loop: Header=BB1123_172 Depth=1
	s_wait_alu 0xfffe
	s_or_b32 exec_lo, exec_lo, s14
	v_cmp_ne_u64_e64 s14, s[16:17], v[34:35]
	; wave barrier
	s_wait_alu 0xf1ff
	s_delay_alu instid0(VALU_DEP_1) | instskip(SKIP_1) | instid1(VALU_DEP_1)
	v_cndmask_b32_e64 v71, 0x7fffffff, v35, s14
	v_cndmask_b32_e64 v70, -1, v34, s14
	v_lshrrev_b64 v[70:71], v10, v[70:71]
	s_delay_alu instid0(VALU_DEP_1) | instskip(NEXT) | instid1(VALU_DEP_1)
	v_and_b32_e32 v70, v70, v65
	v_and_b32_e32 v71, 1, v70
	v_lshlrev_b32_e32 v80, 30, v70
	v_lshlrev_b32_e32 v81, 29, v70
	;; [unrolled: 1-line block ×4, first 2 shown]
	v_add_co_u32 v71, s14, v71, -1
	s_wait_alu 0xf1ff
	v_cndmask_b32_e64 v83, 0, 1, s14
	v_not_b32_e32 v87, v80
	v_cmp_gt_i32_e64 s15, 0, v80
	v_not_b32_e32 v80, v81
	v_lshlrev_b32_e32 v85, 26, v70
	v_cmp_ne_u32_e64 s14, 0, v83
	v_ashrrev_i32_e32 v87, 31, v87
	v_lshlrev_b32_e32 v86, 25, v70
	v_ashrrev_i32_e32 v80, 31, v80
	v_lshlrev_b32_e32 v83, 24, v70
	s_wait_alu 0xf1ff
	v_xor_b32_e32 v71, s14, v71
	v_cmp_gt_i32_e64 s14, 0, v81
	v_not_b32_e32 v81, v82
	v_xor_b32_e32 v87, s15, v87
	v_cmp_gt_i32_e64 s15, 0, v82
	v_and_b32_e32 v71, exec_lo, v71
	v_not_b32_e32 v82, v84
	v_ashrrev_i32_e32 v81, 31, v81
	s_wait_alu 0xf1ff
	v_xor_b32_e32 v80, s14, v80
	v_cmp_gt_i32_e64 s14, 0, v84
	v_and_b32_e32 v71, v71, v87
	v_not_b32_e32 v84, v85
	v_ashrrev_i32_e32 v82, 31, v82
	v_xor_b32_e32 v81, s15, v81
	v_cmp_gt_i32_e64 s15, 0, v85
	v_and_b32_e32 v71, v71, v80
	v_not_b32_e32 v80, v86
	v_ashrrev_i32_e32 v84, 31, v84
	s_wait_alu 0xf1ff
	v_xor_b32_e32 v82, s14, v82
	v_cmp_gt_i32_e64 s14, 0, v86
	v_and_b32_e32 v71, v71, v81
	v_not_b32_e32 v81, v83
	v_ashrrev_i32_e32 v80, 31, v80
	v_xor_b32_e32 v84, s15, v84
	v_lshl_add_u32 v70, v70, 3, v134
	v_and_b32_e32 v71, v71, v82
	v_cmp_gt_i32_e64 s15, 0, v83
	v_ashrrev_i32_e32 v81, 31, v81
	s_wait_alu 0xf1ff
	v_xor_b32_e32 v80, s14, v80
	v_lshl_add_u32 v82, v70, 2, v12
	v_and_b32_e32 v71, v71, v84
	v_xor_b32_e32 v81, s15, v81
	ds_load_b32 v70, v82 offset:32
	v_and_b32_e32 v71, v71, v80
	v_add_nc_u32_e32 v80, 32, v82
	; wave barrier
	s_delay_alu instid0(VALU_DEP_2) | instskip(NEXT) | instid1(VALU_DEP_1)
	v_and_b32_e32 v81, v71, v81
	v_mbcnt_lo_u32_b32 v71, v81, 0
	v_cmp_ne_u32_e64 s15, 0, v81
	s_delay_alu instid0(VALU_DEP_2)
	v_cmp_eq_u32_e64 s14, 0, v71
	s_and_b32 s15, s15, s14
	s_wait_alu 0xfffe
	s_and_saveexec_b32 s14, s15
	s_cbranch_execz .LBB1123_180
; %bb.179:                              ;   in Loop: Header=BB1123_172 Depth=1
	s_wait_dscnt 0x0
	v_bcnt_u32_b32 v81, v81, v70
	ds_store_b32 v80, v81
.LBB1123_180:                           ;   in Loop: Header=BB1123_172 Depth=1
	s_wait_alu 0xfffe
	s_or_b32 exec_lo, exec_lo, s14
	v_cmp_ne_u64_e64 s14, s[16:17], v[32:33]
	; wave barrier
	s_wait_alu 0xf1ff
	s_delay_alu instid0(VALU_DEP_1) | instskip(SKIP_1) | instid1(VALU_DEP_1)
	v_cndmask_b32_e64 v82, 0x7fffffff, v33, s14
	v_cndmask_b32_e64 v81, -1, v32, s14
	v_lshrrev_b64 v[81:82], v10, v[81:82]
	s_delay_alu instid0(VALU_DEP_1) | instskip(NEXT) | instid1(VALU_DEP_1)
	v_and_b32_e32 v81, v81, v65
	v_and_b32_e32 v82, 1, v81
	v_lshlrev_b32_e32 v83, 30, v81
	v_lshlrev_b32_e32 v84, 29, v81
	;; [unrolled: 1-line block ×4, first 2 shown]
	v_add_co_u32 v82, s14, v82, -1
	s_wait_alu 0xf1ff
	v_cndmask_b32_e64 v86, 0, 1, s14
	v_not_b32_e32 v98, v83
	v_cmp_gt_i32_e64 s15, 0, v83
	v_not_b32_e32 v83, v84
	v_lshlrev_b32_e32 v96, 26, v81
	v_cmp_ne_u32_e64 s14, 0, v86
	v_ashrrev_i32_e32 v98, 31, v98
	v_lshlrev_b32_e32 v97, 25, v81
	v_ashrrev_i32_e32 v83, 31, v83
	v_lshlrev_b32_e32 v86, 24, v81
	s_wait_alu 0xf1ff
	v_xor_b32_e32 v82, s14, v82
	v_cmp_gt_i32_e64 s14, 0, v84
	v_not_b32_e32 v84, v85
	v_xor_b32_e32 v98, s15, v98
	v_cmp_gt_i32_e64 s15, 0, v85
	v_and_b32_e32 v82, exec_lo, v82
	v_not_b32_e32 v85, v87
	v_ashrrev_i32_e32 v84, 31, v84
	s_wait_alu 0xf1ff
	v_xor_b32_e32 v83, s14, v83
	v_cmp_gt_i32_e64 s14, 0, v87
	v_and_b32_e32 v82, v82, v98
	v_not_b32_e32 v87, v96
	v_ashrrev_i32_e32 v85, 31, v85
	v_xor_b32_e32 v84, s15, v84
	v_cmp_gt_i32_e64 s15, 0, v96
	v_and_b32_e32 v82, v82, v83
	v_not_b32_e32 v83, v97
	v_ashrrev_i32_e32 v87, 31, v87
	s_wait_alu 0xf1ff
	v_xor_b32_e32 v85, s14, v85
	v_cmp_gt_i32_e64 s14, 0, v97
	v_and_b32_e32 v82, v82, v84
	v_not_b32_e32 v84, v86
	v_ashrrev_i32_e32 v83, 31, v83
	v_xor_b32_e32 v87, s15, v87
	v_lshl_add_u32 v81, v81, 3, v134
	v_and_b32_e32 v82, v82, v85
	v_cmp_gt_i32_e64 s15, 0, v86
	v_ashrrev_i32_e32 v84, 31, v84
	s_wait_alu 0xf1ff
	v_xor_b32_e32 v83, s14, v83
	v_lshl_add_u32 v85, v81, 2, v12
	v_and_b32_e32 v82, v82, v87
	v_xor_b32_e32 v84, s15, v84
	ds_load_b32 v81, v85 offset:32
	v_and_b32_e32 v82, v82, v83
	v_add_nc_u32_e32 v83, 32, v85
	; wave barrier
	s_delay_alu instid0(VALU_DEP_2) | instskip(NEXT) | instid1(VALU_DEP_1)
	v_and_b32_e32 v84, v82, v84
	v_mbcnt_lo_u32_b32 v82, v84, 0
	v_cmp_ne_u32_e64 s15, 0, v84
	s_delay_alu instid0(VALU_DEP_2)
	v_cmp_eq_u32_e64 s14, 0, v82
	s_and_b32 s15, s15, s14
	s_wait_alu 0xfffe
	s_and_saveexec_b32 s14, s15
	s_cbranch_execz .LBB1123_182
; %bb.181:                              ;   in Loop: Header=BB1123_172 Depth=1
	s_wait_dscnt 0x0
	v_bcnt_u32_b32 v84, v84, v81
	ds_store_b32 v83, v84
.LBB1123_182:                           ;   in Loop: Header=BB1123_172 Depth=1
	s_wait_alu 0xfffe
	s_or_b32 exec_lo, exec_lo, s14
	v_cmp_ne_u64_e64 s14, s[16:17], v[30:31]
	; wave barrier
	s_wait_alu 0xf1ff
	s_delay_alu instid0(VALU_DEP_1) | instskip(SKIP_1) | instid1(VALU_DEP_1)
	v_cndmask_b32_e64 v85, 0x7fffffff, v31, s14
	v_cndmask_b32_e64 v84, -1, v30, s14
	v_lshrrev_b64 v[84:85], v10, v[84:85]
	s_delay_alu instid0(VALU_DEP_1) | instskip(NEXT) | instid1(VALU_DEP_1)
	v_and_b32_e32 v84, v84, v65
	v_and_b32_e32 v85, 1, v84
	v_lshlrev_b32_e32 v86, 30, v84
	v_lshlrev_b32_e32 v87, 29, v84
	;; [unrolled: 1-line block ×4, first 2 shown]
	v_add_co_u32 v85, s14, v85, -1
	s_wait_alu 0xf1ff
	v_cndmask_b32_e64 v97, 0, 1, s14
	v_not_b32_e32 v101, v86
	v_cmp_gt_i32_e64 s15, 0, v86
	v_not_b32_e32 v86, v87
	v_lshlrev_b32_e32 v99, 26, v84
	v_cmp_ne_u32_e64 s14, 0, v97
	v_ashrrev_i32_e32 v101, 31, v101
	v_lshlrev_b32_e32 v100, 25, v84
	v_ashrrev_i32_e32 v86, 31, v86
	v_lshlrev_b32_e32 v97, 24, v84
	s_wait_alu 0xf1ff
	v_xor_b32_e32 v85, s14, v85
	v_cmp_gt_i32_e64 s14, 0, v87
	v_not_b32_e32 v87, v96
	v_xor_b32_e32 v101, s15, v101
	v_cmp_gt_i32_e64 s15, 0, v96
	v_and_b32_e32 v85, exec_lo, v85
	v_not_b32_e32 v96, v98
	v_ashrrev_i32_e32 v87, 31, v87
	s_wait_alu 0xf1ff
	v_xor_b32_e32 v86, s14, v86
	v_cmp_gt_i32_e64 s14, 0, v98
	v_and_b32_e32 v85, v85, v101
	v_not_b32_e32 v98, v99
	v_ashrrev_i32_e32 v96, 31, v96
	v_xor_b32_e32 v87, s15, v87
	v_cmp_gt_i32_e64 s15, 0, v99
	v_and_b32_e32 v85, v85, v86
	v_not_b32_e32 v86, v100
	v_ashrrev_i32_e32 v98, 31, v98
	s_wait_alu 0xf1ff
	v_xor_b32_e32 v96, s14, v96
	v_cmp_gt_i32_e64 s14, 0, v100
	v_and_b32_e32 v85, v85, v87
	v_not_b32_e32 v87, v97
	v_ashrrev_i32_e32 v86, 31, v86
	v_xor_b32_e32 v98, s15, v98
	v_lshl_add_u32 v84, v84, 3, v134
	v_and_b32_e32 v85, v85, v96
	v_cmp_gt_i32_e64 s15, 0, v97
	v_ashrrev_i32_e32 v87, 31, v87
	s_wait_alu 0xf1ff
	v_xor_b32_e32 v86, s14, v86
	v_lshl_add_u32 v96, v84, 2, v12
	v_and_b32_e32 v85, v85, v98
	v_xor_b32_e32 v87, s15, v87
	ds_load_b32 v84, v96 offset:32
	v_and_b32_e32 v85, v85, v86
	v_add_nc_u32_e32 v86, 32, v96
	; wave barrier
	s_delay_alu instid0(VALU_DEP_2) | instskip(NEXT) | instid1(VALU_DEP_1)
	v_and_b32_e32 v87, v85, v87
	v_mbcnt_lo_u32_b32 v85, v87, 0
	v_cmp_ne_u32_e64 s15, 0, v87
	s_delay_alu instid0(VALU_DEP_2)
	v_cmp_eq_u32_e64 s14, 0, v85
	s_and_b32 s15, s15, s14
	s_wait_alu 0xfffe
	s_and_saveexec_b32 s14, s15
	s_cbranch_execz .LBB1123_184
; %bb.183:                              ;   in Loop: Header=BB1123_172 Depth=1
	s_wait_dscnt 0x0
	v_bcnt_u32_b32 v87, v87, v84
	ds_store_b32 v86, v87
.LBB1123_184:                           ;   in Loop: Header=BB1123_172 Depth=1
	s_wait_alu 0xfffe
	s_or_b32 exec_lo, exec_lo, s14
	v_cmp_ne_u64_e64 s14, s[16:17], v[28:29]
	; wave barrier
	s_wait_alu 0xf1ff
	s_delay_alu instid0(VALU_DEP_1) | instskip(SKIP_1) | instid1(VALU_DEP_1)
	v_cndmask_b32_e64 v97, 0x7fffffff, v29, s14
	v_cndmask_b32_e64 v96, -1, v28, s14
	v_lshrrev_b64 v[96:97], v10, v[96:97]
	s_delay_alu instid0(VALU_DEP_1) | instskip(NEXT) | instid1(VALU_DEP_1)
	v_and_b32_e32 v87, v96, v65
	v_and_b32_e32 v96, 1, v87
	v_lshlrev_b32_e32 v97, 30, v87
	v_lshlrev_b32_e32 v98, 29, v87
	;; [unrolled: 1-line block ×4, first 2 shown]
	v_add_co_u32 v96, s14, v96, -1
	s_wait_alu 0xf1ff
	v_cndmask_b32_e64 v100, 0, 1, s14
	v_not_b32_e32 v112, v97
	v_cmp_gt_i32_e64 s15, 0, v97
	v_not_b32_e32 v97, v98
	v_lshlrev_b32_e32 v102, 26, v87
	v_cmp_ne_u32_e64 s14, 0, v100
	v_ashrrev_i32_e32 v112, 31, v112
	v_lshlrev_b32_e32 v103, 25, v87
	v_ashrrev_i32_e32 v97, 31, v97
	v_lshlrev_b32_e32 v100, 24, v87
	s_wait_alu 0xf1ff
	v_xor_b32_e32 v96, s14, v96
	v_cmp_gt_i32_e64 s14, 0, v98
	v_not_b32_e32 v98, v99
	v_xor_b32_e32 v112, s15, v112
	v_cmp_gt_i32_e64 s15, 0, v99
	v_and_b32_e32 v96, exec_lo, v96
	v_not_b32_e32 v99, v101
	v_ashrrev_i32_e32 v98, 31, v98
	s_wait_alu 0xf1ff
	v_xor_b32_e32 v97, s14, v97
	v_cmp_gt_i32_e64 s14, 0, v101
	v_and_b32_e32 v96, v96, v112
	v_not_b32_e32 v101, v102
	v_ashrrev_i32_e32 v99, 31, v99
	v_xor_b32_e32 v98, s15, v98
	v_cmp_gt_i32_e64 s15, 0, v102
	v_and_b32_e32 v96, v96, v97
	v_not_b32_e32 v97, v103
	v_ashrrev_i32_e32 v101, 31, v101
	s_wait_alu 0xf1ff
	v_xor_b32_e32 v99, s14, v99
	v_cmp_gt_i32_e64 s14, 0, v103
	v_and_b32_e32 v96, v96, v98
	v_not_b32_e32 v98, v100
	v_ashrrev_i32_e32 v97, 31, v97
	v_xor_b32_e32 v101, s15, v101
	v_lshl_add_u32 v87, v87, 3, v134
	v_and_b32_e32 v96, v96, v99
	v_cmp_gt_i32_e64 s15, 0, v100
	v_ashrrev_i32_e32 v98, 31, v98
	s_wait_alu 0xf1ff
	v_xor_b32_e32 v97, s14, v97
	v_lshl_add_u32 v99, v87, 2, v12
	v_and_b32_e32 v96, v96, v101
	v_xor_b32_e32 v98, s15, v98
	ds_load_b32 v87, v99 offset:32
	v_and_b32_e32 v96, v96, v97
	v_add_nc_u32_e32 v97, 32, v99
	; wave barrier
	s_delay_alu instid0(VALU_DEP_2) | instskip(NEXT) | instid1(VALU_DEP_1)
	v_and_b32_e32 v98, v96, v98
	v_mbcnt_lo_u32_b32 v96, v98, 0
	v_cmp_ne_u32_e64 s15, 0, v98
	s_delay_alu instid0(VALU_DEP_2)
	v_cmp_eq_u32_e64 s14, 0, v96
	s_and_b32 s15, s15, s14
	s_wait_alu 0xfffe
	s_and_saveexec_b32 s14, s15
	s_cbranch_execz .LBB1123_186
; %bb.185:                              ;   in Loop: Header=BB1123_172 Depth=1
	s_wait_dscnt 0x0
	v_bcnt_u32_b32 v98, v98, v87
	ds_store_b32 v97, v98
.LBB1123_186:                           ;   in Loop: Header=BB1123_172 Depth=1
	s_wait_alu 0xfffe
	s_or_b32 exec_lo, exec_lo, s14
	v_cmp_ne_u64_e64 s14, s[16:17], v[36:37]
	; wave barrier
	s_wait_alu 0xf1ff
	s_delay_alu instid0(VALU_DEP_1) | instskip(SKIP_1) | instid1(VALU_DEP_1)
	v_cndmask_b32_e64 v99, 0x7fffffff, v37, s14
	v_cndmask_b32_e64 v98, -1, v36, s14
	v_lshrrev_b64 v[98:99], v10, v[98:99]
	s_delay_alu instid0(VALU_DEP_1) | instskip(NEXT) | instid1(VALU_DEP_1)
	v_and_b32_e32 v65, v98, v65
	v_and_b32_e32 v98, 1, v65
	v_lshlrev_b32_e32 v99, 30, v65
	v_lshlrev_b32_e32 v100, 29, v65
	;; [unrolled: 1-line block ×4, first 2 shown]
	v_add_co_u32 v98, s14, v98, -1
	s_wait_alu 0xf1ff
	v_cndmask_b32_e64 v102, 0, 1, s14
	v_not_b32_e32 v114, v99
	v_cmp_gt_i32_e64 s15, 0, v99
	v_not_b32_e32 v99, v100
	v_lshlrev_b32_e32 v112, 26, v65
	v_cmp_ne_u32_e64 s14, 0, v102
	v_ashrrev_i32_e32 v114, 31, v114
	v_lshlrev_b32_e32 v113, 25, v65
	v_ashrrev_i32_e32 v99, 31, v99
	v_lshlrev_b32_e32 v102, 24, v65
	s_wait_alu 0xf1ff
	v_xor_b32_e32 v98, s14, v98
	v_cmp_gt_i32_e64 s14, 0, v100
	v_not_b32_e32 v100, v101
	v_xor_b32_e32 v114, s15, v114
	v_cmp_gt_i32_e64 s15, 0, v101
	v_and_b32_e32 v98, exec_lo, v98
	v_not_b32_e32 v101, v103
	v_ashrrev_i32_e32 v100, 31, v100
	s_wait_alu 0xf1ff
	v_xor_b32_e32 v99, s14, v99
	v_cmp_gt_i32_e64 s14, 0, v103
	v_and_b32_e32 v98, v98, v114
	v_not_b32_e32 v103, v112
	v_ashrrev_i32_e32 v101, 31, v101
	v_xor_b32_e32 v100, s15, v100
	v_cmp_gt_i32_e64 s15, 0, v112
	v_and_b32_e32 v98, v98, v99
	v_not_b32_e32 v99, v113
	v_ashrrev_i32_e32 v103, 31, v103
	s_wait_alu 0xf1ff
	v_xor_b32_e32 v101, s14, v101
	v_cmp_gt_i32_e64 s14, 0, v113
	v_and_b32_e32 v98, v98, v100
	v_not_b32_e32 v100, v102
	v_ashrrev_i32_e32 v99, 31, v99
	v_xor_b32_e32 v103, s15, v103
	v_lshl_add_u32 v65, v65, 3, v134
	v_and_b32_e32 v98, v98, v101
	v_cmp_gt_i32_e64 s15, 0, v102
	v_ashrrev_i32_e32 v100, 31, v100
	s_wait_alu 0xf1ff
	v_xor_b32_e32 v99, s14, v99
	v_lshl_add_u32 v101, v65, 2, v12
	v_and_b32_e32 v98, v98, v103
	v_xor_b32_e32 v100, s15, v100
	ds_load_b32 v65, v101 offset:32
	v_and_b32_e32 v98, v98, v99
	v_add_nc_u32_e32 v99, 32, v101
	; wave barrier
	s_delay_alu instid0(VALU_DEP_2) | instskip(NEXT) | instid1(VALU_DEP_1)
	v_and_b32_e32 v100, v98, v100
	v_mbcnt_lo_u32_b32 v98, v100, 0
	v_cmp_ne_u32_e64 s15, 0, v100
	s_delay_alu instid0(VALU_DEP_2)
	v_cmp_eq_u32_e64 s14, 0, v98
	s_and_b32 s15, s15, s14
	s_wait_alu 0xfffe
	s_and_saveexec_b32 s14, s15
	s_cbranch_execz .LBB1123_188
; %bb.187:                              ;   in Loop: Header=BB1123_172 Depth=1
	s_wait_dscnt 0x0
	v_bcnt_u32_b32 v100, v100, v65
	ds_store_b32 v99, v100
.LBB1123_188:                           ;   in Loop: Header=BB1123_172 Depth=1
	s_wait_alu 0xfffe
	s_or_b32 exec_lo, exec_lo, s14
	; wave barrier
	s_wait_loadcnt_dscnt 0x0
	s_barrier_signal -1
	s_barrier_wait -1
	global_inv scope:SCOPE_SE
	ds_load_b32 v101, v55
	ds_load_b32 v102, v118
	;; [unrolled: 1-line block ×8, first 2 shown]
	s_wait_dscnt 0x6
	v_add_nc_u32_e32 v116, v102, v101
	s_wait_dscnt 0x4
	s_delay_alu instid0(VALU_DEP_1) | instskip(SKIP_1) | instid1(VALU_DEP_1)
	v_add3_u32 v116, v116, v103, v112
	s_wait_dscnt 0x2
	v_add3_u32 v116, v116, v113, v114
	s_wait_dscnt 0x0
	s_delay_alu instid0(VALU_DEP_1) | instskip(NEXT) | instid1(VALU_DEP_1)
	v_add3_u32 v115, v116, v100, v115
	v_mov_b32_dpp v116, v115 row_shr:1 row_mask:0xf bank_mask:0xf
	s_wait_alu 0xfffd
	s_delay_alu instid0(VALU_DEP_1) | instskip(NEXT) | instid1(VALU_DEP_1)
	v_cndmask_b32_e64 v116, v116, 0, vcc_lo
	v_add_nc_u32_e32 v115, v116, v115
	s_delay_alu instid0(VALU_DEP_1) | instskip(NEXT) | instid1(VALU_DEP_1)
	v_mov_b32_dpp v116, v115 row_shr:2 row_mask:0xf bank_mask:0xf
	v_cndmask_b32_e64 v116, 0, v116, s0
	s_delay_alu instid0(VALU_DEP_1) | instskip(NEXT) | instid1(VALU_DEP_1)
	v_add_nc_u32_e32 v115, v115, v116
	v_mov_b32_dpp v116, v115 row_shr:4 row_mask:0xf bank_mask:0xf
	s_delay_alu instid0(VALU_DEP_1) | instskip(NEXT) | instid1(VALU_DEP_1)
	v_cndmask_b32_e64 v116, 0, v116, s1
	v_add_nc_u32_e32 v115, v115, v116
	s_delay_alu instid0(VALU_DEP_1) | instskip(NEXT) | instid1(VALU_DEP_1)
	v_mov_b32_dpp v116, v115 row_shr:8 row_mask:0xf bank_mask:0xf
	v_cndmask_b32_e64 v116, 0, v116, s3
	s_delay_alu instid0(VALU_DEP_1) | instskip(SKIP_3) | instid1(VALU_DEP_1)
	v_add_nc_u32_e32 v115, v115, v116
	ds_swizzle_b32 v116, v115 offset:swizzle(BROADCAST,32,15)
	s_wait_dscnt 0x0
	v_cndmask_b32_e64 v116, v116, 0, s4
	v_add_nc_u32_e32 v115, v115, v116
	s_and_saveexec_b32 s14, s5
; %bb.189:                              ;   in Loop: Header=BB1123_172 Depth=1
	ds_store_b32 v144, v115
; %bb.190:                              ;   in Loop: Header=BB1123_172 Depth=1
	s_wait_alu 0xfffe
	s_or_b32 exec_lo, exec_lo, s14
	s_wait_loadcnt_dscnt 0x0
	s_barrier_signal -1
	s_barrier_wait -1
	global_inv scope:SCOPE_SE
	s_and_saveexec_b32 s14, s6
	s_cbranch_execz .LBB1123_192
; %bb.191:                              ;   in Loop: Header=BB1123_172 Depth=1
	ds_load_b32 v116, v145
	s_wait_dscnt 0x0
	v_mov_b32_dpp v117, v116 row_shr:1 row_mask:0xf bank_mask:0xf
	s_delay_alu instid0(VALU_DEP_1) | instskip(NEXT) | instid1(VALU_DEP_1)
	v_cndmask_b32_e64 v117, v117, 0, s11
	v_add_nc_u32_e32 v116, v117, v116
	s_delay_alu instid0(VALU_DEP_1) | instskip(NEXT) | instid1(VALU_DEP_1)
	v_mov_b32_dpp v117, v116 row_shr:2 row_mask:0xf bank_mask:0xf
	v_cndmask_b32_e64 v117, 0, v117, s12
	s_delay_alu instid0(VALU_DEP_1) | instskip(NEXT) | instid1(VALU_DEP_1)
	v_add_nc_u32_e32 v116, v116, v117
	v_mov_b32_dpp v117, v116 row_shr:4 row_mask:0xf bank_mask:0xf
	s_delay_alu instid0(VALU_DEP_1) | instskip(NEXT) | instid1(VALU_DEP_1)
	v_cndmask_b32_e64 v117, 0, v117, s13
	v_add_nc_u32_e32 v116, v116, v117
	ds_store_b32 v145, v116
.LBB1123_192:                           ;   in Loop: Header=BB1123_172 Depth=1
	s_wait_alu 0xfffe
	s_or_b32 exec_lo, exec_lo, s14
	v_mov_b32_e32 v116, 0
	s_wait_loadcnt_dscnt 0x0
	s_barrier_signal -1
	s_barrier_wait -1
	global_inv scope:SCOPE_SE
	s_and_saveexec_b32 s14, s7
; %bb.193:                              ;   in Loop: Header=BB1123_172 Depth=1
	ds_load_b32 v116, v147
; %bb.194:                              ;   in Loop: Header=BB1123_172 Depth=1
	s_wait_alu 0xfffe
	s_or_b32 exec_lo, exec_lo, s14
	s_wait_dscnt 0x0
	v_add_nc_u32_e32 v115, v116, v115
	v_add_nc_u32_e32 v10, 8, v10
	s_mov_b32 s22, -1
	ds_bpermute_b32 v115, v135, v115
	s_wait_dscnt 0x0
	v_cndmask_b32_e64 v115, v115, v116, s2
                                        ; implicit-def: $vgpr116_vgpr117
	s_delay_alu instid0(VALU_DEP_1) | instskip(NEXT) | instid1(VALU_DEP_1)
	v_cndmask_b32_e64 v115, v115, 0, s10
	v_add_nc_u32_e32 v101, v115, v101
	s_delay_alu instid0(VALU_DEP_1) | instskip(SKIP_4) | instid1(VALU_DEP_1)
	v_add_nc_u32_e32 v102, v101, v102
	ds_store_b32 v55, v115
	ds_store_b32 v118, v101
	;; [unrolled: 1-line block ×3, first 2 shown]
	v_dual_mov_b32 v102, v1 :: v_dual_add_nc_u32 v103, v102, v103
	v_add_nc_u32_e32 v112, v103, v112
	s_delay_alu instid0(VALU_DEP_1) | instskip(NEXT) | instid1(VALU_DEP_1)
	v_add_nc_u32_e32 v113, v112, v113
	v_add_nc_u32_e32 v114, v113, v114
	s_delay_alu instid0(VALU_DEP_1)
	v_add_nc_u32_e32 v100, v114, v100
	ds_store_b32 v129, v103
	ds_store_b32 v130, v112
	;; [unrolled: 1-line block ×5, first 2 shown]
	s_wait_loadcnt_dscnt 0x0
	s_barrier_signal -1
	s_barrier_wait -1
	global_inv scope:SCOPE_SE
	ds_load_b32 v38, v38
	ds_load_b32 v101, v66
	;; [unrolled: 1-line block ×8, first 2 shown]
	v_mov_b32_e32 v83, v1
	v_dual_mov_b32 v69, v1 :: v_dual_mov_b32 v86, v1
	v_dual_mov_b32 v100, v1 :: v_dual_mov_b32 v97, v1
	v_mov_b32_e32 v66, v1
	v_cmp_lt_u32_e64 s14, v10, v11
	s_wait_loadcnt_dscnt 0x0
	v_add_nc_u32_e32 v0, v38, v0
	v_add3_u32 v99, v64, v39, v101
	v_add3_u32 v68, v68, v67, v103
	;; [unrolled: 1-line block ×7, first 2 shown]
	v_lshlrev_b64_e32 v[67:68], 3, v[68:69]
	v_lshlrev_b64_e32 v[80:81], 3, v[82:83]
	;; [unrolled: 1-line block ×8, first 2 shown]
	v_add_co_u32 v165, null, v12, v67
	v_add_co_u32 v0, null, v12, v38
	;; [unrolled: 1-line block ×8, first 2 shown]
                                        ; implicit-def: $vgpr38_vgpr39
                                        ; implicit-def: $vgpr64_vgpr65
                                        ; implicit-def: $vgpr66_vgpr67
                                        ; implicit-def: $vgpr68_vgpr69
                                        ; implicit-def: $vgpr70_vgpr71
                                        ; implicit-def: $vgpr80_vgpr81
                                        ; implicit-def: $vgpr82_vgpr83
                                        ; implicit-def: $vgpr84_vgpr85
                                        ; implicit-def: $vgpr100_vgpr101
                                        ; implicit-def: $vgpr96_vgpr97
                                        ; implicit-def: $vgpr98_vgpr99
                                        ; implicit-def: $vgpr102_vgpr103
                                        ; implicit-def: $vgpr112_vgpr113
                                        ; implicit-def: $vgpr114_vgpr115
                                        ; implicit-def: $vgpr86_vgpr87
	s_and_saveexec_b32 s15, s14
	s_cbranch_execz .LBB1123_171
; %bb.195:                              ;   in Loop: Header=BB1123_172 Depth=1
	s_barrier_signal -1
	s_barrier_wait -1
	global_inv scope:SCOPE_SE
	ds_store_b64 v0, v[22:23]
	ds_store_b64 v164, v[26:27]
	;; [unrolled: 1-line block ×8, first 2 shown]
	s_wait_loadcnt_dscnt 0x0
	s_barrier_signal -1
	s_barrier_wait -1
	global_inv scope:SCOPE_SE
	ds_load_b64 v[100:101], v146
	ds_load_b64 v[96:97], v148
	;; [unrolled: 1-line block ×8, first 2 shown]
	s_wait_loadcnt_dscnt 0x0
	s_barrier_signal -1
	s_barrier_wait -1
	global_inv scope:SCOPE_SE
	ds_store_b64 v0, v[4:5]
	ds_store_b64 v164, v[13:14]
	;; [unrolled: 1-line block ×8, first 2 shown]
	s_wait_loadcnt_dscnt 0x0
	s_barrier_signal -1
	s_barrier_wait -1
	global_inv scope:SCOPE_SE
	ds_load_b64 v[38:39], v146
	ds_load_b64 v[64:65], v148
	;; [unrolled: 1-line block ×8, first 2 shown]
	v_add_nc_u32_e32 v163, -8, v163
	s_xor_b32 s22, exec_lo, -1
	s_wait_loadcnt_dscnt 0x0
	s_barrier_signal -1
	s_barrier_wait -1
	global_inv scope:SCOPE_SE
	s_branch .LBB1123_171
.LBB1123_196:
	flat_load_b64 v[117:118], v[4:5]
	s_wait_alu 0xfffe
	s_or_b32 exec_lo, exec_lo, s17
                                        ; implicit-def: $vgpr130_vgpr131
	s_and_saveexec_b32 s17, s0
	s_cbranch_execz .LBB1123_36
.LBB1123_197:
	flat_load_b64 v[130:131], v[4:5] offset:256
	s_wait_alu 0xfffe
	s_or_b32 exec_lo, exec_lo, s17
                                        ; implicit-def: $vgpr134_vgpr135
	s_and_saveexec_b32 s0, s1
	s_cbranch_execz .LBB1123_37
.LBB1123_198:
	flat_load_b64 v[134:135], v[4:5] offset:512
	s_wait_alu 0xfffe
	s_or_b32 exec_lo, exec_lo, s0
                                        ; implicit-def: $vgpr128_vgpr129
	s_and_saveexec_b32 s0, s2
	s_cbranch_execz .LBB1123_38
.LBB1123_199:
	flat_load_b64 v[128:129], v[4:5] offset:768
	s_wait_alu 0xfffe
	s_or_b32 exec_lo, exec_lo, s0
                                        ; implicit-def: $vgpr132_vgpr133
	s_and_saveexec_b32 s0, s3
	s_cbranch_execz .LBB1123_39
.LBB1123_200:
	flat_load_b64 v[132:133], v[4:5] offset:1024
	s_wait_alu 0xfffe
	s_or_b32 exec_lo, exec_lo, s0
                                        ; implicit-def: $vgpr144_vgpr145
	s_and_saveexec_b32 s0, s4
	s_cbranch_execz .LBB1123_40
.LBB1123_201:
	flat_load_b64 v[144:145], v[4:5] offset:1280
	s_wait_alu 0xfffe
	s_or_b32 exec_lo, exec_lo, s0
                                        ; implicit-def: $vgpr146_vgpr147
	s_and_saveexec_b32 s0, s5
	s_cbranch_execz .LBB1123_41
.LBB1123_202:
	flat_load_b64 v[146:147], v[4:5] offset:1536
	s_wait_alu 0xfffe
	s_or_b32 exec_lo, exec_lo, s0
                                        ; implicit-def: $vgpr148_vgpr149
	s_and_saveexec_b32 s0, s6
	s_cbranch_execz .LBB1123_42
.LBB1123_203:
	flat_load_b64 v[148:149], v[4:5] offset:1792
	s_wait_alu 0xfffe
	s_or_b32 exec_lo, exec_lo, s0
                                        ; implicit-def: $vgpr150_vgpr151
	s_and_saveexec_b32 s0, s7
	s_cbranch_execz .LBB1123_43
.LBB1123_204:
	flat_load_b64 v[150:151], v[4:5] offset:2048
	s_wait_alu 0xfffe
	s_or_b32 exec_lo, exec_lo, s0
                                        ; implicit-def: $vgpr160_vgpr161
	s_and_saveexec_b32 s0, s10
	s_cbranch_execz .LBB1123_44
.LBB1123_205:
	flat_load_b64 v[160:161], v[4:5] offset:2304
	s_wait_alu 0xfffe
	s_or_b32 exec_lo, exec_lo, s0
                                        ; implicit-def: $vgpr162_vgpr163
	s_and_saveexec_b32 s0, s11
	s_cbranch_execz .LBB1123_45
.LBB1123_206:
	flat_load_b64 v[162:163], v[4:5] offset:2560
	s_wait_alu 0xfffe
	s_or_b32 exec_lo, exec_lo, s0
                                        ; implicit-def: $vgpr164_vgpr165
	s_and_saveexec_b32 s0, s12
	s_cbranch_execz .LBB1123_46
.LBB1123_207:
	flat_load_b64 v[164:165], v[4:5] offset:2816
	s_wait_alu 0xfffe
	s_or_b32 exec_lo, exec_lo, s0
                                        ; implicit-def: $vgpr166_vgpr167
	s_and_saveexec_b32 s0, s13
	s_cbranch_execz .LBB1123_47
.LBB1123_208:
	flat_load_b64 v[166:167], v[4:5] offset:3072
	s_wait_alu 0xfffe
	s_or_b32 exec_lo, exec_lo, s0
                                        ; implicit-def: $vgpr176_vgpr177
	s_and_saveexec_b32 s0, s14
	s_cbranch_execz .LBB1123_48
.LBB1123_209:
	flat_load_b64 v[176:177], v[4:5] offset:3328
	s_wait_alu 0xfffe
	s_or_b32 exec_lo, exec_lo, s0
                                        ; implicit-def: $vgpr178_vgpr179
	s_and_saveexec_b32 s0, s15
	s_cbranch_execz .LBB1123_49
.LBB1123_210:
	flat_load_b64 v[178:179], v[4:5] offset:3584
	s_wait_alu 0xfffe
	s_or_b32 exec_lo, exec_lo, s0
                                        ; implicit-def: $vgpr192_vgpr193
	s_and_saveexec_b32 s0, s16
	s_cbranch_execnz .LBB1123_50
	s_branch .LBB1123_51
.LBB1123_211:
	flat_store_b64 v[0:1], v[48:49]
	s_wait_alu 0xfffe
	s_or_b32 exec_lo, exec_lo, s17
	s_and_saveexec_b32 s17, s0
	s_cbranch_execz .LBB1123_127
.LBB1123_212:
	flat_store_b64 v[0:1], v[50:51] offset:2048
	s_wait_alu 0xfffe
	s_or_b32 exec_lo, exec_lo, s17
	s_and_saveexec_b32 s0, s1
	s_cbranch_execz .LBB1123_128
.LBB1123_213:
	flat_store_b64 v[0:1], v[32:33] offset:4096
	s_wait_alu 0xfffe
	s_or_b32 exec_lo, exec_lo, s0
	s_and_saveexec_b32 s0, s2
	s_cbranch_execz .LBB1123_129
.LBB1123_214:
	flat_store_b64 v[0:1], v[34:35] offset:6144
	s_wait_alu 0xfffe
	s_or_b32 exec_lo, exec_lo, s0
	s_and_saveexec_b32 s0, s3
	s_cbranch_execz .LBB1123_130
.LBB1123_215:
	flat_store_b64 v[0:1], v[28:29] offset:8192
	s_wait_alu 0xfffe
	s_or_b32 exec_lo, exec_lo, s0
	s_and_saveexec_b32 s0, s4
	s_cbranch_execz .LBB1123_131
.LBB1123_216:
	flat_store_b64 v[0:1], v[30:31] offset:10240
	s_wait_alu 0xfffe
	s_or_b32 exec_lo, exec_lo, s0
	s_and_saveexec_b32 s0, s5
	s_cbranch_execz .LBB1123_132
.LBB1123_217:
	flat_store_b64 v[0:1], v[24:25] offset:12288
	s_wait_alu 0xfffe
	s_or_b32 exec_lo, exec_lo, s0
	s_and_saveexec_b32 s0, s6
	s_cbranch_execz .LBB1123_133
.LBB1123_218:
	flat_store_b64 v[0:1], v[26:27] offset:14336
	s_wait_alu 0xfffe
	s_or_b32 exec_lo, exec_lo, s0
	s_and_saveexec_b32 s0, s7
	s_cbranch_execz .LBB1123_134
.LBB1123_219:
	flat_store_b64 v[0:1], v[20:21] offset:16384
	s_wait_alu 0xfffe
	s_or_b32 exec_lo, exec_lo, s0
	s_and_saveexec_b32 s0, s10
	s_cbranch_execz .LBB1123_135
.LBB1123_220:
	flat_store_b64 v[0:1], v[22:23] offset:18432
	s_wait_alu 0xfffe
	s_or_b32 exec_lo, exec_lo, s0
	s_and_saveexec_b32 s0, s11
	s_cbranch_execz .LBB1123_136
.LBB1123_221:
	flat_store_b64 v[0:1], v[16:17] offset:20480
	s_wait_alu 0xfffe
	s_or_b32 exec_lo, exec_lo, s0
	s_and_saveexec_b32 s0, s12
	s_cbranch_execz .LBB1123_137
.LBB1123_222:
	flat_store_b64 v[0:1], v[18:19] offset:22528
	s_wait_alu 0xfffe
	s_or_b32 exec_lo, exec_lo, s0
	s_and_saveexec_b32 s0, s13
	s_cbranch_execz .LBB1123_138
.LBB1123_223:
	flat_store_b64 v[0:1], v[12:13] offset:24576
	s_wait_alu 0xfffe
	s_or_b32 exec_lo, exec_lo, s0
	s_and_saveexec_b32 s0, s14
	s_cbranch_execz .LBB1123_139
.LBB1123_224:
	flat_store_b64 v[0:1], v[14:15] offset:26624
	s_wait_alu 0xfffe
	s_or_b32 exec_lo, exec_lo, s0
	s_and_saveexec_b32 s0, s15
	s_cbranch_execz .LBB1123_140
.LBB1123_225:
	flat_store_b64 v[0:1], v[8:9] offset:28672
	s_wait_alu 0xfffe
	s_or_b32 exec_lo, exec_lo, s0
	s_and_saveexec_b32 s0, s16
	s_cbranch_execnz .LBB1123_141
	s_branch .LBB1123_142
.LBB1123_226:
	s_or_b32 exec_lo, exec_lo, s21
	v_lshl_add_u32 v1, v21, 3, v12
	s_barrier_signal -1
	s_barrier_wait -1
	s_wait_loadcnt 0x0
	global_inv scope:SCOPE_SE
	ds_store_b64 v0, v[22:23]
	ds_store_b64 v164, v[26:27]
	;; [unrolled: 1-line block ×8, first 2 shown]
	s_wait_loadcnt_dscnt 0x0
	s_barrier_signal -1
	s_barrier_wait -1
	global_inv scope:SCOPE_SE
	ds_load_2addr_stride64_b64 v[36:39], v1 offset1:4
	ds_load_2addr_stride64_b64 v[32:35], v1 offset0:8 offset1:12
	ds_load_2addr_stride64_b64 v[28:31], v1 offset0:16 offset1:20
	;; [unrolled: 1-line block ×3, first 2 shown]
	s_wait_loadcnt_dscnt 0x0
	s_barrier_signal -1
	s_barrier_wait -1
	global_inv scope:SCOPE_SE
	ds_store_b64 v0, v[4:5]
	ds_store_b64 v164, v[13:14]
	;; [unrolled: 1-line block ×8, first 2 shown]
	s_wait_loadcnt_dscnt 0x0
	s_barrier_signal -1
	s_barrier_wait -1
	global_inv scope:SCOPE_SE
	ds_load_2addr_stride64_b64 v[20:23], v1 offset1:4
	ds_load_2addr_stride64_b64 v[16:19], v1 offset0:8 offset1:12
	ds_load_2addr_stride64_b64 v[12:15], v1 offset0:16 offset1:20
	;; [unrolled: 1-line block ×3, first 2 shown]
	v_mov_b32_e32 v51, 0
	v_add_co_u32 v2, vcc_lo, v2, v48
	s_wait_alu 0xfffd
	v_add_co_ci_u32_e64 v3, null, v3, v49, vcc_lo
	s_delay_alu instid0(VALU_DEP_3)
	v_lshlrev_b64_e32 v[0:1], 3, v[50:51]
	s_wait_loadcnt_dscnt 0x0
	s_barrier_signal -1
	s_barrier_wait -1
	global_inv scope:SCOPE_SE
	v_add_co_u32 v2, vcc_lo, v2, v0
	s_wait_alu 0xfffd
	v_add_co_ci_u32_e64 v3, null, v3, v1, vcc_lo
	v_cmp_lt_u32_e32 vcc_lo, v50, v119
	s_and_saveexec_b32 s1, vcc_lo
	s_cbranch_execz .LBB1123_228
; %bb.227:
	v_cmp_gt_i64_e64 s0, 0, v[36:37]
	v_ashrrev_i32_e32 v4, 31, v37
	s_delay_alu instid0(VALU_DEP_1) | instskip(SKIP_1) | instid1(VALU_DEP_3)
	v_not_b32_e32 v4, v4
	s_wait_alu 0xf1ff
	v_cndmask_b32_e64 v5, 0x7fffffff, 0, s0
	s_delay_alu instid0(VALU_DEP_2) | instskip(NEXT) | instid1(VALU_DEP_2)
	v_xor_b32_e32 v4, v4, v36
	v_xor_b32_e32 v5, v5, v37
	flat_store_b64 v[2:3], v[4:5]
.LBB1123_228:
	s_wait_alu 0xfffe
	s_or_b32 exec_lo, exec_lo, s1
	v_add_nc_u32_e32 v4, 0x100, v50
	s_delay_alu instid0(VALU_DEP_1)
	v_cmp_lt_u32_e64 s0, v4, v119
	s_and_saveexec_b32 s2, s0
	s_cbranch_execz .LBB1123_230
; %bb.229:
	v_cmp_gt_i64_e64 s1, 0, v[38:39]
	v_ashrrev_i32_e32 v4, 31, v39
	s_delay_alu instid0(VALU_DEP_1) | instskip(SKIP_1) | instid1(VALU_DEP_3)
	v_not_b32_e32 v4, v4
	s_wait_alu 0xf1ff
	v_cndmask_b32_e64 v5, 0x7fffffff, 0, s1
	s_delay_alu instid0(VALU_DEP_2) | instskip(NEXT) | instid1(VALU_DEP_2)
	v_xor_b32_e32 v4, v4, v38
	v_xor_b32_e32 v5, v5, v39
	flat_store_b64 v[2:3], v[4:5] offset:2048
.LBB1123_230:
	s_wait_alu 0xfffe
	s_or_b32 exec_lo, exec_lo, s2
	v_add_nc_u32_e32 v4, 0x200, v50
	s_delay_alu instid0(VALU_DEP_1)
	v_cmp_lt_u32_e64 s1, v4, v119
	s_and_saveexec_b32 s3, s1
	s_cbranch_execz .LBB1123_232
; %bb.231:
	v_cmp_gt_i64_e64 s2, 0, v[32:33]
	v_ashrrev_i32_e32 v4, 31, v33
	s_delay_alu instid0(VALU_DEP_1) | instskip(SKIP_1) | instid1(VALU_DEP_3)
	v_not_b32_e32 v4, v4
	s_wait_alu 0xf1ff
	v_cndmask_b32_e64 v5, 0x7fffffff, 0, s2
	s_delay_alu instid0(VALU_DEP_2) | instskip(NEXT) | instid1(VALU_DEP_2)
	v_xor_b32_e32 v4, v4, v32
	v_xor_b32_e32 v5, v5, v33
	flat_store_b64 v[2:3], v[4:5] offset:4096
.LBB1123_232:
	;; [unrolled: 19-line block ×7, first 2 shown]
	s_wait_alu 0xfffe
	s_or_b32 exec_lo, exec_lo, s10
	v_add_co_u32 v2, s7, v6, v48
	s_wait_alu 0xf1ff
	v_add_co_ci_u32_e64 v3, null, v7, v49, s7
	s_delay_alu instid0(VALU_DEP_2) | instskip(SKIP_1) | instid1(VALU_DEP_2)
	v_add_co_u32 v0, s7, v2, v0
	s_wait_alu 0xf1ff
	v_add_co_ci_u32_e64 v1, null, v3, v1, s7
	s_and_saveexec_b32 s7, vcc_lo
	s_cbranch_execnz .LBB1123_292
; %bb.243:
	s_wait_alu 0xfffe
	s_or_b32 exec_lo, exec_lo, s7
	s_and_saveexec_b32 s7, s0
	s_cbranch_execnz .LBB1123_293
.LBB1123_244:
	s_wait_alu 0xfffe
	s_or_b32 exec_lo, exec_lo, s7
	s_and_saveexec_b32 s0, s1
	s_cbranch_execnz .LBB1123_294
.LBB1123_245:
	s_wait_alu 0xfffe
	s_or_b32 exec_lo, exec_lo, s0
	s_and_saveexec_b32 s0, s2
	s_cbranch_execnz .LBB1123_295
.LBB1123_246:
	s_wait_alu 0xfffe
	s_or_b32 exec_lo, exec_lo, s0
	s_and_saveexec_b32 s0, s3
	s_cbranch_execnz .LBB1123_296
.LBB1123_247:
	s_wait_alu 0xfffe
	s_or_b32 exec_lo, exec_lo, s0
	s_and_saveexec_b32 s0, s4
	s_cbranch_execnz .LBB1123_297
.LBB1123_248:
	s_wait_alu 0xfffe
	s_or_b32 exec_lo, exec_lo, s0
	s_and_saveexec_b32 s0, s5
	s_cbranch_execnz .LBB1123_298
.LBB1123_249:
	s_wait_alu 0xfffe
	s_or_b32 exec_lo, exec_lo, s0
	s_and_saveexec_b32 s0, s6
	s_cbranch_execz .LBB1123_251
.LBB1123_250:
	flat_store_b64 v[0:1], v[10:11] offset:14336
.LBB1123_251:
	s_wait_alu 0xfffe
	s_or_b32 exec_lo, exec_lo, s0
                                        ; implicit-def: $vgpr119
                                        ; implicit-def: $vgpr0
                                        ; implicit-def: $vgpr1
                                        ; implicit-def: $vgpr2
                                        ; implicit-def: $vgpr3
                                        ; implicit-def: $vgpr4
                                        ; implicit-def: $vgpr5
                                        ; implicit-def: $vgpr6
                                        ; implicit-def: $vgpr7
                                        ; implicit-def: $vgpr8
                                        ; implicit-def: $vgpr10
                                        ; implicit-def: $vgpr11
                                        ; implicit-def: $vgpr12
                                        ; implicit-def: $vgpr9
                                        ; implicit-def: $vgpr13
                                        ; implicit-def: $vgpr21
                                        ; implicit-def: $vgpr54
.LBB1123_252:
	s_wait_alu 0xfffe
	s_and_not1_saveexec_b32 s0, s19
	s_cbranch_execz .LBB1123_372
; %bb.253:
	s_mov_b32 s0, exec_lo
	v_cmpx_lt_u32_e32 0x200, v119
	s_wait_alu 0xfffe
	s_xor_b32 s19, exec_lo, s0
	s_cbranch_execz .LBB1123_313
; %bb.254:
	s_load_b64 s[0:1], s[8:9], 0x0
	s_and_b32 s2, ttmp7, 0xffff
	s_mov_b32 s3, 0
	s_wait_kmcnt 0x0
	s_wait_alu 0xfffe
	s_cmp_lt_u32 s2, s1
	s_cselect_b32 s2, 14, 20
	s_cmp_lt_u32 ttmp9, s0
	s_wait_alu 0xfffe
	s_add_nc_u64 s[4:5], s[8:9], s[2:3]
	s_cselect_b32 s2, 12, 18
	s_load_u16 s4, s[4:5], 0x0
	s_add_nc_u64 s[0:1], s[8:9], s[2:3]
	s_load_u16 s0, s[0:1], 0x0
	s_wait_kmcnt 0x0
	v_mad_u32_u24 v13, v13, s4, v9
	v_mov_b32_e32 v9, 0
	s_delay_alu instid0(VALU_DEP_2) | instskip(SKIP_1) | instid1(VALU_DEP_3)
	v_mad_co_u64_u32 v[26:27], null, v13, s0, v[21:22]
	v_dual_mov_b32 v13, -1 :: v_dual_lshlrev_b32 v22, 3, v54
	v_lshlrev_b64_e32 v[24:25], 3, v[8:9]
	s_delay_alu instid0(VALU_DEP_3) | instskip(NEXT) | instid1(VALU_DEP_3)
	v_lshlrev_b32_e32 v8, 2, v26
	v_dual_mov_b32 v14, v13 :: v_dual_mov_b32 v15, v13
	s_delay_alu instid0(VALU_DEP_3) | instskip(NEXT) | instid1(VALU_DEP_3)
	v_add_co_u32 v20, vcc_lo, v0, v24
	v_and_b32_e32 v8, 0xffffff80, v8
	s_wait_alu 0xfffd
	v_add_co_ci_u32_e64 v27, null, v1, v25, vcc_lo
	v_dual_mov_b32 v16, v13 :: v_dual_mov_b32 v17, v13
	s_delay_alu instid0(VALU_DEP_3)
	v_lshlrev_b64_e32 v[0:1], 3, v[8:9]
	v_or_b32_e32 v23, v8, v54
	v_add_co_u32 v8, vcc_lo, v20, v22
	s_wait_alu 0xfffd
	v_add_co_ci_u32_e64 v9, null, 0, v27, vcc_lo
	v_dual_mov_b32 v18, v13 :: v_dual_mov_b32 v19, v13
	s_delay_alu instid0(VALU_DEP_3)
	v_add_co_u32 v8, s0, v8, v0
	v_cmp_lt_u32_e32 vcc_lo, v23, v119
	s_wait_alu 0xf1ff
	v_add_co_ci_u32_e64 v9, null, v9, v1, s0
	v_mov_b32_e32 v20, v13
	s_and_saveexec_b32 s0, vcc_lo
	s_cbranch_execz .LBB1123_256
; %bb.255:
	flat_load_b64 v[27:28], v[8:9]
	v_dual_mov_b32 v29, v13 :: v_dual_mov_b32 v30, v13
	v_dual_mov_b32 v31, v13 :: v_dual_mov_b32 v32, v13
	;; [unrolled: 1-line block ×3, first 2 shown]
	s_wait_loadcnt_dscnt 0x0
	v_dual_mov_b32 v13, v27 :: v_dual_mov_b32 v14, v28
	v_dual_mov_b32 v15, v29 :: v_dual_mov_b32 v16, v30
	;; [unrolled: 1-line block ×4, first 2 shown]
.LBB1123_256:
	s_wait_alu 0xfffe
	s_or_b32 exec_lo, exec_lo, s0
	v_or_b32_e32 v27, 32, v23
	s_delay_alu instid0(VALU_DEP_1)
	v_cmp_lt_u32_e64 s0, v27, v119
	s_and_saveexec_b32 s1, s0
	s_cbranch_execz .LBB1123_258
; %bb.257:
	flat_load_b64 v[15:16], v[8:9] offset:256
.LBB1123_258:
	s_wait_alu 0xfffe
	s_or_b32 exec_lo, exec_lo, s1
	v_or_b32_e32 v27, 64, v23
	s_delay_alu instid0(VALU_DEP_1)
	v_cmp_lt_u32_e64 s1, v27, v119
	s_and_saveexec_b32 s2, s1
	s_cbranch_execz .LBB1123_260
; %bb.259:
	flat_load_b64 v[17:18], v[8:9] offset:512
.LBB1123_260:
	;; [unrolled: 10-line block ×3, first 2 shown]
	s_wait_alu 0xfffe
	s_or_b32 exec_lo, exec_lo, s3
	v_add_co_u32 v4, s3, v4, v24
	s_wait_alu 0xf1ff
	v_add_co_ci_u32_e64 v5, null, v5, v25, s3
                                        ; implicit-def: $vgpr31_vgpr32
	s_delay_alu instid0(VALU_DEP_2) | instskip(SKIP_1) | instid1(VALU_DEP_2)
	v_add_co_u32 v4, s3, v4, v22
	s_wait_alu 0xf1ff
	v_add_co_ci_u32_e64 v5, null, 0, v5, s3
	s_delay_alu instid0(VALU_DEP_2) | instskip(SKIP_1) | instid1(VALU_DEP_2)
	v_add_co_u32 v0, s3, v4, v0
	s_wait_alu 0xf1ff
	v_add_co_ci_u32_e64 v1, null, v5, v1, s3
	s_and_saveexec_b32 s3, vcc_lo
	s_cbranch_execnz .LBB1123_337
; %bb.263:
	s_wait_alu 0xfffe
	s_or_b32 exec_lo, exec_lo, s3
                                        ; implicit-def: $vgpr33_vgpr34
	s_and_saveexec_b32 s3, s0
	s_cbranch_execnz .LBB1123_338
.LBB1123_264:
	s_wait_alu 0xfffe
	s_or_b32 exec_lo, exec_lo, s3
                                        ; implicit-def: $vgpr35_vgpr36
	s_and_saveexec_b32 s0, s1
	s_cbranch_execnz .LBB1123_339
.LBB1123_265:
	s_wait_alu 0xfffe
	s_or_b32 exec_lo, exec_lo, s0
                                        ; implicit-def: $vgpr22_vgpr23
	s_and_saveexec_b32 s0, s2
	s_cbranch_execz .LBB1123_267
.LBB1123_266:
	flat_load_b64 v[22:23], v[0:1] offset:768
.LBB1123_267:
	s_wait_alu 0xfffe
	s_or_b32 exec_lo, exec_lo, s0
	v_cmp_gt_i64_e32 vcc_lo, 0, v[13:14]
	v_ashrrev_i32_e32 v0, 31, v14
	s_wait_loadcnt_dscnt 0x0
	v_ashrrev_i32_e32 v4, 31, v16
	s_getpc_b64 s[0:1]
	s_wait_alu 0xfffe
	s_sext_i32_i16 s1, s1
	s_add_co_u32 s0, s0, _ZN7rocprim17ROCPRIM_400000_NS16block_radix_sortIdLj256ELj4ElLj1ELj1ELj8ELNS0_26block_radix_rank_algorithmE2ELNS0_18block_padding_hintE2ELNS0_4arch9wavefront6targetE0EE19radix_bits_per_passE@rel32@lo+12
	s_wait_alu 0xfffe
	s_add_co_ci_u32 s1, s1, _ZN7rocprim17ROCPRIM_400000_NS16block_radix_sortIdLj256ELj4ElLj1ELj1ELj8ELNS0_26block_radix_rank_algorithmE2ELNS0_18block_padding_hintE2ELNS0_4arch9wavefront6targetE0EE19radix_bits_per_passE@rel32@hi+24
	v_and_b32_e32 v8, 7, v54
	s_load_b32 s20, s[0:1], 0x0
	v_cndmask_b32_e64 v1, 0x7fffffff, 0, vcc_lo
	v_cmp_gt_i64_e32 vcc_lo, 0, v[15:16]
	v_not_b32_e32 v0, v0
	v_lshrrev_b32_e32 v70, 5, v26
	v_cmp_lt_u32_e64 s7, 31, v21
	v_xor_b32_e32 v51, v1, v14
	v_not_b32_e32 v1, v4
	v_xor_b32_e32 v50, v0, v13
	s_wait_alu 0xfffd
	v_cndmask_b32_e64 v0, 0x7fffffff, 0, vcc_lo
	v_cmp_gt_i64_e32 vcc_lo, 0, v[17:18]
	v_ashrrev_i32_e32 v4, 31, v18
	v_xor_b32_e32 v37, v1, v15
	v_cmp_eq_u32_e64 s10, 0, v21
	v_xor_b32_e32 v38, v0, v16
	v_ashrrev_i32_e32 v0, 31, v20
	s_wait_alu 0xfffd
	v_cndmask_b32_e64 v5, 0x7fffffff, 0, vcc_lo
	v_cmp_gt_i64_e32 vcc_lo, 0, v[19:20]
	v_not_b32_e32 v1, v4
	v_cmp_eq_u32_e64 s11, 0, v8
	v_not_b32_e32 v0, v0
	v_xor_b32_e32 v49, v5, v18
	v_lshl_add_u32 v5, v21, 5, v12
	s_wait_alu 0xfffd
	v_cndmask_b32_e64 v4, 0x7fffffff, 0, vcc_lo
	v_xor_b32_e32 v48, v1, v17
	v_xor_b32_e32 v52, v0, v19
	v_and_b32_e32 v0, 0x3e0, v21
	v_add_nc_u32_e32 v39, 32, v5
	v_xor_b32_e32 v53, v4, v20
	v_add_nc_u32_e32 v55, 36, v5
	v_add_nc_u32_e32 v64, 40, v5
	v_min_u32_e32 v0, 0xe0, v0
	v_add_nc_u32_e32 v65, 44, v5
	v_add_nc_u32_e32 v66, 48, v5
	v_add_nc_u32_e32 v67, 52, v5
	v_add_nc_u32_e32 v68, 56, v5
	v_add_nc_u32_e32 v69, 60, v5
	v_and_b32_e32 v4, 16, v54
	v_or_b32_e32 v0, 31, v0
	v_sub_co_u32 v5, s2, v54, 1
	v_and_b32_e32 v1, 15, v54
	s_delay_alu instid0(VALU_DEP_4) | instskip(NEXT) | instid1(VALU_DEP_4)
	v_cmp_eq_u32_e64 s4, 0, v4
	v_cmp_eq_u32_e64 s5, v21, v0
	v_lshrrev_b32_e32 v0, 3, v21
	v_cmp_gt_i32_e64 s6, 0, v5
	v_lshlrev_b32_e32 v4, 2, v21
	v_cmp_eq_u32_e32 vcc_lo, 0, v1
	v_cmp_lt_u32_e64 s0, 1, v1
	v_cmp_lt_u32_e64 s1, 3, v1
	;; [unrolled: 1-line block ×3, first 2 shown]
	s_wait_alu 0xf1ff
	v_cndmask_b32_e64 v1, v5, v54, s6
	v_and_b32_e32 v0, 0x7c, v0
	v_and_or_b32 v5, 0xf80, v4, v54
	v_cmp_gt_u32_e64 s6, 8, v21
	v_add_nc_u32_e32 v80, v12, v4
	v_lshlrev_b32_e32 v71, 2, v1
	v_add_nc_u32_e32 v54, v12, v0
	v_lshl_add_u32 v81, v5, 3, v12
	v_mov_b32_e32 v1, 0
	v_cmp_lt_u32_e64 s12, 1, v8
	v_cmp_lt_u32_e64 s13, 3, v8
	v_add_nc_u32_e32 v82, -4, v54
	v_add_nc_u32_e32 v83, 0x100, v81
	v_add_nc_u32_e32 v84, 0x200, v81
	;; [unrolled: 1-line block ×3, first 2 shown]
	v_sub_nc_u32_e32 v86, v11, v10
	s_mov_b32 s16, 0
	s_brev_b32 s17, 1
	s_wait_alu 0xfffe
	s_mov_b32 s21, s16
	s_wait_storecnt 0x0
	s_barrier_signal -1
	s_barrier_wait -1
	global_inv scope:SCOPE_SE
	s_branch .LBB1123_269
.LBB1123_268:                           ;   in Loop: Header=BB1123_269 Depth=1
	s_wait_alu 0xfffe
	s_or_b32 exec_lo, exec_lo, s15
	s_delay_alu instid0(SALU_CYCLE_1)
	s_and_b32 s14, exec_lo, s22
	s_wait_alu 0xfffe
	s_or_b32 s21, s14, s21
	s_wait_alu 0xfffe
	s_and_not1_b32 exec_lo, exec_lo, s21
	s_cbranch_execz .LBB1123_299
.LBB1123_269:                           ; =>This Inner Loop Header: Depth=1
	v_dual_mov_b32 v4, v50 :: v_dual_mov_b32 v5, v51
	s_wait_kmcnt 0x0
	v_min_u32_e32 v0, s20, v86
	v_dual_mov_b32 v15, v52 :: v_dual_mov_b32 v16, v53
	v_dual_mov_b32 v17, v48 :: v_dual_mov_b32 v18, v49
	v_cmp_ne_u64_e64 s14, s[16:17], v[4:5]
	s_delay_alu instid0(VALU_DEP_4)
	v_lshlrev_b32_e64 v0, v0, -1
	ds_store_b32 v39, v1
	ds_store_b32 v55, v1
	ds_store_b32 v64, v1
	ds_store_b32 v65, v1
	ds_store_b32 v66, v1
	ds_store_b32 v67, v1
	ds_store_b32 v68, v1
	s_wait_alu 0xf1ff
	v_cndmask_b32_e64 v9, 0x7fffffff, v5, s14
	v_cndmask_b32_e64 v8, -1, v4, s14
	v_not_b32_e32 v50, v0
	ds_store_b32 v69, v1
	s_wait_loadcnt_dscnt 0x0
	s_barrier_signal -1
	v_lshrrev_b64 v[8:9], v10, v[8:9]
	s_barrier_wait -1
	global_inv scope:SCOPE_SE
	v_dual_mov_b32 v19, v37 :: v_dual_mov_b32 v20, v38
	v_dual_mov_b32 v27, v31 :: v_dual_and_b32 v0, v8, v50
	v_mov_b32_e32 v8, v35
	v_dual_mov_b32 v28, v32 :: v_dual_mov_b32 v13, v33
	v_dual_mov_b32 v14, v34 :: v_dual_mov_b32 v9, v36
	s_delay_alu instid0(VALU_DEP_4)
	v_and_b32_e32 v29, 1, v0
	v_lshlrev_b32_e32 v30, 30, v0
	v_lshlrev_b32_e32 v31, 29, v0
	v_lshlrev_b32_e32 v32, 28, v0
	v_lshlrev_b32_e32 v34, 27, v0
	v_add_co_u32 v29, s14, v29, -1
	s_wait_alu 0xf1ff
	v_cndmask_b32_e64 v33, 0, 1, s14
	v_not_b32_e32 v37, v30
	v_cmp_gt_i32_e64 s15, 0, v30
	v_not_b32_e32 v30, v31
	v_lshlrev_b32_e32 v35, 26, v0
	v_cmp_ne_u32_e64 s14, 0, v33
	v_ashrrev_i32_e32 v37, 31, v37
	v_lshlrev_b32_e32 v36, 25, v0
	v_ashrrev_i32_e32 v30, 31, v30
	v_lshlrev_b32_e32 v33, 24, v0
	s_wait_alu 0xf1ff
	v_xor_b32_e32 v29, s14, v29
	v_cmp_gt_i32_e64 s14, 0, v31
	v_not_b32_e32 v31, v32
	v_xor_b32_e32 v37, s15, v37
	v_cmp_gt_i32_e64 s15, 0, v32
	v_and_b32_e32 v29, exec_lo, v29
	v_not_b32_e32 v32, v34
	v_ashrrev_i32_e32 v31, 31, v31
	s_wait_alu 0xf1ff
	v_xor_b32_e32 v30, s14, v30
	v_cmp_gt_i32_e64 s14, 0, v34
	v_and_b32_e32 v29, v29, v37
	v_not_b32_e32 v34, v35
	v_ashrrev_i32_e32 v32, 31, v32
	v_xor_b32_e32 v31, s15, v31
	v_cmp_gt_i32_e64 s15, 0, v35
	v_and_b32_e32 v29, v29, v30
	v_not_b32_e32 v30, v36
	v_ashrrev_i32_e32 v34, 31, v34
	s_wait_alu 0xf1ff
	v_xor_b32_e32 v32, s14, v32
	v_cmp_gt_i32_e64 s14, 0, v36
	v_and_b32_e32 v29, v29, v31
	v_not_b32_e32 v31, v33
	v_ashrrev_i32_e32 v35, 31, v30
	v_xor_b32_e32 v34, s15, v34
	v_cmp_gt_i32_e64 s15, 0, v33
	v_and_b32_e32 v32, v29, v32
	v_dual_mov_b32 v30, v23 :: v_dual_mov_b32 v29, v22
	v_ashrrev_i32_e32 v22, 31, v31
	s_wait_alu 0xf1ff
	v_xor_b32_e32 v23, s14, v35
	v_and_b32_e32 v31, v32, v34
	v_lshl_add_u32 v0, v0, 3, v70
	v_xor_b32_e32 v22, s15, v22
	; wave barrier
	s_delay_alu instid0(VALU_DEP_3) | instskip(NEXT) | instid1(VALU_DEP_3)
	v_and_b32_e32 v23, v31, v23
	v_lshlrev_b64_e32 v[31:32], 2, v[0:1]
	s_delay_alu instid0(VALU_DEP_2) | instskip(NEXT) | instid1(VALU_DEP_2)
	v_and_b32_e32 v23, v23, v22
	v_add_co_u32 v22, null, v12, v31
	s_delay_alu instid0(VALU_DEP_2) | instskip(SKIP_1) | instid1(VALU_DEP_3)
	v_mbcnt_lo_u32_b32 v0, v23, 0
	v_cmp_ne_u32_e64 s15, 0, v23
	v_add_co_u32 v22, null, v22, 32
	s_delay_alu instid0(VALU_DEP_3)
	v_cmp_eq_u32_e64 s14, 0, v0
	s_and_b32 s15, s15, s14
	s_wait_alu 0xfffe
	s_and_saveexec_b32 s14, s15
; %bb.270:                              ;   in Loop: Header=BB1123_269 Depth=1
	v_bcnt_u32_b32 v23, v23, 0
	ds_store_b32 v22, v23
; %bb.271:                              ;   in Loop: Header=BB1123_269 Depth=1
	s_wait_alu 0xfffe
	s_or_b32 exec_lo, exec_lo, s14
	v_cmp_ne_u64_e64 s14, s[16:17], v[19:20]
	; wave barrier
	s_wait_alu 0xf1ff
	s_delay_alu instid0(VALU_DEP_1) | instskip(SKIP_1) | instid1(VALU_DEP_1)
	v_cndmask_b32_e64 v32, 0x7fffffff, v20, s14
	v_cndmask_b32_e64 v31, -1, v19, s14
	v_lshrrev_b64 v[31:32], v10, v[31:32]
	s_delay_alu instid0(VALU_DEP_1) | instskip(NEXT) | instid1(VALU_DEP_1)
	v_and_b32_e32 v23, v31, v50
	v_and_b32_e32 v31, 1, v23
	v_lshlrev_b32_e32 v32, 30, v23
	v_lshlrev_b32_e32 v33, 29, v23
	;; [unrolled: 1-line block ×4, first 2 shown]
	v_add_co_u32 v31, s14, v31, -1
	s_wait_alu 0xf1ff
	v_cndmask_b32_e64 v35, 0, 1, s14
	v_not_b32_e32 v48, v32
	v_cmp_gt_i32_e64 s15, 0, v32
	v_not_b32_e32 v32, v33
	v_lshlrev_b32_e32 v37, 26, v23
	v_cmp_ne_u32_e64 s14, 0, v35
	v_ashrrev_i32_e32 v48, 31, v48
	v_lshlrev_b32_e32 v38, 25, v23
	v_ashrrev_i32_e32 v32, 31, v32
	v_lshlrev_b32_e32 v35, 24, v23
	s_wait_alu 0xf1ff
	v_xor_b32_e32 v31, s14, v31
	v_cmp_gt_i32_e64 s14, 0, v33
	v_not_b32_e32 v33, v34
	v_xor_b32_e32 v48, s15, v48
	v_cmp_gt_i32_e64 s15, 0, v34
	v_and_b32_e32 v31, exec_lo, v31
	v_not_b32_e32 v34, v36
	v_ashrrev_i32_e32 v33, 31, v33
	s_wait_alu 0xf1ff
	v_xor_b32_e32 v32, s14, v32
	v_cmp_gt_i32_e64 s14, 0, v36
	v_and_b32_e32 v31, v31, v48
	v_not_b32_e32 v36, v37
	v_ashrrev_i32_e32 v34, 31, v34
	v_xor_b32_e32 v33, s15, v33
	v_cmp_gt_i32_e64 s15, 0, v37
	v_and_b32_e32 v31, v31, v32
	v_not_b32_e32 v32, v38
	v_ashrrev_i32_e32 v36, 31, v36
	s_wait_alu 0xf1ff
	v_xor_b32_e32 v34, s14, v34
	v_cmp_gt_i32_e64 s14, 0, v38
	v_and_b32_e32 v31, v31, v33
	v_not_b32_e32 v33, v35
	v_ashrrev_i32_e32 v32, 31, v32
	v_xor_b32_e32 v36, s15, v36
	v_lshl_add_u32 v23, v23, 3, v70
	v_and_b32_e32 v31, v31, v34
	v_cmp_gt_i32_e64 s15, 0, v35
	v_ashrrev_i32_e32 v33, 31, v33
	s_wait_alu 0xf1ff
	v_xor_b32_e32 v32, s14, v32
	v_lshl_add_u32 v34, v23, 2, v12
	v_and_b32_e32 v31, v31, v36
	v_xor_b32_e32 v33, s15, v33
	ds_load_b32 v23, v34 offset:32
	v_and_b32_e32 v31, v31, v32
	v_add_nc_u32_e32 v32, 32, v34
	; wave barrier
	s_delay_alu instid0(VALU_DEP_2) | instskip(NEXT) | instid1(VALU_DEP_1)
	v_and_b32_e32 v33, v31, v33
	v_mbcnt_lo_u32_b32 v31, v33, 0
	v_cmp_ne_u32_e64 s15, 0, v33
	s_delay_alu instid0(VALU_DEP_2)
	v_cmp_eq_u32_e64 s14, 0, v31
	s_and_b32 s15, s15, s14
	s_wait_alu 0xfffe
	s_and_saveexec_b32 s14, s15
	s_cbranch_execz .LBB1123_273
; %bb.272:                              ;   in Loop: Header=BB1123_269 Depth=1
	s_wait_dscnt 0x0
	v_bcnt_u32_b32 v33, v33, v23
	ds_store_b32 v32, v33
.LBB1123_273:                           ;   in Loop: Header=BB1123_269 Depth=1
	s_wait_alu 0xfffe
	s_or_b32 exec_lo, exec_lo, s14
	v_cmp_ne_u64_e64 s14, s[16:17], v[17:18]
	; wave barrier
	s_wait_alu 0xf1ff
	s_delay_alu instid0(VALU_DEP_1) | instskip(SKIP_1) | instid1(VALU_DEP_1)
	v_cndmask_b32_e64 v34, 0x7fffffff, v18, s14
	v_cndmask_b32_e64 v33, -1, v17, s14
	v_lshrrev_b64 v[33:34], v10, v[33:34]
	s_delay_alu instid0(VALU_DEP_1) | instskip(NEXT) | instid1(VALU_DEP_1)
	v_and_b32_e32 v33, v33, v50
	v_and_b32_e32 v34, 1, v33
	v_lshlrev_b32_e32 v35, 30, v33
	v_lshlrev_b32_e32 v36, 29, v33
	;; [unrolled: 1-line block ×4, first 2 shown]
	v_add_co_u32 v34, s14, v34, -1
	s_wait_alu 0xf1ff
	v_cndmask_b32_e64 v38, 0, 1, s14
	v_not_b32_e32 v52, v35
	v_cmp_gt_i32_e64 s15, 0, v35
	v_not_b32_e32 v35, v36
	v_lshlrev_b32_e32 v49, 26, v33
	v_cmp_ne_u32_e64 s14, 0, v38
	v_ashrrev_i32_e32 v52, 31, v52
	v_lshlrev_b32_e32 v51, 25, v33
	v_ashrrev_i32_e32 v35, 31, v35
	v_lshlrev_b32_e32 v38, 24, v33
	s_wait_alu 0xf1ff
	v_xor_b32_e32 v34, s14, v34
	v_cmp_gt_i32_e64 s14, 0, v36
	v_not_b32_e32 v36, v37
	v_xor_b32_e32 v52, s15, v52
	v_cmp_gt_i32_e64 s15, 0, v37
	v_and_b32_e32 v34, exec_lo, v34
	v_not_b32_e32 v37, v48
	v_ashrrev_i32_e32 v36, 31, v36
	s_wait_alu 0xf1ff
	v_xor_b32_e32 v35, s14, v35
	v_cmp_gt_i32_e64 s14, 0, v48
	v_and_b32_e32 v34, v34, v52
	v_not_b32_e32 v48, v49
	v_ashrrev_i32_e32 v37, 31, v37
	v_xor_b32_e32 v36, s15, v36
	v_cmp_gt_i32_e64 s15, 0, v49
	v_and_b32_e32 v34, v34, v35
	v_not_b32_e32 v35, v51
	v_ashrrev_i32_e32 v48, 31, v48
	s_wait_alu 0xf1ff
	v_xor_b32_e32 v37, s14, v37
	v_cmp_gt_i32_e64 s14, 0, v51
	v_and_b32_e32 v34, v34, v36
	v_not_b32_e32 v36, v38
	v_ashrrev_i32_e32 v35, 31, v35
	v_xor_b32_e32 v48, s15, v48
	v_lshl_add_u32 v33, v33, 3, v70
	v_and_b32_e32 v34, v34, v37
	v_cmp_gt_i32_e64 s15, 0, v38
	v_ashrrev_i32_e32 v36, 31, v36
	s_wait_alu 0xf1ff
	v_xor_b32_e32 v35, s14, v35
	v_lshl_add_u32 v37, v33, 2, v12
	v_and_b32_e32 v34, v34, v48
	v_xor_b32_e32 v36, s15, v36
	ds_load_b32 v33, v37 offset:32
	v_and_b32_e32 v34, v34, v35
	v_add_nc_u32_e32 v35, 32, v37
	; wave barrier
	s_delay_alu instid0(VALU_DEP_2) | instskip(NEXT) | instid1(VALU_DEP_1)
	v_and_b32_e32 v36, v34, v36
	v_mbcnt_lo_u32_b32 v34, v36, 0
	v_cmp_ne_u32_e64 s15, 0, v36
	s_delay_alu instid0(VALU_DEP_2)
	v_cmp_eq_u32_e64 s14, 0, v34
	s_and_b32 s15, s15, s14
	s_wait_alu 0xfffe
	s_and_saveexec_b32 s14, s15
	s_cbranch_execz .LBB1123_275
; %bb.274:                              ;   in Loop: Header=BB1123_269 Depth=1
	s_wait_dscnt 0x0
	v_bcnt_u32_b32 v36, v36, v33
	ds_store_b32 v35, v36
.LBB1123_275:                           ;   in Loop: Header=BB1123_269 Depth=1
	s_wait_alu 0xfffe
	s_or_b32 exec_lo, exec_lo, s14
	v_cmp_ne_u64_e64 s14, s[16:17], v[15:16]
	; wave barrier
	s_wait_alu 0xf1ff
	s_delay_alu instid0(VALU_DEP_1) | instskip(SKIP_1) | instid1(VALU_DEP_1)
	v_cndmask_b32_e64 v37, 0x7fffffff, v16, s14
	v_cndmask_b32_e64 v36, -1, v15, s14
	v_lshrrev_b64 v[36:37], v10, v[36:37]
	s_delay_alu instid0(VALU_DEP_1) | instskip(NEXT) | instid1(VALU_DEP_1)
	v_and_b32_e32 v36, v36, v50
	v_and_b32_e32 v37, 1, v36
	v_lshlrev_b32_e32 v38, 30, v36
	v_lshlrev_b32_e32 v48, 29, v36
	;; [unrolled: 1-line block ×4, first 2 shown]
	v_add_co_u32 v37, s14, v37, -1
	s_wait_alu 0xf1ff
	v_cndmask_b32_e64 v50, 0, 1, s14
	v_not_b32_e32 v87, v38
	v_cmp_gt_i32_e64 s15, 0, v38
	v_not_b32_e32 v38, v48
	v_lshlrev_b32_e32 v52, 26, v36
	v_cmp_ne_u32_e64 s14, 0, v50
	v_ashrrev_i32_e32 v87, 31, v87
	v_lshlrev_b32_e32 v53, 25, v36
	v_ashrrev_i32_e32 v38, 31, v38
	v_lshlrev_b32_e32 v50, 24, v36
	s_wait_alu 0xf1ff
	v_xor_b32_e32 v37, s14, v37
	v_cmp_gt_i32_e64 s14, 0, v48
	v_not_b32_e32 v48, v49
	v_xor_b32_e32 v87, s15, v87
	v_cmp_gt_i32_e64 s15, 0, v49
	v_and_b32_e32 v37, exec_lo, v37
	v_not_b32_e32 v49, v51
	v_ashrrev_i32_e32 v48, 31, v48
	s_wait_alu 0xf1ff
	v_xor_b32_e32 v38, s14, v38
	v_cmp_gt_i32_e64 s14, 0, v51
	v_and_b32_e32 v37, v37, v87
	v_not_b32_e32 v51, v52
	v_ashrrev_i32_e32 v49, 31, v49
	v_xor_b32_e32 v48, s15, v48
	v_cmp_gt_i32_e64 s15, 0, v52
	v_and_b32_e32 v37, v37, v38
	v_not_b32_e32 v38, v53
	v_ashrrev_i32_e32 v51, 31, v51
	s_wait_alu 0xf1ff
	v_xor_b32_e32 v49, s14, v49
	v_cmp_gt_i32_e64 s14, 0, v53
	v_and_b32_e32 v37, v37, v48
	v_not_b32_e32 v48, v50
	v_ashrrev_i32_e32 v38, 31, v38
	v_xor_b32_e32 v51, s15, v51
	v_lshl_add_u32 v36, v36, 3, v70
	v_and_b32_e32 v37, v37, v49
	v_cmp_gt_i32_e64 s15, 0, v50
	v_ashrrev_i32_e32 v48, 31, v48
	s_wait_alu 0xf1ff
	v_xor_b32_e32 v38, s14, v38
	v_lshl_add_u32 v49, v36, 2, v12
	v_and_b32_e32 v37, v37, v51
	v_xor_b32_e32 v48, s15, v48
	ds_load_b32 v36, v49 offset:32
	v_and_b32_e32 v37, v37, v38
	v_add_nc_u32_e32 v38, 32, v49
	; wave barrier
	s_delay_alu instid0(VALU_DEP_2) | instskip(NEXT) | instid1(VALU_DEP_1)
	v_and_b32_e32 v48, v37, v48
	v_mbcnt_lo_u32_b32 v37, v48, 0
	v_cmp_ne_u32_e64 s15, 0, v48
	s_delay_alu instid0(VALU_DEP_2)
	v_cmp_eq_u32_e64 s14, 0, v37
	s_and_b32 s15, s15, s14
	s_wait_alu 0xfffe
	s_and_saveexec_b32 s14, s15
	s_cbranch_execz .LBB1123_277
; %bb.276:                              ;   in Loop: Header=BB1123_269 Depth=1
	s_wait_dscnt 0x0
	v_bcnt_u32_b32 v48, v48, v36
	ds_store_b32 v38, v48
.LBB1123_277:                           ;   in Loop: Header=BB1123_269 Depth=1
	s_wait_alu 0xfffe
	s_or_b32 exec_lo, exec_lo, s14
	; wave barrier
	s_wait_loadcnt_dscnt 0x0
	s_barrier_signal -1
	s_barrier_wait -1
	global_inv scope:SCOPE_SE
	ds_load_b32 v49, v39
	ds_load_b32 v50, v55
	;; [unrolled: 1-line block ×8, first 2 shown]
	s_wait_dscnt 0x6
	v_add_nc_u32_e32 v97, v50, v49
	s_wait_dscnt 0x4
	s_delay_alu instid0(VALU_DEP_1) | instskip(SKIP_1) | instid1(VALU_DEP_1)
	v_add3_u32 v97, v97, v51, v52
	s_wait_dscnt 0x2
	v_add3_u32 v97, v97, v53, v87
	s_wait_dscnt 0x0
	s_delay_alu instid0(VALU_DEP_1) | instskip(NEXT) | instid1(VALU_DEP_1)
	v_add3_u32 v96, v97, v48, v96
	v_mov_b32_dpp v97, v96 row_shr:1 row_mask:0xf bank_mask:0xf
	s_wait_alu 0xfffd
	s_delay_alu instid0(VALU_DEP_1) | instskip(NEXT) | instid1(VALU_DEP_1)
	v_cndmask_b32_e64 v97, v97, 0, vcc_lo
	v_add_nc_u32_e32 v96, v97, v96
	s_delay_alu instid0(VALU_DEP_1) | instskip(NEXT) | instid1(VALU_DEP_1)
	v_mov_b32_dpp v97, v96 row_shr:2 row_mask:0xf bank_mask:0xf
	v_cndmask_b32_e64 v97, 0, v97, s0
	s_delay_alu instid0(VALU_DEP_1) | instskip(NEXT) | instid1(VALU_DEP_1)
	v_add_nc_u32_e32 v96, v96, v97
	v_mov_b32_dpp v97, v96 row_shr:4 row_mask:0xf bank_mask:0xf
	s_delay_alu instid0(VALU_DEP_1) | instskip(NEXT) | instid1(VALU_DEP_1)
	v_cndmask_b32_e64 v97, 0, v97, s1
	v_add_nc_u32_e32 v96, v96, v97
	s_delay_alu instid0(VALU_DEP_1) | instskip(NEXT) | instid1(VALU_DEP_1)
	v_mov_b32_dpp v97, v96 row_shr:8 row_mask:0xf bank_mask:0xf
	v_cndmask_b32_e64 v97, 0, v97, s3
	s_delay_alu instid0(VALU_DEP_1) | instskip(SKIP_3) | instid1(VALU_DEP_1)
	v_add_nc_u32_e32 v96, v96, v97
	ds_swizzle_b32 v97, v96 offset:swizzle(BROADCAST,32,15)
	s_wait_dscnt 0x0
	v_cndmask_b32_e64 v97, v97, 0, s4
	v_add_nc_u32_e32 v96, v96, v97
	s_and_saveexec_b32 s14, s5
; %bb.278:                              ;   in Loop: Header=BB1123_269 Depth=1
	ds_store_b32 v54, v96
; %bb.279:                              ;   in Loop: Header=BB1123_269 Depth=1
	s_wait_alu 0xfffe
	s_or_b32 exec_lo, exec_lo, s14
	s_wait_loadcnt_dscnt 0x0
	s_barrier_signal -1
	s_barrier_wait -1
	global_inv scope:SCOPE_SE
	s_and_saveexec_b32 s14, s6
	s_cbranch_execz .LBB1123_281
; %bb.280:                              ;   in Loop: Header=BB1123_269 Depth=1
	ds_load_b32 v97, v80
	s_wait_dscnt 0x0
	v_mov_b32_dpp v98, v97 row_shr:1 row_mask:0xf bank_mask:0xf
	s_delay_alu instid0(VALU_DEP_1) | instskip(NEXT) | instid1(VALU_DEP_1)
	v_cndmask_b32_e64 v98, v98, 0, s11
	v_add_nc_u32_e32 v97, v98, v97
	s_delay_alu instid0(VALU_DEP_1) | instskip(NEXT) | instid1(VALU_DEP_1)
	v_mov_b32_dpp v98, v97 row_shr:2 row_mask:0xf bank_mask:0xf
	v_cndmask_b32_e64 v98, 0, v98, s12
	s_delay_alu instid0(VALU_DEP_1) | instskip(NEXT) | instid1(VALU_DEP_1)
	v_add_nc_u32_e32 v97, v97, v98
	v_mov_b32_dpp v98, v97 row_shr:4 row_mask:0xf bank_mask:0xf
	s_delay_alu instid0(VALU_DEP_1) | instskip(NEXT) | instid1(VALU_DEP_1)
	v_cndmask_b32_e64 v98, 0, v98, s13
	v_add_nc_u32_e32 v97, v97, v98
	ds_store_b32 v80, v97
.LBB1123_281:                           ;   in Loop: Header=BB1123_269 Depth=1
	s_wait_alu 0xfffe
	s_or_b32 exec_lo, exec_lo, s14
	v_mov_b32_e32 v97, 0
	s_wait_loadcnt_dscnt 0x0
	s_barrier_signal -1
	s_barrier_wait -1
	global_inv scope:SCOPE_SE
	s_and_saveexec_b32 s14, s7
; %bb.282:                              ;   in Loop: Header=BB1123_269 Depth=1
	ds_load_b32 v97, v82
; %bb.283:                              ;   in Loop: Header=BB1123_269 Depth=1
	s_wait_alu 0xfffe
	s_or_b32 exec_lo, exec_lo, s14
	s_wait_dscnt 0x0
	v_add_nc_u32_e32 v96, v97, v96
	v_add_nc_u32_e32 v10, 8, v10
	s_mov_b32 s22, -1
	s_mov_b32 s15, exec_lo
	ds_bpermute_b32 v96, v71, v96
	s_wait_dscnt 0x0
	v_cndmask_b32_e64 v96, v96, v97, s2
	s_delay_alu instid0(VALU_DEP_1) | instskip(NEXT) | instid1(VALU_DEP_1)
	v_cndmask_b32_e64 v96, v96, 0, s10
	v_add_nc_u32_e32 v49, v96, v49
	s_delay_alu instid0(VALU_DEP_1) | instskip(SKIP_4) | instid1(VALU_DEP_1)
	v_add_nc_u32_e32 v50, v49, v50
	ds_store_b32 v39, v96
	ds_store_b32 v55, v49
	ds_store_b32 v64, v50
	v_add_nc_u32_e32 v51, v50, v51
	v_add_nc_u32_e32 v52, v51, v52
	s_delay_alu instid0(VALU_DEP_1) | instskip(NEXT) | instid1(VALU_DEP_1)
	v_add_nc_u32_e32 v53, v52, v53
	v_add_nc_u32_e32 v87, v53, v87
	s_delay_alu instid0(VALU_DEP_1)
	v_add_nc_u32_e32 v48, v87, v48
	ds_store_b32 v65, v51
	ds_store_b32 v66, v52
	;; [unrolled: 1-line block ×5, first 2 shown]
	s_wait_loadcnt_dscnt 0x0
	s_barrier_signal -1
	s_barrier_wait -1
	global_inv scope:SCOPE_SE
	ds_load_b32 v22, v22
	ds_load_b32 v48, v32
	ds_load_b32 v49, v35
	ds_load_b32 v50, v38
	v_dual_mov_b32 v32, v1 :: v_dual_mov_b32 v35, v1
	v_mov_b32_e32 v38, v1
                                        ; implicit-def: $vgpr52_vgpr53
	s_wait_loadcnt_dscnt 0x0
	v_add_nc_u32_e32 v0, v22, v0
	v_add3_u32 v31, v31, v23, v48
	v_add3_u32 v34, v34, v33, v49
	;; [unrolled: 1-line block ×3, first 2 shown]
                                        ; implicit-def: $vgpr48_vgpr49
                                        ; implicit-def: $vgpr50_vgpr51
	s_delay_alu instid0(VALU_DEP_4) | instskip(NEXT) | instid1(VALU_DEP_4)
	v_lshlrev_b64_e32 v[22:23], 3, v[0:1]
	v_lshlrev_b64_e32 v[31:32], 3, v[31:32]
	s_delay_alu instid0(VALU_DEP_4) | instskip(NEXT) | instid1(VALU_DEP_4)
	v_lshlrev_b64_e32 v[32:33], 3, v[34:35]
	v_lshlrev_b64_e32 v[33:34], 3, v[37:38]
                                        ; implicit-def: $vgpr37_vgpr38
                                        ; implicit-def: $vgpr35_vgpr36
	s_delay_alu instid0(VALU_DEP_4) | instskip(NEXT) | instid1(VALU_DEP_4)
	v_add_co_u32 v0, null, v12, v22
	v_add_co_u32 v87, null, v12, v31
	s_delay_alu instid0(VALU_DEP_4) | instskip(NEXT) | instid1(VALU_DEP_4)
	v_add_co_u32 v96, null, v12, v32
	v_add_co_u32 v97, null, v12, v33
                                        ; implicit-def: $vgpr31_vgpr32
                                        ; implicit-def: $vgpr33_vgpr34
                                        ; implicit-def: $vgpr22_vgpr23
	v_cmpx_lt_u32_e64 v10, v11
	s_cbranch_execz .LBB1123_268
; %bb.284:                              ;   in Loop: Header=BB1123_269 Depth=1
	s_barrier_signal -1
	s_barrier_wait -1
	global_inv scope:SCOPE_SE
	ds_store_b64 v0, v[4:5]
	ds_store_b64 v87, v[19:20]
	;; [unrolled: 1-line block ×4, first 2 shown]
	s_wait_loadcnt_dscnt 0x0
	s_barrier_signal -1
	s_barrier_wait -1
	global_inv scope:SCOPE_SE
	ds_load_b64 v[50:51], v81
	ds_load_b64 v[37:38], v83
	;; [unrolled: 1-line block ×4, first 2 shown]
	s_wait_loadcnt_dscnt 0x0
	s_barrier_signal -1
	s_barrier_wait -1
	global_inv scope:SCOPE_SE
	ds_store_b64 v0, v[27:28]
	ds_store_b64 v87, v[13:14]
	;; [unrolled: 1-line block ×4, first 2 shown]
	s_wait_loadcnt_dscnt 0x0
	s_barrier_signal -1
	s_barrier_wait -1
	global_inv scope:SCOPE_SE
	ds_load_b64 v[31:32], v81
	ds_load_b64 v[33:34], v83
	;; [unrolled: 1-line block ×4, first 2 shown]
	v_add_nc_u32_e32 v86, -8, v86
	s_xor_b32 s22, exec_lo, -1
	s_wait_loadcnt_dscnt 0x0
	s_barrier_signal -1
	s_barrier_wait -1
	global_inv scope:SCOPE_SE
	s_branch .LBB1123_268
.LBB1123_285:
	flat_load_b64 v[38:39], v[4:5]
	s_wait_alu 0xfffe
	s_or_b32 exec_lo, exec_lo, s7
                                        ; implicit-def: $vgpr64_vgpr65
	s_and_saveexec_b32 s7, s0
	s_cbranch_execz .LBB1123_163
.LBB1123_286:
	flat_load_b64 v[64:65], v[4:5] offset:256
	s_wait_alu 0xfffe
	s_or_b32 exec_lo, exec_lo, s7
                                        ; implicit-def: $vgpr66_vgpr67
	s_and_saveexec_b32 s0, s1
	s_cbranch_execz .LBB1123_164
.LBB1123_287:
	flat_load_b64 v[66:67], v[4:5] offset:512
	s_wait_alu 0xfffe
	s_or_b32 exec_lo, exec_lo, s0
                                        ; implicit-def: $vgpr68_vgpr69
	s_and_saveexec_b32 s0, s2
	s_cbranch_execz .LBB1123_165
.LBB1123_288:
	flat_load_b64 v[68:69], v[4:5] offset:768
	s_wait_alu 0xfffe
	s_or_b32 exec_lo, exec_lo, s0
                                        ; implicit-def: $vgpr70_vgpr71
	s_and_saveexec_b32 s0, s3
	s_cbranch_execz .LBB1123_166
.LBB1123_289:
	flat_load_b64 v[70:71], v[4:5] offset:1024
	s_wait_alu 0xfffe
	s_or_b32 exec_lo, exec_lo, s0
                                        ; implicit-def: $vgpr80_vgpr81
	s_and_saveexec_b32 s0, s4
	s_cbranch_execz .LBB1123_167
.LBB1123_290:
	flat_load_b64 v[80:81], v[4:5] offset:1280
	s_wait_alu 0xfffe
	s_or_b32 exec_lo, exec_lo, s0
                                        ; implicit-def: $vgpr82_vgpr83
	s_and_saveexec_b32 s0, s5
	s_cbranch_execz .LBB1123_168
.LBB1123_291:
	flat_load_b64 v[82:83], v[4:5] offset:1536
	s_wait_alu 0xfffe
	s_or_b32 exec_lo, exec_lo, s0
                                        ; implicit-def: $vgpr84_vgpr85
	s_and_saveexec_b32 s0, s6
	s_cbranch_execnz .LBB1123_169
	s_branch .LBB1123_170
.LBB1123_292:
	flat_store_b64 v[0:1], v[20:21]
	s_wait_alu 0xfffe
	s_or_b32 exec_lo, exec_lo, s7
	s_and_saveexec_b32 s7, s0
	s_cbranch_execz .LBB1123_244
.LBB1123_293:
	flat_store_b64 v[0:1], v[22:23] offset:2048
	s_wait_alu 0xfffe
	s_or_b32 exec_lo, exec_lo, s7
	s_and_saveexec_b32 s0, s1
	s_cbranch_execz .LBB1123_245
.LBB1123_294:
	flat_store_b64 v[0:1], v[16:17] offset:4096
	s_wait_alu 0xfffe
	s_or_b32 exec_lo, exec_lo, s0
	s_and_saveexec_b32 s0, s2
	s_cbranch_execz .LBB1123_246
.LBB1123_295:
	flat_store_b64 v[0:1], v[18:19] offset:6144
	s_wait_alu 0xfffe
	s_or_b32 exec_lo, exec_lo, s0
	s_and_saveexec_b32 s0, s3
	s_cbranch_execz .LBB1123_247
.LBB1123_296:
	flat_store_b64 v[0:1], v[12:13] offset:8192
	s_wait_alu 0xfffe
	s_or_b32 exec_lo, exec_lo, s0
	s_and_saveexec_b32 s0, s4
	s_cbranch_execz .LBB1123_248
.LBB1123_297:
	flat_store_b64 v[0:1], v[14:15] offset:10240
	s_wait_alu 0xfffe
	s_or_b32 exec_lo, exec_lo, s0
	s_and_saveexec_b32 s0, s5
	s_cbranch_execz .LBB1123_249
.LBB1123_298:
	flat_store_b64 v[0:1], v[8:9] offset:12288
	s_wait_alu 0xfffe
	s_or_b32 exec_lo, exec_lo, s0
	s_and_saveexec_b32 s0, s6
	s_cbranch_execnz .LBB1123_250
	s_branch .LBB1123_251
.LBB1123_299:
	s_or_b32 exec_lo, exec_lo, s21
	v_lshl_add_u32 v1, v21, 3, v12
	s_barrier_signal -1
	s_barrier_wait -1
	s_wait_loadcnt 0x0
	global_inv scope:SCOPE_SE
	ds_store_b64 v0, v[4:5]
	ds_store_b64 v87, v[19:20]
	;; [unrolled: 1-line block ×4, first 2 shown]
	s_wait_loadcnt_dscnt 0x0
	s_barrier_signal -1
	s_barrier_wait -1
	global_inv scope:SCOPE_SE
	ds_load_2addr_stride64_b64 v[20:23], v1 offset1:4
	ds_load_2addr_stride64_b64 v[16:19], v1 offset0:8 offset1:12
	s_wait_loadcnt_dscnt 0x0
	s_barrier_signal -1
	s_barrier_wait -1
	global_inv scope:SCOPE_SE
	ds_store_b64 v0, v[27:28]
	ds_store_b64 v87, v[13:14]
	;; [unrolled: 1-line block ×4, first 2 shown]
	s_wait_loadcnt_dscnt 0x0
	s_barrier_signal -1
	s_barrier_wait -1
	global_inv scope:SCOPE_SE
	ds_load_2addr_stride64_b64 v[12:15], v1 offset1:4
	ds_load_2addr_stride64_b64 v[8:11], v1 offset0:8 offset1:12
	v_mov_b32_e32 v27, 0
	v_add_co_u32 v2, vcc_lo, v2, v24
	s_wait_alu 0xfffd
	v_add_co_ci_u32_e64 v3, null, v3, v25, vcc_lo
	s_delay_alu instid0(VALU_DEP_3)
	v_lshlrev_b64_e32 v[0:1], 3, v[26:27]
	s_wait_loadcnt_dscnt 0x0
	s_barrier_signal -1
	s_barrier_wait -1
	global_inv scope:SCOPE_SE
	v_add_co_u32 v2, vcc_lo, v2, v0
	s_wait_alu 0xfffd
	v_add_co_ci_u32_e64 v3, null, v3, v1, vcc_lo
	v_cmp_lt_u32_e32 vcc_lo, v26, v119
	s_and_saveexec_b32 s1, vcc_lo
	s_cbranch_execz .LBB1123_301
; %bb.300:
	v_cmp_gt_i64_e64 s0, 0, v[20:21]
	v_ashrrev_i32_e32 v4, 31, v21
	s_delay_alu instid0(VALU_DEP_1) | instskip(SKIP_1) | instid1(VALU_DEP_3)
	v_not_b32_e32 v4, v4
	s_wait_alu 0xf1ff
	v_cndmask_b32_e64 v5, 0x7fffffff, 0, s0
	s_delay_alu instid0(VALU_DEP_2) | instskip(NEXT) | instid1(VALU_DEP_2)
	v_xor_b32_e32 v4, v4, v20
	v_xor_b32_e32 v5, v5, v21
	flat_store_b64 v[2:3], v[4:5]
.LBB1123_301:
	s_wait_alu 0xfffe
	s_or_b32 exec_lo, exec_lo, s1
	v_add_nc_u32_e32 v4, 0x100, v26
	s_delay_alu instid0(VALU_DEP_1)
	v_cmp_lt_u32_e64 s0, v4, v119
	s_and_saveexec_b32 s2, s0
	s_cbranch_execz .LBB1123_303
; %bb.302:
	v_cmp_gt_i64_e64 s1, 0, v[22:23]
	v_ashrrev_i32_e32 v4, 31, v23
	s_delay_alu instid0(VALU_DEP_1) | instskip(SKIP_1) | instid1(VALU_DEP_3)
	v_not_b32_e32 v4, v4
	s_wait_alu 0xf1ff
	v_cndmask_b32_e64 v5, 0x7fffffff, 0, s1
	s_delay_alu instid0(VALU_DEP_2) | instskip(NEXT) | instid1(VALU_DEP_2)
	v_xor_b32_e32 v4, v4, v22
	v_xor_b32_e32 v5, v5, v23
	flat_store_b64 v[2:3], v[4:5] offset:2048
.LBB1123_303:
	s_wait_alu 0xfffe
	s_or_b32 exec_lo, exec_lo, s2
	v_add_nc_u32_e32 v4, 0x200, v26
	s_delay_alu instid0(VALU_DEP_1)
	v_cmp_lt_u32_e64 s1, v4, v119
	s_and_saveexec_b32 s3, s1
	s_cbranch_execz .LBB1123_305
; %bb.304:
	v_cmp_gt_i64_e64 s2, 0, v[16:17]
	v_ashrrev_i32_e32 v4, 31, v17
	s_delay_alu instid0(VALU_DEP_1) | instskip(SKIP_1) | instid1(VALU_DEP_3)
	v_not_b32_e32 v4, v4
	s_wait_alu 0xf1ff
	v_cndmask_b32_e64 v5, 0x7fffffff, 0, s2
	s_delay_alu instid0(VALU_DEP_2) | instskip(NEXT) | instid1(VALU_DEP_2)
	v_xor_b32_e32 v4, v4, v16
	v_xor_b32_e32 v5, v5, v17
	flat_store_b64 v[2:3], v[4:5] offset:4096
.LBB1123_305:
	;; [unrolled: 19-line block ×3, first 2 shown]
	s_wait_alu 0xfffe
	s_or_b32 exec_lo, exec_lo, s4
	v_add_co_u32 v2, s3, v6, v24
	s_wait_alu 0xf1ff
	v_add_co_ci_u32_e64 v3, null, v7, v25, s3
	s_delay_alu instid0(VALU_DEP_2) | instskip(SKIP_1) | instid1(VALU_DEP_2)
	v_add_co_u32 v0, s3, v2, v0
	s_wait_alu 0xf1ff
	v_add_co_ci_u32_e64 v1, null, v3, v1, s3
	s_and_saveexec_b32 s3, vcc_lo
	s_cbranch_execnz .LBB1123_340
; %bb.308:
	s_wait_alu 0xfffe
	s_or_b32 exec_lo, exec_lo, s3
	s_and_saveexec_b32 s3, s0
	s_cbranch_execnz .LBB1123_341
.LBB1123_309:
	s_wait_alu 0xfffe
	s_or_b32 exec_lo, exec_lo, s3
	s_and_saveexec_b32 s0, s1
	s_cbranch_execnz .LBB1123_342
.LBB1123_310:
	s_wait_alu 0xfffe
	s_or_b32 exec_lo, exec_lo, s0
	s_and_saveexec_b32 s0, s2
	s_cbranch_execz .LBB1123_312
.LBB1123_311:
	flat_store_b64 v[0:1], v[10:11] offset:6144
.LBB1123_312:
	s_wait_alu 0xfffe
	s_or_b32 exec_lo, exec_lo, s0
                                        ; implicit-def: $vgpr119
                                        ; implicit-def: $vgpr0
                                        ; implicit-def: $vgpr1
                                        ; implicit-def: $vgpr2
                                        ; implicit-def: $vgpr3
                                        ; implicit-def: $vgpr4
                                        ; implicit-def: $vgpr5
                                        ; implicit-def: $vgpr6
                                        ; implicit-def: $vgpr7
                                        ; implicit-def: $vgpr8
                                        ; implicit-def: $vgpr10
                                        ; implicit-def: $vgpr11
                                        ; implicit-def: $vgpr12
                                        ; implicit-def: $vgpr9
                                        ; implicit-def: $vgpr13
                                        ; implicit-def: $vgpr21
                                        ; implicit-def: $vgpr54
.LBB1123_313:
	s_wait_alu 0xfffe
	s_and_not1_saveexec_b32 s0, s19
	s_cbranch_execz .LBB1123_372
; %bb.314:
	s_load_b64 s[0:1], s[8:9], 0x0
	s_and_b32 s2, ttmp7, 0xffff
	s_mov_b32 s3, 0
	s_wait_kmcnt 0x0
	s_wait_alu 0xfffe
	s_cmp_lt_u32 s2, s1
	s_cselect_b32 s2, 14, 20
	s_cmp_lt_u32 ttmp9, s0
	s_wait_alu 0xfffe
	s_add_nc_u64 s[4:5], s[8:9], s[2:3]
	s_cselect_b32 s2, 12, 18
	s_load_u16 s4, s[4:5], 0x0
	s_add_nc_u64 s[0:1], s[8:9], s[2:3]
	s_load_u16 s0, s[0:1], 0x0
	s_wait_kmcnt 0x0
	v_mad_u32_u24 v13, v13, s4, v9
	v_mov_b32_e32 v9, 0
	s_delay_alu instid0(VALU_DEP_2) | instskip(NEXT) | instid1(VALU_DEP_2)
	v_mad_co_u64_u32 v[19:20], null, v13, s0, v[21:22]
	v_lshlrev_b64_e32 v[17:18], 3, v[8:9]
	s_mov_b32 s0, exec_lo
	v_cmpx_lt_u32_e32 0x100, v119
	s_wait_alu 0xfffe
	s_xor_b32 s16, exec_lo, s0
	s_cbranch_execz .LBB1123_352
; %bb.315:
	s_delay_alu instid0(VALU_DEP_3) | instskip(SKIP_2) | instid1(VALU_DEP_3)
	v_dual_mov_b32 v13, -1 :: v_dual_lshlrev_b32 v8, 1, v19
	v_lshlrev_b32_e32 v20, 3, v54
	v_add_co_u32 v14, vcc_lo, v0, v17
	v_and_b32_e32 v8, 0xffffffc0, v8
	s_wait_alu 0xfffd
	v_add_co_ci_u32_e64 v15, null, v1, v18, vcc_lo
	v_mov_b32_e32 v16, v13
	s_delay_alu instid0(VALU_DEP_3) | instskip(SKIP_4) | instid1(VALU_DEP_3)
	v_lshlrev_b64_e32 v[0:1], 3, v[8:9]
	v_add_co_u32 v9, vcc_lo, v14, v20
	s_wait_alu 0xfffd
	v_add_co_ci_u32_e64 v14, null, 0, v15, vcc_lo
	v_or_b32_e32 v22, v54, v8
	v_add_co_u32 v8, vcc_lo, v9, v0
	s_wait_alu 0xfffd
	s_delay_alu instid0(VALU_DEP_3) | instskip(NEXT) | instid1(VALU_DEP_3)
	v_add_co_ci_u32_e64 v9, null, v14, v1, vcc_lo
	v_cmp_lt_u32_e32 vcc_lo, v22, v119
	v_dual_mov_b32 v14, v13 :: v_dual_mov_b32 v15, v13
	s_and_saveexec_b32 s0, vcc_lo
	s_cbranch_execz .LBB1123_317
; %bb.316:
	flat_load_b64 v[23:24], v[8:9]
	v_dual_mov_b32 v25, v13 :: v_dual_mov_b32 v26, v13
	s_wait_loadcnt_dscnt 0x0
	v_dual_mov_b32 v13, v23 :: v_dual_mov_b32 v14, v24
	s_delay_alu instid0(VALU_DEP_2)
	v_dual_mov_b32 v15, v25 :: v_dual_mov_b32 v16, v26
.LBB1123_317:
	s_wait_alu 0xfffe
	s_or_b32 exec_lo, exec_lo, s0
	v_or_b32_e32 v22, 32, v22
	s_delay_alu instid0(VALU_DEP_1)
	v_cmp_lt_u32_e64 s0, v22, v119
	s_and_saveexec_b32 s1, s0
	s_cbranch_execz .LBB1123_319
; %bb.318:
	flat_load_b64 v[15:16], v[8:9] offset:256
.LBB1123_319:
	s_wait_alu 0xfffe
	s_or_b32 exec_lo, exec_lo, s1
	v_add_co_u32 v4, s1, v4, v17
	s_wait_alu 0xf1ff
	v_add_co_ci_u32_e64 v5, null, v5, v18, s1
	v_mov_b32_e32 v26, 0
	s_delay_alu instid0(VALU_DEP_3) | instskip(SKIP_1) | instid1(VALU_DEP_3)
	v_add_co_u32 v4, s1, v4, v20
	s_wait_alu 0xf1ff
	v_add_co_ci_u32_e64 v5, null, 0, v5, s1
	v_dual_mov_b32 v27, 0 :: v_dual_mov_b32 v24, 0
	s_delay_alu instid0(VALU_DEP_3)
	v_add_co_u32 v0, s1, v4, v0
	v_mov_b32_e32 v25, 0
	s_wait_alu 0xf1ff
	v_add_co_ci_u32_e64 v1, null, v5, v1, s1
	s_and_saveexec_b32 s1, vcc_lo
	s_cbranch_execz .LBB1123_321
; %bb.320:
	flat_load_b64 v[24:25], v[0:1]
.LBB1123_321:
	s_wait_alu 0xfffe
	s_or_b32 exec_lo, exec_lo, s1
	s_and_saveexec_b32 s1, s0
	s_cbranch_execz .LBB1123_323
; %bb.322:
	flat_load_b64 v[26:27], v[0:1] offset:256
.LBB1123_323:
	s_wait_alu 0xfffe
	s_or_b32 exec_lo, exec_lo, s1
	v_ashrrev_i32_e32 v0, 31, v14
	s_wait_loadcnt_dscnt 0x0
	v_ashrrev_i32_e32 v4, 31, v16
	v_cmp_gt_i64_e32 vcc_lo, 0, v[13:14]
	v_lshl_add_u32 v5, v21, 5, v12
	s_getpc_b64 s[0:1]
	s_wait_alu 0xfffe
	s_sext_i32_i16 s1, s1
	s_add_co_u32 s0, s0, _ZN7rocprim17ROCPRIM_400000_NS16block_radix_sortIdLj256ELj2ElLj1ELj1ELj8ELNS0_26block_radix_rank_algorithmE2ELNS0_18block_padding_hintE2ELNS0_4arch9wavefront6targetE0EE19radix_bits_per_passE@rel32@lo+12
	s_wait_alu 0xfffe
	s_add_co_ci_u32 s1, s1, _ZN7rocprim17ROCPRIM_400000_NS16block_radix_sortIdLj256ELj2ElLj1ELj1ELj8ELNS0_26block_radix_rank_algorithmE2ELNS0_18block_padding_hintE2ELNS0_4arch9wavefront6targetE0EE19radix_bits_per_passE@rel32@hi+24
	v_not_b32_e32 v0, v0
	v_not_b32_e32 v4, v4
	s_load_b32 s17, s[0:1], 0x0
	v_cndmask_b32_e64 v1, 0x7fffffff, 0, vcc_lo
	v_cmp_gt_i64_e32 vcc_lo, 0, v[15:16]
	v_xor_b32_e32 v28, v0, v13
	v_and_b32_e32 v0, 0x3e0, v21
	v_xor_b32_e32 v15, v4, v15
	v_and_b32_e32 v4, 16, v54
	v_xor_b32_e32 v29, v1, v14
	s_wait_alu 0xfffd
	v_cndmask_b32_e64 v1, 0x7fffffff, 0, vcc_lo
	v_min_u32_e32 v0, 0xe0, v0
	v_add_nc_u32_e32 v20, 32, v5
	v_add_nc_u32_e32 v30, 36, v5
	v_add_nc_u32_e32 v31, 40, v5
	v_add_nc_u32_e32 v32, 44, v5
	v_or_b32_e32 v0, 31, v0
	v_add_nc_u32_e32 v33, 48, v5
	v_add_nc_u32_e32 v34, 52, v5
	;; [unrolled: 1-line block ×4, first 2 shown]
	v_sub_co_u32 v5, s2, v54, 1
	v_cmp_eq_u32_e64 s4, 0, v4
	v_cmp_eq_u32_e64 s5, v21, v0
	v_lshrrev_b32_e32 v0, 3, v21
	v_lshlrev_b32_e32 v4, 1, v21
	v_xor_b32_e32 v16, v1, v16
	v_and_b32_e32 v1, 15, v54
	v_cmp_gt_i32_e64 s6, 0, v5
	v_and_b32_e32 v0, 0x7c, v0
	v_and_or_b32 v4, 0x7c0, v4, v54
	v_lshrrev_b32_e32 v37, 5, v19
	v_cmp_eq_u32_e32 vcc_lo, 0, v1
	v_cmp_lt_u32_e64 s0, 1, v1
	v_cmp_lt_u32_e64 s1, 3, v1
	;; [unrolled: 1-line block ×3, first 2 shown]
	s_wait_alu 0xf1ff
	v_cndmask_b32_e64 v1, v5, v54, s6
	v_and_b32_e32 v5, 7, v54
	v_add_nc_u32_e32 v39, v12, v0
	v_lshl_add_u32 v49, v4, 3, v12
	v_cmp_gt_u32_e64 s6, 8, v21
	v_cmp_lt_u32_e64 s7, 31, v21
	v_lshlrev_b32_e32 v38, 2, v1
	v_cmp_eq_u32_e64 s8, 0, v21
	v_mov_b32_e32 v1, 0
	v_lshl_add_u32 v48, v21, 2, v12
	v_cmp_eq_u32_e64 s9, 0, v5
	v_cmp_lt_u32_e64 s10, 1, v5
	v_cmp_lt_u32_e64 s11, 3, v5
	v_add_nc_u32_e32 v50, -4, v39
	v_add_nc_u32_e32 v51, 0x100, v49
	v_sub_nc_u32_e32 v52, v11, v10
	s_mov_b32 s14, 0
	s_brev_b32 s15, 1
	s_wait_alu 0xfffe
	s_mov_b32 s19, s14
	s_wait_storecnt 0x0
	s_barrier_signal -1
	s_barrier_wait -1
	global_inv scope:SCOPE_SE
	s_branch .LBB1123_325
.LBB1123_324:                           ;   in Loop: Header=BB1123_325 Depth=1
	s_wait_alu 0xfffe
	s_or_b32 exec_lo, exec_lo, s13
	s_delay_alu instid0(SALU_CYCLE_1)
	s_and_b32 s12, exec_lo, s20
	s_wait_alu 0xfffe
	s_or_b32 s19, s12, s19
	s_wait_alu 0xfffe
	s_and_not1_b32 exec_lo, exec_lo, s19
	s_cbranch_execz .LBB1123_343
.LBB1123_325:                           ; =>This Inner Loop Header: Depth=1
	v_dual_mov_b32 v4, v28 :: v_dual_mov_b32 v5, v29
	s_wait_kmcnt 0x0
	v_min_u32_e32 v0, s17, v52
	ds_store_b32 v20, v1
	ds_store_b32 v30, v1
	;; [unrolled: 1-line block ×6, first 2 shown]
	v_cmp_ne_u64_e64 s12, s[14:15], v[4:5]
	v_lshlrev_b32_e64 v0, v0, -1
	ds_store_b32 v35, v1
	ds_store_b32 v36, v1
	s_wait_loadcnt_dscnt 0x0
	s_barrier_signal -1
	s_wait_alu 0xf1ff
	v_cndmask_b32_e64 v9, 0x7fffffff, v5, s12
	v_cndmask_b32_e64 v8, -1, v4, s12
	v_not_b32_e32 v28, v0
	s_barrier_wait -1
	global_inv scope:SCOPE_SE
	v_lshrrev_b64 v[8:9], v10, v[8:9]
	; wave barrier
	v_dual_mov_b32 v13, v15 :: v_dual_mov_b32 v14, v16
	s_delay_alu instid0(VALU_DEP_2) | instskip(SKIP_1) | instid1(VALU_DEP_2)
	v_and_b32_e32 v0, v8, v28
	v_dual_mov_b32 v8, v26 :: v_dual_mov_b32 v9, v27
	v_and_b32_e32 v15, 1, v0
	v_lshlrev_b32_e32 v16, 30, v0
	v_lshlrev_b32_e32 v22, 29, v0
	;; [unrolled: 1-line block ×4, first 2 shown]
	v_add_co_u32 v15, s12, v15, -1
	s_wait_alu 0xf1ff
	v_cndmask_b32_e64 v26, 0, 1, s12
	v_not_b32_e32 v54, v16
	v_cmp_gt_i32_e64 s13, 0, v16
	v_not_b32_e32 v16, v22
	v_lshlrev_b32_e32 v29, 26, v0
	v_cmp_ne_u32_e64 s12, 0, v26
	v_ashrrev_i32_e32 v54, 31, v54
	v_lshlrev_b32_e32 v53, 25, v0
	v_ashrrev_i32_e32 v16, 31, v16
	v_lshlrev_b32_e32 v26, 24, v0
	s_wait_alu 0xf1ff
	v_xor_b32_e32 v15, s12, v15
	v_cmp_gt_i32_e64 s12, 0, v22
	v_not_b32_e32 v22, v23
	v_xor_b32_e32 v54, s13, v54
	v_cmp_gt_i32_e64 s13, 0, v23
	v_and_b32_e32 v15, exec_lo, v15
	v_not_b32_e32 v23, v27
	v_ashrrev_i32_e32 v22, 31, v22
	s_wait_alu 0xf1ff
	v_xor_b32_e32 v16, s12, v16
	v_cmp_gt_i32_e64 s12, 0, v27
	v_and_b32_e32 v15, v15, v54
	v_not_b32_e32 v27, v29
	v_ashrrev_i32_e32 v23, 31, v23
	v_xor_b32_e32 v22, s13, v22
	v_cmp_gt_i32_e64 s13, 0, v29
	v_and_b32_e32 v15, v15, v16
	v_not_b32_e32 v16, v53
	v_ashrrev_i32_e32 v27, 31, v27
	s_wait_alu 0xf1ff
	v_xor_b32_e32 v23, s12, v23
	v_cmp_gt_i32_e64 s12, 0, v53
	v_and_b32_e32 v15, v15, v22
	v_not_b32_e32 v29, v26
	v_ashrrev_i32_e32 v16, 31, v16
	v_xor_b32_e32 v27, s13, v27
	v_cmp_gt_i32_e64 s13, 0, v26
	v_dual_mov_b32 v22, v24 :: v_dual_and_b32 v15, v15, v23
	v_mov_b32_e32 v23, v25
	v_ashrrev_i32_e32 v24, 31, v29
	s_wait_alu 0xf1ff
	v_xor_b32_e32 v16, s12, v16
	v_and_b32_e32 v15, v15, v27
	v_lshl_add_u32 v0, v0, 3, v37
	v_xor_b32_e32 v24, s13, v24
	s_delay_alu instid0(VALU_DEP_3) | instskip(NEXT) | instid1(VALU_DEP_1)
	v_and_b32_e32 v15, v15, v16
	v_and_b32_e32 v16, v15, v24
	s_delay_alu instid0(VALU_DEP_4) | instskip(NEXT) | instid1(VALU_DEP_2)
	v_lshlrev_b64_e32 v[24:25], 2, v[0:1]
	v_mbcnt_lo_u32_b32 v0, v16, 0
	v_cmp_ne_u32_e64 s13, 0, v16
	s_delay_alu instid0(VALU_DEP_3) | instskip(NEXT) | instid1(VALU_DEP_3)
	v_add_co_u32 v15, null, v12, v24
	v_cmp_eq_u32_e64 s12, 0, v0
	s_delay_alu instid0(VALU_DEP_2)
	v_add_co_u32 v15, null, v15, 32
	s_and_b32 s13, s13, s12
	s_wait_alu 0xfffe
	s_and_saveexec_b32 s12, s13
; %bb.326:                              ;   in Loop: Header=BB1123_325 Depth=1
	v_bcnt_u32_b32 v16, v16, 0
	ds_store_b32 v15, v16
; %bb.327:                              ;   in Loop: Header=BB1123_325 Depth=1
	s_wait_alu 0xfffe
	s_or_b32 exec_lo, exec_lo, s12
	v_cmp_ne_u64_e64 s12, s[14:15], v[13:14]
	; wave barrier
	s_wait_alu 0xf1ff
	s_delay_alu instid0(VALU_DEP_1) | instskip(SKIP_1) | instid1(VALU_DEP_1)
	v_cndmask_b32_e64 v25, 0x7fffffff, v14, s12
	v_cndmask_b32_e64 v24, -1, v13, s12
	v_lshrrev_b64 v[24:25], v10, v[24:25]
	s_delay_alu instid0(VALU_DEP_1) | instskip(NEXT) | instid1(VALU_DEP_1)
	v_and_b32_e32 v16, v24, v28
	v_and_b32_e32 v24, 1, v16
	v_lshlrev_b32_e32 v25, 30, v16
	v_lshlrev_b32_e32 v26, 29, v16
	;; [unrolled: 1-line block ×4, first 2 shown]
	v_add_co_u32 v24, s12, v24, -1
	s_wait_alu 0xf1ff
	v_cndmask_b32_e64 v28, 0, 1, s12
	v_not_b32_e32 v55, v25
	v_cmp_gt_i32_e64 s13, 0, v25
	v_not_b32_e32 v25, v26
	v_lshlrev_b32_e32 v53, 26, v16
	v_cmp_ne_u32_e64 s12, 0, v28
	v_ashrrev_i32_e32 v55, 31, v55
	v_lshlrev_b32_e32 v54, 25, v16
	v_ashrrev_i32_e32 v25, 31, v25
	v_lshlrev_b32_e32 v28, 24, v16
	s_wait_alu 0xf1ff
	v_xor_b32_e32 v24, s12, v24
	v_cmp_gt_i32_e64 s12, 0, v26
	v_not_b32_e32 v26, v27
	v_xor_b32_e32 v55, s13, v55
	v_cmp_gt_i32_e64 s13, 0, v27
	v_and_b32_e32 v24, exec_lo, v24
	v_not_b32_e32 v27, v29
	v_ashrrev_i32_e32 v26, 31, v26
	s_wait_alu 0xf1ff
	v_xor_b32_e32 v25, s12, v25
	v_cmp_gt_i32_e64 s12, 0, v29
	v_and_b32_e32 v24, v24, v55
	v_not_b32_e32 v29, v53
	v_ashrrev_i32_e32 v27, 31, v27
	v_xor_b32_e32 v26, s13, v26
	v_cmp_gt_i32_e64 s13, 0, v53
	v_and_b32_e32 v24, v24, v25
	v_not_b32_e32 v25, v54
	v_ashrrev_i32_e32 v29, 31, v29
	s_wait_alu 0xf1ff
	v_xor_b32_e32 v27, s12, v27
	v_cmp_gt_i32_e64 s12, 0, v54
	v_and_b32_e32 v24, v24, v26
	v_not_b32_e32 v26, v28
	v_ashrrev_i32_e32 v25, 31, v25
	v_xor_b32_e32 v29, s13, v29
	v_lshl_add_u32 v16, v16, 3, v37
	v_and_b32_e32 v24, v24, v27
	v_cmp_gt_i32_e64 s13, 0, v28
	v_ashrrev_i32_e32 v26, 31, v26
	s_wait_alu 0xf1ff
	v_xor_b32_e32 v25, s12, v25
	v_lshl_add_u32 v27, v16, 2, v12
	v_and_b32_e32 v24, v24, v29
	v_xor_b32_e32 v26, s13, v26
	ds_load_b32 v16, v27 offset:32
	v_and_b32_e32 v24, v24, v25
	v_add_nc_u32_e32 v25, 32, v27
	; wave barrier
	s_delay_alu instid0(VALU_DEP_2) | instskip(NEXT) | instid1(VALU_DEP_1)
	v_and_b32_e32 v26, v24, v26
	v_mbcnt_lo_u32_b32 v24, v26, 0
	v_cmp_ne_u32_e64 s13, 0, v26
	s_delay_alu instid0(VALU_DEP_2)
	v_cmp_eq_u32_e64 s12, 0, v24
	s_and_b32 s13, s13, s12
	s_wait_alu 0xfffe
	s_and_saveexec_b32 s12, s13
	s_cbranch_execz .LBB1123_329
; %bb.328:                              ;   in Loop: Header=BB1123_325 Depth=1
	s_wait_dscnt 0x0
	v_bcnt_u32_b32 v26, v26, v16
	ds_store_b32 v25, v26
.LBB1123_329:                           ;   in Loop: Header=BB1123_325 Depth=1
	s_wait_alu 0xfffe
	s_or_b32 exec_lo, exec_lo, s12
	; wave barrier
	s_wait_loadcnt_dscnt 0x0
	s_barrier_signal -1
	s_barrier_wait -1
	global_inv scope:SCOPE_SE
	ds_load_b32 v27, v20
	ds_load_b32 v28, v30
	;; [unrolled: 1-line block ×8, first 2 shown]
	s_wait_dscnt 0x6
	v_add_nc_u32_e32 v65, v28, v27
	s_wait_dscnt 0x4
	s_delay_alu instid0(VALU_DEP_1) | instskip(SKIP_1) | instid1(VALU_DEP_1)
	v_add3_u32 v65, v65, v29, v53
	s_wait_dscnt 0x2
	v_add3_u32 v65, v65, v54, v55
	s_wait_dscnt 0x0
	s_delay_alu instid0(VALU_DEP_1) | instskip(NEXT) | instid1(VALU_DEP_1)
	v_add3_u32 v64, v65, v26, v64
	v_mov_b32_dpp v65, v64 row_shr:1 row_mask:0xf bank_mask:0xf
	s_wait_alu 0xfffd
	s_delay_alu instid0(VALU_DEP_1) | instskip(NEXT) | instid1(VALU_DEP_1)
	v_cndmask_b32_e64 v65, v65, 0, vcc_lo
	v_add_nc_u32_e32 v64, v65, v64
	s_delay_alu instid0(VALU_DEP_1) | instskip(NEXT) | instid1(VALU_DEP_1)
	v_mov_b32_dpp v65, v64 row_shr:2 row_mask:0xf bank_mask:0xf
	v_cndmask_b32_e64 v65, 0, v65, s0
	s_delay_alu instid0(VALU_DEP_1) | instskip(NEXT) | instid1(VALU_DEP_1)
	v_add_nc_u32_e32 v64, v64, v65
	v_mov_b32_dpp v65, v64 row_shr:4 row_mask:0xf bank_mask:0xf
	s_delay_alu instid0(VALU_DEP_1) | instskip(NEXT) | instid1(VALU_DEP_1)
	v_cndmask_b32_e64 v65, 0, v65, s1
	v_add_nc_u32_e32 v64, v64, v65
	s_delay_alu instid0(VALU_DEP_1) | instskip(NEXT) | instid1(VALU_DEP_1)
	v_mov_b32_dpp v65, v64 row_shr:8 row_mask:0xf bank_mask:0xf
	v_cndmask_b32_e64 v65, 0, v65, s3
	s_delay_alu instid0(VALU_DEP_1) | instskip(SKIP_3) | instid1(VALU_DEP_1)
	v_add_nc_u32_e32 v64, v64, v65
	ds_swizzle_b32 v65, v64 offset:swizzle(BROADCAST,32,15)
	s_wait_dscnt 0x0
	v_cndmask_b32_e64 v65, v65, 0, s4
	v_add_nc_u32_e32 v64, v64, v65
	s_and_saveexec_b32 s12, s5
; %bb.330:                              ;   in Loop: Header=BB1123_325 Depth=1
	ds_store_b32 v39, v64
; %bb.331:                              ;   in Loop: Header=BB1123_325 Depth=1
	s_wait_alu 0xfffe
	s_or_b32 exec_lo, exec_lo, s12
	s_wait_loadcnt_dscnt 0x0
	s_barrier_signal -1
	s_barrier_wait -1
	global_inv scope:SCOPE_SE
	s_and_saveexec_b32 s12, s6
	s_cbranch_execz .LBB1123_333
; %bb.332:                              ;   in Loop: Header=BB1123_325 Depth=1
	ds_load_b32 v65, v48
	s_wait_dscnt 0x0
	v_mov_b32_dpp v66, v65 row_shr:1 row_mask:0xf bank_mask:0xf
	s_delay_alu instid0(VALU_DEP_1) | instskip(NEXT) | instid1(VALU_DEP_1)
	v_cndmask_b32_e64 v66, v66, 0, s9
	v_add_nc_u32_e32 v65, v66, v65
	s_delay_alu instid0(VALU_DEP_1) | instskip(NEXT) | instid1(VALU_DEP_1)
	v_mov_b32_dpp v66, v65 row_shr:2 row_mask:0xf bank_mask:0xf
	v_cndmask_b32_e64 v66, 0, v66, s10
	s_delay_alu instid0(VALU_DEP_1) | instskip(NEXT) | instid1(VALU_DEP_1)
	v_add_nc_u32_e32 v65, v65, v66
	v_mov_b32_dpp v66, v65 row_shr:4 row_mask:0xf bank_mask:0xf
	s_delay_alu instid0(VALU_DEP_1) | instskip(NEXT) | instid1(VALU_DEP_1)
	v_cndmask_b32_e64 v66, 0, v66, s11
	v_add_nc_u32_e32 v65, v65, v66
	ds_store_b32 v48, v65
.LBB1123_333:                           ;   in Loop: Header=BB1123_325 Depth=1
	s_wait_alu 0xfffe
	s_or_b32 exec_lo, exec_lo, s12
	v_mov_b32_e32 v65, 0
	s_wait_loadcnt_dscnt 0x0
	s_barrier_signal -1
	s_barrier_wait -1
	global_inv scope:SCOPE_SE
	s_and_saveexec_b32 s12, s7
; %bb.334:                              ;   in Loop: Header=BB1123_325 Depth=1
	ds_load_b32 v65, v50
; %bb.335:                              ;   in Loop: Header=BB1123_325 Depth=1
	s_wait_alu 0xfffe
	s_or_b32 exec_lo, exec_lo, s12
	s_wait_dscnt 0x0
	v_add_nc_u32_e32 v64, v65, v64
	v_add_nc_u32_e32 v10, 8, v10
	s_mov_b32 s20, -1
	s_mov_b32 s13, exec_lo
	ds_bpermute_b32 v64, v38, v64
	s_wait_dscnt 0x0
	v_cndmask_b32_e64 v64, v64, v65, s2
	s_delay_alu instid0(VALU_DEP_1) | instskip(NEXT) | instid1(VALU_DEP_1)
	v_cndmask_b32_e64 v64, v64, 0, s8
	v_add_nc_u32_e32 v27, v64, v27
	s_delay_alu instid0(VALU_DEP_1) | instskip(SKIP_4) | instid1(VALU_DEP_1)
	v_add_nc_u32_e32 v28, v27, v28
	ds_store_b32 v20, v64
	ds_store_b32 v30, v27
	;; [unrolled: 1-line block ×3, first 2 shown]
	v_add_nc_u32_e32 v29, v28, v29
	v_add_nc_u32_e32 v53, v29, v53
	s_delay_alu instid0(VALU_DEP_1) | instskip(NEXT) | instid1(VALU_DEP_1)
	v_add_nc_u32_e32 v54, v53, v54
	v_add_nc_u32_e32 v55, v54, v55
	s_delay_alu instid0(VALU_DEP_1)
	v_add_nc_u32_e32 v26, v55, v26
	ds_store_b32 v32, v29
	ds_store_b32 v33, v53
	;; [unrolled: 1-line block ×5, first 2 shown]
	s_wait_loadcnt_dscnt 0x0
	s_barrier_signal -1
	s_barrier_wait -1
	global_inv scope:SCOPE_SE
	ds_load_b32 v15, v15
	ds_load_b32 v26, v25
	v_mov_b32_e32 v25, v1
                                        ; implicit-def: $vgpr28_vgpr29
	s_wait_loadcnt_dscnt 0x0
	v_add_nc_u32_e32 v0, v15, v0
	v_add3_u32 v24, v24, v16, v26
                                        ; implicit-def: $vgpr26_vgpr27
	s_delay_alu instid0(VALU_DEP_2) | instskip(NEXT) | instid1(VALU_DEP_2)
	v_lshlrev_b64_e32 v[15:16], 3, v[0:1]
	v_lshlrev_b64_e32 v[24:25], 3, v[24:25]
	s_delay_alu instid0(VALU_DEP_2) | instskip(NEXT) | instid1(VALU_DEP_2)
	v_add_co_u32 v0, null, v12, v15
	v_add_co_u32 v53, null, v12, v24
                                        ; implicit-def: $vgpr15_vgpr16
                                        ; implicit-def: $vgpr24_vgpr25
	v_cmpx_lt_u32_e64 v10, v11
	s_cbranch_execz .LBB1123_324
; %bb.336:                              ;   in Loop: Header=BB1123_325 Depth=1
	s_barrier_signal -1
	s_barrier_wait -1
	global_inv scope:SCOPE_SE
	ds_store_b64 v0, v[4:5]
	ds_store_b64 v53, v[13:14]
	s_wait_loadcnt_dscnt 0x0
	s_barrier_signal -1
	s_barrier_wait -1
	global_inv scope:SCOPE_SE
	ds_load_b64 v[28:29], v49
	ds_load_b64 v[15:16], v51
	s_wait_loadcnt_dscnt 0x0
	s_barrier_signal -1
	s_barrier_wait -1
	global_inv scope:SCOPE_SE
	ds_store_b64 v0, v[22:23]
	ds_store_b64 v53, v[8:9]
	s_wait_loadcnt_dscnt 0x0
	s_barrier_signal -1
	s_barrier_wait -1
	global_inv scope:SCOPE_SE
	ds_load_b64 v[24:25], v49
	ds_load_b64 v[26:27], v51
	v_add_nc_u32_e32 v52, -8, v52
	s_xor_b32 s20, exec_lo, -1
	s_wait_loadcnt_dscnt 0x0
	s_barrier_signal -1
	s_barrier_wait -1
	global_inv scope:SCOPE_SE
	s_branch .LBB1123_324
.LBB1123_337:
	flat_load_b64 v[31:32], v[0:1]
	s_wait_alu 0xfffe
	s_or_b32 exec_lo, exec_lo, s3
                                        ; implicit-def: $vgpr33_vgpr34
	s_and_saveexec_b32 s3, s0
	s_cbranch_execz .LBB1123_264
.LBB1123_338:
	flat_load_b64 v[33:34], v[0:1] offset:256
	s_wait_alu 0xfffe
	s_or_b32 exec_lo, exec_lo, s3
                                        ; implicit-def: $vgpr35_vgpr36
	s_and_saveexec_b32 s0, s1
	s_cbranch_execz .LBB1123_265
.LBB1123_339:
	flat_load_b64 v[35:36], v[0:1] offset:512
	s_wait_alu 0xfffe
	s_or_b32 exec_lo, exec_lo, s0
                                        ; implicit-def: $vgpr22_vgpr23
	s_and_saveexec_b32 s0, s2
	s_cbranch_execnz .LBB1123_266
	s_branch .LBB1123_267
.LBB1123_340:
	flat_store_b64 v[0:1], v[12:13]
	s_wait_alu 0xfffe
	s_or_b32 exec_lo, exec_lo, s3
	s_and_saveexec_b32 s3, s0
	s_cbranch_execz .LBB1123_309
.LBB1123_341:
	flat_store_b64 v[0:1], v[14:15] offset:2048
	s_wait_alu 0xfffe
	s_or_b32 exec_lo, exec_lo, s3
	s_and_saveexec_b32 s0, s1
	s_cbranch_execz .LBB1123_310
.LBB1123_342:
	flat_store_b64 v[0:1], v[8:9] offset:4096
	s_wait_alu 0xfffe
	s_or_b32 exec_lo, exec_lo, s0
	s_and_saveexec_b32 s0, s2
	s_cbranch_execnz .LBB1123_311
	s_branch .LBB1123_312
.LBB1123_343:
	s_or_b32 exec_lo, exec_lo, s19
	v_lshl_add_u32 v1, v21, 3, v12
	s_barrier_signal -1
	s_barrier_wait -1
	s_wait_loadcnt 0x0
	global_inv scope:SCOPE_SE
	ds_store_b64 v0, v[4:5]
	ds_store_b64 v53, v[13:14]
	s_wait_loadcnt_dscnt 0x0
	s_barrier_signal -1
	s_barrier_wait -1
	global_inv scope:SCOPE_SE
	ds_load_2addr_stride64_b64 v[12:15], v1 offset1:4
	s_wait_loadcnt_dscnt 0x0
	s_barrier_signal -1
	s_barrier_wait -1
	global_inv scope:SCOPE_SE
	ds_store_b64 v0, v[22:23]
	ds_store_b64 v53, v[8:9]
	s_wait_loadcnt_dscnt 0x0
	s_barrier_signal -1
	s_barrier_wait -1
	global_inv scope:SCOPE_SE
	ds_load_2addr_stride64_b64 v[8:11], v1 offset1:4
	v_mov_b32_e32 v20, 0
	v_add_co_u32 v2, vcc_lo, v2, v17
	s_wait_alu 0xfffd
	v_add_co_ci_u32_e64 v3, null, v3, v18, vcc_lo
	s_delay_alu instid0(VALU_DEP_3)
	v_lshlrev_b64_e32 v[0:1], 3, v[19:20]
	s_wait_loadcnt_dscnt 0x0
	s_barrier_signal -1
	s_barrier_wait -1
	global_inv scope:SCOPE_SE
	v_add_co_u32 v2, vcc_lo, v2, v0
	s_wait_alu 0xfffd
	v_add_co_ci_u32_e64 v3, null, v3, v1, vcc_lo
	v_cmp_lt_u32_e32 vcc_lo, v19, v119
	s_and_saveexec_b32 s1, vcc_lo
	s_cbranch_execz .LBB1123_345
; %bb.344:
	v_cmp_gt_i64_e64 s0, 0, v[12:13]
	v_ashrrev_i32_e32 v4, 31, v13
	s_delay_alu instid0(VALU_DEP_1) | instskip(SKIP_1) | instid1(VALU_DEP_3)
	v_not_b32_e32 v4, v4
	s_wait_alu 0xf1ff
	v_cndmask_b32_e64 v5, 0x7fffffff, 0, s0
	s_delay_alu instid0(VALU_DEP_2) | instskip(NEXT) | instid1(VALU_DEP_2)
	v_xor_b32_e32 v4, v4, v12
	v_xor_b32_e32 v5, v5, v13
	flat_store_b64 v[2:3], v[4:5]
.LBB1123_345:
	s_wait_alu 0xfffe
	s_or_b32 exec_lo, exec_lo, s1
	v_add_nc_u32_e32 v4, 0x100, v19
	s_delay_alu instid0(VALU_DEP_1)
	v_cmp_lt_u32_e64 s0, v4, v119
	s_and_saveexec_b32 s2, s0
	s_cbranch_execz .LBB1123_347
; %bb.346:
	v_cmp_gt_i64_e64 s1, 0, v[14:15]
	v_ashrrev_i32_e32 v4, 31, v15
	s_delay_alu instid0(VALU_DEP_1) | instskip(SKIP_1) | instid1(VALU_DEP_3)
	v_not_b32_e32 v4, v4
	s_wait_alu 0xf1ff
	v_cndmask_b32_e64 v5, 0x7fffffff, 0, s1
	s_delay_alu instid0(VALU_DEP_2) | instskip(NEXT) | instid1(VALU_DEP_2)
	v_xor_b32_e32 v4, v4, v14
	v_xor_b32_e32 v5, v5, v15
	flat_store_b64 v[2:3], v[4:5] offset:2048
.LBB1123_347:
	s_wait_alu 0xfffe
	s_or_b32 exec_lo, exec_lo, s2
	v_add_co_u32 v2, s1, v6, v17
	s_wait_alu 0xf1ff
	v_add_co_ci_u32_e64 v3, null, v7, v18, s1
	s_delay_alu instid0(VALU_DEP_2) | instskip(SKIP_1) | instid1(VALU_DEP_2)
	v_add_co_u32 v0, s1, v2, v0
	s_wait_alu 0xf1ff
	v_add_co_ci_u32_e64 v1, null, v3, v1, s1
	s_and_saveexec_b32 s1, vcc_lo
	s_cbranch_execz .LBB1123_349
; %bb.348:
	flat_store_b64 v[0:1], v[8:9]
.LBB1123_349:
	s_wait_alu 0xfffe
	s_or_b32 exec_lo, exec_lo, s1
	s_and_saveexec_b32 s1, s0
	s_cbranch_execz .LBB1123_351
; %bb.350:
	flat_store_b64 v[0:1], v[10:11] offset:2048
.LBB1123_351:
	s_wait_alu 0xfffe
	s_or_b32 exec_lo, exec_lo, s1
                                        ; implicit-def: $vgpr19_vgpr20
                                        ; implicit-def: $vgpr17_vgpr18
                                        ; implicit-def: $vgpr119
                                        ; implicit-def: $vgpr0
                                        ; implicit-def: $vgpr1
                                        ; implicit-def: $vgpr2
                                        ; implicit-def: $vgpr3
                                        ; implicit-def: $vgpr4
                                        ; implicit-def: $vgpr5
                                        ; implicit-def: $vgpr6
                                        ; implicit-def: $vgpr7
                                        ; implicit-def: $vgpr10
                                        ; implicit-def: $vgpr11
                                        ; implicit-def: $vgpr12
                                        ; implicit-def: $vgpr21
                                        ; implicit-def: $vgpr54
.LBB1123_352:
	s_wait_alu 0xfffe
	s_and_not1_saveexec_b32 s0, s16
	s_cbranch_execz .LBB1123_372
; %bb.353:
	v_and_b32_e32 v15, 0xffffffe0, v19
	v_dual_mov_b32 v13, -1 :: v_dual_lshlrev_b32 v20, 3, v54
	v_mov_b32_e32 v14, -1
	s_delay_alu instid0(VALU_DEP_3) | instskip(NEXT) | instid1(VALU_DEP_1)
	v_or_b32_e32 v8, v54, v15
	v_cmp_lt_u32_e32 vcc_lo, v8, v119
	s_and_saveexec_b32 s1, vcc_lo
	s_cbranch_execz .LBB1123_355
; %bb.354:
	v_mov_b32_e32 v16, 0
	v_add_co_u32 v8, s0, v0, v17
	s_wait_alu 0xf1fe
	v_add_co_ci_u32_e64 v9, null, v1, v18, s0
	s_delay_alu instid0(VALU_DEP_3) | instskip(NEXT) | instid1(VALU_DEP_3)
	v_lshlrev_b64_e32 v[0:1], 3, v[15:16]
	v_add_co_u32 v8, s0, v8, v20
	s_wait_alu 0xf1ff
	s_delay_alu instid0(VALU_DEP_3) | instskip(NEXT) | instid1(VALU_DEP_2)
	v_add_co_ci_u32_e64 v9, null, 0, v9, s0
	v_add_co_u32 v0, s0, v8, v0
	s_wait_alu 0xf1ff
	s_delay_alu instid0(VALU_DEP_2)
	v_add_co_ci_u32_e64 v1, null, v9, v1, s0
	flat_load_b64 v[13:14], v[0:1]
.LBB1123_355:
	s_wait_alu 0xfffe
	s_or_b32 exec_lo, exec_lo, s1
                                        ; implicit-def: $vgpr8_vgpr9
	s_and_saveexec_b32 s0, vcc_lo
	s_cbranch_execz .LBB1123_357
; %bb.356:
	v_mov_b32_e32 v16, 0
	v_add_co_u32 v4, vcc_lo, v4, v17
	s_wait_alu 0xfffd
	v_add_co_ci_u32_e64 v5, null, v5, v18, vcc_lo
	s_delay_alu instid0(VALU_DEP_3) | instskip(NEXT) | instid1(VALU_DEP_3)
	v_lshlrev_b64_e32 v[0:1], 3, v[15:16]
	v_add_co_u32 v4, vcc_lo, v4, v20
	s_wait_alu 0xfffd
	s_delay_alu instid0(VALU_DEP_3) | instskip(NEXT) | instid1(VALU_DEP_2)
	v_add_co_ci_u32_e64 v5, null, 0, v5, vcc_lo
	v_add_co_u32 v0, vcc_lo, v4, v0
	s_wait_alu 0xfffd
	s_delay_alu instid0(VALU_DEP_2)
	v_add_co_ci_u32_e64 v1, null, v5, v1, vcc_lo
	flat_load_b64 v[8:9], v[0:1]
.LBB1123_357:
	s_wait_alu 0xfffe
	s_or_b32 exec_lo, exec_lo, s0
	s_wait_loadcnt_dscnt 0x0
	v_cmp_gt_i64_e32 vcc_lo, 0, v[13:14]
	v_ashrrev_i32_e32 v0, 31, v14
	v_lshl_add_u32 v4, v21, 5, v12
	s_getpc_b64 s[0:1]
	s_wait_alu 0xfffe
	s_sext_i32_i16 s1, s1
	s_add_co_u32 s0, s0, _ZN7rocprim17ROCPRIM_400000_NS16block_radix_sortIdLj256ELj1ElLj1ELj1ELj8ELNS0_26block_radix_rank_algorithmE2ELNS0_18block_padding_hintE2ELNS0_4arch9wavefront6targetE0EE19radix_bits_per_passE@rel32@lo+12
	s_wait_alu 0xfffe
	s_add_co_ci_u32 s1, s1, _ZN7rocprim17ROCPRIM_400000_NS16block_radix_sortIdLj256ELj1ElLj1ELj1ELj8ELNS0_26block_radix_rank_algorithmE2ELNS0_18block_padding_hintE2ELNS0_4arch9wavefront6targetE0EE19radix_bits_per_passE@rel32@hi+24
	v_and_b32_e32 v5, 16, v54
	s_load_b32 s16, s[0:1], 0x0
	v_cndmask_b32_e64 v1, 0x7fffffff, 0, vcc_lo
	v_not_b32_e32 v0, v0
	v_add_nc_u32_e32 v20, 32, v4
	v_add_nc_u32_e32 v22, 36, v4
	;; [unrolled: 1-line block ×8, first 2 shown]
	v_and_b32_e32 v4, 0x3e0, v21
	v_xor_b32_e32 v16, v1, v14
	v_xor_b32_e32 v15, v0, v13
	v_and_b32_e32 v0, 15, v54
	v_sub_co_u32 v13, s2, v54, 1
	v_min_u32_e32 v1, 0xe0, v4
	v_cmp_eq_u32_e64 s4, 0, v5
	s_delay_alu instid0(VALU_DEP_4)
	v_cmp_eq_u32_e32 vcc_lo, 0, v0
	v_cmp_lt_u32_e64 s0, 1, v0
	v_cmp_lt_u32_e64 s1, 3, v0
	;; [unrolled: 1-line block ×3, first 2 shown]
	v_or_b32_e32 v0, 31, v1
	v_lshrrev_b32_e32 v1, 3, v21
	v_cmp_gt_i32_e64 s5, 0, v13
	v_lshrrev_b32_e32 v29, 5, v19
	v_cmp_gt_u32_e64 s6, 8, v21
	v_cmp_lt_u32_e64 s7, 31, v21
	v_cmp_eq_u32_e64 s8, 0, v21
	s_wait_alu 0xf1ff
	v_cndmask_b32_e64 v5, v13, v54, s5
	v_cmp_eq_u32_e64 s5, v21, v0
	v_dual_mov_b32 v1, 0 :: v_dual_and_b32 v0, 0x7c, v1
	v_lshl_add_u32 v32, v21, 2, v12
	s_delay_alu instid0(VALU_DEP_4) | instskip(SKIP_1) | instid1(VALU_DEP_4)
	v_lshlrev_b32_e32 v30, 2, v5
	v_and_b32_e32 v5, 7, v54
	v_add_nc_u32_e32 v31, v12, v0
	v_or_b32_e32 v0, v54, v4
	v_sub_nc_u32_e32 v35, v11, v10
	s_mov_b32 s14, 0
	v_cmp_eq_u32_e64 s9, 0, v5
	v_cmp_lt_u32_e64 s10, 1, v5
	v_cmp_lt_u32_e64 s11, 3, v5
	v_add_nc_u32_e32 v33, -4, v31
	v_lshl_add_u32 v34, v0, 3, v12
	s_brev_b32 s15, 1
	s_wait_alu 0xfffe
	s_mov_b32 s17, s14
	s_wait_storecnt 0x0
	s_barrier_signal -1
	s_barrier_wait -1
	global_inv scope:SCOPE_SE
	s_branch .LBB1123_359
.LBB1123_358:                           ;   in Loop: Header=BB1123_359 Depth=1
	s_wait_alu 0xfffe
	s_or_b32 exec_lo, exec_lo, s13
	s_delay_alu instid0(SALU_CYCLE_1)
	s_and_b32 s12, exec_lo, s19
	s_wait_alu 0xfffe
	s_or_b32 s17, s12, s17
	s_wait_alu 0xfffe
	s_and_not1_b32 exec_lo, exec_lo, s17
	s_cbranch_execz .LBB1123_369
.LBB1123_359:                           ; =>This Inner Loop Header: Depth=1
	v_dual_mov_b32 v4, v15 :: v_dual_mov_b32 v5, v16
	s_wait_kmcnt 0x0
	v_min_u32_e32 v0, s16, v35
	ds_store_b32 v20, v1
	ds_store_b32 v22, v1
	;; [unrolled: 1-line block ×6, first 2 shown]
	v_cmp_ne_u64_e64 s12, s[14:15], v[4:5]
	ds_store_b32 v27, v1
	ds_store_b32 v28, v1
	s_wait_loadcnt_dscnt 0x0
	s_barrier_signal -1
	s_barrier_wait -1
	s_wait_alu 0xf1ff
	v_cndmask_b32_e64 v14, 0x7fffffff, v5, s12
	v_cndmask_b32_e64 v13, -1, v4, s12
	global_inv scope:SCOPE_SE
	; wave barrier
	v_lshrrev_b64 v[13:14], v10, v[13:14]
	s_delay_alu instid0(VALU_DEP_1) | instskip(NEXT) | instid1(VALU_DEP_1)
	v_bfe_u32 v0, v13, 0, v0
	v_and_b32_e32 v13, 1, v0
	v_lshlrev_b32_e32 v14, 30, v0
	v_lshlrev_b32_e32 v15, 29, v0
	;; [unrolled: 1-line block ×4, first 2 shown]
	v_add_co_u32 v13, s12, v13, -1
	s_wait_alu 0xf1ff
	v_cndmask_b32_e64 v36, 0, 1, s12
	v_not_b32_e32 v48, v14
	v_cmp_gt_i32_e64 s13, 0, v14
	v_not_b32_e32 v14, v15
	v_lshlrev_b32_e32 v38, 26, v0
	v_cmp_ne_u32_e64 s12, 0, v36
	v_ashrrev_i32_e32 v48, 31, v48
	v_lshlrev_b32_e32 v39, 25, v0
	v_ashrrev_i32_e32 v14, 31, v14
	v_lshlrev_b32_e32 v36, 24, v0
	s_wait_alu 0xf1ff
	v_xor_b32_e32 v13, s12, v13
	v_cmp_gt_i32_e64 s12, 0, v15
	v_not_b32_e32 v15, v16
	v_xor_b32_e32 v48, s13, v48
	v_cmp_gt_i32_e64 s13, 0, v16
	v_and_b32_e32 v13, exec_lo, v13
	v_not_b32_e32 v16, v37
	v_ashrrev_i32_e32 v15, 31, v15
	s_wait_alu 0xf1ff
	v_xor_b32_e32 v14, s12, v14
	v_cmp_gt_i32_e64 s12, 0, v37
	v_and_b32_e32 v13, v13, v48
	v_not_b32_e32 v37, v38
	v_ashrrev_i32_e32 v16, 31, v16
	v_xor_b32_e32 v15, s13, v15
	v_cmp_gt_i32_e64 s13, 0, v38
	v_and_b32_e32 v13, v13, v14
	v_not_b32_e32 v14, v39
	v_ashrrev_i32_e32 v37, 31, v37
	s_wait_alu 0xf1ff
	v_xor_b32_e32 v16, s12, v16
	v_cmp_gt_i32_e64 s12, 0, v39
	v_and_b32_e32 v13, v13, v15
	v_not_b32_e32 v15, v36
	v_ashrrev_i32_e32 v38, 31, v14
	v_xor_b32_e32 v37, s13, v37
	v_cmp_gt_i32_e64 s13, 0, v36
	v_and_b32_e32 v16, v13, v16
	v_dual_mov_b32 v14, v9 :: v_dual_mov_b32 v13, v8
	v_ashrrev_i32_e32 v8, 31, v15
	s_wait_alu 0xf1ff
	v_xor_b32_e32 v9, s12, v38
	v_and_b32_e32 v15, v16, v37
	v_lshl_add_u32 v0, v0, 3, v29
	v_xor_b32_e32 v8, s13, v8
	s_delay_alu instid0(VALU_DEP_3) | instskip(NEXT) | instid1(VALU_DEP_3)
	v_and_b32_e32 v9, v15, v9
	v_lshlrev_b64_e32 v[15:16], 2, v[0:1]
	s_delay_alu instid0(VALU_DEP_2) | instskip(NEXT) | instid1(VALU_DEP_2)
	v_and_b32_e32 v9, v9, v8
	v_add_co_u32 v8, null, v12, v15
	s_delay_alu instid0(VALU_DEP_2) | instskip(SKIP_1) | instid1(VALU_DEP_3)
	v_mbcnt_lo_u32_b32 v0, v9, 0
	v_cmp_ne_u32_e64 s13, 0, v9
	v_add_co_u32 v8, null, v8, 32
	s_delay_alu instid0(VALU_DEP_3)
	v_cmp_eq_u32_e64 s12, 0, v0
	s_and_b32 s13, s13, s12
	s_wait_alu 0xfffe
	s_and_saveexec_b32 s12, s13
; %bb.360:                              ;   in Loop: Header=BB1123_359 Depth=1
	v_bcnt_u32_b32 v9, v9, 0
	ds_store_b32 v8, v9
; %bb.361:                              ;   in Loop: Header=BB1123_359 Depth=1
	s_wait_alu 0xfffe
	s_or_b32 exec_lo, exec_lo, s12
	; wave barrier
	s_wait_loadcnt_dscnt 0x0
	s_barrier_signal -1
	s_barrier_wait -1
	global_inv scope:SCOPE_SE
	ds_load_b32 v15, v20
	ds_load_b32 v16, v22
	;; [unrolled: 1-line block ×8, first 2 shown]
	s_wait_dscnt 0x6
	v_add_nc_u32_e32 v49, v16, v15
	s_wait_dscnt 0x4
	s_delay_alu instid0(VALU_DEP_1) | instskip(SKIP_1) | instid1(VALU_DEP_1)
	v_add3_u32 v49, v49, v36, v37
	s_wait_dscnt 0x2
	v_add3_u32 v49, v49, v38, v39
	s_wait_dscnt 0x0
	s_delay_alu instid0(VALU_DEP_1) | instskip(NEXT) | instid1(VALU_DEP_1)
	v_add3_u32 v48, v49, v9, v48
	v_mov_b32_dpp v49, v48 row_shr:1 row_mask:0xf bank_mask:0xf
	s_wait_alu 0xfffd
	s_delay_alu instid0(VALU_DEP_1) | instskip(NEXT) | instid1(VALU_DEP_1)
	v_cndmask_b32_e64 v49, v49, 0, vcc_lo
	v_add_nc_u32_e32 v48, v49, v48
	s_delay_alu instid0(VALU_DEP_1) | instskip(NEXT) | instid1(VALU_DEP_1)
	v_mov_b32_dpp v49, v48 row_shr:2 row_mask:0xf bank_mask:0xf
	v_cndmask_b32_e64 v49, 0, v49, s0
	s_delay_alu instid0(VALU_DEP_1) | instskip(NEXT) | instid1(VALU_DEP_1)
	v_add_nc_u32_e32 v48, v48, v49
	v_mov_b32_dpp v49, v48 row_shr:4 row_mask:0xf bank_mask:0xf
	s_delay_alu instid0(VALU_DEP_1) | instskip(NEXT) | instid1(VALU_DEP_1)
	v_cndmask_b32_e64 v49, 0, v49, s1
	v_add_nc_u32_e32 v48, v48, v49
	s_delay_alu instid0(VALU_DEP_1) | instskip(NEXT) | instid1(VALU_DEP_1)
	v_mov_b32_dpp v49, v48 row_shr:8 row_mask:0xf bank_mask:0xf
	v_cndmask_b32_e64 v49, 0, v49, s3
	s_delay_alu instid0(VALU_DEP_1) | instskip(SKIP_3) | instid1(VALU_DEP_1)
	v_add_nc_u32_e32 v48, v48, v49
	ds_swizzle_b32 v49, v48 offset:swizzle(BROADCAST,32,15)
	s_wait_dscnt 0x0
	v_cndmask_b32_e64 v49, v49, 0, s4
	v_add_nc_u32_e32 v48, v48, v49
	s_and_saveexec_b32 s12, s5
; %bb.362:                              ;   in Loop: Header=BB1123_359 Depth=1
	ds_store_b32 v31, v48
; %bb.363:                              ;   in Loop: Header=BB1123_359 Depth=1
	s_wait_alu 0xfffe
	s_or_b32 exec_lo, exec_lo, s12
	s_wait_loadcnt_dscnt 0x0
	s_barrier_signal -1
	s_barrier_wait -1
	global_inv scope:SCOPE_SE
	s_and_saveexec_b32 s12, s6
	s_cbranch_execz .LBB1123_365
; %bb.364:                              ;   in Loop: Header=BB1123_359 Depth=1
	ds_load_b32 v49, v32
	s_wait_dscnt 0x0
	v_mov_b32_dpp v50, v49 row_shr:1 row_mask:0xf bank_mask:0xf
	s_delay_alu instid0(VALU_DEP_1) | instskip(NEXT) | instid1(VALU_DEP_1)
	v_cndmask_b32_e64 v50, v50, 0, s9
	v_add_nc_u32_e32 v49, v50, v49
	s_delay_alu instid0(VALU_DEP_1) | instskip(NEXT) | instid1(VALU_DEP_1)
	v_mov_b32_dpp v50, v49 row_shr:2 row_mask:0xf bank_mask:0xf
	v_cndmask_b32_e64 v50, 0, v50, s10
	s_delay_alu instid0(VALU_DEP_1) | instskip(NEXT) | instid1(VALU_DEP_1)
	v_add_nc_u32_e32 v49, v49, v50
	v_mov_b32_dpp v50, v49 row_shr:4 row_mask:0xf bank_mask:0xf
	s_delay_alu instid0(VALU_DEP_1) | instskip(NEXT) | instid1(VALU_DEP_1)
	v_cndmask_b32_e64 v50, 0, v50, s11
	v_add_nc_u32_e32 v49, v49, v50
	ds_store_b32 v32, v49
.LBB1123_365:                           ;   in Loop: Header=BB1123_359 Depth=1
	s_wait_alu 0xfffe
	s_or_b32 exec_lo, exec_lo, s12
	v_mov_b32_e32 v49, 0
	s_wait_loadcnt_dscnt 0x0
	s_barrier_signal -1
	s_barrier_wait -1
	global_inv scope:SCOPE_SE
	s_and_saveexec_b32 s12, s7
; %bb.366:                              ;   in Loop: Header=BB1123_359 Depth=1
	ds_load_b32 v49, v33
; %bb.367:                              ;   in Loop: Header=BB1123_359 Depth=1
	s_wait_alu 0xfffe
	s_or_b32 exec_lo, exec_lo, s12
	s_wait_dscnt 0x0
	v_add_nc_u32_e32 v48, v49, v48
	v_add_nc_u32_e32 v10, 8, v10
	s_mov_b32 s19, -1
	s_mov_b32 s13, exec_lo
	ds_bpermute_b32 v48, v30, v48
	s_wait_dscnt 0x0
	v_cndmask_b32_e64 v48, v48, v49, s2
	s_delay_alu instid0(VALU_DEP_1) | instskip(NEXT) | instid1(VALU_DEP_1)
	v_cndmask_b32_e64 v48, v48, 0, s8
	v_add_nc_u32_e32 v15, v48, v15
	s_delay_alu instid0(VALU_DEP_1) | instskip(SKIP_4) | instid1(VALU_DEP_1)
	v_add_nc_u32_e32 v16, v15, v16
	ds_store_b32 v20, v48
	ds_store_b32 v22, v15
	ds_store_b32 v23, v16
	v_add_nc_u32_e32 v36, v16, v36
                                        ; implicit-def: $vgpr15_vgpr16
	v_add_nc_u32_e32 v37, v36, v37
	s_delay_alu instid0(VALU_DEP_1) | instskip(NEXT) | instid1(VALU_DEP_1)
	v_add_nc_u32_e32 v38, v37, v38
	v_add_nc_u32_e32 v39, v38, v39
	s_delay_alu instid0(VALU_DEP_1)
	v_add_nc_u32_e32 v9, v39, v9
	ds_store_b32 v24, v36
	ds_store_b32 v25, v37
	;; [unrolled: 1-line block ×5, first 2 shown]
	s_wait_loadcnt_dscnt 0x0
	s_barrier_signal -1
	s_barrier_wait -1
	global_inv scope:SCOPE_SE
	ds_load_b32 v8, v8
	s_wait_loadcnt_dscnt 0x0
	v_add_nc_u32_e32 v0, v8, v0
	s_delay_alu instid0(VALU_DEP_1) | instskip(NEXT) | instid1(VALU_DEP_1)
	v_lshlrev_b64_e32 v[8:9], 3, v[0:1]
	v_add_co_u32 v36, null, v12, v8
                                        ; implicit-def: $vgpr8_vgpr9
	v_cmpx_lt_u32_e64 v10, v11
	s_cbranch_execz .LBB1123_358
; %bb.368:                              ;   in Loop: Header=BB1123_359 Depth=1
	s_barrier_signal -1
	s_barrier_wait -1
	global_inv scope:SCOPE_SE
	ds_store_b64 v36, v[4:5]
	s_wait_loadcnt_dscnt 0x0
	s_barrier_signal -1
	s_barrier_wait -1
	global_inv scope:SCOPE_SE
	ds_load_b64 v[15:16], v34
	s_wait_loadcnt_dscnt 0x0
	s_barrier_signal -1
	s_barrier_wait -1
	global_inv scope:SCOPE_SE
	ds_store_b64 v36, v[13:14]
	s_wait_loadcnt_dscnt 0x0
	s_barrier_signal -1
	s_barrier_wait -1
	global_inv scope:SCOPE_SE
	ds_load_b64 v[8:9], v34
	v_add_nc_u32_e32 v35, -8, v35
	s_xor_b32 s19, exec_lo, -1
	s_wait_loadcnt_dscnt 0x0
	s_barrier_signal -1
	s_barrier_wait -1
	global_inv scope:SCOPE_SE
	s_branch .LBB1123_358
.LBB1123_369:
	s_or_b32 exec_lo, exec_lo, s17
	s_barrier_signal -1
	s_barrier_wait -1
	s_wait_loadcnt 0x0
	global_inv scope:SCOPE_SE
	ds_store_b64 v36, v[4:5]
	v_lshl_add_u32 v4, v21, 3, v12
	s_wait_loadcnt_dscnt 0x0
	s_barrier_signal -1
	s_barrier_wait -1
	global_inv scope:SCOPE_SE
	ds_load_b64 v[0:1], v4
	s_wait_loadcnt_dscnt 0x0
	s_barrier_signal -1
	s_barrier_wait -1
	global_inv scope:SCOPE_SE
	ds_store_b64 v36, v[13:14]
	s_wait_loadcnt_dscnt 0x0
	s_barrier_signal -1
	s_barrier_wait -1
	global_inv scope:SCOPE_SE
	ds_load_b64 v[4:5], v4
	s_mov_b32 s0, exec_lo
	s_wait_loadcnt_dscnt 0x0
	s_barrier_signal -1
	s_barrier_wait -1
	global_inv scope:SCOPE_SE
	v_cmpx_lt_u32_e64 v19, v119
	s_cbranch_execz .LBB1123_371
; %bb.370:
	v_mov_b32_e32 v20, 0
	v_add_co_u32 v2, vcc_lo, v2, v17
	s_wait_alu 0xfffd
	v_add_co_ci_u32_e64 v3, null, v3, v18, vcc_lo
	s_delay_alu instid0(VALU_DEP_3) | instskip(SKIP_4) | instid1(VALU_DEP_4)
	v_lshlrev_b64_e32 v[8:9], 3, v[19:20]
	v_cmp_gt_i64_e32 vcc_lo, 0, v[0:1]
	v_ashrrev_i32_e32 v11, 31, v1
	s_wait_alu 0xfffd
	v_cndmask_b32_e64 v10, 0x7fffffff, 0, vcc_lo
	v_add_co_u32 v2, vcc_lo, v2, v8
	s_wait_alu 0xfffd
	v_add_co_ci_u32_e64 v3, null, v3, v9, vcc_lo
	v_add_co_u32 v6, vcc_lo, v6, v17
	v_not_b32_e32 v11, v11
	s_wait_alu 0xfffd
	v_add_co_ci_u32_e64 v7, null, v7, v18, vcc_lo
	s_delay_alu instid0(VALU_DEP_3)
	v_add_co_u32 v6, vcc_lo, v6, v8
	v_xor_b32_e32 v1, v10, v1
	v_xor_b32_e32 v0, v11, v0
	s_wait_alu 0xfffd
	v_add_co_ci_u32_e64 v7, null, v7, v9, vcc_lo
	flat_store_b64 v[2:3], v[0:1]
	flat_store_b64 v[6:7], v[4:5]
.LBB1123_371:
	s_wait_alu 0xfffe
	s_or_b32 exec_lo, exec_lo, s0
.LBB1123_372:
	s_wait_alu 0xfffe
	s_or_b32 exec_lo, exec_lo, s18
	s_clause 0x1f
	scratch_load_b32 v122, off, s32
	scratch_load_b32 v121, off, s32 offset:4
	scratch_load_b32 v120, off, s32 offset:8
	;; [unrolled: 1-line block ×31, first 2 shown]
	s_clause 0xa
	scratch_load_b32 v58, off, s32 offset:128
	scratch_load_b32 v57, off, s32 offset:132
	scratch_load_b32 v56, off, s32 offset:136
	scratch_load_b32 v47, off, s32 offset:140
	scratch_load_b32 v46, off, s32 offset:144
	scratch_load_b32 v45, off, s32 offset:148
	scratch_load_b32 v44, off, s32 offset:152
	scratch_load_b32 v43, off, s32 offset:156
	scratch_load_b32 v42, off, s32 offset:160
	scratch_load_b32 v41, off, s32 offset:164
	scratch_load_b32 v40, off, s32 offset:168
	s_wait_loadcnt_dscnt 0x0
	s_setpc_b64 s[30:31]
.Lfunc_end1123:
	.size	_ZN7rocprim17ROCPRIM_400000_NS6detail40segmented_radix_sort_single_block_helperIdlLj256ELj16ELb1EE4sortIPKdPdPKlPlEEbT_T0_T1_T2_jjjjRNS3_12storage_typeE, .Lfunc_end1123-_ZN7rocprim17ROCPRIM_400000_NS6detail40segmented_radix_sort_single_block_helperIdlLj256ELj16ELb1EE4sortIPKdPdPKlPlEEbT_T0_T1_T2_jjjjRNS3_12storage_typeE
                                        ; -- End function
	.set .L_ZN7rocprim17ROCPRIM_400000_NS6detail40segmented_radix_sort_single_block_helperIdlLj256ELj16ELb1EE4sortIPKdPdPKlPlEEbT_T0_T1_T2_jjjjRNS3_12storage_typeE.num_vgpr, 248
	.set .L_ZN7rocprim17ROCPRIM_400000_NS6detail40segmented_radix_sort_single_block_helperIdlLj256ELj16ELb1EE4sortIPKdPdPKlPlEEbT_T0_T1_T2_jjjjRNS3_12storage_typeE.num_agpr, 0
	.set .L_ZN7rocprim17ROCPRIM_400000_NS6detail40segmented_radix_sort_single_block_helperIdlLj256ELj16ELb1EE4sortIPKdPdPKlPlEEbT_T0_T1_T2_jjjjRNS3_12storage_typeE.numbered_sgpr, 33
	.set .L_ZN7rocprim17ROCPRIM_400000_NS6detail40segmented_radix_sort_single_block_helperIdlLj256ELj16ELb1EE4sortIPKdPdPKlPlEEbT_T0_T1_T2_jjjjRNS3_12storage_typeE.num_named_barrier, 0
	.set .L_ZN7rocprim17ROCPRIM_400000_NS6detail40segmented_radix_sort_single_block_helperIdlLj256ELj16ELb1EE4sortIPKdPdPKlPlEEbT_T0_T1_T2_jjjjRNS3_12storage_typeE.private_seg_size, 176
	.set .L_ZN7rocprim17ROCPRIM_400000_NS6detail40segmented_radix_sort_single_block_helperIdlLj256ELj16ELb1EE4sortIPKdPdPKlPlEEbT_T0_T1_T2_jjjjRNS3_12storage_typeE.uses_vcc, 1
	.set .L_ZN7rocprim17ROCPRIM_400000_NS6detail40segmented_radix_sort_single_block_helperIdlLj256ELj16ELb1EE4sortIPKdPdPKlPlEEbT_T0_T1_T2_jjjjRNS3_12storage_typeE.uses_flat_scratch, 1
	.set .L_ZN7rocprim17ROCPRIM_400000_NS6detail40segmented_radix_sort_single_block_helperIdlLj256ELj16ELb1EE4sortIPKdPdPKlPlEEbT_T0_T1_T2_jjjjRNS3_12storage_typeE.has_dyn_sized_stack, 0
	.set .L_ZN7rocprim17ROCPRIM_400000_NS6detail40segmented_radix_sort_single_block_helperIdlLj256ELj16ELb1EE4sortIPKdPdPKlPlEEbT_T0_T1_T2_jjjjRNS3_12storage_typeE.has_recursion, 0
	.set .L_ZN7rocprim17ROCPRIM_400000_NS6detail40segmented_radix_sort_single_block_helperIdlLj256ELj16ELb1EE4sortIPKdPdPKlPlEEbT_T0_T1_T2_jjjjRNS3_12storage_typeE.has_indirect_call, 0
	.section	.AMDGPU.csdata,"",@progbits
; Function info:
; codeLenInByte = 34492
; TotalNumSgprs: 35
; NumVgprs: 248
; ScratchSize: 176
; MemoryBound: 1
	.section	.text._ZN7rocprim17ROCPRIM_400000_NS6detail17trampoline_kernelINS0_14default_configENS1_36segmented_radix_sort_config_selectorIdlEEZNS1_25segmented_radix_sort_implIS3_Lb1EPKdPdPKlPlN2at6native12_GLOBAL__N_18offset_tEEE10hipError_tPvRmT1_PNSt15iterator_traitsISK_E10value_typeET2_T3_PNSL_ISQ_E10value_typeET4_jRbjT5_SW_jjP12ihipStream_tbEUlT_E_NS1_11comp_targetILNS1_3genE10ELNS1_11target_archE1201ELNS1_3gpuE5ELNS1_3repE0EEENS1_30default_config_static_selectorELNS0_4arch9wavefront6targetE0EEEvSK_,"axG",@progbits,_ZN7rocprim17ROCPRIM_400000_NS6detail17trampoline_kernelINS0_14default_configENS1_36segmented_radix_sort_config_selectorIdlEEZNS1_25segmented_radix_sort_implIS3_Lb1EPKdPdPKlPlN2at6native12_GLOBAL__N_18offset_tEEE10hipError_tPvRmT1_PNSt15iterator_traitsISK_E10value_typeET2_T3_PNSL_ISQ_E10value_typeET4_jRbjT5_SW_jjP12ihipStream_tbEUlT_E_NS1_11comp_targetILNS1_3genE10ELNS1_11target_archE1201ELNS1_3gpuE5ELNS1_3repE0EEENS1_30default_config_static_selectorELNS0_4arch9wavefront6targetE0EEEvSK_,comdat
	.globl	_ZN7rocprim17ROCPRIM_400000_NS6detail17trampoline_kernelINS0_14default_configENS1_36segmented_radix_sort_config_selectorIdlEEZNS1_25segmented_radix_sort_implIS3_Lb1EPKdPdPKlPlN2at6native12_GLOBAL__N_18offset_tEEE10hipError_tPvRmT1_PNSt15iterator_traitsISK_E10value_typeET2_T3_PNSL_ISQ_E10value_typeET4_jRbjT5_SW_jjP12ihipStream_tbEUlT_E_NS1_11comp_targetILNS1_3genE10ELNS1_11target_archE1201ELNS1_3gpuE5ELNS1_3repE0EEENS1_30default_config_static_selectorELNS0_4arch9wavefront6targetE0EEEvSK_ ; -- Begin function _ZN7rocprim17ROCPRIM_400000_NS6detail17trampoline_kernelINS0_14default_configENS1_36segmented_radix_sort_config_selectorIdlEEZNS1_25segmented_radix_sort_implIS3_Lb1EPKdPdPKlPlN2at6native12_GLOBAL__N_18offset_tEEE10hipError_tPvRmT1_PNSt15iterator_traitsISK_E10value_typeET2_T3_PNSL_ISQ_E10value_typeET4_jRbjT5_SW_jjP12ihipStream_tbEUlT_E_NS1_11comp_targetILNS1_3genE10ELNS1_11target_archE1201ELNS1_3gpuE5ELNS1_3repE0EEENS1_30default_config_static_selectorELNS0_4arch9wavefront6targetE0EEEvSK_
	.p2align	8
	.type	_ZN7rocprim17ROCPRIM_400000_NS6detail17trampoline_kernelINS0_14default_configENS1_36segmented_radix_sort_config_selectorIdlEEZNS1_25segmented_radix_sort_implIS3_Lb1EPKdPdPKlPlN2at6native12_GLOBAL__N_18offset_tEEE10hipError_tPvRmT1_PNSt15iterator_traitsISK_E10value_typeET2_T3_PNSL_ISQ_E10value_typeET4_jRbjT5_SW_jjP12ihipStream_tbEUlT_E_NS1_11comp_targetILNS1_3genE10ELNS1_11target_archE1201ELNS1_3gpuE5ELNS1_3repE0EEENS1_30default_config_static_selectorELNS0_4arch9wavefront6targetE0EEEvSK_,@function
_ZN7rocprim17ROCPRIM_400000_NS6detail17trampoline_kernelINS0_14default_configENS1_36segmented_radix_sort_config_selectorIdlEEZNS1_25segmented_radix_sort_implIS3_Lb1EPKdPdPKlPlN2at6native12_GLOBAL__N_18offset_tEEE10hipError_tPvRmT1_PNSt15iterator_traitsISK_E10value_typeET2_T3_PNSL_ISQ_E10value_typeET4_jRbjT5_SW_jjP12ihipStream_tbEUlT_E_NS1_11comp_targetILNS1_3genE10ELNS1_11target_archE1201ELNS1_3gpuE5ELNS1_3repE0EEENS1_30default_config_static_selectorELNS0_4arch9wavefront6targetE0EEEvSK_: ; @_ZN7rocprim17ROCPRIM_400000_NS6detail17trampoline_kernelINS0_14default_configENS1_36segmented_radix_sort_config_selectorIdlEEZNS1_25segmented_radix_sort_implIS3_Lb1EPKdPdPKlPlN2at6native12_GLOBAL__N_18offset_tEEE10hipError_tPvRmT1_PNSt15iterator_traitsISK_E10value_typeET2_T3_PNSL_ISQ_E10value_typeET4_jRbjT5_SW_jjP12ihipStream_tbEUlT_E_NS1_11comp_targetILNS1_3genE10ELNS1_11target_archE1201ELNS1_3gpuE5ELNS1_3repE0EEENS1_30default_config_static_selectorELNS0_4arch9wavefront6targetE0EEEvSK_
; %bb.0:
	s_clause 0x1
	s_load_b64 s[8:9], s[0:1], 0x38
	s_load_b128 s[4:7], s[0:1], 0x40
	s_mov_b32 s2, ttmp9
	s_mov_b32 s3, 0
	s_mov_b32 s32, 0
	s_lshl_b64 s[2:3], s[2:3], 2
	s_wait_kmcnt 0x0
	s_add_nc_u64 s[2:3], s[8:9], s[2:3]
	s_load_b32 s2, s[2:3], 0x0
	s_wait_kmcnt 0x0
	s_add_co_i32 s33, s2, s5
	s_add_co_i32 s51, s2, s7
	s_mul_i32 s33, s33, s4
	s_mul_i32 s51, s51, s6
	s_delay_alu instid0(SALU_CYCLE_1)
	s_cmp_le_u32 s51, s33
	s_cbranch_scc1 .LBB1124_1182
; %bb.1:
	s_clause 0x3
	s_load_b32 s2, s[0:1], 0x30
	s_load_b128 s[44:47], s[0:1], 0x20
	s_load_b96 s[48:50], s[0:1], 0x50
	s_load_b256 s[36:43], s[0:1], 0x0
	s_wait_kmcnt 0x0
	s_bitcmp1_b32 s2, 0
	s_mov_b32 s2, -1
	s_cselect_b32 s54, -1, 0
	s_sub_co_i32 s55, s51, s33
	s_delay_alu instid0(SALU_CYCLE_1)
	s_cmp_lt_u32 s55, 0x1001
	s_cbranch_scc0 .LBB1124_7
; %bb.2:
	v_cndmask_b32_e64 v1, 0, 1, s54
	s_and_b32 s2, s48, 1
	s_delay_alu instid0(VALU_DEP_1) | instid1(SALU_CYCLE_1)
	v_cmp_ne_u32_e32 vcc_lo, s2, v1
	s_mov_b32 s2, -1
	s_cbranch_vccnz .LBB1124_4
; %bb.3:
	s_mov_b64 s[2:3], src_shared_base
	v_dual_mov_b32 v31, v0 :: v_dual_mov_b32 v40, v0
	v_dual_mov_b32 v0, s36 :: v_dual_mov_b32 v1, s37
	;; [unrolled: 1-line block ×7, first 2 shown]
	s_wait_alu 0xfffe
	v_dual_mov_b32 v12, 0 :: v_dual_mov_b32 v13, s3
	s_add_nc_u64 s[8:9], s[0:1], 0x60
	s_getpc_b64 s[4:5]
	s_sext_i32_i16 s5, s5
	s_add_co_u32 s4, s4, _ZN7rocprim17ROCPRIM_400000_NS6detail40segmented_radix_sort_single_block_helperIdlLj256ELj16ELb1EE4sortIPKdPdPKlPlEEbT_T0_T1_T2_jjjjRNS3_12storage_typeE@rel32@lo+8
	s_add_co_ci_u32 s5, s5, _ZN7rocprim17ROCPRIM_400000_NS6detail40segmented_radix_sort_single_block_helperIdlLj256ELj16ELb1EE4sortIPKdPdPKlPlEEbT_T0_T1_T2_jjjjRNS3_12storage_typeE@rel32@hi+16
	s_mov_b64 s[24:25], s[0:1]
	s_swappc_b64 s[30:31], s[4:5]
	v_mov_b32_e32 v0, v40
	s_mov_b64 s[0:1], s[24:25]
	s_mov_b32 s2, 0
.LBB1124_4:
	s_wait_alu 0xfffe
	s_and_not1_b32 vcc_lo, exec_lo, s2
	s_wait_alu 0xfffe
	s_cbranch_vccnz .LBB1124_6
; %bb.5:
	s_mov_b64 s[2:3], src_shared_base
	v_dual_mov_b32 v31, v0 :: v_dual_mov_b32 v40, v0
	v_dual_mov_b32 v0, s36 :: v_dual_mov_b32 v1, s37
	;; [unrolled: 1-line block ×7, first 2 shown]
	s_wait_alu 0xfffe
	v_dual_mov_b32 v12, 0 :: v_dual_mov_b32 v13, s3
	s_add_nc_u64 s[8:9], s[0:1], 0x60
	s_getpc_b64 s[4:5]
	s_wait_alu 0xfffe
	s_sext_i32_i16 s5, s5
	s_add_co_u32 s4, s4, _ZN7rocprim17ROCPRIM_400000_NS6detail40segmented_radix_sort_single_block_helperIdlLj256ELj16ELb1EE4sortIPKdPdPKlPlEEbT_T0_T1_T2_jjjjRNS3_12storage_typeE@rel32@lo+12
	s_wait_alu 0xfffe
	s_add_co_ci_u32 s5, s5, _ZN7rocprim17ROCPRIM_400000_NS6detail40segmented_radix_sort_single_block_helperIdlLj256ELj16ELb1EE4sortIPKdPdPKlPlEEbT_T0_T1_T2_jjjjRNS3_12storage_typeE@rel32@hi+24
	s_mov_b64 s[24:25], s[0:1]
	s_wait_alu 0xfffe
	s_swappc_b64 s[30:31], s[4:5]
	v_mov_b32_e32 v0, v40
	s_mov_b64 s[0:1], s[24:25]
.LBB1124_6:
	s_mov_b32 s2, 0
.LBB1124_7:
	s_wait_alu 0xfffe
	s_and_not1_b32 vcc_lo, exec_lo, s2
	s_wait_alu 0xfffe
	s_cbranch_vccnz .LBB1124_1182
; %bb.8:
	s_cmp_ge_u32 s49, s50
	s_cbranch_scc1 .LBB1124_1182
; %bb.9:
	v_and_b32_e32 v1, 0x3ff, v0
	v_lshrrev_b32_e32 v5, 3, v0
	v_dual_mov_b32 v3, 0 :: v_dual_and_b32 v2, 3, v0
	v_bfe_u32 v102, v0, 20, 10
	s_delay_alu instid0(VALU_DEP_4) | instskip(NEXT) | instid1(VALU_DEP_4)
	v_dual_mov_b32 v121, 1 :: v_dual_lshlrev_b32 v76, 2, v1
	v_and_b32_e32 v95, 28, v5
	v_lshlrev_b32_e32 v5, 4, v1
	v_lshlrev_b32_e32 v4, 3, v1
	;; [unrolled: 1-line block ×3, first 2 shown]
	v_or_b32_e32 v2, 31, v1
	v_mad_u32_u24 v96, v1, 12, v76
	v_and_b32_e32 v100, 0xe00, v5
	v_add_co_u32 v80, s2, s40, v4
	s_delay_alu instid0(VALU_DEP_4) | instskip(NEXT) | instid1(VALU_DEP_4)
	v_cmp_eq_u32_e64 s3, v1, v2
	v_mad_u32_u24 v101, v1, 20, v96
	s_delay_alu instid0(VALU_DEP_4)
	v_lshlrev_b32_e32 v5, 3, v100
	v_lshlrev_b32_e32 v2, 5, v1
	v_or_b32_e32 v77, 0x100, v1
	v_or_b32_e32 v78, 0x200, v1
	;; [unrolled: 1-line block ×3, first 2 shown]
	v_add_co_u32 v104, s6, s46, v5
	s_wait_alu 0xf1ff
	v_add_co_ci_u32_e64 v105, null, s47, 0, s6
	v_add_co_u32 v106, s6, s40, v5
	s_wait_alu 0xf1ff
	v_add_co_ci_u32_e64 v107, null, s41, 0, s6
	v_add_co_u32 v109, s6, s38, v4
	s_wait_alu 0xf1ff
	v_add_co_ci_u32_e64 v110, null, s39, 0, s6
	v_add_co_u32 v111, s6, s44, v5
	s_wait_alu 0xf1ff
	v_add_co_ci_u32_e64 v112, null, s45, 0, s6
	v_add_co_u32 v113, s6, s38, v5
	s_wait_alu 0xf1ff
	v_add_co_ci_u32_e64 v114, null, s39, 0, s6
	v_add_co_u32 v115, s6, s36, v4
	v_sub_nc_u32_e32 v103, v101, v2
	s_wait_alu 0xf1ff
	v_add_co_ci_u32_e64 v116, null, s37, 0, s6
	v_add_co_u32 v117, s6, s42, v5
	s_wait_alu 0xf1ff
	v_add_co_ci_u32_e64 v118, null, s43, 0, s6
	v_add_co_u32 v119, s6, s36, v5
	v_add_co_ci_u32_e64 v81, null, s41, 0, s2
	v_or_b32_e32 v82, 0x400, v1
	v_or_b32_e32 v83, 0x500, v1
	;; [unrolled: 1-line block ×12, first 2 shown]
	v_cmp_gt_u32_e64 s2, 0x100, v1
	v_or_b32_e32 v97, 0x8400, v95
	v_cmp_gt_u32_e64 s4, 8, v1
	v_add_nc_u32_e32 v98, 0x8400, v76
	v_cmp_lt_u32_e64 s5, 31, v1
	v_add_nc_u32_e32 v99, 0x83fc, v95
	s_add_nc_u64 s[52:53], s[0:1], 0x60
	v_bfe_u32 v0, v0, 10, 10
	v_cmp_eq_u32_e64 s0, 0, v1
	v_cmp_ne_u32_e64 s1, 0xff, v1
	v_add_nc_u32_e32 v108, v103, v76
	v_add_co_ci_u32_e64 v120, null, s37, 0, s6
	v_lshlrev_b32_e32 v122, 3, v1
	v_mbcnt_lo_u32_b32 v123, -1, 0
	s_mov_b32 s34, 0
	s_brev_b32 s35, 1
	s_mov_b32 s31, s49
	s_mov_b32 s48, s49
	s_branch .LBB1124_12
.LBB1124_10:                            ;   in Loop: Header=BB1124_12 Depth=1
	s_wait_loadcnt_dscnt 0x0
	s_barrier_signal -1
	s_barrier_wait -1
.LBB1124_11:                            ;   in Loop: Header=BB1124_12 Depth=1
	s_add_co_i32 s48, s48, 8
	global_inv scope:SCOPE_SE
	s_wait_alu 0xfffe
	s_cmp_ge_u32 s48, s50
	s_cbranch_scc1 .LBB1124_1182
.LBB1124_12:                            ; =>This Loop Header: Depth=1
                                        ;     Child Loop BB1124_16 Depth 2
                                        ;     Child Loop BB1124_96 Depth 2
	;; [unrolled: 1-line block ×8, first 2 shown]
	s_wait_alu 0xfffe
	s_sub_co_i32 s6, s50, s48
	s_xor_b32 s54, s54, -1
	s_wait_alu 0xfffe
	s_min_u32 s56, s6, 8
	s_cmp_lg_u32 s48, s49
	s_mov_b32 s6, -1
	ds_store_2addr_stride64_b32 v76, v3, v3 offset1:4
	ds_store_2addr_stride64_b32 v76, v3, v3 offset0:8 offset1:12
	s_wait_storecnt_dscnt 0x0
	s_cbranch_scc0 .LBB1124_598
; %bb.13:                               ;   in Loop: Header=BB1124_12 Depth=1
	s_wait_alu 0xfffe
	s_lshl_b32 s6, -1, s56
	s_and_b32 vcc_lo, exec_lo, s54
	s_wait_alu 0xfffe
	s_not_b32 s57, s6
	s_mov_b32 s6, -1
	s_cbranch_vccz .LBB1124_305
; %bb.14:                               ;   in Loop: Header=BB1124_12 Depth=1
	s_mov_b32 s8, s55
	s_mov_b32 s6, s33
	s_barrier_signal -1
	s_barrier_wait -1
	global_inv scope:SCOPE_SE
                                        ; implicit-def: $vgpr4_vgpr5
                                        ; implicit-def: $vgpr6_vgpr7
                                        ; implicit-def: $vgpr8_vgpr9
                                        ; implicit-def: $vgpr10_vgpr11
                                        ; implicit-def: $vgpr12_vgpr13
                                        ; implicit-def: $vgpr14_vgpr15
                                        ; implicit-def: $vgpr16_vgpr17
                                        ; implicit-def: $vgpr18_vgpr19
                                        ; implicit-def: $vgpr20_vgpr21
                                        ; implicit-def: $vgpr22_vgpr23
                                        ; implicit-def: $vgpr24_vgpr25
                                        ; implicit-def: $vgpr26_vgpr27
                                        ; implicit-def: $vgpr28_vgpr29
                                        ; implicit-def: $vgpr30_vgpr31
                                        ; implicit-def: $vgpr32_vgpr33
                                        ; implicit-def: $vgpr34_vgpr35
	s_branch .LBB1124_16
.LBB1124_15:                            ;   in Loop: Header=BB1124_16 Depth=2
	s_wait_alu 0xfffe
	s_or_b32 exec_lo, exec_lo, s6
	s_addk_co_i32 s8, 0xf000
	s_cmp_ge_u32 s9, s51
	s_mov_b32 s6, s9
	s_cbranch_scc1 .LBB1124_84
.LBB1124_16:                            ;   Parent Loop BB1124_12 Depth=1
                                        ; =>  This Inner Loop Header: Depth=2
	s_wait_alu 0xfffe
	s_add_co_i32 s9, s6, 0x1000
	s_mov_b32 s7, -1
	s_wait_alu 0xfffe
	s_cmp_gt_u32 s9, s51
                                        ; implicit-def: $vgpr36_vgpr37
                                        ; implicit-def: $vgpr38_vgpr39
                                        ; implicit-def: $vgpr40_vgpr41
                                        ; implicit-def: $vgpr42_vgpr43
                                        ; implicit-def: $vgpr44_vgpr45
                                        ; implicit-def: $vgpr46_vgpr47
                                        ; implicit-def: $vgpr48_vgpr49
                                        ; implicit-def: $vgpr50_vgpr51
                                        ; implicit-def: $vgpr52_vgpr53
                                        ; implicit-def: $vgpr54_vgpr55
                                        ; implicit-def: $vgpr56_vgpr57
                                        ; implicit-def: $vgpr58_vgpr59
                                        ; implicit-def: $vgpr60_vgpr61
                                        ; implicit-def: $vgpr62_vgpr63
                                        ; implicit-def: $vgpr64_vgpr65
                                        ; implicit-def: $vgpr66_vgpr67
	s_cbranch_scc1 .LBB1124_18
; %bb.17:                               ;   in Loop: Header=BB1124_16 Depth=2
	s_mov_b32 s7, s34
	s_wait_alu 0xfffe
	s_lshl_b64 s[10:11], s[6:7], 3
	s_mov_b32 s7, 0
	s_wait_alu 0xfffe
	v_add_co_u32 v66, vcc_lo, v80, s10
	s_wait_alu 0xfffd
	v_add_co_ci_u32_e64 v67, null, s11, v81, vcc_lo
	s_clause 0xf
	global_load_b64 v[36:37], v[66:67], off
	global_load_b64 v[38:39], v[66:67], off offset:2048
	global_load_b64 v[40:41], v[66:67], off offset:4096
	;; [unrolled: 1-line block ×15, first 2 shown]
.LBB1124_18:                            ;   in Loop: Header=BB1124_16 Depth=2
	s_and_not1_b32 vcc_lo, exec_lo, s7
	s_movk_i32 s7, 0x1000
	s_wait_alu 0xfffe
	s_cbranch_vccnz .LBB1124_37
; %bb.19:                               ;   in Loop: Header=BB1124_16 Depth=2
	s_mov_b32 s7, s34
	s_mov_b32 s10, exec_lo
	s_wait_alu 0xfffe
	s_lshl_b64 s[6:7], s[6:7], 3
	s_wait_alu 0xfffe
	s_add_nc_u64 s[6:7], s[40:41], s[6:7]
	v_cmpx_gt_u32_e64 s8, v1
	s_cbranch_execnz .LBB1124_69
; %bb.20:                               ;   in Loop: Header=BB1124_16 Depth=2
	s_or_b32 exec_lo, exec_lo, s10
	s_delay_alu instid0(SALU_CYCLE_1)
	s_mov_b32 s10, exec_lo
	v_cmpx_gt_u32_e64 s8, v77
	s_cbranch_execnz .LBB1124_70
.LBB1124_21:                            ;   in Loop: Header=BB1124_16 Depth=2
	s_wait_alu 0xfffe
	s_or_b32 exec_lo, exec_lo, s10
	s_delay_alu instid0(SALU_CYCLE_1)
	s_mov_b32 s10, exec_lo
	v_cmpx_gt_u32_e64 s8, v78
	s_cbranch_execnz .LBB1124_71
.LBB1124_22:                            ;   in Loop: Header=BB1124_16 Depth=2
	s_wait_alu 0xfffe
	s_or_b32 exec_lo, exec_lo, s10
	s_delay_alu instid0(SALU_CYCLE_1)
	s_mov_b32 s10, exec_lo
	v_cmpx_gt_u32_e64 s8, v79
	s_cbranch_execnz .LBB1124_72
.LBB1124_23:                            ;   in Loop: Header=BB1124_16 Depth=2
	s_wait_alu 0xfffe
	s_or_b32 exec_lo, exec_lo, s10
	s_delay_alu instid0(SALU_CYCLE_1)
	s_mov_b32 s10, exec_lo
	v_cmpx_gt_u32_e64 s8, v82
	s_cbranch_execnz .LBB1124_73
.LBB1124_24:                            ;   in Loop: Header=BB1124_16 Depth=2
	s_wait_alu 0xfffe
	s_or_b32 exec_lo, exec_lo, s10
	s_delay_alu instid0(SALU_CYCLE_1)
	s_mov_b32 s10, exec_lo
	v_cmpx_gt_u32_e64 s8, v83
	s_cbranch_execnz .LBB1124_74
.LBB1124_25:                            ;   in Loop: Header=BB1124_16 Depth=2
	s_wait_alu 0xfffe
	s_or_b32 exec_lo, exec_lo, s10
	s_delay_alu instid0(SALU_CYCLE_1)
	s_mov_b32 s10, exec_lo
	v_cmpx_gt_u32_e64 s8, v84
	s_cbranch_execnz .LBB1124_75
.LBB1124_26:                            ;   in Loop: Header=BB1124_16 Depth=2
	s_wait_alu 0xfffe
	s_or_b32 exec_lo, exec_lo, s10
	s_delay_alu instid0(SALU_CYCLE_1)
	s_mov_b32 s10, exec_lo
	v_cmpx_gt_u32_e64 s8, v85
	s_cbranch_execnz .LBB1124_76
.LBB1124_27:                            ;   in Loop: Header=BB1124_16 Depth=2
	s_wait_alu 0xfffe
	s_or_b32 exec_lo, exec_lo, s10
	s_delay_alu instid0(SALU_CYCLE_1)
	s_mov_b32 s10, exec_lo
	v_cmpx_gt_u32_e64 s8, v86
	s_cbranch_execnz .LBB1124_77
.LBB1124_28:                            ;   in Loop: Header=BB1124_16 Depth=2
	s_wait_alu 0xfffe
	s_or_b32 exec_lo, exec_lo, s10
	s_delay_alu instid0(SALU_CYCLE_1)
	s_mov_b32 s10, exec_lo
	v_cmpx_gt_u32_e64 s8, v87
	s_cbranch_execnz .LBB1124_78
.LBB1124_29:                            ;   in Loop: Header=BB1124_16 Depth=2
	s_wait_alu 0xfffe
	s_or_b32 exec_lo, exec_lo, s10
	s_delay_alu instid0(SALU_CYCLE_1)
	s_mov_b32 s10, exec_lo
	v_cmpx_gt_u32_e64 s8, v88
	s_cbranch_execnz .LBB1124_79
.LBB1124_30:                            ;   in Loop: Header=BB1124_16 Depth=2
	s_wait_alu 0xfffe
	s_or_b32 exec_lo, exec_lo, s10
	s_delay_alu instid0(SALU_CYCLE_1)
	s_mov_b32 s10, exec_lo
	v_cmpx_gt_u32_e64 s8, v89
	s_cbranch_execnz .LBB1124_80
.LBB1124_31:                            ;   in Loop: Header=BB1124_16 Depth=2
	s_wait_alu 0xfffe
	s_or_b32 exec_lo, exec_lo, s10
	s_delay_alu instid0(SALU_CYCLE_1)
	s_mov_b32 s10, exec_lo
	v_cmpx_gt_u32_e64 s8, v90
	s_cbranch_execnz .LBB1124_81
.LBB1124_32:                            ;   in Loop: Header=BB1124_16 Depth=2
	s_wait_alu 0xfffe
	s_or_b32 exec_lo, exec_lo, s10
	s_delay_alu instid0(SALU_CYCLE_1)
	s_mov_b32 s10, exec_lo
	v_cmpx_gt_u32_e64 s8, v91
	s_cbranch_execnz .LBB1124_82
.LBB1124_33:                            ;   in Loop: Header=BB1124_16 Depth=2
	s_wait_alu 0xfffe
	s_or_b32 exec_lo, exec_lo, s10
	s_delay_alu instid0(SALU_CYCLE_1)
	s_mov_b32 s10, exec_lo
	v_cmpx_gt_u32_e64 s8, v92
	s_cbranch_execnz .LBB1124_83
.LBB1124_34:                            ;   in Loop: Header=BB1124_16 Depth=2
	s_wait_alu 0xfffe
	s_or_b32 exec_lo, exec_lo, s10
	s_delay_alu instid0(SALU_CYCLE_1)
	s_mov_b32 s10, exec_lo
	v_cmpx_gt_u32_e64 s8, v93
	s_cbranch_execz .LBB1124_36
.LBB1124_35:                            ;   in Loop: Header=BB1124_16 Depth=2
	global_load_b64 v[4:5], v122, s[6:7] offset:30720
.LBB1124_36:                            ;   in Loop: Header=BB1124_16 Depth=2
	s_wait_alu 0xfffe
	s_or_b32 exec_lo, exec_lo, s10
	s_wait_loadcnt 0x0
	v_dual_mov_b32 v37, v35 :: v_dual_mov_b32 v36, v34
	v_dual_mov_b32 v39, v33 :: v_dual_mov_b32 v38, v32
	;; [unrolled: 1-line block ×16, first 2 shown]
	s_mov_b32 s7, s8
.LBB1124_37:                            ;   in Loop: Header=BB1124_16 Depth=2
	s_wait_loadcnt 0x0
	s_delay_alu instid0(VALU_DEP_1)
	v_dual_mov_b32 v4, v66 :: v_dual_mov_b32 v5, v67
	v_dual_mov_b32 v6, v64 :: v_dual_mov_b32 v7, v65
	v_dual_mov_b32 v8, v62 :: v_dual_mov_b32 v9, v63
	v_dual_mov_b32 v10, v60 :: v_dual_mov_b32 v11, v61
	v_dual_mov_b32 v12, v58 :: v_dual_mov_b32 v13, v59
	v_dual_mov_b32 v14, v56 :: v_dual_mov_b32 v15, v57
	v_dual_mov_b32 v16, v54 :: v_dual_mov_b32 v17, v55
	v_dual_mov_b32 v18, v52 :: v_dual_mov_b32 v19, v53
	v_dual_mov_b32 v20, v50 :: v_dual_mov_b32 v21, v51
	v_dual_mov_b32 v22, v48 :: v_dual_mov_b32 v23, v49
	v_dual_mov_b32 v24, v46 :: v_dual_mov_b32 v25, v47
	v_dual_mov_b32 v26, v44 :: v_dual_mov_b32 v27, v45
	v_dual_mov_b32 v28, v42 :: v_dual_mov_b32 v29, v43
	v_dual_mov_b32 v30, v40 :: v_dual_mov_b32 v31, v41
	v_dual_mov_b32 v32, v38 :: v_dual_mov_b32 v33, v39
	v_dual_mov_b32 v34, v36 :: v_dual_mov_b32 v35, v37
	s_mov_b32 s6, exec_lo
	s_wait_alu 0xfffe
	v_cmpx_gt_u32_e64 s7, v1
	s_cbranch_execnz .LBB1124_53
; %bb.38:                               ;   in Loop: Header=BB1124_16 Depth=2
	s_or_b32 exec_lo, exec_lo, s6
	s_delay_alu instid0(SALU_CYCLE_1)
	s_mov_b32 s6, exec_lo
	v_cmpx_gt_u32_e64 s7, v77
	s_cbranch_execnz .LBB1124_54
.LBB1124_39:                            ;   in Loop: Header=BB1124_16 Depth=2
	s_wait_alu 0xfffe
	s_or_b32 exec_lo, exec_lo, s6
	s_delay_alu instid0(SALU_CYCLE_1)
	s_mov_b32 s6, exec_lo
	v_cmpx_gt_u32_e64 s7, v78
	s_cbranch_execnz .LBB1124_55
.LBB1124_40:                            ;   in Loop: Header=BB1124_16 Depth=2
	s_wait_alu 0xfffe
	s_or_b32 exec_lo, exec_lo, s6
	s_delay_alu instid0(SALU_CYCLE_1)
	s_mov_b32 s6, exec_lo
	v_cmpx_gt_u32_e64 s7, v79
	s_cbranch_execnz .LBB1124_56
.LBB1124_41:                            ;   in Loop: Header=BB1124_16 Depth=2
	s_wait_alu 0xfffe
	s_or_b32 exec_lo, exec_lo, s6
	s_delay_alu instid0(SALU_CYCLE_1)
	s_mov_b32 s6, exec_lo
	v_cmpx_gt_u32_e64 s7, v82
	s_cbranch_execnz .LBB1124_57
.LBB1124_42:                            ;   in Loop: Header=BB1124_16 Depth=2
	s_wait_alu 0xfffe
	s_or_b32 exec_lo, exec_lo, s6
	s_delay_alu instid0(SALU_CYCLE_1)
	s_mov_b32 s6, exec_lo
	v_cmpx_gt_u32_e64 s7, v83
	s_cbranch_execnz .LBB1124_58
.LBB1124_43:                            ;   in Loop: Header=BB1124_16 Depth=2
	s_wait_alu 0xfffe
	s_or_b32 exec_lo, exec_lo, s6
	s_delay_alu instid0(SALU_CYCLE_1)
	s_mov_b32 s6, exec_lo
	v_cmpx_gt_u32_e64 s7, v84
	s_cbranch_execnz .LBB1124_59
.LBB1124_44:                            ;   in Loop: Header=BB1124_16 Depth=2
	s_wait_alu 0xfffe
	s_or_b32 exec_lo, exec_lo, s6
	s_delay_alu instid0(SALU_CYCLE_1)
	s_mov_b32 s6, exec_lo
	v_cmpx_gt_u32_e64 s7, v85
	s_cbranch_execnz .LBB1124_60
.LBB1124_45:                            ;   in Loop: Header=BB1124_16 Depth=2
	s_wait_alu 0xfffe
	s_or_b32 exec_lo, exec_lo, s6
	s_delay_alu instid0(SALU_CYCLE_1)
	s_mov_b32 s6, exec_lo
	v_cmpx_gt_u32_e64 s7, v86
	s_cbranch_execnz .LBB1124_61
.LBB1124_46:                            ;   in Loop: Header=BB1124_16 Depth=2
	s_wait_alu 0xfffe
	s_or_b32 exec_lo, exec_lo, s6
	s_delay_alu instid0(SALU_CYCLE_1)
	s_mov_b32 s6, exec_lo
	v_cmpx_gt_u32_e64 s7, v87
	s_cbranch_execnz .LBB1124_62
.LBB1124_47:                            ;   in Loop: Header=BB1124_16 Depth=2
	s_wait_alu 0xfffe
	s_or_b32 exec_lo, exec_lo, s6
	s_delay_alu instid0(SALU_CYCLE_1)
	s_mov_b32 s6, exec_lo
	v_cmpx_gt_u32_e64 s7, v88
	s_cbranch_execnz .LBB1124_63
.LBB1124_48:                            ;   in Loop: Header=BB1124_16 Depth=2
	s_wait_alu 0xfffe
	s_or_b32 exec_lo, exec_lo, s6
	s_delay_alu instid0(SALU_CYCLE_1)
	s_mov_b32 s6, exec_lo
	v_cmpx_gt_u32_e64 s7, v89
	s_cbranch_execnz .LBB1124_64
.LBB1124_49:                            ;   in Loop: Header=BB1124_16 Depth=2
	s_wait_alu 0xfffe
	s_or_b32 exec_lo, exec_lo, s6
	s_delay_alu instid0(SALU_CYCLE_1)
	s_mov_b32 s6, exec_lo
	v_cmpx_gt_u32_e64 s7, v90
	s_cbranch_execnz .LBB1124_65
.LBB1124_50:                            ;   in Loop: Header=BB1124_16 Depth=2
	s_wait_alu 0xfffe
	s_or_b32 exec_lo, exec_lo, s6
	s_delay_alu instid0(SALU_CYCLE_1)
	s_mov_b32 s6, exec_lo
	v_cmpx_gt_u32_e64 s7, v91
	s_cbranch_execnz .LBB1124_66
.LBB1124_51:                            ;   in Loop: Header=BB1124_16 Depth=2
	s_wait_alu 0xfffe
	s_or_b32 exec_lo, exec_lo, s6
	s_delay_alu instid0(SALU_CYCLE_1)
	s_mov_b32 s6, exec_lo
	v_cmpx_gt_u32_e64 s7, v92
	s_cbranch_execnz .LBB1124_67
.LBB1124_52:                            ;   in Loop: Header=BB1124_16 Depth=2
	s_wait_alu 0xfffe
	s_or_b32 exec_lo, exec_lo, s6
	s_delay_alu instid0(SALU_CYCLE_1)
	s_mov_b32 s6, exec_lo
	v_cmpx_gt_u32_e64 s7, v93
	s_cbranch_execz .LBB1124_15
	s_branch .LBB1124_68
.LBB1124_53:                            ;   in Loop: Header=BB1124_16 Depth=2
	v_cmp_gt_i64_e32 vcc_lo, 0, v[34:35]
	v_ashrrev_i32_e32 v2, 31, v35
	s_delay_alu instid0(VALU_DEP_1) | instskip(SKIP_2) | instid1(VALU_DEP_1)
	v_not_b32_e32 v2, v2
	s_wait_alu 0xfffd
	v_cndmask_b32_e64 v36, 0x7fffffff, 0, vcc_lo
	v_xor_b32_e32 v37, v36, v35
	s_delay_alu instid0(VALU_DEP_3) | instskip(NEXT) | instid1(VALU_DEP_1)
	v_xor_b32_e32 v36, v2, v34
	v_cmp_ne_u64_e32 vcc_lo, s[34:35], v[36:37]
	s_wait_alu 0xfffd
	v_cndmask_b32_e32 v37, 0x7fffffff, v37, vcc_lo
	v_cndmask_b32_e32 v36, -1, v36, vcc_lo
	s_delay_alu instid0(VALU_DEP_1) | instskip(NEXT) | instid1(VALU_DEP_1)
	v_lshrrev_b64 v[36:37], s48, v[36:37]
	v_and_b32_e32 v2, s57, v36
	s_delay_alu instid0(VALU_DEP_1) | instskip(SKIP_2) | instid1(SALU_CYCLE_1)
	v_lshl_or_b32 v2, v2, 4, v94
	ds_add_u32 v2, v121
	s_or_b32 exec_lo, exec_lo, s6
	s_mov_b32 s6, exec_lo
	v_cmpx_gt_u32_e64 s7, v77
	s_cbranch_execz .LBB1124_39
.LBB1124_54:                            ;   in Loop: Header=BB1124_16 Depth=2
	v_cmp_gt_i64_e32 vcc_lo, 0, v[32:33]
	v_ashrrev_i32_e32 v2, 31, v33
	s_delay_alu instid0(VALU_DEP_1) | instskip(SKIP_2) | instid1(VALU_DEP_1)
	v_not_b32_e32 v2, v2
	s_wait_alu 0xfffd
	v_cndmask_b32_e64 v36, 0x7fffffff, 0, vcc_lo
	v_xor_b32_e32 v37, v36, v33
	s_delay_alu instid0(VALU_DEP_3) | instskip(NEXT) | instid1(VALU_DEP_1)
	v_xor_b32_e32 v36, v2, v32
	v_cmp_ne_u64_e32 vcc_lo, s[34:35], v[36:37]
	s_wait_alu 0xfffd
	v_cndmask_b32_e32 v37, 0x7fffffff, v37, vcc_lo
	v_cndmask_b32_e32 v36, -1, v36, vcc_lo
	s_delay_alu instid0(VALU_DEP_1) | instskip(NEXT) | instid1(VALU_DEP_1)
	v_lshrrev_b64 v[36:37], s48, v[36:37]
	v_and_b32_e32 v2, s57, v36
	s_delay_alu instid0(VALU_DEP_1) | instskip(SKIP_3) | instid1(SALU_CYCLE_1)
	v_lshl_or_b32 v2, v2, 4, v94
	ds_add_u32 v2, v121
	s_wait_alu 0xfffe
	s_or_b32 exec_lo, exec_lo, s6
	s_mov_b32 s6, exec_lo
	v_cmpx_gt_u32_e64 s7, v78
	s_cbranch_execz .LBB1124_40
.LBB1124_55:                            ;   in Loop: Header=BB1124_16 Depth=2
	v_cmp_gt_i64_e32 vcc_lo, 0, v[30:31]
	v_ashrrev_i32_e32 v2, 31, v31
	s_delay_alu instid0(VALU_DEP_1) | instskip(SKIP_2) | instid1(VALU_DEP_1)
	v_not_b32_e32 v2, v2
	s_wait_alu 0xfffd
	v_cndmask_b32_e64 v36, 0x7fffffff, 0, vcc_lo
	v_xor_b32_e32 v37, v36, v31
	s_delay_alu instid0(VALU_DEP_3) | instskip(NEXT) | instid1(VALU_DEP_1)
	v_xor_b32_e32 v36, v2, v30
	v_cmp_ne_u64_e32 vcc_lo, s[34:35], v[36:37]
	s_wait_alu 0xfffd
	v_cndmask_b32_e32 v37, 0x7fffffff, v37, vcc_lo
	v_cndmask_b32_e32 v36, -1, v36, vcc_lo
	s_delay_alu instid0(VALU_DEP_1) | instskip(NEXT) | instid1(VALU_DEP_1)
	v_lshrrev_b64 v[36:37], s48, v[36:37]
	v_and_b32_e32 v2, s57, v36
	s_delay_alu instid0(VALU_DEP_1) | instskip(SKIP_3) | instid1(SALU_CYCLE_1)
	v_lshl_or_b32 v2, v2, 4, v94
	ds_add_u32 v2, v121
	s_wait_alu 0xfffe
	s_or_b32 exec_lo, exec_lo, s6
	s_mov_b32 s6, exec_lo
	v_cmpx_gt_u32_e64 s7, v79
	s_cbranch_execz .LBB1124_41
.LBB1124_56:                            ;   in Loop: Header=BB1124_16 Depth=2
	v_cmp_gt_i64_e32 vcc_lo, 0, v[28:29]
	v_ashrrev_i32_e32 v2, 31, v29
	s_delay_alu instid0(VALU_DEP_1) | instskip(SKIP_2) | instid1(VALU_DEP_1)
	v_not_b32_e32 v2, v2
	s_wait_alu 0xfffd
	v_cndmask_b32_e64 v36, 0x7fffffff, 0, vcc_lo
	v_xor_b32_e32 v37, v36, v29
	s_delay_alu instid0(VALU_DEP_3) | instskip(NEXT) | instid1(VALU_DEP_1)
	v_xor_b32_e32 v36, v2, v28
	v_cmp_ne_u64_e32 vcc_lo, s[34:35], v[36:37]
	s_wait_alu 0xfffd
	v_cndmask_b32_e32 v37, 0x7fffffff, v37, vcc_lo
	v_cndmask_b32_e32 v36, -1, v36, vcc_lo
	s_delay_alu instid0(VALU_DEP_1) | instskip(NEXT) | instid1(VALU_DEP_1)
	v_lshrrev_b64 v[36:37], s48, v[36:37]
	v_and_b32_e32 v2, s57, v36
	s_delay_alu instid0(VALU_DEP_1) | instskip(SKIP_3) | instid1(SALU_CYCLE_1)
	v_lshl_or_b32 v2, v2, 4, v94
	ds_add_u32 v2, v121
	s_wait_alu 0xfffe
	s_or_b32 exec_lo, exec_lo, s6
	s_mov_b32 s6, exec_lo
	v_cmpx_gt_u32_e64 s7, v82
	s_cbranch_execz .LBB1124_42
.LBB1124_57:                            ;   in Loop: Header=BB1124_16 Depth=2
	v_cmp_gt_i64_e32 vcc_lo, 0, v[26:27]
	v_ashrrev_i32_e32 v2, 31, v27
	s_delay_alu instid0(VALU_DEP_1) | instskip(SKIP_2) | instid1(VALU_DEP_1)
	v_not_b32_e32 v2, v2
	s_wait_alu 0xfffd
	v_cndmask_b32_e64 v36, 0x7fffffff, 0, vcc_lo
	v_xor_b32_e32 v37, v36, v27
	s_delay_alu instid0(VALU_DEP_3) | instskip(NEXT) | instid1(VALU_DEP_1)
	v_xor_b32_e32 v36, v2, v26
	v_cmp_ne_u64_e32 vcc_lo, s[34:35], v[36:37]
	s_wait_alu 0xfffd
	v_cndmask_b32_e32 v37, 0x7fffffff, v37, vcc_lo
	v_cndmask_b32_e32 v36, -1, v36, vcc_lo
	s_delay_alu instid0(VALU_DEP_1) | instskip(NEXT) | instid1(VALU_DEP_1)
	v_lshrrev_b64 v[36:37], s48, v[36:37]
	v_and_b32_e32 v2, s57, v36
	s_delay_alu instid0(VALU_DEP_1) | instskip(SKIP_3) | instid1(SALU_CYCLE_1)
	v_lshl_or_b32 v2, v2, 4, v94
	ds_add_u32 v2, v121
	s_wait_alu 0xfffe
	s_or_b32 exec_lo, exec_lo, s6
	s_mov_b32 s6, exec_lo
	v_cmpx_gt_u32_e64 s7, v83
	s_cbranch_execz .LBB1124_43
.LBB1124_58:                            ;   in Loop: Header=BB1124_16 Depth=2
	v_cmp_gt_i64_e32 vcc_lo, 0, v[24:25]
	v_ashrrev_i32_e32 v2, 31, v25
	s_delay_alu instid0(VALU_DEP_1) | instskip(SKIP_2) | instid1(VALU_DEP_1)
	v_not_b32_e32 v2, v2
	s_wait_alu 0xfffd
	v_cndmask_b32_e64 v36, 0x7fffffff, 0, vcc_lo
	v_xor_b32_e32 v37, v36, v25
	s_delay_alu instid0(VALU_DEP_3) | instskip(NEXT) | instid1(VALU_DEP_1)
	v_xor_b32_e32 v36, v2, v24
	v_cmp_ne_u64_e32 vcc_lo, s[34:35], v[36:37]
	s_wait_alu 0xfffd
	v_cndmask_b32_e32 v37, 0x7fffffff, v37, vcc_lo
	v_cndmask_b32_e32 v36, -1, v36, vcc_lo
	s_delay_alu instid0(VALU_DEP_1) | instskip(NEXT) | instid1(VALU_DEP_1)
	v_lshrrev_b64 v[36:37], s48, v[36:37]
	v_and_b32_e32 v2, s57, v36
	s_delay_alu instid0(VALU_DEP_1) | instskip(SKIP_3) | instid1(SALU_CYCLE_1)
	v_lshl_or_b32 v2, v2, 4, v94
	ds_add_u32 v2, v121
	s_wait_alu 0xfffe
	s_or_b32 exec_lo, exec_lo, s6
	s_mov_b32 s6, exec_lo
	v_cmpx_gt_u32_e64 s7, v84
	s_cbranch_execz .LBB1124_44
.LBB1124_59:                            ;   in Loop: Header=BB1124_16 Depth=2
	v_cmp_gt_i64_e32 vcc_lo, 0, v[22:23]
	v_ashrrev_i32_e32 v2, 31, v23
	s_delay_alu instid0(VALU_DEP_1) | instskip(SKIP_2) | instid1(VALU_DEP_1)
	v_not_b32_e32 v2, v2
	s_wait_alu 0xfffd
	v_cndmask_b32_e64 v36, 0x7fffffff, 0, vcc_lo
	v_xor_b32_e32 v37, v36, v23
	s_delay_alu instid0(VALU_DEP_3) | instskip(NEXT) | instid1(VALU_DEP_1)
	v_xor_b32_e32 v36, v2, v22
	v_cmp_ne_u64_e32 vcc_lo, s[34:35], v[36:37]
	s_wait_alu 0xfffd
	v_cndmask_b32_e32 v37, 0x7fffffff, v37, vcc_lo
	v_cndmask_b32_e32 v36, -1, v36, vcc_lo
	s_delay_alu instid0(VALU_DEP_1) | instskip(NEXT) | instid1(VALU_DEP_1)
	v_lshrrev_b64 v[36:37], s48, v[36:37]
	v_and_b32_e32 v2, s57, v36
	s_delay_alu instid0(VALU_DEP_1) | instskip(SKIP_3) | instid1(SALU_CYCLE_1)
	v_lshl_or_b32 v2, v2, 4, v94
	ds_add_u32 v2, v121
	s_wait_alu 0xfffe
	s_or_b32 exec_lo, exec_lo, s6
	s_mov_b32 s6, exec_lo
	v_cmpx_gt_u32_e64 s7, v85
	s_cbranch_execz .LBB1124_45
.LBB1124_60:                            ;   in Loop: Header=BB1124_16 Depth=2
	v_cmp_gt_i64_e32 vcc_lo, 0, v[20:21]
	v_ashrrev_i32_e32 v2, 31, v21
	s_delay_alu instid0(VALU_DEP_1) | instskip(SKIP_2) | instid1(VALU_DEP_1)
	v_not_b32_e32 v2, v2
	s_wait_alu 0xfffd
	v_cndmask_b32_e64 v36, 0x7fffffff, 0, vcc_lo
	v_xor_b32_e32 v37, v36, v21
	s_delay_alu instid0(VALU_DEP_3) | instskip(NEXT) | instid1(VALU_DEP_1)
	v_xor_b32_e32 v36, v2, v20
	v_cmp_ne_u64_e32 vcc_lo, s[34:35], v[36:37]
	s_wait_alu 0xfffd
	v_cndmask_b32_e32 v37, 0x7fffffff, v37, vcc_lo
	v_cndmask_b32_e32 v36, -1, v36, vcc_lo
	s_delay_alu instid0(VALU_DEP_1) | instskip(NEXT) | instid1(VALU_DEP_1)
	v_lshrrev_b64 v[36:37], s48, v[36:37]
	v_and_b32_e32 v2, s57, v36
	s_delay_alu instid0(VALU_DEP_1) | instskip(SKIP_3) | instid1(SALU_CYCLE_1)
	v_lshl_or_b32 v2, v2, 4, v94
	ds_add_u32 v2, v121
	s_wait_alu 0xfffe
	s_or_b32 exec_lo, exec_lo, s6
	s_mov_b32 s6, exec_lo
	v_cmpx_gt_u32_e64 s7, v86
	s_cbranch_execz .LBB1124_46
.LBB1124_61:                            ;   in Loop: Header=BB1124_16 Depth=2
	v_cmp_gt_i64_e32 vcc_lo, 0, v[18:19]
	v_ashrrev_i32_e32 v2, 31, v19
	s_delay_alu instid0(VALU_DEP_1) | instskip(SKIP_2) | instid1(VALU_DEP_1)
	v_not_b32_e32 v2, v2
	s_wait_alu 0xfffd
	v_cndmask_b32_e64 v36, 0x7fffffff, 0, vcc_lo
	v_xor_b32_e32 v37, v36, v19
	s_delay_alu instid0(VALU_DEP_3) | instskip(NEXT) | instid1(VALU_DEP_1)
	v_xor_b32_e32 v36, v2, v18
	v_cmp_ne_u64_e32 vcc_lo, s[34:35], v[36:37]
	s_wait_alu 0xfffd
	v_cndmask_b32_e32 v37, 0x7fffffff, v37, vcc_lo
	v_cndmask_b32_e32 v36, -1, v36, vcc_lo
	s_delay_alu instid0(VALU_DEP_1) | instskip(NEXT) | instid1(VALU_DEP_1)
	v_lshrrev_b64 v[36:37], s48, v[36:37]
	v_and_b32_e32 v2, s57, v36
	s_delay_alu instid0(VALU_DEP_1) | instskip(SKIP_3) | instid1(SALU_CYCLE_1)
	v_lshl_or_b32 v2, v2, 4, v94
	ds_add_u32 v2, v121
	s_wait_alu 0xfffe
	s_or_b32 exec_lo, exec_lo, s6
	s_mov_b32 s6, exec_lo
	v_cmpx_gt_u32_e64 s7, v87
	s_cbranch_execz .LBB1124_47
.LBB1124_62:                            ;   in Loop: Header=BB1124_16 Depth=2
	v_cmp_gt_i64_e32 vcc_lo, 0, v[16:17]
	v_ashrrev_i32_e32 v2, 31, v17
	s_delay_alu instid0(VALU_DEP_1) | instskip(SKIP_2) | instid1(VALU_DEP_1)
	v_not_b32_e32 v2, v2
	s_wait_alu 0xfffd
	v_cndmask_b32_e64 v36, 0x7fffffff, 0, vcc_lo
	v_xor_b32_e32 v37, v36, v17
	s_delay_alu instid0(VALU_DEP_3) | instskip(NEXT) | instid1(VALU_DEP_1)
	v_xor_b32_e32 v36, v2, v16
	v_cmp_ne_u64_e32 vcc_lo, s[34:35], v[36:37]
	s_wait_alu 0xfffd
	v_cndmask_b32_e32 v37, 0x7fffffff, v37, vcc_lo
	v_cndmask_b32_e32 v36, -1, v36, vcc_lo
	s_delay_alu instid0(VALU_DEP_1) | instskip(NEXT) | instid1(VALU_DEP_1)
	v_lshrrev_b64 v[36:37], s48, v[36:37]
	v_and_b32_e32 v2, s57, v36
	s_delay_alu instid0(VALU_DEP_1) | instskip(SKIP_3) | instid1(SALU_CYCLE_1)
	v_lshl_or_b32 v2, v2, 4, v94
	ds_add_u32 v2, v121
	s_wait_alu 0xfffe
	s_or_b32 exec_lo, exec_lo, s6
	s_mov_b32 s6, exec_lo
	v_cmpx_gt_u32_e64 s7, v88
	s_cbranch_execz .LBB1124_48
.LBB1124_63:                            ;   in Loop: Header=BB1124_16 Depth=2
	v_cmp_gt_i64_e32 vcc_lo, 0, v[14:15]
	v_ashrrev_i32_e32 v2, 31, v15
	s_delay_alu instid0(VALU_DEP_1) | instskip(SKIP_2) | instid1(VALU_DEP_1)
	v_not_b32_e32 v2, v2
	s_wait_alu 0xfffd
	v_cndmask_b32_e64 v36, 0x7fffffff, 0, vcc_lo
	v_xor_b32_e32 v37, v36, v15
	s_delay_alu instid0(VALU_DEP_3) | instskip(NEXT) | instid1(VALU_DEP_1)
	v_xor_b32_e32 v36, v2, v14
	v_cmp_ne_u64_e32 vcc_lo, s[34:35], v[36:37]
	s_wait_alu 0xfffd
	v_cndmask_b32_e32 v37, 0x7fffffff, v37, vcc_lo
	v_cndmask_b32_e32 v36, -1, v36, vcc_lo
	s_delay_alu instid0(VALU_DEP_1) | instskip(NEXT) | instid1(VALU_DEP_1)
	v_lshrrev_b64 v[36:37], s48, v[36:37]
	v_and_b32_e32 v2, s57, v36
	s_delay_alu instid0(VALU_DEP_1) | instskip(SKIP_3) | instid1(SALU_CYCLE_1)
	v_lshl_or_b32 v2, v2, 4, v94
	ds_add_u32 v2, v121
	s_wait_alu 0xfffe
	s_or_b32 exec_lo, exec_lo, s6
	s_mov_b32 s6, exec_lo
	v_cmpx_gt_u32_e64 s7, v89
	s_cbranch_execz .LBB1124_49
.LBB1124_64:                            ;   in Loop: Header=BB1124_16 Depth=2
	v_cmp_gt_i64_e32 vcc_lo, 0, v[12:13]
	v_ashrrev_i32_e32 v2, 31, v13
	s_delay_alu instid0(VALU_DEP_1) | instskip(SKIP_2) | instid1(VALU_DEP_1)
	v_not_b32_e32 v2, v2
	s_wait_alu 0xfffd
	v_cndmask_b32_e64 v36, 0x7fffffff, 0, vcc_lo
	v_xor_b32_e32 v37, v36, v13
	s_delay_alu instid0(VALU_DEP_3) | instskip(NEXT) | instid1(VALU_DEP_1)
	v_xor_b32_e32 v36, v2, v12
	v_cmp_ne_u64_e32 vcc_lo, s[34:35], v[36:37]
	s_wait_alu 0xfffd
	v_cndmask_b32_e32 v37, 0x7fffffff, v37, vcc_lo
	v_cndmask_b32_e32 v36, -1, v36, vcc_lo
	s_delay_alu instid0(VALU_DEP_1) | instskip(NEXT) | instid1(VALU_DEP_1)
	v_lshrrev_b64 v[36:37], s48, v[36:37]
	v_and_b32_e32 v2, s57, v36
	s_delay_alu instid0(VALU_DEP_1) | instskip(SKIP_3) | instid1(SALU_CYCLE_1)
	v_lshl_or_b32 v2, v2, 4, v94
	ds_add_u32 v2, v121
	s_wait_alu 0xfffe
	s_or_b32 exec_lo, exec_lo, s6
	s_mov_b32 s6, exec_lo
	v_cmpx_gt_u32_e64 s7, v90
	s_cbranch_execz .LBB1124_50
.LBB1124_65:                            ;   in Loop: Header=BB1124_16 Depth=2
	v_cmp_gt_i64_e32 vcc_lo, 0, v[10:11]
	v_ashrrev_i32_e32 v2, 31, v11
	s_delay_alu instid0(VALU_DEP_1) | instskip(SKIP_2) | instid1(VALU_DEP_1)
	v_not_b32_e32 v2, v2
	s_wait_alu 0xfffd
	v_cndmask_b32_e64 v36, 0x7fffffff, 0, vcc_lo
	v_xor_b32_e32 v37, v36, v11
	s_delay_alu instid0(VALU_DEP_3) | instskip(NEXT) | instid1(VALU_DEP_1)
	v_xor_b32_e32 v36, v2, v10
	v_cmp_ne_u64_e32 vcc_lo, s[34:35], v[36:37]
	s_wait_alu 0xfffd
	v_cndmask_b32_e32 v37, 0x7fffffff, v37, vcc_lo
	v_cndmask_b32_e32 v36, -1, v36, vcc_lo
	s_delay_alu instid0(VALU_DEP_1) | instskip(NEXT) | instid1(VALU_DEP_1)
	v_lshrrev_b64 v[36:37], s48, v[36:37]
	v_and_b32_e32 v2, s57, v36
	s_delay_alu instid0(VALU_DEP_1) | instskip(SKIP_3) | instid1(SALU_CYCLE_1)
	v_lshl_or_b32 v2, v2, 4, v94
	ds_add_u32 v2, v121
	s_wait_alu 0xfffe
	s_or_b32 exec_lo, exec_lo, s6
	s_mov_b32 s6, exec_lo
	v_cmpx_gt_u32_e64 s7, v91
	s_cbranch_execz .LBB1124_51
.LBB1124_66:                            ;   in Loop: Header=BB1124_16 Depth=2
	v_cmp_gt_i64_e32 vcc_lo, 0, v[8:9]
	v_ashrrev_i32_e32 v2, 31, v9
	s_delay_alu instid0(VALU_DEP_1) | instskip(SKIP_2) | instid1(VALU_DEP_1)
	v_not_b32_e32 v2, v2
	s_wait_alu 0xfffd
	v_cndmask_b32_e64 v36, 0x7fffffff, 0, vcc_lo
	v_xor_b32_e32 v37, v36, v9
	s_delay_alu instid0(VALU_DEP_3) | instskip(NEXT) | instid1(VALU_DEP_1)
	v_xor_b32_e32 v36, v2, v8
	v_cmp_ne_u64_e32 vcc_lo, s[34:35], v[36:37]
	s_wait_alu 0xfffd
	v_cndmask_b32_e32 v37, 0x7fffffff, v37, vcc_lo
	v_cndmask_b32_e32 v36, -1, v36, vcc_lo
	s_delay_alu instid0(VALU_DEP_1) | instskip(NEXT) | instid1(VALU_DEP_1)
	v_lshrrev_b64 v[36:37], s48, v[36:37]
	v_and_b32_e32 v2, s57, v36
	s_delay_alu instid0(VALU_DEP_1) | instskip(SKIP_3) | instid1(SALU_CYCLE_1)
	v_lshl_or_b32 v2, v2, 4, v94
	ds_add_u32 v2, v121
	s_wait_alu 0xfffe
	s_or_b32 exec_lo, exec_lo, s6
	s_mov_b32 s6, exec_lo
	v_cmpx_gt_u32_e64 s7, v92
	s_cbranch_execz .LBB1124_52
.LBB1124_67:                            ;   in Loop: Header=BB1124_16 Depth=2
	v_cmp_gt_i64_e32 vcc_lo, 0, v[6:7]
	v_ashrrev_i32_e32 v2, 31, v7
	s_delay_alu instid0(VALU_DEP_1) | instskip(SKIP_2) | instid1(VALU_DEP_1)
	v_not_b32_e32 v2, v2
	s_wait_alu 0xfffd
	v_cndmask_b32_e64 v36, 0x7fffffff, 0, vcc_lo
	v_xor_b32_e32 v37, v36, v7
	s_delay_alu instid0(VALU_DEP_3) | instskip(NEXT) | instid1(VALU_DEP_1)
	v_xor_b32_e32 v36, v2, v6
	v_cmp_ne_u64_e32 vcc_lo, s[34:35], v[36:37]
	s_wait_alu 0xfffd
	v_cndmask_b32_e32 v37, 0x7fffffff, v37, vcc_lo
	v_cndmask_b32_e32 v36, -1, v36, vcc_lo
	s_delay_alu instid0(VALU_DEP_1) | instskip(NEXT) | instid1(VALU_DEP_1)
	v_lshrrev_b64 v[36:37], s48, v[36:37]
	v_and_b32_e32 v2, s57, v36
	s_delay_alu instid0(VALU_DEP_1) | instskip(SKIP_3) | instid1(SALU_CYCLE_1)
	v_lshl_or_b32 v2, v2, 4, v94
	ds_add_u32 v2, v121
	s_wait_alu 0xfffe
	s_or_b32 exec_lo, exec_lo, s6
	s_mov_b32 s6, exec_lo
	v_cmpx_gt_u32_e64 s7, v93
	s_cbranch_execz .LBB1124_15
.LBB1124_68:                            ;   in Loop: Header=BB1124_16 Depth=2
	v_cmp_gt_i64_e32 vcc_lo, 0, v[4:5]
	v_ashrrev_i32_e32 v2, 31, v5
	s_delay_alu instid0(VALU_DEP_1) | instskip(SKIP_2) | instid1(VALU_DEP_1)
	v_not_b32_e32 v2, v2
	s_wait_alu 0xfffd
	v_cndmask_b32_e64 v36, 0x7fffffff, 0, vcc_lo
	v_xor_b32_e32 v37, v36, v5
	s_delay_alu instid0(VALU_DEP_3) | instskip(NEXT) | instid1(VALU_DEP_1)
	v_xor_b32_e32 v36, v2, v4
	v_cmp_ne_u64_e32 vcc_lo, s[34:35], v[36:37]
	s_wait_alu 0xfffd
	v_cndmask_b32_e32 v37, 0x7fffffff, v37, vcc_lo
	v_cndmask_b32_e32 v36, -1, v36, vcc_lo
	s_delay_alu instid0(VALU_DEP_1) | instskip(NEXT) | instid1(VALU_DEP_1)
	v_lshrrev_b64 v[36:37], s48, v[36:37]
	v_and_b32_e32 v2, s57, v36
	s_delay_alu instid0(VALU_DEP_1)
	v_lshl_or_b32 v2, v2, 4, v94
	ds_add_u32 v2, v121
	s_branch .LBB1124_15
.LBB1124_69:                            ;   in Loop: Header=BB1124_16 Depth=2
	global_load_b64 v[34:35], v122, s[6:7]
	s_or_b32 exec_lo, exec_lo, s10
	s_delay_alu instid0(SALU_CYCLE_1)
	s_mov_b32 s10, exec_lo
	v_cmpx_gt_u32_e64 s8, v77
	s_cbranch_execz .LBB1124_21
.LBB1124_70:                            ;   in Loop: Header=BB1124_16 Depth=2
	global_load_b64 v[32:33], v122, s[6:7] offset:2048
	s_wait_alu 0xfffe
	s_or_b32 exec_lo, exec_lo, s10
	s_delay_alu instid0(SALU_CYCLE_1)
	s_mov_b32 s10, exec_lo
	v_cmpx_gt_u32_e64 s8, v78
	s_cbranch_execz .LBB1124_22
.LBB1124_71:                            ;   in Loop: Header=BB1124_16 Depth=2
	global_load_b64 v[30:31], v122, s[6:7] offset:4096
	s_wait_alu 0xfffe
	s_or_b32 exec_lo, exec_lo, s10
	s_delay_alu instid0(SALU_CYCLE_1)
	s_mov_b32 s10, exec_lo
	v_cmpx_gt_u32_e64 s8, v79
	s_cbranch_execz .LBB1124_23
.LBB1124_72:                            ;   in Loop: Header=BB1124_16 Depth=2
	global_load_b64 v[28:29], v122, s[6:7] offset:6144
	s_wait_alu 0xfffe
	s_or_b32 exec_lo, exec_lo, s10
	s_delay_alu instid0(SALU_CYCLE_1)
	s_mov_b32 s10, exec_lo
	v_cmpx_gt_u32_e64 s8, v82
	s_cbranch_execz .LBB1124_24
.LBB1124_73:                            ;   in Loop: Header=BB1124_16 Depth=2
	global_load_b64 v[26:27], v122, s[6:7] offset:8192
	s_wait_alu 0xfffe
	s_or_b32 exec_lo, exec_lo, s10
	s_delay_alu instid0(SALU_CYCLE_1)
	s_mov_b32 s10, exec_lo
	v_cmpx_gt_u32_e64 s8, v83
	s_cbranch_execz .LBB1124_25
.LBB1124_74:                            ;   in Loop: Header=BB1124_16 Depth=2
	global_load_b64 v[24:25], v122, s[6:7] offset:10240
	s_wait_alu 0xfffe
	s_or_b32 exec_lo, exec_lo, s10
	s_delay_alu instid0(SALU_CYCLE_1)
	s_mov_b32 s10, exec_lo
	v_cmpx_gt_u32_e64 s8, v84
	s_cbranch_execz .LBB1124_26
.LBB1124_75:                            ;   in Loop: Header=BB1124_16 Depth=2
	global_load_b64 v[22:23], v122, s[6:7] offset:12288
	s_wait_alu 0xfffe
	s_or_b32 exec_lo, exec_lo, s10
	s_delay_alu instid0(SALU_CYCLE_1)
	s_mov_b32 s10, exec_lo
	v_cmpx_gt_u32_e64 s8, v85
	s_cbranch_execz .LBB1124_27
.LBB1124_76:                            ;   in Loop: Header=BB1124_16 Depth=2
	global_load_b64 v[20:21], v122, s[6:7] offset:14336
	s_wait_alu 0xfffe
	s_or_b32 exec_lo, exec_lo, s10
	s_delay_alu instid0(SALU_CYCLE_1)
	s_mov_b32 s10, exec_lo
	v_cmpx_gt_u32_e64 s8, v86
	s_cbranch_execz .LBB1124_28
.LBB1124_77:                            ;   in Loop: Header=BB1124_16 Depth=2
	global_load_b64 v[18:19], v122, s[6:7] offset:16384
	s_wait_alu 0xfffe
	s_or_b32 exec_lo, exec_lo, s10
	s_delay_alu instid0(SALU_CYCLE_1)
	s_mov_b32 s10, exec_lo
	v_cmpx_gt_u32_e64 s8, v87
	s_cbranch_execz .LBB1124_29
.LBB1124_78:                            ;   in Loop: Header=BB1124_16 Depth=2
	global_load_b64 v[16:17], v122, s[6:7] offset:18432
	s_wait_alu 0xfffe
	s_or_b32 exec_lo, exec_lo, s10
	s_delay_alu instid0(SALU_CYCLE_1)
	s_mov_b32 s10, exec_lo
	v_cmpx_gt_u32_e64 s8, v88
	s_cbranch_execz .LBB1124_30
.LBB1124_79:                            ;   in Loop: Header=BB1124_16 Depth=2
	global_load_b64 v[14:15], v122, s[6:7] offset:20480
	s_wait_alu 0xfffe
	s_or_b32 exec_lo, exec_lo, s10
	s_delay_alu instid0(SALU_CYCLE_1)
	s_mov_b32 s10, exec_lo
	v_cmpx_gt_u32_e64 s8, v89
	s_cbranch_execz .LBB1124_31
.LBB1124_80:                            ;   in Loop: Header=BB1124_16 Depth=2
	global_load_b64 v[12:13], v122, s[6:7] offset:22528
	s_wait_alu 0xfffe
	s_or_b32 exec_lo, exec_lo, s10
	s_delay_alu instid0(SALU_CYCLE_1)
	s_mov_b32 s10, exec_lo
	v_cmpx_gt_u32_e64 s8, v90
	s_cbranch_execz .LBB1124_32
.LBB1124_81:                            ;   in Loop: Header=BB1124_16 Depth=2
	global_load_b64 v[10:11], v122, s[6:7] offset:24576
	s_wait_alu 0xfffe
	s_or_b32 exec_lo, exec_lo, s10
	s_delay_alu instid0(SALU_CYCLE_1)
	s_mov_b32 s10, exec_lo
	v_cmpx_gt_u32_e64 s8, v91
	s_cbranch_execz .LBB1124_33
.LBB1124_82:                            ;   in Loop: Header=BB1124_16 Depth=2
	global_load_b64 v[8:9], v122, s[6:7] offset:26624
	s_wait_alu 0xfffe
	s_or_b32 exec_lo, exec_lo, s10
	s_delay_alu instid0(SALU_CYCLE_1)
	s_mov_b32 s10, exec_lo
	v_cmpx_gt_u32_e64 s8, v92
	s_cbranch_execz .LBB1124_34
.LBB1124_83:                            ;   in Loop: Header=BB1124_16 Depth=2
	global_load_b64 v[6:7], v122, s[6:7] offset:28672
	s_wait_alu 0xfffe
	s_or_b32 exec_lo, exec_lo, s10
	s_delay_alu instid0(SALU_CYCLE_1)
	s_mov_b32 s10, exec_lo
	v_cmpx_gt_u32_e64 s8, v93
	s_cbranch_execnz .LBB1124_35
	s_branch .LBB1124_36
.LBB1124_84:                            ;   in Loop: Header=BB1124_12 Depth=1
	v_mov_b32_e32 v2, 0
	s_wait_dscnt 0x0
	s_barrier_signal -1
	s_barrier_wait -1
	global_inv scope:SCOPE_SE
	s_and_saveexec_b32 s6, s2
	s_cbranch_execz .LBB1124_86
; %bb.85:                               ;   in Loop: Header=BB1124_12 Depth=1
	ds_load_2addr_b64 v[4:7], v96 offset1:1
	s_wait_dscnt 0x0
	v_add_nc_u32_e32 v2, v5, v4
	s_delay_alu instid0(VALU_DEP_1)
	v_add3_u32 v2, v2, v6, v7
.LBB1124_86:                            ;   in Loop: Header=BB1124_12 Depth=1
	s_wait_alu 0xfffe
	s_or_b32 exec_lo, exec_lo, s6
	v_and_b32_e32 v4, 15, v123
	s_delay_alu instid0(VALU_DEP_2) | instskip(SKIP_1) | instid1(VALU_DEP_3)
	v_mov_b32_dpp v5, v2 row_shr:1 row_mask:0xf bank_mask:0xf
	v_and_b32_e32 v6, 16, v123
	v_cmp_eq_u32_e64 s6, 0, v4
	v_cmp_lt_u32_e64 s7, 1, v4
	v_cmp_lt_u32_e64 s8, 3, v4
	;; [unrolled: 1-line block ×3, first 2 shown]
	v_cmp_eq_u32_e64 s10, 0, v6
	s_wait_alu 0xf1ff
	v_cndmask_b32_e64 v5, v5, 0, s6
	s_delay_alu instid0(VALU_DEP_1) | instskip(NEXT) | instid1(VALU_DEP_1)
	v_add_nc_u32_e32 v2, v5, v2
	v_mov_b32_dpp v5, v2 row_shr:2 row_mask:0xf bank_mask:0xf
	s_delay_alu instid0(VALU_DEP_1) | instskip(NEXT) | instid1(VALU_DEP_1)
	v_cndmask_b32_e64 v5, 0, v5, s7
	v_add_nc_u32_e32 v2, v2, v5
	s_delay_alu instid0(VALU_DEP_1) | instskip(NEXT) | instid1(VALU_DEP_1)
	v_mov_b32_dpp v5, v2 row_shr:4 row_mask:0xf bank_mask:0xf
	v_cndmask_b32_e64 v5, 0, v5, s8
	s_delay_alu instid0(VALU_DEP_1) | instskip(NEXT) | instid1(VALU_DEP_1)
	v_add_nc_u32_e32 v2, v2, v5
	v_mov_b32_dpp v5, v2 row_shr:8 row_mask:0xf bank_mask:0xf
	s_delay_alu instid0(VALU_DEP_1) | instskip(SKIP_1) | instid1(VALU_DEP_2)
	v_cndmask_b32_e64 v4, 0, v5, s9
	v_bfe_i32 v5, v123, 4, 1
	v_add_nc_u32_e32 v2, v2, v4
	ds_swizzle_b32 v4, v2 offset:swizzle(BROADCAST,32,15)
	s_wait_dscnt 0x0
	v_and_b32_e32 v4, v5, v4
	s_delay_alu instid0(VALU_DEP_1)
	v_add_nc_u32_e32 v4, v2, v4
	s_and_saveexec_b32 s11, s3
; %bb.87:                               ;   in Loop: Header=BB1124_12 Depth=1
	ds_store_b32 v97, v4
; %bb.88:                               ;   in Loop: Header=BB1124_12 Depth=1
	s_wait_alu 0xfffe
	s_or_b32 exec_lo, exec_lo, s11
	v_and_b32_e32 v2, 7, v123
	s_wait_loadcnt_dscnt 0x0
	s_barrier_signal -1
	s_barrier_wait -1
	global_inv scope:SCOPE_SE
	s_and_saveexec_b32 s11, s4
	s_cbranch_execz .LBB1124_90
; %bb.89:                               ;   in Loop: Header=BB1124_12 Depth=1
	ds_load_b32 v5, v98
	v_cmp_ne_u32_e32 vcc_lo, 0, v2
	s_wait_dscnt 0x0
	v_mov_b32_dpp v6, v5 row_shr:1 row_mask:0xf bank_mask:0xf
	s_wait_alu 0xfffd
	s_delay_alu instid0(VALU_DEP_1) | instskip(SKIP_1) | instid1(VALU_DEP_2)
	v_cndmask_b32_e32 v6, 0, v6, vcc_lo
	v_cmp_lt_u32_e32 vcc_lo, 1, v2
	v_add_nc_u32_e32 v5, v6, v5
	s_delay_alu instid0(VALU_DEP_1) | instskip(SKIP_1) | instid1(VALU_DEP_1)
	v_mov_b32_dpp v6, v5 row_shr:2 row_mask:0xf bank_mask:0xf
	s_wait_alu 0xfffd
	v_cndmask_b32_e32 v6, 0, v6, vcc_lo
	v_cmp_lt_u32_e32 vcc_lo, 3, v2
	s_delay_alu instid0(VALU_DEP_2) | instskip(NEXT) | instid1(VALU_DEP_1)
	v_add_nc_u32_e32 v5, v5, v6
	v_mov_b32_dpp v6, v5 row_shr:4 row_mask:0xf bank_mask:0xf
	s_wait_alu 0xfffd
	s_delay_alu instid0(VALU_DEP_1) | instskip(NEXT) | instid1(VALU_DEP_1)
	v_cndmask_b32_e32 v6, 0, v6, vcc_lo
	v_add_nc_u32_e32 v5, v5, v6
	ds_store_b32 v98, v5
.LBB1124_90:                            ;   in Loop: Header=BB1124_12 Depth=1
	s_wait_alu 0xfffe
	s_or_b32 exec_lo, exec_lo, s11
	v_mov_b32_e32 v5, 0
	s_wait_loadcnt_dscnt 0x0
	s_barrier_signal -1
	s_barrier_wait -1
	global_inv scope:SCOPE_SE
	s_and_saveexec_b32 s11, s5
; %bb.91:                               ;   in Loop: Header=BB1124_12 Depth=1
	ds_load_b32 v5, v99
; %bb.92:                               ;   in Loop: Header=BB1124_12 Depth=1
	s_wait_alu 0xfffe
	s_or_b32 exec_lo, exec_lo, s11
	v_sub_co_u32 v6, s11, v123, 1
	s_wait_dscnt 0x0
	v_add_nc_u32_e32 v4, v5, v4
	s_wait_loadcnt 0x0
	s_barrier_signal -1
	v_cmp_gt_i32_e32 vcc_lo, 0, v6
	s_barrier_wait -1
	global_inv scope:SCOPE_SE
	s_wait_alu 0xfffd
	v_cndmask_b32_e32 v6, v6, v123, vcc_lo
	s_delay_alu instid0(VALU_DEP_1)
	v_lshlrev_b32_e32 v124, 2, v6
	ds_bpermute_b32 v4, v124, v4
	s_and_saveexec_b32 s12, s2
	s_cbranch_execz .LBB1124_94
; %bb.93:                               ;   in Loop: Header=BB1124_12 Depth=1
	s_wait_dscnt 0x0
	v_cndmask_b32_e64 v4, v4, v5, s11
	s_delay_alu instid0(VALU_DEP_1)
	v_add_nc_u32_e32 v4, s33, v4
	ds_store_b32 v76, v4
.LBB1124_94:                            ;   in Loop: Header=BB1124_12 Depth=1
	s_wait_alu 0xfffe
	s_or_b32 exec_lo, exec_lo, s12
	s_clause 0x1
	s_load_b32 s12, s[52:53], 0x4
	s_load_b32 s15, s[52:53], 0xc
	s_mov_b32 s13, s34
	v_cmp_lt_u32_e64 s14, 3, v2
	v_lshlrev_b32_e32 v6, 3, v123
	v_or_b32_e32 v125, v123, v100
	s_mov_b32 s58, s55
	s_mov_b32 s42, s33
                                        ; implicit-def: $vgpr8_vgpr9
                                        ; implicit-def: $vgpr10_vgpr11
                                        ; implicit-def: $vgpr12_vgpr13
                                        ; implicit-def: $vgpr14_vgpr15
                                        ; implicit-def: $vgpr16_vgpr17
                                        ; implicit-def: $vgpr18_vgpr19
                                        ; implicit-def: $vgpr20_vgpr21
                                        ; implicit-def: $vgpr22_vgpr23
                                        ; implicit-def: $vgpr24_vgpr25
                                        ; implicit-def: $vgpr26_vgpr27
                                        ; implicit-def: $vgpr28_vgpr29
                                        ; implicit-def: $vgpr30_vgpr31
                                        ; implicit-def: $vgpr32_vgpr33
                                        ; implicit-def: $vgpr34_vgpr35
                                        ; implicit-def: $vgpr146
                                        ; implicit-def: $vgpr147
                                        ; implicit-def: $vgpr148
                                        ; implicit-def: $vgpr149
                                        ; implicit-def: $vgpr150
                                        ; implicit-def: $vgpr151
                                        ; implicit-def: $vgpr152
                                        ; implicit-def: $vgpr153
                                        ; implicit-def: $vgpr154
                                        ; implicit-def: $vgpr155
                                        ; implicit-def: $vgpr156
                                        ; implicit-def: $vgpr157
                                        ; implicit-def: $vgpr158
                                        ; implicit-def: $vgpr159
                                        ; implicit-def: $vgpr160
                                        ; implicit-def: $vgpr161
	s_delay_alu instid0(VALU_DEP_2)
	v_add_co_u32 v126, vcc_lo, v104, v6
	s_wait_alu 0xfffd
	v_add_co_ci_u32_e64 v127, null, 0, v105, vcc_lo
	v_add_co_u32 v143, vcc_lo, v106, v6
	v_or_b32_e32 v128, 32, v125
	v_or_b32_e32 v129, 64, v125
	;; [unrolled: 1-line block ×5, first 2 shown]
	s_wait_kmcnt 0x0
	s_cmp_lt_u32 ttmp7, s12
	v_or_b32_e32 v133, 0xc0, v125
	s_cselect_b32 s12, 14, 20
	s_and_b32 s15, s15, 0xffff
	s_wait_alu 0xfffe
	s_add_nc_u64 s[12:13], s[52:53], s[12:13]
	v_or_b32_e32 v134, 0xe0, v125
	s_load_u16 s16, s[12:13], 0x0
	v_cmp_eq_u32_e64 s12, 0, v2
	v_cmp_lt_u32_e64 s13, 1, v2
	v_or_b32_e32 v135, 0x100, v125
	v_or_b32_e32 v136, 0x120, v125
	;; [unrolled: 1-line block ×8, first 2 shown]
	v_add_co_ci_u32_e64 v144, null, 0, v107, vcc_lo
                                        ; implicit-def: $vgpr6_vgpr7
	s_wait_kmcnt 0x0
	v_mad_u32_u24 v2, v102, s16, v0
	s_wait_dscnt 0x0
	s_delay_alu instid0(VALU_DEP_1) | instskip(NEXT) | instid1(VALU_DEP_1)
	v_mad_co_u64_u32 v[4:5], null, v2, s15, v[1:2]
	v_lshrrev_b32_e32 v2, 3, v4
                                        ; implicit-def: $vgpr4_vgpr5
	s_delay_alu instid0(VALU_DEP_1)
	v_and_b32_e32 v145, 0x1ffffffc, v2
	s_branch .LBB1124_96
.LBB1124_95:                            ;   in Loop: Header=BB1124_96 Depth=2
	s_wait_alu 0xfffe
	s_or_b32 exec_lo, exec_lo, s15
	s_addk_co_i32 s58, 0xf000
	s_cmp_lt_u32 s59, s51
	s_mov_b32 s42, s59
	s_cbranch_scc0 .LBB1124_304
.LBB1124_96:                            ;   Parent Loop BB1124_12 Depth=1
                                        ; =>  This Inner Loop Header: Depth=2
	s_wait_alu 0xfffe
	s_add_co_i32 s59, s42, 0x1000
	s_wait_alu 0xfffe
	s_cmp_gt_u32 s59, s51
	s_cbranch_scc1 .LBB1124_98
; %bb.97:                               ;   in Loop: Header=BB1124_96 Depth=2
	s_mov_b32 s43, s34
	s_mov_b32 s15, -1
	s_wait_alu 0xfffe
	s_lshl_b64 s[16:17], s[42:43], 3
	s_wait_alu 0xfffe
	v_add_co_u32 v42, vcc_lo, v143, s16
	s_wait_alu 0xfffd
	v_add_co_ci_u32_e64 v43, null, s17, v144, vcc_lo
	s_clause 0xe
	global_load_b64 v[36:37], v[42:43], off
	global_load_b64 v[38:39], v[42:43], off offset:256
	global_load_b64 v[40:41], v[42:43], off offset:512
	global_load_b64 v[48:49], v[42:43], off offset:768
	global_load_b64 v[52:53], v[42:43], off offset:1024
	global_load_b64 v[56:57], v[42:43], off offset:1280
	global_load_b64 v[60:61], v[42:43], off offset:1536
	global_load_b64 v[64:65], v[42:43], off offset:1792
	global_load_b64 v[66:67], v[42:43], off offset:2048
	global_load_b64 v[62:63], v[42:43], off offset:2304
	global_load_b64 v[58:59], v[42:43], off offset:2560
	global_load_b64 v[54:55], v[42:43], off offset:2816
	global_load_b64 v[50:51], v[42:43], off offset:3072
	global_load_b64 v[46:47], v[42:43], off offset:3328
	global_load_b64 v[44:45], v[42:43], off offset:3584
	s_movk_i32 s16, 0x1000
	s_cbranch_execz .LBB1124_99
	s_branch .LBB1124_130
.LBB1124_98:                            ;   in Loop: Header=BB1124_96 Depth=2
	s_mov_b32 s15, 0
                                        ; implicit-def: $vgpr36_vgpr37
                                        ; implicit-def: $vgpr38_vgpr39
                                        ; implicit-def: $vgpr40_vgpr41
                                        ; implicit-def: $vgpr48_vgpr49
                                        ; implicit-def: $vgpr52_vgpr53
                                        ; implicit-def: $vgpr56_vgpr57
                                        ; implicit-def: $vgpr60_vgpr61
                                        ; implicit-def: $vgpr64_vgpr65
                                        ; implicit-def: $vgpr66_vgpr67
                                        ; implicit-def: $vgpr62_vgpr63
                                        ; implicit-def: $vgpr58_vgpr59
                                        ; implicit-def: $vgpr54_vgpr55
                                        ; implicit-def: $vgpr50_vgpr51
                                        ; implicit-def: $vgpr46_vgpr47
                                        ; implicit-def: $vgpr44_vgpr45
	s_movk_i32 s16, 0x1000
.LBB1124_99:                            ;   in Loop: Header=BB1124_96 Depth=2
	s_mov_b32 s43, s34
	s_wait_loadcnt 0xd
	v_mov_b32_e32 v38, -1
	s_wait_alu 0xfffe
	s_lshl_b64 s[16:17], s[42:43], 3
	v_dual_mov_b32 v39, -1 :: v_dual_mov_b32 v36, -1
	s_wait_alu 0xfffe
	v_add_co_u32 v42, vcc_lo, v143, s16
	s_wait_alu 0xfffd
	v_add_co_ci_u32_e64 v43, null, s17, v144, vcc_lo
	v_mov_b32_e32 v37, -1
	s_mov_b32 s15, exec_lo
	v_cmpx_gt_u32_e64 s58, v125
	s_cbranch_execz .LBB1124_101
; %bb.100:                              ;   in Loop: Header=BB1124_96 Depth=2
	global_load_b64 v[36:37], v[42:43], off
.LBB1124_101:                           ;   in Loop: Header=BB1124_96 Depth=2
	s_wait_alu 0xfffe
	s_or_b32 exec_lo, exec_lo, s15
	s_delay_alu instid0(SALU_CYCLE_1)
	s_mov_b32 s15, exec_lo
	v_cmpx_gt_u32_e64 s58, v128
	s_cbranch_execz .LBB1124_103
; %bb.102:                              ;   in Loop: Header=BB1124_96 Depth=2
	global_load_b64 v[38:39], v[42:43], off offset:256
.LBB1124_103:                           ;   in Loop: Header=BB1124_96 Depth=2
	s_wait_alu 0xfffe
	s_or_b32 exec_lo, exec_lo, s15
	s_wait_loadcnt 0xb
	v_mov_b32_e32 v48, -1
	v_dual_mov_b32 v49, -1 :: v_dual_mov_b32 v40, -1
	v_mov_b32_e32 v41, -1
	s_mov_b32 s15, exec_lo
	v_cmpx_gt_u32_e64 s58, v129
	s_cbranch_execz .LBB1124_105
; %bb.104:                              ;   in Loop: Header=BB1124_96 Depth=2
	global_load_b64 v[40:41], v[42:43], off offset:512
.LBB1124_105:                           ;   in Loop: Header=BB1124_96 Depth=2
	s_wait_alu 0xfffe
	s_or_b32 exec_lo, exec_lo, s15
	s_delay_alu instid0(SALU_CYCLE_1)
	s_mov_b32 s15, exec_lo
	v_cmpx_gt_u32_e64 s58, v130
	s_cbranch_execz .LBB1124_107
; %bb.106:                              ;   in Loop: Header=BB1124_96 Depth=2
	global_load_b64 v[48:49], v[42:43], off offset:768
.LBB1124_107:                           ;   in Loop: Header=BB1124_96 Depth=2
	s_wait_alu 0xfffe
	s_or_b32 exec_lo, exec_lo, s15
	s_wait_loadcnt 0x9
	v_mov_b32_e32 v56, -1
	v_dual_mov_b32 v57, -1 :: v_dual_mov_b32 v52, -1
	v_mov_b32_e32 v53, -1
	s_mov_b32 s15, exec_lo
	v_cmpx_gt_u32_e64 s58, v131
	s_cbranch_execz .LBB1124_109
; %bb.108:                              ;   in Loop: Header=BB1124_96 Depth=2
	global_load_b64 v[52:53], v[42:43], off offset:1024
.LBB1124_109:                           ;   in Loop: Header=BB1124_96 Depth=2
	;; [unrolled: 21-line block ×6, first 2 shown]
	s_wait_alu 0xfffe
	s_or_b32 exec_lo, exec_lo, s15
	s_delay_alu instid0(SALU_CYCLE_1)
	s_mov_b32 s15, exec_lo
	v_cmpx_gt_u32_e64 s58, v140
	s_cbranch_execz .LBB1124_127
; %bb.126:                              ;   in Loop: Header=BB1124_96 Depth=2
	global_load_b64 v[46:47], v[42:43], off offset:3328
.LBB1124_127:                           ;   in Loop: Header=BB1124_96 Depth=2
	s_wait_alu 0xfffe
	s_or_b32 exec_lo, exec_lo, s15
	s_wait_loadcnt 0x0
	v_mov_b32_e32 v44, -1
	v_mov_b32_e32 v45, -1
	s_mov_b32 s15, exec_lo
	v_cmpx_gt_u32_e64 s58, v141
	s_cbranch_execz .LBB1124_129
; %bb.128:                              ;   in Loop: Header=BB1124_96 Depth=2
	global_load_b64 v[44:45], v[42:43], off offset:3584
.LBB1124_129:                           ;   in Loop: Header=BB1124_96 Depth=2
	s_wait_alu 0xfffe
	s_or_b32 exec_lo, exec_lo, s15
	v_cmp_gt_u32_e64 s15, s58, v142
	s_sub_co_i32 s16, s51, s42
.LBB1124_130:                           ;   in Loop: Header=BB1124_96 Depth=2
	v_mov_b32_e32 v42, -1
	v_dual_mov_b32 v43, -1 :: v_dual_mov_b32 v162, s58
	s_and_saveexec_b32 s17, s15
	s_cbranch_execz .LBB1124_132
; %bb.131:                              ;   in Loop: Header=BB1124_96 Depth=2
	s_lshl_b64 s[18:19], s[42:43], 3
	s_wait_alu 0xfffe
	v_mov_b32_e32 v162, s16
	v_add_co_u32 v42, vcc_lo, v143, s18
	s_wait_alu 0xfffd
	v_add_co_ci_u32_e64 v43, null, s19, v144, vcc_lo
	global_load_b64 v[42:43], v[42:43], off offset:3840
.LBB1124_132:                           ;   in Loop: Header=BB1124_96 Depth=2
	s_wait_alu 0xfffe
	s_or_b32 exec_lo, exec_lo, s17
	s_wait_loadcnt 0xe
	v_cmp_gt_i64_e32 vcc_lo, 0, v[36:37]
	v_ashrrev_i32_e32 v2, 31, v37
	v_add_nc_u32_e32 v164, 0x420, v101
	v_add_nc_u32_e32 v165, 0x428, v101
	;; [unrolled: 1-line block ×3, first 2 shown]
	s_delay_alu instid0(VALU_DEP_4) | instskip(SKIP_2) | instid1(VALU_DEP_2)
	v_not_b32_e32 v2, v2
	s_wait_alu 0xfffd
	v_cndmask_b32_e64 v68, 0x7fffffff, 0, vcc_lo
	v_xor_b32_e32 v36, v2, v36
	s_delay_alu instid0(VALU_DEP_2) | instskip(NEXT) | instid1(VALU_DEP_1)
	v_xor_b32_e32 v37, v68, v37
	v_cmp_ne_u64_e32 vcc_lo, s[34:35], v[36:37]
	s_wait_alu 0xfffd
	v_cndmask_b32_e32 v69, 0x7fffffff, v37, vcc_lo
	v_cndmask_b32_e32 v68, -1, v36, vcc_lo
	s_delay_alu instid0(VALU_DEP_1) | instskip(NEXT) | instid1(VALU_DEP_1)
	v_lshrrev_b64 v[68:69], s48, v[68:69]
	v_and_b32_e32 v69, s57, v68
	s_delay_alu instid0(VALU_DEP_1)
	v_and_b32_e32 v2, 1, v69
	v_lshlrev_b32_e32 v68, 30, v69
	v_lshlrev_b32_e32 v70, 29, v69
	;; [unrolled: 1-line block ×4, first 2 shown]
	v_add_co_u32 v2, s15, v2, -1
	s_wait_alu 0xf1ff
	v_cndmask_b32_e64 v72, 0, 1, s15
	v_not_b32_e32 v163, v68
	v_cmp_gt_i32_e64 s15, 0, v68
	v_not_b32_e32 v68, v70
	v_lshlrev_b32_e32 v74, 26, v69
	v_cmp_ne_u32_e32 vcc_lo, 0, v72
	v_ashrrev_i32_e32 v163, 31, v163
	v_lshlrev_b32_e32 v75, 25, v69
	v_ashrrev_i32_e32 v68, 31, v68
	v_lshlrev_b32_e32 v72, 24, v69
	s_wait_alu 0xfffd
	v_xor_b32_e32 v2, vcc_lo, v2
	v_cmp_gt_i32_e32 vcc_lo, 0, v70
	v_not_b32_e32 v70, v71
	s_wait_alu 0xf1ff
	v_xor_b32_e32 v163, s15, v163
	v_cmp_gt_i32_e64 s15, 0, v71
	v_and_b32_e32 v2, exec_lo, v2
	v_not_b32_e32 v71, v73
	v_ashrrev_i32_e32 v70, 31, v70
	s_wait_alu 0xfffd
	v_xor_b32_e32 v68, vcc_lo, v68
	v_cmp_gt_i32_e32 vcc_lo, 0, v73
	v_and_b32_e32 v2, v2, v163
	v_not_b32_e32 v73, v74
	v_ashrrev_i32_e32 v71, 31, v71
	s_wait_alu 0xf1ff
	v_xor_b32_e32 v70, s15, v70
	v_cmp_gt_i32_e64 s15, 0, v74
	v_and_b32_e32 v2, v2, v68
	v_not_b32_e32 v68, v75
	v_ashrrev_i32_e32 v73, 31, v73
	s_wait_alu 0xfffd
	v_xor_b32_e32 v71, vcc_lo, v71
	v_cmp_gt_i32_e32 vcc_lo, 0, v75
	v_and_b32_e32 v2, v2, v70
	v_not_b32_e32 v70, v72
	v_ashrrev_i32_e32 v68, 31, v68
	s_wait_alu 0xf1ff
	v_xor_b32_e32 v73, s15, v73
	v_cmp_gt_i32_e64 s15, 0, v72
	v_and_b32_e32 v2, v2, v71
	v_ashrrev_i32_e32 v70, 31, v70
	s_wait_alu 0xfffd
	v_xor_b32_e32 v68, vcc_lo, v68
	v_mul_u32_u24_e32 v69, 36, v69
	v_add_nc_u32_e32 v163, 0x438, v101
	v_and_b32_e32 v2, v2, v73
	s_wait_alu 0xf1ff
	v_xor_b32_e32 v70, s15, v70
	v_add_nc_u32_e32 v167, v145, v69
	ds_store_2addr_b32 v163, v3, v3 offset1:1
	v_and_b32_e32 v2, v2, v68
	ds_store_2addr_b32 v164, v3, v3 offset1:1
	ds_store_2addr_b32 v165, v3, v3 offset1:1
	;; [unrolled: 1-line block ×3, first 2 shown]
	ds_store_b32 v101, v3 offset:1088
	s_wait_loadcnt_dscnt 0x0
	s_barrier_signal -1
	s_barrier_wait -1
	v_and_b32_e32 v68, v2, v70
	global_inv scope:SCOPE_SE
	; wave barrier
	v_mbcnt_lo_u32_b32 v2, v68, 0
	v_cmp_ne_u32_e64 s15, 0, v68
	s_delay_alu instid0(VALU_DEP_2)
	v_cmp_eq_u32_e32 vcc_lo, 0, v2
	s_and_b32 s16, s15, vcc_lo
	s_wait_alu 0xfffe
	s_and_saveexec_b32 s15, s16
; %bb.133:                              ;   in Loop: Header=BB1124_96 Depth=2
	v_bcnt_u32_b32 v68, v68, 0
	ds_store_b32 v167, v68 offset:1056
; %bb.134:                              ;   in Loop: Header=BB1124_96 Depth=2
	s_wait_alu 0xfffe
	s_or_b32 exec_lo, exec_lo, s15
	v_cmp_gt_i64_e32 vcc_lo, 0, v[38:39]
	v_ashrrev_i32_e32 v68, 31, v39
	; wave barrier
	s_delay_alu instid0(VALU_DEP_1) | instskip(SKIP_2) | instid1(VALU_DEP_2)
	v_not_b32_e32 v68, v68
	s_wait_alu 0xfffd
	v_cndmask_b32_e64 v69, 0x7fffffff, 0, vcc_lo
	v_xor_b32_e32 v38, v68, v38
	s_delay_alu instid0(VALU_DEP_2) | instskip(NEXT) | instid1(VALU_DEP_1)
	v_xor_b32_e32 v39, v69, v39
	v_cmp_ne_u64_e32 vcc_lo, s[34:35], v[38:39]
	s_wait_alu 0xfffd
	v_cndmask_b32_e32 v69, 0x7fffffff, v39, vcc_lo
	v_cndmask_b32_e32 v68, -1, v38, vcc_lo
	s_delay_alu instid0(VALU_DEP_1) | instskip(NEXT) | instid1(VALU_DEP_1)
	v_lshrrev_b64 v[68:69], s48, v[68:69]
	v_and_b32_e32 v69, s57, v68
	s_delay_alu instid0(VALU_DEP_1)
	v_and_b32_e32 v68, 1, v69
	v_lshlrev_b32_e32 v70, 30, v69
	v_lshlrev_b32_e32 v71, 29, v69
	;; [unrolled: 1-line block ×4, first 2 shown]
	v_add_co_u32 v68, s15, v68, -1
	s_wait_alu 0xf1ff
	v_cndmask_b32_e64 v73, 0, 1, s15
	v_not_b32_e32 v169, v70
	v_cmp_gt_i32_e64 s15, 0, v70
	v_not_b32_e32 v70, v71
	v_lshlrev_b32_e32 v75, 26, v69
	v_cmp_ne_u32_e32 vcc_lo, 0, v73
	v_ashrrev_i32_e32 v169, 31, v169
	v_lshlrev_b32_e32 v168, 25, v69
	v_ashrrev_i32_e32 v70, 31, v70
	v_lshlrev_b32_e32 v73, 24, v69
	s_wait_alu 0xfffd
	v_xor_b32_e32 v68, vcc_lo, v68
	v_cmp_gt_i32_e32 vcc_lo, 0, v71
	v_not_b32_e32 v71, v72
	s_wait_alu 0xf1ff
	v_xor_b32_e32 v169, s15, v169
	v_cmp_gt_i32_e64 s15, 0, v72
	v_and_b32_e32 v68, exec_lo, v68
	v_not_b32_e32 v72, v74
	v_ashrrev_i32_e32 v71, 31, v71
	s_wait_alu 0xfffd
	v_xor_b32_e32 v70, vcc_lo, v70
	v_cmp_gt_i32_e32 vcc_lo, 0, v74
	v_and_b32_e32 v68, v68, v169
	v_not_b32_e32 v74, v75
	v_ashrrev_i32_e32 v72, 31, v72
	s_wait_alu 0xf1ff
	v_xor_b32_e32 v71, s15, v71
	v_cmp_gt_i32_e64 s15, 0, v75
	v_and_b32_e32 v68, v68, v70
	v_not_b32_e32 v70, v168
	v_ashrrev_i32_e32 v74, 31, v74
	s_wait_alu 0xfffd
	v_xor_b32_e32 v72, vcc_lo, v72
	v_cmp_gt_i32_e32 vcc_lo, 0, v168
	v_and_b32_e32 v68, v68, v71
	v_not_b32_e32 v71, v73
	v_ashrrev_i32_e32 v70, 31, v70
	s_wait_alu 0xf1ff
	v_xor_b32_e32 v74, s15, v74
	v_cmp_gt_i32_e64 s15, 0, v73
	v_and_b32_e32 v68, v68, v72
	v_ashrrev_i32_e32 v71, 31, v71
	s_wait_alu 0xfffd
	v_xor_b32_e32 v70, vcc_lo, v70
	v_mad_u32_u24 v72, v69, 36, v145
	v_mul_u32_u24_e32 v69, 36, v69
	v_and_b32_e32 v68, v68, v74
	s_wait_alu 0xf1ff
	v_xor_b32_e32 v71, s15, v71
	ds_load_b32 v168, v72 offset:1056
	v_add_nc_u32_e32 v170, v145, v69
	v_and_b32_e32 v68, v68, v70
	; wave barrier
	s_delay_alu instid0(VALU_DEP_1) | instskip(NEXT) | instid1(VALU_DEP_1)
	v_and_b32_e32 v68, v68, v71
	v_mbcnt_lo_u32_b32 v169, v68, 0
	v_cmp_ne_u32_e64 s15, 0, v68
	s_delay_alu instid0(VALU_DEP_2)
	v_cmp_eq_u32_e32 vcc_lo, 0, v169
	s_and_b32 s16, s15, vcc_lo
	s_wait_alu 0xfffe
	s_and_saveexec_b32 s15, s16
	s_cbranch_execz .LBB1124_136
; %bb.135:                              ;   in Loop: Header=BB1124_96 Depth=2
	s_wait_dscnt 0x0
	v_bcnt_u32_b32 v68, v68, v168
	ds_store_b32 v170, v68 offset:1056
.LBB1124_136:                           ;   in Loop: Header=BB1124_96 Depth=2
	s_wait_alu 0xfffe
	s_or_b32 exec_lo, exec_lo, s15
	v_cmp_gt_i64_e32 vcc_lo, 0, v[40:41]
	v_ashrrev_i32_e32 v68, 31, v41
	; wave barrier
	s_delay_alu instid0(VALU_DEP_1) | instskip(SKIP_2) | instid1(VALU_DEP_2)
	v_not_b32_e32 v68, v68
	s_wait_alu 0xfffd
	v_cndmask_b32_e64 v69, 0x7fffffff, 0, vcc_lo
	v_xor_b32_e32 v40, v68, v40
	s_delay_alu instid0(VALU_DEP_2) | instskip(NEXT) | instid1(VALU_DEP_1)
	v_xor_b32_e32 v41, v69, v41
	v_cmp_ne_u64_e32 vcc_lo, s[34:35], v[40:41]
	s_wait_alu 0xfffd
	v_cndmask_b32_e32 v69, 0x7fffffff, v41, vcc_lo
	v_cndmask_b32_e32 v68, -1, v40, vcc_lo
	s_delay_alu instid0(VALU_DEP_1) | instskip(NEXT) | instid1(VALU_DEP_1)
	v_lshrrev_b64 v[68:69], s48, v[68:69]
	v_and_b32_e32 v69, s57, v68
	s_delay_alu instid0(VALU_DEP_1)
	v_and_b32_e32 v68, 1, v69
	v_lshlrev_b32_e32 v70, 30, v69
	v_lshlrev_b32_e32 v71, 29, v69
	;; [unrolled: 1-line block ×4, first 2 shown]
	v_add_co_u32 v68, s15, v68, -1
	s_wait_alu 0xf1ff
	v_cndmask_b32_e64 v73, 0, 1, s15
	v_not_b32_e32 v172, v70
	v_cmp_gt_i32_e64 s15, 0, v70
	v_not_b32_e32 v70, v71
	v_lshlrev_b32_e32 v75, 26, v69
	v_cmp_ne_u32_e32 vcc_lo, 0, v73
	v_ashrrev_i32_e32 v172, 31, v172
	v_lshlrev_b32_e32 v171, 25, v69
	v_ashrrev_i32_e32 v70, 31, v70
	v_lshlrev_b32_e32 v73, 24, v69
	s_wait_alu 0xfffd
	v_xor_b32_e32 v68, vcc_lo, v68
	v_cmp_gt_i32_e32 vcc_lo, 0, v71
	v_not_b32_e32 v71, v72
	s_wait_alu 0xf1ff
	v_xor_b32_e32 v172, s15, v172
	v_cmp_gt_i32_e64 s15, 0, v72
	v_and_b32_e32 v68, exec_lo, v68
	v_not_b32_e32 v72, v74
	v_ashrrev_i32_e32 v71, 31, v71
	s_wait_alu 0xfffd
	v_xor_b32_e32 v70, vcc_lo, v70
	v_cmp_gt_i32_e32 vcc_lo, 0, v74
	v_and_b32_e32 v68, v68, v172
	v_not_b32_e32 v74, v75
	v_ashrrev_i32_e32 v72, 31, v72
	s_wait_alu 0xf1ff
	v_xor_b32_e32 v71, s15, v71
	v_cmp_gt_i32_e64 s15, 0, v75
	v_and_b32_e32 v68, v68, v70
	v_not_b32_e32 v70, v171
	v_ashrrev_i32_e32 v74, 31, v74
	s_wait_alu 0xfffd
	v_xor_b32_e32 v72, vcc_lo, v72
	v_cmp_gt_i32_e32 vcc_lo, 0, v171
	v_and_b32_e32 v68, v68, v71
	v_not_b32_e32 v71, v73
	v_ashrrev_i32_e32 v70, 31, v70
	s_wait_alu 0xf1ff
	v_xor_b32_e32 v74, s15, v74
	v_cmp_gt_i32_e64 s15, 0, v73
	v_and_b32_e32 v68, v68, v72
	v_ashrrev_i32_e32 v71, 31, v71
	s_wait_alu 0xfffd
	v_xor_b32_e32 v70, vcc_lo, v70
	v_mad_u32_u24 v72, v69, 36, v145
	v_mul_u32_u24_e32 v69, 36, v69
	v_and_b32_e32 v68, v68, v74
	s_wait_alu 0xf1ff
	v_xor_b32_e32 v71, s15, v71
	ds_load_b32 v171, v72 offset:1056
	v_add_nc_u32_e32 v173, v145, v69
	v_and_b32_e32 v68, v68, v70
	; wave barrier
	s_delay_alu instid0(VALU_DEP_1) | instskip(NEXT) | instid1(VALU_DEP_1)
	v_and_b32_e32 v68, v68, v71
	v_mbcnt_lo_u32_b32 v172, v68, 0
	v_cmp_ne_u32_e64 s15, 0, v68
	s_delay_alu instid0(VALU_DEP_2)
	v_cmp_eq_u32_e32 vcc_lo, 0, v172
	s_and_b32 s16, s15, vcc_lo
	s_wait_alu 0xfffe
	s_and_saveexec_b32 s15, s16
	s_cbranch_execz .LBB1124_138
; %bb.137:                              ;   in Loop: Header=BB1124_96 Depth=2
	s_wait_dscnt 0x0
	v_bcnt_u32_b32 v68, v68, v171
	ds_store_b32 v173, v68 offset:1056
.LBB1124_138:                           ;   in Loop: Header=BB1124_96 Depth=2
	s_wait_alu 0xfffe
	s_or_b32 exec_lo, exec_lo, s15
	v_cmp_gt_i64_e32 vcc_lo, 0, v[48:49]
	v_ashrrev_i32_e32 v68, 31, v49
	; wave barrier
	s_delay_alu instid0(VALU_DEP_1) | instskip(SKIP_2) | instid1(VALU_DEP_2)
	v_not_b32_e32 v68, v68
	s_wait_alu 0xfffd
	v_cndmask_b32_e64 v69, 0x7fffffff, 0, vcc_lo
	v_xor_b32_e32 v48, v68, v48
	s_delay_alu instid0(VALU_DEP_2) | instskip(NEXT) | instid1(VALU_DEP_1)
	v_xor_b32_e32 v49, v69, v49
	v_cmp_ne_u64_e32 vcc_lo, s[34:35], v[48:49]
	s_wait_alu 0xfffd
	v_cndmask_b32_e32 v69, 0x7fffffff, v49, vcc_lo
	v_cndmask_b32_e32 v68, -1, v48, vcc_lo
	s_delay_alu instid0(VALU_DEP_1) | instskip(NEXT) | instid1(VALU_DEP_1)
	v_lshrrev_b64 v[68:69], s48, v[68:69]
	v_and_b32_e32 v69, s57, v68
	s_delay_alu instid0(VALU_DEP_1)
	v_and_b32_e32 v68, 1, v69
	v_lshlrev_b32_e32 v70, 30, v69
	v_lshlrev_b32_e32 v71, 29, v69
	;; [unrolled: 1-line block ×4, first 2 shown]
	v_add_co_u32 v68, s15, v68, -1
	s_wait_alu 0xf1ff
	v_cndmask_b32_e64 v73, 0, 1, s15
	v_not_b32_e32 v175, v70
	v_cmp_gt_i32_e64 s15, 0, v70
	v_not_b32_e32 v70, v71
	v_lshlrev_b32_e32 v75, 26, v69
	v_cmp_ne_u32_e32 vcc_lo, 0, v73
	v_ashrrev_i32_e32 v175, 31, v175
	v_lshlrev_b32_e32 v174, 25, v69
	v_ashrrev_i32_e32 v70, 31, v70
	v_lshlrev_b32_e32 v73, 24, v69
	s_wait_alu 0xfffd
	v_xor_b32_e32 v68, vcc_lo, v68
	v_cmp_gt_i32_e32 vcc_lo, 0, v71
	v_not_b32_e32 v71, v72
	s_wait_alu 0xf1ff
	v_xor_b32_e32 v175, s15, v175
	v_cmp_gt_i32_e64 s15, 0, v72
	v_and_b32_e32 v68, exec_lo, v68
	v_not_b32_e32 v72, v74
	v_ashrrev_i32_e32 v71, 31, v71
	s_wait_alu 0xfffd
	v_xor_b32_e32 v70, vcc_lo, v70
	v_cmp_gt_i32_e32 vcc_lo, 0, v74
	v_and_b32_e32 v68, v68, v175
	v_not_b32_e32 v74, v75
	v_ashrrev_i32_e32 v72, 31, v72
	s_wait_alu 0xf1ff
	v_xor_b32_e32 v71, s15, v71
	v_cmp_gt_i32_e64 s15, 0, v75
	v_and_b32_e32 v68, v68, v70
	v_not_b32_e32 v70, v174
	v_ashrrev_i32_e32 v74, 31, v74
	s_wait_alu 0xfffd
	v_xor_b32_e32 v72, vcc_lo, v72
	v_cmp_gt_i32_e32 vcc_lo, 0, v174
	v_and_b32_e32 v68, v68, v71
	v_not_b32_e32 v71, v73
	v_ashrrev_i32_e32 v70, 31, v70
	s_wait_alu 0xf1ff
	v_xor_b32_e32 v74, s15, v74
	v_cmp_gt_i32_e64 s15, 0, v73
	v_and_b32_e32 v68, v68, v72
	v_ashrrev_i32_e32 v71, 31, v71
	s_wait_alu 0xfffd
	v_xor_b32_e32 v70, vcc_lo, v70
	v_mad_u32_u24 v72, v69, 36, v145
	v_mul_u32_u24_e32 v69, 36, v69
	v_and_b32_e32 v68, v68, v74
	s_wait_alu 0xf1ff
	v_xor_b32_e32 v71, s15, v71
	ds_load_b32 v174, v72 offset:1056
	v_add_nc_u32_e32 v176, v145, v69
	v_and_b32_e32 v68, v68, v70
	; wave barrier
	s_delay_alu instid0(VALU_DEP_1) | instskip(NEXT) | instid1(VALU_DEP_1)
	v_and_b32_e32 v68, v68, v71
	v_mbcnt_lo_u32_b32 v175, v68, 0
	v_cmp_ne_u32_e64 s15, 0, v68
	s_delay_alu instid0(VALU_DEP_2)
	v_cmp_eq_u32_e32 vcc_lo, 0, v175
	s_and_b32 s16, s15, vcc_lo
	s_wait_alu 0xfffe
	s_and_saveexec_b32 s15, s16
	s_cbranch_execz .LBB1124_140
; %bb.139:                              ;   in Loop: Header=BB1124_96 Depth=2
	s_wait_dscnt 0x0
	v_bcnt_u32_b32 v68, v68, v174
	ds_store_b32 v176, v68 offset:1056
.LBB1124_140:                           ;   in Loop: Header=BB1124_96 Depth=2
	s_wait_alu 0xfffe
	s_or_b32 exec_lo, exec_lo, s15
	v_cmp_gt_i64_e32 vcc_lo, 0, v[52:53]
	v_ashrrev_i32_e32 v68, 31, v53
	; wave barrier
	s_delay_alu instid0(VALU_DEP_1) | instskip(SKIP_2) | instid1(VALU_DEP_2)
	v_not_b32_e32 v68, v68
	s_wait_alu 0xfffd
	v_cndmask_b32_e64 v69, 0x7fffffff, 0, vcc_lo
	v_xor_b32_e32 v52, v68, v52
	s_delay_alu instid0(VALU_DEP_2) | instskip(NEXT) | instid1(VALU_DEP_1)
	v_xor_b32_e32 v53, v69, v53
	v_cmp_ne_u64_e32 vcc_lo, s[34:35], v[52:53]
	s_wait_alu 0xfffd
	v_cndmask_b32_e32 v69, 0x7fffffff, v53, vcc_lo
	v_cndmask_b32_e32 v68, -1, v52, vcc_lo
	s_delay_alu instid0(VALU_DEP_1) | instskip(NEXT) | instid1(VALU_DEP_1)
	v_lshrrev_b64 v[68:69], s48, v[68:69]
	v_and_b32_e32 v69, s57, v68
	s_delay_alu instid0(VALU_DEP_1)
	v_and_b32_e32 v68, 1, v69
	v_lshlrev_b32_e32 v70, 30, v69
	v_lshlrev_b32_e32 v71, 29, v69
	;; [unrolled: 1-line block ×4, first 2 shown]
	v_add_co_u32 v68, s15, v68, -1
	s_wait_alu 0xf1ff
	v_cndmask_b32_e64 v73, 0, 1, s15
	v_not_b32_e32 v178, v70
	v_cmp_gt_i32_e64 s15, 0, v70
	v_not_b32_e32 v70, v71
	v_lshlrev_b32_e32 v75, 26, v69
	v_cmp_ne_u32_e32 vcc_lo, 0, v73
	v_ashrrev_i32_e32 v178, 31, v178
	v_lshlrev_b32_e32 v177, 25, v69
	v_ashrrev_i32_e32 v70, 31, v70
	v_lshlrev_b32_e32 v73, 24, v69
	s_wait_alu 0xfffd
	v_xor_b32_e32 v68, vcc_lo, v68
	v_cmp_gt_i32_e32 vcc_lo, 0, v71
	v_not_b32_e32 v71, v72
	s_wait_alu 0xf1ff
	v_xor_b32_e32 v178, s15, v178
	v_cmp_gt_i32_e64 s15, 0, v72
	v_and_b32_e32 v68, exec_lo, v68
	v_not_b32_e32 v72, v74
	v_ashrrev_i32_e32 v71, 31, v71
	s_wait_alu 0xfffd
	v_xor_b32_e32 v70, vcc_lo, v70
	v_cmp_gt_i32_e32 vcc_lo, 0, v74
	v_and_b32_e32 v68, v68, v178
	v_not_b32_e32 v74, v75
	v_ashrrev_i32_e32 v72, 31, v72
	s_wait_alu 0xf1ff
	v_xor_b32_e32 v71, s15, v71
	v_cmp_gt_i32_e64 s15, 0, v75
	v_and_b32_e32 v68, v68, v70
	v_not_b32_e32 v70, v177
	v_ashrrev_i32_e32 v74, 31, v74
	s_wait_alu 0xfffd
	v_xor_b32_e32 v72, vcc_lo, v72
	v_cmp_gt_i32_e32 vcc_lo, 0, v177
	v_and_b32_e32 v68, v68, v71
	v_not_b32_e32 v71, v73
	v_ashrrev_i32_e32 v70, 31, v70
	s_wait_alu 0xf1ff
	v_xor_b32_e32 v74, s15, v74
	v_cmp_gt_i32_e64 s15, 0, v73
	v_and_b32_e32 v68, v68, v72
	v_ashrrev_i32_e32 v71, 31, v71
	s_wait_alu 0xfffd
	v_xor_b32_e32 v70, vcc_lo, v70
	v_mad_u32_u24 v72, v69, 36, v145
	v_mul_u32_u24_e32 v69, 36, v69
	v_and_b32_e32 v68, v68, v74
	s_wait_alu 0xf1ff
	v_xor_b32_e32 v71, s15, v71
	ds_load_b32 v177, v72 offset:1056
	v_add_nc_u32_e32 v179, v145, v69
	v_and_b32_e32 v68, v68, v70
	; wave barrier
	s_delay_alu instid0(VALU_DEP_1) | instskip(NEXT) | instid1(VALU_DEP_1)
	v_and_b32_e32 v68, v68, v71
	v_mbcnt_lo_u32_b32 v178, v68, 0
	v_cmp_ne_u32_e64 s15, 0, v68
	s_delay_alu instid0(VALU_DEP_2)
	v_cmp_eq_u32_e32 vcc_lo, 0, v178
	s_and_b32 s16, s15, vcc_lo
	s_wait_alu 0xfffe
	s_and_saveexec_b32 s15, s16
	s_cbranch_execz .LBB1124_142
; %bb.141:                              ;   in Loop: Header=BB1124_96 Depth=2
	s_wait_dscnt 0x0
	v_bcnt_u32_b32 v68, v68, v177
	ds_store_b32 v179, v68 offset:1056
.LBB1124_142:                           ;   in Loop: Header=BB1124_96 Depth=2
	s_wait_alu 0xfffe
	s_or_b32 exec_lo, exec_lo, s15
	v_cmp_gt_i64_e32 vcc_lo, 0, v[56:57]
	v_ashrrev_i32_e32 v68, 31, v57
	; wave barrier
	s_delay_alu instid0(VALU_DEP_1) | instskip(SKIP_2) | instid1(VALU_DEP_2)
	v_not_b32_e32 v68, v68
	s_wait_alu 0xfffd
	v_cndmask_b32_e64 v69, 0x7fffffff, 0, vcc_lo
	v_xor_b32_e32 v56, v68, v56
	s_delay_alu instid0(VALU_DEP_2) | instskip(NEXT) | instid1(VALU_DEP_1)
	v_xor_b32_e32 v57, v69, v57
	v_cmp_ne_u64_e32 vcc_lo, s[34:35], v[56:57]
	s_wait_alu 0xfffd
	v_cndmask_b32_e32 v69, 0x7fffffff, v57, vcc_lo
	v_cndmask_b32_e32 v68, -1, v56, vcc_lo
	s_delay_alu instid0(VALU_DEP_1) | instskip(NEXT) | instid1(VALU_DEP_1)
	v_lshrrev_b64 v[68:69], s48, v[68:69]
	v_and_b32_e32 v69, s57, v68
	s_delay_alu instid0(VALU_DEP_1)
	v_and_b32_e32 v68, 1, v69
	v_lshlrev_b32_e32 v70, 30, v69
	v_lshlrev_b32_e32 v71, 29, v69
	;; [unrolled: 1-line block ×4, first 2 shown]
	v_add_co_u32 v68, s15, v68, -1
	s_wait_alu 0xf1ff
	v_cndmask_b32_e64 v73, 0, 1, s15
	v_not_b32_e32 v181, v70
	v_cmp_gt_i32_e64 s15, 0, v70
	v_not_b32_e32 v70, v71
	v_lshlrev_b32_e32 v75, 26, v69
	v_cmp_ne_u32_e32 vcc_lo, 0, v73
	v_ashrrev_i32_e32 v181, 31, v181
	v_lshlrev_b32_e32 v180, 25, v69
	v_ashrrev_i32_e32 v70, 31, v70
	v_lshlrev_b32_e32 v73, 24, v69
	s_wait_alu 0xfffd
	v_xor_b32_e32 v68, vcc_lo, v68
	v_cmp_gt_i32_e32 vcc_lo, 0, v71
	v_not_b32_e32 v71, v72
	s_wait_alu 0xf1ff
	v_xor_b32_e32 v181, s15, v181
	v_cmp_gt_i32_e64 s15, 0, v72
	v_and_b32_e32 v68, exec_lo, v68
	v_not_b32_e32 v72, v74
	v_ashrrev_i32_e32 v71, 31, v71
	s_wait_alu 0xfffd
	v_xor_b32_e32 v70, vcc_lo, v70
	v_cmp_gt_i32_e32 vcc_lo, 0, v74
	v_and_b32_e32 v68, v68, v181
	v_not_b32_e32 v74, v75
	v_ashrrev_i32_e32 v72, 31, v72
	s_wait_alu 0xf1ff
	v_xor_b32_e32 v71, s15, v71
	v_cmp_gt_i32_e64 s15, 0, v75
	v_and_b32_e32 v68, v68, v70
	v_not_b32_e32 v70, v180
	v_ashrrev_i32_e32 v74, 31, v74
	s_wait_alu 0xfffd
	v_xor_b32_e32 v72, vcc_lo, v72
	v_cmp_gt_i32_e32 vcc_lo, 0, v180
	v_and_b32_e32 v68, v68, v71
	v_not_b32_e32 v71, v73
	v_ashrrev_i32_e32 v70, 31, v70
	s_wait_alu 0xf1ff
	v_xor_b32_e32 v74, s15, v74
	v_cmp_gt_i32_e64 s15, 0, v73
	v_and_b32_e32 v68, v68, v72
	v_ashrrev_i32_e32 v71, 31, v71
	s_wait_alu 0xfffd
	v_xor_b32_e32 v70, vcc_lo, v70
	v_mad_u32_u24 v72, v69, 36, v145
	v_mul_u32_u24_e32 v69, 36, v69
	v_and_b32_e32 v68, v68, v74
	s_wait_alu 0xf1ff
	v_xor_b32_e32 v71, s15, v71
	ds_load_b32 v180, v72 offset:1056
	v_add_nc_u32_e32 v182, v145, v69
	v_and_b32_e32 v68, v68, v70
	; wave barrier
	s_delay_alu instid0(VALU_DEP_1) | instskip(NEXT) | instid1(VALU_DEP_1)
	v_and_b32_e32 v68, v68, v71
	v_mbcnt_lo_u32_b32 v181, v68, 0
	v_cmp_ne_u32_e64 s15, 0, v68
	s_delay_alu instid0(VALU_DEP_2)
	v_cmp_eq_u32_e32 vcc_lo, 0, v181
	s_and_b32 s16, s15, vcc_lo
	s_wait_alu 0xfffe
	s_and_saveexec_b32 s15, s16
	s_cbranch_execz .LBB1124_144
; %bb.143:                              ;   in Loop: Header=BB1124_96 Depth=2
	s_wait_dscnt 0x0
	v_bcnt_u32_b32 v68, v68, v180
	ds_store_b32 v182, v68 offset:1056
.LBB1124_144:                           ;   in Loop: Header=BB1124_96 Depth=2
	s_wait_alu 0xfffe
	s_or_b32 exec_lo, exec_lo, s15
	v_cmp_gt_i64_e32 vcc_lo, 0, v[60:61]
	v_ashrrev_i32_e32 v68, 31, v61
	; wave barrier
	s_delay_alu instid0(VALU_DEP_1) | instskip(SKIP_2) | instid1(VALU_DEP_2)
	v_not_b32_e32 v68, v68
	s_wait_alu 0xfffd
	v_cndmask_b32_e64 v69, 0x7fffffff, 0, vcc_lo
	v_xor_b32_e32 v60, v68, v60
	s_delay_alu instid0(VALU_DEP_2) | instskip(NEXT) | instid1(VALU_DEP_1)
	v_xor_b32_e32 v61, v69, v61
	v_cmp_ne_u64_e32 vcc_lo, s[34:35], v[60:61]
	s_wait_alu 0xfffd
	v_cndmask_b32_e32 v69, 0x7fffffff, v61, vcc_lo
	v_cndmask_b32_e32 v68, -1, v60, vcc_lo
	s_delay_alu instid0(VALU_DEP_1) | instskip(NEXT) | instid1(VALU_DEP_1)
	v_lshrrev_b64 v[68:69], s48, v[68:69]
	v_and_b32_e32 v69, s57, v68
	s_delay_alu instid0(VALU_DEP_1)
	v_and_b32_e32 v68, 1, v69
	v_lshlrev_b32_e32 v70, 30, v69
	v_lshlrev_b32_e32 v71, 29, v69
	;; [unrolled: 1-line block ×4, first 2 shown]
	v_add_co_u32 v68, s15, v68, -1
	s_wait_alu 0xf1ff
	v_cndmask_b32_e64 v73, 0, 1, s15
	v_not_b32_e32 v184, v70
	v_cmp_gt_i32_e64 s15, 0, v70
	v_not_b32_e32 v70, v71
	v_lshlrev_b32_e32 v75, 26, v69
	v_cmp_ne_u32_e32 vcc_lo, 0, v73
	v_ashrrev_i32_e32 v184, 31, v184
	v_lshlrev_b32_e32 v183, 25, v69
	v_ashrrev_i32_e32 v70, 31, v70
	v_lshlrev_b32_e32 v73, 24, v69
	s_wait_alu 0xfffd
	v_xor_b32_e32 v68, vcc_lo, v68
	v_cmp_gt_i32_e32 vcc_lo, 0, v71
	v_not_b32_e32 v71, v72
	s_wait_alu 0xf1ff
	v_xor_b32_e32 v184, s15, v184
	v_cmp_gt_i32_e64 s15, 0, v72
	v_and_b32_e32 v68, exec_lo, v68
	v_not_b32_e32 v72, v74
	v_ashrrev_i32_e32 v71, 31, v71
	s_wait_alu 0xfffd
	v_xor_b32_e32 v70, vcc_lo, v70
	v_cmp_gt_i32_e32 vcc_lo, 0, v74
	v_and_b32_e32 v68, v68, v184
	v_not_b32_e32 v74, v75
	v_ashrrev_i32_e32 v72, 31, v72
	s_wait_alu 0xf1ff
	v_xor_b32_e32 v71, s15, v71
	v_cmp_gt_i32_e64 s15, 0, v75
	v_and_b32_e32 v68, v68, v70
	v_not_b32_e32 v70, v183
	v_ashrrev_i32_e32 v74, 31, v74
	s_wait_alu 0xfffd
	v_xor_b32_e32 v72, vcc_lo, v72
	v_cmp_gt_i32_e32 vcc_lo, 0, v183
	v_and_b32_e32 v68, v68, v71
	v_not_b32_e32 v71, v73
	v_ashrrev_i32_e32 v70, 31, v70
	s_wait_alu 0xf1ff
	v_xor_b32_e32 v74, s15, v74
	v_cmp_gt_i32_e64 s15, 0, v73
	v_and_b32_e32 v68, v68, v72
	v_ashrrev_i32_e32 v71, 31, v71
	s_wait_alu 0xfffd
	v_xor_b32_e32 v70, vcc_lo, v70
	v_mad_u32_u24 v72, v69, 36, v145
	v_mul_u32_u24_e32 v69, 36, v69
	v_and_b32_e32 v68, v68, v74
	s_wait_alu 0xf1ff
	v_xor_b32_e32 v71, s15, v71
	ds_load_b32 v183, v72 offset:1056
	v_add_nc_u32_e32 v185, v145, v69
	v_and_b32_e32 v68, v68, v70
	; wave barrier
	s_delay_alu instid0(VALU_DEP_1) | instskip(NEXT) | instid1(VALU_DEP_1)
	v_and_b32_e32 v68, v68, v71
	v_mbcnt_lo_u32_b32 v184, v68, 0
	v_cmp_ne_u32_e64 s15, 0, v68
	s_delay_alu instid0(VALU_DEP_2)
	v_cmp_eq_u32_e32 vcc_lo, 0, v184
	s_and_b32 s16, s15, vcc_lo
	s_wait_alu 0xfffe
	s_and_saveexec_b32 s15, s16
	s_cbranch_execz .LBB1124_146
; %bb.145:                              ;   in Loop: Header=BB1124_96 Depth=2
	s_wait_dscnt 0x0
	v_bcnt_u32_b32 v68, v68, v183
	ds_store_b32 v185, v68 offset:1056
.LBB1124_146:                           ;   in Loop: Header=BB1124_96 Depth=2
	s_wait_alu 0xfffe
	s_or_b32 exec_lo, exec_lo, s15
	v_cmp_gt_i64_e32 vcc_lo, 0, v[64:65]
	v_ashrrev_i32_e32 v68, 31, v65
	; wave barrier
	s_delay_alu instid0(VALU_DEP_1) | instskip(SKIP_2) | instid1(VALU_DEP_2)
	v_not_b32_e32 v68, v68
	s_wait_alu 0xfffd
	v_cndmask_b32_e64 v69, 0x7fffffff, 0, vcc_lo
	v_xor_b32_e32 v64, v68, v64
	s_delay_alu instid0(VALU_DEP_2) | instskip(NEXT) | instid1(VALU_DEP_1)
	v_xor_b32_e32 v65, v69, v65
	v_cmp_ne_u64_e32 vcc_lo, s[34:35], v[64:65]
	s_wait_alu 0xfffd
	v_cndmask_b32_e32 v69, 0x7fffffff, v65, vcc_lo
	v_cndmask_b32_e32 v68, -1, v64, vcc_lo
	s_delay_alu instid0(VALU_DEP_1) | instskip(NEXT) | instid1(VALU_DEP_1)
	v_lshrrev_b64 v[68:69], s48, v[68:69]
	v_and_b32_e32 v69, s57, v68
	s_delay_alu instid0(VALU_DEP_1)
	v_and_b32_e32 v68, 1, v69
	v_lshlrev_b32_e32 v70, 30, v69
	v_lshlrev_b32_e32 v71, 29, v69
	;; [unrolled: 1-line block ×4, first 2 shown]
	v_add_co_u32 v68, s15, v68, -1
	s_wait_alu 0xf1ff
	v_cndmask_b32_e64 v73, 0, 1, s15
	v_not_b32_e32 v187, v70
	v_cmp_gt_i32_e64 s15, 0, v70
	v_not_b32_e32 v70, v71
	v_lshlrev_b32_e32 v75, 26, v69
	v_cmp_ne_u32_e32 vcc_lo, 0, v73
	v_ashrrev_i32_e32 v187, 31, v187
	v_lshlrev_b32_e32 v186, 25, v69
	v_ashrrev_i32_e32 v70, 31, v70
	v_lshlrev_b32_e32 v73, 24, v69
	s_wait_alu 0xfffd
	v_xor_b32_e32 v68, vcc_lo, v68
	v_cmp_gt_i32_e32 vcc_lo, 0, v71
	v_not_b32_e32 v71, v72
	s_wait_alu 0xf1ff
	v_xor_b32_e32 v187, s15, v187
	v_cmp_gt_i32_e64 s15, 0, v72
	v_and_b32_e32 v68, exec_lo, v68
	v_not_b32_e32 v72, v74
	v_ashrrev_i32_e32 v71, 31, v71
	s_wait_alu 0xfffd
	v_xor_b32_e32 v70, vcc_lo, v70
	v_cmp_gt_i32_e32 vcc_lo, 0, v74
	v_and_b32_e32 v68, v68, v187
	v_not_b32_e32 v74, v75
	v_ashrrev_i32_e32 v72, 31, v72
	s_wait_alu 0xf1ff
	v_xor_b32_e32 v71, s15, v71
	v_cmp_gt_i32_e64 s15, 0, v75
	v_and_b32_e32 v68, v68, v70
	v_not_b32_e32 v70, v186
	v_ashrrev_i32_e32 v74, 31, v74
	s_wait_alu 0xfffd
	v_xor_b32_e32 v72, vcc_lo, v72
	v_cmp_gt_i32_e32 vcc_lo, 0, v186
	v_and_b32_e32 v68, v68, v71
	v_not_b32_e32 v71, v73
	v_ashrrev_i32_e32 v70, 31, v70
	s_wait_alu 0xf1ff
	v_xor_b32_e32 v74, s15, v74
	v_cmp_gt_i32_e64 s15, 0, v73
	v_and_b32_e32 v68, v68, v72
	v_ashrrev_i32_e32 v71, 31, v71
	s_wait_alu 0xfffd
	v_xor_b32_e32 v70, vcc_lo, v70
	v_mad_u32_u24 v72, v69, 36, v145
	v_mul_u32_u24_e32 v69, 36, v69
	v_and_b32_e32 v68, v68, v74
	s_wait_alu 0xf1ff
	v_xor_b32_e32 v71, s15, v71
	ds_load_b32 v186, v72 offset:1056
	v_add_nc_u32_e32 v188, v145, v69
	v_and_b32_e32 v68, v68, v70
	; wave barrier
	s_delay_alu instid0(VALU_DEP_1) | instskip(NEXT) | instid1(VALU_DEP_1)
	v_and_b32_e32 v68, v68, v71
	v_mbcnt_lo_u32_b32 v187, v68, 0
	v_cmp_ne_u32_e64 s15, 0, v68
	s_delay_alu instid0(VALU_DEP_2)
	v_cmp_eq_u32_e32 vcc_lo, 0, v187
	s_and_b32 s16, s15, vcc_lo
	s_wait_alu 0xfffe
	s_and_saveexec_b32 s15, s16
	s_cbranch_execz .LBB1124_148
; %bb.147:                              ;   in Loop: Header=BB1124_96 Depth=2
	s_wait_dscnt 0x0
	v_bcnt_u32_b32 v68, v68, v186
	ds_store_b32 v188, v68 offset:1056
.LBB1124_148:                           ;   in Loop: Header=BB1124_96 Depth=2
	s_wait_alu 0xfffe
	s_or_b32 exec_lo, exec_lo, s15
	v_cmp_gt_i64_e32 vcc_lo, 0, v[66:67]
	v_ashrrev_i32_e32 v68, 31, v67
	; wave barrier
	s_delay_alu instid0(VALU_DEP_1) | instskip(SKIP_2) | instid1(VALU_DEP_2)
	v_not_b32_e32 v68, v68
	s_wait_alu 0xfffd
	v_cndmask_b32_e64 v69, 0x7fffffff, 0, vcc_lo
	v_xor_b32_e32 v66, v68, v66
	s_delay_alu instid0(VALU_DEP_2) | instskip(NEXT) | instid1(VALU_DEP_1)
	v_xor_b32_e32 v67, v69, v67
	v_cmp_ne_u64_e32 vcc_lo, s[34:35], v[66:67]
	s_wait_alu 0xfffd
	v_cndmask_b32_e32 v69, 0x7fffffff, v67, vcc_lo
	v_cndmask_b32_e32 v68, -1, v66, vcc_lo
	s_delay_alu instid0(VALU_DEP_1) | instskip(NEXT) | instid1(VALU_DEP_1)
	v_lshrrev_b64 v[68:69], s48, v[68:69]
	v_and_b32_e32 v69, s57, v68
	s_delay_alu instid0(VALU_DEP_1)
	v_and_b32_e32 v68, 1, v69
	v_lshlrev_b32_e32 v70, 30, v69
	v_lshlrev_b32_e32 v71, 29, v69
	;; [unrolled: 1-line block ×4, first 2 shown]
	v_add_co_u32 v68, s15, v68, -1
	s_wait_alu 0xf1ff
	v_cndmask_b32_e64 v73, 0, 1, s15
	v_not_b32_e32 v190, v70
	v_cmp_gt_i32_e64 s15, 0, v70
	v_not_b32_e32 v70, v71
	v_lshlrev_b32_e32 v75, 26, v69
	v_cmp_ne_u32_e32 vcc_lo, 0, v73
	v_ashrrev_i32_e32 v190, 31, v190
	v_lshlrev_b32_e32 v189, 25, v69
	v_ashrrev_i32_e32 v70, 31, v70
	v_lshlrev_b32_e32 v73, 24, v69
	s_wait_alu 0xfffd
	v_xor_b32_e32 v68, vcc_lo, v68
	v_cmp_gt_i32_e32 vcc_lo, 0, v71
	v_not_b32_e32 v71, v72
	s_wait_alu 0xf1ff
	v_xor_b32_e32 v190, s15, v190
	v_cmp_gt_i32_e64 s15, 0, v72
	v_and_b32_e32 v68, exec_lo, v68
	v_not_b32_e32 v72, v74
	v_ashrrev_i32_e32 v71, 31, v71
	s_wait_alu 0xfffd
	v_xor_b32_e32 v70, vcc_lo, v70
	v_cmp_gt_i32_e32 vcc_lo, 0, v74
	v_and_b32_e32 v68, v68, v190
	v_not_b32_e32 v74, v75
	v_ashrrev_i32_e32 v72, 31, v72
	s_wait_alu 0xf1ff
	v_xor_b32_e32 v71, s15, v71
	v_cmp_gt_i32_e64 s15, 0, v75
	v_and_b32_e32 v68, v68, v70
	v_not_b32_e32 v70, v189
	v_ashrrev_i32_e32 v74, 31, v74
	s_wait_alu 0xfffd
	v_xor_b32_e32 v72, vcc_lo, v72
	v_cmp_gt_i32_e32 vcc_lo, 0, v189
	v_and_b32_e32 v68, v68, v71
	v_not_b32_e32 v71, v73
	v_ashrrev_i32_e32 v70, 31, v70
	s_wait_alu 0xf1ff
	v_xor_b32_e32 v74, s15, v74
	v_cmp_gt_i32_e64 s15, 0, v73
	v_and_b32_e32 v68, v68, v72
	v_ashrrev_i32_e32 v71, 31, v71
	s_wait_alu 0xfffd
	v_xor_b32_e32 v70, vcc_lo, v70
	v_mad_u32_u24 v72, v69, 36, v145
	v_mul_u32_u24_e32 v69, 36, v69
	v_and_b32_e32 v68, v68, v74
	s_wait_alu 0xf1ff
	v_xor_b32_e32 v71, s15, v71
	ds_load_b32 v189, v72 offset:1056
	v_add_nc_u32_e32 v191, v145, v69
	v_and_b32_e32 v68, v68, v70
	; wave barrier
	s_delay_alu instid0(VALU_DEP_1) | instskip(NEXT) | instid1(VALU_DEP_1)
	v_and_b32_e32 v68, v68, v71
	v_mbcnt_lo_u32_b32 v190, v68, 0
	v_cmp_ne_u32_e64 s15, 0, v68
	s_delay_alu instid0(VALU_DEP_2)
	v_cmp_eq_u32_e32 vcc_lo, 0, v190
	s_and_b32 s16, s15, vcc_lo
	s_wait_alu 0xfffe
	s_and_saveexec_b32 s15, s16
	s_cbranch_execz .LBB1124_150
; %bb.149:                              ;   in Loop: Header=BB1124_96 Depth=2
	s_wait_dscnt 0x0
	v_bcnt_u32_b32 v68, v68, v189
	ds_store_b32 v191, v68 offset:1056
.LBB1124_150:                           ;   in Loop: Header=BB1124_96 Depth=2
	s_wait_alu 0xfffe
	s_or_b32 exec_lo, exec_lo, s15
	v_cmp_gt_i64_e32 vcc_lo, 0, v[62:63]
	v_ashrrev_i32_e32 v68, 31, v63
	; wave barrier
	s_delay_alu instid0(VALU_DEP_1) | instskip(SKIP_2) | instid1(VALU_DEP_2)
	v_not_b32_e32 v68, v68
	s_wait_alu 0xfffd
	v_cndmask_b32_e64 v69, 0x7fffffff, 0, vcc_lo
	v_xor_b32_e32 v62, v68, v62
	s_delay_alu instid0(VALU_DEP_2) | instskip(NEXT) | instid1(VALU_DEP_1)
	v_xor_b32_e32 v63, v69, v63
	v_cmp_ne_u64_e32 vcc_lo, s[34:35], v[62:63]
	s_wait_alu 0xfffd
	v_cndmask_b32_e32 v69, 0x7fffffff, v63, vcc_lo
	v_cndmask_b32_e32 v68, -1, v62, vcc_lo
	s_delay_alu instid0(VALU_DEP_1) | instskip(NEXT) | instid1(VALU_DEP_1)
	v_lshrrev_b64 v[68:69], s48, v[68:69]
	v_and_b32_e32 v69, s57, v68
	s_delay_alu instid0(VALU_DEP_1)
	v_and_b32_e32 v68, 1, v69
	v_lshlrev_b32_e32 v70, 30, v69
	v_lshlrev_b32_e32 v71, 29, v69
	;; [unrolled: 1-line block ×4, first 2 shown]
	v_add_co_u32 v68, s15, v68, -1
	s_wait_alu 0xf1ff
	v_cndmask_b32_e64 v73, 0, 1, s15
	v_not_b32_e32 v193, v70
	v_cmp_gt_i32_e64 s15, 0, v70
	v_not_b32_e32 v70, v71
	v_lshlrev_b32_e32 v75, 26, v69
	v_cmp_ne_u32_e32 vcc_lo, 0, v73
	v_ashrrev_i32_e32 v193, 31, v193
	v_lshlrev_b32_e32 v192, 25, v69
	v_ashrrev_i32_e32 v70, 31, v70
	v_lshlrev_b32_e32 v73, 24, v69
	s_wait_alu 0xfffd
	v_xor_b32_e32 v68, vcc_lo, v68
	v_cmp_gt_i32_e32 vcc_lo, 0, v71
	v_not_b32_e32 v71, v72
	s_wait_alu 0xf1ff
	v_xor_b32_e32 v193, s15, v193
	v_cmp_gt_i32_e64 s15, 0, v72
	v_and_b32_e32 v68, exec_lo, v68
	v_not_b32_e32 v72, v74
	v_ashrrev_i32_e32 v71, 31, v71
	s_wait_alu 0xfffd
	v_xor_b32_e32 v70, vcc_lo, v70
	v_cmp_gt_i32_e32 vcc_lo, 0, v74
	v_and_b32_e32 v68, v68, v193
	v_not_b32_e32 v74, v75
	v_ashrrev_i32_e32 v72, 31, v72
	s_wait_alu 0xf1ff
	v_xor_b32_e32 v71, s15, v71
	v_cmp_gt_i32_e64 s15, 0, v75
	v_and_b32_e32 v68, v68, v70
	v_not_b32_e32 v70, v192
	v_ashrrev_i32_e32 v74, 31, v74
	s_wait_alu 0xfffd
	v_xor_b32_e32 v72, vcc_lo, v72
	v_cmp_gt_i32_e32 vcc_lo, 0, v192
	v_and_b32_e32 v68, v68, v71
	v_not_b32_e32 v71, v73
	v_ashrrev_i32_e32 v70, 31, v70
	s_wait_alu 0xf1ff
	v_xor_b32_e32 v74, s15, v74
	v_cmp_gt_i32_e64 s15, 0, v73
	v_and_b32_e32 v68, v68, v72
	v_ashrrev_i32_e32 v71, 31, v71
	s_wait_alu 0xfffd
	v_xor_b32_e32 v70, vcc_lo, v70
	v_mad_u32_u24 v72, v69, 36, v145
	v_mul_u32_u24_e32 v69, 36, v69
	v_and_b32_e32 v68, v68, v74
	s_wait_alu 0xf1ff
	v_xor_b32_e32 v71, s15, v71
	ds_load_b32 v192, v72 offset:1056
	v_add_nc_u32_e32 v194, v145, v69
	v_and_b32_e32 v68, v68, v70
	; wave barrier
	s_delay_alu instid0(VALU_DEP_1) | instskip(NEXT) | instid1(VALU_DEP_1)
	v_and_b32_e32 v68, v68, v71
	v_mbcnt_lo_u32_b32 v193, v68, 0
	v_cmp_ne_u32_e64 s15, 0, v68
	s_delay_alu instid0(VALU_DEP_2)
	v_cmp_eq_u32_e32 vcc_lo, 0, v193
	s_and_b32 s16, s15, vcc_lo
	s_wait_alu 0xfffe
	s_and_saveexec_b32 s15, s16
	s_cbranch_execz .LBB1124_152
; %bb.151:                              ;   in Loop: Header=BB1124_96 Depth=2
	s_wait_dscnt 0x0
	v_bcnt_u32_b32 v68, v68, v192
	ds_store_b32 v194, v68 offset:1056
.LBB1124_152:                           ;   in Loop: Header=BB1124_96 Depth=2
	s_wait_alu 0xfffe
	s_or_b32 exec_lo, exec_lo, s15
	v_cmp_gt_i64_e32 vcc_lo, 0, v[58:59]
	v_ashrrev_i32_e32 v68, 31, v59
	; wave barrier
	s_delay_alu instid0(VALU_DEP_1) | instskip(SKIP_2) | instid1(VALU_DEP_2)
	v_not_b32_e32 v68, v68
	s_wait_alu 0xfffd
	v_cndmask_b32_e64 v69, 0x7fffffff, 0, vcc_lo
	v_xor_b32_e32 v58, v68, v58
	s_delay_alu instid0(VALU_DEP_2) | instskip(NEXT) | instid1(VALU_DEP_1)
	v_xor_b32_e32 v59, v69, v59
	v_cmp_ne_u64_e32 vcc_lo, s[34:35], v[58:59]
	s_wait_alu 0xfffd
	v_cndmask_b32_e32 v69, 0x7fffffff, v59, vcc_lo
	v_cndmask_b32_e32 v68, -1, v58, vcc_lo
	s_delay_alu instid0(VALU_DEP_1) | instskip(NEXT) | instid1(VALU_DEP_1)
	v_lshrrev_b64 v[68:69], s48, v[68:69]
	v_and_b32_e32 v69, s57, v68
	s_delay_alu instid0(VALU_DEP_1)
	v_and_b32_e32 v68, 1, v69
	v_lshlrev_b32_e32 v70, 30, v69
	v_lshlrev_b32_e32 v71, 29, v69
	;; [unrolled: 1-line block ×4, first 2 shown]
	v_add_co_u32 v68, s15, v68, -1
	s_wait_alu 0xf1ff
	v_cndmask_b32_e64 v73, 0, 1, s15
	v_not_b32_e32 v196, v70
	v_cmp_gt_i32_e64 s15, 0, v70
	v_not_b32_e32 v70, v71
	v_lshlrev_b32_e32 v75, 26, v69
	v_cmp_ne_u32_e32 vcc_lo, 0, v73
	v_ashrrev_i32_e32 v196, 31, v196
	v_lshlrev_b32_e32 v195, 25, v69
	v_ashrrev_i32_e32 v70, 31, v70
	v_lshlrev_b32_e32 v73, 24, v69
	s_wait_alu 0xfffd
	v_xor_b32_e32 v68, vcc_lo, v68
	v_cmp_gt_i32_e32 vcc_lo, 0, v71
	v_not_b32_e32 v71, v72
	s_wait_alu 0xf1ff
	v_xor_b32_e32 v196, s15, v196
	v_cmp_gt_i32_e64 s15, 0, v72
	v_and_b32_e32 v68, exec_lo, v68
	v_not_b32_e32 v72, v74
	v_ashrrev_i32_e32 v71, 31, v71
	s_wait_alu 0xfffd
	v_xor_b32_e32 v70, vcc_lo, v70
	v_cmp_gt_i32_e32 vcc_lo, 0, v74
	v_and_b32_e32 v68, v68, v196
	v_not_b32_e32 v74, v75
	v_ashrrev_i32_e32 v72, 31, v72
	s_wait_alu 0xf1ff
	v_xor_b32_e32 v71, s15, v71
	v_cmp_gt_i32_e64 s15, 0, v75
	v_and_b32_e32 v68, v68, v70
	v_not_b32_e32 v70, v195
	v_ashrrev_i32_e32 v74, 31, v74
	s_wait_alu 0xfffd
	v_xor_b32_e32 v72, vcc_lo, v72
	v_cmp_gt_i32_e32 vcc_lo, 0, v195
	v_and_b32_e32 v68, v68, v71
	v_not_b32_e32 v71, v73
	v_ashrrev_i32_e32 v70, 31, v70
	s_wait_alu 0xf1ff
	v_xor_b32_e32 v74, s15, v74
	v_cmp_gt_i32_e64 s15, 0, v73
	v_and_b32_e32 v68, v68, v72
	v_ashrrev_i32_e32 v71, 31, v71
	s_wait_alu 0xfffd
	v_xor_b32_e32 v70, vcc_lo, v70
	v_mad_u32_u24 v72, v69, 36, v145
	v_mul_u32_u24_e32 v69, 36, v69
	v_and_b32_e32 v68, v68, v74
	s_wait_alu 0xf1ff
	v_xor_b32_e32 v71, s15, v71
	ds_load_b32 v195, v72 offset:1056
	v_add_nc_u32_e32 v197, v145, v69
	v_and_b32_e32 v68, v68, v70
	; wave barrier
	s_delay_alu instid0(VALU_DEP_1) | instskip(NEXT) | instid1(VALU_DEP_1)
	v_and_b32_e32 v68, v68, v71
	v_mbcnt_lo_u32_b32 v196, v68, 0
	v_cmp_ne_u32_e64 s15, 0, v68
	s_delay_alu instid0(VALU_DEP_2)
	v_cmp_eq_u32_e32 vcc_lo, 0, v196
	s_and_b32 s16, s15, vcc_lo
	s_wait_alu 0xfffe
	s_and_saveexec_b32 s15, s16
	s_cbranch_execz .LBB1124_154
; %bb.153:                              ;   in Loop: Header=BB1124_96 Depth=2
	s_wait_dscnt 0x0
	v_bcnt_u32_b32 v68, v68, v195
	ds_store_b32 v197, v68 offset:1056
.LBB1124_154:                           ;   in Loop: Header=BB1124_96 Depth=2
	s_wait_alu 0xfffe
	s_or_b32 exec_lo, exec_lo, s15
	v_cmp_gt_i64_e32 vcc_lo, 0, v[54:55]
	v_ashrrev_i32_e32 v68, 31, v55
	; wave barrier
	s_delay_alu instid0(VALU_DEP_1) | instskip(SKIP_2) | instid1(VALU_DEP_2)
	v_not_b32_e32 v68, v68
	s_wait_alu 0xfffd
	v_cndmask_b32_e64 v69, 0x7fffffff, 0, vcc_lo
	v_xor_b32_e32 v54, v68, v54
	s_delay_alu instid0(VALU_DEP_2) | instskip(NEXT) | instid1(VALU_DEP_1)
	v_xor_b32_e32 v55, v69, v55
	v_cmp_ne_u64_e32 vcc_lo, s[34:35], v[54:55]
	s_wait_alu 0xfffd
	v_cndmask_b32_e32 v69, 0x7fffffff, v55, vcc_lo
	v_cndmask_b32_e32 v68, -1, v54, vcc_lo
	s_delay_alu instid0(VALU_DEP_1) | instskip(NEXT) | instid1(VALU_DEP_1)
	v_lshrrev_b64 v[68:69], s48, v[68:69]
	v_and_b32_e32 v69, s57, v68
	s_delay_alu instid0(VALU_DEP_1)
	v_and_b32_e32 v68, 1, v69
	v_lshlrev_b32_e32 v70, 30, v69
	v_lshlrev_b32_e32 v71, 29, v69
	;; [unrolled: 1-line block ×4, first 2 shown]
	v_add_co_u32 v68, s15, v68, -1
	s_wait_alu 0xf1ff
	v_cndmask_b32_e64 v73, 0, 1, s15
	v_not_b32_e32 v199, v70
	v_cmp_gt_i32_e64 s15, 0, v70
	v_not_b32_e32 v70, v71
	v_lshlrev_b32_e32 v75, 26, v69
	v_cmp_ne_u32_e32 vcc_lo, 0, v73
	v_ashrrev_i32_e32 v199, 31, v199
	v_lshlrev_b32_e32 v198, 25, v69
	v_ashrrev_i32_e32 v70, 31, v70
	v_lshlrev_b32_e32 v73, 24, v69
	s_wait_alu 0xfffd
	v_xor_b32_e32 v68, vcc_lo, v68
	v_cmp_gt_i32_e32 vcc_lo, 0, v71
	v_not_b32_e32 v71, v72
	s_wait_alu 0xf1ff
	v_xor_b32_e32 v199, s15, v199
	v_cmp_gt_i32_e64 s15, 0, v72
	v_and_b32_e32 v68, exec_lo, v68
	v_not_b32_e32 v72, v74
	v_ashrrev_i32_e32 v71, 31, v71
	s_wait_alu 0xfffd
	v_xor_b32_e32 v70, vcc_lo, v70
	v_cmp_gt_i32_e32 vcc_lo, 0, v74
	v_and_b32_e32 v68, v68, v199
	v_not_b32_e32 v74, v75
	v_ashrrev_i32_e32 v72, 31, v72
	s_wait_alu 0xf1ff
	v_xor_b32_e32 v71, s15, v71
	v_cmp_gt_i32_e64 s15, 0, v75
	v_and_b32_e32 v68, v68, v70
	v_not_b32_e32 v70, v198
	v_ashrrev_i32_e32 v74, 31, v74
	s_wait_alu 0xfffd
	v_xor_b32_e32 v72, vcc_lo, v72
	v_cmp_gt_i32_e32 vcc_lo, 0, v198
	v_and_b32_e32 v68, v68, v71
	v_not_b32_e32 v71, v73
	v_ashrrev_i32_e32 v70, 31, v70
	s_wait_alu 0xf1ff
	v_xor_b32_e32 v74, s15, v74
	v_cmp_gt_i32_e64 s15, 0, v73
	v_and_b32_e32 v68, v68, v72
	v_ashrrev_i32_e32 v71, 31, v71
	s_wait_alu 0xfffd
	v_xor_b32_e32 v70, vcc_lo, v70
	v_mad_u32_u24 v72, v69, 36, v145
	v_mul_u32_u24_e32 v69, 36, v69
	v_and_b32_e32 v68, v68, v74
	s_wait_alu 0xf1ff
	v_xor_b32_e32 v71, s15, v71
	ds_load_b32 v198, v72 offset:1056
	v_add_nc_u32_e32 v200, v145, v69
	v_and_b32_e32 v68, v68, v70
	; wave barrier
	s_delay_alu instid0(VALU_DEP_1) | instskip(NEXT) | instid1(VALU_DEP_1)
	v_and_b32_e32 v68, v68, v71
	v_mbcnt_lo_u32_b32 v199, v68, 0
	v_cmp_ne_u32_e64 s15, 0, v68
	s_delay_alu instid0(VALU_DEP_2)
	v_cmp_eq_u32_e32 vcc_lo, 0, v199
	s_and_b32 s16, s15, vcc_lo
	s_wait_alu 0xfffe
	s_and_saveexec_b32 s15, s16
	s_cbranch_execz .LBB1124_156
; %bb.155:                              ;   in Loop: Header=BB1124_96 Depth=2
	s_wait_dscnt 0x0
	v_bcnt_u32_b32 v68, v68, v198
	ds_store_b32 v200, v68 offset:1056
.LBB1124_156:                           ;   in Loop: Header=BB1124_96 Depth=2
	s_wait_alu 0xfffe
	s_or_b32 exec_lo, exec_lo, s15
	v_cmp_gt_i64_e32 vcc_lo, 0, v[50:51]
	v_ashrrev_i32_e32 v68, 31, v51
	; wave barrier
	s_delay_alu instid0(VALU_DEP_1) | instskip(SKIP_2) | instid1(VALU_DEP_2)
	v_not_b32_e32 v68, v68
	s_wait_alu 0xfffd
	v_cndmask_b32_e64 v69, 0x7fffffff, 0, vcc_lo
	v_xor_b32_e32 v50, v68, v50
	s_delay_alu instid0(VALU_DEP_2) | instskip(NEXT) | instid1(VALU_DEP_1)
	v_xor_b32_e32 v51, v69, v51
	v_cmp_ne_u64_e32 vcc_lo, s[34:35], v[50:51]
	s_wait_alu 0xfffd
	v_cndmask_b32_e32 v69, 0x7fffffff, v51, vcc_lo
	v_cndmask_b32_e32 v68, -1, v50, vcc_lo
	s_delay_alu instid0(VALU_DEP_1) | instskip(NEXT) | instid1(VALU_DEP_1)
	v_lshrrev_b64 v[68:69], s48, v[68:69]
	v_and_b32_e32 v69, s57, v68
	s_delay_alu instid0(VALU_DEP_1)
	v_and_b32_e32 v68, 1, v69
	v_lshlrev_b32_e32 v70, 30, v69
	v_lshlrev_b32_e32 v71, 29, v69
	;; [unrolled: 1-line block ×4, first 2 shown]
	v_add_co_u32 v68, s15, v68, -1
	s_wait_alu 0xf1ff
	v_cndmask_b32_e64 v73, 0, 1, s15
	v_not_b32_e32 v202, v70
	v_cmp_gt_i32_e64 s15, 0, v70
	v_not_b32_e32 v70, v71
	v_lshlrev_b32_e32 v75, 26, v69
	v_cmp_ne_u32_e32 vcc_lo, 0, v73
	v_ashrrev_i32_e32 v202, 31, v202
	v_lshlrev_b32_e32 v201, 25, v69
	v_ashrrev_i32_e32 v70, 31, v70
	v_lshlrev_b32_e32 v73, 24, v69
	s_wait_alu 0xfffd
	v_xor_b32_e32 v68, vcc_lo, v68
	v_cmp_gt_i32_e32 vcc_lo, 0, v71
	v_not_b32_e32 v71, v72
	s_wait_alu 0xf1ff
	v_xor_b32_e32 v202, s15, v202
	v_cmp_gt_i32_e64 s15, 0, v72
	v_and_b32_e32 v68, exec_lo, v68
	v_not_b32_e32 v72, v74
	v_ashrrev_i32_e32 v71, 31, v71
	s_wait_alu 0xfffd
	v_xor_b32_e32 v70, vcc_lo, v70
	v_cmp_gt_i32_e32 vcc_lo, 0, v74
	v_and_b32_e32 v68, v68, v202
	v_not_b32_e32 v74, v75
	v_ashrrev_i32_e32 v72, 31, v72
	s_wait_alu 0xf1ff
	v_xor_b32_e32 v71, s15, v71
	v_cmp_gt_i32_e64 s15, 0, v75
	v_and_b32_e32 v68, v68, v70
	v_not_b32_e32 v70, v201
	v_ashrrev_i32_e32 v74, 31, v74
	s_wait_alu 0xfffd
	v_xor_b32_e32 v72, vcc_lo, v72
	v_cmp_gt_i32_e32 vcc_lo, 0, v201
	v_and_b32_e32 v68, v68, v71
	v_not_b32_e32 v71, v73
	v_ashrrev_i32_e32 v70, 31, v70
	s_wait_alu 0xf1ff
	v_xor_b32_e32 v74, s15, v74
	v_cmp_gt_i32_e64 s15, 0, v73
	v_and_b32_e32 v68, v68, v72
	v_ashrrev_i32_e32 v71, 31, v71
	s_wait_alu 0xfffd
	v_xor_b32_e32 v70, vcc_lo, v70
	v_mad_u32_u24 v72, v69, 36, v145
	v_mul_u32_u24_e32 v69, 36, v69
	v_and_b32_e32 v68, v68, v74
	s_wait_alu 0xf1ff
	v_xor_b32_e32 v71, s15, v71
	ds_load_b32 v201, v72 offset:1056
	v_add_nc_u32_e32 v203, v145, v69
	v_and_b32_e32 v68, v68, v70
	; wave barrier
	s_delay_alu instid0(VALU_DEP_1) | instskip(NEXT) | instid1(VALU_DEP_1)
	v_and_b32_e32 v68, v68, v71
	v_mbcnt_lo_u32_b32 v202, v68, 0
	v_cmp_ne_u32_e64 s15, 0, v68
	s_delay_alu instid0(VALU_DEP_2)
	v_cmp_eq_u32_e32 vcc_lo, 0, v202
	s_and_b32 s16, s15, vcc_lo
	s_wait_alu 0xfffe
	s_and_saveexec_b32 s15, s16
	s_cbranch_execz .LBB1124_158
; %bb.157:                              ;   in Loop: Header=BB1124_96 Depth=2
	s_wait_dscnt 0x0
	v_bcnt_u32_b32 v68, v68, v201
	ds_store_b32 v203, v68 offset:1056
.LBB1124_158:                           ;   in Loop: Header=BB1124_96 Depth=2
	s_wait_alu 0xfffe
	s_or_b32 exec_lo, exec_lo, s15
	v_cmp_gt_i64_e32 vcc_lo, 0, v[46:47]
	v_ashrrev_i32_e32 v68, 31, v47
	; wave barrier
	s_delay_alu instid0(VALU_DEP_1) | instskip(SKIP_2) | instid1(VALU_DEP_2)
	v_not_b32_e32 v68, v68
	s_wait_alu 0xfffd
	v_cndmask_b32_e64 v69, 0x7fffffff, 0, vcc_lo
	v_xor_b32_e32 v46, v68, v46
	s_delay_alu instid0(VALU_DEP_2) | instskip(NEXT) | instid1(VALU_DEP_1)
	v_xor_b32_e32 v47, v69, v47
	v_cmp_ne_u64_e32 vcc_lo, s[34:35], v[46:47]
	s_wait_alu 0xfffd
	v_cndmask_b32_e32 v69, 0x7fffffff, v47, vcc_lo
	v_cndmask_b32_e32 v68, -1, v46, vcc_lo
	s_delay_alu instid0(VALU_DEP_1) | instskip(NEXT) | instid1(VALU_DEP_1)
	v_lshrrev_b64 v[68:69], s48, v[68:69]
	v_and_b32_e32 v69, s57, v68
	s_delay_alu instid0(VALU_DEP_1)
	v_and_b32_e32 v68, 1, v69
	v_lshlrev_b32_e32 v70, 30, v69
	v_lshlrev_b32_e32 v71, 29, v69
	v_lshlrev_b32_e32 v72, 28, v69
	v_lshlrev_b32_e32 v74, 27, v69
	v_add_co_u32 v68, s15, v68, -1
	s_wait_alu 0xf1ff
	v_cndmask_b32_e64 v73, 0, 1, s15
	v_not_b32_e32 v205, v70
	v_cmp_gt_i32_e64 s15, 0, v70
	v_not_b32_e32 v70, v71
	v_lshlrev_b32_e32 v75, 26, v69
	v_cmp_ne_u32_e32 vcc_lo, 0, v73
	v_ashrrev_i32_e32 v205, 31, v205
	v_lshlrev_b32_e32 v204, 25, v69
	v_ashrrev_i32_e32 v70, 31, v70
	v_lshlrev_b32_e32 v73, 24, v69
	s_wait_alu 0xfffd
	v_xor_b32_e32 v68, vcc_lo, v68
	v_cmp_gt_i32_e32 vcc_lo, 0, v71
	v_not_b32_e32 v71, v72
	s_wait_alu 0xf1ff
	v_xor_b32_e32 v205, s15, v205
	v_cmp_gt_i32_e64 s15, 0, v72
	v_and_b32_e32 v68, exec_lo, v68
	v_not_b32_e32 v72, v74
	v_ashrrev_i32_e32 v71, 31, v71
	s_wait_alu 0xfffd
	v_xor_b32_e32 v70, vcc_lo, v70
	v_cmp_gt_i32_e32 vcc_lo, 0, v74
	v_and_b32_e32 v68, v68, v205
	v_not_b32_e32 v74, v75
	v_ashrrev_i32_e32 v72, 31, v72
	s_wait_alu 0xf1ff
	v_xor_b32_e32 v71, s15, v71
	v_cmp_gt_i32_e64 s15, 0, v75
	v_and_b32_e32 v68, v68, v70
	v_not_b32_e32 v70, v204
	v_ashrrev_i32_e32 v74, 31, v74
	s_wait_alu 0xfffd
	v_xor_b32_e32 v72, vcc_lo, v72
	v_cmp_gt_i32_e32 vcc_lo, 0, v204
	v_and_b32_e32 v68, v68, v71
	v_not_b32_e32 v71, v73
	v_ashrrev_i32_e32 v70, 31, v70
	s_wait_alu 0xf1ff
	v_xor_b32_e32 v74, s15, v74
	v_cmp_gt_i32_e64 s15, 0, v73
	v_and_b32_e32 v68, v68, v72
	v_ashrrev_i32_e32 v71, 31, v71
	s_wait_alu 0xfffd
	v_xor_b32_e32 v70, vcc_lo, v70
	v_mad_u32_u24 v72, v69, 36, v145
	v_mul_u32_u24_e32 v69, 36, v69
	v_and_b32_e32 v68, v68, v74
	s_wait_alu 0xf1ff
	v_xor_b32_e32 v71, s15, v71
	ds_load_b32 v204, v72 offset:1056
	v_add_nc_u32_e32 v206, v145, v69
	v_and_b32_e32 v68, v68, v70
	; wave barrier
	s_delay_alu instid0(VALU_DEP_1) | instskip(NEXT) | instid1(VALU_DEP_1)
	v_and_b32_e32 v68, v68, v71
	v_mbcnt_lo_u32_b32 v205, v68, 0
	v_cmp_ne_u32_e64 s15, 0, v68
	s_delay_alu instid0(VALU_DEP_2)
	v_cmp_eq_u32_e32 vcc_lo, 0, v205
	s_and_b32 s16, s15, vcc_lo
	s_wait_alu 0xfffe
	s_and_saveexec_b32 s15, s16
	s_cbranch_execz .LBB1124_160
; %bb.159:                              ;   in Loop: Header=BB1124_96 Depth=2
	s_wait_dscnt 0x0
	v_bcnt_u32_b32 v68, v68, v204
	ds_store_b32 v206, v68 offset:1056
.LBB1124_160:                           ;   in Loop: Header=BB1124_96 Depth=2
	s_wait_alu 0xfffe
	s_or_b32 exec_lo, exec_lo, s15
	v_cmp_gt_i64_e32 vcc_lo, 0, v[44:45]
	v_ashrrev_i32_e32 v68, 31, v45
	; wave barrier
	s_delay_alu instid0(VALU_DEP_1) | instskip(SKIP_2) | instid1(VALU_DEP_2)
	v_not_b32_e32 v68, v68
	s_wait_alu 0xfffd
	v_cndmask_b32_e64 v69, 0x7fffffff, 0, vcc_lo
	v_xor_b32_e32 v44, v68, v44
	s_delay_alu instid0(VALU_DEP_2) | instskip(NEXT) | instid1(VALU_DEP_1)
	v_xor_b32_e32 v45, v69, v45
	v_cmp_ne_u64_e32 vcc_lo, s[34:35], v[44:45]
	s_wait_alu 0xfffd
	v_cndmask_b32_e32 v69, 0x7fffffff, v45, vcc_lo
	v_cndmask_b32_e32 v68, -1, v44, vcc_lo
	s_delay_alu instid0(VALU_DEP_1) | instskip(NEXT) | instid1(VALU_DEP_1)
	v_lshrrev_b64 v[68:69], s48, v[68:69]
	v_and_b32_e32 v69, s57, v68
	s_delay_alu instid0(VALU_DEP_1)
	v_and_b32_e32 v68, 1, v69
	v_lshlrev_b32_e32 v70, 30, v69
	v_lshlrev_b32_e32 v71, 29, v69
	;; [unrolled: 1-line block ×4, first 2 shown]
	v_add_co_u32 v68, s15, v68, -1
	s_wait_alu 0xf1ff
	v_cndmask_b32_e64 v73, 0, 1, s15
	v_not_b32_e32 v208, v70
	v_cmp_gt_i32_e64 s15, 0, v70
	v_not_b32_e32 v70, v71
	v_lshlrev_b32_e32 v75, 26, v69
	v_cmp_ne_u32_e32 vcc_lo, 0, v73
	v_ashrrev_i32_e32 v208, 31, v208
	v_lshlrev_b32_e32 v207, 25, v69
	v_ashrrev_i32_e32 v70, 31, v70
	v_lshlrev_b32_e32 v73, 24, v69
	s_wait_alu 0xfffd
	v_xor_b32_e32 v68, vcc_lo, v68
	v_cmp_gt_i32_e32 vcc_lo, 0, v71
	v_not_b32_e32 v71, v72
	s_wait_alu 0xf1ff
	v_xor_b32_e32 v208, s15, v208
	v_cmp_gt_i32_e64 s15, 0, v72
	v_and_b32_e32 v68, exec_lo, v68
	v_not_b32_e32 v72, v74
	v_ashrrev_i32_e32 v71, 31, v71
	s_wait_alu 0xfffd
	v_xor_b32_e32 v70, vcc_lo, v70
	v_cmp_gt_i32_e32 vcc_lo, 0, v74
	v_and_b32_e32 v68, v68, v208
	v_not_b32_e32 v74, v75
	v_ashrrev_i32_e32 v72, 31, v72
	s_wait_alu 0xf1ff
	v_xor_b32_e32 v71, s15, v71
	v_cmp_gt_i32_e64 s15, 0, v75
	v_and_b32_e32 v68, v68, v70
	v_not_b32_e32 v70, v207
	v_ashrrev_i32_e32 v74, 31, v74
	s_wait_alu 0xfffd
	v_xor_b32_e32 v72, vcc_lo, v72
	v_cmp_gt_i32_e32 vcc_lo, 0, v207
	v_and_b32_e32 v68, v68, v71
	v_not_b32_e32 v71, v73
	v_ashrrev_i32_e32 v70, 31, v70
	s_wait_alu 0xf1ff
	v_xor_b32_e32 v74, s15, v74
	v_cmp_gt_i32_e64 s15, 0, v73
	v_and_b32_e32 v68, v68, v72
	v_ashrrev_i32_e32 v71, 31, v71
	s_wait_alu 0xfffd
	v_xor_b32_e32 v70, vcc_lo, v70
	v_mad_u32_u24 v72, v69, 36, v145
	v_mul_u32_u24_e32 v69, 36, v69
	v_and_b32_e32 v68, v68, v74
	s_wait_alu 0xf1ff
	v_xor_b32_e32 v71, s15, v71
	ds_load_b32 v207, v72 offset:1056
	v_add_nc_u32_e32 v209, v145, v69
	v_and_b32_e32 v68, v68, v70
	; wave barrier
	s_delay_alu instid0(VALU_DEP_1) | instskip(NEXT) | instid1(VALU_DEP_1)
	v_and_b32_e32 v68, v68, v71
	v_mbcnt_lo_u32_b32 v208, v68, 0
	v_cmp_ne_u32_e64 s15, 0, v68
	s_delay_alu instid0(VALU_DEP_2)
	v_cmp_eq_u32_e32 vcc_lo, 0, v208
	s_and_b32 s16, s15, vcc_lo
	s_wait_alu 0xfffe
	s_and_saveexec_b32 s15, s16
	s_cbranch_execz .LBB1124_162
; %bb.161:                              ;   in Loop: Header=BB1124_96 Depth=2
	s_wait_dscnt 0x0
	v_bcnt_u32_b32 v68, v68, v207
	ds_store_b32 v209, v68 offset:1056
.LBB1124_162:                           ;   in Loop: Header=BB1124_96 Depth=2
	s_wait_alu 0xfffe
	s_or_b32 exec_lo, exec_lo, s15
	v_cmp_gt_i64_e32 vcc_lo, 0, v[42:43]
	v_ashrrev_i32_e32 v68, 31, v43
	; wave barrier
	s_delay_alu instid0(VALU_DEP_1) | instskip(SKIP_2) | instid1(VALU_DEP_2)
	v_not_b32_e32 v68, v68
	s_wait_alu 0xfffd
	v_cndmask_b32_e64 v69, 0x7fffffff, 0, vcc_lo
	v_xor_b32_e32 v42, v68, v42
	s_delay_alu instid0(VALU_DEP_2) | instskip(NEXT) | instid1(VALU_DEP_1)
	v_xor_b32_e32 v43, v69, v43
	v_cmp_ne_u64_e32 vcc_lo, s[34:35], v[42:43]
	s_wait_alu 0xfffd
	v_cndmask_b32_e32 v69, 0x7fffffff, v43, vcc_lo
	v_cndmask_b32_e32 v68, -1, v42, vcc_lo
	s_delay_alu instid0(VALU_DEP_1) | instskip(NEXT) | instid1(VALU_DEP_1)
	v_lshrrev_b64 v[68:69], s48, v[68:69]
	v_and_b32_e32 v69, s57, v68
	s_delay_alu instid0(VALU_DEP_1)
	v_and_b32_e32 v68, 1, v69
	v_lshlrev_b32_e32 v70, 30, v69
	v_lshlrev_b32_e32 v71, 29, v69
	;; [unrolled: 1-line block ×4, first 2 shown]
	v_add_co_u32 v68, s15, v68, -1
	s_wait_alu 0xf1ff
	v_cndmask_b32_e64 v73, 0, 1, s15
	v_not_b32_e32 v211, v70
	v_cmp_gt_i32_e64 s15, 0, v70
	v_not_b32_e32 v70, v71
	v_lshlrev_b32_e32 v75, 26, v69
	v_cmp_ne_u32_e32 vcc_lo, 0, v73
	v_ashrrev_i32_e32 v211, 31, v211
	v_lshlrev_b32_e32 v210, 25, v69
	v_ashrrev_i32_e32 v70, 31, v70
	v_lshlrev_b32_e32 v73, 24, v69
	s_wait_alu 0xfffd
	v_xor_b32_e32 v68, vcc_lo, v68
	v_cmp_gt_i32_e32 vcc_lo, 0, v71
	v_not_b32_e32 v71, v72
	s_wait_alu 0xf1ff
	v_xor_b32_e32 v211, s15, v211
	v_cmp_gt_i32_e64 s15, 0, v72
	v_and_b32_e32 v68, exec_lo, v68
	v_not_b32_e32 v72, v74
	v_ashrrev_i32_e32 v71, 31, v71
	s_wait_alu 0xfffd
	v_xor_b32_e32 v70, vcc_lo, v70
	v_cmp_gt_i32_e32 vcc_lo, 0, v74
	v_and_b32_e32 v68, v68, v211
	v_not_b32_e32 v74, v75
	v_ashrrev_i32_e32 v72, 31, v72
	s_wait_alu 0xf1ff
	v_xor_b32_e32 v71, s15, v71
	v_cmp_gt_i32_e64 s15, 0, v75
	v_and_b32_e32 v68, v68, v70
	v_not_b32_e32 v70, v210
	v_ashrrev_i32_e32 v74, 31, v74
	s_wait_alu 0xfffd
	v_xor_b32_e32 v72, vcc_lo, v72
	v_cmp_gt_i32_e32 vcc_lo, 0, v210
	v_and_b32_e32 v68, v68, v71
	v_not_b32_e32 v71, v73
	v_ashrrev_i32_e32 v70, 31, v70
	s_wait_alu 0xf1ff
	v_xor_b32_e32 v74, s15, v74
	v_cmp_gt_i32_e64 s15, 0, v73
	v_and_b32_e32 v68, v68, v72
	v_ashrrev_i32_e32 v71, 31, v71
	s_wait_alu 0xfffd
	v_xor_b32_e32 v70, vcc_lo, v70
	v_mad_u32_u24 v72, v69, 36, v145
	v_mul_u32_u24_e32 v69, 36, v69
	v_and_b32_e32 v68, v68, v74
	s_wait_alu 0xf1ff
	v_xor_b32_e32 v71, s15, v71
	ds_load_b32 v210, v72 offset:1056
	v_add_nc_u32_e32 v212, v145, v69
	v_and_b32_e32 v68, v68, v70
	; wave barrier
	s_delay_alu instid0(VALU_DEP_1) | instskip(NEXT) | instid1(VALU_DEP_1)
	v_and_b32_e32 v68, v68, v71
	v_mbcnt_lo_u32_b32 v211, v68, 0
	v_cmp_ne_u32_e64 s15, 0, v68
	s_delay_alu instid0(VALU_DEP_2)
	v_cmp_eq_u32_e32 vcc_lo, 0, v211
	s_and_b32 s16, s15, vcc_lo
	s_wait_alu 0xfffe
	s_and_saveexec_b32 s15, s16
	s_cbranch_execz .LBB1124_164
; %bb.163:                              ;   in Loop: Header=BB1124_96 Depth=2
	s_wait_dscnt 0x0
	v_bcnt_u32_b32 v68, v68, v210
	ds_store_b32 v212, v68 offset:1056
.LBB1124_164:                           ;   in Loop: Header=BB1124_96 Depth=2
	s_wait_alu 0xfffe
	s_or_b32 exec_lo, exec_lo, s15
	; wave barrier
	s_wait_loadcnt_dscnt 0x0
	s_barrier_signal -1
	s_barrier_wait -1
	global_inv scope:SCOPE_SE
	ds_load_2addr_b32 v[74:75], v164 offset1:1
	ds_load_2addr_b32 v[72:73], v165 offset1:1
	;; [unrolled: 1-line block ×4, first 2 shown]
	ds_load_b32 v213, v101 offset:1088
	s_wait_dscnt 0x3
	v_add3_u32 v214, v75, v74, v72
	s_wait_dscnt 0x2
	s_delay_alu instid0(VALU_DEP_1) | instskip(SKIP_1) | instid1(VALU_DEP_1)
	v_add3_u32 v214, v214, v73, v70
	s_wait_dscnt 0x1
	v_add3_u32 v214, v214, v71, v68
	s_wait_dscnt 0x0
	s_delay_alu instid0(VALU_DEP_1) | instskip(NEXT) | instid1(VALU_DEP_1)
	v_add3_u32 v213, v214, v69, v213
	v_mov_b32_dpp v214, v213 row_shr:1 row_mask:0xf bank_mask:0xf
	s_delay_alu instid0(VALU_DEP_1) | instskip(NEXT) | instid1(VALU_DEP_1)
	v_cndmask_b32_e64 v214, v214, 0, s6
	v_add_nc_u32_e32 v213, v214, v213
	s_delay_alu instid0(VALU_DEP_1) | instskip(NEXT) | instid1(VALU_DEP_1)
	v_mov_b32_dpp v214, v213 row_shr:2 row_mask:0xf bank_mask:0xf
	v_cndmask_b32_e64 v214, 0, v214, s7
	s_delay_alu instid0(VALU_DEP_1) | instskip(NEXT) | instid1(VALU_DEP_1)
	v_add_nc_u32_e32 v213, v213, v214
	v_mov_b32_dpp v214, v213 row_shr:4 row_mask:0xf bank_mask:0xf
	s_delay_alu instid0(VALU_DEP_1) | instskip(NEXT) | instid1(VALU_DEP_1)
	v_cndmask_b32_e64 v214, 0, v214, s8
	v_add_nc_u32_e32 v213, v213, v214
	s_delay_alu instid0(VALU_DEP_1) | instskip(NEXT) | instid1(VALU_DEP_1)
	v_mov_b32_dpp v214, v213 row_shr:8 row_mask:0xf bank_mask:0xf
	v_cndmask_b32_e64 v214, 0, v214, s9
	s_delay_alu instid0(VALU_DEP_1) | instskip(SKIP_3) | instid1(VALU_DEP_1)
	v_add_nc_u32_e32 v213, v213, v214
	ds_swizzle_b32 v214, v213 offset:swizzle(BROADCAST,32,15)
	s_wait_dscnt 0x0
	v_cndmask_b32_e64 v214, v214, 0, s10
	v_add_nc_u32_e32 v213, v213, v214
	s_and_saveexec_b32 s15, s3
; %bb.165:                              ;   in Loop: Header=BB1124_96 Depth=2
	ds_store_b32 v95, v213 offset:1024
; %bb.166:                              ;   in Loop: Header=BB1124_96 Depth=2
	s_wait_alu 0xfffe
	s_or_b32 exec_lo, exec_lo, s15
	s_wait_loadcnt_dscnt 0x0
	s_barrier_signal -1
	s_barrier_wait -1
	global_inv scope:SCOPE_SE
	s_and_saveexec_b32 s15, s4
	s_cbranch_execz .LBB1124_168
; %bb.167:                              ;   in Loop: Header=BB1124_96 Depth=2
	ds_load_b32 v214, v103 offset:1024
	s_wait_dscnt 0x0
	v_mov_b32_dpp v215, v214 row_shr:1 row_mask:0xf bank_mask:0xf
	s_delay_alu instid0(VALU_DEP_1) | instskip(NEXT) | instid1(VALU_DEP_1)
	v_cndmask_b32_e64 v215, v215, 0, s12
	v_add_nc_u32_e32 v214, v215, v214
	s_delay_alu instid0(VALU_DEP_1) | instskip(NEXT) | instid1(VALU_DEP_1)
	v_mov_b32_dpp v215, v214 row_shr:2 row_mask:0xf bank_mask:0xf
	v_cndmask_b32_e64 v215, 0, v215, s13
	s_delay_alu instid0(VALU_DEP_1) | instskip(NEXT) | instid1(VALU_DEP_1)
	v_add_nc_u32_e32 v214, v214, v215
	v_mov_b32_dpp v215, v214 row_shr:4 row_mask:0xf bank_mask:0xf
	s_delay_alu instid0(VALU_DEP_1) | instskip(NEXT) | instid1(VALU_DEP_1)
	v_cndmask_b32_e64 v215, 0, v215, s14
	v_add_nc_u32_e32 v214, v214, v215
	ds_store_b32 v103, v214 offset:1024
.LBB1124_168:                           ;   in Loop: Header=BB1124_96 Depth=2
	s_wait_alu 0xfffe
	s_or_b32 exec_lo, exec_lo, s15
	v_mov_b32_e32 v214, 0
	s_wait_loadcnt_dscnt 0x0
	s_barrier_signal -1
	s_barrier_wait -1
	global_inv scope:SCOPE_SE
	s_and_saveexec_b32 s15, s5
; %bb.169:                              ;   in Loop: Header=BB1124_96 Depth=2
	ds_load_b32 v214, v95 offset:1020
; %bb.170:                              ;   in Loop: Header=BB1124_96 Depth=2
	s_wait_alu 0xfffe
	s_or_b32 exec_lo, exec_lo, s15
	s_wait_dscnt 0x0
	v_add_nc_u32_e32 v213, v214, v213
	ds_bpermute_b32 v213, v124, v213
	s_wait_dscnt 0x0
	v_cndmask_b32_e64 v213, v213, v214, s11
	s_delay_alu instid0(VALU_DEP_1) | instskip(NEXT) | instid1(VALU_DEP_1)
	v_cndmask_b32_e64 v213, v213, 0, s0
	v_add_nc_u32_e32 v74, v213, v74
	s_delay_alu instid0(VALU_DEP_1) | instskip(NEXT) | instid1(VALU_DEP_1)
	v_add_nc_u32_e32 v75, v74, v75
	v_add_nc_u32_e32 v72, v75, v72
	s_delay_alu instid0(VALU_DEP_1) | instskip(NEXT) | instid1(VALU_DEP_1)
	v_add_nc_u32_e32 v73, v72, v73
	;; [unrolled: 3-line block ×3, first 2 shown]
	v_add_nc_u32_e32 v68, v71, v68
	s_delay_alu instid0(VALU_DEP_1)
	v_add_nc_u32_e32 v69, v68, v69
	ds_store_2addr_b32 v163, v71, v68 offset1:1
	ds_store_2addr_b32 v164, v213, v74 offset1:1
	;; [unrolled: 1-line block ×4, first 2 shown]
	ds_store_b32 v101, v69 offset:1088
	s_wait_loadcnt_dscnt 0x0
	s_barrier_signal -1
	s_barrier_wait -1
	global_inv scope:SCOPE_SE
	ds_load_b32 v69, v167 offset:1056
	ds_load_b32 v74, v170 offset:1056
	;; [unrolled: 1-line block ×17, first 2 shown]
	v_mov_b32_e32 v68, 0x1000
	s_and_saveexec_b32 s15, s1
; %bb.171:                              ;   in Loop: Header=BB1124_96 Depth=2
	ds_load_b32 v68, v101 offset:1092
; %bb.172:                              ;   in Loop: Header=BB1124_96 Depth=2
	s_wait_alu 0xfffe
	s_or_b32 exec_lo, exec_lo, s15
	s_wait_loadcnt_dscnt 0x0
	s_barrier_signal -1
	s_barrier_wait -1
	global_inv scope:SCOPE_SE
	s_and_saveexec_b32 s15, s2
	s_cbranch_execz .LBB1124_174
; %bb.173:                              ;   in Loop: Header=BB1124_96 Depth=2
	ds_load_b32 v185, v76
	s_wait_dscnt 0x0
	v_sub_nc_u32_e32 v182, v185, v182
	ds_store_b32 v76, v182
.LBB1124_174:                           ;   in Loop: Header=BB1124_96 Depth=2
	s_wait_alu 0xfffe
	s_or_b32 exec_lo, exec_lo, s15
	v_lshlrev_b32_e32 v2, 3, v2
	v_lshlrev_b32_e32 v169, 3, v169
	;; [unrolled: 1-line block ×5, first 2 shown]
	v_lshl_add_u32 v69, v69, 3, v2
	v_lshlrev_b32_e32 v2, 3, v171
	v_lshlrev_b32_e32 v73, 3, v73
	;; [unrolled: 1-line block ×4, first 2 shown]
	ds_store_b64 v69, v[36:37] offset:1024
	v_lshlrev_b32_e32 v36, 3, v72
	v_lshlrev_b32_e32 v37, 3, v178
	;; [unrolled: 1-line block ×7, first 2 shown]
	v_add3_u32 v70, v169, v168, v74
	v_add3_u32 v71, v172, v2, v73
	;; [unrolled: 1-line block ×5, first 2 shown]
	v_lshlrev_b32_e32 v2, 3, v184
	v_lshlrev_b32_e32 v36, 3, v183
	v_lshlrev_b32_e32 v37, 3, v179
	ds_store_b64 v70, v[38:39] offset:1024
	ds_store_b64 v71, v[40:41] offset:1024
	;; [unrolled: 1-line block ×5, first 2 shown]
	v_lshlrev_b32_e32 v39, 3, v187
	v_lshlrev_b32_e32 v40, 3, v186
	;; [unrolled: 1-line block ×12, first 2 shown]
	v_add3_u32 v38, v2, v36, v37
	v_add3_u32 v39, v39, v40, v41
	;; [unrolled: 1-line block ×5, first 2 shown]
	ds_store_b64 v38, v[60:61] offset:1024
	ds_store_b64 v39, v[64:65] offset:1024
	;; [unrolled: 1-line block ×5, first 2 shown]
	v_lshlrev_b32_e32 v2, 3, v199
	v_lshlrev_b32_e32 v36, 3, v198
	;; [unrolled: 1-line block ×15, first 2 shown]
	v_add3_u32 v49, v2, v36, v37
	v_add3_u32 v52, v52, v53, v56
	;; [unrolled: 1-line block ×5, first 2 shown]
	v_cmp_lt_u32_e32 vcc_lo, v1, v162
	ds_store_b64 v49, v[54:55] offset:1024
	ds_store_b64 v52, v[50:51] offset:1024
	;; [unrolled: 1-line block ×5, first 2 shown]
	s_wait_loadcnt_dscnt 0x0
	s_barrier_signal -1
	s_barrier_wait -1
	global_inv scope:SCOPE_SE
	s_and_saveexec_b32 s16, vcc_lo
	s_cbranch_execnz .LBB1124_243
; %bb.175:                              ;   in Loop: Header=BB1124_96 Depth=2
	s_wait_alu 0xfffe
	s_or_b32 exec_lo, exec_lo, s16
	v_cmp_lt_u32_e64 s15, v77, v162
	s_and_saveexec_b32 s17, s15
	s_cbranch_execnz .LBB1124_244
.LBB1124_176:                           ;   in Loop: Header=BB1124_96 Depth=2
	s_wait_alu 0xfffe
	s_or_b32 exec_lo, exec_lo, s17
	v_cmp_lt_u32_e64 s16, v78, v162
	s_and_saveexec_b32 s18, s16
	s_cbranch_execnz .LBB1124_245
.LBB1124_177:                           ;   in Loop: Header=BB1124_96 Depth=2
	s_wait_alu 0xfffe
	s_or_b32 exec_lo, exec_lo, s18
	v_cmp_lt_u32_e64 s17, v79, v162
	s_and_saveexec_b32 s19, s17
	s_cbranch_execnz .LBB1124_246
.LBB1124_178:                           ;   in Loop: Header=BB1124_96 Depth=2
	s_wait_alu 0xfffe
	s_or_b32 exec_lo, exec_lo, s19
	v_cmp_lt_u32_e64 s18, v82, v162
	s_and_saveexec_b32 s20, s18
	s_cbranch_execnz .LBB1124_247
.LBB1124_179:                           ;   in Loop: Header=BB1124_96 Depth=2
	s_wait_alu 0xfffe
	s_or_b32 exec_lo, exec_lo, s20
	v_cmp_lt_u32_e64 s19, v83, v162
	s_and_saveexec_b32 s21, s19
	s_cbranch_execnz .LBB1124_248
.LBB1124_180:                           ;   in Loop: Header=BB1124_96 Depth=2
	s_wait_alu 0xfffe
	s_or_b32 exec_lo, exec_lo, s21
	v_cmp_lt_u32_e64 s20, v84, v162
	s_and_saveexec_b32 s22, s20
	s_cbranch_execnz .LBB1124_249
.LBB1124_181:                           ;   in Loop: Header=BB1124_96 Depth=2
	s_wait_alu 0xfffe
	s_or_b32 exec_lo, exec_lo, s22
	v_cmp_lt_u32_e64 s21, v85, v162
	s_and_saveexec_b32 s23, s21
	s_cbranch_execnz .LBB1124_250
.LBB1124_182:                           ;   in Loop: Header=BB1124_96 Depth=2
	s_wait_alu 0xfffe
	s_or_b32 exec_lo, exec_lo, s23
	v_cmp_lt_u32_e64 s22, v86, v162
	s_and_saveexec_b32 s24, s22
	s_cbranch_execnz .LBB1124_251
.LBB1124_183:                           ;   in Loop: Header=BB1124_96 Depth=2
	s_wait_alu 0xfffe
	s_or_b32 exec_lo, exec_lo, s24
	v_cmp_lt_u32_e64 s23, v87, v162
	s_and_saveexec_b32 s25, s23
	s_cbranch_execnz .LBB1124_252
.LBB1124_184:                           ;   in Loop: Header=BB1124_96 Depth=2
	s_wait_alu 0xfffe
	s_or_b32 exec_lo, exec_lo, s25
	v_cmp_lt_u32_e64 s24, v88, v162
	s_and_saveexec_b32 s26, s24
	s_cbranch_execnz .LBB1124_253
.LBB1124_185:                           ;   in Loop: Header=BB1124_96 Depth=2
	s_wait_alu 0xfffe
	s_or_b32 exec_lo, exec_lo, s26
	v_cmp_lt_u32_e64 s25, v89, v162
	s_and_saveexec_b32 s27, s25
	s_cbranch_execnz .LBB1124_254
.LBB1124_186:                           ;   in Loop: Header=BB1124_96 Depth=2
	s_wait_alu 0xfffe
	s_or_b32 exec_lo, exec_lo, s27
	v_cmp_lt_u32_e64 s26, v90, v162
	s_and_saveexec_b32 s28, s26
	s_cbranch_execnz .LBB1124_255
.LBB1124_187:                           ;   in Loop: Header=BB1124_96 Depth=2
	s_wait_alu 0xfffe
	s_or_b32 exec_lo, exec_lo, s28
	v_cmp_lt_u32_e64 s27, v91, v162
	s_and_saveexec_b32 s29, s27
	s_cbranch_execnz .LBB1124_256
.LBB1124_188:                           ;   in Loop: Header=BB1124_96 Depth=2
	s_wait_alu 0xfffe
	s_or_b32 exec_lo, exec_lo, s29
	v_cmp_lt_u32_e64 s28, v92, v162
	s_and_saveexec_b32 s30, s28
	s_cbranch_execnz .LBB1124_257
.LBB1124_189:                           ;   in Loop: Header=BB1124_96 Depth=2
	s_wait_alu 0xfffe
	s_or_b32 exec_lo, exec_lo, s30
	v_cmp_lt_u32_e64 s29, v93, v162
	s_and_saveexec_b32 s43, s29
	s_cbranch_execz .LBB1124_191
.LBB1124_190:                           ;   in Loop: Header=BB1124_96 Depth=2
	ds_load_b64 v[36:37], v108 offset:31744
	s_wait_dscnt 0x0
	v_cmp_ne_u64_e64 s30, s[34:35], v[36:37]
	s_wait_alu 0xf1ff
	s_delay_alu instid0(VALU_DEP_1) | instskip(SKIP_2) | instid1(VALU_DEP_2)
	v_cndmask_b32_e64 v43, 0x7fffffff, v37, s30
	v_cndmask_b32_e64 v42, -1, v36, s30
	v_cmp_gt_i64_e64 s30, 0, v[36:37]
	v_lshrrev_b64 v[42:43], s48, v[42:43]
	s_wait_alu 0xf1ff
	s_delay_alu instid0(VALU_DEP_2) | instskip(NEXT) | instid1(VALU_DEP_2)
	v_cndmask_b32_e64 v44, 0x7fffffff, 0, s30
	v_and_b32_e32 v2, s57, v42
	v_ashrrev_i32_e32 v42, 31, v37
	s_delay_alu instid0(VALU_DEP_3) | instskip(NEXT) | instid1(VALU_DEP_3)
	v_xor_b32_e32 v37, v44, v37
	v_lshlrev_b32_e32 v2, 2, v2
	s_delay_alu instid0(VALU_DEP_3) | instskip(SKIP_4) | instid1(VALU_DEP_1)
	v_not_b32_e32 v45, v42
	ds_load_b32 v2, v2
	v_xor_b32_e32 v36, v45, v36
	s_wait_dscnt 0x0
	v_add_nc_u32_e32 v2, v2, v93
	v_lshlrev_b64_e32 v[42:43], 3, v[2:3]
	s_delay_alu instid0(VALU_DEP_1) | instskip(SKIP_1) | instid1(VALU_DEP_2)
	v_add_co_u32 v42, s30, s38, v42
	s_wait_alu 0xf1ff
	v_add_co_ci_u32_e64 v43, null, s39, v43, s30
	global_store_b64 v[42:43], v[36:37], off
.LBB1124_191:                           ;   in Loop: Header=BB1124_96 Depth=2
	s_wait_alu 0xfffe
	s_or_b32 exec_lo, exec_lo, s43
	s_mov_b32 s43, s34
	s_wait_alu 0xfffe
	s_lshl_b64 s[42:43], s[42:43], 3
	s_wait_alu 0xfffe
	v_add_co_u32 v36, s30, v126, s42
	s_wait_alu 0xf1ff
	v_add_co_ci_u32_e64 v37, null, s43, v127, s30
	v_cmp_lt_u32_e64 s30, v125, v162
	s_and_saveexec_b32 s42, s30
	s_wait_alu 0xfffe
	s_xor_b32 s30, exec_lo, s42
	s_cbranch_execnz .LBB1124_258
; %bb.192:                              ;   in Loop: Header=BB1124_96 Depth=2
	s_wait_alu 0xfffe
	s_or_b32 exec_lo, exec_lo, s30
	s_delay_alu instid0(SALU_CYCLE_1)
	s_mov_b32 s42, exec_lo
	v_cmpx_lt_u32_e64 v128, v162
	s_cbranch_execnz .LBB1124_259
.LBB1124_193:                           ;   in Loop: Header=BB1124_96 Depth=2
	s_wait_alu 0xfffe
	s_or_b32 exec_lo, exec_lo, s42
	s_delay_alu instid0(SALU_CYCLE_1)
	s_mov_b32 s42, exec_lo
	v_cmpx_lt_u32_e64 v129, v162
	s_cbranch_execnz .LBB1124_260
.LBB1124_194:                           ;   in Loop: Header=BB1124_96 Depth=2
	s_wait_alu 0xfffe
	s_or_b32 exec_lo, exec_lo, s42
	s_delay_alu instid0(SALU_CYCLE_1)
	s_mov_b32 s42, exec_lo
	v_cmpx_lt_u32_e64 v130, v162
	s_cbranch_execnz .LBB1124_261
.LBB1124_195:                           ;   in Loop: Header=BB1124_96 Depth=2
	s_wait_alu 0xfffe
	s_or_b32 exec_lo, exec_lo, s42
	s_delay_alu instid0(SALU_CYCLE_1)
	s_mov_b32 s42, exec_lo
	v_cmpx_lt_u32_e64 v131, v162
	s_cbranch_execnz .LBB1124_262
.LBB1124_196:                           ;   in Loop: Header=BB1124_96 Depth=2
	s_wait_alu 0xfffe
	s_or_b32 exec_lo, exec_lo, s42
	s_delay_alu instid0(SALU_CYCLE_1)
	s_mov_b32 s42, exec_lo
	v_cmpx_lt_u32_e64 v132, v162
	s_cbranch_execnz .LBB1124_263
.LBB1124_197:                           ;   in Loop: Header=BB1124_96 Depth=2
	s_wait_alu 0xfffe
	s_or_b32 exec_lo, exec_lo, s42
	s_delay_alu instid0(SALU_CYCLE_1)
	s_mov_b32 s42, exec_lo
	v_cmpx_lt_u32_e64 v133, v162
	s_cbranch_execnz .LBB1124_264
.LBB1124_198:                           ;   in Loop: Header=BB1124_96 Depth=2
	s_wait_alu 0xfffe
	s_or_b32 exec_lo, exec_lo, s42
	s_delay_alu instid0(SALU_CYCLE_1)
	s_mov_b32 s42, exec_lo
	v_cmpx_lt_u32_e64 v134, v162
	s_cbranch_execnz .LBB1124_265
.LBB1124_199:                           ;   in Loop: Header=BB1124_96 Depth=2
	s_wait_alu 0xfffe
	s_or_b32 exec_lo, exec_lo, s42
	s_delay_alu instid0(SALU_CYCLE_1)
	s_mov_b32 s42, exec_lo
	v_cmpx_lt_u32_e64 v135, v162
	s_cbranch_execnz .LBB1124_266
.LBB1124_200:                           ;   in Loop: Header=BB1124_96 Depth=2
	s_wait_alu 0xfffe
	s_or_b32 exec_lo, exec_lo, s42
	s_delay_alu instid0(SALU_CYCLE_1)
	s_mov_b32 s42, exec_lo
	v_cmpx_lt_u32_e64 v136, v162
	s_cbranch_execnz .LBB1124_267
.LBB1124_201:                           ;   in Loop: Header=BB1124_96 Depth=2
	s_wait_alu 0xfffe
	s_or_b32 exec_lo, exec_lo, s42
	s_delay_alu instid0(SALU_CYCLE_1)
	s_mov_b32 s42, exec_lo
	v_cmpx_lt_u32_e64 v137, v162
	s_cbranch_execnz .LBB1124_268
.LBB1124_202:                           ;   in Loop: Header=BB1124_96 Depth=2
	s_wait_alu 0xfffe
	s_or_b32 exec_lo, exec_lo, s42
	s_delay_alu instid0(SALU_CYCLE_1)
	s_mov_b32 s42, exec_lo
	v_cmpx_lt_u32_e64 v138, v162
	s_cbranch_execnz .LBB1124_269
.LBB1124_203:                           ;   in Loop: Header=BB1124_96 Depth=2
	s_wait_alu 0xfffe
	s_or_b32 exec_lo, exec_lo, s42
	s_delay_alu instid0(SALU_CYCLE_1)
	s_mov_b32 s42, exec_lo
	v_cmpx_lt_u32_e64 v139, v162
	s_cbranch_execnz .LBB1124_270
.LBB1124_204:                           ;   in Loop: Header=BB1124_96 Depth=2
	s_wait_alu 0xfffe
	s_or_b32 exec_lo, exec_lo, s42
	s_delay_alu instid0(SALU_CYCLE_1)
	s_mov_b32 s42, exec_lo
	v_cmpx_lt_u32_e64 v140, v162
	s_cbranch_execnz .LBB1124_271
.LBB1124_205:                           ;   in Loop: Header=BB1124_96 Depth=2
	s_wait_alu 0xfffe
	s_or_b32 exec_lo, exec_lo, s42
	s_delay_alu instid0(SALU_CYCLE_1)
	s_mov_b32 s42, exec_lo
	v_cmpx_lt_u32_e64 v141, v162
	s_cbranch_execnz .LBB1124_272
.LBB1124_206:                           ;   in Loop: Header=BB1124_96 Depth=2
	s_wait_alu 0xfffe
	s_or_b32 exec_lo, exec_lo, s42
	s_delay_alu instid0(SALU_CYCLE_1)
	s_mov_b32 s42, exec_lo
	v_cmpx_lt_u32_e64 v142, v162
	s_cbranch_execnz .LBB1124_273
.LBB1124_207:                           ;   in Loop: Header=BB1124_96 Depth=2
	s_wait_alu 0xfffe
	s_or_b32 exec_lo, exec_lo, s42
	s_and_saveexec_b32 s42, vcc_lo
	s_cbranch_execnz .LBB1124_274
.LBB1124_208:                           ;   in Loop: Header=BB1124_96 Depth=2
	s_wait_alu 0xfffe
	s_or_b32 exec_lo, exec_lo, s42
	s_and_saveexec_b32 s42, s15
	s_cbranch_execnz .LBB1124_275
.LBB1124_209:                           ;   in Loop: Header=BB1124_96 Depth=2
	s_wait_alu 0xfffe
	s_or_b32 exec_lo, exec_lo, s42
	s_and_saveexec_b32 s42, s16
	s_cbranch_execnz .LBB1124_276
.LBB1124_210:                           ;   in Loop: Header=BB1124_96 Depth=2
	s_wait_alu 0xfffe
	s_or_b32 exec_lo, exec_lo, s42
	s_and_saveexec_b32 s42, s17
	s_cbranch_execnz .LBB1124_277
.LBB1124_211:                           ;   in Loop: Header=BB1124_96 Depth=2
	s_wait_alu 0xfffe
	s_or_b32 exec_lo, exec_lo, s42
	s_and_saveexec_b32 s42, s18
	s_cbranch_execnz .LBB1124_278
.LBB1124_212:                           ;   in Loop: Header=BB1124_96 Depth=2
	s_wait_alu 0xfffe
	s_or_b32 exec_lo, exec_lo, s42
	s_and_saveexec_b32 s42, s19
	s_cbranch_execnz .LBB1124_279
.LBB1124_213:                           ;   in Loop: Header=BB1124_96 Depth=2
	s_wait_alu 0xfffe
	s_or_b32 exec_lo, exec_lo, s42
	s_and_saveexec_b32 s42, s20
	s_cbranch_execnz .LBB1124_280
.LBB1124_214:                           ;   in Loop: Header=BB1124_96 Depth=2
	s_wait_alu 0xfffe
	s_or_b32 exec_lo, exec_lo, s42
	s_and_saveexec_b32 s42, s21
	s_cbranch_execnz .LBB1124_281
.LBB1124_215:                           ;   in Loop: Header=BB1124_96 Depth=2
	s_wait_alu 0xfffe
	s_or_b32 exec_lo, exec_lo, s42
	s_and_saveexec_b32 s42, s22
	s_cbranch_execnz .LBB1124_282
.LBB1124_216:                           ;   in Loop: Header=BB1124_96 Depth=2
	s_wait_alu 0xfffe
	s_or_b32 exec_lo, exec_lo, s42
	s_and_saveexec_b32 s42, s23
	s_cbranch_execnz .LBB1124_283
.LBB1124_217:                           ;   in Loop: Header=BB1124_96 Depth=2
	s_wait_alu 0xfffe
	s_or_b32 exec_lo, exec_lo, s42
	s_and_saveexec_b32 s42, s24
	s_cbranch_execnz .LBB1124_284
.LBB1124_218:                           ;   in Loop: Header=BB1124_96 Depth=2
	s_wait_alu 0xfffe
	s_or_b32 exec_lo, exec_lo, s42
	s_and_saveexec_b32 s42, s25
	s_cbranch_execnz .LBB1124_285
.LBB1124_219:                           ;   in Loop: Header=BB1124_96 Depth=2
	s_wait_alu 0xfffe
	s_or_b32 exec_lo, exec_lo, s42
	s_and_saveexec_b32 s42, s26
	s_cbranch_execnz .LBB1124_286
.LBB1124_220:                           ;   in Loop: Header=BB1124_96 Depth=2
	s_wait_alu 0xfffe
	s_or_b32 exec_lo, exec_lo, s42
	s_and_saveexec_b32 s42, s27
	s_cbranch_execnz .LBB1124_287
.LBB1124_221:                           ;   in Loop: Header=BB1124_96 Depth=2
	s_wait_alu 0xfffe
	s_or_b32 exec_lo, exec_lo, s42
	s_and_saveexec_b32 s42, s28
	s_cbranch_execnz .LBB1124_288
.LBB1124_222:                           ;   in Loop: Header=BB1124_96 Depth=2
	s_wait_alu 0xfffe
	s_or_b32 exec_lo, exec_lo, s42
	s_and_saveexec_b32 s42, s29
	s_cbranch_execz .LBB1124_224
.LBB1124_223:                           ;   in Loop: Header=BB1124_96 Depth=2
	ds_load_b64 v[36:37], v108 offset:31744
	s_wait_dscnt 0x0
	v_cmp_ne_u64_e64 s30, s[34:35], v[36:37]
	s_wait_alu 0xf1ff
	s_delay_alu instid0(VALU_DEP_1) | instskip(SKIP_1) | instid1(VALU_DEP_1)
	v_cndmask_b32_e64 v37, 0x7fffffff, v37, s30
	v_cndmask_b32_e64 v36, -1, v36, s30
	v_lshrrev_b64 v[36:37], s48, v[36:37]
	s_delay_alu instid0(VALU_DEP_1)
	v_and_b32_e32 v146, s57, v36
.LBB1124_224:                           ;   in Loop: Header=BB1124_96 Depth=2
	s_wait_alu 0xfffe
	s_or_b32 exec_lo, exec_lo, s42
	s_wait_loadcnt 0x0
	s_wait_storecnt 0x0
	s_barrier_signal -1
	s_barrier_wait -1
	global_inv scope:SCOPE_SE
	ds_store_b64 v69, v[34:35] offset:1024
	ds_store_b64 v70, v[32:33] offset:1024
	;; [unrolled: 1-line block ×16, first 2 shown]
	s_wait_loadcnt_dscnt 0x0
	s_barrier_signal -1
	s_barrier_wait -1
	global_inv scope:SCOPE_SE
	s_and_saveexec_b32 s30, vcc_lo
	s_cbranch_execnz .LBB1124_289
; %bb.225:                              ;   in Loop: Header=BB1124_96 Depth=2
	s_wait_alu 0xfffe
	s_or_b32 exec_lo, exec_lo, s30
	s_and_saveexec_b32 s30, s15
	s_cbranch_execnz .LBB1124_290
.LBB1124_226:                           ;   in Loop: Header=BB1124_96 Depth=2
	s_wait_alu 0xfffe
	s_or_b32 exec_lo, exec_lo, s30
	s_and_saveexec_b32 s15, s16
	s_cbranch_execnz .LBB1124_291
.LBB1124_227:                           ;   in Loop: Header=BB1124_96 Depth=2
	s_wait_alu 0xfffe
	s_or_b32 exec_lo, exec_lo, s15
	s_and_saveexec_b32 s15, s17
	s_cbranch_execnz .LBB1124_292
.LBB1124_228:                           ;   in Loop: Header=BB1124_96 Depth=2
	s_wait_alu 0xfffe
	s_or_b32 exec_lo, exec_lo, s15
	s_and_saveexec_b32 s15, s18
	s_cbranch_execnz .LBB1124_293
.LBB1124_229:                           ;   in Loop: Header=BB1124_96 Depth=2
	s_wait_alu 0xfffe
	s_or_b32 exec_lo, exec_lo, s15
	s_and_saveexec_b32 s15, s19
	s_cbranch_execnz .LBB1124_294
.LBB1124_230:                           ;   in Loop: Header=BB1124_96 Depth=2
	s_wait_alu 0xfffe
	s_or_b32 exec_lo, exec_lo, s15
	s_and_saveexec_b32 s15, s20
	s_cbranch_execnz .LBB1124_295
.LBB1124_231:                           ;   in Loop: Header=BB1124_96 Depth=2
	s_wait_alu 0xfffe
	s_or_b32 exec_lo, exec_lo, s15
	s_and_saveexec_b32 s15, s21
	s_cbranch_execnz .LBB1124_296
.LBB1124_232:                           ;   in Loop: Header=BB1124_96 Depth=2
	s_wait_alu 0xfffe
	s_or_b32 exec_lo, exec_lo, s15
	s_and_saveexec_b32 s15, s22
	s_cbranch_execnz .LBB1124_297
.LBB1124_233:                           ;   in Loop: Header=BB1124_96 Depth=2
	s_wait_alu 0xfffe
	s_or_b32 exec_lo, exec_lo, s15
	s_and_saveexec_b32 s15, s23
	s_cbranch_execnz .LBB1124_298
.LBB1124_234:                           ;   in Loop: Header=BB1124_96 Depth=2
	s_wait_alu 0xfffe
	s_or_b32 exec_lo, exec_lo, s15
	s_and_saveexec_b32 s15, s24
	s_cbranch_execnz .LBB1124_299
.LBB1124_235:                           ;   in Loop: Header=BB1124_96 Depth=2
	s_wait_alu 0xfffe
	s_or_b32 exec_lo, exec_lo, s15
	s_and_saveexec_b32 s15, s25
	s_cbranch_execnz .LBB1124_300
.LBB1124_236:                           ;   in Loop: Header=BB1124_96 Depth=2
	s_wait_alu 0xfffe
	s_or_b32 exec_lo, exec_lo, s15
	s_and_saveexec_b32 s15, s26
	s_cbranch_execnz .LBB1124_301
.LBB1124_237:                           ;   in Loop: Header=BB1124_96 Depth=2
	s_wait_alu 0xfffe
	s_or_b32 exec_lo, exec_lo, s15
	s_and_saveexec_b32 s15, s27
	s_cbranch_execnz .LBB1124_302
.LBB1124_238:                           ;   in Loop: Header=BB1124_96 Depth=2
	s_wait_alu 0xfffe
	s_or_b32 exec_lo, exec_lo, s15
	s_and_saveexec_b32 s15, s28
	s_cbranch_execnz .LBB1124_303
.LBB1124_239:                           ;   in Loop: Header=BB1124_96 Depth=2
	s_wait_alu 0xfffe
	s_or_b32 exec_lo, exec_lo, s15
	s_and_saveexec_b32 s15, s29
	s_cbranch_execz .LBB1124_241
.LBB1124_240:                           ;   in Loop: Header=BB1124_96 Depth=2
	v_lshlrev_b32_e32 v2, 2, v146
	ds_load_b32 v2, v2
	ds_load_b64 v[36:37], v108 offset:31744
	s_wait_dscnt 0x1
	v_add_nc_u32_e32 v2, v2, v93
	s_delay_alu instid0(VALU_DEP_1) | instskip(NEXT) | instid1(VALU_DEP_1)
	v_lshlrev_b64_e32 v[38:39], 3, v[2:3]
	v_add_co_u32 v38, vcc_lo, s44, v38
	s_wait_alu 0xfffd
	s_delay_alu instid0(VALU_DEP_2)
	v_add_co_ci_u32_e64 v39, null, s45, v39, vcc_lo
	s_wait_dscnt 0x0
	global_store_b64 v[38:39], v[36:37], off
.LBB1124_241:                           ;   in Loop: Header=BB1124_96 Depth=2
	s_wait_alu 0xfffe
	s_or_b32 exec_lo, exec_lo, s15
	s_wait_loadcnt 0x0
	s_wait_storecnt 0x0
	s_barrier_signal -1
	s_barrier_wait -1
	global_inv scope:SCOPE_SE
	s_and_saveexec_b32 s15, s2
	s_cbranch_execz .LBB1124_95
; %bb.242:                              ;   in Loop: Header=BB1124_96 Depth=2
	ds_load_b32 v2, v76
	s_wait_dscnt 0x0
	v_add_nc_u32_e32 v2, v2, v68
	ds_store_b32 v76, v2
	s_branch .LBB1124_95
.LBB1124_243:                           ;   in Loop: Header=BB1124_96 Depth=2
	ds_load_b64 v[36:37], v108 offset:1024
	s_wait_dscnt 0x0
	v_cmp_ne_u64_e64 s15, s[34:35], v[36:37]
	s_wait_alu 0xf1ff
	s_delay_alu instid0(VALU_DEP_1) | instskip(SKIP_2) | instid1(VALU_DEP_2)
	v_cndmask_b32_e64 v43, 0x7fffffff, v37, s15
	v_cndmask_b32_e64 v42, -1, v36, s15
	v_cmp_gt_i64_e64 s15, 0, v[36:37]
	v_lshrrev_b64 v[42:43], s48, v[42:43]
	s_wait_alu 0xf1ff
	s_delay_alu instid0(VALU_DEP_2) | instskip(NEXT) | instid1(VALU_DEP_2)
	v_cndmask_b32_e64 v44, 0x7fffffff, 0, s15
	v_and_b32_e32 v2, s57, v42
	v_ashrrev_i32_e32 v42, 31, v37
	s_delay_alu instid0(VALU_DEP_3) | instskip(NEXT) | instid1(VALU_DEP_3)
	v_xor_b32_e32 v37, v44, v37
	v_lshlrev_b32_e32 v2, 2, v2
	s_delay_alu instid0(VALU_DEP_3) | instskip(SKIP_4) | instid1(VALU_DEP_1)
	v_not_b32_e32 v45, v42
	ds_load_b32 v2, v2
	v_xor_b32_e32 v36, v45, v36
	s_wait_dscnt 0x0
	v_add_nc_u32_e32 v2, v2, v1
	v_lshlrev_b64_e32 v[42:43], 3, v[2:3]
	s_delay_alu instid0(VALU_DEP_1) | instskip(SKIP_1) | instid1(VALU_DEP_2)
	v_add_co_u32 v42, s15, s38, v42
	s_wait_alu 0xf1ff
	v_add_co_ci_u32_e64 v43, null, s39, v43, s15
	global_store_b64 v[42:43], v[36:37], off
	s_wait_alu 0xfffe
	s_or_b32 exec_lo, exec_lo, s16
	v_cmp_lt_u32_e64 s15, v77, v162
	s_and_saveexec_b32 s17, s15
	s_cbranch_execz .LBB1124_176
.LBB1124_244:                           ;   in Loop: Header=BB1124_96 Depth=2
	ds_load_b64 v[36:37], v108 offset:3072
	s_wait_dscnt 0x0
	v_cmp_ne_u64_e64 s16, s[34:35], v[36:37]
	s_wait_alu 0xf1ff
	s_delay_alu instid0(VALU_DEP_1) | instskip(SKIP_2) | instid1(VALU_DEP_2)
	v_cndmask_b32_e64 v43, 0x7fffffff, v37, s16
	v_cndmask_b32_e64 v42, -1, v36, s16
	v_cmp_gt_i64_e64 s16, 0, v[36:37]
	v_lshrrev_b64 v[42:43], s48, v[42:43]
	s_wait_alu 0xf1ff
	s_delay_alu instid0(VALU_DEP_2) | instskip(NEXT) | instid1(VALU_DEP_2)
	v_cndmask_b32_e64 v44, 0x7fffffff, 0, s16
	v_and_b32_e32 v2, s57, v42
	v_ashrrev_i32_e32 v42, 31, v37
	s_delay_alu instid0(VALU_DEP_3) | instskip(NEXT) | instid1(VALU_DEP_3)
	v_xor_b32_e32 v37, v44, v37
	v_lshlrev_b32_e32 v2, 2, v2
	s_delay_alu instid0(VALU_DEP_3) | instskip(SKIP_4) | instid1(VALU_DEP_1)
	v_not_b32_e32 v45, v42
	ds_load_b32 v2, v2
	v_xor_b32_e32 v36, v45, v36
	s_wait_dscnt 0x0
	v_add_nc_u32_e32 v2, v2, v77
	v_lshlrev_b64_e32 v[42:43], 3, v[2:3]
	s_delay_alu instid0(VALU_DEP_1) | instskip(SKIP_1) | instid1(VALU_DEP_2)
	v_add_co_u32 v42, s16, s38, v42
	s_wait_alu 0xf1ff
	v_add_co_ci_u32_e64 v43, null, s39, v43, s16
	global_store_b64 v[42:43], v[36:37], off
	s_wait_alu 0xfffe
	s_or_b32 exec_lo, exec_lo, s17
	v_cmp_lt_u32_e64 s16, v78, v162
	s_and_saveexec_b32 s18, s16
	s_cbranch_execz .LBB1124_177
.LBB1124_245:                           ;   in Loop: Header=BB1124_96 Depth=2
	ds_load_b64 v[36:37], v108 offset:5120
	s_wait_dscnt 0x0
	v_cmp_ne_u64_e64 s17, s[34:35], v[36:37]
	s_wait_alu 0xf1ff
	s_delay_alu instid0(VALU_DEP_1) | instskip(SKIP_2) | instid1(VALU_DEP_2)
	v_cndmask_b32_e64 v43, 0x7fffffff, v37, s17
	v_cndmask_b32_e64 v42, -1, v36, s17
	v_cmp_gt_i64_e64 s17, 0, v[36:37]
	v_lshrrev_b64 v[42:43], s48, v[42:43]
	s_wait_alu 0xf1ff
	s_delay_alu instid0(VALU_DEP_2) | instskip(NEXT) | instid1(VALU_DEP_2)
	v_cndmask_b32_e64 v44, 0x7fffffff, 0, s17
	v_and_b32_e32 v2, s57, v42
	v_ashrrev_i32_e32 v42, 31, v37
	s_delay_alu instid0(VALU_DEP_3) | instskip(NEXT) | instid1(VALU_DEP_3)
	v_xor_b32_e32 v37, v44, v37
	v_lshlrev_b32_e32 v2, 2, v2
	s_delay_alu instid0(VALU_DEP_3) | instskip(SKIP_4) | instid1(VALU_DEP_1)
	v_not_b32_e32 v45, v42
	ds_load_b32 v2, v2
	v_xor_b32_e32 v36, v45, v36
	s_wait_dscnt 0x0
	v_add_nc_u32_e32 v2, v2, v78
	v_lshlrev_b64_e32 v[42:43], 3, v[2:3]
	s_delay_alu instid0(VALU_DEP_1) | instskip(SKIP_1) | instid1(VALU_DEP_2)
	v_add_co_u32 v42, s17, s38, v42
	s_wait_alu 0xf1ff
	v_add_co_ci_u32_e64 v43, null, s39, v43, s17
	global_store_b64 v[42:43], v[36:37], off
	s_wait_alu 0xfffe
	s_or_b32 exec_lo, exec_lo, s18
	v_cmp_lt_u32_e64 s17, v79, v162
	s_and_saveexec_b32 s19, s17
	s_cbranch_execz .LBB1124_178
.LBB1124_246:                           ;   in Loop: Header=BB1124_96 Depth=2
	ds_load_b64 v[36:37], v108 offset:7168
	s_wait_dscnt 0x0
	v_cmp_ne_u64_e64 s18, s[34:35], v[36:37]
	s_wait_alu 0xf1ff
	s_delay_alu instid0(VALU_DEP_1) | instskip(SKIP_2) | instid1(VALU_DEP_2)
	v_cndmask_b32_e64 v43, 0x7fffffff, v37, s18
	v_cndmask_b32_e64 v42, -1, v36, s18
	v_cmp_gt_i64_e64 s18, 0, v[36:37]
	v_lshrrev_b64 v[42:43], s48, v[42:43]
	s_wait_alu 0xf1ff
	s_delay_alu instid0(VALU_DEP_2) | instskip(NEXT) | instid1(VALU_DEP_2)
	v_cndmask_b32_e64 v44, 0x7fffffff, 0, s18
	v_and_b32_e32 v2, s57, v42
	v_ashrrev_i32_e32 v42, 31, v37
	s_delay_alu instid0(VALU_DEP_3) | instskip(NEXT) | instid1(VALU_DEP_3)
	v_xor_b32_e32 v37, v44, v37
	v_lshlrev_b32_e32 v2, 2, v2
	s_delay_alu instid0(VALU_DEP_3) | instskip(SKIP_4) | instid1(VALU_DEP_1)
	v_not_b32_e32 v45, v42
	ds_load_b32 v2, v2
	v_xor_b32_e32 v36, v45, v36
	s_wait_dscnt 0x0
	v_add_nc_u32_e32 v2, v2, v79
	v_lshlrev_b64_e32 v[42:43], 3, v[2:3]
	s_delay_alu instid0(VALU_DEP_1) | instskip(SKIP_1) | instid1(VALU_DEP_2)
	v_add_co_u32 v42, s18, s38, v42
	s_wait_alu 0xf1ff
	v_add_co_ci_u32_e64 v43, null, s39, v43, s18
	global_store_b64 v[42:43], v[36:37], off
	s_wait_alu 0xfffe
	s_or_b32 exec_lo, exec_lo, s19
	v_cmp_lt_u32_e64 s18, v82, v162
	s_and_saveexec_b32 s20, s18
	s_cbranch_execz .LBB1124_179
.LBB1124_247:                           ;   in Loop: Header=BB1124_96 Depth=2
	ds_load_b64 v[36:37], v108 offset:9216
	s_wait_dscnt 0x0
	v_cmp_ne_u64_e64 s19, s[34:35], v[36:37]
	s_wait_alu 0xf1ff
	s_delay_alu instid0(VALU_DEP_1) | instskip(SKIP_2) | instid1(VALU_DEP_2)
	v_cndmask_b32_e64 v43, 0x7fffffff, v37, s19
	v_cndmask_b32_e64 v42, -1, v36, s19
	v_cmp_gt_i64_e64 s19, 0, v[36:37]
	v_lshrrev_b64 v[42:43], s48, v[42:43]
	s_wait_alu 0xf1ff
	s_delay_alu instid0(VALU_DEP_2) | instskip(NEXT) | instid1(VALU_DEP_2)
	v_cndmask_b32_e64 v44, 0x7fffffff, 0, s19
	v_and_b32_e32 v2, s57, v42
	v_ashrrev_i32_e32 v42, 31, v37
	s_delay_alu instid0(VALU_DEP_3) | instskip(NEXT) | instid1(VALU_DEP_3)
	v_xor_b32_e32 v37, v44, v37
	v_lshlrev_b32_e32 v2, 2, v2
	s_delay_alu instid0(VALU_DEP_3) | instskip(SKIP_4) | instid1(VALU_DEP_1)
	v_not_b32_e32 v45, v42
	ds_load_b32 v2, v2
	v_xor_b32_e32 v36, v45, v36
	s_wait_dscnt 0x0
	v_add_nc_u32_e32 v2, v2, v82
	v_lshlrev_b64_e32 v[42:43], 3, v[2:3]
	s_delay_alu instid0(VALU_DEP_1) | instskip(SKIP_1) | instid1(VALU_DEP_2)
	v_add_co_u32 v42, s19, s38, v42
	s_wait_alu 0xf1ff
	v_add_co_ci_u32_e64 v43, null, s39, v43, s19
	global_store_b64 v[42:43], v[36:37], off
	s_wait_alu 0xfffe
	s_or_b32 exec_lo, exec_lo, s20
	v_cmp_lt_u32_e64 s19, v83, v162
	s_and_saveexec_b32 s21, s19
	s_cbranch_execz .LBB1124_180
.LBB1124_248:                           ;   in Loop: Header=BB1124_96 Depth=2
	ds_load_b64 v[36:37], v108 offset:11264
	s_wait_dscnt 0x0
	v_cmp_ne_u64_e64 s20, s[34:35], v[36:37]
	s_wait_alu 0xf1ff
	s_delay_alu instid0(VALU_DEP_1) | instskip(SKIP_2) | instid1(VALU_DEP_2)
	v_cndmask_b32_e64 v43, 0x7fffffff, v37, s20
	v_cndmask_b32_e64 v42, -1, v36, s20
	v_cmp_gt_i64_e64 s20, 0, v[36:37]
	v_lshrrev_b64 v[42:43], s48, v[42:43]
	s_wait_alu 0xf1ff
	s_delay_alu instid0(VALU_DEP_2) | instskip(NEXT) | instid1(VALU_DEP_2)
	v_cndmask_b32_e64 v44, 0x7fffffff, 0, s20
	v_and_b32_e32 v2, s57, v42
	v_ashrrev_i32_e32 v42, 31, v37
	s_delay_alu instid0(VALU_DEP_3) | instskip(NEXT) | instid1(VALU_DEP_3)
	v_xor_b32_e32 v37, v44, v37
	v_lshlrev_b32_e32 v2, 2, v2
	s_delay_alu instid0(VALU_DEP_3) | instskip(SKIP_4) | instid1(VALU_DEP_1)
	v_not_b32_e32 v45, v42
	ds_load_b32 v2, v2
	v_xor_b32_e32 v36, v45, v36
	s_wait_dscnt 0x0
	v_add_nc_u32_e32 v2, v2, v83
	v_lshlrev_b64_e32 v[42:43], 3, v[2:3]
	s_delay_alu instid0(VALU_DEP_1) | instskip(SKIP_1) | instid1(VALU_DEP_2)
	v_add_co_u32 v42, s20, s38, v42
	s_wait_alu 0xf1ff
	v_add_co_ci_u32_e64 v43, null, s39, v43, s20
	global_store_b64 v[42:43], v[36:37], off
	s_wait_alu 0xfffe
	s_or_b32 exec_lo, exec_lo, s21
	v_cmp_lt_u32_e64 s20, v84, v162
	s_and_saveexec_b32 s22, s20
	s_cbranch_execz .LBB1124_181
.LBB1124_249:                           ;   in Loop: Header=BB1124_96 Depth=2
	ds_load_b64 v[36:37], v108 offset:13312
	s_wait_dscnt 0x0
	v_cmp_ne_u64_e64 s21, s[34:35], v[36:37]
	s_wait_alu 0xf1ff
	s_delay_alu instid0(VALU_DEP_1) | instskip(SKIP_2) | instid1(VALU_DEP_2)
	v_cndmask_b32_e64 v43, 0x7fffffff, v37, s21
	v_cndmask_b32_e64 v42, -1, v36, s21
	v_cmp_gt_i64_e64 s21, 0, v[36:37]
	v_lshrrev_b64 v[42:43], s48, v[42:43]
	s_wait_alu 0xf1ff
	s_delay_alu instid0(VALU_DEP_2) | instskip(NEXT) | instid1(VALU_DEP_2)
	v_cndmask_b32_e64 v44, 0x7fffffff, 0, s21
	v_and_b32_e32 v2, s57, v42
	v_ashrrev_i32_e32 v42, 31, v37
	s_delay_alu instid0(VALU_DEP_3) | instskip(NEXT) | instid1(VALU_DEP_3)
	v_xor_b32_e32 v37, v44, v37
	v_lshlrev_b32_e32 v2, 2, v2
	s_delay_alu instid0(VALU_DEP_3) | instskip(SKIP_4) | instid1(VALU_DEP_1)
	v_not_b32_e32 v45, v42
	ds_load_b32 v2, v2
	v_xor_b32_e32 v36, v45, v36
	s_wait_dscnt 0x0
	v_add_nc_u32_e32 v2, v2, v84
	v_lshlrev_b64_e32 v[42:43], 3, v[2:3]
	s_delay_alu instid0(VALU_DEP_1) | instskip(SKIP_1) | instid1(VALU_DEP_2)
	v_add_co_u32 v42, s21, s38, v42
	s_wait_alu 0xf1ff
	v_add_co_ci_u32_e64 v43, null, s39, v43, s21
	global_store_b64 v[42:43], v[36:37], off
	s_wait_alu 0xfffe
	s_or_b32 exec_lo, exec_lo, s22
	v_cmp_lt_u32_e64 s21, v85, v162
	s_and_saveexec_b32 s23, s21
	s_cbranch_execz .LBB1124_182
.LBB1124_250:                           ;   in Loop: Header=BB1124_96 Depth=2
	ds_load_b64 v[36:37], v108 offset:15360
	s_wait_dscnt 0x0
	v_cmp_ne_u64_e64 s22, s[34:35], v[36:37]
	s_wait_alu 0xf1ff
	s_delay_alu instid0(VALU_DEP_1) | instskip(SKIP_2) | instid1(VALU_DEP_2)
	v_cndmask_b32_e64 v43, 0x7fffffff, v37, s22
	v_cndmask_b32_e64 v42, -1, v36, s22
	v_cmp_gt_i64_e64 s22, 0, v[36:37]
	v_lshrrev_b64 v[42:43], s48, v[42:43]
	s_wait_alu 0xf1ff
	s_delay_alu instid0(VALU_DEP_2) | instskip(NEXT) | instid1(VALU_DEP_2)
	v_cndmask_b32_e64 v44, 0x7fffffff, 0, s22
	v_and_b32_e32 v2, s57, v42
	v_ashrrev_i32_e32 v42, 31, v37
	s_delay_alu instid0(VALU_DEP_3) | instskip(NEXT) | instid1(VALU_DEP_3)
	v_xor_b32_e32 v37, v44, v37
	v_lshlrev_b32_e32 v2, 2, v2
	s_delay_alu instid0(VALU_DEP_3) | instskip(SKIP_4) | instid1(VALU_DEP_1)
	v_not_b32_e32 v45, v42
	ds_load_b32 v2, v2
	v_xor_b32_e32 v36, v45, v36
	s_wait_dscnt 0x0
	v_add_nc_u32_e32 v2, v2, v85
	v_lshlrev_b64_e32 v[42:43], 3, v[2:3]
	s_delay_alu instid0(VALU_DEP_1) | instskip(SKIP_1) | instid1(VALU_DEP_2)
	v_add_co_u32 v42, s22, s38, v42
	s_wait_alu 0xf1ff
	v_add_co_ci_u32_e64 v43, null, s39, v43, s22
	global_store_b64 v[42:43], v[36:37], off
	s_wait_alu 0xfffe
	s_or_b32 exec_lo, exec_lo, s23
	v_cmp_lt_u32_e64 s22, v86, v162
	s_and_saveexec_b32 s24, s22
	s_cbranch_execz .LBB1124_183
.LBB1124_251:                           ;   in Loop: Header=BB1124_96 Depth=2
	ds_load_b64 v[36:37], v108 offset:17408
	s_wait_dscnt 0x0
	v_cmp_ne_u64_e64 s23, s[34:35], v[36:37]
	s_wait_alu 0xf1ff
	s_delay_alu instid0(VALU_DEP_1) | instskip(SKIP_2) | instid1(VALU_DEP_2)
	v_cndmask_b32_e64 v43, 0x7fffffff, v37, s23
	v_cndmask_b32_e64 v42, -1, v36, s23
	v_cmp_gt_i64_e64 s23, 0, v[36:37]
	v_lshrrev_b64 v[42:43], s48, v[42:43]
	s_wait_alu 0xf1ff
	s_delay_alu instid0(VALU_DEP_2) | instskip(NEXT) | instid1(VALU_DEP_2)
	v_cndmask_b32_e64 v44, 0x7fffffff, 0, s23
	v_and_b32_e32 v2, s57, v42
	v_ashrrev_i32_e32 v42, 31, v37
	s_delay_alu instid0(VALU_DEP_3) | instskip(NEXT) | instid1(VALU_DEP_3)
	v_xor_b32_e32 v37, v44, v37
	v_lshlrev_b32_e32 v2, 2, v2
	s_delay_alu instid0(VALU_DEP_3) | instskip(SKIP_4) | instid1(VALU_DEP_1)
	v_not_b32_e32 v45, v42
	ds_load_b32 v2, v2
	v_xor_b32_e32 v36, v45, v36
	s_wait_dscnt 0x0
	v_add_nc_u32_e32 v2, v2, v86
	v_lshlrev_b64_e32 v[42:43], 3, v[2:3]
	s_delay_alu instid0(VALU_DEP_1) | instskip(SKIP_1) | instid1(VALU_DEP_2)
	v_add_co_u32 v42, s23, s38, v42
	s_wait_alu 0xf1ff
	v_add_co_ci_u32_e64 v43, null, s39, v43, s23
	global_store_b64 v[42:43], v[36:37], off
	s_wait_alu 0xfffe
	s_or_b32 exec_lo, exec_lo, s24
	v_cmp_lt_u32_e64 s23, v87, v162
	s_and_saveexec_b32 s25, s23
	s_cbranch_execz .LBB1124_184
.LBB1124_252:                           ;   in Loop: Header=BB1124_96 Depth=2
	ds_load_b64 v[36:37], v108 offset:19456
	s_wait_dscnt 0x0
	v_cmp_ne_u64_e64 s24, s[34:35], v[36:37]
	s_wait_alu 0xf1ff
	s_delay_alu instid0(VALU_DEP_1) | instskip(SKIP_2) | instid1(VALU_DEP_2)
	v_cndmask_b32_e64 v43, 0x7fffffff, v37, s24
	v_cndmask_b32_e64 v42, -1, v36, s24
	v_cmp_gt_i64_e64 s24, 0, v[36:37]
	v_lshrrev_b64 v[42:43], s48, v[42:43]
	s_wait_alu 0xf1ff
	s_delay_alu instid0(VALU_DEP_2) | instskip(NEXT) | instid1(VALU_DEP_2)
	v_cndmask_b32_e64 v44, 0x7fffffff, 0, s24
	v_and_b32_e32 v2, s57, v42
	v_ashrrev_i32_e32 v42, 31, v37
	s_delay_alu instid0(VALU_DEP_3) | instskip(NEXT) | instid1(VALU_DEP_3)
	v_xor_b32_e32 v37, v44, v37
	v_lshlrev_b32_e32 v2, 2, v2
	s_delay_alu instid0(VALU_DEP_3) | instskip(SKIP_4) | instid1(VALU_DEP_1)
	v_not_b32_e32 v45, v42
	ds_load_b32 v2, v2
	v_xor_b32_e32 v36, v45, v36
	s_wait_dscnt 0x0
	v_add_nc_u32_e32 v2, v2, v87
	v_lshlrev_b64_e32 v[42:43], 3, v[2:3]
	s_delay_alu instid0(VALU_DEP_1) | instskip(SKIP_1) | instid1(VALU_DEP_2)
	v_add_co_u32 v42, s24, s38, v42
	s_wait_alu 0xf1ff
	v_add_co_ci_u32_e64 v43, null, s39, v43, s24
	global_store_b64 v[42:43], v[36:37], off
	s_wait_alu 0xfffe
	s_or_b32 exec_lo, exec_lo, s25
	v_cmp_lt_u32_e64 s24, v88, v162
	s_and_saveexec_b32 s26, s24
	s_cbranch_execz .LBB1124_185
.LBB1124_253:                           ;   in Loop: Header=BB1124_96 Depth=2
	ds_load_b64 v[36:37], v108 offset:21504
	s_wait_dscnt 0x0
	v_cmp_ne_u64_e64 s25, s[34:35], v[36:37]
	s_wait_alu 0xf1ff
	s_delay_alu instid0(VALU_DEP_1) | instskip(SKIP_2) | instid1(VALU_DEP_2)
	v_cndmask_b32_e64 v43, 0x7fffffff, v37, s25
	v_cndmask_b32_e64 v42, -1, v36, s25
	v_cmp_gt_i64_e64 s25, 0, v[36:37]
	v_lshrrev_b64 v[42:43], s48, v[42:43]
	s_wait_alu 0xf1ff
	s_delay_alu instid0(VALU_DEP_2) | instskip(NEXT) | instid1(VALU_DEP_2)
	v_cndmask_b32_e64 v44, 0x7fffffff, 0, s25
	v_and_b32_e32 v2, s57, v42
	v_ashrrev_i32_e32 v42, 31, v37
	s_delay_alu instid0(VALU_DEP_3) | instskip(NEXT) | instid1(VALU_DEP_3)
	v_xor_b32_e32 v37, v44, v37
	v_lshlrev_b32_e32 v2, 2, v2
	s_delay_alu instid0(VALU_DEP_3) | instskip(SKIP_4) | instid1(VALU_DEP_1)
	v_not_b32_e32 v45, v42
	ds_load_b32 v2, v2
	v_xor_b32_e32 v36, v45, v36
	s_wait_dscnt 0x0
	v_add_nc_u32_e32 v2, v2, v88
	v_lshlrev_b64_e32 v[42:43], 3, v[2:3]
	s_delay_alu instid0(VALU_DEP_1) | instskip(SKIP_1) | instid1(VALU_DEP_2)
	v_add_co_u32 v42, s25, s38, v42
	s_wait_alu 0xf1ff
	v_add_co_ci_u32_e64 v43, null, s39, v43, s25
	global_store_b64 v[42:43], v[36:37], off
	s_wait_alu 0xfffe
	s_or_b32 exec_lo, exec_lo, s26
	v_cmp_lt_u32_e64 s25, v89, v162
	s_and_saveexec_b32 s27, s25
	s_cbranch_execz .LBB1124_186
.LBB1124_254:                           ;   in Loop: Header=BB1124_96 Depth=2
	ds_load_b64 v[36:37], v108 offset:23552
	s_wait_dscnt 0x0
	v_cmp_ne_u64_e64 s26, s[34:35], v[36:37]
	s_wait_alu 0xf1ff
	s_delay_alu instid0(VALU_DEP_1) | instskip(SKIP_2) | instid1(VALU_DEP_2)
	v_cndmask_b32_e64 v43, 0x7fffffff, v37, s26
	v_cndmask_b32_e64 v42, -1, v36, s26
	v_cmp_gt_i64_e64 s26, 0, v[36:37]
	v_lshrrev_b64 v[42:43], s48, v[42:43]
	s_wait_alu 0xf1ff
	s_delay_alu instid0(VALU_DEP_2) | instskip(NEXT) | instid1(VALU_DEP_2)
	v_cndmask_b32_e64 v44, 0x7fffffff, 0, s26
	v_and_b32_e32 v2, s57, v42
	v_ashrrev_i32_e32 v42, 31, v37
	s_delay_alu instid0(VALU_DEP_3) | instskip(NEXT) | instid1(VALU_DEP_3)
	v_xor_b32_e32 v37, v44, v37
	v_lshlrev_b32_e32 v2, 2, v2
	s_delay_alu instid0(VALU_DEP_3) | instskip(SKIP_4) | instid1(VALU_DEP_1)
	v_not_b32_e32 v45, v42
	ds_load_b32 v2, v2
	v_xor_b32_e32 v36, v45, v36
	s_wait_dscnt 0x0
	v_add_nc_u32_e32 v2, v2, v89
	v_lshlrev_b64_e32 v[42:43], 3, v[2:3]
	s_delay_alu instid0(VALU_DEP_1) | instskip(SKIP_1) | instid1(VALU_DEP_2)
	v_add_co_u32 v42, s26, s38, v42
	s_wait_alu 0xf1ff
	v_add_co_ci_u32_e64 v43, null, s39, v43, s26
	global_store_b64 v[42:43], v[36:37], off
	s_wait_alu 0xfffe
	s_or_b32 exec_lo, exec_lo, s27
	v_cmp_lt_u32_e64 s26, v90, v162
	s_and_saveexec_b32 s28, s26
	s_cbranch_execz .LBB1124_187
.LBB1124_255:                           ;   in Loop: Header=BB1124_96 Depth=2
	ds_load_b64 v[36:37], v108 offset:25600
	s_wait_dscnt 0x0
	v_cmp_ne_u64_e64 s27, s[34:35], v[36:37]
	s_wait_alu 0xf1ff
	s_delay_alu instid0(VALU_DEP_1) | instskip(SKIP_2) | instid1(VALU_DEP_2)
	v_cndmask_b32_e64 v43, 0x7fffffff, v37, s27
	v_cndmask_b32_e64 v42, -1, v36, s27
	v_cmp_gt_i64_e64 s27, 0, v[36:37]
	v_lshrrev_b64 v[42:43], s48, v[42:43]
	s_wait_alu 0xf1ff
	s_delay_alu instid0(VALU_DEP_2) | instskip(NEXT) | instid1(VALU_DEP_2)
	v_cndmask_b32_e64 v44, 0x7fffffff, 0, s27
	v_and_b32_e32 v2, s57, v42
	v_ashrrev_i32_e32 v42, 31, v37
	s_delay_alu instid0(VALU_DEP_3) | instskip(NEXT) | instid1(VALU_DEP_3)
	v_xor_b32_e32 v37, v44, v37
	v_lshlrev_b32_e32 v2, 2, v2
	s_delay_alu instid0(VALU_DEP_3) | instskip(SKIP_4) | instid1(VALU_DEP_1)
	v_not_b32_e32 v45, v42
	ds_load_b32 v2, v2
	v_xor_b32_e32 v36, v45, v36
	s_wait_dscnt 0x0
	v_add_nc_u32_e32 v2, v2, v90
	v_lshlrev_b64_e32 v[42:43], 3, v[2:3]
	s_delay_alu instid0(VALU_DEP_1) | instskip(SKIP_1) | instid1(VALU_DEP_2)
	v_add_co_u32 v42, s27, s38, v42
	s_wait_alu 0xf1ff
	v_add_co_ci_u32_e64 v43, null, s39, v43, s27
	global_store_b64 v[42:43], v[36:37], off
	s_wait_alu 0xfffe
	s_or_b32 exec_lo, exec_lo, s28
	v_cmp_lt_u32_e64 s27, v91, v162
	s_and_saveexec_b32 s29, s27
	s_cbranch_execz .LBB1124_188
.LBB1124_256:                           ;   in Loop: Header=BB1124_96 Depth=2
	ds_load_b64 v[36:37], v108 offset:27648
	s_wait_dscnt 0x0
	v_cmp_ne_u64_e64 s28, s[34:35], v[36:37]
	s_wait_alu 0xf1ff
	s_delay_alu instid0(VALU_DEP_1) | instskip(SKIP_2) | instid1(VALU_DEP_2)
	v_cndmask_b32_e64 v43, 0x7fffffff, v37, s28
	v_cndmask_b32_e64 v42, -1, v36, s28
	v_cmp_gt_i64_e64 s28, 0, v[36:37]
	v_lshrrev_b64 v[42:43], s48, v[42:43]
	s_wait_alu 0xf1ff
	s_delay_alu instid0(VALU_DEP_2) | instskip(NEXT) | instid1(VALU_DEP_2)
	v_cndmask_b32_e64 v44, 0x7fffffff, 0, s28
	v_and_b32_e32 v2, s57, v42
	v_ashrrev_i32_e32 v42, 31, v37
	s_delay_alu instid0(VALU_DEP_3) | instskip(NEXT) | instid1(VALU_DEP_3)
	v_xor_b32_e32 v37, v44, v37
	v_lshlrev_b32_e32 v2, 2, v2
	s_delay_alu instid0(VALU_DEP_3) | instskip(SKIP_4) | instid1(VALU_DEP_1)
	v_not_b32_e32 v45, v42
	ds_load_b32 v2, v2
	v_xor_b32_e32 v36, v45, v36
	s_wait_dscnt 0x0
	v_add_nc_u32_e32 v2, v2, v91
	v_lshlrev_b64_e32 v[42:43], 3, v[2:3]
	s_delay_alu instid0(VALU_DEP_1) | instskip(SKIP_1) | instid1(VALU_DEP_2)
	v_add_co_u32 v42, s28, s38, v42
	s_wait_alu 0xf1ff
	v_add_co_ci_u32_e64 v43, null, s39, v43, s28
	global_store_b64 v[42:43], v[36:37], off
	s_wait_alu 0xfffe
	s_or_b32 exec_lo, exec_lo, s29
	v_cmp_lt_u32_e64 s28, v92, v162
	s_and_saveexec_b32 s30, s28
	s_cbranch_execz .LBB1124_189
.LBB1124_257:                           ;   in Loop: Header=BB1124_96 Depth=2
	ds_load_b64 v[36:37], v108 offset:29696
	s_wait_dscnt 0x0
	v_cmp_ne_u64_e64 s29, s[34:35], v[36:37]
	s_wait_alu 0xf1ff
	s_delay_alu instid0(VALU_DEP_1) | instskip(SKIP_2) | instid1(VALU_DEP_2)
	v_cndmask_b32_e64 v43, 0x7fffffff, v37, s29
	v_cndmask_b32_e64 v42, -1, v36, s29
	v_cmp_gt_i64_e64 s29, 0, v[36:37]
	v_lshrrev_b64 v[42:43], s48, v[42:43]
	s_wait_alu 0xf1ff
	s_delay_alu instid0(VALU_DEP_2) | instskip(NEXT) | instid1(VALU_DEP_2)
	v_cndmask_b32_e64 v44, 0x7fffffff, 0, s29
	v_and_b32_e32 v2, s57, v42
	v_ashrrev_i32_e32 v42, 31, v37
	s_delay_alu instid0(VALU_DEP_3) | instskip(NEXT) | instid1(VALU_DEP_3)
	v_xor_b32_e32 v37, v44, v37
	v_lshlrev_b32_e32 v2, 2, v2
	s_delay_alu instid0(VALU_DEP_3) | instskip(SKIP_4) | instid1(VALU_DEP_1)
	v_not_b32_e32 v45, v42
	ds_load_b32 v2, v2
	v_xor_b32_e32 v36, v45, v36
	s_wait_dscnt 0x0
	v_add_nc_u32_e32 v2, v2, v92
	v_lshlrev_b64_e32 v[42:43], 3, v[2:3]
	s_delay_alu instid0(VALU_DEP_1) | instskip(SKIP_1) | instid1(VALU_DEP_2)
	v_add_co_u32 v42, s29, s38, v42
	s_wait_alu 0xf1ff
	v_add_co_ci_u32_e64 v43, null, s39, v43, s29
	global_store_b64 v[42:43], v[36:37], off
	s_wait_alu 0xfffe
	s_or_b32 exec_lo, exec_lo, s30
	v_cmp_lt_u32_e64 s29, v93, v162
	s_and_saveexec_b32 s43, s29
	s_cbranch_execnz .LBB1124_190
	s_branch .LBB1124_191
.LBB1124_258:                           ;   in Loop: Header=BB1124_96 Depth=2
	global_load_b64 v[34:35], v[36:37], off
	s_wait_alu 0xfffe
	s_or_b32 exec_lo, exec_lo, s30
	s_delay_alu instid0(SALU_CYCLE_1)
	s_mov_b32 s42, exec_lo
	v_cmpx_lt_u32_e64 v128, v162
	s_cbranch_execz .LBB1124_193
.LBB1124_259:                           ;   in Loop: Header=BB1124_96 Depth=2
	global_load_b64 v[32:33], v[36:37], off offset:256
	s_wait_alu 0xfffe
	s_or_b32 exec_lo, exec_lo, s42
	s_delay_alu instid0(SALU_CYCLE_1)
	s_mov_b32 s42, exec_lo
	v_cmpx_lt_u32_e64 v129, v162
	s_cbranch_execz .LBB1124_194
.LBB1124_260:                           ;   in Loop: Header=BB1124_96 Depth=2
	global_load_b64 v[30:31], v[36:37], off offset:512
	s_wait_alu 0xfffe
	s_or_b32 exec_lo, exec_lo, s42
	s_delay_alu instid0(SALU_CYCLE_1)
	s_mov_b32 s42, exec_lo
	v_cmpx_lt_u32_e64 v130, v162
	s_cbranch_execz .LBB1124_195
.LBB1124_261:                           ;   in Loop: Header=BB1124_96 Depth=2
	global_load_b64 v[28:29], v[36:37], off offset:768
	s_wait_alu 0xfffe
	s_or_b32 exec_lo, exec_lo, s42
	s_delay_alu instid0(SALU_CYCLE_1)
	s_mov_b32 s42, exec_lo
	v_cmpx_lt_u32_e64 v131, v162
	s_cbranch_execz .LBB1124_196
.LBB1124_262:                           ;   in Loop: Header=BB1124_96 Depth=2
	global_load_b64 v[26:27], v[36:37], off offset:1024
	s_wait_alu 0xfffe
	s_or_b32 exec_lo, exec_lo, s42
	s_delay_alu instid0(SALU_CYCLE_1)
	s_mov_b32 s42, exec_lo
	v_cmpx_lt_u32_e64 v132, v162
	s_cbranch_execz .LBB1124_197
.LBB1124_263:                           ;   in Loop: Header=BB1124_96 Depth=2
	global_load_b64 v[24:25], v[36:37], off offset:1280
	s_wait_alu 0xfffe
	s_or_b32 exec_lo, exec_lo, s42
	s_delay_alu instid0(SALU_CYCLE_1)
	s_mov_b32 s42, exec_lo
	v_cmpx_lt_u32_e64 v133, v162
	s_cbranch_execz .LBB1124_198
.LBB1124_264:                           ;   in Loop: Header=BB1124_96 Depth=2
	global_load_b64 v[22:23], v[36:37], off offset:1536
	s_wait_alu 0xfffe
	s_or_b32 exec_lo, exec_lo, s42
	s_delay_alu instid0(SALU_CYCLE_1)
	s_mov_b32 s42, exec_lo
	v_cmpx_lt_u32_e64 v134, v162
	s_cbranch_execz .LBB1124_199
.LBB1124_265:                           ;   in Loop: Header=BB1124_96 Depth=2
	global_load_b64 v[20:21], v[36:37], off offset:1792
	s_wait_alu 0xfffe
	s_or_b32 exec_lo, exec_lo, s42
	s_delay_alu instid0(SALU_CYCLE_1)
	s_mov_b32 s42, exec_lo
	v_cmpx_lt_u32_e64 v135, v162
	s_cbranch_execz .LBB1124_200
.LBB1124_266:                           ;   in Loop: Header=BB1124_96 Depth=2
	global_load_b64 v[18:19], v[36:37], off offset:2048
	s_wait_alu 0xfffe
	s_or_b32 exec_lo, exec_lo, s42
	s_delay_alu instid0(SALU_CYCLE_1)
	s_mov_b32 s42, exec_lo
	v_cmpx_lt_u32_e64 v136, v162
	s_cbranch_execz .LBB1124_201
.LBB1124_267:                           ;   in Loop: Header=BB1124_96 Depth=2
	global_load_b64 v[16:17], v[36:37], off offset:2304
	s_wait_alu 0xfffe
	s_or_b32 exec_lo, exec_lo, s42
	s_delay_alu instid0(SALU_CYCLE_1)
	s_mov_b32 s42, exec_lo
	v_cmpx_lt_u32_e64 v137, v162
	s_cbranch_execz .LBB1124_202
.LBB1124_268:                           ;   in Loop: Header=BB1124_96 Depth=2
	global_load_b64 v[14:15], v[36:37], off offset:2560
	s_wait_alu 0xfffe
	s_or_b32 exec_lo, exec_lo, s42
	s_delay_alu instid0(SALU_CYCLE_1)
	s_mov_b32 s42, exec_lo
	v_cmpx_lt_u32_e64 v138, v162
	s_cbranch_execz .LBB1124_203
.LBB1124_269:                           ;   in Loop: Header=BB1124_96 Depth=2
	global_load_b64 v[12:13], v[36:37], off offset:2816
	s_wait_alu 0xfffe
	s_or_b32 exec_lo, exec_lo, s42
	s_delay_alu instid0(SALU_CYCLE_1)
	s_mov_b32 s42, exec_lo
	v_cmpx_lt_u32_e64 v139, v162
	s_cbranch_execz .LBB1124_204
.LBB1124_270:                           ;   in Loop: Header=BB1124_96 Depth=2
	global_load_b64 v[10:11], v[36:37], off offset:3072
	s_wait_alu 0xfffe
	s_or_b32 exec_lo, exec_lo, s42
	s_delay_alu instid0(SALU_CYCLE_1)
	s_mov_b32 s42, exec_lo
	v_cmpx_lt_u32_e64 v140, v162
	s_cbranch_execz .LBB1124_205
.LBB1124_271:                           ;   in Loop: Header=BB1124_96 Depth=2
	global_load_b64 v[8:9], v[36:37], off offset:3328
	s_wait_alu 0xfffe
	s_or_b32 exec_lo, exec_lo, s42
	s_delay_alu instid0(SALU_CYCLE_1)
	s_mov_b32 s42, exec_lo
	v_cmpx_lt_u32_e64 v141, v162
	s_cbranch_execz .LBB1124_206
.LBB1124_272:                           ;   in Loop: Header=BB1124_96 Depth=2
	global_load_b64 v[6:7], v[36:37], off offset:3584
	s_wait_alu 0xfffe
	s_or_b32 exec_lo, exec_lo, s42
	s_delay_alu instid0(SALU_CYCLE_1)
	s_mov_b32 s42, exec_lo
	v_cmpx_lt_u32_e64 v142, v162
	s_cbranch_execz .LBB1124_207
.LBB1124_273:                           ;   in Loop: Header=BB1124_96 Depth=2
	global_load_b64 v[4:5], v[36:37], off offset:3840
	s_wait_alu 0xfffe
	s_or_b32 exec_lo, exec_lo, s42
	s_and_saveexec_b32 s42, vcc_lo
	s_cbranch_execz .LBB1124_208
.LBB1124_274:                           ;   in Loop: Header=BB1124_96 Depth=2
	ds_load_b64 v[36:37], v108 offset:1024
	s_wait_dscnt 0x0
	v_cmp_ne_u64_e64 s30, s[34:35], v[36:37]
	s_wait_alu 0xf1ff
	s_delay_alu instid0(VALU_DEP_1) | instskip(SKIP_1) | instid1(VALU_DEP_1)
	v_cndmask_b32_e64 v37, 0x7fffffff, v37, s30
	v_cndmask_b32_e64 v36, -1, v36, s30
	v_lshrrev_b64 v[36:37], s48, v[36:37]
	s_delay_alu instid0(VALU_DEP_1)
	v_and_b32_e32 v161, s57, v36
	s_wait_alu 0xfffe
	s_or_b32 exec_lo, exec_lo, s42
	s_and_saveexec_b32 s42, s15
	s_cbranch_execz .LBB1124_209
.LBB1124_275:                           ;   in Loop: Header=BB1124_96 Depth=2
	ds_load_b64 v[36:37], v108 offset:3072
	s_wait_dscnt 0x0
	v_cmp_ne_u64_e64 s30, s[34:35], v[36:37]
	s_wait_alu 0xf1ff
	s_delay_alu instid0(VALU_DEP_1) | instskip(SKIP_1) | instid1(VALU_DEP_1)
	v_cndmask_b32_e64 v37, 0x7fffffff, v37, s30
	v_cndmask_b32_e64 v36, -1, v36, s30
	v_lshrrev_b64 v[36:37], s48, v[36:37]
	s_delay_alu instid0(VALU_DEP_1)
	v_and_b32_e32 v160, s57, v36
	s_wait_alu 0xfffe
	s_or_b32 exec_lo, exec_lo, s42
	s_and_saveexec_b32 s42, s16
	s_cbranch_execz .LBB1124_210
.LBB1124_276:                           ;   in Loop: Header=BB1124_96 Depth=2
	ds_load_b64 v[36:37], v108 offset:5120
	s_wait_dscnt 0x0
	v_cmp_ne_u64_e64 s30, s[34:35], v[36:37]
	s_wait_alu 0xf1ff
	s_delay_alu instid0(VALU_DEP_1) | instskip(SKIP_1) | instid1(VALU_DEP_1)
	v_cndmask_b32_e64 v37, 0x7fffffff, v37, s30
	v_cndmask_b32_e64 v36, -1, v36, s30
	v_lshrrev_b64 v[36:37], s48, v[36:37]
	s_delay_alu instid0(VALU_DEP_1)
	v_and_b32_e32 v159, s57, v36
	s_wait_alu 0xfffe
	s_or_b32 exec_lo, exec_lo, s42
	s_and_saveexec_b32 s42, s17
	s_cbranch_execz .LBB1124_211
.LBB1124_277:                           ;   in Loop: Header=BB1124_96 Depth=2
	ds_load_b64 v[36:37], v108 offset:7168
	s_wait_dscnt 0x0
	v_cmp_ne_u64_e64 s30, s[34:35], v[36:37]
	s_wait_alu 0xf1ff
	s_delay_alu instid0(VALU_DEP_1) | instskip(SKIP_1) | instid1(VALU_DEP_1)
	v_cndmask_b32_e64 v37, 0x7fffffff, v37, s30
	v_cndmask_b32_e64 v36, -1, v36, s30
	v_lshrrev_b64 v[36:37], s48, v[36:37]
	s_delay_alu instid0(VALU_DEP_1)
	v_and_b32_e32 v158, s57, v36
	s_wait_alu 0xfffe
	s_or_b32 exec_lo, exec_lo, s42
	s_and_saveexec_b32 s42, s18
	s_cbranch_execz .LBB1124_212
.LBB1124_278:                           ;   in Loop: Header=BB1124_96 Depth=2
	ds_load_b64 v[36:37], v108 offset:9216
	s_wait_dscnt 0x0
	v_cmp_ne_u64_e64 s30, s[34:35], v[36:37]
	s_wait_alu 0xf1ff
	s_delay_alu instid0(VALU_DEP_1) | instskip(SKIP_1) | instid1(VALU_DEP_1)
	v_cndmask_b32_e64 v37, 0x7fffffff, v37, s30
	v_cndmask_b32_e64 v36, -1, v36, s30
	v_lshrrev_b64 v[36:37], s48, v[36:37]
	s_delay_alu instid0(VALU_DEP_1)
	v_and_b32_e32 v157, s57, v36
	s_wait_alu 0xfffe
	s_or_b32 exec_lo, exec_lo, s42
	s_and_saveexec_b32 s42, s19
	s_cbranch_execz .LBB1124_213
.LBB1124_279:                           ;   in Loop: Header=BB1124_96 Depth=2
	ds_load_b64 v[36:37], v108 offset:11264
	s_wait_dscnt 0x0
	v_cmp_ne_u64_e64 s30, s[34:35], v[36:37]
	s_wait_alu 0xf1ff
	s_delay_alu instid0(VALU_DEP_1) | instskip(SKIP_1) | instid1(VALU_DEP_1)
	v_cndmask_b32_e64 v37, 0x7fffffff, v37, s30
	v_cndmask_b32_e64 v36, -1, v36, s30
	v_lshrrev_b64 v[36:37], s48, v[36:37]
	s_delay_alu instid0(VALU_DEP_1)
	v_and_b32_e32 v156, s57, v36
	s_wait_alu 0xfffe
	s_or_b32 exec_lo, exec_lo, s42
	s_and_saveexec_b32 s42, s20
	s_cbranch_execz .LBB1124_214
.LBB1124_280:                           ;   in Loop: Header=BB1124_96 Depth=2
	ds_load_b64 v[36:37], v108 offset:13312
	s_wait_dscnt 0x0
	v_cmp_ne_u64_e64 s30, s[34:35], v[36:37]
	s_wait_alu 0xf1ff
	s_delay_alu instid0(VALU_DEP_1) | instskip(SKIP_1) | instid1(VALU_DEP_1)
	v_cndmask_b32_e64 v37, 0x7fffffff, v37, s30
	v_cndmask_b32_e64 v36, -1, v36, s30
	v_lshrrev_b64 v[36:37], s48, v[36:37]
	s_delay_alu instid0(VALU_DEP_1)
	v_and_b32_e32 v155, s57, v36
	s_wait_alu 0xfffe
	s_or_b32 exec_lo, exec_lo, s42
	s_and_saveexec_b32 s42, s21
	s_cbranch_execz .LBB1124_215
.LBB1124_281:                           ;   in Loop: Header=BB1124_96 Depth=2
	ds_load_b64 v[36:37], v108 offset:15360
	s_wait_dscnt 0x0
	v_cmp_ne_u64_e64 s30, s[34:35], v[36:37]
	s_wait_alu 0xf1ff
	s_delay_alu instid0(VALU_DEP_1) | instskip(SKIP_1) | instid1(VALU_DEP_1)
	v_cndmask_b32_e64 v37, 0x7fffffff, v37, s30
	v_cndmask_b32_e64 v36, -1, v36, s30
	v_lshrrev_b64 v[36:37], s48, v[36:37]
	s_delay_alu instid0(VALU_DEP_1)
	v_and_b32_e32 v154, s57, v36
	s_wait_alu 0xfffe
	s_or_b32 exec_lo, exec_lo, s42
	s_and_saveexec_b32 s42, s22
	s_cbranch_execz .LBB1124_216
.LBB1124_282:                           ;   in Loop: Header=BB1124_96 Depth=2
	ds_load_b64 v[36:37], v108 offset:17408
	s_wait_dscnt 0x0
	v_cmp_ne_u64_e64 s30, s[34:35], v[36:37]
	s_wait_alu 0xf1ff
	s_delay_alu instid0(VALU_DEP_1) | instskip(SKIP_1) | instid1(VALU_DEP_1)
	v_cndmask_b32_e64 v37, 0x7fffffff, v37, s30
	v_cndmask_b32_e64 v36, -1, v36, s30
	v_lshrrev_b64 v[36:37], s48, v[36:37]
	s_delay_alu instid0(VALU_DEP_1)
	v_and_b32_e32 v153, s57, v36
	s_wait_alu 0xfffe
	s_or_b32 exec_lo, exec_lo, s42
	s_and_saveexec_b32 s42, s23
	s_cbranch_execz .LBB1124_217
.LBB1124_283:                           ;   in Loop: Header=BB1124_96 Depth=2
	ds_load_b64 v[36:37], v108 offset:19456
	s_wait_dscnt 0x0
	v_cmp_ne_u64_e64 s30, s[34:35], v[36:37]
	s_wait_alu 0xf1ff
	s_delay_alu instid0(VALU_DEP_1) | instskip(SKIP_1) | instid1(VALU_DEP_1)
	v_cndmask_b32_e64 v37, 0x7fffffff, v37, s30
	v_cndmask_b32_e64 v36, -1, v36, s30
	v_lshrrev_b64 v[36:37], s48, v[36:37]
	s_delay_alu instid0(VALU_DEP_1)
	v_and_b32_e32 v152, s57, v36
	s_wait_alu 0xfffe
	s_or_b32 exec_lo, exec_lo, s42
	s_and_saveexec_b32 s42, s24
	s_cbranch_execz .LBB1124_218
.LBB1124_284:                           ;   in Loop: Header=BB1124_96 Depth=2
	ds_load_b64 v[36:37], v108 offset:21504
	s_wait_dscnt 0x0
	v_cmp_ne_u64_e64 s30, s[34:35], v[36:37]
	s_wait_alu 0xf1ff
	s_delay_alu instid0(VALU_DEP_1) | instskip(SKIP_1) | instid1(VALU_DEP_1)
	v_cndmask_b32_e64 v37, 0x7fffffff, v37, s30
	v_cndmask_b32_e64 v36, -1, v36, s30
	v_lshrrev_b64 v[36:37], s48, v[36:37]
	s_delay_alu instid0(VALU_DEP_1)
	v_and_b32_e32 v151, s57, v36
	s_wait_alu 0xfffe
	s_or_b32 exec_lo, exec_lo, s42
	s_and_saveexec_b32 s42, s25
	s_cbranch_execz .LBB1124_219
.LBB1124_285:                           ;   in Loop: Header=BB1124_96 Depth=2
	ds_load_b64 v[36:37], v108 offset:23552
	s_wait_dscnt 0x0
	v_cmp_ne_u64_e64 s30, s[34:35], v[36:37]
	s_wait_alu 0xf1ff
	s_delay_alu instid0(VALU_DEP_1) | instskip(SKIP_1) | instid1(VALU_DEP_1)
	v_cndmask_b32_e64 v37, 0x7fffffff, v37, s30
	v_cndmask_b32_e64 v36, -1, v36, s30
	v_lshrrev_b64 v[36:37], s48, v[36:37]
	s_delay_alu instid0(VALU_DEP_1)
	v_and_b32_e32 v150, s57, v36
	s_wait_alu 0xfffe
	s_or_b32 exec_lo, exec_lo, s42
	s_and_saveexec_b32 s42, s26
	s_cbranch_execz .LBB1124_220
.LBB1124_286:                           ;   in Loop: Header=BB1124_96 Depth=2
	ds_load_b64 v[36:37], v108 offset:25600
	s_wait_dscnt 0x0
	v_cmp_ne_u64_e64 s30, s[34:35], v[36:37]
	s_wait_alu 0xf1ff
	s_delay_alu instid0(VALU_DEP_1) | instskip(SKIP_1) | instid1(VALU_DEP_1)
	v_cndmask_b32_e64 v37, 0x7fffffff, v37, s30
	v_cndmask_b32_e64 v36, -1, v36, s30
	v_lshrrev_b64 v[36:37], s48, v[36:37]
	s_delay_alu instid0(VALU_DEP_1)
	v_and_b32_e32 v149, s57, v36
	s_wait_alu 0xfffe
	s_or_b32 exec_lo, exec_lo, s42
	s_and_saveexec_b32 s42, s27
	s_cbranch_execz .LBB1124_221
.LBB1124_287:                           ;   in Loop: Header=BB1124_96 Depth=2
	ds_load_b64 v[36:37], v108 offset:27648
	s_wait_dscnt 0x0
	v_cmp_ne_u64_e64 s30, s[34:35], v[36:37]
	s_wait_alu 0xf1ff
	s_delay_alu instid0(VALU_DEP_1) | instskip(SKIP_1) | instid1(VALU_DEP_1)
	v_cndmask_b32_e64 v37, 0x7fffffff, v37, s30
	v_cndmask_b32_e64 v36, -1, v36, s30
	v_lshrrev_b64 v[36:37], s48, v[36:37]
	s_delay_alu instid0(VALU_DEP_1)
	v_and_b32_e32 v148, s57, v36
	s_wait_alu 0xfffe
	s_or_b32 exec_lo, exec_lo, s42
	s_and_saveexec_b32 s42, s28
	s_cbranch_execz .LBB1124_222
.LBB1124_288:                           ;   in Loop: Header=BB1124_96 Depth=2
	ds_load_b64 v[36:37], v108 offset:29696
	s_wait_dscnt 0x0
	v_cmp_ne_u64_e64 s30, s[34:35], v[36:37]
	s_wait_alu 0xf1ff
	s_delay_alu instid0(VALU_DEP_1) | instskip(SKIP_1) | instid1(VALU_DEP_1)
	v_cndmask_b32_e64 v37, 0x7fffffff, v37, s30
	v_cndmask_b32_e64 v36, -1, v36, s30
	v_lshrrev_b64 v[36:37], s48, v[36:37]
	s_delay_alu instid0(VALU_DEP_1)
	v_and_b32_e32 v147, s57, v36
	s_wait_alu 0xfffe
	s_or_b32 exec_lo, exec_lo, s42
	s_and_saveexec_b32 s42, s29
	s_cbranch_execnz .LBB1124_223
	s_branch .LBB1124_224
.LBB1124_289:                           ;   in Loop: Header=BB1124_96 Depth=2
	v_lshlrev_b32_e32 v2, 2, v161
	ds_load_b32 v2, v2
	ds_load_b64 v[36:37], v108 offset:1024
	s_wait_dscnt 0x1
	v_add_nc_u32_e32 v2, v2, v1
	s_delay_alu instid0(VALU_DEP_1) | instskip(NEXT) | instid1(VALU_DEP_1)
	v_lshlrev_b64_e32 v[38:39], 3, v[2:3]
	v_add_co_u32 v38, vcc_lo, s44, v38
	s_wait_alu 0xfffd
	s_delay_alu instid0(VALU_DEP_2)
	v_add_co_ci_u32_e64 v39, null, s45, v39, vcc_lo
	s_wait_dscnt 0x0
	global_store_b64 v[38:39], v[36:37], off
	s_wait_alu 0xfffe
	s_or_b32 exec_lo, exec_lo, s30
	s_and_saveexec_b32 s30, s15
	s_cbranch_execz .LBB1124_226
.LBB1124_290:                           ;   in Loop: Header=BB1124_96 Depth=2
	v_lshlrev_b32_e32 v2, 2, v160
	ds_load_b32 v2, v2
	ds_load_b64 v[36:37], v108 offset:3072
	s_wait_dscnt 0x1
	v_add_nc_u32_e32 v2, v2, v77
	s_delay_alu instid0(VALU_DEP_1) | instskip(NEXT) | instid1(VALU_DEP_1)
	v_lshlrev_b64_e32 v[38:39], 3, v[2:3]
	v_add_co_u32 v38, vcc_lo, s44, v38
	s_wait_alu 0xfffd
	s_delay_alu instid0(VALU_DEP_2)
	v_add_co_ci_u32_e64 v39, null, s45, v39, vcc_lo
	s_wait_dscnt 0x0
	global_store_b64 v[38:39], v[36:37], off
	s_wait_alu 0xfffe
	s_or_b32 exec_lo, exec_lo, s30
	s_and_saveexec_b32 s15, s16
	s_cbranch_execz .LBB1124_227
.LBB1124_291:                           ;   in Loop: Header=BB1124_96 Depth=2
	v_lshlrev_b32_e32 v2, 2, v159
	ds_load_b32 v2, v2
	ds_load_b64 v[36:37], v108 offset:5120
	s_wait_dscnt 0x1
	v_add_nc_u32_e32 v2, v2, v78
	s_delay_alu instid0(VALU_DEP_1) | instskip(NEXT) | instid1(VALU_DEP_1)
	v_lshlrev_b64_e32 v[38:39], 3, v[2:3]
	v_add_co_u32 v38, vcc_lo, s44, v38
	s_wait_alu 0xfffd
	s_delay_alu instid0(VALU_DEP_2)
	v_add_co_ci_u32_e64 v39, null, s45, v39, vcc_lo
	s_wait_dscnt 0x0
	global_store_b64 v[38:39], v[36:37], off
	s_wait_alu 0xfffe
	s_or_b32 exec_lo, exec_lo, s15
	s_and_saveexec_b32 s15, s17
	s_cbranch_execz .LBB1124_228
.LBB1124_292:                           ;   in Loop: Header=BB1124_96 Depth=2
	v_lshlrev_b32_e32 v2, 2, v158
	ds_load_b32 v2, v2
	ds_load_b64 v[36:37], v108 offset:7168
	s_wait_dscnt 0x1
	v_add_nc_u32_e32 v2, v2, v79
	s_delay_alu instid0(VALU_DEP_1) | instskip(NEXT) | instid1(VALU_DEP_1)
	v_lshlrev_b64_e32 v[38:39], 3, v[2:3]
	v_add_co_u32 v38, vcc_lo, s44, v38
	s_wait_alu 0xfffd
	s_delay_alu instid0(VALU_DEP_2)
	v_add_co_ci_u32_e64 v39, null, s45, v39, vcc_lo
	s_wait_dscnt 0x0
	global_store_b64 v[38:39], v[36:37], off
	s_wait_alu 0xfffe
	s_or_b32 exec_lo, exec_lo, s15
	s_and_saveexec_b32 s15, s18
	s_cbranch_execz .LBB1124_229
.LBB1124_293:                           ;   in Loop: Header=BB1124_96 Depth=2
	v_lshlrev_b32_e32 v2, 2, v157
	ds_load_b32 v2, v2
	ds_load_b64 v[36:37], v108 offset:9216
	s_wait_dscnt 0x1
	v_add_nc_u32_e32 v2, v2, v82
	s_delay_alu instid0(VALU_DEP_1) | instskip(NEXT) | instid1(VALU_DEP_1)
	v_lshlrev_b64_e32 v[38:39], 3, v[2:3]
	v_add_co_u32 v38, vcc_lo, s44, v38
	s_wait_alu 0xfffd
	s_delay_alu instid0(VALU_DEP_2)
	v_add_co_ci_u32_e64 v39, null, s45, v39, vcc_lo
	s_wait_dscnt 0x0
	global_store_b64 v[38:39], v[36:37], off
	s_wait_alu 0xfffe
	s_or_b32 exec_lo, exec_lo, s15
	s_and_saveexec_b32 s15, s19
	s_cbranch_execz .LBB1124_230
.LBB1124_294:                           ;   in Loop: Header=BB1124_96 Depth=2
	v_lshlrev_b32_e32 v2, 2, v156
	ds_load_b32 v2, v2
	ds_load_b64 v[36:37], v108 offset:11264
	s_wait_dscnt 0x1
	v_add_nc_u32_e32 v2, v2, v83
	s_delay_alu instid0(VALU_DEP_1) | instskip(NEXT) | instid1(VALU_DEP_1)
	v_lshlrev_b64_e32 v[38:39], 3, v[2:3]
	v_add_co_u32 v38, vcc_lo, s44, v38
	s_wait_alu 0xfffd
	s_delay_alu instid0(VALU_DEP_2)
	v_add_co_ci_u32_e64 v39, null, s45, v39, vcc_lo
	s_wait_dscnt 0x0
	global_store_b64 v[38:39], v[36:37], off
	s_wait_alu 0xfffe
	s_or_b32 exec_lo, exec_lo, s15
	s_and_saveexec_b32 s15, s20
	s_cbranch_execz .LBB1124_231
.LBB1124_295:                           ;   in Loop: Header=BB1124_96 Depth=2
	v_lshlrev_b32_e32 v2, 2, v155
	ds_load_b32 v2, v2
	ds_load_b64 v[36:37], v108 offset:13312
	s_wait_dscnt 0x1
	v_add_nc_u32_e32 v2, v2, v84
	s_delay_alu instid0(VALU_DEP_1) | instskip(NEXT) | instid1(VALU_DEP_1)
	v_lshlrev_b64_e32 v[38:39], 3, v[2:3]
	v_add_co_u32 v38, vcc_lo, s44, v38
	s_wait_alu 0xfffd
	s_delay_alu instid0(VALU_DEP_2)
	v_add_co_ci_u32_e64 v39, null, s45, v39, vcc_lo
	s_wait_dscnt 0x0
	global_store_b64 v[38:39], v[36:37], off
	s_wait_alu 0xfffe
	s_or_b32 exec_lo, exec_lo, s15
	s_and_saveexec_b32 s15, s21
	s_cbranch_execz .LBB1124_232
.LBB1124_296:                           ;   in Loop: Header=BB1124_96 Depth=2
	v_lshlrev_b32_e32 v2, 2, v154
	ds_load_b32 v2, v2
	ds_load_b64 v[36:37], v108 offset:15360
	s_wait_dscnt 0x1
	v_add_nc_u32_e32 v2, v2, v85
	s_delay_alu instid0(VALU_DEP_1) | instskip(NEXT) | instid1(VALU_DEP_1)
	v_lshlrev_b64_e32 v[38:39], 3, v[2:3]
	v_add_co_u32 v38, vcc_lo, s44, v38
	s_wait_alu 0xfffd
	s_delay_alu instid0(VALU_DEP_2)
	v_add_co_ci_u32_e64 v39, null, s45, v39, vcc_lo
	s_wait_dscnt 0x0
	global_store_b64 v[38:39], v[36:37], off
	s_wait_alu 0xfffe
	s_or_b32 exec_lo, exec_lo, s15
	s_and_saveexec_b32 s15, s22
	s_cbranch_execz .LBB1124_233
.LBB1124_297:                           ;   in Loop: Header=BB1124_96 Depth=2
	v_lshlrev_b32_e32 v2, 2, v153
	ds_load_b32 v2, v2
	ds_load_b64 v[36:37], v108 offset:17408
	s_wait_dscnt 0x1
	v_add_nc_u32_e32 v2, v2, v86
	s_delay_alu instid0(VALU_DEP_1) | instskip(NEXT) | instid1(VALU_DEP_1)
	v_lshlrev_b64_e32 v[38:39], 3, v[2:3]
	v_add_co_u32 v38, vcc_lo, s44, v38
	s_wait_alu 0xfffd
	s_delay_alu instid0(VALU_DEP_2)
	v_add_co_ci_u32_e64 v39, null, s45, v39, vcc_lo
	s_wait_dscnt 0x0
	global_store_b64 v[38:39], v[36:37], off
	s_wait_alu 0xfffe
	s_or_b32 exec_lo, exec_lo, s15
	s_and_saveexec_b32 s15, s23
	s_cbranch_execz .LBB1124_234
.LBB1124_298:                           ;   in Loop: Header=BB1124_96 Depth=2
	v_lshlrev_b32_e32 v2, 2, v152
	ds_load_b32 v2, v2
	ds_load_b64 v[36:37], v108 offset:19456
	s_wait_dscnt 0x1
	v_add_nc_u32_e32 v2, v2, v87
	s_delay_alu instid0(VALU_DEP_1) | instskip(NEXT) | instid1(VALU_DEP_1)
	v_lshlrev_b64_e32 v[38:39], 3, v[2:3]
	v_add_co_u32 v38, vcc_lo, s44, v38
	s_wait_alu 0xfffd
	s_delay_alu instid0(VALU_DEP_2)
	v_add_co_ci_u32_e64 v39, null, s45, v39, vcc_lo
	s_wait_dscnt 0x0
	global_store_b64 v[38:39], v[36:37], off
	s_wait_alu 0xfffe
	s_or_b32 exec_lo, exec_lo, s15
	s_and_saveexec_b32 s15, s24
	s_cbranch_execz .LBB1124_235
.LBB1124_299:                           ;   in Loop: Header=BB1124_96 Depth=2
	v_lshlrev_b32_e32 v2, 2, v151
	ds_load_b32 v2, v2
	ds_load_b64 v[36:37], v108 offset:21504
	s_wait_dscnt 0x1
	v_add_nc_u32_e32 v2, v2, v88
	s_delay_alu instid0(VALU_DEP_1) | instskip(NEXT) | instid1(VALU_DEP_1)
	v_lshlrev_b64_e32 v[38:39], 3, v[2:3]
	v_add_co_u32 v38, vcc_lo, s44, v38
	s_wait_alu 0xfffd
	s_delay_alu instid0(VALU_DEP_2)
	v_add_co_ci_u32_e64 v39, null, s45, v39, vcc_lo
	s_wait_dscnt 0x0
	global_store_b64 v[38:39], v[36:37], off
	s_wait_alu 0xfffe
	s_or_b32 exec_lo, exec_lo, s15
	s_and_saveexec_b32 s15, s25
	s_cbranch_execz .LBB1124_236
.LBB1124_300:                           ;   in Loop: Header=BB1124_96 Depth=2
	v_lshlrev_b32_e32 v2, 2, v150
	ds_load_b32 v2, v2
	ds_load_b64 v[36:37], v108 offset:23552
	s_wait_dscnt 0x1
	v_add_nc_u32_e32 v2, v2, v89
	s_delay_alu instid0(VALU_DEP_1) | instskip(NEXT) | instid1(VALU_DEP_1)
	v_lshlrev_b64_e32 v[38:39], 3, v[2:3]
	v_add_co_u32 v38, vcc_lo, s44, v38
	s_wait_alu 0xfffd
	s_delay_alu instid0(VALU_DEP_2)
	v_add_co_ci_u32_e64 v39, null, s45, v39, vcc_lo
	s_wait_dscnt 0x0
	global_store_b64 v[38:39], v[36:37], off
	s_wait_alu 0xfffe
	s_or_b32 exec_lo, exec_lo, s15
	s_and_saveexec_b32 s15, s26
	s_cbranch_execz .LBB1124_237
.LBB1124_301:                           ;   in Loop: Header=BB1124_96 Depth=2
	v_lshlrev_b32_e32 v2, 2, v149
	ds_load_b32 v2, v2
	ds_load_b64 v[36:37], v108 offset:25600
	s_wait_dscnt 0x1
	v_add_nc_u32_e32 v2, v2, v90
	s_delay_alu instid0(VALU_DEP_1) | instskip(NEXT) | instid1(VALU_DEP_1)
	v_lshlrev_b64_e32 v[38:39], 3, v[2:3]
	v_add_co_u32 v38, vcc_lo, s44, v38
	s_wait_alu 0xfffd
	s_delay_alu instid0(VALU_DEP_2)
	v_add_co_ci_u32_e64 v39, null, s45, v39, vcc_lo
	s_wait_dscnt 0x0
	global_store_b64 v[38:39], v[36:37], off
	s_wait_alu 0xfffe
	s_or_b32 exec_lo, exec_lo, s15
	s_and_saveexec_b32 s15, s27
	s_cbranch_execz .LBB1124_238
.LBB1124_302:                           ;   in Loop: Header=BB1124_96 Depth=2
	v_lshlrev_b32_e32 v2, 2, v148
	ds_load_b32 v2, v2
	ds_load_b64 v[36:37], v108 offset:27648
	s_wait_dscnt 0x1
	v_add_nc_u32_e32 v2, v2, v91
	s_delay_alu instid0(VALU_DEP_1) | instskip(NEXT) | instid1(VALU_DEP_1)
	v_lshlrev_b64_e32 v[38:39], 3, v[2:3]
	v_add_co_u32 v38, vcc_lo, s44, v38
	s_wait_alu 0xfffd
	s_delay_alu instid0(VALU_DEP_2)
	v_add_co_ci_u32_e64 v39, null, s45, v39, vcc_lo
	s_wait_dscnt 0x0
	global_store_b64 v[38:39], v[36:37], off
	s_wait_alu 0xfffe
	s_or_b32 exec_lo, exec_lo, s15
	s_and_saveexec_b32 s15, s28
	s_cbranch_execz .LBB1124_239
.LBB1124_303:                           ;   in Loop: Header=BB1124_96 Depth=2
	v_lshlrev_b32_e32 v2, 2, v147
	ds_load_b32 v2, v2
	ds_load_b64 v[36:37], v108 offset:29696
	s_wait_dscnt 0x1
	v_add_nc_u32_e32 v2, v2, v92
	s_delay_alu instid0(VALU_DEP_1) | instskip(NEXT) | instid1(VALU_DEP_1)
	v_lshlrev_b64_e32 v[38:39], 3, v[2:3]
	v_add_co_u32 v38, vcc_lo, s44, v38
	s_wait_alu 0xfffd
	s_delay_alu instid0(VALU_DEP_2)
	v_add_co_ci_u32_e64 v39, null, s45, v39, vcc_lo
	s_wait_dscnt 0x0
	global_store_b64 v[38:39], v[36:37], off
	s_wait_alu 0xfffe
	s_or_b32 exec_lo, exec_lo, s15
	s_and_saveexec_b32 s15, s29
	s_cbranch_execnz .LBB1124_240
	s_branch .LBB1124_241
.LBB1124_304:                           ;   in Loop: Header=BB1124_12 Depth=1
	s_wait_loadcnt_dscnt 0x0
	s_barrier_signal -1
	s_mov_b32 s6, 0
	s_barrier_wait -1
.LBB1124_305:                           ;   in Loop: Header=BB1124_12 Depth=1
	s_wait_alu 0xfffe
	s_and_b32 vcc_lo, exec_lo, s6
	s_wait_alu 0xfffe
	s_cbranch_vccz .LBB1124_597
; %bb.306:                              ;   in Loop: Header=BB1124_12 Depth=1
	s_mov_b32 s8, s55
	s_mov_b32 s6, s33
	s_barrier_signal -1
	s_barrier_wait -1
	global_inv scope:SCOPE_SE
                                        ; implicit-def: $vgpr4_vgpr5
                                        ; implicit-def: $vgpr6_vgpr7
                                        ; implicit-def: $vgpr8_vgpr9
                                        ; implicit-def: $vgpr10_vgpr11
                                        ; implicit-def: $vgpr12_vgpr13
                                        ; implicit-def: $vgpr14_vgpr15
                                        ; implicit-def: $vgpr16_vgpr17
                                        ; implicit-def: $vgpr18_vgpr19
                                        ; implicit-def: $vgpr20_vgpr21
                                        ; implicit-def: $vgpr22_vgpr23
                                        ; implicit-def: $vgpr24_vgpr25
                                        ; implicit-def: $vgpr26_vgpr27
                                        ; implicit-def: $vgpr28_vgpr29
                                        ; implicit-def: $vgpr30_vgpr31
                                        ; implicit-def: $vgpr32_vgpr33
                                        ; implicit-def: $vgpr34_vgpr35
	s_branch .LBB1124_308
.LBB1124_307:                           ;   in Loop: Header=BB1124_308 Depth=2
	s_wait_alu 0xfffe
	s_or_b32 exec_lo, exec_lo, s6
	s_addk_co_i32 s8, 0xf000
	s_cmp_ge_u32 s9, s51
	s_mov_b32 s6, s9
	s_cbranch_scc1 .LBB1124_376
.LBB1124_308:                           ;   Parent Loop BB1124_12 Depth=1
                                        ; =>  This Inner Loop Header: Depth=2
	s_wait_alu 0xfffe
	s_add_co_i32 s9, s6, 0x1000
	s_mov_b32 s7, -1
	s_wait_alu 0xfffe
	s_cmp_gt_u32 s9, s51
                                        ; implicit-def: $vgpr36_vgpr37
                                        ; implicit-def: $vgpr38_vgpr39
                                        ; implicit-def: $vgpr40_vgpr41
                                        ; implicit-def: $vgpr42_vgpr43
                                        ; implicit-def: $vgpr44_vgpr45
                                        ; implicit-def: $vgpr46_vgpr47
                                        ; implicit-def: $vgpr48_vgpr49
                                        ; implicit-def: $vgpr50_vgpr51
                                        ; implicit-def: $vgpr52_vgpr53
                                        ; implicit-def: $vgpr54_vgpr55
                                        ; implicit-def: $vgpr56_vgpr57
                                        ; implicit-def: $vgpr58_vgpr59
                                        ; implicit-def: $vgpr60_vgpr61
                                        ; implicit-def: $vgpr62_vgpr63
                                        ; implicit-def: $vgpr64_vgpr65
                                        ; implicit-def: $vgpr66_vgpr67
	s_cbranch_scc1 .LBB1124_310
; %bb.309:                              ;   in Loop: Header=BB1124_308 Depth=2
	s_mov_b32 s7, s34
	s_wait_alu 0xfffe
	s_lshl_b64 s[10:11], s[6:7], 3
	s_mov_b32 s7, 0
	s_wait_alu 0xfffe
	v_add_co_u32 v66, vcc_lo, v109, s10
	s_wait_alu 0xfffd
	v_add_co_ci_u32_e64 v67, null, s11, v110, vcc_lo
	s_clause 0xf
	global_load_b64 v[36:37], v[66:67], off
	global_load_b64 v[38:39], v[66:67], off offset:2048
	global_load_b64 v[40:41], v[66:67], off offset:4096
	;; [unrolled: 1-line block ×15, first 2 shown]
.LBB1124_310:                           ;   in Loop: Header=BB1124_308 Depth=2
	s_and_not1_b32 vcc_lo, exec_lo, s7
	s_movk_i32 s7, 0x1000
	s_wait_alu 0xfffe
	s_cbranch_vccnz .LBB1124_329
; %bb.311:                              ;   in Loop: Header=BB1124_308 Depth=2
	s_mov_b32 s7, s34
	s_mov_b32 s10, exec_lo
	s_wait_alu 0xfffe
	s_lshl_b64 s[6:7], s[6:7], 3
	s_wait_alu 0xfffe
	s_add_nc_u64 s[6:7], s[38:39], s[6:7]
	v_cmpx_gt_u32_e64 s8, v1
	s_cbranch_execnz .LBB1124_361
; %bb.312:                              ;   in Loop: Header=BB1124_308 Depth=2
	s_or_b32 exec_lo, exec_lo, s10
	s_delay_alu instid0(SALU_CYCLE_1)
	s_mov_b32 s10, exec_lo
	v_cmpx_gt_u32_e64 s8, v77
	s_cbranch_execnz .LBB1124_362
.LBB1124_313:                           ;   in Loop: Header=BB1124_308 Depth=2
	s_wait_alu 0xfffe
	s_or_b32 exec_lo, exec_lo, s10
	s_delay_alu instid0(SALU_CYCLE_1)
	s_mov_b32 s10, exec_lo
	v_cmpx_gt_u32_e64 s8, v78
	s_cbranch_execnz .LBB1124_363
.LBB1124_314:                           ;   in Loop: Header=BB1124_308 Depth=2
	s_wait_alu 0xfffe
	s_or_b32 exec_lo, exec_lo, s10
	s_delay_alu instid0(SALU_CYCLE_1)
	s_mov_b32 s10, exec_lo
	v_cmpx_gt_u32_e64 s8, v79
	s_cbranch_execnz .LBB1124_364
.LBB1124_315:                           ;   in Loop: Header=BB1124_308 Depth=2
	s_wait_alu 0xfffe
	s_or_b32 exec_lo, exec_lo, s10
	s_delay_alu instid0(SALU_CYCLE_1)
	s_mov_b32 s10, exec_lo
	v_cmpx_gt_u32_e64 s8, v82
	s_cbranch_execnz .LBB1124_365
.LBB1124_316:                           ;   in Loop: Header=BB1124_308 Depth=2
	s_wait_alu 0xfffe
	s_or_b32 exec_lo, exec_lo, s10
	s_delay_alu instid0(SALU_CYCLE_1)
	s_mov_b32 s10, exec_lo
	v_cmpx_gt_u32_e64 s8, v83
	s_cbranch_execnz .LBB1124_366
.LBB1124_317:                           ;   in Loop: Header=BB1124_308 Depth=2
	s_wait_alu 0xfffe
	s_or_b32 exec_lo, exec_lo, s10
	s_delay_alu instid0(SALU_CYCLE_1)
	s_mov_b32 s10, exec_lo
	v_cmpx_gt_u32_e64 s8, v84
	s_cbranch_execnz .LBB1124_367
.LBB1124_318:                           ;   in Loop: Header=BB1124_308 Depth=2
	s_wait_alu 0xfffe
	s_or_b32 exec_lo, exec_lo, s10
	s_delay_alu instid0(SALU_CYCLE_1)
	s_mov_b32 s10, exec_lo
	v_cmpx_gt_u32_e64 s8, v85
	s_cbranch_execnz .LBB1124_368
.LBB1124_319:                           ;   in Loop: Header=BB1124_308 Depth=2
	s_wait_alu 0xfffe
	s_or_b32 exec_lo, exec_lo, s10
	s_delay_alu instid0(SALU_CYCLE_1)
	s_mov_b32 s10, exec_lo
	v_cmpx_gt_u32_e64 s8, v86
	s_cbranch_execnz .LBB1124_369
.LBB1124_320:                           ;   in Loop: Header=BB1124_308 Depth=2
	s_wait_alu 0xfffe
	s_or_b32 exec_lo, exec_lo, s10
	s_delay_alu instid0(SALU_CYCLE_1)
	s_mov_b32 s10, exec_lo
	v_cmpx_gt_u32_e64 s8, v87
	s_cbranch_execnz .LBB1124_370
.LBB1124_321:                           ;   in Loop: Header=BB1124_308 Depth=2
	s_wait_alu 0xfffe
	s_or_b32 exec_lo, exec_lo, s10
	s_delay_alu instid0(SALU_CYCLE_1)
	s_mov_b32 s10, exec_lo
	v_cmpx_gt_u32_e64 s8, v88
	s_cbranch_execnz .LBB1124_371
.LBB1124_322:                           ;   in Loop: Header=BB1124_308 Depth=2
	s_wait_alu 0xfffe
	s_or_b32 exec_lo, exec_lo, s10
	s_delay_alu instid0(SALU_CYCLE_1)
	s_mov_b32 s10, exec_lo
	v_cmpx_gt_u32_e64 s8, v89
	s_cbranch_execnz .LBB1124_372
.LBB1124_323:                           ;   in Loop: Header=BB1124_308 Depth=2
	s_wait_alu 0xfffe
	s_or_b32 exec_lo, exec_lo, s10
	s_delay_alu instid0(SALU_CYCLE_1)
	s_mov_b32 s10, exec_lo
	v_cmpx_gt_u32_e64 s8, v90
	s_cbranch_execnz .LBB1124_373
.LBB1124_324:                           ;   in Loop: Header=BB1124_308 Depth=2
	s_wait_alu 0xfffe
	s_or_b32 exec_lo, exec_lo, s10
	s_delay_alu instid0(SALU_CYCLE_1)
	s_mov_b32 s10, exec_lo
	v_cmpx_gt_u32_e64 s8, v91
	s_cbranch_execnz .LBB1124_374
.LBB1124_325:                           ;   in Loop: Header=BB1124_308 Depth=2
	s_wait_alu 0xfffe
	s_or_b32 exec_lo, exec_lo, s10
	s_delay_alu instid0(SALU_CYCLE_1)
	s_mov_b32 s10, exec_lo
	v_cmpx_gt_u32_e64 s8, v92
	s_cbranch_execnz .LBB1124_375
.LBB1124_326:                           ;   in Loop: Header=BB1124_308 Depth=2
	s_wait_alu 0xfffe
	s_or_b32 exec_lo, exec_lo, s10
	s_delay_alu instid0(SALU_CYCLE_1)
	s_mov_b32 s10, exec_lo
	v_cmpx_gt_u32_e64 s8, v93
	s_cbranch_execz .LBB1124_328
.LBB1124_327:                           ;   in Loop: Header=BB1124_308 Depth=2
	global_load_b64 v[4:5], v122, s[6:7] offset:30720
.LBB1124_328:                           ;   in Loop: Header=BB1124_308 Depth=2
	s_wait_alu 0xfffe
	s_or_b32 exec_lo, exec_lo, s10
	s_wait_loadcnt 0x0
	v_dual_mov_b32 v37, v35 :: v_dual_mov_b32 v36, v34
	v_dual_mov_b32 v39, v33 :: v_dual_mov_b32 v38, v32
	;; [unrolled: 1-line block ×16, first 2 shown]
	s_mov_b32 s7, s8
.LBB1124_329:                           ;   in Loop: Header=BB1124_308 Depth=2
	s_wait_loadcnt 0x0
	s_delay_alu instid0(VALU_DEP_1)
	v_dual_mov_b32 v4, v66 :: v_dual_mov_b32 v5, v67
	v_dual_mov_b32 v6, v64 :: v_dual_mov_b32 v7, v65
	v_dual_mov_b32 v8, v62 :: v_dual_mov_b32 v9, v63
	v_dual_mov_b32 v10, v60 :: v_dual_mov_b32 v11, v61
	v_dual_mov_b32 v12, v58 :: v_dual_mov_b32 v13, v59
	v_dual_mov_b32 v14, v56 :: v_dual_mov_b32 v15, v57
	v_dual_mov_b32 v16, v54 :: v_dual_mov_b32 v17, v55
	v_dual_mov_b32 v18, v52 :: v_dual_mov_b32 v19, v53
	v_dual_mov_b32 v20, v50 :: v_dual_mov_b32 v21, v51
	v_dual_mov_b32 v22, v48 :: v_dual_mov_b32 v23, v49
	v_dual_mov_b32 v24, v46 :: v_dual_mov_b32 v25, v47
	v_dual_mov_b32 v26, v44 :: v_dual_mov_b32 v27, v45
	v_dual_mov_b32 v28, v42 :: v_dual_mov_b32 v29, v43
	v_dual_mov_b32 v30, v40 :: v_dual_mov_b32 v31, v41
	v_dual_mov_b32 v32, v38 :: v_dual_mov_b32 v33, v39
	v_dual_mov_b32 v34, v36 :: v_dual_mov_b32 v35, v37
	s_mov_b32 s6, exec_lo
	s_wait_alu 0xfffe
	v_cmpx_gt_u32_e64 s7, v1
	s_cbranch_execnz .LBB1124_345
; %bb.330:                              ;   in Loop: Header=BB1124_308 Depth=2
	s_or_b32 exec_lo, exec_lo, s6
	s_delay_alu instid0(SALU_CYCLE_1)
	s_mov_b32 s6, exec_lo
	v_cmpx_gt_u32_e64 s7, v77
	s_cbranch_execnz .LBB1124_346
.LBB1124_331:                           ;   in Loop: Header=BB1124_308 Depth=2
	s_wait_alu 0xfffe
	s_or_b32 exec_lo, exec_lo, s6
	s_delay_alu instid0(SALU_CYCLE_1)
	s_mov_b32 s6, exec_lo
	v_cmpx_gt_u32_e64 s7, v78
	s_cbranch_execnz .LBB1124_347
.LBB1124_332:                           ;   in Loop: Header=BB1124_308 Depth=2
	s_wait_alu 0xfffe
	s_or_b32 exec_lo, exec_lo, s6
	s_delay_alu instid0(SALU_CYCLE_1)
	s_mov_b32 s6, exec_lo
	v_cmpx_gt_u32_e64 s7, v79
	s_cbranch_execnz .LBB1124_348
.LBB1124_333:                           ;   in Loop: Header=BB1124_308 Depth=2
	s_wait_alu 0xfffe
	s_or_b32 exec_lo, exec_lo, s6
	s_delay_alu instid0(SALU_CYCLE_1)
	s_mov_b32 s6, exec_lo
	v_cmpx_gt_u32_e64 s7, v82
	s_cbranch_execnz .LBB1124_349
.LBB1124_334:                           ;   in Loop: Header=BB1124_308 Depth=2
	s_wait_alu 0xfffe
	s_or_b32 exec_lo, exec_lo, s6
	s_delay_alu instid0(SALU_CYCLE_1)
	s_mov_b32 s6, exec_lo
	v_cmpx_gt_u32_e64 s7, v83
	s_cbranch_execnz .LBB1124_350
.LBB1124_335:                           ;   in Loop: Header=BB1124_308 Depth=2
	s_wait_alu 0xfffe
	s_or_b32 exec_lo, exec_lo, s6
	s_delay_alu instid0(SALU_CYCLE_1)
	s_mov_b32 s6, exec_lo
	v_cmpx_gt_u32_e64 s7, v84
	s_cbranch_execnz .LBB1124_351
.LBB1124_336:                           ;   in Loop: Header=BB1124_308 Depth=2
	s_wait_alu 0xfffe
	s_or_b32 exec_lo, exec_lo, s6
	s_delay_alu instid0(SALU_CYCLE_1)
	s_mov_b32 s6, exec_lo
	v_cmpx_gt_u32_e64 s7, v85
	s_cbranch_execnz .LBB1124_352
.LBB1124_337:                           ;   in Loop: Header=BB1124_308 Depth=2
	s_wait_alu 0xfffe
	s_or_b32 exec_lo, exec_lo, s6
	s_delay_alu instid0(SALU_CYCLE_1)
	s_mov_b32 s6, exec_lo
	v_cmpx_gt_u32_e64 s7, v86
	s_cbranch_execnz .LBB1124_353
.LBB1124_338:                           ;   in Loop: Header=BB1124_308 Depth=2
	s_wait_alu 0xfffe
	s_or_b32 exec_lo, exec_lo, s6
	s_delay_alu instid0(SALU_CYCLE_1)
	s_mov_b32 s6, exec_lo
	v_cmpx_gt_u32_e64 s7, v87
	s_cbranch_execnz .LBB1124_354
.LBB1124_339:                           ;   in Loop: Header=BB1124_308 Depth=2
	s_wait_alu 0xfffe
	s_or_b32 exec_lo, exec_lo, s6
	s_delay_alu instid0(SALU_CYCLE_1)
	s_mov_b32 s6, exec_lo
	v_cmpx_gt_u32_e64 s7, v88
	s_cbranch_execnz .LBB1124_355
.LBB1124_340:                           ;   in Loop: Header=BB1124_308 Depth=2
	s_wait_alu 0xfffe
	s_or_b32 exec_lo, exec_lo, s6
	s_delay_alu instid0(SALU_CYCLE_1)
	s_mov_b32 s6, exec_lo
	v_cmpx_gt_u32_e64 s7, v89
	s_cbranch_execnz .LBB1124_356
.LBB1124_341:                           ;   in Loop: Header=BB1124_308 Depth=2
	s_wait_alu 0xfffe
	s_or_b32 exec_lo, exec_lo, s6
	s_delay_alu instid0(SALU_CYCLE_1)
	s_mov_b32 s6, exec_lo
	v_cmpx_gt_u32_e64 s7, v90
	s_cbranch_execnz .LBB1124_357
.LBB1124_342:                           ;   in Loop: Header=BB1124_308 Depth=2
	s_wait_alu 0xfffe
	s_or_b32 exec_lo, exec_lo, s6
	s_delay_alu instid0(SALU_CYCLE_1)
	s_mov_b32 s6, exec_lo
	v_cmpx_gt_u32_e64 s7, v91
	s_cbranch_execnz .LBB1124_358
.LBB1124_343:                           ;   in Loop: Header=BB1124_308 Depth=2
	s_wait_alu 0xfffe
	s_or_b32 exec_lo, exec_lo, s6
	s_delay_alu instid0(SALU_CYCLE_1)
	s_mov_b32 s6, exec_lo
	v_cmpx_gt_u32_e64 s7, v92
	s_cbranch_execnz .LBB1124_359
.LBB1124_344:                           ;   in Loop: Header=BB1124_308 Depth=2
	s_wait_alu 0xfffe
	s_or_b32 exec_lo, exec_lo, s6
	s_delay_alu instid0(SALU_CYCLE_1)
	s_mov_b32 s6, exec_lo
	v_cmpx_gt_u32_e64 s7, v93
	s_cbranch_execz .LBB1124_307
	s_branch .LBB1124_360
.LBB1124_345:                           ;   in Loop: Header=BB1124_308 Depth=2
	v_cmp_gt_i64_e32 vcc_lo, 0, v[34:35]
	v_ashrrev_i32_e32 v2, 31, v35
	s_delay_alu instid0(VALU_DEP_1) | instskip(SKIP_2) | instid1(VALU_DEP_1)
	v_not_b32_e32 v2, v2
	s_wait_alu 0xfffd
	v_cndmask_b32_e64 v36, 0x7fffffff, 0, vcc_lo
	v_xor_b32_e32 v37, v36, v35
	s_delay_alu instid0(VALU_DEP_3) | instskip(NEXT) | instid1(VALU_DEP_1)
	v_xor_b32_e32 v36, v2, v34
	v_cmp_ne_u64_e32 vcc_lo, s[34:35], v[36:37]
	s_wait_alu 0xfffd
	v_cndmask_b32_e32 v37, 0x7fffffff, v37, vcc_lo
	v_cndmask_b32_e32 v36, -1, v36, vcc_lo
	s_delay_alu instid0(VALU_DEP_1) | instskip(NEXT) | instid1(VALU_DEP_1)
	v_lshrrev_b64 v[36:37], s48, v[36:37]
	v_and_b32_e32 v2, s57, v36
	s_delay_alu instid0(VALU_DEP_1) | instskip(SKIP_2) | instid1(SALU_CYCLE_1)
	v_lshl_or_b32 v2, v2, 4, v94
	ds_add_u32 v2, v121
	s_or_b32 exec_lo, exec_lo, s6
	s_mov_b32 s6, exec_lo
	v_cmpx_gt_u32_e64 s7, v77
	s_cbranch_execz .LBB1124_331
.LBB1124_346:                           ;   in Loop: Header=BB1124_308 Depth=2
	v_cmp_gt_i64_e32 vcc_lo, 0, v[32:33]
	v_ashrrev_i32_e32 v2, 31, v33
	s_delay_alu instid0(VALU_DEP_1) | instskip(SKIP_2) | instid1(VALU_DEP_1)
	v_not_b32_e32 v2, v2
	s_wait_alu 0xfffd
	v_cndmask_b32_e64 v36, 0x7fffffff, 0, vcc_lo
	v_xor_b32_e32 v37, v36, v33
	s_delay_alu instid0(VALU_DEP_3) | instskip(NEXT) | instid1(VALU_DEP_1)
	v_xor_b32_e32 v36, v2, v32
	v_cmp_ne_u64_e32 vcc_lo, s[34:35], v[36:37]
	s_wait_alu 0xfffd
	v_cndmask_b32_e32 v37, 0x7fffffff, v37, vcc_lo
	v_cndmask_b32_e32 v36, -1, v36, vcc_lo
	s_delay_alu instid0(VALU_DEP_1) | instskip(NEXT) | instid1(VALU_DEP_1)
	v_lshrrev_b64 v[36:37], s48, v[36:37]
	v_and_b32_e32 v2, s57, v36
	s_delay_alu instid0(VALU_DEP_1) | instskip(SKIP_3) | instid1(SALU_CYCLE_1)
	v_lshl_or_b32 v2, v2, 4, v94
	ds_add_u32 v2, v121
	s_wait_alu 0xfffe
	s_or_b32 exec_lo, exec_lo, s6
	s_mov_b32 s6, exec_lo
	v_cmpx_gt_u32_e64 s7, v78
	s_cbranch_execz .LBB1124_332
.LBB1124_347:                           ;   in Loop: Header=BB1124_308 Depth=2
	v_cmp_gt_i64_e32 vcc_lo, 0, v[30:31]
	v_ashrrev_i32_e32 v2, 31, v31
	s_delay_alu instid0(VALU_DEP_1) | instskip(SKIP_2) | instid1(VALU_DEP_1)
	v_not_b32_e32 v2, v2
	s_wait_alu 0xfffd
	v_cndmask_b32_e64 v36, 0x7fffffff, 0, vcc_lo
	v_xor_b32_e32 v37, v36, v31
	s_delay_alu instid0(VALU_DEP_3) | instskip(NEXT) | instid1(VALU_DEP_1)
	v_xor_b32_e32 v36, v2, v30
	v_cmp_ne_u64_e32 vcc_lo, s[34:35], v[36:37]
	s_wait_alu 0xfffd
	v_cndmask_b32_e32 v37, 0x7fffffff, v37, vcc_lo
	v_cndmask_b32_e32 v36, -1, v36, vcc_lo
	s_delay_alu instid0(VALU_DEP_1) | instskip(NEXT) | instid1(VALU_DEP_1)
	v_lshrrev_b64 v[36:37], s48, v[36:37]
	v_and_b32_e32 v2, s57, v36
	s_delay_alu instid0(VALU_DEP_1) | instskip(SKIP_3) | instid1(SALU_CYCLE_1)
	v_lshl_or_b32 v2, v2, 4, v94
	ds_add_u32 v2, v121
	s_wait_alu 0xfffe
	s_or_b32 exec_lo, exec_lo, s6
	s_mov_b32 s6, exec_lo
	v_cmpx_gt_u32_e64 s7, v79
	s_cbranch_execz .LBB1124_333
.LBB1124_348:                           ;   in Loop: Header=BB1124_308 Depth=2
	v_cmp_gt_i64_e32 vcc_lo, 0, v[28:29]
	v_ashrrev_i32_e32 v2, 31, v29
	s_delay_alu instid0(VALU_DEP_1) | instskip(SKIP_2) | instid1(VALU_DEP_1)
	v_not_b32_e32 v2, v2
	s_wait_alu 0xfffd
	v_cndmask_b32_e64 v36, 0x7fffffff, 0, vcc_lo
	v_xor_b32_e32 v37, v36, v29
	s_delay_alu instid0(VALU_DEP_3) | instskip(NEXT) | instid1(VALU_DEP_1)
	v_xor_b32_e32 v36, v2, v28
	v_cmp_ne_u64_e32 vcc_lo, s[34:35], v[36:37]
	s_wait_alu 0xfffd
	v_cndmask_b32_e32 v37, 0x7fffffff, v37, vcc_lo
	v_cndmask_b32_e32 v36, -1, v36, vcc_lo
	s_delay_alu instid0(VALU_DEP_1) | instskip(NEXT) | instid1(VALU_DEP_1)
	v_lshrrev_b64 v[36:37], s48, v[36:37]
	v_and_b32_e32 v2, s57, v36
	s_delay_alu instid0(VALU_DEP_1) | instskip(SKIP_3) | instid1(SALU_CYCLE_1)
	v_lshl_or_b32 v2, v2, 4, v94
	ds_add_u32 v2, v121
	s_wait_alu 0xfffe
	s_or_b32 exec_lo, exec_lo, s6
	s_mov_b32 s6, exec_lo
	v_cmpx_gt_u32_e64 s7, v82
	s_cbranch_execz .LBB1124_334
.LBB1124_349:                           ;   in Loop: Header=BB1124_308 Depth=2
	v_cmp_gt_i64_e32 vcc_lo, 0, v[26:27]
	v_ashrrev_i32_e32 v2, 31, v27
	s_delay_alu instid0(VALU_DEP_1) | instskip(SKIP_2) | instid1(VALU_DEP_1)
	v_not_b32_e32 v2, v2
	s_wait_alu 0xfffd
	v_cndmask_b32_e64 v36, 0x7fffffff, 0, vcc_lo
	v_xor_b32_e32 v37, v36, v27
	s_delay_alu instid0(VALU_DEP_3) | instskip(NEXT) | instid1(VALU_DEP_1)
	v_xor_b32_e32 v36, v2, v26
	v_cmp_ne_u64_e32 vcc_lo, s[34:35], v[36:37]
	s_wait_alu 0xfffd
	v_cndmask_b32_e32 v37, 0x7fffffff, v37, vcc_lo
	v_cndmask_b32_e32 v36, -1, v36, vcc_lo
	s_delay_alu instid0(VALU_DEP_1) | instskip(NEXT) | instid1(VALU_DEP_1)
	v_lshrrev_b64 v[36:37], s48, v[36:37]
	v_and_b32_e32 v2, s57, v36
	s_delay_alu instid0(VALU_DEP_1) | instskip(SKIP_3) | instid1(SALU_CYCLE_1)
	v_lshl_or_b32 v2, v2, 4, v94
	ds_add_u32 v2, v121
	s_wait_alu 0xfffe
	s_or_b32 exec_lo, exec_lo, s6
	s_mov_b32 s6, exec_lo
	v_cmpx_gt_u32_e64 s7, v83
	s_cbranch_execz .LBB1124_335
.LBB1124_350:                           ;   in Loop: Header=BB1124_308 Depth=2
	v_cmp_gt_i64_e32 vcc_lo, 0, v[24:25]
	v_ashrrev_i32_e32 v2, 31, v25
	s_delay_alu instid0(VALU_DEP_1) | instskip(SKIP_2) | instid1(VALU_DEP_1)
	v_not_b32_e32 v2, v2
	s_wait_alu 0xfffd
	v_cndmask_b32_e64 v36, 0x7fffffff, 0, vcc_lo
	v_xor_b32_e32 v37, v36, v25
	s_delay_alu instid0(VALU_DEP_3) | instskip(NEXT) | instid1(VALU_DEP_1)
	v_xor_b32_e32 v36, v2, v24
	v_cmp_ne_u64_e32 vcc_lo, s[34:35], v[36:37]
	s_wait_alu 0xfffd
	v_cndmask_b32_e32 v37, 0x7fffffff, v37, vcc_lo
	v_cndmask_b32_e32 v36, -1, v36, vcc_lo
	s_delay_alu instid0(VALU_DEP_1) | instskip(NEXT) | instid1(VALU_DEP_1)
	v_lshrrev_b64 v[36:37], s48, v[36:37]
	v_and_b32_e32 v2, s57, v36
	s_delay_alu instid0(VALU_DEP_1) | instskip(SKIP_3) | instid1(SALU_CYCLE_1)
	v_lshl_or_b32 v2, v2, 4, v94
	ds_add_u32 v2, v121
	s_wait_alu 0xfffe
	s_or_b32 exec_lo, exec_lo, s6
	s_mov_b32 s6, exec_lo
	v_cmpx_gt_u32_e64 s7, v84
	s_cbranch_execz .LBB1124_336
.LBB1124_351:                           ;   in Loop: Header=BB1124_308 Depth=2
	v_cmp_gt_i64_e32 vcc_lo, 0, v[22:23]
	v_ashrrev_i32_e32 v2, 31, v23
	s_delay_alu instid0(VALU_DEP_1) | instskip(SKIP_2) | instid1(VALU_DEP_1)
	v_not_b32_e32 v2, v2
	s_wait_alu 0xfffd
	v_cndmask_b32_e64 v36, 0x7fffffff, 0, vcc_lo
	v_xor_b32_e32 v37, v36, v23
	s_delay_alu instid0(VALU_DEP_3) | instskip(NEXT) | instid1(VALU_DEP_1)
	v_xor_b32_e32 v36, v2, v22
	v_cmp_ne_u64_e32 vcc_lo, s[34:35], v[36:37]
	s_wait_alu 0xfffd
	v_cndmask_b32_e32 v37, 0x7fffffff, v37, vcc_lo
	v_cndmask_b32_e32 v36, -1, v36, vcc_lo
	s_delay_alu instid0(VALU_DEP_1) | instskip(NEXT) | instid1(VALU_DEP_1)
	v_lshrrev_b64 v[36:37], s48, v[36:37]
	v_and_b32_e32 v2, s57, v36
	s_delay_alu instid0(VALU_DEP_1) | instskip(SKIP_3) | instid1(SALU_CYCLE_1)
	v_lshl_or_b32 v2, v2, 4, v94
	ds_add_u32 v2, v121
	s_wait_alu 0xfffe
	s_or_b32 exec_lo, exec_lo, s6
	s_mov_b32 s6, exec_lo
	v_cmpx_gt_u32_e64 s7, v85
	s_cbranch_execz .LBB1124_337
.LBB1124_352:                           ;   in Loop: Header=BB1124_308 Depth=2
	v_cmp_gt_i64_e32 vcc_lo, 0, v[20:21]
	v_ashrrev_i32_e32 v2, 31, v21
	s_delay_alu instid0(VALU_DEP_1) | instskip(SKIP_2) | instid1(VALU_DEP_1)
	v_not_b32_e32 v2, v2
	s_wait_alu 0xfffd
	v_cndmask_b32_e64 v36, 0x7fffffff, 0, vcc_lo
	v_xor_b32_e32 v37, v36, v21
	s_delay_alu instid0(VALU_DEP_3) | instskip(NEXT) | instid1(VALU_DEP_1)
	v_xor_b32_e32 v36, v2, v20
	v_cmp_ne_u64_e32 vcc_lo, s[34:35], v[36:37]
	s_wait_alu 0xfffd
	v_cndmask_b32_e32 v37, 0x7fffffff, v37, vcc_lo
	v_cndmask_b32_e32 v36, -1, v36, vcc_lo
	s_delay_alu instid0(VALU_DEP_1) | instskip(NEXT) | instid1(VALU_DEP_1)
	v_lshrrev_b64 v[36:37], s48, v[36:37]
	v_and_b32_e32 v2, s57, v36
	s_delay_alu instid0(VALU_DEP_1) | instskip(SKIP_3) | instid1(SALU_CYCLE_1)
	v_lshl_or_b32 v2, v2, 4, v94
	ds_add_u32 v2, v121
	s_wait_alu 0xfffe
	s_or_b32 exec_lo, exec_lo, s6
	s_mov_b32 s6, exec_lo
	v_cmpx_gt_u32_e64 s7, v86
	s_cbranch_execz .LBB1124_338
.LBB1124_353:                           ;   in Loop: Header=BB1124_308 Depth=2
	v_cmp_gt_i64_e32 vcc_lo, 0, v[18:19]
	v_ashrrev_i32_e32 v2, 31, v19
	s_delay_alu instid0(VALU_DEP_1) | instskip(SKIP_2) | instid1(VALU_DEP_1)
	v_not_b32_e32 v2, v2
	s_wait_alu 0xfffd
	v_cndmask_b32_e64 v36, 0x7fffffff, 0, vcc_lo
	v_xor_b32_e32 v37, v36, v19
	s_delay_alu instid0(VALU_DEP_3) | instskip(NEXT) | instid1(VALU_DEP_1)
	v_xor_b32_e32 v36, v2, v18
	v_cmp_ne_u64_e32 vcc_lo, s[34:35], v[36:37]
	s_wait_alu 0xfffd
	v_cndmask_b32_e32 v37, 0x7fffffff, v37, vcc_lo
	v_cndmask_b32_e32 v36, -1, v36, vcc_lo
	s_delay_alu instid0(VALU_DEP_1) | instskip(NEXT) | instid1(VALU_DEP_1)
	v_lshrrev_b64 v[36:37], s48, v[36:37]
	v_and_b32_e32 v2, s57, v36
	s_delay_alu instid0(VALU_DEP_1) | instskip(SKIP_3) | instid1(SALU_CYCLE_1)
	v_lshl_or_b32 v2, v2, 4, v94
	ds_add_u32 v2, v121
	s_wait_alu 0xfffe
	s_or_b32 exec_lo, exec_lo, s6
	s_mov_b32 s6, exec_lo
	v_cmpx_gt_u32_e64 s7, v87
	s_cbranch_execz .LBB1124_339
.LBB1124_354:                           ;   in Loop: Header=BB1124_308 Depth=2
	v_cmp_gt_i64_e32 vcc_lo, 0, v[16:17]
	v_ashrrev_i32_e32 v2, 31, v17
	s_delay_alu instid0(VALU_DEP_1) | instskip(SKIP_2) | instid1(VALU_DEP_1)
	v_not_b32_e32 v2, v2
	s_wait_alu 0xfffd
	v_cndmask_b32_e64 v36, 0x7fffffff, 0, vcc_lo
	v_xor_b32_e32 v37, v36, v17
	s_delay_alu instid0(VALU_DEP_3) | instskip(NEXT) | instid1(VALU_DEP_1)
	v_xor_b32_e32 v36, v2, v16
	v_cmp_ne_u64_e32 vcc_lo, s[34:35], v[36:37]
	s_wait_alu 0xfffd
	v_cndmask_b32_e32 v37, 0x7fffffff, v37, vcc_lo
	v_cndmask_b32_e32 v36, -1, v36, vcc_lo
	s_delay_alu instid0(VALU_DEP_1) | instskip(NEXT) | instid1(VALU_DEP_1)
	v_lshrrev_b64 v[36:37], s48, v[36:37]
	v_and_b32_e32 v2, s57, v36
	s_delay_alu instid0(VALU_DEP_1) | instskip(SKIP_3) | instid1(SALU_CYCLE_1)
	v_lshl_or_b32 v2, v2, 4, v94
	ds_add_u32 v2, v121
	s_wait_alu 0xfffe
	s_or_b32 exec_lo, exec_lo, s6
	s_mov_b32 s6, exec_lo
	v_cmpx_gt_u32_e64 s7, v88
	s_cbranch_execz .LBB1124_340
.LBB1124_355:                           ;   in Loop: Header=BB1124_308 Depth=2
	v_cmp_gt_i64_e32 vcc_lo, 0, v[14:15]
	v_ashrrev_i32_e32 v2, 31, v15
	s_delay_alu instid0(VALU_DEP_1) | instskip(SKIP_2) | instid1(VALU_DEP_1)
	v_not_b32_e32 v2, v2
	s_wait_alu 0xfffd
	v_cndmask_b32_e64 v36, 0x7fffffff, 0, vcc_lo
	v_xor_b32_e32 v37, v36, v15
	s_delay_alu instid0(VALU_DEP_3) | instskip(NEXT) | instid1(VALU_DEP_1)
	v_xor_b32_e32 v36, v2, v14
	v_cmp_ne_u64_e32 vcc_lo, s[34:35], v[36:37]
	s_wait_alu 0xfffd
	v_cndmask_b32_e32 v37, 0x7fffffff, v37, vcc_lo
	v_cndmask_b32_e32 v36, -1, v36, vcc_lo
	s_delay_alu instid0(VALU_DEP_1) | instskip(NEXT) | instid1(VALU_DEP_1)
	v_lshrrev_b64 v[36:37], s48, v[36:37]
	v_and_b32_e32 v2, s57, v36
	s_delay_alu instid0(VALU_DEP_1) | instskip(SKIP_3) | instid1(SALU_CYCLE_1)
	v_lshl_or_b32 v2, v2, 4, v94
	ds_add_u32 v2, v121
	s_wait_alu 0xfffe
	s_or_b32 exec_lo, exec_lo, s6
	s_mov_b32 s6, exec_lo
	v_cmpx_gt_u32_e64 s7, v89
	s_cbranch_execz .LBB1124_341
.LBB1124_356:                           ;   in Loop: Header=BB1124_308 Depth=2
	v_cmp_gt_i64_e32 vcc_lo, 0, v[12:13]
	v_ashrrev_i32_e32 v2, 31, v13
	s_delay_alu instid0(VALU_DEP_1) | instskip(SKIP_2) | instid1(VALU_DEP_1)
	v_not_b32_e32 v2, v2
	s_wait_alu 0xfffd
	v_cndmask_b32_e64 v36, 0x7fffffff, 0, vcc_lo
	v_xor_b32_e32 v37, v36, v13
	s_delay_alu instid0(VALU_DEP_3) | instskip(NEXT) | instid1(VALU_DEP_1)
	v_xor_b32_e32 v36, v2, v12
	v_cmp_ne_u64_e32 vcc_lo, s[34:35], v[36:37]
	s_wait_alu 0xfffd
	v_cndmask_b32_e32 v37, 0x7fffffff, v37, vcc_lo
	v_cndmask_b32_e32 v36, -1, v36, vcc_lo
	s_delay_alu instid0(VALU_DEP_1) | instskip(NEXT) | instid1(VALU_DEP_1)
	v_lshrrev_b64 v[36:37], s48, v[36:37]
	v_and_b32_e32 v2, s57, v36
	s_delay_alu instid0(VALU_DEP_1) | instskip(SKIP_3) | instid1(SALU_CYCLE_1)
	v_lshl_or_b32 v2, v2, 4, v94
	ds_add_u32 v2, v121
	s_wait_alu 0xfffe
	s_or_b32 exec_lo, exec_lo, s6
	s_mov_b32 s6, exec_lo
	v_cmpx_gt_u32_e64 s7, v90
	s_cbranch_execz .LBB1124_342
.LBB1124_357:                           ;   in Loop: Header=BB1124_308 Depth=2
	v_cmp_gt_i64_e32 vcc_lo, 0, v[10:11]
	v_ashrrev_i32_e32 v2, 31, v11
	s_delay_alu instid0(VALU_DEP_1) | instskip(SKIP_2) | instid1(VALU_DEP_1)
	v_not_b32_e32 v2, v2
	s_wait_alu 0xfffd
	v_cndmask_b32_e64 v36, 0x7fffffff, 0, vcc_lo
	v_xor_b32_e32 v37, v36, v11
	s_delay_alu instid0(VALU_DEP_3) | instskip(NEXT) | instid1(VALU_DEP_1)
	v_xor_b32_e32 v36, v2, v10
	v_cmp_ne_u64_e32 vcc_lo, s[34:35], v[36:37]
	s_wait_alu 0xfffd
	v_cndmask_b32_e32 v37, 0x7fffffff, v37, vcc_lo
	v_cndmask_b32_e32 v36, -1, v36, vcc_lo
	s_delay_alu instid0(VALU_DEP_1) | instskip(NEXT) | instid1(VALU_DEP_1)
	v_lshrrev_b64 v[36:37], s48, v[36:37]
	v_and_b32_e32 v2, s57, v36
	s_delay_alu instid0(VALU_DEP_1) | instskip(SKIP_3) | instid1(SALU_CYCLE_1)
	v_lshl_or_b32 v2, v2, 4, v94
	ds_add_u32 v2, v121
	s_wait_alu 0xfffe
	s_or_b32 exec_lo, exec_lo, s6
	s_mov_b32 s6, exec_lo
	v_cmpx_gt_u32_e64 s7, v91
	s_cbranch_execz .LBB1124_343
.LBB1124_358:                           ;   in Loop: Header=BB1124_308 Depth=2
	v_cmp_gt_i64_e32 vcc_lo, 0, v[8:9]
	v_ashrrev_i32_e32 v2, 31, v9
	s_delay_alu instid0(VALU_DEP_1) | instskip(SKIP_2) | instid1(VALU_DEP_1)
	v_not_b32_e32 v2, v2
	s_wait_alu 0xfffd
	v_cndmask_b32_e64 v36, 0x7fffffff, 0, vcc_lo
	v_xor_b32_e32 v37, v36, v9
	s_delay_alu instid0(VALU_DEP_3) | instskip(NEXT) | instid1(VALU_DEP_1)
	v_xor_b32_e32 v36, v2, v8
	v_cmp_ne_u64_e32 vcc_lo, s[34:35], v[36:37]
	s_wait_alu 0xfffd
	v_cndmask_b32_e32 v37, 0x7fffffff, v37, vcc_lo
	v_cndmask_b32_e32 v36, -1, v36, vcc_lo
	s_delay_alu instid0(VALU_DEP_1) | instskip(NEXT) | instid1(VALU_DEP_1)
	v_lshrrev_b64 v[36:37], s48, v[36:37]
	v_and_b32_e32 v2, s57, v36
	s_delay_alu instid0(VALU_DEP_1) | instskip(SKIP_3) | instid1(SALU_CYCLE_1)
	v_lshl_or_b32 v2, v2, 4, v94
	ds_add_u32 v2, v121
	s_wait_alu 0xfffe
	s_or_b32 exec_lo, exec_lo, s6
	s_mov_b32 s6, exec_lo
	v_cmpx_gt_u32_e64 s7, v92
	s_cbranch_execz .LBB1124_344
.LBB1124_359:                           ;   in Loop: Header=BB1124_308 Depth=2
	v_cmp_gt_i64_e32 vcc_lo, 0, v[6:7]
	v_ashrrev_i32_e32 v2, 31, v7
	s_delay_alu instid0(VALU_DEP_1) | instskip(SKIP_2) | instid1(VALU_DEP_1)
	v_not_b32_e32 v2, v2
	s_wait_alu 0xfffd
	v_cndmask_b32_e64 v36, 0x7fffffff, 0, vcc_lo
	v_xor_b32_e32 v37, v36, v7
	s_delay_alu instid0(VALU_DEP_3) | instskip(NEXT) | instid1(VALU_DEP_1)
	v_xor_b32_e32 v36, v2, v6
	v_cmp_ne_u64_e32 vcc_lo, s[34:35], v[36:37]
	s_wait_alu 0xfffd
	v_cndmask_b32_e32 v37, 0x7fffffff, v37, vcc_lo
	v_cndmask_b32_e32 v36, -1, v36, vcc_lo
	s_delay_alu instid0(VALU_DEP_1) | instskip(NEXT) | instid1(VALU_DEP_1)
	v_lshrrev_b64 v[36:37], s48, v[36:37]
	v_and_b32_e32 v2, s57, v36
	s_delay_alu instid0(VALU_DEP_1) | instskip(SKIP_3) | instid1(SALU_CYCLE_1)
	v_lshl_or_b32 v2, v2, 4, v94
	ds_add_u32 v2, v121
	s_wait_alu 0xfffe
	s_or_b32 exec_lo, exec_lo, s6
	s_mov_b32 s6, exec_lo
	v_cmpx_gt_u32_e64 s7, v93
	s_cbranch_execz .LBB1124_307
.LBB1124_360:                           ;   in Loop: Header=BB1124_308 Depth=2
	v_cmp_gt_i64_e32 vcc_lo, 0, v[4:5]
	v_ashrrev_i32_e32 v2, 31, v5
	s_delay_alu instid0(VALU_DEP_1) | instskip(SKIP_2) | instid1(VALU_DEP_1)
	v_not_b32_e32 v2, v2
	s_wait_alu 0xfffd
	v_cndmask_b32_e64 v36, 0x7fffffff, 0, vcc_lo
	v_xor_b32_e32 v37, v36, v5
	s_delay_alu instid0(VALU_DEP_3) | instskip(NEXT) | instid1(VALU_DEP_1)
	v_xor_b32_e32 v36, v2, v4
	v_cmp_ne_u64_e32 vcc_lo, s[34:35], v[36:37]
	s_wait_alu 0xfffd
	v_cndmask_b32_e32 v37, 0x7fffffff, v37, vcc_lo
	v_cndmask_b32_e32 v36, -1, v36, vcc_lo
	s_delay_alu instid0(VALU_DEP_1) | instskip(NEXT) | instid1(VALU_DEP_1)
	v_lshrrev_b64 v[36:37], s48, v[36:37]
	v_and_b32_e32 v2, s57, v36
	s_delay_alu instid0(VALU_DEP_1)
	v_lshl_or_b32 v2, v2, 4, v94
	ds_add_u32 v2, v121
	s_branch .LBB1124_307
.LBB1124_361:                           ;   in Loop: Header=BB1124_308 Depth=2
	global_load_b64 v[34:35], v122, s[6:7]
	s_or_b32 exec_lo, exec_lo, s10
	s_delay_alu instid0(SALU_CYCLE_1)
	s_mov_b32 s10, exec_lo
	v_cmpx_gt_u32_e64 s8, v77
	s_cbranch_execz .LBB1124_313
.LBB1124_362:                           ;   in Loop: Header=BB1124_308 Depth=2
	global_load_b64 v[32:33], v122, s[6:7] offset:2048
	s_wait_alu 0xfffe
	s_or_b32 exec_lo, exec_lo, s10
	s_delay_alu instid0(SALU_CYCLE_1)
	s_mov_b32 s10, exec_lo
	v_cmpx_gt_u32_e64 s8, v78
	s_cbranch_execz .LBB1124_314
.LBB1124_363:                           ;   in Loop: Header=BB1124_308 Depth=2
	global_load_b64 v[30:31], v122, s[6:7] offset:4096
	s_wait_alu 0xfffe
	s_or_b32 exec_lo, exec_lo, s10
	s_delay_alu instid0(SALU_CYCLE_1)
	s_mov_b32 s10, exec_lo
	v_cmpx_gt_u32_e64 s8, v79
	s_cbranch_execz .LBB1124_315
.LBB1124_364:                           ;   in Loop: Header=BB1124_308 Depth=2
	global_load_b64 v[28:29], v122, s[6:7] offset:6144
	s_wait_alu 0xfffe
	s_or_b32 exec_lo, exec_lo, s10
	s_delay_alu instid0(SALU_CYCLE_1)
	s_mov_b32 s10, exec_lo
	v_cmpx_gt_u32_e64 s8, v82
	s_cbranch_execz .LBB1124_316
.LBB1124_365:                           ;   in Loop: Header=BB1124_308 Depth=2
	global_load_b64 v[26:27], v122, s[6:7] offset:8192
	s_wait_alu 0xfffe
	s_or_b32 exec_lo, exec_lo, s10
	s_delay_alu instid0(SALU_CYCLE_1)
	s_mov_b32 s10, exec_lo
	v_cmpx_gt_u32_e64 s8, v83
	s_cbranch_execz .LBB1124_317
.LBB1124_366:                           ;   in Loop: Header=BB1124_308 Depth=2
	global_load_b64 v[24:25], v122, s[6:7] offset:10240
	s_wait_alu 0xfffe
	s_or_b32 exec_lo, exec_lo, s10
	s_delay_alu instid0(SALU_CYCLE_1)
	s_mov_b32 s10, exec_lo
	v_cmpx_gt_u32_e64 s8, v84
	s_cbranch_execz .LBB1124_318
.LBB1124_367:                           ;   in Loop: Header=BB1124_308 Depth=2
	global_load_b64 v[22:23], v122, s[6:7] offset:12288
	s_wait_alu 0xfffe
	s_or_b32 exec_lo, exec_lo, s10
	s_delay_alu instid0(SALU_CYCLE_1)
	s_mov_b32 s10, exec_lo
	v_cmpx_gt_u32_e64 s8, v85
	s_cbranch_execz .LBB1124_319
.LBB1124_368:                           ;   in Loop: Header=BB1124_308 Depth=2
	global_load_b64 v[20:21], v122, s[6:7] offset:14336
	s_wait_alu 0xfffe
	s_or_b32 exec_lo, exec_lo, s10
	s_delay_alu instid0(SALU_CYCLE_1)
	s_mov_b32 s10, exec_lo
	v_cmpx_gt_u32_e64 s8, v86
	s_cbranch_execz .LBB1124_320
.LBB1124_369:                           ;   in Loop: Header=BB1124_308 Depth=2
	global_load_b64 v[18:19], v122, s[6:7] offset:16384
	s_wait_alu 0xfffe
	s_or_b32 exec_lo, exec_lo, s10
	s_delay_alu instid0(SALU_CYCLE_1)
	s_mov_b32 s10, exec_lo
	v_cmpx_gt_u32_e64 s8, v87
	s_cbranch_execz .LBB1124_321
.LBB1124_370:                           ;   in Loop: Header=BB1124_308 Depth=2
	global_load_b64 v[16:17], v122, s[6:7] offset:18432
	s_wait_alu 0xfffe
	s_or_b32 exec_lo, exec_lo, s10
	s_delay_alu instid0(SALU_CYCLE_1)
	s_mov_b32 s10, exec_lo
	v_cmpx_gt_u32_e64 s8, v88
	s_cbranch_execz .LBB1124_322
.LBB1124_371:                           ;   in Loop: Header=BB1124_308 Depth=2
	global_load_b64 v[14:15], v122, s[6:7] offset:20480
	s_wait_alu 0xfffe
	s_or_b32 exec_lo, exec_lo, s10
	s_delay_alu instid0(SALU_CYCLE_1)
	s_mov_b32 s10, exec_lo
	v_cmpx_gt_u32_e64 s8, v89
	s_cbranch_execz .LBB1124_323
.LBB1124_372:                           ;   in Loop: Header=BB1124_308 Depth=2
	global_load_b64 v[12:13], v122, s[6:7] offset:22528
	s_wait_alu 0xfffe
	s_or_b32 exec_lo, exec_lo, s10
	s_delay_alu instid0(SALU_CYCLE_1)
	s_mov_b32 s10, exec_lo
	v_cmpx_gt_u32_e64 s8, v90
	s_cbranch_execz .LBB1124_324
.LBB1124_373:                           ;   in Loop: Header=BB1124_308 Depth=2
	global_load_b64 v[10:11], v122, s[6:7] offset:24576
	s_wait_alu 0xfffe
	s_or_b32 exec_lo, exec_lo, s10
	s_delay_alu instid0(SALU_CYCLE_1)
	s_mov_b32 s10, exec_lo
	v_cmpx_gt_u32_e64 s8, v91
	s_cbranch_execz .LBB1124_325
.LBB1124_374:                           ;   in Loop: Header=BB1124_308 Depth=2
	global_load_b64 v[8:9], v122, s[6:7] offset:26624
	s_wait_alu 0xfffe
	s_or_b32 exec_lo, exec_lo, s10
	s_delay_alu instid0(SALU_CYCLE_1)
	s_mov_b32 s10, exec_lo
	v_cmpx_gt_u32_e64 s8, v92
	s_cbranch_execz .LBB1124_326
.LBB1124_375:                           ;   in Loop: Header=BB1124_308 Depth=2
	global_load_b64 v[6:7], v122, s[6:7] offset:28672
	s_wait_alu 0xfffe
	s_or_b32 exec_lo, exec_lo, s10
	s_delay_alu instid0(SALU_CYCLE_1)
	s_mov_b32 s10, exec_lo
	v_cmpx_gt_u32_e64 s8, v93
	s_cbranch_execnz .LBB1124_327
	s_branch .LBB1124_328
.LBB1124_376:                           ;   in Loop: Header=BB1124_12 Depth=1
	v_mov_b32_e32 v2, 0
	s_wait_dscnt 0x0
	s_barrier_signal -1
	s_barrier_wait -1
	global_inv scope:SCOPE_SE
	s_and_saveexec_b32 s6, s2
	s_cbranch_execz .LBB1124_378
; %bb.377:                              ;   in Loop: Header=BB1124_12 Depth=1
	ds_load_2addr_b64 v[4:7], v96 offset1:1
	s_wait_dscnt 0x0
	v_add_nc_u32_e32 v2, v5, v4
	s_delay_alu instid0(VALU_DEP_1)
	v_add3_u32 v2, v2, v6, v7
.LBB1124_378:                           ;   in Loop: Header=BB1124_12 Depth=1
	s_wait_alu 0xfffe
	s_or_b32 exec_lo, exec_lo, s6
	v_and_b32_e32 v4, 15, v123
	s_delay_alu instid0(VALU_DEP_2) | instskip(SKIP_1) | instid1(VALU_DEP_3)
	v_mov_b32_dpp v5, v2 row_shr:1 row_mask:0xf bank_mask:0xf
	v_and_b32_e32 v6, 16, v123
	v_cmp_eq_u32_e64 s6, 0, v4
	v_cmp_lt_u32_e64 s7, 1, v4
	v_cmp_lt_u32_e64 s8, 3, v4
	;; [unrolled: 1-line block ×3, first 2 shown]
	v_cmp_eq_u32_e64 s10, 0, v6
	s_wait_alu 0xf1ff
	v_cndmask_b32_e64 v5, v5, 0, s6
	s_delay_alu instid0(VALU_DEP_1) | instskip(NEXT) | instid1(VALU_DEP_1)
	v_add_nc_u32_e32 v2, v5, v2
	v_mov_b32_dpp v5, v2 row_shr:2 row_mask:0xf bank_mask:0xf
	s_delay_alu instid0(VALU_DEP_1) | instskip(NEXT) | instid1(VALU_DEP_1)
	v_cndmask_b32_e64 v5, 0, v5, s7
	v_add_nc_u32_e32 v2, v2, v5
	s_delay_alu instid0(VALU_DEP_1) | instskip(NEXT) | instid1(VALU_DEP_1)
	v_mov_b32_dpp v5, v2 row_shr:4 row_mask:0xf bank_mask:0xf
	v_cndmask_b32_e64 v5, 0, v5, s8
	s_delay_alu instid0(VALU_DEP_1) | instskip(NEXT) | instid1(VALU_DEP_1)
	v_add_nc_u32_e32 v2, v2, v5
	v_mov_b32_dpp v5, v2 row_shr:8 row_mask:0xf bank_mask:0xf
	s_delay_alu instid0(VALU_DEP_1) | instskip(SKIP_1) | instid1(VALU_DEP_2)
	v_cndmask_b32_e64 v4, 0, v5, s9
	v_bfe_i32 v5, v123, 4, 1
	v_add_nc_u32_e32 v2, v2, v4
	ds_swizzle_b32 v4, v2 offset:swizzle(BROADCAST,32,15)
	s_wait_dscnt 0x0
	v_and_b32_e32 v4, v5, v4
	s_delay_alu instid0(VALU_DEP_1)
	v_add_nc_u32_e32 v4, v2, v4
	s_and_saveexec_b32 s11, s3
; %bb.379:                              ;   in Loop: Header=BB1124_12 Depth=1
	ds_store_b32 v97, v4
; %bb.380:                              ;   in Loop: Header=BB1124_12 Depth=1
	s_wait_alu 0xfffe
	s_or_b32 exec_lo, exec_lo, s11
	v_and_b32_e32 v2, 7, v123
	s_wait_loadcnt_dscnt 0x0
	s_barrier_signal -1
	s_barrier_wait -1
	global_inv scope:SCOPE_SE
	s_and_saveexec_b32 s11, s4
	s_cbranch_execz .LBB1124_382
; %bb.381:                              ;   in Loop: Header=BB1124_12 Depth=1
	ds_load_b32 v5, v98
	v_cmp_ne_u32_e32 vcc_lo, 0, v2
	s_wait_dscnt 0x0
	v_mov_b32_dpp v6, v5 row_shr:1 row_mask:0xf bank_mask:0xf
	s_wait_alu 0xfffd
	s_delay_alu instid0(VALU_DEP_1) | instskip(SKIP_1) | instid1(VALU_DEP_2)
	v_cndmask_b32_e32 v6, 0, v6, vcc_lo
	v_cmp_lt_u32_e32 vcc_lo, 1, v2
	v_add_nc_u32_e32 v5, v6, v5
	s_delay_alu instid0(VALU_DEP_1) | instskip(SKIP_1) | instid1(VALU_DEP_1)
	v_mov_b32_dpp v6, v5 row_shr:2 row_mask:0xf bank_mask:0xf
	s_wait_alu 0xfffd
	v_cndmask_b32_e32 v6, 0, v6, vcc_lo
	v_cmp_lt_u32_e32 vcc_lo, 3, v2
	s_delay_alu instid0(VALU_DEP_2) | instskip(NEXT) | instid1(VALU_DEP_1)
	v_add_nc_u32_e32 v5, v5, v6
	v_mov_b32_dpp v6, v5 row_shr:4 row_mask:0xf bank_mask:0xf
	s_wait_alu 0xfffd
	s_delay_alu instid0(VALU_DEP_1) | instskip(NEXT) | instid1(VALU_DEP_1)
	v_cndmask_b32_e32 v6, 0, v6, vcc_lo
	v_add_nc_u32_e32 v5, v5, v6
	ds_store_b32 v98, v5
.LBB1124_382:                           ;   in Loop: Header=BB1124_12 Depth=1
	s_wait_alu 0xfffe
	s_or_b32 exec_lo, exec_lo, s11
	v_mov_b32_e32 v5, 0
	s_wait_loadcnt_dscnt 0x0
	s_barrier_signal -1
	s_barrier_wait -1
	global_inv scope:SCOPE_SE
	s_and_saveexec_b32 s11, s5
; %bb.383:                              ;   in Loop: Header=BB1124_12 Depth=1
	ds_load_b32 v5, v99
; %bb.384:                              ;   in Loop: Header=BB1124_12 Depth=1
	s_wait_alu 0xfffe
	s_or_b32 exec_lo, exec_lo, s11
	v_sub_co_u32 v6, s11, v123, 1
	s_wait_dscnt 0x0
	v_add_nc_u32_e32 v4, v5, v4
	s_wait_loadcnt 0x0
	s_barrier_signal -1
	v_cmp_gt_i32_e32 vcc_lo, 0, v6
	s_barrier_wait -1
	global_inv scope:SCOPE_SE
	s_wait_alu 0xfffd
	v_cndmask_b32_e32 v6, v6, v123, vcc_lo
	s_delay_alu instid0(VALU_DEP_1)
	v_lshlrev_b32_e32 v124, 2, v6
	ds_bpermute_b32 v4, v124, v4
	s_and_saveexec_b32 s12, s2
	s_cbranch_execz .LBB1124_386
; %bb.385:                              ;   in Loop: Header=BB1124_12 Depth=1
	s_wait_dscnt 0x0
	v_cndmask_b32_e64 v4, v4, v5, s11
	s_delay_alu instid0(VALU_DEP_1)
	v_add_nc_u32_e32 v4, s33, v4
	ds_store_b32 v76, v4
.LBB1124_386:                           ;   in Loop: Header=BB1124_12 Depth=1
	s_wait_alu 0xfffe
	s_or_b32 exec_lo, exec_lo, s12
	s_load_b64 s[12:13], s[52:53], 0x0
	s_mov_b32 s15, s34
	v_lshlrev_b32_e32 v6, 3, v123
	v_or_b32_e32 v125, v123, v100
	s_mov_b32 s58, s55
	s_mov_b32 s42, s33
                                        ; implicit-def: $vgpr8_vgpr9
                                        ; implicit-def: $vgpr10_vgpr11
                                        ; implicit-def: $vgpr12_vgpr13
                                        ; implicit-def: $vgpr14_vgpr15
                                        ; implicit-def: $vgpr16_vgpr17
                                        ; implicit-def: $vgpr18_vgpr19
                                        ; implicit-def: $vgpr20_vgpr21
                                        ; implicit-def: $vgpr22_vgpr23
                                        ; implicit-def: $vgpr24_vgpr25
                                        ; implicit-def: $vgpr26_vgpr27
                                        ; implicit-def: $vgpr28_vgpr29
                                        ; implicit-def: $vgpr30_vgpr31
                                        ; implicit-def: $vgpr32_vgpr33
                                        ; implicit-def: $vgpr34_vgpr35
                                        ; implicit-def: $vgpr146
                                        ; implicit-def: $vgpr147
                                        ; implicit-def: $vgpr148
                                        ; implicit-def: $vgpr149
                                        ; implicit-def: $vgpr150
                                        ; implicit-def: $vgpr151
                                        ; implicit-def: $vgpr152
                                        ; implicit-def: $vgpr153
                                        ; implicit-def: $vgpr154
                                        ; implicit-def: $vgpr155
                                        ; implicit-def: $vgpr156
                                        ; implicit-def: $vgpr157
                                        ; implicit-def: $vgpr158
                                        ; implicit-def: $vgpr159
                                        ; implicit-def: $vgpr160
                                        ; implicit-def: $vgpr161
	s_delay_alu instid0(VALU_DEP_2)
	v_add_co_u32 v126, vcc_lo, v111, v6
	s_wait_alu 0xfffd
	v_add_co_ci_u32_e64 v127, null, 0, v112, vcc_lo
	v_add_co_u32 v143, vcc_lo, v113, v6
	v_or_b32_e32 v128, 32, v125
	v_or_b32_e32 v129, 64, v125
	;; [unrolled: 1-line block ×7, first 2 shown]
	s_wait_kmcnt 0x0
	s_cmp_lt_u32 ttmp7, s13
	s_mov_b32 s13, s34
	s_cselect_b32 s14, 14, 20
	s_cmp_lt_u32 ttmp9, s12
	s_wait_alu 0xfffe
	s_add_nc_u64 s[14:15], s[52:53], s[14:15]
	s_cselect_b32 s12, 12, 18
	s_load_u16 s15, s[14:15], 0x0
	s_add_nc_u64 s[12:13], s[52:53], s[12:13]
	v_or_b32_e32 v135, 0x100, v125
	s_load_u16 s16, s[12:13], 0x0
	v_cmp_eq_u32_e64 s12, 0, v2
	v_cmp_lt_u32_e64 s13, 1, v2
	v_cmp_lt_u32_e64 s14, 3, v2
	v_or_b32_e32 v136, 0x120, v125
	v_or_b32_e32 v137, 0x140, v125
	;; [unrolled: 1-line block ×7, first 2 shown]
	v_add_co_ci_u32_e64 v144, null, 0, v114, vcc_lo
                                        ; implicit-def: $vgpr6_vgpr7
	s_wait_kmcnt 0x0
	v_mad_u32_u24 v2, v102, s15, v0
	s_wait_dscnt 0x0
	s_delay_alu instid0(VALU_DEP_1) | instskip(NEXT) | instid1(VALU_DEP_1)
	v_mad_co_u64_u32 v[4:5], null, v2, s16, v[1:2]
	v_lshrrev_b32_e32 v2, 3, v4
                                        ; implicit-def: $vgpr4_vgpr5
	s_delay_alu instid0(VALU_DEP_1)
	v_and_b32_e32 v145, 0x1ffffffc, v2
	s_branch .LBB1124_388
.LBB1124_387:                           ;   in Loop: Header=BB1124_388 Depth=2
	s_wait_alu 0xfffe
	s_or_b32 exec_lo, exec_lo, s15
	s_addk_co_i32 s58, 0xf000
	s_cmp_lt_u32 s59, s51
	s_mov_b32 s42, s59
	s_cbranch_scc0 .LBB1124_596
.LBB1124_388:                           ;   Parent Loop BB1124_12 Depth=1
                                        ; =>  This Inner Loop Header: Depth=2
	s_wait_alu 0xfffe
	s_add_co_i32 s59, s42, 0x1000
	s_wait_alu 0xfffe
	s_cmp_gt_u32 s59, s51
	s_cbranch_scc1 .LBB1124_390
; %bb.389:                              ;   in Loop: Header=BB1124_388 Depth=2
	s_mov_b32 s43, s34
	s_mov_b32 s15, -1
	s_wait_alu 0xfffe
	s_lshl_b64 s[16:17], s[42:43], 3
	s_wait_alu 0xfffe
	v_add_co_u32 v42, vcc_lo, v143, s16
	s_wait_alu 0xfffd
	v_add_co_ci_u32_e64 v43, null, s17, v144, vcc_lo
	s_clause 0xe
	global_load_b64 v[36:37], v[42:43], off
	global_load_b64 v[38:39], v[42:43], off offset:256
	global_load_b64 v[40:41], v[42:43], off offset:512
	;; [unrolled: 1-line block ×14, first 2 shown]
	s_movk_i32 s16, 0x1000
	s_cbranch_execz .LBB1124_391
	s_branch .LBB1124_422
.LBB1124_390:                           ;   in Loop: Header=BB1124_388 Depth=2
	s_mov_b32 s15, 0
                                        ; implicit-def: $vgpr36_vgpr37
                                        ; implicit-def: $vgpr38_vgpr39
                                        ; implicit-def: $vgpr40_vgpr41
                                        ; implicit-def: $vgpr48_vgpr49
                                        ; implicit-def: $vgpr52_vgpr53
                                        ; implicit-def: $vgpr56_vgpr57
                                        ; implicit-def: $vgpr60_vgpr61
                                        ; implicit-def: $vgpr64_vgpr65
                                        ; implicit-def: $vgpr66_vgpr67
                                        ; implicit-def: $vgpr62_vgpr63
                                        ; implicit-def: $vgpr58_vgpr59
                                        ; implicit-def: $vgpr54_vgpr55
                                        ; implicit-def: $vgpr50_vgpr51
                                        ; implicit-def: $vgpr46_vgpr47
                                        ; implicit-def: $vgpr44_vgpr45
	s_movk_i32 s16, 0x1000
.LBB1124_391:                           ;   in Loop: Header=BB1124_388 Depth=2
	s_mov_b32 s43, s34
	s_wait_loadcnt 0xd
	v_mov_b32_e32 v38, -1
	s_wait_alu 0xfffe
	s_lshl_b64 s[16:17], s[42:43], 3
	v_dual_mov_b32 v39, -1 :: v_dual_mov_b32 v36, -1
	s_wait_alu 0xfffe
	v_add_co_u32 v42, vcc_lo, v143, s16
	s_wait_alu 0xfffd
	v_add_co_ci_u32_e64 v43, null, s17, v144, vcc_lo
	v_mov_b32_e32 v37, -1
	s_mov_b32 s15, exec_lo
	v_cmpx_gt_u32_e64 s58, v125
	s_cbranch_execz .LBB1124_393
; %bb.392:                              ;   in Loop: Header=BB1124_388 Depth=2
	global_load_b64 v[36:37], v[42:43], off
.LBB1124_393:                           ;   in Loop: Header=BB1124_388 Depth=2
	s_wait_alu 0xfffe
	s_or_b32 exec_lo, exec_lo, s15
	s_delay_alu instid0(SALU_CYCLE_1)
	s_mov_b32 s15, exec_lo
	v_cmpx_gt_u32_e64 s58, v128
	s_cbranch_execz .LBB1124_395
; %bb.394:                              ;   in Loop: Header=BB1124_388 Depth=2
	global_load_b64 v[38:39], v[42:43], off offset:256
.LBB1124_395:                           ;   in Loop: Header=BB1124_388 Depth=2
	s_wait_alu 0xfffe
	s_or_b32 exec_lo, exec_lo, s15
	s_wait_loadcnt 0xb
	v_mov_b32_e32 v48, -1
	v_dual_mov_b32 v49, -1 :: v_dual_mov_b32 v40, -1
	v_mov_b32_e32 v41, -1
	s_mov_b32 s15, exec_lo
	v_cmpx_gt_u32_e64 s58, v129
	s_cbranch_execz .LBB1124_397
; %bb.396:                              ;   in Loop: Header=BB1124_388 Depth=2
	global_load_b64 v[40:41], v[42:43], off offset:512
.LBB1124_397:                           ;   in Loop: Header=BB1124_388 Depth=2
	s_wait_alu 0xfffe
	s_or_b32 exec_lo, exec_lo, s15
	s_delay_alu instid0(SALU_CYCLE_1)
	s_mov_b32 s15, exec_lo
	v_cmpx_gt_u32_e64 s58, v130
	s_cbranch_execz .LBB1124_399
; %bb.398:                              ;   in Loop: Header=BB1124_388 Depth=2
	global_load_b64 v[48:49], v[42:43], off offset:768
.LBB1124_399:                           ;   in Loop: Header=BB1124_388 Depth=2
	s_wait_alu 0xfffe
	s_or_b32 exec_lo, exec_lo, s15
	s_wait_loadcnt 0x9
	v_mov_b32_e32 v56, -1
	v_dual_mov_b32 v57, -1 :: v_dual_mov_b32 v52, -1
	v_mov_b32_e32 v53, -1
	s_mov_b32 s15, exec_lo
	v_cmpx_gt_u32_e64 s58, v131
	s_cbranch_execz .LBB1124_401
; %bb.400:                              ;   in Loop: Header=BB1124_388 Depth=2
	global_load_b64 v[52:53], v[42:43], off offset:1024
.LBB1124_401:                           ;   in Loop: Header=BB1124_388 Depth=2
	;; [unrolled: 21-line block ×6, first 2 shown]
	s_wait_alu 0xfffe
	s_or_b32 exec_lo, exec_lo, s15
	s_delay_alu instid0(SALU_CYCLE_1)
	s_mov_b32 s15, exec_lo
	v_cmpx_gt_u32_e64 s58, v140
	s_cbranch_execz .LBB1124_419
; %bb.418:                              ;   in Loop: Header=BB1124_388 Depth=2
	global_load_b64 v[46:47], v[42:43], off offset:3328
.LBB1124_419:                           ;   in Loop: Header=BB1124_388 Depth=2
	s_wait_alu 0xfffe
	s_or_b32 exec_lo, exec_lo, s15
	s_wait_loadcnt 0x0
	v_mov_b32_e32 v44, -1
	v_mov_b32_e32 v45, -1
	s_mov_b32 s15, exec_lo
	v_cmpx_gt_u32_e64 s58, v141
	s_cbranch_execz .LBB1124_421
; %bb.420:                              ;   in Loop: Header=BB1124_388 Depth=2
	global_load_b64 v[44:45], v[42:43], off offset:3584
.LBB1124_421:                           ;   in Loop: Header=BB1124_388 Depth=2
	s_wait_alu 0xfffe
	s_or_b32 exec_lo, exec_lo, s15
	v_cmp_gt_u32_e64 s15, s58, v142
	s_sub_co_i32 s16, s51, s42
.LBB1124_422:                           ;   in Loop: Header=BB1124_388 Depth=2
	v_mov_b32_e32 v42, -1
	v_dual_mov_b32 v43, -1 :: v_dual_mov_b32 v162, s58
	s_and_saveexec_b32 s17, s15
	s_cbranch_execz .LBB1124_424
; %bb.423:                              ;   in Loop: Header=BB1124_388 Depth=2
	s_lshl_b64 s[18:19], s[42:43], 3
	s_wait_alu 0xfffe
	v_mov_b32_e32 v162, s16
	v_add_co_u32 v42, vcc_lo, v143, s18
	s_wait_alu 0xfffd
	v_add_co_ci_u32_e64 v43, null, s19, v144, vcc_lo
	global_load_b64 v[42:43], v[42:43], off offset:3840
.LBB1124_424:                           ;   in Loop: Header=BB1124_388 Depth=2
	s_wait_alu 0xfffe
	s_or_b32 exec_lo, exec_lo, s17
	s_wait_loadcnt 0xe
	v_cmp_gt_i64_e32 vcc_lo, 0, v[36:37]
	v_ashrrev_i32_e32 v2, 31, v37
	v_add_nc_u32_e32 v164, 0x420, v101
	v_add_nc_u32_e32 v165, 0x428, v101
	;; [unrolled: 1-line block ×3, first 2 shown]
	s_delay_alu instid0(VALU_DEP_4) | instskip(SKIP_2) | instid1(VALU_DEP_2)
	v_not_b32_e32 v2, v2
	s_wait_alu 0xfffd
	v_cndmask_b32_e64 v68, 0x7fffffff, 0, vcc_lo
	v_xor_b32_e32 v36, v2, v36
	s_delay_alu instid0(VALU_DEP_2) | instskip(NEXT) | instid1(VALU_DEP_1)
	v_xor_b32_e32 v37, v68, v37
	v_cmp_ne_u64_e32 vcc_lo, s[34:35], v[36:37]
	s_wait_alu 0xfffd
	v_cndmask_b32_e32 v69, 0x7fffffff, v37, vcc_lo
	v_cndmask_b32_e32 v68, -1, v36, vcc_lo
	s_delay_alu instid0(VALU_DEP_1) | instskip(NEXT) | instid1(VALU_DEP_1)
	v_lshrrev_b64 v[68:69], s48, v[68:69]
	v_and_b32_e32 v69, s57, v68
	s_delay_alu instid0(VALU_DEP_1)
	v_and_b32_e32 v2, 1, v69
	v_lshlrev_b32_e32 v68, 30, v69
	v_lshlrev_b32_e32 v70, 29, v69
	v_lshlrev_b32_e32 v71, 28, v69
	v_lshlrev_b32_e32 v73, 27, v69
	v_add_co_u32 v2, s15, v2, -1
	s_wait_alu 0xf1ff
	v_cndmask_b32_e64 v72, 0, 1, s15
	v_not_b32_e32 v163, v68
	v_cmp_gt_i32_e64 s15, 0, v68
	v_not_b32_e32 v68, v70
	v_lshlrev_b32_e32 v74, 26, v69
	v_cmp_ne_u32_e32 vcc_lo, 0, v72
	v_ashrrev_i32_e32 v163, 31, v163
	v_lshlrev_b32_e32 v75, 25, v69
	v_ashrrev_i32_e32 v68, 31, v68
	v_lshlrev_b32_e32 v72, 24, v69
	s_wait_alu 0xfffd
	v_xor_b32_e32 v2, vcc_lo, v2
	v_cmp_gt_i32_e32 vcc_lo, 0, v70
	v_not_b32_e32 v70, v71
	s_wait_alu 0xf1ff
	v_xor_b32_e32 v163, s15, v163
	v_cmp_gt_i32_e64 s15, 0, v71
	v_and_b32_e32 v2, exec_lo, v2
	v_not_b32_e32 v71, v73
	v_ashrrev_i32_e32 v70, 31, v70
	s_wait_alu 0xfffd
	v_xor_b32_e32 v68, vcc_lo, v68
	v_cmp_gt_i32_e32 vcc_lo, 0, v73
	v_and_b32_e32 v2, v2, v163
	v_not_b32_e32 v73, v74
	v_ashrrev_i32_e32 v71, 31, v71
	s_wait_alu 0xf1ff
	v_xor_b32_e32 v70, s15, v70
	v_cmp_gt_i32_e64 s15, 0, v74
	v_and_b32_e32 v2, v2, v68
	v_not_b32_e32 v68, v75
	v_ashrrev_i32_e32 v73, 31, v73
	s_wait_alu 0xfffd
	v_xor_b32_e32 v71, vcc_lo, v71
	v_cmp_gt_i32_e32 vcc_lo, 0, v75
	v_and_b32_e32 v2, v2, v70
	v_not_b32_e32 v70, v72
	v_ashrrev_i32_e32 v68, 31, v68
	s_wait_alu 0xf1ff
	v_xor_b32_e32 v73, s15, v73
	v_cmp_gt_i32_e64 s15, 0, v72
	v_and_b32_e32 v2, v2, v71
	v_ashrrev_i32_e32 v70, 31, v70
	s_wait_alu 0xfffd
	v_xor_b32_e32 v68, vcc_lo, v68
	v_mul_u32_u24_e32 v69, 36, v69
	v_add_nc_u32_e32 v163, 0x438, v101
	v_and_b32_e32 v2, v2, v73
	s_wait_alu 0xf1ff
	v_xor_b32_e32 v70, s15, v70
	v_add_nc_u32_e32 v167, v145, v69
	ds_store_2addr_b32 v163, v3, v3 offset1:1
	v_and_b32_e32 v2, v2, v68
	ds_store_2addr_b32 v164, v3, v3 offset1:1
	ds_store_2addr_b32 v165, v3, v3 offset1:1
	ds_store_2addr_b32 v166, v3, v3 offset1:1
	ds_store_b32 v101, v3 offset:1088
	s_wait_loadcnt_dscnt 0x0
	s_barrier_signal -1
	s_barrier_wait -1
	v_and_b32_e32 v68, v2, v70
	global_inv scope:SCOPE_SE
	; wave barrier
	v_mbcnt_lo_u32_b32 v2, v68, 0
	v_cmp_ne_u32_e64 s15, 0, v68
	s_delay_alu instid0(VALU_DEP_2)
	v_cmp_eq_u32_e32 vcc_lo, 0, v2
	s_and_b32 s16, s15, vcc_lo
	s_wait_alu 0xfffe
	s_and_saveexec_b32 s15, s16
; %bb.425:                              ;   in Loop: Header=BB1124_388 Depth=2
	v_bcnt_u32_b32 v68, v68, 0
	ds_store_b32 v167, v68 offset:1056
; %bb.426:                              ;   in Loop: Header=BB1124_388 Depth=2
	s_wait_alu 0xfffe
	s_or_b32 exec_lo, exec_lo, s15
	v_cmp_gt_i64_e32 vcc_lo, 0, v[38:39]
	v_ashrrev_i32_e32 v68, 31, v39
	; wave barrier
	s_delay_alu instid0(VALU_DEP_1) | instskip(SKIP_2) | instid1(VALU_DEP_2)
	v_not_b32_e32 v68, v68
	s_wait_alu 0xfffd
	v_cndmask_b32_e64 v69, 0x7fffffff, 0, vcc_lo
	v_xor_b32_e32 v38, v68, v38
	s_delay_alu instid0(VALU_DEP_2) | instskip(NEXT) | instid1(VALU_DEP_1)
	v_xor_b32_e32 v39, v69, v39
	v_cmp_ne_u64_e32 vcc_lo, s[34:35], v[38:39]
	s_wait_alu 0xfffd
	v_cndmask_b32_e32 v69, 0x7fffffff, v39, vcc_lo
	v_cndmask_b32_e32 v68, -1, v38, vcc_lo
	s_delay_alu instid0(VALU_DEP_1) | instskip(NEXT) | instid1(VALU_DEP_1)
	v_lshrrev_b64 v[68:69], s48, v[68:69]
	v_and_b32_e32 v69, s57, v68
	s_delay_alu instid0(VALU_DEP_1)
	v_and_b32_e32 v68, 1, v69
	v_lshlrev_b32_e32 v70, 30, v69
	v_lshlrev_b32_e32 v71, 29, v69
	;; [unrolled: 1-line block ×4, first 2 shown]
	v_add_co_u32 v68, s15, v68, -1
	s_wait_alu 0xf1ff
	v_cndmask_b32_e64 v73, 0, 1, s15
	v_not_b32_e32 v169, v70
	v_cmp_gt_i32_e64 s15, 0, v70
	v_not_b32_e32 v70, v71
	v_lshlrev_b32_e32 v75, 26, v69
	v_cmp_ne_u32_e32 vcc_lo, 0, v73
	v_ashrrev_i32_e32 v169, 31, v169
	v_lshlrev_b32_e32 v168, 25, v69
	v_ashrrev_i32_e32 v70, 31, v70
	v_lshlrev_b32_e32 v73, 24, v69
	s_wait_alu 0xfffd
	v_xor_b32_e32 v68, vcc_lo, v68
	v_cmp_gt_i32_e32 vcc_lo, 0, v71
	v_not_b32_e32 v71, v72
	s_wait_alu 0xf1ff
	v_xor_b32_e32 v169, s15, v169
	v_cmp_gt_i32_e64 s15, 0, v72
	v_and_b32_e32 v68, exec_lo, v68
	v_not_b32_e32 v72, v74
	v_ashrrev_i32_e32 v71, 31, v71
	s_wait_alu 0xfffd
	v_xor_b32_e32 v70, vcc_lo, v70
	v_cmp_gt_i32_e32 vcc_lo, 0, v74
	v_and_b32_e32 v68, v68, v169
	v_not_b32_e32 v74, v75
	v_ashrrev_i32_e32 v72, 31, v72
	s_wait_alu 0xf1ff
	v_xor_b32_e32 v71, s15, v71
	v_cmp_gt_i32_e64 s15, 0, v75
	v_and_b32_e32 v68, v68, v70
	v_not_b32_e32 v70, v168
	v_ashrrev_i32_e32 v74, 31, v74
	s_wait_alu 0xfffd
	v_xor_b32_e32 v72, vcc_lo, v72
	v_cmp_gt_i32_e32 vcc_lo, 0, v168
	v_and_b32_e32 v68, v68, v71
	v_not_b32_e32 v71, v73
	v_ashrrev_i32_e32 v70, 31, v70
	s_wait_alu 0xf1ff
	v_xor_b32_e32 v74, s15, v74
	v_cmp_gt_i32_e64 s15, 0, v73
	v_and_b32_e32 v68, v68, v72
	v_ashrrev_i32_e32 v71, 31, v71
	s_wait_alu 0xfffd
	v_xor_b32_e32 v70, vcc_lo, v70
	v_mad_u32_u24 v72, v69, 36, v145
	v_mul_u32_u24_e32 v69, 36, v69
	v_and_b32_e32 v68, v68, v74
	s_wait_alu 0xf1ff
	v_xor_b32_e32 v71, s15, v71
	ds_load_b32 v168, v72 offset:1056
	v_add_nc_u32_e32 v170, v145, v69
	v_and_b32_e32 v68, v68, v70
	; wave barrier
	s_delay_alu instid0(VALU_DEP_1) | instskip(NEXT) | instid1(VALU_DEP_1)
	v_and_b32_e32 v68, v68, v71
	v_mbcnt_lo_u32_b32 v169, v68, 0
	v_cmp_ne_u32_e64 s15, 0, v68
	s_delay_alu instid0(VALU_DEP_2)
	v_cmp_eq_u32_e32 vcc_lo, 0, v169
	s_and_b32 s16, s15, vcc_lo
	s_wait_alu 0xfffe
	s_and_saveexec_b32 s15, s16
	s_cbranch_execz .LBB1124_428
; %bb.427:                              ;   in Loop: Header=BB1124_388 Depth=2
	s_wait_dscnt 0x0
	v_bcnt_u32_b32 v68, v68, v168
	ds_store_b32 v170, v68 offset:1056
.LBB1124_428:                           ;   in Loop: Header=BB1124_388 Depth=2
	s_wait_alu 0xfffe
	s_or_b32 exec_lo, exec_lo, s15
	v_cmp_gt_i64_e32 vcc_lo, 0, v[40:41]
	v_ashrrev_i32_e32 v68, 31, v41
	; wave barrier
	s_delay_alu instid0(VALU_DEP_1) | instskip(SKIP_2) | instid1(VALU_DEP_2)
	v_not_b32_e32 v68, v68
	s_wait_alu 0xfffd
	v_cndmask_b32_e64 v69, 0x7fffffff, 0, vcc_lo
	v_xor_b32_e32 v40, v68, v40
	s_delay_alu instid0(VALU_DEP_2) | instskip(NEXT) | instid1(VALU_DEP_1)
	v_xor_b32_e32 v41, v69, v41
	v_cmp_ne_u64_e32 vcc_lo, s[34:35], v[40:41]
	s_wait_alu 0xfffd
	v_cndmask_b32_e32 v69, 0x7fffffff, v41, vcc_lo
	v_cndmask_b32_e32 v68, -1, v40, vcc_lo
	s_delay_alu instid0(VALU_DEP_1) | instskip(NEXT) | instid1(VALU_DEP_1)
	v_lshrrev_b64 v[68:69], s48, v[68:69]
	v_and_b32_e32 v69, s57, v68
	s_delay_alu instid0(VALU_DEP_1)
	v_and_b32_e32 v68, 1, v69
	v_lshlrev_b32_e32 v70, 30, v69
	v_lshlrev_b32_e32 v71, 29, v69
	;; [unrolled: 1-line block ×4, first 2 shown]
	v_add_co_u32 v68, s15, v68, -1
	s_wait_alu 0xf1ff
	v_cndmask_b32_e64 v73, 0, 1, s15
	v_not_b32_e32 v172, v70
	v_cmp_gt_i32_e64 s15, 0, v70
	v_not_b32_e32 v70, v71
	v_lshlrev_b32_e32 v75, 26, v69
	v_cmp_ne_u32_e32 vcc_lo, 0, v73
	v_ashrrev_i32_e32 v172, 31, v172
	v_lshlrev_b32_e32 v171, 25, v69
	v_ashrrev_i32_e32 v70, 31, v70
	v_lshlrev_b32_e32 v73, 24, v69
	s_wait_alu 0xfffd
	v_xor_b32_e32 v68, vcc_lo, v68
	v_cmp_gt_i32_e32 vcc_lo, 0, v71
	v_not_b32_e32 v71, v72
	s_wait_alu 0xf1ff
	v_xor_b32_e32 v172, s15, v172
	v_cmp_gt_i32_e64 s15, 0, v72
	v_and_b32_e32 v68, exec_lo, v68
	v_not_b32_e32 v72, v74
	v_ashrrev_i32_e32 v71, 31, v71
	s_wait_alu 0xfffd
	v_xor_b32_e32 v70, vcc_lo, v70
	v_cmp_gt_i32_e32 vcc_lo, 0, v74
	v_and_b32_e32 v68, v68, v172
	v_not_b32_e32 v74, v75
	v_ashrrev_i32_e32 v72, 31, v72
	s_wait_alu 0xf1ff
	v_xor_b32_e32 v71, s15, v71
	v_cmp_gt_i32_e64 s15, 0, v75
	v_and_b32_e32 v68, v68, v70
	v_not_b32_e32 v70, v171
	v_ashrrev_i32_e32 v74, 31, v74
	s_wait_alu 0xfffd
	v_xor_b32_e32 v72, vcc_lo, v72
	v_cmp_gt_i32_e32 vcc_lo, 0, v171
	v_and_b32_e32 v68, v68, v71
	v_not_b32_e32 v71, v73
	v_ashrrev_i32_e32 v70, 31, v70
	s_wait_alu 0xf1ff
	v_xor_b32_e32 v74, s15, v74
	v_cmp_gt_i32_e64 s15, 0, v73
	v_and_b32_e32 v68, v68, v72
	v_ashrrev_i32_e32 v71, 31, v71
	s_wait_alu 0xfffd
	v_xor_b32_e32 v70, vcc_lo, v70
	v_mad_u32_u24 v72, v69, 36, v145
	v_mul_u32_u24_e32 v69, 36, v69
	v_and_b32_e32 v68, v68, v74
	s_wait_alu 0xf1ff
	v_xor_b32_e32 v71, s15, v71
	ds_load_b32 v171, v72 offset:1056
	v_add_nc_u32_e32 v173, v145, v69
	v_and_b32_e32 v68, v68, v70
	; wave barrier
	s_delay_alu instid0(VALU_DEP_1) | instskip(NEXT) | instid1(VALU_DEP_1)
	v_and_b32_e32 v68, v68, v71
	v_mbcnt_lo_u32_b32 v172, v68, 0
	v_cmp_ne_u32_e64 s15, 0, v68
	s_delay_alu instid0(VALU_DEP_2)
	v_cmp_eq_u32_e32 vcc_lo, 0, v172
	s_and_b32 s16, s15, vcc_lo
	s_wait_alu 0xfffe
	s_and_saveexec_b32 s15, s16
	s_cbranch_execz .LBB1124_430
; %bb.429:                              ;   in Loop: Header=BB1124_388 Depth=2
	s_wait_dscnt 0x0
	v_bcnt_u32_b32 v68, v68, v171
	ds_store_b32 v173, v68 offset:1056
.LBB1124_430:                           ;   in Loop: Header=BB1124_388 Depth=2
	s_wait_alu 0xfffe
	s_or_b32 exec_lo, exec_lo, s15
	v_cmp_gt_i64_e32 vcc_lo, 0, v[48:49]
	v_ashrrev_i32_e32 v68, 31, v49
	; wave barrier
	s_delay_alu instid0(VALU_DEP_1) | instskip(SKIP_2) | instid1(VALU_DEP_2)
	v_not_b32_e32 v68, v68
	s_wait_alu 0xfffd
	v_cndmask_b32_e64 v69, 0x7fffffff, 0, vcc_lo
	v_xor_b32_e32 v48, v68, v48
	s_delay_alu instid0(VALU_DEP_2) | instskip(NEXT) | instid1(VALU_DEP_1)
	v_xor_b32_e32 v49, v69, v49
	v_cmp_ne_u64_e32 vcc_lo, s[34:35], v[48:49]
	s_wait_alu 0xfffd
	v_cndmask_b32_e32 v69, 0x7fffffff, v49, vcc_lo
	v_cndmask_b32_e32 v68, -1, v48, vcc_lo
	s_delay_alu instid0(VALU_DEP_1) | instskip(NEXT) | instid1(VALU_DEP_1)
	v_lshrrev_b64 v[68:69], s48, v[68:69]
	v_and_b32_e32 v69, s57, v68
	s_delay_alu instid0(VALU_DEP_1)
	v_and_b32_e32 v68, 1, v69
	v_lshlrev_b32_e32 v70, 30, v69
	v_lshlrev_b32_e32 v71, 29, v69
	;; [unrolled: 1-line block ×4, first 2 shown]
	v_add_co_u32 v68, s15, v68, -1
	s_wait_alu 0xf1ff
	v_cndmask_b32_e64 v73, 0, 1, s15
	v_not_b32_e32 v175, v70
	v_cmp_gt_i32_e64 s15, 0, v70
	v_not_b32_e32 v70, v71
	v_lshlrev_b32_e32 v75, 26, v69
	v_cmp_ne_u32_e32 vcc_lo, 0, v73
	v_ashrrev_i32_e32 v175, 31, v175
	v_lshlrev_b32_e32 v174, 25, v69
	v_ashrrev_i32_e32 v70, 31, v70
	v_lshlrev_b32_e32 v73, 24, v69
	s_wait_alu 0xfffd
	v_xor_b32_e32 v68, vcc_lo, v68
	v_cmp_gt_i32_e32 vcc_lo, 0, v71
	v_not_b32_e32 v71, v72
	s_wait_alu 0xf1ff
	v_xor_b32_e32 v175, s15, v175
	v_cmp_gt_i32_e64 s15, 0, v72
	v_and_b32_e32 v68, exec_lo, v68
	v_not_b32_e32 v72, v74
	v_ashrrev_i32_e32 v71, 31, v71
	s_wait_alu 0xfffd
	v_xor_b32_e32 v70, vcc_lo, v70
	v_cmp_gt_i32_e32 vcc_lo, 0, v74
	v_and_b32_e32 v68, v68, v175
	v_not_b32_e32 v74, v75
	v_ashrrev_i32_e32 v72, 31, v72
	s_wait_alu 0xf1ff
	v_xor_b32_e32 v71, s15, v71
	v_cmp_gt_i32_e64 s15, 0, v75
	v_and_b32_e32 v68, v68, v70
	v_not_b32_e32 v70, v174
	v_ashrrev_i32_e32 v74, 31, v74
	s_wait_alu 0xfffd
	v_xor_b32_e32 v72, vcc_lo, v72
	v_cmp_gt_i32_e32 vcc_lo, 0, v174
	v_and_b32_e32 v68, v68, v71
	v_not_b32_e32 v71, v73
	v_ashrrev_i32_e32 v70, 31, v70
	s_wait_alu 0xf1ff
	v_xor_b32_e32 v74, s15, v74
	v_cmp_gt_i32_e64 s15, 0, v73
	v_and_b32_e32 v68, v68, v72
	v_ashrrev_i32_e32 v71, 31, v71
	s_wait_alu 0xfffd
	v_xor_b32_e32 v70, vcc_lo, v70
	v_mad_u32_u24 v72, v69, 36, v145
	v_mul_u32_u24_e32 v69, 36, v69
	v_and_b32_e32 v68, v68, v74
	s_wait_alu 0xf1ff
	v_xor_b32_e32 v71, s15, v71
	ds_load_b32 v174, v72 offset:1056
	v_add_nc_u32_e32 v176, v145, v69
	v_and_b32_e32 v68, v68, v70
	; wave barrier
	s_delay_alu instid0(VALU_DEP_1) | instskip(NEXT) | instid1(VALU_DEP_1)
	v_and_b32_e32 v68, v68, v71
	v_mbcnt_lo_u32_b32 v175, v68, 0
	v_cmp_ne_u32_e64 s15, 0, v68
	s_delay_alu instid0(VALU_DEP_2)
	v_cmp_eq_u32_e32 vcc_lo, 0, v175
	s_and_b32 s16, s15, vcc_lo
	s_wait_alu 0xfffe
	s_and_saveexec_b32 s15, s16
	s_cbranch_execz .LBB1124_432
; %bb.431:                              ;   in Loop: Header=BB1124_388 Depth=2
	s_wait_dscnt 0x0
	v_bcnt_u32_b32 v68, v68, v174
	ds_store_b32 v176, v68 offset:1056
.LBB1124_432:                           ;   in Loop: Header=BB1124_388 Depth=2
	s_wait_alu 0xfffe
	s_or_b32 exec_lo, exec_lo, s15
	v_cmp_gt_i64_e32 vcc_lo, 0, v[52:53]
	v_ashrrev_i32_e32 v68, 31, v53
	; wave barrier
	s_delay_alu instid0(VALU_DEP_1) | instskip(SKIP_2) | instid1(VALU_DEP_2)
	v_not_b32_e32 v68, v68
	s_wait_alu 0xfffd
	v_cndmask_b32_e64 v69, 0x7fffffff, 0, vcc_lo
	v_xor_b32_e32 v52, v68, v52
	s_delay_alu instid0(VALU_DEP_2) | instskip(NEXT) | instid1(VALU_DEP_1)
	v_xor_b32_e32 v53, v69, v53
	v_cmp_ne_u64_e32 vcc_lo, s[34:35], v[52:53]
	s_wait_alu 0xfffd
	v_cndmask_b32_e32 v69, 0x7fffffff, v53, vcc_lo
	v_cndmask_b32_e32 v68, -1, v52, vcc_lo
	s_delay_alu instid0(VALU_DEP_1) | instskip(NEXT) | instid1(VALU_DEP_1)
	v_lshrrev_b64 v[68:69], s48, v[68:69]
	v_and_b32_e32 v69, s57, v68
	s_delay_alu instid0(VALU_DEP_1)
	v_and_b32_e32 v68, 1, v69
	v_lshlrev_b32_e32 v70, 30, v69
	v_lshlrev_b32_e32 v71, 29, v69
	v_lshlrev_b32_e32 v72, 28, v69
	v_lshlrev_b32_e32 v74, 27, v69
	v_add_co_u32 v68, s15, v68, -1
	s_wait_alu 0xf1ff
	v_cndmask_b32_e64 v73, 0, 1, s15
	v_not_b32_e32 v178, v70
	v_cmp_gt_i32_e64 s15, 0, v70
	v_not_b32_e32 v70, v71
	v_lshlrev_b32_e32 v75, 26, v69
	v_cmp_ne_u32_e32 vcc_lo, 0, v73
	v_ashrrev_i32_e32 v178, 31, v178
	v_lshlrev_b32_e32 v177, 25, v69
	v_ashrrev_i32_e32 v70, 31, v70
	v_lshlrev_b32_e32 v73, 24, v69
	s_wait_alu 0xfffd
	v_xor_b32_e32 v68, vcc_lo, v68
	v_cmp_gt_i32_e32 vcc_lo, 0, v71
	v_not_b32_e32 v71, v72
	s_wait_alu 0xf1ff
	v_xor_b32_e32 v178, s15, v178
	v_cmp_gt_i32_e64 s15, 0, v72
	v_and_b32_e32 v68, exec_lo, v68
	v_not_b32_e32 v72, v74
	v_ashrrev_i32_e32 v71, 31, v71
	s_wait_alu 0xfffd
	v_xor_b32_e32 v70, vcc_lo, v70
	v_cmp_gt_i32_e32 vcc_lo, 0, v74
	v_and_b32_e32 v68, v68, v178
	v_not_b32_e32 v74, v75
	v_ashrrev_i32_e32 v72, 31, v72
	s_wait_alu 0xf1ff
	v_xor_b32_e32 v71, s15, v71
	v_cmp_gt_i32_e64 s15, 0, v75
	v_and_b32_e32 v68, v68, v70
	v_not_b32_e32 v70, v177
	v_ashrrev_i32_e32 v74, 31, v74
	s_wait_alu 0xfffd
	v_xor_b32_e32 v72, vcc_lo, v72
	v_cmp_gt_i32_e32 vcc_lo, 0, v177
	v_and_b32_e32 v68, v68, v71
	v_not_b32_e32 v71, v73
	v_ashrrev_i32_e32 v70, 31, v70
	s_wait_alu 0xf1ff
	v_xor_b32_e32 v74, s15, v74
	v_cmp_gt_i32_e64 s15, 0, v73
	v_and_b32_e32 v68, v68, v72
	v_ashrrev_i32_e32 v71, 31, v71
	s_wait_alu 0xfffd
	v_xor_b32_e32 v70, vcc_lo, v70
	v_mad_u32_u24 v72, v69, 36, v145
	v_mul_u32_u24_e32 v69, 36, v69
	v_and_b32_e32 v68, v68, v74
	s_wait_alu 0xf1ff
	v_xor_b32_e32 v71, s15, v71
	ds_load_b32 v177, v72 offset:1056
	v_add_nc_u32_e32 v179, v145, v69
	v_and_b32_e32 v68, v68, v70
	; wave barrier
	s_delay_alu instid0(VALU_DEP_1) | instskip(NEXT) | instid1(VALU_DEP_1)
	v_and_b32_e32 v68, v68, v71
	v_mbcnt_lo_u32_b32 v178, v68, 0
	v_cmp_ne_u32_e64 s15, 0, v68
	s_delay_alu instid0(VALU_DEP_2)
	v_cmp_eq_u32_e32 vcc_lo, 0, v178
	s_and_b32 s16, s15, vcc_lo
	s_wait_alu 0xfffe
	s_and_saveexec_b32 s15, s16
	s_cbranch_execz .LBB1124_434
; %bb.433:                              ;   in Loop: Header=BB1124_388 Depth=2
	s_wait_dscnt 0x0
	v_bcnt_u32_b32 v68, v68, v177
	ds_store_b32 v179, v68 offset:1056
.LBB1124_434:                           ;   in Loop: Header=BB1124_388 Depth=2
	s_wait_alu 0xfffe
	s_or_b32 exec_lo, exec_lo, s15
	v_cmp_gt_i64_e32 vcc_lo, 0, v[56:57]
	v_ashrrev_i32_e32 v68, 31, v57
	; wave barrier
	s_delay_alu instid0(VALU_DEP_1) | instskip(SKIP_2) | instid1(VALU_DEP_2)
	v_not_b32_e32 v68, v68
	s_wait_alu 0xfffd
	v_cndmask_b32_e64 v69, 0x7fffffff, 0, vcc_lo
	v_xor_b32_e32 v56, v68, v56
	s_delay_alu instid0(VALU_DEP_2) | instskip(NEXT) | instid1(VALU_DEP_1)
	v_xor_b32_e32 v57, v69, v57
	v_cmp_ne_u64_e32 vcc_lo, s[34:35], v[56:57]
	s_wait_alu 0xfffd
	v_cndmask_b32_e32 v69, 0x7fffffff, v57, vcc_lo
	v_cndmask_b32_e32 v68, -1, v56, vcc_lo
	s_delay_alu instid0(VALU_DEP_1) | instskip(NEXT) | instid1(VALU_DEP_1)
	v_lshrrev_b64 v[68:69], s48, v[68:69]
	v_and_b32_e32 v69, s57, v68
	s_delay_alu instid0(VALU_DEP_1)
	v_and_b32_e32 v68, 1, v69
	v_lshlrev_b32_e32 v70, 30, v69
	v_lshlrev_b32_e32 v71, 29, v69
	;; [unrolled: 1-line block ×4, first 2 shown]
	v_add_co_u32 v68, s15, v68, -1
	s_wait_alu 0xf1ff
	v_cndmask_b32_e64 v73, 0, 1, s15
	v_not_b32_e32 v181, v70
	v_cmp_gt_i32_e64 s15, 0, v70
	v_not_b32_e32 v70, v71
	v_lshlrev_b32_e32 v75, 26, v69
	v_cmp_ne_u32_e32 vcc_lo, 0, v73
	v_ashrrev_i32_e32 v181, 31, v181
	v_lshlrev_b32_e32 v180, 25, v69
	v_ashrrev_i32_e32 v70, 31, v70
	v_lshlrev_b32_e32 v73, 24, v69
	s_wait_alu 0xfffd
	v_xor_b32_e32 v68, vcc_lo, v68
	v_cmp_gt_i32_e32 vcc_lo, 0, v71
	v_not_b32_e32 v71, v72
	s_wait_alu 0xf1ff
	v_xor_b32_e32 v181, s15, v181
	v_cmp_gt_i32_e64 s15, 0, v72
	v_and_b32_e32 v68, exec_lo, v68
	v_not_b32_e32 v72, v74
	v_ashrrev_i32_e32 v71, 31, v71
	s_wait_alu 0xfffd
	v_xor_b32_e32 v70, vcc_lo, v70
	v_cmp_gt_i32_e32 vcc_lo, 0, v74
	v_and_b32_e32 v68, v68, v181
	v_not_b32_e32 v74, v75
	v_ashrrev_i32_e32 v72, 31, v72
	s_wait_alu 0xf1ff
	v_xor_b32_e32 v71, s15, v71
	v_cmp_gt_i32_e64 s15, 0, v75
	v_and_b32_e32 v68, v68, v70
	v_not_b32_e32 v70, v180
	v_ashrrev_i32_e32 v74, 31, v74
	s_wait_alu 0xfffd
	v_xor_b32_e32 v72, vcc_lo, v72
	v_cmp_gt_i32_e32 vcc_lo, 0, v180
	v_and_b32_e32 v68, v68, v71
	v_not_b32_e32 v71, v73
	v_ashrrev_i32_e32 v70, 31, v70
	s_wait_alu 0xf1ff
	v_xor_b32_e32 v74, s15, v74
	v_cmp_gt_i32_e64 s15, 0, v73
	v_and_b32_e32 v68, v68, v72
	v_ashrrev_i32_e32 v71, 31, v71
	s_wait_alu 0xfffd
	v_xor_b32_e32 v70, vcc_lo, v70
	v_mad_u32_u24 v72, v69, 36, v145
	v_mul_u32_u24_e32 v69, 36, v69
	v_and_b32_e32 v68, v68, v74
	s_wait_alu 0xf1ff
	v_xor_b32_e32 v71, s15, v71
	ds_load_b32 v180, v72 offset:1056
	v_add_nc_u32_e32 v182, v145, v69
	v_and_b32_e32 v68, v68, v70
	; wave barrier
	s_delay_alu instid0(VALU_DEP_1) | instskip(NEXT) | instid1(VALU_DEP_1)
	v_and_b32_e32 v68, v68, v71
	v_mbcnt_lo_u32_b32 v181, v68, 0
	v_cmp_ne_u32_e64 s15, 0, v68
	s_delay_alu instid0(VALU_DEP_2)
	v_cmp_eq_u32_e32 vcc_lo, 0, v181
	s_and_b32 s16, s15, vcc_lo
	s_wait_alu 0xfffe
	s_and_saveexec_b32 s15, s16
	s_cbranch_execz .LBB1124_436
; %bb.435:                              ;   in Loop: Header=BB1124_388 Depth=2
	s_wait_dscnt 0x0
	v_bcnt_u32_b32 v68, v68, v180
	ds_store_b32 v182, v68 offset:1056
.LBB1124_436:                           ;   in Loop: Header=BB1124_388 Depth=2
	s_wait_alu 0xfffe
	s_or_b32 exec_lo, exec_lo, s15
	v_cmp_gt_i64_e32 vcc_lo, 0, v[60:61]
	v_ashrrev_i32_e32 v68, 31, v61
	; wave barrier
	s_delay_alu instid0(VALU_DEP_1) | instskip(SKIP_2) | instid1(VALU_DEP_2)
	v_not_b32_e32 v68, v68
	s_wait_alu 0xfffd
	v_cndmask_b32_e64 v69, 0x7fffffff, 0, vcc_lo
	v_xor_b32_e32 v60, v68, v60
	s_delay_alu instid0(VALU_DEP_2) | instskip(NEXT) | instid1(VALU_DEP_1)
	v_xor_b32_e32 v61, v69, v61
	v_cmp_ne_u64_e32 vcc_lo, s[34:35], v[60:61]
	s_wait_alu 0xfffd
	v_cndmask_b32_e32 v69, 0x7fffffff, v61, vcc_lo
	v_cndmask_b32_e32 v68, -1, v60, vcc_lo
	s_delay_alu instid0(VALU_DEP_1) | instskip(NEXT) | instid1(VALU_DEP_1)
	v_lshrrev_b64 v[68:69], s48, v[68:69]
	v_and_b32_e32 v69, s57, v68
	s_delay_alu instid0(VALU_DEP_1)
	v_and_b32_e32 v68, 1, v69
	v_lshlrev_b32_e32 v70, 30, v69
	v_lshlrev_b32_e32 v71, 29, v69
	;; [unrolled: 1-line block ×4, first 2 shown]
	v_add_co_u32 v68, s15, v68, -1
	s_wait_alu 0xf1ff
	v_cndmask_b32_e64 v73, 0, 1, s15
	v_not_b32_e32 v184, v70
	v_cmp_gt_i32_e64 s15, 0, v70
	v_not_b32_e32 v70, v71
	v_lshlrev_b32_e32 v75, 26, v69
	v_cmp_ne_u32_e32 vcc_lo, 0, v73
	v_ashrrev_i32_e32 v184, 31, v184
	v_lshlrev_b32_e32 v183, 25, v69
	v_ashrrev_i32_e32 v70, 31, v70
	v_lshlrev_b32_e32 v73, 24, v69
	s_wait_alu 0xfffd
	v_xor_b32_e32 v68, vcc_lo, v68
	v_cmp_gt_i32_e32 vcc_lo, 0, v71
	v_not_b32_e32 v71, v72
	s_wait_alu 0xf1ff
	v_xor_b32_e32 v184, s15, v184
	v_cmp_gt_i32_e64 s15, 0, v72
	v_and_b32_e32 v68, exec_lo, v68
	v_not_b32_e32 v72, v74
	v_ashrrev_i32_e32 v71, 31, v71
	s_wait_alu 0xfffd
	v_xor_b32_e32 v70, vcc_lo, v70
	v_cmp_gt_i32_e32 vcc_lo, 0, v74
	v_and_b32_e32 v68, v68, v184
	v_not_b32_e32 v74, v75
	v_ashrrev_i32_e32 v72, 31, v72
	s_wait_alu 0xf1ff
	v_xor_b32_e32 v71, s15, v71
	v_cmp_gt_i32_e64 s15, 0, v75
	v_and_b32_e32 v68, v68, v70
	v_not_b32_e32 v70, v183
	v_ashrrev_i32_e32 v74, 31, v74
	s_wait_alu 0xfffd
	v_xor_b32_e32 v72, vcc_lo, v72
	v_cmp_gt_i32_e32 vcc_lo, 0, v183
	v_and_b32_e32 v68, v68, v71
	v_not_b32_e32 v71, v73
	v_ashrrev_i32_e32 v70, 31, v70
	s_wait_alu 0xf1ff
	v_xor_b32_e32 v74, s15, v74
	v_cmp_gt_i32_e64 s15, 0, v73
	v_and_b32_e32 v68, v68, v72
	v_ashrrev_i32_e32 v71, 31, v71
	s_wait_alu 0xfffd
	v_xor_b32_e32 v70, vcc_lo, v70
	v_mad_u32_u24 v72, v69, 36, v145
	v_mul_u32_u24_e32 v69, 36, v69
	v_and_b32_e32 v68, v68, v74
	s_wait_alu 0xf1ff
	v_xor_b32_e32 v71, s15, v71
	ds_load_b32 v183, v72 offset:1056
	v_add_nc_u32_e32 v185, v145, v69
	v_and_b32_e32 v68, v68, v70
	; wave barrier
	s_delay_alu instid0(VALU_DEP_1) | instskip(NEXT) | instid1(VALU_DEP_1)
	v_and_b32_e32 v68, v68, v71
	v_mbcnt_lo_u32_b32 v184, v68, 0
	v_cmp_ne_u32_e64 s15, 0, v68
	s_delay_alu instid0(VALU_DEP_2)
	v_cmp_eq_u32_e32 vcc_lo, 0, v184
	s_and_b32 s16, s15, vcc_lo
	s_wait_alu 0xfffe
	s_and_saveexec_b32 s15, s16
	s_cbranch_execz .LBB1124_438
; %bb.437:                              ;   in Loop: Header=BB1124_388 Depth=2
	s_wait_dscnt 0x0
	v_bcnt_u32_b32 v68, v68, v183
	ds_store_b32 v185, v68 offset:1056
.LBB1124_438:                           ;   in Loop: Header=BB1124_388 Depth=2
	s_wait_alu 0xfffe
	s_or_b32 exec_lo, exec_lo, s15
	v_cmp_gt_i64_e32 vcc_lo, 0, v[64:65]
	v_ashrrev_i32_e32 v68, 31, v65
	; wave barrier
	s_delay_alu instid0(VALU_DEP_1) | instskip(SKIP_2) | instid1(VALU_DEP_2)
	v_not_b32_e32 v68, v68
	s_wait_alu 0xfffd
	v_cndmask_b32_e64 v69, 0x7fffffff, 0, vcc_lo
	v_xor_b32_e32 v64, v68, v64
	s_delay_alu instid0(VALU_DEP_2) | instskip(NEXT) | instid1(VALU_DEP_1)
	v_xor_b32_e32 v65, v69, v65
	v_cmp_ne_u64_e32 vcc_lo, s[34:35], v[64:65]
	s_wait_alu 0xfffd
	v_cndmask_b32_e32 v69, 0x7fffffff, v65, vcc_lo
	v_cndmask_b32_e32 v68, -1, v64, vcc_lo
	s_delay_alu instid0(VALU_DEP_1) | instskip(NEXT) | instid1(VALU_DEP_1)
	v_lshrrev_b64 v[68:69], s48, v[68:69]
	v_and_b32_e32 v69, s57, v68
	s_delay_alu instid0(VALU_DEP_1)
	v_and_b32_e32 v68, 1, v69
	v_lshlrev_b32_e32 v70, 30, v69
	v_lshlrev_b32_e32 v71, 29, v69
	;; [unrolled: 1-line block ×4, first 2 shown]
	v_add_co_u32 v68, s15, v68, -1
	s_wait_alu 0xf1ff
	v_cndmask_b32_e64 v73, 0, 1, s15
	v_not_b32_e32 v187, v70
	v_cmp_gt_i32_e64 s15, 0, v70
	v_not_b32_e32 v70, v71
	v_lshlrev_b32_e32 v75, 26, v69
	v_cmp_ne_u32_e32 vcc_lo, 0, v73
	v_ashrrev_i32_e32 v187, 31, v187
	v_lshlrev_b32_e32 v186, 25, v69
	v_ashrrev_i32_e32 v70, 31, v70
	v_lshlrev_b32_e32 v73, 24, v69
	s_wait_alu 0xfffd
	v_xor_b32_e32 v68, vcc_lo, v68
	v_cmp_gt_i32_e32 vcc_lo, 0, v71
	v_not_b32_e32 v71, v72
	s_wait_alu 0xf1ff
	v_xor_b32_e32 v187, s15, v187
	v_cmp_gt_i32_e64 s15, 0, v72
	v_and_b32_e32 v68, exec_lo, v68
	v_not_b32_e32 v72, v74
	v_ashrrev_i32_e32 v71, 31, v71
	s_wait_alu 0xfffd
	v_xor_b32_e32 v70, vcc_lo, v70
	v_cmp_gt_i32_e32 vcc_lo, 0, v74
	v_and_b32_e32 v68, v68, v187
	v_not_b32_e32 v74, v75
	v_ashrrev_i32_e32 v72, 31, v72
	s_wait_alu 0xf1ff
	v_xor_b32_e32 v71, s15, v71
	v_cmp_gt_i32_e64 s15, 0, v75
	v_and_b32_e32 v68, v68, v70
	v_not_b32_e32 v70, v186
	v_ashrrev_i32_e32 v74, 31, v74
	s_wait_alu 0xfffd
	v_xor_b32_e32 v72, vcc_lo, v72
	v_cmp_gt_i32_e32 vcc_lo, 0, v186
	v_and_b32_e32 v68, v68, v71
	v_not_b32_e32 v71, v73
	v_ashrrev_i32_e32 v70, 31, v70
	s_wait_alu 0xf1ff
	v_xor_b32_e32 v74, s15, v74
	v_cmp_gt_i32_e64 s15, 0, v73
	v_and_b32_e32 v68, v68, v72
	v_ashrrev_i32_e32 v71, 31, v71
	s_wait_alu 0xfffd
	v_xor_b32_e32 v70, vcc_lo, v70
	v_mad_u32_u24 v72, v69, 36, v145
	v_mul_u32_u24_e32 v69, 36, v69
	v_and_b32_e32 v68, v68, v74
	s_wait_alu 0xf1ff
	v_xor_b32_e32 v71, s15, v71
	ds_load_b32 v186, v72 offset:1056
	v_add_nc_u32_e32 v188, v145, v69
	v_and_b32_e32 v68, v68, v70
	; wave barrier
	s_delay_alu instid0(VALU_DEP_1) | instskip(NEXT) | instid1(VALU_DEP_1)
	v_and_b32_e32 v68, v68, v71
	v_mbcnt_lo_u32_b32 v187, v68, 0
	v_cmp_ne_u32_e64 s15, 0, v68
	s_delay_alu instid0(VALU_DEP_2)
	v_cmp_eq_u32_e32 vcc_lo, 0, v187
	s_and_b32 s16, s15, vcc_lo
	s_wait_alu 0xfffe
	s_and_saveexec_b32 s15, s16
	s_cbranch_execz .LBB1124_440
; %bb.439:                              ;   in Loop: Header=BB1124_388 Depth=2
	s_wait_dscnt 0x0
	v_bcnt_u32_b32 v68, v68, v186
	ds_store_b32 v188, v68 offset:1056
.LBB1124_440:                           ;   in Loop: Header=BB1124_388 Depth=2
	s_wait_alu 0xfffe
	s_or_b32 exec_lo, exec_lo, s15
	v_cmp_gt_i64_e32 vcc_lo, 0, v[66:67]
	v_ashrrev_i32_e32 v68, 31, v67
	; wave barrier
	s_delay_alu instid0(VALU_DEP_1) | instskip(SKIP_2) | instid1(VALU_DEP_2)
	v_not_b32_e32 v68, v68
	s_wait_alu 0xfffd
	v_cndmask_b32_e64 v69, 0x7fffffff, 0, vcc_lo
	v_xor_b32_e32 v66, v68, v66
	s_delay_alu instid0(VALU_DEP_2) | instskip(NEXT) | instid1(VALU_DEP_1)
	v_xor_b32_e32 v67, v69, v67
	v_cmp_ne_u64_e32 vcc_lo, s[34:35], v[66:67]
	s_wait_alu 0xfffd
	v_cndmask_b32_e32 v69, 0x7fffffff, v67, vcc_lo
	v_cndmask_b32_e32 v68, -1, v66, vcc_lo
	s_delay_alu instid0(VALU_DEP_1) | instskip(NEXT) | instid1(VALU_DEP_1)
	v_lshrrev_b64 v[68:69], s48, v[68:69]
	v_and_b32_e32 v69, s57, v68
	s_delay_alu instid0(VALU_DEP_1)
	v_and_b32_e32 v68, 1, v69
	v_lshlrev_b32_e32 v70, 30, v69
	v_lshlrev_b32_e32 v71, 29, v69
	;; [unrolled: 1-line block ×4, first 2 shown]
	v_add_co_u32 v68, s15, v68, -1
	s_wait_alu 0xf1ff
	v_cndmask_b32_e64 v73, 0, 1, s15
	v_not_b32_e32 v190, v70
	v_cmp_gt_i32_e64 s15, 0, v70
	v_not_b32_e32 v70, v71
	v_lshlrev_b32_e32 v75, 26, v69
	v_cmp_ne_u32_e32 vcc_lo, 0, v73
	v_ashrrev_i32_e32 v190, 31, v190
	v_lshlrev_b32_e32 v189, 25, v69
	v_ashrrev_i32_e32 v70, 31, v70
	v_lshlrev_b32_e32 v73, 24, v69
	s_wait_alu 0xfffd
	v_xor_b32_e32 v68, vcc_lo, v68
	v_cmp_gt_i32_e32 vcc_lo, 0, v71
	v_not_b32_e32 v71, v72
	s_wait_alu 0xf1ff
	v_xor_b32_e32 v190, s15, v190
	v_cmp_gt_i32_e64 s15, 0, v72
	v_and_b32_e32 v68, exec_lo, v68
	v_not_b32_e32 v72, v74
	v_ashrrev_i32_e32 v71, 31, v71
	s_wait_alu 0xfffd
	v_xor_b32_e32 v70, vcc_lo, v70
	v_cmp_gt_i32_e32 vcc_lo, 0, v74
	v_and_b32_e32 v68, v68, v190
	v_not_b32_e32 v74, v75
	v_ashrrev_i32_e32 v72, 31, v72
	s_wait_alu 0xf1ff
	v_xor_b32_e32 v71, s15, v71
	v_cmp_gt_i32_e64 s15, 0, v75
	v_and_b32_e32 v68, v68, v70
	v_not_b32_e32 v70, v189
	v_ashrrev_i32_e32 v74, 31, v74
	s_wait_alu 0xfffd
	v_xor_b32_e32 v72, vcc_lo, v72
	v_cmp_gt_i32_e32 vcc_lo, 0, v189
	v_and_b32_e32 v68, v68, v71
	v_not_b32_e32 v71, v73
	v_ashrrev_i32_e32 v70, 31, v70
	s_wait_alu 0xf1ff
	v_xor_b32_e32 v74, s15, v74
	v_cmp_gt_i32_e64 s15, 0, v73
	v_and_b32_e32 v68, v68, v72
	v_ashrrev_i32_e32 v71, 31, v71
	s_wait_alu 0xfffd
	v_xor_b32_e32 v70, vcc_lo, v70
	v_mad_u32_u24 v72, v69, 36, v145
	v_mul_u32_u24_e32 v69, 36, v69
	v_and_b32_e32 v68, v68, v74
	s_wait_alu 0xf1ff
	v_xor_b32_e32 v71, s15, v71
	ds_load_b32 v189, v72 offset:1056
	v_add_nc_u32_e32 v191, v145, v69
	v_and_b32_e32 v68, v68, v70
	; wave barrier
	s_delay_alu instid0(VALU_DEP_1) | instskip(NEXT) | instid1(VALU_DEP_1)
	v_and_b32_e32 v68, v68, v71
	v_mbcnt_lo_u32_b32 v190, v68, 0
	v_cmp_ne_u32_e64 s15, 0, v68
	s_delay_alu instid0(VALU_DEP_2)
	v_cmp_eq_u32_e32 vcc_lo, 0, v190
	s_and_b32 s16, s15, vcc_lo
	s_wait_alu 0xfffe
	s_and_saveexec_b32 s15, s16
	s_cbranch_execz .LBB1124_442
; %bb.441:                              ;   in Loop: Header=BB1124_388 Depth=2
	s_wait_dscnt 0x0
	v_bcnt_u32_b32 v68, v68, v189
	ds_store_b32 v191, v68 offset:1056
.LBB1124_442:                           ;   in Loop: Header=BB1124_388 Depth=2
	s_wait_alu 0xfffe
	s_or_b32 exec_lo, exec_lo, s15
	v_cmp_gt_i64_e32 vcc_lo, 0, v[62:63]
	v_ashrrev_i32_e32 v68, 31, v63
	; wave barrier
	s_delay_alu instid0(VALU_DEP_1) | instskip(SKIP_2) | instid1(VALU_DEP_2)
	v_not_b32_e32 v68, v68
	s_wait_alu 0xfffd
	v_cndmask_b32_e64 v69, 0x7fffffff, 0, vcc_lo
	v_xor_b32_e32 v62, v68, v62
	s_delay_alu instid0(VALU_DEP_2) | instskip(NEXT) | instid1(VALU_DEP_1)
	v_xor_b32_e32 v63, v69, v63
	v_cmp_ne_u64_e32 vcc_lo, s[34:35], v[62:63]
	s_wait_alu 0xfffd
	v_cndmask_b32_e32 v69, 0x7fffffff, v63, vcc_lo
	v_cndmask_b32_e32 v68, -1, v62, vcc_lo
	s_delay_alu instid0(VALU_DEP_1) | instskip(NEXT) | instid1(VALU_DEP_1)
	v_lshrrev_b64 v[68:69], s48, v[68:69]
	v_and_b32_e32 v69, s57, v68
	s_delay_alu instid0(VALU_DEP_1)
	v_and_b32_e32 v68, 1, v69
	v_lshlrev_b32_e32 v70, 30, v69
	v_lshlrev_b32_e32 v71, 29, v69
	;; [unrolled: 1-line block ×4, first 2 shown]
	v_add_co_u32 v68, s15, v68, -1
	s_wait_alu 0xf1ff
	v_cndmask_b32_e64 v73, 0, 1, s15
	v_not_b32_e32 v193, v70
	v_cmp_gt_i32_e64 s15, 0, v70
	v_not_b32_e32 v70, v71
	v_lshlrev_b32_e32 v75, 26, v69
	v_cmp_ne_u32_e32 vcc_lo, 0, v73
	v_ashrrev_i32_e32 v193, 31, v193
	v_lshlrev_b32_e32 v192, 25, v69
	v_ashrrev_i32_e32 v70, 31, v70
	v_lshlrev_b32_e32 v73, 24, v69
	s_wait_alu 0xfffd
	v_xor_b32_e32 v68, vcc_lo, v68
	v_cmp_gt_i32_e32 vcc_lo, 0, v71
	v_not_b32_e32 v71, v72
	s_wait_alu 0xf1ff
	v_xor_b32_e32 v193, s15, v193
	v_cmp_gt_i32_e64 s15, 0, v72
	v_and_b32_e32 v68, exec_lo, v68
	v_not_b32_e32 v72, v74
	v_ashrrev_i32_e32 v71, 31, v71
	s_wait_alu 0xfffd
	v_xor_b32_e32 v70, vcc_lo, v70
	v_cmp_gt_i32_e32 vcc_lo, 0, v74
	v_and_b32_e32 v68, v68, v193
	v_not_b32_e32 v74, v75
	v_ashrrev_i32_e32 v72, 31, v72
	s_wait_alu 0xf1ff
	v_xor_b32_e32 v71, s15, v71
	v_cmp_gt_i32_e64 s15, 0, v75
	v_and_b32_e32 v68, v68, v70
	v_not_b32_e32 v70, v192
	v_ashrrev_i32_e32 v74, 31, v74
	s_wait_alu 0xfffd
	v_xor_b32_e32 v72, vcc_lo, v72
	v_cmp_gt_i32_e32 vcc_lo, 0, v192
	v_and_b32_e32 v68, v68, v71
	v_not_b32_e32 v71, v73
	v_ashrrev_i32_e32 v70, 31, v70
	s_wait_alu 0xf1ff
	v_xor_b32_e32 v74, s15, v74
	v_cmp_gt_i32_e64 s15, 0, v73
	v_and_b32_e32 v68, v68, v72
	v_ashrrev_i32_e32 v71, 31, v71
	s_wait_alu 0xfffd
	v_xor_b32_e32 v70, vcc_lo, v70
	v_mad_u32_u24 v72, v69, 36, v145
	v_mul_u32_u24_e32 v69, 36, v69
	v_and_b32_e32 v68, v68, v74
	s_wait_alu 0xf1ff
	v_xor_b32_e32 v71, s15, v71
	ds_load_b32 v192, v72 offset:1056
	v_add_nc_u32_e32 v194, v145, v69
	v_and_b32_e32 v68, v68, v70
	; wave barrier
	s_delay_alu instid0(VALU_DEP_1) | instskip(NEXT) | instid1(VALU_DEP_1)
	v_and_b32_e32 v68, v68, v71
	v_mbcnt_lo_u32_b32 v193, v68, 0
	v_cmp_ne_u32_e64 s15, 0, v68
	s_delay_alu instid0(VALU_DEP_2)
	v_cmp_eq_u32_e32 vcc_lo, 0, v193
	s_and_b32 s16, s15, vcc_lo
	s_wait_alu 0xfffe
	s_and_saveexec_b32 s15, s16
	s_cbranch_execz .LBB1124_444
; %bb.443:                              ;   in Loop: Header=BB1124_388 Depth=2
	s_wait_dscnt 0x0
	v_bcnt_u32_b32 v68, v68, v192
	ds_store_b32 v194, v68 offset:1056
.LBB1124_444:                           ;   in Loop: Header=BB1124_388 Depth=2
	s_wait_alu 0xfffe
	s_or_b32 exec_lo, exec_lo, s15
	v_cmp_gt_i64_e32 vcc_lo, 0, v[58:59]
	v_ashrrev_i32_e32 v68, 31, v59
	; wave barrier
	s_delay_alu instid0(VALU_DEP_1) | instskip(SKIP_2) | instid1(VALU_DEP_2)
	v_not_b32_e32 v68, v68
	s_wait_alu 0xfffd
	v_cndmask_b32_e64 v69, 0x7fffffff, 0, vcc_lo
	v_xor_b32_e32 v58, v68, v58
	s_delay_alu instid0(VALU_DEP_2) | instskip(NEXT) | instid1(VALU_DEP_1)
	v_xor_b32_e32 v59, v69, v59
	v_cmp_ne_u64_e32 vcc_lo, s[34:35], v[58:59]
	s_wait_alu 0xfffd
	v_cndmask_b32_e32 v69, 0x7fffffff, v59, vcc_lo
	v_cndmask_b32_e32 v68, -1, v58, vcc_lo
	s_delay_alu instid0(VALU_DEP_1) | instskip(NEXT) | instid1(VALU_DEP_1)
	v_lshrrev_b64 v[68:69], s48, v[68:69]
	v_and_b32_e32 v69, s57, v68
	s_delay_alu instid0(VALU_DEP_1)
	v_and_b32_e32 v68, 1, v69
	v_lshlrev_b32_e32 v70, 30, v69
	v_lshlrev_b32_e32 v71, 29, v69
	;; [unrolled: 1-line block ×4, first 2 shown]
	v_add_co_u32 v68, s15, v68, -1
	s_wait_alu 0xf1ff
	v_cndmask_b32_e64 v73, 0, 1, s15
	v_not_b32_e32 v196, v70
	v_cmp_gt_i32_e64 s15, 0, v70
	v_not_b32_e32 v70, v71
	v_lshlrev_b32_e32 v75, 26, v69
	v_cmp_ne_u32_e32 vcc_lo, 0, v73
	v_ashrrev_i32_e32 v196, 31, v196
	v_lshlrev_b32_e32 v195, 25, v69
	v_ashrrev_i32_e32 v70, 31, v70
	v_lshlrev_b32_e32 v73, 24, v69
	s_wait_alu 0xfffd
	v_xor_b32_e32 v68, vcc_lo, v68
	v_cmp_gt_i32_e32 vcc_lo, 0, v71
	v_not_b32_e32 v71, v72
	s_wait_alu 0xf1ff
	v_xor_b32_e32 v196, s15, v196
	v_cmp_gt_i32_e64 s15, 0, v72
	v_and_b32_e32 v68, exec_lo, v68
	v_not_b32_e32 v72, v74
	v_ashrrev_i32_e32 v71, 31, v71
	s_wait_alu 0xfffd
	v_xor_b32_e32 v70, vcc_lo, v70
	v_cmp_gt_i32_e32 vcc_lo, 0, v74
	v_and_b32_e32 v68, v68, v196
	v_not_b32_e32 v74, v75
	v_ashrrev_i32_e32 v72, 31, v72
	s_wait_alu 0xf1ff
	v_xor_b32_e32 v71, s15, v71
	v_cmp_gt_i32_e64 s15, 0, v75
	v_and_b32_e32 v68, v68, v70
	v_not_b32_e32 v70, v195
	v_ashrrev_i32_e32 v74, 31, v74
	s_wait_alu 0xfffd
	v_xor_b32_e32 v72, vcc_lo, v72
	v_cmp_gt_i32_e32 vcc_lo, 0, v195
	v_and_b32_e32 v68, v68, v71
	v_not_b32_e32 v71, v73
	v_ashrrev_i32_e32 v70, 31, v70
	s_wait_alu 0xf1ff
	v_xor_b32_e32 v74, s15, v74
	v_cmp_gt_i32_e64 s15, 0, v73
	v_and_b32_e32 v68, v68, v72
	v_ashrrev_i32_e32 v71, 31, v71
	s_wait_alu 0xfffd
	v_xor_b32_e32 v70, vcc_lo, v70
	v_mad_u32_u24 v72, v69, 36, v145
	v_mul_u32_u24_e32 v69, 36, v69
	v_and_b32_e32 v68, v68, v74
	s_wait_alu 0xf1ff
	v_xor_b32_e32 v71, s15, v71
	ds_load_b32 v195, v72 offset:1056
	v_add_nc_u32_e32 v197, v145, v69
	v_and_b32_e32 v68, v68, v70
	; wave barrier
	s_delay_alu instid0(VALU_DEP_1) | instskip(NEXT) | instid1(VALU_DEP_1)
	v_and_b32_e32 v68, v68, v71
	v_mbcnt_lo_u32_b32 v196, v68, 0
	v_cmp_ne_u32_e64 s15, 0, v68
	s_delay_alu instid0(VALU_DEP_2)
	v_cmp_eq_u32_e32 vcc_lo, 0, v196
	s_and_b32 s16, s15, vcc_lo
	s_wait_alu 0xfffe
	s_and_saveexec_b32 s15, s16
	s_cbranch_execz .LBB1124_446
; %bb.445:                              ;   in Loop: Header=BB1124_388 Depth=2
	s_wait_dscnt 0x0
	v_bcnt_u32_b32 v68, v68, v195
	ds_store_b32 v197, v68 offset:1056
.LBB1124_446:                           ;   in Loop: Header=BB1124_388 Depth=2
	s_wait_alu 0xfffe
	s_or_b32 exec_lo, exec_lo, s15
	v_cmp_gt_i64_e32 vcc_lo, 0, v[54:55]
	v_ashrrev_i32_e32 v68, 31, v55
	; wave barrier
	s_delay_alu instid0(VALU_DEP_1) | instskip(SKIP_2) | instid1(VALU_DEP_2)
	v_not_b32_e32 v68, v68
	s_wait_alu 0xfffd
	v_cndmask_b32_e64 v69, 0x7fffffff, 0, vcc_lo
	v_xor_b32_e32 v54, v68, v54
	s_delay_alu instid0(VALU_DEP_2) | instskip(NEXT) | instid1(VALU_DEP_1)
	v_xor_b32_e32 v55, v69, v55
	v_cmp_ne_u64_e32 vcc_lo, s[34:35], v[54:55]
	s_wait_alu 0xfffd
	v_cndmask_b32_e32 v69, 0x7fffffff, v55, vcc_lo
	v_cndmask_b32_e32 v68, -1, v54, vcc_lo
	s_delay_alu instid0(VALU_DEP_1) | instskip(NEXT) | instid1(VALU_DEP_1)
	v_lshrrev_b64 v[68:69], s48, v[68:69]
	v_and_b32_e32 v69, s57, v68
	s_delay_alu instid0(VALU_DEP_1)
	v_and_b32_e32 v68, 1, v69
	v_lshlrev_b32_e32 v70, 30, v69
	v_lshlrev_b32_e32 v71, 29, v69
	;; [unrolled: 1-line block ×4, first 2 shown]
	v_add_co_u32 v68, s15, v68, -1
	s_wait_alu 0xf1ff
	v_cndmask_b32_e64 v73, 0, 1, s15
	v_not_b32_e32 v199, v70
	v_cmp_gt_i32_e64 s15, 0, v70
	v_not_b32_e32 v70, v71
	v_lshlrev_b32_e32 v75, 26, v69
	v_cmp_ne_u32_e32 vcc_lo, 0, v73
	v_ashrrev_i32_e32 v199, 31, v199
	v_lshlrev_b32_e32 v198, 25, v69
	v_ashrrev_i32_e32 v70, 31, v70
	v_lshlrev_b32_e32 v73, 24, v69
	s_wait_alu 0xfffd
	v_xor_b32_e32 v68, vcc_lo, v68
	v_cmp_gt_i32_e32 vcc_lo, 0, v71
	v_not_b32_e32 v71, v72
	s_wait_alu 0xf1ff
	v_xor_b32_e32 v199, s15, v199
	v_cmp_gt_i32_e64 s15, 0, v72
	v_and_b32_e32 v68, exec_lo, v68
	v_not_b32_e32 v72, v74
	v_ashrrev_i32_e32 v71, 31, v71
	s_wait_alu 0xfffd
	v_xor_b32_e32 v70, vcc_lo, v70
	v_cmp_gt_i32_e32 vcc_lo, 0, v74
	v_and_b32_e32 v68, v68, v199
	v_not_b32_e32 v74, v75
	v_ashrrev_i32_e32 v72, 31, v72
	s_wait_alu 0xf1ff
	v_xor_b32_e32 v71, s15, v71
	v_cmp_gt_i32_e64 s15, 0, v75
	v_and_b32_e32 v68, v68, v70
	v_not_b32_e32 v70, v198
	v_ashrrev_i32_e32 v74, 31, v74
	s_wait_alu 0xfffd
	v_xor_b32_e32 v72, vcc_lo, v72
	v_cmp_gt_i32_e32 vcc_lo, 0, v198
	v_and_b32_e32 v68, v68, v71
	v_not_b32_e32 v71, v73
	v_ashrrev_i32_e32 v70, 31, v70
	s_wait_alu 0xf1ff
	v_xor_b32_e32 v74, s15, v74
	v_cmp_gt_i32_e64 s15, 0, v73
	v_and_b32_e32 v68, v68, v72
	v_ashrrev_i32_e32 v71, 31, v71
	s_wait_alu 0xfffd
	v_xor_b32_e32 v70, vcc_lo, v70
	v_mad_u32_u24 v72, v69, 36, v145
	v_mul_u32_u24_e32 v69, 36, v69
	v_and_b32_e32 v68, v68, v74
	s_wait_alu 0xf1ff
	v_xor_b32_e32 v71, s15, v71
	ds_load_b32 v198, v72 offset:1056
	v_add_nc_u32_e32 v200, v145, v69
	v_and_b32_e32 v68, v68, v70
	; wave barrier
	s_delay_alu instid0(VALU_DEP_1) | instskip(NEXT) | instid1(VALU_DEP_1)
	v_and_b32_e32 v68, v68, v71
	v_mbcnt_lo_u32_b32 v199, v68, 0
	v_cmp_ne_u32_e64 s15, 0, v68
	s_delay_alu instid0(VALU_DEP_2)
	v_cmp_eq_u32_e32 vcc_lo, 0, v199
	s_and_b32 s16, s15, vcc_lo
	s_wait_alu 0xfffe
	s_and_saveexec_b32 s15, s16
	s_cbranch_execz .LBB1124_448
; %bb.447:                              ;   in Loop: Header=BB1124_388 Depth=2
	s_wait_dscnt 0x0
	v_bcnt_u32_b32 v68, v68, v198
	ds_store_b32 v200, v68 offset:1056
.LBB1124_448:                           ;   in Loop: Header=BB1124_388 Depth=2
	s_wait_alu 0xfffe
	s_or_b32 exec_lo, exec_lo, s15
	v_cmp_gt_i64_e32 vcc_lo, 0, v[50:51]
	v_ashrrev_i32_e32 v68, 31, v51
	; wave barrier
	s_delay_alu instid0(VALU_DEP_1) | instskip(SKIP_2) | instid1(VALU_DEP_2)
	v_not_b32_e32 v68, v68
	s_wait_alu 0xfffd
	v_cndmask_b32_e64 v69, 0x7fffffff, 0, vcc_lo
	v_xor_b32_e32 v50, v68, v50
	s_delay_alu instid0(VALU_DEP_2) | instskip(NEXT) | instid1(VALU_DEP_1)
	v_xor_b32_e32 v51, v69, v51
	v_cmp_ne_u64_e32 vcc_lo, s[34:35], v[50:51]
	s_wait_alu 0xfffd
	v_cndmask_b32_e32 v69, 0x7fffffff, v51, vcc_lo
	v_cndmask_b32_e32 v68, -1, v50, vcc_lo
	s_delay_alu instid0(VALU_DEP_1) | instskip(NEXT) | instid1(VALU_DEP_1)
	v_lshrrev_b64 v[68:69], s48, v[68:69]
	v_and_b32_e32 v69, s57, v68
	s_delay_alu instid0(VALU_DEP_1)
	v_and_b32_e32 v68, 1, v69
	v_lshlrev_b32_e32 v70, 30, v69
	v_lshlrev_b32_e32 v71, 29, v69
	;; [unrolled: 1-line block ×4, first 2 shown]
	v_add_co_u32 v68, s15, v68, -1
	s_wait_alu 0xf1ff
	v_cndmask_b32_e64 v73, 0, 1, s15
	v_not_b32_e32 v202, v70
	v_cmp_gt_i32_e64 s15, 0, v70
	v_not_b32_e32 v70, v71
	v_lshlrev_b32_e32 v75, 26, v69
	v_cmp_ne_u32_e32 vcc_lo, 0, v73
	v_ashrrev_i32_e32 v202, 31, v202
	v_lshlrev_b32_e32 v201, 25, v69
	v_ashrrev_i32_e32 v70, 31, v70
	v_lshlrev_b32_e32 v73, 24, v69
	s_wait_alu 0xfffd
	v_xor_b32_e32 v68, vcc_lo, v68
	v_cmp_gt_i32_e32 vcc_lo, 0, v71
	v_not_b32_e32 v71, v72
	s_wait_alu 0xf1ff
	v_xor_b32_e32 v202, s15, v202
	v_cmp_gt_i32_e64 s15, 0, v72
	v_and_b32_e32 v68, exec_lo, v68
	v_not_b32_e32 v72, v74
	v_ashrrev_i32_e32 v71, 31, v71
	s_wait_alu 0xfffd
	v_xor_b32_e32 v70, vcc_lo, v70
	v_cmp_gt_i32_e32 vcc_lo, 0, v74
	v_and_b32_e32 v68, v68, v202
	v_not_b32_e32 v74, v75
	v_ashrrev_i32_e32 v72, 31, v72
	s_wait_alu 0xf1ff
	v_xor_b32_e32 v71, s15, v71
	v_cmp_gt_i32_e64 s15, 0, v75
	v_and_b32_e32 v68, v68, v70
	v_not_b32_e32 v70, v201
	v_ashrrev_i32_e32 v74, 31, v74
	s_wait_alu 0xfffd
	v_xor_b32_e32 v72, vcc_lo, v72
	v_cmp_gt_i32_e32 vcc_lo, 0, v201
	v_and_b32_e32 v68, v68, v71
	v_not_b32_e32 v71, v73
	v_ashrrev_i32_e32 v70, 31, v70
	s_wait_alu 0xf1ff
	v_xor_b32_e32 v74, s15, v74
	v_cmp_gt_i32_e64 s15, 0, v73
	v_and_b32_e32 v68, v68, v72
	v_ashrrev_i32_e32 v71, 31, v71
	s_wait_alu 0xfffd
	v_xor_b32_e32 v70, vcc_lo, v70
	v_mad_u32_u24 v72, v69, 36, v145
	v_mul_u32_u24_e32 v69, 36, v69
	v_and_b32_e32 v68, v68, v74
	s_wait_alu 0xf1ff
	v_xor_b32_e32 v71, s15, v71
	ds_load_b32 v201, v72 offset:1056
	v_add_nc_u32_e32 v203, v145, v69
	v_and_b32_e32 v68, v68, v70
	; wave barrier
	s_delay_alu instid0(VALU_DEP_1) | instskip(NEXT) | instid1(VALU_DEP_1)
	v_and_b32_e32 v68, v68, v71
	v_mbcnt_lo_u32_b32 v202, v68, 0
	v_cmp_ne_u32_e64 s15, 0, v68
	s_delay_alu instid0(VALU_DEP_2)
	v_cmp_eq_u32_e32 vcc_lo, 0, v202
	s_and_b32 s16, s15, vcc_lo
	s_wait_alu 0xfffe
	s_and_saveexec_b32 s15, s16
	s_cbranch_execz .LBB1124_450
; %bb.449:                              ;   in Loop: Header=BB1124_388 Depth=2
	s_wait_dscnt 0x0
	v_bcnt_u32_b32 v68, v68, v201
	ds_store_b32 v203, v68 offset:1056
.LBB1124_450:                           ;   in Loop: Header=BB1124_388 Depth=2
	s_wait_alu 0xfffe
	s_or_b32 exec_lo, exec_lo, s15
	v_cmp_gt_i64_e32 vcc_lo, 0, v[46:47]
	v_ashrrev_i32_e32 v68, 31, v47
	; wave barrier
	s_delay_alu instid0(VALU_DEP_1) | instskip(SKIP_2) | instid1(VALU_DEP_2)
	v_not_b32_e32 v68, v68
	s_wait_alu 0xfffd
	v_cndmask_b32_e64 v69, 0x7fffffff, 0, vcc_lo
	v_xor_b32_e32 v46, v68, v46
	s_delay_alu instid0(VALU_DEP_2) | instskip(NEXT) | instid1(VALU_DEP_1)
	v_xor_b32_e32 v47, v69, v47
	v_cmp_ne_u64_e32 vcc_lo, s[34:35], v[46:47]
	s_wait_alu 0xfffd
	v_cndmask_b32_e32 v69, 0x7fffffff, v47, vcc_lo
	v_cndmask_b32_e32 v68, -1, v46, vcc_lo
	s_delay_alu instid0(VALU_DEP_1) | instskip(NEXT) | instid1(VALU_DEP_1)
	v_lshrrev_b64 v[68:69], s48, v[68:69]
	v_and_b32_e32 v69, s57, v68
	s_delay_alu instid0(VALU_DEP_1)
	v_and_b32_e32 v68, 1, v69
	v_lshlrev_b32_e32 v70, 30, v69
	v_lshlrev_b32_e32 v71, 29, v69
	;; [unrolled: 1-line block ×4, first 2 shown]
	v_add_co_u32 v68, s15, v68, -1
	s_wait_alu 0xf1ff
	v_cndmask_b32_e64 v73, 0, 1, s15
	v_not_b32_e32 v205, v70
	v_cmp_gt_i32_e64 s15, 0, v70
	v_not_b32_e32 v70, v71
	v_lshlrev_b32_e32 v75, 26, v69
	v_cmp_ne_u32_e32 vcc_lo, 0, v73
	v_ashrrev_i32_e32 v205, 31, v205
	v_lshlrev_b32_e32 v204, 25, v69
	v_ashrrev_i32_e32 v70, 31, v70
	v_lshlrev_b32_e32 v73, 24, v69
	s_wait_alu 0xfffd
	v_xor_b32_e32 v68, vcc_lo, v68
	v_cmp_gt_i32_e32 vcc_lo, 0, v71
	v_not_b32_e32 v71, v72
	s_wait_alu 0xf1ff
	v_xor_b32_e32 v205, s15, v205
	v_cmp_gt_i32_e64 s15, 0, v72
	v_and_b32_e32 v68, exec_lo, v68
	v_not_b32_e32 v72, v74
	v_ashrrev_i32_e32 v71, 31, v71
	s_wait_alu 0xfffd
	v_xor_b32_e32 v70, vcc_lo, v70
	v_cmp_gt_i32_e32 vcc_lo, 0, v74
	v_and_b32_e32 v68, v68, v205
	v_not_b32_e32 v74, v75
	v_ashrrev_i32_e32 v72, 31, v72
	s_wait_alu 0xf1ff
	v_xor_b32_e32 v71, s15, v71
	v_cmp_gt_i32_e64 s15, 0, v75
	v_and_b32_e32 v68, v68, v70
	v_not_b32_e32 v70, v204
	v_ashrrev_i32_e32 v74, 31, v74
	s_wait_alu 0xfffd
	v_xor_b32_e32 v72, vcc_lo, v72
	v_cmp_gt_i32_e32 vcc_lo, 0, v204
	v_and_b32_e32 v68, v68, v71
	v_not_b32_e32 v71, v73
	v_ashrrev_i32_e32 v70, 31, v70
	s_wait_alu 0xf1ff
	v_xor_b32_e32 v74, s15, v74
	v_cmp_gt_i32_e64 s15, 0, v73
	v_and_b32_e32 v68, v68, v72
	v_ashrrev_i32_e32 v71, 31, v71
	s_wait_alu 0xfffd
	v_xor_b32_e32 v70, vcc_lo, v70
	v_mad_u32_u24 v72, v69, 36, v145
	v_mul_u32_u24_e32 v69, 36, v69
	v_and_b32_e32 v68, v68, v74
	s_wait_alu 0xf1ff
	v_xor_b32_e32 v71, s15, v71
	ds_load_b32 v204, v72 offset:1056
	v_add_nc_u32_e32 v206, v145, v69
	v_and_b32_e32 v68, v68, v70
	; wave barrier
	s_delay_alu instid0(VALU_DEP_1) | instskip(NEXT) | instid1(VALU_DEP_1)
	v_and_b32_e32 v68, v68, v71
	v_mbcnt_lo_u32_b32 v205, v68, 0
	v_cmp_ne_u32_e64 s15, 0, v68
	s_delay_alu instid0(VALU_DEP_2)
	v_cmp_eq_u32_e32 vcc_lo, 0, v205
	s_and_b32 s16, s15, vcc_lo
	s_wait_alu 0xfffe
	s_and_saveexec_b32 s15, s16
	s_cbranch_execz .LBB1124_452
; %bb.451:                              ;   in Loop: Header=BB1124_388 Depth=2
	s_wait_dscnt 0x0
	v_bcnt_u32_b32 v68, v68, v204
	ds_store_b32 v206, v68 offset:1056
.LBB1124_452:                           ;   in Loop: Header=BB1124_388 Depth=2
	s_wait_alu 0xfffe
	s_or_b32 exec_lo, exec_lo, s15
	v_cmp_gt_i64_e32 vcc_lo, 0, v[44:45]
	v_ashrrev_i32_e32 v68, 31, v45
	; wave barrier
	s_delay_alu instid0(VALU_DEP_1) | instskip(SKIP_2) | instid1(VALU_DEP_2)
	v_not_b32_e32 v68, v68
	s_wait_alu 0xfffd
	v_cndmask_b32_e64 v69, 0x7fffffff, 0, vcc_lo
	v_xor_b32_e32 v44, v68, v44
	s_delay_alu instid0(VALU_DEP_2) | instskip(NEXT) | instid1(VALU_DEP_1)
	v_xor_b32_e32 v45, v69, v45
	v_cmp_ne_u64_e32 vcc_lo, s[34:35], v[44:45]
	s_wait_alu 0xfffd
	v_cndmask_b32_e32 v69, 0x7fffffff, v45, vcc_lo
	v_cndmask_b32_e32 v68, -1, v44, vcc_lo
	s_delay_alu instid0(VALU_DEP_1) | instskip(NEXT) | instid1(VALU_DEP_1)
	v_lshrrev_b64 v[68:69], s48, v[68:69]
	v_and_b32_e32 v69, s57, v68
	s_delay_alu instid0(VALU_DEP_1)
	v_and_b32_e32 v68, 1, v69
	v_lshlrev_b32_e32 v70, 30, v69
	v_lshlrev_b32_e32 v71, 29, v69
	;; [unrolled: 1-line block ×4, first 2 shown]
	v_add_co_u32 v68, s15, v68, -1
	s_wait_alu 0xf1ff
	v_cndmask_b32_e64 v73, 0, 1, s15
	v_not_b32_e32 v208, v70
	v_cmp_gt_i32_e64 s15, 0, v70
	v_not_b32_e32 v70, v71
	v_lshlrev_b32_e32 v75, 26, v69
	v_cmp_ne_u32_e32 vcc_lo, 0, v73
	v_ashrrev_i32_e32 v208, 31, v208
	v_lshlrev_b32_e32 v207, 25, v69
	v_ashrrev_i32_e32 v70, 31, v70
	v_lshlrev_b32_e32 v73, 24, v69
	s_wait_alu 0xfffd
	v_xor_b32_e32 v68, vcc_lo, v68
	v_cmp_gt_i32_e32 vcc_lo, 0, v71
	v_not_b32_e32 v71, v72
	s_wait_alu 0xf1ff
	v_xor_b32_e32 v208, s15, v208
	v_cmp_gt_i32_e64 s15, 0, v72
	v_and_b32_e32 v68, exec_lo, v68
	v_not_b32_e32 v72, v74
	v_ashrrev_i32_e32 v71, 31, v71
	s_wait_alu 0xfffd
	v_xor_b32_e32 v70, vcc_lo, v70
	v_cmp_gt_i32_e32 vcc_lo, 0, v74
	v_and_b32_e32 v68, v68, v208
	v_not_b32_e32 v74, v75
	v_ashrrev_i32_e32 v72, 31, v72
	s_wait_alu 0xf1ff
	v_xor_b32_e32 v71, s15, v71
	v_cmp_gt_i32_e64 s15, 0, v75
	v_and_b32_e32 v68, v68, v70
	v_not_b32_e32 v70, v207
	v_ashrrev_i32_e32 v74, 31, v74
	s_wait_alu 0xfffd
	v_xor_b32_e32 v72, vcc_lo, v72
	v_cmp_gt_i32_e32 vcc_lo, 0, v207
	v_and_b32_e32 v68, v68, v71
	v_not_b32_e32 v71, v73
	v_ashrrev_i32_e32 v70, 31, v70
	s_wait_alu 0xf1ff
	v_xor_b32_e32 v74, s15, v74
	v_cmp_gt_i32_e64 s15, 0, v73
	v_and_b32_e32 v68, v68, v72
	v_ashrrev_i32_e32 v71, 31, v71
	s_wait_alu 0xfffd
	v_xor_b32_e32 v70, vcc_lo, v70
	v_mad_u32_u24 v72, v69, 36, v145
	v_mul_u32_u24_e32 v69, 36, v69
	v_and_b32_e32 v68, v68, v74
	s_wait_alu 0xf1ff
	v_xor_b32_e32 v71, s15, v71
	ds_load_b32 v207, v72 offset:1056
	v_add_nc_u32_e32 v209, v145, v69
	v_and_b32_e32 v68, v68, v70
	; wave barrier
	s_delay_alu instid0(VALU_DEP_1) | instskip(NEXT) | instid1(VALU_DEP_1)
	v_and_b32_e32 v68, v68, v71
	v_mbcnt_lo_u32_b32 v208, v68, 0
	v_cmp_ne_u32_e64 s15, 0, v68
	s_delay_alu instid0(VALU_DEP_2)
	v_cmp_eq_u32_e32 vcc_lo, 0, v208
	s_and_b32 s16, s15, vcc_lo
	s_wait_alu 0xfffe
	s_and_saveexec_b32 s15, s16
	s_cbranch_execz .LBB1124_454
; %bb.453:                              ;   in Loop: Header=BB1124_388 Depth=2
	s_wait_dscnt 0x0
	v_bcnt_u32_b32 v68, v68, v207
	ds_store_b32 v209, v68 offset:1056
.LBB1124_454:                           ;   in Loop: Header=BB1124_388 Depth=2
	s_wait_alu 0xfffe
	s_or_b32 exec_lo, exec_lo, s15
	v_cmp_gt_i64_e32 vcc_lo, 0, v[42:43]
	v_ashrrev_i32_e32 v68, 31, v43
	; wave barrier
	s_delay_alu instid0(VALU_DEP_1) | instskip(SKIP_2) | instid1(VALU_DEP_2)
	v_not_b32_e32 v68, v68
	s_wait_alu 0xfffd
	v_cndmask_b32_e64 v69, 0x7fffffff, 0, vcc_lo
	v_xor_b32_e32 v42, v68, v42
	s_delay_alu instid0(VALU_DEP_2) | instskip(NEXT) | instid1(VALU_DEP_1)
	v_xor_b32_e32 v43, v69, v43
	v_cmp_ne_u64_e32 vcc_lo, s[34:35], v[42:43]
	s_wait_alu 0xfffd
	v_cndmask_b32_e32 v69, 0x7fffffff, v43, vcc_lo
	v_cndmask_b32_e32 v68, -1, v42, vcc_lo
	s_delay_alu instid0(VALU_DEP_1) | instskip(NEXT) | instid1(VALU_DEP_1)
	v_lshrrev_b64 v[68:69], s48, v[68:69]
	v_and_b32_e32 v69, s57, v68
	s_delay_alu instid0(VALU_DEP_1)
	v_and_b32_e32 v68, 1, v69
	v_lshlrev_b32_e32 v70, 30, v69
	v_lshlrev_b32_e32 v71, 29, v69
	;; [unrolled: 1-line block ×4, first 2 shown]
	v_add_co_u32 v68, s15, v68, -1
	s_wait_alu 0xf1ff
	v_cndmask_b32_e64 v73, 0, 1, s15
	v_not_b32_e32 v211, v70
	v_cmp_gt_i32_e64 s15, 0, v70
	v_not_b32_e32 v70, v71
	v_lshlrev_b32_e32 v75, 26, v69
	v_cmp_ne_u32_e32 vcc_lo, 0, v73
	v_ashrrev_i32_e32 v211, 31, v211
	v_lshlrev_b32_e32 v210, 25, v69
	v_ashrrev_i32_e32 v70, 31, v70
	v_lshlrev_b32_e32 v73, 24, v69
	s_wait_alu 0xfffd
	v_xor_b32_e32 v68, vcc_lo, v68
	v_cmp_gt_i32_e32 vcc_lo, 0, v71
	v_not_b32_e32 v71, v72
	s_wait_alu 0xf1ff
	v_xor_b32_e32 v211, s15, v211
	v_cmp_gt_i32_e64 s15, 0, v72
	v_and_b32_e32 v68, exec_lo, v68
	v_not_b32_e32 v72, v74
	v_ashrrev_i32_e32 v71, 31, v71
	s_wait_alu 0xfffd
	v_xor_b32_e32 v70, vcc_lo, v70
	v_cmp_gt_i32_e32 vcc_lo, 0, v74
	v_and_b32_e32 v68, v68, v211
	v_not_b32_e32 v74, v75
	v_ashrrev_i32_e32 v72, 31, v72
	s_wait_alu 0xf1ff
	v_xor_b32_e32 v71, s15, v71
	v_cmp_gt_i32_e64 s15, 0, v75
	v_and_b32_e32 v68, v68, v70
	v_not_b32_e32 v70, v210
	v_ashrrev_i32_e32 v74, 31, v74
	s_wait_alu 0xfffd
	v_xor_b32_e32 v72, vcc_lo, v72
	v_cmp_gt_i32_e32 vcc_lo, 0, v210
	v_and_b32_e32 v68, v68, v71
	v_not_b32_e32 v71, v73
	v_ashrrev_i32_e32 v70, 31, v70
	s_wait_alu 0xf1ff
	v_xor_b32_e32 v74, s15, v74
	v_cmp_gt_i32_e64 s15, 0, v73
	v_and_b32_e32 v68, v68, v72
	v_ashrrev_i32_e32 v71, 31, v71
	s_wait_alu 0xfffd
	v_xor_b32_e32 v70, vcc_lo, v70
	v_mad_u32_u24 v72, v69, 36, v145
	v_mul_u32_u24_e32 v69, 36, v69
	v_and_b32_e32 v68, v68, v74
	s_wait_alu 0xf1ff
	v_xor_b32_e32 v71, s15, v71
	ds_load_b32 v210, v72 offset:1056
	v_add_nc_u32_e32 v212, v145, v69
	v_and_b32_e32 v68, v68, v70
	; wave barrier
	s_delay_alu instid0(VALU_DEP_1) | instskip(NEXT) | instid1(VALU_DEP_1)
	v_and_b32_e32 v68, v68, v71
	v_mbcnt_lo_u32_b32 v211, v68, 0
	v_cmp_ne_u32_e64 s15, 0, v68
	s_delay_alu instid0(VALU_DEP_2)
	v_cmp_eq_u32_e32 vcc_lo, 0, v211
	s_and_b32 s16, s15, vcc_lo
	s_wait_alu 0xfffe
	s_and_saveexec_b32 s15, s16
	s_cbranch_execz .LBB1124_456
; %bb.455:                              ;   in Loop: Header=BB1124_388 Depth=2
	s_wait_dscnt 0x0
	v_bcnt_u32_b32 v68, v68, v210
	ds_store_b32 v212, v68 offset:1056
.LBB1124_456:                           ;   in Loop: Header=BB1124_388 Depth=2
	s_wait_alu 0xfffe
	s_or_b32 exec_lo, exec_lo, s15
	; wave barrier
	s_wait_loadcnt_dscnt 0x0
	s_barrier_signal -1
	s_barrier_wait -1
	global_inv scope:SCOPE_SE
	ds_load_2addr_b32 v[74:75], v164 offset1:1
	ds_load_2addr_b32 v[72:73], v165 offset1:1
	;; [unrolled: 1-line block ×4, first 2 shown]
	ds_load_b32 v213, v101 offset:1088
	s_wait_dscnt 0x3
	v_add3_u32 v214, v75, v74, v72
	s_wait_dscnt 0x2
	s_delay_alu instid0(VALU_DEP_1) | instskip(SKIP_1) | instid1(VALU_DEP_1)
	v_add3_u32 v214, v214, v73, v70
	s_wait_dscnt 0x1
	v_add3_u32 v214, v214, v71, v68
	s_wait_dscnt 0x0
	s_delay_alu instid0(VALU_DEP_1) | instskip(NEXT) | instid1(VALU_DEP_1)
	v_add3_u32 v213, v214, v69, v213
	v_mov_b32_dpp v214, v213 row_shr:1 row_mask:0xf bank_mask:0xf
	s_delay_alu instid0(VALU_DEP_1) | instskip(NEXT) | instid1(VALU_DEP_1)
	v_cndmask_b32_e64 v214, v214, 0, s6
	v_add_nc_u32_e32 v213, v214, v213
	s_delay_alu instid0(VALU_DEP_1) | instskip(NEXT) | instid1(VALU_DEP_1)
	v_mov_b32_dpp v214, v213 row_shr:2 row_mask:0xf bank_mask:0xf
	v_cndmask_b32_e64 v214, 0, v214, s7
	s_delay_alu instid0(VALU_DEP_1) | instskip(NEXT) | instid1(VALU_DEP_1)
	v_add_nc_u32_e32 v213, v213, v214
	v_mov_b32_dpp v214, v213 row_shr:4 row_mask:0xf bank_mask:0xf
	s_delay_alu instid0(VALU_DEP_1) | instskip(NEXT) | instid1(VALU_DEP_1)
	v_cndmask_b32_e64 v214, 0, v214, s8
	v_add_nc_u32_e32 v213, v213, v214
	s_delay_alu instid0(VALU_DEP_1) | instskip(NEXT) | instid1(VALU_DEP_1)
	v_mov_b32_dpp v214, v213 row_shr:8 row_mask:0xf bank_mask:0xf
	v_cndmask_b32_e64 v214, 0, v214, s9
	s_delay_alu instid0(VALU_DEP_1) | instskip(SKIP_3) | instid1(VALU_DEP_1)
	v_add_nc_u32_e32 v213, v213, v214
	ds_swizzle_b32 v214, v213 offset:swizzle(BROADCAST,32,15)
	s_wait_dscnt 0x0
	v_cndmask_b32_e64 v214, v214, 0, s10
	v_add_nc_u32_e32 v213, v213, v214
	s_and_saveexec_b32 s15, s3
; %bb.457:                              ;   in Loop: Header=BB1124_388 Depth=2
	ds_store_b32 v95, v213 offset:1024
; %bb.458:                              ;   in Loop: Header=BB1124_388 Depth=2
	s_wait_alu 0xfffe
	s_or_b32 exec_lo, exec_lo, s15
	s_wait_loadcnt_dscnt 0x0
	s_barrier_signal -1
	s_barrier_wait -1
	global_inv scope:SCOPE_SE
	s_and_saveexec_b32 s15, s4
	s_cbranch_execz .LBB1124_460
; %bb.459:                              ;   in Loop: Header=BB1124_388 Depth=2
	ds_load_b32 v214, v103 offset:1024
	s_wait_dscnt 0x0
	v_mov_b32_dpp v215, v214 row_shr:1 row_mask:0xf bank_mask:0xf
	s_delay_alu instid0(VALU_DEP_1) | instskip(NEXT) | instid1(VALU_DEP_1)
	v_cndmask_b32_e64 v215, v215, 0, s12
	v_add_nc_u32_e32 v214, v215, v214
	s_delay_alu instid0(VALU_DEP_1) | instskip(NEXT) | instid1(VALU_DEP_1)
	v_mov_b32_dpp v215, v214 row_shr:2 row_mask:0xf bank_mask:0xf
	v_cndmask_b32_e64 v215, 0, v215, s13
	s_delay_alu instid0(VALU_DEP_1) | instskip(NEXT) | instid1(VALU_DEP_1)
	v_add_nc_u32_e32 v214, v214, v215
	v_mov_b32_dpp v215, v214 row_shr:4 row_mask:0xf bank_mask:0xf
	s_delay_alu instid0(VALU_DEP_1) | instskip(NEXT) | instid1(VALU_DEP_1)
	v_cndmask_b32_e64 v215, 0, v215, s14
	v_add_nc_u32_e32 v214, v214, v215
	ds_store_b32 v103, v214 offset:1024
.LBB1124_460:                           ;   in Loop: Header=BB1124_388 Depth=2
	s_wait_alu 0xfffe
	s_or_b32 exec_lo, exec_lo, s15
	v_mov_b32_e32 v214, 0
	s_wait_loadcnt_dscnt 0x0
	s_barrier_signal -1
	s_barrier_wait -1
	global_inv scope:SCOPE_SE
	s_and_saveexec_b32 s15, s5
; %bb.461:                              ;   in Loop: Header=BB1124_388 Depth=2
	ds_load_b32 v214, v95 offset:1020
; %bb.462:                              ;   in Loop: Header=BB1124_388 Depth=2
	s_wait_alu 0xfffe
	s_or_b32 exec_lo, exec_lo, s15
	s_wait_dscnt 0x0
	v_add_nc_u32_e32 v213, v214, v213
	ds_bpermute_b32 v213, v124, v213
	s_wait_dscnt 0x0
	v_cndmask_b32_e64 v213, v213, v214, s11
	s_delay_alu instid0(VALU_DEP_1) | instskip(NEXT) | instid1(VALU_DEP_1)
	v_cndmask_b32_e64 v213, v213, 0, s0
	v_add_nc_u32_e32 v74, v213, v74
	s_delay_alu instid0(VALU_DEP_1) | instskip(NEXT) | instid1(VALU_DEP_1)
	v_add_nc_u32_e32 v75, v74, v75
	v_add_nc_u32_e32 v72, v75, v72
	s_delay_alu instid0(VALU_DEP_1) | instskip(NEXT) | instid1(VALU_DEP_1)
	v_add_nc_u32_e32 v73, v72, v73
	;; [unrolled: 3-line block ×3, first 2 shown]
	v_add_nc_u32_e32 v68, v71, v68
	s_delay_alu instid0(VALU_DEP_1)
	v_add_nc_u32_e32 v69, v68, v69
	ds_store_2addr_b32 v163, v71, v68 offset1:1
	ds_store_2addr_b32 v164, v213, v74 offset1:1
	;; [unrolled: 1-line block ×4, first 2 shown]
	ds_store_b32 v101, v69 offset:1088
	s_wait_loadcnt_dscnt 0x0
	s_barrier_signal -1
	s_barrier_wait -1
	global_inv scope:SCOPE_SE
	ds_load_b32 v69, v167 offset:1056
	ds_load_b32 v74, v170 offset:1056
	;; [unrolled: 1-line block ×17, first 2 shown]
	v_mov_b32_e32 v68, 0x1000
	s_and_saveexec_b32 s15, s1
; %bb.463:                              ;   in Loop: Header=BB1124_388 Depth=2
	ds_load_b32 v68, v101 offset:1092
; %bb.464:                              ;   in Loop: Header=BB1124_388 Depth=2
	s_wait_alu 0xfffe
	s_or_b32 exec_lo, exec_lo, s15
	s_wait_loadcnt_dscnt 0x0
	s_barrier_signal -1
	s_barrier_wait -1
	global_inv scope:SCOPE_SE
	s_and_saveexec_b32 s15, s2
	s_cbranch_execz .LBB1124_466
; %bb.465:                              ;   in Loop: Header=BB1124_388 Depth=2
	ds_load_b32 v185, v76
	s_wait_dscnt 0x0
	v_sub_nc_u32_e32 v182, v185, v182
	ds_store_b32 v76, v182
.LBB1124_466:                           ;   in Loop: Header=BB1124_388 Depth=2
	s_wait_alu 0xfffe
	s_or_b32 exec_lo, exec_lo, s15
	v_lshlrev_b32_e32 v2, 3, v2
	v_lshlrev_b32_e32 v169, 3, v169
	;; [unrolled: 1-line block ×5, first 2 shown]
	v_lshl_add_u32 v69, v69, 3, v2
	v_lshlrev_b32_e32 v2, 3, v171
	v_lshlrev_b32_e32 v73, 3, v73
	;; [unrolled: 1-line block ×4, first 2 shown]
	ds_store_b64 v69, v[36:37] offset:1024
	v_lshlrev_b32_e32 v36, 3, v72
	v_lshlrev_b32_e32 v37, 3, v178
	;; [unrolled: 1-line block ×7, first 2 shown]
	v_add3_u32 v70, v169, v168, v74
	v_add3_u32 v71, v172, v2, v73
	;; [unrolled: 1-line block ×5, first 2 shown]
	v_lshlrev_b32_e32 v2, 3, v184
	v_lshlrev_b32_e32 v36, 3, v183
	;; [unrolled: 1-line block ×3, first 2 shown]
	ds_store_b64 v70, v[38:39] offset:1024
	ds_store_b64 v71, v[40:41] offset:1024
	ds_store_b64 v72, v[48:49] offset:1024
	ds_store_b64 v73, v[52:53] offset:1024
	ds_store_b64 v74, v[56:57] offset:1024
	v_lshlrev_b32_e32 v39, 3, v187
	v_lshlrev_b32_e32 v40, 3, v186
	;; [unrolled: 1-line block ×12, first 2 shown]
	v_add3_u32 v38, v2, v36, v37
	v_add3_u32 v39, v39, v40, v41
	;; [unrolled: 1-line block ×5, first 2 shown]
	ds_store_b64 v38, v[60:61] offset:1024
	ds_store_b64 v39, v[64:65] offset:1024
	;; [unrolled: 1-line block ×5, first 2 shown]
	v_lshlrev_b32_e32 v2, 3, v199
	v_lshlrev_b32_e32 v36, 3, v198
	;; [unrolled: 1-line block ×15, first 2 shown]
	v_add3_u32 v49, v2, v36, v37
	v_add3_u32 v52, v52, v53, v56
	;; [unrolled: 1-line block ×5, first 2 shown]
	v_cmp_lt_u32_e32 vcc_lo, v1, v162
	ds_store_b64 v49, v[54:55] offset:1024
	ds_store_b64 v52, v[50:51] offset:1024
	;; [unrolled: 1-line block ×5, first 2 shown]
	s_wait_loadcnt_dscnt 0x0
	s_barrier_signal -1
	s_barrier_wait -1
	global_inv scope:SCOPE_SE
	s_and_saveexec_b32 s16, vcc_lo
	s_cbranch_execnz .LBB1124_535
; %bb.467:                              ;   in Loop: Header=BB1124_388 Depth=2
	s_wait_alu 0xfffe
	s_or_b32 exec_lo, exec_lo, s16
	v_cmp_lt_u32_e64 s15, v77, v162
	s_and_saveexec_b32 s17, s15
	s_cbranch_execnz .LBB1124_536
.LBB1124_468:                           ;   in Loop: Header=BB1124_388 Depth=2
	s_wait_alu 0xfffe
	s_or_b32 exec_lo, exec_lo, s17
	v_cmp_lt_u32_e64 s16, v78, v162
	s_and_saveexec_b32 s18, s16
	s_cbranch_execnz .LBB1124_537
.LBB1124_469:                           ;   in Loop: Header=BB1124_388 Depth=2
	s_wait_alu 0xfffe
	s_or_b32 exec_lo, exec_lo, s18
	v_cmp_lt_u32_e64 s17, v79, v162
	s_and_saveexec_b32 s19, s17
	s_cbranch_execnz .LBB1124_538
.LBB1124_470:                           ;   in Loop: Header=BB1124_388 Depth=2
	s_wait_alu 0xfffe
	s_or_b32 exec_lo, exec_lo, s19
	v_cmp_lt_u32_e64 s18, v82, v162
	s_and_saveexec_b32 s20, s18
	s_cbranch_execnz .LBB1124_539
.LBB1124_471:                           ;   in Loop: Header=BB1124_388 Depth=2
	s_wait_alu 0xfffe
	s_or_b32 exec_lo, exec_lo, s20
	v_cmp_lt_u32_e64 s19, v83, v162
	s_and_saveexec_b32 s21, s19
	s_cbranch_execnz .LBB1124_540
.LBB1124_472:                           ;   in Loop: Header=BB1124_388 Depth=2
	s_wait_alu 0xfffe
	s_or_b32 exec_lo, exec_lo, s21
	v_cmp_lt_u32_e64 s20, v84, v162
	s_and_saveexec_b32 s22, s20
	s_cbranch_execnz .LBB1124_541
.LBB1124_473:                           ;   in Loop: Header=BB1124_388 Depth=2
	s_wait_alu 0xfffe
	s_or_b32 exec_lo, exec_lo, s22
	v_cmp_lt_u32_e64 s21, v85, v162
	s_and_saveexec_b32 s23, s21
	s_cbranch_execnz .LBB1124_542
.LBB1124_474:                           ;   in Loop: Header=BB1124_388 Depth=2
	s_wait_alu 0xfffe
	s_or_b32 exec_lo, exec_lo, s23
	v_cmp_lt_u32_e64 s22, v86, v162
	s_and_saveexec_b32 s24, s22
	s_cbranch_execnz .LBB1124_543
.LBB1124_475:                           ;   in Loop: Header=BB1124_388 Depth=2
	s_wait_alu 0xfffe
	s_or_b32 exec_lo, exec_lo, s24
	v_cmp_lt_u32_e64 s23, v87, v162
	s_and_saveexec_b32 s25, s23
	s_cbranch_execnz .LBB1124_544
.LBB1124_476:                           ;   in Loop: Header=BB1124_388 Depth=2
	s_wait_alu 0xfffe
	s_or_b32 exec_lo, exec_lo, s25
	v_cmp_lt_u32_e64 s24, v88, v162
	s_and_saveexec_b32 s26, s24
	s_cbranch_execnz .LBB1124_545
.LBB1124_477:                           ;   in Loop: Header=BB1124_388 Depth=2
	s_wait_alu 0xfffe
	s_or_b32 exec_lo, exec_lo, s26
	v_cmp_lt_u32_e64 s25, v89, v162
	s_and_saveexec_b32 s27, s25
	s_cbranch_execnz .LBB1124_546
.LBB1124_478:                           ;   in Loop: Header=BB1124_388 Depth=2
	s_wait_alu 0xfffe
	s_or_b32 exec_lo, exec_lo, s27
	v_cmp_lt_u32_e64 s26, v90, v162
	s_and_saveexec_b32 s28, s26
	s_cbranch_execnz .LBB1124_547
.LBB1124_479:                           ;   in Loop: Header=BB1124_388 Depth=2
	s_wait_alu 0xfffe
	s_or_b32 exec_lo, exec_lo, s28
	v_cmp_lt_u32_e64 s27, v91, v162
	s_and_saveexec_b32 s29, s27
	s_cbranch_execnz .LBB1124_548
.LBB1124_480:                           ;   in Loop: Header=BB1124_388 Depth=2
	s_wait_alu 0xfffe
	s_or_b32 exec_lo, exec_lo, s29
	v_cmp_lt_u32_e64 s28, v92, v162
	s_and_saveexec_b32 s30, s28
	s_cbranch_execnz .LBB1124_549
.LBB1124_481:                           ;   in Loop: Header=BB1124_388 Depth=2
	s_wait_alu 0xfffe
	s_or_b32 exec_lo, exec_lo, s30
	v_cmp_lt_u32_e64 s29, v93, v162
	s_and_saveexec_b32 s43, s29
	s_cbranch_execz .LBB1124_483
.LBB1124_482:                           ;   in Loop: Header=BB1124_388 Depth=2
	ds_load_b64 v[36:37], v108 offset:31744
	s_wait_dscnt 0x0
	v_cmp_ne_u64_e64 s30, s[34:35], v[36:37]
	s_wait_alu 0xf1ff
	s_delay_alu instid0(VALU_DEP_1) | instskip(SKIP_2) | instid1(VALU_DEP_2)
	v_cndmask_b32_e64 v43, 0x7fffffff, v37, s30
	v_cndmask_b32_e64 v42, -1, v36, s30
	v_cmp_gt_i64_e64 s30, 0, v[36:37]
	v_lshrrev_b64 v[42:43], s48, v[42:43]
	s_wait_alu 0xf1ff
	s_delay_alu instid0(VALU_DEP_2) | instskip(NEXT) | instid1(VALU_DEP_2)
	v_cndmask_b32_e64 v44, 0x7fffffff, 0, s30
	v_and_b32_e32 v2, s57, v42
	v_ashrrev_i32_e32 v42, 31, v37
	s_delay_alu instid0(VALU_DEP_3) | instskip(NEXT) | instid1(VALU_DEP_3)
	v_xor_b32_e32 v37, v44, v37
	v_lshlrev_b32_e32 v2, 2, v2
	s_delay_alu instid0(VALU_DEP_3) | instskip(SKIP_4) | instid1(VALU_DEP_1)
	v_not_b32_e32 v45, v42
	ds_load_b32 v2, v2
	v_xor_b32_e32 v36, v45, v36
	s_wait_dscnt 0x0
	v_add_nc_u32_e32 v2, v2, v93
	v_lshlrev_b64_e32 v[42:43], 3, v[2:3]
	s_delay_alu instid0(VALU_DEP_1) | instskip(SKIP_1) | instid1(VALU_DEP_2)
	v_add_co_u32 v42, s30, s40, v42
	s_wait_alu 0xf1ff
	v_add_co_ci_u32_e64 v43, null, s41, v43, s30
	global_store_b64 v[42:43], v[36:37], off
.LBB1124_483:                           ;   in Loop: Header=BB1124_388 Depth=2
	s_wait_alu 0xfffe
	s_or_b32 exec_lo, exec_lo, s43
	s_mov_b32 s43, s34
	s_wait_alu 0xfffe
	s_lshl_b64 s[42:43], s[42:43], 3
	s_wait_alu 0xfffe
	v_add_co_u32 v36, s30, v126, s42
	s_wait_alu 0xf1ff
	v_add_co_ci_u32_e64 v37, null, s43, v127, s30
	v_cmp_lt_u32_e64 s30, v125, v162
	s_and_saveexec_b32 s42, s30
	s_wait_alu 0xfffe
	s_xor_b32 s30, exec_lo, s42
	s_cbranch_execnz .LBB1124_550
; %bb.484:                              ;   in Loop: Header=BB1124_388 Depth=2
	s_wait_alu 0xfffe
	s_or_b32 exec_lo, exec_lo, s30
	s_delay_alu instid0(SALU_CYCLE_1)
	s_mov_b32 s42, exec_lo
	v_cmpx_lt_u32_e64 v128, v162
	s_cbranch_execnz .LBB1124_551
.LBB1124_485:                           ;   in Loop: Header=BB1124_388 Depth=2
	s_wait_alu 0xfffe
	s_or_b32 exec_lo, exec_lo, s42
	s_delay_alu instid0(SALU_CYCLE_1)
	s_mov_b32 s42, exec_lo
	v_cmpx_lt_u32_e64 v129, v162
	s_cbranch_execnz .LBB1124_552
.LBB1124_486:                           ;   in Loop: Header=BB1124_388 Depth=2
	s_wait_alu 0xfffe
	s_or_b32 exec_lo, exec_lo, s42
	s_delay_alu instid0(SALU_CYCLE_1)
	s_mov_b32 s42, exec_lo
	v_cmpx_lt_u32_e64 v130, v162
	s_cbranch_execnz .LBB1124_553
.LBB1124_487:                           ;   in Loop: Header=BB1124_388 Depth=2
	s_wait_alu 0xfffe
	s_or_b32 exec_lo, exec_lo, s42
	s_delay_alu instid0(SALU_CYCLE_1)
	s_mov_b32 s42, exec_lo
	v_cmpx_lt_u32_e64 v131, v162
	s_cbranch_execnz .LBB1124_554
.LBB1124_488:                           ;   in Loop: Header=BB1124_388 Depth=2
	s_wait_alu 0xfffe
	s_or_b32 exec_lo, exec_lo, s42
	s_delay_alu instid0(SALU_CYCLE_1)
	s_mov_b32 s42, exec_lo
	v_cmpx_lt_u32_e64 v132, v162
	s_cbranch_execnz .LBB1124_555
.LBB1124_489:                           ;   in Loop: Header=BB1124_388 Depth=2
	s_wait_alu 0xfffe
	s_or_b32 exec_lo, exec_lo, s42
	s_delay_alu instid0(SALU_CYCLE_1)
	s_mov_b32 s42, exec_lo
	v_cmpx_lt_u32_e64 v133, v162
	s_cbranch_execnz .LBB1124_556
.LBB1124_490:                           ;   in Loop: Header=BB1124_388 Depth=2
	s_wait_alu 0xfffe
	s_or_b32 exec_lo, exec_lo, s42
	s_delay_alu instid0(SALU_CYCLE_1)
	s_mov_b32 s42, exec_lo
	v_cmpx_lt_u32_e64 v134, v162
	s_cbranch_execnz .LBB1124_557
.LBB1124_491:                           ;   in Loop: Header=BB1124_388 Depth=2
	s_wait_alu 0xfffe
	s_or_b32 exec_lo, exec_lo, s42
	s_delay_alu instid0(SALU_CYCLE_1)
	s_mov_b32 s42, exec_lo
	v_cmpx_lt_u32_e64 v135, v162
	s_cbranch_execnz .LBB1124_558
.LBB1124_492:                           ;   in Loop: Header=BB1124_388 Depth=2
	s_wait_alu 0xfffe
	s_or_b32 exec_lo, exec_lo, s42
	s_delay_alu instid0(SALU_CYCLE_1)
	s_mov_b32 s42, exec_lo
	v_cmpx_lt_u32_e64 v136, v162
	s_cbranch_execnz .LBB1124_559
.LBB1124_493:                           ;   in Loop: Header=BB1124_388 Depth=2
	s_wait_alu 0xfffe
	s_or_b32 exec_lo, exec_lo, s42
	s_delay_alu instid0(SALU_CYCLE_1)
	s_mov_b32 s42, exec_lo
	v_cmpx_lt_u32_e64 v137, v162
	s_cbranch_execnz .LBB1124_560
.LBB1124_494:                           ;   in Loop: Header=BB1124_388 Depth=2
	s_wait_alu 0xfffe
	s_or_b32 exec_lo, exec_lo, s42
	s_delay_alu instid0(SALU_CYCLE_1)
	s_mov_b32 s42, exec_lo
	v_cmpx_lt_u32_e64 v138, v162
	s_cbranch_execnz .LBB1124_561
.LBB1124_495:                           ;   in Loop: Header=BB1124_388 Depth=2
	s_wait_alu 0xfffe
	s_or_b32 exec_lo, exec_lo, s42
	s_delay_alu instid0(SALU_CYCLE_1)
	s_mov_b32 s42, exec_lo
	v_cmpx_lt_u32_e64 v139, v162
	s_cbranch_execnz .LBB1124_562
.LBB1124_496:                           ;   in Loop: Header=BB1124_388 Depth=2
	s_wait_alu 0xfffe
	s_or_b32 exec_lo, exec_lo, s42
	s_delay_alu instid0(SALU_CYCLE_1)
	s_mov_b32 s42, exec_lo
	v_cmpx_lt_u32_e64 v140, v162
	s_cbranch_execnz .LBB1124_563
.LBB1124_497:                           ;   in Loop: Header=BB1124_388 Depth=2
	s_wait_alu 0xfffe
	s_or_b32 exec_lo, exec_lo, s42
	s_delay_alu instid0(SALU_CYCLE_1)
	s_mov_b32 s42, exec_lo
	v_cmpx_lt_u32_e64 v141, v162
	s_cbranch_execnz .LBB1124_564
.LBB1124_498:                           ;   in Loop: Header=BB1124_388 Depth=2
	s_wait_alu 0xfffe
	s_or_b32 exec_lo, exec_lo, s42
	s_delay_alu instid0(SALU_CYCLE_1)
	s_mov_b32 s42, exec_lo
	v_cmpx_lt_u32_e64 v142, v162
	s_cbranch_execnz .LBB1124_565
.LBB1124_499:                           ;   in Loop: Header=BB1124_388 Depth=2
	s_wait_alu 0xfffe
	s_or_b32 exec_lo, exec_lo, s42
	s_and_saveexec_b32 s42, vcc_lo
	s_cbranch_execnz .LBB1124_566
.LBB1124_500:                           ;   in Loop: Header=BB1124_388 Depth=2
	s_wait_alu 0xfffe
	s_or_b32 exec_lo, exec_lo, s42
	s_and_saveexec_b32 s42, s15
	s_cbranch_execnz .LBB1124_567
.LBB1124_501:                           ;   in Loop: Header=BB1124_388 Depth=2
	s_wait_alu 0xfffe
	s_or_b32 exec_lo, exec_lo, s42
	s_and_saveexec_b32 s42, s16
	s_cbranch_execnz .LBB1124_568
.LBB1124_502:                           ;   in Loop: Header=BB1124_388 Depth=2
	s_wait_alu 0xfffe
	s_or_b32 exec_lo, exec_lo, s42
	s_and_saveexec_b32 s42, s17
	s_cbranch_execnz .LBB1124_569
.LBB1124_503:                           ;   in Loop: Header=BB1124_388 Depth=2
	s_wait_alu 0xfffe
	s_or_b32 exec_lo, exec_lo, s42
	s_and_saveexec_b32 s42, s18
	s_cbranch_execnz .LBB1124_570
.LBB1124_504:                           ;   in Loop: Header=BB1124_388 Depth=2
	s_wait_alu 0xfffe
	s_or_b32 exec_lo, exec_lo, s42
	s_and_saveexec_b32 s42, s19
	s_cbranch_execnz .LBB1124_571
.LBB1124_505:                           ;   in Loop: Header=BB1124_388 Depth=2
	s_wait_alu 0xfffe
	s_or_b32 exec_lo, exec_lo, s42
	s_and_saveexec_b32 s42, s20
	s_cbranch_execnz .LBB1124_572
.LBB1124_506:                           ;   in Loop: Header=BB1124_388 Depth=2
	s_wait_alu 0xfffe
	s_or_b32 exec_lo, exec_lo, s42
	s_and_saveexec_b32 s42, s21
	s_cbranch_execnz .LBB1124_573
.LBB1124_507:                           ;   in Loop: Header=BB1124_388 Depth=2
	s_wait_alu 0xfffe
	s_or_b32 exec_lo, exec_lo, s42
	s_and_saveexec_b32 s42, s22
	s_cbranch_execnz .LBB1124_574
.LBB1124_508:                           ;   in Loop: Header=BB1124_388 Depth=2
	s_wait_alu 0xfffe
	s_or_b32 exec_lo, exec_lo, s42
	s_and_saveexec_b32 s42, s23
	s_cbranch_execnz .LBB1124_575
.LBB1124_509:                           ;   in Loop: Header=BB1124_388 Depth=2
	s_wait_alu 0xfffe
	s_or_b32 exec_lo, exec_lo, s42
	s_and_saveexec_b32 s42, s24
	s_cbranch_execnz .LBB1124_576
.LBB1124_510:                           ;   in Loop: Header=BB1124_388 Depth=2
	s_wait_alu 0xfffe
	s_or_b32 exec_lo, exec_lo, s42
	s_and_saveexec_b32 s42, s25
	s_cbranch_execnz .LBB1124_577
.LBB1124_511:                           ;   in Loop: Header=BB1124_388 Depth=2
	s_wait_alu 0xfffe
	s_or_b32 exec_lo, exec_lo, s42
	s_and_saveexec_b32 s42, s26
	s_cbranch_execnz .LBB1124_578
.LBB1124_512:                           ;   in Loop: Header=BB1124_388 Depth=2
	s_wait_alu 0xfffe
	s_or_b32 exec_lo, exec_lo, s42
	s_and_saveexec_b32 s42, s27
	s_cbranch_execnz .LBB1124_579
.LBB1124_513:                           ;   in Loop: Header=BB1124_388 Depth=2
	s_wait_alu 0xfffe
	s_or_b32 exec_lo, exec_lo, s42
	s_and_saveexec_b32 s42, s28
	s_cbranch_execnz .LBB1124_580
.LBB1124_514:                           ;   in Loop: Header=BB1124_388 Depth=2
	s_wait_alu 0xfffe
	s_or_b32 exec_lo, exec_lo, s42
	s_and_saveexec_b32 s42, s29
	s_cbranch_execz .LBB1124_516
.LBB1124_515:                           ;   in Loop: Header=BB1124_388 Depth=2
	ds_load_b64 v[36:37], v108 offset:31744
	s_wait_dscnt 0x0
	v_cmp_ne_u64_e64 s30, s[34:35], v[36:37]
	s_wait_alu 0xf1ff
	s_delay_alu instid0(VALU_DEP_1) | instskip(SKIP_1) | instid1(VALU_DEP_1)
	v_cndmask_b32_e64 v37, 0x7fffffff, v37, s30
	v_cndmask_b32_e64 v36, -1, v36, s30
	v_lshrrev_b64 v[36:37], s48, v[36:37]
	s_delay_alu instid0(VALU_DEP_1)
	v_and_b32_e32 v146, s57, v36
.LBB1124_516:                           ;   in Loop: Header=BB1124_388 Depth=2
	s_wait_alu 0xfffe
	s_or_b32 exec_lo, exec_lo, s42
	s_wait_loadcnt 0x0
	s_wait_storecnt 0x0
	s_barrier_signal -1
	s_barrier_wait -1
	global_inv scope:SCOPE_SE
	ds_store_b64 v69, v[34:35] offset:1024
	ds_store_b64 v70, v[32:33] offset:1024
	;; [unrolled: 1-line block ×16, first 2 shown]
	s_wait_loadcnt_dscnt 0x0
	s_barrier_signal -1
	s_barrier_wait -1
	global_inv scope:SCOPE_SE
	s_and_saveexec_b32 s30, vcc_lo
	s_cbranch_execnz .LBB1124_581
; %bb.517:                              ;   in Loop: Header=BB1124_388 Depth=2
	s_wait_alu 0xfffe
	s_or_b32 exec_lo, exec_lo, s30
	s_and_saveexec_b32 s30, s15
	s_cbranch_execnz .LBB1124_582
.LBB1124_518:                           ;   in Loop: Header=BB1124_388 Depth=2
	s_wait_alu 0xfffe
	s_or_b32 exec_lo, exec_lo, s30
	s_and_saveexec_b32 s15, s16
	s_cbranch_execnz .LBB1124_583
.LBB1124_519:                           ;   in Loop: Header=BB1124_388 Depth=2
	s_wait_alu 0xfffe
	s_or_b32 exec_lo, exec_lo, s15
	s_and_saveexec_b32 s15, s17
	s_cbranch_execnz .LBB1124_584
.LBB1124_520:                           ;   in Loop: Header=BB1124_388 Depth=2
	s_wait_alu 0xfffe
	s_or_b32 exec_lo, exec_lo, s15
	s_and_saveexec_b32 s15, s18
	s_cbranch_execnz .LBB1124_585
.LBB1124_521:                           ;   in Loop: Header=BB1124_388 Depth=2
	s_wait_alu 0xfffe
	s_or_b32 exec_lo, exec_lo, s15
	s_and_saveexec_b32 s15, s19
	s_cbranch_execnz .LBB1124_586
.LBB1124_522:                           ;   in Loop: Header=BB1124_388 Depth=2
	s_wait_alu 0xfffe
	s_or_b32 exec_lo, exec_lo, s15
	s_and_saveexec_b32 s15, s20
	s_cbranch_execnz .LBB1124_587
.LBB1124_523:                           ;   in Loop: Header=BB1124_388 Depth=2
	s_wait_alu 0xfffe
	s_or_b32 exec_lo, exec_lo, s15
	s_and_saveexec_b32 s15, s21
	s_cbranch_execnz .LBB1124_588
.LBB1124_524:                           ;   in Loop: Header=BB1124_388 Depth=2
	s_wait_alu 0xfffe
	s_or_b32 exec_lo, exec_lo, s15
	s_and_saveexec_b32 s15, s22
	s_cbranch_execnz .LBB1124_589
.LBB1124_525:                           ;   in Loop: Header=BB1124_388 Depth=2
	s_wait_alu 0xfffe
	s_or_b32 exec_lo, exec_lo, s15
	s_and_saveexec_b32 s15, s23
	s_cbranch_execnz .LBB1124_590
.LBB1124_526:                           ;   in Loop: Header=BB1124_388 Depth=2
	s_wait_alu 0xfffe
	s_or_b32 exec_lo, exec_lo, s15
	s_and_saveexec_b32 s15, s24
	s_cbranch_execnz .LBB1124_591
.LBB1124_527:                           ;   in Loop: Header=BB1124_388 Depth=2
	s_wait_alu 0xfffe
	s_or_b32 exec_lo, exec_lo, s15
	s_and_saveexec_b32 s15, s25
	s_cbranch_execnz .LBB1124_592
.LBB1124_528:                           ;   in Loop: Header=BB1124_388 Depth=2
	s_wait_alu 0xfffe
	s_or_b32 exec_lo, exec_lo, s15
	s_and_saveexec_b32 s15, s26
	s_cbranch_execnz .LBB1124_593
.LBB1124_529:                           ;   in Loop: Header=BB1124_388 Depth=2
	s_wait_alu 0xfffe
	s_or_b32 exec_lo, exec_lo, s15
	s_and_saveexec_b32 s15, s27
	s_cbranch_execnz .LBB1124_594
.LBB1124_530:                           ;   in Loop: Header=BB1124_388 Depth=2
	s_wait_alu 0xfffe
	s_or_b32 exec_lo, exec_lo, s15
	s_and_saveexec_b32 s15, s28
	s_cbranch_execnz .LBB1124_595
.LBB1124_531:                           ;   in Loop: Header=BB1124_388 Depth=2
	s_wait_alu 0xfffe
	s_or_b32 exec_lo, exec_lo, s15
	s_and_saveexec_b32 s15, s29
	s_cbranch_execz .LBB1124_533
.LBB1124_532:                           ;   in Loop: Header=BB1124_388 Depth=2
	v_lshlrev_b32_e32 v2, 2, v146
	ds_load_b32 v2, v2
	ds_load_b64 v[36:37], v108 offset:31744
	s_wait_dscnt 0x1
	v_add_nc_u32_e32 v2, v2, v93
	s_delay_alu instid0(VALU_DEP_1) | instskip(NEXT) | instid1(VALU_DEP_1)
	v_lshlrev_b64_e32 v[38:39], 3, v[2:3]
	v_add_co_u32 v38, vcc_lo, s46, v38
	s_wait_alu 0xfffd
	s_delay_alu instid0(VALU_DEP_2)
	v_add_co_ci_u32_e64 v39, null, s47, v39, vcc_lo
	s_wait_dscnt 0x0
	global_store_b64 v[38:39], v[36:37], off
.LBB1124_533:                           ;   in Loop: Header=BB1124_388 Depth=2
	s_wait_alu 0xfffe
	s_or_b32 exec_lo, exec_lo, s15
	s_wait_loadcnt 0x0
	s_wait_storecnt 0x0
	s_barrier_signal -1
	s_barrier_wait -1
	global_inv scope:SCOPE_SE
	s_and_saveexec_b32 s15, s2
	s_cbranch_execz .LBB1124_387
; %bb.534:                              ;   in Loop: Header=BB1124_388 Depth=2
	ds_load_b32 v2, v76
	s_wait_dscnt 0x0
	v_add_nc_u32_e32 v2, v2, v68
	ds_store_b32 v76, v2
	s_branch .LBB1124_387
.LBB1124_535:                           ;   in Loop: Header=BB1124_388 Depth=2
	ds_load_b64 v[36:37], v108 offset:1024
	s_wait_dscnt 0x0
	v_cmp_ne_u64_e64 s15, s[34:35], v[36:37]
	s_wait_alu 0xf1ff
	s_delay_alu instid0(VALU_DEP_1) | instskip(SKIP_2) | instid1(VALU_DEP_2)
	v_cndmask_b32_e64 v43, 0x7fffffff, v37, s15
	v_cndmask_b32_e64 v42, -1, v36, s15
	v_cmp_gt_i64_e64 s15, 0, v[36:37]
	v_lshrrev_b64 v[42:43], s48, v[42:43]
	s_wait_alu 0xf1ff
	s_delay_alu instid0(VALU_DEP_2) | instskip(NEXT) | instid1(VALU_DEP_2)
	v_cndmask_b32_e64 v44, 0x7fffffff, 0, s15
	v_and_b32_e32 v2, s57, v42
	v_ashrrev_i32_e32 v42, 31, v37
	s_delay_alu instid0(VALU_DEP_3) | instskip(NEXT) | instid1(VALU_DEP_3)
	v_xor_b32_e32 v37, v44, v37
	v_lshlrev_b32_e32 v2, 2, v2
	s_delay_alu instid0(VALU_DEP_3) | instskip(SKIP_4) | instid1(VALU_DEP_1)
	v_not_b32_e32 v45, v42
	ds_load_b32 v2, v2
	v_xor_b32_e32 v36, v45, v36
	s_wait_dscnt 0x0
	v_add_nc_u32_e32 v2, v2, v1
	v_lshlrev_b64_e32 v[42:43], 3, v[2:3]
	s_delay_alu instid0(VALU_DEP_1) | instskip(SKIP_1) | instid1(VALU_DEP_2)
	v_add_co_u32 v42, s15, s40, v42
	s_wait_alu 0xf1ff
	v_add_co_ci_u32_e64 v43, null, s41, v43, s15
	global_store_b64 v[42:43], v[36:37], off
	s_wait_alu 0xfffe
	s_or_b32 exec_lo, exec_lo, s16
	v_cmp_lt_u32_e64 s15, v77, v162
	s_and_saveexec_b32 s17, s15
	s_cbranch_execz .LBB1124_468
.LBB1124_536:                           ;   in Loop: Header=BB1124_388 Depth=2
	ds_load_b64 v[36:37], v108 offset:3072
	s_wait_dscnt 0x0
	v_cmp_ne_u64_e64 s16, s[34:35], v[36:37]
	s_wait_alu 0xf1ff
	s_delay_alu instid0(VALU_DEP_1) | instskip(SKIP_2) | instid1(VALU_DEP_2)
	v_cndmask_b32_e64 v43, 0x7fffffff, v37, s16
	v_cndmask_b32_e64 v42, -1, v36, s16
	v_cmp_gt_i64_e64 s16, 0, v[36:37]
	v_lshrrev_b64 v[42:43], s48, v[42:43]
	s_wait_alu 0xf1ff
	s_delay_alu instid0(VALU_DEP_2) | instskip(NEXT) | instid1(VALU_DEP_2)
	v_cndmask_b32_e64 v44, 0x7fffffff, 0, s16
	v_and_b32_e32 v2, s57, v42
	v_ashrrev_i32_e32 v42, 31, v37
	s_delay_alu instid0(VALU_DEP_3) | instskip(NEXT) | instid1(VALU_DEP_3)
	v_xor_b32_e32 v37, v44, v37
	v_lshlrev_b32_e32 v2, 2, v2
	s_delay_alu instid0(VALU_DEP_3) | instskip(SKIP_4) | instid1(VALU_DEP_1)
	v_not_b32_e32 v45, v42
	ds_load_b32 v2, v2
	v_xor_b32_e32 v36, v45, v36
	s_wait_dscnt 0x0
	v_add_nc_u32_e32 v2, v2, v77
	v_lshlrev_b64_e32 v[42:43], 3, v[2:3]
	s_delay_alu instid0(VALU_DEP_1) | instskip(SKIP_1) | instid1(VALU_DEP_2)
	v_add_co_u32 v42, s16, s40, v42
	s_wait_alu 0xf1ff
	v_add_co_ci_u32_e64 v43, null, s41, v43, s16
	global_store_b64 v[42:43], v[36:37], off
	s_wait_alu 0xfffe
	s_or_b32 exec_lo, exec_lo, s17
	v_cmp_lt_u32_e64 s16, v78, v162
	s_and_saveexec_b32 s18, s16
	s_cbranch_execz .LBB1124_469
.LBB1124_537:                           ;   in Loop: Header=BB1124_388 Depth=2
	ds_load_b64 v[36:37], v108 offset:5120
	s_wait_dscnt 0x0
	v_cmp_ne_u64_e64 s17, s[34:35], v[36:37]
	s_wait_alu 0xf1ff
	s_delay_alu instid0(VALU_DEP_1) | instskip(SKIP_2) | instid1(VALU_DEP_2)
	v_cndmask_b32_e64 v43, 0x7fffffff, v37, s17
	v_cndmask_b32_e64 v42, -1, v36, s17
	v_cmp_gt_i64_e64 s17, 0, v[36:37]
	v_lshrrev_b64 v[42:43], s48, v[42:43]
	s_wait_alu 0xf1ff
	s_delay_alu instid0(VALU_DEP_2) | instskip(NEXT) | instid1(VALU_DEP_2)
	v_cndmask_b32_e64 v44, 0x7fffffff, 0, s17
	v_and_b32_e32 v2, s57, v42
	v_ashrrev_i32_e32 v42, 31, v37
	s_delay_alu instid0(VALU_DEP_3) | instskip(NEXT) | instid1(VALU_DEP_3)
	v_xor_b32_e32 v37, v44, v37
	v_lshlrev_b32_e32 v2, 2, v2
	s_delay_alu instid0(VALU_DEP_3) | instskip(SKIP_4) | instid1(VALU_DEP_1)
	v_not_b32_e32 v45, v42
	ds_load_b32 v2, v2
	v_xor_b32_e32 v36, v45, v36
	s_wait_dscnt 0x0
	v_add_nc_u32_e32 v2, v2, v78
	v_lshlrev_b64_e32 v[42:43], 3, v[2:3]
	s_delay_alu instid0(VALU_DEP_1) | instskip(SKIP_1) | instid1(VALU_DEP_2)
	v_add_co_u32 v42, s17, s40, v42
	s_wait_alu 0xf1ff
	v_add_co_ci_u32_e64 v43, null, s41, v43, s17
	global_store_b64 v[42:43], v[36:37], off
	s_wait_alu 0xfffe
	s_or_b32 exec_lo, exec_lo, s18
	v_cmp_lt_u32_e64 s17, v79, v162
	s_and_saveexec_b32 s19, s17
	s_cbranch_execz .LBB1124_470
.LBB1124_538:                           ;   in Loop: Header=BB1124_388 Depth=2
	ds_load_b64 v[36:37], v108 offset:7168
	s_wait_dscnt 0x0
	v_cmp_ne_u64_e64 s18, s[34:35], v[36:37]
	s_wait_alu 0xf1ff
	s_delay_alu instid0(VALU_DEP_1) | instskip(SKIP_2) | instid1(VALU_DEP_2)
	v_cndmask_b32_e64 v43, 0x7fffffff, v37, s18
	v_cndmask_b32_e64 v42, -1, v36, s18
	v_cmp_gt_i64_e64 s18, 0, v[36:37]
	v_lshrrev_b64 v[42:43], s48, v[42:43]
	s_wait_alu 0xf1ff
	s_delay_alu instid0(VALU_DEP_2) | instskip(NEXT) | instid1(VALU_DEP_2)
	v_cndmask_b32_e64 v44, 0x7fffffff, 0, s18
	v_and_b32_e32 v2, s57, v42
	v_ashrrev_i32_e32 v42, 31, v37
	s_delay_alu instid0(VALU_DEP_3) | instskip(NEXT) | instid1(VALU_DEP_3)
	v_xor_b32_e32 v37, v44, v37
	v_lshlrev_b32_e32 v2, 2, v2
	s_delay_alu instid0(VALU_DEP_3) | instskip(SKIP_4) | instid1(VALU_DEP_1)
	v_not_b32_e32 v45, v42
	ds_load_b32 v2, v2
	v_xor_b32_e32 v36, v45, v36
	s_wait_dscnt 0x0
	v_add_nc_u32_e32 v2, v2, v79
	v_lshlrev_b64_e32 v[42:43], 3, v[2:3]
	s_delay_alu instid0(VALU_DEP_1) | instskip(SKIP_1) | instid1(VALU_DEP_2)
	v_add_co_u32 v42, s18, s40, v42
	s_wait_alu 0xf1ff
	v_add_co_ci_u32_e64 v43, null, s41, v43, s18
	global_store_b64 v[42:43], v[36:37], off
	s_wait_alu 0xfffe
	s_or_b32 exec_lo, exec_lo, s19
	v_cmp_lt_u32_e64 s18, v82, v162
	s_and_saveexec_b32 s20, s18
	s_cbranch_execz .LBB1124_471
.LBB1124_539:                           ;   in Loop: Header=BB1124_388 Depth=2
	ds_load_b64 v[36:37], v108 offset:9216
	s_wait_dscnt 0x0
	v_cmp_ne_u64_e64 s19, s[34:35], v[36:37]
	s_wait_alu 0xf1ff
	s_delay_alu instid0(VALU_DEP_1) | instskip(SKIP_2) | instid1(VALU_DEP_2)
	v_cndmask_b32_e64 v43, 0x7fffffff, v37, s19
	v_cndmask_b32_e64 v42, -1, v36, s19
	v_cmp_gt_i64_e64 s19, 0, v[36:37]
	v_lshrrev_b64 v[42:43], s48, v[42:43]
	s_wait_alu 0xf1ff
	s_delay_alu instid0(VALU_DEP_2) | instskip(NEXT) | instid1(VALU_DEP_2)
	v_cndmask_b32_e64 v44, 0x7fffffff, 0, s19
	v_and_b32_e32 v2, s57, v42
	v_ashrrev_i32_e32 v42, 31, v37
	s_delay_alu instid0(VALU_DEP_3) | instskip(NEXT) | instid1(VALU_DEP_3)
	v_xor_b32_e32 v37, v44, v37
	v_lshlrev_b32_e32 v2, 2, v2
	s_delay_alu instid0(VALU_DEP_3) | instskip(SKIP_4) | instid1(VALU_DEP_1)
	v_not_b32_e32 v45, v42
	ds_load_b32 v2, v2
	v_xor_b32_e32 v36, v45, v36
	s_wait_dscnt 0x0
	v_add_nc_u32_e32 v2, v2, v82
	v_lshlrev_b64_e32 v[42:43], 3, v[2:3]
	s_delay_alu instid0(VALU_DEP_1) | instskip(SKIP_1) | instid1(VALU_DEP_2)
	v_add_co_u32 v42, s19, s40, v42
	s_wait_alu 0xf1ff
	v_add_co_ci_u32_e64 v43, null, s41, v43, s19
	global_store_b64 v[42:43], v[36:37], off
	s_wait_alu 0xfffe
	s_or_b32 exec_lo, exec_lo, s20
	v_cmp_lt_u32_e64 s19, v83, v162
	s_and_saveexec_b32 s21, s19
	s_cbranch_execz .LBB1124_472
.LBB1124_540:                           ;   in Loop: Header=BB1124_388 Depth=2
	ds_load_b64 v[36:37], v108 offset:11264
	s_wait_dscnt 0x0
	v_cmp_ne_u64_e64 s20, s[34:35], v[36:37]
	s_wait_alu 0xf1ff
	s_delay_alu instid0(VALU_DEP_1) | instskip(SKIP_2) | instid1(VALU_DEP_2)
	v_cndmask_b32_e64 v43, 0x7fffffff, v37, s20
	v_cndmask_b32_e64 v42, -1, v36, s20
	v_cmp_gt_i64_e64 s20, 0, v[36:37]
	v_lshrrev_b64 v[42:43], s48, v[42:43]
	s_wait_alu 0xf1ff
	s_delay_alu instid0(VALU_DEP_2) | instskip(NEXT) | instid1(VALU_DEP_2)
	v_cndmask_b32_e64 v44, 0x7fffffff, 0, s20
	v_and_b32_e32 v2, s57, v42
	v_ashrrev_i32_e32 v42, 31, v37
	s_delay_alu instid0(VALU_DEP_3) | instskip(NEXT) | instid1(VALU_DEP_3)
	v_xor_b32_e32 v37, v44, v37
	v_lshlrev_b32_e32 v2, 2, v2
	s_delay_alu instid0(VALU_DEP_3) | instskip(SKIP_4) | instid1(VALU_DEP_1)
	v_not_b32_e32 v45, v42
	ds_load_b32 v2, v2
	v_xor_b32_e32 v36, v45, v36
	s_wait_dscnt 0x0
	v_add_nc_u32_e32 v2, v2, v83
	v_lshlrev_b64_e32 v[42:43], 3, v[2:3]
	s_delay_alu instid0(VALU_DEP_1) | instskip(SKIP_1) | instid1(VALU_DEP_2)
	v_add_co_u32 v42, s20, s40, v42
	s_wait_alu 0xf1ff
	v_add_co_ci_u32_e64 v43, null, s41, v43, s20
	global_store_b64 v[42:43], v[36:37], off
	s_wait_alu 0xfffe
	s_or_b32 exec_lo, exec_lo, s21
	v_cmp_lt_u32_e64 s20, v84, v162
	s_and_saveexec_b32 s22, s20
	s_cbranch_execz .LBB1124_473
.LBB1124_541:                           ;   in Loop: Header=BB1124_388 Depth=2
	ds_load_b64 v[36:37], v108 offset:13312
	s_wait_dscnt 0x0
	v_cmp_ne_u64_e64 s21, s[34:35], v[36:37]
	s_wait_alu 0xf1ff
	s_delay_alu instid0(VALU_DEP_1) | instskip(SKIP_2) | instid1(VALU_DEP_2)
	v_cndmask_b32_e64 v43, 0x7fffffff, v37, s21
	v_cndmask_b32_e64 v42, -1, v36, s21
	v_cmp_gt_i64_e64 s21, 0, v[36:37]
	v_lshrrev_b64 v[42:43], s48, v[42:43]
	s_wait_alu 0xf1ff
	s_delay_alu instid0(VALU_DEP_2) | instskip(NEXT) | instid1(VALU_DEP_2)
	v_cndmask_b32_e64 v44, 0x7fffffff, 0, s21
	v_and_b32_e32 v2, s57, v42
	v_ashrrev_i32_e32 v42, 31, v37
	s_delay_alu instid0(VALU_DEP_3) | instskip(NEXT) | instid1(VALU_DEP_3)
	v_xor_b32_e32 v37, v44, v37
	v_lshlrev_b32_e32 v2, 2, v2
	s_delay_alu instid0(VALU_DEP_3) | instskip(SKIP_4) | instid1(VALU_DEP_1)
	v_not_b32_e32 v45, v42
	ds_load_b32 v2, v2
	v_xor_b32_e32 v36, v45, v36
	s_wait_dscnt 0x0
	v_add_nc_u32_e32 v2, v2, v84
	v_lshlrev_b64_e32 v[42:43], 3, v[2:3]
	s_delay_alu instid0(VALU_DEP_1) | instskip(SKIP_1) | instid1(VALU_DEP_2)
	v_add_co_u32 v42, s21, s40, v42
	s_wait_alu 0xf1ff
	v_add_co_ci_u32_e64 v43, null, s41, v43, s21
	global_store_b64 v[42:43], v[36:37], off
	s_wait_alu 0xfffe
	s_or_b32 exec_lo, exec_lo, s22
	v_cmp_lt_u32_e64 s21, v85, v162
	s_and_saveexec_b32 s23, s21
	s_cbranch_execz .LBB1124_474
.LBB1124_542:                           ;   in Loop: Header=BB1124_388 Depth=2
	ds_load_b64 v[36:37], v108 offset:15360
	s_wait_dscnt 0x0
	v_cmp_ne_u64_e64 s22, s[34:35], v[36:37]
	s_wait_alu 0xf1ff
	s_delay_alu instid0(VALU_DEP_1) | instskip(SKIP_2) | instid1(VALU_DEP_2)
	v_cndmask_b32_e64 v43, 0x7fffffff, v37, s22
	v_cndmask_b32_e64 v42, -1, v36, s22
	v_cmp_gt_i64_e64 s22, 0, v[36:37]
	v_lshrrev_b64 v[42:43], s48, v[42:43]
	s_wait_alu 0xf1ff
	s_delay_alu instid0(VALU_DEP_2) | instskip(NEXT) | instid1(VALU_DEP_2)
	v_cndmask_b32_e64 v44, 0x7fffffff, 0, s22
	v_and_b32_e32 v2, s57, v42
	v_ashrrev_i32_e32 v42, 31, v37
	s_delay_alu instid0(VALU_DEP_3) | instskip(NEXT) | instid1(VALU_DEP_3)
	v_xor_b32_e32 v37, v44, v37
	v_lshlrev_b32_e32 v2, 2, v2
	s_delay_alu instid0(VALU_DEP_3) | instskip(SKIP_4) | instid1(VALU_DEP_1)
	v_not_b32_e32 v45, v42
	ds_load_b32 v2, v2
	v_xor_b32_e32 v36, v45, v36
	s_wait_dscnt 0x0
	v_add_nc_u32_e32 v2, v2, v85
	v_lshlrev_b64_e32 v[42:43], 3, v[2:3]
	s_delay_alu instid0(VALU_DEP_1) | instskip(SKIP_1) | instid1(VALU_DEP_2)
	v_add_co_u32 v42, s22, s40, v42
	s_wait_alu 0xf1ff
	v_add_co_ci_u32_e64 v43, null, s41, v43, s22
	global_store_b64 v[42:43], v[36:37], off
	s_wait_alu 0xfffe
	s_or_b32 exec_lo, exec_lo, s23
	v_cmp_lt_u32_e64 s22, v86, v162
	s_and_saveexec_b32 s24, s22
	s_cbranch_execz .LBB1124_475
.LBB1124_543:                           ;   in Loop: Header=BB1124_388 Depth=2
	ds_load_b64 v[36:37], v108 offset:17408
	s_wait_dscnt 0x0
	v_cmp_ne_u64_e64 s23, s[34:35], v[36:37]
	s_wait_alu 0xf1ff
	s_delay_alu instid0(VALU_DEP_1) | instskip(SKIP_2) | instid1(VALU_DEP_2)
	v_cndmask_b32_e64 v43, 0x7fffffff, v37, s23
	v_cndmask_b32_e64 v42, -1, v36, s23
	v_cmp_gt_i64_e64 s23, 0, v[36:37]
	v_lshrrev_b64 v[42:43], s48, v[42:43]
	s_wait_alu 0xf1ff
	s_delay_alu instid0(VALU_DEP_2) | instskip(NEXT) | instid1(VALU_DEP_2)
	v_cndmask_b32_e64 v44, 0x7fffffff, 0, s23
	v_and_b32_e32 v2, s57, v42
	v_ashrrev_i32_e32 v42, 31, v37
	s_delay_alu instid0(VALU_DEP_3) | instskip(NEXT) | instid1(VALU_DEP_3)
	v_xor_b32_e32 v37, v44, v37
	v_lshlrev_b32_e32 v2, 2, v2
	s_delay_alu instid0(VALU_DEP_3) | instskip(SKIP_4) | instid1(VALU_DEP_1)
	v_not_b32_e32 v45, v42
	ds_load_b32 v2, v2
	v_xor_b32_e32 v36, v45, v36
	s_wait_dscnt 0x0
	v_add_nc_u32_e32 v2, v2, v86
	v_lshlrev_b64_e32 v[42:43], 3, v[2:3]
	s_delay_alu instid0(VALU_DEP_1) | instskip(SKIP_1) | instid1(VALU_DEP_2)
	v_add_co_u32 v42, s23, s40, v42
	s_wait_alu 0xf1ff
	v_add_co_ci_u32_e64 v43, null, s41, v43, s23
	global_store_b64 v[42:43], v[36:37], off
	s_wait_alu 0xfffe
	s_or_b32 exec_lo, exec_lo, s24
	v_cmp_lt_u32_e64 s23, v87, v162
	s_and_saveexec_b32 s25, s23
	s_cbranch_execz .LBB1124_476
.LBB1124_544:                           ;   in Loop: Header=BB1124_388 Depth=2
	ds_load_b64 v[36:37], v108 offset:19456
	s_wait_dscnt 0x0
	v_cmp_ne_u64_e64 s24, s[34:35], v[36:37]
	s_wait_alu 0xf1ff
	s_delay_alu instid0(VALU_DEP_1) | instskip(SKIP_2) | instid1(VALU_DEP_2)
	v_cndmask_b32_e64 v43, 0x7fffffff, v37, s24
	v_cndmask_b32_e64 v42, -1, v36, s24
	v_cmp_gt_i64_e64 s24, 0, v[36:37]
	v_lshrrev_b64 v[42:43], s48, v[42:43]
	s_wait_alu 0xf1ff
	s_delay_alu instid0(VALU_DEP_2) | instskip(NEXT) | instid1(VALU_DEP_2)
	v_cndmask_b32_e64 v44, 0x7fffffff, 0, s24
	v_and_b32_e32 v2, s57, v42
	v_ashrrev_i32_e32 v42, 31, v37
	s_delay_alu instid0(VALU_DEP_3) | instskip(NEXT) | instid1(VALU_DEP_3)
	v_xor_b32_e32 v37, v44, v37
	v_lshlrev_b32_e32 v2, 2, v2
	s_delay_alu instid0(VALU_DEP_3) | instskip(SKIP_4) | instid1(VALU_DEP_1)
	v_not_b32_e32 v45, v42
	ds_load_b32 v2, v2
	v_xor_b32_e32 v36, v45, v36
	s_wait_dscnt 0x0
	v_add_nc_u32_e32 v2, v2, v87
	v_lshlrev_b64_e32 v[42:43], 3, v[2:3]
	s_delay_alu instid0(VALU_DEP_1) | instskip(SKIP_1) | instid1(VALU_DEP_2)
	v_add_co_u32 v42, s24, s40, v42
	s_wait_alu 0xf1ff
	v_add_co_ci_u32_e64 v43, null, s41, v43, s24
	global_store_b64 v[42:43], v[36:37], off
	s_wait_alu 0xfffe
	s_or_b32 exec_lo, exec_lo, s25
	v_cmp_lt_u32_e64 s24, v88, v162
	s_and_saveexec_b32 s26, s24
	s_cbranch_execz .LBB1124_477
.LBB1124_545:                           ;   in Loop: Header=BB1124_388 Depth=2
	ds_load_b64 v[36:37], v108 offset:21504
	s_wait_dscnt 0x0
	v_cmp_ne_u64_e64 s25, s[34:35], v[36:37]
	s_wait_alu 0xf1ff
	s_delay_alu instid0(VALU_DEP_1) | instskip(SKIP_2) | instid1(VALU_DEP_2)
	v_cndmask_b32_e64 v43, 0x7fffffff, v37, s25
	v_cndmask_b32_e64 v42, -1, v36, s25
	v_cmp_gt_i64_e64 s25, 0, v[36:37]
	v_lshrrev_b64 v[42:43], s48, v[42:43]
	s_wait_alu 0xf1ff
	s_delay_alu instid0(VALU_DEP_2) | instskip(NEXT) | instid1(VALU_DEP_2)
	v_cndmask_b32_e64 v44, 0x7fffffff, 0, s25
	v_and_b32_e32 v2, s57, v42
	v_ashrrev_i32_e32 v42, 31, v37
	s_delay_alu instid0(VALU_DEP_3) | instskip(NEXT) | instid1(VALU_DEP_3)
	v_xor_b32_e32 v37, v44, v37
	v_lshlrev_b32_e32 v2, 2, v2
	s_delay_alu instid0(VALU_DEP_3) | instskip(SKIP_4) | instid1(VALU_DEP_1)
	v_not_b32_e32 v45, v42
	ds_load_b32 v2, v2
	v_xor_b32_e32 v36, v45, v36
	s_wait_dscnt 0x0
	v_add_nc_u32_e32 v2, v2, v88
	v_lshlrev_b64_e32 v[42:43], 3, v[2:3]
	s_delay_alu instid0(VALU_DEP_1) | instskip(SKIP_1) | instid1(VALU_DEP_2)
	v_add_co_u32 v42, s25, s40, v42
	s_wait_alu 0xf1ff
	v_add_co_ci_u32_e64 v43, null, s41, v43, s25
	global_store_b64 v[42:43], v[36:37], off
	s_wait_alu 0xfffe
	s_or_b32 exec_lo, exec_lo, s26
	v_cmp_lt_u32_e64 s25, v89, v162
	s_and_saveexec_b32 s27, s25
	s_cbranch_execz .LBB1124_478
.LBB1124_546:                           ;   in Loop: Header=BB1124_388 Depth=2
	ds_load_b64 v[36:37], v108 offset:23552
	s_wait_dscnt 0x0
	v_cmp_ne_u64_e64 s26, s[34:35], v[36:37]
	s_wait_alu 0xf1ff
	s_delay_alu instid0(VALU_DEP_1) | instskip(SKIP_2) | instid1(VALU_DEP_2)
	v_cndmask_b32_e64 v43, 0x7fffffff, v37, s26
	v_cndmask_b32_e64 v42, -1, v36, s26
	v_cmp_gt_i64_e64 s26, 0, v[36:37]
	v_lshrrev_b64 v[42:43], s48, v[42:43]
	s_wait_alu 0xf1ff
	s_delay_alu instid0(VALU_DEP_2) | instskip(NEXT) | instid1(VALU_DEP_2)
	v_cndmask_b32_e64 v44, 0x7fffffff, 0, s26
	v_and_b32_e32 v2, s57, v42
	v_ashrrev_i32_e32 v42, 31, v37
	s_delay_alu instid0(VALU_DEP_3) | instskip(NEXT) | instid1(VALU_DEP_3)
	v_xor_b32_e32 v37, v44, v37
	v_lshlrev_b32_e32 v2, 2, v2
	s_delay_alu instid0(VALU_DEP_3) | instskip(SKIP_4) | instid1(VALU_DEP_1)
	v_not_b32_e32 v45, v42
	ds_load_b32 v2, v2
	v_xor_b32_e32 v36, v45, v36
	s_wait_dscnt 0x0
	v_add_nc_u32_e32 v2, v2, v89
	v_lshlrev_b64_e32 v[42:43], 3, v[2:3]
	s_delay_alu instid0(VALU_DEP_1) | instskip(SKIP_1) | instid1(VALU_DEP_2)
	v_add_co_u32 v42, s26, s40, v42
	s_wait_alu 0xf1ff
	v_add_co_ci_u32_e64 v43, null, s41, v43, s26
	global_store_b64 v[42:43], v[36:37], off
	s_wait_alu 0xfffe
	s_or_b32 exec_lo, exec_lo, s27
	v_cmp_lt_u32_e64 s26, v90, v162
	s_and_saveexec_b32 s28, s26
	s_cbranch_execz .LBB1124_479
.LBB1124_547:                           ;   in Loop: Header=BB1124_388 Depth=2
	ds_load_b64 v[36:37], v108 offset:25600
	s_wait_dscnt 0x0
	v_cmp_ne_u64_e64 s27, s[34:35], v[36:37]
	s_wait_alu 0xf1ff
	s_delay_alu instid0(VALU_DEP_1) | instskip(SKIP_2) | instid1(VALU_DEP_2)
	v_cndmask_b32_e64 v43, 0x7fffffff, v37, s27
	v_cndmask_b32_e64 v42, -1, v36, s27
	v_cmp_gt_i64_e64 s27, 0, v[36:37]
	v_lshrrev_b64 v[42:43], s48, v[42:43]
	s_wait_alu 0xf1ff
	s_delay_alu instid0(VALU_DEP_2) | instskip(NEXT) | instid1(VALU_DEP_2)
	v_cndmask_b32_e64 v44, 0x7fffffff, 0, s27
	v_and_b32_e32 v2, s57, v42
	v_ashrrev_i32_e32 v42, 31, v37
	s_delay_alu instid0(VALU_DEP_3) | instskip(NEXT) | instid1(VALU_DEP_3)
	v_xor_b32_e32 v37, v44, v37
	v_lshlrev_b32_e32 v2, 2, v2
	s_delay_alu instid0(VALU_DEP_3) | instskip(SKIP_4) | instid1(VALU_DEP_1)
	v_not_b32_e32 v45, v42
	ds_load_b32 v2, v2
	v_xor_b32_e32 v36, v45, v36
	s_wait_dscnt 0x0
	v_add_nc_u32_e32 v2, v2, v90
	v_lshlrev_b64_e32 v[42:43], 3, v[2:3]
	s_delay_alu instid0(VALU_DEP_1) | instskip(SKIP_1) | instid1(VALU_DEP_2)
	v_add_co_u32 v42, s27, s40, v42
	s_wait_alu 0xf1ff
	v_add_co_ci_u32_e64 v43, null, s41, v43, s27
	global_store_b64 v[42:43], v[36:37], off
	s_wait_alu 0xfffe
	s_or_b32 exec_lo, exec_lo, s28
	v_cmp_lt_u32_e64 s27, v91, v162
	s_and_saveexec_b32 s29, s27
	s_cbranch_execz .LBB1124_480
.LBB1124_548:                           ;   in Loop: Header=BB1124_388 Depth=2
	ds_load_b64 v[36:37], v108 offset:27648
	s_wait_dscnt 0x0
	v_cmp_ne_u64_e64 s28, s[34:35], v[36:37]
	s_wait_alu 0xf1ff
	s_delay_alu instid0(VALU_DEP_1) | instskip(SKIP_2) | instid1(VALU_DEP_2)
	v_cndmask_b32_e64 v43, 0x7fffffff, v37, s28
	v_cndmask_b32_e64 v42, -1, v36, s28
	v_cmp_gt_i64_e64 s28, 0, v[36:37]
	v_lshrrev_b64 v[42:43], s48, v[42:43]
	s_wait_alu 0xf1ff
	s_delay_alu instid0(VALU_DEP_2) | instskip(NEXT) | instid1(VALU_DEP_2)
	v_cndmask_b32_e64 v44, 0x7fffffff, 0, s28
	v_and_b32_e32 v2, s57, v42
	v_ashrrev_i32_e32 v42, 31, v37
	s_delay_alu instid0(VALU_DEP_3) | instskip(NEXT) | instid1(VALU_DEP_3)
	v_xor_b32_e32 v37, v44, v37
	v_lshlrev_b32_e32 v2, 2, v2
	s_delay_alu instid0(VALU_DEP_3) | instskip(SKIP_4) | instid1(VALU_DEP_1)
	v_not_b32_e32 v45, v42
	ds_load_b32 v2, v2
	v_xor_b32_e32 v36, v45, v36
	s_wait_dscnt 0x0
	v_add_nc_u32_e32 v2, v2, v91
	v_lshlrev_b64_e32 v[42:43], 3, v[2:3]
	s_delay_alu instid0(VALU_DEP_1) | instskip(SKIP_1) | instid1(VALU_DEP_2)
	v_add_co_u32 v42, s28, s40, v42
	s_wait_alu 0xf1ff
	v_add_co_ci_u32_e64 v43, null, s41, v43, s28
	global_store_b64 v[42:43], v[36:37], off
	s_wait_alu 0xfffe
	s_or_b32 exec_lo, exec_lo, s29
	v_cmp_lt_u32_e64 s28, v92, v162
	s_and_saveexec_b32 s30, s28
	s_cbranch_execz .LBB1124_481
.LBB1124_549:                           ;   in Loop: Header=BB1124_388 Depth=2
	ds_load_b64 v[36:37], v108 offset:29696
	s_wait_dscnt 0x0
	v_cmp_ne_u64_e64 s29, s[34:35], v[36:37]
	s_wait_alu 0xf1ff
	s_delay_alu instid0(VALU_DEP_1) | instskip(SKIP_2) | instid1(VALU_DEP_2)
	v_cndmask_b32_e64 v43, 0x7fffffff, v37, s29
	v_cndmask_b32_e64 v42, -1, v36, s29
	v_cmp_gt_i64_e64 s29, 0, v[36:37]
	v_lshrrev_b64 v[42:43], s48, v[42:43]
	s_wait_alu 0xf1ff
	s_delay_alu instid0(VALU_DEP_2) | instskip(NEXT) | instid1(VALU_DEP_2)
	v_cndmask_b32_e64 v44, 0x7fffffff, 0, s29
	v_and_b32_e32 v2, s57, v42
	v_ashrrev_i32_e32 v42, 31, v37
	s_delay_alu instid0(VALU_DEP_3) | instskip(NEXT) | instid1(VALU_DEP_3)
	v_xor_b32_e32 v37, v44, v37
	v_lshlrev_b32_e32 v2, 2, v2
	s_delay_alu instid0(VALU_DEP_3) | instskip(SKIP_4) | instid1(VALU_DEP_1)
	v_not_b32_e32 v45, v42
	ds_load_b32 v2, v2
	v_xor_b32_e32 v36, v45, v36
	s_wait_dscnt 0x0
	v_add_nc_u32_e32 v2, v2, v92
	v_lshlrev_b64_e32 v[42:43], 3, v[2:3]
	s_delay_alu instid0(VALU_DEP_1) | instskip(SKIP_1) | instid1(VALU_DEP_2)
	v_add_co_u32 v42, s29, s40, v42
	s_wait_alu 0xf1ff
	v_add_co_ci_u32_e64 v43, null, s41, v43, s29
	global_store_b64 v[42:43], v[36:37], off
	s_wait_alu 0xfffe
	s_or_b32 exec_lo, exec_lo, s30
	v_cmp_lt_u32_e64 s29, v93, v162
	s_and_saveexec_b32 s43, s29
	s_cbranch_execnz .LBB1124_482
	s_branch .LBB1124_483
.LBB1124_550:                           ;   in Loop: Header=BB1124_388 Depth=2
	global_load_b64 v[34:35], v[36:37], off
	s_wait_alu 0xfffe
	s_or_b32 exec_lo, exec_lo, s30
	s_delay_alu instid0(SALU_CYCLE_1)
	s_mov_b32 s42, exec_lo
	v_cmpx_lt_u32_e64 v128, v162
	s_cbranch_execz .LBB1124_485
.LBB1124_551:                           ;   in Loop: Header=BB1124_388 Depth=2
	global_load_b64 v[32:33], v[36:37], off offset:256
	s_wait_alu 0xfffe
	s_or_b32 exec_lo, exec_lo, s42
	s_delay_alu instid0(SALU_CYCLE_1)
	s_mov_b32 s42, exec_lo
	v_cmpx_lt_u32_e64 v129, v162
	s_cbranch_execz .LBB1124_486
.LBB1124_552:                           ;   in Loop: Header=BB1124_388 Depth=2
	global_load_b64 v[30:31], v[36:37], off offset:512
	s_wait_alu 0xfffe
	s_or_b32 exec_lo, exec_lo, s42
	s_delay_alu instid0(SALU_CYCLE_1)
	s_mov_b32 s42, exec_lo
	v_cmpx_lt_u32_e64 v130, v162
	s_cbranch_execz .LBB1124_487
.LBB1124_553:                           ;   in Loop: Header=BB1124_388 Depth=2
	global_load_b64 v[28:29], v[36:37], off offset:768
	s_wait_alu 0xfffe
	s_or_b32 exec_lo, exec_lo, s42
	s_delay_alu instid0(SALU_CYCLE_1)
	s_mov_b32 s42, exec_lo
	v_cmpx_lt_u32_e64 v131, v162
	s_cbranch_execz .LBB1124_488
.LBB1124_554:                           ;   in Loop: Header=BB1124_388 Depth=2
	global_load_b64 v[26:27], v[36:37], off offset:1024
	s_wait_alu 0xfffe
	s_or_b32 exec_lo, exec_lo, s42
	s_delay_alu instid0(SALU_CYCLE_1)
	s_mov_b32 s42, exec_lo
	v_cmpx_lt_u32_e64 v132, v162
	s_cbranch_execz .LBB1124_489
.LBB1124_555:                           ;   in Loop: Header=BB1124_388 Depth=2
	global_load_b64 v[24:25], v[36:37], off offset:1280
	s_wait_alu 0xfffe
	s_or_b32 exec_lo, exec_lo, s42
	s_delay_alu instid0(SALU_CYCLE_1)
	s_mov_b32 s42, exec_lo
	v_cmpx_lt_u32_e64 v133, v162
	s_cbranch_execz .LBB1124_490
.LBB1124_556:                           ;   in Loop: Header=BB1124_388 Depth=2
	global_load_b64 v[22:23], v[36:37], off offset:1536
	s_wait_alu 0xfffe
	s_or_b32 exec_lo, exec_lo, s42
	s_delay_alu instid0(SALU_CYCLE_1)
	s_mov_b32 s42, exec_lo
	v_cmpx_lt_u32_e64 v134, v162
	s_cbranch_execz .LBB1124_491
.LBB1124_557:                           ;   in Loop: Header=BB1124_388 Depth=2
	global_load_b64 v[20:21], v[36:37], off offset:1792
	s_wait_alu 0xfffe
	s_or_b32 exec_lo, exec_lo, s42
	s_delay_alu instid0(SALU_CYCLE_1)
	s_mov_b32 s42, exec_lo
	v_cmpx_lt_u32_e64 v135, v162
	s_cbranch_execz .LBB1124_492
.LBB1124_558:                           ;   in Loop: Header=BB1124_388 Depth=2
	global_load_b64 v[18:19], v[36:37], off offset:2048
	s_wait_alu 0xfffe
	s_or_b32 exec_lo, exec_lo, s42
	s_delay_alu instid0(SALU_CYCLE_1)
	s_mov_b32 s42, exec_lo
	v_cmpx_lt_u32_e64 v136, v162
	s_cbranch_execz .LBB1124_493
.LBB1124_559:                           ;   in Loop: Header=BB1124_388 Depth=2
	global_load_b64 v[16:17], v[36:37], off offset:2304
	s_wait_alu 0xfffe
	s_or_b32 exec_lo, exec_lo, s42
	s_delay_alu instid0(SALU_CYCLE_1)
	s_mov_b32 s42, exec_lo
	v_cmpx_lt_u32_e64 v137, v162
	s_cbranch_execz .LBB1124_494
.LBB1124_560:                           ;   in Loop: Header=BB1124_388 Depth=2
	global_load_b64 v[14:15], v[36:37], off offset:2560
	s_wait_alu 0xfffe
	s_or_b32 exec_lo, exec_lo, s42
	s_delay_alu instid0(SALU_CYCLE_1)
	s_mov_b32 s42, exec_lo
	v_cmpx_lt_u32_e64 v138, v162
	s_cbranch_execz .LBB1124_495
.LBB1124_561:                           ;   in Loop: Header=BB1124_388 Depth=2
	global_load_b64 v[12:13], v[36:37], off offset:2816
	s_wait_alu 0xfffe
	s_or_b32 exec_lo, exec_lo, s42
	s_delay_alu instid0(SALU_CYCLE_1)
	s_mov_b32 s42, exec_lo
	v_cmpx_lt_u32_e64 v139, v162
	s_cbranch_execz .LBB1124_496
.LBB1124_562:                           ;   in Loop: Header=BB1124_388 Depth=2
	global_load_b64 v[10:11], v[36:37], off offset:3072
	s_wait_alu 0xfffe
	s_or_b32 exec_lo, exec_lo, s42
	s_delay_alu instid0(SALU_CYCLE_1)
	s_mov_b32 s42, exec_lo
	v_cmpx_lt_u32_e64 v140, v162
	s_cbranch_execz .LBB1124_497
.LBB1124_563:                           ;   in Loop: Header=BB1124_388 Depth=2
	global_load_b64 v[8:9], v[36:37], off offset:3328
	s_wait_alu 0xfffe
	s_or_b32 exec_lo, exec_lo, s42
	s_delay_alu instid0(SALU_CYCLE_1)
	s_mov_b32 s42, exec_lo
	v_cmpx_lt_u32_e64 v141, v162
	s_cbranch_execz .LBB1124_498
.LBB1124_564:                           ;   in Loop: Header=BB1124_388 Depth=2
	global_load_b64 v[6:7], v[36:37], off offset:3584
	s_wait_alu 0xfffe
	s_or_b32 exec_lo, exec_lo, s42
	s_delay_alu instid0(SALU_CYCLE_1)
	s_mov_b32 s42, exec_lo
	v_cmpx_lt_u32_e64 v142, v162
	s_cbranch_execz .LBB1124_499
.LBB1124_565:                           ;   in Loop: Header=BB1124_388 Depth=2
	global_load_b64 v[4:5], v[36:37], off offset:3840
	s_wait_alu 0xfffe
	s_or_b32 exec_lo, exec_lo, s42
	s_and_saveexec_b32 s42, vcc_lo
	s_cbranch_execz .LBB1124_500
.LBB1124_566:                           ;   in Loop: Header=BB1124_388 Depth=2
	ds_load_b64 v[36:37], v108 offset:1024
	s_wait_dscnt 0x0
	v_cmp_ne_u64_e64 s30, s[34:35], v[36:37]
	s_wait_alu 0xf1ff
	s_delay_alu instid0(VALU_DEP_1) | instskip(SKIP_1) | instid1(VALU_DEP_1)
	v_cndmask_b32_e64 v37, 0x7fffffff, v37, s30
	v_cndmask_b32_e64 v36, -1, v36, s30
	v_lshrrev_b64 v[36:37], s48, v[36:37]
	s_delay_alu instid0(VALU_DEP_1)
	v_and_b32_e32 v161, s57, v36
	s_wait_alu 0xfffe
	s_or_b32 exec_lo, exec_lo, s42
	s_and_saveexec_b32 s42, s15
	s_cbranch_execz .LBB1124_501
.LBB1124_567:                           ;   in Loop: Header=BB1124_388 Depth=2
	ds_load_b64 v[36:37], v108 offset:3072
	s_wait_dscnt 0x0
	v_cmp_ne_u64_e64 s30, s[34:35], v[36:37]
	s_wait_alu 0xf1ff
	s_delay_alu instid0(VALU_DEP_1) | instskip(SKIP_1) | instid1(VALU_DEP_1)
	v_cndmask_b32_e64 v37, 0x7fffffff, v37, s30
	v_cndmask_b32_e64 v36, -1, v36, s30
	v_lshrrev_b64 v[36:37], s48, v[36:37]
	s_delay_alu instid0(VALU_DEP_1)
	v_and_b32_e32 v160, s57, v36
	s_wait_alu 0xfffe
	s_or_b32 exec_lo, exec_lo, s42
	s_and_saveexec_b32 s42, s16
	s_cbranch_execz .LBB1124_502
.LBB1124_568:                           ;   in Loop: Header=BB1124_388 Depth=2
	ds_load_b64 v[36:37], v108 offset:5120
	s_wait_dscnt 0x0
	v_cmp_ne_u64_e64 s30, s[34:35], v[36:37]
	s_wait_alu 0xf1ff
	s_delay_alu instid0(VALU_DEP_1) | instskip(SKIP_1) | instid1(VALU_DEP_1)
	v_cndmask_b32_e64 v37, 0x7fffffff, v37, s30
	v_cndmask_b32_e64 v36, -1, v36, s30
	v_lshrrev_b64 v[36:37], s48, v[36:37]
	s_delay_alu instid0(VALU_DEP_1)
	v_and_b32_e32 v159, s57, v36
	s_wait_alu 0xfffe
	s_or_b32 exec_lo, exec_lo, s42
	s_and_saveexec_b32 s42, s17
	s_cbranch_execz .LBB1124_503
.LBB1124_569:                           ;   in Loop: Header=BB1124_388 Depth=2
	ds_load_b64 v[36:37], v108 offset:7168
	s_wait_dscnt 0x0
	v_cmp_ne_u64_e64 s30, s[34:35], v[36:37]
	s_wait_alu 0xf1ff
	s_delay_alu instid0(VALU_DEP_1) | instskip(SKIP_1) | instid1(VALU_DEP_1)
	v_cndmask_b32_e64 v37, 0x7fffffff, v37, s30
	v_cndmask_b32_e64 v36, -1, v36, s30
	v_lshrrev_b64 v[36:37], s48, v[36:37]
	s_delay_alu instid0(VALU_DEP_1)
	v_and_b32_e32 v158, s57, v36
	s_wait_alu 0xfffe
	s_or_b32 exec_lo, exec_lo, s42
	s_and_saveexec_b32 s42, s18
	s_cbranch_execz .LBB1124_504
.LBB1124_570:                           ;   in Loop: Header=BB1124_388 Depth=2
	ds_load_b64 v[36:37], v108 offset:9216
	s_wait_dscnt 0x0
	v_cmp_ne_u64_e64 s30, s[34:35], v[36:37]
	s_wait_alu 0xf1ff
	s_delay_alu instid0(VALU_DEP_1) | instskip(SKIP_1) | instid1(VALU_DEP_1)
	v_cndmask_b32_e64 v37, 0x7fffffff, v37, s30
	v_cndmask_b32_e64 v36, -1, v36, s30
	v_lshrrev_b64 v[36:37], s48, v[36:37]
	s_delay_alu instid0(VALU_DEP_1)
	v_and_b32_e32 v157, s57, v36
	s_wait_alu 0xfffe
	s_or_b32 exec_lo, exec_lo, s42
	s_and_saveexec_b32 s42, s19
	s_cbranch_execz .LBB1124_505
.LBB1124_571:                           ;   in Loop: Header=BB1124_388 Depth=2
	ds_load_b64 v[36:37], v108 offset:11264
	s_wait_dscnt 0x0
	v_cmp_ne_u64_e64 s30, s[34:35], v[36:37]
	s_wait_alu 0xf1ff
	s_delay_alu instid0(VALU_DEP_1) | instskip(SKIP_1) | instid1(VALU_DEP_1)
	v_cndmask_b32_e64 v37, 0x7fffffff, v37, s30
	v_cndmask_b32_e64 v36, -1, v36, s30
	v_lshrrev_b64 v[36:37], s48, v[36:37]
	s_delay_alu instid0(VALU_DEP_1)
	v_and_b32_e32 v156, s57, v36
	s_wait_alu 0xfffe
	s_or_b32 exec_lo, exec_lo, s42
	s_and_saveexec_b32 s42, s20
	s_cbranch_execz .LBB1124_506
.LBB1124_572:                           ;   in Loop: Header=BB1124_388 Depth=2
	ds_load_b64 v[36:37], v108 offset:13312
	s_wait_dscnt 0x0
	v_cmp_ne_u64_e64 s30, s[34:35], v[36:37]
	s_wait_alu 0xf1ff
	s_delay_alu instid0(VALU_DEP_1) | instskip(SKIP_1) | instid1(VALU_DEP_1)
	v_cndmask_b32_e64 v37, 0x7fffffff, v37, s30
	v_cndmask_b32_e64 v36, -1, v36, s30
	v_lshrrev_b64 v[36:37], s48, v[36:37]
	s_delay_alu instid0(VALU_DEP_1)
	v_and_b32_e32 v155, s57, v36
	s_wait_alu 0xfffe
	s_or_b32 exec_lo, exec_lo, s42
	s_and_saveexec_b32 s42, s21
	s_cbranch_execz .LBB1124_507
.LBB1124_573:                           ;   in Loop: Header=BB1124_388 Depth=2
	ds_load_b64 v[36:37], v108 offset:15360
	s_wait_dscnt 0x0
	v_cmp_ne_u64_e64 s30, s[34:35], v[36:37]
	s_wait_alu 0xf1ff
	s_delay_alu instid0(VALU_DEP_1) | instskip(SKIP_1) | instid1(VALU_DEP_1)
	v_cndmask_b32_e64 v37, 0x7fffffff, v37, s30
	v_cndmask_b32_e64 v36, -1, v36, s30
	v_lshrrev_b64 v[36:37], s48, v[36:37]
	s_delay_alu instid0(VALU_DEP_1)
	v_and_b32_e32 v154, s57, v36
	s_wait_alu 0xfffe
	s_or_b32 exec_lo, exec_lo, s42
	s_and_saveexec_b32 s42, s22
	s_cbranch_execz .LBB1124_508
.LBB1124_574:                           ;   in Loop: Header=BB1124_388 Depth=2
	ds_load_b64 v[36:37], v108 offset:17408
	s_wait_dscnt 0x0
	v_cmp_ne_u64_e64 s30, s[34:35], v[36:37]
	s_wait_alu 0xf1ff
	s_delay_alu instid0(VALU_DEP_1) | instskip(SKIP_1) | instid1(VALU_DEP_1)
	v_cndmask_b32_e64 v37, 0x7fffffff, v37, s30
	v_cndmask_b32_e64 v36, -1, v36, s30
	v_lshrrev_b64 v[36:37], s48, v[36:37]
	s_delay_alu instid0(VALU_DEP_1)
	v_and_b32_e32 v153, s57, v36
	s_wait_alu 0xfffe
	s_or_b32 exec_lo, exec_lo, s42
	s_and_saveexec_b32 s42, s23
	s_cbranch_execz .LBB1124_509
.LBB1124_575:                           ;   in Loop: Header=BB1124_388 Depth=2
	ds_load_b64 v[36:37], v108 offset:19456
	s_wait_dscnt 0x0
	v_cmp_ne_u64_e64 s30, s[34:35], v[36:37]
	s_wait_alu 0xf1ff
	s_delay_alu instid0(VALU_DEP_1) | instskip(SKIP_1) | instid1(VALU_DEP_1)
	v_cndmask_b32_e64 v37, 0x7fffffff, v37, s30
	v_cndmask_b32_e64 v36, -1, v36, s30
	v_lshrrev_b64 v[36:37], s48, v[36:37]
	s_delay_alu instid0(VALU_DEP_1)
	v_and_b32_e32 v152, s57, v36
	s_wait_alu 0xfffe
	s_or_b32 exec_lo, exec_lo, s42
	s_and_saveexec_b32 s42, s24
	s_cbranch_execz .LBB1124_510
.LBB1124_576:                           ;   in Loop: Header=BB1124_388 Depth=2
	ds_load_b64 v[36:37], v108 offset:21504
	s_wait_dscnt 0x0
	v_cmp_ne_u64_e64 s30, s[34:35], v[36:37]
	s_wait_alu 0xf1ff
	s_delay_alu instid0(VALU_DEP_1) | instskip(SKIP_1) | instid1(VALU_DEP_1)
	v_cndmask_b32_e64 v37, 0x7fffffff, v37, s30
	v_cndmask_b32_e64 v36, -1, v36, s30
	v_lshrrev_b64 v[36:37], s48, v[36:37]
	s_delay_alu instid0(VALU_DEP_1)
	v_and_b32_e32 v151, s57, v36
	s_wait_alu 0xfffe
	s_or_b32 exec_lo, exec_lo, s42
	s_and_saveexec_b32 s42, s25
	s_cbranch_execz .LBB1124_511
.LBB1124_577:                           ;   in Loop: Header=BB1124_388 Depth=2
	ds_load_b64 v[36:37], v108 offset:23552
	s_wait_dscnt 0x0
	v_cmp_ne_u64_e64 s30, s[34:35], v[36:37]
	s_wait_alu 0xf1ff
	s_delay_alu instid0(VALU_DEP_1) | instskip(SKIP_1) | instid1(VALU_DEP_1)
	v_cndmask_b32_e64 v37, 0x7fffffff, v37, s30
	v_cndmask_b32_e64 v36, -1, v36, s30
	v_lshrrev_b64 v[36:37], s48, v[36:37]
	s_delay_alu instid0(VALU_DEP_1)
	v_and_b32_e32 v150, s57, v36
	s_wait_alu 0xfffe
	s_or_b32 exec_lo, exec_lo, s42
	s_and_saveexec_b32 s42, s26
	s_cbranch_execz .LBB1124_512
.LBB1124_578:                           ;   in Loop: Header=BB1124_388 Depth=2
	ds_load_b64 v[36:37], v108 offset:25600
	s_wait_dscnt 0x0
	v_cmp_ne_u64_e64 s30, s[34:35], v[36:37]
	s_wait_alu 0xf1ff
	s_delay_alu instid0(VALU_DEP_1) | instskip(SKIP_1) | instid1(VALU_DEP_1)
	v_cndmask_b32_e64 v37, 0x7fffffff, v37, s30
	v_cndmask_b32_e64 v36, -1, v36, s30
	v_lshrrev_b64 v[36:37], s48, v[36:37]
	s_delay_alu instid0(VALU_DEP_1)
	v_and_b32_e32 v149, s57, v36
	s_wait_alu 0xfffe
	s_or_b32 exec_lo, exec_lo, s42
	s_and_saveexec_b32 s42, s27
	s_cbranch_execz .LBB1124_513
.LBB1124_579:                           ;   in Loop: Header=BB1124_388 Depth=2
	ds_load_b64 v[36:37], v108 offset:27648
	s_wait_dscnt 0x0
	v_cmp_ne_u64_e64 s30, s[34:35], v[36:37]
	s_wait_alu 0xf1ff
	s_delay_alu instid0(VALU_DEP_1) | instskip(SKIP_1) | instid1(VALU_DEP_1)
	v_cndmask_b32_e64 v37, 0x7fffffff, v37, s30
	v_cndmask_b32_e64 v36, -1, v36, s30
	v_lshrrev_b64 v[36:37], s48, v[36:37]
	s_delay_alu instid0(VALU_DEP_1)
	v_and_b32_e32 v148, s57, v36
	s_wait_alu 0xfffe
	s_or_b32 exec_lo, exec_lo, s42
	s_and_saveexec_b32 s42, s28
	s_cbranch_execz .LBB1124_514
.LBB1124_580:                           ;   in Loop: Header=BB1124_388 Depth=2
	ds_load_b64 v[36:37], v108 offset:29696
	s_wait_dscnt 0x0
	v_cmp_ne_u64_e64 s30, s[34:35], v[36:37]
	s_wait_alu 0xf1ff
	s_delay_alu instid0(VALU_DEP_1) | instskip(SKIP_1) | instid1(VALU_DEP_1)
	v_cndmask_b32_e64 v37, 0x7fffffff, v37, s30
	v_cndmask_b32_e64 v36, -1, v36, s30
	v_lshrrev_b64 v[36:37], s48, v[36:37]
	s_delay_alu instid0(VALU_DEP_1)
	v_and_b32_e32 v147, s57, v36
	s_wait_alu 0xfffe
	s_or_b32 exec_lo, exec_lo, s42
	s_and_saveexec_b32 s42, s29
	s_cbranch_execnz .LBB1124_515
	s_branch .LBB1124_516
.LBB1124_581:                           ;   in Loop: Header=BB1124_388 Depth=2
	v_lshlrev_b32_e32 v2, 2, v161
	ds_load_b32 v2, v2
	ds_load_b64 v[36:37], v108 offset:1024
	s_wait_dscnt 0x1
	v_add_nc_u32_e32 v2, v2, v1
	s_delay_alu instid0(VALU_DEP_1) | instskip(NEXT) | instid1(VALU_DEP_1)
	v_lshlrev_b64_e32 v[38:39], 3, v[2:3]
	v_add_co_u32 v38, vcc_lo, s46, v38
	s_wait_alu 0xfffd
	s_delay_alu instid0(VALU_DEP_2)
	v_add_co_ci_u32_e64 v39, null, s47, v39, vcc_lo
	s_wait_dscnt 0x0
	global_store_b64 v[38:39], v[36:37], off
	s_wait_alu 0xfffe
	s_or_b32 exec_lo, exec_lo, s30
	s_and_saveexec_b32 s30, s15
	s_cbranch_execz .LBB1124_518
.LBB1124_582:                           ;   in Loop: Header=BB1124_388 Depth=2
	v_lshlrev_b32_e32 v2, 2, v160
	ds_load_b32 v2, v2
	ds_load_b64 v[36:37], v108 offset:3072
	s_wait_dscnt 0x1
	v_add_nc_u32_e32 v2, v2, v77
	s_delay_alu instid0(VALU_DEP_1) | instskip(NEXT) | instid1(VALU_DEP_1)
	v_lshlrev_b64_e32 v[38:39], 3, v[2:3]
	v_add_co_u32 v38, vcc_lo, s46, v38
	s_wait_alu 0xfffd
	s_delay_alu instid0(VALU_DEP_2)
	v_add_co_ci_u32_e64 v39, null, s47, v39, vcc_lo
	s_wait_dscnt 0x0
	global_store_b64 v[38:39], v[36:37], off
	s_wait_alu 0xfffe
	s_or_b32 exec_lo, exec_lo, s30
	s_and_saveexec_b32 s15, s16
	s_cbranch_execz .LBB1124_519
.LBB1124_583:                           ;   in Loop: Header=BB1124_388 Depth=2
	v_lshlrev_b32_e32 v2, 2, v159
	ds_load_b32 v2, v2
	ds_load_b64 v[36:37], v108 offset:5120
	s_wait_dscnt 0x1
	v_add_nc_u32_e32 v2, v2, v78
	s_delay_alu instid0(VALU_DEP_1) | instskip(NEXT) | instid1(VALU_DEP_1)
	v_lshlrev_b64_e32 v[38:39], 3, v[2:3]
	v_add_co_u32 v38, vcc_lo, s46, v38
	s_wait_alu 0xfffd
	s_delay_alu instid0(VALU_DEP_2)
	v_add_co_ci_u32_e64 v39, null, s47, v39, vcc_lo
	s_wait_dscnt 0x0
	global_store_b64 v[38:39], v[36:37], off
	s_wait_alu 0xfffe
	s_or_b32 exec_lo, exec_lo, s15
	s_and_saveexec_b32 s15, s17
	s_cbranch_execz .LBB1124_520
.LBB1124_584:                           ;   in Loop: Header=BB1124_388 Depth=2
	v_lshlrev_b32_e32 v2, 2, v158
	ds_load_b32 v2, v2
	ds_load_b64 v[36:37], v108 offset:7168
	s_wait_dscnt 0x1
	v_add_nc_u32_e32 v2, v2, v79
	s_delay_alu instid0(VALU_DEP_1) | instskip(NEXT) | instid1(VALU_DEP_1)
	v_lshlrev_b64_e32 v[38:39], 3, v[2:3]
	v_add_co_u32 v38, vcc_lo, s46, v38
	s_wait_alu 0xfffd
	s_delay_alu instid0(VALU_DEP_2)
	v_add_co_ci_u32_e64 v39, null, s47, v39, vcc_lo
	s_wait_dscnt 0x0
	global_store_b64 v[38:39], v[36:37], off
	s_wait_alu 0xfffe
	s_or_b32 exec_lo, exec_lo, s15
	s_and_saveexec_b32 s15, s18
	s_cbranch_execz .LBB1124_521
.LBB1124_585:                           ;   in Loop: Header=BB1124_388 Depth=2
	v_lshlrev_b32_e32 v2, 2, v157
	ds_load_b32 v2, v2
	ds_load_b64 v[36:37], v108 offset:9216
	s_wait_dscnt 0x1
	v_add_nc_u32_e32 v2, v2, v82
	s_delay_alu instid0(VALU_DEP_1) | instskip(NEXT) | instid1(VALU_DEP_1)
	v_lshlrev_b64_e32 v[38:39], 3, v[2:3]
	v_add_co_u32 v38, vcc_lo, s46, v38
	s_wait_alu 0xfffd
	s_delay_alu instid0(VALU_DEP_2)
	v_add_co_ci_u32_e64 v39, null, s47, v39, vcc_lo
	s_wait_dscnt 0x0
	global_store_b64 v[38:39], v[36:37], off
	s_wait_alu 0xfffe
	s_or_b32 exec_lo, exec_lo, s15
	s_and_saveexec_b32 s15, s19
	s_cbranch_execz .LBB1124_522
.LBB1124_586:                           ;   in Loop: Header=BB1124_388 Depth=2
	v_lshlrev_b32_e32 v2, 2, v156
	ds_load_b32 v2, v2
	ds_load_b64 v[36:37], v108 offset:11264
	s_wait_dscnt 0x1
	v_add_nc_u32_e32 v2, v2, v83
	s_delay_alu instid0(VALU_DEP_1) | instskip(NEXT) | instid1(VALU_DEP_1)
	v_lshlrev_b64_e32 v[38:39], 3, v[2:3]
	v_add_co_u32 v38, vcc_lo, s46, v38
	s_wait_alu 0xfffd
	s_delay_alu instid0(VALU_DEP_2)
	v_add_co_ci_u32_e64 v39, null, s47, v39, vcc_lo
	s_wait_dscnt 0x0
	global_store_b64 v[38:39], v[36:37], off
	s_wait_alu 0xfffe
	s_or_b32 exec_lo, exec_lo, s15
	s_and_saveexec_b32 s15, s20
	s_cbranch_execz .LBB1124_523
.LBB1124_587:                           ;   in Loop: Header=BB1124_388 Depth=2
	v_lshlrev_b32_e32 v2, 2, v155
	ds_load_b32 v2, v2
	ds_load_b64 v[36:37], v108 offset:13312
	s_wait_dscnt 0x1
	v_add_nc_u32_e32 v2, v2, v84
	s_delay_alu instid0(VALU_DEP_1) | instskip(NEXT) | instid1(VALU_DEP_1)
	v_lshlrev_b64_e32 v[38:39], 3, v[2:3]
	v_add_co_u32 v38, vcc_lo, s46, v38
	s_wait_alu 0xfffd
	s_delay_alu instid0(VALU_DEP_2)
	v_add_co_ci_u32_e64 v39, null, s47, v39, vcc_lo
	s_wait_dscnt 0x0
	global_store_b64 v[38:39], v[36:37], off
	s_wait_alu 0xfffe
	s_or_b32 exec_lo, exec_lo, s15
	s_and_saveexec_b32 s15, s21
	s_cbranch_execz .LBB1124_524
.LBB1124_588:                           ;   in Loop: Header=BB1124_388 Depth=2
	v_lshlrev_b32_e32 v2, 2, v154
	ds_load_b32 v2, v2
	ds_load_b64 v[36:37], v108 offset:15360
	s_wait_dscnt 0x1
	v_add_nc_u32_e32 v2, v2, v85
	s_delay_alu instid0(VALU_DEP_1) | instskip(NEXT) | instid1(VALU_DEP_1)
	v_lshlrev_b64_e32 v[38:39], 3, v[2:3]
	v_add_co_u32 v38, vcc_lo, s46, v38
	s_wait_alu 0xfffd
	s_delay_alu instid0(VALU_DEP_2)
	v_add_co_ci_u32_e64 v39, null, s47, v39, vcc_lo
	s_wait_dscnt 0x0
	global_store_b64 v[38:39], v[36:37], off
	s_wait_alu 0xfffe
	s_or_b32 exec_lo, exec_lo, s15
	s_and_saveexec_b32 s15, s22
	s_cbranch_execz .LBB1124_525
.LBB1124_589:                           ;   in Loop: Header=BB1124_388 Depth=2
	v_lshlrev_b32_e32 v2, 2, v153
	ds_load_b32 v2, v2
	ds_load_b64 v[36:37], v108 offset:17408
	s_wait_dscnt 0x1
	v_add_nc_u32_e32 v2, v2, v86
	s_delay_alu instid0(VALU_DEP_1) | instskip(NEXT) | instid1(VALU_DEP_1)
	v_lshlrev_b64_e32 v[38:39], 3, v[2:3]
	v_add_co_u32 v38, vcc_lo, s46, v38
	s_wait_alu 0xfffd
	s_delay_alu instid0(VALU_DEP_2)
	v_add_co_ci_u32_e64 v39, null, s47, v39, vcc_lo
	s_wait_dscnt 0x0
	global_store_b64 v[38:39], v[36:37], off
	s_wait_alu 0xfffe
	s_or_b32 exec_lo, exec_lo, s15
	s_and_saveexec_b32 s15, s23
	s_cbranch_execz .LBB1124_526
.LBB1124_590:                           ;   in Loop: Header=BB1124_388 Depth=2
	v_lshlrev_b32_e32 v2, 2, v152
	ds_load_b32 v2, v2
	ds_load_b64 v[36:37], v108 offset:19456
	s_wait_dscnt 0x1
	v_add_nc_u32_e32 v2, v2, v87
	s_delay_alu instid0(VALU_DEP_1) | instskip(NEXT) | instid1(VALU_DEP_1)
	v_lshlrev_b64_e32 v[38:39], 3, v[2:3]
	v_add_co_u32 v38, vcc_lo, s46, v38
	s_wait_alu 0xfffd
	s_delay_alu instid0(VALU_DEP_2)
	v_add_co_ci_u32_e64 v39, null, s47, v39, vcc_lo
	s_wait_dscnt 0x0
	global_store_b64 v[38:39], v[36:37], off
	s_wait_alu 0xfffe
	s_or_b32 exec_lo, exec_lo, s15
	s_and_saveexec_b32 s15, s24
	s_cbranch_execz .LBB1124_527
.LBB1124_591:                           ;   in Loop: Header=BB1124_388 Depth=2
	v_lshlrev_b32_e32 v2, 2, v151
	ds_load_b32 v2, v2
	ds_load_b64 v[36:37], v108 offset:21504
	s_wait_dscnt 0x1
	v_add_nc_u32_e32 v2, v2, v88
	s_delay_alu instid0(VALU_DEP_1) | instskip(NEXT) | instid1(VALU_DEP_1)
	v_lshlrev_b64_e32 v[38:39], 3, v[2:3]
	v_add_co_u32 v38, vcc_lo, s46, v38
	s_wait_alu 0xfffd
	s_delay_alu instid0(VALU_DEP_2)
	v_add_co_ci_u32_e64 v39, null, s47, v39, vcc_lo
	s_wait_dscnt 0x0
	global_store_b64 v[38:39], v[36:37], off
	s_wait_alu 0xfffe
	s_or_b32 exec_lo, exec_lo, s15
	s_and_saveexec_b32 s15, s25
	s_cbranch_execz .LBB1124_528
.LBB1124_592:                           ;   in Loop: Header=BB1124_388 Depth=2
	v_lshlrev_b32_e32 v2, 2, v150
	ds_load_b32 v2, v2
	ds_load_b64 v[36:37], v108 offset:23552
	s_wait_dscnt 0x1
	v_add_nc_u32_e32 v2, v2, v89
	s_delay_alu instid0(VALU_DEP_1) | instskip(NEXT) | instid1(VALU_DEP_1)
	v_lshlrev_b64_e32 v[38:39], 3, v[2:3]
	v_add_co_u32 v38, vcc_lo, s46, v38
	s_wait_alu 0xfffd
	s_delay_alu instid0(VALU_DEP_2)
	v_add_co_ci_u32_e64 v39, null, s47, v39, vcc_lo
	s_wait_dscnt 0x0
	global_store_b64 v[38:39], v[36:37], off
	s_wait_alu 0xfffe
	s_or_b32 exec_lo, exec_lo, s15
	s_and_saveexec_b32 s15, s26
	s_cbranch_execz .LBB1124_529
.LBB1124_593:                           ;   in Loop: Header=BB1124_388 Depth=2
	v_lshlrev_b32_e32 v2, 2, v149
	ds_load_b32 v2, v2
	ds_load_b64 v[36:37], v108 offset:25600
	s_wait_dscnt 0x1
	v_add_nc_u32_e32 v2, v2, v90
	s_delay_alu instid0(VALU_DEP_1) | instskip(NEXT) | instid1(VALU_DEP_1)
	v_lshlrev_b64_e32 v[38:39], 3, v[2:3]
	v_add_co_u32 v38, vcc_lo, s46, v38
	s_wait_alu 0xfffd
	s_delay_alu instid0(VALU_DEP_2)
	v_add_co_ci_u32_e64 v39, null, s47, v39, vcc_lo
	s_wait_dscnt 0x0
	global_store_b64 v[38:39], v[36:37], off
	s_wait_alu 0xfffe
	s_or_b32 exec_lo, exec_lo, s15
	s_and_saveexec_b32 s15, s27
	s_cbranch_execz .LBB1124_530
.LBB1124_594:                           ;   in Loop: Header=BB1124_388 Depth=2
	v_lshlrev_b32_e32 v2, 2, v148
	ds_load_b32 v2, v2
	ds_load_b64 v[36:37], v108 offset:27648
	s_wait_dscnt 0x1
	v_add_nc_u32_e32 v2, v2, v91
	s_delay_alu instid0(VALU_DEP_1) | instskip(NEXT) | instid1(VALU_DEP_1)
	v_lshlrev_b64_e32 v[38:39], 3, v[2:3]
	v_add_co_u32 v38, vcc_lo, s46, v38
	s_wait_alu 0xfffd
	s_delay_alu instid0(VALU_DEP_2)
	v_add_co_ci_u32_e64 v39, null, s47, v39, vcc_lo
	s_wait_dscnt 0x0
	global_store_b64 v[38:39], v[36:37], off
	s_wait_alu 0xfffe
	s_or_b32 exec_lo, exec_lo, s15
	s_and_saveexec_b32 s15, s28
	s_cbranch_execz .LBB1124_531
.LBB1124_595:                           ;   in Loop: Header=BB1124_388 Depth=2
	v_lshlrev_b32_e32 v2, 2, v147
	ds_load_b32 v2, v2
	ds_load_b64 v[36:37], v108 offset:29696
	s_wait_dscnt 0x1
	v_add_nc_u32_e32 v2, v2, v92
	s_delay_alu instid0(VALU_DEP_1) | instskip(NEXT) | instid1(VALU_DEP_1)
	v_lshlrev_b64_e32 v[38:39], 3, v[2:3]
	v_add_co_u32 v38, vcc_lo, s46, v38
	s_wait_alu 0xfffd
	s_delay_alu instid0(VALU_DEP_2)
	v_add_co_ci_u32_e64 v39, null, s47, v39, vcc_lo
	s_wait_dscnt 0x0
	global_store_b64 v[38:39], v[36:37], off
	s_wait_alu 0xfffe
	s_or_b32 exec_lo, exec_lo, s15
	s_and_saveexec_b32 s15, s29
	s_cbranch_execnz .LBB1124_532
	s_branch .LBB1124_533
.LBB1124_596:                           ;   in Loop: Header=BB1124_12 Depth=1
	s_wait_loadcnt_dscnt 0x0
	s_barrier_signal -1
	s_barrier_wait -1
.LBB1124_597:                           ;   in Loop: Header=BB1124_12 Depth=1
	s_mov_b32 s6, 0
.LBB1124_598:                           ;   in Loop: Header=BB1124_12 Depth=1
	s_wait_alu 0xfffe
	s_and_not1_b32 vcc_lo, exec_lo, s6
	s_wait_alu 0xfffe
	s_cbranch_vccnz .LBB1124_11
; %bb.599:                              ;   in Loop: Header=BB1124_12 Depth=1
	s_lshl_b32 s6, -1, s56
	s_and_b32 vcc_lo, exec_lo, s54
	s_wait_alu 0xfffe
	s_not_b32 s56, s6
	s_mov_b32 s6, -1
	s_cbranch_vccz .LBB1124_891
; %bb.600:                              ;   in Loop: Header=BB1124_12 Depth=1
	s_mov_b32 s8, s55
	s_mov_b32 s6, s33
	s_barrier_signal -1
	s_barrier_wait -1
	global_inv scope:SCOPE_SE
                                        ; implicit-def: $vgpr4_vgpr5
                                        ; implicit-def: $vgpr6_vgpr7
                                        ; implicit-def: $vgpr8_vgpr9
                                        ; implicit-def: $vgpr10_vgpr11
                                        ; implicit-def: $vgpr12_vgpr13
                                        ; implicit-def: $vgpr14_vgpr15
                                        ; implicit-def: $vgpr16_vgpr17
                                        ; implicit-def: $vgpr18_vgpr19
                                        ; implicit-def: $vgpr20_vgpr21
                                        ; implicit-def: $vgpr22_vgpr23
                                        ; implicit-def: $vgpr24_vgpr25
                                        ; implicit-def: $vgpr26_vgpr27
                                        ; implicit-def: $vgpr28_vgpr29
                                        ; implicit-def: $vgpr30_vgpr31
                                        ; implicit-def: $vgpr32_vgpr33
                                        ; implicit-def: $vgpr34_vgpr35
	s_branch .LBB1124_602
.LBB1124_601:                           ;   in Loop: Header=BB1124_602 Depth=2
	s_wait_alu 0xfffe
	s_or_b32 exec_lo, exec_lo, s6
	s_addk_co_i32 s8, 0xf000
	s_cmp_ge_u32 s9, s51
	s_mov_b32 s6, s9
	s_cbranch_scc1 .LBB1124_670
.LBB1124_602:                           ;   Parent Loop BB1124_12 Depth=1
                                        ; =>  This Inner Loop Header: Depth=2
	s_wait_alu 0xfffe
	s_add_co_i32 s9, s6, 0x1000
	s_mov_b32 s7, -1
	s_wait_alu 0xfffe
	s_cmp_gt_u32 s9, s51
                                        ; implicit-def: $vgpr36_vgpr37
                                        ; implicit-def: $vgpr38_vgpr39
                                        ; implicit-def: $vgpr40_vgpr41
                                        ; implicit-def: $vgpr42_vgpr43
                                        ; implicit-def: $vgpr44_vgpr45
                                        ; implicit-def: $vgpr46_vgpr47
                                        ; implicit-def: $vgpr48_vgpr49
                                        ; implicit-def: $vgpr50_vgpr51
                                        ; implicit-def: $vgpr52_vgpr53
                                        ; implicit-def: $vgpr54_vgpr55
                                        ; implicit-def: $vgpr56_vgpr57
                                        ; implicit-def: $vgpr58_vgpr59
                                        ; implicit-def: $vgpr60_vgpr61
                                        ; implicit-def: $vgpr62_vgpr63
                                        ; implicit-def: $vgpr64_vgpr65
                                        ; implicit-def: $vgpr66_vgpr67
	s_cbranch_scc1 .LBB1124_604
; %bb.603:                              ;   in Loop: Header=BB1124_602 Depth=2
	s_mov_b32 s7, s34
	s_wait_alu 0xfffe
	s_lshl_b64 s[10:11], s[6:7], 3
	s_mov_b32 s7, 0
	s_wait_alu 0xfffe
	v_add_co_u32 v66, vcc_lo, v115, s10
	s_wait_alu 0xfffd
	v_add_co_ci_u32_e64 v67, null, s11, v116, vcc_lo
	s_clause 0xf
	global_load_b64 v[36:37], v[66:67], off
	global_load_b64 v[38:39], v[66:67], off offset:2048
	global_load_b64 v[40:41], v[66:67], off offset:4096
	;; [unrolled: 1-line block ×15, first 2 shown]
.LBB1124_604:                           ;   in Loop: Header=BB1124_602 Depth=2
	s_and_not1_b32 vcc_lo, exec_lo, s7
	s_movk_i32 s7, 0x1000
	s_wait_alu 0xfffe
	s_cbranch_vccnz .LBB1124_623
; %bb.605:                              ;   in Loop: Header=BB1124_602 Depth=2
	s_mov_b32 s7, s34
	s_mov_b32 s10, exec_lo
	s_wait_alu 0xfffe
	s_lshl_b64 s[6:7], s[6:7], 3
	s_wait_alu 0xfffe
	s_add_nc_u64 s[6:7], s[36:37], s[6:7]
	v_cmpx_gt_u32_e64 s8, v1
	s_cbranch_execnz .LBB1124_655
; %bb.606:                              ;   in Loop: Header=BB1124_602 Depth=2
	s_or_b32 exec_lo, exec_lo, s10
	s_delay_alu instid0(SALU_CYCLE_1)
	s_mov_b32 s10, exec_lo
	v_cmpx_gt_u32_e64 s8, v77
	s_cbranch_execnz .LBB1124_656
.LBB1124_607:                           ;   in Loop: Header=BB1124_602 Depth=2
	s_wait_alu 0xfffe
	s_or_b32 exec_lo, exec_lo, s10
	s_delay_alu instid0(SALU_CYCLE_1)
	s_mov_b32 s10, exec_lo
	v_cmpx_gt_u32_e64 s8, v78
	s_cbranch_execnz .LBB1124_657
.LBB1124_608:                           ;   in Loop: Header=BB1124_602 Depth=2
	s_wait_alu 0xfffe
	s_or_b32 exec_lo, exec_lo, s10
	s_delay_alu instid0(SALU_CYCLE_1)
	s_mov_b32 s10, exec_lo
	v_cmpx_gt_u32_e64 s8, v79
	s_cbranch_execnz .LBB1124_658
.LBB1124_609:                           ;   in Loop: Header=BB1124_602 Depth=2
	s_wait_alu 0xfffe
	s_or_b32 exec_lo, exec_lo, s10
	s_delay_alu instid0(SALU_CYCLE_1)
	s_mov_b32 s10, exec_lo
	v_cmpx_gt_u32_e64 s8, v82
	s_cbranch_execnz .LBB1124_659
.LBB1124_610:                           ;   in Loop: Header=BB1124_602 Depth=2
	s_wait_alu 0xfffe
	s_or_b32 exec_lo, exec_lo, s10
	s_delay_alu instid0(SALU_CYCLE_1)
	s_mov_b32 s10, exec_lo
	v_cmpx_gt_u32_e64 s8, v83
	s_cbranch_execnz .LBB1124_660
.LBB1124_611:                           ;   in Loop: Header=BB1124_602 Depth=2
	s_wait_alu 0xfffe
	s_or_b32 exec_lo, exec_lo, s10
	s_delay_alu instid0(SALU_CYCLE_1)
	s_mov_b32 s10, exec_lo
	v_cmpx_gt_u32_e64 s8, v84
	s_cbranch_execnz .LBB1124_661
.LBB1124_612:                           ;   in Loop: Header=BB1124_602 Depth=2
	s_wait_alu 0xfffe
	s_or_b32 exec_lo, exec_lo, s10
	s_delay_alu instid0(SALU_CYCLE_1)
	s_mov_b32 s10, exec_lo
	v_cmpx_gt_u32_e64 s8, v85
	s_cbranch_execnz .LBB1124_662
.LBB1124_613:                           ;   in Loop: Header=BB1124_602 Depth=2
	s_wait_alu 0xfffe
	s_or_b32 exec_lo, exec_lo, s10
	s_delay_alu instid0(SALU_CYCLE_1)
	s_mov_b32 s10, exec_lo
	v_cmpx_gt_u32_e64 s8, v86
	s_cbranch_execnz .LBB1124_663
.LBB1124_614:                           ;   in Loop: Header=BB1124_602 Depth=2
	s_wait_alu 0xfffe
	s_or_b32 exec_lo, exec_lo, s10
	s_delay_alu instid0(SALU_CYCLE_1)
	s_mov_b32 s10, exec_lo
	v_cmpx_gt_u32_e64 s8, v87
	s_cbranch_execnz .LBB1124_664
.LBB1124_615:                           ;   in Loop: Header=BB1124_602 Depth=2
	s_wait_alu 0xfffe
	s_or_b32 exec_lo, exec_lo, s10
	s_delay_alu instid0(SALU_CYCLE_1)
	s_mov_b32 s10, exec_lo
	v_cmpx_gt_u32_e64 s8, v88
	s_cbranch_execnz .LBB1124_665
.LBB1124_616:                           ;   in Loop: Header=BB1124_602 Depth=2
	s_wait_alu 0xfffe
	s_or_b32 exec_lo, exec_lo, s10
	s_delay_alu instid0(SALU_CYCLE_1)
	s_mov_b32 s10, exec_lo
	v_cmpx_gt_u32_e64 s8, v89
	s_cbranch_execnz .LBB1124_666
.LBB1124_617:                           ;   in Loop: Header=BB1124_602 Depth=2
	s_wait_alu 0xfffe
	s_or_b32 exec_lo, exec_lo, s10
	s_delay_alu instid0(SALU_CYCLE_1)
	s_mov_b32 s10, exec_lo
	v_cmpx_gt_u32_e64 s8, v90
	s_cbranch_execnz .LBB1124_667
.LBB1124_618:                           ;   in Loop: Header=BB1124_602 Depth=2
	s_wait_alu 0xfffe
	s_or_b32 exec_lo, exec_lo, s10
	s_delay_alu instid0(SALU_CYCLE_1)
	s_mov_b32 s10, exec_lo
	v_cmpx_gt_u32_e64 s8, v91
	s_cbranch_execnz .LBB1124_668
.LBB1124_619:                           ;   in Loop: Header=BB1124_602 Depth=2
	s_wait_alu 0xfffe
	s_or_b32 exec_lo, exec_lo, s10
	s_delay_alu instid0(SALU_CYCLE_1)
	s_mov_b32 s10, exec_lo
	v_cmpx_gt_u32_e64 s8, v92
	s_cbranch_execnz .LBB1124_669
.LBB1124_620:                           ;   in Loop: Header=BB1124_602 Depth=2
	s_wait_alu 0xfffe
	s_or_b32 exec_lo, exec_lo, s10
	s_delay_alu instid0(SALU_CYCLE_1)
	s_mov_b32 s10, exec_lo
	v_cmpx_gt_u32_e64 s8, v93
	s_cbranch_execz .LBB1124_622
.LBB1124_621:                           ;   in Loop: Header=BB1124_602 Depth=2
	global_load_b64 v[4:5], v122, s[6:7] offset:30720
.LBB1124_622:                           ;   in Loop: Header=BB1124_602 Depth=2
	s_wait_alu 0xfffe
	s_or_b32 exec_lo, exec_lo, s10
	s_wait_loadcnt 0x0
	v_dual_mov_b32 v37, v35 :: v_dual_mov_b32 v36, v34
	v_dual_mov_b32 v39, v33 :: v_dual_mov_b32 v38, v32
	;; [unrolled: 1-line block ×16, first 2 shown]
	s_mov_b32 s7, s8
.LBB1124_623:                           ;   in Loop: Header=BB1124_602 Depth=2
	s_wait_loadcnt 0x0
	s_delay_alu instid0(VALU_DEP_1)
	v_dual_mov_b32 v4, v66 :: v_dual_mov_b32 v5, v67
	v_dual_mov_b32 v6, v64 :: v_dual_mov_b32 v7, v65
	;; [unrolled: 1-line block ×16, first 2 shown]
	s_mov_b32 s6, exec_lo
	s_wait_alu 0xfffe
	v_cmpx_gt_u32_e64 s7, v1
	s_cbranch_execnz .LBB1124_639
; %bb.624:                              ;   in Loop: Header=BB1124_602 Depth=2
	s_or_b32 exec_lo, exec_lo, s6
	s_delay_alu instid0(SALU_CYCLE_1)
	s_mov_b32 s6, exec_lo
	v_cmpx_gt_u32_e64 s7, v77
	s_cbranch_execnz .LBB1124_640
.LBB1124_625:                           ;   in Loop: Header=BB1124_602 Depth=2
	s_wait_alu 0xfffe
	s_or_b32 exec_lo, exec_lo, s6
	s_delay_alu instid0(SALU_CYCLE_1)
	s_mov_b32 s6, exec_lo
	v_cmpx_gt_u32_e64 s7, v78
	s_cbranch_execnz .LBB1124_641
.LBB1124_626:                           ;   in Loop: Header=BB1124_602 Depth=2
	s_wait_alu 0xfffe
	s_or_b32 exec_lo, exec_lo, s6
	s_delay_alu instid0(SALU_CYCLE_1)
	s_mov_b32 s6, exec_lo
	v_cmpx_gt_u32_e64 s7, v79
	s_cbranch_execnz .LBB1124_642
.LBB1124_627:                           ;   in Loop: Header=BB1124_602 Depth=2
	s_wait_alu 0xfffe
	s_or_b32 exec_lo, exec_lo, s6
	s_delay_alu instid0(SALU_CYCLE_1)
	s_mov_b32 s6, exec_lo
	v_cmpx_gt_u32_e64 s7, v82
	s_cbranch_execnz .LBB1124_643
.LBB1124_628:                           ;   in Loop: Header=BB1124_602 Depth=2
	s_wait_alu 0xfffe
	s_or_b32 exec_lo, exec_lo, s6
	s_delay_alu instid0(SALU_CYCLE_1)
	s_mov_b32 s6, exec_lo
	v_cmpx_gt_u32_e64 s7, v83
	s_cbranch_execnz .LBB1124_644
.LBB1124_629:                           ;   in Loop: Header=BB1124_602 Depth=2
	s_wait_alu 0xfffe
	s_or_b32 exec_lo, exec_lo, s6
	s_delay_alu instid0(SALU_CYCLE_1)
	s_mov_b32 s6, exec_lo
	v_cmpx_gt_u32_e64 s7, v84
	s_cbranch_execnz .LBB1124_645
.LBB1124_630:                           ;   in Loop: Header=BB1124_602 Depth=2
	s_wait_alu 0xfffe
	s_or_b32 exec_lo, exec_lo, s6
	s_delay_alu instid0(SALU_CYCLE_1)
	s_mov_b32 s6, exec_lo
	v_cmpx_gt_u32_e64 s7, v85
	s_cbranch_execnz .LBB1124_646
.LBB1124_631:                           ;   in Loop: Header=BB1124_602 Depth=2
	s_wait_alu 0xfffe
	s_or_b32 exec_lo, exec_lo, s6
	s_delay_alu instid0(SALU_CYCLE_1)
	s_mov_b32 s6, exec_lo
	v_cmpx_gt_u32_e64 s7, v86
	s_cbranch_execnz .LBB1124_647
.LBB1124_632:                           ;   in Loop: Header=BB1124_602 Depth=2
	s_wait_alu 0xfffe
	s_or_b32 exec_lo, exec_lo, s6
	s_delay_alu instid0(SALU_CYCLE_1)
	s_mov_b32 s6, exec_lo
	v_cmpx_gt_u32_e64 s7, v87
	s_cbranch_execnz .LBB1124_648
.LBB1124_633:                           ;   in Loop: Header=BB1124_602 Depth=2
	s_wait_alu 0xfffe
	s_or_b32 exec_lo, exec_lo, s6
	s_delay_alu instid0(SALU_CYCLE_1)
	s_mov_b32 s6, exec_lo
	v_cmpx_gt_u32_e64 s7, v88
	s_cbranch_execnz .LBB1124_649
.LBB1124_634:                           ;   in Loop: Header=BB1124_602 Depth=2
	s_wait_alu 0xfffe
	s_or_b32 exec_lo, exec_lo, s6
	s_delay_alu instid0(SALU_CYCLE_1)
	s_mov_b32 s6, exec_lo
	v_cmpx_gt_u32_e64 s7, v89
	s_cbranch_execnz .LBB1124_650
.LBB1124_635:                           ;   in Loop: Header=BB1124_602 Depth=2
	s_wait_alu 0xfffe
	s_or_b32 exec_lo, exec_lo, s6
	s_delay_alu instid0(SALU_CYCLE_1)
	s_mov_b32 s6, exec_lo
	v_cmpx_gt_u32_e64 s7, v90
	s_cbranch_execnz .LBB1124_651
.LBB1124_636:                           ;   in Loop: Header=BB1124_602 Depth=2
	s_wait_alu 0xfffe
	s_or_b32 exec_lo, exec_lo, s6
	s_delay_alu instid0(SALU_CYCLE_1)
	s_mov_b32 s6, exec_lo
	v_cmpx_gt_u32_e64 s7, v91
	s_cbranch_execnz .LBB1124_652
.LBB1124_637:                           ;   in Loop: Header=BB1124_602 Depth=2
	s_wait_alu 0xfffe
	s_or_b32 exec_lo, exec_lo, s6
	s_delay_alu instid0(SALU_CYCLE_1)
	s_mov_b32 s6, exec_lo
	v_cmpx_gt_u32_e64 s7, v92
	s_cbranch_execnz .LBB1124_653
.LBB1124_638:                           ;   in Loop: Header=BB1124_602 Depth=2
	s_wait_alu 0xfffe
	s_or_b32 exec_lo, exec_lo, s6
	s_delay_alu instid0(SALU_CYCLE_1)
	s_mov_b32 s6, exec_lo
	v_cmpx_gt_u32_e64 s7, v93
	s_cbranch_execz .LBB1124_601
	s_branch .LBB1124_654
.LBB1124_639:                           ;   in Loop: Header=BB1124_602 Depth=2
	v_cmp_gt_i64_e32 vcc_lo, 0, v[34:35]
	v_ashrrev_i32_e32 v2, 31, v35
	s_delay_alu instid0(VALU_DEP_1) | instskip(SKIP_2) | instid1(VALU_DEP_1)
	v_not_b32_e32 v2, v2
	s_wait_alu 0xfffd
	v_cndmask_b32_e64 v36, 0x7fffffff, 0, vcc_lo
	v_xor_b32_e32 v37, v36, v35
	s_delay_alu instid0(VALU_DEP_3) | instskip(NEXT) | instid1(VALU_DEP_1)
	v_xor_b32_e32 v36, v2, v34
	v_cmp_ne_u64_e32 vcc_lo, s[34:35], v[36:37]
	s_wait_alu 0xfffd
	v_cndmask_b32_e32 v37, 0x7fffffff, v37, vcc_lo
	v_cndmask_b32_e32 v36, -1, v36, vcc_lo
	s_delay_alu instid0(VALU_DEP_1) | instskip(NEXT) | instid1(VALU_DEP_1)
	v_lshrrev_b64 v[36:37], s31, v[36:37]
	v_and_b32_e32 v2, s56, v36
	s_delay_alu instid0(VALU_DEP_1) | instskip(SKIP_2) | instid1(SALU_CYCLE_1)
	v_lshl_or_b32 v2, v2, 4, v94
	ds_add_u32 v2, v121
	s_or_b32 exec_lo, exec_lo, s6
	s_mov_b32 s6, exec_lo
	v_cmpx_gt_u32_e64 s7, v77
	s_cbranch_execz .LBB1124_625
.LBB1124_640:                           ;   in Loop: Header=BB1124_602 Depth=2
	v_cmp_gt_i64_e32 vcc_lo, 0, v[32:33]
	v_ashrrev_i32_e32 v2, 31, v33
	s_delay_alu instid0(VALU_DEP_1) | instskip(SKIP_2) | instid1(VALU_DEP_1)
	v_not_b32_e32 v2, v2
	s_wait_alu 0xfffd
	v_cndmask_b32_e64 v36, 0x7fffffff, 0, vcc_lo
	v_xor_b32_e32 v37, v36, v33
	s_delay_alu instid0(VALU_DEP_3) | instskip(NEXT) | instid1(VALU_DEP_1)
	v_xor_b32_e32 v36, v2, v32
	v_cmp_ne_u64_e32 vcc_lo, s[34:35], v[36:37]
	s_wait_alu 0xfffd
	v_cndmask_b32_e32 v37, 0x7fffffff, v37, vcc_lo
	v_cndmask_b32_e32 v36, -1, v36, vcc_lo
	s_delay_alu instid0(VALU_DEP_1) | instskip(NEXT) | instid1(VALU_DEP_1)
	v_lshrrev_b64 v[36:37], s31, v[36:37]
	v_and_b32_e32 v2, s56, v36
	s_delay_alu instid0(VALU_DEP_1) | instskip(SKIP_3) | instid1(SALU_CYCLE_1)
	v_lshl_or_b32 v2, v2, 4, v94
	ds_add_u32 v2, v121
	s_wait_alu 0xfffe
	s_or_b32 exec_lo, exec_lo, s6
	s_mov_b32 s6, exec_lo
	v_cmpx_gt_u32_e64 s7, v78
	s_cbranch_execz .LBB1124_626
.LBB1124_641:                           ;   in Loop: Header=BB1124_602 Depth=2
	v_cmp_gt_i64_e32 vcc_lo, 0, v[30:31]
	v_ashrrev_i32_e32 v2, 31, v31
	s_delay_alu instid0(VALU_DEP_1) | instskip(SKIP_2) | instid1(VALU_DEP_1)
	v_not_b32_e32 v2, v2
	s_wait_alu 0xfffd
	v_cndmask_b32_e64 v36, 0x7fffffff, 0, vcc_lo
	v_xor_b32_e32 v37, v36, v31
	s_delay_alu instid0(VALU_DEP_3) | instskip(NEXT) | instid1(VALU_DEP_1)
	v_xor_b32_e32 v36, v2, v30
	v_cmp_ne_u64_e32 vcc_lo, s[34:35], v[36:37]
	s_wait_alu 0xfffd
	v_cndmask_b32_e32 v37, 0x7fffffff, v37, vcc_lo
	v_cndmask_b32_e32 v36, -1, v36, vcc_lo
	s_delay_alu instid0(VALU_DEP_1) | instskip(NEXT) | instid1(VALU_DEP_1)
	v_lshrrev_b64 v[36:37], s31, v[36:37]
	v_and_b32_e32 v2, s56, v36
	s_delay_alu instid0(VALU_DEP_1) | instskip(SKIP_3) | instid1(SALU_CYCLE_1)
	v_lshl_or_b32 v2, v2, 4, v94
	ds_add_u32 v2, v121
	s_wait_alu 0xfffe
	s_or_b32 exec_lo, exec_lo, s6
	s_mov_b32 s6, exec_lo
	v_cmpx_gt_u32_e64 s7, v79
	s_cbranch_execz .LBB1124_627
.LBB1124_642:                           ;   in Loop: Header=BB1124_602 Depth=2
	v_cmp_gt_i64_e32 vcc_lo, 0, v[28:29]
	v_ashrrev_i32_e32 v2, 31, v29
	s_delay_alu instid0(VALU_DEP_1) | instskip(SKIP_2) | instid1(VALU_DEP_1)
	v_not_b32_e32 v2, v2
	s_wait_alu 0xfffd
	v_cndmask_b32_e64 v36, 0x7fffffff, 0, vcc_lo
	v_xor_b32_e32 v37, v36, v29
	s_delay_alu instid0(VALU_DEP_3) | instskip(NEXT) | instid1(VALU_DEP_1)
	v_xor_b32_e32 v36, v2, v28
	v_cmp_ne_u64_e32 vcc_lo, s[34:35], v[36:37]
	s_wait_alu 0xfffd
	v_cndmask_b32_e32 v37, 0x7fffffff, v37, vcc_lo
	v_cndmask_b32_e32 v36, -1, v36, vcc_lo
	s_delay_alu instid0(VALU_DEP_1) | instskip(NEXT) | instid1(VALU_DEP_1)
	v_lshrrev_b64 v[36:37], s31, v[36:37]
	v_and_b32_e32 v2, s56, v36
	s_delay_alu instid0(VALU_DEP_1) | instskip(SKIP_3) | instid1(SALU_CYCLE_1)
	v_lshl_or_b32 v2, v2, 4, v94
	ds_add_u32 v2, v121
	s_wait_alu 0xfffe
	s_or_b32 exec_lo, exec_lo, s6
	s_mov_b32 s6, exec_lo
	v_cmpx_gt_u32_e64 s7, v82
	s_cbranch_execz .LBB1124_628
.LBB1124_643:                           ;   in Loop: Header=BB1124_602 Depth=2
	v_cmp_gt_i64_e32 vcc_lo, 0, v[26:27]
	v_ashrrev_i32_e32 v2, 31, v27
	s_delay_alu instid0(VALU_DEP_1) | instskip(SKIP_2) | instid1(VALU_DEP_1)
	v_not_b32_e32 v2, v2
	s_wait_alu 0xfffd
	v_cndmask_b32_e64 v36, 0x7fffffff, 0, vcc_lo
	v_xor_b32_e32 v37, v36, v27
	s_delay_alu instid0(VALU_DEP_3) | instskip(NEXT) | instid1(VALU_DEP_1)
	v_xor_b32_e32 v36, v2, v26
	v_cmp_ne_u64_e32 vcc_lo, s[34:35], v[36:37]
	s_wait_alu 0xfffd
	v_cndmask_b32_e32 v37, 0x7fffffff, v37, vcc_lo
	v_cndmask_b32_e32 v36, -1, v36, vcc_lo
	s_delay_alu instid0(VALU_DEP_1) | instskip(NEXT) | instid1(VALU_DEP_1)
	v_lshrrev_b64 v[36:37], s31, v[36:37]
	v_and_b32_e32 v2, s56, v36
	s_delay_alu instid0(VALU_DEP_1) | instskip(SKIP_3) | instid1(SALU_CYCLE_1)
	v_lshl_or_b32 v2, v2, 4, v94
	ds_add_u32 v2, v121
	s_wait_alu 0xfffe
	s_or_b32 exec_lo, exec_lo, s6
	s_mov_b32 s6, exec_lo
	v_cmpx_gt_u32_e64 s7, v83
	s_cbranch_execz .LBB1124_629
.LBB1124_644:                           ;   in Loop: Header=BB1124_602 Depth=2
	v_cmp_gt_i64_e32 vcc_lo, 0, v[24:25]
	v_ashrrev_i32_e32 v2, 31, v25
	s_delay_alu instid0(VALU_DEP_1) | instskip(SKIP_2) | instid1(VALU_DEP_1)
	v_not_b32_e32 v2, v2
	s_wait_alu 0xfffd
	v_cndmask_b32_e64 v36, 0x7fffffff, 0, vcc_lo
	v_xor_b32_e32 v37, v36, v25
	s_delay_alu instid0(VALU_DEP_3) | instskip(NEXT) | instid1(VALU_DEP_1)
	v_xor_b32_e32 v36, v2, v24
	v_cmp_ne_u64_e32 vcc_lo, s[34:35], v[36:37]
	s_wait_alu 0xfffd
	v_cndmask_b32_e32 v37, 0x7fffffff, v37, vcc_lo
	v_cndmask_b32_e32 v36, -1, v36, vcc_lo
	s_delay_alu instid0(VALU_DEP_1) | instskip(NEXT) | instid1(VALU_DEP_1)
	v_lshrrev_b64 v[36:37], s31, v[36:37]
	v_and_b32_e32 v2, s56, v36
	s_delay_alu instid0(VALU_DEP_1) | instskip(SKIP_3) | instid1(SALU_CYCLE_1)
	v_lshl_or_b32 v2, v2, 4, v94
	ds_add_u32 v2, v121
	s_wait_alu 0xfffe
	s_or_b32 exec_lo, exec_lo, s6
	s_mov_b32 s6, exec_lo
	v_cmpx_gt_u32_e64 s7, v84
	s_cbranch_execz .LBB1124_630
.LBB1124_645:                           ;   in Loop: Header=BB1124_602 Depth=2
	v_cmp_gt_i64_e32 vcc_lo, 0, v[22:23]
	v_ashrrev_i32_e32 v2, 31, v23
	s_delay_alu instid0(VALU_DEP_1) | instskip(SKIP_2) | instid1(VALU_DEP_1)
	v_not_b32_e32 v2, v2
	s_wait_alu 0xfffd
	v_cndmask_b32_e64 v36, 0x7fffffff, 0, vcc_lo
	v_xor_b32_e32 v37, v36, v23
	s_delay_alu instid0(VALU_DEP_3) | instskip(NEXT) | instid1(VALU_DEP_1)
	v_xor_b32_e32 v36, v2, v22
	v_cmp_ne_u64_e32 vcc_lo, s[34:35], v[36:37]
	s_wait_alu 0xfffd
	v_cndmask_b32_e32 v37, 0x7fffffff, v37, vcc_lo
	v_cndmask_b32_e32 v36, -1, v36, vcc_lo
	s_delay_alu instid0(VALU_DEP_1) | instskip(NEXT) | instid1(VALU_DEP_1)
	v_lshrrev_b64 v[36:37], s31, v[36:37]
	v_and_b32_e32 v2, s56, v36
	s_delay_alu instid0(VALU_DEP_1) | instskip(SKIP_3) | instid1(SALU_CYCLE_1)
	v_lshl_or_b32 v2, v2, 4, v94
	ds_add_u32 v2, v121
	s_wait_alu 0xfffe
	s_or_b32 exec_lo, exec_lo, s6
	s_mov_b32 s6, exec_lo
	v_cmpx_gt_u32_e64 s7, v85
	s_cbranch_execz .LBB1124_631
.LBB1124_646:                           ;   in Loop: Header=BB1124_602 Depth=2
	v_cmp_gt_i64_e32 vcc_lo, 0, v[20:21]
	v_ashrrev_i32_e32 v2, 31, v21
	s_delay_alu instid0(VALU_DEP_1) | instskip(SKIP_2) | instid1(VALU_DEP_1)
	v_not_b32_e32 v2, v2
	s_wait_alu 0xfffd
	v_cndmask_b32_e64 v36, 0x7fffffff, 0, vcc_lo
	v_xor_b32_e32 v37, v36, v21
	s_delay_alu instid0(VALU_DEP_3) | instskip(NEXT) | instid1(VALU_DEP_1)
	v_xor_b32_e32 v36, v2, v20
	v_cmp_ne_u64_e32 vcc_lo, s[34:35], v[36:37]
	s_wait_alu 0xfffd
	v_cndmask_b32_e32 v37, 0x7fffffff, v37, vcc_lo
	v_cndmask_b32_e32 v36, -1, v36, vcc_lo
	s_delay_alu instid0(VALU_DEP_1) | instskip(NEXT) | instid1(VALU_DEP_1)
	v_lshrrev_b64 v[36:37], s31, v[36:37]
	v_and_b32_e32 v2, s56, v36
	s_delay_alu instid0(VALU_DEP_1) | instskip(SKIP_3) | instid1(SALU_CYCLE_1)
	v_lshl_or_b32 v2, v2, 4, v94
	ds_add_u32 v2, v121
	s_wait_alu 0xfffe
	s_or_b32 exec_lo, exec_lo, s6
	s_mov_b32 s6, exec_lo
	v_cmpx_gt_u32_e64 s7, v86
	s_cbranch_execz .LBB1124_632
.LBB1124_647:                           ;   in Loop: Header=BB1124_602 Depth=2
	v_cmp_gt_i64_e32 vcc_lo, 0, v[18:19]
	v_ashrrev_i32_e32 v2, 31, v19
	s_delay_alu instid0(VALU_DEP_1) | instskip(SKIP_2) | instid1(VALU_DEP_1)
	v_not_b32_e32 v2, v2
	s_wait_alu 0xfffd
	v_cndmask_b32_e64 v36, 0x7fffffff, 0, vcc_lo
	v_xor_b32_e32 v37, v36, v19
	s_delay_alu instid0(VALU_DEP_3) | instskip(NEXT) | instid1(VALU_DEP_1)
	v_xor_b32_e32 v36, v2, v18
	v_cmp_ne_u64_e32 vcc_lo, s[34:35], v[36:37]
	s_wait_alu 0xfffd
	v_cndmask_b32_e32 v37, 0x7fffffff, v37, vcc_lo
	v_cndmask_b32_e32 v36, -1, v36, vcc_lo
	s_delay_alu instid0(VALU_DEP_1) | instskip(NEXT) | instid1(VALU_DEP_1)
	v_lshrrev_b64 v[36:37], s31, v[36:37]
	v_and_b32_e32 v2, s56, v36
	s_delay_alu instid0(VALU_DEP_1) | instskip(SKIP_3) | instid1(SALU_CYCLE_1)
	v_lshl_or_b32 v2, v2, 4, v94
	ds_add_u32 v2, v121
	s_wait_alu 0xfffe
	s_or_b32 exec_lo, exec_lo, s6
	s_mov_b32 s6, exec_lo
	v_cmpx_gt_u32_e64 s7, v87
	s_cbranch_execz .LBB1124_633
.LBB1124_648:                           ;   in Loop: Header=BB1124_602 Depth=2
	v_cmp_gt_i64_e32 vcc_lo, 0, v[16:17]
	v_ashrrev_i32_e32 v2, 31, v17
	s_delay_alu instid0(VALU_DEP_1) | instskip(SKIP_2) | instid1(VALU_DEP_1)
	v_not_b32_e32 v2, v2
	s_wait_alu 0xfffd
	v_cndmask_b32_e64 v36, 0x7fffffff, 0, vcc_lo
	v_xor_b32_e32 v37, v36, v17
	s_delay_alu instid0(VALU_DEP_3) | instskip(NEXT) | instid1(VALU_DEP_1)
	v_xor_b32_e32 v36, v2, v16
	v_cmp_ne_u64_e32 vcc_lo, s[34:35], v[36:37]
	s_wait_alu 0xfffd
	v_cndmask_b32_e32 v37, 0x7fffffff, v37, vcc_lo
	v_cndmask_b32_e32 v36, -1, v36, vcc_lo
	s_delay_alu instid0(VALU_DEP_1) | instskip(NEXT) | instid1(VALU_DEP_1)
	v_lshrrev_b64 v[36:37], s31, v[36:37]
	v_and_b32_e32 v2, s56, v36
	s_delay_alu instid0(VALU_DEP_1) | instskip(SKIP_3) | instid1(SALU_CYCLE_1)
	v_lshl_or_b32 v2, v2, 4, v94
	ds_add_u32 v2, v121
	s_wait_alu 0xfffe
	s_or_b32 exec_lo, exec_lo, s6
	s_mov_b32 s6, exec_lo
	v_cmpx_gt_u32_e64 s7, v88
	s_cbranch_execz .LBB1124_634
.LBB1124_649:                           ;   in Loop: Header=BB1124_602 Depth=2
	v_cmp_gt_i64_e32 vcc_lo, 0, v[14:15]
	v_ashrrev_i32_e32 v2, 31, v15
	s_delay_alu instid0(VALU_DEP_1) | instskip(SKIP_2) | instid1(VALU_DEP_1)
	v_not_b32_e32 v2, v2
	s_wait_alu 0xfffd
	v_cndmask_b32_e64 v36, 0x7fffffff, 0, vcc_lo
	v_xor_b32_e32 v37, v36, v15
	s_delay_alu instid0(VALU_DEP_3) | instskip(NEXT) | instid1(VALU_DEP_1)
	v_xor_b32_e32 v36, v2, v14
	v_cmp_ne_u64_e32 vcc_lo, s[34:35], v[36:37]
	s_wait_alu 0xfffd
	v_cndmask_b32_e32 v37, 0x7fffffff, v37, vcc_lo
	v_cndmask_b32_e32 v36, -1, v36, vcc_lo
	s_delay_alu instid0(VALU_DEP_1) | instskip(NEXT) | instid1(VALU_DEP_1)
	v_lshrrev_b64 v[36:37], s31, v[36:37]
	v_and_b32_e32 v2, s56, v36
	s_delay_alu instid0(VALU_DEP_1) | instskip(SKIP_3) | instid1(SALU_CYCLE_1)
	v_lshl_or_b32 v2, v2, 4, v94
	ds_add_u32 v2, v121
	s_wait_alu 0xfffe
	s_or_b32 exec_lo, exec_lo, s6
	s_mov_b32 s6, exec_lo
	v_cmpx_gt_u32_e64 s7, v89
	s_cbranch_execz .LBB1124_635
.LBB1124_650:                           ;   in Loop: Header=BB1124_602 Depth=2
	v_cmp_gt_i64_e32 vcc_lo, 0, v[12:13]
	v_ashrrev_i32_e32 v2, 31, v13
	s_delay_alu instid0(VALU_DEP_1) | instskip(SKIP_2) | instid1(VALU_DEP_1)
	v_not_b32_e32 v2, v2
	s_wait_alu 0xfffd
	v_cndmask_b32_e64 v36, 0x7fffffff, 0, vcc_lo
	v_xor_b32_e32 v37, v36, v13
	s_delay_alu instid0(VALU_DEP_3) | instskip(NEXT) | instid1(VALU_DEP_1)
	v_xor_b32_e32 v36, v2, v12
	v_cmp_ne_u64_e32 vcc_lo, s[34:35], v[36:37]
	s_wait_alu 0xfffd
	v_cndmask_b32_e32 v37, 0x7fffffff, v37, vcc_lo
	v_cndmask_b32_e32 v36, -1, v36, vcc_lo
	s_delay_alu instid0(VALU_DEP_1) | instskip(NEXT) | instid1(VALU_DEP_1)
	v_lshrrev_b64 v[36:37], s31, v[36:37]
	v_and_b32_e32 v2, s56, v36
	s_delay_alu instid0(VALU_DEP_1) | instskip(SKIP_3) | instid1(SALU_CYCLE_1)
	v_lshl_or_b32 v2, v2, 4, v94
	ds_add_u32 v2, v121
	s_wait_alu 0xfffe
	s_or_b32 exec_lo, exec_lo, s6
	s_mov_b32 s6, exec_lo
	v_cmpx_gt_u32_e64 s7, v90
	s_cbranch_execz .LBB1124_636
.LBB1124_651:                           ;   in Loop: Header=BB1124_602 Depth=2
	v_cmp_gt_i64_e32 vcc_lo, 0, v[10:11]
	v_ashrrev_i32_e32 v2, 31, v11
	s_delay_alu instid0(VALU_DEP_1) | instskip(SKIP_2) | instid1(VALU_DEP_1)
	v_not_b32_e32 v2, v2
	s_wait_alu 0xfffd
	v_cndmask_b32_e64 v36, 0x7fffffff, 0, vcc_lo
	v_xor_b32_e32 v37, v36, v11
	s_delay_alu instid0(VALU_DEP_3) | instskip(NEXT) | instid1(VALU_DEP_1)
	v_xor_b32_e32 v36, v2, v10
	v_cmp_ne_u64_e32 vcc_lo, s[34:35], v[36:37]
	s_wait_alu 0xfffd
	v_cndmask_b32_e32 v37, 0x7fffffff, v37, vcc_lo
	v_cndmask_b32_e32 v36, -1, v36, vcc_lo
	s_delay_alu instid0(VALU_DEP_1) | instskip(NEXT) | instid1(VALU_DEP_1)
	v_lshrrev_b64 v[36:37], s31, v[36:37]
	v_and_b32_e32 v2, s56, v36
	s_delay_alu instid0(VALU_DEP_1) | instskip(SKIP_3) | instid1(SALU_CYCLE_1)
	v_lshl_or_b32 v2, v2, 4, v94
	ds_add_u32 v2, v121
	s_wait_alu 0xfffe
	s_or_b32 exec_lo, exec_lo, s6
	s_mov_b32 s6, exec_lo
	v_cmpx_gt_u32_e64 s7, v91
	s_cbranch_execz .LBB1124_637
.LBB1124_652:                           ;   in Loop: Header=BB1124_602 Depth=2
	v_cmp_gt_i64_e32 vcc_lo, 0, v[8:9]
	v_ashrrev_i32_e32 v2, 31, v9
	s_delay_alu instid0(VALU_DEP_1) | instskip(SKIP_2) | instid1(VALU_DEP_1)
	v_not_b32_e32 v2, v2
	s_wait_alu 0xfffd
	v_cndmask_b32_e64 v36, 0x7fffffff, 0, vcc_lo
	v_xor_b32_e32 v37, v36, v9
	s_delay_alu instid0(VALU_DEP_3) | instskip(NEXT) | instid1(VALU_DEP_1)
	v_xor_b32_e32 v36, v2, v8
	v_cmp_ne_u64_e32 vcc_lo, s[34:35], v[36:37]
	s_wait_alu 0xfffd
	v_cndmask_b32_e32 v37, 0x7fffffff, v37, vcc_lo
	v_cndmask_b32_e32 v36, -1, v36, vcc_lo
	s_delay_alu instid0(VALU_DEP_1) | instskip(NEXT) | instid1(VALU_DEP_1)
	v_lshrrev_b64 v[36:37], s31, v[36:37]
	v_and_b32_e32 v2, s56, v36
	s_delay_alu instid0(VALU_DEP_1) | instskip(SKIP_3) | instid1(SALU_CYCLE_1)
	v_lshl_or_b32 v2, v2, 4, v94
	ds_add_u32 v2, v121
	s_wait_alu 0xfffe
	s_or_b32 exec_lo, exec_lo, s6
	s_mov_b32 s6, exec_lo
	v_cmpx_gt_u32_e64 s7, v92
	s_cbranch_execz .LBB1124_638
.LBB1124_653:                           ;   in Loop: Header=BB1124_602 Depth=2
	v_cmp_gt_i64_e32 vcc_lo, 0, v[6:7]
	v_ashrrev_i32_e32 v2, 31, v7
	s_delay_alu instid0(VALU_DEP_1) | instskip(SKIP_2) | instid1(VALU_DEP_1)
	v_not_b32_e32 v2, v2
	s_wait_alu 0xfffd
	v_cndmask_b32_e64 v36, 0x7fffffff, 0, vcc_lo
	v_xor_b32_e32 v37, v36, v7
	s_delay_alu instid0(VALU_DEP_3) | instskip(NEXT) | instid1(VALU_DEP_1)
	v_xor_b32_e32 v36, v2, v6
	v_cmp_ne_u64_e32 vcc_lo, s[34:35], v[36:37]
	s_wait_alu 0xfffd
	v_cndmask_b32_e32 v37, 0x7fffffff, v37, vcc_lo
	v_cndmask_b32_e32 v36, -1, v36, vcc_lo
	s_delay_alu instid0(VALU_DEP_1) | instskip(NEXT) | instid1(VALU_DEP_1)
	v_lshrrev_b64 v[36:37], s31, v[36:37]
	v_and_b32_e32 v2, s56, v36
	s_delay_alu instid0(VALU_DEP_1) | instskip(SKIP_3) | instid1(SALU_CYCLE_1)
	v_lshl_or_b32 v2, v2, 4, v94
	ds_add_u32 v2, v121
	s_wait_alu 0xfffe
	s_or_b32 exec_lo, exec_lo, s6
	s_mov_b32 s6, exec_lo
	v_cmpx_gt_u32_e64 s7, v93
	s_cbranch_execz .LBB1124_601
.LBB1124_654:                           ;   in Loop: Header=BB1124_602 Depth=2
	v_cmp_gt_i64_e32 vcc_lo, 0, v[4:5]
	v_ashrrev_i32_e32 v2, 31, v5
	s_delay_alu instid0(VALU_DEP_1) | instskip(SKIP_2) | instid1(VALU_DEP_1)
	v_not_b32_e32 v2, v2
	s_wait_alu 0xfffd
	v_cndmask_b32_e64 v36, 0x7fffffff, 0, vcc_lo
	v_xor_b32_e32 v37, v36, v5
	s_delay_alu instid0(VALU_DEP_3) | instskip(NEXT) | instid1(VALU_DEP_1)
	v_xor_b32_e32 v36, v2, v4
	v_cmp_ne_u64_e32 vcc_lo, s[34:35], v[36:37]
	s_wait_alu 0xfffd
	v_cndmask_b32_e32 v37, 0x7fffffff, v37, vcc_lo
	v_cndmask_b32_e32 v36, -1, v36, vcc_lo
	s_delay_alu instid0(VALU_DEP_1) | instskip(NEXT) | instid1(VALU_DEP_1)
	v_lshrrev_b64 v[36:37], s31, v[36:37]
	v_and_b32_e32 v2, s56, v36
	s_delay_alu instid0(VALU_DEP_1)
	v_lshl_or_b32 v2, v2, 4, v94
	ds_add_u32 v2, v121
	s_branch .LBB1124_601
.LBB1124_655:                           ;   in Loop: Header=BB1124_602 Depth=2
	global_load_b64 v[34:35], v122, s[6:7]
	s_or_b32 exec_lo, exec_lo, s10
	s_delay_alu instid0(SALU_CYCLE_1)
	s_mov_b32 s10, exec_lo
	v_cmpx_gt_u32_e64 s8, v77
	s_cbranch_execz .LBB1124_607
.LBB1124_656:                           ;   in Loop: Header=BB1124_602 Depth=2
	global_load_b64 v[32:33], v122, s[6:7] offset:2048
	s_wait_alu 0xfffe
	s_or_b32 exec_lo, exec_lo, s10
	s_delay_alu instid0(SALU_CYCLE_1)
	s_mov_b32 s10, exec_lo
	v_cmpx_gt_u32_e64 s8, v78
	s_cbranch_execz .LBB1124_608
.LBB1124_657:                           ;   in Loop: Header=BB1124_602 Depth=2
	global_load_b64 v[30:31], v122, s[6:7] offset:4096
	s_wait_alu 0xfffe
	s_or_b32 exec_lo, exec_lo, s10
	s_delay_alu instid0(SALU_CYCLE_1)
	s_mov_b32 s10, exec_lo
	v_cmpx_gt_u32_e64 s8, v79
	s_cbranch_execz .LBB1124_609
.LBB1124_658:                           ;   in Loop: Header=BB1124_602 Depth=2
	global_load_b64 v[28:29], v122, s[6:7] offset:6144
	s_wait_alu 0xfffe
	s_or_b32 exec_lo, exec_lo, s10
	s_delay_alu instid0(SALU_CYCLE_1)
	s_mov_b32 s10, exec_lo
	v_cmpx_gt_u32_e64 s8, v82
	s_cbranch_execz .LBB1124_610
.LBB1124_659:                           ;   in Loop: Header=BB1124_602 Depth=2
	global_load_b64 v[26:27], v122, s[6:7] offset:8192
	s_wait_alu 0xfffe
	s_or_b32 exec_lo, exec_lo, s10
	s_delay_alu instid0(SALU_CYCLE_1)
	s_mov_b32 s10, exec_lo
	v_cmpx_gt_u32_e64 s8, v83
	s_cbranch_execz .LBB1124_611
.LBB1124_660:                           ;   in Loop: Header=BB1124_602 Depth=2
	global_load_b64 v[24:25], v122, s[6:7] offset:10240
	s_wait_alu 0xfffe
	s_or_b32 exec_lo, exec_lo, s10
	s_delay_alu instid0(SALU_CYCLE_1)
	s_mov_b32 s10, exec_lo
	v_cmpx_gt_u32_e64 s8, v84
	s_cbranch_execz .LBB1124_612
.LBB1124_661:                           ;   in Loop: Header=BB1124_602 Depth=2
	global_load_b64 v[22:23], v122, s[6:7] offset:12288
	s_wait_alu 0xfffe
	s_or_b32 exec_lo, exec_lo, s10
	s_delay_alu instid0(SALU_CYCLE_1)
	s_mov_b32 s10, exec_lo
	v_cmpx_gt_u32_e64 s8, v85
	s_cbranch_execz .LBB1124_613
.LBB1124_662:                           ;   in Loop: Header=BB1124_602 Depth=2
	global_load_b64 v[20:21], v122, s[6:7] offset:14336
	s_wait_alu 0xfffe
	s_or_b32 exec_lo, exec_lo, s10
	s_delay_alu instid0(SALU_CYCLE_1)
	s_mov_b32 s10, exec_lo
	v_cmpx_gt_u32_e64 s8, v86
	s_cbranch_execz .LBB1124_614
.LBB1124_663:                           ;   in Loop: Header=BB1124_602 Depth=2
	global_load_b64 v[18:19], v122, s[6:7] offset:16384
	s_wait_alu 0xfffe
	s_or_b32 exec_lo, exec_lo, s10
	s_delay_alu instid0(SALU_CYCLE_1)
	s_mov_b32 s10, exec_lo
	v_cmpx_gt_u32_e64 s8, v87
	s_cbranch_execz .LBB1124_615
.LBB1124_664:                           ;   in Loop: Header=BB1124_602 Depth=2
	global_load_b64 v[16:17], v122, s[6:7] offset:18432
	s_wait_alu 0xfffe
	s_or_b32 exec_lo, exec_lo, s10
	s_delay_alu instid0(SALU_CYCLE_1)
	s_mov_b32 s10, exec_lo
	v_cmpx_gt_u32_e64 s8, v88
	s_cbranch_execz .LBB1124_616
.LBB1124_665:                           ;   in Loop: Header=BB1124_602 Depth=2
	global_load_b64 v[14:15], v122, s[6:7] offset:20480
	s_wait_alu 0xfffe
	s_or_b32 exec_lo, exec_lo, s10
	s_delay_alu instid0(SALU_CYCLE_1)
	s_mov_b32 s10, exec_lo
	v_cmpx_gt_u32_e64 s8, v89
	s_cbranch_execz .LBB1124_617
.LBB1124_666:                           ;   in Loop: Header=BB1124_602 Depth=2
	global_load_b64 v[12:13], v122, s[6:7] offset:22528
	s_wait_alu 0xfffe
	s_or_b32 exec_lo, exec_lo, s10
	s_delay_alu instid0(SALU_CYCLE_1)
	s_mov_b32 s10, exec_lo
	v_cmpx_gt_u32_e64 s8, v90
	s_cbranch_execz .LBB1124_618
.LBB1124_667:                           ;   in Loop: Header=BB1124_602 Depth=2
	global_load_b64 v[10:11], v122, s[6:7] offset:24576
	s_wait_alu 0xfffe
	s_or_b32 exec_lo, exec_lo, s10
	s_delay_alu instid0(SALU_CYCLE_1)
	s_mov_b32 s10, exec_lo
	v_cmpx_gt_u32_e64 s8, v91
	s_cbranch_execz .LBB1124_619
.LBB1124_668:                           ;   in Loop: Header=BB1124_602 Depth=2
	global_load_b64 v[8:9], v122, s[6:7] offset:26624
	s_wait_alu 0xfffe
	s_or_b32 exec_lo, exec_lo, s10
	s_delay_alu instid0(SALU_CYCLE_1)
	s_mov_b32 s10, exec_lo
	v_cmpx_gt_u32_e64 s8, v92
	s_cbranch_execz .LBB1124_620
.LBB1124_669:                           ;   in Loop: Header=BB1124_602 Depth=2
	global_load_b64 v[6:7], v122, s[6:7] offset:28672
	s_wait_alu 0xfffe
	s_or_b32 exec_lo, exec_lo, s10
	s_delay_alu instid0(SALU_CYCLE_1)
	s_mov_b32 s10, exec_lo
	v_cmpx_gt_u32_e64 s8, v93
	s_cbranch_execnz .LBB1124_621
	s_branch .LBB1124_622
.LBB1124_670:                           ;   in Loop: Header=BB1124_12 Depth=1
	v_mov_b32_e32 v2, 0
	s_wait_dscnt 0x0
	s_barrier_signal -1
	s_barrier_wait -1
	global_inv scope:SCOPE_SE
	s_and_saveexec_b32 s6, s2
	s_cbranch_execz .LBB1124_672
; %bb.671:                              ;   in Loop: Header=BB1124_12 Depth=1
	ds_load_2addr_b64 v[4:7], v96 offset1:1
	s_wait_dscnt 0x0
	v_add_nc_u32_e32 v2, v5, v4
	s_delay_alu instid0(VALU_DEP_1)
	v_add3_u32 v2, v2, v6, v7
.LBB1124_672:                           ;   in Loop: Header=BB1124_12 Depth=1
	s_wait_alu 0xfffe
	s_or_b32 exec_lo, exec_lo, s6
	v_and_b32_e32 v4, 15, v123
	s_delay_alu instid0(VALU_DEP_2) | instskip(SKIP_1) | instid1(VALU_DEP_3)
	v_mov_b32_dpp v5, v2 row_shr:1 row_mask:0xf bank_mask:0xf
	v_and_b32_e32 v6, 16, v123
	v_cmp_eq_u32_e64 s6, 0, v4
	v_cmp_lt_u32_e64 s7, 1, v4
	v_cmp_lt_u32_e64 s8, 3, v4
	;; [unrolled: 1-line block ×3, first 2 shown]
	v_cmp_eq_u32_e64 s10, 0, v6
	s_wait_alu 0xf1ff
	v_cndmask_b32_e64 v5, v5, 0, s6
	s_delay_alu instid0(VALU_DEP_1) | instskip(NEXT) | instid1(VALU_DEP_1)
	v_add_nc_u32_e32 v2, v5, v2
	v_mov_b32_dpp v5, v2 row_shr:2 row_mask:0xf bank_mask:0xf
	s_delay_alu instid0(VALU_DEP_1) | instskip(NEXT) | instid1(VALU_DEP_1)
	v_cndmask_b32_e64 v5, 0, v5, s7
	v_add_nc_u32_e32 v2, v2, v5
	s_delay_alu instid0(VALU_DEP_1) | instskip(NEXT) | instid1(VALU_DEP_1)
	v_mov_b32_dpp v5, v2 row_shr:4 row_mask:0xf bank_mask:0xf
	v_cndmask_b32_e64 v5, 0, v5, s8
	s_delay_alu instid0(VALU_DEP_1) | instskip(NEXT) | instid1(VALU_DEP_1)
	v_add_nc_u32_e32 v2, v2, v5
	v_mov_b32_dpp v5, v2 row_shr:8 row_mask:0xf bank_mask:0xf
	s_delay_alu instid0(VALU_DEP_1) | instskip(SKIP_1) | instid1(VALU_DEP_2)
	v_cndmask_b32_e64 v4, 0, v5, s9
	v_bfe_i32 v5, v123, 4, 1
	v_add_nc_u32_e32 v2, v2, v4
	ds_swizzle_b32 v4, v2 offset:swizzle(BROADCAST,32,15)
	s_wait_dscnt 0x0
	v_and_b32_e32 v4, v5, v4
	s_delay_alu instid0(VALU_DEP_1)
	v_add_nc_u32_e32 v4, v2, v4
	s_and_saveexec_b32 s11, s3
; %bb.673:                              ;   in Loop: Header=BB1124_12 Depth=1
	ds_store_b32 v97, v4
; %bb.674:                              ;   in Loop: Header=BB1124_12 Depth=1
	s_wait_alu 0xfffe
	s_or_b32 exec_lo, exec_lo, s11
	v_and_b32_e32 v2, 7, v123
	s_wait_loadcnt_dscnt 0x0
	s_barrier_signal -1
	s_barrier_wait -1
	global_inv scope:SCOPE_SE
	s_and_saveexec_b32 s11, s4
	s_cbranch_execz .LBB1124_676
; %bb.675:                              ;   in Loop: Header=BB1124_12 Depth=1
	ds_load_b32 v5, v98
	v_cmp_ne_u32_e32 vcc_lo, 0, v2
	s_wait_dscnt 0x0
	v_mov_b32_dpp v6, v5 row_shr:1 row_mask:0xf bank_mask:0xf
	s_wait_alu 0xfffd
	s_delay_alu instid0(VALU_DEP_1) | instskip(SKIP_1) | instid1(VALU_DEP_2)
	v_cndmask_b32_e32 v6, 0, v6, vcc_lo
	v_cmp_lt_u32_e32 vcc_lo, 1, v2
	v_add_nc_u32_e32 v5, v6, v5
	s_delay_alu instid0(VALU_DEP_1) | instskip(SKIP_1) | instid1(VALU_DEP_1)
	v_mov_b32_dpp v6, v5 row_shr:2 row_mask:0xf bank_mask:0xf
	s_wait_alu 0xfffd
	v_cndmask_b32_e32 v6, 0, v6, vcc_lo
	v_cmp_lt_u32_e32 vcc_lo, 3, v2
	s_delay_alu instid0(VALU_DEP_2) | instskip(NEXT) | instid1(VALU_DEP_1)
	v_add_nc_u32_e32 v5, v5, v6
	v_mov_b32_dpp v6, v5 row_shr:4 row_mask:0xf bank_mask:0xf
	s_wait_alu 0xfffd
	s_delay_alu instid0(VALU_DEP_1) | instskip(NEXT) | instid1(VALU_DEP_1)
	v_cndmask_b32_e32 v6, 0, v6, vcc_lo
	v_add_nc_u32_e32 v5, v5, v6
	ds_store_b32 v98, v5
.LBB1124_676:                           ;   in Loop: Header=BB1124_12 Depth=1
	s_wait_alu 0xfffe
	s_or_b32 exec_lo, exec_lo, s11
	v_mov_b32_e32 v5, 0
	s_wait_loadcnt_dscnt 0x0
	s_barrier_signal -1
	s_barrier_wait -1
	global_inv scope:SCOPE_SE
	s_and_saveexec_b32 s11, s5
; %bb.677:                              ;   in Loop: Header=BB1124_12 Depth=1
	ds_load_b32 v5, v99
; %bb.678:                              ;   in Loop: Header=BB1124_12 Depth=1
	s_wait_alu 0xfffe
	s_or_b32 exec_lo, exec_lo, s11
	v_sub_co_u32 v6, s11, v123, 1
	s_wait_dscnt 0x0
	v_add_nc_u32_e32 v4, v5, v4
	s_wait_loadcnt 0x0
	s_barrier_signal -1
	v_cmp_gt_i32_e32 vcc_lo, 0, v6
	s_barrier_wait -1
	global_inv scope:SCOPE_SE
	s_wait_alu 0xfffd
	v_cndmask_b32_e32 v6, v6, v123, vcc_lo
	s_delay_alu instid0(VALU_DEP_1)
	v_lshlrev_b32_e32 v124, 2, v6
	ds_bpermute_b32 v4, v124, v4
	s_and_saveexec_b32 s12, s2
	s_cbranch_execz .LBB1124_680
; %bb.679:                              ;   in Loop: Header=BB1124_12 Depth=1
	s_wait_dscnt 0x0
	v_cndmask_b32_e64 v4, v4, v5, s11
	s_delay_alu instid0(VALU_DEP_1)
	v_add_nc_u32_e32 v4, s33, v4
	ds_store_b32 v76, v4
.LBB1124_680:                           ;   in Loop: Header=BB1124_12 Depth=1
	s_wait_alu 0xfffe
	s_or_b32 exec_lo, exec_lo, s12
	s_load_b64 s[12:13], s[52:53], 0x0
	s_mov_b32 s15, s34
	v_lshlrev_b32_e32 v6, 3, v123
	v_or_b32_e32 v125, v123, v100
	s_mov_b32 s57, s55
	s_mov_b32 s42, s33
                                        ; implicit-def: $vgpr8_vgpr9
                                        ; implicit-def: $vgpr10_vgpr11
                                        ; implicit-def: $vgpr12_vgpr13
                                        ; implicit-def: $vgpr14_vgpr15
                                        ; implicit-def: $vgpr16_vgpr17
                                        ; implicit-def: $vgpr18_vgpr19
                                        ; implicit-def: $vgpr20_vgpr21
                                        ; implicit-def: $vgpr22_vgpr23
                                        ; implicit-def: $vgpr24_vgpr25
                                        ; implicit-def: $vgpr26_vgpr27
                                        ; implicit-def: $vgpr28_vgpr29
                                        ; implicit-def: $vgpr30_vgpr31
                                        ; implicit-def: $vgpr32_vgpr33
                                        ; implicit-def: $vgpr34_vgpr35
                                        ; implicit-def: $vgpr146
                                        ; implicit-def: $vgpr147
                                        ; implicit-def: $vgpr148
                                        ; implicit-def: $vgpr149
                                        ; implicit-def: $vgpr150
                                        ; implicit-def: $vgpr151
                                        ; implicit-def: $vgpr152
                                        ; implicit-def: $vgpr153
                                        ; implicit-def: $vgpr154
                                        ; implicit-def: $vgpr155
                                        ; implicit-def: $vgpr156
                                        ; implicit-def: $vgpr157
                                        ; implicit-def: $vgpr158
                                        ; implicit-def: $vgpr159
                                        ; implicit-def: $vgpr160
                                        ; implicit-def: $vgpr161
	s_delay_alu instid0(VALU_DEP_2)
	v_add_co_u32 v126, vcc_lo, v117, v6
	s_wait_alu 0xfffd
	v_add_co_ci_u32_e64 v127, null, 0, v118, vcc_lo
	v_add_co_u32 v143, vcc_lo, v119, v6
	v_or_b32_e32 v128, 32, v125
	v_or_b32_e32 v129, 64, v125
	v_or_b32_e32 v130, 0x60, v125
	v_or_b32_e32 v131, 0x80, v125
	v_or_b32_e32 v132, 0xa0, v125
	v_or_b32_e32 v133, 0xc0, v125
	v_or_b32_e32 v134, 0xe0, v125
	s_wait_kmcnt 0x0
	s_cmp_lt_u32 ttmp7, s13
	s_mov_b32 s13, s34
	s_cselect_b32 s14, 14, 20
	s_cmp_lt_u32 ttmp9, s12
	s_wait_alu 0xfffe
	s_add_nc_u64 s[14:15], s[52:53], s[14:15]
	s_cselect_b32 s12, 12, 18
	s_load_u16 s15, s[14:15], 0x0
	s_add_nc_u64 s[12:13], s[52:53], s[12:13]
	v_or_b32_e32 v135, 0x100, v125
	s_load_u16 s16, s[12:13], 0x0
	v_cmp_eq_u32_e64 s12, 0, v2
	v_cmp_lt_u32_e64 s13, 1, v2
	v_cmp_lt_u32_e64 s14, 3, v2
	v_or_b32_e32 v136, 0x120, v125
	v_or_b32_e32 v137, 0x140, v125
	v_or_b32_e32 v138, 0x160, v125
	v_or_b32_e32 v139, 0x180, v125
	v_or_b32_e32 v140, 0x1a0, v125
	v_or_b32_e32 v141, 0x1c0, v125
	v_or_b32_e32 v142, 0x1e0, v125
	v_add_co_ci_u32_e64 v144, null, 0, v120, vcc_lo
                                        ; implicit-def: $vgpr6_vgpr7
	s_wait_kmcnt 0x0
	v_mad_u32_u24 v2, v102, s15, v0
	s_wait_dscnt 0x0
	s_delay_alu instid0(VALU_DEP_1) | instskip(NEXT) | instid1(VALU_DEP_1)
	v_mad_co_u64_u32 v[4:5], null, v2, s16, v[1:2]
	v_lshrrev_b32_e32 v2, 3, v4
                                        ; implicit-def: $vgpr4_vgpr5
	s_delay_alu instid0(VALU_DEP_1)
	v_and_b32_e32 v145, 0x1ffffffc, v2
	s_branch .LBB1124_682
.LBB1124_681:                           ;   in Loop: Header=BB1124_682 Depth=2
	s_wait_alu 0xfffe
	s_or_b32 exec_lo, exec_lo, s15
	s_addk_co_i32 s57, 0xf000
	s_cmp_lt_u32 s58, s51
	s_mov_b32 s42, s58
	s_cbranch_scc0 .LBB1124_890
.LBB1124_682:                           ;   Parent Loop BB1124_12 Depth=1
                                        ; =>  This Inner Loop Header: Depth=2
	s_wait_alu 0xfffe
	s_add_co_i32 s58, s42, 0x1000
	s_wait_alu 0xfffe
	s_cmp_gt_u32 s58, s51
	s_cbranch_scc1 .LBB1124_684
; %bb.683:                              ;   in Loop: Header=BB1124_682 Depth=2
	s_mov_b32 s43, s34
	s_mov_b32 s15, -1
	s_wait_alu 0xfffe
	s_lshl_b64 s[16:17], s[42:43], 3
	s_wait_alu 0xfffe
	v_add_co_u32 v42, vcc_lo, v143, s16
	s_wait_alu 0xfffd
	v_add_co_ci_u32_e64 v43, null, s17, v144, vcc_lo
	s_clause 0xe
	global_load_b64 v[36:37], v[42:43], off
	global_load_b64 v[38:39], v[42:43], off offset:256
	global_load_b64 v[40:41], v[42:43], off offset:512
	;; [unrolled: 1-line block ×14, first 2 shown]
	s_movk_i32 s16, 0x1000
	s_cbranch_execz .LBB1124_685
	s_branch .LBB1124_716
.LBB1124_684:                           ;   in Loop: Header=BB1124_682 Depth=2
	s_mov_b32 s15, 0
                                        ; implicit-def: $vgpr36_vgpr37
                                        ; implicit-def: $vgpr38_vgpr39
                                        ; implicit-def: $vgpr40_vgpr41
                                        ; implicit-def: $vgpr48_vgpr49
                                        ; implicit-def: $vgpr52_vgpr53
                                        ; implicit-def: $vgpr56_vgpr57
                                        ; implicit-def: $vgpr60_vgpr61
                                        ; implicit-def: $vgpr64_vgpr65
                                        ; implicit-def: $vgpr66_vgpr67
                                        ; implicit-def: $vgpr62_vgpr63
                                        ; implicit-def: $vgpr58_vgpr59
                                        ; implicit-def: $vgpr54_vgpr55
                                        ; implicit-def: $vgpr50_vgpr51
                                        ; implicit-def: $vgpr46_vgpr47
                                        ; implicit-def: $vgpr44_vgpr45
	s_movk_i32 s16, 0x1000
.LBB1124_685:                           ;   in Loop: Header=BB1124_682 Depth=2
	s_mov_b32 s43, s34
	s_wait_loadcnt 0xd
	v_mov_b32_e32 v38, -1
	s_wait_alu 0xfffe
	s_lshl_b64 s[16:17], s[42:43], 3
	v_dual_mov_b32 v39, -1 :: v_dual_mov_b32 v36, -1
	s_wait_alu 0xfffe
	v_add_co_u32 v42, vcc_lo, v143, s16
	s_wait_alu 0xfffd
	v_add_co_ci_u32_e64 v43, null, s17, v144, vcc_lo
	v_mov_b32_e32 v37, -1
	s_mov_b32 s15, exec_lo
	v_cmpx_gt_u32_e64 s57, v125
	s_cbranch_execz .LBB1124_687
; %bb.686:                              ;   in Loop: Header=BB1124_682 Depth=2
	global_load_b64 v[36:37], v[42:43], off
.LBB1124_687:                           ;   in Loop: Header=BB1124_682 Depth=2
	s_wait_alu 0xfffe
	s_or_b32 exec_lo, exec_lo, s15
	s_delay_alu instid0(SALU_CYCLE_1)
	s_mov_b32 s15, exec_lo
	v_cmpx_gt_u32_e64 s57, v128
	s_cbranch_execz .LBB1124_689
; %bb.688:                              ;   in Loop: Header=BB1124_682 Depth=2
	global_load_b64 v[38:39], v[42:43], off offset:256
.LBB1124_689:                           ;   in Loop: Header=BB1124_682 Depth=2
	s_wait_alu 0xfffe
	s_or_b32 exec_lo, exec_lo, s15
	s_wait_loadcnt 0xb
	v_mov_b32_e32 v48, -1
	v_dual_mov_b32 v49, -1 :: v_dual_mov_b32 v40, -1
	v_mov_b32_e32 v41, -1
	s_mov_b32 s15, exec_lo
	v_cmpx_gt_u32_e64 s57, v129
	s_cbranch_execz .LBB1124_691
; %bb.690:                              ;   in Loop: Header=BB1124_682 Depth=2
	global_load_b64 v[40:41], v[42:43], off offset:512
.LBB1124_691:                           ;   in Loop: Header=BB1124_682 Depth=2
	s_wait_alu 0xfffe
	s_or_b32 exec_lo, exec_lo, s15
	s_delay_alu instid0(SALU_CYCLE_1)
	s_mov_b32 s15, exec_lo
	v_cmpx_gt_u32_e64 s57, v130
	s_cbranch_execz .LBB1124_693
; %bb.692:                              ;   in Loop: Header=BB1124_682 Depth=2
	global_load_b64 v[48:49], v[42:43], off offset:768
.LBB1124_693:                           ;   in Loop: Header=BB1124_682 Depth=2
	s_wait_alu 0xfffe
	s_or_b32 exec_lo, exec_lo, s15
	s_wait_loadcnt 0x9
	v_mov_b32_e32 v56, -1
	v_dual_mov_b32 v57, -1 :: v_dual_mov_b32 v52, -1
	v_mov_b32_e32 v53, -1
	s_mov_b32 s15, exec_lo
	v_cmpx_gt_u32_e64 s57, v131
	s_cbranch_execz .LBB1124_695
; %bb.694:                              ;   in Loop: Header=BB1124_682 Depth=2
	global_load_b64 v[52:53], v[42:43], off offset:1024
.LBB1124_695:                           ;   in Loop: Header=BB1124_682 Depth=2
	;; [unrolled: 21-line block ×6, first 2 shown]
	s_wait_alu 0xfffe
	s_or_b32 exec_lo, exec_lo, s15
	s_delay_alu instid0(SALU_CYCLE_1)
	s_mov_b32 s15, exec_lo
	v_cmpx_gt_u32_e64 s57, v140
	s_cbranch_execz .LBB1124_713
; %bb.712:                              ;   in Loop: Header=BB1124_682 Depth=2
	global_load_b64 v[46:47], v[42:43], off offset:3328
.LBB1124_713:                           ;   in Loop: Header=BB1124_682 Depth=2
	s_wait_alu 0xfffe
	s_or_b32 exec_lo, exec_lo, s15
	s_wait_loadcnt 0x0
	v_mov_b32_e32 v44, -1
	v_mov_b32_e32 v45, -1
	s_mov_b32 s15, exec_lo
	v_cmpx_gt_u32_e64 s57, v141
	s_cbranch_execz .LBB1124_715
; %bb.714:                              ;   in Loop: Header=BB1124_682 Depth=2
	global_load_b64 v[44:45], v[42:43], off offset:3584
.LBB1124_715:                           ;   in Loop: Header=BB1124_682 Depth=2
	s_wait_alu 0xfffe
	s_or_b32 exec_lo, exec_lo, s15
	v_cmp_gt_u32_e64 s15, s57, v142
	s_sub_co_i32 s16, s51, s42
.LBB1124_716:                           ;   in Loop: Header=BB1124_682 Depth=2
	v_mov_b32_e32 v42, -1
	v_dual_mov_b32 v43, -1 :: v_dual_mov_b32 v162, s57
	s_and_saveexec_b32 s17, s15
	s_cbranch_execz .LBB1124_718
; %bb.717:                              ;   in Loop: Header=BB1124_682 Depth=2
	s_lshl_b64 s[18:19], s[42:43], 3
	s_wait_alu 0xfffe
	v_mov_b32_e32 v162, s16
	v_add_co_u32 v42, vcc_lo, v143, s18
	s_wait_alu 0xfffd
	v_add_co_ci_u32_e64 v43, null, s19, v144, vcc_lo
	global_load_b64 v[42:43], v[42:43], off offset:3840
.LBB1124_718:                           ;   in Loop: Header=BB1124_682 Depth=2
	s_wait_alu 0xfffe
	s_or_b32 exec_lo, exec_lo, s17
	s_wait_loadcnt 0xe
	v_cmp_gt_i64_e32 vcc_lo, 0, v[36:37]
	v_ashrrev_i32_e32 v2, 31, v37
	v_add_nc_u32_e32 v164, 0x420, v101
	v_add_nc_u32_e32 v165, 0x428, v101
	;; [unrolled: 1-line block ×3, first 2 shown]
	s_delay_alu instid0(VALU_DEP_4) | instskip(SKIP_2) | instid1(VALU_DEP_2)
	v_not_b32_e32 v2, v2
	s_wait_alu 0xfffd
	v_cndmask_b32_e64 v68, 0x7fffffff, 0, vcc_lo
	v_xor_b32_e32 v36, v2, v36
	s_delay_alu instid0(VALU_DEP_2) | instskip(NEXT) | instid1(VALU_DEP_1)
	v_xor_b32_e32 v37, v68, v37
	v_cmp_ne_u64_e32 vcc_lo, s[34:35], v[36:37]
	s_wait_alu 0xfffd
	v_cndmask_b32_e32 v69, 0x7fffffff, v37, vcc_lo
	v_cndmask_b32_e32 v68, -1, v36, vcc_lo
	s_delay_alu instid0(VALU_DEP_1) | instskip(NEXT) | instid1(VALU_DEP_1)
	v_lshrrev_b64 v[68:69], s31, v[68:69]
	v_and_b32_e32 v69, s56, v68
	s_delay_alu instid0(VALU_DEP_1)
	v_and_b32_e32 v2, 1, v69
	v_lshlrev_b32_e32 v68, 30, v69
	v_lshlrev_b32_e32 v70, 29, v69
	;; [unrolled: 1-line block ×4, first 2 shown]
	v_add_co_u32 v2, s15, v2, -1
	s_wait_alu 0xf1ff
	v_cndmask_b32_e64 v72, 0, 1, s15
	v_not_b32_e32 v163, v68
	v_cmp_gt_i32_e64 s15, 0, v68
	v_not_b32_e32 v68, v70
	v_lshlrev_b32_e32 v74, 26, v69
	v_cmp_ne_u32_e32 vcc_lo, 0, v72
	v_ashrrev_i32_e32 v163, 31, v163
	v_lshlrev_b32_e32 v75, 25, v69
	v_ashrrev_i32_e32 v68, 31, v68
	v_lshlrev_b32_e32 v72, 24, v69
	s_wait_alu 0xfffd
	v_xor_b32_e32 v2, vcc_lo, v2
	v_cmp_gt_i32_e32 vcc_lo, 0, v70
	v_not_b32_e32 v70, v71
	s_wait_alu 0xf1ff
	v_xor_b32_e32 v163, s15, v163
	v_cmp_gt_i32_e64 s15, 0, v71
	v_and_b32_e32 v2, exec_lo, v2
	v_not_b32_e32 v71, v73
	v_ashrrev_i32_e32 v70, 31, v70
	s_wait_alu 0xfffd
	v_xor_b32_e32 v68, vcc_lo, v68
	v_cmp_gt_i32_e32 vcc_lo, 0, v73
	v_and_b32_e32 v2, v2, v163
	v_not_b32_e32 v73, v74
	v_ashrrev_i32_e32 v71, 31, v71
	s_wait_alu 0xf1ff
	v_xor_b32_e32 v70, s15, v70
	v_cmp_gt_i32_e64 s15, 0, v74
	v_and_b32_e32 v2, v2, v68
	v_not_b32_e32 v68, v75
	v_ashrrev_i32_e32 v73, 31, v73
	s_wait_alu 0xfffd
	v_xor_b32_e32 v71, vcc_lo, v71
	v_cmp_gt_i32_e32 vcc_lo, 0, v75
	v_and_b32_e32 v2, v2, v70
	v_not_b32_e32 v70, v72
	v_ashrrev_i32_e32 v68, 31, v68
	s_wait_alu 0xf1ff
	v_xor_b32_e32 v73, s15, v73
	v_cmp_gt_i32_e64 s15, 0, v72
	v_and_b32_e32 v2, v2, v71
	v_ashrrev_i32_e32 v70, 31, v70
	s_wait_alu 0xfffd
	v_xor_b32_e32 v68, vcc_lo, v68
	v_mul_u32_u24_e32 v69, 36, v69
	v_add_nc_u32_e32 v163, 0x438, v101
	v_and_b32_e32 v2, v2, v73
	s_wait_alu 0xf1ff
	v_xor_b32_e32 v70, s15, v70
	v_add_nc_u32_e32 v167, v145, v69
	ds_store_2addr_b32 v163, v3, v3 offset1:1
	v_and_b32_e32 v2, v2, v68
	ds_store_2addr_b32 v164, v3, v3 offset1:1
	ds_store_2addr_b32 v165, v3, v3 offset1:1
	ds_store_2addr_b32 v166, v3, v3 offset1:1
	ds_store_b32 v101, v3 offset:1088
	s_wait_loadcnt_dscnt 0x0
	s_barrier_signal -1
	s_barrier_wait -1
	v_and_b32_e32 v68, v2, v70
	global_inv scope:SCOPE_SE
	; wave barrier
	v_mbcnt_lo_u32_b32 v2, v68, 0
	v_cmp_ne_u32_e64 s15, 0, v68
	s_delay_alu instid0(VALU_DEP_2)
	v_cmp_eq_u32_e32 vcc_lo, 0, v2
	s_and_b32 s16, s15, vcc_lo
	s_wait_alu 0xfffe
	s_and_saveexec_b32 s15, s16
; %bb.719:                              ;   in Loop: Header=BB1124_682 Depth=2
	v_bcnt_u32_b32 v68, v68, 0
	ds_store_b32 v167, v68 offset:1056
; %bb.720:                              ;   in Loop: Header=BB1124_682 Depth=2
	s_wait_alu 0xfffe
	s_or_b32 exec_lo, exec_lo, s15
	v_cmp_gt_i64_e32 vcc_lo, 0, v[38:39]
	v_ashrrev_i32_e32 v68, 31, v39
	; wave barrier
	s_delay_alu instid0(VALU_DEP_1) | instskip(SKIP_2) | instid1(VALU_DEP_2)
	v_not_b32_e32 v68, v68
	s_wait_alu 0xfffd
	v_cndmask_b32_e64 v69, 0x7fffffff, 0, vcc_lo
	v_xor_b32_e32 v38, v68, v38
	s_delay_alu instid0(VALU_DEP_2) | instskip(NEXT) | instid1(VALU_DEP_1)
	v_xor_b32_e32 v39, v69, v39
	v_cmp_ne_u64_e32 vcc_lo, s[34:35], v[38:39]
	s_wait_alu 0xfffd
	v_cndmask_b32_e32 v69, 0x7fffffff, v39, vcc_lo
	v_cndmask_b32_e32 v68, -1, v38, vcc_lo
	s_delay_alu instid0(VALU_DEP_1) | instskip(NEXT) | instid1(VALU_DEP_1)
	v_lshrrev_b64 v[68:69], s31, v[68:69]
	v_and_b32_e32 v69, s56, v68
	s_delay_alu instid0(VALU_DEP_1)
	v_and_b32_e32 v68, 1, v69
	v_lshlrev_b32_e32 v70, 30, v69
	v_lshlrev_b32_e32 v71, 29, v69
	;; [unrolled: 1-line block ×4, first 2 shown]
	v_add_co_u32 v68, s15, v68, -1
	s_wait_alu 0xf1ff
	v_cndmask_b32_e64 v73, 0, 1, s15
	v_not_b32_e32 v169, v70
	v_cmp_gt_i32_e64 s15, 0, v70
	v_not_b32_e32 v70, v71
	v_lshlrev_b32_e32 v75, 26, v69
	v_cmp_ne_u32_e32 vcc_lo, 0, v73
	v_ashrrev_i32_e32 v169, 31, v169
	v_lshlrev_b32_e32 v168, 25, v69
	v_ashrrev_i32_e32 v70, 31, v70
	v_lshlrev_b32_e32 v73, 24, v69
	s_wait_alu 0xfffd
	v_xor_b32_e32 v68, vcc_lo, v68
	v_cmp_gt_i32_e32 vcc_lo, 0, v71
	v_not_b32_e32 v71, v72
	s_wait_alu 0xf1ff
	v_xor_b32_e32 v169, s15, v169
	v_cmp_gt_i32_e64 s15, 0, v72
	v_and_b32_e32 v68, exec_lo, v68
	v_not_b32_e32 v72, v74
	v_ashrrev_i32_e32 v71, 31, v71
	s_wait_alu 0xfffd
	v_xor_b32_e32 v70, vcc_lo, v70
	v_cmp_gt_i32_e32 vcc_lo, 0, v74
	v_and_b32_e32 v68, v68, v169
	v_not_b32_e32 v74, v75
	v_ashrrev_i32_e32 v72, 31, v72
	s_wait_alu 0xf1ff
	v_xor_b32_e32 v71, s15, v71
	v_cmp_gt_i32_e64 s15, 0, v75
	v_and_b32_e32 v68, v68, v70
	v_not_b32_e32 v70, v168
	v_ashrrev_i32_e32 v74, 31, v74
	s_wait_alu 0xfffd
	v_xor_b32_e32 v72, vcc_lo, v72
	v_cmp_gt_i32_e32 vcc_lo, 0, v168
	v_and_b32_e32 v68, v68, v71
	v_not_b32_e32 v71, v73
	v_ashrrev_i32_e32 v70, 31, v70
	s_wait_alu 0xf1ff
	v_xor_b32_e32 v74, s15, v74
	v_cmp_gt_i32_e64 s15, 0, v73
	v_and_b32_e32 v68, v68, v72
	v_ashrrev_i32_e32 v71, 31, v71
	s_wait_alu 0xfffd
	v_xor_b32_e32 v70, vcc_lo, v70
	v_mad_u32_u24 v72, v69, 36, v145
	v_mul_u32_u24_e32 v69, 36, v69
	v_and_b32_e32 v68, v68, v74
	s_wait_alu 0xf1ff
	v_xor_b32_e32 v71, s15, v71
	ds_load_b32 v168, v72 offset:1056
	v_add_nc_u32_e32 v170, v145, v69
	v_and_b32_e32 v68, v68, v70
	; wave barrier
	s_delay_alu instid0(VALU_DEP_1) | instskip(NEXT) | instid1(VALU_DEP_1)
	v_and_b32_e32 v68, v68, v71
	v_mbcnt_lo_u32_b32 v169, v68, 0
	v_cmp_ne_u32_e64 s15, 0, v68
	s_delay_alu instid0(VALU_DEP_2)
	v_cmp_eq_u32_e32 vcc_lo, 0, v169
	s_and_b32 s16, s15, vcc_lo
	s_wait_alu 0xfffe
	s_and_saveexec_b32 s15, s16
	s_cbranch_execz .LBB1124_722
; %bb.721:                              ;   in Loop: Header=BB1124_682 Depth=2
	s_wait_dscnt 0x0
	v_bcnt_u32_b32 v68, v68, v168
	ds_store_b32 v170, v68 offset:1056
.LBB1124_722:                           ;   in Loop: Header=BB1124_682 Depth=2
	s_wait_alu 0xfffe
	s_or_b32 exec_lo, exec_lo, s15
	v_cmp_gt_i64_e32 vcc_lo, 0, v[40:41]
	v_ashrrev_i32_e32 v68, 31, v41
	; wave barrier
	s_delay_alu instid0(VALU_DEP_1) | instskip(SKIP_2) | instid1(VALU_DEP_2)
	v_not_b32_e32 v68, v68
	s_wait_alu 0xfffd
	v_cndmask_b32_e64 v69, 0x7fffffff, 0, vcc_lo
	v_xor_b32_e32 v40, v68, v40
	s_delay_alu instid0(VALU_DEP_2) | instskip(NEXT) | instid1(VALU_DEP_1)
	v_xor_b32_e32 v41, v69, v41
	v_cmp_ne_u64_e32 vcc_lo, s[34:35], v[40:41]
	s_wait_alu 0xfffd
	v_cndmask_b32_e32 v69, 0x7fffffff, v41, vcc_lo
	v_cndmask_b32_e32 v68, -1, v40, vcc_lo
	s_delay_alu instid0(VALU_DEP_1) | instskip(NEXT) | instid1(VALU_DEP_1)
	v_lshrrev_b64 v[68:69], s31, v[68:69]
	v_and_b32_e32 v69, s56, v68
	s_delay_alu instid0(VALU_DEP_1)
	v_and_b32_e32 v68, 1, v69
	v_lshlrev_b32_e32 v70, 30, v69
	v_lshlrev_b32_e32 v71, 29, v69
	;; [unrolled: 1-line block ×4, first 2 shown]
	v_add_co_u32 v68, s15, v68, -1
	s_wait_alu 0xf1ff
	v_cndmask_b32_e64 v73, 0, 1, s15
	v_not_b32_e32 v172, v70
	v_cmp_gt_i32_e64 s15, 0, v70
	v_not_b32_e32 v70, v71
	v_lshlrev_b32_e32 v75, 26, v69
	v_cmp_ne_u32_e32 vcc_lo, 0, v73
	v_ashrrev_i32_e32 v172, 31, v172
	v_lshlrev_b32_e32 v171, 25, v69
	v_ashrrev_i32_e32 v70, 31, v70
	v_lshlrev_b32_e32 v73, 24, v69
	s_wait_alu 0xfffd
	v_xor_b32_e32 v68, vcc_lo, v68
	v_cmp_gt_i32_e32 vcc_lo, 0, v71
	v_not_b32_e32 v71, v72
	s_wait_alu 0xf1ff
	v_xor_b32_e32 v172, s15, v172
	v_cmp_gt_i32_e64 s15, 0, v72
	v_and_b32_e32 v68, exec_lo, v68
	v_not_b32_e32 v72, v74
	v_ashrrev_i32_e32 v71, 31, v71
	s_wait_alu 0xfffd
	v_xor_b32_e32 v70, vcc_lo, v70
	v_cmp_gt_i32_e32 vcc_lo, 0, v74
	v_and_b32_e32 v68, v68, v172
	v_not_b32_e32 v74, v75
	v_ashrrev_i32_e32 v72, 31, v72
	s_wait_alu 0xf1ff
	v_xor_b32_e32 v71, s15, v71
	v_cmp_gt_i32_e64 s15, 0, v75
	v_and_b32_e32 v68, v68, v70
	v_not_b32_e32 v70, v171
	v_ashrrev_i32_e32 v74, 31, v74
	s_wait_alu 0xfffd
	v_xor_b32_e32 v72, vcc_lo, v72
	v_cmp_gt_i32_e32 vcc_lo, 0, v171
	v_and_b32_e32 v68, v68, v71
	v_not_b32_e32 v71, v73
	v_ashrrev_i32_e32 v70, 31, v70
	s_wait_alu 0xf1ff
	v_xor_b32_e32 v74, s15, v74
	v_cmp_gt_i32_e64 s15, 0, v73
	v_and_b32_e32 v68, v68, v72
	v_ashrrev_i32_e32 v71, 31, v71
	s_wait_alu 0xfffd
	v_xor_b32_e32 v70, vcc_lo, v70
	v_mad_u32_u24 v72, v69, 36, v145
	v_mul_u32_u24_e32 v69, 36, v69
	v_and_b32_e32 v68, v68, v74
	s_wait_alu 0xf1ff
	v_xor_b32_e32 v71, s15, v71
	ds_load_b32 v171, v72 offset:1056
	v_add_nc_u32_e32 v173, v145, v69
	v_and_b32_e32 v68, v68, v70
	; wave barrier
	s_delay_alu instid0(VALU_DEP_1) | instskip(NEXT) | instid1(VALU_DEP_1)
	v_and_b32_e32 v68, v68, v71
	v_mbcnt_lo_u32_b32 v172, v68, 0
	v_cmp_ne_u32_e64 s15, 0, v68
	s_delay_alu instid0(VALU_DEP_2)
	v_cmp_eq_u32_e32 vcc_lo, 0, v172
	s_and_b32 s16, s15, vcc_lo
	s_wait_alu 0xfffe
	s_and_saveexec_b32 s15, s16
	s_cbranch_execz .LBB1124_724
; %bb.723:                              ;   in Loop: Header=BB1124_682 Depth=2
	s_wait_dscnt 0x0
	v_bcnt_u32_b32 v68, v68, v171
	ds_store_b32 v173, v68 offset:1056
.LBB1124_724:                           ;   in Loop: Header=BB1124_682 Depth=2
	s_wait_alu 0xfffe
	s_or_b32 exec_lo, exec_lo, s15
	v_cmp_gt_i64_e32 vcc_lo, 0, v[48:49]
	v_ashrrev_i32_e32 v68, 31, v49
	; wave barrier
	s_delay_alu instid0(VALU_DEP_1) | instskip(SKIP_2) | instid1(VALU_DEP_2)
	v_not_b32_e32 v68, v68
	s_wait_alu 0xfffd
	v_cndmask_b32_e64 v69, 0x7fffffff, 0, vcc_lo
	v_xor_b32_e32 v48, v68, v48
	s_delay_alu instid0(VALU_DEP_2) | instskip(NEXT) | instid1(VALU_DEP_1)
	v_xor_b32_e32 v49, v69, v49
	v_cmp_ne_u64_e32 vcc_lo, s[34:35], v[48:49]
	s_wait_alu 0xfffd
	v_cndmask_b32_e32 v69, 0x7fffffff, v49, vcc_lo
	v_cndmask_b32_e32 v68, -1, v48, vcc_lo
	s_delay_alu instid0(VALU_DEP_1) | instskip(NEXT) | instid1(VALU_DEP_1)
	v_lshrrev_b64 v[68:69], s31, v[68:69]
	v_and_b32_e32 v69, s56, v68
	s_delay_alu instid0(VALU_DEP_1)
	v_and_b32_e32 v68, 1, v69
	v_lshlrev_b32_e32 v70, 30, v69
	v_lshlrev_b32_e32 v71, 29, v69
	;; [unrolled: 1-line block ×4, first 2 shown]
	v_add_co_u32 v68, s15, v68, -1
	s_wait_alu 0xf1ff
	v_cndmask_b32_e64 v73, 0, 1, s15
	v_not_b32_e32 v175, v70
	v_cmp_gt_i32_e64 s15, 0, v70
	v_not_b32_e32 v70, v71
	v_lshlrev_b32_e32 v75, 26, v69
	v_cmp_ne_u32_e32 vcc_lo, 0, v73
	v_ashrrev_i32_e32 v175, 31, v175
	v_lshlrev_b32_e32 v174, 25, v69
	v_ashrrev_i32_e32 v70, 31, v70
	v_lshlrev_b32_e32 v73, 24, v69
	s_wait_alu 0xfffd
	v_xor_b32_e32 v68, vcc_lo, v68
	v_cmp_gt_i32_e32 vcc_lo, 0, v71
	v_not_b32_e32 v71, v72
	s_wait_alu 0xf1ff
	v_xor_b32_e32 v175, s15, v175
	v_cmp_gt_i32_e64 s15, 0, v72
	v_and_b32_e32 v68, exec_lo, v68
	v_not_b32_e32 v72, v74
	v_ashrrev_i32_e32 v71, 31, v71
	s_wait_alu 0xfffd
	v_xor_b32_e32 v70, vcc_lo, v70
	v_cmp_gt_i32_e32 vcc_lo, 0, v74
	v_and_b32_e32 v68, v68, v175
	v_not_b32_e32 v74, v75
	v_ashrrev_i32_e32 v72, 31, v72
	s_wait_alu 0xf1ff
	v_xor_b32_e32 v71, s15, v71
	v_cmp_gt_i32_e64 s15, 0, v75
	v_and_b32_e32 v68, v68, v70
	v_not_b32_e32 v70, v174
	v_ashrrev_i32_e32 v74, 31, v74
	s_wait_alu 0xfffd
	v_xor_b32_e32 v72, vcc_lo, v72
	v_cmp_gt_i32_e32 vcc_lo, 0, v174
	v_and_b32_e32 v68, v68, v71
	v_not_b32_e32 v71, v73
	v_ashrrev_i32_e32 v70, 31, v70
	s_wait_alu 0xf1ff
	v_xor_b32_e32 v74, s15, v74
	v_cmp_gt_i32_e64 s15, 0, v73
	v_and_b32_e32 v68, v68, v72
	v_ashrrev_i32_e32 v71, 31, v71
	s_wait_alu 0xfffd
	v_xor_b32_e32 v70, vcc_lo, v70
	v_mad_u32_u24 v72, v69, 36, v145
	v_mul_u32_u24_e32 v69, 36, v69
	v_and_b32_e32 v68, v68, v74
	s_wait_alu 0xf1ff
	v_xor_b32_e32 v71, s15, v71
	ds_load_b32 v174, v72 offset:1056
	v_add_nc_u32_e32 v176, v145, v69
	v_and_b32_e32 v68, v68, v70
	; wave barrier
	s_delay_alu instid0(VALU_DEP_1) | instskip(NEXT) | instid1(VALU_DEP_1)
	v_and_b32_e32 v68, v68, v71
	v_mbcnt_lo_u32_b32 v175, v68, 0
	v_cmp_ne_u32_e64 s15, 0, v68
	s_delay_alu instid0(VALU_DEP_2)
	v_cmp_eq_u32_e32 vcc_lo, 0, v175
	s_and_b32 s16, s15, vcc_lo
	s_wait_alu 0xfffe
	s_and_saveexec_b32 s15, s16
	s_cbranch_execz .LBB1124_726
; %bb.725:                              ;   in Loop: Header=BB1124_682 Depth=2
	s_wait_dscnt 0x0
	v_bcnt_u32_b32 v68, v68, v174
	ds_store_b32 v176, v68 offset:1056
.LBB1124_726:                           ;   in Loop: Header=BB1124_682 Depth=2
	s_wait_alu 0xfffe
	s_or_b32 exec_lo, exec_lo, s15
	v_cmp_gt_i64_e32 vcc_lo, 0, v[52:53]
	v_ashrrev_i32_e32 v68, 31, v53
	; wave barrier
	s_delay_alu instid0(VALU_DEP_1) | instskip(SKIP_2) | instid1(VALU_DEP_2)
	v_not_b32_e32 v68, v68
	s_wait_alu 0xfffd
	v_cndmask_b32_e64 v69, 0x7fffffff, 0, vcc_lo
	v_xor_b32_e32 v52, v68, v52
	s_delay_alu instid0(VALU_DEP_2) | instskip(NEXT) | instid1(VALU_DEP_1)
	v_xor_b32_e32 v53, v69, v53
	v_cmp_ne_u64_e32 vcc_lo, s[34:35], v[52:53]
	s_wait_alu 0xfffd
	v_cndmask_b32_e32 v69, 0x7fffffff, v53, vcc_lo
	v_cndmask_b32_e32 v68, -1, v52, vcc_lo
	s_delay_alu instid0(VALU_DEP_1) | instskip(NEXT) | instid1(VALU_DEP_1)
	v_lshrrev_b64 v[68:69], s31, v[68:69]
	v_and_b32_e32 v69, s56, v68
	s_delay_alu instid0(VALU_DEP_1)
	v_and_b32_e32 v68, 1, v69
	v_lshlrev_b32_e32 v70, 30, v69
	v_lshlrev_b32_e32 v71, 29, v69
	;; [unrolled: 1-line block ×4, first 2 shown]
	v_add_co_u32 v68, s15, v68, -1
	s_wait_alu 0xf1ff
	v_cndmask_b32_e64 v73, 0, 1, s15
	v_not_b32_e32 v178, v70
	v_cmp_gt_i32_e64 s15, 0, v70
	v_not_b32_e32 v70, v71
	v_lshlrev_b32_e32 v75, 26, v69
	v_cmp_ne_u32_e32 vcc_lo, 0, v73
	v_ashrrev_i32_e32 v178, 31, v178
	v_lshlrev_b32_e32 v177, 25, v69
	v_ashrrev_i32_e32 v70, 31, v70
	v_lshlrev_b32_e32 v73, 24, v69
	s_wait_alu 0xfffd
	v_xor_b32_e32 v68, vcc_lo, v68
	v_cmp_gt_i32_e32 vcc_lo, 0, v71
	v_not_b32_e32 v71, v72
	s_wait_alu 0xf1ff
	v_xor_b32_e32 v178, s15, v178
	v_cmp_gt_i32_e64 s15, 0, v72
	v_and_b32_e32 v68, exec_lo, v68
	v_not_b32_e32 v72, v74
	v_ashrrev_i32_e32 v71, 31, v71
	s_wait_alu 0xfffd
	v_xor_b32_e32 v70, vcc_lo, v70
	v_cmp_gt_i32_e32 vcc_lo, 0, v74
	v_and_b32_e32 v68, v68, v178
	v_not_b32_e32 v74, v75
	v_ashrrev_i32_e32 v72, 31, v72
	s_wait_alu 0xf1ff
	v_xor_b32_e32 v71, s15, v71
	v_cmp_gt_i32_e64 s15, 0, v75
	v_and_b32_e32 v68, v68, v70
	v_not_b32_e32 v70, v177
	v_ashrrev_i32_e32 v74, 31, v74
	s_wait_alu 0xfffd
	v_xor_b32_e32 v72, vcc_lo, v72
	v_cmp_gt_i32_e32 vcc_lo, 0, v177
	v_and_b32_e32 v68, v68, v71
	v_not_b32_e32 v71, v73
	v_ashrrev_i32_e32 v70, 31, v70
	s_wait_alu 0xf1ff
	v_xor_b32_e32 v74, s15, v74
	v_cmp_gt_i32_e64 s15, 0, v73
	v_and_b32_e32 v68, v68, v72
	v_ashrrev_i32_e32 v71, 31, v71
	s_wait_alu 0xfffd
	v_xor_b32_e32 v70, vcc_lo, v70
	v_mad_u32_u24 v72, v69, 36, v145
	v_mul_u32_u24_e32 v69, 36, v69
	v_and_b32_e32 v68, v68, v74
	s_wait_alu 0xf1ff
	v_xor_b32_e32 v71, s15, v71
	ds_load_b32 v177, v72 offset:1056
	v_add_nc_u32_e32 v179, v145, v69
	v_and_b32_e32 v68, v68, v70
	; wave barrier
	s_delay_alu instid0(VALU_DEP_1) | instskip(NEXT) | instid1(VALU_DEP_1)
	v_and_b32_e32 v68, v68, v71
	v_mbcnt_lo_u32_b32 v178, v68, 0
	v_cmp_ne_u32_e64 s15, 0, v68
	s_delay_alu instid0(VALU_DEP_2)
	v_cmp_eq_u32_e32 vcc_lo, 0, v178
	s_and_b32 s16, s15, vcc_lo
	s_wait_alu 0xfffe
	s_and_saveexec_b32 s15, s16
	s_cbranch_execz .LBB1124_728
; %bb.727:                              ;   in Loop: Header=BB1124_682 Depth=2
	s_wait_dscnt 0x0
	v_bcnt_u32_b32 v68, v68, v177
	ds_store_b32 v179, v68 offset:1056
.LBB1124_728:                           ;   in Loop: Header=BB1124_682 Depth=2
	s_wait_alu 0xfffe
	s_or_b32 exec_lo, exec_lo, s15
	v_cmp_gt_i64_e32 vcc_lo, 0, v[56:57]
	v_ashrrev_i32_e32 v68, 31, v57
	; wave barrier
	s_delay_alu instid0(VALU_DEP_1) | instskip(SKIP_2) | instid1(VALU_DEP_2)
	v_not_b32_e32 v68, v68
	s_wait_alu 0xfffd
	v_cndmask_b32_e64 v69, 0x7fffffff, 0, vcc_lo
	v_xor_b32_e32 v56, v68, v56
	s_delay_alu instid0(VALU_DEP_2) | instskip(NEXT) | instid1(VALU_DEP_1)
	v_xor_b32_e32 v57, v69, v57
	v_cmp_ne_u64_e32 vcc_lo, s[34:35], v[56:57]
	s_wait_alu 0xfffd
	v_cndmask_b32_e32 v69, 0x7fffffff, v57, vcc_lo
	v_cndmask_b32_e32 v68, -1, v56, vcc_lo
	s_delay_alu instid0(VALU_DEP_1) | instskip(NEXT) | instid1(VALU_DEP_1)
	v_lshrrev_b64 v[68:69], s31, v[68:69]
	v_and_b32_e32 v69, s56, v68
	s_delay_alu instid0(VALU_DEP_1)
	v_and_b32_e32 v68, 1, v69
	v_lshlrev_b32_e32 v70, 30, v69
	v_lshlrev_b32_e32 v71, 29, v69
	;; [unrolled: 1-line block ×4, first 2 shown]
	v_add_co_u32 v68, s15, v68, -1
	s_wait_alu 0xf1ff
	v_cndmask_b32_e64 v73, 0, 1, s15
	v_not_b32_e32 v181, v70
	v_cmp_gt_i32_e64 s15, 0, v70
	v_not_b32_e32 v70, v71
	v_lshlrev_b32_e32 v75, 26, v69
	v_cmp_ne_u32_e32 vcc_lo, 0, v73
	v_ashrrev_i32_e32 v181, 31, v181
	v_lshlrev_b32_e32 v180, 25, v69
	v_ashrrev_i32_e32 v70, 31, v70
	v_lshlrev_b32_e32 v73, 24, v69
	s_wait_alu 0xfffd
	v_xor_b32_e32 v68, vcc_lo, v68
	v_cmp_gt_i32_e32 vcc_lo, 0, v71
	v_not_b32_e32 v71, v72
	s_wait_alu 0xf1ff
	v_xor_b32_e32 v181, s15, v181
	v_cmp_gt_i32_e64 s15, 0, v72
	v_and_b32_e32 v68, exec_lo, v68
	v_not_b32_e32 v72, v74
	v_ashrrev_i32_e32 v71, 31, v71
	s_wait_alu 0xfffd
	v_xor_b32_e32 v70, vcc_lo, v70
	v_cmp_gt_i32_e32 vcc_lo, 0, v74
	v_and_b32_e32 v68, v68, v181
	v_not_b32_e32 v74, v75
	v_ashrrev_i32_e32 v72, 31, v72
	s_wait_alu 0xf1ff
	v_xor_b32_e32 v71, s15, v71
	v_cmp_gt_i32_e64 s15, 0, v75
	v_and_b32_e32 v68, v68, v70
	v_not_b32_e32 v70, v180
	v_ashrrev_i32_e32 v74, 31, v74
	s_wait_alu 0xfffd
	v_xor_b32_e32 v72, vcc_lo, v72
	v_cmp_gt_i32_e32 vcc_lo, 0, v180
	v_and_b32_e32 v68, v68, v71
	v_not_b32_e32 v71, v73
	v_ashrrev_i32_e32 v70, 31, v70
	s_wait_alu 0xf1ff
	v_xor_b32_e32 v74, s15, v74
	v_cmp_gt_i32_e64 s15, 0, v73
	v_and_b32_e32 v68, v68, v72
	v_ashrrev_i32_e32 v71, 31, v71
	s_wait_alu 0xfffd
	v_xor_b32_e32 v70, vcc_lo, v70
	v_mad_u32_u24 v72, v69, 36, v145
	v_mul_u32_u24_e32 v69, 36, v69
	v_and_b32_e32 v68, v68, v74
	s_wait_alu 0xf1ff
	v_xor_b32_e32 v71, s15, v71
	ds_load_b32 v180, v72 offset:1056
	v_add_nc_u32_e32 v182, v145, v69
	v_and_b32_e32 v68, v68, v70
	; wave barrier
	s_delay_alu instid0(VALU_DEP_1) | instskip(NEXT) | instid1(VALU_DEP_1)
	v_and_b32_e32 v68, v68, v71
	v_mbcnt_lo_u32_b32 v181, v68, 0
	v_cmp_ne_u32_e64 s15, 0, v68
	s_delay_alu instid0(VALU_DEP_2)
	v_cmp_eq_u32_e32 vcc_lo, 0, v181
	s_and_b32 s16, s15, vcc_lo
	s_wait_alu 0xfffe
	s_and_saveexec_b32 s15, s16
	s_cbranch_execz .LBB1124_730
; %bb.729:                              ;   in Loop: Header=BB1124_682 Depth=2
	s_wait_dscnt 0x0
	v_bcnt_u32_b32 v68, v68, v180
	ds_store_b32 v182, v68 offset:1056
.LBB1124_730:                           ;   in Loop: Header=BB1124_682 Depth=2
	s_wait_alu 0xfffe
	s_or_b32 exec_lo, exec_lo, s15
	v_cmp_gt_i64_e32 vcc_lo, 0, v[60:61]
	v_ashrrev_i32_e32 v68, 31, v61
	; wave barrier
	s_delay_alu instid0(VALU_DEP_1) | instskip(SKIP_2) | instid1(VALU_DEP_2)
	v_not_b32_e32 v68, v68
	s_wait_alu 0xfffd
	v_cndmask_b32_e64 v69, 0x7fffffff, 0, vcc_lo
	v_xor_b32_e32 v60, v68, v60
	s_delay_alu instid0(VALU_DEP_2) | instskip(NEXT) | instid1(VALU_DEP_1)
	v_xor_b32_e32 v61, v69, v61
	v_cmp_ne_u64_e32 vcc_lo, s[34:35], v[60:61]
	s_wait_alu 0xfffd
	v_cndmask_b32_e32 v69, 0x7fffffff, v61, vcc_lo
	v_cndmask_b32_e32 v68, -1, v60, vcc_lo
	s_delay_alu instid0(VALU_DEP_1) | instskip(NEXT) | instid1(VALU_DEP_1)
	v_lshrrev_b64 v[68:69], s31, v[68:69]
	v_and_b32_e32 v69, s56, v68
	s_delay_alu instid0(VALU_DEP_1)
	v_and_b32_e32 v68, 1, v69
	v_lshlrev_b32_e32 v70, 30, v69
	v_lshlrev_b32_e32 v71, 29, v69
	;; [unrolled: 1-line block ×4, first 2 shown]
	v_add_co_u32 v68, s15, v68, -1
	s_wait_alu 0xf1ff
	v_cndmask_b32_e64 v73, 0, 1, s15
	v_not_b32_e32 v184, v70
	v_cmp_gt_i32_e64 s15, 0, v70
	v_not_b32_e32 v70, v71
	v_lshlrev_b32_e32 v75, 26, v69
	v_cmp_ne_u32_e32 vcc_lo, 0, v73
	v_ashrrev_i32_e32 v184, 31, v184
	v_lshlrev_b32_e32 v183, 25, v69
	v_ashrrev_i32_e32 v70, 31, v70
	v_lshlrev_b32_e32 v73, 24, v69
	s_wait_alu 0xfffd
	v_xor_b32_e32 v68, vcc_lo, v68
	v_cmp_gt_i32_e32 vcc_lo, 0, v71
	v_not_b32_e32 v71, v72
	s_wait_alu 0xf1ff
	v_xor_b32_e32 v184, s15, v184
	v_cmp_gt_i32_e64 s15, 0, v72
	v_and_b32_e32 v68, exec_lo, v68
	v_not_b32_e32 v72, v74
	v_ashrrev_i32_e32 v71, 31, v71
	s_wait_alu 0xfffd
	v_xor_b32_e32 v70, vcc_lo, v70
	v_cmp_gt_i32_e32 vcc_lo, 0, v74
	v_and_b32_e32 v68, v68, v184
	v_not_b32_e32 v74, v75
	v_ashrrev_i32_e32 v72, 31, v72
	s_wait_alu 0xf1ff
	v_xor_b32_e32 v71, s15, v71
	v_cmp_gt_i32_e64 s15, 0, v75
	v_and_b32_e32 v68, v68, v70
	v_not_b32_e32 v70, v183
	v_ashrrev_i32_e32 v74, 31, v74
	s_wait_alu 0xfffd
	v_xor_b32_e32 v72, vcc_lo, v72
	v_cmp_gt_i32_e32 vcc_lo, 0, v183
	v_and_b32_e32 v68, v68, v71
	v_not_b32_e32 v71, v73
	v_ashrrev_i32_e32 v70, 31, v70
	s_wait_alu 0xf1ff
	v_xor_b32_e32 v74, s15, v74
	v_cmp_gt_i32_e64 s15, 0, v73
	v_and_b32_e32 v68, v68, v72
	v_ashrrev_i32_e32 v71, 31, v71
	s_wait_alu 0xfffd
	v_xor_b32_e32 v70, vcc_lo, v70
	v_mad_u32_u24 v72, v69, 36, v145
	v_mul_u32_u24_e32 v69, 36, v69
	v_and_b32_e32 v68, v68, v74
	s_wait_alu 0xf1ff
	v_xor_b32_e32 v71, s15, v71
	ds_load_b32 v183, v72 offset:1056
	v_add_nc_u32_e32 v185, v145, v69
	v_and_b32_e32 v68, v68, v70
	; wave barrier
	s_delay_alu instid0(VALU_DEP_1) | instskip(NEXT) | instid1(VALU_DEP_1)
	v_and_b32_e32 v68, v68, v71
	v_mbcnt_lo_u32_b32 v184, v68, 0
	v_cmp_ne_u32_e64 s15, 0, v68
	s_delay_alu instid0(VALU_DEP_2)
	v_cmp_eq_u32_e32 vcc_lo, 0, v184
	s_and_b32 s16, s15, vcc_lo
	s_wait_alu 0xfffe
	s_and_saveexec_b32 s15, s16
	s_cbranch_execz .LBB1124_732
; %bb.731:                              ;   in Loop: Header=BB1124_682 Depth=2
	s_wait_dscnt 0x0
	v_bcnt_u32_b32 v68, v68, v183
	ds_store_b32 v185, v68 offset:1056
.LBB1124_732:                           ;   in Loop: Header=BB1124_682 Depth=2
	s_wait_alu 0xfffe
	s_or_b32 exec_lo, exec_lo, s15
	v_cmp_gt_i64_e32 vcc_lo, 0, v[64:65]
	v_ashrrev_i32_e32 v68, 31, v65
	; wave barrier
	s_delay_alu instid0(VALU_DEP_1) | instskip(SKIP_2) | instid1(VALU_DEP_2)
	v_not_b32_e32 v68, v68
	s_wait_alu 0xfffd
	v_cndmask_b32_e64 v69, 0x7fffffff, 0, vcc_lo
	v_xor_b32_e32 v64, v68, v64
	s_delay_alu instid0(VALU_DEP_2) | instskip(NEXT) | instid1(VALU_DEP_1)
	v_xor_b32_e32 v65, v69, v65
	v_cmp_ne_u64_e32 vcc_lo, s[34:35], v[64:65]
	s_wait_alu 0xfffd
	v_cndmask_b32_e32 v69, 0x7fffffff, v65, vcc_lo
	v_cndmask_b32_e32 v68, -1, v64, vcc_lo
	s_delay_alu instid0(VALU_DEP_1) | instskip(NEXT) | instid1(VALU_DEP_1)
	v_lshrrev_b64 v[68:69], s31, v[68:69]
	v_and_b32_e32 v69, s56, v68
	s_delay_alu instid0(VALU_DEP_1)
	v_and_b32_e32 v68, 1, v69
	v_lshlrev_b32_e32 v70, 30, v69
	v_lshlrev_b32_e32 v71, 29, v69
	;; [unrolled: 1-line block ×4, first 2 shown]
	v_add_co_u32 v68, s15, v68, -1
	s_wait_alu 0xf1ff
	v_cndmask_b32_e64 v73, 0, 1, s15
	v_not_b32_e32 v187, v70
	v_cmp_gt_i32_e64 s15, 0, v70
	v_not_b32_e32 v70, v71
	v_lshlrev_b32_e32 v75, 26, v69
	v_cmp_ne_u32_e32 vcc_lo, 0, v73
	v_ashrrev_i32_e32 v187, 31, v187
	v_lshlrev_b32_e32 v186, 25, v69
	v_ashrrev_i32_e32 v70, 31, v70
	v_lshlrev_b32_e32 v73, 24, v69
	s_wait_alu 0xfffd
	v_xor_b32_e32 v68, vcc_lo, v68
	v_cmp_gt_i32_e32 vcc_lo, 0, v71
	v_not_b32_e32 v71, v72
	s_wait_alu 0xf1ff
	v_xor_b32_e32 v187, s15, v187
	v_cmp_gt_i32_e64 s15, 0, v72
	v_and_b32_e32 v68, exec_lo, v68
	v_not_b32_e32 v72, v74
	v_ashrrev_i32_e32 v71, 31, v71
	s_wait_alu 0xfffd
	v_xor_b32_e32 v70, vcc_lo, v70
	v_cmp_gt_i32_e32 vcc_lo, 0, v74
	v_and_b32_e32 v68, v68, v187
	v_not_b32_e32 v74, v75
	v_ashrrev_i32_e32 v72, 31, v72
	s_wait_alu 0xf1ff
	v_xor_b32_e32 v71, s15, v71
	v_cmp_gt_i32_e64 s15, 0, v75
	v_and_b32_e32 v68, v68, v70
	v_not_b32_e32 v70, v186
	v_ashrrev_i32_e32 v74, 31, v74
	s_wait_alu 0xfffd
	v_xor_b32_e32 v72, vcc_lo, v72
	v_cmp_gt_i32_e32 vcc_lo, 0, v186
	v_and_b32_e32 v68, v68, v71
	v_not_b32_e32 v71, v73
	v_ashrrev_i32_e32 v70, 31, v70
	s_wait_alu 0xf1ff
	v_xor_b32_e32 v74, s15, v74
	v_cmp_gt_i32_e64 s15, 0, v73
	v_and_b32_e32 v68, v68, v72
	v_ashrrev_i32_e32 v71, 31, v71
	s_wait_alu 0xfffd
	v_xor_b32_e32 v70, vcc_lo, v70
	v_mad_u32_u24 v72, v69, 36, v145
	v_mul_u32_u24_e32 v69, 36, v69
	v_and_b32_e32 v68, v68, v74
	s_wait_alu 0xf1ff
	v_xor_b32_e32 v71, s15, v71
	ds_load_b32 v186, v72 offset:1056
	v_add_nc_u32_e32 v188, v145, v69
	v_and_b32_e32 v68, v68, v70
	; wave barrier
	s_delay_alu instid0(VALU_DEP_1) | instskip(NEXT) | instid1(VALU_DEP_1)
	v_and_b32_e32 v68, v68, v71
	v_mbcnt_lo_u32_b32 v187, v68, 0
	v_cmp_ne_u32_e64 s15, 0, v68
	s_delay_alu instid0(VALU_DEP_2)
	v_cmp_eq_u32_e32 vcc_lo, 0, v187
	s_and_b32 s16, s15, vcc_lo
	s_wait_alu 0xfffe
	s_and_saveexec_b32 s15, s16
	s_cbranch_execz .LBB1124_734
; %bb.733:                              ;   in Loop: Header=BB1124_682 Depth=2
	s_wait_dscnt 0x0
	v_bcnt_u32_b32 v68, v68, v186
	ds_store_b32 v188, v68 offset:1056
.LBB1124_734:                           ;   in Loop: Header=BB1124_682 Depth=2
	s_wait_alu 0xfffe
	s_or_b32 exec_lo, exec_lo, s15
	v_cmp_gt_i64_e32 vcc_lo, 0, v[66:67]
	v_ashrrev_i32_e32 v68, 31, v67
	; wave barrier
	s_delay_alu instid0(VALU_DEP_1) | instskip(SKIP_2) | instid1(VALU_DEP_2)
	v_not_b32_e32 v68, v68
	s_wait_alu 0xfffd
	v_cndmask_b32_e64 v69, 0x7fffffff, 0, vcc_lo
	v_xor_b32_e32 v66, v68, v66
	s_delay_alu instid0(VALU_DEP_2) | instskip(NEXT) | instid1(VALU_DEP_1)
	v_xor_b32_e32 v67, v69, v67
	v_cmp_ne_u64_e32 vcc_lo, s[34:35], v[66:67]
	s_wait_alu 0xfffd
	v_cndmask_b32_e32 v69, 0x7fffffff, v67, vcc_lo
	v_cndmask_b32_e32 v68, -1, v66, vcc_lo
	s_delay_alu instid0(VALU_DEP_1) | instskip(NEXT) | instid1(VALU_DEP_1)
	v_lshrrev_b64 v[68:69], s31, v[68:69]
	v_and_b32_e32 v69, s56, v68
	s_delay_alu instid0(VALU_DEP_1)
	v_and_b32_e32 v68, 1, v69
	v_lshlrev_b32_e32 v70, 30, v69
	v_lshlrev_b32_e32 v71, 29, v69
	v_lshlrev_b32_e32 v72, 28, v69
	v_lshlrev_b32_e32 v74, 27, v69
	v_add_co_u32 v68, s15, v68, -1
	s_wait_alu 0xf1ff
	v_cndmask_b32_e64 v73, 0, 1, s15
	v_not_b32_e32 v190, v70
	v_cmp_gt_i32_e64 s15, 0, v70
	v_not_b32_e32 v70, v71
	v_lshlrev_b32_e32 v75, 26, v69
	v_cmp_ne_u32_e32 vcc_lo, 0, v73
	v_ashrrev_i32_e32 v190, 31, v190
	v_lshlrev_b32_e32 v189, 25, v69
	v_ashrrev_i32_e32 v70, 31, v70
	v_lshlrev_b32_e32 v73, 24, v69
	s_wait_alu 0xfffd
	v_xor_b32_e32 v68, vcc_lo, v68
	v_cmp_gt_i32_e32 vcc_lo, 0, v71
	v_not_b32_e32 v71, v72
	s_wait_alu 0xf1ff
	v_xor_b32_e32 v190, s15, v190
	v_cmp_gt_i32_e64 s15, 0, v72
	v_and_b32_e32 v68, exec_lo, v68
	v_not_b32_e32 v72, v74
	v_ashrrev_i32_e32 v71, 31, v71
	s_wait_alu 0xfffd
	v_xor_b32_e32 v70, vcc_lo, v70
	v_cmp_gt_i32_e32 vcc_lo, 0, v74
	v_and_b32_e32 v68, v68, v190
	v_not_b32_e32 v74, v75
	v_ashrrev_i32_e32 v72, 31, v72
	s_wait_alu 0xf1ff
	v_xor_b32_e32 v71, s15, v71
	v_cmp_gt_i32_e64 s15, 0, v75
	v_and_b32_e32 v68, v68, v70
	v_not_b32_e32 v70, v189
	v_ashrrev_i32_e32 v74, 31, v74
	s_wait_alu 0xfffd
	v_xor_b32_e32 v72, vcc_lo, v72
	v_cmp_gt_i32_e32 vcc_lo, 0, v189
	v_and_b32_e32 v68, v68, v71
	v_not_b32_e32 v71, v73
	v_ashrrev_i32_e32 v70, 31, v70
	s_wait_alu 0xf1ff
	v_xor_b32_e32 v74, s15, v74
	v_cmp_gt_i32_e64 s15, 0, v73
	v_and_b32_e32 v68, v68, v72
	v_ashrrev_i32_e32 v71, 31, v71
	s_wait_alu 0xfffd
	v_xor_b32_e32 v70, vcc_lo, v70
	v_mad_u32_u24 v72, v69, 36, v145
	v_mul_u32_u24_e32 v69, 36, v69
	v_and_b32_e32 v68, v68, v74
	s_wait_alu 0xf1ff
	v_xor_b32_e32 v71, s15, v71
	ds_load_b32 v189, v72 offset:1056
	v_add_nc_u32_e32 v191, v145, v69
	v_and_b32_e32 v68, v68, v70
	; wave barrier
	s_delay_alu instid0(VALU_DEP_1) | instskip(NEXT) | instid1(VALU_DEP_1)
	v_and_b32_e32 v68, v68, v71
	v_mbcnt_lo_u32_b32 v190, v68, 0
	v_cmp_ne_u32_e64 s15, 0, v68
	s_delay_alu instid0(VALU_DEP_2)
	v_cmp_eq_u32_e32 vcc_lo, 0, v190
	s_and_b32 s16, s15, vcc_lo
	s_wait_alu 0xfffe
	s_and_saveexec_b32 s15, s16
	s_cbranch_execz .LBB1124_736
; %bb.735:                              ;   in Loop: Header=BB1124_682 Depth=2
	s_wait_dscnt 0x0
	v_bcnt_u32_b32 v68, v68, v189
	ds_store_b32 v191, v68 offset:1056
.LBB1124_736:                           ;   in Loop: Header=BB1124_682 Depth=2
	s_wait_alu 0xfffe
	s_or_b32 exec_lo, exec_lo, s15
	v_cmp_gt_i64_e32 vcc_lo, 0, v[62:63]
	v_ashrrev_i32_e32 v68, 31, v63
	; wave barrier
	s_delay_alu instid0(VALU_DEP_1) | instskip(SKIP_2) | instid1(VALU_DEP_2)
	v_not_b32_e32 v68, v68
	s_wait_alu 0xfffd
	v_cndmask_b32_e64 v69, 0x7fffffff, 0, vcc_lo
	v_xor_b32_e32 v62, v68, v62
	s_delay_alu instid0(VALU_DEP_2) | instskip(NEXT) | instid1(VALU_DEP_1)
	v_xor_b32_e32 v63, v69, v63
	v_cmp_ne_u64_e32 vcc_lo, s[34:35], v[62:63]
	s_wait_alu 0xfffd
	v_cndmask_b32_e32 v69, 0x7fffffff, v63, vcc_lo
	v_cndmask_b32_e32 v68, -1, v62, vcc_lo
	s_delay_alu instid0(VALU_DEP_1) | instskip(NEXT) | instid1(VALU_DEP_1)
	v_lshrrev_b64 v[68:69], s31, v[68:69]
	v_and_b32_e32 v69, s56, v68
	s_delay_alu instid0(VALU_DEP_1)
	v_and_b32_e32 v68, 1, v69
	v_lshlrev_b32_e32 v70, 30, v69
	v_lshlrev_b32_e32 v71, 29, v69
	;; [unrolled: 1-line block ×4, first 2 shown]
	v_add_co_u32 v68, s15, v68, -1
	s_wait_alu 0xf1ff
	v_cndmask_b32_e64 v73, 0, 1, s15
	v_not_b32_e32 v193, v70
	v_cmp_gt_i32_e64 s15, 0, v70
	v_not_b32_e32 v70, v71
	v_lshlrev_b32_e32 v75, 26, v69
	v_cmp_ne_u32_e32 vcc_lo, 0, v73
	v_ashrrev_i32_e32 v193, 31, v193
	v_lshlrev_b32_e32 v192, 25, v69
	v_ashrrev_i32_e32 v70, 31, v70
	v_lshlrev_b32_e32 v73, 24, v69
	s_wait_alu 0xfffd
	v_xor_b32_e32 v68, vcc_lo, v68
	v_cmp_gt_i32_e32 vcc_lo, 0, v71
	v_not_b32_e32 v71, v72
	s_wait_alu 0xf1ff
	v_xor_b32_e32 v193, s15, v193
	v_cmp_gt_i32_e64 s15, 0, v72
	v_and_b32_e32 v68, exec_lo, v68
	v_not_b32_e32 v72, v74
	v_ashrrev_i32_e32 v71, 31, v71
	s_wait_alu 0xfffd
	v_xor_b32_e32 v70, vcc_lo, v70
	v_cmp_gt_i32_e32 vcc_lo, 0, v74
	v_and_b32_e32 v68, v68, v193
	v_not_b32_e32 v74, v75
	v_ashrrev_i32_e32 v72, 31, v72
	s_wait_alu 0xf1ff
	v_xor_b32_e32 v71, s15, v71
	v_cmp_gt_i32_e64 s15, 0, v75
	v_and_b32_e32 v68, v68, v70
	v_not_b32_e32 v70, v192
	v_ashrrev_i32_e32 v74, 31, v74
	s_wait_alu 0xfffd
	v_xor_b32_e32 v72, vcc_lo, v72
	v_cmp_gt_i32_e32 vcc_lo, 0, v192
	v_and_b32_e32 v68, v68, v71
	v_not_b32_e32 v71, v73
	v_ashrrev_i32_e32 v70, 31, v70
	s_wait_alu 0xf1ff
	v_xor_b32_e32 v74, s15, v74
	v_cmp_gt_i32_e64 s15, 0, v73
	v_and_b32_e32 v68, v68, v72
	v_ashrrev_i32_e32 v71, 31, v71
	s_wait_alu 0xfffd
	v_xor_b32_e32 v70, vcc_lo, v70
	v_mad_u32_u24 v72, v69, 36, v145
	v_mul_u32_u24_e32 v69, 36, v69
	v_and_b32_e32 v68, v68, v74
	s_wait_alu 0xf1ff
	v_xor_b32_e32 v71, s15, v71
	ds_load_b32 v192, v72 offset:1056
	v_add_nc_u32_e32 v194, v145, v69
	v_and_b32_e32 v68, v68, v70
	; wave barrier
	s_delay_alu instid0(VALU_DEP_1) | instskip(NEXT) | instid1(VALU_DEP_1)
	v_and_b32_e32 v68, v68, v71
	v_mbcnt_lo_u32_b32 v193, v68, 0
	v_cmp_ne_u32_e64 s15, 0, v68
	s_delay_alu instid0(VALU_DEP_2)
	v_cmp_eq_u32_e32 vcc_lo, 0, v193
	s_and_b32 s16, s15, vcc_lo
	s_wait_alu 0xfffe
	s_and_saveexec_b32 s15, s16
	s_cbranch_execz .LBB1124_738
; %bb.737:                              ;   in Loop: Header=BB1124_682 Depth=2
	s_wait_dscnt 0x0
	v_bcnt_u32_b32 v68, v68, v192
	ds_store_b32 v194, v68 offset:1056
.LBB1124_738:                           ;   in Loop: Header=BB1124_682 Depth=2
	s_wait_alu 0xfffe
	s_or_b32 exec_lo, exec_lo, s15
	v_cmp_gt_i64_e32 vcc_lo, 0, v[58:59]
	v_ashrrev_i32_e32 v68, 31, v59
	; wave barrier
	s_delay_alu instid0(VALU_DEP_1) | instskip(SKIP_2) | instid1(VALU_DEP_2)
	v_not_b32_e32 v68, v68
	s_wait_alu 0xfffd
	v_cndmask_b32_e64 v69, 0x7fffffff, 0, vcc_lo
	v_xor_b32_e32 v58, v68, v58
	s_delay_alu instid0(VALU_DEP_2) | instskip(NEXT) | instid1(VALU_DEP_1)
	v_xor_b32_e32 v59, v69, v59
	v_cmp_ne_u64_e32 vcc_lo, s[34:35], v[58:59]
	s_wait_alu 0xfffd
	v_cndmask_b32_e32 v69, 0x7fffffff, v59, vcc_lo
	v_cndmask_b32_e32 v68, -1, v58, vcc_lo
	s_delay_alu instid0(VALU_DEP_1) | instskip(NEXT) | instid1(VALU_DEP_1)
	v_lshrrev_b64 v[68:69], s31, v[68:69]
	v_and_b32_e32 v69, s56, v68
	s_delay_alu instid0(VALU_DEP_1)
	v_and_b32_e32 v68, 1, v69
	v_lshlrev_b32_e32 v70, 30, v69
	v_lshlrev_b32_e32 v71, 29, v69
	;; [unrolled: 1-line block ×4, first 2 shown]
	v_add_co_u32 v68, s15, v68, -1
	s_wait_alu 0xf1ff
	v_cndmask_b32_e64 v73, 0, 1, s15
	v_not_b32_e32 v196, v70
	v_cmp_gt_i32_e64 s15, 0, v70
	v_not_b32_e32 v70, v71
	v_lshlrev_b32_e32 v75, 26, v69
	v_cmp_ne_u32_e32 vcc_lo, 0, v73
	v_ashrrev_i32_e32 v196, 31, v196
	v_lshlrev_b32_e32 v195, 25, v69
	v_ashrrev_i32_e32 v70, 31, v70
	v_lshlrev_b32_e32 v73, 24, v69
	s_wait_alu 0xfffd
	v_xor_b32_e32 v68, vcc_lo, v68
	v_cmp_gt_i32_e32 vcc_lo, 0, v71
	v_not_b32_e32 v71, v72
	s_wait_alu 0xf1ff
	v_xor_b32_e32 v196, s15, v196
	v_cmp_gt_i32_e64 s15, 0, v72
	v_and_b32_e32 v68, exec_lo, v68
	v_not_b32_e32 v72, v74
	v_ashrrev_i32_e32 v71, 31, v71
	s_wait_alu 0xfffd
	v_xor_b32_e32 v70, vcc_lo, v70
	v_cmp_gt_i32_e32 vcc_lo, 0, v74
	v_and_b32_e32 v68, v68, v196
	v_not_b32_e32 v74, v75
	v_ashrrev_i32_e32 v72, 31, v72
	s_wait_alu 0xf1ff
	v_xor_b32_e32 v71, s15, v71
	v_cmp_gt_i32_e64 s15, 0, v75
	v_and_b32_e32 v68, v68, v70
	v_not_b32_e32 v70, v195
	v_ashrrev_i32_e32 v74, 31, v74
	s_wait_alu 0xfffd
	v_xor_b32_e32 v72, vcc_lo, v72
	v_cmp_gt_i32_e32 vcc_lo, 0, v195
	v_and_b32_e32 v68, v68, v71
	v_not_b32_e32 v71, v73
	v_ashrrev_i32_e32 v70, 31, v70
	s_wait_alu 0xf1ff
	v_xor_b32_e32 v74, s15, v74
	v_cmp_gt_i32_e64 s15, 0, v73
	v_and_b32_e32 v68, v68, v72
	v_ashrrev_i32_e32 v71, 31, v71
	s_wait_alu 0xfffd
	v_xor_b32_e32 v70, vcc_lo, v70
	v_mad_u32_u24 v72, v69, 36, v145
	v_mul_u32_u24_e32 v69, 36, v69
	v_and_b32_e32 v68, v68, v74
	s_wait_alu 0xf1ff
	v_xor_b32_e32 v71, s15, v71
	ds_load_b32 v195, v72 offset:1056
	v_add_nc_u32_e32 v197, v145, v69
	v_and_b32_e32 v68, v68, v70
	; wave barrier
	s_delay_alu instid0(VALU_DEP_1) | instskip(NEXT) | instid1(VALU_DEP_1)
	v_and_b32_e32 v68, v68, v71
	v_mbcnt_lo_u32_b32 v196, v68, 0
	v_cmp_ne_u32_e64 s15, 0, v68
	s_delay_alu instid0(VALU_DEP_2)
	v_cmp_eq_u32_e32 vcc_lo, 0, v196
	s_and_b32 s16, s15, vcc_lo
	s_wait_alu 0xfffe
	s_and_saveexec_b32 s15, s16
	s_cbranch_execz .LBB1124_740
; %bb.739:                              ;   in Loop: Header=BB1124_682 Depth=2
	s_wait_dscnt 0x0
	v_bcnt_u32_b32 v68, v68, v195
	ds_store_b32 v197, v68 offset:1056
.LBB1124_740:                           ;   in Loop: Header=BB1124_682 Depth=2
	s_wait_alu 0xfffe
	s_or_b32 exec_lo, exec_lo, s15
	v_cmp_gt_i64_e32 vcc_lo, 0, v[54:55]
	v_ashrrev_i32_e32 v68, 31, v55
	; wave barrier
	s_delay_alu instid0(VALU_DEP_1) | instskip(SKIP_2) | instid1(VALU_DEP_2)
	v_not_b32_e32 v68, v68
	s_wait_alu 0xfffd
	v_cndmask_b32_e64 v69, 0x7fffffff, 0, vcc_lo
	v_xor_b32_e32 v54, v68, v54
	s_delay_alu instid0(VALU_DEP_2) | instskip(NEXT) | instid1(VALU_DEP_1)
	v_xor_b32_e32 v55, v69, v55
	v_cmp_ne_u64_e32 vcc_lo, s[34:35], v[54:55]
	s_wait_alu 0xfffd
	v_cndmask_b32_e32 v69, 0x7fffffff, v55, vcc_lo
	v_cndmask_b32_e32 v68, -1, v54, vcc_lo
	s_delay_alu instid0(VALU_DEP_1) | instskip(NEXT) | instid1(VALU_DEP_1)
	v_lshrrev_b64 v[68:69], s31, v[68:69]
	v_and_b32_e32 v69, s56, v68
	s_delay_alu instid0(VALU_DEP_1)
	v_and_b32_e32 v68, 1, v69
	v_lshlrev_b32_e32 v70, 30, v69
	v_lshlrev_b32_e32 v71, 29, v69
	;; [unrolled: 1-line block ×4, first 2 shown]
	v_add_co_u32 v68, s15, v68, -1
	s_wait_alu 0xf1ff
	v_cndmask_b32_e64 v73, 0, 1, s15
	v_not_b32_e32 v199, v70
	v_cmp_gt_i32_e64 s15, 0, v70
	v_not_b32_e32 v70, v71
	v_lshlrev_b32_e32 v75, 26, v69
	v_cmp_ne_u32_e32 vcc_lo, 0, v73
	v_ashrrev_i32_e32 v199, 31, v199
	v_lshlrev_b32_e32 v198, 25, v69
	v_ashrrev_i32_e32 v70, 31, v70
	v_lshlrev_b32_e32 v73, 24, v69
	s_wait_alu 0xfffd
	v_xor_b32_e32 v68, vcc_lo, v68
	v_cmp_gt_i32_e32 vcc_lo, 0, v71
	v_not_b32_e32 v71, v72
	s_wait_alu 0xf1ff
	v_xor_b32_e32 v199, s15, v199
	v_cmp_gt_i32_e64 s15, 0, v72
	v_and_b32_e32 v68, exec_lo, v68
	v_not_b32_e32 v72, v74
	v_ashrrev_i32_e32 v71, 31, v71
	s_wait_alu 0xfffd
	v_xor_b32_e32 v70, vcc_lo, v70
	v_cmp_gt_i32_e32 vcc_lo, 0, v74
	v_and_b32_e32 v68, v68, v199
	v_not_b32_e32 v74, v75
	v_ashrrev_i32_e32 v72, 31, v72
	s_wait_alu 0xf1ff
	v_xor_b32_e32 v71, s15, v71
	v_cmp_gt_i32_e64 s15, 0, v75
	v_and_b32_e32 v68, v68, v70
	v_not_b32_e32 v70, v198
	v_ashrrev_i32_e32 v74, 31, v74
	s_wait_alu 0xfffd
	v_xor_b32_e32 v72, vcc_lo, v72
	v_cmp_gt_i32_e32 vcc_lo, 0, v198
	v_and_b32_e32 v68, v68, v71
	v_not_b32_e32 v71, v73
	v_ashrrev_i32_e32 v70, 31, v70
	s_wait_alu 0xf1ff
	v_xor_b32_e32 v74, s15, v74
	v_cmp_gt_i32_e64 s15, 0, v73
	v_and_b32_e32 v68, v68, v72
	v_ashrrev_i32_e32 v71, 31, v71
	s_wait_alu 0xfffd
	v_xor_b32_e32 v70, vcc_lo, v70
	v_mad_u32_u24 v72, v69, 36, v145
	v_mul_u32_u24_e32 v69, 36, v69
	v_and_b32_e32 v68, v68, v74
	s_wait_alu 0xf1ff
	v_xor_b32_e32 v71, s15, v71
	ds_load_b32 v198, v72 offset:1056
	v_add_nc_u32_e32 v200, v145, v69
	v_and_b32_e32 v68, v68, v70
	; wave barrier
	s_delay_alu instid0(VALU_DEP_1) | instskip(NEXT) | instid1(VALU_DEP_1)
	v_and_b32_e32 v68, v68, v71
	v_mbcnt_lo_u32_b32 v199, v68, 0
	v_cmp_ne_u32_e64 s15, 0, v68
	s_delay_alu instid0(VALU_DEP_2)
	v_cmp_eq_u32_e32 vcc_lo, 0, v199
	s_and_b32 s16, s15, vcc_lo
	s_wait_alu 0xfffe
	s_and_saveexec_b32 s15, s16
	s_cbranch_execz .LBB1124_742
; %bb.741:                              ;   in Loop: Header=BB1124_682 Depth=2
	s_wait_dscnt 0x0
	v_bcnt_u32_b32 v68, v68, v198
	ds_store_b32 v200, v68 offset:1056
.LBB1124_742:                           ;   in Loop: Header=BB1124_682 Depth=2
	s_wait_alu 0xfffe
	s_or_b32 exec_lo, exec_lo, s15
	v_cmp_gt_i64_e32 vcc_lo, 0, v[50:51]
	v_ashrrev_i32_e32 v68, 31, v51
	; wave barrier
	s_delay_alu instid0(VALU_DEP_1) | instskip(SKIP_2) | instid1(VALU_DEP_2)
	v_not_b32_e32 v68, v68
	s_wait_alu 0xfffd
	v_cndmask_b32_e64 v69, 0x7fffffff, 0, vcc_lo
	v_xor_b32_e32 v50, v68, v50
	s_delay_alu instid0(VALU_DEP_2) | instskip(NEXT) | instid1(VALU_DEP_1)
	v_xor_b32_e32 v51, v69, v51
	v_cmp_ne_u64_e32 vcc_lo, s[34:35], v[50:51]
	s_wait_alu 0xfffd
	v_cndmask_b32_e32 v69, 0x7fffffff, v51, vcc_lo
	v_cndmask_b32_e32 v68, -1, v50, vcc_lo
	s_delay_alu instid0(VALU_DEP_1) | instskip(NEXT) | instid1(VALU_DEP_1)
	v_lshrrev_b64 v[68:69], s31, v[68:69]
	v_and_b32_e32 v69, s56, v68
	s_delay_alu instid0(VALU_DEP_1)
	v_and_b32_e32 v68, 1, v69
	v_lshlrev_b32_e32 v70, 30, v69
	v_lshlrev_b32_e32 v71, 29, v69
	;; [unrolled: 1-line block ×4, first 2 shown]
	v_add_co_u32 v68, s15, v68, -1
	s_wait_alu 0xf1ff
	v_cndmask_b32_e64 v73, 0, 1, s15
	v_not_b32_e32 v202, v70
	v_cmp_gt_i32_e64 s15, 0, v70
	v_not_b32_e32 v70, v71
	v_lshlrev_b32_e32 v75, 26, v69
	v_cmp_ne_u32_e32 vcc_lo, 0, v73
	v_ashrrev_i32_e32 v202, 31, v202
	v_lshlrev_b32_e32 v201, 25, v69
	v_ashrrev_i32_e32 v70, 31, v70
	v_lshlrev_b32_e32 v73, 24, v69
	s_wait_alu 0xfffd
	v_xor_b32_e32 v68, vcc_lo, v68
	v_cmp_gt_i32_e32 vcc_lo, 0, v71
	v_not_b32_e32 v71, v72
	s_wait_alu 0xf1ff
	v_xor_b32_e32 v202, s15, v202
	v_cmp_gt_i32_e64 s15, 0, v72
	v_and_b32_e32 v68, exec_lo, v68
	v_not_b32_e32 v72, v74
	v_ashrrev_i32_e32 v71, 31, v71
	s_wait_alu 0xfffd
	v_xor_b32_e32 v70, vcc_lo, v70
	v_cmp_gt_i32_e32 vcc_lo, 0, v74
	v_and_b32_e32 v68, v68, v202
	v_not_b32_e32 v74, v75
	v_ashrrev_i32_e32 v72, 31, v72
	s_wait_alu 0xf1ff
	v_xor_b32_e32 v71, s15, v71
	v_cmp_gt_i32_e64 s15, 0, v75
	v_and_b32_e32 v68, v68, v70
	v_not_b32_e32 v70, v201
	v_ashrrev_i32_e32 v74, 31, v74
	s_wait_alu 0xfffd
	v_xor_b32_e32 v72, vcc_lo, v72
	v_cmp_gt_i32_e32 vcc_lo, 0, v201
	v_and_b32_e32 v68, v68, v71
	v_not_b32_e32 v71, v73
	v_ashrrev_i32_e32 v70, 31, v70
	s_wait_alu 0xf1ff
	v_xor_b32_e32 v74, s15, v74
	v_cmp_gt_i32_e64 s15, 0, v73
	v_and_b32_e32 v68, v68, v72
	v_ashrrev_i32_e32 v71, 31, v71
	s_wait_alu 0xfffd
	v_xor_b32_e32 v70, vcc_lo, v70
	v_mad_u32_u24 v72, v69, 36, v145
	v_mul_u32_u24_e32 v69, 36, v69
	v_and_b32_e32 v68, v68, v74
	s_wait_alu 0xf1ff
	v_xor_b32_e32 v71, s15, v71
	ds_load_b32 v201, v72 offset:1056
	v_add_nc_u32_e32 v203, v145, v69
	v_and_b32_e32 v68, v68, v70
	; wave barrier
	s_delay_alu instid0(VALU_DEP_1) | instskip(NEXT) | instid1(VALU_DEP_1)
	v_and_b32_e32 v68, v68, v71
	v_mbcnt_lo_u32_b32 v202, v68, 0
	v_cmp_ne_u32_e64 s15, 0, v68
	s_delay_alu instid0(VALU_DEP_2)
	v_cmp_eq_u32_e32 vcc_lo, 0, v202
	s_and_b32 s16, s15, vcc_lo
	s_wait_alu 0xfffe
	s_and_saveexec_b32 s15, s16
	s_cbranch_execz .LBB1124_744
; %bb.743:                              ;   in Loop: Header=BB1124_682 Depth=2
	s_wait_dscnt 0x0
	v_bcnt_u32_b32 v68, v68, v201
	ds_store_b32 v203, v68 offset:1056
.LBB1124_744:                           ;   in Loop: Header=BB1124_682 Depth=2
	s_wait_alu 0xfffe
	s_or_b32 exec_lo, exec_lo, s15
	v_cmp_gt_i64_e32 vcc_lo, 0, v[46:47]
	v_ashrrev_i32_e32 v68, 31, v47
	; wave barrier
	s_delay_alu instid0(VALU_DEP_1) | instskip(SKIP_2) | instid1(VALU_DEP_2)
	v_not_b32_e32 v68, v68
	s_wait_alu 0xfffd
	v_cndmask_b32_e64 v69, 0x7fffffff, 0, vcc_lo
	v_xor_b32_e32 v46, v68, v46
	s_delay_alu instid0(VALU_DEP_2) | instskip(NEXT) | instid1(VALU_DEP_1)
	v_xor_b32_e32 v47, v69, v47
	v_cmp_ne_u64_e32 vcc_lo, s[34:35], v[46:47]
	s_wait_alu 0xfffd
	v_cndmask_b32_e32 v69, 0x7fffffff, v47, vcc_lo
	v_cndmask_b32_e32 v68, -1, v46, vcc_lo
	s_delay_alu instid0(VALU_DEP_1) | instskip(NEXT) | instid1(VALU_DEP_1)
	v_lshrrev_b64 v[68:69], s31, v[68:69]
	v_and_b32_e32 v69, s56, v68
	s_delay_alu instid0(VALU_DEP_1)
	v_and_b32_e32 v68, 1, v69
	v_lshlrev_b32_e32 v70, 30, v69
	v_lshlrev_b32_e32 v71, 29, v69
	;; [unrolled: 1-line block ×4, first 2 shown]
	v_add_co_u32 v68, s15, v68, -1
	s_wait_alu 0xf1ff
	v_cndmask_b32_e64 v73, 0, 1, s15
	v_not_b32_e32 v205, v70
	v_cmp_gt_i32_e64 s15, 0, v70
	v_not_b32_e32 v70, v71
	v_lshlrev_b32_e32 v75, 26, v69
	v_cmp_ne_u32_e32 vcc_lo, 0, v73
	v_ashrrev_i32_e32 v205, 31, v205
	v_lshlrev_b32_e32 v204, 25, v69
	v_ashrrev_i32_e32 v70, 31, v70
	v_lshlrev_b32_e32 v73, 24, v69
	s_wait_alu 0xfffd
	v_xor_b32_e32 v68, vcc_lo, v68
	v_cmp_gt_i32_e32 vcc_lo, 0, v71
	v_not_b32_e32 v71, v72
	s_wait_alu 0xf1ff
	v_xor_b32_e32 v205, s15, v205
	v_cmp_gt_i32_e64 s15, 0, v72
	v_and_b32_e32 v68, exec_lo, v68
	v_not_b32_e32 v72, v74
	v_ashrrev_i32_e32 v71, 31, v71
	s_wait_alu 0xfffd
	v_xor_b32_e32 v70, vcc_lo, v70
	v_cmp_gt_i32_e32 vcc_lo, 0, v74
	v_and_b32_e32 v68, v68, v205
	v_not_b32_e32 v74, v75
	v_ashrrev_i32_e32 v72, 31, v72
	s_wait_alu 0xf1ff
	v_xor_b32_e32 v71, s15, v71
	v_cmp_gt_i32_e64 s15, 0, v75
	v_and_b32_e32 v68, v68, v70
	v_not_b32_e32 v70, v204
	v_ashrrev_i32_e32 v74, 31, v74
	s_wait_alu 0xfffd
	v_xor_b32_e32 v72, vcc_lo, v72
	v_cmp_gt_i32_e32 vcc_lo, 0, v204
	v_and_b32_e32 v68, v68, v71
	v_not_b32_e32 v71, v73
	v_ashrrev_i32_e32 v70, 31, v70
	s_wait_alu 0xf1ff
	v_xor_b32_e32 v74, s15, v74
	v_cmp_gt_i32_e64 s15, 0, v73
	v_and_b32_e32 v68, v68, v72
	v_ashrrev_i32_e32 v71, 31, v71
	s_wait_alu 0xfffd
	v_xor_b32_e32 v70, vcc_lo, v70
	v_mad_u32_u24 v72, v69, 36, v145
	v_mul_u32_u24_e32 v69, 36, v69
	v_and_b32_e32 v68, v68, v74
	s_wait_alu 0xf1ff
	v_xor_b32_e32 v71, s15, v71
	ds_load_b32 v204, v72 offset:1056
	v_add_nc_u32_e32 v206, v145, v69
	v_and_b32_e32 v68, v68, v70
	; wave barrier
	s_delay_alu instid0(VALU_DEP_1) | instskip(NEXT) | instid1(VALU_DEP_1)
	v_and_b32_e32 v68, v68, v71
	v_mbcnt_lo_u32_b32 v205, v68, 0
	v_cmp_ne_u32_e64 s15, 0, v68
	s_delay_alu instid0(VALU_DEP_2)
	v_cmp_eq_u32_e32 vcc_lo, 0, v205
	s_and_b32 s16, s15, vcc_lo
	s_wait_alu 0xfffe
	s_and_saveexec_b32 s15, s16
	s_cbranch_execz .LBB1124_746
; %bb.745:                              ;   in Loop: Header=BB1124_682 Depth=2
	s_wait_dscnt 0x0
	v_bcnt_u32_b32 v68, v68, v204
	ds_store_b32 v206, v68 offset:1056
.LBB1124_746:                           ;   in Loop: Header=BB1124_682 Depth=2
	s_wait_alu 0xfffe
	s_or_b32 exec_lo, exec_lo, s15
	v_cmp_gt_i64_e32 vcc_lo, 0, v[44:45]
	v_ashrrev_i32_e32 v68, 31, v45
	; wave barrier
	s_delay_alu instid0(VALU_DEP_1) | instskip(SKIP_2) | instid1(VALU_DEP_2)
	v_not_b32_e32 v68, v68
	s_wait_alu 0xfffd
	v_cndmask_b32_e64 v69, 0x7fffffff, 0, vcc_lo
	v_xor_b32_e32 v44, v68, v44
	s_delay_alu instid0(VALU_DEP_2) | instskip(NEXT) | instid1(VALU_DEP_1)
	v_xor_b32_e32 v45, v69, v45
	v_cmp_ne_u64_e32 vcc_lo, s[34:35], v[44:45]
	s_wait_alu 0xfffd
	v_cndmask_b32_e32 v69, 0x7fffffff, v45, vcc_lo
	v_cndmask_b32_e32 v68, -1, v44, vcc_lo
	s_delay_alu instid0(VALU_DEP_1) | instskip(NEXT) | instid1(VALU_DEP_1)
	v_lshrrev_b64 v[68:69], s31, v[68:69]
	v_and_b32_e32 v69, s56, v68
	s_delay_alu instid0(VALU_DEP_1)
	v_and_b32_e32 v68, 1, v69
	v_lshlrev_b32_e32 v70, 30, v69
	v_lshlrev_b32_e32 v71, 29, v69
	;; [unrolled: 1-line block ×4, first 2 shown]
	v_add_co_u32 v68, s15, v68, -1
	s_wait_alu 0xf1ff
	v_cndmask_b32_e64 v73, 0, 1, s15
	v_not_b32_e32 v208, v70
	v_cmp_gt_i32_e64 s15, 0, v70
	v_not_b32_e32 v70, v71
	v_lshlrev_b32_e32 v75, 26, v69
	v_cmp_ne_u32_e32 vcc_lo, 0, v73
	v_ashrrev_i32_e32 v208, 31, v208
	v_lshlrev_b32_e32 v207, 25, v69
	v_ashrrev_i32_e32 v70, 31, v70
	v_lshlrev_b32_e32 v73, 24, v69
	s_wait_alu 0xfffd
	v_xor_b32_e32 v68, vcc_lo, v68
	v_cmp_gt_i32_e32 vcc_lo, 0, v71
	v_not_b32_e32 v71, v72
	s_wait_alu 0xf1ff
	v_xor_b32_e32 v208, s15, v208
	v_cmp_gt_i32_e64 s15, 0, v72
	v_and_b32_e32 v68, exec_lo, v68
	v_not_b32_e32 v72, v74
	v_ashrrev_i32_e32 v71, 31, v71
	s_wait_alu 0xfffd
	v_xor_b32_e32 v70, vcc_lo, v70
	v_cmp_gt_i32_e32 vcc_lo, 0, v74
	v_and_b32_e32 v68, v68, v208
	v_not_b32_e32 v74, v75
	v_ashrrev_i32_e32 v72, 31, v72
	s_wait_alu 0xf1ff
	v_xor_b32_e32 v71, s15, v71
	v_cmp_gt_i32_e64 s15, 0, v75
	v_and_b32_e32 v68, v68, v70
	v_not_b32_e32 v70, v207
	v_ashrrev_i32_e32 v74, 31, v74
	s_wait_alu 0xfffd
	v_xor_b32_e32 v72, vcc_lo, v72
	v_cmp_gt_i32_e32 vcc_lo, 0, v207
	v_and_b32_e32 v68, v68, v71
	v_not_b32_e32 v71, v73
	v_ashrrev_i32_e32 v70, 31, v70
	s_wait_alu 0xf1ff
	v_xor_b32_e32 v74, s15, v74
	v_cmp_gt_i32_e64 s15, 0, v73
	v_and_b32_e32 v68, v68, v72
	v_ashrrev_i32_e32 v71, 31, v71
	s_wait_alu 0xfffd
	v_xor_b32_e32 v70, vcc_lo, v70
	v_mad_u32_u24 v72, v69, 36, v145
	v_mul_u32_u24_e32 v69, 36, v69
	v_and_b32_e32 v68, v68, v74
	s_wait_alu 0xf1ff
	v_xor_b32_e32 v71, s15, v71
	ds_load_b32 v207, v72 offset:1056
	v_add_nc_u32_e32 v209, v145, v69
	v_and_b32_e32 v68, v68, v70
	; wave barrier
	s_delay_alu instid0(VALU_DEP_1) | instskip(NEXT) | instid1(VALU_DEP_1)
	v_and_b32_e32 v68, v68, v71
	v_mbcnt_lo_u32_b32 v208, v68, 0
	v_cmp_ne_u32_e64 s15, 0, v68
	s_delay_alu instid0(VALU_DEP_2)
	v_cmp_eq_u32_e32 vcc_lo, 0, v208
	s_and_b32 s16, s15, vcc_lo
	s_wait_alu 0xfffe
	s_and_saveexec_b32 s15, s16
	s_cbranch_execz .LBB1124_748
; %bb.747:                              ;   in Loop: Header=BB1124_682 Depth=2
	s_wait_dscnt 0x0
	v_bcnt_u32_b32 v68, v68, v207
	ds_store_b32 v209, v68 offset:1056
.LBB1124_748:                           ;   in Loop: Header=BB1124_682 Depth=2
	s_wait_alu 0xfffe
	s_or_b32 exec_lo, exec_lo, s15
	v_cmp_gt_i64_e32 vcc_lo, 0, v[42:43]
	v_ashrrev_i32_e32 v68, 31, v43
	; wave barrier
	s_delay_alu instid0(VALU_DEP_1) | instskip(SKIP_2) | instid1(VALU_DEP_2)
	v_not_b32_e32 v68, v68
	s_wait_alu 0xfffd
	v_cndmask_b32_e64 v69, 0x7fffffff, 0, vcc_lo
	v_xor_b32_e32 v42, v68, v42
	s_delay_alu instid0(VALU_DEP_2) | instskip(NEXT) | instid1(VALU_DEP_1)
	v_xor_b32_e32 v43, v69, v43
	v_cmp_ne_u64_e32 vcc_lo, s[34:35], v[42:43]
	s_wait_alu 0xfffd
	v_cndmask_b32_e32 v69, 0x7fffffff, v43, vcc_lo
	v_cndmask_b32_e32 v68, -1, v42, vcc_lo
	s_delay_alu instid0(VALU_DEP_1) | instskip(NEXT) | instid1(VALU_DEP_1)
	v_lshrrev_b64 v[68:69], s31, v[68:69]
	v_and_b32_e32 v69, s56, v68
	s_delay_alu instid0(VALU_DEP_1)
	v_and_b32_e32 v68, 1, v69
	v_lshlrev_b32_e32 v70, 30, v69
	v_lshlrev_b32_e32 v71, 29, v69
	;; [unrolled: 1-line block ×4, first 2 shown]
	v_add_co_u32 v68, s15, v68, -1
	s_wait_alu 0xf1ff
	v_cndmask_b32_e64 v73, 0, 1, s15
	v_not_b32_e32 v211, v70
	v_cmp_gt_i32_e64 s15, 0, v70
	v_not_b32_e32 v70, v71
	v_lshlrev_b32_e32 v75, 26, v69
	v_cmp_ne_u32_e32 vcc_lo, 0, v73
	v_ashrrev_i32_e32 v211, 31, v211
	v_lshlrev_b32_e32 v210, 25, v69
	v_ashrrev_i32_e32 v70, 31, v70
	v_lshlrev_b32_e32 v73, 24, v69
	s_wait_alu 0xfffd
	v_xor_b32_e32 v68, vcc_lo, v68
	v_cmp_gt_i32_e32 vcc_lo, 0, v71
	v_not_b32_e32 v71, v72
	s_wait_alu 0xf1ff
	v_xor_b32_e32 v211, s15, v211
	v_cmp_gt_i32_e64 s15, 0, v72
	v_and_b32_e32 v68, exec_lo, v68
	v_not_b32_e32 v72, v74
	v_ashrrev_i32_e32 v71, 31, v71
	s_wait_alu 0xfffd
	v_xor_b32_e32 v70, vcc_lo, v70
	v_cmp_gt_i32_e32 vcc_lo, 0, v74
	v_and_b32_e32 v68, v68, v211
	v_not_b32_e32 v74, v75
	v_ashrrev_i32_e32 v72, 31, v72
	s_wait_alu 0xf1ff
	v_xor_b32_e32 v71, s15, v71
	v_cmp_gt_i32_e64 s15, 0, v75
	v_and_b32_e32 v68, v68, v70
	v_not_b32_e32 v70, v210
	v_ashrrev_i32_e32 v74, 31, v74
	s_wait_alu 0xfffd
	v_xor_b32_e32 v72, vcc_lo, v72
	v_cmp_gt_i32_e32 vcc_lo, 0, v210
	v_and_b32_e32 v68, v68, v71
	v_not_b32_e32 v71, v73
	v_ashrrev_i32_e32 v70, 31, v70
	s_wait_alu 0xf1ff
	v_xor_b32_e32 v74, s15, v74
	v_cmp_gt_i32_e64 s15, 0, v73
	v_and_b32_e32 v68, v68, v72
	v_ashrrev_i32_e32 v71, 31, v71
	s_wait_alu 0xfffd
	v_xor_b32_e32 v70, vcc_lo, v70
	v_mad_u32_u24 v72, v69, 36, v145
	v_mul_u32_u24_e32 v69, 36, v69
	v_and_b32_e32 v68, v68, v74
	s_wait_alu 0xf1ff
	v_xor_b32_e32 v71, s15, v71
	ds_load_b32 v210, v72 offset:1056
	v_add_nc_u32_e32 v212, v145, v69
	v_and_b32_e32 v68, v68, v70
	; wave barrier
	s_delay_alu instid0(VALU_DEP_1) | instskip(NEXT) | instid1(VALU_DEP_1)
	v_and_b32_e32 v68, v68, v71
	v_mbcnt_lo_u32_b32 v211, v68, 0
	v_cmp_ne_u32_e64 s15, 0, v68
	s_delay_alu instid0(VALU_DEP_2)
	v_cmp_eq_u32_e32 vcc_lo, 0, v211
	s_and_b32 s16, s15, vcc_lo
	s_wait_alu 0xfffe
	s_and_saveexec_b32 s15, s16
	s_cbranch_execz .LBB1124_750
; %bb.749:                              ;   in Loop: Header=BB1124_682 Depth=2
	s_wait_dscnt 0x0
	v_bcnt_u32_b32 v68, v68, v210
	ds_store_b32 v212, v68 offset:1056
.LBB1124_750:                           ;   in Loop: Header=BB1124_682 Depth=2
	s_wait_alu 0xfffe
	s_or_b32 exec_lo, exec_lo, s15
	; wave barrier
	s_wait_loadcnt_dscnt 0x0
	s_barrier_signal -1
	s_barrier_wait -1
	global_inv scope:SCOPE_SE
	ds_load_2addr_b32 v[74:75], v164 offset1:1
	ds_load_2addr_b32 v[72:73], v165 offset1:1
	;; [unrolled: 1-line block ×4, first 2 shown]
	ds_load_b32 v213, v101 offset:1088
	s_wait_dscnt 0x3
	v_add3_u32 v214, v75, v74, v72
	s_wait_dscnt 0x2
	s_delay_alu instid0(VALU_DEP_1) | instskip(SKIP_1) | instid1(VALU_DEP_1)
	v_add3_u32 v214, v214, v73, v70
	s_wait_dscnt 0x1
	v_add3_u32 v214, v214, v71, v68
	s_wait_dscnt 0x0
	s_delay_alu instid0(VALU_DEP_1) | instskip(NEXT) | instid1(VALU_DEP_1)
	v_add3_u32 v213, v214, v69, v213
	v_mov_b32_dpp v214, v213 row_shr:1 row_mask:0xf bank_mask:0xf
	s_delay_alu instid0(VALU_DEP_1) | instskip(NEXT) | instid1(VALU_DEP_1)
	v_cndmask_b32_e64 v214, v214, 0, s6
	v_add_nc_u32_e32 v213, v214, v213
	s_delay_alu instid0(VALU_DEP_1) | instskip(NEXT) | instid1(VALU_DEP_1)
	v_mov_b32_dpp v214, v213 row_shr:2 row_mask:0xf bank_mask:0xf
	v_cndmask_b32_e64 v214, 0, v214, s7
	s_delay_alu instid0(VALU_DEP_1) | instskip(NEXT) | instid1(VALU_DEP_1)
	v_add_nc_u32_e32 v213, v213, v214
	v_mov_b32_dpp v214, v213 row_shr:4 row_mask:0xf bank_mask:0xf
	s_delay_alu instid0(VALU_DEP_1) | instskip(NEXT) | instid1(VALU_DEP_1)
	v_cndmask_b32_e64 v214, 0, v214, s8
	v_add_nc_u32_e32 v213, v213, v214
	s_delay_alu instid0(VALU_DEP_1) | instskip(NEXT) | instid1(VALU_DEP_1)
	v_mov_b32_dpp v214, v213 row_shr:8 row_mask:0xf bank_mask:0xf
	v_cndmask_b32_e64 v214, 0, v214, s9
	s_delay_alu instid0(VALU_DEP_1) | instskip(SKIP_3) | instid1(VALU_DEP_1)
	v_add_nc_u32_e32 v213, v213, v214
	ds_swizzle_b32 v214, v213 offset:swizzle(BROADCAST,32,15)
	s_wait_dscnt 0x0
	v_cndmask_b32_e64 v214, v214, 0, s10
	v_add_nc_u32_e32 v213, v213, v214
	s_and_saveexec_b32 s15, s3
; %bb.751:                              ;   in Loop: Header=BB1124_682 Depth=2
	ds_store_b32 v95, v213 offset:1024
; %bb.752:                              ;   in Loop: Header=BB1124_682 Depth=2
	s_wait_alu 0xfffe
	s_or_b32 exec_lo, exec_lo, s15
	s_wait_loadcnt_dscnt 0x0
	s_barrier_signal -1
	s_barrier_wait -1
	global_inv scope:SCOPE_SE
	s_and_saveexec_b32 s15, s4
	s_cbranch_execz .LBB1124_754
; %bb.753:                              ;   in Loop: Header=BB1124_682 Depth=2
	ds_load_b32 v214, v103 offset:1024
	s_wait_dscnt 0x0
	v_mov_b32_dpp v215, v214 row_shr:1 row_mask:0xf bank_mask:0xf
	s_delay_alu instid0(VALU_DEP_1) | instskip(NEXT) | instid1(VALU_DEP_1)
	v_cndmask_b32_e64 v215, v215, 0, s12
	v_add_nc_u32_e32 v214, v215, v214
	s_delay_alu instid0(VALU_DEP_1) | instskip(NEXT) | instid1(VALU_DEP_1)
	v_mov_b32_dpp v215, v214 row_shr:2 row_mask:0xf bank_mask:0xf
	v_cndmask_b32_e64 v215, 0, v215, s13
	s_delay_alu instid0(VALU_DEP_1) | instskip(NEXT) | instid1(VALU_DEP_1)
	v_add_nc_u32_e32 v214, v214, v215
	v_mov_b32_dpp v215, v214 row_shr:4 row_mask:0xf bank_mask:0xf
	s_delay_alu instid0(VALU_DEP_1) | instskip(NEXT) | instid1(VALU_DEP_1)
	v_cndmask_b32_e64 v215, 0, v215, s14
	v_add_nc_u32_e32 v214, v214, v215
	ds_store_b32 v103, v214 offset:1024
.LBB1124_754:                           ;   in Loop: Header=BB1124_682 Depth=2
	s_wait_alu 0xfffe
	s_or_b32 exec_lo, exec_lo, s15
	v_mov_b32_e32 v214, 0
	s_wait_loadcnt_dscnt 0x0
	s_barrier_signal -1
	s_barrier_wait -1
	global_inv scope:SCOPE_SE
	s_and_saveexec_b32 s15, s5
; %bb.755:                              ;   in Loop: Header=BB1124_682 Depth=2
	ds_load_b32 v214, v95 offset:1020
; %bb.756:                              ;   in Loop: Header=BB1124_682 Depth=2
	s_wait_alu 0xfffe
	s_or_b32 exec_lo, exec_lo, s15
	s_wait_dscnt 0x0
	v_add_nc_u32_e32 v213, v214, v213
	ds_bpermute_b32 v213, v124, v213
	s_wait_dscnt 0x0
	v_cndmask_b32_e64 v213, v213, v214, s11
	s_delay_alu instid0(VALU_DEP_1) | instskip(NEXT) | instid1(VALU_DEP_1)
	v_cndmask_b32_e64 v213, v213, 0, s0
	v_add_nc_u32_e32 v74, v213, v74
	s_delay_alu instid0(VALU_DEP_1) | instskip(NEXT) | instid1(VALU_DEP_1)
	v_add_nc_u32_e32 v75, v74, v75
	v_add_nc_u32_e32 v72, v75, v72
	s_delay_alu instid0(VALU_DEP_1) | instskip(NEXT) | instid1(VALU_DEP_1)
	v_add_nc_u32_e32 v73, v72, v73
	;; [unrolled: 3-line block ×3, first 2 shown]
	v_add_nc_u32_e32 v68, v71, v68
	s_delay_alu instid0(VALU_DEP_1)
	v_add_nc_u32_e32 v69, v68, v69
	ds_store_2addr_b32 v163, v71, v68 offset1:1
	ds_store_2addr_b32 v164, v213, v74 offset1:1
	;; [unrolled: 1-line block ×4, first 2 shown]
	ds_store_b32 v101, v69 offset:1088
	s_wait_loadcnt_dscnt 0x0
	s_barrier_signal -1
	s_barrier_wait -1
	global_inv scope:SCOPE_SE
	ds_load_b32 v69, v167 offset:1056
	ds_load_b32 v74, v170 offset:1056
	;; [unrolled: 1-line block ×17, first 2 shown]
	v_mov_b32_e32 v68, 0x1000
	s_and_saveexec_b32 s15, s1
; %bb.757:                              ;   in Loop: Header=BB1124_682 Depth=2
	ds_load_b32 v68, v101 offset:1092
; %bb.758:                              ;   in Loop: Header=BB1124_682 Depth=2
	s_wait_alu 0xfffe
	s_or_b32 exec_lo, exec_lo, s15
	s_wait_loadcnt_dscnt 0x0
	s_barrier_signal -1
	s_barrier_wait -1
	global_inv scope:SCOPE_SE
	s_and_saveexec_b32 s15, s2
	s_cbranch_execz .LBB1124_760
; %bb.759:                              ;   in Loop: Header=BB1124_682 Depth=2
	ds_load_b32 v185, v76
	s_wait_dscnt 0x0
	v_sub_nc_u32_e32 v182, v185, v182
	ds_store_b32 v76, v182
.LBB1124_760:                           ;   in Loop: Header=BB1124_682 Depth=2
	s_wait_alu 0xfffe
	s_or_b32 exec_lo, exec_lo, s15
	v_lshlrev_b32_e32 v2, 3, v2
	v_lshlrev_b32_e32 v169, 3, v169
	;; [unrolled: 1-line block ×5, first 2 shown]
	v_lshl_add_u32 v69, v69, 3, v2
	v_lshlrev_b32_e32 v2, 3, v171
	v_lshlrev_b32_e32 v73, 3, v73
	;; [unrolled: 1-line block ×4, first 2 shown]
	ds_store_b64 v69, v[36:37] offset:1024
	v_lshlrev_b32_e32 v36, 3, v72
	v_lshlrev_b32_e32 v37, 3, v178
	;; [unrolled: 1-line block ×7, first 2 shown]
	v_add3_u32 v70, v169, v168, v74
	v_add3_u32 v71, v172, v2, v73
	;; [unrolled: 1-line block ×5, first 2 shown]
	v_lshlrev_b32_e32 v2, 3, v184
	v_lshlrev_b32_e32 v36, 3, v183
	;; [unrolled: 1-line block ×3, first 2 shown]
	ds_store_b64 v70, v[38:39] offset:1024
	ds_store_b64 v71, v[40:41] offset:1024
	;; [unrolled: 1-line block ×5, first 2 shown]
	v_lshlrev_b32_e32 v39, 3, v187
	v_lshlrev_b32_e32 v40, 3, v186
	;; [unrolled: 1-line block ×12, first 2 shown]
	v_add3_u32 v38, v2, v36, v37
	v_add3_u32 v39, v39, v40, v41
	;; [unrolled: 1-line block ×5, first 2 shown]
	ds_store_b64 v38, v[60:61] offset:1024
	ds_store_b64 v39, v[64:65] offset:1024
	;; [unrolled: 1-line block ×5, first 2 shown]
	v_lshlrev_b32_e32 v2, 3, v199
	v_lshlrev_b32_e32 v36, 3, v198
	;; [unrolled: 1-line block ×15, first 2 shown]
	v_add3_u32 v49, v2, v36, v37
	v_add3_u32 v52, v52, v53, v56
	;; [unrolled: 1-line block ×5, first 2 shown]
	v_cmp_lt_u32_e32 vcc_lo, v1, v162
	ds_store_b64 v49, v[54:55] offset:1024
	ds_store_b64 v52, v[50:51] offset:1024
	;; [unrolled: 1-line block ×5, first 2 shown]
	s_wait_loadcnt_dscnt 0x0
	s_barrier_signal -1
	s_barrier_wait -1
	global_inv scope:SCOPE_SE
	s_and_saveexec_b32 s16, vcc_lo
	s_cbranch_execnz .LBB1124_829
; %bb.761:                              ;   in Loop: Header=BB1124_682 Depth=2
	s_wait_alu 0xfffe
	s_or_b32 exec_lo, exec_lo, s16
	v_cmp_lt_u32_e64 s15, v77, v162
	s_and_saveexec_b32 s17, s15
	s_cbranch_execnz .LBB1124_830
.LBB1124_762:                           ;   in Loop: Header=BB1124_682 Depth=2
	s_wait_alu 0xfffe
	s_or_b32 exec_lo, exec_lo, s17
	v_cmp_lt_u32_e64 s16, v78, v162
	s_and_saveexec_b32 s18, s16
	s_cbranch_execnz .LBB1124_831
.LBB1124_763:                           ;   in Loop: Header=BB1124_682 Depth=2
	s_wait_alu 0xfffe
	s_or_b32 exec_lo, exec_lo, s18
	v_cmp_lt_u32_e64 s17, v79, v162
	s_and_saveexec_b32 s19, s17
	s_cbranch_execnz .LBB1124_832
.LBB1124_764:                           ;   in Loop: Header=BB1124_682 Depth=2
	s_wait_alu 0xfffe
	s_or_b32 exec_lo, exec_lo, s19
	v_cmp_lt_u32_e64 s18, v82, v162
	s_and_saveexec_b32 s20, s18
	s_cbranch_execnz .LBB1124_833
.LBB1124_765:                           ;   in Loop: Header=BB1124_682 Depth=2
	s_wait_alu 0xfffe
	s_or_b32 exec_lo, exec_lo, s20
	v_cmp_lt_u32_e64 s19, v83, v162
	s_and_saveexec_b32 s21, s19
	s_cbranch_execnz .LBB1124_834
.LBB1124_766:                           ;   in Loop: Header=BB1124_682 Depth=2
	s_wait_alu 0xfffe
	s_or_b32 exec_lo, exec_lo, s21
	v_cmp_lt_u32_e64 s20, v84, v162
	s_and_saveexec_b32 s22, s20
	s_cbranch_execnz .LBB1124_835
.LBB1124_767:                           ;   in Loop: Header=BB1124_682 Depth=2
	s_wait_alu 0xfffe
	s_or_b32 exec_lo, exec_lo, s22
	v_cmp_lt_u32_e64 s21, v85, v162
	s_and_saveexec_b32 s23, s21
	s_cbranch_execnz .LBB1124_836
.LBB1124_768:                           ;   in Loop: Header=BB1124_682 Depth=2
	s_wait_alu 0xfffe
	s_or_b32 exec_lo, exec_lo, s23
	v_cmp_lt_u32_e64 s22, v86, v162
	s_and_saveexec_b32 s24, s22
	s_cbranch_execnz .LBB1124_837
.LBB1124_769:                           ;   in Loop: Header=BB1124_682 Depth=2
	s_wait_alu 0xfffe
	s_or_b32 exec_lo, exec_lo, s24
	v_cmp_lt_u32_e64 s23, v87, v162
	s_and_saveexec_b32 s25, s23
	s_cbranch_execnz .LBB1124_838
.LBB1124_770:                           ;   in Loop: Header=BB1124_682 Depth=2
	s_wait_alu 0xfffe
	s_or_b32 exec_lo, exec_lo, s25
	v_cmp_lt_u32_e64 s24, v88, v162
	s_and_saveexec_b32 s26, s24
	s_cbranch_execnz .LBB1124_839
.LBB1124_771:                           ;   in Loop: Header=BB1124_682 Depth=2
	s_wait_alu 0xfffe
	s_or_b32 exec_lo, exec_lo, s26
	v_cmp_lt_u32_e64 s25, v89, v162
	s_and_saveexec_b32 s27, s25
	s_cbranch_execnz .LBB1124_840
.LBB1124_772:                           ;   in Loop: Header=BB1124_682 Depth=2
	s_wait_alu 0xfffe
	s_or_b32 exec_lo, exec_lo, s27
	v_cmp_lt_u32_e64 s26, v90, v162
	s_and_saveexec_b32 s28, s26
	s_cbranch_execnz .LBB1124_841
.LBB1124_773:                           ;   in Loop: Header=BB1124_682 Depth=2
	s_wait_alu 0xfffe
	s_or_b32 exec_lo, exec_lo, s28
	v_cmp_lt_u32_e64 s27, v91, v162
	s_and_saveexec_b32 s29, s27
	s_cbranch_execnz .LBB1124_842
.LBB1124_774:                           ;   in Loop: Header=BB1124_682 Depth=2
	s_wait_alu 0xfffe
	s_or_b32 exec_lo, exec_lo, s29
	v_cmp_lt_u32_e64 s28, v92, v162
	s_and_saveexec_b32 s30, s28
	s_cbranch_execnz .LBB1124_843
.LBB1124_775:                           ;   in Loop: Header=BB1124_682 Depth=2
	s_wait_alu 0xfffe
	s_or_b32 exec_lo, exec_lo, s30
	v_cmp_lt_u32_e64 s29, v93, v162
	s_and_saveexec_b32 s43, s29
	s_cbranch_execz .LBB1124_777
.LBB1124_776:                           ;   in Loop: Header=BB1124_682 Depth=2
	ds_load_b64 v[36:37], v108 offset:31744
	s_wait_dscnt 0x0
	v_cmp_ne_u64_e64 s30, s[34:35], v[36:37]
	s_wait_alu 0xf1ff
	s_delay_alu instid0(VALU_DEP_1) | instskip(SKIP_2) | instid1(VALU_DEP_2)
	v_cndmask_b32_e64 v43, 0x7fffffff, v37, s30
	v_cndmask_b32_e64 v42, -1, v36, s30
	v_cmp_gt_i64_e64 s30, 0, v[36:37]
	v_lshrrev_b64 v[42:43], s31, v[42:43]
	s_wait_alu 0xf1ff
	s_delay_alu instid0(VALU_DEP_2) | instskip(NEXT) | instid1(VALU_DEP_2)
	v_cndmask_b32_e64 v44, 0x7fffffff, 0, s30
	v_and_b32_e32 v2, s56, v42
	v_ashrrev_i32_e32 v42, 31, v37
	s_delay_alu instid0(VALU_DEP_3) | instskip(NEXT) | instid1(VALU_DEP_3)
	v_xor_b32_e32 v37, v44, v37
	v_lshlrev_b32_e32 v2, 2, v2
	s_delay_alu instid0(VALU_DEP_3) | instskip(SKIP_4) | instid1(VALU_DEP_1)
	v_not_b32_e32 v45, v42
	ds_load_b32 v2, v2
	v_xor_b32_e32 v36, v45, v36
	s_wait_dscnt 0x0
	v_add_nc_u32_e32 v2, v2, v93
	v_lshlrev_b64_e32 v[42:43], 3, v[2:3]
	s_delay_alu instid0(VALU_DEP_1) | instskip(SKIP_1) | instid1(VALU_DEP_2)
	v_add_co_u32 v42, s30, s38, v42
	s_wait_alu 0xf1ff
	v_add_co_ci_u32_e64 v43, null, s39, v43, s30
	global_store_b64 v[42:43], v[36:37], off
.LBB1124_777:                           ;   in Loop: Header=BB1124_682 Depth=2
	s_wait_alu 0xfffe
	s_or_b32 exec_lo, exec_lo, s43
	s_mov_b32 s43, s34
	s_wait_alu 0xfffe
	s_lshl_b64 s[42:43], s[42:43], 3
	s_wait_alu 0xfffe
	v_add_co_u32 v36, s30, v126, s42
	s_wait_alu 0xf1ff
	v_add_co_ci_u32_e64 v37, null, s43, v127, s30
	v_cmp_lt_u32_e64 s30, v125, v162
	s_and_saveexec_b32 s42, s30
	s_wait_alu 0xfffe
	s_xor_b32 s30, exec_lo, s42
	s_cbranch_execnz .LBB1124_844
; %bb.778:                              ;   in Loop: Header=BB1124_682 Depth=2
	s_wait_alu 0xfffe
	s_or_b32 exec_lo, exec_lo, s30
	s_delay_alu instid0(SALU_CYCLE_1)
	s_mov_b32 s42, exec_lo
	v_cmpx_lt_u32_e64 v128, v162
	s_cbranch_execnz .LBB1124_845
.LBB1124_779:                           ;   in Loop: Header=BB1124_682 Depth=2
	s_wait_alu 0xfffe
	s_or_b32 exec_lo, exec_lo, s42
	s_delay_alu instid0(SALU_CYCLE_1)
	s_mov_b32 s42, exec_lo
	v_cmpx_lt_u32_e64 v129, v162
	s_cbranch_execnz .LBB1124_846
.LBB1124_780:                           ;   in Loop: Header=BB1124_682 Depth=2
	s_wait_alu 0xfffe
	s_or_b32 exec_lo, exec_lo, s42
	s_delay_alu instid0(SALU_CYCLE_1)
	s_mov_b32 s42, exec_lo
	v_cmpx_lt_u32_e64 v130, v162
	s_cbranch_execnz .LBB1124_847
.LBB1124_781:                           ;   in Loop: Header=BB1124_682 Depth=2
	s_wait_alu 0xfffe
	s_or_b32 exec_lo, exec_lo, s42
	s_delay_alu instid0(SALU_CYCLE_1)
	s_mov_b32 s42, exec_lo
	v_cmpx_lt_u32_e64 v131, v162
	s_cbranch_execnz .LBB1124_848
.LBB1124_782:                           ;   in Loop: Header=BB1124_682 Depth=2
	s_wait_alu 0xfffe
	s_or_b32 exec_lo, exec_lo, s42
	s_delay_alu instid0(SALU_CYCLE_1)
	s_mov_b32 s42, exec_lo
	v_cmpx_lt_u32_e64 v132, v162
	s_cbranch_execnz .LBB1124_849
.LBB1124_783:                           ;   in Loop: Header=BB1124_682 Depth=2
	s_wait_alu 0xfffe
	s_or_b32 exec_lo, exec_lo, s42
	s_delay_alu instid0(SALU_CYCLE_1)
	s_mov_b32 s42, exec_lo
	v_cmpx_lt_u32_e64 v133, v162
	s_cbranch_execnz .LBB1124_850
.LBB1124_784:                           ;   in Loop: Header=BB1124_682 Depth=2
	s_wait_alu 0xfffe
	s_or_b32 exec_lo, exec_lo, s42
	s_delay_alu instid0(SALU_CYCLE_1)
	s_mov_b32 s42, exec_lo
	v_cmpx_lt_u32_e64 v134, v162
	s_cbranch_execnz .LBB1124_851
.LBB1124_785:                           ;   in Loop: Header=BB1124_682 Depth=2
	s_wait_alu 0xfffe
	s_or_b32 exec_lo, exec_lo, s42
	s_delay_alu instid0(SALU_CYCLE_1)
	s_mov_b32 s42, exec_lo
	v_cmpx_lt_u32_e64 v135, v162
	s_cbranch_execnz .LBB1124_852
.LBB1124_786:                           ;   in Loop: Header=BB1124_682 Depth=2
	s_wait_alu 0xfffe
	s_or_b32 exec_lo, exec_lo, s42
	s_delay_alu instid0(SALU_CYCLE_1)
	s_mov_b32 s42, exec_lo
	v_cmpx_lt_u32_e64 v136, v162
	s_cbranch_execnz .LBB1124_853
.LBB1124_787:                           ;   in Loop: Header=BB1124_682 Depth=2
	s_wait_alu 0xfffe
	s_or_b32 exec_lo, exec_lo, s42
	s_delay_alu instid0(SALU_CYCLE_1)
	s_mov_b32 s42, exec_lo
	v_cmpx_lt_u32_e64 v137, v162
	s_cbranch_execnz .LBB1124_854
.LBB1124_788:                           ;   in Loop: Header=BB1124_682 Depth=2
	s_wait_alu 0xfffe
	s_or_b32 exec_lo, exec_lo, s42
	s_delay_alu instid0(SALU_CYCLE_1)
	s_mov_b32 s42, exec_lo
	v_cmpx_lt_u32_e64 v138, v162
	s_cbranch_execnz .LBB1124_855
.LBB1124_789:                           ;   in Loop: Header=BB1124_682 Depth=2
	s_wait_alu 0xfffe
	s_or_b32 exec_lo, exec_lo, s42
	s_delay_alu instid0(SALU_CYCLE_1)
	s_mov_b32 s42, exec_lo
	v_cmpx_lt_u32_e64 v139, v162
	s_cbranch_execnz .LBB1124_856
.LBB1124_790:                           ;   in Loop: Header=BB1124_682 Depth=2
	s_wait_alu 0xfffe
	s_or_b32 exec_lo, exec_lo, s42
	s_delay_alu instid0(SALU_CYCLE_1)
	s_mov_b32 s42, exec_lo
	v_cmpx_lt_u32_e64 v140, v162
	s_cbranch_execnz .LBB1124_857
.LBB1124_791:                           ;   in Loop: Header=BB1124_682 Depth=2
	s_wait_alu 0xfffe
	s_or_b32 exec_lo, exec_lo, s42
	s_delay_alu instid0(SALU_CYCLE_1)
	s_mov_b32 s42, exec_lo
	v_cmpx_lt_u32_e64 v141, v162
	s_cbranch_execnz .LBB1124_858
.LBB1124_792:                           ;   in Loop: Header=BB1124_682 Depth=2
	s_wait_alu 0xfffe
	s_or_b32 exec_lo, exec_lo, s42
	s_delay_alu instid0(SALU_CYCLE_1)
	s_mov_b32 s42, exec_lo
	v_cmpx_lt_u32_e64 v142, v162
	s_cbranch_execnz .LBB1124_859
.LBB1124_793:                           ;   in Loop: Header=BB1124_682 Depth=2
	s_wait_alu 0xfffe
	s_or_b32 exec_lo, exec_lo, s42
	s_and_saveexec_b32 s42, vcc_lo
	s_cbranch_execnz .LBB1124_860
.LBB1124_794:                           ;   in Loop: Header=BB1124_682 Depth=2
	s_wait_alu 0xfffe
	s_or_b32 exec_lo, exec_lo, s42
	s_and_saveexec_b32 s42, s15
	s_cbranch_execnz .LBB1124_861
.LBB1124_795:                           ;   in Loop: Header=BB1124_682 Depth=2
	s_wait_alu 0xfffe
	s_or_b32 exec_lo, exec_lo, s42
	s_and_saveexec_b32 s42, s16
	s_cbranch_execnz .LBB1124_862
.LBB1124_796:                           ;   in Loop: Header=BB1124_682 Depth=2
	s_wait_alu 0xfffe
	s_or_b32 exec_lo, exec_lo, s42
	s_and_saveexec_b32 s42, s17
	s_cbranch_execnz .LBB1124_863
.LBB1124_797:                           ;   in Loop: Header=BB1124_682 Depth=2
	s_wait_alu 0xfffe
	s_or_b32 exec_lo, exec_lo, s42
	s_and_saveexec_b32 s42, s18
	s_cbranch_execnz .LBB1124_864
.LBB1124_798:                           ;   in Loop: Header=BB1124_682 Depth=2
	s_wait_alu 0xfffe
	s_or_b32 exec_lo, exec_lo, s42
	s_and_saveexec_b32 s42, s19
	s_cbranch_execnz .LBB1124_865
.LBB1124_799:                           ;   in Loop: Header=BB1124_682 Depth=2
	s_wait_alu 0xfffe
	s_or_b32 exec_lo, exec_lo, s42
	s_and_saveexec_b32 s42, s20
	s_cbranch_execnz .LBB1124_866
.LBB1124_800:                           ;   in Loop: Header=BB1124_682 Depth=2
	s_wait_alu 0xfffe
	s_or_b32 exec_lo, exec_lo, s42
	s_and_saveexec_b32 s42, s21
	s_cbranch_execnz .LBB1124_867
.LBB1124_801:                           ;   in Loop: Header=BB1124_682 Depth=2
	s_wait_alu 0xfffe
	s_or_b32 exec_lo, exec_lo, s42
	s_and_saveexec_b32 s42, s22
	s_cbranch_execnz .LBB1124_868
.LBB1124_802:                           ;   in Loop: Header=BB1124_682 Depth=2
	s_wait_alu 0xfffe
	s_or_b32 exec_lo, exec_lo, s42
	s_and_saveexec_b32 s42, s23
	s_cbranch_execnz .LBB1124_869
.LBB1124_803:                           ;   in Loop: Header=BB1124_682 Depth=2
	s_wait_alu 0xfffe
	s_or_b32 exec_lo, exec_lo, s42
	s_and_saveexec_b32 s42, s24
	s_cbranch_execnz .LBB1124_870
.LBB1124_804:                           ;   in Loop: Header=BB1124_682 Depth=2
	s_wait_alu 0xfffe
	s_or_b32 exec_lo, exec_lo, s42
	s_and_saveexec_b32 s42, s25
	s_cbranch_execnz .LBB1124_871
.LBB1124_805:                           ;   in Loop: Header=BB1124_682 Depth=2
	s_wait_alu 0xfffe
	s_or_b32 exec_lo, exec_lo, s42
	s_and_saveexec_b32 s42, s26
	s_cbranch_execnz .LBB1124_872
.LBB1124_806:                           ;   in Loop: Header=BB1124_682 Depth=2
	s_wait_alu 0xfffe
	s_or_b32 exec_lo, exec_lo, s42
	s_and_saveexec_b32 s42, s27
	s_cbranch_execnz .LBB1124_873
.LBB1124_807:                           ;   in Loop: Header=BB1124_682 Depth=2
	s_wait_alu 0xfffe
	s_or_b32 exec_lo, exec_lo, s42
	s_and_saveexec_b32 s42, s28
	s_cbranch_execnz .LBB1124_874
.LBB1124_808:                           ;   in Loop: Header=BB1124_682 Depth=2
	s_wait_alu 0xfffe
	s_or_b32 exec_lo, exec_lo, s42
	s_and_saveexec_b32 s42, s29
	s_cbranch_execz .LBB1124_810
.LBB1124_809:                           ;   in Loop: Header=BB1124_682 Depth=2
	ds_load_b64 v[36:37], v108 offset:31744
	s_wait_dscnt 0x0
	v_cmp_ne_u64_e64 s30, s[34:35], v[36:37]
	s_wait_alu 0xf1ff
	s_delay_alu instid0(VALU_DEP_1) | instskip(SKIP_1) | instid1(VALU_DEP_1)
	v_cndmask_b32_e64 v37, 0x7fffffff, v37, s30
	v_cndmask_b32_e64 v36, -1, v36, s30
	v_lshrrev_b64 v[36:37], s31, v[36:37]
	s_delay_alu instid0(VALU_DEP_1)
	v_and_b32_e32 v146, s56, v36
.LBB1124_810:                           ;   in Loop: Header=BB1124_682 Depth=2
	s_wait_alu 0xfffe
	s_or_b32 exec_lo, exec_lo, s42
	s_wait_loadcnt 0x0
	s_wait_storecnt 0x0
	s_barrier_signal -1
	s_barrier_wait -1
	global_inv scope:SCOPE_SE
	ds_store_b64 v69, v[34:35] offset:1024
	ds_store_b64 v70, v[32:33] offset:1024
	;; [unrolled: 1-line block ×16, first 2 shown]
	s_wait_loadcnt_dscnt 0x0
	s_barrier_signal -1
	s_barrier_wait -1
	global_inv scope:SCOPE_SE
	s_and_saveexec_b32 s30, vcc_lo
	s_cbranch_execnz .LBB1124_875
; %bb.811:                              ;   in Loop: Header=BB1124_682 Depth=2
	s_wait_alu 0xfffe
	s_or_b32 exec_lo, exec_lo, s30
	s_and_saveexec_b32 s30, s15
	s_cbranch_execnz .LBB1124_876
.LBB1124_812:                           ;   in Loop: Header=BB1124_682 Depth=2
	s_wait_alu 0xfffe
	s_or_b32 exec_lo, exec_lo, s30
	s_and_saveexec_b32 s15, s16
	s_cbranch_execnz .LBB1124_877
.LBB1124_813:                           ;   in Loop: Header=BB1124_682 Depth=2
	s_wait_alu 0xfffe
	s_or_b32 exec_lo, exec_lo, s15
	s_and_saveexec_b32 s15, s17
	s_cbranch_execnz .LBB1124_878
.LBB1124_814:                           ;   in Loop: Header=BB1124_682 Depth=2
	s_wait_alu 0xfffe
	s_or_b32 exec_lo, exec_lo, s15
	s_and_saveexec_b32 s15, s18
	s_cbranch_execnz .LBB1124_879
.LBB1124_815:                           ;   in Loop: Header=BB1124_682 Depth=2
	s_wait_alu 0xfffe
	s_or_b32 exec_lo, exec_lo, s15
	s_and_saveexec_b32 s15, s19
	s_cbranch_execnz .LBB1124_880
.LBB1124_816:                           ;   in Loop: Header=BB1124_682 Depth=2
	s_wait_alu 0xfffe
	s_or_b32 exec_lo, exec_lo, s15
	s_and_saveexec_b32 s15, s20
	s_cbranch_execnz .LBB1124_881
.LBB1124_817:                           ;   in Loop: Header=BB1124_682 Depth=2
	s_wait_alu 0xfffe
	s_or_b32 exec_lo, exec_lo, s15
	s_and_saveexec_b32 s15, s21
	s_cbranch_execnz .LBB1124_882
.LBB1124_818:                           ;   in Loop: Header=BB1124_682 Depth=2
	s_wait_alu 0xfffe
	s_or_b32 exec_lo, exec_lo, s15
	s_and_saveexec_b32 s15, s22
	s_cbranch_execnz .LBB1124_883
.LBB1124_819:                           ;   in Loop: Header=BB1124_682 Depth=2
	s_wait_alu 0xfffe
	s_or_b32 exec_lo, exec_lo, s15
	s_and_saveexec_b32 s15, s23
	s_cbranch_execnz .LBB1124_884
.LBB1124_820:                           ;   in Loop: Header=BB1124_682 Depth=2
	s_wait_alu 0xfffe
	s_or_b32 exec_lo, exec_lo, s15
	s_and_saveexec_b32 s15, s24
	s_cbranch_execnz .LBB1124_885
.LBB1124_821:                           ;   in Loop: Header=BB1124_682 Depth=2
	s_wait_alu 0xfffe
	s_or_b32 exec_lo, exec_lo, s15
	s_and_saveexec_b32 s15, s25
	s_cbranch_execnz .LBB1124_886
.LBB1124_822:                           ;   in Loop: Header=BB1124_682 Depth=2
	s_wait_alu 0xfffe
	s_or_b32 exec_lo, exec_lo, s15
	s_and_saveexec_b32 s15, s26
	s_cbranch_execnz .LBB1124_887
.LBB1124_823:                           ;   in Loop: Header=BB1124_682 Depth=2
	s_wait_alu 0xfffe
	s_or_b32 exec_lo, exec_lo, s15
	s_and_saveexec_b32 s15, s27
	s_cbranch_execnz .LBB1124_888
.LBB1124_824:                           ;   in Loop: Header=BB1124_682 Depth=2
	s_wait_alu 0xfffe
	s_or_b32 exec_lo, exec_lo, s15
	s_and_saveexec_b32 s15, s28
	s_cbranch_execnz .LBB1124_889
.LBB1124_825:                           ;   in Loop: Header=BB1124_682 Depth=2
	s_wait_alu 0xfffe
	s_or_b32 exec_lo, exec_lo, s15
	s_and_saveexec_b32 s15, s29
	s_cbranch_execz .LBB1124_827
.LBB1124_826:                           ;   in Loop: Header=BB1124_682 Depth=2
	v_lshlrev_b32_e32 v2, 2, v146
	ds_load_b32 v2, v2
	ds_load_b64 v[36:37], v108 offset:31744
	s_wait_dscnt 0x1
	v_add_nc_u32_e32 v2, v2, v93
	s_delay_alu instid0(VALU_DEP_1) | instskip(NEXT) | instid1(VALU_DEP_1)
	v_lshlrev_b64_e32 v[38:39], 3, v[2:3]
	v_add_co_u32 v38, vcc_lo, s44, v38
	s_wait_alu 0xfffd
	s_delay_alu instid0(VALU_DEP_2)
	v_add_co_ci_u32_e64 v39, null, s45, v39, vcc_lo
	s_wait_dscnt 0x0
	global_store_b64 v[38:39], v[36:37], off
.LBB1124_827:                           ;   in Loop: Header=BB1124_682 Depth=2
	s_wait_alu 0xfffe
	s_or_b32 exec_lo, exec_lo, s15
	s_wait_loadcnt 0x0
	s_wait_storecnt 0x0
	s_barrier_signal -1
	s_barrier_wait -1
	global_inv scope:SCOPE_SE
	s_and_saveexec_b32 s15, s2
	s_cbranch_execz .LBB1124_681
; %bb.828:                              ;   in Loop: Header=BB1124_682 Depth=2
	ds_load_b32 v2, v76
	s_wait_dscnt 0x0
	v_add_nc_u32_e32 v2, v2, v68
	ds_store_b32 v76, v2
	s_branch .LBB1124_681
.LBB1124_829:                           ;   in Loop: Header=BB1124_682 Depth=2
	ds_load_b64 v[36:37], v108 offset:1024
	s_wait_dscnt 0x0
	v_cmp_ne_u64_e64 s15, s[34:35], v[36:37]
	s_wait_alu 0xf1ff
	s_delay_alu instid0(VALU_DEP_1) | instskip(SKIP_2) | instid1(VALU_DEP_2)
	v_cndmask_b32_e64 v43, 0x7fffffff, v37, s15
	v_cndmask_b32_e64 v42, -1, v36, s15
	v_cmp_gt_i64_e64 s15, 0, v[36:37]
	v_lshrrev_b64 v[42:43], s31, v[42:43]
	s_wait_alu 0xf1ff
	s_delay_alu instid0(VALU_DEP_2) | instskip(NEXT) | instid1(VALU_DEP_2)
	v_cndmask_b32_e64 v44, 0x7fffffff, 0, s15
	v_and_b32_e32 v2, s56, v42
	v_ashrrev_i32_e32 v42, 31, v37
	s_delay_alu instid0(VALU_DEP_3) | instskip(NEXT) | instid1(VALU_DEP_3)
	v_xor_b32_e32 v37, v44, v37
	v_lshlrev_b32_e32 v2, 2, v2
	s_delay_alu instid0(VALU_DEP_3) | instskip(SKIP_4) | instid1(VALU_DEP_1)
	v_not_b32_e32 v45, v42
	ds_load_b32 v2, v2
	v_xor_b32_e32 v36, v45, v36
	s_wait_dscnt 0x0
	v_add_nc_u32_e32 v2, v2, v1
	v_lshlrev_b64_e32 v[42:43], 3, v[2:3]
	s_delay_alu instid0(VALU_DEP_1) | instskip(SKIP_1) | instid1(VALU_DEP_2)
	v_add_co_u32 v42, s15, s38, v42
	s_wait_alu 0xf1ff
	v_add_co_ci_u32_e64 v43, null, s39, v43, s15
	global_store_b64 v[42:43], v[36:37], off
	s_wait_alu 0xfffe
	s_or_b32 exec_lo, exec_lo, s16
	v_cmp_lt_u32_e64 s15, v77, v162
	s_and_saveexec_b32 s17, s15
	s_cbranch_execz .LBB1124_762
.LBB1124_830:                           ;   in Loop: Header=BB1124_682 Depth=2
	ds_load_b64 v[36:37], v108 offset:3072
	s_wait_dscnt 0x0
	v_cmp_ne_u64_e64 s16, s[34:35], v[36:37]
	s_wait_alu 0xf1ff
	s_delay_alu instid0(VALU_DEP_1) | instskip(SKIP_2) | instid1(VALU_DEP_2)
	v_cndmask_b32_e64 v43, 0x7fffffff, v37, s16
	v_cndmask_b32_e64 v42, -1, v36, s16
	v_cmp_gt_i64_e64 s16, 0, v[36:37]
	v_lshrrev_b64 v[42:43], s31, v[42:43]
	s_wait_alu 0xf1ff
	s_delay_alu instid0(VALU_DEP_2) | instskip(NEXT) | instid1(VALU_DEP_2)
	v_cndmask_b32_e64 v44, 0x7fffffff, 0, s16
	v_and_b32_e32 v2, s56, v42
	v_ashrrev_i32_e32 v42, 31, v37
	s_delay_alu instid0(VALU_DEP_3) | instskip(NEXT) | instid1(VALU_DEP_3)
	v_xor_b32_e32 v37, v44, v37
	v_lshlrev_b32_e32 v2, 2, v2
	s_delay_alu instid0(VALU_DEP_3) | instskip(SKIP_4) | instid1(VALU_DEP_1)
	v_not_b32_e32 v45, v42
	ds_load_b32 v2, v2
	v_xor_b32_e32 v36, v45, v36
	s_wait_dscnt 0x0
	v_add_nc_u32_e32 v2, v2, v77
	v_lshlrev_b64_e32 v[42:43], 3, v[2:3]
	s_delay_alu instid0(VALU_DEP_1) | instskip(SKIP_1) | instid1(VALU_DEP_2)
	v_add_co_u32 v42, s16, s38, v42
	s_wait_alu 0xf1ff
	v_add_co_ci_u32_e64 v43, null, s39, v43, s16
	global_store_b64 v[42:43], v[36:37], off
	s_wait_alu 0xfffe
	s_or_b32 exec_lo, exec_lo, s17
	v_cmp_lt_u32_e64 s16, v78, v162
	s_and_saveexec_b32 s18, s16
	s_cbranch_execz .LBB1124_763
.LBB1124_831:                           ;   in Loop: Header=BB1124_682 Depth=2
	ds_load_b64 v[36:37], v108 offset:5120
	s_wait_dscnt 0x0
	v_cmp_ne_u64_e64 s17, s[34:35], v[36:37]
	s_wait_alu 0xf1ff
	s_delay_alu instid0(VALU_DEP_1) | instskip(SKIP_2) | instid1(VALU_DEP_2)
	v_cndmask_b32_e64 v43, 0x7fffffff, v37, s17
	v_cndmask_b32_e64 v42, -1, v36, s17
	v_cmp_gt_i64_e64 s17, 0, v[36:37]
	v_lshrrev_b64 v[42:43], s31, v[42:43]
	s_wait_alu 0xf1ff
	s_delay_alu instid0(VALU_DEP_2) | instskip(NEXT) | instid1(VALU_DEP_2)
	v_cndmask_b32_e64 v44, 0x7fffffff, 0, s17
	v_and_b32_e32 v2, s56, v42
	v_ashrrev_i32_e32 v42, 31, v37
	s_delay_alu instid0(VALU_DEP_3) | instskip(NEXT) | instid1(VALU_DEP_3)
	v_xor_b32_e32 v37, v44, v37
	v_lshlrev_b32_e32 v2, 2, v2
	s_delay_alu instid0(VALU_DEP_3) | instskip(SKIP_4) | instid1(VALU_DEP_1)
	v_not_b32_e32 v45, v42
	ds_load_b32 v2, v2
	v_xor_b32_e32 v36, v45, v36
	s_wait_dscnt 0x0
	v_add_nc_u32_e32 v2, v2, v78
	v_lshlrev_b64_e32 v[42:43], 3, v[2:3]
	s_delay_alu instid0(VALU_DEP_1) | instskip(SKIP_1) | instid1(VALU_DEP_2)
	v_add_co_u32 v42, s17, s38, v42
	s_wait_alu 0xf1ff
	v_add_co_ci_u32_e64 v43, null, s39, v43, s17
	global_store_b64 v[42:43], v[36:37], off
	s_wait_alu 0xfffe
	s_or_b32 exec_lo, exec_lo, s18
	v_cmp_lt_u32_e64 s17, v79, v162
	s_and_saveexec_b32 s19, s17
	s_cbranch_execz .LBB1124_764
.LBB1124_832:                           ;   in Loop: Header=BB1124_682 Depth=2
	ds_load_b64 v[36:37], v108 offset:7168
	s_wait_dscnt 0x0
	v_cmp_ne_u64_e64 s18, s[34:35], v[36:37]
	s_wait_alu 0xf1ff
	s_delay_alu instid0(VALU_DEP_1) | instskip(SKIP_2) | instid1(VALU_DEP_2)
	v_cndmask_b32_e64 v43, 0x7fffffff, v37, s18
	v_cndmask_b32_e64 v42, -1, v36, s18
	v_cmp_gt_i64_e64 s18, 0, v[36:37]
	v_lshrrev_b64 v[42:43], s31, v[42:43]
	s_wait_alu 0xf1ff
	s_delay_alu instid0(VALU_DEP_2) | instskip(NEXT) | instid1(VALU_DEP_2)
	v_cndmask_b32_e64 v44, 0x7fffffff, 0, s18
	v_and_b32_e32 v2, s56, v42
	v_ashrrev_i32_e32 v42, 31, v37
	s_delay_alu instid0(VALU_DEP_3) | instskip(NEXT) | instid1(VALU_DEP_3)
	v_xor_b32_e32 v37, v44, v37
	v_lshlrev_b32_e32 v2, 2, v2
	s_delay_alu instid0(VALU_DEP_3) | instskip(SKIP_4) | instid1(VALU_DEP_1)
	v_not_b32_e32 v45, v42
	ds_load_b32 v2, v2
	v_xor_b32_e32 v36, v45, v36
	s_wait_dscnt 0x0
	v_add_nc_u32_e32 v2, v2, v79
	v_lshlrev_b64_e32 v[42:43], 3, v[2:3]
	s_delay_alu instid0(VALU_DEP_1) | instskip(SKIP_1) | instid1(VALU_DEP_2)
	v_add_co_u32 v42, s18, s38, v42
	s_wait_alu 0xf1ff
	v_add_co_ci_u32_e64 v43, null, s39, v43, s18
	global_store_b64 v[42:43], v[36:37], off
	s_wait_alu 0xfffe
	s_or_b32 exec_lo, exec_lo, s19
	v_cmp_lt_u32_e64 s18, v82, v162
	s_and_saveexec_b32 s20, s18
	s_cbranch_execz .LBB1124_765
.LBB1124_833:                           ;   in Loop: Header=BB1124_682 Depth=2
	ds_load_b64 v[36:37], v108 offset:9216
	s_wait_dscnt 0x0
	v_cmp_ne_u64_e64 s19, s[34:35], v[36:37]
	s_wait_alu 0xf1ff
	s_delay_alu instid0(VALU_DEP_1) | instskip(SKIP_2) | instid1(VALU_DEP_2)
	v_cndmask_b32_e64 v43, 0x7fffffff, v37, s19
	v_cndmask_b32_e64 v42, -1, v36, s19
	v_cmp_gt_i64_e64 s19, 0, v[36:37]
	v_lshrrev_b64 v[42:43], s31, v[42:43]
	s_wait_alu 0xf1ff
	s_delay_alu instid0(VALU_DEP_2) | instskip(NEXT) | instid1(VALU_DEP_2)
	v_cndmask_b32_e64 v44, 0x7fffffff, 0, s19
	v_and_b32_e32 v2, s56, v42
	v_ashrrev_i32_e32 v42, 31, v37
	s_delay_alu instid0(VALU_DEP_3) | instskip(NEXT) | instid1(VALU_DEP_3)
	v_xor_b32_e32 v37, v44, v37
	v_lshlrev_b32_e32 v2, 2, v2
	s_delay_alu instid0(VALU_DEP_3) | instskip(SKIP_4) | instid1(VALU_DEP_1)
	v_not_b32_e32 v45, v42
	ds_load_b32 v2, v2
	v_xor_b32_e32 v36, v45, v36
	s_wait_dscnt 0x0
	v_add_nc_u32_e32 v2, v2, v82
	v_lshlrev_b64_e32 v[42:43], 3, v[2:3]
	s_delay_alu instid0(VALU_DEP_1) | instskip(SKIP_1) | instid1(VALU_DEP_2)
	v_add_co_u32 v42, s19, s38, v42
	s_wait_alu 0xf1ff
	v_add_co_ci_u32_e64 v43, null, s39, v43, s19
	global_store_b64 v[42:43], v[36:37], off
	s_wait_alu 0xfffe
	s_or_b32 exec_lo, exec_lo, s20
	v_cmp_lt_u32_e64 s19, v83, v162
	s_and_saveexec_b32 s21, s19
	s_cbranch_execz .LBB1124_766
.LBB1124_834:                           ;   in Loop: Header=BB1124_682 Depth=2
	ds_load_b64 v[36:37], v108 offset:11264
	s_wait_dscnt 0x0
	v_cmp_ne_u64_e64 s20, s[34:35], v[36:37]
	s_wait_alu 0xf1ff
	s_delay_alu instid0(VALU_DEP_1) | instskip(SKIP_2) | instid1(VALU_DEP_2)
	v_cndmask_b32_e64 v43, 0x7fffffff, v37, s20
	v_cndmask_b32_e64 v42, -1, v36, s20
	v_cmp_gt_i64_e64 s20, 0, v[36:37]
	v_lshrrev_b64 v[42:43], s31, v[42:43]
	s_wait_alu 0xf1ff
	s_delay_alu instid0(VALU_DEP_2) | instskip(NEXT) | instid1(VALU_DEP_2)
	v_cndmask_b32_e64 v44, 0x7fffffff, 0, s20
	v_and_b32_e32 v2, s56, v42
	v_ashrrev_i32_e32 v42, 31, v37
	s_delay_alu instid0(VALU_DEP_3) | instskip(NEXT) | instid1(VALU_DEP_3)
	v_xor_b32_e32 v37, v44, v37
	v_lshlrev_b32_e32 v2, 2, v2
	s_delay_alu instid0(VALU_DEP_3) | instskip(SKIP_4) | instid1(VALU_DEP_1)
	v_not_b32_e32 v45, v42
	ds_load_b32 v2, v2
	v_xor_b32_e32 v36, v45, v36
	s_wait_dscnt 0x0
	v_add_nc_u32_e32 v2, v2, v83
	v_lshlrev_b64_e32 v[42:43], 3, v[2:3]
	s_delay_alu instid0(VALU_DEP_1) | instskip(SKIP_1) | instid1(VALU_DEP_2)
	v_add_co_u32 v42, s20, s38, v42
	s_wait_alu 0xf1ff
	v_add_co_ci_u32_e64 v43, null, s39, v43, s20
	global_store_b64 v[42:43], v[36:37], off
	s_wait_alu 0xfffe
	s_or_b32 exec_lo, exec_lo, s21
	v_cmp_lt_u32_e64 s20, v84, v162
	s_and_saveexec_b32 s22, s20
	s_cbranch_execz .LBB1124_767
.LBB1124_835:                           ;   in Loop: Header=BB1124_682 Depth=2
	ds_load_b64 v[36:37], v108 offset:13312
	s_wait_dscnt 0x0
	v_cmp_ne_u64_e64 s21, s[34:35], v[36:37]
	s_wait_alu 0xf1ff
	s_delay_alu instid0(VALU_DEP_1) | instskip(SKIP_2) | instid1(VALU_DEP_2)
	v_cndmask_b32_e64 v43, 0x7fffffff, v37, s21
	v_cndmask_b32_e64 v42, -1, v36, s21
	v_cmp_gt_i64_e64 s21, 0, v[36:37]
	v_lshrrev_b64 v[42:43], s31, v[42:43]
	s_wait_alu 0xf1ff
	s_delay_alu instid0(VALU_DEP_2) | instskip(NEXT) | instid1(VALU_DEP_2)
	v_cndmask_b32_e64 v44, 0x7fffffff, 0, s21
	v_and_b32_e32 v2, s56, v42
	v_ashrrev_i32_e32 v42, 31, v37
	s_delay_alu instid0(VALU_DEP_3) | instskip(NEXT) | instid1(VALU_DEP_3)
	v_xor_b32_e32 v37, v44, v37
	v_lshlrev_b32_e32 v2, 2, v2
	s_delay_alu instid0(VALU_DEP_3) | instskip(SKIP_4) | instid1(VALU_DEP_1)
	v_not_b32_e32 v45, v42
	ds_load_b32 v2, v2
	v_xor_b32_e32 v36, v45, v36
	s_wait_dscnt 0x0
	v_add_nc_u32_e32 v2, v2, v84
	v_lshlrev_b64_e32 v[42:43], 3, v[2:3]
	s_delay_alu instid0(VALU_DEP_1) | instskip(SKIP_1) | instid1(VALU_DEP_2)
	v_add_co_u32 v42, s21, s38, v42
	s_wait_alu 0xf1ff
	v_add_co_ci_u32_e64 v43, null, s39, v43, s21
	global_store_b64 v[42:43], v[36:37], off
	s_wait_alu 0xfffe
	s_or_b32 exec_lo, exec_lo, s22
	v_cmp_lt_u32_e64 s21, v85, v162
	s_and_saveexec_b32 s23, s21
	s_cbranch_execz .LBB1124_768
.LBB1124_836:                           ;   in Loop: Header=BB1124_682 Depth=2
	ds_load_b64 v[36:37], v108 offset:15360
	s_wait_dscnt 0x0
	v_cmp_ne_u64_e64 s22, s[34:35], v[36:37]
	s_wait_alu 0xf1ff
	s_delay_alu instid0(VALU_DEP_1) | instskip(SKIP_2) | instid1(VALU_DEP_2)
	v_cndmask_b32_e64 v43, 0x7fffffff, v37, s22
	v_cndmask_b32_e64 v42, -1, v36, s22
	v_cmp_gt_i64_e64 s22, 0, v[36:37]
	v_lshrrev_b64 v[42:43], s31, v[42:43]
	s_wait_alu 0xf1ff
	s_delay_alu instid0(VALU_DEP_2) | instskip(NEXT) | instid1(VALU_DEP_2)
	v_cndmask_b32_e64 v44, 0x7fffffff, 0, s22
	v_and_b32_e32 v2, s56, v42
	v_ashrrev_i32_e32 v42, 31, v37
	s_delay_alu instid0(VALU_DEP_3) | instskip(NEXT) | instid1(VALU_DEP_3)
	v_xor_b32_e32 v37, v44, v37
	v_lshlrev_b32_e32 v2, 2, v2
	s_delay_alu instid0(VALU_DEP_3) | instskip(SKIP_4) | instid1(VALU_DEP_1)
	v_not_b32_e32 v45, v42
	ds_load_b32 v2, v2
	v_xor_b32_e32 v36, v45, v36
	s_wait_dscnt 0x0
	v_add_nc_u32_e32 v2, v2, v85
	v_lshlrev_b64_e32 v[42:43], 3, v[2:3]
	s_delay_alu instid0(VALU_DEP_1) | instskip(SKIP_1) | instid1(VALU_DEP_2)
	v_add_co_u32 v42, s22, s38, v42
	s_wait_alu 0xf1ff
	v_add_co_ci_u32_e64 v43, null, s39, v43, s22
	global_store_b64 v[42:43], v[36:37], off
	s_wait_alu 0xfffe
	s_or_b32 exec_lo, exec_lo, s23
	v_cmp_lt_u32_e64 s22, v86, v162
	s_and_saveexec_b32 s24, s22
	s_cbranch_execz .LBB1124_769
.LBB1124_837:                           ;   in Loop: Header=BB1124_682 Depth=2
	ds_load_b64 v[36:37], v108 offset:17408
	s_wait_dscnt 0x0
	v_cmp_ne_u64_e64 s23, s[34:35], v[36:37]
	s_wait_alu 0xf1ff
	s_delay_alu instid0(VALU_DEP_1) | instskip(SKIP_2) | instid1(VALU_DEP_2)
	v_cndmask_b32_e64 v43, 0x7fffffff, v37, s23
	v_cndmask_b32_e64 v42, -1, v36, s23
	v_cmp_gt_i64_e64 s23, 0, v[36:37]
	v_lshrrev_b64 v[42:43], s31, v[42:43]
	s_wait_alu 0xf1ff
	s_delay_alu instid0(VALU_DEP_2) | instskip(NEXT) | instid1(VALU_DEP_2)
	v_cndmask_b32_e64 v44, 0x7fffffff, 0, s23
	v_and_b32_e32 v2, s56, v42
	v_ashrrev_i32_e32 v42, 31, v37
	s_delay_alu instid0(VALU_DEP_3) | instskip(NEXT) | instid1(VALU_DEP_3)
	v_xor_b32_e32 v37, v44, v37
	v_lshlrev_b32_e32 v2, 2, v2
	s_delay_alu instid0(VALU_DEP_3) | instskip(SKIP_4) | instid1(VALU_DEP_1)
	v_not_b32_e32 v45, v42
	ds_load_b32 v2, v2
	v_xor_b32_e32 v36, v45, v36
	s_wait_dscnt 0x0
	v_add_nc_u32_e32 v2, v2, v86
	v_lshlrev_b64_e32 v[42:43], 3, v[2:3]
	s_delay_alu instid0(VALU_DEP_1) | instskip(SKIP_1) | instid1(VALU_DEP_2)
	v_add_co_u32 v42, s23, s38, v42
	s_wait_alu 0xf1ff
	v_add_co_ci_u32_e64 v43, null, s39, v43, s23
	global_store_b64 v[42:43], v[36:37], off
	s_wait_alu 0xfffe
	s_or_b32 exec_lo, exec_lo, s24
	v_cmp_lt_u32_e64 s23, v87, v162
	s_and_saveexec_b32 s25, s23
	s_cbranch_execz .LBB1124_770
.LBB1124_838:                           ;   in Loop: Header=BB1124_682 Depth=2
	ds_load_b64 v[36:37], v108 offset:19456
	s_wait_dscnt 0x0
	v_cmp_ne_u64_e64 s24, s[34:35], v[36:37]
	s_wait_alu 0xf1ff
	s_delay_alu instid0(VALU_DEP_1) | instskip(SKIP_2) | instid1(VALU_DEP_2)
	v_cndmask_b32_e64 v43, 0x7fffffff, v37, s24
	v_cndmask_b32_e64 v42, -1, v36, s24
	v_cmp_gt_i64_e64 s24, 0, v[36:37]
	v_lshrrev_b64 v[42:43], s31, v[42:43]
	s_wait_alu 0xf1ff
	s_delay_alu instid0(VALU_DEP_2) | instskip(NEXT) | instid1(VALU_DEP_2)
	v_cndmask_b32_e64 v44, 0x7fffffff, 0, s24
	v_and_b32_e32 v2, s56, v42
	v_ashrrev_i32_e32 v42, 31, v37
	s_delay_alu instid0(VALU_DEP_3) | instskip(NEXT) | instid1(VALU_DEP_3)
	v_xor_b32_e32 v37, v44, v37
	v_lshlrev_b32_e32 v2, 2, v2
	s_delay_alu instid0(VALU_DEP_3) | instskip(SKIP_4) | instid1(VALU_DEP_1)
	v_not_b32_e32 v45, v42
	ds_load_b32 v2, v2
	v_xor_b32_e32 v36, v45, v36
	s_wait_dscnt 0x0
	v_add_nc_u32_e32 v2, v2, v87
	v_lshlrev_b64_e32 v[42:43], 3, v[2:3]
	s_delay_alu instid0(VALU_DEP_1) | instskip(SKIP_1) | instid1(VALU_DEP_2)
	v_add_co_u32 v42, s24, s38, v42
	s_wait_alu 0xf1ff
	v_add_co_ci_u32_e64 v43, null, s39, v43, s24
	global_store_b64 v[42:43], v[36:37], off
	s_wait_alu 0xfffe
	s_or_b32 exec_lo, exec_lo, s25
	v_cmp_lt_u32_e64 s24, v88, v162
	s_and_saveexec_b32 s26, s24
	s_cbranch_execz .LBB1124_771
.LBB1124_839:                           ;   in Loop: Header=BB1124_682 Depth=2
	ds_load_b64 v[36:37], v108 offset:21504
	s_wait_dscnt 0x0
	v_cmp_ne_u64_e64 s25, s[34:35], v[36:37]
	s_wait_alu 0xf1ff
	s_delay_alu instid0(VALU_DEP_1) | instskip(SKIP_2) | instid1(VALU_DEP_2)
	v_cndmask_b32_e64 v43, 0x7fffffff, v37, s25
	v_cndmask_b32_e64 v42, -1, v36, s25
	v_cmp_gt_i64_e64 s25, 0, v[36:37]
	v_lshrrev_b64 v[42:43], s31, v[42:43]
	s_wait_alu 0xf1ff
	s_delay_alu instid0(VALU_DEP_2) | instskip(NEXT) | instid1(VALU_DEP_2)
	v_cndmask_b32_e64 v44, 0x7fffffff, 0, s25
	v_and_b32_e32 v2, s56, v42
	v_ashrrev_i32_e32 v42, 31, v37
	s_delay_alu instid0(VALU_DEP_3) | instskip(NEXT) | instid1(VALU_DEP_3)
	v_xor_b32_e32 v37, v44, v37
	v_lshlrev_b32_e32 v2, 2, v2
	s_delay_alu instid0(VALU_DEP_3) | instskip(SKIP_4) | instid1(VALU_DEP_1)
	v_not_b32_e32 v45, v42
	ds_load_b32 v2, v2
	v_xor_b32_e32 v36, v45, v36
	s_wait_dscnt 0x0
	v_add_nc_u32_e32 v2, v2, v88
	v_lshlrev_b64_e32 v[42:43], 3, v[2:3]
	s_delay_alu instid0(VALU_DEP_1) | instskip(SKIP_1) | instid1(VALU_DEP_2)
	v_add_co_u32 v42, s25, s38, v42
	s_wait_alu 0xf1ff
	v_add_co_ci_u32_e64 v43, null, s39, v43, s25
	global_store_b64 v[42:43], v[36:37], off
	s_wait_alu 0xfffe
	s_or_b32 exec_lo, exec_lo, s26
	v_cmp_lt_u32_e64 s25, v89, v162
	s_and_saveexec_b32 s27, s25
	s_cbranch_execz .LBB1124_772
.LBB1124_840:                           ;   in Loop: Header=BB1124_682 Depth=2
	ds_load_b64 v[36:37], v108 offset:23552
	s_wait_dscnt 0x0
	v_cmp_ne_u64_e64 s26, s[34:35], v[36:37]
	s_wait_alu 0xf1ff
	s_delay_alu instid0(VALU_DEP_1) | instskip(SKIP_2) | instid1(VALU_DEP_2)
	v_cndmask_b32_e64 v43, 0x7fffffff, v37, s26
	v_cndmask_b32_e64 v42, -1, v36, s26
	v_cmp_gt_i64_e64 s26, 0, v[36:37]
	v_lshrrev_b64 v[42:43], s31, v[42:43]
	s_wait_alu 0xf1ff
	s_delay_alu instid0(VALU_DEP_2) | instskip(NEXT) | instid1(VALU_DEP_2)
	v_cndmask_b32_e64 v44, 0x7fffffff, 0, s26
	v_and_b32_e32 v2, s56, v42
	v_ashrrev_i32_e32 v42, 31, v37
	s_delay_alu instid0(VALU_DEP_3) | instskip(NEXT) | instid1(VALU_DEP_3)
	v_xor_b32_e32 v37, v44, v37
	v_lshlrev_b32_e32 v2, 2, v2
	s_delay_alu instid0(VALU_DEP_3) | instskip(SKIP_4) | instid1(VALU_DEP_1)
	v_not_b32_e32 v45, v42
	ds_load_b32 v2, v2
	v_xor_b32_e32 v36, v45, v36
	s_wait_dscnt 0x0
	v_add_nc_u32_e32 v2, v2, v89
	v_lshlrev_b64_e32 v[42:43], 3, v[2:3]
	s_delay_alu instid0(VALU_DEP_1) | instskip(SKIP_1) | instid1(VALU_DEP_2)
	v_add_co_u32 v42, s26, s38, v42
	s_wait_alu 0xf1ff
	v_add_co_ci_u32_e64 v43, null, s39, v43, s26
	global_store_b64 v[42:43], v[36:37], off
	s_wait_alu 0xfffe
	s_or_b32 exec_lo, exec_lo, s27
	v_cmp_lt_u32_e64 s26, v90, v162
	s_and_saveexec_b32 s28, s26
	s_cbranch_execz .LBB1124_773
.LBB1124_841:                           ;   in Loop: Header=BB1124_682 Depth=2
	ds_load_b64 v[36:37], v108 offset:25600
	s_wait_dscnt 0x0
	v_cmp_ne_u64_e64 s27, s[34:35], v[36:37]
	s_wait_alu 0xf1ff
	s_delay_alu instid0(VALU_DEP_1) | instskip(SKIP_2) | instid1(VALU_DEP_2)
	v_cndmask_b32_e64 v43, 0x7fffffff, v37, s27
	v_cndmask_b32_e64 v42, -1, v36, s27
	v_cmp_gt_i64_e64 s27, 0, v[36:37]
	v_lshrrev_b64 v[42:43], s31, v[42:43]
	s_wait_alu 0xf1ff
	s_delay_alu instid0(VALU_DEP_2) | instskip(NEXT) | instid1(VALU_DEP_2)
	v_cndmask_b32_e64 v44, 0x7fffffff, 0, s27
	v_and_b32_e32 v2, s56, v42
	v_ashrrev_i32_e32 v42, 31, v37
	s_delay_alu instid0(VALU_DEP_3) | instskip(NEXT) | instid1(VALU_DEP_3)
	v_xor_b32_e32 v37, v44, v37
	v_lshlrev_b32_e32 v2, 2, v2
	s_delay_alu instid0(VALU_DEP_3) | instskip(SKIP_4) | instid1(VALU_DEP_1)
	v_not_b32_e32 v45, v42
	ds_load_b32 v2, v2
	v_xor_b32_e32 v36, v45, v36
	s_wait_dscnt 0x0
	v_add_nc_u32_e32 v2, v2, v90
	v_lshlrev_b64_e32 v[42:43], 3, v[2:3]
	s_delay_alu instid0(VALU_DEP_1) | instskip(SKIP_1) | instid1(VALU_DEP_2)
	v_add_co_u32 v42, s27, s38, v42
	s_wait_alu 0xf1ff
	v_add_co_ci_u32_e64 v43, null, s39, v43, s27
	global_store_b64 v[42:43], v[36:37], off
	s_wait_alu 0xfffe
	s_or_b32 exec_lo, exec_lo, s28
	v_cmp_lt_u32_e64 s27, v91, v162
	s_and_saveexec_b32 s29, s27
	s_cbranch_execz .LBB1124_774
.LBB1124_842:                           ;   in Loop: Header=BB1124_682 Depth=2
	ds_load_b64 v[36:37], v108 offset:27648
	s_wait_dscnt 0x0
	v_cmp_ne_u64_e64 s28, s[34:35], v[36:37]
	s_wait_alu 0xf1ff
	s_delay_alu instid0(VALU_DEP_1) | instskip(SKIP_2) | instid1(VALU_DEP_2)
	v_cndmask_b32_e64 v43, 0x7fffffff, v37, s28
	v_cndmask_b32_e64 v42, -1, v36, s28
	v_cmp_gt_i64_e64 s28, 0, v[36:37]
	v_lshrrev_b64 v[42:43], s31, v[42:43]
	s_wait_alu 0xf1ff
	s_delay_alu instid0(VALU_DEP_2) | instskip(NEXT) | instid1(VALU_DEP_2)
	v_cndmask_b32_e64 v44, 0x7fffffff, 0, s28
	v_and_b32_e32 v2, s56, v42
	v_ashrrev_i32_e32 v42, 31, v37
	s_delay_alu instid0(VALU_DEP_3) | instskip(NEXT) | instid1(VALU_DEP_3)
	v_xor_b32_e32 v37, v44, v37
	v_lshlrev_b32_e32 v2, 2, v2
	s_delay_alu instid0(VALU_DEP_3) | instskip(SKIP_4) | instid1(VALU_DEP_1)
	v_not_b32_e32 v45, v42
	ds_load_b32 v2, v2
	v_xor_b32_e32 v36, v45, v36
	s_wait_dscnt 0x0
	v_add_nc_u32_e32 v2, v2, v91
	v_lshlrev_b64_e32 v[42:43], 3, v[2:3]
	s_delay_alu instid0(VALU_DEP_1) | instskip(SKIP_1) | instid1(VALU_DEP_2)
	v_add_co_u32 v42, s28, s38, v42
	s_wait_alu 0xf1ff
	v_add_co_ci_u32_e64 v43, null, s39, v43, s28
	global_store_b64 v[42:43], v[36:37], off
	s_wait_alu 0xfffe
	s_or_b32 exec_lo, exec_lo, s29
	v_cmp_lt_u32_e64 s28, v92, v162
	s_and_saveexec_b32 s30, s28
	s_cbranch_execz .LBB1124_775
.LBB1124_843:                           ;   in Loop: Header=BB1124_682 Depth=2
	ds_load_b64 v[36:37], v108 offset:29696
	s_wait_dscnt 0x0
	v_cmp_ne_u64_e64 s29, s[34:35], v[36:37]
	s_wait_alu 0xf1ff
	s_delay_alu instid0(VALU_DEP_1) | instskip(SKIP_2) | instid1(VALU_DEP_2)
	v_cndmask_b32_e64 v43, 0x7fffffff, v37, s29
	v_cndmask_b32_e64 v42, -1, v36, s29
	v_cmp_gt_i64_e64 s29, 0, v[36:37]
	v_lshrrev_b64 v[42:43], s31, v[42:43]
	s_wait_alu 0xf1ff
	s_delay_alu instid0(VALU_DEP_2) | instskip(NEXT) | instid1(VALU_DEP_2)
	v_cndmask_b32_e64 v44, 0x7fffffff, 0, s29
	v_and_b32_e32 v2, s56, v42
	v_ashrrev_i32_e32 v42, 31, v37
	s_delay_alu instid0(VALU_DEP_3) | instskip(NEXT) | instid1(VALU_DEP_3)
	v_xor_b32_e32 v37, v44, v37
	v_lshlrev_b32_e32 v2, 2, v2
	s_delay_alu instid0(VALU_DEP_3) | instskip(SKIP_4) | instid1(VALU_DEP_1)
	v_not_b32_e32 v45, v42
	ds_load_b32 v2, v2
	v_xor_b32_e32 v36, v45, v36
	s_wait_dscnt 0x0
	v_add_nc_u32_e32 v2, v2, v92
	v_lshlrev_b64_e32 v[42:43], 3, v[2:3]
	s_delay_alu instid0(VALU_DEP_1) | instskip(SKIP_1) | instid1(VALU_DEP_2)
	v_add_co_u32 v42, s29, s38, v42
	s_wait_alu 0xf1ff
	v_add_co_ci_u32_e64 v43, null, s39, v43, s29
	global_store_b64 v[42:43], v[36:37], off
	s_wait_alu 0xfffe
	s_or_b32 exec_lo, exec_lo, s30
	v_cmp_lt_u32_e64 s29, v93, v162
	s_and_saveexec_b32 s43, s29
	s_cbranch_execnz .LBB1124_776
	s_branch .LBB1124_777
.LBB1124_844:                           ;   in Loop: Header=BB1124_682 Depth=2
	global_load_b64 v[34:35], v[36:37], off
	s_wait_alu 0xfffe
	s_or_b32 exec_lo, exec_lo, s30
	s_delay_alu instid0(SALU_CYCLE_1)
	s_mov_b32 s42, exec_lo
	v_cmpx_lt_u32_e64 v128, v162
	s_cbranch_execz .LBB1124_779
.LBB1124_845:                           ;   in Loop: Header=BB1124_682 Depth=2
	global_load_b64 v[32:33], v[36:37], off offset:256
	s_wait_alu 0xfffe
	s_or_b32 exec_lo, exec_lo, s42
	s_delay_alu instid0(SALU_CYCLE_1)
	s_mov_b32 s42, exec_lo
	v_cmpx_lt_u32_e64 v129, v162
	s_cbranch_execz .LBB1124_780
.LBB1124_846:                           ;   in Loop: Header=BB1124_682 Depth=2
	global_load_b64 v[30:31], v[36:37], off offset:512
	s_wait_alu 0xfffe
	s_or_b32 exec_lo, exec_lo, s42
	s_delay_alu instid0(SALU_CYCLE_1)
	s_mov_b32 s42, exec_lo
	v_cmpx_lt_u32_e64 v130, v162
	s_cbranch_execz .LBB1124_781
.LBB1124_847:                           ;   in Loop: Header=BB1124_682 Depth=2
	global_load_b64 v[28:29], v[36:37], off offset:768
	s_wait_alu 0xfffe
	s_or_b32 exec_lo, exec_lo, s42
	s_delay_alu instid0(SALU_CYCLE_1)
	s_mov_b32 s42, exec_lo
	v_cmpx_lt_u32_e64 v131, v162
	s_cbranch_execz .LBB1124_782
.LBB1124_848:                           ;   in Loop: Header=BB1124_682 Depth=2
	global_load_b64 v[26:27], v[36:37], off offset:1024
	s_wait_alu 0xfffe
	s_or_b32 exec_lo, exec_lo, s42
	s_delay_alu instid0(SALU_CYCLE_1)
	s_mov_b32 s42, exec_lo
	v_cmpx_lt_u32_e64 v132, v162
	s_cbranch_execz .LBB1124_783
.LBB1124_849:                           ;   in Loop: Header=BB1124_682 Depth=2
	global_load_b64 v[24:25], v[36:37], off offset:1280
	s_wait_alu 0xfffe
	s_or_b32 exec_lo, exec_lo, s42
	s_delay_alu instid0(SALU_CYCLE_1)
	s_mov_b32 s42, exec_lo
	v_cmpx_lt_u32_e64 v133, v162
	s_cbranch_execz .LBB1124_784
.LBB1124_850:                           ;   in Loop: Header=BB1124_682 Depth=2
	global_load_b64 v[22:23], v[36:37], off offset:1536
	s_wait_alu 0xfffe
	s_or_b32 exec_lo, exec_lo, s42
	s_delay_alu instid0(SALU_CYCLE_1)
	s_mov_b32 s42, exec_lo
	v_cmpx_lt_u32_e64 v134, v162
	s_cbranch_execz .LBB1124_785
.LBB1124_851:                           ;   in Loop: Header=BB1124_682 Depth=2
	global_load_b64 v[20:21], v[36:37], off offset:1792
	s_wait_alu 0xfffe
	s_or_b32 exec_lo, exec_lo, s42
	s_delay_alu instid0(SALU_CYCLE_1)
	s_mov_b32 s42, exec_lo
	v_cmpx_lt_u32_e64 v135, v162
	s_cbranch_execz .LBB1124_786
.LBB1124_852:                           ;   in Loop: Header=BB1124_682 Depth=2
	global_load_b64 v[18:19], v[36:37], off offset:2048
	s_wait_alu 0xfffe
	s_or_b32 exec_lo, exec_lo, s42
	s_delay_alu instid0(SALU_CYCLE_1)
	s_mov_b32 s42, exec_lo
	v_cmpx_lt_u32_e64 v136, v162
	s_cbranch_execz .LBB1124_787
.LBB1124_853:                           ;   in Loop: Header=BB1124_682 Depth=2
	global_load_b64 v[16:17], v[36:37], off offset:2304
	s_wait_alu 0xfffe
	s_or_b32 exec_lo, exec_lo, s42
	s_delay_alu instid0(SALU_CYCLE_1)
	s_mov_b32 s42, exec_lo
	v_cmpx_lt_u32_e64 v137, v162
	s_cbranch_execz .LBB1124_788
.LBB1124_854:                           ;   in Loop: Header=BB1124_682 Depth=2
	global_load_b64 v[14:15], v[36:37], off offset:2560
	s_wait_alu 0xfffe
	s_or_b32 exec_lo, exec_lo, s42
	s_delay_alu instid0(SALU_CYCLE_1)
	s_mov_b32 s42, exec_lo
	v_cmpx_lt_u32_e64 v138, v162
	s_cbranch_execz .LBB1124_789
.LBB1124_855:                           ;   in Loop: Header=BB1124_682 Depth=2
	global_load_b64 v[12:13], v[36:37], off offset:2816
	s_wait_alu 0xfffe
	s_or_b32 exec_lo, exec_lo, s42
	s_delay_alu instid0(SALU_CYCLE_1)
	s_mov_b32 s42, exec_lo
	v_cmpx_lt_u32_e64 v139, v162
	s_cbranch_execz .LBB1124_790
.LBB1124_856:                           ;   in Loop: Header=BB1124_682 Depth=2
	global_load_b64 v[10:11], v[36:37], off offset:3072
	s_wait_alu 0xfffe
	s_or_b32 exec_lo, exec_lo, s42
	s_delay_alu instid0(SALU_CYCLE_1)
	s_mov_b32 s42, exec_lo
	v_cmpx_lt_u32_e64 v140, v162
	s_cbranch_execz .LBB1124_791
.LBB1124_857:                           ;   in Loop: Header=BB1124_682 Depth=2
	global_load_b64 v[8:9], v[36:37], off offset:3328
	s_wait_alu 0xfffe
	s_or_b32 exec_lo, exec_lo, s42
	s_delay_alu instid0(SALU_CYCLE_1)
	s_mov_b32 s42, exec_lo
	v_cmpx_lt_u32_e64 v141, v162
	s_cbranch_execz .LBB1124_792
.LBB1124_858:                           ;   in Loop: Header=BB1124_682 Depth=2
	global_load_b64 v[6:7], v[36:37], off offset:3584
	s_wait_alu 0xfffe
	s_or_b32 exec_lo, exec_lo, s42
	s_delay_alu instid0(SALU_CYCLE_1)
	s_mov_b32 s42, exec_lo
	v_cmpx_lt_u32_e64 v142, v162
	s_cbranch_execz .LBB1124_793
.LBB1124_859:                           ;   in Loop: Header=BB1124_682 Depth=2
	global_load_b64 v[4:5], v[36:37], off offset:3840
	s_wait_alu 0xfffe
	s_or_b32 exec_lo, exec_lo, s42
	s_and_saveexec_b32 s42, vcc_lo
	s_cbranch_execz .LBB1124_794
.LBB1124_860:                           ;   in Loop: Header=BB1124_682 Depth=2
	ds_load_b64 v[36:37], v108 offset:1024
	s_wait_dscnt 0x0
	v_cmp_ne_u64_e64 s30, s[34:35], v[36:37]
	s_wait_alu 0xf1ff
	s_delay_alu instid0(VALU_DEP_1) | instskip(SKIP_1) | instid1(VALU_DEP_1)
	v_cndmask_b32_e64 v37, 0x7fffffff, v37, s30
	v_cndmask_b32_e64 v36, -1, v36, s30
	v_lshrrev_b64 v[36:37], s31, v[36:37]
	s_delay_alu instid0(VALU_DEP_1)
	v_and_b32_e32 v161, s56, v36
	s_wait_alu 0xfffe
	s_or_b32 exec_lo, exec_lo, s42
	s_and_saveexec_b32 s42, s15
	s_cbranch_execz .LBB1124_795
.LBB1124_861:                           ;   in Loop: Header=BB1124_682 Depth=2
	ds_load_b64 v[36:37], v108 offset:3072
	s_wait_dscnt 0x0
	v_cmp_ne_u64_e64 s30, s[34:35], v[36:37]
	s_wait_alu 0xf1ff
	s_delay_alu instid0(VALU_DEP_1) | instskip(SKIP_1) | instid1(VALU_DEP_1)
	v_cndmask_b32_e64 v37, 0x7fffffff, v37, s30
	v_cndmask_b32_e64 v36, -1, v36, s30
	v_lshrrev_b64 v[36:37], s31, v[36:37]
	s_delay_alu instid0(VALU_DEP_1)
	v_and_b32_e32 v160, s56, v36
	s_wait_alu 0xfffe
	s_or_b32 exec_lo, exec_lo, s42
	s_and_saveexec_b32 s42, s16
	s_cbranch_execz .LBB1124_796
.LBB1124_862:                           ;   in Loop: Header=BB1124_682 Depth=2
	ds_load_b64 v[36:37], v108 offset:5120
	s_wait_dscnt 0x0
	v_cmp_ne_u64_e64 s30, s[34:35], v[36:37]
	s_wait_alu 0xf1ff
	s_delay_alu instid0(VALU_DEP_1) | instskip(SKIP_1) | instid1(VALU_DEP_1)
	v_cndmask_b32_e64 v37, 0x7fffffff, v37, s30
	v_cndmask_b32_e64 v36, -1, v36, s30
	v_lshrrev_b64 v[36:37], s31, v[36:37]
	s_delay_alu instid0(VALU_DEP_1)
	v_and_b32_e32 v159, s56, v36
	s_wait_alu 0xfffe
	s_or_b32 exec_lo, exec_lo, s42
	s_and_saveexec_b32 s42, s17
	s_cbranch_execz .LBB1124_797
.LBB1124_863:                           ;   in Loop: Header=BB1124_682 Depth=2
	ds_load_b64 v[36:37], v108 offset:7168
	s_wait_dscnt 0x0
	v_cmp_ne_u64_e64 s30, s[34:35], v[36:37]
	s_wait_alu 0xf1ff
	s_delay_alu instid0(VALU_DEP_1) | instskip(SKIP_1) | instid1(VALU_DEP_1)
	v_cndmask_b32_e64 v37, 0x7fffffff, v37, s30
	v_cndmask_b32_e64 v36, -1, v36, s30
	v_lshrrev_b64 v[36:37], s31, v[36:37]
	s_delay_alu instid0(VALU_DEP_1)
	v_and_b32_e32 v158, s56, v36
	s_wait_alu 0xfffe
	s_or_b32 exec_lo, exec_lo, s42
	s_and_saveexec_b32 s42, s18
	s_cbranch_execz .LBB1124_798
.LBB1124_864:                           ;   in Loop: Header=BB1124_682 Depth=2
	ds_load_b64 v[36:37], v108 offset:9216
	s_wait_dscnt 0x0
	v_cmp_ne_u64_e64 s30, s[34:35], v[36:37]
	s_wait_alu 0xf1ff
	s_delay_alu instid0(VALU_DEP_1) | instskip(SKIP_1) | instid1(VALU_DEP_1)
	v_cndmask_b32_e64 v37, 0x7fffffff, v37, s30
	v_cndmask_b32_e64 v36, -1, v36, s30
	v_lshrrev_b64 v[36:37], s31, v[36:37]
	s_delay_alu instid0(VALU_DEP_1)
	v_and_b32_e32 v157, s56, v36
	s_wait_alu 0xfffe
	s_or_b32 exec_lo, exec_lo, s42
	s_and_saveexec_b32 s42, s19
	s_cbranch_execz .LBB1124_799
.LBB1124_865:                           ;   in Loop: Header=BB1124_682 Depth=2
	ds_load_b64 v[36:37], v108 offset:11264
	s_wait_dscnt 0x0
	v_cmp_ne_u64_e64 s30, s[34:35], v[36:37]
	s_wait_alu 0xf1ff
	s_delay_alu instid0(VALU_DEP_1) | instskip(SKIP_1) | instid1(VALU_DEP_1)
	v_cndmask_b32_e64 v37, 0x7fffffff, v37, s30
	v_cndmask_b32_e64 v36, -1, v36, s30
	v_lshrrev_b64 v[36:37], s31, v[36:37]
	s_delay_alu instid0(VALU_DEP_1)
	v_and_b32_e32 v156, s56, v36
	s_wait_alu 0xfffe
	s_or_b32 exec_lo, exec_lo, s42
	s_and_saveexec_b32 s42, s20
	s_cbranch_execz .LBB1124_800
.LBB1124_866:                           ;   in Loop: Header=BB1124_682 Depth=2
	ds_load_b64 v[36:37], v108 offset:13312
	s_wait_dscnt 0x0
	v_cmp_ne_u64_e64 s30, s[34:35], v[36:37]
	s_wait_alu 0xf1ff
	s_delay_alu instid0(VALU_DEP_1) | instskip(SKIP_1) | instid1(VALU_DEP_1)
	v_cndmask_b32_e64 v37, 0x7fffffff, v37, s30
	v_cndmask_b32_e64 v36, -1, v36, s30
	v_lshrrev_b64 v[36:37], s31, v[36:37]
	s_delay_alu instid0(VALU_DEP_1)
	v_and_b32_e32 v155, s56, v36
	s_wait_alu 0xfffe
	s_or_b32 exec_lo, exec_lo, s42
	s_and_saveexec_b32 s42, s21
	s_cbranch_execz .LBB1124_801
.LBB1124_867:                           ;   in Loop: Header=BB1124_682 Depth=2
	ds_load_b64 v[36:37], v108 offset:15360
	s_wait_dscnt 0x0
	v_cmp_ne_u64_e64 s30, s[34:35], v[36:37]
	s_wait_alu 0xf1ff
	s_delay_alu instid0(VALU_DEP_1) | instskip(SKIP_1) | instid1(VALU_DEP_1)
	v_cndmask_b32_e64 v37, 0x7fffffff, v37, s30
	v_cndmask_b32_e64 v36, -1, v36, s30
	v_lshrrev_b64 v[36:37], s31, v[36:37]
	s_delay_alu instid0(VALU_DEP_1)
	v_and_b32_e32 v154, s56, v36
	s_wait_alu 0xfffe
	s_or_b32 exec_lo, exec_lo, s42
	s_and_saveexec_b32 s42, s22
	s_cbranch_execz .LBB1124_802
.LBB1124_868:                           ;   in Loop: Header=BB1124_682 Depth=2
	ds_load_b64 v[36:37], v108 offset:17408
	s_wait_dscnt 0x0
	v_cmp_ne_u64_e64 s30, s[34:35], v[36:37]
	s_wait_alu 0xf1ff
	s_delay_alu instid0(VALU_DEP_1) | instskip(SKIP_1) | instid1(VALU_DEP_1)
	v_cndmask_b32_e64 v37, 0x7fffffff, v37, s30
	v_cndmask_b32_e64 v36, -1, v36, s30
	v_lshrrev_b64 v[36:37], s31, v[36:37]
	s_delay_alu instid0(VALU_DEP_1)
	v_and_b32_e32 v153, s56, v36
	s_wait_alu 0xfffe
	s_or_b32 exec_lo, exec_lo, s42
	s_and_saveexec_b32 s42, s23
	s_cbranch_execz .LBB1124_803
.LBB1124_869:                           ;   in Loop: Header=BB1124_682 Depth=2
	ds_load_b64 v[36:37], v108 offset:19456
	s_wait_dscnt 0x0
	v_cmp_ne_u64_e64 s30, s[34:35], v[36:37]
	s_wait_alu 0xf1ff
	s_delay_alu instid0(VALU_DEP_1) | instskip(SKIP_1) | instid1(VALU_DEP_1)
	v_cndmask_b32_e64 v37, 0x7fffffff, v37, s30
	v_cndmask_b32_e64 v36, -1, v36, s30
	v_lshrrev_b64 v[36:37], s31, v[36:37]
	s_delay_alu instid0(VALU_DEP_1)
	v_and_b32_e32 v152, s56, v36
	s_wait_alu 0xfffe
	s_or_b32 exec_lo, exec_lo, s42
	s_and_saveexec_b32 s42, s24
	s_cbranch_execz .LBB1124_804
.LBB1124_870:                           ;   in Loop: Header=BB1124_682 Depth=2
	ds_load_b64 v[36:37], v108 offset:21504
	s_wait_dscnt 0x0
	v_cmp_ne_u64_e64 s30, s[34:35], v[36:37]
	s_wait_alu 0xf1ff
	s_delay_alu instid0(VALU_DEP_1) | instskip(SKIP_1) | instid1(VALU_DEP_1)
	v_cndmask_b32_e64 v37, 0x7fffffff, v37, s30
	v_cndmask_b32_e64 v36, -1, v36, s30
	v_lshrrev_b64 v[36:37], s31, v[36:37]
	s_delay_alu instid0(VALU_DEP_1)
	v_and_b32_e32 v151, s56, v36
	s_wait_alu 0xfffe
	s_or_b32 exec_lo, exec_lo, s42
	s_and_saveexec_b32 s42, s25
	s_cbranch_execz .LBB1124_805
.LBB1124_871:                           ;   in Loop: Header=BB1124_682 Depth=2
	ds_load_b64 v[36:37], v108 offset:23552
	s_wait_dscnt 0x0
	v_cmp_ne_u64_e64 s30, s[34:35], v[36:37]
	s_wait_alu 0xf1ff
	s_delay_alu instid0(VALU_DEP_1) | instskip(SKIP_1) | instid1(VALU_DEP_1)
	v_cndmask_b32_e64 v37, 0x7fffffff, v37, s30
	v_cndmask_b32_e64 v36, -1, v36, s30
	v_lshrrev_b64 v[36:37], s31, v[36:37]
	s_delay_alu instid0(VALU_DEP_1)
	v_and_b32_e32 v150, s56, v36
	s_wait_alu 0xfffe
	s_or_b32 exec_lo, exec_lo, s42
	s_and_saveexec_b32 s42, s26
	s_cbranch_execz .LBB1124_806
.LBB1124_872:                           ;   in Loop: Header=BB1124_682 Depth=2
	ds_load_b64 v[36:37], v108 offset:25600
	s_wait_dscnt 0x0
	v_cmp_ne_u64_e64 s30, s[34:35], v[36:37]
	s_wait_alu 0xf1ff
	s_delay_alu instid0(VALU_DEP_1) | instskip(SKIP_1) | instid1(VALU_DEP_1)
	v_cndmask_b32_e64 v37, 0x7fffffff, v37, s30
	v_cndmask_b32_e64 v36, -1, v36, s30
	v_lshrrev_b64 v[36:37], s31, v[36:37]
	s_delay_alu instid0(VALU_DEP_1)
	v_and_b32_e32 v149, s56, v36
	s_wait_alu 0xfffe
	s_or_b32 exec_lo, exec_lo, s42
	s_and_saveexec_b32 s42, s27
	s_cbranch_execz .LBB1124_807
.LBB1124_873:                           ;   in Loop: Header=BB1124_682 Depth=2
	ds_load_b64 v[36:37], v108 offset:27648
	s_wait_dscnt 0x0
	v_cmp_ne_u64_e64 s30, s[34:35], v[36:37]
	s_wait_alu 0xf1ff
	s_delay_alu instid0(VALU_DEP_1) | instskip(SKIP_1) | instid1(VALU_DEP_1)
	v_cndmask_b32_e64 v37, 0x7fffffff, v37, s30
	v_cndmask_b32_e64 v36, -1, v36, s30
	v_lshrrev_b64 v[36:37], s31, v[36:37]
	s_delay_alu instid0(VALU_DEP_1)
	v_and_b32_e32 v148, s56, v36
	s_wait_alu 0xfffe
	s_or_b32 exec_lo, exec_lo, s42
	s_and_saveexec_b32 s42, s28
	s_cbranch_execz .LBB1124_808
.LBB1124_874:                           ;   in Loop: Header=BB1124_682 Depth=2
	ds_load_b64 v[36:37], v108 offset:29696
	s_wait_dscnt 0x0
	v_cmp_ne_u64_e64 s30, s[34:35], v[36:37]
	s_wait_alu 0xf1ff
	s_delay_alu instid0(VALU_DEP_1) | instskip(SKIP_1) | instid1(VALU_DEP_1)
	v_cndmask_b32_e64 v37, 0x7fffffff, v37, s30
	v_cndmask_b32_e64 v36, -1, v36, s30
	v_lshrrev_b64 v[36:37], s31, v[36:37]
	s_delay_alu instid0(VALU_DEP_1)
	v_and_b32_e32 v147, s56, v36
	s_wait_alu 0xfffe
	s_or_b32 exec_lo, exec_lo, s42
	s_and_saveexec_b32 s42, s29
	s_cbranch_execnz .LBB1124_809
	s_branch .LBB1124_810
.LBB1124_875:                           ;   in Loop: Header=BB1124_682 Depth=2
	v_lshlrev_b32_e32 v2, 2, v161
	ds_load_b32 v2, v2
	ds_load_b64 v[36:37], v108 offset:1024
	s_wait_dscnt 0x1
	v_add_nc_u32_e32 v2, v2, v1
	s_delay_alu instid0(VALU_DEP_1) | instskip(NEXT) | instid1(VALU_DEP_1)
	v_lshlrev_b64_e32 v[38:39], 3, v[2:3]
	v_add_co_u32 v38, vcc_lo, s44, v38
	s_wait_alu 0xfffd
	s_delay_alu instid0(VALU_DEP_2)
	v_add_co_ci_u32_e64 v39, null, s45, v39, vcc_lo
	s_wait_dscnt 0x0
	global_store_b64 v[38:39], v[36:37], off
	s_wait_alu 0xfffe
	s_or_b32 exec_lo, exec_lo, s30
	s_and_saveexec_b32 s30, s15
	s_cbranch_execz .LBB1124_812
.LBB1124_876:                           ;   in Loop: Header=BB1124_682 Depth=2
	v_lshlrev_b32_e32 v2, 2, v160
	ds_load_b32 v2, v2
	ds_load_b64 v[36:37], v108 offset:3072
	s_wait_dscnt 0x1
	v_add_nc_u32_e32 v2, v2, v77
	s_delay_alu instid0(VALU_DEP_1) | instskip(NEXT) | instid1(VALU_DEP_1)
	v_lshlrev_b64_e32 v[38:39], 3, v[2:3]
	v_add_co_u32 v38, vcc_lo, s44, v38
	s_wait_alu 0xfffd
	s_delay_alu instid0(VALU_DEP_2)
	v_add_co_ci_u32_e64 v39, null, s45, v39, vcc_lo
	s_wait_dscnt 0x0
	global_store_b64 v[38:39], v[36:37], off
	s_wait_alu 0xfffe
	s_or_b32 exec_lo, exec_lo, s30
	s_and_saveexec_b32 s15, s16
	s_cbranch_execz .LBB1124_813
.LBB1124_877:                           ;   in Loop: Header=BB1124_682 Depth=2
	v_lshlrev_b32_e32 v2, 2, v159
	ds_load_b32 v2, v2
	ds_load_b64 v[36:37], v108 offset:5120
	s_wait_dscnt 0x1
	v_add_nc_u32_e32 v2, v2, v78
	s_delay_alu instid0(VALU_DEP_1) | instskip(NEXT) | instid1(VALU_DEP_1)
	v_lshlrev_b64_e32 v[38:39], 3, v[2:3]
	v_add_co_u32 v38, vcc_lo, s44, v38
	s_wait_alu 0xfffd
	s_delay_alu instid0(VALU_DEP_2)
	v_add_co_ci_u32_e64 v39, null, s45, v39, vcc_lo
	s_wait_dscnt 0x0
	global_store_b64 v[38:39], v[36:37], off
	s_wait_alu 0xfffe
	s_or_b32 exec_lo, exec_lo, s15
	s_and_saveexec_b32 s15, s17
	s_cbranch_execz .LBB1124_814
.LBB1124_878:                           ;   in Loop: Header=BB1124_682 Depth=2
	v_lshlrev_b32_e32 v2, 2, v158
	ds_load_b32 v2, v2
	ds_load_b64 v[36:37], v108 offset:7168
	s_wait_dscnt 0x1
	v_add_nc_u32_e32 v2, v2, v79
	s_delay_alu instid0(VALU_DEP_1) | instskip(NEXT) | instid1(VALU_DEP_1)
	v_lshlrev_b64_e32 v[38:39], 3, v[2:3]
	v_add_co_u32 v38, vcc_lo, s44, v38
	s_wait_alu 0xfffd
	s_delay_alu instid0(VALU_DEP_2)
	v_add_co_ci_u32_e64 v39, null, s45, v39, vcc_lo
	s_wait_dscnt 0x0
	global_store_b64 v[38:39], v[36:37], off
	s_wait_alu 0xfffe
	s_or_b32 exec_lo, exec_lo, s15
	s_and_saveexec_b32 s15, s18
	s_cbranch_execz .LBB1124_815
.LBB1124_879:                           ;   in Loop: Header=BB1124_682 Depth=2
	v_lshlrev_b32_e32 v2, 2, v157
	ds_load_b32 v2, v2
	ds_load_b64 v[36:37], v108 offset:9216
	s_wait_dscnt 0x1
	v_add_nc_u32_e32 v2, v2, v82
	s_delay_alu instid0(VALU_DEP_1) | instskip(NEXT) | instid1(VALU_DEP_1)
	v_lshlrev_b64_e32 v[38:39], 3, v[2:3]
	v_add_co_u32 v38, vcc_lo, s44, v38
	s_wait_alu 0xfffd
	s_delay_alu instid0(VALU_DEP_2)
	v_add_co_ci_u32_e64 v39, null, s45, v39, vcc_lo
	s_wait_dscnt 0x0
	global_store_b64 v[38:39], v[36:37], off
	s_wait_alu 0xfffe
	s_or_b32 exec_lo, exec_lo, s15
	s_and_saveexec_b32 s15, s19
	s_cbranch_execz .LBB1124_816
.LBB1124_880:                           ;   in Loop: Header=BB1124_682 Depth=2
	v_lshlrev_b32_e32 v2, 2, v156
	ds_load_b32 v2, v2
	ds_load_b64 v[36:37], v108 offset:11264
	s_wait_dscnt 0x1
	v_add_nc_u32_e32 v2, v2, v83
	s_delay_alu instid0(VALU_DEP_1) | instskip(NEXT) | instid1(VALU_DEP_1)
	v_lshlrev_b64_e32 v[38:39], 3, v[2:3]
	v_add_co_u32 v38, vcc_lo, s44, v38
	s_wait_alu 0xfffd
	s_delay_alu instid0(VALU_DEP_2)
	v_add_co_ci_u32_e64 v39, null, s45, v39, vcc_lo
	s_wait_dscnt 0x0
	global_store_b64 v[38:39], v[36:37], off
	s_wait_alu 0xfffe
	s_or_b32 exec_lo, exec_lo, s15
	s_and_saveexec_b32 s15, s20
	s_cbranch_execz .LBB1124_817
.LBB1124_881:                           ;   in Loop: Header=BB1124_682 Depth=2
	v_lshlrev_b32_e32 v2, 2, v155
	ds_load_b32 v2, v2
	ds_load_b64 v[36:37], v108 offset:13312
	s_wait_dscnt 0x1
	v_add_nc_u32_e32 v2, v2, v84
	s_delay_alu instid0(VALU_DEP_1) | instskip(NEXT) | instid1(VALU_DEP_1)
	v_lshlrev_b64_e32 v[38:39], 3, v[2:3]
	v_add_co_u32 v38, vcc_lo, s44, v38
	s_wait_alu 0xfffd
	s_delay_alu instid0(VALU_DEP_2)
	v_add_co_ci_u32_e64 v39, null, s45, v39, vcc_lo
	s_wait_dscnt 0x0
	global_store_b64 v[38:39], v[36:37], off
	s_wait_alu 0xfffe
	s_or_b32 exec_lo, exec_lo, s15
	s_and_saveexec_b32 s15, s21
	s_cbranch_execz .LBB1124_818
.LBB1124_882:                           ;   in Loop: Header=BB1124_682 Depth=2
	v_lshlrev_b32_e32 v2, 2, v154
	ds_load_b32 v2, v2
	ds_load_b64 v[36:37], v108 offset:15360
	s_wait_dscnt 0x1
	v_add_nc_u32_e32 v2, v2, v85
	s_delay_alu instid0(VALU_DEP_1) | instskip(NEXT) | instid1(VALU_DEP_1)
	v_lshlrev_b64_e32 v[38:39], 3, v[2:3]
	v_add_co_u32 v38, vcc_lo, s44, v38
	s_wait_alu 0xfffd
	s_delay_alu instid0(VALU_DEP_2)
	v_add_co_ci_u32_e64 v39, null, s45, v39, vcc_lo
	s_wait_dscnt 0x0
	global_store_b64 v[38:39], v[36:37], off
	s_wait_alu 0xfffe
	s_or_b32 exec_lo, exec_lo, s15
	s_and_saveexec_b32 s15, s22
	s_cbranch_execz .LBB1124_819
.LBB1124_883:                           ;   in Loop: Header=BB1124_682 Depth=2
	v_lshlrev_b32_e32 v2, 2, v153
	ds_load_b32 v2, v2
	ds_load_b64 v[36:37], v108 offset:17408
	s_wait_dscnt 0x1
	v_add_nc_u32_e32 v2, v2, v86
	s_delay_alu instid0(VALU_DEP_1) | instskip(NEXT) | instid1(VALU_DEP_1)
	v_lshlrev_b64_e32 v[38:39], 3, v[2:3]
	v_add_co_u32 v38, vcc_lo, s44, v38
	s_wait_alu 0xfffd
	s_delay_alu instid0(VALU_DEP_2)
	v_add_co_ci_u32_e64 v39, null, s45, v39, vcc_lo
	s_wait_dscnt 0x0
	global_store_b64 v[38:39], v[36:37], off
	s_wait_alu 0xfffe
	s_or_b32 exec_lo, exec_lo, s15
	s_and_saveexec_b32 s15, s23
	s_cbranch_execz .LBB1124_820
.LBB1124_884:                           ;   in Loop: Header=BB1124_682 Depth=2
	v_lshlrev_b32_e32 v2, 2, v152
	ds_load_b32 v2, v2
	ds_load_b64 v[36:37], v108 offset:19456
	s_wait_dscnt 0x1
	v_add_nc_u32_e32 v2, v2, v87
	s_delay_alu instid0(VALU_DEP_1) | instskip(NEXT) | instid1(VALU_DEP_1)
	v_lshlrev_b64_e32 v[38:39], 3, v[2:3]
	v_add_co_u32 v38, vcc_lo, s44, v38
	s_wait_alu 0xfffd
	s_delay_alu instid0(VALU_DEP_2)
	v_add_co_ci_u32_e64 v39, null, s45, v39, vcc_lo
	s_wait_dscnt 0x0
	global_store_b64 v[38:39], v[36:37], off
	s_wait_alu 0xfffe
	s_or_b32 exec_lo, exec_lo, s15
	s_and_saveexec_b32 s15, s24
	s_cbranch_execz .LBB1124_821
.LBB1124_885:                           ;   in Loop: Header=BB1124_682 Depth=2
	v_lshlrev_b32_e32 v2, 2, v151
	ds_load_b32 v2, v2
	ds_load_b64 v[36:37], v108 offset:21504
	s_wait_dscnt 0x1
	v_add_nc_u32_e32 v2, v2, v88
	s_delay_alu instid0(VALU_DEP_1) | instskip(NEXT) | instid1(VALU_DEP_1)
	v_lshlrev_b64_e32 v[38:39], 3, v[2:3]
	v_add_co_u32 v38, vcc_lo, s44, v38
	s_wait_alu 0xfffd
	s_delay_alu instid0(VALU_DEP_2)
	v_add_co_ci_u32_e64 v39, null, s45, v39, vcc_lo
	s_wait_dscnt 0x0
	global_store_b64 v[38:39], v[36:37], off
	s_wait_alu 0xfffe
	s_or_b32 exec_lo, exec_lo, s15
	s_and_saveexec_b32 s15, s25
	s_cbranch_execz .LBB1124_822
.LBB1124_886:                           ;   in Loop: Header=BB1124_682 Depth=2
	v_lshlrev_b32_e32 v2, 2, v150
	ds_load_b32 v2, v2
	ds_load_b64 v[36:37], v108 offset:23552
	s_wait_dscnt 0x1
	v_add_nc_u32_e32 v2, v2, v89
	s_delay_alu instid0(VALU_DEP_1) | instskip(NEXT) | instid1(VALU_DEP_1)
	v_lshlrev_b64_e32 v[38:39], 3, v[2:3]
	v_add_co_u32 v38, vcc_lo, s44, v38
	s_wait_alu 0xfffd
	s_delay_alu instid0(VALU_DEP_2)
	v_add_co_ci_u32_e64 v39, null, s45, v39, vcc_lo
	s_wait_dscnt 0x0
	global_store_b64 v[38:39], v[36:37], off
	s_wait_alu 0xfffe
	s_or_b32 exec_lo, exec_lo, s15
	s_and_saveexec_b32 s15, s26
	s_cbranch_execz .LBB1124_823
.LBB1124_887:                           ;   in Loop: Header=BB1124_682 Depth=2
	v_lshlrev_b32_e32 v2, 2, v149
	ds_load_b32 v2, v2
	ds_load_b64 v[36:37], v108 offset:25600
	s_wait_dscnt 0x1
	v_add_nc_u32_e32 v2, v2, v90
	s_delay_alu instid0(VALU_DEP_1) | instskip(NEXT) | instid1(VALU_DEP_1)
	v_lshlrev_b64_e32 v[38:39], 3, v[2:3]
	v_add_co_u32 v38, vcc_lo, s44, v38
	s_wait_alu 0xfffd
	s_delay_alu instid0(VALU_DEP_2)
	v_add_co_ci_u32_e64 v39, null, s45, v39, vcc_lo
	s_wait_dscnt 0x0
	global_store_b64 v[38:39], v[36:37], off
	s_wait_alu 0xfffe
	s_or_b32 exec_lo, exec_lo, s15
	s_and_saveexec_b32 s15, s27
	s_cbranch_execz .LBB1124_824
.LBB1124_888:                           ;   in Loop: Header=BB1124_682 Depth=2
	v_lshlrev_b32_e32 v2, 2, v148
	ds_load_b32 v2, v2
	ds_load_b64 v[36:37], v108 offset:27648
	s_wait_dscnt 0x1
	v_add_nc_u32_e32 v2, v2, v91
	s_delay_alu instid0(VALU_DEP_1) | instskip(NEXT) | instid1(VALU_DEP_1)
	v_lshlrev_b64_e32 v[38:39], 3, v[2:3]
	v_add_co_u32 v38, vcc_lo, s44, v38
	s_wait_alu 0xfffd
	s_delay_alu instid0(VALU_DEP_2)
	v_add_co_ci_u32_e64 v39, null, s45, v39, vcc_lo
	s_wait_dscnt 0x0
	global_store_b64 v[38:39], v[36:37], off
	s_wait_alu 0xfffe
	s_or_b32 exec_lo, exec_lo, s15
	s_and_saveexec_b32 s15, s28
	s_cbranch_execz .LBB1124_825
.LBB1124_889:                           ;   in Loop: Header=BB1124_682 Depth=2
	v_lshlrev_b32_e32 v2, 2, v147
	ds_load_b32 v2, v2
	ds_load_b64 v[36:37], v108 offset:29696
	s_wait_dscnt 0x1
	v_add_nc_u32_e32 v2, v2, v92
	s_delay_alu instid0(VALU_DEP_1) | instskip(NEXT) | instid1(VALU_DEP_1)
	v_lshlrev_b64_e32 v[38:39], 3, v[2:3]
	v_add_co_u32 v38, vcc_lo, s44, v38
	s_wait_alu 0xfffd
	s_delay_alu instid0(VALU_DEP_2)
	v_add_co_ci_u32_e64 v39, null, s45, v39, vcc_lo
	s_wait_dscnt 0x0
	global_store_b64 v[38:39], v[36:37], off
	s_wait_alu 0xfffe
	s_or_b32 exec_lo, exec_lo, s15
	s_and_saveexec_b32 s15, s29
	s_cbranch_execnz .LBB1124_826
	s_branch .LBB1124_827
.LBB1124_890:                           ;   in Loop: Header=BB1124_12 Depth=1
	s_wait_loadcnt_dscnt 0x0
	s_barrier_signal -1
	s_mov_b32 s6, 0
	s_barrier_wait -1
.LBB1124_891:                           ;   in Loop: Header=BB1124_12 Depth=1
	s_wait_alu 0xfffe
	s_and_b32 vcc_lo, exec_lo, s6
	s_wait_alu 0xfffe
	s_cbranch_vccz .LBB1124_11
; %bb.892:                              ;   in Loop: Header=BB1124_12 Depth=1
	s_mov_b32 s8, s55
	s_mov_b32 s6, s33
	s_barrier_signal -1
	s_barrier_wait -1
	global_inv scope:SCOPE_SE
                                        ; implicit-def: $vgpr4_vgpr5
                                        ; implicit-def: $vgpr6_vgpr7
                                        ; implicit-def: $vgpr8_vgpr9
                                        ; implicit-def: $vgpr10_vgpr11
                                        ; implicit-def: $vgpr12_vgpr13
                                        ; implicit-def: $vgpr14_vgpr15
                                        ; implicit-def: $vgpr16_vgpr17
                                        ; implicit-def: $vgpr18_vgpr19
                                        ; implicit-def: $vgpr20_vgpr21
                                        ; implicit-def: $vgpr22_vgpr23
                                        ; implicit-def: $vgpr24_vgpr25
                                        ; implicit-def: $vgpr26_vgpr27
                                        ; implicit-def: $vgpr28_vgpr29
                                        ; implicit-def: $vgpr30_vgpr31
                                        ; implicit-def: $vgpr32_vgpr33
                                        ; implicit-def: $vgpr34_vgpr35
	s_branch .LBB1124_894
.LBB1124_893:                           ;   in Loop: Header=BB1124_894 Depth=2
	s_wait_alu 0xfffe
	s_or_b32 exec_lo, exec_lo, s6
	s_addk_co_i32 s8, 0xf000
	s_cmp_ge_u32 s9, s51
	s_mov_b32 s6, s9
	s_cbranch_scc1 .LBB1124_962
.LBB1124_894:                           ;   Parent Loop BB1124_12 Depth=1
                                        ; =>  This Inner Loop Header: Depth=2
	s_wait_alu 0xfffe
	s_add_co_i32 s9, s6, 0x1000
	s_mov_b32 s7, -1
	s_wait_alu 0xfffe
	s_cmp_gt_u32 s9, s51
                                        ; implicit-def: $vgpr36_vgpr37
                                        ; implicit-def: $vgpr38_vgpr39
                                        ; implicit-def: $vgpr40_vgpr41
                                        ; implicit-def: $vgpr42_vgpr43
                                        ; implicit-def: $vgpr44_vgpr45
                                        ; implicit-def: $vgpr46_vgpr47
                                        ; implicit-def: $vgpr48_vgpr49
                                        ; implicit-def: $vgpr50_vgpr51
                                        ; implicit-def: $vgpr52_vgpr53
                                        ; implicit-def: $vgpr54_vgpr55
                                        ; implicit-def: $vgpr56_vgpr57
                                        ; implicit-def: $vgpr58_vgpr59
                                        ; implicit-def: $vgpr60_vgpr61
                                        ; implicit-def: $vgpr62_vgpr63
                                        ; implicit-def: $vgpr64_vgpr65
                                        ; implicit-def: $vgpr66_vgpr67
	s_cbranch_scc1 .LBB1124_896
; %bb.895:                              ;   in Loop: Header=BB1124_894 Depth=2
	s_mov_b32 s7, s34
	s_wait_alu 0xfffe
	s_lshl_b64 s[10:11], s[6:7], 3
	s_mov_b32 s7, 0
	s_wait_alu 0xfffe
	v_add_co_u32 v66, vcc_lo, v115, s10
	s_wait_alu 0xfffd
	v_add_co_ci_u32_e64 v67, null, s11, v116, vcc_lo
	s_clause 0xf
	global_load_b64 v[36:37], v[66:67], off
	global_load_b64 v[38:39], v[66:67], off offset:2048
	global_load_b64 v[40:41], v[66:67], off offset:4096
	;; [unrolled: 1-line block ×15, first 2 shown]
.LBB1124_896:                           ;   in Loop: Header=BB1124_894 Depth=2
	s_and_not1_b32 vcc_lo, exec_lo, s7
	s_movk_i32 s7, 0x1000
	s_wait_alu 0xfffe
	s_cbranch_vccnz .LBB1124_915
; %bb.897:                              ;   in Loop: Header=BB1124_894 Depth=2
	s_mov_b32 s7, s34
	s_mov_b32 s10, exec_lo
	s_wait_alu 0xfffe
	s_lshl_b64 s[6:7], s[6:7], 3
	s_wait_alu 0xfffe
	s_add_nc_u64 s[6:7], s[36:37], s[6:7]
	v_cmpx_gt_u32_e64 s8, v1
	s_cbranch_execnz .LBB1124_947
; %bb.898:                              ;   in Loop: Header=BB1124_894 Depth=2
	s_or_b32 exec_lo, exec_lo, s10
	s_delay_alu instid0(SALU_CYCLE_1)
	s_mov_b32 s10, exec_lo
	v_cmpx_gt_u32_e64 s8, v77
	s_cbranch_execnz .LBB1124_948
.LBB1124_899:                           ;   in Loop: Header=BB1124_894 Depth=2
	s_wait_alu 0xfffe
	s_or_b32 exec_lo, exec_lo, s10
	s_delay_alu instid0(SALU_CYCLE_1)
	s_mov_b32 s10, exec_lo
	v_cmpx_gt_u32_e64 s8, v78
	s_cbranch_execnz .LBB1124_949
.LBB1124_900:                           ;   in Loop: Header=BB1124_894 Depth=2
	s_wait_alu 0xfffe
	s_or_b32 exec_lo, exec_lo, s10
	s_delay_alu instid0(SALU_CYCLE_1)
	s_mov_b32 s10, exec_lo
	v_cmpx_gt_u32_e64 s8, v79
	s_cbranch_execnz .LBB1124_950
.LBB1124_901:                           ;   in Loop: Header=BB1124_894 Depth=2
	s_wait_alu 0xfffe
	s_or_b32 exec_lo, exec_lo, s10
	s_delay_alu instid0(SALU_CYCLE_1)
	s_mov_b32 s10, exec_lo
	v_cmpx_gt_u32_e64 s8, v82
	s_cbranch_execnz .LBB1124_951
.LBB1124_902:                           ;   in Loop: Header=BB1124_894 Depth=2
	s_wait_alu 0xfffe
	s_or_b32 exec_lo, exec_lo, s10
	s_delay_alu instid0(SALU_CYCLE_1)
	s_mov_b32 s10, exec_lo
	v_cmpx_gt_u32_e64 s8, v83
	s_cbranch_execnz .LBB1124_952
.LBB1124_903:                           ;   in Loop: Header=BB1124_894 Depth=2
	s_wait_alu 0xfffe
	s_or_b32 exec_lo, exec_lo, s10
	s_delay_alu instid0(SALU_CYCLE_1)
	s_mov_b32 s10, exec_lo
	v_cmpx_gt_u32_e64 s8, v84
	s_cbranch_execnz .LBB1124_953
.LBB1124_904:                           ;   in Loop: Header=BB1124_894 Depth=2
	s_wait_alu 0xfffe
	s_or_b32 exec_lo, exec_lo, s10
	s_delay_alu instid0(SALU_CYCLE_1)
	s_mov_b32 s10, exec_lo
	v_cmpx_gt_u32_e64 s8, v85
	s_cbranch_execnz .LBB1124_954
.LBB1124_905:                           ;   in Loop: Header=BB1124_894 Depth=2
	s_wait_alu 0xfffe
	s_or_b32 exec_lo, exec_lo, s10
	s_delay_alu instid0(SALU_CYCLE_1)
	s_mov_b32 s10, exec_lo
	v_cmpx_gt_u32_e64 s8, v86
	s_cbranch_execnz .LBB1124_955
.LBB1124_906:                           ;   in Loop: Header=BB1124_894 Depth=2
	s_wait_alu 0xfffe
	s_or_b32 exec_lo, exec_lo, s10
	s_delay_alu instid0(SALU_CYCLE_1)
	s_mov_b32 s10, exec_lo
	v_cmpx_gt_u32_e64 s8, v87
	s_cbranch_execnz .LBB1124_956
.LBB1124_907:                           ;   in Loop: Header=BB1124_894 Depth=2
	s_wait_alu 0xfffe
	s_or_b32 exec_lo, exec_lo, s10
	s_delay_alu instid0(SALU_CYCLE_1)
	s_mov_b32 s10, exec_lo
	v_cmpx_gt_u32_e64 s8, v88
	s_cbranch_execnz .LBB1124_957
.LBB1124_908:                           ;   in Loop: Header=BB1124_894 Depth=2
	s_wait_alu 0xfffe
	s_or_b32 exec_lo, exec_lo, s10
	s_delay_alu instid0(SALU_CYCLE_1)
	s_mov_b32 s10, exec_lo
	v_cmpx_gt_u32_e64 s8, v89
	s_cbranch_execnz .LBB1124_958
.LBB1124_909:                           ;   in Loop: Header=BB1124_894 Depth=2
	s_wait_alu 0xfffe
	s_or_b32 exec_lo, exec_lo, s10
	s_delay_alu instid0(SALU_CYCLE_1)
	s_mov_b32 s10, exec_lo
	v_cmpx_gt_u32_e64 s8, v90
	s_cbranch_execnz .LBB1124_959
.LBB1124_910:                           ;   in Loop: Header=BB1124_894 Depth=2
	s_wait_alu 0xfffe
	s_or_b32 exec_lo, exec_lo, s10
	s_delay_alu instid0(SALU_CYCLE_1)
	s_mov_b32 s10, exec_lo
	v_cmpx_gt_u32_e64 s8, v91
	s_cbranch_execnz .LBB1124_960
.LBB1124_911:                           ;   in Loop: Header=BB1124_894 Depth=2
	s_wait_alu 0xfffe
	s_or_b32 exec_lo, exec_lo, s10
	s_delay_alu instid0(SALU_CYCLE_1)
	s_mov_b32 s10, exec_lo
	v_cmpx_gt_u32_e64 s8, v92
	s_cbranch_execnz .LBB1124_961
.LBB1124_912:                           ;   in Loop: Header=BB1124_894 Depth=2
	s_wait_alu 0xfffe
	s_or_b32 exec_lo, exec_lo, s10
	s_delay_alu instid0(SALU_CYCLE_1)
	s_mov_b32 s10, exec_lo
	v_cmpx_gt_u32_e64 s8, v93
	s_cbranch_execz .LBB1124_914
.LBB1124_913:                           ;   in Loop: Header=BB1124_894 Depth=2
	global_load_b64 v[4:5], v122, s[6:7] offset:30720
.LBB1124_914:                           ;   in Loop: Header=BB1124_894 Depth=2
	s_wait_alu 0xfffe
	s_or_b32 exec_lo, exec_lo, s10
	s_wait_loadcnt 0x0
	v_dual_mov_b32 v37, v35 :: v_dual_mov_b32 v36, v34
	v_dual_mov_b32 v39, v33 :: v_dual_mov_b32 v38, v32
	;; [unrolled: 1-line block ×16, first 2 shown]
	s_mov_b32 s7, s8
.LBB1124_915:                           ;   in Loop: Header=BB1124_894 Depth=2
	s_wait_loadcnt 0x0
	s_delay_alu instid0(VALU_DEP_1)
	v_dual_mov_b32 v4, v66 :: v_dual_mov_b32 v5, v67
	v_dual_mov_b32 v6, v64 :: v_dual_mov_b32 v7, v65
	v_dual_mov_b32 v8, v62 :: v_dual_mov_b32 v9, v63
	v_dual_mov_b32 v10, v60 :: v_dual_mov_b32 v11, v61
	v_dual_mov_b32 v12, v58 :: v_dual_mov_b32 v13, v59
	v_dual_mov_b32 v14, v56 :: v_dual_mov_b32 v15, v57
	v_dual_mov_b32 v16, v54 :: v_dual_mov_b32 v17, v55
	v_dual_mov_b32 v18, v52 :: v_dual_mov_b32 v19, v53
	v_dual_mov_b32 v20, v50 :: v_dual_mov_b32 v21, v51
	v_dual_mov_b32 v22, v48 :: v_dual_mov_b32 v23, v49
	v_dual_mov_b32 v24, v46 :: v_dual_mov_b32 v25, v47
	v_dual_mov_b32 v26, v44 :: v_dual_mov_b32 v27, v45
	v_dual_mov_b32 v28, v42 :: v_dual_mov_b32 v29, v43
	v_dual_mov_b32 v30, v40 :: v_dual_mov_b32 v31, v41
	v_dual_mov_b32 v32, v38 :: v_dual_mov_b32 v33, v39
	v_dual_mov_b32 v34, v36 :: v_dual_mov_b32 v35, v37
	s_mov_b32 s6, exec_lo
	s_wait_alu 0xfffe
	v_cmpx_gt_u32_e64 s7, v1
	s_cbranch_execnz .LBB1124_931
; %bb.916:                              ;   in Loop: Header=BB1124_894 Depth=2
	s_or_b32 exec_lo, exec_lo, s6
	s_delay_alu instid0(SALU_CYCLE_1)
	s_mov_b32 s6, exec_lo
	v_cmpx_gt_u32_e64 s7, v77
	s_cbranch_execnz .LBB1124_932
.LBB1124_917:                           ;   in Loop: Header=BB1124_894 Depth=2
	s_wait_alu 0xfffe
	s_or_b32 exec_lo, exec_lo, s6
	s_delay_alu instid0(SALU_CYCLE_1)
	s_mov_b32 s6, exec_lo
	v_cmpx_gt_u32_e64 s7, v78
	s_cbranch_execnz .LBB1124_933
.LBB1124_918:                           ;   in Loop: Header=BB1124_894 Depth=2
	s_wait_alu 0xfffe
	s_or_b32 exec_lo, exec_lo, s6
	s_delay_alu instid0(SALU_CYCLE_1)
	s_mov_b32 s6, exec_lo
	v_cmpx_gt_u32_e64 s7, v79
	s_cbranch_execnz .LBB1124_934
.LBB1124_919:                           ;   in Loop: Header=BB1124_894 Depth=2
	s_wait_alu 0xfffe
	s_or_b32 exec_lo, exec_lo, s6
	s_delay_alu instid0(SALU_CYCLE_1)
	s_mov_b32 s6, exec_lo
	v_cmpx_gt_u32_e64 s7, v82
	s_cbranch_execnz .LBB1124_935
.LBB1124_920:                           ;   in Loop: Header=BB1124_894 Depth=2
	s_wait_alu 0xfffe
	s_or_b32 exec_lo, exec_lo, s6
	s_delay_alu instid0(SALU_CYCLE_1)
	s_mov_b32 s6, exec_lo
	v_cmpx_gt_u32_e64 s7, v83
	s_cbranch_execnz .LBB1124_936
.LBB1124_921:                           ;   in Loop: Header=BB1124_894 Depth=2
	s_wait_alu 0xfffe
	s_or_b32 exec_lo, exec_lo, s6
	s_delay_alu instid0(SALU_CYCLE_1)
	s_mov_b32 s6, exec_lo
	v_cmpx_gt_u32_e64 s7, v84
	s_cbranch_execnz .LBB1124_937
.LBB1124_922:                           ;   in Loop: Header=BB1124_894 Depth=2
	s_wait_alu 0xfffe
	s_or_b32 exec_lo, exec_lo, s6
	s_delay_alu instid0(SALU_CYCLE_1)
	s_mov_b32 s6, exec_lo
	v_cmpx_gt_u32_e64 s7, v85
	s_cbranch_execnz .LBB1124_938
.LBB1124_923:                           ;   in Loop: Header=BB1124_894 Depth=2
	s_wait_alu 0xfffe
	s_or_b32 exec_lo, exec_lo, s6
	s_delay_alu instid0(SALU_CYCLE_1)
	s_mov_b32 s6, exec_lo
	v_cmpx_gt_u32_e64 s7, v86
	s_cbranch_execnz .LBB1124_939
.LBB1124_924:                           ;   in Loop: Header=BB1124_894 Depth=2
	s_wait_alu 0xfffe
	s_or_b32 exec_lo, exec_lo, s6
	s_delay_alu instid0(SALU_CYCLE_1)
	s_mov_b32 s6, exec_lo
	v_cmpx_gt_u32_e64 s7, v87
	s_cbranch_execnz .LBB1124_940
.LBB1124_925:                           ;   in Loop: Header=BB1124_894 Depth=2
	s_wait_alu 0xfffe
	s_or_b32 exec_lo, exec_lo, s6
	s_delay_alu instid0(SALU_CYCLE_1)
	s_mov_b32 s6, exec_lo
	v_cmpx_gt_u32_e64 s7, v88
	s_cbranch_execnz .LBB1124_941
.LBB1124_926:                           ;   in Loop: Header=BB1124_894 Depth=2
	s_wait_alu 0xfffe
	s_or_b32 exec_lo, exec_lo, s6
	s_delay_alu instid0(SALU_CYCLE_1)
	s_mov_b32 s6, exec_lo
	v_cmpx_gt_u32_e64 s7, v89
	s_cbranch_execnz .LBB1124_942
.LBB1124_927:                           ;   in Loop: Header=BB1124_894 Depth=2
	s_wait_alu 0xfffe
	s_or_b32 exec_lo, exec_lo, s6
	s_delay_alu instid0(SALU_CYCLE_1)
	s_mov_b32 s6, exec_lo
	v_cmpx_gt_u32_e64 s7, v90
	s_cbranch_execnz .LBB1124_943
.LBB1124_928:                           ;   in Loop: Header=BB1124_894 Depth=2
	s_wait_alu 0xfffe
	s_or_b32 exec_lo, exec_lo, s6
	s_delay_alu instid0(SALU_CYCLE_1)
	s_mov_b32 s6, exec_lo
	v_cmpx_gt_u32_e64 s7, v91
	s_cbranch_execnz .LBB1124_944
.LBB1124_929:                           ;   in Loop: Header=BB1124_894 Depth=2
	s_wait_alu 0xfffe
	s_or_b32 exec_lo, exec_lo, s6
	s_delay_alu instid0(SALU_CYCLE_1)
	s_mov_b32 s6, exec_lo
	v_cmpx_gt_u32_e64 s7, v92
	s_cbranch_execnz .LBB1124_945
.LBB1124_930:                           ;   in Loop: Header=BB1124_894 Depth=2
	s_wait_alu 0xfffe
	s_or_b32 exec_lo, exec_lo, s6
	s_delay_alu instid0(SALU_CYCLE_1)
	s_mov_b32 s6, exec_lo
	v_cmpx_gt_u32_e64 s7, v93
	s_cbranch_execz .LBB1124_893
	s_branch .LBB1124_946
.LBB1124_931:                           ;   in Loop: Header=BB1124_894 Depth=2
	v_cmp_gt_i64_e32 vcc_lo, 0, v[34:35]
	v_ashrrev_i32_e32 v2, 31, v35
	s_delay_alu instid0(VALU_DEP_1) | instskip(SKIP_2) | instid1(VALU_DEP_1)
	v_not_b32_e32 v2, v2
	s_wait_alu 0xfffd
	v_cndmask_b32_e64 v36, 0x7fffffff, 0, vcc_lo
	v_xor_b32_e32 v37, v36, v35
	s_delay_alu instid0(VALU_DEP_3) | instskip(NEXT) | instid1(VALU_DEP_1)
	v_xor_b32_e32 v36, v2, v34
	v_cmp_ne_u64_e32 vcc_lo, s[34:35], v[36:37]
	s_wait_alu 0xfffd
	v_cndmask_b32_e32 v37, 0x7fffffff, v37, vcc_lo
	v_cndmask_b32_e32 v36, -1, v36, vcc_lo
	s_delay_alu instid0(VALU_DEP_1) | instskip(NEXT) | instid1(VALU_DEP_1)
	v_lshrrev_b64 v[36:37], s31, v[36:37]
	v_and_b32_e32 v2, s56, v36
	s_delay_alu instid0(VALU_DEP_1) | instskip(SKIP_2) | instid1(SALU_CYCLE_1)
	v_lshl_or_b32 v2, v2, 4, v94
	ds_add_u32 v2, v121
	s_or_b32 exec_lo, exec_lo, s6
	s_mov_b32 s6, exec_lo
	v_cmpx_gt_u32_e64 s7, v77
	s_cbranch_execz .LBB1124_917
.LBB1124_932:                           ;   in Loop: Header=BB1124_894 Depth=2
	v_cmp_gt_i64_e32 vcc_lo, 0, v[32:33]
	v_ashrrev_i32_e32 v2, 31, v33
	s_delay_alu instid0(VALU_DEP_1) | instskip(SKIP_2) | instid1(VALU_DEP_1)
	v_not_b32_e32 v2, v2
	s_wait_alu 0xfffd
	v_cndmask_b32_e64 v36, 0x7fffffff, 0, vcc_lo
	v_xor_b32_e32 v37, v36, v33
	s_delay_alu instid0(VALU_DEP_3) | instskip(NEXT) | instid1(VALU_DEP_1)
	v_xor_b32_e32 v36, v2, v32
	v_cmp_ne_u64_e32 vcc_lo, s[34:35], v[36:37]
	s_wait_alu 0xfffd
	v_cndmask_b32_e32 v37, 0x7fffffff, v37, vcc_lo
	v_cndmask_b32_e32 v36, -1, v36, vcc_lo
	s_delay_alu instid0(VALU_DEP_1) | instskip(NEXT) | instid1(VALU_DEP_1)
	v_lshrrev_b64 v[36:37], s31, v[36:37]
	v_and_b32_e32 v2, s56, v36
	s_delay_alu instid0(VALU_DEP_1) | instskip(SKIP_3) | instid1(SALU_CYCLE_1)
	v_lshl_or_b32 v2, v2, 4, v94
	ds_add_u32 v2, v121
	s_wait_alu 0xfffe
	s_or_b32 exec_lo, exec_lo, s6
	s_mov_b32 s6, exec_lo
	v_cmpx_gt_u32_e64 s7, v78
	s_cbranch_execz .LBB1124_918
.LBB1124_933:                           ;   in Loop: Header=BB1124_894 Depth=2
	v_cmp_gt_i64_e32 vcc_lo, 0, v[30:31]
	v_ashrrev_i32_e32 v2, 31, v31
	s_delay_alu instid0(VALU_DEP_1) | instskip(SKIP_2) | instid1(VALU_DEP_1)
	v_not_b32_e32 v2, v2
	s_wait_alu 0xfffd
	v_cndmask_b32_e64 v36, 0x7fffffff, 0, vcc_lo
	v_xor_b32_e32 v37, v36, v31
	s_delay_alu instid0(VALU_DEP_3) | instskip(NEXT) | instid1(VALU_DEP_1)
	v_xor_b32_e32 v36, v2, v30
	v_cmp_ne_u64_e32 vcc_lo, s[34:35], v[36:37]
	s_wait_alu 0xfffd
	v_cndmask_b32_e32 v37, 0x7fffffff, v37, vcc_lo
	v_cndmask_b32_e32 v36, -1, v36, vcc_lo
	s_delay_alu instid0(VALU_DEP_1) | instskip(NEXT) | instid1(VALU_DEP_1)
	v_lshrrev_b64 v[36:37], s31, v[36:37]
	v_and_b32_e32 v2, s56, v36
	s_delay_alu instid0(VALU_DEP_1) | instskip(SKIP_3) | instid1(SALU_CYCLE_1)
	v_lshl_or_b32 v2, v2, 4, v94
	ds_add_u32 v2, v121
	s_wait_alu 0xfffe
	s_or_b32 exec_lo, exec_lo, s6
	s_mov_b32 s6, exec_lo
	v_cmpx_gt_u32_e64 s7, v79
	s_cbranch_execz .LBB1124_919
.LBB1124_934:                           ;   in Loop: Header=BB1124_894 Depth=2
	v_cmp_gt_i64_e32 vcc_lo, 0, v[28:29]
	v_ashrrev_i32_e32 v2, 31, v29
	s_delay_alu instid0(VALU_DEP_1) | instskip(SKIP_2) | instid1(VALU_DEP_1)
	v_not_b32_e32 v2, v2
	s_wait_alu 0xfffd
	v_cndmask_b32_e64 v36, 0x7fffffff, 0, vcc_lo
	v_xor_b32_e32 v37, v36, v29
	s_delay_alu instid0(VALU_DEP_3) | instskip(NEXT) | instid1(VALU_DEP_1)
	v_xor_b32_e32 v36, v2, v28
	v_cmp_ne_u64_e32 vcc_lo, s[34:35], v[36:37]
	s_wait_alu 0xfffd
	v_cndmask_b32_e32 v37, 0x7fffffff, v37, vcc_lo
	v_cndmask_b32_e32 v36, -1, v36, vcc_lo
	s_delay_alu instid0(VALU_DEP_1) | instskip(NEXT) | instid1(VALU_DEP_1)
	v_lshrrev_b64 v[36:37], s31, v[36:37]
	v_and_b32_e32 v2, s56, v36
	s_delay_alu instid0(VALU_DEP_1) | instskip(SKIP_3) | instid1(SALU_CYCLE_1)
	v_lshl_or_b32 v2, v2, 4, v94
	ds_add_u32 v2, v121
	s_wait_alu 0xfffe
	s_or_b32 exec_lo, exec_lo, s6
	s_mov_b32 s6, exec_lo
	v_cmpx_gt_u32_e64 s7, v82
	s_cbranch_execz .LBB1124_920
.LBB1124_935:                           ;   in Loop: Header=BB1124_894 Depth=2
	v_cmp_gt_i64_e32 vcc_lo, 0, v[26:27]
	v_ashrrev_i32_e32 v2, 31, v27
	s_delay_alu instid0(VALU_DEP_1) | instskip(SKIP_2) | instid1(VALU_DEP_1)
	v_not_b32_e32 v2, v2
	s_wait_alu 0xfffd
	v_cndmask_b32_e64 v36, 0x7fffffff, 0, vcc_lo
	v_xor_b32_e32 v37, v36, v27
	s_delay_alu instid0(VALU_DEP_3) | instskip(NEXT) | instid1(VALU_DEP_1)
	v_xor_b32_e32 v36, v2, v26
	v_cmp_ne_u64_e32 vcc_lo, s[34:35], v[36:37]
	s_wait_alu 0xfffd
	v_cndmask_b32_e32 v37, 0x7fffffff, v37, vcc_lo
	v_cndmask_b32_e32 v36, -1, v36, vcc_lo
	s_delay_alu instid0(VALU_DEP_1) | instskip(NEXT) | instid1(VALU_DEP_1)
	v_lshrrev_b64 v[36:37], s31, v[36:37]
	v_and_b32_e32 v2, s56, v36
	s_delay_alu instid0(VALU_DEP_1) | instskip(SKIP_3) | instid1(SALU_CYCLE_1)
	v_lshl_or_b32 v2, v2, 4, v94
	ds_add_u32 v2, v121
	s_wait_alu 0xfffe
	s_or_b32 exec_lo, exec_lo, s6
	s_mov_b32 s6, exec_lo
	v_cmpx_gt_u32_e64 s7, v83
	s_cbranch_execz .LBB1124_921
.LBB1124_936:                           ;   in Loop: Header=BB1124_894 Depth=2
	v_cmp_gt_i64_e32 vcc_lo, 0, v[24:25]
	v_ashrrev_i32_e32 v2, 31, v25
	s_delay_alu instid0(VALU_DEP_1) | instskip(SKIP_2) | instid1(VALU_DEP_1)
	v_not_b32_e32 v2, v2
	s_wait_alu 0xfffd
	v_cndmask_b32_e64 v36, 0x7fffffff, 0, vcc_lo
	v_xor_b32_e32 v37, v36, v25
	s_delay_alu instid0(VALU_DEP_3) | instskip(NEXT) | instid1(VALU_DEP_1)
	v_xor_b32_e32 v36, v2, v24
	v_cmp_ne_u64_e32 vcc_lo, s[34:35], v[36:37]
	s_wait_alu 0xfffd
	v_cndmask_b32_e32 v37, 0x7fffffff, v37, vcc_lo
	v_cndmask_b32_e32 v36, -1, v36, vcc_lo
	s_delay_alu instid0(VALU_DEP_1) | instskip(NEXT) | instid1(VALU_DEP_1)
	v_lshrrev_b64 v[36:37], s31, v[36:37]
	v_and_b32_e32 v2, s56, v36
	s_delay_alu instid0(VALU_DEP_1) | instskip(SKIP_3) | instid1(SALU_CYCLE_1)
	v_lshl_or_b32 v2, v2, 4, v94
	ds_add_u32 v2, v121
	s_wait_alu 0xfffe
	s_or_b32 exec_lo, exec_lo, s6
	s_mov_b32 s6, exec_lo
	v_cmpx_gt_u32_e64 s7, v84
	s_cbranch_execz .LBB1124_922
.LBB1124_937:                           ;   in Loop: Header=BB1124_894 Depth=2
	v_cmp_gt_i64_e32 vcc_lo, 0, v[22:23]
	v_ashrrev_i32_e32 v2, 31, v23
	s_delay_alu instid0(VALU_DEP_1) | instskip(SKIP_2) | instid1(VALU_DEP_1)
	v_not_b32_e32 v2, v2
	s_wait_alu 0xfffd
	v_cndmask_b32_e64 v36, 0x7fffffff, 0, vcc_lo
	v_xor_b32_e32 v37, v36, v23
	s_delay_alu instid0(VALU_DEP_3) | instskip(NEXT) | instid1(VALU_DEP_1)
	v_xor_b32_e32 v36, v2, v22
	v_cmp_ne_u64_e32 vcc_lo, s[34:35], v[36:37]
	s_wait_alu 0xfffd
	v_cndmask_b32_e32 v37, 0x7fffffff, v37, vcc_lo
	v_cndmask_b32_e32 v36, -1, v36, vcc_lo
	s_delay_alu instid0(VALU_DEP_1) | instskip(NEXT) | instid1(VALU_DEP_1)
	v_lshrrev_b64 v[36:37], s31, v[36:37]
	v_and_b32_e32 v2, s56, v36
	s_delay_alu instid0(VALU_DEP_1) | instskip(SKIP_3) | instid1(SALU_CYCLE_1)
	v_lshl_or_b32 v2, v2, 4, v94
	ds_add_u32 v2, v121
	s_wait_alu 0xfffe
	s_or_b32 exec_lo, exec_lo, s6
	s_mov_b32 s6, exec_lo
	v_cmpx_gt_u32_e64 s7, v85
	s_cbranch_execz .LBB1124_923
.LBB1124_938:                           ;   in Loop: Header=BB1124_894 Depth=2
	v_cmp_gt_i64_e32 vcc_lo, 0, v[20:21]
	v_ashrrev_i32_e32 v2, 31, v21
	s_delay_alu instid0(VALU_DEP_1) | instskip(SKIP_2) | instid1(VALU_DEP_1)
	v_not_b32_e32 v2, v2
	s_wait_alu 0xfffd
	v_cndmask_b32_e64 v36, 0x7fffffff, 0, vcc_lo
	v_xor_b32_e32 v37, v36, v21
	s_delay_alu instid0(VALU_DEP_3) | instskip(NEXT) | instid1(VALU_DEP_1)
	v_xor_b32_e32 v36, v2, v20
	v_cmp_ne_u64_e32 vcc_lo, s[34:35], v[36:37]
	s_wait_alu 0xfffd
	v_cndmask_b32_e32 v37, 0x7fffffff, v37, vcc_lo
	v_cndmask_b32_e32 v36, -1, v36, vcc_lo
	s_delay_alu instid0(VALU_DEP_1) | instskip(NEXT) | instid1(VALU_DEP_1)
	v_lshrrev_b64 v[36:37], s31, v[36:37]
	v_and_b32_e32 v2, s56, v36
	s_delay_alu instid0(VALU_DEP_1) | instskip(SKIP_3) | instid1(SALU_CYCLE_1)
	v_lshl_or_b32 v2, v2, 4, v94
	ds_add_u32 v2, v121
	s_wait_alu 0xfffe
	s_or_b32 exec_lo, exec_lo, s6
	s_mov_b32 s6, exec_lo
	v_cmpx_gt_u32_e64 s7, v86
	s_cbranch_execz .LBB1124_924
.LBB1124_939:                           ;   in Loop: Header=BB1124_894 Depth=2
	v_cmp_gt_i64_e32 vcc_lo, 0, v[18:19]
	v_ashrrev_i32_e32 v2, 31, v19
	s_delay_alu instid0(VALU_DEP_1) | instskip(SKIP_2) | instid1(VALU_DEP_1)
	v_not_b32_e32 v2, v2
	s_wait_alu 0xfffd
	v_cndmask_b32_e64 v36, 0x7fffffff, 0, vcc_lo
	v_xor_b32_e32 v37, v36, v19
	s_delay_alu instid0(VALU_DEP_3) | instskip(NEXT) | instid1(VALU_DEP_1)
	v_xor_b32_e32 v36, v2, v18
	v_cmp_ne_u64_e32 vcc_lo, s[34:35], v[36:37]
	s_wait_alu 0xfffd
	v_cndmask_b32_e32 v37, 0x7fffffff, v37, vcc_lo
	v_cndmask_b32_e32 v36, -1, v36, vcc_lo
	s_delay_alu instid0(VALU_DEP_1) | instskip(NEXT) | instid1(VALU_DEP_1)
	v_lshrrev_b64 v[36:37], s31, v[36:37]
	v_and_b32_e32 v2, s56, v36
	s_delay_alu instid0(VALU_DEP_1) | instskip(SKIP_3) | instid1(SALU_CYCLE_1)
	v_lshl_or_b32 v2, v2, 4, v94
	ds_add_u32 v2, v121
	s_wait_alu 0xfffe
	s_or_b32 exec_lo, exec_lo, s6
	s_mov_b32 s6, exec_lo
	v_cmpx_gt_u32_e64 s7, v87
	s_cbranch_execz .LBB1124_925
.LBB1124_940:                           ;   in Loop: Header=BB1124_894 Depth=2
	v_cmp_gt_i64_e32 vcc_lo, 0, v[16:17]
	v_ashrrev_i32_e32 v2, 31, v17
	s_delay_alu instid0(VALU_DEP_1) | instskip(SKIP_2) | instid1(VALU_DEP_1)
	v_not_b32_e32 v2, v2
	s_wait_alu 0xfffd
	v_cndmask_b32_e64 v36, 0x7fffffff, 0, vcc_lo
	v_xor_b32_e32 v37, v36, v17
	s_delay_alu instid0(VALU_DEP_3) | instskip(NEXT) | instid1(VALU_DEP_1)
	v_xor_b32_e32 v36, v2, v16
	v_cmp_ne_u64_e32 vcc_lo, s[34:35], v[36:37]
	s_wait_alu 0xfffd
	v_cndmask_b32_e32 v37, 0x7fffffff, v37, vcc_lo
	v_cndmask_b32_e32 v36, -1, v36, vcc_lo
	s_delay_alu instid0(VALU_DEP_1) | instskip(NEXT) | instid1(VALU_DEP_1)
	v_lshrrev_b64 v[36:37], s31, v[36:37]
	v_and_b32_e32 v2, s56, v36
	s_delay_alu instid0(VALU_DEP_1) | instskip(SKIP_3) | instid1(SALU_CYCLE_1)
	v_lshl_or_b32 v2, v2, 4, v94
	ds_add_u32 v2, v121
	s_wait_alu 0xfffe
	s_or_b32 exec_lo, exec_lo, s6
	s_mov_b32 s6, exec_lo
	v_cmpx_gt_u32_e64 s7, v88
	s_cbranch_execz .LBB1124_926
.LBB1124_941:                           ;   in Loop: Header=BB1124_894 Depth=2
	v_cmp_gt_i64_e32 vcc_lo, 0, v[14:15]
	v_ashrrev_i32_e32 v2, 31, v15
	s_delay_alu instid0(VALU_DEP_1) | instskip(SKIP_2) | instid1(VALU_DEP_1)
	v_not_b32_e32 v2, v2
	s_wait_alu 0xfffd
	v_cndmask_b32_e64 v36, 0x7fffffff, 0, vcc_lo
	v_xor_b32_e32 v37, v36, v15
	s_delay_alu instid0(VALU_DEP_3) | instskip(NEXT) | instid1(VALU_DEP_1)
	v_xor_b32_e32 v36, v2, v14
	v_cmp_ne_u64_e32 vcc_lo, s[34:35], v[36:37]
	s_wait_alu 0xfffd
	v_cndmask_b32_e32 v37, 0x7fffffff, v37, vcc_lo
	v_cndmask_b32_e32 v36, -1, v36, vcc_lo
	s_delay_alu instid0(VALU_DEP_1) | instskip(NEXT) | instid1(VALU_DEP_1)
	v_lshrrev_b64 v[36:37], s31, v[36:37]
	v_and_b32_e32 v2, s56, v36
	s_delay_alu instid0(VALU_DEP_1) | instskip(SKIP_3) | instid1(SALU_CYCLE_1)
	v_lshl_or_b32 v2, v2, 4, v94
	ds_add_u32 v2, v121
	s_wait_alu 0xfffe
	s_or_b32 exec_lo, exec_lo, s6
	s_mov_b32 s6, exec_lo
	v_cmpx_gt_u32_e64 s7, v89
	s_cbranch_execz .LBB1124_927
.LBB1124_942:                           ;   in Loop: Header=BB1124_894 Depth=2
	v_cmp_gt_i64_e32 vcc_lo, 0, v[12:13]
	v_ashrrev_i32_e32 v2, 31, v13
	s_delay_alu instid0(VALU_DEP_1) | instskip(SKIP_2) | instid1(VALU_DEP_1)
	v_not_b32_e32 v2, v2
	s_wait_alu 0xfffd
	v_cndmask_b32_e64 v36, 0x7fffffff, 0, vcc_lo
	v_xor_b32_e32 v37, v36, v13
	s_delay_alu instid0(VALU_DEP_3) | instskip(NEXT) | instid1(VALU_DEP_1)
	v_xor_b32_e32 v36, v2, v12
	v_cmp_ne_u64_e32 vcc_lo, s[34:35], v[36:37]
	s_wait_alu 0xfffd
	v_cndmask_b32_e32 v37, 0x7fffffff, v37, vcc_lo
	v_cndmask_b32_e32 v36, -1, v36, vcc_lo
	s_delay_alu instid0(VALU_DEP_1) | instskip(NEXT) | instid1(VALU_DEP_1)
	v_lshrrev_b64 v[36:37], s31, v[36:37]
	v_and_b32_e32 v2, s56, v36
	s_delay_alu instid0(VALU_DEP_1) | instskip(SKIP_3) | instid1(SALU_CYCLE_1)
	v_lshl_or_b32 v2, v2, 4, v94
	ds_add_u32 v2, v121
	s_wait_alu 0xfffe
	s_or_b32 exec_lo, exec_lo, s6
	s_mov_b32 s6, exec_lo
	v_cmpx_gt_u32_e64 s7, v90
	s_cbranch_execz .LBB1124_928
.LBB1124_943:                           ;   in Loop: Header=BB1124_894 Depth=2
	v_cmp_gt_i64_e32 vcc_lo, 0, v[10:11]
	v_ashrrev_i32_e32 v2, 31, v11
	s_delay_alu instid0(VALU_DEP_1) | instskip(SKIP_2) | instid1(VALU_DEP_1)
	v_not_b32_e32 v2, v2
	s_wait_alu 0xfffd
	v_cndmask_b32_e64 v36, 0x7fffffff, 0, vcc_lo
	v_xor_b32_e32 v37, v36, v11
	s_delay_alu instid0(VALU_DEP_3) | instskip(NEXT) | instid1(VALU_DEP_1)
	v_xor_b32_e32 v36, v2, v10
	v_cmp_ne_u64_e32 vcc_lo, s[34:35], v[36:37]
	s_wait_alu 0xfffd
	v_cndmask_b32_e32 v37, 0x7fffffff, v37, vcc_lo
	v_cndmask_b32_e32 v36, -1, v36, vcc_lo
	s_delay_alu instid0(VALU_DEP_1) | instskip(NEXT) | instid1(VALU_DEP_1)
	v_lshrrev_b64 v[36:37], s31, v[36:37]
	v_and_b32_e32 v2, s56, v36
	s_delay_alu instid0(VALU_DEP_1) | instskip(SKIP_3) | instid1(SALU_CYCLE_1)
	v_lshl_or_b32 v2, v2, 4, v94
	ds_add_u32 v2, v121
	s_wait_alu 0xfffe
	s_or_b32 exec_lo, exec_lo, s6
	s_mov_b32 s6, exec_lo
	v_cmpx_gt_u32_e64 s7, v91
	s_cbranch_execz .LBB1124_929
.LBB1124_944:                           ;   in Loop: Header=BB1124_894 Depth=2
	v_cmp_gt_i64_e32 vcc_lo, 0, v[8:9]
	v_ashrrev_i32_e32 v2, 31, v9
	s_delay_alu instid0(VALU_DEP_1) | instskip(SKIP_2) | instid1(VALU_DEP_1)
	v_not_b32_e32 v2, v2
	s_wait_alu 0xfffd
	v_cndmask_b32_e64 v36, 0x7fffffff, 0, vcc_lo
	v_xor_b32_e32 v37, v36, v9
	s_delay_alu instid0(VALU_DEP_3) | instskip(NEXT) | instid1(VALU_DEP_1)
	v_xor_b32_e32 v36, v2, v8
	v_cmp_ne_u64_e32 vcc_lo, s[34:35], v[36:37]
	s_wait_alu 0xfffd
	v_cndmask_b32_e32 v37, 0x7fffffff, v37, vcc_lo
	v_cndmask_b32_e32 v36, -1, v36, vcc_lo
	s_delay_alu instid0(VALU_DEP_1) | instskip(NEXT) | instid1(VALU_DEP_1)
	v_lshrrev_b64 v[36:37], s31, v[36:37]
	v_and_b32_e32 v2, s56, v36
	s_delay_alu instid0(VALU_DEP_1) | instskip(SKIP_3) | instid1(SALU_CYCLE_1)
	v_lshl_or_b32 v2, v2, 4, v94
	ds_add_u32 v2, v121
	s_wait_alu 0xfffe
	s_or_b32 exec_lo, exec_lo, s6
	s_mov_b32 s6, exec_lo
	v_cmpx_gt_u32_e64 s7, v92
	s_cbranch_execz .LBB1124_930
.LBB1124_945:                           ;   in Loop: Header=BB1124_894 Depth=2
	v_cmp_gt_i64_e32 vcc_lo, 0, v[6:7]
	v_ashrrev_i32_e32 v2, 31, v7
	s_delay_alu instid0(VALU_DEP_1) | instskip(SKIP_2) | instid1(VALU_DEP_1)
	v_not_b32_e32 v2, v2
	s_wait_alu 0xfffd
	v_cndmask_b32_e64 v36, 0x7fffffff, 0, vcc_lo
	v_xor_b32_e32 v37, v36, v7
	s_delay_alu instid0(VALU_DEP_3) | instskip(NEXT) | instid1(VALU_DEP_1)
	v_xor_b32_e32 v36, v2, v6
	v_cmp_ne_u64_e32 vcc_lo, s[34:35], v[36:37]
	s_wait_alu 0xfffd
	v_cndmask_b32_e32 v37, 0x7fffffff, v37, vcc_lo
	v_cndmask_b32_e32 v36, -1, v36, vcc_lo
	s_delay_alu instid0(VALU_DEP_1) | instskip(NEXT) | instid1(VALU_DEP_1)
	v_lshrrev_b64 v[36:37], s31, v[36:37]
	v_and_b32_e32 v2, s56, v36
	s_delay_alu instid0(VALU_DEP_1) | instskip(SKIP_3) | instid1(SALU_CYCLE_1)
	v_lshl_or_b32 v2, v2, 4, v94
	ds_add_u32 v2, v121
	s_wait_alu 0xfffe
	s_or_b32 exec_lo, exec_lo, s6
	s_mov_b32 s6, exec_lo
	v_cmpx_gt_u32_e64 s7, v93
	s_cbranch_execz .LBB1124_893
.LBB1124_946:                           ;   in Loop: Header=BB1124_894 Depth=2
	v_cmp_gt_i64_e32 vcc_lo, 0, v[4:5]
	v_ashrrev_i32_e32 v2, 31, v5
	s_delay_alu instid0(VALU_DEP_1) | instskip(SKIP_2) | instid1(VALU_DEP_1)
	v_not_b32_e32 v2, v2
	s_wait_alu 0xfffd
	v_cndmask_b32_e64 v36, 0x7fffffff, 0, vcc_lo
	v_xor_b32_e32 v37, v36, v5
	s_delay_alu instid0(VALU_DEP_3) | instskip(NEXT) | instid1(VALU_DEP_1)
	v_xor_b32_e32 v36, v2, v4
	v_cmp_ne_u64_e32 vcc_lo, s[34:35], v[36:37]
	s_wait_alu 0xfffd
	v_cndmask_b32_e32 v37, 0x7fffffff, v37, vcc_lo
	v_cndmask_b32_e32 v36, -1, v36, vcc_lo
	s_delay_alu instid0(VALU_DEP_1) | instskip(NEXT) | instid1(VALU_DEP_1)
	v_lshrrev_b64 v[36:37], s31, v[36:37]
	v_and_b32_e32 v2, s56, v36
	s_delay_alu instid0(VALU_DEP_1)
	v_lshl_or_b32 v2, v2, 4, v94
	ds_add_u32 v2, v121
	s_branch .LBB1124_893
.LBB1124_947:                           ;   in Loop: Header=BB1124_894 Depth=2
	global_load_b64 v[34:35], v122, s[6:7]
	s_or_b32 exec_lo, exec_lo, s10
	s_delay_alu instid0(SALU_CYCLE_1)
	s_mov_b32 s10, exec_lo
	v_cmpx_gt_u32_e64 s8, v77
	s_cbranch_execz .LBB1124_899
.LBB1124_948:                           ;   in Loop: Header=BB1124_894 Depth=2
	global_load_b64 v[32:33], v122, s[6:7] offset:2048
	s_wait_alu 0xfffe
	s_or_b32 exec_lo, exec_lo, s10
	s_delay_alu instid0(SALU_CYCLE_1)
	s_mov_b32 s10, exec_lo
	v_cmpx_gt_u32_e64 s8, v78
	s_cbranch_execz .LBB1124_900
.LBB1124_949:                           ;   in Loop: Header=BB1124_894 Depth=2
	global_load_b64 v[30:31], v122, s[6:7] offset:4096
	s_wait_alu 0xfffe
	s_or_b32 exec_lo, exec_lo, s10
	s_delay_alu instid0(SALU_CYCLE_1)
	s_mov_b32 s10, exec_lo
	v_cmpx_gt_u32_e64 s8, v79
	s_cbranch_execz .LBB1124_901
.LBB1124_950:                           ;   in Loop: Header=BB1124_894 Depth=2
	global_load_b64 v[28:29], v122, s[6:7] offset:6144
	s_wait_alu 0xfffe
	s_or_b32 exec_lo, exec_lo, s10
	s_delay_alu instid0(SALU_CYCLE_1)
	s_mov_b32 s10, exec_lo
	v_cmpx_gt_u32_e64 s8, v82
	s_cbranch_execz .LBB1124_902
.LBB1124_951:                           ;   in Loop: Header=BB1124_894 Depth=2
	global_load_b64 v[26:27], v122, s[6:7] offset:8192
	s_wait_alu 0xfffe
	s_or_b32 exec_lo, exec_lo, s10
	s_delay_alu instid0(SALU_CYCLE_1)
	s_mov_b32 s10, exec_lo
	v_cmpx_gt_u32_e64 s8, v83
	s_cbranch_execz .LBB1124_903
.LBB1124_952:                           ;   in Loop: Header=BB1124_894 Depth=2
	global_load_b64 v[24:25], v122, s[6:7] offset:10240
	s_wait_alu 0xfffe
	s_or_b32 exec_lo, exec_lo, s10
	s_delay_alu instid0(SALU_CYCLE_1)
	s_mov_b32 s10, exec_lo
	v_cmpx_gt_u32_e64 s8, v84
	s_cbranch_execz .LBB1124_904
.LBB1124_953:                           ;   in Loop: Header=BB1124_894 Depth=2
	global_load_b64 v[22:23], v122, s[6:7] offset:12288
	s_wait_alu 0xfffe
	s_or_b32 exec_lo, exec_lo, s10
	s_delay_alu instid0(SALU_CYCLE_1)
	s_mov_b32 s10, exec_lo
	v_cmpx_gt_u32_e64 s8, v85
	s_cbranch_execz .LBB1124_905
.LBB1124_954:                           ;   in Loop: Header=BB1124_894 Depth=2
	global_load_b64 v[20:21], v122, s[6:7] offset:14336
	s_wait_alu 0xfffe
	s_or_b32 exec_lo, exec_lo, s10
	s_delay_alu instid0(SALU_CYCLE_1)
	s_mov_b32 s10, exec_lo
	v_cmpx_gt_u32_e64 s8, v86
	s_cbranch_execz .LBB1124_906
.LBB1124_955:                           ;   in Loop: Header=BB1124_894 Depth=2
	global_load_b64 v[18:19], v122, s[6:7] offset:16384
	s_wait_alu 0xfffe
	s_or_b32 exec_lo, exec_lo, s10
	s_delay_alu instid0(SALU_CYCLE_1)
	s_mov_b32 s10, exec_lo
	v_cmpx_gt_u32_e64 s8, v87
	s_cbranch_execz .LBB1124_907
.LBB1124_956:                           ;   in Loop: Header=BB1124_894 Depth=2
	global_load_b64 v[16:17], v122, s[6:7] offset:18432
	s_wait_alu 0xfffe
	s_or_b32 exec_lo, exec_lo, s10
	s_delay_alu instid0(SALU_CYCLE_1)
	s_mov_b32 s10, exec_lo
	v_cmpx_gt_u32_e64 s8, v88
	s_cbranch_execz .LBB1124_908
.LBB1124_957:                           ;   in Loop: Header=BB1124_894 Depth=2
	global_load_b64 v[14:15], v122, s[6:7] offset:20480
	s_wait_alu 0xfffe
	s_or_b32 exec_lo, exec_lo, s10
	s_delay_alu instid0(SALU_CYCLE_1)
	s_mov_b32 s10, exec_lo
	v_cmpx_gt_u32_e64 s8, v89
	s_cbranch_execz .LBB1124_909
.LBB1124_958:                           ;   in Loop: Header=BB1124_894 Depth=2
	global_load_b64 v[12:13], v122, s[6:7] offset:22528
	s_wait_alu 0xfffe
	s_or_b32 exec_lo, exec_lo, s10
	s_delay_alu instid0(SALU_CYCLE_1)
	s_mov_b32 s10, exec_lo
	v_cmpx_gt_u32_e64 s8, v90
	s_cbranch_execz .LBB1124_910
.LBB1124_959:                           ;   in Loop: Header=BB1124_894 Depth=2
	global_load_b64 v[10:11], v122, s[6:7] offset:24576
	s_wait_alu 0xfffe
	s_or_b32 exec_lo, exec_lo, s10
	s_delay_alu instid0(SALU_CYCLE_1)
	s_mov_b32 s10, exec_lo
	v_cmpx_gt_u32_e64 s8, v91
	s_cbranch_execz .LBB1124_911
.LBB1124_960:                           ;   in Loop: Header=BB1124_894 Depth=2
	global_load_b64 v[8:9], v122, s[6:7] offset:26624
	s_wait_alu 0xfffe
	s_or_b32 exec_lo, exec_lo, s10
	s_delay_alu instid0(SALU_CYCLE_1)
	s_mov_b32 s10, exec_lo
	v_cmpx_gt_u32_e64 s8, v92
	s_cbranch_execz .LBB1124_912
.LBB1124_961:                           ;   in Loop: Header=BB1124_894 Depth=2
	global_load_b64 v[6:7], v122, s[6:7] offset:28672
	s_wait_alu 0xfffe
	s_or_b32 exec_lo, exec_lo, s10
	s_delay_alu instid0(SALU_CYCLE_1)
	s_mov_b32 s10, exec_lo
	v_cmpx_gt_u32_e64 s8, v93
	s_cbranch_execnz .LBB1124_913
	s_branch .LBB1124_914
.LBB1124_962:                           ;   in Loop: Header=BB1124_12 Depth=1
	v_mov_b32_e32 v2, 0
	s_wait_dscnt 0x0
	s_barrier_signal -1
	s_barrier_wait -1
	global_inv scope:SCOPE_SE
	s_and_saveexec_b32 s6, s2
	s_cbranch_execz .LBB1124_964
; %bb.963:                              ;   in Loop: Header=BB1124_12 Depth=1
	ds_load_2addr_b64 v[4:7], v96 offset1:1
	s_wait_dscnt 0x0
	v_add_nc_u32_e32 v2, v5, v4
	s_delay_alu instid0(VALU_DEP_1)
	v_add3_u32 v2, v2, v6, v7
.LBB1124_964:                           ;   in Loop: Header=BB1124_12 Depth=1
	s_wait_alu 0xfffe
	s_or_b32 exec_lo, exec_lo, s6
	v_and_b32_e32 v4, 15, v123
	s_delay_alu instid0(VALU_DEP_2) | instskip(SKIP_1) | instid1(VALU_DEP_3)
	v_mov_b32_dpp v5, v2 row_shr:1 row_mask:0xf bank_mask:0xf
	v_and_b32_e32 v6, 16, v123
	v_cmp_eq_u32_e64 s6, 0, v4
	v_cmp_lt_u32_e64 s7, 1, v4
	v_cmp_lt_u32_e64 s8, 3, v4
	;; [unrolled: 1-line block ×3, first 2 shown]
	v_cmp_eq_u32_e64 s10, 0, v6
	s_wait_alu 0xf1ff
	v_cndmask_b32_e64 v5, v5, 0, s6
	s_delay_alu instid0(VALU_DEP_1) | instskip(NEXT) | instid1(VALU_DEP_1)
	v_add_nc_u32_e32 v2, v5, v2
	v_mov_b32_dpp v5, v2 row_shr:2 row_mask:0xf bank_mask:0xf
	s_delay_alu instid0(VALU_DEP_1) | instskip(NEXT) | instid1(VALU_DEP_1)
	v_cndmask_b32_e64 v5, 0, v5, s7
	v_add_nc_u32_e32 v2, v2, v5
	s_delay_alu instid0(VALU_DEP_1) | instskip(NEXT) | instid1(VALU_DEP_1)
	v_mov_b32_dpp v5, v2 row_shr:4 row_mask:0xf bank_mask:0xf
	v_cndmask_b32_e64 v5, 0, v5, s8
	s_delay_alu instid0(VALU_DEP_1) | instskip(NEXT) | instid1(VALU_DEP_1)
	v_add_nc_u32_e32 v2, v2, v5
	v_mov_b32_dpp v5, v2 row_shr:8 row_mask:0xf bank_mask:0xf
	s_delay_alu instid0(VALU_DEP_1) | instskip(SKIP_1) | instid1(VALU_DEP_2)
	v_cndmask_b32_e64 v4, 0, v5, s9
	v_bfe_i32 v5, v123, 4, 1
	v_add_nc_u32_e32 v2, v2, v4
	ds_swizzle_b32 v4, v2 offset:swizzle(BROADCAST,32,15)
	s_wait_dscnt 0x0
	v_and_b32_e32 v4, v5, v4
	s_delay_alu instid0(VALU_DEP_1)
	v_add_nc_u32_e32 v4, v2, v4
	s_and_saveexec_b32 s11, s3
; %bb.965:                              ;   in Loop: Header=BB1124_12 Depth=1
	ds_store_b32 v97, v4
; %bb.966:                              ;   in Loop: Header=BB1124_12 Depth=1
	s_wait_alu 0xfffe
	s_or_b32 exec_lo, exec_lo, s11
	v_and_b32_e32 v2, 7, v123
	s_wait_loadcnt_dscnt 0x0
	s_barrier_signal -1
	s_barrier_wait -1
	global_inv scope:SCOPE_SE
	s_and_saveexec_b32 s11, s4
	s_cbranch_execz .LBB1124_968
; %bb.967:                              ;   in Loop: Header=BB1124_12 Depth=1
	ds_load_b32 v5, v98
	v_cmp_ne_u32_e32 vcc_lo, 0, v2
	s_wait_dscnt 0x0
	v_mov_b32_dpp v6, v5 row_shr:1 row_mask:0xf bank_mask:0xf
	s_wait_alu 0xfffd
	s_delay_alu instid0(VALU_DEP_1) | instskip(SKIP_1) | instid1(VALU_DEP_2)
	v_cndmask_b32_e32 v6, 0, v6, vcc_lo
	v_cmp_lt_u32_e32 vcc_lo, 1, v2
	v_add_nc_u32_e32 v5, v6, v5
	s_delay_alu instid0(VALU_DEP_1) | instskip(SKIP_1) | instid1(VALU_DEP_1)
	v_mov_b32_dpp v6, v5 row_shr:2 row_mask:0xf bank_mask:0xf
	s_wait_alu 0xfffd
	v_cndmask_b32_e32 v6, 0, v6, vcc_lo
	v_cmp_lt_u32_e32 vcc_lo, 3, v2
	s_delay_alu instid0(VALU_DEP_2) | instskip(NEXT) | instid1(VALU_DEP_1)
	v_add_nc_u32_e32 v5, v5, v6
	v_mov_b32_dpp v6, v5 row_shr:4 row_mask:0xf bank_mask:0xf
	s_wait_alu 0xfffd
	s_delay_alu instid0(VALU_DEP_1) | instskip(NEXT) | instid1(VALU_DEP_1)
	v_cndmask_b32_e32 v6, 0, v6, vcc_lo
	v_add_nc_u32_e32 v5, v5, v6
	ds_store_b32 v98, v5
.LBB1124_968:                           ;   in Loop: Header=BB1124_12 Depth=1
	s_wait_alu 0xfffe
	s_or_b32 exec_lo, exec_lo, s11
	v_mov_b32_e32 v5, 0
	s_wait_loadcnt_dscnt 0x0
	s_barrier_signal -1
	s_barrier_wait -1
	global_inv scope:SCOPE_SE
	s_and_saveexec_b32 s11, s5
; %bb.969:                              ;   in Loop: Header=BB1124_12 Depth=1
	ds_load_b32 v5, v99
; %bb.970:                              ;   in Loop: Header=BB1124_12 Depth=1
	s_wait_alu 0xfffe
	s_or_b32 exec_lo, exec_lo, s11
	v_sub_co_u32 v6, s11, v123, 1
	s_wait_dscnt 0x0
	v_add_nc_u32_e32 v4, v5, v4
	s_wait_loadcnt 0x0
	s_barrier_signal -1
	v_cmp_gt_i32_e32 vcc_lo, 0, v6
	s_barrier_wait -1
	global_inv scope:SCOPE_SE
	s_wait_alu 0xfffd
	v_cndmask_b32_e32 v6, v6, v123, vcc_lo
	s_delay_alu instid0(VALU_DEP_1)
	v_lshlrev_b32_e32 v124, 2, v6
	ds_bpermute_b32 v4, v124, v4
	s_and_saveexec_b32 s12, s2
	s_cbranch_execz .LBB1124_972
; %bb.971:                              ;   in Loop: Header=BB1124_12 Depth=1
	s_wait_dscnt 0x0
	v_cndmask_b32_e64 v4, v4, v5, s11
	s_delay_alu instid0(VALU_DEP_1)
	v_add_nc_u32_e32 v4, s33, v4
	ds_store_b32 v76, v4
.LBB1124_972:                           ;   in Loop: Header=BB1124_12 Depth=1
	s_wait_alu 0xfffe
	s_or_b32 exec_lo, exec_lo, s12
	s_load_b64 s[12:13], s[52:53], 0x0
	s_mov_b32 s15, s34
	v_lshlrev_b32_e32 v6, 3, v123
	v_or_b32_e32 v125, v123, v100
	s_mov_b32 s57, s55
	s_mov_b32 s42, s33
                                        ; implicit-def: $vgpr8_vgpr9
                                        ; implicit-def: $vgpr10_vgpr11
                                        ; implicit-def: $vgpr12_vgpr13
                                        ; implicit-def: $vgpr14_vgpr15
                                        ; implicit-def: $vgpr16_vgpr17
                                        ; implicit-def: $vgpr18_vgpr19
                                        ; implicit-def: $vgpr20_vgpr21
                                        ; implicit-def: $vgpr22_vgpr23
                                        ; implicit-def: $vgpr24_vgpr25
                                        ; implicit-def: $vgpr26_vgpr27
                                        ; implicit-def: $vgpr28_vgpr29
                                        ; implicit-def: $vgpr30_vgpr31
                                        ; implicit-def: $vgpr32_vgpr33
                                        ; implicit-def: $vgpr34_vgpr35
                                        ; implicit-def: $vgpr146
                                        ; implicit-def: $vgpr147
                                        ; implicit-def: $vgpr148
                                        ; implicit-def: $vgpr149
                                        ; implicit-def: $vgpr150
                                        ; implicit-def: $vgpr151
                                        ; implicit-def: $vgpr152
                                        ; implicit-def: $vgpr153
                                        ; implicit-def: $vgpr154
                                        ; implicit-def: $vgpr155
                                        ; implicit-def: $vgpr156
                                        ; implicit-def: $vgpr157
                                        ; implicit-def: $vgpr158
                                        ; implicit-def: $vgpr159
                                        ; implicit-def: $vgpr160
                                        ; implicit-def: $vgpr161
	s_delay_alu instid0(VALU_DEP_2)
	v_add_co_u32 v126, vcc_lo, v117, v6
	s_wait_alu 0xfffd
	v_add_co_ci_u32_e64 v127, null, 0, v118, vcc_lo
	v_add_co_u32 v143, vcc_lo, v119, v6
	v_or_b32_e32 v128, 32, v125
	v_or_b32_e32 v129, 64, v125
	;; [unrolled: 1-line block ×7, first 2 shown]
	s_wait_kmcnt 0x0
	s_cmp_lt_u32 ttmp7, s13
	s_mov_b32 s13, s34
	s_cselect_b32 s14, 14, 20
	s_cmp_lt_u32 ttmp9, s12
	s_wait_alu 0xfffe
	s_add_nc_u64 s[14:15], s[52:53], s[14:15]
	s_cselect_b32 s12, 12, 18
	s_load_u16 s15, s[14:15], 0x0
	s_add_nc_u64 s[12:13], s[52:53], s[12:13]
	v_or_b32_e32 v135, 0x100, v125
	s_load_u16 s16, s[12:13], 0x0
	v_cmp_eq_u32_e64 s12, 0, v2
	v_cmp_lt_u32_e64 s13, 1, v2
	v_cmp_lt_u32_e64 s14, 3, v2
	v_or_b32_e32 v136, 0x120, v125
	v_or_b32_e32 v137, 0x140, v125
	;; [unrolled: 1-line block ×7, first 2 shown]
	v_add_co_ci_u32_e64 v144, null, 0, v120, vcc_lo
                                        ; implicit-def: $vgpr6_vgpr7
	s_wait_kmcnt 0x0
	v_mad_u32_u24 v2, v102, s15, v0
	s_wait_dscnt 0x0
	s_delay_alu instid0(VALU_DEP_1) | instskip(NEXT) | instid1(VALU_DEP_1)
	v_mad_co_u64_u32 v[4:5], null, v2, s16, v[1:2]
	v_lshrrev_b32_e32 v2, 3, v4
                                        ; implicit-def: $vgpr4_vgpr5
	s_delay_alu instid0(VALU_DEP_1)
	v_and_b32_e32 v145, 0x1ffffffc, v2
	s_branch .LBB1124_974
.LBB1124_973:                           ;   in Loop: Header=BB1124_974 Depth=2
	s_wait_alu 0xfffe
	s_or_b32 exec_lo, exec_lo, s15
	s_addk_co_i32 s57, 0xf000
	s_cmp_lt_u32 s58, s51
	s_mov_b32 s42, s58
	s_cbranch_scc0 .LBB1124_10
.LBB1124_974:                           ;   Parent Loop BB1124_12 Depth=1
                                        ; =>  This Inner Loop Header: Depth=2
	s_wait_alu 0xfffe
	s_add_co_i32 s58, s42, 0x1000
	s_wait_alu 0xfffe
	s_cmp_gt_u32 s58, s51
	s_cbranch_scc1 .LBB1124_976
; %bb.975:                              ;   in Loop: Header=BB1124_974 Depth=2
	s_mov_b32 s43, s34
	s_mov_b32 s15, -1
	s_wait_alu 0xfffe
	s_lshl_b64 s[16:17], s[42:43], 3
	s_wait_alu 0xfffe
	v_add_co_u32 v42, vcc_lo, v143, s16
	s_wait_alu 0xfffd
	v_add_co_ci_u32_e64 v43, null, s17, v144, vcc_lo
	s_clause 0xe
	global_load_b64 v[36:37], v[42:43], off
	global_load_b64 v[38:39], v[42:43], off offset:256
	global_load_b64 v[40:41], v[42:43], off offset:512
	;; [unrolled: 1-line block ×14, first 2 shown]
	s_movk_i32 s16, 0x1000
	s_cbranch_execz .LBB1124_977
	s_branch .LBB1124_1008
.LBB1124_976:                           ;   in Loop: Header=BB1124_974 Depth=2
	s_mov_b32 s15, 0
                                        ; implicit-def: $vgpr36_vgpr37
                                        ; implicit-def: $vgpr38_vgpr39
                                        ; implicit-def: $vgpr40_vgpr41
                                        ; implicit-def: $vgpr48_vgpr49
                                        ; implicit-def: $vgpr52_vgpr53
                                        ; implicit-def: $vgpr56_vgpr57
                                        ; implicit-def: $vgpr60_vgpr61
                                        ; implicit-def: $vgpr64_vgpr65
                                        ; implicit-def: $vgpr66_vgpr67
                                        ; implicit-def: $vgpr62_vgpr63
                                        ; implicit-def: $vgpr58_vgpr59
                                        ; implicit-def: $vgpr54_vgpr55
                                        ; implicit-def: $vgpr50_vgpr51
                                        ; implicit-def: $vgpr46_vgpr47
                                        ; implicit-def: $vgpr44_vgpr45
	s_movk_i32 s16, 0x1000
.LBB1124_977:                           ;   in Loop: Header=BB1124_974 Depth=2
	s_mov_b32 s43, s34
	s_wait_loadcnt 0xd
	v_mov_b32_e32 v38, -1
	s_wait_alu 0xfffe
	s_lshl_b64 s[16:17], s[42:43], 3
	v_dual_mov_b32 v39, -1 :: v_dual_mov_b32 v36, -1
	s_wait_alu 0xfffe
	v_add_co_u32 v42, vcc_lo, v143, s16
	s_wait_alu 0xfffd
	v_add_co_ci_u32_e64 v43, null, s17, v144, vcc_lo
	v_mov_b32_e32 v37, -1
	s_mov_b32 s15, exec_lo
	v_cmpx_gt_u32_e64 s57, v125
	s_cbranch_execz .LBB1124_979
; %bb.978:                              ;   in Loop: Header=BB1124_974 Depth=2
	global_load_b64 v[36:37], v[42:43], off
.LBB1124_979:                           ;   in Loop: Header=BB1124_974 Depth=2
	s_wait_alu 0xfffe
	s_or_b32 exec_lo, exec_lo, s15
	s_delay_alu instid0(SALU_CYCLE_1)
	s_mov_b32 s15, exec_lo
	v_cmpx_gt_u32_e64 s57, v128
	s_cbranch_execz .LBB1124_981
; %bb.980:                              ;   in Loop: Header=BB1124_974 Depth=2
	global_load_b64 v[38:39], v[42:43], off offset:256
.LBB1124_981:                           ;   in Loop: Header=BB1124_974 Depth=2
	s_wait_alu 0xfffe
	s_or_b32 exec_lo, exec_lo, s15
	s_wait_loadcnt 0xb
	v_mov_b32_e32 v48, -1
	v_dual_mov_b32 v49, -1 :: v_dual_mov_b32 v40, -1
	v_mov_b32_e32 v41, -1
	s_mov_b32 s15, exec_lo
	v_cmpx_gt_u32_e64 s57, v129
	s_cbranch_execz .LBB1124_983
; %bb.982:                              ;   in Loop: Header=BB1124_974 Depth=2
	global_load_b64 v[40:41], v[42:43], off offset:512
.LBB1124_983:                           ;   in Loop: Header=BB1124_974 Depth=2
	s_wait_alu 0xfffe
	s_or_b32 exec_lo, exec_lo, s15
	s_delay_alu instid0(SALU_CYCLE_1)
	s_mov_b32 s15, exec_lo
	v_cmpx_gt_u32_e64 s57, v130
	s_cbranch_execz .LBB1124_985
; %bb.984:                              ;   in Loop: Header=BB1124_974 Depth=2
	global_load_b64 v[48:49], v[42:43], off offset:768
.LBB1124_985:                           ;   in Loop: Header=BB1124_974 Depth=2
	s_wait_alu 0xfffe
	s_or_b32 exec_lo, exec_lo, s15
	s_wait_loadcnt 0x9
	v_mov_b32_e32 v56, -1
	v_dual_mov_b32 v57, -1 :: v_dual_mov_b32 v52, -1
	v_mov_b32_e32 v53, -1
	s_mov_b32 s15, exec_lo
	v_cmpx_gt_u32_e64 s57, v131
	s_cbranch_execz .LBB1124_987
; %bb.986:                              ;   in Loop: Header=BB1124_974 Depth=2
	global_load_b64 v[52:53], v[42:43], off offset:1024
.LBB1124_987:                           ;   in Loop: Header=BB1124_974 Depth=2
	s_wait_alu 0xfffe
	s_or_b32 exec_lo, exec_lo, s15
	s_delay_alu instid0(SALU_CYCLE_1)
	s_mov_b32 s15, exec_lo
	v_cmpx_gt_u32_e64 s57, v132
	s_cbranch_execz .LBB1124_989
; %bb.988:                              ;   in Loop: Header=BB1124_974 Depth=2
	global_load_b64 v[56:57], v[42:43], off offset:1280
.LBB1124_989:                           ;   in Loop: Header=BB1124_974 Depth=2
	s_wait_alu 0xfffe
	s_or_b32 exec_lo, exec_lo, s15
	s_wait_loadcnt 0x7
	v_mov_b32_e32 v64, -1
	v_dual_mov_b32 v65, -1 :: v_dual_mov_b32 v60, -1
	v_mov_b32_e32 v61, -1
	s_mov_b32 s15, exec_lo
	v_cmpx_gt_u32_e64 s57, v133
	s_cbranch_execz .LBB1124_991
; %bb.990:                              ;   in Loop: Header=BB1124_974 Depth=2
	global_load_b64 v[60:61], v[42:43], off offset:1536
.LBB1124_991:                           ;   in Loop: Header=BB1124_974 Depth=2
	s_wait_alu 0xfffe
	s_or_b32 exec_lo, exec_lo, s15
	s_delay_alu instid0(SALU_CYCLE_1)
	s_mov_b32 s15, exec_lo
	v_cmpx_gt_u32_e64 s57, v134
	s_cbranch_execz .LBB1124_993
; %bb.992:                              ;   in Loop: Header=BB1124_974 Depth=2
	global_load_b64 v[64:65], v[42:43], off offset:1792
.LBB1124_993:                           ;   in Loop: Header=BB1124_974 Depth=2
	s_wait_alu 0xfffe
	s_or_b32 exec_lo, exec_lo, s15
	s_wait_loadcnt 0x5
	v_mov_b32_e32 v62, -1
	v_dual_mov_b32 v63, -1 :: v_dual_mov_b32 v66, -1
	v_mov_b32_e32 v67, -1
	s_mov_b32 s15, exec_lo
	v_cmpx_gt_u32_e64 s57, v135
	s_cbranch_execz .LBB1124_995
; %bb.994:                              ;   in Loop: Header=BB1124_974 Depth=2
	global_load_b64 v[66:67], v[42:43], off offset:2048
.LBB1124_995:                           ;   in Loop: Header=BB1124_974 Depth=2
	s_wait_alu 0xfffe
	s_or_b32 exec_lo, exec_lo, s15
	s_delay_alu instid0(SALU_CYCLE_1)
	s_mov_b32 s15, exec_lo
	v_cmpx_gt_u32_e64 s57, v136
	s_cbranch_execz .LBB1124_997
; %bb.996:                              ;   in Loop: Header=BB1124_974 Depth=2
	global_load_b64 v[62:63], v[42:43], off offset:2304
.LBB1124_997:                           ;   in Loop: Header=BB1124_974 Depth=2
	s_wait_alu 0xfffe
	s_or_b32 exec_lo, exec_lo, s15
	s_wait_loadcnt 0x3
	v_mov_b32_e32 v54, -1
	v_dual_mov_b32 v55, -1 :: v_dual_mov_b32 v58, -1
	v_mov_b32_e32 v59, -1
	s_mov_b32 s15, exec_lo
	v_cmpx_gt_u32_e64 s57, v137
	s_cbranch_execz .LBB1124_999
; %bb.998:                              ;   in Loop: Header=BB1124_974 Depth=2
	global_load_b64 v[58:59], v[42:43], off offset:2560
.LBB1124_999:                           ;   in Loop: Header=BB1124_974 Depth=2
	s_wait_alu 0xfffe
	s_or_b32 exec_lo, exec_lo, s15
	s_delay_alu instid0(SALU_CYCLE_1)
	s_mov_b32 s15, exec_lo
	v_cmpx_gt_u32_e64 s57, v138
	s_cbranch_execz .LBB1124_1001
; %bb.1000:                             ;   in Loop: Header=BB1124_974 Depth=2
	global_load_b64 v[54:55], v[42:43], off offset:2816
.LBB1124_1001:                          ;   in Loop: Header=BB1124_974 Depth=2
	s_wait_alu 0xfffe
	s_or_b32 exec_lo, exec_lo, s15
	s_wait_loadcnt 0x1
	v_mov_b32_e32 v46, -1
	v_dual_mov_b32 v47, -1 :: v_dual_mov_b32 v50, -1
	v_mov_b32_e32 v51, -1
	s_mov_b32 s15, exec_lo
	v_cmpx_gt_u32_e64 s57, v139
	s_cbranch_execz .LBB1124_1003
; %bb.1002:                             ;   in Loop: Header=BB1124_974 Depth=2
	global_load_b64 v[50:51], v[42:43], off offset:3072
.LBB1124_1003:                          ;   in Loop: Header=BB1124_974 Depth=2
	s_wait_alu 0xfffe
	s_or_b32 exec_lo, exec_lo, s15
	s_delay_alu instid0(SALU_CYCLE_1)
	s_mov_b32 s15, exec_lo
	v_cmpx_gt_u32_e64 s57, v140
	s_cbranch_execz .LBB1124_1005
; %bb.1004:                             ;   in Loop: Header=BB1124_974 Depth=2
	global_load_b64 v[46:47], v[42:43], off offset:3328
.LBB1124_1005:                          ;   in Loop: Header=BB1124_974 Depth=2
	s_wait_alu 0xfffe
	s_or_b32 exec_lo, exec_lo, s15
	s_wait_loadcnt 0x0
	v_mov_b32_e32 v44, -1
	v_mov_b32_e32 v45, -1
	s_mov_b32 s15, exec_lo
	v_cmpx_gt_u32_e64 s57, v141
	s_cbranch_execz .LBB1124_1007
; %bb.1006:                             ;   in Loop: Header=BB1124_974 Depth=2
	global_load_b64 v[44:45], v[42:43], off offset:3584
.LBB1124_1007:                          ;   in Loop: Header=BB1124_974 Depth=2
	s_wait_alu 0xfffe
	s_or_b32 exec_lo, exec_lo, s15
	v_cmp_gt_u32_e64 s15, s57, v142
	s_sub_co_i32 s16, s51, s42
.LBB1124_1008:                          ;   in Loop: Header=BB1124_974 Depth=2
	v_mov_b32_e32 v42, -1
	v_dual_mov_b32 v43, -1 :: v_dual_mov_b32 v162, s57
	s_and_saveexec_b32 s17, s15
	s_cbranch_execz .LBB1124_1010
; %bb.1009:                             ;   in Loop: Header=BB1124_974 Depth=2
	s_lshl_b64 s[18:19], s[42:43], 3
	s_wait_alu 0xfffe
	v_mov_b32_e32 v162, s16
	v_add_co_u32 v42, vcc_lo, v143, s18
	s_wait_alu 0xfffd
	v_add_co_ci_u32_e64 v43, null, s19, v144, vcc_lo
	global_load_b64 v[42:43], v[42:43], off offset:3840
.LBB1124_1010:                          ;   in Loop: Header=BB1124_974 Depth=2
	s_wait_alu 0xfffe
	s_or_b32 exec_lo, exec_lo, s17
	s_wait_loadcnt 0xe
	v_cmp_gt_i64_e32 vcc_lo, 0, v[36:37]
	v_ashrrev_i32_e32 v2, 31, v37
	v_add_nc_u32_e32 v164, 0x420, v101
	v_add_nc_u32_e32 v165, 0x428, v101
	;; [unrolled: 1-line block ×3, first 2 shown]
	s_delay_alu instid0(VALU_DEP_4) | instskip(SKIP_2) | instid1(VALU_DEP_2)
	v_not_b32_e32 v2, v2
	s_wait_alu 0xfffd
	v_cndmask_b32_e64 v68, 0x7fffffff, 0, vcc_lo
	v_xor_b32_e32 v36, v2, v36
	s_delay_alu instid0(VALU_DEP_2) | instskip(NEXT) | instid1(VALU_DEP_1)
	v_xor_b32_e32 v37, v68, v37
	v_cmp_ne_u64_e32 vcc_lo, s[34:35], v[36:37]
	s_wait_alu 0xfffd
	v_cndmask_b32_e32 v69, 0x7fffffff, v37, vcc_lo
	v_cndmask_b32_e32 v68, -1, v36, vcc_lo
	s_delay_alu instid0(VALU_DEP_1) | instskip(NEXT) | instid1(VALU_DEP_1)
	v_lshrrev_b64 v[68:69], s31, v[68:69]
	v_and_b32_e32 v69, s56, v68
	s_delay_alu instid0(VALU_DEP_1)
	v_and_b32_e32 v2, 1, v69
	v_lshlrev_b32_e32 v68, 30, v69
	v_lshlrev_b32_e32 v70, 29, v69
	;; [unrolled: 1-line block ×4, first 2 shown]
	v_add_co_u32 v2, s15, v2, -1
	s_wait_alu 0xf1ff
	v_cndmask_b32_e64 v72, 0, 1, s15
	v_not_b32_e32 v163, v68
	v_cmp_gt_i32_e64 s15, 0, v68
	v_not_b32_e32 v68, v70
	v_lshlrev_b32_e32 v74, 26, v69
	v_cmp_ne_u32_e32 vcc_lo, 0, v72
	v_ashrrev_i32_e32 v163, 31, v163
	v_lshlrev_b32_e32 v75, 25, v69
	v_ashrrev_i32_e32 v68, 31, v68
	v_lshlrev_b32_e32 v72, 24, v69
	s_wait_alu 0xfffd
	v_xor_b32_e32 v2, vcc_lo, v2
	v_cmp_gt_i32_e32 vcc_lo, 0, v70
	v_not_b32_e32 v70, v71
	s_wait_alu 0xf1ff
	v_xor_b32_e32 v163, s15, v163
	v_cmp_gt_i32_e64 s15, 0, v71
	v_and_b32_e32 v2, exec_lo, v2
	v_not_b32_e32 v71, v73
	v_ashrrev_i32_e32 v70, 31, v70
	s_wait_alu 0xfffd
	v_xor_b32_e32 v68, vcc_lo, v68
	v_cmp_gt_i32_e32 vcc_lo, 0, v73
	v_and_b32_e32 v2, v2, v163
	v_not_b32_e32 v73, v74
	v_ashrrev_i32_e32 v71, 31, v71
	s_wait_alu 0xf1ff
	v_xor_b32_e32 v70, s15, v70
	v_cmp_gt_i32_e64 s15, 0, v74
	v_and_b32_e32 v2, v2, v68
	v_not_b32_e32 v68, v75
	v_ashrrev_i32_e32 v73, 31, v73
	s_wait_alu 0xfffd
	v_xor_b32_e32 v71, vcc_lo, v71
	v_cmp_gt_i32_e32 vcc_lo, 0, v75
	v_and_b32_e32 v2, v2, v70
	v_not_b32_e32 v70, v72
	v_ashrrev_i32_e32 v68, 31, v68
	s_wait_alu 0xf1ff
	v_xor_b32_e32 v73, s15, v73
	v_cmp_gt_i32_e64 s15, 0, v72
	v_and_b32_e32 v2, v2, v71
	v_ashrrev_i32_e32 v70, 31, v70
	s_wait_alu 0xfffd
	v_xor_b32_e32 v68, vcc_lo, v68
	v_mul_u32_u24_e32 v69, 36, v69
	v_add_nc_u32_e32 v163, 0x438, v101
	v_and_b32_e32 v2, v2, v73
	s_wait_alu 0xf1ff
	v_xor_b32_e32 v70, s15, v70
	v_add_nc_u32_e32 v167, v145, v69
	ds_store_2addr_b32 v163, v3, v3 offset1:1
	v_and_b32_e32 v2, v2, v68
	ds_store_2addr_b32 v164, v3, v3 offset1:1
	ds_store_2addr_b32 v165, v3, v3 offset1:1
	ds_store_2addr_b32 v166, v3, v3 offset1:1
	ds_store_b32 v101, v3 offset:1088
	s_wait_loadcnt_dscnt 0x0
	s_barrier_signal -1
	s_barrier_wait -1
	v_and_b32_e32 v68, v2, v70
	global_inv scope:SCOPE_SE
	; wave barrier
	v_mbcnt_lo_u32_b32 v2, v68, 0
	v_cmp_ne_u32_e64 s15, 0, v68
	s_delay_alu instid0(VALU_DEP_2)
	v_cmp_eq_u32_e32 vcc_lo, 0, v2
	s_and_b32 s16, s15, vcc_lo
	s_wait_alu 0xfffe
	s_and_saveexec_b32 s15, s16
; %bb.1011:                             ;   in Loop: Header=BB1124_974 Depth=2
	v_bcnt_u32_b32 v68, v68, 0
	ds_store_b32 v167, v68 offset:1056
; %bb.1012:                             ;   in Loop: Header=BB1124_974 Depth=2
	s_wait_alu 0xfffe
	s_or_b32 exec_lo, exec_lo, s15
	v_cmp_gt_i64_e32 vcc_lo, 0, v[38:39]
	v_ashrrev_i32_e32 v68, 31, v39
	; wave barrier
	s_delay_alu instid0(VALU_DEP_1) | instskip(SKIP_2) | instid1(VALU_DEP_2)
	v_not_b32_e32 v68, v68
	s_wait_alu 0xfffd
	v_cndmask_b32_e64 v69, 0x7fffffff, 0, vcc_lo
	v_xor_b32_e32 v38, v68, v38
	s_delay_alu instid0(VALU_DEP_2) | instskip(NEXT) | instid1(VALU_DEP_1)
	v_xor_b32_e32 v39, v69, v39
	v_cmp_ne_u64_e32 vcc_lo, s[34:35], v[38:39]
	s_wait_alu 0xfffd
	v_cndmask_b32_e32 v69, 0x7fffffff, v39, vcc_lo
	v_cndmask_b32_e32 v68, -1, v38, vcc_lo
	s_delay_alu instid0(VALU_DEP_1) | instskip(NEXT) | instid1(VALU_DEP_1)
	v_lshrrev_b64 v[68:69], s31, v[68:69]
	v_and_b32_e32 v69, s56, v68
	s_delay_alu instid0(VALU_DEP_1)
	v_and_b32_e32 v68, 1, v69
	v_lshlrev_b32_e32 v70, 30, v69
	v_lshlrev_b32_e32 v71, 29, v69
	;; [unrolled: 1-line block ×4, first 2 shown]
	v_add_co_u32 v68, s15, v68, -1
	s_wait_alu 0xf1ff
	v_cndmask_b32_e64 v73, 0, 1, s15
	v_not_b32_e32 v169, v70
	v_cmp_gt_i32_e64 s15, 0, v70
	v_not_b32_e32 v70, v71
	v_lshlrev_b32_e32 v75, 26, v69
	v_cmp_ne_u32_e32 vcc_lo, 0, v73
	v_ashrrev_i32_e32 v169, 31, v169
	v_lshlrev_b32_e32 v168, 25, v69
	v_ashrrev_i32_e32 v70, 31, v70
	v_lshlrev_b32_e32 v73, 24, v69
	s_wait_alu 0xfffd
	v_xor_b32_e32 v68, vcc_lo, v68
	v_cmp_gt_i32_e32 vcc_lo, 0, v71
	v_not_b32_e32 v71, v72
	s_wait_alu 0xf1ff
	v_xor_b32_e32 v169, s15, v169
	v_cmp_gt_i32_e64 s15, 0, v72
	v_and_b32_e32 v68, exec_lo, v68
	v_not_b32_e32 v72, v74
	v_ashrrev_i32_e32 v71, 31, v71
	s_wait_alu 0xfffd
	v_xor_b32_e32 v70, vcc_lo, v70
	v_cmp_gt_i32_e32 vcc_lo, 0, v74
	v_and_b32_e32 v68, v68, v169
	v_not_b32_e32 v74, v75
	v_ashrrev_i32_e32 v72, 31, v72
	s_wait_alu 0xf1ff
	v_xor_b32_e32 v71, s15, v71
	v_cmp_gt_i32_e64 s15, 0, v75
	v_and_b32_e32 v68, v68, v70
	v_not_b32_e32 v70, v168
	v_ashrrev_i32_e32 v74, 31, v74
	s_wait_alu 0xfffd
	v_xor_b32_e32 v72, vcc_lo, v72
	v_cmp_gt_i32_e32 vcc_lo, 0, v168
	v_and_b32_e32 v68, v68, v71
	v_not_b32_e32 v71, v73
	v_ashrrev_i32_e32 v70, 31, v70
	s_wait_alu 0xf1ff
	v_xor_b32_e32 v74, s15, v74
	v_cmp_gt_i32_e64 s15, 0, v73
	v_and_b32_e32 v68, v68, v72
	v_ashrrev_i32_e32 v71, 31, v71
	s_wait_alu 0xfffd
	v_xor_b32_e32 v70, vcc_lo, v70
	v_mad_u32_u24 v72, v69, 36, v145
	v_mul_u32_u24_e32 v69, 36, v69
	v_and_b32_e32 v68, v68, v74
	s_wait_alu 0xf1ff
	v_xor_b32_e32 v71, s15, v71
	ds_load_b32 v168, v72 offset:1056
	v_add_nc_u32_e32 v170, v145, v69
	v_and_b32_e32 v68, v68, v70
	; wave barrier
	s_delay_alu instid0(VALU_DEP_1) | instskip(NEXT) | instid1(VALU_DEP_1)
	v_and_b32_e32 v68, v68, v71
	v_mbcnt_lo_u32_b32 v169, v68, 0
	v_cmp_ne_u32_e64 s15, 0, v68
	s_delay_alu instid0(VALU_DEP_2)
	v_cmp_eq_u32_e32 vcc_lo, 0, v169
	s_and_b32 s16, s15, vcc_lo
	s_wait_alu 0xfffe
	s_and_saveexec_b32 s15, s16
	s_cbranch_execz .LBB1124_1014
; %bb.1013:                             ;   in Loop: Header=BB1124_974 Depth=2
	s_wait_dscnt 0x0
	v_bcnt_u32_b32 v68, v68, v168
	ds_store_b32 v170, v68 offset:1056
.LBB1124_1014:                          ;   in Loop: Header=BB1124_974 Depth=2
	s_wait_alu 0xfffe
	s_or_b32 exec_lo, exec_lo, s15
	v_cmp_gt_i64_e32 vcc_lo, 0, v[40:41]
	v_ashrrev_i32_e32 v68, 31, v41
	; wave barrier
	s_delay_alu instid0(VALU_DEP_1) | instskip(SKIP_2) | instid1(VALU_DEP_2)
	v_not_b32_e32 v68, v68
	s_wait_alu 0xfffd
	v_cndmask_b32_e64 v69, 0x7fffffff, 0, vcc_lo
	v_xor_b32_e32 v40, v68, v40
	s_delay_alu instid0(VALU_DEP_2) | instskip(NEXT) | instid1(VALU_DEP_1)
	v_xor_b32_e32 v41, v69, v41
	v_cmp_ne_u64_e32 vcc_lo, s[34:35], v[40:41]
	s_wait_alu 0xfffd
	v_cndmask_b32_e32 v69, 0x7fffffff, v41, vcc_lo
	v_cndmask_b32_e32 v68, -1, v40, vcc_lo
	s_delay_alu instid0(VALU_DEP_1) | instskip(NEXT) | instid1(VALU_DEP_1)
	v_lshrrev_b64 v[68:69], s31, v[68:69]
	v_and_b32_e32 v69, s56, v68
	s_delay_alu instid0(VALU_DEP_1)
	v_and_b32_e32 v68, 1, v69
	v_lshlrev_b32_e32 v70, 30, v69
	v_lshlrev_b32_e32 v71, 29, v69
	;; [unrolled: 1-line block ×4, first 2 shown]
	v_add_co_u32 v68, s15, v68, -1
	s_wait_alu 0xf1ff
	v_cndmask_b32_e64 v73, 0, 1, s15
	v_not_b32_e32 v172, v70
	v_cmp_gt_i32_e64 s15, 0, v70
	v_not_b32_e32 v70, v71
	v_lshlrev_b32_e32 v75, 26, v69
	v_cmp_ne_u32_e32 vcc_lo, 0, v73
	v_ashrrev_i32_e32 v172, 31, v172
	v_lshlrev_b32_e32 v171, 25, v69
	v_ashrrev_i32_e32 v70, 31, v70
	v_lshlrev_b32_e32 v73, 24, v69
	s_wait_alu 0xfffd
	v_xor_b32_e32 v68, vcc_lo, v68
	v_cmp_gt_i32_e32 vcc_lo, 0, v71
	v_not_b32_e32 v71, v72
	s_wait_alu 0xf1ff
	v_xor_b32_e32 v172, s15, v172
	v_cmp_gt_i32_e64 s15, 0, v72
	v_and_b32_e32 v68, exec_lo, v68
	v_not_b32_e32 v72, v74
	v_ashrrev_i32_e32 v71, 31, v71
	s_wait_alu 0xfffd
	v_xor_b32_e32 v70, vcc_lo, v70
	v_cmp_gt_i32_e32 vcc_lo, 0, v74
	v_and_b32_e32 v68, v68, v172
	v_not_b32_e32 v74, v75
	v_ashrrev_i32_e32 v72, 31, v72
	s_wait_alu 0xf1ff
	v_xor_b32_e32 v71, s15, v71
	v_cmp_gt_i32_e64 s15, 0, v75
	v_and_b32_e32 v68, v68, v70
	v_not_b32_e32 v70, v171
	v_ashrrev_i32_e32 v74, 31, v74
	s_wait_alu 0xfffd
	v_xor_b32_e32 v72, vcc_lo, v72
	v_cmp_gt_i32_e32 vcc_lo, 0, v171
	v_and_b32_e32 v68, v68, v71
	v_not_b32_e32 v71, v73
	v_ashrrev_i32_e32 v70, 31, v70
	s_wait_alu 0xf1ff
	v_xor_b32_e32 v74, s15, v74
	v_cmp_gt_i32_e64 s15, 0, v73
	v_and_b32_e32 v68, v68, v72
	v_ashrrev_i32_e32 v71, 31, v71
	s_wait_alu 0xfffd
	v_xor_b32_e32 v70, vcc_lo, v70
	v_mad_u32_u24 v72, v69, 36, v145
	v_mul_u32_u24_e32 v69, 36, v69
	v_and_b32_e32 v68, v68, v74
	s_wait_alu 0xf1ff
	v_xor_b32_e32 v71, s15, v71
	ds_load_b32 v171, v72 offset:1056
	v_add_nc_u32_e32 v173, v145, v69
	v_and_b32_e32 v68, v68, v70
	; wave barrier
	s_delay_alu instid0(VALU_DEP_1) | instskip(NEXT) | instid1(VALU_DEP_1)
	v_and_b32_e32 v68, v68, v71
	v_mbcnt_lo_u32_b32 v172, v68, 0
	v_cmp_ne_u32_e64 s15, 0, v68
	s_delay_alu instid0(VALU_DEP_2)
	v_cmp_eq_u32_e32 vcc_lo, 0, v172
	s_and_b32 s16, s15, vcc_lo
	s_wait_alu 0xfffe
	s_and_saveexec_b32 s15, s16
	s_cbranch_execz .LBB1124_1016
; %bb.1015:                             ;   in Loop: Header=BB1124_974 Depth=2
	s_wait_dscnt 0x0
	v_bcnt_u32_b32 v68, v68, v171
	ds_store_b32 v173, v68 offset:1056
.LBB1124_1016:                          ;   in Loop: Header=BB1124_974 Depth=2
	s_wait_alu 0xfffe
	s_or_b32 exec_lo, exec_lo, s15
	v_cmp_gt_i64_e32 vcc_lo, 0, v[48:49]
	v_ashrrev_i32_e32 v68, 31, v49
	; wave barrier
	s_delay_alu instid0(VALU_DEP_1) | instskip(SKIP_2) | instid1(VALU_DEP_2)
	v_not_b32_e32 v68, v68
	s_wait_alu 0xfffd
	v_cndmask_b32_e64 v69, 0x7fffffff, 0, vcc_lo
	v_xor_b32_e32 v48, v68, v48
	s_delay_alu instid0(VALU_DEP_2) | instskip(NEXT) | instid1(VALU_DEP_1)
	v_xor_b32_e32 v49, v69, v49
	v_cmp_ne_u64_e32 vcc_lo, s[34:35], v[48:49]
	s_wait_alu 0xfffd
	v_cndmask_b32_e32 v69, 0x7fffffff, v49, vcc_lo
	v_cndmask_b32_e32 v68, -1, v48, vcc_lo
	s_delay_alu instid0(VALU_DEP_1) | instskip(NEXT) | instid1(VALU_DEP_1)
	v_lshrrev_b64 v[68:69], s31, v[68:69]
	v_and_b32_e32 v69, s56, v68
	s_delay_alu instid0(VALU_DEP_1)
	v_and_b32_e32 v68, 1, v69
	v_lshlrev_b32_e32 v70, 30, v69
	v_lshlrev_b32_e32 v71, 29, v69
	;; [unrolled: 1-line block ×4, first 2 shown]
	v_add_co_u32 v68, s15, v68, -1
	s_wait_alu 0xf1ff
	v_cndmask_b32_e64 v73, 0, 1, s15
	v_not_b32_e32 v175, v70
	v_cmp_gt_i32_e64 s15, 0, v70
	v_not_b32_e32 v70, v71
	v_lshlrev_b32_e32 v75, 26, v69
	v_cmp_ne_u32_e32 vcc_lo, 0, v73
	v_ashrrev_i32_e32 v175, 31, v175
	v_lshlrev_b32_e32 v174, 25, v69
	v_ashrrev_i32_e32 v70, 31, v70
	v_lshlrev_b32_e32 v73, 24, v69
	s_wait_alu 0xfffd
	v_xor_b32_e32 v68, vcc_lo, v68
	v_cmp_gt_i32_e32 vcc_lo, 0, v71
	v_not_b32_e32 v71, v72
	s_wait_alu 0xf1ff
	v_xor_b32_e32 v175, s15, v175
	v_cmp_gt_i32_e64 s15, 0, v72
	v_and_b32_e32 v68, exec_lo, v68
	v_not_b32_e32 v72, v74
	v_ashrrev_i32_e32 v71, 31, v71
	s_wait_alu 0xfffd
	v_xor_b32_e32 v70, vcc_lo, v70
	v_cmp_gt_i32_e32 vcc_lo, 0, v74
	v_and_b32_e32 v68, v68, v175
	v_not_b32_e32 v74, v75
	v_ashrrev_i32_e32 v72, 31, v72
	s_wait_alu 0xf1ff
	v_xor_b32_e32 v71, s15, v71
	v_cmp_gt_i32_e64 s15, 0, v75
	v_and_b32_e32 v68, v68, v70
	v_not_b32_e32 v70, v174
	v_ashrrev_i32_e32 v74, 31, v74
	s_wait_alu 0xfffd
	v_xor_b32_e32 v72, vcc_lo, v72
	v_cmp_gt_i32_e32 vcc_lo, 0, v174
	v_and_b32_e32 v68, v68, v71
	v_not_b32_e32 v71, v73
	v_ashrrev_i32_e32 v70, 31, v70
	s_wait_alu 0xf1ff
	v_xor_b32_e32 v74, s15, v74
	v_cmp_gt_i32_e64 s15, 0, v73
	v_and_b32_e32 v68, v68, v72
	v_ashrrev_i32_e32 v71, 31, v71
	s_wait_alu 0xfffd
	v_xor_b32_e32 v70, vcc_lo, v70
	v_mad_u32_u24 v72, v69, 36, v145
	v_mul_u32_u24_e32 v69, 36, v69
	v_and_b32_e32 v68, v68, v74
	s_wait_alu 0xf1ff
	v_xor_b32_e32 v71, s15, v71
	ds_load_b32 v174, v72 offset:1056
	v_add_nc_u32_e32 v176, v145, v69
	v_and_b32_e32 v68, v68, v70
	; wave barrier
	s_delay_alu instid0(VALU_DEP_1) | instskip(NEXT) | instid1(VALU_DEP_1)
	v_and_b32_e32 v68, v68, v71
	v_mbcnt_lo_u32_b32 v175, v68, 0
	v_cmp_ne_u32_e64 s15, 0, v68
	s_delay_alu instid0(VALU_DEP_2)
	v_cmp_eq_u32_e32 vcc_lo, 0, v175
	s_and_b32 s16, s15, vcc_lo
	s_wait_alu 0xfffe
	s_and_saveexec_b32 s15, s16
	s_cbranch_execz .LBB1124_1018
; %bb.1017:                             ;   in Loop: Header=BB1124_974 Depth=2
	s_wait_dscnt 0x0
	v_bcnt_u32_b32 v68, v68, v174
	ds_store_b32 v176, v68 offset:1056
.LBB1124_1018:                          ;   in Loop: Header=BB1124_974 Depth=2
	s_wait_alu 0xfffe
	s_or_b32 exec_lo, exec_lo, s15
	v_cmp_gt_i64_e32 vcc_lo, 0, v[52:53]
	v_ashrrev_i32_e32 v68, 31, v53
	; wave barrier
	s_delay_alu instid0(VALU_DEP_1) | instskip(SKIP_2) | instid1(VALU_DEP_2)
	v_not_b32_e32 v68, v68
	s_wait_alu 0xfffd
	v_cndmask_b32_e64 v69, 0x7fffffff, 0, vcc_lo
	v_xor_b32_e32 v52, v68, v52
	s_delay_alu instid0(VALU_DEP_2) | instskip(NEXT) | instid1(VALU_DEP_1)
	v_xor_b32_e32 v53, v69, v53
	v_cmp_ne_u64_e32 vcc_lo, s[34:35], v[52:53]
	s_wait_alu 0xfffd
	v_cndmask_b32_e32 v69, 0x7fffffff, v53, vcc_lo
	v_cndmask_b32_e32 v68, -1, v52, vcc_lo
	s_delay_alu instid0(VALU_DEP_1) | instskip(NEXT) | instid1(VALU_DEP_1)
	v_lshrrev_b64 v[68:69], s31, v[68:69]
	v_and_b32_e32 v69, s56, v68
	s_delay_alu instid0(VALU_DEP_1)
	v_and_b32_e32 v68, 1, v69
	v_lshlrev_b32_e32 v70, 30, v69
	v_lshlrev_b32_e32 v71, 29, v69
	;; [unrolled: 1-line block ×4, first 2 shown]
	v_add_co_u32 v68, s15, v68, -1
	s_wait_alu 0xf1ff
	v_cndmask_b32_e64 v73, 0, 1, s15
	v_not_b32_e32 v178, v70
	v_cmp_gt_i32_e64 s15, 0, v70
	v_not_b32_e32 v70, v71
	v_lshlrev_b32_e32 v75, 26, v69
	v_cmp_ne_u32_e32 vcc_lo, 0, v73
	v_ashrrev_i32_e32 v178, 31, v178
	v_lshlrev_b32_e32 v177, 25, v69
	v_ashrrev_i32_e32 v70, 31, v70
	v_lshlrev_b32_e32 v73, 24, v69
	s_wait_alu 0xfffd
	v_xor_b32_e32 v68, vcc_lo, v68
	v_cmp_gt_i32_e32 vcc_lo, 0, v71
	v_not_b32_e32 v71, v72
	s_wait_alu 0xf1ff
	v_xor_b32_e32 v178, s15, v178
	v_cmp_gt_i32_e64 s15, 0, v72
	v_and_b32_e32 v68, exec_lo, v68
	v_not_b32_e32 v72, v74
	v_ashrrev_i32_e32 v71, 31, v71
	s_wait_alu 0xfffd
	v_xor_b32_e32 v70, vcc_lo, v70
	v_cmp_gt_i32_e32 vcc_lo, 0, v74
	v_and_b32_e32 v68, v68, v178
	v_not_b32_e32 v74, v75
	v_ashrrev_i32_e32 v72, 31, v72
	s_wait_alu 0xf1ff
	v_xor_b32_e32 v71, s15, v71
	v_cmp_gt_i32_e64 s15, 0, v75
	v_and_b32_e32 v68, v68, v70
	v_not_b32_e32 v70, v177
	v_ashrrev_i32_e32 v74, 31, v74
	s_wait_alu 0xfffd
	v_xor_b32_e32 v72, vcc_lo, v72
	v_cmp_gt_i32_e32 vcc_lo, 0, v177
	v_and_b32_e32 v68, v68, v71
	v_not_b32_e32 v71, v73
	v_ashrrev_i32_e32 v70, 31, v70
	s_wait_alu 0xf1ff
	v_xor_b32_e32 v74, s15, v74
	v_cmp_gt_i32_e64 s15, 0, v73
	v_and_b32_e32 v68, v68, v72
	v_ashrrev_i32_e32 v71, 31, v71
	s_wait_alu 0xfffd
	v_xor_b32_e32 v70, vcc_lo, v70
	v_mad_u32_u24 v72, v69, 36, v145
	v_mul_u32_u24_e32 v69, 36, v69
	v_and_b32_e32 v68, v68, v74
	s_wait_alu 0xf1ff
	v_xor_b32_e32 v71, s15, v71
	ds_load_b32 v177, v72 offset:1056
	v_add_nc_u32_e32 v179, v145, v69
	v_and_b32_e32 v68, v68, v70
	; wave barrier
	s_delay_alu instid0(VALU_DEP_1) | instskip(NEXT) | instid1(VALU_DEP_1)
	v_and_b32_e32 v68, v68, v71
	v_mbcnt_lo_u32_b32 v178, v68, 0
	v_cmp_ne_u32_e64 s15, 0, v68
	s_delay_alu instid0(VALU_DEP_2)
	v_cmp_eq_u32_e32 vcc_lo, 0, v178
	s_and_b32 s16, s15, vcc_lo
	s_wait_alu 0xfffe
	s_and_saveexec_b32 s15, s16
	s_cbranch_execz .LBB1124_1020
; %bb.1019:                             ;   in Loop: Header=BB1124_974 Depth=2
	s_wait_dscnt 0x0
	v_bcnt_u32_b32 v68, v68, v177
	ds_store_b32 v179, v68 offset:1056
.LBB1124_1020:                          ;   in Loop: Header=BB1124_974 Depth=2
	s_wait_alu 0xfffe
	s_or_b32 exec_lo, exec_lo, s15
	v_cmp_gt_i64_e32 vcc_lo, 0, v[56:57]
	v_ashrrev_i32_e32 v68, 31, v57
	; wave barrier
	s_delay_alu instid0(VALU_DEP_1) | instskip(SKIP_2) | instid1(VALU_DEP_2)
	v_not_b32_e32 v68, v68
	s_wait_alu 0xfffd
	v_cndmask_b32_e64 v69, 0x7fffffff, 0, vcc_lo
	v_xor_b32_e32 v56, v68, v56
	s_delay_alu instid0(VALU_DEP_2) | instskip(NEXT) | instid1(VALU_DEP_1)
	v_xor_b32_e32 v57, v69, v57
	v_cmp_ne_u64_e32 vcc_lo, s[34:35], v[56:57]
	s_wait_alu 0xfffd
	v_cndmask_b32_e32 v69, 0x7fffffff, v57, vcc_lo
	v_cndmask_b32_e32 v68, -1, v56, vcc_lo
	s_delay_alu instid0(VALU_DEP_1) | instskip(NEXT) | instid1(VALU_DEP_1)
	v_lshrrev_b64 v[68:69], s31, v[68:69]
	v_and_b32_e32 v69, s56, v68
	s_delay_alu instid0(VALU_DEP_1)
	v_and_b32_e32 v68, 1, v69
	v_lshlrev_b32_e32 v70, 30, v69
	v_lshlrev_b32_e32 v71, 29, v69
	;; [unrolled: 1-line block ×4, first 2 shown]
	v_add_co_u32 v68, s15, v68, -1
	s_wait_alu 0xf1ff
	v_cndmask_b32_e64 v73, 0, 1, s15
	v_not_b32_e32 v181, v70
	v_cmp_gt_i32_e64 s15, 0, v70
	v_not_b32_e32 v70, v71
	v_lshlrev_b32_e32 v75, 26, v69
	v_cmp_ne_u32_e32 vcc_lo, 0, v73
	v_ashrrev_i32_e32 v181, 31, v181
	v_lshlrev_b32_e32 v180, 25, v69
	v_ashrrev_i32_e32 v70, 31, v70
	v_lshlrev_b32_e32 v73, 24, v69
	s_wait_alu 0xfffd
	v_xor_b32_e32 v68, vcc_lo, v68
	v_cmp_gt_i32_e32 vcc_lo, 0, v71
	v_not_b32_e32 v71, v72
	s_wait_alu 0xf1ff
	v_xor_b32_e32 v181, s15, v181
	v_cmp_gt_i32_e64 s15, 0, v72
	v_and_b32_e32 v68, exec_lo, v68
	v_not_b32_e32 v72, v74
	v_ashrrev_i32_e32 v71, 31, v71
	s_wait_alu 0xfffd
	v_xor_b32_e32 v70, vcc_lo, v70
	v_cmp_gt_i32_e32 vcc_lo, 0, v74
	v_and_b32_e32 v68, v68, v181
	v_not_b32_e32 v74, v75
	v_ashrrev_i32_e32 v72, 31, v72
	s_wait_alu 0xf1ff
	v_xor_b32_e32 v71, s15, v71
	v_cmp_gt_i32_e64 s15, 0, v75
	v_and_b32_e32 v68, v68, v70
	v_not_b32_e32 v70, v180
	v_ashrrev_i32_e32 v74, 31, v74
	s_wait_alu 0xfffd
	v_xor_b32_e32 v72, vcc_lo, v72
	v_cmp_gt_i32_e32 vcc_lo, 0, v180
	v_and_b32_e32 v68, v68, v71
	v_not_b32_e32 v71, v73
	v_ashrrev_i32_e32 v70, 31, v70
	s_wait_alu 0xf1ff
	v_xor_b32_e32 v74, s15, v74
	v_cmp_gt_i32_e64 s15, 0, v73
	v_and_b32_e32 v68, v68, v72
	v_ashrrev_i32_e32 v71, 31, v71
	s_wait_alu 0xfffd
	v_xor_b32_e32 v70, vcc_lo, v70
	v_mad_u32_u24 v72, v69, 36, v145
	v_mul_u32_u24_e32 v69, 36, v69
	v_and_b32_e32 v68, v68, v74
	s_wait_alu 0xf1ff
	v_xor_b32_e32 v71, s15, v71
	ds_load_b32 v180, v72 offset:1056
	v_add_nc_u32_e32 v182, v145, v69
	v_and_b32_e32 v68, v68, v70
	; wave barrier
	s_delay_alu instid0(VALU_DEP_1) | instskip(NEXT) | instid1(VALU_DEP_1)
	v_and_b32_e32 v68, v68, v71
	v_mbcnt_lo_u32_b32 v181, v68, 0
	v_cmp_ne_u32_e64 s15, 0, v68
	s_delay_alu instid0(VALU_DEP_2)
	v_cmp_eq_u32_e32 vcc_lo, 0, v181
	s_and_b32 s16, s15, vcc_lo
	s_wait_alu 0xfffe
	s_and_saveexec_b32 s15, s16
	s_cbranch_execz .LBB1124_1022
; %bb.1021:                             ;   in Loop: Header=BB1124_974 Depth=2
	s_wait_dscnt 0x0
	v_bcnt_u32_b32 v68, v68, v180
	ds_store_b32 v182, v68 offset:1056
.LBB1124_1022:                          ;   in Loop: Header=BB1124_974 Depth=2
	s_wait_alu 0xfffe
	s_or_b32 exec_lo, exec_lo, s15
	v_cmp_gt_i64_e32 vcc_lo, 0, v[60:61]
	v_ashrrev_i32_e32 v68, 31, v61
	; wave barrier
	s_delay_alu instid0(VALU_DEP_1) | instskip(SKIP_2) | instid1(VALU_DEP_2)
	v_not_b32_e32 v68, v68
	s_wait_alu 0xfffd
	v_cndmask_b32_e64 v69, 0x7fffffff, 0, vcc_lo
	v_xor_b32_e32 v60, v68, v60
	s_delay_alu instid0(VALU_DEP_2) | instskip(NEXT) | instid1(VALU_DEP_1)
	v_xor_b32_e32 v61, v69, v61
	v_cmp_ne_u64_e32 vcc_lo, s[34:35], v[60:61]
	s_wait_alu 0xfffd
	v_cndmask_b32_e32 v69, 0x7fffffff, v61, vcc_lo
	v_cndmask_b32_e32 v68, -1, v60, vcc_lo
	s_delay_alu instid0(VALU_DEP_1) | instskip(NEXT) | instid1(VALU_DEP_1)
	v_lshrrev_b64 v[68:69], s31, v[68:69]
	v_and_b32_e32 v69, s56, v68
	s_delay_alu instid0(VALU_DEP_1)
	v_and_b32_e32 v68, 1, v69
	v_lshlrev_b32_e32 v70, 30, v69
	v_lshlrev_b32_e32 v71, 29, v69
	;; [unrolled: 1-line block ×4, first 2 shown]
	v_add_co_u32 v68, s15, v68, -1
	s_wait_alu 0xf1ff
	v_cndmask_b32_e64 v73, 0, 1, s15
	v_not_b32_e32 v184, v70
	v_cmp_gt_i32_e64 s15, 0, v70
	v_not_b32_e32 v70, v71
	v_lshlrev_b32_e32 v75, 26, v69
	v_cmp_ne_u32_e32 vcc_lo, 0, v73
	v_ashrrev_i32_e32 v184, 31, v184
	v_lshlrev_b32_e32 v183, 25, v69
	v_ashrrev_i32_e32 v70, 31, v70
	v_lshlrev_b32_e32 v73, 24, v69
	s_wait_alu 0xfffd
	v_xor_b32_e32 v68, vcc_lo, v68
	v_cmp_gt_i32_e32 vcc_lo, 0, v71
	v_not_b32_e32 v71, v72
	s_wait_alu 0xf1ff
	v_xor_b32_e32 v184, s15, v184
	v_cmp_gt_i32_e64 s15, 0, v72
	v_and_b32_e32 v68, exec_lo, v68
	v_not_b32_e32 v72, v74
	v_ashrrev_i32_e32 v71, 31, v71
	s_wait_alu 0xfffd
	v_xor_b32_e32 v70, vcc_lo, v70
	v_cmp_gt_i32_e32 vcc_lo, 0, v74
	v_and_b32_e32 v68, v68, v184
	v_not_b32_e32 v74, v75
	v_ashrrev_i32_e32 v72, 31, v72
	s_wait_alu 0xf1ff
	v_xor_b32_e32 v71, s15, v71
	v_cmp_gt_i32_e64 s15, 0, v75
	v_and_b32_e32 v68, v68, v70
	v_not_b32_e32 v70, v183
	v_ashrrev_i32_e32 v74, 31, v74
	s_wait_alu 0xfffd
	v_xor_b32_e32 v72, vcc_lo, v72
	v_cmp_gt_i32_e32 vcc_lo, 0, v183
	v_and_b32_e32 v68, v68, v71
	v_not_b32_e32 v71, v73
	v_ashrrev_i32_e32 v70, 31, v70
	s_wait_alu 0xf1ff
	v_xor_b32_e32 v74, s15, v74
	v_cmp_gt_i32_e64 s15, 0, v73
	v_and_b32_e32 v68, v68, v72
	v_ashrrev_i32_e32 v71, 31, v71
	s_wait_alu 0xfffd
	v_xor_b32_e32 v70, vcc_lo, v70
	v_mad_u32_u24 v72, v69, 36, v145
	v_mul_u32_u24_e32 v69, 36, v69
	v_and_b32_e32 v68, v68, v74
	s_wait_alu 0xf1ff
	v_xor_b32_e32 v71, s15, v71
	ds_load_b32 v183, v72 offset:1056
	v_add_nc_u32_e32 v185, v145, v69
	v_and_b32_e32 v68, v68, v70
	; wave barrier
	s_delay_alu instid0(VALU_DEP_1) | instskip(NEXT) | instid1(VALU_DEP_1)
	v_and_b32_e32 v68, v68, v71
	v_mbcnt_lo_u32_b32 v184, v68, 0
	v_cmp_ne_u32_e64 s15, 0, v68
	s_delay_alu instid0(VALU_DEP_2)
	v_cmp_eq_u32_e32 vcc_lo, 0, v184
	s_and_b32 s16, s15, vcc_lo
	s_wait_alu 0xfffe
	s_and_saveexec_b32 s15, s16
	s_cbranch_execz .LBB1124_1024
; %bb.1023:                             ;   in Loop: Header=BB1124_974 Depth=2
	s_wait_dscnt 0x0
	v_bcnt_u32_b32 v68, v68, v183
	ds_store_b32 v185, v68 offset:1056
.LBB1124_1024:                          ;   in Loop: Header=BB1124_974 Depth=2
	s_wait_alu 0xfffe
	s_or_b32 exec_lo, exec_lo, s15
	v_cmp_gt_i64_e32 vcc_lo, 0, v[64:65]
	v_ashrrev_i32_e32 v68, 31, v65
	; wave barrier
	s_delay_alu instid0(VALU_DEP_1) | instskip(SKIP_2) | instid1(VALU_DEP_2)
	v_not_b32_e32 v68, v68
	s_wait_alu 0xfffd
	v_cndmask_b32_e64 v69, 0x7fffffff, 0, vcc_lo
	v_xor_b32_e32 v64, v68, v64
	s_delay_alu instid0(VALU_DEP_2) | instskip(NEXT) | instid1(VALU_DEP_1)
	v_xor_b32_e32 v65, v69, v65
	v_cmp_ne_u64_e32 vcc_lo, s[34:35], v[64:65]
	s_wait_alu 0xfffd
	v_cndmask_b32_e32 v69, 0x7fffffff, v65, vcc_lo
	v_cndmask_b32_e32 v68, -1, v64, vcc_lo
	s_delay_alu instid0(VALU_DEP_1) | instskip(NEXT) | instid1(VALU_DEP_1)
	v_lshrrev_b64 v[68:69], s31, v[68:69]
	v_and_b32_e32 v69, s56, v68
	s_delay_alu instid0(VALU_DEP_1)
	v_and_b32_e32 v68, 1, v69
	v_lshlrev_b32_e32 v70, 30, v69
	v_lshlrev_b32_e32 v71, 29, v69
	;; [unrolled: 1-line block ×4, first 2 shown]
	v_add_co_u32 v68, s15, v68, -1
	s_wait_alu 0xf1ff
	v_cndmask_b32_e64 v73, 0, 1, s15
	v_not_b32_e32 v187, v70
	v_cmp_gt_i32_e64 s15, 0, v70
	v_not_b32_e32 v70, v71
	v_lshlrev_b32_e32 v75, 26, v69
	v_cmp_ne_u32_e32 vcc_lo, 0, v73
	v_ashrrev_i32_e32 v187, 31, v187
	v_lshlrev_b32_e32 v186, 25, v69
	v_ashrrev_i32_e32 v70, 31, v70
	v_lshlrev_b32_e32 v73, 24, v69
	s_wait_alu 0xfffd
	v_xor_b32_e32 v68, vcc_lo, v68
	v_cmp_gt_i32_e32 vcc_lo, 0, v71
	v_not_b32_e32 v71, v72
	s_wait_alu 0xf1ff
	v_xor_b32_e32 v187, s15, v187
	v_cmp_gt_i32_e64 s15, 0, v72
	v_and_b32_e32 v68, exec_lo, v68
	v_not_b32_e32 v72, v74
	v_ashrrev_i32_e32 v71, 31, v71
	s_wait_alu 0xfffd
	v_xor_b32_e32 v70, vcc_lo, v70
	v_cmp_gt_i32_e32 vcc_lo, 0, v74
	v_and_b32_e32 v68, v68, v187
	v_not_b32_e32 v74, v75
	v_ashrrev_i32_e32 v72, 31, v72
	s_wait_alu 0xf1ff
	v_xor_b32_e32 v71, s15, v71
	v_cmp_gt_i32_e64 s15, 0, v75
	v_and_b32_e32 v68, v68, v70
	v_not_b32_e32 v70, v186
	v_ashrrev_i32_e32 v74, 31, v74
	s_wait_alu 0xfffd
	v_xor_b32_e32 v72, vcc_lo, v72
	v_cmp_gt_i32_e32 vcc_lo, 0, v186
	v_and_b32_e32 v68, v68, v71
	v_not_b32_e32 v71, v73
	v_ashrrev_i32_e32 v70, 31, v70
	s_wait_alu 0xf1ff
	v_xor_b32_e32 v74, s15, v74
	v_cmp_gt_i32_e64 s15, 0, v73
	v_and_b32_e32 v68, v68, v72
	v_ashrrev_i32_e32 v71, 31, v71
	s_wait_alu 0xfffd
	v_xor_b32_e32 v70, vcc_lo, v70
	v_mad_u32_u24 v72, v69, 36, v145
	v_mul_u32_u24_e32 v69, 36, v69
	v_and_b32_e32 v68, v68, v74
	s_wait_alu 0xf1ff
	v_xor_b32_e32 v71, s15, v71
	ds_load_b32 v186, v72 offset:1056
	v_add_nc_u32_e32 v188, v145, v69
	v_and_b32_e32 v68, v68, v70
	; wave barrier
	s_delay_alu instid0(VALU_DEP_1) | instskip(NEXT) | instid1(VALU_DEP_1)
	v_and_b32_e32 v68, v68, v71
	v_mbcnt_lo_u32_b32 v187, v68, 0
	v_cmp_ne_u32_e64 s15, 0, v68
	s_delay_alu instid0(VALU_DEP_2)
	v_cmp_eq_u32_e32 vcc_lo, 0, v187
	s_and_b32 s16, s15, vcc_lo
	s_wait_alu 0xfffe
	s_and_saveexec_b32 s15, s16
	s_cbranch_execz .LBB1124_1026
; %bb.1025:                             ;   in Loop: Header=BB1124_974 Depth=2
	s_wait_dscnt 0x0
	v_bcnt_u32_b32 v68, v68, v186
	ds_store_b32 v188, v68 offset:1056
.LBB1124_1026:                          ;   in Loop: Header=BB1124_974 Depth=2
	s_wait_alu 0xfffe
	s_or_b32 exec_lo, exec_lo, s15
	v_cmp_gt_i64_e32 vcc_lo, 0, v[66:67]
	v_ashrrev_i32_e32 v68, 31, v67
	; wave barrier
	s_delay_alu instid0(VALU_DEP_1) | instskip(SKIP_2) | instid1(VALU_DEP_2)
	v_not_b32_e32 v68, v68
	s_wait_alu 0xfffd
	v_cndmask_b32_e64 v69, 0x7fffffff, 0, vcc_lo
	v_xor_b32_e32 v66, v68, v66
	s_delay_alu instid0(VALU_DEP_2) | instskip(NEXT) | instid1(VALU_DEP_1)
	v_xor_b32_e32 v67, v69, v67
	v_cmp_ne_u64_e32 vcc_lo, s[34:35], v[66:67]
	s_wait_alu 0xfffd
	v_cndmask_b32_e32 v69, 0x7fffffff, v67, vcc_lo
	v_cndmask_b32_e32 v68, -1, v66, vcc_lo
	s_delay_alu instid0(VALU_DEP_1) | instskip(NEXT) | instid1(VALU_DEP_1)
	v_lshrrev_b64 v[68:69], s31, v[68:69]
	v_and_b32_e32 v69, s56, v68
	s_delay_alu instid0(VALU_DEP_1)
	v_and_b32_e32 v68, 1, v69
	v_lshlrev_b32_e32 v70, 30, v69
	v_lshlrev_b32_e32 v71, 29, v69
	;; [unrolled: 1-line block ×4, first 2 shown]
	v_add_co_u32 v68, s15, v68, -1
	s_wait_alu 0xf1ff
	v_cndmask_b32_e64 v73, 0, 1, s15
	v_not_b32_e32 v190, v70
	v_cmp_gt_i32_e64 s15, 0, v70
	v_not_b32_e32 v70, v71
	v_lshlrev_b32_e32 v75, 26, v69
	v_cmp_ne_u32_e32 vcc_lo, 0, v73
	v_ashrrev_i32_e32 v190, 31, v190
	v_lshlrev_b32_e32 v189, 25, v69
	v_ashrrev_i32_e32 v70, 31, v70
	v_lshlrev_b32_e32 v73, 24, v69
	s_wait_alu 0xfffd
	v_xor_b32_e32 v68, vcc_lo, v68
	v_cmp_gt_i32_e32 vcc_lo, 0, v71
	v_not_b32_e32 v71, v72
	s_wait_alu 0xf1ff
	v_xor_b32_e32 v190, s15, v190
	v_cmp_gt_i32_e64 s15, 0, v72
	v_and_b32_e32 v68, exec_lo, v68
	v_not_b32_e32 v72, v74
	v_ashrrev_i32_e32 v71, 31, v71
	s_wait_alu 0xfffd
	v_xor_b32_e32 v70, vcc_lo, v70
	v_cmp_gt_i32_e32 vcc_lo, 0, v74
	v_and_b32_e32 v68, v68, v190
	v_not_b32_e32 v74, v75
	v_ashrrev_i32_e32 v72, 31, v72
	s_wait_alu 0xf1ff
	v_xor_b32_e32 v71, s15, v71
	v_cmp_gt_i32_e64 s15, 0, v75
	v_and_b32_e32 v68, v68, v70
	v_not_b32_e32 v70, v189
	v_ashrrev_i32_e32 v74, 31, v74
	s_wait_alu 0xfffd
	v_xor_b32_e32 v72, vcc_lo, v72
	v_cmp_gt_i32_e32 vcc_lo, 0, v189
	v_and_b32_e32 v68, v68, v71
	v_not_b32_e32 v71, v73
	v_ashrrev_i32_e32 v70, 31, v70
	s_wait_alu 0xf1ff
	v_xor_b32_e32 v74, s15, v74
	v_cmp_gt_i32_e64 s15, 0, v73
	v_and_b32_e32 v68, v68, v72
	v_ashrrev_i32_e32 v71, 31, v71
	s_wait_alu 0xfffd
	v_xor_b32_e32 v70, vcc_lo, v70
	v_mad_u32_u24 v72, v69, 36, v145
	v_mul_u32_u24_e32 v69, 36, v69
	v_and_b32_e32 v68, v68, v74
	s_wait_alu 0xf1ff
	v_xor_b32_e32 v71, s15, v71
	ds_load_b32 v189, v72 offset:1056
	v_add_nc_u32_e32 v191, v145, v69
	v_and_b32_e32 v68, v68, v70
	; wave barrier
	s_delay_alu instid0(VALU_DEP_1) | instskip(NEXT) | instid1(VALU_DEP_1)
	v_and_b32_e32 v68, v68, v71
	v_mbcnt_lo_u32_b32 v190, v68, 0
	v_cmp_ne_u32_e64 s15, 0, v68
	s_delay_alu instid0(VALU_DEP_2)
	v_cmp_eq_u32_e32 vcc_lo, 0, v190
	s_and_b32 s16, s15, vcc_lo
	s_wait_alu 0xfffe
	s_and_saveexec_b32 s15, s16
	s_cbranch_execz .LBB1124_1028
; %bb.1027:                             ;   in Loop: Header=BB1124_974 Depth=2
	s_wait_dscnt 0x0
	v_bcnt_u32_b32 v68, v68, v189
	ds_store_b32 v191, v68 offset:1056
.LBB1124_1028:                          ;   in Loop: Header=BB1124_974 Depth=2
	s_wait_alu 0xfffe
	s_or_b32 exec_lo, exec_lo, s15
	v_cmp_gt_i64_e32 vcc_lo, 0, v[62:63]
	v_ashrrev_i32_e32 v68, 31, v63
	; wave barrier
	s_delay_alu instid0(VALU_DEP_1) | instskip(SKIP_2) | instid1(VALU_DEP_2)
	v_not_b32_e32 v68, v68
	s_wait_alu 0xfffd
	v_cndmask_b32_e64 v69, 0x7fffffff, 0, vcc_lo
	v_xor_b32_e32 v62, v68, v62
	s_delay_alu instid0(VALU_DEP_2) | instskip(NEXT) | instid1(VALU_DEP_1)
	v_xor_b32_e32 v63, v69, v63
	v_cmp_ne_u64_e32 vcc_lo, s[34:35], v[62:63]
	s_wait_alu 0xfffd
	v_cndmask_b32_e32 v69, 0x7fffffff, v63, vcc_lo
	v_cndmask_b32_e32 v68, -1, v62, vcc_lo
	s_delay_alu instid0(VALU_DEP_1) | instskip(NEXT) | instid1(VALU_DEP_1)
	v_lshrrev_b64 v[68:69], s31, v[68:69]
	v_and_b32_e32 v69, s56, v68
	s_delay_alu instid0(VALU_DEP_1)
	v_and_b32_e32 v68, 1, v69
	v_lshlrev_b32_e32 v70, 30, v69
	v_lshlrev_b32_e32 v71, 29, v69
	;; [unrolled: 1-line block ×4, first 2 shown]
	v_add_co_u32 v68, s15, v68, -1
	s_wait_alu 0xf1ff
	v_cndmask_b32_e64 v73, 0, 1, s15
	v_not_b32_e32 v193, v70
	v_cmp_gt_i32_e64 s15, 0, v70
	v_not_b32_e32 v70, v71
	v_lshlrev_b32_e32 v75, 26, v69
	v_cmp_ne_u32_e32 vcc_lo, 0, v73
	v_ashrrev_i32_e32 v193, 31, v193
	v_lshlrev_b32_e32 v192, 25, v69
	v_ashrrev_i32_e32 v70, 31, v70
	v_lshlrev_b32_e32 v73, 24, v69
	s_wait_alu 0xfffd
	v_xor_b32_e32 v68, vcc_lo, v68
	v_cmp_gt_i32_e32 vcc_lo, 0, v71
	v_not_b32_e32 v71, v72
	s_wait_alu 0xf1ff
	v_xor_b32_e32 v193, s15, v193
	v_cmp_gt_i32_e64 s15, 0, v72
	v_and_b32_e32 v68, exec_lo, v68
	v_not_b32_e32 v72, v74
	v_ashrrev_i32_e32 v71, 31, v71
	s_wait_alu 0xfffd
	v_xor_b32_e32 v70, vcc_lo, v70
	v_cmp_gt_i32_e32 vcc_lo, 0, v74
	v_and_b32_e32 v68, v68, v193
	v_not_b32_e32 v74, v75
	v_ashrrev_i32_e32 v72, 31, v72
	s_wait_alu 0xf1ff
	v_xor_b32_e32 v71, s15, v71
	v_cmp_gt_i32_e64 s15, 0, v75
	v_and_b32_e32 v68, v68, v70
	v_not_b32_e32 v70, v192
	v_ashrrev_i32_e32 v74, 31, v74
	s_wait_alu 0xfffd
	v_xor_b32_e32 v72, vcc_lo, v72
	v_cmp_gt_i32_e32 vcc_lo, 0, v192
	v_and_b32_e32 v68, v68, v71
	v_not_b32_e32 v71, v73
	v_ashrrev_i32_e32 v70, 31, v70
	s_wait_alu 0xf1ff
	v_xor_b32_e32 v74, s15, v74
	v_cmp_gt_i32_e64 s15, 0, v73
	v_and_b32_e32 v68, v68, v72
	v_ashrrev_i32_e32 v71, 31, v71
	s_wait_alu 0xfffd
	v_xor_b32_e32 v70, vcc_lo, v70
	v_mad_u32_u24 v72, v69, 36, v145
	v_mul_u32_u24_e32 v69, 36, v69
	v_and_b32_e32 v68, v68, v74
	s_wait_alu 0xf1ff
	v_xor_b32_e32 v71, s15, v71
	ds_load_b32 v192, v72 offset:1056
	v_add_nc_u32_e32 v194, v145, v69
	v_and_b32_e32 v68, v68, v70
	; wave barrier
	s_delay_alu instid0(VALU_DEP_1) | instskip(NEXT) | instid1(VALU_DEP_1)
	v_and_b32_e32 v68, v68, v71
	v_mbcnt_lo_u32_b32 v193, v68, 0
	v_cmp_ne_u32_e64 s15, 0, v68
	s_delay_alu instid0(VALU_DEP_2)
	v_cmp_eq_u32_e32 vcc_lo, 0, v193
	s_and_b32 s16, s15, vcc_lo
	s_wait_alu 0xfffe
	s_and_saveexec_b32 s15, s16
	s_cbranch_execz .LBB1124_1030
; %bb.1029:                             ;   in Loop: Header=BB1124_974 Depth=2
	s_wait_dscnt 0x0
	v_bcnt_u32_b32 v68, v68, v192
	ds_store_b32 v194, v68 offset:1056
.LBB1124_1030:                          ;   in Loop: Header=BB1124_974 Depth=2
	s_wait_alu 0xfffe
	s_or_b32 exec_lo, exec_lo, s15
	v_cmp_gt_i64_e32 vcc_lo, 0, v[58:59]
	v_ashrrev_i32_e32 v68, 31, v59
	; wave barrier
	s_delay_alu instid0(VALU_DEP_1) | instskip(SKIP_2) | instid1(VALU_DEP_2)
	v_not_b32_e32 v68, v68
	s_wait_alu 0xfffd
	v_cndmask_b32_e64 v69, 0x7fffffff, 0, vcc_lo
	v_xor_b32_e32 v58, v68, v58
	s_delay_alu instid0(VALU_DEP_2) | instskip(NEXT) | instid1(VALU_DEP_1)
	v_xor_b32_e32 v59, v69, v59
	v_cmp_ne_u64_e32 vcc_lo, s[34:35], v[58:59]
	s_wait_alu 0xfffd
	v_cndmask_b32_e32 v69, 0x7fffffff, v59, vcc_lo
	v_cndmask_b32_e32 v68, -1, v58, vcc_lo
	s_delay_alu instid0(VALU_DEP_1) | instskip(NEXT) | instid1(VALU_DEP_1)
	v_lshrrev_b64 v[68:69], s31, v[68:69]
	v_and_b32_e32 v69, s56, v68
	s_delay_alu instid0(VALU_DEP_1)
	v_and_b32_e32 v68, 1, v69
	v_lshlrev_b32_e32 v70, 30, v69
	v_lshlrev_b32_e32 v71, 29, v69
	;; [unrolled: 1-line block ×4, first 2 shown]
	v_add_co_u32 v68, s15, v68, -1
	s_wait_alu 0xf1ff
	v_cndmask_b32_e64 v73, 0, 1, s15
	v_not_b32_e32 v196, v70
	v_cmp_gt_i32_e64 s15, 0, v70
	v_not_b32_e32 v70, v71
	v_lshlrev_b32_e32 v75, 26, v69
	v_cmp_ne_u32_e32 vcc_lo, 0, v73
	v_ashrrev_i32_e32 v196, 31, v196
	v_lshlrev_b32_e32 v195, 25, v69
	v_ashrrev_i32_e32 v70, 31, v70
	v_lshlrev_b32_e32 v73, 24, v69
	s_wait_alu 0xfffd
	v_xor_b32_e32 v68, vcc_lo, v68
	v_cmp_gt_i32_e32 vcc_lo, 0, v71
	v_not_b32_e32 v71, v72
	s_wait_alu 0xf1ff
	v_xor_b32_e32 v196, s15, v196
	v_cmp_gt_i32_e64 s15, 0, v72
	v_and_b32_e32 v68, exec_lo, v68
	v_not_b32_e32 v72, v74
	v_ashrrev_i32_e32 v71, 31, v71
	s_wait_alu 0xfffd
	v_xor_b32_e32 v70, vcc_lo, v70
	v_cmp_gt_i32_e32 vcc_lo, 0, v74
	v_and_b32_e32 v68, v68, v196
	v_not_b32_e32 v74, v75
	v_ashrrev_i32_e32 v72, 31, v72
	s_wait_alu 0xf1ff
	v_xor_b32_e32 v71, s15, v71
	v_cmp_gt_i32_e64 s15, 0, v75
	v_and_b32_e32 v68, v68, v70
	v_not_b32_e32 v70, v195
	v_ashrrev_i32_e32 v74, 31, v74
	s_wait_alu 0xfffd
	v_xor_b32_e32 v72, vcc_lo, v72
	v_cmp_gt_i32_e32 vcc_lo, 0, v195
	v_and_b32_e32 v68, v68, v71
	v_not_b32_e32 v71, v73
	v_ashrrev_i32_e32 v70, 31, v70
	s_wait_alu 0xf1ff
	v_xor_b32_e32 v74, s15, v74
	v_cmp_gt_i32_e64 s15, 0, v73
	v_and_b32_e32 v68, v68, v72
	v_ashrrev_i32_e32 v71, 31, v71
	s_wait_alu 0xfffd
	v_xor_b32_e32 v70, vcc_lo, v70
	v_mad_u32_u24 v72, v69, 36, v145
	v_mul_u32_u24_e32 v69, 36, v69
	v_and_b32_e32 v68, v68, v74
	s_wait_alu 0xf1ff
	v_xor_b32_e32 v71, s15, v71
	ds_load_b32 v195, v72 offset:1056
	v_add_nc_u32_e32 v197, v145, v69
	v_and_b32_e32 v68, v68, v70
	; wave barrier
	s_delay_alu instid0(VALU_DEP_1) | instskip(NEXT) | instid1(VALU_DEP_1)
	v_and_b32_e32 v68, v68, v71
	v_mbcnt_lo_u32_b32 v196, v68, 0
	v_cmp_ne_u32_e64 s15, 0, v68
	s_delay_alu instid0(VALU_DEP_2)
	v_cmp_eq_u32_e32 vcc_lo, 0, v196
	s_and_b32 s16, s15, vcc_lo
	s_wait_alu 0xfffe
	s_and_saveexec_b32 s15, s16
	s_cbranch_execz .LBB1124_1032
; %bb.1031:                             ;   in Loop: Header=BB1124_974 Depth=2
	s_wait_dscnt 0x0
	v_bcnt_u32_b32 v68, v68, v195
	ds_store_b32 v197, v68 offset:1056
.LBB1124_1032:                          ;   in Loop: Header=BB1124_974 Depth=2
	s_wait_alu 0xfffe
	s_or_b32 exec_lo, exec_lo, s15
	v_cmp_gt_i64_e32 vcc_lo, 0, v[54:55]
	v_ashrrev_i32_e32 v68, 31, v55
	; wave barrier
	s_delay_alu instid0(VALU_DEP_1) | instskip(SKIP_2) | instid1(VALU_DEP_2)
	v_not_b32_e32 v68, v68
	s_wait_alu 0xfffd
	v_cndmask_b32_e64 v69, 0x7fffffff, 0, vcc_lo
	v_xor_b32_e32 v54, v68, v54
	s_delay_alu instid0(VALU_DEP_2) | instskip(NEXT) | instid1(VALU_DEP_1)
	v_xor_b32_e32 v55, v69, v55
	v_cmp_ne_u64_e32 vcc_lo, s[34:35], v[54:55]
	s_wait_alu 0xfffd
	v_cndmask_b32_e32 v69, 0x7fffffff, v55, vcc_lo
	v_cndmask_b32_e32 v68, -1, v54, vcc_lo
	s_delay_alu instid0(VALU_DEP_1) | instskip(NEXT) | instid1(VALU_DEP_1)
	v_lshrrev_b64 v[68:69], s31, v[68:69]
	v_and_b32_e32 v69, s56, v68
	s_delay_alu instid0(VALU_DEP_1)
	v_and_b32_e32 v68, 1, v69
	v_lshlrev_b32_e32 v70, 30, v69
	v_lshlrev_b32_e32 v71, 29, v69
	;; [unrolled: 1-line block ×4, first 2 shown]
	v_add_co_u32 v68, s15, v68, -1
	s_wait_alu 0xf1ff
	v_cndmask_b32_e64 v73, 0, 1, s15
	v_not_b32_e32 v199, v70
	v_cmp_gt_i32_e64 s15, 0, v70
	v_not_b32_e32 v70, v71
	v_lshlrev_b32_e32 v75, 26, v69
	v_cmp_ne_u32_e32 vcc_lo, 0, v73
	v_ashrrev_i32_e32 v199, 31, v199
	v_lshlrev_b32_e32 v198, 25, v69
	v_ashrrev_i32_e32 v70, 31, v70
	v_lshlrev_b32_e32 v73, 24, v69
	s_wait_alu 0xfffd
	v_xor_b32_e32 v68, vcc_lo, v68
	v_cmp_gt_i32_e32 vcc_lo, 0, v71
	v_not_b32_e32 v71, v72
	s_wait_alu 0xf1ff
	v_xor_b32_e32 v199, s15, v199
	v_cmp_gt_i32_e64 s15, 0, v72
	v_and_b32_e32 v68, exec_lo, v68
	v_not_b32_e32 v72, v74
	v_ashrrev_i32_e32 v71, 31, v71
	s_wait_alu 0xfffd
	v_xor_b32_e32 v70, vcc_lo, v70
	v_cmp_gt_i32_e32 vcc_lo, 0, v74
	v_and_b32_e32 v68, v68, v199
	v_not_b32_e32 v74, v75
	v_ashrrev_i32_e32 v72, 31, v72
	s_wait_alu 0xf1ff
	v_xor_b32_e32 v71, s15, v71
	v_cmp_gt_i32_e64 s15, 0, v75
	v_and_b32_e32 v68, v68, v70
	v_not_b32_e32 v70, v198
	v_ashrrev_i32_e32 v74, 31, v74
	s_wait_alu 0xfffd
	v_xor_b32_e32 v72, vcc_lo, v72
	v_cmp_gt_i32_e32 vcc_lo, 0, v198
	v_and_b32_e32 v68, v68, v71
	v_not_b32_e32 v71, v73
	v_ashrrev_i32_e32 v70, 31, v70
	s_wait_alu 0xf1ff
	v_xor_b32_e32 v74, s15, v74
	v_cmp_gt_i32_e64 s15, 0, v73
	v_and_b32_e32 v68, v68, v72
	v_ashrrev_i32_e32 v71, 31, v71
	s_wait_alu 0xfffd
	v_xor_b32_e32 v70, vcc_lo, v70
	v_mad_u32_u24 v72, v69, 36, v145
	v_mul_u32_u24_e32 v69, 36, v69
	v_and_b32_e32 v68, v68, v74
	s_wait_alu 0xf1ff
	v_xor_b32_e32 v71, s15, v71
	ds_load_b32 v198, v72 offset:1056
	v_add_nc_u32_e32 v200, v145, v69
	v_and_b32_e32 v68, v68, v70
	; wave barrier
	s_delay_alu instid0(VALU_DEP_1) | instskip(NEXT) | instid1(VALU_DEP_1)
	v_and_b32_e32 v68, v68, v71
	v_mbcnt_lo_u32_b32 v199, v68, 0
	v_cmp_ne_u32_e64 s15, 0, v68
	s_delay_alu instid0(VALU_DEP_2)
	v_cmp_eq_u32_e32 vcc_lo, 0, v199
	s_and_b32 s16, s15, vcc_lo
	s_wait_alu 0xfffe
	s_and_saveexec_b32 s15, s16
	s_cbranch_execz .LBB1124_1034
; %bb.1033:                             ;   in Loop: Header=BB1124_974 Depth=2
	s_wait_dscnt 0x0
	v_bcnt_u32_b32 v68, v68, v198
	ds_store_b32 v200, v68 offset:1056
.LBB1124_1034:                          ;   in Loop: Header=BB1124_974 Depth=2
	s_wait_alu 0xfffe
	s_or_b32 exec_lo, exec_lo, s15
	v_cmp_gt_i64_e32 vcc_lo, 0, v[50:51]
	v_ashrrev_i32_e32 v68, 31, v51
	; wave barrier
	s_delay_alu instid0(VALU_DEP_1) | instskip(SKIP_2) | instid1(VALU_DEP_2)
	v_not_b32_e32 v68, v68
	s_wait_alu 0xfffd
	v_cndmask_b32_e64 v69, 0x7fffffff, 0, vcc_lo
	v_xor_b32_e32 v50, v68, v50
	s_delay_alu instid0(VALU_DEP_2) | instskip(NEXT) | instid1(VALU_DEP_1)
	v_xor_b32_e32 v51, v69, v51
	v_cmp_ne_u64_e32 vcc_lo, s[34:35], v[50:51]
	s_wait_alu 0xfffd
	v_cndmask_b32_e32 v69, 0x7fffffff, v51, vcc_lo
	v_cndmask_b32_e32 v68, -1, v50, vcc_lo
	s_delay_alu instid0(VALU_DEP_1) | instskip(NEXT) | instid1(VALU_DEP_1)
	v_lshrrev_b64 v[68:69], s31, v[68:69]
	v_and_b32_e32 v69, s56, v68
	s_delay_alu instid0(VALU_DEP_1)
	v_and_b32_e32 v68, 1, v69
	v_lshlrev_b32_e32 v70, 30, v69
	v_lshlrev_b32_e32 v71, 29, v69
	;; [unrolled: 1-line block ×4, first 2 shown]
	v_add_co_u32 v68, s15, v68, -1
	s_wait_alu 0xf1ff
	v_cndmask_b32_e64 v73, 0, 1, s15
	v_not_b32_e32 v202, v70
	v_cmp_gt_i32_e64 s15, 0, v70
	v_not_b32_e32 v70, v71
	v_lshlrev_b32_e32 v75, 26, v69
	v_cmp_ne_u32_e32 vcc_lo, 0, v73
	v_ashrrev_i32_e32 v202, 31, v202
	v_lshlrev_b32_e32 v201, 25, v69
	v_ashrrev_i32_e32 v70, 31, v70
	v_lshlrev_b32_e32 v73, 24, v69
	s_wait_alu 0xfffd
	v_xor_b32_e32 v68, vcc_lo, v68
	v_cmp_gt_i32_e32 vcc_lo, 0, v71
	v_not_b32_e32 v71, v72
	s_wait_alu 0xf1ff
	v_xor_b32_e32 v202, s15, v202
	v_cmp_gt_i32_e64 s15, 0, v72
	v_and_b32_e32 v68, exec_lo, v68
	v_not_b32_e32 v72, v74
	v_ashrrev_i32_e32 v71, 31, v71
	s_wait_alu 0xfffd
	v_xor_b32_e32 v70, vcc_lo, v70
	v_cmp_gt_i32_e32 vcc_lo, 0, v74
	v_and_b32_e32 v68, v68, v202
	v_not_b32_e32 v74, v75
	v_ashrrev_i32_e32 v72, 31, v72
	s_wait_alu 0xf1ff
	v_xor_b32_e32 v71, s15, v71
	v_cmp_gt_i32_e64 s15, 0, v75
	v_and_b32_e32 v68, v68, v70
	v_not_b32_e32 v70, v201
	v_ashrrev_i32_e32 v74, 31, v74
	s_wait_alu 0xfffd
	v_xor_b32_e32 v72, vcc_lo, v72
	v_cmp_gt_i32_e32 vcc_lo, 0, v201
	v_and_b32_e32 v68, v68, v71
	v_not_b32_e32 v71, v73
	v_ashrrev_i32_e32 v70, 31, v70
	s_wait_alu 0xf1ff
	v_xor_b32_e32 v74, s15, v74
	v_cmp_gt_i32_e64 s15, 0, v73
	v_and_b32_e32 v68, v68, v72
	v_ashrrev_i32_e32 v71, 31, v71
	s_wait_alu 0xfffd
	v_xor_b32_e32 v70, vcc_lo, v70
	v_mad_u32_u24 v72, v69, 36, v145
	v_mul_u32_u24_e32 v69, 36, v69
	v_and_b32_e32 v68, v68, v74
	s_wait_alu 0xf1ff
	v_xor_b32_e32 v71, s15, v71
	ds_load_b32 v201, v72 offset:1056
	v_add_nc_u32_e32 v203, v145, v69
	v_and_b32_e32 v68, v68, v70
	; wave barrier
	s_delay_alu instid0(VALU_DEP_1) | instskip(NEXT) | instid1(VALU_DEP_1)
	v_and_b32_e32 v68, v68, v71
	v_mbcnt_lo_u32_b32 v202, v68, 0
	v_cmp_ne_u32_e64 s15, 0, v68
	s_delay_alu instid0(VALU_DEP_2)
	v_cmp_eq_u32_e32 vcc_lo, 0, v202
	s_and_b32 s16, s15, vcc_lo
	s_wait_alu 0xfffe
	s_and_saveexec_b32 s15, s16
	s_cbranch_execz .LBB1124_1036
; %bb.1035:                             ;   in Loop: Header=BB1124_974 Depth=2
	s_wait_dscnt 0x0
	v_bcnt_u32_b32 v68, v68, v201
	ds_store_b32 v203, v68 offset:1056
.LBB1124_1036:                          ;   in Loop: Header=BB1124_974 Depth=2
	s_wait_alu 0xfffe
	s_or_b32 exec_lo, exec_lo, s15
	v_cmp_gt_i64_e32 vcc_lo, 0, v[46:47]
	v_ashrrev_i32_e32 v68, 31, v47
	; wave barrier
	s_delay_alu instid0(VALU_DEP_1) | instskip(SKIP_2) | instid1(VALU_DEP_2)
	v_not_b32_e32 v68, v68
	s_wait_alu 0xfffd
	v_cndmask_b32_e64 v69, 0x7fffffff, 0, vcc_lo
	v_xor_b32_e32 v46, v68, v46
	s_delay_alu instid0(VALU_DEP_2) | instskip(NEXT) | instid1(VALU_DEP_1)
	v_xor_b32_e32 v47, v69, v47
	v_cmp_ne_u64_e32 vcc_lo, s[34:35], v[46:47]
	s_wait_alu 0xfffd
	v_cndmask_b32_e32 v69, 0x7fffffff, v47, vcc_lo
	v_cndmask_b32_e32 v68, -1, v46, vcc_lo
	s_delay_alu instid0(VALU_DEP_1) | instskip(NEXT) | instid1(VALU_DEP_1)
	v_lshrrev_b64 v[68:69], s31, v[68:69]
	v_and_b32_e32 v69, s56, v68
	s_delay_alu instid0(VALU_DEP_1)
	v_and_b32_e32 v68, 1, v69
	v_lshlrev_b32_e32 v70, 30, v69
	v_lshlrev_b32_e32 v71, 29, v69
	;; [unrolled: 1-line block ×4, first 2 shown]
	v_add_co_u32 v68, s15, v68, -1
	s_wait_alu 0xf1ff
	v_cndmask_b32_e64 v73, 0, 1, s15
	v_not_b32_e32 v205, v70
	v_cmp_gt_i32_e64 s15, 0, v70
	v_not_b32_e32 v70, v71
	v_lshlrev_b32_e32 v75, 26, v69
	v_cmp_ne_u32_e32 vcc_lo, 0, v73
	v_ashrrev_i32_e32 v205, 31, v205
	v_lshlrev_b32_e32 v204, 25, v69
	v_ashrrev_i32_e32 v70, 31, v70
	v_lshlrev_b32_e32 v73, 24, v69
	s_wait_alu 0xfffd
	v_xor_b32_e32 v68, vcc_lo, v68
	v_cmp_gt_i32_e32 vcc_lo, 0, v71
	v_not_b32_e32 v71, v72
	s_wait_alu 0xf1ff
	v_xor_b32_e32 v205, s15, v205
	v_cmp_gt_i32_e64 s15, 0, v72
	v_and_b32_e32 v68, exec_lo, v68
	v_not_b32_e32 v72, v74
	v_ashrrev_i32_e32 v71, 31, v71
	s_wait_alu 0xfffd
	v_xor_b32_e32 v70, vcc_lo, v70
	v_cmp_gt_i32_e32 vcc_lo, 0, v74
	v_and_b32_e32 v68, v68, v205
	v_not_b32_e32 v74, v75
	v_ashrrev_i32_e32 v72, 31, v72
	s_wait_alu 0xf1ff
	v_xor_b32_e32 v71, s15, v71
	v_cmp_gt_i32_e64 s15, 0, v75
	v_and_b32_e32 v68, v68, v70
	v_not_b32_e32 v70, v204
	v_ashrrev_i32_e32 v74, 31, v74
	s_wait_alu 0xfffd
	v_xor_b32_e32 v72, vcc_lo, v72
	v_cmp_gt_i32_e32 vcc_lo, 0, v204
	v_and_b32_e32 v68, v68, v71
	v_not_b32_e32 v71, v73
	v_ashrrev_i32_e32 v70, 31, v70
	s_wait_alu 0xf1ff
	v_xor_b32_e32 v74, s15, v74
	v_cmp_gt_i32_e64 s15, 0, v73
	v_and_b32_e32 v68, v68, v72
	v_ashrrev_i32_e32 v71, 31, v71
	s_wait_alu 0xfffd
	v_xor_b32_e32 v70, vcc_lo, v70
	v_mad_u32_u24 v72, v69, 36, v145
	v_mul_u32_u24_e32 v69, 36, v69
	v_and_b32_e32 v68, v68, v74
	s_wait_alu 0xf1ff
	v_xor_b32_e32 v71, s15, v71
	ds_load_b32 v204, v72 offset:1056
	v_add_nc_u32_e32 v206, v145, v69
	v_and_b32_e32 v68, v68, v70
	; wave barrier
	s_delay_alu instid0(VALU_DEP_1) | instskip(NEXT) | instid1(VALU_DEP_1)
	v_and_b32_e32 v68, v68, v71
	v_mbcnt_lo_u32_b32 v205, v68, 0
	v_cmp_ne_u32_e64 s15, 0, v68
	s_delay_alu instid0(VALU_DEP_2)
	v_cmp_eq_u32_e32 vcc_lo, 0, v205
	s_and_b32 s16, s15, vcc_lo
	s_wait_alu 0xfffe
	s_and_saveexec_b32 s15, s16
	s_cbranch_execz .LBB1124_1038
; %bb.1037:                             ;   in Loop: Header=BB1124_974 Depth=2
	s_wait_dscnt 0x0
	v_bcnt_u32_b32 v68, v68, v204
	ds_store_b32 v206, v68 offset:1056
.LBB1124_1038:                          ;   in Loop: Header=BB1124_974 Depth=2
	s_wait_alu 0xfffe
	s_or_b32 exec_lo, exec_lo, s15
	v_cmp_gt_i64_e32 vcc_lo, 0, v[44:45]
	v_ashrrev_i32_e32 v68, 31, v45
	; wave barrier
	s_delay_alu instid0(VALU_DEP_1) | instskip(SKIP_2) | instid1(VALU_DEP_2)
	v_not_b32_e32 v68, v68
	s_wait_alu 0xfffd
	v_cndmask_b32_e64 v69, 0x7fffffff, 0, vcc_lo
	v_xor_b32_e32 v44, v68, v44
	s_delay_alu instid0(VALU_DEP_2) | instskip(NEXT) | instid1(VALU_DEP_1)
	v_xor_b32_e32 v45, v69, v45
	v_cmp_ne_u64_e32 vcc_lo, s[34:35], v[44:45]
	s_wait_alu 0xfffd
	v_cndmask_b32_e32 v69, 0x7fffffff, v45, vcc_lo
	v_cndmask_b32_e32 v68, -1, v44, vcc_lo
	s_delay_alu instid0(VALU_DEP_1) | instskip(NEXT) | instid1(VALU_DEP_1)
	v_lshrrev_b64 v[68:69], s31, v[68:69]
	v_and_b32_e32 v69, s56, v68
	s_delay_alu instid0(VALU_DEP_1)
	v_and_b32_e32 v68, 1, v69
	v_lshlrev_b32_e32 v70, 30, v69
	v_lshlrev_b32_e32 v71, 29, v69
	;; [unrolled: 1-line block ×4, first 2 shown]
	v_add_co_u32 v68, s15, v68, -1
	s_wait_alu 0xf1ff
	v_cndmask_b32_e64 v73, 0, 1, s15
	v_not_b32_e32 v208, v70
	v_cmp_gt_i32_e64 s15, 0, v70
	v_not_b32_e32 v70, v71
	v_lshlrev_b32_e32 v75, 26, v69
	v_cmp_ne_u32_e32 vcc_lo, 0, v73
	v_ashrrev_i32_e32 v208, 31, v208
	v_lshlrev_b32_e32 v207, 25, v69
	v_ashrrev_i32_e32 v70, 31, v70
	v_lshlrev_b32_e32 v73, 24, v69
	s_wait_alu 0xfffd
	v_xor_b32_e32 v68, vcc_lo, v68
	v_cmp_gt_i32_e32 vcc_lo, 0, v71
	v_not_b32_e32 v71, v72
	s_wait_alu 0xf1ff
	v_xor_b32_e32 v208, s15, v208
	v_cmp_gt_i32_e64 s15, 0, v72
	v_and_b32_e32 v68, exec_lo, v68
	v_not_b32_e32 v72, v74
	v_ashrrev_i32_e32 v71, 31, v71
	s_wait_alu 0xfffd
	v_xor_b32_e32 v70, vcc_lo, v70
	v_cmp_gt_i32_e32 vcc_lo, 0, v74
	v_and_b32_e32 v68, v68, v208
	v_not_b32_e32 v74, v75
	v_ashrrev_i32_e32 v72, 31, v72
	s_wait_alu 0xf1ff
	v_xor_b32_e32 v71, s15, v71
	v_cmp_gt_i32_e64 s15, 0, v75
	v_and_b32_e32 v68, v68, v70
	v_not_b32_e32 v70, v207
	v_ashrrev_i32_e32 v74, 31, v74
	s_wait_alu 0xfffd
	v_xor_b32_e32 v72, vcc_lo, v72
	v_cmp_gt_i32_e32 vcc_lo, 0, v207
	v_and_b32_e32 v68, v68, v71
	v_not_b32_e32 v71, v73
	v_ashrrev_i32_e32 v70, 31, v70
	s_wait_alu 0xf1ff
	v_xor_b32_e32 v74, s15, v74
	v_cmp_gt_i32_e64 s15, 0, v73
	v_and_b32_e32 v68, v68, v72
	v_ashrrev_i32_e32 v71, 31, v71
	s_wait_alu 0xfffd
	v_xor_b32_e32 v70, vcc_lo, v70
	v_mad_u32_u24 v72, v69, 36, v145
	v_mul_u32_u24_e32 v69, 36, v69
	v_and_b32_e32 v68, v68, v74
	s_wait_alu 0xf1ff
	v_xor_b32_e32 v71, s15, v71
	ds_load_b32 v207, v72 offset:1056
	v_add_nc_u32_e32 v209, v145, v69
	v_and_b32_e32 v68, v68, v70
	; wave barrier
	s_delay_alu instid0(VALU_DEP_1) | instskip(NEXT) | instid1(VALU_DEP_1)
	v_and_b32_e32 v68, v68, v71
	v_mbcnt_lo_u32_b32 v208, v68, 0
	v_cmp_ne_u32_e64 s15, 0, v68
	s_delay_alu instid0(VALU_DEP_2)
	v_cmp_eq_u32_e32 vcc_lo, 0, v208
	s_and_b32 s16, s15, vcc_lo
	s_wait_alu 0xfffe
	s_and_saveexec_b32 s15, s16
	s_cbranch_execz .LBB1124_1040
; %bb.1039:                             ;   in Loop: Header=BB1124_974 Depth=2
	s_wait_dscnt 0x0
	v_bcnt_u32_b32 v68, v68, v207
	ds_store_b32 v209, v68 offset:1056
.LBB1124_1040:                          ;   in Loop: Header=BB1124_974 Depth=2
	s_wait_alu 0xfffe
	s_or_b32 exec_lo, exec_lo, s15
	v_cmp_gt_i64_e32 vcc_lo, 0, v[42:43]
	v_ashrrev_i32_e32 v68, 31, v43
	; wave barrier
	s_delay_alu instid0(VALU_DEP_1) | instskip(SKIP_2) | instid1(VALU_DEP_2)
	v_not_b32_e32 v68, v68
	s_wait_alu 0xfffd
	v_cndmask_b32_e64 v69, 0x7fffffff, 0, vcc_lo
	v_xor_b32_e32 v42, v68, v42
	s_delay_alu instid0(VALU_DEP_2) | instskip(NEXT) | instid1(VALU_DEP_1)
	v_xor_b32_e32 v43, v69, v43
	v_cmp_ne_u64_e32 vcc_lo, s[34:35], v[42:43]
	s_wait_alu 0xfffd
	v_cndmask_b32_e32 v69, 0x7fffffff, v43, vcc_lo
	v_cndmask_b32_e32 v68, -1, v42, vcc_lo
	s_delay_alu instid0(VALU_DEP_1) | instskip(NEXT) | instid1(VALU_DEP_1)
	v_lshrrev_b64 v[68:69], s31, v[68:69]
	v_and_b32_e32 v69, s56, v68
	s_delay_alu instid0(VALU_DEP_1)
	v_and_b32_e32 v68, 1, v69
	v_lshlrev_b32_e32 v70, 30, v69
	v_lshlrev_b32_e32 v71, 29, v69
	v_lshlrev_b32_e32 v72, 28, v69
	v_lshlrev_b32_e32 v74, 27, v69
	v_add_co_u32 v68, s15, v68, -1
	s_wait_alu 0xf1ff
	v_cndmask_b32_e64 v73, 0, 1, s15
	v_not_b32_e32 v211, v70
	v_cmp_gt_i32_e64 s15, 0, v70
	v_not_b32_e32 v70, v71
	v_lshlrev_b32_e32 v75, 26, v69
	v_cmp_ne_u32_e32 vcc_lo, 0, v73
	v_ashrrev_i32_e32 v211, 31, v211
	v_lshlrev_b32_e32 v210, 25, v69
	v_ashrrev_i32_e32 v70, 31, v70
	v_lshlrev_b32_e32 v73, 24, v69
	s_wait_alu 0xfffd
	v_xor_b32_e32 v68, vcc_lo, v68
	v_cmp_gt_i32_e32 vcc_lo, 0, v71
	v_not_b32_e32 v71, v72
	s_wait_alu 0xf1ff
	v_xor_b32_e32 v211, s15, v211
	v_cmp_gt_i32_e64 s15, 0, v72
	v_and_b32_e32 v68, exec_lo, v68
	v_not_b32_e32 v72, v74
	v_ashrrev_i32_e32 v71, 31, v71
	s_wait_alu 0xfffd
	v_xor_b32_e32 v70, vcc_lo, v70
	v_cmp_gt_i32_e32 vcc_lo, 0, v74
	v_and_b32_e32 v68, v68, v211
	v_not_b32_e32 v74, v75
	v_ashrrev_i32_e32 v72, 31, v72
	s_wait_alu 0xf1ff
	v_xor_b32_e32 v71, s15, v71
	v_cmp_gt_i32_e64 s15, 0, v75
	v_and_b32_e32 v68, v68, v70
	v_not_b32_e32 v70, v210
	v_ashrrev_i32_e32 v74, 31, v74
	s_wait_alu 0xfffd
	v_xor_b32_e32 v72, vcc_lo, v72
	v_cmp_gt_i32_e32 vcc_lo, 0, v210
	v_and_b32_e32 v68, v68, v71
	v_not_b32_e32 v71, v73
	v_ashrrev_i32_e32 v70, 31, v70
	s_wait_alu 0xf1ff
	v_xor_b32_e32 v74, s15, v74
	v_cmp_gt_i32_e64 s15, 0, v73
	v_and_b32_e32 v68, v68, v72
	v_ashrrev_i32_e32 v71, 31, v71
	s_wait_alu 0xfffd
	v_xor_b32_e32 v70, vcc_lo, v70
	v_mad_u32_u24 v72, v69, 36, v145
	v_mul_u32_u24_e32 v69, 36, v69
	v_and_b32_e32 v68, v68, v74
	s_wait_alu 0xf1ff
	v_xor_b32_e32 v71, s15, v71
	ds_load_b32 v210, v72 offset:1056
	v_add_nc_u32_e32 v212, v145, v69
	v_and_b32_e32 v68, v68, v70
	; wave barrier
	s_delay_alu instid0(VALU_DEP_1) | instskip(NEXT) | instid1(VALU_DEP_1)
	v_and_b32_e32 v68, v68, v71
	v_mbcnt_lo_u32_b32 v211, v68, 0
	v_cmp_ne_u32_e64 s15, 0, v68
	s_delay_alu instid0(VALU_DEP_2)
	v_cmp_eq_u32_e32 vcc_lo, 0, v211
	s_and_b32 s16, s15, vcc_lo
	s_wait_alu 0xfffe
	s_and_saveexec_b32 s15, s16
	s_cbranch_execz .LBB1124_1042
; %bb.1041:                             ;   in Loop: Header=BB1124_974 Depth=2
	s_wait_dscnt 0x0
	v_bcnt_u32_b32 v68, v68, v210
	ds_store_b32 v212, v68 offset:1056
.LBB1124_1042:                          ;   in Loop: Header=BB1124_974 Depth=2
	s_wait_alu 0xfffe
	s_or_b32 exec_lo, exec_lo, s15
	; wave barrier
	s_wait_loadcnt_dscnt 0x0
	s_barrier_signal -1
	s_barrier_wait -1
	global_inv scope:SCOPE_SE
	ds_load_2addr_b32 v[74:75], v164 offset1:1
	ds_load_2addr_b32 v[72:73], v165 offset1:1
	;; [unrolled: 1-line block ×4, first 2 shown]
	ds_load_b32 v213, v101 offset:1088
	s_wait_dscnt 0x3
	v_add3_u32 v214, v75, v74, v72
	s_wait_dscnt 0x2
	s_delay_alu instid0(VALU_DEP_1) | instskip(SKIP_1) | instid1(VALU_DEP_1)
	v_add3_u32 v214, v214, v73, v70
	s_wait_dscnt 0x1
	v_add3_u32 v214, v214, v71, v68
	s_wait_dscnt 0x0
	s_delay_alu instid0(VALU_DEP_1) | instskip(NEXT) | instid1(VALU_DEP_1)
	v_add3_u32 v213, v214, v69, v213
	v_mov_b32_dpp v214, v213 row_shr:1 row_mask:0xf bank_mask:0xf
	s_delay_alu instid0(VALU_DEP_1) | instskip(NEXT) | instid1(VALU_DEP_1)
	v_cndmask_b32_e64 v214, v214, 0, s6
	v_add_nc_u32_e32 v213, v214, v213
	s_delay_alu instid0(VALU_DEP_1) | instskip(NEXT) | instid1(VALU_DEP_1)
	v_mov_b32_dpp v214, v213 row_shr:2 row_mask:0xf bank_mask:0xf
	v_cndmask_b32_e64 v214, 0, v214, s7
	s_delay_alu instid0(VALU_DEP_1) | instskip(NEXT) | instid1(VALU_DEP_1)
	v_add_nc_u32_e32 v213, v213, v214
	v_mov_b32_dpp v214, v213 row_shr:4 row_mask:0xf bank_mask:0xf
	s_delay_alu instid0(VALU_DEP_1) | instskip(NEXT) | instid1(VALU_DEP_1)
	v_cndmask_b32_e64 v214, 0, v214, s8
	v_add_nc_u32_e32 v213, v213, v214
	s_delay_alu instid0(VALU_DEP_1) | instskip(NEXT) | instid1(VALU_DEP_1)
	v_mov_b32_dpp v214, v213 row_shr:8 row_mask:0xf bank_mask:0xf
	v_cndmask_b32_e64 v214, 0, v214, s9
	s_delay_alu instid0(VALU_DEP_1) | instskip(SKIP_3) | instid1(VALU_DEP_1)
	v_add_nc_u32_e32 v213, v213, v214
	ds_swizzle_b32 v214, v213 offset:swizzle(BROADCAST,32,15)
	s_wait_dscnt 0x0
	v_cndmask_b32_e64 v214, v214, 0, s10
	v_add_nc_u32_e32 v213, v213, v214
	s_and_saveexec_b32 s15, s3
; %bb.1043:                             ;   in Loop: Header=BB1124_974 Depth=2
	ds_store_b32 v95, v213 offset:1024
; %bb.1044:                             ;   in Loop: Header=BB1124_974 Depth=2
	s_wait_alu 0xfffe
	s_or_b32 exec_lo, exec_lo, s15
	s_wait_loadcnt_dscnt 0x0
	s_barrier_signal -1
	s_barrier_wait -1
	global_inv scope:SCOPE_SE
	s_and_saveexec_b32 s15, s4
	s_cbranch_execz .LBB1124_1046
; %bb.1045:                             ;   in Loop: Header=BB1124_974 Depth=2
	ds_load_b32 v214, v103 offset:1024
	s_wait_dscnt 0x0
	v_mov_b32_dpp v215, v214 row_shr:1 row_mask:0xf bank_mask:0xf
	s_delay_alu instid0(VALU_DEP_1) | instskip(NEXT) | instid1(VALU_DEP_1)
	v_cndmask_b32_e64 v215, v215, 0, s12
	v_add_nc_u32_e32 v214, v215, v214
	s_delay_alu instid0(VALU_DEP_1) | instskip(NEXT) | instid1(VALU_DEP_1)
	v_mov_b32_dpp v215, v214 row_shr:2 row_mask:0xf bank_mask:0xf
	v_cndmask_b32_e64 v215, 0, v215, s13
	s_delay_alu instid0(VALU_DEP_1) | instskip(NEXT) | instid1(VALU_DEP_1)
	v_add_nc_u32_e32 v214, v214, v215
	v_mov_b32_dpp v215, v214 row_shr:4 row_mask:0xf bank_mask:0xf
	s_delay_alu instid0(VALU_DEP_1) | instskip(NEXT) | instid1(VALU_DEP_1)
	v_cndmask_b32_e64 v215, 0, v215, s14
	v_add_nc_u32_e32 v214, v214, v215
	ds_store_b32 v103, v214 offset:1024
.LBB1124_1046:                          ;   in Loop: Header=BB1124_974 Depth=2
	s_wait_alu 0xfffe
	s_or_b32 exec_lo, exec_lo, s15
	v_mov_b32_e32 v214, 0
	s_wait_loadcnt_dscnt 0x0
	s_barrier_signal -1
	s_barrier_wait -1
	global_inv scope:SCOPE_SE
	s_and_saveexec_b32 s15, s5
; %bb.1047:                             ;   in Loop: Header=BB1124_974 Depth=2
	ds_load_b32 v214, v95 offset:1020
; %bb.1048:                             ;   in Loop: Header=BB1124_974 Depth=2
	s_wait_alu 0xfffe
	s_or_b32 exec_lo, exec_lo, s15
	s_wait_dscnt 0x0
	v_add_nc_u32_e32 v213, v214, v213
	ds_bpermute_b32 v213, v124, v213
	s_wait_dscnt 0x0
	v_cndmask_b32_e64 v213, v213, v214, s11
	s_delay_alu instid0(VALU_DEP_1) | instskip(NEXT) | instid1(VALU_DEP_1)
	v_cndmask_b32_e64 v213, v213, 0, s0
	v_add_nc_u32_e32 v74, v213, v74
	s_delay_alu instid0(VALU_DEP_1) | instskip(NEXT) | instid1(VALU_DEP_1)
	v_add_nc_u32_e32 v75, v74, v75
	v_add_nc_u32_e32 v72, v75, v72
	s_delay_alu instid0(VALU_DEP_1) | instskip(NEXT) | instid1(VALU_DEP_1)
	v_add_nc_u32_e32 v73, v72, v73
	;; [unrolled: 3-line block ×3, first 2 shown]
	v_add_nc_u32_e32 v68, v71, v68
	s_delay_alu instid0(VALU_DEP_1)
	v_add_nc_u32_e32 v69, v68, v69
	ds_store_2addr_b32 v163, v71, v68 offset1:1
	ds_store_2addr_b32 v164, v213, v74 offset1:1
	;; [unrolled: 1-line block ×4, first 2 shown]
	ds_store_b32 v101, v69 offset:1088
	s_wait_loadcnt_dscnt 0x0
	s_barrier_signal -1
	s_barrier_wait -1
	global_inv scope:SCOPE_SE
	ds_load_b32 v69, v167 offset:1056
	ds_load_b32 v74, v170 offset:1056
	;; [unrolled: 1-line block ×17, first 2 shown]
	v_mov_b32_e32 v68, 0x1000
	s_and_saveexec_b32 s15, s1
; %bb.1049:                             ;   in Loop: Header=BB1124_974 Depth=2
	ds_load_b32 v68, v101 offset:1092
; %bb.1050:                             ;   in Loop: Header=BB1124_974 Depth=2
	s_wait_alu 0xfffe
	s_or_b32 exec_lo, exec_lo, s15
	s_wait_loadcnt_dscnt 0x0
	s_barrier_signal -1
	s_barrier_wait -1
	global_inv scope:SCOPE_SE
	s_and_saveexec_b32 s15, s2
	s_cbranch_execz .LBB1124_1052
; %bb.1051:                             ;   in Loop: Header=BB1124_974 Depth=2
	ds_load_b32 v185, v76
	s_wait_dscnt 0x0
	v_sub_nc_u32_e32 v182, v185, v182
	ds_store_b32 v76, v182
.LBB1124_1052:                          ;   in Loop: Header=BB1124_974 Depth=2
	s_wait_alu 0xfffe
	s_or_b32 exec_lo, exec_lo, s15
	v_lshlrev_b32_e32 v2, 3, v2
	v_lshlrev_b32_e32 v169, 3, v169
	;; [unrolled: 1-line block ×5, first 2 shown]
	v_lshl_add_u32 v69, v69, 3, v2
	v_lshlrev_b32_e32 v2, 3, v171
	v_lshlrev_b32_e32 v73, 3, v73
	;; [unrolled: 1-line block ×4, first 2 shown]
	ds_store_b64 v69, v[36:37] offset:1024
	v_lshlrev_b32_e32 v36, 3, v72
	v_lshlrev_b32_e32 v37, 3, v178
	;; [unrolled: 1-line block ×7, first 2 shown]
	v_add3_u32 v70, v169, v168, v74
	v_add3_u32 v71, v172, v2, v73
	;; [unrolled: 1-line block ×5, first 2 shown]
	v_lshlrev_b32_e32 v2, 3, v184
	v_lshlrev_b32_e32 v36, 3, v183
	;; [unrolled: 1-line block ×3, first 2 shown]
	ds_store_b64 v70, v[38:39] offset:1024
	ds_store_b64 v71, v[40:41] offset:1024
	;; [unrolled: 1-line block ×5, first 2 shown]
	v_lshlrev_b32_e32 v39, 3, v187
	v_lshlrev_b32_e32 v40, 3, v186
	;; [unrolled: 1-line block ×12, first 2 shown]
	v_add3_u32 v38, v2, v36, v37
	v_add3_u32 v39, v39, v40, v41
	;; [unrolled: 1-line block ×5, first 2 shown]
	ds_store_b64 v38, v[60:61] offset:1024
	ds_store_b64 v39, v[64:65] offset:1024
	;; [unrolled: 1-line block ×5, first 2 shown]
	v_lshlrev_b32_e32 v2, 3, v199
	v_lshlrev_b32_e32 v36, 3, v198
	;; [unrolled: 1-line block ×15, first 2 shown]
	v_add3_u32 v49, v2, v36, v37
	v_add3_u32 v52, v52, v53, v56
	v_add3_u32 v53, v57, v58, v59
	v_add3_u32 v56, v60, v61, v62
	v_add3_u32 v57, v63, v64, v65
	v_cmp_lt_u32_e32 vcc_lo, v1, v162
	ds_store_b64 v49, v[54:55] offset:1024
	ds_store_b64 v52, v[50:51] offset:1024
	;; [unrolled: 1-line block ×5, first 2 shown]
	s_wait_loadcnt_dscnt 0x0
	s_barrier_signal -1
	s_barrier_wait -1
	global_inv scope:SCOPE_SE
	s_and_saveexec_b32 s16, vcc_lo
	s_cbranch_execnz .LBB1124_1121
; %bb.1053:                             ;   in Loop: Header=BB1124_974 Depth=2
	s_wait_alu 0xfffe
	s_or_b32 exec_lo, exec_lo, s16
	v_cmp_lt_u32_e64 s15, v77, v162
	s_and_saveexec_b32 s17, s15
	s_cbranch_execnz .LBB1124_1122
.LBB1124_1054:                          ;   in Loop: Header=BB1124_974 Depth=2
	s_wait_alu 0xfffe
	s_or_b32 exec_lo, exec_lo, s17
	v_cmp_lt_u32_e64 s16, v78, v162
	s_and_saveexec_b32 s18, s16
	s_cbranch_execnz .LBB1124_1123
.LBB1124_1055:                          ;   in Loop: Header=BB1124_974 Depth=2
	s_wait_alu 0xfffe
	s_or_b32 exec_lo, exec_lo, s18
	v_cmp_lt_u32_e64 s17, v79, v162
	s_and_saveexec_b32 s19, s17
	s_cbranch_execnz .LBB1124_1124
.LBB1124_1056:                          ;   in Loop: Header=BB1124_974 Depth=2
	s_wait_alu 0xfffe
	s_or_b32 exec_lo, exec_lo, s19
	v_cmp_lt_u32_e64 s18, v82, v162
	s_and_saveexec_b32 s20, s18
	s_cbranch_execnz .LBB1124_1125
.LBB1124_1057:                          ;   in Loop: Header=BB1124_974 Depth=2
	s_wait_alu 0xfffe
	s_or_b32 exec_lo, exec_lo, s20
	v_cmp_lt_u32_e64 s19, v83, v162
	s_and_saveexec_b32 s21, s19
	s_cbranch_execnz .LBB1124_1126
.LBB1124_1058:                          ;   in Loop: Header=BB1124_974 Depth=2
	s_wait_alu 0xfffe
	s_or_b32 exec_lo, exec_lo, s21
	v_cmp_lt_u32_e64 s20, v84, v162
	s_and_saveexec_b32 s22, s20
	s_cbranch_execnz .LBB1124_1127
.LBB1124_1059:                          ;   in Loop: Header=BB1124_974 Depth=2
	s_wait_alu 0xfffe
	s_or_b32 exec_lo, exec_lo, s22
	v_cmp_lt_u32_e64 s21, v85, v162
	s_and_saveexec_b32 s23, s21
	s_cbranch_execnz .LBB1124_1128
.LBB1124_1060:                          ;   in Loop: Header=BB1124_974 Depth=2
	s_wait_alu 0xfffe
	s_or_b32 exec_lo, exec_lo, s23
	v_cmp_lt_u32_e64 s22, v86, v162
	s_and_saveexec_b32 s24, s22
	s_cbranch_execnz .LBB1124_1129
.LBB1124_1061:                          ;   in Loop: Header=BB1124_974 Depth=2
	s_wait_alu 0xfffe
	s_or_b32 exec_lo, exec_lo, s24
	v_cmp_lt_u32_e64 s23, v87, v162
	s_and_saveexec_b32 s25, s23
	s_cbranch_execnz .LBB1124_1130
.LBB1124_1062:                          ;   in Loop: Header=BB1124_974 Depth=2
	s_wait_alu 0xfffe
	s_or_b32 exec_lo, exec_lo, s25
	v_cmp_lt_u32_e64 s24, v88, v162
	s_and_saveexec_b32 s26, s24
	s_cbranch_execnz .LBB1124_1131
.LBB1124_1063:                          ;   in Loop: Header=BB1124_974 Depth=2
	s_wait_alu 0xfffe
	s_or_b32 exec_lo, exec_lo, s26
	v_cmp_lt_u32_e64 s25, v89, v162
	s_and_saveexec_b32 s27, s25
	s_cbranch_execnz .LBB1124_1132
.LBB1124_1064:                          ;   in Loop: Header=BB1124_974 Depth=2
	s_wait_alu 0xfffe
	s_or_b32 exec_lo, exec_lo, s27
	v_cmp_lt_u32_e64 s26, v90, v162
	s_and_saveexec_b32 s28, s26
	s_cbranch_execnz .LBB1124_1133
.LBB1124_1065:                          ;   in Loop: Header=BB1124_974 Depth=2
	s_wait_alu 0xfffe
	s_or_b32 exec_lo, exec_lo, s28
	v_cmp_lt_u32_e64 s27, v91, v162
	s_and_saveexec_b32 s29, s27
	s_cbranch_execnz .LBB1124_1134
.LBB1124_1066:                          ;   in Loop: Header=BB1124_974 Depth=2
	s_wait_alu 0xfffe
	s_or_b32 exec_lo, exec_lo, s29
	v_cmp_lt_u32_e64 s28, v92, v162
	s_and_saveexec_b32 s30, s28
	s_cbranch_execnz .LBB1124_1135
.LBB1124_1067:                          ;   in Loop: Header=BB1124_974 Depth=2
	s_wait_alu 0xfffe
	s_or_b32 exec_lo, exec_lo, s30
	v_cmp_lt_u32_e64 s29, v93, v162
	s_and_saveexec_b32 s43, s29
	s_cbranch_execz .LBB1124_1069
.LBB1124_1068:                          ;   in Loop: Header=BB1124_974 Depth=2
	ds_load_b64 v[36:37], v108 offset:31744
	s_wait_dscnt 0x0
	v_cmp_ne_u64_e64 s30, s[34:35], v[36:37]
	s_wait_alu 0xf1ff
	s_delay_alu instid0(VALU_DEP_1) | instskip(SKIP_2) | instid1(VALU_DEP_2)
	v_cndmask_b32_e64 v43, 0x7fffffff, v37, s30
	v_cndmask_b32_e64 v42, -1, v36, s30
	v_cmp_gt_i64_e64 s30, 0, v[36:37]
	v_lshrrev_b64 v[42:43], s31, v[42:43]
	s_wait_alu 0xf1ff
	s_delay_alu instid0(VALU_DEP_2) | instskip(NEXT) | instid1(VALU_DEP_2)
	v_cndmask_b32_e64 v44, 0x7fffffff, 0, s30
	v_and_b32_e32 v2, s56, v42
	v_ashrrev_i32_e32 v42, 31, v37
	s_delay_alu instid0(VALU_DEP_3) | instskip(NEXT) | instid1(VALU_DEP_3)
	v_xor_b32_e32 v37, v44, v37
	v_lshlrev_b32_e32 v2, 2, v2
	s_delay_alu instid0(VALU_DEP_3) | instskip(SKIP_4) | instid1(VALU_DEP_1)
	v_not_b32_e32 v45, v42
	ds_load_b32 v2, v2
	v_xor_b32_e32 v36, v45, v36
	s_wait_dscnt 0x0
	v_add_nc_u32_e32 v2, v2, v93
	v_lshlrev_b64_e32 v[42:43], 3, v[2:3]
	s_delay_alu instid0(VALU_DEP_1) | instskip(SKIP_1) | instid1(VALU_DEP_2)
	v_add_co_u32 v42, s30, s40, v42
	s_wait_alu 0xf1ff
	v_add_co_ci_u32_e64 v43, null, s41, v43, s30
	global_store_b64 v[42:43], v[36:37], off
.LBB1124_1069:                          ;   in Loop: Header=BB1124_974 Depth=2
	s_wait_alu 0xfffe
	s_or_b32 exec_lo, exec_lo, s43
	s_mov_b32 s43, s34
	s_wait_alu 0xfffe
	s_lshl_b64 s[42:43], s[42:43], 3
	s_wait_alu 0xfffe
	v_add_co_u32 v36, s30, v126, s42
	s_wait_alu 0xf1ff
	v_add_co_ci_u32_e64 v37, null, s43, v127, s30
	v_cmp_lt_u32_e64 s30, v125, v162
	s_and_saveexec_b32 s42, s30
	s_wait_alu 0xfffe
	s_xor_b32 s30, exec_lo, s42
	s_cbranch_execnz .LBB1124_1136
; %bb.1070:                             ;   in Loop: Header=BB1124_974 Depth=2
	s_wait_alu 0xfffe
	s_or_b32 exec_lo, exec_lo, s30
	s_delay_alu instid0(SALU_CYCLE_1)
	s_mov_b32 s42, exec_lo
	v_cmpx_lt_u32_e64 v128, v162
	s_cbranch_execnz .LBB1124_1137
.LBB1124_1071:                          ;   in Loop: Header=BB1124_974 Depth=2
	s_wait_alu 0xfffe
	s_or_b32 exec_lo, exec_lo, s42
	s_delay_alu instid0(SALU_CYCLE_1)
	s_mov_b32 s42, exec_lo
	v_cmpx_lt_u32_e64 v129, v162
	s_cbranch_execnz .LBB1124_1138
.LBB1124_1072:                          ;   in Loop: Header=BB1124_974 Depth=2
	s_wait_alu 0xfffe
	s_or_b32 exec_lo, exec_lo, s42
	s_delay_alu instid0(SALU_CYCLE_1)
	s_mov_b32 s42, exec_lo
	v_cmpx_lt_u32_e64 v130, v162
	s_cbranch_execnz .LBB1124_1139
.LBB1124_1073:                          ;   in Loop: Header=BB1124_974 Depth=2
	s_wait_alu 0xfffe
	s_or_b32 exec_lo, exec_lo, s42
	s_delay_alu instid0(SALU_CYCLE_1)
	s_mov_b32 s42, exec_lo
	v_cmpx_lt_u32_e64 v131, v162
	s_cbranch_execnz .LBB1124_1140
.LBB1124_1074:                          ;   in Loop: Header=BB1124_974 Depth=2
	s_wait_alu 0xfffe
	s_or_b32 exec_lo, exec_lo, s42
	s_delay_alu instid0(SALU_CYCLE_1)
	s_mov_b32 s42, exec_lo
	v_cmpx_lt_u32_e64 v132, v162
	s_cbranch_execnz .LBB1124_1141
.LBB1124_1075:                          ;   in Loop: Header=BB1124_974 Depth=2
	s_wait_alu 0xfffe
	s_or_b32 exec_lo, exec_lo, s42
	s_delay_alu instid0(SALU_CYCLE_1)
	s_mov_b32 s42, exec_lo
	v_cmpx_lt_u32_e64 v133, v162
	s_cbranch_execnz .LBB1124_1142
.LBB1124_1076:                          ;   in Loop: Header=BB1124_974 Depth=2
	s_wait_alu 0xfffe
	s_or_b32 exec_lo, exec_lo, s42
	s_delay_alu instid0(SALU_CYCLE_1)
	s_mov_b32 s42, exec_lo
	v_cmpx_lt_u32_e64 v134, v162
	s_cbranch_execnz .LBB1124_1143
.LBB1124_1077:                          ;   in Loop: Header=BB1124_974 Depth=2
	s_wait_alu 0xfffe
	s_or_b32 exec_lo, exec_lo, s42
	s_delay_alu instid0(SALU_CYCLE_1)
	s_mov_b32 s42, exec_lo
	v_cmpx_lt_u32_e64 v135, v162
	s_cbranch_execnz .LBB1124_1144
.LBB1124_1078:                          ;   in Loop: Header=BB1124_974 Depth=2
	s_wait_alu 0xfffe
	s_or_b32 exec_lo, exec_lo, s42
	s_delay_alu instid0(SALU_CYCLE_1)
	s_mov_b32 s42, exec_lo
	v_cmpx_lt_u32_e64 v136, v162
	s_cbranch_execnz .LBB1124_1145
.LBB1124_1079:                          ;   in Loop: Header=BB1124_974 Depth=2
	s_wait_alu 0xfffe
	s_or_b32 exec_lo, exec_lo, s42
	s_delay_alu instid0(SALU_CYCLE_1)
	s_mov_b32 s42, exec_lo
	v_cmpx_lt_u32_e64 v137, v162
	s_cbranch_execnz .LBB1124_1146
.LBB1124_1080:                          ;   in Loop: Header=BB1124_974 Depth=2
	s_wait_alu 0xfffe
	s_or_b32 exec_lo, exec_lo, s42
	s_delay_alu instid0(SALU_CYCLE_1)
	s_mov_b32 s42, exec_lo
	v_cmpx_lt_u32_e64 v138, v162
	s_cbranch_execnz .LBB1124_1147
.LBB1124_1081:                          ;   in Loop: Header=BB1124_974 Depth=2
	s_wait_alu 0xfffe
	s_or_b32 exec_lo, exec_lo, s42
	s_delay_alu instid0(SALU_CYCLE_1)
	s_mov_b32 s42, exec_lo
	v_cmpx_lt_u32_e64 v139, v162
	s_cbranch_execnz .LBB1124_1148
.LBB1124_1082:                          ;   in Loop: Header=BB1124_974 Depth=2
	s_wait_alu 0xfffe
	s_or_b32 exec_lo, exec_lo, s42
	s_delay_alu instid0(SALU_CYCLE_1)
	s_mov_b32 s42, exec_lo
	v_cmpx_lt_u32_e64 v140, v162
	s_cbranch_execnz .LBB1124_1149
.LBB1124_1083:                          ;   in Loop: Header=BB1124_974 Depth=2
	s_wait_alu 0xfffe
	s_or_b32 exec_lo, exec_lo, s42
	s_delay_alu instid0(SALU_CYCLE_1)
	s_mov_b32 s42, exec_lo
	v_cmpx_lt_u32_e64 v141, v162
	s_cbranch_execnz .LBB1124_1150
.LBB1124_1084:                          ;   in Loop: Header=BB1124_974 Depth=2
	s_wait_alu 0xfffe
	s_or_b32 exec_lo, exec_lo, s42
	s_delay_alu instid0(SALU_CYCLE_1)
	s_mov_b32 s42, exec_lo
	v_cmpx_lt_u32_e64 v142, v162
	s_cbranch_execnz .LBB1124_1151
.LBB1124_1085:                          ;   in Loop: Header=BB1124_974 Depth=2
	s_wait_alu 0xfffe
	s_or_b32 exec_lo, exec_lo, s42
	s_and_saveexec_b32 s42, vcc_lo
	s_cbranch_execnz .LBB1124_1152
.LBB1124_1086:                          ;   in Loop: Header=BB1124_974 Depth=2
	s_wait_alu 0xfffe
	s_or_b32 exec_lo, exec_lo, s42
	s_and_saveexec_b32 s42, s15
	s_cbranch_execnz .LBB1124_1153
.LBB1124_1087:                          ;   in Loop: Header=BB1124_974 Depth=2
	s_wait_alu 0xfffe
	s_or_b32 exec_lo, exec_lo, s42
	s_and_saveexec_b32 s42, s16
	s_cbranch_execnz .LBB1124_1154
.LBB1124_1088:                          ;   in Loop: Header=BB1124_974 Depth=2
	s_wait_alu 0xfffe
	s_or_b32 exec_lo, exec_lo, s42
	s_and_saveexec_b32 s42, s17
	s_cbranch_execnz .LBB1124_1155
.LBB1124_1089:                          ;   in Loop: Header=BB1124_974 Depth=2
	s_wait_alu 0xfffe
	s_or_b32 exec_lo, exec_lo, s42
	s_and_saveexec_b32 s42, s18
	s_cbranch_execnz .LBB1124_1156
.LBB1124_1090:                          ;   in Loop: Header=BB1124_974 Depth=2
	s_wait_alu 0xfffe
	s_or_b32 exec_lo, exec_lo, s42
	s_and_saveexec_b32 s42, s19
	s_cbranch_execnz .LBB1124_1157
.LBB1124_1091:                          ;   in Loop: Header=BB1124_974 Depth=2
	s_wait_alu 0xfffe
	s_or_b32 exec_lo, exec_lo, s42
	s_and_saveexec_b32 s42, s20
	s_cbranch_execnz .LBB1124_1158
.LBB1124_1092:                          ;   in Loop: Header=BB1124_974 Depth=2
	s_wait_alu 0xfffe
	s_or_b32 exec_lo, exec_lo, s42
	s_and_saveexec_b32 s42, s21
	s_cbranch_execnz .LBB1124_1159
.LBB1124_1093:                          ;   in Loop: Header=BB1124_974 Depth=2
	s_wait_alu 0xfffe
	s_or_b32 exec_lo, exec_lo, s42
	s_and_saveexec_b32 s42, s22
	s_cbranch_execnz .LBB1124_1160
.LBB1124_1094:                          ;   in Loop: Header=BB1124_974 Depth=2
	s_wait_alu 0xfffe
	s_or_b32 exec_lo, exec_lo, s42
	s_and_saveexec_b32 s42, s23
	s_cbranch_execnz .LBB1124_1161
.LBB1124_1095:                          ;   in Loop: Header=BB1124_974 Depth=2
	s_wait_alu 0xfffe
	s_or_b32 exec_lo, exec_lo, s42
	s_and_saveexec_b32 s42, s24
	s_cbranch_execnz .LBB1124_1162
.LBB1124_1096:                          ;   in Loop: Header=BB1124_974 Depth=2
	s_wait_alu 0xfffe
	s_or_b32 exec_lo, exec_lo, s42
	s_and_saveexec_b32 s42, s25
	s_cbranch_execnz .LBB1124_1163
.LBB1124_1097:                          ;   in Loop: Header=BB1124_974 Depth=2
	s_wait_alu 0xfffe
	s_or_b32 exec_lo, exec_lo, s42
	s_and_saveexec_b32 s42, s26
	s_cbranch_execnz .LBB1124_1164
.LBB1124_1098:                          ;   in Loop: Header=BB1124_974 Depth=2
	s_wait_alu 0xfffe
	s_or_b32 exec_lo, exec_lo, s42
	s_and_saveexec_b32 s42, s27
	s_cbranch_execnz .LBB1124_1165
.LBB1124_1099:                          ;   in Loop: Header=BB1124_974 Depth=2
	s_wait_alu 0xfffe
	s_or_b32 exec_lo, exec_lo, s42
	s_and_saveexec_b32 s42, s28
	s_cbranch_execnz .LBB1124_1166
.LBB1124_1100:                          ;   in Loop: Header=BB1124_974 Depth=2
	s_wait_alu 0xfffe
	s_or_b32 exec_lo, exec_lo, s42
	s_and_saveexec_b32 s42, s29
	s_cbranch_execz .LBB1124_1102
.LBB1124_1101:                          ;   in Loop: Header=BB1124_974 Depth=2
	ds_load_b64 v[36:37], v108 offset:31744
	s_wait_dscnt 0x0
	v_cmp_ne_u64_e64 s30, s[34:35], v[36:37]
	s_wait_alu 0xf1ff
	s_delay_alu instid0(VALU_DEP_1) | instskip(SKIP_1) | instid1(VALU_DEP_1)
	v_cndmask_b32_e64 v37, 0x7fffffff, v37, s30
	v_cndmask_b32_e64 v36, -1, v36, s30
	v_lshrrev_b64 v[36:37], s31, v[36:37]
	s_delay_alu instid0(VALU_DEP_1)
	v_and_b32_e32 v146, s56, v36
.LBB1124_1102:                          ;   in Loop: Header=BB1124_974 Depth=2
	s_wait_alu 0xfffe
	s_or_b32 exec_lo, exec_lo, s42
	s_wait_loadcnt 0x0
	s_wait_storecnt 0x0
	s_barrier_signal -1
	s_barrier_wait -1
	global_inv scope:SCOPE_SE
	ds_store_b64 v69, v[34:35] offset:1024
	ds_store_b64 v70, v[32:33] offset:1024
	;; [unrolled: 1-line block ×16, first 2 shown]
	s_wait_loadcnt_dscnt 0x0
	s_barrier_signal -1
	s_barrier_wait -1
	global_inv scope:SCOPE_SE
	s_and_saveexec_b32 s30, vcc_lo
	s_cbranch_execnz .LBB1124_1167
; %bb.1103:                             ;   in Loop: Header=BB1124_974 Depth=2
	s_wait_alu 0xfffe
	s_or_b32 exec_lo, exec_lo, s30
	s_and_saveexec_b32 s30, s15
	s_cbranch_execnz .LBB1124_1168
.LBB1124_1104:                          ;   in Loop: Header=BB1124_974 Depth=2
	s_wait_alu 0xfffe
	s_or_b32 exec_lo, exec_lo, s30
	s_and_saveexec_b32 s15, s16
	s_cbranch_execnz .LBB1124_1169
.LBB1124_1105:                          ;   in Loop: Header=BB1124_974 Depth=2
	s_wait_alu 0xfffe
	s_or_b32 exec_lo, exec_lo, s15
	s_and_saveexec_b32 s15, s17
	s_cbranch_execnz .LBB1124_1170
.LBB1124_1106:                          ;   in Loop: Header=BB1124_974 Depth=2
	s_wait_alu 0xfffe
	s_or_b32 exec_lo, exec_lo, s15
	s_and_saveexec_b32 s15, s18
	s_cbranch_execnz .LBB1124_1171
.LBB1124_1107:                          ;   in Loop: Header=BB1124_974 Depth=2
	s_wait_alu 0xfffe
	s_or_b32 exec_lo, exec_lo, s15
	s_and_saveexec_b32 s15, s19
	s_cbranch_execnz .LBB1124_1172
.LBB1124_1108:                          ;   in Loop: Header=BB1124_974 Depth=2
	s_wait_alu 0xfffe
	s_or_b32 exec_lo, exec_lo, s15
	s_and_saveexec_b32 s15, s20
	s_cbranch_execnz .LBB1124_1173
.LBB1124_1109:                          ;   in Loop: Header=BB1124_974 Depth=2
	s_wait_alu 0xfffe
	s_or_b32 exec_lo, exec_lo, s15
	s_and_saveexec_b32 s15, s21
	s_cbranch_execnz .LBB1124_1174
.LBB1124_1110:                          ;   in Loop: Header=BB1124_974 Depth=2
	s_wait_alu 0xfffe
	s_or_b32 exec_lo, exec_lo, s15
	s_and_saveexec_b32 s15, s22
	s_cbranch_execnz .LBB1124_1175
.LBB1124_1111:                          ;   in Loop: Header=BB1124_974 Depth=2
	s_wait_alu 0xfffe
	s_or_b32 exec_lo, exec_lo, s15
	s_and_saveexec_b32 s15, s23
	s_cbranch_execnz .LBB1124_1176
.LBB1124_1112:                          ;   in Loop: Header=BB1124_974 Depth=2
	s_wait_alu 0xfffe
	s_or_b32 exec_lo, exec_lo, s15
	s_and_saveexec_b32 s15, s24
	s_cbranch_execnz .LBB1124_1177
.LBB1124_1113:                          ;   in Loop: Header=BB1124_974 Depth=2
	s_wait_alu 0xfffe
	s_or_b32 exec_lo, exec_lo, s15
	s_and_saveexec_b32 s15, s25
	s_cbranch_execnz .LBB1124_1178
.LBB1124_1114:                          ;   in Loop: Header=BB1124_974 Depth=2
	s_wait_alu 0xfffe
	s_or_b32 exec_lo, exec_lo, s15
	s_and_saveexec_b32 s15, s26
	s_cbranch_execnz .LBB1124_1179
.LBB1124_1115:                          ;   in Loop: Header=BB1124_974 Depth=2
	s_wait_alu 0xfffe
	s_or_b32 exec_lo, exec_lo, s15
	s_and_saveexec_b32 s15, s27
	s_cbranch_execnz .LBB1124_1180
.LBB1124_1116:                          ;   in Loop: Header=BB1124_974 Depth=2
	s_wait_alu 0xfffe
	s_or_b32 exec_lo, exec_lo, s15
	s_and_saveexec_b32 s15, s28
	s_cbranch_execnz .LBB1124_1181
.LBB1124_1117:                          ;   in Loop: Header=BB1124_974 Depth=2
	s_wait_alu 0xfffe
	s_or_b32 exec_lo, exec_lo, s15
	s_and_saveexec_b32 s15, s29
	s_cbranch_execz .LBB1124_1119
.LBB1124_1118:                          ;   in Loop: Header=BB1124_974 Depth=2
	v_lshlrev_b32_e32 v2, 2, v146
	ds_load_b32 v2, v2
	ds_load_b64 v[36:37], v108 offset:31744
	s_wait_dscnt 0x1
	v_add_nc_u32_e32 v2, v2, v93
	s_delay_alu instid0(VALU_DEP_1) | instskip(NEXT) | instid1(VALU_DEP_1)
	v_lshlrev_b64_e32 v[38:39], 3, v[2:3]
	v_add_co_u32 v38, vcc_lo, s46, v38
	s_wait_alu 0xfffd
	s_delay_alu instid0(VALU_DEP_2)
	v_add_co_ci_u32_e64 v39, null, s47, v39, vcc_lo
	s_wait_dscnt 0x0
	global_store_b64 v[38:39], v[36:37], off
.LBB1124_1119:                          ;   in Loop: Header=BB1124_974 Depth=2
	s_wait_alu 0xfffe
	s_or_b32 exec_lo, exec_lo, s15
	s_wait_loadcnt 0x0
	s_wait_storecnt 0x0
	s_barrier_signal -1
	s_barrier_wait -1
	global_inv scope:SCOPE_SE
	s_and_saveexec_b32 s15, s2
	s_cbranch_execz .LBB1124_973
; %bb.1120:                             ;   in Loop: Header=BB1124_974 Depth=2
	ds_load_b32 v2, v76
	s_wait_dscnt 0x0
	v_add_nc_u32_e32 v2, v2, v68
	ds_store_b32 v76, v2
	s_branch .LBB1124_973
.LBB1124_1121:                          ;   in Loop: Header=BB1124_974 Depth=2
	ds_load_b64 v[36:37], v108 offset:1024
	s_wait_dscnt 0x0
	v_cmp_ne_u64_e64 s15, s[34:35], v[36:37]
	s_wait_alu 0xf1ff
	s_delay_alu instid0(VALU_DEP_1) | instskip(SKIP_2) | instid1(VALU_DEP_2)
	v_cndmask_b32_e64 v43, 0x7fffffff, v37, s15
	v_cndmask_b32_e64 v42, -1, v36, s15
	v_cmp_gt_i64_e64 s15, 0, v[36:37]
	v_lshrrev_b64 v[42:43], s31, v[42:43]
	s_wait_alu 0xf1ff
	s_delay_alu instid0(VALU_DEP_2) | instskip(NEXT) | instid1(VALU_DEP_2)
	v_cndmask_b32_e64 v44, 0x7fffffff, 0, s15
	v_and_b32_e32 v2, s56, v42
	v_ashrrev_i32_e32 v42, 31, v37
	s_delay_alu instid0(VALU_DEP_3) | instskip(NEXT) | instid1(VALU_DEP_3)
	v_xor_b32_e32 v37, v44, v37
	v_lshlrev_b32_e32 v2, 2, v2
	s_delay_alu instid0(VALU_DEP_3) | instskip(SKIP_4) | instid1(VALU_DEP_1)
	v_not_b32_e32 v45, v42
	ds_load_b32 v2, v2
	v_xor_b32_e32 v36, v45, v36
	s_wait_dscnt 0x0
	v_add_nc_u32_e32 v2, v2, v1
	v_lshlrev_b64_e32 v[42:43], 3, v[2:3]
	s_delay_alu instid0(VALU_DEP_1) | instskip(SKIP_1) | instid1(VALU_DEP_2)
	v_add_co_u32 v42, s15, s40, v42
	s_wait_alu 0xf1ff
	v_add_co_ci_u32_e64 v43, null, s41, v43, s15
	global_store_b64 v[42:43], v[36:37], off
	s_wait_alu 0xfffe
	s_or_b32 exec_lo, exec_lo, s16
	v_cmp_lt_u32_e64 s15, v77, v162
	s_and_saveexec_b32 s17, s15
	s_cbranch_execz .LBB1124_1054
.LBB1124_1122:                          ;   in Loop: Header=BB1124_974 Depth=2
	ds_load_b64 v[36:37], v108 offset:3072
	s_wait_dscnt 0x0
	v_cmp_ne_u64_e64 s16, s[34:35], v[36:37]
	s_wait_alu 0xf1ff
	s_delay_alu instid0(VALU_DEP_1) | instskip(SKIP_2) | instid1(VALU_DEP_2)
	v_cndmask_b32_e64 v43, 0x7fffffff, v37, s16
	v_cndmask_b32_e64 v42, -1, v36, s16
	v_cmp_gt_i64_e64 s16, 0, v[36:37]
	v_lshrrev_b64 v[42:43], s31, v[42:43]
	s_wait_alu 0xf1ff
	s_delay_alu instid0(VALU_DEP_2) | instskip(NEXT) | instid1(VALU_DEP_2)
	v_cndmask_b32_e64 v44, 0x7fffffff, 0, s16
	v_and_b32_e32 v2, s56, v42
	v_ashrrev_i32_e32 v42, 31, v37
	s_delay_alu instid0(VALU_DEP_3) | instskip(NEXT) | instid1(VALU_DEP_3)
	v_xor_b32_e32 v37, v44, v37
	v_lshlrev_b32_e32 v2, 2, v2
	s_delay_alu instid0(VALU_DEP_3) | instskip(SKIP_4) | instid1(VALU_DEP_1)
	v_not_b32_e32 v45, v42
	ds_load_b32 v2, v2
	v_xor_b32_e32 v36, v45, v36
	s_wait_dscnt 0x0
	v_add_nc_u32_e32 v2, v2, v77
	v_lshlrev_b64_e32 v[42:43], 3, v[2:3]
	s_delay_alu instid0(VALU_DEP_1) | instskip(SKIP_1) | instid1(VALU_DEP_2)
	v_add_co_u32 v42, s16, s40, v42
	s_wait_alu 0xf1ff
	v_add_co_ci_u32_e64 v43, null, s41, v43, s16
	global_store_b64 v[42:43], v[36:37], off
	s_wait_alu 0xfffe
	s_or_b32 exec_lo, exec_lo, s17
	v_cmp_lt_u32_e64 s16, v78, v162
	s_and_saveexec_b32 s18, s16
	s_cbranch_execz .LBB1124_1055
.LBB1124_1123:                          ;   in Loop: Header=BB1124_974 Depth=2
	ds_load_b64 v[36:37], v108 offset:5120
	s_wait_dscnt 0x0
	v_cmp_ne_u64_e64 s17, s[34:35], v[36:37]
	s_wait_alu 0xf1ff
	s_delay_alu instid0(VALU_DEP_1) | instskip(SKIP_2) | instid1(VALU_DEP_2)
	v_cndmask_b32_e64 v43, 0x7fffffff, v37, s17
	v_cndmask_b32_e64 v42, -1, v36, s17
	v_cmp_gt_i64_e64 s17, 0, v[36:37]
	v_lshrrev_b64 v[42:43], s31, v[42:43]
	s_wait_alu 0xf1ff
	s_delay_alu instid0(VALU_DEP_2) | instskip(NEXT) | instid1(VALU_DEP_2)
	v_cndmask_b32_e64 v44, 0x7fffffff, 0, s17
	v_and_b32_e32 v2, s56, v42
	v_ashrrev_i32_e32 v42, 31, v37
	s_delay_alu instid0(VALU_DEP_3) | instskip(NEXT) | instid1(VALU_DEP_3)
	v_xor_b32_e32 v37, v44, v37
	v_lshlrev_b32_e32 v2, 2, v2
	s_delay_alu instid0(VALU_DEP_3) | instskip(SKIP_4) | instid1(VALU_DEP_1)
	v_not_b32_e32 v45, v42
	ds_load_b32 v2, v2
	v_xor_b32_e32 v36, v45, v36
	s_wait_dscnt 0x0
	v_add_nc_u32_e32 v2, v2, v78
	v_lshlrev_b64_e32 v[42:43], 3, v[2:3]
	s_delay_alu instid0(VALU_DEP_1) | instskip(SKIP_1) | instid1(VALU_DEP_2)
	v_add_co_u32 v42, s17, s40, v42
	s_wait_alu 0xf1ff
	v_add_co_ci_u32_e64 v43, null, s41, v43, s17
	global_store_b64 v[42:43], v[36:37], off
	s_wait_alu 0xfffe
	s_or_b32 exec_lo, exec_lo, s18
	v_cmp_lt_u32_e64 s17, v79, v162
	s_and_saveexec_b32 s19, s17
	s_cbranch_execz .LBB1124_1056
.LBB1124_1124:                          ;   in Loop: Header=BB1124_974 Depth=2
	ds_load_b64 v[36:37], v108 offset:7168
	s_wait_dscnt 0x0
	v_cmp_ne_u64_e64 s18, s[34:35], v[36:37]
	s_wait_alu 0xf1ff
	s_delay_alu instid0(VALU_DEP_1) | instskip(SKIP_2) | instid1(VALU_DEP_2)
	v_cndmask_b32_e64 v43, 0x7fffffff, v37, s18
	v_cndmask_b32_e64 v42, -1, v36, s18
	v_cmp_gt_i64_e64 s18, 0, v[36:37]
	v_lshrrev_b64 v[42:43], s31, v[42:43]
	s_wait_alu 0xf1ff
	s_delay_alu instid0(VALU_DEP_2) | instskip(NEXT) | instid1(VALU_DEP_2)
	v_cndmask_b32_e64 v44, 0x7fffffff, 0, s18
	v_and_b32_e32 v2, s56, v42
	v_ashrrev_i32_e32 v42, 31, v37
	s_delay_alu instid0(VALU_DEP_3) | instskip(NEXT) | instid1(VALU_DEP_3)
	v_xor_b32_e32 v37, v44, v37
	v_lshlrev_b32_e32 v2, 2, v2
	s_delay_alu instid0(VALU_DEP_3) | instskip(SKIP_4) | instid1(VALU_DEP_1)
	v_not_b32_e32 v45, v42
	ds_load_b32 v2, v2
	v_xor_b32_e32 v36, v45, v36
	s_wait_dscnt 0x0
	v_add_nc_u32_e32 v2, v2, v79
	v_lshlrev_b64_e32 v[42:43], 3, v[2:3]
	s_delay_alu instid0(VALU_DEP_1) | instskip(SKIP_1) | instid1(VALU_DEP_2)
	v_add_co_u32 v42, s18, s40, v42
	s_wait_alu 0xf1ff
	v_add_co_ci_u32_e64 v43, null, s41, v43, s18
	global_store_b64 v[42:43], v[36:37], off
	s_wait_alu 0xfffe
	s_or_b32 exec_lo, exec_lo, s19
	v_cmp_lt_u32_e64 s18, v82, v162
	s_and_saveexec_b32 s20, s18
	s_cbranch_execz .LBB1124_1057
.LBB1124_1125:                          ;   in Loop: Header=BB1124_974 Depth=2
	ds_load_b64 v[36:37], v108 offset:9216
	s_wait_dscnt 0x0
	v_cmp_ne_u64_e64 s19, s[34:35], v[36:37]
	s_wait_alu 0xf1ff
	s_delay_alu instid0(VALU_DEP_1) | instskip(SKIP_2) | instid1(VALU_DEP_2)
	v_cndmask_b32_e64 v43, 0x7fffffff, v37, s19
	v_cndmask_b32_e64 v42, -1, v36, s19
	v_cmp_gt_i64_e64 s19, 0, v[36:37]
	v_lshrrev_b64 v[42:43], s31, v[42:43]
	s_wait_alu 0xf1ff
	s_delay_alu instid0(VALU_DEP_2) | instskip(NEXT) | instid1(VALU_DEP_2)
	v_cndmask_b32_e64 v44, 0x7fffffff, 0, s19
	v_and_b32_e32 v2, s56, v42
	v_ashrrev_i32_e32 v42, 31, v37
	s_delay_alu instid0(VALU_DEP_3) | instskip(NEXT) | instid1(VALU_DEP_3)
	v_xor_b32_e32 v37, v44, v37
	v_lshlrev_b32_e32 v2, 2, v2
	s_delay_alu instid0(VALU_DEP_3) | instskip(SKIP_4) | instid1(VALU_DEP_1)
	v_not_b32_e32 v45, v42
	ds_load_b32 v2, v2
	v_xor_b32_e32 v36, v45, v36
	s_wait_dscnt 0x0
	v_add_nc_u32_e32 v2, v2, v82
	v_lshlrev_b64_e32 v[42:43], 3, v[2:3]
	s_delay_alu instid0(VALU_DEP_1) | instskip(SKIP_1) | instid1(VALU_DEP_2)
	v_add_co_u32 v42, s19, s40, v42
	s_wait_alu 0xf1ff
	v_add_co_ci_u32_e64 v43, null, s41, v43, s19
	global_store_b64 v[42:43], v[36:37], off
	s_wait_alu 0xfffe
	s_or_b32 exec_lo, exec_lo, s20
	v_cmp_lt_u32_e64 s19, v83, v162
	s_and_saveexec_b32 s21, s19
	s_cbranch_execz .LBB1124_1058
.LBB1124_1126:                          ;   in Loop: Header=BB1124_974 Depth=2
	ds_load_b64 v[36:37], v108 offset:11264
	s_wait_dscnt 0x0
	v_cmp_ne_u64_e64 s20, s[34:35], v[36:37]
	s_wait_alu 0xf1ff
	s_delay_alu instid0(VALU_DEP_1) | instskip(SKIP_2) | instid1(VALU_DEP_2)
	v_cndmask_b32_e64 v43, 0x7fffffff, v37, s20
	v_cndmask_b32_e64 v42, -1, v36, s20
	v_cmp_gt_i64_e64 s20, 0, v[36:37]
	v_lshrrev_b64 v[42:43], s31, v[42:43]
	s_wait_alu 0xf1ff
	s_delay_alu instid0(VALU_DEP_2) | instskip(NEXT) | instid1(VALU_DEP_2)
	v_cndmask_b32_e64 v44, 0x7fffffff, 0, s20
	v_and_b32_e32 v2, s56, v42
	v_ashrrev_i32_e32 v42, 31, v37
	s_delay_alu instid0(VALU_DEP_3) | instskip(NEXT) | instid1(VALU_DEP_3)
	v_xor_b32_e32 v37, v44, v37
	v_lshlrev_b32_e32 v2, 2, v2
	s_delay_alu instid0(VALU_DEP_3) | instskip(SKIP_4) | instid1(VALU_DEP_1)
	v_not_b32_e32 v45, v42
	ds_load_b32 v2, v2
	v_xor_b32_e32 v36, v45, v36
	s_wait_dscnt 0x0
	v_add_nc_u32_e32 v2, v2, v83
	v_lshlrev_b64_e32 v[42:43], 3, v[2:3]
	s_delay_alu instid0(VALU_DEP_1) | instskip(SKIP_1) | instid1(VALU_DEP_2)
	v_add_co_u32 v42, s20, s40, v42
	s_wait_alu 0xf1ff
	v_add_co_ci_u32_e64 v43, null, s41, v43, s20
	global_store_b64 v[42:43], v[36:37], off
	s_wait_alu 0xfffe
	s_or_b32 exec_lo, exec_lo, s21
	v_cmp_lt_u32_e64 s20, v84, v162
	s_and_saveexec_b32 s22, s20
	s_cbranch_execz .LBB1124_1059
.LBB1124_1127:                          ;   in Loop: Header=BB1124_974 Depth=2
	ds_load_b64 v[36:37], v108 offset:13312
	s_wait_dscnt 0x0
	v_cmp_ne_u64_e64 s21, s[34:35], v[36:37]
	s_wait_alu 0xf1ff
	s_delay_alu instid0(VALU_DEP_1) | instskip(SKIP_2) | instid1(VALU_DEP_2)
	v_cndmask_b32_e64 v43, 0x7fffffff, v37, s21
	v_cndmask_b32_e64 v42, -1, v36, s21
	v_cmp_gt_i64_e64 s21, 0, v[36:37]
	v_lshrrev_b64 v[42:43], s31, v[42:43]
	s_wait_alu 0xf1ff
	s_delay_alu instid0(VALU_DEP_2) | instskip(NEXT) | instid1(VALU_DEP_2)
	v_cndmask_b32_e64 v44, 0x7fffffff, 0, s21
	v_and_b32_e32 v2, s56, v42
	v_ashrrev_i32_e32 v42, 31, v37
	s_delay_alu instid0(VALU_DEP_3) | instskip(NEXT) | instid1(VALU_DEP_3)
	v_xor_b32_e32 v37, v44, v37
	v_lshlrev_b32_e32 v2, 2, v2
	s_delay_alu instid0(VALU_DEP_3) | instskip(SKIP_4) | instid1(VALU_DEP_1)
	v_not_b32_e32 v45, v42
	ds_load_b32 v2, v2
	v_xor_b32_e32 v36, v45, v36
	s_wait_dscnt 0x0
	v_add_nc_u32_e32 v2, v2, v84
	v_lshlrev_b64_e32 v[42:43], 3, v[2:3]
	s_delay_alu instid0(VALU_DEP_1) | instskip(SKIP_1) | instid1(VALU_DEP_2)
	v_add_co_u32 v42, s21, s40, v42
	s_wait_alu 0xf1ff
	v_add_co_ci_u32_e64 v43, null, s41, v43, s21
	global_store_b64 v[42:43], v[36:37], off
	s_wait_alu 0xfffe
	s_or_b32 exec_lo, exec_lo, s22
	v_cmp_lt_u32_e64 s21, v85, v162
	s_and_saveexec_b32 s23, s21
	s_cbranch_execz .LBB1124_1060
.LBB1124_1128:                          ;   in Loop: Header=BB1124_974 Depth=2
	ds_load_b64 v[36:37], v108 offset:15360
	s_wait_dscnt 0x0
	v_cmp_ne_u64_e64 s22, s[34:35], v[36:37]
	s_wait_alu 0xf1ff
	s_delay_alu instid0(VALU_DEP_1) | instskip(SKIP_2) | instid1(VALU_DEP_2)
	v_cndmask_b32_e64 v43, 0x7fffffff, v37, s22
	v_cndmask_b32_e64 v42, -1, v36, s22
	v_cmp_gt_i64_e64 s22, 0, v[36:37]
	v_lshrrev_b64 v[42:43], s31, v[42:43]
	s_wait_alu 0xf1ff
	s_delay_alu instid0(VALU_DEP_2) | instskip(NEXT) | instid1(VALU_DEP_2)
	v_cndmask_b32_e64 v44, 0x7fffffff, 0, s22
	v_and_b32_e32 v2, s56, v42
	v_ashrrev_i32_e32 v42, 31, v37
	s_delay_alu instid0(VALU_DEP_3) | instskip(NEXT) | instid1(VALU_DEP_3)
	v_xor_b32_e32 v37, v44, v37
	v_lshlrev_b32_e32 v2, 2, v2
	s_delay_alu instid0(VALU_DEP_3) | instskip(SKIP_4) | instid1(VALU_DEP_1)
	v_not_b32_e32 v45, v42
	ds_load_b32 v2, v2
	v_xor_b32_e32 v36, v45, v36
	s_wait_dscnt 0x0
	v_add_nc_u32_e32 v2, v2, v85
	v_lshlrev_b64_e32 v[42:43], 3, v[2:3]
	s_delay_alu instid0(VALU_DEP_1) | instskip(SKIP_1) | instid1(VALU_DEP_2)
	v_add_co_u32 v42, s22, s40, v42
	s_wait_alu 0xf1ff
	v_add_co_ci_u32_e64 v43, null, s41, v43, s22
	global_store_b64 v[42:43], v[36:37], off
	s_wait_alu 0xfffe
	s_or_b32 exec_lo, exec_lo, s23
	v_cmp_lt_u32_e64 s22, v86, v162
	s_and_saveexec_b32 s24, s22
	s_cbranch_execz .LBB1124_1061
.LBB1124_1129:                          ;   in Loop: Header=BB1124_974 Depth=2
	ds_load_b64 v[36:37], v108 offset:17408
	s_wait_dscnt 0x0
	v_cmp_ne_u64_e64 s23, s[34:35], v[36:37]
	s_wait_alu 0xf1ff
	s_delay_alu instid0(VALU_DEP_1) | instskip(SKIP_2) | instid1(VALU_DEP_2)
	v_cndmask_b32_e64 v43, 0x7fffffff, v37, s23
	v_cndmask_b32_e64 v42, -1, v36, s23
	v_cmp_gt_i64_e64 s23, 0, v[36:37]
	v_lshrrev_b64 v[42:43], s31, v[42:43]
	s_wait_alu 0xf1ff
	s_delay_alu instid0(VALU_DEP_2) | instskip(NEXT) | instid1(VALU_DEP_2)
	v_cndmask_b32_e64 v44, 0x7fffffff, 0, s23
	v_and_b32_e32 v2, s56, v42
	v_ashrrev_i32_e32 v42, 31, v37
	s_delay_alu instid0(VALU_DEP_3) | instskip(NEXT) | instid1(VALU_DEP_3)
	v_xor_b32_e32 v37, v44, v37
	v_lshlrev_b32_e32 v2, 2, v2
	s_delay_alu instid0(VALU_DEP_3) | instskip(SKIP_4) | instid1(VALU_DEP_1)
	v_not_b32_e32 v45, v42
	ds_load_b32 v2, v2
	v_xor_b32_e32 v36, v45, v36
	s_wait_dscnt 0x0
	v_add_nc_u32_e32 v2, v2, v86
	v_lshlrev_b64_e32 v[42:43], 3, v[2:3]
	s_delay_alu instid0(VALU_DEP_1) | instskip(SKIP_1) | instid1(VALU_DEP_2)
	v_add_co_u32 v42, s23, s40, v42
	s_wait_alu 0xf1ff
	v_add_co_ci_u32_e64 v43, null, s41, v43, s23
	global_store_b64 v[42:43], v[36:37], off
	s_wait_alu 0xfffe
	s_or_b32 exec_lo, exec_lo, s24
	v_cmp_lt_u32_e64 s23, v87, v162
	s_and_saveexec_b32 s25, s23
	s_cbranch_execz .LBB1124_1062
.LBB1124_1130:                          ;   in Loop: Header=BB1124_974 Depth=2
	ds_load_b64 v[36:37], v108 offset:19456
	s_wait_dscnt 0x0
	v_cmp_ne_u64_e64 s24, s[34:35], v[36:37]
	s_wait_alu 0xf1ff
	s_delay_alu instid0(VALU_DEP_1) | instskip(SKIP_2) | instid1(VALU_DEP_2)
	v_cndmask_b32_e64 v43, 0x7fffffff, v37, s24
	v_cndmask_b32_e64 v42, -1, v36, s24
	v_cmp_gt_i64_e64 s24, 0, v[36:37]
	v_lshrrev_b64 v[42:43], s31, v[42:43]
	s_wait_alu 0xf1ff
	s_delay_alu instid0(VALU_DEP_2) | instskip(NEXT) | instid1(VALU_DEP_2)
	v_cndmask_b32_e64 v44, 0x7fffffff, 0, s24
	v_and_b32_e32 v2, s56, v42
	v_ashrrev_i32_e32 v42, 31, v37
	s_delay_alu instid0(VALU_DEP_3) | instskip(NEXT) | instid1(VALU_DEP_3)
	v_xor_b32_e32 v37, v44, v37
	v_lshlrev_b32_e32 v2, 2, v2
	s_delay_alu instid0(VALU_DEP_3) | instskip(SKIP_4) | instid1(VALU_DEP_1)
	v_not_b32_e32 v45, v42
	ds_load_b32 v2, v2
	v_xor_b32_e32 v36, v45, v36
	s_wait_dscnt 0x0
	v_add_nc_u32_e32 v2, v2, v87
	v_lshlrev_b64_e32 v[42:43], 3, v[2:3]
	s_delay_alu instid0(VALU_DEP_1) | instskip(SKIP_1) | instid1(VALU_DEP_2)
	v_add_co_u32 v42, s24, s40, v42
	s_wait_alu 0xf1ff
	v_add_co_ci_u32_e64 v43, null, s41, v43, s24
	global_store_b64 v[42:43], v[36:37], off
	s_wait_alu 0xfffe
	s_or_b32 exec_lo, exec_lo, s25
	v_cmp_lt_u32_e64 s24, v88, v162
	s_and_saveexec_b32 s26, s24
	s_cbranch_execz .LBB1124_1063
.LBB1124_1131:                          ;   in Loop: Header=BB1124_974 Depth=2
	ds_load_b64 v[36:37], v108 offset:21504
	s_wait_dscnt 0x0
	v_cmp_ne_u64_e64 s25, s[34:35], v[36:37]
	s_wait_alu 0xf1ff
	s_delay_alu instid0(VALU_DEP_1) | instskip(SKIP_2) | instid1(VALU_DEP_2)
	v_cndmask_b32_e64 v43, 0x7fffffff, v37, s25
	v_cndmask_b32_e64 v42, -1, v36, s25
	v_cmp_gt_i64_e64 s25, 0, v[36:37]
	v_lshrrev_b64 v[42:43], s31, v[42:43]
	s_wait_alu 0xf1ff
	s_delay_alu instid0(VALU_DEP_2) | instskip(NEXT) | instid1(VALU_DEP_2)
	v_cndmask_b32_e64 v44, 0x7fffffff, 0, s25
	v_and_b32_e32 v2, s56, v42
	v_ashrrev_i32_e32 v42, 31, v37
	s_delay_alu instid0(VALU_DEP_3) | instskip(NEXT) | instid1(VALU_DEP_3)
	v_xor_b32_e32 v37, v44, v37
	v_lshlrev_b32_e32 v2, 2, v2
	s_delay_alu instid0(VALU_DEP_3) | instskip(SKIP_4) | instid1(VALU_DEP_1)
	v_not_b32_e32 v45, v42
	ds_load_b32 v2, v2
	v_xor_b32_e32 v36, v45, v36
	s_wait_dscnt 0x0
	v_add_nc_u32_e32 v2, v2, v88
	v_lshlrev_b64_e32 v[42:43], 3, v[2:3]
	s_delay_alu instid0(VALU_DEP_1) | instskip(SKIP_1) | instid1(VALU_DEP_2)
	v_add_co_u32 v42, s25, s40, v42
	s_wait_alu 0xf1ff
	v_add_co_ci_u32_e64 v43, null, s41, v43, s25
	global_store_b64 v[42:43], v[36:37], off
	s_wait_alu 0xfffe
	s_or_b32 exec_lo, exec_lo, s26
	v_cmp_lt_u32_e64 s25, v89, v162
	s_and_saveexec_b32 s27, s25
	s_cbranch_execz .LBB1124_1064
.LBB1124_1132:                          ;   in Loop: Header=BB1124_974 Depth=2
	ds_load_b64 v[36:37], v108 offset:23552
	s_wait_dscnt 0x0
	v_cmp_ne_u64_e64 s26, s[34:35], v[36:37]
	s_wait_alu 0xf1ff
	s_delay_alu instid0(VALU_DEP_1) | instskip(SKIP_2) | instid1(VALU_DEP_2)
	v_cndmask_b32_e64 v43, 0x7fffffff, v37, s26
	v_cndmask_b32_e64 v42, -1, v36, s26
	v_cmp_gt_i64_e64 s26, 0, v[36:37]
	v_lshrrev_b64 v[42:43], s31, v[42:43]
	s_wait_alu 0xf1ff
	s_delay_alu instid0(VALU_DEP_2) | instskip(NEXT) | instid1(VALU_DEP_2)
	v_cndmask_b32_e64 v44, 0x7fffffff, 0, s26
	v_and_b32_e32 v2, s56, v42
	v_ashrrev_i32_e32 v42, 31, v37
	s_delay_alu instid0(VALU_DEP_3) | instskip(NEXT) | instid1(VALU_DEP_3)
	v_xor_b32_e32 v37, v44, v37
	v_lshlrev_b32_e32 v2, 2, v2
	s_delay_alu instid0(VALU_DEP_3) | instskip(SKIP_4) | instid1(VALU_DEP_1)
	v_not_b32_e32 v45, v42
	ds_load_b32 v2, v2
	v_xor_b32_e32 v36, v45, v36
	s_wait_dscnt 0x0
	v_add_nc_u32_e32 v2, v2, v89
	v_lshlrev_b64_e32 v[42:43], 3, v[2:3]
	s_delay_alu instid0(VALU_DEP_1) | instskip(SKIP_1) | instid1(VALU_DEP_2)
	v_add_co_u32 v42, s26, s40, v42
	s_wait_alu 0xf1ff
	v_add_co_ci_u32_e64 v43, null, s41, v43, s26
	global_store_b64 v[42:43], v[36:37], off
	s_wait_alu 0xfffe
	s_or_b32 exec_lo, exec_lo, s27
	v_cmp_lt_u32_e64 s26, v90, v162
	s_and_saveexec_b32 s28, s26
	s_cbranch_execz .LBB1124_1065
.LBB1124_1133:                          ;   in Loop: Header=BB1124_974 Depth=2
	ds_load_b64 v[36:37], v108 offset:25600
	s_wait_dscnt 0x0
	v_cmp_ne_u64_e64 s27, s[34:35], v[36:37]
	s_wait_alu 0xf1ff
	s_delay_alu instid0(VALU_DEP_1) | instskip(SKIP_2) | instid1(VALU_DEP_2)
	v_cndmask_b32_e64 v43, 0x7fffffff, v37, s27
	v_cndmask_b32_e64 v42, -1, v36, s27
	v_cmp_gt_i64_e64 s27, 0, v[36:37]
	v_lshrrev_b64 v[42:43], s31, v[42:43]
	s_wait_alu 0xf1ff
	s_delay_alu instid0(VALU_DEP_2) | instskip(NEXT) | instid1(VALU_DEP_2)
	v_cndmask_b32_e64 v44, 0x7fffffff, 0, s27
	v_and_b32_e32 v2, s56, v42
	v_ashrrev_i32_e32 v42, 31, v37
	s_delay_alu instid0(VALU_DEP_3) | instskip(NEXT) | instid1(VALU_DEP_3)
	v_xor_b32_e32 v37, v44, v37
	v_lshlrev_b32_e32 v2, 2, v2
	s_delay_alu instid0(VALU_DEP_3) | instskip(SKIP_4) | instid1(VALU_DEP_1)
	v_not_b32_e32 v45, v42
	ds_load_b32 v2, v2
	v_xor_b32_e32 v36, v45, v36
	s_wait_dscnt 0x0
	v_add_nc_u32_e32 v2, v2, v90
	v_lshlrev_b64_e32 v[42:43], 3, v[2:3]
	s_delay_alu instid0(VALU_DEP_1) | instskip(SKIP_1) | instid1(VALU_DEP_2)
	v_add_co_u32 v42, s27, s40, v42
	s_wait_alu 0xf1ff
	v_add_co_ci_u32_e64 v43, null, s41, v43, s27
	global_store_b64 v[42:43], v[36:37], off
	s_wait_alu 0xfffe
	s_or_b32 exec_lo, exec_lo, s28
	v_cmp_lt_u32_e64 s27, v91, v162
	s_and_saveexec_b32 s29, s27
	s_cbranch_execz .LBB1124_1066
.LBB1124_1134:                          ;   in Loop: Header=BB1124_974 Depth=2
	ds_load_b64 v[36:37], v108 offset:27648
	s_wait_dscnt 0x0
	v_cmp_ne_u64_e64 s28, s[34:35], v[36:37]
	s_wait_alu 0xf1ff
	s_delay_alu instid0(VALU_DEP_1) | instskip(SKIP_2) | instid1(VALU_DEP_2)
	v_cndmask_b32_e64 v43, 0x7fffffff, v37, s28
	v_cndmask_b32_e64 v42, -1, v36, s28
	v_cmp_gt_i64_e64 s28, 0, v[36:37]
	v_lshrrev_b64 v[42:43], s31, v[42:43]
	s_wait_alu 0xf1ff
	s_delay_alu instid0(VALU_DEP_2) | instskip(NEXT) | instid1(VALU_DEP_2)
	v_cndmask_b32_e64 v44, 0x7fffffff, 0, s28
	v_and_b32_e32 v2, s56, v42
	v_ashrrev_i32_e32 v42, 31, v37
	s_delay_alu instid0(VALU_DEP_3) | instskip(NEXT) | instid1(VALU_DEP_3)
	v_xor_b32_e32 v37, v44, v37
	v_lshlrev_b32_e32 v2, 2, v2
	s_delay_alu instid0(VALU_DEP_3) | instskip(SKIP_4) | instid1(VALU_DEP_1)
	v_not_b32_e32 v45, v42
	ds_load_b32 v2, v2
	v_xor_b32_e32 v36, v45, v36
	s_wait_dscnt 0x0
	v_add_nc_u32_e32 v2, v2, v91
	v_lshlrev_b64_e32 v[42:43], 3, v[2:3]
	s_delay_alu instid0(VALU_DEP_1) | instskip(SKIP_1) | instid1(VALU_DEP_2)
	v_add_co_u32 v42, s28, s40, v42
	s_wait_alu 0xf1ff
	v_add_co_ci_u32_e64 v43, null, s41, v43, s28
	global_store_b64 v[42:43], v[36:37], off
	s_wait_alu 0xfffe
	s_or_b32 exec_lo, exec_lo, s29
	v_cmp_lt_u32_e64 s28, v92, v162
	s_and_saveexec_b32 s30, s28
	s_cbranch_execz .LBB1124_1067
.LBB1124_1135:                          ;   in Loop: Header=BB1124_974 Depth=2
	ds_load_b64 v[36:37], v108 offset:29696
	s_wait_dscnt 0x0
	v_cmp_ne_u64_e64 s29, s[34:35], v[36:37]
	s_wait_alu 0xf1ff
	s_delay_alu instid0(VALU_DEP_1) | instskip(SKIP_2) | instid1(VALU_DEP_2)
	v_cndmask_b32_e64 v43, 0x7fffffff, v37, s29
	v_cndmask_b32_e64 v42, -1, v36, s29
	v_cmp_gt_i64_e64 s29, 0, v[36:37]
	v_lshrrev_b64 v[42:43], s31, v[42:43]
	s_wait_alu 0xf1ff
	s_delay_alu instid0(VALU_DEP_2) | instskip(NEXT) | instid1(VALU_DEP_2)
	v_cndmask_b32_e64 v44, 0x7fffffff, 0, s29
	v_and_b32_e32 v2, s56, v42
	v_ashrrev_i32_e32 v42, 31, v37
	s_delay_alu instid0(VALU_DEP_3) | instskip(NEXT) | instid1(VALU_DEP_3)
	v_xor_b32_e32 v37, v44, v37
	v_lshlrev_b32_e32 v2, 2, v2
	s_delay_alu instid0(VALU_DEP_3) | instskip(SKIP_4) | instid1(VALU_DEP_1)
	v_not_b32_e32 v45, v42
	ds_load_b32 v2, v2
	v_xor_b32_e32 v36, v45, v36
	s_wait_dscnt 0x0
	v_add_nc_u32_e32 v2, v2, v92
	v_lshlrev_b64_e32 v[42:43], 3, v[2:3]
	s_delay_alu instid0(VALU_DEP_1) | instskip(SKIP_1) | instid1(VALU_DEP_2)
	v_add_co_u32 v42, s29, s40, v42
	s_wait_alu 0xf1ff
	v_add_co_ci_u32_e64 v43, null, s41, v43, s29
	global_store_b64 v[42:43], v[36:37], off
	s_wait_alu 0xfffe
	s_or_b32 exec_lo, exec_lo, s30
	v_cmp_lt_u32_e64 s29, v93, v162
	s_and_saveexec_b32 s43, s29
	s_cbranch_execnz .LBB1124_1068
	s_branch .LBB1124_1069
.LBB1124_1136:                          ;   in Loop: Header=BB1124_974 Depth=2
	global_load_b64 v[34:35], v[36:37], off
	s_wait_alu 0xfffe
	s_or_b32 exec_lo, exec_lo, s30
	s_delay_alu instid0(SALU_CYCLE_1)
	s_mov_b32 s42, exec_lo
	v_cmpx_lt_u32_e64 v128, v162
	s_cbranch_execz .LBB1124_1071
.LBB1124_1137:                          ;   in Loop: Header=BB1124_974 Depth=2
	global_load_b64 v[32:33], v[36:37], off offset:256
	s_wait_alu 0xfffe
	s_or_b32 exec_lo, exec_lo, s42
	s_delay_alu instid0(SALU_CYCLE_1)
	s_mov_b32 s42, exec_lo
	v_cmpx_lt_u32_e64 v129, v162
	s_cbranch_execz .LBB1124_1072
.LBB1124_1138:                          ;   in Loop: Header=BB1124_974 Depth=2
	global_load_b64 v[30:31], v[36:37], off offset:512
	s_wait_alu 0xfffe
	s_or_b32 exec_lo, exec_lo, s42
	s_delay_alu instid0(SALU_CYCLE_1)
	s_mov_b32 s42, exec_lo
	v_cmpx_lt_u32_e64 v130, v162
	s_cbranch_execz .LBB1124_1073
.LBB1124_1139:                          ;   in Loop: Header=BB1124_974 Depth=2
	global_load_b64 v[28:29], v[36:37], off offset:768
	s_wait_alu 0xfffe
	s_or_b32 exec_lo, exec_lo, s42
	s_delay_alu instid0(SALU_CYCLE_1)
	s_mov_b32 s42, exec_lo
	v_cmpx_lt_u32_e64 v131, v162
	s_cbranch_execz .LBB1124_1074
.LBB1124_1140:                          ;   in Loop: Header=BB1124_974 Depth=2
	global_load_b64 v[26:27], v[36:37], off offset:1024
	s_wait_alu 0xfffe
	s_or_b32 exec_lo, exec_lo, s42
	s_delay_alu instid0(SALU_CYCLE_1)
	s_mov_b32 s42, exec_lo
	v_cmpx_lt_u32_e64 v132, v162
	s_cbranch_execz .LBB1124_1075
.LBB1124_1141:                          ;   in Loop: Header=BB1124_974 Depth=2
	global_load_b64 v[24:25], v[36:37], off offset:1280
	s_wait_alu 0xfffe
	s_or_b32 exec_lo, exec_lo, s42
	s_delay_alu instid0(SALU_CYCLE_1)
	s_mov_b32 s42, exec_lo
	v_cmpx_lt_u32_e64 v133, v162
	s_cbranch_execz .LBB1124_1076
.LBB1124_1142:                          ;   in Loop: Header=BB1124_974 Depth=2
	global_load_b64 v[22:23], v[36:37], off offset:1536
	s_wait_alu 0xfffe
	s_or_b32 exec_lo, exec_lo, s42
	s_delay_alu instid0(SALU_CYCLE_1)
	s_mov_b32 s42, exec_lo
	v_cmpx_lt_u32_e64 v134, v162
	s_cbranch_execz .LBB1124_1077
.LBB1124_1143:                          ;   in Loop: Header=BB1124_974 Depth=2
	global_load_b64 v[20:21], v[36:37], off offset:1792
	s_wait_alu 0xfffe
	s_or_b32 exec_lo, exec_lo, s42
	s_delay_alu instid0(SALU_CYCLE_1)
	s_mov_b32 s42, exec_lo
	v_cmpx_lt_u32_e64 v135, v162
	s_cbranch_execz .LBB1124_1078
.LBB1124_1144:                          ;   in Loop: Header=BB1124_974 Depth=2
	global_load_b64 v[18:19], v[36:37], off offset:2048
	s_wait_alu 0xfffe
	s_or_b32 exec_lo, exec_lo, s42
	s_delay_alu instid0(SALU_CYCLE_1)
	s_mov_b32 s42, exec_lo
	v_cmpx_lt_u32_e64 v136, v162
	s_cbranch_execz .LBB1124_1079
.LBB1124_1145:                          ;   in Loop: Header=BB1124_974 Depth=2
	global_load_b64 v[16:17], v[36:37], off offset:2304
	s_wait_alu 0xfffe
	s_or_b32 exec_lo, exec_lo, s42
	s_delay_alu instid0(SALU_CYCLE_1)
	s_mov_b32 s42, exec_lo
	v_cmpx_lt_u32_e64 v137, v162
	s_cbranch_execz .LBB1124_1080
.LBB1124_1146:                          ;   in Loop: Header=BB1124_974 Depth=2
	global_load_b64 v[14:15], v[36:37], off offset:2560
	s_wait_alu 0xfffe
	s_or_b32 exec_lo, exec_lo, s42
	s_delay_alu instid0(SALU_CYCLE_1)
	s_mov_b32 s42, exec_lo
	v_cmpx_lt_u32_e64 v138, v162
	s_cbranch_execz .LBB1124_1081
.LBB1124_1147:                          ;   in Loop: Header=BB1124_974 Depth=2
	global_load_b64 v[12:13], v[36:37], off offset:2816
	s_wait_alu 0xfffe
	s_or_b32 exec_lo, exec_lo, s42
	s_delay_alu instid0(SALU_CYCLE_1)
	s_mov_b32 s42, exec_lo
	v_cmpx_lt_u32_e64 v139, v162
	s_cbranch_execz .LBB1124_1082
.LBB1124_1148:                          ;   in Loop: Header=BB1124_974 Depth=2
	global_load_b64 v[10:11], v[36:37], off offset:3072
	s_wait_alu 0xfffe
	s_or_b32 exec_lo, exec_lo, s42
	s_delay_alu instid0(SALU_CYCLE_1)
	s_mov_b32 s42, exec_lo
	v_cmpx_lt_u32_e64 v140, v162
	s_cbranch_execz .LBB1124_1083
.LBB1124_1149:                          ;   in Loop: Header=BB1124_974 Depth=2
	global_load_b64 v[8:9], v[36:37], off offset:3328
	s_wait_alu 0xfffe
	s_or_b32 exec_lo, exec_lo, s42
	s_delay_alu instid0(SALU_CYCLE_1)
	s_mov_b32 s42, exec_lo
	v_cmpx_lt_u32_e64 v141, v162
	s_cbranch_execz .LBB1124_1084
.LBB1124_1150:                          ;   in Loop: Header=BB1124_974 Depth=2
	global_load_b64 v[6:7], v[36:37], off offset:3584
	s_wait_alu 0xfffe
	s_or_b32 exec_lo, exec_lo, s42
	s_delay_alu instid0(SALU_CYCLE_1)
	s_mov_b32 s42, exec_lo
	v_cmpx_lt_u32_e64 v142, v162
	s_cbranch_execz .LBB1124_1085
.LBB1124_1151:                          ;   in Loop: Header=BB1124_974 Depth=2
	global_load_b64 v[4:5], v[36:37], off offset:3840
	s_wait_alu 0xfffe
	s_or_b32 exec_lo, exec_lo, s42
	s_and_saveexec_b32 s42, vcc_lo
	s_cbranch_execz .LBB1124_1086
.LBB1124_1152:                          ;   in Loop: Header=BB1124_974 Depth=2
	ds_load_b64 v[36:37], v108 offset:1024
	s_wait_dscnt 0x0
	v_cmp_ne_u64_e64 s30, s[34:35], v[36:37]
	s_wait_alu 0xf1ff
	s_delay_alu instid0(VALU_DEP_1) | instskip(SKIP_1) | instid1(VALU_DEP_1)
	v_cndmask_b32_e64 v37, 0x7fffffff, v37, s30
	v_cndmask_b32_e64 v36, -1, v36, s30
	v_lshrrev_b64 v[36:37], s31, v[36:37]
	s_delay_alu instid0(VALU_DEP_1)
	v_and_b32_e32 v161, s56, v36
	s_wait_alu 0xfffe
	s_or_b32 exec_lo, exec_lo, s42
	s_and_saveexec_b32 s42, s15
	s_cbranch_execz .LBB1124_1087
.LBB1124_1153:                          ;   in Loop: Header=BB1124_974 Depth=2
	ds_load_b64 v[36:37], v108 offset:3072
	s_wait_dscnt 0x0
	v_cmp_ne_u64_e64 s30, s[34:35], v[36:37]
	s_wait_alu 0xf1ff
	s_delay_alu instid0(VALU_DEP_1) | instskip(SKIP_1) | instid1(VALU_DEP_1)
	v_cndmask_b32_e64 v37, 0x7fffffff, v37, s30
	v_cndmask_b32_e64 v36, -1, v36, s30
	v_lshrrev_b64 v[36:37], s31, v[36:37]
	s_delay_alu instid0(VALU_DEP_1)
	v_and_b32_e32 v160, s56, v36
	s_wait_alu 0xfffe
	s_or_b32 exec_lo, exec_lo, s42
	s_and_saveexec_b32 s42, s16
	s_cbranch_execz .LBB1124_1088
.LBB1124_1154:                          ;   in Loop: Header=BB1124_974 Depth=2
	ds_load_b64 v[36:37], v108 offset:5120
	s_wait_dscnt 0x0
	v_cmp_ne_u64_e64 s30, s[34:35], v[36:37]
	s_wait_alu 0xf1ff
	s_delay_alu instid0(VALU_DEP_1) | instskip(SKIP_1) | instid1(VALU_DEP_1)
	v_cndmask_b32_e64 v37, 0x7fffffff, v37, s30
	v_cndmask_b32_e64 v36, -1, v36, s30
	v_lshrrev_b64 v[36:37], s31, v[36:37]
	s_delay_alu instid0(VALU_DEP_1)
	v_and_b32_e32 v159, s56, v36
	s_wait_alu 0xfffe
	s_or_b32 exec_lo, exec_lo, s42
	s_and_saveexec_b32 s42, s17
	s_cbranch_execz .LBB1124_1089
.LBB1124_1155:                          ;   in Loop: Header=BB1124_974 Depth=2
	ds_load_b64 v[36:37], v108 offset:7168
	s_wait_dscnt 0x0
	v_cmp_ne_u64_e64 s30, s[34:35], v[36:37]
	s_wait_alu 0xf1ff
	s_delay_alu instid0(VALU_DEP_1) | instskip(SKIP_1) | instid1(VALU_DEP_1)
	v_cndmask_b32_e64 v37, 0x7fffffff, v37, s30
	v_cndmask_b32_e64 v36, -1, v36, s30
	v_lshrrev_b64 v[36:37], s31, v[36:37]
	s_delay_alu instid0(VALU_DEP_1)
	v_and_b32_e32 v158, s56, v36
	s_wait_alu 0xfffe
	s_or_b32 exec_lo, exec_lo, s42
	s_and_saveexec_b32 s42, s18
	s_cbranch_execz .LBB1124_1090
.LBB1124_1156:                          ;   in Loop: Header=BB1124_974 Depth=2
	ds_load_b64 v[36:37], v108 offset:9216
	s_wait_dscnt 0x0
	v_cmp_ne_u64_e64 s30, s[34:35], v[36:37]
	s_wait_alu 0xf1ff
	s_delay_alu instid0(VALU_DEP_1) | instskip(SKIP_1) | instid1(VALU_DEP_1)
	v_cndmask_b32_e64 v37, 0x7fffffff, v37, s30
	v_cndmask_b32_e64 v36, -1, v36, s30
	v_lshrrev_b64 v[36:37], s31, v[36:37]
	s_delay_alu instid0(VALU_DEP_1)
	v_and_b32_e32 v157, s56, v36
	s_wait_alu 0xfffe
	s_or_b32 exec_lo, exec_lo, s42
	s_and_saveexec_b32 s42, s19
	s_cbranch_execz .LBB1124_1091
.LBB1124_1157:                          ;   in Loop: Header=BB1124_974 Depth=2
	ds_load_b64 v[36:37], v108 offset:11264
	s_wait_dscnt 0x0
	v_cmp_ne_u64_e64 s30, s[34:35], v[36:37]
	s_wait_alu 0xf1ff
	s_delay_alu instid0(VALU_DEP_1) | instskip(SKIP_1) | instid1(VALU_DEP_1)
	v_cndmask_b32_e64 v37, 0x7fffffff, v37, s30
	v_cndmask_b32_e64 v36, -1, v36, s30
	v_lshrrev_b64 v[36:37], s31, v[36:37]
	s_delay_alu instid0(VALU_DEP_1)
	v_and_b32_e32 v156, s56, v36
	s_wait_alu 0xfffe
	s_or_b32 exec_lo, exec_lo, s42
	s_and_saveexec_b32 s42, s20
	s_cbranch_execz .LBB1124_1092
.LBB1124_1158:                          ;   in Loop: Header=BB1124_974 Depth=2
	ds_load_b64 v[36:37], v108 offset:13312
	s_wait_dscnt 0x0
	v_cmp_ne_u64_e64 s30, s[34:35], v[36:37]
	s_wait_alu 0xf1ff
	s_delay_alu instid0(VALU_DEP_1) | instskip(SKIP_1) | instid1(VALU_DEP_1)
	v_cndmask_b32_e64 v37, 0x7fffffff, v37, s30
	v_cndmask_b32_e64 v36, -1, v36, s30
	v_lshrrev_b64 v[36:37], s31, v[36:37]
	s_delay_alu instid0(VALU_DEP_1)
	v_and_b32_e32 v155, s56, v36
	s_wait_alu 0xfffe
	s_or_b32 exec_lo, exec_lo, s42
	s_and_saveexec_b32 s42, s21
	s_cbranch_execz .LBB1124_1093
.LBB1124_1159:                          ;   in Loop: Header=BB1124_974 Depth=2
	ds_load_b64 v[36:37], v108 offset:15360
	s_wait_dscnt 0x0
	v_cmp_ne_u64_e64 s30, s[34:35], v[36:37]
	s_wait_alu 0xf1ff
	s_delay_alu instid0(VALU_DEP_1) | instskip(SKIP_1) | instid1(VALU_DEP_1)
	v_cndmask_b32_e64 v37, 0x7fffffff, v37, s30
	v_cndmask_b32_e64 v36, -1, v36, s30
	v_lshrrev_b64 v[36:37], s31, v[36:37]
	s_delay_alu instid0(VALU_DEP_1)
	v_and_b32_e32 v154, s56, v36
	s_wait_alu 0xfffe
	s_or_b32 exec_lo, exec_lo, s42
	s_and_saveexec_b32 s42, s22
	s_cbranch_execz .LBB1124_1094
.LBB1124_1160:                          ;   in Loop: Header=BB1124_974 Depth=2
	ds_load_b64 v[36:37], v108 offset:17408
	s_wait_dscnt 0x0
	v_cmp_ne_u64_e64 s30, s[34:35], v[36:37]
	s_wait_alu 0xf1ff
	s_delay_alu instid0(VALU_DEP_1) | instskip(SKIP_1) | instid1(VALU_DEP_1)
	v_cndmask_b32_e64 v37, 0x7fffffff, v37, s30
	v_cndmask_b32_e64 v36, -1, v36, s30
	v_lshrrev_b64 v[36:37], s31, v[36:37]
	s_delay_alu instid0(VALU_DEP_1)
	v_and_b32_e32 v153, s56, v36
	s_wait_alu 0xfffe
	s_or_b32 exec_lo, exec_lo, s42
	s_and_saveexec_b32 s42, s23
	s_cbranch_execz .LBB1124_1095
.LBB1124_1161:                          ;   in Loop: Header=BB1124_974 Depth=2
	ds_load_b64 v[36:37], v108 offset:19456
	s_wait_dscnt 0x0
	v_cmp_ne_u64_e64 s30, s[34:35], v[36:37]
	s_wait_alu 0xf1ff
	s_delay_alu instid0(VALU_DEP_1) | instskip(SKIP_1) | instid1(VALU_DEP_1)
	v_cndmask_b32_e64 v37, 0x7fffffff, v37, s30
	v_cndmask_b32_e64 v36, -1, v36, s30
	v_lshrrev_b64 v[36:37], s31, v[36:37]
	s_delay_alu instid0(VALU_DEP_1)
	v_and_b32_e32 v152, s56, v36
	s_wait_alu 0xfffe
	s_or_b32 exec_lo, exec_lo, s42
	s_and_saveexec_b32 s42, s24
	s_cbranch_execz .LBB1124_1096
.LBB1124_1162:                          ;   in Loop: Header=BB1124_974 Depth=2
	ds_load_b64 v[36:37], v108 offset:21504
	s_wait_dscnt 0x0
	v_cmp_ne_u64_e64 s30, s[34:35], v[36:37]
	s_wait_alu 0xf1ff
	s_delay_alu instid0(VALU_DEP_1) | instskip(SKIP_1) | instid1(VALU_DEP_1)
	v_cndmask_b32_e64 v37, 0x7fffffff, v37, s30
	v_cndmask_b32_e64 v36, -1, v36, s30
	v_lshrrev_b64 v[36:37], s31, v[36:37]
	s_delay_alu instid0(VALU_DEP_1)
	v_and_b32_e32 v151, s56, v36
	s_wait_alu 0xfffe
	s_or_b32 exec_lo, exec_lo, s42
	s_and_saveexec_b32 s42, s25
	s_cbranch_execz .LBB1124_1097
.LBB1124_1163:                          ;   in Loop: Header=BB1124_974 Depth=2
	ds_load_b64 v[36:37], v108 offset:23552
	s_wait_dscnt 0x0
	v_cmp_ne_u64_e64 s30, s[34:35], v[36:37]
	s_wait_alu 0xf1ff
	s_delay_alu instid0(VALU_DEP_1) | instskip(SKIP_1) | instid1(VALU_DEP_1)
	v_cndmask_b32_e64 v37, 0x7fffffff, v37, s30
	v_cndmask_b32_e64 v36, -1, v36, s30
	v_lshrrev_b64 v[36:37], s31, v[36:37]
	s_delay_alu instid0(VALU_DEP_1)
	v_and_b32_e32 v150, s56, v36
	s_wait_alu 0xfffe
	s_or_b32 exec_lo, exec_lo, s42
	s_and_saveexec_b32 s42, s26
	s_cbranch_execz .LBB1124_1098
.LBB1124_1164:                          ;   in Loop: Header=BB1124_974 Depth=2
	ds_load_b64 v[36:37], v108 offset:25600
	s_wait_dscnt 0x0
	v_cmp_ne_u64_e64 s30, s[34:35], v[36:37]
	s_wait_alu 0xf1ff
	s_delay_alu instid0(VALU_DEP_1) | instskip(SKIP_1) | instid1(VALU_DEP_1)
	v_cndmask_b32_e64 v37, 0x7fffffff, v37, s30
	v_cndmask_b32_e64 v36, -1, v36, s30
	v_lshrrev_b64 v[36:37], s31, v[36:37]
	s_delay_alu instid0(VALU_DEP_1)
	v_and_b32_e32 v149, s56, v36
	s_wait_alu 0xfffe
	s_or_b32 exec_lo, exec_lo, s42
	s_and_saveexec_b32 s42, s27
	s_cbranch_execz .LBB1124_1099
.LBB1124_1165:                          ;   in Loop: Header=BB1124_974 Depth=2
	ds_load_b64 v[36:37], v108 offset:27648
	s_wait_dscnt 0x0
	v_cmp_ne_u64_e64 s30, s[34:35], v[36:37]
	s_wait_alu 0xf1ff
	s_delay_alu instid0(VALU_DEP_1) | instskip(SKIP_1) | instid1(VALU_DEP_1)
	v_cndmask_b32_e64 v37, 0x7fffffff, v37, s30
	v_cndmask_b32_e64 v36, -1, v36, s30
	v_lshrrev_b64 v[36:37], s31, v[36:37]
	s_delay_alu instid0(VALU_DEP_1)
	v_and_b32_e32 v148, s56, v36
	s_wait_alu 0xfffe
	s_or_b32 exec_lo, exec_lo, s42
	s_and_saveexec_b32 s42, s28
	s_cbranch_execz .LBB1124_1100
.LBB1124_1166:                          ;   in Loop: Header=BB1124_974 Depth=2
	ds_load_b64 v[36:37], v108 offset:29696
	s_wait_dscnt 0x0
	v_cmp_ne_u64_e64 s30, s[34:35], v[36:37]
	s_wait_alu 0xf1ff
	s_delay_alu instid0(VALU_DEP_1) | instskip(SKIP_1) | instid1(VALU_DEP_1)
	v_cndmask_b32_e64 v37, 0x7fffffff, v37, s30
	v_cndmask_b32_e64 v36, -1, v36, s30
	v_lshrrev_b64 v[36:37], s31, v[36:37]
	s_delay_alu instid0(VALU_DEP_1)
	v_and_b32_e32 v147, s56, v36
	s_wait_alu 0xfffe
	s_or_b32 exec_lo, exec_lo, s42
	s_and_saveexec_b32 s42, s29
	s_cbranch_execnz .LBB1124_1101
	s_branch .LBB1124_1102
.LBB1124_1167:                          ;   in Loop: Header=BB1124_974 Depth=2
	v_lshlrev_b32_e32 v2, 2, v161
	ds_load_b32 v2, v2
	ds_load_b64 v[36:37], v108 offset:1024
	s_wait_dscnt 0x1
	v_add_nc_u32_e32 v2, v2, v1
	s_delay_alu instid0(VALU_DEP_1) | instskip(NEXT) | instid1(VALU_DEP_1)
	v_lshlrev_b64_e32 v[38:39], 3, v[2:3]
	v_add_co_u32 v38, vcc_lo, s46, v38
	s_wait_alu 0xfffd
	s_delay_alu instid0(VALU_DEP_2)
	v_add_co_ci_u32_e64 v39, null, s47, v39, vcc_lo
	s_wait_dscnt 0x0
	global_store_b64 v[38:39], v[36:37], off
	s_wait_alu 0xfffe
	s_or_b32 exec_lo, exec_lo, s30
	s_and_saveexec_b32 s30, s15
	s_cbranch_execz .LBB1124_1104
.LBB1124_1168:                          ;   in Loop: Header=BB1124_974 Depth=2
	v_lshlrev_b32_e32 v2, 2, v160
	ds_load_b32 v2, v2
	ds_load_b64 v[36:37], v108 offset:3072
	s_wait_dscnt 0x1
	v_add_nc_u32_e32 v2, v2, v77
	s_delay_alu instid0(VALU_DEP_1) | instskip(NEXT) | instid1(VALU_DEP_1)
	v_lshlrev_b64_e32 v[38:39], 3, v[2:3]
	v_add_co_u32 v38, vcc_lo, s46, v38
	s_wait_alu 0xfffd
	s_delay_alu instid0(VALU_DEP_2)
	v_add_co_ci_u32_e64 v39, null, s47, v39, vcc_lo
	s_wait_dscnt 0x0
	global_store_b64 v[38:39], v[36:37], off
	s_wait_alu 0xfffe
	s_or_b32 exec_lo, exec_lo, s30
	s_and_saveexec_b32 s15, s16
	s_cbranch_execz .LBB1124_1105
.LBB1124_1169:                          ;   in Loop: Header=BB1124_974 Depth=2
	v_lshlrev_b32_e32 v2, 2, v159
	ds_load_b32 v2, v2
	ds_load_b64 v[36:37], v108 offset:5120
	s_wait_dscnt 0x1
	v_add_nc_u32_e32 v2, v2, v78
	s_delay_alu instid0(VALU_DEP_1) | instskip(NEXT) | instid1(VALU_DEP_1)
	v_lshlrev_b64_e32 v[38:39], 3, v[2:3]
	v_add_co_u32 v38, vcc_lo, s46, v38
	s_wait_alu 0xfffd
	s_delay_alu instid0(VALU_DEP_2)
	v_add_co_ci_u32_e64 v39, null, s47, v39, vcc_lo
	s_wait_dscnt 0x0
	global_store_b64 v[38:39], v[36:37], off
	s_wait_alu 0xfffe
	s_or_b32 exec_lo, exec_lo, s15
	s_and_saveexec_b32 s15, s17
	s_cbranch_execz .LBB1124_1106
.LBB1124_1170:                          ;   in Loop: Header=BB1124_974 Depth=2
	v_lshlrev_b32_e32 v2, 2, v158
	ds_load_b32 v2, v2
	ds_load_b64 v[36:37], v108 offset:7168
	s_wait_dscnt 0x1
	v_add_nc_u32_e32 v2, v2, v79
	s_delay_alu instid0(VALU_DEP_1) | instskip(NEXT) | instid1(VALU_DEP_1)
	v_lshlrev_b64_e32 v[38:39], 3, v[2:3]
	v_add_co_u32 v38, vcc_lo, s46, v38
	s_wait_alu 0xfffd
	s_delay_alu instid0(VALU_DEP_2)
	v_add_co_ci_u32_e64 v39, null, s47, v39, vcc_lo
	s_wait_dscnt 0x0
	global_store_b64 v[38:39], v[36:37], off
	s_wait_alu 0xfffe
	s_or_b32 exec_lo, exec_lo, s15
	s_and_saveexec_b32 s15, s18
	s_cbranch_execz .LBB1124_1107
.LBB1124_1171:                          ;   in Loop: Header=BB1124_974 Depth=2
	v_lshlrev_b32_e32 v2, 2, v157
	ds_load_b32 v2, v2
	ds_load_b64 v[36:37], v108 offset:9216
	s_wait_dscnt 0x1
	v_add_nc_u32_e32 v2, v2, v82
	s_delay_alu instid0(VALU_DEP_1) | instskip(NEXT) | instid1(VALU_DEP_1)
	v_lshlrev_b64_e32 v[38:39], 3, v[2:3]
	v_add_co_u32 v38, vcc_lo, s46, v38
	s_wait_alu 0xfffd
	s_delay_alu instid0(VALU_DEP_2)
	v_add_co_ci_u32_e64 v39, null, s47, v39, vcc_lo
	s_wait_dscnt 0x0
	global_store_b64 v[38:39], v[36:37], off
	s_wait_alu 0xfffe
	s_or_b32 exec_lo, exec_lo, s15
	s_and_saveexec_b32 s15, s19
	s_cbranch_execz .LBB1124_1108
.LBB1124_1172:                          ;   in Loop: Header=BB1124_974 Depth=2
	v_lshlrev_b32_e32 v2, 2, v156
	ds_load_b32 v2, v2
	ds_load_b64 v[36:37], v108 offset:11264
	s_wait_dscnt 0x1
	v_add_nc_u32_e32 v2, v2, v83
	s_delay_alu instid0(VALU_DEP_1) | instskip(NEXT) | instid1(VALU_DEP_1)
	v_lshlrev_b64_e32 v[38:39], 3, v[2:3]
	v_add_co_u32 v38, vcc_lo, s46, v38
	s_wait_alu 0xfffd
	s_delay_alu instid0(VALU_DEP_2)
	v_add_co_ci_u32_e64 v39, null, s47, v39, vcc_lo
	s_wait_dscnt 0x0
	global_store_b64 v[38:39], v[36:37], off
	s_wait_alu 0xfffe
	s_or_b32 exec_lo, exec_lo, s15
	s_and_saveexec_b32 s15, s20
	s_cbranch_execz .LBB1124_1109
.LBB1124_1173:                          ;   in Loop: Header=BB1124_974 Depth=2
	v_lshlrev_b32_e32 v2, 2, v155
	ds_load_b32 v2, v2
	ds_load_b64 v[36:37], v108 offset:13312
	s_wait_dscnt 0x1
	v_add_nc_u32_e32 v2, v2, v84
	s_delay_alu instid0(VALU_DEP_1) | instskip(NEXT) | instid1(VALU_DEP_1)
	v_lshlrev_b64_e32 v[38:39], 3, v[2:3]
	v_add_co_u32 v38, vcc_lo, s46, v38
	s_wait_alu 0xfffd
	s_delay_alu instid0(VALU_DEP_2)
	v_add_co_ci_u32_e64 v39, null, s47, v39, vcc_lo
	s_wait_dscnt 0x0
	global_store_b64 v[38:39], v[36:37], off
	s_wait_alu 0xfffe
	s_or_b32 exec_lo, exec_lo, s15
	s_and_saveexec_b32 s15, s21
	s_cbranch_execz .LBB1124_1110
.LBB1124_1174:                          ;   in Loop: Header=BB1124_974 Depth=2
	v_lshlrev_b32_e32 v2, 2, v154
	ds_load_b32 v2, v2
	ds_load_b64 v[36:37], v108 offset:15360
	s_wait_dscnt 0x1
	v_add_nc_u32_e32 v2, v2, v85
	s_delay_alu instid0(VALU_DEP_1) | instskip(NEXT) | instid1(VALU_DEP_1)
	v_lshlrev_b64_e32 v[38:39], 3, v[2:3]
	v_add_co_u32 v38, vcc_lo, s46, v38
	s_wait_alu 0xfffd
	s_delay_alu instid0(VALU_DEP_2)
	v_add_co_ci_u32_e64 v39, null, s47, v39, vcc_lo
	s_wait_dscnt 0x0
	global_store_b64 v[38:39], v[36:37], off
	s_wait_alu 0xfffe
	s_or_b32 exec_lo, exec_lo, s15
	s_and_saveexec_b32 s15, s22
	s_cbranch_execz .LBB1124_1111
.LBB1124_1175:                          ;   in Loop: Header=BB1124_974 Depth=2
	v_lshlrev_b32_e32 v2, 2, v153
	ds_load_b32 v2, v2
	ds_load_b64 v[36:37], v108 offset:17408
	s_wait_dscnt 0x1
	v_add_nc_u32_e32 v2, v2, v86
	s_delay_alu instid0(VALU_DEP_1) | instskip(NEXT) | instid1(VALU_DEP_1)
	v_lshlrev_b64_e32 v[38:39], 3, v[2:3]
	v_add_co_u32 v38, vcc_lo, s46, v38
	s_wait_alu 0xfffd
	s_delay_alu instid0(VALU_DEP_2)
	v_add_co_ci_u32_e64 v39, null, s47, v39, vcc_lo
	s_wait_dscnt 0x0
	global_store_b64 v[38:39], v[36:37], off
	s_wait_alu 0xfffe
	s_or_b32 exec_lo, exec_lo, s15
	s_and_saveexec_b32 s15, s23
	s_cbranch_execz .LBB1124_1112
.LBB1124_1176:                          ;   in Loop: Header=BB1124_974 Depth=2
	v_lshlrev_b32_e32 v2, 2, v152
	ds_load_b32 v2, v2
	ds_load_b64 v[36:37], v108 offset:19456
	s_wait_dscnt 0x1
	v_add_nc_u32_e32 v2, v2, v87
	s_delay_alu instid0(VALU_DEP_1) | instskip(NEXT) | instid1(VALU_DEP_1)
	v_lshlrev_b64_e32 v[38:39], 3, v[2:3]
	v_add_co_u32 v38, vcc_lo, s46, v38
	s_wait_alu 0xfffd
	s_delay_alu instid0(VALU_DEP_2)
	v_add_co_ci_u32_e64 v39, null, s47, v39, vcc_lo
	s_wait_dscnt 0x0
	global_store_b64 v[38:39], v[36:37], off
	s_wait_alu 0xfffe
	s_or_b32 exec_lo, exec_lo, s15
	s_and_saveexec_b32 s15, s24
	s_cbranch_execz .LBB1124_1113
.LBB1124_1177:                          ;   in Loop: Header=BB1124_974 Depth=2
	v_lshlrev_b32_e32 v2, 2, v151
	ds_load_b32 v2, v2
	ds_load_b64 v[36:37], v108 offset:21504
	s_wait_dscnt 0x1
	v_add_nc_u32_e32 v2, v2, v88
	s_delay_alu instid0(VALU_DEP_1) | instskip(NEXT) | instid1(VALU_DEP_1)
	v_lshlrev_b64_e32 v[38:39], 3, v[2:3]
	v_add_co_u32 v38, vcc_lo, s46, v38
	s_wait_alu 0xfffd
	s_delay_alu instid0(VALU_DEP_2)
	v_add_co_ci_u32_e64 v39, null, s47, v39, vcc_lo
	s_wait_dscnt 0x0
	global_store_b64 v[38:39], v[36:37], off
	s_wait_alu 0xfffe
	s_or_b32 exec_lo, exec_lo, s15
	s_and_saveexec_b32 s15, s25
	s_cbranch_execz .LBB1124_1114
.LBB1124_1178:                          ;   in Loop: Header=BB1124_974 Depth=2
	v_lshlrev_b32_e32 v2, 2, v150
	ds_load_b32 v2, v2
	ds_load_b64 v[36:37], v108 offset:23552
	s_wait_dscnt 0x1
	v_add_nc_u32_e32 v2, v2, v89
	s_delay_alu instid0(VALU_DEP_1) | instskip(NEXT) | instid1(VALU_DEP_1)
	v_lshlrev_b64_e32 v[38:39], 3, v[2:3]
	v_add_co_u32 v38, vcc_lo, s46, v38
	s_wait_alu 0xfffd
	s_delay_alu instid0(VALU_DEP_2)
	v_add_co_ci_u32_e64 v39, null, s47, v39, vcc_lo
	s_wait_dscnt 0x0
	global_store_b64 v[38:39], v[36:37], off
	s_wait_alu 0xfffe
	s_or_b32 exec_lo, exec_lo, s15
	s_and_saveexec_b32 s15, s26
	s_cbranch_execz .LBB1124_1115
.LBB1124_1179:                          ;   in Loop: Header=BB1124_974 Depth=2
	v_lshlrev_b32_e32 v2, 2, v149
	ds_load_b32 v2, v2
	ds_load_b64 v[36:37], v108 offset:25600
	s_wait_dscnt 0x1
	v_add_nc_u32_e32 v2, v2, v90
	s_delay_alu instid0(VALU_DEP_1) | instskip(NEXT) | instid1(VALU_DEP_1)
	v_lshlrev_b64_e32 v[38:39], 3, v[2:3]
	v_add_co_u32 v38, vcc_lo, s46, v38
	s_wait_alu 0xfffd
	s_delay_alu instid0(VALU_DEP_2)
	v_add_co_ci_u32_e64 v39, null, s47, v39, vcc_lo
	s_wait_dscnt 0x0
	global_store_b64 v[38:39], v[36:37], off
	s_wait_alu 0xfffe
	s_or_b32 exec_lo, exec_lo, s15
	s_and_saveexec_b32 s15, s27
	s_cbranch_execz .LBB1124_1116
.LBB1124_1180:                          ;   in Loop: Header=BB1124_974 Depth=2
	v_lshlrev_b32_e32 v2, 2, v148
	ds_load_b32 v2, v2
	ds_load_b64 v[36:37], v108 offset:27648
	s_wait_dscnt 0x1
	v_add_nc_u32_e32 v2, v2, v91
	s_delay_alu instid0(VALU_DEP_1) | instskip(NEXT) | instid1(VALU_DEP_1)
	v_lshlrev_b64_e32 v[38:39], 3, v[2:3]
	v_add_co_u32 v38, vcc_lo, s46, v38
	s_wait_alu 0xfffd
	s_delay_alu instid0(VALU_DEP_2)
	v_add_co_ci_u32_e64 v39, null, s47, v39, vcc_lo
	s_wait_dscnt 0x0
	global_store_b64 v[38:39], v[36:37], off
	s_wait_alu 0xfffe
	s_or_b32 exec_lo, exec_lo, s15
	s_and_saveexec_b32 s15, s28
	s_cbranch_execz .LBB1124_1117
.LBB1124_1181:                          ;   in Loop: Header=BB1124_974 Depth=2
	v_lshlrev_b32_e32 v2, 2, v147
	ds_load_b32 v2, v2
	ds_load_b64 v[36:37], v108 offset:29696
	s_wait_dscnt 0x1
	v_add_nc_u32_e32 v2, v2, v92
	s_delay_alu instid0(VALU_DEP_1) | instskip(NEXT) | instid1(VALU_DEP_1)
	v_lshlrev_b64_e32 v[38:39], 3, v[2:3]
	v_add_co_u32 v38, vcc_lo, s46, v38
	s_wait_alu 0xfffd
	s_delay_alu instid0(VALU_DEP_2)
	v_add_co_ci_u32_e64 v39, null, s47, v39, vcc_lo
	s_wait_dscnt 0x0
	global_store_b64 v[38:39], v[36:37], off
	s_wait_alu 0xfffe
	s_or_b32 exec_lo, exec_lo, s15
	s_and_saveexec_b32 s15, s29
	s_cbranch_execnz .LBB1124_1118
	s_branch .LBB1124_1119
.LBB1124_1182:
	s_endpgm
	.section	.rodata,"a",@progbits
	.p2align	6, 0x0
	.amdhsa_kernel _ZN7rocprim17ROCPRIM_400000_NS6detail17trampoline_kernelINS0_14default_configENS1_36segmented_radix_sort_config_selectorIdlEEZNS1_25segmented_radix_sort_implIS3_Lb1EPKdPdPKlPlN2at6native12_GLOBAL__N_18offset_tEEE10hipError_tPvRmT1_PNSt15iterator_traitsISK_E10value_typeET2_T3_PNSL_ISQ_E10value_typeET4_jRbjT5_SW_jjP12ihipStream_tbEUlT_E_NS1_11comp_targetILNS1_3genE10ELNS1_11target_archE1201ELNS1_3gpuE5ELNS1_3repE0EEENS1_30default_config_static_selectorELNS0_4arch9wavefront6targetE0EEEvSK_
		.amdhsa_group_segment_fixed_size 33824
		.amdhsa_private_segment_fixed_size 176
		.amdhsa_kernarg_size 352
		.amdhsa_user_sgpr_count 2
		.amdhsa_user_sgpr_dispatch_ptr 0
		.amdhsa_user_sgpr_queue_ptr 0
		.amdhsa_user_sgpr_kernarg_segment_ptr 1
		.amdhsa_user_sgpr_dispatch_id 0
		.amdhsa_user_sgpr_private_segment_size 0
		.amdhsa_wavefront_size32 1
		.amdhsa_uses_dynamic_stack 0
		.amdhsa_enable_private_segment 1
		.amdhsa_system_sgpr_workgroup_id_x 1
		.amdhsa_system_sgpr_workgroup_id_y 1
		.amdhsa_system_sgpr_workgroup_id_z 0
		.amdhsa_system_sgpr_workgroup_info 0
		.amdhsa_system_vgpr_workitem_id 2
		.amdhsa_next_free_vgpr 248
		.amdhsa_next_free_sgpr 60
		.amdhsa_reserve_vcc 1
		.amdhsa_float_round_mode_32 0
		.amdhsa_float_round_mode_16_64 0
		.amdhsa_float_denorm_mode_32 3
		.amdhsa_float_denorm_mode_16_64 3
		.amdhsa_fp16_overflow 0
		.amdhsa_workgroup_processor_mode 1
		.amdhsa_memory_ordered 1
		.amdhsa_forward_progress 1
		.amdhsa_inst_pref_size 255
		.amdhsa_round_robin_scheduling 0
		.amdhsa_exception_fp_ieee_invalid_op 0
		.amdhsa_exception_fp_denorm_src 0
		.amdhsa_exception_fp_ieee_div_zero 0
		.amdhsa_exception_fp_ieee_overflow 0
		.amdhsa_exception_fp_ieee_underflow 0
		.amdhsa_exception_fp_ieee_inexact 0
		.amdhsa_exception_int_div_zero 0
	.end_amdhsa_kernel
	.section	.text._ZN7rocprim17ROCPRIM_400000_NS6detail17trampoline_kernelINS0_14default_configENS1_36segmented_radix_sort_config_selectorIdlEEZNS1_25segmented_radix_sort_implIS3_Lb1EPKdPdPKlPlN2at6native12_GLOBAL__N_18offset_tEEE10hipError_tPvRmT1_PNSt15iterator_traitsISK_E10value_typeET2_T3_PNSL_ISQ_E10value_typeET4_jRbjT5_SW_jjP12ihipStream_tbEUlT_E_NS1_11comp_targetILNS1_3genE10ELNS1_11target_archE1201ELNS1_3gpuE5ELNS1_3repE0EEENS1_30default_config_static_selectorELNS0_4arch9wavefront6targetE0EEEvSK_,"axG",@progbits,_ZN7rocprim17ROCPRIM_400000_NS6detail17trampoline_kernelINS0_14default_configENS1_36segmented_radix_sort_config_selectorIdlEEZNS1_25segmented_radix_sort_implIS3_Lb1EPKdPdPKlPlN2at6native12_GLOBAL__N_18offset_tEEE10hipError_tPvRmT1_PNSt15iterator_traitsISK_E10value_typeET2_T3_PNSL_ISQ_E10value_typeET4_jRbjT5_SW_jjP12ihipStream_tbEUlT_E_NS1_11comp_targetILNS1_3genE10ELNS1_11target_archE1201ELNS1_3gpuE5ELNS1_3repE0EEENS1_30default_config_static_selectorELNS0_4arch9wavefront6targetE0EEEvSK_,comdat
.Lfunc_end1124:
	.size	_ZN7rocprim17ROCPRIM_400000_NS6detail17trampoline_kernelINS0_14default_configENS1_36segmented_radix_sort_config_selectorIdlEEZNS1_25segmented_radix_sort_implIS3_Lb1EPKdPdPKlPlN2at6native12_GLOBAL__N_18offset_tEEE10hipError_tPvRmT1_PNSt15iterator_traitsISK_E10value_typeET2_T3_PNSL_ISQ_E10value_typeET4_jRbjT5_SW_jjP12ihipStream_tbEUlT_E_NS1_11comp_targetILNS1_3genE10ELNS1_11target_archE1201ELNS1_3gpuE5ELNS1_3repE0EEENS1_30default_config_static_selectorELNS0_4arch9wavefront6targetE0EEEvSK_, .Lfunc_end1124-_ZN7rocprim17ROCPRIM_400000_NS6detail17trampoline_kernelINS0_14default_configENS1_36segmented_radix_sort_config_selectorIdlEEZNS1_25segmented_radix_sort_implIS3_Lb1EPKdPdPKlPlN2at6native12_GLOBAL__N_18offset_tEEE10hipError_tPvRmT1_PNSt15iterator_traitsISK_E10value_typeET2_T3_PNSL_ISQ_E10value_typeET4_jRbjT5_SW_jjP12ihipStream_tbEUlT_E_NS1_11comp_targetILNS1_3genE10ELNS1_11target_archE1201ELNS1_3gpuE5ELNS1_3repE0EEENS1_30default_config_static_selectorELNS0_4arch9wavefront6targetE0EEEvSK_
                                        ; -- End function
	.set _ZN7rocprim17ROCPRIM_400000_NS6detail17trampoline_kernelINS0_14default_configENS1_36segmented_radix_sort_config_selectorIdlEEZNS1_25segmented_radix_sort_implIS3_Lb1EPKdPdPKlPlN2at6native12_GLOBAL__N_18offset_tEEE10hipError_tPvRmT1_PNSt15iterator_traitsISK_E10value_typeET2_T3_PNSL_ISQ_E10value_typeET4_jRbjT5_SW_jjP12ihipStream_tbEUlT_E_NS1_11comp_targetILNS1_3genE10ELNS1_11target_archE1201ELNS1_3gpuE5ELNS1_3repE0EEENS1_30default_config_static_selectorELNS0_4arch9wavefront6targetE0EEEvSK_.num_vgpr, max(216, .L_ZN7rocprim17ROCPRIM_400000_NS6detail40segmented_radix_sort_single_block_helperIdlLj256ELj16ELb1EE4sortIPKdPdPKlPlEEbT_T0_T1_T2_jjjjRNS3_12storage_typeE.num_vgpr)
	.set _ZN7rocprim17ROCPRIM_400000_NS6detail17trampoline_kernelINS0_14default_configENS1_36segmented_radix_sort_config_selectorIdlEEZNS1_25segmented_radix_sort_implIS3_Lb1EPKdPdPKlPlN2at6native12_GLOBAL__N_18offset_tEEE10hipError_tPvRmT1_PNSt15iterator_traitsISK_E10value_typeET2_T3_PNSL_ISQ_E10value_typeET4_jRbjT5_SW_jjP12ihipStream_tbEUlT_E_NS1_11comp_targetILNS1_3genE10ELNS1_11target_archE1201ELNS1_3gpuE5ELNS1_3repE0EEENS1_30default_config_static_selectorELNS0_4arch9wavefront6targetE0EEEvSK_.num_agpr, max(0, .L_ZN7rocprim17ROCPRIM_400000_NS6detail40segmented_radix_sort_single_block_helperIdlLj256ELj16ELb1EE4sortIPKdPdPKlPlEEbT_T0_T1_T2_jjjjRNS3_12storage_typeE.num_agpr)
	.set _ZN7rocprim17ROCPRIM_400000_NS6detail17trampoline_kernelINS0_14default_configENS1_36segmented_radix_sort_config_selectorIdlEEZNS1_25segmented_radix_sort_implIS3_Lb1EPKdPdPKlPlN2at6native12_GLOBAL__N_18offset_tEEE10hipError_tPvRmT1_PNSt15iterator_traitsISK_E10value_typeET2_T3_PNSL_ISQ_E10value_typeET4_jRbjT5_SW_jjP12ihipStream_tbEUlT_E_NS1_11comp_targetILNS1_3genE10ELNS1_11target_archE1201ELNS1_3gpuE5ELNS1_3repE0EEENS1_30default_config_static_selectorELNS0_4arch9wavefront6targetE0EEEvSK_.numbered_sgpr, max(60, .L_ZN7rocprim17ROCPRIM_400000_NS6detail40segmented_radix_sort_single_block_helperIdlLj256ELj16ELb1EE4sortIPKdPdPKlPlEEbT_T0_T1_T2_jjjjRNS3_12storage_typeE.numbered_sgpr)
	.set _ZN7rocprim17ROCPRIM_400000_NS6detail17trampoline_kernelINS0_14default_configENS1_36segmented_radix_sort_config_selectorIdlEEZNS1_25segmented_radix_sort_implIS3_Lb1EPKdPdPKlPlN2at6native12_GLOBAL__N_18offset_tEEE10hipError_tPvRmT1_PNSt15iterator_traitsISK_E10value_typeET2_T3_PNSL_ISQ_E10value_typeET4_jRbjT5_SW_jjP12ihipStream_tbEUlT_E_NS1_11comp_targetILNS1_3genE10ELNS1_11target_archE1201ELNS1_3gpuE5ELNS1_3repE0EEENS1_30default_config_static_selectorELNS0_4arch9wavefront6targetE0EEEvSK_.num_named_barrier, max(0, .L_ZN7rocprim17ROCPRIM_400000_NS6detail40segmented_radix_sort_single_block_helperIdlLj256ELj16ELb1EE4sortIPKdPdPKlPlEEbT_T0_T1_T2_jjjjRNS3_12storage_typeE.num_named_barrier)
	.set _ZN7rocprim17ROCPRIM_400000_NS6detail17trampoline_kernelINS0_14default_configENS1_36segmented_radix_sort_config_selectorIdlEEZNS1_25segmented_radix_sort_implIS3_Lb1EPKdPdPKlPlN2at6native12_GLOBAL__N_18offset_tEEE10hipError_tPvRmT1_PNSt15iterator_traitsISK_E10value_typeET2_T3_PNSL_ISQ_E10value_typeET4_jRbjT5_SW_jjP12ihipStream_tbEUlT_E_NS1_11comp_targetILNS1_3genE10ELNS1_11target_archE1201ELNS1_3gpuE5ELNS1_3repE0EEENS1_30default_config_static_selectorELNS0_4arch9wavefront6targetE0EEEvSK_.private_seg_size, 0+max(.L_ZN7rocprim17ROCPRIM_400000_NS6detail40segmented_radix_sort_single_block_helperIdlLj256ELj16ELb1EE4sortIPKdPdPKlPlEEbT_T0_T1_T2_jjjjRNS3_12storage_typeE.private_seg_size)
	.set _ZN7rocprim17ROCPRIM_400000_NS6detail17trampoline_kernelINS0_14default_configENS1_36segmented_radix_sort_config_selectorIdlEEZNS1_25segmented_radix_sort_implIS3_Lb1EPKdPdPKlPlN2at6native12_GLOBAL__N_18offset_tEEE10hipError_tPvRmT1_PNSt15iterator_traitsISK_E10value_typeET2_T3_PNSL_ISQ_E10value_typeET4_jRbjT5_SW_jjP12ihipStream_tbEUlT_E_NS1_11comp_targetILNS1_3genE10ELNS1_11target_archE1201ELNS1_3gpuE5ELNS1_3repE0EEENS1_30default_config_static_selectorELNS0_4arch9wavefront6targetE0EEEvSK_.uses_vcc, or(1, .L_ZN7rocprim17ROCPRIM_400000_NS6detail40segmented_radix_sort_single_block_helperIdlLj256ELj16ELb1EE4sortIPKdPdPKlPlEEbT_T0_T1_T2_jjjjRNS3_12storage_typeE.uses_vcc)
	.set _ZN7rocprim17ROCPRIM_400000_NS6detail17trampoline_kernelINS0_14default_configENS1_36segmented_radix_sort_config_selectorIdlEEZNS1_25segmented_radix_sort_implIS3_Lb1EPKdPdPKlPlN2at6native12_GLOBAL__N_18offset_tEEE10hipError_tPvRmT1_PNSt15iterator_traitsISK_E10value_typeET2_T3_PNSL_ISQ_E10value_typeET4_jRbjT5_SW_jjP12ihipStream_tbEUlT_E_NS1_11comp_targetILNS1_3genE10ELNS1_11target_archE1201ELNS1_3gpuE5ELNS1_3repE0EEENS1_30default_config_static_selectorELNS0_4arch9wavefront6targetE0EEEvSK_.uses_flat_scratch, or(0, .L_ZN7rocprim17ROCPRIM_400000_NS6detail40segmented_radix_sort_single_block_helperIdlLj256ELj16ELb1EE4sortIPKdPdPKlPlEEbT_T0_T1_T2_jjjjRNS3_12storage_typeE.uses_flat_scratch)
	.set _ZN7rocprim17ROCPRIM_400000_NS6detail17trampoline_kernelINS0_14default_configENS1_36segmented_radix_sort_config_selectorIdlEEZNS1_25segmented_radix_sort_implIS3_Lb1EPKdPdPKlPlN2at6native12_GLOBAL__N_18offset_tEEE10hipError_tPvRmT1_PNSt15iterator_traitsISK_E10value_typeET2_T3_PNSL_ISQ_E10value_typeET4_jRbjT5_SW_jjP12ihipStream_tbEUlT_E_NS1_11comp_targetILNS1_3genE10ELNS1_11target_archE1201ELNS1_3gpuE5ELNS1_3repE0EEENS1_30default_config_static_selectorELNS0_4arch9wavefront6targetE0EEEvSK_.has_dyn_sized_stack, or(0, .L_ZN7rocprim17ROCPRIM_400000_NS6detail40segmented_radix_sort_single_block_helperIdlLj256ELj16ELb1EE4sortIPKdPdPKlPlEEbT_T0_T1_T2_jjjjRNS3_12storage_typeE.has_dyn_sized_stack)
	.set _ZN7rocprim17ROCPRIM_400000_NS6detail17trampoline_kernelINS0_14default_configENS1_36segmented_radix_sort_config_selectorIdlEEZNS1_25segmented_radix_sort_implIS3_Lb1EPKdPdPKlPlN2at6native12_GLOBAL__N_18offset_tEEE10hipError_tPvRmT1_PNSt15iterator_traitsISK_E10value_typeET2_T3_PNSL_ISQ_E10value_typeET4_jRbjT5_SW_jjP12ihipStream_tbEUlT_E_NS1_11comp_targetILNS1_3genE10ELNS1_11target_archE1201ELNS1_3gpuE5ELNS1_3repE0EEENS1_30default_config_static_selectorELNS0_4arch9wavefront6targetE0EEEvSK_.has_recursion, or(0, .L_ZN7rocprim17ROCPRIM_400000_NS6detail40segmented_radix_sort_single_block_helperIdlLj256ELj16ELb1EE4sortIPKdPdPKlPlEEbT_T0_T1_T2_jjjjRNS3_12storage_typeE.has_recursion)
	.set _ZN7rocprim17ROCPRIM_400000_NS6detail17trampoline_kernelINS0_14default_configENS1_36segmented_radix_sort_config_selectorIdlEEZNS1_25segmented_radix_sort_implIS3_Lb1EPKdPdPKlPlN2at6native12_GLOBAL__N_18offset_tEEE10hipError_tPvRmT1_PNSt15iterator_traitsISK_E10value_typeET2_T3_PNSL_ISQ_E10value_typeET4_jRbjT5_SW_jjP12ihipStream_tbEUlT_E_NS1_11comp_targetILNS1_3genE10ELNS1_11target_archE1201ELNS1_3gpuE5ELNS1_3repE0EEENS1_30default_config_static_selectorELNS0_4arch9wavefront6targetE0EEEvSK_.has_indirect_call, or(0, .L_ZN7rocprim17ROCPRIM_400000_NS6detail40segmented_radix_sort_single_block_helperIdlLj256ELj16ELb1EE4sortIPKdPdPKlPlEEbT_T0_T1_T2_jjjjRNS3_12storage_typeE.has_indirect_call)
	.section	.AMDGPU.csdata,"",@progbits
; Kernel info:
; codeLenInByte = 91188
; TotalNumSgprs: 62
; NumVgprs: 248
; ScratchSize: 176
; MemoryBound: 0
; FloatMode: 240
; IeeeMode: 1
; LDSByteSize: 33824 bytes/workgroup (compile time only)
; SGPRBlocks: 0
; VGPRBlocks: 30
; NumSGPRsForWavesPerEU: 62
; NumVGPRsForWavesPerEU: 248
; Occupancy: 5
; WaveLimiterHint : 1
; COMPUTE_PGM_RSRC2:SCRATCH_EN: 1
; COMPUTE_PGM_RSRC2:USER_SGPR: 2
; COMPUTE_PGM_RSRC2:TRAP_HANDLER: 0
; COMPUTE_PGM_RSRC2:TGID_X_EN: 1
; COMPUTE_PGM_RSRC2:TGID_Y_EN: 1
; COMPUTE_PGM_RSRC2:TGID_Z_EN: 0
; COMPUTE_PGM_RSRC2:TIDIG_COMP_CNT: 2
	.section	.text._ZN7rocprim17ROCPRIM_400000_NS6detail17trampoline_kernelINS0_14default_configENS1_36segmented_radix_sort_config_selectorIdlEEZNS1_25segmented_radix_sort_implIS3_Lb1EPKdPdPKlPlN2at6native12_GLOBAL__N_18offset_tEEE10hipError_tPvRmT1_PNSt15iterator_traitsISK_E10value_typeET2_T3_PNSL_ISQ_E10value_typeET4_jRbjT5_SW_jjP12ihipStream_tbEUlT_E_NS1_11comp_targetILNS1_3genE10ELNS1_11target_archE1200ELNS1_3gpuE4ELNS1_3repE0EEENS1_30default_config_static_selectorELNS0_4arch9wavefront6targetE0EEEvSK_,"axG",@progbits,_ZN7rocprim17ROCPRIM_400000_NS6detail17trampoline_kernelINS0_14default_configENS1_36segmented_radix_sort_config_selectorIdlEEZNS1_25segmented_radix_sort_implIS3_Lb1EPKdPdPKlPlN2at6native12_GLOBAL__N_18offset_tEEE10hipError_tPvRmT1_PNSt15iterator_traitsISK_E10value_typeET2_T3_PNSL_ISQ_E10value_typeET4_jRbjT5_SW_jjP12ihipStream_tbEUlT_E_NS1_11comp_targetILNS1_3genE10ELNS1_11target_archE1200ELNS1_3gpuE4ELNS1_3repE0EEENS1_30default_config_static_selectorELNS0_4arch9wavefront6targetE0EEEvSK_,comdat
	.globl	_ZN7rocprim17ROCPRIM_400000_NS6detail17trampoline_kernelINS0_14default_configENS1_36segmented_radix_sort_config_selectorIdlEEZNS1_25segmented_radix_sort_implIS3_Lb1EPKdPdPKlPlN2at6native12_GLOBAL__N_18offset_tEEE10hipError_tPvRmT1_PNSt15iterator_traitsISK_E10value_typeET2_T3_PNSL_ISQ_E10value_typeET4_jRbjT5_SW_jjP12ihipStream_tbEUlT_E_NS1_11comp_targetILNS1_3genE10ELNS1_11target_archE1200ELNS1_3gpuE4ELNS1_3repE0EEENS1_30default_config_static_selectorELNS0_4arch9wavefront6targetE0EEEvSK_ ; -- Begin function _ZN7rocprim17ROCPRIM_400000_NS6detail17trampoline_kernelINS0_14default_configENS1_36segmented_radix_sort_config_selectorIdlEEZNS1_25segmented_radix_sort_implIS3_Lb1EPKdPdPKlPlN2at6native12_GLOBAL__N_18offset_tEEE10hipError_tPvRmT1_PNSt15iterator_traitsISK_E10value_typeET2_T3_PNSL_ISQ_E10value_typeET4_jRbjT5_SW_jjP12ihipStream_tbEUlT_E_NS1_11comp_targetILNS1_3genE10ELNS1_11target_archE1200ELNS1_3gpuE4ELNS1_3repE0EEENS1_30default_config_static_selectorELNS0_4arch9wavefront6targetE0EEEvSK_
	.p2align	8
	.type	_ZN7rocprim17ROCPRIM_400000_NS6detail17trampoline_kernelINS0_14default_configENS1_36segmented_radix_sort_config_selectorIdlEEZNS1_25segmented_radix_sort_implIS3_Lb1EPKdPdPKlPlN2at6native12_GLOBAL__N_18offset_tEEE10hipError_tPvRmT1_PNSt15iterator_traitsISK_E10value_typeET2_T3_PNSL_ISQ_E10value_typeET4_jRbjT5_SW_jjP12ihipStream_tbEUlT_E_NS1_11comp_targetILNS1_3genE10ELNS1_11target_archE1200ELNS1_3gpuE4ELNS1_3repE0EEENS1_30default_config_static_selectorELNS0_4arch9wavefront6targetE0EEEvSK_,@function
_ZN7rocprim17ROCPRIM_400000_NS6detail17trampoline_kernelINS0_14default_configENS1_36segmented_radix_sort_config_selectorIdlEEZNS1_25segmented_radix_sort_implIS3_Lb1EPKdPdPKlPlN2at6native12_GLOBAL__N_18offset_tEEE10hipError_tPvRmT1_PNSt15iterator_traitsISK_E10value_typeET2_T3_PNSL_ISQ_E10value_typeET4_jRbjT5_SW_jjP12ihipStream_tbEUlT_E_NS1_11comp_targetILNS1_3genE10ELNS1_11target_archE1200ELNS1_3gpuE4ELNS1_3repE0EEENS1_30default_config_static_selectorELNS0_4arch9wavefront6targetE0EEEvSK_: ; @_ZN7rocprim17ROCPRIM_400000_NS6detail17trampoline_kernelINS0_14default_configENS1_36segmented_radix_sort_config_selectorIdlEEZNS1_25segmented_radix_sort_implIS3_Lb1EPKdPdPKlPlN2at6native12_GLOBAL__N_18offset_tEEE10hipError_tPvRmT1_PNSt15iterator_traitsISK_E10value_typeET2_T3_PNSL_ISQ_E10value_typeET4_jRbjT5_SW_jjP12ihipStream_tbEUlT_E_NS1_11comp_targetILNS1_3genE10ELNS1_11target_archE1200ELNS1_3gpuE4ELNS1_3repE0EEENS1_30default_config_static_selectorELNS0_4arch9wavefront6targetE0EEEvSK_
; %bb.0:
	.section	.rodata,"a",@progbits
	.p2align	6, 0x0
	.amdhsa_kernel _ZN7rocprim17ROCPRIM_400000_NS6detail17trampoline_kernelINS0_14default_configENS1_36segmented_radix_sort_config_selectorIdlEEZNS1_25segmented_radix_sort_implIS3_Lb1EPKdPdPKlPlN2at6native12_GLOBAL__N_18offset_tEEE10hipError_tPvRmT1_PNSt15iterator_traitsISK_E10value_typeET2_T3_PNSL_ISQ_E10value_typeET4_jRbjT5_SW_jjP12ihipStream_tbEUlT_E_NS1_11comp_targetILNS1_3genE10ELNS1_11target_archE1200ELNS1_3gpuE4ELNS1_3repE0EEENS1_30default_config_static_selectorELNS0_4arch9wavefront6targetE0EEEvSK_
		.amdhsa_group_segment_fixed_size 0
		.amdhsa_private_segment_fixed_size 0
		.amdhsa_kernarg_size 96
		.amdhsa_user_sgpr_count 2
		.amdhsa_user_sgpr_dispatch_ptr 0
		.amdhsa_user_sgpr_queue_ptr 0
		.amdhsa_user_sgpr_kernarg_segment_ptr 1
		.amdhsa_user_sgpr_dispatch_id 0
		.amdhsa_user_sgpr_private_segment_size 0
		.amdhsa_wavefront_size32 1
		.amdhsa_uses_dynamic_stack 0
		.amdhsa_enable_private_segment 0
		.amdhsa_system_sgpr_workgroup_id_x 1
		.amdhsa_system_sgpr_workgroup_id_y 0
		.amdhsa_system_sgpr_workgroup_id_z 0
		.amdhsa_system_sgpr_workgroup_info 0
		.amdhsa_system_vgpr_workitem_id 0
		.amdhsa_next_free_vgpr 1
		.amdhsa_next_free_sgpr 1
		.amdhsa_reserve_vcc 0
		.amdhsa_float_round_mode_32 0
		.amdhsa_float_round_mode_16_64 0
		.amdhsa_float_denorm_mode_32 3
		.amdhsa_float_denorm_mode_16_64 3
		.amdhsa_fp16_overflow 0
		.amdhsa_workgroup_processor_mode 1
		.amdhsa_memory_ordered 1
		.amdhsa_forward_progress 1
		.amdhsa_inst_pref_size 0
		.amdhsa_round_robin_scheduling 0
		.amdhsa_exception_fp_ieee_invalid_op 0
		.amdhsa_exception_fp_denorm_src 0
		.amdhsa_exception_fp_ieee_div_zero 0
		.amdhsa_exception_fp_ieee_overflow 0
		.amdhsa_exception_fp_ieee_underflow 0
		.amdhsa_exception_fp_ieee_inexact 0
		.amdhsa_exception_int_div_zero 0
	.end_amdhsa_kernel
	.section	.text._ZN7rocprim17ROCPRIM_400000_NS6detail17trampoline_kernelINS0_14default_configENS1_36segmented_radix_sort_config_selectorIdlEEZNS1_25segmented_radix_sort_implIS3_Lb1EPKdPdPKlPlN2at6native12_GLOBAL__N_18offset_tEEE10hipError_tPvRmT1_PNSt15iterator_traitsISK_E10value_typeET2_T3_PNSL_ISQ_E10value_typeET4_jRbjT5_SW_jjP12ihipStream_tbEUlT_E_NS1_11comp_targetILNS1_3genE10ELNS1_11target_archE1200ELNS1_3gpuE4ELNS1_3repE0EEENS1_30default_config_static_selectorELNS0_4arch9wavefront6targetE0EEEvSK_,"axG",@progbits,_ZN7rocprim17ROCPRIM_400000_NS6detail17trampoline_kernelINS0_14default_configENS1_36segmented_radix_sort_config_selectorIdlEEZNS1_25segmented_radix_sort_implIS3_Lb1EPKdPdPKlPlN2at6native12_GLOBAL__N_18offset_tEEE10hipError_tPvRmT1_PNSt15iterator_traitsISK_E10value_typeET2_T3_PNSL_ISQ_E10value_typeET4_jRbjT5_SW_jjP12ihipStream_tbEUlT_E_NS1_11comp_targetILNS1_3genE10ELNS1_11target_archE1200ELNS1_3gpuE4ELNS1_3repE0EEENS1_30default_config_static_selectorELNS0_4arch9wavefront6targetE0EEEvSK_,comdat
.Lfunc_end1125:
	.size	_ZN7rocprim17ROCPRIM_400000_NS6detail17trampoline_kernelINS0_14default_configENS1_36segmented_radix_sort_config_selectorIdlEEZNS1_25segmented_radix_sort_implIS3_Lb1EPKdPdPKlPlN2at6native12_GLOBAL__N_18offset_tEEE10hipError_tPvRmT1_PNSt15iterator_traitsISK_E10value_typeET2_T3_PNSL_ISQ_E10value_typeET4_jRbjT5_SW_jjP12ihipStream_tbEUlT_E_NS1_11comp_targetILNS1_3genE10ELNS1_11target_archE1200ELNS1_3gpuE4ELNS1_3repE0EEENS1_30default_config_static_selectorELNS0_4arch9wavefront6targetE0EEEvSK_, .Lfunc_end1125-_ZN7rocprim17ROCPRIM_400000_NS6detail17trampoline_kernelINS0_14default_configENS1_36segmented_radix_sort_config_selectorIdlEEZNS1_25segmented_radix_sort_implIS3_Lb1EPKdPdPKlPlN2at6native12_GLOBAL__N_18offset_tEEE10hipError_tPvRmT1_PNSt15iterator_traitsISK_E10value_typeET2_T3_PNSL_ISQ_E10value_typeET4_jRbjT5_SW_jjP12ihipStream_tbEUlT_E_NS1_11comp_targetILNS1_3genE10ELNS1_11target_archE1200ELNS1_3gpuE4ELNS1_3repE0EEENS1_30default_config_static_selectorELNS0_4arch9wavefront6targetE0EEEvSK_
                                        ; -- End function
	.set _ZN7rocprim17ROCPRIM_400000_NS6detail17trampoline_kernelINS0_14default_configENS1_36segmented_radix_sort_config_selectorIdlEEZNS1_25segmented_radix_sort_implIS3_Lb1EPKdPdPKlPlN2at6native12_GLOBAL__N_18offset_tEEE10hipError_tPvRmT1_PNSt15iterator_traitsISK_E10value_typeET2_T3_PNSL_ISQ_E10value_typeET4_jRbjT5_SW_jjP12ihipStream_tbEUlT_E_NS1_11comp_targetILNS1_3genE10ELNS1_11target_archE1200ELNS1_3gpuE4ELNS1_3repE0EEENS1_30default_config_static_selectorELNS0_4arch9wavefront6targetE0EEEvSK_.num_vgpr, 0
	.set _ZN7rocprim17ROCPRIM_400000_NS6detail17trampoline_kernelINS0_14default_configENS1_36segmented_radix_sort_config_selectorIdlEEZNS1_25segmented_radix_sort_implIS3_Lb1EPKdPdPKlPlN2at6native12_GLOBAL__N_18offset_tEEE10hipError_tPvRmT1_PNSt15iterator_traitsISK_E10value_typeET2_T3_PNSL_ISQ_E10value_typeET4_jRbjT5_SW_jjP12ihipStream_tbEUlT_E_NS1_11comp_targetILNS1_3genE10ELNS1_11target_archE1200ELNS1_3gpuE4ELNS1_3repE0EEENS1_30default_config_static_selectorELNS0_4arch9wavefront6targetE0EEEvSK_.num_agpr, 0
	.set _ZN7rocprim17ROCPRIM_400000_NS6detail17trampoline_kernelINS0_14default_configENS1_36segmented_radix_sort_config_selectorIdlEEZNS1_25segmented_radix_sort_implIS3_Lb1EPKdPdPKlPlN2at6native12_GLOBAL__N_18offset_tEEE10hipError_tPvRmT1_PNSt15iterator_traitsISK_E10value_typeET2_T3_PNSL_ISQ_E10value_typeET4_jRbjT5_SW_jjP12ihipStream_tbEUlT_E_NS1_11comp_targetILNS1_3genE10ELNS1_11target_archE1200ELNS1_3gpuE4ELNS1_3repE0EEENS1_30default_config_static_selectorELNS0_4arch9wavefront6targetE0EEEvSK_.numbered_sgpr, 0
	.set _ZN7rocprim17ROCPRIM_400000_NS6detail17trampoline_kernelINS0_14default_configENS1_36segmented_radix_sort_config_selectorIdlEEZNS1_25segmented_radix_sort_implIS3_Lb1EPKdPdPKlPlN2at6native12_GLOBAL__N_18offset_tEEE10hipError_tPvRmT1_PNSt15iterator_traitsISK_E10value_typeET2_T3_PNSL_ISQ_E10value_typeET4_jRbjT5_SW_jjP12ihipStream_tbEUlT_E_NS1_11comp_targetILNS1_3genE10ELNS1_11target_archE1200ELNS1_3gpuE4ELNS1_3repE0EEENS1_30default_config_static_selectorELNS0_4arch9wavefront6targetE0EEEvSK_.num_named_barrier, 0
	.set _ZN7rocprim17ROCPRIM_400000_NS6detail17trampoline_kernelINS0_14default_configENS1_36segmented_radix_sort_config_selectorIdlEEZNS1_25segmented_radix_sort_implIS3_Lb1EPKdPdPKlPlN2at6native12_GLOBAL__N_18offset_tEEE10hipError_tPvRmT1_PNSt15iterator_traitsISK_E10value_typeET2_T3_PNSL_ISQ_E10value_typeET4_jRbjT5_SW_jjP12ihipStream_tbEUlT_E_NS1_11comp_targetILNS1_3genE10ELNS1_11target_archE1200ELNS1_3gpuE4ELNS1_3repE0EEENS1_30default_config_static_selectorELNS0_4arch9wavefront6targetE0EEEvSK_.private_seg_size, 0
	.set _ZN7rocprim17ROCPRIM_400000_NS6detail17trampoline_kernelINS0_14default_configENS1_36segmented_radix_sort_config_selectorIdlEEZNS1_25segmented_radix_sort_implIS3_Lb1EPKdPdPKlPlN2at6native12_GLOBAL__N_18offset_tEEE10hipError_tPvRmT1_PNSt15iterator_traitsISK_E10value_typeET2_T3_PNSL_ISQ_E10value_typeET4_jRbjT5_SW_jjP12ihipStream_tbEUlT_E_NS1_11comp_targetILNS1_3genE10ELNS1_11target_archE1200ELNS1_3gpuE4ELNS1_3repE0EEENS1_30default_config_static_selectorELNS0_4arch9wavefront6targetE0EEEvSK_.uses_vcc, 0
	.set _ZN7rocprim17ROCPRIM_400000_NS6detail17trampoline_kernelINS0_14default_configENS1_36segmented_radix_sort_config_selectorIdlEEZNS1_25segmented_radix_sort_implIS3_Lb1EPKdPdPKlPlN2at6native12_GLOBAL__N_18offset_tEEE10hipError_tPvRmT1_PNSt15iterator_traitsISK_E10value_typeET2_T3_PNSL_ISQ_E10value_typeET4_jRbjT5_SW_jjP12ihipStream_tbEUlT_E_NS1_11comp_targetILNS1_3genE10ELNS1_11target_archE1200ELNS1_3gpuE4ELNS1_3repE0EEENS1_30default_config_static_selectorELNS0_4arch9wavefront6targetE0EEEvSK_.uses_flat_scratch, 0
	.set _ZN7rocprim17ROCPRIM_400000_NS6detail17trampoline_kernelINS0_14default_configENS1_36segmented_radix_sort_config_selectorIdlEEZNS1_25segmented_radix_sort_implIS3_Lb1EPKdPdPKlPlN2at6native12_GLOBAL__N_18offset_tEEE10hipError_tPvRmT1_PNSt15iterator_traitsISK_E10value_typeET2_T3_PNSL_ISQ_E10value_typeET4_jRbjT5_SW_jjP12ihipStream_tbEUlT_E_NS1_11comp_targetILNS1_3genE10ELNS1_11target_archE1200ELNS1_3gpuE4ELNS1_3repE0EEENS1_30default_config_static_selectorELNS0_4arch9wavefront6targetE0EEEvSK_.has_dyn_sized_stack, 0
	.set _ZN7rocprim17ROCPRIM_400000_NS6detail17trampoline_kernelINS0_14default_configENS1_36segmented_radix_sort_config_selectorIdlEEZNS1_25segmented_radix_sort_implIS3_Lb1EPKdPdPKlPlN2at6native12_GLOBAL__N_18offset_tEEE10hipError_tPvRmT1_PNSt15iterator_traitsISK_E10value_typeET2_T3_PNSL_ISQ_E10value_typeET4_jRbjT5_SW_jjP12ihipStream_tbEUlT_E_NS1_11comp_targetILNS1_3genE10ELNS1_11target_archE1200ELNS1_3gpuE4ELNS1_3repE0EEENS1_30default_config_static_selectorELNS0_4arch9wavefront6targetE0EEEvSK_.has_recursion, 0
	.set _ZN7rocprim17ROCPRIM_400000_NS6detail17trampoline_kernelINS0_14default_configENS1_36segmented_radix_sort_config_selectorIdlEEZNS1_25segmented_radix_sort_implIS3_Lb1EPKdPdPKlPlN2at6native12_GLOBAL__N_18offset_tEEE10hipError_tPvRmT1_PNSt15iterator_traitsISK_E10value_typeET2_T3_PNSL_ISQ_E10value_typeET4_jRbjT5_SW_jjP12ihipStream_tbEUlT_E_NS1_11comp_targetILNS1_3genE10ELNS1_11target_archE1200ELNS1_3gpuE4ELNS1_3repE0EEENS1_30default_config_static_selectorELNS0_4arch9wavefront6targetE0EEEvSK_.has_indirect_call, 0
	.section	.AMDGPU.csdata,"",@progbits
; Kernel info:
; codeLenInByte = 0
; TotalNumSgprs: 0
; NumVgprs: 0
; ScratchSize: 0
; MemoryBound: 0
; FloatMode: 240
; IeeeMode: 1
; LDSByteSize: 0 bytes/workgroup (compile time only)
; SGPRBlocks: 0
; VGPRBlocks: 0
; NumSGPRsForWavesPerEU: 1
; NumVGPRsForWavesPerEU: 1
; Occupancy: 16
; WaveLimiterHint : 0
; COMPUTE_PGM_RSRC2:SCRATCH_EN: 0
; COMPUTE_PGM_RSRC2:USER_SGPR: 2
; COMPUTE_PGM_RSRC2:TRAP_HANDLER: 0
; COMPUTE_PGM_RSRC2:TGID_X_EN: 1
; COMPUTE_PGM_RSRC2:TGID_Y_EN: 0
; COMPUTE_PGM_RSRC2:TGID_Z_EN: 0
; COMPUTE_PGM_RSRC2:TIDIG_COMP_CNT: 0
	.section	.text._ZN7rocprim17ROCPRIM_400000_NS6detail17trampoline_kernelINS0_14default_configENS1_36segmented_radix_sort_config_selectorIdlEEZNS1_25segmented_radix_sort_implIS3_Lb1EPKdPdPKlPlN2at6native12_GLOBAL__N_18offset_tEEE10hipError_tPvRmT1_PNSt15iterator_traitsISK_E10value_typeET2_T3_PNSL_ISQ_E10value_typeET4_jRbjT5_SW_jjP12ihipStream_tbEUlT_E_NS1_11comp_targetILNS1_3genE9ELNS1_11target_archE1100ELNS1_3gpuE3ELNS1_3repE0EEENS1_30default_config_static_selectorELNS0_4arch9wavefront6targetE0EEEvSK_,"axG",@progbits,_ZN7rocprim17ROCPRIM_400000_NS6detail17trampoline_kernelINS0_14default_configENS1_36segmented_radix_sort_config_selectorIdlEEZNS1_25segmented_radix_sort_implIS3_Lb1EPKdPdPKlPlN2at6native12_GLOBAL__N_18offset_tEEE10hipError_tPvRmT1_PNSt15iterator_traitsISK_E10value_typeET2_T3_PNSL_ISQ_E10value_typeET4_jRbjT5_SW_jjP12ihipStream_tbEUlT_E_NS1_11comp_targetILNS1_3genE9ELNS1_11target_archE1100ELNS1_3gpuE3ELNS1_3repE0EEENS1_30default_config_static_selectorELNS0_4arch9wavefront6targetE0EEEvSK_,comdat
	.globl	_ZN7rocprim17ROCPRIM_400000_NS6detail17trampoline_kernelINS0_14default_configENS1_36segmented_radix_sort_config_selectorIdlEEZNS1_25segmented_radix_sort_implIS3_Lb1EPKdPdPKlPlN2at6native12_GLOBAL__N_18offset_tEEE10hipError_tPvRmT1_PNSt15iterator_traitsISK_E10value_typeET2_T3_PNSL_ISQ_E10value_typeET4_jRbjT5_SW_jjP12ihipStream_tbEUlT_E_NS1_11comp_targetILNS1_3genE9ELNS1_11target_archE1100ELNS1_3gpuE3ELNS1_3repE0EEENS1_30default_config_static_selectorELNS0_4arch9wavefront6targetE0EEEvSK_ ; -- Begin function _ZN7rocprim17ROCPRIM_400000_NS6detail17trampoline_kernelINS0_14default_configENS1_36segmented_radix_sort_config_selectorIdlEEZNS1_25segmented_radix_sort_implIS3_Lb1EPKdPdPKlPlN2at6native12_GLOBAL__N_18offset_tEEE10hipError_tPvRmT1_PNSt15iterator_traitsISK_E10value_typeET2_T3_PNSL_ISQ_E10value_typeET4_jRbjT5_SW_jjP12ihipStream_tbEUlT_E_NS1_11comp_targetILNS1_3genE9ELNS1_11target_archE1100ELNS1_3gpuE3ELNS1_3repE0EEENS1_30default_config_static_selectorELNS0_4arch9wavefront6targetE0EEEvSK_
	.p2align	8
	.type	_ZN7rocprim17ROCPRIM_400000_NS6detail17trampoline_kernelINS0_14default_configENS1_36segmented_radix_sort_config_selectorIdlEEZNS1_25segmented_radix_sort_implIS3_Lb1EPKdPdPKlPlN2at6native12_GLOBAL__N_18offset_tEEE10hipError_tPvRmT1_PNSt15iterator_traitsISK_E10value_typeET2_T3_PNSL_ISQ_E10value_typeET4_jRbjT5_SW_jjP12ihipStream_tbEUlT_E_NS1_11comp_targetILNS1_3genE9ELNS1_11target_archE1100ELNS1_3gpuE3ELNS1_3repE0EEENS1_30default_config_static_selectorELNS0_4arch9wavefront6targetE0EEEvSK_,@function
_ZN7rocprim17ROCPRIM_400000_NS6detail17trampoline_kernelINS0_14default_configENS1_36segmented_radix_sort_config_selectorIdlEEZNS1_25segmented_radix_sort_implIS3_Lb1EPKdPdPKlPlN2at6native12_GLOBAL__N_18offset_tEEE10hipError_tPvRmT1_PNSt15iterator_traitsISK_E10value_typeET2_T3_PNSL_ISQ_E10value_typeET4_jRbjT5_SW_jjP12ihipStream_tbEUlT_E_NS1_11comp_targetILNS1_3genE9ELNS1_11target_archE1100ELNS1_3gpuE3ELNS1_3repE0EEENS1_30default_config_static_selectorELNS0_4arch9wavefront6targetE0EEEvSK_: ; @_ZN7rocprim17ROCPRIM_400000_NS6detail17trampoline_kernelINS0_14default_configENS1_36segmented_radix_sort_config_selectorIdlEEZNS1_25segmented_radix_sort_implIS3_Lb1EPKdPdPKlPlN2at6native12_GLOBAL__N_18offset_tEEE10hipError_tPvRmT1_PNSt15iterator_traitsISK_E10value_typeET2_T3_PNSL_ISQ_E10value_typeET4_jRbjT5_SW_jjP12ihipStream_tbEUlT_E_NS1_11comp_targetILNS1_3genE9ELNS1_11target_archE1100ELNS1_3gpuE3ELNS1_3repE0EEENS1_30default_config_static_selectorELNS0_4arch9wavefront6targetE0EEEvSK_
; %bb.0:
	.section	.rodata,"a",@progbits
	.p2align	6, 0x0
	.amdhsa_kernel _ZN7rocprim17ROCPRIM_400000_NS6detail17trampoline_kernelINS0_14default_configENS1_36segmented_radix_sort_config_selectorIdlEEZNS1_25segmented_radix_sort_implIS3_Lb1EPKdPdPKlPlN2at6native12_GLOBAL__N_18offset_tEEE10hipError_tPvRmT1_PNSt15iterator_traitsISK_E10value_typeET2_T3_PNSL_ISQ_E10value_typeET4_jRbjT5_SW_jjP12ihipStream_tbEUlT_E_NS1_11comp_targetILNS1_3genE9ELNS1_11target_archE1100ELNS1_3gpuE3ELNS1_3repE0EEENS1_30default_config_static_selectorELNS0_4arch9wavefront6targetE0EEEvSK_
		.amdhsa_group_segment_fixed_size 0
		.amdhsa_private_segment_fixed_size 0
		.amdhsa_kernarg_size 96
		.amdhsa_user_sgpr_count 2
		.amdhsa_user_sgpr_dispatch_ptr 0
		.amdhsa_user_sgpr_queue_ptr 0
		.amdhsa_user_sgpr_kernarg_segment_ptr 1
		.amdhsa_user_sgpr_dispatch_id 0
		.amdhsa_user_sgpr_private_segment_size 0
		.amdhsa_wavefront_size32 1
		.amdhsa_uses_dynamic_stack 0
		.amdhsa_enable_private_segment 0
		.amdhsa_system_sgpr_workgroup_id_x 1
		.amdhsa_system_sgpr_workgroup_id_y 0
		.amdhsa_system_sgpr_workgroup_id_z 0
		.amdhsa_system_sgpr_workgroup_info 0
		.amdhsa_system_vgpr_workitem_id 0
		.amdhsa_next_free_vgpr 1
		.amdhsa_next_free_sgpr 1
		.amdhsa_reserve_vcc 0
		.amdhsa_float_round_mode_32 0
		.amdhsa_float_round_mode_16_64 0
		.amdhsa_float_denorm_mode_32 3
		.amdhsa_float_denorm_mode_16_64 3
		.amdhsa_fp16_overflow 0
		.amdhsa_workgroup_processor_mode 1
		.amdhsa_memory_ordered 1
		.amdhsa_forward_progress 1
		.amdhsa_inst_pref_size 0
		.amdhsa_round_robin_scheduling 0
		.amdhsa_exception_fp_ieee_invalid_op 0
		.amdhsa_exception_fp_denorm_src 0
		.amdhsa_exception_fp_ieee_div_zero 0
		.amdhsa_exception_fp_ieee_overflow 0
		.amdhsa_exception_fp_ieee_underflow 0
		.amdhsa_exception_fp_ieee_inexact 0
		.amdhsa_exception_int_div_zero 0
	.end_amdhsa_kernel
	.section	.text._ZN7rocprim17ROCPRIM_400000_NS6detail17trampoline_kernelINS0_14default_configENS1_36segmented_radix_sort_config_selectorIdlEEZNS1_25segmented_radix_sort_implIS3_Lb1EPKdPdPKlPlN2at6native12_GLOBAL__N_18offset_tEEE10hipError_tPvRmT1_PNSt15iterator_traitsISK_E10value_typeET2_T3_PNSL_ISQ_E10value_typeET4_jRbjT5_SW_jjP12ihipStream_tbEUlT_E_NS1_11comp_targetILNS1_3genE9ELNS1_11target_archE1100ELNS1_3gpuE3ELNS1_3repE0EEENS1_30default_config_static_selectorELNS0_4arch9wavefront6targetE0EEEvSK_,"axG",@progbits,_ZN7rocprim17ROCPRIM_400000_NS6detail17trampoline_kernelINS0_14default_configENS1_36segmented_radix_sort_config_selectorIdlEEZNS1_25segmented_radix_sort_implIS3_Lb1EPKdPdPKlPlN2at6native12_GLOBAL__N_18offset_tEEE10hipError_tPvRmT1_PNSt15iterator_traitsISK_E10value_typeET2_T3_PNSL_ISQ_E10value_typeET4_jRbjT5_SW_jjP12ihipStream_tbEUlT_E_NS1_11comp_targetILNS1_3genE9ELNS1_11target_archE1100ELNS1_3gpuE3ELNS1_3repE0EEENS1_30default_config_static_selectorELNS0_4arch9wavefront6targetE0EEEvSK_,comdat
.Lfunc_end1126:
	.size	_ZN7rocprim17ROCPRIM_400000_NS6detail17trampoline_kernelINS0_14default_configENS1_36segmented_radix_sort_config_selectorIdlEEZNS1_25segmented_radix_sort_implIS3_Lb1EPKdPdPKlPlN2at6native12_GLOBAL__N_18offset_tEEE10hipError_tPvRmT1_PNSt15iterator_traitsISK_E10value_typeET2_T3_PNSL_ISQ_E10value_typeET4_jRbjT5_SW_jjP12ihipStream_tbEUlT_E_NS1_11comp_targetILNS1_3genE9ELNS1_11target_archE1100ELNS1_3gpuE3ELNS1_3repE0EEENS1_30default_config_static_selectorELNS0_4arch9wavefront6targetE0EEEvSK_, .Lfunc_end1126-_ZN7rocprim17ROCPRIM_400000_NS6detail17trampoline_kernelINS0_14default_configENS1_36segmented_radix_sort_config_selectorIdlEEZNS1_25segmented_radix_sort_implIS3_Lb1EPKdPdPKlPlN2at6native12_GLOBAL__N_18offset_tEEE10hipError_tPvRmT1_PNSt15iterator_traitsISK_E10value_typeET2_T3_PNSL_ISQ_E10value_typeET4_jRbjT5_SW_jjP12ihipStream_tbEUlT_E_NS1_11comp_targetILNS1_3genE9ELNS1_11target_archE1100ELNS1_3gpuE3ELNS1_3repE0EEENS1_30default_config_static_selectorELNS0_4arch9wavefront6targetE0EEEvSK_
                                        ; -- End function
	.set _ZN7rocprim17ROCPRIM_400000_NS6detail17trampoline_kernelINS0_14default_configENS1_36segmented_radix_sort_config_selectorIdlEEZNS1_25segmented_radix_sort_implIS3_Lb1EPKdPdPKlPlN2at6native12_GLOBAL__N_18offset_tEEE10hipError_tPvRmT1_PNSt15iterator_traitsISK_E10value_typeET2_T3_PNSL_ISQ_E10value_typeET4_jRbjT5_SW_jjP12ihipStream_tbEUlT_E_NS1_11comp_targetILNS1_3genE9ELNS1_11target_archE1100ELNS1_3gpuE3ELNS1_3repE0EEENS1_30default_config_static_selectorELNS0_4arch9wavefront6targetE0EEEvSK_.num_vgpr, 0
	.set _ZN7rocprim17ROCPRIM_400000_NS6detail17trampoline_kernelINS0_14default_configENS1_36segmented_radix_sort_config_selectorIdlEEZNS1_25segmented_radix_sort_implIS3_Lb1EPKdPdPKlPlN2at6native12_GLOBAL__N_18offset_tEEE10hipError_tPvRmT1_PNSt15iterator_traitsISK_E10value_typeET2_T3_PNSL_ISQ_E10value_typeET4_jRbjT5_SW_jjP12ihipStream_tbEUlT_E_NS1_11comp_targetILNS1_3genE9ELNS1_11target_archE1100ELNS1_3gpuE3ELNS1_3repE0EEENS1_30default_config_static_selectorELNS0_4arch9wavefront6targetE0EEEvSK_.num_agpr, 0
	.set _ZN7rocprim17ROCPRIM_400000_NS6detail17trampoline_kernelINS0_14default_configENS1_36segmented_radix_sort_config_selectorIdlEEZNS1_25segmented_radix_sort_implIS3_Lb1EPKdPdPKlPlN2at6native12_GLOBAL__N_18offset_tEEE10hipError_tPvRmT1_PNSt15iterator_traitsISK_E10value_typeET2_T3_PNSL_ISQ_E10value_typeET4_jRbjT5_SW_jjP12ihipStream_tbEUlT_E_NS1_11comp_targetILNS1_3genE9ELNS1_11target_archE1100ELNS1_3gpuE3ELNS1_3repE0EEENS1_30default_config_static_selectorELNS0_4arch9wavefront6targetE0EEEvSK_.numbered_sgpr, 0
	.set _ZN7rocprim17ROCPRIM_400000_NS6detail17trampoline_kernelINS0_14default_configENS1_36segmented_radix_sort_config_selectorIdlEEZNS1_25segmented_radix_sort_implIS3_Lb1EPKdPdPKlPlN2at6native12_GLOBAL__N_18offset_tEEE10hipError_tPvRmT1_PNSt15iterator_traitsISK_E10value_typeET2_T3_PNSL_ISQ_E10value_typeET4_jRbjT5_SW_jjP12ihipStream_tbEUlT_E_NS1_11comp_targetILNS1_3genE9ELNS1_11target_archE1100ELNS1_3gpuE3ELNS1_3repE0EEENS1_30default_config_static_selectorELNS0_4arch9wavefront6targetE0EEEvSK_.num_named_barrier, 0
	.set _ZN7rocprim17ROCPRIM_400000_NS6detail17trampoline_kernelINS0_14default_configENS1_36segmented_radix_sort_config_selectorIdlEEZNS1_25segmented_radix_sort_implIS3_Lb1EPKdPdPKlPlN2at6native12_GLOBAL__N_18offset_tEEE10hipError_tPvRmT1_PNSt15iterator_traitsISK_E10value_typeET2_T3_PNSL_ISQ_E10value_typeET4_jRbjT5_SW_jjP12ihipStream_tbEUlT_E_NS1_11comp_targetILNS1_3genE9ELNS1_11target_archE1100ELNS1_3gpuE3ELNS1_3repE0EEENS1_30default_config_static_selectorELNS0_4arch9wavefront6targetE0EEEvSK_.private_seg_size, 0
	.set _ZN7rocprim17ROCPRIM_400000_NS6detail17trampoline_kernelINS0_14default_configENS1_36segmented_radix_sort_config_selectorIdlEEZNS1_25segmented_radix_sort_implIS3_Lb1EPKdPdPKlPlN2at6native12_GLOBAL__N_18offset_tEEE10hipError_tPvRmT1_PNSt15iterator_traitsISK_E10value_typeET2_T3_PNSL_ISQ_E10value_typeET4_jRbjT5_SW_jjP12ihipStream_tbEUlT_E_NS1_11comp_targetILNS1_3genE9ELNS1_11target_archE1100ELNS1_3gpuE3ELNS1_3repE0EEENS1_30default_config_static_selectorELNS0_4arch9wavefront6targetE0EEEvSK_.uses_vcc, 0
	.set _ZN7rocprim17ROCPRIM_400000_NS6detail17trampoline_kernelINS0_14default_configENS1_36segmented_radix_sort_config_selectorIdlEEZNS1_25segmented_radix_sort_implIS3_Lb1EPKdPdPKlPlN2at6native12_GLOBAL__N_18offset_tEEE10hipError_tPvRmT1_PNSt15iterator_traitsISK_E10value_typeET2_T3_PNSL_ISQ_E10value_typeET4_jRbjT5_SW_jjP12ihipStream_tbEUlT_E_NS1_11comp_targetILNS1_3genE9ELNS1_11target_archE1100ELNS1_3gpuE3ELNS1_3repE0EEENS1_30default_config_static_selectorELNS0_4arch9wavefront6targetE0EEEvSK_.uses_flat_scratch, 0
	.set _ZN7rocprim17ROCPRIM_400000_NS6detail17trampoline_kernelINS0_14default_configENS1_36segmented_radix_sort_config_selectorIdlEEZNS1_25segmented_radix_sort_implIS3_Lb1EPKdPdPKlPlN2at6native12_GLOBAL__N_18offset_tEEE10hipError_tPvRmT1_PNSt15iterator_traitsISK_E10value_typeET2_T3_PNSL_ISQ_E10value_typeET4_jRbjT5_SW_jjP12ihipStream_tbEUlT_E_NS1_11comp_targetILNS1_3genE9ELNS1_11target_archE1100ELNS1_3gpuE3ELNS1_3repE0EEENS1_30default_config_static_selectorELNS0_4arch9wavefront6targetE0EEEvSK_.has_dyn_sized_stack, 0
	.set _ZN7rocprim17ROCPRIM_400000_NS6detail17trampoline_kernelINS0_14default_configENS1_36segmented_radix_sort_config_selectorIdlEEZNS1_25segmented_radix_sort_implIS3_Lb1EPKdPdPKlPlN2at6native12_GLOBAL__N_18offset_tEEE10hipError_tPvRmT1_PNSt15iterator_traitsISK_E10value_typeET2_T3_PNSL_ISQ_E10value_typeET4_jRbjT5_SW_jjP12ihipStream_tbEUlT_E_NS1_11comp_targetILNS1_3genE9ELNS1_11target_archE1100ELNS1_3gpuE3ELNS1_3repE0EEENS1_30default_config_static_selectorELNS0_4arch9wavefront6targetE0EEEvSK_.has_recursion, 0
	.set _ZN7rocprim17ROCPRIM_400000_NS6detail17trampoline_kernelINS0_14default_configENS1_36segmented_radix_sort_config_selectorIdlEEZNS1_25segmented_radix_sort_implIS3_Lb1EPKdPdPKlPlN2at6native12_GLOBAL__N_18offset_tEEE10hipError_tPvRmT1_PNSt15iterator_traitsISK_E10value_typeET2_T3_PNSL_ISQ_E10value_typeET4_jRbjT5_SW_jjP12ihipStream_tbEUlT_E_NS1_11comp_targetILNS1_3genE9ELNS1_11target_archE1100ELNS1_3gpuE3ELNS1_3repE0EEENS1_30default_config_static_selectorELNS0_4arch9wavefront6targetE0EEEvSK_.has_indirect_call, 0
	.section	.AMDGPU.csdata,"",@progbits
; Kernel info:
; codeLenInByte = 0
; TotalNumSgprs: 0
; NumVgprs: 0
; ScratchSize: 0
; MemoryBound: 0
; FloatMode: 240
; IeeeMode: 1
; LDSByteSize: 0 bytes/workgroup (compile time only)
; SGPRBlocks: 0
; VGPRBlocks: 0
; NumSGPRsForWavesPerEU: 1
; NumVGPRsForWavesPerEU: 1
; Occupancy: 16
; WaveLimiterHint : 0
; COMPUTE_PGM_RSRC2:SCRATCH_EN: 0
; COMPUTE_PGM_RSRC2:USER_SGPR: 2
; COMPUTE_PGM_RSRC2:TRAP_HANDLER: 0
; COMPUTE_PGM_RSRC2:TGID_X_EN: 1
; COMPUTE_PGM_RSRC2:TGID_Y_EN: 0
; COMPUTE_PGM_RSRC2:TGID_Z_EN: 0
; COMPUTE_PGM_RSRC2:TIDIG_COMP_CNT: 0
	.section	.text._ZN7rocprim17ROCPRIM_400000_NS6detail17trampoline_kernelINS0_14default_configENS1_36segmented_radix_sort_config_selectorIdlEEZNS1_25segmented_radix_sort_implIS3_Lb1EPKdPdPKlPlN2at6native12_GLOBAL__N_18offset_tEEE10hipError_tPvRmT1_PNSt15iterator_traitsISK_E10value_typeET2_T3_PNSL_ISQ_E10value_typeET4_jRbjT5_SW_jjP12ihipStream_tbEUlT_E_NS1_11comp_targetILNS1_3genE8ELNS1_11target_archE1030ELNS1_3gpuE2ELNS1_3repE0EEENS1_30default_config_static_selectorELNS0_4arch9wavefront6targetE0EEEvSK_,"axG",@progbits,_ZN7rocprim17ROCPRIM_400000_NS6detail17trampoline_kernelINS0_14default_configENS1_36segmented_radix_sort_config_selectorIdlEEZNS1_25segmented_radix_sort_implIS3_Lb1EPKdPdPKlPlN2at6native12_GLOBAL__N_18offset_tEEE10hipError_tPvRmT1_PNSt15iterator_traitsISK_E10value_typeET2_T3_PNSL_ISQ_E10value_typeET4_jRbjT5_SW_jjP12ihipStream_tbEUlT_E_NS1_11comp_targetILNS1_3genE8ELNS1_11target_archE1030ELNS1_3gpuE2ELNS1_3repE0EEENS1_30default_config_static_selectorELNS0_4arch9wavefront6targetE0EEEvSK_,comdat
	.globl	_ZN7rocprim17ROCPRIM_400000_NS6detail17trampoline_kernelINS0_14default_configENS1_36segmented_radix_sort_config_selectorIdlEEZNS1_25segmented_radix_sort_implIS3_Lb1EPKdPdPKlPlN2at6native12_GLOBAL__N_18offset_tEEE10hipError_tPvRmT1_PNSt15iterator_traitsISK_E10value_typeET2_T3_PNSL_ISQ_E10value_typeET4_jRbjT5_SW_jjP12ihipStream_tbEUlT_E_NS1_11comp_targetILNS1_3genE8ELNS1_11target_archE1030ELNS1_3gpuE2ELNS1_3repE0EEENS1_30default_config_static_selectorELNS0_4arch9wavefront6targetE0EEEvSK_ ; -- Begin function _ZN7rocprim17ROCPRIM_400000_NS6detail17trampoline_kernelINS0_14default_configENS1_36segmented_radix_sort_config_selectorIdlEEZNS1_25segmented_radix_sort_implIS3_Lb1EPKdPdPKlPlN2at6native12_GLOBAL__N_18offset_tEEE10hipError_tPvRmT1_PNSt15iterator_traitsISK_E10value_typeET2_T3_PNSL_ISQ_E10value_typeET4_jRbjT5_SW_jjP12ihipStream_tbEUlT_E_NS1_11comp_targetILNS1_3genE8ELNS1_11target_archE1030ELNS1_3gpuE2ELNS1_3repE0EEENS1_30default_config_static_selectorELNS0_4arch9wavefront6targetE0EEEvSK_
	.p2align	8
	.type	_ZN7rocprim17ROCPRIM_400000_NS6detail17trampoline_kernelINS0_14default_configENS1_36segmented_radix_sort_config_selectorIdlEEZNS1_25segmented_radix_sort_implIS3_Lb1EPKdPdPKlPlN2at6native12_GLOBAL__N_18offset_tEEE10hipError_tPvRmT1_PNSt15iterator_traitsISK_E10value_typeET2_T3_PNSL_ISQ_E10value_typeET4_jRbjT5_SW_jjP12ihipStream_tbEUlT_E_NS1_11comp_targetILNS1_3genE8ELNS1_11target_archE1030ELNS1_3gpuE2ELNS1_3repE0EEENS1_30default_config_static_selectorELNS0_4arch9wavefront6targetE0EEEvSK_,@function
_ZN7rocprim17ROCPRIM_400000_NS6detail17trampoline_kernelINS0_14default_configENS1_36segmented_radix_sort_config_selectorIdlEEZNS1_25segmented_radix_sort_implIS3_Lb1EPKdPdPKlPlN2at6native12_GLOBAL__N_18offset_tEEE10hipError_tPvRmT1_PNSt15iterator_traitsISK_E10value_typeET2_T3_PNSL_ISQ_E10value_typeET4_jRbjT5_SW_jjP12ihipStream_tbEUlT_E_NS1_11comp_targetILNS1_3genE8ELNS1_11target_archE1030ELNS1_3gpuE2ELNS1_3repE0EEENS1_30default_config_static_selectorELNS0_4arch9wavefront6targetE0EEEvSK_: ; @_ZN7rocprim17ROCPRIM_400000_NS6detail17trampoline_kernelINS0_14default_configENS1_36segmented_radix_sort_config_selectorIdlEEZNS1_25segmented_radix_sort_implIS3_Lb1EPKdPdPKlPlN2at6native12_GLOBAL__N_18offset_tEEE10hipError_tPvRmT1_PNSt15iterator_traitsISK_E10value_typeET2_T3_PNSL_ISQ_E10value_typeET4_jRbjT5_SW_jjP12ihipStream_tbEUlT_E_NS1_11comp_targetILNS1_3genE8ELNS1_11target_archE1030ELNS1_3gpuE2ELNS1_3repE0EEENS1_30default_config_static_selectorELNS0_4arch9wavefront6targetE0EEEvSK_
; %bb.0:
	.section	.rodata,"a",@progbits
	.p2align	6, 0x0
	.amdhsa_kernel _ZN7rocprim17ROCPRIM_400000_NS6detail17trampoline_kernelINS0_14default_configENS1_36segmented_radix_sort_config_selectorIdlEEZNS1_25segmented_radix_sort_implIS3_Lb1EPKdPdPKlPlN2at6native12_GLOBAL__N_18offset_tEEE10hipError_tPvRmT1_PNSt15iterator_traitsISK_E10value_typeET2_T3_PNSL_ISQ_E10value_typeET4_jRbjT5_SW_jjP12ihipStream_tbEUlT_E_NS1_11comp_targetILNS1_3genE8ELNS1_11target_archE1030ELNS1_3gpuE2ELNS1_3repE0EEENS1_30default_config_static_selectorELNS0_4arch9wavefront6targetE0EEEvSK_
		.amdhsa_group_segment_fixed_size 0
		.amdhsa_private_segment_fixed_size 0
		.amdhsa_kernarg_size 96
		.amdhsa_user_sgpr_count 2
		.amdhsa_user_sgpr_dispatch_ptr 0
		.amdhsa_user_sgpr_queue_ptr 0
		.amdhsa_user_sgpr_kernarg_segment_ptr 1
		.amdhsa_user_sgpr_dispatch_id 0
		.amdhsa_user_sgpr_private_segment_size 0
		.amdhsa_wavefront_size32 1
		.amdhsa_uses_dynamic_stack 0
		.amdhsa_enable_private_segment 0
		.amdhsa_system_sgpr_workgroup_id_x 1
		.amdhsa_system_sgpr_workgroup_id_y 0
		.amdhsa_system_sgpr_workgroup_id_z 0
		.amdhsa_system_sgpr_workgroup_info 0
		.amdhsa_system_vgpr_workitem_id 0
		.amdhsa_next_free_vgpr 1
		.amdhsa_next_free_sgpr 1
		.amdhsa_reserve_vcc 0
		.amdhsa_float_round_mode_32 0
		.amdhsa_float_round_mode_16_64 0
		.amdhsa_float_denorm_mode_32 3
		.amdhsa_float_denorm_mode_16_64 3
		.amdhsa_fp16_overflow 0
		.amdhsa_workgroup_processor_mode 1
		.amdhsa_memory_ordered 1
		.amdhsa_forward_progress 1
		.amdhsa_inst_pref_size 0
		.amdhsa_round_robin_scheduling 0
		.amdhsa_exception_fp_ieee_invalid_op 0
		.amdhsa_exception_fp_denorm_src 0
		.amdhsa_exception_fp_ieee_div_zero 0
		.amdhsa_exception_fp_ieee_overflow 0
		.amdhsa_exception_fp_ieee_underflow 0
		.amdhsa_exception_fp_ieee_inexact 0
		.amdhsa_exception_int_div_zero 0
	.end_amdhsa_kernel
	.section	.text._ZN7rocprim17ROCPRIM_400000_NS6detail17trampoline_kernelINS0_14default_configENS1_36segmented_radix_sort_config_selectorIdlEEZNS1_25segmented_radix_sort_implIS3_Lb1EPKdPdPKlPlN2at6native12_GLOBAL__N_18offset_tEEE10hipError_tPvRmT1_PNSt15iterator_traitsISK_E10value_typeET2_T3_PNSL_ISQ_E10value_typeET4_jRbjT5_SW_jjP12ihipStream_tbEUlT_E_NS1_11comp_targetILNS1_3genE8ELNS1_11target_archE1030ELNS1_3gpuE2ELNS1_3repE0EEENS1_30default_config_static_selectorELNS0_4arch9wavefront6targetE0EEEvSK_,"axG",@progbits,_ZN7rocprim17ROCPRIM_400000_NS6detail17trampoline_kernelINS0_14default_configENS1_36segmented_radix_sort_config_selectorIdlEEZNS1_25segmented_radix_sort_implIS3_Lb1EPKdPdPKlPlN2at6native12_GLOBAL__N_18offset_tEEE10hipError_tPvRmT1_PNSt15iterator_traitsISK_E10value_typeET2_T3_PNSL_ISQ_E10value_typeET4_jRbjT5_SW_jjP12ihipStream_tbEUlT_E_NS1_11comp_targetILNS1_3genE8ELNS1_11target_archE1030ELNS1_3gpuE2ELNS1_3repE0EEENS1_30default_config_static_selectorELNS0_4arch9wavefront6targetE0EEEvSK_,comdat
.Lfunc_end1127:
	.size	_ZN7rocprim17ROCPRIM_400000_NS6detail17trampoline_kernelINS0_14default_configENS1_36segmented_radix_sort_config_selectorIdlEEZNS1_25segmented_radix_sort_implIS3_Lb1EPKdPdPKlPlN2at6native12_GLOBAL__N_18offset_tEEE10hipError_tPvRmT1_PNSt15iterator_traitsISK_E10value_typeET2_T3_PNSL_ISQ_E10value_typeET4_jRbjT5_SW_jjP12ihipStream_tbEUlT_E_NS1_11comp_targetILNS1_3genE8ELNS1_11target_archE1030ELNS1_3gpuE2ELNS1_3repE0EEENS1_30default_config_static_selectorELNS0_4arch9wavefront6targetE0EEEvSK_, .Lfunc_end1127-_ZN7rocprim17ROCPRIM_400000_NS6detail17trampoline_kernelINS0_14default_configENS1_36segmented_radix_sort_config_selectorIdlEEZNS1_25segmented_radix_sort_implIS3_Lb1EPKdPdPKlPlN2at6native12_GLOBAL__N_18offset_tEEE10hipError_tPvRmT1_PNSt15iterator_traitsISK_E10value_typeET2_T3_PNSL_ISQ_E10value_typeET4_jRbjT5_SW_jjP12ihipStream_tbEUlT_E_NS1_11comp_targetILNS1_3genE8ELNS1_11target_archE1030ELNS1_3gpuE2ELNS1_3repE0EEENS1_30default_config_static_selectorELNS0_4arch9wavefront6targetE0EEEvSK_
                                        ; -- End function
	.set _ZN7rocprim17ROCPRIM_400000_NS6detail17trampoline_kernelINS0_14default_configENS1_36segmented_radix_sort_config_selectorIdlEEZNS1_25segmented_radix_sort_implIS3_Lb1EPKdPdPKlPlN2at6native12_GLOBAL__N_18offset_tEEE10hipError_tPvRmT1_PNSt15iterator_traitsISK_E10value_typeET2_T3_PNSL_ISQ_E10value_typeET4_jRbjT5_SW_jjP12ihipStream_tbEUlT_E_NS1_11comp_targetILNS1_3genE8ELNS1_11target_archE1030ELNS1_3gpuE2ELNS1_3repE0EEENS1_30default_config_static_selectorELNS0_4arch9wavefront6targetE0EEEvSK_.num_vgpr, 0
	.set _ZN7rocprim17ROCPRIM_400000_NS6detail17trampoline_kernelINS0_14default_configENS1_36segmented_radix_sort_config_selectorIdlEEZNS1_25segmented_radix_sort_implIS3_Lb1EPKdPdPKlPlN2at6native12_GLOBAL__N_18offset_tEEE10hipError_tPvRmT1_PNSt15iterator_traitsISK_E10value_typeET2_T3_PNSL_ISQ_E10value_typeET4_jRbjT5_SW_jjP12ihipStream_tbEUlT_E_NS1_11comp_targetILNS1_3genE8ELNS1_11target_archE1030ELNS1_3gpuE2ELNS1_3repE0EEENS1_30default_config_static_selectorELNS0_4arch9wavefront6targetE0EEEvSK_.num_agpr, 0
	.set _ZN7rocprim17ROCPRIM_400000_NS6detail17trampoline_kernelINS0_14default_configENS1_36segmented_radix_sort_config_selectorIdlEEZNS1_25segmented_radix_sort_implIS3_Lb1EPKdPdPKlPlN2at6native12_GLOBAL__N_18offset_tEEE10hipError_tPvRmT1_PNSt15iterator_traitsISK_E10value_typeET2_T3_PNSL_ISQ_E10value_typeET4_jRbjT5_SW_jjP12ihipStream_tbEUlT_E_NS1_11comp_targetILNS1_3genE8ELNS1_11target_archE1030ELNS1_3gpuE2ELNS1_3repE0EEENS1_30default_config_static_selectorELNS0_4arch9wavefront6targetE0EEEvSK_.numbered_sgpr, 0
	.set _ZN7rocprim17ROCPRIM_400000_NS6detail17trampoline_kernelINS0_14default_configENS1_36segmented_radix_sort_config_selectorIdlEEZNS1_25segmented_radix_sort_implIS3_Lb1EPKdPdPKlPlN2at6native12_GLOBAL__N_18offset_tEEE10hipError_tPvRmT1_PNSt15iterator_traitsISK_E10value_typeET2_T3_PNSL_ISQ_E10value_typeET4_jRbjT5_SW_jjP12ihipStream_tbEUlT_E_NS1_11comp_targetILNS1_3genE8ELNS1_11target_archE1030ELNS1_3gpuE2ELNS1_3repE0EEENS1_30default_config_static_selectorELNS0_4arch9wavefront6targetE0EEEvSK_.num_named_barrier, 0
	.set _ZN7rocprim17ROCPRIM_400000_NS6detail17trampoline_kernelINS0_14default_configENS1_36segmented_radix_sort_config_selectorIdlEEZNS1_25segmented_radix_sort_implIS3_Lb1EPKdPdPKlPlN2at6native12_GLOBAL__N_18offset_tEEE10hipError_tPvRmT1_PNSt15iterator_traitsISK_E10value_typeET2_T3_PNSL_ISQ_E10value_typeET4_jRbjT5_SW_jjP12ihipStream_tbEUlT_E_NS1_11comp_targetILNS1_3genE8ELNS1_11target_archE1030ELNS1_3gpuE2ELNS1_3repE0EEENS1_30default_config_static_selectorELNS0_4arch9wavefront6targetE0EEEvSK_.private_seg_size, 0
	.set _ZN7rocprim17ROCPRIM_400000_NS6detail17trampoline_kernelINS0_14default_configENS1_36segmented_radix_sort_config_selectorIdlEEZNS1_25segmented_radix_sort_implIS3_Lb1EPKdPdPKlPlN2at6native12_GLOBAL__N_18offset_tEEE10hipError_tPvRmT1_PNSt15iterator_traitsISK_E10value_typeET2_T3_PNSL_ISQ_E10value_typeET4_jRbjT5_SW_jjP12ihipStream_tbEUlT_E_NS1_11comp_targetILNS1_3genE8ELNS1_11target_archE1030ELNS1_3gpuE2ELNS1_3repE0EEENS1_30default_config_static_selectorELNS0_4arch9wavefront6targetE0EEEvSK_.uses_vcc, 0
	.set _ZN7rocprim17ROCPRIM_400000_NS6detail17trampoline_kernelINS0_14default_configENS1_36segmented_radix_sort_config_selectorIdlEEZNS1_25segmented_radix_sort_implIS3_Lb1EPKdPdPKlPlN2at6native12_GLOBAL__N_18offset_tEEE10hipError_tPvRmT1_PNSt15iterator_traitsISK_E10value_typeET2_T3_PNSL_ISQ_E10value_typeET4_jRbjT5_SW_jjP12ihipStream_tbEUlT_E_NS1_11comp_targetILNS1_3genE8ELNS1_11target_archE1030ELNS1_3gpuE2ELNS1_3repE0EEENS1_30default_config_static_selectorELNS0_4arch9wavefront6targetE0EEEvSK_.uses_flat_scratch, 0
	.set _ZN7rocprim17ROCPRIM_400000_NS6detail17trampoline_kernelINS0_14default_configENS1_36segmented_radix_sort_config_selectorIdlEEZNS1_25segmented_radix_sort_implIS3_Lb1EPKdPdPKlPlN2at6native12_GLOBAL__N_18offset_tEEE10hipError_tPvRmT1_PNSt15iterator_traitsISK_E10value_typeET2_T3_PNSL_ISQ_E10value_typeET4_jRbjT5_SW_jjP12ihipStream_tbEUlT_E_NS1_11comp_targetILNS1_3genE8ELNS1_11target_archE1030ELNS1_3gpuE2ELNS1_3repE0EEENS1_30default_config_static_selectorELNS0_4arch9wavefront6targetE0EEEvSK_.has_dyn_sized_stack, 0
	.set _ZN7rocprim17ROCPRIM_400000_NS6detail17trampoline_kernelINS0_14default_configENS1_36segmented_radix_sort_config_selectorIdlEEZNS1_25segmented_radix_sort_implIS3_Lb1EPKdPdPKlPlN2at6native12_GLOBAL__N_18offset_tEEE10hipError_tPvRmT1_PNSt15iterator_traitsISK_E10value_typeET2_T3_PNSL_ISQ_E10value_typeET4_jRbjT5_SW_jjP12ihipStream_tbEUlT_E_NS1_11comp_targetILNS1_3genE8ELNS1_11target_archE1030ELNS1_3gpuE2ELNS1_3repE0EEENS1_30default_config_static_selectorELNS0_4arch9wavefront6targetE0EEEvSK_.has_recursion, 0
	.set _ZN7rocprim17ROCPRIM_400000_NS6detail17trampoline_kernelINS0_14default_configENS1_36segmented_radix_sort_config_selectorIdlEEZNS1_25segmented_radix_sort_implIS3_Lb1EPKdPdPKlPlN2at6native12_GLOBAL__N_18offset_tEEE10hipError_tPvRmT1_PNSt15iterator_traitsISK_E10value_typeET2_T3_PNSL_ISQ_E10value_typeET4_jRbjT5_SW_jjP12ihipStream_tbEUlT_E_NS1_11comp_targetILNS1_3genE8ELNS1_11target_archE1030ELNS1_3gpuE2ELNS1_3repE0EEENS1_30default_config_static_selectorELNS0_4arch9wavefront6targetE0EEEvSK_.has_indirect_call, 0
	.section	.AMDGPU.csdata,"",@progbits
; Kernel info:
; codeLenInByte = 0
; TotalNumSgprs: 0
; NumVgprs: 0
; ScratchSize: 0
; MemoryBound: 0
; FloatMode: 240
; IeeeMode: 1
; LDSByteSize: 0 bytes/workgroup (compile time only)
; SGPRBlocks: 0
; VGPRBlocks: 0
; NumSGPRsForWavesPerEU: 1
; NumVGPRsForWavesPerEU: 1
; Occupancy: 16
; WaveLimiterHint : 0
; COMPUTE_PGM_RSRC2:SCRATCH_EN: 0
; COMPUTE_PGM_RSRC2:USER_SGPR: 2
; COMPUTE_PGM_RSRC2:TRAP_HANDLER: 0
; COMPUTE_PGM_RSRC2:TGID_X_EN: 1
; COMPUTE_PGM_RSRC2:TGID_Y_EN: 0
; COMPUTE_PGM_RSRC2:TGID_Z_EN: 0
; COMPUTE_PGM_RSRC2:TIDIG_COMP_CNT: 0
	.section	.text._ZN7rocprim17ROCPRIM_400000_NS6detail17trampoline_kernelINS0_14default_configENS1_36segmented_radix_sort_config_selectorIdlEEZNS1_25segmented_radix_sort_implIS3_Lb1EPKdPdPKlPlN2at6native12_GLOBAL__N_18offset_tEEE10hipError_tPvRmT1_PNSt15iterator_traitsISK_E10value_typeET2_T3_PNSL_ISQ_E10value_typeET4_jRbjT5_SW_jjP12ihipStream_tbEUlT_E0_NS1_11comp_targetILNS1_3genE0ELNS1_11target_archE4294967295ELNS1_3gpuE0ELNS1_3repE0EEENS1_60segmented_radix_sort_warp_sort_medium_config_static_selectorELNS0_4arch9wavefront6targetE0EEEvSK_,"axG",@progbits,_ZN7rocprim17ROCPRIM_400000_NS6detail17trampoline_kernelINS0_14default_configENS1_36segmented_radix_sort_config_selectorIdlEEZNS1_25segmented_radix_sort_implIS3_Lb1EPKdPdPKlPlN2at6native12_GLOBAL__N_18offset_tEEE10hipError_tPvRmT1_PNSt15iterator_traitsISK_E10value_typeET2_T3_PNSL_ISQ_E10value_typeET4_jRbjT5_SW_jjP12ihipStream_tbEUlT_E0_NS1_11comp_targetILNS1_3genE0ELNS1_11target_archE4294967295ELNS1_3gpuE0ELNS1_3repE0EEENS1_60segmented_radix_sort_warp_sort_medium_config_static_selectorELNS0_4arch9wavefront6targetE0EEEvSK_,comdat
	.globl	_ZN7rocprim17ROCPRIM_400000_NS6detail17trampoline_kernelINS0_14default_configENS1_36segmented_radix_sort_config_selectorIdlEEZNS1_25segmented_radix_sort_implIS3_Lb1EPKdPdPKlPlN2at6native12_GLOBAL__N_18offset_tEEE10hipError_tPvRmT1_PNSt15iterator_traitsISK_E10value_typeET2_T3_PNSL_ISQ_E10value_typeET4_jRbjT5_SW_jjP12ihipStream_tbEUlT_E0_NS1_11comp_targetILNS1_3genE0ELNS1_11target_archE4294967295ELNS1_3gpuE0ELNS1_3repE0EEENS1_60segmented_radix_sort_warp_sort_medium_config_static_selectorELNS0_4arch9wavefront6targetE0EEEvSK_ ; -- Begin function _ZN7rocprim17ROCPRIM_400000_NS6detail17trampoline_kernelINS0_14default_configENS1_36segmented_radix_sort_config_selectorIdlEEZNS1_25segmented_radix_sort_implIS3_Lb1EPKdPdPKlPlN2at6native12_GLOBAL__N_18offset_tEEE10hipError_tPvRmT1_PNSt15iterator_traitsISK_E10value_typeET2_T3_PNSL_ISQ_E10value_typeET4_jRbjT5_SW_jjP12ihipStream_tbEUlT_E0_NS1_11comp_targetILNS1_3genE0ELNS1_11target_archE4294967295ELNS1_3gpuE0ELNS1_3repE0EEENS1_60segmented_radix_sort_warp_sort_medium_config_static_selectorELNS0_4arch9wavefront6targetE0EEEvSK_
	.p2align	8
	.type	_ZN7rocprim17ROCPRIM_400000_NS6detail17trampoline_kernelINS0_14default_configENS1_36segmented_radix_sort_config_selectorIdlEEZNS1_25segmented_radix_sort_implIS3_Lb1EPKdPdPKlPlN2at6native12_GLOBAL__N_18offset_tEEE10hipError_tPvRmT1_PNSt15iterator_traitsISK_E10value_typeET2_T3_PNSL_ISQ_E10value_typeET4_jRbjT5_SW_jjP12ihipStream_tbEUlT_E0_NS1_11comp_targetILNS1_3genE0ELNS1_11target_archE4294967295ELNS1_3gpuE0ELNS1_3repE0EEENS1_60segmented_radix_sort_warp_sort_medium_config_static_selectorELNS0_4arch9wavefront6targetE0EEEvSK_,@function
_ZN7rocprim17ROCPRIM_400000_NS6detail17trampoline_kernelINS0_14default_configENS1_36segmented_radix_sort_config_selectorIdlEEZNS1_25segmented_radix_sort_implIS3_Lb1EPKdPdPKlPlN2at6native12_GLOBAL__N_18offset_tEEE10hipError_tPvRmT1_PNSt15iterator_traitsISK_E10value_typeET2_T3_PNSL_ISQ_E10value_typeET4_jRbjT5_SW_jjP12ihipStream_tbEUlT_E0_NS1_11comp_targetILNS1_3genE0ELNS1_11target_archE4294967295ELNS1_3gpuE0ELNS1_3repE0EEENS1_60segmented_radix_sort_warp_sort_medium_config_static_selectorELNS0_4arch9wavefront6targetE0EEEvSK_: ; @_ZN7rocprim17ROCPRIM_400000_NS6detail17trampoline_kernelINS0_14default_configENS1_36segmented_radix_sort_config_selectorIdlEEZNS1_25segmented_radix_sort_implIS3_Lb1EPKdPdPKlPlN2at6native12_GLOBAL__N_18offset_tEEE10hipError_tPvRmT1_PNSt15iterator_traitsISK_E10value_typeET2_T3_PNSL_ISQ_E10value_typeET4_jRbjT5_SW_jjP12ihipStream_tbEUlT_E0_NS1_11comp_targetILNS1_3genE0ELNS1_11target_archE4294967295ELNS1_3gpuE0ELNS1_3repE0EEENS1_60segmented_radix_sort_warp_sort_medium_config_static_selectorELNS0_4arch9wavefront6targetE0EEEvSK_
; %bb.0:
	.section	.rodata,"a",@progbits
	.p2align	6, 0x0
	.amdhsa_kernel _ZN7rocprim17ROCPRIM_400000_NS6detail17trampoline_kernelINS0_14default_configENS1_36segmented_radix_sort_config_selectorIdlEEZNS1_25segmented_radix_sort_implIS3_Lb1EPKdPdPKlPlN2at6native12_GLOBAL__N_18offset_tEEE10hipError_tPvRmT1_PNSt15iterator_traitsISK_E10value_typeET2_T3_PNSL_ISQ_E10value_typeET4_jRbjT5_SW_jjP12ihipStream_tbEUlT_E0_NS1_11comp_targetILNS1_3genE0ELNS1_11target_archE4294967295ELNS1_3gpuE0ELNS1_3repE0EEENS1_60segmented_radix_sort_warp_sort_medium_config_static_selectorELNS0_4arch9wavefront6targetE0EEEvSK_
		.amdhsa_group_segment_fixed_size 0
		.amdhsa_private_segment_fixed_size 0
		.amdhsa_kernarg_size 88
		.amdhsa_user_sgpr_count 2
		.amdhsa_user_sgpr_dispatch_ptr 0
		.amdhsa_user_sgpr_queue_ptr 0
		.amdhsa_user_sgpr_kernarg_segment_ptr 1
		.amdhsa_user_sgpr_dispatch_id 0
		.amdhsa_user_sgpr_private_segment_size 0
		.amdhsa_wavefront_size32 1
		.amdhsa_uses_dynamic_stack 0
		.amdhsa_enable_private_segment 0
		.amdhsa_system_sgpr_workgroup_id_x 1
		.amdhsa_system_sgpr_workgroup_id_y 0
		.amdhsa_system_sgpr_workgroup_id_z 0
		.amdhsa_system_sgpr_workgroup_info 0
		.amdhsa_system_vgpr_workitem_id 0
		.amdhsa_next_free_vgpr 1
		.amdhsa_next_free_sgpr 1
		.amdhsa_reserve_vcc 0
		.amdhsa_float_round_mode_32 0
		.amdhsa_float_round_mode_16_64 0
		.amdhsa_float_denorm_mode_32 3
		.amdhsa_float_denorm_mode_16_64 3
		.amdhsa_fp16_overflow 0
		.amdhsa_workgroup_processor_mode 1
		.amdhsa_memory_ordered 1
		.amdhsa_forward_progress 1
		.amdhsa_inst_pref_size 0
		.amdhsa_round_robin_scheduling 0
		.amdhsa_exception_fp_ieee_invalid_op 0
		.amdhsa_exception_fp_denorm_src 0
		.amdhsa_exception_fp_ieee_div_zero 0
		.amdhsa_exception_fp_ieee_overflow 0
		.amdhsa_exception_fp_ieee_underflow 0
		.amdhsa_exception_fp_ieee_inexact 0
		.amdhsa_exception_int_div_zero 0
	.end_amdhsa_kernel
	.section	.text._ZN7rocprim17ROCPRIM_400000_NS6detail17trampoline_kernelINS0_14default_configENS1_36segmented_radix_sort_config_selectorIdlEEZNS1_25segmented_radix_sort_implIS3_Lb1EPKdPdPKlPlN2at6native12_GLOBAL__N_18offset_tEEE10hipError_tPvRmT1_PNSt15iterator_traitsISK_E10value_typeET2_T3_PNSL_ISQ_E10value_typeET4_jRbjT5_SW_jjP12ihipStream_tbEUlT_E0_NS1_11comp_targetILNS1_3genE0ELNS1_11target_archE4294967295ELNS1_3gpuE0ELNS1_3repE0EEENS1_60segmented_radix_sort_warp_sort_medium_config_static_selectorELNS0_4arch9wavefront6targetE0EEEvSK_,"axG",@progbits,_ZN7rocprim17ROCPRIM_400000_NS6detail17trampoline_kernelINS0_14default_configENS1_36segmented_radix_sort_config_selectorIdlEEZNS1_25segmented_radix_sort_implIS3_Lb1EPKdPdPKlPlN2at6native12_GLOBAL__N_18offset_tEEE10hipError_tPvRmT1_PNSt15iterator_traitsISK_E10value_typeET2_T3_PNSL_ISQ_E10value_typeET4_jRbjT5_SW_jjP12ihipStream_tbEUlT_E0_NS1_11comp_targetILNS1_3genE0ELNS1_11target_archE4294967295ELNS1_3gpuE0ELNS1_3repE0EEENS1_60segmented_radix_sort_warp_sort_medium_config_static_selectorELNS0_4arch9wavefront6targetE0EEEvSK_,comdat
.Lfunc_end1128:
	.size	_ZN7rocprim17ROCPRIM_400000_NS6detail17trampoline_kernelINS0_14default_configENS1_36segmented_radix_sort_config_selectorIdlEEZNS1_25segmented_radix_sort_implIS3_Lb1EPKdPdPKlPlN2at6native12_GLOBAL__N_18offset_tEEE10hipError_tPvRmT1_PNSt15iterator_traitsISK_E10value_typeET2_T3_PNSL_ISQ_E10value_typeET4_jRbjT5_SW_jjP12ihipStream_tbEUlT_E0_NS1_11comp_targetILNS1_3genE0ELNS1_11target_archE4294967295ELNS1_3gpuE0ELNS1_3repE0EEENS1_60segmented_radix_sort_warp_sort_medium_config_static_selectorELNS0_4arch9wavefront6targetE0EEEvSK_, .Lfunc_end1128-_ZN7rocprim17ROCPRIM_400000_NS6detail17trampoline_kernelINS0_14default_configENS1_36segmented_radix_sort_config_selectorIdlEEZNS1_25segmented_radix_sort_implIS3_Lb1EPKdPdPKlPlN2at6native12_GLOBAL__N_18offset_tEEE10hipError_tPvRmT1_PNSt15iterator_traitsISK_E10value_typeET2_T3_PNSL_ISQ_E10value_typeET4_jRbjT5_SW_jjP12ihipStream_tbEUlT_E0_NS1_11comp_targetILNS1_3genE0ELNS1_11target_archE4294967295ELNS1_3gpuE0ELNS1_3repE0EEENS1_60segmented_radix_sort_warp_sort_medium_config_static_selectorELNS0_4arch9wavefront6targetE0EEEvSK_
                                        ; -- End function
	.set _ZN7rocprim17ROCPRIM_400000_NS6detail17trampoline_kernelINS0_14default_configENS1_36segmented_radix_sort_config_selectorIdlEEZNS1_25segmented_radix_sort_implIS3_Lb1EPKdPdPKlPlN2at6native12_GLOBAL__N_18offset_tEEE10hipError_tPvRmT1_PNSt15iterator_traitsISK_E10value_typeET2_T3_PNSL_ISQ_E10value_typeET4_jRbjT5_SW_jjP12ihipStream_tbEUlT_E0_NS1_11comp_targetILNS1_3genE0ELNS1_11target_archE4294967295ELNS1_3gpuE0ELNS1_3repE0EEENS1_60segmented_radix_sort_warp_sort_medium_config_static_selectorELNS0_4arch9wavefront6targetE0EEEvSK_.num_vgpr, 0
	.set _ZN7rocprim17ROCPRIM_400000_NS6detail17trampoline_kernelINS0_14default_configENS1_36segmented_radix_sort_config_selectorIdlEEZNS1_25segmented_radix_sort_implIS3_Lb1EPKdPdPKlPlN2at6native12_GLOBAL__N_18offset_tEEE10hipError_tPvRmT1_PNSt15iterator_traitsISK_E10value_typeET2_T3_PNSL_ISQ_E10value_typeET4_jRbjT5_SW_jjP12ihipStream_tbEUlT_E0_NS1_11comp_targetILNS1_3genE0ELNS1_11target_archE4294967295ELNS1_3gpuE0ELNS1_3repE0EEENS1_60segmented_radix_sort_warp_sort_medium_config_static_selectorELNS0_4arch9wavefront6targetE0EEEvSK_.num_agpr, 0
	.set _ZN7rocprim17ROCPRIM_400000_NS6detail17trampoline_kernelINS0_14default_configENS1_36segmented_radix_sort_config_selectorIdlEEZNS1_25segmented_radix_sort_implIS3_Lb1EPKdPdPKlPlN2at6native12_GLOBAL__N_18offset_tEEE10hipError_tPvRmT1_PNSt15iterator_traitsISK_E10value_typeET2_T3_PNSL_ISQ_E10value_typeET4_jRbjT5_SW_jjP12ihipStream_tbEUlT_E0_NS1_11comp_targetILNS1_3genE0ELNS1_11target_archE4294967295ELNS1_3gpuE0ELNS1_3repE0EEENS1_60segmented_radix_sort_warp_sort_medium_config_static_selectorELNS0_4arch9wavefront6targetE0EEEvSK_.numbered_sgpr, 0
	.set _ZN7rocprim17ROCPRIM_400000_NS6detail17trampoline_kernelINS0_14default_configENS1_36segmented_radix_sort_config_selectorIdlEEZNS1_25segmented_radix_sort_implIS3_Lb1EPKdPdPKlPlN2at6native12_GLOBAL__N_18offset_tEEE10hipError_tPvRmT1_PNSt15iterator_traitsISK_E10value_typeET2_T3_PNSL_ISQ_E10value_typeET4_jRbjT5_SW_jjP12ihipStream_tbEUlT_E0_NS1_11comp_targetILNS1_3genE0ELNS1_11target_archE4294967295ELNS1_3gpuE0ELNS1_3repE0EEENS1_60segmented_radix_sort_warp_sort_medium_config_static_selectorELNS0_4arch9wavefront6targetE0EEEvSK_.num_named_barrier, 0
	.set _ZN7rocprim17ROCPRIM_400000_NS6detail17trampoline_kernelINS0_14default_configENS1_36segmented_radix_sort_config_selectorIdlEEZNS1_25segmented_radix_sort_implIS3_Lb1EPKdPdPKlPlN2at6native12_GLOBAL__N_18offset_tEEE10hipError_tPvRmT1_PNSt15iterator_traitsISK_E10value_typeET2_T3_PNSL_ISQ_E10value_typeET4_jRbjT5_SW_jjP12ihipStream_tbEUlT_E0_NS1_11comp_targetILNS1_3genE0ELNS1_11target_archE4294967295ELNS1_3gpuE0ELNS1_3repE0EEENS1_60segmented_radix_sort_warp_sort_medium_config_static_selectorELNS0_4arch9wavefront6targetE0EEEvSK_.private_seg_size, 0
	.set _ZN7rocprim17ROCPRIM_400000_NS6detail17trampoline_kernelINS0_14default_configENS1_36segmented_radix_sort_config_selectorIdlEEZNS1_25segmented_radix_sort_implIS3_Lb1EPKdPdPKlPlN2at6native12_GLOBAL__N_18offset_tEEE10hipError_tPvRmT1_PNSt15iterator_traitsISK_E10value_typeET2_T3_PNSL_ISQ_E10value_typeET4_jRbjT5_SW_jjP12ihipStream_tbEUlT_E0_NS1_11comp_targetILNS1_3genE0ELNS1_11target_archE4294967295ELNS1_3gpuE0ELNS1_3repE0EEENS1_60segmented_radix_sort_warp_sort_medium_config_static_selectorELNS0_4arch9wavefront6targetE0EEEvSK_.uses_vcc, 0
	.set _ZN7rocprim17ROCPRIM_400000_NS6detail17trampoline_kernelINS0_14default_configENS1_36segmented_radix_sort_config_selectorIdlEEZNS1_25segmented_radix_sort_implIS3_Lb1EPKdPdPKlPlN2at6native12_GLOBAL__N_18offset_tEEE10hipError_tPvRmT1_PNSt15iterator_traitsISK_E10value_typeET2_T3_PNSL_ISQ_E10value_typeET4_jRbjT5_SW_jjP12ihipStream_tbEUlT_E0_NS1_11comp_targetILNS1_3genE0ELNS1_11target_archE4294967295ELNS1_3gpuE0ELNS1_3repE0EEENS1_60segmented_radix_sort_warp_sort_medium_config_static_selectorELNS0_4arch9wavefront6targetE0EEEvSK_.uses_flat_scratch, 0
	.set _ZN7rocprim17ROCPRIM_400000_NS6detail17trampoline_kernelINS0_14default_configENS1_36segmented_radix_sort_config_selectorIdlEEZNS1_25segmented_radix_sort_implIS3_Lb1EPKdPdPKlPlN2at6native12_GLOBAL__N_18offset_tEEE10hipError_tPvRmT1_PNSt15iterator_traitsISK_E10value_typeET2_T3_PNSL_ISQ_E10value_typeET4_jRbjT5_SW_jjP12ihipStream_tbEUlT_E0_NS1_11comp_targetILNS1_3genE0ELNS1_11target_archE4294967295ELNS1_3gpuE0ELNS1_3repE0EEENS1_60segmented_radix_sort_warp_sort_medium_config_static_selectorELNS0_4arch9wavefront6targetE0EEEvSK_.has_dyn_sized_stack, 0
	.set _ZN7rocprim17ROCPRIM_400000_NS6detail17trampoline_kernelINS0_14default_configENS1_36segmented_radix_sort_config_selectorIdlEEZNS1_25segmented_radix_sort_implIS3_Lb1EPKdPdPKlPlN2at6native12_GLOBAL__N_18offset_tEEE10hipError_tPvRmT1_PNSt15iterator_traitsISK_E10value_typeET2_T3_PNSL_ISQ_E10value_typeET4_jRbjT5_SW_jjP12ihipStream_tbEUlT_E0_NS1_11comp_targetILNS1_3genE0ELNS1_11target_archE4294967295ELNS1_3gpuE0ELNS1_3repE0EEENS1_60segmented_radix_sort_warp_sort_medium_config_static_selectorELNS0_4arch9wavefront6targetE0EEEvSK_.has_recursion, 0
	.set _ZN7rocprim17ROCPRIM_400000_NS6detail17trampoline_kernelINS0_14default_configENS1_36segmented_radix_sort_config_selectorIdlEEZNS1_25segmented_radix_sort_implIS3_Lb1EPKdPdPKlPlN2at6native12_GLOBAL__N_18offset_tEEE10hipError_tPvRmT1_PNSt15iterator_traitsISK_E10value_typeET2_T3_PNSL_ISQ_E10value_typeET4_jRbjT5_SW_jjP12ihipStream_tbEUlT_E0_NS1_11comp_targetILNS1_3genE0ELNS1_11target_archE4294967295ELNS1_3gpuE0ELNS1_3repE0EEENS1_60segmented_radix_sort_warp_sort_medium_config_static_selectorELNS0_4arch9wavefront6targetE0EEEvSK_.has_indirect_call, 0
	.section	.AMDGPU.csdata,"",@progbits
; Kernel info:
; codeLenInByte = 0
; TotalNumSgprs: 0
; NumVgprs: 0
; ScratchSize: 0
; MemoryBound: 0
; FloatMode: 240
; IeeeMode: 1
; LDSByteSize: 0 bytes/workgroup (compile time only)
; SGPRBlocks: 0
; VGPRBlocks: 0
; NumSGPRsForWavesPerEU: 1
; NumVGPRsForWavesPerEU: 1
; Occupancy: 16
; WaveLimiterHint : 0
; COMPUTE_PGM_RSRC2:SCRATCH_EN: 0
; COMPUTE_PGM_RSRC2:USER_SGPR: 2
; COMPUTE_PGM_RSRC2:TRAP_HANDLER: 0
; COMPUTE_PGM_RSRC2:TGID_X_EN: 1
; COMPUTE_PGM_RSRC2:TGID_Y_EN: 0
; COMPUTE_PGM_RSRC2:TGID_Z_EN: 0
; COMPUTE_PGM_RSRC2:TIDIG_COMP_CNT: 0
	.section	.text._ZN7rocprim17ROCPRIM_400000_NS6detail17trampoline_kernelINS0_14default_configENS1_36segmented_radix_sort_config_selectorIdlEEZNS1_25segmented_radix_sort_implIS3_Lb1EPKdPdPKlPlN2at6native12_GLOBAL__N_18offset_tEEE10hipError_tPvRmT1_PNSt15iterator_traitsISK_E10value_typeET2_T3_PNSL_ISQ_E10value_typeET4_jRbjT5_SW_jjP12ihipStream_tbEUlT_E0_NS1_11comp_targetILNS1_3genE5ELNS1_11target_archE942ELNS1_3gpuE9ELNS1_3repE0EEENS1_60segmented_radix_sort_warp_sort_medium_config_static_selectorELNS0_4arch9wavefront6targetE0EEEvSK_,"axG",@progbits,_ZN7rocprim17ROCPRIM_400000_NS6detail17trampoline_kernelINS0_14default_configENS1_36segmented_radix_sort_config_selectorIdlEEZNS1_25segmented_radix_sort_implIS3_Lb1EPKdPdPKlPlN2at6native12_GLOBAL__N_18offset_tEEE10hipError_tPvRmT1_PNSt15iterator_traitsISK_E10value_typeET2_T3_PNSL_ISQ_E10value_typeET4_jRbjT5_SW_jjP12ihipStream_tbEUlT_E0_NS1_11comp_targetILNS1_3genE5ELNS1_11target_archE942ELNS1_3gpuE9ELNS1_3repE0EEENS1_60segmented_radix_sort_warp_sort_medium_config_static_selectorELNS0_4arch9wavefront6targetE0EEEvSK_,comdat
	.globl	_ZN7rocprim17ROCPRIM_400000_NS6detail17trampoline_kernelINS0_14default_configENS1_36segmented_radix_sort_config_selectorIdlEEZNS1_25segmented_radix_sort_implIS3_Lb1EPKdPdPKlPlN2at6native12_GLOBAL__N_18offset_tEEE10hipError_tPvRmT1_PNSt15iterator_traitsISK_E10value_typeET2_T3_PNSL_ISQ_E10value_typeET4_jRbjT5_SW_jjP12ihipStream_tbEUlT_E0_NS1_11comp_targetILNS1_3genE5ELNS1_11target_archE942ELNS1_3gpuE9ELNS1_3repE0EEENS1_60segmented_radix_sort_warp_sort_medium_config_static_selectorELNS0_4arch9wavefront6targetE0EEEvSK_ ; -- Begin function _ZN7rocprim17ROCPRIM_400000_NS6detail17trampoline_kernelINS0_14default_configENS1_36segmented_radix_sort_config_selectorIdlEEZNS1_25segmented_radix_sort_implIS3_Lb1EPKdPdPKlPlN2at6native12_GLOBAL__N_18offset_tEEE10hipError_tPvRmT1_PNSt15iterator_traitsISK_E10value_typeET2_T3_PNSL_ISQ_E10value_typeET4_jRbjT5_SW_jjP12ihipStream_tbEUlT_E0_NS1_11comp_targetILNS1_3genE5ELNS1_11target_archE942ELNS1_3gpuE9ELNS1_3repE0EEENS1_60segmented_radix_sort_warp_sort_medium_config_static_selectorELNS0_4arch9wavefront6targetE0EEEvSK_
	.p2align	8
	.type	_ZN7rocprim17ROCPRIM_400000_NS6detail17trampoline_kernelINS0_14default_configENS1_36segmented_radix_sort_config_selectorIdlEEZNS1_25segmented_radix_sort_implIS3_Lb1EPKdPdPKlPlN2at6native12_GLOBAL__N_18offset_tEEE10hipError_tPvRmT1_PNSt15iterator_traitsISK_E10value_typeET2_T3_PNSL_ISQ_E10value_typeET4_jRbjT5_SW_jjP12ihipStream_tbEUlT_E0_NS1_11comp_targetILNS1_3genE5ELNS1_11target_archE942ELNS1_3gpuE9ELNS1_3repE0EEENS1_60segmented_radix_sort_warp_sort_medium_config_static_selectorELNS0_4arch9wavefront6targetE0EEEvSK_,@function
_ZN7rocprim17ROCPRIM_400000_NS6detail17trampoline_kernelINS0_14default_configENS1_36segmented_radix_sort_config_selectorIdlEEZNS1_25segmented_radix_sort_implIS3_Lb1EPKdPdPKlPlN2at6native12_GLOBAL__N_18offset_tEEE10hipError_tPvRmT1_PNSt15iterator_traitsISK_E10value_typeET2_T3_PNSL_ISQ_E10value_typeET4_jRbjT5_SW_jjP12ihipStream_tbEUlT_E0_NS1_11comp_targetILNS1_3genE5ELNS1_11target_archE942ELNS1_3gpuE9ELNS1_3repE0EEENS1_60segmented_radix_sort_warp_sort_medium_config_static_selectorELNS0_4arch9wavefront6targetE0EEEvSK_: ; @_ZN7rocprim17ROCPRIM_400000_NS6detail17trampoline_kernelINS0_14default_configENS1_36segmented_radix_sort_config_selectorIdlEEZNS1_25segmented_radix_sort_implIS3_Lb1EPKdPdPKlPlN2at6native12_GLOBAL__N_18offset_tEEE10hipError_tPvRmT1_PNSt15iterator_traitsISK_E10value_typeET2_T3_PNSL_ISQ_E10value_typeET4_jRbjT5_SW_jjP12ihipStream_tbEUlT_E0_NS1_11comp_targetILNS1_3genE5ELNS1_11target_archE942ELNS1_3gpuE9ELNS1_3repE0EEENS1_60segmented_radix_sort_warp_sort_medium_config_static_selectorELNS0_4arch9wavefront6targetE0EEEvSK_
; %bb.0:
	.section	.rodata,"a",@progbits
	.p2align	6, 0x0
	.amdhsa_kernel _ZN7rocprim17ROCPRIM_400000_NS6detail17trampoline_kernelINS0_14default_configENS1_36segmented_radix_sort_config_selectorIdlEEZNS1_25segmented_radix_sort_implIS3_Lb1EPKdPdPKlPlN2at6native12_GLOBAL__N_18offset_tEEE10hipError_tPvRmT1_PNSt15iterator_traitsISK_E10value_typeET2_T3_PNSL_ISQ_E10value_typeET4_jRbjT5_SW_jjP12ihipStream_tbEUlT_E0_NS1_11comp_targetILNS1_3genE5ELNS1_11target_archE942ELNS1_3gpuE9ELNS1_3repE0EEENS1_60segmented_radix_sort_warp_sort_medium_config_static_selectorELNS0_4arch9wavefront6targetE0EEEvSK_
		.amdhsa_group_segment_fixed_size 0
		.amdhsa_private_segment_fixed_size 0
		.amdhsa_kernarg_size 88
		.amdhsa_user_sgpr_count 2
		.amdhsa_user_sgpr_dispatch_ptr 0
		.amdhsa_user_sgpr_queue_ptr 0
		.amdhsa_user_sgpr_kernarg_segment_ptr 1
		.amdhsa_user_sgpr_dispatch_id 0
		.amdhsa_user_sgpr_private_segment_size 0
		.amdhsa_wavefront_size32 1
		.amdhsa_uses_dynamic_stack 0
		.amdhsa_enable_private_segment 0
		.amdhsa_system_sgpr_workgroup_id_x 1
		.amdhsa_system_sgpr_workgroup_id_y 0
		.amdhsa_system_sgpr_workgroup_id_z 0
		.amdhsa_system_sgpr_workgroup_info 0
		.amdhsa_system_vgpr_workitem_id 0
		.amdhsa_next_free_vgpr 1
		.amdhsa_next_free_sgpr 1
		.amdhsa_reserve_vcc 0
		.amdhsa_float_round_mode_32 0
		.amdhsa_float_round_mode_16_64 0
		.amdhsa_float_denorm_mode_32 3
		.amdhsa_float_denorm_mode_16_64 3
		.amdhsa_fp16_overflow 0
		.amdhsa_workgroup_processor_mode 1
		.amdhsa_memory_ordered 1
		.amdhsa_forward_progress 1
		.amdhsa_inst_pref_size 0
		.amdhsa_round_robin_scheduling 0
		.amdhsa_exception_fp_ieee_invalid_op 0
		.amdhsa_exception_fp_denorm_src 0
		.amdhsa_exception_fp_ieee_div_zero 0
		.amdhsa_exception_fp_ieee_overflow 0
		.amdhsa_exception_fp_ieee_underflow 0
		.amdhsa_exception_fp_ieee_inexact 0
		.amdhsa_exception_int_div_zero 0
	.end_amdhsa_kernel
	.section	.text._ZN7rocprim17ROCPRIM_400000_NS6detail17trampoline_kernelINS0_14default_configENS1_36segmented_radix_sort_config_selectorIdlEEZNS1_25segmented_radix_sort_implIS3_Lb1EPKdPdPKlPlN2at6native12_GLOBAL__N_18offset_tEEE10hipError_tPvRmT1_PNSt15iterator_traitsISK_E10value_typeET2_T3_PNSL_ISQ_E10value_typeET4_jRbjT5_SW_jjP12ihipStream_tbEUlT_E0_NS1_11comp_targetILNS1_3genE5ELNS1_11target_archE942ELNS1_3gpuE9ELNS1_3repE0EEENS1_60segmented_radix_sort_warp_sort_medium_config_static_selectorELNS0_4arch9wavefront6targetE0EEEvSK_,"axG",@progbits,_ZN7rocprim17ROCPRIM_400000_NS6detail17trampoline_kernelINS0_14default_configENS1_36segmented_radix_sort_config_selectorIdlEEZNS1_25segmented_radix_sort_implIS3_Lb1EPKdPdPKlPlN2at6native12_GLOBAL__N_18offset_tEEE10hipError_tPvRmT1_PNSt15iterator_traitsISK_E10value_typeET2_T3_PNSL_ISQ_E10value_typeET4_jRbjT5_SW_jjP12ihipStream_tbEUlT_E0_NS1_11comp_targetILNS1_3genE5ELNS1_11target_archE942ELNS1_3gpuE9ELNS1_3repE0EEENS1_60segmented_radix_sort_warp_sort_medium_config_static_selectorELNS0_4arch9wavefront6targetE0EEEvSK_,comdat
.Lfunc_end1129:
	.size	_ZN7rocprim17ROCPRIM_400000_NS6detail17trampoline_kernelINS0_14default_configENS1_36segmented_radix_sort_config_selectorIdlEEZNS1_25segmented_radix_sort_implIS3_Lb1EPKdPdPKlPlN2at6native12_GLOBAL__N_18offset_tEEE10hipError_tPvRmT1_PNSt15iterator_traitsISK_E10value_typeET2_T3_PNSL_ISQ_E10value_typeET4_jRbjT5_SW_jjP12ihipStream_tbEUlT_E0_NS1_11comp_targetILNS1_3genE5ELNS1_11target_archE942ELNS1_3gpuE9ELNS1_3repE0EEENS1_60segmented_radix_sort_warp_sort_medium_config_static_selectorELNS0_4arch9wavefront6targetE0EEEvSK_, .Lfunc_end1129-_ZN7rocprim17ROCPRIM_400000_NS6detail17trampoline_kernelINS0_14default_configENS1_36segmented_radix_sort_config_selectorIdlEEZNS1_25segmented_radix_sort_implIS3_Lb1EPKdPdPKlPlN2at6native12_GLOBAL__N_18offset_tEEE10hipError_tPvRmT1_PNSt15iterator_traitsISK_E10value_typeET2_T3_PNSL_ISQ_E10value_typeET4_jRbjT5_SW_jjP12ihipStream_tbEUlT_E0_NS1_11comp_targetILNS1_3genE5ELNS1_11target_archE942ELNS1_3gpuE9ELNS1_3repE0EEENS1_60segmented_radix_sort_warp_sort_medium_config_static_selectorELNS0_4arch9wavefront6targetE0EEEvSK_
                                        ; -- End function
	.set _ZN7rocprim17ROCPRIM_400000_NS6detail17trampoline_kernelINS0_14default_configENS1_36segmented_radix_sort_config_selectorIdlEEZNS1_25segmented_radix_sort_implIS3_Lb1EPKdPdPKlPlN2at6native12_GLOBAL__N_18offset_tEEE10hipError_tPvRmT1_PNSt15iterator_traitsISK_E10value_typeET2_T3_PNSL_ISQ_E10value_typeET4_jRbjT5_SW_jjP12ihipStream_tbEUlT_E0_NS1_11comp_targetILNS1_3genE5ELNS1_11target_archE942ELNS1_3gpuE9ELNS1_3repE0EEENS1_60segmented_radix_sort_warp_sort_medium_config_static_selectorELNS0_4arch9wavefront6targetE0EEEvSK_.num_vgpr, 0
	.set _ZN7rocprim17ROCPRIM_400000_NS6detail17trampoline_kernelINS0_14default_configENS1_36segmented_radix_sort_config_selectorIdlEEZNS1_25segmented_radix_sort_implIS3_Lb1EPKdPdPKlPlN2at6native12_GLOBAL__N_18offset_tEEE10hipError_tPvRmT1_PNSt15iterator_traitsISK_E10value_typeET2_T3_PNSL_ISQ_E10value_typeET4_jRbjT5_SW_jjP12ihipStream_tbEUlT_E0_NS1_11comp_targetILNS1_3genE5ELNS1_11target_archE942ELNS1_3gpuE9ELNS1_3repE0EEENS1_60segmented_radix_sort_warp_sort_medium_config_static_selectorELNS0_4arch9wavefront6targetE0EEEvSK_.num_agpr, 0
	.set _ZN7rocprim17ROCPRIM_400000_NS6detail17trampoline_kernelINS0_14default_configENS1_36segmented_radix_sort_config_selectorIdlEEZNS1_25segmented_radix_sort_implIS3_Lb1EPKdPdPKlPlN2at6native12_GLOBAL__N_18offset_tEEE10hipError_tPvRmT1_PNSt15iterator_traitsISK_E10value_typeET2_T3_PNSL_ISQ_E10value_typeET4_jRbjT5_SW_jjP12ihipStream_tbEUlT_E0_NS1_11comp_targetILNS1_3genE5ELNS1_11target_archE942ELNS1_3gpuE9ELNS1_3repE0EEENS1_60segmented_radix_sort_warp_sort_medium_config_static_selectorELNS0_4arch9wavefront6targetE0EEEvSK_.numbered_sgpr, 0
	.set _ZN7rocprim17ROCPRIM_400000_NS6detail17trampoline_kernelINS0_14default_configENS1_36segmented_radix_sort_config_selectorIdlEEZNS1_25segmented_radix_sort_implIS3_Lb1EPKdPdPKlPlN2at6native12_GLOBAL__N_18offset_tEEE10hipError_tPvRmT1_PNSt15iterator_traitsISK_E10value_typeET2_T3_PNSL_ISQ_E10value_typeET4_jRbjT5_SW_jjP12ihipStream_tbEUlT_E0_NS1_11comp_targetILNS1_3genE5ELNS1_11target_archE942ELNS1_3gpuE9ELNS1_3repE0EEENS1_60segmented_radix_sort_warp_sort_medium_config_static_selectorELNS0_4arch9wavefront6targetE0EEEvSK_.num_named_barrier, 0
	.set _ZN7rocprim17ROCPRIM_400000_NS6detail17trampoline_kernelINS0_14default_configENS1_36segmented_radix_sort_config_selectorIdlEEZNS1_25segmented_radix_sort_implIS3_Lb1EPKdPdPKlPlN2at6native12_GLOBAL__N_18offset_tEEE10hipError_tPvRmT1_PNSt15iterator_traitsISK_E10value_typeET2_T3_PNSL_ISQ_E10value_typeET4_jRbjT5_SW_jjP12ihipStream_tbEUlT_E0_NS1_11comp_targetILNS1_3genE5ELNS1_11target_archE942ELNS1_3gpuE9ELNS1_3repE0EEENS1_60segmented_radix_sort_warp_sort_medium_config_static_selectorELNS0_4arch9wavefront6targetE0EEEvSK_.private_seg_size, 0
	.set _ZN7rocprim17ROCPRIM_400000_NS6detail17trampoline_kernelINS0_14default_configENS1_36segmented_radix_sort_config_selectorIdlEEZNS1_25segmented_radix_sort_implIS3_Lb1EPKdPdPKlPlN2at6native12_GLOBAL__N_18offset_tEEE10hipError_tPvRmT1_PNSt15iterator_traitsISK_E10value_typeET2_T3_PNSL_ISQ_E10value_typeET4_jRbjT5_SW_jjP12ihipStream_tbEUlT_E0_NS1_11comp_targetILNS1_3genE5ELNS1_11target_archE942ELNS1_3gpuE9ELNS1_3repE0EEENS1_60segmented_radix_sort_warp_sort_medium_config_static_selectorELNS0_4arch9wavefront6targetE0EEEvSK_.uses_vcc, 0
	.set _ZN7rocprim17ROCPRIM_400000_NS6detail17trampoline_kernelINS0_14default_configENS1_36segmented_radix_sort_config_selectorIdlEEZNS1_25segmented_radix_sort_implIS3_Lb1EPKdPdPKlPlN2at6native12_GLOBAL__N_18offset_tEEE10hipError_tPvRmT1_PNSt15iterator_traitsISK_E10value_typeET2_T3_PNSL_ISQ_E10value_typeET4_jRbjT5_SW_jjP12ihipStream_tbEUlT_E0_NS1_11comp_targetILNS1_3genE5ELNS1_11target_archE942ELNS1_3gpuE9ELNS1_3repE0EEENS1_60segmented_radix_sort_warp_sort_medium_config_static_selectorELNS0_4arch9wavefront6targetE0EEEvSK_.uses_flat_scratch, 0
	.set _ZN7rocprim17ROCPRIM_400000_NS6detail17trampoline_kernelINS0_14default_configENS1_36segmented_radix_sort_config_selectorIdlEEZNS1_25segmented_radix_sort_implIS3_Lb1EPKdPdPKlPlN2at6native12_GLOBAL__N_18offset_tEEE10hipError_tPvRmT1_PNSt15iterator_traitsISK_E10value_typeET2_T3_PNSL_ISQ_E10value_typeET4_jRbjT5_SW_jjP12ihipStream_tbEUlT_E0_NS1_11comp_targetILNS1_3genE5ELNS1_11target_archE942ELNS1_3gpuE9ELNS1_3repE0EEENS1_60segmented_radix_sort_warp_sort_medium_config_static_selectorELNS0_4arch9wavefront6targetE0EEEvSK_.has_dyn_sized_stack, 0
	.set _ZN7rocprim17ROCPRIM_400000_NS6detail17trampoline_kernelINS0_14default_configENS1_36segmented_radix_sort_config_selectorIdlEEZNS1_25segmented_radix_sort_implIS3_Lb1EPKdPdPKlPlN2at6native12_GLOBAL__N_18offset_tEEE10hipError_tPvRmT1_PNSt15iterator_traitsISK_E10value_typeET2_T3_PNSL_ISQ_E10value_typeET4_jRbjT5_SW_jjP12ihipStream_tbEUlT_E0_NS1_11comp_targetILNS1_3genE5ELNS1_11target_archE942ELNS1_3gpuE9ELNS1_3repE0EEENS1_60segmented_radix_sort_warp_sort_medium_config_static_selectorELNS0_4arch9wavefront6targetE0EEEvSK_.has_recursion, 0
	.set _ZN7rocprim17ROCPRIM_400000_NS6detail17trampoline_kernelINS0_14default_configENS1_36segmented_radix_sort_config_selectorIdlEEZNS1_25segmented_radix_sort_implIS3_Lb1EPKdPdPKlPlN2at6native12_GLOBAL__N_18offset_tEEE10hipError_tPvRmT1_PNSt15iterator_traitsISK_E10value_typeET2_T3_PNSL_ISQ_E10value_typeET4_jRbjT5_SW_jjP12ihipStream_tbEUlT_E0_NS1_11comp_targetILNS1_3genE5ELNS1_11target_archE942ELNS1_3gpuE9ELNS1_3repE0EEENS1_60segmented_radix_sort_warp_sort_medium_config_static_selectorELNS0_4arch9wavefront6targetE0EEEvSK_.has_indirect_call, 0
	.section	.AMDGPU.csdata,"",@progbits
; Kernel info:
; codeLenInByte = 0
; TotalNumSgprs: 0
; NumVgprs: 0
; ScratchSize: 0
; MemoryBound: 0
; FloatMode: 240
; IeeeMode: 1
; LDSByteSize: 0 bytes/workgroup (compile time only)
; SGPRBlocks: 0
; VGPRBlocks: 0
; NumSGPRsForWavesPerEU: 1
; NumVGPRsForWavesPerEU: 1
; Occupancy: 16
; WaveLimiterHint : 0
; COMPUTE_PGM_RSRC2:SCRATCH_EN: 0
; COMPUTE_PGM_RSRC2:USER_SGPR: 2
; COMPUTE_PGM_RSRC2:TRAP_HANDLER: 0
; COMPUTE_PGM_RSRC2:TGID_X_EN: 1
; COMPUTE_PGM_RSRC2:TGID_Y_EN: 0
; COMPUTE_PGM_RSRC2:TGID_Z_EN: 0
; COMPUTE_PGM_RSRC2:TIDIG_COMP_CNT: 0
	.section	.text._ZN7rocprim17ROCPRIM_400000_NS6detail17trampoline_kernelINS0_14default_configENS1_36segmented_radix_sort_config_selectorIdlEEZNS1_25segmented_radix_sort_implIS3_Lb1EPKdPdPKlPlN2at6native12_GLOBAL__N_18offset_tEEE10hipError_tPvRmT1_PNSt15iterator_traitsISK_E10value_typeET2_T3_PNSL_ISQ_E10value_typeET4_jRbjT5_SW_jjP12ihipStream_tbEUlT_E0_NS1_11comp_targetILNS1_3genE4ELNS1_11target_archE910ELNS1_3gpuE8ELNS1_3repE0EEENS1_60segmented_radix_sort_warp_sort_medium_config_static_selectorELNS0_4arch9wavefront6targetE0EEEvSK_,"axG",@progbits,_ZN7rocprim17ROCPRIM_400000_NS6detail17trampoline_kernelINS0_14default_configENS1_36segmented_radix_sort_config_selectorIdlEEZNS1_25segmented_radix_sort_implIS3_Lb1EPKdPdPKlPlN2at6native12_GLOBAL__N_18offset_tEEE10hipError_tPvRmT1_PNSt15iterator_traitsISK_E10value_typeET2_T3_PNSL_ISQ_E10value_typeET4_jRbjT5_SW_jjP12ihipStream_tbEUlT_E0_NS1_11comp_targetILNS1_3genE4ELNS1_11target_archE910ELNS1_3gpuE8ELNS1_3repE0EEENS1_60segmented_radix_sort_warp_sort_medium_config_static_selectorELNS0_4arch9wavefront6targetE0EEEvSK_,comdat
	.globl	_ZN7rocprim17ROCPRIM_400000_NS6detail17trampoline_kernelINS0_14default_configENS1_36segmented_radix_sort_config_selectorIdlEEZNS1_25segmented_radix_sort_implIS3_Lb1EPKdPdPKlPlN2at6native12_GLOBAL__N_18offset_tEEE10hipError_tPvRmT1_PNSt15iterator_traitsISK_E10value_typeET2_T3_PNSL_ISQ_E10value_typeET4_jRbjT5_SW_jjP12ihipStream_tbEUlT_E0_NS1_11comp_targetILNS1_3genE4ELNS1_11target_archE910ELNS1_3gpuE8ELNS1_3repE0EEENS1_60segmented_radix_sort_warp_sort_medium_config_static_selectorELNS0_4arch9wavefront6targetE0EEEvSK_ ; -- Begin function _ZN7rocprim17ROCPRIM_400000_NS6detail17trampoline_kernelINS0_14default_configENS1_36segmented_radix_sort_config_selectorIdlEEZNS1_25segmented_radix_sort_implIS3_Lb1EPKdPdPKlPlN2at6native12_GLOBAL__N_18offset_tEEE10hipError_tPvRmT1_PNSt15iterator_traitsISK_E10value_typeET2_T3_PNSL_ISQ_E10value_typeET4_jRbjT5_SW_jjP12ihipStream_tbEUlT_E0_NS1_11comp_targetILNS1_3genE4ELNS1_11target_archE910ELNS1_3gpuE8ELNS1_3repE0EEENS1_60segmented_radix_sort_warp_sort_medium_config_static_selectorELNS0_4arch9wavefront6targetE0EEEvSK_
	.p2align	8
	.type	_ZN7rocprim17ROCPRIM_400000_NS6detail17trampoline_kernelINS0_14default_configENS1_36segmented_radix_sort_config_selectorIdlEEZNS1_25segmented_radix_sort_implIS3_Lb1EPKdPdPKlPlN2at6native12_GLOBAL__N_18offset_tEEE10hipError_tPvRmT1_PNSt15iterator_traitsISK_E10value_typeET2_T3_PNSL_ISQ_E10value_typeET4_jRbjT5_SW_jjP12ihipStream_tbEUlT_E0_NS1_11comp_targetILNS1_3genE4ELNS1_11target_archE910ELNS1_3gpuE8ELNS1_3repE0EEENS1_60segmented_radix_sort_warp_sort_medium_config_static_selectorELNS0_4arch9wavefront6targetE0EEEvSK_,@function
_ZN7rocprim17ROCPRIM_400000_NS6detail17trampoline_kernelINS0_14default_configENS1_36segmented_radix_sort_config_selectorIdlEEZNS1_25segmented_radix_sort_implIS3_Lb1EPKdPdPKlPlN2at6native12_GLOBAL__N_18offset_tEEE10hipError_tPvRmT1_PNSt15iterator_traitsISK_E10value_typeET2_T3_PNSL_ISQ_E10value_typeET4_jRbjT5_SW_jjP12ihipStream_tbEUlT_E0_NS1_11comp_targetILNS1_3genE4ELNS1_11target_archE910ELNS1_3gpuE8ELNS1_3repE0EEENS1_60segmented_radix_sort_warp_sort_medium_config_static_selectorELNS0_4arch9wavefront6targetE0EEEvSK_: ; @_ZN7rocprim17ROCPRIM_400000_NS6detail17trampoline_kernelINS0_14default_configENS1_36segmented_radix_sort_config_selectorIdlEEZNS1_25segmented_radix_sort_implIS3_Lb1EPKdPdPKlPlN2at6native12_GLOBAL__N_18offset_tEEE10hipError_tPvRmT1_PNSt15iterator_traitsISK_E10value_typeET2_T3_PNSL_ISQ_E10value_typeET4_jRbjT5_SW_jjP12ihipStream_tbEUlT_E0_NS1_11comp_targetILNS1_3genE4ELNS1_11target_archE910ELNS1_3gpuE8ELNS1_3repE0EEENS1_60segmented_radix_sort_warp_sort_medium_config_static_selectorELNS0_4arch9wavefront6targetE0EEEvSK_
; %bb.0:
	.section	.rodata,"a",@progbits
	.p2align	6, 0x0
	.amdhsa_kernel _ZN7rocprim17ROCPRIM_400000_NS6detail17trampoline_kernelINS0_14default_configENS1_36segmented_radix_sort_config_selectorIdlEEZNS1_25segmented_radix_sort_implIS3_Lb1EPKdPdPKlPlN2at6native12_GLOBAL__N_18offset_tEEE10hipError_tPvRmT1_PNSt15iterator_traitsISK_E10value_typeET2_T3_PNSL_ISQ_E10value_typeET4_jRbjT5_SW_jjP12ihipStream_tbEUlT_E0_NS1_11comp_targetILNS1_3genE4ELNS1_11target_archE910ELNS1_3gpuE8ELNS1_3repE0EEENS1_60segmented_radix_sort_warp_sort_medium_config_static_selectorELNS0_4arch9wavefront6targetE0EEEvSK_
		.amdhsa_group_segment_fixed_size 0
		.amdhsa_private_segment_fixed_size 0
		.amdhsa_kernarg_size 88
		.amdhsa_user_sgpr_count 2
		.amdhsa_user_sgpr_dispatch_ptr 0
		.amdhsa_user_sgpr_queue_ptr 0
		.amdhsa_user_sgpr_kernarg_segment_ptr 1
		.amdhsa_user_sgpr_dispatch_id 0
		.amdhsa_user_sgpr_private_segment_size 0
		.amdhsa_wavefront_size32 1
		.amdhsa_uses_dynamic_stack 0
		.amdhsa_enable_private_segment 0
		.amdhsa_system_sgpr_workgroup_id_x 1
		.amdhsa_system_sgpr_workgroup_id_y 0
		.amdhsa_system_sgpr_workgroup_id_z 0
		.amdhsa_system_sgpr_workgroup_info 0
		.amdhsa_system_vgpr_workitem_id 0
		.amdhsa_next_free_vgpr 1
		.amdhsa_next_free_sgpr 1
		.amdhsa_reserve_vcc 0
		.amdhsa_float_round_mode_32 0
		.amdhsa_float_round_mode_16_64 0
		.amdhsa_float_denorm_mode_32 3
		.amdhsa_float_denorm_mode_16_64 3
		.amdhsa_fp16_overflow 0
		.amdhsa_workgroup_processor_mode 1
		.amdhsa_memory_ordered 1
		.amdhsa_forward_progress 1
		.amdhsa_inst_pref_size 0
		.amdhsa_round_robin_scheduling 0
		.amdhsa_exception_fp_ieee_invalid_op 0
		.amdhsa_exception_fp_denorm_src 0
		.amdhsa_exception_fp_ieee_div_zero 0
		.amdhsa_exception_fp_ieee_overflow 0
		.amdhsa_exception_fp_ieee_underflow 0
		.amdhsa_exception_fp_ieee_inexact 0
		.amdhsa_exception_int_div_zero 0
	.end_amdhsa_kernel
	.section	.text._ZN7rocprim17ROCPRIM_400000_NS6detail17trampoline_kernelINS0_14default_configENS1_36segmented_radix_sort_config_selectorIdlEEZNS1_25segmented_radix_sort_implIS3_Lb1EPKdPdPKlPlN2at6native12_GLOBAL__N_18offset_tEEE10hipError_tPvRmT1_PNSt15iterator_traitsISK_E10value_typeET2_T3_PNSL_ISQ_E10value_typeET4_jRbjT5_SW_jjP12ihipStream_tbEUlT_E0_NS1_11comp_targetILNS1_3genE4ELNS1_11target_archE910ELNS1_3gpuE8ELNS1_3repE0EEENS1_60segmented_radix_sort_warp_sort_medium_config_static_selectorELNS0_4arch9wavefront6targetE0EEEvSK_,"axG",@progbits,_ZN7rocprim17ROCPRIM_400000_NS6detail17trampoline_kernelINS0_14default_configENS1_36segmented_radix_sort_config_selectorIdlEEZNS1_25segmented_radix_sort_implIS3_Lb1EPKdPdPKlPlN2at6native12_GLOBAL__N_18offset_tEEE10hipError_tPvRmT1_PNSt15iterator_traitsISK_E10value_typeET2_T3_PNSL_ISQ_E10value_typeET4_jRbjT5_SW_jjP12ihipStream_tbEUlT_E0_NS1_11comp_targetILNS1_3genE4ELNS1_11target_archE910ELNS1_3gpuE8ELNS1_3repE0EEENS1_60segmented_radix_sort_warp_sort_medium_config_static_selectorELNS0_4arch9wavefront6targetE0EEEvSK_,comdat
.Lfunc_end1130:
	.size	_ZN7rocprim17ROCPRIM_400000_NS6detail17trampoline_kernelINS0_14default_configENS1_36segmented_radix_sort_config_selectorIdlEEZNS1_25segmented_radix_sort_implIS3_Lb1EPKdPdPKlPlN2at6native12_GLOBAL__N_18offset_tEEE10hipError_tPvRmT1_PNSt15iterator_traitsISK_E10value_typeET2_T3_PNSL_ISQ_E10value_typeET4_jRbjT5_SW_jjP12ihipStream_tbEUlT_E0_NS1_11comp_targetILNS1_3genE4ELNS1_11target_archE910ELNS1_3gpuE8ELNS1_3repE0EEENS1_60segmented_radix_sort_warp_sort_medium_config_static_selectorELNS0_4arch9wavefront6targetE0EEEvSK_, .Lfunc_end1130-_ZN7rocprim17ROCPRIM_400000_NS6detail17trampoline_kernelINS0_14default_configENS1_36segmented_radix_sort_config_selectorIdlEEZNS1_25segmented_radix_sort_implIS3_Lb1EPKdPdPKlPlN2at6native12_GLOBAL__N_18offset_tEEE10hipError_tPvRmT1_PNSt15iterator_traitsISK_E10value_typeET2_T3_PNSL_ISQ_E10value_typeET4_jRbjT5_SW_jjP12ihipStream_tbEUlT_E0_NS1_11comp_targetILNS1_3genE4ELNS1_11target_archE910ELNS1_3gpuE8ELNS1_3repE0EEENS1_60segmented_radix_sort_warp_sort_medium_config_static_selectorELNS0_4arch9wavefront6targetE0EEEvSK_
                                        ; -- End function
	.set _ZN7rocprim17ROCPRIM_400000_NS6detail17trampoline_kernelINS0_14default_configENS1_36segmented_radix_sort_config_selectorIdlEEZNS1_25segmented_radix_sort_implIS3_Lb1EPKdPdPKlPlN2at6native12_GLOBAL__N_18offset_tEEE10hipError_tPvRmT1_PNSt15iterator_traitsISK_E10value_typeET2_T3_PNSL_ISQ_E10value_typeET4_jRbjT5_SW_jjP12ihipStream_tbEUlT_E0_NS1_11comp_targetILNS1_3genE4ELNS1_11target_archE910ELNS1_3gpuE8ELNS1_3repE0EEENS1_60segmented_radix_sort_warp_sort_medium_config_static_selectorELNS0_4arch9wavefront6targetE0EEEvSK_.num_vgpr, 0
	.set _ZN7rocprim17ROCPRIM_400000_NS6detail17trampoline_kernelINS0_14default_configENS1_36segmented_radix_sort_config_selectorIdlEEZNS1_25segmented_radix_sort_implIS3_Lb1EPKdPdPKlPlN2at6native12_GLOBAL__N_18offset_tEEE10hipError_tPvRmT1_PNSt15iterator_traitsISK_E10value_typeET2_T3_PNSL_ISQ_E10value_typeET4_jRbjT5_SW_jjP12ihipStream_tbEUlT_E0_NS1_11comp_targetILNS1_3genE4ELNS1_11target_archE910ELNS1_3gpuE8ELNS1_3repE0EEENS1_60segmented_radix_sort_warp_sort_medium_config_static_selectorELNS0_4arch9wavefront6targetE0EEEvSK_.num_agpr, 0
	.set _ZN7rocprim17ROCPRIM_400000_NS6detail17trampoline_kernelINS0_14default_configENS1_36segmented_radix_sort_config_selectorIdlEEZNS1_25segmented_radix_sort_implIS3_Lb1EPKdPdPKlPlN2at6native12_GLOBAL__N_18offset_tEEE10hipError_tPvRmT1_PNSt15iterator_traitsISK_E10value_typeET2_T3_PNSL_ISQ_E10value_typeET4_jRbjT5_SW_jjP12ihipStream_tbEUlT_E0_NS1_11comp_targetILNS1_3genE4ELNS1_11target_archE910ELNS1_3gpuE8ELNS1_3repE0EEENS1_60segmented_radix_sort_warp_sort_medium_config_static_selectorELNS0_4arch9wavefront6targetE0EEEvSK_.numbered_sgpr, 0
	.set _ZN7rocprim17ROCPRIM_400000_NS6detail17trampoline_kernelINS0_14default_configENS1_36segmented_radix_sort_config_selectorIdlEEZNS1_25segmented_radix_sort_implIS3_Lb1EPKdPdPKlPlN2at6native12_GLOBAL__N_18offset_tEEE10hipError_tPvRmT1_PNSt15iterator_traitsISK_E10value_typeET2_T3_PNSL_ISQ_E10value_typeET4_jRbjT5_SW_jjP12ihipStream_tbEUlT_E0_NS1_11comp_targetILNS1_3genE4ELNS1_11target_archE910ELNS1_3gpuE8ELNS1_3repE0EEENS1_60segmented_radix_sort_warp_sort_medium_config_static_selectorELNS0_4arch9wavefront6targetE0EEEvSK_.num_named_barrier, 0
	.set _ZN7rocprim17ROCPRIM_400000_NS6detail17trampoline_kernelINS0_14default_configENS1_36segmented_radix_sort_config_selectorIdlEEZNS1_25segmented_radix_sort_implIS3_Lb1EPKdPdPKlPlN2at6native12_GLOBAL__N_18offset_tEEE10hipError_tPvRmT1_PNSt15iterator_traitsISK_E10value_typeET2_T3_PNSL_ISQ_E10value_typeET4_jRbjT5_SW_jjP12ihipStream_tbEUlT_E0_NS1_11comp_targetILNS1_3genE4ELNS1_11target_archE910ELNS1_3gpuE8ELNS1_3repE0EEENS1_60segmented_radix_sort_warp_sort_medium_config_static_selectorELNS0_4arch9wavefront6targetE0EEEvSK_.private_seg_size, 0
	.set _ZN7rocprim17ROCPRIM_400000_NS6detail17trampoline_kernelINS0_14default_configENS1_36segmented_radix_sort_config_selectorIdlEEZNS1_25segmented_radix_sort_implIS3_Lb1EPKdPdPKlPlN2at6native12_GLOBAL__N_18offset_tEEE10hipError_tPvRmT1_PNSt15iterator_traitsISK_E10value_typeET2_T3_PNSL_ISQ_E10value_typeET4_jRbjT5_SW_jjP12ihipStream_tbEUlT_E0_NS1_11comp_targetILNS1_3genE4ELNS1_11target_archE910ELNS1_3gpuE8ELNS1_3repE0EEENS1_60segmented_radix_sort_warp_sort_medium_config_static_selectorELNS0_4arch9wavefront6targetE0EEEvSK_.uses_vcc, 0
	.set _ZN7rocprim17ROCPRIM_400000_NS6detail17trampoline_kernelINS0_14default_configENS1_36segmented_radix_sort_config_selectorIdlEEZNS1_25segmented_radix_sort_implIS3_Lb1EPKdPdPKlPlN2at6native12_GLOBAL__N_18offset_tEEE10hipError_tPvRmT1_PNSt15iterator_traitsISK_E10value_typeET2_T3_PNSL_ISQ_E10value_typeET4_jRbjT5_SW_jjP12ihipStream_tbEUlT_E0_NS1_11comp_targetILNS1_3genE4ELNS1_11target_archE910ELNS1_3gpuE8ELNS1_3repE0EEENS1_60segmented_radix_sort_warp_sort_medium_config_static_selectorELNS0_4arch9wavefront6targetE0EEEvSK_.uses_flat_scratch, 0
	.set _ZN7rocprim17ROCPRIM_400000_NS6detail17trampoline_kernelINS0_14default_configENS1_36segmented_radix_sort_config_selectorIdlEEZNS1_25segmented_radix_sort_implIS3_Lb1EPKdPdPKlPlN2at6native12_GLOBAL__N_18offset_tEEE10hipError_tPvRmT1_PNSt15iterator_traitsISK_E10value_typeET2_T3_PNSL_ISQ_E10value_typeET4_jRbjT5_SW_jjP12ihipStream_tbEUlT_E0_NS1_11comp_targetILNS1_3genE4ELNS1_11target_archE910ELNS1_3gpuE8ELNS1_3repE0EEENS1_60segmented_radix_sort_warp_sort_medium_config_static_selectorELNS0_4arch9wavefront6targetE0EEEvSK_.has_dyn_sized_stack, 0
	.set _ZN7rocprim17ROCPRIM_400000_NS6detail17trampoline_kernelINS0_14default_configENS1_36segmented_radix_sort_config_selectorIdlEEZNS1_25segmented_radix_sort_implIS3_Lb1EPKdPdPKlPlN2at6native12_GLOBAL__N_18offset_tEEE10hipError_tPvRmT1_PNSt15iterator_traitsISK_E10value_typeET2_T3_PNSL_ISQ_E10value_typeET4_jRbjT5_SW_jjP12ihipStream_tbEUlT_E0_NS1_11comp_targetILNS1_3genE4ELNS1_11target_archE910ELNS1_3gpuE8ELNS1_3repE0EEENS1_60segmented_radix_sort_warp_sort_medium_config_static_selectorELNS0_4arch9wavefront6targetE0EEEvSK_.has_recursion, 0
	.set _ZN7rocprim17ROCPRIM_400000_NS6detail17trampoline_kernelINS0_14default_configENS1_36segmented_radix_sort_config_selectorIdlEEZNS1_25segmented_radix_sort_implIS3_Lb1EPKdPdPKlPlN2at6native12_GLOBAL__N_18offset_tEEE10hipError_tPvRmT1_PNSt15iterator_traitsISK_E10value_typeET2_T3_PNSL_ISQ_E10value_typeET4_jRbjT5_SW_jjP12ihipStream_tbEUlT_E0_NS1_11comp_targetILNS1_3genE4ELNS1_11target_archE910ELNS1_3gpuE8ELNS1_3repE0EEENS1_60segmented_radix_sort_warp_sort_medium_config_static_selectorELNS0_4arch9wavefront6targetE0EEEvSK_.has_indirect_call, 0
	.section	.AMDGPU.csdata,"",@progbits
; Kernel info:
; codeLenInByte = 0
; TotalNumSgprs: 0
; NumVgprs: 0
; ScratchSize: 0
; MemoryBound: 0
; FloatMode: 240
; IeeeMode: 1
; LDSByteSize: 0 bytes/workgroup (compile time only)
; SGPRBlocks: 0
; VGPRBlocks: 0
; NumSGPRsForWavesPerEU: 1
; NumVGPRsForWavesPerEU: 1
; Occupancy: 16
; WaveLimiterHint : 0
; COMPUTE_PGM_RSRC2:SCRATCH_EN: 0
; COMPUTE_PGM_RSRC2:USER_SGPR: 2
; COMPUTE_PGM_RSRC2:TRAP_HANDLER: 0
; COMPUTE_PGM_RSRC2:TGID_X_EN: 1
; COMPUTE_PGM_RSRC2:TGID_Y_EN: 0
; COMPUTE_PGM_RSRC2:TGID_Z_EN: 0
; COMPUTE_PGM_RSRC2:TIDIG_COMP_CNT: 0
	.section	.text._ZN7rocprim17ROCPRIM_400000_NS6detail17trampoline_kernelINS0_14default_configENS1_36segmented_radix_sort_config_selectorIdlEEZNS1_25segmented_radix_sort_implIS3_Lb1EPKdPdPKlPlN2at6native12_GLOBAL__N_18offset_tEEE10hipError_tPvRmT1_PNSt15iterator_traitsISK_E10value_typeET2_T3_PNSL_ISQ_E10value_typeET4_jRbjT5_SW_jjP12ihipStream_tbEUlT_E0_NS1_11comp_targetILNS1_3genE3ELNS1_11target_archE908ELNS1_3gpuE7ELNS1_3repE0EEENS1_60segmented_radix_sort_warp_sort_medium_config_static_selectorELNS0_4arch9wavefront6targetE0EEEvSK_,"axG",@progbits,_ZN7rocprim17ROCPRIM_400000_NS6detail17trampoline_kernelINS0_14default_configENS1_36segmented_radix_sort_config_selectorIdlEEZNS1_25segmented_radix_sort_implIS3_Lb1EPKdPdPKlPlN2at6native12_GLOBAL__N_18offset_tEEE10hipError_tPvRmT1_PNSt15iterator_traitsISK_E10value_typeET2_T3_PNSL_ISQ_E10value_typeET4_jRbjT5_SW_jjP12ihipStream_tbEUlT_E0_NS1_11comp_targetILNS1_3genE3ELNS1_11target_archE908ELNS1_3gpuE7ELNS1_3repE0EEENS1_60segmented_radix_sort_warp_sort_medium_config_static_selectorELNS0_4arch9wavefront6targetE0EEEvSK_,comdat
	.globl	_ZN7rocprim17ROCPRIM_400000_NS6detail17trampoline_kernelINS0_14default_configENS1_36segmented_radix_sort_config_selectorIdlEEZNS1_25segmented_radix_sort_implIS3_Lb1EPKdPdPKlPlN2at6native12_GLOBAL__N_18offset_tEEE10hipError_tPvRmT1_PNSt15iterator_traitsISK_E10value_typeET2_T3_PNSL_ISQ_E10value_typeET4_jRbjT5_SW_jjP12ihipStream_tbEUlT_E0_NS1_11comp_targetILNS1_3genE3ELNS1_11target_archE908ELNS1_3gpuE7ELNS1_3repE0EEENS1_60segmented_radix_sort_warp_sort_medium_config_static_selectorELNS0_4arch9wavefront6targetE0EEEvSK_ ; -- Begin function _ZN7rocprim17ROCPRIM_400000_NS6detail17trampoline_kernelINS0_14default_configENS1_36segmented_radix_sort_config_selectorIdlEEZNS1_25segmented_radix_sort_implIS3_Lb1EPKdPdPKlPlN2at6native12_GLOBAL__N_18offset_tEEE10hipError_tPvRmT1_PNSt15iterator_traitsISK_E10value_typeET2_T3_PNSL_ISQ_E10value_typeET4_jRbjT5_SW_jjP12ihipStream_tbEUlT_E0_NS1_11comp_targetILNS1_3genE3ELNS1_11target_archE908ELNS1_3gpuE7ELNS1_3repE0EEENS1_60segmented_radix_sort_warp_sort_medium_config_static_selectorELNS0_4arch9wavefront6targetE0EEEvSK_
	.p2align	8
	.type	_ZN7rocprim17ROCPRIM_400000_NS6detail17trampoline_kernelINS0_14default_configENS1_36segmented_radix_sort_config_selectorIdlEEZNS1_25segmented_radix_sort_implIS3_Lb1EPKdPdPKlPlN2at6native12_GLOBAL__N_18offset_tEEE10hipError_tPvRmT1_PNSt15iterator_traitsISK_E10value_typeET2_T3_PNSL_ISQ_E10value_typeET4_jRbjT5_SW_jjP12ihipStream_tbEUlT_E0_NS1_11comp_targetILNS1_3genE3ELNS1_11target_archE908ELNS1_3gpuE7ELNS1_3repE0EEENS1_60segmented_radix_sort_warp_sort_medium_config_static_selectorELNS0_4arch9wavefront6targetE0EEEvSK_,@function
_ZN7rocprim17ROCPRIM_400000_NS6detail17trampoline_kernelINS0_14default_configENS1_36segmented_radix_sort_config_selectorIdlEEZNS1_25segmented_radix_sort_implIS3_Lb1EPKdPdPKlPlN2at6native12_GLOBAL__N_18offset_tEEE10hipError_tPvRmT1_PNSt15iterator_traitsISK_E10value_typeET2_T3_PNSL_ISQ_E10value_typeET4_jRbjT5_SW_jjP12ihipStream_tbEUlT_E0_NS1_11comp_targetILNS1_3genE3ELNS1_11target_archE908ELNS1_3gpuE7ELNS1_3repE0EEENS1_60segmented_radix_sort_warp_sort_medium_config_static_selectorELNS0_4arch9wavefront6targetE0EEEvSK_: ; @_ZN7rocprim17ROCPRIM_400000_NS6detail17trampoline_kernelINS0_14default_configENS1_36segmented_radix_sort_config_selectorIdlEEZNS1_25segmented_radix_sort_implIS3_Lb1EPKdPdPKlPlN2at6native12_GLOBAL__N_18offset_tEEE10hipError_tPvRmT1_PNSt15iterator_traitsISK_E10value_typeET2_T3_PNSL_ISQ_E10value_typeET4_jRbjT5_SW_jjP12ihipStream_tbEUlT_E0_NS1_11comp_targetILNS1_3genE3ELNS1_11target_archE908ELNS1_3gpuE7ELNS1_3repE0EEENS1_60segmented_radix_sort_warp_sort_medium_config_static_selectorELNS0_4arch9wavefront6targetE0EEEvSK_
; %bb.0:
	.section	.rodata,"a",@progbits
	.p2align	6, 0x0
	.amdhsa_kernel _ZN7rocprim17ROCPRIM_400000_NS6detail17trampoline_kernelINS0_14default_configENS1_36segmented_radix_sort_config_selectorIdlEEZNS1_25segmented_radix_sort_implIS3_Lb1EPKdPdPKlPlN2at6native12_GLOBAL__N_18offset_tEEE10hipError_tPvRmT1_PNSt15iterator_traitsISK_E10value_typeET2_T3_PNSL_ISQ_E10value_typeET4_jRbjT5_SW_jjP12ihipStream_tbEUlT_E0_NS1_11comp_targetILNS1_3genE3ELNS1_11target_archE908ELNS1_3gpuE7ELNS1_3repE0EEENS1_60segmented_radix_sort_warp_sort_medium_config_static_selectorELNS0_4arch9wavefront6targetE0EEEvSK_
		.amdhsa_group_segment_fixed_size 0
		.amdhsa_private_segment_fixed_size 0
		.amdhsa_kernarg_size 88
		.amdhsa_user_sgpr_count 2
		.amdhsa_user_sgpr_dispatch_ptr 0
		.amdhsa_user_sgpr_queue_ptr 0
		.amdhsa_user_sgpr_kernarg_segment_ptr 1
		.amdhsa_user_sgpr_dispatch_id 0
		.amdhsa_user_sgpr_private_segment_size 0
		.amdhsa_wavefront_size32 1
		.amdhsa_uses_dynamic_stack 0
		.amdhsa_enable_private_segment 0
		.amdhsa_system_sgpr_workgroup_id_x 1
		.amdhsa_system_sgpr_workgroup_id_y 0
		.amdhsa_system_sgpr_workgroup_id_z 0
		.amdhsa_system_sgpr_workgroup_info 0
		.amdhsa_system_vgpr_workitem_id 0
		.amdhsa_next_free_vgpr 1
		.amdhsa_next_free_sgpr 1
		.amdhsa_reserve_vcc 0
		.amdhsa_float_round_mode_32 0
		.amdhsa_float_round_mode_16_64 0
		.amdhsa_float_denorm_mode_32 3
		.amdhsa_float_denorm_mode_16_64 3
		.amdhsa_fp16_overflow 0
		.amdhsa_workgroup_processor_mode 1
		.amdhsa_memory_ordered 1
		.amdhsa_forward_progress 1
		.amdhsa_inst_pref_size 0
		.amdhsa_round_robin_scheduling 0
		.amdhsa_exception_fp_ieee_invalid_op 0
		.amdhsa_exception_fp_denorm_src 0
		.amdhsa_exception_fp_ieee_div_zero 0
		.amdhsa_exception_fp_ieee_overflow 0
		.amdhsa_exception_fp_ieee_underflow 0
		.amdhsa_exception_fp_ieee_inexact 0
		.amdhsa_exception_int_div_zero 0
	.end_amdhsa_kernel
	.section	.text._ZN7rocprim17ROCPRIM_400000_NS6detail17trampoline_kernelINS0_14default_configENS1_36segmented_radix_sort_config_selectorIdlEEZNS1_25segmented_radix_sort_implIS3_Lb1EPKdPdPKlPlN2at6native12_GLOBAL__N_18offset_tEEE10hipError_tPvRmT1_PNSt15iterator_traitsISK_E10value_typeET2_T3_PNSL_ISQ_E10value_typeET4_jRbjT5_SW_jjP12ihipStream_tbEUlT_E0_NS1_11comp_targetILNS1_3genE3ELNS1_11target_archE908ELNS1_3gpuE7ELNS1_3repE0EEENS1_60segmented_radix_sort_warp_sort_medium_config_static_selectorELNS0_4arch9wavefront6targetE0EEEvSK_,"axG",@progbits,_ZN7rocprim17ROCPRIM_400000_NS6detail17trampoline_kernelINS0_14default_configENS1_36segmented_radix_sort_config_selectorIdlEEZNS1_25segmented_radix_sort_implIS3_Lb1EPKdPdPKlPlN2at6native12_GLOBAL__N_18offset_tEEE10hipError_tPvRmT1_PNSt15iterator_traitsISK_E10value_typeET2_T3_PNSL_ISQ_E10value_typeET4_jRbjT5_SW_jjP12ihipStream_tbEUlT_E0_NS1_11comp_targetILNS1_3genE3ELNS1_11target_archE908ELNS1_3gpuE7ELNS1_3repE0EEENS1_60segmented_radix_sort_warp_sort_medium_config_static_selectorELNS0_4arch9wavefront6targetE0EEEvSK_,comdat
.Lfunc_end1131:
	.size	_ZN7rocprim17ROCPRIM_400000_NS6detail17trampoline_kernelINS0_14default_configENS1_36segmented_radix_sort_config_selectorIdlEEZNS1_25segmented_radix_sort_implIS3_Lb1EPKdPdPKlPlN2at6native12_GLOBAL__N_18offset_tEEE10hipError_tPvRmT1_PNSt15iterator_traitsISK_E10value_typeET2_T3_PNSL_ISQ_E10value_typeET4_jRbjT5_SW_jjP12ihipStream_tbEUlT_E0_NS1_11comp_targetILNS1_3genE3ELNS1_11target_archE908ELNS1_3gpuE7ELNS1_3repE0EEENS1_60segmented_radix_sort_warp_sort_medium_config_static_selectorELNS0_4arch9wavefront6targetE0EEEvSK_, .Lfunc_end1131-_ZN7rocprim17ROCPRIM_400000_NS6detail17trampoline_kernelINS0_14default_configENS1_36segmented_radix_sort_config_selectorIdlEEZNS1_25segmented_radix_sort_implIS3_Lb1EPKdPdPKlPlN2at6native12_GLOBAL__N_18offset_tEEE10hipError_tPvRmT1_PNSt15iterator_traitsISK_E10value_typeET2_T3_PNSL_ISQ_E10value_typeET4_jRbjT5_SW_jjP12ihipStream_tbEUlT_E0_NS1_11comp_targetILNS1_3genE3ELNS1_11target_archE908ELNS1_3gpuE7ELNS1_3repE0EEENS1_60segmented_radix_sort_warp_sort_medium_config_static_selectorELNS0_4arch9wavefront6targetE0EEEvSK_
                                        ; -- End function
	.set _ZN7rocprim17ROCPRIM_400000_NS6detail17trampoline_kernelINS0_14default_configENS1_36segmented_radix_sort_config_selectorIdlEEZNS1_25segmented_radix_sort_implIS3_Lb1EPKdPdPKlPlN2at6native12_GLOBAL__N_18offset_tEEE10hipError_tPvRmT1_PNSt15iterator_traitsISK_E10value_typeET2_T3_PNSL_ISQ_E10value_typeET4_jRbjT5_SW_jjP12ihipStream_tbEUlT_E0_NS1_11comp_targetILNS1_3genE3ELNS1_11target_archE908ELNS1_3gpuE7ELNS1_3repE0EEENS1_60segmented_radix_sort_warp_sort_medium_config_static_selectorELNS0_4arch9wavefront6targetE0EEEvSK_.num_vgpr, 0
	.set _ZN7rocprim17ROCPRIM_400000_NS6detail17trampoline_kernelINS0_14default_configENS1_36segmented_radix_sort_config_selectorIdlEEZNS1_25segmented_radix_sort_implIS3_Lb1EPKdPdPKlPlN2at6native12_GLOBAL__N_18offset_tEEE10hipError_tPvRmT1_PNSt15iterator_traitsISK_E10value_typeET2_T3_PNSL_ISQ_E10value_typeET4_jRbjT5_SW_jjP12ihipStream_tbEUlT_E0_NS1_11comp_targetILNS1_3genE3ELNS1_11target_archE908ELNS1_3gpuE7ELNS1_3repE0EEENS1_60segmented_radix_sort_warp_sort_medium_config_static_selectorELNS0_4arch9wavefront6targetE0EEEvSK_.num_agpr, 0
	.set _ZN7rocprim17ROCPRIM_400000_NS6detail17trampoline_kernelINS0_14default_configENS1_36segmented_radix_sort_config_selectorIdlEEZNS1_25segmented_radix_sort_implIS3_Lb1EPKdPdPKlPlN2at6native12_GLOBAL__N_18offset_tEEE10hipError_tPvRmT1_PNSt15iterator_traitsISK_E10value_typeET2_T3_PNSL_ISQ_E10value_typeET4_jRbjT5_SW_jjP12ihipStream_tbEUlT_E0_NS1_11comp_targetILNS1_3genE3ELNS1_11target_archE908ELNS1_3gpuE7ELNS1_3repE0EEENS1_60segmented_radix_sort_warp_sort_medium_config_static_selectorELNS0_4arch9wavefront6targetE0EEEvSK_.numbered_sgpr, 0
	.set _ZN7rocprim17ROCPRIM_400000_NS6detail17trampoline_kernelINS0_14default_configENS1_36segmented_radix_sort_config_selectorIdlEEZNS1_25segmented_radix_sort_implIS3_Lb1EPKdPdPKlPlN2at6native12_GLOBAL__N_18offset_tEEE10hipError_tPvRmT1_PNSt15iterator_traitsISK_E10value_typeET2_T3_PNSL_ISQ_E10value_typeET4_jRbjT5_SW_jjP12ihipStream_tbEUlT_E0_NS1_11comp_targetILNS1_3genE3ELNS1_11target_archE908ELNS1_3gpuE7ELNS1_3repE0EEENS1_60segmented_radix_sort_warp_sort_medium_config_static_selectorELNS0_4arch9wavefront6targetE0EEEvSK_.num_named_barrier, 0
	.set _ZN7rocprim17ROCPRIM_400000_NS6detail17trampoline_kernelINS0_14default_configENS1_36segmented_radix_sort_config_selectorIdlEEZNS1_25segmented_radix_sort_implIS3_Lb1EPKdPdPKlPlN2at6native12_GLOBAL__N_18offset_tEEE10hipError_tPvRmT1_PNSt15iterator_traitsISK_E10value_typeET2_T3_PNSL_ISQ_E10value_typeET4_jRbjT5_SW_jjP12ihipStream_tbEUlT_E0_NS1_11comp_targetILNS1_3genE3ELNS1_11target_archE908ELNS1_3gpuE7ELNS1_3repE0EEENS1_60segmented_radix_sort_warp_sort_medium_config_static_selectorELNS0_4arch9wavefront6targetE0EEEvSK_.private_seg_size, 0
	.set _ZN7rocprim17ROCPRIM_400000_NS6detail17trampoline_kernelINS0_14default_configENS1_36segmented_radix_sort_config_selectorIdlEEZNS1_25segmented_radix_sort_implIS3_Lb1EPKdPdPKlPlN2at6native12_GLOBAL__N_18offset_tEEE10hipError_tPvRmT1_PNSt15iterator_traitsISK_E10value_typeET2_T3_PNSL_ISQ_E10value_typeET4_jRbjT5_SW_jjP12ihipStream_tbEUlT_E0_NS1_11comp_targetILNS1_3genE3ELNS1_11target_archE908ELNS1_3gpuE7ELNS1_3repE0EEENS1_60segmented_radix_sort_warp_sort_medium_config_static_selectorELNS0_4arch9wavefront6targetE0EEEvSK_.uses_vcc, 0
	.set _ZN7rocprim17ROCPRIM_400000_NS6detail17trampoline_kernelINS0_14default_configENS1_36segmented_radix_sort_config_selectorIdlEEZNS1_25segmented_radix_sort_implIS3_Lb1EPKdPdPKlPlN2at6native12_GLOBAL__N_18offset_tEEE10hipError_tPvRmT1_PNSt15iterator_traitsISK_E10value_typeET2_T3_PNSL_ISQ_E10value_typeET4_jRbjT5_SW_jjP12ihipStream_tbEUlT_E0_NS1_11comp_targetILNS1_3genE3ELNS1_11target_archE908ELNS1_3gpuE7ELNS1_3repE0EEENS1_60segmented_radix_sort_warp_sort_medium_config_static_selectorELNS0_4arch9wavefront6targetE0EEEvSK_.uses_flat_scratch, 0
	.set _ZN7rocprim17ROCPRIM_400000_NS6detail17trampoline_kernelINS0_14default_configENS1_36segmented_radix_sort_config_selectorIdlEEZNS1_25segmented_radix_sort_implIS3_Lb1EPKdPdPKlPlN2at6native12_GLOBAL__N_18offset_tEEE10hipError_tPvRmT1_PNSt15iterator_traitsISK_E10value_typeET2_T3_PNSL_ISQ_E10value_typeET4_jRbjT5_SW_jjP12ihipStream_tbEUlT_E0_NS1_11comp_targetILNS1_3genE3ELNS1_11target_archE908ELNS1_3gpuE7ELNS1_3repE0EEENS1_60segmented_radix_sort_warp_sort_medium_config_static_selectorELNS0_4arch9wavefront6targetE0EEEvSK_.has_dyn_sized_stack, 0
	.set _ZN7rocprim17ROCPRIM_400000_NS6detail17trampoline_kernelINS0_14default_configENS1_36segmented_radix_sort_config_selectorIdlEEZNS1_25segmented_radix_sort_implIS3_Lb1EPKdPdPKlPlN2at6native12_GLOBAL__N_18offset_tEEE10hipError_tPvRmT1_PNSt15iterator_traitsISK_E10value_typeET2_T3_PNSL_ISQ_E10value_typeET4_jRbjT5_SW_jjP12ihipStream_tbEUlT_E0_NS1_11comp_targetILNS1_3genE3ELNS1_11target_archE908ELNS1_3gpuE7ELNS1_3repE0EEENS1_60segmented_radix_sort_warp_sort_medium_config_static_selectorELNS0_4arch9wavefront6targetE0EEEvSK_.has_recursion, 0
	.set _ZN7rocprim17ROCPRIM_400000_NS6detail17trampoline_kernelINS0_14default_configENS1_36segmented_radix_sort_config_selectorIdlEEZNS1_25segmented_radix_sort_implIS3_Lb1EPKdPdPKlPlN2at6native12_GLOBAL__N_18offset_tEEE10hipError_tPvRmT1_PNSt15iterator_traitsISK_E10value_typeET2_T3_PNSL_ISQ_E10value_typeET4_jRbjT5_SW_jjP12ihipStream_tbEUlT_E0_NS1_11comp_targetILNS1_3genE3ELNS1_11target_archE908ELNS1_3gpuE7ELNS1_3repE0EEENS1_60segmented_radix_sort_warp_sort_medium_config_static_selectorELNS0_4arch9wavefront6targetE0EEEvSK_.has_indirect_call, 0
	.section	.AMDGPU.csdata,"",@progbits
; Kernel info:
; codeLenInByte = 0
; TotalNumSgprs: 0
; NumVgprs: 0
; ScratchSize: 0
; MemoryBound: 0
; FloatMode: 240
; IeeeMode: 1
; LDSByteSize: 0 bytes/workgroup (compile time only)
; SGPRBlocks: 0
; VGPRBlocks: 0
; NumSGPRsForWavesPerEU: 1
; NumVGPRsForWavesPerEU: 1
; Occupancy: 16
; WaveLimiterHint : 0
; COMPUTE_PGM_RSRC2:SCRATCH_EN: 0
; COMPUTE_PGM_RSRC2:USER_SGPR: 2
; COMPUTE_PGM_RSRC2:TRAP_HANDLER: 0
; COMPUTE_PGM_RSRC2:TGID_X_EN: 1
; COMPUTE_PGM_RSRC2:TGID_Y_EN: 0
; COMPUTE_PGM_RSRC2:TGID_Z_EN: 0
; COMPUTE_PGM_RSRC2:TIDIG_COMP_CNT: 0
	.section	.text._ZN7rocprim17ROCPRIM_400000_NS6detail17trampoline_kernelINS0_14default_configENS1_36segmented_radix_sort_config_selectorIdlEEZNS1_25segmented_radix_sort_implIS3_Lb1EPKdPdPKlPlN2at6native12_GLOBAL__N_18offset_tEEE10hipError_tPvRmT1_PNSt15iterator_traitsISK_E10value_typeET2_T3_PNSL_ISQ_E10value_typeET4_jRbjT5_SW_jjP12ihipStream_tbEUlT_E0_NS1_11comp_targetILNS1_3genE2ELNS1_11target_archE906ELNS1_3gpuE6ELNS1_3repE0EEENS1_60segmented_radix_sort_warp_sort_medium_config_static_selectorELNS0_4arch9wavefront6targetE0EEEvSK_,"axG",@progbits,_ZN7rocprim17ROCPRIM_400000_NS6detail17trampoline_kernelINS0_14default_configENS1_36segmented_radix_sort_config_selectorIdlEEZNS1_25segmented_radix_sort_implIS3_Lb1EPKdPdPKlPlN2at6native12_GLOBAL__N_18offset_tEEE10hipError_tPvRmT1_PNSt15iterator_traitsISK_E10value_typeET2_T3_PNSL_ISQ_E10value_typeET4_jRbjT5_SW_jjP12ihipStream_tbEUlT_E0_NS1_11comp_targetILNS1_3genE2ELNS1_11target_archE906ELNS1_3gpuE6ELNS1_3repE0EEENS1_60segmented_radix_sort_warp_sort_medium_config_static_selectorELNS0_4arch9wavefront6targetE0EEEvSK_,comdat
	.globl	_ZN7rocprim17ROCPRIM_400000_NS6detail17trampoline_kernelINS0_14default_configENS1_36segmented_radix_sort_config_selectorIdlEEZNS1_25segmented_radix_sort_implIS3_Lb1EPKdPdPKlPlN2at6native12_GLOBAL__N_18offset_tEEE10hipError_tPvRmT1_PNSt15iterator_traitsISK_E10value_typeET2_T3_PNSL_ISQ_E10value_typeET4_jRbjT5_SW_jjP12ihipStream_tbEUlT_E0_NS1_11comp_targetILNS1_3genE2ELNS1_11target_archE906ELNS1_3gpuE6ELNS1_3repE0EEENS1_60segmented_radix_sort_warp_sort_medium_config_static_selectorELNS0_4arch9wavefront6targetE0EEEvSK_ ; -- Begin function _ZN7rocprim17ROCPRIM_400000_NS6detail17trampoline_kernelINS0_14default_configENS1_36segmented_radix_sort_config_selectorIdlEEZNS1_25segmented_radix_sort_implIS3_Lb1EPKdPdPKlPlN2at6native12_GLOBAL__N_18offset_tEEE10hipError_tPvRmT1_PNSt15iterator_traitsISK_E10value_typeET2_T3_PNSL_ISQ_E10value_typeET4_jRbjT5_SW_jjP12ihipStream_tbEUlT_E0_NS1_11comp_targetILNS1_3genE2ELNS1_11target_archE906ELNS1_3gpuE6ELNS1_3repE0EEENS1_60segmented_radix_sort_warp_sort_medium_config_static_selectorELNS0_4arch9wavefront6targetE0EEEvSK_
	.p2align	8
	.type	_ZN7rocprim17ROCPRIM_400000_NS6detail17trampoline_kernelINS0_14default_configENS1_36segmented_radix_sort_config_selectorIdlEEZNS1_25segmented_radix_sort_implIS3_Lb1EPKdPdPKlPlN2at6native12_GLOBAL__N_18offset_tEEE10hipError_tPvRmT1_PNSt15iterator_traitsISK_E10value_typeET2_T3_PNSL_ISQ_E10value_typeET4_jRbjT5_SW_jjP12ihipStream_tbEUlT_E0_NS1_11comp_targetILNS1_3genE2ELNS1_11target_archE906ELNS1_3gpuE6ELNS1_3repE0EEENS1_60segmented_radix_sort_warp_sort_medium_config_static_selectorELNS0_4arch9wavefront6targetE0EEEvSK_,@function
_ZN7rocprim17ROCPRIM_400000_NS6detail17trampoline_kernelINS0_14default_configENS1_36segmented_radix_sort_config_selectorIdlEEZNS1_25segmented_radix_sort_implIS3_Lb1EPKdPdPKlPlN2at6native12_GLOBAL__N_18offset_tEEE10hipError_tPvRmT1_PNSt15iterator_traitsISK_E10value_typeET2_T3_PNSL_ISQ_E10value_typeET4_jRbjT5_SW_jjP12ihipStream_tbEUlT_E0_NS1_11comp_targetILNS1_3genE2ELNS1_11target_archE906ELNS1_3gpuE6ELNS1_3repE0EEENS1_60segmented_radix_sort_warp_sort_medium_config_static_selectorELNS0_4arch9wavefront6targetE0EEEvSK_: ; @_ZN7rocprim17ROCPRIM_400000_NS6detail17trampoline_kernelINS0_14default_configENS1_36segmented_radix_sort_config_selectorIdlEEZNS1_25segmented_radix_sort_implIS3_Lb1EPKdPdPKlPlN2at6native12_GLOBAL__N_18offset_tEEE10hipError_tPvRmT1_PNSt15iterator_traitsISK_E10value_typeET2_T3_PNSL_ISQ_E10value_typeET4_jRbjT5_SW_jjP12ihipStream_tbEUlT_E0_NS1_11comp_targetILNS1_3genE2ELNS1_11target_archE906ELNS1_3gpuE6ELNS1_3repE0EEENS1_60segmented_radix_sort_warp_sort_medium_config_static_selectorELNS0_4arch9wavefront6targetE0EEEvSK_
; %bb.0:
	.section	.rodata,"a",@progbits
	.p2align	6, 0x0
	.amdhsa_kernel _ZN7rocprim17ROCPRIM_400000_NS6detail17trampoline_kernelINS0_14default_configENS1_36segmented_radix_sort_config_selectorIdlEEZNS1_25segmented_radix_sort_implIS3_Lb1EPKdPdPKlPlN2at6native12_GLOBAL__N_18offset_tEEE10hipError_tPvRmT1_PNSt15iterator_traitsISK_E10value_typeET2_T3_PNSL_ISQ_E10value_typeET4_jRbjT5_SW_jjP12ihipStream_tbEUlT_E0_NS1_11comp_targetILNS1_3genE2ELNS1_11target_archE906ELNS1_3gpuE6ELNS1_3repE0EEENS1_60segmented_radix_sort_warp_sort_medium_config_static_selectorELNS0_4arch9wavefront6targetE0EEEvSK_
		.amdhsa_group_segment_fixed_size 0
		.amdhsa_private_segment_fixed_size 0
		.amdhsa_kernarg_size 88
		.amdhsa_user_sgpr_count 2
		.amdhsa_user_sgpr_dispatch_ptr 0
		.amdhsa_user_sgpr_queue_ptr 0
		.amdhsa_user_sgpr_kernarg_segment_ptr 1
		.amdhsa_user_sgpr_dispatch_id 0
		.amdhsa_user_sgpr_private_segment_size 0
		.amdhsa_wavefront_size32 1
		.amdhsa_uses_dynamic_stack 0
		.amdhsa_enable_private_segment 0
		.amdhsa_system_sgpr_workgroup_id_x 1
		.amdhsa_system_sgpr_workgroup_id_y 0
		.amdhsa_system_sgpr_workgroup_id_z 0
		.amdhsa_system_sgpr_workgroup_info 0
		.amdhsa_system_vgpr_workitem_id 0
		.amdhsa_next_free_vgpr 1
		.amdhsa_next_free_sgpr 1
		.amdhsa_reserve_vcc 0
		.amdhsa_float_round_mode_32 0
		.amdhsa_float_round_mode_16_64 0
		.amdhsa_float_denorm_mode_32 3
		.amdhsa_float_denorm_mode_16_64 3
		.amdhsa_fp16_overflow 0
		.amdhsa_workgroup_processor_mode 1
		.amdhsa_memory_ordered 1
		.amdhsa_forward_progress 1
		.amdhsa_inst_pref_size 0
		.amdhsa_round_robin_scheduling 0
		.amdhsa_exception_fp_ieee_invalid_op 0
		.amdhsa_exception_fp_denorm_src 0
		.amdhsa_exception_fp_ieee_div_zero 0
		.amdhsa_exception_fp_ieee_overflow 0
		.amdhsa_exception_fp_ieee_underflow 0
		.amdhsa_exception_fp_ieee_inexact 0
		.amdhsa_exception_int_div_zero 0
	.end_amdhsa_kernel
	.section	.text._ZN7rocprim17ROCPRIM_400000_NS6detail17trampoline_kernelINS0_14default_configENS1_36segmented_radix_sort_config_selectorIdlEEZNS1_25segmented_radix_sort_implIS3_Lb1EPKdPdPKlPlN2at6native12_GLOBAL__N_18offset_tEEE10hipError_tPvRmT1_PNSt15iterator_traitsISK_E10value_typeET2_T3_PNSL_ISQ_E10value_typeET4_jRbjT5_SW_jjP12ihipStream_tbEUlT_E0_NS1_11comp_targetILNS1_3genE2ELNS1_11target_archE906ELNS1_3gpuE6ELNS1_3repE0EEENS1_60segmented_radix_sort_warp_sort_medium_config_static_selectorELNS0_4arch9wavefront6targetE0EEEvSK_,"axG",@progbits,_ZN7rocprim17ROCPRIM_400000_NS6detail17trampoline_kernelINS0_14default_configENS1_36segmented_radix_sort_config_selectorIdlEEZNS1_25segmented_radix_sort_implIS3_Lb1EPKdPdPKlPlN2at6native12_GLOBAL__N_18offset_tEEE10hipError_tPvRmT1_PNSt15iterator_traitsISK_E10value_typeET2_T3_PNSL_ISQ_E10value_typeET4_jRbjT5_SW_jjP12ihipStream_tbEUlT_E0_NS1_11comp_targetILNS1_3genE2ELNS1_11target_archE906ELNS1_3gpuE6ELNS1_3repE0EEENS1_60segmented_radix_sort_warp_sort_medium_config_static_selectorELNS0_4arch9wavefront6targetE0EEEvSK_,comdat
.Lfunc_end1132:
	.size	_ZN7rocprim17ROCPRIM_400000_NS6detail17trampoline_kernelINS0_14default_configENS1_36segmented_radix_sort_config_selectorIdlEEZNS1_25segmented_radix_sort_implIS3_Lb1EPKdPdPKlPlN2at6native12_GLOBAL__N_18offset_tEEE10hipError_tPvRmT1_PNSt15iterator_traitsISK_E10value_typeET2_T3_PNSL_ISQ_E10value_typeET4_jRbjT5_SW_jjP12ihipStream_tbEUlT_E0_NS1_11comp_targetILNS1_3genE2ELNS1_11target_archE906ELNS1_3gpuE6ELNS1_3repE0EEENS1_60segmented_radix_sort_warp_sort_medium_config_static_selectorELNS0_4arch9wavefront6targetE0EEEvSK_, .Lfunc_end1132-_ZN7rocprim17ROCPRIM_400000_NS6detail17trampoline_kernelINS0_14default_configENS1_36segmented_radix_sort_config_selectorIdlEEZNS1_25segmented_radix_sort_implIS3_Lb1EPKdPdPKlPlN2at6native12_GLOBAL__N_18offset_tEEE10hipError_tPvRmT1_PNSt15iterator_traitsISK_E10value_typeET2_T3_PNSL_ISQ_E10value_typeET4_jRbjT5_SW_jjP12ihipStream_tbEUlT_E0_NS1_11comp_targetILNS1_3genE2ELNS1_11target_archE906ELNS1_3gpuE6ELNS1_3repE0EEENS1_60segmented_radix_sort_warp_sort_medium_config_static_selectorELNS0_4arch9wavefront6targetE0EEEvSK_
                                        ; -- End function
	.set _ZN7rocprim17ROCPRIM_400000_NS6detail17trampoline_kernelINS0_14default_configENS1_36segmented_radix_sort_config_selectorIdlEEZNS1_25segmented_radix_sort_implIS3_Lb1EPKdPdPKlPlN2at6native12_GLOBAL__N_18offset_tEEE10hipError_tPvRmT1_PNSt15iterator_traitsISK_E10value_typeET2_T3_PNSL_ISQ_E10value_typeET4_jRbjT5_SW_jjP12ihipStream_tbEUlT_E0_NS1_11comp_targetILNS1_3genE2ELNS1_11target_archE906ELNS1_3gpuE6ELNS1_3repE0EEENS1_60segmented_radix_sort_warp_sort_medium_config_static_selectorELNS0_4arch9wavefront6targetE0EEEvSK_.num_vgpr, 0
	.set _ZN7rocprim17ROCPRIM_400000_NS6detail17trampoline_kernelINS0_14default_configENS1_36segmented_radix_sort_config_selectorIdlEEZNS1_25segmented_radix_sort_implIS3_Lb1EPKdPdPKlPlN2at6native12_GLOBAL__N_18offset_tEEE10hipError_tPvRmT1_PNSt15iterator_traitsISK_E10value_typeET2_T3_PNSL_ISQ_E10value_typeET4_jRbjT5_SW_jjP12ihipStream_tbEUlT_E0_NS1_11comp_targetILNS1_3genE2ELNS1_11target_archE906ELNS1_3gpuE6ELNS1_3repE0EEENS1_60segmented_radix_sort_warp_sort_medium_config_static_selectorELNS0_4arch9wavefront6targetE0EEEvSK_.num_agpr, 0
	.set _ZN7rocprim17ROCPRIM_400000_NS6detail17trampoline_kernelINS0_14default_configENS1_36segmented_radix_sort_config_selectorIdlEEZNS1_25segmented_radix_sort_implIS3_Lb1EPKdPdPKlPlN2at6native12_GLOBAL__N_18offset_tEEE10hipError_tPvRmT1_PNSt15iterator_traitsISK_E10value_typeET2_T3_PNSL_ISQ_E10value_typeET4_jRbjT5_SW_jjP12ihipStream_tbEUlT_E0_NS1_11comp_targetILNS1_3genE2ELNS1_11target_archE906ELNS1_3gpuE6ELNS1_3repE0EEENS1_60segmented_radix_sort_warp_sort_medium_config_static_selectorELNS0_4arch9wavefront6targetE0EEEvSK_.numbered_sgpr, 0
	.set _ZN7rocprim17ROCPRIM_400000_NS6detail17trampoline_kernelINS0_14default_configENS1_36segmented_radix_sort_config_selectorIdlEEZNS1_25segmented_radix_sort_implIS3_Lb1EPKdPdPKlPlN2at6native12_GLOBAL__N_18offset_tEEE10hipError_tPvRmT1_PNSt15iterator_traitsISK_E10value_typeET2_T3_PNSL_ISQ_E10value_typeET4_jRbjT5_SW_jjP12ihipStream_tbEUlT_E0_NS1_11comp_targetILNS1_3genE2ELNS1_11target_archE906ELNS1_3gpuE6ELNS1_3repE0EEENS1_60segmented_radix_sort_warp_sort_medium_config_static_selectorELNS0_4arch9wavefront6targetE0EEEvSK_.num_named_barrier, 0
	.set _ZN7rocprim17ROCPRIM_400000_NS6detail17trampoline_kernelINS0_14default_configENS1_36segmented_radix_sort_config_selectorIdlEEZNS1_25segmented_radix_sort_implIS3_Lb1EPKdPdPKlPlN2at6native12_GLOBAL__N_18offset_tEEE10hipError_tPvRmT1_PNSt15iterator_traitsISK_E10value_typeET2_T3_PNSL_ISQ_E10value_typeET4_jRbjT5_SW_jjP12ihipStream_tbEUlT_E0_NS1_11comp_targetILNS1_3genE2ELNS1_11target_archE906ELNS1_3gpuE6ELNS1_3repE0EEENS1_60segmented_radix_sort_warp_sort_medium_config_static_selectorELNS0_4arch9wavefront6targetE0EEEvSK_.private_seg_size, 0
	.set _ZN7rocprim17ROCPRIM_400000_NS6detail17trampoline_kernelINS0_14default_configENS1_36segmented_radix_sort_config_selectorIdlEEZNS1_25segmented_radix_sort_implIS3_Lb1EPKdPdPKlPlN2at6native12_GLOBAL__N_18offset_tEEE10hipError_tPvRmT1_PNSt15iterator_traitsISK_E10value_typeET2_T3_PNSL_ISQ_E10value_typeET4_jRbjT5_SW_jjP12ihipStream_tbEUlT_E0_NS1_11comp_targetILNS1_3genE2ELNS1_11target_archE906ELNS1_3gpuE6ELNS1_3repE0EEENS1_60segmented_radix_sort_warp_sort_medium_config_static_selectorELNS0_4arch9wavefront6targetE0EEEvSK_.uses_vcc, 0
	.set _ZN7rocprim17ROCPRIM_400000_NS6detail17trampoline_kernelINS0_14default_configENS1_36segmented_radix_sort_config_selectorIdlEEZNS1_25segmented_radix_sort_implIS3_Lb1EPKdPdPKlPlN2at6native12_GLOBAL__N_18offset_tEEE10hipError_tPvRmT1_PNSt15iterator_traitsISK_E10value_typeET2_T3_PNSL_ISQ_E10value_typeET4_jRbjT5_SW_jjP12ihipStream_tbEUlT_E0_NS1_11comp_targetILNS1_3genE2ELNS1_11target_archE906ELNS1_3gpuE6ELNS1_3repE0EEENS1_60segmented_radix_sort_warp_sort_medium_config_static_selectorELNS0_4arch9wavefront6targetE0EEEvSK_.uses_flat_scratch, 0
	.set _ZN7rocprim17ROCPRIM_400000_NS6detail17trampoline_kernelINS0_14default_configENS1_36segmented_radix_sort_config_selectorIdlEEZNS1_25segmented_radix_sort_implIS3_Lb1EPKdPdPKlPlN2at6native12_GLOBAL__N_18offset_tEEE10hipError_tPvRmT1_PNSt15iterator_traitsISK_E10value_typeET2_T3_PNSL_ISQ_E10value_typeET4_jRbjT5_SW_jjP12ihipStream_tbEUlT_E0_NS1_11comp_targetILNS1_3genE2ELNS1_11target_archE906ELNS1_3gpuE6ELNS1_3repE0EEENS1_60segmented_radix_sort_warp_sort_medium_config_static_selectorELNS0_4arch9wavefront6targetE0EEEvSK_.has_dyn_sized_stack, 0
	.set _ZN7rocprim17ROCPRIM_400000_NS6detail17trampoline_kernelINS0_14default_configENS1_36segmented_radix_sort_config_selectorIdlEEZNS1_25segmented_radix_sort_implIS3_Lb1EPKdPdPKlPlN2at6native12_GLOBAL__N_18offset_tEEE10hipError_tPvRmT1_PNSt15iterator_traitsISK_E10value_typeET2_T3_PNSL_ISQ_E10value_typeET4_jRbjT5_SW_jjP12ihipStream_tbEUlT_E0_NS1_11comp_targetILNS1_3genE2ELNS1_11target_archE906ELNS1_3gpuE6ELNS1_3repE0EEENS1_60segmented_radix_sort_warp_sort_medium_config_static_selectorELNS0_4arch9wavefront6targetE0EEEvSK_.has_recursion, 0
	.set _ZN7rocprim17ROCPRIM_400000_NS6detail17trampoline_kernelINS0_14default_configENS1_36segmented_radix_sort_config_selectorIdlEEZNS1_25segmented_radix_sort_implIS3_Lb1EPKdPdPKlPlN2at6native12_GLOBAL__N_18offset_tEEE10hipError_tPvRmT1_PNSt15iterator_traitsISK_E10value_typeET2_T3_PNSL_ISQ_E10value_typeET4_jRbjT5_SW_jjP12ihipStream_tbEUlT_E0_NS1_11comp_targetILNS1_3genE2ELNS1_11target_archE906ELNS1_3gpuE6ELNS1_3repE0EEENS1_60segmented_radix_sort_warp_sort_medium_config_static_selectorELNS0_4arch9wavefront6targetE0EEEvSK_.has_indirect_call, 0
	.section	.AMDGPU.csdata,"",@progbits
; Kernel info:
; codeLenInByte = 0
; TotalNumSgprs: 0
; NumVgprs: 0
; ScratchSize: 0
; MemoryBound: 0
; FloatMode: 240
; IeeeMode: 1
; LDSByteSize: 0 bytes/workgroup (compile time only)
; SGPRBlocks: 0
; VGPRBlocks: 0
; NumSGPRsForWavesPerEU: 1
; NumVGPRsForWavesPerEU: 1
; Occupancy: 16
; WaveLimiterHint : 0
; COMPUTE_PGM_RSRC2:SCRATCH_EN: 0
; COMPUTE_PGM_RSRC2:USER_SGPR: 2
; COMPUTE_PGM_RSRC2:TRAP_HANDLER: 0
; COMPUTE_PGM_RSRC2:TGID_X_EN: 1
; COMPUTE_PGM_RSRC2:TGID_Y_EN: 0
; COMPUTE_PGM_RSRC2:TGID_Z_EN: 0
; COMPUTE_PGM_RSRC2:TIDIG_COMP_CNT: 0
	.text
	.p2align	2                               ; -- Begin function _ZN7rocprim17ROCPRIM_400000_NS6detail26segmented_warp_sort_helperINS1_20WarpSortHelperConfigILj16ELj8ELj256EEEdlLi256ELb1EvE4sortIPKdPdPKlPlEEvT_T0_T1_T2_jjjjRNS5_12storage_typeE
	.type	_ZN7rocprim17ROCPRIM_400000_NS6detail26segmented_warp_sort_helperINS1_20WarpSortHelperConfigILj16ELj8ELj256EEEdlLi256ELb1EvE4sortIPKdPdPKlPlEEvT_T0_T1_T2_jjjjRNS5_12storage_typeE,@function
_ZN7rocprim17ROCPRIM_400000_NS6detail26segmented_warp_sort_helperINS1_20WarpSortHelperConfigILj16ELj8ELj256EEEdlLi256ELb1EvE4sortIPKdPdPKlPlEEvT_T0_T1_T2_jjjjRNS5_12storage_typeE: ; @_ZN7rocprim17ROCPRIM_400000_NS6detail26segmented_warp_sort_helperINS1_20WarpSortHelperConfigILj16ELj8ELj256EEEdlLi256ELb1EvE4sortIPKdPdPKlPlEEvT_T0_T1_T2_jjjjRNS5_12storage_typeE
; %bb.0:
	s_wait_loadcnt_dscnt 0x0
	s_wait_expcnt 0x0
	s_wait_samplecnt 0x0
	s_wait_bvhcnt 0x0
	s_wait_kmcnt 0x0
	v_mov_b32_e32 v10, v9
	v_mbcnt_lo_u32_b32 v9, -1, 0
	v_mov_b32_e32 v27, -1
	v_dual_mov_b32 v28, -1 :: v_dual_mov_b32 v17, -1
	v_mov_b32_e32 v18, -1
	s_delay_alu instid0(VALU_DEP_4) | instskip(NEXT) | instid1(VALU_DEP_1)
	v_dual_mov_b32 v9, 0 :: v_dual_lshlrev_b32 v80, 3, v9
	v_and_b32_e32 v71, 0x78, v80
	s_delay_alu instid0(VALU_DEP_2) | instskip(SKIP_1) | instid1(VALU_DEP_3)
	v_lshlrev_b64_e32 v[11:12], 3, v[8:9]
	v_sub_nc_u32_e32 v8, v10, v8
	v_lshlrev_b32_e32 v70, 3, v71
	s_delay_alu instid0(VALU_DEP_3) | instskip(SKIP_1) | instid1(VALU_DEP_4)
	v_add_co_u32 v0, vcc_lo, v0, v11
	s_wait_alu 0xfffd
	v_add_co_ci_u32_e64 v1, null, v1, v12, vcc_lo
	s_delay_alu instid0(VALU_DEP_2) | instskip(SKIP_1) | instid1(VALU_DEP_2)
	v_add_co_u32 v0, vcc_lo, v0, v70
	s_wait_alu 0xfffd
	v_add_co_ci_u32_e64 v1, null, 0, v1, vcc_lo
	v_cmp_lt_u32_e32 vcc_lo, v71, v8
	s_and_saveexec_b32 s0, vcc_lo
	s_cbranch_execz .LBB1133_2
; %bb.1:
	flat_load_b64 v[17:18], v[0:1]
.LBB1133_2:
	s_wait_alu 0xfffe
	s_or_b32 exec_lo, exec_lo, s0
	v_or_b32_e32 v9, 1, v71
	s_delay_alu instid0(VALU_DEP_1)
	v_cmp_lt_u32_e64 s0, v9, v8
	s_and_saveexec_b32 s1, s0
	s_cbranch_execz .LBB1133_4
; %bb.3:
	flat_load_b64 v[27:28], v[0:1] offset:8
.LBB1133_4:
	s_wait_alu 0xfffe
	s_or_b32 exec_lo, exec_lo, s1
	v_or_b32_e32 v9, 2, v71
	v_dual_mov_b32 v38, -1 :: v_dual_mov_b32 v29, -1
	v_dual_mov_b32 v39, -1 :: v_dual_mov_b32 v30, -1
	s_delay_alu instid0(VALU_DEP_3)
	v_cmp_lt_u32_e64 s1, v9, v8
	s_and_saveexec_b32 s2, s1
	s_cbranch_execz .LBB1133_6
; %bb.5:
	flat_load_b64 v[29:30], v[0:1] offset:16
.LBB1133_6:
	s_wait_alu 0xfffe
	s_or_b32 exec_lo, exec_lo, s2
	v_or_b32_e32 v9, 3, v71
	s_delay_alu instid0(VALU_DEP_1)
	v_cmp_lt_u32_e64 s2, v9, v8
	s_and_saveexec_b32 s3, s2
	s_cbranch_execz .LBB1133_8
; %bb.7:
	flat_load_b64 v[38:39], v[0:1] offset:24
.LBB1133_8:
	s_wait_alu 0xfffe
	s_or_b32 exec_lo, exec_lo, s3
	v_or_b32_e32 v9, 4, v71
	v_dual_mov_b32 v25, -1 :: v_dual_mov_b32 v32, -1
	v_dual_mov_b32 v26, -1 :: v_dual_mov_b32 v33, -1
	s_delay_alu instid0(VALU_DEP_3)
	v_cmp_lt_u32_e64 s3, v9, v8
	s_and_saveexec_b32 s4, s3
	s_cbranch_execz .LBB1133_10
; %bb.9:
	flat_load_b64 v[32:33], v[0:1] offset:32
.LBB1133_10:
	;; [unrolled: 22-line block ×3, first 2 shown]
	s_wait_alu 0xfffe
	s_or_b32 exec_lo, exec_lo, s6
	v_or_b32_e32 v9, 7, v71
	s_delay_alu instid0(VALU_DEP_1)
	v_cmp_lt_u32_e64 s6, v9, v8
	s_and_saveexec_b32 s7, s6
	s_cbranch_execz .LBB1133_16
; %bb.15:
	flat_load_b64 v[19:20], v[0:1] offset:56
.LBB1133_16:
	s_wait_alu 0xfffe
	s_or_b32 exec_lo, exec_lo, s7
	v_add_co_u32 v0, s7, v4, v11
	s_wait_alu 0xf1ff
	v_add_co_ci_u32_e64 v1, null, v5, v12, s7
	s_delay_alu instid0(VALU_DEP_2) | instskip(SKIP_1) | instid1(VALU_DEP_2)
	v_add_co_u32 v48, s7, v0, v70
	s_wait_alu 0xf1ff
	v_add_co_ci_u32_e64 v49, null, 0, v1, s7
	; wave barrier
                                        ; implicit-def: $vgpr0_vgpr1
	s_and_saveexec_b32 s7, vcc_lo
	s_cbranch_execnz .LBB1133_261
; %bb.17:
	s_wait_alu 0xfffe
	s_or_b32 exec_lo, exec_lo, s7
	s_and_saveexec_b32 s7, s0
                                        ; implicit-def: $vgpr4_vgpr5
	s_cbranch_execnz .LBB1133_262
.LBB1133_18:
	s_wait_alu 0xfffe
	s_or_b32 exec_lo, exec_lo, s7
                                        ; implicit-def: $vgpr8_vgpr9
	s_and_saveexec_b32 s7, s1
	s_cbranch_execnz .LBB1133_263
.LBB1133_19:
	s_wait_alu 0xfffe
	s_or_b32 exec_lo, exec_lo, s7
	s_and_saveexec_b32 s7, s2
                                        ; implicit-def: $vgpr13_vgpr14
	s_cbranch_execnz .LBB1133_264
.LBB1133_20:
	s_wait_alu 0xfffe
	s_or_b32 exec_lo, exec_lo, s7
                                        ; implicit-def: $vgpr15_vgpr16
	s_and_saveexec_b32 s7, s3
	s_cbranch_execnz .LBB1133_265
.LBB1133_21:
	s_wait_alu 0xfffe
	s_or_b32 exec_lo, exec_lo, s7
	s_and_saveexec_b32 s7, s4
                                        ; implicit-def: $vgpr23_vgpr24
	s_cbranch_execnz .LBB1133_266
.LBB1133_22:
	s_wait_alu 0xfffe
	s_or_b32 exec_lo, exec_lo, s7
                                        ; implicit-def: $vgpr21_vgpr22
	s_and_saveexec_b32 s7, s5
	s_cbranch_execnz .LBB1133_267
.LBB1133_23:
	s_wait_alu 0xfffe
	s_or_b32 exec_lo, exec_lo, s7
	s_and_saveexec_b32 s7, s6
                                        ; implicit-def: $vgpr34_vgpr35
	s_cbranch_execz .LBB1133_25
.LBB1133_24:
	flat_load_b64 v[34:35], v[48:49] offset:56
.LBB1133_25:
	s_wait_alu 0xfffe
	s_or_b32 exec_lo, exec_lo, s7
	; wave barrier
	s_load_b64 s[10:11], s[8:9], 0x0
	s_and_b32 s7, ttmp7, 0xffff
	s_mov_b32 s13, 0
	v_bfe_u32 v10, v31, 10, 10
	v_bfe_u32 v48, v31, 20, 10
	v_and_b32_e32 v31, 0x3ff, v31
	s_wait_kmcnt 0x0
	s_wait_alu 0xfffe
	s_cmp_lt_u32 s7, s11
	s_cselect_b32 s12, 14, 20
	s_cmp_lt_u32 ttmp9, s10
	s_wait_alu 0xfffe
	s_add_nc_u64 s[14:15], s[8:9], s[12:13]
	s_cselect_b32 s12, 12, 18
	s_load_u16 s7, s[14:15], 0x0
	s_add_nc_u64 s[8:9], s[8:9], s[12:13]
	s_load_u16 s8, s[8:9], 0x0
	s_wait_kmcnt 0x0
	v_mad_u32_u24 v10, v48, s7, v10
	s_delay_alu instid0(VALU_DEP_1) | instskip(SKIP_1) | instid1(VALU_DEP_1)
	v_mul_lo_u32 v10, v10, s8
	s_mov_b32 s8, exec_lo
	v_add_lshl_u32 v10, v10, v31, 3
	s_delay_alu instid0(VALU_DEP_1)
	v_cmpx_gt_u32_e32 0x800, v10
	s_cbranch_execz .LBB1133_83
; %bb.26:
	s_wait_loadcnt_dscnt 0x0
	v_add_f64_e32 v[48:49], 0, v[27:28]
	v_add_f64_e32 v[50:51], 0, v[17:18]
	s_delay_alu instid0(VALU_DEP_2) | instskip(NEXT) | instid1(VALU_DEP_2)
	v_ashrrev_i32_e32 v31, 31, v49
	v_ashrrev_i32_e32 v52, 31, v51
	s_delay_alu instid0(VALU_DEP_2) | instskip(NEXT) | instid1(VALU_DEP_2)
	v_or_b32_e32 v53, 0x80000000, v31
	v_or_b32_e32 v54, 0x80000000, v52
	v_xor_b32_e32 v48, v31, v48
	v_xor_b32_e32 v50, v52, v50
	s_delay_alu instid0(VALU_DEP_4) | instskip(NEXT) | instid1(VALU_DEP_4)
	v_xor_b32_e32 v49, v53, v49
	v_xor_b32_e32 v51, v54, v51
	s_delay_alu instid0(VALU_DEP_1)
	v_cmp_gt_u64_e64 s7, v[48:49], v[50:51]
	v_dual_mov_b32 v49, v28 :: v_dual_mov_b32 v48, v27
	v_dual_mov_b32 v51, v5 :: v_dual_mov_b32 v50, v4
	s_and_saveexec_b32 s9, s7
; %bb.27:
	v_dual_mov_b32 v49, v18 :: v_dual_mov_b32 v48, v17
	v_dual_mov_b32 v17, v27 :: v_dual_mov_b32 v18, v28
	;; [unrolled: 1-line block ×4, first 2 shown]
; %bb.28:
	s_wait_alu 0xfffe
	s_or_b32 exec_lo, exec_lo, s9
	v_add_f64_e32 v[4:5], 0, v[38:39]
	v_add_f64_e32 v[27:28], 0, v[29:30]
	s_delay_alu instid0(VALU_DEP_2) | instskip(NEXT) | instid1(VALU_DEP_2)
	v_ashrrev_i32_e32 v31, 31, v5
	v_ashrrev_i32_e32 v52, 31, v28
	s_delay_alu instid0(VALU_DEP_2) | instskip(NEXT) | instid1(VALU_DEP_2)
	v_or_b32_e32 v53, 0x80000000, v31
	v_or_b32_e32 v54, 0x80000000, v52
	v_xor_b32_e32 v4, v31, v4
	v_xor_b32_e32 v27, v52, v27
	s_delay_alu instid0(VALU_DEP_4) | instskip(NEXT) | instid1(VALU_DEP_4)
	v_xor_b32_e32 v5, v53, v5
	v_xor_b32_e32 v28, v54, v28
	v_dual_mov_b32 v55, v39 :: v_dual_mov_b32 v54, v38
	s_delay_alu instid0(VALU_DEP_2)
	v_cmp_gt_u64_e64 s7, v[4:5], v[27:28]
	v_dual_mov_b32 v28, v14 :: v_dual_mov_b32 v27, v13
	s_and_saveexec_b32 s9, s7
; %bb.29:
	v_dual_mov_b32 v55, v30 :: v_dual_mov_b32 v54, v29
	v_dual_mov_b32 v29, v38 :: v_dual_mov_b32 v30, v39
	;; [unrolled: 1-line block ×4, first 2 shown]
; %bb.30:
	s_wait_alu 0xfffe
	s_or_b32 exec_lo, exec_lo, s9
	v_add_f64_e32 v[4:5], 0, v[25:26]
	v_add_f64_e32 v[13:14], 0, v[32:33]
	s_delay_alu instid0(VALU_DEP_2) | instskip(NEXT) | instid1(VALU_DEP_2)
	v_ashrrev_i32_e32 v31, 31, v5
	v_ashrrev_i32_e32 v38, 31, v14
	s_delay_alu instid0(VALU_DEP_2) | instskip(NEXT) | instid1(VALU_DEP_2)
	v_or_b32_e32 v39, 0x80000000, v31
	v_or_b32_e32 v52, 0x80000000, v38
	v_xor_b32_e32 v4, v31, v4
	v_xor_b32_e32 v13, v38, v13
	s_delay_alu instid0(VALU_DEP_4) | instskip(NEXT) | instid1(VALU_DEP_4)
	v_xor_b32_e32 v5, v39, v5
	v_xor_b32_e32 v14, v52, v14
	v_dual_mov_b32 v53, v33 :: v_dual_mov_b32 v52, v32
	s_delay_alu instid0(VALU_DEP_2)
	v_cmp_gt_u64_e64 s7, v[4:5], v[13:14]
	v_dual_mov_b32 v13, v23 :: v_dual_mov_b32 v14, v24
	s_and_saveexec_b32 s9, s7
; %bb.31:
	v_dual_mov_b32 v13, v15 :: v_dual_mov_b32 v14, v16
	v_dual_mov_b32 v15, v23 :: v_dual_mov_b32 v16, v24
	;; [unrolled: 1-line block ×4, first 2 shown]
; %bb.32:
	s_wait_alu 0xfffe
	s_or_b32 exec_lo, exec_lo, s9
	v_add_f64_e32 v[4:5], 0, v[19:20]
	v_add_f64_e32 v[23:24], 0, v[36:37]
	s_delay_alu instid0(VALU_DEP_2) | instskip(NEXT) | instid1(VALU_DEP_2)
	v_ashrrev_i32_e32 v31, 31, v5
	v_ashrrev_i32_e32 v32, 31, v24
	s_delay_alu instid0(VALU_DEP_2) | instskip(NEXT) | instid1(VALU_DEP_2)
	v_or_b32_e32 v33, 0x80000000, v31
	v_or_b32_e32 v38, 0x80000000, v32
	v_xor_b32_e32 v4, v31, v4
	v_xor_b32_e32 v23, v32, v23
	v_dual_mov_b32 v31, v36 :: v_dual_mov_b32 v32, v37
	v_xor_b32_e32 v5, v33, v5
	v_xor_b32_e32 v24, v38, v24
	s_delay_alu instid0(VALU_DEP_1)
	v_cmp_gt_u64_e64 s7, v[4:5], v[23:24]
	v_dual_mov_b32 v4, v34 :: v_dual_mov_b32 v5, v35
	s_and_saveexec_b32 s9, s7
; %bb.33:
	v_dual_mov_b32 v4, v21 :: v_dual_mov_b32 v5, v22
	v_dual_mov_b32 v21, v34 :: v_dual_mov_b32 v22, v35
	;; [unrolled: 1-line block ×4, first 2 shown]
; %bb.34:
	s_wait_alu 0xfffe
	s_or_b32 exec_lo, exec_lo, s9
	v_add_f64_e32 v[23:24], 0, v[29:30]
	v_add_f64_e32 v[33:34], 0, v[48:49]
	s_delay_alu instid0(VALU_DEP_2) | instskip(NEXT) | instid1(VALU_DEP_2)
	v_ashrrev_i32_e32 v35, 31, v24
	v_ashrrev_i32_e32 v36, 31, v34
	s_delay_alu instid0(VALU_DEP_2) | instskip(NEXT) | instid1(VALU_DEP_2)
	v_or_b32_e32 v37, 0x80000000, v35
	v_or_b32_e32 v38, 0x80000000, v36
	v_xor_b32_e32 v23, v35, v23
	v_xor_b32_e32 v33, v36, v33
	s_delay_alu instid0(VALU_DEP_4) | instskip(NEXT) | instid1(VALU_DEP_4)
	v_xor_b32_e32 v24, v37, v24
	v_xor_b32_e32 v34, v38, v34
	s_delay_alu instid0(VALU_DEP_1)
	v_cmp_gt_u64_e64 s7, v[23:24], v[33:34]
	v_dual_mov_b32 v23, v29 :: v_dual_mov_b32 v24, v30
	v_dual_mov_b32 v34, v9 :: v_dual_mov_b32 v33, v8
	s_and_saveexec_b32 s9, s7
	s_wait_alu 0xfffe
	s_xor_b32 s7, exec_lo, s9
; %bb.35:
	v_dual_mov_b32 v23, v48 :: v_dual_mov_b32 v24, v49
	v_dual_mov_b32 v49, v30 :: v_dual_mov_b32 v48, v29
	;; [unrolled: 1-line block ×4, first 2 shown]
; %bb.36:
	s_wait_alu 0xfffe
	s_or_b32 exec_lo, exec_lo, s7
	v_add_f64_e32 v[8:9], 0, v[52:53]
	v_add_f64_e32 v[29:30], 0, v[54:55]
	s_delay_alu instid0(VALU_DEP_2) | instskip(NEXT) | instid1(VALU_DEP_2)
	v_ashrrev_i32_e32 v35, 31, v9
	v_ashrrev_i32_e32 v36, 31, v30
	s_delay_alu instid0(VALU_DEP_2) | instskip(NEXT) | instid1(VALU_DEP_2)
	v_or_b32_e32 v37, 0x80000000, v35
	v_or_b32_e32 v38, 0x80000000, v36
	v_xor_b32_e32 v8, v35, v8
	v_xor_b32_e32 v29, v36, v29
	s_delay_alu instid0(VALU_DEP_4) | instskip(NEXT) | instid1(VALU_DEP_4)
	v_xor_b32_e32 v9, v37, v9
	v_xor_b32_e32 v30, v38, v30
	s_delay_alu instid0(VALU_DEP_1)
	v_cmp_gt_u64_e64 s7, v[8:9], v[29:30]
	v_dual_mov_b32 v8, v54 :: v_dual_mov_b32 v9, v55
	v_dual_mov_b32 v30, v16 :: v_dual_mov_b32 v29, v15
	s_and_saveexec_b32 s9, s7
; %bb.37:
	v_dual_mov_b32 v8, v52 :: v_dual_mov_b32 v9, v53
	v_dual_mov_b32 v30, v28 :: v_dual_mov_b32 v29, v27
	;; [unrolled: 1-line block ×4, first 2 shown]
; %bb.38:
	s_wait_alu 0xfffe
	s_or_b32 exec_lo, exec_lo, s9
	v_add_f64_e32 v[15:16], 0, v[31:32]
	v_add_f64_e32 v[35:36], 0, v[25:26]
	s_delay_alu instid0(VALU_DEP_2) | instskip(NEXT) | instid1(VALU_DEP_2)
	v_ashrrev_i32_e32 v37, 31, v16
	v_ashrrev_i32_e32 v38, 31, v36
	s_delay_alu instid0(VALU_DEP_2) | instskip(NEXT) | instid1(VALU_DEP_2)
	v_or_b32_e32 v39, 0x80000000, v37
	v_or_b32_e32 v54, 0x80000000, v38
	v_xor_b32_e32 v15, v37, v15
	v_xor_b32_e32 v35, v38, v35
	s_delay_alu instid0(VALU_DEP_4) | instskip(NEXT) | instid1(VALU_DEP_4)
	v_xor_b32_e32 v16, v39, v16
	v_xor_b32_e32 v36, v54, v36
	s_delay_alu instid0(VALU_DEP_1)
	v_cmp_gt_u64_e64 s7, v[15:16], v[35:36]
	v_dual_mov_b32 v15, v21 :: v_dual_mov_b32 v16, v22
	v_dual_mov_b32 v36, v26 :: v_dual_mov_b32 v35, v25
	s_and_saveexec_b32 s9, s7
; %bb.39:
	v_dual_mov_b32 v16, v14 :: v_dual_mov_b32 v15, v13
	v_dual_mov_b32 v13, v21 :: v_dual_mov_b32 v14, v22
	;; [unrolled: 1-line block ×4, first 2 shown]
; %bb.40:
	s_wait_alu 0xfffe
	s_or_b32 exec_lo, exec_lo, s9
	v_add_f64_e32 v[21:22], 0, v[48:49]
	v_add_f64_e32 v[25:26], 0, v[17:18]
	s_delay_alu instid0(VALU_DEP_2) | instskip(NEXT) | instid1(VALU_DEP_2)
	v_ashrrev_i32_e32 v37, 31, v22
	v_ashrrev_i32_e32 v38, 31, v26
	s_delay_alu instid0(VALU_DEP_2) | instskip(NEXT) | instid1(VALU_DEP_2)
	v_or_b32_e32 v39, 0x80000000, v37
	v_or_b32_e32 v54, 0x80000000, v38
	v_xor_b32_e32 v21, v37, v21
	v_xor_b32_e32 v25, v38, v25
	v_dual_mov_b32 v37, v50 :: v_dual_mov_b32 v38, v51
	v_xor_b32_e32 v22, v39, v22
	v_xor_b32_e32 v26, v54, v26
	s_delay_alu instid0(VALU_DEP_1)
	v_cmp_gt_u64_e64 s7, v[21:22], v[25:26]
	v_dual_mov_b32 v21, v48 :: v_dual_mov_b32 v22, v49
	s_and_saveexec_b32 s9, s7
; %bb.41:
	v_dual_mov_b32 v22, v18 :: v_dual_mov_b32 v21, v17
	v_dual_mov_b32 v17, v48 :: v_dual_mov_b32 v18, v49
	;; [unrolled: 1-line block ×4, first 2 shown]
; %bb.42:
	s_wait_alu 0xfffe
	s_or_b32 exec_lo, exec_lo, s9
	v_add_f64_e32 v[25:26], 0, v[8:9]
	v_add_f64_e32 v[48:49], 0, v[23:24]
	v_dual_mov_b32 v65, v9 :: v_dual_mov_b32 v64, v8
	s_delay_alu instid0(VALU_DEP_3) | instskip(NEXT) | instid1(VALU_DEP_3)
	v_ashrrev_i32_e32 v39, 31, v26
	v_ashrrev_i32_e32 v50, 31, v49
	s_delay_alu instid0(VALU_DEP_2) | instskip(NEXT) | instid1(VALU_DEP_2)
	v_or_b32_e32 v51, 0x80000000, v39
	v_or_b32_e32 v54, 0x80000000, v50
	v_xor_b32_e32 v25, v39, v25
	v_xor_b32_e32 v48, v50, v48
	s_delay_alu instid0(VALU_DEP_4) | instskip(NEXT) | instid1(VALU_DEP_4)
	v_xor_b32_e32 v26, v51, v26
	v_xor_b32_e32 v49, v54, v49
	s_delay_alu instid0(VALU_DEP_1)
	v_cmp_gt_u64_e64 s7, v[25:26], v[48:49]
	v_dual_mov_b32 v49, v28 :: v_dual_mov_b32 v48, v27
	s_and_saveexec_b32 s9, s7
; %bb.43:
	v_dual_mov_b32 v65, v24 :: v_dual_mov_b32 v64, v23
	v_dual_mov_b32 v24, v9 :: v_dual_mov_b32 v23, v8
	;; [unrolled: 1-line block ×4, first 2 shown]
; %bb.44:
	s_wait_alu 0xfffe
	s_or_b32 exec_lo, exec_lo, s9
	v_add_f64_e32 v[8:9], 0, v[35:36]
	v_add_f64_e32 v[25:26], 0, v[52:53]
	v_dual_mov_b32 v55, v53 :: v_dual_mov_b32 v54, v52
	s_delay_alu instid0(VALU_DEP_3) | instskip(NEXT) | instid1(VALU_DEP_3)
	v_ashrrev_i32_e32 v27, 31, v9
	v_ashrrev_i32_e32 v28, 31, v26
	s_delay_alu instid0(VALU_DEP_2) | instskip(NEXT) | instid1(VALU_DEP_2)
	v_or_b32_e32 v39, 0x80000000, v27
	v_or_b32_e32 v50, 0x80000000, v28
	v_xor_b32_e32 v8, v27, v8
	v_xor_b32_e32 v25, v28, v25
	s_delay_alu instid0(VALU_DEP_4) | instskip(NEXT) | instid1(VALU_DEP_4)
	v_xor_b32_e32 v9, v39, v9
	v_xor_b32_e32 v26, v50, v26
	s_delay_alu instid0(VALU_DEP_1)
	v_cmp_gt_u64_e64 s7, v[8:9], v[25:26]
	v_dual_mov_b32 v26, v14 :: v_dual_mov_b32 v25, v13
	s_and_saveexec_b32 s9, s7
; %bb.45:
	v_dual_mov_b32 v25, v29 :: v_dual_mov_b32 v26, v30
	v_dual_mov_b32 v30, v14 :: v_dual_mov_b32 v29, v13
	;; [unrolled: 1-line block ×4, first 2 shown]
; %bb.46:
	s_wait_alu 0xfffe
	s_or_b32 exec_lo, exec_lo, s9
	v_add_f64_e32 v[8:9], 0, v[19:20]
	v_add_f64_e32 v[13:14], 0, v[31:32]
	s_delay_alu instid0(VALU_DEP_2) | instskip(NEXT) | instid1(VALU_DEP_2)
	v_ashrrev_i32_e32 v27, 31, v9
	v_ashrrev_i32_e32 v28, 31, v14
	s_delay_alu instid0(VALU_DEP_2) | instskip(NEXT) | instid1(VALU_DEP_2)
	v_or_b32_e32 v39, 0x80000000, v27
	v_or_b32_e32 v50, 0x80000000, v28
	v_xor_b32_e32 v8, v27, v8
	v_xor_b32_e32 v13, v28, v13
	s_delay_alu instid0(VALU_DEP_4) | instskip(NEXT) | instid1(VALU_DEP_4)
	v_xor_b32_e32 v9, v39, v9
	v_xor_b32_e32 v14, v50, v14
	v_dual_mov_b32 v51, v32 :: v_dual_mov_b32 v50, v31
	s_delay_alu instid0(VALU_DEP_2)
	v_cmp_gt_u64_e64 s7, v[8:9], v[13:14]
	v_dual_mov_b32 v9, v5 :: v_dual_mov_b32 v8, v4
	s_and_saveexec_b32 s9, s7
; %bb.47:
	v_dual_mov_b32 v8, v15 :: v_dual_mov_b32 v9, v16
	v_dual_mov_b32 v16, v5 :: v_dual_mov_b32 v15, v4
	;; [unrolled: 1-line block ×4, first 2 shown]
; %bb.48:
	s_wait_alu 0xfffe
	s_or_b32 exec_lo, exec_lo, s9
	v_add_f64_e32 v[4:5], 0, v[23:24]
	v_add_f64_e32 v[13:14], 0, v[21:22]
	s_delay_alu instid0(VALU_DEP_2) | instskip(NEXT) | instid1(VALU_DEP_2)
	v_ashrrev_i32_e32 v27, 31, v5
	v_ashrrev_i32_e32 v28, 31, v14
	s_delay_alu instid0(VALU_DEP_2) | instskip(NEXT) | instid1(VALU_DEP_2)
	v_or_b32_e32 v31, 0x80000000, v27
	v_or_b32_e32 v32, 0x80000000, v28
	v_xor_b32_e32 v4, v27, v4
	v_xor_b32_e32 v13, v28, v13
	s_delay_alu instid0(VALU_DEP_4) | instskip(NEXT) | instid1(VALU_DEP_4)
	v_xor_b32_e32 v5, v31, v5
	v_xor_b32_e32 v14, v32, v14
	v_dual_mov_b32 v31, v33 :: v_dual_mov_b32 v32, v34
	s_delay_alu instid0(VALU_DEP_2)
	v_cmp_gt_u64_e64 s7, v[4:5], v[13:14]
	v_dual_mov_b32 v4, v23 :: v_dual_mov_b32 v5, v24
	s_and_saveexec_b32 s9, s7
; %bb.49:
	v_dual_mov_b32 v4, v21 :: v_dual_mov_b32 v5, v22
	v_dual_mov_b32 v21, v23 :: v_dual_mov_b32 v22, v24
	;; [unrolled: 1-line block ×4, first 2 shown]
; %bb.50:
	s_wait_alu 0xfffe
	s_or_b32 exec_lo, exec_lo, s9
	v_add_f64_e32 v[13:14], 0, v[54:55]
	v_add_f64_e32 v[23:24], 0, v[64:65]
	v_dual_mov_b32 v67, v65 :: v_dual_mov_b32 v66, v64
	s_mov_b32 s9, exec_lo
	s_delay_alu instid0(VALU_DEP_3) | instskip(NEXT) | instid1(VALU_DEP_3)
	v_ashrrev_i32_e32 v27, 31, v14
	v_ashrrev_i32_e32 v28, 31, v24
	s_delay_alu instid0(VALU_DEP_2) | instskip(NEXT) | instid1(VALU_DEP_2)
	v_or_b32_e32 v33, 0x80000000, v27
	v_or_b32_e32 v34, 0x80000000, v28
	v_xor_b32_e32 v13, v27, v13
	v_xor_b32_e32 v23, v28, v23
	v_dual_mov_b32 v27, v29 :: v_dual_mov_b32 v28, v30
	v_xor_b32_e32 v14, v33, v14
	v_xor_b32_e32 v24, v34, v24
	s_delay_alu instid0(VALU_DEP_1)
	v_cmpx_gt_u64_e64 v[13:14], v[23:24]
; %bb.51:
	v_dual_mov_b32 v67, v55 :: v_dual_mov_b32 v66, v54
	v_dual_mov_b32 v27, v48 :: v_dual_mov_b32 v28, v49
	;; [unrolled: 1-line block ×4, first 2 shown]
; %bb.52:
	s_wait_alu 0xfffe
	s_or_b32 exec_lo, exec_lo, s9
	v_add_f64_e32 v[13:14], 0, v[50:51]
	v_add_f64_e32 v[23:24], 0, v[35:36]
	s_delay_alu instid0(VALU_DEP_2) | instskip(NEXT) | instid1(VALU_DEP_2)
	v_ashrrev_i32_e32 v29, 31, v14
	v_ashrrev_i32_e32 v30, 31, v24
	s_delay_alu instid0(VALU_DEP_2) | instskip(NEXT) | instid1(VALU_DEP_2)
	v_or_b32_e32 v33, 0x80000000, v29
	v_or_b32_e32 v34, 0x80000000, v30
	v_xor_b32_e32 v13, v29, v13
	v_xor_b32_e32 v23, v30, v23
	s_delay_alu instid0(VALU_DEP_4) | instskip(NEXT) | instid1(VALU_DEP_4)
	v_xor_b32_e32 v14, v33, v14
	v_xor_b32_e32 v24, v34, v24
	v_dual_mov_b32 v33, v35 :: v_dual_mov_b32 v34, v36
	s_delay_alu instid0(VALU_DEP_2)
	v_cmp_gt_u64_e64 s7, v[13:14], v[23:24]
	v_dual_mov_b32 v13, v15 :: v_dual_mov_b32 v14, v16
	s_and_saveexec_b32 s9, s7
; %bb.53:
	v_dual_mov_b32 v13, v25 :: v_dual_mov_b32 v14, v26
	v_dual_mov_b32 v26, v16 :: v_dual_mov_b32 v25, v15
	v_dual_mov_b32 v33, v50 :: v_dual_mov_b32 v34, v51
	v_dual_mov_b32 v51, v36 :: v_dual_mov_b32 v50, v35
; %bb.54:
	s_wait_alu 0xfffe
	s_or_b32 exec_lo, exec_lo, s9
	v_add_f64_e32 v[15:16], 0, v[21:22]
	v_add_f64_e32 v[23:24], 0, v[17:18]
	v_dual_mov_b32 v53, v38 :: v_dual_mov_b32 v52, v37
	s_delay_alu instid0(VALU_DEP_3) | instskip(NEXT) | instid1(VALU_DEP_3)
	v_ashrrev_i32_e32 v29, 31, v16
	v_ashrrev_i32_e32 v30, 31, v24
	s_delay_alu instid0(VALU_DEP_2) | instskip(NEXT) | instid1(VALU_DEP_2)
	v_or_b32_e32 v35, 0x80000000, v29
	v_or_b32_e32 v36, 0x80000000, v30
	v_xor_b32_e32 v15, v29, v15
	v_xor_b32_e32 v23, v30, v23
	s_delay_alu instid0(VALU_DEP_4) | instskip(NEXT) | instid1(VALU_DEP_4)
	v_xor_b32_e32 v16, v35, v16
	v_xor_b32_e32 v24, v36, v24
	s_delay_alu instid0(VALU_DEP_1)
	v_cmp_gt_u64_e64 s7, v[15:16], v[23:24]
	v_dual_mov_b32 v24, v22 :: v_dual_mov_b32 v23, v21
	s_and_saveexec_b32 s9, s7
; %bb.55:
	v_dual_mov_b32 v24, v18 :: v_dual_mov_b32 v23, v17
	v_dual_mov_b32 v17, v21 :: v_dual_mov_b32 v18, v22
	v_dual_mov_b32 v53, v1 :: v_dual_mov_b32 v52, v0
	v_dual_mov_b32 v0, v37 :: v_dual_mov_b32 v1, v38
; %bb.56:
	s_wait_alu 0xfffe
	s_or_b32 exec_lo, exec_lo, s9
	v_add_f64_e32 v[15:16], 0, v[66:67]
	v_add_f64_e32 v[21:22], 0, v[4:5]
	v_dual_mov_b32 v38, v48 :: v_dual_mov_b32 v39, v49
	s_delay_alu instid0(VALU_DEP_3) | instskip(NEXT) | instid1(VALU_DEP_3)
	v_ashrrev_i32_e32 v29, 31, v16
	v_ashrrev_i32_e32 v30, 31, v22
	s_delay_alu instid0(VALU_DEP_2) | instskip(NEXT) | instid1(VALU_DEP_2)
	v_or_b32_e32 v35, 0x80000000, v29
	v_or_b32_e32 v36, 0x80000000, v30
	v_xor_b32_e32 v15, v29, v15
	v_xor_b32_e32 v21, v30, v21
	s_delay_alu instid0(VALU_DEP_4) | instskip(NEXT) | instid1(VALU_DEP_4)
	v_xor_b32_e32 v16, v35, v16
	v_xor_b32_e32 v22, v36, v22
	s_delay_alu instid0(VALU_DEP_1)
	;; [unrolled: 26-line block ×4, first 2 shown]
	v_cmp_gt_u64_e64 s7, v[15:16], v[25:26]
	v_dual_mov_b32 v16, v9 :: v_dual_mov_b32 v15, v8
	s_and_saveexec_b32 s9, s7
; %bb.61:
	v_dual_mov_b32 v16, v14 :: v_dual_mov_b32 v15, v13
	v_dual_mov_b32 v14, v9 :: v_dual_mov_b32 v13, v8
	;; [unrolled: 1-line block ×4, first 2 shown]
; %bb.62:
	s_wait_alu 0xfffe
	s_or_b32 exec_lo, exec_lo, s9
	v_add_f64_e32 v[8:9], 0, v[4:5]
	v_add_f64_e32 v[25:26], 0, v[23:24]
	v_dual_mov_b32 v51, v32 :: v_dual_mov_b32 v50, v31
	s_mov_b32 s9, exec_lo
	s_delay_alu instid0(VALU_DEP_3) | instskip(NEXT) | instid1(VALU_DEP_3)
	v_ashrrev_i32_e32 v35, 31, v9
	v_ashrrev_i32_e32 v36, 31, v26
	s_delay_alu instid0(VALU_DEP_2) | instskip(NEXT) | instid1(VALU_DEP_2)
	v_or_b32_e32 v37, 0x80000000, v35
	v_or_b32_e32 v48, 0x80000000, v36
	v_xor_b32_e32 v8, v35, v8
	v_xor_b32_e32 v25, v36, v25
	s_delay_alu instid0(VALU_DEP_4) | instskip(NEXT) | instid1(VALU_DEP_4)
	v_xor_b32_e32 v9, v37, v9
	v_xor_b32_e32 v26, v48, v26
	v_dual_mov_b32 v37, v5 :: v_dual_mov_b32 v36, v4
	s_delay_alu instid0(VALU_DEP_2)
	v_cmpx_gt_u64_e64 v[8:9], v[25:26]
; %bb.63:
	v_dual_mov_b32 v37, v24 :: v_dual_mov_b32 v36, v23
	v_dual_mov_b32 v24, v5 :: v_dual_mov_b32 v23, v4
	;; [unrolled: 1-line block ×4, first 2 shown]
; %bb.64:
	s_wait_alu 0xfffe
	s_or_b32 exec_lo, exec_lo, s9
	v_add_f64_e32 v[4:5], 0, v[64:65]
	v_add_f64_e32 v[8:9], 0, v[21:22]
	v_dual_mov_b32 v49, v28 :: v_dual_mov_b32 v48, v27
	s_delay_alu instid0(VALU_DEP_3) | instskip(NEXT) | instid1(VALU_DEP_3)
	v_ashrrev_i32_e32 v25, 31, v5
	v_ashrrev_i32_e32 v26, 31, v9
	s_delay_alu instid0(VALU_DEP_2) | instskip(NEXT) | instid1(VALU_DEP_2)
	v_or_b32_e32 v31, 0x80000000, v25
	v_or_b32_e32 v32, 0x80000000, v26
	v_xor_b32_e32 v4, v25, v4
	v_xor_b32_e32 v8, v26, v8
	s_delay_alu instid0(VALU_DEP_4) | instskip(NEXT) | instid1(VALU_DEP_4)
	v_xor_b32_e32 v5, v31, v5
	v_xor_b32_e32 v9, v32, v9
	s_delay_alu instid0(VALU_DEP_1)
	v_cmp_gt_u64_e64 s7, v[4:5], v[8:9]
	v_dual_mov_b32 v8, v21 :: v_dual_mov_b32 v9, v22
	s_and_saveexec_b32 s9, s7
; %bb.65:
	v_dual_mov_b32 v8, v64 :: v_dual_mov_b32 v9, v65
	v_dual_mov_b32 v49, v39 :: v_dual_mov_b32 v48, v38
	;; [unrolled: 1-line block ×4, first 2 shown]
; %bb.66:
	s_wait_alu 0xfffe
	s_or_b32 exec_lo, exec_lo, s9
	v_add_f64_e32 v[4:5], 0, v[54:55]
	v_add_f64_e32 v[21:22], 0, v[33:34]
	s_delay_alu instid0(VALU_DEP_2) | instskip(NEXT) | instid1(VALU_DEP_2)
	v_ashrrev_i32_e32 v25, 31, v5
	v_ashrrev_i32_e32 v26, 31, v22
	s_delay_alu instid0(VALU_DEP_2) | instskip(NEXT) | instid1(VALU_DEP_2)
	v_or_b32_e32 v27, 0x80000000, v25
	v_or_b32_e32 v28, 0x80000000, v26
	v_xor_b32_e32 v4, v25, v4
	v_xor_b32_e32 v21, v26, v21
	v_dual_mov_b32 v25, v33 :: v_dual_mov_b32 v26, v34
	v_xor_b32_e32 v5, v27, v5
	v_xor_b32_e32 v22, v28, v22
	s_delay_alu instid0(VALU_DEP_1)
	v_cmp_gt_u64_e64 s7, v[4:5], v[21:22]
	v_dual_mov_b32 v22, v14 :: v_dual_mov_b32 v21, v13
	s_and_saveexec_b32 s9, s7
; %bb.67:
	v_dual_mov_b32 v21, v29 :: v_dual_mov_b32 v22, v30
	v_dual_mov_b32 v30, v14 :: v_dual_mov_b32 v29, v13
	v_dual_mov_b32 v25, v54 :: v_dual_mov_b32 v26, v55
	v_dual_mov_b32 v55, v34 :: v_dual_mov_b32 v54, v33
; %bb.68:
	s_wait_alu 0xfffe
	s_or_b32 exec_lo, exec_lo, s9
	v_add_f64_e32 v[4:5], 0, v[23:24]
	v_add_f64_e32 v[13:14], 0, v[17:18]
	s_delay_alu instid0(VALU_DEP_2) | instskip(NEXT) | instid1(VALU_DEP_2)
	v_ashrrev_i32_e32 v27, 31, v5
	v_ashrrev_i32_e32 v28, 31, v14
	s_delay_alu instid0(VALU_DEP_2) | instskip(NEXT) | instid1(VALU_DEP_2)
	v_or_b32_e32 v31, 0x80000000, v27
	v_or_b32_e32 v32, 0x80000000, v28
	v_xor_b32_e32 v4, v27, v4
	v_xor_b32_e32 v13, v28, v13
	v_dual_mov_b32 v28, v24 :: v_dual_mov_b32 v27, v23
	v_xor_b32_e32 v5, v31, v5
	v_xor_b32_e32 v14, v32, v14
	s_delay_alu instid0(VALU_DEP_1)
	v_cmp_gt_u64_e64 s7, v[4:5], v[13:14]
	v_dual_mov_b32 v4, v52 :: v_dual_mov_b32 v5, v53
	s_and_saveexec_b32 s9, s7
; %bb.69:
	v_dual_mov_b32 v28, v18 :: v_dual_mov_b32 v27, v17
	v_dual_mov_b32 v17, v23 :: v_dual_mov_b32 v18, v24
	;; [unrolled: 1-line block ×4, first 2 shown]
; %bb.70:
	s_wait_alu 0xfffe
	s_or_b32 exec_lo, exec_lo, s9
	v_add_f64_e32 v[13:14], 0, v[8:9]
	v_add_f64_e32 v[23:24], 0, v[36:37]
	s_delay_alu instid0(VALU_DEP_2) | instskip(NEXT) | instid1(VALU_DEP_2)
	v_ashrrev_i32_e32 v31, 31, v14
	v_ashrrev_i32_e32 v32, 31, v24
	s_delay_alu instid0(VALU_DEP_2) | instskip(NEXT) | instid1(VALU_DEP_2)
	v_or_b32_e32 v33, 0x80000000, v31
	v_or_b32_e32 v34, 0x80000000, v32
	v_xor_b32_e32 v13, v31, v13
	v_xor_b32_e32 v23, v32, v23
	s_delay_alu instid0(VALU_DEP_4) | instskip(NEXT) | instid1(VALU_DEP_4)
	v_xor_b32_e32 v14, v33, v14
	v_xor_b32_e32 v24, v34, v24
	s_delay_alu instid0(VALU_DEP_1)
	v_cmp_gt_u64_e64 s7, v[13:14], v[23:24]
	v_dual_mov_b32 v24, v9 :: v_dual_mov_b32 v23, v8
	v_dual_mov_b32 v13, v38 :: v_dual_mov_b32 v14, v39
	s_and_saveexec_b32 s9, s7
; %bb.71:
	v_dual_mov_b32 v23, v36 :: v_dual_mov_b32 v24, v37
	v_dual_mov_b32 v37, v9 :: v_dual_mov_b32 v36, v8
	;; [unrolled: 1-line block ×4, first 2 shown]
; %bb.72:
	s_wait_alu 0xfffe
	s_or_b32 exec_lo, exec_lo, s9
	v_add_f64_e32 v[8:9], 0, v[25:26]
	v_add_f64_e32 v[31:32], 0, v[64:65]
	v_dual_mov_b32 v53, v30 :: v_dual_mov_b32 v52, v29
	s_delay_alu instid0(VALU_DEP_3) | instskip(NEXT) | instid1(VALU_DEP_3)
	v_ashrrev_i32_e32 v33, 31, v9
	v_ashrrev_i32_e32 v34, 31, v32
	s_delay_alu instid0(VALU_DEP_2) | instskip(NEXT) | instid1(VALU_DEP_2)
	v_or_b32_e32 v35, 0x80000000, v33
	v_or_b32_e32 v38, 0x80000000, v34
	v_xor_b32_e32 v8, v33, v8
	v_xor_b32_e32 v31, v34, v31
	s_delay_alu instid0(VALU_DEP_4) | instskip(NEXT) | instid1(VALU_DEP_4)
	v_xor_b32_e32 v9, v35, v9
	v_xor_b32_e32 v32, v38, v32
	s_delay_alu instid0(VALU_DEP_1)
	v_cmp_gt_u64_e64 s7, v[8:9], v[31:32]
	v_dual_mov_b32 v32, v64 :: v_dual_mov_b32 v33, v65
	s_and_saveexec_b32 s9, s7
; %bb.73:
	v_dual_mov_b32 v53, v49 :: v_dual_mov_b32 v52, v48
	v_dual_mov_b32 v49, v30 :: v_dual_mov_b32 v48, v29
	;; [unrolled: 1-line block ×4, first 2 shown]
; %bb.74:
	s_wait_alu 0xfffe
	s_or_b32 exec_lo, exec_lo, s9
	v_add_f64_e32 v[8:9], 0, v[19:20]
	v_add_f64_e32 v[29:30], 0, v[54:55]
	v_dual_mov_b32 v65, v55 :: v_dual_mov_b32 v64, v54
	s_mov_b32 s9, exec_lo
	s_delay_alu instid0(VALU_DEP_3) | instskip(NEXT) | instid1(VALU_DEP_3)
	v_ashrrev_i32_e32 v31, 31, v9
	v_ashrrev_i32_e32 v34, 31, v30
	s_delay_alu instid0(VALU_DEP_2) | instskip(NEXT) | instid1(VALU_DEP_2)
	v_or_b32_e32 v35, 0x80000000, v31
	v_or_b32_e32 v38, 0x80000000, v34
	v_xor_b32_e32 v8, v31, v8
	v_xor_b32_e32 v29, v34, v29
	s_delay_alu instid0(VALU_DEP_4) | instskip(NEXT) | instid1(VALU_DEP_4)
	v_xor_b32_e32 v9, v35, v9
	v_xor_b32_e32 v30, v38, v30
	v_dual_mov_b32 v35, v16 :: v_dual_mov_b32 v34, v15
	s_delay_alu instid0(VALU_DEP_2)
	v_cmpx_gt_u64_e64 v[8:9], v[29:30]
; %bb.75:
	v_dual_mov_b32 v35, v22 :: v_dual_mov_b32 v34, v21
	v_dual_mov_b32 v22, v16 :: v_dual_mov_b32 v21, v15
	;; [unrolled: 1-line block ×4, first 2 shown]
; %bb.76:
	s_wait_alu 0xfffe
	s_or_b32 exec_lo, exec_lo, s9
	v_add_f64_e32 v[8:9], 0, v[36:37]
	v_add_f64_e32 v[15:16], 0, v[27:28]
	s_delay_alu instid0(VALU_DEP_2) | instskip(NEXT) | instid1(VALU_DEP_2)
	v_ashrrev_i32_e32 v29, 31, v9
	v_ashrrev_i32_e32 v30, 31, v16
	s_delay_alu instid0(VALU_DEP_2) | instskip(NEXT) | instid1(VALU_DEP_2)
	v_or_b32_e32 v31, 0x80000000, v29
	v_or_b32_e32 v38, 0x80000000, v30
	v_xor_b32_e32 v8, v29, v8
	v_xor_b32_e32 v15, v30, v15
	v_dual_mov_b32 v29, v36 :: v_dual_mov_b32 v30, v37
	v_xor_b32_e32 v9, v31, v9
	v_xor_b32_e32 v16, v38, v16
	s_delay_alu instid0(VALU_DEP_1)
	v_cmp_gt_u64_e64 s7, v[8:9], v[15:16]
	v_dual_mov_b32 v8, v50 :: v_dual_mov_b32 v9, v51
	s_and_saveexec_b32 s9, s7
; %bb.77:
	v_dual_mov_b32 v30, v28 :: v_dual_mov_b32 v29, v27
	v_dual_mov_b32 v27, v36 :: v_dual_mov_b32 v28, v37
	;; [unrolled: 1-line block ×4, first 2 shown]
; %bb.78:
	s_wait_alu 0xfffe
	s_or_b32 exec_lo, exec_lo, s9
	v_add_f64_e32 v[15:16], 0, v[32:33]
	v_add_f64_e32 v[36:37], 0, v[23:24]
	s_delay_alu instid0(VALU_DEP_2) | instskip(NEXT) | instid1(VALU_DEP_2)
	v_ashrrev_i32_e32 v31, 31, v16
	v_ashrrev_i32_e32 v38, 31, v37
	s_delay_alu instid0(VALU_DEP_2) | instskip(NEXT) | instid1(VALU_DEP_2)
	v_or_b32_e32 v39, 0x80000000, v31
	v_or_b32_e32 v50, 0x80000000, v38
	v_xor_b32_e32 v15, v31, v15
	v_xor_b32_e32 v36, v38, v36
	s_delay_alu instid0(VALU_DEP_4) | instskip(NEXT) | instid1(VALU_DEP_4)
	v_xor_b32_e32 v16, v39, v16
	v_xor_b32_e32 v37, v50, v37
	v_dual_mov_b32 v39, v24 :: v_dual_mov_b32 v38, v23
	s_delay_alu instid0(VALU_DEP_2)
	v_cmp_gt_u64_e64 s7, v[15:16], v[36:37]
	v_dual_mov_b32 v15, v48 :: v_dual_mov_b32 v16, v49
	s_and_saveexec_b32 s9, s7
; %bb.79:
	v_dual_mov_b32 v39, v33 :: v_dual_mov_b32 v38, v32
	v_dual_mov_b32 v16, v14 :: v_dual_mov_b32 v15, v13
	;; [unrolled: 1-line block ×4, first 2 shown]
; %bb.80:
	s_wait_alu 0xfffe
	s_or_b32 exec_lo, exec_lo, s9
	v_add_f64_e32 v[23:24], 0, v[64:65]
	v_add_f64_e32 v[36:37], 0, v[25:26]
	s_delay_alu instid0(VALU_DEP_2) | instskip(NEXT) | instid1(VALU_DEP_2)
	v_ashrrev_i32_e32 v31, 31, v24
	v_ashrrev_i32_e32 v48, 31, v37
	s_delay_alu instid0(VALU_DEP_2) | instskip(NEXT) | instid1(VALU_DEP_2)
	v_or_b32_e32 v49, 0x80000000, v31
	v_or_b32_e32 v50, 0x80000000, v48
	v_xor_b32_e32 v23, v31, v23
	v_xor_b32_e32 v36, v48, v36
	s_delay_alu instid0(VALU_DEP_4) | instskip(NEXT) | instid1(VALU_DEP_4)
	v_xor_b32_e32 v24, v49, v24
	v_xor_b32_e32 v37, v50, v37
	s_delay_alu instid0(VALU_DEP_1)
	v_cmp_gt_u64_e64 s7, v[23:24], v[36:37]
	v_dual_mov_b32 v36, v64 :: v_dual_mov_b32 v37, v65
	v_dual_mov_b32 v23, v52 :: v_dual_mov_b32 v24, v53
	s_and_saveexec_b32 s9, s7
; %bb.81:
	v_dual_mov_b32 v37, v26 :: v_dual_mov_b32 v36, v25
	v_dual_mov_b32 v25, v64 :: v_dual_mov_b32 v26, v65
	;; [unrolled: 1-line block ×4, first 2 shown]
; %bb.82:
	s_wait_alu 0xfffe
	s_or_b32 exec_lo, exec_lo, s9
.LBB1133_83:
	s_wait_alu 0xfffe
	s_or_b32 exec_lo, exec_lo, s8
	v_and_b32_e32 v10, 0xffffff00, v10
	v_or_b32_e32 v31, 8, v80
	v_and_b32_e32 v49, 0xf0, v80
	s_mov_b32 s8, exec_lo
	s_delay_alu instid0(VALU_DEP_3) | instskip(SKIP_1) | instid1(VALU_DEP_2)
	v_sub_nc_u32_e64 v82, 0x800, v10 clamp
	v_lshlrev_b32_e32 v10, 3, v10
	v_min_u32_e32 v87, v82, v31
	v_and_b32_e32 v31, 8, v80
	s_delay_alu instid0(VALU_DEP_3)
	v_lshl_or_b32 v81, v80, 3, v10
	s_wait_loadcnt_dscnt 0x0
	ds_store_2addr_b64 v81, v[17:18], v[27:28] offset1:1
	ds_store_2addr_b64 v81, v[29:30], v[38:39] offset0:2 offset1:3
	v_add_nc_u32_e32 v48, 8, v87
	v_min_u32_e32 v50, v82, v31
	v_add_nc_u32_e32 v83, 0x4000, v81
	v_add_nc_u32_e32 v84, 0x4010, v81
	;; [unrolled: 1-line block ×3, first 2 shown]
	v_min_u32_e32 v96, v82, v48
	v_sub_nc_u32_e32 v48, v87, v49
	v_add_nc_u32_e32 v86, 0x4030, v81
	ds_store_2addr_b64 v83, v[0:1], v[4:5] offset1:1
	ds_store_2addr_b64 v84, v[8:9], v[13:14] offset1:1
	ds_store_2addr_b64 v81, v[32:33], v[25:26] offset0:4 offset1:5
	ds_store_2addr_b64 v81, v[36:37], v[19:20] offset0:6 offset1:7
	v_sub_nc_u32_e32 v31, v96, v87
	v_min_u32_e32 v51, v50, v48
	v_lshl_or_b32 v48, v49, 3, v10
	ds_store_2addr_b64 v85, v[15:16], v[23:24] offset1:1
	ds_store_2addr_b64 v86, v[21:22], v[34:35] offset1:1
	v_sub_nc_u32_e64 v31, v50, v31 clamp
	; wave barrier
	s_delay_alu instid0(VALU_DEP_1)
	v_cmpx_lt_u32_e64 v31, v51
	s_cbranch_execz .LBB1133_87
; %bb.84:
	v_lshlrev_b32_e32 v52, 3, v87
	v_lshlrev_b32_e32 v53, 3, v50
	s_mov_b32 s9, 0
	s_delay_alu instid0(VALU_DEP_1)
	v_add3_u32 v52, v10, v52, v53
.LBB1133_85:                            ; =>This Inner Loop Header: Depth=1
	v_add_nc_u32_e32 v53, v51, v31
	s_delay_alu instid0(VALU_DEP_1) | instskip(NEXT) | instid1(VALU_DEP_1)
	v_lshrrev_b32_e32 v55, 1, v53
	v_not_b32_e32 v53, v55
	v_lshl_add_u32 v54, v55, 3, v48
	s_delay_alu instid0(VALU_DEP_2)
	v_lshl_add_u32 v64, v53, 3, v52
	ds_load_b64 v[53:54], v54
	ds_load_b64 v[64:65], v64
	s_wait_dscnt 0x1
	v_add_f64_e32 v[53:54], 0, v[53:54]
	s_wait_dscnt 0x0
	v_add_f64_e32 v[64:65], 0, v[64:65]
	s_delay_alu instid0(VALU_DEP_2) | instskip(NEXT) | instid1(VALU_DEP_2)
	v_ashrrev_i32_e32 v66, 31, v54
	v_ashrrev_i32_e32 v67, 31, v65
	s_delay_alu instid0(VALU_DEP_2) | instskip(NEXT) | instid1(VALU_DEP_2)
	v_or_b32_e32 v68, 0x80000000, v66
	v_or_b32_e32 v69, 0x80000000, v67
	v_xor_b32_e32 v53, v66, v53
	v_xor_b32_e32 v64, v67, v64
	s_delay_alu instid0(VALU_DEP_4) | instskip(NEXT) | instid1(VALU_DEP_4)
	v_xor_b32_e32 v54, v68, v54
	v_xor_b32_e32 v65, v69, v65
	s_delay_alu instid0(VALU_DEP_1) | instskip(SKIP_2) | instid1(VALU_DEP_2)
	v_cmp_gt_u64_e64 s7, v[64:65], v[53:54]
	v_add_nc_u32_e32 v53, 1, v55
	s_wait_alu 0xf1ff
	v_cndmask_b32_e64 v51, v51, v55, s7
	s_delay_alu instid0(VALU_DEP_2) | instskip(NEXT) | instid1(VALU_DEP_1)
	v_cndmask_b32_e64 v31, v53, v31, s7
	v_cmp_ge_u32_e64 s7, v31, v51
	s_wait_alu 0xfffe
	s_or_b32 s9, s7, s9
	s_wait_alu 0xfffe
	s_and_not1_b32 exec_lo, exec_lo, s9
	s_cbranch_execnz .LBB1133_85
; %bb.86:
	s_or_b32 exec_lo, exec_lo, s9
.LBB1133_87:
	s_wait_alu 0xfffe
	s_or_b32 exec_lo, exec_lo, s8
	v_add_nc_u32_e32 v50, v87, v50
	v_add_nc_u32_e32 v49, v31, v49
	s_delay_alu instid0(VALU_DEP_2) | instskip(NEXT) | instid1(VALU_DEP_2)
	v_sub_nc_u32_e32 v50, v50, v31
	v_cmp_le_u32_e64 s7, v49, v87
	s_delay_alu instid0(VALU_DEP_2)
	v_cmp_le_u32_e64 s8, v50, v96
	s_or_b32 s7, s7, s8
	s_wait_alu 0xfffe
	s_and_saveexec_b32 s9, s7
	s_cbranch_execz .LBB1133_123
; %bb.88:
	v_cmp_ge_u32_e64 s7, v49, v87
	s_mov_b32 s10, exec_lo
                                        ; implicit-def: $vgpr17_vgpr18
	v_cmpx_lt_u32_e64 v49, v87
; %bb.89:
	v_lshl_add_u32 v0, v31, 3, v48
	ds_load_b64 v[17:18], v0
; %bb.90:
	s_wait_alu 0xfffe
	s_or_b32 exec_lo, exec_lo, s10
	v_cmp_ge_u32_e64 s10, v50, v96
	s_mov_b32 s11, exec_lo
                                        ; implicit-def: $vgpr19_vgpr20
	v_cmpx_lt_u32_e64 v50, v96
; %bb.91:
	v_lshl_add_u32 v0, v50, 3, v10
	ds_load_b64 v[19:20], v0
; %bb.92:
	s_wait_alu 0xfffe
	s_or_b32 exec_lo, exec_lo, s11
	s_nor_b32 s7, s7, s10
	s_wait_alu 0xfffe
	s_and_saveexec_b32 s8, s7
	s_cbranch_execz .LBB1133_94
; %bb.93:
	s_wait_dscnt 0x0
	v_add_f64_e32 v[0:1], 0, v[19:20]
	v_add_f64_e32 v[4:5], 0, v[17:18]
	s_and_not1_b32 s10, s10, exec_lo
	s_delay_alu instid0(VALU_DEP_2) | instskip(NEXT) | instid1(VALU_DEP_2)
	v_ashrrev_i32_e32 v8, 31, v1
	v_ashrrev_i32_e32 v9, 31, v5
	s_delay_alu instid0(VALU_DEP_2) | instskip(NEXT) | instid1(VALU_DEP_2)
	v_or_b32_e32 v13, 0x80000000, v8
	v_or_b32_e32 v14, 0x80000000, v9
	v_xor_b32_e32 v0, v8, v0
	v_xor_b32_e32 v4, v9, v4
	s_delay_alu instid0(VALU_DEP_4) | instskip(NEXT) | instid1(VALU_DEP_4)
	v_xor_b32_e32 v1, v13, v1
	v_xor_b32_e32 v5, v14, v5
	s_delay_alu instid0(VALU_DEP_1)
	v_cmp_le_u64_e64 s7, v[0:1], v[4:5]
	s_and_b32 s7, s7, exec_lo
	s_wait_alu 0xfffe
	s_or_b32 s10, s10, s7
.LBB1133_94:
	s_wait_alu 0xfffe
	s_or_b32 exec_lo, exec_lo, s8
	v_cndmask_b32_e64 v0, v50, v49, s10
	v_cndmask_b32_e64 v1, v96, v87, s10
	s_mov_b32 s11, -1
	s_mov_b32 s8, -1
	s_mov_b32 s12, exec_lo
	v_add_nc_u32_e32 v9, 1, v0
	v_add_nc_u32_e32 v1, -1, v1
	v_lshl_add_u32 v0, v0, 3, v10
	s_delay_alu instid0(VALU_DEP_3) | instskip(NEXT) | instid1(VALU_DEP_3)
	v_cndmask_b32_e64 v8, v9, v50, s10
	v_min_u32_e32 v1, v9, v1
	v_cndmask_b32_e64 v9, v49, v9, s10
	s_delay_alu instid0(VALU_DEP_2)
	v_lshl_add_u32 v1, v1, 3, v10
	ds_load_b64 v[4:5], v1
	ds_load_b64 v[0:1], v0 offset:16384
	s_wait_dscnt 0x1
	v_cndmask_b32_e64 v28, v5, v20, s10
	v_cndmask_b32_e64 v27, v4, v19, s10
	;; [unrolled: 1-line block ×4, first 2 shown]
	v_cmpx_lt_u32_e64 v8, v96
	s_cbranch_execz .LBB1133_98
; %bb.95:
	s_mov_b32 s13, 0
	s_mov_b32 s8, exec_lo
	v_cmpx_lt_u32_e64 v9, v87
	s_cbranch_execz .LBB1133_97
; %bb.96:
	v_add_f64_e32 v[4:5], 0, v[27:28]
	v_add_f64_e32 v[13:14], 0, v[48:49]
	s_delay_alu instid0(VALU_DEP_2) | instskip(NEXT) | instid1(VALU_DEP_2)
	v_ashrrev_i32_e32 v15, 31, v5
	v_ashrrev_i32_e32 v16, 31, v14
	s_delay_alu instid0(VALU_DEP_2) | instskip(NEXT) | instid1(VALU_DEP_2)
	v_or_b32_e32 v21, 0x80000000, v15
	v_or_b32_e32 v22, 0x80000000, v16
	v_xor_b32_e32 v4, v15, v4
	v_xor_b32_e32 v13, v16, v13
	s_delay_alu instid0(VALU_DEP_4) | instskip(NEXT) | instid1(VALU_DEP_4)
	v_xor_b32_e32 v5, v21, v5
	v_xor_b32_e32 v14, v22, v14
	s_delay_alu instid0(VALU_DEP_1)
	v_cmp_le_u64_e64 s7, v[4:5], v[13:14]
	s_and_b32 s13, s7, exec_lo
.LBB1133_97:
	s_wait_alu 0xfffe
	s_or_b32 exec_lo, exec_lo, s8
	s_delay_alu instid0(SALU_CYCLE_1)
	s_or_not1_b32 s8, s13, exec_lo
.LBB1133_98:
	s_wait_alu 0xfffe
	s_or_b32 exec_lo, exec_lo, s12
	v_cndmask_b32_e64 v4, v8, v9, s8
	v_cndmask_b32_e64 v5, v96, v87, s8
	s_mov_b32 s12, exec_lo
	s_delay_alu instid0(VALU_DEP_2) | instskip(NEXT) | instid1(VALU_DEP_2)
	v_add_nc_u32_e32 v14, 1, v4
	v_add_nc_u32_e32 v5, -1, v5
	v_lshl_add_u32 v4, v4, 3, v10
	s_delay_alu instid0(VALU_DEP_3) | instskip(NEXT) | instid1(VALU_DEP_3)
	v_cndmask_b32_e64 v13, v14, v8, s8
	v_min_u32_e32 v5, v14, v5
	v_cndmask_b32_e64 v14, v9, v14, s8
	s_delay_alu instid0(VALU_DEP_2)
	v_lshl_add_u32 v5, v5, 3, v10
	ds_load_b64 v[15:16], v5
	ds_load_b64 v[4:5], v4 offset:16384
	s_wait_dscnt 0x1
	v_cndmask_b32_e64 v30, v16, v28, s8
	v_cndmask_b32_e64 v29, v15, v27, s8
	;; [unrolled: 1-line block ×4, first 2 shown]
	v_cmpx_lt_u32_e64 v13, v96
	s_cbranch_execz .LBB1133_102
; %bb.99:
	s_mov_b32 s13, 0
	s_mov_b32 s11, exec_lo
	v_cmpx_lt_u32_e64 v14, v87
	s_cbranch_execz .LBB1133_101
; %bb.100:
	v_add_f64_e32 v[8:9], 0, v[29:30]
	v_add_f64_e32 v[15:16], 0, v[50:51]
	s_delay_alu instid0(VALU_DEP_2) | instskip(NEXT) | instid1(VALU_DEP_2)
	v_ashrrev_i32_e32 v21, 31, v9
	v_ashrrev_i32_e32 v22, 31, v16
	s_delay_alu instid0(VALU_DEP_2) | instskip(NEXT) | instid1(VALU_DEP_2)
	v_or_b32_e32 v23, 0x80000000, v21
	v_or_b32_e32 v24, 0x80000000, v22
	v_xor_b32_e32 v8, v21, v8
	v_xor_b32_e32 v15, v22, v15
	s_delay_alu instid0(VALU_DEP_4) | instskip(NEXT) | instid1(VALU_DEP_4)
	v_xor_b32_e32 v9, v23, v9
	v_xor_b32_e32 v16, v24, v16
	s_delay_alu instid0(VALU_DEP_1)
	v_cmp_le_u64_e64 s7, v[8:9], v[15:16]
	s_and_b32 s13, s7, exec_lo
.LBB1133_101:
	s_wait_alu 0xfffe
	s_or_b32 exec_lo, exec_lo, s11
	s_delay_alu instid0(SALU_CYCLE_1)
	s_or_not1_b32 s11, s13, exec_lo
.LBB1133_102:
	s_wait_alu 0xfffe
	s_or_b32 exec_lo, exec_lo, s12
	v_cndmask_b32_e64 v8, v13, v14, s11
	v_cndmask_b32_e64 v9, v96, v87, s11
	s_mov_b32 s13, -1
	s_mov_b32 s12, -1
	s_mov_b32 s14, exec_lo
	v_add_nc_u32_e32 v16, 1, v8
	v_add_nc_u32_e32 v9, -1, v9
	v_lshl_add_u32 v8, v8, 3, v10
	s_delay_alu instid0(VALU_DEP_3) | instskip(NEXT) | instid1(VALU_DEP_3)
	v_cndmask_b32_e64 v15, v16, v13, s11
	v_min_u32_e32 v9, v16, v9
	v_cndmask_b32_e64 v16, v14, v16, s11
	s_delay_alu instid0(VALU_DEP_2)
	v_lshl_add_u32 v9, v9, 3, v10
	ds_load_b64 v[21:22], v9
	ds_load_b64 v[8:9], v8 offset:16384
	s_wait_dscnt 0x1
	v_cndmask_b32_e64 v39, v22, v30, s11
	v_cndmask_b32_e64 v38, v21, v29, s11
	;; [unrolled: 1-line block ×4, first 2 shown]
	v_cmpx_lt_u32_e64 v15, v96
	s_cbranch_execz .LBB1133_106
; %bb.103:
	s_mov_b32 s15, 0
	s_mov_b32 s12, exec_lo
	v_cmpx_lt_u32_e64 v16, v87
	s_cbranch_execz .LBB1133_105
; %bb.104:
	v_add_f64_e32 v[13:14], 0, v[38:39]
	v_add_f64_e32 v[21:22], 0, v[52:53]
	s_delay_alu instid0(VALU_DEP_2) | instskip(NEXT) | instid1(VALU_DEP_2)
	v_ashrrev_i32_e32 v23, 31, v14
	v_ashrrev_i32_e32 v24, 31, v22
	s_delay_alu instid0(VALU_DEP_2) | instskip(NEXT) | instid1(VALU_DEP_2)
	v_or_b32_e32 v25, 0x80000000, v23
	v_or_b32_e32 v26, 0x80000000, v24
	v_xor_b32_e32 v13, v23, v13
	v_xor_b32_e32 v21, v24, v21
	s_delay_alu instid0(VALU_DEP_4) | instskip(NEXT) | instid1(VALU_DEP_4)
	v_xor_b32_e32 v14, v25, v14
	v_xor_b32_e32 v22, v26, v22
	s_delay_alu instid0(VALU_DEP_1)
	v_cmp_le_u64_e64 s7, v[13:14], v[21:22]
	s_and_b32 s15, s7, exec_lo
.LBB1133_105:
	s_wait_alu 0xfffe
	s_or_b32 exec_lo, exec_lo, s12
	s_delay_alu instid0(SALU_CYCLE_1)
	s_or_not1_b32 s12, s15, exec_lo
.LBB1133_106:
	s_wait_alu 0xfffe
	s_or_b32 exec_lo, exec_lo, s14
	v_cndmask_b32_e64 v13, v15, v16, s12
	v_cndmask_b32_e64 v14, v96, v87, s12
	s_mov_b32 s14, exec_lo
	s_delay_alu instid0(VALU_DEP_2) | instskip(NEXT) | instid1(VALU_DEP_2)
	v_add_nc_u32_e32 v22, 1, v13
	v_add_nc_u32_e32 v14, -1, v14
	v_lshl_add_u32 v13, v13, 3, v10
	s_delay_alu instid0(VALU_DEP_3) | instskip(NEXT) | instid1(VALU_DEP_3)
	v_cndmask_b32_e64 v21, v22, v15, s12
	v_min_u32_e32 v14, v22, v14
	v_cndmask_b32_e64 v22, v16, v22, s12
	s_delay_alu instid0(VALU_DEP_2)
	v_lshl_add_u32 v14, v14, 3, v10
	ds_load_b64 v[23:24], v14
	ds_load_b64 v[13:14], v13 offset:16384
	s_wait_dscnt 0x1
	v_cndmask_b32_e64 v32, v24, v39, s12
	v_cndmask_b32_e64 v31, v23, v38, s12
	;; [unrolled: 1-line block ×4, first 2 shown]
	v_cmpx_lt_u32_e64 v21, v96
	s_cbranch_execz .LBB1133_110
; %bb.107:
	s_mov_b32 s15, 0
	s_mov_b32 s13, exec_lo
	v_cmpx_lt_u32_e64 v22, v87
	s_cbranch_execz .LBB1133_109
; %bb.108:
	v_add_f64_e32 v[15:16], 0, v[31:32]
	v_add_f64_e32 v[23:24], 0, v[54:55]
	s_delay_alu instid0(VALU_DEP_2) | instskip(NEXT) | instid1(VALU_DEP_2)
	v_ashrrev_i32_e32 v25, 31, v16
	v_ashrrev_i32_e32 v26, 31, v24
	s_delay_alu instid0(VALU_DEP_2) | instskip(NEXT) | instid1(VALU_DEP_2)
	v_or_b32_e32 v33, 0x80000000, v25
	v_or_b32_e32 v34, 0x80000000, v26
	v_xor_b32_e32 v15, v25, v15
	v_xor_b32_e32 v23, v26, v23
	s_delay_alu instid0(VALU_DEP_4) | instskip(NEXT) | instid1(VALU_DEP_4)
	v_xor_b32_e32 v16, v33, v16
	v_xor_b32_e32 v24, v34, v24
	s_delay_alu instid0(VALU_DEP_1)
	v_cmp_le_u64_e64 s7, v[15:16], v[23:24]
	s_and_b32 s15, s7, exec_lo
.LBB1133_109:
	s_wait_alu 0xfffe
	s_or_b32 exec_lo, exec_lo, s13
	s_delay_alu instid0(SALU_CYCLE_1)
	s_or_not1_b32 s13, s15, exec_lo
.LBB1133_110:
	s_wait_alu 0xfffe
	s_or_b32 exec_lo, exec_lo, s14
	v_cndmask_b32_e64 v15, v21, v22, s13
	v_cndmask_b32_e64 v16, v96, v87, s13
	s_mov_b32 s15, -1
	s_mov_b32 s14, -1
	s_mov_b32 s16, exec_lo
	v_add_nc_u32_e32 v25, 1, v15
	v_add_nc_u32_e32 v16, -1, v16
	v_lshl_add_u32 v15, v15, 3, v10
	s_delay_alu instid0(VALU_DEP_3) | instskip(NEXT) | instid1(VALU_DEP_3)
	v_cndmask_b32_e64 v21, v25, v21, s13
	v_min_u32_e32 v16, v25, v16
	v_cndmask_b32_e64 v22, v22, v25, s13
	s_delay_alu instid0(VALU_DEP_2)
	v_lshl_add_u32 v16, v16, 3, v10
	ds_load_b64 v[23:24], v16
	ds_load_b64 v[15:16], v15 offset:16384
	s_wait_dscnt 0x1
	v_cndmask_b32_e64 v26, v24, v32, s13
	v_cndmask_b32_e64 v25, v23, v31, s13
	;; [unrolled: 1-line block ×4, first 2 shown]
	v_cmpx_lt_u32_e64 v21, v96
	s_cbranch_execz .LBB1133_114
; %bb.111:
	s_mov_b32 s17, 0
	s_mov_b32 s14, exec_lo
	v_cmpx_lt_u32_e64 v22, v87
	s_cbranch_execz .LBB1133_113
; %bb.112:
	v_add_f64_e32 v[23:24], 0, v[25:26]
	v_add_f64_e32 v[33:34], 0, v[64:65]
	s_delay_alu instid0(VALU_DEP_2) | instskip(NEXT) | instid1(VALU_DEP_2)
	v_ashrrev_i32_e32 v35, 31, v24
	v_ashrrev_i32_e32 v36, 31, v34
	s_delay_alu instid0(VALU_DEP_2) | instskip(NEXT) | instid1(VALU_DEP_2)
	v_or_b32_e32 v37, 0x80000000, v35
	v_or_b32_e32 v66, 0x80000000, v36
	v_xor_b32_e32 v23, v35, v23
	v_xor_b32_e32 v33, v36, v33
	s_delay_alu instid0(VALU_DEP_4) | instskip(NEXT) | instid1(VALU_DEP_4)
	v_xor_b32_e32 v24, v37, v24
	v_xor_b32_e32 v34, v66, v34
	s_delay_alu instid0(VALU_DEP_1)
	v_cmp_le_u64_e64 s7, v[23:24], v[33:34]
	s_and_b32 s17, s7, exec_lo
.LBB1133_113:
	s_wait_alu 0xfffe
	s_or_b32 exec_lo, exec_lo, s14
	s_delay_alu instid0(SALU_CYCLE_1)
	s_or_not1_b32 s14, s17, exec_lo
.LBB1133_114:
	s_wait_alu 0xfffe
	s_or_b32 exec_lo, exec_lo, s16
	v_cndmask_b32_e64 v23, v21, v22, s14
	v_cndmask_b32_e64 v24, v96, v87, s14
	s_mov_b32 s16, exec_lo
	s_delay_alu instid0(VALU_DEP_2) | instskip(NEXT) | instid1(VALU_DEP_2)
	v_add_nc_u32_e32 v33, 1, v23
	v_add_nc_u32_e32 v24, -1, v24
	v_lshl_add_u32 v23, v23, 3, v10
	s_delay_alu instid0(VALU_DEP_3) | instskip(NEXT) | instid1(VALU_DEP_3)
	v_cndmask_b32_e64 v35, v33, v21, s14
	v_min_u32_e32 v24, v33, v24
	v_cndmask_b32_e64 v66, v22, v33, s14
	s_delay_alu instid0(VALU_DEP_2)
	v_lshl_add_u32 v24, v24, 3, v10
	ds_load_b64 v[36:37], v24
	ds_load_b64 v[23:24], v23 offset:16384
	s_wait_dscnt 0x1
	v_cndmask_b32_e64 v34, v37, v26, s14
	v_cndmask_b32_e64 v33, v36, v25, s14
	;; [unrolled: 1-line block ×4, first 2 shown]
	v_cmpx_lt_u32_e64 v35, v96
	s_cbranch_execz .LBB1133_118
; %bb.115:
	s_mov_b32 s17, 0
	s_mov_b32 s15, exec_lo
	v_cmpx_lt_u32_e64 v66, v87
	s_cbranch_execz .LBB1133_117
; %bb.116:
	v_add_f64_e32 v[21:22], 0, v[33:34]
	v_add_f64_e32 v[67:68], 0, v[36:37]
	s_delay_alu instid0(VALU_DEP_2) | instskip(NEXT) | instid1(VALU_DEP_2)
	v_ashrrev_i32_e32 v69, 31, v22
	v_ashrrev_i32_e32 v97, 31, v68
	s_delay_alu instid0(VALU_DEP_2) | instskip(NEXT) | instid1(VALU_DEP_2)
	v_or_b32_e32 v98, 0x80000000, v69
	v_or_b32_e32 v99, 0x80000000, v97
	v_xor_b32_e32 v21, v69, v21
	v_xor_b32_e32 v67, v97, v67
	s_delay_alu instid0(VALU_DEP_4) | instskip(NEXT) | instid1(VALU_DEP_4)
	v_xor_b32_e32 v22, v98, v22
	v_xor_b32_e32 v68, v99, v68
	s_delay_alu instid0(VALU_DEP_1)
	v_cmp_le_u64_e64 s7, v[21:22], v[67:68]
	s_and_b32 s17, s7, exec_lo
.LBB1133_117:
	s_wait_alu 0xfffe
	s_or_b32 exec_lo, exec_lo, s15
	s_delay_alu instid0(SALU_CYCLE_1)
	s_or_not1_b32 s15, s17, exec_lo
.LBB1133_118:
	s_wait_alu 0xfffe
	s_or_b32 exec_lo, exec_lo, s16
	v_cndmask_b32_e64 v21, v35, v66, s15
	v_cndmask_b32_e64 v22, v96, v87, s15
	s_mov_b32 s16, -1
	s_mov_b32 s17, exec_lo
	s_delay_alu instid0(VALU_DEP_2) | instskip(NEXT) | instid1(VALU_DEP_2)
	v_add_nc_u32_e32 v67, 1, v21
	v_add_nc_u32_e32 v22, -1, v22
	v_lshl_add_u32 v21, v21, 3, v10
	s_delay_alu instid0(VALU_DEP_3) | instskip(NEXT) | instid1(VALU_DEP_3)
	v_cndmask_b32_e64 v35, v67, v35, s15
	v_min_u32_e32 v22, v67, v22
	v_cndmask_b32_e64 v97, v66, v67, s15
	s_delay_alu instid0(VALU_DEP_2)
	v_lshl_add_u32 v22, v22, 3, v10
	ds_load_b64 v[68:69], v22
	ds_load_b64 v[21:22], v21 offset:16384
	s_wait_dscnt 0x1
	v_cndmask_b32_e64 v67, v69, v34, s15
	v_cndmask_b32_e64 v66, v68, v33, s15
	;; [unrolled: 1-line block ×4, first 2 shown]
	v_cmpx_lt_u32_e64 v35, v96
	s_cbranch_execz .LBB1133_122
; %bb.119:
	s_mov_b32 s18, 0
	s_mov_b32 s16, exec_lo
	v_cmpx_lt_u32_e64 v97, v87
	s_cbranch_execz .LBB1133_121
; %bb.120:
	v_add_f64_e32 v[98:99], 0, v[66:67]
	v_add_f64_e32 v[100:101], 0, v[68:69]
	s_delay_alu instid0(VALU_DEP_2) | instskip(NEXT) | instid1(VALU_DEP_2)
	v_ashrrev_i32_e32 v87, 31, v99
	v_ashrrev_i32_e32 v96, 31, v101
	s_delay_alu instid0(VALU_DEP_2) | instskip(NEXT) | instid1(VALU_DEP_2)
	v_or_b32_e32 v102, 0x80000000, v87
	v_or_b32_e32 v103, 0x80000000, v96
	v_xor_b32_e32 v98, v87, v98
	v_xor_b32_e32 v100, v96, v100
	s_delay_alu instid0(VALU_DEP_4) | instskip(NEXT) | instid1(VALU_DEP_4)
	v_xor_b32_e32 v99, v102, v99
	v_xor_b32_e32 v101, v103, v101
	s_delay_alu instid0(VALU_DEP_1)
	v_cmp_le_u64_e64 s7, v[98:99], v[100:101]
	s_and_b32 s18, s7, exec_lo
.LBB1133_121:
	s_wait_alu 0xfffe
	s_or_b32 exec_lo, exec_lo, s16
	s_delay_alu instid0(SALU_CYCLE_1)
	s_or_not1_b32 s16, s18, exec_lo
.LBB1133_122:
	s_wait_alu 0xfffe
	s_or_b32 exec_lo, exec_lo, s17
	v_cndmask_b32_e64 v35, v35, v97, s16
	v_cndmask_b32_e64 v37, v34, v37, s15
	v_cndmask_b32_e64 v36, v33, v36, s15
	v_cndmask_b32_e64 v26, v26, v65, s14
	v_cndmask_b32_e64 v25, v25, v64, s14
	v_lshl_add_u32 v35, v35, 3, v10
	v_cndmask_b32_e64 v33, v32, v55, s13
	v_cndmask_b32_e64 v32, v31, v54, s13
	;; [unrolled: 1-line block ×4, first 2 shown]
	ds_load_b64 v[34:35], v35 offset:16384
	v_cndmask_b32_e64 v30, v30, v51, s11
	v_cndmask_b32_e64 v29, v29, v50, s11
	;; [unrolled: 1-line block ×8, first 2 shown]
.LBB1133_123:
	s_wait_alu 0xfffe
	s_or_b32 exec_lo, exec_lo, s9
	v_and_b32_e32 v49, 0xe0, v80
	v_and_b32_e32 v48, 24, v80
	s_mov_b32 s8, exec_lo
	; wave barrier
	s_delay_alu instid0(VALU_DEP_2) | instskip(NEXT) | instid1(VALU_DEP_2)
	v_or_b32_e32 v31, 16, v49
	v_min_u32_e32 v50, v82, v48
	ds_store_2addr_b64 v81, v[17:18], v[27:28] offset1:1
	ds_store_2addr_b64 v81, v[29:30], v[38:39] offset0:2 offset1:3
	ds_store_2addr_b64 v83, v[0:1], v[4:5] offset1:1
	ds_store_2addr_b64 v84, v[8:9], v[13:14] offset1:1
	ds_store_2addr_b64 v81, v[32:33], v[25:26] offset0:4 offset1:5
	ds_store_2addr_b64 v81, v[36:37], v[19:20] offset0:6 offset1:7
	ds_store_2addr_b64 v85, v[15:16], v[23:24] offset1:1
	s_wait_dscnt 0x7
	ds_store_2addr_b64 v86, v[21:22], v[34:35] offset1:1
	v_min_u32_e32 v87, v82, v31
	; wave barrier
	s_delay_alu instid0(VALU_DEP_1) | instskip(NEXT) | instid1(VALU_DEP_1)
	v_add_nc_u32_e32 v31, 16, v87
	v_min_u32_e32 v96, v82, v31
	v_sub_nc_u32_e32 v31, v87, v49
	s_delay_alu instid0(VALU_DEP_2) | instskip(NEXT) | instid1(VALU_DEP_2)
	v_sub_nc_u32_e32 v48, v96, v87
	v_min_u32_e32 v51, v50, v31
	s_delay_alu instid0(VALU_DEP_2) | instskip(SKIP_1) | instid1(VALU_DEP_2)
	v_sub_nc_u32_e64 v31, v50, v48 clamp
	v_lshl_add_u32 v48, v49, 3, v10
	v_cmpx_lt_u32_e64 v31, v51
	s_cbranch_execz .LBB1133_127
; %bb.124:
	v_lshlrev_b32_e32 v52, 3, v87
	v_lshlrev_b32_e32 v53, 3, v50
	s_mov_b32 s9, 0
	s_delay_alu instid0(VALU_DEP_1)
	v_add3_u32 v52, v10, v52, v53
.LBB1133_125:                           ; =>This Inner Loop Header: Depth=1
	v_add_nc_u32_e32 v53, v51, v31
	s_delay_alu instid0(VALU_DEP_1) | instskip(NEXT) | instid1(VALU_DEP_1)
	v_lshrrev_b32_e32 v55, 1, v53
	v_not_b32_e32 v53, v55
	v_lshl_add_u32 v54, v55, 3, v48
	s_delay_alu instid0(VALU_DEP_2)
	v_lshl_add_u32 v64, v53, 3, v52
	ds_load_b64 v[53:54], v54
	ds_load_b64 v[64:65], v64
	s_wait_dscnt 0x1
	v_add_f64_e32 v[53:54], 0, v[53:54]
	s_wait_dscnt 0x0
	v_add_f64_e32 v[64:65], 0, v[64:65]
	s_delay_alu instid0(VALU_DEP_2) | instskip(NEXT) | instid1(VALU_DEP_2)
	v_ashrrev_i32_e32 v66, 31, v54
	v_ashrrev_i32_e32 v67, 31, v65
	s_delay_alu instid0(VALU_DEP_2) | instskip(NEXT) | instid1(VALU_DEP_2)
	v_or_b32_e32 v68, 0x80000000, v66
	v_or_b32_e32 v69, 0x80000000, v67
	v_xor_b32_e32 v53, v66, v53
	v_xor_b32_e32 v64, v67, v64
	s_delay_alu instid0(VALU_DEP_4) | instskip(NEXT) | instid1(VALU_DEP_4)
	v_xor_b32_e32 v54, v68, v54
	v_xor_b32_e32 v65, v69, v65
	s_delay_alu instid0(VALU_DEP_1) | instskip(SKIP_2) | instid1(VALU_DEP_2)
	v_cmp_gt_u64_e64 s7, v[64:65], v[53:54]
	v_add_nc_u32_e32 v53, 1, v55
	s_wait_alu 0xf1ff
	v_cndmask_b32_e64 v51, v51, v55, s7
	s_delay_alu instid0(VALU_DEP_2) | instskip(NEXT) | instid1(VALU_DEP_1)
	v_cndmask_b32_e64 v31, v53, v31, s7
	v_cmp_ge_u32_e64 s7, v31, v51
	s_wait_alu 0xfffe
	s_or_b32 s9, s7, s9
	s_wait_alu 0xfffe
	s_and_not1_b32 exec_lo, exec_lo, s9
	s_cbranch_execnz .LBB1133_125
; %bb.126:
	s_or_b32 exec_lo, exec_lo, s9
.LBB1133_127:
	s_wait_alu 0xfffe
	s_or_b32 exec_lo, exec_lo, s8
	v_add_nc_u32_e32 v50, v87, v50
	v_add_nc_u32_e32 v49, v31, v49
	s_delay_alu instid0(VALU_DEP_2) | instskip(NEXT) | instid1(VALU_DEP_2)
	v_sub_nc_u32_e32 v50, v50, v31
	v_cmp_le_u32_e64 s7, v49, v87
	s_delay_alu instid0(VALU_DEP_2)
	v_cmp_le_u32_e64 s8, v50, v96
	s_or_b32 s7, s7, s8
	s_wait_alu 0xfffe
	s_and_saveexec_b32 s9, s7
	s_cbranch_execz .LBB1133_163
; %bb.128:
	v_cmp_ge_u32_e64 s7, v49, v87
	s_mov_b32 s10, exec_lo
                                        ; implicit-def: $vgpr17_vgpr18
	v_cmpx_lt_u32_e64 v49, v87
; %bb.129:
	v_lshl_add_u32 v0, v31, 3, v48
	ds_load_b64 v[17:18], v0
; %bb.130:
	s_wait_alu 0xfffe
	s_or_b32 exec_lo, exec_lo, s10
	v_cmp_ge_u32_e64 s10, v50, v96
	s_mov_b32 s11, exec_lo
                                        ; implicit-def: $vgpr19_vgpr20
	v_cmpx_lt_u32_e64 v50, v96
; %bb.131:
	v_lshl_add_u32 v0, v50, 3, v10
	ds_load_b64 v[19:20], v0
; %bb.132:
	s_wait_alu 0xfffe
	s_or_b32 exec_lo, exec_lo, s11
	s_nor_b32 s7, s7, s10
	s_wait_alu 0xfffe
	s_and_saveexec_b32 s8, s7
	s_cbranch_execz .LBB1133_134
; %bb.133:
	s_wait_dscnt 0x0
	v_add_f64_e32 v[0:1], 0, v[19:20]
	v_add_f64_e32 v[4:5], 0, v[17:18]
	s_and_not1_b32 s10, s10, exec_lo
	s_delay_alu instid0(VALU_DEP_2) | instskip(NEXT) | instid1(VALU_DEP_2)
	v_ashrrev_i32_e32 v8, 31, v1
	v_ashrrev_i32_e32 v9, 31, v5
	s_delay_alu instid0(VALU_DEP_2) | instskip(NEXT) | instid1(VALU_DEP_2)
	v_or_b32_e32 v13, 0x80000000, v8
	v_or_b32_e32 v14, 0x80000000, v9
	v_xor_b32_e32 v0, v8, v0
	v_xor_b32_e32 v4, v9, v4
	s_delay_alu instid0(VALU_DEP_4) | instskip(NEXT) | instid1(VALU_DEP_4)
	v_xor_b32_e32 v1, v13, v1
	v_xor_b32_e32 v5, v14, v5
	s_delay_alu instid0(VALU_DEP_1)
	v_cmp_le_u64_e64 s7, v[0:1], v[4:5]
	s_and_b32 s7, s7, exec_lo
	s_wait_alu 0xfffe
	s_or_b32 s10, s10, s7
.LBB1133_134:
	s_wait_alu 0xfffe
	s_or_b32 exec_lo, exec_lo, s8
	v_cndmask_b32_e64 v0, v50, v49, s10
	v_cndmask_b32_e64 v1, v96, v87, s10
	s_mov_b32 s11, -1
	s_mov_b32 s8, -1
	s_mov_b32 s12, exec_lo
	v_add_nc_u32_e32 v9, 1, v0
	v_add_nc_u32_e32 v1, -1, v1
	v_lshl_add_u32 v0, v0, 3, v10
	s_delay_alu instid0(VALU_DEP_3) | instskip(NEXT) | instid1(VALU_DEP_3)
	v_cndmask_b32_e64 v8, v9, v50, s10
	v_min_u32_e32 v1, v9, v1
	v_cndmask_b32_e64 v9, v49, v9, s10
	s_delay_alu instid0(VALU_DEP_2)
	v_lshl_add_u32 v1, v1, 3, v10
	ds_load_b64 v[4:5], v1
	ds_load_b64 v[0:1], v0 offset:16384
	s_wait_dscnt 0x1
	v_cndmask_b32_e64 v28, v5, v20, s10
	v_cndmask_b32_e64 v27, v4, v19, s10
	;; [unrolled: 1-line block ×4, first 2 shown]
	v_cmpx_lt_u32_e64 v8, v96
	s_cbranch_execz .LBB1133_138
; %bb.135:
	s_mov_b32 s13, 0
	s_mov_b32 s8, exec_lo
	v_cmpx_lt_u32_e64 v9, v87
	s_cbranch_execz .LBB1133_137
; %bb.136:
	v_add_f64_e32 v[4:5], 0, v[27:28]
	v_add_f64_e32 v[13:14], 0, v[48:49]
	s_delay_alu instid0(VALU_DEP_2) | instskip(NEXT) | instid1(VALU_DEP_2)
	v_ashrrev_i32_e32 v15, 31, v5
	v_ashrrev_i32_e32 v16, 31, v14
	s_delay_alu instid0(VALU_DEP_2) | instskip(NEXT) | instid1(VALU_DEP_2)
	v_or_b32_e32 v21, 0x80000000, v15
	v_or_b32_e32 v22, 0x80000000, v16
	v_xor_b32_e32 v4, v15, v4
	v_xor_b32_e32 v13, v16, v13
	s_delay_alu instid0(VALU_DEP_4) | instskip(NEXT) | instid1(VALU_DEP_4)
	v_xor_b32_e32 v5, v21, v5
	v_xor_b32_e32 v14, v22, v14
	s_delay_alu instid0(VALU_DEP_1)
	v_cmp_le_u64_e64 s7, v[4:5], v[13:14]
	s_and_b32 s13, s7, exec_lo
.LBB1133_137:
	s_wait_alu 0xfffe
	s_or_b32 exec_lo, exec_lo, s8
	s_delay_alu instid0(SALU_CYCLE_1)
	s_or_not1_b32 s8, s13, exec_lo
.LBB1133_138:
	s_wait_alu 0xfffe
	s_or_b32 exec_lo, exec_lo, s12
	v_cndmask_b32_e64 v4, v8, v9, s8
	v_cndmask_b32_e64 v5, v96, v87, s8
	s_mov_b32 s12, exec_lo
	s_delay_alu instid0(VALU_DEP_2) | instskip(NEXT) | instid1(VALU_DEP_2)
	v_add_nc_u32_e32 v14, 1, v4
	v_add_nc_u32_e32 v5, -1, v5
	v_lshl_add_u32 v4, v4, 3, v10
	s_delay_alu instid0(VALU_DEP_3) | instskip(NEXT) | instid1(VALU_DEP_3)
	v_cndmask_b32_e64 v13, v14, v8, s8
	v_min_u32_e32 v5, v14, v5
	v_cndmask_b32_e64 v14, v9, v14, s8
	s_delay_alu instid0(VALU_DEP_2)
	v_lshl_add_u32 v5, v5, 3, v10
	ds_load_b64 v[15:16], v5
	ds_load_b64 v[4:5], v4 offset:16384
	s_wait_dscnt 0x1
	v_cndmask_b32_e64 v30, v16, v28, s8
	v_cndmask_b32_e64 v29, v15, v27, s8
	;; [unrolled: 1-line block ×4, first 2 shown]
	v_cmpx_lt_u32_e64 v13, v96
	s_cbranch_execz .LBB1133_142
; %bb.139:
	s_mov_b32 s13, 0
	s_mov_b32 s11, exec_lo
	v_cmpx_lt_u32_e64 v14, v87
	s_cbranch_execz .LBB1133_141
; %bb.140:
	v_add_f64_e32 v[8:9], 0, v[29:30]
	v_add_f64_e32 v[15:16], 0, v[50:51]
	s_delay_alu instid0(VALU_DEP_2) | instskip(NEXT) | instid1(VALU_DEP_2)
	v_ashrrev_i32_e32 v21, 31, v9
	v_ashrrev_i32_e32 v22, 31, v16
	s_delay_alu instid0(VALU_DEP_2) | instskip(NEXT) | instid1(VALU_DEP_2)
	v_or_b32_e32 v23, 0x80000000, v21
	v_or_b32_e32 v24, 0x80000000, v22
	v_xor_b32_e32 v8, v21, v8
	v_xor_b32_e32 v15, v22, v15
	s_delay_alu instid0(VALU_DEP_4) | instskip(NEXT) | instid1(VALU_DEP_4)
	v_xor_b32_e32 v9, v23, v9
	v_xor_b32_e32 v16, v24, v16
	s_delay_alu instid0(VALU_DEP_1)
	v_cmp_le_u64_e64 s7, v[8:9], v[15:16]
	s_and_b32 s13, s7, exec_lo
.LBB1133_141:
	s_wait_alu 0xfffe
	s_or_b32 exec_lo, exec_lo, s11
	s_delay_alu instid0(SALU_CYCLE_1)
	s_or_not1_b32 s11, s13, exec_lo
.LBB1133_142:
	s_wait_alu 0xfffe
	s_or_b32 exec_lo, exec_lo, s12
	v_cndmask_b32_e64 v8, v13, v14, s11
	v_cndmask_b32_e64 v9, v96, v87, s11
	s_mov_b32 s13, -1
	s_mov_b32 s12, -1
	s_mov_b32 s14, exec_lo
	v_add_nc_u32_e32 v16, 1, v8
	v_add_nc_u32_e32 v9, -1, v9
	v_lshl_add_u32 v8, v8, 3, v10
	s_delay_alu instid0(VALU_DEP_3) | instskip(NEXT) | instid1(VALU_DEP_3)
	v_cndmask_b32_e64 v15, v16, v13, s11
	v_min_u32_e32 v9, v16, v9
	v_cndmask_b32_e64 v16, v14, v16, s11
	s_delay_alu instid0(VALU_DEP_2)
	v_lshl_add_u32 v9, v9, 3, v10
	ds_load_b64 v[21:22], v9
	ds_load_b64 v[8:9], v8 offset:16384
	s_wait_dscnt 0x1
	v_cndmask_b32_e64 v39, v22, v30, s11
	v_cndmask_b32_e64 v38, v21, v29, s11
	;; [unrolled: 1-line block ×4, first 2 shown]
	v_cmpx_lt_u32_e64 v15, v96
	s_cbranch_execz .LBB1133_146
; %bb.143:
	s_mov_b32 s15, 0
	s_mov_b32 s12, exec_lo
	v_cmpx_lt_u32_e64 v16, v87
	s_cbranch_execz .LBB1133_145
; %bb.144:
	v_add_f64_e32 v[13:14], 0, v[38:39]
	v_add_f64_e32 v[21:22], 0, v[52:53]
	s_delay_alu instid0(VALU_DEP_2) | instskip(NEXT) | instid1(VALU_DEP_2)
	v_ashrrev_i32_e32 v23, 31, v14
	v_ashrrev_i32_e32 v24, 31, v22
	s_delay_alu instid0(VALU_DEP_2) | instskip(NEXT) | instid1(VALU_DEP_2)
	v_or_b32_e32 v25, 0x80000000, v23
	v_or_b32_e32 v26, 0x80000000, v24
	v_xor_b32_e32 v13, v23, v13
	v_xor_b32_e32 v21, v24, v21
	s_delay_alu instid0(VALU_DEP_4) | instskip(NEXT) | instid1(VALU_DEP_4)
	v_xor_b32_e32 v14, v25, v14
	v_xor_b32_e32 v22, v26, v22
	s_delay_alu instid0(VALU_DEP_1)
	v_cmp_le_u64_e64 s7, v[13:14], v[21:22]
	s_and_b32 s15, s7, exec_lo
.LBB1133_145:
	s_wait_alu 0xfffe
	s_or_b32 exec_lo, exec_lo, s12
	s_delay_alu instid0(SALU_CYCLE_1)
	s_or_not1_b32 s12, s15, exec_lo
.LBB1133_146:
	s_wait_alu 0xfffe
	s_or_b32 exec_lo, exec_lo, s14
	v_cndmask_b32_e64 v13, v15, v16, s12
	v_cndmask_b32_e64 v14, v96, v87, s12
	s_mov_b32 s14, exec_lo
	s_delay_alu instid0(VALU_DEP_2) | instskip(NEXT) | instid1(VALU_DEP_2)
	v_add_nc_u32_e32 v22, 1, v13
	v_add_nc_u32_e32 v14, -1, v14
	v_lshl_add_u32 v13, v13, 3, v10
	s_delay_alu instid0(VALU_DEP_3) | instskip(NEXT) | instid1(VALU_DEP_3)
	v_cndmask_b32_e64 v21, v22, v15, s12
	v_min_u32_e32 v14, v22, v14
	v_cndmask_b32_e64 v22, v16, v22, s12
	s_delay_alu instid0(VALU_DEP_2)
	v_lshl_add_u32 v14, v14, 3, v10
	ds_load_b64 v[23:24], v14
	ds_load_b64 v[13:14], v13 offset:16384
	s_wait_dscnt 0x1
	v_cndmask_b32_e64 v32, v24, v39, s12
	v_cndmask_b32_e64 v31, v23, v38, s12
	;; [unrolled: 1-line block ×4, first 2 shown]
	v_cmpx_lt_u32_e64 v21, v96
	s_cbranch_execz .LBB1133_150
; %bb.147:
	s_mov_b32 s15, 0
	s_mov_b32 s13, exec_lo
	v_cmpx_lt_u32_e64 v22, v87
	s_cbranch_execz .LBB1133_149
; %bb.148:
	v_add_f64_e32 v[15:16], 0, v[31:32]
	v_add_f64_e32 v[23:24], 0, v[54:55]
	s_delay_alu instid0(VALU_DEP_2) | instskip(NEXT) | instid1(VALU_DEP_2)
	v_ashrrev_i32_e32 v25, 31, v16
	v_ashrrev_i32_e32 v26, 31, v24
	s_delay_alu instid0(VALU_DEP_2) | instskip(NEXT) | instid1(VALU_DEP_2)
	v_or_b32_e32 v33, 0x80000000, v25
	v_or_b32_e32 v34, 0x80000000, v26
	v_xor_b32_e32 v15, v25, v15
	v_xor_b32_e32 v23, v26, v23
	s_delay_alu instid0(VALU_DEP_4) | instskip(NEXT) | instid1(VALU_DEP_4)
	v_xor_b32_e32 v16, v33, v16
	v_xor_b32_e32 v24, v34, v24
	s_delay_alu instid0(VALU_DEP_1)
	v_cmp_le_u64_e64 s7, v[15:16], v[23:24]
	s_and_b32 s15, s7, exec_lo
.LBB1133_149:
	s_wait_alu 0xfffe
	s_or_b32 exec_lo, exec_lo, s13
	s_delay_alu instid0(SALU_CYCLE_1)
	s_or_not1_b32 s13, s15, exec_lo
.LBB1133_150:
	s_wait_alu 0xfffe
	s_or_b32 exec_lo, exec_lo, s14
	v_cndmask_b32_e64 v15, v21, v22, s13
	v_cndmask_b32_e64 v16, v96, v87, s13
	s_mov_b32 s15, -1
	s_mov_b32 s14, -1
	s_mov_b32 s16, exec_lo
	v_add_nc_u32_e32 v25, 1, v15
	v_add_nc_u32_e32 v16, -1, v16
	v_lshl_add_u32 v15, v15, 3, v10
	s_delay_alu instid0(VALU_DEP_3) | instskip(NEXT) | instid1(VALU_DEP_3)
	v_cndmask_b32_e64 v21, v25, v21, s13
	v_min_u32_e32 v16, v25, v16
	v_cndmask_b32_e64 v22, v22, v25, s13
	s_delay_alu instid0(VALU_DEP_2)
	v_lshl_add_u32 v16, v16, 3, v10
	ds_load_b64 v[23:24], v16
	ds_load_b64 v[15:16], v15 offset:16384
	s_wait_dscnt 0x1
	v_cndmask_b32_e64 v26, v24, v32, s13
	v_cndmask_b32_e64 v25, v23, v31, s13
	;; [unrolled: 1-line block ×4, first 2 shown]
	v_cmpx_lt_u32_e64 v21, v96
	s_cbranch_execz .LBB1133_154
; %bb.151:
	s_mov_b32 s17, 0
	s_mov_b32 s14, exec_lo
	v_cmpx_lt_u32_e64 v22, v87
	s_cbranch_execz .LBB1133_153
; %bb.152:
	v_add_f64_e32 v[23:24], 0, v[25:26]
	v_add_f64_e32 v[33:34], 0, v[64:65]
	s_delay_alu instid0(VALU_DEP_2) | instskip(NEXT) | instid1(VALU_DEP_2)
	v_ashrrev_i32_e32 v35, 31, v24
	v_ashrrev_i32_e32 v36, 31, v34
	s_delay_alu instid0(VALU_DEP_2) | instskip(NEXT) | instid1(VALU_DEP_2)
	v_or_b32_e32 v37, 0x80000000, v35
	v_or_b32_e32 v66, 0x80000000, v36
	v_xor_b32_e32 v23, v35, v23
	v_xor_b32_e32 v33, v36, v33
	s_delay_alu instid0(VALU_DEP_4) | instskip(NEXT) | instid1(VALU_DEP_4)
	v_xor_b32_e32 v24, v37, v24
	v_xor_b32_e32 v34, v66, v34
	s_delay_alu instid0(VALU_DEP_1)
	v_cmp_le_u64_e64 s7, v[23:24], v[33:34]
	s_and_b32 s17, s7, exec_lo
.LBB1133_153:
	s_wait_alu 0xfffe
	s_or_b32 exec_lo, exec_lo, s14
	s_delay_alu instid0(SALU_CYCLE_1)
	s_or_not1_b32 s14, s17, exec_lo
.LBB1133_154:
	s_wait_alu 0xfffe
	s_or_b32 exec_lo, exec_lo, s16
	v_cndmask_b32_e64 v23, v21, v22, s14
	v_cndmask_b32_e64 v24, v96, v87, s14
	s_mov_b32 s16, exec_lo
	s_delay_alu instid0(VALU_DEP_2) | instskip(NEXT) | instid1(VALU_DEP_2)
	v_add_nc_u32_e32 v33, 1, v23
	v_add_nc_u32_e32 v24, -1, v24
	v_lshl_add_u32 v23, v23, 3, v10
	s_delay_alu instid0(VALU_DEP_3) | instskip(NEXT) | instid1(VALU_DEP_3)
	v_cndmask_b32_e64 v35, v33, v21, s14
	v_min_u32_e32 v24, v33, v24
	v_cndmask_b32_e64 v66, v22, v33, s14
	s_delay_alu instid0(VALU_DEP_2)
	v_lshl_add_u32 v24, v24, 3, v10
	ds_load_b64 v[36:37], v24
	ds_load_b64 v[23:24], v23 offset:16384
	s_wait_dscnt 0x1
	v_cndmask_b32_e64 v34, v37, v26, s14
	v_cndmask_b32_e64 v33, v36, v25, s14
	;; [unrolled: 1-line block ×4, first 2 shown]
	v_cmpx_lt_u32_e64 v35, v96
	s_cbranch_execz .LBB1133_158
; %bb.155:
	s_mov_b32 s17, 0
	s_mov_b32 s15, exec_lo
	v_cmpx_lt_u32_e64 v66, v87
	s_cbranch_execz .LBB1133_157
; %bb.156:
	v_add_f64_e32 v[21:22], 0, v[33:34]
	v_add_f64_e32 v[67:68], 0, v[36:37]
	s_delay_alu instid0(VALU_DEP_2) | instskip(NEXT) | instid1(VALU_DEP_2)
	v_ashrrev_i32_e32 v69, 31, v22
	v_ashrrev_i32_e32 v97, 31, v68
	s_delay_alu instid0(VALU_DEP_2) | instskip(NEXT) | instid1(VALU_DEP_2)
	v_or_b32_e32 v98, 0x80000000, v69
	v_or_b32_e32 v99, 0x80000000, v97
	v_xor_b32_e32 v21, v69, v21
	v_xor_b32_e32 v67, v97, v67
	s_delay_alu instid0(VALU_DEP_4) | instskip(NEXT) | instid1(VALU_DEP_4)
	v_xor_b32_e32 v22, v98, v22
	v_xor_b32_e32 v68, v99, v68
	s_delay_alu instid0(VALU_DEP_1)
	v_cmp_le_u64_e64 s7, v[21:22], v[67:68]
	s_and_b32 s17, s7, exec_lo
.LBB1133_157:
	s_wait_alu 0xfffe
	s_or_b32 exec_lo, exec_lo, s15
	s_delay_alu instid0(SALU_CYCLE_1)
	s_or_not1_b32 s15, s17, exec_lo
.LBB1133_158:
	s_wait_alu 0xfffe
	s_or_b32 exec_lo, exec_lo, s16
	v_cndmask_b32_e64 v21, v35, v66, s15
	v_cndmask_b32_e64 v22, v96, v87, s15
	s_mov_b32 s16, -1
	s_mov_b32 s17, exec_lo
	s_delay_alu instid0(VALU_DEP_2) | instskip(NEXT) | instid1(VALU_DEP_2)
	v_add_nc_u32_e32 v67, 1, v21
	v_add_nc_u32_e32 v22, -1, v22
	v_lshl_add_u32 v21, v21, 3, v10
	s_delay_alu instid0(VALU_DEP_3) | instskip(NEXT) | instid1(VALU_DEP_3)
	v_cndmask_b32_e64 v35, v67, v35, s15
	v_min_u32_e32 v22, v67, v22
	v_cndmask_b32_e64 v97, v66, v67, s15
	s_delay_alu instid0(VALU_DEP_2)
	v_lshl_add_u32 v22, v22, 3, v10
	ds_load_b64 v[68:69], v22
	ds_load_b64 v[21:22], v21 offset:16384
	s_wait_dscnt 0x1
	v_cndmask_b32_e64 v67, v69, v34, s15
	v_cndmask_b32_e64 v66, v68, v33, s15
	;; [unrolled: 1-line block ×4, first 2 shown]
	v_cmpx_lt_u32_e64 v35, v96
	s_cbranch_execz .LBB1133_162
; %bb.159:
	s_mov_b32 s18, 0
	s_mov_b32 s16, exec_lo
	v_cmpx_lt_u32_e64 v97, v87
	s_cbranch_execz .LBB1133_161
; %bb.160:
	v_add_f64_e32 v[98:99], 0, v[66:67]
	v_add_f64_e32 v[100:101], 0, v[68:69]
	s_delay_alu instid0(VALU_DEP_2) | instskip(NEXT) | instid1(VALU_DEP_2)
	v_ashrrev_i32_e32 v87, 31, v99
	v_ashrrev_i32_e32 v96, 31, v101
	s_delay_alu instid0(VALU_DEP_2) | instskip(NEXT) | instid1(VALU_DEP_2)
	v_or_b32_e32 v102, 0x80000000, v87
	v_or_b32_e32 v103, 0x80000000, v96
	v_xor_b32_e32 v98, v87, v98
	v_xor_b32_e32 v100, v96, v100
	s_delay_alu instid0(VALU_DEP_4) | instskip(NEXT) | instid1(VALU_DEP_4)
	v_xor_b32_e32 v99, v102, v99
	v_xor_b32_e32 v101, v103, v101
	s_delay_alu instid0(VALU_DEP_1)
	v_cmp_le_u64_e64 s7, v[98:99], v[100:101]
	s_and_b32 s18, s7, exec_lo
.LBB1133_161:
	s_wait_alu 0xfffe
	s_or_b32 exec_lo, exec_lo, s16
	s_delay_alu instid0(SALU_CYCLE_1)
	s_or_not1_b32 s16, s18, exec_lo
.LBB1133_162:
	s_wait_alu 0xfffe
	s_or_b32 exec_lo, exec_lo, s17
	v_cndmask_b32_e64 v35, v35, v97, s16
	v_cndmask_b32_e64 v37, v34, v37, s15
	;; [unrolled: 1-line block ×5, first 2 shown]
	v_lshl_add_u32 v35, v35, 3, v10
	v_cndmask_b32_e64 v33, v32, v55, s13
	v_cndmask_b32_e64 v32, v31, v54, s13
	;; [unrolled: 1-line block ×4, first 2 shown]
	ds_load_b64 v[34:35], v35 offset:16384
	v_cndmask_b32_e64 v30, v30, v51, s11
	v_cndmask_b32_e64 v29, v29, v50, s11
	;; [unrolled: 1-line block ×8, first 2 shown]
.LBB1133_163:
	s_wait_alu 0xfffe
	s_or_b32 exec_lo, exec_lo, s9
	v_and_b32_e32 v49, 0xc0, v80
	v_and_b32_e32 v48, 56, v80
	s_mov_b32 s8, exec_lo
	; wave barrier
	s_delay_alu instid0(VALU_DEP_2) | instskip(NEXT) | instid1(VALU_DEP_2)
	v_or_b32_e32 v31, 32, v49
	v_min_u32_e32 v50, v82, v48
	ds_store_2addr_b64 v81, v[17:18], v[27:28] offset1:1
	ds_store_2addr_b64 v81, v[29:30], v[38:39] offset0:2 offset1:3
	ds_store_2addr_b64 v83, v[0:1], v[4:5] offset1:1
	ds_store_2addr_b64 v84, v[8:9], v[13:14] offset1:1
	ds_store_2addr_b64 v81, v[32:33], v[25:26] offset0:4 offset1:5
	ds_store_2addr_b64 v81, v[36:37], v[19:20] offset0:6 offset1:7
	ds_store_2addr_b64 v85, v[15:16], v[23:24] offset1:1
	s_wait_dscnt 0x7
	ds_store_2addr_b64 v86, v[21:22], v[34:35] offset1:1
	v_min_u32_e32 v87, v82, v31
	; wave barrier
	s_delay_alu instid0(VALU_DEP_1) | instskip(NEXT) | instid1(VALU_DEP_1)
	v_add_nc_u32_e32 v31, 32, v87
	v_min_u32_e32 v96, v82, v31
	v_sub_nc_u32_e32 v31, v87, v49
	s_delay_alu instid0(VALU_DEP_2) | instskip(NEXT) | instid1(VALU_DEP_2)
	v_sub_nc_u32_e32 v48, v96, v87
	v_min_u32_e32 v51, v50, v31
	s_delay_alu instid0(VALU_DEP_2) | instskip(SKIP_1) | instid1(VALU_DEP_2)
	v_sub_nc_u32_e64 v31, v50, v48 clamp
	v_lshl_add_u32 v48, v49, 3, v10
	v_cmpx_lt_u32_e64 v31, v51
	s_cbranch_execz .LBB1133_167
; %bb.164:
	v_lshlrev_b32_e32 v52, 3, v87
	v_lshlrev_b32_e32 v53, 3, v50
	s_mov_b32 s9, 0
	s_delay_alu instid0(VALU_DEP_1)
	v_add3_u32 v52, v10, v52, v53
.LBB1133_165:                           ; =>This Inner Loop Header: Depth=1
	v_add_nc_u32_e32 v53, v51, v31
	s_delay_alu instid0(VALU_DEP_1) | instskip(NEXT) | instid1(VALU_DEP_1)
	v_lshrrev_b32_e32 v55, 1, v53
	v_not_b32_e32 v53, v55
	v_lshl_add_u32 v54, v55, 3, v48
	s_delay_alu instid0(VALU_DEP_2)
	v_lshl_add_u32 v64, v53, 3, v52
	ds_load_b64 v[53:54], v54
	ds_load_b64 v[64:65], v64
	s_wait_dscnt 0x1
	v_add_f64_e32 v[53:54], 0, v[53:54]
	s_wait_dscnt 0x0
	v_add_f64_e32 v[64:65], 0, v[64:65]
	s_delay_alu instid0(VALU_DEP_2) | instskip(NEXT) | instid1(VALU_DEP_2)
	v_ashrrev_i32_e32 v66, 31, v54
	v_ashrrev_i32_e32 v67, 31, v65
	s_delay_alu instid0(VALU_DEP_2) | instskip(NEXT) | instid1(VALU_DEP_2)
	v_or_b32_e32 v68, 0x80000000, v66
	v_or_b32_e32 v69, 0x80000000, v67
	v_xor_b32_e32 v53, v66, v53
	v_xor_b32_e32 v64, v67, v64
	s_delay_alu instid0(VALU_DEP_4) | instskip(NEXT) | instid1(VALU_DEP_4)
	v_xor_b32_e32 v54, v68, v54
	v_xor_b32_e32 v65, v69, v65
	s_delay_alu instid0(VALU_DEP_1) | instskip(SKIP_2) | instid1(VALU_DEP_2)
	v_cmp_gt_u64_e64 s7, v[64:65], v[53:54]
	v_add_nc_u32_e32 v53, 1, v55
	s_wait_alu 0xf1ff
	v_cndmask_b32_e64 v51, v51, v55, s7
	s_delay_alu instid0(VALU_DEP_2) | instskip(NEXT) | instid1(VALU_DEP_1)
	v_cndmask_b32_e64 v31, v53, v31, s7
	v_cmp_ge_u32_e64 s7, v31, v51
	s_wait_alu 0xfffe
	s_or_b32 s9, s7, s9
	s_wait_alu 0xfffe
	s_and_not1_b32 exec_lo, exec_lo, s9
	s_cbranch_execnz .LBB1133_165
; %bb.166:
	s_or_b32 exec_lo, exec_lo, s9
.LBB1133_167:
	s_wait_alu 0xfffe
	s_or_b32 exec_lo, exec_lo, s8
	v_add_nc_u32_e32 v50, v87, v50
	v_add_nc_u32_e32 v49, v31, v49
	s_delay_alu instid0(VALU_DEP_2) | instskip(NEXT) | instid1(VALU_DEP_2)
	v_sub_nc_u32_e32 v50, v50, v31
	v_cmp_le_u32_e64 s7, v49, v87
	s_delay_alu instid0(VALU_DEP_2)
	v_cmp_le_u32_e64 s8, v50, v96
	s_or_b32 s7, s7, s8
	s_wait_alu 0xfffe
	s_and_saveexec_b32 s9, s7
	s_cbranch_execz .LBB1133_203
; %bb.168:
	v_cmp_ge_u32_e64 s7, v49, v87
	s_mov_b32 s10, exec_lo
                                        ; implicit-def: $vgpr17_vgpr18
	v_cmpx_lt_u32_e64 v49, v87
; %bb.169:
	v_lshl_add_u32 v0, v31, 3, v48
	ds_load_b64 v[17:18], v0
; %bb.170:
	s_wait_alu 0xfffe
	s_or_b32 exec_lo, exec_lo, s10
	v_cmp_ge_u32_e64 s10, v50, v96
	s_mov_b32 s11, exec_lo
                                        ; implicit-def: $vgpr19_vgpr20
	v_cmpx_lt_u32_e64 v50, v96
; %bb.171:
	v_lshl_add_u32 v0, v50, 3, v10
	ds_load_b64 v[19:20], v0
; %bb.172:
	s_wait_alu 0xfffe
	s_or_b32 exec_lo, exec_lo, s11
	s_nor_b32 s7, s7, s10
	s_wait_alu 0xfffe
	s_and_saveexec_b32 s8, s7
	s_cbranch_execz .LBB1133_174
; %bb.173:
	s_wait_dscnt 0x0
	v_add_f64_e32 v[0:1], 0, v[19:20]
	v_add_f64_e32 v[4:5], 0, v[17:18]
	s_and_not1_b32 s10, s10, exec_lo
	s_delay_alu instid0(VALU_DEP_2) | instskip(NEXT) | instid1(VALU_DEP_2)
	v_ashrrev_i32_e32 v8, 31, v1
	v_ashrrev_i32_e32 v9, 31, v5
	s_delay_alu instid0(VALU_DEP_2) | instskip(NEXT) | instid1(VALU_DEP_2)
	v_or_b32_e32 v13, 0x80000000, v8
	v_or_b32_e32 v14, 0x80000000, v9
	v_xor_b32_e32 v0, v8, v0
	v_xor_b32_e32 v4, v9, v4
	s_delay_alu instid0(VALU_DEP_4) | instskip(NEXT) | instid1(VALU_DEP_4)
	v_xor_b32_e32 v1, v13, v1
	v_xor_b32_e32 v5, v14, v5
	s_delay_alu instid0(VALU_DEP_1)
	v_cmp_le_u64_e64 s7, v[0:1], v[4:5]
	s_and_b32 s7, s7, exec_lo
	s_wait_alu 0xfffe
	s_or_b32 s10, s10, s7
.LBB1133_174:
	s_wait_alu 0xfffe
	s_or_b32 exec_lo, exec_lo, s8
	v_cndmask_b32_e64 v0, v50, v49, s10
	v_cndmask_b32_e64 v1, v96, v87, s10
	s_mov_b32 s11, -1
	s_mov_b32 s8, -1
	s_mov_b32 s12, exec_lo
	v_add_nc_u32_e32 v9, 1, v0
	v_add_nc_u32_e32 v1, -1, v1
	v_lshl_add_u32 v0, v0, 3, v10
	s_delay_alu instid0(VALU_DEP_3) | instskip(NEXT) | instid1(VALU_DEP_3)
	v_cndmask_b32_e64 v8, v9, v50, s10
	v_min_u32_e32 v1, v9, v1
	v_cndmask_b32_e64 v9, v49, v9, s10
	s_delay_alu instid0(VALU_DEP_2)
	v_lshl_add_u32 v1, v1, 3, v10
	ds_load_b64 v[4:5], v1
	ds_load_b64 v[0:1], v0 offset:16384
	s_wait_dscnt 0x1
	v_cndmask_b32_e64 v28, v5, v20, s10
	v_cndmask_b32_e64 v27, v4, v19, s10
	;; [unrolled: 1-line block ×4, first 2 shown]
	v_cmpx_lt_u32_e64 v8, v96
	s_cbranch_execz .LBB1133_178
; %bb.175:
	s_mov_b32 s13, 0
	s_mov_b32 s8, exec_lo
	v_cmpx_lt_u32_e64 v9, v87
	s_cbranch_execz .LBB1133_177
; %bb.176:
	v_add_f64_e32 v[4:5], 0, v[27:28]
	v_add_f64_e32 v[13:14], 0, v[48:49]
	s_delay_alu instid0(VALU_DEP_2) | instskip(NEXT) | instid1(VALU_DEP_2)
	v_ashrrev_i32_e32 v15, 31, v5
	v_ashrrev_i32_e32 v16, 31, v14
	s_delay_alu instid0(VALU_DEP_2) | instskip(NEXT) | instid1(VALU_DEP_2)
	v_or_b32_e32 v21, 0x80000000, v15
	v_or_b32_e32 v22, 0x80000000, v16
	v_xor_b32_e32 v4, v15, v4
	v_xor_b32_e32 v13, v16, v13
	s_delay_alu instid0(VALU_DEP_4) | instskip(NEXT) | instid1(VALU_DEP_4)
	v_xor_b32_e32 v5, v21, v5
	v_xor_b32_e32 v14, v22, v14
	s_delay_alu instid0(VALU_DEP_1)
	v_cmp_le_u64_e64 s7, v[4:5], v[13:14]
	s_and_b32 s13, s7, exec_lo
.LBB1133_177:
	s_wait_alu 0xfffe
	s_or_b32 exec_lo, exec_lo, s8
	s_delay_alu instid0(SALU_CYCLE_1)
	s_or_not1_b32 s8, s13, exec_lo
.LBB1133_178:
	s_wait_alu 0xfffe
	s_or_b32 exec_lo, exec_lo, s12
	v_cndmask_b32_e64 v4, v8, v9, s8
	v_cndmask_b32_e64 v5, v96, v87, s8
	s_mov_b32 s12, exec_lo
	s_delay_alu instid0(VALU_DEP_2) | instskip(NEXT) | instid1(VALU_DEP_2)
	v_add_nc_u32_e32 v14, 1, v4
	v_add_nc_u32_e32 v5, -1, v5
	v_lshl_add_u32 v4, v4, 3, v10
	s_delay_alu instid0(VALU_DEP_3) | instskip(NEXT) | instid1(VALU_DEP_3)
	v_cndmask_b32_e64 v13, v14, v8, s8
	v_min_u32_e32 v5, v14, v5
	v_cndmask_b32_e64 v14, v9, v14, s8
	s_delay_alu instid0(VALU_DEP_2)
	v_lshl_add_u32 v5, v5, 3, v10
	ds_load_b64 v[15:16], v5
	ds_load_b64 v[4:5], v4 offset:16384
	s_wait_dscnt 0x1
	v_cndmask_b32_e64 v30, v16, v28, s8
	v_cndmask_b32_e64 v29, v15, v27, s8
	;; [unrolled: 1-line block ×4, first 2 shown]
	v_cmpx_lt_u32_e64 v13, v96
	s_cbranch_execz .LBB1133_182
; %bb.179:
	s_mov_b32 s13, 0
	s_mov_b32 s11, exec_lo
	v_cmpx_lt_u32_e64 v14, v87
	s_cbranch_execz .LBB1133_181
; %bb.180:
	v_add_f64_e32 v[8:9], 0, v[29:30]
	v_add_f64_e32 v[15:16], 0, v[50:51]
	s_delay_alu instid0(VALU_DEP_2) | instskip(NEXT) | instid1(VALU_DEP_2)
	v_ashrrev_i32_e32 v21, 31, v9
	v_ashrrev_i32_e32 v22, 31, v16
	s_delay_alu instid0(VALU_DEP_2) | instskip(NEXT) | instid1(VALU_DEP_2)
	v_or_b32_e32 v23, 0x80000000, v21
	v_or_b32_e32 v24, 0x80000000, v22
	v_xor_b32_e32 v8, v21, v8
	v_xor_b32_e32 v15, v22, v15
	s_delay_alu instid0(VALU_DEP_4) | instskip(NEXT) | instid1(VALU_DEP_4)
	v_xor_b32_e32 v9, v23, v9
	v_xor_b32_e32 v16, v24, v16
	s_delay_alu instid0(VALU_DEP_1)
	v_cmp_le_u64_e64 s7, v[8:9], v[15:16]
	s_and_b32 s13, s7, exec_lo
.LBB1133_181:
	s_wait_alu 0xfffe
	s_or_b32 exec_lo, exec_lo, s11
	s_delay_alu instid0(SALU_CYCLE_1)
	s_or_not1_b32 s11, s13, exec_lo
.LBB1133_182:
	s_wait_alu 0xfffe
	s_or_b32 exec_lo, exec_lo, s12
	v_cndmask_b32_e64 v8, v13, v14, s11
	v_cndmask_b32_e64 v9, v96, v87, s11
	s_mov_b32 s13, -1
	s_mov_b32 s12, -1
	s_mov_b32 s14, exec_lo
	v_add_nc_u32_e32 v16, 1, v8
	v_add_nc_u32_e32 v9, -1, v9
	v_lshl_add_u32 v8, v8, 3, v10
	s_delay_alu instid0(VALU_DEP_3) | instskip(NEXT) | instid1(VALU_DEP_3)
	v_cndmask_b32_e64 v15, v16, v13, s11
	v_min_u32_e32 v9, v16, v9
	v_cndmask_b32_e64 v16, v14, v16, s11
	s_delay_alu instid0(VALU_DEP_2)
	v_lshl_add_u32 v9, v9, 3, v10
	ds_load_b64 v[21:22], v9
	ds_load_b64 v[8:9], v8 offset:16384
	s_wait_dscnt 0x1
	v_cndmask_b32_e64 v39, v22, v30, s11
	v_cndmask_b32_e64 v38, v21, v29, s11
	;; [unrolled: 1-line block ×4, first 2 shown]
	v_cmpx_lt_u32_e64 v15, v96
	s_cbranch_execz .LBB1133_186
; %bb.183:
	s_mov_b32 s15, 0
	s_mov_b32 s12, exec_lo
	v_cmpx_lt_u32_e64 v16, v87
	s_cbranch_execz .LBB1133_185
; %bb.184:
	v_add_f64_e32 v[13:14], 0, v[38:39]
	v_add_f64_e32 v[21:22], 0, v[52:53]
	s_delay_alu instid0(VALU_DEP_2) | instskip(NEXT) | instid1(VALU_DEP_2)
	v_ashrrev_i32_e32 v23, 31, v14
	v_ashrrev_i32_e32 v24, 31, v22
	s_delay_alu instid0(VALU_DEP_2) | instskip(NEXT) | instid1(VALU_DEP_2)
	v_or_b32_e32 v25, 0x80000000, v23
	v_or_b32_e32 v26, 0x80000000, v24
	v_xor_b32_e32 v13, v23, v13
	v_xor_b32_e32 v21, v24, v21
	s_delay_alu instid0(VALU_DEP_4) | instskip(NEXT) | instid1(VALU_DEP_4)
	v_xor_b32_e32 v14, v25, v14
	v_xor_b32_e32 v22, v26, v22
	s_delay_alu instid0(VALU_DEP_1)
	v_cmp_le_u64_e64 s7, v[13:14], v[21:22]
	s_and_b32 s15, s7, exec_lo
.LBB1133_185:
	s_wait_alu 0xfffe
	s_or_b32 exec_lo, exec_lo, s12
	s_delay_alu instid0(SALU_CYCLE_1)
	s_or_not1_b32 s12, s15, exec_lo
.LBB1133_186:
	s_wait_alu 0xfffe
	s_or_b32 exec_lo, exec_lo, s14
	v_cndmask_b32_e64 v13, v15, v16, s12
	v_cndmask_b32_e64 v14, v96, v87, s12
	s_mov_b32 s14, exec_lo
	s_delay_alu instid0(VALU_DEP_2) | instskip(NEXT) | instid1(VALU_DEP_2)
	v_add_nc_u32_e32 v22, 1, v13
	v_add_nc_u32_e32 v14, -1, v14
	v_lshl_add_u32 v13, v13, 3, v10
	s_delay_alu instid0(VALU_DEP_3) | instskip(NEXT) | instid1(VALU_DEP_3)
	v_cndmask_b32_e64 v21, v22, v15, s12
	v_min_u32_e32 v14, v22, v14
	v_cndmask_b32_e64 v22, v16, v22, s12
	s_delay_alu instid0(VALU_DEP_2)
	v_lshl_add_u32 v14, v14, 3, v10
	ds_load_b64 v[23:24], v14
	ds_load_b64 v[13:14], v13 offset:16384
	s_wait_dscnt 0x1
	v_cndmask_b32_e64 v32, v24, v39, s12
	v_cndmask_b32_e64 v31, v23, v38, s12
	;; [unrolled: 1-line block ×4, first 2 shown]
	v_cmpx_lt_u32_e64 v21, v96
	s_cbranch_execz .LBB1133_190
; %bb.187:
	s_mov_b32 s15, 0
	s_mov_b32 s13, exec_lo
	v_cmpx_lt_u32_e64 v22, v87
	s_cbranch_execz .LBB1133_189
; %bb.188:
	v_add_f64_e32 v[15:16], 0, v[31:32]
	v_add_f64_e32 v[23:24], 0, v[54:55]
	s_delay_alu instid0(VALU_DEP_2) | instskip(NEXT) | instid1(VALU_DEP_2)
	v_ashrrev_i32_e32 v25, 31, v16
	v_ashrrev_i32_e32 v26, 31, v24
	s_delay_alu instid0(VALU_DEP_2) | instskip(NEXT) | instid1(VALU_DEP_2)
	v_or_b32_e32 v33, 0x80000000, v25
	v_or_b32_e32 v34, 0x80000000, v26
	v_xor_b32_e32 v15, v25, v15
	v_xor_b32_e32 v23, v26, v23
	s_delay_alu instid0(VALU_DEP_4) | instskip(NEXT) | instid1(VALU_DEP_4)
	v_xor_b32_e32 v16, v33, v16
	v_xor_b32_e32 v24, v34, v24
	s_delay_alu instid0(VALU_DEP_1)
	v_cmp_le_u64_e64 s7, v[15:16], v[23:24]
	s_and_b32 s15, s7, exec_lo
.LBB1133_189:
	s_wait_alu 0xfffe
	s_or_b32 exec_lo, exec_lo, s13
	s_delay_alu instid0(SALU_CYCLE_1)
	s_or_not1_b32 s13, s15, exec_lo
.LBB1133_190:
	s_wait_alu 0xfffe
	s_or_b32 exec_lo, exec_lo, s14
	v_cndmask_b32_e64 v15, v21, v22, s13
	v_cndmask_b32_e64 v16, v96, v87, s13
	s_mov_b32 s15, -1
	s_mov_b32 s14, -1
	s_mov_b32 s16, exec_lo
	v_add_nc_u32_e32 v25, 1, v15
	v_add_nc_u32_e32 v16, -1, v16
	v_lshl_add_u32 v15, v15, 3, v10
	s_delay_alu instid0(VALU_DEP_3) | instskip(NEXT) | instid1(VALU_DEP_3)
	v_cndmask_b32_e64 v21, v25, v21, s13
	v_min_u32_e32 v16, v25, v16
	v_cndmask_b32_e64 v22, v22, v25, s13
	s_delay_alu instid0(VALU_DEP_2)
	v_lshl_add_u32 v16, v16, 3, v10
	ds_load_b64 v[23:24], v16
	ds_load_b64 v[15:16], v15 offset:16384
	s_wait_dscnt 0x1
	v_cndmask_b32_e64 v26, v24, v32, s13
	v_cndmask_b32_e64 v25, v23, v31, s13
	v_cndmask_b32_e64 v65, v55, v24, s13
	v_cndmask_b32_e64 v64, v54, v23, s13
	v_cmpx_lt_u32_e64 v21, v96
	s_cbranch_execz .LBB1133_194
; %bb.191:
	s_mov_b32 s17, 0
	s_mov_b32 s14, exec_lo
	v_cmpx_lt_u32_e64 v22, v87
	s_cbranch_execz .LBB1133_193
; %bb.192:
	v_add_f64_e32 v[23:24], 0, v[25:26]
	v_add_f64_e32 v[33:34], 0, v[64:65]
	s_delay_alu instid0(VALU_DEP_2) | instskip(NEXT) | instid1(VALU_DEP_2)
	v_ashrrev_i32_e32 v35, 31, v24
	v_ashrrev_i32_e32 v36, 31, v34
	s_delay_alu instid0(VALU_DEP_2) | instskip(NEXT) | instid1(VALU_DEP_2)
	v_or_b32_e32 v37, 0x80000000, v35
	v_or_b32_e32 v66, 0x80000000, v36
	v_xor_b32_e32 v23, v35, v23
	v_xor_b32_e32 v33, v36, v33
	s_delay_alu instid0(VALU_DEP_4) | instskip(NEXT) | instid1(VALU_DEP_4)
	v_xor_b32_e32 v24, v37, v24
	v_xor_b32_e32 v34, v66, v34
	s_delay_alu instid0(VALU_DEP_1)
	v_cmp_le_u64_e64 s7, v[23:24], v[33:34]
	s_and_b32 s17, s7, exec_lo
.LBB1133_193:
	s_wait_alu 0xfffe
	s_or_b32 exec_lo, exec_lo, s14
	s_delay_alu instid0(SALU_CYCLE_1)
	s_or_not1_b32 s14, s17, exec_lo
.LBB1133_194:
	s_wait_alu 0xfffe
	s_or_b32 exec_lo, exec_lo, s16
	v_cndmask_b32_e64 v23, v21, v22, s14
	v_cndmask_b32_e64 v24, v96, v87, s14
	s_mov_b32 s16, exec_lo
	s_delay_alu instid0(VALU_DEP_2) | instskip(NEXT) | instid1(VALU_DEP_2)
	v_add_nc_u32_e32 v33, 1, v23
	v_add_nc_u32_e32 v24, -1, v24
	v_lshl_add_u32 v23, v23, 3, v10
	s_delay_alu instid0(VALU_DEP_3) | instskip(NEXT) | instid1(VALU_DEP_3)
	v_cndmask_b32_e64 v35, v33, v21, s14
	v_min_u32_e32 v24, v33, v24
	v_cndmask_b32_e64 v66, v22, v33, s14
	s_delay_alu instid0(VALU_DEP_2)
	v_lshl_add_u32 v24, v24, 3, v10
	ds_load_b64 v[36:37], v24
	ds_load_b64 v[23:24], v23 offset:16384
	s_wait_dscnt 0x1
	v_cndmask_b32_e64 v34, v37, v26, s14
	v_cndmask_b32_e64 v33, v36, v25, s14
	;; [unrolled: 1-line block ×4, first 2 shown]
	v_cmpx_lt_u32_e64 v35, v96
	s_cbranch_execz .LBB1133_198
; %bb.195:
	s_mov_b32 s17, 0
	s_mov_b32 s15, exec_lo
	v_cmpx_lt_u32_e64 v66, v87
	s_cbranch_execz .LBB1133_197
; %bb.196:
	v_add_f64_e32 v[21:22], 0, v[33:34]
	v_add_f64_e32 v[67:68], 0, v[36:37]
	s_delay_alu instid0(VALU_DEP_2) | instskip(NEXT) | instid1(VALU_DEP_2)
	v_ashrrev_i32_e32 v69, 31, v22
	v_ashrrev_i32_e32 v97, 31, v68
	s_delay_alu instid0(VALU_DEP_2) | instskip(NEXT) | instid1(VALU_DEP_2)
	v_or_b32_e32 v98, 0x80000000, v69
	v_or_b32_e32 v99, 0x80000000, v97
	v_xor_b32_e32 v21, v69, v21
	v_xor_b32_e32 v67, v97, v67
	s_delay_alu instid0(VALU_DEP_4) | instskip(NEXT) | instid1(VALU_DEP_4)
	v_xor_b32_e32 v22, v98, v22
	v_xor_b32_e32 v68, v99, v68
	s_delay_alu instid0(VALU_DEP_1)
	v_cmp_le_u64_e64 s7, v[21:22], v[67:68]
	s_and_b32 s17, s7, exec_lo
.LBB1133_197:
	s_wait_alu 0xfffe
	s_or_b32 exec_lo, exec_lo, s15
	s_delay_alu instid0(SALU_CYCLE_1)
	s_or_not1_b32 s15, s17, exec_lo
.LBB1133_198:
	s_wait_alu 0xfffe
	s_or_b32 exec_lo, exec_lo, s16
	v_cndmask_b32_e64 v21, v35, v66, s15
	v_cndmask_b32_e64 v22, v96, v87, s15
	s_mov_b32 s16, -1
	s_mov_b32 s17, exec_lo
	s_delay_alu instid0(VALU_DEP_2) | instskip(NEXT) | instid1(VALU_DEP_2)
	v_add_nc_u32_e32 v67, 1, v21
	v_add_nc_u32_e32 v22, -1, v22
	v_lshl_add_u32 v21, v21, 3, v10
	s_delay_alu instid0(VALU_DEP_3) | instskip(NEXT) | instid1(VALU_DEP_3)
	v_cndmask_b32_e64 v35, v67, v35, s15
	v_min_u32_e32 v22, v67, v22
	v_cndmask_b32_e64 v97, v66, v67, s15
	s_delay_alu instid0(VALU_DEP_2)
	v_lshl_add_u32 v22, v22, 3, v10
	ds_load_b64 v[68:69], v22
	ds_load_b64 v[21:22], v21 offset:16384
	s_wait_dscnt 0x1
	v_cndmask_b32_e64 v67, v69, v34, s15
	v_cndmask_b32_e64 v66, v68, v33, s15
	;; [unrolled: 1-line block ×4, first 2 shown]
	v_cmpx_lt_u32_e64 v35, v96
	s_cbranch_execz .LBB1133_202
; %bb.199:
	s_mov_b32 s18, 0
	s_mov_b32 s16, exec_lo
	v_cmpx_lt_u32_e64 v97, v87
	s_cbranch_execz .LBB1133_201
; %bb.200:
	v_add_f64_e32 v[98:99], 0, v[66:67]
	v_add_f64_e32 v[100:101], 0, v[68:69]
	s_delay_alu instid0(VALU_DEP_2) | instskip(NEXT) | instid1(VALU_DEP_2)
	v_ashrrev_i32_e32 v87, 31, v99
	v_ashrrev_i32_e32 v96, 31, v101
	s_delay_alu instid0(VALU_DEP_2) | instskip(NEXT) | instid1(VALU_DEP_2)
	v_or_b32_e32 v102, 0x80000000, v87
	v_or_b32_e32 v103, 0x80000000, v96
	v_xor_b32_e32 v98, v87, v98
	v_xor_b32_e32 v100, v96, v100
	s_delay_alu instid0(VALU_DEP_4) | instskip(NEXT) | instid1(VALU_DEP_4)
	v_xor_b32_e32 v99, v102, v99
	v_xor_b32_e32 v101, v103, v101
	s_delay_alu instid0(VALU_DEP_1)
	v_cmp_le_u64_e64 s7, v[98:99], v[100:101]
	s_and_b32 s18, s7, exec_lo
.LBB1133_201:
	s_wait_alu 0xfffe
	s_or_b32 exec_lo, exec_lo, s16
	s_delay_alu instid0(SALU_CYCLE_1)
	s_or_not1_b32 s16, s18, exec_lo
.LBB1133_202:
	s_wait_alu 0xfffe
	s_or_b32 exec_lo, exec_lo, s17
	v_cndmask_b32_e64 v35, v35, v97, s16
	v_cndmask_b32_e64 v37, v34, v37, s15
	;; [unrolled: 1-line block ×5, first 2 shown]
	v_lshl_add_u32 v35, v35, 3, v10
	v_cndmask_b32_e64 v33, v32, v55, s13
	v_cndmask_b32_e64 v32, v31, v54, s13
	;; [unrolled: 1-line block ×4, first 2 shown]
	ds_load_b64 v[34:35], v35 offset:16384
	v_cndmask_b32_e64 v30, v30, v51, s11
	v_cndmask_b32_e64 v29, v29, v50, s11
	;; [unrolled: 1-line block ×8, first 2 shown]
.LBB1133_203:
	s_wait_alu 0xfffe
	s_or_b32 exec_lo, exec_lo, s9
	v_and_b32_e32 v49, 0x80, v80
	v_min_u32_e32 v50, v82, v71
	s_mov_b32 s8, exec_lo
	; wave barrier
	s_delay_alu instid0(VALU_DEP_2)
	v_or_b32_e32 v31, 64, v49
	ds_store_2addr_b64 v81, v[17:18], v[27:28] offset1:1
	ds_store_2addr_b64 v81, v[29:30], v[38:39] offset0:2 offset1:3
	ds_store_2addr_b64 v83, v[0:1], v[4:5] offset1:1
	ds_store_2addr_b64 v84, v[8:9], v[13:14] offset1:1
	ds_store_2addr_b64 v81, v[32:33], v[25:26] offset0:4 offset1:5
	ds_store_2addr_b64 v81, v[36:37], v[19:20] offset0:6 offset1:7
	ds_store_2addr_b64 v85, v[15:16], v[23:24] offset1:1
	s_wait_dscnt 0x7
	ds_store_2addr_b64 v86, v[21:22], v[34:35] offset1:1
	v_min_u32_e32 v80, v82, v31
	; wave barrier
	s_delay_alu instid0(VALU_DEP_1) | instskip(NEXT) | instid1(VALU_DEP_1)
	v_add_nc_u32_e32 v31, 64, v80
	v_min_u32_e32 v87, v82, v31
	v_sub_nc_u32_e32 v31, v80, v49
	s_delay_alu instid0(VALU_DEP_2) | instskip(NEXT) | instid1(VALU_DEP_2)
	v_sub_nc_u32_e32 v48, v87, v80
	v_min_u32_e32 v51, v50, v31
	s_delay_alu instid0(VALU_DEP_2) | instskip(SKIP_1) | instid1(VALU_DEP_2)
	v_sub_nc_u32_e64 v31, v50, v48 clamp
	v_lshl_add_u32 v48, v49, 3, v10
	v_cmpx_lt_u32_e64 v31, v51
	s_cbranch_execz .LBB1133_207
; %bb.204:
	v_lshlrev_b32_e32 v52, 3, v80
	v_lshlrev_b32_e32 v53, 3, v50
	s_mov_b32 s9, 0
	s_delay_alu instid0(VALU_DEP_1)
	v_add3_u32 v52, v10, v52, v53
.LBB1133_205:                           ; =>This Inner Loop Header: Depth=1
	v_add_nc_u32_e32 v53, v51, v31
	s_delay_alu instid0(VALU_DEP_1) | instskip(NEXT) | instid1(VALU_DEP_1)
	v_lshrrev_b32_e32 v55, 1, v53
	v_not_b32_e32 v53, v55
	v_lshl_add_u32 v54, v55, 3, v48
	s_delay_alu instid0(VALU_DEP_2)
	v_lshl_add_u32 v64, v53, 3, v52
	ds_load_b64 v[53:54], v54
	ds_load_b64 v[64:65], v64
	s_wait_dscnt 0x1
	v_add_f64_e32 v[53:54], 0, v[53:54]
	s_wait_dscnt 0x0
	v_add_f64_e32 v[64:65], 0, v[64:65]
	s_delay_alu instid0(VALU_DEP_2) | instskip(NEXT) | instid1(VALU_DEP_2)
	v_ashrrev_i32_e32 v66, 31, v54
	v_ashrrev_i32_e32 v67, 31, v65
	s_delay_alu instid0(VALU_DEP_2) | instskip(NEXT) | instid1(VALU_DEP_2)
	v_or_b32_e32 v68, 0x80000000, v66
	v_or_b32_e32 v69, 0x80000000, v67
	v_xor_b32_e32 v53, v66, v53
	v_xor_b32_e32 v64, v67, v64
	s_delay_alu instid0(VALU_DEP_4) | instskip(NEXT) | instid1(VALU_DEP_4)
	v_xor_b32_e32 v54, v68, v54
	v_xor_b32_e32 v65, v69, v65
	s_delay_alu instid0(VALU_DEP_1) | instskip(SKIP_2) | instid1(VALU_DEP_2)
	v_cmp_gt_u64_e64 s7, v[64:65], v[53:54]
	v_add_nc_u32_e32 v53, 1, v55
	s_wait_alu 0xf1ff
	v_cndmask_b32_e64 v51, v51, v55, s7
	s_delay_alu instid0(VALU_DEP_2) | instskip(NEXT) | instid1(VALU_DEP_1)
	v_cndmask_b32_e64 v31, v53, v31, s7
	v_cmp_ge_u32_e64 s7, v31, v51
	s_wait_alu 0xfffe
	s_or_b32 s9, s7, s9
	s_wait_alu 0xfffe
	s_and_not1_b32 exec_lo, exec_lo, s9
	s_cbranch_execnz .LBB1133_205
; %bb.206:
	s_or_b32 exec_lo, exec_lo, s9
.LBB1133_207:
	s_wait_alu 0xfffe
	s_or_b32 exec_lo, exec_lo, s8
	v_add_nc_u32_e32 v50, v80, v50
	v_add_nc_u32_e32 v49, v31, v49
	s_delay_alu instid0(VALU_DEP_2) | instskip(NEXT) | instid1(VALU_DEP_2)
	v_sub_nc_u32_e32 v50, v50, v31
	v_cmp_le_u32_e64 s7, v49, v80
	s_delay_alu instid0(VALU_DEP_2)
	v_cmp_le_u32_e64 s8, v50, v87
	s_or_b32 s7, s7, s8
	s_wait_alu 0xfffe
	s_and_saveexec_b32 s9, s7
	s_cbranch_execz .LBB1133_243
; %bb.208:
	v_cmp_ge_u32_e64 s7, v49, v80
	s_mov_b32 s10, exec_lo
                                        ; implicit-def: $vgpr17_vgpr18
	v_cmpx_lt_u32_e64 v49, v80
; %bb.209:
	v_lshl_add_u32 v0, v31, 3, v48
	ds_load_b64 v[17:18], v0
; %bb.210:
	s_wait_alu 0xfffe
	s_or_b32 exec_lo, exec_lo, s10
	v_cmp_ge_u32_e64 s10, v50, v87
	s_mov_b32 s11, exec_lo
                                        ; implicit-def: $vgpr19_vgpr20
	v_cmpx_lt_u32_e64 v50, v87
; %bb.211:
	v_lshl_add_u32 v0, v50, 3, v10
	ds_load_b64 v[19:20], v0
; %bb.212:
	s_wait_alu 0xfffe
	s_or_b32 exec_lo, exec_lo, s11
	s_nor_b32 s7, s7, s10
	s_wait_alu 0xfffe
	s_and_saveexec_b32 s8, s7
	s_cbranch_execz .LBB1133_214
; %bb.213:
	s_wait_dscnt 0x0
	v_add_f64_e32 v[0:1], 0, v[19:20]
	v_add_f64_e32 v[4:5], 0, v[17:18]
	s_and_not1_b32 s10, s10, exec_lo
	s_delay_alu instid0(VALU_DEP_2) | instskip(NEXT) | instid1(VALU_DEP_2)
	v_ashrrev_i32_e32 v8, 31, v1
	v_ashrrev_i32_e32 v9, 31, v5
	s_delay_alu instid0(VALU_DEP_2) | instskip(NEXT) | instid1(VALU_DEP_2)
	v_or_b32_e32 v13, 0x80000000, v8
	v_or_b32_e32 v14, 0x80000000, v9
	v_xor_b32_e32 v0, v8, v0
	v_xor_b32_e32 v4, v9, v4
	s_delay_alu instid0(VALU_DEP_4) | instskip(NEXT) | instid1(VALU_DEP_4)
	v_xor_b32_e32 v1, v13, v1
	v_xor_b32_e32 v5, v14, v5
	s_delay_alu instid0(VALU_DEP_1)
	v_cmp_le_u64_e64 s7, v[0:1], v[4:5]
	s_and_b32 s7, s7, exec_lo
	s_wait_alu 0xfffe
	s_or_b32 s10, s10, s7
.LBB1133_214:
	s_wait_alu 0xfffe
	s_or_b32 exec_lo, exec_lo, s8
	v_cndmask_b32_e64 v0, v50, v49, s10
	v_cndmask_b32_e64 v1, v87, v80, s10
	s_mov_b32 s11, -1
	s_mov_b32 s8, -1
	s_mov_b32 s12, exec_lo
	v_add_nc_u32_e32 v9, 1, v0
	v_add_nc_u32_e32 v1, -1, v1
	v_lshl_add_u32 v0, v0, 3, v10
	s_delay_alu instid0(VALU_DEP_3) | instskip(NEXT) | instid1(VALU_DEP_3)
	v_cndmask_b32_e64 v8, v9, v50, s10
	v_min_u32_e32 v1, v9, v1
	v_cndmask_b32_e64 v9, v49, v9, s10
	s_delay_alu instid0(VALU_DEP_2)
	v_lshl_add_u32 v1, v1, 3, v10
	ds_load_b64 v[4:5], v1
	ds_load_b64 v[0:1], v0 offset:16384
	s_wait_dscnt 0x1
	v_cndmask_b32_e64 v28, v5, v20, s10
	v_cndmask_b32_e64 v27, v4, v19, s10
	;; [unrolled: 1-line block ×4, first 2 shown]
	v_cmpx_lt_u32_e64 v8, v87
	s_cbranch_execz .LBB1133_218
; %bb.215:
	s_mov_b32 s13, 0
	s_mov_b32 s8, exec_lo
	v_cmpx_lt_u32_e64 v9, v80
	s_cbranch_execz .LBB1133_217
; %bb.216:
	v_add_f64_e32 v[4:5], 0, v[27:28]
	v_add_f64_e32 v[13:14], 0, v[48:49]
	s_delay_alu instid0(VALU_DEP_2) | instskip(NEXT) | instid1(VALU_DEP_2)
	v_ashrrev_i32_e32 v15, 31, v5
	v_ashrrev_i32_e32 v16, 31, v14
	s_delay_alu instid0(VALU_DEP_2) | instskip(NEXT) | instid1(VALU_DEP_2)
	v_or_b32_e32 v21, 0x80000000, v15
	v_or_b32_e32 v22, 0x80000000, v16
	v_xor_b32_e32 v4, v15, v4
	v_xor_b32_e32 v13, v16, v13
	s_delay_alu instid0(VALU_DEP_4) | instskip(NEXT) | instid1(VALU_DEP_4)
	v_xor_b32_e32 v5, v21, v5
	v_xor_b32_e32 v14, v22, v14
	s_delay_alu instid0(VALU_DEP_1)
	v_cmp_le_u64_e64 s7, v[4:5], v[13:14]
	s_and_b32 s13, s7, exec_lo
.LBB1133_217:
	s_wait_alu 0xfffe
	s_or_b32 exec_lo, exec_lo, s8
	s_delay_alu instid0(SALU_CYCLE_1)
	s_or_not1_b32 s8, s13, exec_lo
.LBB1133_218:
	s_wait_alu 0xfffe
	s_or_b32 exec_lo, exec_lo, s12
	v_cndmask_b32_e64 v4, v8, v9, s8
	v_cndmask_b32_e64 v5, v87, v80, s8
	s_mov_b32 s12, exec_lo
	s_delay_alu instid0(VALU_DEP_2) | instskip(NEXT) | instid1(VALU_DEP_2)
	v_add_nc_u32_e32 v14, 1, v4
	v_add_nc_u32_e32 v5, -1, v5
	v_lshl_add_u32 v4, v4, 3, v10
	s_delay_alu instid0(VALU_DEP_3) | instskip(NEXT) | instid1(VALU_DEP_3)
	v_cndmask_b32_e64 v13, v14, v8, s8
	v_min_u32_e32 v5, v14, v5
	v_cndmask_b32_e64 v14, v9, v14, s8
	s_delay_alu instid0(VALU_DEP_2)
	v_lshl_add_u32 v5, v5, 3, v10
	ds_load_b64 v[15:16], v5
	ds_load_b64 v[4:5], v4 offset:16384
	s_wait_dscnt 0x1
	v_cndmask_b32_e64 v30, v16, v28, s8
	v_cndmask_b32_e64 v29, v15, v27, s8
	;; [unrolled: 1-line block ×4, first 2 shown]
	v_cmpx_lt_u32_e64 v13, v87
	s_cbranch_execz .LBB1133_222
; %bb.219:
	s_mov_b32 s13, 0
	s_mov_b32 s11, exec_lo
	v_cmpx_lt_u32_e64 v14, v80
	s_cbranch_execz .LBB1133_221
; %bb.220:
	v_add_f64_e32 v[8:9], 0, v[29:30]
	v_add_f64_e32 v[15:16], 0, v[50:51]
	s_delay_alu instid0(VALU_DEP_2) | instskip(NEXT) | instid1(VALU_DEP_2)
	v_ashrrev_i32_e32 v21, 31, v9
	v_ashrrev_i32_e32 v22, 31, v16
	s_delay_alu instid0(VALU_DEP_2) | instskip(NEXT) | instid1(VALU_DEP_2)
	v_or_b32_e32 v23, 0x80000000, v21
	v_or_b32_e32 v24, 0x80000000, v22
	v_xor_b32_e32 v8, v21, v8
	v_xor_b32_e32 v15, v22, v15
	s_delay_alu instid0(VALU_DEP_4) | instskip(NEXT) | instid1(VALU_DEP_4)
	v_xor_b32_e32 v9, v23, v9
	v_xor_b32_e32 v16, v24, v16
	s_delay_alu instid0(VALU_DEP_1)
	v_cmp_le_u64_e64 s7, v[8:9], v[15:16]
	s_and_b32 s13, s7, exec_lo
.LBB1133_221:
	s_wait_alu 0xfffe
	s_or_b32 exec_lo, exec_lo, s11
	s_delay_alu instid0(SALU_CYCLE_1)
	s_or_not1_b32 s11, s13, exec_lo
.LBB1133_222:
	s_wait_alu 0xfffe
	s_or_b32 exec_lo, exec_lo, s12
	v_cndmask_b32_e64 v8, v13, v14, s11
	v_cndmask_b32_e64 v9, v87, v80, s11
	s_mov_b32 s13, -1
	s_mov_b32 s12, -1
	s_mov_b32 s14, exec_lo
	v_add_nc_u32_e32 v16, 1, v8
	v_add_nc_u32_e32 v9, -1, v9
	v_lshl_add_u32 v8, v8, 3, v10
	s_delay_alu instid0(VALU_DEP_3) | instskip(NEXT) | instid1(VALU_DEP_3)
	v_cndmask_b32_e64 v15, v16, v13, s11
	v_min_u32_e32 v9, v16, v9
	v_cndmask_b32_e64 v16, v14, v16, s11
	s_delay_alu instid0(VALU_DEP_2)
	v_lshl_add_u32 v9, v9, 3, v10
	ds_load_b64 v[21:22], v9
	ds_load_b64 v[8:9], v8 offset:16384
	s_wait_dscnt 0x1
	v_cndmask_b32_e64 v39, v22, v30, s11
	v_cndmask_b32_e64 v38, v21, v29, s11
	;; [unrolled: 1-line block ×4, first 2 shown]
	v_cmpx_lt_u32_e64 v15, v87
	s_cbranch_execz .LBB1133_226
; %bb.223:
	s_mov_b32 s15, 0
	s_mov_b32 s12, exec_lo
	v_cmpx_lt_u32_e64 v16, v80
	s_cbranch_execz .LBB1133_225
; %bb.224:
	v_add_f64_e32 v[13:14], 0, v[38:39]
	v_add_f64_e32 v[21:22], 0, v[52:53]
	s_delay_alu instid0(VALU_DEP_2) | instskip(NEXT) | instid1(VALU_DEP_2)
	v_ashrrev_i32_e32 v23, 31, v14
	v_ashrrev_i32_e32 v24, 31, v22
	s_delay_alu instid0(VALU_DEP_2) | instskip(NEXT) | instid1(VALU_DEP_2)
	v_or_b32_e32 v25, 0x80000000, v23
	v_or_b32_e32 v26, 0x80000000, v24
	v_xor_b32_e32 v13, v23, v13
	v_xor_b32_e32 v21, v24, v21
	s_delay_alu instid0(VALU_DEP_4) | instskip(NEXT) | instid1(VALU_DEP_4)
	v_xor_b32_e32 v14, v25, v14
	v_xor_b32_e32 v22, v26, v22
	s_delay_alu instid0(VALU_DEP_1)
	v_cmp_le_u64_e64 s7, v[13:14], v[21:22]
	s_and_b32 s15, s7, exec_lo
.LBB1133_225:
	s_wait_alu 0xfffe
	s_or_b32 exec_lo, exec_lo, s12
	s_delay_alu instid0(SALU_CYCLE_1)
	s_or_not1_b32 s12, s15, exec_lo
.LBB1133_226:
	s_wait_alu 0xfffe
	s_or_b32 exec_lo, exec_lo, s14
	v_cndmask_b32_e64 v13, v15, v16, s12
	v_cndmask_b32_e64 v14, v87, v80, s12
	s_mov_b32 s14, exec_lo
	s_delay_alu instid0(VALU_DEP_2) | instskip(NEXT) | instid1(VALU_DEP_2)
	v_add_nc_u32_e32 v22, 1, v13
	v_add_nc_u32_e32 v14, -1, v14
	v_lshl_add_u32 v13, v13, 3, v10
	s_delay_alu instid0(VALU_DEP_3) | instskip(NEXT) | instid1(VALU_DEP_3)
	v_cndmask_b32_e64 v21, v22, v15, s12
	v_min_u32_e32 v14, v22, v14
	v_cndmask_b32_e64 v22, v16, v22, s12
	s_delay_alu instid0(VALU_DEP_2)
	v_lshl_add_u32 v14, v14, 3, v10
	ds_load_b64 v[23:24], v14
	ds_load_b64 v[13:14], v13 offset:16384
	s_wait_dscnt 0x1
	v_cndmask_b32_e64 v32, v24, v39, s12
	v_cndmask_b32_e64 v31, v23, v38, s12
	;; [unrolled: 1-line block ×4, first 2 shown]
	v_cmpx_lt_u32_e64 v21, v87
	s_cbranch_execz .LBB1133_230
; %bb.227:
	s_mov_b32 s15, 0
	s_mov_b32 s13, exec_lo
	v_cmpx_lt_u32_e64 v22, v80
	s_cbranch_execz .LBB1133_229
; %bb.228:
	v_add_f64_e32 v[15:16], 0, v[31:32]
	v_add_f64_e32 v[23:24], 0, v[54:55]
	s_delay_alu instid0(VALU_DEP_2) | instskip(NEXT) | instid1(VALU_DEP_2)
	v_ashrrev_i32_e32 v25, 31, v16
	v_ashrrev_i32_e32 v26, 31, v24
	s_delay_alu instid0(VALU_DEP_2) | instskip(NEXT) | instid1(VALU_DEP_2)
	v_or_b32_e32 v33, 0x80000000, v25
	v_or_b32_e32 v34, 0x80000000, v26
	v_xor_b32_e32 v15, v25, v15
	v_xor_b32_e32 v23, v26, v23
	s_delay_alu instid0(VALU_DEP_4) | instskip(NEXT) | instid1(VALU_DEP_4)
	v_xor_b32_e32 v16, v33, v16
	v_xor_b32_e32 v24, v34, v24
	s_delay_alu instid0(VALU_DEP_1)
	v_cmp_le_u64_e64 s7, v[15:16], v[23:24]
	s_and_b32 s15, s7, exec_lo
.LBB1133_229:
	s_wait_alu 0xfffe
	s_or_b32 exec_lo, exec_lo, s13
	s_delay_alu instid0(SALU_CYCLE_1)
	s_or_not1_b32 s13, s15, exec_lo
.LBB1133_230:
	s_wait_alu 0xfffe
	s_or_b32 exec_lo, exec_lo, s14
	v_cndmask_b32_e64 v15, v21, v22, s13
	v_cndmask_b32_e64 v16, v87, v80, s13
	s_mov_b32 s15, -1
	s_mov_b32 s14, -1
	s_mov_b32 s16, exec_lo
	v_add_nc_u32_e32 v25, 1, v15
	v_add_nc_u32_e32 v16, -1, v16
	v_lshl_add_u32 v15, v15, 3, v10
	s_delay_alu instid0(VALU_DEP_3) | instskip(NEXT) | instid1(VALU_DEP_3)
	v_cndmask_b32_e64 v21, v25, v21, s13
	v_min_u32_e32 v16, v25, v16
	v_cndmask_b32_e64 v22, v22, v25, s13
	s_delay_alu instid0(VALU_DEP_2)
	v_lshl_add_u32 v16, v16, 3, v10
	ds_load_b64 v[23:24], v16
	ds_load_b64 v[15:16], v15 offset:16384
	s_wait_dscnt 0x1
	v_cndmask_b32_e64 v26, v24, v32, s13
	v_cndmask_b32_e64 v25, v23, v31, s13
	;; [unrolled: 1-line block ×4, first 2 shown]
	v_cmpx_lt_u32_e64 v21, v87
	s_cbranch_execz .LBB1133_234
; %bb.231:
	s_mov_b32 s17, 0
	s_mov_b32 s14, exec_lo
	v_cmpx_lt_u32_e64 v22, v80
	s_cbranch_execz .LBB1133_233
; %bb.232:
	v_add_f64_e32 v[23:24], 0, v[25:26]
	v_add_f64_e32 v[33:34], 0, v[64:65]
	s_delay_alu instid0(VALU_DEP_2) | instskip(NEXT) | instid1(VALU_DEP_2)
	v_ashrrev_i32_e32 v35, 31, v24
	v_ashrrev_i32_e32 v36, 31, v34
	s_delay_alu instid0(VALU_DEP_2) | instskip(NEXT) | instid1(VALU_DEP_2)
	v_or_b32_e32 v37, 0x80000000, v35
	v_or_b32_e32 v66, 0x80000000, v36
	v_xor_b32_e32 v23, v35, v23
	v_xor_b32_e32 v33, v36, v33
	s_delay_alu instid0(VALU_DEP_4) | instskip(NEXT) | instid1(VALU_DEP_4)
	v_xor_b32_e32 v24, v37, v24
	v_xor_b32_e32 v34, v66, v34
	s_delay_alu instid0(VALU_DEP_1)
	v_cmp_le_u64_e64 s7, v[23:24], v[33:34]
	s_and_b32 s17, s7, exec_lo
.LBB1133_233:
	s_wait_alu 0xfffe
	s_or_b32 exec_lo, exec_lo, s14
	s_delay_alu instid0(SALU_CYCLE_1)
	s_or_not1_b32 s14, s17, exec_lo
.LBB1133_234:
	s_wait_alu 0xfffe
	s_or_b32 exec_lo, exec_lo, s16
	v_cndmask_b32_e64 v23, v21, v22, s14
	v_cndmask_b32_e64 v24, v87, v80, s14
	s_mov_b32 s16, exec_lo
	s_delay_alu instid0(VALU_DEP_2) | instskip(NEXT) | instid1(VALU_DEP_2)
	v_add_nc_u32_e32 v33, 1, v23
	v_add_nc_u32_e32 v24, -1, v24
	v_lshl_add_u32 v23, v23, 3, v10
	s_delay_alu instid0(VALU_DEP_3) | instskip(NEXT) | instid1(VALU_DEP_3)
	v_cndmask_b32_e64 v35, v33, v21, s14
	v_min_u32_e32 v24, v33, v24
	v_cndmask_b32_e64 v66, v22, v33, s14
	s_delay_alu instid0(VALU_DEP_2)
	v_lshl_add_u32 v24, v24, 3, v10
	ds_load_b64 v[36:37], v24
	ds_load_b64 v[23:24], v23 offset:16384
	s_wait_dscnt 0x1
	v_cndmask_b32_e64 v34, v37, v26, s14
	v_cndmask_b32_e64 v33, v36, v25, s14
	;; [unrolled: 1-line block ×4, first 2 shown]
	v_cmpx_lt_u32_e64 v35, v87
	s_cbranch_execz .LBB1133_238
; %bb.235:
	s_mov_b32 s17, 0
	s_mov_b32 s15, exec_lo
	v_cmpx_lt_u32_e64 v66, v80
	s_cbranch_execz .LBB1133_237
; %bb.236:
	v_add_f64_e32 v[21:22], 0, v[33:34]
	v_add_f64_e32 v[67:68], 0, v[36:37]
	s_delay_alu instid0(VALU_DEP_2) | instskip(NEXT) | instid1(VALU_DEP_2)
	v_ashrrev_i32_e32 v69, 31, v22
	v_ashrrev_i32_e32 v71, 31, v68
	s_delay_alu instid0(VALU_DEP_2) | instskip(NEXT) | instid1(VALU_DEP_2)
	v_or_b32_e32 v81, 0x80000000, v69
	v_or_b32_e32 v82, 0x80000000, v71
	v_xor_b32_e32 v21, v69, v21
	v_xor_b32_e32 v67, v71, v67
	s_delay_alu instid0(VALU_DEP_4) | instskip(NEXT) | instid1(VALU_DEP_4)
	v_xor_b32_e32 v22, v81, v22
	v_xor_b32_e32 v68, v82, v68
	s_delay_alu instid0(VALU_DEP_1)
	v_cmp_le_u64_e64 s7, v[21:22], v[67:68]
	s_and_b32 s17, s7, exec_lo
.LBB1133_237:
	s_wait_alu 0xfffe
	s_or_b32 exec_lo, exec_lo, s15
	s_delay_alu instid0(SALU_CYCLE_1)
	s_or_not1_b32 s15, s17, exec_lo
.LBB1133_238:
	s_wait_alu 0xfffe
	s_or_b32 exec_lo, exec_lo, s16
	v_cndmask_b32_e64 v21, v35, v66, s15
	v_cndmask_b32_e64 v22, v87, v80, s15
	s_mov_b32 s16, -1
	s_mov_b32 s17, exec_lo
	s_delay_alu instid0(VALU_DEP_2) | instskip(NEXT) | instid1(VALU_DEP_2)
	v_add_nc_u32_e32 v67, 1, v21
	v_add_nc_u32_e32 v22, -1, v22
	v_lshl_add_u32 v21, v21, 3, v10
	s_delay_alu instid0(VALU_DEP_3) | instskip(NEXT) | instid1(VALU_DEP_3)
	v_cndmask_b32_e64 v35, v67, v35, s15
	v_min_u32_e32 v22, v67, v22
	v_cndmask_b32_e64 v71, v66, v67, s15
	s_delay_alu instid0(VALU_DEP_2)
	v_lshl_add_u32 v22, v22, 3, v10
	ds_load_b64 v[68:69], v22
	ds_load_b64 v[21:22], v21 offset:16384
	s_wait_dscnt 0x1
	v_cndmask_b32_e64 v67, v69, v34, s15
	v_cndmask_b32_e64 v66, v68, v33, s15
	v_cndmask_b32_e64 v69, v37, v69, s15
	v_cndmask_b32_e64 v68, v36, v68, s15
	v_cmpx_lt_u32_e64 v35, v87
	s_cbranch_execz .LBB1133_242
; %bb.239:
	s_mov_b32 s18, 0
	s_mov_b32 s16, exec_lo
	v_cmpx_lt_u32_e64 v71, v80
	s_cbranch_execz .LBB1133_241
; %bb.240:
	v_add_f64_e32 v[80:81], 0, v[66:67]
	v_add_f64_e32 v[82:83], 0, v[68:69]
	s_delay_alu instid0(VALU_DEP_2) | instskip(NEXT) | instid1(VALU_DEP_2)
	v_ashrrev_i32_e32 v84, 31, v81
	v_ashrrev_i32_e32 v85, 31, v83
	s_delay_alu instid0(VALU_DEP_2) | instskip(NEXT) | instid1(VALU_DEP_2)
	v_or_b32_e32 v86, 0x80000000, v84
	v_or_b32_e32 v87, 0x80000000, v85
	v_xor_b32_e32 v80, v84, v80
	v_xor_b32_e32 v82, v85, v82
	s_delay_alu instid0(VALU_DEP_4) | instskip(NEXT) | instid1(VALU_DEP_4)
	v_xor_b32_e32 v81, v86, v81
	v_xor_b32_e32 v83, v87, v83
	s_delay_alu instid0(VALU_DEP_1)
	v_cmp_le_u64_e64 s7, v[80:81], v[82:83]
	s_and_b32 s18, s7, exec_lo
.LBB1133_241:
	s_wait_alu 0xfffe
	s_or_b32 exec_lo, exec_lo, s16
	s_delay_alu instid0(SALU_CYCLE_1)
	s_or_not1_b32 s16, s18, exec_lo
.LBB1133_242:
	s_wait_alu 0xfffe
	s_or_b32 exec_lo, exec_lo, s17
	v_cndmask_b32_e64 v35, v35, v71, s16
	v_cndmask_b32_e64 v37, v34, v37, s15
	v_cndmask_b32_e64 v36, v33, v36, s15
	v_cndmask_b32_e64 v26, v26, v65, s14
	v_cndmask_b32_e64 v25, v25, v64, s14
	v_lshl_add_u32 v10, v35, 3, v10
	v_cndmask_b32_e64 v33, v32, v55, s13
	v_cndmask_b32_e64 v32, v31, v54, s13
	;; [unrolled: 1-line block ×4, first 2 shown]
	ds_load_b64 v[34:35], v10 offset:16384
	v_cndmask_b32_e64 v30, v30, v51, s11
	v_cndmask_b32_e64 v29, v29, v50, s11
	;; [unrolled: 1-line block ×8, first 2 shown]
.LBB1133_243:
	s_wait_alu 0xfffe
	s_or_b32 exec_lo, exec_lo, s9
	v_add_co_u32 v2, s7, v2, v11
	s_wait_alu 0xf1ff
	v_add_co_ci_u32_e64 v3, null, v3, v12, s7
	s_delay_alu instid0(VALU_DEP_2) | instskip(SKIP_1) | instid1(VALU_DEP_2)
	v_add_co_u32 v2, s7, v2, v70
	s_wait_alu 0xf1ff
	v_add_co_ci_u32_e64 v3, null, 0, v3, s7
	; wave barrier
	s_wait_storecnt_dscnt 0x0
	s_barrier_signal -1
	s_barrier_wait -1
	global_inv scope:SCOPE_SE
	; wave barrier
	s_and_saveexec_b32 s7, vcc_lo
	s_cbranch_execnz .LBB1133_268
; %bb.244:
	s_wait_alu 0xfffe
	s_or_b32 exec_lo, exec_lo, s7
	s_and_saveexec_b32 s7, s0
	s_cbranch_execnz .LBB1133_269
.LBB1133_245:
	s_wait_alu 0xfffe
	s_or_b32 exec_lo, exec_lo, s7
	s_and_saveexec_b32 s7, s1
	s_cbranch_execnz .LBB1133_270
.LBB1133_246:
	s_wait_alu 0xfffe
	s_or_b32 exec_lo, exec_lo, s7
	s_and_saveexec_b32 s7, s2
	s_cbranch_execnz .LBB1133_271
.LBB1133_247:
	s_wait_alu 0xfffe
	s_or_b32 exec_lo, exec_lo, s7
	s_and_saveexec_b32 s7, s3
	s_cbranch_execnz .LBB1133_272
.LBB1133_248:
	s_wait_alu 0xfffe
	s_or_b32 exec_lo, exec_lo, s7
	s_and_saveexec_b32 s7, s4
	s_cbranch_execnz .LBB1133_273
.LBB1133_249:
	s_wait_alu 0xfffe
	s_or_b32 exec_lo, exec_lo, s7
	s_and_saveexec_b32 s7, s5
	s_cbranch_execnz .LBB1133_274
.LBB1133_250:
	s_wait_alu 0xfffe
	s_or_b32 exec_lo, exec_lo, s7
	s_and_saveexec_b32 s7, s6
	s_cbranch_execz .LBB1133_252
.LBB1133_251:
	flat_store_b64 v[2:3], v[19:20] offset:56
.LBB1133_252:
	s_wait_alu 0xfffe
	s_or_b32 exec_lo, exec_lo, s7
	v_add_co_u32 v2, s7, v6, v11
	s_wait_alu 0xf1ff
	v_add_co_ci_u32_e64 v3, null, v7, v12, s7
	s_delay_alu instid0(VALU_DEP_2) | instskip(SKIP_1) | instid1(VALU_DEP_2)
	v_add_co_u32 v2, s7, v2, v70
	s_wait_alu 0xf1ff
	v_add_co_ci_u32_e64 v3, null, 0, v3, s7
	; wave barrier
	s_and_saveexec_b32 s7, vcc_lo
	s_cbranch_execnz .LBB1133_275
; %bb.253:
	s_wait_alu 0xfffe
	s_or_b32 exec_lo, exec_lo, s7
	s_and_saveexec_b32 s7, s0
	s_cbranch_execnz .LBB1133_276
.LBB1133_254:
	s_wait_alu 0xfffe
	s_or_b32 exec_lo, exec_lo, s7
	s_and_saveexec_b32 s0, s1
	s_cbranch_execnz .LBB1133_277
.LBB1133_255:
	s_wait_alu 0xfffe
	s_or_b32 exec_lo, exec_lo, s0
	s_and_saveexec_b32 s0, s2
	s_cbranch_execnz .LBB1133_278
.LBB1133_256:
	s_wait_alu 0xfffe
	s_or_b32 exec_lo, exec_lo, s0
	s_and_saveexec_b32 s0, s3
	s_cbranch_execnz .LBB1133_279
.LBB1133_257:
	s_wait_alu 0xfffe
	s_or_b32 exec_lo, exec_lo, s0
	s_and_saveexec_b32 s0, s4
	s_cbranch_execnz .LBB1133_280
.LBB1133_258:
	s_wait_alu 0xfffe
	s_or_b32 exec_lo, exec_lo, s0
	s_and_saveexec_b32 s0, s5
	s_cbranch_execnz .LBB1133_281
.LBB1133_259:
	s_wait_alu 0xfffe
	s_or_b32 exec_lo, exec_lo, s0
	s_and_saveexec_b32 s0, s6
	s_cbranch_execnz .LBB1133_282
.LBB1133_260:
	s_wait_alu 0xfffe
	s_or_b32 exec_lo, exec_lo, s0
	s_wait_loadcnt_dscnt 0x0
	s_setpc_b64 s[30:31]
.LBB1133_261:
	flat_load_b64 v[0:1], v[48:49]
	s_wait_alu 0xfffe
	s_or_b32 exec_lo, exec_lo, s7
	s_and_saveexec_b32 s7, s0
                                        ; implicit-def: $vgpr4_vgpr5
	s_cbranch_execz .LBB1133_18
.LBB1133_262:
	flat_load_b64 v[4:5], v[48:49] offset:8
	s_wait_alu 0xfffe
	s_or_b32 exec_lo, exec_lo, s7
                                        ; implicit-def: $vgpr8_vgpr9
	s_and_saveexec_b32 s7, s1
	s_cbranch_execz .LBB1133_19
.LBB1133_263:
	flat_load_b64 v[8:9], v[48:49] offset:16
	s_wait_alu 0xfffe
	s_or_b32 exec_lo, exec_lo, s7
	s_and_saveexec_b32 s7, s2
                                        ; implicit-def: $vgpr13_vgpr14
	s_cbranch_execz .LBB1133_20
.LBB1133_264:
	flat_load_b64 v[13:14], v[48:49] offset:24
	s_wait_alu 0xfffe
	s_or_b32 exec_lo, exec_lo, s7
                                        ; implicit-def: $vgpr15_vgpr16
	s_and_saveexec_b32 s7, s3
	s_cbranch_execz .LBB1133_21
.LBB1133_265:
	flat_load_b64 v[15:16], v[48:49] offset:32
	s_wait_alu 0xfffe
	s_or_b32 exec_lo, exec_lo, s7
	s_and_saveexec_b32 s7, s4
                                        ; implicit-def: $vgpr23_vgpr24
	s_cbranch_execz .LBB1133_22
.LBB1133_266:
	flat_load_b64 v[23:24], v[48:49] offset:40
	s_wait_alu 0xfffe
	s_or_b32 exec_lo, exec_lo, s7
                                        ; implicit-def: $vgpr21_vgpr22
	s_and_saveexec_b32 s7, s5
	s_cbranch_execz .LBB1133_23
.LBB1133_267:
	flat_load_b64 v[21:22], v[48:49] offset:48
	s_wait_alu 0xfffe
	s_or_b32 exec_lo, exec_lo, s7
	s_and_saveexec_b32 s7, s6
                                        ; implicit-def: $vgpr34_vgpr35
	s_cbranch_execnz .LBB1133_24
	s_branch .LBB1133_25
.LBB1133_268:
	flat_store_b64 v[2:3], v[17:18]
	s_wait_alu 0xfffe
	s_or_b32 exec_lo, exec_lo, s7
	s_and_saveexec_b32 s7, s0
	s_cbranch_execz .LBB1133_245
.LBB1133_269:
	flat_store_b64 v[2:3], v[27:28] offset:8
	s_wait_alu 0xfffe
	s_or_b32 exec_lo, exec_lo, s7
	s_and_saveexec_b32 s7, s1
	s_cbranch_execz .LBB1133_246
.LBB1133_270:
	flat_store_b64 v[2:3], v[29:30] offset:16
	s_wait_alu 0xfffe
	s_or_b32 exec_lo, exec_lo, s7
	s_and_saveexec_b32 s7, s2
	s_cbranch_execz .LBB1133_247
.LBB1133_271:
	flat_store_b64 v[2:3], v[38:39] offset:24
	s_wait_alu 0xfffe
	s_or_b32 exec_lo, exec_lo, s7
	s_and_saveexec_b32 s7, s3
	s_cbranch_execz .LBB1133_248
.LBB1133_272:
	flat_store_b64 v[2:3], v[32:33] offset:32
	s_wait_alu 0xfffe
	s_or_b32 exec_lo, exec_lo, s7
	s_and_saveexec_b32 s7, s4
	s_cbranch_execz .LBB1133_249
.LBB1133_273:
	flat_store_b64 v[2:3], v[25:26] offset:40
	s_wait_alu 0xfffe
	s_or_b32 exec_lo, exec_lo, s7
	s_and_saveexec_b32 s7, s5
	s_cbranch_execz .LBB1133_250
.LBB1133_274:
	flat_store_b64 v[2:3], v[36:37] offset:48
	s_wait_alu 0xfffe
	s_or_b32 exec_lo, exec_lo, s7
	s_and_saveexec_b32 s7, s6
	s_cbranch_execnz .LBB1133_251
	s_branch .LBB1133_252
.LBB1133_275:
	flat_store_b64 v[2:3], v[0:1]
	s_wait_alu 0xfffe
	s_or_b32 exec_lo, exec_lo, s7
	s_and_saveexec_b32 s7, s0
	s_cbranch_execz .LBB1133_254
.LBB1133_276:
	flat_store_b64 v[2:3], v[4:5] offset:8
	s_wait_alu 0xfffe
	s_or_b32 exec_lo, exec_lo, s7
	s_and_saveexec_b32 s0, s1
	s_cbranch_execz .LBB1133_255
.LBB1133_277:
	flat_store_b64 v[2:3], v[8:9] offset:16
	s_wait_alu 0xfffe
	s_or_b32 exec_lo, exec_lo, s0
	s_and_saveexec_b32 s0, s2
	s_cbranch_execz .LBB1133_256
.LBB1133_278:
	flat_store_b64 v[2:3], v[13:14] offset:24
	s_wait_alu 0xfffe
	s_or_b32 exec_lo, exec_lo, s0
	s_and_saveexec_b32 s0, s3
	s_cbranch_execz .LBB1133_257
.LBB1133_279:
	flat_store_b64 v[2:3], v[15:16] offset:32
	s_wait_alu 0xfffe
	s_or_b32 exec_lo, exec_lo, s0
	s_and_saveexec_b32 s0, s4
	s_cbranch_execz .LBB1133_258
.LBB1133_280:
	flat_store_b64 v[2:3], v[23:24] offset:40
	s_wait_alu 0xfffe
	s_or_b32 exec_lo, exec_lo, s0
	s_and_saveexec_b32 s0, s5
	s_cbranch_execz .LBB1133_259
.LBB1133_281:
	flat_store_b64 v[2:3], v[21:22] offset:48
	s_wait_alu 0xfffe
	s_or_b32 exec_lo, exec_lo, s0
	s_and_saveexec_b32 s0, s6
	s_cbranch_execz .LBB1133_260
.LBB1133_282:
	flat_store_b64 v[2:3], v[34:35] offset:56
	s_wait_alu 0xfffe
	s_or_b32 exec_lo, exec_lo, s0
	s_wait_loadcnt_dscnt 0x0
	s_setpc_b64 s[30:31]
.Lfunc_end1133:
	.size	_ZN7rocprim17ROCPRIM_400000_NS6detail26segmented_warp_sort_helperINS1_20WarpSortHelperConfigILj16ELj8ELj256EEEdlLi256ELb1EvE4sortIPKdPdPKlPlEEvT_T0_T1_T2_jjjjRNS5_12storage_typeE, .Lfunc_end1133-_ZN7rocprim17ROCPRIM_400000_NS6detail26segmented_warp_sort_helperINS1_20WarpSortHelperConfigILj16ELj8ELj256EEEdlLi256ELb1EvE4sortIPKdPdPKlPlEEvT_T0_T1_T2_jjjjRNS5_12storage_typeE
                                        ; -- End function
	.set .L_ZN7rocprim17ROCPRIM_400000_NS6detail26segmented_warp_sort_helperINS1_20WarpSortHelperConfigILj16ELj8ELj256EEEdlLi256ELb1EvE4sortIPKdPdPKlPlEEvT_T0_T1_T2_jjjjRNS5_12storage_typeE.num_vgpr, 104
	.set .L_ZN7rocprim17ROCPRIM_400000_NS6detail26segmented_warp_sort_helperINS1_20WarpSortHelperConfigILj16ELj8ELj256EEEdlLi256ELb1EvE4sortIPKdPdPKlPlEEvT_T0_T1_T2_jjjjRNS5_12storage_typeE.num_agpr, 0
	.set .L_ZN7rocprim17ROCPRIM_400000_NS6detail26segmented_warp_sort_helperINS1_20WarpSortHelperConfigILj16ELj8ELj256EEEdlLi256ELb1EvE4sortIPKdPdPKlPlEEvT_T0_T1_T2_jjjjRNS5_12storage_typeE.numbered_sgpr, 32
	.set .L_ZN7rocprim17ROCPRIM_400000_NS6detail26segmented_warp_sort_helperINS1_20WarpSortHelperConfigILj16ELj8ELj256EEEdlLi256ELb1EvE4sortIPKdPdPKlPlEEvT_T0_T1_T2_jjjjRNS5_12storage_typeE.num_named_barrier, 0
	.set .L_ZN7rocprim17ROCPRIM_400000_NS6detail26segmented_warp_sort_helperINS1_20WarpSortHelperConfigILj16ELj8ELj256EEEdlLi256ELb1EvE4sortIPKdPdPKlPlEEvT_T0_T1_T2_jjjjRNS5_12storage_typeE.private_seg_size, 0
	.set .L_ZN7rocprim17ROCPRIM_400000_NS6detail26segmented_warp_sort_helperINS1_20WarpSortHelperConfigILj16ELj8ELj256EEEdlLi256ELb1EvE4sortIPKdPdPKlPlEEvT_T0_T1_T2_jjjjRNS5_12storage_typeE.uses_vcc, 1
	.set .L_ZN7rocprim17ROCPRIM_400000_NS6detail26segmented_warp_sort_helperINS1_20WarpSortHelperConfigILj16ELj8ELj256EEEdlLi256ELb1EvE4sortIPKdPdPKlPlEEvT_T0_T1_T2_jjjjRNS5_12storage_typeE.uses_flat_scratch, 0
	.set .L_ZN7rocprim17ROCPRIM_400000_NS6detail26segmented_warp_sort_helperINS1_20WarpSortHelperConfigILj16ELj8ELj256EEEdlLi256ELb1EvE4sortIPKdPdPKlPlEEvT_T0_T1_T2_jjjjRNS5_12storage_typeE.has_dyn_sized_stack, 0
	.set .L_ZN7rocprim17ROCPRIM_400000_NS6detail26segmented_warp_sort_helperINS1_20WarpSortHelperConfigILj16ELj8ELj256EEEdlLi256ELb1EvE4sortIPKdPdPKlPlEEvT_T0_T1_T2_jjjjRNS5_12storage_typeE.has_recursion, 0
	.set .L_ZN7rocprim17ROCPRIM_400000_NS6detail26segmented_warp_sort_helperINS1_20WarpSortHelperConfigILj16ELj8ELj256EEEdlLi256ELb1EvE4sortIPKdPdPKlPlEEvT_T0_T1_T2_jjjjRNS5_12storage_typeE.has_indirect_call, 0
	.section	.AMDGPU.csdata,"",@progbits
; Function info:
; codeLenInByte = 16156
; TotalNumSgprs: 34
; NumVgprs: 104
; ScratchSize: 0
; MemoryBound: 0
	.section	.text._ZN7rocprim17ROCPRIM_400000_NS6detail17trampoline_kernelINS0_14default_configENS1_36segmented_radix_sort_config_selectorIdlEEZNS1_25segmented_radix_sort_implIS3_Lb1EPKdPdPKlPlN2at6native12_GLOBAL__N_18offset_tEEE10hipError_tPvRmT1_PNSt15iterator_traitsISK_E10value_typeET2_T3_PNSL_ISQ_E10value_typeET4_jRbjT5_SW_jjP12ihipStream_tbEUlT_E0_NS1_11comp_targetILNS1_3genE10ELNS1_11target_archE1201ELNS1_3gpuE5ELNS1_3repE0EEENS1_60segmented_radix_sort_warp_sort_medium_config_static_selectorELNS0_4arch9wavefront6targetE0EEEvSK_,"axG",@progbits,_ZN7rocprim17ROCPRIM_400000_NS6detail17trampoline_kernelINS0_14default_configENS1_36segmented_radix_sort_config_selectorIdlEEZNS1_25segmented_radix_sort_implIS3_Lb1EPKdPdPKlPlN2at6native12_GLOBAL__N_18offset_tEEE10hipError_tPvRmT1_PNSt15iterator_traitsISK_E10value_typeET2_T3_PNSL_ISQ_E10value_typeET4_jRbjT5_SW_jjP12ihipStream_tbEUlT_E0_NS1_11comp_targetILNS1_3genE10ELNS1_11target_archE1201ELNS1_3gpuE5ELNS1_3repE0EEENS1_60segmented_radix_sort_warp_sort_medium_config_static_selectorELNS0_4arch9wavefront6targetE0EEEvSK_,comdat
	.globl	_ZN7rocprim17ROCPRIM_400000_NS6detail17trampoline_kernelINS0_14default_configENS1_36segmented_radix_sort_config_selectorIdlEEZNS1_25segmented_radix_sort_implIS3_Lb1EPKdPdPKlPlN2at6native12_GLOBAL__N_18offset_tEEE10hipError_tPvRmT1_PNSt15iterator_traitsISK_E10value_typeET2_T3_PNSL_ISQ_E10value_typeET4_jRbjT5_SW_jjP12ihipStream_tbEUlT_E0_NS1_11comp_targetILNS1_3genE10ELNS1_11target_archE1201ELNS1_3gpuE5ELNS1_3repE0EEENS1_60segmented_radix_sort_warp_sort_medium_config_static_selectorELNS0_4arch9wavefront6targetE0EEEvSK_ ; -- Begin function _ZN7rocprim17ROCPRIM_400000_NS6detail17trampoline_kernelINS0_14default_configENS1_36segmented_radix_sort_config_selectorIdlEEZNS1_25segmented_radix_sort_implIS3_Lb1EPKdPdPKlPlN2at6native12_GLOBAL__N_18offset_tEEE10hipError_tPvRmT1_PNSt15iterator_traitsISK_E10value_typeET2_T3_PNSL_ISQ_E10value_typeET4_jRbjT5_SW_jjP12ihipStream_tbEUlT_E0_NS1_11comp_targetILNS1_3genE10ELNS1_11target_archE1201ELNS1_3gpuE5ELNS1_3repE0EEENS1_60segmented_radix_sort_warp_sort_medium_config_static_selectorELNS0_4arch9wavefront6targetE0EEEvSK_
	.p2align	8
	.type	_ZN7rocprim17ROCPRIM_400000_NS6detail17trampoline_kernelINS0_14default_configENS1_36segmented_radix_sort_config_selectorIdlEEZNS1_25segmented_radix_sort_implIS3_Lb1EPKdPdPKlPlN2at6native12_GLOBAL__N_18offset_tEEE10hipError_tPvRmT1_PNSt15iterator_traitsISK_E10value_typeET2_T3_PNSL_ISQ_E10value_typeET4_jRbjT5_SW_jjP12ihipStream_tbEUlT_E0_NS1_11comp_targetILNS1_3genE10ELNS1_11target_archE1201ELNS1_3gpuE5ELNS1_3repE0EEENS1_60segmented_radix_sort_warp_sort_medium_config_static_selectorELNS0_4arch9wavefront6targetE0EEEvSK_,@function
_ZN7rocprim17ROCPRIM_400000_NS6detail17trampoline_kernelINS0_14default_configENS1_36segmented_radix_sort_config_selectorIdlEEZNS1_25segmented_radix_sort_implIS3_Lb1EPKdPdPKlPlN2at6native12_GLOBAL__N_18offset_tEEE10hipError_tPvRmT1_PNSt15iterator_traitsISK_E10value_typeET2_T3_PNSL_ISQ_E10value_typeET4_jRbjT5_SW_jjP12ihipStream_tbEUlT_E0_NS1_11comp_targetILNS1_3genE10ELNS1_11target_archE1201ELNS1_3gpuE5ELNS1_3repE0EEENS1_60segmented_radix_sort_warp_sort_medium_config_static_selectorELNS0_4arch9wavefront6targetE0EEEvSK_: ; @_ZN7rocprim17ROCPRIM_400000_NS6detail17trampoline_kernelINS0_14default_configENS1_36segmented_radix_sort_config_selectorIdlEEZNS1_25segmented_radix_sort_implIS3_Lb1EPKdPdPKlPlN2at6native12_GLOBAL__N_18offset_tEEE10hipError_tPvRmT1_PNSt15iterator_traitsISK_E10value_typeET2_T3_PNSL_ISQ_E10value_typeET4_jRbjT5_SW_jjP12ihipStream_tbEUlT_E0_NS1_11comp_targetILNS1_3genE10ELNS1_11target_archE1201ELNS1_3gpuE5ELNS1_3repE0EEENS1_60segmented_radix_sort_warp_sort_medium_config_static_selectorELNS0_4arch9wavefront6targetE0EEEvSK_
; %bb.0:
	s_load_b32 s2, s[0:1], 0x64
	v_bfe_u32 v1, v0, 10, 10
	v_bfe_u32 v2, v0, 20, 10
	s_mov_b32 s32, 0
	s_wait_kmcnt 0x0
	s_lshr_b32 s3, s2, 16
	s_and_b32 s2, s2, 0xffff
	v_mad_u32_u24 v2, v2, s3, v1
	v_and_b32_e32 v1, 0x3ff, v0
	s_load_b32 s3, s[0:1], 0x34
	s_delay_alu instid0(VALU_DEP_1) | instskip(SKIP_2) | instid1(VALU_DEP_1)
	v_mad_co_u64_u32 v[1:2], null, v2, s2, v[1:2]
	s_mov_b32 s2, exec_lo
	v_lshrrev_b32_e32 v1, 4, v1
	v_lshl_add_u32 v1, ttmp9, 4, v1
	s_wait_kmcnt 0x0
	s_delay_alu instid0(VALU_DEP_1)
	v_cmpx_gt_u32_e64 s3, v1
	s_cbranch_execz .LBB1134_6
; %bb.1:
	s_clause 0x1
	s_load_b64 s[2:3], s[0:1], 0x38
	s_load_b128 s[4:7], s[0:1], 0x40
	v_mov_b32_e32 v2, 0
	s_delay_alu instid0(VALU_DEP_1) | instskip(SKIP_1) | instid1(VALU_DEP_1)
	v_lshlrev_b64_e32 v[1:2], 2, v[1:2]
	s_wait_kmcnt 0x0
	v_add_co_u32 v1, vcc_lo, s2, v1
	s_delay_alu instid0(VALU_DEP_1) | instskip(SKIP_4) | instid1(VALU_DEP_2)
	v_add_co_ci_u32_e64 v2, null, s3, v2, vcc_lo
	global_load_b32 v1, v[1:2], off
	s_wait_loadcnt 0x0
	v_add_nc_u32_e32 v2, s5, v1
	v_add_nc_u32_e32 v1, s7, v1
	v_mul_lo_u32 v40, v2, s4
	s_delay_alu instid0(VALU_DEP_2) | instskip(NEXT) | instid1(VALU_DEP_1)
	v_mul_lo_u32 v41, v1, s6
	v_cmp_gt_u32_e32 vcc_lo, v41, v40
	s_and_b32 exec_lo, exec_lo, vcc_lo
	s_cbranch_execz .LBB1134_6
; %bb.2:
	s_clause 0x2
	s_load_b32 s2, s[0:1], 0x30
	s_load_b128 s[24:27], s[0:1], 0x20
	s_load_b256 s[36:43], s[0:1], 0x0
	s_add_nc_u64 s[20:21], s[0:1], 0x58
	s_wait_kmcnt 0x0
	s_bitcmp0_b32 s2, 0
	s_mov_b32 s2, -1
	s_cbranch_scc0 .LBB1134_4
; %bb.3:
	v_dual_mov_b32 v31, v0 :: v_dual_mov_b32 v42, v0
	v_dual_mov_b32 v0, s36 :: v_dual_mov_b32 v1, s37
	;; [unrolled: 1-line block ×6, first 2 shown]
	s_getpc_b64 s[0:1]
	s_wait_alu 0xfffe
	s_sext_i32_i16 s1, s1
	s_add_co_u32 s0, s0, _ZN7rocprim17ROCPRIM_400000_NS6detail26segmented_warp_sort_helperINS1_20WarpSortHelperConfigILj16ELj8ELj256EEEdlLi256ELb1EvE4sortIPKdPdPKlPlEEvT_T0_T1_T2_jjjjRNS5_12storage_typeE@rel32@lo+12
	s_wait_alu 0xfffe
	s_add_co_ci_u32 s1, s1, _ZN7rocprim17ROCPRIM_400000_NS6detail26segmented_warp_sort_helperINS1_20WarpSortHelperConfigILj16ELj8ELj256EEEdlLi256ELb1EvE4sortIPKdPdPKlPlEEvT_T0_T1_T2_jjjjRNS5_12storage_typeE@rel32@hi+24
	s_mov_b64 s[8:9], s[20:21]
	s_wait_alu 0xfffe
	s_swappc_b64 s[30:31], s[0:1]
	v_mov_b32_e32 v0, v42
	s_mov_b32 s2, 0
.LBB1134_4:
	s_wait_alu 0xfffe
	s_and_not1_b32 vcc_lo, exec_lo, s2
	s_wait_alu 0xfffe
	s_cbranch_vccnz .LBB1134_6
; %bb.5:
	v_dual_mov_b32 v31, v0 :: v_dual_mov_b32 v0, s36
	v_dual_mov_b32 v1, s37 :: v_dual_mov_b32 v2, s40
	v_dual_mov_b32 v3, s41 :: v_dual_mov_b32 v4, s42
	v_dual_mov_b32 v5, s43 :: v_dual_mov_b32 v6, s26
	v_dual_mov_b32 v7, s27 :: v_dual_mov_b32 v8, v40
	v_mov_b32_e32 v9, v41
	s_getpc_b64 s[0:1]
	s_wait_alu 0xfffe
	s_sext_i32_i16 s1, s1
	s_add_co_u32 s0, s0, _ZN7rocprim17ROCPRIM_400000_NS6detail26segmented_warp_sort_helperINS1_20WarpSortHelperConfigILj16ELj8ELj256EEEdlLi256ELb1EvE4sortIPKdPdPKlPlEEvT_T0_T1_T2_jjjjRNS5_12storage_typeE@rel32@lo+12
	s_wait_alu 0xfffe
	s_add_co_ci_u32 s1, s1, _ZN7rocprim17ROCPRIM_400000_NS6detail26segmented_warp_sort_helperINS1_20WarpSortHelperConfigILj16ELj8ELj256EEEdlLi256ELb1EvE4sortIPKdPdPKlPlEEvT_T0_T1_T2_jjjjRNS5_12storage_typeE@rel32@hi+24
	s_mov_b64 s[8:9], s[20:21]
	s_wait_alu 0xfffe
	s_swappc_b64 s[30:31], s[0:1]
.LBB1134_6:
	s_endpgm
	.section	.rodata,"a",@progbits
	.p2align	6, 0x0
	.amdhsa_kernel _ZN7rocprim17ROCPRIM_400000_NS6detail17trampoline_kernelINS0_14default_configENS1_36segmented_radix_sort_config_selectorIdlEEZNS1_25segmented_radix_sort_implIS3_Lb1EPKdPdPKlPlN2at6native12_GLOBAL__N_18offset_tEEE10hipError_tPvRmT1_PNSt15iterator_traitsISK_E10value_typeET2_T3_PNSL_ISQ_E10value_typeET4_jRbjT5_SW_jjP12ihipStream_tbEUlT_E0_NS1_11comp_targetILNS1_3genE10ELNS1_11target_archE1201ELNS1_3gpuE5ELNS1_3repE0EEENS1_60segmented_radix_sort_warp_sort_medium_config_static_selectorELNS0_4arch9wavefront6targetE0EEEvSK_
		.amdhsa_group_segment_fixed_size 32768
		.amdhsa_private_segment_fixed_size 0
		.amdhsa_kernarg_size 344
		.amdhsa_user_sgpr_count 2
		.amdhsa_user_sgpr_dispatch_ptr 0
		.amdhsa_user_sgpr_queue_ptr 0
		.amdhsa_user_sgpr_kernarg_segment_ptr 1
		.amdhsa_user_sgpr_dispatch_id 0
		.amdhsa_user_sgpr_private_segment_size 0
		.amdhsa_wavefront_size32 1
		.amdhsa_uses_dynamic_stack 0
		.amdhsa_enable_private_segment 0
		.amdhsa_system_sgpr_workgroup_id_x 1
		.amdhsa_system_sgpr_workgroup_id_y 1
		.amdhsa_system_sgpr_workgroup_id_z 0
		.amdhsa_system_sgpr_workgroup_info 0
		.amdhsa_system_vgpr_workitem_id 2
		.amdhsa_next_free_vgpr 169
		.amdhsa_next_free_sgpr 44
		.amdhsa_reserve_vcc 1
		.amdhsa_float_round_mode_32 0
		.amdhsa_float_round_mode_16_64 0
		.amdhsa_float_denorm_mode_32 3
		.amdhsa_float_denorm_mode_16_64 3
		.amdhsa_fp16_overflow 0
		.amdhsa_workgroup_processor_mode 1
		.amdhsa_memory_ordered 1
		.amdhsa_forward_progress 1
		.amdhsa_inst_pref_size 4
		.amdhsa_round_robin_scheduling 0
		.amdhsa_exception_fp_ieee_invalid_op 0
		.amdhsa_exception_fp_denorm_src 0
		.amdhsa_exception_fp_ieee_div_zero 0
		.amdhsa_exception_fp_ieee_overflow 0
		.amdhsa_exception_fp_ieee_underflow 0
		.amdhsa_exception_fp_ieee_inexact 0
		.amdhsa_exception_int_div_zero 0
	.end_amdhsa_kernel
	.section	.text._ZN7rocprim17ROCPRIM_400000_NS6detail17trampoline_kernelINS0_14default_configENS1_36segmented_radix_sort_config_selectorIdlEEZNS1_25segmented_radix_sort_implIS3_Lb1EPKdPdPKlPlN2at6native12_GLOBAL__N_18offset_tEEE10hipError_tPvRmT1_PNSt15iterator_traitsISK_E10value_typeET2_T3_PNSL_ISQ_E10value_typeET4_jRbjT5_SW_jjP12ihipStream_tbEUlT_E0_NS1_11comp_targetILNS1_3genE10ELNS1_11target_archE1201ELNS1_3gpuE5ELNS1_3repE0EEENS1_60segmented_radix_sort_warp_sort_medium_config_static_selectorELNS0_4arch9wavefront6targetE0EEEvSK_,"axG",@progbits,_ZN7rocprim17ROCPRIM_400000_NS6detail17trampoline_kernelINS0_14default_configENS1_36segmented_radix_sort_config_selectorIdlEEZNS1_25segmented_radix_sort_implIS3_Lb1EPKdPdPKlPlN2at6native12_GLOBAL__N_18offset_tEEE10hipError_tPvRmT1_PNSt15iterator_traitsISK_E10value_typeET2_T3_PNSL_ISQ_E10value_typeET4_jRbjT5_SW_jjP12ihipStream_tbEUlT_E0_NS1_11comp_targetILNS1_3genE10ELNS1_11target_archE1201ELNS1_3gpuE5ELNS1_3repE0EEENS1_60segmented_radix_sort_warp_sort_medium_config_static_selectorELNS0_4arch9wavefront6targetE0EEEvSK_,comdat
.Lfunc_end1134:
	.size	_ZN7rocprim17ROCPRIM_400000_NS6detail17trampoline_kernelINS0_14default_configENS1_36segmented_radix_sort_config_selectorIdlEEZNS1_25segmented_radix_sort_implIS3_Lb1EPKdPdPKlPlN2at6native12_GLOBAL__N_18offset_tEEE10hipError_tPvRmT1_PNSt15iterator_traitsISK_E10value_typeET2_T3_PNSL_ISQ_E10value_typeET4_jRbjT5_SW_jjP12ihipStream_tbEUlT_E0_NS1_11comp_targetILNS1_3genE10ELNS1_11target_archE1201ELNS1_3gpuE5ELNS1_3repE0EEENS1_60segmented_radix_sort_warp_sort_medium_config_static_selectorELNS0_4arch9wavefront6targetE0EEEvSK_, .Lfunc_end1134-_ZN7rocprim17ROCPRIM_400000_NS6detail17trampoline_kernelINS0_14default_configENS1_36segmented_radix_sort_config_selectorIdlEEZNS1_25segmented_radix_sort_implIS3_Lb1EPKdPdPKlPlN2at6native12_GLOBAL__N_18offset_tEEE10hipError_tPvRmT1_PNSt15iterator_traitsISK_E10value_typeET2_T3_PNSL_ISQ_E10value_typeET4_jRbjT5_SW_jjP12ihipStream_tbEUlT_E0_NS1_11comp_targetILNS1_3genE10ELNS1_11target_archE1201ELNS1_3gpuE5ELNS1_3repE0EEENS1_60segmented_radix_sort_warp_sort_medium_config_static_selectorELNS0_4arch9wavefront6targetE0EEEvSK_
                                        ; -- End function
	.set _ZN7rocprim17ROCPRIM_400000_NS6detail17trampoline_kernelINS0_14default_configENS1_36segmented_radix_sort_config_selectorIdlEEZNS1_25segmented_radix_sort_implIS3_Lb1EPKdPdPKlPlN2at6native12_GLOBAL__N_18offset_tEEE10hipError_tPvRmT1_PNSt15iterator_traitsISK_E10value_typeET2_T3_PNSL_ISQ_E10value_typeET4_jRbjT5_SW_jjP12ihipStream_tbEUlT_E0_NS1_11comp_targetILNS1_3genE10ELNS1_11target_archE1201ELNS1_3gpuE5ELNS1_3repE0EEENS1_60segmented_radix_sort_warp_sort_medium_config_static_selectorELNS0_4arch9wavefront6targetE0EEEvSK_.num_vgpr, max(43, .L_ZN7rocprim17ROCPRIM_400000_NS6detail26segmented_warp_sort_helperINS1_20WarpSortHelperConfigILj16ELj8ELj256EEEdlLi256ELb1EvE4sortIPKdPdPKlPlEEvT_T0_T1_T2_jjjjRNS5_12storage_typeE.num_vgpr)
	.set _ZN7rocprim17ROCPRIM_400000_NS6detail17trampoline_kernelINS0_14default_configENS1_36segmented_radix_sort_config_selectorIdlEEZNS1_25segmented_radix_sort_implIS3_Lb1EPKdPdPKlPlN2at6native12_GLOBAL__N_18offset_tEEE10hipError_tPvRmT1_PNSt15iterator_traitsISK_E10value_typeET2_T3_PNSL_ISQ_E10value_typeET4_jRbjT5_SW_jjP12ihipStream_tbEUlT_E0_NS1_11comp_targetILNS1_3genE10ELNS1_11target_archE1201ELNS1_3gpuE5ELNS1_3repE0EEENS1_60segmented_radix_sort_warp_sort_medium_config_static_selectorELNS0_4arch9wavefront6targetE0EEEvSK_.num_agpr, max(0, .L_ZN7rocprim17ROCPRIM_400000_NS6detail26segmented_warp_sort_helperINS1_20WarpSortHelperConfigILj16ELj8ELj256EEEdlLi256ELb1EvE4sortIPKdPdPKlPlEEvT_T0_T1_T2_jjjjRNS5_12storage_typeE.num_agpr)
	.set _ZN7rocprim17ROCPRIM_400000_NS6detail17trampoline_kernelINS0_14default_configENS1_36segmented_radix_sort_config_selectorIdlEEZNS1_25segmented_radix_sort_implIS3_Lb1EPKdPdPKlPlN2at6native12_GLOBAL__N_18offset_tEEE10hipError_tPvRmT1_PNSt15iterator_traitsISK_E10value_typeET2_T3_PNSL_ISQ_E10value_typeET4_jRbjT5_SW_jjP12ihipStream_tbEUlT_E0_NS1_11comp_targetILNS1_3genE10ELNS1_11target_archE1201ELNS1_3gpuE5ELNS1_3repE0EEENS1_60segmented_radix_sort_warp_sort_medium_config_static_selectorELNS0_4arch9wavefront6targetE0EEEvSK_.numbered_sgpr, max(44, .L_ZN7rocprim17ROCPRIM_400000_NS6detail26segmented_warp_sort_helperINS1_20WarpSortHelperConfigILj16ELj8ELj256EEEdlLi256ELb1EvE4sortIPKdPdPKlPlEEvT_T0_T1_T2_jjjjRNS5_12storage_typeE.numbered_sgpr)
	.set _ZN7rocprim17ROCPRIM_400000_NS6detail17trampoline_kernelINS0_14default_configENS1_36segmented_radix_sort_config_selectorIdlEEZNS1_25segmented_radix_sort_implIS3_Lb1EPKdPdPKlPlN2at6native12_GLOBAL__N_18offset_tEEE10hipError_tPvRmT1_PNSt15iterator_traitsISK_E10value_typeET2_T3_PNSL_ISQ_E10value_typeET4_jRbjT5_SW_jjP12ihipStream_tbEUlT_E0_NS1_11comp_targetILNS1_3genE10ELNS1_11target_archE1201ELNS1_3gpuE5ELNS1_3repE0EEENS1_60segmented_radix_sort_warp_sort_medium_config_static_selectorELNS0_4arch9wavefront6targetE0EEEvSK_.num_named_barrier, max(0, .L_ZN7rocprim17ROCPRIM_400000_NS6detail26segmented_warp_sort_helperINS1_20WarpSortHelperConfigILj16ELj8ELj256EEEdlLi256ELb1EvE4sortIPKdPdPKlPlEEvT_T0_T1_T2_jjjjRNS5_12storage_typeE.num_named_barrier)
	.set _ZN7rocprim17ROCPRIM_400000_NS6detail17trampoline_kernelINS0_14default_configENS1_36segmented_radix_sort_config_selectorIdlEEZNS1_25segmented_radix_sort_implIS3_Lb1EPKdPdPKlPlN2at6native12_GLOBAL__N_18offset_tEEE10hipError_tPvRmT1_PNSt15iterator_traitsISK_E10value_typeET2_T3_PNSL_ISQ_E10value_typeET4_jRbjT5_SW_jjP12ihipStream_tbEUlT_E0_NS1_11comp_targetILNS1_3genE10ELNS1_11target_archE1201ELNS1_3gpuE5ELNS1_3repE0EEENS1_60segmented_radix_sort_warp_sort_medium_config_static_selectorELNS0_4arch9wavefront6targetE0EEEvSK_.private_seg_size, 0+max(.L_ZN7rocprim17ROCPRIM_400000_NS6detail26segmented_warp_sort_helperINS1_20WarpSortHelperConfigILj16ELj8ELj256EEEdlLi256ELb1EvE4sortIPKdPdPKlPlEEvT_T0_T1_T2_jjjjRNS5_12storage_typeE.private_seg_size)
	.set _ZN7rocprim17ROCPRIM_400000_NS6detail17trampoline_kernelINS0_14default_configENS1_36segmented_radix_sort_config_selectorIdlEEZNS1_25segmented_radix_sort_implIS3_Lb1EPKdPdPKlPlN2at6native12_GLOBAL__N_18offset_tEEE10hipError_tPvRmT1_PNSt15iterator_traitsISK_E10value_typeET2_T3_PNSL_ISQ_E10value_typeET4_jRbjT5_SW_jjP12ihipStream_tbEUlT_E0_NS1_11comp_targetILNS1_3genE10ELNS1_11target_archE1201ELNS1_3gpuE5ELNS1_3repE0EEENS1_60segmented_radix_sort_warp_sort_medium_config_static_selectorELNS0_4arch9wavefront6targetE0EEEvSK_.uses_vcc, or(1, .L_ZN7rocprim17ROCPRIM_400000_NS6detail26segmented_warp_sort_helperINS1_20WarpSortHelperConfigILj16ELj8ELj256EEEdlLi256ELb1EvE4sortIPKdPdPKlPlEEvT_T0_T1_T2_jjjjRNS5_12storage_typeE.uses_vcc)
	.set _ZN7rocprim17ROCPRIM_400000_NS6detail17trampoline_kernelINS0_14default_configENS1_36segmented_radix_sort_config_selectorIdlEEZNS1_25segmented_radix_sort_implIS3_Lb1EPKdPdPKlPlN2at6native12_GLOBAL__N_18offset_tEEE10hipError_tPvRmT1_PNSt15iterator_traitsISK_E10value_typeET2_T3_PNSL_ISQ_E10value_typeET4_jRbjT5_SW_jjP12ihipStream_tbEUlT_E0_NS1_11comp_targetILNS1_3genE10ELNS1_11target_archE1201ELNS1_3gpuE5ELNS1_3repE0EEENS1_60segmented_radix_sort_warp_sort_medium_config_static_selectorELNS0_4arch9wavefront6targetE0EEEvSK_.uses_flat_scratch, or(0, .L_ZN7rocprim17ROCPRIM_400000_NS6detail26segmented_warp_sort_helperINS1_20WarpSortHelperConfigILj16ELj8ELj256EEEdlLi256ELb1EvE4sortIPKdPdPKlPlEEvT_T0_T1_T2_jjjjRNS5_12storage_typeE.uses_flat_scratch)
	.set _ZN7rocprim17ROCPRIM_400000_NS6detail17trampoline_kernelINS0_14default_configENS1_36segmented_radix_sort_config_selectorIdlEEZNS1_25segmented_radix_sort_implIS3_Lb1EPKdPdPKlPlN2at6native12_GLOBAL__N_18offset_tEEE10hipError_tPvRmT1_PNSt15iterator_traitsISK_E10value_typeET2_T3_PNSL_ISQ_E10value_typeET4_jRbjT5_SW_jjP12ihipStream_tbEUlT_E0_NS1_11comp_targetILNS1_3genE10ELNS1_11target_archE1201ELNS1_3gpuE5ELNS1_3repE0EEENS1_60segmented_radix_sort_warp_sort_medium_config_static_selectorELNS0_4arch9wavefront6targetE0EEEvSK_.has_dyn_sized_stack, or(0, .L_ZN7rocprim17ROCPRIM_400000_NS6detail26segmented_warp_sort_helperINS1_20WarpSortHelperConfigILj16ELj8ELj256EEEdlLi256ELb1EvE4sortIPKdPdPKlPlEEvT_T0_T1_T2_jjjjRNS5_12storage_typeE.has_dyn_sized_stack)
	.set _ZN7rocprim17ROCPRIM_400000_NS6detail17trampoline_kernelINS0_14default_configENS1_36segmented_radix_sort_config_selectorIdlEEZNS1_25segmented_radix_sort_implIS3_Lb1EPKdPdPKlPlN2at6native12_GLOBAL__N_18offset_tEEE10hipError_tPvRmT1_PNSt15iterator_traitsISK_E10value_typeET2_T3_PNSL_ISQ_E10value_typeET4_jRbjT5_SW_jjP12ihipStream_tbEUlT_E0_NS1_11comp_targetILNS1_3genE10ELNS1_11target_archE1201ELNS1_3gpuE5ELNS1_3repE0EEENS1_60segmented_radix_sort_warp_sort_medium_config_static_selectorELNS0_4arch9wavefront6targetE0EEEvSK_.has_recursion, or(0, .L_ZN7rocprim17ROCPRIM_400000_NS6detail26segmented_warp_sort_helperINS1_20WarpSortHelperConfigILj16ELj8ELj256EEEdlLi256ELb1EvE4sortIPKdPdPKlPlEEvT_T0_T1_T2_jjjjRNS5_12storage_typeE.has_recursion)
	.set _ZN7rocprim17ROCPRIM_400000_NS6detail17trampoline_kernelINS0_14default_configENS1_36segmented_radix_sort_config_selectorIdlEEZNS1_25segmented_radix_sort_implIS3_Lb1EPKdPdPKlPlN2at6native12_GLOBAL__N_18offset_tEEE10hipError_tPvRmT1_PNSt15iterator_traitsISK_E10value_typeET2_T3_PNSL_ISQ_E10value_typeET4_jRbjT5_SW_jjP12ihipStream_tbEUlT_E0_NS1_11comp_targetILNS1_3genE10ELNS1_11target_archE1201ELNS1_3gpuE5ELNS1_3repE0EEENS1_60segmented_radix_sort_warp_sort_medium_config_static_selectorELNS0_4arch9wavefront6targetE0EEEvSK_.has_indirect_call, or(0, .L_ZN7rocprim17ROCPRIM_400000_NS6detail26segmented_warp_sort_helperINS1_20WarpSortHelperConfigILj16ELj8ELj256EEEdlLi256ELb1EvE4sortIPKdPdPKlPlEEvT_T0_T1_T2_jjjjRNS5_12storage_typeE.has_indirect_call)
	.section	.AMDGPU.csdata,"",@progbits
; Kernel info:
; codeLenInByte = 488
; TotalNumSgprs: 46
; NumVgprs: 104
; ScratchSize: 0
; MemoryBound: 0
; FloatMode: 240
; IeeeMode: 1
; LDSByteSize: 32768 bytes/workgroup (compile time only)
; SGPRBlocks: 0
; VGPRBlocks: 21
; NumSGPRsForWavesPerEU: 46
; NumVGPRsForWavesPerEU: 169
; Occupancy: 8
; WaveLimiterHint : 0
; COMPUTE_PGM_RSRC2:SCRATCH_EN: 0
; COMPUTE_PGM_RSRC2:USER_SGPR: 2
; COMPUTE_PGM_RSRC2:TRAP_HANDLER: 0
; COMPUTE_PGM_RSRC2:TGID_X_EN: 1
; COMPUTE_PGM_RSRC2:TGID_Y_EN: 1
; COMPUTE_PGM_RSRC2:TGID_Z_EN: 0
; COMPUTE_PGM_RSRC2:TIDIG_COMP_CNT: 2
	.section	.text._ZN7rocprim17ROCPRIM_400000_NS6detail17trampoline_kernelINS0_14default_configENS1_36segmented_radix_sort_config_selectorIdlEEZNS1_25segmented_radix_sort_implIS3_Lb1EPKdPdPKlPlN2at6native12_GLOBAL__N_18offset_tEEE10hipError_tPvRmT1_PNSt15iterator_traitsISK_E10value_typeET2_T3_PNSL_ISQ_E10value_typeET4_jRbjT5_SW_jjP12ihipStream_tbEUlT_E0_NS1_11comp_targetILNS1_3genE10ELNS1_11target_archE1200ELNS1_3gpuE4ELNS1_3repE0EEENS1_60segmented_radix_sort_warp_sort_medium_config_static_selectorELNS0_4arch9wavefront6targetE0EEEvSK_,"axG",@progbits,_ZN7rocprim17ROCPRIM_400000_NS6detail17trampoline_kernelINS0_14default_configENS1_36segmented_radix_sort_config_selectorIdlEEZNS1_25segmented_radix_sort_implIS3_Lb1EPKdPdPKlPlN2at6native12_GLOBAL__N_18offset_tEEE10hipError_tPvRmT1_PNSt15iterator_traitsISK_E10value_typeET2_T3_PNSL_ISQ_E10value_typeET4_jRbjT5_SW_jjP12ihipStream_tbEUlT_E0_NS1_11comp_targetILNS1_3genE10ELNS1_11target_archE1200ELNS1_3gpuE4ELNS1_3repE0EEENS1_60segmented_radix_sort_warp_sort_medium_config_static_selectorELNS0_4arch9wavefront6targetE0EEEvSK_,comdat
	.globl	_ZN7rocprim17ROCPRIM_400000_NS6detail17trampoline_kernelINS0_14default_configENS1_36segmented_radix_sort_config_selectorIdlEEZNS1_25segmented_radix_sort_implIS3_Lb1EPKdPdPKlPlN2at6native12_GLOBAL__N_18offset_tEEE10hipError_tPvRmT1_PNSt15iterator_traitsISK_E10value_typeET2_T3_PNSL_ISQ_E10value_typeET4_jRbjT5_SW_jjP12ihipStream_tbEUlT_E0_NS1_11comp_targetILNS1_3genE10ELNS1_11target_archE1200ELNS1_3gpuE4ELNS1_3repE0EEENS1_60segmented_radix_sort_warp_sort_medium_config_static_selectorELNS0_4arch9wavefront6targetE0EEEvSK_ ; -- Begin function _ZN7rocprim17ROCPRIM_400000_NS6detail17trampoline_kernelINS0_14default_configENS1_36segmented_radix_sort_config_selectorIdlEEZNS1_25segmented_radix_sort_implIS3_Lb1EPKdPdPKlPlN2at6native12_GLOBAL__N_18offset_tEEE10hipError_tPvRmT1_PNSt15iterator_traitsISK_E10value_typeET2_T3_PNSL_ISQ_E10value_typeET4_jRbjT5_SW_jjP12ihipStream_tbEUlT_E0_NS1_11comp_targetILNS1_3genE10ELNS1_11target_archE1200ELNS1_3gpuE4ELNS1_3repE0EEENS1_60segmented_radix_sort_warp_sort_medium_config_static_selectorELNS0_4arch9wavefront6targetE0EEEvSK_
	.p2align	8
	.type	_ZN7rocprim17ROCPRIM_400000_NS6detail17trampoline_kernelINS0_14default_configENS1_36segmented_radix_sort_config_selectorIdlEEZNS1_25segmented_radix_sort_implIS3_Lb1EPKdPdPKlPlN2at6native12_GLOBAL__N_18offset_tEEE10hipError_tPvRmT1_PNSt15iterator_traitsISK_E10value_typeET2_T3_PNSL_ISQ_E10value_typeET4_jRbjT5_SW_jjP12ihipStream_tbEUlT_E0_NS1_11comp_targetILNS1_3genE10ELNS1_11target_archE1200ELNS1_3gpuE4ELNS1_3repE0EEENS1_60segmented_radix_sort_warp_sort_medium_config_static_selectorELNS0_4arch9wavefront6targetE0EEEvSK_,@function
_ZN7rocprim17ROCPRIM_400000_NS6detail17trampoline_kernelINS0_14default_configENS1_36segmented_radix_sort_config_selectorIdlEEZNS1_25segmented_radix_sort_implIS3_Lb1EPKdPdPKlPlN2at6native12_GLOBAL__N_18offset_tEEE10hipError_tPvRmT1_PNSt15iterator_traitsISK_E10value_typeET2_T3_PNSL_ISQ_E10value_typeET4_jRbjT5_SW_jjP12ihipStream_tbEUlT_E0_NS1_11comp_targetILNS1_3genE10ELNS1_11target_archE1200ELNS1_3gpuE4ELNS1_3repE0EEENS1_60segmented_radix_sort_warp_sort_medium_config_static_selectorELNS0_4arch9wavefront6targetE0EEEvSK_: ; @_ZN7rocprim17ROCPRIM_400000_NS6detail17trampoline_kernelINS0_14default_configENS1_36segmented_radix_sort_config_selectorIdlEEZNS1_25segmented_radix_sort_implIS3_Lb1EPKdPdPKlPlN2at6native12_GLOBAL__N_18offset_tEEE10hipError_tPvRmT1_PNSt15iterator_traitsISK_E10value_typeET2_T3_PNSL_ISQ_E10value_typeET4_jRbjT5_SW_jjP12ihipStream_tbEUlT_E0_NS1_11comp_targetILNS1_3genE10ELNS1_11target_archE1200ELNS1_3gpuE4ELNS1_3repE0EEENS1_60segmented_radix_sort_warp_sort_medium_config_static_selectorELNS0_4arch9wavefront6targetE0EEEvSK_
; %bb.0:
	.section	.rodata,"a",@progbits
	.p2align	6, 0x0
	.amdhsa_kernel _ZN7rocprim17ROCPRIM_400000_NS6detail17trampoline_kernelINS0_14default_configENS1_36segmented_radix_sort_config_selectorIdlEEZNS1_25segmented_radix_sort_implIS3_Lb1EPKdPdPKlPlN2at6native12_GLOBAL__N_18offset_tEEE10hipError_tPvRmT1_PNSt15iterator_traitsISK_E10value_typeET2_T3_PNSL_ISQ_E10value_typeET4_jRbjT5_SW_jjP12ihipStream_tbEUlT_E0_NS1_11comp_targetILNS1_3genE10ELNS1_11target_archE1200ELNS1_3gpuE4ELNS1_3repE0EEENS1_60segmented_radix_sort_warp_sort_medium_config_static_selectorELNS0_4arch9wavefront6targetE0EEEvSK_
		.amdhsa_group_segment_fixed_size 0
		.amdhsa_private_segment_fixed_size 0
		.amdhsa_kernarg_size 88
		.amdhsa_user_sgpr_count 2
		.amdhsa_user_sgpr_dispatch_ptr 0
		.amdhsa_user_sgpr_queue_ptr 0
		.amdhsa_user_sgpr_kernarg_segment_ptr 1
		.amdhsa_user_sgpr_dispatch_id 0
		.amdhsa_user_sgpr_private_segment_size 0
		.amdhsa_wavefront_size32 1
		.amdhsa_uses_dynamic_stack 0
		.amdhsa_enable_private_segment 0
		.amdhsa_system_sgpr_workgroup_id_x 1
		.amdhsa_system_sgpr_workgroup_id_y 0
		.amdhsa_system_sgpr_workgroup_id_z 0
		.amdhsa_system_sgpr_workgroup_info 0
		.amdhsa_system_vgpr_workitem_id 0
		.amdhsa_next_free_vgpr 1
		.amdhsa_next_free_sgpr 1
		.amdhsa_reserve_vcc 0
		.amdhsa_float_round_mode_32 0
		.amdhsa_float_round_mode_16_64 0
		.amdhsa_float_denorm_mode_32 3
		.amdhsa_float_denorm_mode_16_64 3
		.amdhsa_fp16_overflow 0
		.amdhsa_workgroup_processor_mode 1
		.amdhsa_memory_ordered 1
		.amdhsa_forward_progress 1
		.amdhsa_inst_pref_size 0
		.amdhsa_round_robin_scheduling 0
		.amdhsa_exception_fp_ieee_invalid_op 0
		.amdhsa_exception_fp_denorm_src 0
		.amdhsa_exception_fp_ieee_div_zero 0
		.amdhsa_exception_fp_ieee_overflow 0
		.amdhsa_exception_fp_ieee_underflow 0
		.amdhsa_exception_fp_ieee_inexact 0
		.amdhsa_exception_int_div_zero 0
	.end_amdhsa_kernel
	.section	.text._ZN7rocprim17ROCPRIM_400000_NS6detail17trampoline_kernelINS0_14default_configENS1_36segmented_radix_sort_config_selectorIdlEEZNS1_25segmented_radix_sort_implIS3_Lb1EPKdPdPKlPlN2at6native12_GLOBAL__N_18offset_tEEE10hipError_tPvRmT1_PNSt15iterator_traitsISK_E10value_typeET2_T3_PNSL_ISQ_E10value_typeET4_jRbjT5_SW_jjP12ihipStream_tbEUlT_E0_NS1_11comp_targetILNS1_3genE10ELNS1_11target_archE1200ELNS1_3gpuE4ELNS1_3repE0EEENS1_60segmented_radix_sort_warp_sort_medium_config_static_selectorELNS0_4arch9wavefront6targetE0EEEvSK_,"axG",@progbits,_ZN7rocprim17ROCPRIM_400000_NS6detail17trampoline_kernelINS0_14default_configENS1_36segmented_radix_sort_config_selectorIdlEEZNS1_25segmented_radix_sort_implIS3_Lb1EPKdPdPKlPlN2at6native12_GLOBAL__N_18offset_tEEE10hipError_tPvRmT1_PNSt15iterator_traitsISK_E10value_typeET2_T3_PNSL_ISQ_E10value_typeET4_jRbjT5_SW_jjP12ihipStream_tbEUlT_E0_NS1_11comp_targetILNS1_3genE10ELNS1_11target_archE1200ELNS1_3gpuE4ELNS1_3repE0EEENS1_60segmented_radix_sort_warp_sort_medium_config_static_selectorELNS0_4arch9wavefront6targetE0EEEvSK_,comdat
.Lfunc_end1135:
	.size	_ZN7rocprim17ROCPRIM_400000_NS6detail17trampoline_kernelINS0_14default_configENS1_36segmented_radix_sort_config_selectorIdlEEZNS1_25segmented_radix_sort_implIS3_Lb1EPKdPdPKlPlN2at6native12_GLOBAL__N_18offset_tEEE10hipError_tPvRmT1_PNSt15iterator_traitsISK_E10value_typeET2_T3_PNSL_ISQ_E10value_typeET4_jRbjT5_SW_jjP12ihipStream_tbEUlT_E0_NS1_11comp_targetILNS1_3genE10ELNS1_11target_archE1200ELNS1_3gpuE4ELNS1_3repE0EEENS1_60segmented_radix_sort_warp_sort_medium_config_static_selectorELNS0_4arch9wavefront6targetE0EEEvSK_, .Lfunc_end1135-_ZN7rocprim17ROCPRIM_400000_NS6detail17trampoline_kernelINS0_14default_configENS1_36segmented_radix_sort_config_selectorIdlEEZNS1_25segmented_radix_sort_implIS3_Lb1EPKdPdPKlPlN2at6native12_GLOBAL__N_18offset_tEEE10hipError_tPvRmT1_PNSt15iterator_traitsISK_E10value_typeET2_T3_PNSL_ISQ_E10value_typeET4_jRbjT5_SW_jjP12ihipStream_tbEUlT_E0_NS1_11comp_targetILNS1_3genE10ELNS1_11target_archE1200ELNS1_3gpuE4ELNS1_3repE0EEENS1_60segmented_radix_sort_warp_sort_medium_config_static_selectorELNS0_4arch9wavefront6targetE0EEEvSK_
                                        ; -- End function
	.set _ZN7rocprim17ROCPRIM_400000_NS6detail17trampoline_kernelINS0_14default_configENS1_36segmented_radix_sort_config_selectorIdlEEZNS1_25segmented_radix_sort_implIS3_Lb1EPKdPdPKlPlN2at6native12_GLOBAL__N_18offset_tEEE10hipError_tPvRmT1_PNSt15iterator_traitsISK_E10value_typeET2_T3_PNSL_ISQ_E10value_typeET4_jRbjT5_SW_jjP12ihipStream_tbEUlT_E0_NS1_11comp_targetILNS1_3genE10ELNS1_11target_archE1200ELNS1_3gpuE4ELNS1_3repE0EEENS1_60segmented_radix_sort_warp_sort_medium_config_static_selectorELNS0_4arch9wavefront6targetE0EEEvSK_.num_vgpr, 0
	.set _ZN7rocprim17ROCPRIM_400000_NS6detail17trampoline_kernelINS0_14default_configENS1_36segmented_radix_sort_config_selectorIdlEEZNS1_25segmented_radix_sort_implIS3_Lb1EPKdPdPKlPlN2at6native12_GLOBAL__N_18offset_tEEE10hipError_tPvRmT1_PNSt15iterator_traitsISK_E10value_typeET2_T3_PNSL_ISQ_E10value_typeET4_jRbjT5_SW_jjP12ihipStream_tbEUlT_E0_NS1_11comp_targetILNS1_3genE10ELNS1_11target_archE1200ELNS1_3gpuE4ELNS1_3repE0EEENS1_60segmented_radix_sort_warp_sort_medium_config_static_selectorELNS0_4arch9wavefront6targetE0EEEvSK_.num_agpr, 0
	.set _ZN7rocprim17ROCPRIM_400000_NS6detail17trampoline_kernelINS0_14default_configENS1_36segmented_radix_sort_config_selectorIdlEEZNS1_25segmented_radix_sort_implIS3_Lb1EPKdPdPKlPlN2at6native12_GLOBAL__N_18offset_tEEE10hipError_tPvRmT1_PNSt15iterator_traitsISK_E10value_typeET2_T3_PNSL_ISQ_E10value_typeET4_jRbjT5_SW_jjP12ihipStream_tbEUlT_E0_NS1_11comp_targetILNS1_3genE10ELNS1_11target_archE1200ELNS1_3gpuE4ELNS1_3repE0EEENS1_60segmented_radix_sort_warp_sort_medium_config_static_selectorELNS0_4arch9wavefront6targetE0EEEvSK_.numbered_sgpr, 0
	.set _ZN7rocprim17ROCPRIM_400000_NS6detail17trampoline_kernelINS0_14default_configENS1_36segmented_radix_sort_config_selectorIdlEEZNS1_25segmented_radix_sort_implIS3_Lb1EPKdPdPKlPlN2at6native12_GLOBAL__N_18offset_tEEE10hipError_tPvRmT1_PNSt15iterator_traitsISK_E10value_typeET2_T3_PNSL_ISQ_E10value_typeET4_jRbjT5_SW_jjP12ihipStream_tbEUlT_E0_NS1_11comp_targetILNS1_3genE10ELNS1_11target_archE1200ELNS1_3gpuE4ELNS1_3repE0EEENS1_60segmented_radix_sort_warp_sort_medium_config_static_selectorELNS0_4arch9wavefront6targetE0EEEvSK_.num_named_barrier, 0
	.set _ZN7rocprim17ROCPRIM_400000_NS6detail17trampoline_kernelINS0_14default_configENS1_36segmented_radix_sort_config_selectorIdlEEZNS1_25segmented_radix_sort_implIS3_Lb1EPKdPdPKlPlN2at6native12_GLOBAL__N_18offset_tEEE10hipError_tPvRmT1_PNSt15iterator_traitsISK_E10value_typeET2_T3_PNSL_ISQ_E10value_typeET4_jRbjT5_SW_jjP12ihipStream_tbEUlT_E0_NS1_11comp_targetILNS1_3genE10ELNS1_11target_archE1200ELNS1_3gpuE4ELNS1_3repE0EEENS1_60segmented_radix_sort_warp_sort_medium_config_static_selectorELNS0_4arch9wavefront6targetE0EEEvSK_.private_seg_size, 0
	.set _ZN7rocprim17ROCPRIM_400000_NS6detail17trampoline_kernelINS0_14default_configENS1_36segmented_radix_sort_config_selectorIdlEEZNS1_25segmented_radix_sort_implIS3_Lb1EPKdPdPKlPlN2at6native12_GLOBAL__N_18offset_tEEE10hipError_tPvRmT1_PNSt15iterator_traitsISK_E10value_typeET2_T3_PNSL_ISQ_E10value_typeET4_jRbjT5_SW_jjP12ihipStream_tbEUlT_E0_NS1_11comp_targetILNS1_3genE10ELNS1_11target_archE1200ELNS1_3gpuE4ELNS1_3repE0EEENS1_60segmented_radix_sort_warp_sort_medium_config_static_selectorELNS0_4arch9wavefront6targetE0EEEvSK_.uses_vcc, 0
	.set _ZN7rocprim17ROCPRIM_400000_NS6detail17trampoline_kernelINS0_14default_configENS1_36segmented_radix_sort_config_selectorIdlEEZNS1_25segmented_radix_sort_implIS3_Lb1EPKdPdPKlPlN2at6native12_GLOBAL__N_18offset_tEEE10hipError_tPvRmT1_PNSt15iterator_traitsISK_E10value_typeET2_T3_PNSL_ISQ_E10value_typeET4_jRbjT5_SW_jjP12ihipStream_tbEUlT_E0_NS1_11comp_targetILNS1_3genE10ELNS1_11target_archE1200ELNS1_3gpuE4ELNS1_3repE0EEENS1_60segmented_radix_sort_warp_sort_medium_config_static_selectorELNS0_4arch9wavefront6targetE0EEEvSK_.uses_flat_scratch, 0
	.set _ZN7rocprim17ROCPRIM_400000_NS6detail17trampoline_kernelINS0_14default_configENS1_36segmented_radix_sort_config_selectorIdlEEZNS1_25segmented_radix_sort_implIS3_Lb1EPKdPdPKlPlN2at6native12_GLOBAL__N_18offset_tEEE10hipError_tPvRmT1_PNSt15iterator_traitsISK_E10value_typeET2_T3_PNSL_ISQ_E10value_typeET4_jRbjT5_SW_jjP12ihipStream_tbEUlT_E0_NS1_11comp_targetILNS1_3genE10ELNS1_11target_archE1200ELNS1_3gpuE4ELNS1_3repE0EEENS1_60segmented_radix_sort_warp_sort_medium_config_static_selectorELNS0_4arch9wavefront6targetE0EEEvSK_.has_dyn_sized_stack, 0
	.set _ZN7rocprim17ROCPRIM_400000_NS6detail17trampoline_kernelINS0_14default_configENS1_36segmented_radix_sort_config_selectorIdlEEZNS1_25segmented_radix_sort_implIS3_Lb1EPKdPdPKlPlN2at6native12_GLOBAL__N_18offset_tEEE10hipError_tPvRmT1_PNSt15iterator_traitsISK_E10value_typeET2_T3_PNSL_ISQ_E10value_typeET4_jRbjT5_SW_jjP12ihipStream_tbEUlT_E0_NS1_11comp_targetILNS1_3genE10ELNS1_11target_archE1200ELNS1_3gpuE4ELNS1_3repE0EEENS1_60segmented_radix_sort_warp_sort_medium_config_static_selectorELNS0_4arch9wavefront6targetE0EEEvSK_.has_recursion, 0
	.set _ZN7rocprim17ROCPRIM_400000_NS6detail17trampoline_kernelINS0_14default_configENS1_36segmented_radix_sort_config_selectorIdlEEZNS1_25segmented_radix_sort_implIS3_Lb1EPKdPdPKlPlN2at6native12_GLOBAL__N_18offset_tEEE10hipError_tPvRmT1_PNSt15iterator_traitsISK_E10value_typeET2_T3_PNSL_ISQ_E10value_typeET4_jRbjT5_SW_jjP12ihipStream_tbEUlT_E0_NS1_11comp_targetILNS1_3genE10ELNS1_11target_archE1200ELNS1_3gpuE4ELNS1_3repE0EEENS1_60segmented_radix_sort_warp_sort_medium_config_static_selectorELNS0_4arch9wavefront6targetE0EEEvSK_.has_indirect_call, 0
	.section	.AMDGPU.csdata,"",@progbits
; Kernel info:
; codeLenInByte = 0
; TotalNumSgprs: 0
; NumVgprs: 0
; ScratchSize: 0
; MemoryBound: 0
; FloatMode: 240
; IeeeMode: 1
; LDSByteSize: 0 bytes/workgroup (compile time only)
; SGPRBlocks: 0
; VGPRBlocks: 0
; NumSGPRsForWavesPerEU: 1
; NumVGPRsForWavesPerEU: 1
; Occupancy: 16
; WaveLimiterHint : 0
; COMPUTE_PGM_RSRC2:SCRATCH_EN: 0
; COMPUTE_PGM_RSRC2:USER_SGPR: 2
; COMPUTE_PGM_RSRC2:TRAP_HANDLER: 0
; COMPUTE_PGM_RSRC2:TGID_X_EN: 1
; COMPUTE_PGM_RSRC2:TGID_Y_EN: 0
; COMPUTE_PGM_RSRC2:TGID_Z_EN: 0
; COMPUTE_PGM_RSRC2:TIDIG_COMP_CNT: 0
	.section	.text._ZN7rocprim17ROCPRIM_400000_NS6detail17trampoline_kernelINS0_14default_configENS1_36segmented_radix_sort_config_selectorIdlEEZNS1_25segmented_radix_sort_implIS3_Lb1EPKdPdPKlPlN2at6native12_GLOBAL__N_18offset_tEEE10hipError_tPvRmT1_PNSt15iterator_traitsISK_E10value_typeET2_T3_PNSL_ISQ_E10value_typeET4_jRbjT5_SW_jjP12ihipStream_tbEUlT_E0_NS1_11comp_targetILNS1_3genE9ELNS1_11target_archE1100ELNS1_3gpuE3ELNS1_3repE0EEENS1_60segmented_radix_sort_warp_sort_medium_config_static_selectorELNS0_4arch9wavefront6targetE0EEEvSK_,"axG",@progbits,_ZN7rocprim17ROCPRIM_400000_NS6detail17trampoline_kernelINS0_14default_configENS1_36segmented_radix_sort_config_selectorIdlEEZNS1_25segmented_radix_sort_implIS3_Lb1EPKdPdPKlPlN2at6native12_GLOBAL__N_18offset_tEEE10hipError_tPvRmT1_PNSt15iterator_traitsISK_E10value_typeET2_T3_PNSL_ISQ_E10value_typeET4_jRbjT5_SW_jjP12ihipStream_tbEUlT_E0_NS1_11comp_targetILNS1_3genE9ELNS1_11target_archE1100ELNS1_3gpuE3ELNS1_3repE0EEENS1_60segmented_radix_sort_warp_sort_medium_config_static_selectorELNS0_4arch9wavefront6targetE0EEEvSK_,comdat
	.globl	_ZN7rocprim17ROCPRIM_400000_NS6detail17trampoline_kernelINS0_14default_configENS1_36segmented_radix_sort_config_selectorIdlEEZNS1_25segmented_radix_sort_implIS3_Lb1EPKdPdPKlPlN2at6native12_GLOBAL__N_18offset_tEEE10hipError_tPvRmT1_PNSt15iterator_traitsISK_E10value_typeET2_T3_PNSL_ISQ_E10value_typeET4_jRbjT5_SW_jjP12ihipStream_tbEUlT_E0_NS1_11comp_targetILNS1_3genE9ELNS1_11target_archE1100ELNS1_3gpuE3ELNS1_3repE0EEENS1_60segmented_radix_sort_warp_sort_medium_config_static_selectorELNS0_4arch9wavefront6targetE0EEEvSK_ ; -- Begin function _ZN7rocprim17ROCPRIM_400000_NS6detail17trampoline_kernelINS0_14default_configENS1_36segmented_radix_sort_config_selectorIdlEEZNS1_25segmented_radix_sort_implIS3_Lb1EPKdPdPKlPlN2at6native12_GLOBAL__N_18offset_tEEE10hipError_tPvRmT1_PNSt15iterator_traitsISK_E10value_typeET2_T3_PNSL_ISQ_E10value_typeET4_jRbjT5_SW_jjP12ihipStream_tbEUlT_E0_NS1_11comp_targetILNS1_3genE9ELNS1_11target_archE1100ELNS1_3gpuE3ELNS1_3repE0EEENS1_60segmented_radix_sort_warp_sort_medium_config_static_selectorELNS0_4arch9wavefront6targetE0EEEvSK_
	.p2align	8
	.type	_ZN7rocprim17ROCPRIM_400000_NS6detail17trampoline_kernelINS0_14default_configENS1_36segmented_radix_sort_config_selectorIdlEEZNS1_25segmented_radix_sort_implIS3_Lb1EPKdPdPKlPlN2at6native12_GLOBAL__N_18offset_tEEE10hipError_tPvRmT1_PNSt15iterator_traitsISK_E10value_typeET2_T3_PNSL_ISQ_E10value_typeET4_jRbjT5_SW_jjP12ihipStream_tbEUlT_E0_NS1_11comp_targetILNS1_3genE9ELNS1_11target_archE1100ELNS1_3gpuE3ELNS1_3repE0EEENS1_60segmented_radix_sort_warp_sort_medium_config_static_selectorELNS0_4arch9wavefront6targetE0EEEvSK_,@function
_ZN7rocprim17ROCPRIM_400000_NS6detail17trampoline_kernelINS0_14default_configENS1_36segmented_radix_sort_config_selectorIdlEEZNS1_25segmented_radix_sort_implIS3_Lb1EPKdPdPKlPlN2at6native12_GLOBAL__N_18offset_tEEE10hipError_tPvRmT1_PNSt15iterator_traitsISK_E10value_typeET2_T3_PNSL_ISQ_E10value_typeET4_jRbjT5_SW_jjP12ihipStream_tbEUlT_E0_NS1_11comp_targetILNS1_3genE9ELNS1_11target_archE1100ELNS1_3gpuE3ELNS1_3repE0EEENS1_60segmented_radix_sort_warp_sort_medium_config_static_selectorELNS0_4arch9wavefront6targetE0EEEvSK_: ; @_ZN7rocprim17ROCPRIM_400000_NS6detail17trampoline_kernelINS0_14default_configENS1_36segmented_radix_sort_config_selectorIdlEEZNS1_25segmented_radix_sort_implIS3_Lb1EPKdPdPKlPlN2at6native12_GLOBAL__N_18offset_tEEE10hipError_tPvRmT1_PNSt15iterator_traitsISK_E10value_typeET2_T3_PNSL_ISQ_E10value_typeET4_jRbjT5_SW_jjP12ihipStream_tbEUlT_E0_NS1_11comp_targetILNS1_3genE9ELNS1_11target_archE1100ELNS1_3gpuE3ELNS1_3repE0EEENS1_60segmented_radix_sort_warp_sort_medium_config_static_selectorELNS0_4arch9wavefront6targetE0EEEvSK_
; %bb.0:
	.section	.rodata,"a",@progbits
	.p2align	6, 0x0
	.amdhsa_kernel _ZN7rocprim17ROCPRIM_400000_NS6detail17trampoline_kernelINS0_14default_configENS1_36segmented_radix_sort_config_selectorIdlEEZNS1_25segmented_radix_sort_implIS3_Lb1EPKdPdPKlPlN2at6native12_GLOBAL__N_18offset_tEEE10hipError_tPvRmT1_PNSt15iterator_traitsISK_E10value_typeET2_T3_PNSL_ISQ_E10value_typeET4_jRbjT5_SW_jjP12ihipStream_tbEUlT_E0_NS1_11comp_targetILNS1_3genE9ELNS1_11target_archE1100ELNS1_3gpuE3ELNS1_3repE0EEENS1_60segmented_radix_sort_warp_sort_medium_config_static_selectorELNS0_4arch9wavefront6targetE0EEEvSK_
		.amdhsa_group_segment_fixed_size 0
		.amdhsa_private_segment_fixed_size 0
		.amdhsa_kernarg_size 88
		.amdhsa_user_sgpr_count 2
		.amdhsa_user_sgpr_dispatch_ptr 0
		.amdhsa_user_sgpr_queue_ptr 0
		.amdhsa_user_sgpr_kernarg_segment_ptr 1
		.amdhsa_user_sgpr_dispatch_id 0
		.amdhsa_user_sgpr_private_segment_size 0
		.amdhsa_wavefront_size32 1
		.amdhsa_uses_dynamic_stack 0
		.amdhsa_enable_private_segment 0
		.amdhsa_system_sgpr_workgroup_id_x 1
		.amdhsa_system_sgpr_workgroup_id_y 0
		.amdhsa_system_sgpr_workgroup_id_z 0
		.amdhsa_system_sgpr_workgroup_info 0
		.amdhsa_system_vgpr_workitem_id 0
		.amdhsa_next_free_vgpr 1
		.amdhsa_next_free_sgpr 1
		.amdhsa_reserve_vcc 0
		.amdhsa_float_round_mode_32 0
		.amdhsa_float_round_mode_16_64 0
		.amdhsa_float_denorm_mode_32 3
		.amdhsa_float_denorm_mode_16_64 3
		.amdhsa_fp16_overflow 0
		.amdhsa_workgroup_processor_mode 1
		.amdhsa_memory_ordered 1
		.amdhsa_forward_progress 1
		.amdhsa_inst_pref_size 0
		.amdhsa_round_robin_scheduling 0
		.amdhsa_exception_fp_ieee_invalid_op 0
		.amdhsa_exception_fp_denorm_src 0
		.amdhsa_exception_fp_ieee_div_zero 0
		.amdhsa_exception_fp_ieee_overflow 0
		.amdhsa_exception_fp_ieee_underflow 0
		.amdhsa_exception_fp_ieee_inexact 0
		.amdhsa_exception_int_div_zero 0
	.end_amdhsa_kernel
	.section	.text._ZN7rocprim17ROCPRIM_400000_NS6detail17trampoline_kernelINS0_14default_configENS1_36segmented_radix_sort_config_selectorIdlEEZNS1_25segmented_radix_sort_implIS3_Lb1EPKdPdPKlPlN2at6native12_GLOBAL__N_18offset_tEEE10hipError_tPvRmT1_PNSt15iterator_traitsISK_E10value_typeET2_T3_PNSL_ISQ_E10value_typeET4_jRbjT5_SW_jjP12ihipStream_tbEUlT_E0_NS1_11comp_targetILNS1_3genE9ELNS1_11target_archE1100ELNS1_3gpuE3ELNS1_3repE0EEENS1_60segmented_radix_sort_warp_sort_medium_config_static_selectorELNS0_4arch9wavefront6targetE0EEEvSK_,"axG",@progbits,_ZN7rocprim17ROCPRIM_400000_NS6detail17trampoline_kernelINS0_14default_configENS1_36segmented_radix_sort_config_selectorIdlEEZNS1_25segmented_radix_sort_implIS3_Lb1EPKdPdPKlPlN2at6native12_GLOBAL__N_18offset_tEEE10hipError_tPvRmT1_PNSt15iterator_traitsISK_E10value_typeET2_T3_PNSL_ISQ_E10value_typeET4_jRbjT5_SW_jjP12ihipStream_tbEUlT_E0_NS1_11comp_targetILNS1_3genE9ELNS1_11target_archE1100ELNS1_3gpuE3ELNS1_3repE0EEENS1_60segmented_radix_sort_warp_sort_medium_config_static_selectorELNS0_4arch9wavefront6targetE0EEEvSK_,comdat
.Lfunc_end1136:
	.size	_ZN7rocprim17ROCPRIM_400000_NS6detail17trampoline_kernelINS0_14default_configENS1_36segmented_radix_sort_config_selectorIdlEEZNS1_25segmented_radix_sort_implIS3_Lb1EPKdPdPKlPlN2at6native12_GLOBAL__N_18offset_tEEE10hipError_tPvRmT1_PNSt15iterator_traitsISK_E10value_typeET2_T3_PNSL_ISQ_E10value_typeET4_jRbjT5_SW_jjP12ihipStream_tbEUlT_E0_NS1_11comp_targetILNS1_3genE9ELNS1_11target_archE1100ELNS1_3gpuE3ELNS1_3repE0EEENS1_60segmented_radix_sort_warp_sort_medium_config_static_selectorELNS0_4arch9wavefront6targetE0EEEvSK_, .Lfunc_end1136-_ZN7rocprim17ROCPRIM_400000_NS6detail17trampoline_kernelINS0_14default_configENS1_36segmented_radix_sort_config_selectorIdlEEZNS1_25segmented_radix_sort_implIS3_Lb1EPKdPdPKlPlN2at6native12_GLOBAL__N_18offset_tEEE10hipError_tPvRmT1_PNSt15iterator_traitsISK_E10value_typeET2_T3_PNSL_ISQ_E10value_typeET4_jRbjT5_SW_jjP12ihipStream_tbEUlT_E0_NS1_11comp_targetILNS1_3genE9ELNS1_11target_archE1100ELNS1_3gpuE3ELNS1_3repE0EEENS1_60segmented_radix_sort_warp_sort_medium_config_static_selectorELNS0_4arch9wavefront6targetE0EEEvSK_
                                        ; -- End function
	.set _ZN7rocprim17ROCPRIM_400000_NS6detail17trampoline_kernelINS0_14default_configENS1_36segmented_radix_sort_config_selectorIdlEEZNS1_25segmented_radix_sort_implIS3_Lb1EPKdPdPKlPlN2at6native12_GLOBAL__N_18offset_tEEE10hipError_tPvRmT1_PNSt15iterator_traitsISK_E10value_typeET2_T3_PNSL_ISQ_E10value_typeET4_jRbjT5_SW_jjP12ihipStream_tbEUlT_E0_NS1_11comp_targetILNS1_3genE9ELNS1_11target_archE1100ELNS1_3gpuE3ELNS1_3repE0EEENS1_60segmented_radix_sort_warp_sort_medium_config_static_selectorELNS0_4arch9wavefront6targetE0EEEvSK_.num_vgpr, 0
	.set _ZN7rocprim17ROCPRIM_400000_NS6detail17trampoline_kernelINS0_14default_configENS1_36segmented_radix_sort_config_selectorIdlEEZNS1_25segmented_radix_sort_implIS3_Lb1EPKdPdPKlPlN2at6native12_GLOBAL__N_18offset_tEEE10hipError_tPvRmT1_PNSt15iterator_traitsISK_E10value_typeET2_T3_PNSL_ISQ_E10value_typeET4_jRbjT5_SW_jjP12ihipStream_tbEUlT_E0_NS1_11comp_targetILNS1_3genE9ELNS1_11target_archE1100ELNS1_3gpuE3ELNS1_3repE0EEENS1_60segmented_radix_sort_warp_sort_medium_config_static_selectorELNS0_4arch9wavefront6targetE0EEEvSK_.num_agpr, 0
	.set _ZN7rocprim17ROCPRIM_400000_NS6detail17trampoline_kernelINS0_14default_configENS1_36segmented_radix_sort_config_selectorIdlEEZNS1_25segmented_radix_sort_implIS3_Lb1EPKdPdPKlPlN2at6native12_GLOBAL__N_18offset_tEEE10hipError_tPvRmT1_PNSt15iterator_traitsISK_E10value_typeET2_T3_PNSL_ISQ_E10value_typeET4_jRbjT5_SW_jjP12ihipStream_tbEUlT_E0_NS1_11comp_targetILNS1_3genE9ELNS1_11target_archE1100ELNS1_3gpuE3ELNS1_3repE0EEENS1_60segmented_radix_sort_warp_sort_medium_config_static_selectorELNS0_4arch9wavefront6targetE0EEEvSK_.numbered_sgpr, 0
	.set _ZN7rocprim17ROCPRIM_400000_NS6detail17trampoline_kernelINS0_14default_configENS1_36segmented_radix_sort_config_selectorIdlEEZNS1_25segmented_radix_sort_implIS3_Lb1EPKdPdPKlPlN2at6native12_GLOBAL__N_18offset_tEEE10hipError_tPvRmT1_PNSt15iterator_traitsISK_E10value_typeET2_T3_PNSL_ISQ_E10value_typeET4_jRbjT5_SW_jjP12ihipStream_tbEUlT_E0_NS1_11comp_targetILNS1_3genE9ELNS1_11target_archE1100ELNS1_3gpuE3ELNS1_3repE0EEENS1_60segmented_radix_sort_warp_sort_medium_config_static_selectorELNS0_4arch9wavefront6targetE0EEEvSK_.num_named_barrier, 0
	.set _ZN7rocprim17ROCPRIM_400000_NS6detail17trampoline_kernelINS0_14default_configENS1_36segmented_radix_sort_config_selectorIdlEEZNS1_25segmented_radix_sort_implIS3_Lb1EPKdPdPKlPlN2at6native12_GLOBAL__N_18offset_tEEE10hipError_tPvRmT1_PNSt15iterator_traitsISK_E10value_typeET2_T3_PNSL_ISQ_E10value_typeET4_jRbjT5_SW_jjP12ihipStream_tbEUlT_E0_NS1_11comp_targetILNS1_3genE9ELNS1_11target_archE1100ELNS1_3gpuE3ELNS1_3repE0EEENS1_60segmented_radix_sort_warp_sort_medium_config_static_selectorELNS0_4arch9wavefront6targetE0EEEvSK_.private_seg_size, 0
	.set _ZN7rocprim17ROCPRIM_400000_NS6detail17trampoline_kernelINS0_14default_configENS1_36segmented_radix_sort_config_selectorIdlEEZNS1_25segmented_radix_sort_implIS3_Lb1EPKdPdPKlPlN2at6native12_GLOBAL__N_18offset_tEEE10hipError_tPvRmT1_PNSt15iterator_traitsISK_E10value_typeET2_T3_PNSL_ISQ_E10value_typeET4_jRbjT5_SW_jjP12ihipStream_tbEUlT_E0_NS1_11comp_targetILNS1_3genE9ELNS1_11target_archE1100ELNS1_3gpuE3ELNS1_3repE0EEENS1_60segmented_radix_sort_warp_sort_medium_config_static_selectorELNS0_4arch9wavefront6targetE0EEEvSK_.uses_vcc, 0
	.set _ZN7rocprim17ROCPRIM_400000_NS6detail17trampoline_kernelINS0_14default_configENS1_36segmented_radix_sort_config_selectorIdlEEZNS1_25segmented_radix_sort_implIS3_Lb1EPKdPdPKlPlN2at6native12_GLOBAL__N_18offset_tEEE10hipError_tPvRmT1_PNSt15iterator_traitsISK_E10value_typeET2_T3_PNSL_ISQ_E10value_typeET4_jRbjT5_SW_jjP12ihipStream_tbEUlT_E0_NS1_11comp_targetILNS1_3genE9ELNS1_11target_archE1100ELNS1_3gpuE3ELNS1_3repE0EEENS1_60segmented_radix_sort_warp_sort_medium_config_static_selectorELNS0_4arch9wavefront6targetE0EEEvSK_.uses_flat_scratch, 0
	.set _ZN7rocprim17ROCPRIM_400000_NS6detail17trampoline_kernelINS0_14default_configENS1_36segmented_radix_sort_config_selectorIdlEEZNS1_25segmented_radix_sort_implIS3_Lb1EPKdPdPKlPlN2at6native12_GLOBAL__N_18offset_tEEE10hipError_tPvRmT1_PNSt15iterator_traitsISK_E10value_typeET2_T3_PNSL_ISQ_E10value_typeET4_jRbjT5_SW_jjP12ihipStream_tbEUlT_E0_NS1_11comp_targetILNS1_3genE9ELNS1_11target_archE1100ELNS1_3gpuE3ELNS1_3repE0EEENS1_60segmented_radix_sort_warp_sort_medium_config_static_selectorELNS0_4arch9wavefront6targetE0EEEvSK_.has_dyn_sized_stack, 0
	.set _ZN7rocprim17ROCPRIM_400000_NS6detail17trampoline_kernelINS0_14default_configENS1_36segmented_radix_sort_config_selectorIdlEEZNS1_25segmented_radix_sort_implIS3_Lb1EPKdPdPKlPlN2at6native12_GLOBAL__N_18offset_tEEE10hipError_tPvRmT1_PNSt15iterator_traitsISK_E10value_typeET2_T3_PNSL_ISQ_E10value_typeET4_jRbjT5_SW_jjP12ihipStream_tbEUlT_E0_NS1_11comp_targetILNS1_3genE9ELNS1_11target_archE1100ELNS1_3gpuE3ELNS1_3repE0EEENS1_60segmented_radix_sort_warp_sort_medium_config_static_selectorELNS0_4arch9wavefront6targetE0EEEvSK_.has_recursion, 0
	.set _ZN7rocprim17ROCPRIM_400000_NS6detail17trampoline_kernelINS0_14default_configENS1_36segmented_radix_sort_config_selectorIdlEEZNS1_25segmented_radix_sort_implIS3_Lb1EPKdPdPKlPlN2at6native12_GLOBAL__N_18offset_tEEE10hipError_tPvRmT1_PNSt15iterator_traitsISK_E10value_typeET2_T3_PNSL_ISQ_E10value_typeET4_jRbjT5_SW_jjP12ihipStream_tbEUlT_E0_NS1_11comp_targetILNS1_3genE9ELNS1_11target_archE1100ELNS1_3gpuE3ELNS1_3repE0EEENS1_60segmented_radix_sort_warp_sort_medium_config_static_selectorELNS0_4arch9wavefront6targetE0EEEvSK_.has_indirect_call, 0
	.section	.AMDGPU.csdata,"",@progbits
; Kernel info:
; codeLenInByte = 0
; TotalNumSgprs: 0
; NumVgprs: 0
; ScratchSize: 0
; MemoryBound: 0
; FloatMode: 240
; IeeeMode: 1
; LDSByteSize: 0 bytes/workgroup (compile time only)
; SGPRBlocks: 0
; VGPRBlocks: 0
; NumSGPRsForWavesPerEU: 1
; NumVGPRsForWavesPerEU: 1
; Occupancy: 16
; WaveLimiterHint : 0
; COMPUTE_PGM_RSRC2:SCRATCH_EN: 0
; COMPUTE_PGM_RSRC2:USER_SGPR: 2
; COMPUTE_PGM_RSRC2:TRAP_HANDLER: 0
; COMPUTE_PGM_RSRC2:TGID_X_EN: 1
; COMPUTE_PGM_RSRC2:TGID_Y_EN: 0
; COMPUTE_PGM_RSRC2:TGID_Z_EN: 0
; COMPUTE_PGM_RSRC2:TIDIG_COMP_CNT: 0
	.section	.text._ZN7rocprim17ROCPRIM_400000_NS6detail17trampoline_kernelINS0_14default_configENS1_36segmented_radix_sort_config_selectorIdlEEZNS1_25segmented_radix_sort_implIS3_Lb1EPKdPdPKlPlN2at6native12_GLOBAL__N_18offset_tEEE10hipError_tPvRmT1_PNSt15iterator_traitsISK_E10value_typeET2_T3_PNSL_ISQ_E10value_typeET4_jRbjT5_SW_jjP12ihipStream_tbEUlT_E0_NS1_11comp_targetILNS1_3genE8ELNS1_11target_archE1030ELNS1_3gpuE2ELNS1_3repE0EEENS1_60segmented_radix_sort_warp_sort_medium_config_static_selectorELNS0_4arch9wavefront6targetE0EEEvSK_,"axG",@progbits,_ZN7rocprim17ROCPRIM_400000_NS6detail17trampoline_kernelINS0_14default_configENS1_36segmented_radix_sort_config_selectorIdlEEZNS1_25segmented_radix_sort_implIS3_Lb1EPKdPdPKlPlN2at6native12_GLOBAL__N_18offset_tEEE10hipError_tPvRmT1_PNSt15iterator_traitsISK_E10value_typeET2_T3_PNSL_ISQ_E10value_typeET4_jRbjT5_SW_jjP12ihipStream_tbEUlT_E0_NS1_11comp_targetILNS1_3genE8ELNS1_11target_archE1030ELNS1_3gpuE2ELNS1_3repE0EEENS1_60segmented_radix_sort_warp_sort_medium_config_static_selectorELNS0_4arch9wavefront6targetE0EEEvSK_,comdat
	.globl	_ZN7rocprim17ROCPRIM_400000_NS6detail17trampoline_kernelINS0_14default_configENS1_36segmented_radix_sort_config_selectorIdlEEZNS1_25segmented_radix_sort_implIS3_Lb1EPKdPdPKlPlN2at6native12_GLOBAL__N_18offset_tEEE10hipError_tPvRmT1_PNSt15iterator_traitsISK_E10value_typeET2_T3_PNSL_ISQ_E10value_typeET4_jRbjT5_SW_jjP12ihipStream_tbEUlT_E0_NS1_11comp_targetILNS1_3genE8ELNS1_11target_archE1030ELNS1_3gpuE2ELNS1_3repE0EEENS1_60segmented_radix_sort_warp_sort_medium_config_static_selectorELNS0_4arch9wavefront6targetE0EEEvSK_ ; -- Begin function _ZN7rocprim17ROCPRIM_400000_NS6detail17trampoline_kernelINS0_14default_configENS1_36segmented_radix_sort_config_selectorIdlEEZNS1_25segmented_radix_sort_implIS3_Lb1EPKdPdPKlPlN2at6native12_GLOBAL__N_18offset_tEEE10hipError_tPvRmT1_PNSt15iterator_traitsISK_E10value_typeET2_T3_PNSL_ISQ_E10value_typeET4_jRbjT5_SW_jjP12ihipStream_tbEUlT_E0_NS1_11comp_targetILNS1_3genE8ELNS1_11target_archE1030ELNS1_3gpuE2ELNS1_3repE0EEENS1_60segmented_radix_sort_warp_sort_medium_config_static_selectorELNS0_4arch9wavefront6targetE0EEEvSK_
	.p2align	8
	.type	_ZN7rocprim17ROCPRIM_400000_NS6detail17trampoline_kernelINS0_14default_configENS1_36segmented_radix_sort_config_selectorIdlEEZNS1_25segmented_radix_sort_implIS3_Lb1EPKdPdPKlPlN2at6native12_GLOBAL__N_18offset_tEEE10hipError_tPvRmT1_PNSt15iterator_traitsISK_E10value_typeET2_T3_PNSL_ISQ_E10value_typeET4_jRbjT5_SW_jjP12ihipStream_tbEUlT_E0_NS1_11comp_targetILNS1_3genE8ELNS1_11target_archE1030ELNS1_3gpuE2ELNS1_3repE0EEENS1_60segmented_radix_sort_warp_sort_medium_config_static_selectorELNS0_4arch9wavefront6targetE0EEEvSK_,@function
_ZN7rocprim17ROCPRIM_400000_NS6detail17trampoline_kernelINS0_14default_configENS1_36segmented_radix_sort_config_selectorIdlEEZNS1_25segmented_radix_sort_implIS3_Lb1EPKdPdPKlPlN2at6native12_GLOBAL__N_18offset_tEEE10hipError_tPvRmT1_PNSt15iterator_traitsISK_E10value_typeET2_T3_PNSL_ISQ_E10value_typeET4_jRbjT5_SW_jjP12ihipStream_tbEUlT_E0_NS1_11comp_targetILNS1_3genE8ELNS1_11target_archE1030ELNS1_3gpuE2ELNS1_3repE0EEENS1_60segmented_radix_sort_warp_sort_medium_config_static_selectorELNS0_4arch9wavefront6targetE0EEEvSK_: ; @_ZN7rocprim17ROCPRIM_400000_NS6detail17trampoline_kernelINS0_14default_configENS1_36segmented_radix_sort_config_selectorIdlEEZNS1_25segmented_radix_sort_implIS3_Lb1EPKdPdPKlPlN2at6native12_GLOBAL__N_18offset_tEEE10hipError_tPvRmT1_PNSt15iterator_traitsISK_E10value_typeET2_T3_PNSL_ISQ_E10value_typeET4_jRbjT5_SW_jjP12ihipStream_tbEUlT_E0_NS1_11comp_targetILNS1_3genE8ELNS1_11target_archE1030ELNS1_3gpuE2ELNS1_3repE0EEENS1_60segmented_radix_sort_warp_sort_medium_config_static_selectorELNS0_4arch9wavefront6targetE0EEEvSK_
; %bb.0:
	.section	.rodata,"a",@progbits
	.p2align	6, 0x0
	.amdhsa_kernel _ZN7rocprim17ROCPRIM_400000_NS6detail17trampoline_kernelINS0_14default_configENS1_36segmented_radix_sort_config_selectorIdlEEZNS1_25segmented_radix_sort_implIS3_Lb1EPKdPdPKlPlN2at6native12_GLOBAL__N_18offset_tEEE10hipError_tPvRmT1_PNSt15iterator_traitsISK_E10value_typeET2_T3_PNSL_ISQ_E10value_typeET4_jRbjT5_SW_jjP12ihipStream_tbEUlT_E0_NS1_11comp_targetILNS1_3genE8ELNS1_11target_archE1030ELNS1_3gpuE2ELNS1_3repE0EEENS1_60segmented_radix_sort_warp_sort_medium_config_static_selectorELNS0_4arch9wavefront6targetE0EEEvSK_
		.amdhsa_group_segment_fixed_size 0
		.amdhsa_private_segment_fixed_size 0
		.amdhsa_kernarg_size 88
		.amdhsa_user_sgpr_count 2
		.amdhsa_user_sgpr_dispatch_ptr 0
		.amdhsa_user_sgpr_queue_ptr 0
		.amdhsa_user_sgpr_kernarg_segment_ptr 1
		.amdhsa_user_sgpr_dispatch_id 0
		.amdhsa_user_sgpr_private_segment_size 0
		.amdhsa_wavefront_size32 1
		.amdhsa_uses_dynamic_stack 0
		.amdhsa_enable_private_segment 0
		.amdhsa_system_sgpr_workgroup_id_x 1
		.amdhsa_system_sgpr_workgroup_id_y 0
		.amdhsa_system_sgpr_workgroup_id_z 0
		.amdhsa_system_sgpr_workgroup_info 0
		.amdhsa_system_vgpr_workitem_id 0
		.amdhsa_next_free_vgpr 1
		.amdhsa_next_free_sgpr 1
		.amdhsa_reserve_vcc 0
		.amdhsa_float_round_mode_32 0
		.amdhsa_float_round_mode_16_64 0
		.amdhsa_float_denorm_mode_32 3
		.amdhsa_float_denorm_mode_16_64 3
		.amdhsa_fp16_overflow 0
		.amdhsa_workgroup_processor_mode 1
		.amdhsa_memory_ordered 1
		.amdhsa_forward_progress 1
		.amdhsa_inst_pref_size 0
		.amdhsa_round_robin_scheduling 0
		.amdhsa_exception_fp_ieee_invalid_op 0
		.amdhsa_exception_fp_denorm_src 0
		.amdhsa_exception_fp_ieee_div_zero 0
		.amdhsa_exception_fp_ieee_overflow 0
		.amdhsa_exception_fp_ieee_underflow 0
		.amdhsa_exception_fp_ieee_inexact 0
		.amdhsa_exception_int_div_zero 0
	.end_amdhsa_kernel
	.section	.text._ZN7rocprim17ROCPRIM_400000_NS6detail17trampoline_kernelINS0_14default_configENS1_36segmented_radix_sort_config_selectorIdlEEZNS1_25segmented_radix_sort_implIS3_Lb1EPKdPdPKlPlN2at6native12_GLOBAL__N_18offset_tEEE10hipError_tPvRmT1_PNSt15iterator_traitsISK_E10value_typeET2_T3_PNSL_ISQ_E10value_typeET4_jRbjT5_SW_jjP12ihipStream_tbEUlT_E0_NS1_11comp_targetILNS1_3genE8ELNS1_11target_archE1030ELNS1_3gpuE2ELNS1_3repE0EEENS1_60segmented_radix_sort_warp_sort_medium_config_static_selectorELNS0_4arch9wavefront6targetE0EEEvSK_,"axG",@progbits,_ZN7rocprim17ROCPRIM_400000_NS6detail17trampoline_kernelINS0_14default_configENS1_36segmented_radix_sort_config_selectorIdlEEZNS1_25segmented_radix_sort_implIS3_Lb1EPKdPdPKlPlN2at6native12_GLOBAL__N_18offset_tEEE10hipError_tPvRmT1_PNSt15iterator_traitsISK_E10value_typeET2_T3_PNSL_ISQ_E10value_typeET4_jRbjT5_SW_jjP12ihipStream_tbEUlT_E0_NS1_11comp_targetILNS1_3genE8ELNS1_11target_archE1030ELNS1_3gpuE2ELNS1_3repE0EEENS1_60segmented_radix_sort_warp_sort_medium_config_static_selectorELNS0_4arch9wavefront6targetE0EEEvSK_,comdat
.Lfunc_end1137:
	.size	_ZN7rocprim17ROCPRIM_400000_NS6detail17trampoline_kernelINS0_14default_configENS1_36segmented_radix_sort_config_selectorIdlEEZNS1_25segmented_radix_sort_implIS3_Lb1EPKdPdPKlPlN2at6native12_GLOBAL__N_18offset_tEEE10hipError_tPvRmT1_PNSt15iterator_traitsISK_E10value_typeET2_T3_PNSL_ISQ_E10value_typeET4_jRbjT5_SW_jjP12ihipStream_tbEUlT_E0_NS1_11comp_targetILNS1_3genE8ELNS1_11target_archE1030ELNS1_3gpuE2ELNS1_3repE0EEENS1_60segmented_radix_sort_warp_sort_medium_config_static_selectorELNS0_4arch9wavefront6targetE0EEEvSK_, .Lfunc_end1137-_ZN7rocprim17ROCPRIM_400000_NS6detail17trampoline_kernelINS0_14default_configENS1_36segmented_radix_sort_config_selectorIdlEEZNS1_25segmented_radix_sort_implIS3_Lb1EPKdPdPKlPlN2at6native12_GLOBAL__N_18offset_tEEE10hipError_tPvRmT1_PNSt15iterator_traitsISK_E10value_typeET2_T3_PNSL_ISQ_E10value_typeET4_jRbjT5_SW_jjP12ihipStream_tbEUlT_E0_NS1_11comp_targetILNS1_3genE8ELNS1_11target_archE1030ELNS1_3gpuE2ELNS1_3repE0EEENS1_60segmented_radix_sort_warp_sort_medium_config_static_selectorELNS0_4arch9wavefront6targetE0EEEvSK_
                                        ; -- End function
	.set _ZN7rocprim17ROCPRIM_400000_NS6detail17trampoline_kernelINS0_14default_configENS1_36segmented_radix_sort_config_selectorIdlEEZNS1_25segmented_radix_sort_implIS3_Lb1EPKdPdPKlPlN2at6native12_GLOBAL__N_18offset_tEEE10hipError_tPvRmT1_PNSt15iterator_traitsISK_E10value_typeET2_T3_PNSL_ISQ_E10value_typeET4_jRbjT5_SW_jjP12ihipStream_tbEUlT_E0_NS1_11comp_targetILNS1_3genE8ELNS1_11target_archE1030ELNS1_3gpuE2ELNS1_3repE0EEENS1_60segmented_radix_sort_warp_sort_medium_config_static_selectorELNS0_4arch9wavefront6targetE0EEEvSK_.num_vgpr, 0
	.set _ZN7rocprim17ROCPRIM_400000_NS6detail17trampoline_kernelINS0_14default_configENS1_36segmented_radix_sort_config_selectorIdlEEZNS1_25segmented_radix_sort_implIS3_Lb1EPKdPdPKlPlN2at6native12_GLOBAL__N_18offset_tEEE10hipError_tPvRmT1_PNSt15iterator_traitsISK_E10value_typeET2_T3_PNSL_ISQ_E10value_typeET4_jRbjT5_SW_jjP12ihipStream_tbEUlT_E0_NS1_11comp_targetILNS1_3genE8ELNS1_11target_archE1030ELNS1_3gpuE2ELNS1_3repE0EEENS1_60segmented_radix_sort_warp_sort_medium_config_static_selectorELNS0_4arch9wavefront6targetE0EEEvSK_.num_agpr, 0
	.set _ZN7rocprim17ROCPRIM_400000_NS6detail17trampoline_kernelINS0_14default_configENS1_36segmented_radix_sort_config_selectorIdlEEZNS1_25segmented_radix_sort_implIS3_Lb1EPKdPdPKlPlN2at6native12_GLOBAL__N_18offset_tEEE10hipError_tPvRmT1_PNSt15iterator_traitsISK_E10value_typeET2_T3_PNSL_ISQ_E10value_typeET4_jRbjT5_SW_jjP12ihipStream_tbEUlT_E0_NS1_11comp_targetILNS1_3genE8ELNS1_11target_archE1030ELNS1_3gpuE2ELNS1_3repE0EEENS1_60segmented_radix_sort_warp_sort_medium_config_static_selectorELNS0_4arch9wavefront6targetE0EEEvSK_.numbered_sgpr, 0
	.set _ZN7rocprim17ROCPRIM_400000_NS6detail17trampoline_kernelINS0_14default_configENS1_36segmented_radix_sort_config_selectorIdlEEZNS1_25segmented_radix_sort_implIS3_Lb1EPKdPdPKlPlN2at6native12_GLOBAL__N_18offset_tEEE10hipError_tPvRmT1_PNSt15iterator_traitsISK_E10value_typeET2_T3_PNSL_ISQ_E10value_typeET4_jRbjT5_SW_jjP12ihipStream_tbEUlT_E0_NS1_11comp_targetILNS1_3genE8ELNS1_11target_archE1030ELNS1_3gpuE2ELNS1_3repE0EEENS1_60segmented_radix_sort_warp_sort_medium_config_static_selectorELNS0_4arch9wavefront6targetE0EEEvSK_.num_named_barrier, 0
	.set _ZN7rocprim17ROCPRIM_400000_NS6detail17trampoline_kernelINS0_14default_configENS1_36segmented_radix_sort_config_selectorIdlEEZNS1_25segmented_radix_sort_implIS3_Lb1EPKdPdPKlPlN2at6native12_GLOBAL__N_18offset_tEEE10hipError_tPvRmT1_PNSt15iterator_traitsISK_E10value_typeET2_T3_PNSL_ISQ_E10value_typeET4_jRbjT5_SW_jjP12ihipStream_tbEUlT_E0_NS1_11comp_targetILNS1_3genE8ELNS1_11target_archE1030ELNS1_3gpuE2ELNS1_3repE0EEENS1_60segmented_radix_sort_warp_sort_medium_config_static_selectorELNS0_4arch9wavefront6targetE0EEEvSK_.private_seg_size, 0
	.set _ZN7rocprim17ROCPRIM_400000_NS6detail17trampoline_kernelINS0_14default_configENS1_36segmented_radix_sort_config_selectorIdlEEZNS1_25segmented_radix_sort_implIS3_Lb1EPKdPdPKlPlN2at6native12_GLOBAL__N_18offset_tEEE10hipError_tPvRmT1_PNSt15iterator_traitsISK_E10value_typeET2_T3_PNSL_ISQ_E10value_typeET4_jRbjT5_SW_jjP12ihipStream_tbEUlT_E0_NS1_11comp_targetILNS1_3genE8ELNS1_11target_archE1030ELNS1_3gpuE2ELNS1_3repE0EEENS1_60segmented_radix_sort_warp_sort_medium_config_static_selectorELNS0_4arch9wavefront6targetE0EEEvSK_.uses_vcc, 0
	.set _ZN7rocprim17ROCPRIM_400000_NS6detail17trampoline_kernelINS0_14default_configENS1_36segmented_radix_sort_config_selectorIdlEEZNS1_25segmented_radix_sort_implIS3_Lb1EPKdPdPKlPlN2at6native12_GLOBAL__N_18offset_tEEE10hipError_tPvRmT1_PNSt15iterator_traitsISK_E10value_typeET2_T3_PNSL_ISQ_E10value_typeET4_jRbjT5_SW_jjP12ihipStream_tbEUlT_E0_NS1_11comp_targetILNS1_3genE8ELNS1_11target_archE1030ELNS1_3gpuE2ELNS1_3repE0EEENS1_60segmented_radix_sort_warp_sort_medium_config_static_selectorELNS0_4arch9wavefront6targetE0EEEvSK_.uses_flat_scratch, 0
	.set _ZN7rocprim17ROCPRIM_400000_NS6detail17trampoline_kernelINS0_14default_configENS1_36segmented_radix_sort_config_selectorIdlEEZNS1_25segmented_radix_sort_implIS3_Lb1EPKdPdPKlPlN2at6native12_GLOBAL__N_18offset_tEEE10hipError_tPvRmT1_PNSt15iterator_traitsISK_E10value_typeET2_T3_PNSL_ISQ_E10value_typeET4_jRbjT5_SW_jjP12ihipStream_tbEUlT_E0_NS1_11comp_targetILNS1_3genE8ELNS1_11target_archE1030ELNS1_3gpuE2ELNS1_3repE0EEENS1_60segmented_radix_sort_warp_sort_medium_config_static_selectorELNS0_4arch9wavefront6targetE0EEEvSK_.has_dyn_sized_stack, 0
	.set _ZN7rocprim17ROCPRIM_400000_NS6detail17trampoline_kernelINS0_14default_configENS1_36segmented_radix_sort_config_selectorIdlEEZNS1_25segmented_radix_sort_implIS3_Lb1EPKdPdPKlPlN2at6native12_GLOBAL__N_18offset_tEEE10hipError_tPvRmT1_PNSt15iterator_traitsISK_E10value_typeET2_T3_PNSL_ISQ_E10value_typeET4_jRbjT5_SW_jjP12ihipStream_tbEUlT_E0_NS1_11comp_targetILNS1_3genE8ELNS1_11target_archE1030ELNS1_3gpuE2ELNS1_3repE0EEENS1_60segmented_radix_sort_warp_sort_medium_config_static_selectorELNS0_4arch9wavefront6targetE0EEEvSK_.has_recursion, 0
	.set _ZN7rocprim17ROCPRIM_400000_NS6detail17trampoline_kernelINS0_14default_configENS1_36segmented_radix_sort_config_selectorIdlEEZNS1_25segmented_radix_sort_implIS3_Lb1EPKdPdPKlPlN2at6native12_GLOBAL__N_18offset_tEEE10hipError_tPvRmT1_PNSt15iterator_traitsISK_E10value_typeET2_T3_PNSL_ISQ_E10value_typeET4_jRbjT5_SW_jjP12ihipStream_tbEUlT_E0_NS1_11comp_targetILNS1_3genE8ELNS1_11target_archE1030ELNS1_3gpuE2ELNS1_3repE0EEENS1_60segmented_radix_sort_warp_sort_medium_config_static_selectorELNS0_4arch9wavefront6targetE0EEEvSK_.has_indirect_call, 0
	.section	.AMDGPU.csdata,"",@progbits
; Kernel info:
; codeLenInByte = 0
; TotalNumSgprs: 0
; NumVgprs: 0
; ScratchSize: 0
; MemoryBound: 0
; FloatMode: 240
; IeeeMode: 1
; LDSByteSize: 0 bytes/workgroup (compile time only)
; SGPRBlocks: 0
; VGPRBlocks: 0
; NumSGPRsForWavesPerEU: 1
; NumVGPRsForWavesPerEU: 1
; Occupancy: 16
; WaveLimiterHint : 0
; COMPUTE_PGM_RSRC2:SCRATCH_EN: 0
; COMPUTE_PGM_RSRC2:USER_SGPR: 2
; COMPUTE_PGM_RSRC2:TRAP_HANDLER: 0
; COMPUTE_PGM_RSRC2:TGID_X_EN: 1
; COMPUTE_PGM_RSRC2:TGID_Y_EN: 0
; COMPUTE_PGM_RSRC2:TGID_Z_EN: 0
; COMPUTE_PGM_RSRC2:TIDIG_COMP_CNT: 0
	.section	.text._ZN7rocprim17ROCPRIM_400000_NS6detail17trampoline_kernelINS0_14default_configENS1_36segmented_radix_sort_config_selectorIdlEEZNS1_25segmented_radix_sort_implIS3_Lb1EPKdPdPKlPlN2at6native12_GLOBAL__N_18offset_tEEE10hipError_tPvRmT1_PNSt15iterator_traitsISK_E10value_typeET2_T3_PNSL_ISQ_E10value_typeET4_jRbjT5_SW_jjP12ihipStream_tbEUlT_E1_NS1_11comp_targetILNS1_3genE0ELNS1_11target_archE4294967295ELNS1_3gpuE0ELNS1_3repE0EEENS1_59segmented_radix_sort_warp_sort_small_config_static_selectorELNS0_4arch9wavefront6targetE0EEEvSK_,"axG",@progbits,_ZN7rocprim17ROCPRIM_400000_NS6detail17trampoline_kernelINS0_14default_configENS1_36segmented_radix_sort_config_selectorIdlEEZNS1_25segmented_radix_sort_implIS3_Lb1EPKdPdPKlPlN2at6native12_GLOBAL__N_18offset_tEEE10hipError_tPvRmT1_PNSt15iterator_traitsISK_E10value_typeET2_T3_PNSL_ISQ_E10value_typeET4_jRbjT5_SW_jjP12ihipStream_tbEUlT_E1_NS1_11comp_targetILNS1_3genE0ELNS1_11target_archE4294967295ELNS1_3gpuE0ELNS1_3repE0EEENS1_59segmented_radix_sort_warp_sort_small_config_static_selectorELNS0_4arch9wavefront6targetE0EEEvSK_,comdat
	.globl	_ZN7rocprim17ROCPRIM_400000_NS6detail17trampoline_kernelINS0_14default_configENS1_36segmented_radix_sort_config_selectorIdlEEZNS1_25segmented_radix_sort_implIS3_Lb1EPKdPdPKlPlN2at6native12_GLOBAL__N_18offset_tEEE10hipError_tPvRmT1_PNSt15iterator_traitsISK_E10value_typeET2_T3_PNSL_ISQ_E10value_typeET4_jRbjT5_SW_jjP12ihipStream_tbEUlT_E1_NS1_11comp_targetILNS1_3genE0ELNS1_11target_archE4294967295ELNS1_3gpuE0ELNS1_3repE0EEENS1_59segmented_radix_sort_warp_sort_small_config_static_selectorELNS0_4arch9wavefront6targetE0EEEvSK_ ; -- Begin function _ZN7rocprim17ROCPRIM_400000_NS6detail17trampoline_kernelINS0_14default_configENS1_36segmented_radix_sort_config_selectorIdlEEZNS1_25segmented_radix_sort_implIS3_Lb1EPKdPdPKlPlN2at6native12_GLOBAL__N_18offset_tEEE10hipError_tPvRmT1_PNSt15iterator_traitsISK_E10value_typeET2_T3_PNSL_ISQ_E10value_typeET4_jRbjT5_SW_jjP12ihipStream_tbEUlT_E1_NS1_11comp_targetILNS1_3genE0ELNS1_11target_archE4294967295ELNS1_3gpuE0ELNS1_3repE0EEENS1_59segmented_radix_sort_warp_sort_small_config_static_selectorELNS0_4arch9wavefront6targetE0EEEvSK_
	.p2align	8
	.type	_ZN7rocprim17ROCPRIM_400000_NS6detail17trampoline_kernelINS0_14default_configENS1_36segmented_radix_sort_config_selectorIdlEEZNS1_25segmented_radix_sort_implIS3_Lb1EPKdPdPKlPlN2at6native12_GLOBAL__N_18offset_tEEE10hipError_tPvRmT1_PNSt15iterator_traitsISK_E10value_typeET2_T3_PNSL_ISQ_E10value_typeET4_jRbjT5_SW_jjP12ihipStream_tbEUlT_E1_NS1_11comp_targetILNS1_3genE0ELNS1_11target_archE4294967295ELNS1_3gpuE0ELNS1_3repE0EEENS1_59segmented_radix_sort_warp_sort_small_config_static_selectorELNS0_4arch9wavefront6targetE0EEEvSK_,@function
_ZN7rocprim17ROCPRIM_400000_NS6detail17trampoline_kernelINS0_14default_configENS1_36segmented_radix_sort_config_selectorIdlEEZNS1_25segmented_radix_sort_implIS3_Lb1EPKdPdPKlPlN2at6native12_GLOBAL__N_18offset_tEEE10hipError_tPvRmT1_PNSt15iterator_traitsISK_E10value_typeET2_T3_PNSL_ISQ_E10value_typeET4_jRbjT5_SW_jjP12ihipStream_tbEUlT_E1_NS1_11comp_targetILNS1_3genE0ELNS1_11target_archE4294967295ELNS1_3gpuE0ELNS1_3repE0EEENS1_59segmented_radix_sort_warp_sort_small_config_static_selectorELNS0_4arch9wavefront6targetE0EEEvSK_: ; @_ZN7rocprim17ROCPRIM_400000_NS6detail17trampoline_kernelINS0_14default_configENS1_36segmented_radix_sort_config_selectorIdlEEZNS1_25segmented_radix_sort_implIS3_Lb1EPKdPdPKlPlN2at6native12_GLOBAL__N_18offset_tEEE10hipError_tPvRmT1_PNSt15iterator_traitsISK_E10value_typeET2_T3_PNSL_ISQ_E10value_typeET4_jRbjT5_SW_jjP12ihipStream_tbEUlT_E1_NS1_11comp_targetILNS1_3genE0ELNS1_11target_archE4294967295ELNS1_3gpuE0ELNS1_3repE0EEENS1_59segmented_radix_sort_warp_sort_small_config_static_selectorELNS0_4arch9wavefront6targetE0EEEvSK_
; %bb.0:
	.section	.rodata,"a",@progbits
	.p2align	6, 0x0
	.amdhsa_kernel _ZN7rocprim17ROCPRIM_400000_NS6detail17trampoline_kernelINS0_14default_configENS1_36segmented_radix_sort_config_selectorIdlEEZNS1_25segmented_radix_sort_implIS3_Lb1EPKdPdPKlPlN2at6native12_GLOBAL__N_18offset_tEEE10hipError_tPvRmT1_PNSt15iterator_traitsISK_E10value_typeET2_T3_PNSL_ISQ_E10value_typeET4_jRbjT5_SW_jjP12ihipStream_tbEUlT_E1_NS1_11comp_targetILNS1_3genE0ELNS1_11target_archE4294967295ELNS1_3gpuE0ELNS1_3repE0EEENS1_59segmented_radix_sort_warp_sort_small_config_static_selectorELNS0_4arch9wavefront6targetE0EEEvSK_
		.amdhsa_group_segment_fixed_size 0
		.amdhsa_private_segment_fixed_size 0
		.amdhsa_kernarg_size 88
		.amdhsa_user_sgpr_count 2
		.amdhsa_user_sgpr_dispatch_ptr 0
		.amdhsa_user_sgpr_queue_ptr 0
		.amdhsa_user_sgpr_kernarg_segment_ptr 1
		.amdhsa_user_sgpr_dispatch_id 0
		.amdhsa_user_sgpr_private_segment_size 0
		.amdhsa_wavefront_size32 1
		.amdhsa_uses_dynamic_stack 0
		.amdhsa_enable_private_segment 0
		.amdhsa_system_sgpr_workgroup_id_x 1
		.amdhsa_system_sgpr_workgroup_id_y 0
		.amdhsa_system_sgpr_workgroup_id_z 0
		.amdhsa_system_sgpr_workgroup_info 0
		.amdhsa_system_vgpr_workitem_id 0
		.amdhsa_next_free_vgpr 1
		.amdhsa_next_free_sgpr 1
		.amdhsa_reserve_vcc 0
		.amdhsa_float_round_mode_32 0
		.amdhsa_float_round_mode_16_64 0
		.amdhsa_float_denorm_mode_32 3
		.amdhsa_float_denorm_mode_16_64 3
		.amdhsa_fp16_overflow 0
		.amdhsa_workgroup_processor_mode 1
		.amdhsa_memory_ordered 1
		.amdhsa_forward_progress 1
		.amdhsa_inst_pref_size 0
		.amdhsa_round_robin_scheduling 0
		.amdhsa_exception_fp_ieee_invalid_op 0
		.amdhsa_exception_fp_denorm_src 0
		.amdhsa_exception_fp_ieee_div_zero 0
		.amdhsa_exception_fp_ieee_overflow 0
		.amdhsa_exception_fp_ieee_underflow 0
		.amdhsa_exception_fp_ieee_inexact 0
		.amdhsa_exception_int_div_zero 0
	.end_amdhsa_kernel
	.section	.text._ZN7rocprim17ROCPRIM_400000_NS6detail17trampoline_kernelINS0_14default_configENS1_36segmented_radix_sort_config_selectorIdlEEZNS1_25segmented_radix_sort_implIS3_Lb1EPKdPdPKlPlN2at6native12_GLOBAL__N_18offset_tEEE10hipError_tPvRmT1_PNSt15iterator_traitsISK_E10value_typeET2_T3_PNSL_ISQ_E10value_typeET4_jRbjT5_SW_jjP12ihipStream_tbEUlT_E1_NS1_11comp_targetILNS1_3genE0ELNS1_11target_archE4294967295ELNS1_3gpuE0ELNS1_3repE0EEENS1_59segmented_radix_sort_warp_sort_small_config_static_selectorELNS0_4arch9wavefront6targetE0EEEvSK_,"axG",@progbits,_ZN7rocprim17ROCPRIM_400000_NS6detail17trampoline_kernelINS0_14default_configENS1_36segmented_radix_sort_config_selectorIdlEEZNS1_25segmented_radix_sort_implIS3_Lb1EPKdPdPKlPlN2at6native12_GLOBAL__N_18offset_tEEE10hipError_tPvRmT1_PNSt15iterator_traitsISK_E10value_typeET2_T3_PNSL_ISQ_E10value_typeET4_jRbjT5_SW_jjP12ihipStream_tbEUlT_E1_NS1_11comp_targetILNS1_3genE0ELNS1_11target_archE4294967295ELNS1_3gpuE0ELNS1_3repE0EEENS1_59segmented_radix_sort_warp_sort_small_config_static_selectorELNS0_4arch9wavefront6targetE0EEEvSK_,comdat
.Lfunc_end1138:
	.size	_ZN7rocprim17ROCPRIM_400000_NS6detail17trampoline_kernelINS0_14default_configENS1_36segmented_radix_sort_config_selectorIdlEEZNS1_25segmented_radix_sort_implIS3_Lb1EPKdPdPKlPlN2at6native12_GLOBAL__N_18offset_tEEE10hipError_tPvRmT1_PNSt15iterator_traitsISK_E10value_typeET2_T3_PNSL_ISQ_E10value_typeET4_jRbjT5_SW_jjP12ihipStream_tbEUlT_E1_NS1_11comp_targetILNS1_3genE0ELNS1_11target_archE4294967295ELNS1_3gpuE0ELNS1_3repE0EEENS1_59segmented_radix_sort_warp_sort_small_config_static_selectorELNS0_4arch9wavefront6targetE0EEEvSK_, .Lfunc_end1138-_ZN7rocprim17ROCPRIM_400000_NS6detail17trampoline_kernelINS0_14default_configENS1_36segmented_radix_sort_config_selectorIdlEEZNS1_25segmented_radix_sort_implIS3_Lb1EPKdPdPKlPlN2at6native12_GLOBAL__N_18offset_tEEE10hipError_tPvRmT1_PNSt15iterator_traitsISK_E10value_typeET2_T3_PNSL_ISQ_E10value_typeET4_jRbjT5_SW_jjP12ihipStream_tbEUlT_E1_NS1_11comp_targetILNS1_3genE0ELNS1_11target_archE4294967295ELNS1_3gpuE0ELNS1_3repE0EEENS1_59segmented_radix_sort_warp_sort_small_config_static_selectorELNS0_4arch9wavefront6targetE0EEEvSK_
                                        ; -- End function
	.set _ZN7rocprim17ROCPRIM_400000_NS6detail17trampoline_kernelINS0_14default_configENS1_36segmented_radix_sort_config_selectorIdlEEZNS1_25segmented_radix_sort_implIS3_Lb1EPKdPdPKlPlN2at6native12_GLOBAL__N_18offset_tEEE10hipError_tPvRmT1_PNSt15iterator_traitsISK_E10value_typeET2_T3_PNSL_ISQ_E10value_typeET4_jRbjT5_SW_jjP12ihipStream_tbEUlT_E1_NS1_11comp_targetILNS1_3genE0ELNS1_11target_archE4294967295ELNS1_3gpuE0ELNS1_3repE0EEENS1_59segmented_radix_sort_warp_sort_small_config_static_selectorELNS0_4arch9wavefront6targetE0EEEvSK_.num_vgpr, 0
	.set _ZN7rocprim17ROCPRIM_400000_NS6detail17trampoline_kernelINS0_14default_configENS1_36segmented_radix_sort_config_selectorIdlEEZNS1_25segmented_radix_sort_implIS3_Lb1EPKdPdPKlPlN2at6native12_GLOBAL__N_18offset_tEEE10hipError_tPvRmT1_PNSt15iterator_traitsISK_E10value_typeET2_T3_PNSL_ISQ_E10value_typeET4_jRbjT5_SW_jjP12ihipStream_tbEUlT_E1_NS1_11comp_targetILNS1_3genE0ELNS1_11target_archE4294967295ELNS1_3gpuE0ELNS1_3repE0EEENS1_59segmented_radix_sort_warp_sort_small_config_static_selectorELNS0_4arch9wavefront6targetE0EEEvSK_.num_agpr, 0
	.set _ZN7rocprim17ROCPRIM_400000_NS6detail17trampoline_kernelINS0_14default_configENS1_36segmented_radix_sort_config_selectorIdlEEZNS1_25segmented_radix_sort_implIS3_Lb1EPKdPdPKlPlN2at6native12_GLOBAL__N_18offset_tEEE10hipError_tPvRmT1_PNSt15iterator_traitsISK_E10value_typeET2_T3_PNSL_ISQ_E10value_typeET4_jRbjT5_SW_jjP12ihipStream_tbEUlT_E1_NS1_11comp_targetILNS1_3genE0ELNS1_11target_archE4294967295ELNS1_3gpuE0ELNS1_3repE0EEENS1_59segmented_radix_sort_warp_sort_small_config_static_selectorELNS0_4arch9wavefront6targetE0EEEvSK_.numbered_sgpr, 0
	.set _ZN7rocprim17ROCPRIM_400000_NS6detail17trampoline_kernelINS0_14default_configENS1_36segmented_radix_sort_config_selectorIdlEEZNS1_25segmented_radix_sort_implIS3_Lb1EPKdPdPKlPlN2at6native12_GLOBAL__N_18offset_tEEE10hipError_tPvRmT1_PNSt15iterator_traitsISK_E10value_typeET2_T3_PNSL_ISQ_E10value_typeET4_jRbjT5_SW_jjP12ihipStream_tbEUlT_E1_NS1_11comp_targetILNS1_3genE0ELNS1_11target_archE4294967295ELNS1_3gpuE0ELNS1_3repE0EEENS1_59segmented_radix_sort_warp_sort_small_config_static_selectorELNS0_4arch9wavefront6targetE0EEEvSK_.num_named_barrier, 0
	.set _ZN7rocprim17ROCPRIM_400000_NS6detail17trampoline_kernelINS0_14default_configENS1_36segmented_radix_sort_config_selectorIdlEEZNS1_25segmented_radix_sort_implIS3_Lb1EPKdPdPKlPlN2at6native12_GLOBAL__N_18offset_tEEE10hipError_tPvRmT1_PNSt15iterator_traitsISK_E10value_typeET2_T3_PNSL_ISQ_E10value_typeET4_jRbjT5_SW_jjP12ihipStream_tbEUlT_E1_NS1_11comp_targetILNS1_3genE0ELNS1_11target_archE4294967295ELNS1_3gpuE0ELNS1_3repE0EEENS1_59segmented_radix_sort_warp_sort_small_config_static_selectorELNS0_4arch9wavefront6targetE0EEEvSK_.private_seg_size, 0
	.set _ZN7rocprim17ROCPRIM_400000_NS6detail17trampoline_kernelINS0_14default_configENS1_36segmented_radix_sort_config_selectorIdlEEZNS1_25segmented_radix_sort_implIS3_Lb1EPKdPdPKlPlN2at6native12_GLOBAL__N_18offset_tEEE10hipError_tPvRmT1_PNSt15iterator_traitsISK_E10value_typeET2_T3_PNSL_ISQ_E10value_typeET4_jRbjT5_SW_jjP12ihipStream_tbEUlT_E1_NS1_11comp_targetILNS1_3genE0ELNS1_11target_archE4294967295ELNS1_3gpuE0ELNS1_3repE0EEENS1_59segmented_radix_sort_warp_sort_small_config_static_selectorELNS0_4arch9wavefront6targetE0EEEvSK_.uses_vcc, 0
	.set _ZN7rocprim17ROCPRIM_400000_NS6detail17trampoline_kernelINS0_14default_configENS1_36segmented_radix_sort_config_selectorIdlEEZNS1_25segmented_radix_sort_implIS3_Lb1EPKdPdPKlPlN2at6native12_GLOBAL__N_18offset_tEEE10hipError_tPvRmT1_PNSt15iterator_traitsISK_E10value_typeET2_T3_PNSL_ISQ_E10value_typeET4_jRbjT5_SW_jjP12ihipStream_tbEUlT_E1_NS1_11comp_targetILNS1_3genE0ELNS1_11target_archE4294967295ELNS1_3gpuE0ELNS1_3repE0EEENS1_59segmented_radix_sort_warp_sort_small_config_static_selectorELNS0_4arch9wavefront6targetE0EEEvSK_.uses_flat_scratch, 0
	.set _ZN7rocprim17ROCPRIM_400000_NS6detail17trampoline_kernelINS0_14default_configENS1_36segmented_radix_sort_config_selectorIdlEEZNS1_25segmented_radix_sort_implIS3_Lb1EPKdPdPKlPlN2at6native12_GLOBAL__N_18offset_tEEE10hipError_tPvRmT1_PNSt15iterator_traitsISK_E10value_typeET2_T3_PNSL_ISQ_E10value_typeET4_jRbjT5_SW_jjP12ihipStream_tbEUlT_E1_NS1_11comp_targetILNS1_3genE0ELNS1_11target_archE4294967295ELNS1_3gpuE0ELNS1_3repE0EEENS1_59segmented_radix_sort_warp_sort_small_config_static_selectorELNS0_4arch9wavefront6targetE0EEEvSK_.has_dyn_sized_stack, 0
	.set _ZN7rocprim17ROCPRIM_400000_NS6detail17trampoline_kernelINS0_14default_configENS1_36segmented_radix_sort_config_selectorIdlEEZNS1_25segmented_radix_sort_implIS3_Lb1EPKdPdPKlPlN2at6native12_GLOBAL__N_18offset_tEEE10hipError_tPvRmT1_PNSt15iterator_traitsISK_E10value_typeET2_T3_PNSL_ISQ_E10value_typeET4_jRbjT5_SW_jjP12ihipStream_tbEUlT_E1_NS1_11comp_targetILNS1_3genE0ELNS1_11target_archE4294967295ELNS1_3gpuE0ELNS1_3repE0EEENS1_59segmented_radix_sort_warp_sort_small_config_static_selectorELNS0_4arch9wavefront6targetE0EEEvSK_.has_recursion, 0
	.set _ZN7rocprim17ROCPRIM_400000_NS6detail17trampoline_kernelINS0_14default_configENS1_36segmented_radix_sort_config_selectorIdlEEZNS1_25segmented_radix_sort_implIS3_Lb1EPKdPdPKlPlN2at6native12_GLOBAL__N_18offset_tEEE10hipError_tPvRmT1_PNSt15iterator_traitsISK_E10value_typeET2_T3_PNSL_ISQ_E10value_typeET4_jRbjT5_SW_jjP12ihipStream_tbEUlT_E1_NS1_11comp_targetILNS1_3genE0ELNS1_11target_archE4294967295ELNS1_3gpuE0ELNS1_3repE0EEENS1_59segmented_radix_sort_warp_sort_small_config_static_selectorELNS0_4arch9wavefront6targetE0EEEvSK_.has_indirect_call, 0
	.section	.AMDGPU.csdata,"",@progbits
; Kernel info:
; codeLenInByte = 0
; TotalNumSgprs: 0
; NumVgprs: 0
; ScratchSize: 0
; MemoryBound: 0
; FloatMode: 240
; IeeeMode: 1
; LDSByteSize: 0 bytes/workgroup (compile time only)
; SGPRBlocks: 0
; VGPRBlocks: 0
; NumSGPRsForWavesPerEU: 1
; NumVGPRsForWavesPerEU: 1
; Occupancy: 16
; WaveLimiterHint : 0
; COMPUTE_PGM_RSRC2:SCRATCH_EN: 0
; COMPUTE_PGM_RSRC2:USER_SGPR: 2
; COMPUTE_PGM_RSRC2:TRAP_HANDLER: 0
; COMPUTE_PGM_RSRC2:TGID_X_EN: 1
; COMPUTE_PGM_RSRC2:TGID_Y_EN: 0
; COMPUTE_PGM_RSRC2:TGID_Z_EN: 0
; COMPUTE_PGM_RSRC2:TIDIG_COMP_CNT: 0
	.section	.text._ZN7rocprim17ROCPRIM_400000_NS6detail17trampoline_kernelINS0_14default_configENS1_36segmented_radix_sort_config_selectorIdlEEZNS1_25segmented_radix_sort_implIS3_Lb1EPKdPdPKlPlN2at6native12_GLOBAL__N_18offset_tEEE10hipError_tPvRmT1_PNSt15iterator_traitsISK_E10value_typeET2_T3_PNSL_ISQ_E10value_typeET4_jRbjT5_SW_jjP12ihipStream_tbEUlT_E1_NS1_11comp_targetILNS1_3genE5ELNS1_11target_archE942ELNS1_3gpuE9ELNS1_3repE0EEENS1_59segmented_radix_sort_warp_sort_small_config_static_selectorELNS0_4arch9wavefront6targetE0EEEvSK_,"axG",@progbits,_ZN7rocprim17ROCPRIM_400000_NS6detail17trampoline_kernelINS0_14default_configENS1_36segmented_radix_sort_config_selectorIdlEEZNS1_25segmented_radix_sort_implIS3_Lb1EPKdPdPKlPlN2at6native12_GLOBAL__N_18offset_tEEE10hipError_tPvRmT1_PNSt15iterator_traitsISK_E10value_typeET2_T3_PNSL_ISQ_E10value_typeET4_jRbjT5_SW_jjP12ihipStream_tbEUlT_E1_NS1_11comp_targetILNS1_3genE5ELNS1_11target_archE942ELNS1_3gpuE9ELNS1_3repE0EEENS1_59segmented_radix_sort_warp_sort_small_config_static_selectorELNS0_4arch9wavefront6targetE0EEEvSK_,comdat
	.globl	_ZN7rocprim17ROCPRIM_400000_NS6detail17trampoline_kernelINS0_14default_configENS1_36segmented_radix_sort_config_selectorIdlEEZNS1_25segmented_radix_sort_implIS3_Lb1EPKdPdPKlPlN2at6native12_GLOBAL__N_18offset_tEEE10hipError_tPvRmT1_PNSt15iterator_traitsISK_E10value_typeET2_T3_PNSL_ISQ_E10value_typeET4_jRbjT5_SW_jjP12ihipStream_tbEUlT_E1_NS1_11comp_targetILNS1_3genE5ELNS1_11target_archE942ELNS1_3gpuE9ELNS1_3repE0EEENS1_59segmented_radix_sort_warp_sort_small_config_static_selectorELNS0_4arch9wavefront6targetE0EEEvSK_ ; -- Begin function _ZN7rocprim17ROCPRIM_400000_NS6detail17trampoline_kernelINS0_14default_configENS1_36segmented_radix_sort_config_selectorIdlEEZNS1_25segmented_radix_sort_implIS3_Lb1EPKdPdPKlPlN2at6native12_GLOBAL__N_18offset_tEEE10hipError_tPvRmT1_PNSt15iterator_traitsISK_E10value_typeET2_T3_PNSL_ISQ_E10value_typeET4_jRbjT5_SW_jjP12ihipStream_tbEUlT_E1_NS1_11comp_targetILNS1_3genE5ELNS1_11target_archE942ELNS1_3gpuE9ELNS1_3repE0EEENS1_59segmented_radix_sort_warp_sort_small_config_static_selectorELNS0_4arch9wavefront6targetE0EEEvSK_
	.p2align	8
	.type	_ZN7rocprim17ROCPRIM_400000_NS6detail17trampoline_kernelINS0_14default_configENS1_36segmented_radix_sort_config_selectorIdlEEZNS1_25segmented_radix_sort_implIS3_Lb1EPKdPdPKlPlN2at6native12_GLOBAL__N_18offset_tEEE10hipError_tPvRmT1_PNSt15iterator_traitsISK_E10value_typeET2_T3_PNSL_ISQ_E10value_typeET4_jRbjT5_SW_jjP12ihipStream_tbEUlT_E1_NS1_11comp_targetILNS1_3genE5ELNS1_11target_archE942ELNS1_3gpuE9ELNS1_3repE0EEENS1_59segmented_radix_sort_warp_sort_small_config_static_selectorELNS0_4arch9wavefront6targetE0EEEvSK_,@function
_ZN7rocprim17ROCPRIM_400000_NS6detail17trampoline_kernelINS0_14default_configENS1_36segmented_radix_sort_config_selectorIdlEEZNS1_25segmented_radix_sort_implIS3_Lb1EPKdPdPKlPlN2at6native12_GLOBAL__N_18offset_tEEE10hipError_tPvRmT1_PNSt15iterator_traitsISK_E10value_typeET2_T3_PNSL_ISQ_E10value_typeET4_jRbjT5_SW_jjP12ihipStream_tbEUlT_E1_NS1_11comp_targetILNS1_3genE5ELNS1_11target_archE942ELNS1_3gpuE9ELNS1_3repE0EEENS1_59segmented_radix_sort_warp_sort_small_config_static_selectorELNS0_4arch9wavefront6targetE0EEEvSK_: ; @_ZN7rocprim17ROCPRIM_400000_NS6detail17trampoline_kernelINS0_14default_configENS1_36segmented_radix_sort_config_selectorIdlEEZNS1_25segmented_radix_sort_implIS3_Lb1EPKdPdPKlPlN2at6native12_GLOBAL__N_18offset_tEEE10hipError_tPvRmT1_PNSt15iterator_traitsISK_E10value_typeET2_T3_PNSL_ISQ_E10value_typeET4_jRbjT5_SW_jjP12ihipStream_tbEUlT_E1_NS1_11comp_targetILNS1_3genE5ELNS1_11target_archE942ELNS1_3gpuE9ELNS1_3repE0EEENS1_59segmented_radix_sort_warp_sort_small_config_static_selectorELNS0_4arch9wavefront6targetE0EEEvSK_
; %bb.0:
	.section	.rodata,"a",@progbits
	.p2align	6, 0x0
	.amdhsa_kernel _ZN7rocprim17ROCPRIM_400000_NS6detail17trampoline_kernelINS0_14default_configENS1_36segmented_radix_sort_config_selectorIdlEEZNS1_25segmented_radix_sort_implIS3_Lb1EPKdPdPKlPlN2at6native12_GLOBAL__N_18offset_tEEE10hipError_tPvRmT1_PNSt15iterator_traitsISK_E10value_typeET2_T3_PNSL_ISQ_E10value_typeET4_jRbjT5_SW_jjP12ihipStream_tbEUlT_E1_NS1_11comp_targetILNS1_3genE5ELNS1_11target_archE942ELNS1_3gpuE9ELNS1_3repE0EEENS1_59segmented_radix_sort_warp_sort_small_config_static_selectorELNS0_4arch9wavefront6targetE0EEEvSK_
		.amdhsa_group_segment_fixed_size 0
		.amdhsa_private_segment_fixed_size 0
		.amdhsa_kernarg_size 88
		.amdhsa_user_sgpr_count 2
		.amdhsa_user_sgpr_dispatch_ptr 0
		.amdhsa_user_sgpr_queue_ptr 0
		.amdhsa_user_sgpr_kernarg_segment_ptr 1
		.amdhsa_user_sgpr_dispatch_id 0
		.amdhsa_user_sgpr_private_segment_size 0
		.amdhsa_wavefront_size32 1
		.amdhsa_uses_dynamic_stack 0
		.amdhsa_enable_private_segment 0
		.amdhsa_system_sgpr_workgroup_id_x 1
		.amdhsa_system_sgpr_workgroup_id_y 0
		.amdhsa_system_sgpr_workgroup_id_z 0
		.amdhsa_system_sgpr_workgroup_info 0
		.amdhsa_system_vgpr_workitem_id 0
		.amdhsa_next_free_vgpr 1
		.amdhsa_next_free_sgpr 1
		.amdhsa_reserve_vcc 0
		.amdhsa_float_round_mode_32 0
		.amdhsa_float_round_mode_16_64 0
		.amdhsa_float_denorm_mode_32 3
		.amdhsa_float_denorm_mode_16_64 3
		.amdhsa_fp16_overflow 0
		.amdhsa_workgroup_processor_mode 1
		.amdhsa_memory_ordered 1
		.amdhsa_forward_progress 1
		.amdhsa_inst_pref_size 0
		.amdhsa_round_robin_scheduling 0
		.amdhsa_exception_fp_ieee_invalid_op 0
		.amdhsa_exception_fp_denorm_src 0
		.amdhsa_exception_fp_ieee_div_zero 0
		.amdhsa_exception_fp_ieee_overflow 0
		.amdhsa_exception_fp_ieee_underflow 0
		.amdhsa_exception_fp_ieee_inexact 0
		.amdhsa_exception_int_div_zero 0
	.end_amdhsa_kernel
	.section	.text._ZN7rocprim17ROCPRIM_400000_NS6detail17trampoline_kernelINS0_14default_configENS1_36segmented_radix_sort_config_selectorIdlEEZNS1_25segmented_radix_sort_implIS3_Lb1EPKdPdPKlPlN2at6native12_GLOBAL__N_18offset_tEEE10hipError_tPvRmT1_PNSt15iterator_traitsISK_E10value_typeET2_T3_PNSL_ISQ_E10value_typeET4_jRbjT5_SW_jjP12ihipStream_tbEUlT_E1_NS1_11comp_targetILNS1_3genE5ELNS1_11target_archE942ELNS1_3gpuE9ELNS1_3repE0EEENS1_59segmented_radix_sort_warp_sort_small_config_static_selectorELNS0_4arch9wavefront6targetE0EEEvSK_,"axG",@progbits,_ZN7rocprim17ROCPRIM_400000_NS6detail17trampoline_kernelINS0_14default_configENS1_36segmented_radix_sort_config_selectorIdlEEZNS1_25segmented_radix_sort_implIS3_Lb1EPKdPdPKlPlN2at6native12_GLOBAL__N_18offset_tEEE10hipError_tPvRmT1_PNSt15iterator_traitsISK_E10value_typeET2_T3_PNSL_ISQ_E10value_typeET4_jRbjT5_SW_jjP12ihipStream_tbEUlT_E1_NS1_11comp_targetILNS1_3genE5ELNS1_11target_archE942ELNS1_3gpuE9ELNS1_3repE0EEENS1_59segmented_radix_sort_warp_sort_small_config_static_selectorELNS0_4arch9wavefront6targetE0EEEvSK_,comdat
.Lfunc_end1139:
	.size	_ZN7rocprim17ROCPRIM_400000_NS6detail17trampoline_kernelINS0_14default_configENS1_36segmented_radix_sort_config_selectorIdlEEZNS1_25segmented_radix_sort_implIS3_Lb1EPKdPdPKlPlN2at6native12_GLOBAL__N_18offset_tEEE10hipError_tPvRmT1_PNSt15iterator_traitsISK_E10value_typeET2_T3_PNSL_ISQ_E10value_typeET4_jRbjT5_SW_jjP12ihipStream_tbEUlT_E1_NS1_11comp_targetILNS1_3genE5ELNS1_11target_archE942ELNS1_3gpuE9ELNS1_3repE0EEENS1_59segmented_radix_sort_warp_sort_small_config_static_selectorELNS0_4arch9wavefront6targetE0EEEvSK_, .Lfunc_end1139-_ZN7rocprim17ROCPRIM_400000_NS6detail17trampoline_kernelINS0_14default_configENS1_36segmented_radix_sort_config_selectorIdlEEZNS1_25segmented_radix_sort_implIS3_Lb1EPKdPdPKlPlN2at6native12_GLOBAL__N_18offset_tEEE10hipError_tPvRmT1_PNSt15iterator_traitsISK_E10value_typeET2_T3_PNSL_ISQ_E10value_typeET4_jRbjT5_SW_jjP12ihipStream_tbEUlT_E1_NS1_11comp_targetILNS1_3genE5ELNS1_11target_archE942ELNS1_3gpuE9ELNS1_3repE0EEENS1_59segmented_radix_sort_warp_sort_small_config_static_selectorELNS0_4arch9wavefront6targetE0EEEvSK_
                                        ; -- End function
	.set _ZN7rocprim17ROCPRIM_400000_NS6detail17trampoline_kernelINS0_14default_configENS1_36segmented_radix_sort_config_selectorIdlEEZNS1_25segmented_radix_sort_implIS3_Lb1EPKdPdPKlPlN2at6native12_GLOBAL__N_18offset_tEEE10hipError_tPvRmT1_PNSt15iterator_traitsISK_E10value_typeET2_T3_PNSL_ISQ_E10value_typeET4_jRbjT5_SW_jjP12ihipStream_tbEUlT_E1_NS1_11comp_targetILNS1_3genE5ELNS1_11target_archE942ELNS1_3gpuE9ELNS1_3repE0EEENS1_59segmented_radix_sort_warp_sort_small_config_static_selectorELNS0_4arch9wavefront6targetE0EEEvSK_.num_vgpr, 0
	.set _ZN7rocprim17ROCPRIM_400000_NS6detail17trampoline_kernelINS0_14default_configENS1_36segmented_radix_sort_config_selectorIdlEEZNS1_25segmented_radix_sort_implIS3_Lb1EPKdPdPKlPlN2at6native12_GLOBAL__N_18offset_tEEE10hipError_tPvRmT1_PNSt15iterator_traitsISK_E10value_typeET2_T3_PNSL_ISQ_E10value_typeET4_jRbjT5_SW_jjP12ihipStream_tbEUlT_E1_NS1_11comp_targetILNS1_3genE5ELNS1_11target_archE942ELNS1_3gpuE9ELNS1_3repE0EEENS1_59segmented_radix_sort_warp_sort_small_config_static_selectorELNS0_4arch9wavefront6targetE0EEEvSK_.num_agpr, 0
	.set _ZN7rocprim17ROCPRIM_400000_NS6detail17trampoline_kernelINS0_14default_configENS1_36segmented_radix_sort_config_selectorIdlEEZNS1_25segmented_radix_sort_implIS3_Lb1EPKdPdPKlPlN2at6native12_GLOBAL__N_18offset_tEEE10hipError_tPvRmT1_PNSt15iterator_traitsISK_E10value_typeET2_T3_PNSL_ISQ_E10value_typeET4_jRbjT5_SW_jjP12ihipStream_tbEUlT_E1_NS1_11comp_targetILNS1_3genE5ELNS1_11target_archE942ELNS1_3gpuE9ELNS1_3repE0EEENS1_59segmented_radix_sort_warp_sort_small_config_static_selectorELNS0_4arch9wavefront6targetE0EEEvSK_.numbered_sgpr, 0
	.set _ZN7rocprim17ROCPRIM_400000_NS6detail17trampoline_kernelINS0_14default_configENS1_36segmented_radix_sort_config_selectorIdlEEZNS1_25segmented_radix_sort_implIS3_Lb1EPKdPdPKlPlN2at6native12_GLOBAL__N_18offset_tEEE10hipError_tPvRmT1_PNSt15iterator_traitsISK_E10value_typeET2_T3_PNSL_ISQ_E10value_typeET4_jRbjT5_SW_jjP12ihipStream_tbEUlT_E1_NS1_11comp_targetILNS1_3genE5ELNS1_11target_archE942ELNS1_3gpuE9ELNS1_3repE0EEENS1_59segmented_radix_sort_warp_sort_small_config_static_selectorELNS0_4arch9wavefront6targetE0EEEvSK_.num_named_barrier, 0
	.set _ZN7rocprim17ROCPRIM_400000_NS6detail17trampoline_kernelINS0_14default_configENS1_36segmented_radix_sort_config_selectorIdlEEZNS1_25segmented_radix_sort_implIS3_Lb1EPKdPdPKlPlN2at6native12_GLOBAL__N_18offset_tEEE10hipError_tPvRmT1_PNSt15iterator_traitsISK_E10value_typeET2_T3_PNSL_ISQ_E10value_typeET4_jRbjT5_SW_jjP12ihipStream_tbEUlT_E1_NS1_11comp_targetILNS1_3genE5ELNS1_11target_archE942ELNS1_3gpuE9ELNS1_3repE0EEENS1_59segmented_radix_sort_warp_sort_small_config_static_selectorELNS0_4arch9wavefront6targetE0EEEvSK_.private_seg_size, 0
	.set _ZN7rocprim17ROCPRIM_400000_NS6detail17trampoline_kernelINS0_14default_configENS1_36segmented_radix_sort_config_selectorIdlEEZNS1_25segmented_radix_sort_implIS3_Lb1EPKdPdPKlPlN2at6native12_GLOBAL__N_18offset_tEEE10hipError_tPvRmT1_PNSt15iterator_traitsISK_E10value_typeET2_T3_PNSL_ISQ_E10value_typeET4_jRbjT5_SW_jjP12ihipStream_tbEUlT_E1_NS1_11comp_targetILNS1_3genE5ELNS1_11target_archE942ELNS1_3gpuE9ELNS1_3repE0EEENS1_59segmented_radix_sort_warp_sort_small_config_static_selectorELNS0_4arch9wavefront6targetE0EEEvSK_.uses_vcc, 0
	.set _ZN7rocprim17ROCPRIM_400000_NS6detail17trampoline_kernelINS0_14default_configENS1_36segmented_radix_sort_config_selectorIdlEEZNS1_25segmented_radix_sort_implIS3_Lb1EPKdPdPKlPlN2at6native12_GLOBAL__N_18offset_tEEE10hipError_tPvRmT1_PNSt15iterator_traitsISK_E10value_typeET2_T3_PNSL_ISQ_E10value_typeET4_jRbjT5_SW_jjP12ihipStream_tbEUlT_E1_NS1_11comp_targetILNS1_3genE5ELNS1_11target_archE942ELNS1_3gpuE9ELNS1_3repE0EEENS1_59segmented_radix_sort_warp_sort_small_config_static_selectorELNS0_4arch9wavefront6targetE0EEEvSK_.uses_flat_scratch, 0
	.set _ZN7rocprim17ROCPRIM_400000_NS6detail17trampoline_kernelINS0_14default_configENS1_36segmented_radix_sort_config_selectorIdlEEZNS1_25segmented_radix_sort_implIS3_Lb1EPKdPdPKlPlN2at6native12_GLOBAL__N_18offset_tEEE10hipError_tPvRmT1_PNSt15iterator_traitsISK_E10value_typeET2_T3_PNSL_ISQ_E10value_typeET4_jRbjT5_SW_jjP12ihipStream_tbEUlT_E1_NS1_11comp_targetILNS1_3genE5ELNS1_11target_archE942ELNS1_3gpuE9ELNS1_3repE0EEENS1_59segmented_radix_sort_warp_sort_small_config_static_selectorELNS0_4arch9wavefront6targetE0EEEvSK_.has_dyn_sized_stack, 0
	.set _ZN7rocprim17ROCPRIM_400000_NS6detail17trampoline_kernelINS0_14default_configENS1_36segmented_radix_sort_config_selectorIdlEEZNS1_25segmented_radix_sort_implIS3_Lb1EPKdPdPKlPlN2at6native12_GLOBAL__N_18offset_tEEE10hipError_tPvRmT1_PNSt15iterator_traitsISK_E10value_typeET2_T3_PNSL_ISQ_E10value_typeET4_jRbjT5_SW_jjP12ihipStream_tbEUlT_E1_NS1_11comp_targetILNS1_3genE5ELNS1_11target_archE942ELNS1_3gpuE9ELNS1_3repE0EEENS1_59segmented_radix_sort_warp_sort_small_config_static_selectorELNS0_4arch9wavefront6targetE0EEEvSK_.has_recursion, 0
	.set _ZN7rocprim17ROCPRIM_400000_NS6detail17trampoline_kernelINS0_14default_configENS1_36segmented_radix_sort_config_selectorIdlEEZNS1_25segmented_radix_sort_implIS3_Lb1EPKdPdPKlPlN2at6native12_GLOBAL__N_18offset_tEEE10hipError_tPvRmT1_PNSt15iterator_traitsISK_E10value_typeET2_T3_PNSL_ISQ_E10value_typeET4_jRbjT5_SW_jjP12ihipStream_tbEUlT_E1_NS1_11comp_targetILNS1_3genE5ELNS1_11target_archE942ELNS1_3gpuE9ELNS1_3repE0EEENS1_59segmented_radix_sort_warp_sort_small_config_static_selectorELNS0_4arch9wavefront6targetE0EEEvSK_.has_indirect_call, 0
	.section	.AMDGPU.csdata,"",@progbits
; Kernel info:
; codeLenInByte = 0
; TotalNumSgprs: 0
; NumVgprs: 0
; ScratchSize: 0
; MemoryBound: 0
; FloatMode: 240
; IeeeMode: 1
; LDSByteSize: 0 bytes/workgroup (compile time only)
; SGPRBlocks: 0
; VGPRBlocks: 0
; NumSGPRsForWavesPerEU: 1
; NumVGPRsForWavesPerEU: 1
; Occupancy: 16
; WaveLimiterHint : 0
; COMPUTE_PGM_RSRC2:SCRATCH_EN: 0
; COMPUTE_PGM_RSRC2:USER_SGPR: 2
; COMPUTE_PGM_RSRC2:TRAP_HANDLER: 0
; COMPUTE_PGM_RSRC2:TGID_X_EN: 1
; COMPUTE_PGM_RSRC2:TGID_Y_EN: 0
; COMPUTE_PGM_RSRC2:TGID_Z_EN: 0
; COMPUTE_PGM_RSRC2:TIDIG_COMP_CNT: 0
	.section	.text._ZN7rocprim17ROCPRIM_400000_NS6detail17trampoline_kernelINS0_14default_configENS1_36segmented_radix_sort_config_selectorIdlEEZNS1_25segmented_radix_sort_implIS3_Lb1EPKdPdPKlPlN2at6native12_GLOBAL__N_18offset_tEEE10hipError_tPvRmT1_PNSt15iterator_traitsISK_E10value_typeET2_T3_PNSL_ISQ_E10value_typeET4_jRbjT5_SW_jjP12ihipStream_tbEUlT_E1_NS1_11comp_targetILNS1_3genE4ELNS1_11target_archE910ELNS1_3gpuE8ELNS1_3repE0EEENS1_59segmented_radix_sort_warp_sort_small_config_static_selectorELNS0_4arch9wavefront6targetE0EEEvSK_,"axG",@progbits,_ZN7rocprim17ROCPRIM_400000_NS6detail17trampoline_kernelINS0_14default_configENS1_36segmented_radix_sort_config_selectorIdlEEZNS1_25segmented_radix_sort_implIS3_Lb1EPKdPdPKlPlN2at6native12_GLOBAL__N_18offset_tEEE10hipError_tPvRmT1_PNSt15iterator_traitsISK_E10value_typeET2_T3_PNSL_ISQ_E10value_typeET4_jRbjT5_SW_jjP12ihipStream_tbEUlT_E1_NS1_11comp_targetILNS1_3genE4ELNS1_11target_archE910ELNS1_3gpuE8ELNS1_3repE0EEENS1_59segmented_radix_sort_warp_sort_small_config_static_selectorELNS0_4arch9wavefront6targetE0EEEvSK_,comdat
	.globl	_ZN7rocprim17ROCPRIM_400000_NS6detail17trampoline_kernelINS0_14default_configENS1_36segmented_radix_sort_config_selectorIdlEEZNS1_25segmented_radix_sort_implIS3_Lb1EPKdPdPKlPlN2at6native12_GLOBAL__N_18offset_tEEE10hipError_tPvRmT1_PNSt15iterator_traitsISK_E10value_typeET2_T3_PNSL_ISQ_E10value_typeET4_jRbjT5_SW_jjP12ihipStream_tbEUlT_E1_NS1_11comp_targetILNS1_3genE4ELNS1_11target_archE910ELNS1_3gpuE8ELNS1_3repE0EEENS1_59segmented_radix_sort_warp_sort_small_config_static_selectorELNS0_4arch9wavefront6targetE0EEEvSK_ ; -- Begin function _ZN7rocprim17ROCPRIM_400000_NS6detail17trampoline_kernelINS0_14default_configENS1_36segmented_radix_sort_config_selectorIdlEEZNS1_25segmented_radix_sort_implIS3_Lb1EPKdPdPKlPlN2at6native12_GLOBAL__N_18offset_tEEE10hipError_tPvRmT1_PNSt15iterator_traitsISK_E10value_typeET2_T3_PNSL_ISQ_E10value_typeET4_jRbjT5_SW_jjP12ihipStream_tbEUlT_E1_NS1_11comp_targetILNS1_3genE4ELNS1_11target_archE910ELNS1_3gpuE8ELNS1_3repE0EEENS1_59segmented_radix_sort_warp_sort_small_config_static_selectorELNS0_4arch9wavefront6targetE0EEEvSK_
	.p2align	8
	.type	_ZN7rocprim17ROCPRIM_400000_NS6detail17trampoline_kernelINS0_14default_configENS1_36segmented_radix_sort_config_selectorIdlEEZNS1_25segmented_radix_sort_implIS3_Lb1EPKdPdPKlPlN2at6native12_GLOBAL__N_18offset_tEEE10hipError_tPvRmT1_PNSt15iterator_traitsISK_E10value_typeET2_T3_PNSL_ISQ_E10value_typeET4_jRbjT5_SW_jjP12ihipStream_tbEUlT_E1_NS1_11comp_targetILNS1_3genE4ELNS1_11target_archE910ELNS1_3gpuE8ELNS1_3repE0EEENS1_59segmented_radix_sort_warp_sort_small_config_static_selectorELNS0_4arch9wavefront6targetE0EEEvSK_,@function
_ZN7rocprim17ROCPRIM_400000_NS6detail17trampoline_kernelINS0_14default_configENS1_36segmented_radix_sort_config_selectorIdlEEZNS1_25segmented_radix_sort_implIS3_Lb1EPKdPdPKlPlN2at6native12_GLOBAL__N_18offset_tEEE10hipError_tPvRmT1_PNSt15iterator_traitsISK_E10value_typeET2_T3_PNSL_ISQ_E10value_typeET4_jRbjT5_SW_jjP12ihipStream_tbEUlT_E1_NS1_11comp_targetILNS1_3genE4ELNS1_11target_archE910ELNS1_3gpuE8ELNS1_3repE0EEENS1_59segmented_radix_sort_warp_sort_small_config_static_selectorELNS0_4arch9wavefront6targetE0EEEvSK_: ; @_ZN7rocprim17ROCPRIM_400000_NS6detail17trampoline_kernelINS0_14default_configENS1_36segmented_radix_sort_config_selectorIdlEEZNS1_25segmented_radix_sort_implIS3_Lb1EPKdPdPKlPlN2at6native12_GLOBAL__N_18offset_tEEE10hipError_tPvRmT1_PNSt15iterator_traitsISK_E10value_typeET2_T3_PNSL_ISQ_E10value_typeET4_jRbjT5_SW_jjP12ihipStream_tbEUlT_E1_NS1_11comp_targetILNS1_3genE4ELNS1_11target_archE910ELNS1_3gpuE8ELNS1_3repE0EEENS1_59segmented_radix_sort_warp_sort_small_config_static_selectorELNS0_4arch9wavefront6targetE0EEEvSK_
; %bb.0:
	.section	.rodata,"a",@progbits
	.p2align	6, 0x0
	.amdhsa_kernel _ZN7rocprim17ROCPRIM_400000_NS6detail17trampoline_kernelINS0_14default_configENS1_36segmented_radix_sort_config_selectorIdlEEZNS1_25segmented_radix_sort_implIS3_Lb1EPKdPdPKlPlN2at6native12_GLOBAL__N_18offset_tEEE10hipError_tPvRmT1_PNSt15iterator_traitsISK_E10value_typeET2_T3_PNSL_ISQ_E10value_typeET4_jRbjT5_SW_jjP12ihipStream_tbEUlT_E1_NS1_11comp_targetILNS1_3genE4ELNS1_11target_archE910ELNS1_3gpuE8ELNS1_3repE0EEENS1_59segmented_radix_sort_warp_sort_small_config_static_selectorELNS0_4arch9wavefront6targetE0EEEvSK_
		.amdhsa_group_segment_fixed_size 0
		.amdhsa_private_segment_fixed_size 0
		.amdhsa_kernarg_size 88
		.amdhsa_user_sgpr_count 2
		.amdhsa_user_sgpr_dispatch_ptr 0
		.amdhsa_user_sgpr_queue_ptr 0
		.amdhsa_user_sgpr_kernarg_segment_ptr 1
		.amdhsa_user_sgpr_dispatch_id 0
		.amdhsa_user_sgpr_private_segment_size 0
		.amdhsa_wavefront_size32 1
		.amdhsa_uses_dynamic_stack 0
		.amdhsa_enable_private_segment 0
		.amdhsa_system_sgpr_workgroup_id_x 1
		.amdhsa_system_sgpr_workgroup_id_y 0
		.amdhsa_system_sgpr_workgroup_id_z 0
		.amdhsa_system_sgpr_workgroup_info 0
		.amdhsa_system_vgpr_workitem_id 0
		.amdhsa_next_free_vgpr 1
		.amdhsa_next_free_sgpr 1
		.amdhsa_reserve_vcc 0
		.amdhsa_float_round_mode_32 0
		.amdhsa_float_round_mode_16_64 0
		.amdhsa_float_denorm_mode_32 3
		.amdhsa_float_denorm_mode_16_64 3
		.amdhsa_fp16_overflow 0
		.amdhsa_workgroup_processor_mode 1
		.amdhsa_memory_ordered 1
		.amdhsa_forward_progress 1
		.amdhsa_inst_pref_size 0
		.amdhsa_round_robin_scheduling 0
		.amdhsa_exception_fp_ieee_invalid_op 0
		.amdhsa_exception_fp_denorm_src 0
		.amdhsa_exception_fp_ieee_div_zero 0
		.amdhsa_exception_fp_ieee_overflow 0
		.amdhsa_exception_fp_ieee_underflow 0
		.amdhsa_exception_fp_ieee_inexact 0
		.amdhsa_exception_int_div_zero 0
	.end_amdhsa_kernel
	.section	.text._ZN7rocprim17ROCPRIM_400000_NS6detail17trampoline_kernelINS0_14default_configENS1_36segmented_radix_sort_config_selectorIdlEEZNS1_25segmented_radix_sort_implIS3_Lb1EPKdPdPKlPlN2at6native12_GLOBAL__N_18offset_tEEE10hipError_tPvRmT1_PNSt15iterator_traitsISK_E10value_typeET2_T3_PNSL_ISQ_E10value_typeET4_jRbjT5_SW_jjP12ihipStream_tbEUlT_E1_NS1_11comp_targetILNS1_3genE4ELNS1_11target_archE910ELNS1_3gpuE8ELNS1_3repE0EEENS1_59segmented_radix_sort_warp_sort_small_config_static_selectorELNS0_4arch9wavefront6targetE0EEEvSK_,"axG",@progbits,_ZN7rocprim17ROCPRIM_400000_NS6detail17trampoline_kernelINS0_14default_configENS1_36segmented_radix_sort_config_selectorIdlEEZNS1_25segmented_radix_sort_implIS3_Lb1EPKdPdPKlPlN2at6native12_GLOBAL__N_18offset_tEEE10hipError_tPvRmT1_PNSt15iterator_traitsISK_E10value_typeET2_T3_PNSL_ISQ_E10value_typeET4_jRbjT5_SW_jjP12ihipStream_tbEUlT_E1_NS1_11comp_targetILNS1_3genE4ELNS1_11target_archE910ELNS1_3gpuE8ELNS1_3repE0EEENS1_59segmented_radix_sort_warp_sort_small_config_static_selectorELNS0_4arch9wavefront6targetE0EEEvSK_,comdat
.Lfunc_end1140:
	.size	_ZN7rocprim17ROCPRIM_400000_NS6detail17trampoline_kernelINS0_14default_configENS1_36segmented_radix_sort_config_selectorIdlEEZNS1_25segmented_radix_sort_implIS3_Lb1EPKdPdPKlPlN2at6native12_GLOBAL__N_18offset_tEEE10hipError_tPvRmT1_PNSt15iterator_traitsISK_E10value_typeET2_T3_PNSL_ISQ_E10value_typeET4_jRbjT5_SW_jjP12ihipStream_tbEUlT_E1_NS1_11comp_targetILNS1_3genE4ELNS1_11target_archE910ELNS1_3gpuE8ELNS1_3repE0EEENS1_59segmented_radix_sort_warp_sort_small_config_static_selectorELNS0_4arch9wavefront6targetE0EEEvSK_, .Lfunc_end1140-_ZN7rocprim17ROCPRIM_400000_NS6detail17trampoline_kernelINS0_14default_configENS1_36segmented_radix_sort_config_selectorIdlEEZNS1_25segmented_radix_sort_implIS3_Lb1EPKdPdPKlPlN2at6native12_GLOBAL__N_18offset_tEEE10hipError_tPvRmT1_PNSt15iterator_traitsISK_E10value_typeET2_T3_PNSL_ISQ_E10value_typeET4_jRbjT5_SW_jjP12ihipStream_tbEUlT_E1_NS1_11comp_targetILNS1_3genE4ELNS1_11target_archE910ELNS1_3gpuE8ELNS1_3repE0EEENS1_59segmented_radix_sort_warp_sort_small_config_static_selectorELNS0_4arch9wavefront6targetE0EEEvSK_
                                        ; -- End function
	.set _ZN7rocprim17ROCPRIM_400000_NS6detail17trampoline_kernelINS0_14default_configENS1_36segmented_radix_sort_config_selectorIdlEEZNS1_25segmented_radix_sort_implIS3_Lb1EPKdPdPKlPlN2at6native12_GLOBAL__N_18offset_tEEE10hipError_tPvRmT1_PNSt15iterator_traitsISK_E10value_typeET2_T3_PNSL_ISQ_E10value_typeET4_jRbjT5_SW_jjP12ihipStream_tbEUlT_E1_NS1_11comp_targetILNS1_3genE4ELNS1_11target_archE910ELNS1_3gpuE8ELNS1_3repE0EEENS1_59segmented_radix_sort_warp_sort_small_config_static_selectorELNS0_4arch9wavefront6targetE0EEEvSK_.num_vgpr, 0
	.set _ZN7rocprim17ROCPRIM_400000_NS6detail17trampoline_kernelINS0_14default_configENS1_36segmented_radix_sort_config_selectorIdlEEZNS1_25segmented_radix_sort_implIS3_Lb1EPKdPdPKlPlN2at6native12_GLOBAL__N_18offset_tEEE10hipError_tPvRmT1_PNSt15iterator_traitsISK_E10value_typeET2_T3_PNSL_ISQ_E10value_typeET4_jRbjT5_SW_jjP12ihipStream_tbEUlT_E1_NS1_11comp_targetILNS1_3genE4ELNS1_11target_archE910ELNS1_3gpuE8ELNS1_3repE0EEENS1_59segmented_radix_sort_warp_sort_small_config_static_selectorELNS0_4arch9wavefront6targetE0EEEvSK_.num_agpr, 0
	.set _ZN7rocprim17ROCPRIM_400000_NS6detail17trampoline_kernelINS0_14default_configENS1_36segmented_radix_sort_config_selectorIdlEEZNS1_25segmented_radix_sort_implIS3_Lb1EPKdPdPKlPlN2at6native12_GLOBAL__N_18offset_tEEE10hipError_tPvRmT1_PNSt15iterator_traitsISK_E10value_typeET2_T3_PNSL_ISQ_E10value_typeET4_jRbjT5_SW_jjP12ihipStream_tbEUlT_E1_NS1_11comp_targetILNS1_3genE4ELNS1_11target_archE910ELNS1_3gpuE8ELNS1_3repE0EEENS1_59segmented_radix_sort_warp_sort_small_config_static_selectorELNS0_4arch9wavefront6targetE0EEEvSK_.numbered_sgpr, 0
	.set _ZN7rocprim17ROCPRIM_400000_NS6detail17trampoline_kernelINS0_14default_configENS1_36segmented_radix_sort_config_selectorIdlEEZNS1_25segmented_radix_sort_implIS3_Lb1EPKdPdPKlPlN2at6native12_GLOBAL__N_18offset_tEEE10hipError_tPvRmT1_PNSt15iterator_traitsISK_E10value_typeET2_T3_PNSL_ISQ_E10value_typeET4_jRbjT5_SW_jjP12ihipStream_tbEUlT_E1_NS1_11comp_targetILNS1_3genE4ELNS1_11target_archE910ELNS1_3gpuE8ELNS1_3repE0EEENS1_59segmented_radix_sort_warp_sort_small_config_static_selectorELNS0_4arch9wavefront6targetE0EEEvSK_.num_named_barrier, 0
	.set _ZN7rocprim17ROCPRIM_400000_NS6detail17trampoline_kernelINS0_14default_configENS1_36segmented_radix_sort_config_selectorIdlEEZNS1_25segmented_radix_sort_implIS3_Lb1EPKdPdPKlPlN2at6native12_GLOBAL__N_18offset_tEEE10hipError_tPvRmT1_PNSt15iterator_traitsISK_E10value_typeET2_T3_PNSL_ISQ_E10value_typeET4_jRbjT5_SW_jjP12ihipStream_tbEUlT_E1_NS1_11comp_targetILNS1_3genE4ELNS1_11target_archE910ELNS1_3gpuE8ELNS1_3repE0EEENS1_59segmented_radix_sort_warp_sort_small_config_static_selectorELNS0_4arch9wavefront6targetE0EEEvSK_.private_seg_size, 0
	.set _ZN7rocprim17ROCPRIM_400000_NS6detail17trampoline_kernelINS0_14default_configENS1_36segmented_radix_sort_config_selectorIdlEEZNS1_25segmented_radix_sort_implIS3_Lb1EPKdPdPKlPlN2at6native12_GLOBAL__N_18offset_tEEE10hipError_tPvRmT1_PNSt15iterator_traitsISK_E10value_typeET2_T3_PNSL_ISQ_E10value_typeET4_jRbjT5_SW_jjP12ihipStream_tbEUlT_E1_NS1_11comp_targetILNS1_3genE4ELNS1_11target_archE910ELNS1_3gpuE8ELNS1_3repE0EEENS1_59segmented_radix_sort_warp_sort_small_config_static_selectorELNS0_4arch9wavefront6targetE0EEEvSK_.uses_vcc, 0
	.set _ZN7rocprim17ROCPRIM_400000_NS6detail17trampoline_kernelINS0_14default_configENS1_36segmented_radix_sort_config_selectorIdlEEZNS1_25segmented_radix_sort_implIS3_Lb1EPKdPdPKlPlN2at6native12_GLOBAL__N_18offset_tEEE10hipError_tPvRmT1_PNSt15iterator_traitsISK_E10value_typeET2_T3_PNSL_ISQ_E10value_typeET4_jRbjT5_SW_jjP12ihipStream_tbEUlT_E1_NS1_11comp_targetILNS1_3genE4ELNS1_11target_archE910ELNS1_3gpuE8ELNS1_3repE0EEENS1_59segmented_radix_sort_warp_sort_small_config_static_selectorELNS0_4arch9wavefront6targetE0EEEvSK_.uses_flat_scratch, 0
	.set _ZN7rocprim17ROCPRIM_400000_NS6detail17trampoline_kernelINS0_14default_configENS1_36segmented_radix_sort_config_selectorIdlEEZNS1_25segmented_radix_sort_implIS3_Lb1EPKdPdPKlPlN2at6native12_GLOBAL__N_18offset_tEEE10hipError_tPvRmT1_PNSt15iterator_traitsISK_E10value_typeET2_T3_PNSL_ISQ_E10value_typeET4_jRbjT5_SW_jjP12ihipStream_tbEUlT_E1_NS1_11comp_targetILNS1_3genE4ELNS1_11target_archE910ELNS1_3gpuE8ELNS1_3repE0EEENS1_59segmented_radix_sort_warp_sort_small_config_static_selectorELNS0_4arch9wavefront6targetE0EEEvSK_.has_dyn_sized_stack, 0
	.set _ZN7rocprim17ROCPRIM_400000_NS6detail17trampoline_kernelINS0_14default_configENS1_36segmented_radix_sort_config_selectorIdlEEZNS1_25segmented_radix_sort_implIS3_Lb1EPKdPdPKlPlN2at6native12_GLOBAL__N_18offset_tEEE10hipError_tPvRmT1_PNSt15iterator_traitsISK_E10value_typeET2_T3_PNSL_ISQ_E10value_typeET4_jRbjT5_SW_jjP12ihipStream_tbEUlT_E1_NS1_11comp_targetILNS1_3genE4ELNS1_11target_archE910ELNS1_3gpuE8ELNS1_3repE0EEENS1_59segmented_radix_sort_warp_sort_small_config_static_selectorELNS0_4arch9wavefront6targetE0EEEvSK_.has_recursion, 0
	.set _ZN7rocprim17ROCPRIM_400000_NS6detail17trampoline_kernelINS0_14default_configENS1_36segmented_radix_sort_config_selectorIdlEEZNS1_25segmented_radix_sort_implIS3_Lb1EPKdPdPKlPlN2at6native12_GLOBAL__N_18offset_tEEE10hipError_tPvRmT1_PNSt15iterator_traitsISK_E10value_typeET2_T3_PNSL_ISQ_E10value_typeET4_jRbjT5_SW_jjP12ihipStream_tbEUlT_E1_NS1_11comp_targetILNS1_3genE4ELNS1_11target_archE910ELNS1_3gpuE8ELNS1_3repE0EEENS1_59segmented_radix_sort_warp_sort_small_config_static_selectorELNS0_4arch9wavefront6targetE0EEEvSK_.has_indirect_call, 0
	.section	.AMDGPU.csdata,"",@progbits
; Kernel info:
; codeLenInByte = 0
; TotalNumSgprs: 0
; NumVgprs: 0
; ScratchSize: 0
; MemoryBound: 0
; FloatMode: 240
; IeeeMode: 1
; LDSByteSize: 0 bytes/workgroup (compile time only)
; SGPRBlocks: 0
; VGPRBlocks: 0
; NumSGPRsForWavesPerEU: 1
; NumVGPRsForWavesPerEU: 1
; Occupancy: 16
; WaveLimiterHint : 0
; COMPUTE_PGM_RSRC2:SCRATCH_EN: 0
; COMPUTE_PGM_RSRC2:USER_SGPR: 2
; COMPUTE_PGM_RSRC2:TRAP_HANDLER: 0
; COMPUTE_PGM_RSRC2:TGID_X_EN: 1
; COMPUTE_PGM_RSRC2:TGID_Y_EN: 0
; COMPUTE_PGM_RSRC2:TGID_Z_EN: 0
; COMPUTE_PGM_RSRC2:TIDIG_COMP_CNT: 0
	.section	.text._ZN7rocprim17ROCPRIM_400000_NS6detail17trampoline_kernelINS0_14default_configENS1_36segmented_radix_sort_config_selectorIdlEEZNS1_25segmented_radix_sort_implIS3_Lb1EPKdPdPKlPlN2at6native12_GLOBAL__N_18offset_tEEE10hipError_tPvRmT1_PNSt15iterator_traitsISK_E10value_typeET2_T3_PNSL_ISQ_E10value_typeET4_jRbjT5_SW_jjP12ihipStream_tbEUlT_E1_NS1_11comp_targetILNS1_3genE3ELNS1_11target_archE908ELNS1_3gpuE7ELNS1_3repE0EEENS1_59segmented_radix_sort_warp_sort_small_config_static_selectorELNS0_4arch9wavefront6targetE0EEEvSK_,"axG",@progbits,_ZN7rocprim17ROCPRIM_400000_NS6detail17trampoline_kernelINS0_14default_configENS1_36segmented_radix_sort_config_selectorIdlEEZNS1_25segmented_radix_sort_implIS3_Lb1EPKdPdPKlPlN2at6native12_GLOBAL__N_18offset_tEEE10hipError_tPvRmT1_PNSt15iterator_traitsISK_E10value_typeET2_T3_PNSL_ISQ_E10value_typeET4_jRbjT5_SW_jjP12ihipStream_tbEUlT_E1_NS1_11comp_targetILNS1_3genE3ELNS1_11target_archE908ELNS1_3gpuE7ELNS1_3repE0EEENS1_59segmented_radix_sort_warp_sort_small_config_static_selectorELNS0_4arch9wavefront6targetE0EEEvSK_,comdat
	.globl	_ZN7rocprim17ROCPRIM_400000_NS6detail17trampoline_kernelINS0_14default_configENS1_36segmented_radix_sort_config_selectorIdlEEZNS1_25segmented_radix_sort_implIS3_Lb1EPKdPdPKlPlN2at6native12_GLOBAL__N_18offset_tEEE10hipError_tPvRmT1_PNSt15iterator_traitsISK_E10value_typeET2_T3_PNSL_ISQ_E10value_typeET4_jRbjT5_SW_jjP12ihipStream_tbEUlT_E1_NS1_11comp_targetILNS1_3genE3ELNS1_11target_archE908ELNS1_3gpuE7ELNS1_3repE0EEENS1_59segmented_radix_sort_warp_sort_small_config_static_selectorELNS0_4arch9wavefront6targetE0EEEvSK_ ; -- Begin function _ZN7rocprim17ROCPRIM_400000_NS6detail17trampoline_kernelINS0_14default_configENS1_36segmented_radix_sort_config_selectorIdlEEZNS1_25segmented_radix_sort_implIS3_Lb1EPKdPdPKlPlN2at6native12_GLOBAL__N_18offset_tEEE10hipError_tPvRmT1_PNSt15iterator_traitsISK_E10value_typeET2_T3_PNSL_ISQ_E10value_typeET4_jRbjT5_SW_jjP12ihipStream_tbEUlT_E1_NS1_11comp_targetILNS1_3genE3ELNS1_11target_archE908ELNS1_3gpuE7ELNS1_3repE0EEENS1_59segmented_radix_sort_warp_sort_small_config_static_selectorELNS0_4arch9wavefront6targetE0EEEvSK_
	.p2align	8
	.type	_ZN7rocprim17ROCPRIM_400000_NS6detail17trampoline_kernelINS0_14default_configENS1_36segmented_radix_sort_config_selectorIdlEEZNS1_25segmented_radix_sort_implIS3_Lb1EPKdPdPKlPlN2at6native12_GLOBAL__N_18offset_tEEE10hipError_tPvRmT1_PNSt15iterator_traitsISK_E10value_typeET2_T3_PNSL_ISQ_E10value_typeET4_jRbjT5_SW_jjP12ihipStream_tbEUlT_E1_NS1_11comp_targetILNS1_3genE3ELNS1_11target_archE908ELNS1_3gpuE7ELNS1_3repE0EEENS1_59segmented_radix_sort_warp_sort_small_config_static_selectorELNS0_4arch9wavefront6targetE0EEEvSK_,@function
_ZN7rocprim17ROCPRIM_400000_NS6detail17trampoline_kernelINS0_14default_configENS1_36segmented_radix_sort_config_selectorIdlEEZNS1_25segmented_radix_sort_implIS3_Lb1EPKdPdPKlPlN2at6native12_GLOBAL__N_18offset_tEEE10hipError_tPvRmT1_PNSt15iterator_traitsISK_E10value_typeET2_T3_PNSL_ISQ_E10value_typeET4_jRbjT5_SW_jjP12ihipStream_tbEUlT_E1_NS1_11comp_targetILNS1_3genE3ELNS1_11target_archE908ELNS1_3gpuE7ELNS1_3repE0EEENS1_59segmented_radix_sort_warp_sort_small_config_static_selectorELNS0_4arch9wavefront6targetE0EEEvSK_: ; @_ZN7rocprim17ROCPRIM_400000_NS6detail17trampoline_kernelINS0_14default_configENS1_36segmented_radix_sort_config_selectorIdlEEZNS1_25segmented_radix_sort_implIS3_Lb1EPKdPdPKlPlN2at6native12_GLOBAL__N_18offset_tEEE10hipError_tPvRmT1_PNSt15iterator_traitsISK_E10value_typeET2_T3_PNSL_ISQ_E10value_typeET4_jRbjT5_SW_jjP12ihipStream_tbEUlT_E1_NS1_11comp_targetILNS1_3genE3ELNS1_11target_archE908ELNS1_3gpuE7ELNS1_3repE0EEENS1_59segmented_radix_sort_warp_sort_small_config_static_selectorELNS0_4arch9wavefront6targetE0EEEvSK_
; %bb.0:
	.section	.rodata,"a",@progbits
	.p2align	6, 0x0
	.amdhsa_kernel _ZN7rocprim17ROCPRIM_400000_NS6detail17trampoline_kernelINS0_14default_configENS1_36segmented_radix_sort_config_selectorIdlEEZNS1_25segmented_radix_sort_implIS3_Lb1EPKdPdPKlPlN2at6native12_GLOBAL__N_18offset_tEEE10hipError_tPvRmT1_PNSt15iterator_traitsISK_E10value_typeET2_T3_PNSL_ISQ_E10value_typeET4_jRbjT5_SW_jjP12ihipStream_tbEUlT_E1_NS1_11comp_targetILNS1_3genE3ELNS1_11target_archE908ELNS1_3gpuE7ELNS1_3repE0EEENS1_59segmented_radix_sort_warp_sort_small_config_static_selectorELNS0_4arch9wavefront6targetE0EEEvSK_
		.amdhsa_group_segment_fixed_size 0
		.amdhsa_private_segment_fixed_size 0
		.amdhsa_kernarg_size 88
		.amdhsa_user_sgpr_count 2
		.amdhsa_user_sgpr_dispatch_ptr 0
		.amdhsa_user_sgpr_queue_ptr 0
		.amdhsa_user_sgpr_kernarg_segment_ptr 1
		.amdhsa_user_sgpr_dispatch_id 0
		.amdhsa_user_sgpr_private_segment_size 0
		.amdhsa_wavefront_size32 1
		.amdhsa_uses_dynamic_stack 0
		.amdhsa_enable_private_segment 0
		.amdhsa_system_sgpr_workgroup_id_x 1
		.amdhsa_system_sgpr_workgroup_id_y 0
		.amdhsa_system_sgpr_workgroup_id_z 0
		.amdhsa_system_sgpr_workgroup_info 0
		.amdhsa_system_vgpr_workitem_id 0
		.amdhsa_next_free_vgpr 1
		.amdhsa_next_free_sgpr 1
		.amdhsa_reserve_vcc 0
		.amdhsa_float_round_mode_32 0
		.amdhsa_float_round_mode_16_64 0
		.amdhsa_float_denorm_mode_32 3
		.amdhsa_float_denorm_mode_16_64 3
		.amdhsa_fp16_overflow 0
		.amdhsa_workgroup_processor_mode 1
		.amdhsa_memory_ordered 1
		.amdhsa_forward_progress 1
		.amdhsa_inst_pref_size 0
		.amdhsa_round_robin_scheduling 0
		.amdhsa_exception_fp_ieee_invalid_op 0
		.amdhsa_exception_fp_denorm_src 0
		.amdhsa_exception_fp_ieee_div_zero 0
		.amdhsa_exception_fp_ieee_overflow 0
		.amdhsa_exception_fp_ieee_underflow 0
		.amdhsa_exception_fp_ieee_inexact 0
		.amdhsa_exception_int_div_zero 0
	.end_amdhsa_kernel
	.section	.text._ZN7rocprim17ROCPRIM_400000_NS6detail17trampoline_kernelINS0_14default_configENS1_36segmented_radix_sort_config_selectorIdlEEZNS1_25segmented_radix_sort_implIS3_Lb1EPKdPdPKlPlN2at6native12_GLOBAL__N_18offset_tEEE10hipError_tPvRmT1_PNSt15iterator_traitsISK_E10value_typeET2_T3_PNSL_ISQ_E10value_typeET4_jRbjT5_SW_jjP12ihipStream_tbEUlT_E1_NS1_11comp_targetILNS1_3genE3ELNS1_11target_archE908ELNS1_3gpuE7ELNS1_3repE0EEENS1_59segmented_radix_sort_warp_sort_small_config_static_selectorELNS0_4arch9wavefront6targetE0EEEvSK_,"axG",@progbits,_ZN7rocprim17ROCPRIM_400000_NS6detail17trampoline_kernelINS0_14default_configENS1_36segmented_radix_sort_config_selectorIdlEEZNS1_25segmented_radix_sort_implIS3_Lb1EPKdPdPKlPlN2at6native12_GLOBAL__N_18offset_tEEE10hipError_tPvRmT1_PNSt15iterator_traitsISK_E10value_typeET2_T3_PNSL_ISQ_E10value_typeET4_jRbjT5_SW_jjP12ihipStream_tbEUlT_E1_NS1_11comp_targetILNS1_3genE3ELNS1_11target_archE908ELNS1_3gpuE7ELNS1_3repE0EEENS1_59segmented_radix_sort_warp_sort_small_config_static_selectorELNS0_4arch9wavefront6targetE0EEEvSK_,comdat
.Lfunc_end1141:
	.size	_ZN7rocprim17ROCPRIM_400000_NS6detail17trampoline_kernelINS0_14default_configENS1_36segmented_radix_sort_config_selectorIdlEEZNS1_25segmented_radix_sort_implIS3_Lb1EPKdPdPKlPlN2at6native12_GLOBAL__N_18offset_tEEE10hipError_tPvRmT1_PNSt15iterator_traitsISK_E10value_typeET2_T3_PNSL_ISQ_E10value_typeET4_jRbjT5_SW_jjP12ihipStream_tbEUlT_E1_NS1_11comp_targetILNS1_3genE3ELNS1_11target_archE908ELNS1_3gpuE7ELNS1_3repE0EEENS1_59segmented_radix_sort_warp_sort_small_config_static_selectorELNS0_4arch9wavefront6targetE0EEEvSK_, .Lfunc_end1141-_ZN7rocprim17ROCPRIM_400000_NS6detail17trampoline_kernelINS0_14default_configENS1_36segmented_radix_sort_config_selectorIdlEEZNS1_25segmented_radix_sort_implIS3_Lb1EPKdPdPKlPlN2at6native12_GLOBAL__N_18offset_tEEE10hipError_tPvRmT1_PNSt15iterator_traitsISK_E10value_typeET2_T3_PNSL_ISQ_E10value_typeET4_jRbjT5_SW_jjP12ihipStream_tbEUlT_E1_NS1_11comp_targetILNS1_3genE3ELNS1_11target_archE908ELNS1_3gpuE7ELNS1_3repE0EEENS1_59segmented_radix_sort_warp_sort_small_config_static_selectorELNS0_4arch9wavefront6targetE0EEEvSK_
                                        ; -- End function
	.set _ZN7rocprim17ROCPRIM_400000_NS6detail17trampoline_kernelINS0_14default_configENS1_36segmented_radix_sort_config_selectorIdlEEZNS1_25segmented_radix_sort_implIS3_Lb1EPKdPdPKlPlN2at6native12_GLOBAL__N_18offset_tEEE10hipError_tPvRmT1_PNSt15iterator_traitsISK_E10value_typeET2_T3_PNSL_ISQ_E10value_typeET4_jRbjT5_SW_jjP12ihipStream_tbEUlT_E1_NS1_11comp_targetILNS1_3genE3ELNS1_11target_archE908ELNS1_3gpuE7ELNS1_3repE0EEENS1_59segmented_radix_sort_warp_sort_small_config_static_selectorELNS0_4arch9wavefront6targetE0EEEvSK_.num_vgpr, 0
	.set _ZN7rocprim17ROCPRIM_400000_NS6detail17trampoline_kernelINS0_14default_configENS1_36segmented_radix_sort_config_selectorIdlEEZNS1_25segmented_radix_sort_implIS3_Lb1EPKdPdPKlPlN2at6native12_GLOBAL__N_18offset_tEEE10hipError_tPvRmT1_PNSt15iterator_traitsISK_E10value_typeET2_T3_PNSL_ISQ_E10value_typeET4_jRbjT5_SW_jjP12ihipStream_tbEUlT_E1_NS1_11comp_targetILNS1_3genE3ELNS1_11target_archE908ELNS1_3gpuE7ELNS1_3repE0EEENS1_59segmented_radix_sort_warp_sort_small_config_static_selectorELNS0_4arch9wavefront6targetE0EEEvSK_.num_agpr, 0
	.set _ZN7rocprim17ROCPRIM_400000_NS6detail17trampoline_kernelINS0_14default_configENS1_36segmented_radix_sort_config_selectorIdlEEZNS1_25segmented_radix_sort_implIS3_Lb1EPKdPdPKlPlN2at6native12_GLOBAL__N_18offset_tEEE10hipError_tPvRmT1_PNSt15iterator_traitsISK_E10value_typeET2_T3_PNSL_ISQ_E10value_typeET4_jRbjT5_SW_jjP12ihipStream_tbEUlT_E1_NS1_11comp_targetILNS1_3genE3ELNS1_11target_archE908ELNS1_3gpuE7ELNS1_3repE0EEENS1_59segmented_radix_sort_warp_sort_small_config_static_selectorELNS0_4arch9wavefront6targetE0EEEvSK_.numbered_sgpr, 0
	.set _ZN7rocprim17ROCPRIM_400000_NS6detail17trampoline_kernelINS0_14default_configENS1_36segmented_radix_sort_config_selectorIdlEEZNS1_25segmented_radix_sort_implIS3_Lb1EPKdPdPKlPlN2at6native12_GLOBAL__N_18offset_tEEE10hipError_tPvRmT1_PNSt15iterator_traitsISK_E10value_typeET2_T3_PNSL_ISQ_E10value_typeET4_jRbjT5_SW_jjP12ihipStream_tbEUlT_E1_NS1_11comp_targetILNS1_3genE3ELNS1_11target_archE908ELNS1_3gpuE7ELNS1_3repE0EEENS1_59segmented_radix_sort_warp_sort_small_config_static_selectorELNS0_4arch9wavefront6targetE0EEEvSK_.num_named_barrier, 0
	.set _ZN7rocprim17ROCPRIM_400000_NS6detail17trampoline_kernelINS0_14default_configENS1_36segmented_radix_sort_config_selectorIdlEEZNS1_25segmented_radix_sort_implIS3_Lb1EPKdPdPKlPlN2at6native12_GLOBAL__N_18offset_tEEE10hipError_tPvRmT1_PNSt15iterator_traitsISK_E10value_typeET2_T3_PNSL_ISQ_E10value_typeET4_jRbjT5_SW_jjP12ihipStream_tbEUlT_E1_NS1_11comp_targetILNS1_3genE3ELNS1_11target_archE908ELNS1_3gpuE7ELNS1_3repE0EEENS1_59segmented_radix_sort_warp_sort_small_config_static_selectorELNS0_4arch9wavefront6targetE0EEEvSK_.private_seg_size, 0
	.set _ZN7rocprim17ROCPRIM_400000_NS6detail17trampoline_kernelINS0_14default_configENS1_36segmented_radix_sort_config_selectorIdlEEZNS1_25segmented_radix_sort_implIS3_Lb1EPKdPdPKlPlN2at6native12_GLOBAL__N_18offset_tEEE10hipError_tPvRmT1_PNSt15iterator_traitsISK_E10value_typeET2_T3_PNSL_ISQ_E10value_typeET4_jRbjT5_SW_jjP12ihipStream_tbEUlT_E1_NS1_11comp_targetILNS1_3genE3ELNS1_11target_archE908ELNS1_3gpuE7ELNS1_3repE0EEENS1_59segmented_radix_sort_warp_sort_small_config_static_selectorELNS0_4arch9wavefront6targetE0EEEvSK_.uses_vcc, 0
	.set _ZN7rocprim17ROCPRIM_400000_NS6detail17trampoline_kernelINS0_14default_configENS1_36segmented_radix_sort_config_selectorIdlEEZNS1_25segmented_radix_sort_implIS3_Lb1EPKdPdPKlPlN2at6native12_GLOBAL__N_18offset_tEEE10hipError_tPvRmT1_PNSt15iterator_traitsISK_E10value_typeET2_T3_PNSL_ISQ_E10value_typeET4_jRbjT5_SW_jjP12ihipStream_tbEUlT_E1_NS1_11comp_targetILNS1_3genE3ELNS1_11target_archE908ELNS1_3gpuE7ELNS1_3repE0EEENS1_59segmented_radix_sort_warp_sort_small_config_static_selectorELNS0_4arch9wavefront6targetE0EEEvSK_.uses_flat_scratch, 0
	.set _ZN7rocprim17ROCPRIM_400000_NS6detail17trampoline_kernelINS0_14default_configENS1_36segmented_radix_sort_config_selectorIdlEEZNS1_25segmented_radix_sort_implIS3_Lb1EPKdPdPKlPlN2at6native12_GLOBAL__N_18offset_tEEE10hipError_tPvRmT1_PNSt15iterator_traitsISK_E10value_typeET2_T3_PNSL_ISQ_E10value_typeET4_jRbjT5_SW_jjP12ihipStream_tbEUlT_E1_NS1_11comp_targetILNS1_3genE3ELNS1_11target_archE908ELNS1_3gpuE7ELNS1_3repE0EEENS1_59segmented_radix_sort_warp_sort_small_config_static_selectorELNS0_4arch9wavefront6targetE0EEEvSK_.has_dyn_sized_stack, 0
	.set _ZN7rocprim17ROCPRIM_400000_NS6detail17trampoline_kernelINS0_14default_configENS1_36segmented_radix_sort_config_selectorIdlEEZNS1_25segmented_radix_sort_implIS3_Lb1EPKdPdPKlPlN2at6native12_GLOBAL__N_18offset_tEEE10hipError_tPvRmT1_PNSt15iterator_traitsISK_E10value_typeET2_T3_PNSL_ISQ_E10value_typeET4_jRbjT5_SW_jjP12ihipStream_tbEUlT_E1_NS1_11comp_targetILNS1_3genE3ELNS1_11target_archE908ELNS1_3gpuE7ELNS1_3repE0EEENS1_59segmented_radix_sort_warp_sort_small_config_static_selectorELNS0_4arch9wavefront6targetE0EEEvSK_.has_recursion, 0
	.set _ZN7rocprim17ROCPRIM_400000_NS6detail17trampoline_kernelINS0_14default_configENS1_36segmented_radix_sort_config_selectorIdlEEZNS1_25segmented_radix_sort_implIS3_Lb1EPKdPdPKlPlN2at6native12_GLOBAL__N_18offset_tEEE10hipError_tPvRmT1_PNSt15iterator_traitsISK_E10value_typeET2_T3_PNSL_ISQ_E10value_typeET4_jRbjT5_SW_jjP12ihipStream_tbEUlT_E1_NS1_11comp_targetILNS1_3genE3ELNS1_11target_archE908ELNS1_3gpuE7ELNS1_3repE0EEENS1_59segmented_radix_sort_warp_sort_small_config_static_selectorELNS0_4arch9wavefront6targetE0EEEvSK_.has_indirect_call, 0
	.section	.AMDGPU.csdata,"",@progbits
; Kernel info:
; codeLenInByte = 0
; TotalNumSgprs: 0
; NumVgprs: 0
; ScratchSize: 0
; MemoryBound: 0
; FloatMode: 240
; IeeeMode: 1
; LDSByteSize: 0 bytes/workgroup (compile time only)
; SGPRBlocks: 0
; VGPRBlocks: 0
; NumSGPRsForWavesPerEU: 1
; NumVGPRsForWavesPerEU: 1
; Occupancy: 16
; WaveLimiterHint : 0
; COMPUTE_PGM_RSRC2:SCRATCH_EN: 0
; COMPUTE_PGM_RSRC2:USER_SGPR: 2
; COMPUTE_PGM_RSRC2:TRAP_HANDLER: 0
; COMPUTE_PGM_RSRC2:TGID_X_EN: 1
; COMPUTE_PGM_RSRC2:TGID_Y_EN: 0
; COMPUTE_PGM_RSRC2:TGID_Z_EN: 0
; COMPUTE_PGM_RSRC2:TIDIG_COMP_CNT: 0
	.section	.text._ZN7rocprim17ROCPRIM_400000_NS6detail17trampoline_kernelINS0_14default_configENS1_36segmented_radix_sort_config_selectorIdlEEZNS1_25segmented_radix_sort_implIS3_Lb1EPKdPdPKlPlN2at6native12_GLOBAL__N_18offset_tEEE10hipError_tPvRmT1_PNSt15iterator_traitsISK_E10value_typeET2_T3_PNSL_ISQ_E10value_typeET4_jRbjT5_SW_jjP12ihipStream_tbEUlT_E1_NS1_11comp_targetILNS1_3genE2ELNS1_11target_archE906ELNS1_3gpuE6ELNS1_3repE0EEENS1_59segmented_radix_sort_warp_sort_small_config_static_selectorELNS0_4arch9wavefront6targetE0EEEvSK_,"axG",@progbits,_ZN7rocprim17ROCPRIM_400000_NS6detail17trampoline_kernelINS0_14default_configENS1_36segmented_radix_sort_config_selectorIdlEEZNS1_25segmented_radix_sort_implIS3_Lb1EPKdPdPKlPlN2at6native12_GLOBAL__N_18offset_tEEE10hipError_tPvRmT1_PNSt15iterator_traitsISK_E10value_typeET2_T3_PNSL_ISQ_E10value_typeET4_jRbjT5_SW_jjP12ihipStream_tbEUlT_E1_NS1_11comp_targetILNS1_3genE2ELNS1_11target_archE906ELNS1_3gpuE6ELNS1_3repE0EEENS1_59segmented_radix_sort_warp_sort_small_config_static_selectorELNS0_4arch9wavefront6targetE0EEEvSK_,comdat
	.globl	_ZN7rocprim17ROCPRIM_400000_NS6detail17trampoline_kernelINS0_14default_configENS1_36segmented_radix_sort_config_selectorIdlEEZNS1_25segmented_radix_sort_implIS3_Lb1EPKdPdPKlPlN2at6native12_GLOBAL__N_18offset_tEEE10hipError_tPvRmT1_PNSt15iterator_traitsISK_E10value_typeET2_T3_PNSL_ISQ_E10value_typeET4_jRbjT5_SW_jjP12ihipStream_tbEUlT_E1_NS1_11comp_targetILNS1_3genE2ELNS1_11target_archE906ELNS1_3gpuE6ELNS1_3repE0EEENS1_59segmented_radix_sort_warp_sort_small_config_static_selectorELNS0_4arch9wavefront6targetE0EEEvSK_ ; -- Begin function _ZN7rocprim17ROCPRIM_400000_NS6detail17trampoline_kernelINS0_14default_configENS1_36segmented_radix_sort_config_selectorIdlEEZNS1_25segmented_radix_sort_implIS3_Lb1EPKdPdPKlPlN2at6native12_GLOBAL__N_18offset_tEEE10hipError_tPvRmT1_PNSt15iterator_traitsISK_E10value_typeET2_T3_PNSL_ISQ_E10value_typeET4_jRbjT5_SW_jjP12ihipStream_tbEUlT_E1_NS1_11comp_targetILNS1_3genE2ELNS1_11target_archE906ELNS1_3gpuE6ELNS1_3repE0EEENS1_59segmented_radix_sort_warp_sort_small_config_static_selectorELNS0_4arch9wavefront6targetE0EEEvSK_
	.p2align	8
	.type	_ZN7rocprim17ROCPRIM_400000_NS6detail17trampoline_kernelINS0_14default_configENS1_36segmented_radix_sort_config_selectorIdlEEZNS1_25segmented_radix_sort_implIS3_Lb1EPKdPdPKlPlN2at6native12_GLOBAL__N_18offset_tEEE10hipError_tPvRmT1_PNSt15iterator_traitsISK_E10value_typeET2_T3_PNSL_ISQ_E10value_typeET4_jRbjT5_SW_jjP12ihipStream_tbEUlT_E1_NS1_11comp_targetILNS1_3genE2ELNS1_11target_archE906ELNS1_3gpuE6ELNS1_3repE0EEENS1_59segmented_radix_sort_warp_sort_small_config_static_selectorELNS0_4arch9wavefront6targetE0EEEvSK_,@function
_ZN7rocprim17ROCPRIM_400000_NS6detail17trampoline_kernelINS0_14default_configENS1_36segmented_radix_sort_config_selectorIdlEEZNS1_25segmented_radix_sort_implIS3_Lb1EPKdPdPKlPlN2at6native12_GLOBAL__N_18offset_tEEE10hipError_tPvRmT1_PNSt15iterator_traitsISK_E10value_typeET2_T3_PNSL_ISQ_E10value_typeET4_jRbjT5_SW_jjP12ihipStream_tbEUlT_E1_NS1_11comp_targetILNS1_3genE2ELNS1_11target_archE906ELNS1_3gpuE6ELNS1_3repE0EEENS1_59segmented_radix_sort_warp_sort_small_config_static_selectorELNS0_4arch9wavefront6targetE0EEEvSK_: ; @_ZN7rocprim17ROCPRIM_400000_NS6detail17trampoline_kernelINS0_14default_configENS1_36segmented_radix_sort_config_selectorIdlEEZNS1_25segmented_radix_sort_implIS3_Lb1EPKdPdPKlPlN2at6native12_GLOBAL__N_18offset_tEEE10hipError_tPvRmT1_PNSt15iterator_traitsISK_E10value_typeET2_T3_PNSL_ISQ_E10value_typeET4_jRbjT5_SW_jjP12ihipStream_tbEUlT_E1_NS1_11comp_targetILNS1_3genE2ELNS1_11target_archE906ELNS1_3gpuE6ELNS1_3repE0EEENS1_59segmented_radix_sort_warp_sort_small_config_static_selectorELNS0_4arch9wavefront6targetE0EEEvSK_
; %bb.0:
	.section	.rodata,"a",@progbits
	.p2align	6, 0x0
	.amdhsa_kernel _ZN7rocprim17ROCPRIM_400000_NS6detail17trampoline_kernelINS0_14default_configENS1_36segmented_radix_sort_config_selectorIdlEEZNS1_25segmented_radix_sort_implIS3_Lb1EPKdPdPKlPlN2at6native12_GLOBAL__N_18offset_tEEE10hipError_tPvRmT1_PNSt15iterator_traitsISK_E10value_typeET2_T3_PNSL_ISQ_E10value_typeET4_jRbjT5_SW_jjP12ihipStream_tbEUlT_E1_NS1_11comp_targetILNS1_3genE2ELNS1_11target_archE906ELNS1_3gpuE6ELNS1_3repE0EEENS1_59segmented_radix_sort_warp_sort_small_config_static_selectorELNS0_4arch9wavefront6targetE0EEEvSK_
		.amdhsa_group_segment_fixed_size 0
		.amdhsa_private_segment_fixed_size 0
		.amdhsa_kernarg_size 88
		.amdhsa_user_sgpr_count 2
		.amdhsa_user_sgpr_dispatch_ptr 0
		.amdhsa_user_sgpr_queue_ptr 0
		.amdhsa_user_sgpr_kernarg_segment_ptr 1
		.amdhsa_user_sgpr_dispatch_id 0
		.amdhsa_user_sgpr_private_segment_size 0
		.amdhsa_wavefront_size32 1
		.amdhsa_uses_dynamic_stack 0
		.amdhsa_enable_private_segment 0
		.amdhsa_system_sgpr_workgroup_id_x 1
		.amdhsa_system_sgpr_workgroup_id_y 0
		.amdhsa_system_sgpr_workgroup_id_z 0
		.amdhsa_system_sgpr_workgroup_info 0
		.amdhsa_system_vgpr_workitem_id 0
		.amdhsa_next_free_vgpr 1
		.amdhsa_next_free_sgpr 1
		.amdhsa_reserve_vcc 0
		.amdhsa_float_round_mode_32 0
		.amdhsa_float_round_mode_16_64 0
		.amdhsa_float_denorm_mode_32 3
		.amdhsa_float_denorm_mode_16_64 3
		.amdhsa_fp16_overflow 0
		.amdhsa_workgroup_processor_mode 1
		.amdhsa_memory_ordered 1
		.amdhsa_forward_progress 1
		.amdhsa_inst_pref_size 0
		.amdhsa_round_robin_scheduling 0
		.amdhsa_exception_fp_ieee_invalid_op 0
		.amdhsa_exception_fp_denorm_src 0
		.amdhsa_exception_fp_ieee_div_zero 0
		.amdhsa_exception_fp_ieee_overflow 0
		.amdhsa_exception_fp_ieee_underflow 0
		.amdhsa_exception_fp_ieee_inexact 0
		.amdhsa_exception_int_div_zero 0
	.end_amdhsa_kernel
	.section	.text._ZN7rocprim17ROCPRIM_400000_NS6detail17trampoline_kernelINS0_14default_configENS1_36segmented_radix_sort_config_selectorIdlEEZNS1_25segmented_radix_sort_implIS3_Lb1EPKdPdPKlPlN2at6native12_GLOBAL__N_18offset_tEEE10hipError_tPvRmT1_PNSt15iterator_traitsISK_E10value_typeET2_T3_PNSL_ISQ_E10value_typeET4_jRbjT5_SW_jjP12ihipStream_tbEUlT_E1_NS1_11comp_targetILNS1_3genE2ELNS1_11target_archE906ELNS1_3gpuE6ELNS1_3repE0EEENS1_59segmented_radix_sort_warp_sort_small_config_static_selectorELNS0_4arch9wavefront6targetE0EEEvSK_,"axG",@progbits,_ZN7rocprim17ROCPRIM_400000_NS6detail17trampoline_kernelINS0_14default_configENS1_36segmented_radix_sort_config_selectorIdlEEZNS1_25segmented_radix_sort_implIS3_Lb1EPKdPdPKlPlN2at6native12_GLOBAL__N_18offset_tEEE10hipError_tPvRmT1_PNSt15iterator_traitsISK_E10value_typeET2_T3_PNSL_ISQ_E10value_typeET4_jRbjT5_SW_jjP12ihipStream_tbEUlT_E1_NS1_11comp_targetILNS1_3genE2ELNS1_11target_archE906ELNS1_3gpuE6ELNS1_3repE0EEENS1_59segmented_radix_sort_warp_sort_small_config_static_selectorELNS0_4arch9wavefront6targetE0EEEvSK_,comdat
.Lfunc_end1142:
	.size	_ZN7rocprim17ROCPRIM_400000_NS6detail17trampoline_kernelINS0_14default_configENS1_36segmented_radix_sort_config_selectorIdlEEZNS1_25segmented_radix_sort_implIS3_Lb1EPKdPdPKlPlN2at6native12_GLOBAL__N_18offset_tEEE10hipError_tPvRmT1_PNSt15iterator_traitsISK_E10value_typeET2_T3_PNSL_ISQ_E10value_typeET4_jRbjT5_SW_jjP12ihipStream_tbEUlT_E1_NS1_11comp_targetILNS1_3genE2ELNS1_11target_archE906ELNS1_3gpuE6ELNS1_3repE0EEENS1_59segmented_radix_sort_warp_sort_small_config_static_selectorELNS0_4arch9wavefront6targetE0EEEvSK_, .Lfunc_end1142-_ZN7rocprim17ROCPRIM_400000_NS6detail17trampoline_kernelINS0_14default_configENS1_36segmented_radix_sort_config_selectorIdlEEZNS1_25segmented_radix_sort_implIS3_Lb1EPKdPdPKlPlN2at6native12_GLOBAL__N_18offset_tEEE10hipError_tPvRmT1_PNSt15iterator_traitsISK_E10value_typeET2_T3_PNSL_ISQ_E10value_typeET4_jRbjT5_SW_jjP12ihipStream_tbEUlT_E1_NS1_11comp_targetILNS1_3genE2ELNS1_11target_archE906ELNS1_3gpuE6ELNS1_3repE0EEENS1_59segmented_radix_sort_warp_sort_small_config_static_selectorELNS0_4arch9wavefront6targetE0EEEvSK_
                                        ; -- End function
	.set _ZN7rocprim17ROCPRIM_400000_NS6detail17trampoline_kernelINS0_14default_configENS1_36segmented_radix_sort_config_selectorIdlEEZNS1_25segmented_radix_sort_implIS3_Lb1EPKdPdPKlPlN2at6native12_GLOBAL__N_18offset_tEEE10hipError_tPvRmT1_PNSt15iterator_traitsISK_E10value_typeET2_T3_PNSL_ISQ_E10value_typeET4_jRbjT5_SW_jjP12ihipStream_tbEUlT_E1_NS1_11comp_targetILNS1_3genE2ELNS1_11target_archE906ELNS1_3gpuE6ELNS1_3repE0EEENS1_59segmented_radix_sort_warp_sort_small_config_static_selectorELNS0_4arch9wavefront6targetE0EEEvSK_.num_vgpr, 0
	.set _ZN7rocprim17ROCPRIM_400000_NS6detail17trampoline_kernelINS0_14default_configENS1_36segmented_radix_sort_config_selectorIdlEEZNS1_25segmented_radix_sort_implIS3_Lb1EPKdPdPKlPlN2at6native12_GLOBAL__N_18offset_tEEE10hipError_tPvRmT1_PNSt15iterator_traitsISK_E10value_typeET2_T3_PNSL_ISQ_E10value_typeET4_jRbjT5_SW_jjP12ihipStream_tbEUlT_E1_NS1_11comp_targetILNS1_3genE2ELNS1_11target_archE906ELNS1_3gpuE6ELNS1_3repE0EEENS1_59segmented_radix_sort_warp_sort_small_config_static_selectorELNS0_4arch9wavefront6targetE0EEEvSK_.num_agpr, 0
	.set _ZN7rocprim17ROCPRIM_400000_NS6detail17trampoline_kernelINS0_14default_configENS1_36segmented_radix_sort_config_selectorIdlEEZNS1_25segmented_radix_sort_implIS3_Lb1EPKdPdPKlPlN2at6native12_GLOBAL__N_18offset_tEEE10hipError_tPvRmT1_PNSt15iterator_traitsISK_E10value_typeET2_T3_PNSL_ISQ_E10value_typeET4_jRbjT5_SW_jjP12ihipStream_tbEUlT_E1_NS1_11comp_targetILNS1_3genE2ELNS1_11target_archE906ELNS1_3gpuE6ELNS1_3repE0EEENS1_59segmented_radix_sort_warp_sort_small_config_static_selectorELNS0_4arch9wavefront6targetE0EEEvSK_.numbered_sgpr, 0
	.set _ZN7rocprim17ROCPRIM_400000_NS6detail17trampoline_kernelINS0_14default_configENS1_36segmented_radix_sort_config_selectorIdlEEZNS1_25segmented_radix_sort_implIS3_Lb1EPKdPdPKlPlN2at6native12_GLOBAL__N_18offset_tEEE10hipError_tPvRmT1_PNSt15iterator_traitsISK_E10value_typeET2_T3_PNSL_ISQ_E10value_typeET4_jRbjT5_SW_jjP12ihipStream_tbEUlT_E1_NS1_11comp_targetILNS1_3genE2ELNS1_11target_archE906ELNS1_3gpuE6ELNS1_3repE0EEENS1_59segmented_radix_sort_warp_sort_small_config_static_selectorELNS0_4arch9wavefront6targetE0EEEvSK_.num_named_barrier, 0
	.set _ZN7rocprim17ROCPRIM_400000_NS6detail17trampoline_kernelINS0_14default_configENS1_36segmented_radix_sort_config_selectorIdlEEZNS1_25segmented_radix_sort_implIS3_Lb1EPKdPdPKlPlN2at6native12_GLOBAL__N_18offset_tEEE10hipError_tPvRmT1_PNSt15iterator_traitsISK_E10value_typeET2_T3_PNSL_ISQ_E10value_typeET4_jRbjT5_SW_jjP12ihipStream_tbEUlT_E1_NS1_11comp_targetILNS1_3genE2ELNS1_11target_archE906ELNS1_3gpuE6ELNS1_3repE0EEENS1_59segmented_radix_sort_warp_sort_small_config_static_selectorELNS0_4arch9wavefront6targetE0EEEvSK_.private_seg_size, 0
	.set _ZN7rocprim17ROCPRIM_400000_NS6detail17trampoline_kernelINS0_14default_configENS1_36segmented_radix_sort_config_selectorIdlEEZNS1_25segmented_radix_sort_implIS3_Lb1EPKdPdPKlPlN2at6native12_GLOBAL__N_18offset_tEEE10hipError_tPvRmT1_PNSt15iterator_traitsISK_E10value_typeET2_T3_PNSL_ISQ_E10value_typeET4_jRbjT5_SW_jjP12ihipStream_tbEUlT_E1_NS1_11comp_targetILNS1_3genE2ELNS1_11target_archE906ELNS1_3gpuE6ELNS1_3repE0EEENS1_59segmented_radix_sort_warp_sort_small_config_static_selectorELNS0_4arch9wavefront6targetE0EEEvSK_.uses_vcc, 0
	.set _ZN7rocprim17ROCPRIM_400000_NS6detail17trampoline_kernelINS0_14default_configENS1_36segmented_radix_sort_config_selectorIdlEEZNS1_25segmented_radix_sort_implIS3_Lb1EPKdPdPKlPlN2at6native12_GLOBAL__N_18offset_tEEE10hipError_tPvRmT1_PNSt15iterator_traitsISK_E10value_typeET2_T3_PNSL_ISQ_E10value_typeET4_jRbjT5_SW_jjP12ihipStream_tbEUlT_E1_NS1_11comp_targetILNS1_3genE2ELNS1_11target_archE906ELNS1_3gpuE6ELNS1_3repE0EEENS1_59segmented_radix_sort_warp_sort_small_config_static_selectorELNS0_4arch9wavefront6targetE0EEEvSK_.uses_flat_scratch, 0
	.set _ZN7rocprim17ROCPRIM_400000_NS6detail17trampoline_kernelINS0_14default_configENS1_36segmented_radix_sort_config_selectorIdlEEZNS1_25segmented_radix_sort_implIS3_Lb1EPKdPdPKlPlN2at6native12_GLOBAL__N_18offset_tEEE10hipError_tPvRmT1_PNSt15iterator_traitsISK_E10value_typeET2_T3_PNSL_ISQ_E10value_typeET4_jRbjT5_SW_jjP12ihipStream_tbEUlT_E1_NS1_11comp_targetILNS1_3genE2ELNS1_11target_archE906ELNS1_3gpuE6ELNS1_3repE0EEENS1_59segmented_radix_sort_warp_sort_small_config_static_selectorELNS0_4arch9wavefront6targetE0EEEvSK_.has_dyn_sized_stack, 0
	.set _ZN7rocprim17ROCPRIM_400000_NS6detail17trampoline_kernelINS0_14default_configENS1_36segmented_radix_sort_config_selectorIdlEEZNS1_25segmented_radix_sort_implIS3_Lb1EPKdPdPKlPlN2at6native12_GLOBAL__N_18offset_tEEE10hipError_tPvRmT1_PNSt15iterator_traitsISK_E10value_typeET2_T3_PNSL_ISQ_E10value_typeET4_jRbjT5_SW_jjP12ihipStream_tbEUlT_E1_NS1_11comp_targetILNS1_3genE2ELNS1_11target_archE906ELNS1_3gpuE6ELNS1_3repE0EEENS1_59segmented_radix_sort_warp_sort_small_config_static_selectorELNS0_4arch9wavefront6targetE0EEEvSK_.has_recursion, 0
	.set _ZN7rocprim17ROCPRIM_400000_NS6detail17trampoline_kernelINS0_14default_configENS1_36segmented_radix_sort_config_selectorIdlEEZNS1_25segmented_radix_sort_implIS3_Lb1EPKdPdPKlPlN2at6native12_GLOBAL__N_18offset_tEEE10hipError_tPvRmT1_PNSt15iterator_traitsISK_E10value_typeET2_T3_PNSL_ISQ_E10value_typeET4_jRbjT5_SW_jjP12ihipStream_tbEUlT_E1_NS1_11comp_targetILNS1_3genE2ELNS1_11target_archE906ELNS1_3gpuE6ELNS1_3repE0EEENS1_59segmented_radix_sort_warp_sort_small_config_static_selectorELNS0_4arch9wavefront6targetE0EEEvSK_.has_indirect_call, 0
	.section	.AMDGPU.csdata,"",@progbits
; Kernel info:
; codeLenInByte = 0
; TotalNumSgprs: 0
; NumVgprs: 0
; ScratchSize: 0
; MemoryBound: 0
; FloatMode: 240
; IeeeMode: 1
; LDSByteSize: 0 bytes/workgroup (compile time only)
; SGPRBlocks: 0
; VGPRBlocks: 0
; NumSGPRsForWavesPerEU: 1
; NumVGPRsForWavesPerEU: 1
; Occupancy: 16
; WaveLimiterHint : 0
; COMPUTE_PGM_RSRC2:SCRATCH_EN: 0
; COMPUTE_PGM_RSRC2:USER_SGPR: 2
; COMPUTE_PGM_RSRC2:TRAP_HANDLER: 0
; COMPUTE_PGM_RSRC2:TGID_X_EN: 1
; COMPUTE_PGM_RSRC2:TGID_Y_EN: 0
; COMPUTE_PGM_RSRC2:TGID_Z_EN: 0
; COMPUTE_PGM_RSRC2:TIDIG_COMP_CNT: 0
	.text
	.p2align	2                               ; -- Begin function _ZN7rocprim17ROCPRIM_400000_NS6detail26segmented_warp_sort_helperINS1_20WarpSortHelperConfigILj8ELj4ELj256EEEdlLi256ELb1EvE4sortIPKdPdPKlPlEEvT_S9_T0_T1_SC_T2_bjjjjRNS5_12storage_typeE
	.type	_ZN7rocprim17ROCPRIM_400000_NS6detail26segmented_warp_sort_helperINS1_20WarpSortHelperConfigILj8ELj4ELj256EEEdlLi256ELb1EvE4sortIPKdPdPKlPlEEvT_S9_T0_T1_SC_T2_bjjjjRNS5_12storage_typeE,@function
_ZN7rocprim17ROCPRIM_400000_NS6detail26segmented_warp_sort_helperINS1_20WarpSortHelperConfigILj8ELj4ELj256EEEdlLi256ELb1EvE4sortIPKdPdPKlPlEEvT_S9_T0_T1_SC_T2_bjjjjRNS5_12storage_typeE: ; @_ZN7rocprim17ROCPRIM_400000_NS6detail26segmented_warp_sort_helperINS1_20WarpSortHelperConfigILj8ELj4ELj256EEEdlLi256ELb1EvE4sortIPKdPdPKlPlEEvT_S9_T0_T1_SC_T2_bjjjjRNS5_12storage_typeE
; %bb.0:
	s_wait_loadcnt_dscnt 0x0
	s_wait_expcnt 0x0
	s_wait_samplecnt 0x0
	s_wait_bvhcnt 0x0
	s_wait_kmcnt 0x0
	v_mov_b32_e32 v16, v14
	v_mbcnt_lo_u32_b32 v14, -1, 0
	v_and_b32_e32 v12, 1, v12
	s_mov_b32 s5, 0
	s_mov_b32 s1, exec_lo
	s_delay_alu instid0(VALU_DEP_2) | instskip(NEXT) | instid1(VALU_DEP_1)
	v_lshlrev_b32_e32 v54, 2, v14
	v_dual_mov_b32 v14, 0 :: v_dual_and_b32 v53, 28, v54
	s_delay_alu instid0(VALU_DEP_1) | instskip(SKIP_1) | instid1(VALU_DEP_3)
	v_lshlrev_b64_e32 v[48:49], 3, v[13:14]
	v_sub_nc_u32_e32 v14, v16, v13
                                        ; implicit-def: $vgpr16_vgpr17_vgpr18_vgpr19_vgpr20_vgpr21_vgpr22_vgpr23
	v_lshlrev_b32_e32 v52, 3, v53
	s_delay_alu instid0(VALU_DEP_3) | instskip(SKIP_1) | instid1(VALU_DEP_4)
	v_add_co_u32 v0, vcc_lo, v0, v48
	s_wait_alu 0xfffd
	v_add_co_ci_u32_e64 v1, null, v1, v49, vcc_lo
	s_delay_alu instid0(VALU_DEP_2) | instskip(SKIP_1) | instid1(VALU_DEP_2)
	v_add_co_u32 v24, vcc_lo, v0, v52
	s_wait_alu 0xfffd
	v_add_co_ci_u32_e64 v25, null, 0, v1, vcc_lo
	v_cmp_lt_u32_e32 vcc_lo, v53, v14
	v_cmpx_ne_u32_e32 1, v12
	s_wait_alu 0xfffe
	s_xor_b32 s6, exec_lo, s1
	s_cbranch_execnz .LBB1143_4
; %bb.1:
	s_wait_alu 0xfffe
	s_and_not1_saveexec_b32 s6, s6
	s_cbranch_execnz .LBB1143_111
.LBB1143_2:
	s_wait_alu 0xfffe
	s_or_b32 exec_lo, exec_lo, s6
	s_and_saveexec_b32 s0, s5
	s_cbranch_execnz .LBB1143_218
.LBB1143_3:
	s_wait_alu 0xfffe
	s_or_b32 exec_lo, exec_lo, s0
	s_wait_loadcnt_dscnt 0x0
	s_wait_alu 0xfffd
	s_setpc_b64 s[30:31]
.LBB1143_4:
	v_mov_b32_e32 v4, -1
	v_dual_mov_b32 v5, -1 :: v_dual_mov_b32 v10, -1
	v_mov_b32_e32 v11, -1
	s_and_saveexec_b32 s0, vcc_lo
	s_cbranch_execz .LBB1143_6
; %bb.5:
	flat_load_b64 v[10:11], v[24:25]
.LBB1143_6:
	s_wait_alu 0xfffe
	s_or_b32 exec_lo, exec_lo, s0
	v_or_b32_e32 v0, 1, v53
	s_delay_alu instid0(VALU_DEP_1)
	v_cmp_lt_u32_e64 s0, v0, v14
	s_and_saveexec_b32 s1, s0
	s_cbranch_execz .LBB1143_8
; %bb.7:
	flat_load_b64 v[4:5], v[24:25] offset:8
.LBB1143_8:
	s_wait_alu 0xfffe
	s_or_b32 exec_lo, exec_lo, s1
	v_or_b32_e32 v16, 2, v53
	v_mov_b32_e32 v0, -1
	v_dual_mov_b32 v1, -1 :: v_dual_mov_b32 v12, -1
	v_mov_b32_e32 v13, -1
	s_delay_alu instid0(VALU_DEP_4)
	v_cmp_lt_u32_e64 s1, v16, v14
	s_and_saveexec_b32 s2, s1
	s_cbranch_execz .LBB1143_10
; %bb.9:
	flat_load_b64 v[12:13], v[24:25] offset:16
.LBB1143_10:
	s_wait_alu 0xfffe
	s_or_b32 exec_lo, exec_lo, s2
	v_or_b32_e32 v16, 3, v53
	s_delay_alu instid0(VALU_DEP_1)
	v_cmp_lt_u32_e64 s2, v16, v14
	s_and_saveexec_b32 s3, s2
	s_cbranch_execz .LBB1143_12
; %bb.11:
	flat_load_b64 v[0:1], v[24:25] offset:24
.LBB1143_12:
	s_wait_alu 0xfffe
	s_or_b32 exec_lo, exec_lo, s3
	v_add_co_u32 v6, s3, v6, v48
	s_wait_alu 0xf1ff
	v_add_co_ci_u32_e64 v7, null, v7, v49, s3
	v_mov_b32_e32 v16, 0
	s_delay_alu instid0(VALU_DEP_3) | instskip(SKIP_1) | instid1(VALU_DEP_3)
	v_add_co_u32 v6, s3, v6, v52
	s_wait_alu 0xf1ff
	v_add_co_ci_u32_e64 v7, null, 0, v7, s3
	s_delay_alu instid0(VALU_DEP_3)
	v_dual_mov_b32 v17, v16 :: v_dual_mov_b32 v18, v16
	v_dual_mov_b32 v19, v16 :: v_dual_mov_b32 v20, v16
	;; [unrolled: 1-line block ×3, first 2 shown]
	v_mov_b32_e32 v23, v16
	; wave barrier
	s_and_saveexec_b32 s3, vcc_lo
	s_cbranch_execnz .LBB1143_219
; %bb.13:
	s_wait_alu 0xfffe
	s_or_b32 exec_lo, exec_lo, s3
	s_and_saveexec_b32 s3, s0
	s_cbranch_execnz .LBB1143_220
.LBB1143_14:
	s_wait_alu 0xfffe
	s_or_b32 exec_lo, exec_lo, s3
	s_and_saveexec_b32 s3, s1
	s_cbranch_execnz .LBB1143_221
.LBB1143_15:
	s_wait_alu 0xfffe
	s_or_b32 exec_lo, exec_lo, s3
	s_and_saveexec_b32 s3, s2
	s_cbranch_execz .LBB1143_17
.LBB1143_16:
	flat_load_b64 v[22:23], v[6:7] offset:24
.LBB1143_17:
	s_wait_alu 0xfffe
	s_or_b32 exec_lo, exec_lo, s3
	; wave barrier
	s_load_b64 s[4:5], s[8:9], 0x0
	s_and_b32 s3, ttmp7, 0xffff
	s_mov_b32 s11, 0
	v_bfe_u32 v6, v31, 10, 10
	v_bfe_u32 v7, v31, 20, 10
	s_wait_kmcnt 0x0
	s_wait_alu 0xfffe
	s_cmp_lt_u32 s3, s5
	s_cselect_b32 s10, 14, 20
	s_cmp_lt_u32 ttmp9, s4
	s_wait_alu 0xfffe
	s_add_nc_u64 s[12:13], s[8:9], s[10:11]
	s_cselect_b32 s10, 12, 18
	s_load_u16 s3, s[12:13], 0x0
	s_add_nc_u64 s[4:5], s[8:9], s[10:11]
	s_load_u16 s4, s[4:5], 0x0
	s_mov_b32 s5, exec_lo
	s_wait_kmcnt 0x0
	v_mad_u32_u24 v6, v7, s3, v6
	v_and_b32_e32 v7, 0x3ff, v31
	s_delay_alu instid0(VALU_DEP_2) | instskip(NEXT) | instid1(VALU_DEP_1)
	v_mul_lo_u32 v6, v6, s4
	v_add_lshl_u32 v14, v6, v7, 2
	s_delay_alu instid0(VALU_DEP_1)
	v_cmpx_gt_u32_e32 0x400, v14
	s_cbranch_execz .LBB1143_29
; %bb.18:
	s_wait_loadcnt_dscnt 0x0
	v_add_f64_e32 v[6:7], 0, v[4:5]
	v_add_f64_e32 v[24:25], 0, v[10:11]
	;; [unrolled: 1-line block ×4, first 2 shown]
	s_mov_b32 s7, exec_lo
	s_delay_alu instid0(VALU_DEP_4) | instskip(NEXT) | instid1(VALU_DEP_4)
	v_ashrrev_i32_e32 v30, 31, v7
	v_ashrrev_i32_e32 v31, 31, v25
	s_delay_alu instid0(VALU_DEP_4) | instskip(NEXT) | instid1(VALU_DEP_4)
	v_ashrrev_i32_e32 v32, 31, v27
	v_ashrrev_i32_e32 v33, 31, v29
	s_delay_alu instid0(VALU_DEP_4)
	v_or_b32_e32 v34, 0x80000000, v30
	v_xor_b32_e32 v6, v30, v6
	v_or_b32_e32 v30, 0x80000000, v31
	v_xor_b32_e32 v24, v31, v24
	;; [unrolled: 2-line block ×4, first 2 shown]
	v_xor_b32_e32 v30, v32, v26
	v_xor_b32_e32 v50, v33, v28
	;; [unrolled: 1-line block ×4, first 2 shown]
	v_cmp_gt_u64_e64 s3, v[6:7], v[24:25]
	v_dual_mov_b32 v6, v12 :: v_dual_mov_b32 v7, v13
	v_dual_mov_b32 v29, v21 :: v_dual_mov_b32 v28, v20
	s_wait_alu 0xf1ff
	s_delay_alu instid0(VALU_DEP_3)
	v_cndmask_b32_e64 v27, v19, v17, s3
	v_cndmask_b32_e64 v26, v18, v16, s3
	;; [unrolled: 1-line block ×4, first 2 shown]
	v_cmpx_gt_u64_e64 v[30:31], v[50:51]
; %bb.19:
	v_dual_mov_b32 v7, v1 :: v_dual_mov_b32 v6, v0
	v_dual_mov_b32 v0, v12 :: v_dual_mov_b32 v1, v13
	;; [unrolled: 1-line block ×5, first 2 shown]
; %bb.20:
	s_wait_alu 0xfffe
	s_or_b32 exec_lo, exec_lo, s7
	v_cndmask_b32_e64 v19, v5, v11, s3
	v_cndmask_b32_e64 v18, v4, v10, s3
	v_mov_b32_e32 v30, v22
	v_mov_b32_e32 v39, v31
	v_dual_mov_b32 v33, v25 :: v_dual_mov_b32 v32, v24
	s_delay_alu instid0(VALU_DEP_4) | instskip(NEXT) | instid1(VALU_DEP_4)
	v_add_f64_e32 v[12:13], 0, v[18:19]
	v_dual_mov_b32 v38, v30 :: v_dual_mov_b32 v37, v29
	v_dual_mov_b32 v36, v28 :: v_dual_mov_b32 v35, v27
	v_mov_b32_e32 v34, v26
	s_delay_alu instid0(VALU_DEP_4) | instskip(NEXT) | instid1(VALU_DEP_1)
	v_ashrrev_i32_e32 v16, 31, v13
	v_or_b32_e32 v17, 0x80000000, v16
	v_xor_b32_e32 v16, v16, v12
	s_delay_alu instid0(VALU_DEP_2) | instskip(NEXT) | instid1(VALU_DEP_1)
	v_xor_b32_e32 v17, v17, v13
                                        ; implicit-def: $vgpr12_vgpr13
	v_cmp_le_u64_e64 s4, v[50:51], v[16:17]
	s_and_saveexec_b32 s7, s4
	s_wait_alu 0xfffe
	s_xor_b32 s4, exec_lo, s7
	s_cbranch_execz .LBB1143_22
; %bb.21:
	v_add_f64_e32 v[12:13], 0, v[6:7]
                                        ; implicit-def: $vgpr32_vgpr33_vgpr34_vgpr35_vgpr36_vgpr37_vgpr38_vgpr39
                                        ; implicit-def: $vgpr50_vgpr51
	s_delay_alu instid0(VALU_DEP_1) | instskip(NEXT) | instid1(VALU_DEP_1)
	v_ashrrev_i32_e32 v20, 31, v13
	v_or_b32_e32 v21, 0x80000000, v20
	s_delay_alu instid0(VALU_DEP_3) | instskip(NEXT) | instid1(VALU_DEP_2)
	v_xor_b32_e32 v12, v20, v12
	v_xor_b32_e32 v13, v21, v13
.LBB1143_22:
	s_wait_alu 0xfffe
	s_or_saveexec_b32 s4, s4
	v_mov_b32_e32 v35, v19
	v_dual_mov_b32 v31, v23 :: v_dual_mov_b32 v34, v18
	s_wait_alu 0xfffe
	s_xor_b32 exec_lo, exec_lo, s4
	s_cbranch_execz .LBB1143_24
; %bb.23:
	v_dual_mov_b32 v34, v28 :: v_dual_mov_b32 v35, v29
	v_dual_mov_b32 v36, v26 :: v_dual_mov_b32 v37, v27
	v_dual_mov_b32 v38, v22 :: v_dual_mov_b32 v39, v23
	v_dual_mov_b32 v24, v32 :: v_dual_mov_b32 v25, v33
	s_delay_alu instid0(VALU_DEP_4) | instskip(NEXT) | instid1(VALU_DEP_4)
	v_dual_mov_b32 v26, v34 :: v_dual_mov_b32 v27, v35
	v_dual_mov_b32 v28, v36 :: v_dual_mov_b32 v29, v37
	s_delay_alu instid0(VALU_DEP_4)
	v_dual_mov_b32 v30, v38 :: v_dual_mov_b32 v31, v39
	v_dual_mov_b32 v12, v16 :: v_dual_mov_b32 v13, v17
	;; [unrolled: 1-line block ×5, first 2 shown]
.LBB1143_24:
	s_or_b32 exec_lo, exec_lo, s4
	v_cndmask_b32_e64 v11, v11, v5, s3
	v_cndmask_b32_e64 v10, v10, v4, s3
	v_add_f64_e32 v[18:19], 0, v[0:1]
	s_mov_b32 s7, exec_lo
	s_delay_alu instid0(VALU_DEP_2) | instskip(NEXT) | instid1(VALU_DEP_2)
	v_add_f64_e32 v[4:5], 0, v[10:11]
	v_ashrrev_i32_e32 v23, 31, v19
	s_delay_alu instid0(VALU_DEP_2) | instskip(NEXT) | instid1(VALU_DEP_2)
	v_ashrrev_i32_e32 v20, 31, v5
	v_or_b32_e32 v32, 0x80000000, v23
	s_delay_alu instid0(VALU_DEP_2)
	v_or_b32_e32 v22, 0x80000000, v20
	v_xor_b32_e32 v21, v20, v4
	v_mov_b32_e32 v20, v28
	v_xor_b32_e32 v4, v23, v18
	v_mov_b32_e32 v23, v31
	v_xor_b32_e32 v22, v22, v5
	v_xor_b32_e32 v5, v32, v19
	s_delay_alu instid0(VALU_DEP_2) | instskip(SKIP_2) | instid1(VALU_DEP_2)
	v_cmp_gt_u64_e64 s3, v[16:17], v[21:22]
	v_dual_mov_b32 v21, v29 :: v_dual_mov_b32 v22, v30
	s_wait_alu 0xf1ff
	v_cndmask_b32_e64 v19, v27, v25, s3
	v_cndmask_b32_e64 v18, v26, v24, s3
	;; [unrolled: 1-line block ×4, first 2 shown]
	v_dual_mov_b32 v25, v7 :: v_dual_mov_b32 v24, v6
	v_cmpx_gt_u64_e64 v[4:5], v[12:13]
; %bb.25:
	v_dual_mov_b32 v20, v30 :: v_dual_mov_b32 v21, v31
	v_dual_mov_b32 v22, v28 :: v_dual_mov_b32 v23, v29
	;; [unrolled: 1-line block ×5, first 2 shown]
; %bb.26:
	s_wait_alu 0xfffe
	s_or_b32 exec_lo, exec_lo, s7
	v_cndmask_b32_e64 v5, v35, v11, s3
	v_cndmask_b32_e64 v4, v34, v10, s3
	;; [unrolled: 1-line block ×4, first 2 shown]
	s_delay_alu instid0(VALU_DEP_3) | instskip(NEXT) | instid1(VALU_DEP_1)
	v_add_f64_e32 v[6:7], 0, v[4:5]
	v_ashrrev_i32_e32 v26, 31, v7
	s_delay_alu instid0(VALU_DEP_1) | instskip(NEXT) | instid1(VALU_DEP_3)
	v_or_b32_e32 v27, 0x80000000, v26
	v_xor_b32_e32 v6, v26, v6
	s_delay_alu instid0(VALU_DEP_2) | instskip(NEXT) | instid1(VALU_DEP_1)
	v_xor_b32_e32 v7, v27, v7
	v_cmp_gt_u64_e64 s3, v[12:13], v[6:7]
	v_dual_mov_b32 v12, v24 :: v_dual_mov_b32 v13, v25
	s_and_saveexec_b32 s4, s3
	s_cbranch_execz .LBB1143_28
; %bb.27:
	v_dual_mov_b32 v26, v16 :: v_dual_mov_b32 v27, v17
	v_dual_mov_b32 v28, v20 :: v_dual_mov_b32 v29, v21
	;; [unrolled: 1-line block ×4, first 2 shown]
	s_delay_alu instid0(VALU_DEP_4) | instskip(NEXT) | instid1(VALU_DEP_4)
	v_dual_mov_b32 v16, v26 :: v_dual_mov_b32 v17, v27
	v_dual_mov_b32 v18, v28 :: v_dual_mov_b32 v19, v29
	s_delay_alu instid0(VALU_DEP_4) | instskip(NEXT) | instid1(VALU_DEP_4)
	v_dual_mov_b32 v20, v30 :: v_dual_mov_b32 v21, v31
	v_dual_mov_b32 v22, v32 :: v_dual_mov_b32 v23, v33
	v_dual_mov_b32 v13, v5 :: v_dual_mov_b32 v12, v4
	v_dual_mov_b32 v4, v24 :: v_dual_mov_b32 v5, v25
.LBB1143_28:
	s_wait_alu 0xfffe
	s_or_b32 exec_lo, exec_lo, s4
.LBB1143_29:
	s_wait_alu 0xfffe
	s_or_b32 exec_lo, exec_lo, s5
	v_dual_mov_b32 v7, 0 :: v_dual_and_b32 v6, 0xffffff80, v14
	v_or_b32_e32 v14, 4, v54
	s_mov_b32 s4, exec_lo
	s_delay_alu instid0(VALU_DEP_2) | instskip(NEXT) | instid1(VALU_DEP_3)
	v_sub_nc_u32_e64 v29, 0x400, v6 clamp
	v_lshlrev_b64_e32 v[6:7], 3, v[6:7]
	s_delay_alu instid0(VALU_DEP_2) | instskip(SKIP_1) | instid1(VALU_DEP_3)
	v_min_u32_e32 v38, v29, v14
	v_and_b32_e32 v14, 4, v54
	v_add_co_u32 v28, null, v15, v6
	v_and_b32_e32 v6, 0x78, v54
	s_delay_alu instid0(VALU_DEP_4) | instskip(NEXT) | instid1(VALU_DEP_3)
	v_add_nc_u32_e32 v7, 4, v38
	v_lshl_add_u32 v30, v54, 3, v28
	s_delay_alu instid0(VALU_DEP_3) | instskip(NEXT) | instid1(VALU_DEP_3)
	v_sub_nc_u32_e32 v24, v38, v6
	v_min_u32_e32 v39, v29, v7
	v_min_u32_e32 v7, v29, v14
	s_delay_alu instid0(VALU_DEP_4)
	v_add_nc_u32_e32 v25, 0x2000, v30
	s_wait_loadcnt_dscnt 0x0
	ds_store_2addr_b64 v30, v[10:11], v[4:5] offset1:1
	ds_store_2addr_b64 v25, v[16:17], v[18:19] offset1:1
	ds_store_2addr_b64 v30, v[12:13], v[0:1] offset0:2 offset1:3
	ds_store_2addr_b64 v25, v[20:21], v[22:23] offset0:2 offset1:3
	v_sub_nc_u32_e32 v14, v39, v38
	; wave barrier
	s_delay_alu instid0(VALU_DEP_1) | instskip(SKIP_1) | instid1(VALU_DEP_1)
	v_sub_nc_u32_e64 v15, v7, v14 clamp
	v_min_u32_e32 v14, v7, v24
	v_cmpx_lt_u32_e64 v15, v14
	s_cbranch_execz .LBB1143_33
; %bb.30:
	v_lshlrev_b32_e32 v24, 3, v6
	v_lshlrev_b32_e32 v25, 3, v38
	s_mov_b32 s5, 0
	s_delay_alu instid0(VALU_DEP_2) | instskip(NEXT) | instid1(VALU_DEP_2)
	v_add_co_u32 v24, null, v28, v24
	v_add_co_u32 v25, null, v28, v25
.LBB1143_31:                            ; =>This Inner Loop Header: Depth=1
	v_add_nc_u32_e32 v26, v14, v15
	s_delay_alu instid0(VALU_DEP_1) | instskip(NEXT) | instid1(VALU_DEP_1)
	v_lshrrev_b32_e32 v33, 1, v26
	v_xad_u32 v26, v33, -1, v7
	v_lshl_add_u32 v27, v33, 3, v24
	s_delay_alu instid0(VALU_DEP_2)
	v_lshl_add_u32 v31, v26, 3, v25
	ds_load_b64 v[26:27], v27
	ds_load_b64 v[31:32], v31
	s_wait_dscnt 0x1
	v_add_f64_e32 v[26:27], 0, v[26:27]
	s_wait_dscnt 0x0
	v_add_f64_e32 v[31:32], 0, v[31:32]
	s_delay_alu instid0(VALU_DEP_2) | instskip(NEXT) | instid1(VALU_DEP_2)
	v_ashrrev_i32_e32 v34, 31, v27
	v_ashrrev_i32_e32 v35, 31, v32
	s_delay_alu instid0(VALU_DEP_2) | instskip(NEXT) | instid1(VALU_DEP_2)
	v_or_b32_e32 v36, 0x80000000, v34
	v_or_b32_e32 v37, 0x80000000, v35
	v_xor_b32_e32 v26, v34, v26
	v_xor_b32_e32 v31, v35, v31
	s_delay_alu instid0(VALU_DEP_4) | instskip(NEXT) | instid1(VALU_DEP_4)
	v_xor_b32_e32 v27, v36, v27
	v_xor_b32_e32 v32, v37, v32
	s_delay_alu instid0(VALU_DEP_1) | instskip(SKIP_2) | instid1(VALU_DEP_2)
	v_cmp_gt_u64_e64 s3, v[31:32], v[26:27]
	v_add_nc_u32_e32 v26, 1, v33
	s_wait_alu 0xf1ff
	v_cndmask_b32_e64 v14, v14, v33, s3
	s_delay_alu instid0(VALU_DEP_2) | instskip(NEXT) | instid1(VALU_DEP_1)
	v_cndmask_b32_e64 v15, v26, v15, s3
	v_cmp_ge_u32_e64 s3, v15, v14
	s_wait_alu 0xfffe
	s_or_b32 s5, s3, s5
	s_wait_alu 0xfffe
	s_and_not1_b32 exec_lo, exec_lo, s5
	s_cbranch_execnz .LBB1143_31
; %bb.32:
	s_or_b32 exec_lo, exec_lo, s5
.LBB1143_33:
	s_wait_alu 0xfffe
	s_or_b32 exec_lo, exec_lo, s4
	v_add_nc_u32_e32 v7, v38, v7
	v_add_nc_u32_e32 v14, v15, v6
	;; [unrolled: 1-line block ×5, first 2 shown]
	v_sub_nc_u32_e32 v15, v7, v15
	v_cmp_le_u32_e64 s3, v14, v38
	v_add_nc_u32_e32 v33, 16, v30
	v_add_nc_u32_e32 v36, 0x2010, v30
	;; [unrolled: 1-line block ×3, first 2 shown]
	v_cmp_le_u32_e64 s4, v15, v39
	v_add_nc_u32_e32 v37, 0x2018, v30
	s_or_b32 s3, s3, s4
	s_wait_alu 0xfffe
	s_and_saveexec_b32 s5, s3
	s_cbranch_execz .LBB1143_53
; %bb.34:
	v_cmp_ge_u32_e64 s3, v14, v38
	s_mov_b32 s7, exec_lo
                                        ; implicit-def: $vgpr0_vgpr1
	v_cmpx_lt_u32_e64 v14, v38
; %bb.35:
	v_lshl_add_u32 v0, v14, 3, v28
	ds_load_b64 v[0:1], v0
; %bb.36:
	s_wait_alu 0xfffe
	s_or_b32 exec_lo, exec_lo, s7
	v_cmp_ge_u32_e64 s7, v15, v39
	s_mov_b32 s10, exec_lo
                                        ; implicit-def: $vgpr6_vgpr7
	v_cmpx_lt_u32_e64 v15, v39
; %bb.37:
	v_lshl_add_u32 v4, v15, 3, v28
	ds_load_b64 v[6:7], v4
; %bb.38:
	s_wait_alu 0xfffe
	s_or_b32 exec_lo, exec_lo, s10
	s_nor_b32 s3, s3, s7
	s_wait_alu 0xfffe
	s_and_saveexec_b32 s4, s3
	s_cbranch_execz .LBB1143_40
; %bb.39:
	s_wait_dscnt 0x0
	v_add_f64_e32 v[4:5], 0, v[6:7]
	v_add_f64_e32 v[10:11], 0, v[0:1]
	s_and_not1_b32 s7, s7, exec_lo
	s_delay_alu instid0(VALU_DEP_2) | instskip(NEXT) | instid1(VALU_DEP_2)
	v_ashrrev_i32_e32 v12, 31, v5
	v_ashrrev_i32_e32 v13, 31, v11
	s_delay_alu instid0(VALU_DEP_2) | instskip(NEXT) | instid1(VALU_DEP_2)
	v_or_b32_e32 v16, 0x80000000, v12
	v_or_b32_e32 v17, 0x80000000, v13
	v_xor_b32_e32 v4, v12, v4
	v_xor_b32_e32 v10, v13, v10
	s_delay_alu instid0(VALU_DEP_4) | instskip(NEXT) | instid1(VALU_DEP_4)
	v_xor_b32_e32 v5, v16, v5
	v_xor_b32_e32 v11, v17, v11
	s_delay_alu instid0(VALU_DEP_1)
	v_cmp_le_u64_e64 s3, v[4:5], v[10:11]
	s_and_b32 s3, s3, exec_lo
	s_wait_alu 0xfffe
	s_or_b32 s7, s7, s3
.LBB1143_40:
	s_wait_alu 0xfffe
	s_or_b32 exec_lo, exec_lo, s4
	v_cndmask_b32_e64 v4, v15, v14, s7
	v_cndmask_b32_e64 v5, v39, v38, s7
	s_mov_b32 s10, -1
	s_mov_b32 s4, -1
	s_mov_b32 s11, exec_lo
	v_add_nc_u32_e32 v13, 1, v4
	v_add_nc_u32_e32 v5, -1, v5
	v_lshl_add_u32 v4, v4, 3, v28
	s_delay_alu instid0(VALU_DEP_3) | instskip(NEXT) | instid1(VALU_DEP_3)
	v_cndmask_b32_e64 v12, v13, v15, s7
	v_min_u32_e32 v5, v13, v5
	ds_load_b64 v[16:17], v4 offset:8192
	v_cndmask_b32_e64 v13, v14, v13, s7
	v_lshl_add_u32 v5, v5, 3, v28
	ds_load_b64 v[10:11], v5
	s_wait_dscnt 0x0
	v_cndmask_b32_e64 v5, v11, v7, s7
	v_cndmask_b32_e64 v4, v10, v6, s7
	;; [unrolled: 1-line block ×4, first 2 shown]
	v_cmpx_lt_u32_e64 v12, v39
	s_cbranch_execz .LBB1143_44
; %bb.41:
	s_mov_b32 s12, 0
	s_mov_b32 s4, exec_lo
	v_cmpx_lt_u32_e64 v13, v38
	s_cbranch_execz .LBB1143_43
; %bb.42:
	v_add_f64_e32 v[14:15], 0, v[4:5]
	v_add_f64_e32 v[18:19], 0, v[10:11]
	s_delay_alu instid0(VALU_DEP_2) | instskip(NEXT) | instid1(VALU_DEP_2)
	v_ashrrev_i32_e32 v20, 31, v15
	v_ashrrev_i32_e32 v21, 31, v19
	s_delay_alu instid0(VALU_DEP_2) | instskip(NEXT) | instid1(VALU_DEP_2)
	v_or_b32_e32 v22, 0x80000000, v20
	v_or_b32_e32 v23, 0x80000000, v21
	v_xor_b32_e32 v14, v20, v14
	v_xor_b32_e32 v18, v21, v18
	s_delay_alu instid0(VALU_DEP_4) | instskip(NEXT) | instid1(VALU_DEP_4)
	v_xor_b32_e32 v15, v22, v15
	v_xor_b32_e32 v19, v23, v19
	s_delay_alu instid0(VALU_DEP_1)
	v_cmp_le_u64_e64 s3, v[14:15], v[18:19]
	s_and_b32 s12, s3, exec_lo
.LBB1143_43:
	s_wait_alu 0xfffe
	s_or_b32 exec_lo, exec_lo, s4
	s_delay_alu instid0(SALU_CYCLE_1)
	s_or_not1_b32 s4, s12, exec_lo
.LBB1143_44:
	s_wait_alu 0xfffe
	s_or_b32 exec_lo, exec_lo, s11
	v_cndmask_b32_e64 v18, v12, v13, s4
	v_cndmask_b32_e64 v14, v39, v38, s4
	s_mov_b32 s11, exec_lo
	s_delay_alu instid0(VALU_DEP_2) | instskip(NEXT) | instid1(VALU_DEP_2)
	v_add_nc_u32_e32 v20, 1, v18
	v_add_nc_u32_e32 v14, -1, v14
	v_lshl_add_u32 v18, v18, 3, v28
	s_delay_alu instid0(VALU_DEP_3) | instskip(NEXT) | instid1(VALU_DEP_3)
	v_cndmask_b32_e64 v22, v20, v12, s4
	v_min_u32_e32 v14, v20, v14
	ds_load_b64 v[18:19], v18 offset:8192
	v_cndmask_b32_e64 v23, v13, v20, s4
	v_lshl_add_u32 v14, v14, 3, v28
	ds_load_b64 v[14:15], v14
	s_wait_dscnt 0x0
	v_cndmask_b32_e64 v13, v15, v5, s4
	v_cndmask_b32_e64 v12, v14, v4, s4
	v_cndmask_b32_e64 v15, v11, v15, s4
	v_cndmask_b32_e64 v14, v10, v14, s4
	v_cmpx_lt_u32_e64 v22, v39
	s_cbranch_execz .LBB1143_48
; %bb.45:
	s_mov_b32 s12, 0
	s_mov_b32 s10, exec_lo
	v_cmpx_lt_u32_e64 v23, v38
	s_cbranch_execz .LBB1143_47
; %bb.46:
	v_add_f64_e32 v[20:21], 0, v[12:13]
	v_add_f64_e32 v[24:25], 0, v[14:15]
	s_delay_alu instid0(VALU_DEP_2) | instskip(NEXT) | instid1(VALU_DEP_2)
	v_ashrrev_i32_e32 v26, 31, v21
	v_ashrrev_i32_e32 v27, 31, v25
	s_delay_alu instid0(VALU_DEP_2) | instskip(NEXT) | instid1(VALU_DEP_2)
	v_or_b32_e32 v50, 0x80000000, v26
	v_or_b32_e32 v51, 0x80000000, v27
	v_xor_b32_e32 v20, v26, v20
	v_xor_b32_e32 v24, v27, v24
	s_delay_alu instid0(VALU_DEP_4) | instskip(NEXT) | instid1(VALU_DEP_4)
	v_xor_b32_e32 v21, v50, v21
	v_xor_b32_e32 v25, v51, v25
	s_delay_alu instid0(VALU_DEP_1)
	v_cmp_le_u64_e64 s3, v[20:21], v[24:25]
	s_and_b32 s12, s3, exec_lo
.LBB1143_47:
	s_wait_alu 0xfffe
	s_or_b32 exec_lo, exec_lo, s10
	s_delay_alu instid0(SALU_CYCLE_1)
	s_or_not1_b32 s10, s12, exec_lo
.LBB1143_48:
	s_wait_alu 0xfffe
	s_or_b32 exec_lo, exec_lo, s11
	v_cndmask_b32_e64 v20, v22, v23, s10
	v_cndmask_b32_e64 v21, v39, v38, s10
	s_mov_b32 s12, -1
	s_mov_b32 s11, exec_lo
	s_delay_alu instid0(VALU_DEP_2) | instskip(NEXT) | instid1(VALU_DEP_2)
	v_add_nc_u32_e32 v24, 1, v20
	v_add_nc_u32_e32 v21, -1, v21
	v_lshl_add_u32 v20, v20, 3, v28
	s_delay_alu instid0(VALU_DEP_3) | instskip(NEXT) | instid1(VALU_DEP_3)
	v_cndmask_b32_e64 v22, v24, v22, s10
	v_min_u32_e32 v21, v24, v21
	v_cndmask_b32_e64 v23, v23, v24, s10
	s_delay_alu instid0(VALU_DEP_2)
	v_lshl_add_u32 v21, v21, 3, v28
	ds_load_b64 v[26:27], v21
	ds_load_b64 v[20:21], v20 offset:8192
	s_wait_dscnt 0x1
	v_cndmask_b32_e64 v25, v27, v13, s10
	v_cndmask_b32_e64 v24, v26, v12, s10
	;; [unrolled: 1-line block ×4, first 2 shown]
	v_cmpx_lt_u32_e64 v22, v39
	s_cbranch_execz .LBB1143_52
; %bb.49:
	s_mov_b32 s13, 0
	s_mov_b32 s12, exec_lo
	v_cmpx_lt_u32_e64 v23, v38
	s_cbranch_execz .LBB1143_51
; %bb.50:
	v_add_f64_e32 v[38:39], 0, v[24:25]
	v_add_f64_e32 v[50:51], 0, v[26:27]
	s_delay_alu instid0(VALU_DEP_2) | instskip(NEXT) | instid1(VALU_DEP_2)
	v_ashrrev_i32_e32 v55, 31, v39
	v_ashrrev_i32_e32 v64, 31, v51
	s_delay_alu instid0(VALU_DEP_2) | instskip(NEXT) | instid1(VALU_DEP_2)
	v_or_b32_e32 v65, 0x80000000, v55
	v_or_b32_e32 v66, 0x80000000, v64
	v_xor_b32_e32 v38, v55, v38
	v_xor_b32_e32 v50, v64, v50
	s_delay_alu instid0(VALU_DEP_4) | instskip(NEXT) | instid1(VALU_DEP_4)
	v_xor_b32_e32 v39, v65, v39
	v_xor_b32_e32 v51, v66, v51
	s_delay_alu instid0(VALU_DEP_1)
	v_cmp_le_u64_e64 s3, v[38:39], v[50:51]
	s_and_b32 s13, s3, exec_lo
.LBB1143_51:
	s_wait_alu 0xfffe
	s_or_b32 exec_lo, exec_lo, s12
	s_delay_alu instid0(SALU_CYCLE_1)
	s_or_not1_b32 s12, s13, exec_lo
.LBB1143_52:
	s_wait_alu 0xfffe
	s_or_b32 exec_lo, exec_lo, s11
	v_cndmask_b32_e64 v22, v22, v23, s12
	v_cndmask_b32_e64 v13, v13, v15, s10
	;; [unrolled: 1-line block ×5, first 2 shown]
	v_lshl_add_u32 v22, v22, 3, v28
	v_cndmask_b32_e64 v11, v7, v1, s7
	v_cndmask_b32_e64 v10, v6, v0, s7
	;; [unrolled: 1-line block ×4, first 2 shown]
	ds_load_b64 v[22:23], v22 offset:8192
.LBB1143_53:
	s_wait_alu 0xfffe
	s_or_b32 exec_lo, exec_lo, s5
	v_and_b32_e32 v6, 0x70, v54
	v_and_b32_e32 v14, 12, v54
	s_mov_b32 s4, exec_lo
	; wave barrier
	s_delay_alu instid0(VALU_DEP_2)
	v_or_b32_e32 v7, 8, v6
	ds_store_b64 v30, v[10:11]
	ds_store_b64 v35, v[16:17]
	;; [unrolled: 1-line block ×5, first 2 shown]
	s_wait_dscnt 0x6
	ds_store_b64 v36, v[20:21]
	ds_store_b64 v34, v[0:1]
	s_wait_dscnt 0x7
	ds_store_b64 v37, v[22:23]
	; wave barrier
	v_min_u32_e32 v38, v29, v7
	s_delay_alu instid0(VALU_DEP_1) | instskip(SKIP_1) | instid1(VALU_DEP_2)
	v_add_nc_u32_e32 v7, 8, v38
	v_sub_nc_u32_e32 v24, v38, v6
	v_min_u32_e32 v39, v29, v7
	v_min_u32_e32 v7, v29, v14
	s_delay_alu instid0(VALU_DEP_2) | instskip(NEXT) | instid1(VALU_DEP_1)
	v_sub_nc_u32_e32 v14, v39, v38
	v_sub_nc_u32_e64 v15, v7, v14 clamp
	v_min_u32_e32 v14, v7, v24
	s_delay_alu instid0(VALU_DEP_1)
	v_cmpx_lt_u32_e64 v15, v14
	s_cbranch_execz .LBB1143_57
; %bb.54:
	v_lshlrev_b32_e32 v24, 3, v6
	v_lshlrev_b32_e32 v25, 3, v38
	s_mov_b32 s5, 0
	s_delay_alu instid0(VALU_DEP_2) | instskip(NEXT) | instid1(VALU_DEP_2)
	v_add_co_u32 v24, null, v28, v24
	v_add_co_u32 v25, null, v28, v25
.LBB1143_55:                            ; =>This Inner Loop Header: Depth=1
	v_add_nc_u32_e32 v26, v14, v15
	s_delay_alu instid0(VALU_DEP_1) | instskip(NEXT) | instid1(VALU_DEP_1)
	v_lshrrev_b32_e32 v55, 1, v26
	v_xad_u32 v26, v55, -1, v7
	v_lshl_add_u32 v27, v55, 3, v24
	s_delay_alu instid0(VALU_DEP_2)
	v_lshl_add_u32 v50, v26, 3, v25
	ds_load_b64 v[26:27], v27
	ds_load_b64 v[50:51], v50
	s_wait_dscnt 0x1
	v_add_f64_e32 v[26:27], 0, v[26:27]
	s_wait_dscnt 0x0
	v_add_f64_e32 v[50:51], 0, v[50:51]
	s_delay_alu instid0(VALU_DEP_2) | instskip(NEXT) | instid1(VALU_DEP_2)
	v_ashrrev_i32_e32 v64, 31, v27
	v_ashrrev_i32_e32 v65, 31, v51
	s_delay_alu instid0(VALU_DEP_2) | instskip(NEXT) | instid1(VALU_DEP_2)
	v_or_b32_e32 v66, 0x80000000, v64
	v_or_b32_e32 v67, 0x80000000, v65
	v_xor_b32_e32 v26, v64, v26
	v_xor_b32_e32 v50, v65, v50
	s_delay_alu instid0(VALU_DEP_4) | instskip(NEXT) | instid1(VALU_DEP_4)
	v_xor_b32_e32 v27, v66, v27
	v_xor_b32_e32 v51, v67, v51
	s_delay_alu instid0(VALU_DEP_1) | instskip(SKIP_2) | instid1(VALU_DEP_2)
	v_cmp_gt_u64_e64 s3, v[50:51], v[26:27]
	v_add_nc_u32_e32 v26, 1, v55
	s_wait_alu 0xf1ff
	v_cndmask_b32_e64 v14, v14, v55, s3
	s_delay_alu instid0(VALU_DEP_2) | instskip(NEXT) | instid1(VALU_DEP_1)
	v_cndmask_b32_e64 v15, v26, v15, s3
	v_cmp_ge_u32_e64 s3, v15, v14
	s_wait_alu 0xfffe
	s_or_b32 s5, s3, s5
	s_wait_alu 0xfffe
	s_and_not1_b32 exec_lo, exec_lo, s5
	s_cbranch_execnz .LBB1143_55
; %bb.56:
	s_or_b32 exec_lo, exec_lo, s5
.LBB1143_57:
	s_wait_alu 0xfffe
	s_or_b32 exec_lo, exec_lo, s4
	v_add_nc_u32_e32 v7, v38, v7
	v_add_nc_u32_e32 v14, v15, v6
	s_delay_alu instid0(VALU_DEP_2) | instskip(NEXT) | instid1(VALU_DEP_2)
	v_sub_nc_u32_e32 v15, v7, v15
	v_cmp_le_u32_e64 s3, v14, v38
	s_delay_alu instid0(VALU_DEP_2)
	v_cmp_le_u32_e64 s4, v15, v39
	s_or_b32 s3, s3, s4
	s_wait_alu 0xfffe
	s_and_saveexec_b32 s5, s3
	s_cbranch_execz .LBB1143_77
; %bb.58:
	v_cmp_ge_u32_e64 s3, v14, v38
	s_mov_b32 s7, exec_lo
                                        ; implicit-def: $vgpr0_vgpr1
	v_cmpx_lt_u32_e64 v14, v38
; %bb.59:
	v_lshl_add_u32 v0, v14, 3, v28
	ds_load_b64 v[0:1], v0
; %bb.60:
	s_wait_alu 0xfffe
	s_or_b32 exec_lo, exec_lo, s7
	v_cmp_ge_u32_e64 s7, v15, v39
	s_mov_b32 s10, exec_lo
                                        ; implicit-def: $vgpr6_vgpr7
	v_cmpx_lt_u32_e64 v15, v39
; %bb.61:
	v_lshl_add_u32 v4, v15, 3, v28
	ds_load_b64 v[6:7], v4
; %bb.62:
	s_wait_alu 0xfffe
	s_or_b32 exec_lo, exec_lo, s10
	s_nor_b32 s3, s3, s7
	s_wait_alu 0xfffe
	s_and_saveexec_b32 s4, s3
	s_cbranch_execz .LBB1143_64
; %bb.63:
	s_wait_dscnt 0x0
	v_add_f64_e32 v[4:5], 0, v[6:7]
	v_add_f64_e32 v[10:11], 0, v[0:1]
	s_and_not1_b32 s7, s7, exec_lo
	s_delay_alu instid0(VALU_DEP_2) | instskip(NEXT) | instid1(VALU_DEP_2)
	v_ashrrev_i32_e32 v12, 31, v5
	v_ashrrev_i32_e32 v13, 31, v11
	s_delay_alu instid0(VALU_DEP_2) | instskip(NEXT) | instid1(VALU_DEP_2)
	v_or_b32_e32 v16, 0x80000000, v12
	v_or_b32_e32 v17, 0x80000000, v13
	v_xor_b32_e32 v4, v12, v4
	v_xor_b32_e32 v10, v13, v10
	s_delay_alu instid0(VALU_DEP_4) | instskip(NEXT) | instid1(VALU_DEP_4)
	v_xor_b32_e32 v5, v16, v5
	v_xor_b32_e32 v11, v17, v11
	s_delay_alu instid0(VALU_DEP_1)
	v_cmp_le_u64_e64 s3, v[4:5], v[10:11]
	s_and_b32 s3, s3, exec_lo
	s_wait_alu 0xfffe
	s_or_b32 s7, s7, s3
.LBB1143_64:
	s_wait_alu 0xfffe
	s_or_b32 exec_lo, exec_lo, s4
	v_cndmask_b32_e64 v4, v15, v14, s7
	v_cndmask_b32_e64 v5, v39, v38, s7
	s_mov_b32 s10, -1
	s_mov_b32 s4, -1
	s_mov_b32 s11, exec_lo
	v_add_nc_u32_e32 v13, 1, v4
	v_add_nc_u32_e32 v5, -1, v5
	v_lshl_add_u32 v4, v4, 3, v28
	s_delay_alu instid0(VALU_DEP_3) | instskip(NEXT) | instid1(VALU_DEP_3)
	v_cndmask_b32_e64 v12, v13, v15, s7
	v_min_u32_e32 v5, v13, v5
	ds_load_b64 v[16:17], v4 offset:8192
	v_cndmask_b32_e64 v13, v14, v13, s7
	v_lshl_add_u32 v5, v5, 3, v28
	ds_load_b64 v[10:11], v5
	s_wait_dscnt 0x0
	v_cndmask_b32_e64 v5, v11, v7, s7
	v_cndmask_b32_e64 v4, v10, v6, s7
	;; [unrolled: 1-line block ×4, first 2 shown]
	v_cmpx_lt_u32_e64 v12, v39
	s_cbranch_execz .LBB1143_68
; %bb.65:
	s_mov_b32 s12, 0
	s_mov_b32 s4, exec_lo
	v_cmpx_lt_u32_e64 v13, v38
	s_cbranch_execz .LBB1143_67
; %bb.66:
	v_add_f64_e32 v[14:15], 0, v[4:5]
	v_add_f64_e32 v[18:19], 0, v[10:11]
	s_delay_alu instid0(VALU_DEP_2) | instskip(NEXT) | instid1(VALU_DEP_2)
	v_ashrrev_i32_e32 v20, 31, v15
	v_ashrrev_i32_e32 v21, 31, v19
	s_delay_alu instid0(VALU_DEP_2) | instskip(NEXT) | instid1(VALU_DEP_2)
	v_or_b32_e32 v22, 0x80000000, v20
	v_or_b32_e32 v23, 0x80000000, v21
	v_xor_b32_e32 v14, v20, v14
	v_xor_b32_e32 v18, v21, v18
	s_delay_alu instid0(VALU_DEP_4) | instskip(NEXT) | instid1(VALU_DEP_4)
	v_xor_b32_e32 v15, v22, v15
	v_xor_b32_e32 v19, v23, v19
	s_delay_alu instid0(VALU_DEP_1)
	v_cmp_le_u64_e64 s3, v[14:15], v[18:19]
	s_and_b32 s12, s3, exec_lo
.LBB1143_67:
	s_wait_alu 0xfffe
	s_or_b32 exec_lo, exec_lo, s4
	s_delay_alu instid0(SALU_CYCLE_1)
	s_or_not1_b32 s4, s12, exec_lo
.LBB1143_68:
	s_wait_alu 0xfffe
	s_or_b32 exec_lo, exec_lo, s11
	v_cndmask_b32_e64 v18, v12, v13, s4
	v_cndmask_b32_e64 v14, v39, v38, s4
	s_mov_b32 s11, exec_lo
	s_delay_alu instid0(VALU_DEP_2) | instskip(NEXT) | instid1(VALU_DEP_2)
	v_add_nc_u32_e32 v20, 1, v18
	v_add_nc_u32_e32 v14, -1, v14
	v_lshl_add_u32 v18, v18, 3, v28
	s_delay_alu instid0(VALU_DEP_3) | instskip(NEXT) | instid1(VALU_DEP_3)
	v_cndmask_b32_e64 v22, v20, v12, s4
	v_min_u32_e32 v14, v20, v14
	ds_load_b64 v[18:19], v18 offset:8192
	v_cndmask_b32_e64 v23, v13, v20, s4
	v_lshl_add_u32 v14, v14, 3, v28
	ds_load_b64 v[14:15], v14
	s_wait_dscnt 0x0
	v_cndmask_b32_e64 v13, v15, v5, s4
	v_cndmask_b32_e64 v12, v14, v4, s4
	;; [unrolled: 1-line block ×4, first 2 shown]
	v_cmpx_lt_u32_e64 v22, v39
	s_cbranch_execz .LBB1143_72
; %bb.69:
	s_mov_b32 s12, 0
	s_mov_b32 s10, exec_lo
	v_cmpx_lt_u32_e64 v23, v38
	s_cbranch_execz .LBB1143_71
; %bb.70:
	v_add_f64_e32 v[20:21], 0, v[12:13]
	v_add_f64_e32 v[24:25], 0, v[14:15]
	s_delay_alu instid0(VALU_DEP_2) | instskip(NEXT) | instid1(VALU_DEP_2)
	v_ashrrev_i32_e32 v26, 31, v21
	v_ashrrev_i32_e32 v27, 31, v25
	s_delay_alu instid0(VALU_DEP_2) | instskip(NEXT) | instid1(VALU_DEP_2)
	v_or_b32_e32 v50, 0x80000000, v26
	v_or_b32_e32 v51, 0x80000000, v27
	v_xor_b32_e32 v20, v26, v20
	v_xor_b32_e32 v24, v27, v24
	s_delay_alu instid0(VALU_DEP_4) | instskip(NEXT) | instid1(VALU_DEP_4)
	v_xor_b32_e32 v21, v50, v21
	v_xor_b32_e32 v25, v51, v25
	s_delay_alu instid0(VALU_DEP_1)
	v_cmp_le_u64_e64 s3, v[20:21], v[24:25]
	s_and_b32 s12, s3, exec_lo
.LBB1143_71:
	s_wait_alu 0xfffe
	s_or_b32 exec_lo, exec_lo, s10
	s_delay_alu instid0(SALU_CYCLE_1)
	s_or_not1_b32 s10, s12, exec_lo
.LBB1143_72:
	s_wait_alu 0xfffe
	s_or_b32 exec_lo, exec_lo, s11
	v_cndmask_b32_e64 v20, v22, v23, s10
	v_cndmask_b32_e64 v21, v39, v38, s10
	s_mov_b32 s12, -1
	s_mov_b32 s11, exec_lo
	s_delay_alu instid0(VALU_DEP_2) | instskip(NEXT) | instid1(VALU_DEP_2)
	v_add_nc_u32_e32 v24, 1, v20
	v_add_nc_u32_e32 v21, -1, v21
	v_lshl_add_u32 v20, v20, 3, v28
	s_delay_alu instid0(VALU_DEP_3) | instskip(NEXT) | instid1(VALU_DEP_3)
	v_cndmask_b32_e64 v22, v24, v22, s10
	v_min_u32_e32 v21, v24, v21
	v_cndmask_b32_e64 v23, v23, v24, s10
	s_delay_alu instid0(VALU_DEP_2)
	v_lshl_add_u32 v21, v21, 3, v28
	ds_load_b64 v[26:27], v21
	ds_load_b64 v[20:21], v20 offset:8192
	s_wait_dscnt 0x1
	v_cndmask_b32_e64 v25, v27, v13, s10
	v_cndmask_b32_e64 v24, v26, v12, s10
	;; [unrolled: 1-line block ×4, first 2 shown]
	v_cmpx_lt_u32_e64 v22, v39
	s_cbranch_execz .LBB1143_76
; %bb.73:
	s_mov_b32 s13, 0
	s_mov_b32 s12, exec_lo
	v_cmpx_lt_u32_e64 v23, v38
	s_cbranch_execz .LBB1143_75
; %bb.74:
	v_add_f64_e32 v[38:39], 0, v[24:25]
	v_add_f64_e32 v[50:51], 0, v[26:27]
	s_delay_alu instid0(VALU_DEP_2) | instskip(NEXT) | instid1(VALU_DEP_2)
	v_ashrrev_i32_e32 v55, 31, v39
	v_ashrrev_i32_e32 v64, 31, v51
	s_delay_alu instid0(VALU_DEP_2) | instskip(NEXT) | instid1(VALU_DEP_2)
	v_or_b32_e32 v65, 0x80000000, v55
	v_or_b32_e32 v66, 0x80000000, v64
	v_xor_b32_e32 v38, v55, v38
	v_xor_b32_e32 v50, v64, v50
	s_delay_alu instid0(VALU_DEP_4) | instskip(NEXT) | instid1(VALU_DEP_4)
	v_xor_b32_e32 v39, v65, v39
	v_xor_b32_e32 v51, v66, v51
	s_delay_alu instid0(VALU_DEP_1)
	v_cmp_le_u64_e64 s3, v[38:39], v[50:51]
	s_and_b32 s13, s3, exec_lo
.LBB1143_75:
	s_wait_alu 0xfffe
	s_or_b32 exec_lo, exec_lo, s12
	s_delay_alu instid0(SALU_CYCLE_1)
	s_or_not1_b32 s12, s13, exec_lo
.LBB1143_76:
	s_wait_alu 0xfffe
	s_or_b32 exec_lo, exec_lo, s11
	v_cndmask_b32_e64 v22, v22, v23, s12
	v_cndmask_b32_e64 v13, v13, v15, s10
	;; [unrolled: 1-line block ×5, first 2 shown]
	v_lshl_add_u32 v22, v22, 3, v28
	v_cndmask_b32_e64 v11, v7, v1, s7
	v_cndmask_b32_e64 v10, v6, v0, s7
	;; [unrolled: 1-line block ×4, first 2 shown]
	ds_load_b64 v[22:23], v22 offset:8192
.LBB1143_77:
	s_wait_alu 0xfffe
	s_or_b32 exec_lo, exec_lo, s5
	v_and_b32_e32 v6, 0x60, v54
	s_mov_b32 s4, exec_lo
	; wave barrier
	ds_store_b64 v30, v[10:11]
	ds_store_b64 v35, v[16:17]
	v_or_b32_e32 v7, 16, v6
	ds_store_b64 v31, v[4:5]
	ds_store_b64 v32, v[18:19]
	;; [unrolled: 1-line block ×3, first 2 shown]
	s_wait_dscnt 0x6
	ds_store_b64 v36, v[20:21]
	ds_store_b64 v34, v[0:1]
	s_wait_dscnt 0x7
	ds_store_b64 v37, v[22:23]
	; wave barrier
	v_min_u32_e32 v38, v29, v7
	s_delay_alu instid0(VALU_DEP_1) | instskip(SKIP_1) | instid1(VALU_DEP_2)
	v_add_nc_u32_e32 v7, 16, v38
	v_sub_nc_u32_e32 v24, v38, v6
	v_min_u32_e32 v39, v29, v7
	v_min_u32_e32 v7, v29, v53
	s_delay_alu instid0(VALU_DEP_2) | instskip(NEXT) | instid1(VALU_DEP_1)
	v_sub_nc_u32_e32 v14, v39, v38
	v_sub_nc_u32_e64 v15, v7, v14 clamp
	v_min_u32_e32 v14, v7, v24
	s_delay_alu instid0(VALU_DEP_1)
	v_cmpx_lt_u32_e64 v15, v14
	s_cbranch_execz .LBB1143_81
; %bb.78:
	v_lshlrev_b32_e32 v24, 3, v6
	v_lshlrev_b32_e32 v25, 3, v38
	s_mov_b32 s5, 0
	s_delay_alu instid0(VALU_DEP_2) | instskip(NEXT) | instid1(VALU_DEP_2)
	v_add_co_u32 v24, null, v28, v24
	v_add_co_u32 v25, null, v28, v25
.LBB1143_79:                            ; =>This Inner Loop Header: Depth=1
	v_add_nc_u32_e32 v26, v14, v15
	s_delay_alu instid0(VALU_DEP_1) | instskip(NEXT) | instid1(VALU_DEP_1)
	v_lshrrev_b32_e32 v31, 1, v26
	v_xad_u32 v26, v31, -1, v7
	v_lshl_add_u32 v27, v31, 3, v24
	s_delay_alu instid0(VALU_DEP_2)
	v_lshl_add_u32 v29, v26, 3, v25
	ds_load_b64 v[26:27], v27
	ds_load_b64 v[29:30], v29
	s_wait_dscnt 0x1
	v_add_f64_e32 v[26:27], 0, v[26:27]
	s_wait_dscnt 0x0
	v_add_f64_e32 v[29:30], 0, v[29:30]
	s_delay_alu instid0(VALU_DEP_2) | instskip(NEXT) | instid1(VALU_DEP_2)
	v_ashrrev_i32_e32 v32, 31, v27
	v_ashrrev_i32_e32 v33, 31, v30
	s_delay_alu instid0(VALU_DEP_2) | instskip(NEXT) | instid1(VALU_DEP_2)
	v_or_b32_e32 v34, 0x80000000, v32
	v_or_b32_e32 v35, 0x80000000, v33
	v_xor_b32_e32 v26, v32, v26
	v_xor_b32_e32 v29, v33, v29
	s_delay_alu instid0(VALU_DEP_4) | instskip(NEXT) | instid1(VALU_DEP_4)
	v_xor_b32_e32 v27, v34, v27
	v_xor_b32_e32 v30, v35, v30
	s_delay_alu instid0(VALU_DEP_1) | instskip(SKIP_2) | instid1(VALU_DEP_2)
	v_cmp_gt_u64_e64 s3, v[29:30], v[26:27]
	v_add_nc_u32_e32 v26, 1, v31
	s_wait_alu 0xf1ff
	v_cndmask_b32_e64 v14, v14, v31, s3
	s_delay_alu instid0(VALU_DEP_2) | instskip(NEXT) | instid1(VALU_DEP_1)
	v_cndmask_b32_e64 v15, v26, v15, s3
	v_cmp_ge_u32_e64 s3, v15, v14
	s_wait_alu 0xfffe
	s_or_b32 s5, s3, s5
	s_wait_alu 0xfffe
	s_and_not1_b32 exec_lo, exec_lo, s5
	s_cbranch_execnz .LBB1143_79
; %bb.80:
	s_or_b32 exec_lo, exec_lo, s5
.LBB1143_81:
	s_wait_alu 0xfffe
	s_or_b32 exec_lo, exec_lo, s4
	v_add_nc_u32_e32 v7, v38, v7
	v_add_nc_u32_e32 v14, v15, v6
	s_delay_alu instid0(VALU_DEP_2) | instskip(NEXT) | instid1(VALU_DEP_2)
	v_sub_nc_u32_e32 v15, v7, v15
	v_cmp_le_u32_e64 s3, v14, v38
	s_delay_alu instid0(VALU_DEP_2)
	v_cmp_le_u32_e64 s4, v15, v39
	s_or_b32 s3, s3, s4
	s_wait_alu 0xfffe
	s_and_saveexec_b32 s5, s3
	s_cbranch_execz .LBB1143_101
; %bb.82:
	v_cmp_ge_u32_e64 s3, v14, v38
	s_mov_b32 s7, exec_lo
                                        ; implicit-def: $vgpr0_vgpr1
	v_cmpx_lt_u32_e64 v14, v38
; %bb.83:
	v_lshl_add_u32 v0, v14, 3, v28
	ds_load_b64 v[0:1], v0
; %bb.84:
	s_wait_alu 0xfffe
	s_or_b32 exec_lo, exec_lo, s7
	v_cmp_ge_u32_e64 s7, v15, v39
	s_mov_b32 s10, exec_lo
                                        ; implicit-def: $vgpr6_vgpr7
	v_cmpx_lt_u32_e64 v15, v39
; %bb.85:
	v_lshl_add_u32 v4, v15, 3, v28
	ds_load_b64 v[6:7], v4
; %bb.86:
	s_wait_alu 0xfffe
	s_or_b32 exec_lo, exec_lo, s10
	s_nor_b32 s3, s3, s7
	s_wait_alu 0xfffe
	s_and_saveexec_b32 s4, s3
	s_cbranch_execz .LBB1143_88
; %bb.87:
	s_wait_dscnt 0x0
	v_add_f64_e32 v[4:5], 0, v[6:7]
	v_add_f64_e32 v[10:11], 0, v[0:1]
	s_and_not1_b32 s7, s7, exec_lo
	s_delay_alu instid0(VALU_DEP_2) | instskip(NEXT) | instid1(VALU_DEP_2)
	v_ashrrev_i32_e32 v12, 31, v5
	v_ashrrev_i32_e32 v13, 31, v11
	s_delay_alu instid0(VALU_DEP_2) | instskip(NEXT) | instid1(VALU_DEP_2)
	v_or_b32_e32 v16, 0x80000000, v12
	v_or_b32_e32 v17, 0x80000000, v13
	v_xor_b32_e32 v4, v12, v4
	v_xor_b32_e32 v10, v13, v10
	s_delay_alu instid0(VALU_DEP_4) | instskip(NEXT) | instid1(VALU_DEP_4)
	v_xor_b32_e32 v5, v16, v5
	v_xor_b32_e32 v11, v17, v11
	s_delay_alu instid0(VALU_DEP_1)
	v_cmp_le_u64_e64 s3, v[4:5], v[10:11]
	s_and_b32 s3, s3, exec_lo
	s_wait_alu 0xfffe
	s_or_b32 s7, s7, s3
.LBB1143_88:
	s_wait_alu 0xfffe
	s_or_b32 exec_lo, exec_lo, s4
	v_cndmask_b32_e64 v4, v15, v14, s7
	v_cndmask_b32_e64 v5, v39, v38, s7
	s_mov_b32 s10, -1
	s_mov_b32 s4, -1
	s_mov_b32 s11, exec_lo
	v_add_nc_u32_e32 v13, 1, v4
	v_add_nc_u32_e32 v5, -1, v5
	v_lshl_add_u32 v4, v4, 3, v28
	s_delay_alu instid0(VALU_DEP_3) | instskip(NEXT) | instid1(VALU_DEP_3)
	v_cndmask_b32_e64 v12, v13, v15, s7
	v_min_u32_e32 v5, v13, v5
	ds_load_b64 v[16:17], v4 offset:8192
	v_cndmask_b32_e64 v13, v14, v13, s7
	v_lshl_add_u32 v5, v5, 3, v28
	ds_load_b64 v[10:11], v5
	s_wait_dscnt 0x0
	v_cndmask_b32_e64 v5, v11, v7, s7
	v_cndmask_b32_e64 v4, v10, v6, s7
	;; [unrolled: 1-line block ×4, first 2 shown]
	v_cmpx_lt_u32_e64 v12, v39
	s_cbranch_execz .LBB1143_92
; %bb.89:
	s_mov_b32 s12, 0
	s_mov_b32 s4, exec_lo
	v_cmpx_lt_u32_e64 v13, v38
	s_cbranch_execz .LBB1143_91
; %bb.90:
	v_add_f64_e32 v[14:15], 0, v[4:5]
	v_add_f64_e32 v[18:19], 0, v[10:11]
	s_delay_alu instid0(VALU_DEP_2) | instskip(NEXT) | instid1(VALU_DEP_2)
	v_ashrrev_i32_e32 v20, 31, v15
	v_ashrrev_i32_e32 v21, 31, v19
	s_delay_alu instid0(VALU_DEP_2) | instskip(NEXT) | instid1(VALU_DEP_2)
	v_or_b32_e32 v22, 0x80000000, v20
	v_or_b32_e32 v23, 0x80000000, v21
	v_xor_b32_e32 v14, v20, v14
	v_xor_b32_e32 v18, v21, v18
	s_delay_alu instid0(VALU_DEP_4) | instskip(NEXT) | instid1(VALU_DEP_4)
	v_xor_b32_e32 v15, v22, v15
	v_xor_b32_e32 v19, v23, v19
	s_delay_alu instid0(VALU_DEP_1)
	v_cmp_le_u64_e64 s3, v[14:15], v[18:19]
	s_and_b32 s12, s3, exec_lo
.LBB1143_91:
	s_wait_alu 0xfffe
	s_or_b32 exec_lo, exec_lo, s4
	s_delay_alu instid0(SALU_CYCLE_1)
	s_or_not1_b32 s4, s12, exec_lo
.LBB1143_92:
	s_wait_alu 0xfffe
	s_or_b32 exec_lo, exec_lo, s11
	v_cndmask_b32_e64 v18, v12, v13, s4
	v_cndmask_b32_e64 v14, v39, v38, s4
	s_mov_b32 s11, exec_lo
	s_delay_alu instid0(VALU_DEP_2) | instskip(NEXT) | instid1(VALU_DEP_2)
	v_add_nc_u32_e32 v20, 1, v18
	v_add_nc_u32_e32 v14, -1, v14
	v_lshl_add_u32 v18, v18, 3, v28
	s_delay_alu instid0(VALU_DEP_3) | instskip(NEXT) | instid1(VALU_DEP_3)
	v_cndmask_b32_e64 v22, v20, v12, s4
	v_min_u32_e32 v14, v20, v14
	ds_load_b64 v[18:19], v18 offset:8192
	v_cndmask_b32_e64 v23, v13, v20, s4
	v_lshl_add_u32 v14, v14, 3, v28
	ds_load_b64 v[14:15], v14
	s_wait_dscnt 0x0
	v_cndmask_b32_e64 v13, v15, v5, s4
	v_cndmask_b32_e64 v12, v14, v4, s4
	;; [unrolled: 1-line block ×4, first 2 shown]
	v_cmpx_lt_u32_e64 v22, v39
	s_cbranch_execz .LBB1143_96
; %bb.93:
	s_mov_b32 s12, 0
	s_mov_b32 s10, exec_lo
	v_cmpx_lt_u32_e64 v23, v38
	s_cbranch_execz .LBB1143_95
; %bb.94:
	v_add_f64_e32 v[20:21], 0, v[12:13]
	v_add_f64_e32 v[24:25], 0, v[14:15]
	s_delay_alu instid0(VALU_DEP_2) | instskip(NEXT) | instid1(VALU_DEP_2)
	v_ashrrev_i32_e32 v26, 31, v21
	v_ashrrev_i32_e32 v27, 31, v25
	s_delay_alu instid0(VALU_DEP_2) | instskip(NEXT) | instid1(VALU_DEP_2)
	v_or_b32_e32 v29, 0x80000000, v26
	v_or_b32_e32 v30, 0x80000000, v27
	v_xor_b32_e32 v20, v26, v20
	v_xor_b32_e32 v24, v27, v24
	s_delay_alu instid0(VALU_DEP_4) | instskip(NEXT) | instid1(VALU_DEP_4)
	v_xor_b32_e32 v21, v29, v21
	v_xor_b32_e32 v25, v30, v25
	s_delay_alu instid0(VALU_DEP_1)
	v_cmp_le_u64_e64 s3, v[20:21], v[24:25]
	s_and_b32 s12, s3, exec_lo
.LBB1143_95:
	s_wait_alu 0xfffe
	s_or_b32 exec_lo, exec_lo, s10
	s_delay_alu instid0(SALU_CYCLE_1)
	s_or_not1_b32 s10, s12, exec_lo
.LBB1143_96:
	s_wait_alu 0xfffe
	s_or_b32 exec_lo, exec_lo, s11
	v_cndmask_b32_e64 v20, v22, v23, s10
	v_cndmask_b32_e64 v21, v39, v38, s10
	s_mov_b32 s12, -1
	s_mov_b32 s11, exec_lo
	s_delay_alu instid0(VALU_DEP_2) | instskip(NEXT) | instid1(VALU_DEP_2)
	v_add_nc_u32_e32 v24, 1, v20
	v_add_nc_u32_e32 v21, -1, v21
	v_lshl_add_u32 v20, v20, 3, v28
	s_delay_alu instid0(VALU_DEP_3) | instskip(NEXT) | instid1(VALU_DEP_3)
	v_cndmask_b32_e64 v22, v24, v22, s10
	v_min_u32_e32 v21, v24, v21
	v_cndmask_b32_e64 v23, v23, v24, s10
	s_delay_alu instid0(VALU_DEP_2)
	v_lshl_add_u32 v21, v21, 3, v28
	ds_load_b64 v[26:27], v21
	ds_load_b64 v[20:21], v20 offset:8192
	s_wait_dscnt 0x1
	v_cndmask_b32_e64 v25, v27, v13, s10
	v_cndmask_b32_e64 v24, v26, v12, s10
	v_cndmask_b32_e64 v27, v15, v27, s10
	v_cndmask_b32_e64 v26, v14, v26, s10
	v_cmpx_lt_u32_e64 v22, v39
	s_cbranch_execz .LBB1143_100
; %bb.97:
	s_mov_b32 s13, 0
	s_mov_b32 s12, exec_lo
	v_cmpx_lt_u32_e64 v23, v38
	s_cbranch_execz .LBB1143_99
; %bb.98:
	v_add_f64_e32 v[29:30], 0, v[24:25]
	v_add_f64_e32 v[31:32], 0, v[26:27]
	s_delay_alu instid0(VALU_DEP_2) | instskip(NEXT) | instid1(VALU_DEP_2)
	v_ashrrev_i32_e32 v33, 31, v30
	v_ashrrev_i32_e32 v34, 31, v32
	s_delay_alu instid0(VALU_DEP_2) | instskip(NEXT) | instid1(VALU_DEP_2)
	v_or_b32_e32 v35, 0x80000000, v33
	v_or_b32_e32 v36, 0x80000000, v34
	v_xor_b32_e32 v29, v33, v29
	v_xor_b32_e32 v31, v34, v31
	s_delay_alu instid0(VALU_DEP_4) | instskip(NEXT) | instid1(VALU_DEP_4)
	v_xor_b32_e32 v30, v35, v30
	v_xor_b32_e32 v32, v36, v32
	s_delay_alu instid0(VALU_DEP_1)
	v_cmp_le_u64_e64 s3, v[29:30], v[31:32]
	s_and_b32 s13, s3, exec_lo
.LBB1143_99:
	s_wait_alu 0xfffe
	s_or_b32 exec_lo, exec_lo, s12
	s_delay_alu instid0(SALU_CYCLE_1)
	s_or_not1_b32 s12, s13, exec_lo
.LBB1143_100:
	s_wait_alu 0xfffe
	s_or_b32 exec_lo, exec_lo, s11
	v_cndmask_b32_e64 v22, v22, v23, s12
	v_cndmask_b32_e64 v13, v13, v15, s10
	;; [unrolled: 1-line block ×5, first 2 shown]
	v_lshl_add_u32 v22, v22, 3, v28
	v_cndmask_b32_e64 v11, v7, v1, s7
	v_cndmask_b32_e64 v10, v6, v0, s7
	;; [unrolled: 1-line block ×4, first 2 shown]
	ds_load_b64 v[22:23], v22 offset:8192
.LBB1143_101:
	s_wait_alu 0xfffe
	s_or_b32 exec_lo, exec_lo, s5
	v_add_co_u32 v2, s3, v2, v48
	s_wait_alu 0xf1ff
	v_add_co_ci_u32_e64 v3, null, v3, v49, s3
	s_delay_alu instid0(VALU_DEP_2) | instskip(SKIP_1) | instid1(VALU_DEP_2)
	v_add_co_u32 v2, s3, v2, v52
	s_wait_alu 0xf1ff
	v_add_co_ci_u32_e64 v3, null, 0, v3, s3
	; wave barrier
	s_wait_storecnt_dscnt 0x0
	s_barrier_signal -1
	s_barrier_wait -1
	global_inv scope:SCOPE_SE
	; wave barrier
	s_and_saveexec_b32 s3, vcc_lo
	s_cbranch_execnz .LBB1143_222
; %bb.102:
	s_wait_alu 0xfffe
	s_or_b32 exec_lo, exec_lo, s3
	s_and_saveexec_b32 s3, s0
	s_cbranch_execnz .LBB1143_223
.LBB1143_103:
	s_wait_alu 0xfffe
	s_or_b32 exec_lo, exec_lo, s3
	s_and_saveexec_b32 s3, s1
	s_cbranch_execnz .LBB1143_224
.LBB1143_104:
	s_wait_alu 0xfffe
	s_or_b32 exec_lo, exec_lo, s3
	s_and_saveexec_b32 s3, s2
	s_cbranch_execz .LBB1143_106
.LBB1143_105:
	flat_store_b64 v[2:3], v[0:1] offset:24
.LBB1143_106:
	s_wait_alu 0xfffe
	s_or_b32 exec_lo, exec_lo, s3
	v_add_co_u32 v0, s3, v8, v48
	s_wait_alu 0xf1ff
	v_add_co_ci_u32_e64 v1, null, v9, v49, s3
	s_delay_alu instid0(VALU_DEP_2) | instskip(SKIP_1) | instid1(VALU_DEP_2)
	v_add_co_u32 v0, s3, v0, v52
	s_wait_alu 0xf1ff
	v_add_co_ci_u32_e64 v1, null, 0, v1, s3
	; wave barrier
	s_and_saveexec_b32 s3, vcc_lo
	s_cbranch_execnz .LBB1143_225
; %bb.107:
	s_wait_alu 0xfffe
	s_or_b32 exec_lo, exec_lo, s3
	s_and_saveexec_b32 s3, s0
	s_cbranch_execnz .LBB1143_226
.LBB1143_108:
	s_wait_alu 0xfffe
	s_or_b32 exec_lo, exec_lo, s3
	s_and_saveexec_b32 s0, s1
	s_cbranch_execz .LBB1143_110
.LBB1143_109:
	flat_store_b64 v[0:1], v[20:21] offset:16
.LBB1143_110:
	s_wait_alu 0xfffe
	s_or_b32 exec_lo, exec_lo, s0
	s_delay_alu instid0(SALU_CYCLE_1)
	s_and_b32 s5, s2, exec_lo
                                        ; implicit-def: $vgpr14
                                        ; implicit-def: $vgpr54
                                        ; implicit-def: $vgpr24_vgpr25
                                        ; implicit-def: $vgpr4
                                        ; implicit-def: $vgpr5
                                        ; implicit-def: $vgpr6
                                        ; implicit-def: $vgpr7
                                        ; implicit-def: $vgpr10
                                        ; implicit-def: $vgpr15
                                        ; implicit-def: $vgpr53
                                        ; implicit-def: $vgpr31
	s_and_not1_saveexec_b32 s6, s6
	s_cbranch_execz .LBB1143_2
.LBB1143_111:
	v_mov_b32_e32 v2, -1
	v_dual_mov_b32 v3, -1 :: v_dual_mov_b32 v8, -1
	v_mov_b32_e32 v9, -1
	s_and_saveexec_b32 s0, vcc_lo
	s_cbranch_execz .LBB1143_113
; %bb.112:
	flat_load_b64 v[8:9], v[24:25]
.LBB1143_113:
	s_wait_alu 0xfffe
	s_or_b32 exec_lo, exec_lo, s0
	v_or_b32_e32 v0, 1, v53
	s_delay_alu instid0(VALU_DEP_1)
	v_cmp_lt_u32_e64 s0, v0, v14
	s_and_saveexec_b32 s1, s0
	s_cbranch_execz .LBB1143_115
; %bb.114:
	flat_load_b64 v[2:3], v[24:25] offset:8
.LBB1143_115:
	s_wait_alu 0xfffe
	s_or_b32 exec_lo, exec_lo, s1
	v_or_b32_e32 v16, 2, v53
	v_mov_b32_e32 v0, -1
	v_dual_mov_b32 v1, -1 :: v_dual_mov_b32 v12, -1
	v_mov_b32_e32 v13, -1
	s_delay_alu instid0(VALU_DEP_4)
	v_cmp_lt_u32_e64 s2, v16, v14
	s_and_saveexec_b32 s1, s2
	s_cbranch_execz .LBB1143_117
; %bb.116:
	flat_load_b64 v[12:13], v[24:25] offset:16
.LBB1143_117:
	s_wait_alu 0xfffe
	s_or_b32 exec_lo, exec_lo, s1
	v_or_b32_e32 v16, 3, v53
	s_delay_alu instid0(VALU_DEP_1)
	v_cmp_lt_u32_e64 s1, v16, v14
	s_and_saveexec_b32 s3, s1
	s_cbranch_execz .LBB1143_119
; %bb.118:
	flat_load_b64 v[0:1], v[24:25] offset:24
.LBB1143_119:
	s_wait_alu 0xfffe
	s_or_b32 exec_lo, exec_lo, s3
	v_add_co_u32 v6, s3, v6, v48
	s_wait_alu 0xf1ff
	v_add_co_ci_u32_e64 v7, null, v7, v49, s3
	v_mov_b32_e32 v16, 0
	s_delay_alu instid0(VALU_DEP_3) | instskip(SKIP_1) | instid1(VALU_DEP_3)
	v_add_co_u32 v6, s3, v6, v52
	s_wait_alu 0xf1ff
	v_add_co_ci_u32_e64 v7, null, 0, v7, s3
	s_delay_alu instid0(VALU_DEP_3)
	v_dual_mov_b32 v17, v16 :: v_dual_mov_b32 v18, v16
	v_dual_mov_b32 v19, v16 :: v_dual_mov_b32 v20, v16
	;; [unrolled: 1-line block ×3, first 2 shown]
	v_mov_b32_e32 v23, v16
	; wave barrier
	s_and_saveexec_b32 s3, vcc_lo
	s_cbranch_execnz .LBB1143_227
; %bb.120:
	s_wait_alu 0xfffe
	s_or_b32 exec_lo, exec_lo, s3
	s_and_saveexec_b32 s3, s0
	s_cbranch_execnz .LBB1143_228
.LBB1143_121:
	s_wait_alu 0xfffe
	s_or_b32 exec_lo, exec_lo, s3
	s_and_saveexec_b32 s3, s2
	s_cbranch_execnz .LBB1143_229
.LBB1143_122:
	s_wait_alu 0xfffe
	s_or_b32 exec_lo, exec_lo, s3
	s_and_saveexec_b32 s3, s1
	s_cbranch_execz .LBB1143_124
.LBB1143_123:
	flat_load_b64 v[22:23], v[6:7] offset:24
.LBB1143_124:
	s_wait_alu 0xfffe
	s_or_b32 exec_lo, exec_lo, s3
	; wave barrier
	s_load_b64 s[10:11], s[8:9], 0x0
	s_and_b32 s3, ttmp7, 0xffff
	s_mov_b32 s13, 0
	v_bfe_u32 v6, v31, 10, 10
	v_bfe_u32 v7, v31, 20, 10
	s_mov_b32 s7, exec_lo
	s_wait_kmcnt 0x0
	s_wait_alu 0xfffe
	s_cmp_lt_u32 s3, s11
	s_cselect_b32 s12, 14, 20
	s_cmp_lt_u32 ttmp9, s10
	s_wait_alu 0xfffe
	s_add_nc_u64 s[14:15], s[8:9], s[12:13]
	s_cselect_b32 s12, 12, 18
	s_load_u16 s3, s[14:15], 0x0
	s_add_nc_u64 s[8:9], s[8:9], s[12:13]
	s_load_u16 s4, s[8:9], 0x0
	s_wait_kmcnt 0x0
	v_mad_u32_u24 v6, v7, s3, v6
	v_and_b32_e32 v7, 0x3ff, v31
	s_delay_alu instid0(VALU_DEP_2) | instskip(NEXT) | instid1(VALU_DEP_1)
	v_mul_lo_u32 v6, v6, s4
	v_add_lshl_u32 v14, v6, v7, 2
	s_delay_alu instid0(VALU_DEP_1)
	v_cmpx_gt_u32_e32 0x400, v14
	s_cbranch_execz .LBB1143_136
; %bb.125:
	s_wait_loadcnt_dscnt 0x0
	v_add_f64_e32 v[6:7], 0, v[2:3]
	v_add_f64_e32 v[24:25], 0, v[8:9]
	;; [unrolled: 1-line block ×4, first 2 shown]
	s_mov_b32 s8, exec_lo
	s_delay_alu instid0(VALU_DEP_4) | instskip(NEXT) | instid1(VALU_DEP_4)
	v_ashrrev_i32_e32 v30, 31, v7
	v_ashrrev_i32_e32 v31, 31, v25
	s_delay_alu instid0(VALU_DEP_4) | instskip(NEXT) | instid1(VALU_DEP_4)
	v_ashrrev_i32_e32 v32, 31, v27
	v_ashrrev_i32_e32 v33, 31, v29
	s_delay_alu instid0(VALU_DEP_4)
	v_or_b32_e32 v34, 0x80000000, v30
	v_xor_b32_e32 v6, v30, v6
	v_or_b32_e32 v30, 0x80000000, v31
	v_xor_b32_e32 v24, v31, v24
	;; [unrolled: 2-line block ×4, first 2 shown]
	v_xor_b32_e32 v30, v32, v26
	v_xor_b32_e32 v50, v33, v28
	;; [unrolled: 1-line block ×4, first 2 shown]
	v_cmp_gt_u64_e64 s3, v[6:7], v[24:25]
	v_dual_mov_b32 v6, v12 :: v_dual_mov_b32 v7, v13
	v_dual_mov_b32 v29, v21 :: v_dual_mov_b32 v28, v20
	s_wait_alu 0xf1ff
	s_delay_alu instid0(VALU_DEP_3)
	v_cndmask_b32_e64 v27, v19, v17, s3
	v_cndmask_b32_e64 v26, v18, v16, s3
	;; [unrolled: 1-line block ×4, first 2 shown]
	v_cmpx_gt_u64_e64 v[30:31], v[50:51]
; %bb.126:
	v_dual_mov_b32 v7, v1 :: v_dual_mov_b32 v6, v0
	v_dual_mov_b32 v0, v12 :: v_dual_mov_b32 v1, v13
	;; [unrolled: 1-line block ×5, first 2 shown]
; %bb.127:
	s_wait_alu 0xfffe
	s_or_b32 exec_lo, exec_lo, s8
	v_cndmask_b32_e64 v19, v3, v9, s3
	v_cndmask_b32_e64 v18, v2, v8, s3
	v_mov_b32_e32 v30, v22
	v_mov_b32_e32 v39, v31
	v_dual_mov_b32 v33, v25 :: v_dual_mov_b32 v32, v24
	s_delay_alu instid0(VALU_DEP_4) | instskip(NEXT) | instid1(VALU_DEP_4)
	v_add_f64_e32 v[12:13], 0, v[18:19]
	v_dual_mov_b32 v38, v30 :: v_dual_mov_b32 v37, v29
	v_dual_mov_b32 v36, v28 :: v_dual_mov_b32 v35, v27
	v_mov_b32_e32 v34, v26
	s_delay_alu instid0(VALU_DEP_4) | instskip(NEXT) | instid1(VALU_DEP_1)
	v_ashrrev_i32_e32 v16, 31, v13
	v_or_b32_e32 v17, 0x80000000, v16
	v_xor_b32_e32 v16, v16, v12
	s_delay_alu instid0(VALU_DEP_2) | instskip(NEXT) | instid1(VALU_DEP_1)
	v_xor_b32_e32 v17, v17, v13
                                        ; implicit-def: $vgpr12_vgpr13
	v_cmp_le_u64_e64 s4, v[50:51], v[16:17]
	s_and_saveexec_b32 s8, s4
	s_wait_alu 0xfffe
	s_xor_b32 s4, exec_lo, s8
	s_cbranch_execz .LBB1143_129
; %bb.128:
	v_add_f64_e32 v[12:13], 0, v[6:7]
                                        ; implicit-def: $vgpr32_vgpr33_vgpr34_vgpr35_vgpr36_vgpr37_vgpr38_vgpr39
                                        ; implicit-def: $vgpr50_vgpr51
	s_delay_alu instid0(VALU_DEP_1) | instskip(NEXT) | instid1(VALU_DEP_1)
	v_ashrrev_i32_e32 v20, 31, v13
	v_or_b32_e32 v21, 0x80000000, v20
	s_delay_alu instid0(VALU_DEP_3) | instskip(NEXT) | instid1(VALU_DEP_2)
	v_xor_b32_e32 v12, v20, v12
	v_xor_b32_e32 v13, v21, v13
.LBB1143_129:
	s_wait_alu 0xfffe
	s_or_saveexec_b32 s4, s4
	v_mov_b32_e32 v35, v19
	v_dual_mov_b32 v31, v23 :: v_dual_mov_b32 v34, v18
	s_wait_alu 0xfffe
	s_xor_b32 exec_lo, exec_lo, s4
	s_cbranch_execz .LBB1143_131
; %bb.130:
	v_dual_mov_b32 v34, v28 :: v_dual_mov_b32 v35, v29
	v_dual_mov_b32 v36, v26 :: v_dual_mov_b32 v37, v27
	;; [unrolled: 1-line block ×4, first 2 shown]
	s_delay_alu instid0(VALU_DEP_4) | instskip(NEXT) | instid1(VALU_DEP_4)
	v_dual_mov_b32 v26, v34 :: v_dual_mov_b32 v27, v35
	v_dual_mov_b32 v28, v36 :: v_dual_mov_b32 v29, v37
	s_delay_alu instid0(VALU_DEP_4)
	v_dual_mov_b32 v30, v38 :: v_dual_mov_b32 v31, v39
	v_dual_mov_b32 v12, v16 :: v_dual_mov_b32 v13, v17
	;; [unrolled: 1-line block ×5, first 2 shown]
.LBB1143_131:
	s_or_b32 exec_lo, exec_lo, s4
	v_cndmask_b32_e64 v9, v9, v3, s3
	v_cndmask_b32_e64 v8, v8, v2, s3
	v_add_f64_e32 v[18:19], 0, v[0:1]
	s_mov_b32 s8, exec_lo
	s_delay_alu instid0(VALU_DEP_2) | instskip(NEXT) | instid1(VALU_DEP_2)
	v_add_f64_e32 v[2:3], 0, v[8:9]
	v_ashrrev_i32_e32 v23, 31, v19
	s_delay_alu instid0(VALU_DEP_2) | instskip(NEXT) | instid1(VALU_DEP_2)
	v_ashrrev_i32_e32 v20, 31, v3
	v_or_b32_e32 v32, 0x80000000, v23
	s_delay_alu instid0(VALU_DEP_2)
	v_or_b32_e32 v22, 0x80000000, v20
	v_xor_b32_e32 v21, v20, v2
	v_mov_b32_e32 v20, v28
	v_xor_b32_e32 v2, v23, v18
	v_mov_b32_e32 v23, v31
	v_xor_b32_e32 v22, v22, v3
	v_xor_b32_e32 v3, v32, v19
	s_delay_alu instid0(VALU_DEP_2) | instskip(SKIP_2) | instid1(VALU_DEP_2)
	v_cmp_gt_u64_e64 s3, v[16:17], v[21:22]
	v_dual_mov_b32 v21, v29 :: v_dual_mov_b32 v22, v30
	s_wait_alu 0xf1ff
	v_cndmask_b32_e64 v19, v27, v25, s3
	v_cndmask_b32_e64 v18, v26, v24, s3
	;; [unrolled: 1-line block ×4, first 2 shown]
	v_dual_mov_b32 v25, v7 :: v_dual_mov_b32 v24, v6
	v_cmpx_gt_u64_e64 v[2:3], v[12:13]
; %bb.132:
	v_dual_mov_b32 v20, v30 :: v_dual_mov_b32 v21, v31
	v_dual_mov_b32 v22, v28 :: v_dual_mov_b32 v23, v29
	;; [unrolled: 1-line block ×5, first 2 shown]
; %bb.133:
	s_wait_alu 0xfffe
	s_or_b32 exec_lo, exec_lo, s8
	v_cndmask_b32_e64 v3, v35, v9, s3
	v_cndmask_b32_e64 v2, v34, v8, s3
	;; [unrolled: 1-line block ×4, first 2 shown]
	s_delay_alu instid0(VALU_DEP_3) | instskip(NEXT) | instid1(VALU_DEP_1)
	v_add_f64_e32 v[6:7], 0, v[2:3]
	v_ashrrev_i32_e32 v26, 31, v7
	s_delay_alu instid0(VALU_DEP_1) | instskip(NEXT) | instid1(VALU_DEP_3)
	v_or_b32_e32 v27, 0x80000000, v26
	v_xor_b32_e32 v6, v26, v6
	s_delay_alu instid0(VALU_DEP_2) | instskip(NEXT) | instid1(VALU_DEP_1)
	v_xor_b32_e32 v7, v27, v7
	v_cmp_gt_u64_e64 s3, v[12:13], v[6:7]
	v_dual_mov_b32 v12, v24 :: v_dual_mov_b32 v13, v25
	s_and_saveexec_b32 s4, s3
	s_cbranch_execz .LBB1143_135
; %bb.134:
	v_dual_mov_b32 v26, v16 :: v_dual_mov_b32 v27, v17
	v_dual_mov_b32 v28, v20 :: v_dual_mov_b32 v29, v21
	;; [unrolled: 1-line block ×4, first 2 shown]
	s_delay_alu instid0(VALU_DEP_4) | instskip(NEXT) | instid1(VALU_DEP_4)
	v_dual_mov_b32 v16, v26 :: v_dual_mov_b32 v17, v27
	v_dual_mov_b32 v18, v28 :: v_dual_mov_b32 v19, v29
	s_delay_alu instid0(VALU_DEP_4) | instskip(NEXT) | instid1(VALU_DEP_4)
	v_dual_mov_b32 v20, v30 :: v_dual_mov_b32 v21, v31
	v_dual_mov_b32 v22, v32 :: v_dual_mov_b32 v23, v33
	v_dual_mov_b32 v13, v3 :: v_dual_mov_b32 v12, v2
	v_dual_mov_b32 v2, v24 :: v_dual_mov_b32 v3, v25
.LBB1143_135:
	s_wait_alu 0xfffe
	s_or_b32 exec_lo, exec_lo, s4
.LBB1143_136:
	s_delay_alu instid0(SALU_CYCLE_1) | instskip(SKIP_3) | instid1(VALU_DEP_2)
	s_or_b32 exec_lo, exec_lo, s7
	v_dual_mov_b32 v7, 0 :: v_dual_and_b32 v6, 0xffffff80, v14
	v_or_b32_e32 v14, 4, v54
	s_mov_b32 s4, exec_lo
	v_sub_nc_u32_e64 v29, 0x400, v6 clamp
	s_delay_alu instid0(VALU_DEP_3) | instskip(NEXT) | instid1(VALU_DEP_2)
	v_lshlrev_b64_e32 v[6:7], 3, v[6:7]
	v_min_u32_e32 v38, v29, v14
	v_and_b32_e32 v14, 4, v54
	s_delay_alu instid0(VALU_DEP_3) | instskip(SKIP_1) | instid1(VALU_DEP_4)
	v_add_co_u32 v28, null, v15, v6
	v_and_b32_e32 v6, 0x78, v54
	v_add_nc_u32_e32 v7, 4, v38
	s_delay_alu instid0(VALU_DEP_3) | instskip(NEXT) | instid1(VALU_DEP_3)
	v_lshl_add_u32 v30, v54, 3, v28
	v_sub_nc_u32_e32 v24, v38, v6
	s_delay_alu instid0(VALU_DEP_3) | instskip(SKIP_1) | instid1(VALU_DEP_4)
	v_min_u32_e32 v39, v29, v7
	v_min_u32_e32 v7, v29, v14
	v_add_nc_u32_e32 v25, 0x2000, v30
	s_wait_loadcnt_dscnt 0x0
	ds_store_2addr_b64 v30, v[8:9], v[2:3] offset1:1
	ds_store_2addr_b64 v25, v[16:17], v[18:19] offset1:1
	ds_store_2addr_b64 v30, v[12:13], v[0:1] offset0:2 offset1:3
	ds_store_2addr_b64 v25, v[20:21], v[22:23] offset0:2 offset1:3
	v_sub_nc_u32_e32 v14, v39, v38
	; wave barrier
	s_delay_alu instid0(VALU_DEP_1) | instskip(SKIP_1) | instid1(VALU_DEP_1)
	v_sub_nc_u32_e64 v15, v7, v14 clamp
	v_min_u32_e32 v14, v7, v24
	v_cmpx_lt_u32_e64 v15, v14
	s_cbranch_execz .LBB1143_140
; %bb.137:
	v_lshlrev_b32_e32 v24, 3, v6
	v_lshlrev_b32_e32 v25, 3, v38
	s_mov_b32 s7, 0
	s_delay_alu instid0(VALU_DEP_2) | instskip(NEXT) | instid1(VALU_DEP_2)
	v_add_co_u32 v24, null, v28, v24
	v_add_co_u32 v25, null, v28, v25
.LBB1143_138:                           ; =>This Inner Loop Header: Depth=1
	v_add_nc_u32_e32 v26, v14, v15
	s_delay_alu instid0(VALU_DEP_1) | instskip(NEXT) | instid1(VALU_DEP_1)
	v_lshrrev_b32_e32 v33, 1, v26
	v_xad_u32 v26, v33, -1, v7
	v_lshl_add_u32 v27, v33, 3, v24
	s_delay_alu instid0(VALU_DEP_2)
	v_lshl_add_u32 v31, v26, 3, v25
	ds_load_b64 v[26:27], v27
	ds_load_b64 v[31:32], v31
	s_wait_dscnt 0x1
	v_add_f64_e32 v[26:27], 0, v[26:27]
	s_wait_dscnt 0x0
	v_add_f64_e32 v[31:32], 0, v[31:32]
	s_delay_alu instid0(VALU_DEP_2) | instskip(NEXT) | instid1(VALU_DEP_2)
	v_ashrrev_i32_e32 v34, 31, v27
	v_ashrrev_i32_e32 v35, 31, v32
	s_delay_alu instid0(VALU_DEP_2) | instskip(NEXT) | instid1(VALU_DEP_2)
	v_or_b32_e32 v36, 0x80000000, v34
	v_or_b32_e32 v37, 0x80000000, v35
	v_xor_b32_e32 v26, v34, v26
	v_xor_b32_e32 v31, v35, v31
	s_delay_alu instid0(VALU_DEP_4) | instskip(NEXT) | instid1(VALU_DEP_4)
	v_xor_b32_e32 v27, v36, v27
	v_xor_b32_e32 v32, v37, v32
	s_delay_alu instid0(VALU_DEP_1) | instskip(SKIP_2) | instid1(VALU_DEP_2)
	v_cmp_gt_u64_e64 s3, v[31:32], v[26:27]
	v_add_nc_u32_e32 v26, 1, v33
	s_wait_alu 0xf1ff
	v_cndmask_b32_e64 v14, v14, v33, s3
	s_delay_alu instid0(VALU_DEP_2) | instskip(NEXT) | instid1(VALU_DEP_1)
	v_cndmask_b32_e64 v15, v26, v15, s3
	v_cmp_ge_u32_e64 s3, v15, v14
	s_wait_alu 0xfffe
	s_or_b32 s7, s3, s7
	s_wait_alu 0xfffe
	s_and_not1_b32 exec_lo, exec_lo, s7
	s_cbranch_execnz .LBB1143_138
; %bb.139:
	s_or_b32 exec_lo, exec_lo, s7
.LBB1143_140:
	s_wait_alu 0xfffe
	s_or_b32 exec_lo, exec_lo, s4
	v_add_nc_u32_e32 v7, v38, v7
	v_add_nc_u32_e32 v14, v15, v6
	;; [unrolled: 1-line block ×5, first 2 shown]
	v_sub_nc_u32_e32 v15, v7, v15
	v_cmp_le_u32_e64 s3, v14, v38
	v_add_nc_u32_e32 v33, 16, v30
	v_add_nc_u32_e32 v36, 0x2010, v30
	;; [unrolled: 1-line block ×3, first 2 shown]
	v_cmp_le_u32_e64 s4, v15, v39
	v_add_nc_u32_e32 v37, 0x2018, v30
	s_or_b32 s3, s3, s4
	s_wait_alu 0xfffe
	s_and_saveexec_b32 s7, s3
	s_cbranch_execz .LBB1143_160
; %bb.141:
	v_cmp_ge_u32_e64 s3, v14, v38
	s_mov_b32 s8, exec_lo
                                        ; implicit-def: $vgpr0_vgpr1
	v_cmpx_lt_u32_e64 v14, v38
; %bb.142:
	v_lshl_add_u32 v0, v14, 3, v28
	ds_load_b64 v[0:1], v0
; %bb.143:
	s_wait_alu 0xfffe
	s_or_b32 exec_lo, exec_lo, s8
	v_cmp_ge_u32_e64 s8, v15, v39
	s_mov_b32 s9, exec_lo
                                        ; implicit-def: $vgpr6_vgpr7
	v_cmpx_lt_u32_e64 v15, v39
; %bb.144:
	v_lshl_add_u32 v2, v15, 3, v28
	ds_load_b64 v[6:7], v2
; %bb.145:
	s_wait_alu 0xfffe
	s_or_b32 exec_lo, exec_lo, s9
	s_nor_b32 s3, s3, s8
	s_wait_alu 0xfffe
	s_and_saveexec_b32 s4, s3
	s_cbranch_execz .LBB1143_147
; %bb.146:
	s_wait_dscnt 0x0
	v_add_f64_e32 v[2:3], 0, v[6:7]
	v_add_f64_e32 v[8:9], 0, v[0:1]
	s_and_not1_b32 s8, s8, exec_lo
	s_delay_alu instid0(VALU_DEP_2) | instskip(NEXT) | instid1(VALU_DEP_2)
	v_ashrrev_i32_e32 v12, 31, v3
	v_ashrrev_i32_e32 v13, 31, v9
	s_delay_alu instid0(VALU_DEP_2) | instskip(NEXT) | instid1(VALU_DEP_2)
	v_or_b32_e32 v16, 0x80000000, v12
	v_or_b32_e32 v17, 0x80000000, v13
	v_xor_b32_e32 v2, v12, v2
	v_xor_b32_e32 v8, v13, v8
	s_delay_alu instid0(VALU_DEP_4) | instskip(NEXT) | instid1(VALU_DEP_4)
	v_xor_b32_e32 v3, v16, v3
	v_xor_b32_e32 v9, v17, v9
	s_delay_alu instid0(VALU_DEP_1)
	v_cmp_le_u64_e64 s3, v[2:3], v[8:9]
	s_and_b32 s3, s3, exec_lo
	s_wait_alu 0xfffe
	s_or_b32 s8, s8, s3
.LBB1143_147:
	s_wait_alu 0xfffe
	s_or_b32 exec_lo, exec_lo, s4
	v_cndmask_b32_e64 v2, v15, v14, s8
	v_cndmask_b32_e64 v3, v39, v38, s8
	s_mov_b32 s9, -1
	s_mov_b32 s4, -1
	s_mov_b32 s10, exec_lo
	v_add_nc_u32_e32 v13, 1, v2
	v_add_nc_u32_e32 v3, -1, v3
	v_lshl_add_u32 v2, v2, 3, v28
	s_delay_alu instid0(VALU_DEP_3) | instskip(NEXT) | instid1(VALU_DEP_3)
	v_cndmask_b32_e64 v12, v13, v15, s8
	v_min_u32_e32 v3, v13, v3
	ds_load_b64 v[16:17], v2 offset:8192
	v_cndmask_b32_e64 v13, v14, v13, s8
	v_lshl_add_u32 v3, v3, 3, v28
	ds_load_b64 v[8:9], v3
	s_wait_dscnt 0x0
	v_cndmask_b32_e64 v3, v9, v7, s8
	v_cndmask_b32_e64 v2, v8, v6, s8
	;; [unrolled: 1-line block ×4, first 2 shown]
	v_cmpx_lt_u32_e64 v12, v39
	s_cbranch_execz .LBB1143_151
; %bb.148:
	s_mov_b32 s11, 0
	s_mov_b32 s4, exec_lo
	v_cmpx_lt_u32_e64 v13, v38
	s_cbranch_execz .LBB1143_150
; %bb.149:
	v_add_f64_e32 v[14:15], 0, v[2:3]
	v_add_f64_e32 v[18:19], 0, v[8:9]
	s_delay_alu instid0(VALU_DEP_2) | instskip(NEXT) | instid1(VALU_DEP_2)
	v_ashrrev_i32_e32 v20, 31, v15
	v_ashrrev_i32_e32 v21, 31, v19
	s_delay_alu instid0(VALU_DEP_2) | instskip(NEXT) | instid1(VALU_DEP_2)
	v_or_b32_e32 v22, 0x80000000, v20
	v_or_b32_e32 v23, 0x80000000, v21
	v_xor_b32_e32 v14, v20, v14
	v_xor_b32_e32 v18, v21, v18
	s_delay_alu instid0(VALU_DEP_4) | instskip(NEXT) | instid1(VALU_DEP_4)
	v_xor_b32_e32 v15, v22, v15
	v_xor_b32_e32 v19, v23, v19
	s_delay_alu instid0(VALU_DEP_1)
	v_cmp_le_u64_e64 s3, v[14:15], v[18:19]
	s_and_b32 s11, s3, exec_lo
.LBB1143_150:
	s_wait_alu 0xfffe
	s_or_b32 exec_lo, exec_lo, s4
	s_delay_alu instid0(SALU_CYCLE_1)
	s_or_not1_b32 s4, s11, exec_lo
.LBB1143_151:
	s_wait_alu 0xfffe
	s_or_b32 exec_lo, exec_lo, s10
	v_cndmask_b32_e64 v18, v12, v13, s4
	v_cndmask_b32_e64 v14, v39, v38, s4
	s_mov_b32 s10, exec_lo
	s_delay_alu instid0(VALU_DEP_2) | instskip(NEXT) | instid1(VALU_DEP_2)
	v_add_nc_u32_e32 v20, 1, v18
	v_add_nc_u32_e32 v14, -1, v14
	v_lshl_add_u32 v18, v18, 3, v28
	s_delay_alu instid0(VALU_DEP_3) | instskip(NEXT) | instid1(VALU_DEP_3)
	v_cndmask_b32_e64 v22, v20, v12, s4
	v_min_u32_e32 v14, v20, v14
	ds_load_b64 v[18:19], v18 offset:8192
	v_cndmask_b32_e64 v23, v13, v20, s4
	v_lshl_add_u32 v14, v14, 3, v28
	ds_load_b64 v[14:15], v14
	s_wait_dscnt 0x0
	v_cndmask_b32_e64 v13, v15, v3, s4
	v_cndmask_b32_e64 v12, v14, v2, s4
	;; [unrolled: 1-line block ×4, first 2 shown]
	v_cmpx_lt_u32_e64 v22, v39
	s_cbranch_execz .LBB1143_155
; %bb.152:
	s_mov_b32 s11, 0
	s_mov_b32 s9, exec_lo
	v_cmpx_lt_u32_e64 v23, v38
	s_cbranch_execz .LBB1143_154
; %bb.153:
	v_add_f64_e32 v[20:21], 0, v[12:13]
	v_add_f64_e32 v[24:25], 0, v[14:15]
	s_delay_alu instid0(VALU_DEP_2) | instskip(NEXT) | instid1(VALU_DEP_2)
	v_ashrrev_i32_e32 v26, 31, v21
	v_ashrrev_i32_e32 v27, 31, v25
	s_delay_alu instid0(VALU_DEP_2) | instskip(NEXT) | instid1(VALU_DEP_2)
	v_or_b32_e32 v50, 0x80000000, v26
	v_or_b32_e32 v51, 0x80000000, v27
	v_xor_b32_e32 v20, v26, v20
	v_xor_b32_e32 v24, v27, v24
	s_delay_alu instid0(VALU_DEP_4) | instskip(NEXT) | instid1(VALU_DEP_4)
	v_xor_b32_e32 v21, v50, v21
	v_xor_b32_e32 v25, v51, v25
	s_delay_alu instid0(VALU_DEP_1)
	v_cmp_le_u64_e64 s3, v[20:21], v[24:25]
	s_and_b32 s11, s3, exec_lo
.LBB1143_154:
	s_wait_alu 0xfffe
	s_or_b32 exec_lo, exec_lo, s9
	s_delay_alu instid0(SALU_CYCLE_1)
	s_or_not1_b32 s9, s11, exec_lo
.LBB1143_155:
	s_wait_alu 0xfffe
	s_or_b32 exec_lo, exec_lo, s10
	v_cndmask_b32_e64 v20, v22, v23, s9
	v_cndmask_b32_e64 v21, v39, v38, s9
	s_mov_b32 s11, -1
	s_mov_b32 s10, exec_lo
	s_delay_alu instid0(VALU_DEP_2) | instskip(NEXT) | instid1(VALU_DEP_2)
	v_add_nc_u32_e32 v24, 1, v20
	v_add_nc_u32_e32 v21, -1, v21
	v_lshl_add_u32 v20, v20, 3, v28
	s_delay_alu instid0(VALU_DEP_3) | instskip(NEXT) | instid1(VALU_DEP_3)
	v_cndmask_b32_e64 v22, v24, v22, s9
	v_min_u32_e32 v21, v24, v21
	v_cndmask_b32_e64 v23, v23, v24, s9
	s_delay_alu instid0(VALU_DEP_2)
	v_lshl_add_u32 v21, v21, 3, v28
	ds_load_b64 v[26:27], v21
	ds_load_b64 v[20:21], v20 offset:8192
	s_wait_dscnt 0x1
	v_cndmask_b32_e64 v25, v27, v13, s9
	v_cndmask_b32_e64 v24, v26, v12, s9
	;; [unrolled: 1-line block ×4, first 2 shown]
	v_cmpx_lt_u32_e64 v22, v39
	s_cbranch_execz .LBB1143_159
; %bb.156:
	s_mov_b32 s12, 0
	s_mov_b32 s11, exec_lo
	v_cmpx_lt_u32_e64 v23, v38
	s_cbranch_execz .LBB1143_158
; %bb.157:
	v_add_f64_e32 v[38:39], 0, v[24:25]
	v_add_f64_e32 v[50:51], 0, v[26:27]
	s_delay_alu instid0(VALU_DEP_2) | instskip(NEXT) | instid1(VALU_DEP_2)
	v_ashrrev_i32_e32 v55, 31, v39
	v_ashrrev_i32_e32 v64, 31, v51
	s_delay_alu instid0(VALU_DEP_2) | instskip(NEXT) | instid1(VALU_DEP_2)
	v_or_b32_e32 v65, 0x80000000, v55
	v_or_b32_e32 v66, 0x80000000, v64
	v_xor_b32_e32 v38, v55, v38
	v_xor_b32_e32 v50, v64, v50
	s_delay_alu instid0(VALU_DEP_4) | instskip(NEXT) | instid1(VALU_DEP_4)
	v_xor_b32_e32 v39, v65, v39
	v_xor_b32_e32 v51, v66, v51
	s_delay_alu instid0(VALU_DEP_1)
	v_cmp_le_u64_e64 s3, v[38:39], v[50:51]
	s_and_b32 s12, s3, exec_lo
.LBB1143_158:
	s_wait_alu 0xfffe
	s_or_b32 exec_lo, exec_lo, s11
	s_delay_alu instid0(SALU_CYCLE_1)
	s_or_not1_b32 s11, s12, exec_lo
.LBB1143_159:
	s_wait_alu 0xfffe
	s_or_b32 exec_lo, exec_lo, s10
	v_cndmask_b32_e64 v22, v22, v23, s11
	v_cndmask_b32_e64 v13, v13, v15, s9
	v_cndmask_b32_e64 v12, v12, v14, s9
	v_cndmask_b32_e64 v3, v3, v9, s4
	v_cndmask_b32_e64 v2, v2, v8, s4
	v_lshl_add_u32 v22, v22, 3, v28
	v_cndmask_b32_e64 v9, v7, v1, s8
	v_cndmask_b32_e64 v8, v6, v0, s8
	;; [unrolled: 1-line block ×4, first 2 shown]
	ds_load_b64 v[22:23], v22 offset:8192
.LBB1143_160:
	s_wait_alu 0xfffe
	s_or_b32 exec_lo, exec_lo, s7
	v_and_b32_e32 v6, 0x70, v54
	v_and_b32_e32 v14, 12, v54
	s_mov_b32 s4, exec_lo
	; wave barrier
	s_delay_alu instid0(VALU_DEP_2)
	v_or_b32_e32 v7, 8, v6
	ds_store_b64 v30, v[8:9]
	ds_store_b64 v35, v[16:17]
	;; [unrolled: 1-line block ×5, first 2 shown]
	s_wait_dscnt 0x6
	ds_store_b64 v36, v[20:21]
	ds_store_b64 v34, v[0:1]
	s_wait_dscnt 0x7
	ds_store_b64 v37, v[22:23]
	; wave barrier
	v_min_u32_e32 v38, v29, v7
	s_delay_alu instid0(VALU_DEP_1) | instskip(SKIP_1) | instid1(VALU_DEP_2)
	v_add_nc_u32_e32 v7, 8, v38
	v_sub_nc_u32_e32 v24, v38, v6
	v_min_u32_e32 v39, v29, v7
	v_min_u32_e32 v7, v29, v14
	s_delay_alu instid0(VALU_DEP_2) | instskip(NEXT) | instid1(VALU_DEP_1)
	v_sub_nc_u32_e32 v14, v39, v38
	v_sub_nc_u32_e64 v15, v7, v14 clamp
	v_min_u32_e32 v14, v7, v24
	s_delay_alu instid0(VALU_DEP_1)
	v_cmpx_lt_u32_e64 v15, v14
	s_cbranch_execz .LBB1143_164
; %bb.161:
	v_lshlrev_b32_e32 v24, 3, v6
	v_lshlrev_b32_e32 v25, 3, v38
	s_mov_b32 s7, 0
	s_delay_alu instid0(VALU_DEP_2) | instskip(NEXT) | instid1(VALU_DEP_2)
	v_add_co_u32 v24, null, v28, v24
	v_add_co_u32 v25, null, v28, v25
.LBB1143_162:                           ; =>This Inner Loop Header: Depth=1
	v_add_nc_u32_e32 v26, v14, v15
	s_delay_alu instid0(VALU_DEP_1) | instskip(NEXT) | instid1(VALU_DEP_1)
	v_lshrrev_b32_e32 v55, 1, v26
	v_xad_u32 v26, v55, -1, v7
	v_lshl_add_u32 v27, v55, 3, v24
	s_delay_alu instid0(VALU_DEP_2)
	v_lshl_add_u32 v50, v26, 3, v25
	ds_load_b64 v[26:27], v27
	ds_load_b64 v[50:51], v50
	s_wait_dscnt 0x1
	v_add_f64_e32 v[26:27], 0, v[26:27]
	s_wait_dscnt 0x0
	v_add_f64_e32 v[50:51], 0, v[50:51]
	s_delay_alu instid0(VALU_DEP_2) | instskip(NEXT) | instid1(VALU_DEP_2)
	v_ashrrev_i32_e32 v64, 31, v27
	v_ashrrev_i32_e32 v65, 31, v51
	s_delay_alu instid0(VALU_DEP_2) | instskip(NEXT) | instid1(VALU_DEP_2)
	v_or_b32_e32 v66, 0x80000000, v64
	v_or_b32_e32 v67, 0x80000000, v65
	v_xor_b32_e32 v26, v64, v26
	v_xor_b32_e32 v50, v65, v50
	s_delay_alu instid0(VALU_DEP_4) | instskip(NEXT) | instid1(VALU_DEP_4)
	v_xor_b32_e32 v27, v66, v27
	v_xor_b32_e32 v51, v67, v51
	s_delay_alu instid0(VALU_DEP_1) | instskip(SKIP_2) | instid1(VALU_DEP_2)
	v_cmp_gt_u64_e64 s3, v[50:51], v[26:27]
	v_add_nc_u32_e32 v26, 1, v55
	s_wait_alu 0xf1ff
	v_cndmask_b32_e64 v14, v14, v55, s3
	s_delay_alu instid0(VALU_DEP_2) | instskip(NEXT) | instid1(VALU_DEP_1)
	v_cndmask_b32_e64 v15, v26, v15, s3
	v_cmp_ge_u32_e64 s3, v15, v14
	s_wait_alu 0xfffe
	s_or_b32 s7, s3, s7
	s_wait_alu 0xfffe
	s_and_not1_b32 exec_lo, exec_lo, s7
	s_cbranch_execnz .LBB1143_162
; %bb.163:
	s_or_b32 exec_lo, exec_lo, s7
.LBB1143_164:
	s_wait_alu 0xfffe
	s_or_b32 exec_lo, exec_lo, s4
	v_add_nc_u32_e32 v7, v38, v7
	v_add_nc_u32_e32 v14, v15, v6
	s_delay_alu instid0(VALU_DEP_2) | instskip(NEXT) | instid1(VALU_DEP_2)
	v_sub_nc_u32_e32 v15, v7, v15
	v_cmp_le_u32_e64 s3, v14, v38
	s_delay_alu instid0(VALU_DEP_2)
	v_cmp_le_u32_e64 s4, v15, v39
	s_or_b32 s3, s3, s4
	s_wait_alu 0xfffe
	s_and_saveexec_b32 s7, s3
	s_cbranch_execz .LBB1143_184
; %bb.165:
	v_cmp_ge_u32_e64 s3, v14, v38
	s_mov_b32 s8, exec_lo
                                        ; implicit-def: $vgpr0_vgpr1
	v_cmpx_lt_u32_e64 v14, v38
; %bb.166:
	v_lshl_add_u32 v0, v14, 3, v28
	ds_load_b64 v[0:1], v0
; %bb.167:
	s_wait_alu 0xfffe
	s_or_b32 exec_lo, exec_lo, s8
	v_cmp_ge_u32_e64 s8, v15, v39
	s_mov_b32 s9, exec_lo
                                        ; implicit-def: $vgpr6_vgpr7
	v_cmpx_lt_u32_e64 v15, v39
; %bb.168:
	v_lshl_add_u32 v2, v15, 3, v28
	ds_load_b64 v[6:7], v2
; %bb.169:
	s_wait_alu 0xfffe
	s_or_b32 exec_lo, exec_lo, s9
	s_nor_b32 s3, s3, s8
	s_wait_alu 0xfffe
	s_and_saveexec_b32 s4, s3
	s_cbranch_execz .LBB1143_171
; %bb.170:
	s_wait_dscnt 0x0
	v_add_f64_e32 v[2:3], 0, v[6:7]
	v_add_f64_e32 v[8:9], 0, v[0:1]
	s_and_not1_b32 s8, s8, exec_lo
	s_delay_alu instid0(VALU_DEP_2) | instskip(NEXT) | instid1(VALU_DEP_2)
	v_ashrrev_i32_e32 v12, 31, v3
	v_ashrrev_i32_e32 v13, 31, v9
	s_delay_alu instid0(VALU_DEP_2) | instskip(NEXT) | instid1(VALU_DEP_2)
	v_or_b32_e32 v16, 0x80000000, v12
	v_or_b32_e32 v17, 0x80000000, v13
	v_xor_b32_e32 v2, v12, v2
	v_xor_b32_e32 v8, v13, v8
	s_delay_alu instid0(VALU_DEP_4) | instskip(NEXT) | instid1(VALU_DEP_4)
	v_xor_b32_e32 v3, v16, v3
	v_xor_b32_e32 v9, v17, v9
	s_delay_alu instid0(VALU_DEP_1)
	v_cmp_le_u64_e64 s3, v[2:3], v[8:9]
	s_and_b32 s3, s3, exec_lo
	s_wait_alu 0xfffe
	s_or_b32 s8, s8, s3
.LBB1143_171:
	s_wait_alu 0xfffe
	s_or_b32 exec_lo, exec_lo, s4
	v_cndmask_b32_e64 v2, v15, v14, s8
	v_cndmask_b32_e64 v3, v39, v38, s8
	s_mov_b32 s9, -1
	s_mov_b32 s4, -1
	s_mov_b32 s10, exec_lo
	v_add_nc_u32_e32 v13, 1, v2
	v_add_nc_u32_e32 v3, -1, v3
	v_lshl_add_u32 v2, v2, 3, v28
	s_delay_alu instid0(VALU_DEP_3) | instskip(NEXT) | instid1(VALU_DEP_3)
	v_cndmask_b32_e64 v12, v13, v15, s8
	v_min_u32_e32 v3, v13, v3
	ds_load_b64 v[16:17], v2 offset:8192
	v_cndmask_b32_e64 v13, v14, v13, s8
	v_lshl_add_u32 v3, v3, 3, v28
	ds_load_b64 v[8:9], v3
	s_wait_dscnt 0x0
	v_cndmask_b32_e64 v3, v9, v7, s8
	v_cndmask_b32_e64 v2, v8, v6, s8
	;; [unrolled: 1-line block ×4, first 2 shown]
	v_cmpx_lt_u32_e64 v12, v39
	s_cbranch_execz .LBB1143_175
; %bb.172:
	s_mov_b32 s11, 0
	s_mov_b32 s4, exec_lo
	v_cmpx_lt_u32_e64 v13, v38
	s_cbranch_execz .LBB1143_174
; %bb.173:
	v_add_f64_e32 v[14:15], 0, v[2:3]
	v_add_f64_e32 v[18:19], 0, v[8:9]
	s_delay_alu instid0(VALU_DEP_2) | instskip(NEXT) | instid1(VALU_DEP_2)
	v_ashrrev_i32_e32 v20, 31, v15
	v_ashrrev_i32_e32 v21, 31, v19
	s_delay_alu instid0(VALU_DEP_2) | instskip(NEXT) | instid1(VALU_DEP_2)
	v_or_b32_e32 v22, 0x80000000, v20
	v_or_b32_e32 v23, 0x80000000, v21
	v_xor_b32_e32 v14, v20, v14
	v_xor_b32_e32 v18, v21, v18
	s_delay_alu instid0(VALU_DEP_4) | instskip(NEXT) | instid1(VALU_DEP_4)
	v_xor_b32_e32 v15, v22, v15
	v_xor_b32_e32 v19, v23, v19
	s_delay_alu instid0(VALU_DEP_1)
	v_cmp_le_u64_e64 s3, v[14:15], v[18:19]
	s_and_b32 s11, s3, exec_lo
.LBB1143_174:
	s_wait_alu 0xfffe
	s_or_b32 exec_lo, exec_lo, s4
	s_delay_alu instid0(SALU_CYCLE_1)
	s_or_not1_b32 s4, s11, exec_lo
.LBB1143_175:
	s_wait_alu 0xfffe
	s_or_b32 exec_lo, exec_lo, s10
	v_cndmask_b32_e64 v18, v12, v13, s4
	v_cndmask_b32_e64 v14, v39, v38, s4
	s_mov_b32 s10, exec_lo
	s_delay_alu instid0(VALU_DEP_2) | instskip(NEXT) | instid1(VALU_DEP_2)
	v_add_nc_u32_e32 v20, 1, v18
	v_add_nc_u32_e32 v14, -1, v14
	v_lshl_add_u32 v18, v18, 3, v28
	s_delay_alu instid0(VALU_DEP_3) | instskip(NEXT) | instid1(VALU_DEP_3)
	v_cndmask_b32_e64 v22, v20, v12, s4
	v_min_u32_e32 v14, v20, v14
	ds_load_b64 v[18:19], v18 offset:8192
	v_cndmask_b32_e64 v23, v13, v20, s4
	v_lshl_add_u32 v14, v14, 3, v28
	ds_load_b64 v[14:15], v14
	s_wait_dscnt 0x0
	v_cndmask_b32_e64 v13, v15, v3, s4
	v_cndmask_b32_e64 v12, v14, v2, s4
	;; [unrolled: 1-line block ×4, first 2 shown]
	v_cmpx_lt_u32_e64 v22, v39
	s_cbranch_execz .LBB1143_179
; %bb.176:
	s_mov_b32 s11, 0
	s_mov_b32 s9, exec_lo
	v_cmpx_lt_u32_e64 v23, v38
	s_cbranch_execz .LBB1143_178
; %bb.177:
	v_add_f64_e32 v[20:21], 0, v[12:13]
	v_add_f64_e32 v[24:25], 0, v[14:15]
	s_delay_alu instid0(VALU_DEP_2) | instskip(NEXT) | instid1(VALU_DEP_2)
	v_ashrrev_i32_e32 v26, 31, v21
	v_ashrrev_i32_e32 v27, 31, v25
	s_delay_alu instid0(VALU_DEP_2) | instskip(NEXT) | instid1(VALU_DEP_2)
	v_or_b32_e32 v50, 0x80000000, v26
	v_or_b32_e32 v51, 0x80000000, v27
	v_xor_b32_e32 v20, v26, v20
	v_xor_b32_e32 v24, v27, v24
	s_delay_alu instid0(VALU_DEP_4) | instskip(NEXT) | instid1(VALU_DEP_4)
	v_xor_b32_e32 v21, v50, v21
	v_xor_b32_e32 v25, v51, v25
	s_delay_alu instid0(VALU_DEP_1)
	v_cmp_le_u64_e64 s3, v[20:21], v[24:25]
	s_and_b32 s11, s3, exec_lo
.LBB1143_178:
	s_wait_alu 0xfffe
	s_or_b32 exec_lo, exec_lo, s9
	s_delay_alu instid0(SALU_CYCLE_1)
	s_or_not1_b32 s9, s11, exec_lo
.LBB1143_179:
	s_wait_alu 0xfffe
	s_or_b32 exec_lo, exec_lo, s10
	v_cndmask_b32_e64 v20, v22, v23, s9
	v_cndmask_b32_e64 v21, v39, v38, s9
	s_mov_b32 s11, -1
	s_mov_b32 s10, exec_lo
	s_delay_alu instid0(VALU_DEP_2) | instskip(NEXT) | instid1(VALU_DEP_2)
	v_add_nc_u32_e32 v24, 1, v20
	v_add_nc_u32_e32 v21, -1, v21
	v_lshl_add_u32 v20, v20, 3, v28
	s_delay_alu instid0(VALU_DEP_3) | instskip(NEXT) | instid1(VALU_DEP_3)
	v_cndmask_b32_e64 v22, v24, v22, s9
	v_min_u32_e32 v21, v24, v21
	v_cndmask_b32_e64 v23, v23, v24, s9
	s_delay_alu instid0(VALU_DEP_2)
	v_lshl_add_u32 v21, v21, 3, v28
	ds_load_b64 v[26:27], v21
	ds_load_b64 v[20:21], v20 offset:8192
	s_wait_dscnt 0x1
	v_cndmask_b32_e64 v25, v27, v13, s9
	v_cndmask_b32_e64 v24, v26, v12, s9
	;; [unrolled: 1-line block ×4, first 2 shown]
	v_cmpx_lt_u32_e64 v22, v39
	s_cbranch_execz .LBB1143_183
; %bb.180:
	s_mov_b32 s12, 0
	s_mov_b32 s11, exec_lo
	v_cmpx_lt_u32_e64 v23, v38
	s_cbranch_execz .LBB1143_182
; %bb.181:
	v_add_f64_e32 v[38:39], 0, v[24:25]
	v_add_f64_e32 v[50:51], 0, v[26:27]
	s_delay_alu instid0(VALU_DEP_2) | instskip(NEXT) | instid1(VALU_DEP_2)
	v_ashrrev_i32_e32 v55, 31, v39
	v_ashrrev_i32_e32 v64, 31, v51
	s_delay_alu instid0(VALU_DEP_2) | instskip(NEXT) | instid1(VALU_DEP_2)
	v_or_b32_e32 v65, 0x80000000, v55
	v_or_b32_e32 v66, 0x80000000, v64
	v_xor_b32_e32 v38, v55, v38
	v_xor_b32_e32 v50, v64, v50
	s_delay_alu instid0(VALU_DEP_4) | instskip(NEXT) | instid1(VALU_DEP_4)
	v_xor_b32_e32 v39, v65, v39
	v_xor_b32_e32 v51, v66, v51
	s_delay_alu instid0(VALU_DEP_1)
	v_cmp_le_u64_e64 s3, v[38:39], v[50:51]
	s_and_b32 s12, s3, exec_lo
.LBB1143_182:
	s_wait_alu 0xfffe
	s_or_b32 exec_lo, exec_lo, s11
	s_delay_alu instid0(SALU_CYCLE_1)
	s_or_not1_b32 s11, s12, exec_lo
.LBB1143_183:
	s_wait_alu 0xfffe
	s_or_b32 exec_lo, exec_lo, s10
	v_cndmask_b32_e64 v22, v22, v23, s11
	v_cndmask_b32_e64 v13, v13, v15, s9
	;; [unrolled: 1-line block ×5, first 2 shown]
	v_lshl_add_u32 v22, v22, 3, v28
	v_cndmask_b32_e64 v9, v7, v1, s8
	v_cndmask_b32_e64 v8, v6, v0, s8
	;; [unrolled: 1-line block ×4, first 2 shown]
	ds_load_b64 v[22:23], v22 offset:8192
.LBB1143_184:
	s_wait_alu 0xfffe
	s_or_b32 exec_lo, exec_lo, s7
	v_and_b32_e32 v6, 0x60, v54
	s_mov_b32 s4, exec_lo
	; wave barrier
	ds_store_b64 v30, v[8:9]
	ds_store_b64 v35, v[16:17]
	v_or_b32_e32 v7, 16, v6
	ds_store_b64 v31, v[2:3]
	ds_store_b64 v32, v[18:19]
	ds_store_b64 v33, v[12:13]
	s_wait_dscnt 0x6
	ds_store_b64 v36, v[20:21]
	ds_store_b64 v34, v[0:1]
	s_wait_dscnt 0x7
	ds_store_b64 v37, v[22:23]
	; wave barrier
	v_min_u32_e32 v38, v29, v7
	s_delay_alu instid0(VALU_DEP_1) | instskip(SKIP_1) | instid1(VALU_DEP_2)
	v_add_nc_u32_e32 v7, 16, v38
	v_sub_nc_u32_e32 v24, v38, v6
	v_min_u32_e32 v39, v29, v7
	v_min_u32_e32 v7, v29, v53
	s_delay_alu instid0(VALU_DEP_2) | instskip(NEXT) | instid1(VALU_DEP_1)
	v_sub_nc_u32_e32 v14, v39, v38
	v_sub_nc_u32_e64 v15, v7, v14 clamp
	v_min_u32_e32 v14, v7, v24
	s_delay_alu instid0(VALU_DEP_1)
	v_cmpx_lt_u32_e64 v15, v14
	s_cbranch_execz .LBB1143_188
; %bb.185:
	v_lshlrev_b32_e32 v24, 3, v6
	v_lshlrev_b32_e32 v25, 3, v38
	s_mov_b32 s7, 0
	s_delay_alu instid0(VALU_DEP_2) | instskip(NEXT) | instid1(VALU_DEP_2)
	v_add_co_u32 v24, null, v28, v24
	v_add_co_u32 v25, null, v28, v25
.LBB1143_186:                           ; =>This Inner Loop Header: Depth=1
	v_add_nc_u32_e32 v26, v14, v15
	s_delay_alu instid0(VALU_DEP_1) | instskip(NEXT) | instid1(VALU_DEP_1)
	v_lshrrev_b32_e32 v31, 1, v26
	v_xad_u32 v26, v31, -1, v7
	v_lshl_add_u32 v27, v31, 3, v24
	s_delay_alu instid0(VALU_DEP_2)
	v_lshl_add_u32 v29, v26, 3, v25
	ds_load_b64 v[26:27], v27
	ds_load_b64 v[29:30], v29
	s_wait_dscnt 0x1
	v_add_f64_e32 v[26:27], 0, v[26:27]
	s_wait_dscnt 0x0
	v_add_f64_e32 v[29:30], 0, v[29:30]
	s_delay_alu instid0(VALU_DEP_2) | instskip(NEXT) | instid1(VALU_DEP_2)
	v_ashrrev_i32_e32 v32, 31, v27
	v_ashrrev_i32_e32 v33, 31, v30
	s_delay_alu instid0(VALU_DEP_2) | instskip(NEXT) | instid1(VALU_DEP_2)
	v_or_b32_e32 v34, 0x80000000, v32
	v_or_b32_e32 v35, 0x80000000, v33
	v_xor_b32_e32 v26, v32, v26
	v_xor_b32_e32 v29, v33, v29
	s_delay_alu instid0(VALU_DEP_4) | instskip(NEXT) | instid1(VALU_DEP_4)
	v_xor_b32_e32 v27, v34, v27
	v_xor_b32_e32 v30, v35, v30
	s_delay_alu instid0(VALU_DEP_1) | instskip(SKIP_2) | instid1(VALU_DEP_2)
	v_cmp_gt_u64_e64 s3, v[29:30], v[26:27]
	v_add_nc_u32_e32 v26, 1, v31
	s_wait_alu 0xf1ff
	v_cndmask_b32_e64 v14, v14, v31, s3
	s_delay_alu instid0(VALU_DEP_2) | instskip(NEXT) | instid1(VALU_DEP_1)
	v_cndmask_b32_e64 v15, v26, v15, s3
	v_cmp_ge_u32_e64 s3, v15, v14
	s_wait_alu 0xfffe
	s_or_b32 s7, s3, s7
	s_wait_alu 0xfffe
	s_and_not1_b32 exec_lo, exec_lo, s7
	s_cbranch_execnz .LBB1143_186
; %bb.187:
	s_or_b32 exec_lo, exec_lo, s7
.LBB1143_188:
	s_wait_alu 0xfffe
	s_or_b32 exec_lo, exec_lo, s4
	v_add_nc_u32_e32 v7, v38, v7
	v_add_nc_u32_e32 v14, v15, v6
	s_delay_alu instid0(VALU_DEP_2) | instskip(NEXT) | instid1(VALU_DEP_2)
	v_sub_nc_u32_e32 v15, v7, v15
	v_cmp_le_u32_e64 s3, v14, v38
	s_delay_alu instid0(VALU_DEP_2)
	v_cmp_le_u32_e64 s4, v15, v39
	s_or_b32 s3, s3, s4
	s_wait_alu 0xfffe
	s_and_saveexec_b32 s7, s3
	s_cbranch_execz .LBB1143_208
; %bb.189:
	v_cmp_ge_u32_e64 s3, v14, v38
	s_mov_b32 s8, exec_lo
                                        ; implicit-def: $vgpr0_vgpr1
	v_cmpx_lt_u32_e64 v14, v38
; %bb.190:
	v_lshl_add_u32 v0, v14, 3, v28
	ds_load_b64 v[0:1], v0
; %bb.191:
	s_wait_alu 0xfffe
	s_or_b32 exec_lo, exec_lo, s8
	v_cmp_ge_u32_e64 s8, v15, v39
	s_mov_b32 s9, exec_lo
                                        ; implicit-def: $vgpr6_vgpr7
	v_cmpx_lt_u32_e64 v15, v39
; %bb.192:
	v_lshl_add_u32 v2, v15, 3, v28
	ds_load_b64 v[6:7], v2
; %bb.193:
	s_wait_alu 0xfffe
	s_or_b32 exec_lo, exec_lo, s9
	s_nor_b32 s3, s3, s8
	s_wait_alu 0xfffe
	s_and_saveexec_b32 s4, s3
	s_cbranch_execz .LBB1143_195
; %bb.194:
	s_wait_dscnt 0x0
	v_add_f64_e32 v[2:3], 0, v[6:7]
	v_add_f64_e32 v[8:9], 0, v[0:1]
	s_and_not1_b32 s8, s8, exec_lo
	s_delay_alu instid0(VALU_DEP_2) | instskip(NEXT) | instid1(VALU_DEP_2)
	v_ashrrev_i32_e32 v12, 31, v3
	v_ashrrev_i32_e32 v13, 31, v9
	s_delay_alu instid0(VALU_DEP_2) | instskip(NEXT) | instid1(VALU_DEP_2)
	v_or_b32_e32 v16, 0x80000000, v12
	v_or_b32_e32 v17, 0x80000000, v13
	v_xor_b32_e32 v2, v12, v2
	v_xor_b32_e32 v8, v13, v8
	s_delay_alu instid0(VALU_DEP_4) | instskip(NEXT) | instid1(VALU_DEP_4)
	v_xor_b32_e32 v3, v16, v3
	v_xor_b32_e32 v9, v17, v9
	s_delay_alu instid0(VALU_DEP_1)
	v_cmp_le_u64_e64 s3, v[2:3], v[8:9]
	s_and_b32 s3, s3, exec_lo
	s_wait_alu 0xfffe
	s_or_b32 s8, s8, s3
.LBB1143_195:
	s_wait_alu 0xfffe
	s_or_b32 exec_lo, exec_lo, s4
	v_cndmask_b32_e64 v2, v15, v14, s8
	v_cndmask_b32_e64 v3, v39, v38, s8
	s_mov_b32 s9, -1
	s_mov_b32 s4, -1
	s_mov_b32 s10, exec_lo
	v_add_nc_u32_e32 v13, 1, v2
	v_add_nc_u32_e32 v3, -1, v3
	v_lshl_add_u32 v2, v2, 3, v28
	s_delay_alu instid0(VALU_DEP_3) | instskip(NEXT) | instid1(VALU_DEP_3)
	v_cndmask_b32_e64 v12, v13, v15, s8
	v_min_u32_e32 v3, v13, v3
	ds_load_b64 v[16:17], v2 offset:8192
	v_cndmask_b32_e64 v13, v14, v13, s8
	v_lshl_add_u32 v3, v3, 3, v28
	ds_load_b64 v[8:9], v3
	s_wait_dscnt 0x0
	v_cndmask_b32_e64 v3, v9, v7, s8
	v_cndmask_b32_e64 v2, v8, v6, s8
	;; [unrolled: 1-line block ×4, first 2 shown]
	v_cmpx_lt_u32_e64 v12, v39
	s_cbranch_execz .LBB1143_199
; %bb.196:
	s_mov_b32 s11, 0
	s_mov_b32 s4, exec_lo
	v_cmpx_lt_u32_e64 v13, v38
	s_cbranch_execz .LBB1143_198
; %bb.197:
	v_add_f64_e32 v[14:15], 0, v[2:3]
	v_add_f64_e32 v[18:19], 0, v[8:9]
	s_delay_alu instid0(VALU_DEP_2) | instskip(NEXT) | instid1(VALU_DEP_2)
	v_ashrrev_i32_e32 v20, 31, v15
	v_ashrrev_i32_e32 v21, 31, v19
	s_delay_alu instid0(VALU_DEP_2) | instskip(NEXT) | instid1(VALU_DEP_2)
	v_or_b32_e32 v22, 0x80000000, v20
	v_or_b32_e32 v23, 0x80000000, v21
	v_xor_b32_e32 v14, v20, v14
	v_xor_b32_e32 v18, v21, v18
	s_delay_alu instid0(VALU_DEP_4) | instskip(NEXT) | instid1(VALU_DEP_4)
	v_xor_b32_e32 v15, v22, v15
	v_xor_b32_e32 v19, v23, v19
	s_delay_alu instid0(VALU_DEP_1)
	v_cmp_le_u64_e64 s3, v[14:15], v[18:19]
	s_and_b32 s11, s3, exec_lo
.LBB1143_198:
	s_wait_alu 0xfffe
	s_or_b32 exec_lo, exec_lo, s4
	s_delay_alu instid0(SALU_CYCLE_1)
	s_or_not1_b32 s4, s11, exec_lo
.LBB1143_199:
	s_wait_alu 0xfffe
	s_or_b32 exec_lo, exec_lo, s10
	v_cndmask_b32_e64 v18, v12, v13, s4
	v_cndmask_b32_e64 v14, v39, v38, s4
	s_mov_b32 s10, exec_lo
	s_delay_alu instid0(VALU_DEP_2) | instskip(NEXT) | instid1(VALU_DEP_2)
	v_add_nc_u32_e32 v20, 1, v18
	v_add_nc_u32_e32 v14, -1, v14
	v_lshl_add_u32 v18, v18, 3, v28
	s_delay_alu instid0(VALU_DEP_3) | instskip(NEXT) | instid1(VALU_DEP_3)
	v_cndmask_b32_e64 v22, v20, v12, s4
	v_min_u32_e32 v14, v20, v14
	ds_load_b64 v[18:19], v18 offset:8192
	v_cndmask_b32_e64 v23, v13, v20, s4
	v_lshl_add_u32 v14, v14, 3, v28
	ds_load_b64 v[14:15], v14
	s_wait_dscnt 0x0
	v_cndmask_b32_e64 v13, v15, v3, s4
	v_cndmask_b32_e64 v12, v14, v2, s4
	;; [unrolled: 1-line block ×4, first 2 shown]
	v_cmpx_lt_u32_e64 v22, v39
	s_cbranch_execz .LBB1143_203
; %bb.200:
	s_mov_b32 s11, 0
	s_mov_b32 s9, exec_lo
	v_cmpx_lt_u32_e64 v23, v38
	s_cbranch_execz .LBB1143_202
; %bb.201:
	v_add_f64_e32 v[20:21], 0, v[12:13]
	v_add_f64_e32 v[24:25], 0, v[14:15]
	s_delay_alu instid0(VALU_DEP_2) | instskip(NEXT) | instid1(VALU_DEP_2)
	v_ashrrev_i32_e32 v26, 31, v21
	v_ashrrev_i32_e32 v27, 31, v25
	s_delay_alu instid0(VALU_DEP_2) | instskip(NEXT) | instid1(VALU_DEP_2)
	v_or_b32_e32 v29, 0x80000000, v26
	v_or_b32_e32 v30, 0x80000000, v27
	v_xor_b32_e32 v20, v26, v20
	v_xor_b32_e32 v24, v27, v24
	s_delay_alu instid0(VALU_DEP_4) | instskip(NEXT) | instid1(VALU_DEP_4)
	v_xor_b32_e32 v21, v29, v21
	v_xor_b32_e32 v25, v30, v25
	s_delay_alu instid0(VALU_DEP_1)
	v_cmp_le_u64_e64 s3, v[20:21], v[24:25]
	s_and_b32 s11, s3, exec_lo
.LBB1143_202:
	s_wait_alu 0xfffe
	s_or_b32 exec_lo, exec_lo, s9
	s_delay_alu instid0(SALU_CYCLE_1)
	s_or_not1_b32 s9, s11, exec_lo
.LBB1143_203:
	s_wait_alu 0xfffe
	s_or_b32 exec_lo, exec_lo, s10
	v_cndmask_b32_e64 v20, v22, v23, s9
	v_cndmask_b32_e64 v21, v39, v38, s9
	s_mov_b32 s11, -1
	s_mov_b32 s10, exec_lo
	s_delay_alu instid0(VALU_DEP_2) | instskip(NEXT) | instid1(VALU_DEP_2)
	v_add_nc_u32_e32 v24, 1, v20
	v_add_nc_u32_e32 v21, -1, v21
	v_lshl_add_u32 v20, v20, 3, v28
	s_delay_alu instid0(VALU_DEP_3) | instskip(NEXT) | instid1(VALU_DEP_3)
	v_cndmask_b32_e64 v22, v24, v22, s9
	v_min_u32_e32 v21, v24, v21
	v_cndmask_b32_e64 v23, v23, v24, s9
	s_delay_alu instid0(VALU_DEP_2)
	v_lshl_add_u32 v21, v21, 3, v28
	ds_load_b64 v[26:27], v21
	ds_load_b64 v[20:21], v20 offset:8192
	s_wait_dscnt 0x1
	v_cndmask_b32_e64 v25, v27, v13, s9
	v_cndmask_b32_e64 v24, v26, v12, s9
	;; [unrolled: 1-line block ×4, first 2 shown]
	v_cmpx_lt_u32_e64 v22, v39
	s_cbranch_execz .LBB1143_207
; %bb.204:
	s_mov_b32 s12, 0
	s_mov_b32 s11, exec_lo
	v_cmpx_lt_u32_e64 v23, v38
	s_cbranch_execz .LBB1143_206
; %bb.205:
	v_add_f64_e32 v[29:30], 0, v[24:25]
	v_add_f64_e32 v[31:32], 0, v[26:27]
	s_delay_alu instid0(VALU_DEP_2) | instskip(NEXT) | instid1(VALU_DEP_2)
	v_ashrrev_i32_e32 v33, 31, v30
	v_ashrrev_i32_e32 v34, 31, v32
	s_delay_alu instid0(VALU_DEP_2) | instskip(NEXT) | instid1(VALU_DEP_2)
	v_or_b32_e32 v35, 0x80000000, v33
	v_or_b32_e32 v36, 0x80000000, v34
	v_xor_b32_e32 v29, v33, v29
	v_xor_b32_e32 v31, v34, v31
	s_delay_alu instid0(VALU_DEP_4) | instskip(NEXT) | instid1(VALU_DEP_4)
	v_xor_b32_e32 v30, v35, v30
	v_xor_b32_e32 v32, v36, v32
	s_delay_alu instid0(VALU_DEP_1)
	v_cmp_le_u64_e64 s3, v[29:30], v[31:32]
	s_and_b32 s12, s3, exec_lo
.LBB1143_206:
	s_wait_alu 0xfffe
	s_or_b32 exec_lo, exec_lo, s11
	s_delay_alu instid0(SALU_CYCLE_1)
	s_or_not1_b32 s11, s12, exec_lo
.LBB1143_207:
	s_wait_alu 0xfffe
	s_or_b32 exec_lo, exec_lo, s10
	v_cndmask_b32_e64 v22, v22, v23, s11
	v_cndmask_b32_e64 v13, v13, v15, s9
	;; [unrolled: 1-line block ×5, first 2 shown]
	v_lshl_add_u32 v22, v22, 3, v28
	v_cndmask_b32_e64 v9, v7, v1, s8
	v_cndmask_b32_e64 v8, v6, v0, s8
	v_cndmask_b32_e64 v1, v25, v27, s11
	v_cndmask_b32_e64 v0, v24, v26, s11
	ds_load_b64 v[22:23], v22 offset:8192
.LBB1143_208:
	s_wait_alu 0xfffe
	s_or_b32 exec_lo, exec_lo, s7
	v_add_co_u32 v4, s3, v4, v48
	s_wait_alu 0xf1ff
	v_add_co_ci_u32_e64 v5, null, v5, v49, s3
	s_delay_alu instid0(VALU_DEP_2) | instskip(SKIP_1) | instid1(VALU_DEP_2)
	v_add_co_u32 v4, s3, v4, v52
	s_wait_alu 0xf1ff
	v_add_co_ci_u32_e64 v5, null, 0, v5, s3
	; wave barrier
	s_wait_storecnt_dscnt 0x0
	s_barrier_signal -1
	s_barrier_wait -1
	global_inv scope:SCOPE_SE
	; wave barrier
	s_and_saveexec_b32 s3, vcc_lo
	s_cbranch_execnz .LBB1143_230
; %bb.209:
	s_wait_alu 0xfffe
	s_or_b32 exec_lo, exec_lo, s3
	s_and_saveexec_b32 s3, s0
	s_cbranch_execnz .LBB1143_231
.LBB1143_210:
	s_wait_alu 0xfffe
	s_or_b32 exec_lo, exec_lo, s3
	s_and_saveexec_b32 s3, s2
	s_cbranch_execnz .LBB1143_232
.LBB1143_211:
	s_wait_alu 0xfffe
	s_or_b32 exec_lo, exec_lo, s3
	s_and_saveexec_b32 s3, s1
	s_cbranch_execz .LBB1143_213
.LBB1143_212:
	flat_store_b64 v[4:5], v[0:1] offset:24
.LBB1143_213:
	s_wait_alu 0xfffe
	s_or_b32 exec_lo, exec_lo, s3
	v_add_co_u32 v0, s3, v10, v48
	s_wait_alu 0xf1ff
	v_add_co_ci_u32_e64 v1, null, v11, v49, s3
	s_delay_alu instid0(VALU_DEP_2) | instskip(SKIP_1) | instid1(VALU_DEP_2)
	v_add_co_u32 v0, s3, v0, v52
	s_wait_alu 0xf1ff
	v_add_co_ci_u32_e64 v1, null, 0, v1, s3
	; wave barrier
	s_and_saveexec_b32 s3, vcc_lo
	s_cbranch_execnz .LBB1143_233
; %bb.214:
	s_wait_alu 0xfffe
	s_or_b32 exec_lo, exec_lo, s3
	s_and_saveexec_b32 s3, s0
	s_cbranch_execnz .LBB1143_234
.LBB1143_215:
	s_wait_alu 0xfffe
	s_or_b32 exec_lo, exec_lo, s3
	s_and_saveexec_b32 s0, s2
	s_cbranch_execz .LBB1143_217
.LBB1143_216:
	flat_store_b64 v[0:1], v[20:21] offset:16
.LBB1143_217:
	s_wait_alu 0xfffe
	s_or_b32 exec_lo, exec_lo, s0
	v_dual_mov_b32 v8, v10 :: v_dual_mov_b32 v9, v11
	s_and_not1_b32 s0, s5, exec_lo
	s_and_b32 s1, s1, exec_lo
	s_wait_alu 0xfffe
	s_or_b32 s5, s0, s1
	s_or_b32 exec_lo, exec_lo, s6
	s_wait_alu 0xfffe
	s_and_saveexec_b32 s0, s5
	s_cbranch_execz .LBB1143_3
.LBB1143_218:
	v_add_co_u32 v0, vcc_lo, v8, v48
	s_wait_alu 0xfffd
	v_add_co_ci_u32_e64 v1, null, v9, v49, vcc_lo
	s_delay_alu instid0(VALU_DEP_2) | instskip(SKIP_1) | instid1(VALU_DEP_2)
	v_add_co_u32 v0, vcc_lo, v0, v52
	s_wait_alu 0xfffd
	v_add_co_ci_u32_e64 v1, null, 0, v1, vcc_lo
	flat_store_b64 v[0:1], v[22:23] offset:24
	s_wait_alu 0xfffe
	s_or_b32 exec_lo, exec_lo, s0
	s_wait_loadcnt_dscnt 0x0
	s_setpc_b64 s[30:31]
.LBB1143_219:
	flat_load_b64 v[17:18], v[6:7]
	v_dual_mov_b32 v23, v16 :: v_dual_mov_b32 v24, v16
	v_dual_mov_b32 v19, v16 :: v_dual_mov_b32 v20, v16
	;; [unrolled: 1-line block ×3, first 2 shown]
	s_wait_loadcnt_dscnt 0x0
	v_mov_b32_e32 v16, v17
	v_mov_b32_e32 v17, v18
	;; [unrolled: 1-line block ×8, first 2 shown]
	s_wait_alu 0xfffe
	s_or_b32 exec_lo, exec_lo, s3
	s_and_saveexec_b32 s3, s0
	s_cbranch_execz .LBB1143_14
.LBB1143_220:
	flat_load_b64 v[18:19], v[6:7] offset:8
	s_wait_alu 0xfffe
	s_or_b32 exec_lo, exec_lo, s3
	s_and_saveexec_b32 s3, s1
	s_cbranch_execz .LBB1143_15
.LBB1143_221:
	flat_load_b64 v[20:21], v[6:7] offset:16
	s_wait_alu 0xfffe
	s_or_b32 exec_lo, exec_lo, s3
	s_and_saveexec_b32 s3, s2
	s_cbranch_execnz .LBB1143_16
	s_branch .LBB1143_17
.LBB1143_222:
	flat_store_b64 v[2:3], v[10:11]
	s_wait_alu 0xfffe
	s_or_b32 exec_lo, exec_lo, s3
	s_and_saveexec_b32 s3, s0
	s_cbranch_execz .LBB1143_103
.LBB1143_223:
	flat_store_b64 v[2:3], v[4:5] offset:8
	s_wait_alu 0xfffe
	s_or_b32 exec_lo, exec_lo, s3
	s_and_saveexec_b32 s3, s1
	s_cbranch_execz .LBB1143_104
.LBB1143_224:
	flat_store_b64 v[2:3], v[12:13] offset:16
	s_wait_alu 0xfffe
	s_or_b32 exec_lo, exec_lo, s3
	s_and_saveexec_b32 s3, s2
	s_cbranch_execnz .LBB1143_105
	s_branch .LBB1143_106
.LBB1143_225:
	flat_store_b64 v[0:1], v[16:17]
	s_wait_alu 0xfffe
	s_or_b32 exec_lo, exec_lo, s3
	s_and_saveexec_b32 s3, s0
	s_cbranch_execz .LBB1143_108
.LBB1143_226:
	flat_store_b64 v[0:1], v[18:19] offset:8
	s_wait_alu 0xfffe
	s_or_b32 exec_lo, exec_lo, s3
	s_and_saveexec_b32 s0, s1
	s_cbranch_execnz .LBB1143_109
	s_branch .LBB1143_110
.LBB1143_227:
	flat_load_b64 v[17:18], v[6:7]
	v_dual_mov_b32 v23, v16 :: v_dual_mov_b32 v24, v16
	v_dual_mov_b32 v19, v16 :: v_dual_mov_b32 v20, v16
	v_dual_mov_b32 v21, v16 :: v_dual_mov_b32 v22, v16
	s_wait_loadcnt_dscnt 0x0
	v_mov_b32_e32 v16, v17
	v_mov_b32_e32 v17, v18
	;; [unrolled: 1-line block ×8, first 2 shown]
	s_wait_alu 0xfffe
	s_or_b32 exec_lo, exec_lo, s3
	s_and_saveexec_b32 s3, s0
	s_cbranch_execz .LBB1143_121
.LBB1143_228:
	flat_load_b64 v[18:19], v[6:7] offset:8
	s_wait_alu 0xfffe
	s_or_b32 exec_lo, exec_lo, s3
	s_and_saveexec_b32 s3, s2
	s_cbranch_execz .LBB1143_122
.LBB1143_229:
	flat_load_b64 v[20:21], v[6:7] offset:16
	s_wait_alu 0xfffe
	s_or_b32 exec_lo, exec_lo, s3
	s_and_saveexec_b32 s3, s1
	s_cbranch_execnz .LBB1143_123
	s_branch .LBB1143_124
.LBB1143_230:
	flat_store_b64 v[4:5], v[8:9]
	s_wait_alu 0xfffe
	s_or_b32 exec_lo, exec_lo, s3
	s_and_saveexec_b32 s3, s0
	s_cbranch_execz .LBB1143_210
.LBB1143_231:
	flat_store_b64 v[4:5], v[2:3] offset:8
	s_wait_alu 0xfffe
	s_or_b32 exec_lo, exec_lo, s3
	s_and_saveexec_b32 s3, s2
	s_cbranch_execz .LBB1143_211
.LBB1143_232:
	flat_store_b64 v[4:5], v[12:13] offset:16
	s_wait_alu 0xfffe
	s_or_b32 exec_lo, exec_lo, s3
	s_and_saveexec_b32 s3, s1
	s_cbranch_execnz .LBB1143_212
	s_branch .LBB1143_213
.LBB1143_233:
	flat_store_b64 v[0:1], v[16:17]
	s_wait_alu 0xfffe
	s_or_b32 exec_lo, exec_lo, s3
	s_and_saveexec_b32 s3, s0
	s_cbranch_execz .LBB1143_215
.LBB1143_234:
	flat_store_b64 v[0:1], v[18:19] offset:8
	s_wait_alu 0xfffe
	s_or_b32 exec_lo, exec_lo, s3
	s_and_saveexec_b32 s0, s2
	s_cbranch_execnz .LBB1143_216
	s_branch .LBB1143_217
.Lfunc_end1143:
	.size	_ZN7rocprim17ROCPRIM_400000_NS6detail26segmented_warp_sort_helperINS1_20WarpSortHelperConfigILj8ELj4ELj256EEEdlLi256ELb1EvE4sortIPKdPdPKlPlEEvT_S9_T0_T1_SC_T2_bjjjjRNS5_12storage_typeE, .Lfunc_end1143-_ZN7rocprim17ROCPRIM_400000_NS6detail26segmented_warp_sort_helperINS1_20WarpSortHelperConfigILj8ELj4ELj256EEEdlLi256ELb1EvE4sortIPKdPdPKlPlEEvT_S9_T0_T1_SC_T2_bjjjjRNS5_12storage_typeE
                                        ; -- End function
	.set .L_ZN7rocprim17ROCPRIM_400000_NS6detail26segmented_warp_sort_helperINS1_20WarpSortHelperConfigILj8ELj4ELj256EEEdlLi256ELb1EvE4sortIPKdPdPKlPlEEvT_S9_T0_T1_SC_T2_bjjjjRNS5_12storage_typeE.num_vgpr, 68
	.set .L_ZN7rocprim17ROCPRIM_400000_NS6detail26segmented_warp_sort_helperINS1_20WarpSortHelperConfigILj8ELj4ELj256EEEdlLi256ELb1EvE4sortIPKdPdPKlPlEEvT_S9_T0_T1_SC_T2_bjjjjRNS5_12storage_typeE.num_agpr, 0
	.set .L_ZN7rocprim17ROCPRIM_400000_NS6detail26segmented_warp_sort_helperINS1_20WarpSortHelperConfigILj8ELj4ELj256EEEdlLi256ELb1EvE4sortIPKdPdPKlPlEEvT_S9_T0_T1_SC_T2_bjjjjRNS5_12storage_typeE.numbered_sgpr, 32
	.set .L_ZN7rocprim17ROCPRIM_400000_NS6detail26segmented_warp_sort_helperINS1_20WarpSortHelperConfigILj8ELj4ELj256EEEdlLi256ELb1EvE4sortIPKdPdPKlPlEEvT_S9_T0_T1_SC_T2_bjjjjRNS5_12storage_typeE.num_named_barrier, 0
	.set .L_ZN7rocprim17ROCPRIM_400000_NS6detail26segmented_warp_sort_helperINS1_20WarpSortHelperConfigILj8ELj4ELj256EEEdlLi256ELb1EvE4sortIPKdPdPKlPlEEvT_S9_T0_T1_SC_T2_bjjjjRNS5_12storage_typeE.private_seg_size, 0
	.set .L_ZN7rocprim17ROCPRIM_400000_NS6detail26segmented_warp_sort_helperINS1_20WarpSortHelperConfigILj8ELj4ELj256EEEdlLi256ELb1EvE4sortIPKdPdPKlPlEEvT_S9_T0_T1_SC_T2_bjjjjRNS5_12storage_typeE.uses_vcc, 1
	.set .L_ZN7rocprim17ROCPRIM_400000_NS6detail26segmented_warp_sort_helperINS1_20WarpSortHelperConfigILj8ELj4ELj256EEEdlLi256ELb1EvE4sortIPKdPdPKlPlEEvT_S9_T0_T1_SC_T2_bjjjjRNS5_12storage_typeE.uses_flat_scratch, 0
	.set .L_ZN7rocprim17ROCPRIM_400000_NS6detail26segmented_warp_sort_helperINS1_20WarpSortHelperConfigILj8ELj4ELj256EEEdlLi256ELb1EvE4sortIPKdPdPKlPlEEvT_S9_T0_T1_SC_T2_bjjjjRNS5_12storage_typeE.has_dyn_sized_stack, 0
	.set .L_ZN7rocprim17ROCPRIM_400000_NS6detail26segmented_warp_sort_helperINS1_20WarpSortHelperConfigILj8ELj4ELj256EEEdlLi256ELb1EvE4sortIPKdPdPKlPlEEvT_S9_T0_T1_SC_T2_bjjjjRNS5_12storage_typeE.has_recursion, 0
	.set .L_ZN7rocprim17ROCPRIM_400000_NS6detail26segmented_warp_sort_helperINS1_20WarpSortHelperConfigILj8ELj4ELj256EEEdlLi256ELb1EvE4sortIPKdPdPKlPlEEvT_S9_T0_T1_SC_T2_bjjjjRNS5_12storage_typeE.has_indirect_call, 0
	.section	.AMDGPU.csdata,"",@progbits
; Function info:
; codeLenInByte = 13476
; TotalNumSgprs: 34
; NumVgprs: 68
; ScratchSize: 0
; MemoryBound: 1
	.section	.text._ZN7rocprim17ROCPRIM_400000_NS6detail17trampoline_kernelINS0_14default_configENS1_36segmented_radix_sort_config_selectorIdlEEZNS1_25segmented_radix_sort_implIS3_Lb1EPKdPdPKlPlN2at6native12_GLOBAL__N_18offset_tEEE10hipError_tPvRmT1_PNSt15iterator_traitsISK_E10value_typeET2_T3_PNSL_ISQ_E10value_typeET4_jRbjT5_SW_jjP12ihipStream_tbEUlT_E1_NS1_11comp_targetILNS1_3genE10ELNS1_11target_archE1201ELNS1_3gpuE5ELNS1_3repE0EEENS1_59segmented_radix_sort_warp_sort_small_config_static_selectorELNS0_4arch9wavefront6targetE0EEEvSK_,"axG",@progbits,_ZN7rocprim17ROCPRIM_400000_NS6detail17trampoline_kernelINS0_14default_configENS1_36segmented_radix_sort_config_selectorIdlEEZNS1_25segmented_radix_sort_implIS3_Lb1EPKdPdPKlPlN2at6native12_GLOBAL__N_18offset_tEEE10hipError_tPvRmT1_PNSt15iterator_traitsISK_E10value_typeET2_T3_PNSL_ISQ_E10value_typeET4_jRbjT5_SW_jjP12ihipStream_tbEUlT_E1_NS1_11comp_targetILNS1_3genE10ELNS1_11target_archE1201ELNS1_3gpuE5ELNS1_3repE0EEENS1_59segmented_radix_sort_warp_sort_small_config_static_selectorELNS0_4arch9wavefront6targetE0EEEvSK_,comdat
	.globl	_ZN7rocprim17ROCPRIM_400000_NS6detail17trampoline_kernelINS0_14default_configENS1_36segmented_radix_sort_config_selectorIdlEEZNS1_25segmented_radix_sort_implIS3_Lb1EPKdPdPKlPlN2at6native12_GLOBAL__N_18offset_tEEE10hipError_tPvRmT1_PNSt15iterator_traitsISK_E10value_typeET2_T3_PNSL_ISQ_E10value_typeET4_jRbjT5_SW_jjP12ihipStream_tbEUlT_E1_NS1_11comp_targetILNS1_3genE10ELNS1_11target_archE1201ELNS1_3gpuE5ELNS1_3repE0EEENS1_59segmented_radix_sort_warp_sort_small_config_static_selectorELNS0_4arch9wavefront6targetE0EEEvSK_ ; -- Begin function _ZN7rocprim17ROCPRIM_400000_NS6detail17trampoline_kernelINS0_14default_configENS1_36segmented_radix_sort_config_selectorIdlEEZNS1_25segmented_radix_sort_implIS3_Lb1EPKdPdPKlPlN2at6native12_GLOBAL__N_18offset_tEEE10hipError_tPvRmT1_PNSt15iterator_traitsISK_E10value_typeET2_T3_PNSL_ISQ_E10value_typeET4_jRbjT5_SW_jjP12ihipStream_tbEUlT_E1_NS1_11comp_targetILNS1_3genE10ELNS1_11target_archE1201ELNS1_3gpuE5ELNS1_3repE0EEENS1_59segmented_radix_sort_warp_sort_small_config_static_selectorELNS0_4arch9wavefront6targetE0EEEvSK_
	.p2align	8
	.type	_ZN7rocprim17ROCPRIM_400000_NS6detail17trampoline_kernelINS0_14default_configENS1_36segmented_radix_sort_config_selectorIdlEEZNS1_25segmented_radix_sort_implIS3_Lb1EPKdPdPKlPlN2at6native12_GLOBAL__N_18offset_tEEE10hipError_tPvRmT1_PNSt15iterator_traitsISK_E10value_typeET2_T3_PNSL_ISQ_E10value_typeET4_jRbjT5_SW_jjP12ihipStream_tbEUlT_E1_NS1_11comp_targetILNS1_3genE10ELNS1_11target_archE1201ELNS1_3gpuE5ELNS1_3repE0EEENS1_59segmented_radix_sort_warp_sort_small_config_static_selectorELNS0_4arch9wavefront6targetE0EEEvSK_,@function
_ZN7rocprim17ROCPRIM_400000_NS6detail17trampoline_kernelINS0_14default_configENS1_36segmented_radix_sort_config_selectorIdlEEZNS1_25segmented_radix_sort_implIS3_Lb1EPKdPdPKlPlN2at6native12_GLOBAL__N_18offset_tEEE10hipError_tPvRmT1_PNSt15iterator_traitsISK_E10value_typeET2_T3_PNSL_ISQ_E10value_typeET4_jRbjT5_SW_jjP12ihipStream_tbEUlT_E1_NS1_11comp_targetILNS1_3genE10ELNS1_11target_archE1201ELNS1_3gpuE5ELNS1_3repE0EEENS1_59segmented_radix_sort_warp_sort_small_config_static_selectorELNS0_4arch9wavefront6targetE0EEEvSK_: ; @_ZN7rocprim17ROCPRIM_400000_NS6detail17trampoline_kernelINS0_14default_configENS1_36segmented_radix_sort_config_selectorIdlEEZNS1_25segmented_radix_sort_implIS3_Lb1EPKdPdPKlPlN2at6native12_GLOBAL__N_18offset_tEEE10hipError_tPvRmT1_PNSt15iterator_traitsISK_E10value_typeET2_T3_PNSL_ISQ_E10value_typeET4_jRbjT5_SW_jjP12ihipStream_tbEUlT_E1_NS1_11comp_targetILNS1_3genE10ELNS1_11target_archE1201ELNS1_3gpuE5ELNS1_3repE0EEENS1_59segmented_radix_sort_warp_sort_small_config_static_selectorELNS0_4arch9wavefront6targetE0EEEvSK_
; %bb.0:
	s_load_b32 s2, s[0:1], 0x64
	v_bfe_u32 v1, v0, 10, 10
	v_bfe_u32 v2, v0, 20, 10
	s_mov_b32 s32, 0
	s_wait_kmcnt 0x0
	s_lshr_b32 s3, s2, 16
	s_and_b32 s2, s2, 0xffff
	v_mad_u32_u24 v2, v2, s3, v1
	v_and_b32_e32 v1, 0x3ff, v0
	s_load_b32 s3, s[0:1], 0x34
	s_delay_alu instid0(VALU_DEP_1) | instskip(SKIP_2) | instid1(VALU_DEP_1)
	v_mad_co_u64_u32 v[1:2], null, v2, s2, v[1:2]
	s_mov_b32 s2, exec_lo
	v_lshrrev_b32_e32 v1, 3, v1
	v_lshl_add_u32 v1, ttmp9, 5, v1
	s_wait_kmcnt 0x0
	s_delay_alu instid0(VALU_DEP_1)
	v_cmpx_gt_u32_e64 s3, v1
	s_cbranch_execz .LBB1144_3
; %bb.1:
	s_clause 0x1
	s_load_b64 s[2:3], s[0:1], 0x38
	s_load_b128 s[4:7], s[0:1], 0x40
	v_mov_b32_e32 v2, 0
	s_delay_alu instid0(VALU_DEP_1) | instskip(SKIP_1) | instid1(VALU_DEP_1)
	v_lshlrev_b64_e32 v[1:2], 2, v[1:2]
	s_wait_kmcnt 0x0
	v_sub_co_u32 v1, vcc_lo, s2, v1
	s_delay_alu instid0(VALU_DEP_1) | instskip(SKIP_4) | instid1(VALU_DEP_2)
	v_sub_co_ci_u32_e64 v2, null, s3, v2, vcc_lo
	global_load_b32 v1, v[1:2], off offset:-4
	s_wait_loadcnt 0x0
	v_add_nc_u32_e32 v2, s5, v1
	v_add_nc_u32_e32 v1, s7, v1
	v_mul_lo_u32 v13, v2, s4
	s_delay_alu instid0(VALU_DEP_2) | instskip(NEXT) | instid1(VALU_DEP_1)
	v_mul_lo_u32 v14, v1, s6
	v_cmp_gt_u32_e32 vcc_lo, v14, v13
	s_and_b32 exec_lo, exec_lo, vcc_lo
	s_cbranch_execz .LBB1144_3
; %bb.2:
	s_mov_b64 s[2:3], src_shared_base
	s_clause 0x2
	s_load_b32 s2, s[0:1], 0x30
	s_load_b256 s[12:19], s[0:1], 0x0
	s_load_b128 s[4:7], s[0:1], 0x20
	s_add_nc_u64 s[8:9], s[0:1], 0x58
	s_getpc_b64 s[0:1]
	s_wait_alu 0xfffe
	s_sext_i32_i16 s1, s1
	s_add_co_u32 s0, s0, _ZN7rocprim17ROCPRIM_400000_NS6detail26segmented_warp_sort_helperINS1_20WarpSortHelperConfigILj8ELj4ELj256EEEdlLi256ELb1EvE4sortIPKdPdPKlPlEEvT_S9_T0_T1_SC_T2_bjjjjRNS5_12storage_typeE@rel32@lo+12
	s_wait_alu 0xfffe
	s_add_co_ci_u32 s1, s1, _ZN7rocprim17ROCPRIM_400000_NS6detail26segmented_warp_sort_helperINS1_20WarpSortHelperConfigILj8ELj4ELj256EEEdlLi256ELb1EvE4sortIPKdPdPKlPlEEvT_S9_T0_T1_SC_T2_bjjjjRNS5_12storage_typeE@rel32@hi+24
	v_mov_b32_e32 v31, v0
	v_dual_mov_b32 v15, 0 :: v_dual_mov_b32 v16, s3
	s_wait_kmcnt 0x0
	s_and_b32 s2, s2, 0xff
	v_dual_mov_b32 v0, s12 :: v_dual_mov_b32 v1, s13
	v_dual_mov_b32 v2, s14 :: v_dual_mov_b32 v3, s15
	v_dual_mov_b32 v4, s16 :: v_dual_mov_b32 v5, s17
	v_dual_mov_b32 v6, s18 :: v_dual_mov_b32 v7, s19
	v_dual_mov_b32 v8, s4 :: v_dual_mov_b32 v9, s5
	v_dual_mov_b32 v10, s6 :: v_dual_mov_b32 v11, s7
	s_wait_alu 0xfffe
	v_mov_b32_e32 v12, s2
	s_swappc_b64 s[30:31], s[0:1]
.LBB1144_3:
	s_endpgm
	.section	.rodata,"a",@progbits
	.p2align	6, 0x0
	.amdhsa_kernel _ZN7rocprim17ROCPRIM_400000_NS6detail17trampoline_kernelINS0_14default_configENS1_36segmented_radix_sort_config_selectorIdlEEZNS1_25segmented_radix_sort_implIS3_Lb1EPKdPdPKlPlN2at6native12_GLOBAL__N_18offset_tEEE10hipError_tPvRmT1_PNSt15iterator_traitsISK_E10value_typeET2_T3_PNSL_ISQ_E10value_typeET4_jRbjT5_SW_jjP12ihipStream_tbEUlT_E1_NS1_11comp_targetILNS1_3genE10ELNS1_11target_archE1201ELNS1_3gpuE5ELNS1_3repE0EEENS1_59segmented_radix_sort_warp_sort_small_config_static_selectorELNS0_4arch9wavefront6targetE0EEEvSK_
		.amdhsa_group_segment_fixed_size 16384
		.amdhsa_private_segment_fixed_size 0
		.amdhsa_kernarg_size 344
		.amdhsa_user_sgpr_count 2
		.amdhsa_user_sgpr_dispatch_ptr 0
		.amdhsa_user_sgpr_queue_ptr 0
		.amdhsa_user_sgpr_kernarg_segment_ptr 1
		.amdhsa_user_sgpr_dispatch_id 0
		.amdhsa_user_sgpr_private_segment_size 0
		.amdhsa_wavefront_size32 1
		.amdhsa_uses_dynamic_stack 0
		.amdhsa_enable_private_segment 0
		.amdhsa_system_sgpr_workgroup_id_x 1
		.amdhsa_system_sgpr_workgroup_id_y 1
		.amdhsa_system_sgpr_workgroup_id_z 0
		.amdhsa_system_sgpr_workgroup_info 0
		.amdhsa_system_vgpr_workitem_id 2
		.amdhsa_next_free_vgpr 68
		.amdhsa_next_free_sgpr 33
		.amdhsa_reserve_vcc 1
		.amdhsa_float_round_mode_32 0
		.amdhsa_float_round_mode_16_64 0
		.amdhsa_float_denorm_mode_32 3
		.amdhsa_float_denorm_mode_16_64 3
		.amdhsa_fp16_overflow 0
		.amdhsa_workgroup_processor_mode 1
		.amdhsa_memory_ordered 1
		.amdhsa_forward_progress 1
		.amdhsa_inst_pref_size 4
		.amdhsa_round_robin_scheduling 0
		.amdhsa_exception_fp_ieee_invalid_op 0
		.amdhsa_exception_fp_denorm_src 0
		.amdhsa_exception_fp_ieee_div_zero 0
		.amdhsa_exception_fp_ieee_overflow 0
		.amdhsa_exception_fp_ieee_underflow 0
		.amdhsa_exception_fp_ieee_inexact 0
		.amdhsa_exception_int_div_zero 0
	.end_amdhsa_kernel
	.section	.text._ZN7rocprim17ROCPRIM_400000_NS6detail17trampoline_kernelINS0_14default_configENS1_36segmented_radix_sort_config_selectorIdlEEZNS1_25segmented_radix_sort_implIS3_Lb1EPKdPdPKlPlN2at6native12_GLOBAL__N_18offset_tEEE10hipError_tPvRmT1_PNSt15iterator_traitsISK_E10value_typeET2_T3_PNSL_ISQ_E10value_typeET4_jRbjT5_SW_jjP12ihipStream_tbEUlT_E1_NS1_11comp_targetILNS1_3genE10ELNS1_11target_archE1201ELNS1_3gpuE5ELNS1_3repE0EEENS1_59segmented_radix_sort_warp_sort_small_config_static_selectorELNS0_4arch9wavefront6targetE0EEEvSK_,"axG",@progbits,_ZN7rocprim17ROCPRIM_400000_NS6detail17trampoline_kernelINS0_14default_configENS1_36segmented_radix_sort_config_selectorIdlEEZNS1_25segmented_radix_sort_implIS3_Lb1EPKdPdPKlPlN2at6native12_GLOBAL__N_18offset_tEEE10hipError_tPvRmT1_PNSt15iterator_traitsISK_E10value_typeET2_T3_PNSL_ISQ_E10value_typeET4_jRbjT5_SW_jjP12ihipStream_tbEUlT_E1_NS1_11comp_targetILNS1_3genE10ELNS1_11target_archE1201ELNS1_3gpuE5ELNS1_3repE0EEENS1_59segmented_radix_sort_warp_sort_small_config_static_selectorELNS0_4arch9wavefront6targetE0EEEvSK_,comdat
.Lfunc_end1144:
	.size	_ZN7rocprim17ROCPRIM_400000_NS6detail17trampoline_kernelINS0_14default_configENS1_36segmented_radix_sort_config_selectorIdlEEZNS1_25segmented_radix_sort_implIS3_Lb1EPKdPdPKlPlN2at6native12_GLOBAL__N_18offset_tEEE10hipError_tPvRmT1_PNSt15iterator_traitsISK_E10value_typeET2_T3_PNSL_ISQ_E10value_typeET4_jRbjT5_SW_jjP12ihipStream_tbEUlT_E1_NS1_11comp_targetILNS1_3genE10ELNS1_11target_archE1201ELNS1_3gpuE5ELNS1_3repE0EEENS1_59segmented_radix_sort_warp_sort_small_config_static_selectorELNS0_4arch9wavefront6targetE0EEEvSK_, .Lfunc_end1144-_ZN7rocprim17ROCPRIM_400000_NS6detail17trampoline_kernelINS0_14default_configENS1_36segmented_radix_sort_config_selectorIdlEEZNS1_25segmented_radix_sort_implIS3_Lb1EPKdPdPKlPlN2at6native12_GLOBAL__N_18offset_tEEE10hipError_tPvRmT1_PNSt15iterator_traitsISK_E10value_typeET2_T3_PNSL_ISQ_E10value_typeET4_jRbjT5_SW_jjP12ihipStream_tbEUlT_E1_NS1_11comp_targetILNS1_3genE10ELNS1_11target_archE1201ELNS1_3gpuE5ELNS1_3repE0EEENS1_59segmented_radix_sort_warp_sort_small_config_static_selectorELNS0_4arch9wavefront6targetE0EEEvSK_
                                        ; -- End function
	.set _ZN7rocprim17ROCPRIM_400000_NS6detail17trampoline_kernelINS0_14default_configENS1_36segmented_radix_sort_config_selectorIdlEEZNS1_25segmented_radix_sort_implIS3_Lb1EPKdPdPKlPlN2at6native12_GLOBAL__N_18offset_tEEE10hipError_tPvRmT1_PNSt15iterator_traitsISK_E10value_typeET2_T3_PNSL_ISQ_E10value_typeET4_jRbjT5_SW_jjP12ihipStream_tbEUlT_E1_NS1_11comp_targetILNS1_3genE10ELNS1_11target_archE1201ELNS1_3gpuE5ELNS1_3repE0EEENS1_59segmented_radix_sort_warp_sort_small_config_static_selectorELNS0_4arch9wavefront6targetE0EEEvSK_.num_vgpr, max(32, .L_ZN7rocprim17ROCPRIM_400000_NS6detail26segmented_warp_sort_helperINS1_20WarpSortHelperConfigILj8ELj4ELj256EEEdlLi256ELb1EvE4sortIPKdPdPKlPlEEvT_S9_T0_T1_SC_T2_bjjjjRNS5_12storage_typeE.num_vgpr)
	.set _ZN7rocprim17ROCPRIM_400000_NS6detail17trampoline_kernelINS0_14default_configENS1_36segmented_radix_sort_config_selectorIdlEEZNS1_25segmented_radix_sort_implIS3_Lb1EPKdPdPKlPlN2at6native12_GLOBAL__N_18offset_tEEE10hipError_tPvRmT1_PNSt15iterator_traitsISK_E10value_typeET2_T3_PNSL_ISQ_E10value_typeET4_jRbjT5_SW_jjP12ihipStream_tbEUlT_E1_NS1_11comp_targetILNS1_3genE10ELNS1_11target_archE1201ELNS1_3gpuE5ELNS1_3repE0EEENS1_59segmented_radix_sort_warp_sort_small_config_static_selectorELNS0_4arch9wavefront6targetE0EEEvSK_.num_agpr, max(0, .L_ZN7rocprim17ROCPRIM_400000_NS6detail26segmented_warp_sort_helperINS1_20WarpSortHelperConfigILj8ELj4ELj256EEEdlLi256ELb1EvE4sortIPKdPdPKlPlEEvT_S9_T0_T1_SC_T2_bjjjjRNS5_12storage_typeE.num_agpr)
	.set _ZN7rocprim17ROCPRIM_400000_NS6detail17trampoline_kernelINS0_14default_configENS1_36segmented_radix_sort_config_selectorIdlEEZNS1_25segmented_radix_sort_implIS3_Lb1EPKdPdPKlPlN2at6native12_GLOBAL__N_18offset_tEEE10hipError_tPvRmT1_PNSt15iterator_traitsISK_E10value_typeET2_T3_PNSL_ISQ_E10value_typeET4_jRbjT5_SW_jjP12ihipStream_tbEUlT_E1_NS1_11comp_targetILNS1_3genE10ELNS1_11target_archE1201ELNS1_3gpuE5ELNS1_3repE0EEENS1_59segmented_radix_sort_warp_sort_small_config_static_selectorELNS0_4arch9wavefront6targetE0EEEvSK_.numbered_sgpr, max(33, .L_ZN7rocprim17ROCPRIM_400000_NS6detail26segmented_warp_sort_helperINS1_20WarpSortHelperConfigILj8ELj4ELj256EEEdlLi256ELb1EvE4sortIPKdPdPKlPlEEvT_S9_T0_T1_SC_T2_bjjjjRNS5_12storage_typeE.numbered_sgpr)
	.set _ZN7rocprim17ROCPRIM_400000_NS6detail17trampoline_kernelINS0_14default_configENS1_36segmented_radix_sort_config_selectorIdlEEZNS1_25segmented_radix_sort_implIS3_Lb1EPKdPdPKlPlN2at6native12_GLOBAL__N_18offset_tEEE10hipError_tPvRmT1_PNSt15iterator_traitsISK_E10value_typeET2_T3_PNSL_ISQ_E10value_typeET4_jRbjT5_SW_jjP12ihipStream_tbEUlT_E1_NS1_11comp_targetILNS1_3genE10ELNS1_11target_archE1201ELNS1_3gpuE5ELNS1_3repE0EEENS1_59segmented_radix_sort_warp_sort_small_config_static_selectorELNS0_4arch9wavefront6targetE0EEEvSK_.num_named_barrier, max(0, .L_ZN7rocprim17ROCPRIM_400000_NS6detail26segmented_warp_sort_helperINS1_20WarpSortHelperConfigILj8ELj4ELj256EEEdlLi256ELb1EvE4sortIPKdPdPKlPlEEvT_S9_T0_T1_SC_T2_bjjjjRNS5_12storage_typeE.num_named_barrier)
	.set _ZN7rocprim17ROCPRIM_400000_NS6detail17trampoline_kernelINS0_14default_configENS1_36segmented_radix_sort_config_selectorIdlEEZNS1_25segmented_radix_sort_implIS3_Lb1EPKdPdPKlPlN2at6native12_GLOBAL__N_18offset_tEEE10hipError_tPvRmT1_PNSt15iterator_traitsISK_E10value_typeET2_T3_PNSL_ISQ_E10value_typeET4_jRbjT5_SW_jjP12ihipStream_tbEUlT_E1_NS1_11comp_targetILNS1_3genE10ELNS1_11target_archE1201ELNS1_3gpuE5ELNS1_3repE0EEENS1_59segmented_radix_sort_warp_sort_small_config_static_selectorELNS0_4arch9wavefront6targetE0EEEvSK_.private_seg_size, 0+max(.L_ZN7rocprim17ROCPRIM_400000_NS6detail26segmented_warp_sort_helperINS1_20WarpSortHelperConfigILj8ELj4ELj256EEEdlLi256ELb1EvE4sortIPKdPdPKlPlEEvT_S9_T0_T1_SC_T2_bjjjjRNS5_12storage_typeE.private_seg_size)
	.set _ZN7rocprim17ROCPRIM_400000_NS6detail17trampoline_kernelINS0_14default_configENS1_36segmented_radix_sort_config_selectorIdlEEZNS1_25segmented_radix_sort_implIS3_Lb1EPKdPdPKlPlN2at6native12_GLOBAL__N_18offset_tEEE10hipError_tPvRmT1_PNSt15iterator_traitsISK_E10value_typeET2_T3_PNSL_ISQ_E10value_typeET4_jRbjT5_SW_jjP12ihipStream_tbEUlT_E1_NS1_11comp_targetILNS1_3genE10ELNS1_11target_archE1201ELNS1_3gpuE5ELNS1_3repE0EEENS1_59segmented_radix_sort_warp_sort_small_config_static_selectorELNS0_4arch9wavefront6targetE0EEEvSK_.uses_vcc, or(1, .L_ZN7rocprim17ROCPRIM_400000_NS6detail26segmented_warp_sort_helperINS1_20WarpSortHelperConfigILj8ELj4ELj256EEEdlLi256ELb1EvE4sortIPKdPdPKlPlEEvT_S9_T0_T1_SC_T2_bjjjjRNS5_12storage_typeE.uses_vcc)
	.set _ZN7rocprim17ROCPRIM_400000_NS6detail17trampoline_kernelINS0_14default_configENS1_36segmented_radix_sort_config_selectorIdlEEZNS1_25segmented_radix_sort_implIS3_Lb1EPKdPdPKlPlN2at6native12_GLOBAL__N_18offset_tEEE10hipError_tPvRmT1_PNSt15iterator_traitsISK_E10value_typeET2_T3_PNSL_ISQ_E10value_typeET4_jRbjT5_SW_jjP12ihipStream_tbEUlT_E1_NS1_11comp_targetILNS1_3genE10ELNS1_11target_archE1201ELNS1_3gpuE5ELNS1_3repE0EEENS1_59segmented_radix_sort_warp_sort_small_config_static_selectorELNS0_4arch9wavefront6targetE0EEEvSK_.uses_flat_scratch, or(0, .L_ZN7rocprim17ROCPRIM_400000_NS6detail26segmented_warp_sort_helperINS1_20WarpSortHelperConfigILj8ELj4ELj256EEEdlLi256ELb1EvE4sortIPKdPdPKlPlEEvT_S9_T0_T1_SC_T2_bjjjjRNS5_12storage_typeE.uses_flat_scratch)
	.set _ZN7rocprim17ROCPRIM_400000_NS6detail17trampoline_kernelINS0_14default_configENS1_36segmented_radix_sort_config_selectorIdlEEZNS1_25segmented_radix_sort_implIS3_Lb1EPKdPdPKlPlN2at6native12_GLOBAL__N_18offset_tEEE10hipError_tPvRmT1_PNSt15iterator_traitsISK_E10value_typeET2_T3_PNSL_ISQ_E10value_typeET4_jRbjT5_SW_jjP12ihipStream_tbEUlT_E1_NS1_11comp_targetILNS1_3genE10ELNS1_11target_archE1201ELNS1_3gpuE5ELNS1_3repE0EEENS1_59segmented_radix_sort_warp_sort_small_config_static_selectorELNS0_4arch9wavefront6targetE0EEEvSK_.has_dyn_sized_stack, or(0, .L_ZN7rocprim17ROCPRIM_400000_NS6detail26segmented_warp_sort_helperINS1_20WarpSortHelperConfigILj8ELj4ELj256EEEdlLi256ELb1EvE4sortIPKdPdPKlPlEEvT_S9_T0_T1_SC_T2_bjjjjRNS5_12storage_typeE.has_dyn_sized_stack)
	.set _ZN7rocprim17ROCPRIM_400000_NS6detail17trampoline_kernelINS0_14default_configENS1_36segmented_radix_sort_config_selectorIdlEEZNS1_25segmented_radix_sort_implIS3_Lb1EPKdPdPKlPlN2at6native12_GLOBAL__N_18offset_tEEE10hipError_tPvRmT1_PNSt15iterator_traitsISK_E10value_typeET2_T3_PNSL_ISQ_E10value_typeET4_jRbjT5_SW_jjP12ihipStream_tbEUlT_E1_NS1_11comp_targetILNS1_3genE10ELNS1_11target_archE1201ELNS1_3gpuE5ELNS1_3repE0EEENS1_59segmented_radix_sort_warp_sort_small_config_static_selectorELNS0_4arch9wavefront6targetE0EEEvSK_.has_recursion, or(0, .L_ZN7rocprim17ROCPRIM_400000_NS6detail26segmented_warp_sort_helperINS1_20WarpSortHelperConfigILj8ELj4ELj256EEEdlLi256ELb1EvE4sortIPKdPdPKlPlEEvT_S9_T0_T1_SC_T2_bjjjjRNS5_12storage_typeE.has_recursion)
	.set _ZN7rocprim17ROCPRIM_400000_NS6detail17trampoline_kernelINS0_14default_configENS1_36segmented_radix_sort_config_selectorIdlEEZNS1_25segmented_radix_sort_implIS3_Lb1EPKdPdPKlPlN2at6native12_GLOBAL__N_18offset_tEEE10hipError_tPvRmT1_PNSt15iterator_traitsISK_E10value_typeET2_T3_PNSL_ISQ_E10value_typeET4_jRbjT5_SW_jjP12ihipStream_tbEUlT_E1_NS1_11comp_targetILNS1_3genE10ELNS1_11target_archE1201ELNS1_3gpuE5ELNS1_3repE0EEENS1_59segmented_radix_sort_warp_sort_small_config_static_selectorELNS0_4arch9wavefront6targetE0EEEvSK_.has_indirect_call, or(0, .L_ZN7rocprim17ROCPRIM_400000_NS6detail26segmented_warp_sort_helperINS1_20WarpSortHelperConfigILj8ELj4ELj256EEEdlLi256ELb1EvE4sortIPKdPdPKlPlEEvT_S9_T0_T1_SC_T2_bjjjjRNS5_12storage_typeE.has_indirect_call)
	.section	.AMDGPU.csdata,"",@progbits
; Kernel info:
; codeLenInByte = 388
; TotalNumSgprs: 35
; NumVgprs: 68
; ScratchSize: 0
; MemoryBound: 0
; FloatMode: 240
; IeeeMode: 1
; LDSByteSize: 16384 bytes/workgroup (compile time only)
; SGPRBlocks: 0
; VGPRBlocks: 8
; NumSGPRsForWavesPerEU: 35
; NumVGPRsForWavesPerEU: 68
; Occupancy: 16
; WaveLimiterHint : 0
; COMPUTE_PGM_RSRC2:SCRATCH_EN: 0
; COMPUTE_PGM_RSRC2:USER_SGPR: 2
; COMPUTE_PGM_RSRC2:TRAP_HANDLER: 0
; COMPUTE_PGM_RSRC2:TGID_X_EN: 1
; COMPUTE_PGM_RSRC2:TGID_Y_EN: 1
; COMPUTE_PGM_RSRC2:TGID_Z_EN: 0
; COMPUTE_PGM_RSRC2:TIDIG_COMP_CNT: 2
	.section	.text._ZN7rocprim17ROCPRIM_400000_NS6detail17trampoline_kernelINS0_14default_configENS1_36segmented_radix_sort_config_selectorIdlEEZNS1_25segmented_radix_sort_implIS3_Lb1EPKdPdPKlPlN2at6native12_GLOBAL__N_18offset_tEEE10hipError_tPvRmT1_PNSt15iterator_traitsISK_E10value_typeET2_T3_PNSL_ISQ_E10value_typeET4_jRbjT5_SW_jjP12ihipStream_tbEUlT_E1_NS1_11comp_targetILNS1_3genE10ELNS1_11target_archE1200ELNS1_3gpuE4ELNS1_3repE0EEENS1_59segmented_radix_sort_warp_sort_small_config_static_selectorELNS0_4arch9wavefront6targetE0EEEvSK_,"axG",@progbits,_ZN7rocprim17ROCPRIM_400000_NS6detail17trampoline_kernelINS0_14default_configENS1_36segmented_radix_sort_config_selectorIdlEEZNS1_25segmented_radix_sort_implIS3_Lb1EPKdPdPKlPlN2at6native12_GLOBAL__N_18offset_tEEE10hipError_tPvRmT1_PNSt15iterator_traitsISK_E10value_typeET2_T3_PNSL_ISQ_E10value_typeET4_jRbjT5_SW_jjP12ihipStream_tbEUlT_E1_NS1_11comp_targetILNS1_3genE10ELNS1_11target_archE1200ELNS1_3gpuE4ELNS1_3repE0EEENS1_59segmented_radix_sort_warp_sort_small_config_static_selectorELNS0_4arch9wavefront6targetE0EEEvSK_,comdat
	.globl	_ZN7rocprim17ROCPRIM_400000_NS6detail17trampoline_kernelINS0_14default_configENS1_36segmented_radix_sort_config_selectorIdlEEZNS1_25segmented_radix_sort_implIS3_Lb1EPKdPdPKlPlN2at6native12_GLOBAL__N_18offset_tEEE10hipError_tPvRmT1_PNSt15iterator_traitsISK_E10value_typeET2_T3_PNSL_ISQ_E10value_typeET4_jRbjT5_SW_jjP12ihipStream_tbEUlT_E1_NS1_11comp_targetILNS1_3genE10ELNS1_11target_archE1200ELNS1_3gpuE4ELNS1_3repE0EEENS1_59segmented_radix_sort_warp_sort_small_config_static_selectorELNS0_4arch9wavefront6targetE0EEEvSK_ ; -- Begin function _ZN7rocprim17ROCPRIM_400000_NS6detail17trampoline_kernelINS0_14default_configENS1_36segmented_radix_sort_config_selectorIdlEEZNS1_25segmented_radix_sort_implIS3_Lb1EPKdPdPKlPlN2at6native12_GLOBAL__N_18offset_tEEE10hipError_tPvRmT1_PNSt15iterator_traitsISK_E10value_typeET2_T3_PNSL_ISQ_E10value_typeET4_jRbjT5_SW_jjP12ihipStream_tbEUlT_E1_NS1_11comp_targetILNS1_3genE10ELNS1_11target_archE1200ELNS1_3gpuE4ELNS1_3repE0EEENS1_59segmented_radix_sort_warp_sort_small_config_static_selectorELNS0_4arch9wavefront6targetE0EEEvSK_
	.p2align	8
	.type	_ZN7rocprim17ROCPRIM_400000_NS6detail17trampoline_kernelINS0_14default_configENS1_36segmented_radix_sort_config_selectorIdlEEZNS1_25segmented_radix_sort_implIS3_Lb1EPKdPdPKlPlN2at6native12_GLOBAL__N_18offset_tEEE10hipError_tPvRmT1_PNSt15iterator_traitsISK_E10value_typeET2_T3_PNSL_ISQ_E10value_typeET4_jRbjT5_SW_jjP12ihipStream_tbEUlT_E1_NS1_11comp_targetILNS1_3genE10ELNS1_11target_archE1200ELNS1_3gpuE4ELNS1_3repE0EEENS1_59segmented_radix_sort_warp_sort_small_config_static_selectorELNS0_4arch9wavefront6targetE0EEEvSK_,@function
_ZN7rocprim17ROCPRIM_400000_NS6detail17trampoline_kernelINS0_14default_configENS1_36segmented_radix_sort_config_selectorIdlEEZNS1_25segmented_radix_sort_implIS3_Lb1EPKdPdPKlPlN2at6native12_GLOBAL__N_18offset_tEEE10hipError_tPvRmT1_PNSt15iterator_traitsISK_E10value_typeET2_T3_PNSL_ISQ_E10value_typeET4_jRbjT5_SW_jjP12ihipStream_tbEUlT_E1_NS1_11comp_targetILNS1_3genE10ELNS1_11target_archE1200ELNS1_3gpuE4ELNS1_3repE0EEENS1_59segmented_radix_sort_warp_sort_small_config_static_selectorELNS0_4arch9wavefront6targetE0EEEvSK_: ; @_ZN7rocprim17ROCPRIM_400000_NS6detail17trampoline_kernelINS0_14default_configENS1_36segmented_radix_sort_config_selectorIdlEEZNS1_25segmented_radix_sort_implIS3_Lb1EPKdPdPKlPlN2at6native12_GLOBAL__N_18offset_tEEE10hipError_tPvRmT1_PNSt15iterator_traitsISK_E10value_typeET2_T3_PNSL_ISQ_E10value_typeET4_jRbjT5_SW_jjP12ihipStream_tbEUlT_E1_NS1_11comp_targetILNS1_3genE10ELNS1_11target_archE1200ELNS1_3gpuE4ELNS1_3repE0EEENS1_59segmented_radix_sort_warp_sort_small_config_static_selectorELNS0_4arch9wavefront6targetE0EEEvSK_
; %bb.0:
	.section	.rodata,"a",@progbits
	.p2align	6, 0x0
	.amdhsa_kernel _ZN7rocprim17ROCPRIM_400000_NS6detail17trampoline_kernelINS0_14default_configENS1_36segmented_radix_sort_config_selectorIdlEEZNS1_25segmented_radix_sort_implIS3_Lb1EPKdPdPKlPlN2at6native12_GLOBAL__N_18offset_tEEE10hipError_tPvRmT1_PNSt15iterator_traitsISK_E10value_typeET2_T3_PNSL_ISQ_E10value_typeET4_jRbjT5_SW_jjP12ihipStream_tbEUlT_E1_NS1_11comp_targetILNS1_3genE10ELNS1_11target_archE1200ELNS1_3gpuE4ELNS1_3repE0EEENS1_59segmented_radix_sort_warp_sort_small_config_static_selectorELNS0_4arch9wavefront6targetE0EEEvSK_
		.amdhsa_group_segment_fixed_size 0
		.amdhsa_private_segment_fixed_size 0
		.amdhsa_kernarg_size 88
		.amdhsa_user_sgpr_count 2
		.amdhsa_user_sgpr_dispatch_ptr 0
		.amdhsa_user_sgpr_queue_ptr 0
		.amdhsa_user_sgpr_kernarg_segment_ptr 1
		.amdhsa_user_sgpr_dispatch_id 0
		.amdhsa_user_sgpr_private_segment_size 0
		.amdhsa_wavefront_size32 1
		.amdhsa_uses_dynamic_stack 0
		.amdhsa_enable_private_segment 0
		.amdhsa_system_sgpr_workgroup_id_x 1
		.amdhsa_system_sgpr_workgroup_id_y 0
		.amdhsa_system_sgpr_workgroup_id_z 0
		.amdhsa_system_sgpr_workgroup_info 0
		.amdhsa_system_vgpr_workitem_id 0
		.amdhsa_next_free_vgpr 1
		.amdhsa_next_free_sgpr 1
		.amdhsa_reserve_vcc 0
		.amdhsa_float_round_mode_32 0
		.amdhsa_float_round_mode_16_64 0
		.amdhsa_float_denorm_mode_32 3
		.amdhsa_float_denorm_mode_16_64 3
		.amdhsa_fp16_overflow 0
		.amdhsa_workgroup_processor_mode 1
		.amdhsa_memory_ordered 1
		.amdhsa_forward_progress 1
		.amdhsa_inst_pref_size 0
		.amdhsa_round_robin_scheduling 0
		.amdhsa_exception_fp_ieee_invalid_op 0
		.amdhsa_exception_fp_denorm_src 0
		.amdhsa_exception_fp_ieee_div_zero 0
		.amdhsa_exception_fp_ieee_overflow 0
		.amdhsa_exception_fp_ieee_underflow 0
		.amdhsa_exception_fp_ieee_inexact 0
		.amdhsa_exception_int_div_zero 0
	.end_amdhsa_kernel
	.section	.text._ZN7rocprim17ROCPRIM_400000_NS6detail17trampoline_kernelINS0_14default_configENS1_36segmented_radix_sort_config_selectorIdlEEZNS1_25segmented_radix_sort_implIS3_Lb1EPKdPdPKlPlN2at6native12_GLOBAL__N_18offset_tEEE10hipError_tPvRmT1_PNSt15iterator_traitsISK_E10value_typeET2_T3_PNSL_ISQ_E10value_typeET4_jRbjT5_SW_jjP12ihipStream_tbEUlT_E1_NS1_11comp_targetILNS1_3genE10ELNS1_11target_archE1200ELNS1_3gpuE4ELNS1_3repE0EEENS1_59segmented_radix_sort_warp_sort_small_config_static_selectorELNS0_4arch9wavefront6targetE0EEEvSK_,"axG",@progbits,_ZN7rocprim17ROCPRIM_400000_NS6detail17trampoline_kernelINS0_14default_configENS1_36segmented_radix_sort_config_selectorIdlEEZNS1_25segmented_radix_sort_implIS3_Lb1EPKdPdPKlPlN2at6native12_GLOBAL__N_18offset_tEEE10hipError_tPvRmT1_PNSt15iterator_traitsISK_E10value_typeET2_T3_PNSL_ISQ_E10value_typeET4_jRbjT5_SW_jjP12ihipStream_tbEUlT_E1_NS1_11comp_targetILNS1_3genE10ELNS1_11target_archE1200ELNS1_3gpuE4ELNS1_3repE0EEENS1_59segmented_radix_sort_warp_sort_small_config_static_selectorELNS0_4arch9wavefront6targetE0EEEvSK_,comdat
.Lfunc_end1145:
	.size	_ZN7rocprim17ROCPRIM_400000_NS6detail17trampoline_kernelINS0_14default_configENS1_36segmented_radix_sort_config_selectorIdlEEZNS1_25segmented_radix_sort_implIS3_Lb1EPKdPdPKlPlN2at6native12_GLOBAL__N_18offset_tEEE10hipError_tPvRmT1_PNSt15iterator_traitsISK_E10value_typeET2_T3_PNSL_ISQ_E10value_typeET4_jRbjT5_SW_jjP12ihipStream_tbEUlT_E1_NS1_11comp_targetILNS1_3genE10ELNS1_11target_archE1200ELNS1_3gpuE4ELNS1_3repE0EEENS1_59segmented_radix_sort_warp_sort_small_config_static_selectorELNS0_4arch9wavefront6targetE0EEEvSK_, .Lfunc_end1145-_ZN7rocprim17ROCPRIM_400000_NS6detail17trampoline_kernelINS0_14default_configENS1_36segmented_radix_sort_config_selectorIdlEEZNS1_25segmented_radix_sort_implIS3_Lb1EPKdPdPKlPlN2at6native12_GLOBAL__N_18offset_tEEE10hipError_tPvRmT1_PNSt15iterator_traitsISK_E10value_typeET2_T3_PNSL_ISQ_E10value_typeET4_jRbjT5_SW_jjP12ihipStream_tbEUlT_E1_NS1_11comp_targetILNS1_3genE10ELNS1_11target_archE1200ELNS1_3gpuE4ELNS1_3repE0EEENS1_59segmented_radix_sort_warp_sort_small_config_static_selectorELNS0_4arch9wavefront6targetE0EEEvSK_
                                        ; -- End function
	.set _ZN7rocprim17ROCPRIM_400000_NS6detail17trampoline_kernelINS0_14default_configENS1_36segmented_radix_sort_config_selectorIdlEEZNS1_25segmented_radix_sort_implIS3_Lb1EPKdPdPKlPlN2at6native12_GLOBAL__N_18offset_tEEE10hipError_tPvRmT1_PNSt15iterator_traitsISK_E10value_typeET2_T3_PNSL_ISQ_E10value_typeET4_jRbjT5_SW_jjP12ihipStream_tbEUlT_E1_NS1_11comp_targetILNS1_3genE10ELNS1_11target_archE1200ELNS1_3gpuE4ELNS1_3repE0EEENS1_59segmented_radix_sort_warp_sort_small_config_static_selectorELNS0_4arch9wavefront6targetE0EEEvSK_.num_vgpr, 0
	.set _ZN7rocprim17ROCPRIM_400000_NS6detail17trampoline_kernelINS0_14default_configENS1_36segmented_radix_sort_config_selectorIdlEEZNS1_25segmented_radix_sort_implIS3_Lb1EPKdPdPKlPlN2at6native12_GLOBAL__N_18offset_tEEE10hipError_tPvRmT1_PNSt15iterator_traitsISK_E10value_typeET2_T3_PNSL_ISQ_E10value_typeET4_jRbjT5_SW_jjP12ihipStream_tbEUlT_E1_NS1_11comp_targetILNS1_3genE10ELNS1_11target_archE1200ELNS1_3gpuE4ELNS1_3repE0EEENS1_59segmented_radix_sort_warp_sort_small_config_static_selectorELNS0_4arch9wavefront6targetE0EEEvSK_.num_agpr, 0
	.set _ZN7rocprim17ROCPRIM_400000_NS6detail17trampoline_kernelINS0_14default_configENS1_36segmented_radix_sort_config_selectorIdlEEZNS1_25segmented_radix_sort_implIS3_Lb1EPKdPdPKlPlN2at6native12_GLOBAL__N_18offset_tEEE10hipError_tPvRmT1_PNSt15iterator_traitsISK_E10value_typeET2_T3_PNSL_ISQ_E10value_typeET4_jRbjT5_SW_jjP12ihipStream_tbEUlT_E1_NS1_11comp_targetILNS1_3genE10ELNS1_11target_archE1200ELNS1_3gpuE4ELNS1_3repE0EEENS1_59segmented_radix_sort_warp_sort_small_config_static_selectorELNS0_4arch9wavefront6targetE0EEEvSK_.numbered_sgpr, 0
	.set _ZN7rocprim17ROCPRIM_400000_NS6detail17trampoline_kernelINS0_14default_configENS1_36segmented_radix_sort_config_selectorIdlEEZNS1_25segmented_radix_sort_implIS3_Lb1EPKdPdPKlPlN2at6native12_GLOBAL__N_18offset_tEEE10hipError_tPvRmT1_PNSt15iterator_traitsISK_E10value_typeET2_T3_PNSL_ISQ_E10value_typeET4_jRbjT5_SW_jjP12ihipStream_tbEUlT_E1_NS1_11comp_targetILNS1_3genE10ELNS1_11target_archE1200ELNS1_3gpuE4ELNS1_3repE0EEENS1_59segmented_radix_sort_warp_sort_small_config_static_selectorELNS0_4arch9wavefront6targetE0EEEvSK_.num_named_barrier, 0
	.set _ZN7rocprim17ROCPRIM_400000_NS6detail17trampoline_kernelINS0_14default_configENS1_36segmented_radix_sort_config_selectorIdlEEZNS1_25segmented_radix_sort_implIS3_Lb1EPKdPdPKlPlN2at6native12_GLOBAL__N_18offset_tEEE10hipError_tPvRmT1_PNSt15iterator_traitsISK_E10value_typeET2_T3_PNSL_ISQ_E10value_typeET4_jRbjT5_SW_jjP12ihipStream_tbEUlT_E1_NS1_11comp_targetILNS1_3genE10ELNS1_11target_archE1200ELNS1_3gpuE4ELNS1_3repE0EEENS1_59segmented_radix_sort_warp_sort_small_config_static_selectorELNS0_4arch9wavefront6targetE0EEEvSK_.private_seg_size, 0
	.set _ZN7rocprim17ROCPRIM_400000_NS6detail17trampoline_kernelINS0_14default_configENS1_36segmented_radix_sort_config_selectorIdlEEZNS1_25segmented_radix_sort_implIS3_Lb1EPKdPdPKlPlN2at6native12_GLOBAL__N_18offset_tEEE10hipError_tPvRmT1_PNSt15iterator_traitsISK_E10value_typeET2_T3_PNSL_ISQ_E10value_typeET4_jRbjT5_SW_jjP12ihipStream_tbEUlT_E1_NS1_11comp_targetILNS1_3genE10ELNS1_11target_archE1200ELNS1_3gpuE4ELNS1_3repE0EEENS1_59segmented_radix_sort_warp_sort_small_config_static_selectorELNS0_4arch9wavefront6targetE0EEEvSK_.uses_vcc, 0
	.set _ZN7rocprim17ROCPRIM_400000_NS6detail17trampoline_kernelINS0_14default_configENS1_36segmented_radix_sort_config_selectorIdlEEZNS1_25segmented_radix_sort_implIS3_Lb1EPKdPdPKlPlN2at6native12_GLOBAL__N_18offset_tEEE10hipError_tPvRmT1_PNSt15iterator_traitsISK_E10value_typeET2_T3_PNSL_ISQ_E10value_typeET4_jRbjT5_SW_jjP12ihipStream_tbEUlT_E1_NS1_11comp_targetILNS1_3genE10ELNS1_11target_archE1200ELNS1_3gpuE4ELNS1_3repE0EEENS1_59segmented_radix_sort_warp_sort_small_config_static_selectorELNS0_4arch9wavefront6targetE0EEEvSK_.uses_flat_scratch, 0
	.set _ZN7rocprim17ROCPRIM_400000_NS6detail17trampoline_kernelINS0_14default_configENS1_36segmented_radix_sort_config_selectorIdlEEZNS1_25segmented_radix_sort_implIS3_Lb1EPKdPdPKlPlN2at6native12_GLOBAL__N_18offset_tEEE10hipError_tPvRmT1_PNSt15iterator_traitsISK_E10value_typeET2_T3_PNSL_ISQ_E10value_typeET4_jRbjT5_SW_jjP12ihipStream_tbEUlT_E1_NS1_11comp_targetILNS1_3genE10ELNS1_11target_archE1200ELNS1_3gpuE4ELNS1_3repE0EEENS1_59segmented_radix_sort_warp_sort_small_config_static_selectorELNS0_4arch9wavefront6targetE0EEEvSK_.has_dyn_sized_stack, 0
	.set _ZN7rocprim17ROCPRIM_400000_NS6detail17trampoline_kernelINS0_14default_configENS1_36segmented_radix_sort_config_selectorIdlEEZNS1_25segmented_radix_sort_implIS3_Lb1EPKdPdPKlPlN2at6native12_GLOBAL__N_18offset_tEEE10hipError_tPvRmT1_PNSt15iterator_traitsISK_E10value_typeET2_T3_PNSL_ISQ_E10value_typeET4_jRbjT5_SW_jjP12ihipStream_tbEUlT_E1_NS1_11comp_targetILNS1_3genE10ELNS1_11target_archE1200ELNS1_3gpuE4ELNS1_3repE0EEENS1_59segmented_radix_sort_warp_sort_small_config_static_selectorELNS0_4arch9wavefront6targetE0EEEvSK_.has_recursion, 0
	.set _ZN7rocprim17ROCPRIM_400000_NS6detail17trampoline_kernelINS0_14default_configENS1_36segmented_radix_sort_config_selectorIdlEEZNS1_25segmented_radix_sort_implIS3_Lb1EPKdPdPKlPlN2at6native12_GLOBAL__N_18offset_tEEE10hipError_tPvRmT1_PNSt15iterator_traitsISK_E10value_typeET2_T3_PNSL_ISQ_E10value_typeET4_jRbjT5_SW_jjP12ihipStream_tbEUlT_E1_NS1_11comp_targetILNS1_3genE10ELNS1_11target_archE1200ELNS1_3gpuE4ELNS1_3repE0EEENS1_59segmented_radix_sort_warp_sort_small_config_static_selectorELNS0_4arch9wavefront6targetE0EEEvSK_.has_indirect_call, 0
	.section	.AMDGPU.csdata,"",@progbits
; Kernel info:
; codeLenInByte = 0
; TotalNumSgprs: 0
; NumVgprs: 0
; ScratchSize: 0
; MemoryBound: 0
; FloatMode: 240
; IeeeMode: 1
; LDSByteSize: 0 bytes/workgroup (compile time only)
; SGPRBlocks: 0
; VGPRBlocks: 0
; NumSGPRsForWavesPerEU: 1
; NumVGPRsForWavesPerEU: 1
; Occupancy: 16
; WaveLimiterHint : 0
; COMPUTE_PGM_RSRC2:SCRATCH_EN: 0
; COMPUTE_PGM_RSRC2:USER_SGPR: 2
; COMPUTE_PGM_RSRC2:TRAP_HANDLER: 0
; COMPUTE_PGM_RSRC2:TGID_X_EN: 1
; COMPUTE_PGM_RSRC2:TGID_Y_EN: 0
; COMPUTE_PGM_RSRC2:TGID_Z_EN: 0
; COMPUTE_PGM_RSRC2:TIDIG_COMP_CNT: 0
	.section	.text._ZN7rocprim17ROCPRIM_400000_NS6detail17trampoline_kernelINS0_14default_configENS1_36segmented_radix_sort_config_selectorIdlEEZNS1_25segmented_radix_sort_implIS3_Lb1EPKdPdPKlPlN2at6native12_GLOBAL__N_18offset_tEEE10hipError_tPvRmT1_PNSt15iterator_traitsISK_E10value_typeET2_T3_PNSL_ISQ_E10value_typeET4_jRbjT5_SW_jjP12ihipStream_tbEUlT_E1_NS1_11comp_targetILNS1_3genE9ELNS1_11target_archE1100ELNS1_3gpuE3ELNS1_3repE0EEENS1_59segmented_radix_sort_warp_sort_small_config_static_selectorELNS0_4arch9wavefront6targetE0EEEvSK_,"axG",@progbits,_ZN7rocprim17ROCPRIM_400000_NS6detail17trampoline_kernelINS0_14default_configENS1_36segmented_radix_sort_config_selectorIdlEEZNS1_25segmented_radix_sort_implIS3_Lb1EPKdPdPKlPlN2at6native12_GLOBAL__N_18offset_tEEE10hipError_tPvRmT1_PNSt15iterator_traitsISK_E10value_typeET2_T3_PNSL_ISQ_E10value_typeET4_jRbjT5_SW_jjP12ihipStream_tbEUlT_E1_NS1_11comp_targetILNS1_3genE9ELNS1_11target_archE1100ELNS1_3gpuE3ELNS1_3repE0EEENS1_59segmented_radix_sort_warp_sort_small_config_static_selectorELNS0_4arch9wavefront6targetE0EEEvSK_,comdat
	.globl	_ZN7rocprim17ROCPRIM_400000_NS6detail17trampoline_kernelINS0_14default_configENS1_36segmented_radix_sort_config_selectorIdlEEZNS1_25segmented_radix_sort_implIS3_Lb1EPKdPdPKlPlN2at6native12_GLOBAL__N_18offset_tEEE10hipError_tPvRmT1_PNSt15iterator_traitsISK_E10value_typeET2_T3_PNSL_ISQ_E10value_typeET4_jRbjT5_SW_jjP12ihipStream_tbEUlT_E1_NS1_11comp_targetILNS1_3genE9ELNS1_11target_archE1100ELNS1_3gpuE3ELNS1_3repE0EEENS1_59segmented_radix_sort_warp_sort_small_config_static_selectorELNS0_4arch9wavefront6targetE0EEEvSK_ ; -- Begin function _ZN7rocprim17ROCPRIM_400000_NS6detail17trampoline_kernelINS0_14default_configENS1_36segmented_radix_sort_config_selectorIdlEEZNS1_25segmented_radix_sort_implIS3_Lb1EPKdPdPKlPlN2at6native12_GLOBAL__N_18offset_tEEE10hipError_tPvRmT1_PNSt15iterator_traitsISK_E10value_typeET2_T3_PNSL_ISQ_E10value_typeET4_jRbjT5_SW_jjP12ihipStream_tbEUlT_E1_NS1_11comp_targetILNS1_3genE9ELNS1_11target_archE1100ELNS1_3gpuE3ELNS1_3repE0EEENS1_59segmented_radix_sort_warp_sort_small_config_static_selectorELNS0_4arch9wavefront6targetE0EEEvSK_
	.p2align	8
	.type	_ZN7rocprim17ROCPRIM_400000_NS6detail17trampoline_kernelINS0_14default_configENS1_36segmented_radix_sort_config_selectorIdlEEZNS1_25segmented_radix_sort_implIS3_Lb1EPKdPdPKlPlN2at6native12_GLOBAL__N_18offset_tEEE10hipError_tPvRmT1_PNSt15iterator_traitsISK_E10value_typeET2_T3_PNSL_ISQ_E10value_typeET4_jRbjT5_SW_jjP12ihipStream_tbEUlT_E1_NS1_11comp_targetILNS1_3genE9ELNS1_11target_archE1100ELNS1_3gpuE3ELNS1_3repE0EEENS1_59segmented_radix_sort_warp_sort_small_config_static_selectorELNS0_4arch9wavefront6targetE0EEEvSK_,@function
_ZN7rocprim17ROCPRIM_400000_NS6detail17trampoline_kernelINS0_14default_configENS1_36segmented_radix_sort_config_selectorIdlEEZNS1_25segmented_radix_sort_implIS3_Lb1EPKdPdPKlPlN2at6native12_GLOBAL__N_18offset_tEEE10hipError_tPvRmT1_PNSt15iterator_traitsISK_E10value_typeET2_T3_PNSL_ISQ_E10value_typeET4_jRbjT5_SW_jjP12ihipStream_tbEUlT_E1_NS1_11comp_targetILNS1_3genE9ELNS1_11target_archE1100ELNS1_3gpuE3ELNS1_3repE0EEENS1_59segmented_radix_sort_warp_sort_small_config_static_selectorELNS0_4arch9wavefront6targetE0EEEvSK_: ; @_ZN7rocprim17ROCPRIM_400000_NS6detail17trampoline_kernelINS0_14default_configENS1_36segmented_radix_sort_config_selectorIdlEEZNS1_25segmented_radix_sort_implIS3_Lb1EPKdPdPKlPlN2at6native12_GLOBAL__N_18offset_tEEE10hipError_tPvRmT1_PNSt15iterator_traitsISK_E10value_typeET2_T3_PNSL_ISQ_E10value_typeET4_jRbjT5_SW_jjP12ihipStream_tbEUlT_E1_NS1_11comp_targetILNS1_3genE9ELNS1_11target_archE1100ELNS1_3gpuE3ELNS1_3repE0EEENS1_59segmented_radix_sort_warp_sort_small_config_static_selectorELNS0_4arch9wavefront6targetE0EEEvSK_
; %bb.0:
	.section	.rodata,"a",@progbits
	.p2align	6, 0x0
	.amdhsa_kernel _ZN7rocprim17ROCPRIM_400000_NS6detail17trampoline_kernelINS0_14default_configENS1_36segmented_radix_sort_config_selectorIdlEEZNS1_25segmented_radix_sort_implIS3_Lb1EPKdPdPKlPlN2at6native12_GLOBAL__N_18offset_tEEE10hipError_tPvRmT1_PNSt15iterator_traitsISK_E10value_typeET2_T3_PNSL_ISQ_E10value_typeET4_jRbjT5_SW_jjP12ihipStream_tbEUlT_E1_NS1_11comp_targetILNS1_3genE9ELNS1_11target_archE1100ELNS1_3gpuE3ELNS1_3repE0EEENS1_59segmented_radix_sort_warp_sort_small_config_static_selectorELNS0_4arch9wavefront6targetE0EEEvSK_
		.amdhsa_group_segment_fixed_size 0
		.amdhsa_private_segment_fixed_size 0
		.amdhsa_kernarg_size 88
		.amdhsa_user_sgpr_count 2
		.amdhsa_user_sgpr_dispatch_ptr 0
		.amdhsa_user_sgpr_queue_ptr 0
		.amdhsa_user_sgpr_kernarg_segment_ptr 1
		.amdhsa_user_sgpr_dispatch_id 0
		.amdhsa_user_sgpr_private_segment_size 0
		.amdhsa_wavefront_size32 1
		.amdhsa_uses_dynamic_stack 0
		.amdhsa_enable_private_segment 0
		.amdhsa_system_sgpr_workgroup_id_x 1
		.amdhsa_system_sgpr_workgroup_id_y 0
		.amdhsa_system_sgpr_workgroup_id_z 0
		.amdhsa_system_sgpr_workgroup_info 0
		.amdhsa_system_vgpr_workitem_id 0
		.amdhsa_next_free_vgpr 1
		.amdhsa_next_free_sgpr 1
		.amdhsa_reserve_vcc 0
		.amdhsa_float_round_mode_32 0
		.amdhsa_float_round_mode_16_64 0
		.amdhsa_float_denorm_mode_32 3
		.amdhsa_float_denorm_mode_16_64 3
		.amdhsa_fp16_overflow 0
		.amdhsa_workgroup_processor_mode 1
		.amdhsa_memory_ordered 1
		.amdhsa_forward_progress 1
		.amdhsa_inst_pref_size 0
		.amdhsa_round_robin_scheduling 0
		.amdhsa_exception_fp_ieee_invalid_op 0
		.amdhsa_exception_fp_denorm_src 0
		.amdhsa_exception_fp_ieee_div_zero 0
		.amdhsa_exception_fp_ieee_overflow 0
		.amdhsa_exception_fp_ieee_underflow 0
		.amdhsa_exception_fp_ieee_inexact 0
		.amdhsa_exception_int_div_zero 0
	.end_amdhsa_kernel
	.section	.text._ZN7rocprim17ROCPRIM_400000_NS6detail17trampoline_kernelINS0_14default_configENS1_36segmented_radix_sort_config_selectorIdlEEZNS1_25segmented_radix_sort_implIS3_Lb1EPKdPdPKlPlN2at6native12_GLOBAL__N_18offset_tEEE10hipError_tPvRmT1_PNSt15iterator_traitsISK_E10value_typeET2_T3_PNSL_ISQ_E10value_typeET4_jRbjT5_SW_jjP12ihipStream_tbEUlT_E1_NS1_11comp_targetILNS1_3genE9ELNS1_11target_archE1100ELNS1_3gpuE3ELNS1_3repE0EEENS1_59segmented_radix_sort_warp_sort_small_config_static_selectorELNS0_4arch9wavefront6targetE0EEEvSK_,"axG",@progbits,_ZN7rocprim17ROCPRIM_400000_NS6detail17trampoline_kernelINS0_14default_configENS1_36segmented_radix_sort_config_selectorIdlEEZNS1_25segmented_radix_sort_implIS3_Lb1EPKdPdPKlPlN2at6native12_GLOBAL__N_18offset_tEEE10hipError_tPvRmT1_PNSt15iterator_traitsISK_E10value_typeET2_T3_PNSL_ISQ_E10value_typeET4_jRbjT5_SW_jjP12ihipStream_tbEUlT_E1_NS1_11comp_targetILNS1_3genE9ELNS1_11target_archE1100ELNS1_3gpuE3ELNS1_3repE0EEENS1_59segmented_radix_sort_warp_sort_small_config_static_selectorELNS0_4arch9wavefront6targetE0EEEvSK_,comdat
.Lfunc_end1146:
	.size	_ZN7rocprim17ROCPRIM_400000_NS6detail17trampoline_kernelINS0_14default_configENS1_36segmented_radix_sort_config_selectorIdlEEZNS1_25segmented_radix_sort_implIS3_Lb1EPKdPdPKlPlN2at6native12_GLOBAL__N_18offset_tEEE10hipError_tPvRmT1_PNSt15iterator_traitsISK_E10value_typeET2_T3_PNSL_ISQ_E10value_typeET4_jRbjT5_SW_jjP12ihipStream_tbEUlT_E1_NS1_11comp_targetILNS1_3genE9ELNS1_11target_archE1100ELNS1_3gpuE3ELNS1_3repE0EEENS1_59segmented_radix_sort_warp_sort_small_config_static_selectorELNS0_4arch9wavefront6targetE0EEEvSK_, .Lfunc_end1146-_ZN7rocprim17ROCPRIM_400000_NS6detail17trampoline_kernelINS0_14default_configENS1_36segmented_radix_sort_config_selectorIdlEEZNS1_25segmented_radix_sort_implIS3_Lb1EPKdPdPKlPlN2at6native12_GLOBAL__N_18offset_tEEE10hipError_tPvRmT1_PNSt15iterator_traitsISK_E10value_typeET2_T3_PNSL_ISQ_E10value_typeET4_jRbjT5_SW_jjP12ihipStream_tbEUlT_E1_NS1_11comp_targetILNS1_3genE9ELNS1_11target_archE1100ELNS1_3gpuE3ELNS1_3repE0EEENS1_59segmented_radix_sort_warp_sort_small_config_static_selectorELNS0_4arch9wavefront6targetE0EEEvSK_
                                        ; -- End function
	.set _ZN7rocprim17ROCPRIM_400000_NS6detail17trampoline_kernelINS0_14default_configENS1_36segmented_radix_sort_config_selectorIdlEEZNS1_25segmented_radix_sort_implIS3_Lb1EPKdPdPKlPlN2at6native12_GLOBAL__N_18offset_tEEE10hipError_tPvRmT1_PNSt15iterator_traitsISK_E10value_typeET2_T3_PNSL_ISQ_E10value_typeET4_jRbjT5_SW_jjP12ihipStream_tbEUlT_E1_NS1_11comp_targetILNS1_3genE9ELNS1_11target_archE1100ELNS1_3gpuE3ELNS1_3repE0EEENS1_59segmented_radix_sort_warp_sort_small_config_static_selectorELNS0_4arch9wavefront6targetE0EEEvSK_.num_vgpr, 0
	.set _ZN7rocprim17ROCPRIM_400000_NS6detail17trampoline_kernelINS0_14default_configENS1_36segmented_radix_sort_config_selectorIdlEEZNS1_25segmented_radix_sort_implIS3_Lb1EPKdPdPKlPlN2at6native12_GLOBAL__N_18offset_tEEE10hipError_tPvRmT1_PNSt15iterator_traitsISK_E10value_typeET2_T3_PNSL_ISQ_E10value_typeET4_jRbjT5_SW_jjP12ihipStream_tbEUlT_E1_NS1_11comp_targetILNS1_3genE9ELNS1_11target_archE1100ELNS1_3gpuE3ELNS1_3repE0EEENS1_59segmented_radix_sort_warp_sort_small_config_static_selectorELNS0_4arch9wavefront6targetE0EEEvSK_.num_agpr, 0
	.set _ZN7rocprim17ROCPRIM_400000_NS6detail17trampoline_kernelINS0_14default_configENS1_36segmented_radix_sort_config_selectorIdlEEZNS1_25segmented_radix_sort_implIS3_Lb1EPKdPdPKlPlN2at6native12_GLOBAL__N_18offset_tEEE10hipError_tPvRmT1_PNSt15iterator_traitsISK_E10value_typeET2_T3_PNSL_ISQ_E10value_typeET4_jRbjT5_SW_jjP12ihipStream_tbEUlT_E1_NS1_11comp_targetILNS1_3genE9ELNS1_11target_archE1100ELNS1_3gpuE3ELNS1_3repE0EEENS1_59segmented_radix_sort_warp_sort_small_config_static_selectorELNS0_4arch9wavefront6targetE0EEEvSK_.numbered_sgpr, 0
	.set _ZN7rocprim17ROCPRIM_400000_NS6detail17trampoline_kernelINS0_14default_configENS1_36segmented_radix_sort_config_selectorIdlEEZNS1_25segmented_radix_sort_implIS3_Lb1EPKdPdPKlPlN2at6native12_GLOBAL__N_18offset_tEEE10hipError_tPvRmT1_PNSt15iterator_traitsISK_E10value_typeET2_T3_PNSL_ISQ_E10value_typeET4_jRbjT5_SW_jjP12ihipStream_tbEUlT_E1_NS1_11comp_targetILNS1_3genE9ELNS1_11target_archE1100ELNS1_3gpuE3ELNS1_3repE0EEENS1_59segmented_radix_sort_warp_sort_small_config_static_selectorELNS0_4arch9wavefront6targetE0EEEvSK_.num_named_barrier, 0
	.set _ZN7rocprim17ROCPRIM_400000_NS6detail17trampoline_kernelINS0_14default_configENS1_36segmented_radix_sort_config_selectorIdlEEZNS1_25segmented_radix_sort_implIS3_Lb1EPKdPdPKlPlN2at6native12_GLOBAL__N_18offset_tEEE10hipError_tPvRmT1_PNSt15iterator_traitsISK_E10value_typeET2_T3_PNSL_ISQ_E10value_typeET4_jRbjT5_SW_jjP12ihipStream_tbEUlT_E1_NS1_11comp_targetILNS1_3genE9ELNS1_11target_archE1100ELNS1_3gpuE3ELNS1_3repE0EEENS1_59segmented_radix_sort_warp_sort_small_config_static_selectorELNS0_4arch9wavefront6targetE0EEEvSK_.private_seg_size, 0
	.set _ZN7rocprim17ROCPRIM_400000_NS6detail17trampoline_kernelINS0_14default_configENS1_36segmented_radix_sort_config_selectorIdlEEZNS1_25segmented_radix_sort_implIS3_Lb1EPKdPdPKlPlN2at6native12_GLOBAL__N_18offset_tEEE10hipError_tPvRmT1_PNSt15iterator_traitsISK_E10value_typeET2_T3_PNSL_ISQ_E10value_typeET4_jRbjT5_SW_jjP12ihipStream_tbEUlT_E1_NS1_11comp_targetILNS1_3genE9ELNS1_11target_archE1100ELNS1_3gpuE3ELNS1_3repE0EEENS1_59segmented_radix_sort_warp_sort_small_config_static_selectorELNS0_4arch9wavefront6targetE0EEEvSK_.uses_vcc, 0
	.set _ZN7rocprim17ROCPRIM_400000_NS6detail17trampoline_kernelINS0_14default_configENS1_36segmented_radix_sort_config_selectorIdlEEZNS1_25segmented_radix_sort_implIS3_Lb1EPKdPdPKlPlN2at6native12_GLOBAL__N_18offset_tEEE10hipError_tPvRmT1_PNSt15iterator_traitsISK_E10value_typeET2_T3_PNSL_ISQ_E10value_typeET4_jRbjT5_SW_jjP12ihipStream_tbEUlT_E1_NS1_11comp_targetILNS1_3genE9ELNS1_11target_archE1100ELNS1_3gpuE3ELNS1_3repE0EEENS1_59segmented_radix_sort_warp_sort_small_config_static_selectorELNS0_4arch9wavefront6targetE0EEEvSK_.uses_flat_scratch, 0
	.set _ZN7rocprim17ROCPRIM_400000_NS6detail17trampoline_kernelINS0_14default_configENS1_36segmented_radix_sort_config_selectorIdlEEZNS1_25segmented_radix_sort_implIS3_Lb1EPKdPdPKlPlN2at6native12_GLOBAL__N_18offset_tEEE10hipError_tPvRmT1_PNSt15iterator_traitsISK_E10value_typeET2_T3_PNSL_ISQ_E10value_typeET4_jRbjT5_SW_jjP12ihipStream_tbEUlT_E1_NS1_11comp_targetILNS1_3genE9ELNS1_11target_archE1100ELNS1_3gpuE3ELNS1_3repE0EEENS1_59segmented_radix_sort_warp_sort_small_config_static_selectorELNS0_4arch9wavefront6targetE0EEEvSK_.has_dyn_sized_stack, 0
	.set _ZN7rocprim17ROCPRIM_400000_NS6detail17trampoline_kernelINS0_14default_configENS1_36segmented_radix_sort_config_selectorIdlEEZNS1_25segmented_radix_sort_implIS3_Lb1EPKdPdPKlPlN2at6native12_GLOBAL__N_18offset_tEEE10hipError_tPvRmT1_PNSt15iterator_traitsISK_E10value_typeET2_T3_PNSL_ISQ_E10value_typeET4_jRbjT5_SW_jjP12ihipStream_tbEUlT_E1_NS1_11comp_targetILNS1_3genE9ELNS1_11target_archE1100ELNS1_3gpuE3ELNS1_3repE0EEENS1_59segmented_radix_sort_warp_sort_small_config_static_selectorELNS0_4arch9wavefront6targetE0EEEvSK_.has_recursion, 0
	.set _ZN7rocprim17ROCPRIM_400000_NS6detail17trampoline_kernelINS0_14default_configENS1_36segmented_radix_sort_config_selectorIdlEEZNS1_25segmented_radix_sort_implIS3_Lb1EPKdPdPKlPlN2at6native12_GLOBAL__N_18offset_tEEE10hipError_tPvRmT1_PNSt15iterator_traitsISK_E10value_typeET2_T3_PNSL_ISQ_E10value_typeET4_jRbjT5_SW_jjP12ihipStream_tbEUlT_E1_NS1_11comp_targetILNS1_3genE9ELNS1_11target_archE1100ELNS1_3gpuE3ELNS1_3repE0EEENS1_59segmented_radix_sort_warp_sort_small_config_static_selectorELNS0_4arch9wavefront6targetE0EEEvSK_.has_indirect_call, 0
	.section	.AMDGPU.csdata,"",@progbits
; Kernel info:
; codeLenInByte = 0
; TotalNumSgprs: 0
; NumVgprs: 0
; ScratchSize: 0
; MemoryBound: 0
; FloatMode: 240
; IeeeMode: 1
; LDSByteSize: 0 bytes/workgroup (compile time only)
; SGPRBlocks: 0
; VGPRBlocks: 0
; NumSGPRsForWavesPerEU: 1
; NumVGPRsForWavesPerEU: 1
; Occupancy: 16
; WaveLimiterHint : 0
; COMPUTE_PGM_RSRC2:SCRATCH_EN: 0
; COMPUTE_PGM_RSRC2:USER_SGPR: 2
; COMPUTE_PGM_RSRC2:TRAP_HANDLER: 0
; COMPUTE_PGM_RSRC2:TGID_X_EN: 1
; COMPUTE_PGM_RSRC2:TGID_Y_EN: 0
; COMPUTE_PGM_RSRC2:TGID_Z_EN: 0
; COMPUTE_PGM_RSRC2:TIDIG_COMP_CNT: 0
	.section	.text._ZN7rocprim17ROCPRIM_400000_NS6detail17trampoline_kernelINS0_14default_configENS1_36segmented_radix_sort_config_selectorIdlEEZNS1_25segmented_radix_sort_implIS3_Lb1EPKdPdPKlPlN2at6native12_GLOBAL__N_18offset_tEEE10hipError_tPvRmT1_PNSt15iterator_traitsISK_E10value_typeET2_T3_PNSL_ISQ_E10value_typeET4_jRbjT5_SW_jjP12ihipStream_tbEUlT_E1_NS1_11comp_targetILNS1_3genE8ELNS1_11target_archE1030ELNS1_3gpuE2ELNS1_3repE0EEENS1_59segmented_radix_sort_warp_sort_small_config_static_selectorELNS0_4arch9wavefront6targetE0EEEvSK_,"axG",@progbits,_ZN7rocprim17ROCPRIM_400000_NS6detail17trampoline_kernelINS0_14default_configENS1_36segmented_radix_sort_config_selectorIdlEEZNS1_25segmented_radix_sort_implIS3_Lb1EPKdPdPKlPlN2at6native12_GLOBAL__N_18offset_tEEE10hipError_tPvRmT1_PNSt15iterator_traitsISK_E10value_typeET2_T3_PNSL_ISQ_E10value_typeET4_jRbjT5_SW_jjP12ihipStream_tbEUlT_E1_NS1_11comp_targetILNS1_3genE8ELNS1_11target_archE1030ELNS1_3gpuE2ELNS1_3repE0EEENS1_59segmented_radix_sort_warp_sort_small_config_static_selectorELNS0_4arch9wavefront6targetE0EEEvSK_,comdat
	.globl	_ZN7rocprim17ROCPRIM_400000_NS6detail17trampoline_kernelINS0_14default_configENS1_36segmented_radix_sort_config_selectorIdlEEZNS1_25segmented_radix_sort_implIS3_Lb1EPKdPdPKlPlN2at6native12_GLOBAL__N_18offset_tEEE10hipError_tPvRmT1_PNSt15iterator_traitsISK_E10value_typeET2_T3_PNSL_ISQ_E10value_typeET4_jRbjT5_SW_jjP12ihipStream_tbEUlT_E1_NS1_11comp_targetILNS1_3genE8ELNS1_11target_archE1030ELNS1_3gpuE2ELNS1_3repE0EEENS1_59segmented_radix_sort_warp_sort_small_config_static_selectorELNS0_4arch9wavefront6targetE0EEEvSK_ ; -- Begin function _ZN7rocprim17ROCPRIM_400000_NS6detail17trampoline_kernelINS0_14default_configENS1_36segmented_radix_sort_config_selectorIdlEEZNS1_25segmented_radix_sort_implIS3_Lb1EPKdPdPKlPlN2at6native12_GLOBAL__N_18offset_tEEE10hipError_tPvRmT1_PNSt15iterator_traitsISK_E10value_typeET2_T3_PNSL_ISQ_E10value_typeET4_jRbjT5_SW_jjP12ihipStream_tbEUlT_E1_NS1_11comp_targetILNS1_3genE8ELNS1_11target_archE1030ELNS1_3gpuE2ELNS1_3repE0EEENS1_59segmented_radix_sort_warp_sort_small_config_static_selectorELNS0_4arch9wavefront6targetE0EEEvSK_
	.p2align	8
	.type	_ZN7rocprim17ROCPRIM_400000_NS6detail17trampoline_kernelINS0_14default_configENS1_36segmented_radix_sort_config_selectorIdlEEZNS1_25segmented_radix_sort_implIS3_Lb1EPKdPdPKlPlN2at6native12_GLOBAL__N_18offset_tEEE10hipError_tPvRmT1_PNSt15iterator_traitsISK_E10value_typeET2_T3_PNSL_ISQ_E10value_typeET4_jRbjT5_SW_jjP12ihipStream_tbEUlT_E1_NS1_11comp_targetILNS1_3genE8ELNS1_11target_archE1030ELNS1_3gpuE2ELNS1_3repE0EEENS1_59segmented_radix_sort_warp_sort_small_config_static_selectorELNS0_4arch9wavefront6targetE0EEEvSK_,@function
_ZN7rocprim17ROCPRIM_400000_NS6detail17trampoline_kernelINS0_14default_configENS1_36segmented_radix_sort_config_selectorIdlEEZNS1_25segmented_radix_sort_implIS3_Lb1EPKdPdPKlPlN2at6native12_GLOBAL__N_18offset_tEEE10hipError_tPvRmT1_PNSt15iterator_traitsISK_E10value_typeET2_T3_PNSL_ISQ_E10value_typeET4_jRbjT5_SW_jjP12ihipStream_tbEUlT_E1_NS1_11comp_targetILNS1_3genE8ELNS1_11target_archE1030ELNS1_3gpuE2ELNS1_3repE0EEENS1_59segmented_radix_sort_warp_sort_small_config_static_selectorELNS0_4arch9wavefront6targetE0EEEvSK_: ; @_ZN7rocprim17ROCPRIM_400000_NS6detail17trampoline_kernelINS0_14default_configENS1_36segmented_radix_sort_config_selectorIdlEEZNS1_25segmented_radix_sort_implIS3_Lb1EPKdPdPKlPlN2at6native12_GLOBAL__N_18offset_tEEE10hipError_tPvRmT1_PNSt15iterator_traitsISK_E10value_typeET2_T3_PNSL_ISQ_E10value_typeET4_jRbjT5_SW_jjP12ihipStream_tbEUlT_E1_NS1_11comp_targetILNS1_3genE8ELNS1_11target_archE1030ELNS1_3gpuE2ELNS1_3repE0EEENS1_59segmented_radix_sort_warp_sort_small_config_static_selectorELNS0_4arch9wavefront6targetE0EEEvSK_
; %bb.0:
	.section	.rodata,"a",@progbits
	.p2align	6, 0x0
	.amdhsa_kernel _ZN7rocprim17ROCPRIM_400000_NS6detail17trampoline_kernelINS0_14default_configENS1_36segmented_radix_sort_config_selectorIdlEEZNS1_25segmented_radix_sort_implIS3_Lb1EPKdPdPKlPlN2at6native12_GLOBAL__N_18offset_tEEE10hipError_tPvRmT1_PNSt15iterator_traitsISK_E10value_typeET2_T3_PNSL_ISQ_E10value_typeET4_jRbjT5_SW_jjP12ihipStream_tbEUlT_E1_NS1_11comp_targetILNS1_3genE8ELNS1_11target_archE1030ELNS1_3gpuE2ELNS1_3repE0EEENS1_59segmented_radix_sort_warp_sort_small_config_static_selectorELNS0_4arch9wavefront6targetE0EEEvSK_
		.amdhsa_group_segment_fixed_size 0
		.amdhsa_private_segment_fixed_size 0
		.amdhsa_kernarg_size 88
		.amdhsa_user_sgpr_count 2
		.amdhsa_user_sgpr_dispatch_ptr 0
		.amdhsa_user_sgpr_queue_ptr 0
		.amdhsa_user_sgpr_kernarg_segment_ptr 1
		.amdhsa_user_sgpr_dispatch_id 0
		.amdhsa_user_sgpr_private_segment_size 0
		.amdhsa_wavefront_size32 1
		.amdhsa_uses_dynamic_stack 0
		.amdhsa_enable_private_segment 0
		.amdhsa_system_sgpr_workgroup_id_x 1
		.amdhsa_system_sgpr_workgroup_id_y 0
		.amdhsa_system_sgpr_workgroup_id_z 0
		.amdhsa_system_sgpr_workgroup_info 0
		.amdhsa_system_vgpr_workitem_id 0
		.amdhsa_next_free_vgpr 1
		.amdhsa_next_free_sgpr 1
		.amdhsa_reserve_vcc 0
		.amdhsa_float_round_mode_32 0
		.amdhsa_float_round_mode_16_64 0
		.amdhsa_float_denorm_mode_32 3
		.amdhsa_float_denorm_mode_16_64 3
		.amdhsa_fp16_overflow 0
		.amdhsa_workgroup_processor_mode 1
		.amdhsa_memory_ordered 1
		.amdhsa_forward_progress 1
		.amdhsa_inst_pref_size 0
		.amdhsa_round_robin_scheduling 0
		.amdhsa_exception_fp_ieee_invalid_op 0
		.amdhsa_exception_fp_denorm_src 0
		.amdhsa_exception_fp_ieee_div_zero 0
		.amdhsa_exception_fp_ieee_overflow 0
		.amdhsa_exception_fp_ieee_underflow 0
		.amdhsa_exception_fp_ieee_inexact 0
		.amdhsa_exception_int_div_zero 0
	.end_amdhsa_kernel
	.section	.text._ZN7rocprim17ROCPRIM_400000_NS6detail17trampoline_kernelINS0_14default_configENS1_36segmented_radix_sort_config_selectorIdlEEZNS1_25segmented_radix_sort_implIS3_Lb1EPKdPdPKlPlN2at6native12_GLOBAL__N_18offset_tEEE10hipError_tPvRmT1_PNSt15iterator_traitsISK_E10value_typeET2_T3_PNSL_ISQ_E10value_typeET4_jRbjT5_SW_jjP12ihipStream_tbEUlT_E1_NS1_11comp_targetILNS1_3genE8ELNS1_11target_archE1030ELNS1_3gpuE2ELNS1_3repE0EEENS1_59segmented_radix_sort_warp_sort_small_config_static_selectorELNS0_4arch9wavefront6targetE0EEEvSK_,"axG",@progbits,_ZN7rocprim17ROCPRIM_400000_NS6detail17trampoline_kernelINS0_14default_configENS1_36segmented_radix_sort_config_selectorIdlEEZNS1_25segmented_radix_sort_implIS3_Lb1EPKdPdPKlPlN2at6native12_GLOBAL__N_18offset_tEEE10hipError_tPvRmT1_PNSt15iterator_traitsISK_E10value_typeET2_T3_PNSL_ISQ_E10value_typeET4_jRbjT5_SW_jjP12ihipStream_tbEUlT_E1_NS1_11comp_targetILNS1_3genE8ELNS1_11target_archE1030ELNS1_3gpuE2ELNS1_3repE0EEENS1_59segmented_radix_sort_warp_sort_small_config_static_selectorELNS0_4arch9wavefront6targetE0EEEvSK_,comdat
.Lfunc_end1147:
	.size	_ZN7rocprim17ROCPRIM_400000_NS6detail17trampoline_kernelINS0_14default_configENS1_36segmented_radix_sort_config_selectorIdlEEZNS1_25segmented_radix_sort_implIS3_Lb1EPKdPdPKlPlN2at6native12_GLOBAL__N_18offset_tEEE10hipError_tPvRmT1_PNSt15iterator_traitsISK_E10value_typeET2_T3_PNSL_ISQ_E10value_typeET4_jRbjT5_SW_jjP12ihipStream_tbEUlT_E1_NS1_11comp_targetILNS1_3genE8ELNS1_11target_archE1030ELNS1_3gpuE2ELNS1_3repE0EEENS1_59segmented_radix_sort_warp_sort_small_config_static_selectorELNS0_4arch9wavefront6targetE0EEEvSK_, .Lfunc_end1147-_ZN7rocprim17ROCPRIM_400000_NS6detail17trampoline_kernelINS0_14default_configENS1_36segmented_radix_sort_config_selectorIdlEEZNS1_25segmented_radix_sort_implIS3_Lb1EPKdPdPKlPlN2at6native12_GLOBAL__N_18offset_tEEE10hipError_tPvRmT1_PNSt15iterator_traitsISK_E10value_typeET2_T3_PNSL_ISQ_E10value_typeET4_jRbjT5_SW_jjP12ihipStream_tbEUlT_E1_NS1_11comp_targetILNS1_3genE8ELNS1_11target_archE1030ELNS1_3gpuE2ELNS1_3repE0EEENS1_59segmented_radix_sort_warp_sort_small_config_static_selectorELNS0_4arch9wavefront6targetE0EEEvSK_
                                        ; -- End function
	.set _ZN7rocprim17ROCPRIM_400000_NS6detail17trampoline_kernelINS0_14default_configENS1_36segmented_radix_sort_config_selectorIdlEEZNS1_25segmented_radix_sort_implIS3_Lb1EPKdPdPKlPlN2at6native12_GLOBAL__N_18offset_tEEE10hipError_tPvRmT1_PNSt15iterator_traitsISK_E10value_typeET2_T3_PNSL_ISQ_E10value_typeET4_jRbjT5_SW_jjP12ihipStream_tbEUlT_E1_NS1_11comp_targetILNS1_3genE8ELNS1_11target_archE1030ELNS1_3gpuE2ELNS1_3repE0EEENS1_59segmented_radix_sort_warp_sort_small_config_static_selectorELNS0_4arch9wavefront6targetE0EEEvSK_.num_vgpr, 0
	.set _ZN7rocprim17ROCPRIM_400000_NS6detail17trampoline_kernelINS0_14default_configENS1_36segmented_radix_sort_config_selectorIdlEEZNS1_25segmented_radix_sort_implIS3_Lb1EPKdPdPKlPlN2at6native12_GLOBAL__N_18offset_tEEE10hipError_tPvRmT1_PNSt15iterator_traitsISK_E10value_typeET2_T3_PNSL_ISQ_E10value_typeET4_jRbjT5_SW_jjP12ihipStream_tbEUlT_E1_NS1_11comp_targetILNS1_3genE8ELNS1_11target_archE1030ELNS1_3gpuE2ELNS1_3repE0EEENS1_59segmented_radix_sort_warp_sort_small_config_static_selectorELNS0_4arch9wavefront6targetE0EEEvSK_.num_agpr, 0
	.set _ZN7rocprim17ROCPRIM_400000_NS6detail17trampoline_kernelINS0_14default_configENS1_36segmented_radix_sort_config_selectorIdlEEZNS1_25segmented_radix_sort_implIS3_Lb1EPKdPdPKlPlN2at6native12_GLOBAL__N_18offset_tEEE10hipError_tPvRmT1_PNSt15iterator_traitsISK_E10value_typeET2_T3_PNSL_ISQ_E10value_typeET4_jRbjT5_SW_jjP12ihipStream_tbEUlT_E1_NS1_11comp_targetILNS1_3genE8ELNS1_11target_archE1030ELNS1_3gpuE2ELNS1_3repE0EEENS1_59segmented_radix_sort_warp_sort_small_config_static_selectorELNS0_4arch9wavefront6targetE0EEEvSK_.numbered_sgpr, 0
	.set _ZN7rocprim17ROCPRIM_400000_NS6detail17trampoline_kernelINS0_14default_configENS1_36segmented_radix_sort_config_selectorIdlEEZNS1_25segmented_radix_sort_implIS3_Lb1EPKdPdPKlPlN2at6native12_GLOBAL__N_18offset_tEEE10hipError_tPvRmT1_PNSt15iterator_traitsISK_E10value_typeET2_T3_PNSL_ISQ_E10value_typeET4_jRbjT5_SW_jjP12ihipStream_tbEUlT_E1_NS1_11comp_targetILNS1_3genE8ELNS1_11target_archE1030ELNS1_3gpuE2ELNS1_3repE0EEENS1_59segmented_radix_sort_warp_sort_small_config_static_selectorELNS0_4arch9wavefront6targetE0EEEvSK_.num_named_barrier, 0
	.set _ZN7rocprim17ROCPRIM_400000_NS6detail17trampoline_kernelINS0_14default_configENS1_36segmented_radix_sort_config_selectorIdlEEZNS1_25segmented_radix_sort_implIS3_Lb1EPKdPdPKlPlN2at6native12_GLOBAL__N_18offset_tEEE10hipError_tPvRmT1_PNSt15iterator_traitsISK_E10value_typeET2_T3_PNSL_ISQ_E10value_typeET4_jRbjT5_SW_jjP12ihipStream_tbEUlT_E1_NS1_11comp_targetILNS1_3genE8ELNS1_11target_archE1030ELNS1_3gpuE2ELNS1_3repE0EEENS1_59segmented_radix_sort_warp_sort_small_config_static_selectorELNS0_4arch9wavefront6targetE0EEEvSK_.private_seg_size, 0
	.set _ZN7rocprim17ROCPRIM_400000_NS6detail17trampoline_kernelINS0_14default_configENS1_36segmented_radix_sort_config_selectorIdlEEZNS1_25segmented_radix_sort_implIS3_Lb1EPKdPdPKlPlN2at6native12_GLOBAL__N_18offset_tEEE10hipError_tPvRmT1_PNSt15iterator_traitsISK_E10value_typeET2_T3_PNSL_ISQ_E10value_typeET4_jRbjT5_SW_jjP12ihipStream_tbEUlT_E1_NS1_11comp_targetILNS1_3genE8ELNS1_11target_archE1030ELNS1_3gpuE2ELNS1_3repE0EEENS1_59segmented_radix_sort_warp_sort_small_config_static_selectorELNS0_4arch9wavefront6targetE0EEEvSK_.uses_vcc, 0
	.set _ZN7rocprim17ROCPRIM_400000_NS6detail17trampoline_kernelINS0_14default_configENS1_36segmented_radix_sort_config_selectorIdlEEZNS1_25segmented_radix_sort_implIS3_Lb1EPKdPdPKlPlN2at6native12_GLOBAL__N_18offset_tEEE10hipError_tPvRmT1_PNSt15iterator_traitsISK_E10value_typeET2_T3_PNSL_ISQ_E10value_typeET4_jRbjT5_SW_jjP12ihipStream_tbEUlT_E1_NS1_11comp_targetILNS1_3genE8ELNS1_11target_archE1030ELNS1_3gpuE2ELNS1_3repE0EEENS1_59segmented_radix_sort_warp_sort_small_config_static_selectorELNS0_4arch9wavefront6targetE0EEEvSK_.uses_flat_scratch, 0
	.set _ZN7rocprim17ROCPRIM_400000_NS6detail17trampoline_kernelINS0_14default_configENS1_36segmented_radix_sort_config_selectorIdlEEZNS1_25segmented_radix_sort_implIS3_Lb1EPKdPdPKlPlN2at6native12_GLOBAL__N_18offset_tEEE10hipError_tPvRmT1_PNSt15iterator_traitsISK_E10value_typeET2_T3_PNSL_ISQ_E10value_typeET4_jRbjT5_SW_jjP12ihipStream_tbEUlT_E1_NS1_11comp_targetILNS1_3genE8ELNS1_11target_archE1030ELNS1_3gpuE2ELNS1_3repE0EEENS1_59segmented_radix_sort_warp_sort_small_config_static_selectorELNS0_4arch9wavefront6targetE0EEEvSK_.has_dyn_sized_stack, 0
	.set _ZN7rocprim17ROCPRIM_400000_NS6detail17trampoline_kernelINS0_14default_configENS1_36segmented_radix_sort_config_selectorIdlEEZNS1_25segmented_radix_sort_implIS3_Lb1EPKdPdPKlPlN2at6native12_GLOBAL__N_18offset_tEEE10hipError_tPvRmT1_PNSt15iterator_traitsISK_E10value_typeET2_T3_PNSL_ISQ_E10value_typeET4_jRbjT5_SW_jjP12ihipStream_tbEUlT_E1_NS1_11comp_targetILNS1_3genE8ELNS1_11target_archE1030ELNS1_3gpuE2ELNS1_3repE0EEENS1_59segmented_radix_sort_warp_sort_small_config_static_selectorELNS0_4arch9wavefront6targetE0EEEvSK_.has_recursion, 0
	.set _ZN7rocprim17ROCPRIM_400000_NS6detail17trampoline_kernelINS0_14default_configENS1_36segmented_radix_sort_config_selectorIdlEEZNS1_25segmented_radix_sort_implIS3_Lb1EPKdPdPKlPlN2at6native12_GLOBAL__N_18offset_tEEE10hipError_tPvRmT1_PNSt15iterator_traitsISK_E10value_typeET2_T3_PNSL_ISQ_E10value_typeET4_jRbjT5_SW_jjP12ihipStream_tbEUlT_E1_NS1_11comp_targetILNS1_3genE8ELNS1_11target_archE1030ELNS1_3gpuE2ELNS1_3repE0EEENS1_59segmented_radix_sort_warp_sort_small_config_static_selectorELNS0_4arch9wavefront6targetE0EEEvSK_.has_indirect_call, 0
	.section	.AMDGPU.csdata,"",@progbits
; Kernel info:
; codeLenInByte = 0
; TotalNumSgprs: 0
; NumVgprs: 0
; ScratchSize: 0
; MemoryBound: 0
; FloatMode: 240
; IeeeMode: 1
; LDSByteSize: 0 bytes/workgroup (compile time only)
; SGPRBlocks: 0
; VGPRBlocks: 0
; NumSGPRsForWavesPerEU: 1
; NumVGPRsForWavesPerEU: 1
; Occupancy: 16
; WaveLimiterHint : 0
; COMPUTE_PGM_RSRC2:SCRATCH_EN: 0
; COMPUTE_PGM_RSRC2:USER_SGPR: 2
; COMPUTE_PGM_RSRC2:TRAP_HANDLER: 0
; COMPUTE_PGM_RSRC2:TGID_X_EN: 1
; COMPUTE_PGM_RSRC2:TGID_Y_EN: 0
; COMPUTE_PGM_RSRC2:TGID_Z_EN: 0
; COMPUTE_PGM_RSRC2:TIDIG_COMP_CNT: 0
	.section	.text._ZN7rocprim17ROCPRIM_400000_NS6detail17trampoline_kernelINS0_14default_configENS1_36segmented_radix_sort_config_selectorIdlEEZNS1_25segmented_radix_sort_implIS3_Lb1EPKdPdPKlPlN2at6native12_GLOBAL__N_18offset_tEEE10hipError_tPvRmT1_PNSt15iterator_traitsISK_E10value_typeET2_T3_PNSL_ISQ_E10value_typeET4_jRbjT5_SW_jjP12ihipStream_tbEUlT_E2_NS1_11comp_targetILNS1_3genE0ELNS1_11target_archE4294967295ELNS1_3gpuE0ELNS1_3repE0EEENS1_30default_config_static_selectorELNS0_4arch9wavefront6targetE0EEEvSK_,"axG",@progbits,_ZN7rocprim17ROCPRIM_400000_NS6detail17trampoline_kernelINS0_14default_configENS1_36segmented_radix_sort_config_selectorIdlEEZNS1_25segmented_radix_sort_implIS3_Lb1EPKdPdPKlPlN2at6native12_GLOBAL__N_18offset_tEEE10hipError_tPvRmT1_PNSt15iterator_traitsISK_E10value_typeET2_T3_PNSL_ISQ_E10value_typeET4_jRbjT5_SW_jjP12ihipStream_tbEUlT_E2_NS1_11comp_targetILNS1_3genE0ELNS1_11target_archE4294967295ELNS1_3gpuE0ELNS1_3repE0EEENS1_30default_config_static_selectorELNS0_4arch9wavefront6targetE0EEEvSK_,comdat
	.globl	_ZN7rocprim17ROCPRIM_400000_NS6detail17trampoline_kernelINS0_14default_configENS1_36segmented_radix_sort_config_selectorIdlEEZNS1_25segmented_radix_sort_implIS3_Lb1EPKdPdPKlPlN2at6native12_GLOBAL__N_18offset_tEEE10hipError_tPvRmT1_PNSt15iterator_traitsISK_E10value_typeET2_T3_PNSL_ISQ_E10value_typeET4_jRbjT5_SW_jjP12ihipStream_tbEUlT_E2_NS1_11comp_targetILNS1_3genE0ELNS1_11target_archE4294967295ELNS1_3gpuE0ELNS1_3repE0EEENS1_30default_config_static_selectorELNS0_4arch9wavefront6targetE0EEEvSK_ ; -- Begin function _ZN7rocprim17ROCPRIM_400000_NS6detail17trampoline_kernelINS0_14default_configENS1_36segmented_radix_sort_config_selectorIdlEEZNS1_25segmented_radix_sort_implIS3_Lb1EPKdPdPKlPlN2at6native12_GLOBAL__N_18offset_tEEE10hipError_tPvRmT1_PNSt15iterator_traitsISK_E10value_typeET2_T3_PNSL_ISQ_E10value_typeET4_jRbjT5_SW_jjP12ihipStream_tbEUlT_E2_NS1_11comp_targetILNS1_3genE0ELNS1_11target_archE4294967295ELNS1_3gpuE0ELNS1_3repE0EEENS1_30default_config_static_selectorELNS0_4arch9wavefront6targetE0EEEvSK_
	.p2align	8
	.type	_ZN7rocprim17ROCPRIM_400000_NS6detail17trampoline_kernelINS0_14default_configENS1_36segmented_radix_sort_config_selectorIdlEEZNS1_25segmented_radix_sort_implIS3_Lb1EPKdPdPKlPlN2at6native12_GLOBAL__N_18offset_tEEE10hipError_tPvRmT1_PNSt15iterator_traitsISK_E10value_typeET2_T3_PNSL_ISQ_E10value_typeET4_jRbjT5_SW_jjP12ihipStream_tbEUlT_E2_NS1_11comp_targetILNS1_3genE0ELNS1_11target_archE4294967295ELNS1_3gpuE0ELNS1_3repE0EEENS1_30default_config_static_selectorELNS0_4arch9wavefront6targetE0EEEvSK_,@function
_ZN7rocprim17ROCPRIM_400000_NS6detail17trampoline_kernelINS0_14default_configENS1_36segmented_radix_sort_config_selectorIdlEEZNS1_25segmented_radix_sort_implIS3_Lb1EPKdPdPKlPlN2at6native12_GLOBAL__N_18offset_tEEE10hipError_tPvRmT1_PNSt15iterator_traitsISK_E10value_typeET2_T3_PNSL_ISQ_E10value_typeET4_jRbjT5_SW_jjP12ihipStream_tbEUlT_E2_NS1_11comp_targetILNS1_3genE0ELNS1_11target_archE4294967295ELNS1_3gpuE0ELNS1_3repE0EEENS1_30default_config_static_selectorELNS0_4arch9wavefront6targetE0EEEvSK_: ; @_ZN7rocprim17ROCPRIM_400000_NS6detail17trampoline_kernelINS0_14default_configENS1_36segmented_radix_sort_config_selectorIdlEEZNS1_25segmented_radix_sort_implIS3_Lb1EPKdPdPKlPlN2at6native12_GLOBAL__N_18offset_tEEE10hipError_tPvRmT1_PNSt15iterator_traitsISK_E10value_typeET2_T3_PNSL_ISQ_E10value_typeET4_jRbjT5_SW_jjP12ihipStream_tbEUlT_E2_NS1_11comp_targetILNS1_3genE0ELNS1_11target_archE4294967295ELNS1_3gpuE0ELNS1_3repE0EEENS1_30default_config_static_selectorELNS0_4arch9wavefront6targetE0EEEvSK_
; %bb.0:
	.section	.rodata,"a",@progbits
	.p2align	6, 0x0
	.amdhsa_kernel _ZN7rocprim17ROCPRIM_400000_NS6detail17trampoline_kernelINS0_14default_configENS1_36segmented_radix_sort_config_selectorIdlEEZNS1_25segmented_radix_sort_implIS3_Lb1EPKdPdPKlPlN2at6native12_GLOBAL__N_18offset_tEEE10hipError_tPvRmT1_PNSt15iterator_traitsISK_E10value_typeET2_T3_PNSL_ISQ_E10value_typeET4_jRbjT5_SW_jjP12ihipStream_tbEUlT_E2_NS1_11comp_targetILNS1_3genE0ELNS1_11target_archE4294967295ELNS1_3gpuE0ELNS1_3repE0EEENS1_30default_config_static_selectorELNS0_4arch9wavefront6targetE0EEEvSK_
		.amdhsa_group_segment_fixed_size 0
		.amdhsa_private_segment_fixed_size 0
		.amdhsa_kernarg_size 80
		.amdhsa_user_sgpr_count 2
		.amdhsa_user_sgpr_dispatch_ptr 0
		.amdhsa_user_sgpr_queue_ptr 0
		.amdhsa_user_sgpr_kernarg_segment_ptr 1
		.amdhsa_user_sgpr_dispatch_id 0
		.amdhsa_user_sgpr_private_segment_size 0
		.amdhsa_wavefront_size32 1
		.amdhsa_uses_dynamic_stack 0
		.amdhsa_enable_private_segment 0
		.amdhsa_system_sgpr_workgroup_id_x 1
		.amdhsa_system_sgpr_workgroup_id_y 0
		.amdhsa_system_sgpr_workgroup_id_z 0
		.amdhsa_system_sgpr_workgroup_info 0
		.amdhsa_system_vgpr_workitem_id 0
		.amdhsa_next_free_vgpr 1
		.amdhsa_next_free_sgpr 1
		.amdhsa_reserve_vcc 0
		.amdhsa_float_round_mode_32 0
		.amdhsa_float_round_mode_16_64 0
		.amdhsa_float_denorm_mode_32 3
		.amdhsa_float_denorm_mode_16_64 3
		.amdhsa_fp16_overflow 0
		.amdhsa_workgroup_processor_mode 1
		.amdhsa_memory_ordered 1
		.amdhsa_forward_progress 1
		.amdhsa_inst_pref_size 0
		.amdhsa_round_robin_scheduling 0
		.amdhsa_exception_fp_ieee_invalid_op 0
		.amdhsa_exception_fp_denorm_src 0
		.amdhsa_exception_fp_ieee_div_zero 0
		.amdhsa_exception_fp_ieee_overflow 0
		.amdhsa_exception_fp_ieee_underflow 0
		.amdhsa_exception_fp_ieee_inexact 0
		.amdhsa_exception_int_div_zero 0
	.end_amdhsa_kernel
	.section	.text._ZN7rocprim17ROCPRIM_400000_NS6detail17trampoline_kernelINS0_14default_configENS1_36segmented_radix_sort_config_selectorIdlEEZNS1_25segmented_radix_sort_implIS3_Lb1EPKdPdPKlPlN2at6native12_GLOBAL__N_18offset_tEEE10hipError_tPvRmT1_PNSt15iterator_traitsISK_E10value_typeET2_T3_PNSL_ISQ_E10value_typeET4_jRbjT5_SW_jjP12ihipStream_tbEUlT_E2_NS1_11comp_targetILNS1_3genE0ELNS1_11target_archE4294967295ELNS1_3gpuE0ELNS1_3repE0EEENS1_30default_config_static_selectorELNS0_4arch9wavefront6targetE0EEEvSK_,"axG",@progbits,_ZN7rocprim17ROCPRIM_400000_NS6detail17trampoline_kernelINS0_14default_configENS1_36segmented_radix_sort_config_selectorIdlEEZNS1_25segmented_radix_sort_implIS3_Lb1EPKdPdPKlPlN2at6native12_GLOBAL__N_18offset_tEEE10hipError_tPvRmT1_PNSt15iterator_traitsISK_E10value_typeET2_T3_PNSL_ISQ_E10value_typeET4_jRbjT5_SW_jjP12ihipStream_tbEUlT_E2_NS1_11comp_targetILNS1_3genE0ELNS1_11target_archE4294967295ELNS1_3gpuE0ELNS1_3repE0EEENS1_30default_config_static_selectorELNS0_4arch9wavefront6targetE0EEEvSK_,comdat
.Lfunc_end1148:
	.size	_ZN7rocprim17ROCPRIM_400000_NS6detail17trampoline_kernelINS0_14default_configENS1_36segmented_radix_sort_config_selectorIdlEEZNS1_25segmented_radix_sort_implIS3_Lb1EPKdPdPKlPlN2at6native12_GLOBAL__N_18offset_tEEE10hipError_tPvRmT1_PNSt15iterator_traitsISK_E10value_typeET2_T3_PNSL_ISQ_E10value_typeET4_jRbjT5_SW_jjP12ihipStream_tbEUlT_E2_NS1_11comp_targetILNS1_3genE0ELNS1_11target_archE4294967295ELNS1_3gpuE0ELNS1_3repE0EEENS1_30default_config_static_selectorELNS0_4arch9wavefront6targetE0EEEvSK_, .Lfunc_end1148-_ZN7rocprim17ROCPRIM_400000_NS6detail17trampoline_kernelINS0_14default_configENS1_36segmented_radix_sort_config_selectorIdlEEZNS1_25segmented_radix_sort_implIS3_Lb1EPKdPdPKlPlN2at6native12_GLOBAL__N_18offset_tEEE10hipError_tPvRmT1_PNSt15iterator_traitsISK_E10value_typeET2_T3_PNSL_ISQ_E10value_typeET4_jRbjT5_SW_jjP12ihipStream_tbEUlT_E2_NS1_11comp_targetILNS1_3genE0ELNS1_11target_archE4294967295ELNS1_3gpuE0ELNS1_3repE0EEENS1_30default_config_static_selectorELNS0_4arch9wavefront6targetE0EEEvSK_
                                        ; -- End function
	.set _ZN7rocprim17ROCPRIM_400000_NS6detail17trampoline_kernelINS0_14default_configENS1_36segmented_radix_sort_config_selectorIdlEEZNS1_25segmented_radix_sort_implIS3_Lb1EPKdPdPKlPlN2at6native12_GLOBAL__N_18offset_tEEE10hipError_tPvRmT1_PNSt15iterator_traitsISK_E10value_typeET2_T3_PNSL_ISQ_E10value_typeET4_jRbjT5_SW_jjP12ihipStream_tbEUlT_E2_NS1_11comp_targetILNS1_3genE0ELNS1_11target_archE4294967295ELNS1_3gpuE0ELNS1_3repE0EEENS1_30default_config_static_selectorELNS0_4arch9wavefront6targetE0EEEvSK_.num_vgpr, 0
	.set _ZN7rocprim17ROCPRIM_400000_NS6detail17trampoline_kernelINS0_14default_configENS1_36segmented_radix_sort_config_selectorIdlEEZNS1_25segmented_radix_sort_implIS3_Lb1EPKdPdPKlPlN2at6native12_GLOBAL__N_18offset_tEEE10hipError_tPvRmT1_PNSt15iterator_traitsISK_E10value_typeET2_T3_PNSL_ISQ_E10value_typeET4_jRbjT5_SW_jjP12ihipStream_tbEUlT_E2_NS1_11comp_targetILNS1_3genE0ELNS1_11target_archE4294967295ELNS1_3gpuE0ELNS1_3repE0EEENS1_30default_config_static_selectorELNS0_4arch9wavefront6targetE0EEEvSK_.num_agpr, 0
	.set _ZN7rocprim17ROCPRIM_400000_NS6detail17trampoline_kernelINS0_14default_configENS1_36segmented_radix_sort_config_selectorIdlEEZNS1_25segmented_radix_sort_implIS3_Lb1EPKdPdPKlPlN2at6native12_GLOBAL__N_18offset_tEEE10hipError_tPvRmT1_PNSt15iterator_traitsISK_E10value_typeET2_T3_PNSL_ISQ_E10value_typeET4_jRbjT5_SW_jjP12ihipStream_tbEUlT_E2_NS1_11comp_targetILNS1_3genE0ELNS1_11target_archE4294967295ELNS1_3gpuE0ELNS1_3repE0EEENS1_30default_config_static_selectorELNS0_4arch9wavefront6targetE0EEEvSK_.numbered_sgpr, 0
	.set _ZN7rocprim17ROCPRIM_400000_NS6detail17trampoline_kernelINS0_14default_configENS1_36segmented_radix_sort_config_selectorIdlEEZNS1_25segmented_radix_sort_implIS3_Lb1EPKdPdPKlPlN2at6native12_GLOBAL__N_18offset_tEEE10hipError_tPvRmT1_PNSt15iterator_traitsISK_E10value_typeET2_T3_PNSL_ISQ_E10value_typeET4_jRbjT5_SW_jjP12ihipStream_tbEUlT_E2_NS1_11comp_targetILNS1_3genE0ELNS1_11target_archE4294967295ELNS1_3gpuE0ELNS1_3repE0EEENS1_30default_config_static_selectorELNS0_4arch9wavefront6targetE0EEEvSK_.num_named_barrier, 0
	.set _ZN7rocprim17ROCPRIM_400000_NS6detail17trampoline_kernelINS0_14default_configENS1_36segmented_radix_sort_config_selectorIdlEEZNS1_25segmented_radix_sort_implIS3_Lb1EPKdPdPKlPlN2at6native12_GLOBAL__N_18offset_tEEE10hipError_tPvRmT1_PNSt15iterator_traitsISK_E10value_typeET2_T3_PNSL_ISQ_E10value_typeET4_jRbjT5_SW_jjP12ihipStream_tbEUlT_E2_NS1_11comp_targetILNS1_3genE0ELNS1_11target_archE4294967295ELNS1_3gpuE0ELNS1_3repE0EEENS1_30default_config_static_selectorELNS0_4arch9wavefront6targetE0EEEvSK_.private_seg_size, 0
	.set _ZN7rocprim17ROCPRIM_400000_NS6detail17trampoline_kernelINS0_14default_configENS1_36segmented_radix_sort_config_selectorIdlEEZNS1_25segmented_radix_sort_implIS3_Lb1EPKdPdPKlPlN2at6native12_GLOBAL__N_18offset_tEEE10hipError_tPvRmT1_PNSt15iterator_traitsISK_E10value_typeET2_T3_PNSL_ISQ_E10value_typeET4_jRbjT5_SW_jjP12ihipStream_tbEUlT_E2_NS1_11comp_targetILNS1_3genE0ELNS1_11target_archE4294967295ELNS1_3gpuE0ELNS1_3repE0EEENS1_30default_config_static_selectorELNS0_4arch9wavefront6targetE0EEEvSK_.uses_vcc, 0
	.set _ZN7rocprim17ROCPRIM_400000_NS6detail17trampoline_kernelINS0_14default_configENS1_36segmented_radix_sort_config_selectorIdlEEZNS1_25segmented_radix_sort_implIS3_Lb1EPKdPdPKlPlN2at6native12_GLOBAL__N_18offset_tEEE10hipError_tPvRmT1_PNSt15iterator_traitsISK_E10value_typeET2_T3_PNSL_ISQ_E10value_typeET4_jRbjT5_SW_jjP12ihipStream_tbEUlT_E2_NS1_11comp_targetILNS1_3genE0ELNS1_11target_archE4294967295ELNS1_3gpuE0ELNS1_3repE0EEENS1_30default_config_static_selectorELNS0_4arch9wavefront6targetE0EEEvSK_.uses_flat_scratch, 0
	.set _ZN7rocprim17ROCPRIM_400000_NS6detail17trampoline_kernelINS0_14default_configENS1_36segmented_radix_sort_config_selectorIdlEEZNS1_25segmented_radix_sort_implIS3_Lb1EPKdPdPKlPlN2at6native12_GLOBAL__N_18offset_tEEE10hipError_tPvRmT1_PNSt15iterator_traitsISK_E10value_typeET2_T3_PNSL_ISQ_E10value_typeET4_jRbjT5_SW_jjP12ihipStream_tbEUlT_E2_NS1_11comp_targetILNS1_3genE0ELNS1_11target_archE4294967295ELNS1_3gpuE0ELNS1_3repE0EEENS1_30default_config_static_selectorELNS0_4arch9wavefront6targetE0EEEvSK_.has_dyn_sized_stack, 0
	.set _ZN7rocprim17ROCPRIM_400000_NS6detail17trampoline_kernelINS0_14default_configENS1_36segmented_radix_sort_config_selectorIdlEEZNS1_25segmented_radix_sort_implIS3_Lb1EPKdPdPKlPlN2at6native12_GLOBAL__N_18offset_tEEE10hipError_tPvRmT1_PNSt15iterator_traitsISK_E10value_typeET2_T3_PNSL_ISQ_E10value_typeET4_jRbjT5_SW_jjP12ihipStream_tbEUlT_E2_NS1_11comp_targetILNS1_3genE0ELNS1_11target_archE4294967295ELNS1_3gpuE0ELNS1_3repE0EEENS1_30default_config_static_selectorELNS0_4arch9wavefront6targetE0EEEvSK_.has_recursion, 0
	.set _ZN7rocprim17ROCPRIM_400000_NS6detail17trampoline_kernelINS0_14default_configENS1_36segmented_radix_sort_config_selectorIdlEEZNS1_25segmented_radix_sort_implIS3_Lb1EPKdPdPKlPlN2at6native12_GLOBAL__N_18offset_tEEE10hipError_tPvRmT1_PNSt15iterator_traitsISK_E10value_typeET2_T3_PNSL_ISQ_E10value_typeET4_jRbjT5_SW_jjP12ihipStream_tbEUlT_E2_NS1_11comp_targetILNS1_3genE0ELNS1_11target_archE4294967295ELNS1_3gpuE0ELNS1_3repE0EEENS1_30default_config_static_selectorELNS0_4arch9wavefront6targetE0EEEvSK_.has_indirect_call, 0
	.section	.AMDGPU.csdata,"",@progbits
; Kernel info:
; codeLenInByte = 0
; TotalNumSgprs: 0
; NumVgprs: 0
; ScratchSize: 0
; MemoryBound: 0
; FloatMode: 240
; IeeeMode: 1
; LDSByteSize: 0 bytes/workgroup (compile time only)
; SGPRBlocks: 0
; VGPRBlocks: 0
; NumSGPRsForWavesPerEU: 1
; NumVGPRsForWavesPerEU: 1
; Occupancy: 16
; WaveLimiterHint : 0
; COMPUTE_PGM_RSRC2:SCRATCH_EN: 0
; COMPUTE_PGM_RSRC2:USER_SGPR: 2
; COMPUTE_PGM_RSRC2:TRAP_HANDLER: 0
; COMPUTE_PGM_RSRC2:TGID_X_EN: 1
; COMPUTE_PGM_RSRC2:TGID_Y_EN: 0
; COMPUTE_PGM_RSRC2:TGID_Z_EN: 0
; COMPUTE_PGM_RSRC2:TIDIG_COMP_CNT: 0
	.section	.text._ZN7rocprim17ROCPRIM_400000_NS6detail17trampoline_kernelINS0_14default_configENS1_36segmented_radix_sort_config_selectorIdlEEZNS1_25segmented_radix_sort_implIS3_Lb1EPKdPdPKlPlN2at6native12_GLOBAL__N_18offset_tEEE10hipError_tPvRmT1_PNSt15iterator_traitsISK_E10value_typeET2_T3_PNSL_ISQ_E10value_typeET4_jRbjT5_SW_jjP12ihipStream_tbEUlT_E2_NS1_11comp_targetILNS1_3genE5ELNS1_11target_archE942ELNS1_3gpuE9ELNS1_3repE0EEENS1_30default_config_static_selectorELNS0_4arch9wavefront6targetE0EEEvSK_,"axG",@progbits,_ZN7rocprim17ROCPRIM_400000_NS6detail17trampoline_kernelINS0_14default_configENS1_36segmented_radix_sort_config_selectorIdlEEZNS1_25segmented_radix_sort_implIS3_Lb1EPKdPdPKlPlN2at6native12_GLOBAL__N_18offset_tEEE10hipError_tPvRmT1_PNSt15iterator_traitsISK_E10value_typeET2_T3_PNSL_ISQ_E10value_typeET4_jRbjT5_SW_jjP12ihipStream_tbEUlT_E2_NS1_11comp_targetILNS1_3genE5ELNS1_11target_archE942ELNS1_3gpuE9ELNS1_3repE0EEENS1_30default_config_static_selectorELNS0_4arch9wavefront6targetE0EEEvSK_,comdat
	.globl	_ZN7rocprim17ROCPRIM_400000_NS6detail17trampoline_kernelINS0_14default_configENS1_36segmented_radix_sort_config_selectorIdlEEZNS1_25segmented_radix_sort_implIS3_Lb1EPKdPdPKlPlN2at6native12_GLOBAL__N_18offset_tEEE10hipError_tPvRmT1_PNSt15iterator_traitsISK_E10value_typeET2_T3_PNSL_ISQ_E10value_typeET4_jRbjT5_SW_jjP12ihipStream_tbEUlT_E2_NS1_11comp_targetILNS1_3genE5ELNS1_11target_archE942ELNS1_3gpuE9ELNS1_3repE0EEENS1_30default_config_static_selectorELNS0_4arch9wavefront6targetE0EEEvSK_ ; -- Begin function _ZN7rocprim17ROCPRIM_400000_NS6detail17trampoline_kernelINS0_14default_configENS1_36segmented_radix_sort_config_selectorIdlEEZNS1_25segmented_radix_sort_implIS3_Lb1EPKdPdPKlPlN2at6native12_GLOBAL__N_18offset_tEEE10hipError_tPvRmT1_PNSt15iterator_traitsISK_E10value_typeET2_T3_PNSL_ISQ_E10value_typeET4_jRbjT5_SW_jjP12ihipStream_tbEUlT_E2_NS1_11comp_targetILNS1_3genE5ELNS1_11target_archE942ELNS1_3gpuE9ELNS1_3repE0EEENS1_30default_config_static_selectorELNS0_4arch9wavefront6targetE0EEEvSK_
	.p2align	8
	.type	_ZN7rocprim17ROCPRIM_400000_NS6detail17trampoline_kernelINS0_14default_configENS1_36segmented_radix_sort_config_selectorIdlEEZNS1_25segmented_radix_sort_implIS3_Lb1EPKdPdPKlPlN2at6native12_GLOBAL__N_18offset_tEEE10hipError_tPvRmT1_PNSt15iterator_traitsISK_E10value_typeET2_T3_PNSL_ISQ_E10value_typeET4_jRbjT5_SW_jjP12ihipStream_tbEUlT_E2_NS1_11comp_targetILNS1_3genE5ELNS1_11target_archE942ELNS1_3gpuE9ELNS1_3repE0EEENS1_30default_config_static_selectorELNS0_4arch9wavefront6targetE0EEEvSK_,@function
_ZN7rocprim17ROCPRIM_400000_NS6detail17trampoline_kernelINS0_14default_configENS1_36segmented_radix_sort_config_selectorIdlEEZNS1_25segmented_radix_sort_implIS3_Lb1EPKdPdPKlPlN2at6native12_GLOBAL__N_18offset_tEEE10hipError_tPvRmT1_PNSt15iterator_traitsISK_E10value_typeET2_T3_PNSL_ISQ_E10value_typeET4_jRbjT5_SW_jjP12ihipStream_tbEUlT_E2_NS1_11comp_targetILNS1_3genE5ELNS1_11target_archE942ELNS1_3gpuE9ELNS1_3repE0EEENS1_30default_config_static_selectorELNS0_4arch9wavefront6targetE0EEEvSK_: ; @_ZN7rocprim17ROCPRIM_400000_NS6detail17trampoline_kernelINS0_14default_configENS1_36segmented_radix_sort_config_selectorIdlEEZNS1_25segmented_radix_sort_implIS3_Lb1EPKdPdPKlPlN2at6native12_GLOBAL__N_18offset_tEEE10hipError_tPvRmT1_PNSt15iterator_traitsISK_E10value_typeET2_T3_PNSL_ISQ_E10value_typeET4_jRbjT5_SW_jjP12ihipStream_tbEUlT_E2_NS1_11comp_targetILNS1_3genE5ELNS1_11target_archE942ELNS1_3gpuE9ELNS1_3repE0EEENS1_30default_config_static_selectorELNS0_4arch9wavefront6targetE0EEEvSK_
; %bb.0:
	.section	.rodata,"a",@progbits
	.p2align	6, 0x0
	.amdhsa_kernel _ZN7rocprim17ROCPRIM_400000_NS6detail17trampoline_kernelINS0_14default_configENS1_36segmented_radix_sort_config_selectorIdlEEZNS1_25segmented_radix_sort_implIS3_Lb1EPKdPdPKlPlN2at6native12_GLOBAL__N_18offset_tEEE10hipError_tPvRmT1_PNSt15iterator_traitsISK_E10value_typeET2_T3_PNSL_ISQ_E10value_typeET4_jRbjT5_SW_jjP12ihipStream_tbEUlT_E2_NS1_11comp_targetILNS1_3genE5ELNS1_11target_archE942ELNS1_3gpuE9ELNS1_3repE0EEENS1_30default_config_static_selectorELNS0_4arch9wavefront6targetE0EEEvSK_
		.amdhsa_group_segment_fixed_size 0
		.amdhsa_private_segment_fixed_size 0
		.amdhsa_kernarg_size 80
		.amdhsa_user_sgpr_count 2
		.amdhsa_user_sgpr_dispatch_ptr 0
		.amdhsa_user_sgpr_queue_ptr 0
		.amdhsa_user_sgpr_kernarg_segment_ptr 1
		.amdhsa_user_sgpr_dispatch_id 0
		.amdhsa_user_sgpr_private_segment_size 0
		.amdhsa_wavefront_size32 1
		.amdhsa_uses_dynamic_stack 0
		.amdhsa_enable_private_segment 0
		.amdhsa_system_sgpr_workgroup_id_x 1
		.amdhsa_system_sgpr_workgroup_id_y 0
		.amdhsa_system_sgpr_workgroup_id_z 0
		.amdhsa_system_sgpr_workgroup_info 0
		.amdhsa_system_vgpr_workitem_id 0
		.amdhsa_next_free_vgpr 1
		.amdhsa_next_free_sgpr 1
		.amdhsa_reserve_vcc 0
		.amdhsa_float_round_mode_32 0
		.amdhsa_float_round_mode_16_64 0
		.amdhsa_float_denorm_mode_32 3
		.amdhsa_float_denorm_mode_16_64 3
		.amdhsa_fp16_overflow 0
		.amdhsa_workgroup_processor_mode 1
		.amdhsa_memory_ordered 1
		.amdhsa_forward_progress 1
		.amdhsa_inst_pref_size 0
		.amdhsa_round_robin_scheduling 0
		.amdhsa_exception_fp_ieee_invalid_op 0
		.amdhsa_exception_fp_denorm_src 0
		.amdhsa_exception_fp_ieee_div_zero 0
		.amdhsa_exception_fp_ieee_overflow 0
		.amdhsa_exception_fp_ieee_underflow 0
		.amdhsa_exception_fp_ieee_inexact 0
		.amdhsa_exception_int_div_zero 0
	.end_amdhsa_kernel
	.section	.text._ZN7rocprim17ROCPRIM_400000_NS6detail17trampoline_kernelINS0_14default_configENS1_36segmented_radix_sort_config_selectorIdlEEZNS1_25segmented_radix_sort_implIS3_Lb1EPKdPdPKlPlN2at6native12_GLOBAL__N_18offset_tEEE10hipError_tPvRmT1_PNSt15iterator_traitsISK_E10value_typeET2_T3_PNSL_ISQ_E10value_typeET4_jRbjT5_SW_jjP12ihipStream_tbEUlT_E2_NS1_11comp_targetILNS1_3genE5ELNS1_11target_archE942ELNS1_3gpuE9ELNS1_3repE0EEENS1_30default_config_static_selectorELNS0_4arch9wavefront6targetE0EEEvSK_,"axG",@progbits,_ZN7rocprim17ROCPRIM_400000_NS6detail17trampoline_kernelINS0_14default_configENS1_36segmented_radix_sort_config_selectorIdlEEZNS1_25segmented_radix_sort_implIS3_Lb1EPKdPdPKlPlN2at6native12_GLOBAL__N_18offset_tEEE10hipError_tPvRmT1_PNSt15iterator_traitsISK_E10value_typeET2_T3_PNSL_ISQ_E10value_typeET4_jRbjT5_SW_jjP12ihipStream_tbEUlT_E2_NS1_11comp_targetILNS1_3genE5ELNS1_11target_archE942ELNS1_3gpuE9ELNS1_3repE0EEENS1_30default_config_static_selectorELNS0_4arch9wavefront6targetE0EEEvSK_,comdat
.Lfunc_end1149:
	.size	_ZN7rocprim17ROCPRIM_400000_NS6detail17trampoline_kernelINS0_14default_configENS1_36segmented_radix_sort_config_selectorIdlEEZNS1_25segmented_radix_sort_implIS3_Lb1EPKdPdPKlPlN2at6native12_GLOBAL__N_18offset_tEEE10hipError_tPvRmT1_PNSt15iterator_traitsISK_E10value_typeET2_T3_PNSL_ISQ_E10value_typeET4_jRbjT5_SW_jjP12ihipStream_tbEUlT_E2_NS1_11comp_targetILNS1_3genE5ELNS1_11target_archE942ELNS1_3gpuE9ELNS1_3repE0EEENS1_30default_config_static_selectorELNS0_4arch9wavefront6targetE0EEEvSK_, .Lfunc_end1149-_ZN7rocprim17ROCPRIM_400000_NS6detail17trampoline_kernelINS0_14default_configENS1_36segmented_radix_sort_config_selectorIdlEEZNS1_25segmented_radix_sort_implIS3_Lb1EPKdPdPKlPlN2at6native12_GLOBAL__N_18offset_tEEE10hipError_tPvRmT1_PNSt15iterator_traitsISK_E10value_typeET2_T3_PNSL_ISQ_E10value_typeET4_jRbjT5_SW_jjP12ihipStream_tbEUlT_E2_NS1_11comp_targetILNS1_3genE5ELNS1_11target_archE942ELNS1_3gpuE9ELNS1_3repE0EEENS1_30default_config_static_selectorELNS0_4arch9wavefront6targetE0EEEvSK_
                                        ; -- End function
	.set _ZN7rocprim17ROCPRIM_400000_NS6detail17trampoline_kernelINS0_14default_configENS1_36segmented_radix_sort_config_selectorIdlEEZNS1_25segmented_radix_sort_implIS3_Lb1EPKdPdPKlPlN2at6native12_GLOBAL__N_18offset_tEEE10hipError_tPvRmT1_PNSt15iterator_traitsISK_E10value_typeET2_T3_PNSL_ISQ_E10value_typeET4_jRbjT5_SW_jjP12ihipStream_tbEUlT_E2_NS1_11comp_targetILNS1_3genE5ELNS1_11target_archE942ELNS1_3gpuE9ELNS1_3repE0EEENS1_30default_config_static_selectorELNS0_4arch9wavefront6targetE0EEEvSK_.num_vgpr, 0
	.set _ZN7rocprim17ROCPRIM_400000_NS6detail17trampoline_kernelINS0_14default_configENS1_36segmented_radix_sort_config_selectorIdlEEZNS1_25segmented_radix_sort_implIS3_Lb1EPKdPdPKlPlN2at6native12_GLOBAL__N_18offset_tEEE10hipError_tPvRmT1_PNSt15iterator_traitsISK_E10value_typeET2_T3_PNSL_ISQ_E10value_typeET4_jRbjT5_SW_jjP12ihipStream_tbEUlT_E2_NS1_11comp_targetILNS1_3genE5ELNS1_11target_archE942ELNS1_3gpuE9ELNS1_3repE0EEENS1_30default_config_static_selectorELNS0_4arch9wavefront6targetE0EEEvSK_.num_agpr, 0
	.set _ZN7rocprim17ROCPRIM_400000_NS6detail17trampoline_kernelINS0_14default_configENS1_36segmented_radix_sort_config_selectorIdlEEZNS1_25segmented_radix_sort_implIS3_Lb1EPKdPdPKlPlN2at6native12_GLOBAL__N_18offset_tEEE10hipError_tPvRmT1_PNSt15iterator_traitsISK_E10value_typeET2_T3_PNSL_ISQ_E10value_typeET4_jRbjT5_SW_jjP12ihipStream_tbEUlT_E2_NS1_11comp_targetILNS1_3genE5ELNS1_11target_archE942ELNS1_3gpuE9ELNS1_3repE0EEENS1_30default_config_static_selectorELNS0_4arch9wavefront6targetE0EEEvSK_.numbered_sgpr, 0
	.set _ZN7rocprim17ROCPRIM_400000_NS6detail17trampoline_kernelINS0_14default_configENS1_36segmented_radix_sort_config_selectorIdlEEZNS1_25segmented_radix_sort_implIS3_Lb1EPKdPdPKlPlN2at6native12_GLOBAL__N_18offset_tEEE10hipError_tPvRmT1_PNSt15iterator_traitsISK_E10value_typeET2_T3_PNSL_ISQ_E10value_typeET4_jRbjT5_SW_jjP12ihipStream_tbEUlT_E2_NS1_11comp_targetILNS1_3genE5ELNS1_11target_archE942ELNS1_3gpuE9ELNS1_3repE0EEENS1_30default_config_static_selectorELNS0_4arch9wavefront6targetE0EEEvSK_.num_named_barrier, 0
	.set _ZN7rocprim17ROCPRIM_400000_NS6detail17trampoline_kernelINS0_14default_configENS1_36segmented_radix_sort_config_selectorIdlEEZNS1_25segmented_radix_sort_implIS3_Lb1EPKdPdPKlPlN2at6native12_GLOBAL__N_18offset_tEEE10hipError_tPvRmT1_PNSt15iterator_traitsISK_E10value_typeET2_T3_PNSL_ISQ_E10value_typeET4_jRbjT5_SW_jjP12ihipStream_tbEUlT_E2_NS1_11comp_targetILNS1_3genE5ELNS1_11target_archE942ELNS1_3gpuE9ELNS1_3repE0EEENS1_30default_config_static_selectorELNS0_4arch9wavefront6targetE0EEEvSK_.private_seg_size, 0
	.set _ZN7rocprim17ROCPRIM_400000_NS6detail17trampoline_kernelINS0_14default_configENS1_36segmented_radix_sort_config_selectorIdlEEZNS1_25segmented_radix_sort_implIS3_Lb1EPKdPdPKlPlN2at6native12_GLOBAL__N_18offset_tEEE10hipError_tPvRmT1_PNSt15iterator_traitsISK_E10value_typeET2_T3_PNSL_ISQ_E10value_typeET4_jRbjT5_SW_jjP12ihipStream_tbEUlT_E2_NS1_11comp_targetILNS1_3genE5ELNS1_11target_archE942ELNS1_3gpuE9ELNS1_3repE0EEENS1_30default_config_static_selectorELNS0_4arch9wavefront6targetE0EEEvSK_.uses_vcc, 0
	.set _ZN7rocprim17ROCPRIM_400000_NS6detail17trampoline_kernelINS0_14default_configENS1_36segmented_radix_sort_config_selectorIdlEEZNS1_25segmented_radix_sort_implIS3_Lb1EPKdPdPKlPlN2at6native12_GLOBAL__N_18offset_tEEE10hipError_tPvRmT1_PNSt15iterator_traitsISK_E10value_typeET2_T3_PNSL_ISQ_E10value_typeET4_jRbjT5_SW_jjP12ihipStream_tbEUlT_E2_NS1_11comp_targetILNS1_3genE5ELNS1_11target_archE942ELNS1_3gpuE9ELNS1_3repE0EEENS1_30default_config_static_selectorELNS0_4arch9wavefront6targetE0EEEvSK_.uses_flat_scratch, 0
	.set _ZN7rocprim17ROCPRIM_400000_NS6detail17trampoline_kernelINS0_14default_configENS1_36segmented_radix_sort_config_selectorIdlEEZNS1_25segmented_radix_sort_implIS3_Lb1EPKdPdPKlPlN2at6native12_GLOBAL__N_18offset_tEEE10hipError_tPvRmT1_PNSt15iterator_traitsISK_E10value_typeET2_T3_PNSL_ISQ_E10value_typeET4_jRbjT5_SW_jjP12ihipStream_tbEUlT_E2_NS1_11comp_targetILNS1_3genE5ELNS1_11target_archE942ELNS1_3gpuE9ELNS1_3repE0EEENS1_30default_config_static_selectorELNS0_4arch9wavefront6targetE0EEEvSK_.has_dyn_sized_stack, 0
	.set _ZN7rocprim17ROCPRIM_400000_NS6detail17trampoline_kernelINS0_14default_configENS1_36segmented_radix_sort_config_selectorIdlEEZNS1_25segmented_radix_sort_implIS3_Lb1EPKdPdPKlPlN2at6native12_GLOBAL__N_18offset_tEEE10hipError_tPvRmT1_PNSt15iterator_traitsISK_E10value_typeET2_T3_PNSL_ISQ_E10value_typeET4_jRbjT5_SW_jjP12ihipStream_tbEUlT_E2_NS1_11comp_targetILNS1_3genE5ELNS1_11target_archE942ELNS1_3gpuE9ELNS1_3repE0EEENS1_30default_config_static_selectorELNS0_4arch9wavefront6targetE0EEEvSK_.has_recursion, 0
	.set _ZN7rocprim17ROCPRIM_400000_NS6detail17trampoline_kernelINS0_14default_configENS1_36segmented_radix_sort_config_selectorIdlEEZNS1_25segmented_radix_sort_implIS3_Lb1EPKdPdPKlPlN2at6native12_GLOBAL__N_18offset_tEEE10hipError_tPvRmT1_PNSt15iterator_traitsISK_E10value_typeET2_T3_PNSL_ISQ_E10value_typeET4_jRbjT5_SW_jjP12ihipStream_tbEUlT_E2_NS1_11comp_targetILNS1_3genE5ELNS1_11target_archE942ELNS1_3gpuE9ELNS1_3repE0EEENS1_30default_config_static_selectorELNS0_4arch9wavefront6targetE0EEEvSK_.has_indirect_call, 0
	.section	.AMDGPU.csdata,"",@progbits
; Kernel info:
; codeLenInByte = 0
; TotalNumSgprs: 0
; NumVgprs: 0
; ScratchSize: 0
; MemoryBound: 0
; FloatMode: 240
; IeeeMode: 1
; LDSByteSize: 0 bytes/workgroup (compile time only)
; SGPRBlocks: 0
; VGPRBlocks: 0
; NumSGPRsForWavesPerEU: 1
; NumVGPRsForWavesPerEU: 1
; Occupancy: 16
; WaveLimiterHint : 0
; COMPUTE_PGM_RSRC2:SCRATCH_EN: 0
; COMPUTE_PGM_RSRC2:USER_SGPR: 2
; COMPUTE_PGM_RSRC2:TRAP_HANDLER: 0
; COMPUTE_PGM_RSRC2:TGID_X_EN: 1
; COMPUTE_PGM_RSRC2:TGID_Y_EN: 0
; COMPUTE_PGM_RSRC2:TGID_Z_EN: 0
; COMPUTE_PGM_RSRC2:TIDIG_COMP_CNT: 0
	.section	.text._ZN7rocprim17ROCPRIM_400000_NS6detail17trampoline_kernelINS0_14default_configENS1_36segmented_radix_sort_config_selectorIdlEEZNS1_25segmented_radix_sort_implIS3_Lb1EPKdPdPKlPlN2at6native12_GLOBAL__N_18offset_tEEE10hipError_tPvRmT1_PNSt15iterator_traitsISK_E10value_typeET2_T3_PNSL_ISQ_E10value_typeET4_jRbjT5_SW_jjP12ihipStream_tbEUlT_E2_NS1_11comp_targetILNS1_3genE4ELNS1_11target_archE910ELNS1_3gpuE8ELNS1_3repE0EEENS1_30default_config_static_selectorELNS0_4arch9wavefront6targetE0EEEvSK_,"axG",@progbits,_ZN7rocprim17ROCPRIM_400000_NS6detail17trampoline_kernelINS0_14default_configENS1_36segmented_radix_sort_config_selectorIdlEEZNS1_25segmented_radix_sort_implIS3_Lb1EPKdPdPKlPlN2at6native12_GLOBAL__N_18offset_tEEE10hipError_tPvRmT1_PNSt15iterator_traitsISK_E10value_typeET2_T3_PNSL_ISQ_E10value_typeET4_jRbjT5_SW_jjP12ihipStream_tbEUlT_E2_NS1_11comp_targetILNS1_3genE4ELNS1_11target_archE910ELNS1_3gpuE8ELNS1_3repE0EEENS1_30default_config_static_selectorELNS0_4arch9wavefront6targetE0EEEvSK_,comdat
	.globl	_ZN7rocprim17ROCPRIM_400000_NS6detail17trampoline_kernelINS0_14default_configENS1_36segmented_radix_sort_config_selectorIdlEEZNS1_25segmented_radix_sort_implIS3_Lb1EPKdPdPKlPlN2at6native12_GLOBAL__N_18offset_tEEE10hipError_tPvRmT1_PNSt15iterator_traitsISK_E10value_typeET2_T3_PNSL_ISQ_E10value_typeET4_jRbjT5_SW_jjP12ihipStream_tbEUlT_E2_NS1_11comp_targetILNS1_3genE4ELNS1_11target_archE910ELNS1_3gpuE8ELNS1_3repE0EEENS1_30default_config_static_selectorELNS0_4arch9wavefront6targetE0EEEvSK_ ; -- Begin function _ZN7rocprim17ROCPRIM_400000_NS6detail17trampoline_kernelINS0_14default_configENS1_36segmented_radix_sort_config_selectorIdlEEZNS1_25segmented_radix_sort_implIS3_Lb1EPKdPdPKlPlN2at6native12_GLOBAL__N_18offset_tEEE10hipError_tPvRmT1_PNSt15iterator_traitsISK_E10value_typeET2_T3_PNSL_ISQ_E10value_typeET4_jRbjT5_SW_jjP12ihipStream_tbEUlT_E2_NS1_11comp_targetILNS1_3genE4ELNS1_11target_archE910ELNS1_3gpuE8ELNS1_3repE0EEENS1_30default_config_static_selectorELNS0_4arch9wavefront6targetE0EEEvSK_
	.p2align	8
	.type	_ZN7rocprim17ROCPRIM_400000_NS6detail17trampoline_kernelINS0_14default_configENS1_36segmented_radix_sort_config_selectorIdlEEZNS1_25segmented_radix_sort_implIS3_Lb1EPKdPdPKlPlN2at6native12_GLOBAL__N_18offset_tEEE10hipError_tPvRmT1_PNSt15iterator_traitsISK_E10value_typeET2_T3_PNSL_ISQ_E10value_typeET4_jRbjT5_SW_jjP12ihipStream_tbEUlT_E2_NS1_11comp_targetILNS1_3genE4ELNS1_11target_archE910ELNS1_3gpuE8ELNS1_3repE0EEENS1_30default_config_static_selectorELNS0_4arch9wavefront6targetE0EEEvSK_,@function
_ZN7rocprim17ROCPRIM_400000_NS6detail17trampoline_kernelINS0_14default_configENS1_36segmented_radix_sort_config_selectorIdlEEZNS1_25segmented_radix_sort_implIS3_Lb1EPKdPdPKlPlN2at6native12_GLOBAL__N_18offset_tEEE10hipError_tPvRmT1_PNSt15iterator_traitsISK_E10value_typeET2_T3_PNSL_ISQ_E10value_typeET4_jRbjT5_SW_jjP12ihipStream_tbEUlT_E2_NS1_11comp_targetILNS1_3genE4ELNS1_11target_archE910ELNS1_3gpuE8ELNS1_3repE0EEENS1_30default_config_static_selectorELNS0_4arch9wavefront6targetE0EEEvSK_: ; @_ZN7rocprim17ROCPRIM_400000_NS6detail17trampoline_kernelINS0_14default_configENS1_36segmented_radix_sort_config_selectorIdlEEZNS1_25segmented_radix_sort_implIS3_Lb1EPKdPdPKlPlN2at6native12_GLOBAL__N_18offset_tEEE10hipError_tPvRmT1_PNSt15iterator_traitsISK_E10value_typeET2_T3_PNSL_ISQ_E10value_typeET4_jRbjT5_SW_jjP12ihipStream_tbEUlT_E2_NS1_11comp_targetILNS1_3genE4ELNS1_11target_archE910ELNS1_3gpuE8ELNS1_3repE0EEENS1_30default_config_static_selectorELNS0_4arch9wavefront6targetE0EEEvSK_
; %bb.0:
	.section	.rodata,"a",@progbits
	.p2align	6, 0x0
	.amdhsa_kernel _ZN7rocprim17ROCPRIM_400000_NS6detail17trampoline_kernelINS0_14default_configENS1_36segmented_radix_sort_config_selectorIdlEEZNS1_25segmented_radix_sort_implIS3_Lb1EPKdPdPKlPlN2at6native12_GLOBAL__N_18offset_tEEE10hipError_tPvRmT1_PNSt15iterator_traitsISK_E10value_typeET2_T3_PNSL_ISQ_E10value_typeET4_jRbjT5_SW_jjP12ihipStream_tbEUlT_E2_NS1_11comp_targetILNS1_3genE4ELNS1_11target_archE910ELNS1_3gpuE8ELNS1_3repE0EEENS1_30default_config_static_selectorELNS0_4arch9wavefront6targetE0EEEvSK_
		.amdhsa_group_segment_fixed_size 0
		.amdhsa_private_segment_fixed_size 0
		.amdhsa_kernarg_size 80
		.amdhsa_user_sgpr_count 2
		.amdhsa_user_sgpr_dispatch_ptr 0
		.amdhsa_user_sgpr_queue_ptr 0
		.amdhsa_user_sgpr_kernarg_segment_ptr 1
		.amdhsa_user_sgpr_dispatch_id 0
		.amdhsa_user_sgpr_private_segment_size 0
		.amdhsa_wavefront_size32 1
		.amdhsa_uses_dynamic_stack 0
		.amdhsa_enable_private_segment 0
		.amdhsa_system_sgpr_workgroup_id_x 1
		.amdhsa_system_sgpr_workgroup_id_y 0
		.amdhsa_system_sgpr_workgroup_id_z 0
		.amdhsa_system_sgpr_workgroup_info 0
		.amdhsa_system_vgpr_workitem_id 0
		.amdhsa_next_free_vgpr 1
		.amdhsa_next_free_sgpr 1
		.amdhsa_reserve_vcc 0
		.amdhsa_float_round_mode_32 0
		.amdhsa_float_round_mode_16_64 0
		.amdhsa_float_denorm_mode_32 3
		.amdhsa_float_denorm_mode_16_64 3
		.amdhsa_fp16_overflow 0
		.amdhsa_workgroup_processor_mode 1
		.amdhsa_memory_ordered 1
		.amdhsa_forward_progress 1
		.amdhsa_inst_pref_size 0
		.amdhsa_round_robin_scheduling 0
		.amdhsa_exception_fp_ieee_invalid_op 0
		.amdhsa_exception_fp_denorm_src 0
		.amdhsa_exception_fp_ieee_div_zero 0
		.amdhsa_exception_fp_ieee_overflow 0
		.amdhsa_exception_fp_ieee_underflow 0
		.amdhsa_exception_fp_ieee_inexact 0
		.amdhsa_exception_int_div_zero 0
	.end_amdhsa_kernel
	.section	.text._ZN7rocprim17ROCPRIM_400000_NS6detail17trampoline_kernelINS0_14default_configENS1_36segmented_radix_sort_config_selectorIdlEEZNS1_25segmented_radix_sort_implIS3_Lb1EPKdPdPKlPlN2at6native12_GLOBAL__N_18offset_tEEE10hipError_tPvRmT1_PNSt15iterator_traitsISK_E10value_typeET2_T3_PNSL_ISQ_E10value_typeET4_jRbjT5_SW_jjP12ihipStream_tbEUlT_E2_NS1_11comp_targetILNS1_3genE4ELNS1_11target_archE910ELNS1_3gpuE8ELNS1_3repE0EEENS1_30default_config_static_selectorELNS0_4arch9wavefront6targetE0EEEvSK_,"axG",@progbits,_ZN7rocprim17ROCPRIM_400000_NS6detail17trampoline_kernelINS0_14default_configENS1_36segmented_radix_sort_config_selectorIdlEEZNS1_25segmented_radix_sort_implIS3_Lb1EPKdPdPKlPlN2at6native12_GLOBAL__N_18offset_tEEE10hipError_tPvRmT1_PNSt15iterator_traitsISK_E10value_typeET2_T3_PNSL_ISQ_E10value_typeET4_jRbjT5_SW_jjP12ihipStream_tbEUlT_E2_NS1_11comp_targetILNS1_3genE4ELNS1_11target_archE910ELNS1_3gpuE8ELNS1_3repE0EEENS1_30default_config_static_selectorELNS0_4arch9wavefront6targetE0EEEvSK_,comdat
.Lfunc_end1150:
	.size	_ZN7rocprim17ROCPRIM_400000_NS6detail17trampoline_kernelINS0_14default_configENS1_36segmented_radix_sort_config_selectorIdlEEZNS1_25segmented_radix_sort_implIS3_Lb1EPKdPdPKlPlN2at6native12_GLOBAL__N_18offset_tEEE10hipError_tPvRmT1_PNSt15iterator_traitsISK_E10value_typeET2_T3_PNSL_ISQ_E10value_typeET4_jRbjT5_SW_jjP12ihipStream_tbEUlT_E2_NS1_11comp_targetILNS1_3genE4ELNS1_11target_archE910ELNS1_3gpuE8ELNS1_3repE0EEENS1_30default_config_static_selectorELNS0_4arch9wavefront6targetE0EEEvSK_, .Lfunc_end1150-_ZN7rocprim17ROCPRIM_400000_NS6detail17trampoline_kernelINS0_14default_configENS1_36segmented_radix_sort_config_selectorIdlEEZNS1_25segmented_radix_sort_implIS3_Lb1EPKdPdPKlPlN2at6native12_GLOBAL__N_18offset_tEEE10hipError_tPvRmT1_PNSt15iterator_traitsISK_E10value_typeET2_T3_PNSL_ISQ_E10value_typeET4_jRbjT5_SW_jjP12ihipStream_tbEUlT_E2_NS1_11comp_targetILNS1_3genE4ELNS1_11target_archE910ELNS1_3gpuE8ELNS1_3repE0EEENS1_30default_config_static_selectorELNS0_4arch9wavefront6targetE0EEEvSK_
                                        ; -- End function
	.set _ZN7rocprim17ROCPRIM_400000_NS6detail17trampoline_kernelINS0_14default_configENS1_36segmented_radix_sort_config_selectorIdlEEZNS1_25segmented_radix_sort_implIS3_Lb1EPKdPdPKlPlN2at6native12_GLOBAL__N_18offset_tEEE10hipError_tPvRmT1_PNSt15iterator_traitsISK_E10value_typeET2_T3_PNSL_ISQ_E10value_typeET4_jRbjT5_SW_jjP12ihipStream_tbEUlT_E2_NS1_11comp_targetILNS1_3genE4ELNS1_11target_archE910ELNS1_3gpuE8ELNS1_3repE0EEENS1_30default_config_static_selectorELNS0_4arch9wavefront6targetE0EEEvSK_.num_vgpr, 0
	.set _ZN7rocprim17ROCPRIM_400000_NS6detail17trampoline_kernelINS0_14default_configENS1_36segmented_radix_sort_config_selectorIdlEEZNS1_25segmented_radix_sort_implIS3_Lb1EPKdPdPKlPlN2at6native12_GLOBAL__N_18offset_tEEE10hipError_tPvRmT1_PNSt15iterator_traitsISK_E10value_typeET2_T3_PNSL_ISQ_E10value_typeET4_jRbjT5_SW_jjP12ihipStream_tbEUlT_E2_NS1_11comp_targetILNS1_3genE4ELNS1_11target_archE910ELNS1_3gpuE8ELNS1_3repE0EEENS1_30default_config_static_selectorELNS0_4arch9wavefront6targetE0EEEvSK_.num_agpr, 0
	.set _ZN7rocprim17ROCPRIM_400000_NS6detail17trampoline_kernelINS0_14default_configENS1_36segmented_radix_sort_config_selectorIdlEEZNS1_25segmented_radix_sort_implIS3_Lb1EPKdPdPKlPlN2at6native12_GLOBAL__N_18offset_tEEE10hipError_tPvRmT1_PNSt15iterator_traitsISK_E10value_typeET2_T3_PNSL_ISQ_E10value_typeET4_jRbjT5_SW_jjP12ihipStream_tbEUlT_E2_NS1_11comp_targetILNS1_3genE4ELNS1_11target_archE910ELNS1_3gpuE8ELNS1_3repE0EEENS1_30default_config_static_selectorELNS0_4arch9wavefront6targetE0EEEvSK_.numbered_sgpr, 0
	.set _ZN7rocprim17ROCPRIM_400000_NS6detail17trampoline_kernelINS0_14default_configENS1_36segmented_radix_sort_config_selectorIdlEEZNS1_25segmented_radix_sort_implIS3_Lb1EPKdPdPKlPlN2at6native12_GLOBAL__N_18offset_tEEE10hipError_tPvRmT1_PNSt15iterator_traitsISK_E10value_typeET2_T3_PNSL_ISQ_E10value_typeET4_jRbjT5_SW_jjP12ihipStream_tbEUlT_E2_NS1_11comp_targetILNS1_3genE4ELNS1_11target_archE910ELNS1_3gpuE8ELNS1_3repE0EEENS1_30default_config_static_selectorELNS0_4arch9wavefront6targetE0EEEvSK_.num_named_barrier, 0
	.set _ZN7rocprim17ROCPRIM_400000_NS6detail17trampoline_kernelINS0_14default_configENS1_36segmented_radix_sort_config_selectorIdlEEZNS1_25segmented_radix_sort_implIS3_Lb1EPKdPdPKlPlN2at6native12_GLOBAL__N_18offset_tEEE10hipError_tPvRmT1_PNSt15iterator_traitsISK_E10value_typeET2_T3_PNSL_ISQ_E10value_typeET4_jRbjT5_SW_jjP12ihipStream_tbEUlT_E2_NS1_11comp_targetILNS1_3genE4ELNS1_11target_archE910ELNS1_3gpuE8ELNS1_3repE0EEENS1_30default_config_static_selectorELNS0_4arch9wavefront6targetE0EEEvSK_.private_seg_size, 0
	.set _ZN7rocprim17ROCPRIM_400000_NS6detail17trampoline_kernelINS0_14default_configENS1_36segmented_radix_sort_config_selectorIdlEEZNS1_25segmented_radix_sort_implIS3_Lb1EPKdPdPKlPlN2at6native12_GLOBAL__N_18offset_tEEE10hipError_tPvRmT1_PNSt15iterator_traitsISK_E10value_typeET2_T3_PNSL_ISQ_E10value_typeET4_jRbjT5_SW_jjP12ihipStream_tbEUlT_E2_NS1_11comp_targetILNS1_3genE4ELNS1_11target_archE910ELNS1_3gpuE8ELNS1_3repE0EEENS1_30default_config_static_selectorELNS0_4arch9wavefront6targetE0EEEvSK_.uses_vcc, 0
	.set _ZN7rocprim17ROCPRIM_400000_NS6detail17trampoline_kernelINS0_14default_configENS1_36segmented_radix_sort_config_selectorIdlEEZNS1_25segmented_radix_sort_implIS3_Lb1EPKdPdPKlPlN2at6native12_GLOBAL__N_18offset_tEEE10hipError_tPvRmT1_PNSt15iterator_traitsISK_E10value_typeET2_T3_PNSL_ISQ_E10value_typeET4_jRbjT5_SW_jjP12ihipStream_tbEUlT_E2_NS1_11comp_targetILNS1_3genE4ELNS1_11target_archE910ELNS1_3gpuE8ELNS1_3repE0EEENS1_30default_config_static_selectorELNS0_4arch9wavefront6targetE0EEEvSK_.uses_flat_scratch, 0
	.set _ZN7rocprim17ROCPRIM_400000_NS6detail17trampoline_kernelINS0_14default_configENS1_36segmented_radix_sort_config_selectorIdlEEZNS1_25segmented_radix_sort_implIS3_Lb1EPKdPdPKlPlN2at6native12_GLOBAL__N_18offset_tEEE10hipError_tPvRmT1_PNSt15iterator_traitsISK_E10value_typeET2_T3_PNSL_ISQ_E10value_typeET4_jRbjT5_SW_jjP12ihipStream_tbEUlT_E2_NS1_11comp_targetILNS1_3genE4ELNS1_11target_archE910ELNS1_3gpuE8ELNS1_3repE0EEENS1_30default_config_static_selectorELNS0_4arch9wavefront6targetE0EEEvSK_.has_dyn_sized_stack, 0
	.set _ZN7rocprim17ROCPRIM_400000_NS6detail17trampoline_kernelINS0_14default_configENS1_36segmented_radix_sort_config_selectorIdlEEZNS1_25segmented_radix_sort_implIS3_Lb1EPKdPdPKlPlN2at6native12_GLOBAL__N_18offset_tEEE10hipError_tPvRmT1_PNSt15iterator_traitsISK_E10value_typeET2_T3_PNSL_ISQ_E10value_typeET4_jRbjT5_SW_jjP12ihipStream_tbEUlT_E2_NS1_11comp_targetILNS1_3genE4ELNS1_11target_archE910ELNS1_3gpuE8ELNS1_3repE0EEENS1_30default_config_static_selectorELNS0_4arch9wavefront6targetE0EEEvSK_.has_recursion, 0
	.set _ZN7rocprim17ROCPRIM_400000_NS6detail17trampoline_kernelINS0_14default_configENS1_36segmented_radix_sort_config_selectorIdlEEZNS1_25segmented_radix_sort_implIS3_Lb1EPKdPdPKlPlN2at6native12_GLOBAL__N_18offset_tEEE10hipError_tPvRmT1_PNSt15iterator_traitsISK_E10value_typeET2_T3_PNSL_ISQ_E10value_typeET4_jRbjT5_SW_jjP12ihipStream_tbEUlT_E2_NS1_11comp_targetILNS1_3genE4ELNS1_11target_archE910ELNS1_3gpuE8ELNS1_3repE0EEENS1_30default_config_static_selectorELNS0_4arch9wavefront6targetE0EEEvSK_.has_indirect_call, 0
	.section	.AMDGPU.csdata,"",@progbits
; Kernel info:
; codeLenInByte = 0
; TotalNumSgprs: 0
; NumVgprs: 0
; ScratchSize: 0
; MemoryBound: 0
; FloatMode: 240
; IeeeMode: 1
; LDSByteSize: 0 bytes/workgroup (compile time only)
; SGPRBlocks: 0
; VGPRBlocks: 0
; NumSGPRsForWavesPerEU: 1
; NumVGPRsForWavesPerEU: 1
; Occupancy: 16
; WaveLimiterHint : 0
; COMPUTE_PGM_RSRC2:SCRATCH_EN: 0
; COMPUTE_PGM_RSRC2:USER_SGPR: 2
; COMPUTE_PGM_RSRC2:TRAP_HANDLER: 0
; COMPUTE_PGM_RSRC2:TGID_X_EN: 1
; COMPUTE_PGM_RSRC2:TGID_Y_EN: 0
; COMPUTE_PGM_RSRC2:TGID_Z_EN: 0
; COMPUTE_PGM_RSRC2:TIDIG_COMP_CNT: 0
	.section	.text._ZN7rocprim17ROCPRIM_400000_NS6detail17trampoline_kernelINS0_14default_configENS1_36segmented_radix_sort_config_selectorIdlEEZNS1_25segmented_radix_sort_implIS3_Lb1EPKdPdPKlPlN2at6native12_GLOBAL__N_18offset_tEEE10hipError_tPvRmT1_PNSt15iterator_traitsISK_E10value_typeET2_T3_PNSL_ISQ_E10value_typeET4_jRbjT5_SW_jjP12ihipStream_tbEUlT_E2_NS1_11comp_targetILNS1_3genE3ELNS1_11target_archE908ELNS1_3gpuE7ELNS1_3repE0EEENS1_30default_config_static_selectorELNS0_4arch9wavefront6targetE0EEEvSK_,"axG",@progbits,_ZN7rocprim17ROCPRIM_400000_NS6detail17trampoline_kernelINS0_14default_configENS1_36segmented_radix_sort_config_selectorIdlEEZNS1_25segmented_radix_sort_implIS3_Lb1EPKdPdPKlPlN2at6native12_GLOBAL__N_18offset_tEEE10hipError_tPvRmT1_PNSt15iterator_traitsISK_E10value_typeET2_T3_PNSL_ISQ_E10value_typeET4_jRbjT5_SW_jjP12ihipStream_tbEUlT_E2_NS1_11comp_targetILNS1_3genE3ELNS1_11target_archE908ELNS1_3gpuE7ELNS1_3repE0EEENS1_30default_config_static_selectorELNS0_4arch9wavefront6targetE0EEEvSK_,comdat
	.globl	_ZN7rocprim17ROCPRIM_400000_NS6detail17trampoline_kernelINS0_14default_configENS1_36segmented_radix_sort_config_selectorIdlEEZNS1_25segmented_radix_sort_implIS3_Lb1EPKdPdPKlPlN2at6native12_GLOBAL__N_18offset_tEEE10hipError_tPvRmT1_PNSt15iterator_traitsISK_E10value_typeET2_T3_PNSL_ISQ_E10value_typeET4_jRbjT5_SW_jjP12ihipStream_tbEUlT_E2_NS1_11comp_targetILNS1_3genE3ELNS1_11target_archE908ELNS1_3gpuE7ELNS1_3repE0EEENS1_30default_config_static_selectorELNS0_4arch9wavefront6targetE0EEEvSK_ ; -- Begin function _ZN7rocprim17ROCPRIM_400000_NS6detail17trampoline_kernelINS0_14default_configENS1_36segmented_radix_sort_config_selectorIdlEEZNS1_25segmented_radix_sort_implIS3_Lb1EPKdPdPKlPlN2at6native12_GLOBAL__N_18offset_tEEE10hipError_tPvRmT1_PNSt15iterator_traitsISK_E10value_typeET2_T3_PNSL_ISQ_E10value_typeET4_jRbjT5_SW_jjP12ihipStream_tbEUlT_E2_NS1_11comp_targetILNS1_3genE3ELNS1_11target_archE908ELNS1_3gpuE7ELNS1_3repE0EEENS1_30default_config_static_selectorELNS0_4arch9wavefront6targetE0EEEvSK_
	.p2align	8
	.type	_ZN7rocprim17ROCPRIM_400000_NS6detail17trampoline_kernelINS0_14default_configENS1_36segmented_radix_sort_config_selectorIdlEEZNS1_25segmented_radix_sort_implIS3_Lb1EPKdPdPKlPlN2at6native12_GLOBAL__N_18offset_tEEE10hipError_tPvRmT1_PNSt15iterator_traitsISK_E10value_typeET2_T3_PNSL_ISQ_E10value_typeET4_jRbjT5_SW_jjP12ihipStream_tbEUlT_E2_NS1_11comp_targetILNS1_3genE3ELNS1_11target_archE908ELNS1_3gpuE7ELNS1_3repE0EEENS1_30default_config_static_selectorELNS0_4arch9wavefront6targetE0EEEvSK_,@function
_ZN7rocprim17ROCPRIM_400000_NS6detail17trampoline_kernelINS0_14default_configENS1_36segmented_radix_sort_config_selectorIdlEEZNS1_25segmented_radix_sort_implIS3_Lb1EPKdPdPKlPlN2at6native12_GLOBAL__N_18offset_tEEE10hipError_tPvRmT1_PNSt15iterator_traitsISK_E10value_typeET2_T3_PNSL_ISQ_E10value_typeET4_jRbjT5_SW_jjP12ihipStream_tbEUlT_E2_NS1_11comp_targetILNS1_3genE3ELNS1_11target_archE908ELNS1_3gpuE7ELNS1_3repE0EEENS1_30default_config_static_selectorELNS0_4arch9wavefront6targetE0EEEvSK_: ; @_ZN7rocprim17ROCPRIM_400000_NS6detail17trampoline_kernelINS0_14default_configENS1_36segmented_radix_sort_config_selectorIdlEEZNS1_25segmented_radix_sort_implIS3_Lb1EPKdPdPKlPlN2at6native12_GLOBAL__N_18offset_tEEE10hipError_tPvRmT1_PNSt15iterator_traitsISK_E10value_typeET2_T3_PNSL_ISQ_E10value_typeET4_jRbjT5_SW_jjP12ihipStream_tbEUlT_E2_NS1_11comp_targetILNS1_3genE3ELNS1_11target_archE908ELNS1_3gpuE7ELNS1_3repE0EEENS1_30default_config_static_selectorELNS0_4arch9wavefront6targetE0EEEvSK_
; %bb.0:
	.section	.rodata,"a",@progbits
	.p2align	6, 0x0
	.amdhsa_kernel _ZN7rocprim17ROCPRIM_400000_NS6detail17trampoline_kernelINS0_14default_configENS1_36segmented_radix_sort_config_selectorIdlEEZNS1_25segmented_radix_sort_implIS3_Lb1EPKdPdPKlPlN2at6native12_GLOBAL__N_18offset_tEEE10hipError_tPvRmT1_PNSt15iterator_traitsISK_E10value_typeET2_T3_PNSL_ISQ_E10value_typeET4_jRbjT5_SW_jjP12ihipStream_tbEUlT_E2_NS1_11comp_targetILNS1_3genE3ELNS1_11target_archE908ELNS1_3gpuE7ELNS1_3repE0EEENS1_30default_config_static_selectorELNS0_4arch9wavefront6targetE0EEEvSK_
		.amdhsa_group_segment_fixed_size 0
		.amdhsa_private_segment_fixed_size 0
		.amdhsa_kernarg_size 80
		.amdhsa_user_sgpr_count 2
		.amdhsa_user_sgpr_dispatch_ptr 0
		.amdhsa_user_sgpr_queue_ptr 0
		.amdhsa_user_sgpr_kernarg_segment_ptr 1
		.amdhsa_user_sgpr_dispatch_id 0
		.amdhsa_user_sgpr_private_segment_size 0
		.amdhsa_wavefront_size32 1
		.amdhsa_uses_dynamic_stack 0
		.amdhsa_enable_private_segment 0
		.amdhsa_system_sgpr_workgroup_id_x 1
		.amdhsa_system_sgpr_workgroup_id_y 0
		.amdhsa_system_sgpr_workgroup_id_z 0
		.amdhsa_system_sgpr_workgroup_info 0
		.amdhsa_system_vgpr_workitem_id 0
		.amdhsa_next_free_vgpr 1
		.amdhsa_next_free_sgpr 1
		.amdhsa_reserve_vcc 0
		.amdhsa_float_round_mode_32 0
		.amdhsa_float_round_mode_16_64 0
		.amdhsa_float_denorm_mode_32 3
		.amdhsa_float_denorm_mode_16_64 3
		.amdhsa_fp16_overflow 0
		.amdhsa_workgroup_processor_mode 1
		.amdhsa_memory_ordered 1
		.amdhsa_forward_progress 1
		.amdhsa_inst_pref_size 0
		.amdhsa_round_robin_scheduling 0
		.amdhsa_exception_fp_ieee_invalid_op 0
		.amdhsa_exception_fp_denorm_src 0
		.amdhsa_exception_fp_ieee_div_zero 0
		.amdhsa_exception_fp_ieee_overflow 0
		.amdhsa_exception_fp_ieee_underflow 0
		.amdhsa_exception_fp_ieee_inexact 0
		.amdhsa_exception_int_div_zero 0
	.end_amdhsa_kernel
	.section	.text._ZN7rocprim17ROCPRIM_400000_NS6detail17trampoline_kernelINS0_14default_configENS1_36segmented_radix_sort_config_selectorIdlEEZNS1_25segmented_radix_sort_implIS3_Lb1EPKdPdPKlPlN2at6native12_GLOBAL__N_18offset_tEEE10hipError_tPvRmT1_PNSt15iterator_traitsISK_E10value_typeET2_T3_PNSL_ISQ_E10value_typeET4_jRbjT5_SW_jjP12ihipStream_tbEUlT_E2_NS1_11comp_targetILNS1_3genE3ELNS1_11target_archE908ELNS1_3gpuE7ELNS1_3repE0EEENS1_30default_config_static_selectorELNS0_4arch9wavefront6targetE0EEEvSK_,"axG",@progbits,_ZN7rocprim17ROCPRIM_400000_NS6detail17trampoline_kernelINS0_14default_configENS1_36segmented_radix_sort_config_selectorIdlEEZNS1_25segmented_radix_sort_implIS3_Lb1EPKdPdPKlPlN2at6native12_GLOBAL__N_18offset_tEEE10hipError_tPvRmT1_PNSt15iterator_traitsISK_E10value_typeET2_T3_PNSL_ISQ_E10value_typeET4_jRbjT5_SW_jjP12ihipStream_tbEUlT_E2_NS1_11comp_targetILNS1_3genE3ELNS1_11target_archE908ELNS1_3gpuE7ELNS1_3repE0EEENS1_30default_config_static_selectorELNS0_4arch9wavefront6targetE0EEEvSK_,comdat
.Lfunc_end1151:
	.size	_ZN7rocprim17ROCPRIM_400000_NS6detail17trampoline_kernelINS0_14default_configENS1_36segmented_radix_sort_config_selectorIdlEEZNS1_25segmented_radix_sort_implIS3_Lb1EPKdPdPKlPlN2at6native12_GLOBAL__N_18offset_tEEE10hipError_tPvRmT1_PNSt15iterator_traitsISK_E10value_typeET2_T3_PNSL_ISQ_E10value_typeET4_jRbjT5_SW_jjP12ihipStream_tbEUlT_E2_NS1_11comp_targetILNS1_3genE3ELNS1_11target_archE908ELNS1_3gpuE7ELNS1_3repE0EEENS1_30default_config_static_selectorELNS0_4arch9wavefront6targetE0EEEvSK_, .Lfunc_end1151-_ZN7rocprim17ROCPRIM_400000_NS6detail17trampoline_kernelINS0_14default_configENS1_36segmented_radix_sort_config_selectorIdlEEZNS1_25segmented_radix_sort_implIS3_Lb1EPKdPdPKlPlN2at6native12_GLOBAL__N_18offset_tEEE10hipError_tPvRmT1_PNSt15iterator_traitsISK_E10value_typeET2_T3_PNSL_ISQ_E10value_typeET4_jRbjT5_SW_jjP12ihipStream_tbEUlT_E2_NS1_11comp_targetILNS1_3genE3ELNS1_11target_archE908ELNS1_3gpuE7ELNS1_3repE0EEENS1_30default_config_static_selectorELNS0_4arch9wavefront6targetE0EEEvSK_
                                        ; -- End function
	.set _ZN7rocprim17ROCPRIM_400000_NS6detail17trampoline_kernelINS0_14default_configENS1_36segmented_radix_sort_config_selectorIdlEEZNS1_25segmented_radix_sort_implIS3_Lb1EPKdPdPKlPlN2at6native12_GLOBAL__N_18offset_tEEE10hipError_tPvRmT1_PNSt15iterator_traitsISK_E10value_typeET2_T3_PNSL_ISQ_E10value_typeET4_jRbjT5_SW_jjP12ihipStream_tbEUlT_E2_NS1_11comp_targetILNS1_3genE3ELNS1_11target_archE908ELNS1_3gpuE7ELNS1_3repE0EEENS1_30default_config_static_selectorELNS0_4arch9wavefront6targetE0EEEvSK_.num_vgpr, 0
	.set _ZN7rocprim17ROCPRIM_400000_NS6detail17trampoline_kernelINS0_14default_configENS1_36segmented_radix_sort_config_selectorIdlEEZNS1_25segmented_radix_sort_implIS3_Lb1EPKdPdPKlPlN2at6native12_GLOBAL__N_18offset_tEEE10hipError_tPvRmT1_PNSt15iterator_traitsISK_E10value_typeET2_T3_PNSL_ISQ_E10value_typeET4_jRbjT5_SW_jjP12ihipStream_tbEUlT_E2_NS1_11comp_targetILNS1_3genE3ELNS1_11target_archE908ELNS1_3gpuE7ELNS1_3repE0EEENS1_30default_config_static_selectorELNS0_4arch9wavefront6targetE0EEEvSK_.num_agpr, 0
	.set _ZN7rocprim17ROCPRIM_400000_NS6detail17trampoline_kernelINS0_14default_configENS1_36segmented_radix_sort_config_selectorIdlEEZNS1_25segmented_radix_sort_implIS3_Lb1EPKdPdPKlPlN2at6native12_GLOBAL__N_18offset_tEEE10hipError_tPvRmT1_PNSt15iterator_traitsISK_E10value_typeET2_T3_PNSL_ISQ_E10value_typeET4_jRbjT5_SW_jjP12ihipStream_tbEUlT_E2_NS1_11comp_targetILNS1_3genE3ELNS1_11target_archE908ELNS1_3gpuE7ELNS1_3repE0EEENS1_30default_config_static_selectorELNS0_4arch9wavefront6targetE0EEEvSK_.numbered_sgpr, 0
	.set _ZN7rocprim17ROCPRIM_400000_NS6detail17trampoline_kernelINS0_14default_configENS1_36segmented_radix_sort_config_selectorIdlEEZNS1_25segmented_radix_sort_implIS3_Lb1EPKdPdPKlPlN2at6native12_GLOBAL__N_18offset_tEEE10hipError_tPvRmT1_PNSt15iterator_traitsISK_E10value_typeET2_T3_PNSL_ISQ_E10value_typeET4_jRbjT5_SW_jjP12ihipStream_tbEUlT_E2_NS1_11comp_targetILNS1_3genE3ELNS1_11target_archE908ELNS1_3gpuE7ELNS1_3repE0EEENS1_30default_config_static_selectorELNS0_4arch9wavefront6targetE0EEEvSK_.num_named_barrier, 0
	.set _ZN7rocprim17ROCPRIM_400000_NS6detail17trampoline_kernelINS0_14default_configENS1_36segmented_radix_sort_config_selectorIdlEEZNS1_25segmented_radix_sort_implIS3_Lb1EPKdPdPKlPlN2at6native12_GLOBAL__N_18offset_tEEE10hipError_tPvRmT1_PNSt15iterator_traitsISK_E10value_typeET2_T3_PNSL_ISQ_E10value_typeET4_jRbjT5_SW_jjP12ihipStream_tbEUlT_E2_NS1_11comp_targetILNS1_3genE3ELNS1_11target_archE908ELNS1_3gpuE7ELNS1_3repE0EEENS1_30default_config_static_selectorELNS0_4arch9wavefront6targetE0EEEvSK_.private_seg_size, 0
	.set _ZN7rocprim17ROCPRIM_400000_NS6detail17trampoline_kernelINS0_14default_configENS1_36segmented_radix_sort_config_selectorIdlEEZNS1_25segmented_radix_sort_implIS3_Lb1EPKdPdPKlPlN2at6native12_GLOBAL__N_18offset_tEEE10hipError_tPvRmT1_PNSt15iterator_traitsISK_E10value_typeET2_T3_PNSL_ISQ_E10value_typeET4_jRbjT5_SW_jjP12ihipStream_tbEUlT_E2_NS1_11comp_targetILNS1_3genE3ELNS1_11target_archE908ELNS1_3gpuE7ELNS1_3repE0EEENS1_30default_config_static_selectorELNS0_4arch9wavefront6targetE0EEEvSK_.uses_vcc, 0
	.set _ZN7rocprim17ROCPRIM_400000_NS6detail17trampoline_kernelINS0_14default_configENS1_36segmented_radix_sort_config_selectorIdlEEZNS1_25segmented_radix_sort_implIS3_Lb1EPKdPdPKlPlN2at6native12_GLOBAL__N_18offset_tEEE10hipError_tPvRmT1_PNSt15iterator_traitsISK_E10value_typeET2_T3_PNSL_ISQ_E10value_typeET4_jRbjT5_SW_jjP12ihipStream_tbEUlT_E2_NS1_11comp_targetILNS1_3genE3ELNS1_11target_archE908ELNS1_3gpuE7ELNS1_3repE0EEENS1_30default_config_static_selectorELNS0_4arch9wavefront6targetE0EEEvSK_.uses_flat_scratch, 0
	.set _ZN7rocprim17ROCPRIM_400000_NS6detail17trampoline_kernelINS0_14default_configENS1_36segmented_radix_sort_config_selectorIdlEEZNS1_25segmented_radix_sort_implIS3_Lb1EPKdPdPKlPlN2at6native12_GLOBAL__N_18offset_tEEE10hipError_tPvRmT1_PNSt15iterator_traitsISK_E10value_typeET2_T3_PNSL_ISQ_E10value_typeET4_jRbjT5_SW_jjP12ihipStream_tbEUlT_E2_NS1_11comp_targetILNS1_3genE3ELNS1_11target_archE908ELNS1_3gpuE7ELNS1_3repE0EEENS1_30default_config_static_selectorELNS0_4arch9wavefront6targetE0EEEvSK_.has_dyn_sized_stack, 0
	.set _ZN7rocprim17ROCPRIM_400000_NS6detail17trampoline_kernelINS0_14default_configENS1_36segmented_radix_sort_config_selectorIdlEEZNS1_25segmented_radix_sort_implIS3_Lb1EPKdPdPKlPlN2at6native12_GLOBAL__N_18offset_tEEE10hipError_tPvRmT1_PNSt15iterator_traitsISK_E10value_typeET2_T3_PNSL_ISQ_E10value_typeET4_jRbjT5_SW_jjP12ihipStream_tbEUlT_E2_NS1_11comp_targetILNS1_3genE3ELNS1_11target_archE908ELNS1_3gpuE7ELNS1_3repE0EEENS1_30default_config_static_selectorELNS0_4arch9wavefront6targetE0EEEvSK_.has_recursion, 0
	.set _ZN7rocprim17ROCPRIM_400000_NS6detail17trampoline_kernelINS0_14default_configENS1_36segmented_radix_sort_config_selectorIdlEEZNS1_25segmented_radix_sort_implIS3_Lb1EPKdPdPKlPlN2at6native12_GLOBAL__N_18offset_tEEE10hipError_tPvRmT1_PNSt15iterator_traitsISK_E10value_typeET2_T3_PNSL_ISQ_E10value_typeET4_jRbjT5_SW_jjP12ihipStream_tbEUlT_E2_NS1_11comp_targetILNS1_3genE3ELNS1_11target_archE908ELNS1_3gpuE7ELNS1_3repE0EEENS1_30default_config_static_selectorELNS0_4arch9wavefront6targetE0EEEvSK_.has_indirect_call, 0
	.section	.AMDGPU.csdata,"",@progbits
; Kernel info:
; codeLenInByte = 0
; TotalNumSgprs: 0
; NumVgprs: 0
; ScratchSize: 0
; MemoryBound: 0
; FloatMode: 240
; IeeeMode: 1
; LDSByteSize: 0 bytes/workgroup (compile time only)
; SGPRBlocks: 0
; VGPRBlocks: 0
; NumSGPRsForWavesPerEU: 1
; NumVGPRsForWavesPerEU: 1
; Occupancy: 16
; WaveLimiterHint : 0
; COMPUTE_PGM_RSRC2:SCRATCH_EN: 0
; COMPUTE_PGM_RSRC2:USER_SGPR: 2
; COMPUTE_PGM_RSRC2:TRAP_HANDLER: 0
; COMPUTE_PGM_RSRC2:TGID_X_EN: 1
; COMPUTE_PGM_RSRC2:TGID_Y_EN: 0
; COMPUTE_PGM_RSRC2:TGID_Z_EN: 0
; COMPUTE_PGM_RSRC2:TIDIG_COMP_CNT: 0
	.section	.text._ZN7rocprim17ROCPRIM_400000_NS6detail17trampoline_kernelINS0_14default_configENS1_36segmented_radix_sort_config_selectorIdlEEZNS1_25segmented_radix_sort_implIS3_Lb1EPKdPdPKlPlN2at6native12_GLOBAL__N_18offset_tEEE10hipError_tPvRmT1_PNSt15iterator_traitsISK_E10value_typeET2_T3_PNSL_ISQ_E10value_typeET4_jRbjT5_SW_jjP12ihipStream_tbEUlT_E2_NS1_11comp_targetILNS1_3genE2ELNS1_11target_archE906ELNS1_3gpuE6ELNS1_3repE0EEENS1_30default_config_static_selectorELNS0_4arch9wavefront6targetE0EEEvSK_,"axG",@progbits,_ZN7rocprim17ROCPRIM_400000_NS6detail17trampoline_kernelINS0_14default_configENS1_36segmented_radix_sort_config_selectorIdlEEZNS1_25segmented_radix_sort_implIS3_Lb1EPKdPdPKlPlN2at6native12_GLOBAL__N_18offset_tEEE10hipError_tPvRmT1_PNSt15iterator_traitsISK_E10value_typeET2_T3_PNSL_ISQ_E10value_typeET4_jRbjT5_SW_jjP12ihipStream_tbEUlT_E2_NS1_11comp_targetILNS1_3genE2ELNS1_11target_archE906ELNS1_3gpuE6ELNS1_3repE0EEENS1_30default_config_static_selectorELNS0_4arch9wavefront6targetE0EEEvSK_,comdat
	.globl	_ZN7rocprim17ROCPRIM_400000_NS6detail17trampoline_kernelINS0_14default_configENS1_36segmented_radix_sort_config_selectorIdlEEZNS1_25segmented_radix_sort_implIS3_Lb1EPKdPdPKlPlN2at6native12_GLOBAL__N_18offset_tEEE10hipError_tPvRmT1_PNSt15iterator_traitsISK_E10value_typeET2_T3_PNSL_ISQ_E10value_typeET4_jRbjT5_SW_jjP12ihipStream_tbEUlT_E2_NS1_11comp_targetILNS1_3genE2ELNS1_11target_archE906ELNS1_3gpuE6ELNS1_3repE0EEENS1_30default_config_static_selectorELNS0_4arch9wavefront6targetE0EEEvSK_ ; -- Begin function _ZN7rocprim17ROCPRIM_400000_NS6detail17trampoline_kernelINS0_14default_configENS1_36segmented_radix_sort_config_selectorIdlEEZNS1_25segmented_radix_sort_implIS3_Lb1EPKdPdPKlPlN2at6native12_GLOBAL__N_18offset_tEEE10hipError_tPvRmT1_PNSt15iterator_traitsISK_E10value_typeET2_T3_PNSL_ISQ_E10value_typeET4_jRbjT5_SW_jjP12ihipStream_tbEUlT_E2_NS1_11comp_targetILNS1_3genE2ELNS1_11target_archE906ELNS1_3gpuE6ELNS1_3repE0EEENS1_30default_config_static_selectorELNS0_4arch9wavefront6targetE0EEEvSK_
	.p2align	8
	.type	_ZN7rocprim17ROCPRIM_400000_NS6detail17trampoline_kernelINS0_14default_configENS1_36segmented_radix_sort_config_selectorIdlEEZNS1_25segmented_radix_sort_implIS3_Lb1EPKdPdPKlPlN2at6native12_GLOBAL__N_18offset_tEEE10hipError_tPvRmT1_PNSt15iterator_traitsISK_E10value_typeET2_T3_PNSL_ISQ_E10value_typeET4_jRbjT5_SW_jjP12ihipStream_tbEUlT_E2_NS1_11comp_targetILNS1_3genE2ELNS1_11target_archE906ELNS1_3gpuE6ELNS1_3repE0EEENS1_30default_config_static_selectorELNS0_4arch9wavefront6targetE0EEEvSK_,@function
_ZN7rocprim17ROCPRIM_400000_NS6detail17trampoline_kernelINS0_14default_configENS1_36segmented_radix_sort_config_selectorIdlEEZNS1_25segmented_radix_sort_implIS3_Lb1EPKdPdPKlPlN2at6native12_GLOBAL__N_18offset_tEEE10hipError_tPvRmT1_PNSt15iterator_traitsISK_E10value_typeET2_T3_PNSL_ISQ_E10value_typeET4_jRbjT5_SW_jjP12ihipStream_tbEUlT_E2_NS1_11comp_targetILNS1_3genE2ELNS1_11target_archE906ELNS1_3gpuE6ELNS1_3repE0EEENS1_30default_config_static_selectorELNS0_4arch9wavefront6targetE0EEEvSK_: ; @_ZN7rocprim17ROCPRIM_400000_NS6detail17trampoline_kernelINS0_14default_configENS1_36segmented_radix_sort_config_selectorIdlEEZNS1_25segmented_radix_sort_implIS3_Lb1EPKdPdPKlPlN2at6native12_GLOBAL__N_18offset_tEEE10hipError_tPvRmT1_PNSt15iterator_traitsISK_E10value_typeET2_T3_PNSL_ISQ_E10value_typeET4_jRbjT5_SW_jjP12ihipStream_tbEUlT_E2_NS1_11comp_targetILNS1_3genE2ELNS1_11target_archE906ELNS1_3gpuE6ELNS1_3repE0EEENS1_30default_config_static_selectorELNS0_4arch9wavefront6targetE0EEEvSK_
; %bb.0:
	.section	.rodata,"a",@progbits
	.p2align	6, 0x0
	.amdhsa_kernel _ZN7rocprim17ROCPRIM_400000_NS6detail17trampoline_kernelINS0_14default_configENS1_36segmented_radix_sort_config_selectorIdlEEZNS1_25segmented_radix_sort_implIS3_Lb1EPKdPdPKlPlN2at6native12_GLOBAL__N_18offset_tEEE10hipError_tPvRmT1_PNSt15iterator_traitsISK_E10value_typeET2_T3_PNSL_ISQ_E10value_typeET4_jRbjT5_SW_jjP12ihipStream_tbEUlT_E2_NS1_11comp_targetILNS1_3genE2ELNS1_11target_archE906ELNS1_3gpuE6ELNS1_3repE0EEENS1_30default_config_static_selectorELNS0_4arch9wavefront6targetE0EEEvSK_
		.amdhsa_group_segment_fixed_size 0
		.amdhsa_private_segment_fixed_size 0
		.amdhsa_kernarg_size 80
		.amdhsa_user_sgpr_count 2
		.amdhsa_user_sgpr_dispatch_ptr 0
		.amdhsa_user_sgpr_queue_ptr 0
		.amdhsa_user_sgpr_kernarg_segment_ptr 1
		.amdhsa_user_sgpr_dispatch_id 0
		.amdhsa_user_sgpr_private_segment_size 0
		.amdhsa_wavefront_size32 1
		.amdhsa_uses_dynamic_stack 0
		.amdhsa_enable_private_segment 0
		.amdhsa_system_sgpr_workgroup_id_x 1
		.amdhsa_system_sgpr_workgroup_id_y 0
		.amdhsa_system_sgpr_workgroup_id_z 0
		.amdhsa_system_sgpr_workgroup_info 0
		.amdhsa_system_vgpr_workitem_id 0
		.amdhsa_next_free_vgpr 1
		.amdhsa_next_free_sgpr 1
		.amdhsa_reserve_vcc 0
		.amdhsa_float_round_mode_32 0
		.amdhsa_float_round_mode_16_64 0
		.amdhsa_float_denorm_mode_32 3
		.amdhsa_float_denorm_mode_16_64 3
		.amdhsa_fp16_overflow 0
		.amdhsa_workgroup_processor_mode 1
		.amdhsa_memory_ordered 1
		.amdhsa_forward_progress 1
		.amdhsa_inst_pref_size 0
		.amdhsa_round_robin_scheduling 0
		.amdhsa_exception_fp_ieee_invalid_op 0
		.amdhsa_exception_fp_denorm_src 0
		.amdhsa_exception_fp_ieee_div_zero 0
		.amdhsa_exception_fp_ieee_overflow 0
		.amdhsa_exception_fp_ieee_underflow 0
		.amdhsa_exception_fp_ieee_inexact 0
		.amdhsa_exception_int_div_zero 0
	.end_amdhsa_kernel
	.section	.text._ZN7rocprim17ROCPRIM_400000_NS6detail17trampoline_kernelINS0_14default_configENS1_36segmented_radix_sort_config_selectorIdlEEZNS1_25segmented_radix_sort_implIS3_Lb1EPKdPdPKlPlN2at6native12_GLOBAL__N_18offset_tEEE10hipError_tPvRmT1_PNSt15iterator_traitsISK_E10value_typeET2_T3_PNSL_ISQ_E10value_typeET4_jRbjT5_SW_jjP12ihipStream_tbEUlT_E2_NS1_11comp_targetILNS1_3genE2ELNS1_11target_archE906ELNS1_3gpuE6ELNS1_3repE0EEENS1_30default_config_static_selectorELNS0_4arch9wavefront6targetE0EEEvSK_,"axG",@progbits,_ZN7rocprim17ROCPRIM_400000_NS6detail17trampoline_kernelINS0_14default_configENS1_36segmented_radix_sort_config_selectorIdlEEZNS1_25segmented_radix_sort_implIS3_Lb1EPKdPdPKlPlN2at6native12_GLOBAL__N_18offset_tEEE10hipError_tPvRmT1_PNSt15iterator_traitsISK_E10value_typeET2_T3_PNSL_ISQ_E10value_typeET4_jRbjT5_SW_jjP12ihipStream_tbEUlT_E2_NS1_11comp_targetILNS1_3genE2ELNS1_11target_archE906ELNS1_3gpuE6ELNS1_3repE0EEENS1_30default_config_static_selectorELNS0_4arch9wavefront6targetE0EEEvSK_,comdat
.Lfunc_end1152:
	.size	_ZN7rocprim17ROCPRIM_400000_NS6detail17trampoline_kernelINS0_14default_configENS1_36segmented_radix_sort_config_selectorIdlEEZNS1_25segmented_radix_sort_implIS3_Lb1EPKdPdPKlPlN2at6native12_GLOBAL__N_18offset_tEEE10hipError_tPvRmT1_PNSt15iterator_traitsISK_E10value_typeET2_T3_PNSL_ISQ_E10value_typeET4_jRbjT5_SW_jjP12ihipStream_tbEUlT_E2_NS1_11comp_targetILNS1_3genE2ELNS1_11target_archE906ELNS1_3gpuE6ELNS1_3repE0EEENS1_30default_config_static_selectorELNS0_4arch9wavefront6targetE0EEEvSK_, .Lfunc_end1152-_ZN7rocprim17ROCPRIM_400000_NS6detail17trampoline_kernelINS0_14default_configENS1_36segmented_radix_sort_config_selectorIdlEEZNS1_25segmented_radix_sort_implIS3_Lb1EPKdPdPKlPlN2at6native12_GLOBAL__N_18offset_tEEE10hipError_tPvRmT1_PNSt15iterator_traitsISK_E10value_typeET2_T3_PNSL_ISQ_E10value_typeET4_jRbjT5_SW_jjP12ihipStream_tbEUlT_E2_NS1_11comp_targetILNS1_3genE2ELNS1_11target_archE906ELNS1_3gpuE6ELNS1_3repE0EEENS1_30default_config_static_selectorELNS0_4arch9wavefront6targetE0EEEvSK_
                                        ; -- End function
	.set _ZN7rocprim17ROCPRIM_400000_NS6detail17trampoline_kernelINS0_14default_configENS1_36segmented_radix_sort_config_selectorIdlEEZNS1_25segmented_radix_sort_implIS3_Lb1EPKdPdPKlPlN2at6native12_GLOBAL__N_18offset_tEEE10hipError_tPvRmT1_PNSt15iterator_traitsISK_E10value_typeET2_T3_PNSL_ISQ_E10value_typeET4_jRbjT5_SW_jjP12ihipStream_tbEUlT_E2_NS1_11comp_targetILNS1_3genE2ELNS1_11target_archE906ELNS1_3gpuE6ELNS1_3repE0EEENS1_30default_config_static_selectorELNS0_4arch9wavefront6targetE0EEEvSK_.num_vgpr, 0
	.set _ZN7rocprim17ROCPRIM_400000_NS6detail17trampoline_kernelINS0_14default_configENS1_36segmented_radix_sort_config_selectorIdlEEZNS1_25segmented_radix_sort_implIS3_Lb1EPKdPdPKlPlN2at6native12_GLOBAL__N_18offset_tEEE10hipError_tPvRmT1_PNSt15iterator_traitsISK_E10value_typeET2_T3_PNSL_ISQ_E10value_typeET4_jRbjT5_SW_jjP12ihipStream_tbEUlT_E2_NS1_11comp_targetILNS1_3genE2ELNS1_11target_archE906ELNS1_3gpuE6ELNS1_3repE0EEENS1_30default_config_static_selectorELNS0_4arch9wavefront6targetE0EEEvSK_.num_agpr, 0
	.set _ZN7rocprim17ROCPRIM_400000_NS6detail17trampoline_kernelINS0_14default_configENS1_36segmented_radix_sort_config_selectorIdlEEZNS1_25segmented_radix_sort_implIS3_Lb1EPKdPdPKlPlN2at6native12_GLOBAL__N_18offset_tEEE10hipError_tPvRmT1_PNSt15iterator_traitsISK_E10value_typeET2_T3_PNSL_ISQ_E10value_typeET4_jRbjT5_SW_jjP12ihipStream_tbEUlT_E2_NS1_11comp_targetILNS1_3genE2ELNS1_11target_archE906ELNS1_3gpuE6ELNS1_3repE0EEENS1_30default_config_static_selectorELNS0_4arch9wavefront6targetE0EEEvSK_.numbered_sgpr, 0
	.set _ZN7rocprim17ROCPRIM_400000_NS6detail17trampoline_kernelINS0_14default_configENS1_36segmented_radix_sort_config_selectorIdlEEZNS1_25segmented_radix_sort_implIS3_Lb1EPKdPdPKlPlN2at6native12_GLOBAL__N_18offset_tEEE10hipError_tPvRmT1_PNSt15iterator_traitsISK_E10value_typeET2_T3_PNSL_ISQ_E10value_typeET4_jRbjT5_SW_jjP12ihipStream_tbEUlT_E2_NS1_11comp_targetILNS1_3genE2ELNS1_11target_archE906ELNS1_3gpuE6ELNS1_3repE0EEENS1_30default_config_static_selectorELNS0_4arch9wavefront6targetE0EEEvSK_.num_named_barrier, 0
	.set _ZN7rocprim17ROCPRIM_400000_NS6detail17trampoline_kernelINS0_14default_configENS1_36segmented_radix_sort_config_selectorIdlEEZNS1_25segmented_radix_sort_implIS3_Lb1EPKdPdPKlPlN2at6native12_GLOBAL__N_18offset_tEEE10hipError_tPvRmT1_PNSt15iterator_traitsISK_E10value_typeET2_T3_PNSL_ISQ_E10value_typeET4_jRbjT5_SW_jjP12ihipStream_tbEUlT_E2_NS1_11comp_targetILNS1_3genE2ELNS1_11target_archE906ELNS1_3gpuE6ELNS1_3repE0EEENS1_30default_config_static_selectorELNS0_4arch9wavefront6targetE0EEEvSK_.private_seg_size, 0
	.set _ZN7rocprim17ROCPRIM_400000_NS6detail17trampoline_kernelINS0_14default_configENS1_36segmented_radix_sort_config_selectorIdlEEZNS1_25segmented_radix_sort_implIS3_Lb1EPKdPdPKlPlN2at6native12_GLOBAL__N_18offset_tEEE10hipError_tPvRmT1_PNSt15iterator_traitsISK_E10value_typeET2_T3_PNSL_ISQ_E10value_typeET4_jRbjT5_SW_jjP12ihipStream_tbEUlT_E2_NS1_11comp_targetILNS1_3genE2ELNS1_11target_archE906ELNS1_3gpuE6ELNS1_3repE0EEENS1_30default_config_static_selectorELNS0_4arch9wavefront6targetE0EEEvSK_.uses_vcc, 0
	.set _ZN7rocprim17ROCPRIM_400000_NS6detail17trampoline_kernelINS0_14default_configENS1_36segmented_radix_sort_config_selectorIdlEEZNS1_25segmented_radix_sort_implIS3_Lb1EPKdPdPKlPlN2at6native12_GLOBAL__N_18offset_tEEE10hipError_tPvRmT1_PNSt15iterator_traitsISK_E10value_typeET2_T3_PNSL_ISQ_E10value_typeET4_jRbjT5_SW_jjP12ihipStream_tbEUlT_E2_NS1_11comp_targetILNS1_3genE2ELNS1_11target_archE906ELNS1_3gpuE6ELNS1_3repE0EEENS1_30default_config_static_selectorELNS0_4arch9wavefront6targetE0EEEvSK_.uses_flat_scratch, 0
	.set _ZN7rocprim17ROCPRIM_400000_NS6detail17trampoline_kernelINS0_14default_configENS1_36segmented_radix_sort_config_selectorIdlEEZNS1_25segmented_radix_sort_implIS3_Lb1EPKdPdPKlPlN2at6native12_GLOBAL__N_18offset_tEEE10hipError_tPvRmT1_PNSt15iterator_traitsISK_E10value_typeET2_T3_PNSL_ISQ_E10value_typeET4_jRbjT5_SW_jjP12ihipStream_tbEUlT_E2_NS1_11comp_targetILNS1_3genE2ELNS1_11target_archE906ELNS1_3gpuE6ELNS1_3repE0EEENS1_30default_config_static_selectorELNS0_4arch9wavefront6targetE0EEEvSK_.has_dyn_sized_stack, 0
	.set _ZN7rocprim17ROCPRIM_400000_NS6detail17trampoline_kernelINS0_14default_configENS1_36segmented_radix_sort_config_selectorIdlEEZNS1_25segmented_radix_sort_implIS3_Lb1EPKdPdPKlPlN2at6native12_GLOBAL__N_18offset_tEEE10hipError_tPvRmT1_PNSt15iterator_traitsISK_E10value_typeET2_T3_PNSL_ISQ_E10value_typeET4_jRbjT5_SW_jjP12ihipStream_tbEUlT_E2_NS1_11comp_targetILNS1_3genE2ELNS1_11target_archE906ELNS1_3gpuE6ELNS1_3repE0EEENS1_30default_config_static_selectorELNS0_4arch9wavefront6targetE0EEEvSK_.has_recursion, 0
	.set _ZN7rocprim17ROCPRIM_400000_NS6detail17trampoline_kernelINS0_14default_configENS1_36segmented_radix_sort_config_selectorIdlEEZNS1_25segmented_radix_sort_implIS3_Lb1EPKdPdPKlPlN2at6native12_GLOBAL__N_18offset_tEEE10hipError_tPvRmT1_PNSt15iterator_traitsISK_E10value_typeET2_T3_PNSL_ISQ_E10value_typeET4_jRbjT5_SW_jjP12ihipStream_tbEUlT_E2_NS1_11comp_targetILNS1_3genE2ELNS1_11target_archE906ELNS1_3gpuE6ELNS1_3repE0EEENS1_30default_config_static_selectorELNS0_4arch9wavefront6targetE0EEEvSK_.has_indirect_call, 0
	.section	.AMDGPU.csdata,"",@progbits
; Kernel info:
; codeLenInByte = 0
; TotalNumSgprs: 0
; NumVgprs: 0
; ScratchSize: 0
; MemoryBound: 0
; FloatMode: 240
; IeeeMode: 1
; LDSByteSize: 0 bytes/workgroup (compile time only)
; SGPRBlocks: 0
; VGPRBlocks: 0
; NumSGPRsForWavesPerEU: 1
; NumVGPRsForWavesPerEU: 1
; Occupancy: 16
; WaveLimiterHint : 0
; COMPUTE_PGM_RSRC2:SCRATCH_EN: 0
; COMPUTE_PGM_RSRC2:USER_SGPR: 2
; COMPUTE_PGM_RSRC2:TRAP_HANDLER: 0
; COMPUTE_PGM_RSRC2:TGID_X_EN: 1
; COMPUTE_PGM_RSRC2:TGID_Y_EN: 0
; COMPUTE_PGM_RSRC2:TGID_Z_EN: 0
; COMPUTE_PGM_RSRC2:TIDIG_COMP_CNT: 0
	.section	.text._ZN7rocprim17ROCPRIM_400000_NS6detail17trampoline_kernelINS0_14default_configENS1_36segmented_radix_sort_config_selectorIdlEEZNS1_25segmented_radix_sort_implIS3_Lb1EPKdPdPKlPlN2at6native12_GLOBAL__N_18offset_tEEE10hipError_tPvRmT1_PNSt15iterator_traitsISK_E10value_typeET2_T3_PNSL_ISQ_E10value_typeET4_jRbjT5_SW_jjP12ihipStream_tbEUlT_E2_NS1_11comp_targetILNS1_3genE10ELNS1_11target_archE1201ELNS1_3gpuE5ELNS1_3repE0EEENS1_30default_config_static_selectorELNS0_4arch9wavefront6targetE0EEEvSK_,"axG",@progbits,_ZN7rocprim17ROCPRIM_400000_NS6detail17trampoline_kernelINS0_14default_configENS1_36segmented_radix_sort_config_selectorIdlEEZNS1_25segmented_radix_sort_implIS3_Lb1EPKdPdPKlPlN2at6native12_GLOBAL__N_18offset_tEEE10hipError_tPvRmT1_PNSt15iterator_traitsISK_E10value_typeET2_T3_PNSL_ISQ_E10value_typeET4_jRbjT5_SW_jjP12ihipStream_tbEUlT_E2_NS1_11comp_targetILNS1_3genE10ELNS1_11target_archE1201ELNS1_3gpuE5ELNS1_3repE0EEENS1_30default_config_static_selectorELNS0_4arch9wavefront6targetE0EEEvSK_,comdat
	.globl	_ZN7rocprim17ROCPRIM_400000_NS6detail17trampoline_kernelINS0_14default_configENS1_36segmented_radix_sort_config_selectorIdlEEZNS1_25segmented_radix_sort_implIS3_Lb1EPKdPdPKlPlN2at6native12_GLOBAL__N_18offset_tEEE10hipError_tPvRmT1_PNSt15iterator_traitsISK_E10value_typeET2_T3_PNSL_ISQ_E10value_typeET4_jRbjT5_SW_jjP12ihipStream_tbEUlT_E2_NS1_11comp_targetILNS1_3genE10ELNS1_11target_archE1201ELNS1_3gpuE5ELNS1_3repE0EEENS1_30default_config_static_selectorELNS0_4arch9wavefront6targetE0EEEvSK_ ; -- Begin function _ZN7rocprim17ROCPRIM_400000_NS6detail17trampoline_kernelINS0_14default_configENS1_36segmented_radix_sort_config_selectorIdlEEZNS1_25segmented_radix_sort_implIS3_Lb1EPKdPdPKlPlN2at6native12_GLOBAL__N_18offset_tEEE10hipError_tPvRmT1_PNSt15iterator_traitsISK_E10value_typeET2_T3_PNSL_ISQ_E10value_typeET4_jRbjT5_SW_jjP12ihipStream_tbEUlT_E2_NS1_11comp_targetILNS1_3genE10ELNS1_11target_archE1201ELNS1_3gpuE5ELNS1_3repE0EEENS1_30default_config_static_selectorELNS0_4arch9wavefront6targetE0EEEvSK_
	.p2align	8
	.type	_ZN7rocprim17ROCPRIM_400000_NS6detail17trampoline_kernelINS0_14default_configENS1_36segmented_radix_sort_config_selectorIdlEEZNS1_25segmented_radix_sort_implIS3_Lb1EPKdPdPKlPlN2at6native12_GLOBAL__N_18offset_tEEE10hipError_tPvRmT1_PNSt15iterator_traitsISK_E10value_typeET2_T3_PNSL_ISQ_E10value_typeET4_jRbjT5_SW_jjP12ihipStream_tbEUlT_E2_NS1_11comp_targetILNS1_3genE10ELNS1_11target_archE1201ELNS1_3gpuE5ELNS1_3repE0EEENS1_30default_config_static_selectorELNS0_4arch9wavefront6targetE0EEEvSK_,@function
_ZN7rocprim17ROCPRIM_400000_NS6detail17trampoline_kernelINS0_14default_configENS1_36segmented_radix_sort_config_selectorIdlEEZNS1_25segmented_radix_sort_implIS3_Lb1EPKdPdPKlPlN2at6native12_GLOBAL__N_18offset_tEEE10hipError_tPvRmT1_PNSt15iterator_traitsISK_E10value_typeET2_T3_PNSL_ISQ_E10value_typeET4_jRbjT5_SW_jjP12ihipStream_tbEUlT_E2_NS1_11comp_targetILNS1_3genE10ELNS1_11target_archE1201ELNS1_3gpuE5ELNS1_3repE0EEENS1_30default_config_static_selectorELNS0_4arch9wavefront6targetE0EEEvSK_: ; @_ZN7rocprim17ROCPRIM_400000_NS6detail17trampoline_kernelINS0_14default_configENS1_36segmented_radix_sort_config_selectorIdlEEZNS1_25segmented_radix_sort_implIS3_Lb1EPKdPdPKlPlN2at6native12_GLOBAL__N_18offset_tEEE10hipError_tPvRmT1_PNSt15iterator_traitsISK_E10value_typeET2_T3_PNSL_ISQ_E10value_typeET4_jRbjT5_SW_jjP12ihipStream_tbEUlT_E2_NS1_11comp_targetILNS1_3genE10ELNS1_11target_archE1201ELNS1_3gpuE5ELNS1_3repE0EEENS1_30default_config_static_selectorELNS0_4arch9wavefront6targetE0EEEvSK_
; %bb.0:
	s_load_b128 s[4:7], s[0:1], 0x34
	s_mov_b32 s32, 0
	s_wait_kmcnt 0x0
	s_add_co_i32 s33, s5, ttmp9
	s_add_co_i32 s51, s7, ttmp9
	s_mul_i32 s33, s33, s4
	s_mul_i32 s51, s51, s6
	s_delay_alu instid0(SALU_CYCLE_1)
	s_cmp_le_u32 s51, s33
	s_cbranch_scc1 .LBB1153_1187
; %bb.1:
	s_clause 0x3
	s_load_b32 s2, s[0:1], 0x30
	s_load_b128 s[44:47], s[0:1], 0x20
	s_load_b96 s[48:50], s[0:1], 0x44
	s_load_b256 s[36:43], s[0:1], 0x0
	s_wait_kmcnt 0x0
	s_bitcmp1_b32 s2, 0
	s_mov_b32 s2, -1
	s_cselect_b32 s54, -1, 0
	s_sub_co_i32 s55, s51, s33
	s_delay_alu instid0(SALU_CYCLE_1)
	s_cmp_lt_u32 s55, 0x1001
	s_cbranch_scc0 .LBB1153_12
; %bb.2:
	s_cmp_lt_u32 s55, 33
	s_cbranch_scc0 .LBB1153_6
; %bb.3:
	s_load_b32 s2, s[0:1], 0x5c
	v_bfe_u32 v1, v0, 10, 10
	v_bfe_u32 v2, v0, 20, 10
	s_mov_b32 s18, exec_lo
	s_wait_kmcnt 0x0
	s_lshr_b32 s3, s2, 16
	s_and_b32 s2, s2, 0xffff
	v_mad_u32_u24 v2, v2, s3, v1
	v_and_b32_e32 v1, 0x3ff, v0
	s_delay_alu instid0(VALU_DEP_1) | instskip(NEXT) | instid1(VALU_DEP_1)
	v_mad_co_u64_u32 v[1:2], null, v2, s2, v[1:2]
	v_cmpx_gt_u32_e32 8, v1
	s_cbranch_execz .LBB1153_5
; %bb.4:
	s_bitcmp1_b32 s48, 0
	s_mov_b64 s[2:3], src_shared_base
	s_cselect_b32 s2, -1, 0
	v_dual_mov_b32 v31, v0 :: v_dual_mov_b32 v40, v0
	s_wait_alu 0xfffe
	s_xor_b32 s2, s54, s2
	v_dual_mov_b32 v0, s36 :: v_dual_mov_b32 v1, s37
	s_wait_alu 0xfffe
	s_xor_b32 s2, s2, -1
	v_dual_mov_b32 v2, s38 :: v_dual_mov_b32 v3, s39
	s_wait_alu 0xfffe
	v_cndmask_b32_e64 v12, 0, 1, s2
	v_dual_mov_b32 v4, s40 :: v_dual_mov_b32 v5, s41
	v_dual_mov_b32 v6, s42 :: v_dual_mov_b32 v7, s43
	;; [unrolled: 1-line block ×6, first 2 shown]
	s_add_nc_u64 s[8:9], s[0:1], 0x50
	s_getpc_b64 s[4:5]
	s_sext_i32_i16 s5, s5
	s_add_co_u32 s4, s4, _ZN7rocprim17ROCPRIM_400000_NS6detail26segmented_warp_sort_helperINS1_20WarpSortHelperConfigILj8ELj4ELj256EEEdlLi256ELb1EvE4sortIPKdPdPKlPlEEvT_S9_T0_T1_SC_T2_bjjjjRNS5_12storage_typeE@rel32@lo+8
	s_add_co_ci_u32 s5, s5, _ZN7rocprim17ROCPRIM_400000_NS6detail26segmented_warp_sort_helperINS1_20WarpSortHelperConfigILj8ELj4ELj256EEEdlLi256ELb1EvE4sortIPKdPdPKlPlEEvT_S9_T0_T1_SC_T2_bjjjjRNS5_12storage_typeE@rel32@hi+16
	s_mov_b64 s[16:17], s[0:1]
	s_swappc_b64 s[30:31], s[4:5]
	v_mov_b32_e32 v0, v40
	s_mov_b64 s[0:1], s[16:17]
.LBB1153_5:
	s_or_b32 exec_lo, exec_lo, s18
	s_mov_b32 s2, 0
.LBB1153_6:
	s_wait_alu 0xfffe
	s_and_not1_b32 vcc_lo, exec_lo, s2
	s_wait_alu 0xfffe
	s_cbranch_vccnz .LBB1153_11
; %bb.7:
	v_cndmask_b32_e64 v1, 0, 1, s54
	s_and_b32 s2, s48, 1
	s_wait_alu 0xfffe
	s_delay_alu instid0(VALU_DEP_1)
	v_cmp_ne_u32_e32 vcc_lo, s2, v1
	s_mov_b32 s2, -1
	s_cbranch_vccnz .LBB1153_9
; %bb.8:
	s_mov_b64 s[2:3], src_shared_base
	v_dual_mov_b32 v31, v0 :: v_dual_mov_b32 v40, v0
	v_dual_mov_b32 v0, s36 :: v_dual_mov_b32 v1, s37
	;; [unrolled: 1-line block ×7, first 2 shown]
	s_wait_alu 0xfffe
	v_dual_mov_b32 v12, 0 :: v_dual_mov_b32 v13, s3
	s_add_nc_u64 s[8:9], s[0:1], 0x50
	s_getpc_b64 s[4:5]
	s_wait_alu 0xfffe
	s_sext_i32_i16 s5, s5
	s_add_co_u32 s4, s4, _ZN7rocprim17ROCPRIM_400000_NS6detail40segmented_radix_sort_single_block_helperIdlLj256ELj16ELb1EE4sortIPKdPdPKlPlEEbT_T0_T1_T2_jjjjRNS3_12storage_typeE@rel32@lo+12
	s_wait_alu 0xfffe
	s_add_co_ci_u32 s5, s5, _ZN7rocprim17ROCPRIM_400000_NS6detail40segmented_radix_sort_single_block_helperIdlLj256ELj16ELb1EE4sortIPKdPdPKlPlEEbT_T0_T1_T2_jjjjRNS3_12storage_typeE@rel32@hi+24
	s_mov_b64 s[24:25], s[0:1]
	s_wait_alu 0xfffe
	s_swappc_b64 s[30:31], s[4:5]
	v_mov_b32_e32 v0, v40
	s_mov_b64 s[0:1], s[24:25]
	s_mov_b32 s2, 0
.LBB1153_9:
	s_wait_alu 0xfffe
	s_and_not1_b32 vcc_lo, exec_lo, s2
	s_wait_alu 0xfffe
	s_cbranch_vccnz .LBB1153_11
; %bb.10:
	s_mov_b64 s[2:3], src_shared_base
	v_dual_mov_b32 v31, v0 :: v_dual_mov_b32 v40, v0
	v_dual_mov_b32 v0, s36 :: v_dual_mov_b32 v1, s37
	;; [unrolled: 1-line block ×7, first 2 shown]
	s_wait_alu 0xfffe
	v_dual_mov_b32 v12, 0 :: v_dual_mov_b32 v13, s3
	s_add_nc_u64 s[8:9], s[0:1], 0x50
	s_getpc_b64 s[4:5]
	s_wait_alu 0xfffe
	s_sext_i32_i16 s5, s5
	s_add_co_u32 s4, s4, _ZN7rocprim17ROCPRIM_400000_NS6detail40segmented_radix_sort_single_block_helperIdlLj256ELj16ELb1EE4sortIPKdPdPKlPlEEbT_T0_T1_T2_jjjjRNS3_12storage_typeE@rel32@lo+12
	s_wait_alu 0xfffe
	s_add_co_ci_u32 s5, s5, _ZN7rocprim17ROCPRIM_400000_NS6detail40segmented_radix_sort_single_block_helperIdlLj256ELj16ELb1EE4sortIPKdPdPKlPlEEbT_T0_T1_T2_jjjjRNS3_12storage_typeE@rel32@hi+24
	s_mov_b64 s[24:25], s[0:1]
	s_wait_alu 0xfffe
	s_swappc_b64 s[30:31], s[4:5]
	v_mov_b32_e32 v0, v40
	s_mov_b64 s[0:1], s[24:25]
.LBB1153_11:
	s_mov_b32 s2, 0
.LBB1153_12:
	s_wait_alu 0xfffe
	s_and_not1_b32 vcc_lo, exec_lo, s2
	s_wait_alu 0xfffe
	s_cbranch_vccnz .LBB1153_1187
; %bb.13:
	s_cmp_ge_u32 s49, s50
	s_cbranch_scc1 .LBB1153_1187
; %bb.14:
	v_and_b32_e32 v1, 0x3ff, v0
	v_lshrrev_b32_e32 v5, 3, v0
	v_dual_mov_b32 v3, 0 :: v_dual_and_b32 v2, 3, v0
	v_bfe_u32 v102, v0, 20, 10
	s_delay_alu instid0(VALU_DEP_4) | instskip(NEXT) | instid1(VALU_DEP_4)
	v_dual_mov_b32 v121, 1 :: v_dual_lshlrev_b32 v76, 2, v1
	v_and_b32_e32 v95, 28, v5
	v_lshlrev_b32_e32 v5, 4, v1
	v_lshlrev_b32_e32 v4, 3, v1
	;; [unrolled: 1-line block ×3, first 2 shown]
	v_or_b32_e32 v2, 31, v1
	v_mad_u32_u24 v96, v1, 12, v76
	v_and_b32_e32 v100, 0xe00, v5
	v_add_co_u32 v80, s2, s40, v4
	s_delay_alu instid0(VALU_DEP_4) | instskip(NEXT) | instid1(VALU_DEP_4)
	v_cmp_eq_u32_e64 s3, v1, v2
	v_mad_u32_u24 v101, v1, 20, v96
	s_delay_alu instid0(VALU_DEP_4)
	v_lshlrev_b32_e32 v5, 3, v100
	v_lshlrev_b32_e32 v2, 5, v1
	v_or_b32_e32 v77, 0x100, v1
	v_or_b32_e32 v78, 0x200, v1
	;; [unrolled: 1-line block ×3, first 2 shown]
	v_add_co_u32 v104, s6, s46, v5
	s_wait_alu 0xf1ff
	v_add_co_ci_u32_e64 v105, null, s47, 0, s6
	v_add_co_u32 v106, s6, s40, v5
	s_wait_alu 0xf1ff
	v_add_co_ci_u32_e64 v107, null, s41, 0, s6
	;; [unrolled: 3-line block ×5, first 2 shown]
	v_add_co_u32 v115, s6, s36, v4
	v_sub_nc_u32_e32 v103, v101, v2
	s_wait_alu 0xf1ff
	v_add_co_ci_u32_e64 v116, null, s37, 0, s6
	v_add_co_u32 v117, s6, s42, v5
	s_wait_alu 0xf1ff
	v_add_co_ci_u32_e64 v118, null, s43, 0, s6
	v_add_co_u32 v119, s6, s36, v5
	v_add_co_ci_u32_e64 v81, null, s41, 0, s2
	v_or_b32_e32 v82, 0x400, v1
	v_or_b32_e32 v83, 0x500, v1
	;; [unrolled: 1-line block ×12, first 2 shown]
	v_cmp_gt_u32_e64 s2, 0x100, v1
	v_or_b32_e32 v97, 0x8400, v95
	v_cmp_gt_u32_e64 s4, 8, v1
	v_add_nc_u32_e32 v98, 0x8400, v76
	v_cmp_lt_u32_e64 s5, 31, v1
	v_add_nc_u32_e32 v99, 0x83fc, v95
	s_add_nc_u64 s[52:53], s[0:1], 0x50
	v_bfe_u32 v0, v0, 10, 10
	v_cmp_eq_u32_e64 s0, 0, v1
	v_cmp_ne_u32_e64 s1, 0xff, v1
	v_add_nc_u32_e32 v108, v103, v76
	v_add_co_ci_u32_e64 v120, null, s37, 0, s6
	v_lshlrev_b32_e32 v122, 3, v1
	v_mbcnt_lo_u32_b32 v123, -1, 0
	s_mov_b32 s34, 0
	s_brev_b32 s35, 1
	s_mov_b32 s31, s49
	s_mov_b32 s48, s49
	s_branch .LBB1153_17
.LBB1153_15:                            ;   in Loop: Header=BB1153_17 Depth=1
	s_wait_loadcnt_dscnt 0x0
	s_barrier_signal -1
	s_barrier_wait -1
.LBB1153_16:                            ;   in Loop: Header=BB1153_17 Depth=1
	s_add_co_i32 s48, s48, 8
	global_inv scope:SCOPE_SE
	s_wait_alu 0xfffe
	s_cmp_ge_u32 s48, s50
	s_cbranch_scc1 .LBB1153_1187
.LBB1153_17:                            ; =>This Loop Header: Depth=1
                                        ;     Child Loop BB1153_21 Depth 2
                                        ;     Child Loop BB1153_101 Depth 2
                                        ;     Child Loop BB1153_313 Depth 2
                                        ;     Child Loop BB1153_393 Depth 2
                                        ;     Child Loop BB1153_607 Depth 2
                                        ;     Child Loop BB1153_687 Depth 2
                                        ;     Child Loop BB1153_899 Depth 2
                                        ;     Child Loop BB1153_979 Depth 2
	s_wait_alu 0xfffe
	s_sub_co_i32 s6, s50, s48
	s_xor_b32 s54, s54, -1
	s_wait_alu 0xfffe
	s_min_u32 s56, s6, 8
	s_cmp_lg_u32 s48, s49
	s_mov_b32 s6, -1
	ds_store_2addr_stride64_b32 v76, v3, v3 offset1:4
	ds_store_2addr_stride64_b32 v76, v3, v3 offset0:8 offset1:12
	s_wait_storecnt_dscnt 0x0
	s_cbranch_scc0 .LBB1153_603
; %bb.18:                               ;   in Loop: Header=BB1153_17 Depth=1
	s_wait_alu 0xfffe
	s_lshl_b32 s6, -1, s56
	s_and_b32 vcc_lo, exec_lo, s54
	s_wait_alu 0xfffe
	s_not_b32 s57, s6
	s_mov_b32 s6, -1
	s_cbranch_vccz .LBB1153_310
; %bb.19:                               ;   in Loop: Header=BB1153_17 Depth=1
	s_mov_b32 s8, s55
	s_mov_b32 s6, s33
	s_barrier_signal -1
	s_barrier_wait -1
	global_inv scope:SCOPE_SE
                                        ; implicit-def: $vgpr4_vgpr5
                                        ; implicit-def: $vgpr6_vgpr7
                                        ; implicit-def: $vgpr8_vgpr9
                                        ; implicit-def: $vgpr10_vgpr11
                                        ; implicit-def: $vgpr12_vgpr13
                                        ; implicit-def: $vgpr14_vgpr15
                                        ; implicit-def: $vgpr16_vgpr17
                                        ; implicit-def: $vgpr18_vgpr19
                                        ; implicit-def: $vgpr20_vgpr21
                                        ; implicit-def: $vgpr22_vgpr23
                                        ; implicit-def: $vgpr24_vgpr25
                                        ; implicit-def: $vgpr26_vgpr27
                                        ; implicit-def: $vgpr28_vgpr29
                                        ; implicit-def: $vgpr30_vgpr31
                                        ; implicit-def: $vgpr32_vgpr33
                                        ; implicit-def: $vgpr34_vgpr35
	s_branch .LBB1153_21
.LBB1153_20:                            ;   in Loop: Header=BB1153_21 Depth=2
	s_wait_alu 0xfffe
	s_or_b32 exec_lo, exec_lo, s6
	s_addk_co_i32 s8, 0xf000
	s_cmp_ge_u32 s9, s51
	s_mov_b32 s6, s9
	s_cbranch_scc1 .LBB1153_89
.LBB1153_21:                            ;   Parent Loop BB1153_17 Depth=1
                                        ; =>  This Inner Loop Header: Depth=2
	s_wait_alu 0xfffe
	s_add_co_i32 s9, s6, 0x1000
	s_mov_b32 s7, -1
	s_wait_alu 0xfffe
	s_cmp_gt_u32 s9, s51
                                        ; implicit-def: $vgpr36_vgpr37
                                        ; implicit-def: $vgpr38_vgpr39
                                        ; implicit-def: $vgpr40_vgpr41
                                        ; implicit-def: $vgpr42_vgpr43
                                        ; implicit-def: $vgpr44_vgpr45
                                        ; implicit-def: $vgpr46_vgpr47
                                        ; implicit-def: $vgpr48_vgpr49
                                        ; implicit-def: $vgpr50_vgpr51
                                        ; implicit-def: $vgpr52_vgpr53
                                        ; implicit-def: $vgpr54_vgpr55
                                        ; implicit-def: $vgpr56_vgpr57
                                        ; implicit-def: $vgpr58_vgpr59
                                        ; implicit-def: $vgpr60_vgpr61
                                        ; implicit-def: $vgpr62_vgpr63
                                        ; implicit-def: $vgpr64_vgpr65
                                        ; implicit-def: $vgpr66_vgpr67
	s_cbranch_scc1 .LBB1153_23
; %bb.22:                               ;   in Loop: Header=BB1153_21 Depth=2
	s_mov_b32 s7, s34
	s_wait_alu 0xfffe
	s_lshl_b64 s[10:11], s[6:7], 3
	s_mov_b32 s7, 0
	s_wait_alu 0xfffe
	v_add_co_u32 v66, vcc_lo, v80, s10
	s_wait_alu 0xfffd
	v_add_co_ci_u32_e64 v67, null, s11, v81, vcc_lo
	s_clause 0xf
	global_load_b64 v[36:37], v[66:67], off
	global_load_b64 v[38:39], v[66:67], off offset:2048
	global_load_b64 v[40:41], v[66:67], off offset:4096
	;; [unrolled: 1-line block ×15, first 2 shown]
.LBB1153_23:                            ;   in Loop: Header=BB1153_21 Depth=2
	s_and_not1_b32 vcc_lo, exec_lo, s7
	s_movk_i32 s7, 0x1000
	s_wait_alu 0xfffe
	s_cbranch_vccnz .LBB1153_42
; %bb.24:                               ;   in Loop: Header=BB1153_21 Depth=2
	s_mov_b32 s7, s34
	s_mov_b32 s10, exec_lo
	s_wait_alu 0xfffe
	s_lshl_b64 s[6:7], s[6:7], 3
	s_wait_alu 0xfffe
	s_add_nc_u64 s[6:7], s[40:41], s[6:7]
	v_cmpx_gt_u32_e64 s8, v1
	s_cbranch_execnz .LBB1153_74
; %bb.25:                               ;   in Loop: Header=BB1153_21 Depth=2
	s_or_b32 exec_lo, exec_lo, s10
	s_delay_alu instid0(SALU_CYCLE_1)
	s_mov_b32 s10, exec_lo
	v_cmpx_gt_u32_e64 s8, v77
	s_cbranch_execnz .LBB1153_75
.LBB1153_26:                            ;   in Loop: Header=BB1153_21 Depth=2
	s_wait_alu 0xfffe
	s_or_b32 exec_lo, exec_lo, s10
	s_delay_alu instid0(SALU_CYCLE_1)
	s_mov_b32 s10, exec_lo
	v_cmpx_gt_u32_e64 s8, v78
	s_cbranch_execnz .LBB1153_76
.LBB1153_27:                            ;   in Loop: Header=BB1153_21 Depth=2
	s_wait_alu 0xfffe
	s_or_b32 exec_lo, exec_lo, s10
	s_delay_alu instid0(SALU_CYCLE_1)
	s_mov_b32 s10, exec_lo
	v_cmpx_gt_u32_e64 s8, v79
	s_cbranch_execnz .LBB1153_77
.LBB1153_28:                            ;   in Loop: Header=BB1153_21 Depth=2
	s_wait_alu 0xfffe
	s_or_b32 exec_lo, exec_lo, s10
	s_delay_alu instid0(SALU_CYCLE_1)
	s_mov_b32 s10, exec_lo
	v_cmpx_gt_u32_e64 s8, v82
	s_cbranch_execnz .LBB1153_78
.LBB1153_29:                            ;   in Loop: Header=BB1153_21 Depth=2
	s_wait_alu 0xfffe
	s_or_b32 exec_lo, exec_lo, s10
	s_delay_alu instid0(SALU_CYCLE_1)
	s_mov_b32 s10, exec_lo
	v_cmpx_gt_u32_e64 s8, v83
	s_cbranch_execnz .LBB1153_79
.LBB1153_30:                            ;   in Loop: Header=BB1153_21 Depth=2
	s_wait_alu 0xfffe
	s_or_b32 exec_lo, exec_lo, s10
	s_delay_alu instid0(SALU_CYCLE_1)
	s_mov_b32 s10, exec_lo
	v_cmpx_gt_u32_e64 s8, v84
	s_cbranch_execnz .LBB1153_80
.LBB1153_31:                            ;   in Loop: Header=BB1153_21 Depth=2
	s_wait_alu 0xfffe
	s_or_b32 exec_lo, exec_lo, s10
	s_delay_alu instid0(SALU_CYCLE_1)
	s_mov_b32 s10, exec_lo
	v_cmpx_gt_u32_e64 s8, v85
	s_cbranch_execnz .LBB1153_81
.LBB1153_32:                            ;   in Loop: Header=BB1153_21 Depth=2
	s_wait_alu 0xfffe
	s_or_b32 exec_lo, exec_lo, s10
	s_delay_alu instid0(SALU_CYCLE_1)
	s_mov_b32 s10, exec_lo
	v_cmpx_gt_u32_e64 s8, v86
	s_cbranch_execnz .LBB1153_82
.LBB1153_33:                            ;   in Loop: Header=BB1153_21 Depth=2
	s_wait_alu 0xfffe
	s_or_b32 exec_lo, exec_lo, s10
	s_delay_alu instid0(SALU_CYCLE_1)
	s_mov_b32 s10, exec_lo
	v_cmpx_gt_u32_e64 s8, v87
	s_cbranch_execnz .LBB1153_83
.LBB1153_34:                            ;   in Loop: Header=BB1153_21 Depth=2
	s_wait_alu 0xfffe
	s_or_b32 exec_lo, exec_lo, s10
	s_delay_alu instid0(SALU_CYCLE_1)
	s_mov_b32 s10, exec_lo
	v_cmpx_gt_u32_e64 s8, v88
	s_cbranch_execnz .LBB1153_84
.LBB1153_35:                            ;   in Loop: Header=BB1153_21 Depth=2
	s_wait_alu 0xfffe
	s_or_b32 exec_lo, exec_lo, s10
	s_delay_alu instid0(SALU_CYCLE_1)
	s_mov_b32 s10, exec_lo
	v_cmpx_gt_u32_e64 s8, v89
	s_cbranch_execnz .LBB1153_85
.LBB1153_36:                            ;   in Loop: Header=BB1153_21 Depth=2
	s_wait_alu 0xfffe
	s_or_b32 exec_lo, exec_lo, s10
	s_delay_alu instid0(SALU_CYCLE_1)
	s_mov_b32 s10, exec_lo
	v_cmpx_gt_u32_e64 s8, v90
	s_cbranch_execnz .LBB1153_86
.LBB1153_37:                            ;   in Loop: Header=BB1153_21 Depth=2
	s_wait_alu 0xfffe
	s_or_b32 exec_lo, exec_lo, s10
	s_delay_alu instid0(SALU_CYCLE_1)
	s_mov_b32 s10, exec_lo
	v_cmpx_gt_u32_e64 s8, v91
	s_cbranch_execnz .LBB1153_87
.LBB1153_38:                            ;   in Loop: Header=BB1153_21 Depth=2
	s_wait_alu 0xfffe
	s_or_b32 exec_lo, exec_lo, s10
	s_delay_alu instid0(SALU_CYCLE_1)
	s_mov_b32 s10, exec_lo
	v_cmpx_gt_u32_e64 s8, v92
	s_cbranch_execnz .LBB1153_88
.LBB1153_39:                            ;   in Loop: Header=BB1153_21 Depth=2
	s_wait_alu 0xfffe
	s_or_b32 exec_lo, exec_lo, s10
	s_delay_alu instid0(SALU_CYCLE_1)
	s_mov_b32 s10, exec_lo
	v_cmpx_gt_u32_e64 s8, v93
	s_cbranch_execz .LBB1153_41
.LBB1153_40:                            ;   in Loop: Header=BB1153_21 Depth=2
	global_load_b64 v[4:5], v122, s[6:7] offset:30720
.LBB1153_41:                            ;   in Loop: Header=BB1153_21 Depth=2
	s_wait_alu 0xfffe
	s_or_b32 exec_lo, exec_lo, s10
	s_wait_loadcnt 0x0
	v_dual_mov_b32 v37, v35 :: v_dual_mov_b32 v36, v34
	v_dual_mov_b32 v39, v33 :: v_dual_mov_b32 v38, v32
	;; [unrolled: 1-line block ×16, first 2 shown]
	s_mov_b32 s7, s8
.LBB1153_42:                            ;   in Loop: Header=BB1153_21 Depth=2
	s_wait_loadcnt 0x0
	s_delay_alu instid0(VALU_DEP_1)
	v_dual_mov_b32 v4, v66 :: v_dual_mov_b32 v5, v67
	v_dual_mov_b32 v6, v64 :: v_dual_mov_b32 v7, v65
	;; [unrolled: 1-line block ×16, first 2 shown]
	s_mov_b32 s6, exec_lo
	s_wait_alu 0xfffe
	v_cmpx_gt_u32_e64 s7, v1
	s_cbranch_execnz .LBB1153_58
; %bb.43:                               ;   in Loop: Header=BB1153_21 Depth=2
	s_or_b32 exec_lo, exec_lo, s6
	s_delay_alu instid0(SALU_CYCLE_1)
	s_mov_b32 s6, exec_lo
	v_cmpx_gt_u32_e64 s7, v77
	s_cbranch_execnz .LBB1153_59
.LBB1153_44:                            ;   in Loop: Header=BB1153_21 Depth=2
	s_wait_alu 0xfffe
	s_or_b32 exec_lo, exec_lo, s6
	s_delay_alu instid0(SALU_CYCLE_1)
	s_mov_b32 s6, exec_lo
	v_cmpx_gt_u32_e64 s7, v78
	s_cbranch_execnz .LBB1153_60
.LBB1153_45:                            ;   in Loop: Header=BB1153_21 Depth=2
	s_wait_alu 0xfffe
	s_or_b32 exec_lo, exec_lo, s6
	s_delay_alu instid0(SALU_CYCLE_1)
	s_mov_b32 s6, exec_lo
	v_cmpx_gt_u32_e64 s7, v79
	s_cbranch_execnz .LBB1153_61
.LBB1153_46:                            ;   in Loop: Header=BB1153_21 Depth=2
	s_wait_alu 0xfffe
	s_or_b32 exec_lo, exec_lo, s6
	s_delay_alu instid0(SALU_CYCLE_1)
	s_mov_b32 s6, exec_lo
	v_cmpx_gt_u32_e64 s7, v82
	s_cbranch_execnz .LBB1153_62
.LBB1153_47:                            ;   in Loop: Header=BB1153_21 Depth=2
	s_wait_alu 0xfffe
	s_or_b32 exec_lo, exec_lo, s6
	s_delay_alu instid0(SALU_CYCLE_1)
	s_mov_b32 s6, exec_lo
	v_cmpx_gt_u32_e64 s7, v83
	s_cbranch_execnz .LBB1153_63
.LBB1153_48:                            ;   in Loop: Header=BB1153_21 Depth=2
	s_wait_alu 0xfffe
	s_or_b32 exec_lo, exec_lo, s6
	s_delay_alu instid0(SALU_CYCLE_1)
	s_mov_b32 s6, exec_lo
	v_cmpx_gt_u32_e64 s7, v84
	s_cbranch_execnz .LBB1153_64
.LBB1153_49:                            ;   in Loop: Header=BB1153_21 Depth=2
	s_wait_alu 0xfffe
	s_or_b32 exec_lo, exec_lo, s6
	s_delay_alu instid0(SALU_CYCLE_1)
	s_mov_b32 s6, exec_lo
	v_cmpx_gt_u32_e64 s7, v85
	s_cbranch_execnz .LBB1153_65
.LBB1153_50:                            ;   in Loop: Header=BB1153_21 Depth=2
	s_wait_alu 0xfffe
	s_or_b32 exec_lo, exec_lo, s6
	s_delay_alu instid0(SALU_CYCLE_1)
	s_mov_b32 s6, exec_lo
	v_cmpx_gt_u32_e64 s7, v86
	s_cbranch_execnz .LBB1153_66
.LBB1153_51:                            ;   in Loop: Header=BB1153_21 Depth=2
	s_wait_alu 0xfffe
	s_or_b32 exec_lo, exec_lo, s6
	s_delay_alu instid0(SALU_CYCLE_1)
	s_mov_b32 s6, exec_lo
	v_cmpx_gt_u32_e64 s7, v87
	s_cbranch_execnz .LBB1153_67
.LBB1153_52:                            ;   in Loop: Header=BB1153_21 Depth=2
	s_wait_alu 0xfffe
	s_or_b32 exec_lo, exec_lo, s6
	s_delay_alu instid0(SALU_CYCLE_1)
	s_mov_b32 s6, exec_lo
	v_cmpx_gt_u32_e64 s7, v88
	s_cbranch_execnz .LBB1153_68
.LBB1153_53:                            ;   in Loop: Header=BB1153_21 Depth=2
	s_wait_alu 0xfffe
	s_or_b32 exec_lo, exec_lo, s6
	s_delay_alu instid0(SALU_CYCLE_1)
	s_mov_b32 s6, exec_lo
	v_cmpx_gt_u32_e64 s7, v89
	s_cbranch_execnz .LBB1153_69
.LBB1153_54:                            ;   in Loop: Header=BB1153_21 Depth=2
	s_wait_alu 0xfffe
	s_or_b32 exec_lo, exec_lo, s6
	s_delay_alu instid0(SALU_CYCLE_1)
	s_mov_b32 s6, exec_lo
	v_cmpx_gt_u32_e64 s7, v90
	s_cbranch_execnz .LBB1153_70
.LBB1153_55:                            ;   in Loop: Header=BB1153_21 Depth=2
	s_wait_alu 0xfffe
	s_or_b32 exec_lo, exec_lo, s6
	s_delay_alu instid0(SALU_CYCLE_1)
	s_mov_b32 s6, exec_lo
	v_cmpx_gt_u32_e64 s7, v91
	s_cbranch_execnz .LBB1153_71
.LBB1153_56:                            ;   in Loop: Header=BB1153_21 Depth=2
	s_wait_alu 0xfffe
	s_or_b32 exec_lo, exec_lo, s6
	s_delay_alu instid0(SALU_CYCLE_1)
	s_mov_b32 s6, exec_lo
	v_cmpx_gt_u32_e64 s7, v92
	s_cbranch_execnz .LBB1153_72
.LBB1153_57:                            ;   in Loop: Header=BB1153_21 Depth=2
	s_wait_alu 0xfffe
	s_or_b32 exec_lo, exec_lo, s6
	s_delay_alu instid0(SALU_CYCLE_1)
	s_mov_b32 s6, exec_lo
	v_cmpx_gt_u32_e64 s7, v93
	s_cbranch_execz .LBB1153_20
	s_branch .LBB1153_73
.LBB1153_58:                            ;   in Loop: Header=BB1153_21 Depth=2
	v_cmp_gt_i64_e32 vcc_lo, 0, v[34:35]
	v_ashrrev_i32_e32 v2, 31, v35
	s_delay_alu instid0(VALU_DEP_1) | instskip(SKIP_2) | instid1(VALU_DEP_1)
	v_not_b32_e32 v2, v2
	s_wait_alu 0xfffd
	v_cndmask_b32_e64 v36, 0x7fffffff, 0, vcc_lo
	v_xor_b32_e32 v37, v36, v35
	s_delay_alu instid0(VALU_DEP_3) | instskip(NEXT) | instid1(VALU_DEP_1)
	v_xor_b32_e32 v36, v2, v34
	v_cmp_ne_u64_e32 vcc_lo, s[34:35], v[36:37]
	s_wait_alu 0xfffd
	v_cndmask_b32_e32 v37, 0x7fffffff, v37, vcc_lo
	v_cndmask_b32_e32 v36, -1, v36, vcc_lo
	s_delay_alu instid0(VALU_DEP_1) | instskip(NEXT) | instid1(VALU_DEP_1)
	v_lshrrev_b64 v[36:37], s48, v[36:37]
	v_and_b32_e32 v2, s57, v36
	s_delay_alu instid0(VALU_DEP_1) | instskip(SKIP_2) | instid1(SALU_CYCLE_1)
	v_lshl_or_b32 v2, v2, 4, v94
	ds_add_u32 v2, v121
	s_or_b32 exec_lo, exec_lo, s6
	s_mov_b32 s6, exec_lo
	v_cmpx_gt_u32_e64 s7, v77
	s_cbranch_execz .LBB1153_44
.LBB1153_59:                            ;   in Loop: Header=BB1153_21 Depth=2
	v_cmp_gt_i64_e32 vcc_lo, 0, v[32:33]
	v_ashrrev_i32_e32 v2, 31, v33
	s_delay_alu instid0(VALU_DEP_1) | instskip(SKIP_2) | instid1(VALU_DEP_1)
	v_not_b32_e32 v2, v2
	s_wait_alu 0xfffd
	v_cndmask_b32_e64 v36, 0x7fffffff, 0, vcc_lo
	v_xor_b32_e32 v37, v36, v33
	s_delay_alu instid0(VALU_DEP_3) | instskip(NEXT) | instid1(VALU_DEP_1)
	v_xor_b32_e32 v36, v2, v32
	v_cmp_ne_u64_e32 vcc_lo, s[34:35], v[36:37]
	s_wait_alu 0xfffd
	v_cndmask_b32_e32 v37, 0x7fffffff, v37, vcc_lo
	v_cndmask_b32_e32 v36, -1, v36, vcc_lo
	s_delay_alu instid0(VALU_DEP_1) | instskip(NEXT) | instid1(VALU_DEP_1)
	v_lshrrev_b64 v[36:37], s48, v[36:37]
	v_and_b32_e32 v2, s57, v36
	s_delay_alu instid0(VALU_DEP_1) | instskip(SKIP_3) | instid1(SALU_CYCLE_1)
	v_lshl_or_b32 v2, v2, 4, v94
	ds_add_u32 v2, v121
	s_wait_alu 0xfffe
	s_or_b32 exec_lo, exec_lo, s6
	s_mov_b32 s6, exec_lo
	v_cmpx_gt_u32_e64 s7, v78
	s_cbranch_execz .LBB1153_45
.LBB1153_60:                            ;   in Loop: Header=BB1153_21 Depth=2
	v_cmp_gt_i64_e32 vcc_lo, 0, v[30:31]
	v_ashrrev_i32_e32 v2, 31, v31
	s_delay_alu instid0(VALU_DEP_1) | instskip(SKIP_2) | instid1(VALU_DEP_1)
	v_not_b32_e32 v2, v2
	s_wait_alu 0xfffd
	v_cndmask_b32_e64 v36, 0x7fffffff, 0, vcc_lo
	v_xor_b32_e32 v37, v36, v31
	s_delay_alu instid0(VALU_DEP_3) | instskip(NEXT) | instid1(VALU_DEP_1)
	v_xor_b32_e32 v36, v2, v30
	v_cmp_ne_u64_e32 vcc_lo, s[34:35], v[36:37]
	s_wait_alu 0xfffd
	v_cndmask_b32_e32 v37, 0x7fffffff, v37, vcc_lo
	v_cndmask_b32_e32 v36, -1, v36, vcc_lo
	s_delay_alu instid0(VALU_DEP_1) | instskip(NEXT) | instid1(VALU_DEP_1)
	v_lshrrev_b64 v[36:37], s48, v[36:37]
	v_and_b32_e32 v2, s57, v36
	s_delay_alu instid0(VALU_DEP_1) | instskip(SKIP_3) | instid1(SALU_CYCLE_1)
	v_lshl_or_b32 v2, v2, 4, v94
	ds_add_u32 v2, v121
	s_wait_alu 0xfffe
	s_or_b32 exec_lo, exec_lo, s6
	s_mov_b32 s6, exec_lo
	v_cmpx_gt_u32_e64 s7, v79
	s_cbranch_execz .LBB1153_46
.LBB1153_61:                            ;   in Loop: Header=BB1153_21 Depth=2
	v_cmp_gt_i64_e32 vcc_lo, 0, v[28:29]
	v_ashrrev_i32_e32 v2, 31, v29
	s_delay_alu instid0(VALU_DEP_1) | instskip(SKIP_2) | instid1(VALU_DEP_1)
	v_not_b32_e32 v2, v2
	s_wait_alu 0xfffd
	v_cndmask_b32_e64 v36, 0x7fffffff, 0, vcc_lo
	v_xor_b32_e32 v37, v36, v29
	s_delay_alu instid0(VALU_DEP_3) | instskip(NEXT) | instid1(VALU_DEP_1)
	v_xor_b32_e32 v36, v2, v28
	v_cmp_ne_u64_e32 vcc_lo, s[34:35], v[36:37]
	s_wait_alu 0xfffd
	v_cndmask_b32_e32 v37, 0x7fffffff, v37, vcc_lo
	v_cndmask_b32_e32 v36, -1, v36, vcc_lo
	s_delay_alu instid0(VALU_DEP_1) | instskip(NEXT) | instid1(VALU_DEP_1)
	v_lshrrev_b64 v[36:37], s48, v[36:37]
	v_and_b32_e32 v2, s57, v36
	s_delay_alu instid0(VALU_DEP_1) | instskip(SKIP_3) | instid1(SALU_CYCLE_1)
	v_lshl_or_b32 v2, v2, 4, v94
	ds_add_u32 v2, v121
	s_wait_alu 0xfffe
	s_or_b32 exec_lo, exec_lo, s6
	s_mov_b32 s6, exec_lo
	v_cmpx_gt_u32_e64 s7, v82
	s_cbranch_execz .LBB1153_47
.LBB1153_62:                            ;   in Loop: Header=BB1153_21 Depth=2
	v_cmp_gt_i64_e32 vcc_lo, 0, v[26:27]
	v_ashrrev_i32_e32 v2, 31, v27
	s_delay_alu instid0(VALU_DEP_1) | instskip(SKIP_2) | instid1(VALU_DEP_1)
	v_not_b32_e32 v2, v2
	s_wait_alu 0xfffd
	v_cndmask_b32_e64 v36, 0x7fffffff, 0, vcc_lo
	v_xor_b32_e32 v37, v36, v27
	s_delay_alu instid0(VALU_DEP_3) | instskip(NEXT) | instid1(VALU_DEP_1)
	v_xor_b32_e32 v36, v2, v26
	v_cmp_ne_u64_e32 vcc_lo, s[34:35], v[36:37]
	s_wait_alu 0xfffd
	v_cndmask_b32_e32 v37, 0x7fffffff, v37, vcc_lo
	v_cndmask_b32_e32 v36, -1, v36, vcc_lo
	s_delay_alu instid0(VALU_DEP_1) | instskip(NEXT) | instid1(VALU_DEP_1)
	v_lshrrev_b64 v[36:37], s48, v[36:37]
	v_and_b32_e32 v2, s57, v36
	s_delay_alu instid0(VALU_DEP_1) | instskip(SKIP_3) | instid1(SALU_CYCLE_1)
	v_lshl_or_b32 v2, v2, 4, v94
	ds_add_u32 v2, v121
	s_wait_alu 0xfffe
	s_or_b32 exec_lo, exec_lo, s6
	s_mov_b32 s6, exec_lo
	v_cmpx_gt_u32_e64 s7, v83
	s_cbranch_execz .LBB1153_48
.LBB1153_63:                            ;   in Loop: Header=BB1153_21 Depth=2
	v_cmp_gt_i64_e32 vcc_lo, 0, v[24:25]
	v_ashrrev_i32_e32 v2, 31, v25
	s_delay_alu instid0(VALU_DEP_1) | instskip(SKIP_2) | instid1(VALU_DEP_1)
	v_not_b32_e32 v2, v2
	s_wait_alu 0xfffd
	v_cndmask_b32_e64 v36, 0x7fffffff, 0, vcc_lo
	v_xor_b32_e32 v37, v36, v25
	s_delay_alu instid0(VALU_DEP_3) | instskip(NEXT) | instid1(VALU_DEP_1)
	v_xor_b32_e32 v36, v2, v24
	v_cmp_ne_u64_e32 vcc_lo, s[34:35], v[36:37]
	s_wait_alu 0xfffd
	v_cndmask_b32_e32 v37, 0x7fffffff, v37, vcc_lo
	v_cndmask_b32_e32 v36, -1, v36, vcc_lo
	s_delay_alu instid0(VALU_DEP_1) | instskip(NEXT) | instid1(VALU_DEP_1)
	v_lshrrev_b64 v[36:37], s48, v[36:37]
	v_and_b32_e32 v2, s57, v36
	s_delay_alu instid0(VALU_DEP_1) | instskip(SKIP_3) | instid1(SALU_CYCLE_1)
	v_lshl_or_b32 v2, v2, 4, v94
	ds_add_u32 v2, v121
	s_wait_alu 0xfffe
	s_or_b32 exec_lo, exec_lo, s6
	s_mov_b32 s6, exec_lo
	v_cmpx_gt_u32_e64 s7, v84
	s_cbranch_execz .LBB1153_49
.LBB1153_64:                            ;   in Loop: Header=BB1153_21 Depth=2
	v_cmp_gt_i64_e32 vcc_lo, 0, v[22:23]
	v_ashrrev_i32_e32 v2, 31, v23
	s_delay_alu instid0(VALU_DEP_1) | instskip(SKIP_2) | instid1(VALU_DEP_1)
	v_not_b32_e32 v2, v2
	s_wait_alu 0xfffd
	v_cndmask_b32_e64 v36, 0x7fffffff, 0, vcc_lo
	v_xor_b32_e32 v37, v36, v23
	s_delay_alu instid0(VALU_DEP_3) | instskip(NEXT) | instid1(VALU_DEP_1)
	v_xor_b32_e32 v36, v2, v22
	v_cmp_ne_u64_e32 vcc_lo, s[34:35], v[36:37]
	s_wait_alu 0xfffd
	v_cndmask_b32_e32 v37, 0x7fffffff, v37, vcc_lo
	v_cndmask_b32_e32 v36, -1, v36, vcc_lo
	s_delay_alu instid0(VALU_DEP_1) | instskip(NEXT) | instid1(VALU_DEP_1)
	v_lshrrev_b64 v[36:37], s48, v[36:37]
	v_and_b32_e32 v2, s57, v36
	s_delay_alu instid0(VALU_DEP_1) | instskip(SKIP_3) | instid1(SALU_CYCLE_1)
	v_lshl_or_b32 v2, v2, 4, v94
	ds_add_u32 v2, v121
	s_wait_alu 0xfffe
	s_or_b32 exec_lo, exec_lo, s6
	s_mov_b32 s6, exec_lo
	v_cmpx_gt_u32_e64 s7, v85
	s_cbranch_execz .LBB1153_50
.LBB1153_65:                            ;   in Loop: Header=BB1153_21 Depth=2
	v_cmp_gt_i64_e32 vcc_lo, 0, v[20:21]
	v_ashrrev_i32_e32 v2, 31, v21
	s_delay_alu instid0(VALU_DEP_1) | instskip(SKIP_2) | instid1(VALU_DEP_1)
	v_not_b32_e32 v2, v2
	s_wait_alu 0xfffd
	v_cndmask_b32_e64 v36, 0x7fffffff, 0, vcc_lo
	v_xor_b32_e32 v37, v36, v21
	s_delay_alu instid0(VALU_DEP_3) | instskip(NEXT) | instid1(VALU_DEP_1)
	v_xor_b32_e32 v36, v2, v20
	v_cmp_ne_u64_e32 vcc_lo, s[34:35], v[36:37]
	s_wait_alu 0xfffd
	v_cndmask_b32_e32 v37, 0x7fffffff, v37, vcc_lo
	v_cndmask_b32_e32 v36, -1, v36, vcc_lo
	s_delay_alu instid0(VALU_DEP_1) | instskip(NEXT) | instid1(VALU_DEP_1)
	v_lshrrev_b64 v[36:37], s48, v[36:37]
	v_and_b32_e32 v2, s57, v36
	s_delay_alu instid0(VALU_DEP_1) | instskip(SKIP_3) | instid1(SALU_CYCLE_1)
	v_lshl_or_b32 v2, v2, 4, v94
	ds_add_u32 v2, v121
	s_wait_alu 0xfffe
	s_or_b32 exec_lo, exec_lo, s6
	s_mov_b32 s6, exec_lo
	v_cmpx_gt_u32_e64 s7, v86
	s_cbranch_execz .LBB1153_51
.LBB1153_66:                            ;   in Loop: Header=BB1153_21 Depth=2
	v_cmp_gt_i64_e32 vcc_lo, 0, v[18:19]
	v_ashrrev_i32_e32 v2, 31, v19
	s_delay_alu instid0(VALU_DEP_1) | instskip(SKIP_2) | instid1(VALU_DEP_1)
	v_not_b32_e32 v2, v2
	s_wait_alu 0xfffd
	v_cndmask_b32_e64 v36, 0x7fffffff, 0, vcc_lo
	v_xor_b32_e32 v37, v36, v19
	s_delay_alu instid0(VALU_DEP_3) | instskip(NEXT) | instid1(VALU_DEP_1)
	v_xor_b32_e32 v36, v2, v18
	v_cmp_ne_u64_e32 vcc_lo, s[34:35], v[36:37]
	s_wait_alu 0xfffd
	v_cndmask_b32_e32 v37, 0x7fffffff, v37, vcc_lo
	v_cndmask_b32_e32 v36, -1, v36, vcc_lo
	s_delay_alu instid0(VALU_DEP_1) | instskip(NEXT) | instid1(VALU_DEP_1)
	v_lshrrev_b64 v[36:37], s48, v[36:37]
	v_and_b32_e32 v2, s57, v36
	s_delay_alu instid0(VALU_DEP_1) | instskip(SKIP_3) | instid1(SALU_CYCLE_1)
	v_lshl_or_b32 v2, v2, 4, v94
	ds_add_u32 v2, v121
	s_wait_alu 0xfffe
	s_or_b32 exec_lo, exec_lo, s6
	s_mov_b32 s6, exec_lo
	v_cmpx_gt_u32_e64 s7, v87
	s_cbranch_execz .LBB1153_52
.LBB1153_67:                            ;   in Loop: Header=BB1153_21 Depth=2
	v_cmp_gt_i64_e32 vcc_lo, 0, v[16:17]
	v_ashrrev_i32_e32 v2, 31, v17
	s_delay_alu instid0(VALU_DEP_1) | instskip(SKIP_2) | instid1(VALU_DEP_1)
	v_not_b32_e32 v2, v2
	s_wait_alu 0xfffd
	v_cndmask_b32_e64 v36, 0x7fffffff, 0, vcc_lo
	v_xor_b32_e32 v37, v36, v17
	s_delay_alu instid0(VALU_DEP_3) | instskip(NEXT) | instid1(VALU_DEP_1)
	v_xor_b32_e32 v36, v2, v16
	v_cmp_ne_u64_e32 vcc_lo, s[34:35], v[36:37]
	s_wait_alu 0xfffd
	v_cndmask_b32_e32 v37, 0x7fffffff, v37, vcc_lo
	v_cndmask_b32_e32 v36, -1, v36, vcc_lo
	s_delay_alu instid0(VALU_DEP_1) | instskip(NEXT) | instid1(VALU_DEP_1)
	v_lshrrev_b64 v[36:37], s48, v[36:37]
	v_and_b32_e32 v2, s57, v36
	s_delay_alu instid0(VALU_DEP_1) | instskip(SKIP_3) | instid1(SALU_CYCLE_1)
	v_lshl_or_b32 v2, v2, 4, v94
	ds_add_u32 v2, v121
	s_wait_alu 0xfffe
	s_or_b32 exec_lo, exec_lo, s6
	s_mov_b32 s6, exec_lo
	v_cmpx_gt_u32_e64 s7, v88
	s_cbranch_execz .LBB1153_53
.LBB1153_68:                            ;   in Loop: Header=BB1153_21 Depth=2
	v_cmp_gt_i64_e32 vcc_lo, 0, v[14:15]
	v_ashrrev_i32_e32 v2, 31, v15
	s_delay_alu instid0(VALU_DEP_1) | instskip(SKIP_2) | instid1(VALU_DEP_1)
	v_not_b32_e32 v2, v2
	s_wait_alu 0xfffd
	v_cndmask_b32_e64 v36, 0x7fffffff, 0, vcc_lo
	v_xor_b32_e32 v37, v36, v15
	s_delay_alu instid0(VALU_DEP_3) | instskip(NEXT) | instid1(VALU_DEP_1)
	v_xor_b32_e32 v36, v2, v14
	v_cmp_ne_u64_e32 vcc_lo, s[34:35], v[36:37]
	s_wait_alu 0xfffd
	v_cndmask_b32_e32 v37, 0x7fffffff, v37, vcc_lo
	v_cndmask_b32_e32 v36, -1, v36, vcc_lo
	s_delay_alu instid0(VALU_DEP_1) | instskip(NEXT) | instid1(VALU_DEP_1)
	v_lshrrev_b64 v[36:37], s48, v[36:37]
	v_and_b32_e32 v2, s57, v36
	s_delay_alu instid0(VALU_DEP_1) | instskip(SKIP_3) | instid1(SALU_CYCLE_1)
	v_lshl_or_b32 v2, v2, 4, v94
	ds_add_u32 v2, v121
	s_wait_alu 0xfffe
	s_or_b32 exec_lo, exec_lo, s6
	s_mov_b32 s6, exec_lo
	v_cmpx_gt_u32_e64 s7, v89
	s_cbranch_execz .LBB1153_54
.LBB1153_69:                            ;   in Loop: Header=BB1153_21 Depth=2
	v_cmp_gt_i64_e32 vcc_lo, 0, v[12:13]
	v_ashrrev_i32_e32 v2, 31, v13
	s_delay_alu instid0(VALU_DEP_1) | instskip(SKIP_2) | instid1(VALU_DEP_1)
	v_not_b32_e32 v2, v2
	s_wait_alu 0xfffd
	v_cndmask_b32_e64 v36, 0x7fffffff, 0, vcc_lo
	v_xor_b32_e32 v37, v36, v13
	s_delay_alu instid0(VALU_DEP_3) | instskip(NEXT) | instid1(VALU_DEP_1)
	v_xor_b32_e32 v36, v2, v12
	v_cmp_ne_u64_e32 vcc_lo, s[34:35], v[36:37]
	s_wait_alu 0xfffd
	v_cndmask_b32_e32 v37, 0x7fffffff, v37, vcc_lo
	v_cndmask_b32_e32 v36, -1, v36, vcc_lo
	s_delay_alu instid0(VALU_DEP_1) | instskip(NEXT) | instid1(VALU_DEP_1)
	v_lshrrev_b64 v[36:37], s48, v[36:37]
	v_and_b32_e32 v2, s57, v36
	s_delay_alu instid0(VALU_DEP_1) | instskip(SKIP_3) | instid1(SALU_CYCLE_1)
	v_lshl_or_b32 v2, v2, 4, v94
	ds_add_u32 v2, v121
	s_wait_alu 0xfffe
	s_or_b32 exec_lo, exec_lo, s6
	s_mov_b32 s6, exec_lo
	v_cmpx_gt_u32_e64 s7, v90
	s_cbranch_execz .LBB1153_55
.LBB1153_70:                            ;   in Loop: Header=BB1153_21 Depth=2
	v_cmp_gt_i64_e32 vcc_lo, 0, v[10:11]
	v_ashrrev_i32_e32 v2, 31, v11
	s_delay_alu instid0(VALU_DEP_1) | instskip(SKIP_2) | instid1(VALU_DEP_1)
	v_not_b32_e32 v2, v2
	s_wait_alu 0xfffd
	v_cndmask_b32_e64 v36, 0x7fffffff, 0, vcc_lo
	v_xor_b32_e32 v37, v36, v11
	s_delay_alu instid0(VALU_DEP_3) | instskip(NEXT) | instid1(VALU_DEP_1)
	v_xor_b32_e32 v36, v2, v10
	v_cmp_ne_u64_e32 vcc_lo, s[34:35], v[36:37]
	s_wait_alu 0xfffd
	v_cndmask_b32_e32 v37, 0x7fffffff, v37, vcc_lo
	v_cndmask_b32_e32 v36, -1, v36, vcc_lo
	s_delay_alu instid0(VALU_DEP_1) | instskip(NEXT) | instid1(VALU_DEP_1)
	v_lshrrev_b64 v[36:37], s48, v[36:37]
	v_and_b32_e32 v2, s57, v36
	s_delay_alu instid0(VALU_DEP_1) | instskip(SKIP_3) | instid1(SALU_CYCLE_1)
	v_lshl_or_b32 v2, v2, 4, v94
	ds_add_u32 v2, v121
	s_wait_alu 0xfffe
	s_or_b32 exec_lo, exec_lo, s6
	s_mov_b32 s6, exec_lo
	v_cmpx_gt_u32_e64 s7, v91
	s_cbranch_execz .LBB1153_56
.LBB1153_71:                            ;   in Loop: Header=BB1153_21 Depth=2
	v_cmp_gt_i64_e32 vcc_lo, 0, v[8:9]
	v_ashrrev_i32_e32 v2, 31, v9
	s_delay_alu instid0(VALU_DEP_1) | instskip(SKIP_2) | instid1(VALU_DEP_1)
	v_not_b32_e32 v2, v2
	s_wait_alu 0xfffd
	v_cndmask_b32_e64 v36, 0x7fffffff, 0, vcc_lo
	v_xor_b32_e32 v37, v36, v9
	s_delay_alu instid0(VALU_DEP_3) | instskip(NEXT) | instid1(VALU_DEP_1)
	v_xor_b32_e32 v36, v2, v8
	v_cmp_ne_u64_e32 vcc_lo, s[34:35], v[36:37]
	s_wait_alu 0xfffd
	v_cndmask_b32_e32 v37, 0x7fffffff, v37, vcc_lo
	v_cndmask_b32_e32 v36, -1, v36, vcc_lo
	s_delay_alu instid0(VALU_DEP_1) | instskip(NEXT) | instid1(VALU_DEP_1)
	v_lshrrev_b64 v[36:37], s48, v[36:37]
	v_and_b32_e32 v2, s57, v36
	s_delay_alu instid0(VALU_DEP_1) | instskip(SKIP_3) | instid1(SALU_CYCLE_1)
	v_lshl_or_b32 v2, v2, 4, v94
	ds_add_u32 v2, v121
	s_wait_alu 0xfffe
	s_or_b32 exec_lo, exec_lo, s6
	s_mov_b32 s6, exec_lo
	v_cmpx_gt_u32_e64 s7, v92
	s_cbranch_execz .LBB1153_57
.LBB1153_72:                            ;   in Loop: Header=BB1153_21 Depth=2
	v_cmp_gt_i64_e32 vcc_lo, 0, v[6:7]
	v_ashrrev_i32_e32 v2, 31, v7
	s_delay_alu instid0(VALU_DEP_1) | instskip(SKIP_2) | instid1(VALU_DEP_1)
	v_not_b32_e32 v2, v2
	s_wait_alu 0xfffd
	v_cndmask_b32_e64 v36, 0x7fffffff, 0, vcc_lo
	v_xor_b32_e32 v37, v36, v7
	s_delay_alu instid0(VALU_DEP_3) | instskip(NEXT) | instid1(VALU_DEP_1)
	v_xor_b32_e32 v36, v2, v6
	v_cmp_ne_u64_e32 vcc_lo, s[34:35], v[36:37]
	s_wait_alu 0xfffd
	v_cndmask_b32_e32 v37, 0x7fffffff, v37, vcc_lo
	v_cndmask_b32_e32 v36, -1, v36, vcc_lo
	s_delay_alu instid0(VALU_DEP_1) | instskip(NEXT) | instid1(VALU_DEP_1)
	v_lshrrev_b64 v[36:37], s48, v[36:37]
	v_and_b32_e32 v2, s57, v36
	s_delay_alu instid0(VALU_DEP_1) | instskip(SKIP_3) | instid1(SALU_CYCLE_1)
	v_lshl_or_b32 v2, v2, 4, v94
	ds_add_u32 v2, v121
	s_wait_alu 0xfffe
	s_or_b32 exec_lo, exec_lo, s6
	s_mov_b32 s6, exec_lo
	v_cmpx_gt_u32_e64 s7, v93
	s_cbranch_execz .LBB1153_20
.LBB1153_73:                            ;   in Loop: Header=BB1153_21 Depth=2
	v_cmp_gt_i64_e32 vcc_lo, 0, v[4:5]
	v_ashrrev_i32_e32 v2, 31, v5
	s_delay_alu instid0(VALU_DEP_1) | instskip(SKIP_2) | instid1(VALU_DEP_1)
	v_not_b32_e32 v2, v2
	s_wait_alu 0xfffd
	v_cndmask_b32_e64 v36, 0x7fffffff, 0, vcc_lo
	v_xor_b32_e32 v37, v36, v5
	s_delay_alu instid0(VALU_DEP_3) | instskip(NEXT) | instid1(VALU_DEP_1)
	v_xor_b32_e32 v36, v2, v4
	v_cmp_ne_u64_e32 vcc_lo, s[34:35], v[36:37]
	s_wait_alu 0xfffd
	v_cndmask_b32_e32 v37, 0x7fffffff, v37, vcc_lo
	v_cndmask_b32_e32 v36, -1, v36, vcc_lo
	s_delay_alu instid0(VALU_DEP_1) | instskip(NEXT) | instid1(VALU_DEP_1)
	v_lshrrev_b64 v[36:37], s48, v[36:37]
	v_and_b32_e32 v2, s57, v36
	s_delay_alu instid0(VALU_DEP_1)
	v_lshl_or_b32 v2, v2, 4, v94
	ds_add_u32 v2, v121
	s_branch .LBB1153_20
.LBB1153_74:                            ;   in Loop: Header=BB1153_21 Depth=2
	global_load_b64 v[34:35], v122, s[6:7]
	s_or_b32 exec_lo, exec_lo, s10
	s_delay_alu instid0(SALU_CYCLE_1)
	s_mov_b32 s10, exec_lo
	v_cmpx_gt_u32_e64 s8, v77
	s_cbranch_execz .LBB1153_26
.LBB1153_75:                            ;   in Loop: Header=BB1153_21 Depth=2
	global_load_b64 v[32:33], v122, s[6:7] offset:2048
	s_wait_alu 0xfffe
	s_or_b32 exec_lo, exec_lo, s10
	s_delay_alu instid0(SALU_CYCLE_1)
	s_mov_b32 s10, exec_lo
	v_cmpx_gt_u32_e64 s8, v78
	s_cbranch_execz .LBB1153_27
.LBB1153_76:                            ;   in Loop: Header=BB1153_21 Depth=2
	global_load_b64 v[30:31], v122, s[6:7] offset:4096
	s_wait_alu 0xfffe
	s_or_b32 exec_lo, exec_lo, s10
	s_delay_alu instid0(SALU_CYCLE_1)
	s_mov_b32 s10, exec_lo
	v_cmpx_gt_u32_e64 s8, v79
	s_cbranch_execz .LBB1153_28
.LBB1153_77:                            ;   in Loop: Header=BB1153_21 Depth=2
	global_load_b64 v[28:29], v122, s[6:7] offset:6144
	s_wait_alu 0xfffe
	s_or_b32 exec_lo, exec_lo, s10
	s_delay_alu instid0(SALU_CYCLE_1)
	s_mov_b32 s10, exec_lo
	v_cmpx_gt_u32_e64 s8, v82
	s_cbranch_execz .LBB1153_29
.LBB1153_78:                            ;   in Loop: Header=BB1153_21 Depth=2
	global_load_b64 v[26:27], v122, s[6:7] offset:8192
	s_wait_alu 0xfffe
	s_or_b32 exec_lo, exec_lo, s10
	s_delay_alu instid0(SALU_CYCLE_1)
	s_mov_b32 s10, exec_lo
	v_cmpx_gt_u32_e64 s8, v83
	s_cbranch_execz .LBB1153_30
.LBB1153_79:                            ;   in Loop: Header=BB1153_21 Depth=2
	global_load_b64 v[24:25], v122, s[6:7] offset:10240
	s_wait_alu 0xfffe
	s_or_b32 exec_lo, exec_lo, s10
	s_delay_alu instid0(SALU_CYCLE_1)
	s_mov_b32 s10, exec_lo
	v_cmpx_gt_u32_e64 s8, v84
	s_cbranch_execz .LBB1153_31
.LBB1153_80:                            ;   in Loop: Header=BB1153_21 Depth=2
	global_load_b64 v[22:23], v122, s[6:7] offset:12288
	s_wait_alu 0xfffe
	s_or_b32 exec_lo, exec_lo, s10
	s_delay_alu instid0(SALU_CYCLE_1)
	s_mov_b32 s10, exec_lo
	v_cmpx_gt_u32_e64 s8, v85
	s_cbranch_execz .LBB1153_32
.LBB1153_81:                            ;   in Loop: Header=BB1153_21 Depth=2
	global_load_b64 v[20:21], v122, s[6:7] offset:14336
	s_wait_alu 0xfffe
	s_or_b32 exec_lo, exec_lo, s10
	s_delay_alu instid0(SALU_CYCLE_1)
	s_mov_b32 s10, exec_lo
	v_cmpx_gt_u32_e64 s8, v86
	s_cbranch_execz .LBB1153_33
.LBB1153_82:                            ;   in Loop: Header=BB1153_21 Depth=2
	global_load_b64 v[18:19], v122, s[6:7] offset:16384
	s_wait_alu 0xfffe
	s_or_b32 exec_lo, exec_lo, s10
	s_delay_alu instid0(SALU_CYCLE_1)
	s_mov_b32 s10, exec_lo
	v_cmpx_gt_u32_e64 s8, v87
	s_cbranch_execz .LBB1153_34
.LBB1153_83:                            ;   in Loop: Header=BB1153_21 Depth=2
	global_load_b64 v[16:17], v122, s[6:7] offset:18432
	s_wait_alu 0xfffe
	s_or_b32 exec_lo, exec_lo, s10
	s_delay_alu instid0(SALU_CYCLE_1)
	s_mov_b32 s10, exec_lo
	v_cmpx_gt_u32_e64 s8, v88
	s_cbranch_execz .LBB1153_35
.LBB1153_84:                            ;   in Loop: Header=BB1153_21 Depth=2
	global_load_b64 v[14:15], v122, s[6:7] offset:20480
	s_wait_alu 0xfffe
	s_or_b32 exec_lo, exec_lo, s10
	s_delay_alu instid0(SALU_CYCLE_1)
	s_mov_b32 s10, exec_lo
	v_cmpx_gt_u32_e64 s8, v89
	s_cbranch_execz .LBB1153_36
.LBB1153_85:                            ;   in Loop: Header=BB1153_21 Depth=2
	global_load_b64 v[12:13], v122, s[6:7] offset:22528
	s_wait_alu 0xfffe
	s_or_b32 exec_lo, exec_lo, s10
	s_delay_alu instid0(SALU_CYCLE_1)
	s_mov_b32 s10, exec_lo
	v_cmpx_gt_u32_e64 s8, v90
	s_cbranch_execz .LBB1153_37
.LBB1153_86:                            ;   in Loop: Header=BB1153_21 Depth=2
	global_load_b64 v[10:11], v122, s[6:7] offset:24576
	s_wait_alu 0xfffe
	s_or_b32 exec_lo, exec_lo, s10
	s_delay_alu instid0(SALU_CYCLE_1)
	s_mov_b32 s10, exec_lo
	v_cmpx_gt_u32_e64 s8, v91
	s_cbranch_execz .LBB1153_38
.LBB1153_87:                            ;   in Loop: Header=BB1153_21 Depth=2
	global_load_b64 v[8:9], v122, s[6:7] offset:26624
	s_wait_alu 0xfffe
	s_or_b32 exec_lo, exec_lo, s10
	s_delay_alu instid0(SALU_CYCLE_1)
	s_mov_b32 s10, exec_lo
	v_cmpx_gt_u32_e64 s8, v92
	s_cbranch_execz .LBB1153_39
.LBB1153_88:                            ;   in Loop: Header=BB1153_21 Depth=2
	global_load_b64 v[6:7], v122, s[6:7] offset:28672
	s_wait_alu 0xfffe
	s_or_b32 exec_lo, exec_lo, s10
	s_delay_alu instid0(SALU_CYCLE_1)
	s_mov_b32 s10, exec_lo
	v_cmpx_gt_u32_e64 s8, v93
	s_cbranch_execnz .LBB1153_40
	s_branch .LBB1153_41
.LBB1153_89:                            ;   in Loop: Header=BB1153_17 Depth=1
	v_mov_b32_e32 v2, 0
	s_wait_dscnt 0x0
	s_barrier_signal -1
	s_barrier_wait -1
	global_inv scope:SCOPE_SE
	s_and_saveexec_b32 s6, s2
	s_cbranch_execz .LBB1153_91
; %bb.90:                               ;   in Loop: Header=BB1153_17 Depth=1
	ds_load_2addr_b64 v[4:7], v96 offset1:1
	s_wait_dscnt 0x0
	v_add_nc_u32_e32 v2, v5, v4
	s_delay_alu instid0(VALU_DEP_1)
	v_add3_u32 v2, v2, v6, v7
.LBB1153_91:                            ;   in Loop: Header=BB1153_17 Depth=1
	s_wait_alu 0xfffe
	s_or_b32 exec_lo, exec_lo, s6
	v_and_b32_e32 v4, 15, v123
	s_delay_alu instid0(VALU_DEP_2) | instskip(SKIP_1) | instid1(VALU_DEP_3)
	v_mov_b32_dpp v5, v2 row_shr:1 row_mask:0xf bank_mask:0xf
	v_and_b32_e32 v6, 16, v123
	v_cmp_eq_u32_e64 s6, 0, v4
	v_cmp_lt_u32_e64 s7, 1, v4
	v_cmp_lt_u32_e64 s8, 3, v4
	;; [unrolled: 1-line block ×3, first 2 shown]
	v_cmp_eq_u32_e64 s10, 0, v6
	s_wait_alu 0xf1ff
	v_cndmask_b32_e64 v5, v5, 0, s6
	s_delay_alu instid0(VALU_DEP_1) | instskip(NEXT) | instid1(VALU_DEP_1)
	v_add_nc_u32_e32 v2, v5, v2
	v_mov_b32_dpp v5, v2 row_shr:2 row_mask:0xf bank_mask:0xf
	s_delay_alu instid0(VALU_DEP_1) | instskip(NEXT) | instid1(VALU_DEP_1)
	v_cndmask_b32_e64 v5, 0, v5, s7
	v_add_nc_u32_e32 v2, v2, v5
	s_delay_alu instid0(VALU_DEP_1) | instskip(NEXT) | instid1(VALU_DEP_1)
	v_mov_b32_dpp v5, v2 row_shr:4 row_mask:0xf bank_mask:0xf
	v_cndmask_b32_e64 v5, 0, v5, s8
	s_delay_alu instid0(VALU_DEP_1) | instskip(NEXT) | instid1(VALU_DEP_1)
	v_add_nc_u32_e32 v2, v2, v5
	v_mov_b32_dpp v5, v2 row_shr:8 row_mask:0xf bank_mask:0xf
	s_delay_alu instid0(VALU_DEP_1) | instskip(SKIP_1) | instid1(VALU_DEP_2)
	v_cndmask_b32_e64 v4, 0, v5, s9
	v_bfe_i32 v5, v123, 4, 1
	v_add_nc_u32_e32 v2, v2, v4
	ds_swizzle_b32 v4, v2 offset:swizzle(BROADCAST,32,15)
	s_wait_dscnt 0x0
	v_and_b32_e32 v4, v5, v4
	s_delay_alu instid0(VALU_DEP_1)
	v_add_nc_u32_e32 v4, v2, v4
	s_and_saveexec_b32 s11, s3
; %bb.92:                               ;   in Loop: Header=BB1153_17 Depth=1
	ds_store_b32 v97, v4
; %bb.93:                               ;   in Loop: Header=BB1153_17 Depth=1
	s_wait_alu 0xfffe
	s_or_b32 exec_lo, exec_lo, s11
	v_and_b32_e32 v2, 7, v123
	s_wait_loadcnt_dscnt 0x0
	s_barrier_signal -1
	s_barrier_wait -1
	global_inv scope:SCOPE_SE
	s_and_saveexec_b32 s11, s4
	s_cbranch_execz .LBB1153_95
; %bb.94:                               ;   in Loop: Header=BB1153_17 Depth=1
	ds_load_b32 v5, v98
	v_cmp_ne_u32_e32 vcc_lo, 0, v2
	s_wait_dscnt 0x0
	v_mov_b32_dpp v6, v5 row_shr:1 row_mask:0xf bank_mask:0xf
	s_wait_alu 0xfffd
	s_delay_alu instid0(VALU_DEP_1) | instskip(SKIP_1) | instid1(VALU_DEP_2)
	v_cndmask_b32_e32 v6, 0, v6, vcc_lo
	v_cmp_lt_u32_e32 vcc_lo, 1, v2
	v_add_nc_u32_e32 v5, v6, v5
	s_delay_alu instid0(VALU_DEP_1) | instskip(SKIP_1) | instid1(VALU_DEP_1)
	v_mov_b32_dpp v6, v5 row_shr:2 row_mask:0xf bank_mask:0xf
	s_wait_alu 0xfffd
	v_cndmask_b32_e32 v6, 0, v6, vcc_lo
	v_cmp_lt_u32_e32 vcc_lo, 3, v2
	s_delay_alu instid0(VALU_DEP_2) | instskip(NEXT) | instid1(VALU_DEP_1)
	v_add_nc_u32_e32 v5, v5, v6
	v_mov_b32_dpp v6, v5 row_shr:4 row_mask:0xf bank_mask:0xf
	s_wait_alu 0xfffd
	s_delay_alu instid0(VALU_DEP_1) | instskip(NEXT) | instid1(VALU_DEP_1)
	v_cndmask_b32_e32 v6, 0, v6, vcc_lo
	v_add_nc_u32_e32 v5, v5, v6
	ds_store_b32 v98, v5
.LBB1153_95:                            ;   in Loop: Header=BB1153_17 Depth=1
	s_wait_alu 0xfffe
	s_or_b32 exec_lo, exec_lo, s11
	v_mov_b32_e32 v5, 0
	s_wait_loadcnt_dscnt 0x0
	s_barrier_signal -1
	s_barrier_wait -1
	global_inv scope:SCOPE_SE
	s_and_saveexec_b32 s11, s5
; %bb.96:                               ;   in Loop: Header=BB1153_17 Depth=1
	ds_load_b32 v5, v99
; %bb.97:                               ;   in Loop: Header=BB1153_17 Depth=1
	s_wait_alu 0xfffe
	s_or_b32 exec_lo, exec_lo, s11
	v_sub_co_u32 v6, s11, v123, 1
	s_wait_dscnt 0x0
	v_add_nc_u32_e32 v4, v5, v4
	s_wait_loadcnt 0x0
	s_barrier_signal -1
	v_cmp_gt_i32_e32 vcc_lo, 0, v6
	s_barrier_wait -1
	global_inv scope:SCOPE_SE
	s_wait_alu 0xfffd
	v_cndmask_b32_e32 v6, v6, v123, vcc_lo
	s_delay_alu instid0(VALU_DEP_1)
	v_lshlrev_b32_e32 v124, 2, v6
	ds_bpermute_b32 v4, v124, v4
	s_and_saveexec_b32 s12, s2
	s_cbranch_execz .LBB1153_99
; %bb.98:                               ;   in Loop: Header=BB1153_17 Depth=1
	s_wait_dscnt 0x0
	v_cndmask_b32_e64 v4, v4, v5, s11
	s_delay_alu instid0(VALU_DEP_1)
	v_add_nc_u32_e32 v4, s33, v4
	ds_store_b32 v76, v4
.LBB1153_99:                            ;   in Loop: Header=BB1153_17 Depth=1
	s_wait_alu 0xfffe
	s_or_b32 exec_lo, exec_lo, s12
	s_clause 0x1
	s_load_b32 s12, s[52:53], 0x4
	s_load_b32 s15, s[52:53], 0xc
	s_mov_b32 s13, s34
	v_cmp_lt_u32_e64 s14, 3, v2
	v_lshlrev_b32_e32 v6, 3, v123
	v_or_b32_e32 v125, v123, v100
	s_mov_b32 s58, s55
	s_mov_b32 s42, s33
                                        ; implicit-def: $vgpr8_vgpr9
                                        ; implicit-def: $vgpr10_vgpr11
                                        ; implicit-def: $vgpr12_vgpr13
                                        ; implicit-def: $vgpr14_vgpr15
                                        ; implicit-def: $vgpr16_vgpr17
                                        ; implicit-def: $vgpr18_vgpr19
                                        ; implicit-def: $vgpr20_vgpr21
                                        ; implicit-def: $vgpr22_vgpr23
                                        ; implicit-def: $vgpr24_vgpr25
                                        ; implicit-def: $vgpr26_vgpr27
                                        ; implicit-def: $vgpr28_vgpr29
                                        ; implicit-def: $vgpr30_vgpr31
                                        ; implicit-def: $vgpr32_vgpr33
                                        ; implicit-def: $vgpr34_vgpr35
                                        ; implicit-def: $vgpr146
                                        ; implicit-def: $vgpr147
                                        ; implicit-def: $vgpr148
                                        ; implicit-def: $vgpr149
                                        ; implicit-def: $vgpr150
                                        ; implicit-def: $vgpr151
                                        ; implicit-def: $vgpr152
                                        ; implicit-def: $vgpr153
                                        ; implicit-def: $vgpr154
                                        ; implicit-def: $vgpr155
                                        ; implicit-def: $vgpr156
                                        ; implicit-def: $vgpr157
                                        ; implicit-def: $vgpr158
                                        ; implicit-def: $vgpr159
                                        ; implicit-def: $vgpr160
                                        ; implicit-def: $vgpr161
	s_delay_alu instid0(VALU_DEP_2)
	v_add_co_u32 v126, vcc_lo, v104, v6
	s_wait_alu 0xfffd
	v_add_co_ci_u32_e64 v127, null, 0, v105, vcc_lo
	v_add_co_u32 v143, vcc_lo, v106, v6
	v_or_b32_e32 v128, 32, v125
	v_or_b32_e32 v129, 64, v125
	;; [unrolled: 1-line block ×5, first 2 shown]
	s_wait_kmcnt 0x0
	s_cmp_lt_u32 ttmp7, s12
	v_or_b32_e32 v133, 0xc0, v125
	s_cselect_b32 s12, 14, 20
	s_and_b32 s15, s15, 0xffff
	s_wait_alu 0xfffe
	s_add_nc_u64 s[12:13], s[52:53], s[12:13]
	v_or_b32_e32 v134, 0xe0, v125
	s_load_u16 s16, s[12:13], 0x0
	v_cmp_eq_u32_e64 s12, 0, v2
	v_cmp_lt_u32_e64 s13, 1, v2
	v_or_b32_e32 v135, 0x100, v125
	v_or_b32_e32 v136, 0x120, v125
	v_or_b32_e32 v137, 0x140, v125
	v_or_b32_e32 v138, 0x160, v125
	v_or_b32_e32 v139, 0x180, v125
	v_or_b32_e32 v140, 0x1a0, v125
	v_or_b32_e32 v141, 0x1c0, v125
	v_or_b32_e32 v142, 0x1e0, v125
	v_add_co_ci_u32_e64 v144, null, 0, v107, vcc_lo
                                        ; implicit-def: $vgpr6_vgpr7
	s_wait_kmcnt 0x0
	v_mad_u32_u24 v2, v102, s16, v0
	s_wait_dscnt 0x0
	s_delay_alu instid0(VALU_DEP_1) | instskip(NEXT) | instid1(VALU_DEP_1)
	v_mad_co_u64_u32 v[4:5], null, v2, s15, v[1:2]
	v_lshrrev_b32_e32 v2, 3, v4
                                        ; implicit-def: $vgpr4_vgpr5
	s_delay_alu instid0(VALU_DEP_1)
	v_and_b32_e32 v145, 0x1ffffffc, v2
	s_branch .LBB1153_101
.LBB1153_100:                           ;   in Loop: Header=BB1153_101 Depth=2
	s_wait_alu 0xfffe
	s_or_b32 exec_lo, exec_lo, s15
	s_addk_co_i32 s58, 0xf000
	s_cmp_lt_u32 s59, s51
	s_mov_b32 s42, s59
	s_cbranch_scc0 .LBB1153_309
.LBB1153_101:                           ;   Parent Loop BB1153_17 Depth=1
                                        ; =>  This Inner Loop Header: Depth=2
	s_wait_alu 0xfffe
	s_add_co_i32 s59, s42, 0x1000
	s_wait_alu 0xfffe
	s_cmp_gt_u32 s59, s51
	s_cbranch_scc1 .LBB1153_103
; %bb.102:                              ;   in Loop: Header=BB1153_101 Depth=2
	s_mov_b32 s43, s34
	s_mov_b32 s15, -1
	s_wait_alu 0xfffe
	s_lshl_b64 s[16:17], s[42:43], 3
	s_wait_alu 0xfffe
	v_add_co_u32 v42, vcc_lo, v143, s16
	s_wait_alu 0xfffd
	v_add_co_ci_u32_e64 v43, null, s17, v144, vcc_lo
	s_clause 0xe
	global_load_b64 v[36:37], v[42:43], off
	global_load_b64 v[38:39], v[42:43], off offset:256
	global_load_b64 v[40:41], v[42:43], off offset:512
	global_load_b64 v[48:49], v[42:43], off offset:768
	global_load_b64 v[52:53], v[42:43], off offset:1024
	global_load_b64 v[56:57], v[42:43], off offset:1280
	global_load_b64 v[60:61], v[42:43], off offset:1536
	global_load_b64 v[64:65], v[42:43], off offset:1792
	global_load_b64 v[66:67], v[42:43], off offset:2048
	global_load_b64 v[62:63], v[42:43], off offset:2304
	global_load_b64 v[58:59], v[42:43], off offset:2560
	global_load_b64 v[54:55], v[42:43], off offset:2816
	global_load_b64 v[50:51], v[42:43], off offset:3072
	global_load_b64 v[46:47], v[42:43], off offset:3328
	global_load_b64 v[44:45], v[42:43], off offset:3584
	s_movk_i32 s16, 0x1000
	s_cbranch_execz .LBB1153_104
	s_branch .LBB1153_135
.LBB1153_103:                           ;   in Loop: Header=BB1153_101 Depth=2
	s_mov_b32 s15, 0
                                        ; implicit-def: $vgpr36_vgpr37
                                        ; implicit-def: $vgpr38_vgpr39
                                        ; implicit-def: $vgpr40_vgpr41
                                        ; implicit-def: $vgpr48_vgpr49
                                        ; implicit-def: $vgpr52_vgpr53
                                        ; implicit-def: $vgpr56_vgpr57
                                        ; implicit-def: $vgpr60_vgpr61
                                        ; implicit-def: $vgpr64_vgpr65
                                        ; implicit-def: $vgpr66_vgpr67
                                        ; implicit-def: $vgpr62_vgpr63
                                        ; implicit-def: $vgpr58_vgpr59
                                        ; implicit-def: $vgpr54_vgpr55
                                        ; implicit-def: $vgpr50_vgpr51
                                        ; implicit-def: $vgpr46_vgpr47
                                        ; implicit-def: $vgpr44_vgpr45
	s_movk_i32 s16, 0x1000
.LBB1153_104:                           ;   in Loop: Header=BB1153_101 Depth=2
	s_mov_b32 s43, s34
	s_wait_loadcnt 0xd
	v_mov_b32_e32 v38, -1
	s_wait_alu 0xfffe
	s_lshl_b64 s[16:17], s[42:43], 3
	v_dual_mov_b32 v39, -1 :: v_dual_mov_b32 v36, -1
	s_wait_alu 0xfffe
	v_add_co_u32 v42, vcc_lo, v143, s16
	s_wait_alu 0xfffd
	v_add_co_ci_u32_e64 v43, null, s17, v144, vcc_lo
	v_mov_b32_e32 v37, -1
	s_mov_b32 s15, exec_lo
	v_cmpx_gt_u32_e64 s58, v125
	s_cbranch_execz .LBB1153_106
; %bb.105:                              ;   in Loop: Header=BB1153_101 Depth=2
	global_load_b64 v[36:37], v[42:43], off
.LBB1153_106:                           ;   in Loop: Header=BB1153_101 Depth=2
	s_wait_alu 0xfffe
	s_or_b32 exec_lo, exec_lo, s15
	s_delay_alu instid0(SALU_CYCLE_1)
	s_mov_b32 s15, exec_lo
	v_cmpx_gt_u32_e64 s58, v128
	s_cbranch_execz .LBB1153_108
; %bb.107:                              ;   in Loop: Header=BB1153_101 Depth=2
	global_load_b64 v[38:39], v[42:43], off offset:256
.LBB1153_108:                           ;   in Loop: Header=BB1153_101 Depth=2
	s_wait_alu 0xfffe
	s_or_b32 exec_lo, exec_lo, s15
	s_wait_loadcnt 0xb
	v_mov_b32_e32 v48, -1
	v_dual_mov_b32 v49, -1 :: v_dual_mov_b32 v40, -1
	v_mov_b32_e32 v41, -1
	s_mov_b32 s15, exec_lo
	v_cmpx_gt_u32_e64 s58, v129
	s_cbranch_execz .LBB1153_110
; %bb.109:                              ;   in Loop: Header=BB1153_101 Depth=2
	global_load_b64 v[40:41], v[42:43], off offset:512
.LBB1153_110:                           ;   in Loop: Header=BB1153_101 Depth=2
	s_wait_alu 0xfffe
	s_or_b32 exec_lo, exec_lo, s15
	s_delay_alu instid0(SALU_CYCLE_1)
	s_mov_b32 s15, exec_lo
	v_cmpx_gt_u32_e64 s58, v130
	s_cbranch_execz .LBB1153_112
; %bb.111:                              ;   in Loop: Header=BB1153_101 Depth=2
	global_load_b64 v[48:49], v[42:43], off offset:768
.LBB1153_112:                           ;   in Loop: Header=BB1153_101 Depth=2
	s_wait_alu 0xfffe
	s_or_b32 exec_lo, exec_lo, s15
	s_wait_loadcnt 0x9
	v_mov_b32_e32 v56, -1
	v_dual_mov_b32 v57, -1 :: v_dual_mov_b32 v52, -1
	v_mov_b32_e32 v53, -1
	s_mov_b32 s15, exec_lo
	v_cmpx_gt_u32_e64 s58, v131
	s_cbranch_execz .LBB1153_114
; %bb.113:                              ;   in Loop: Header=BB1153_101 Depth=2
	global_load_b64 v[52:53], v[42:43], off offset:1024
.LBB1153_114:                           ;   in Loop: Header=BB1153_101 Depth=2
	;; [unrolled: 21-line block ×6, first 2 shown]
	s_wait_alu 0xfffe
	s_or_b32 exec_lo, exec_lo, s15
	s_delay_alu instid0(SALU_CYCLE_1)
	s_mov_b32 s15, exec_lo
	v_cmpx_gt_u32_e64 s58, v140
	s_cbranch_execz .LBB1153_132
; %bb.131:                              ;   in Loop: Header=BB1153_101 Depth=2
	global_load_b64 v[46:47], v[42:43], off offset:3328
.LBB1153_132:                           ;   in Loop: Header=BB1153_101 Depth=2
	s_wait_alu 0xfffe
	s_or_b32 exec_lo, exec_lo, s15
	s_wait_loadcnt 0x0
	v_mov_b32_e32 v44, -1
	v_mov_b32_e32 v45, -1
	s_mov_b32 s15, exec_lo
	v_cmpx_gt_u32_e64 s58, v141
	s_cbranch_execz .LBB1153_134
; %bb.133:                              ;   in Loop: Header=BB1153_101 Depth=2
	global_load_b64 v[44:45], v[42:43], off offset:3584
.LBB1153_134:                           ;   in Loop: Header=BB1153_101 Depth=2
	s_wait_alu 0xfffe
	s_or_b32 exec_lo, exec_lo, s15
	v_cmp_gt_u32_e64 s15, s58, v142
	s_sub_co_i32 s16, s51, s42
.LBB1153_135:                           ;   in Loop: Header=BB1153_101 Depth=2
	v_mov_b32_e32 v42, -1
	v_dual_mov_b32 v43, -1 :: v_dual_mov_b32 v162, s58
	s_and_saveexec_b32 s17, s15
	s_cbranch_execz .LBB1153_137
; %bb.136:                              ;   in Loop: Header=BB1153_101 Depth=2
	s_lshl_b64 s[18:19], s[42:43], 3
	s_wait_alu 0xfffe
	v_mov_b32_e32 v162, s16
	v_add_co_u32 v42, vcc_lo, v143, s18
	s_wait_alu 0xfffd
	v_add_co_ci_u32_e64 v43, null, s19, v144, vcc_lo
	global_load_b64 v[42:43], v[42:43], off offset:3840
.LBB1153_137:                           ;   in Loop: Header=BB1153_101 Depth=2
	s_wait_alu 0xfffe
	s_or_b32 exec_lo, exec_lo, s17
	s_wait_loadcnt 0xe
	v_cmp_gt_i64_e32 vcc_lo, 0, v[36:37]
	v_ashrrev_i32_e32 v2, 31, v37
	v_add_nc_u32_e32 v164, 0x420, v101
	v_add_nc_u32_e32 v165, 0x428, v101
	;; [unrolled: 1-line block ×3, first 2 shown]
	s_delay_alu instid0(VALU_DEP_4) | instskip(SKIP_2) | instid1(VALU_DEP_2)
	v_not_b32_e32 v2, v2
	s_wait_alu 0xfffd
	v_cndmask_b32_e64 v68, 0x7fffffff, 0, vcc_lo
	v_xor_b32_e32 v36, v2, v36
	s_delay_alu instid0(VALU_DEP_2) | instskip(NEXT) | instid1(VALU_DEP_1)
	v_xor_b32_e32 v37, v68, v37
	v_cmp_ne_u64_e32 vcc_lo, s[34:35], v[36:37]
	s_wait_alu 0xfffd
	v_cndmask_b32_e32 v69, 0x7fffffff, v37, vcc_lo
	v_cndmask_b32_e32 v68, -1, v36, vcc_lo
	s_delay_alu instid0(VALU_DEP_1) | instskip(NEXT) | instid1(VALU_DEP_1)
	v_lshrrev_b64 v[68:69], s48, v[68:69]
	v_and_b32_e32 v69, s57, v68
	s_delay_alu instid0(VALU_DEP_1)
	v_and_b32_e32 v2, 1, v69
	v_lshlrev_b32_e32 v68, 30, v69
	v_lshlrev_b32_e32 v70, 29, v69
	v_lshlrev_b32_e32 v71, 28, v69
	v_lshlrev_b32_e32 v73, 27, v69
	v_add_co_u32 v2, s15, v2, -1
	s_wait_alu 0xf1ff
	v_cndmask_b32_e64 v72, 0, 1, s15
	v_not_b32_e32 v163, v68
	v_cmp_gt_i32_e64 s15, 0, v68
	v_not_b32_e32 v68, v70
	v_lshlrev_b32_e32 v74, 26, v69
	v_cmp_ne_u32_e32 vcc_lo, 0, v72
	v_ashrrev_i32_e32 v163, 31, v163
	v_lshlrev_b32_e32 v75, 25, v69
	v_ashrrev_i32_e32 v68, 31, v68
	v_lshlrev_b32_e32 v72, 24, v69
	s_wait_alu 0xfffd
	v_xor_b32_e32 v2, vcc_lo, v2
	v_cmp_gt_i32_e32 vcc_lo, 0, v70
	v_not_b32_e32 v70, v71
	s_wait_alu 0xf1ff
	v_xor_b32_e32 v163, s15, v163
	v_cmp_gt_i32_e64 s15, 0, v71
	v_and_b32_e32 v2, exec_lo, v2
	v_not_b32_e32 v71, v73
	v_ashrrev_i32_e32 v70, 31, v70
	s_wait_alu 0xfffd
	v_xor_b32_e32 v68, vcc_lo, v68
	v_cmp_gt_i32_e32 vcc_lo, 0, v73
	v_and_b32_e32 v2, v2, v163
	v_not_b32_e32 v73, v74
	v_ashrrev_i32_e32 v71, 31, v71
	s_wait_alu 0xf1ff
	v_xor_b32_e32 v70, s15, v70
	v_cmp_gt_i32_e64 s15, 0, v74
	v_and_b32_e32 v2, v2, v68
	v_not_b32_e32 v68, v75
	v_ashrrev_i32_e32 v73, 31, v73
	s_wait_alu 0xfffd
	v_xor_b32_e32 v71, vcc_lo, v71
	v_cmp_gt_i32_e32 vcc_lo, 0, v75
	v_and_b32_e32 v2, v2, v70
	v_not_b32_e32 v70, v72
	v_ashrrev_i32_e32 v68, 31, v68
	s_wait_alu 0xf1ff
	v_xor_b32_e32 v73, s15, v73
	v_cmp_gt_i32_e64 s15, 0, v72
	v_and_b32_e32 v2, v2, v71
	v_ashrrev_i32_e32 v70, 31, v70
	s_wait_alu 0xfffd
	v_xor_b32_e32 v68, vcc_lo, v68
	v_mul_u32_u24_e32 v69, 36, v69
	v_add_nc_u32_e32 v163, 0x438, v101
	v_and_b32_e32 v2, v2, v73
	s_wait_alu 0xf1ff
	v_xor_b32_e32 v70, s15, v70
	v_add_nc_u32_e32 v167, v145, v69
	ds_store_2addr_b32 v163, v3, v3 offset1:1
	v_and_b32_e32 v2, v2, v68
	ds_store_2addr_b32 v164, v3, v3 offset1:1
	ds_store_2addr_b32 v165, v3, v3 offset1:1
	;; [unrolled: 1-line block ×3, first 2 shown]
	ds_store_b32 v101, v3 offset:1088
	s_wait_loadcnt_dscnt 0x0
	s_barrier_signal -1
	s_barrier_wait -1
	v_and_b32_e32 v68, v2, v70
	global_inv scope:SCOPE_SE
	; wave barrier
	v_mbcnt_lo_u32_b32 v2, v68, 0
	v_cmp_ne_u32_e64 s15, 0, v68
	s_delay_alu instid0(VALU_DEP_2)
	v_cmp_eq_u32_e32 vcc_lo, 0, v2
	s_and_b32 s16, s15, vcc_lo
	s_wait_alu 0xfffe
	s_and_saveexec_b32 s15, s16
; %bb.138:                              ;   in Loop: Header=BB1153_101 Depth=2
	v_bcnt_u32_b32 v68, v68, 0
	ds_store_b32 v167, v68 offset:1056
; %bb.139:                              ;   in Loop: Header=BB1153_101 Depth=2
	s_wait_alu 0xfffe
	s_or_b32 exec_lo, exec_lo, s15
	v_cmp_gt_i64_e32 vcc_lo, 0, v[38:39]
	v_ashrrev_i32_e32 v68, 31, v39
	; wave barrier
	s_delay_alu instid0(VALU_DEP_1) | instskip(SKIP_2) | instid1(VALU_DEP_2)
	v_not_b32_e32 v68, v68
	s_wait_alu 0xfffd
	v_cndmask_b32_e64 v69, 0x7fffffff, 0, vcc_lo
	v_xor_b32_e32 v38, v68, v38
	s_delay_alu instid0(VALU_DEP_2) | instskip(NEXT) | instid1(VALU_DEP_1)
	v_xor_b32_e32 v39, v69, v39
	v_cmp_ne_u64_e32 vcc_lo, s[34:35], v[38:39]
	s_wait_alu 0xfffd
	v_cndmask_b32_e32 v69, 0x7fffffff, v39, vcc_lo
	v_cndmask_b32_e32 v68, -1, v38, vcc_lo
	s_delay_alu instid0(VALU_DEP_1) | instskip(NEXT) | instid1(VALU_DEP_1)
	v_lshrrev_b64 v[68:69], s48, v[68:69]
	v_and_b32_e32 v69, s57, v68
	s_delay_alu instid0(VALU_DEP_1)
	v_and_b32_e32 v68, 1, v69
	v_lshlrev_b32_e32 v70, 30, v69
	v_lshlrev_b32_e32 v71, 29, v69
	;; [unrolled: 1-line block ×4, first 2 shown]
	v_add_co_u32 v68, s15, v68, -1
	s_wait_alu 0xf1ff
	v_cndmask_b32_e64 v73, 0, 1, s15
	v_not_b32_e32 v169, v70
	v_cmp_gt_i32_e64 s15, 0, v70
	v_not_b32_e32 v70, v71
	v_lshlrev_b32_e32 v75, 26, v69
	v_cmp_ne_u32_e32 vcc_lo, 0, v73
	v_ashrrev_i32_e32 v169, 31, v169
	v_lshlrev_b32_e32 v168, 25, v69
	v_ashrrev_i32_e32 v70, 31, v70
	v_lshlrev_b32_e32 v73, 24, v69
	s_wait_alu 0xfffd
	v_xor_b32_e32 v68, vcc_lo, v68
	v_cmp_gt_i32_e32 vcc_lo, 0, v71
	v_not_b32_e32 v71, v72
	s_wait_alu 0xf1ff
	v_xor_b32_e32 v169, s15, v169
	v_cmp_gt_i32_e64 s15, 0, v72
	v_and_b32_e32 v68, exec_lo, v68
	v_not_b32_e32 v72, v74
	v_ashrrev_i32_e32 v71, 31, v71
	s_wait_alu 0xfffd
	v_xor_b32_e32 v70, vcc_lo, v70
	v_cmp_gt_i32_e32 vcc_lo, 0, v74
	v_and_b32_e32 v68, v68, v169
	v_not_b32_e32 v74, v75
	v_ashrrev_i32_e32 v72, 31, v72
	s_wait_alu 0xf1ff
	v_xor_b32_e32 v71, s15, v71
	v_cmp_gt_i32_e64 s15, 0, v75
	v_and_b32_e32 v68, v68, v70
	v_not_b32_e32 v70, v168
	v_ashrrev_i32_e32 v74, 31, v74
	s_wait_alu 0xfffd
	v_xor_b32_e32 v72, vcc_lo, v72
	v_cmp_gt_i32_e32 vcc_lo, 0, v168
	v_and_b32_e32 v68, v68, v71
	v_not_b32_e32 v71, v73
	v_ashrrev_i32_e32 v70, 31, v70
	s_wait_alu 0xf1ff
	v_xor_b32_e32 v74, s15, v74
	v_cmp_gt_i32_e64 s15, 0, v73
	v_and_b32_e32 v68, v68, v72
	v_ashrrev_i32_e32 v71, 31, v71
	s_wait_alu 0xfffd
	v_xor_b32_e32 v70, vcc_lo, v70
	v_mad_u32_u24 v72, v69, 36, v145
	v_mul_u32_u24_e32 v69, 36, v69
	v_and_b32_e32 v68, v68, v74
	s_wait_alu 0xf1ff
	v_xor_b32_e32 v71, s15, v71
	ds_load_b32 v168, v72 offset:1056
	v_add_nc_u32_e32 v170, v145, v69
	v_and_b32_e32 v68, v68, v70
	; wave barrier
	s_delay_alu instid0(VALU_DEP_1) | instskip(NEXT) | instid1(VALU_DEP_1)
	v_and_b32_e32 v68, v68, v71
	v_mbcnt_lo_u32_b32 v169, v68, 0
	v_cmp_ne_u32_e64 s15, 0, v68
	s_delay_alu instid0(VALU_DEP_2)
	v_cmp_eq_u32_e32 vcc_lo, 0, v169
	s_and_b32 s16, s15, vcc_lo
	s_wait_alu 0xfffe
	s_and_saveexec_b32 s15, s16
	s_cbranch_execz .LBB1153_141
; %bb.140:                              ;   in Loop: Header=BB1153_101 Depth=2
	s_wait_dscnt 0x0
	v_bcnt_u32_b32 v68, v68, v168
	ds_store_b32 v170, v68 offset:1056
.LBB1153_141:                           ;   in Loop: Header=BB1153_101 Depth=2
	s_wait_alu 0xfffe
	s_or_b32 exec_lo, exec_lo, s15
	v_cmp_gt_i64_e32 vcc_lo, 0, v[40:41]
	v_ashrrev_i32_e32 v68, 31, v41
	; wave barrier
	s_delay_alu instid0(VALU_DEP_1) | instskip(SKIP_2) | instid1(VALU_DEP_2)
	v_not_b32_e32 v68, v68
	s_wait_alu 0xfffd
	v_cndmask_b32_e64 v69, 0x7fffffff, 0, vcc_lo
	v_xor_b32_e32 v40, v68, v40
	s_delay_alu instid0(VALU_DEP_2) | instskip(NEXT) | instid1(VALU_DEP_1)
	v_xor_b32_e32 v41, v69, v41
	v_cmp_ne_u64_e32 vcc_lo, s[34:35], v[40:41]
	s_wait_alu 0xfffd
	v_cndmask_b32_e32 v69, 0x7fffffff, v41, vcc_lo
	v_cndmask_b32_e32 v68, -1, v40, vcc_lo
	s_delay_alu instid0(VALU_DEP_1) | instskip(NEXT) | instid1(VALU_DEP_1)
	v_lshrrev_b64 v[68:69], s48, v[68:69]
	v_and_b32_e32 v69, s57, v68
	s_delay_alu instid0(VALU_DEP_1)
	v_and_b32_e32 v68, 1, v69
	v_lshlrev_b32_e32 v70, 30, v69
	v_lshlrev_b32_e32 v71, 29, v69
	;; [unrolled: 1-line block ×4, first 2 shown]
	v_add_co_u32 v68, s15, v68, -1
	s_wait_alu 0xf1ff
	v_cndmask_b32_e64 v73, 0, 1, s15
	v_not_b32_e32 v172, v70
	v_cmp_gt_i32_e64 s15, 0, v70
	v_not_b32_e32 v70, v71
	v_lshlrev_b32_e32 v75, 26, v69
	v_cmp_ne_u32_e32 vcc_lo, 0, v73
	v_ashrrev_i32_e32 v172, 31, v172
	v_lshlrev_b32_e32 v171, 25, v69
	v_ashrrev_i32_e32 v70, 31, v70
	v_lshlrev_b32_e32 v73, 24, v69
	s_wait_alu 0xfffd
	v_xor_b32_e32 v68, vcc_lo, v68
	v_cmp_gt_i32_e32 vcc_lo, 0, v71
	v_not_b32_e32 v71, v72
	s_wait_alu 0xf1ff
	v_xor_b32_e32 v172, s15, v172
	v_cmp_gt_i32_e64 s15, 0, v72
	v_and_b32_e32 v68, exec_lo, v68
	v_not_b32_e32 v72, v74
	v_ashrrev_i32_e32 v71, 31, v71
	s_wait_alu 0xfffd
	v_xor_b32_e32 v70, vcc_lo, v70
	v_cmp_gt_i32_e32 vcc_lo, 0, v74
	v_and_b32_e32 v68, v68, v172
	v_not_b32_e32 v74, v75
	v_ashrrev_i32_e32 v72, 31, v72
	s_wait_alu 0xf1ff
	v_xor_b32_e32 v71, s15, v71
	v_cmp_gt_i32_e64 s15, 0, v75
	v_and_b32_e32 v68, v68, v70
	v_not_b32_e32 v70, v171
	v_ashrrev_i32_e32 v74, 31, v74
	s_wait_alu 0xfffd
	v_xor_b32_e32 v72, vcc_lo, v72
	v_cmp_gt_i32_e32 vcc_lo, 0, v171
	v_and_b32_e32 v68, v68, v71
	v_not_b32_e32 v71, v73
	v_ashrrev_i32_e32 v70, 31, v70
	s_wait_alu 0xf1ff
	v_xor_b32_e32 v74, s15, v74
	v_cmp_gt_i32_e64 s15, 0, v73
	v_and_b32_e32 v68, v68, v72
	v_ashrrev_i32_e32 v71, 31, v71
	s_wait_alu 0xfffd
	v_xor_b32_e32 v70, vcc_lo, v70
	v_mad_u32_u24 v72, v69, 36, v145
	v_mul_u32_u24_e32 v69, 36, v69
	v_and_b32_e32 v68, v68, v74
	s_wait_alu 0xf1ff
	v_xor_b32_e32 v71, s15, v71
	ds_load_b32 v171, v72 offset:1056
	v_add_nc_u32_e32 v173, v145, v69
	v_and_b32_e32 v68, v68, v70
	; wave barrier
	s_delay_alu instid0(VALU_DEP_1) | instskip(NEXT) | instid1(VALU_DEP_1)
	v_and_b32_e32 v68, v68, v71
	v_mbcnt_lo_u32_b32 v172, v68, 0
	v_cmp_ne_u32_e64 s15, 0, v68
	s_delay_alu instid0(VALU_DEP_2)
	v_cmp_eq_u32_e32 vcc_lo, 0, v172
	s_and_b32 s16, s15, vcc_lo
	s_wait_alu 0xfffe
	s_and_saveexec_b32 s15, s16
	s_cbranch_execz .LBB1153_143
; %bb.142:                              ;   in Loop: Header=BB1153_101 Depth=2
	s_wait_dscnt 0x0
	v_bcnt_u32_b32 v68, v68, v171
	ds_store_b32 v173, v68 offset:1056
.LBB1153_143:                           ;   in Loop: Header=BB1153_101 Depth=2
	s_wait_alu 0xfffe
	s_or_b32 exec_lo, exec_lo, s15
	v_cmp_gt_i64_e32 vcc_lo, 0, v[48:49]
	v_ashrrev_i32_e32 v68, 31, v49
	; wave barrier
	s_delay_alu instid0(VALU_DEP_1) | instskip(SKIP_2) | instid1(VALU_DEP_2)
	v_not_b32_e32 v68, v68
	s_wait_alu 0xfffd
	v_cndmask_b32_e64 v69, 0x7fffffff, 0, vcc_lo
	v_xor_b32_e32 v48, v68, v48
	s_delay_alu instid0(VALU_DEP_2) | instskip(NEXT) | instid1(VALU_DEP_1)
	v_xor_b32_e32 v49, v69, v49
	v_cmp_ne_u64_e32 vcc_lo, s[34:35], v[48:49]
	s_wait_alu 0xfffd
	v_cndmask_b32_e32 v69, 0x7fffffff, v49, vcc_lo
	v_cndmask_b32_e32 v68, -1, v48, vcc_lo
	s_delay_alu instid0(VALU_DEP_1) | instskip(NEXT) | instid1(VALU_DEP_1)
	v_lshrrev_b64 v[68:69], s48, v[68:69]
	v_and_b32_e32 v69, s57, v68
	s_delay_alu instid0(VALU_DEP_1)
	v_and_b32_e32 v68, 1, v69
	v_lshlrev_b32_e32 v70, 30, v69
	v_lshlrev_b32_e32 v71, 29, v69
	;; [unrolled: 1-line block ×4, first 2 shown]
	v_add_co_u32 v68, s15, v68, -1
	s_wait_alu 0xf1ff
	v_cndmask_b32_e64 v73, 0, 1, s15
	v_not_b32_e32 v175, v70
	v_cmp_gt_i32_e64 s15, 0, v70
	v_not_b32_e32 v70, v71
	v_lshlrev_b32_e32 v75, 26, v69
	v_cmp_ne_u32_e32 vcc_lo, 0, v73
	v_ashrrev_i32_e32 v175, 31, v175
	v_lshlrev_b32_e32 v174, 25, v69
	v_ashrrev_i32_e32 v70, 31, v70
	v_lshlrev_b32_e32 v73, 24, v69
	s_wait_alu 0xfffd
	v_xor_b32_e32 v68, vcc_lo, v68
	v_cmp_gt_i32_e32 vcc_lo, 0, v71
	v_not_b32_e32 v71, v72
	s_wait_alu 0xf1ff
	v_xor_b32_e32 v175, s15, v175
	v_cmp_gt_i32_e64 s15, 0, v72
	v_and_b32_e32 v68, exec_lo, v68
	v_not_b32_e32 v72, v74
	v_ashrrev_i32_e32 v71, 31, v71
	s_wait_alu 0xfffd
	v_xor_b32_e32 v70, vcc_lo, v70
	v_cmp_gt_i32_e32 vcc_lo, 0, v74
	v_and_b32_e32 v68, v68, v175
	v_not_b32_e32 v74, v75
	v_ashrrev_i32_e32 v72, 31, v72
	s_wait_alu 0xf1ff
	v_xor_b32_e32 v71, s15, v71
	v_cmp_gt_i32_e64 s15, 0, v75
	v_and_b32_e32 v68, v68, v70
	v_not_b32_e32 v70, v174
	v_ashrrev_i32_e32 v74, 31, v74
	s_wait_alu 0xfffd
	v_xor_b32_e32 v72, vcc_lo, v72
	v_cmp_gt_i32_e32 vcc_lo, 0, v174
	v_and_b32_e32 v68, v68, v71
	v_not_b32_e32 v71, v73
	v_ashrrev_i32_e32 v70, 31, v70
	s_wait_alu 0xf1ff
	v_xor_b32_e32 v74, s15, v74
	v_cmp_gt_i32_e64 s15, 0, v73
	v_and_b32_e32 v68, v68, v72
	v_ashrrev_i32_e32 v71, 31, v71
	s_wait_alu 0xfffd
	v_xor_b32_e32 v70, vcc_lo, v70
	v_mad_u32_u24 v72, v69, 36, v145
	v_mul_u32_u24_e32 v69, 36, v69
	v_and_b32_e32 v68, v68, v74
	s_wait_alu 0xf1ff
	v_xor_b32_e32 v71, s15, v71
	ds_load_b32 v174, v72 offset:1056
	v_add_nc_u32_e32 v176, v145, v69
	v_and_b32_e32 v68, v68, v70
	; wave barrier
	s_delay_alu instid0(VALU_DEP_1) | instskip(NEXT) | instid1(VALU_DEP_1)
	v_and_b32_e32 v68, v68, v71
	v_mbcnt_lo_u32_b32 v175, v68, 0
	v_cmp_ne_u32_e64 s15, 0, v68
	s_delay_alu instid0(VALU_DEP_2)
	v_cmp_eq_u32_e32 vcc_lo, 0, v175
	s_and_b32 s16, s15, vcc_lo
	s_wait_alu 0xfffe
	s_and_saveexec_b32 s15, s16
	s_cbranch_execz .LBB1153_145
; %bb.144:                              ;   in Loop: Header=BB1153_101 Depth=2
	s_wait_dscnt 0x0
	v_bcnt_u32_b32 v68, v68, v174
	ds_store_b32 v176, v68 offset:1056
.LBB1153_145:                           ;   in Loop: Header=BB1153_101 Depth=2
	s_wait_alu 0xfffe
	s_or_b32 exec_lo, exec_lo, s15
	v_cmp_gt_i64_e32 vcc_lo, 0, v[52:53]
	v_ashrrev_i32_e32 v68, 31, v53
	; wave barrier
	s_delay_alu instid0(VALU_DEP_1) | instskip(SKIP_2) | instid1(VALU_DEP_2)
	v_not_b32_e32 v68, v68
	s_wait_alu 0xfffd
	v_cndmask_b32_e64 v69, 0x7fffffff, 0, vcc_lo
	v_xor_b32_e32 v52, v68, v52
	s_delay_alu instid0(VALU_DEP_2) | instskip(NEXT) | instid1(VALU_DEP_1)
	v_xor_b32_e32 v53, v69, v53
	v_cmp_ne_u64_e32 vcc_lo, s[34:35], v[52:53]
	s_wait_alu 0xfffd
	v_cndmask_b32_e32 v69, 0x7fffffff, v53, vcc_lo
	v_cndmask_b32_e32 v68, -1, v52, vcc_lo
	s_delay_alu instid0(VALU_DEP_1) | instskip(NEXT) | instid1(VALU_DEP_1)
	v_lshrrev_b64 v[68:69], s48, v[68:69]
	v_and_b32_e32 v69, s57, v68
	s_delay_alu instid0(VALU_DEP_1)
	v_and_b32_e32 v68, 1, v69
	v_lshlrev_b32_e32 v70, 30, v69
	v_lshlrev_b32_e32 v71, 29, v69
	;; [unrolled: 1-line block ×4, first 2 shown]
	v_add_co_u32 v68, s15, v68, -1
	s_wait_alu 0xf1ff
	v_cndmask_b32_e64 v73, 0, 1, s15
	v_not_b32_e32 v178, v70
	v_cmp_gt_i32_e64 s15, 0, v70
	v_not_b32_e32 v70, v71
	v_lshlrev_b32_e32 v75, 26, v69
	v_cmp_ne_u32_e32 vcc_lo, 0, v73
	v_ashrrev_i32_e32 v178, 31, v178
	v_lshlrev_b32_e32 v177, 25, v69
	v_ashrrev_i32_e32 v70, 31, v70
	v_lshlrev_b32_e32 v73, 24, v69
	s_wait_alu 0xfffd
	v_xor_b32_e32 v68, vcc_lo, v68
	v_cmp_gt_i32_e32 vcc_lo, 0, v71
	v_not_b32_e32 v71, v72
	s_wait_alu 0xf1ff
	v_xor_b32_e32 v178, s15, v178
	v_cmp_gt_i32_e64 s15, 0, v72
	v_and_b32_e32 v68, exec_lo, v68
	v_not_b32_e32 v72, v74
	v_ashrrev_i32_e32 v71, 31, v71
	s_wait_alu 0xfffd
	v_xor_b32_e32 v70, vcc_lo, v70
	v_cmp_gt_i32_e32 vcc_lo, 0, v74
	v_and_b32_e32 v68, v68, v178
	v_not_b32_e32 v74, v75
	v_ashrrev_i32_e32 v72, 31, v72
	s_wait_alu 0xf1ff
	v_xor_b32_e32 v71, s15, v71
	v_cmp_gt_i32_e64 s15, 0, v75
	v_and_b32_e32 v68, v68, v70
	v_not_b32_e32 v70, v177
	v_ashrrev_i32_e32 v74, 31, v74
	s_wait_alu 0xfffd
	v_xor_b32_e32 v72, vcc_lo, v72
	v_cmp_gt_i32_e32 vcc_lo, 0, v177
	v_and_b32_e32 v68, v68, v71
	v_not_b32_e32 v71, v73
	v_ashrrev_i32_e32 v70, 31, v70
	s_wait_alu 0xf1ff
	v_xor_b32_e32 v74, s15, v74
	v_cmp_gt_i32_e64 s15, 0, v73
	v_and_b32_e32 v68, v68, v72
	v_ashrrev_i32_e32 v71, 31, v71
	s_wait_alu 0xfffd
	v_xor_b32_e32 v70, vcc_lo, v70
	v_mad_u32_u24 v72, v69, 36, v145
	v_mul_u32_u24_e32 v69, 36, v69
	v_and_b32_e32 v68, v68, v74
	s_wait_alu 0xf1ff
	v_xor_b32_e32 v71, s15, v71
	ds_load_b32 v177, v72 offset:1056
	v_add_nc_u32_e32 v179, v145, v69
	v_and_b32_e32 v68, v68, v70
	; wave barrier
	s_delay_alu instid0(VALU_DEP_1) | instskip(NEXT) | instid1(VALU_DEP_1)
	v_and_b32_e32 v68, v68, v71
	v_mbcnt_lo_u32_b32 v178, v68, 0
	v_cmp_ne_u32_e64 s15, 0, v68
	s_delay_alu instid0(VALU_DEP_2)
	v_cmp_eq_u32_e32 vcc_lo, 0, v178
	s_and_b32 s16, s15, vcc_lo
	s_wait_alu 0xfffe
	s_and_saveexec_b32 s15, s16
	s_cbranch_execz .LBB1153_147
; %bb.146:                              ;   in Loop: Header=BB1153_101 Depth=2
	s_wait_dscnt 0x0
	v_bcnt_u32_b32 v68, v68, v177
	ds_store_b32 v179, v68 offset:1056
.LBB1153_147:                           ;   in Loop: Header=BB1153_101 Depth=2
	s_wait_alu 0xfffe
	s_or_b32 exec_lo, exec_lo, s15
	v_cmp_gt_i64_e32 vcc_lo, 0, v[56:57]
	v_ashrrev_i32_e32 v68, 31, v57
	; wave barrier
	s_delay_alu instid0(VALU_DEP_1) | instskip(SKIP_2) | instid1(VALU_DEP_2)
	v_not_b32_e32 v68, v68
	s_wait_alu 0xfffd
	v_cndmask_b32_e64 v69, 0x7fffffff, 0, vcc_lo
	v_xor_b32_e32 v56, v68, v56
	s_delay_alu instid0(VALU_DEP_2) | instskip(NEXT) | instid1(VALU_DEP_1)
	v_xor_b32_e32 v57, v69, v57
	v_cmp_ne_u64_e32 vcc_lo, s[34:35], v[56:57]
	s_wait_alu 0xfffd
	v_cndmask_b32_e32 v69, 0x7fffffff, v57, vcc_lo
	v_cndmask_b32_e32 v68, -1, v56, vcc_lo
	s_delay_alu instid0(VALU_DEP_1) | instskip(NEXT) | instid1(VALU_DEP_1)
	v_lshrrev_b64 v[68:69], s48, v[68:69]
	v_and_b32_e32 v69, s57, v68
	s_delay_alu instid0(VALU_DEP_1)
	v_and_b32_e32 v68, 1, v69
	v_lshlrev_b32_e32 v70, 30, v69
	v_lshlrev_b32_e32 v71, 29, v69
	v_lshlrev_b32_e32 v72, 28, v69
	v_lshlrev_b32_e32 v74, 27, v69
	v_add_co_u32 v68, s15, v68, -1
	s_wait_alu 0xf1ff
	v_cndmask_b32_e64 v73, 0, 1, s15
	v_not_b32_e32 v181, v70
	v_cmp_gt_i32_e64 s15, 0, v70
	v_not_b32_e32 v70, v71
	v_lshlrev_b32_e32 v75, 26, v69
	v_cmp_ne_u32_e32 vcc_lo, 0, v73
	v_ashrrev_i32_e32 v181, 31, v181
	v_lshlrev_b32_e32 v180, 25, v69
	v_ashrrev_i32_e32 v70, 31, v70
	v_lshlrev_b32_e32 v73, 24, v69
	s_wait_alu 0xfffd
	v_xor_b32_e32 v68, vcc_lo, v68
	v_cmp_gt_i32_e32 vcc_lo, 0, v71
	v_not_b32_e32 v71, v72
	s_wait_alu 0xf1ff
	v_xor_b32_e32 v181, s15, v181
	v_cmp_gt_i32_e64 s15, 0, v72
	v_and_b32_e32 v68, exec_lo, v68
	v_not_b32_e32 v72, v74
	v_ashrrev_i32_e32 v71, 31, v71
	s_wait_alu 0xfffd
	v_xor_b32_e32 v70, vcc_lo, v70
	v_cmp_gt_i32_e32 vcc_lo, 0, v74
	v_and_b32_e32 v68, v68, v181
	v_not_b32_e32 v74, v75
	v_ashrrev_i32_e32 v72, 31, v72
	s_wait_alu 0xf1ff
	v_xor_b32_e32 v71, s15, v71
	v_cmp_gt_i32_e64 s15, 0, v75
	v_and_b32_e32 v68, v68, v70
	v_not_b32_e32 v70, v180
	v_ashrrev_i32_e32 v74, 31, v74
	s_wait_alu 0xfffd
	v_xor_b32_e32 v72, vcc_lo, v72
	v_cmp_gt_i32_e32 vcc_lo, 0, v180
	v_and_b32_e32 v68, v68, v71
	v_not_b32_e32 v71, v73
	v_ashrrev_i32_e32 v70, 31, v70
	s_wait_alu 0xf1ff
	v_xor_b32_e32 v74, s15, v74
	v_cmp_gt_i32_e64 s15, 0, v73
	v_and_b32_e32 v68, v68, v72
	v_ashrrev_i32_e32 v71, 31, v71
	s_wait_alu 0xfffd
	v_xor_b32_e32 v70, vcc_lo, v70
	v_mad_u32_u24 v72, v69, 36, v145
	v_mul_u32_u24_e32 v69, 36, v69
	v_and_b32_e32 v68, v68, v74
	s_wait_alu 0xf1ff
	v_xor_b32_e32 v71, s15, v71
	ds_load_b32 v180, v72 offset:1056
	v_add_nc_u32_e32 v182, v145, v69
	v_and_b32_e32 v68, v68, v70
	; wave barrier
	s_delay_alu instid0(VALU_DEP_1) | instskip(NEXT) | instid1(VALU_DEP_1)
	v_and_b32_e32 v68, v68, v71
	v_mbcnt_lo_u32_b32 v181, v68, 0
	v_cmp_ne_u32_e64 s15, 0, v68
	s_delay_alu instid0(VALU_DEP_2)
	v_cmp_eq_u32_e32 vcc_lo, 0, v181
	s_and_b32 s16, s15, vcc_lo
	s_wait_alu 0xfffe
	s_and_saveexec_b32 s15, s16
	s_cbranch_execz .LBB1153_149
; %bb.148:                              ;   in Loop: Header=BB1153_101 Depth=2
	s_wait_dscnt 0x0
	v_bcnt_u32_b32 v68, v68, v180
	ds_store_b32 v182, v68 offset:1056
.LBB1153_149:                           ;   in Loop: Header=BB1153_101 Depth=2
	s_wait_alu 0xfffe
	s_or_b32 exec_lo, exec_lo, s15
	v_cmp_gt_i64_e32 vcc_lo, 0, v[60:61]
	v_ashrrev_i32_e32 v68, 31, v61
	; wave barrier
	s_delay_alu instid0(VALU_DEP_1) | instskip(SKIP_2) | instid1(VALU_DEP_2)
	v_not_b32_e32 v68, v68
	s_wait_alu 0xfffd
	v_cndmask_b32_e64 v69, 0x7fffffff, 0, vcc_lo
	v_xor_b32_e32 v60, v68, v60
	s_delay_alu instid0(VALU_DEP_2) | instskip(NEXT) | instid1(VALU_DEP_1)
	v_xor_b32_e32 v61, v69, v61
	v_cmp_ne_u64_e32 vcc_lo, s[34:35], v[60:61]
	s_wait_alu 0xfffd
	v_cndmask_b32_e32 v69, 0x7fffffff, v61, vcc_lo
	v_cndmask_b32_e32 v68, -1, v60, vcc_lo
	s_delay_alu instid0(VALU_DEP_1) | instskip(NEXT) | instid1(VALU_DEP_1)
	v_lshrrev_b64 v[68:69], s48, v[68:69]
	v_and_b32_e32 v69, s57, v68
	s_delay_alu instid0(VALU_DEP_1)
	v_and_b32_e32 v68, 1, v69
	v_lshlrev_b32_e32 v70, 30, v69
	v_lshlrev_b32_e32 v71, 29, v69
	;; [unrolled: 1-line block ×4, first 2 shown]
	v_add_co_u32 v68, s15, v68, -1
	s_wait_alu 0xf1ff
	v_cndmask_b32_e64 v73, 0, 1, s15
	v_not_b32_e32 v184, v70
	v_cmp_gt_i32_e64 s15, 0, v70
	v_not_b32_e32 v70, v71
	v_lshlrev_b32_e32 v75, 26, v69
	v_cmp_ne_u32_e32 vcc_lo, 0, v73
	v_ashrrev_i32_e32 v184, 31, v184
	v_lshlrev_b32_e32 v183, 25, v69
	v_ashrrev_i32_e32 v70, 31, v70
	v_lshlrev_b32_e32 v73, 24, v69
	s_wait_alu 0xfffd
	v_xor_b32_e32 v68, vcc_lo, v68
	v_cmp_gt_i32_e32 vcc_lo, 0, v71
	v_not_b32_e32 v71, v72
	s_wait_alu 0xf1ff
	v_xor_b32_e32 v184, s15, v184
	v_cmp_gt_i32_e64 s15, 0, v72
	v_and_b32_e32 v68, exec_lo, v68
	v_not_b32_e32 v72, v74
	v_ashrrev_i32_e32 v71, 31, v71
	s_wait_alu 0xfffd
	v_xor_b32_e32 v70, vcc_lo, v70
	v_cmp_gt_i32_e32 vcc_lo, 0, v74
	v_and_b32_e32 v68, v68, v184
	v_not_b32_e32 v74, v75
	v_ashrrev_i32_e32 v72, 31, v72
	s_wait_alu 0xf1ff
	v_xor_b32_e32 v71, s15, v71
	v_cmp_gt_i32_e64 s15, 0, v75
	v_and_b32_e32 v68, v68, v70
	v_not_b32_e32 v70, v183
	v_ashrrev_i32_e32 v74, 31, v74
	s_wait_alu 0xfffd
	v_xor_b32_e32 v72, vcc_lo, v72
	v_cmp_gt_i32_e32 vcc_lo, 0, v183
	v_and_b32_e32 v68, v68, v71
	v_not_b32_e32 v71, v73
	v_ashrrev_i32_e32 v70, 31, v70
	s_wait_alu 0xf1ff
	v_xor_b32_e32 v74, s15, v74
	v_cmp_gt_i32_e64 s15, 0, v73
	v_and_b32_e32 v68, v68, v72
	v_ashrrev_i32_e32 v71, 31, v71
	s_wait_alu 0xfffd
	v_xor_b32_e32 v70, vcc_lo, v70
	v_mad_u32_u24 v72, v69, 36, v145
	v_mul_u32_u24_e32 v69, 36, v69
	v_and_b32_e32 v68, v68, v74
	s_wait_alu 0xf1ff
	v_xor_b32_e32 v71, s15, v71
	ds_load_b32 v183, v72 offset:1056
	v_add_nc_u32_e32 v185, v145, v69
	v_and_b32_e32 v68, v68, v70
	; wave barrier
	s_delay_alu instid0(VALU_DEP_1) | instskip(NEXT) | instid1(VALU_DEP_1)
	v_and_b32_e32 v68, v68, v71
	v_mbcnt_lo_u32_b32 v184, v68, 0
	v_cmp_ne_u32_e64 s15, 0, v68
	s_delay_alu instid0(VALU_DEP_2)
	v_cmp_eq_u32_e32 vcc_lo, 0, v184
	s_and_b32 s16, s15, vcc_lo
	s_wait_alu 0xfffe
	s_and_saveexec_b32 s15, s16
	s_cbranch_execz .LBB1153_151
; %bb.150:                              ;   in Loop: Header=BB1153_101 Depth=2
	s_wait_dscnt 0x0
	v_bcnt_u32_b32 v68, v68, v183
	ds_store_b32 v185, v68 offset:1056
.LBB1153_151:                           ;   in Loop: Header=BB1153_101 Depth=2
	s_wait_alu 0xfffe
	s_or_b32 exec_lo, exec_lo, s15
	v_cmp_gt_i64_e32 vcc_lo, 0, v[64:65]
	v_ashrrev_i32_e32 v68, 31, v65
	; wave barrier
	s_delay_alu instid0(VALU_DEP_1) | instskip(SKIP_2) | instid1(VALU_DEP_2)
	v_not_b32_e32 v68, v68
	s_wait_alu 0xfffd
	v_cndmask_b32_e64 v69, 0x7fffffff, 0, vcc_lo
	v_xor_b32_e32 v64, v68, v64
	s_delay_alu instid0(VALU_DEP_2) | instskip(NEXT) | instid1(VALU_DEP_1)
	v_xor_b32_e32 v65, v69, v65
	v_cmp_ne_u64_e32 vcc_lo, s[34:35], v[64:65]
	s_wait_alu 0xfffd
	v_cndmask_b32_e32 v69, 0x7fffffff, v65, vcc_lo
	v_cndmask_b32_e32 v68, -1, v64, vcc_lo
	s_delay_alu instid0(VALU_DEP_1) | instskip(NEXT) | instid1(VALU_DEP_1)
	v_lshrrev_b64 v[68:69], s48, v[68:69]
	v_and_b32_e32 v69, s57, v68
	s_delay_alu instid0(VALU_DEP_1)
	v_and_b32_e32 v68, 1, v69
	v_lshlrev_b32_e32 v70, 30, v69
	v_lshlrev_b32_e32 v71, 29, v69
	;; [unrolled: 1-line block ×4, first 2 shown]
	v_add_co_u32 v68, s15, v68, -1
	s_wait_alu 0xf1ff
	v_cndmask_b32_e64 v73, 0, 1, s15
	v_not_b32_e32 v187, v70
	v_cmp_gt_i32_e64 s15, 0, v70
	v_not_b32_e32 v70, v71
	v_lshlrev_b32_e32 v75, 26, v69
	v_cmp_ne_u32_e32 vcc_lo, 0, v73
	v_ashrrev_i32_e32 v187, 31, v187
	v_lshlrev_b32_e32 v186, 25, v69
	v_ashrrev_i32_e32 v70, 31, v70
	v_lshlrev_b32_e32 v73, 24, v69
	s_wait_alu 0xfffd
	v_xor_b32_e32 v68, vcc_lo, v68
	v_cmp_gt_i32_e32 vcc_lo, 0, v71
	v_not_b32_e32 v71, v72
	s_wait_alu 0xf1ff
	v_xor_b32_e32 v187, s15, v187
	v_cmp_gt_i32_e64 s15, 0, v72
	v_and_b32_e32 v68, exec_lo, v68
	v_not_b32_e32 v72, v74
	v_ashrrev_i32_e32 v71, 31, v71
	s_wait_alu 0xfffd
	v_xor_b32_e32 v70, vcc_lo, v70
	v_cmp_gt_i32_e32 vcc_lo, 0, v74
	v_and_b32_e32 v68, v68, v187
	v_not_b32_e32 v74, v75
	v_ashrrev_i32_e32 v72, 31, v72
	s_wait_alu 0xf1ff
	v_xor_b32_e32 v71, s15, v71
	v_cmp_gt_i32_e64 s15, 0, v75
	v_and_b32_e32 v68, v68, v70
	v_not_b32_e32 v70, v186
	v_ashrrev_i32_e32 v74, 31, v74
	s_wait_alu 0xfffd
	v_xor_b32_e32 v72, vcc_lo, v72
	v_cmp_gt_i32_e32 vcc_lo, 0, v186
	v_and_b32_e32 v68, v68, v71
	v_not_b32_e32 v71, v73
	v_ashrrev_i32_e32 v70, 31, v70
	s_wait_alu 0xf1ff
	v_xor_b32_e32 v74, s15, v74
	v_cmp_gt_i32_e64 s15, 0, v73
	v_and_b32_e32 v68, v68, v72
	v_ashrrev_i32_e32 v71, 31, v71
	s_wait_alu 0xfffd
	v_xor_b32_e32 v70, vcc_lo, v70
	v_mad_u32_u24 v72, v69, 36, v145
	v_mul_u32_u24_e32 v69, 36, v69
	v_and_b32_e32 v68, v68, v74
	s_wait_alu 0xf1ff
	v_xor_b32_e32 v71, s15, v71
	ds_load_b32 v186, v72 offset:1056
	v_add_nc_u32_e32 v188, v145, v69
	v_and_b32_e32 v68, v68, v70
	; wave barrier
	s_delay_alu instid0(VALU_DEP_1) | instskip(NEXT) | instid1(VALU_DEP_1)
	v_and_b32_e32 v68, v68, v71
	v_mbcnt_lo_u32_b32 v187, v68, 0
	v_cmp_ne_u32_e64 s15, 0, v68
	s_delay_alu instid0(VALU_DEP_2)
	v_cmp_eq_u32_e32 vcc_lo, 0, v187
	s_and_b32 s16, s15, vcc_lo
	s_wait_alu 0xfffe
	s_and_saveexec_b32 s15, s16
	s_cbranch_execz .LBB1153_153
; %bb.152:                              ;   in Loop: Header=BB1153_101 Depth=2
	s_wait_dscnt 0x0
	v_bcnt_u32_b32 v68, v68, v186
	ds_store_b32 v188, v68 offset:1056
.LBB1153_153:                           ;   in Loop: Header=BB1153_101 Depth=2
	s_wait_alu 0xfffe
	s_or_b32 exec_lo, exec_lo, s15
	v_cmp_gt_i64_e32 vcc_lo, 0, v[66:67]
	v_ashrrev_i32_e32 v68, 31, v67
	; wave barrier
	s_delay_alu instid0(VALU_DEP_1) | instskip(SKIP_2) | instid1(VALU_DEP_2)
	v_not_b32_e32 v68, v68
	s_wait_alu 0xfffd
	v_cndmask_b32_e64 v69, 0x7fffffff, 0, vcc_lo
	v_xor_b32_e32 v66, v68, v66
	s_delay_alu instid0(VALU_DEP_2) | instskip(NEXT) | instid1(VALU_DEP_1)
	v_xor_b32_e32 v67, v69, v67
	v_cmp_ne_u64_e32 vcc_lo, s[34:35], v[66:67]
	s_wait_alu 0xfffd
	v_cndmask_b32_e32 v69, 0x7fffffff, v67, vcc_lo
	v_cndmask_b32_e32 v68, -1, v66, vcc_lo
	s_delay_alu instid0(VALU_DEP_1) | instskip(NEXT) | instid1(VALU_DEP_1)
	v_lshrrev_b64 v[68:69], s48, v[68:69]
	v_and_b32_e32 v69, s57, v68
	s_delay_alu instid0(VALU_DEP_1)
	v_and_b32_e32 v68, 1, v69
	v_lshlrev_b32_e32 v70, 30, v69
	v_lshlrev_b32_e32 v71, 29, v69
	;; [unrolled: 1-line block ×4, first 2 shown]
	v_add_co_u32 v68, s15, v68, -1
	s_wait_alu 0xf1ff
	v_cndmask_b32_e64 v73, 0, 1, s15
	v_not_b32_e32 v190, v70
	v_cmp_gt_i32_e64 s15, 0, v70
	v_not_b32_e32 v70, v71
	v_lshlrev_b32_e32 v75, 26, v69
	v_cmp_ne_u32_e32 vcc_lo, 0, v73
	v_ashrrev_i32_e32 v190, 31, v190
	v_lshlrev_b32_e32 v189, 25, v69
	v_ashrrev_i32_e32 v70, 31, v70
	v_lshlrev_b32_e32 v73, 24, v69
	s_wait_alu 0xfffd
	v_xor_b32_e32 v68, vcc_lo, v68
	v_cmp_gt_i32_e32 vcc_lo, 0, v71
	v_not_b32_e32 v71, v72
	s_wait_alu 0xf1ff
	v_xor_b32_e32 v190, s15, v190
	v_cmp_gt_i32_e64 s15, 0, v72
	v_and_b32_e32 v68, exec_lo, v68
	v_not_b32_e32 v72, v74
	v_ashrrev_i32_e32 v71, 31, v71
	s_wait_alu 0xfffd
	v_xor_b32_e32 v70, vcc_lo, v70
	v_cmp_gt_i32_e32 vcc_lo, 0, v74
	v_and_b32_e32 v68, v68, v190
	v_not_b32_e32 v74, v75
	v_ashrrev_i32_e32 v72, 31, v72
	s_wait_alu 0xf1ff
	v_xor_b32_e32 v71, s15, v71
	v_cmp_gt_i32_e64 s15, 0, v75
	v_and_b32_e32 v68, v68, v70
	v_not_b32_e32 v70, v189
	v_ashrrev_i32_e32 v74, 31, v74
	s_wait_alu 0xfffd
	v_xor_b32_e32 v72, vcc_lo, v72
	v_cmp_gt_i32_e32 vcc_lo, 0, v189
	v_and_b32_e32 v68, v68, v71
	v_not_b32_e32 v71, v73
	v_ashrrev_i32_e32 v70, 31, v70
	s_wait_alu 0xf1ff
	v_xor_b32_e32 v74, s15, v74
	v_cmp_gt_i32_e64 s15, 0, v73
	v_and_b32_e32 v68, v68, v72
	v_ashrrev_i32_e32 v71, 31, v71
	s_wait_alu 0xfffd
	v_xor_b32_e32 v70, vcc_lo, v70
	v_mad_u32_u24 v72, v69, 36, v145
	v_mul_u32_u24_e32 v69, 36, v69
	v_and_b32_e32 v68, v68, v74
	s_wait_alu 0xf1ff
	v_xor_b32_e32 v71, s15, v71
	ds_load_b32 v189, v72 offset:1056
	v_add_nc_u32_e32 v191, v145, v69
	v_and_b32_e32 v68, v68, v70
	; wave barrier
	s_delay_alu instid0(VALU_DEP_1) | instskip(NEXT) | instid1(VALU_DEP_1)
	v_and_b32_e32 v68, v68, v71
	v_mbcnt_lo_u32_b32 v190, v68, 0
	v_cmp_ne_u32_e64 s15, 0, v68
	s_delay_alu instid0(VALU_DEP_2)
	v_cmp_eq_u32_e32 vcc_lo, 0, v190
	s_and_b32 s16, s15, vcc_lo
	s_wait_alu 0xfffe
	s_and_saveexec_b32 s15, s16
	s_cbranch_execz .LBB1153_155
; %bb.154:                              ;   in Loop: Header=BB1153_101 Depth=2
	s_wait_dscnt 0x0
	v_bcnt_u32_b32 v68, v68, v189
	ds_store_b32 v191, v68 offset:1056
.LBB1153_155:                           ;   in Loop: Header=BB1153_101 Depth=2
	s_wait_alu 0xfffe
	s_or_b32 exec_lo, exec_lo, s15
	v_cmp_gt_i64_e32 vcc_lo, 0, v[62:63]
	v_ashrrev_i32_e32 v68, 31, v63
	; wave barrier
	s_delay_alu instid0(VALU_DEP_1) | instskip(SKIP_2) | instid1(VALU_DEP_2)
	v_not_b32_e32 v68, v68
	s_wait_alu 0xfffd
	v_cndmask_b32_e64 v69, 0x7fffffff, 0, vcc_lo
	v_xor_b32_e32 v62, v68, v62
	s_delay_alu instid0(VALU_DEP_2) | instskip(NEXT) | instid1(VALU_DEP_1)
	v_xor_b32_e32 v63, v69, v63
	v_cmp_ne_u64_e32 vcc_lo, s[34:35], v[62:63]
	s_wait_alu 0xfffd
	v_cndmask_b32_e32 v69, 0x7fffffff, v63, vcc_lo
	v_cndmask_b32_e32 v68, -1, v62, vcc_lo
	s_delay_alu instid0(VALU_DEP_1) | instskip(NEXT) | instid1(VALU_DEP_1)
	v_lshrrev_b64 v[68:69], s48, v[68:69]
	v_and_b32_e32 v69, s57, v68
	s_delay_alu instid0(VALU_DEP_1)
	v_and_b32_e32 v68, 1, v69
	v_lshlrev_b32_e32 v70, 30, v69
	v_lshlrev_b32_e32 v71, 29, v69
	v_lshlrev_b32_e32 v72, 28, v69
	v_lshlrev_b32_e32 v74, 27, v69
	v_add_co_u32 v68, s15, v68, -1
	s_wait_alu 0xf1ff
	v_cndmask_b32_e64 v73, 0, 1, s15
	v_not_b32_e32 v193, v70
	v_cmp_gt_i32_e64 s15, 0, v70
	v_not_b32_e32 v70, v71
	v_lshlrev_b32_e32 v75, 26, v69
	v_cmp_ne_u32_e32 vcc_lo, 0, v73
	v_ashrrev_i32_e32 v193, 31, v193
	v_lshlrev_b32_e32 v192, 25, v69
	v_ashrrev_i32_e32 v70, 31, v70
	v_lshlrev_b32_e32 v73, 24, v69
	s_wait_alu 0xfffd
	v_xor_b32_e32 v68, vcc_lo, v68
	v_cmp_gt_i32_e32 vcc_lo, 0, v71
	v_not_b32_e32 v71, v72
	s_wait_alu 0xf1ff
	v_xor_b32_e32 v193, s15, v193
	v_cmp_gt_i32_e64 s15, 0, v72
	v_and_b32_e32 v68, exec_lo, v68
	v_not_b32_e32 v72, v74
	v_ashrrev_i32_e32 v71, 31, v71
	s_wait_alu 0xfffd
	v_xor_b32_e32 v70, vcc_lo, v70
	v_cmp_gt_i32_e32 vcc_lo, 0, v74
	v_and_b32_e32 v68, v68, v193
	v_not_b32_e32 v74, v75
	v_ashrrev_i32_e32 v72, 31, v72
	s_wait_alu 0xf1ff
	v_xor_b32_e32 v71, s15, v71
	v_cmp_gt_i32_e64 s15, 0, v75
	v_and_b32_e32 v68, v68, v70
	v_not_b32_e32 v70, v192
	v_ashrrev_i32_e32 v74, 31, v74
	s_wait_alu 0xfffd
	v_xor_b32_e32 v72, vcc_lo, v72
	v_cmp_gt_i32_e32 vcc_lo, 0, v192
	v_and_b32_e32 v68, v68, v71
	v_not_b32_e32 v71, v73
	v_ashrrev_i32_e32 v70, 31, v70
	s_wait_alu 0xf1ff
	v_xor_b32_e32 v74, s15, v74
	v_cmp_gt_i32_e64 s15, 0, v73
	v_and_b32_e32 v68, v68, v72
	v_ashrrev_i32_e32 v71, 31, v71
	s_wait_alu 0xfffd
	v_xor_b32_e32 v70, vcc_lo, v70
	v_mad_u32_u24 v72, v69, 36, v145
	v_mul_u32_u24_e32 v69, 36, v69
	v_and_b32_e32 v68, v68, v74
	s_wait_alu 0xf1ff
	v_xor_b32_e32 v71, s15, v71
	ds_load_b32 v192, v72 offset:1056
	v_add_nc_u32_e32 v194, v145, v69
	v_and_b32_e32 v68, v68, v70
	; wave barrier
	s_delay_alu instid0(VALU_DEP_1) | instskip(NEXT) | instid1(VALU_DEP_1)
	v_and_b32_e32 v68, v68, v71
	v_mbcnt_lo_u32_b32 v193, v68, 0
	v_cmp_ne_u32_e64 s15, 0, v68
	s_delay_alu instid0(VALU_DEP_2)
	v_cmp_eq_u32_e32 vcc_lo, 0, v193
	s_and_b32 s16, s15, vcc_lo
	s_wait_alu 0xfffe
	s_and_saveexec_b32 s15, s16
	s_cbranch_execz .LBB1153_157
; %bb.156:                              ;   in Loop: Header=BB1153_101 Depth=2
	s_wait_dscnt 0x0
	v_bcnt_u32_b32 v68, v68, v192
	ds_store_b32 v194, v68 offset:1056
.LBB1153_157:                           ;   in Loop: Header=BB1153_101 Depth=2
	s_wait_alu 0xfffe
	s_or_b32 exec_lo, exec_lo, s15
	v_cmp_gt_i64_e32 vcc_lo, 0, v[58:59]
	v_ashrrev_i32_e32 v68, 31, v59
	; wave barrier
	s_delay_alu instid0(VALU_DEP_1) | instskip(SKIP_2) | instid1(VALU_DEP_2)
	v_not_b32_e32 v68, v68
	s_wait_alu 0xfffd
	v_cndmask_b32_e64 v69, 0x7fffffff, 0, vcc_lo
	v_xor_b32_e32 v58, v68, v58
	s_delay_alu instid0(VALU_DEP_2) | instskip(NEXT) | instid1(VALU_DEP_1)
	v_xor_b32_e32 v59, v69, v59
	v_cmp_ne_u64_e32 vcc_lo, s[34:35], v[58:59]
	s_wait_alu 0xfffd
	v_cndmask_b32_e32 v69, 0x7fffffff, v59, vcc_lo
	v_cndmask_b32_e32 v68, -1, v58, vcc_lo
	s_delay_alu instid0(VALU_DEP_1) | instskip(NEXT) | instid1(VALU_DEP_1)
	v_lshrrev_b64 v[68:69], s48, v[68:69]
	v_and_b32_e32 v69, s57, v68
	s_delay_alu instid0(VALU_DEP_1)
	v_and_b32_e32 v68, 1, v69
	v_lshlrev_b32_e32 v70, 30, v69
	v_lshlrev_b32_e32 v71, 29, v69
	;; [unrolled: 1-line block ×4, first 2 shown]
	v_add_co_u32 v68, s15, v68, -1
	s_wait_alu 0xf1ff
	v_cndmask_b32_e64 v73, 0, 1, s15
	v_not_b32_e32 v196, v70
	v_cmp_gt_i32_e64 s15, 0, v70
	v_not_b32_e32 v70, v71
	v_lshlrev_b32_e32 v75, 26, v69
	v_cmp_ne_u32_e32 vcc_lo, 0, v73
	v_ashrrev_i32_e32 v196, 31, v196
	v_lshlrev_b32_e32 v195, 25, v69
	v_ashrrev_i32_e32 v70, 31, v70
	v_lshlrev_b32_e32 v73, 24, v69
	s_wait_alu 0xfffd
	v_xor_b32_e32 v68, vcc_lo, v68
	v_cmp_gt_i32_e32 vcc_lo, 0, v71
	v_not_b32_e32 v71, v72
	s_wait_alu 0xf1ff
	v_xor_b32_e32 v196, s15, v196
	v_cmp_gt_i32_e64 s15, 0, v72
	v_and_b32_e32 v68, exec_lo, v68
	v_not_b32_e32 v72, v74
	v_ashrrev_i32_e32 v71, 31, v71
	s_wait_alu 0xfffd
	v_xor_b32_e32 v70, vcc_lo, v70
	v_cmp_gt_i32_e32 vcc_lo, 0, v74
	v_and_b32_e32 v68, v68, v196
	v_not_b32_e32 v74, v75
	v_ashrrev_i32_e32 v72, 31, v72
	s_wait_alu 0xf1ff
	v_xor_b32_e32 v71, s15, v71
	v_cmp_gt_i32_e64 s15, 0, v75
	v_and_b32_e32 v68, v68, v70
	v_not_b32_e32 v70, v195
	v_ashrrev_i32_e32 v74, 31, v74
	s_wait_alu 0xfffd
	v_xor_b32_e32 v72, vcc_lo, v72
	v_cmp_gt_i32_e32 vcc_lo, 0, v195
	v_and_b32_e32 v68, v68, v71
	v_not_b32_e32 v71, v73
	v_ashrrev_i32_e32 v70, 31, v70
	s_wait_alu 0xf1ff
	v_xor_b32_e32 v74, s15, v74
	v_cmp_gt_i32_e64 s15, 0, v73
	v_and_b32_e32 v68, v68, v72
	v_ashrrev_i32_e32 v71, 31, v71
	s_wait_alu 0xfffd
	v_xor_b32_e32 v70, vcc_lo, v70
	v_mad_u32_u24 v72, v69, 36, v145
	v_mul_u32_u24_e32 v69, 36, v69
	v_and_b32_e32 v68, v68, v74
	s_wait_alu 0xf1ff
	v_xor_b32_e32 v71, s15, v71
	ds_load_b32 v195, v72 offset:1056
	v_add_nc_u32_e32 v197, v145, v69
	v_and_b32_e32 v68, v68, v70
	; wave barrier
	s_delay_alu instid0(VALU_DEP_1) | instskip(NEXT) | instid1(VALU_DEP_1)
	v_and_b32_e32 v68, v68, v71
	v_mbcnt_lo_u32_b32 v196, v68, 0
	v_cmp_ne_u32_e64 s15, 0, v68
	s_delay_alu instid0(VALU_DEP_2)
	v_cmp_eq_u32_e32 vcc_lo, 0, v196
	s_and_b32 s16, s15, vcc_lo
	s_wait_alu 0xfffe
	s_and_saveexec_b32 s15, s16
	s_cbranch_execz .LBB1153_159
; %bb.158:                              ;   in Loop: Header=BB1153_101 Depth=2
	s_wait_dscnt 0x0
	v_bcnt_u32_b32 v68, v68, v195
	ds_store_b32 v197, v68 offset:1056
.LBB1153_159:                           ;   in Loop: Header=BB1153_101 Depth=2
	s_wait_alu 0xfffe
	s_or_b32 exec_lo, exec_lo, s15
	v_cmp_gt_i64_e32 vcc_lo, 0, v[54:55]
	v_ashrrev_i32_e32 v68, 31, v55
	; wave barrier
	s_delay_alu instid0(VALU_DEP_1) | instskip(SKIP_2) | instid1(VALU_DEP_2)
	v_not_b32_e32 v68, v68
	s_wait_alu 0xfffd
	v_cndmask_b32_e64 v69, 0x7fffffff, 0, vcc_lo
	v_xor_b32_e32 v54, v68, v54
	s_delay_alu instid0(VALU_DEP_2) | instskip(NEXT) | instid1(VALU_DEP_1)
	v_xor_b32_e32 v55, v69, v55
	v_cmp_ne_u64_e32 vcc_lo, s[34:35], v[54:55]
	s_wait_alu 0xfffd
	v_cndmask_b32_e32 v69, 0x7fffffff, v55, vcc_lo
	v_cndmask_b32_e32 v68, -1, v54, vcc_lo
	s_delay_alu instid0(VALU_DEP_1) | instskip(NEXT) | instid1(VALU_DEP_1)
	v_lshrrev_b64 v[68:69], s48, v[68:69]
	v_and_b32_e32 v69, s57, v68
	s_delay_alu instid0(VALU_DEP_1)
	v_and_b32_e32 v68, 1, v69
	v_lshlrev_b32_e32 v70, 30, v69
	v_lshlrev_b32_e32 v71, 29, v69
	;; [unrolled: 1-line block ×4, first 2 shown]
	v_add_co_u32 v68, s15, v68, -1
	s_wait_alu 0xf1ff
	v_cndmask_b32_e64 v73, 0, 1, s15
	v_not_b32_e32 v199, v70
	v_cmp_gt_i32_e64 s15, 0, v70
	v_not_b32_e32 v70, v71
	v_lshlrev_b32_e32 v75, 26, v69
	v_cmp_ne_u32_e32 vcc_lo, 0, v73
	v_ashrrev_i32_e32 v199, 31, v199
	v_lshlrev_b32_e32 v198, 25, v69
	v_ashrrev_i32_e32 v70, 31, v70
	v_lshlrev_b32_e32 v73, 24, v69
	s_wait_alu 0xfffd
	v_xor_b32_e32 v68, vcc_lo, v68
	v_cmp_gt_i32_e32 vcc_lo, 0, v71
	v_not_b32_e32 v71, v72
	s_wait_alu 0xf1ff
	v_xor_b32_e32 v199, s15, v199
	v_cmp_gt_i32_e64 s15, 0, v72
	v_and_b32_e32 v68, exec_lo, v68
	v_not_b32_e32 v72, v74
	v_ashrrev_i32_e32 v71, 31, v71
	s_wait_alu 0xfffd
	v_xor_b32_e32 v70, vcc_lo, v70
	v_cmp_gt_i32_e32 vcc_lo, 0, v74
	v_and_b32_e32 v68, v68, v199
	v_not_b32_e32 v74, v75
	v_ashrrev_i32_e32 v72, 31, v72
	s_wait_alu 0xf1ff
	v_xor_b32_e32 v71, s15, v71
	v_cmp_gt_i32_e64 s15, 0, v75
	v_and_b32_e32 v68, v68, v70
	v_not_b32_e32 v70, v198
	v_ashrrev_i32_e32 v74, 31, v74
	s_wait_alu 0xfffd
	v_xor_b32_e32 v72, vcc_lo, v72
	v_cmp_gt_i32_e32 vcc_lo, 0, v198
	v_and_b32_e32 v68, v68, v71
	v_not_b32_e32 v71, v73
	v_ashrrev_i32_e32 v70, 31, v70
	s_wait_alu 0xf1ff
	v_xor_b32_e32 v74, s15, v74
	v_cmp_gt_i32_e64 s15, 0, v73
	v_and_b32_e32 v68, v68, v72
	v_ashrrev_i32_e32 v71, 31, v71
	s_wait_alu 0xfffd
	v_xor_b32_e32 v70, vcc_lo, v70
	v_mad_u32_u24 v72, v69, 36, v145
	v_mul_u32_u24_e32 v69, 36, v69
	v_and_b32_e32 v68, v68, v74
	s_wait_alu 0xf1ff
	v_xor_b32_e32 v71, s15, v71
	ds_load_b32 v198, v72 offset:1056
	v_add_nc_u32_e32 v200, v145, v69
	v_and_b32_e32 v68, v68, v70
	; wave barrier
	s_delay_alu instid0(VALU_DEP_1) | instskip(NEXT) | instid1(VALU_DEP_1)
	v_and_b32_e32 v68, v68, v71
	v_mbcnt_lo_u32_b32 v199, v68, 0
	v_cmp_ne_u32_e64 s15, 0, v68
	s_delay_alu instid0(VALU_DEP_2)
	v_cmp_eq_u32_e32 vcc_lo, 0, v199
	s_and_b32 s16, s15, vcc_lo
	s_wait_alu 0xfffe
	s_and_saveexec_b32 s15, s16
	s_cbranch_execz .LBB1153_161
; %bb.160:                              ;   in Loop: Header=BB1153_101 Depth=2
	s_wait_dscnt 0x0
	v_bcnt_u32_b32 v68, v68, v198
	ds_store_b32 v200, v68 offset:1056
.LBB1153_161:                           ;   in Loop: Header=BB1153_101 Depth=2
	s_wait_alu 0xfffe
	s_or_b32 exec_lo, exec_lo, s15
	v_cmp_gt_i64_e32 vcc_lo, 0, v[50:51]
	v_ashrrev_i32_e32 v68, 31, v51
	; wave barrier
	s_delay_alu instid0(VALU_DEP_1) | instskip(SKIP_2) | instid1(VALU_DEP_2)
	v_not_b32_e32 v68, v68
	s_wait_alu 0xfffd
	v_cndmask_b32_e64 v69, 0x7fffffff, 0, vcc_lo
	v_xor_b32_e32 v50, v68, v50
	s_delay_alu instid0(VALU_DEP_2) | instskip(NEXT) | instid1(VALU_DEP_1)
	v_xor_b32_e32 v51, v69, v51
	v_cmp_ne_u64_e32 vcc_lo, s[34:35], v[50:51]
	s_wait_alu 0xfffd
	v_cndmask_b32_e32 v69, 0x7fffffff, v51, vcc_lo
	v_cndmask_b32_e32 v68, -1, v50, vcc_lo
	s_delay_alu instid0(VALU_DEP_1) | instskip(NEXT) | instid1(VALU_DEP_1)
	v_lshrrev_b64 v[68:69], s48, v[68:69]
	v_and_b32_e32 v69, s57, v68
	s_delay_alu instid0(VALU_DEP_1)
	v_and_b32_e32 v68, 1, v69
	v_lshlrev_b32_e32 v70, 30, v69
	v_lshlrev_b32_e32 v71, 29, v69
	v_lshlrev_b32_e32 v72, 28, v69
	v_lshlrev_b32_e32 v74, 27, v69
	v_add_co_u32 v68, s15, v68, -1
	s_wait_alu 0xf1ff
	v_cndmask_b32_e64 v73, 0, 1, s15
	v_not_b32_e32 v202, v70
	v_cmp_gt_i32_e64 s15, 0, v70
	v_not_b32_e32 v70, v71
	v_lshlrev_b32_e32 v75, 26, v69
	v_cmp_ne_u32_e32 vcc_lo, 0, v73
	v_ashrrev_i32_e32 v202, 31, v202
	v_lshlrev_b32_e32 v201, 25, v69
	v_ashrrev_i32_e32 v70, 31, v70
	v_lshlrev_b32_e32 v73, 24, v69
	s_wait_alu 0xfffd
	v_xor_b32_e32 v68, vcc_lo, v68
	v_cmp_gt_i32_e32 vcc_lo, 0, v71
	v_not_b32_e32 v71, v72
	s_wait_alu 0xf1ff
	v_xor_b32_e32 v202, s15, v202
	v_cmp_gt_i32_e64 s15, 0, v72
	v_and_b32_e32 v68, exec_lo, v68
	v_not_b32_e32 v72, v74
	v_ashrrev_i32_e32 v71, 31, v71
	s_wait_alu 0xfffd
	v_xor_b32_e32 v70, vcc_lo, v70
	v_cmp_gt_i32_e32 vcc_lo, 0, v74
	v_and_b32_e32 v68, v68, v202
	v_not_b32_e32 v74, v75
	v_ashrrev_i32_e32 v72, 31, v72
	s_wait_alu 0xf1ff
	v_xor_b32_e32 v71, s15, v71
	v_cmp_gt_i32_e64 s15, 0, v75
	v_and_b32_e32 v68, v68, v70
	v_not_b32_e32 v70, v201
	v_ashrrev_i32_e32 v74, 31, v74
	s_wait_alu 0xfffd
	v_xor_b32_e32 v72, vcc_lo, v72
	v_cmp_gt_i32_e32 vcc_lo, 0, v201
	v_and_b32_e32 v68, v68, v71
	v_not_b32_e32 v71, v73
	v_ashrrev_i32_e32 v70, 31, v70
	s_wait_alu 0xf1ff
	v_xor_b32_e32 v74, s15, v74
	v_cmp_gt_i32_e64 s15, 0, v73
	v_and_b32_e32 v68, v68, v72
	v_ashrrev_i32_e32 v71, 31, v71
	s_wait_alu 0xfffd
	v_xor_b32_e32 v70, vcc_lo, v70
	v_mad_u32_u24 v72, v69, 36, v145
	v_mul_u32_u24_e32 v69, 36, v69
	v_and_b32_e32 v68, v68, v74
	s_wait_alu 0xf1ff
	v_xor_b32_e32 v71, s15, v71
	ds_load_b32 v201, v72 offset:1056
	v_add_nc_u32_e32 v203, v145, v69
	v_and_b32_e32 v68, v68, v70
	; wave barrier
	s_delay_alu instid0(VALU_DEP_1) | instskip(NEXT) | instid1(VALU_DEP_1)
	v_and_b32_e32 v68, v68, v71
	v_mbcnt_lo_u32_b32 v202, v68, 0
	v_cmp_ne_u32_e64 s15, 0, v68
	s_delay_alu instid0(VALU_DEP_2)
	v_cmp_eq_u32_e32 vcc_lo, 0, v202
	s_and_b32 s16, s15, vcc_lo
	s_wait_alu 0xfffe
	s_and_saveexec_b32 s15, s16
	s_cbranch_execz .LBB1153_163
; %bb.162:                              ;   in Loop: Header=BB1153_101 Depth=2
	s_wait_dscnt 0x0
	v_bcnt_u32_b32 v68, v68, v201
	ds_store_b32 v203, v68 offset:1056
.LBB1153_163:                           ;   in Loop: Header=BB1153_101 Depth=2
	s_wait_alu 0xfffe
	s_or_b32 exec_lo, exec_lo, s15
	v_cmp_gt_i64_e32 vcc_lo, 0, v[46:47]
	v_ashrrev_i32_e32 v68, 31, v47
	; wave barrier
	s_delay_alu instid0(VALU_DEP_1) | instskip(SKIP_2) | instid1(VALU_DEP_2)
	v_not_b32_e32 v68, v68
	s_wait_alu 0xfffd
	v_cndmask_b32_e64 v69, 0x7fffffff, 0, vcc_lo
	v_xor_b32_e32 v46, v68, v46
	s_delay_alu instid0(VALU_DEP_2) | instskip(NEXT) | instid1(VALU_DEP_1)
	v_xor_b32_e32 v47, v69, v47
	v_cmp_ne_u64_e32 vcc_lo, s[34:35], v[46:47]
	s_wait_alu 0xfffd
	v_cndmask_b32_e32 v69, 0x7fffffff, v47, vcc_lo
	v_cndmask_b32_e32 v68, -1, v46, vcc_lo
	s_delay_alu instid0(VALU_DEP_1) | instskip(NEXT) | instid1(VALU_DEP_1)
	v_lshrrev_b64 v[68:69], s48, v[68:69]
	v_and_b32_e32 v69, s57, v68
	s_delay_alu instid0(VALU_DEP_1)
	v_and_b32_e32 v68, 1, v69
	v_lshlrev_b32_e32 v70, 30, v69
	v_lshlrev_b32_e32 v71, 29, v69
	;; [unrolled: 1-line block ×4, first 2 shown]
	v_add_co_u32 v68, s15, v68, -1
	s_wait_alu 0xf1ff
	v_cndmask_b32_e64 v73, 0, 1, s15
	v_not_b32_e32 v205, v70
	v_cmp_gt_i32_e64 s15, 0, v70
	v_not_b32_e32 v70, v71
	v_lshlrev_b32_e32 v75, 26, v69
	v_cmp_ne_u32_e32 vcc_lo, 0, v73
	v_ashrrev_i32_e32 v205, 31, v205
	v_lshlrev_b32_e32 v204, 25, v69
	v_ashrrev_i32_e32 v70, 31, v70
	v_lshlrev_b32_e32 v73, 24, v69
	s_wait_alu 0xfffd
	v_xor_b32_e32 v68, vcc_lo, v68
	v_cmp_gt_i32_e32 vcc_lo, 0, v71
	v_not_b32_e32 v71, v72
	s_wait_alu 0xf1ff
	v_xor_b32_e32 v205, s15, v205
	v_cmp_gt_i32_e64 s15, 0, v72
	v_and_b32_e32 v68, exec_lo, v68
	v_not_b32_e32 v72, v74
	v_ashrrev_i32_e32 v71, 31, v71
	s_wait_alu 0xfffd
	v_xor_b32_e32 v70, vcc_lo, v70
	v_cmp_gt_i32_e32 vcc_lo, 0, v74
	v_and_b32_e32 v68, v68, v205
	v_not_b32_e32 v74, v75
	v_ashrrev_i32_e32 v72, 31, v72
	s_wait_alu 0xf1ff
	v_xor_b32_e32 v71, s15, v71
	v_cmp_gt_i32_e64 s15, 0, v75
	v_and_b32_e32 v68, v68, v70
	v_not_b32_e32 v70, v204
	v_ashrrev_i32_e32 v74, 31, v74
	s_wait_alu 0xfffd
	v_xor_b32_e32 v72, vcc_lo, v72
	v_cmp_gt_i32_e32 vcc_lo, 0, v204
	v_and_b32_e32 v68, v68, v71
	v_not_b32_e32 v71, v73
	v_ashrrev_i32_e32 v70, 31, v70
	s_wait_alu 0xf1ff
	v_xor_b32_e32 v74, s15, v74
	v_cmp_gt_i32_e64 s15, 0, v73
	v_and_b32_e32 v68, v68, v72
	v_ashrrev_i32_e32 v71, 31, v71
	s_wait_alu 0xfffd
	v_xor_b32_e32 v70, vcc_lo, v70
	v_mad_u32_u24 v72, v69, 36, v145
	v_mul_u32_u24_e32 v69, 36, v69
	v_and_b32_e32 v68, v68, v74
	s_wait_alu 0xf1ff
	v_xor_b32_e32 v71, s15, v71
	ds_load_b32 v204, v72 offset:1056
	v_add_nc_u32_e32 v206, v145, v69
	v_and_b32_e32 v68, v68, v70
	; wave barrier
	s_delay_alu instid0(VALU_DEP_1) | instskip(NEXT) | instid1(VALU_DEP_1)
	v_and_b32_e32 v68, v68, v71
	v_mbcnt_lo_u32_b32 v205, v68, 0
	v_cmp_ne_u32_e64 s15, 0, v68
	s_delay_alu instid0(VALU_DEP_2)
	v_cmp_eq_u32_e32 vcc_lo, 0, v205
	s_and_b32 s16, s15, vcc_lo
	s_wait_alu 0xfffe
	s_and_saveexec_b32 s15, s16
	s_cbranch_execz .LBB1153_165
; %bb.164:                              ;   in Loop: Header=BB1153_101 Depth=2
	s_wait_dscnt 0x0
	v_bcnt_u32_b32 v68, v68, v204
	ds_store_b32 v206, v68 offset:1056
.LBB1153_165:                           ;   in Loop: Header=BB1153_101 Depth=2
	s_wait_alu 0xfffe
	s_or_b32 exec_lo, exec_lo, s15
	v_cmp_gt_i64_e32 vcc_lo, 0, v[44:45]
	v_ashrrev_i32_e32 v68, 31, v45
	; wave barrier
	s_delay_alu instid0(VALU_DEP_1) | instskip(SKIP_2) | instid1(VALU_DEP_2)
	v_not_b32_e32 v68, v68
	s_wait_alu 0xfffd
	v_cndmask_b32_e64 v69, 0x7fffffff, 0, vcc_lo
	v_xor_b32_e32 v44, v68, v44
	s_delay_alu instid0(VALU_DEP_2) | instskip(NEXT) | instid1(VALU_DEP_1)
	v_xor_b32_e32 v45, v69, v45
	v_cmp_ne_u64_e32 vcc_lo, s[34:35], v[44:45]
	s_wait_alu 0xfffd
	v_cndmask_b32_e32 v69, 0x7fffffff, v45, vcc_lo
	v_cndmask_b32_e32 v68, -1, v44, vcc_lo
	s_delay_alu instid0(VALU_DEP_1) | instskip(NEXT) | instid1(VALU_DEP_1)
	v_lshrrev_b64 v[68:69], s48, v[68:69]
	v_and_b32_e32 v69, s57, v68
	s_delay_alu instid0(VALU_DEP_1)
	v_and_b32_e32 v68, 1, v69
	v_lshlrev_b32_e32 v70, 30, v69
	v_lshlrev_b32_e32 v71, 29, v69
	;; [unrolled: 1-line block ×4, first 2 shown]
	v_add_co_u32 v68, s15, v68, -1
	s_wait_alu 0xf1ff
	v_cndmask_b32_e64 v73, 0, 1, s15
	v_not_b32_e32 v208, v70
	v_cmp_gt_i32_e64 s15, 0, v70
	v_not_b32_e32 v70, v71
	v_lshlrev_b32_e32 v75, 26, v69
	v_cmp_ne_u32_e32 vcc_lo, 0, v73
	v_ashrrev_i32_e32 v208, 31, v208
	v_lshlrev_b32_e32 v207, 25, v69
	v_ashrrev_i32_e32 v70, 31, v70
	v_lshlrev_b32_e32 v73, 24, v69
	s_wait_alu 0xfffd
	v_xor_b32_e32 v68, vcc_lo, v68
	v_cmp_gt_i32_e32 vcc_lo, 0, v71
	v_not_b32_e32 v71, v72
	s_wait_alu 0xf1ff
	v_xor_b32_e32 v208, s15, v208
	v_cmp_gt_i32_e64 s15, 0, v72
	v_and_b32_e32 v68, exec_lo, v68
	v_not_b32_e32 v72, v74
	v_ashrrev_i32_e32 v71, 31, v71
	s_wait_alu 0xfffd
	v_xor_b32_e32 v70, vcc_lo, v70
	v_cmp_gt_i32_e32 vcc_lo, 0, v74
	v_and_b32_e32 v68, v68, v208
	v_not_b32_e32 v74, v75
	v_ashrrev_i32_e32 v72, 31, v72
	s_wait_alu 0xf1ff
	v_xor_b32_e32 v71, s15, v71
	v_cmp_gt_i32_e64 s15, 0, v75
	v_and_b32_e32 v68, v68, v70
	v_not_b32_e32 v70, v207
	v_ashrrev_i32_e32 v74, 31, v74
	s_wait_alu 0xfffd
	v_xor_b32_e32 v72, vcc_lo, v72
	v_cmp_gt_i32_e32 vcc_lo, 0, v207
	v_and_b32_e32 v68, v68, v71
	v_not_b32_e32 v71, v73
	v_ashrrev_i32_e32 v70, 31, v70
	s_wait_alu 0xf1ff
	v_xor_b32_e32 v74, s15, v74
	v_cmp_gt_i32_e64 s15, 0, v73
	v_and_b32_e32 v68, v68, v72
	v_ashrrev_i32_e32 v71, 31, v71
	s_wait_alu 0xfffd
	v_xor_b32_e32 v70, vcc_lo, v70
	v_mad_u32_u24 v72, v69, 36, v145
	v_mul_u32_u24_e32 v69, 36, v69
	v_and_b32_e32 v68, v68, v74
	s_wait_alu 0xf1ff
	v_xor_b32_e32 v71, s15, v71
	ds_load_b32 v207, v72 offset:1056
	v_add_nc_u32_e32 v209, v145, v69
	v_and_b32_e32 v68, v68, v70
	; wave barrier
	s_delay_alu instid0(VALU_DEP_1) | instskip(NEXT) | instid1(VALU_DEP_1)
	v_and_b32_e32 v68, v68, v71
	v_mbcnt_lo_u32_b32 v208, v68, 0
	v_cmp_ne_u32_e64 s15, 0, v68
	s_delay_alu instid0(VALU_DEP_2)
	v_cmp_eq_u32_e32 vcc_lo, 0, v208
	s_and_b32 s16, s15, vcc_lo
	s_wait_alu 0xfffe
	s_and_saveexec_b32 s15, s16
	s_cbranch_execz .LBB1153_167
; %bb.166:                              ;   in Loop: Header=BB1153_101 Depth=2
	s_wait_dscnt 0x0
	v_bcnt_u32_b32 v68, v68, v207
	ds_store_b32 v209, v68 offset:1056
.LBB1153_167:                           ;   in Loop: Header=BB1153_101 Depth=2
	s_wait_alu 0xfffe
	s_or_b32 exec_lo, exec_lo, s15
	v_cmp_gt_i64_e32 vcc_lo, 0, v[42:43]
	v_ashrrev_i32_e32 v68, 31, v43
	; wave barrier
	s_delay_alu instid0(VALU_DEP_1) | instskip(SKIP_2) | instid1(VALU_DEP_2)
	v_not_b32_e32 v68, v68
	s_wait_alu 0xfffd
	v_cndmask_b32_e64 v69, 0x7fffffff, 0, vcc_lo
	v_xor_b32_e32 v42, v68, v42
	s_delay_alu instid0(VALU_DEP_2) | instskip(NEXT) | instid1(VALU_DEP_1)
	v_xor_b32_e32 v43, v69, v43
	v_cmp_ne_u64_e32 vcc_lo, s[34:35], v[42:43]
	s_wait_alu 0xfffd
	v_cndmask_b32_e32 v69, 0x7fffffff, v43, vcc_lo
	v_cndmask_b32_e32 v68, -1, v42, vcc_lo
	s_delay_alu instid0(VALU_DEP_1) | instskip(NEXT) | instid1(VALU_DEP_1)
	v_lshrrev_b64 v[68:69], s48, v[68:69]
	v_and_b32_e32 v69, s57, v68
	s_delay_alu instid0(VALU_DEP_1)
	v_and_b32_e32 v68, 1, v69
	v_lshlrev_b32_e32 v70, 30, v69
	v_lshlrev_b32_e32 v71, 29, v69
	;; [unrolled: 1-line block ×4, first 2 shown]
	v_add_co_u32 v68, s15, v68, -1
	s_wait_alu 0xf1ff
	v_cndmask_b32_e64 v73, 0, 1, s15
	v_not_b32_e32 v211, v70
	v_cmp_gt_i32_e64 s15, 0, v70
	v_not_b32_e32 v70, v71
	v_lshlrev_b32_e32 v75, 26, v69
	v_cmp_ne_u32_e32 vcc_lo, 0, v73
	v_ashrrev_i32_e32 v211, 31, v211
	v_lshlrev_b32_e32 v210, 25, v69
	v_ashrrev_i32_e32 v70, 31, v70
	v_lshlrev_b32_e32 v73, 24, v69
	s_wait_alu 0xfffd
	v_xor_b32_e32 v68, vcc_lo, v68
	v_cmp_gt_i32_e32 vcc_lo, 0, v71
	v_not_b32_e32 v71, v72
	s_wait_alu 0xf1ff
	v_xor_b32_e32 v211, s15, v211
	v_cmp_gt_i32_e64 s15, 0, v72
	v_and_b32_e32 v68, exec_lo, v68
	v_not_b32_e32 v72, v74
	v_ashrrev_i32_e32 v71, 31, v71
	s_wait_alu 0xfffd
	v_xor_b32_e32 v70, vcc_lo, v70
	v_cmp_gt_i32_e32 vcc_lo, 0, v74
	v_and_b32_e32 v68, v68, v211
	v_not_b32_e32 v74, v75
	v_ashrrev_i32_e32 v72, 31, v72
	s_wait_alu 0xf1ff
	v_xor_b32_e32 v71, s15, v71
	v_cmp_gt_i32_e64 s15, 0, v75
	v_and_b32_e32 v68, v68, v70
	v_not_b32_e32 v70, v210
	v_ashrrev_i32_e32 v74, 31, v74
	s_wait_alu 0xfffd
	v_xor_b32_e32 v72, vcc_lo, v72
	v_cmp_gt_i32_e32 vcc_lo, 0, v210
	v_and_b32_e32 v68, v68, v71
	v_not_b32_e32 v71, v73
	v_ashrrev_i32_e32 v70, 31, v70
	s_wait_alu 0xf1ff
	v_xor_b32_e32 v74, s15, v74
	v_cmp_gt_i32_e64 s15, 0, v73
	v_and_b32_e32 v68, v68, v72
	v_ashrrev_i32_e32 v71, 31, v71
	s_wait_alu 0xfffd
	v_xor_b32_e32 v70, vcc_lo, v70
	v_mad_u32_u24 v72, v69, 36, v145
	v_mul_u32_u24_e32 v69, 36, v69
	v_and_b32_e32 v68, v68, v74
	s_wait_alu 0xf1ff
	v_xor_b32_e32 v71, s15, v71
	ds_load_b32 v210, v72 offset:1056
	v_add_nc_u32_e32 v212, v145, v69
	v_and_b32_e32 v68, v68, v70
	; wave barrier
	s_delay_alu instid0(VALU_DEP_1) | instskip(NEXT) | instid1(VALU_DEP_1)
	v_and_b32_e32 v68, v68, v71
	v_mbcnt_lo_u32_b32 v211, v68, 0
	v_cmp_ne_u32_e64 s15, 0, v68
	s_delay_alu instid0(VALU_DEP_2)
	v_cmp_eq_u32_e32 vcc_lo, 0, v211
	s_and_b32 s16, s15, vcc_lo
	s_wait_alu 0xfffe
	s_and_saveexec_b32 s15, s16
	s_cbranch_execz .LBB1153_169
; %bb.168:                              ;   in Loop: Header=BB1153_101 Depth=2
	s_wait_dscnt 0x0
	v_bcnt_u32_b32 v68, v68, v210
	ds_store_b32 v212, v68 offset:1056
.LBB1153_169:                           ;   in Loop: Header=BB1153_101 Depth=2
	s_wait_alu 0xfffe
	s_or_b32 exec_lo, exec_lo, s15
	; wave barrier
	s_wait_loadcnt_dscnt 0x0
	s_barrier_signal -1
	s_barrier_wait -1
	global_inv scope:SCOPE_SE
	ds_load_2addr_b32 v[74:75], v164 offset1:1
	ds_load_2addr_b32 v[72:73], v165 offset1:1
	;; [unrolled: 1-line block ×4, first 2 shown]
	ds_load_b32 v213, v101 offset:1088
	s_wait_dscnt 0x3
	v_add3_u32 v214, v75, v74, v72
	s_wait_dscnt 0x2
	s_delay_alu instid0(VALU_DEP_1) | instskip(SKIP_1) | instid1(VALU_DEP_1)
	v_add3_u32 v214, v214, v73, v70
	s_wait_dscnt 0x1
	v_add3_u32 v214, v214, v71, v68
	s_wait_dscnt 0x0
	s_delay_alu instid0(VALU_DEP_1) | instskip(NEXT) | instid1(VALU_DEP_1)
	v_add3_u32 v213, v214, v69, v213
	v_mov_b32_dpp v214, v213 row_shr:1 row_mask:0xf bank_mask:0xf
	s_delay_alu instid0(VALU_DEP_1) | instskip(NEXT) | instid1(VALU_DEP_1)
	v_cndmask_b32_e64 v214, v214, 0, s6
	v_add_nc_u32_e32 v213, v214, v213
	s_delay_alu instid0(VALU_DEP_1) | instskip(NEXT) | instid1(VALU_DEP_1)
	v_mov_b32_dpp v214, v213 row_shr:2 row_mask:0xf bank_mask:0xf
	v_cndmask_b32_e64 v214, 0, v214, s7
	s_delay_alu instid0(VALU_DEP_1) | instskip(NEXT) | instid1(VALU_DEP_1)
	v_add_nc_u32_e32 v213, v213, v214
	v_mov_b32_dpp v214, v213 row_shr:4 row_mask:0xf bank_mask:0xf
	s_delay_alu instid0(VALU_DEP_1) | instskip(NEXT) | instid1(VALU_DEP_1)
	v_cndmask_b32_e64 v214, 0, v214, s8
	v_add_nc_u32_e32 v213, v213, v214
	s_delay_alu instid0(VALU_DEP_1) | instskip(NEXT) | instid1(VALU_DEP_1)
	v_mov_b32_dpp v214, v213 row_shr:8 row_mask:0xf bank_mask:0xf
	v_cndmask_b32_e64 v214, 0, v214, s9
	s_delay_alu instid0(VALU_DEP_1) | instskip(SKIP_3) | instid1(VALU_DEP_1)
	v_add_nc_u32_e32 v213, v213, v214
	ds_swizzle_b32 v214, v213 offset:swizzle(BROADCAST,32,15)
	s_wait_dscnt 0x0
	v_cndmask_b32_e64 v214, v214, 0, s10
	v_add_nc_u32_e32 v213, v213, v214
	s_and_saveexec_b32 s15, s3
; %bb.170:                              ;   in Loop: Header=BB1153_101 Depth=2
	ds_store_b32 v95, v213 offset:1024
; %bb.171:                              ;   in Loop: Header=BB1153_101 Depth=2
	s_wait_alu 0xfffe
	s_or_b32 exec_lo, exec_lo, s15
	s_wait_loadcnt_dscnt 0x0
	s_barrier_signal -1
	s_barrier_wait -1
	global_inv scope:SCOPE_SE
	s_and_saveexec_b32 s15, s4
	s_cbranch_execz .LBB1153_173
; %bb.172:                              ;   in Loop: Header=BB1153_101 Depth=2
	ds_load_b32 v214, v103 offset:1024
	s_wait_dscnt 0x0
	v_mov_b32_dpp v215, v214 row_shr:1 row_mask:0xf bank_mask:0xf
	s_delay_alu instid0(VALU_DEP_1) | instskip(NEXT) | instid1(VALU_DEP_1)
	v_cndmask_b32_e64 v215, v215, 0, s12
	v_add_nc_u32_e32 v214, v215, v214
	s_delay_alu instid0(VALU_DEP_1) | instskip(NEXT) | instid1(VALU_DEP_1)
	v_mov_b32_dpp v215, v214 row_shr:2 row_mask:0xf bank_mask:0xf
	v_cndmask_b32_e64 v215, 0, v215, s13
	s_delay_alu instid0(VALU_DEP_1) | instskip(NEXT) | instid1(VALU_DEP_1)
	v_add_nc_u32_e32 v214, v214, v215
	v_mov_b32_dpp v215, v214 row_shr:4 row_mask:0xf bank_mask:0xf
	s_delay_alu instid0(VALU_DEP_1) | instskip(NEXT) | instid1(VALU_DEP_1)
	v_cndmask_b32_e64 v215, 0, v215, s14
	v_add_nc_u32_e32 v214, v214, v215
	ds_store_b32 v103, v214 offset:1024
.LBB1153_173:                           ;   in Loop: Header=BB1153_101 Depth=2
	s_wait_alu 0xfffe
	s_or_b32 exec_lo, exec_lo, s15
	v_mov_b32_e32 v214, 0
	s_wait_loadcnt_dscnt 0x0
	s_barrier_signal -1
	s_barrier_wait -1
	global_inv scope:SCOPE_SE
	s_and_saveexec_b32 s15, s5
; %bb.174:                              ;   in Loop: Header=BB1153_101 Depth=2
	ds_load_b32 v214, v95 offset:1020
; %bb.175:                              ;   in Loop: Header=BB1153_101 Depth=2
	s_wait_alu 0xfffe
	s_or_b32 exec_lo, exec_lo, s15
	s_wait_dscnt 0x0
	v_add_nc_u32_e32 v213, v214, v213
	ds_bpermute_b32 v213, v124, v213
	s_wait_dscnt 0x0
	v_cndmask_b32_e64 v213, v213, v214, s11
	s_delay_alu instid0(VALU_DEP_1) | instskip(NEXT) | instid1(VALU_DEP_1)
	v_cndmask_b32_e64 v213, v213, 0, s0
	v_add_nc_u32_e32 v74, v213, v74
	s_delay_alu instid0(VALU_DEP_1) | instskip(NEXT) | instid1(VALU_DEP_1)
	v_add_nc_u32_e32 v75, v74, v75
	v_add_nc_u32_e32 v72, v75, v72
	s_delay_alu instid0(VALU_DEP_1) | instskip(NEXT) | instid1(VALU_DEP_1)
	v_add_nc_u32_e32 v73, v72, v73
	;; [unrolled: 3-line block ×3, first 2 shown]
	v_add_nc_u32_e32 v68, v71, v68
	s_delay_alu instid0(VALU_DEP_1)
	v_add_nc_u32_e32 v69, v68, v69
	ds_store_2addr_b32 v163, v71, v68 offset1:1
	ds_store_2addr_b32 v164, v213, v74 offset1:1
	;; [unrolled: 1-line block ×4, first 2 shown]
	ds_store_b32 v101, v69 offset:1088
	s_wait_loadcnt_dscnt 0x0
	s_barrier_signal -1
	s_barrier_wait -1
	global_inv scope:SCOPE_SE
	ds_load_b32 v69, v167 offset:1056
	ds_load_b32 v74, v170 offset:1056
	;; [unrolled: 1-line block ×17, first 2 shown]
	v_mov_b32_e32 v68, 0x1000
	s_and_saveexec_b32 s15, s1
; %bb.176:                              ;   in Loop: Header=BB1153_101 Depth=2
	ds_load_b32 v68, v101 offset:1092
; %bb.177:                              ;   in Loop: Header=BB1153_101 Depth=2
	s_wait_alu 0xfffe
	s_or_b32 exec_lo, exec_lo, s15
	s_wait_loadcnt_dscnt 0x0
	s_barrier_signal -1
	s_barrier_wait -1
	global_inv scope:SCOPE_SE
	s_and_saveexec_b32 s15, s2
	s_cbranch_execz .LBB1153_179
; %bb.178:                              ;   in Loop: Header=BB1153_101 Depth=2
	ds_load_b32 v185, v76
	s_wait_dscnt 0x0
	v_sub_nc_u32_e32 v182, v185, v182
	ds_store_b32 v76, v182
.LBB1153_179:                           ;   in Loop: Header=BB1153_101 Depth=2
	s_wait_alu 0xfffe
	s_or_b32 exec_lo, exec_lo, s15
	v_lshlrev_b32_e32 v2, 3, v2
	v_lshlrev_b32_e32 v169, 3, v169
	;; [unrolled: 1-line block ×5, first 2 shown]
	v_lshl_add_u32 v69, v69, 3, v2
	v_lshlrev_b32_e32 v2, 3, v171
	v_lshlrev_b32_e32 v73, 3, v73
	v_lshlrev_b32_e32 v171, 3, v175
	v_lshlrev_b32_e32 v174, 3, v174
	ds_store_b64 v69, v[36:37] offset:1024
	v_lshlrev_b32_e32 v36, 3, v72
	v_lshlrev_b32_e32 v37, 3, v178
	;; [unrolled: 1-line block ×7, first 2 shown]
	v_add3_u32 v70, v169, v168, v74
	v_add3_u32 v71, v172, v2, v73
	;; [unrolled: 1-line block ×5, first 2 shown]
	v_lshlrev_b32_e32 v2, 3, v184
	v_lshlrev_b32_e32 v36, 3, v183
	;; [unrolled: 1-line block ×3, first 2 shown]
	ds_store_b64 v70, v[38:39] offset:1024
	ds_store_b64 v71, v[40:41] offset:1024
	;; [unrolled: 1-line block ×5, first 2 shown]
	v_lshlrev_b32_e32 v39, 3, v187
	v_lshlrev_b32_e32 v40, 3, v186
	;; [unrolled: 1-line block ×12, first 2 shown]
	v_add3_u32 v38, v2, v36, v37
	v_add3_u32 v39, v39, v40, v41
	v_add3_u32 v40, v48, v49, v52
	v_add3_u32 v41, v53, v56, v57
	v_add3_u32 v48, v168, v169, v167
	ds_store_b64 v38, v[60:61] offset:1024
	ds_store_b64 v39, v[64:65] offset:1024
	ds_store_b64 v40, v[66:67] offset:1024
	ds_store_b64 v41, v[62:63] offset:1024
	ds_store_b64 v48, v[58:59] offset:1024
	v_lshlrev_b32_e32 v2, 3, v199
	v_lshlrev_b32_e32 v36, 3, v198
	;; [unrolled: 1-line block ×15, first 2 shown]
	v_add3_u32 v49, v2, v36, v37
	v_add3_u32 v52, v52, v53, v56
	;; [unrolled: 1-line block ×5, first 2 shown]
	v_cmp_lt_u32_e32 vcc_lo, v1, v162
	ds_store_b64 v49, v[54:55] offset:1024
	ds_store_b64 v52, v[50:51] offset:1024
	;; [unrolled: 1-line block ×5, first 2 shown]
	s_wait_loadcnt_dscnt 0x0
	s_barrier_signal -1
	s_barrier_wait -1
	global_inv scope:SCOPE_SE
	s_and_saveexec_b32 s16, vcc_lo
	s_cbranch_execnz .LBB1153_248
; %bb.180:                              ;   in Loop: Header=BB1153_101 Depth=2
	s_wait_alu 0xfffe
	s_or_b32 exec_lo, exec_lo, s16
	v_cmp_lt_u32_e64 s15, v77, v162
	s_and_saveexec_b32 s17, s15
	s_cbranch_execnz .LBB1153_249
.LBB1153_181:                           ;   in Loop: Header=BB1153_101 Depth=2
	s_wait_alu 0xfffe
	s_or_b32 exec_lo, exec_lo, s17
	v_cmp_lt_u32_e64 s16, v78, v162
	s_and_saveexec_b32 s18, s16
	s_cbranch_execnz .LBB1153_250
.LBB1153_182:                           ;   in Loop: Header=BB1153_101 Depth=2
	s_wait_alu 0xfffe
	s_or_b32 exec_lo, exec_lo, s18
	v_cmp_lt_u32_e64 s17, v79, v162
	s_and_saveexec_b32 s19, s17
	s_cbranch_execnz .LBB1153_251
.LBB1153_183:                           ;   in Loop: Header=BB1153_101 Depth=2
	s_wait_alu 0xfffe
	s_or_b32 exec_lo, exec_lo, s19
	v_cmp_lt_u32_e64 s18, v82, v162
	s_and_saveexec_b32 s20, s18
	s_cbranch_execnz .LBB1153_252
.LBB1153_184:                           ;   in Loop: Header=BB1153_101 Depth=2
	s_wait_alu 0xfffe
	s_or_b32 exec_lo, exec_lo, s20
	v_cmp_lt_u32_e64 s19, v83, v162
	s_and_saveexec_b32 s21, s19
	s_cbranch_execnz .LBB1153_253
.LBB1153_185:                           ;   in Loop: Header=BB1153_101 Depth=2
	s_wait_alu 0xfffe
	s_or_b32 exec_lo, exec_lo, s21
	v_cmp_lt_u32_e64 s20, v84, v162
	s_and_saveexec_b32 s22, s20
	s_cbranch_execnz .LBB1153_254
.LBB1153_186:                           ;   in Loop: Header=BB1153_101 Depth=2
	s_wait_alu 0xfffe
	s_or_b32 exec_lo, exec_lo, s22
	v_cmp_lt_u32_e64 s21, v85, v162
	s_and_saveexec_b32 s23, s21
	s_cbranch_execnz .LBB1153_255
.LBB1153_187:                           ;   in Loop: Header=BB1153_101 Depth=2
	s_wait_alu 0xfffe
	s_or_b32 exec_lo, exec_lo, s23
	v_cmp_lt_u32_e64 s22, v86, v162
	s_and_saveexec_b32 s24, s22
	s_cbranch_execnz .LBB1153_256
.LBB1153_188:                           ;   in Loop: Header=BB1153_101 Depth=2
	s_wait_alu 0xfffe
	s_or_b32 exec_lo, exec_lo, s24
	v_cmp_lt_u32_e64 s23, v87, v162
	s_and_saveexec_b32 s25, s23
	s_cbranch_execnz .LBB1153_257
.LBB1153_189:                           ;   in Loop: Header=BB1153_101 Depth=2
	s_wait_alu 0xfffe
	s_or_b32 exec_lo, exec_lo, s25
	v_cmp_lt_u32_e64 s24, v88, v162
	s_and_saveexec_b32 s26, s24
	s_cbranch_execnz .LBB1153_258
.LBB1153_190:                           ;   in Loop: Header=BB1153_101 Depth=2
	s_wait_alu 0xfffe
	s_or_b32 exec_lo, exec_lo, s26
	v_cmp_lt_u32_e64 s25, v89, v162
	s_and_saveexec_b32 s27, s25
	s_cbranch_execnz .LBB1153_259
.LBB1153_191:                           ;   in Loop: Header=BB1153_101 Depth=2
	s_wait_alu 0xfffe
	s_or_b32 exec_lo, exec_lo, s27
	v_cmp_lt_u32_e64 s26, v90, v162
	s_and_saveexec_b32 s28, s26
	s_cbranch_execnz .LBB1153_260
.LBB1153_192:                           ;   in Loop: Header=BB1153_101 Depth=2
	s_wait_alu 0xfffe
	s_or_b32 exec_lo, exec_lo, s28
	v_cmp_lt_u32_e64 s27, v91, v162
	s_and_saveexec_b32 s29, s27
	s_cbranch_execnz .LBB1153_261
.LBB1153_193:                           ;   in Loop: Header=BB1153_101 Depth=2
	s_wait_alu 0xfffe
	s_or_b32 exec_lo, exec_lo, s29
	v_cmp_lt_u32_e64 s28, v92, v162
	s_and_saveexec_b32 s30, s28
	s_cbranch_execnz .LBB1153_262
.LBB1153_194:                           ;   in Loop: Header=BB1153_101 Depth=2
	s_wait_alu 0xfffe
	s_or_b32 exec_lo, exec_lo, s30
	v_cmp_lt_u32_e64 s29, v93, v162
	s_and_saveexec_b32 s43, s29
	s_cbranch_execz .LBB1153_196
.LBB1153_195:                           ;   in Loop: Header=BB1153_101 Depth=2
	ds_load_b64 v[36:37], v108 offset:31744
	s_wait_dscnt 0x0
	v_cmp_ne_u64_e64 s30, s[34:35], v[36:37]
	s_wait_alu 0xf1ff
	s_delay_alu instid0(VALU_DEP_1) | instskip(SKIP_2) | instid1(VALU_DEP_2)
	v_cndmask_b32_e64 v43, 0x7fffffff, v37, s30
	v_cndmask_b32_e64 v42, -1, v36, s30
	v_cmp_gt_i64_e64 s30, 0, v[36:37]
	v_lshrrev_b64 v[42:43], s48, v[42:43]
	s_wait_alu 0xf1ff
	s_delay_alu instid0(VALU_DEP_2) | instskip(NEXT) | instid1(VALU_DEP_2)
	v_cndmask_b32_e64 v44, 0x7fffffff, 0, s30
	v_and_b32_e32 v2, s57, v42
	v_ashrrev_i32_e32 v42, 31, v37
	s_delay_alu instid0(VALU_DEP_3) | instskip(NEXT) | instid1(VALU_DEP_3)
	v_xor_b32_e32 v37, v44, v37
	v_lshlrev_b32_e32 v2, 2, v2
	s_delay_alu instid0(VALU_DEP_3) | instskip(SKIP_4) | instid1(VALU_DEP_1)
	v_not_b32_e32 v45, v42
	ds_load_b32 v2, v2
	v_xor_b32_e32 v36, v45, v36
	s_wait_dscnt 0x0
	v_add_nc_u32_e32 v2, v2, v93
	v_lshlrev_b64_e32 v[42:43], 3, v[2:3]
	s_delay_alu instid0(VALU_DEP_1) | instskip(SKIP_1) | instid1(VALU_DEP_2)
	v_add_co_u32 v42, s30, s38, v42
	s_wait_alu 0xf1ff
	v_add_co_ci_u32_e64 v43, null, s39, v43, s30
	global_store_b64 v[42:43], v[36:37], off
.LBB1153_196:                           ;   in Loop: Header=BB1153_101 Depth=2
	s_wait_alu 0xfffe
	s_or_b32 exec_lo, exec_lo, s43
	s_mov_b32 s43, s34
	s_wait_alu 0xfffe
	s_lshl_b64 s[42:43], s[42:43], 3
	s_wait_alu 0xfffe
	v_add_co_u32 v36, s30, v126, s42
	s_wait_alu 0xf1ff
	v_add_co_ci_u32_e64 v37, null, s43, v127, s30
	v_cmp_lt_u32_e64 s30, v125, v162
	s_and_saveexec_b32 s42, s30
	s_wait_alu 0xfffe
	s_xor_b32 s30, exec_lo, s42
	s_cbranch_execnz .LBB1153_263
; %bb.197:                              ;   in Loop: Header=BB1153_101 Depth=2
	s_wait_alu 0xfffe
	s_or_b32 exec_lo, exec_lo, s30
	s_delay_alu instid0(SALU_CYCLE_1)
	s_mov_b32 s42, exec_lo
	v_cmpx_lt_u32_e64 v128, v162
	s_cbranch_execnz .LBB1153_264
.LBB1153_198:                           ;   in Loop: Header=BB1153_101 Depth=2
	s_wait_alu 0xfffe
	s_or_b32 exec_lo, exec_lo, s42
	s_delay_alu instid0(SALU_CYCLE_1)
	s_mov_b32 s42, exec_lo
	v_cmpx_lt_u32_e64 v129, v162
	s_cbranch_execnz .LBB1153_265
.LBB1153_199:                           ;   in Loop: Header=BB1153_101 Depth=2
	s_wait_alu 0xfffe
	s_or_b32 exec_lo, exec_lo, s42
	s_delay_alu instid0(SALU_CYCLE_1)
	s_mov_b32 s42, exec_lo
	v_cmpx_lt_u32_e64 v130, v162
	s_cbranch_execnz .LBB1153_266
.LBB1153_200:                           ;   in Loop: Header=BB1153_101 Depth=2
	s_wait_alu 0xfffe
	s_or_b32 exec_lo, exec_lo, s42
	s_delay_alu instid0(SALU_CYCLE_1)
	s_mov_b32 s42, exec_lo
	v_cmpx_lt_u32_e64 v131, v162
	s_cbranch_execnz .LBB1153_267
.LBB1153_201:                           ;   in Loop: Header=BB1153_101 Depth=2
	s_wait_alu 0xfffe
	s_or_b32 exec_lo, exec_lo, s42
	s_delay_alu instid0(SALU_CYCLE_1)
	s_mov_b32 s42, exec_lo
	v_cmpx_lt_u32_e64 v132, v162
	s_cbranch_execnz .LBB1153_268
.LBB1153_202:                           ;   in Loop: Header=BB1153_101 Depth=2
	s_wait_alu 0xfffe
	s_or_b32 exec_lo, exec_lo, s42
	s_delay_alu instid0(SALU_CYCLE_1)
	s_mov_b32 s42, exec_lo
	v_cmpx_lt_u32_e64 v133, v162
	s_cbranch_execnz .LBB1153_269
.LBB1153_203:                           ;   in Loop: Header=BB1153_101 Depth=2
	s_wait_alu 0xfffe
	s_or_b32 exec_lo, exec_lo, s42
	s_delay_alu instid0(SALU_CYCLE_1)
	s_mov_b32 s42, exec_lo
	v_cmpx_lt_u32_e64 v134, v162
	s_cbranch_execnz .LBB1153_270
.LBB1153_204:                           ;   in Loop: Header=BB1153_101 Depth=2
	s_wait_alu 0xfffe
	s_or_b32 exec_lo, exec_lo, s42
	s_delay_alu instid0(SALU_CYCLE_1)
	s_mov_b32 s42, exec_lo
	v_cmpx_lt_u32_e64 v135, v162
	s_cbranch_execnz .LBB1153_271
.LBB1153_205:                           ;   in Loop: Header=BB1153_101 Depth=2
	s_wait_alu 0xfffe
	s_or_b32 exec_lo, exec_lo, s42
	s_delay_alu instid0(SALU_CYCLE_1)
	s_mov_b32 s42, exec_lo
	v_cmpx_lt_u32_e64 v136, v162
	s_cbranch_execnz .LBB1153_272
.LBB1153_206:                           ;   in Loop: Header=BB1153_101 Depth=2
	s_wait_alu 0xfffe
	s_or_b32 exec_lo, exec_lo, s42
	s_delay_alu instid0(SALU_CYCLE_1)
	s_mov_b32 s42, exec_lo
	v_cmpx_lt_u32_e64 v137, v162
	s_cbranch_execnz .LBB1153_273
.LBB1153_207:                           ;   in Loop: Header=BB1153_101 Depth=2
	s_wait_alu 0xfffe
	s_or_b32 exec_lo, exec_lo, s42
	s_delay_alu instid0(SALU_CYCLE_1)
	s_mov_b32 s42, exec_lo
	v_cmpx_lt_u32_e64 v138, v162
	s_cbranch_execnz .LBB1153_274
.LBB1153_208:                           ;   in Loop: Header=BB1153_101 Depth=2
	s_wait_alu 0xfffe
	s_or_b32 exec_lo, exec_lo, s42
	s_delay_alu instid0(SALU_CYCLE_1)
	s_mov_b32 s42, exec_lo
	v_cmpx_lt_u32_e64 v139, v162
	s_cbranch_execnz .LBB1153_275
.LBB1153_209:                           ;   in Loop: Header=BB1153_101 Depth=2
	s_wait_alu 0xfffe
	s_or_b32 exec_lo, exec_lo, s42
	s_delay_alu instid0(SALU_CYCLE_1)
	s_mov_b32 s42, exec_lo
	v_cmpx_lt_u32_e64 v140, v162
	s_cbranch_execnz .LBB1153_276
.LBB1153_210:                           ;   in Loop: Header=BB1153_101 Depth=2
	s_wait_alu 0xfffe
	s_or_b32 exec_lo, exec_lo, s42
	s_delay_alu instid0(SALU_CYCLE_1)
	s_mov_b32 s42, exec_lo
	v_cmpx_lt_u32_e64 v141, v162
	s_cbranch_execnz .LBB1153_277
.LBB1153_211:                           ;   in Loop: Header=BB1153_101 Depth=2
	s_wait_alu 0xfffe
	s_or_b32 exec_lo, exec_lo, s42
	s_delay_alu instid0(SALU_CYCLE_1)
	s_mov_b32 s42, exec_lo
	v_cmpx_lt_u32_e64 v142, v162
	s_cbranch_execnz .LBB1153_278
.LBB1153_212:                           ;   in Loop: Header=BB1153_101 Depth=2
	s_wait_alu 0xfffe
	s_or_b32 exec_lo, exec_lo, s42
	s_and_saveexec_b32 s42, vcc_lo
	s_cbranch_execnz .LBB1153_279
.LBB1153_213:                           ;   in Loop: Header=BB1153_101 Depth=2
	s_wait_alu 0xfffe
	s_or_b32 exec_lo, exec_lo, s42
	s_and_saveexec_b32 s42, s15
	s_cbranch_execnz .LBB1153_280
.LBB1153_214:                           ;   in Loop: Header=BB1153_101 Depth=2
	s_wait_alu 0xfffe
	s_or_b32 exec_lo, exec_lo, s42
	s_and_saveexec_b32 s42, s16
	s_cbranch_execnz .LBB1153_281
.LBB1153_215:                           ;   in Loop: Header=BB1153_101 Depth=2
	s_wait_alu 0xfffe
	s_or_b32 exec_lo, exec_lo, s42
	s_and_saveexec_b32 s42, s17
	s_cbranch_execnz .LBB1153_282
.LBB1153_216:                           ;   in Loop: Header=BB1153_101 Depth=2
	s_wait_alu 0xfffe
	s_or_b32 exec_lo, exec_lo, s42
	s_and_saveexec_b32 s42, s18
	s_cbranch_execnz .LBB1153_283
.LBB1153_217:                           ;   in Loop: Header=BB1153_101 Depth=2
	s_wait_alu 0xfffe
	s_or_b32 exec_lo, exec_lo, s42
	s_and_saveexec_b32 s42, s19
	s_cbranch_execnz .LBB1153_284
.LBB1153_218:                           ;   in Loop: Header=BB1153_101 Depth=2
	s_wait_alu 0xfffe
	s_or_b32 exec_lo, exec_lo, s42
	s_and_saveexec_b32 s42, s20
	s_cbranch_execnz .LBB1153_285
.LBB1153_219:                           ;   in Loop: Header=BB1153_101 Depth=2
	s_wait_alu 0xfffe
	s_or_b32 exec_lo, exec_lo, s42
	s_and_saveexec_b32 s42, s21
	s_cbranch_execnz .LBB1153_286
.LBB1153_220:                           ;   in Loop: Header=BB1153_101 Depth=2
	s_wait_alu 0xfffe
	s_or_b32 exec_lo, exec_lo, s42
	s_and_saveexec_b32 s42, s22
	s_cbranch_execnz .LBB1153_287
.LBB1153_221:                           ;   in Loop: Header=BB1153_101 Depth=2
	s_wait_alu 0xfffe
	s_or_b32 exec_lo, exec_lo, s42
	s_and_saveexec_b32 s42, s23
	s_cbranch_execnz .LBB1153_288
.LBB1153_222:                           ;   in Loop: Header=BB1153_101 Depth=2
	s_wait_alu 0xfffe
	s_or_b32 exec_lo, exec_lo, s42
	s_and_saveexec_b32 s42, s24
	s_cbranch_execnz .LBB1153_289
.LBB1153_223:                           ;   in Loop: Header=BB1153_101 Depth=2
	s_wait_alu 0xfffe
	s_or_b32 exec_lo, exec_lo, s42
	s_and_saveexec_b32 s42, s25
	s_cbranch_execnz .LBB1153_290
.LBB1153_224:                           ;   in Loop: Header=BB1153_101 Depth=2
	s_wait_alu 0xfffe
	s_or_b32 exec_lo, exec_lo, s42
	s_and_saveexec_b32 s42, s26
	s_cbranch_execnz .LBB1153_291
.LBB1153_225:                           ;   in Loop: Header=BB1153_101 Depth=2
	s_wait_alu 0xfffe
	s_or_b32 exec_lo, exec_lo, s42
	s_and_saveexec_b32 s42, s27
	s_cbranch_execnz .LBB1153_292
.LBB1153_226:                           ;   in Loop: Header=BB1153_101 Depth=2
	s_wait_alu 0xfffe
	s_or_b32 exec_lo, exec_lo, s42
	s_and_saveexec_b32 s42, s28
	s_cbranch_execnz .LBB1153_293
.LBB1153_227:                           ;   in Loop: Header=BB1153_101 Depth=2
	s_wait_alu 0xfffe
	s_or_b32 exec_lo, exec_lo, s42
	s_and_saveexec_b32 s42, s29
	s_cbranch_execz .LBB1153_229
.LBB1153_228:                           ;   in Loop: Header=BB1153_101 Depth=2
	ds_load_b64 v[36:37], v108 offset:31744
	s_wait_dscnt 0x0
	v_cmp_ne_u64_e64 s30, s[34:35], v[36:37]
	s_wait_alu 0xf1ff
	s_delay_alu instid0(VALU_DEP_1) | instskip(SKIP_1) | instid1(VALU_DEP_1)
	v_cndmask_b32_e64 v37, 0x7fffffff, v37, s30
	v_cndmask_b32_e64 v36, -1, v36, s30
	v_lshrrev_b64 v[36:37], s48, v[36:37]
	s_delay_alu instid0(VALU_DEP_1)
	v_and_b32_e32 v146, s57, v36
.LBB1153_229:                           ;   in Loop: Header=BB1153_101 Depth=2
	s_wait_alu 0xfffe
	s_or_b32 exec_lo, exec_lo, s42
	s_wait_loadcnt 0x0
	s_wait_storecnt 0x0
	s_barrier_signal -1
	s_barrier_wait -1
	global_inv scope:SCOPE_SE
	ds_store_b64 v69, v[34:35] offset:1024
	ds_store_b64 v70, v[32:33] offset:1024
	;; [unrolled: 1-line block ×16, first 2 shown]
	s_wait_loadcnt_dscnt 0x0
	s_barrier_signal -1
	s_barrier_wait -1
	global_inv scope:SCOPE_SE
	s_and_saveexec_b32 s30, vcc_lo
	s_cbranch_execnz .LBB1153_294
; %bb.230:                              ;   in Loop: Header=BB1153_101 Depth=2
	s_wait_alu 0xfffe
	s_or_b32 exec_lo, exec_lo, s30
	s_and_saveexec_b32 s30, s15
	s_cbranch_execnz .LBB1153_295
.LBB1153_231:                           ;   in Loop: Header=BB1153_101 Depth=2
	s_wait_alu 0xfffe
	s_or_b32 exec_lo, exec_lo, s30
	s_and_saveexec_b32 s15, s16
	s_cbranch_execnz .LBB1153_296
.LBB1153_232:                           ;   in Loop: Header=BB1153_101 Depth=2
	s_wait_alu 0xfffe
	s_or_b32 exec_lo, exec_lo, s15
	s_and_saveexec_b32 s15, s17
	s_cbranch_execnz .LBB1153_297
.LBB1153_233:                           ;   in Loop: Header=BB1153_101 Depth=2
	s_wait_alu 0xfffe
	s_or_b32 exec_lo, exec_lo, s15
	s_and_saveexec_b32 s15, s18
	s_cbranch_execnz .LBB1153_298
.LBB1153_234:                           ;   in Loop: Header=BB1153_101 Depth=2
	s_wait_alu 0xfffe
	s_or_b32 exec_lo, exec_lo, s15
	s_and_saveexec_b32 s15, s19
	s_cbranch_execnz .LBB1153_299
.LBB1153_235:                           ;   in Loop: Header=BB1153_101 Depth=2
	s_wait_alu 0xfffe
	s_or_b32 exec_lo, exec_lo, s15
	s_and_saveexec_b32 s15, s20
	s_cbranch_execnz .LBB1153_300
.LBB1153_236:                           ;   in Loop: Header=BB1153_101 Depth=2
	s_wait_alu 0xfffe
	s_or_b32 exec_lo, exec_lo, s15
	s_and_saveexec_b32 s15, s21
	s_cbranch_execnz .LBB1153_301
.LBB1153_237:                           ;   in Loop: Header=BB1153_101 Depth=2
	s_wait_alu 0xfffe
	s_or_b32 exec_lo, exec_lo, s15
	s_and_saveexec_b32 s15, s22
	s_cbranch_execnz .LBB1153_302
.LBB1153_238:                           ;   in Loop: Header=BB1153_101 Depth=2
	s_wait_alu 0xfffe
	s_or_b32 exec_lo, exec_lo, s15
	s_and_saveexec_b32 s15, s23
	s_cbranch_execnz .LBB1153_303
.LBB1153_239:                           ;   in Loop: Header=BB1153_101 Depth=2
	s_wait_alu 0xfffe
	s_or_b32 exec_lo, exec_lo, s15
	s_and_saveexec_b32 s15, s24
	s_cbranch_execnz .LBB1153_304
.LBB1153_240:                           ;   in Loop: Header=BB1153_101 Depth=2
	s_wait_alu 0xfffe
	s_or_b32 exec_lo, exec_lo, s15
	s_and_saveexec_b32 s15, s25
	s_cbranch_execnz .LBB1153_305
.LBB1153_241:                           ;   in Loop: Header=BB1153_101 Depth=2
	s_wait_alu 0xfffe
	s_or_b32 exec_lo, exec_lo, s15
	s_and_saveexec_b32 s15, s26
	s_cbranch_execnz .LBB1153_306
.LBB1153_242:                           ;   in Loop: Header=BB1153_101 Depth=2
	s_wait_alu 0xfffe
	s_or_b32 exec_lo, exec_lo, s15
	s_and_saveexec_b32 s15, s27
	s_cbranch_execnz .LBB1153_307
.LBB1153_243:                           ;   in Loop: Header=BB1153_101 Depth=2
	s_wait_alu 0xfffe
	s_or_b32 exec_lo, exec_lo, s15
	s_and_saveexec_b32 s15, s28
	s_cbranch_execnz .LBB1153_308
.LBB1153_244:                           ;   in Loop: Header=BB1153_101 Depth=2
	s_wait_alu 0xfffe
	s_or_b32 exec_lo, exec_lo, s15
	s_and_saveexec_b32 s15, s29
	s_cbranch_execz .LBB1153_246
.LBB1153_245:                           ;   in Loop: Header=BB1153_101 Depth=2
	v_lshlrev_b32_e32 v2, 2, v146
	ds_load_b32 v2, v2
	ds_load_b64 v[36:37], v108 offset:31744
	s_wait_dscnt 0x1
	v_add_nc_u32_e32 v2, v2, v93
	s_delay_alu instid0(VALU_DEP_1) | instskip(NEXT) | instid1(VALU_DEP_1)
	v_lshlrev_b64_e32 v[38:39], 3, v[2:3]
	v_add_co_u32 v38, vcc_lo, s44, v38
	s_wait_alu 0xfffd
	s_delay_alu instid0(VALU_DEP_2)
	v_add_co_ci_u32_e64 v39, null, s45, v39, vcc_lo
	s_wait_dscnt 0x0
	global_store_b64 v[38:39], v[36:37], off
.LBB1153_246:                           ;   in Loop: Header=BB1153_101 Depth=2
	s_wait_alu 0xfffe
	s_or_b32 exec_lo, exec_lo, s15
	s_wait_loadcnt 0x0
	s_wait_storecnt 0x0
	s_barrier_signal -1
	s_barrier_wait -1
	global_inv scope:SCOPE_SE
	s_and_saveexec_b32 s15, s2
	s_cbranch_execz .LBB1153_100
; %bb.247:                              ;   in Loop: Header=BB1153_101 Depth=2
	ds_load_b32 v2, v76
	s_wait_dscnt 0x0
	v_add_nc_u32_e32 v2, v2, v68
	ds_store_b32 v76, v2
	s_branch .LBB1153_100
.LBB1153_248:                           ;   in Loop: Header=BB1153_101 Depth=2
	ds_load_b64 v[36:37], v108 offset:1024
	s_wait_dscnt 0x0
	v_cmp_ne_u64_e64 s15, s[34:35], v[36:37]
	s_wait_alu 0xf1ff
	s_delay_alu instid0(VALU_DEP_1) | instskip(SKIP_2) | instid1(VALU_DEP_2)
	v_cndmask_b32_e64 v43, 0x7fffffff, v37, s15
	v_cndmask_b32_e64 v42, -1, v36, s15
	v_cmp_gt_i64_e64 s15, 0, v[36:37]
	v_lshrrev_b64 v[42:43], s48, v[42:43]
	s_wait_alu 0xf1ff
	s_delay_alu instid0(VALU_DEP_2) | instskip(NEXT) | instid1(VALU_DEP_2)
	v_cndmask_b32_e64 v44, 0x7fffffff, 0, s15
	v_and_b32_e32 v2, s57, v42
	v_ashrrev_i32_e32 v42, 31, v37
	s_delay_alu instid0(VALU_DEP_3) | instskip(NEXT) | instid1(VALU_DEP_3)
	v_xor_b32_e32 v37, v44, v37
	v_lshlrev_b32_e32 v2, 2, v2
	s_delay_alu instid0(VALU_DEP_3) | instskip(SKIP_4) | instid1(VALU_DEP_1)
	v_not_b32_e32 v45, v42
	ds_load_b32 v2, v2
	v_xor_b32_e32 v36, v45, v36
	s_wait_dscnt 0x0
	v_add_nc_u32_e32 v2, v2, v1
	v_lshlrev_b64_e32 v[42:43], 3, v[2:3]
	s_delay_alu instid0(VALU_DEP_1) | instskip(SKIP_1) | instid1(VALU_DEP_2)
	v_add_co_u32 v42, s15, s38, v42
	s_wait_alu 0xf1ff
	v_add_co_ci_u32_e64 v43, null, s39, v43, s15
	global_store_b64 v[42:43], v[36:37], off
	s_wait_alu 0xfffe
	s_or_b32 exec_lo, exec_lo, s16
	v_cmp_lt_u32_e64 s15, v77, v162
	s_and_saveexec_b32 s17, s15
	s_cbranch_execz .LBB1153_181
.LBB1153_249:                           ;   in Loop: Header=BB1153_101 Depth=2
	ds_load_b64 v[36:37], v108 offset:3072
	s_wait_dscnt 0x0
	v_cmp_ne_u64_e64 s16, s[34:35], v[36:37]
	s_wait_alu 0xf1ff
	s_delay_alu instid0(VALU_DEP_1) | instskip(SKIP_2) | instid1(VALU_DEP_2)
	v_cndmask_b32_e64 v43, 0x7fffffff, v37, s16
	v_cndmask_b32_e64 v42, -1, v36, s16
	v_cmp_gt_i64_e64 s16, 0, v[36:37]
	v_lshrrev_b64 v[42:43], s48, v[42:43]
	s_wait_alu 0xf1ff
	s_delay_alu instid0(VALU_DEP_2) | instskip(NEXT) | instid1(VALU_DEP_2)
	v_cndmask_b32_e64 v44, 0x7fffffff, 0, s16
	v_and_b32_e32 v2, s57, v42
	v_ashrrev_i32_e32 v42, 31, v37
	s_delay_alu instid0(VALU_DEP_3) | instskip(NEXT) | instid1(VALU_DEP_3)
	v_xor_b32_e32 v37, v44, v37
	v_lshlrev_b32_e32 v2, 2, v2
	s_delay_alu instid0(VALU_DEP_3) | instskip(SKIP_4) | instid1(VALU_DEP_1)
	v_not_b32_e32 v45, v42
	ds_load_b32 v2, v2
	v_xor_b32_e32 v36, v45, v36
	s_wait_dscnt 0x0
	v_add_nc_u32_e32 v2, v2, v77
	v_lshlrev_b64_e32 v[42:43], 3, v[2:3]
	s_delay_alu instid0(VALU_DEP_1) | instskip(SKIP_1) | instid1(VALU_DEP_2)
	v_add_co_u32 v42, s16, s38, v42
	s_wait_alu 0xf1ff
	v_add_co_ci_u32_e64 v43, null, s39, v43, s16
	global_store_b64 v[42:43], v[36:37], off
	s_wait_alu 0xfffe
	s_or_b32 exec_lo, exec_lo, s17
	v_cmp_lt_u32_e64 s16, v78, v162
	s_and_saveexec_b32 s18, s16
	s_cbranch_execz .LBB1153_182
.LBB1153_250:                           ;   in Loop: Header=BB1153_101 Depth=2
	ds_load_b64 v[36:37], v108 offset:5120
	s_wait_dscnt 0x0
	v_cmp_ne_u64_e64 s17, s[34:35], v[36:37]
	s_wait_alu 0xf1ff
	s_delay_alu instid0(VALU_DEP_1) | instskip(SKIP_2) | instid1(VALU_DEP_2)
	v_cndmask_b32_e64 v43, 0x7fffffff, v37, s17
	v_cndmask_b32_e64 v42, -1, v36, s17
	v_cmp_gt_i64_e64 s17, 0, v[36:37]
	v_lshrrev_b64 v[42:43], s48, v[42:43]
	s_wait_alu 0xf1ff
	s_delay_alu instid0(VALU_DEP_2) | instskip(NEXT) | instid1(VALU_DEP_2)
	v_cndmask_b32_e64 v44, 0x7fffffff, 0, s17
	v_and_b32_e32 v2, s57, v42
	v_ashrrev_i32_e32 v42, 31, v37
	s_delay_alu instid0(VALU_DEP_3) | instskip(NEXT) | instid1(VALU_DEP_3)
	v_xor_b32_e32 v37, v44, v37
	v_lshlrev_b32_e32 v2, 2, v2
	s_delay_alu instid0(VALU_DEP_3) | instskip(SKIP_4) | instid1(VALU_DEP_1)
	v_not_b32_e32 v45, v42
	ds_load_b32 v2, v2
	v_xor_b32_e32 v36, v45, v36
	s_wait_dscnt 0x0
	v_add_nc_u32_e32 v2, v2, v78
	v_lshlrev_b64_e32 v[42:43], 3, v[2:3]
	s_delay_alu instid0(VALU_DEP_1) | instskip(SKIP_1) | instid1(VALU_DEP_2)
	v_add_co_u32 v42, s17, s38, v42
	s_wait_alu 0xf1ff
	v_add_co_ci_u32_e64 v43, null, s39, v43, s17
	global_store_b64 v[42:43], v[36:37], off
	s_wait_alu 0xfffe
	s_or_b32 exec_lo, exec_lo, s18
	v_cmp_lt_u32_e64 s17, v79, v162
	s_and_saveexec_b32 s19, s17
	s_cbranch_execz .LBB1153_183
.LBB1153_251:                           ;   in Loop: Header=BB1153_101 Depth=2
	ds_load_b64 v[36:37], v108 offset:7168
	s_wait_dscnt 0x0
	v_cmp_ne_u64_e64 s18, s[34:35], v[36:37]
	s_wait_alu 0xf1ff
	s_delay_alu instid0(VALU_DEP_1) | instskip(SKIP_2) | instid1(VALU_DEP_2)
	v_cndmask_b32_e64 v43, 0x7fffffff, v37, s18
	v_cndmask_b32_e64 v42, -1, v36, s18
	v_cmp_gt_i64_e64 s18, 0, v[36:37]
	v_lshrrev_b64 v[42:43], s48, v[42:43]
	s_wait_alu 0xf1ff
	s_delay_alu instid0(VALU_DEP_2) | instskip(NEXT) | instid1(VALU_DEP_2)
	v_cndmask_b32_e64 v44, 0x7fffffff, 0, s18
	v_and_b32_e32 v2, s57, v42
	v_ashrrev_i32_e32 v42, 31, v37
	s_delay_alu instid0(VALU_DEP_3) | instskip(NEXT) | instid1(VALU_DEP_3)
	v_xor_b32_e32 v37, v44, v37
	v_lshlrev_b32_e32 v2, 2, v2
	s_delay_alu instid0(VALU_DEP_3) | instskip(SKIP_4) | instid1(VALU_DEP_1)
	v_not_b32_e32 v45, v42
	ds_load_b32 v2, v2
	v_xor_b32_e32 v36, v45, v36
	s_wait_dscnt 0x0
	v_add_nc_u32_e32 v2, v2, v79
	v_lshlrev_b64_e32 v[42:43], 3, v[2:3]
	s_delay_alu instid0(VALU_DEP_1) | instskip(SKIP_1) | instid1(VALU_DEP_2)
	v_add_co_u32 v42, s18, s38, v42
	s_wait_alu 0xf1ff
	v_add_co_ci_u32_e64 v43, null, s39, v43, s18
	global_store_b64 v[42:43], v[36:37], off
	s_wait_alu 0xfffe
	s_or_b32 exec_lo, exec_lo, s19
	v_cmp_lt_u32_e64 s18, v82, v162
	s_and_saveexec_b32 s20, s18
	s_cbranch_execz .LBB1153_184
.LBB1153_252:                           ;   in Loop: Header=BB1153_101 Depth=2
	ds_load_b64 v[36:37], v108 offset:9216
	s_wait_dscnt 0x0
	v_cmp_ne_u64_e64 s19, s[34:35], v[36:37]
	s_wait_alu 0xf1ff
	s_delay_alu instid0(VALU_DEP_1) | instskip(SKIP_2) | instid1(VALU_DEP_2)
	v_cndmask_b32_e64 v43, 0x7fffffff, v37, s19
	v_cndmask_b32_e64 v42, -1, v36, s19
	v_cmp_gt_i64_e64 s19, 0, v[36:37]
	v_lshrrev_b64 v[42:43], s48, v[42:43]
	s_wait_alu 0xf1ff
	s_delay_alu instid0(VALU_DEP_2) | instskip(NEXT) | instid1(VALU_DEP_2)
	v_cndmask_b32_e64 v44, 0x7fffffff, 0, s19
	v_and_b32_e32 v2, s57, v42
	v_ashrrev_i32_e32 v42, 31, v37
	s_delay_alu instid0(VALU_DEP_3) | instskip(NEXT) | instid1(VALU_DEP_3)
	v_xor_b32_e32 v37, v44, v37
	v_lshlrev_b32_e32 v2, 2, v2
	s_delay_alu instid0(VALU_DEP_3) | instskip(SKIP_4) | instid1(VALU_DEP_1)
	v_not_b32_e32 v45, v42
	ds_load_b32 v2, v2
	v_xor_b32_e32 v36, v45, v36
	s_wait_dscnt 0x0
	v_add_nc_u32_e32 v2, v2, v82
	v_lshlrev_b64_e32 v[42:43], 3, v[2:3]
	s_delay_alu instid0(VALU_DEP_1) | instskip(SKIP_1) | instid1(VALU_DEP_2)
	v_add_co_u32 v42, s19, s38, v42
	s_wait_alu 0xf1ff
	v_add_co_ci_u32_e64 v43, null, s39, v43, s19
	global_store_b64 v[42:43], v[36:37], off
	s_wait_alu 0xfffe
	s_or_b32 exec_lo, exec_lo, s20
	v_cmp_lt_u32_e64 s19, v83, v162
	s_and_saveexec_b32 s21, s19
	s_cbranch_execz .LBB1153_185
.LBB1153_253:                           ;   in Loop: Header=BB1153_101 Depth=2
	ds_load_b64 v[36:37], v108 offset:11264
	s_wait_dscnt 0x0
	v_cmp_ne_u64_e64 s20, s[34:35], v[36:37]
	s_wait_alu 0xf1ff
	s_delay_alu instid0(VALU_DEP_1) | instskip(SKIP_2) | instid1(VALU_DEP_2)
	v_cndmask_b32_e64 v43, 0x7fffffff, v37, s20
	v_cndmask_b32_e64 v42, -1, v36, s20
	v_cmp_gt_i64_e64 s20, 0, v[36:37]
	v_lshrrev_b64 v[42:43], s48, v[42:43]
	s_wait_alu 0xf1ff
	s_delay_alu instid0(VALU_DEP_2) | instskip(NEXT) | instid1(VALU_DEP_2)
	v_cndmask_b32_e64 v44, 0x7fffffff, 0, s20
	v_and_b32_e32 v2, s57, v42
	v_ashrrev_i32_e32 v42, 31, v37
	s_delay_alu instid0(VALU_DEP_3) | instskip(NEXT) | instid1(VALU_DEP_3)
	v_xor_b32_e32 v37, v44, v37
	v_lshlrev_b32_e32 v2, 2, v2
	s_delay_alu instid0(VALU_DEP_3) | instskip(SKIP_4) | instid1(VALU_DEP_1)
	v_not_b32_e32 v45, v42
	ds_load_b32 v2, v2
	v_xor_b32_e32 v36, v45, v36
	s_wait_dscnt 0x0
	v_add_nc_u32_e32 v2, v2, v83
	v_lshlrev_b64_e32 v[42:43], 3, v[2:3]
	s_delay_alu instid0(VALU_DEP_1) | instskip(SKIP_1) | instid1(VALU_DEP_2)
	v_add_co_u32 v42, s20, s38, v42
	s_wait_alu 0xf1ff
	v_add_co_ci_u32_e64 v43, null, s39, v43, s20
	global_store_b64 v[42:43], v[36:37], off
	s_wait_alu 0xfffe
	s_or_b32 exec_lo, exec_lo, s21
	v_cmp_lt_u32_e64 s20, v84, v162
	s_and_saveexec_b32 s22, s20
	s_cbranch_execz .LBB1153_186
.LBB1153_254:                           ;   in Loop: Header=BB1153_101 Depth=2
	ds_load_b64 v[36:37], v108 offset:13312
	s_wait_dscnt 0x0
	v_cmp_ne_u64_e64 s21, s[34:35], v[36:37]
	s_wait_alu 0xf1ff
	s_delay_alu instid0(VALU_DEP_1) | instskip(SKIP_2) | instid1(VALU_DEP_2)
	v_cndmask_b32_e64 v43, 0x7fffffff, v37, s21
	v_cndmask_b32_e64 v42, -1, v36, s21
	v_cmp_gt_i64_e64 s21, 0, v[36:37]
	v_lshrrev_b64 v[42:43], s48, v[42:43]
	s_wait_alu 0xf1ff
	s_delay_alu instid0(VALU_DEP_2) | instskip(NEXT) | instid1(VALU_DEP_2)
	v_cndmask_b32_e64 v44, 0x7fffffff, 0, s21
	v_and_b32_e32 v2, s57, v42
	v_ashrrev_i32_e32 v42, 31, v37
	s_delay_alu instid0(VALU_DEP_3) | instskip(NEXT) | instid1(VALU_DEP_3)
	v_xor_b32_e32 v37, v44, v37
	v_lshlrev_b32_e32 v2, 2, v2
	s_delay_alu instid0(VALU_DEP_3) | instskip(SKIP_4) | instid1(VALU_DEP_1)
	v_not_b32_e32 v45, v42
	ds_load_b32 v2, v2
	v_xor_b32_e32 v36, v45, v36
	s_wait_dscnt 0x0
	v_add_nc_u32_e32 v2, v2, v84
	v_lshlrev_b64_e32 v[42:43], 3, v[2:3]
	s_delay_alu instid0(VALU_DEP_1) | instskip(SKIP_1) | instid1(VALU_DEP_2)
	v_add_co_u32 v42, s21, s38, v42
	s_wait_alu 0xf1ff
	v_add_co_ci_u32_e64 v43, null, s39, v43, s21
	global_store_b64 v[42:43], v[36:37], off
	s_wait_alu 0xfffe
	s_or_b32 exec_lo, exec_lo, s22
	v_cmp_lt_u32_e64 s21, v85, v162
	s_and_saveexec_b32 s23, s21
	s_cbranch_execz .LBB1153_187
.LBB1153_255:                           ;   in Loop: Header=BB1153_101 Depth=2
	ds_load_b64 v[36:37], v108 offset:15360
	s_wait_dscnt 0x0
	v_cmp_ne_u64_e64 s22, s[34:35], v[36:37]
	s_wait_alu 0xf1ff
	s_delay_alu instid0(VALU_DEP_1) | instskip(SKIP_2) | instid1(VALU_DEP_2)
	v_cndmask_b32_e64 v43, 0x7fffffff, v37, s22
	v_cndmask_b32_e64 v42, -1, v36, s22
	v_cmp_gt_i64_e64 s22, 0, v[36:37]
	v_lshrrev_b64 v[42:43], s48, v[42:43]
	s_wait_alu 0xf1ff
	s_delay_alu instid0(VALU_DEP_2) | instskip(NEXT) | instid1(VALU_DEP_2)
	v_cndmask_b32_e64 v44, 0x7fffffff, 0, s22
	v_and_b32_e32 v2, s57, v42
	v_ashrrev_i32_e32 v42, 31, v37
	s_delay_alu instid0(VALU_DEP_3) | instskip(NEXT) | instid1(VALU_DEP_3)
	v_xor_b32_e32 v37, v44, v37
	v_lshlrev_b32_e32 v2, 2, v2
	s_delay_alu instid0(VALU_DEP_3) | instskip(SKIP_4) | instid1(VALU_DEP_1)
	v_not_b32_e32 v45, v42
	ds_load_b32 v2, v2
	v_xor_b32_e32 v36, v45, v36
	s_wait_dscnt 0x0
	v_add_nc_u32_e32 v2, v2, v85
	v_lshlrev_b64_e32 v[42:43], 3, v[2:3]
	s_delay_alu instid0(VALU_DEP_1) | instskip(SKIP_1) | instid1(VALU_DEP_2)
	v_add_co_u32 v42, s22, s38, v42
	s_wait_alu 0xf1ff
	v_add_co_ci_u32_e64 v43, null, s39, v43, s22
	global_store_b64 v[42:43], v[36:37], off
	s_wait_alu 0xfffe
	s_or_b32 exec_lo, exec_lo, s23
	v_cmp_lt_u32_e64 s22, v86, v162
	s_and_saveexec_b32 s24, s22
	s_cbranch_execz .LBB1153_188
.LBB1153_256:                           ;   in Loop: Header=BB1153_101 Depth=2
	ds_load_b64 v[36:37], v108 offset:17408
	s_wait_dscnt 0x0
	v_cmp_ne_u64_e64 s23, s[34:35], v[36:37]
	s_wait_alu 0xf1ff
	s_delay_alu instid0(VALU_DEP_1) | instskip(SKIP_2) | instid1(VALU_DEP_2)
	v_cndmask_b32_e64 v43, 0x7fffffff, v37, s23
	v_cndmask_b32_e64 v42, -1, v36, s23
	v_cmp_gt_i64_e64 s23, 0, v[36:37]
	v_lshrrev_b64 v[42:43], s48, v[42:43]
	s_wait_alu 0xf1ff
	s_delay_alu instid0(VALU_DEP_2) | instskip(NEXT) | instid1(VALU_DEP_2)
	v_cndmask_b32_e64 v44, 0x7fffffff, 0, s23
	v_and_b32_e32 v2, s57, v42
	v_ashrrev_i32_e32 v42, 31, v37
	s_delay_alu instid0(VALU_DEP_3) | instskip(NEXT) | instid1(VALU_DEP_3)
	v_xor_b32_e32 v37, v44, v37
	v_lshlrev_b32_e32 v2, 2, v2
	s_delay_alu instid0(VALU_DEP_3) | instskip(SKIP_4) | instid1(VALU_DEP_1)
	v_not_b32_e32 v45, v42
	ds_load_b32 v2, v2
	v_xor_b32_e32 v36, v45, v36
	s_wait_dscnt 0x0
	v_add_nc_u32_e32 v2, v2, v86
	v_lshlrev_b64_e32 v[42:43], 3, v[2:3]
	s_delay_alu instid0(VALU_DEP_1) | instskip(SKIP_1) | instid1(VALU_DEP_2)
	v_add_co_u32 v42, s23, s38, v42
	s_wait_alu 0xf1ff
	v_add_co_ci_u32_e64 v43, null, s39, v43, s23
	global_store_b64 v[42:43], v[36:37], off
	s_wait_alu 0xfffe
	s_or_b32 exec_lo, exec_lo, s24
	v_cmp_lt_u32_e64 s23, v87, v162
	s_and_saveexec_b32 s25, s23
	s_cbranch_execz .LBB1153_189
.LBB1153_257:                           ;   in Loop: Header=BB1153_101 Depth=2
	ds_load_b64 v[36:37], v108 offset:19456
	s_wait_dscnt 0x0
	v_cmp_ne_u64_e64 s24, s[34:35], v[36:37]
	s_wait_alu 0xf1ff
	s_delay_alu instid0(VALU_DEP_1) | instskip(SKIP_2) | instid1(VALU_DEP_2)
	v_cndmask_b32_e64 v43, 0x7fffffff, v37, s24
	v_cndmask_b32_e64 v42, -1, v36, s24
	v_cmp_gt_i64_e64 s24, 0, v[36:37]
	v_lshrrev_b64 v[42:43], s48, v[42:43]
	s_wait_alu 0xf1ff
	s_delay_alu instid0(VALU_DEP_2) | instskip(NEXT) | instid1(VALU_DEP_2)
	v_cndmask_b32_e64 v44, 0x7fffffff, 0, s24
	v_and_b32_e32 v2, s57, v42
	v_ashrrev_i32_e32 v42, 31, v37
	s_delay_alu instid0(VALU_DEP_3) | instskip(NEXT) | instid1(VALU_DEP_3)
	v_xor_b32_e32 v37, v44, v37
	v_lshlrev_b32_e32 v2, 2, v2
	s_delay_alu instid0(VALU_DEP_3) | instskip(SKIP_4) | instid1(VALU_DEP_1)
	v_not_b32_e32 v45, v42
	ds_load_b32 v2, v2
	v_xor_b32_e32 v36, v45, v36
	s_wait_dscnt 0x0
	v_add_nc_u32_e32 v2, v2, v87
	v_lshlrev_b64_e32 v[42:43], 3, v[2:3]
	s_delay_alu instid0(VALU_DEP_1) | instskip(SKIP_1) | instid1(VALU_DEP_2)
	v_add_co_u32 v42, s24, s38, v42
	s_wait_alu 0xf1ff
	v_add_co_ci_u32_e64 v43, null, s39, v43, s24
	global_store_b64 v[42:43], v[36:37], off
	s_wait_alu 0xfffe
	s_or_b32 exec_lo, exec_lo, s25
	v_cmp_lt_u32_e64 s24, v88, v162
	s_and_saveexec_b32 s26, s24
	s_cbranch_execz .LBB1153_190
.LBB1153_258:                           ;   in Loop: Header=BB1153_101 Depth=2
	ds_load_b64 v[36:37], v108 offset:21504
	s_wait_dscnt 0x0
	v_cmp_ne_u64_e64 s25, s[34:35], v[36:37]
	s_wait_alu 0xf1ff
	s_delay_alu instid0(VALU_DEP_1) | instskip(SKIP_2) | instid1(VALU_DEP_2)
	v_cndmask_b32_e64 v43, 0x7fffffff, v37, s25
	v_cndmask_b32_e64 v42, -1, v36, s25
	v_cmp_gt_i64_e64 s25, 0, v[36:37]
	v_lshrrev_b64 v[42:43], s48, v[42:43]
	s_wait_alu 0xf1ff
	s_delay_alu instid0(VALU_DEP_2) | instskip(NEXT) | instid1(VALU_DEP_2)
	v_cndmask_b32_e64 v44, 0x7fffffff, 0, s25
	v_and_b32_e32 v2, s57, v42
	v_ashrrev_i32_e32 v42, 31, v37
	s_delay_alu instid0(VALU_DEP_3) | instskip(NEXT) | instid1(VALU_DEP_3)
	v_xor_b32_e32 v37, v44, v37
	v_lshlrev_b32_e32 v2, 2, v2
	s_delay_alu instid0(VALU_DEP_3) | instskip(SKIP_4) | instid1(VALU_DEP_1)
	v_not_b32_e32 v45, v42
	ds_load_b32 v2, v2
	v_xor_b32_e32 v36, v45, v36
	s_wait_dscnt 0x0
	v_add_nc_u32_e32 v2, v2, v88
	v_lshlrev_b64_e32 v[42:43], 3, v[2:3]
	s_delay_alu instid0(VALU_DEP_1) | instskip(SKIP_1) | instid1(VALU_DEP_2)
	v_add_co_u32 v42, s25, s38, v42
	s_wait_alu 0xf1ff
	v_add_co_ci_u32_e64 v43, null, s39, v43, s25
	global_store_b64 v[42:43], v[36:37], off
	s_wait_alu 0xfffe
	s_or_b32 exec_lo, exec_lo, s26
	v_cmp_lt_u32_e64 s25, v89, v162
	s_and_saveexec_b32 s27, s25
	s_cbranch_execz .LBB1153_191
.LBB1153_259:                           ;   in Loop: Header=BB1153_101 Depth=2
	ds_load_b64 v[36:37], v108 offset:23552
	s_wait_dscnt 0x0
	v_cmp_ne_u64_e64 s26, s[34:35], v[36:37]
	s_wait_alu 0xf1ff
	s_delay_alu instid0(VALU_DEP_1) | instskip(SKIP_2) | instid1(VALU_DEP_2)
	v_cndmask_b32_e64 v43, 0x7fffffff, v37, s26
	v_cndmask_b32_e64 v42, -1, v36, s26
	v_cmp_gt_i64_e64 s26, 0, v[36:37]
	v_lshrrev_b64 v[42:43], s48, v[42:43]
	s_wait_alu 0xf1ff
	s_delay_alu instid0(VALU_DEP_2) | instskip(NEXT) | instid1(VALU_DEP_2)
	v_cndmask_b32_e64 v44, 0x7fffffff, 0, s26
	v_and_b32_e32 v2, s57, v42
	v_ashrrev_i32_e32 v42, 31, v37
	s_delay_alu instid0(VALU_DEP_3) | instskip(NEXT) | instid1(VALU_DEP_3)
	v_xor_b32_e32 v37, v44, v37
	v_lshlrev_b32_e32 v2, 2, v2
	s_delay_alu instid0(VALU_DEP_3) | instskip(SKIP_4) | instid1(VALU_DEP_1)
	v_not_b32_e32 v45, v42
	ds_load_b32 v2, v2
	v_xor_b32_e32 v36, v45, v36
	s_wait_dscnt 0x0
	v_add_nc_u32_e32 v2, v2, v89
	v_lshlrev_b64_e32 v[42:43], 3, v[2:3]
	s_delay_alu instid0(VALU_DEP_1) | instskip(SKIP_1) | instid1(VALU_DEP_2)
	v_add_co_u32 v42, s26, s38, v42
	s_wait_alu 0xf1ff
	v_add_co_ci_u32_e64 v43, null, s39, v43, s26
	global_store_b64 v[42:43], v[36:37], off
	s_wait_alu 0xfffe
	s_or_b32 exec_lo, exec_lo, s27
	v_cmp_lt_u32_e64 s26, v90, v162
	s_and_saveexec_b32 s28, s26
	s_cbranch_execz .LBB1153_192
.LBB1153_260:                           ;   in Loop: Header=BB1153_101 Depth=2
	ds_load_b64 v[36:37], v108 offset:25600
	s_wait_dscnt 0x0
	v_cmp_ne_u64_e64 s27, s[34:35], v[36:37]
	s_wait_alu 0xf1ff
	s_delay_alu instid0(VALU_DEP_1) | instskip(SKIP_2) | instid1(VALU_DEP_2)
	v_cndmask_b32_e64 v43, 0x7fffffff, v37, s27
	v_cndmask_b32_e64 v42, -1, v36, s27
	v_cmp_gt_i64_e64 s27, 0, v[36:37]
	v_lshrrev_b64 v[42:43], s48, v[42:43]
	s_wait_alu 0xf1ff
	s_delay_alu instid0(VALU_DEP_2) | instskip(NEXT) | instid1(VALU_DEP_2)
	v_cndmask_b32_e64 v44, 0x7fffffff, 0, s27
	v_and_b32_e32 v2, s57, v42
	v_ashrrev_i32_e32 v42, 31, v37
	s_delay_alu instid0(VALU_DEP_3) | instskip(NEXT) | instid1(VALU_DEP_3)
	v_xor_b32_e32 v37, v44, v37
	v_lshlrev_b32_e32 v2, 2, v2
	s_delay_alu instid0(VALU_DEP_3) | instskip(SKIP_4) | instid1(VALU_DEP_1)
	v_not_b32_e32 v45, v42
	ds_load_b32 v2, v2
	v_xor_b32_e32 v36, v45, v36
	s_wait_dscnt 0x0
	v_add_nc_u32_e32 v2, v2, v90
	v_lshlrev_b64_e32 v[42:43], 3, v[2:3]
	s_delay_alu instid0(VALU_DEP_1) | instskip(SKIP_1) | instid1(VALU_DEP_2)
	v_add_co_u32 v42, s27, s38, v42
	s_wait_alu 0xf1ff
	v_add_co_ci_u32_e64 v43, null, s39, v43, s27
	global_store_b64 v[42:43], v[36:37], off
	s_wait_alu 0xfffe
	s_or_b32 exec_lo, exec_lo, s28
	v_cmp_lt_u32_e64 s27, v91, v162
	s_and_saveexec_b32 s29, s27
	s_cbranch_execz .LBB1153_193
.LBB1153_261:                           ;   in Loop: Header=BB1153_101 Depth=2
	ds_load_b64 v[36:37], v108 offset:27648
	s_wait_dscnt 0x0
	v_cmp_ne_u64_e64 s28, s[34:35], v[36:37]
	s_wait_alu 0xf1ff
	s_delay_alu instid0(VALU_DEP_1) | instskip(SKIP_2) | instid1(VALU_DEP_2)
	v_cndmask_b32_e64 v43, 0x7fffffff, v37, s28
	v_cndmask_b32_e64 v42, -1, v36, s28
	v_cmp_gt_i64_e64 s28, 0, v[36:37]
	v_lshrrev_b64 v[42:43], s48, v[42:43]
	s_wait_alu 0xf1ff
	s_delay_alu instid0(VALU_DEP_2) | instskip(NEXT) | instid1(VALU_DEP_2)
	v_cndmask_b32_e64 v44, 0x7fffffff, 0, s28
	v_and_b32_e32 v2, s57, v42
	v_ashrrev_i32_e32 v42, 31, v37
	s_delay_alu instid0(VALU_DEP_3) | instskip(NEXT) | instid1(VALU_DEP_3)
	v_xor_b32_e32 v37, v44, v37
	v_lshlrev_b32_e32 v2, 2, v2
	s_delay_alu instid0(VALU_DEP_3) | instskip(SKIP_4) | instid1(VALU_DEP_1)
	v_not_b32_e32 v45, v42
	ds_load_b32 v2, v2
	v_xor_b32_e32 v36, v45, v36
	s_wait_dscnt 0x0
	v_add_nc_u32_e32 v2, v2, v91
	v_lshlrev_b64_e32 v[42:43], 3, v[2:3]
	s_delay_alu instid0(VALU_DEP_1) | instskip(SKIP_1) | instid1(VALU_DEP_2)
	v_add_co_u32 v42, s28, s38, v42
	s_wait_alu 0xf1ff
	v_add_co_ci_u32_e64 v43, null, s39, v43, s28
	global_store_b64 v[42:43], v[36:37], off
	s_wait_alu 0xfffe
	s_or_b32 exec_lo, exec_lo, s29
	v_cmp_lt_u32_e64 s28, v92, v162
	s_and_saveexec_b32 s30, s28
	s_cbranch_execz .LBB1153_194
.LBB1153_262:                           ;   in Loop: Header=BB1153_101 Depth=2
	ds_load_b64 v[36:37], v108 offset:29696
	s_wait_dscnt 0x0
	v_cmp_ne_u64_e64 s29, s[34:35], v[36:37]
	s_wait_alu 0xf1ff
	s_delay_alu instid0(VALU_DEP_1) | instskip(SKIP_2) | instid1(VALU_DEP_2)
	v_cndmask_b32_e64 v43, 0x7fffffff, v37, s29
	v_cndmask_b32_e64 v42, -1, v36, s29
	v_cmp_gt_i64_e64 s29, 0, v[36:37]
	v_lshrrev_b64 v[42:43], s48, v[42:43]
	s_wait_alu 0xf1ff
	s_delay_alu instid0(VALU_DEP_2) | instskip(NEXT) | instid1(VALU_DEP_2)
	v_cndmask_b32_e64 v44, 0x7fffffff, 0, s29
	v_and_b32_e32 v2, s57, v42
	v_ashrrev_i32_e32 v42, 31, v37
	s_delay_alu instid0(VALU_DEP_3) | instskip(NEXT) | instid1(VALU_DEP_3)
	v_xor_b32_e32 v37, v44, v37
	v_lshlrev_b32_e32 v2, 2, v2
	s_delay_alu instid0(VALU_DEP_3) | instskip(SKIP_4) | instid1(VALU_DEP_1)
	v_not_b32_e32 v45, v42
	ds_load_b32 v2, v2
	v_xor_b32_e32 v36, v45, v36
	s_wait_dscnt 0x0
	v_add_nc_u32_e32 v2, v2, v92
	v_lshlrev_b64_e32 v[42:43], 3, v[2:3]
	s_delay_alu instid0(VALU_DEP_1) | instskip(SKIP_1) | instid1(VALU_DEP_2)
	v_add_co_u32 v42, s29, s38, v42
	s_wait_alu 0xf1ff
	v_add_co_ci_u32_e64 v43, null, s39, v43, s29
	global_store_b64 v[42:43], v[36:37], off
	s_wait_alu 0xfffe
	s_or_b32 exec_lo, exec_lo, s30
	v_cmp_lt_u32_e64 s29, v93, v162
	s_and_saveexec_b32 s43, s29
	s_cbranch_execnz .LBB1153_195
	s_branch .LBB1153_196
.LBB1153_263:                           ;   in Loop: Header=BB1153_101 Depth=2
	global_load_b64 v[34:35], v[36:37], off
	s_wait_alu 0xfffe
	s_or_b32 exec_lo, exec_lo, s30
	s_delay_alu instid0(SALU_CYCLE_1)
	s_mov_b32 s42, exec_lo
	v_cmpx_lt_u32_e64 v128, v162
	s_cbranch_execz .LBB1153_198
.LBB1153_264:                           ;   in Loop: Header=BB1153_101 Depth=2
	global_load_b64 v[32:33], v[36:37], off offset:256
	s_wait_alu 0xfffe
	s_or_b32 exec_lo, exec_lo, s42
	s_delay_alu instid0(SALU_CYCLE_1)
	s_mov_b32 s42, exec_lo
	v_cmpx_lt_u32_e64 v129, v162
	s_cbranch_execz .LBB1153_199
.LBB1153_265:                           ;   in Loop: Header=BB1153_101 Depth=2
	global_load_b64 v[30:31], v[36:37], off offset:512
	s_wait_alu 0xfffe
	s_or_b32 exec_lo, exec_lo, s42
	s_delay_alu instid0(SALU_CYCLE_1)
	s_mov_b32 s42, exec_lo
	v_cmpx_lt_u32_e64 v130, v162
	s_cbranch_execz .LBB1153_200
.LBB1153_266:                           ;   in Loop: Header=BB1153_101 Depth=2
	global_load_b64 v[28:29], v[36:37], off offset:768
	s_wait_alu 0xfffe
	s_or_b32 exec_lo, exec_lo, s42
	s_delay_alu instid0(SALU_CYCLE_1)
	s_mov_b32 s42, exec_lo
	v_cmpx_lt_u32_e64 v131, v162
	s_cbranch_execz .LBB1153_201
.LBB1153_267:                           ;   in Loop: Header=BB1153_101 Depth=2
	global_load_b64 v[26:27], v[36:37], off offset:1024
	s_wait_alu 0xfffe
	s_or_b32 exec_lo, exec_lo, s42
	s_delay_alu instid0(SALU_CYCLE_1)
	s_mov_b32 s42, exec_lo
	v_cmpx_lt_u32_e64 v132, v162
	s_cbranch_execz .LBB1153_202
.LBB1153_268:                           ;   in Loop: Header=BB1153_101 Depth=2
	global_load_b64 v[24:25], v[36:37], off offset:1280
	s_wait_alu 0xfffe
	s_or_b32 exec_lo, exec_lo, s42
	s_delay_alu instid0(SALU_CYCLE_1)
	s_mov_b32 s42, exec_lo
	v_cmpx_lt_u32_e64 v133, v162
	s_cbranch_execz .LBB1153_203
.LBB1153_269:                           ;   in Loop: Header=BB1153_101 Depth=2
	global_load_b64 v[22:23], v[36:37], off offset:1536
	s_wait_alu 0xfffe
	s_or_b32 exec_lo, exec_lo, s42
	s_delay_alu instid0(SALU_CYCLE_1)
	s_mov_b32 s42, exec_lo
	v_cmpx_lt_u32_e64 v134, v162
	s_cbranch_execz .LBB1153_204
.LBB1153_270:                           ;   in Loop: Header=BB1153_101 Depth=2
	global_load_b64 v[20:21], v[36:37], off offset:1792
	s_wait_alu 0xfffe
	s_or_b32 exec_lo, exec_lo, s42
	s_delay_alu instid0(SALU_CYCLE_1)
	s_mov_b32 s42, exec_lo
	v_cmpx_lt_u32_e64 v135, v162
	s_cbranch_execz .LBB1153_205
.LBB1153_271:                           ;   in Loop: Header=BB1153_101 Depth=2
	global_load_b64 v[18:19], v[36:37], off offset:2048
	s_wait_alu 0xfffe
	s_or_b32 exec_lo, exec_lo, s42
	s_delay_alu instid0(SALU_CYCLE_1)
	s_mov_b32 s42, exec_lo
	v_cmpx_lt_u32_e64 v136, v162
	s_cbranch_execz .LBB1153_206
.LBB1153_272:                           ;   in Loop: Header=BB1153_101 Depth=2
	global_load_b64 v[16:17], v[36:37], off offset:2304
	s_wait_alu 0xfffe
	s_or_b32 exec_lo, exec_lo, s42
	s_delay_alu instid0(SALU_CYCLE_1)
	s_mov_b32 s42, exec_lo
	v_cmpx_lt_u32_e64 v137, v162
	s_cbranch_execz .LBB1153_207
.LBB1153_273:                           ;   in Loop: Header=BB1153_101 Depth=2
	global_load_b64 v[14:15], v[36:37], off offset:2560
	s_wait_alu 0xfffe
	s_or_b32 exec_lo, exec_lo, s42
	s_delay_alu instid0(SALU_CYCLE_1)
	s_mov_b32 s42, exec_lo
	v_cmpx_lt_u32_e64 v138, v162
	s_cbranch_execz .LBB1153_208
.LBB1153_274:                           ;   in Loop: Header=BB1153_101 Depth=2
	global_load_b64 v[12:13], v[36:37], off offset:2816
	s_wait_alu 0xfffe
	s_or_b32 exec_lo, exec_lo, s42
	s_delay_alu instid0(SALU_CYCLE_1)
	s_mov_b32 s42, exec_lo
	v_cmpx_lt_u32_e64 v139, v162
	s_cbranch_execz .LBB1153_209
.LBB1153_275:                           ;   in Loop: Header=BB1153_101 Depth=2
	global_load_b64 v[10:11], v[36:37], off offset:3072
	s_wait_alu 0xfffe
	s_or_b32 exec_lo, exec_lo, s42
	s_delay_alu instid0(SALU_CYCLE_1)
	s_mov_b32 s42, exec_lo
	v_cmpx_lt_u32_e64 v140, v162
	s_cbranch_execz .LBB1153_210
.LBB1153_276:                           ;   in Loop: Header=BB1153_101 Depth=2
	global_load_b64 v[8:9], v[36:37], off offset:3328
	s_wait_alu 0xfffe
	s_or_b32 exec_lo, exec_lo, s42
	s_delay_alu instid0(SALU_CYCLE_1)
	s_mov_b32 s42, exec_lo
	v_cmpx_lt_u32_e64 v141, v162
	s_cbranch_execz .LBB1153_211
.LBB1153_277:                           ;   in Loop: Header=BB1153_101 Depth=2
	global_load_b64 v[6:7], v[36:37], off offset:3584
	s_wait_alu 0xfffe
	s_or_b32 exec_lo, exec_lo, s42
	s_delay_alu instid0(SALU_CYCLE_1)
	s_mov_b32 s42, exec_lo
	v_cmpx_lt_u32_e64 v142, v162
	s_cbranch_execz .LBB1153_212
.LBB1153_278:                           ;   in Loop: Header=BB1153_101 Depth=2
	global_load_b64 v[4:5], v[36:37], off offset:3840
	s_wait_alu 0xfffe
	s_or_b32 exec_lo, exec_lo, s42
	s_and_saveexec_b32 s42, vcc_lo
	s_cbranch_execz .LBB1153_213
.LBB1153_279:                           ;   in Loop: Header=BB1153_101 Depth=2
	ds_load_b64 v[36:37], v108 offset:1024
	s_wait_dscnt 0x0
	v_cmp_ne_u64_e64 s30, s[34:35], v[36:37]
	s_wait_alu 0xf1ff
	s_delay_alu instid0(VALU_DEP_1) | instskip(SKIP_1) | instid1(VALU_DEP_1)
	v_cndmask_b32_e64 v37, 0x7fffffff, v37, s30
	v_cndmask_b32_e64 v36, -1, v36, s30
	v_lshrrev_b64 v[36:37], s48, v[36:37]
	s_delay_alu instid0(VALU_DEP_1)
	v_and_b32_e32 v161, s57, v36
	s_wait_alu 0xfffe
	s_or_b32 exec_lo, exec_lo, s42
	s_and_saveexec_b32 s42, s15
	s_cbranch_execz .LBB1153_214
.LBB1153_280:                           ;   in Loop: Header=BB1153_101 Depth=2
	ds_load_b64 v[36:37], v108 offset:3072
	s_wait_dscnt 0x0
	v_cmp_ne_u64_e64 s30, s[34:35], v[36:37]
	s_wait_alu 0xf1ff
	s_delay_alu instid0(VALU_DEP_1) | instskip(SKIP_1) | instid1(VALU_DEP_1)
	v_cndmask_b32_e64 v37, 0x7fffffff, v37, s30
	v_cndmask_b32_e64 v36, -1, v36, s30
	v_lshrrev_b64 v[36:37], s48, v[36:37]
	s_delay_alu instid0(VALU_DEP_1)
	v_and_b32_e32 v160, s57, v36
	s_wait_alu 0xfffe
	s_or_b32 exec_lo, exec_lo, s42
	s_and_saveexec_b32 s42, s16
	s_cbranch_execz .LBB1153_215
.LBB1153_281:                           ;   in Loop: Header=BB1153_101 Depth=2
	ds_load_b64 v[36:37], v108 offset:5120
	s_wait_dscnt 0x0
	v_cmp_ne_u64_e64 s30, s[34:35], v[36:37]
	s_wait_alu 0xf1ff
	s_delay_alu instid0(VALU_DEP_1) | instskip(SKIP_1) | instid1(VALU_DEP_1)
	v_cndmask_b32_e64 v37, 0x7fffffff, v37, s30
	v_cndmask_b32_e64 v36, -1, v36, s30
	v_lshrrev_b64 v[36:37], s48, v[36:37]
	s_delay_alu instid0(VALU_DEP_1)
	v_and_b32_e32 v159, s57, v36
	s_wait_alu 0xfffe
	s_or_b32 exec_lo, exec_lo, s42
	s_and_saveexec_b32 s42, s17
	s_cbranch_execz .LBB1153_216
.LBB1153_282:                           ;   in Loop: Header=BB1153_101 Depth=2
	ds_load_b64 v[36:37], v108 offset:7168
	s_wait_dscnt 0x0
	v_cmp_ne_u64_e64 s30, s[34:35], v[36:37]
	s_wait_alu 0xf1ff
	s_delay_alu instid0(VALU_DEP_1) | instskip(SKIP_1) | instid1(VALU_DEP_1)
	v_cndmask_b32_e64 v37, 0x7fffffff, v37, s30
	v_cndmask_b32_e64 v36, -1, v36, s30
	v_lshrrev_b64 v[36:37], s48, v[36:37]
	s_delay_alu instid0(VALU_DEP_1)
	v_and_b32_e32 v158, s57, v36
	s_wait_alu 0xfffe
	s_or_b32 exec_lo, exec_lo, s42
	s_and_saveexec_b32 s42, s18
	s_cbranch_execz .LBB1153_217
.LBB1153_283:                           ;   in Loop: Header=BB1153_101 Depth=2
	ds_load_b64 v[36:37], v108 offset:9216
	s_wait_dscnt 0x0
	v_cmp_ne_u64_e64 s30, s[34:35], v[36:37]
	s_wait_alu 0xf1ff
	s_delay_alu instid0(VALU_DEP_1) | instskip(SKIP_1) | instid1(VALU_DEP_1)
	v_cndmask_b32_e64 v37, 0x7fffffff, v37, s30
	v_cndmask_b32_e64 v36, -1, v36, s30
	v_lshrrev_b64 v[36:37], s48, v[36:37]
	s_delay_alu instid0(VALU_DEP_1)
	v_and_b32_e32 v157, s57, v36
	s_wait_alu 0xfffe
	s_or_b32 exec_lo, exec_lo, s42
	s_and_saveexec_b32 s42, s19
	s_cbranch_execz .LBB1153_218
.LBB1153_284:                           ;   in Loop: Header=BB1153_101 Depth=2
	ds_load_b64 v[36:37], v108 offset:11264
	s_wait_dscnt 0x0
	v_cmp_ne_u64_e64 s30, s[34:35], v[36:37]
	s_wait_alu 0xf1ff
	s_delay_alu instid0(VALU_DEP_1) | instskip(SKIP_1) | instid1(VALU_DEP_1)
	v_cndmask_b32_e64 v37, 0x7fffffff, v37, s30
	v_cndmask_b32_e64 v36, -1, v36, s30
	v_lshrrev_b64 v[36:37], s48, v[36:37]
	s_delay_alu instid0(VALU_DEP_1)
	v_and_b32_e32 v156, s57, v36
	s_wait_alu 0xfffe
	s_or_b32 exec_lo, exec_lo, s42
	s_and_saveexec_b32 s42, s20
	s_cbranch_execz .LBB1153_219
.LBB1153_285:                           ;   in Loop: Header=BB1153_101 Depth=2
	ds_load_b64 v[36:37], v108 offset:13312
	s_wait_dscnt 0x0
	v_cmp_ne_u64_e64 s30, s[34:35], v[36:37]
	s_wait_alu 0xf1ff
	s_delay_alu instid0(VALU_DEP_1) | instskip(SKIP_1) | instid1(VALU_DEP_1)
	v_cndmask_b32_e64 v37, 0x7fffffff, v37, s30
	v_cndmask_b32_e64 v36, -1, v36, s30
	v_lshrrev_b64 v[36:37], s48, v[36:37]
	s_delay_alu instid0(VALU_DEP_1)
	v_and_b32_e32 v155, s57, v36
	s_wait_alu 0xfffe
	s_or_b32 exec_lo, exec_lo, s42
	s_and_saveexec_b32 s42, s21
	s_cbranch_execz .LBB1153_220
.LBB1153_286:                           ;   in Loop: Header=BB1153_101 Depth=2
	ds_load_b64 v[36:37], v108 offset:15360
	s_wait_dscnt 0x0
	v_cmp_ne_u64_e64 s30, s[34:35], v[36:37]
	s_wait_alu 0xf1ff
	s_delay_alu instid0(VALU_DEP_1) | instskip(SKIP_1) | instid1(VALU_DEP_1)
	v_cndmask_b32_e64 v37, 0x7fffffff, v37, s30
	v_cndmask_b32_e64 v36, -1, v36, s30
	v_lshrrev_b64 v[36:37], s48, v[36:37]
	s_delay_alu instid0(VALU_DEP_1)
	v_and_b32_e32 v154, s57, v36
	s_wait_alu 0xfffe
	s_or_b32 exec_lo, exec_lo, s42
	s_and_saveexec_b32 s42, s22
	s_cbranch_execz .LBB1153_221
.LBB1153_287:                           ;   in Loop: Header=BB1153_101 Depth=2
	ds_load_b64 v[36:37], v108 offset:17408
	s_wait_dscnt 0x0
	v_cmp_ne_u64_e64 s30, s[34:35], v[36:37]
	s_wait_alu 0xf1ff
	s_delay_alu instid0(VALU_DEP_1) | instskip(SKIP_1) | instid1(VALU_DEP_1)
	v_cndmask_b32_e64 v37, 0x7fffffff, v37, s30
	v_cndmask_b32_e64 v36, -1, v36, s30
	v_lshrrev_b64 v[36:37], s48, v[36:37]
	s_delay_alu instid0(VALU_DEP_1)
	v_and_b32_e32 v153, s57, v36
	s_wait_alu 0xfffe
	s_or_b32 exec_lo, exec_lo, s42
	s_and_saveexec_b32 s42, s23
	s_cbranch_execz .LBB1153_222
.LBB1153_288:                           ;   in Loop: Header=BB1153_101 Depth=2
	ds_load_b64 v[36:37], v108 offset:19456
	s_wait_dscnt 0x0
	v_cmp_ne_u64_e64 s30, s[34:35], v[36:37]
	s_wait_alu 0xf1ff
	s_delay_alu instid0(VALU_DEP_1) | instskip(SKIP_1) | instid1(VALU_DEP_1)
	v_cndmask_b32_e64 v37, 0x7fffffff, v37, s30
	v_cndmask_b32_e64 v36, -1, v36, s30
	v_lshrrev_b64 v[36:37], s48, v[36:37]
	s_delay_alu instid0(VALU_DEP_1)
	v_and_b32_e32 v152, s57, v36
	s_wait_alu 0xfffe
	s_or_b32 exec_lo, exec_lo, s42
	s_and_saveexec_b32 s42, s24
	s_cbranch_execz .LBB1153_223
.LBB1153_289:                           ;   in Loop: Header=BB1153_101 Depth=2
	ds_load_b64 v[36:37], v108 offset:21504
	s_wait_dscnt 0x0
	v_cmp_ne_u64_e64 s30, s[34:35], v[36:37]
	s_wait_alu 0xf1ff
	s_delay_alu instid0(VALU_DEP_1) | instskip(SKIP_1) | instid1(VALU_DEP_1)
	v_cndmask_b32_e64 v37, 0x7fffffff, v37, s30
	v_cndmask_b32_e64 v36, -1, v36, s30
	v_lshrrev_b64 v[36:37], s48, v[36:37]
	s_delay_alu instid0(VALU_DEP_1)
	v_and_b32_e32 v151, s57, v36
	s_wait_alu 0xfffe
	s_or_b32 exec_lo, exec_lo, s42
	s_and_saveexec_b32 s42, s25
	s_cbranch_execz .LBB1153_224
.LBB1153_290:                           ;   in Loop: Header=BB1153_101 Depth=2
	ds_load_b64 v[36:37], v108 offset:23552
	s_wait_dscnt 0x0
	v_cmp_ne_u64_e64 s30, s[34:35], v[36:37]
	s_wait_alu 0xf1ff
	s_delay_alu instid0(VALU_DEP_1) | instskip(SKIP_1) | instid1(VALU_DEP_1)
	v_cndmask_b32_e64 v37, 0x7fffffff, v37, s30
	v_cndmask_b32_e64 v36, -1, v36, s30
	v_lshrrev_b64 v[36:37], s48, v[36:37]
	s_delay_alu instid0(VALU_DEP_1)
	v_and_b32_e32 v150, s57, v36
	s_wait_alu 0xfffe
	s_or_b32 exec_lo, exec_lo, s42
	s_and_saveexec_b32 s42, s26
	s_cbranch_execz .LBB1153_225
.LBB1153_291:                           ;   in Loop: Header=BB1153_101 Depth=2
	ds_load_b64 v[36:37], v108 offset:25600
	s_wait_dscnt 0x0
	v_cmp_ne_u64_e64 s30, s[34:35], v[36:37]
	s_wait_alu 0xf1ff
	s_delay_alu instid0(VALU_DEP_1) | instskip(SKIP_1) | instid1(VALU_DEP_1)
	v_cndmask_b32_e64 v37, 0x7fffffff, v37, s30
	v_cndmask_b32_e64 v36, -1, v36, s30
	v_lshrrev_b64 v[36:37], s48, v[36:37]
	s_delay_alu instid0(VALU_DEP_1)
	v_and_b32_e32 v149, s57, v36
	s_wait_alu 0xfffe
	s_or_b32 exec_lo, exec_lo, s42
	s_and_saveexec_b32 s42, s27
	s_cbranch_execz .LBB1153_226
.LBB1153_292:                           ;   in Loop: Header=BB1153_101 Depth=2
	ds_load_b64 v[36:37], v108 offset:27648
	s_wait_dscnt 0x0
	v_cmp_ne_u64_e64 s30, s[34:35], v[36:37]
	s_wait_alu 0xf1ff
	s_delay_alu instid0(VALU_DEP_1) | instskip(SKIP_1) | instid1(VALU_DEP_1)
	v_cndmask_b32_e64 v37, 0x7fffffff, v37, s30
	v_cndmask_b32_e64 v36, -1, v36, s30
	v_lshrrev_b64 v[36:37], s48, v[36:37]
	s_delay_alu instid0(VALU_DEP_1)
	v_and_b32_e32 v148, s57, v36
	s_wait_alu 0xfffe
	s_or_b32 exec_lo, exec_lo, s42
	s_and_saveexec_b32 s42, s28
	s_cbranch_execz .LBB1153_227
.LBB1153_293:                           ;   in Loop: Header=BB1153_101 Depth=2
	ds_load_b64 v[36:37], v108 offset:29696
	s_wait_dscnt 0x0
	v_cmp_ne_u64_e64 s30, s[34:35], v[36:37]
	s_wait_alu 0xf1ff
	s_delay_alu instid0(VALU_DEP_1) | instskip(SKIP_1) | instid1(VALU_DEP_1)
	v_cndmask_b32_e64 v37, 0x7fffffff, v37, s30
	v_cndmask_b32_e64 v36, -1, v36, s30
	v_lshrrev_b64 v[36:37], s48, v[36:37]
	s_delay_alu instid0(VALU_DEP_1)
	v_and_b32_e32 v147, s57, v36
	s_wait_alu 0xfffe
	s_or_b32 exec_lo, exec_lo, s42
	s_and_saveexec_b32 s42, s29
	s_cbranch_execnz .LBB1153_228
	s_branch .LBB1153_229
.LBB1153_294:                           ;   in Loop: Header=BB1153_101 Depth=2
	v_lshlrev_b32_e32 v2, 2, v161
	ds_load_b32 v2, v2
	ds_load_b64 v[36:37], v108 offset:1024
	s_wait_dscnt 0x1
	v_add_nc_u32_e32 v2, v2, v1
	s_delay_alu instid0(VALU_DEP_1) | instskip(NEXT) | instid1(VALU_DEP_1)
	v_lshlrev_b64_e32 v[38:39], 3, v[2:3]
	v_add_co_u32 v38, vcc_lo, s44, v38
	s_wait_alu 0xfffd
	s_delay_alu instid0(VALU_DEP_2)
	v_add_co_ci_u32_e64 v39, null, s45, v39, vcc_lo
	s_wait_dscnt 0x0
	global_store_b64 v[38:39], v[36:37], off
	s_wait_alu 0xfffe
	s_or_b32 exec_lo, exec_lo, s30
	s_and_saveexec_b32 s30, s15
	s_cbranch_execz .LBB1153_231
.LBB1153_295:                           ;   in Loop: Header=BB1153_101 Depth=2
	v_lshlrev_b32_e32 v2, 2, v160
	ds_load_b32 v2, v2
	ds_load_b64 v[36:37], v108 offset:3072
	s_wait_dscnt 0x1
	v_add_nc_u32_e32 v2, v2, v77
	s_delay_alu instid0(VALU_DEP_1) | instskip(NEXT) | instid1(VALU_DEP_1)
	v_lshlrev_b64_e32 v[38:39], 3, v[2:3]
	v_add_co_u32 v38, vcc_lo, s44, v38
	s_wait_alu 0xfffd
	s_delay_alu instid0(VALU_DEP_2)
	v_add_co_ci_u32_e64 v39, null, s45, v39, vcc_lo
	s_wait_dscnt 0x0
	global_store_b64 v[38:39], v[36:37], off
	s_wait_alu 0xfffe
	s_or_b32 exec_lo, exec_lo, s30
	s_and_saveexec_b32 s15, s16
	s_cbranch_execz .LBB1153_232
.LBB1153_296:                           ;   in Loop: Header=BB1153_101 Depth=2
	v_lshlrev_b32_e32 v2, 2, v159
	ds_load_b32 v2, v2
	ds_load_b64 v[36:37], v108 offset:5120
	s_wait_dscnt 0x1
	v_add_nc_u32_e32 v2, v2, v78
	s_delay_alu instid0(VALU_DEP_1) | instskip(NEXT) | instid1(VALU_DEP_1)
	v_lshlrev_b64_e32 v[38:39], 3, v[2:3]
	v_add_co_u32 v38, vcc_lo, s44, v38
	s_wait_alu 0xfffd
	s_delay_alu instid0(VALU_DEP_2)
	v_add_co_ci_u32_e64 v39, null, s45, v39, vcc_lo
	s_wait_dscnt 0x0
	global_store_b64 v[38:39], v[36:37], off
	s_wait_alu 0xfffe
	s_or_b32 exec_lo, exec_lo, s15
	s_and_saveexec_b32 s15, s17
	s_cbranch_execz .LBB1153_233
.LBB1153_297:                           ;   in Loop: Header=BB1153_101 Depth=2
	v_lshlrev_b32_e32 v2, 2, v158
	ds_load_b32 v2, v2
	ds_load_b64 v[36:37], v108 offset:7168
	s_wait_dscnt 0x1
	v_add_nc_u32_e32 v2, v2, v79
	s_delay_alu instid0(VALU_DEP_1) | instskip(NEXT) | instid1(VALU_DEP_1)
	v_lshlrev_b64_e32 v[38:39], 3, v[2:3]
	v_add_co_u32 v38, vcc_lo, s44, v38
	s_wait_alu 0xfffd
	s_delay_alu instid0(VALU_DEP_2)
	v_add_co_ci_u32_e64 v39, null, s45, v39, vcc_lo
	s_wait_dscnt 0x0
	global_store_b64 v[38:39], v[36:37], off
	s_wait_alu 0xfffe
	s_or_b32 exec_lo, exec_lo, s15
	s_and_saveexec_b32 s15, s18
	s_cbranch_execz .LBB1153_234
.LBB1153_298:                           ;   in Loop: Header=BB1153_101 Depth=2
	v_lshlrev_b32_e32 v2, 2, v157
	ds_load_b32 v2, v2
	ds_load_b64 v[36:37], v108 offset:9216
	s_wait_dscnt 0x1
	v_add_nc_u32_e32 v2, v2, v82
	s_delay_alu instid0(VALU_DEP_1) | instskip(NEXT) | instid1(VALU_DEP_1)
	v_lshlrev_b64_e32 v[38:39], 3, v[2:3]
	v_add_co_u32 v38, vcc_lo, s44, v38
	s_wait_alu 0xfffd
	s_delay_alu instid0(VALU_DEP_2)
	v_add_co_ci_u32_e64 v39, null, s45, v39, vcc_lo
	s_wait_dscnt 0x0
	global_store_b64 v[38:39], v[36:37], off
	s_wait_alu 0xfffe
	s_or_b32 exec_lo, exec_lo, s15
	s_and_saveexec_b32 s15, s19
	s_cbranch_execz .LBB1153_235
.LBB1153_299:                           ;   in Loop: Header=BB1153_101 Depth=2
	v_lshlrev_b32_e32 v2, 2, v156
	ds_load_b32 v2, v2
	ds_load_b64 v[36:37], v108 offset:11264
	s_wait_dscnt 0x1
	v_add_nc_u32_e32 v2, v2, v83
	s_delay_alu instid0(VALU_DEP_1) | instskip(NEXT) | instid1(VALU_DEP_1)
	v_lshlrev_b64_e32 v[38:39], 3, v[2:3]
	v_add_co_u32 v38, vcc_lo, s44, v38
	s_wait_alu 0xfffd
	s_delay_alu instid0(VALU_DEP_2)
	v_add_co_ci_u32_e64 v39, null, s45, v39, vcc_lo
	s_wait_dscnt 0x0
	global_store_b64 v[38:39], v[36:37], off
	s_wait_alu 0xfffe
	s_or_b32 exec_lo, exec_lo, s15
	s_and_saveexec_b32 s15, s20
	s_cbranch_execz .LBB1153_236
.LBB1153_300:                           ;   in Loop: Header=BB1153_101 Depth=2
	v_lshlrev_b32_e32 v2, 2, v155
	ds_load_b32 v2, v2
	ds_load_b64 v[36:37], v108 offset:13312
	s_wait_dscnt 0x1
	v_add_nc_u32_e32 v2, v2, v84
	s_delay_alu instid0(VALU_DEP_1) | instskip(NEXT) | instid1(VALU_DEP_1)
	v_lshlrev_b64_e32 v[38:39], 3, v[2:3]
	v_add_co_u32 v38, vcc_lo, s44, v38
	s_wait_alu 0xfffd
	s_delay_alu instid0(VALU_DEP_2)
	v_add_co_ci_u32_e64 v39, null, s45, v39, vcc_lo
	s_wait_dscnt 0x0
	global_store_b64 v[38:39], v[36:37], off
	s_wait_alu 0xfffe
	s_or_b32 exec_lo, exec_lo, s15
	s_and_saveexec_b32 s15, s21
	s_cbranch_execz .LBB1153_237
.LBB1153_301:                           ;   in Loop: Header=BB1153_101 Depth=2
	v_lshlrev_b32_e32 v2, 2, v154
	ds_load_b32 v2, v2
	ds_load_b64 v[36:37], v108 offset:15360
	s_wait_dscnt 0x1
	v_add_nc_u32_e32 v2, v2, v85
	s_delay_alu instid0(VALU_DEP_1) | instskip(NEXT) | instid1(VALU_DEP_1)
	v_lshlrev_b64_e32 v[38:39], 3, v[2:3]
	v_add_co_u32 v38, vcc_lo, s44, v38
	s_wait_alu 0xfffd
	s_delay_alu instid0(VALU_DEP_2)
	v_add_co_ci_u32_e64 v39, null, s45, v39, vcc_lo
	s_wait_dscnt 0x0
	global_store_b64 v[38:39], v[36:37], off
	s_wait_alu 0xfffe
	s_or_b32 exec_lo, exec_lo, s15
	s_and_saveexec_b32 s15, s22
	s_cbranch_execz .LBB1153_238
.LBB1153_302:                           ;   in Loop: Header=BB1153_101 Depth=2
	v_lshlrev_b32_e32 v2, 2, v153
	ds_load_b32 v2, v2
	ds_load_b64 v[36:37], v108 offset:17408
	s_wait_dscnt 0x1
	v_add_nc_u32_e32 v2, v2, v86
	s_delay_alu instid0(VALU_DEP_1) | instskip(NEXT) | instid1(VALU_DEP_1)
	v_lshlrev_b64_e32 v[38:39], 3, v[2:3]
	v_add_co_u32 v38, vcc_lo, s44, v38
	s_wait_alu 0xfffd
	s_delay_alu instid0(VALU_DEP_2)
	v_add_co_ci_u32_e64 v39, null, s45, v39, vcc_lo
	s_wait_dscnt 0x0
	global_store_b64 v[38:39], v[36:37], off
	s_wait_alu 0xfffe
	s_or_b32 exec_lo, exec_lo, s15
	s_and_saveexec_b32 s15, s23
	s_cbranch_execz .LBB1153_239
.LBB1153_303:                           ;   in Loop: Header=BB1153_101 Depth=2
	v_lshlrev_b32_e32 v2, 2, v152
	ds_load_b32 v2, v2
	ds_load_b64 v[36:37], v108 offset:19456
	s_wait_dscnt 0x1
	v_add_nc_u32_e32 v2, v2, v87
	s_delay_alu instid0(VALU_DEP_1) | instskip(NEXT) | instid1(VALU_DEP_1)
	v_lshlrev_b64_e32 v[38:39], 3, v[2:3]
	v_add_co_u32 v38, vcc_lo, s44, v38
	s_wait_alu 0xfffd
	s_delay_alu instid0(VALU_DEP_2)
	v_add_co_ci_u32_e64 v39, null, s45, v39, vcc_lo
	s_wait_dscnt 0x0
	global_store_b64 v[38:39], v[36:37], off
	s_wait_alu 0xfffe
	s_or_b32 exec_lo, exec_lo, s15
	s_and_saveexec_b32 s15, s24
	s_cbranch_execz .LBB1153_240
.LBB1153_304:                           ;   in Loop: Header=BB1153_101 Depth=2
	v_lshlrev_b32_e32 v2, 2, v151
	ds_load_b32 v2, v2
	ds_load_b64 v[36:37], v108 offset:21504
	s_wait_dscnt 0x1
	v_add_nc_u32_e32 v2, v2, v88
	s_delay_alu instid0(VALU_DEP_1) | instskip(NEXT) | instid1(VALU_DEP_1)
	v_lshlrev_b64_e32 v[38:39], 3, v[2:3]
	v_add_co_u32 v38, vcc_lo, s44, v38
	s_wait_alu 0xfffd
	s_delay_alu instid0(VALU_DEP_2)
	v_add_co_ci_u32_e64 v39, null, s45, v39, vcc_lo
	s_wait_dscnt 0x0
	global_store_b64 v[38:39], v[36:37], off
	s_wait_alu 0xfffe
	s_or_b32 exec_lo, exec_lo, s15
	s_and_saveexec_b32 s15, s25
	s_cbranch_execz .LBB1153_241
.LBB1153_305:                           ;   in Loop: Header=BB1153_101 Depth=2
	v_lshlrev_b32_e32 v2, 2, v150
	ds_load_b32 v2, v2
	ds_load_b64 v[36:37], v108 offset:23552
	s_wait_dscnt 0x1
	v_add_nc_u32_e32 v2, v2, v89
	s_delay_alu instid0(VALU_DEP_1) | instskip(NEXT) | instid1(VALU_DEP_1)
	v_lshlrev_b64_e32 v[38:39], 3, v[2:3]
	v_add_co_u32 v38, vcc_lo, s44, v38
	s_wait_alu 0xfffd
	s_delay_alu instid0(VALU_DEP_2)
	v_add_co_ci_u32_e64 v39, null, s45, v39, vcc_lo
	s_wait_dscnt 0x0
	global_store_b64 v[38:39], v[36:37], off
	s_wait_alu 0xfffe
	s_or_b32 exec_lo, exec_lo, s15
	s_and_saveexec_b32 s15, s26
	s_cbranch_execz .LBB1153_242
.LBB1153_306:                           ;   in Loop: Header=BB1153_101 Depth=2
	v_lshlrev_b32_e32 v2, 2, v149
	ds_load_b32 v2, v2
	ds_load_b64 v[36:37], v108 offset:25600
	s_wait_dscnt 0x1
	v_add_nc_u32_e32 v2, v2, v90
	s_delay_alu instid0(VALU_DEP_1) | instskip(NEXT) | instid1(VALU_DEP_1)
	v_lshlrev_b64_e32 v[38:39], 3, v[2:3]
	v_add_co_u32 v38, vcc_lo, s44, v38
	s_wait_alu 0xfffd
	s_delay_alu instid0(VALU_DEP_2)
	v_add_co_ci_u32_e64 v39, null, s45, v39, vcc_lo
	s_wait_dscnt 0x0
	global_store_b64 v[38:39], v[36:37], off
	s_wait_alu 0xfffe
	s_or_b32 exec_lo, exec_lo, s15
	s_and_saveexec_b32 s15, s27
	s_cbranch_execz .LBB1153_243
.LBB1153_307:                           ;   in Loop: Header=BB1153_101 Depth=2
	v_lshlrev_b32_e32 v2, 2, v148
	ds_load_b32 v2, v2
	ds_load_b64 v[36:37], v108 offset:27648
	s_wait_dscnt 0x1
	v_add_nc_u32_e32 v2, v2, v91
	s_delay_alu instid0(VALU_DEP_1) | instskip(NEXT) | instid1(VALU_DEP_1)
	v_lshlrev_b64_e32 v[38:39], 3, v[2:3]
	v_add_co_u32 v38, vcc_lo, s44, v38
	s_wait_alu 0xfffd
	s_delay_alu instid0(VALU_DEP_2)
	v_add_co_ci_u32_e64 v39, null, s45, v39, vcc_lo
	s_wait_dscnt 0x0
	global_store_b64 v[38:39], v[36:37], off
	s_wait_alu 0xfffe
	s_or_b32 exec_lo, exec_lo, s15
	s_and_saveexec_b32 s15, s28
	s_cbranch_execz .LBB1153_244
.LBB1153_308:                           ;   in Loop: Header=BB1153_101 Depth=2
	v_lshlrev_b32_e32 v2, 2, v147
	ds_load_b32 v2, v2
	ds_load_b64 v[36:37], v108 offset:29696
	s_wait_dscnt 0x1
	v_add_nc_u32_e32 v2, v2, v92
	s_delay_alu instid0(VALU_DEP_1) | instskip(NEXT) | instid1(VALU_DEP_1)
	v_lshlrev_b64_e32 v[38:39], 3, v[2:3]
	v_add_co_u32 v38, vcc_lo, s44, v38
	s_wait_alu 0xfffd
	s_delay_alu instid0(VALU_DEP_2)
	v_add_co_ci_u32_e64 v39, null, s45, v39, vcc_lo
	s_wait_dscnt 0x0
	global_store_b64 v[38:39], v[36:37], off
	s_wait_alu 0xfffe
	s_or_b32 exec_lo, exec_lo, s15
	s_and_saveexec_b32 s15, s29
	s_cbranch_execnz .LBB1153_245
	s_branch .LBB1153_246
.LBB1153_309:                           ;   in Loop: Header=BB1153_17 Depth=1
	s_wait_loadcnt_dscnt 0x0
	s_barrier_signal -1
	s_mov_b32 s6, 0
	s_barrier_wait -1
.LBB1153_310:                           ;   in Loop: Header=BB1153_17 Depth=1
	s_wait_alu 0xfffe
	s_and_b32 vcc_lo, exec_lo, s6
	s_wait_alu 0xfffe
	s_cbranch_vccz .LBB1153_602
; %bb.311:                              ;   in Loop: Header=BB1153_17 Depth=1
	s_mov_b32 s8, s55
	s_mov_b32 s6, s33
	s_barrier_signal -1
	s_barrier_wait -1
	global_inv scope:SCOPE_SE
                                        ; implicit-def: $vgpr4_vgpr5
                                        ; implicit-def: $vgpr6_vgpr7
                                        ; implicit-def: $vgpr8_vgpr9
                                        ; implicit-def: $vgpr10_vgpr11
                                        ; implicit-def: $vgpr12_vgpr13
                                        ; implicit-def: $vgpr14_vgpr15
                                        ; implicit-def: $vgpr16_vgpr17
                                        ; implicit-def: $vgpr18_vgpr19
                                        ; implicit-def: $vgpr20_vgpr21
                                        ; implicit-def: $vgpr22_vgpr23
                                        ; implicit-def: $vgpr24_vgpr25
                                        ; implicit-def: $vgpr26_vgpr27
                                        ; implicit-def: $vgpr28_vgpr29
                                        ; implicit-def: $vgpr30_vgpr31
                                        ; implicit-def: $vgpr32_vgpr33
                                        ; implicit-def: $vgpr34_vgpr35
	s_branch .LBB1153_313
.LBB1153_312:                           ;   in Loop: Header=BB1153_313 Depth=2
	s_wait_alu 0xfffe
	s_or_b32 exec_lo, exec_lo, s6
	s_addk_co_i32 s8, 0xf000
	s_cmp_ge_u32 s9, s51
	s_mov_b32 s6, s9
	s_cbranch_scc1 .LBB1153_381
.LBB1153_313:                           ;   Parent Loop BB1153_17 Depth=1
                                        ; =>  This Inner Loop Header: Depth=2
	s_wait_alu 0xfffe
	s_add_co_i32 s9, s6, 0x1000
	s_mov_b32 s7, -1
	s_wait_alu 0xfffe
	s_cmp_gt_u32 s9, s51
                                        ; implicit-def: $vgpr36_vgpr37
                                        ; implicit-def: $vgpr38_vgpr39
                                        ; implicit-def: $vgpr40_vgpr41
                                        ; implicit-def: $vgpr42_vgpr43
                                        ; implicit-def: $vgpr44_vgpr45
                                        ; implicit-def: $vgpr46_vgpr47
                                        ; implicit-def: $vgpr48_vgpr49
                                        ; implicit-def: $vgpr50_vgpr51
                                        ; implicit-def: $vgpr52_vgpr53
                                        ; implicit-def: $vgpr54_vgpr55
                                        ; implicit-def: $vgpr56_vgpr57
                                        ; implicit-def: $vgpr58_vgpr59
                                        ; implicit-def: $vgpr60_vgpr61
                                        ; implicit-def: $vgpr62_vgpr63
                                        ; implicit-def: $vgpr64_vgpr65
                                        ; implicit-def: $vgpr66_vgpr67
	s_cbranch_scc1 .LBB1153_315
; %bb.314:                              ;   in Loop: Header=BB1153_313 Depth=2
	s_mov_b32 s7, s34
	s_wait_alu 0xfffe
	s_lshl_b64 s[10:11], s[6:7], 3
	s_mov_b32 s7, 0
	s_wait_alu 0xfffe
	v_add_co_u32 v66, vcc_lo, v109, s10
	s_wait_alu 0xfffd
	v_add_co_ci_u32_e64 v67, null, s11, v110, vcc_lo
	s_clause 0xf
	global_load_b64 v[36:37], v[66:67], off
	global_load_b64 v[38:39], v[66:67], off offset:2048
	global_load_b64 v[40:41], v[66:67], off offset:4096
	;; [unrolled: 1-line block ×15, first 2 shown]
.LBB1153_315:                           ;   in Loop: Header=BB1153_313 Depth=2
	s_and_not1_b32 vcc_lo, exec_lo, s7
	s_movk_i32 s7, 0x1000
	s_wait_alu 0xfffe
	s_cbranch_vccnz .LBB1153_334
; %bb.316:                              ;   in Loop: Header=BB1153_313 Depth=2
	s_mov_b32 s7, s34
	s_mov_b32 s10, exec_lo
	s_wait_alu 0xfffe
	s_lshl_b64 s[6:7], s[6:7], 3
	s_wait_alu 0xfffe
	s_add_nc_u64 s[6:7], s[38:39], s[6:7]
	v_cmpx_gt_u32_e64 s8, v1
	s_cbranch_execnz .LBB1153_366
; %bb.317:                              ;   in Loop: Header=BB1153_313 Depth=2
	s_or_b32 exec_lo, exec_lo, s10
	s_delay_alu instid0(SALU_CYCLE_1)
	s_mov_b32 s10, exec_lo
	v_cmpx_gt_u32_e64 s8, v77
	s_cbranch_execnz .LBB1153_367
.LBB1153_318:                           ;   in Loop: Header=BB1153_313 Depth=2
	s_wait_alu 0xfffe
	s_or_b32 exec_lo, exec_lo, s10
	s_delay_alu instid0(SALU_CYCLE_1)
	s_mov_b32 s10, exec_lo
	v_cmpx_gt_u32_e64 s8, v78
	s_cbranch_execnz .LBB1153_368
.LBB1153_319:                           ;   in Loop: Header=BB1153_313 Depth=2
	s_wait_alu 0xfffe
	s_or_b32 exec_lo, exec_lo, s10
	s_delay_alu instid0(SALU_CYCLE_1)
	s_mov_b32 s10, exec_lo
	v_cmpx_gt_u32_e64 s8, v79
	s_cbranch_execnz .LBB1153_369
.LBB1153_320:                           ;   in Loop: Header=BB1153_313 Depth=2
	s_wait_alu 0xfffe
	s_or_b32 exec_lo, exec_lo, s10
	s_delay_alu instid0(SALU_CYCLE_1)
	s_mov_b32 s10, exec_lo
	v_cmpx_gt_u32_e64 s8, v82
	s_cbranch_execnz .LBB1153_370
.LBB1153_321:                           ;   in Loop: Header=BB1153_313 Depth=2
	s_wait_alu 0xfffe
	s_or_b32 exec_lo, exec_lo, s10
	s_delay_alu instid0(SALU_CYCLE_1)
	s_mov_b32 s10, exec_lo
	v_cmpx_gt_u32_e64 s8, v83
	s_cbranch_execnz .LBB1153_371
.LBB1153_322:                           ;   in Loop: Header=BB1153_313 Depth=2
	s_wait_alu 0xfffe
	s_or_b32 exec_lo, exec_lo, s10
	s_delay_alu instid0(SALU_CYCLE_1)
	s_mov_b32 s10, exec_lo
	v_cmpx_gt_u32_e64 s8, v84
	s_cbranch_execnz .LBB1153_372
.LBB1153_323:                           ;   in Loop: Header=BB1153_313 Depth=2
	s_wait_alu 0xfffe
	s_or_b32 exec_lo, exec_lo, s10
	s_delay_alu instid0(SALU_CYCLE_1)
	s_mov_b32 s10, exec_lo
	v_cmpx_gt_u32_e64 s8, v85
	s_cbranch_execnz .LBB1153_373
.LBB1153_324:                           ;   in Loop: Header=BB1153_313 Depth=2
	s_wait_alu 0xfffe
	s_or_b32 exec_lo, exec_lo, s10
	s_delay_alu instid0(SALU_CYCLE_1)
	s_mov_b32 s10, exec_lo
	v_cmpx_gt_u32_e64 s8, v86
	s_cbranch_execnz .LBB1153_374
.LBB1153_325:                           ;   in Loop: Header=BB1153_313 Depth=2
	s_wait_alu 0xfffe
	s_or_b32 exec_lo, exec_lo, s10
	s_delay_alu instid0(SALU_CYCLE_1)
	s_mov_b32 s10, exec_lo
	v_cmpx_gt_u32_e64 s8, v87
	s_cbranch_execnz .LBB1153_375
.LBB1153_326:                           ;   in Loop: Header=BB1153_313 Depth=2
	s_wait_alu 0xfffe
	s_or_b32 exec_lo, exec_lo, s10
	s_delay_alu instid0(SALU_CYCLE_1)
	s_mov_b32 s10, exec_lo
	v_cmpx_gt_u32_e64 s8, v88
	s_cbranch_execnz .LBB1153_376
.LBB1153_327:                           ;   in Loop: Header=BB1153_313 Depth=2
	s_wait_alu 0xfffe
	s_or_b32 exec_lo, exec_lo, s10
	s_delay_alu instid0(SALU_CYCLE_1)
	s_mov_b32 s10, exec_lo
	v_cmpx_gt_u32_e64 s8, v89
	s_cbranch_execnz .LBB1153_377
.LBB1153_328:                           ;   in Loop: Header=BB1153_313 Depth=2
	s_wait_alu 0xfffe
	s_or_b32 exec_lo, exec_lo, s10
	s_delay_alu instid0(SALU_CYCLE_1)
	s_mov_b32 s10, exec_lo
	v_cmpx_gt_u32_e64 s8, v90
	s_cbranch_execnz .LBB1153_378
.LBB1153_329:                           ;   in Loop: Header=BB1153_313 Depth=2
	s_wait_alu 0xfffe
	s_or_b32 exec_lo, exec_lo, s10
	s_delay_alu instid0(SALU_CYCLE_1)
	s_mov_b32 s10, exec_lo
	v_cmpx_gt_u32_e64 s8, v91
	s_cbranch_execnz .LBB1153_379
.LBB1153_330:                           ;   in Loop: Header=BB1153_313 Depth=2
	s_wait_alu 0xfffe
	s_or_b32 exec_lo, exec_lo, s10
	s_delay_alu instid0(SALU_CYCLE_1)
	s_mov_b32 s10, exec_lo
	v_cmpx_gt_u32_e64 s8, v92
	s_cbranch_execnz .LBB1153_380
.LBB1153_331:                           ;   in Loop: Header=BB1153_313 Depth=2
	s_wait_alu 0xfffe
	s_or_b32 exec_lo, exec_lo, s10
	s_delay_alu instid0(SALU_CYCLE_1)
	s_mov_b32 s10, exec_lo
	v_cmpx_gt_u32_e64 s8, v93
	s_cbranch_execz .LBB1153_333
.LBB1153_332:                           ;   in Loop: Header=BB1153_313 Depth=2
	global_load_b64 v[4:5], v122, s[6:7] offset:30720
.LBB1153_333:                           ;   in Loop: Header=BB1153_313 Depth=2
	s_wait_alu 0xfffe
	s_or_b32 exec_lo, exec_lo, s10
	s_wait_loadcnt 0x0
	v_dual_mov_b32 v37, v35 :: v_dual_mov_b32 v36, v34
	v_dual_mov_b32 v39, v33 :: v_dual_mov_b32 v38, v32
	;; [unrolled: 1-line block ×16, first 2 shown]
	s_mov_b32 s7, s8
.LBB1153_334:                           ;   in Loop: Header=BB1153_313 Depth=2
	s_wait_loadcnt 0x0
	s_delay_alu instid0(VALU_DEP_1)
	v_dual_mov_b32 v4, v66 :: v_dual_mov_b32 v5, v67
	v_dual_mov_b32 v6, v64 :: v_dual_mov_b32 v7, v65
	;; [unrolled: 1-line block ×16, first 2 shown]
	s_mov_b32 s6, exec_lo
	s_wait_alu 0xfffe
	v_cmpx_gt_u32_e64 s7, v1
	s_cbranch_execnz .LBB1153_350
; %bb.335:                              ;   in Loop: Header=BB1153_313 Depth=2
	s_or_b32 exec_lo, exec_lo, s6
	s_delay_alu instid0(SALU_CYCLE_1)
	s_mov_b32 s6, exec_lo
	v_cmpx_gt_u32_e64 s7, v77
	s_cbranch_execnz .LBB1153_351
.LBB1153_336:                           ;   in Loop: Header=BB1153_313 Depth=2
	s_wait_alu 0xfffe
	s_or_b32 exec_lo, exec_lo, s6
	s_delay_alu instid0(SALU_CYCLE_1)
	s_mov_b32 s6, exec_lo
	v_cmpx_gt_u32_e64 s7, v78
	s_cbranch_execnz .LBB1153_352
.LBB1153_337:                           ;   in Loop: Header=BB1153_313 Depth=2
	s_wait_alu 0xfffe
	s_or_b32 exec_lo, exec_lo, s6
	s_delay_alu instid0(SALU_CYCLE_1)
	s_mov_b32 s6, exec_lo
	v_cmpx_gt_u32_e64 s7, v79
	s_cbranch_execnz .LBB1153_353
.LBB1153_338:                           ;   in Loop: Header=BB1153_313 Depth=2
	s_wait_alu 0xfffe
	s_or_b32 exec_lo, exec_lo, s6
	s_delay_alu instid0(SALU_CYCLE_1)
	s_mov_b32 s6, exec_lo
	v_cmpx_gt_u32_e64 s7, v82
	s_cbranch_execnz .LBB1153_354
.LBB1153_339:                           ;   in Loop: Header=BB1153_313 Depth=2
	s_wait_alu 0xfffe
	s_or_b32 exec_lo, exec_lo, s6
	s_delay_alu instid0(SALU_CYCLE_1)
	s_mov_b32 s6, exec_lo
	v_cmpx_gt_u32_e64 s7, v83
	s_cbranch_execnz .LBB1153_355
.LBB1153_340:                           ;   in Loop: Header=BB1153_313 Depth=2
	s_wait_alu 0xfffe
	s_or_b32 exec_lo, exec_lo, s6
	s_delay_alu instid0(SALU_CYCLE_1)
	s_mov_b32 s6, exec_lo
	v_cmpx_gt_u32_e64 s7, v84
	s_cbranch_execnz .LBB1153_356
.LBB1153_341:                           ;   in Loop: Header=BB1153_313 Depth=2
	s_wait_alu 0xfffe
	s_or_b32 exec_lo, exec_lo, s6
	s_delay_alu instid0(SALU_CYCLE_1)
	s_mov_b32 s6, exec_lo
	v_cmpx_gt_u32_e64 s7, v85
	s_cbranch_execnz .LBB1153_357
.LBB1153_342:                           ;   in Loop: Header=BB1153_313 Depth=2
	s_wait_alu 0xfffe
	s_or_b32 exec_lo, exec_lo, s6
	s_delay_alu instid0(SALU_CYCLE_1)
	s_mov_b32 s6, exec_lo
	v_cmpx_gt_u32_e64 s7, v86
	s_cbranch_execnz .LBB1153_358
.LBB1153_343:                           ;   in Loop: Header=BB1153_313 Depth=2
	s_wait_alu 0xfffe
	s_or_b32 exec_lo, exec_lo, s6
	s_delay_alu instid0(SALU_CYCLE_1)
	s_mov_b32 s6, exec_lo
	v_cmpx_gt_u32_e64 s7, v87
	s_cbranch_execnz .LBB1153_359
.LBB1153_344:                           ;   in Loop: Header=BB1153_313 Depth=2
	s_wait_alu 0xfffe
	s_or_b32 exec_lo, exec_lo, s6
	s_delay_alu instid0(SALU_CYCLE_1)
	s_mov_b32 s6, exec_lo
	v_cmpx_gt_u32_e64 s7, v88
	s_cbranch_execnz .LBB1153_360
.LBB1153_345:                           ;   in Loop: Header=BB1153_313 Depth=2
	s_wait_alu 0xfffe
	s_or_b32 exec_lo, exec_lo, s6
	s_delay_alu instid0(SALU_CYCLE_1)
	s_mov_b32 s6, exec_lo
	v_cmpx_gt_u32_e64 s7, v89
	s_cbranch_execnz .LBB1153_361
.LBB1153_346:                           ;   in Loop: Header=BB1153_313 Depth=2
	s_wait_alu 0xfffe
	s_or_b32 exec_lo, exec_lo, s6
	s_delay_alu instid0(SALU_CYCLE_1)
	s_mov_b32 s6, exec_lo
	v_cmpx_gt_u32_e64 s7, v90
	s_cbranch_execnz .LBB1153_362
.LBB1153_347:                           ;   in Loop: Header=BB1153_313 Depth=2
	s_wait_alu 0xfffe
	s_or_b32 exec_lo, exec_lo, s6
	s_delay_alu instid0(SALU_CYCLE_1)
	s_mov_b32 s6, exec_lo
	v_cmpx_gt_u32_e64 s7, v91
	s_cbranch_execnz .LBB1153_363
.LBB1153_348:                           ;   in Loop: Header=BB1153_313 Depth=2
	s_wait_alu 0xfffe
	s_or_b32 exec_lo, exec_lo, s6
	s_delay_alu instid0(SALU_CYCLE_1)
	s_mov_b32 s6, exec_lo
	v_cmpx_gt_u32_e64 s7, v92
	s_cbranch_execnz .LBB1153_364
.LBB1153_349:                           ;   in Loop: Header=BB1153_313 Depth=2
	s_wait_alu 0xfffe
	s_or_b32 exec_lo, exec_lo, s6
	s_delay_alu instid0(SALU_CYCLE_1)
	s_mov_b32 s6, exec_lo
	v_cmpx_gt_u32_e64 s7, v93
	s_cbranch_execz .LBB1153_312
	s_branch .LBB1153_365
.LBB1153_350:                           ;   in Loop: Header=BB1153_313 Depth=2
	v_cmp_gt_i64_e32 vcc_lo, 0, v[34:35]
	v_ashrrev_i32_e32 v2, 31, v35
	s_delay_alu instid0(VALU_DEP_1) | instskip(SKIP_2) | instid1(VALU_DEP_1)
	v_not_b32_e32 v2, v2
	s_wait_alu 0xfffd
	v_cndmask_b32_e64 v36, 0x7fffffff, 0, vcc_lo
	v_xor_b32_e32 v37, v36, v35
	s_delay_alu instid0(VALU_DEP_3) | instskip(NEXT) | instid1(VALU_DEP_1)
	v_xor_b32_e32 v36, v2, v34
	v_cmp_ne_u64_e32 vcc_lo, s[34:35], v[36:37]
	s_wait_alu 0xfffd
	v_cndmask_b32_e32 v37, 0x7fffffff, v37, vcc_lo
	v_cndmask_b32_e32 v36, -1, v36, vcc_lo
	s_delay_alu instid0(VALU_DEP_1) | instskip(NEXT) | instid1(VALU_DEP_1)
	v_lshrrev_b64 v[36:37], s48, v[36:37]
	v_and_b32_e32 v2, s57, v36
	s_delay_alu instid0(VALU_DEP_1) | instskip(SKIP_2) | instid1(SALU_CYCLE_1)
	v_lshl_or_b32 v2, v2, 4, v94
	ds_add_u32 v2, v121
	s_or_b32 exec_lo, exec_lo, s6
	s_mov_b32 s6, exec_lo
	v_cmpx_gt_u32_e64 s7, v77
	s_cbranch_execz .LBB1153_336
.LBB1153_351:                           ;   in Loop: Header=BB1153_313 Depth=2
	v_cmp_gt_i64_e32 vcc_lo, 0, v[32:33]
	v_ashrrev_i32_e32 v2, 31, v33
	s_delay_alu instid0(VALU_DEP_1) | instskip(SKIP_2) | instid1(VALU_DEP_1)
	v_not_b32_e32 v2, v2
	s_wait_alu 0xfffd
	v_cndmask_b32_e64 v36, 0x7fffffff, 0, vcc_lo
	v_xor_b32_e32 v37, v36, v33
	s_delay_alu instid0(VALU_DEP_3) | instskip(NEXT) | instid1(VALU_DEP_1)
	v_xor_b32_e32 v36, v2, v32
	v_cmp_ne_u64_e32 vcc_lo, s[34:35], v[36:37]
	s_wait_alu 0xfffd
	v_cndmask_b32_e32 v37, 0x7fffffff, v37, vcc_lo
	v_cndmask_b32_e32 v36, -1, v36, vcc_lo
	s_delay_alu instid0(VALU_DEP_1) | instskip(NEXT) | instid1(VALU_DEP_1)
	v_lshrrev_b64 v[36:37], s48, v[36:37]
	v_and_b32_e32 v2, s57, v36
	s_delay_alu instid0(VALU_DEP_1) | instskip(SKIP_3) | instid1(SALU_CYCLE_1)
	v_lshl_or_b32 v2, v2, 4, v94
	ds_add_u32 v2, v121
	s_wait_alu 0xfffe
	s_or_b32 exec_lo, exec_lo, s6
	s_mov_b32 s6, exec_lo
	v_cmpx_gt_u32_e64 s7, v78
	s_cbranch_execz .LBB1153_337
.LBB1153_352:                           ;   in Loop: Header=BB1153_313 Depth=2
	v_cmp_gt_i64_e32 vcc_lo, 0, v[30:31]
	v_ashrrev_i32_e32 v2, 31, v31
	s_delay_alu instid0(VALU_DEP_1) | instskip(SKIP_2) | instid1(VALU_DEP_1)
	v_not_b32_e32 v2, v2
	s_wait_alu 0xfffd
	v_cndmask_b32_e64 v36, 0x7fffffff, 0, vcc_lo
	v_xor_b32_e32 v37, v36, v31
	s_delay_alu instid0(VALU_DEP_3) | instskip(NEXT) | instid1(VALU_DEP_1)
	v_xor_b32_e32 v36, v2, v30
	v_cmp_ne_u64_e32 vcc_lo, s[34:35], v[36:37]
	s_wait_alu 0xfffd
	v_cndmask_b32_e32 v37, 0x7fffffff, v37, vcc_lo
	v_cndmask_b32_e32 v36, -1, v36, vcc_lo
	s_delay_alu instid0(VALU_DEP_1) | instskip(NEXT) | instid1(VALU_DEP_1)
	v_lshrrev_b64 v[36:37], s48, v[36:37]
	v_and_b32_e32 v2, s57, v36
	s_delay_alu instid0(VALU_DEP_1) | instskip(SKIP_3) | instid1(SALU_CYCLE_1)
	v_lshl_or_b32 v2, v2, 4, v94
	ds_add_u32 v2, v121
	s_wait_alu 0xfffe
	s_or_b32 exec_lo, exec_lo, s6
	s_mov_b32 s6, exec_lo
	v_cmpx_gt_u32_e64 s7, v79
	s_cbranch_execz .LBB1153_338
.LBB1153_353:                           ;   in Loop: Header=BB1153_313 Depth=2
	v_cmp_gt_i64_e32 vcc_lo, 0, v[28:29]
	v_ashrrev_i32_e32 v2, 31, v29
	s_delay_alu instid0(VALU_DEP_1) | instskip(SKIP_2) | instid1(VALU_DEP_1)
	v_not_b32_e32 v2, v2
	s_wait_alu 0xfffd
	v_cndmask_b32_e64 v36, 0x7fffffff, 0, vcc_lo
	v_xor_b32_e32 v37, v36, v29
	s_delay_alu instid0(VALU_DEP_3) | instskip(NEXT) | instid1(VALU_DEP_1)
	v_xor_b32_e32 v36, v2, v28
	v_cmp_ne_u64_e32 vcc_lo, s[34:35], v[36:37]
	s_wait_alu 0xfffd
	v_cndmask_b32_e32 v37, 0x7fffffff, v37, vcc_lo
	v_cndmask_b32_e32 v36, -1, v36, vcc_lo
	s_delay_alu instid0(VALU_DEP_1) | instskip(NEXT) | instid1(VALU_DEP_1)
	v_lshrrev_b64 v[36:37], s48, v[36:37]
	v_and_b32_e32 v2, s57, v36
	s_delay_alu instid0(VALU_DEP_1) | instskip(SKIP_3) | instid1(SALU_CYCLE_1)
	v_lshl_or_b32 v2, v2, 4, v94
	ds_add_u32 v2, v121
	s_wait_alu 0xfffe
	s_or_b32 exec_lo, exec_lo, s6
	s_mov_b32 s6, exec_lo
	v_cmpx_gt_u32_e64 s7, v82
	s_cbranch_execz .LBB1153_339
.LBB1153_354:                           ;   in Loop: Header=BB1153_313 Depth=2
	v_cmp_gt_i64_e32 vcc_lo, 0, v[26:27]
	v_ashrrev_i32_e32 v2, 31, v27
	s_delay_alu instid0(VALU_DEP_1) | instskip(SKIP_2) | instid1(VALU_DEP_1)
	v_not_b32_e32 v2, v2
	s_wait_alu 0xfffd
	v_cndmask_b32_e64 v36, 0x7fffffff, 0, vcc_lo
	v_xor_b32_e32 v37, v36, v27
	s_delay_alu instid0(VALU_DEP_3) | instskip(NEXT) | instid1(VALU_DEP_1)
	v_xor_b32_e32 v36, v2, v26
	v_cmp_ne_u64_e32 vcc_lo, s[34:35], v[36:37]
	s_wait_alu 0xfffd
	v_cndmask_b32_e32 v37, 0x7fffffff, v37, vcc_lo
	v_cndmask_b32_e32 v36, -1, v36, vcc_lo
	s_delay_alu instid0(VALU_DEP_1) | instskip(NEXT) | instid1(VALU_DEP_1)
	v_lshrrev_b64 v[36:37], s48, v[36:37]
	v_and_b32_e32 v2, s57, v36
	s_delay_alu instid0(VALU_DEP_1) | instskip(SKIP_3) | instid1(SALU_CYCLE_1)
	v_lshl_or_b32 v2, v2, 4, v94
	ds_add_u32 v2, v121
	s_wait_alu 0xfffe
	s_or_b32 exec_lo, exec_lo, s6
	s_mov_b32 s6, exec_lo
	v_cmpx_gt_u32_e64 s7, v83
	s_cbranch_execz .LBB1153_340
.LBB1153_355:                           ;   in Loop: Header=BB1153_313 Depth=2
	v_cmp_gt_i64_e32 vcc_lo, 0, v[24:25]
	v_ashrrev_i32_e32 v2, 31, v25
	s_delay_alu instid0(VALU_DEP_1) | instskip(SKIP_2) | instid1(VALU_DEP_1)
	v_not_b32_e32 v2, v2
	s_wait_alu 0xfffd
	v_cndmask_b32_e64 v36, 0x7fffffff, 0, vcc_lo
	v_xor_b32_e32 v37, v36, v25
	s_delay_alu instid0(VALU_DEP_3) | instskip(NEXT) | instid1(VALU_DEP_1)
	v_xor_b32_e32 v36, v2, v24
	v_cmp_ne_u64_e32 vcc_lo, s[34:35], v[36:37]
	s_wait_alu 0xfffd
	v_cndmask_b32_e32 v37, 0x7fffffff, v37, vcc_lo
	v_cndmask_b32_e32 v36, -1, v36, vcc_lo
	s_delay_alu instid0(VALU_DEP_1) | instskip(NEXT) | instid1(VALU_DEP_1)
	v_lshrrev_b64 v[36:37], s48, v[36:37]
	v_and_b32_e32 v2, s57, v36
	s_delay_alu instid0(VALU_DEP_1) | instskip(SKIP_3) | instid1(SALU_CYCLE_1)
	v_lshl_or_b32 v2, v2, 4, v94
	ds_add_u32 v2, v121
	s_wait_alu 0xfffe
	s_or_b32 exec_lo, exec_lo, s6
	s_mov_b32 s6, exec_lo
	v_cmpx_gt_u32_e64 s7, v84
	s_cbranch_execz .LBB1153_341
.LBB1153_356:                           ;   in Loop: Header=BB1153_313 Depth=2
	v_cmp_gt_i64_e32 vcc_lo, 0, v[22:23]
	v_ashrrev_i32_e32 v2, 31, v23
	s_delay_alu instid0(VALU_DEP_1) | instskip(SKIP_2) | instid1(VALU_DEP_1)
	v_not_b32_e32 v2, v2
	s_wait_alu 0xfffd
	v_cndmask_b32_e64 v36, 0x7fffffff, 0, vcc_lo
	v_xor_b32_e32 v37, v36, v23
	s_delay_alu instid0(VALU_DEP_3) | instskip(NEXT) | instid1(VALU_DEP_1)
	v_xor_b32_e32 v36, v2, v22
	v_cmp_ne_u64_e32 vcc_lo, s[34:35], v[36:37]
	s_wait_alu 0xfffd
	v_cndmask_b32_e32 v37, 0x7fffffff, v37, vcc_lo
	v_cndmask_b32_e32 v36, -1, v36, vcc_lo
	s_delay_alu instid0(VALU_DEP_1) | instskip(NEXT) | instid1(VALU_DEP_1)
	v_lshrrev_b64 v[36:37], s48, v[36:37]
	v_and_b32_e32 v2, s57, v36
	s_delay_alu instid0(VALU_DEP_1) | instskip(SKIP_3) | instid1(SALU_CYCLE_1)
	v_lshl_or_b32 v2, v2, 4, v94
	ds_add_u32 v2, v121
	s_wait_alu 0xfffe
	s_or_b32 exec_lo, exec_lo, s6
	s_mov_b32 s6, exec_lo
	v_cmpx_gt_u32_e64 s7, v85
	s_cbranch_execz .LBB1153_342
.LBB1153_357:                           ;   in Loop: Header=BB1153_313 Depth=2
	v_cmp_gt_i64_e32 vcc_lo, 0, v[20:21]
	v_ashrrev_i32_e32 v2, 31, v21
	s_delay_alu instid0(VALU_DEP_1) | instskip(SKIP_2) | instid1(VALU_DEP_1)
	v_not_b32_e32 v2, v2
	s_wait_alu 0xfffd
	v_cndmask_b32_e64 v36, 0x7fffffff, 0, vcc_lo
	v_xor_b32_e32 v37, v36, v21
	s_delay_alu instid0(VALU_DEP_3) | instskip(NEXT) | instid1(VALU_DEP_1)
	v_xor_b32_e32 v36, v2, v20
	v_cmp_ne_u64_e32 vcc_lo, s[34:35], v[36:37]
	s_wait_alu 0xfffd
	v_cndmask_b32_e32 v37, 0x7fffffff, v37, vcc_lo
	v_cndmask_b32_e32 v36, -1, v36, vcc_lo
	s_delay_alu instid0(VALU_DEP_1) | instskip(NEXT) | instid1(VALU_DEP_1)
	v_lshrrev_b64 v[36:37], s48, v[36:37]
	v_and_b32_e32 v2, s57, v36
	s_delay_alu instid0(VALU_DEP_1) | instskip(SKIP_3) | instid1(SALU_CYCLE_1)
	v_lshl_or_b32 v2, v2, 4, v94
	ds_add_u32 v2, v121
	s_wait_alu 0xfffe
	s_or_b32 exec_lo, exec_lo, s6
	s_mov_b32 s6, exec_lo
	v_cmpx_gt_u32_e64 s7, v86
	s_cbranch_execz .LBB1153_343
.LBB1153_358:                           ;   in Loop: Header=BB1153_313 Depth=2
	v_cmp_gt_i64_e32 vcc_lo, 0, v[18:19]
	v_ashrrev_i32_e32 v2, 31, v19
	s_delay_alu instid0(VALU_DEP_1) | instskip(SKIP_2) | instid1(VALU_DEP_1)
	v_not_b32_e32 v2, v2
	s_wait_alu 0xfffd
	v_cndmask_b32_e64 v36, 0x7fffffff, 0, vcc_lo
	v_xor_b32_e32 v37, v36, v19
	s_delay_alu instid0(VALU_DEP_3) | instskip(NEXT) | instid1(VALU_DEP_1)
	v_xor_b32_e32 v36, v2, v18
	v_cmp_ne_u64_e32 vcc_lo, s[34:35], v[36:37]
	s_wait_alu 0xfffd
	v_cndmask_b32_e32 v37, 0x7fffffff, v37, vcc_lo
	v_cndmask_b32_e32 v36, -1, v36, vcc_lo
	s_delay_alu instid0(VALU_DEP_1) | instskip(NEXT) | instid1(VALU_DEP_1)
	v_lshrrev_b64 v[36:37], s48, v[36:37]
	v_and_b32_e32 v2, s57, v36
	s_delay_alu instid0(VALU_DEP_1) | instskip(SKIP_3) | instid1(SALU_CYCLE_1)
	v_lshl_or_b32 v2, v2, 4, v94
	ds_add_u32 v2, v121
	s_wait_alu 0xfffe
	s_or_b32 exec_lo, exec_lo, s6
	s_mov_b32 s6, exec_lo
	v_cmpx_gt_u32_e64 s7, v87
	s_cbranch_execz .LBB1153_344
.LBB1153_359:                           ;   in Loop: Header=BB1153_313 Depth=2
	v_cmp_gt_i64_e32 vcc_lo, 0, v[16:17]
	v_ashrrev_i32_e32 v2, 31, v17
	s_delay_alu instid0(VALU_DEP_1) | instskip(SKIP_2) | instid1(VALU_DEP_1)
	v_not_b32_e32 v2, v2
	s_wait_alu 0xfffd
	v_cndmask_b32_e64 v36, 0x7fffffff, 0, vcc_lo
	v_xor_b32_e32 v37, v36, v17
	s_delay_alu instid0(VALU_DEP_3) | instskip(NEXT) | instid1(VALU_DEP_1)
	v_xor_b32_e32 v36, v2, v16
	v_cmp_ne_u64_e32 vcc_lo, s[34:35], v[36:37]
	s_wait_alu 0xfffd
	v_cndmask_b32_e32 v37, 0x7fffffff, v37, vcc_lo
	v_cndmask_b32_e32 v36, -1, v36, vcc_lo
	s_delay_alu instid0(VALU_DEP_1) | instskip(NEXT) | instid1(VALU_DEP_1)
	v_lshrrev_b64 v[36:37], s48, v[36:37]
	v_and_b32_e32 v2, s57, v36
	s_delay_alu instid0(VALU_DEP_1) | instskip(SKIP_3) | instid1(SALU_CYCLE_1)
	v_lshl_or_b32 v2, v2, 4, v94
	ds_add_u32 v2, v121
	s_wait_alu 0xfffe
	s_or_b32 exec_lo, exec_lo, s6
	s_mov_b32 s6, exec_lo
	v_cmpx_gt_u32_e64 s7, v88
	s_cbranch_execz .LBB1153_345
.LBB1153_360:                           ;   in Loop: Header=BB1153_313 Depth=2
	v_cmp_gt_i64_e32 vcc_lo, 0, v[14:15]
	v_ashrrev_i32_e32 v2, 31, v15
	s_delay_alu instid0(VALU_DEP_1) | instskip(SKIP_2) | instid1(VALU_DEP_1)
	v_not_b32_e32 v2, v2
	s_wait_alu 0xfffd
	v_cndmask_b32_e64 v36, 0x7fffffff, 0, vcc_lo
	v_xor_b32_e32 v37, v36, v15
	s_delay_alu instid0(VALU_DEP_3) | instskip(NEXT) | instid1(VALU_DEP_1)
	v_xor_b32_e32 v36, v2, v14
	v_cmp_ne_u64_e32 vcc_lo, s[34:35], v[36:37]
	s_wait_alu 0xfffd
	v_cndmask_b32_e32 v37, 0x7fffffff, v37, vcc_lo
	v_cndmask_b32_e32 v36, -1, v36, vcc_lo
	s_delay_alu instid0(VALU_DEP_1) | instskip(NEXT) | instid1(VALU_DEP_1)
	v_lshrrev_b64 v[36:37], s48, v[36:37]
	v_and_b32_e32 v2, s57, v36
	s_delay_alu instid0(VALU_DEP_1) | instskip(SKIP_3) | instid1(SALU_CYCLE_1)
	v_lshl_or_b32 v2, v2, 4, v94
	ds_add_u32 v2, v121
	s_wait_alu 0xfffe
	s_or_b32 exec_lo, exec_lo, s6
	s_mov_b32 s6, exec_lo
	v_cmpx_gt_u32_e64 s7, v89
	s_cbranch_execz .LBB1153_346
.LBB1153_361:                           ;   in Loop: Header=BB1153_313 Depth=2
	v_cmp_gt_i64_e32 vcc_lo, 0, v[12:13]
	v_ashrrev_i32_e32 v2, 31, v13
	s_delay_alu instid0(VALU_DEP_1) | instskip(SKIP_2) | instid1(VALU_DEP_1)
	v_not_b32_e32 v2, v2
	s_wait_alu 0xfffd
	v_cndmask_b32_e64 v36, 0x7fffffff, 0, vcc_lo
	v_xor_b32_e32 v37, v36, v13
	s_delay_alu instid0(VALU_DEP_3) | instskip(NEXT) | instid1(VALU_DEP_1)
	v_xor_b32_e32 v36, v2, v12
	v_cmp_ne_u64_e32 vcc_lo, s[34:35], v[36:37]
	s_wait_alu 0xfffd
	v_cndmask_b32_e32 v37, 0x7fffffff, v37, vcc_lo
	v_cndmask_b32_e32 v36, -1, v36, vcc_lo
	s_delay_alu instid0(VALU_DEP_1) | instskip(NEXT) | instid1(VALU_DEP_1)
	v_lshrrev_b64 v[36:37], s48, v[36:37]
	v_and_b32_e32 v2, s57, v36
	s_delay_alu instid0(VALU_DEP_1) | instskip(SKIP_3) | instid1(SALU_CYCLE_1)
	v_lshl_or_b32 v2, v2, 4, v94
	ds_add_u32 v2, v121
	s_wait_alu 0xfffe
	s_or_b32 exec_lo, exec_lo, s6
	s_mov_b32 s6, exec_lo
	v_cmpx_gt_u32_e64 s7, v90
	s_cbranch_execz .LBB1153_347
.LBB1153_362:                           ;   in Loop: Header=BB1153_313 Depth=2
	v_cmp_gt_i64_e32 vcc_lo, 0, v[10:11]
	v_ashrrev_i32_e32 v2, 31, v11
	s_delay_alu instid0(VALU_DEP_1) | instskip(SKIP_2) | instid1(VALU_DEP_1)
	v_not_b32_e32 v2, v2
	s_wait_alu 0xfffd
	v_cndmask_b32_e64 v36, 0x7fffffff, 0, vcc_lo
	v_xor_b32_e32 v37, v36, v11
	s_delay_alu instid0(VALU_DEP_3) | instskip(NEXT) | instid1(VALU_DEP_1)
	v_xor_b32_e32 v36, v2, v10
	v_cmp_ne_u64_e32 vcc_lo, s[34:35], v[36:37]
	s_wait_alu 0xfffd
	v_cndmask_b32_e32 v37, 0x7fffffff, v37, vcc_lo
	v_cndmask_b32_e32 v36, -1, v36, vcc_lo
	s_delay_alu instid0(VALU_DEP_1) | instskip(NEXT) | instid1(VALU_DEP_1)
	v_lshrrev_b64 v[36:37], s48, v[36:37]
	v_and_b32_e32 v2, s57, v36
	s_delay_alu instid0(VALU_DEP_1) | instskip(SKIP_3) | instid1(SALU_CYCLE_1)
	v_lshl_or_b32 v2, v2, 4, v94
	ds_add_u32 v2, v121
	s_wait_alu 0xfffe
	s_or_b32 exec_lo, exec_lo, s6
	s_mov_b32 s6, exec_lo
	v_cmpx_gt_u32_e64 s7, v91
	s_cbranch_execz .LBB1153_348
.LBB1153_363:                           ;   in Loop: Header=BB1153_313 Depth=2
	v_cmp_gt_i64_e32 vcc_lo, 0, v[8:9]
	v_ashrrev_i32_e32 v2, 31, v9
	s_delay_alu instid0(VALU_DEP_1) | instskip(SKIP_2) | instid1(VALU_DEP_1)
	v_not_b32_e32 v2, v2
	s_wait_alu 0xfffd
	v_cndmask_b32_e64 v36, 0x7fffffff, 0, vcc_lo
	v_xor_b32_e32 v37, v36, v9
	s_delay_alu instid0(VALU_DEP_3) | instskip(NEXT) | instid1(VALU_DEP_1)
	v_xor_b32_e32 v36, v2, v8
	v_cmp_ne_u64_e32 vcc_lo, s[34:35], v[36:37]
	s_wait_alu 0xfffd
	v_cndmask_b32_e32 v37, 0x7fffffff, v37, vcc_lo
	v_cndmask_b32_e32 v36, -1, v36, vcc_lo
	s_delay_alu instid0(VALU_DEP_1) | instskip(NEXT) | instid1(VALU_DEP_1)
	v_lshrrev_b64 v[36:37], s48, v[36:37]
	v_and_b32_e32 v2, s57, v36
	s_delay_alu instid0(VALU_DEP_1) | instskip(SKIP_3) | instid1(SALU_CYCLE_1)
	v_lshl_or_b32 v2, v2, 4, v94
	ds_add_u32 v2, v121
	s_wait_alu 0xfffe
	s_or_b32 exec_lo, exec_lo, s6
	s_mov_b32 s6, exec_lo
	v_cmpx_gt_u32_e64 s7, v92
	s_cbranch_execz .LBB1153_349
.LBB1153_364:                           ;   in Loop: Header=BB1153_313 Depth=2
	v_cmp_gt_i64_e32 vcc_lo, 0, v[6:7]
	v_ashrrev_i32_e32 v2, 31, v7
	s_delay_alu instid0(VALU_DEP_1) | instskip(SKIP_2) | instid1(VALU_DEP_1)
	v_not_b32_e32 v2, v2
	s_wait_alu 0xfffd
	v_cndmask_b32_e64 v36, 0x7fffffff, 0, vcc_lo
	v_xor_b32_e32 v37, v36, v7
	s_delay_alu instid0(VALU_DEP_3) | instskip(NEXT) | instid1(VALU_DEP_1)
	v_xor_b32_e32 v36, v2, v6
	v_cmp_ne_u64_e32 vcc_lo, s[34:35], v[36:37]
	s_wait_alu 0xfffd
	v_cndmask_b32_e32 v37, 0x7fffffff, v37, vcc_lo
	v_cndmask_b32_e32 v36, -1, v36, vcc_lo
	s_delay_alu instid0(VALU_DEP_1) | instskip(NEXT) | instid1(VALU_DEP_1)
	v_lshrrev_b64 v[36:37], s48, v[36:37]
	v_and_b32_e32 v2, s57, v36
	s_delay_alu instid0(VALU_DEP_1) | instskip(SKIP_3) | instid1(SALU_CYCLE_1)
	v_lshl_or_b32 v2, v2, 4, v94
	ds_add_u32 v2, v121
	s_wait_alu 0xfffe
	s_or_b32 exec_lo, exec_lo, s6
	s_mov_b32 s6, exec_lo
	v_cmpx_gt_u32_e64 s7, v93
	s_cbranch_execz .LBB1153_312
.LBB1153_365:                           ;   in Loop: Header=BB1153_313 Depth=2
	v_cmp_gt_i64_e32 vcc_lo, 0, v[4:5]
	v_ashrrev_i32_e32 v2, 31, v5
	s_delay_alu instid0(VALU_DEP_1) | instskip(SKIP_2) | instid1(VALU_DEP_1)
	v_not_b32_e32 v2, v2
	s_wait_alu 0xfffd
	v_cndmask_b32_e64 v36, 0x7fffffff, 0, vcc_lo
	v_xor_b32_e32 v37, v36, v5
	s_delay_alu instid0(VALU_DEP_3) | instskip(NEXT) | instid1(VALU_DEP_1)
	v_xor_b32_e32 v36, v2, v4
	v_cmp_ne_u64_e32 vcc_lo, s[34:35], v[36:37]
	s_wait_alu 0xfffd
	v_cndmask_b32_e32 v37, 0x7fffffff, v37, vcc_lo
	v_cndmask_b32_e32 v36, -1, v36, vcc_lo
	s_delay_alu instid0(VALU_DEP_1) | instskip(NEXT) | instid1(VALU_DEP_1)
	v_lshrrev_b64 v[36:37], s48, v[36:37]
	v_and_b32_e32 v2, s57, v36
	s_delay_alu instid0(VALU_DEP_1)
	v_lshl_or_b32 v2, v2, 4, v94
	ds_add_u32 v2, v121
	s_branch .LBB1153_312
.LBB1153_366:                           ;   in Loop: Header=BB1153_313 Depth=2
	global_load_b64 v[34:35], v122, s[6:7]
	s_or_b32 exec_lo, exec_lo, s10
	s_delay_alu instid0(SALU_CYCLE_1)
	s_mov_b32 s10, exec_lo
	v_cmpx_gt_u32_e64 s8, v77
	s_cbranch_execz .LBB1153_318
.LBB1153_367:                           ;   in Loop: Header=BB1153_313 Depth=2
	global_load_b64 v[32:33], v122, s[6:7] offset:2048
	s_wait_alu 0xfffe
	s_or_b32 exec_lo, exec_lo, s10
	s_delay_alu instid0(SALU_CYCLE_1)
	s_mov_b32 s10, exec_lo
	v_cmpx_gt_u32_e64 s8, v78
	s_cbranch_execz .LBB1153_319
.LBB1153_368:                           ;   in Loop: Header=BB1153_313 Depth=2
	global_load_b64 v[30:31], v122, s[6:7] offset:4096
	s_wait_alu 0xfffe
	s_or_b32 exec_lo, exec_lo, s10
	s_delay_alu instid0(SALU_CYCLE_1)
	s_mov_b32 s10, exec_lo
	v_cmpx_gt_u32_e64 s8, v79
	s_cbranch_execz .LBB1153_320
.LBB1153_369:                           ;   in Loop: Header=BB1153_313 Depth=2
	global_load_b64 v[28:29], v122, s[6:7] offset:6144
	s_wait_alu 0xfffe
	s_or_b32 exec_lo, exec_lo, s10
	s_delay_alu instid0(SALU_CYCLE_1)
	s_mov_b32 s10, exec_lo
	v_cmpx_gt_u32_e64 s8, v82
	s_cbranch_execz .LBB1153_321
.LBB1153_370:                           ;   in Loop: Header=BB1153_313 Depth=2
	global_load_b64 v[26:27], v122, s[6:7] offset:8192
	s_wait_alu 0xfffe
	s_or_b32 exec_lo, exec_lo, s10
	s_delay_alu instid0(SALU_CYCLE_1)
	s_mov_b32 s10, exec_lo
	v_cmpx_gt_u32_e64 s8, v83
	s_cbranch_execz .LBB1153_322
.LBB1153_371:                           ;   in Loop: Header=BB1153_313 Depth=2
	global_load_b64 v[24:25], v122, s[6:7] offset:10240
	s_wait_alu 0xfffe
	s_or_b32 exec_lo, exec_lo, s10
	s_delay_alu instid0(SALU_CYCLE_1)
	s_mov_b32 s10, exec_lo
	v_cmpx_gt_u32_e64 s8, v84
	s_cbranch_execz .LBB1153_323
.LBB1153_372:                           ;   in Loop: Header=BB1153_313 Depth=2
	global_load_b64 v[22:23], v122, s[6:7] offset:12288
	s_wait_alu 0xfffe
	s_or_b32 exec_lo, exec_lo, s10
	s_delay_alu instid0(SALU_CYCLE_1)
	s_mov_b32 s10, exec_lo
	v_cmpx_gt_u32_e64 s8, v85
	s_cbranch_execz .LBB1153_324
.LBB1153_373:                           ;   in Loop: Header=BB1153_313 Depth=2
	global_load_b64 v[20:21], v122, s[6:7] offset:14336
	s_wait_alu 0xfffe
	s_or_b32 exec_lo, exec_lo, s10
	s_delay_alu instid0(SALU_CYCLE_1)
	s_mov_b32 s10, exec_lo
	v_cmpx_gt_u32_e64 s8, v86
	s_cbranch_execz .LBB1153_325
.LBB1153_374:                           ;   in Loop: Header=BB1153_313 Depth=2
	global_load_b64 v[18:19], v122, s[6:7] offset:16384
	s_wait_alu 0xfffe
	s_or_b32 exec_lo, exec_lo, s10
	s_delay_alu instid0(SALU_CYCLE_1)
	s_mov_b32 s10, exec_lo
	v_cmpx_gt_u32_e64 s8, v87
	s_cbranch_execz .LBB1153_326
.LBB1153_375:                           ;   in Loop: Header=BB1153_313 Depth=2
	global_load_b64 v[16:17], v122, s[6:7] offset:18432
	s_wait_alu 0xfffe
	s_or_b32 exec_lo, exec_lo, s10
	s_delay_alu instid0(SALU_CYCLE_1)
	s_mov_b32 s10, exec_lo
	v_cmpx_gt_u32_e64 s8, v88
	s_cbranch_execz .LBB1153_327
.LBB1153_376:                           ;   in Loop: Header=BB1153_313 Depth=2
	global_load_b64 v[14:15], v122, s[6:7] offset:20480
	s_wait_alu 0xfffe
	s_or_b32 exec_lo, exec_lo, s10
	s_delay_alu instid0(SALU_CYCLE_1)
	s_mov_b32 s10, exec_lo
	v_cmpx_gt_u32_e64 s8, v89
	s_cbranch_execz .LBB1153_328
.LBB1153_377:                           ;   in Loop: Header=BB1153_313 Depth=2
	global_load_b64 v[12:13], v122, s[6:7] offset:22528
	s_wait_alu 0xfffe
	s_or_b32 exec_lo, exec_lo, s10
	s_delay_alu instid0(SALU_CYCLE_1)
	s_mov_b32 s10, exec_lo
	v_cmpx_gt_u32_e64 s8, v90
	s_cbranch_execz .LBB1153_329
.LBB1153_378:                           ;   in Loop: Header=BB1153_313 Depth=2
	global_load_b64 v[10:11], v122, s[6:7] offset:24576
	s_wait_alu 0xfffe
	s_or_b32 exec_lo, exec_lo, s10
	s_delay_alu instid0(SALU_CYCLE_1)
	s_mov_b32 s10, exec_lo
	v_cmpx_gt_u32_e64 s8, v91
	s_cbranch_execz .LBB1153_330
.LBB1153_379:                           ;   in Loop: Header=BB1153_313 Depth=2
	global_load_b64 v[8:9], v122, s[6:7] offset:26624
	s_wait_alu 0xfffe
	s_or_b32 exec_lo, exec_lo, s10
	s_delay_alu instid0(SALU_CYCLE_1)
	s_mov_b32 s10, exec_lo
	v_cmpx_gt_u32_e64 s8, v92
	s_cbranch_execz .LBB1153_331
.LBB1153_380:                           ;   in Loop: Header=BB1153_313 Depth=2
	global_load_b64 v[6:7], v122, s[6:7] offset:28672
	s_wait_alu 0xfffe
	s_or_b32 exec_lo, exec_lo, s10
	s_delay_alu instid0(SALU_CYCLE_1)
	s_mov_b32 s10, exec_lo
	v_cmpx_gt_u32_e64 s8, v93
	s_cbranch_execnz .LBB1153_332
	s_branch .LBB1153_333
.LBB1153_381:                           ;   in Loop: Header=BB1153_17 Depth=1
	v_mov_b32_e32 v2, 0
	s_wait_dscnt 0x0
	s_barrier_signal -1
	s_barrier_wait -1
	global_inv scope:SCOPE_SE
	s_and_saveexec_b32 s6, s2
	s_cbranch_execz .LBB1153_383
; %bb.382:                              ;   in Loop: Header=BB1153_17 Depth=1
	ds_load_2addr_b64 v[4:7], v96 offset1:1
	s_wait_dscnt 0x0
	v_add_nc_u32_e32 v2, v5, v4
	s_delay_alu instid0(VALU_DEP_1)
	v_add3_u32 v2, v2, v6, v7
.LBB1153_383:                           ;   in Loop: Header=BB1153_17 Depth=1
	s_wait_alu 0xfffe
	s_or_b32 exec_lo, exec_lo, s6
	v_and_b32_e32 v4, 15, v123
	s_delay_alu instid0(VALU_DEP_2) | instskip(SKIP_1) | instid1(VALU_DEP_3)
	v_mov_b32_dpp v5, v2 row_shr:1 row_mask:0xf bank_mask:0xf
	v_and_b32_e32 v6, 16, v123
	v_cmp_eq_u32_e64 s6, 0, v4
	v_cmp_lt_u32_e64 s7, 1, v4
	v_cmp_lt_u32_e64 s8, 3, v4
	;; [unrolled: 1-line block ×3, first 2 shown]
	v_cmp_eq_u32_e64 s10, 0, v6
	s_wait_alu 0xf1ff
	v_cndmask_b32_e64 v5, v5, 0, s6
	s_delay_alu instid0(VALU_DEP_1) | instskip(NEXT) | instid1(VALU_DEP_1)
	v_add_nc_u32_e32 v2, v5, v2
	v_mov_b32_dpp v5, v2 row_shr:2 row_mask:0xf bank_mask:0xf
	s_delay_alu instid0(VALU_DEP_1) | instskip(NEXT) | instid1(VALU_DEP_1)
	v_cndmask_b32_e64 v5, 0, v5, s7
	v_add_nc_u32_e32 v2, v2, v5
	s_delay_alu instid0(VALU_DEP_1) | instskip(NEXT) | instid1(VALU_DEP_1)
	v_mov_b32_dpp v5, v2 row_shr:4 row_mask:0xf bank_mask:0xf
	v_cndmask_b32_e64 v5, 0, v5, s8
	s_delay_alu instid0(VALU_DEP_1) | instskip(NEXT) | instid1(VALU_DEP_1)
	v_add_nc_u32_e32 v2, v2, v5
	v_mov_b32_dpp v5, v2 row_shr:8 row_mask:0xf bank_mask:0xf
	s_delay_alu instid0(VALU_DEP_1) | instskip(SKIP_1) | instid1(VALU_DEP_2)
	v_cndmask_b32_e64 v4, 0, v5, s9
	v_bfe_i32 v5, v123, 4, 1
	v_add_nc_u32_e32 v2, v2, v4
	ds_swizzle_b32 v4, v2 offset:swizzle(BROADCAST,32,15)
	s_wait_dscnt 0x0
	v_and_b32_e32 v4, v5, v4
	s_delay_alu instid0(VALU_DEP_1)
	v_add_nc_u32_e32 v4, v2, v4
	s_and_saveexec_b32 s11, s3
; %bb.384:                              ;   in Loop: Header=BB1153_17 Depth=1
	ds_store_b32 v97, v4
; %bb.385:                              ;   in Loop: Header=BB1153_17 Depth=1
	s_wait_alu 0xfffe
	s_or_b32 exec_lo, exec_lo, s11
	v_and_b32_e32 v2, 7, v123
	s_wait_loadcnt_dscnt 0x0
	s_barrier_signal -1
	s_barrier_wait -1
	global_inv scope:SCOPE_SE
	s_and_saveexec_b32 s11, s4
	s_cbranch_execz .LBB1153_387
; %bb.386:                              ;   in Loop: Header=BB1153_17 Depth=1
	ds_load_b32 v5, v98
	v_cmp_ne_u32_e32 vcc_lo, 0, v2
	s_wait_dscnt 0x0
	v_mov_b32_dpp v6, v5 row_shr:1 row_mask:0xf bank_mask:0xf
	s_wait_alu 0xfffd
	s_delay_alu instid0(VALU_DEP_1) | instskip(SKIP_1) | instid1(VALU_DEP_2)
	v_cndmask_b32_e32 v6, 0, v6, vcc_lo
	v_cmp_lt_u32_e32 vcc_lo, 1, v2
	v_add_nc_u32_e32 v5, v6, v5
	s_delay_alu instid0(VALU_DEP_1) | instskip(SKIP_1) | instid1(VALU_DEP_1)
	v_mov_b32_dpp v6, v5 row_shr:2 row_mask:0xf bank_mask:0xf
	s_wait_alu 0xfffd
	v_cndmask_b32_e32 v6, 0, v6, vcc_lo
	v_cmp_lt_u32_e32 vcc_lo, 3, v2
	s_delay_alu instid0(VALU_DEP_2) | instskip(NEXT) | instid1(VALU_DEP_1)
	v_add_nc_u32_e32 v5, v5, v6
	v_mov_b32_dpp v6, v5 row_shr:4 row_mask:0xf bank_mask:0xf
	s_wait_alu 0xfffd
	s_delay_alu instid0(VALU_DEP_1) | instskip(NEXT) | instid1(VALU_DEP_1)
	v_cndmask_b32_e32 v6, 0, v6, vcc_lo
	v_add_nc_u32_e32 v5, v5, v6
	ds_store_b32 v98, v5
.LBB1153_387:                           ;   in Loop: Header=BB1153_17 Depth=1
	s_wait_alu 0xfffe
	s_or_b32 exec_lo, exec_lo, s11
	v_mov_b32_e32 v5, 0
	s_wait_loadcnt_dscnt 0x0
	s_barrier_signal -1
	s_barrier_wait -1
	global_inv scope:SCOPE_SE
	s_and_saveexec_b32 s11, s5
; %bb.388:                              ;   in Loop: Header=BB1153_17 Depth=1
	ds_load_b32 v5, v99
; %bb.389:                              ;   in Loop: Header=BB1153_17 Depth=1
	s_wait_alu 0xfffe
	s_or_b32 exec_lo, exec_lo, s11
	v_sub_co_u32 v6, s11, v123, 1
	s_wait_dscnt 0x0
	v_add_nc_u32_e32 v4, v5, v4
	s_wait_loadcnt 0x0
	s_barrier_signal -1
	v_cmp_gt_i32_e32 vcc_lo, 0, v6
	s_barrier_wait -1
	global_inv scope:SCOPE_SE
	s_wait_alu 0xfffd
	v_cndmask_b32_e32 v6, v6, v123, vcc_lo
	s_delay_alu instid0(VALU_DEP_1)
	v_lshlrev_b32_e32 v124, 2, v6
	ds_bpermute_b32 v4, v124, v4
	s_and_saveexec_b32 s12, s2
	s_cbranch_execz .LBB1153_391
; %bb.390:                              ;   in Loop: Header=BB1153_17 Depth=1
	s_wait_dscnt 0x0
	v_cndmask_b32_e64 v4, v4, v5, s11
	s_delay_alu instid0(VALU_DEP_1)
	v_add_nc_u32_e32 v4, s33, v4
	ds_store_b32 v76, v4
.LBB1153_391:                           ;   in Loop: Header=BB1153_17 Depth=1
	s_wait_alu 0xfffe
	s_or_b32 exec_lo, exec_lo, s12
	s_load_b64 s[12:13], s[52:53], 0x0
	s_mov_b32 s15, s34
	v_lshlrev_b32_e32 v6, 3, v123
	v_or_b32_e32 v125, v123, v100
	s_mov_b32 s58, s55
	s_mov_b32 s42, s33
                                        ; implicit-def: $vgpr8_vgpr9
                                        ; implicit-def: $vgpr10_vgpr11
                                        ; implicit-def: $vgpr12_vgpr13
                                        ; implicit-def: $vgpr14_vgpr15
                                        ; implicit-def: $vgpr16_vgpr17
                                        ; implicit-def: $vgpr18_vgpr19
                                        ; implicit-def: $vgpr20_vgpr21
                                        ; implicit-def: $vgpr22_vgpr23
                                        ; implicit-def: $vgpr24_vgpr25
                                        ; implicit-def: $vgpr26_vgpr27
                                        ; implicit-def: $vgpr28_vgpr29
                                        ; implicit-def: $vgpr30_vgpr31
                                        ; implicit-def: $vgpr32_vgpr33
                                        ; implicit-def: $vgpr34_vgpr35
                                        ; implicit-def: $vgpr146
                                        ; implicit-def: $vgpr147
                                        ; implicit-def: $vgpr148
                                        ; implicit-def: $vgpr149
                                        ; implicit-def: $vgpr150
                                        ; implicit-def: $vgpr151
                                        ; implicit-def: $vgpr152
                                        ; implicit-def: $vgpr153
                                        ; implicit-def: $vgpr154
                                        ; implicit-def: $vgpr155
                                        ; implicit-def: $vgpr156
                                        ; implicit-def: $vgpr157
                                        ; implicit-def: $vgpr158
                                        ; implicit-def: $vgpr159
                                        ; implicit-def: $vgpr160
                                        ; implicit-def: $vgpr161
	s_delay_alu instid0(VALU_DEP_2)
	v_add_co_u32 v126, vcc_lo, v111, v6
	s_wait_alu 0xfffd
	v_add_co_ci_u32_e64 v127, null, 0, v112, vcc_lo
	v_add_co_u32 v143, vcc_lo, v113, v6
	v_or_b32_e32 v128, 32, v125
	v_or_b32_e32 v129, 64, v125
	;; [unrolled: 1-line block ×7, first 2 shown]
	s_wait_kmcnt 0x0
	s_cmp_lt_u32 ttmp7, s13
	s_mov_b32 s13, s34
	s_cselect_b32 s14, 14, 20
	s_cmp_lt_u32 ttmp9, s12
	s_wait_alu 0xfffe
	s_add_nc_u64 s[14:15], s[52:53], s[14:15]
	s_cselect_b32 s12, 12, 18
	s_load_u16 s15, s[14:15], 0x0
	s_add_nc_u64 s[12:13], s[52:53], s[12:13]
	v_or_b32_e32 v135, 0x100, v125
	s_load_u16 s16, s[12:13], 0x0
	v_cmp_eq_u32_e64 s12, 0, v2
	v_cmp_lt_u32_e64 s13, 1, v2
	v_cmp_lt_u32_e64 s14, 3, v2
	v_or_b32_e32 v136, 0x120, v125
	v_or_b32_e32 v137, 0x140, v125
	;; [unrolled: 1-line block ×7, first 2 shown]
	v_add_co_ci_u32_e64 v144, null, 0, v114, vcc_lo
                                        ; implicit-def: $vgpr6_vgpr7
	s_wait_kmcnt 0x0
	v_mad_u32_u24 v2, v102, s15, v0
	s_wait_dscnt 0x0
	s_delay_alu instid0(VALU_DEP_1) | instskip(NEXT) | instid1(VALU_DEP_1)
	v_mad_co_u64_u32 v[4:5], null, v2, s16, v[1:2]
	v_lshrrev_b32_e32 v2, 3, v4
                                        ; implicit-def: $vgpr4_vgpr5
	s_delay_alu instid0(VALU_DEP_1)
	v_and_b32_e32 v145, 0x1ffffffc, v2
	s_branch .LBB1153_393
.LBB1153_392:                           ;   in Loop: Header=BB1153_393 Depth=2
	s_wait_alu 0xfffe
	s_or_b32 exec_lo, exec_lo, s15
	s_addk_co_i32 s58, 0xf000
	s_cmp_lt_u32 s59, s51
	s_mov_b32 s42, s59
	s_cbranch_scc0 .LBB1153_601
.LBB1153_393:                           ;   Parent Loop BB1153_17 Depth=1
                                        ; =>  This Inner Loop Header: Depth=2
	s_wait_alu 0xfffe
	s_add_co_i32 s59, s42, 0x1000
	s_wait_alu 0xfffe
	s_cmp_gt_u32 s59, s51
	s_cbranch_scc1 .LBB1153_395
; %bb.394:                              ;   in Loop: Header=BB1153_393 Depth=2
	s_mov_b32 s43, s34
	s_mov_b32 s15, -1
	s_wait_alu 0xfffe
	s_lshl_b64 s[16:17], s[42:43], 3
	s_wait_alu 0xfffe
	v_add_co_u32 v42, vcc_lo, v143, s16
	s_wait_alu 0xfffd
	v_add_co_ci_u32_e64 v43, null, s17, v144, vcc_lo
	s_clause 0xe
	global_load_b64 v[36:37], v[42:43], off
	global_load_b64 v[38:39], v[42:43], off offset:256
	global_load_b64 v[40:41], v[42:43], off offset:512
	;; [unrolled: 1-line block ×14, first 2 shown]
	s_movk_i32 s16, 0x1000
	s_cbranch_execz .LBB1153_396
	s_branch .LBB1153_427
.LBB1153_395:                           ;   in Loop: Header=BB1153_393 Depth=2
	s_mov_b32 s15, 0
                                        ; implicit-def: $vgpr36_vgpr37
                                        ; implicit-def: $vgpr38_vgpr39
                                        ; implicit-def: $vgpr40_vgpr41
                                        ; implicit-def: $vgpr48_vgpr49
                                        ; implicit-def: $vgpr52_vgpr53
                                        ; implicit-def: $vgpr56_vgpr57
                                        ; implicit-def: $vgpr60_vgpr61
                                        ; implicit-def: $vgpr64_vgpr65
                                        ; implicit-def: $vgpr66_vgpr67
                                        ; implicit-def: $vgpr62_vgpr63
                                        ; implicit-def: $vgpr58_vgpr59
                                        ; implicit-def: $vgpr54_vgpr55
                                        ; implicit-def: $vgpr50_vgpr51
                                        ; implicit-def: $vgpr46_vgpr47
                                        ; implicit-def: $vgpr44_vgpr45
	s_movk_i32 s16, 0x1000
.LBB1153_396:                           ;   in Loop: Header=BB1153_393 Depth=2
	s_mov_b32 s43, s34
	s_wait_loadcnt 0xd
	v_mov_b32_e32 v38, -1
	s_wait_alu 0xfffe
	s_lshl_b64 s[16:17], s[42:43], 3
	v_dual_mov_b32 v39, -1 :: v_dual_mov_b32 v36, -1
	s_wait_alu 0xfffe
	v_add_co_u32 v42, vcc_lo, v143, s16
	s_wait_alu 0xfffd
	v_add_co_ci_u32_e64 v43, null, s17, v144, vcc_lo
	v_mov_b32_e32 v37, -1
	s_mov_b32 s15, exec_lo
	v_cmpx_gt_u32_e64 s58, v125
	s_cbranch_execz .LBB1153_398
; %bb.397:                              ;   in Loop: Header=BB1153_393 Depth=2
	global_load_b64 v[36:37], v[42:43], off
.LBB1153_398:                           ;   in Loop: Header=BB1153_393 Depth=2
	s_wait_alu 0xfffe
	s_or_b32 exec_lo, exec_lo, s15
	s_delay_alu instid0(SALU_CYCLE_1)
	s_mov_b32 s15, exec_lo
	v_cmpx_gt_u32_e64 s58, v128
	s_cbranch_execz .LBB1153_400
; %bb.399:                              ;   in Loop: Header=BB1153_393 Depth=2
	global_load_b64 v[38:39], v[42:43], off offset:256
.LBB1153_400:                           ;   in Loop: Header=BB1153_393 Depth=2
	s_wait_alu 0xfffe
	s_or_b32 exec_lo, exec_lo, s15
	s_wait_loadcnt 0xb
	v_mov_b32_e32 v48, -1
	v_dual_mov_b32 v49, -1 :: v_dual_mov_b32 v40, -1
	v_mov_b32_e32 v41, -1
	s_mov_b32 s15, exec_lo
	v_cmpx_gt_u32_e64 s58, v129
	s_cbranch_execz .LBB1153_402
; %bb.401:                              ;   in Loop: Header=BB1153_393 Depth=2
	global_load_b64 v[40:41], v[42:43], off offset:512
.LBB1153_402:                           ;   in Loop: Header=BB1153_393 Depth=2
	s_wait_alu 0xfffe
	s_or_b32 exec_lo, exec_lo, s15
	s_delay_alu instid0(SALU_CYCLE_1)
	s_mov_b32 s15, exec_lo
	v_cmpx_gt_u32_e64 s58, v130
	s_cbranch_execz .LBB1153_404
; %bb.403:                              ;   in Loop: Header=BB1153_393 Depth=2
	global_load_b64 v[48:49], v[42:43], off offset:768
.LBB1153_404:                           ;   in Loop: Header=BB1153_393 Depth=2
	s_wait_alu 0xfffe
	s_or_b32 exec_lo, exec_lo, s15
	s_wait_loadcnt 0x9
	v_mov_b32_e32 v56, -1
	v_dual_mov_b32 v57, -1 :: v_dual_mov_b32 v52, -1
	v_mov_b32_e32 v53, -1
	s_mov_b32 s15, exec_lo
	v_cmpx_gt_u32_e64 s58, v131
	s_cbranch_execz .LBB1153_406
; %bb.405:                              ;   in Loop: Header=BB1153_393 Depth=2
	global_load_b64 v[52:53], v[42:43], off offset:1024
.LBB1153_406:                           ;   in Loop: Header=BB1153_393 Depth=2
	;; [unrolled: 21-line block ×6, first 2 shown]
	s_wait_alu 0xfffe
	s_or_b32 exec_lo, exec_lo, s15
	s_delay_alu instid0(SALU_CYCLE_1)
	s_mov_b32 s15, exec_lo
	v_cmpx_gt_u32_e64 s58, v140
	s_cbranch_execz .LBB1153_424
; %bb.423:                              ;   in Loop: Header=BB1153_393 Depth=2
	global_load_b64 v[46:47], v[42:43], off offset:3328
.LBB1153_424:                           ;   in Loop: Header=BB1153_393 Depth=2
	s_wait_alu 0xfffe
	s_or_b32 exec_lo, exec_lo, s15
	s_wait_loadcnt 0x0
	v_mov_b32_e32 v44, -1
	v_mov_b32_e32 v45, -1
	s_mov_b32 s15, exec_lo
	v_cmpx_gt_u32_e64 s58, v141
	s_cbranch_execz .LBB1153_426
; %bb.425:                              ;   in Loop: Header=BB1153_393 Depth=2
	global_load_b64 v[44:45], v[42:43], off offset:3584
.LBB1153_426:                           ;   in Loop: Header=BB1153_393 Depth=2
	s_wait_alu 0xfffe
	s_or_b32 exec_lo, exec_lo, s15
	v_cmp_gt_u32_e64 s15, s58, v142
	s_sub_co_i32 s16, s51, s42
.LBB1153_427:                           ;   in Loop: Header=BB1153_393 Depth=2
	v_mov_b32_e32 v42, -1
	v_dual_mov_b32 v43, -1 :: v_dual_mov_b32 v162, s58
	s_and_saveexec_b32 s17, s15
	s_cbranch_execz .LBB1153_429
; %bb.428:                              ;   in Loop: Header=BB1153_393 Depth=2
	s_lshl_b64 s[18:19], s[42:43], 3
	s_wait_alu 0xfffe
	v_mov_b32_e32 v162, s16
	v_add_co_u32 v42, vcc_lo, v143, s18
	s_wait_alu 0xfffd
	v_add_co_ci_u32_e64 v43, null, s19, v144, vcc_lo
	global_load_b64 v[42:43], v[42:43], off offset:3840
.LBB1153_429:                           ;   in Loop: Header=BB1153_393 Depth=2
	s_wait_alu 0xfffe
	s_or_b32 exec_lo, exec_lo, s17
	s_wait_loadcnt 0xe
	v_cmp_gt_i64_e32 vcc_lo, 0, v[36:37]
	v_ashrrev_i32_e32 v2, 31, v37
	v_add_nc_u32_e32 v164, 0x420, v101
	v_add_nc_u32_e32 v165, 0x428, v101
	v_add_nc_u32_e32 v166, 0x430, v101
	s_delay_alu instid0(VALU_DEP_4) | instskip(SKIP_2) | instid1(VALU_DEP_2)
	v_not_b32_e32 v2, v2
	s_wait_alu 0xfffd
	v_cndmask_b32_e64 v68, 0x7fffffff, 0, vcc_lo
	v_xor_b32_e32 v36, v2, v36
	s_delay_alu instid0(VALU_DEP_2) | instskip(NEXT) | instid1(VALU_DEP_1)
	v_xor_b32_e32 v37, v68, v37
	v_cmp_ne_u64_e32 vcc_lo, s[34:35], v[36:37]
	s_wait_alu 0xfffd
	v_cndmask_b32_e32 v69, 0x7fffffff, v37, vcc_lo
	v_cndmask_b32_e32 v68, -1, v36, vcc_lo
	s_delay_alu instid0(VALU_DEP_1) | instskip(NEXT) | instid1(VALU_DEP_1)
	v_lshrrev_b64 v[68:69], s48, v[68:69]
	v_and_b32_e32 v69, s57, v68
	s_delay_alu instid0(VALU_DEP_1)
	v_and_b32_e32 v2, 1, v69
	v_lshlrev_b32_e32 v68, 30, v69
	v_lshlrev_b32_e32 v70, 29, v69
	;; [unrolled: 1-line block ×4, first 2 shown]
	v_add_co_u32 v2, s15, v2, -1
	s_wait_alu 0xf1ff
	v_cndmask_b32_e64 v72, 0, 1, s15
	v_not_b32_e32 v163, v68
	v_cmp_gt_i32_e64 s15, 0, v68
	v_not_b32_e32 v68, v70
	v_lshlrev_b32_e32 v74, 26, v69
	v_cmp_ne_u32_e32 vcc_lo, 0, v72
	v_ashrrev_i32_e32 v163, 31, v163
	v_lshlrev_b32_e32 v75, 25, v69
	v_ashrrev_i32_e32 v68, 31, v68
	v_lshlrev_b32_e32 v72, 24, v69
	s_wait_alu 0xfffd
	v_xor_b32_e32 v2, vcc_lo, v2
	v_cmp_gt_i32_e32 vcc_lo, 0, v70
	v_not_b32_e32 v70, v71
	s_wait_alu 0xf1ff
	v_xor_b32_e32 v163, s15, v163
	v_cmp_gt_i32_e64 s15, 0, v71
	v_and_b32_e32 v2, exec_lo, v2
	v_not_b32_e32 v71, v73
	v_ashrrev_i32_e32 v70, 31, v70
	s_wait_alu 0xfffd
	v_xor_b32_e32 v68, vcc_lo, v68
	v_cmp_gt_i32_e32 vcc_lo, 0, v73
	v_and_b32_e32 v2, v2, v163
	v_not_b32_e32 v73, v74
	v_ashrrev_i32_e32 v71, 31, v71
	s_wait_alu 0xf1ff
	v_xor_b32_e32 v70, s15, v70
	v_cmp_gt_i32_e64 s15, 0, v74
	v_and_b32_e32 v2, v2, v68
	v_not_b32_e32 v68, v75
	v_ashrrev_i32_e32 v73, 31, v73
	s_wait_alu 0xfffd
	v_xor_b32_e32 v71, vcc_lo, v71
	v_cmp_gt_i32_e32 vcc_lo, 0, v75
	v_and_b32_e32 v2, v2, v70
	v_not_b32_e32 v70, v72
	v_ashrrev_i32_e32 v68, 31, v68
	s_wait_alu 0xf1ff
	v_xor_b32_e32 v73, s15, v73
	v_cmp_gt_i32_e64 s15, 0, v72
	v_and_b32_e32 v2, v2, v71
	v_ashrrev_i32_e32 v70, 31, v70
	s_wait_alu 0xfffd
	v_xor_b32_e32 v68, vcc_lo, v68
	v_mul_u32_u24_e32 v69, 36, v69
	v_add_nc_u32_e32 v163, 0x438, v101
	v_and_b32_e32 v2, v2, v73
	s_wait_alu 0xf1ff
	v_xor_b32_e32 v70, s15, v70
	v_add_nc_u32_e32 v167, v145, v69
	ds_store_2addr_b32 v163, v3, v3 offset1:1
	v_and_b32_e32 v2, v2, v68
	ds_store_2addr_b32 v164, v3, v3 offset1:1
	ds_store_2addr_b32 v165, v3, v3 offset1:1
	;; [unrolled: 1-line block ×3, first 2 shown]
	ds_store_b32 v101, v3 offset:1088
	s_wait_loadcnt_dscnt 0x0
	s_barrier_signal -1
	s_barrier_wait -1
	v_and_b32_e32 v68, v2, v70
	global_inv scope:SCOPE_SE
	; wave barrier
	v_mbcnt_lo_u32_b32 v2, v68, 0
	v_cmp_ne_u32_e64 s15, 0, v68
	s_delay_alu instid0(VALU_DEP_2)
	v_cmp_eq_u32_e32 vcc_lo, 0, v2
	s_and_b32 s16, s15, vcc_lo
	s_wait_alu 0xfffe
	s_and_saveexec_b32 s15, s16
; %bb.430:                              ;   in Loop: Header=BB1153_393 Depth=2
	v_bcnt_u32_b32 v68, v68, 0
	ds_store_b32 v167, v68 offset:1056
; %bb.431:                              ;   in Loop: Header=BB1153_393 Depth=2
	s_wait_alu 0xfffe
	s_or_b32 exec_lo, exec_lo, s15
	v_cmp_gt_i64_e32 vcc_lo, 0, v[38:39]
	v_ashrrev_i32_e32 v68, 31, v39
	; wave barrier
	s_delay_alu instid0(VALU_DEP_1) | instskip(SKIP_2) | instid1(VALU_DEP_2)
	v_not_b32_e32 v68, v68
	s_wait_alu 0xfffd
	v_cndmask_b32_e64 v69, 0x7fffffff, 0, vcc_lo
	v_xor_b32_e32 v38, v68, v38
	s_delay_alu instid0(VALU_DEP_2) | instskip(NEXT) | instid1(VALU_DEP_1)
	v_xor_b32_e32 v39, v69, v39
	v_cmp_ne_u64_e32 vcc_lo, s[34:35], v[38:39]
	s_wait_alu 0xfffd
	v_cndmask_b32_e32 v69, 0x7fffffff, v39, vcc_lo
	v_cndmask_b32_e32 v68, -1, v38, vcc_lo
	s_delay_alu instid0(VALU_DEP_1) | instskip(NEXT) | instid1(VALU_DEP_1)
	v_lshrrev_b64 v[68:69], s48, v[68:69]
	v_and_b32_e32 v69, s57, v68
	s_delay_alu instid0(VALU_DEP_1)
	v_and_b32_e32 v68, 1, v69
	v_lshlrev_b32_e32 v70, 30, v69
	v_lshlrev_b32_e32 v71, 29, v69
	;; [unrolled: 1-line block ×4, first 2 shown]
	v_add_co_u32 v68, s15, v68, -1
	s_wait_alu 0xf1ff
	v_cndmask_b32_e64 v73, 0, 1, s15
	v_not_b32_e32 v169, v70
	v_cmp_gt_i32_e64 s15, 0, v70
	v_not_b32_e32 v70, v71
	v_lshlrev_b32_e32 v75, 26, v69
	v_cmp_ne_u32_e32 vcc_lo, 0, v73
	v_ashrrev_i32_e32 v169, 31, v169
	v_lshlrev_b32_e32 v168, 25, v69
	v_ashrrev_i32_e32 v70, 31, v70
	v_lshlrev_b32_e32 v73, 24, v69
	s_wait_alu 0xfffd
	v_xor_b32_e32 v68, vcc_lo, v68
	v_cmp_gt_i32_e32 vcc_lo, 0, v71
	v_not_b32_e32 v71, v72
	s_wait_alu 0xf1ff
	v_xor_b32_e32 v169, s15, v169
	v_cmp_gt_i32_e64 s15, 0, v72
	v_and_b32_e32 v68, exec_lo, v68
	v_not_b32_e32 v72, v74
	v_ashrrev_i32_e32 v71, 31, v71
	s_wait_alu 0xfffd
	v_xor_b32_e32 v70, vcc_lo, v70
	v_cmp_gt_i32_e32 vcc_lo, 0, v74
	v_and_b32_e32 v68, v68, v169
	v_not_b32_e32 v74, v75
	v_ashrrev_i32_e32 v72, 31, v72
	s_wait_alu 0xf1ff
	v_xor_b32_e32 v71, s15, v71
	v_cmp_gt_i32_e64 s15, 0, v75
	v_and_b32_e32 v68, v68, v70
	v_not_b32_e32 v70, v168
	v_ashrrev_i32_e32 v74, 31, v74
	s_wait_alu 0xfffd
	v_xor_b32_e32 v72, vcc_lo, v72
	v_cmp_gt_i32_e32 vcc_lo, 0, v168
	v_and_b32_e32 v68, v68, v71
	v_not_b32_e32 v71, v73
	v_ashrrev_i32_e32 v70, 31, v70
	s_wait_alu 0xf1ff
	v_xor_b32_e32 v74, s15, v74
	v_cmp_gt_i32_e64 s15, 0, v73
	v_and_b32_e32 v68, v68, v72
	v_ashrrev_i32_e32 v71, 31, v71
	s_wait_alu 0xfffd
	v_xor_b32_e32 v70, vcc_lo, v70
	v_mad_u32_u24 v72, v69, 36, v145
	v_mul_u32_u24_e32 v69, 36, v69
	v_and_b32_e32 v68, v68, v74
	s_wait_alu 0xf1ff
	v_xor_b32_e32 v71, s15, v71
	ds_load_b32 v168, v72 offset:1056
	v_add_nc_u32_e32 v170, v145, v69
	v_and_b32_e32 v68, v68, v70
	; wave barrier
	s_delay_alu instid0(VALU_DEP_1) | instskip(NEXT) | instid1(VALU_DEP_1)
	v_and_b32_e32 v68, v68, v71
	v_mbcnt_lo_u32_b32 v169, v68, 0
	v_cmp_ne_u32_e64 s15, 0, v68
	s_delay_alu instid0(VALU_DEP_2)
	v_cmp_eq_u32_e32 vcc_lo, 0, v169
	s_and_b32 s16, s15, vcc_lo
	s_wait_alu 0xfffe
	s_and_saveexec_b32 s15, s16
	s_cbranch_execz .LBB1153_433
; %bb.432:                              ;   in Loop: Header=BB1153_393 Depth=2
	s_wait_dscnt 0x0
	v_bcnt_u32_b32 v68, v68, v168
	ds_store_b32 v170, v68 offset:1056
.LBB1153_433:                           ;   in Loop: Header=BB1153_393 Depth=2
	s_wait_alu 0xfffe
	s_or_b32 exec_lo, exec_lo, s15
	v_cmp_gt_i64_e32 vcc_lo, 0, v[40:41]
	v_ashrrev_i32_e32 v68, 31, v41
	; wave barrier
	s_delay_alu instid0(VALU_DEP_1) | instskip(SKIP_2) | instid1(VALU_DEP_2)
	v_not_b32_e32 v68, v68
	s_wait_alu 0xfffd
	v_cndmask_b32_e64 v69, 0x7fffffff, 0, vcc_lo
	v_xor_b32_e32 v40, v68, v40
	s_delay_alu instid0(VALU_DEP_2) | instskip(NEXT) | instid1(VALU_DEP_1)
	v_xor_b32_e32 v41, v69, v41
	v_cmp_ne_u64_e32 vcc_lo, s[34:35], v[40:41]
	s_wait_alu 0xfffd
	v_cndmask_b32_e32 v69, 0x7fffffff, v41, vcc_lo
	v_cndmask_b32_e32 v68, -1, v40, vcc_lo
	s_delay_alu instid0(VALU_DEP_1) | instskip(NEXT) | instid1(VALU_DEP_1)
	v_lshrrev_b64 v[68:69], s48, v[68:69]
	v_and_b32_e32 v69, s57, v68
	s_delay_alu instid0(VALU_DEP_1)
	v_and_b32_e32 v68, 1, v69
	v_lshlrev_b32_e32 v70, 30, v69
	v_lshlrev_b32_e32 v71, 29, v69
	;; [unrolled: 1-line block ×4, first 2 shown]
	v_add_co_u32 v68, s15, v68, -1
	s_wait_alu 0xf1ff
	v_cndmask_b32_e64 v73, 0, 1, s15
	v_not_b32_e32 v172, v70
	v_cmp_gt_i32_e64 s15, 0, v70
	v_not_b32_e32 v70, v71
	v_lshlrev_b32_e32 v75, 26, v69
	v_cmp_ne_u32_e32 vcc_lo, 0, v73
	v_ashrrev_i32_e32 v172, 31, v172
	v_lshlrev_b32_e32 v171, 25, v69
	v_ashrrev_i32_e32 v70, 31, v70
	v_lshlrev_b32_e32 v73, 24, v69
	s_wait_alu 0xfffd
	v_xor_b32_e32 v68, vcc_lo, v68
	v_cmp_gt_i32_e32 vcc_lo, 0, v71
	v_not_b32_e32 v71, v72
	s_wait_alu 0xf1ff
	v_xor_b32_e32 v172, s15, v172
	v_cmp_gt_i32_e64 s15, 0, v72
	v_and_b32_e32 v68, exec_lo, v68
	v_not_b32_e32 v72, v74
	v_ashrrev_i32_e32 v71, 31, v71
	s_wait_alu 0xfffd
	v_xor_b32_e32 v70, vcc_lo, v70
	v_cmp_gt_i32_e32 vcc_lo, 0, v74
	v_and_b32_e32 v68, v68, v172
	v_not_b32_e32 v74, v75
	v_ashrrev_i32_e32 v72, 31, v72
	s_wait_alu 0xf1ff
	v_xor_b32_e32 v71, s15, v71
	v_cmp_gt_i32_e64 s15, 0, v75
	v_and_b32_e32 v68, v68, v70
	v_not_b32_e32 v70, v171
	v_ashrrev_i32_e32 v74, 31, v74
	s_wait_alu 0xfffd
	v_xor_b32_e32 v72, vcc_lo, v72
	v_cmp_gt_i32_e32 vcc_lo, 0, v171
	v_and_b32_e32 v68, v68, v71
	v_not_b32_e32 v71, v73
	v_ashrrev_i32_e32 v70, 31, v70
	s_wait_alu 0xf1ff
	v_xor_b32_e32 v74, s15, v74
	v_cmp_gt_i32_e64 s15, 0, v73
	v_and_b32_e32 v68, v68, v72
	v_ashrrev_i32_e32 v71, 31, v71
	s_wait_alu 0xfffd
	v_xor_b32_e32 v70, vcc_lo, v70
	v_mad_u32_u24 v72, v69, 36, v145
	v_mul_u32_u24_e32 v69, 36, v69
	v_and_b32_e32 v68, v68, v74
	s_wait_alu 0xf1ff
	v_xor_b32_e32 v71, s15, v71
	ds_load_b32 v171, v72 offset:1056
	v_add_nc_u32_e32 v173, v145, v69
	v_and_b32_e32 v68, v68, v70
	; wave barrier
	s_delay_alu instid0(VALU_DEP_1) | instskip(NEXT) | instid1(VALU_DEP_1)
	v_and_b32_e32 v68, v68, v71
	v_mbcnt_lo_u32_b32 v172, v68, 0
	v_cmp_ne_u32_e64 s15, 0, v68
	s_delay_alu instid0(VALU_DEP_2)
	v_cmp_eq_u32_e32 vcc_lo, 0, v172
	s_and_b32 s16, s15, vcc_lo
	s_wait_alu 0xfffe
	s_and_saveexec_b32 s15, s16
	s_cbranch_execz .LBB1153_435
; %bb.434:                              ;   in Loop: Header=BB1153_393 Depth=2
	s_wait_dscnt 0x0
	v_bcnt_u32_b32 v68, v68, v171
	ds_store_b32 v173, v68 offset:1056
.LBB1153_435:                           ;   in Loop: Header=BB1153_393 Depth=2
	s_wait_alu 0xfffe
	s_or_b32 exec_lo, exec_lo, s15
	v_cmp_gt_i64_e32 vcc_lo, 0, v[48:49]
	v_ashrrev_i32_e32 v68, 31, v49
	; wave barrier
	s_delay_alu instid0(VALU_DEP_1) | instskip(SKIP_2) | instid1(VALU_DEP_2)
	v_not_b32_e32 v68, v68
	s_wait_alu 0xfffd
	v_cndmask_b32_e64 v69, 0x7fffffff, 0, vcc_lo
	v_xor_b32_e32 v48, v68, v48
	s_delay_alu instid0(VALU_DEP_2) | instskip(NEXT) | instid1(VALU_DEP_1)
	v_xor_b32_e32 v49, v69, v49
	v_cmp_ne_u64_e32 vcc_lo, s[34:35], v[48:49]
	s_wait_alu 0xfffd
	v_cndmask_b32_e32 v69, 0x7fffffff, v49, vcc_lo
	v_cndmask_b32_e32 v68, -1, v48, vcc_lo
	s_delay_alu instid0(VALU_DEP_1) | instskip(NEXT) | instid1(VALU_DEP_1)
	v_lshrrev_b64 v[68:69], s48, v[68:69]
	v_and_b32_e32 v69, s57, v68
	s_delay_alu instid0(VALU_DEP_1)
	v_and_b32_e32 v68, 1, v69
	v_lshlrev_b32_e32 v70, 30, v69
	v_lshlrev_b32_e32 v71, 29, v69
	;; [unrolled: 1-line block ×4, first 2 shown]
	v_add_co_u32 v68, s15, v68, -1
	s_wait_alu 0xf1ff
	v_cndmask_b32_e64 v73, 0, 1, s15
	v_not_b32_e32 v175, v70
	v_cmp_gt_i32_e64 s15, 0, v70
	v_not_b32_e32 v70, v71
	v_lshlrev_b32_e32 v75, 26, v69
	v_cmp_ne_u32_e32 vcc_lo, 0, v73
	v_ashrrev_i32_e32 v175, 31, v175
	v_lshlrev_b32_e32 v174, 25, v69
	v_ashrrev_i32_e32 v70, 31, v70
	v_lshlrev_b32_e32 v73, 24, v69
	s_wait_alu 0xfffd
	v_xor_b32_e32 v68, vcc_lo, v68
	v_cmp_gt_i32_e32 vcc_lo, 0, v71
	v_not_b32_e32 v71, v72
	s_wait_alu 0xf1ff
	v_xor_b32_e32 v175, s15, v175
	v_cmp_gt_i32_e64 s15, 0, v72
	v_and_b32_e32 v68, exec_lo, v68
	v_not_b32_e32 v72, v74
	v_ashrrev_i32_e32 v71, 31, v71
	s_wait_alu 0xfffd
	v_xor_b32_e32 v70, vcc_lo, v70
	v_cmp_gt_i32_e32 vcc_lo, 0, v74
	v_and_b32_e32 v68, v68, v175
	v_not_b32_e32 v74, v75
	v_ashrrev_i32_e32 v72, 31, v72
	s_wait_alu 0xf1ff
	v_xor_b32_e32 v71, s15, v71
	v_cmp_gt_i32_e64 s15, 0, v75
	v_and_b32_e32 v68, v68, v70
	v_not_b32_e32 v70, v174
	v_ashrrev_i32_e32 v74, 31, v74
	s_wait_alu 0xfffd
	v_xor_b32_e32 v72, vcc_lo, v72
	v_cmp_gt_i32_e32 vcc_lo, 0, v174
	v_and_b32_e32 v68, v68, v71
	v_not_b32_e32 v71, v73
	v_ashrrev_i32_e32 v70, 31, v70
	s_wait_alu 0xf1ff
	v_xor_b32_e32 v74, s15, v74
	v_cmp_gt_i32_e64 s15, 0, v73
	v_and_b32_e32 v68, v68, v72
	v_ashrrev_i32_e32 v71, 31, v71
	s_wait_alu 0xfffd
	v_xor_b32_e32 v70, vcc_lo, v70
	v_mad_u32_u24 v72, v69, 36, v145
	v_mul_u32_u24_e32 v69, 36, v69
	v_and_b32_e32 v68, v68, v74
	s_wait_alu 0xf1ff
	v_xor_b32_e32 v71, s15, v71
	ds_load_b32 v174, v72 offset:1056
	v_add_nc_u32_e32 v176, v145, v69
	v_and_b32_e32 v68, v68, v70
	; wave barrier
	s_delay_alu instid0(VALU_DEP_1) | instskip(NEXT) | instid1(VALU_DEP_1)
	v_and_b32_e32 v68, v68, v71
	v_mbcnt_lo_u32_b32 v175, v68, 0
	v_cmp_ne_u32_e64 s15, 0, v68
	s_delay_alu instid0(VALU_DEP_2)
	v_cmp_eq_u32_e32 vcc_lo, 0, v175
	s_and_b32 s16, s15, vcc_lo
	s_wait_alu 0xfffe
	s_and_saveexec_b32 s15, s16
	s_cbranch_execz .LBB1153_437
; %bb.436:                              ;   in Loop: Header=BB1153_393 Depth=2
	s_wait_dscnt 0x0
	v_bcnt_u32_b32 v68, v68, v174
	ds_store_b32 v176, v68 offset:1056
.LBB1153_437:                           ;   in Loop: Header=BB1153_393 Depth=2
	s_wait_alu 0xfffe
	s_or_b32 exec_lo, exec_lo, s15
	v_cmp_gt_i64_e32 vcc_lo, 0, v[52:53]
	v_ashrrev_i32_e32 v68, 31, v53
	; wave barrier
	s_delay_alu instid0(VALU_DEP_1) | instskip(SKIP_2) | instid1(VALU_DEP_2)
	v_not_b32_e32 v68, v68
	s_wait_alu 0xfffd
	v_cndmask_b32_e64 v69, 0x7fffffff, 0, vcc_lo
	v_xor_b32_e32 v52, v68, v52
	s_delay_alu instid0(VALU_DEP_2) | instskip(NEXT) | instid1(VALU_DEP_1)
	v_xor_b32_e32 v53, v69, v53
	v_cmp_ne_u64_e32 vcc_lo, s[34:35], v[52:53]
	s_wait_alu 0xfffd
	v_cndmask_b32_e32 v69, 0x7fffffff, v53, vcc_lo
	v_cndmask_b32_e32 v68, -1, v52, vcc_lo
	s_delay_alu instid0(VALU_DEP_1) | instskip(NEXT) | instid1(VALU_DEP_1)
	v_lshrrev_b64 v[68:69], s48, v[68:69]
	v_and_b32_e32 v69, s57, v68
	s_delay_alu instid0(VALU_DEP_1)
	v_and_b32_e32 v68, 1, v69
	v_lshlrev_b32_e32 v70, 30, v69
	v_lshlrev_b32_e32 v71, 29, v69
	;; [unrolled: 1-line block ×4, first 2 shown]
	v_add_co_u32 v68, s15, v68, -1
	s_wait_alu 0xf1ff
	v_cndmask_b32_e64 v73, 0, 1, s15
	v_not_b32_e32 v178, v70
	v_cmp_gt_i32_e64 s15, 0, v70
	v_not_b32_e32 v70, v71
	v_lshlrev_b32_e32 v75, 26, v69
	v_cmp_ne_u32_e32 vcc_lo, 0, v73
	v_ashrrev_i32_e32 v178, 31, v178
	v_lshlrev_b32_e32 v177, 25, v69
	v_ashrrev_i32_e32 v70, 31, v70
	v_lshlrev_b32_e32 v73, 24, v69
	s_wait_alu 0xfffd
	v_xor_b32_e32 v68, vcc_lo, v68
	v_cmp_gt_i32_e32 vcc_lo, 0, v71
	v_not_b32_e32 v71, v72
	s_wait_alu 0xf1ff
	v_xor_b32_e32 v178, s15, v178
	v_cmp_gt_i32_e64 s15, 0, v72
	v_and_b32_e32 v68, exec_lo, v68
	v_not_b32_e32 v72, v74
	v_ashrrev_i32_e32 v71, 31, v71
	s_wait_alu 0xfffd
	v_xor_b32_e32 v70, vcc_lo, v70
	v_cmp_gt_i32_e32 vcc_lo, 0, v74
	v_and_b32_e32 v68, v68, v178
	v_not_b32_e32 v74, v75
	v_ashrrev_i32_e32 v72, 31, v72
	s_wait_alu 0xf1ff
	v_xor_b32_e32 v71, s15, v71
	v_cmp_gt_i32_e64 s15, 0, v75
	v_and_b32_e32 v68, v68, v70
	v_not_b32_e32 v70, v177
	v_ashrrev_i32_e32 v74, 31, v74
	s_wait_alu 0xfffd
	v_xor_b32_e32 v72, vcc_lo, v72
	v_cmp_gt_i32_e32 vcc_lo, 0, v177
	v_and_b32_e32 v68, v68, v71
	v_not_b32_e32 v71, v73
	v_ashrrev_i32_e32 v70, 31, v70
	s_wait_alu 0xf1ff
	v_xor_b32_e32 v74, s15, v74
	v_cmp_gt_i32_e64 s15, 0, v73
	v_and_b32_e32 v68, v68, v72
	v_ashrrev_i32_e32 v71, 31, v71
	s_wait_alu 0xfffd
	v_xor_b32_e32 v70, vcc_lo, v70
	v_mad_u32_u24 v72, v69, 36, v145
	v_mul_u32_u24_e32 v69, 36, v69
	v_and_b32_e32 v68, v68, v74
	s_wait_alu 0xf1ff
	v_xor_b32_e32 v71, s15, v71
	ds_load_b32 v177, v72 offset:1056
	v_add_nc_u32_e32 v179, v145, v69
	v_and_b32_e32 v68, v68, v70
	; wave barrier
	s_delay_alu instid0(VALU_DEP_1) | instskip(NEXT) | instid1(VALU_DEP_1)
	v_and_b32_e32 v68, v68, v71
	v_mbcnt_lo_u32_b32 v178, v68, 0
	v_cmp_ne_u32_e64 s15, 0, v68
	s_delay_alu instid0(VALU_DEP_2)
	v_cmp_eq_u32_e32 vcc_lo, 0, v178
	s_and_b32 s16, s15, vcc_lo
	s_wait_alu 0xfffe
	s_and_saveexec_b32 s15, s16
	s_cbranch_execz .LBB1153_439
; %bb.438:                              ;   in Loop: Header=BB1153_393 Depth=2
	s_wait_dscnt 0x0
	v_bcnt_u32_b32 v68, v68, v177
	ds_store_b32 v179, v68 offset:1056
.LBB1153_439:                           ;   in Loop: Header=BB1153_393 Depth=2
	s_wait_alu 0xfffe
	s_or_b32 exec_lo, exec_lo, s15
	v_cmp_gt_i64_e32 vcc_lo, 0, v[56:57]
	v_ashrrev_i32_e32 v68, 31, v57
	; wave barrier
	s_delay_alu instid0(VALU_DEP_1) | instskip(SKIP_2) | instid1(VALU_DEP_2)
	v_not_b32_e32 v68, v68
	s_wait_alu 0xfffd
	v_cndmask_b32_e64 v69, 0x7fffffff, 0, vcc_lo
	v_xor_b32_e32 v56, v68, v56
	s_delay_alu instid0(VALU_DEP_2) | instskip(NEXT) | instid1(VALU_DEP_1)
	v_xor_b32_e32 v57, v69, v57
	v_cmp_ne_u64_e32 vcc_lo, s[34:35], v[56:57]
	s_wait_alu 0xfffd
	v_cndmask_b32_e32 v69, 0x7fffffff, v57, vcc_lo
	v_cndmask_b32_e32 v68, -1, v56, vcc_lo
	s_delay_alu instid0(VALU_DEP_1) | instskip(NEXT) | instid1(VALU_DEP_1)
	v_lshrrev_b64 v[68:69], s48, v[68:69]
	v_and_b32_e32 v69, s57, v68
	s_delay_alu instid0(VALU_DEP_1)
	v_and_b32_e32 v68, 1, v69
	v_lshlrev_b32_e32 v70, 30, v69
	v_lshlrev_b32_e32 v71, 29, v69
	;; [unrolled: 1-line block ×4, first 2 shown]
	v_add_co_u32 v68, s15, v68, -1
	s_wait_alu 0xf1ff
	v_cndmask_b32_e64 v73, 0, 1, s15
	v_not_b32_e32 v181, v70
	v_cmp_gt_i32_e64 s15, 0, v70
	v_not_b32_e32 v70, v71
	v_lshlrev_b32_e32 v75, 26, v69
	v_cmp_ne_u32_e32 vcc_lo, 0, v73
	v_ashrrev_i32_e32 v181, 31, v181
	v_lshlrev_b32_e32 v180, 25, v69
	v_ashrrev_i32_e32 v70, 31, v70
	v_lshlrev_b32_e32 v73, 24, v69
	s_wait_alu 0xfffd
	v_xor_b32_e32 v68, vcc_lo, v68
	v_cmp_gt_i32_e32 vcc_lo, 0, v71
	v_not_b32_e32 v71, v72
	s_wait_alu 0xf1ff
	v_xor_b32_e32 v181, s15, v181
	v_cmp_gt_i32_e64 s15, 0, v72
	v_and_b32_e32 v68, exec_lo, v68
	v_not_b32_e32 v72, v74
	v_ashrrev_i32_e32 v71, 31, v71
	s_wait_alu 0xfffd
	v_xor_b32_e32 v70, vcc_lo, v70
	v_cmp_gt_i32_e32 vcc_lo, 0, v74
	v_and_b32_e32 v68, v68, v181
	v_not_b32_e32 v74, v75
	v_ashrrev_i32_e32 v72, 31, v72
	s_wait_alu 0xf1ff
	v_xor_b32_e32 v71, s15, v71
	v_cmp_gt_i32_e64 s15, 0, v75
	v_and_b32_e32 v68, v68, v70
	v_not_b32_e32 v70, v180
	v_ashrrev_i32_e32 v74, 31, v74
	s_wait_alu 0xfffd
	v_xor_b32_e32 v72, vcc_lo, v72
	v_cmp_gt_i32_e32 vcc_lo, 0, v180
	v_and_b32_e32 v68, v68, v71
	v_not_b32_e32 v71, v73
	v_ashrrev_i32_e32 v70, 31, v70
	s_wait_alu 0xf1ff
	v_xor_b32_e32 v74, s15, v74
	v_cmp_gt_i32_e64 s15, 0, v73
	v_and_b32_e32 v68, v68, v72
	v_ashrrev_i32_e32 v71, 31, v71
	s_wait_alu 0xfffd
	v_xor_b32_e32 v70, vcc_lo, v70
	v_mad_u32_u24 v72, v69, 36, v145
	v_mul_u32_u24_e32 v69, 36, v69
	v_and_b32_e32 v68, v68, v74
	s_wait_alu 0xf1ff
	v_xor_b32_e32 v71, s15, v71
	ds_load_b32 v180, v72 offset:1056
	v_add_nc_u32_e32 v182, v145, v69
	v_and_b32_e32 v68, v68, v70
	; wave barrier
	s_delay_alu instid0(VALU_DEP_1) | instskip(NEXT) | instid1(VALU_DEP_1)
	v_and_b32_e32 v68, v68, v71
	v_mbcnt_lo_u32_b32 v181, v68, 0
	v_cmp_ne_u32_e64 s15, 0, v68
	s_delay_alu instid0(VALU_DEP_2)
	v_cmp_eq_u32_e32 vcc_lo, 0, v181
	s_and_b32 s16, s15, vcc_lo
	s_wait_alu 0xfffe
	s_and_saveexec_b32 s15, s16
	s_cbranch_execz .LBB1153_441
; %bb.440:                              ;   in Loop: Header=BB1153_393 Depth=2
	s_wait_dscnt 0x0
	v_bcnt_u32_b32 v68, v68, v180
	ds_store_b32 v182, v68 offset:1056
.LBB1153_441:                           ;   in Loop: Header=BB1153_393 Depth=2
	s_wait_alu 0xfffe
	s_or_b32 exec_lo, exec_lo, s15
	v_cmp_gt_i64_e32 vcc_lo, 0, v[60:61]
	v_ashrrev_i32_e32 v68, 31, v61
	; wave barrier
	s_delay_alu instid0(VALU_DEP_1) | instskip(SKIP_2) | instid1(VALU_DEP_2)
	v_not_b32_e32 v68, v68
	s_wait_alu 0xfffd
	v_cndmask_b32_e64 v69, 0x7fffffff, 0, vcc_lo
	v_xor_b32_e32 v60, v68, v60
	s_delay_alu instid0(VALU_DEP_2) | instskip(NEXT) | instid1(VALU_DEP_1)
	v_xor_b32_e32 v61, v69, v61
	v_cmp_ne_u64_e32 vcc_lo, s[34:35], v[60:61]
	s_wait_alu 0xfffd
	v_cndmask_b32_e32 v69, 0x7fffffff, v61, vcc_lo
	v_cndmask_b32_e32 v68, -1, v60, vcc_lo
	s_delay_alu instid0(VALU_DEP_1) | instskip(NEXT) | instid1(VALU_DEP_1)
	v_lshrrev_b64 v[68:69], s48, v[68:69]
	v_and_b32_e32 v69, s57, v68
	s_delay_alu instid0(VALU_DEP_1)
	v_and_b32_e32 v68, 1, v69
	v_lshlrev_b32_e32 v70, 30, v69
	v_lshlrev_b32_e32 v71, 29, v69
	;; [unrolled: 1-line block ×4, first 2 shown]
	v_add_co_u32 v68, s15, v68, -1
	s_wait_alu 0xf1ff
	v_cndmask_b32_e64 v73, 0, 1, s15
	v_not_b32_e32 v184, v70
	v_cmp_gt_i32_e64 s15, 0, v70
	v_not_b32_e32 v70, v71
	v_lshlrev_b32_e32 v75, 26, v69
	v_cmp_ne_u32_e32 vcc_lo, 0, v73
	v_ashrrev_i32_e32 v184, 31, v184
	v_lshlrev_b32_e32 v183, 25, v69
	v_ashrrev_i32_e32 v70, 31, v70
	v_lshlrev_b32_e32 v73, 24, v69
	s_wait_alu 0xfffd
	v_xor_b32_e32 v68, vcc_lo, v68
	v_cmp_gt_i32_e32 vcc_lo, 0, v71
	v_not_b32_e32 v71, v72
	s_wait_alu 0xf1ff
	v_xor_b32_e32 v184, s15, v184
	v_cmp_gt_i32_e64 s15, 0, v72
	v_and_b32_e32 v68, exec_lo, v68
	v_not_b32_e32 v72, v74
	v_ashrrev_i32_e32 v71, 31, v71
	s_wait_alu 0xfffd
	v_xor_b32_e32 v70, vcc_lo, v70
	v_cmp_gt_i32_e32 vcc_lo, 0, v74
	v_and_b32_e32 v68, v68, v184
	v_not_b32_e32 v74, v75
	v_ashrrev_i32_e32 v72, 31, v72
	s_wait_alu 0xf1ff
	v_xor_b32_e32 v71, s15, v71
	v_cmp_gt_i32_e64 s15, 0, v75
	v_and_b32_e32 v68, v68, v70
	v_not_b32_e32 v70, v183
	v_ashrrev_i32_e32 v74, 31, v74
	s_wait_alu 0xfffd
	v_xor_b32_e32 v72, vcc_lo, v72
	v_cmp_gt_i32_e32 vcc_lo, 0, v183
	v_and_b32_e32 v68, v68, v71
	v_not_b32_e32 v71, v73
	v_ashrrev_i32_e32 v70, 31, v70
	s_wait_alu 0xf1ff
	v_xor_b32_e32 v74, s15, v74
	v_cmp_gt_i32_e64 s15, 0, v73
	v_and_b32_e32 v68, v68, v72
	v_ashrrev_i32_e32 v71, 31, v71
	s_wait_alu 0xfffd
	v_xor_b32_e32 v70, vcc_lo, v70
	v_mad_u32_u24 v72, v69, 36, v145
	v_mul_u32_u24_e32 v69, 36, v69
	v_and_b32_e32 v68, v68, v74
	s_wait_alu 0xf1ff
	v_xor_b32_e32 v71, s15, v71
	ds_load_b32 v183, v72 offset:1056
	v_add_nc_u32_e32 v185, v145, v69
	v_and_b32_e32 v68, v68, v70
	; wave barrier
	s_delay_alu instid0(VALU_DEP_1) | instskip(NEXT) | instid1(VALU_DEP_1)
	v_and_b32_e32 v68, v68, v71
	v_mbcnt_lo_u32_b32 v184, v68, 0
	v_cmp_ne_u32_e64 s15, 0, v68
	s_delay_alu instid0(VALU_DEP_2)
	v_cmp_eq_u32_e32 vcc_lo, 0, v184
	s_and_b32 s16, s15, vcc_lo
	s_wait_alu 0xfffe
	s_and_saveexec_b32 s15, s16
	s_cbranch_execz .LBB1153_443
; %bb.442:                              ;   in Loop: Header=BB1153_393 Depth=2
	s_wait_dscnt 0x0
	v_bcnt_u32_b32 v68, v68, v183
	ds_store_b32 v185, v68 offset:1056
.LBB1153_443:                           ;   in Loop: Header=BB1153_393 Depth=2
	s_wait_alu 0xfffe
	s_or_b32 exec_lo, exec_lo, s15
	v_cmp_gt_i64_e32 vcc_lo, 0, v[64:65]
	v_ashrrev_i32_e32 v68, 31, v65
	; wave barrier
	s_delay_alu instid0(VALU_DEP_1) | instskip(SKIP_2) | instid1(VALU_DEP_2)
	v_not_b32_e32 v68, v68
	s_wait_alu 0xfffd
	v_cndmask_b32_e64 v69, 0x7fffffff, 0, vcc_lo
	v_xor_b32_e32 v64, v68, v64
	s_delay_alu instid0(VALU_DEP_2) | instskip(NEXT) | instid1(VALU_DEP_1)
	v_xor_b32_e32 v65, v69, v65
	v_cmp_ne_u64_e32 vcc_lo, s[34:35], v[64:65]
	s_wait_alu 0xfffd
	v_cndmask_b32_e32 v69, 0x7fffffff, v65, vcc_lo
	v_cndmask_b32_e32 v68, -1, v64, vcc_lo
	s_delay_alu instid0(VALU_DEP_1) | instskip(NEXT) | instid1(VALU_DEP_1)
	v_lshrrev_b64 v[68:69], s48, v[68:69]
	v_and_b32_e32 v69, s57, v68
	s_delay_alu instid0(VALU_DEP_1)
	v_and_b32_e32 v68, 1, v69
	v_lshlrev_b32_e32 v70, 30, v69
	v_lshlrev_b32_e32 v71, 29, v69
	;; [unrolled: 1-line block ×4, first 2 shown]
	v_add_co_u32 v68, s15, v68, -1
	s_wait_alu 0xf1ff
	v_cndmask_b32_e64 v73, 0, 1, s15
	v_not_b32_e32 v187, v70
	v_cmp_gt_i32_e64 s15, 0, v70
	v_not_b32_e32 v70, v71
	v_lshlrev_b32_e32 v75, 26, v69
	v_cmp_ne_u32_e32 vcc_lo, 0, v73
	v_ashrrev_i32_e32 v187, 31, v187
	v_lshlrev_b32_e32 v186, 25, v69
	v_ashrrev_i32_e32 v70, 31, v70
	v_lshlrev_b32_e32 v73, 24, v69
	s_wait_alu 0xfffd
	v_xor_b32_e32 v68, vcc_lo, v68
	v_cmp_gt_i32_e32 vcc_lo, 0, v71
	v_not_b32_e32 v71, v72
	s_wait_alu 0xf1ff
	v_xor_b32_e32 v187, s15, v187
	v_cmp_gt_i32_e64 s15, 0, v72
	v_and_b32_e32 v68, exec_lo, v68
	v_not_b32_e32 v72, v74
	v_ashrrev_i32_e32 v71, 31, v71
	s_wait_alu 0xfffd
	v_xor_b32_e32 v70, vcc_lo, v70
	v_cmp_gt_i32_e32 vcc_lo, 0, v74
	v_and_b32_e32 v68, v68, v187
	v_not_b32_e32 v74, v75
	v_ashrrev_i32_e32 v72, 31, v72
	s_wait_alu 0xf1ff
	v_xor_b32_e32 v71, s15, v71
	v_cmp_gt_i32_e64 s15, 0, v75
	v_and_b32_e32 v68, v68, v70
	v_not_b32_e32 v70, v186
	v_ashrrev_i32_e32 v74, 31, v74
	s_wait_alu 0xfffd
	v_xor_b32_e32 v72, vcc_lo, v72
	v_cmp_gt_i32_e32 vcc_lo, 0, v186
	v_and_b32_e32 v68, v68, v71
	v_not_b32_e32 v71, v73
	v_ashrrev_i32_e32 v70, 31, v70
	s_wait_alu 0xf1ff
	v_xor_b32_e32 v74, s15, v74
	v_cmp_gt_i32_e64 s15, 0, v73
	v_and_b32_e32 v68, v68, v72
	v_ashrrev_i32_e32 v71, 31, v71
	s_wait_alu 0xfffd
	v_xor_b32_e32 v70, vcc_lo, v70
	v_mad_u32_u24 v72, v69, 36, v145
	v_mul_u32_u24_e32 v69, 36, v69
	v_and_b32_e32 v68, v68, v74
	s_wait_alu 0xf1ff
	v_xor_b32_e32 v71, s15, v71
	ds_load_b32 v186, v72 offset:1056
	v_add_nc_u32_e32 v188, v145, v69
	v_and_b32_e32 v68, v68, v70
	; wave barrier
	s_delay_alu instid0(VALU_DEP_1) | instskip(NEXT) | instid1(VALU_DEP_1)
	v_and_b32_e32 v68, v68, v71
	v_mbcnt_lo_u32_b32 v187, v68, 0
	v_cmp_ne_u32_e64 s15, 0, v68
	s_delay_alu instid0(VALU_DEP_2)
	v_cmp_eq_u32_e32 vcc_lo, 0, v187
	s_and_b32 s16, s15, vcc_lo
	s_wait_alu 0xfffe
	s_and_saveexec_b32 s15, s16
	s_cbranch_execz .LBB1153_445
; %bb.444:                              ;   in Loop: Header=BB1153_393 Depth=2
	s_wait_dscnt 0x0
	v_bcnt_u32_b32 v68, v68, v186
	ds_store_b32 v188, v68 offset:1056
.LBB1153_445:                           ;   in Loop: Header=BB1153_393 Depth=2
	s_wait_alu 0xfffe
	s_or_b32 exec_lo, exec_lo, s15
	v_cmp_gt_i64_e32 vcc_lo, 0, v[66:67]
	v_ashrrev_i32_e32 v68, 31, v67
	; wave barrier
	s_delay_alu instid0(VALU_DEP_1) | instskip(SKIP_2) | instid1(VALU_DEP_2)
	v_not_b32_e32 v68, v68
	s_wait_alu 0xfffd
	v_cndmask_b32_e64 v69, 0x7fffffff, 0, vcc_lo
	v_xor_b32_e32 v66, v68, v66
	s_delay_alu instid0(VALU_DEP_2) | instskip(NEXT) | instid1(VALU_DEP_1)
	v_xor_b32_e32 v67, v69, v67
	v_cmp_ne_u64_e32 vcc_lo, s[34:35], v[66:67]
	s_wait_alu 0xfffd
	v_cndmask_b32_e32 v69, 0x7fffffff, v67, vcc_lo
	v_cndmask_b32_e32 v68, -1, v66, vcc_lo
	s_delay_alu instid0(VALU_DEP_1) | instskip(NEXT) | instid1(VALU_DEP_1)
	v_lshrrev_b64 v[68:69], s48, v[68:69]
	v_and_b32_e32 v69, s57, v68
	s_delay_alu instid0(VALU_DEP_1)
	v_and_b32_e32 v68, 1, v69
	v_lshlrev_b32_e32 v70, 30, v69
	v_lshlrev_b32_e32 v71, 29, v69
	;; [unrolled: 1-line block ×4, first 2 shown]
	v_add_co_u32 v68, s15, v68, -1
	s_wait_alu 0xf1ff
	v_cndmask_b32_e64 v73, 0, 1, s15
	v_not_b32_e32 v190, v70
	v_cmp_gt_i32_e64 s15, 0, v70
	v_not_b32_e32 v70, v71
	v_lshlrev_b32_e32 v75, 26, v69
	v_cmp_ne_u32_e32 vcc_lo, 0, v73
	v_ashrrev_i32_e32 v190, 31, v190
	v_lshlrev_b32_e32 v189, 25, v69
	v_ashrrev_i32_e32 v70, 31, v70
	v_lshlrev_b32_e32 v73, 24, v69
	s_wait_alu 0xfffd
	v_xor_b32_e32 v68, vcc_lo, v68
	v_cmp_gt_i32_e32 vcc_lo, 0, v71
	v_not_b32_e32 v71, v72
	s_wait_alu 0xf1ff
	v_xor_b32_e32 v190, s15, v190
	v_cmp_gt_i32_e64 s15, 0, v72
	v_and_b32_e32 v68, exec_lo, v68
	v_not_b32_e32 v72, v74
	v_ashrrev_i32_e32 v71, 31, v71
	s_wait_alu 0xfffd
	v_xor_b32_e32 v70, vcc_lo, v70
	v_cmp_gt_i32_e32 vcc_lo, 0, v74
	v_and_b32_e32 v68, v68, v190
	v_not_b32_e32 v74, v75
	v_ashrrev_i32_e32 v72, 31, v72
	s_wait_alu 0xf1ff
	v_xor_b32_e32 v71, s15, v71
	v_cmp_gt_i32_e64 s15, 0, v75
	v_and_b32_e32 v68, v68, v70
	v_not_b32_e32 v70, v189
	v_ashrrev_i32_e32 v74, 31, v74
	s_wait_alu 0xfffd
	v_xor_b32_e32 v72, vcc_lo, v72
	v_cmp_gt_i32_e32 vcc_lo, 0, v189
	v_and_b32_e32 v68, v68, v71
	v_not_b32_e32 v71, v73
	v_ashrrev_i32_e32 v70, 31, v70
	s_wait_alu 0xf1ff
	v_xor_b32_e32 v74, s15, v74
	v_cmp_gt_i32_e64 s15, 0, v73
	v_and_b32_e32 v68, v68, v72
	v_ashrrev_i32_e32 v71, 31, v71
	s_wait_alu 0xfffd
	v_xor_b32_e32 v70, vcc_lo, v70
	v_mad_u32_u24 v72, v69, 36, v145
	v_mul_u32_u24_e32 v69, 36, v69
	v_and_b32_e32 v68, v68, v74
	s_wait_alu 0xf1ff
	v_xor_b32_e32 v71, s15, v71
	ds_load_b32 v189, v72 offset:1056
	v_add_nc_u32_e32 v191, v145, v69
	v_and_b32_e32 v68, v68, v70
	; wave barrier
	s_delay_alu instid0(VALU_DEP_1) | instskip(NEXT) | instid1(VALU_DEP_1)
	v_and_b32_e32 v68, v68, v71
	v_mbcnt_lo_u32_b32 v190, v68, 0
	v_cmp_ne_u32_e64 s15, 0, v68
	s_delay_alu instid0(VALU_DEP_2)
	v_cmp_eq_u32_e32 vcc_lo, 0, v190
	s_and_b32 s16, s15, vcc_lo
	s_wait_alu 0xfffe
	s_and_saveexec_b32 s15, s16
	s_cbranch_execz .LBB1153_447
; %bb.446:                              ;   in Loop: Header=BB1153_393 Depth=2
	s_wait_dscnt 0x0
	v_bcnt_u32_b32 v68, v68, v189
	ds_store_b32 v191, v68 offset:1056
.LBB1153_447:                           ;   in Loop: Header=BB1153_393 Depth=2
	s_wait_alu 0xfffe
	s_or_b32 exec_lo, exec_lo, s15
	v_cmp_gt_i64_e32 vcc_lo, 0, v[62:63]
	v_ashrrev_i32_e32 v68, 31, v63
	; wave barrier
	s_delay_alu instid0(VALU_DEP_1) | instskip(SKIP_2) | instid1(VALU_DEP_2)
	v_not_b32_e32 v68, v68
	s_wait_alu 0xfffd
	v_cndmask_b32_e64 v69, 0x7fffffff, 0, vcc_lo
	v_xor_b32_e32 v62, v68, v62
	s_delay_alu instid0(VALU_DEP_2) | instskip(NEXT) | instid1(VALU_DEP_1)
	v_xor_b32_e32 v63, v69, v63
	v_cmp_ne_u64_e32 vcc_lo, s[34:35], v[62:63]
	s_wait_alu 0xfffd
	v_cndmask_b32_e32 v69, 0x7fffffff, v63, vcc_lo
	v_cndmask_b32_e32 v68, -1, v62, vcc_lo
	s_delay_alu instid0(VALU_DEP_1) | instskip(NEXT) | instid1(VALU_DEP_1)
	v_lshrrev_b64 v[68:69], s48, v[68:69]
	v_and_b32_e32 v69, s57, v68
	s_delay_alu instid0(VALU_DEP_1)
	v_and_b32_e32 v68, 1, v69
	v_lshlrev_b32_e32 v70, 30, v69
	v_lshlrev_b32_e32 v71, 29, v69
	v_lshlrev_b32_e32 v72, 28, v69
	v_lshlrev_b32_e32 v74, 27, v69
	v_add_co_u32 v68, s15, v68, -1
	s_wait_alu 0xf1ff
	v_cndmask_b32_e64 v73, 0, 1, s15
	v_not_b32_e32 v193, v70
	v_cmp_gt_i32_e64 s15, 0, v70
	v_not_b32_e32 v70, v71
	v_lshlrev_b32_e32 v75, 26, v69
	v_cmp_ne_u32_e32 vcc_lo, 0, v73
	v_ashrrev_i32_e32 v193, 31, v193
	v_lshlrev_b32_e32 v192, 25, v69
	v_ashrrev_i32_e32 v70, 31, v70
	v_lshlrev_b32_e32 v73, 24, v69
	s_wait_alu 0xfffd
	v_xor_b32_e32 v68, vcc_lo, v68
	v_cmp_gt_i32_e32 vcc_lo, 0, v71
	v_not_b32_e32 v71, v72
	s_wait_alu 0xf1ff
	v_xor_b32_e32 v193, s15, v193
	v_cmp_gt_i32_e64 s15, 0, v72
	v_and_b32_e32 v68, exec_lo, v68
	v_not_b32_e32 v72, v74
	v_ashrrev_i32_e32 v71, 31, v71
	s_wait_alu 0xfffd
	v_xor_b32_e32 v70, vcc_lo, v70
	v_cmp_gt_i32_e32 vcc_lo, 0, v74
	v_and_b32_e32 v68, v68, v193
	v_not_b32_e32 v74, v75
	v_ashrrev_i32_e32 v72, 31, v72
	s_wait_alu 0xf1ff
	v_xor_b32_e32 v71, s15, v71
	v_cmp_gt_i32_e64 s15, 0, v75
	v_and_b32_e32 v68, v68, v70
	v_not_b32_e32 v70, v192
	v_ashrrev_i32_e32 v74, 31, v74
	s_wait_alu 0xfffd
	v_xor_b32_e32 v72, vcc_lo, v72
	v_cmp_gt_i32_e32 vcc_lo, 0, v192
	v_and_b32_e32 v68, v68, v71
	v_not_b32_e32 v71, v73
	v_ashrrev_i32_e32 v70, 31, v70
	s_wait_alu 0xf1ff
	v_xor_b32_e32 v74, s15, v74
	v_cmp_gt_i32_e64 s15, 0, v73
	v_and_b32_e32 v68, v68, v72
	v_ashrrev_i32_e32 v71, 31, v71
	s_wait_alu 0xfffd
	v_xor_b32_e32 v70, vcc_lo, v70
	v_mad_u32_u24 v72, v69, 36, v145
	v_mul_u32_u24_e32 v69, 36, v69
	v_and_b32_e32 v68, v68, v74
	s_wait_alu 0xf1ff
	v_xor_b32_e32 v71, s15, v71
	ds_load_b32 v192, v72 offset:1056
	v_add_nc_u32_e32 v194, v145, v69
	v_and_b32_e32 v68, v68, v70
	; wave barrier
	s_delay_alu instid0(VALU_DEP_1) | instskip(NEXT) | instid1(VALU_DEP_1)
	v_and_b32_e32 v68, v68, v71
	v_mbcnt_lo_u32_b32 v193, v68, 0
	v_cmp_ne_u32_e64 s15, 0, v68
	s_delay_alu instid0(VALU_DEP_2)
	v_cmp_eq_u32_e32 vcc_lo, 0, v193
	s_and_b32 s16, s15, vcc_lo
	s_wait_alu 0xfffe
	s_and_saveexec_b32 s15, s16
	s_cbranch_execz .LBB1153_449
; %bb.448:                              ;   in Loop: Header=BB1153_393 Depth=2
	s_wait_dscnt 0x0
	v_bcnt_u32_b32 v68, v68, v192
	ds_store_b32 v194, v68 offset:1056
.LBB1153_449:                           ;   in Loop: Header=BB1153_393 Depth=2
	s_wait_alu 0xfffe
	s_or_b32 exec_lo, exec_lo, s15
	v_cmp_gt_i64_e32 vcc_lo, 0, v[58:59]
	v_ashrrev_i32_e32 v68, 31, v59
	; wave barrier
	s_delay_alu instid0(VALU_DEP_1) | instskip(SKIP_2) | instid1(VALU_DEP_2)
	v_not_b32_e32 v68, v68
	s_wait_alu 0xfffd
	v_cndmask_b32_e64 v69, 0x7fffffff, 0, vcc_lo
	v_xor_b32_e32 v58, v68, v58
	s_delay_alu instid0(VALU_DEP_2) | instskip(NEXT) | instid1(VALU_DEP_1)
	v_xor_b32_e32 v59, v69, v59
	v_cmp_ne_u64_e32 vcc_lo, s[34:35], v[58:59]
	s_wait_alu 0xfffd
	v_cndmask_b32_e32 v69, 0x7fffffff, v59, vcc_lo
	v_cndmask_b32_e32 v68, -1, v58, vcc_lo
	s_delay_alu instid0(VALU_DEP_1) | instskip(NEXT) | instid1(VALU_DEP_1)
	v_lshrrev_b64 v[68:69], s48, v[68:69]
	v_and_b32_e32 v69, s57, v68
	s_delay_alu instid0(VALU_DEP_1)
	v_and_b32_e32 v68, 1, v69
	v_lshlrev_b32_e32 v70, 30, v69
	v_lshlrev_b32_e32 v71, 29, v69
	;; [unrolled: 1-line block ×4, first 2 shown]
	v_add_co_u32 v68, s15, v68, -1
	s_wait_alu 0xf1ff
	v_cndmask_b32_e64 v73, 0, 1, s15
	v_not_b32_e32 v196, v70
	v_cmp_gt_i32_e64 s15, 0, v70
	v_not_b32_e32 v70, v71
	v_lshlrev_b32_e32 v75, 26, v69
	v_cmp_ne_u32_e32 vcc_lo, 0, v73
	v_ashrrev_i32_e32 v196, 31, v196
	v_lshlrev_b32_e32 v195, 25, v69
	v_ashrrev_i32_e32 v70, 31, v70
	v_lshlrev_b32_e32 v73, 24, v69
	s_wait_alu 0xfffd
	v_xor_b32_e32 v68, vcc_lo, v68
	v_cmp_gt_i32_e32 vcc_lo, 0, v71
	v_not_b32_e32 v71, v72
	s_wait_alu 0xf1ff
	v_xor_b32_e32 v196, s15, v196
	v_cmp_gt_i32_e64 s15, 0, v72
	v_and_b32_e32 v68, exec_lo, v68
	v_not_b32_e32 v72, v74
	v_ashrrev_i32_e32 v71, 31, v71
	s_wait_alu 0xfffd
	v_xor_b32_e32 v70, vcc_lo, v70
	v_cmp_gt_i32_e32 vcc_lo, 0, v74
	v_and_b32_e32 v68, v68, v196
	v_not_b32_e32 v74, v75
	v_ashrrev_i32_e32 v72, 31, v72
	s_wait_alu 0xf1ff
	v_xor_b32_e32 v71, s15, v71
	v_cmp_gt_i32_e64 s15, 0, v75
	v_and_b32_e32 v68, v68, v70
	v_not_b32_e32 v70, v195
	v_ashrrev_i32_e32 v74, 31, v74
	s_wait_alu 0xfffd
	v_xor_b32_e32 v72, vcc_lo, v72
	v_cmp_gt_i32_e32 vcc_lo, 0, v195
	v_and_b32_e32 v68, v68, v71
	v_not_b32_e32 v71, v73
	v_ashrrev_i32_e32 v70, 31, v70
	s_wait_alu 0xf1ff
	v_xor_b32_e32 v74, s15, v74
	v_cmp_gt_i32_e64 s15, 0, v73
	v_and_b32_e32 v68, v68, v72
	v_ashrrev_i32_e32 v71, 31, v71
	s_wait_alu 0xfffd
	v_xor_b32_e32 v70, vcc_lo, v70
	v_mad_u32_u24 v72, v69, 36, v145
	v_mul_u32_u24_e32 v69, 36, v69
	v_and_b32_e32 v68, v68, v74
	s_wait_alu 0xf1ff
	v_xor_b32_e32 v71, s15, v71
	ds_load_b32 v195, v72 offset:1056
	v_add_nc_u32_e32 v197, v145, v69
	v_and_b32_e32 v68, v68, v70
	; wave barrier
	s_delay_alu instid0(VALU_DEP_1) | instskip(NEXT) | instid1(VALU_DEP_1)
	v_and_b32_e32 v68, v68, v71
	v_mbcnt_lo_u32_b32 v196, v68, 0
	v_cmp_ne_u32_e64 s15, 0, v68
	s_delay_alu instid0(VALU_DEP_2)
	v_cmp_eq_u32_e32 vcc_lo, 0, v196
	s_and_b32 s16, s15, vcc_lo
	s_wait_alu 0xfffe
	s_and_saveexec_b32 s15, s16
	s_cbranch_execz .LBB1153_451
; %bb.450:                              ;   in Loop: Header=BB1153_393 Depth=2
	s_wait_dscnt 0x0
	v_bcnt_u32_b32 v68, v68, v195
	ds_store_b32 v197, v68 offset:1056
.LBB1153_451:                           ;   in Loop: Header=BB1153_393 Depth=2
	s_wait_alu 0xfffe
	s_or_b32 exec_lo, exec_lo, s15
	v_cmp_gt_i64_e32 vcc_lo, 0, v[54:55]
	v_ashrrev_i32_e32 v68, 31, v55
	; wave barrier
	s_delay_alu instid0(VALU_DEP_1) | instskip(SKIP_2) | instid1(VALU_DEP_2)
	v_not_b32_e32 v68, v68
	s_wait_alu 0xfffd
	v_cndmask_b32_e64 v69, 0x7fffffff, 0, vcc_lo
	v_xor_b32_e32 v54, v68, v54
	s_delay_alu instid0(VALU_DEP_2) | instskip(NEXT) | instid1(VALU_DEP_1)
	v_xor_b32_e32 v55, v69, v55
	v_cmp_ne_u64_e32 vcc_lo, s[34:35], v[54:55]
	s_wait_alu 0xfffd
	v_cndmask_b32_e32 v69, 0x7fffffff, v55, vcc_lo
	v_cndmask_b32_e32 v68, -1, v54, vcc_lo
	s_delay_alu instid0(VALU_DEP_1) | instskip(NEXT) | instid1(VALU_DEP_1)
	v_lshrrev_b64 v[68:69], s48, v[68:69]
	v_and_b32_e32 v69, s57, v68
	s_delay_alu instid0(VALU_DEP_1)
	v_and_b32_e32 v68, 1, v69
	v_lshlrev_b32_e32 v70, 30, v69
	v_lshlrev_b32_e32 v71, 29, v69
	v_lshlrev_b32_e32 v72, 28, v69
	v_lshlrev_b32_e32 v74, 27, v69
	v_add_co_u32 v68, s15, v68, -1
	s_wait_alu 0xf1ff
	v_cndmask_b32_e64 v73, 0, 1, s15
	v_not_b32_e32 v199, v70
	v_cmp_gt_i32_e64 s15, 0, v70
	v_not_b32_e32 v70, v71
	v_lshlrev_b32_e32 v75, 26, v69
	v_cmp_ne_u32_e32 vcc_lo, 0, v73
	v_ashrrev_i32_e32 v199, 31, v199
	v_lshlrev_b32_e32 v198, 25, v69
	v_ashrrev_i32_e32 v70, 31, v70
	v_lshlrev_b32_e32 v73, 24, v69
	s_wait_alu 0xfffd
	v_xor_b32_e32 v68, vcc_lo, v68
	v_cmp_gt_i32_e32 vcc_lo, 0, v71
	v_not_b32_e32 v71, v72
	s_wait_alu 0xf1ff
	v_xor_b32_e32 v199, s15, v199
	v_cmp_gt_i32_e64 s15, 0, v72
	v_and_b32_e32 v68, exec_lo, v68
	v_not_b32_e32 v72, v74
	v_ashrrev_i32_e32 v71, 31, v71
	s_wait_alu 0xfffd
	v_xor_b32_e32 v70, vcc_lo, v70
	v_cmp_gt_i32_e32 vcc_lo, 0, v74
	v_and_b32_e32 v68, v68, v199
	v_not_b32_e32 v74, v75
	v_ashrrev_i32_e32 v72, 31, v72
	s_wait_alu 0xf1ff
	v_xor_b32_e32 v71, s15, v71
	v_cmp_gt_i32_e64 s15, 0, v75
	v_and_b32_e32 v68, v68, v70
	v_not_b32_e32 v70, v198
	v_ashrrev_i32_e32 v74, 31, v74
	s_wait_alu 0xfffd
	v_xor_b32_e32 v72, vcc_lo, v72
	v_cmp_gt_i32_e32 vcc_lo, 0, v198
	v_and_b32_e32 v68, v68, v71
	v_not_b32_e32 v71, v73
	v_ashrrev_i32_e32 v70, 31, v70
	s_wait_alu 0xf1ff
	v_xor_b32_e32 v74, s15, v74
	v_cmp_gt_i32_e64 s15, 0, v73
	v_and_b32_e32 v68, v68, v72
	v_ashrrev_i32_e32 v71, 31, v71
	s_wait_alu 0xfffd
	v_xor_b32_e32 v70, vcc_lo, v70
	v_mad_u32_u24 v72, v69, 36, v145
	v_mul_u32_u24_e32 v69, 36, v69
	v_and_b32_e32 v68, v68, v74
	s_wait_alu 0xf1ff
	v_xor_b32_e32 v71, s15, v71
	ds_load_b32 v198, v72 offset:1056
	v_add_nc_u32_e32 v200, v145, v69
	v_and_b32_e32 v68, v68, v70
	; wave barrier
	s_delay_alu instid0(VALU_DEP_1) | instskip(NEXT) | instid1(VALU_DEP_1)
	v_and_b32_e32 v68, v68, v71
	v_mbcnt_lo_u32_b32 v199, v68, 0
	v_cmp_ne_u32_e64 s15, 0, v68
	s_delay_alu instid0(VALU_DEP_2)
	v_cmp_eq_u32_e32 vcc_lo, 0, v199
	s_and_b32 s16, s15, vcc_lo
	s_wait_alu 0xfffe
	s_and_saveexec_b32 s15, s16
	s_cbranch_execz .LBB1153_453
; %bb.452:                              ;   in Loop: Header=BB1153_393 Depth=2
	s_wait_dscnt 0x0
	v_bcnt_u32_b32 v68, v68, v198
	ds_store_b32 v200, v68 offset:1056
.LBB1153_453:                           ;   in Loop: Header=BB1153_393 Depth=2
	s_wait_alu 0xfffe
	s_or_b32 exec_lo, exec_lo, s15
	v_cmp_gt_i64_e32 vcc_lo, 0, v[50:51]
	v_ashrrev_i32_e32 v68, 31, v51
	; wave barrier
	s_delay_alu instid0(VALU_DEP_1) | instskip(SKIP_2) | instid1(VALU_DEP_2)
	v_not_b32_e32 v68, v68
	s_wait_alu 0xfffd
	v_cndmask_b32_e64 v69, 0x7fffffff, 0, vcc_lo
	v_xor_b32_e32 v50, v68, v50
	s_delay_alu instid0(VALU_DEP_2) | instskip(NEXT) | instid1(VALU_DEP_1)
	v_xor_b32_e32 v51, v69, v51
	v_cmp_ne_u64_e32 vcc_lo, s[34:35], v[50:51]
	s_wait_alu 0xfffd
	v_cndmask_b32_e32 v69, 0x7fffffff, v51, vcc_lo
	v_cndmask_b32_e32 v68, -1, v50, vcc_lo
	s_delay_alu instid0(VALU_DEP_1) | instskip(NEXT) | instid1(VALU_DEP_1)
	v_lshrrev_b64 v[68:69], s48, v[68:69]
	v_and_b32_e32 v69, s57, v68
	s_delay_alu instid0(VALU_DEP_1)
	v_and_b32_e32 v68, 1, v69
	v_lshlrev_b32_e32 v70, 30, v69
	v_lshlrev_b32_e32 v71, 29, v69
	;; [unrolled: 1-line block ×4, first 2 shown]
	v_add_co_u32 v68, s15, v68, -1
	s_wait_alu 0xf1ff
	v_cndmask_b32_e64 v73, 0, 1, s15
	v_not_b32_e32 v202, v70
	v_cmp_gt_i32_e64 s15, 0, v70
	v_not_b32_e32 v70, v71
	v_lshlrev_b32_e32 v75, 26, v69
	v_cmp_ne_u32_e32 vcc_lo, 0, v73
	v_ashrrev_i32_e32 v202, 31, v202
	v_lshlrev_b32_e32 v201, 25, v69
	v_ashrrev_i32_e32 v70, 31, v70
	v_lshlrev_b32_e32 v73, 24, v69
	s_wait_alu 0xfffd
	v_xor_b32_e32 v68, vcc_lo, v68
	v_cmp_gt_i32_e32 vcc_lo, 0, v71
	v_not_b32_e32 v71, v72
	s_wait_alu 0xf1ff
	v_xor_b32_e32 v202, s15, v202
	v_cmp_gt_i32_e64 s15, 0, v72
	v_and_b32_e32 v68, exec_lo, v68
	v_not_b32_e32 v72, v74
	v_ashrrev_i32_e32 v71, 31, v71
	s_wait_alu 0xfffd
	v_xor_b32_e32 v70, vcc_lo, v70
	v_cmp_gt_i32_e32 vcc_lo, 0, v74
	v_and_b32_e32 v68, v68, v202
	v_not_b32_e32 v74, v75
	v_ashrrev_i32_e32 v72, 31, v72
	s_wait_alu 0xf1ff
	v_xor_b32_e32 v71, s15, v71
	v_cmp_gt_i32_e64 s15, 0, v75
	v_and_b32_e32 v68, v68, v70
	v_not_b32_e32 v70, v201
	v_ashrrev_i32_e32 v74, 31, v74
	s_wait_alu 0xfffd
	v_xor_b32_e32 v72, vcc_lo, v72
	v_cmp_gt_i32_e32 vcc_lo, 0, v201
	v_and_b32_e32 v68, v68, v71
	v_not_b32_e32 v71, v73
	v_ashrrev_i32_e32 v70, 31, v70
	s_wait_alu 0xf1ff
	v_xor_b32_e32 v74, s15, v74
	v_cmp_gt_i32_e64 s15, 0, v73
	v_and_b32_e32 v68, v68, v72
	v_ashrrev_i32_e32 v71, 31, v71
	s_wait_alu 0xfffd
	v_xor_b32_e32 v70, vcc_lo, v70
	v_mad_u32_u24 v72, v69, 36, v145
	v_mul_u32_u24_e32 v69, 36, v69
	v_and_b32_e32 v68, v68, v74
	s_wait_alu 0xf1ff
	v_xor_b32_e32 v71, s15, v71
	ds_load_b32 v201, v72 offset:1056
	v_add_nc_u32_e32 v203, v145, v69
	v_and_b32_e32 v68, v68, v70
	; wave barrier
	s_delay_alu instid0(VALU_DEP_1) | instskip(NEXT) | instid1(VALU_DEP_1)
	v_and_b32_e32 v68, v68, v71
	v_mbcnt_lo_u32_b32 v202, v68, 0
	v_cmp_ne_u32_e64 s15, 0, v68
	s_delay_alu instid0(VALU_DEP_2)
	v_cmp_eq_u32_e32 vcc_lo, 0, v202
	s_and_b32 s16, s15, vcc_lo
	s_wait_alu 0xfffe
	s_and_saveexec_b32 s15, s16
	s_cbranch_execz .LBB1153_455
; %bb.454:                              ;   in Loop: Header=BB1153_393 Depth=2
	s_wait_dscnt 0x0
	v_bcnt_u32_b32 v68, v68, v201
	ds_store_b32 v203, v68 offset:1056
.LBB1153_455:                           ;   in Loop: Header=BB1153_393 Depth=2
	s_wait_alu 0xfffe
	s_or_b32 exec_lo, exec_lo, s15
	v_cmp_gt_i64_e32 vcc_lo, 0, v[46:47]
	v_ashrrev_i32_e32 v68, 31, v47
	; wave barrier
	s_delay_alu instid0(VALU_DEP_1) | instskip(SKIP_2) | instid1(VALU_DEP_2)
	v_not_b32_e32 v68, v68
	s_wait_alu 0xfffd
	v_cndmask_b32_e64 v69, 0x7fffffff, 0, vcc_lo
	v_xor_b32_e32 v46, v68, v46
	s_delay_alu instid0(VALU_DEP_2) | instskip(NEXT) | instid1(VALU_DEP_1)
	v_xor_b32_e32 v47, v69, v47
	v_cmp_ne_u64_e32 vcc_lo, s[34:35], v[46:47]
	s_wait_alu 0xfffd
	v_cndmask_b32_e32 v69, 0x7fffffff, v47, vcc_lo
	v_cndmask_b32_e32 v68, -1, v46, vcc_lo
	s_delay_alu instid0(VALU_DEP_1) | instskip(NEXT) | instid1(VALU_DEP_1)
	v_lshrrev_b64 v[68:69], s48, v[68:69]
	v_and_b32_e32 v69, s57, v68
	s_delay_alu instid0(VALU_DEP_1)
	v_and_b32_e32 v68, 1, v69
	v_lshlrev_b32_e32 v70, 30, v69
	v_lshlrev_b32_e32 v71, 29, v69
	;; [unrolled: 1-line block ×4, first 2 shown]
	v_add_co_u32 v68, s15, v68, -1
	s_wait_alu 0xf1ff
	v_cndmask_b32_e64 v73, 0, 1, s15
	v_not_b32_e32 v205, v70
	v_cmp_gt_i32_e64 s15, 0, v70
	v_not_b32_e32 v70, v71
	v_lshlrev_b32_e32 v75, 26, v69
	v_cmp_ne_u32_e32 vcc_lo, 0, v73
	v_ashrrev_i32_e32 v205, 31, v205
	v_lshlrev_b32_e32 v204, 25, v69
	v_ashrrev_i32_e32 v70, 31, v70
	v_lshlrev_b32_e32 v73, 24, v69
	s_wait_alu 0xfffd
	v_xor_b32_e32 v68, vcc_lo, v68
	v_cmp_gt_i32_e32 vcc_lo, 0, v71
	v_not_b32_e32 v71, v72
	s_wait_alu 0xf1ff
	v_xor_b32_e32 v205, s15, v205
	v_cmp_gt_i32_e64 s15, 0, v72
	v_and_b32_e32 v68, exec_lo, v68
	v_not_b32_e32 v72, v74
	v_ashrrev_i32_e32 v71, 31, v71
	s_wait_alu 0xfffd
	v_xor_b32_e32 v70, vcc_lo, v70
	v_cmp_gt_i32_e32 vcc_lo, 0, v74
	v_and_b32_e32 v68, v68, v205
	v_not_b32_e32 v74, v75
	v_ashrrev_i32_e32 v72, 31, v72
	s_wait_alu 0xf1ff
	v_xor_b32_e32 v71, s15, v71
	v_cmp_gt_i32_e64 s15, 0, v75
	v_and_b32_e32 v68, v68, v70
	v_not_b32_e32 v70, v204
	v_ashrrev_i32_e32 v74, 31, v74
	s_wait_alu 0xfffd
	v_xor_b32_e32 v72, vcc_lo, v72
	v_cmp_gt_i32_e32 vcc_lo, 0, v204
	v_and_b32_e32 v68, v68, v71
	v_not_b32_e32 v71, v73
	v_ashrrev_i32_e32 v70, 31, v70
	s_wait_alu 0xf1ff
	v_xor_b32_e32 v74, s15, v74
	v_cmp_gt_i32_e64 s15, 0, v73
	v_and_b32_e32 v68, v68, v72
	v_ashrrev_i32_e32 v71, 31, v71
	s_wait_alu 0xfffd
	v_xor_b32_e32 v70, vcc_lo, v70
	v_mad_u32_u24 v72, v69, 36, v145
	v_mul_u32_u24_e32 v69, 36, v69
	v_and_b32_e32 v68, v68, v74
	s_wait_alu 0xf1ff
	v_xor_b32_e32 v71, s15, v71
	ds_load_b32 v204, v72 offset:1056
	v_add_nc_u32_e32 v206, v145, v69
	v_and_b32_e32 v68, v68, v70
	; wave barrier
	s_delay_alu instid0(VALU_DEP_1) | instskip(NEXT) | instid1(VALU_DEP_1)
	v_and_b32_e32 v68, v68, v71
	v_mbcnt_lo_u32_b32 v205, v68, 0
	v_cmp_ne_u32_e64 s15, 0, v68
	s_delay_alu instid0(VALU_DEP_2)
	v_cmp_eq_u32_e32 vcc_lo, 0, v205
	s_and_b32 s16, s15, vcc_lo
	s_wait_alu 0xfffe
	s_and_saveexec_b32 s15, s16
	s_cbranch_execz .LBB1153_457
; %bb.456:                              ;   in Loop: Header=BB1153_393 Depth=2
	s_wait_dscnt 0x0
	v_bcnt_u32_b32 v68, v68, v204
	ds_store_b32 v206, v68 offset:1056
.LBB1153_457:                           ;   in Loop: Header=BB1153_393 Depth=2
	s_wait_alu 0xfffe
	s_or_b32 exec_lo, exec_lo, s15
	v_cmp_gt_i64_e32 vcc_lo, 0, v[44:45]
	v_ashrrev_i32_e32 v68, 31, v45
	; wave barrier
	s_delay_alu instid0(VALU_DEP_1) | instskip(SKIP_2) | instid1(VALU_DEP_2)
	v_not_b32_e32 v68, v68
	s_wait_alu 0xfffd
	v_cndmask_b32_e64 v69, 0x7fffffff, 0, vcc_lo
	v_xor_b32_e32 v44, v68, v44
	s_delay_alu instid0(VALU_DEP_2) | instskip(NEXT) | instid1(VALU_DEP_1)
	v_xor_b32_e32 v45, v69, v45
	v_cmp_ne_u64_e32 vcc_lo, s[34:35], v[44:45]
	s_wait_alu 0xfffd
	v_cndmask_b32_e32 v69, 0x7fffffff, v45, vcc_lo
	v_cndmask_b32_e32 v68, -1, v44, vcc_lo
	s_delay_alu instid0(VALU_DEP_1) | instskip(NEXT) | instid1(VALU_DEP_1)
	v_lshrrev_b64 v[68:69], s48, v[68:69]
	v_and_b32_e32 v69, s57, v68
	s_delay_alu instid0(VALU_DEP_1)
	v_and_b32_e32 v68, 1, v69
	v_lshlrev_b32_e32 v70, 30, v69
	v_lshlrev_b32_e32 v71, 29, v69
	;; [unrolled: 1-line block ×4, first 2 shown]
	v_add_co_u32 v68, s15, v68, -1
	s_wait_alu 0xf1ff
	v_cndmask_b32_e64 v73, 0, 1, s15
	v_not_b32_e32 v208, v70
	v_cmp_gt_i32_e64 s15, 0, v70
	v_not_b32_e32 v70, v71
	v_lshlrev_b32_e32 v75, 26, v69
	v_cmp_ne_u32_e32 vcc_lo, 0, v73
	v_ashrrev_i32_e32 v208, 31, v208
	v_lshlrev_b32_e32 v207, 25, v69
	v_ashrrev_i32_e32 v70, 31, v70
	v_lshlrev_b32_e32 v73, 24, v69
	s_wait_alu 0xfffd
	v_xor_b32_e32 v68, vcc_lo, v68
	v_cmp_gt_i32_e32 vcc_lo, 0, v71
	v_not_b32_e32 v71, v72
	s_wait_alu 0xf1ff
	v_xor_b32_e32 v208, s15, v208
	v_cmp_gt_i32_e64 s15, 0, v72
	v_and_b32_e32 v68, exec_lo, v68
	v_not_b32_e32 v72, v74
	v_ashrrev_i32_e32 v71, 31, v71
	s_wait_alu 0xfffd
	v_xor_b32_e32 v70, vcc_lo, v70
	v_cmp_gt_i32_e32 vcc_lo, 0, v74
	v_and_b32_e32 v68, v68, v208
	v_not_b32_e32 v74, v75
	v_ashrrev_i32_e32 v72, 31, v72
	s_wait_alu 0xf1ff
	v_xor_b32_e32 v71, s15, v71
	v_cmp_gt_i32_e64 s15, 0, v75
	v_and_b32_e32 v68, v68, v70
	v_not_b32_e32 v70, v207
	v_ashrrev_i32_e32 v74, 31, v74
	s_wait_alu 0xfffd
	v_xor_b32_e32 v72, vcc_lo, v72
	v_cmp_gt_i32_e32 vcc_lo, 0, v207
	v_and_b32_e32 v68, v68, v71
	v_not_b32_e32 v71, v73
	v_ashrrev_i32_e32 v70, 31, v70
	s_wait_alu 0xf1ff
	v_xor_b32_e32 v74, s15, v74
	v_cmp_gt_i32_e64 s15, 0, v73
	v_and_b32_e32 v68, v68, v72
	v_ashrrev_i32_e32 v71, 31, v71
	s_wait_alu 0xfffd
	v_xor_b32_e32 v70, vcc_lo, v70
	v_mad_u32_u24 v72, v69, 36, v145
	v_mul_u32_u24_e32 v69, 36, v69
	v_and_b32_e32 v68, v68, v74
	s_wait_alu 0xf1ff
	v_xor_b32_e32 v71, s15, v71
	ds_load_b32 v207, v72 offset:1056
	v_add_nc_u32_e32 v209, v145, v69
	v_and_b32_e32 v68, v68, v70
	; wave barrier
	s_delay_alu instid0(VALU_DEP_1) | instskip(NEXT) | instid1(VALU_DEP_1)
	v_and_b32_e32 v68, v68, v71
	v_mbcnt_lo_u32_b32 v208, v68, 0
	v_cmp_ne_u32_e64 s15, 0, v68
	s_delay_alu instid0(VALU_DEP_2)
	v_cmp_eq_u32_e32 vcc_lo, 0, v208
	s_and_b32 s16, s15, vcc_lo
	s_wait_alu 0xfffe
	s_and_saveexec_b32 s15, s16
	s_cbranch_execz .LBB1153_459
; %bb.458:                              ;   in Loop: Header=BB1153_393 Depth=2
	s_wait_dscnt 0x0
	v_bcnt_u32_b32 v68, v68, v207
	ds_store_b32 v209, v68 offset:1056
.LBB1153_459:                           ;   in Loop: Header=BB1153_393 Depth=2
	s_wait_alu 0xfffe
	s_or_b32 exec_lo, exec_lo, s15
	v_cmp_gt_i64_e32 vcc_lo, 0, v[42:43]
	v_ashrrev_i32_e32 v68, 31, v43
	; wave barrier
	s_delay_alu instid0(VALU_DEP_1) | instskip(SKIP_2) | instid1(VALU_DEP_2)
	v_not_b32_e32 v68, v68
	s_wait_alu 0xfffd
	v_cndmask_b32_e64 v69, 0x7fffffff, 0, vcc_lo
	v_xor_b32_e32 v42, v68, v42
	s_delay_alu instid0(VALU_DEP_2) | instskip(NEXT) | instid1(VALU_DEP_1)
	v_xor_b32_e32 v43, v69, v43
	v_cmp_ne_u64_e32 vcc_lo, s[34:35], v[42:43]
	s_wait_alu 0xfffd
	v_cndmask_b32_e32 v69, 0x7fffffff, v43, vcc_lo
	v_cndmask_b32_e32 v68, -1, v42, vcc_lo
	s_delay_alu instid0(VALU_DEP_1) | instskip(NEXT) | instid1(VALU_DEP_1)
	v_lshrrev_b64 v[68:69], s48, v[68:69]
	v_and_b32_e32 v69, s57, v68
	s_delay_alu instid0(VALU_DEP_1)
	v_and_b32_e32 v68, 1, v69
	v_lshlrev_b32_e32 v70, 30, v69
	v_lshlrev_b32_e32 v71, 29, v69
	;; [unrolled: 1-line block ×4, first 2 shown]
	v_add_co_u32 v68, s15, v68, -1
	s_wait_alu 0xf1ff
	v_cndmask_b32_e64 v73, 0, 1, s15
	v_not_b32_e32 v211, v70
	v_cmp_gt_i32_e64 s15, 0, v70
	v_not_b32_e32 v70, v71
	v_lshlrev_b32_e32 v75, 26, v69
	v_cmp_ne_u32_e32 vcc_lo, 0, v73
	v_ashrrev_i32_e32 v211, 31, v211
	v_lshlrev_b32_e32 v210, 25, v69
	v_ashrrev_i32_e32 v70, 31, v70
	v_lshlrev_b32_e32 v73, 24, v69
	s_wait_alu 0xfffd
	v_xor_b32_e32 v68, vcc_lo, v68
	v_cmp_gt_i32_e32 vcc_lo, 0, v71
	v_not_b32_e32 v71, v72
	s_wait_alu 0xf1ff
	v_xor_b32_e32 v211, s15, v211
	v_cmp_gt_i32_e64 s15, 0, v72
	v_and_b32_e32 v68, exec_lo, v68
	v_not_b32_e32 v72, v74
	v_ashrrev_i32_e32 v71, 31, v71
	s_wait_alu 0xfffd
	v_xor_b32_e32 v70, vcc_lo, v70
	v_cmp_gt_i32_e32 vcc_lo, 0, v74
	v_and_b32_e32 v68, v68, v211
	v_not_b32_e32 v74, v75
	v_ashrrev_i32_e32 v72, 31, v72
	s_wait_alu 0xf1ff
	v_xor_b32_e32 v71, s15, v71
	v_cmp_gt_i32_e64 s15, 0, v75
	v_and_b32_e32 v68, v68, v70
	v_not_b32_e32 v70, v210
	v_ashrrev_i32_e32 v74, 31, v74
	s_wait_alu 0xfffd
	v_xor_b32_e32 v72, vcc_lo, v72
	v_cmp_gt_i32_e32 vcc_lo, 0, v210
	v_and_b32_e32 v68, v68, v71
	v_not_b32_e32 v71, v73
	v_ashrrev_i32_e32 v70, 31, v70
	s_wait_alu 0xf1ff
	v_xor_b32_e32 v74, s15, v74
	v_cmp_gt_i32_e64 s15, 0, v73
	v_and_b32_e32 v68, v68, v72
	v_ashrrev_i32_e32 v71, 31, v71
	s_wait_alu 0xfffd
	v_xor_b32_e32 v70, vcc_lo, v70
	v_mad_u32_u24 v72, v69, 36, v145
	v_mul_u32_u24_e32 v69, 36, v69
	v_and_b32_e32 v68, v68, v74
	s_wait_alu 0xf1ff
	v_xor_b32_e32 v71, s15, v71
	ds_load_b32 v210, v72 offset:1056
	v_add_nc_u32_e32 v212, v145, v69
	v_and_b32_e32 v68, v68, v70
	; wave barrier
	s_delay_alu instid0(VALU_DEP_1) | instskip(NEXT) | instid1(VALU_DEP_1)
	v_and_b32_e32 v68, v68, v71
	v_mbcnt_lo_u32_b32 v211, v68, 0
	v_cmp_ne_u32_e64 s15, 0, v68
	s_delay_alu instid0(VALU_DEP_2)
	v_cmp_eq_u32_e32 vcc_lo, 0, v211
	s_and_b32 s16, s15, vcc_lo
	s_wait_alu 0xfffe
	s_and_saveexec_b32 s15, s16
	s_cbranch_execz .LBB1153_461
; %bb.460:                              ;   in Loop: Header=BB1153_393 Depth=2
	s_wait_dscnt 0x0
	v_bcnt_u32_b32 v68, v68, v210
	ds_store_b32 v212, v68 offset:1056
.LBB1153_461:                           ;   in Loop: Header=BB1153_393 Depth=2
	s_wait_alu 0xfffe
	s_or_b32 exec_lo, exec_lo, s15
	; wave barrier
	s_wait_loadcnt_dscnt 0x0
	s_barrier_signal -1
	s_barrier_wait -1
	global_inv scope:SCOPE_SE
	ds_load_2addr_b32 v[74:75], v164 offset1:1
	ds_load_2addr_b32 v[72:73], v165 offset1:1
	;; [unrolled: 1-line block ×4, first 2 shown]
	ds_load_b32 v213, v101 offset:1088
	s_wait_dscnt 0x3
	v_add3_u32 v214, v75, v74, v72
	s_wait_dscnt 0x2
	s_delay_alu instid0(VALU_DEP_1) | instskip(SKIP_1) | instid1(VALU_DEP_1)
	v_add3_u32 v214, v214, v73, v70
	s_wait_dscnt 0x1
	v_add3_u32 v214, v214, v71, v68
	s_wait_dscnt 0x0
	s_delay_alu instid0(VALU_DEP_1) | instskip(NEXT) | instid1(VALU_DEP_1)
	v_add3_u32 v213, v214, v69, v213
	v_mov_b32_dpp v214, v213 row_shr:1 row_mask:0xf bank_mask:0xf
	s_delay_alu instid0(VALU_DEP_1) | instskip(NEXT) | instid1(VALU_DEP_1)
	v_cndmask_b32_e64 v214, v214, 0, s6
	v_add_nc_u32_e32 v213, v214, v213
	s_delay_alu instid0(VALU_DEP_1) | instskip(NEXT) | instid1(VALU_DEP_1)
	v_mov_b32_dpp v214, v213 row_shr:2 row_mask:0xf bank_mask:0xf
	v_cndmask_b32_e64 v214, 0, v214, s7
	s_delay_alu instid0(VALU_DEP_1) | instskip(NEXT) | instid1(VALU_DEP_1)
	v_add_nc_u32_e32 v213, v213, v214
	v_mov_b32_dpp v214, v213 row_shr:4 row_mask:0xf bank_mask:0xf
	s_delay_alu instid0(VALU_DEP_1) | instskip(NEXT) | instid1(VALU_DEP_1)
	v_cndmask_b32_e64 v214, 0, v214, s8
	v_add_nc_u32_e32 v213, v213, v214
	s_delay_alu instid0(VALU_DEP_1) | instskip(NEXT) | instid1(VALU_DEP_1)
	v_mov_b32_dpp v214, v213 row_shr:8 row_mask:0xf bank_mask:0xf
	v_cndmask_b32_e64 v214, 0, v214, s9
	s_delay_alu instid0(VALU_DEP_1) | instskip(SKIP_3) | instid1(VALU_DEP_1)
	v_add_nc_u32_e32 v213, v213, v214
	ds_swizzle_b32 v214, v213 offset:swizzle(BROADCAST,32,15)
	s_wait_dscnt 0x0
	v_cndmask_b32_e64 v214, v214, 0, s10
	v_add_nc_u32_e32 v213, v213, v214
	s_and_saveexec_b32 s15, s3
; %bb.462:                              ;   in Loop: Header=BB1153_393 Depth=2
	ds_store_b32 v95, v213 offset:1024
; %bb.463:                              ;   in Loop: Header=BB1153_393 Depth=2
	s_wait_alu 0xfffe
	s_or_b32 exec_lo, exec_lo, s15
	s_wait_loadcnt_dscnt 0x0
	s_barrier_signal -1
	s_barrier_wait -1
	global_inv scope:SCOPE_SE
	s_and_saveexec_b32 s15, s4
	s_cbranch_execz .LBB1153_465
; %bb.464:                              ;   in Loop: Header=BB1153_393 Depth=2
	ds_load_b32 v214, v103 offset:1024
	s_wait_dscnt 0x0
	v_mov_b32_dpp v215, v214 row_shr:1 row_mask:0xf bank_mask:0xf
	s_delay_alu instid0(VALU_DEP_1) | instskip(NEXT) | instid1(VALU_DEP_1)
	v_cndmask_b32_e64 v215, v215, 0, s12
	v_add_nc_u32_e32 v214, v215, v214
	s_delay_alu instid0(VALU_DEP_1) | instskip(NEXT) | instid1(VALU_DEP_1)
	v_mov_b32_dpp v215, v214 row_shr:2 row_mask:0xf bank_mask:0xf
	v_cndmask_b32_e64 v215, 0, v215, s13
	s_delay_alu instid0(VALU_DEP_1) | instskip(NEXT) | instid1(VALU_DEP_1)
	v_add_nc_u32_e32 v214, v214, v215
	v_mov_b32_dpp v215, v214 row_shr:4 row_mask:0xf bank_mask:0xf
	s_delay_alu instid0(VALU_DEP_1) | instskip(NEXT) | instid1(VALU_DEP_1)
	v_cndmask_b32_e64 v215, 0, v215, s14
	v_add_nc_u32_e32 v214, v214, v215
	ds_store_b32 v103, v214 offset:1024
.LBB1153_465:                           ;   in Loop: Header=BB1153_393 Depth=2
	s_wait_alu 0xfffe
	s_or_b32 exec_lo, exec_lo, s15
	v_mov_b32_e32 v214, 0
	s_wait_loadcnt_dscnt 0x0
	s_barrier_signal -1
	s_barrier_wait -1
	global_inv scope:SCOPE_SE
	s_and_saveexec_b32 s15, s5
; %bb.466:                              ;   in Loop: Header=BB1153_393 Depth=2
	ds_load_b32 v214, v95 offset:1020
; %bb.467:                              ;   in Loop: Header=BB1153_393 Depth=2
	s_wait_alu 0xfffe
	s_or_b32 exec_lo, exec_lo, s15
	s_wait_dscnt 0x0
	v_add_nc_u32_e32 v213, v214, v213
	ds_bpermute_b32 v213, v124, v213
	s_wait_dscnt 0x0
	v_cndmask_b32_e64 v213, v213, v214, s11
	s_delay_alu instid0(VALU_DEP_1) | instskip(NEXT) | instid1(VALU_DEP_1)
	v_cndmask_b32_e64 v213, v213, 0, s0
	v_add_nc_u32_e32 v74, v213, v74
	s_delay_alu instid0(VALU_DEP_1) | instskip(NEXT) | instid1(VALU_DEP_1)
	v_add_nc_u32_e32 v75, v74, v75
	v_add_nc_u32_e32 v72, v75, v72
	s_delay_alu instid0(VALU_DEP_1) | instskip(NEXT) | instid1(VALU_DEP_1)
	v_add_nc_u32_e32 v73, v72, v73
	;; [unrolled: 3-line block ×3, first 2 shown]
	v_add_nc_u32_e32 v68, v71, v68
	s_delay_alu instid0(VALU_DEP_1)
	v_add_nc_u32_e32 v69, v68, v69
	ds_store_2addr_b32 v163, v71, v68 offset1:1
	ds_store_2addr_b32 v164, v213, v74 offset1:1
	;; [unrolled: 1-line block ×4, first 2 shown]
	ds_store_b32 v101, v69 offset:1088
	s_wait_loadcnt_dscnt 0x0
	s_barrier_signal -1
	s_barrier_wait -1
	global_inv scope:SCOPE_SE
	ds_load_b32 v69, v167 offset:1056
	ds_load_b32 v74, v170 offset:1056
	;; [unrolled: 1-line block ×17, first 2 shown]
	v_mov_b32_e32 v68, 0x1000
	s_and_saveexec_b32 s15, s1
; %bb.468:                              ;   in Loop: Header=BB1153_393 Depth=2
	ds_load_b32 v68, v101 offset:1092
; %bb.469:                              ;   in Loop: Header=BB1153_393 Depth=2
	s_wait_alu 0xfffe
	s_or_b32 exec_lo, exec_lo, s15
	s_wait_loadcnt_dscnt 0x0
	s_barrier_signal -1
	s_barrier_wait -1
	global_inv scope:SCOPE_SE
	s_and_saveexec_b32 s15, s2
	s_cbranch_execz .LBB1153_471
; %bb.470:                              ;   in Loop: Header=BB1153_393 Depth=2
	ds_load_b32 v185, v76
	s_wait_dscnt 0x0
	v_sub_nc_u32_e32 v182, v185, v182
	ds_store_b32 v76, v182
.LBB1153_471:                           ;   in Loop: Header=BB1153_393 Depth=2
	s_wait_alu 0xfffe
	s_or_b32 exec_lo, exec_lo, s15
	v_lshlrev_b32_e32 v2, 3, v2
	v_lshlrev_b32_e32 v169, 3, v169
	;; [unrolled: 1-line block ×5, first 2 shown]
	v_lshl_add_u32 v69, v69, 3, v2
	v_lshlrev_b32_e32 v2, 3, v171
	v_lshlrev_b32_e32 v73, 3, v73
	;; [unrolled: 1-line block ×4, first 2 shown]
	ds_store_b64 v69, v[36:37] offset:1024
	v_lshlrev_b32_e32 v36, 3, v72
	v_lshlrev_b32_e32 v37, 3, v178
	v_lshlrev_b32_e32 v175, 3, v177
	v_lshlrev_b32_e32 v177, 3, v71
	v_lshlrev_b32_e32 v178, 3, v181
	v_lshlrev_b32_e32 v180, 3, v180
	v_lshlrev_b32_e32 v181, 3, v70
	v_add3_u32 v70, v169, v168, v74
	v_add3_u32 v71, v172, v2, v73
	;; [unrolled: 1-line block ×5, first 2 shown]
	v_lshlrev_b32_e32 v2, 3, v184
	v_lshlrev_b32_e32 v36, 3, v183
	;; [unrolled: 1-line block ×3, first 2 shown]
	ds_store_b64 v70, v[38:39] offset:1024
	ds_store_b64 v71, v[40:41] offset:1024
	;; [unrolled: 1-line block ×5, first 2 shown]
	v_lshlrev_b32_e32 v39, 3, v187
	v_lshlrev_b32_e32 v40, 3, v186
	;; [unrolled: 1-line block ×12, first 2 shown]
	v_add3_u32 v38, v2, v36, v37
	v_add3_u32 v39, v39, v40, v41
	;; [unrolled: 1-line block ×5, first 2 shown]
	ds_store_b64 v38, v[60:61] offset:1024
	ds_store_b64 v39, v[64:65] offset:1024
	;; [unrolled: 1-line block ×5, first 2 shown]
	v_lshlrev_b32_e32 v2, 3, v199
	v_lshlrev_b32_e32 v36, 3, v198
	;; [unrolled: 1-line block ×15, first 2 shown]
	v_add3_u32 v49, v2, v36, v37
	v_add3_u32 v52, v52, v53, v56
	;; [unrolled: 1-line block ×5, first 2 shown]
	v_cmp_lt_u32_e32 vcc_lo, v1, v162
	ds_store_b64 v49, v[54:55] offset:1024
	ds_store_b64 v52, v[50:51] offset:1024
	;; [unrolled: 1-line block ×5, first 2 shown]
	s_wait_loadcnt_dscnt 0x0
	s_barrier_signal -1
	s_barrier_wait -1
	global_inv scope:SCOPE_SE
	s_and_saveexec_b32 s16, vcc_lo
	s_cbranch_execnz .LBB1153_540
; %bb.472:                              ;   in Loop: Header=BB1153_393 Depth=2
	s_wait_alu 0xfffe
	s_or_b32 exec_lo, exec_lo, s16
	v_cmp_lt_u32_e64 s15, v77, v162
	s_and_saveexec_b32 s17, s15
	s_cbranch_execnz .LBB1153_541
.LBB1153_473:                           ;   in Loop: Header=BB1153_393 Depth=2
	s_wait_alu 0xfffe
	s_or_b32 exec_lo, exec_lo, s17
	v_cmp_lt_u32_e64 s16, v78, v162
	s_and_saveexec_b32 s18, s16
	s_cbranch_execnz .LBB1153_542
.LBB1153_474:                           ;   in Loop: Header=BB1153_393 Depth=2
	s_wait_alu 0xfffe
	s_or_b32 exec_lo, exec_lo, s18
	v_cmp_lt_u32_e64 s17, v79, v162
	s_and_saveexec_b32 s19, s17
	s_cbranch_execnz .LBB1153_543
.LBB1153_475:                           ;   in Loop: Header=BB1153_393 Depth=2
	s_wait_alu 0xfffe
	s_or_b32 exec_lo, exec_lo, s19
	v_cmp_lt_u32_e64 s18, v82, v162
	s_and_saveexec_b32 s20, s18
	s_cbranch_execnz .LBB1153_544
.LBB1153_476:                           ;   in Loop: Header=BB1153_393 Depth=2
	s_wait_alu 0xfffe
	s_or_b32 exec_lo, exec_lo, s20
	v_cmp_lt_u32_e64 s19, v83, v162
	s_and_saveexec_b32 s21, s19
	s_cbranch_execnz .LBB1153_545
.LBB1153_477:                           ;   in Loop: Header=BB1153_393 Depth=2
	s_wait_alu 0xfffe
	s_or_b32 exec_lo, exec_lo, s21
	v_cmp_lt_u32_e64 s20, v84, v162
	s_and_saveexec_b32 s22, s20
	s_cbranch_execnz .LBB1153_546
.LBB1153_478:                           ;   in Loop: Header=BB1153_393 Depth=2
	s_wait_alu 0xfffe
	s_or_b32 exec_lo, exec_lo, s22
	v_cmp_lt_u32_e64 s21, v85, v162
	s_and_saveexec_b32 s23, s21
	s_cbranch_execnz .LBB1153_547
.LBB1153_479:                           ;   in Loop: Header=BB1153_393 Depth=2
	s_wait_alu 0xfffe
	s_or_b32 exec_lo, exec_lo, s23
	v_cmp_lt_u32_e64 s22, v86, v162
	s_and_saveexec_b32 s24, s22
	s_cbranch_execnz .LBB1153_548
.LBB1153_480:                           ;   in Loop: Header=BB1153_393 Depth=2
	s_wait_alu 0xfffe
	s_or_b32 exec_lo, exec_lo, s24
	v_cmp_lt_u32_e64 s23, v87, v162
	s_and_saveexec_b32 s25, s23
	s_cbranch_execnz .LBB1153_549
.LBB1153_481:                           ;   in Loop: Header=BB1153_393 Depth=2
	s_wait_alu 0xfffe
	s_or_b32 exec_lo, exec_lo, s25
	v_cmp_lt_u32_e64 s24, v88, v162
	s_and_saveexec_b32 s26, s24
	s_cbranch_execnz .LBB1153_550
.LBB1153_482:                           ;   in Loop: Header=BB1153_393 Depth=2
	s_wait_alu 0xfffe
	s_or_b32 exec_lo, exec_lo, s26
	v_cmp_lt_u32_e64 s25, v89, v162
	s_and_saveexec_b32 s27, s25
	s_cbranch_execnz .LBB1153_551
.LBB1153_483:                           ;   in Loop: Header=BB1153_393 Depth=2
	s_wait_alu 0xfffe
	s_or_b32 exec_lo, exec_lo, s27
	v_cmp_lt_u32_e64 s26, v90, v162
	s_and_saveexec_b32 s28, s26
	s_cbranch_execnz .LBB1153_552
.LBB1153_484:                           ;   in Loop: Header=BB1153_393 Depth=2
	s_wait_alu 0xfffe
	s_or_b32 exec_lo, exec_lo, s28
	v_cmp_lt_u32_e64 s27, v91, v162
	s_and_saveexec_b32 s29, s27
	s_cbranch_execnz .LBB1153_553
.LBB1153_485:                           ;   in Loop: Header=BB1153_393 Depth=2
	s_wait_alu 0xfffe
	s_or_b32 exec_lo, exec_lo, s29
	v_cmp_lt_u32_e64 s28, v92, v162
	s_and_saveexec_b32 s30, s28
	s_cbranch_execnz .LBB1153_554
.LBB1153_486:                           ;   in Loop: Header=BB1153_393 Depth=2
	s_wait_alu 0xfffe
	s_or_b32 exec_lo, exec_lo, s30
	v_cmp_lt_u32_e64 s29, v93, v162
	s_and_saveexec_b32 s43, s29
	s_cbranch_execz .LBB1153_488
.LBB1153_487:                           ;   in Loop: Header=BB1153_393 Depth=2
	ds_load_b64 v[36:37], v108 offset:31744
	s_wait_dscnt 0x0
	v_cmp_ne_u64_e64 s30, s[34:35], v[36:37]
	s_wait_alu 0xf1ff
	s_delay_alu instid0(VALU_DEP_1) | instskip(SKIP_2) | instid1(VALU_DEP_2)
	v_cndmask_b32_e64 v43, 0x7fffffff, v37, s30
	v_cndmask_b32_e64 v42, -1, v36, s30
	v_cmp_gt_i64_e64 s30, 0, v[36:37]
	v_lshrrev_b64 v[42:43], s48, v[42:43]
	s_wait_alu 0xf1ff
	s_delay_alu instid0(VALU_DEP_2) | instskip(NEXT) | instid1(VALU_DEP_2)
	v_cndmask_b32_e64 v44, 0x7fffffff, 0, s30
	v_and_b32_e32 v2, s57, v42
	v_ashrrev_i32_e32 v42, 31, v37
	s_delay_alu instid0(VALU_DEP_3) | instskip(NEXT) | instid1(VALU_DEP_3)
	v_xor_b32_e32 v37, v44, v37
	v_lshlrev_b32_e32 v2, 2, v2
	s_delay_alu instid0(VALU_DEP_3) | instskip(SKIP_4) | instid1(VALU_DEP_1)
	v_not_b32_e32 v45, v42
	ds_load_b32 v2, v2
	v_xor_b32_e32 v36, v45, v36
	s_wait_dscnt 0x0
	v_add_nc_u32_e32 v2, v2, v93
	v_lshlrev_b64_e32 v[42:43], 3, v[2:3]
	s_delay_alu instid0(VALU_DEP_1) | instskip(SKIP_1) | instid1(VALU_DEP_2)
	v_add_co_u32 v42, s30, s40, v42
	s_wait_alu 0xf1ff
	v_add_co_ci_u32_e64 v43, null, s41, v43, s30
	global_store_b64 v[42:43], v[36:37], off
.LBB1153_488:                           ;   in Loop: Header=BB1153_393 Depth=2
	s_wait_alu 0xfffe
	s_or_b32 exec_lo, exec_lo, s43
	s_mov_b32 s43, s34
	s_wait_alu 0xfffe
	s_lshl_b64 s[42:43], s[42:43], 3
	s_wait_alu 0xfffe
	v_add_co_u32 v36, s30, v126, s42
	s_wait_alu 0xf1ff
	v_add_co_ci_u32_e64 v37, null, s43, v127, s30
	v_cmp_lt_u32_e64 s30, v125, v162
	s_and_saveexec_b32 s42, s30
	s_wait_alu 0xfffe
	s_xor_b32 s30, exec_lo, s42
	s_cbranch_execnz .LBB1153_555
; %bb.489:                              ;   in Loop: Header=BB1153_393 Depth=2
	s_wait_alu 0xfffe
	s_or_b32 exec_lo, exec_lo, s30
	s_delay_alu instid0(SALU_CYCLE_1)
	s_mov_b32 s42, exec_lo
	v_cmpx_lt_u32_e64 v128, v162
	s_cbranch_execnz .LBB1153_556
.LBB1153_490:                           ;   in Loop: Header=BB1153_393 Depth=2
	s_wait_alu 0xfffe
	s_or_b32 exec_lo, exec_lo, s42
	s_delay_alu instid0(SALU_CYCLE_1)
	s_mov_b32 s42, exec_lo
	v_cmpx_lt_u32_e64 v129, v162
	s_cbranch_execnz .LBB1153_557
.LBB1153_491:                           ;   in Loop: Header=BB1153_393 Depth=2
	s_wait_alu 0xfffe
	s_or_b32 exec_lo, exec_lo, s42
	s_delay_alu instid0(SALU_CYCLE_1)
	s_mov_b32 s42, exec_lo
	v_cmpx_lt_u32_e64 v130, v162
	s_cbranch_execnz .LBB1153_558
.LBB1153_492:                           ;   in Loop: Header=BB1153_393 Depth=2
	s_wait_alu 0xfffe
	s_or_b32 exec_lo, exec_lo, s42
	s_delay_alu instid0(SALU_CYCLE_1)
	s_mov_b32 s42, exec_lo
	v_cmpx_lt_u32_e64 v131, v162
	s_cbranch_execnz .LBB1153_559
.LBB1153_493:                           ;   in Loop: Header=BB1153_393 Depth=2
	s_wait_alu 0xfffe
	s_or_b32 exec_lo, exec_lo, s42
	s_delay_alu instid0(SALU_CYCLE_1)
	s_mov_b32 s42, exec_lo
	v_cmpx_lt_u32_e64 v132, v162
	s_cbranch_execnz .LBB1153_560
.LBB1153_494:                           ;   in Loop: Header=BB1153_393 Depth=2
	s_wait_alu 0xfffe
	s_or_b32 exec_lo, exec_lo, s42
	s_delay_alu instid0(SALU_CYCLE_1)
	s_mov_b32 s42, exec_lo
	v_cmpx_lt_u32_e64 v133, v162
	s_cbranch_execnz .LBB1153_561
.LBB1153_495:                           ;   in Loop: Header=BB1153_393 Depth=2
	s_wait_alu 0xfffe
	s_or_b32 exec_lo, exec_lo, s42
	s_delay_alu instid0(SALU_CYCLE_1)
	s_mov_b32 s42, exec_lo
	v_cmpx_lt_u32_e64 v134, v162
	s_cbranch_execnz .LBB1153_562
.LBB1153_496:                           ;   in Loop: Header=BB1153_393 Depth=2
	s_wait_alu 0xfffe
	s_or_b32 exec_lo, exec_lo, s42
	s_delay_alu instid0(SALU_CYCLE_1)
	s_mov_b32 s42, exec_lo
	v_cmpx_lt_u32_e64 v135, v162
	s_cbranch_execnz .LBB1153_563
.LBB1153_497:                           ;   in Loop: Header=BB1153_393 Depth=2
	s_wait_alu 0xfffe
	s_or_b32 exec_lo, exec_lo, s42
	s_delay_alu instid0(SALU_CYCLE_1)
	s_mov_b32 s42, exec_lo
	v_cmpx_lt_u32_e64 v136, v162
	s_cbranch_execnz .LBB1153_564
.LBB1153_498:                           ;   in Loop: Header=BB1153_393 Depth=2
	s_wait_alu 0xfffe
	s_or_b32 exec_lo, exec_lo, s42
	s_delay_alu instid0(SALU_CYCLE_1)
	s_mov_b32 s42, exec_lo
	v_cmpx_lt_u32_e64 v137, v162
	s_cbranch_execnz .LBB1153_565
.LBB1153_499:                           ;   in Loop: Header=BB1153_393 Depth=2
	s_wait_alu 0xfffe
	s_or_b32 exec_lo, exec_lo, s42
	s_delay_alu instid0(SALU_CYCLE_1)
	s_mov_b32 s42, exec_lo
	v_cmpx_lt_u32_e64 v138, v162
	s_cbranch_execnz .LBB1153_566
.LBB1153_500:                           ;   in Loop: Header=BB1153_393 Depth=2
	s_wait_alu 0xfffe
	s_or_b32 exec_lo, exec_lo, s42
	s_delay_alu instid0(SALU_CYCLE_1)
	s_mov_b32 s42, exec_lo
	v_cmpx_lt_u32_e64 v139, v162
	s_cbranch_execnz .LBB1153_567
.LBB1153_501:                           ;   in Loop: Header=BB1153_393 Depth=2
	s_wait_alu 0xfffe
	s_or_b32 exec_lo, exec_lo, s42
	s_delay_alu instid0(SALU_CYCLE_1)
	s_mov_b32 s42, exec_lo
	v_cmpx_lt_u32_e64 v140, v162
	s_cbranch_execnz .LBB1153_568
.LBB1153_502:                           ;   in Loop: Header=BB1153_393 Depth=2
	s_wait_alu 0xfffe
	s_or_b32 exec_lo, exec_lo, s42
	s_delay_alu instid0(SALU_CYCLE_1)
	s_mov_b32 s42, exec_lo
	v_cmpx_lt_u32_e64 v141, v162
	s_cbranch_execnz .LBB1153_569
.LBB1153_503:                           ;   in Loop: Header=BB1153_393 Depth=2
	s_wait_alu 0xfffe
	s_or_b32 exec_lo, exec_lo, s42
	s_delay_alu instid0(SALU_CYCLE_1)
	s_mov_b32 s42, exec_lo
	v_cmpx_lt_u32_e64 v142, v162
	s_cbranch_execnz .LBB1153_570
.LBB1153_504:                           ;   in Loop: Header=BB1153_393 Depth=2
	s_wait_alu 0xfffe
	s_or_b32 exec_lo, exec_lo, s42
	s_and_saveexec_b32 s42, vcc_lo
	s_cbranch_execnz .LBB1153_571
.LBB1153_505:                           ;   in Loop: Header=BB1153_393 Depth=2
	s_wait_alu 0xfffe
	s_or_b32 exec_lo, exec_lo, s42
	s_and_saveexec_b32 s42, s15
	s_cbranch_execnz .LBB1153_572
.LBB1153_506:                           ;   in Loop: Header=BB1153_393 Depth=2
	s_wait_alu 0xfffe
	s_or_b32 exec_lo, exec_lo, s42
	s_and_saveexec_b32 s42, s16
	s_cbranch_execnz .LBB1153_573
.LBB1153_507:                           ;   in Loop: Header=BB1153_393 Depth=2
	s_wait_alu 0xfffe
	s_or_b32 exec_lo, exec_lo, s42
	s_and_saveexec_b32 s42, s17
	s_cbranch_execnz .LBB1153_574
.LBB1153_508:                           ;   in Loop: Header=BB1153_393 Depth=2
	s_wait_alu 0xfffe
	s_or_b32 exec_lo, exec_lo, s42
	s_and_saveexec_b32 s42, s18
	s_cbranch_execnz .LBB1153_575
.LBB1153_509:                           ;   in Loop: Header=BB1153_393 Depth=2
	s_wait_alu 0xfffe
	s_or_b32 exec_lo, exec_lo, s42
	s_and_saveexec_b32 s42, s19
	s_cbranch_execnz .LBB1153_576
.LBB1153_510:                           ;   in Loop: Header=BB1153_393 Depth=2
	s_wait_alu 0xfffe
	s_or_b32 exec_lo, exec_lo, s42
	s_and_saveexec_b32 s42, s20
	s_cbranch_execnz .LBB1153_577
.LBB1153_511:                           ;   in Loop: Header=BB1153_393 Depth=2
	s_wait_alu 0xfffe
	s_or_b32 exec_lo, exec_lo, s42
	s_and_saveexec_b32 s42, s21
	s_cbranch_execnz .LBB1153_578
.LBB1153_512:                           ;   in Loop: Header=BB1153_393 Depth=2
	s_wait_alu 0xfffe
	s_or_b32 exec_lo, exec_lo, s42
	s_and_saveexec_b32 s42, s22
	s_cbranch_execnz .LBB1153_579
.LBB1153_513:                           ;   in Loop: Header=BB1153_393 Depth=2
	s_wait_alu 0xfffe
	s_or_b32 exec_lo, exec_lo, s42
	s_and_saveexec_b32 s42, s23
	s_cbranch_execnz .LBB1153_580
.LBB1153_514:                           ;   in Loop: Header=BB1153_393 Depth=2
	s_wait_alu 0xfffe
	s_or_b32 exec_lo, exec_lo, s42
	s_and_saveexec_b32 s42, s24
	s_cbranch_execnz .LBB1153_581
.LBB1153_515:                           ;   in Loop: Header=BB1153_393 Depth=2
	s_wait_alu 0xfffe
	s_or_b32 exec_lo, exec_lo, s42
	s_and_saveexec_b32 s42, s25
	s_cbranch_execnz .LBB1153_582
.LBB1153_516:                           ;   in Loop: Header=BB1153_393 Depth=2
	s_wait_alu 0xfffe
	s_or_b32 exec_lo, exec_lo, s42
	s_and_saveexec_b32 s42, s26
	s_cbranch_execnz .LBB1153_583
.LBB1153_517:                           ;   in Loop: Header=BB1153_393 Depth=2
	s_wait_alu 0xfffe
	s_or_b32 exec_lo, exec_lo, s42
	s_and_saveexec_b32 s42, s27
	s_cbranch_execnz .LBB1153_584
.LBB1153_518:                           ;   in Loop: Header=BB1153_393 Depth=2
	s_wait_alu 0xfffe
	s_or_b32 exec_lo, exec_lo, s42
	s_and_saveexec_b32 s42, s28
	s_cbranch_execnz .LBB1153_585
.LBB1153_519:                           ;   in Loop: Header=BB1153_393 Depth=2
	s_wait_alu 0xfffe
	s_or_b32 exec_lo, exec_lo, s42
	s_and_saveexec_b32 s42, s29
	s_cbranch_execz .LBB1153_521
.LBB1153_520:                           ;   in Loop: Header=BB1153_393 Depth=2
	ds_load_b64 v[36:37], v108 offset:31744
	s_wait_dscnt 0x0
	v_cmp_ne_u64_e64 s30, s[34:35], v[36:37]
	s_wait_alu 0xf1ff
	s_delay_alu instid0(VALU_DEP_1) | instskip(SKIP_1) | instid1(VALU_DEP_1)
	v_cndmask_b32_e64 v37, 0x7fffffff, v37, s30
	v_cndmask_b32_e64 v36, -1, v36, s30
	v_lshrrev_b64 v[36:37], s48, v[36:37]
	s_delay_alu instid0(VALU_DEP_1)
	v_and_b32_e32 v146, s57, v36
.LBB1153_521:                           ;   in Loop: Header=BB1153_393 Depth=2
	s_wait_alu 0xfffe
	s_or_b32 exec_lo, exec_lo, s42
	s_wait_loadcnt 0x0
	s_wait_storecnt 0x0
	s_barrier_signal -1
	s_barrier_wait -1
	global_inv scope:SCOPE_SE
	ds_store_b64 v69, v[34:35] offset:1024
	ds_store_b64 v70, v[32:33] offset:1024
	;; [unrolled: 1-line block ×16, first 2 shown]
	s_wait_loadcnt_dscnt 0x0
	s_barrier_signal -1
	s_barrier_wait -1
	global_inv scope:SCOPE_SE
	s_and_saveexec_b32 s30, vcc_lo
	s_cbranch_execnz .LBB1153_586
; %bb.522:                              ;   in Loop: Header=BB1153_393 Depth=2
	s_wait_alu 0xfffe
	s_or_b32 exec_lo, exec_lo, s30
	s_and_saveexec_b32 s30, s15
	s_cbranch_execnz .LBB1153_587
.LBB1153_523:                           ;   in Loop: Header=BB1153_393 Depth=2
	s_wait_alu 0xfffe
	s_or_b32 exec_lo, exec_lo, s30
	s_and_saveexec_b32 s15, s16
	s_cbranch_execnz .LBB1153_588
.LBB1153_524:                           ;   in Loop: Header=BB1153_393 Depth=2
	s_wait_alu 0xfffe
	s_or_b32 exec_lo, exec_lo, s15
	s_and_saveexec_b32 s15, s17
	s_cbranch_execnz .LBB1153_589
.LBB1153_525:                           ;   in Loop: Header=BB1153_393 Depth=2
	s_wait_alu 0xfffe
	s_or_b32 exec_lo, exec_lo, s15
	s_and_saveexec_b32 s15, s18
	s_cbranch_execnz .LBB1153_590
.LBB1153_526:                           ;   in Loop: Header=BB1153_393 Depth=2
	s_wait_alu 0xfffe
	s_or_b32 exec_lo, exec_lo, s15
	s_and_saveexec_b32 s15, s19
	s_cbranch_execnz .LBB1153_591
.LBB1153_527:                           ;   in Loop: Header=BB1153_393 Depth=2
	s_wait_alu 0xfffe
	s_or_b32 exec_lo, exec_lo, s15
	s_and_saveexec_b32 s15, s20
	s_cbranch_execnz .LBB1153_592
.LBB1153_528:                           ;   in Loop: Header=BB1153_393 Depth=2
	s_wait_alu 0xfffe
	s_or_b32 exec_lo, exec_lo, s15
	s_and_saveexec_b32 s15, s21
	s_cbranch_execnz .LBB1153_593
.LBB1153_529:                           ;   in Loop: Header=BB1153_393 Depth=2
	s_wait_alu 0xfffe
	s_or_b32 exec_lo, exec_lo, s15
	s_and_saveexec_b32 s15, s22
	s_cbranch_execnz .LBB1153_594
.LBB1153_530:                           ;   in Loop: Header=BB1153_393 Depth=2
	s_wait_alu 0xfffe
	s_or_b32 exec_lo, exec_lo, s15
	s_and_saveexec_b32 s15, s23
	s_cbranch_execnz .LBB1153_595
.LBB1153_531:                           ;   in Loop: Header=BB1153_393 Depth=2
	s_wait_alu 0xfffe
	s_or_b32 exec_lo, exec_lo, s15
	s_and_saveexec_b32 s15, s24
	s_cbranch_execnz .LBB1153_596
.LBB1153_532:                           ;   in Loop: Header=BB1153_393 Depth=2
	s_wait_alu 0xfffe
	s_or_b32 exec_lo, exec_lo, s15
	s_and_saveexec_b32 s15, s25
	s_cbranch_execnz .LBB1153_597
.LBB1153_533:                           ;   in Loop: Header=BB1153_393 Depth=2
	s_wait_alu 0xfffe
	s_or_b32 exec_lo, exec_lo, s15
	s_and_saveexec_b32 s15, s26
	s_cbranch_execnz .LBB1153_598
.LBB1153_534:                           ;   in Loop: Header=BB1153_393 Depth=2
	s_wait_alu 0xfffe
	s_or_b32 exec_lo, exec_lo, s15
	s_and_saveexec_b32 s15, s27
	s_cbranch_execnz .LBB1153_599
.LBB1153_535:                           ;   in Loop: Header=BB1153_393 Depth=2
	s_wait_alu 0xfffe
	s_or_b32 exec_lo, exec_lo, s15
	s_and_saveexec_b32 s15, s28
	s_cbranch_execnz .LBB1153_600
.LBB1153_536:                           ;   in Loop: Header=BB1153_393 Depth=2
	s_wait_alu 0xfffe
	s_or_b32 exec_lo, exec_lo, s15
	s_and_saveexec_b32 s15, s29
	s_cbranch_execz .LBB1153_538
.LBB1153_537:                           ;   in Loop: Header=BB1153_393 Depth=2
	v_lshlrev_b32_e32 v2, 2, v146
	ds_load_b32 v2, v2
	ds_load_b64 v[36:37], v108 offset:31744
	s_wait_dscnt 0x1
	v_add_nc_u32_e32 v2, v2, v93
	s_delay_alu instid0(VALU_DEP_1) | instskip(NEXT) | instid1(VALU_DEP_1)
	v_lshlrev_b64_e32 v[38:39], 3, v[2:3]
	v_add_co_u32 v38, vcc_lo, s46, v38
	s_wait_alu 0xfffd
	s_delay_alu instid0(VALU_DEP_2)
	v_add_co_ci_u32_e64 v39, null, s47, v39, vcc_lo
	s_wait_dscnt 0x0
	global_store_b64 v[38:39], v[36:37], off
.LBB1153_538:                           ;   in Loop: Header=BB1153_393 Depth=2
	s_wait_alu 0xfffe
	s_or_b32 exec_lo, exec_lo, s15
	s_wait_loadcnt 0x0
	s_wait_storecnt 0x0
	s_barrier_signal -1
	s_barrier_wait -1
	global_inv scope:SCOPE_SE
	s_and_saveexec_b32 s15, s2
	s_cbranch_execz .LBB1153_392
; %bb.539:                              ;   in Loop: Header=BB1153_393 Depth=2
	ds_load_b32 v2, v76
	s_wait_dscnt 0x0
	v_add_nc_u32_e32 v2, v2, v68
	ds_store_b32 v76, v2
	s_branch .LBB1153_392
.LBB1153_540:                           ;   in Loop: Header=BB1153_393 Depth=2
	ds_load_b64 v[36:37], v108 offset:1024
	s_wait_dscnt 0x0
	v_cmp_ne_u64_e64 s15, s[34:35], v[36:37]
	s_wait_alu 0xf1ff
	s_delay_alu instid0(VALU_DEP_1) | instskip(SKIP_2) | instid1(VALU_DEP_2)
	v_cndmask_b32_e64 v43, 0x7fffffff, v37, s15
	v_cndmask_b32_e64 v42, -1, v36, s15
	v_cmp_gt_i64_e64 s15, 0, v[36:37]
	v_lshrrev_b64 v[42:43], s48, v[42:43]
	s_wait_alu 0xf1ff
	s_delay_alu instid0(VALU_DEP_2) | instskip(NEXT) | instid1(VALU_DEP_2)
	v_cndmask_b32_e64 v44, 0x7fffffff, 0, s15
	v_and_b32_e32 v2, s57, v42
	v_ashrrev_i32_e32 v42, 31, v37
	s_delay_alu instid0(VALU_DEP_3) | instskip(NEXT) | instid1(VALU_DEP_3)
	v_xor_b32_e32 v37, v44, v37
	v_lshlrev_b32_e32 v2, 2, v2
	s_delay_alu instid0(VALU_DEP_3) | instskip(SKIP_4) | instid1(VALU_DEP_1)
	v_not_b32_e32 v45, v42
	ds_load_b32 v2, v2
	v_xor_b32_e32 v36, v45, v36
	s_wait_dscnt 0x0
	v_add_nc_u32_e32 v2, v2, v1
	v_lshlrev_b64_e32 v[42:43], 3, v[2:3]
	s_delay_alu instid0(VALU_DEP_1) | instskip(SKIP_1) | instid1(VALU_DEP_2)
	v_add_co_u32 v42, s15, s40, v42
	s_wait_alu 0xf1ff
	v_add_co_ci_u32_e64 v43, null, s41, v43, s15
	global_store_b64 v[42:43], v[36:37], off
	s_wait_alu 0xfffe
	s_or_b32 exec_lo, exec_lo, s16
	v_cmp_lt_u32_e64 s15, v77, v162
	s_and_saveexec_b32 s17, s15
	s_cbranch_execz .LBB1153_473
.LBB1153_541:                           ;   in Loop: Header=BB1153_393 Depth=2
	ds_load_b64 v[36:37], v108 offset:3072
	s_wait_dscnt 0x0
	v_cmp_ne_u64_e64 s16, s[34:35], v[36:37]
	s_wait_alu 0xf1ff
	s_delay_alu instid0(VALU_DEP_1) | instskip(SKIP_2) | instid1(VALU_DEP_2)
	v_cndmask_b32_e64 v43, 0x7fffffff, v37, s16
	v_cndmask_b32_e64 v42, -1, v36, s16
	v_cmp_gt_i64_e64 s16, 0, v[36:37]
	v_lshrrev_b64 v[42:43], s48, v[42:43]
	s_wait_alu 0xf1ff
	s_delay_alu instid0(VALU_DEP_2) | instskip(NEXT) | instid1(VALU_DEP_2)
	v_cndmask_b32_e64 v44, 0x7fffffff, 0, s16
	v_and_b32_e32 v2, s57, v42
	v_ashrrev_i32_e32 v42, 31, v37
	s_delay_alu instid0(VALU_DEP_3) | instskip(NEXT) | instid1(VALU_DEP_3)
	v_xor_b32_e32 v37, v44, v37
	v_lshlrev_b32_e32 v2, 2, v2
	s_delay_alu instid0(VALU_DEP_3) | instskip(SKIP_4) | instid1(VALU_DEP_1)
	v_not_b32_e32 v45, v42
	ds_load_b32 v2, v2
	v_xor_b32_e32 v36, v45, v36
	s_wait_dscnt 0x0
	v_add_nc_u32_e32 v2, v2, v77
	v_lshlrev_b64_e32 v[42:43], 3, v[2:3]
	s_delay_alu instid0(VALU_DEP_1) | instskip(SKIP_1) | instid1(VALU_DEP_2)
	v_add_co_u32 v42, s16, s40, v42
	s_wait_alu 0xf1ff
	v_add_co_ci_u32_e64 v43, null, s41, v43, s16
	global_store_b64 v[42:43], v[36:37], off
	s_wait_alu 0xfffe
	s_or_b32 exec_lo, exec_lo, s17
	v_cmp_lt_u32_e64 s16, v78, v162
	s_and_saveexec_b32 s18, s16
	s_cbranch_execz .LBB1153_474
.LBB1153_542:                           ;   in Loop: Header=BB1153_393 Depth=2
	ds_load_b64 v[36:37], v108 offset:5120
	s_wait_dscnt 0x0
	v_cmp_ne_u64_e64 s17, s[34:35], v[36:37]
	s_wait_alu 0xf1ff
	s_delay_alu instid0(VALU_DEP_1) | instskip(SKIP_2) | instid1(VALU_DEP_2)
	v_cndmask_b32_e64 v43, 0x7fffffff, v37, s17
	v_cndmask_b32_e64 v42, -1, v36, s17
	v_cmp_gt_i64_e64 s17, 0, v[36:37]
	v_lshrrev_b64 v[42:43], s48, v[42:43]
	s_wait_alu 0xf1ff
	s_delay_alu instid0(VALU_DEP_2) | instskip(NEXT) | instid1(VALU_DEP_2)
	v_cndmask_b32_e64 v44, 0x7fffffff, 0, s17
	v_and_b32_e32 v2, s57, v42
	v_ashrrev_i32_e32 v42, 31, v37
	s_delay_alu instid0(VALU_DEP_3) | instskip(NEXT) | instid1(VALU_DEP_3)
	v_xor_b32_e32 v37, v44, v37
	v_lshlrev_b32_e32 v2, 2, v2
	s_delay_alu instid0(VALU_DEP_3) | instskip(SKIP_4) | instid1(VALU_DEP_1)
	v_not_b32_e32 v45, v42
	ds_load_b32 v2, v2
	v_xor_b32_e32 v36, v45, v36
	s_wait_dscnt 0x0
	v_add_nc_u32_e32 v2, v2, v78
	v_lshlrev_b64_e32 v[42:43], 3, v[2:3]
	s_delay_alu instid0(VALU_DEP_1) | instskip(SKIP_1) | instid1(VALU_DEP_2)
	v_add_co_u32 v42, s17, s40, v42
	s_wait_alu 0xf1ff
	v_add_co_ci_u32_e64 v43, null, s41, v43, s17
	global_store_b64 v[42:43], v[36:37], off
	s_wait_alu 0xfffe
	s_or_b32 exec_lo, exec_lo, s18
	v_cmp_lt_u32_e64 s17, v79, v162
	s_and_saveexec_b32 s19, s17
	s_cbranch_execz .LBB1153_475
.LBB1153_543:                           ;   in Loop: Header=BB1153_393 Depth=2
	ds_load_b64 v[36:37], v108 offset:7168
	s_wait_dscnt 0x0
	v_cmp_ne_u64_e64 s18, s[34:35], v[36:37]
	s_wait_alu 0xf1ff
	s_delay_alu instid0(VALU_DEP_1) | instskip(SKIP_2) | instid1(VALU_DEP_2)
	v_cndmask_b32_e64 v43, 0x7fffffff, v37, s18
	v_cndmask_b32_e64 v42, -1, v36, s18
	v_cmp_gt_i64_e64 s18, 0, v[36:37]
	v_lshrrev_b64 v[42:43], s48, v[42:43]
	s_wait_alu 0xf1ff
	s_delay_alu instid0(VALU_DEP_2) | instskip(NEXT) | instid1(VALU_DEP_2)
	v_cndmask_b32_e64 v44, 0x7fffffff, 0, s18
	v_and_b32_e32 v2, s57, v42
	v_ashrrev_i32_e32 v42, 31, v37
	s_delay_alu instid0(VALU_DEP_3) | instskip(NEXT) | instid1(VALU_DEP_3)
	v_xor_b32_e32 v37, v44, v37
	v_lshlrev_b32_e32 v2, 2, v2
	s_delay_alu instid0(VALU_DEP_3) | instskip(SKIP_4) | instid1(VALU_DEP_1)
	v_not_b32_e32 v45, v42
	ds_load_b32 v2, v2
	v_xor_b32_e32 v36, v45, v36
	s_wait_dscnt 0x0
	v_add_nc_u32_e32 v2, v2, v79
	v_lshlrev_b64_e32 v[42:43], 3, v[2:3]
	s_delay_alu instid0(VALU_DEP_1) | instskip(SKIP_1) | instid1(VALU_DEP_2)
	v_add_co_u32 v42, s18, s40, v42
	s_wait_alu 0xf1ff
	v_add_co_ci_u32_e64 v43, null, s41, v43, s18
	global_store_b64 v[42:43], v[36:37], off
	s_wait_alu 0xfffe
	s_or_b32 exec_lo, exec_lo, s19
	v_cmp_lt_u32_e64 s18, v82, v162
	s_and_saveexec_b32 s20, s18
	s_cbranch_execz .LBB1153_476
.LBB1153_544:                           ;   in Loop: Header=BB1153_393 Depth=2
	ds_load_b64 v[36:37], v108 offset:9216
	s_wait_dscnt 0x0
	v_cmp_ne_u64_e64 s19, s[34:35], v[36:37]
	s_wait_alu 0xf1ff
	s_delay_alu instid0(VALU_DEP_1) | instskip(SKIP_2) | instid1(VALU_DEP_2)
	v_cndmask_b32_e64 v43, 0x7fffffff, v37, s19
	v_cndmask_b32_e64 v42, -1, v36, s19
	v_cmp_gt_i64_e64 s19, 0, v[36:37]
	v_lshrrev_b64 v[42:43], s48, v[42:43]
	s_wait_alu 0xf1ff
	s_delay_alu instid0(VALU_DEP_2) | instskip(NEXT) | instid1(VALU_DEP_2)
	v_cndmask_b32_e64 v44, 0x7fffffff, 0, s19
	v_and_b32_e32 v2, s57, v42
	v_ashrrev_i32_e32 v42, 31, v37
	s_delay_alu instid0(VALU_DEP_3) | instskip(NEXT) | instid1(VALU_DEP_3)
	v_xor_b32_e32 v37, v44, v37
	v_lshlrev_b32_e32 v2, 2, v2
	s_delay_alu instid0(VALU_DEP_3) | instskip(SKIP_4) | instid1(VALU_DEP_1)
	v_not_b32_e32 v45, v42
	ds_load_b32 v2, v2
	v_xor_b32_e32 v36, v45, v36
	s_wait_dscnt 0x0
	v_add_nc_u32_e32 v2, v2, v82
	v_lshlrev_b64_e32 v[42:43], 3, v[2:3]
	s_delay_alu instid0(VALU_DEP_1) | instskip(SKIP_1) | instid1(VALU_DEP_2)
	v_add_co_u32 v42, s19, s40, v42
	s_wait_alu 0xf1ff
	v_add_co_ci_u32_e64 v43, null, s41, v43, s19
	global_store_b64 v[42:43], v[36:37], off
	s_wait_alu 0xfffe
	s_or_b32 exec_lo, exec_lo, s20
	v_cmp_lt_u32_e64 s19, v83, v162
	s_and_saveexec_b32 s21, s19
	s_cbranch_execz .LBB1153_477
.LBB1153_545:                           ;   in Loop: Header=BB1153_393 Depth=2
	ds_load_b64 v[36:37], v108 offset:11264
	s_wait_dscnt 0x0
	v_cmp_ne_u64_e64 s20, s[34:35], v[36:37]
	s_wait_alu 0xf1ff
	s_delay_alu instid0(VALU_DEP_1) | instskip(SKIP_2) | instid1(VALU_DEP_2)
	v_cndmask_b32_e64 v43, 0x7fffffff, v37, s20
	v_cndmask_b32_e64 v42, -1, v36, s20
	v_cmp_gt_i64_e64 s20, 0, v[36:37]
	v_lshrrev_b64 v[42:43], s48, v[42:43]
	s_wait_alu 0xf1ff
	s_delay_alu instid0(VALU_DEP_2) | instskip(NEXT) | instid1(VALU_DEP_2)
	v_cndmask_b32_e64 v44, 0x7fffffff, 0, s20
	v_and_b32_e32 v2, s57, v42
	v_ashrrev_i32_e32 v42, 31, v37
	s_delay_alu instid0(VALU_DEP_3) | instskip(NEXT) | instid1(VALU_DEP_3)
	v_xor_b32_e32 v37, v44, v37
	v_lshlrev_b32_e32 v2, 2, v2
	s_delay_alu instid0(VALU_DEP_3) | instskip(SKIP_4) | instid1(VALU_DEP_1)
	v_not_b32_e32 v45, v42
	ds_load_b32 v2, v2
	v_xor_b32_e32 v36, v45, v36
	s_wait_dscnt 0x0
	v_add_nc_u32_e32 v2, v2, v83
	v_lshlrev_b64_e32 v[42:43], 3, v[2:3]
	s_delay_alu instid0(VALU_DEP_1) | instskip(SKIP_1) | instid1(VALU_DEP_2)
	v_add_co_u32 v42, s20, s40, v42
	s_wait_alu 0xf1ff
	v_add_co_ci_u32_e64 v43, null, s41, v43, s20
	global_store_b64 v[42:43], v[36:37], off
	s_wait_alu 0xfffe
	s_or_b32 exec_lo, exec_lo, s21
	v_cmp_lt_u32_e64 s20, v84, v162
	s_and_saveexec_b32 s22, s20
	s_cbranch_execz .LBB1153_478
.LBB1153_546:                           ;   in Loop: Header=BB1153_393 Depth=2
	ds_load_b64 v[36:37], v108 offset:13312
	s_wait_dscnt 0x0
	v_cmp_ne_u64_e64 s21, s[34:35], v[36:37]
	s_wait_alu 0xf1ff
	s_delay_alu instid0(VALU_DEP_1) | instskip(SKIP_2) | instid1(VALU_DEP_2)
	v_cndmask_b32_e64 v43, 0x7fffffff, v37, s21
	v_cndmask_b32_e64 v42, -1, v36, s21
	v_cmp_gt_i64_e64 s21, 0, v[36:37]
	v_lshrrev_b64 v[42:43], s48, v[42:43]
	s_wait_alu 0xf1ff
	s_delay_alu instid0(VALU_DEP_2) | instskip(NEXT) | instid1(VALU_DEP_2)
	v_cndmask_b32_e64 v44, 0x7fffffff, 0, s21
	v_and_b32_e32 v2, s57, v42
	v_ashrrev_i32_e32 v42, 31, v37
	s_delay_alu instid0(VALU_DEP_3) | instskip(NEXT) | instid1(VALU_DEP_3)
	v_xor_b32_e32 v37, v44, v37
	v_lshlrev_b32_e32 v2, 2, v2
	s_delay_alu instid0(VALU_DEP_3) | instskip(SKIP_4) | instid1(VALU_DEP_1)
	v_not_b32_e32 v45, v42
	ds_load_b32 v2, v2
	v_xor_b32_e32 v36, v45, v36
	s_wait_dscnt 0x0
	v_add_nc_u32_e32 v2, v2, v84
	v_lshlrev_b64_e32 v[42:43], 3, v[2:3]
	s_delay_alu instid0(VALU_DEP_1) | instskip(SKIP_1) | instid1(VALU_DEP_2)
	v_add_co_u32 v42, s21, s40, v42
	s_wait_alu 0xf1ff
	v_add_co_ci_u32_e64 v43, null, s41, v43, s21
	global_store_b64 v[42:43], v[36:37], off
	s_wait_alu 0xfffe
	s_or_b32 exec_lo, exec_lo, s22
	v_cmp_lt_u32_e64 s21, v85, v162
	s_and_saveexec_b32 s23, s21
	s_cbranch_execz .LBB1153_479
.LBB1153_547:                           ;   in Loop: Header=BB1153_393 Depth=2
	ds_load_b64 v[36:37], v108 offset:15360
	s_wait_dscnt 0x0
	v_cmp_ne_u64_e64 s22, s[34:35], v[36:37]
	s_wait_alu 0xf1ff
	s_delay_alu instid0(VALU_DEP_1) | instskip(SKIP_2) | instid1(VALU_DEP_2)
	v_cndmask_b32_e64 v43, 0x7fffffff, v37, s22
	v_cndmask_b32_e64 v42, -1, v36, s22
	v_cmp_gt_i64_e64 s22, 0, v[36:37]
	v_lshrrev_b64 v[42:43], s48, v[42:43]
	s_wait_alu 0xf1ff
	s_delay_alu instid0(VALU_DEP_2) | instskip(NEXT) | instid1(VALU_DEP_2)
	v_cndmask_b32_e64 v44, 0x7fffffff, 0, s22
	v_and_b32_e32 v2, s57, v42
	v_ashrrev_i32_e32 v42, 31, v37
	s_delay_alu instid0(VALU_DEP_3) | instskip(NEXT) | instid1(VALU_DEP_3)
	v_xor_b32_e32 v37, v44, v37
	v_lshlrev_b32_e32 v2, 2, v2
	s_delay_alu instid0(VALU_DEP_3) | instskip(SKIP_4) | instid1(VALU_DEP_1)
	v_not_b32_e32 v45, v42
	ds_load_b32 v2, v2
	v_xor_b32_e32 v36, v45, v36
	s_wait_dscnt 0x0
	v_add_nc_u32_e32 v2, v2, v85
	v_lshlrev_b64_e32 v[42:43], 3, v[2:3]
	s_delay_alu instid0(VALU_DEP_1) | instskip(SKIP_1) | instid1(VALU_DEP_2)
	v_add_co_u32 v42, s22, s40, v42
	s_wait_alu 0xf1ff
	v_add_co_ci_u32_e64 v43, null, s41, v43, s22
	global_store_b64 v[42:43], v[36:37], off
	s_wait_alu 0xfffe
	s_or_b32 exec_lo, exec_lo, s23
	v_cmp_lt_u32_e64 s22, v86, v162
	s_and_saveexec_b32 s24, s22
	s_cbranch_execz .LBB1153_480
.LBB1153_548:                           ;   in Loop: Header=BB1153_393 Depth=2
	ds_load_b64 v[36:37], v108 offset:17408
	s_wait_dscnt 0x0
	v_cmp_ne_u64_e64 s23, s[34:35], v[36:37]
	s_wait_alu 0xf1ff
	s_delay_alu instid0(VALU_DEP_1) | instskip(SKIP_2) | instid1(VALU_DEP_2)
	v_cndmask_b32_e64 v43, 0x7fffffff, v37, s23
	v_cndmask_b32_e64 v42, -1, v36, s23
	v_cmp_gt_i64_e64 s23, 0, v[36:37]
	v_lshrrev_b64 v[42:43], s48, v[42:43]
	s_wait_alu 0xf1ff
	s_delay_alu instid0(VALU_DEP_2) | instskip(NEXT) | instid1(VALU_DEP_2)
	v_cndmask_b32_e64 v44, 0x7fffffff, 0, s23
	v_and_b32_e32 v2, s57, v42
	v_ashrrev_i32_e32 v42, 31, v37
	s_delay_alu instid0(VALU_DEP_3) | instskip(NEXT) | instid1(VALU_DEP_3)
	v_xor_b32_e32 v37, v44, v37
	v_lshlrev_b32_e32 v2, 2, v2
	s_delay_alu instid0(VALU_DEP_3) | instskip(SKIP_4) | instid1(VALU_DEP_1)
	v_not_b32_e32 v45, v42
	ds_load_b32 v2, v2
	v_xor_b32_e32 v36, v45, v36
	s_wait_dscnt 0x0
	v_add_nc_u32_e32 v2, v2, v86
	v_lshlrev_b64_e32 v[42:43], 3, v[2:3]
	s_delay_alu instid0(VALU_DEP_1) | instskip(SKIP_1) | instid1(VALU_DEP_2)
	v_add_co_u32 v42, s23, s40, v42
	s_wait_alu 0xf1ff
	v_add_co_ci_u32_e64 v43, null, s41, v43, s23
	global_store_b64 v[42:43], v[36:37], off
	s_wait_alu 0xfffe
	s_or_b32 exec_lo, exec_lo, s24
	v_cmp_lt_u32_e64 s23, v87, v162
	s_and_saveexec_b32 s25, s23
	s_cbranch_execz .LBB1153_481
.LBB1153_549:                           ;   in Loop: Header=BB1153_393 Depth=2
	ds_load_b64 v[36:37], v108 offset:19456
	s_wait_dscnt 0x0
	v_cmp_ne_u64_e64 s24, s[34:35], v[36:37]
	s_wait_alu 0xf1ff
	s_delay_alu instid0(VALU_DEP_1) | instskip(SKIP_2) | instid1(VALU_DEP_2)
	v_cndmask_b32_e64 v43, 0x7fffffff, v37, s24
	v_cndmask_b32_e64 v42, -1, v36, s24
	v_cmp_gt_i64_e64 s24, 0, v[36:37]
	v_lshrrev_b64 v[42:43], s48, v[42:43]
	s_wait_alu 0xf1ff
	s_delay_alu instid0(VALU_DEP_2) | instskip(NEXT) | instid1(VALU_DEP_2)
	v_cndmask_b32_e64 v44, 0x7fffffff, 0, s24
	v_and_b32_e32 v2, s57, v42
	v_ashrrev_i32_e32 v42, 31, v37
	s_delay_alu instid0(VALU_DEP_3) | instskip(NEXT) | instid1(VALU_DEP_3)
	v_xor_b32_e32 v37, v44, v37
	v_lshlrev_b32_e32 v2, 2, v2
	s_delay_alu instid0(VALU_DEP_3) | instskip(SKIP_4) | instid1(VALU_DEP_1)
	v_not_b32_e32 v45, v42
	ds_load_b32 v2, v2
	v_xor_b32_e32 v36, v45, v36
	s_wait_dscnt 0x0
	v_add_nc_u32_e32 v2, v2, v87
	v_lshlrev_b64_e32 v[42:43], 3, v[2:3]
	s_delay_alu instid0(VALU_DEP_1) | instskip(SKIP_1) | instid1(VALU_DEP_2)
	v_add_co_u32 v42, s24, s40, v42
	s_wait_alu 0xf1ff
	v_add_co_ci_u32_e64 v43, null, s41, v43, s24
	global_store_b64 v[42:43], v[36:37], off
	s_wait_alu 0xfffe
	s_or_b32 exec_lo, exec_lo, s25
	v_cmp_lt_u32_e64 s24, v88, v162
	s_and_saveexec_b32 s26, s24
	s_cbranch_execz .LBB1153_482
.LBB1153_550:                           ;   in Loop: Header=BB1153_393 Depth=2
	ds_load_b64 v[36:37], v108 offset:21504
	s_wait_dscnt 0x0
	v_cmp_ne_u64_e64 s25, s[34:35], v[36:37]
	s_wait_alu 0xf1ff
	s_delay_alu instid0(VALU_DEP_1) | instskip(SKIP_2) | instid1(VALU_DEP_2)
	v_cndmask_b32_e64 v43, 0x7fffffff, v37, s25
	v_cndmask_b32_e64 v42, -1, v36, s25
	v_cmp_gt_i64_e64 s25, 0, v[36:37]
	v_lshrrev_b64 v[42:43], s48, v[42:43]
	s_wait_alu 0xf1ff
	s_delay_alu instid0(VALU_DEP_2) | instskip(NEXT) | instid1(VALU_DEP_2)
	v_cndmask_b32_e64 v44, 0x7fffffff, 0, s25
	v_and_b32_e32 v2, s57, v42
	v_ashrrev_i32_e32 v42, 31, v37
	s_delay_alu instid0(VALU_DEP_3) | instskip(NEXT) | instid1(VALU_DEP_3)
	v_xor_b32_e32 v37, v44, v37
	v_lshlrev_b32_e32 v2, 2, v2
	s_delay_alu instid0(VALU_DEP_3) | instskip(SKIP_4) | instid1(VALU_DEP_1)
	v_not_b32_e32 v45, v42
	ds_load_b32 v2, v2
	v_xor_b32_e32 v36, v45, v36
	s_wait_dscnt 0x0
	v_add_nc_u32_e32 v2, v2, v88
	v_lshlrev_b64_e32 v[42:43], 3, v[2:3]
	s_delay_alu instid0(VALU_DEP_1) | instskip(SKIP_1) | instid1(VALU_DEP_2)
	v_add_co_u32 v42, s25, s40, v42
	s_wait_alu 0xf1ff
	v_add_co_ci_u32_e64 v43, null, s41, v43, s25
	global_store_b64 v[42:43], v[36:37], off
	s_wait_alu 0xfffe
	s_or_b32 exec_lo, exec_lo, s26
	v_cmp_lt_u32_e64 s25, v89, v162
	s_and_saveexec_b32 s27, s25
	s_cbranch_execz .LBB1153_483
.LBB1153_551:                           ;   in Loop: Header=BB1153_393 Depth=2
	ds_load_b64 v[36:37], v108 offset:23552
	s_wait_dscnt 0x0
	v_cmp_ne_u64_e64 s26, s[34:35], v[36:37]
	s_wait_alu 0xf1ff
	s_delay_alu instid0(VALU_DEP_1) | instskip(SKIP_2) | instid1(VALU_DEP_2)
	v_cndmask_b32_e64 v43, 0x7fffffff, v37, s26
	v_cndmask_b32_e64 v42, -1, v36, s26
	v_cmp_gt_i64_e64 s26, 0, v[36:37]
	v_lshrrev_b64 v[42:43], s48, v[42:43]
	s_wait_alu 0xf1ff
	s_delay_alu instid0(VALU_DEP_2) | instskip(NEXT) | instid1(VALU_DEP_2)
	v_cndmask_b32_e64 v44, 0x7fffffff, 0, s26
	v_and_b32_e32 v2, s57, v42
	v_ashrrev_i32_e32 v42, 31, v37
	s_delay_alu instid0(VALU_DEP_3) | instskip(NEXT) | instid1(VALU_DEP_3)
	v_xor_b32_e32 v37, v44, v37
	v_lshlrev_b32_e32 v2, 2, v2
	s_delay_alu instid0(VALU_DEP_3) | instskip(SKIP_4) | instid1(VALU_DEP_1)
	v_not_b32_e32 v45, v42
	ds_load_b32 v2, v2
	v_xor_b32_e32 v36, v45, v36
	s_wait_dscnt 0x0
	v_add_nc_u32_e32 v2, v2, v89
	v_lshlrev_b64_e32 v[42:43], 3, v[2:3]
	s_delay_alu instid0(VALU_DEP_1) | instskip(SKIP_1) | instid1(VALU_DEP_2)
	v_add_co_u32 v42, s26, s40, v42
	s_wait_alu 0xf1ff
	v_add_co_ci_u32_e64 v43, null, s41, v43, s26
	global_store_b64 v[42:43], v[36:37], off
	s_wait_alu 0xfffe
	s_or_b32 exec_lo, exec_lo, s27
	v_cmp_lt_u32_e64 s26, v90, v162
	s_and_saveexec_b32 s28, s26
	s_cbranch_execz .LBB1153_484
.LBB1153_552:                           ;   in Loop: Header=BB1153_393 Depth=2
	ds_load_b64 v[36:37], v108 offset:25600
	s_wait_dscnt 0x0
	v_cmp_ne_u64_e64 s27, s[34:35], v[36:37]
	s_wait_alu 0xf1ff
	s_delay_alu instid0(VALU_DEP_1) | instskip(SKIP_2) | instid1(VALU_DEP_2)
	v_cndmask_b32_e64 v43, 0x7fffffff, v37, s27
	v_cndmask_b32_e64 v42, -1, v36, s27
	v_cmp_gt_i64_e64 s27, 0, v[36:37]
	v_lshrrev_b64 v[42:43], s48, v[42:43]
	s_wait_alu 0xf1ff
	s_delay_alu instid0(VALU_DEP_2) | instskip(NEXT) | instid1(VALU_DEP_2)
	v_cndmask_b32_e64 v44, 0x7fffffff, 0, s27
	v_and_b32_e32 v2, s57, v42
	v_ashrrev_i32_e32 v42, 31, v37
	s_delay_alu instid0(VALU_DEP_3) | instskip(NEXT) | instid1(VALU_DEP_3)
	v_xor_b32_e32 v37, v44, v37
	v_lshlrev_b32_e32 v2, 2, v2
	s_delay_alu instid0(VALU_DEP_3) | instskip(SKIP_4) | instid1(VALU_DEP_1)
	v_not_b32_e32 v45, v42
	ds_load_b32 v2, v2
	v_xor_b32_e32 v36, v45, v36
	s_wait_dscnt 0x0
	v_add_nc_u32_e32 v2, v2, v90
	v_lshlrev_b64_e32 v[42:43], 3, v[2:3]
	s_delay_alu instid0(VALU_DEP_1) | instskip(SKIP_1) | instid1(VALU_DEP_2)
	v_add_co_u32 v42, s27, s40, v42
	s_wait_alu 0xf1ff
	v_add_co_ci_u32_e64 v43, null, s41, v43, s27
	global_store_b64 v[42:43], v[36:37], off
	s_wait_alu 0xfffe
	s_or_b32 exec_lo, exec_lo, s28
	v_cmp_lt_u32_e64 s27, v91, v162
	s_and_saveexec_b32 s29, s27
	s_cbranch_execz .LBB1153_485
.LBB1153_553:                           ;   in Loop: Header=BB1153_393 Depth=2
	ds_load_b64 v[36:37], v108 offset:27648
	s_wait_dscnt 0x0
	v_cmp_ne_u64_e64 s28, s[34:35], v[36:37]
	s_wait_alu 0xf1ff
	s_delay_alu instid0(VALU_DEP_1) | instskip(SKIP_2) | instid1(VALU_DEP_2)
	v_cndmask_b32_e64 v43, 0x7fffffff, v37, s28
	v_cndmask_b32_e64 v42, -1, v36, s28
	v_cmp_gt_i64_e64 s28, 0, v[36:37]
	v_lshrrev_b64 v[42:43], s48, v[42:43]
	s_wait_alu 0xf1ff
	s_delay_alu instid0(VALU_DEP_2) | instskip(NEXT) | instid1(VALU_DEP_2)
	v_cndmask_b32_e64 v44, 0x7fffffff, 0, s28
	v_and_b32_e32 v2, s57, v42
	v_ashrrev_i32_e32 v42, 31, v37
	s_delay_alu instid0(VALU_DEP_3) | instskip(NEXT) | instid1(VALU_DEP_3)
	v_xor_b32_e32 v37, v44, v37
	v_lshlrev_b32_e32 v2, 2, v2
	s_delay_alu instid0(VALU_DEP_3) | instskip(SKIP_4) | instid1(VALU_DEP_1)
	v_not_b32_e32 v45, v42
	ds_load_b32 v2, v2
	v_xor_b32_e32 v36, v45, v36
	s_wait_dscnt 0x0
	v_add_nc_u32_e32 v2, v2, v91
	v_lshlrev_b64_e32 v[42:43], 3, v[2:3]
	s_delay_alu instid0(VALU_DEP_1) | instskip(SKIP_1) | instid1(VALU_DEP_2)
	v_add_co_u32 v42, s28, s40, v42
	s_wait_alu 0xf1ff
	v_add_co_ci_u32_e64 v43, null, s41, v43, s28
	global_store_b64 v[42:43], v[36:37], off
	s_wait_alu 0xfffe
	s_or_b32 exec_lo, exec_lo, s29
	v_cmp_lt_u32_e64 s28, v92, v162
	s_and_saveexec_b32 s30, s28
	s_cbranch_execz .LBB1153_486
.LBB1153_554:                           ;   in Loop: Header=BB1153_393 Depth=2
	ds_load_b64 v[36:37], v108 offset:29696
	s_wait_dscnt 0x0
	v_cmp_ne_u64_e64 s29, s[34:35], v[36:37]
	s_wait_alu 0xf1ff
	s_delay_alu instid0(VALU_DEP_1) | instskip(SKIP_2) | instid1(VALU_DEP_2)
	v_cndmask_b32_e64 v43, 0x7fffffff, v37, s29
	v_cndmask_b32_e64 v42, -1, v36, s29
	v_cmp_gt_i64_e64 s29, 0, v[36:37]
	v_lshrrev_b64 v[42:43], s48, v[42:43]
	s_wait_alu 0xf1ff
	s_delay_alu instid0(VALU_DEP_2) | instskip(NEXT) | instid1(VALU_DEP_2)
	v_cndmask_b32_e64 v44, 0x7fffffff, 0, s29
	v_and_b32_e32 v2, s57, v42
	v_ashrrev_i32_e32 v42, 31, v37
	s_delay_alu instid0(VALU_DEP_3) | instskip(NEXT) | instid1(VALU_DEP_3)
	v_xor_b32_e32 v37, v44, v37
	v_lshlrev_b32_e32 v2, 2, v2
	s_delay_alu instid0(VALU_DEP_3) | instskip(SKIP_4) | instid1(VALU_DEP_1)
	v_not_b32_e32 v45, v42
	ds_load_b32 v2, v2
	v_xor_b32_e32 v36, v45, v36
	s_wait_dscnt 0x0
	v_add_nc_u32_e32 v2, v2, v92
	v_lshlrev_b64_e32 v[42:43], 3, v[2:3]
	s_delay_alu instid0(VALU_DEP_1) | instskip(SKIP_1) | instid1(VALU_DEP_2)
	v_add_co_u32 v42, s29, s40, v42
	s_wait_alu 0xf1ff
	v_add_co_ci_u32_e64 v43, null, s41, v43, s29
	global_store_b64 v[42:43], v[36:37], off
	s_wait_alu 0xfffe
	s_or_b32 exec_lo, exec_lo, s30
	v_cmp_lt_u32_e64 s29, v93, v162
	s_and_saveexec_b32 s43, s29
	s_cbranch_execnz .LBB1153_487
	s_branch .LBB1153_488
.LBB1153_555:                           ;   in Loop: Header=BB1153_393 Depth=2
	global_load_b64 v[34:35], v[36:37], off
	s_wait_alu 0xfffe
	s_or_b32 exec_lo, exec_lo, s30
	s_delay_alu instid0(SALU_CYCLE_1)
	s_mov_b32 s42, exec_lo
	v_cmpx_lt_u32_e64 v128, v162
	s_cbranch_execz .LBB1153_490
.LBB1153_556:                           ;   in Loop: Header=BB1153_393 Depth=2
	global_load_b64 v[32:33], v[36:37], off offset:256
	s_wait_alu 0xfffe
	s_or_b32 exec_lo, exec_lo, s42
	s_delay_alu instid0(SALU_CYCLE_1)
	s_mov_b32 s42, exec_lo
	v_cmpx_lt_u32_e64 v129, v162
	s_cbranch_execz .LBB1153_491
.LBB1153_557:                           ;   in Loop: Header=BB1153_393 Depth=2
	global_load_b64 v[30:31], v[36:37], off offset:512
	s_wait_alu 0xfffe
	s_or_b32 exec_lo, exec_lo, s42
	s_delay_alu instid0(SALU_CYCLE_1)
	s_mov_b32 s42, exec_lo
	v_cmpx_lt_u32_e64 v130, v162
	s_cbranch_execz .LBB1153_492
.LBB1153_558:                           ;   in Loop: Header=BB1153_393 Depth=2
	global_load_b64 v[28:29], v[36:37], off offset:768
	s_wait_alu 0xfffe
	s_or_b32 exec_lo, exec_lo, s42
	s_delay_alu instid0(SALU_CYCLE_1)
	s_mov_b32 s42, exec_lo
	v_cmpx_lt_u32_e64 v131, v162
	s_cbranch_execz .LBB1153_493
.LBB1153_559:                           ;   in Loop: Header=BB1153_393 Depth=2
	global_load_b64 v[26:27], v[36:37], off offset:1024
	s_wait_alu 0xfffe
	s_or_b32 exec_lo, exec_lo, s42
	s_delay_alu instid0(SALU_CYCLE_1)
	s_mov_b32 s42, exec_lo
	v_cmpx_lt_u32_e64 v132, v162
	s_cbranch_execz .LBB1153_494
.LBB1153_560:                           ;   in Loop: Header=BB1153_393 Depth=2
	global_load_b64 v[24:25], v[36:37], off offset:1280
	s_wait_alu 0xfffe
	s_or_b32 exec_lo, exec_lo, s42
	s_delay_alu instid0(SALU_CYCLE_1)
	s_mov_b32 s42, exec_lo
	v_cmpx_lt_u32_e64 v133, v162
	s_cbranch_execz .LBB1153_495
.LBB1153_561:                           ;   in Loop: Header=BB1153_393 Depth=2
	global_load_b64 v[22:23], v[36:37], off offset:1536
	s_wait_alu 0xfffe
	s_or_b32 exec_lo, exec_lo, s42
	s_delay_alu instid0(SALU_CYCLE_1)
	s_mov_b32 s42, exec_lo
	v_cmpx_lt_u32_e64 v134, v162
	s_cbranch_execz .LBB1153_496
.LBB1153_562:                           ;   in Loop: Header=BB1153_393 Depth=2
	global_load_b64 v[20:21], v[36:37], off offset:1792
	s_wait_alu 0xfffe
	s_or_b32 exec_lo, exec_lo, s42
	s_delay_alu instid0(SALU_CYCLE_1)
	s_mov_b32 s42, exec_lo
	v_cmpx_lt_u32_e64 v135, v162
	s_cbranch_execz .LBB1153_497
.LBB1153_563:                           ;   in Loop: Header=BB1153_393 Depth=2
	global_load_b64 v[18:19], v[36:37], off offset:2048
	s_wait_alu 0xfffe
	s_or_b32 exec_lo, exec_lo, s42
	s_delay_alu instid0(SALU_CYCLE_1)
	s_mov_b32 s42, exec_lo
	v_cmpx_lt_u32_e64 v136, v162
	s_cbranch_execz .LBB1153_498
.LBB1153_564:                           ;   in Loop: Header=BB1153_393 Depth=2
	global_load_b64 v[16:17], v[36:37], off offset:2304
	s_wait_alu 0xfffe
	s_or_b32 exec_lo, exec_lo, s42
	s_delay_alu instid0(SALU_CYCLE_1)
	s_mov_b32 s42, exec_lo
	v_cmpx_lt_u32_e64 v137, v162
	s_cbranch_execz .LBB1153_499
.LBB1153_565:                           ;   in Loop: Header=BB1153_393 Depth=2
	global_load_b64 v[14:15], v[36:37], off offset:2560
	s_wait_alu 0xfffe
	s_or_b32 exec_lo, exec_lo, s42
	s_delay_alu instid0(SALU_CYCLE_1)
	s_mov_b32 s42, exec_lo
	v_cmpx_lt_u32_e64 v138, v162
	s_cbranch_execz .LBB1153_500
.LBB1153_566:                           ;   in Loop: Header=BB1153_393 Depth=2
	global_load_b64 v[12:13], v[36:37], off offset:2816
	s_wait_alu 0xfffe
	s_or_b32 exec_lo, exec_lo, s42
	s_delay_alu instid0(SALU_CYCLE_1)
	s_mov_b32 s42, exec_lo
	v_cmpx_lt_u32_e64 v139, v162
	s_cbranch_execz .LBB1153_501
.LBB1153_567:                           ;   in Loop: Header=BB1153_393 Depth=2
	global_load_b64 v[10:11], v[36:37], off offset:3072
	s_wait_alu 0xfffe
	s_or_b32 exec_lo, exec_lo, s42
	s_delay_alu instid0(SALU_CYCLE_1)
	s_mov_b32 s42, exec_lo
	v_cmpx_lt_u32_e64 v140, v162
	s_cbranch_execz .LBB1153_502
.LBB1153_568:                           ;   in Loop: Header=BB1153_393 Depth=2
	global_load_b64 v[8:9], v[36:37], off offset:3328
	s_wait_alu 0xfffe
	s_or_b32 exec_lo, exec_lo, s42
	s_delay_alu instid0(SALU_CYCLE_1)
	s_mov_b32 s42, exec_lo
	v_cmpx_lt_u32_e64 v141, v162
	s_cbranch_execz .LBB1153_503
.LBB1153_569:                           ;   in Loop: Header=BB1153_393 Depth=2
	global_load_b64 v[6:7], v[36:37], off offset:3584
	s_wait_alu 0xfffe
	s_or_b32 exec_lo, exec_lo, s42
	s_delay_alu instid0(SALU_CYCLE_1)
	s_mov_b32 s42, exec_lo
	v_cmpx_lt_u32_e64 v142, v162
	s_cbranch_execz .LBB1153_504
.LBB1153_570:                           ;   in Loop: Header=BB1153_393 Depth=2
	global_load_b64 v[4:5], v[36:37], off offset:3840
	s_wait_alu 0xfffe
	s_or_b32 exec_lo, exec_lo, s42
	s_and_saveexec_b32 s42, vcc_lo
	s_cbranch_execz .LBB1153_505
.LBB1153_571:                           ;   in Loop: Header=BB1153_393 Depth=2
	ds_load_b64 v[36:37], v108 offset:1024
	s_wait_dscnt 0x0
	v_cmp_ne_u64_e64 s30, s[34:35], v[36:37]
	s_wait_alu 0xf1ff
	s_delay_alu instid0(VALU_DEP_1) | instskip(SKIP_1) | instid1(VALU_DEP_1)
	v_cndmask_b32_e64 v37, 0x7fffffff, v37, s30
	v_cndmask_b32_e64 v36, -1, v36, s30
	v_lshrrev_b64 v[36:37], s48, v[36:37]
	s_delay_alu instid0(VALU_DEP_1)
	v_and_b32_e32 v161, s57, v36
	s_wait_alu 0xfffe
	s_or_b32 exec_lo, exec_lo, s42
	s_and_saveexec_b32 s42, s15
	s_cbranch_execz .LBB1153_506
.LBB1153_572:                           ;   in Loop: Header=BB1153_393 Depth=2
	ds_load_b64 v[36:37], v108 offset:3072
	s_wait_dscnt 0x0
	v_cmp_ne_u64_e64 s30, s[34:35], v[36:37]
	s_wait_alu 0xf1ff
	s_delay_alu instid0(VALU_DEP_1) | instskip(SKIP_1) | instid1(VALU_DEP_1)
	v_cndmask_b32_e64 v37, 0x7fffffff, v37, s30
	v_cndmask_b32_e64 v36, -1, v36, s30
	v_lshrrev_b64 v[36:37], s48, v[36:37]
	s_delay_alu instid0(VALU_DEP_1)
	v_and_b32_e32 v160, s57, v36
	s_wait_alu 0xfffe
	s_or_b32 exec_lo, exec_lo, s42
	s_and_saveexec_b32 s42, s16
	s_cbranch_execz .LBB1153_507
.LBB1153_573:                           ;   in Loop: Header=BB1153_393 Depth=2
	ds_load_b64 v[36:37], v108 offset:5120
	s_wait_dscnt 0x0
	v_cmp_ne_u64_e64 s30, s[34:35], v[36:37]
	s_wait_alu 0xf1ff
	s_delay_alu instid0(VALU_DEP_1) | instskip(SKIP_1) | instid1(VALU_DEP_1)
	v_cndmask_b32_e64 v37, 0x7fffffff, v37, s30
	v_cndmask_b32_e64 v36, -1, v36, s30
	v_lshrrev_b64 v[36:37], s48, v[36:37]
	s_delay_alu instid0(VALU_DEP_1)
	v_and_b32_e32 v159, s57, v36
	s_wait_alu 0xfffe
	s_or_b32 exec_lo, exec_lo, s42
	s_and_saveexec_b32 s42, s17
	s_cbranch_execz .LBB1153_508
.LBB1153_574:                           ;   in Loop: Header=BB1153_393 Depth=2
	ds_load_b64 v[36:37], v108 offset:7168
	s_wait_dscnt 0x0
	v_cmp_ne_u64_e64 s30, s[34:35], v[36:37]
	s_wait_alu 0xf1ff
	s_delay_alu instid0(VALU_DEP_1) | instskip(SKIP_1) | instid1(VALU_DEP_1)
	v_cndmask_b32_e64 v37, 0x7fffffff, v37, s30
	v_cndmask_b32_e64 v36, -1, v36, s30
	v_lshrrev_b64 v[36:37], s48, v[36:37]
	s_delay_alu instid0(VALU_DEP_1)
	v_and_b32_e32 v158, s57, v36
	s_wait_alu 0xfffe
	s_or_b32 exec_lo, exec_lo, s42
	s_and_saveexec_b32 s42, s18
	s_cbranch_execz .LBB1153_509
.LBB1153_575:                           ;   in Loop: Header=BB1153_393 Depth=2
	ds_load_b64 v[36:37], v108 offset:9216
	s_wait_dscnt 0x0
	v_cmp_ne_u64_e64 s30, s[34:35], v[36:37]
	s_wait_alu 0xf1ff
	s_delay_alu instid0(VALU_DEP_1) | instskip(SKIP_1) | instid1(VALU_DEP_1)
	v_cndmask_b32_e64 v37, 0x7fffffff, v37, s30
	v_cndmask_b32_e64 v36, -1, v36, s30
	v_lshrrev_b64 v[36:37], s48, v[36:37]
	s_delay_alu instid0(VALU_DEP_1)
	v_and_b32_e32 v157, s57, v36
	s_wait_alu 0xfffe
	s_or_b32 exec_lo, exec_lo, s42
	s_and_saveexec_b32 s42, s19
	s_cbranch_execz .LBB1153_510
.LBB1153_576:                           ;   in Loop: Header=BB1153_393 Depth=2
	ds_load_b64 v[36:37], v108 offset:11264
	s_wait_dscnt 0x0
	v_cmp_ne_u64_e64 s30, s[34:35], v[36:37]
	s_wait_alu 0xf1ff
	s_delay_alu instid0(VALU_DEP_1) | instskip(SKIP_1) | instid1(VALU_DEP_1)
	v_cndmask_b32_e64 v37, 0x7fffffff, v37, s30
	v_cndmask_b32_e64 v36, -1, v36, s30
	v_lshrrev_b64 v[36:37], s48, v[36:37]
	s_delay_alu instid0(VALU_DEP_1)
	v_and_b32_e32 v156, s57, v36
	s_wait_alu 0xfffe
	s_or_b32 exec_lo, exec_lo, s42
	s_and_saveexec_b32 s42, s20
	s_cbranch_execz .LBB1153_511
.LBB1153_577:                           ;   in Loop: Header=BB1153_393 Depth=2
	ds_load_b64 v[36:37], v108 offset:13312
	s_wait_dscnt 0x0
	v_cmp_ne_u64_e64 s30, s[34:35], v[36:37]
	s_wait_alu 0xf1ff
	s_delay_alu instid0(VALU_DEP_1) | instskip(SKIP_1) | instid1(VALU_DEP_1)
	v_cndmask_b32_e64 v37, 0x7fffffff, v37, s30
	v_cndmask_b32_e64 v36, -1, v36, s30
	v_lshrrev_b64 v[36:37], s48, v[36:37]
	s_delay_alu instid0(VALU_DEP_1)
	v_and_b32_e32 v155, s57, v36
	s_wait_alu 0xfffe
	s_or_b32 exec_lo, exec_lo, s42
	s_and_saveexec_b32 s42, s21
	s_cbranch_execz .LBB1153_512
.LBB1153_578:                           ;   in Loop: Header=BB1153_393 Depth=2
	ds_load_b64 v[36:37], v108 offset:15360
	s_wait_dscnt 0x0
	v_cmp_ne_u64_e64 s30, s[34:35], v[36:37]
	s_wait_alu 0xf1ff
	s_delay_alu instid0(VALU_DEP_1) | instskip(SKIP_1) | instid1(VALU_DEP_1)
	v_cndmask_b32_e64 v37, 0x7fffffff, v37, s30
	v_cndmask_b32_e64 v36, -1, v36, s30
	v_lshrrev_b64 v[36:37], s48, v[36:37]
	s_delay_alu instid0(VALU_DEP_1)
	v_and_b32_e32 v154, s57, v36
	s_wait_alu 0xfffe
	s_or_b32 exec_lo, exec_lo, s42
	s_and_saveexec_b32 s42, s22
	s_cbranch_execz .LBB1153_513
.LBB1153_579:                           ;   in Loop: Header=BB1153_393 Depth=2
	ds_load_b64 v[36:37], v108 offset:17408
	s_wait_dscnt 0x0
	v_cmp_ne_u64_e64 s30, s[34:35], v[36:37]
	s_wait_alu 0xf1ff
	s_delay_alu instid0(VALU_DEP_1) | instskip(SKIP_1) | instid1(VALU_DEP_1)
	v_cndmask_b32_e64 v37, 0x7fffffff, v37, s30
	v_cndmask_b32_e64 v36, -1, v36, s30
	v_lshrrev_b64 v[36:37], s48, v[36:37]
	s_delay_alu instid0(VALU_DEP_1)
	v_and_b32_e32 v153, s57, v36
	s_wait_alu 0xfffe
	s_or_b32 exec_lo, exec_lo, s42
	s_and_saveexec_b32 s42, s23
	s_cbranch_execz .LBB1153_514
.LBB1153_580:                           ;   in Loop: Header=BB1153_393 Depth=2
	ds_load_b64 v[36:37], v108 offset:19456
	s_wait_dscnt 0x0
	v_cmp_ne_u64_e64 s30, s[34:35], v[36:37]
	s_wait_alu 0xf1ff
	s_delay_alu instid0(VALU_DEP_1) | instskip(SKIP_1) | instid1(VALU_DEP_1)
	v_cndmask_b32_e64 v37, 0x7fffffff, v37, s30
	v_cndmask_b32_e64 v36, -1, v36, s30
	v_lshrrev_b64 v[36:37], s48, v[36:37]
	s_delay_alu instid0(VALU_DEP_1)
	v_and_b32_e32 v152, s57, v36
	s_wait_alu 0xfffe
	s_or_b32 exec_lo, exec_lo, s42
	s_and_saveexec_b32 s42, s24
	s_cbranch_execz .LBB1153_515
.LBB1153_581:                           ;   in Loop: Header=BB1153_393 Depth=2
	ds_load_b64 v[36:37], v108 offset:21504
	s_wait_dscnt 0x0
	v_cmp_ne_u64_e64 s30, s[34:35], v[36:37]
	s_wait_alu 0xf1ff
	s_delay_alu instid0(VALU_DEP_1) | instskip(SKIP_1) | instid1(VALU_DEP_1)
	v_cndmask_b32_e64 v37, 0x7fffffff, v37, s30
	v_cndmask_b32_e64 v36, -1, v36, s30
	v_lshrrev_b64 v[36:37], s48, v[36:37]
	s_delay_alu instid0(VALU_DEP_1)
	v_and_b32_e32 v151, s57, v36
	s_wait_alu 0xfffe
	s_or_b32 exec_lo, exec_lo, s42
	s_and_saveexec_b32 s42, s25
	s_cbranch_execz .LBB1153_516
.LBB1153_582:                           ;   in Loop: Header=BB1153_393 Depth=2
	ds_load_b64 v[36:37], v108 offset:23552
	s_wait_dscnt 0x0
	v_cmp_ne_u64_e64 s30, s[34:35], v[36:37]
	s_wait_alu 0xf1ff
	s_delay_alu instid0(VALU_DEP_1) | instskip(SKIP_1) | instid1(VALU_DEP_1)
	v_cndmask_b32_e64 v37, 0x7fffffff, v37, s30
	v_cndmask_b32_e64 v36, -1, v36, s30
	v_lshrrev_b64 v[36:37], s48, v[36:37]
	s_delay_alu instid0(VALU_DEP_1)
	v_and_b32_e32 v150, s57, v36
	s_wait_alu 0xfffe
	s_or_b32 exec_lo, exec_lo, s42
	s_and_saveexec_b32 s42, s26
	s_cbranch_execz .LBB1153_517
.LBB1153_583:                           ;   in Loop: Header=BB1153_393 Depth=2
	ds_load_b64 v[36:37], v108 offset:25600
	s_wait_dscnt 0x0
	v_cmp_ne_u64_e64 s30, s[34:35], v[36:37]
	s_wait_alu 0xf1ff
	s_delay_alu instid0(VALU_DEP_1) | instskip(SKIP_1) | instid1(VALU_DEP_1)
	v_cndmask_b32_e64 v37, 0x7fffffff, v37, s30
	v_cndmask_b32_e64 v36, -1, v36, s30
	v_lshrrev_b64 v[36:37], s48, v[36:37]
	s_delay_alu instid0(VALU_DEP_1)
	v_and_b32_e32 v149, s57, v36
	s_wait_alu 0xfffe
	s_or_b32 exec_lo, exec_lo, s42
	s_and_saveexec_b32 s42, s27
	s_cbranch_execz .LBB1153_518
.LBB1153_584:                           ;   in Loop: Header=BB1153_393 Depth=2
	ds_load_b64 v[36:37], v108 offset:27648
	s_wait_dscnt 0x0
	v_cmp_ne_u64_e64 s30, s[34:35], v[36:37]
	s_wait_alu 0xf1ff
	s_delay_alu instid0(VALU_DEP_1) | instskip(SKIP_1) | instid1(VALU_DEP_1)
	v_cndmask_b32_e64 v37, 0x7fffffff, v37, s30
	v_cndmask_b32_e64 v36, -1, v36, s30
	v_lshrrev_b64 v[36:37], s48, v[36:37]
	s_delay_alu instid0(VALU_DEP_1)
	v_and_b32_e32 v148, s57, v36
	s_wait_alu 0xfffe
	s_or_b32 exec_lo, exec_lo, s42
	s_and_saveexec_b32 s42, s28
	s_cbranch_execz .LBB1153_519
.LBB1153_585:                           ;   in Loop: Header=BB1153_393 Depth=2
	ds_load_b64 v[36:37], v108 offset:29696
	s_wait_dscnt 0x0
	v_cmp_ne_u64_e64 s30, s[34:35], v[36:37]
	s_wait_alu 0xf1ff
	s_delay_alu instid0(VALU_DEP_1) | instskip(SKIP_1) | instid1(VALU_DEP_1)
	v_cndmask_b32_e64 v37, 0x7fffffff, v37, s30
	v_cndmask_b32_e64 v36, -1, v36, s30
	v_lshrrev_b64 v[36:37], s48, v[36:37]
	s_delay_alu instid0(VALU_DEP_1)
	v_and_b32_e32 v147, s57, v36
	s_wait_alu 0xfffe
	s_or_b32 exec_lo, exec_lo, s42
	s_and_saveexec_b32 s42, s29
	s_cbranch_execnz .LBB1153_520
	s_branch .LBB1153_521
.LBB1153_586:                           ;   in Loop: Header=BB1153_393 Depth=2
	v_lshlrev_b32_e32 v2, 2, v161
	ds_load_b32 v2, v2
	ds_load_b64 v[36:37], v108 offset:1024
	s_wait_dscnt 0x1
	v_add_nc_u32_e32 v2, v2, v1
	s_delay_alu instid0(VALU_DEP_1) | instskip(NEXT) | instid1(VALU_DEP_1)
	v_lshlrev_b64_e32 v[38:39], 3, v[2:3]
	v_add_co_u32 v38, vcc_lo, s46, v38
	s_wait_alu 0xfffd
	s_delay_alu instid0(VALU_DEP_2)
	v_add_co_ci_u32_e64 v39, null, s47, v39, vcc_lo
	s_wait_dscnt 0x0
	global_store_b64 v[38:39], v[36:37], off
	s_wait_alu 0xfffe
	s_or_b32 exec_lo, exec_lo, s30
	s_and_saveexec_b32 s30, s15
	s_cbranch_execz .LBB1153_523
.LBB1153_587:                           ;   in Loop: Header=BB1153_393 Depth=2
	v_lshlrev_b32_e32 v2, 2, v160
	ds_load_b32 v2, v2
	ds_load_b64 v[36:37], v108 offset:3072
	s_wait_dscnt 0x1
	v_add_nc_u32_e32 v2, v2, v77
	s_delay_alu instid0(VALU_DEP_1) | instskip(NEXT) | instid1(VALU_DEP_1)
	v_lshlrev_b64_e32 v[38:39], 3, v[2:3]
	v_add_co_u32 v38, vcc_lo, s46, v38
	s_wait_alu 0xfffd
	s_delay_alu instid0(VALU_DEP_2)
	v_add_co_ci_u32_e64 v39, null, s47, v39, vcc_lo
	s_wait_dscnt 0x0
	global_store_b64 v[38:39], v[36:37], off
	s_wait_alu 0xfffe
	s_or_b32 exec_lo, exec_lo, s30
	s_and_saveexec_b32 s15, s16
	s_cbranch_execz .LBB1153_524
.LBB1153_588:                           ;   in Loop: Header=BB1153_393 Depth=2
	v_lshlrev_b32_e32 v2, 2, v159
	ds_load_b32 v2, v2
	ds_load_b64 v[36:37], v108 offset:5120
	s_wait_dscnt 0x1
	v_add_nc_u32_e32 v2, v2, v78
	s_delay_alu instid0(VALU_DEP_1) | instskip(NEXT) | instid1(VALU_DEP_1)
	v_lshlrev_b64_e32 v[38:39], 3, v[2:3]
	v_add_co_u32 v38, vcc_lo, s46, v38
	s_wait_alu 0xfffd
	s_delay_alu instid0(VALU_DEP_2)
	v_add_co_ci_u32_e64 v39, null, s47, v39, vcc_lo
	s_wait_dscnt 0x0
	global_store_b64 v[38:39], v[36:37], off
	s_wait_alu 0xfffe
	s_or_b32 exec_lo, exec_lo, s15
	s_and_saveexec_b32 s15, s17
	s_cbranch_execz .LBB1153_525
.LBB1153_589:                           ;   in Loop: Header=BB1153_393 Depth=2
	v_lshlrev_b32_e32 v2, 2, v158
	ds_load_b32 v2, v2
	ds_load_b64 v[36:37], v108 offset:7168
	s_wait_dscnt 0x1
	v_add_nc_u32_e32 v2, v2, v79
	s_delay_alu instid0(VALU_DEP_1) | instskip(NEXT) | instid1(VALU_DEP_1)
	v_lshlrev_b64_e32 v[38:39], 3, v[2:3]
	v_add_co_u32 v38, vcc_lo, s46, v38
	s_wait_alu 0xfffd
	s_delay_alu instid0(VALU_DEP_2)
	v_add_co_ci_u32_e64 v39, null, s47, v39, vcc_lo
	s_wait_dscnt 0x0
	global_store_b64 v[38:39], v[36:37], off
	s_wait_alu 0xfffe
	s_or_b32 exec_lo, exec_lo, s15
	s_and_saveexec_b32 s15, s18
	s_cbranch_execz .LBB1153_526
.LBB1153_590:                           ;   in Loop: Header=BB1153_393 Depth=2
	v_lshlrev_b32_e32 v2, 2, v157
	ds_load_b32 v2, v2
	ds_load_b64 v[36:37], v108 offset:9216
	s_wait_dscnt 0x1
	v_add_nc_u32_e32 v2, v2, v82
	s_delay_alu instid0(VALU_DEP_1) | instskip(NEXT) | instid1(VALU_DEP_1)
	v_lshlrev_b64_e32 v[38:39], 3, v[2:3]
	v_add_co_u32 v38, vcc_lo, s46, v38
	s_wait_alu 0xfffd
	s_delay_alu instid0(VALU_DEP_2)
	v_add_co_ci_u32_e64 v39, null, s47, v39, vcc_lo
	s_wait_dscnt 0x0
	global_store_b64 v[38:39], v[36:37], off
	s_wait_alu 0xfffe
	s_or_b32 exec_lo, exec_lo, s15
	s_and_saveexec_b32 s15, s19
	s_cbranch_execz .LBB1153_527
.LBB1153_591:                           ;   in Loop: Header=BB1153_393 Depth=2
	v_lshlrev_b32_e32 v2, 2, v156
	ds_load_b32 v2, v2
	ds_load_b64 v[36:37], v108 offset:11264
	s_wait_dscnt 0x1
	v_add_nc_u32_e32 v2, v2, v83
	s_delay_alu instid0(VALU_DEP_1) | instskip(NEXT) | instid1(VALU_DEP_1)
	v_lshlrev_b64_e32 v[38:39], 3, v[2:3]
	v_add_co_u32 v38, vcc_lo, s46, v38
	s_wait_alu 0xfffd
	s_delay_alu instid0(VALU_DEP_2)
	v_add_co_ci_u32_e64 v39, null, s47, v39, vcc_lo
	s_wait_dscnt 0x0
	global_store_b64 v[38:39], v[36:37], off
	s_wait_alu 0xfffe
	s_or_b32 exec_lo, exec_lo, s15
	s_and_saveexec_b32 s15, s20
	s_cbranch_execz .LBB1153_528
.LBB1153_592:                           ;   in Loop: Header=BB1153_393 Depth=2
	v_lshlrev_b32_e32 v2, 2, v155
	ds_load_b32 v2, v2
	ds_load_b64 v[36:37], v108 offset:13312
	s_wait_dscnt 0x1
	v_add_nc_u32_e32 v2, v2, v84
	s_delay_alu instid0(VALU_DEP_1) | instskip(NEXT) | instid1(VALU_DEP_1)
	v_lshlrev_b64_e32 v[38:39], 3, v[2:3]
	v_add_co_u32 v38, vcc_lo, s46, v38
	s_wait_alu 0xfffd
	s_delay_alu instid0(VALU_DEP_2)
	v_add_co_ci_u32_e64 v39, null, s47, v39, vcc_lo
	s_wait_dscnt 0x0
	global_store_b64 v[38:39], v[36:37], off
	s_wait_alu 0xfffe
	s_or_b32 exec_lo, exec_lo, s15
	s_and_saveexec_b32 s15, s21
	s_cbranch_execz .LBB1153_529
.LBB1153_593:                           ;   in Loop: Header=BB1153_393 Depth=2
	v_lshlrev_b32_e32 v2, 2, v154
	ds_load_b32 v2, v2
	ds_load_b64 v[36:37], v108 offset:15360
	s_wait_dscnt 0x1
	v_add_nc_u32_e32 v2, v2, v85
	s_delay_alu instid0(VALU_DEP_1) | instskip(NEXT) | instid1(VALU_DEP_1)
	v_lshlrev_b64_e32 v[38:39], 3, v[2:3]
	v_add_co_u32 v38, vcc_lo, s46, v38
	s_wait_alu 0xfffd
	s_delay_alu instid0(VALU_DEP_2)
	v_add_co_ci_u32_e64 v39, null, s47, v39, vcc_lo
	s_wait_dscnt 0x0
	global_store_b64 v[38:39], v[36:37], off
	s_wait_alu 0xfffe
	s_or_b32 exec_lo, exec_lo, s15
	s_and_saveexec_b32 s15, s22
	s_cbranch_execz .LBB1153_530
.LBB1153_594:                           ;   in Loop: Header=BB1153_393 Depth=2
	v_lshlrev_b32_e32 v2, 2, v153
	ds_load_b32 v2, v2
	ds_load_b64 v[36:37], v108 offset:17408
	s_wait_dscnt 0x1
	v_add_nc_u32_e32 v2, v2, v86
	s_delay_alu instid0(VALU_DEP_1) | instskip(NEXT) | instid1(VALU_DEP_1)
	v_lshlrev_b64_e32 v[38:39], 3, v[2:3]
	v_add_co_u32 v38, vcc_lo, s46, v38
	s_wait_alu 0xfffd
	s_delay_alu instid0(VALU_DEP_2)
	v_add_co_ci_u32_e64 v39, null, s47, v39, vcc_lo
	s_wait_dscnt 0x0
	global_store_b64 v[38:39], v[36:37], off
	s_wait_alu 0xfffe
	s_or_b32 exec_lo, exec_lo, s15
	s_and_saveexec_b32 s15, s23
	s_cbranch_execz .LBB1153_531
.LBB1153_595:                           ;   in Loop: Header=BB1153_393 Depth=2
	v_lshlrev_b32_e32 v2, 2, v152
	ds_load_b32 v2, v2
	ds_load_b64 v[36:37], v108 offset:19456
	s_wait_dscnt 0x1
	v_add_nc_u32_e32 v2, v2, v87
	s_delay_alu instid0(VALU_DEP_1) | instskip(NEXT) | instid1(VALU_DEP_1)
	v_lshlrev_b64_e32 v[38:39], 3, v[2:3]
	v_add_co_u32 v38, vcc_lo, s46, v38
	s_wait_alu 0xfffd
	s_delay_alu instid0(VALU_DEP_2)
	v_add_co_ci_u32_e64 v39, null, s47, v39, vcc_lo
	s_wait_dscnt 0x0
	global_store_b64 v[38:39], v[36:37], off
	s_wait_alu 0xfffe
	s_or_b32 exec_lo, exec_lo, s15
	s_and_saveexec_b32 s15, s24
	s_cbranch_execz .LBB1153_532
.LBB1153_596:                           ;   in Loop: Header=BB1153_393 Depth=2
	v_lshlrev_b32_e32 v2, 2, v151
	ds_load_b32 v2, v2
	ds_load_b64 v[36:37], v108 offset:21504
	s_wait_dscnt 0x1
	v_add_nc_u32_e32 v2, v2, v88
	s_delay_alu instid0(VALU_DEP_1) | instskip(NEXT) | instid1(VALU_DEP_1)
	v_lshlrev_b64_e32 v[38:39], 3, v[2:3]
	v_add_co_u32 v38, vcc_lo, s46, v38
	s_wait_alu 0xfffd
	s_delay_alu instid0(VALU_DEP_2)
	v_add_co_ci_u32_e64 v39, null, s47, v39, vcc_lo
	s_wait_dscnt 0x0
	global_store_b64 v[38:39], v[36:37], off
	s_wait_alu 0xfffe
	s_or_b32 exec_lo, exec_lo, s15
	s_and_saveexec_b32 s15, s25
	s_cbranch_execz .LBB1153_533
.LBB1153_597:                           ;   in Loop: Header=BB1153_393 Depth=2
	v_lshlrev_b32_e32 v2, 2, v150
	ds_load_b32 v2, v2
	ds_load_b64 v[36:37], v108 offset:23552
	s_wait_dscnt 0x1
	v_add_nc_u32_e32 v2, v2, v89
	s_delay_alu instid0(VALU_DEP_1) | instskip(NEXT) | instid1(VALU_DEP_1)
	v_lshlrev_b64_e32 v[38:39], 3, v[2:3]
	v_add_co_u32 v38, vcc_lo, s46, v38
	s_wait_alu 0xfffd
	s_delay_alu instid0(VALU_DEP_2)
	v_add_co_ci_u32_e64 v39, null, s47, v39, vcc_lo
	s_wait_dscnt 0x0
	global_store_b64 v[38:39], v[36:37], off
	s_wait_alu 0xfffe
	s_or_b32 exec_lo, exec_lo, s15
	s_and_saveexec_b32 s15, s26
	s_cbranch_execz .LBB1153_534
.LBB1153_598:                           ;   in Loop: Header=BB1153_393 Depth=2
	v_lshlrev_b32_e32 v2, 2, v149
	ds_load_b32 v2, v2
	ds_load_b64 v[36:37], v108 offset:25600
	s_wait_dscnt 0x1
	v_add_nc_u32_e32 v2, v2, v90
	s_delay_alu instid0(VALU_DEP_1) | instskip(NEXT) | instid1(VALU_DEP_1)
	v_lshlrev_b64_e32 v[38:39], 3, v[2:3]
	v_add_co_u32 v38, vcc_lo, s46, v38
	s_wait_alu 0xfffd
	s_delay_alu instid0(VALU_DEP_2)
	v_add_co_ci_u32_e64 v39, null, s47, v39, vcc_lo
	s_wait_dscnt 0x0
	global_store_b64 v[38:39], v[36:37], off
	s_wait_alu 0xfffe
	s_or_b32 exec_lo, exec_lo, s15
	s_and_saveexec_b32 s15, s27
	s_cbranch_execz .LBB1153_535
.LBB1153_599:                           ;   in Loop: Header=BB1153_393 Depth=2
	v_lshlrev_b32_e32 v2, 2, v148
	ds_load_b32 v2, v2
	ds_load_b64 v[36:37], v108 offset:27648
	s_wait_dscnt 0x1
	v_add_nc_u32_e32 v2, v2, v91
	s_delay_alu instid0(VALU_DEP_1) | instskip(NEXT) | instid1(VALU_DEP_1)
	v_lshlrev_b64_e32 v[38:39], 3, v[2:3]
	v_add_co_u32 v38, vcc_lo, s46, v38
	s_wait_alu 0xfffd
	s_delay_alu instid0(VALU_DEP_2)
	v_add_co_ci_u32_e64 v39, null, s47, v39, vcc_lo
	s_wait_dscnt 0x0
	global_store_b64 v[38:39], v[36:37], off
	s_wait_alu 0xfffe
	s_or_b32 exec_lo, exec_lo, s15
	s_and_saveexec_b32 s15, s28
	s_cbranch_execz .LBB1153_536
.LBB1153_600:                           ;   in Loop: Header=BB1153_393 Depth=2
	v_lshlrev_b32_e32 v2, 2, v147
	ds_load_b32 v2, v2
	ds_load_b64 v[36:37], v108 offset:29696
	s_wait_dscnt 0x1
	v_add_nc_u32_e32 v2, v2, v92
	s_delay_alu instid0(VALU_DEP_1) | instskip(NEXT) | instid1(VALU_DEP_1)
	v_lshlrev_b64_e32 v[38:39], 3, v[2:3]
	v_add_co_u32 v38, vcc_lo, s46, v38
	s_wait_alu 0xfffd
	s_delay_alu instid0(VALU_DEP_2)
	v_add_co_ci_u32_e64 v39, null, s47, v39, vcc_lo
	s_wait_dscnt 0x0
	global_store_b64 v[38:39], v[36:37], off
	s_wait_alu 0xfffe
	s_or_b32 exec_lo, exec_lo, s15
	s_and_saveexec_b32 s15, s29
	s_cbranch_execnz .LBB1153_537
	s_branch .LBB1153_538
.LBB1153_601:                           ;   in Loop: Header=BB1153_17 Depth=1
	s_wait_loadcnt_dscnt 0x0
	s_barrier_signal -1
	s_barrier_wait -1
.LBB1153_602:                           ;   in Loop: Header=BB1153_17 Depth=1
	s_mov_b32 s6, 0
.LBB1153_603:                           ;   in Loop: Header=BB1153_17 Depth=1
	s_wait_alu 0xfffe
	s_and_not1_b32 vcc_lo, exec_lo, s6
	s_wait_alu 0xfffe
	s_cbranch_vccnz .LBB1153_16
; %bb.604:                              ;   in Loop: Header=BB1153_17 Depth=1
	s_lshl_b32 s6, -1, s56
	s_and_b32 vcc_lo, exec_lo, s54
	s_wait_alu 0xfffe
	s_not_b32 s56, s6
	s_mov_b32 s6, -1
	s_cbranch_vccz .LBB1153_896
; %bb.605:                              ;   in Loop: Header=BB1153_17 Depth=1
	s_mov_b32 s8, s55
	s_mov_b32 s6, s33
	s_barrier_signal -1
	s_barrier_wait -1
	global_inv scope:SCOPE_SE
                                        ; implicit-def: $vgpr4_vgpr5
                                        ; implicit-def: $vgpr6_vgpr7
                                        ; implicit-def: $vgpr8_vgpr9
                                        ; implicit-def: $vgpr10_vgpr11
                                        ; implicit-def: $vgpr12_vgpr13
                                        ; implicit-def: $vgpr14_vgpr15
                                        ; implicit-def: $vgpr16_vgpr17
                                        ; implicit-def: $vgpr18_vgpr19
                                        ; implicit-def: $vgpr20_vgpr21
                                        ; implicit-def: $vgpr22_vgpr23
                                        ; implicit-def: $vgpr24_vgpr25
                                        ; implicit-def: $vgpr26_vgpr27
                                        ; implicit-def: $vgpr28_vgpr29
                                        ; implicit-def: $vgpr30_vgpr31
                                        ; implicit-def: $vgpr32_vgpr33
                                        ; implicit-def: $vgpr34_vgpr35
	s_branch .LBB1153_607
.LBB1153_606:                           ;   in Loop: Header=BB1153_607 Depth=2
	s_wait_alu 0xfffe
	s_or_b32 exec_lo, exec_lo, s6
	s_addk_co_i32 s8, 0xf000
	s_cmp_ge_u32 s9, s51
	s_mov_b32 s6, s9
	s_cbranch_scc1 .LBB1153_675
.LBB1153_607:                           ;   Parent Loop BB1153_17 Depth=1
                                        ; =>  This Inner Loop Header: Depth=2
	s_wait_alu 0xfffe
	s_add_co_i32 s9, s6, 0x1000
	s_mov_b32 s7, -1
	s_wait_alu 0xfffe
	s_cmp_gt_u32 s9, s51
                                        ; implicit-def: $vgpr36_vgpr37
                                        ; implicit-def: $vgpr38_vgpr39
                                        ; implicit-def: $vgpr40_vgpr41
                                        ; implicit-def: $vgpr42_vgpr43
                                        ; implicit-def: $vgpr44_vgpr45
                                        ; implicit-def: $vgpr46_vgpr47
                                        ; implicit-def: $vgpr48_vgpr49
                                        ; implicit-def: $vgpr50_vgpr51
                                        ; implicit-def: $vgpr52_vgpr53
                                        ; implicit-def: $vgpr54_vgpr55
                                        ; implicit-def: $vgpr56_vgpr57
                                        ; implicit-def: $vgpr58_vgpr59
                                        ; implicit-def: $vgpr60_vgpr61
                                        ; implicit-def: $vgpr62_vgpr63
                                        ; implicit-def: $vgpr64_vgpr65
                                        ; implicit-def: $vgpr66_vgpr67
	s_cbranch_scc1 .LBB1153_609
; %bb.608:                              ;   in Loop: Header=BB1153_607 Depth=2
	s_mov_b32 s7, s34
	s_wait_alu 0xfffe
	s_lshl_b64 s[10:11], s[6:7], 3
	s_mov_b32 s7, 0
	s_wait_alu 0xfffe
	v_add_co_u32 v66, vcc_lo, v115, s10
	s_wait_alu 0xfffd
	v_add_co_ci_u32_e64 v67, null, s11, v116, vcc_lo
	s_clause 0xf
	global_load_b64 v[36:37], v[66:67], off
	global_load_b64 v[38:39], v[66:67], off offset:2048
	global_load_b64 v[40:41], v[66:67], off offset:4096
	;; [unrolled: 1-line block ×15, first 2 shown]
.LBB1153_609:                           ;   in Loop: Header=BB1153_607 Depth=2
	s_and_not1_b32 vcc_lo, exec_lo, s7
	s_movk_i32 s7, 0x1000
	s_wait_alu 0xfffe
	s_cbranch_vccnz .LBB1153_628
; %bb.610:                              ;   in Loop: Header=BB1153_607 Depth=2
	s_mov_b32 s7, s34
	s_mov_b32 s10, exec_lo
	s_wait_alu 0xfffe
	s_lshl_b64 s[6:7], s[6:7], 3
	s_wait_alu 0xfffe
	s_add_nc_u64 s[6:7], s[36:37], s[6:7]
	v_cmpx_gt_u32_e64 s8, v1
	s_cbranch_execnz .LBB1153_660
; %bb.611:                              ;   in Loop: Header=BB1153_607 Depth=2
	s_or_b32 exec_lo, exec_lo, s10
	s_delay_alu instid0(SALU_CYCLE_1)
	s_mov_b32 s10, exec_lo
	v_cmpx_gt_u32_e64 s8, v77
	s_cbranch_execnz .LBB1153_661
.LBB1153_612:                           ;   in Loop: Header=BB1153_607 Depth=2
	s_wait_alu 0xfffe
	s_or_b32 exec_lo, exec_lo, s10
	s_delay_alu instid0(SALU_CYCLE_1)
	s_mov_b32 s10, exec_lo
	v_cmpx_gt_u32_e64 s8, v78
	s_cbranch_execnz .LBB1153_662
.LBB1153_613:                           ;   in Loop: Header=BB1153_607 Depth=2
	s_wait_alu 0xfffe
	s_or_b32 exec_lo, exec_lo, s10
	s_delay_alu instid0(SALU_CYCLE_1)
	s_mov_b32 s10, exec_lo
	v_cmpx_gt_u32_e64 s8, v79
	s_cbranch_execnz .LBB1153_663
.LBB1153_614:                           ;   in Loop: Header=BB1153_607 Depth=2
	s_wait_alu 0xfffe
	s_or_b32 exec_lo, exec_lo, s10
	s_delay_alu instid0(SALU_CYCLE_1)
	s_mov_b32 s10, exec_lo
	v_cmpx_gt_u32_e64 s8, v82
	s_cbranch_execnz .LBB1153_664
.LBB1153_615:                           ;   in Loop: Header=BB1153_607 Depth=2
	s_wait_alu 0xfffe
	s_or_b32 exec_lo, exec_lo, s10
	s_delay_alu instid0(SALU_CYCLE_1)
	s_mov_b32 s10, exec_lo
	v_cmpx_gt_u32_e64 s8, v83
	s_cbranch_execnz .LBB1153_665
.LBB1153_616:                           ;   in Loop: Header=BB1153_607 Depth=2
	s_wait_alu 0xfffe
	s_or_b32 exec_lo, exec_lo, s10
	s_delay_alu instid0(SALU_CYCLE_1)
	s_mov_b32 s10, exec_lo
	v_cmpx_gt_u32_e64 s8, v84
	s_cbranch_execnz .LBB1153_666
.LBB1153_617:                           ;   in Loop: Header=BB1153_607 Depth=2
	s_wait_alu 0xfffe
	s_or_b32 exec_lo, exec_lo, s10
	s_delay_alu instid0(SALU_CYCLE_1)
	s_mov_b32 s10, exec_lo
	v_cmpx_gt_u32_e64 s8, v85
	s_cbranch_execnz .LBB1153_667
.LBB1153_618:                           ;   in Loop: Header=BB1153_607 Depth=2
	s_wait_alu 0xfffe
	s_or_b32 exec_lo, exec_lo, s10
	s_delay_alu instid0(SALU_CYCLE_1)
	s_mov_b32 s10, exec_lo
	v_cmpx_gt_u32_e64 s8, v86
	s_cbranch_execnz .LBB1153_668
.LBB1153_619:                           ;   in Loop: Header=BB1153_607 Depth=2
	s_wait_alu 0xfffe
	s_or_b32 exec_lo, exec_lo, s10
	s_delay_alu instid0(SALU_CYCLE_1)
	s_mov_b32 s10, exec_lo
	v_cmpx_gt_u32_e64 s8, v87
	s_cbranch_execnz .LBB1153_669
.LBB1153_620:                           ;   in Loop: Header=BB1153_607 Depth=2
	s_wait_alu 0xfffe
	s_or_b32 exec_lo, exec_lo, s10
	s_delay_alu instid0(SALU_CYCLE_1)
	s_mov_b32 s10, exec_lo
	v_cmpx_gt_u32_e64 s8, v88
	s_cbranch_execnz .LBB1153_670
.LBB1153_621:                           ;   in Loop: Header=BB1153_607 Depth=2
	s_wait_alu 0xfffe
	s_or_b32 exec_lo, exec_lo, s10
	s_delay_alu instid0(SALU_CYCLE_1)
	s_mov_b32 s10, exec_lo
	v_cmpx_gt_u32_e64 s8, v89
	s_cbranch_execnz .LBB1153_671
.LBB1153_622:                           ;   in Loop: Header=BB1153_607 Depth=2
	s_wait_alu 0xfffe
	s_or_b32 exec_lo, exec_lo, s10
	s_delay_alu instid0(SALU_CYCLE_1)
	s_mov_b32 s10, exec_lo
	v_cmpx_gt_u32_e64 s8, v90
	s_cbranch_execnz .LBB1153_672
.LBB1153_623:                           ;   in Loop: Header=BB1153_607 Depth=2
	s_wait_alu 0xfffe
	s_or_b32 exec_lo, exec_lo, s10
	s_delay_alu instid0(SALU_CYCLE_1)
	s_mov_b32 s10, exec_lo
	v_cmpx_gt_u32_e64 s8, v91
	s_cbranch_execnz .LBB1153_673
.LBB1153_624:                           ;   in Loop: Header=BB1153_607 Depth=2
	s_wait_alu 0xfffe
	s_or_b32 exec_lo, exec_lo, s10
	s_delay_alu instid0(SALU_CYCLE_1)
	s_mov_b32 s10, exec_lo
	v_cmpx_gt_u32_e64 s8, v92
	s_cbranch_execnz .LBB1153_674
.LBB1153_625:                           ;   in Loop: Header=BB1153_607 Depth=2
	s_wait_alu 0xfffe
	s_or_b32 exec_lo, exec_lo, s10
	s_delay_alu instid0(SALU_CYCLE_1)
	s_mov_b32 s10, exec_lo
	v_cmpx_gt_u32_e64 s8, v93
	s_cbranch_execz .LBB1153_627
.LBB1153_626:                           ;   in Loop: Header=BB1153_607 Depth=2
	global_load_b64 v[4:5], v122, s[6:7] offset:30720
.LBB1153_627:                           ;   in Loop: Header=BB1153_607 Depth=2
	s_wait_alu 0xfffe
	s_or_b32 exec_lo, exec_lo, s10
	s_wait_loadcnt 0x0
	v_dual_mov_b32 v37, v35 :: v_dual_mov_b32 v36, v34
	v_dual_mov_b32 v39, v33 :: v_dual_mov_b32 v38, v32
	;; [unrolled: 1-line block ×16, first 2 shown]
	s_mov_b32 s7, s8
.LBB1153_628:                           ;   in Loop: Header=BB1153_607 Depth=2
	s_wait_loadcnt 0x0
	s_delay_alu instid0(VALU_DEP_1)
	v_dual_mov_b32 v4, v66 :: v_dual_mov_b32 v5, v67
	v_dual_mov_b32 v6, v64 :: v_dual_mov_b32 v7, v65
	v_dual_mov_b32 v8, v62 :: v_dual_mov_b32 v9, v63
	v_dual_mov_b32 v10, v60 :: v_dual_mov_b32 v11, v61
	v_dual_mov_b32 v12, v58 :: v_dual_mov_b32 v13, v59
	v_dual_mov_b32 v14, v56 :: v_dual_mov_b32 v15, v57
	v_dual_mov_b32 v16, v54 :: v_dual_mov_b32 v17, v55
	v_dual_mov_b32 v18, v52 :: v_dual_mov_b32 v19, v53
	v_dual_mov_b32 v20, v50 :: v_dual_mov_b32 v21, v51
	v_dual_mov_b32 v22, v48 :: v_dual_mov_b32 v23, v49
	v_dual_mov_b32 v24, v46 :: v_dual_mov_b32 v25, v47
	v_dual_mov_b32 v26, v44 :: v_dual_mov_b32 v27, v45
	v_dual_mov_b32 v28, v42 :: v_dual_mov_b32 v29, v43
	v_dual_mov_b32 v30, v40 :: v_dual_mov_b32 v31, v41
	v_dual_mov_b32 v32, v38 :: v_dual_mov_b32 v33, v39
	v_dual_mov_b32 v34, v36 :: v_dual_mov_b32 v35, v37
	s_mov_b32 s6, exec_lo
	s_wait_alu 0xfffe
	v_cmpx_gt_u32_e64 s7, v1
	s_cbranch_execnz .LBB1153_644
; %bb.629:                              ;   in Loop: Header=BB1153_607 Depth=2
	s_or_b32 exec_lo, exec_lo, s6
	s_delay_alu instid0(SALU_CYCLE_1)
	s_mov_b32 s6, exec_lo
	v_cmpx_gt_u32_e64 s7, v77
	s_cbranch_execnz .LBB1153_645
.LBB1153_630:                           ;   in Loop: Header=BB1153_607 Depth=2
	s_wait_alu 0xfffe
	s_or_b32 exec_lo, exec_lo, s6
	s_delay_alu instid0(SALU_CYCLE_1)
	s_mov_b32 s6, exec_lo
	v_cmpx_gt_u32_e64 s7, v78
	s_cbranch_execnz .LBB1153_646
.LBB1153_631:                           ;   in Loop: Header=BB1153_607 Depth=2
	s_wait_alu 0xfffe
	s_or_b32 exec_lo, exec_lo, s6
	s_delay_alu instid0(SALU_CYCLE_1)
	s_mov_b32 s6, exec_lo
	v_cmpx_gt_u32_e64 s7, v79
	s_cbranch_execnz .LBB1153_647
.LBB1153_632:                           ;   in Loop: Header=BB1153_607 Depth=2
	s_wait_alu 0xfffe
	s_or_b32 exec_lo, exec_lo, s6
	s_delay_alu instid0(SALU_CYCLE_1)
	s_mov_b32 s6, exec_lo
	v_cmpx_gt_u32_e64 s7, v82
	s_cbranch_execnz .LBB1153_648
.LBB1153_633:                           ;   in Loop: Header=BB1153_607 Depth=2
	s_wait_alu 0xfffe
	s_or_b32 exec_lo, exec_lo, s6
	s_delay_alu instid0(SALU_CYCLE_1)
	s_mov_b32 s6, exec_lo
	v_cmpx_gt_u32_e64 s7, v83
	s_cbranch_execnz .LBB1153_649
.LBB1153_634:                           ;   in Loop: Header=BB1153_607 Depth=2
	s_wait_alu 0xfffe
	s_or_b32 exec_lo, exec_lo, s6
	s_delay_alu instid0(SALU_CYCLE_1)
	s_mov_b32 s6, exec_lo
	v_cmpx_gt_u32_e64 s7, v84
	s_cbranch_execnz .LBB1153_650
.LBB1153_635:                           ;   in Loop: Header=BB1153_607 Depth=2
	s_wait_alu 0xfffe
	s_or_b32 exec_lo, exec_lo, s6
	s_delay_alu instid0(SALU_CYCLE_1)
	s_mov_b32 s6, exec_lo
	v_cmpx_gt_u32_e64 s7, v85
	s_cbranch_execnz .LBB1153_651
.LBB1153_636:                           ;   in Loop: Header=BB1153_607 Depth=2
	s_wait_alu 0xfffe
	s_or_b32 exec_lo, exec_lo, s6
	s_delay_alu instid0(SALU_CYCLE_1)
	s_mov_b32 s6, exec_lo
	v_cmpx_gt_u32_e64 s7, v86
	s_cbranch_execnz .LBB1153_652
.LBB1153_637:                           ;   in Loop: Header=BB1153_607 Depth=2
	s_wait_alu 0xfffe
	s_or_b32 exec_lo, exec_lo, s6
	s_delay_alu instid0(SALU_CYCLE_1)
	s_mov_b32 s6, exec_lo
	v_cmpx_gt_u32_e64 s7, v87
	s_cbranch_execnz .LBB1153_653
.LBB1153_638:                           ;   in Loop: Header=BB1153_607 Depth=2
	s_wait_alu 0xfffe
	s_or_b32 exec_lo, exec_lo, s6
	s_delay_alu instid0(SALU_CYCLE_1)
	s_mov_b32 s6, exec_lo
	v_cmpx_gt_u32_e64 s7, v88
	s_cbranch_execnz .LBB1153_654
.LBB1153_639:                           ;   in Loop: Header=BB1153_607 Depth=2
	s_wait_alu 0xfffe
	s_or_b32 exec_lo, exec_lo, s6
	s_delay_alu instid0(SALU_CYCLE_1)
	s_mov_b32 s6, exec_lo
	v_cmpx_gt_u32_e64 s7, v89
	s_cbranch_execnz .LBB1153_655
.LBB1153_640:                           ;   in Loop: Header=BB1153_607 Depth=2
	s_wait_alu 0xfffe
	s_or_b32 exec_lo, exec_lo, s6
	s_delay_alu instid0(SALU_CYCLE_1)
	s_mov_b32 s6, exec_lo
	v_cmpx_gt_u32_e64 s7, v90
	s_cbranch_execnz .LBB1153_656
.LBB1153_641:                           ;   in Loop: Header=BB1153_607 Depth=2
	s_wait_alu 0xfffe
	s_or_b32 exec_lo, exec_lo, s6
	s_delay_alu instid0(SALU_CYCLE_1)
	s_mov_b32 s6, exec_lo
	v_cmpx_gt_u32_e64 s7, v91
	s_cbranch_execnz .LBB1153_657
.LBB1153_642:                           ;   in Loop: Header=BB1153_607 Depth=2
	s_wait_alu 0xfffe
	s_or_b32 exec_lo, exec_lo, s6
	s_delay_alu instid0(SALU_CYCLE_1)
	s_mov_b32 s6, exec_lo
	v_cmpx_gt_u32_e64 s7, v92
	s_cbranch_execnz .LBB1153_658
.LBB1153_643:                           ;   in Loop: Header=BB1153_607 Depth=2
	s_wait_alu 0xfffe
	s_or_b32 exec_lo, exec_lo, s6
	s_delay_alu instid0(SALU_CYCLE_1)
	s_mov_b32 s6, exec_lo
	v_cmpx_gt_u32_e64 s7, v93
	s_cbranch_execz .LBB1153_606
	s_branch .LBB1153_659
.LBB1153_644:                           ;   in Loop: Header=BB1153_607 Depth=2
	v_cmp_gt_i64_e32 vcc_lo, 0, v[34:35]
	v_ashrrev_i32_e32 v2, 31, v35
	s_delay_alu instid0(VALU_DEP_1) | instskip(SKIP_2) | instid1(VALU_DEP_1)
	v_not_b32_e32 v2, v2
	s_wait_alu 0xfffd
	v_cndmask_b32_e64 v36, 0x7fffffff, 0, vcc_lo
	v_xor_b32_e32 v37, v36, v35
	s_delay_alu instid0(VALU_DEP_3) | instskip(NEXT) | instid1(VALU_DEP_1)
	v_xor_b32_e32 v36, v2, v34
	v_cmp_ne_u64_e32 vcc_lo, s[34:35], v[36:37]
	s_wait_alu 0xfffd
	v_cndmask_b32_e32 v37, 0x7fffffff, v37, vcc_lo
	v_cndmask_b32_e32 v36, -1, v36, vcc_lo
	s_delay_alu instid0(VALU_DEP_1) | instskip(NEXT) | instid1(VALU_DEP_1)
	v_lshrrev_b64 v[36:37], s31, v[36:37]
	v_and_b32_e32 v2, s56, v36
	s_delay_alu instid0(VALU_DEP_1) | instskip(SKIP_2) | instid1(SALU_CYCLE_1)
	v_lshl_or_b32 v2, v2, 4, v94
	ds_add_u32 v2, v121
	s_or_b32 exec_lo, exec_lo, s6
	s_mov_b32 s6, exec_lo
	v_cmpx_gt_u32_e64 s7, v77
	s_cbranch_execz .LBB1153_630
.LBB1153_645:                           ;   in Loop: Header=BB1153_607 Depth=2
	v_cmp_gt_i64_e32 vcc_lo, 0, v[32:33]
	v_ashrrev_i32_e32 v2, 31, v33
	s_delay_alu instid0(VALU_DEP_1) | instskip(SKIP_2) | instid1(VALU_DEP_1)
	v_not_b32_e32 v2, v2
	s_wait_alu 0xfffd
	v_cndmask_b32_e64 v36, 0x7fffffff, 0, vcc_lo
	v_xor_b32_e32 v37, v36, v33
	s_delay_alu instid0(VALU_DEP_3) | instskip(NEXT) | instid1(VALU_DEP_1)
	v_xor_b32_e32 v36, v2, v32
	v_cmp_ne_u64_e32 vcc_lo, s[34:35], v[36:37]
	s_wait_alu 0xfffd
	v_cndmask_b32_e32 v37, 0x7fffffff, v37, vcc_lo
	v_cndmask_b32_e32 v36, -1, v36, vcc_lo
	s_delay_alu instid0(VALU_DEP_1) | instskip(NEXT) | instid1(VALU_DEP_1)
	v_lshrrev_b64 v[36:37], s31, v[36:37]
	v_and_b32_e32 v2, s56, v36
	s_delay_alu instid0(VALU_DEP_1) | instskip(SKIP_3) | instid1(SALU_CYCLE_1)
	v_lshl_or_b32 v2, v2, 4, v94
	ds_add_u32 v2, v121
	s_wait_alu 0xfffe
	s_or_b32 exec_lo, exec_lo, s6
	s_mov_b32 s6, exec_lo
	v_cmpx_gt_u32_e64 s7, v78
	s_cbranch_execz .LBB1153_631
.LBB1153_646:                           ;   in Loop: Header=BB1153_607 Depth=2
	v_cmp_gt_i64_e32 vcc_lo, 0, v[30:31]
	v_ashrrev_i32_e32 v2, 31, v31
	s_delay_alu instid0(VALU_DEP_1) | instskip(SKIP_2) | instid1(VALU_DEP_1)
	v_not_b32_e32 v2, v2
	s_wait_alu 0xfffd
	v_cndmask_b32_e64 v36, 0x7fffffff, 0, vcc_lo
	v_xor_b32_e32 v37, v36, v31
	s_delay_alu instid0(VALU_DEP_3) | instskip(NEXT) | instid1(VALU_DEP_1)
	v_xor_b32_e32 v36, v2, v30
	v_cmp_ne_u64_e32 vcc_lo, s[34:35], v[36:37]
	s_wait_alu 0xfffd
	v_cndmask_b32_e32 v37, 0x7fffffff, v37, vcc_lo
	v_cndmask_b32_e32 v36, -1, v36, vcc_lo
	s_delay_alu instid0(VALU_DEP_1) | instskip(NEXT) | instid1(VALU_DEP_1)
	v_lshrrev_b64 v[36:37], s31, v[36:37]
	v_and_b32_e32 v2, s56, v36
	s_delay_alu instid0(VALU_DEP_1) | instskip(SKIP_3) | instid1(SALU_CYCLE_1)
	v_lshl_or_b32 v2, v2, 4, v94
	ds_add_u32 v2, v121
	s_wait_alu 0xfffe
	s_or_b32 exec_lo, exec_lo, s6
	s_mov_b32 s6, exec_lo
	v_cmpx_gt_u32_e64 s7, v79
	s_cbranch_execz .LBB1153_632
.LBB1153_647:                           ;   in Loop: Header=BB1153_607 Depth=2
	v_cmp_gt_i64_e32 vcc_lo, 0, v[28:29]
	v_ashrrev_i32_e32 v2, 31, v29
	s_delay_alu instid0(VALU_DEP_1) | instskip(SKIP_2) | instid1(VALU_DEP_1)
	v_not_b32_e32 v2, v2
	s_wait_alu 0xfffd
	v_cndmask_b32_e64 v36, 0x7fffffff, 0, vcc_lo
	v_xor_b32_e32 v37, v36, v29
	s_delay_alu instid0(VALU_DEP_3) | instskip(NEXT) | instid1(VALU_DEP_1)
	v_xor_b32_e32 v36, v2, v28
	v_cmp_ne_u64_e32 vcc_lo, s[34:35], v[36:37]
	s_wait_alu 0xfffd
	v_cndmask_b32_e32 v37, 0x7fffffff, v37, vcc_lo
	v_cndmask_b32_e32 v36, -1, v36, vcc_lo
	s_delay_alu instid0(VALU_DEP_1) | instskip(NEXT) | instid1(VALU_DEP_1)
	v_lshrrev_b64 v[36:37], s31, v[36:37]
	v_and_b32_e32 v2, s56, v36
	s_delay_alu instid0(VALU_DEP_1) | instskip(SKIP_3) | instid1(SALU_CYCLE_1)
	v_lshl_or_b32 v2, v2, 4, v94
	ds_add_u32 v2, v121
	s_wait_alu 0xfffe
	s_or_b32 exec_lo, exec_lo, s6
	s_mov_b32 s6, exec_lo
	v_cmpx_gt_u32_e64 s7, v82
	s_cbranch_execz .LBB1153_633
.LBB1153_648:                           ;   in Loop: Header=BB1153_607 Depth=2
	v_cmp_gt_i64_e32 vcc_lo, 0, v[26:27]
	v_ashrrev_i32_e32 v2, 31, v27
	s_delay_alu instid0(VALU_DEP_1) | instskip(SKIP_2) | instid1(VALU_DEP_1)
	v_not_b32_e32 v2, v2
	s_wait_alu 0xfffd
	v_cndmask_b32_e64 v36, 0x7fffffff, 0, vcc_lo
	v_xor_b32_e32 v37, v36, v27
	s_delay_alu instid0(VALU_DEP_3) | instskip(NEXT) | instid1(VALU_DEP_1)
	v_xor_b32_e32 v36, v2, v26
	v_cmp_ne_u64_e32 vcc_lo, s[34:35], v[36:37]
	s_wait_alu 0xfffd
	v_cndmask_b32_e32 v37, 0x7fffffff, v37, vcc_lo
	v_cndmask_b32_e32 v36, -1, v36, vcc_lo
	s_delay_alu instid0(VALU_DEP_1) | instskip(NEXT) | instid1(VALU_DEP_1)
	v_lshrrev_b64 v[36:37], s31, v[36:37]
	v_and_b32_e32 v2, s56, v36
	s_delay_alu instid0(VALU_DEP_1) | instskip(SKIP_3) | instid1(SALU_CYCLE_1)
	v_lshl_or_b32 v2, v2, 4, v94
	ds_add_u32 v2, v121
	s_wait_alu 0xfffe
	s_or_b32 exec_lo, exec_lo, s6
	s_mov_b32 s6, exec_lo
	v_cmpx_gt_u32_e64 s7, v83
	s_cbranch_execz .LBB1153_634
.LBB1153_649:                           ;   in Loop: Header=BB1153_607 Depth=2
	v_cmp_gt_i64_e32 vcc_lo, 0, v[24:25]
	v_ashrrev_i32_e32 v2, 31, v25
	s_delay_alu instid0(VALU_DEP_1) | instskip(SKIP_2) | instid1(VALU_DEP_1)
	v_not_b32_e32 v2, v2
	s_wait_alu 0xfffd
	v_cndmask_b32_e64 v36, 0x7fffffff, 0, vcc_lo
	v_xor_b32_e32 v37, v36, v25
	s_delay_alu instid0(VALU_DEP_3) | instskip(NEXT) | instid1(VALU_DEP_1)
	v_xor_b32_e32 v36, v2, v24
	v_cmp_ne_u64_e32 vcc_lo, s[34:35], v[36:37]
	s_wait_alu 0xfffd
	v_cndmask_b32_e32 v37, 0x7fffffff, v37, vcc_lo
	v_cndmask_b32_e32 v36, -1, v36, vcc_lo
	s_delay_alu instid0(VALU_DEP_1) | instskip(NEXT) | instid1(VALU_DEP_1)
	v_lshrrev_b64 v[36:37], s31, v[36:37]
	v_and_b32_e32 v2, s56, v36
	s_delay_alu instid0(VALU_DEP_1) | instskip(SKIP_3) | instid1(SALU_CYCLE_1)
	v_lshl_or_b32 v2, v2, 4, v94
	ds_add_u32 v2, v121
	s_wait_alu 0xfffe
	s_or_b32 exec_lo, exec_lo, s6
	s_mov_b32 s6, exec_lo
	v_cmpx_gt_u32_e64 s7, v84
	s_cbranch_execz .LBB1153_635
.LBB1153_650:                           ;   in Loop: Header=BB1153_607 Depth=2
	v_cmp_gt_i64_e32 vcc_lo, 0, v[22:23]
	v_ashrrev_i32_e32 v2, 31, v23
	s_delay_alu instid0(VALU_DEP_1) | instskip(SKIP_2) | instid1(VALU_DEP_1)
	v_not_b32_e32 v2, v2
	s_wait_alu 0xfffd
	v_cndmask_b32_e64 v36, 0x7fffffff, 0, vcc_lo
	v_xor_b32_e32 v37, v36, v23
	s_delay_alu instid0(VALU_DEP_3) | instskip(NEXT) | instid1(VALU_DEP_1)
	v_xor_b32_e32 v36, v2, v22
	v_cmp_ne_u64_e32 vcc_lo, s[34:35], v[36:37]
	s_wait_alu 0xfffd
	v_cndmask_b32_e32 v37, 0x7fffffff, v37, vcc_lo
	v_cndmask_b32_e32 v36, -1, v36, vcc_lo
	s_delay_alu instid0(VALU_DEP_1) | instskip(NEXT) | instid1(VALU_DEP_1)
	v_lshrrev_b64 v[36:37], s31, v[36:37]
	v_and_b32_e32 v2, s56, v36
	s_delay_alu instid0(VALU_DEP_1) | instskip(SKIP_3) | instid1(SALU_CYCLE_1)
	v_lshl_or_b32 v2, v2, 4, v94
	ds_add_u32 v2, v121
	s_wait_alu 0xfffe
	s_or_b32 exec_lo, exec_lo, s6
	s_mov_b32 s6, exec_lo
	v_cmpx_gt_u32_e64 s7, v85
	s_cbranch_execz .LBB1153_636
.LBB1153_651:                           ;   in Loop: Header=BB1153_607 Depth=2
	v_cmp_gt_i64_e32 vcc_lo, 0, v[20:21]
	v_ashrrev_i32_e32 v2, 31, v21
	s_delay_alu instid0(VALU_DEP_1) | instskip(SKIP_2) | instid1(VALU_DEP_1)
	v_not_b32_e32 v2, v2
	s_wait_alu 0xfffd
	v_cndmask_b32_e64 v36, 0x7fffffff, 0, vcc_lo
	v_xor_b32_e32 v37, v36, v21
	s_delay_alu instid0(VALU_DEP_3) | instskip(NEXT) | instid1(VALU_DEP_1)
	v_xor_b32_e32 v36, v2, v20
	v_cmp_ne_u64_e32 vcc_lo, s[34:35], v[36:37]
	s_wait_alu 0xfffd
	v_cndmask_b32_e32 v37, 0x7fffffff, v37, vcc_lo
	v_cndmask_b32_e32 v36, -1, v36, vcc_lo
	s_delay_alu instid0(VALU_DEP_1) | instskip(NEXT) | instid1(VALU_DEP_1)
	v_lshrrev_b64 v[36:37], s31, v[36:37]
	v_and_b32_e32 v2, s56, v36
	s_delay_alu instid0(VALU_DEP_1) | instskip(SKIP_3) | instid1(SALU_CYCLE_1)
	v_lshl_or_b32 v2, v2, 4, v94
	ds_add_u32 v2, v121
	s_wait_alu 0xfffe
	s_or_b32 exec_lo, exec_lo, s6
	s_mov_b32 s6, exec_lo
	v_cmpx_gt_u32_e64 s7, v86
	s_cbranch_execz .LBB1153_637
.LBB1153_652:                           ;   in Loop: Header=BB1153_607 Depth=2
	v_cmp_gt_i64_e32 vcc_lo, 0, v[18:19]
	v_ashrrev_i32_e32 v2, 31, v19
	s_delay_alu instid0(VALU_DEP_1) | instskip(SKIP_2) | instid1(VALU_DEP_1)
	v_not_b32_e32 v2, v2
	s_wait_alu 0xfffd
	v_cndmask_b32_e64 v36, 0x7fffffff, 0, vcc_lo
	v_xor_b32_e32 v37, v36, v19
	s_delay_alu instid0(VALU_DEP_3) | instskip(NEXT) | instid1(VALU_DEP_1)
	v_xor_b32_e32 v36, v2, v18
	v_cmp_ne_u64_e32 vcc_lo, s[34:35], v[36:37]
	s_wait_alu 0xfffd
	v_cndmask_b32_e32 v37, 0x7fffffff, v37, vcc_lo
	v_cndmask_b32_e32 v36, -1, v36, vcc_lo
	s_delay_alu instid0(VALU_DEP_1) | instskip(NEXT) | instid1(VALU_DEP_1)
	v_lshrrev_b64 v[36:37], s31, v[36:37]
	v_and_b32_e32 v2, s56, v36
	s_delay_alu instid0(VALU_DEP_1) | instskip(SKIP_3) | instid1(SALU_CYCLE_1)
	v_lshl_or_b32 v2, v2, 4, v94
	ds_add_u32 v2, v121
	s_wait_alu 0xfffe
	s_or_b32 exec_lo, exec_lo, s6
	s_mov_b32 s6, exec_lo
	v_cmpx_gt_u32_e64 s7, v87
	s_cbranch_execz .LBB1153_638
.LBB1153_653:                           ;   in Loop: Header=BB1153_607 Depth=2
	v_cmp_gt_i64_e32 vcc_lo, 0, v[16:17]
	v_ashrrev_i32_e32 v2, 31, v17
	s_delay_alu instid0(VALU_DEP_1) | instskip(SKIP_2) | instid1(VALU_DEP_1)
	v_not_b32_e32 v2, v2
	s_wait_alu 0xfffd
	v_cndmask_b32_e64 v36, 0x7fffffff, 0, vcc_lo
	v_xor_b32_e32 v37, v36, v17
	s_delay_alu instid0(VALU_DEP_3) | instskip(NEXT) | instid1(VALU_DEP_1)
	v_xor_b32_e32 v36, v2, v16
	v_cmp_ne_u64_e32 vcc_lo, s[34:35], v[36:37]
	s_wait_alu 0xfffd
	v_cndmask_b32_e32 v37, 0x7fffffff, v37, vcc_lo
	v_cndmask_b32_e32 v36, -1, v36, vcc_lo
	s_delay_alu instid0(VALU_DEP_1) | instskip(NEXT) | instid1(VALU_DEP_1)
	v_lshrrev_b64 v[36:37], s31, v[36:37]
	v_and_b32_e32 v2, s56, v36
	s_delay_alu instid0(VALU_DEP_1) | instskip(SKIP_3) | instid1(SALU_CYCLE_1)
	v_lshl_or_b32 v2, v2, 4, v94
	ds_add_u32 v2, v121
	s_wait_alu 0xfffe
	s_or_b32 exec_lo, exec_lo, s6
	s_mov_b32 s6, exec_lo
	v_cmpx_gt_u32_e64 s7, v88
	s_cbranch_execz .LBB1153_639
.LBB1153_654:                           ;   in Loop: Header=BB1153_607 Depth=2
	v_cmp_gt_i64_e32 vcc_lo, 0, v[14:15]
	v_ashrrev_i32_e32 v2, 31, v15
	s_delay_alu instid0(VALU_DEP_1) | instskip(SKIP_2) | instid1(VALU_DEP_1)
	v_not_b32_e32 v2, v2
	s_wait_alu 0xfffd
	v_cndmask_b32_e64 v36, 0x7fffffff, 0, vcc_lo
	v_xor_b32_e32 v37, v36, v15
	s_delay_alu instid0(VALU_DEP_3) | instskip(NEXT) | instid1(VALU_DEP_1)
	v_xor_b32_e32 v36, v2, v14
	v_cmp_ne_u64_e32 vcc_lo, s[34:35], v[36:37]
	s_wait_alu 0xfffd
	v_cndmask_b32_e32 v37, 0x7fffffff, v37, vcc_lo
	v_cndmask_b32_e32 v36, -1, v36, vcc_lo
	s_delay_alu instid0(VALU_DEP_1) | instskip(NEXT) | instid1(VALU_DEP_1)
	v_lshrrev_b64 v[36:37], s31, v[36:37]
	v_and_b32_e32 v2, s56, v36
	s_delay_alu instid0(VALU_DEP_1) | instskip(SKIP_3) | instid1(SALU_CYCLE_1)
	v_lshl_or_b32 v2, v2, 4, v94
	ds_add_u32 v2, v121
	s_wait_alu 0xfffe
	s_or_b32 exec_lo, exec_lo, s6
	s_mov_b32 s6, exec_lo
	v_cmpx_gt_u32_e64 s7, v89
	s_cbranch_execz .LBB1153_640
.LBB1153_655:                           ;   in Loop: Header=BB1153_607 Depth=2
	v_cmp_gt_i64_e32 vcc_lo, 0, v[12:13]
	v_ashrrev_i32_e32 v2, 31, v13
	s_delay_alu instid0(VALU_DEP_1) | instskip(SKIP_2) | instid1(VALU_DEP_1)
	v_not_b32_e32 v2, v2
	s_wait_alu 0xfffd
	v_cndmask_b32_e64 v36, 0x7fffffff, 0, vcc_lo
	v_xor_b32_e32 v37, v36, v13
	s_delay_alu instid0(VALU_DEP_3) | instskip(NEXT) | instid1(VALU_DEP_1)
	v_xor_b32_e32 v36, v2, v12
	v_cmp_ne_u64_e32 vcc_lo, s[34:35], v[36:37]
	s_wait_alu 0xfffd
	v_cndmask_b32_e32 v37, 0x7fffffff, v37, vcc_lo
	v_cndmask_b32_e32 v36, -1, v36, vcc_lo
	s_delay_alu instid0(VALU_DEP_1) | instskip(NEXT) | instid1(VALU_DEP_1)
	v_lshrrev_b64 v[36:37], s31, v[36:37]
	v_and_b32_e32 v2, s56, v36
	s_delay_alu instid0(VALU_DEP_1) | instskip(SKIP_3) | instid1(SALU_CYCLE_1)
	v_lshl_or_b32 v2, v2, 4, v94
	ds_add_u32 v2, v121
	s_wait_alu 0xfffe
	s_or_b32 exec_lo, exec_lo, s6
	s_mov_b32 s6, exec_lo
	v_cmpx_gt_u32_e64 s7, v90
	s_cbranch_execz .LBB1153_641
.LBB1153_656:                           ;   in Loop: Header=BB1153_607 Depth=2
	v_cmp_gt_i64_e32 vcc_lo, 0, v[10:11]
	v_ashrrev_i32_e32 v2, 31, v11
	s_delay_alu instid0(VALU_DEP_1) | instskip(SKIP_2) | instid1(VALU_DEP_1)
	v_not_b32_e32 v2, v2
	s_wait_alu 0xfffd
	v_cndmask_b32_e64 v36, 0x7fffffff, 0, vcc_lo
	v_xor_b32_e32 v37, v36, v11
	s_delay_alu instid0(VALU_DEP_3) | instskip(NEXT) | instid1(VALU_DEP_1)
	v_xor_b32_e32 v36, v2, v10
	v_cmp_ne_u64_e32 vcc_lo, s[34:35], v[36:37]
	s_wait_alu 0xfffd
	v_cndmask_b32_e32 v37, 0x7fffffff, v37, vcc_lo
	v_cndmask_b32_e32 v36, -1, v36, vcc_lo
	s_delay_alu instid0(VALU_DEP_1) | instskip(NEXT) | instid1(VALU_DEP_1)
	v_lshrrev_b64 v[36:37], s31, v[36:37]
	v_and_b32_e32 v2, s56, v36
	s_delay_alu instid0(VALU_DEP_1) | instskip(SKIP_3) | instid1(SALU_CYCLE_1)
	v_lshl_or_b32 v2, v2, 4, v94
	ds_add_u32 v2, v121
	s_wait_alu 0xfffe
	s_or_b32 exec_lo, exec_lo, s6
	s_mov_b32 s6, exec_lo
	v_cmpx_gt_u32_e64 s7, v91
	s_cbranch_execz .LBB1153_642
.LBB1153_657:                           ;   in Loop: Header=BB1153_607 Depth=2
	v_cmp_gt_i64_e32 vcc_lo, 0, v[8:9]
	v_ashrrev_i32_e32 v2, 31, v9
	s_delay_alu instid0(VALU_DEP_1) | instskip(SKIP_2) | instid1(VALU_DEP_1)
	v_not_b32_e32 v2, v2
	s_wait_alu 0xfffd
	v_cndmask_b32_e64 v36, 0x7fffffff, 0, vcc_lo
	v_xor_b32_e32 v37, v36, v9
	s_delay_alu instid0(VALU_DEP_3) | instskip(NEXT) | instid1(VALU_DEP_1)
	v_xor_b32_e32 v36, v2, v8
	v_cmp_ne_u64_e32 vcc_lo, s[34:35], v[36:37]
	s_wait_alu 0xfffd
	v_cndmask_b32_e32 v37, 0x7fffffff, v37, vcc_lo
	v_cndmask_b32_e32 v36, -1, v36, vcc_lo
	s_delay_alu instid0(VALU_DEP_1) | instskip(NEXT) | instid1(VALU_DEP_1)
	v_lshrrev_b64 v[36:37], s31, v[36:37]
	v_and_b32_e32 v2, s56, v36
	s_delay_alu instid0(VALU_DEP_1) | instskip(SKIP_3) | instid1(SALU_CYCLE_1)
	v_lshl_or_b32 v2, v2, 4, v94
	ds_add_u32 v2, v121
	s_wait_alu 0xfffe
	s_or_b32 exec_lo, exec_lo, s6
	s_mov_b32 s6, exec_lo
	v_cmpx_gt_u32_e64 s7, v92
	s_cbranch_execz .LBB1153_643
.LBB1153_658:                           ;   in Loop: Header=BB1153_607 Depth=2
	v_cmp_gt_i64_e32 vcc_lo, 0, v[6:7]
	v_ashrrev_i32_e32 v2, 31, v7
	s_delay_alu instid0(VALU_DEP_1) | instskip(SKIP_2) | instid1(VALU_DEP_1)
	v_not_b32_e32 v2, v2
	s_wait_alu 0xfffd
	v_cndmask_b32_e64 v36, 0x7fffffff, 0, vcc_lo
	v_xor_b32_e32 v37, v36, v7
	s_delay_alu instid0(VALU_DEP_3) | instskip(NEXT) | instid1(VALU_DEP_1)
	v_xor_b32_e32 v36, v2, v6
	v_cmp_ne_u64_e32 vcc_lo, s[34:35], v[36:37]
	s_wait_alu 0xfffd
	v_cndmask_b32_e32 v37, 0x7fffffff, v37, vcc_lo
	v_cndmask_b32_e32 v36, -1, v36, vcc_lo
	s_delay_alu instid0(VALU_DEP_1) | instskip(NEXT) | instid1(VALU_DEP_1)
	v_lshrrev_b64 v[36:37], s31, v[36:37]
	v_and_b32_e32 v2, s56, v36
	s_delay_alu instid0(VALU_DEP_1) | instskip(SKIP_3) | instid1(SALU_CYCLE_1)
	v_lshl_or_b32 v2, v2, 4, v94
	ds_add_u32 v2, v121
	s_wait_alu 0xfffe
	s_or_b32 exec_lo, exec_lo, s6
	s_mov_b32 s6, exec_lo
	v_cmpx_gt_u32_e64 s7, v93
	s_cbranch_execz .LBB1153_606
.LBB1153_659:                           ;   in Loop: Header=BB1153_607 Depth=2
	v_cmp_gt_i64_e32 vcc_lo, 0, v[4:5]
	v_ashrrev_i32_e32 v2, 31, v5
	s_delay_alu instid0(VALU_DEP_1) | instskip(SKIP_2) | instid1(VALU_DEP_1)
	v_not_b32_e32 v2, v2
	s_wait_alu 0xfffd
	v_cndmask_b32_e64 v36, 0x7fffffff, 0, vcc_lo
	v_xor_b32_e32 v37, v36, v5
	s_delay_alu instid0(VALU_DEP_3) | instskip(NEXT) | instid1(VALU_DEP_1)
	v_xor_b32_e32 v36, v2, v4
	v_cmp_ne_u64_e32 vcc_lo, s[34:35], v[36:37]
	s_wait_alu 0xfffd
	v_cndmask_b32_e32 v37, 0x7fffffff, v37, vcc_lo
	v_cndmask_b32_e32 v36, -1, v36, vcc_lo
	s_delay_alu instid0(VALU_DEP_1) | instskip(NEXT) | instid1(VALU_DEP_1)
	v_lshrrev_b64 v[36:37], s31, v[36:37]
	v_and_b32_e32 v2, s56, v36
	s_delay_alu instid0(VALU_DEP_1)
	v_lshl_or_b32 v2, v2, 4, v94
	ds_add_u32 v2, v121
	s_branch .LBB1153_606
.LBB1153_660:                           ;   in Loop: Header=BB1153_607 Depth=2
	global_load_b64 v[34:35], v122, s[6:7]
	s_or_b32 exec_lo, exec_lo, s10
	s_delay_alu instid0(SALU_CYCLE_1)
	s_mov_b32 s10, exec_lo
	v_cmpx_gt_u32_e64 s8, v77
	s_cbranch_execz .LBB1153_612
.LBB1153_661:                           ;   in Loop: Header=BB1153_607 Depth=2
	global_load_b64 v[32:33], v122, s[6:7] offset:2048
	s_wait_alu 0xfffe
	s_or_b32 exec_lo, exec_lo, s10
	s_delay_alu instid0(SALU_CYCLE_1)
	s_mov_b32 s10, exec_lo
	v_cmpx_gt_u32_e64 s8, v78
	s_cbranch_execz .LBB1153_613
.LBB1153_662:                           ;   in Loop: Header=BB1153_607 Depth=2
	global_load_b64 v[30:31], v122, s[6:7] offset:4096
	s_wait_alu 0xfffe
	s_or_b32 exec_lo, exec_lo, s10
	s_delay_alu instid0(SALU_CYCLE_1)
	s_mov_b32 s10, exec_lo
	v_cmpx_gt_u32_e64 s8, v79
	s_cbranch_execz .LBB1153_614
.LBB1153_663:                           ;   in Loop: Header=BB1153_607 Depth=2
	global_load_b64 v[28:29], v122, s[6:7] offset:6144
	s_wait_alu 0xfffe
	s_or_b32 exec_lo, exec_lo, s10
	s_delay_alu instid0(SALU_CYCLE_1)
	s_mov_b32 s10, exec_lo
	v_cmpx_gt_u32_e64 s8, v82
	s_cbranch_execz .LBB1153_615
.LBB1153_664:                           ;   in Loop: Header=BB1153_607 Depth=2
	global_load_b64 v[26:27], v122, s[6:7] offset:8192
	s_wait_alu 0xfffe
	s_or_b32 exec_lo, exec_lo, s10
	s_delay_alu instid0(SALU_CYCLE_1)
	s_mov_b32 s10, exec_lo
	v_cmpx_gt_u32_e64 s8, v83
	s_cbranch_execz .LBB1153_616
.LBB1153_665:                           ;   in Loop: Header=BB1153_607 Depth=2
	global_load_b64 v[24:25], v122, s[6:7] offset:10240
	s_wait_alu 0xfffe
	s_or_b32 exec_lo, exec_lo, s10
	s_delay_alu instid0(SALU_CYCLE_1)
	s_mov_b32 s10, exec_lo
	v_cmpx_gt_u32_e64 s8, v84
	s_cbranch_execz .LBB1153_617
.LBB1153_666:                           ;   in Loop: Header=BB1153_607 Depth=2
	global_load_b64 v[22:23], v122, s[6:7] offset:12288
	s_wait_alu 0xfffe
	s_or_b32 exec_lo, exec_lo, s10
	s_delay_alu instid0(SALU_CYCLE_1)
	s_mov_b32 s10, exec_lo
	v_cmpx_gt_u32_e64 s8, v85
	s_cbranch_execz .LBB1153_618
.LBB1153_667:                           ;   in Loop: Header=BB1153_607 Depth=2
	global_load_b64 v[20:21], v122, s[6:7] offset:14336
	s_wait_alu 0xfffe
	s_or_b32 exec_lo, exec_lo, s10
	s_delay_alu instid0(SALU_CYCLE_1)
	s_mov_b32 s10, exec_lo
	v_cmpx_gt_u32_e64 s8, v86
	s_cbranch_execz .LBB1153_619
.LBB1153_668:                           ;   in Loop: Header=BB1153_607 Depth=2
	global_load_b64 v[18:19], v122, s[6:7] offset:16384
	s_wait_alu 0xfffe
	s_or_b32 exec_lo, exec_lo, s10
	s_delay_alu instid0(SALU_CYCLE_1)
	s_mov_b32 s10, exec_lo
	v_cmpx_gt_u32_e64 s8, v87
	s_cbranch_execz .LBB1153_620
.LBB1153_669:                           ;   in Loop: Header=BB1153_607 Depth=2
	global_load_b64 v[16:17], v122, s[6:7] offset:18432
	s_wait_alu 0xfffe
	s_or_b32 exec_lo, exec_lo, s10
	s_delay_alu instid0(SALU_CYCLE_1)
	s_mov_b32 s10, exec_lo
	v_cmpx_gt_u32_e64 s8, v88
	s_cbranch_execz .LBB1153_621
.LBB1153_670:                           ;   in Loop: Header=BB1153_607 Depth=2
	global_load_b64 v[14:15], v122, s[6:7] offset:20480
	s_wait_alu 0xfffe
	s_or_b32 exec_lo, exec_lo, s10
	s_delay_alu instid0(SALU_CYCLE_1)
	s_mov_b32 s10, exec_lo
	v_cmpx_gt_u32_e64 s8, v89
	s_cbranch_execz .LBB1153_622
.LBB1153_671:                           ;   in Loop: Header=BB1153_607 Depth=2
	global_load_b64 v[12:13], v122, s[6:7] offset:22528
	s_wait_alu 0xfffe
	s_or_b32 exec_lo, exec_lo, s10
	s_delay_alu instid0(SALU_CYCLE_1)
	s_mov_b32 s10, exec_lo
	v_cmpx_gt_u32_e64 s8, v90
	s_cbranch_execz .LBB1153_623
.LBB1153_672:                           ;   in Loop: Header=BB1153_607 Depth=2
	global_load_b64 v[10:11], v122, s[6:7] offset:24576
	s_wait_alu 0xfffe
	s_or_b32 exec_lo, exec_lo, s10
	s_delay_alu instid0(SALU_CYCLE_1)
	s_mov_b32 s10, exec_lo
	v_cmpx_gt_u32_e64 s8, v91
	s_cbranch_execz .LBB1153_624
.LBB1153_673:                           ;   in Loop: Header=BB1153_607 Depth=2
	global_load_b64 v[8:9], v122, s[6:7] offset:26624
	s_wait_alu 0xfffe
	s_or_b32 exec_lo, exec_lo, s10
	s_delay_alu instid0(SALU_CYCLE_1)
	s_mov_b32 s10, exec_lo
	v_cmpx_gt_u32_e64 s8, v92
	s_cbranch_execz .LBB1153_625
.LBB1153_674:                           ;   in Loop: Header=BB1153_607 Depth=2
	global_load_b64 v[6:7], v122, s[6:7] offset:28672
	s_wait_alu 0xfffe
	s_or_b32 exec_lo, exec_lo, s10
	s_delay_alu instid0(SALU_CYCLE_1)
	s_mov_b32 s10, exec_lo
	v_cmpx_gt_u32_e64 s8, v93
	s_cbranch_execnz .LBB1153_626
	s_branch .LBB1153_627
.LBB1153_675:                           ;   in Loop: Header=BB1153_17 Depth=1
	v_mov_b32_e32 v2, 0
	s_wait_dscnt 0x0
	s_barrier_signal -1
	s_barrier_wait -1
	global_inv scope:SCOPE_SE
	s_and_saveexec_b32 s6, s2
	s_cbranch_execz .LBB1153_677
; %bb.676:                              ;   in Loop: Header=BB1153_17 Depth=1
	ds_load_2addr_b64 v[4:7], v96 offset1:1
	s_wait_dscnt 0x0
	v_add_nc_u32_e32 v2, v5, v4
	s_delay_alu instid0(VALU_DEP_1)
	v_add3_u32 v2, v2, v6, v7
.LBB1153_677:                           ;   in Loop: Header=BB1153_17 Depth=1
	s_wait_alu 0xfffe
	s_or_b32 exec_lo, exec_lo, s6
	v_and_b32_e32 v4, 15, v123
	s_delay_alu instid0(VALU_DEP_2) | instskip(SKIP_1) | instid1(VALU_DEP_3)
	v_mov_b32_dpp v5, v2 row_shr:1 row_mask:0xf bank_mask:0xf
	v_and_b32_e32 v6, 16, v123
	v_cmp_eq_u32_e64 s6, 0, v4
	v_cmp_lt_u32_e64 s7, 1, v4
	v_cmp_lt_u32_e64 s8, 3, v4
	;; [unrolled: 1-line block ×3, first 2 shown]
	v_cmp_eq_u32_e64 s10, 0, v6
	s_wait_alu 0xf1ff
	v_cndmask_b32_e64 v5, v5, 0, s6
	s_delay_alu instid0(VALU_DEP_1) | instskip(NEXT) | instid1(VALU_DEP_1)
	v_add_nc_u32_e32 v2, v5, v2
	v_mov_b32_dpp v5, v2 row_shr:2 row_mask:0xf bank_mask:0xf
	s_delay_alu instid0(VALU_DEP_1) | instskip(NEXT) | instid1(VALU_DEP_1)
	v_cndmask_b32_e64 v5, 0, v5, s7
	v_add_nc_u32_e32 v2, v2, v5
	s_delay_alu instid0(VALU_DEP_1) | instskip(NEXT) | instid1(VALU_DEP_1)
	v_mov_b32_dpp v5, v2 row_shr:4 row_mask:0xf bank_mask:0xf
	v_cndmask_b32_e64 v5, 0, v5, s8
	s_delay_alu instid0(VALU_DEP_1) | instskip(NEXT) | instid1(VALU_DEP_1)
	v_add_nc_u32_e32 v2, v2, v5
	v_mov_b32_dpp v5, v2 row_shr:8 row_mask:0xf bank_mask:0xf
	s_delay_alu instid0(VALU_DEP_1) | instskip(SKIP_1) | instid1(VALU_DEP_2)
	v_cndmask_b32_e64 v4, 0, v5, s9
	v_bfe_i32 v5, v123, 4, 1
	v_add_nc_u32_e32 v2, v2, v4
	ds_swizzle_b32 v4, v2 offset:swizzle(BROADCAST,32,15)
	s_wait_dscnt 0x0
	v_and_b32_e32 v4, v5, v4
	s_delay_alu instid0(VALU_DEP_1)
	v_add_nc_u32_e32 v4, v2, v4
	s_and_saveexec_b32 s11, s3
; %bb.678:                              ;   in Loop: Header=BB1153_17 Depth=1
	ds_store_b32 v97, v4
; %bb.679:                              ;   in Loop: Header=BB1153_17 Depth=1
	s_wait_alu 0xfffe
	s_or_b32 exec_lo, exec_lo, s11
	v_and_b32_e32 v2, 7, v123
	s_wait_loadcnt_dscnt 0x0
	s_barrier_signal -1
	s_barrier_wait -1
	global_inv scope:SCOPE_SE
	s_and_saveexec_b32 s11, s4
	s_cbranch_execz .LBB1153_681
; %bb.680:                              ;   in Loop: Header=BB1153_17 Depth=1
	ds_load_b32 v5, v98
	v_cmp_ne_u32_e32 vcc_lo, 0, v2
	s_wait_dscnt 0x0
	v_mov_b32_dpp v6, v5 row_shr:1 row_mask:0xf bank_mask:0xf
	s_wait_alu 0xfffd
	s_delay_alu instid0(VALU_DEP_1) | instskip(SKIP_1) | instid1(VALU_DEP_2)
	v_cndmask_b32_e32 v6, 0, v6, vcc_lo
	v_cmp_lt_u32_e32 vcc_lo, 1, v2
	v_add_nc_u32_e32 v5, v6, v5
	s_delay_alu instid0(VALU_DEP_1) | instskip(SKIP_1) | instid1(VALU_DEP_1)
	v_mov_b32_dpp v6, v5 row_shr:2 row_mask:0xf bank_mask:0xf
	s_wait_alu 0xfffd
	v_cndmask_b32_e32 v6, 0, v6, vcc_lo
	v_cmp_lt_u32_e32 vcc_lo, 3, v2
	s_delay_alu instid0(VALU_DEP_2) | instskip(NEXT) | instid1(VALU_DEP_1)
	v_add_nc_u32_e32 v5, v5, v6
	v_mov_b32_dpp v6, v5 row_shr:4 row_mask:0xf bank_mask:0xf
	s_wait_alu 0xfffd
	s_delay_alu instid0(VALU_DEP_1) | instskip(NEXT) | instid1(VALU_DEP_1)
	v_cndmask_b32_e32 v6, 0, v6, vcc_lo
	v_add_nc_u32_e32 v5, v5, v6
	ds_store_b32 v98, v5
.LBB1153_681:                           ;   in Loop: Header=BB1153_17 Depth=1
	s_wait_alu 0xfffe
	s_or_b32 exec_lo, exec_lo, s11
	v_mov_b32_e32 v5, 0
	s_wait_loadcnt_dscnt 0x0
	s_barrier_signal -1
	s_barrier_wait -1
	global_inv scope:SCOPE_SE
	s_and_saveexec_b32 s11, s5
; %bb.682:                              ;   in Loop: Header=BB1153_17 Depth=1
	ds_load_b32 v5, v99
; %bb.683:                              ;   in Loop: Header=BB1153_17 Depth=1
	s_wait_alu 0xfffe
	s_or_b32 exec_lo, exec_lo, s11
	v_sub_co_u32 v6, s11, v123, 1
	s_wait_dscnt 0x0
	v_add_nc_u32_e32 v4, v5, v4
	s_wait_loadcnt 0x0
	s_barrier_signal -1
	v_cmp_gt_i32_e32 vcc_lo, 0, v6
	s_barrier_wait -1
	global_inv scope:SCOPE_SE
	s_wait_alu 0xfffd
	v_cndmask_b32_e32 v6, v6, v123, vcc_lo
	s_delay_alu instid0(VALU_DEP_1)
	v_lshlrev_b32_e32 v124, 2, v6
	ds_bpermute_b32 v4, v124, v4
	s_and_saveexec_b32 s12, s2
	s_cbranch_execz .LBB1153_685
; %bb.684:                              ;   in Loop: Header=BB1153_17 Depth=1
	s_wait_dscnt 0x0
	v_cndmask_b32_e64 v4, v4, v5, s11
	s_delay_alu instid0(VALU_DEP_1)
	v_add_nc_u32_e32 v4, s33, v4
	ds_store_b32 v76, v4
.LBB1153_685:                           ;   in Loop: Header=BB1153_17 Depth=1
	s_wait_alu 0xfffe
	s_or_b32 exec_lo, exec_lo, s12
	s_load_b64 s[12:13], s[52:53], 0x0
	s_mov_b32 s15, s34
	v_lshlrev_b32_e32 v6, 3, v123
	v_or_b32_e32 v125, v123, v100
	s_mov_b32 s57, s55
	s_mov_b32 s42, s33
                                        ; implicit-def: $vgpr8_vgpr9
                                        ; implicit-def: $vgpr10_vgpr11
                                        ; implicit-def: $vgpr12_vgpr13
                                        ; implicit-def: $vgpr14_vgpr15
                                        ; implicit-def: $vgpr16_vgpr17
                                        ; implicit-def: $vgpr18_vgpr19
                                        ; implicit-def: $vgpr20_vgpr21
                                        ; implicit-def: $vgpr22_vgpr23
                                        ; implicit-def: $vgpr24_vgpr25
                                        ; implicit-def: $vgpr26_vgpr27
                                        ; implicit-def: $vgpr28_vgpr29
                                        ; implicit-def: $vgpr30_vgpr31
                                        ; implicit-def: $vgpr32_vgpr33
                                        ; implicit-def: $vgpr34_vgpr35
                                        ; implicit-def: $vgpr146
                                        ; implicit-def: $vgpr147
                                        ; implicit-def: $vgpr148
                                        ; implicit-def: $vgpr149
                                        ; implicit-def: $vgpr150
                                        ; implicit-def: $vgpr151
                                        ; implicit-def: $vgpr152
                                        ; implicit-def: $vgpr153
                                        ; implicit-def: $vgpr154
                                        ; implicit-def: $vgpr155
                                        ; implicit-def: $vgpr156
                                        ; implicit-def: $vgpr157
                                        ; implicit-def: $vgpr158
                                        ; implicit-def: $vgpr159
                                        ; implicit-def: $vgpr160
                                        ; implicit-def: $vgpr161
	s_delay_alu instid0(VALU_DEP_2)
	v_add_co_u32 v126, vcc_lo, v117, v6
	s_wait_alu 0xfffd
	v_add_co_ci_u32_e64 v127, null, 0, v118, vcc_lo
	v_add_co_u32 v143, vcc_lo, v119, v6
	v_or_b32_e32 v128, 32, v125
	v_or_b32_e32 v129, 64, v125
	;; [unrolled: 1-line block ×7, first 2 shown]
	s_wait_kmcnt 0x0
	s_cmp_lt_u32 ttmp7, s13
	s_mov_b32 s13, s34
	s_cselect_b32 s14, 14, 20
	s_cmp_lt_u32 ttmp9, s12
	s_wait_alu 0xfffe
	s_add_nc_u64 s[14:15], s[52:53], s[14:15]
	s_cselect_b32 s12, 12, 18
	s_load_u16 s15, s[14:15], 0x0
	s_add_nc_u64 s[12:13], s[52:53], s[12:13]
	v_or_b32_e32 v135, 0x100, v125
	s_load_u16 s16, s[12:13], 0x0
	v_cmp_eq_u32_e64 s12, 0, v2
	v_cmp_lt_u32_e64 s13, 1, v2
	v_cmp_lt_u32_e64 s14, 3, v2
	v_or_b32_e32 v136, 0x120, v125
	v_or_b32_e32 v137, 0x140, v125
	;; [unrolled: 1-line block ×7, first 2 shown]
	v_add_co_ci_u32_e64 v144, null, 0, v120, vcc_lo
                                        ; implicit-def: $vgpr6_vgpr7
	s_wait_kmcnt 0x0
	v_mad_u32_u24 v2, v102, s15, v0
	s_wait_dscnt 0x0
	s_delay_alu instid0(VALU_DEP_1) | instskip(NEXT) | instid1(VALU_DEP_1)
	v_mad_co_u64_u32 v[4:5], null, v2, s16, v[1:2]
	v_lshrrev_b32_e32 v2, 3, v4
                                        ; implicit-def: $vgpr4_vgpr5
	s_delay_alu instid0(VALU_DEP_1)
	v_and_b32_e32 v145, 0x1ffffffc, v2
	s_branch .LBB1153_687
.LBB1153_686:                           ;   in Loop: Header=BB1153_687 Depth=2
	s_wait_alu 0xfffe
	s_or_b32 exec_lo, exec_lo, s15
	s_addk_co_i32 s57, 0xf000
	s_cmp_lt_u32 s58, s51
	s_mov_b32 s42, s58
	s_cbranch_scc0 .LBB1153_895
.LBB1153_687:                           ;   Parent Loop BB1153_17 Depth=1
                                        ; =>  This Inner Loop Header: Depth=2
	s_wait_alu 0xfffe
	s_add_co_i32 s58, s42, 0x1000
	s_wait_alu 0xfffe
	s_cmp_gt_u32 s58, s51
	s_cbranch_scc1 .LBB1153_689
; %bb.688:                              ;   in Loop: Header=BB1153_687 Depth=2
	s_mov_b32 s43, s34
	s_mov_b32 s15, -1
	s_wait_alu 0xfffe
	s_lshl_b64 s[16:17], s[42:43], 3
	s_wait_alu 0xfffe
	v_add_co_u32 v42, vcc_lo, v143, s16
	s_wait_alu 0xfffd
	v_add_co_ci_u32_e64 v43, null, s17, v144, vcc_lo
	s_clause 0xe
	global_load_b64 v[36:37], v[42:43], off
	global_load_b64 v[38:39], v[42:43], off offset:256
	global_load_b64 v[40:41], v[42:43], off offset:512
	;; [unrolled: 1-line block ×14, first 2 shown]
	s_movk_i32 s16, 0x1000
	s_cbranch_execz .LBB1153_690
	s_branch .LBB1153_721
.LBB1153_689:                           ;   in Loop: Header=BB1153_687 Depth=2
	s_mov_b32 s15, 0
                                        ; implicit-def: $vgpr36_vgpr37
                                        ; implicit-def: $vgpr38_vgpr39
                                        ; implicit-def: $vgpr40_vgpr41
                                        ; implicit-def: $vgpr48_vgpr49
                                        ; implicit-def: $vgpr52_vgpr53
                                        ; implicit-def: $vgpr56_vgpr57
                                        ; implicit-def: $vgpr60_vgpr61
                                        ; implicit-def: $vgpr64_vgpr65
                                        ; implicit-def: $vgpr66_vgpr67
                                        ; implicit-def: $vgpr62_vgpr63
                                        ; implicit-def: $vgpr58_vgpr59
                                        ; implicit-def: $vgpr54_vgpr55
                                        ; implicit-def: $vgpr50_vgpr51
                                        ; implicit-def: $vgpr46_vgpr47
                                        ; implicit-def: $vgpr44_vgpr45
	s_movk_i32 s16, 0x1000
.LBB1153_690:                           ;   in Loop: Header=BB1153_687 Depth=2
	s_mov_b32 s43, s34
	s_wait_loadcnt 0xd
	v_mov_b32_e32 v38, -1
	s_wait_alu 0xfffe
	s_lshl_b64 s[16:17], s[42:43], 3
	v_dual_mov_b32 v39, -1 :: v_dual_mov_b32 v36, -1
	s_wait_alu 0xfffe
	v_add_co_u32 v42, vcc_lo, v143, s16
	s_wait_alu 0xfffd
	v_add_co_ci_u32_e64 v43, null, s17, v144, vcc_lo
	v_mov_b32_e32 v37, -1
	s_mov_b32 s15, exec_lo
	v_cmpx_gt_u32_e64 s57, v125
	s_cbranch_execz .LBB1153_692
; %bb.691:                              ;   in Loop: Header=BB1153_687 Depth=2
	global_load_b64 v[36:37], v[42:43], off
.LBB1153_692:                           ;   in Loop: Header=BB1153_687 Depth=2
	s_wait_alu 0xfffe
	s_or_b32 exec_lo, exec_lo, s15
	s_delay_alu instid0(SALU_CYCLE_1)
	s_mov_b32 s15, exec_lo
	v_cmpx_gt_u32_e64 s57, v128
	s_cbranch_execz .LBB1153_694
; %bb.693:                              ;   in Loop: Header=BB1153_687 Depth=2
	global_load_b64 v[38:39], v[42:43], off offset:256
.LBB1153_694:                           ;   in Loop: Header=BB1153_687 Depth=2
	s_wait_alu 0xfffe
	s_or_b32 exec_lo, exec_lo, s15
	s_wait_loadcnt 0xb
	v_mov_b32_e32 v48, -1
	v_dual_mov_b32 v49, -1 :: v_dual_mov_b32 v40, -1
	v_mov_b32_e32 v41, -1
	s_mov_b32 s15, exec_lo
	v_cmpx_gt_u32_e64 s57, v129
	s_cbranch_execz .LBB1153_696
; %bb.695:                              ;   in Loop: Header=BB1153_687 Depth=2
	global_load_b64 v[40:41], v[42:43], off offset:512
.LBB1153_696:                           ;   in Loop: Header=BB1153_687 Depth=2
	s_wait_alu 0xfffe
	s_or_b32 exec_lo, exec_lo, s15
	s_delay_alu instid0(SALU_CYCLE_1)
	s_mov_b32 s15, exec_lo
	v_cmpx_gt_u32_e64 s57, v130
	s_cbranch_execz .LBB1153_698
; %bb.697:                              ;   in Loop: Header=BB1153_687 Depth=2
	global_load_b64 v[48:49], v[42:43], off offset:768
.LBB1153_698:                           ;   in Loop: Header=BB1153_687 Depth=2
	s_wait_alu 0xfffe
	s_or_b32 exec_lo, exec_lo, s15
	s_wait_loadcnt 0x9
	v_mov_b32_e32 v56, -1
	v_dual_mov_b32 v57, -1 :: v_dual_mov_b32 v52, -1
	v_mov_b32_e32 v53, -1
	s_mov_b32 s15, exec_lo
	v_cmpx_gt_u32_e64 s57, v131
	s_cbranch_execz .LBB1153_700
; %bb.699:                              ;   in Loop: Header=BB1153_687 Depth=2
	global_load_b64 v[52:53], v[42:43], off offset:1024
.LBB1153_700:                           ;   in Loop: Header=BB1153_687 Depth=2
	;; [unrolled: 21-line block ×6, first 2 shown]
	s_wait_alu 0xfffe
	s_or_b32 exec_lo, exec_lo, s15
	s_delay_alu instid0(SALU_CYCLE_1)
	s_mov_b32 s15, exec_lo
	v_cmpx_gt_u32_e64 s57, v140
	s_cbranch_execz .LBB1153_718
; %bb.717:                              ;   in Loop: Header=BB1153_687 Depth=2
	global_load_b64 v[46:47], v[42:43], off offset:3328
.LBB1153_718:                           ;   in Loop: Header=BB1153_687 Depth=2
	s_wait_alu 0xfffe
	s_or_b32 exec_lo, exec_lo, s15
	s_wait_loadcnt 0x0
	v_mov_b32_e32 v44, -1
	v_mov_b32_e32 v45, -1
	s_mov_b32 s15, exec_lo
	v_cmpx_gt_u32_e64 s57, v141
	s_cbranch_execz .LBB1153_720
; %bb.719:                              ;   in Loop: Header=BB1153_687 Depth=2
	global_load_b64 v[44:45], v[42:43], off offset:3584
.LBB1153_720:                           ;   in Loop: Header=BB1153_687 Depth=2
	s_wait_alu 0xfffe
	s_or_b32 exec_lo, exec_lo, s15
	v_cmp_gt_u32_e64 s15, s57, v142
	s_sub_co_i32 s16, s51, s42
.LBB1153_721:                           ;   in Loop: Header=BB1153_687 Depth=2
	v_mov_b32_e32 v42, -1
	v_dual_mov_b32 v43, -1 :: v_dual_mov_b32 v162, s57
	s_and_saveexec_b32 s17, s15
	s_cbranch_execz .LBB1153_723
; %bb.722:                              ;   in Loop: Header=BB1153_687 Depth=2
	s_lshl_b64 s[18:19], s[42:43], 3
	s_wait_alu 0xfffe
	v_mov_b32_e32 v162, s16
	v_add_co_u32 v42, vcc_lo, v143, s18
	s_wait_alu 0xfffd
	v_add_co_ci_u32_e64 v43, null, s19, v144, vcc_lo
	global_load_b64 v[42:43], v[42:43], off offset:3840
.LBB1153_723:                           ;   in Loop: Header=BB1153_687 Depth=2
	s_wait_alu 0xfffe
	s_or_b32 exec_lo, exec_lo, s17
	s_wait_loadcnt 0xe
	v_cmp_gt_i64_e32 vcc_lo, 0, v[36:37]
	v_ashrrev_i32_e32 v2, 31, v37
	v_add_nc_u32_e32 v164, 0x420, v101
	v_add_nc_u32_e32 v165, 0x428, v101
	;; [unrolled: 1-line block ×3, first 2 shown]
	s_delay_alu instid0(VALU_DEP_4) | instskip(SKIP_2) | instid1(VALU_DEP_2)
	v_not_b32_e32 v2, v2
	s_wait_alu 0xfffd
	v_cndmask_b32_e64 v68, 0x7fffffff, 0, vcc_lo
	v_xor_b32_e32 v36, v2, v36
	s_delay_alu instid0(VALU_DEP_2) | instskip(NEXT) | instid1(VALU_DEP_1)
	v_xor_b32_e32 v37, v68, v37
	v_cmp_ne_u64_e32 vcc_lo, s[34:35], v[36:37]
	s_wait_alu 0xfffd
	v_cndmask_b32_e32 v69, 0x7fffffff, v37, vcc_lo
	v_cndmask_b32_e32 v68, -1, v36, vcc_lo
	s_delay_alu instid0(VALU_DEP_1) | instskip(NEXT) | instid1(VALU_DEP_1)
	v_lshrrev_b64 v[68:69], s31, v[68:69]
	v_and_b32_e32 v69, s56, v68
	s_delay_alu instid0(VALU_DEP_1)
	v_and_b32_e32 v2, 1, v69
	v_lshlrev_b32_e32 v68, 30, v69
	v_lshlrev_b32_e32 v70, 29, v69
	;; [unrolled: 1-line block ×4, first 2 shown]
	v_add_co_u32 v2, s15, v2, -1
	s_wait_alu 0xf1ff
	v_cndmask_b32_e64 v72, 0, 1, s15
	v_not_b32_e32 v163, v68
	v_cmp_gt_i32_e64 s15, 0, v68
	v_not_b32_e32 v68, v70
	v_lshlrev_b32_e32 v74, 26, v69
	v_cmp_ne_u32_e32 vcc_lo, 0, v72
	v_ashrrev_i32_e32 v163, 31, v163
	v_lshlrev_b32_e32 v75, 25, v69
	v_ashrrev_i32_e32 v68, 31, v68
	v_lshlrev_b32_e32 v72, 24, v69
	s_wait_alu 0xfffd
	v_xor_b32_e32 v2, vcc_lo, v2
	v_cmp_gt_i32_e32 vcc_lo, 0, v70
	v_not_b32_e32 v70, v71
	s_wait_alu 0xf1ff
	v_xor_b32_e32 v163, s15, v163
	v_cmp_gt_i32_e64 s15, 0, v71
	v_and_b32_e32 v2, exec_lo, v2
	v_not_b32_e32 v71, v73
	v_ashrrev_i32_e32 v70, 31, v70
	s_wait_alu 0xfffd
	v_xor_b32_e32 v68, vcc_lo, v68
	v_cmp_gt_i32_e32 vcc_lo, 0, v73
	v_and_b32_e32 v2, v2, v163
	v_not_b32_e32 v73, v74
	v_ashrrev_i32_e32 v71, 31, v71
	s_wait_alu 0xf1ff
	v_xor_b32_e32 v70, s15, v70
	v_cmp_gt_i32_e64 s15, 0, v74
	v_and_b32_e32 v2, v2, v68
	v_not_b32_e32 v68, v75
	v_ashrrev_i32_e32 v73, 31, v73
	s_wait_alu 0xfffd
	v_xor_b32_e32 v71, vcc_lo, v71
	v_cmp_gt_i32_e32 vcc_lo, 0, v75
	v_and_b32_e32 v2, v2, v70
	v_not_b32_e32 v70, v72
	v_ashrrev_i32_e32 v68, 31, v68
	s_wait_alu 0xf1ff
	v_xor_b32_e32 v73, s15, v73
	v_cmp_gt_i32_e64 s15, 0, v72
	v_and_b32_e32 v2, v2, v71
	v_ashrrev_i32_e32 v70, 31, v70
	s_wait_alu 0xfffd
	v_xor_b32_e32 v68, vcc_lo, v68
	v_mul_u32_u24_e32 v69, 36, v69
	v_add_nc_u32_e32 v163, 0x438, v101
	v_and_b32_e32 v2, v2, v73
	s_wait_alu 0xf1ff
	v_xor_b32_e32 v70, s15, v70
	v_add_nc_u32_e32 v167, v145, v69
	ds_store_2addr_b32 v163, v3, v3 offset1:1
	v_and_b32_e32 v2, v2, v68
	ds_store_2addr_b32 v164, v3, v3 offset1:1
	ds_store_2addr_b32 v165, v3, v3 offset1:1
	;; [unrolled: 1-line block ×3, first 2 shown]
	ds_store_b32 v101, v3 offset:1088
	s_wait_loadcnt_dscnt 0x0
	s_barrier_signal -1
	s_barrier_wait -1
	v_and_b32_e32 v68, v2, v70
	global_inv scope:SCOPE_SE
	; wave barrier
	v_mbcnt_lo_u32_b32 v2, v68, 0
	v_cmp_ne_u32_e64 s15, 0, v68
	s_delay_alu instid0(VALU_DEP_2)
	v_cmp_eq_u32_e32 vcc_lo, 0, v2
	s_and_b32 s16, s15, vcc_lo
	s_wait_alu 0xfffe
	s_and_saveexec_b32 s15, s16
; %bb.724:                              ;   in Loop: Header=BB1153_687 Depth=2
	v_bcnt_u32_b32 v68, v68, 0
	ds_store_b32 v167, v68 offset:1056
; %bb.725:                              ;   in Loop: Header=BB1153_687 Depth=2
	s_wait_alu 0xfffe
	s_or_b32 exec_lo, exec_lo, s15
	v_cmp_gt_i64_e32 vcc_lo, 0, v[38:39]
	v_ashrrev_i32_e32 v68, 31, v39
	; wave barrier
	s_delay_alu instid0(VALU_DEP_1) | instskip(SKIP_2) | instid1(VALU_DEP_2)
	v_not_b32_e32 v68, v68
	s_wait_alu 0xfffd
	v_cndmask_b32_e64 v69, 0x7fffffff, 0, vcc_lo
	v_xor_b32_e32 v38, v68, v38
	s_delay_alu instid0(VALU_DEP_2) | instskip(NEXT) | instid1(VALU_DEP_1)
	v_xor_b32_e32 v39, v69, v39
	v_cmp_ne_u64_e32 vcc_lo, s[34:35], v[38:39]
	s_wait_alu 0xfffd
	v_cndmask_b32_e32 v69, 0x7fffffff, v39, vcc_lo
	v_cndmask_b32_e32 v68, -1, v38, vcc_lo
	s_delay_alu instid0(VALU_DEP_1) | instskip(NEXT) | instid1(VALU_DEP_1)
	v_lshrrev_b64 v[68:69], s31, v[68:69]
	v_and_b32_e32 v69, s56, v68
	s_delay_alu instid0(VALU_DEP_1)
	v_and_b32_e32 v68, 1, v69
	v_lshlrev_b32_e32 v70, 30, v69
	v_lshlrev_b32_e32 v71, 29, v69
	;; [unrolled: 1-line block ×4, first 2 shown]
	v_add_co_u32 v68, s15, v68, -1
	s_wait_alu 0xf1ff
	v_cndmask_b32_e64 v73, 0, 1, s15
	v_not_b32_e32 v169, v70
	v_cmp_gt_i32_e64 s15, 0, v70
	v_not_b32_e32 v70, v71
	v_lshlrev_b32_e32 v75, 26, v69
	v_cmp_ne_u32_e32 vcc_lo, 0, v73
	v_ashrrev_i32_e32 v169, 31, v169
	v_lshlrev_b32_e32 v168, 25, v69
	v_ashrrev_i32_e32 v70, 31, v70
	v_lshlrev_b32_e32 v73, 24, v69
	s_wait_alu 0xfffd
	v_xor_b32_e32 v68, vcc_lo, v68
	v_cmp_gt_i32_e32 vcc_lo, 0, v71
	v_not_b32_e32 v71, v72
	s_wait_alu 0xf1ff
	v_xor_b32_e32 v169, s15, v169
	v_cmp_gt_i32_e64 s15, 0, v72
	v_and_b32_e32 v68, exec_lo, v68
	v_not_b32_e32 v72, v74
	v_ashrrev_i32_e32 v71, 31, v71
	s_wait_alu 0xfffd
	v_xor_b32_e32 v70, vcc_lo, v70
	v_cmp_gt_i32_e32 vcc_lo, 0, v74
	v_and_b32_e32 v68, v68, v169
	v_not_b32_e32 v74, v75
	v_ashrrev_i32_e32 v72, 31, v72
	s_wait_alu 0xf1ff
	v_xor_b32_e32 v71, s15, v71
	v_cmp_gt_i32_e64 s15, 0, v75
	v_and_b32_e32 v68, v68, v70
	v_not_b32_e32 v70, v168
	v_ashrrev_i32_e32 v74, 31, v74
	s_wait_alu 0xfffd
	v_xor_b32_e32 v72, vcc_lo, v72
	v_cmp_gt_i32_e32 vcc_lo, 0, v168
	v_and_b32_e32 v68, v68, v71
	v_not_b32_e32 v71, v73
	v_ashrrev_i32_e32 v70, 31, v70
	s_wait_alu 0xf1ff
	v_xor_b32_e32 v74, s15, v74
	v_cmp_gt_i32_e64 s15, 0, v73
	v_and_b32_e32 v68, v68, v72
	v_ashrrev_i32_e32 v71, 31, v71
	s_wait_alu 0xfffd
	v_xor_b32_e32 v70, vcc_lo, v70
	v_mad_u32_u24 v72, v69, 36, v145
	v_mul_u32_u24_e32 v69, 36, v69
	v_and_b32_e32 v68, v68, v74
	s_wait_alu 0xf1ff
	v_xor_b32_e32 v71, s15, v71
	ds_load_b32 v168, v72 offset:1056
	v_add_nc_u32_e32 v170, v145, v69
	v_and_b32_e32 v68, v68, v70
	; wave barrier
	s_delay_alu instid0(VALU_DEP_1) | instskip(NEXT) | instid1(VALU_DEP_1)
	v_and_b32_e32 v68, v68, v71
	v_mbcnt_lo_u32_b32 v169, v68, 0
	v_cmp_ne_u32_e64 s15, 0, v68
	s_delay_alu instid0(VALU_DEP_2)
	v_cmp_eq_u32_e32 vcc_lo, 0, v169
	s_and_b32 s16, s15, vcc_lo
	s_wait_alu 0xfffe
	s_and_saveexec_b32 s15, s16
	s_cbranch_execz .LBB1153_727
; %bb.726:                              ;   in Loop: Header=BB1153_687 Depth=2
	s_wait_dscnt 0x0
	v_bcnt_u32_b32 v68, v68, v168
	ds_store_b32 v170, v68 offset:1056
.LBB1153_727:                           ;   in Loop: Header=BB1153_687 Depth=2
	s_wait_alu 0xfffe
	s_or_b32 exec_lo, exec_lo, s15
	v_cmp_gt_i64_e32 vcc_lo, 0, v[40:41]
	v_ashrrev_i32_e32 v68, 31, v41
	; wave barrier
	s_delay_alu instid0(VALU_DEP_1) | instskip(SKIP_2) | instid1(VALU_DEP_2)
	v_not_b32_e32 v68, v68
	s_wait_alu 0xfffd
	v_cndmask_b32_e64 v69, 0x7fffffff, 0, vcc_lo
	v_xor_b32_e32 v40, v68, v40
	s_delay_alu instid0(VALU_DEP_2) | instskip(NEXT) | instid1(VALU_DEP_1)
	v_xor_b32_e32 v41, v69, v41
	v_cmp_ne_u64_e32 vcc_lo, s[34:35], v[40:41]
	s_wait_alu 0xfffd
	v_cndmask_b32_e32 v69, 0x7fffffff, v41, vcc_lo
	v_cndmask_b32_e32 v68, -1, v40, vcc_lo
	s_delay_alu instid0(VALU_DEP_1) | instskip(NEXT) | instid1(VALU_DEP_1)
	v_lshrrev_b64 v[68:69], s31, v[68:69]
	v_and_b32_e32 v69, s56, v68
	s_delay_alu instid0(VALU_DEP_1)
	v_and_b32_e32 v68, 1, v69
	v_lshlrev_b32_e32 v70, 30, v69
	v_lshlrev_b32_e32 v71, 29, v69
	;; [unrolled: 1-line block ×4, first 2 shown]
	v_add_co_u32 v68, s15, v68, -1
	s_wait_alu 0xf1ff
	v_cndmask_b32_e64 v73, 0, 1, s15
	v_not_b32_e32 v172, v70
	v_cmp_gt_i32_e64 s15, 0, v70
	v_not_b32_e32 v70, v71
	v_lshlrev_b32_e32 v75, 26, v69
	v_cmp_ne_u32_e32 vcc_lo, 0, v73
	v_ashrrev_i32_e32 v172, 31, v172
	v_lshlrev_b32_e32 v171, 25, v69
	v_ashrrev_i32_e32 v70, 31, v70
	v_lshlrev_b32_e32 v73, 24, v69
	s_wait_alu 0xfffd
	v_xor_b32_e32 v68, vcc_lo, v68
	v_cmp_gt_i32_e32 vcc_lo, 0, v71
	v_not_b32_e32 v71, v72
	s_wait_alu 0xf1ff
	v_xor_b32_e32 v172, s15, v172
	v_cmp_gt_i32_e64 s15, 0, v72
	v_and_b32_e32 v68, exec_lo, v68
	v_not_b32_e32 v72, v74
	v_ashrrev_i32_e32 v71, 31, v71
	s_wait_alu 0xfffd
	v_xor_b32_e32 v70, vcc_lo, v70
	v_cmp_gt_i32_e32 vcc_lo, 0, v74
	v_and_b32_e32 v68, v68, v172
	v_not_b32_e32 v74, v75
	v_ashrrev_i32_e32 v72, 31, v72
	s_wait_alu 0xf1ff
	v_xor_b32_e32 v71, s15, v71
	v_cmp_gt_i32_e64 s15, 0, v75
	v_and_b32_e32 v68, v68, v70
	v_not_b32_e32 v70, v171
	v_ashrrev_i32_e32 v74, 31, v74
	s_wait_alu 0xfffd
	v_xor_b32_e32 v72, vcc_lo, v72
	v_cmp_gt_i32_e32 vcc_lo, 0, v171
	v_and_b32_e32 v68, v68, v71
	v_not_b32_e32 v71, v73
	v_ashrrev_i32_e32 v70, 31, v70
	s_wait_alu 0xf1ff
	v_xor_b32_e32 v74, s15, v74
	v_cmp_gt_i32_e64 s15, 0, v73
	v_and_b32_e32 v68, v68, v72
	v_ashrrev_i32_e32 v71, 31, v71
	s_wait_alu 0xfffd
	v_xor_b32_e32 v70, vcc_lo, v70
	v_mad_u32_u24 v72, v69, 36, v145
	v_mul_u32_u24_e32 v69, 36, v69
	v_and_b32_e32 v68, v68, v74
	s_wait_alu 0xf1ff
	v_xor_b32_e32 v71, s15, v71
	ds_load_b32 v171, v72 offset:1056
	v_add_nc_u32_e32 v173, v145, v69
	v_and_b32_e32 v68, v68, v70
	; wave barrier
	s_delay_alu instid0(VALU_DEP_1) | instskip(NEXT) | instid1(VALU_DEP_1)
	v_and_b32_e32 v68, v68, v71
	v_mbcnt_lo_u32_b32 v172, v68, 0
	v_cmp_ne_u32_e64 s15, 0, v68
	s_delay_alu instid0(VALU_DEP_2)
	v_cmp_eq_u32_e32 vcc_lo, 0, v172
	s_and_b32 s16, s15, vcc_lo
	s_wait_alu 0xfffe
	s_and_saveexec_b32 s15, s16
	s_cbranch_execz .LBB1153_729
; %bb.728:                              ;   in Loop: Header=BB1153_687 Depth=2
	s_wait_dscnt 0x0
	v_bcnt_u32_b32 v68, v68, v171
	ds_store_b32 v173, v68 offset:1056
.LBB1153_729:                           ;   in Loop: Header=BB1153_687 Depth=2
	s_wait_alu 0xfffe
	s_or_b32 exec_lo, exec_lo, s15
	v_cmp_gt_i64_e32 vcc_lo, 0, v[48:49]
	v_ashrrev_i32_e32 v68, 31, v49
	; wave barrier
	s_delay_alu instid0(VALU_DEP_1) | instskip(SKIP_2) | instid1(VALU_DEP_2)
	v_not_b32_e32 v68, v68
	s_wait_alu 0xfffd
	v_cndmask_b32_e64 v69, 0x7fffffff, 0, vcc_lo
	v_xor_b32_e32 v48, v68, v48
	s_delay_alu instid0(VALU_DEP_2) | instskip(NEXT) | instid1(VALU_DEP_1)
	v_xor_b32_e32 v49, v69, v49
	v_cmp_ne_u64_e32 vcc_lo, s[34:35], v[48:49]
	s_wait_alu 0xfffd
	v_cndmask_b32_e32 v69, 0x7fffffff, v49, vcc_lo
	v_cndmask_b32_e32 v68, -1, v48, vcc_lo
	s_delay_alu instid0(VALU_DEP_1) | instskip(NEXT) | instid1(VALU_DEP_1)
	v_lshrrev_b64 v[68:69], s31, v[68:69]
	v_and_b32_e32 v69, s56, v68
	s_delay_alu instid0(VALU_DEP_1)
	v_and_b32_e32 v68, 1, v69
	v_lshlrev_b32_e32 v70, 30, v69
	v_lshlrev_b32_e32 v71, 29, v69
	;; [unrolled: 1-line block ×4, first 2 shown]
	v_add_co_u32 v68, s15, v68, -1
	s_wait_alu 0xf1ff
	v_cndmask_b32_e64 v73, 0, 1, s15
	v_not_b32_e32 v175, v70
	v_cmp_gt_i32_e64 s15, 0, v70
	v_not_b32_e32 v70, v71
	v_lshlrev_b32_e32 v75, 26, v69
	v_cmp_ne_u32_e32 vcc_lo, 0, v73
	v_ashrrev_i32_e32 v175, 31, v175
	v_lshlrev_b32_e32 v174, 25, v69
	v_ashrrev_i32_e32 v70, 31, v70
	v_lshlrev_b32_e32 v73, 24, v69
	s_wait_alu 0xfffd
	v_xor_b32_e32 v68, vcc_lo, v68
	v_cmp_gt_i32_e32 vcc_lo, 0, v71
	v_not_b32_e32 v71, v72
	s_wait_alu 0xf1ff
	v_xor_b32_e32 v175, s15, v175
	v_cmp_gt_i32_e64 s15, 0, v72
	v_and_b32_e32 v68, exec_lo, v68
	v_not_b32_e32 v72, v74
	v_ashrrev_i32_e32 v71, 31, v71
	s_wait_alu 0xfffd
	v_xor_b32_e32 v70, vcc_lo, v70
	v_cmp_gt_i32_e32 vcc_lo, 0, v74
	v_and_b32_e32 v68, v68, v175
	v_not_b32_e32 v74, v75
	v_ashrrev_i32_e32 v72, 31, v72
	s_wait_alu 0xf1ff
	v_xor_b32_e32 v71, s15, v71
	v_cmp_gt_i32_e64 s15, 0, v75
	v_and_b32_e32 v68, v68, v70
	v_not_b32_e32 v70, v174
	v_ashrrev_i32_e32 v74, 31, v74
	s_wait_alu 0xfffd
	v_xor_b32_e32 v72, vcc_lo, v72
	v_cmp_gt_i32_e32 vcc_lo, 0, v174
	v_and_b32_e32 v68, v68, v71
	v_not_b32_e32 v71, v73
	v_ashrrev_i32_e32 v70, 31, v70
	s_wait_alu 0xf1ff
	v_xor_b32_e32 v74, s15, v74
	v_cmp_gt_i32_e64 s15, 0, v73
	v_and_b32_e32 v68, v68, v72
	v_ashrrev_i32_e32 v71, 31, v71
	s_wait_alu 0xfffd
	v_xor_b32_e32 v70, vcc_lo, v70
	v_mad_u32_u24 v72, v69, 36, v145
	v_mul_u32_u24_e32 v69, 36, v69
	v_and_b32_e32 v68, v68, v74
	s_wait_alu 0xf1ff
	v_xor_b32_e32 v71, s15, v71
	ds_load_b32 v174, v72 offset:1056
	v_add_nc_u32_e32 v176, v145, v69
	v_and_b32_e32 v68, v68, v70
	; wave barrier
	s_delay_alu instid0(VALU_DEP_1) | instskip(NEXT) | instid1(VALU_DEP_1)
	v_and_b32_e32 v68, v68, v71
	v_mbcnt_lo_u32_b32 v175, v68, 0
	v_cmp_ne_u32_e64 s15, 0, v68
	s_delay_alu instid0(VALU_DEP_2)
	v_cmp_eq_u32_e32 vcc_lo, 0, v175
	s_and_b32 s16, s15, vcc_lo
	s_wait_alu 0xfffe
	s_and_saveexec_b32 s15, s16
	s_cbranch_execz .LBB1153_731
; %bb.730:                              ;   in Loop: Header=BB1153_687 Depth=2
	s_wait_dscnt 0x0
	v_bcnt_u32_b32 v68, v68, v174
	ds_store_b32 v176, v68 offset:1056
.LBB1153_731:                           ;   in Loop: Header=BB1153_687 Depth=2
	s_wait_alu 0xfffe
	s_or_b32 exec_lo, exec_lo, s15
	v_cmp_gt_i64_e32 vcc_lo, 0, v[52:53]
	v_ashrrev_i32_e32 v68, 31, v53
	; wave barrier
	s_delay_alu instid0(VALU_DEP_1) | instskip(SKIP_2) | instid1(VALU_DEP_2)
	v_not_b32_e32 v68, v68
	s_wait_alu 0xfffd
	v_cndmask_b32_e64 v69, 0x7fffffff, 0, vcc_lo
	v_xor_b32_e32 v52, v68, v52
	s_delay_alu instid0(VALU_DEP_2) | instskip(NEXT) | instid1(VALU_DEP_1)
	v_xor_b32_e32 v53, v69, v53
	v_cmp_ne_u64_e32 vcc_lo, s[34:35], v[52:53]
	s_wait_alu 0xfffd
	v_cndmask_b32_e32 v69, 0x7fffffff, v53, vcc_lo
	v_cndmask_b32_e32 v68, -1, v52, vcc_lo
	s_delay_alu instid0(VALU_DEP_1) | instskip(NEXT) | instid1(VALU_DEP_1)
	v_lshrrev_b64 v[68:69], s31, v[68:69]
	v_and_b32_e32 v69, s56, v68
	s_delay_alu instid0(VALU_DEP_1)
	v_and_b32_e32 v68, 1, v69
	v_lshlrev_b32_e32 v70, 30, v69
	v_lshlrev_b32_e32 v71, 29, v69
	;; [unrolled: 1-line block ×4, first 2 shown]
	v_add_co_u32 v68, s15, v68, -1
	s_wait_alu 0xf1ff
	v_cndmask_b32_e64 v73, 0, 1, s15
	v_not_b32_e32 v178, v70
	v_cmp_gt_i32_e64 s15, 0, v70
	v_not_b32_e32 v70, v71
	v_lshlrev_b32_e32 v75, 26, v69
	v_cmp_ne_u32_e32 vcc_lo, 0, v73
	v_ashrrev_i32_e32 v178, 31, v178
	v_lshlrev_b32_e32 v177, 25, v69
	v_ashrrev_i32_e32 v70, 31, v70
	v_lshlrev_b32_e32 v73, 24, v69
	s_wait_alu 0xfffd
	v_xor_b32_e32 v68, vcc_lo, v68
	v_cmp_gt_i32_e32 vcc_lo, 0, v71
	v_not_b32_e32 v71, v72
	s_wait_alu 0xf1ff
	v_xor_b32_e32 v178, s15, v178
	v_cmp_gt_i32_e64 s15, 0, v72
	v_and_b32_e32 v68, exec_lo, v68
	v_not_b32_e32 v72, v74
	v_ashrrev_i32_e32 v71, 31, v71
	s_wait_alu 0xfffd
	v_xor_b32_e32 v70, vcc_lo, v70
	v_cmp_gt_i32_e32 vcc_lo, 0, v74
	v_and_b32_e32 v68, v68, v178
	v_not_b32_e32 v74, v75
	v_ashrrev_i32_e32 v72, 31, v72
	s_wait_alu 0xf1ff
	v_xor_b32_e32 v71, s15, v71
	v_cmp_gt_i32_e64 s15, 0, v75
	v_and_b32_e32 v68, v68, v70
	v_not_b32_e32 v70, v177
	v_ashrrev_i32_e32 v74, 31, v74
	s_wait_alu 0xfffd
	v_xor_b32_e32 v72, vcc_lo, v72
	v_cmp_gt_i32_e32 vcc_lo, 0, v177
	v_and_b32_e32 v68, v68, v71
	v_not_b32_e32 v71, v73
	v_ashrrev_i32_e32 v70, 31, v70
	s_wait_alu 0xf1ff
	v_xor_b32_e32 v74, s15, v74
	v_cmp_gt_i32_e64 s15, 0, v73
	v_and_b32_e32 v68, v68, v72
	v_ashrrev_i32_e32 v71, 31, v71
	s_wait_alu 0xfffd
	v_xor_b32_e32 v70, vcc_lo, v70
	v_mad_u32_u24 v72, v69, 36, v145
	v_mul_u32_u24_e32 v69, 36, v69
	v_and_b32_e32 v68, v68, v74
	s_wait_alu 0xf1ff
	v_xor_b32_e32 v71, s15, v71
	ds_load_b32 v177, v72 offset:1056
	v_add_nc_u32_e32 v179, v145, v69
	v_and_b32_e32 v68, v68, v70
	; wave barrier
	s_delay_alu instid0(VALU_DEP_1) | instskip(NEXT) | instid1(VALU_DEP_1)
	v_and_b32_e32 v68, v68, v71
	v_mbcnt_lo_u32_b32 v178, v68, 0
	v_cmp_ne_u32_e64 s15, 0, v68
	s_delay_alu instid0(VALU_DEP_2)
	v_cmp_eq_u32_e32 vcc_lo, 0, v178
	s_and_b32 s16, s15, vcc_lo
	s_wait_alu 0xfffe
	s_and_saveexec_b32 s15, s16
	s_cbranch_execz .LBB1153_733
; %bb.732:                              ;   in Loop: Header=BB1153_687 Depth=2
	s_wait_dscnt 0x0
	v_bcnt_u32_b32 v68, v68, v177
	ds_store_b32 v179, v68 offset:1056
.LBB1153_733:                           ;   in Loop: Header=BB1153_687 Depth=2
	s_wait_alu 0xfffe
	s_or_b32 exec_lo, exec_lo, s15
	v_cmp_gt_i64_e32 vcc_lo, 0, v[56:57]
	v_ashrrev_i32_e32 v68, 31, v57
	; wave barrier
	s_delay_alu instid0(VALU_DEP_1) | instskip(SKIP_2) | instid1(VALU_DEP_2)
	v_not_b32_e32 v68, v68
	s_wait_alu 0xfffd
	v_cndmask_b32_e64 v69, 0x7fffffff, 0, vcc_lo
	v_xor_b32_e32 v56, v68, v56
	s_delay_alu instid0(VALU_DEP_2) | instskip(NEXT) | instid1(VALU_DEP_1)
	v_xor_b32_e32 v57, v69, v57
	v_cmp_ne_u64_e32 vcc_lo, s[34:35], v[56:57]
	s_wait_alu 0xfffd
	v_cndmask_b32_e32 v69, 0x7fffffff, v57, vcc_lo
	v_cndmask_b32_e32 v68, -1, v56, vcc_lo
	s_delay_alu instid0(VALU_DEP_1) | instskip(NEXT) | instid1(VALU_DEP_1)
	v_lshrrev_b64 v[68:69], s31, v[68:69]
	v_and_b32_e32 v69, s56, v68
	s_delay_alu instid0(VALU_DEP_1)
	v_and_b32_e32 v68, 1, v69
	v_lshlrev_b32_e32 v70, 30, v69
	v_lshlrev_b32_e32 v71, 29, v69
	;; [unrolled: 1-line block ×4, first 2 shown]
	v_add_co_u32 v68, s15, v68, -1
	s_wait_alu 0xf1ff
	v_cndmask_b32_e64 v73, 0, 1, s15
	v_not_b32_e32 v181, v70
	v_cmp_gt_i32_e64 s15, 0, v70
	v_not_b32_e32 v70, v71
	v_lshlrev_b32_e32 v75, 26, v69
	v_cmp_ne_u32_e32 vcc_lo, 0, v73
	v_ashrrev_i32_e32 v181, 31, v181
	v_lshlrev_b32_e32 v180, 25, v69
	v_ashrrev_i32_e32 v70, 31, v70
	v_lshlrev_b32_e32 v73, 24, v69
	s_wait_alu 0xfffd
	v_xor_b32_e32 v68, vcc_lo, v68
	v_cmp_gt_i32_e32 vcc_lo, 0, v71
	v_not_b32_e32 v71, v72
	s_wait_alu 0xf1ff
	v_xor_b32_e32 v181, s15, v181
	v_cmp_gt_i32_e64 s15, 0, v72
	v_and_b32_e32 v68, exec_lo, v68
	v_not_b32_e32 v72, v74
	v_ashrrev_i32_e32 v71, 31, v71
	s_wait_alu 0xfffd
	v_xor_b32_e32 v70, vcc_lo, v70
	v_cmp_gt_i32_e32 vcc_lo, 0, v74
	v_and_b32_e32 v68, v68, v181
	v_not_b32_e32 v74, v75
	v_ashrrev_i32_e32 v72, 31, v72
	s_wait_alu 0xf1ff
	v_xor_b32_e32 v71, s15, v71
	v_cmp_gt_i32_e64 s15, 0, v75
	v_and_b32_e32 v68, v68, v70
	v_not_b32_e32 v70, v180
	v_ashrrev_i32_e32 v74, 31, v74
	s_wait_alu 0xfffd
	v_xor_b32_e32 v72, vcc_lo, v72
	v_cmp_gt_i32_e32 vcc_lo, 0, v180
	v_and_b32_e32 v68, v68, v71
	v_not_b32_e32 v71, v73
	v_ashrrev_i32_e32 v70, 31, v70
	s_wait_alu 0xf1ff
	v_xor_b32_e32 v74, s15, v74
	v_cmp_gt_i32_e64 s15, 0, v73
	v_and_b32_e32 v68, v68, v72
	v_ashrrev_i32_e32 v71, 31, v71
	s_wait_alu 0xfffd
	v_xor_b32_e32 v70, vcc_lo, v70
	v_mad_u32_u24 v72, v69, 36, v145
	v_mul_u32_u24_e32 v69, 36, v69
	v_and_b32_e32 v68, v68, v74
	s_wait_alu 0xf1ff
	v_xor_b32_e32 v71, s15, v71
	ds_load_b32 v180, v72 offset:1056
	v_add_nc_u32_e32 v182, v145, v69
	v_and_b32_e32 v68, v68, v70
	; wave barrier
	s_delay_alu instid0(VALU_DEP_1) | instskip(NEXT) | instid1(VALU_DEP_1)
	v_and_b32_e32 v68, v68, v71
	v_mbcnt_lo_u32_b32 v181, v68, 0
	v_cmp_ne_u32_e64 s15, 0, v68
	s_delay_alu instid0(VALU_DEP_2)
	v_cmp_eq_u32_e32 vcc_lo, 0, v181
	s_and_b32 s16, s15, vcc_lo
	s_wait_alu 0xfffe
	s_and_saveexec_b32 s15, s16
	s_cbranch_execz .LBB1153_735
; %bb.734:                              ;   in Loop: Header=BB1153_687 Depth=2
	s_wait_dscnt 0x0
	v_bcnt_u32_b32 v68, v68, v180
	ds_store_b32 v182, v68 offset:1056
.LBB1153_735:                           ;   in Loop: Header=BB1153_687 Depth=2
	s_wait_alu 0xfffe
	s_or_b32 exec_lo, exec_lo, s15
	v_cmp_gt_i64_e32 vcc_lo, 0, v[60:61]
	v_ashrrev_i32_e32 v68, 31, v61
	; wave barrier
	s_delay_alu instid0(VALU_DEP_1) | instskip(SKIP_2) | instid1(VALU_DEP_2)
	v_not_b32_e32 v68, v68
	s_wait_alu 0xfffd
	v_cndmask_b32_e64 v69, 0x7fffffff, 0, vcc_lo
	v_xor_b32_e32 v60, v68, v60
	s_delay_alu instid0(VALU_DEP_2) | instskip(NEXT) | instid1(VALU_DEP_1)
	v_xor_b32_e32 v61, v69, v61
	v_cmp_ne_u64_e32 vcc_lo, s[34:35], v[60:61]
	s_wait_alu 0xfffd
	v_cndmask_b32_e32 v69, 0x7fffffff, v61, vcc_lo
	v_cndmask_b32_e32 v68, -1, v60, vcc_lo
	s_delay_alu instid0(VALU_DEP_1) | instskip(NEXT) | instid1(VALU_DEP_1)
	v_lshrrev_b64 v[68:69], s31, v[68:69]
	v_and_b32_e32 v69, s56, v68
	s_delay_alu instid0(VALU_DEP_1)
	v_and_b32_e32 v68, 1, v69
	v_lshlrev_b32_e32 v70, 30, v69
	v_lshlrev_b32_e32 v71, 29, v69
	;; [unrolled: 1-line block ×4, first 2 shown]
	v_add_co_u32 v68, s15, v68, -1
	s_wait_alu 0xf1ff
	v_cndmask_b32_e64 v73, 0, 1, s15
	v_not_b32_e32 v184, v70
	v_cmp_gt_i32_e64 s15, 0, v70
	v_not_b32_e32 v70, v71
	v_lshlrev_b32_e32 v75, 26, v69
	v_cmp_ne_u32_e32 vcc_lo, 0, v73
	v_ashrrev_i32_e32 v184, 31, v184
	v_lshlrev_b32_e32 v183, 25, v69
	v_ashrrev_i32_e32 v70, 31, v70
	v_lshlrev_b32_e32 v73, 24, v69
	s_wait_alu 0xfffd
	v_xor_b32_e32 v68, vcc_lo, v68
	v_cmp_gt_i32_e32 vcc_lo, 0, v71
	v_not_b32_e32 v71, v72
	s_wait_alu 0xf1ff
	v_xor_b32_e32 v184, s15, v184
	v_cmp_gt_i32_e64 s15, 0, v72
	v_and_b32_e32 v68, exec_lo, v68
	v_not_b32_e32 v72, v74
	v_ashrrev_i32_e32 v71, 31, v71
	s_wait_alu 0xfffd
	v_xor_b32_e32 v70, vcc_lo, v70
	v_cmp_gt_i32_e32 vcc_lo, 0, v74
	v_and_b32_e32 v68, v68, v184
	v_not_b32_e32 v74, v75
	v_ashrrev_i32_e32 v72, 31, v72
	s_wait_alu 0xf1ff
	v_xor_b32_e32 v71, s15, v71
	v_cmp_gt_i32_e64 s15, 0, v75
	v_and_b32_e32 v68, v68, v70
	v_not_b32_e32 v70, v183
	v_ashrrev_i32_e32 v74, 31, v74
	s_wait_alu 0xfffd
	v_xor_b32_e32 v72, vcc_lo, v72
	v_cmp_gt_i32_e32 vcc_lo, 0, v183
	v_and_b32_e32 v68, v68, v71
	v_not_b32_e32 v71, v73
	v_ashrrev_i32_e32 v70, 31, v70
	s_wait_alu 0xf1ff
	v_xor_b32_e32 v74, s15, v74
	v_cmp_gt_i32_e64 s15, 0, v73
	v_and_b32_e32 v68, v68, v72
	v_ashrrev_i32_e32 v71, 31, v71
	s_wait_alu 0xfffd
	v_xor_b32_e32 v70, vcc_lo, v70
	v_mad_u32_u24 v72, v69, 36, v145
	v_mul_u32_u24_e32 v69, 36, v69
	v_and_b32_e32 v68, v68, v74
	s_wait_alu 0xf1ff
	v_xor_b32_e32 v71, s15, v71
	ds_load_b32 v183, v72 offset:1056
	v_add_nc_u32_e32 v185, v145, v69
	v_and_b32_e32 v68, v68, v70
	; wave barrier
	s_delay_alu instid0(VALU_DEP_1) | instskip(NEXT) | instid1(VALU_DEP_1)
	v_and_b32_e32 v68, v68, v71
	v_mbcnt_lo_u32_b32 v184, v68, 0
	v_cmp_ne_u32_e64 s15, 0, v68
	s_delay_alu instid0(VALU_DEP_2)
	v_cmp_eq_u32_e32 vcc_lo, 0, v184
	s_and_b32 s16, s15, vcc_lo
	s_wait_alu 0xfffe
	s_and_saveexec_b32 s15, s16
	s_cbranch_execz .LBB1153_737
; %bb.736:                              ;   in Loop: Header=BB1153_687 Depth=2
	s_wait_dscnt 0x0
	v_bcnt_u32_b32 v68, v68, v183
	ds_store_b32 v185, v68 offset:1056
.LBB1153_737:                           ;   in Loop: Header=BB1153_687 Depth=2
	s_wait_alu 0xfffe
	s_or_b32 exec_lo, exec_lo, s15
	v_cmp_gt_i64_e32 vcc_lo, 0, v[64:65]
	v_ashrrev_i32_e32 v68, 31, v65
	; wave barrier
	s_delay_alu instid0(VALU_DEP_1) | instskip(SKIP_2) | instid1(VALU_DEP_2)
	v_not_b32_e32 v68, v68
	s_wait_alu 0xfffd
	v_cndmask_b32_e64 v69, 0x7fffffff, 0, vcc_lo
	v_xor_b32_e32 v64, v68, v64
	s_delay_alu instid0(VALU_DEP_2) | instskip(NEXT) | instid1(VALU_DEP_1)
	v_xor_b32_e32 v65, v69, v65
	v_cmp_ne_u64_e32 vcc_lo, s[34:35], v[64:65]
	s_wait_alu 0xfffd
	v_cndmask_b32_e32 v69, 0x7fffffff, v65, vcc_lo
	v_cndmask_b32_e32 v68, -1, v64, vcc_lo
	s_delay_alu instid0(VALU_DEP_1) | instskip(NEXT) | instid1(VALU_DEP_1)
	v_lshrrev_b64 v[68:69], s31, v[68:69]
	v_and_b32_e32 v69, s56, v68
	s_delay_alu instid0(VALU_DEP_1)
	v_and_b32_e32 v68, 1, v69
	v_lshlrev_b32_e32 v70, 30, v69
	v_lshlrev_b32_e32 v71, 29, v69
	;; [unrolled: 1-line block ×4, first 2 shown]
	v_add_co_u32 v68, s15, v68, -1
	s_wait_alu 0xf1ff
	v_cndmask_b32_e64 v73, 0, 1, s15
	v_not_b32_e32 v187, v70
	v_cmp_gt_i32_e64 s15, 0, v70
	v_not_b32_e32 v70, v71
	v_lshlrev_b32_e32 v75, 26, v69
	v_cmp_ne_u32_e32 vcc_lo, 0, v73
	v_ashrrev_i32_e32 v187, 31, v187
	v_lshlrev_b32_e32 v186, 25, v69
	v_ashrrev_i32_e32 v70, 31, v70
	v_lshlrev_b32_e32 v73, 24, v69
	s_wait_alu 0xfffd
	v_xor_b32_e32 v68, vcc_lo, v68
	v_cmp_gt_i32_e32 vcc_lo, 0, v71
	v_not_b32_e32 v71, v72
	s_wait_alu 0xf1ff
	v_xor_b32_e32 v187, s15, v187
	v_cmp_gt_i32_e64 s15, 0, v72
	v_and_b32_e32 v68, exec_lo, v68
	v_not_b32_e32 v72, v74
	v_ashrrev_i32_e32 v71, 31, v71
	s_wait_alu 0xfffd
	v_xor_b32_e32 v70, vcc_lo, v70
	v_cmp_gt_i32_e32 vcc_lo, 0, v74
	v_and_b32_e32 v68, v68, v187
	v_not_b32_e32 v74, v75
	v_ashrrev_i32_e32 v72, 31, v72
	s_wait_alu 0xf1ff
	v_xor_b32_e32 v71, s15, v71
	v_cmp_gt_i32_e64 s15, 0, v75
	v_and_b32_e32 v68, v68, v70
	v_not_b32_e32 v70, v186
	v_ashrrev_i32_e32 v74, 31, v74
	s_wait_alu 0xfffd
	v_xor_b32_e32 v72, vcc_lo, v72
	v_cmp_gt_i32_e32 vcc_lo, 0, v186
	v_and_b32_e32 v68, v68, v71
	v_not_b32_e32 v71, v73
	v_ashrrev_i32_e32 v70, 31, v70
	s_wait_alu 0xf1ff
	v_xor_b32_e32 v74, s15, v74
	v_cmp_gt_i32_e64 s15, 0, v73
	v_and_b32_e32 v68, v68, v72
	v_ashrrev_i32_e32 v71, 31, v71
	s_wait_alu 0xfffd
	v_xor_b32_e32 v70, vcc_lo, v70
	v_mad_u32_u24 v72, v69, 36, v145
	v_mul_u32_u24_e32 v69, 36, v69
	v_and_b32_e32 v68, v68, v74
	s_wait_alu 0xf1ff
	v_xor_b32_e32 v71, s15, v71
	ds_load_b32 v186, v72 offset:1056
	v_add_nc_u32_e32 v188, v145, v69
	v_and_b32_e32 v68, v68, v70
	; wave barrier
	s_delay_alu instid0(VALU_DEP_1) | instskip(NEXT) | instid1(VALU_DEP_1)
	v_and_b32_e32 v68, v68, v71
	v_mbcnt_lo_u32_b32 v187, v68, 0
	v_cmp_ne_u32_e64 s15, 0, v68
	s_delay_alu instid0(VALU_DEP_2)
	v_cmp_eq_u32_e32 vcc_lo, 0, v187
	s_and_b32 s16, s15, vcc_lo
	s_wait_alu 0xfffe
	s_and_saveexec_b32 s15, s16
	s_cbranch_execz .LBB1153_739
; %bb.738:                              ;   in Loop: Header=BB1153_687 Depth=2
	s_wait_dscnt 0x0
	v_bcnt_u32_b32 v68, v68, v186
	ds_store_b32 v188, v68 offset:1056
.LBB1153_739:                           ;   in Loop: Header=BB1153_687 Depth=2
	s_wait_alu 0xfffe
	s_or_b32 exec_lo, exec_lo, s15
	v_cmp_gt_i64_e32 vcc_lo, 0, v[66:67]
	v_ashrrev_i32_e32 v68, 31, v67
	; wave barrier
	s_delay_alu instid0(VALU_DEP_1) | instskip(SKIP_2) | instid1(VALU_DEP_2)
	v_not_b32_e32 v68, v68
	s_wait_alu 0xfffd
	v_cndmask_b32_e64 v69, 0x7fffffff, 0, vcc_lo
	v_xor_b32_e32 v66, v68, v66
	s_delay_alu instid0(VALU_DEP_2) | instskip(NEXT) | instid1(VALU_DEP_1)
	v_xor_b32_e32 v67, v69, v67
	v_cmp_ne_u64_e32 vcc_lo, s[34:35], v[66:67]
	s_wait_alu 0xfffd
	v_cndmask_b32_e32 v69, 0x7fffffff, v67, vcc_lo
	v_cndmask_b32_e32 v68, -1, v66, vcc_lo
	s_delay_alu instid0(VALU_DEP_1) | instskip(NEXT) | instid1(VALU_DEP_1)
	v_lshrrev_b64 v[68:69], s31, v[68:69]
	v_and_b32_e32 v69, s56, v68
	s_delay_alu instid0(VALU_DEP_1)
	v_and_b32_e32 v68, 1, v69
	v_lshlrev_b32_e32 v70, 30, v69
	v_lshlrev_b32_e32 v71, 29, v69
	;; [unrolled: 1-line block ×4, first 2 shown]
	v_add_co_u32 v68, s15, v68, -1
	s_wait_alu 0xf1ff
	v_cndmask_b32_e64 v73, 0, 1, s15
	v_not_b32_e32 v190, v70
	v_cmp_gt_i32_e64 s15, 0, v70
	v_not_b32_e32 v70, v71
	v_lshlrev_b32_e32 v75, 26, v69
	v_cmp_ne_u32_e32 vcc_lo, 0, v73
	v_ashrrev_i32_e32 v190, 31, v190
	v_lshlrev_b32_e32 v189, 25, v69
	v_ashrrev_i32_e32 v70, 31, v70
	v_lshlrev_b32_e32 v73, 24, v69
	s_wait_alu 0xfffd
	v_xor_b32_e32 v68, vcc_lo, v68
	v_cmp_gt_i32_e32 vcc_lo, 0, v71
	v_not_b32_e32 v71, v72
	s_wait_alu 0xf1ff
	v_xor_b32_e32 v190, s15, v190
	v_cmp_gt_i32_e64 s15, 0, v72
	v_and_b32_e32 v68, exec_lo, v68
	v_not_b32_e32 v72, v74
	v_ashrrev_i32_e32 v71, 31, v71
	s_wait_alu 0xfffd
	v_xor_b32_e32 v70, vcc_lo, v70
	v_cmp_gt_i32_e32 vcc_lo, 0, v74
	v_and_b32_e32 v68, v68, v190
	v_not_b32_e32 v74, v75
	v_ashrrev_i32_e32 v72, 31, v72
	s_wait_alu 0xf1ff
	v_xor_b32_e32 v71, s15, v71
	v_cmp_gt_i32_e64 s15, 0, v75
	v_and_b32_e32 v68, v68, v70
	v_not_b32_e32 v70, v189
	v_ashrrev_i32_e32 v74, 31, v74
	s_wait_alu 0xfffd
	v_xor_b32_e32 v72, vcc_lo, v72
	v_cmp_gt_i32_e32 vcc_lo, 0, v189
	v_and_b32_e32 v68, v68, v71
	v_not_b32_e32 v71, v73
	v_ashrrev_i32_e32 v70, 31, v70
	s_wait_alu 0xf1ff
	v_xor_b32_e32 v74, s15, v74
	v_cmp_gt_i32_e64 s15, 0, v73
	v_and_b32_e32 v68, v68, v72
	v_ashrrev_i32_e32 v71, 31, v71
	s_wait_alu 0xfffd
	v_xor_b32_e32 v70, vcc_lo, v70
	v_mad_u32_u24 v72, v69, 36, v145
	v_mul_u32_u24_e32 v69, 36, v69
	v_and_b32_e32 v68, v68, v74
	s_wait_alu 0xf1ff
	v_xor_b32_e32 v71, s15, v71
	ds_load_b32 v189, v72 offset:1056
	v_add_nc_u32_e32 v191, v145, v69
	v_and_b32_e32 v68, v68, v70
	; wave barrier
	s_delay_alu instid0(VALU_DEP_1) | instskip(NEXT) | instid1(VALU_DEP_1)
	v_and_b32_e32 v68, v68, v71
	v_mbcnt_lo_u32_b32 v190, v68, 0
	v_cmp_ne_u32_e64 s15, 0, v68
	s_delay_alu instid0(VALU_DEP_2)
	v_cmp_eq_u32_e32 vcc_lo, 0, v190
	s_and_b32 s16, s15, vcc_lo
	s_wait_alu 0xfffe
	s_and_saveexec_b32 s15, s16
	s_cbranch_execz .LBB1153_741
; %bb.740:                              ;   in Loop: Header=BB1153_687 Depth=2
	s_wait_dscnt 0x0
	v_bcnt_u32_b32 v68, v68, v189
	ds_store_b32 v191, v68 offset:1056
.LBB1153_741:                           ;   in Loop: Header=BB1153_687 Depth=2
	s_wait_alu 0xfffe
	s_or_b32 exec_lo, exec_lo, s15
	v_cmp_gt_i64_e32 vcc_lo, 0, v[62:63]
	v_ashrrev_i32_e32 v68, 31, v63
	; wave barrier
	s_delay_alu instid0(VALU_DEP_1) | instskip(SKIP_2) | instid1(VALU_DEP_2)
	v_not_b32_e32 v68, v68
	s_wait_alu 0xfffd
	v_cndmask_b32_e64 v69, 0x7fffffff, 0, vcc_lo
	v_xor_b32_e32 v62, v68, v62
	s_delay_alu instid0(VALU_DEP_2) | instskip(NEXT) | instid1(VALU_DEP_1)
	v_xor_b32_e32 v63, v69, v63
	v_cmp_ne_u64_e32 vcc_lo, s[34:35], v[62:63]
	s_wait_alu 0xfffd
	v_cndmask_b32_e32 v69, 0x7fffffff, v63, vcc_lo
	v_cndmask_b32_e32 v68, -1, v62, vcc_lo
	s_delay_alu instid0(VALU_DEP_1) | instskip(NEXT) | instid1(VALU_DEP_1)
	v_lshrrev_b64 v[68:69], s31, v[68:69]
	v_and_b32_e32 v69, s56, v68
	s_delay_alu instid0(VALU_DEP_1)
	v_and_b32_e32 v68, 1, v69
	v_lshlrev_b32_e32 v70, 30, v69
	v_lshlrev_b32_e32 v71, 29, v69
	;; [unrolled: 1-line block ×4, first 2 shown]
	v_add_co_u32 v68, s15, v68, -1
	s_wait_alu 0xf1ff
	v_cndmask_b32_e64 v73, 0, 1, s15
	v_not_b32_e32 v193, v70
	v_cmp_gt_i32_e64 s15, 0, v70
	v_not_b32_e32 v70, v71
	v_lshlrev_b32_e32 v75, 26, v69
	v_cmp_ne_u32_e32 vcc_lo, 0, v73
	v_ashrrev_i32_e32 v193, 31, v193
	v_lshlrev_b32_e32 v192, 25, v69
	v_ashrrev_i32_e32 v70, 31, v70
	v_lshlrev_b32_e32 v73, 24, v69
	s_wait_alu 0xfffd
	v_xor_b32_e32 v68, vcc_lo, v68
	v_cmp_gt_i32_e32 vcc_lo, 0, v71
	v_not_b32_e32 v71, v72
	s_wait_alu 0xf1ff
	v_xor_b32_e32 v193, s15, v193
	v_cmp_gt_i32_e64 s15, 0, v72
	v_and_b32_e32 v68, exec_lo, v68
	v_not_b32_e32 v72, v74
	v_ashrrev_i32_e32 v71, 31, v71
	s_wait_alu 0xfffd
	v_xor_b32_e32 v70, vcc_lo, v70
	v_cmp_gt_i32_e32 vcc_lo, 0, v74
	v_and_b32_e32 v68, v68, v193
	v_not_b32_e32 v74, v75
	v_ashrrev_i32_e32 v72, 31, v72
	s_wait_alu 0xf1ff
	v_xor_b32_e32 v71, s15, v71
	v_cmp_gt_i32_e64 s15, 0, v75
	v_and_b32_e32 v68, v68, v70
	v_not_b32_e32 v70, v192
	v_ashrrev_i32_e32 v74, 31, v74
	s_wait_alu 0xfffd
	v_xor_b32_e32 v72, vcc_lo, v72
	v_cmp_gt_i32_e32 vcc_lo, 0, v192
	v_and_b32_e32 v68, v68, v71
	v_not_b32_e32 v71, v73
	v_ashrrev_i32_e32 v70, 31, v70
	s_wait_alu 0xf1ff
	v_xor_b32_e32 v74, s15, v74
	v_cmp_gt_i32_e64 s15, 0, v73
	v_and_b32_e32 v68, v68, v72
	v_ashrrev_i32_e32 v71, 31, v71
	s_wait_alu 0xfffd
	v_xor_b32_e32 v70, vcc_lo, v70
	v_mad_u32_u24 v72, v69, 36, v145
	v_mul_u32_u24_e32 v69, 36, v69
	v_and_b32_e32 v68, v68, v74
	s_wait_alu 0xf1ff
	v_xor_b32_e32 v71, s15, v71
	ds_load_b32 v192, v72 offset:1056
	v_add_nc_u32_e32 v194, v145, v69
	v_and_b32_e32 v68, v68, v70
	; wave barrier
	s_delay_alu instid0(VALU_DEP_1) | instskip(NEXT) | instid1(VALU_DEP_1)
	v_and_b32_e32 v68, v68, v71
	v_mbcnt_lo_u32_b32 v193, v68, 0
	v_cmp_ne_u32_e64 s15, 0, v68
	s_delay_alu instid0(VALU_DEP_2)
	v_cmp_eq_u32_e32 vcc_lo, 0, v193
	s_and_b32 s16, s15, vcc_lo
	s_wait_alu 0xfffe
	s_and_saveexec_b32 s15, s16
	s_cbranch_execz .LBB1153_743
; %bb.742:                              ;   in Loop: Header=BB1153_687 Depth=2
	s_wait_dscnt 0x0
	v_bcnt_u32_b32 v68, v68, v192
	ds_store_b32 v194, v68 offset:1056
.LBB1153_743:                           ;   in Loop: Header=BB1153_687 Depth=2
	s_wait_alu 0xfffe
	s_or_b32 exec_lo, exec_lo, s15
	v_cmp_gt_i64_e32 vcc_lo, 0, v[58:59]
	v_ashrrev_i32_e32 v68, 31, v59
	; wave barrier
	s_delay_alu instid0(VALU_DEP_1) | instskip(SKIP_2) | instid1(VALU_DEP_2)
	v_not_b32_e32 v68, v68
	s_wait_alu 0xfffd
	v_cndmask_b32_e64 v69, 0x7fffffff, 0, vcc_lo
	v_xor_b32_e32 v58, v68, v58
	s_delay_alu instid0(VALU_DEP_2) | instskip(NEXT) | instid1(VALU_DEP_1)
	v_xor_b32_e32 v59, v69, v59
	v_cmp_ne_u64_e32 vcc_lo, s[34:35], v[58:59]
	s_wait_alu 0xfffd
	v_cndmask_b32_e32 v69, 0x7fffffff, v59, vcc_lo
	v_cndmask_b32_e32 v68, -1, v58, vcc_lo
	s_delay_alu instid0(VALU_DEP_1) | instskip(NEXT) | instid1(VALU_DEP_1)
	v_lshrrev_b64 v[68:69], s31, v[68:69]
	v_and_b32_e32 v69, s56, v68
	s_delay_alu instid0(VALU_DEP_1)
	v_and_b32_e32 v68, 1, v69
	v_lshlrev_b32_e32 v70, 30, v69
	v_lshlrev_b32_e32 v71, 29, v69
	;; [unrolled: 1-line block ×4, first 2 shown]
	v_add_co_u32 v68, s15, v68, -1
	s_wait_alu 0xf1ff
	v_cndmask_b32_e64 v73, 0, 1, s15
	v_not_b32_e32 v196, v70
	v_cmp_gt_i32_e64 s15, 0, v70
	v_not_b32_e32 v70, v71
	v_lshlrev_b32_e32 v75, 26, v69
	v_cmp_ne_u32_e32 vcc_lo, 0, v73
	v_ashrrev_i32_e32 v196, 31, v196
	v_lshlrev_b32_e32 v195, 25, v69
	v_ashrrev_i32_e32 v70, 31, v70
	v_lshlrev_b32_e32 v73, 24, v69
	s_wait_alu 0xfffd
	v_xor_b32_e32 v68, vcc_lo, v68
	v_cmp_gt_i32_e32 vcc_lo, 0, v71
	v_not_b32_e32 v71, v72
	s_wait_alu 0xf1ff
	v_xor_b32_e32 v196, s15, v196
	v_cmp_gt_i32_e64 s15, 0, v72
	v_and_b32_e32 v68, exec_lo, v68
	v_not_b32_e32 v72, v74
	v_ashrrev_i32_e32 v71, 31, v71
	s_wait_alu 0xfffd
	v_xor_b32_e32 v70, vcc_lo, v70
	v_cmp_gt_i32_e32 vcc_lo, 0, v74
	v_and_b32_e32 v68, v68, v196
	v_not_b32_e32 v74, v75
	v_ashrrev_i32_e32 v72, 31, v72
	s_wait_alu 0xf1ff
	v_xor_b32_e32 v71, s15, v71
	v_cmp_gt_i32_e64 s15, 0, v75
	v_and_b32_e32 v68, v68, v70
	v_not_b32_e32 v70, v195
	v_ashrrev_i32_e32 v74, 31, v74
	s_wait_alu 0xfffd
	v_xor_b32_e32 v72, vcc_lo, v72
	v_cmp_gt_i32_e32 vcc_lo, 0, v195
	v_and_b32_e32 v68, v68, v71
	v_not_b32_e32 v71, v73
	v_ashrrev_i32_e32 v70, 31, v70
	s_wait_alu 0xf1ff
	v_xor_b32_e32 v74, s15, v74
	v_cmp_gt_i32_e64 s15, 0, v73
	v_and_b32_e32 v68, v68, v72
	v_ashrrev_i32_e32 v71, 31, v71
	s_wait_alu 0xfffd
	v_xor_b32_e32 v70, vcc_lo, v70
	v_mad_u32_u24 v72, v69, 36, v145
	v_mul_u32_u24_e32 v69, 36, v69
	v_and_b32_e32 v68, v68, v74
	s_wait_alu 0xf1ff
	v_xor_b32_e32 v71, s15, v71
	ds_load_b32 v195, v72 offset:1056
	v_add_nc_u32_e32 v197, v145, v69
	v_and_b32_e32 v68, v68, v70
	; wave barrier
	s_delay_alu instid0(VALU_DEP_1) | instskip(NEXT) | instid1(VALU_DEP_1)
	v_and_b32_e32 v68, v68, v71
	v_mbcnt_lo_u32_b32 v196, v68, 0
	v_cmp_ne_u32_e64 s15, 0, v68
	s_delay_alu instid0(VALU_DEP_2)
	v_cmp_eq_u32_e32 vcc_lo, 0, v196
	s_and_b32 s16, s15, vcc_lo
	s_wait_alu 0xfffe
	s_and_saveexec_b32 s15, s16
	s_cbranch_execz .LBB1153_745
; %bb.744:                              ;   in Loop: Header=BB1153_687 Depth=2
	s_wait_dscnt 0x0
	v_bcnt_u32_b32 v68, v68, v195
	ds_store_b32 v197, v68 offset:1056
.LBB1153_745:                           ;   in Loop: Header=BB1153_687 Depth=2
	s_wait_alu 0xfffe
	s_or_b32 exec_lo, exec_lo, s15
	v_cmp_gt_i64_e32 vcc_lo, 0, v[54:55]
	v_ashrrev_i32_e32 v68, 31, v55
	; wave barrier
	s_delay_alu instid0(VALU_DEP_1) | instskip(SKIP_2) | instid1(VALU_DEP_2)
	v_not_b32_e32 v68, v68
	s_wait_alu 0xfffd
	v_cndmask_b32_e64 v69, 0x7fffffff, 0, vcc_lo
	v_xor_b32_e32 v54, v68, v54
	s_delay_alu instid0(VALU_DEP_2) | instskip(NEXT) | instid1(VALU_DEP_1)
	v_xor_b32_e32 v55, v69, v55
	v_cmp_ne_u64_e32 vcc_lo, s[34:35], v[54:55]
	s_wait_alu 0xfffd
	v_cndmask_b32_e32 v69, 0x7fffffff, v55, vcc_lo
	v_cndmask_b32_e32 v68, -1, v54, vcc_lo
	s_delay_alu instid0(VALU_DEP_1) | instskip(NEXT) | instid1(VALU_DEP_1)
	v_lshrrev_b64 v[68:69], s31, v[68:69]
	v_and_b32_e32 v69, s56, v68
	s_delay_alu instid0(VALU_DEP_1)
	v_and_b32_e32 v68, 1, v69
	v_lshlrev_b32_e32 v70, 30, v69
	v_lshlrev_b32_e32 v71, 29, v69
	;; [unrolled: 1-line block ×4, first 2 shown]
	v_add_co_u32 v68, s15, v68, -1
	s_wait_alu 0xf1ff
	v_cndmask_b32_e64 v73, 0, 1, s15
	v_not_b32_e32 v199, v70
	v_cmp_gt_i32_e64 s15, 0, v70
	v_not_b32_e32 v70, v71
	v_lshlrev_b32_e32 v75, 26, v69
	v_cmp_ne_u32_e32 vcc_lo, 0, v73
	v_ashrrev_i32_e32 v199, 31, v199
	v_lshlrev_b32_e32 v198, 25, v69
	v_ashrrev_i32_e32 v70, 31, v70
	v_lshlrev_b32_e32 v73, 24, v69
	s_wait_alu 0xfffd
	v_xor_b32_e32 v68, vcc_lo, v68
	v_cmp_gt_i32_e32 vcc_lo, 0, v71
	v_not_b32_e32 v71, v72
	s_wait_alu 0xf1ff
	v_xor_b32_e32 v199, s15, v199
	v_cmp_gt_i32_e64 s15, 0, v72
	v_and_b32_e32 v68, exec_lo, v68
	v_not_b32_e32 v72, v74
	v_ashrrev_i32_e32 v71, 31, v71
	s_wait_alu 0xfffd
	v_xor_b32_e32 v70, vcc_lo, v70
	v_cmp_gt_i32_e32 vcc_lo, 0, v74
	v_and_b32_e32 v68, v68, v199
	v_not_b32_e32 v74, v75
	v_ashrrev_i32_e32 v72, 31, v72
	s_wait_alu 0xf1ff
	v_xor_b32_e32 v71, s15, v71
	v_cmp_gt_i32_e64 s15, 0, v75
	v_and_b32_e32 v68, v68, v70
	v_not_b32_e32 v70, v198
	v_ashrrev_i32_e32 v74, 31, v74
	s_wait_alu 0xfffd
	v_xor_b32_e32 v72, vcc_lo, v72
	v_cmp_gt_i32_e32 vcc_lo, 0, v198
	v_and_b32_e32 v68, v68, v71
	v_not_b32_e32 v71, v73
	v_ashrrev_i32_e32 v70, 31, v70
	s_wait_alu 0xf1ff
	v_xor_b32_e32 v74, s15, v74
	v_cmp_gt_i32_e64 s15, 0, v73
	v_and_b32_e32 v68, v68, v72
	v_ashrrev_i32_e32 v71, 31, v71
	s_wait_alu 0xfffd
	v_xor_b32_e32 v70, vcc_lo, v70
	v_mad_u32_u24 v72, v69, 36, v145
	v_mul_u32_u24_e32 v69, 36, v69
	v_and_b32_e32 v68, v68, v74
	s_wait_alu 0xf1ff
	v_xor_b32_e32 v71, s15, v71
	ds_load_b32 v198, v72 offset:1056
	v_add_nc_u32_e32 v200, v145, v69
	v_and_b32_e32 v68, v68, v70
	; wave barrier
	s_delay_alu instid0(VALU_DEP_1) | instskip(NEXT) | instid1(VALU_DEP_1)
	v_and_b32_e32 v68, v68, v71
	v_mbcnt_lo_u32_b32 v199, v68, 0
	v_cmp_ne_u32_e64 s15, 0, v68
	s_delay_alu instid0(VALU_DEP_2)
	v_cmp_eq_u32_e32 vcc_lo, 0, v199
	s_and_b32 s16, s15, vcc_lo
	s_wait_alu 0xfffe
	s_and_saveexec_b32 s15, s16
	s_cbranch_execz .LBB1153_747
; %bb.746:                              ;   in Loop: Header=BB1153_687 Depth=2
	s_wait_dscnt 0x0
	v_bcnt_u32_b32 v68, v68, v198
	ds_store_b32 v200, v68 offset:1056
.LBB1153_747:                           ;   in Loop: Header=BB1153_687 Depth=2
	s_wait_alu 0xfffe
	s_or_b32 exec_lo, exec_lo, s15
	v_cmp_gt_i64_e32 vcc_lo, 0, v[50:51]
	v_ashrrev_i32_e32 v68, 31, v51
	; wave barrier
	s_delay_alu instid0(VALU_DEP_1) | instskip(SKIP_2) | instid1(VALU_DEP_2)
	v_not_b32_e32 v68, v68
	s_wait_alu 0xfffd
	v_cndmask_b32_e64 v69, 0x7fffffff, 0, vcc_lo
	v_xor_b32_e32 v50, v68, v50
	s_delay_alu instid0(VALU_DEP_2) | instskip(NEXT) | instid1(VALU_DEP_1)
	v_xor_b32_e32 v51, v69, v51
	v_cmp_ne_u64_e32 vcc_lo, s[34:35], v[50:51]
	s_wait_alu 0xfffd
	v_cndmask_b32_e32 v69, 0x7fffffff, v51, vcc_lo
	v_cndmask_b32_e32 v68, -1, v50, vcc_lo
	s_delay_alu instid0(VALU_DEP_1) | instskip(NEXT) | instid1(VALU_DEP_1)
	v_lshrrev_b64 v[68:69], s31, v[68:69]
	v_and_b32_e32 v69, s56, v68
	s_delay_alu instid0(VALU_DEP_1)
	v_and_b32_e32 v68, 1, v69
	v_lshlrev_b32_e32 v70, 30, v69
	v_lshlrev_b32_e32 v71, 29, v69
	;; [unrolled: 1-line block ×4, first 2 shown]
	v_add_co_u32 v68, s15, v68, -1
	s_wait_alu 0xf1ff
	v_cndmask_b32_e64 v73, 0, 1, s15
	v_not_b32_e32 v202, v70
	v_cmp_gt_i32_e64 s15, 0, v70
	v_not_b32_e32 v70, v71
	v_lshlrev_b32_e32 v75, 26, v69
	v_cmp_ne_u32_e32 vcc_lo, 0, v73
	v_ashrrev_i32_e32 v202, 31, v202
	v_lshlrev_b32_e32 v201, 25, v69
	v_ashrrev_i32_e32 v70, 31, v70
	v_lshlrev_b32_e32 v73, 24, v69
	s_wait_alu 0xfffd
	v_xor_b32_e32 v68, vcc_lo, v68
	v_cmp_gt_i32_e32 vcc_lo, 0, v71
	v_not_b32_e32 v71, v72
	s_wait_alu 0xf1ff
	v_xor_b32_e32 v202, s15, v202
	v_cmp_gt_i32_e64 s15, 0, v72
	v_and_b32_e32 v68, exec_lo, v68
	v_not_b32_e32 v72, v74
	v_ashrrev_i32_e32 v71, 31, v71
	s_wait_alu 0xfffd
	v_xor_b32_e32 v70, vcc_lo, v70
	v_cmp_gt_i32_e32 vcc_lo, 0, v74
	v_and_b32_e32 v68, v68, v202
	v_not_b32_e32 v74, v75
	v_ashrrev_i32_e32 v72, 31, v72
	s_wait_alu 0xf1ff
	v_xor_b32_e32 v71, s15, v71
	v_cmp_gt_i32_e64 s15, 0, v75
	v_and_b32_e32 v68, v68, v70
	v_not_b32_e32 v70, v201
	v_ashrrev_i32_e32 v74, 31, v74
	s_wait_alu 0xfffd
	v_xor_b32_e32 v72, vcc_lo, v72
	v_cmp_gt_i32_e32 vcc_lo, 0, v201
	v_and_b32_e32 v68, v68, v71
	v_not_b32_e32 v71, v73
	v_ashrrev_i32_e32 v70, 31, v70
	s_wait_alu 0xf1ff
	v_xor_b32_e32 v74, s15, v74
	v_cmp_gt_i32_e64 s15, 0, v73
	v_and_b32_e32 v68, v68, v72
	v_ashrrev_i32_e32 v71, 31, v71
	s_wait_alu 0xfffd
	v_xor_b32_e32 v70, vcc_lo, v70
	v_mad_u32_u24 v72, v69, 36, v145
	v_mul_u32_u24_e32 v69, 36, v69
	v_and_b32_e32 v68, v68, v74
	s_wait_alu 0xf1ff
	v_xor_b32_e32 v71, s15, v71
	ds_load_b32 v201, v72 offset:1056
	v_add_nc_u32_e32 v203, v145, v69
	v_and_b32_e32 v68, v68, v70
	; wave barrier
	s_delay_alu instid0(VALU_DEP_1) | instskip(NEXT) | instid1(VALU_DEP_1)
	v_and_b32_e32 v68, v68, v71
	v_mbcnt_lo_u32_b32 v202, v68, 0
	v_cmp_ne_u32_e64 s15, 0, v68
	s_delay_alu instid0(VALU_DEP_2)
	v_cmp_eq_u32_e32 vcc_lo, 0, v202
	s_and_b32 s16, s15, vcc_lo
	s_wait_alu 0xfffe
	s_and_saveexec_b32 s15, s16
	s_cbranch_execz .LBB1153_749
; %bb.748:                              ;   in Loop: Header=BB1153_687 Depth=2
	s_wait_dscnt 0x0
	v_bcnt_u32_b32 v68, v68, v201
	ds_store_b32 v203, v68 offset:1056
.LBB1153_749:                           ;   in Loop: Header=BB1153_687 Depth=2
	s_wait_alu 0xfffe
	s_or_b32 exec_lo, exec_lo, s15
	v_cmp_gt_i64_e32 vcc_lo, 0, v[46:47]
	v_ashrrev_i32_e32 v68, 31, v47
	; wave barrier
	s_delay_alu instid0(VALU_DEP_1) | instskip(SKIP_2) | instid1(VALU_DEP_2)
	v_not_b32_e32 v68, v68
	s_wait_alu 0xfffd
	v_cndmask_b32_e64 v69, 0x7fffffff, 0, vcc_lo
	v_xor_b32_e32 v46, v68, v46
	s_delay_alu instid0(VALU_DEP_2) | instskip(NEXT) | instid1(VALU_DEP_1)
	v_xor_b32_e32 v47, v69, v47
	v_cmp_ne_u64_e32 vcc_lo, s[34:35], v[46:47]
	s_wait_alu 0xfffd
	v_cndmask_b32_e32 v69, 0x7fffffff, v47, vcc_lo
	v_cndmask_b32_e32 v68, -1, v46, vcc_lo
	s_delay_alu instid0(VALU_DEP_1) | instskip(NEXT) | instid1(VALU_DEP_1)
	v_lshrrev_b64 v[68:69], s31, v[68:69]
	v_and_b32_e32 v69, s56, v68
	s_delay_alu instid0(VALU_DEP_1)
	v_and_b32_e32 v68, 1, v69
	v_lshlrev_b32_e32 v70, 30, v69
	v_lshlrev_b32_e32 v71, 29, v69
	;; [unrolled: 1-line block ×4, first 2 shown]
	v_add_co_u32 v68, s15, v68, -1
	s_wait_alu 0xf1ff
	v_cndmask_b32_e64 v73, 0, 1, s15
	v_not_b32_e32 v205, v70
	v_cmp_gt_i32_e64 s15, 0, v70
	v_not_b32_e32 v70, v71
	v_lshlrev_b32_e32 v75, 26, v69
	v_cmp_ne_u32_e32 vcc_lo, 0, v73
	v_ashrrev_i32_e32 v205, 31, v205
	v_lshlrev_b32_e32 v204, 25, v69
	v_ashrrev_i32_e32 v70, 31, v70
	v_lshlrev_b32_e32 v73, 24, v69
	s_wait_alu 0xfffd
	v_xor_b32_e32 v68, vcc_lo, v68
	v_cmp_gt_i32_e32 vcc_lo, 0, v71
	v_not_b32_e32 v71, v72
	s_wait_alu 0xf1ff
	v_xor_b32_e32 v205, s15, v205
	v_cmp_gt_i32_e64 s15, 0, v72
	v_and_b32_e32 v68, exec_lo, v68
	v_not_b32_e32 v72, v74
	v_ashrrev_i32_e32 v71, 31, v71
	s_wait_alu 0xfffd
	v_xor_b32_e32 v70, vcc_lo, v70
	v_cmp_gt_i32_e32 vcc_lo, 0, v74
	v_and_b32_e32 v68, v68, v205
	v_not_b32_e32 v74, v75
	v_ashrrev_i32_e32 v72, 31, v72
	s_wait_alu 0xf1ff
	v_xor_b32_e32 v71, s15, v71
	v_cmp_gt_i32_e64 s15, 0, v75
	v_and_b32_e32 v68, v68, v70
	v_not_b32_e32 v70, v204
	v_ashrrev_i32_e32 v74, 31, v74
	s_wait_alu 0xfffd
	v_xor_b32_e32 v72, vcc_lo, v72
	v_cmp_gt_i32_e32 vcc_lo, 0, v204
	v_and_b32_e32 v68, v68, v71
	v_not_b32_e32 v71, v73
	v_ashrrev_i32_e32 v70, 31, v70
	s_wait_alu 0xf1ff
	v_xor_b32_e32 v74, s15, v74
	v_cmp_gt_i32_e64 s15, 0, v73
	v_and_b32_e32 v68, v68, v72
	v_ashrrev_i32_e32 v71, 31, v71
	s_wait_alu 0xfffd
	v_xor_b32_e32 v70, vcc_lo, v70
	v_mad_u32_u24 v72, v69, 36, v145
	v_mul_u32_u24_e32 v69, 36, v69
	v_and_b32_e32 v68, v68, v74
	s_wait_alu 0xf1ff
	v_xor_b32_e32 v71, s15, v71
	ds_load_b32 v204, v72 offset:1056
	v_add_nc_u32_e32 v206, v145, v69
	v_and_b32_e32 v68, v68, v70
	; wave barrier
	s_delay_alu instid0(VALU_DEP_1) | instskip(NEXT) | instid1(VALU_DEP_1)
	v_and_b32_e32 v68, v68, v71
	v_mbcnt_lo_u32_b32 v205, v68, 0
	v_cmp_ne_u32_e64 s15, 0, v68
	s_delay_alu instid0(VALU_DEP_2)
	v_cmp_eq_u32_e32 vcc_lo, 0, v205
	s_and_b32 s16, s15, vcc_lo
	s_wait_alu 0xfffe
	s_and_saveexec_b32 s15, s16
	s_cbranch_execz .LBB1153_751
; %bb.750:                              ;   in Loop: Header=BB1153_687 Depth=2
	s_wait_dscnt 0x0
	v_bcnt_u32_b32 v68, v68, v204
	ds_store_b32 v206, v68 offset:1056
.LBB1153_751:                           ;   in Loop: Header=BB1153_687 Depth=2
	s_wait_alu 0xfffe
	s_or_b32 exec_lo, exec_lo, s15
	v_cmp_gt_i64_e32 vcc_lo, 0, v[44:45]
	v_ashrrev_i32_e32 v68, 31, v45
	; wave barrier
	s_delay_alu instid0(VALU_DEP_1) | instskip(SKIP_2) | instid1(VALU_DEP_2)
	v_not_b32_e32 v68, v68
	s_wait_alu 0xfffd
	v_cndmask_b32_e64 v69, 0x7fffffff, 0, vcc_lo
	v_xor_b32_e32 v44, v68, v44
	s_delay_alu instid0(VALU_DEP_2) | instskip(NEXT) | instid1(VALU_DEP_1)
	v_xor_b32_e32 v45, v69, v45
	v_cmp_ne_u64_e32 vcc_lo, s[34:35], v[44:45]
	s_wait_alu 0xfffd
	v_cndmask_b32_e32 v69, 0x7fffffff, v45, vcc_lo
	v_cndmask_b32_e32 v68, -1, v44, vcc_lo
	s_delay_alu instid0(VALU_DEP_1) | instskip(NEXT) | instid1(VALU_DEP_1)
	v_lshrrev_b64 v[68:69], s31, v[68:69]
	v_and_b32_e32 v69, s56, v68
	s_delay_alu instid0(VALU_DEP_1)
	v_and_b32_e32 v68, 1, v69
	v_lshlrev_b32_e32 v70, 30, v69
	v_lshlrev_b32_e32 v71, 29, v69
	;; [unrolled: 1-line block ×4, first 2 shown]
	v_add_co_u32 v68, s15, v68, -1
	s_wait_alu 0xf1ff
	v_cndmask_b32_e64 v73, 0, 1, s15
	v_not_b32_e32 v208, v70
	v_cmp_gt_i32_e64 s15, 0, v70
	v_not_b32_e32 v70, v71
	v_lshlrev_b32_e32 v75, 26, v69
	v_cmp_ne_u32_e32 vcc_lo, 0, v73
	v_ashrrev_i32_e32 v208, 31, v208
	v_lshlrev_b32_e32 v207, 25, v69
	v_ashrrev_i32_e32 v70, 31, v70
	v_lshlrev_b32_e32 v73, 24, v69
	s_wait_alu 0xfffd
	v_xor_b32_e32 v68, vcc_lo, v68
	v_cmp_gt_i32_e32 vcc_lo, 0, v71
	v_not_b32_e32 v71, v72
	s_wait_alu 0xf1ff
	v_xor_b32_e32 v208, s15, v208
	v_cmp_gt_i32_e64 s15, 0, v72
	v_and_b32_e32 v68, exec_lo, v68
	v_not_b32_e32 v72, v74
	v_ashrrev_i32_e32 v71, 31, v71
	s_wait_alu 0xfffd
	v_xor_b32_e32 v70, vcc_lo, v70
	v_cmp_gt_i32_e32 vcc_lo, 0, v74
	v_and_b32_e32 v68, v68, v208
	v_not_b32_e32 v74, v75
	v_ashrrev_i32_e32 v72, 31, v72
	s_wait_alu 0xf1ff
	v_xor_b32_e32 v71, s15, v71
	v_cmp_gt_i32_e64 s15, 0, v75
	v_and_b32_e32 v68, v68, v70
	v_not_b32_e32 v70, v207
	v_ashrrev_i32_e32 v74, 31, v74
	s_wait_alu 0xfffd
	v_xor_b32_e32 v72, vcc_lo, v72
	v_cmp_gt_i32_e32 vcc_lo, 0, v207
	v_and_b32_e32 v68, v68, v71
	v_not_b32_e32 v71, v73
	v_ashrrev_i32_e32 v70, 31, v70
	s_wait_alu 0xf1ff
	v_xor_b32_e32 v74, s15, v74
	v_cmp_gt_i32_e64 s15, 0, v73
	v_and_b32_e32 v68, v68, v72
	v_ashrrev_i32_e32 v71, 31, v71
	s_wait_alu 0xfffd
	v_xor_b32_e32 v70, vcc_lo, v70
	v_mad_u32_u24 v72, v69, 36, v145
	v_mul_u32_u24_e32 v69, 36, v69
	v_and_b32_e32 v68, v68, v74
	s_wait_alu 0xf1ff
	v_xor_b32_e32 v71, s15, v71
	ds_load_b32 v207, v72 offset:1056
	v_add_nc_u32_e32 v209, v145, v69
	v_and_b32_e32 v68, v68, v70
	; wave barrier
	s_delay_alu instid0(VALU_DEP_1) | instskip(NEXT) | instid1(VALU_DEP_1)
	v_and_b32_e32 v68, v68, v71
	v_mbcnt_lo_u32_b32 v208, v68, 0
	v_cmp_ne_u32_e64 s15, 0, v68
	s_delay_alu instid0(VALU_DEP_2)
	v_cmp_eq_u32_e32 vcc_lo, 0, v208
	s_and_b32 s16, s15, vcc_lo
	s_wait_alu 0xfffe
	s_and_saveexec_b32 s15, s16
	s_cbranch_execz .LBB1153_753
; %bb.752:                              ;   in Loop: Header=BB1153_687 Depth=2
	s_wait_dscnt 0x0
	v_bcnt_u32_b32 v68, v68, v207
	ds_store_b32 v209, v68 offset:1056
.LBB1153_753:                           ;   in Loop: Header=BB1153_687 Depth=2
	s_wait_alu 0xfffe
	s_or_b32 exec_lo, exec_lo, s15
	v_cmp_gt_i64_e32 vcc_lo, 0, v[42:43]
	v_ashrrev_i32_e32 v68, 31, v43
	; wave barrier
	s_delay_alu instid0(VALU_DEP_1) | instskip(SKIP_2) | instid1(VALU_DEP_2)
	v_not_b32_e32 v68, v68
	s_wait_alu 0xfffd
	v_cndmask_b32_e64 v69, 0x7fffffff, 0, vcc_lo
	v_xor_b32_e32 v42, v68, v42
	s_delay_alu instid0(VALU_DEP_2) | instskip(NEXT) | instid1(VALU_DEP_1)
	v_xor_b32_e32 v43, v69, v43
	v_cmp_ne_u64_e32 vcc_lo, s[34:35], v[42:43]
	s_wait_alu 0xfffd
	v_cndmask_b32_e32 v69, 0x7fffffff, v43, vcc_lo
	v_cndmask_b32_e32 v68, -1, v42, vcc_lo
	s_delay_alu instid0(VALU_DEP_1) | instskip(NEXT) | instid1(VALU_DEP_1)
	v_lshrrev_b64 v[68:69], s31, v[68:69]
	v_and_b32_e32 v69, s56, v68
	s_delay_alu instid0(VALU_DEP_1)
	v_and_b32_e32 v68, 1, v69
	v_lshlrev_b32_e32 v70, 30, v69
	v_lshlrev_b32_e32 v71, 29, v69
	;; [unrolled: 1-line block ×4, first 2 shown]
	v_add_co_u32 v68, s15, v68, -1
	s_wait_alu 0xf1ff
	v_cndmask_b32_e64 v73, 0, 1, s15
	v_not_b32_e32 v211, v70
	v_cmp_gt_i32_e64 s15, 0, v70
	v_not_b32_e32 v70, v71
	v_lshlrev_b32_e32 v75, 26, v69
	v_cmp_ne_u32_e32 vcc_lo, 0, v73
	v_ashrrev_i32_e32 v211, 31, v211
	v_lshlrev_b32_e32 v210, 25, v69
	v_ashrrev_i32_e32 v70, 31, v70
	v_lshlrev_b32_e32 v73, 24, v69
	s_wait_alu 0xfffd
	v_xor_b32_e32 v68, vcc_lo, v68
	v_cmp_gt_i32_e32 vcc_lo, 0, v71
	v_not_b32_e32 v71, v72
	s_wait_alu 0xf1ff
	v_xor_b32_e32 v211, s15, v211
	v_cmp_gt_i32_e64 s15, 0, v72
	v_and_b32_e32 v68, exec_lo, v68
	v_not_b32_e32 v72, v74
	v_ashrrev_i32_e32 v71, 31, v71
	s_wait_alu 0xfffd
	v_xor_b32_e32 v70, vcc_lo, v70
	v_cmp_gt_i32_e32 vcc_lo, 0, v74
	v_and_b32_e32 v68, v68, v211
	v_not_b32_e32 v74, v75
	v_ashrrev_i32_e32 v72, 31, v72
	s_wait_alu 0xf1ff
	v_xor_b32_e32 v71, s15, v71
	v_cmp_gt_i32_e64 s15, 0, v75
	v_and_b32_e32 v68, v68, v70
	v_not_b32_e32 v70, v210
	v_ashrrev_i32_e32 v74, 31, v74
	s_wait_alu 0xfffd
	v_xor_b32_e32 v72, vcc_lo, v72
	v_cmp_gt_i32_e32 vcc_lo, 0, v210
	v_and_b32_e32 v68, v68, v71
	v_not_b32_e32 v71, v73
	v_ashrrev_i32_e32 v70, 31, v70
	s_wait_alu 0xf1ff
	v_xor_b32_e32 v74, s15, v74
	v_cmp_gt_i32_e64 s15, 0, v73
	v_and_b32_e32 v68, v68, v72
	v_ashrrev_i32_e32 v71, 31, v71
	s_wait_alu 0xfffd
	v_xor_b32_e32 v70, vcc_lo, v70
	v_mad_u32_u24 v72, v69, 36, v145
	v_mul_u32_u24_e32 v69, 36, v69
	v_and_b32_e32 v68, v68, v74
	s_wait_alu 0xf1ff
	v_xor_b32_e32 v71, s15, v71
	ds_load_b32 v210, v72 offset:1056
	v_add_nc_u32_e32 v212, v145, v69
	v_and_b32_e32 v68, v68, v70
	; wave barrier
	s_delay_alu instid0(VALU_DEP_1) | instskip(NEXT) | instid1(VALU_DEP_1)
	v_and_b32_e32 v68, v68, v71
	v_mbcnt_lo_u32_b32 v211, v68, 0
	v_cmp_ne_u32_e64 s15, 0, v68
	s_delay_alu instid0(VALU_DEP_2)
	v_cmp_eq_u32_e32 vcc_lo, 0, v211
	s_and_b32 s16, s15, vcc_lo
	s_wait_alu 0xfffe
	s_and_saveexec_b32 s15, s16
	s_cbranch_execz .LBB1153_755
; %bb.754:                              ;   in Loop: Header=BB1153_687 Depth=2
	s_wait_dscnt 0x0
	v_bcnt_u32_b32 v68, v68, v210
	ds_store_b32 v212, v68 offset:1056
.LBB1153_755:                           ;   in Loop: Header=BB1153_687 Depth=2
	s_wait_alu 0xfffe
	s_or_b32 exec_lo, exec_lo, s15
	; wave barrier
	s_wait_loadcnt_dscnt 0x0
	s_barrier_signal -1
	s_barrier_wait -1
	global_inv scope:SCOPE_SE
	ds_load_2addr_b32 v[74:75], v164 offset1:1
	ds_load_2addr_b32 v[72:73], v165 offset1:1
	;; [unrolled: 1-line block ×4, first 2 shown]
	ds_load_b32 v213, v101 offset:1088
	s_wait_dscnt 0x3
	v_add3_u32 v214, v75, v74, v72
	s_wait_dscnt 0x2
	s_delay_alu instid0(VALU_DEP_1) | instskip(SKIP_1) | instid1(VALU_DEP_1)
	v_add3_u32 v214, v214, v73, v70
	s_wait_dscnt 0x1
	v_add3_u32 v214, v214, v71, v68
	s_wait_dscnt 0x0
	s_delay_alu instid0(VALU_DEP_1) | instskip(NEXT) | instid1(VALU_DEP_1)
	v_add3_u32 v213, v214, v69, v213
	v_mov_b32_dpp v214, v213 row_shr:1 row_mask:0xf bank_mask:0xf
	s_delay_alu instid0(VALU_DEP_1) | instskip(NEXT) | instid1(VALU_DEP_1)
	v_cndmask_b32_e64 v214, v214, 0, s6
	v_add_nc_u32_e32 v213, v214, v213
	s_delay_alu instid0(VALU_DEP_1) | instskip(NEXT) | instid1(VALU_DEP_1)
	v_mov_b32_dpp v214, v213 row_shr:2 row_mask:0xf bank_mask:0xf
	v_cndmask_b32_e64 v214, 0, v214, s7
	s_delay_alu instid0(VALU_DEP_1) | instskip(NEXT) | instid1(VALU_DEP_1)
	v_add_nc_u32_e32 v213, v213, v214
	v_mov_b32_dpp v214, v213 row_shr:4 row_mask:0xf bank_mask:0xf
	s_delay_alu instid0(VALU_DEP_1) | instskip(NEXT) | instid1(VALU_DEP_1)
	v_cndmask_b32_e64 v214, 0, v214, s8
	v_add_nc_u32_e32 v213, v213, v214
	s_delay_alu instid0(VALU_DEP_1) | instskip(NEXT) | instid1(VALU_DEP_1)
	v_mov_b32_dpp v214, v213 row_shr:8 row_mask:0xf bank_mask:0xf
	v_cndmask_b32_e64 v214, 0, v214, s9
	s_delay_alu instid0(VALU_DEP_1) | instskip(SKIP_3) | instid1(VALU_DEP_1)
	v_add_nc_u32_e32 v213, v213, v214
	ds_swizzle_b32 v214, v213 offset:swizzle(BROADCAST,32,15)
	s_wait_dscnt 0x0
	v_cndmask_b32_e64 v214, v214, 0, s10
	v_add_nc_u32_e32 v213, v213, v214
	s_and_saveexec_b32 s15, s3
; %bb.756:                              ;   in Loop: Header=BB1153_687 Depth=2
	ds_store_b32 v95, v213 offset:1024
; %bb.757:                              ;   in Loop: Header=BB1153_687 Depth=2
	s_wait_alu 0xfffe
	s_or_b32 exec_lo, exec_lo, s15
	s_wait_loadcnt_dscnt 0x0
	s_barrier_signal -1
	s_barrier_wait -1
	global_inv scope:SCOPE_SE
	s_and_saveexec_b32 s15, s4
	s_cbranch_execz .LBB1153_759
; %bb.758:                              ;   in Loop: Header=BB1153_687 Depth=2
	ds_load_b32 v214, v103 offset:1024
	s_wait_dscnt 0x0
	v_mov_b32_dpp v215, v214 row_shr:1 row_mask:0xf bank_mask:0xf
	s_delay_alu instid0(VALU_DEP_1) | instskip(NEXT) | instid1(VALU_DEP_1)
	v_cndmask_b32_e64 v215, v215, 0, s12
	v_add_nc_u32_e32 v214, v215, v214
	s_delay_alu instid0(VALU_DEP_1) | instskip(NEXT) | instid1(VALU_DEP_1)
	v_mov_b32_dpp v215, v214 row_shr:2 row_mask:0xf bank_mask:0xf
	v_cndmask_b32_e64 v215, 0, v215, s13
	s_delay_alu instid0(VALU_DEP_1) | instskip(NEXT) | instid1(VALU_DEP_1)
	v_add_nc_u32_e32 v214, v214, v215
	v_mov_b32_dpp v215, v214 row_shr:4 row_mask:0xf bank_mask:0xf
	s_delay_alu instid0(VALU_DEP_1) | instskip(NEXT) | instid1(VALU_DEP_1)
	v_cndmask_b32_e64 v215, 0, v215, s14
	v_add_nc_u32_e32 v214, v214, v215
	ds_store_b32 v103, v214 offset:1024
.LBB1153_759:                           ;   in Loop: Header=BB1153_687 Depth=2
	s_wait_alu 0xfffe
	s_or_b32 exec_lo, exec_lo, s15
	v_mov_b32_e32 v214, 0
	s_wait_loadcnt_dscnt 0x0
	s_barrier_signal -1
	s_barrier_wait -1
	global_inv scope:SCOPE_SE
	s_and_saveexec_b32 s15, s5
; %bb.760:                              ;   in Loop: Header=BB1153_687 Depth=2
	ds_load_b32 v214, v95 offset:1020
; %bb.761:                              ;   in Loop: Header=BB1153_687 Depth=2
	s_wait_alu 0xfffe
	s_or_b32 exec_lo, exec_lo, s15
	s_wait_dscnt 0x0
	v_add_nc_u32_e32 v213, v214, v213
	ds_bpermute_b32 v213, v124, v213
	s_wait_dscnt 0x0
	v_cndmask_b32_e64 v213, v213, v214, s11
	s_delay_alu instid0(VALU_DEP_1) | instskip(NEXT) | instid1(VALU_DEP_1)
	v_cndmask_b32_e64 v213, v213, 0, s0
	v_add_nc_u32_e32 v74, v213, v74
	s_delay_alu instid0(VALU_DEP_1) | instskip(NEXT) | instid1(VALU_DEP_1)
	v_add_nc_u32_e32 v75, v74, v75
	v_add_nc_u32_e32 v72, v75, v72
	s_delay_alu instid0(VALU_DEP_1) | instskip(NEXT) | instid1(VALU_DEP_1)
	v_add_nc_u32_e32 v73, v72, v73
	v_add_nc_u32_e32 v70, v73, v70
	s_delay_alu instid0(VALU_DEP_1) | instskip(NEXT) | instid1(VALU_DEP_1)
	v_add_nc_u32_e32 v71, v70, v71
	v_add_nc_u32_e32 v68, v71, v68
	s_delay_alu instid0(VALU_DEP_1)
	v_add_nc_u32_e32 v69, v68, v69
	ds_store_2addr_b32 v163, v71, v68 offset1:1
	ds_store_2addr_b32 v164, v213, v74 offset1:1
	;; [unrolled: 1-line block ×4, first 2 shown]
	ds_store_b32 v101, v69 offset:1088
	s_wait_loadcnt_dscnt 0x0
	s_barrier_signal -1
	s_barrier_wait -1
	global_inv scope:SCOPE_SE
	ds_load_b32 v69, v167 offset:1056
	ds_load_b32 v74, v170 offset:1056
	ds_load_b32 v73, v173 offset:1056
	ds_load_b32 v72, v176 offset:1056
	ds_load_b32 v71, v179 offset:1056
	ds_load_b32 v70, v182 offset:1056
	ds_load_b32 v179, v185 offset:1056
	ds_load_b32 v176, v188 offset:1056
	ds_load_b32 v173, v191 offset:1056
	ds_load_b32 v170, v194 offset:1056
	ds_load_b32 v167, v197 offset:1056
	ds_load_b32 v166, v200 offset:1056
	ds_load_b32 v165, v203 offset:1056
	ds_load_b32 v164, v206 offset:1056
	ds_load_b32 v163, v209 offset:1056
	ds_load_b32 v75, v212 offset:1056
	ds_load_b32 v182, v101 offset:1056
	v_mov_b32_e32 v68, 0x1000
	s_and_saveexec_b32 s15, s1
; %bb.762:                              ;   in Loop: Header=BB1153_687 Depth=2
	ds_load_b32 v68, v101 offset:1092
; %bb.763:                              ;   in Loop: Header=BB1153_687 Depth=2
	s_wait_alu 0xfffe
	s_or_b32 exec_lo, exec_lo, s15
	s_wait_loadcnt_dscnt 0x0
	s_barrier_signal -1
	s_barrier_wait -1
	global_inv scope:SCOPE_SE
	s_and_saveexec_b32 s15, s2
	s_cbranch_execz .LBB1153_765
; %bb.764:                              ;   in Loop: Header=BB1153_687 Depth=2
	ds_load_b32 v185, v76
	s_wait_dscnt 0x0
	v_sub_nc_u32_e32 v182, v185, v182
	ds_store_b32 v76, v182
.LBB1153_765:                           ;   in Loop: Header=BB1153_687 Depth=2
	s_wait_alu 0xfffe
	s_or_b32 exec_lo, exec_lo, s15
	v_lshlrev_b32_e32 v2, 3, v2
	v_lshlrev_b32_e32 v169, 3, v169
	;; [unrolled: 1-line block ×5, first 2 shown]
	v_lshl_add_u32 v69, v69, 3, v2
	v_lshlrev_b32_e32 v2, 3, v171
	v_lshlrev_b32_e32 v73, 3, v73
	;; [unrolled: 1-line block ×4, first 2 shown]
	ds_store_b64 v69, v[36:37] offset:1024
	v_lshlrev_b32_e32 v36, 3, v72
	v_lshlrev_b32_e32 v37, 3, v178
	;; [unrolled: 1-line block ×7, first 2 shown]
	v_add3_u32 v70, v169, v168, v74
	v_add3_u32 v71, v172, v2, v73
	;; [unrolled: 1-line block ×5, first 2 shown]
	v_lshlrev_b32_e32 v2, 3, v184
	v_lshlrev_b32_e32 v36, 3, v183
	;; [unrolled: 1-line block ×3, first 2 shown]
	ds_store_b64 v70, v[38:39] offset:1024
	ds_store_b64 v71, v[40:41] offset:1024
	ds_store_b64 v72, v[48:49] offset:1024
	ds_store_b64 v73, v[52:53] offset:1024
	ds_store_b64 v74, v[56:57] offset:1024
	v_lshlrev_b32_e32 v39, 3, v187
	v_lshlrev_b32_e32 v40, 3, v186
	;; [unrolled: 1-line block ×12, first 2 shown]
	v_add3_u32 v38, v2, v36, v37
	v_add3_u32 v39, v39, v40, v41
	;; [unrolled: 1-line block ×5, first 2 shown]
	ds_store_b64 v38, v[60:61] offset:1024
	ds_store_b64 v39, v[64:65] offset:1024
	;; [unrolled: 1-line block ×5, first 2 shown]
	v_lshlrev_b32_e32 v2, 3, v199
	v_lshlrev_b32_e32 v36, 3, v198
	;; [unrolled: 1-line block ×15, first 2 shown]
	v_add3_u32 v49, v2, v36, v37
	v_add3_u32 v52, v52, v53, v56
	v_add3_u32 v53, v57, v58, v59
	v_add3_u32 v56, v60, v61, v62
	v_add3_u32 v57, v63, v64, v65
	v_cmp_lt_u32_e32 vcc_lo, v1, v162
	ds_store_b64 v49, v[54:55] offset:1024
	ds_store_b64 v52, v[50:51] offset:1024
	;; [unrolled: 1-line block ×5, first 2 shown]
	s_wait_loadcnt_dscnt 0x0
	s_barrier_signal -1
	s_barrier_wait -1
	global_inv scope:SCOPE_SE
	s_and_saveexec_b32 s16, vcc_lo
	s_cbranch_execnz .LBB1153_834
; %bb.766:                              ;   in Loop: Header=BB1153_687 Depth=2
	s_wait_alu 0xfffe
	s_or_b32 exec_lo, exec_lo, s16
	v_cmp_lt_u32_e64 s15, v77, v162
	s_and_saveexec_b32 s17, s15
	s_cbranch_execnz .LBB1153_835
.LBB1153_767:                           ;   in Loop: Header=BB1153_687 Depth=2
	s_wait_alu 0xfffe
	s_or_b32 exec_lo, exec_lo, s17
	v_cmp_lt_u32_e64 s16, v78, v162
	s_and_saveexec_b32 s18, s16
	s_cbranch_execnz .LBB1153_836
.LBB1153_768:                           ;   in Loop: Header=BB1153_687 Depth=2
	s_wait_alu 0xfffe
	s_or_b32 exec_lo, exec_lo, s18
	v_cmp_lt_u32_e64 s17, v79, v162
	s_and_saveexec_b32 s19, s17
	s_cbranch_execnz .LBB1153_837
.LBB1153_769:                           ;   in Loop: Header=BB1153_687 Depth=2
	s_wait_alu 0xfffe
	s_or_b32 exec_lo, exec_lo, s19
	v_cmp_lt_u32_e64 s18, v82, v162
	s_and_saveexec_b32 s20, s18
	s_cbranch_execnz .LBB1153_838
.LBB1153_770:                           ;   in Loop: Header=BB1153_687 Depth=2
	s_wait_alu 0xfffe
	s_or_b32 exec_lo, exec_lo, s20
	v_cmp_lt_u32_e64 s19, v83, v162
	s_and_saveexec_b32 s21, s19
	s_cbranch_execnz .LBB1153_839
.LBB1153_771:                           ;   in Loop: Header=BB1153_687 Depth=2
	s_wait_alu 0xfffe
	s_or_b32 exec_lo, exec_lo, s21
	v_cmp_lt_u32_e64 s20, v84, v162
	s_and_saveexec_b32 s22, s20
	s_cbranch_execnz .LBB1153_840
.LBB1153_772:                           ;   in Loop: Header=BB1153_687 Depth=2
	s_wait_alu 0xfffe
	s_or_b32 exec_lo, exec_lo, s22
	v_cmp_lt_u32_e64 s21, v85, v162
	s_and_saveexec_b32 s23, s21
	s_cbranch_execnz .LBB1153_841
.LBB1153_773:                           ;   in Loop: Header=BB1153_687 Depth=2
	s_wait_alu 0xfffe
	s_or_b32 exec_lo, exec_lo, s23
	v_cmp_lt_u32_e64 s22, v86, v162
	s_and_saveexec_b32 s24, s22
	s_cbranch_execnz .LBB1153_842
.LBB1153_774:                           ;   in Loop: Header=BB1153_687 Depth=2
	s_wait_alu 0xfffe
	s_or_b32 exec_lo, exec_lo, s24
	v_cmp_lt_u32_e64 s23, v87, v162
	s_and_saveexec_b32 s25, s23
	s_cbranch_execnz .LBB1153_843
.LBB1153_775:                           ;   in Loop: Header=BB1153_687 Depth=2
	s_wait_alu 0xfffe
	s_or_b32 exec_lo, exec_lo, s25
	v_cmp_lt_u32_e64 s24, v88, v162
	s_and_saveexec_b32 s26, s24
	s_cbranch_execnz .LBB1153_844
.LBB1153_776:                           ;   in Loop: Header=BB1153_687 Depth=2
	s_wait_alu 0xfffe
	s_or_b32 exec_lo, exec_lo, s26
	v_cmp_lt_u32_e64 s25, v89, v162
	s_and_saveexec_b32 s27, s25
	s_cbranch_execnz .LBB1153_845
.LBB1153_777:                           ;   in Loop: Header=BB1153_687 Depth=2
	s_wait_alu 0xfffe
	s_or_b32 exec_lo, exec_lo, s27
	v_cmp_lt_u32_e64 s26, v90, v162
	s_and_saveexec_b32 s28, s26
	s_cbranch_execnz .LBB1153_846
.LBB1153_778:                           ;   in Loop: Header=BB1153_687 Depth=2
	s_wait_alu 0xfffe
	s_or_b32 exec_lo, exec_lo, s28
	v_cmp_lt_u32_e64 s27, v91, v162
	s_and_saveexec_b32 s29, s27
	s_cbranch_execnz .LBB1153_847
.LBB1153_779:                           ;   in Loop: Header=BB1153_687 Depth=2
	s_wait_alu 0xfffe
	s_or_b32 exec_lo, exec_lo, s29
	v_cmp_lt_u32_e64 s28, v92, v162
	s_and_saveexec_b32 s30, s28
	s_cbranch_execnz .LBB1153_848
.LBB1153_780:                           ;   in Loop: Header=BB1153_687 Depth=2
	s_wait_alu 0xfffe
	s_or_b32 exec_lo, exec_lo, s30
	v_cmp_lt_u32_e64 s29, v93, v162
	s_and_saveexec_b32 s43, s29
	s_cbranch_execz .LBB1153_782
.LBB1153_781:                           ;   in Loop: Header=BB1153_687 Depth=2
	ds_load_b64 v[36:37], v108 offset:31744
	s_wait_dscnt 0x0
	v_cmp_ne_u64_e64 s30, s[34:35], v[36:37]
	s_wait_alu 0xf1ff
	s_delay_alu instid0(VALU_DEP_1) | instskip(SKIP_2) | instid1(VALU_DEP_2)
	v_cndmask_b32_e64 v43, 0x7fffffff, v37, s30
	v_cndmask_b32_e64 v42, -1, v36, s30
	v_cmp_gt_i64_e64 s30, 0, v[36:37]
	v_lshrrev_b64 v[42:43], s31, v[42:43]
	s_wait_alu 0xf1ff
	s_delay_alu instid0(VALU_DEP_2) | instskip(NEXT) | instid1(VALU_DEP_2)
	v_cndmask_b32_e64 v44, 0x7fffffff, 0, s30
	v_and_b32_e32 v2, s56, v42
	v_ashrrev_i32_e32 v42, 31, v37
	s_delay_alu instid0(VALU_DEP_3) | instskip(NEXT) | instid1(VALU_DEP_3)
	v_xor_b32_e32 v37, v44, v37
	v_lshlrev_b32_e32 v2, 2, v2
	s_delay_alu instid0(VALU_DEP_3) | instskip(SKIP_4) | instid1(VALU_DEP_1)
	v_not_b32_e32 v45, v42
	ds_load_b32 v2, v2
	v_xor_b32_e32 v36, v45, v36
	s_wait_dscnt 0x0
	v_add_nc_u32_e32 v2, v2, v93
	v_lshlrev_b64_e32 v[42:43], 3, v[2:3]
	s_delay_alu instid0(VALU_DEP_1) | instskip(SKIP_1) | instid1(VALU_DEP_2)
	v_add_co_u32 v42, s30, s38, v42
	s_wait_alu 0xf1ff
	v_add_co_ci_u32_e64 v43, null, s39, v43, s30
	global_store_b64 v[42:43], v[36:37], off
.LBB1153_782:                           ;   in Loop: Header=BB1153_687 Depth=2
	s_wait_alu 0xfffe
	s_or_b32 exec_lo, exec_lo, s43
	s_mov_b32 s43, s34
	s_wait_alu 0xfffe
	s_lshl_b64 s[42:43], s[42:43], 3
	s_wait_alu 0xfffe
	v_add_co_u32 v36, s30, v126, s42
	s_wait_alu 0xf1ff
	v_add_co_ci_u32_e64 v37, null, s43, v127, s30
	v_cmp_lt_u32_e64 s30, v125, v162
	s_and_saveexec_b32 s42, s30
	s_wait_alu 0xfffe
	s_xor_b32 s30, exec_lo, s42
	s_cbranch_execnz .LBB1153_849
; %bb.783:                              ;   in Loop: Header=BB1153_687 Depth=2
	s_wait_alu 0xfffe
	s_or_b32 exec_lo, exec_lo, s30
	s_delay_alu instid0(SALU_CYCLE_1)
	s_mov_b32 s42, exec_lo
	v_cmpx_lt_u32_e64 v128, v162
	s_cbranch_execnz .LBB1153_850
.LBB1153_784:                           ;   in Loop: Header=BB1153_687 Depth=2
	s_wait_alu 0xfffe
	s_or_b32 exec_lo, exec_lo, s42
	s_delay_alu instid0(SALU_CYCLE_1)
	s_mov_b32 s42, exec_lo
	v_cmpx_lt_u32_e64 v129, v162
	s_cbranch_execnz .LBB1153_851
.LBB1153_785:                           ;   in Loop: Header=BB1153_687 Depth=2
	s_wait_alu 0xfffe
	s_or_b32 exec_lo, exec_lo, s42
	s_delay_alu instid0(SALU_CYCLE_1)
	s_mov_b32 s42, exec_lo
	v_cmpx_lt_u32_e64 v130, v162
	s_cbranch_execnz .LBB1153_852
.LBB1153_786:                           ;   in Loop: Header=BB1153_687 Depth=2
	s_wait_alu 0xfffe
	s_or_b32 exec_lo, exec_lo, s42
	s_delay_alu instid0(SALU_CYCLE_1)
	s_mov_b32 s42, exec_lo
	v_cmpx_lt_u32_e64 v131, v162
	s_cbranch_execnz .LBB1153_853
.LBB1153_787:                           ;   in Loop: Header=BB1153_687 Depth=2
	s_wait_alu 0xfffe
	s_or_b32 exec_lo, exec_lo, s42
	s_delay_alu instid0(SALU_CYCLE_1)
	s_mov_b32 s42, exec_lo
	v_cmpx_lt_u32_e64 v132, v162
	s_cbranch_execnz .LBB1153_854
.LBB1153_788:                           ;   in Loop: Header=BB1153_687 Depth=2
	s_wait_alu 0xfffe
	s_or_b32 exec_lo, exec_lo, s42
	s_delay_alu instid0(SALU_CYCLE_1)
	s_mov_b32 s42, exec_lo
	v_cmpx_lt_u32_e64 v133, v162
	s_cbranch_execnz .LBB1153_855
.LBB1153_789:                           ;   in Loop: Header=BB1153_687 Depth=2
	s_wait_alu 0xfffe
	s_or_b32 exec_lo, exec_lo, s42
	s_delay_alu instid0(SALU_CYCLE_1)
	s_mov_b32 s42, exec_lo
	v_cmpx_lt_u32_e64 v134, v162
	s_cbranch_execnz .LBB1153_856
.LBB1153_790:                           ;   in Loop: Header=BB1153_687 Depth=2
	s_wait_alu 0xfffe
	s_or_b32 exec_lo, exec_lo, s42
	s_delay_alu instid0(SALU_CYCLE_1)
	s_mov_b32 s42, exec_lo
	v_cmpx_lt_u32_e64 v135, v162
	s_cbranch_execnz .LBB1153_857
.LBB1153_791:                           ;   in Loop: Header=BB1153_687 Depth=2
	s_wait_alu 0xfffe
	s_or_b32 exec_lo, exec_lo, s42
	s_delay_alu instid0(SALU_CYCLE_1)
	s_mov_b32 s42, exec_lo
	v_cmpx_lt_u32_e64 v136, v162
	s_cbranch_execnz .LBB1153_858
.LBB1153_792:                           ;   in Loop: Header=BB1153_687 Depth=2
	s_wait_alu 0xfffe
	s_or_b32 exec_lo, exec_lo, s42
	s_delay_alu instid0(SALU_CYCLE_1)
	s_mov_b32 s42, exec_lo
	v_cmpx_lt_u32_e64 v137, v162
	s_cbranch_execnz .LBB1153_859
.LBB1153_793:                           ;   in Loop: Header=BB1153_687 Depth=2
	s_wait_alu 0xfffe
	s_or_b32 exec_lo, exec_lo, s42
	s_delay_alu instid0(SALU_CYCLE_1)
	s_mov_b32 s42, exec_lo
	v_cmpx_lt_u32_e64 v138, v162
	s_cbranch_execnz .LBB1153_860
.LBB1153_794:                           ;   in Loop: Header=BB1153_687 Depth=2
	s_wait_alu 0xfffe
	s_or_b32 exec_lo, exec_lo, s42
	s_delay_alu instid0(SALU_CYCLE_1)
	s_mov_b32 s42, exec_lo
	v_cmpx_lt_u32_e64 v139, v162
	s_cbranch_execnz .LBB1153_861
.LBB1153_795:                           ;   in Loop: Header=BB1153_687 Depth=2
	s_wait_alu 0xfffe
	s_or_b32 exec_lo, exec_lo, s42
	s_delay_alu instid0(SALU_CYCLE_1)
	s_mov_b32 s42, exec_lo
	v_cmpx_lt_u32_e64 v140, v162
	s_cbranch_execnz .LBB1153_862
.LBB1153_796:                           ;   in Loop: Header=BB1153_687 Depth=2
	s_wait_alu 0xfffe
	s_or_b32 exec_lo, exec_lo, s42
	s_delay_alu instid0(SALU_CYCLE_1)
	s_mov_b32 s42, exec_lo
	v_cmpx_lt_u32_e64 v141, v162
	s_cbranch_execnz .LBB1153_863
.LBB1153_797:                           ;   in Loop: Header=BB1153_687 Depth=2
	s_wait_alu 0xfffe
	s_or_b32 exec_lo, exec_lo, s42
	s_delay_alu instid0(SALU_CYCLE_1)
	s_mov_b32 s42, exec_lo
	v_cmpx_lt_u32_e64 v142, v162
	s_cbranch_execnz .LBB1153_864
.LBB1153_798:                           ;   in Loop: Header=BB1153_687 Depth=2
	s_wait_alu 0xfffe
	s_or_b32 exec_lo, exec_lo, s42
	s_and_saveexec_b32 s42, vcc_lo
	s_cbranch_execnz .LBB1153_865
.LBB1153_799:                           ;   in Loop: Header=BB1153_687 Depth=2
	s_wait_alu 0xfffe
	s_or_b32 exec_lo, exec_lo, s42
	s_and_saveexec_b32 s42, s15
	s_cbranch_execnz .LBB1153_866
.LBB1153_800:                           ;   in Loop: Header=BB1153_687 Depth=2
	s_wait_alu 0xfffe
	s_or_b32 exec_lo, exec_lo, s42
	s_and_saveexec_b32 s42, s16
	s_cbranch_execnz .LBB1153_867
.LBB1153_801:                           ;   in Loop: Header=BB1153_687 Depth=2
	s_wait_alu 0xfffe
	s_or_b32 exec_lo, exec_lo, s42
	s_and_saveexec_b32 s42, s17
	s_cbranch_execnz .LBB1153_868
.LBB1153_802:                           ;   in Loop: Header=BB1153_687 Depth=2
	s_wait_alu 0xfffe
	s_or_b32 exec_lo, exec_lo, s42
	s_and_saveexec_b32 s42, s18
	s_cbranch_execnz .LBB1153_869
.LBB1153_803:                           ;   in Loop: Header=BB1153_687 Depth=2
	s_wait_alu 0xfffe
	s_or_b32 exec_lo, exec_lo, s42
	s_and_saveexec_b32 s42, s19
	s_cbranch_execnz .LBB1153_870
.LBB1153_804:                           ;   in Loop: Header=BB1153_687 Depth=2
	s_wait_alu 0xfffe
	s_or_b32 exec_lo, exec_lo, s42
	s_and_saveexec_b32 s42, s20
	s_cbranch_execnz .LBB1153_871
.LBB1153_805:                           ;   in Loop: Header=BB1153_687 Depth=2
	s_wait_alu 0xfffe
	s_or_b32 exec_lo, exec_lo, s42
	s_and_saveexec_b32 s42, s21
	s_cbranch_execnz .LBB1153_872
.LBB1153_806:                           ;   in Loop: Header=BB1153_687 Depth=2
	s_wait_alu 0xfffe
	s_or_b32 exec_lo, exec_lo, s42
	s_and_saveexec_b32 s42, s22
	s_cbranch_execnz .LBB1153_873
.LBB1153_807:                           ;   in Loop: Header=BB1153_687 Depth=2
	s_wait_alu 0xfffe
	s_or_b32 exec_lo, exec_lo, s42
	s_and_saveexec_b32 s42, s23
	s_cbranch_execnz .LBB1153_874
.LBB1153_808:                           ;   in Loop: Header=BB1153_687 Depth=2
	s_wait_alu 0xfffe
	s_or_b32 exec_lo, exec_lo, s42
	s_and_saveexec_b32 s42, s24
	s_cbranch_execnz .LBB1153_875
.LBB1153_809:                           ;   in Loop: Header=BB1153_687 Depth=2
	s_wait_alu 0xfffe
	s_or_b32 exec_lo, exec_lo, s42
	s_and_saveexec_b32 s42, s25
	s_cbranch_execnz .LBB1153_876
.LBB1153_810:                           ;   in Loop: Header=BB1153_687 Depth=2
	s_wait_alu 0xfffe
	s_or_b32 exec_lo, exec_lo, s42
	s_and_saveexec_b32 s42, s26
	s_cbranch_execnz .LBB1153_877
.LBB1153_811:                           ;   in Loop: Header=BB1153_687 Depth=2
	s_wait_alu 0xfffe
	s_or_b32 exec_lo, exec_lo, s42
	s_and_saveexec_b32 s42, s27
	s_cbranch_execnz .LBB1153_878
.LBB1153_812:                           ;   in Loop: Header=BB1153_687 Depth=2
	s_wait_alu 0xfffe
	s_or_b32 exec_lo, exec_lo, s42
	s_and_saveexec_b32 s42, s28
	s_cbranch_execnz .LBB1153_879
.LBB1153_813:                           ;   in Loop: Header=BB1153_687 Depth=2
	s_wait_alu 0xfffe
	s_or_b32 exec_lo, exec_lo, s42
	s_and_saveexec_b32 s42, s29
	s_cbranch_execz .LBB1153_815
.LBB1153_814:                           ;   in Loop: Header=BB1153_687 Depth=2
	ds_load_b64 v[36:37], v108 offset:31744
	s_wait_dscnt 0x0
	v_cmp_ne_u64_e64 s30, s[34:35], v[36:37]
	s_wait_alu 0xf1ff
	s_delay_alu instid0(VALU_DEP_1) | instskip(SKIP_1) | instid1(VALU_DEP_1)
	v_cndmask_b32_e64 v37, 0x7fffffff, v37, s30
	v_cndmask_b32_e64 v36, -1, v36, s30
	v_lshrrev_b64 v[36:37], s31, v[36:37]
	s_delay_alu instid0(VALU_DEP_1)
	v_and_b32_e32 v146, s56, v36
.LBB1153_815:                           ;   in Loop: Header=BB1153_687 Depth=2
	s_wait_alu 0xfffe
	s_or_b32 exec_lo, exec_lo, s42
	s_wait_loadcnt 0x0
	s_wait_storecnt 0x0
	s_barrier_signal -1
	s_barrier_wait -1
	global_inv scope:SCOPE_SE
	ds_store_b64 v69, v[34:35] offset:1024
	ds_store_b64 v70, v[32:33] offset:1024
	;; [unrolled: 1-line block ×16, first 2 shown]
	s_wait_loadcnt_dscnt 0x0
	s_barrier_signal -1
	s_barrier_wait -1
	global_inv scope:SCOPE_SE
	s_and_saveexec_b32 s30, vcc_lo
	s_cbranch_execnz .LBB1153_880
; %bb.816:                              ;   in Loop: Header=BB1153_687 Depth=2
	s_wait_alu 0xfffe
	s_or_b32 exec_lo, exec_lo, s30
	s_and_saveexec_b32 s30, s15
	s_cbranch_execnz .LBB1153_881
.LBB1153_817:                           ;   in Loop: Header=BB1153_687 Depth=2
	s_wait_alu 0xfffe
	s_or_b32 exec_lo, exec_lo, s30
	s_and_saveexec_b32 s15, s16
	s_cbranch_execnz .LBB1153_882
.LBB1153_818:                           ;   in Loop: Header=BB1153_687 Depth=2
	s_wait_alu 0xfffe
	s_or_b32 exec_lo, exec_lo, s15
	s_and_saveexec_b32 s15, s17
	s_cbranch_execnz .LBB1153_883
.LBB1153_819:                           ;   in Loop: Header=BB1153_687 Depth=2
	s_wait_alu 0xfffe
	s_or_b32 exec_lo, exec_lo, s15
	s_and_saveexec_b32 s15, s18
	s_cbranch_execnz .LBB1153_884
.LBB1153_820:                           ;   in Loop: Header=BB1153_687 Depth=2
	s_wait_alu 0xfffe
	s_or_b32 exec_lo, exec_lo, s15
	s_and_saveexec_b32 s15, s19
	s_cbranch_execnz .LBB1153_885
.LBB1153_821:                           ;   in Loop: Header=BB1153_687 Depth=2
	s_wait_alu 0xfffe
	s_or_b32 exec_lo, exec_lo, s15
	s_and_saveexec_b32 s15, s20
	s_cbranch_execnz .LBB1153_886
.LBB1153_822:                           ;   in Loop: Header=BB1153_687 Depth=2
	s_wait_alu 0xfffe
	s_or_b32 exec_lo, exec_lo, s15
	s_and_saveexec_b32 s15, s21
	s_cbranch_execnz .LBB1153_887
.LBB1153_823:                           ;   in Loop: Header=BB1153_687 Depth=2
	s_wait_alu 0xfffe
	s_or_b32 exec_lo, exec_lo, s15
	s_and_saveexec_b32 s15, s22
	s_cbranch_execnz .LBB1153_888
.LBB1153_824:                           ;   in Loop: Header=BB1153_687 Depth=2
	s_wait_alu 0xfffe
	s_or_b32 exec_lo, exec_lo, s15
	s_and_saveexec_b32 s15, s23
	s_cbranch_execnz .LBB1153_889
.LBB1153_825:                           ;   in Loop: Header=BB1153_687 Depth=2
	s_wait_alu 0xfffe
	s_or_b32 exec_lo, exec_lo, s15
	s_and_saveexec_b32 s15, s24
	s_cbranch_execnz .LBB1153_890
.LBB1153_826:                           ;   in Loop: Header=BB1153_687 Depth=2
	s_wait_alu 0xfffe
	s_or_b32 exec_lo, exec_lo, s15
	s_and_saveexec_b32 s15, s25
	s_cbranch_execnz .LBB1153_891
.LBB1153_827:                           ;   in Loop: Header=BB1153_687 Depth=2
	s_wait_alu 0xfffe
	s_or_b32 exec_lo, exec_lo, s15
	s_and_saveexec_b32 s15, s26
	s_cbranch_execnz .LBB1153_892
.LBB1153_828:                           ;   in Loop: Header=BB1153_687 Depth=2
	s_wait_alu 0xfffe
	s_or_b32 exec_lo, exec_lo, s15
	s_and_saveexec_b32 s15, s27
	s_cbranch_execnz .LBB1153_893
.LBB1153_829:                           ;   in Loop: Header=BB1153_687 Depth=2
	s_wait_alu 0xfffe
	s_or_b32 exec_lo, exec_lo, s15
	s_and_saveexec_b32 s15, s28
	s_cbranch_execnz .LBB1153_894
.LBB1153_830:                           ;   in Loop: Header=BB1153_687 Depth=2
	s_wait_alu 0xfffe
	s_or_b32 exec_lo, exec_lo, s15
	s_and_saveexec_b32 s15, s29
	s_cbranch_execz .LBB1153_832
.LBB1153_831:                           ;   in Loop: Header=BB1153_687 Depth=2
	v_lshlrev_b32_e32 v2, 2, v146
	ds_load_b32 v2, v2
	ds_load_b64 v[36:37], v108 offset:31744
	s_wait_dscnt 0x1
	v_add_nc_u32_e32 v2, v2, v93
	s_delay_alu instid0(VALU_DEP_1) | instskip(NEXT) | instid1(VALU_DEP_1)
	v_lshlrev_b64_e32 v[38:39], 3, v[2:3]
	v_add_co_u32 v38, vcc_lo, s44, v38
	s_wait_alu 0xfffd
	s_delay_alu instid0(VALU_DEP_2)
	v_add_co_ci_u32_e64 v39, null, s45, v39, vcc_lo
	s_wait_dscnt 0x0
	global_store_b64 v[38:39], v[36:37], off
.LBB1153_832:                           ;   in Loop: Header=BB1153_687 Depth=2
	s_wait_alu 0xfffe
	s_or_b32 exec_lo, exec_lo, s15
	s_wait_loadcnt 0x0
	s_wait_storecnt 0x0
	s_barrier_signal -1
	s_barrier_wait -1
	global_inv scope:SCOPE_SE
	s_and_saveexec_b32 s15, s2
	s_cbranch_execz .LBB1153_686
; %bb.833:                              ;   in Loop: Header=BB1153_687 Depth=2
	ds_load_b32 v2, v76
	s_wait_dscnt 0x0
	v_add_nc_u32_e32 v2, v2, v68
	ds_store_b32 v76, v2
	s_branch .LBB1153_686
.LBB1153_834:                           ;   in Loop: Header=BB1153_687 Depth=2
	ds_load_b64 v[36:37], v108 offset:1024
	s_wait_dscnt 0x0
	v_cmp_ne_u64_e64 s15, s[34:35], v[36:37]
	s_wait_alu 0xf1ff
	s_delay_alu instid0(VALU_DEP_1) | instskip(SKIP_2) | instid1(VALU_DEP_2)
	v_cndmask_b32_e64 v43, 0x7fffffff, v37, s15
	v_cndmask_b32_e64 v42, -1, v36, s15
	v_cmp_gt_i64_e64 s15, 0, v[36:37]
	v_lshrrev_b64 v[42:43], s31, v[42:43]
	s_wait_alu 0xf1ff
	s_delay_alu instid0(VALU_DEP_2) | instskip(NEXT) | instid1(VALU_DEP_2)
	v_cndmask_b32_e64 v44, 0x7fffffff, 0, s15
	v_and_b32_e32 v2, s56, v42
	v_ashrrev_i32_e32 v42, 31, v37
	s_delay_alu instid0(VALU_DEP_3) | instskip(NEXT) | instid1(VALU_DEP_3)
	v_xor_b32_e32 v37, v44, v37
	v_lshlrev_b32_e32 v2, 2, v2
	s_delay_alu instid0(VALU_DEP_3) | instskip(SKIP_4) | instid1(VALU_DEP_1)
	v_not_b32_e32 v45, v42
	ds_load_b32 v2, v2
	v_xor_b32_e32 v36, v45, v36
	s_wait_dscnt 0x0
	v_add_nc_u32_e32 v2, v2, v1
	v_lshlrev_b64_e32 v[42:43], 3, v[2:3]
	s_delay_alu instid0(VALU_DEP_1) | instskip(SKIP_1) | instid1(VALU_DEP_2)
	v_add_co_u32 v42, s15, s38, v42
	s_wait_alu 0xf1ff
	v_add_co_ci_u32_e64 v43, null, s39, v43, s15
	global_store_b64 v[42:43], v[36:37], off
	s_wait_alu 0xfffe
	s_or_b32 exec_lo, exec_lo, s16
	v_cmp_lt_u32_e64 s15, v77, v162
	s_and_saveexec_b32 s17, s15
	s_cbranch_execz .LBB1153_767
.LBB1153_835:                           ;   in Loop: Header=BB1153_687 Depth=2
	ds_load_b64 v[36:37], v108 offset:3072
	s_wait_dscnt 0x0
	v_cmp_ne_u64_e64 s16, s[34:35], v[36:37]
	s_wait_alu 0xf1ff
	s_delay_alu instid0(VALU_DEP_1) | instskip(SKIP_2) | instid1(VALU_DEP_2)
	v_cndmask_b32_e64 v43, 0x7fffffff, v37, s16
	v_cndmask_b32_e64 v42, -1, v36, s16
	v_cmp_gt_i64_e64 s16, 0, v[36:37]
	v_lshrrev_b64 v[42:43], s31, v[42:43]
	s_wait_alu 0xf1ff
	s_delay_alu instid0(VALU_DEP_2) | instskip(NEXT) | instid1(VALU_DEP_2)
	v_cndmask_b32_e64 v44, 0x7fffffff, 0, s16
	v_and_b32_e32 v2, s56, v42
	v_ashrrev_i32_e32 v42, 31, v37
	s_delay_alu instid0(VALU_DEP_3) | instskip(NEXT) | instid1(VALU_DEP_3)
	v_xor_b32_e32 v37, v44, v37
	v_lshlrev_b32_e32 v2, 2, v2
	s_delay_alu instid0(VALU_DEP_3) | instskip(SKIP_4) | instid1(VALU_DEP_1)
	v_not_b32_e32 v45, v42
	ds_load_b32 v2, v2
	v_xor_b32_e32 v36, v45, v36
	s_wait_dscnt 0x0
	v_add_nc_u32_e32 v2, v2, v77
	v_lshlrev_b64_e32 v[42:43], 3, v[2:3]
	s_delay_alu instid0(VALU_DEP_1) | instskip(SKIP_1) | instid1(VALU_DEP_2)
	v_add_co_u32 v42, s16, s38, v42
	s_wait_alu 0xf1ff
	v_add_co_ci_u32_e64 v43, null, s39, v43, s16
	global_store_b64 v[42:43], v[36:37], off
	s_wait_alu 0xfffe
	s_or_b32 exec_lo, exec_lo, s17
	v_cmp_lt_u32_e64 s16, v78, v162
	s_and_saveexec_b32 s18, s16
	s_cbranch_execz .LBB1153_768
.LBB1153_836:                           ;   in Loop: Header=BB1153_687 Depth=2
	ds_load_b64 v[36:37], v108 offset:5120
	s_wait_dscnt 0x0
	v_cmp_ne_u64_e64 s17, s[34:35], v[36:37]
	s_wait_alu 0xf1ff
	s_delay_alu instid0(VALU_DEP_1) | instskip(SKIP_2) | instid1(VALU_DEP_2)
	v_cndmask_b32_e64 v43, 0x7fffffff, v37, s17
	v_cndmask_b32_e64 v42, -1, v36, s17
	v_cmp_gt_i64_e64 s17, 0, v[36:37]
	v_lshrrev_b64 v[42:43], s31, v[42:43]
	s_wait_alu 0xf1ff
	s_delay_alu instid0(VALU_DEP_2) | instskip(NEXT) | instid1(VALU_DEP_2)
	v_cndmask_b32_e64 v44, 0x7fffffff, 0, s17
	v_and_b32_e32 v2, s56, v42
	v_ashrrev_i32_e32 v42, 31, v37
	s_delay_alu instid0(VALU_DEP_3) | instskip(NEXT) | instid1(VALU_DEP_3)
	v_xor_b32_e32 v37, v44, v37
	v_lshlrev_b32_e32 v2, 2, v2
	s_delay_alu instid0(VALU_DEP_3) | instskip(SKIP_4) | instid1(VALU_DEP_1)
	v_not_b32_e32 v45, v42
	ds_load_b32 v2, v2
	v_xor_b32_e32 v36, v45, v36
	s_wait_dscnt 0x0
	v_add_nc_u32_e32 v2, v2, v78
	v_lshlrev_b64_e32 v[42:43], 3, v[2:3]
	s_delay_alu instid0(VALU_DEP_1) | instskip(SKIP_1) | instid1(VALU_DEP_2)
	v_add_co_u32 v42, s17, s38, v42
	s_wait_alu 0xf1ff
	v_add_co_ci_u32_e64 v43, null, s39, v43, s17
	global_store_b64 v[42:43], v[36:37], off
	s_wait_alu 0xfffe
	s_or_b32 exec_lo, exec_lo, s18
	v_cmp_lt_u32_e64 s17, v79, v162
	s_and_saveexec_b32 s19, s17
	s_cbranch_execz .LBB1153_769
.LBB1153_837:                           ;   in Loop: Header=BB1153_687 Depth=2
	ds_load_b64 v[36:37], v108 offset:7168
	s_wait_dscnt 0x0
	v_cmp_ne_u64_e64 s18, s[34:35], v[36:37]
	s_wait_alu 0xf1ff
	s_delay_alu instid0(VALU_DEP_1) | instskip(SKIP_2) | instid1(VALU_DEP_2)
	v_cndmask_b32_e64 v43, 0x7fffffff, v37, s18
	v_cndmask_b32_e64 v42, -1, v36, s18
	v_cmp_gt_i64_e64 s18, 0, v[36:37]
	v_lshrrev_b64 v[42:43], s31, v[42:43]
	s_wait_alu 0xf1ff
	s_delay_alu instid0(VALU_DEP_2) | instskip(NEXT) | instid1(VALU_DEP_2)
	v_cndmask_b32_e64 v44, 0x7fffffff, 0, s18
	v_and_b32_e32 v2, s56, v42
	v_ashrrev_i32_e32 v42, 31, v37
	s_delay_alu instid0(VALU_DEP_3) | instskip(NEXT) | instid1(VALU_DEP_3)
	v_xor_b32_e32 v37, v44, v37
	v_lshlrev_b32_e32 v2, 2, v2
	s_delay_alu instid0(VALU_DEP_3) | instskip(SKIP_4) | instid1(VALU_DEP_1)
	v_not_b32_e32 v45, v42
	ds_load_b32 v2, v2
	v_xor_b32_e32 v36, v45, v36
	s_wait_dscnt 0x0
	v_add_nc_u32_e32 v2, v2, v79
	v_lshlrev_b64_e32 v[42:43], 3, v[2:3]
	s_delay_alu instid0(VALU_DEP_1) | instskip(SKIP_1) | instid1(VALU_DEP_2)
	v_add_co_u32 v42, s18, s38, v42
	s_wait_alu 0xf1ff
	v_add_co_ci_u32_e64 v43, null, s39, v43, s18
	global_store_b64 v[42:43], v[36:37], off
	s_wait_alu 0xfffe
	s_or_b32 exec_lo, exec_lo, s19
	v_cmp_lt_u32_e64 s18, v82, v162
	s_and_saveexec_b32 s20, s18
	s_cbranch_execz .LBB1153_770
.LBB1153_838:                           ;   in Loop: Header=BB1153_687 Depth=2
	ds_load_b64 v[36:37], v108 offset:9216
	s_wait_dscnt 0x0
	v_cmp_ne_u64_e64 s19, s[34:35], v[36:37]
	s_wait_alu 0xf1ff
	s_delay_alu instid0(VALU_DEP_1) | instskip(SKIP_2) | instid1(VALU_DEP_2)
	v_cndmask_b32_e64 v43, 0x7fffffff, v37, s19
	v_cndmask_b32_e64 v42, -1, v36, s19
	v_cmp_gt_i64_e64 s19, 0, v[36:37]
	v_lshrrev_b64 v[42:43], s31, v[42:43]
	s_wait_alu 0xf1ff
	s_delay_alu instid0(VALU_DEP_2) | instskip(NEXT) | instid1(VALU_DEP_2)
	v_cndmask_b32_e64 v44, 0x7fffffff, 0, s19
	v_and_b32_e32 v2, s56, v42
	v_ashrrev_i32_e32 v42, 31, v37
	s_delay_alu instid0(VALU_DEP_3) | instskip(NEXT) | instid1(VALU_DEP_3)
	v_xor_b32_e32 v37, v44, v37
	v_lshlrev_b32_e32 v2, 2, v2
	s_delay_alu instid0(VALU_DEP_3) | instskip(SKIP_4) | instid1(VALU_DEP_1)
	v_not_b32_e32 v45, v42
	ds_load_b32 v2, v2
	v_xor_b32_e32 v36, v45, v36
	s_wait_dscnt 0x0
	v_add_nc_u32_e32 v2, v2, v82
	v_lshlrev_b64_e32 v[42:43], 3, v[2:3]
	s_delay_alu instid0(VALU_DEP_1) | instskip(SKIP_1) | instid1(VALU_DEP_2)
	v_add_co_u32 v42, s19, s38, v42
	s_wait_alu 0xf1ff
	v_add_co_ci_u32_e64 v43, null, s39, v43, s19
	global_store_b64 v[42:43], v[36:37], off
	s_wait_alu 0xfffe
	s_or_b32 exec_lo, exec_lo, s20
	v_cmp_lt_u32_e64 s19, v83, v162
	s_and_saveexec_b32 s21, s19
	s_cbranch_execz .LBB1153_771
.LBB1153_839:                           ;   in Loop: Header=BB1153_687 Depth=2
	ds_load_b64 v[36:37], v108 offset:11264
	s_wait_dscnt 0x0
	v_cmp_ne_u64_e64 s20, s[34:35], v[36:37]
	s_wait_alu 0xf1ff
	s_delay_alu instid0(VALU_DEP_1) | instskip(SKIP_2) | instid1(VALU_DEP_2)
	v_cndmask_b32_e64 v43, 0x7fffffff, v37, s20
	v_cndmask_b32_e64 v42, -1, v36, s20
	v_cmp_gt_i64_e64 s20, 0, v[36:37]
	v_lshrrev_b64 v[42:43], s31, v[42:43]
	s_wait_alu 0xf1ff
	s_delay_alu instid0(VALU_DEP_2) | instskip(NEXT) | instid1(VALU_DEP_2)
	v_cndmask_b32_e64 v44, 0x7fffffff, 0, s20
	v_and_b32_e32 v2, s56, v42
	v_ashrrev_i32_e32 v42, 31, v37
	s_delay_alu instid0(VALU_DEP_3) | instskip(NEXT) | instid1(VALU_DEP_3)
	v_xor_b32_e32 v37, v44, v37
	v_lshlrev_b32_e32 v2, 2, v2
	s_delay_alu instid0(VALU_DEP_3) | instskip(SKIP_4) | instid1(VALU_DEP_1)
	v_not_b32_e32 v45, v42
	ds_load_b32 v2, v2
	v_xor_b32_e32 v36, v45, v36
	s_wait_dscnt 0x0
	v_add_nc_u32_e32 v2, v2, v83
	v_lshlrev_b64_e32 v[42:43], 3, v[2:3]
	s_delay_alu instid0(VALU_DEP_1) | instskip(SKIP_1) | instid1(VALU_DEP_2)
	v_add_co_u32 v42, s20, s38, v42
	s_wait_alu 0xf1ff
	v_add_co_ci_u32_e64 v43, null, s39, v43, s20
	global_store_b64 v[42:43], v[36:37], off
	s_wait_alu 0xfffe
	s_or_b32 exec_lo, exec_lo, s21
	v_cmp_lt_u32_e64 s20, v84, v162
	s_and_saveexec_b32 s22, s20
	s_cbranch_execz .LBB1153_772
.LBB1153_840:                           ;   in Loop: Header=BB1153_687 Depth=2
	ds_load_b64 v[36:37], v108 offset:13312
	s_wait_dscnt 0x0
	v_cmp_ne_u64_e64 s21, s[34:35], v[36:37]
	s_wait_alu 0xf1ff
	s_delay_alu instid0(VALU_DEP_1) | instskip(SKIP_2) | instid1(VALU_DEP_2)
	v_cndmask_b32_e64 v43, 0x7fffffff, v37, s21
	v_cndmask_b32_e64 v42, -1, v36, s21
	v_cmp_gt_i64_e64 s21, 0, v[36:37]
	v_lshrrev_b64 v[42:43], s31, v[42:43]
	s_wait_alu 0xf1ff
	s_delay_alu instid0(VALU_DEP_2) | instskip(NEXT) | instid1(VALU_DEP_2)
	v_cndmask_b32_e64 v44, 0x7fffffff, 0, s21
	v_and_b32_e32 v2, s56, v42
	v_ashrrev_i32_e32 v42, 31, v37
	s_delay_alu instid0(VALU_DEP_3) | instskip(NEXT) | instid1(VALU_DEP_3)
	v_xor_b32_e32 v37, v44, v37
	v_lshlrev_b32_e32 v2, 2, v2
	s_delay_alu instid0(VALU_DEP_3) | instskip(SKIP_4) | instid1(VALU_DEP_1)
	v_not_b32_e32 v45, v42
	ds_load_b32 v2, v2
	v_xor_b32_e32 v36, v45, v36
	s_wait_dscnt 0x0
	v_add_nc_u32_e32 v2, v2, v84
	v_lshlrev_b64_e32 v[42:43], 3, v[2:3]
	s_delay_alu instid0(VALU_DEP_1) | instskip(SKIP_1) | instid1(VALU_DEP_2)
	v_add_co_u32 v42, s21, s38, v42
	s_wait_alu 0xf1ff
	v_add_co_ci_u32_e64 v43, null, s39, v43, s21
	global_store_b64 v[42:43], v[36:37], off
	s_wait_alu 0xfffe
	s_or_b32 exec_lo, exec_lo, s22
	v_cmp_lt_u32_e64 s21, v85, v162
	s_and_saveexec_b32 s23, s21
	s_cbranch_execz .LBB1153_773
.LBB1153_841:                           ;   in Loop: Header=BB1153_687 Depth=2
	ds_load_b64 v[36:37], v108 offset:15360
	s_wait_dscnt 0x0
	v_cmp_ne_u64_e64 s22, s[34:35], v[36:37]
	s_wait_alu 0xf1ff
	s_delay_alu instid0(VALU_DEP_1) | instskip(SKIP_2) | instid1(VALU_DEP_2)
	v_cndmask_b32_e64 v43, 0x7fffffff, v37, s22
	v_cndmask_b32_e64 v42, -1, v36, s22
	v_cmp_gt_i64_e64 s22, 0, v[36:37]
	v_lshrrev_b64 v[42:43], s31, v[42:43]
	s_wait_alu 0xf1ff
	s_delay_alu instid0(VALU_DEP_2) | instskip(NEXT) | instid1(VALU_DEP_2)
	v_cndmask_b32_e64 v44, 0x7fffffff, 0, s22
	v_and_b32_e32 v2, s56, v42
	v_ashrrev_i32_e32 v42, 31, v37
	s_delay_alu instid0(VALU_DEP_3) | instskip(NEXT) | instid1(VALU_DEP_3)
	v_xor_b32_e32 v37, v44, v37
	v_lshlrev_b32_e32 v2, 2, v2
	s_delay_alu instid0(VALU_DEP_3) | instskip(SKIP_4) | instid1(VALU_DEP_1)
	v_not_b32_e32 v45, v42
	ds_load_b32 v2, v2
	v_xor_b32_e32 v36, v45, v36
	s_wait_dscnt 0x0
	v_add_nc_u32_e32 v2, v2, v85
	v_lshlrev_b64_e32 v[42:43], 3, v[2:3]
	s_delay_alu instid0(VALU_DEP_1) | instskip(SKIP_1) | instid1(VALU_DEP_2)
	v_add_co_u32 v42, s22, s38, v42
	s_wait_alu 0xf1ff
	v_add_co_ci_u32_e64 v43, null, s39, v43, s22
	global_store_b64 v[42:43], v[36:37], off
	s_wait_alu 0xfffe
	s_or_b32 exec_lo, exec_lo, s23
	v_cmp_lt_u32_e64 s22, v86, v162
	s_and_saveexec_b32 s24, s22
	s_cbranch_execz .LBB1153_774
.LBB1153_842:                           ;   in Loop: Header=BB1153_687 Depth=2
	ds_load_b64 v[36:37], v108 offset:17408
	s_wait_dscnt 0x0
	v_cmp_ne_u64_e64 s23, s[34:35], v[36:37]
	s_wait_alu 0xf1ff
	s_delay_alu instid0(VALU_DEP_1) | instskip(SKIP_2) | instid1(VALU_DEP_2)
	v_cndmask_b32_e64 v43, 0x7fffffff, v37, s23
	v_cndmask_b32_e64 v42, -1, v36, s23
	v_cmp_gt_i64_e64 s23, 0, v[36:37]
	v_lshrrev_b64 v[42:43], s31, v[42:43]
	s_wait_alu 0xf1ff
	s_delay_alu instid0(VALU_DEP_2) | instskip(NEXT) | instid1(VALU_DEP_2)
	v_cndmask_b32_e64 v44, 0x7fffffff, 0, s23
	v_and_b32_e32 v2, s56, v42
	v_ashrrev_i32_e32 v42, 31, v37
	s_delay_alu instid0(VALU_DEP_3) | instskip(NEXT) | instid1(VALU_DEP_3)
	v_xor_b32_e32 v37, v44, v37
	v_lshlrev_b32_e32 v2, 2, v2
	s_delay_alu instid0(VALU_DEP_3) | instskip(SKIP_4) | instid1(VALU_DEP_1)
	v_not_b32_e32 v45, v42
	ds_load_b32 v2, v2
	v_xor_b32_e32 v36, v45, v36
	s_wait_dscnt 0x0
	v_add_nc_u32_e32 v2, v2, v86
	v_lshlrev_b64_e32 v[42:43], 3, v[2:3]
	s_delay_alu instid0(VALU_DEP_1) | instskip(SKIP_1) | instid1(VALU_DEP_2)
	v_add_co_u32 v42, s23, s38, v42
	s_wait_alu 0xf1ff
	v_add_co_ci_u32_e64 v43, null, s39, v43, s23
	global_store_b64 v[42:43], v[36:37], off
	s_wait_alu 0xfffe
	s_or_b32 exec_lo, exec_lo, s24
	v_cmp_lt_u32_e64 s23, v87, v162
	s_and_saveexec_b32 s25, s23
	s_cbranch_execz .LBB1153_775
.LBB1153_843:                           ;   in Loop: Header=BB1153_687 Depth=2
	ds_load_b64 v[36:37], v108 offset:19456
	s_wait_dscnt 0x0
	v_cmp_ne_u64_e64 s24, s[34:35], v[36:37]
	s_wait_alu 0xf1ff
	s_delay_alu instid0(VALU_DEP_1) | instskip(SKIP_2) | instid1(VALU_DEP_2)
	v_cndmask_b32_e64 v43, 0x7fffffff, v37, s24
	v_cndmask_b32_e64 v42, -1, v36, s24
	v_cmp_gt_i64_e64 s24, 0, v[36:37]
	v_lshrrev_b64 v[42:43], s31, v[42:43]
	s_wait_alu 0xf1ff
	s_delay_alu instid0(VALU_DEP_2) | instskip(NEXT) | instid1(VALU_DEP_2)
	v_cndmask_b32_e64 v44, 0x7fffffff, 0, s24
	v_and_b32_e32 v2, s56, v42
	v_ashrrev_i32_e32 v42, 31, v37
	s_delay_alu instid0(VALU_DEP_3) | instskip(NEXT) | instid1(VALU_DEP_3)
	v_xor_b32_e32 v37, v44, v37
	v_lshlrev_b32_e32 v2, 2, v2
	s_delay_alu instid0(VALU_DEP_3) | instskip(SKIP_4) | instid1(VALU_DEP_1)
	v_not_b32_e32 v45, v42
	ds_load_b32 v2, v2
	v_xor_b32_e32 v36, v45, v36
	s_wait_dscnt 0x0
	v_add_nc_u32_e32 v2, v2, v87
	v_lshlrev_b64_e32 v[42:43], 3, v[2:3]
	s_delay_alu instid0(VALU_DEP_1) | instskip(SKIP_1) | instid1(VALU_DEP_2)
	v_add_co_u32 v42, s24, s38, v42
	s_wait_alu 0xf1ff
	v_add_co_ci_u32_e64 v43, null, s39, v43, s24
	global_store_b64 v[42:43], v[36:37], off
	s_wait_alu 0xfffe
	s_or_b32 exec_lo, exec_lo, s25
	v_cmp_lt_u32_e64 s24, v88, v162
	s_and_saveexec_b32 s26, s24
	s_cbranch_execz .LBB1153_776
.LBB1153_844:                           ;   in Loop: Header=BB1153_687 Depth=2
	ds_load_b64 v[36:37], v108 offset:21504
	s_wait_dscnt 0x0
	v_cmp_ne_u64_e64 s25, s[34:35], v[36:37]
	s_wait_alu 0xf1ff
	s_delay_alu instid0(VALU_DEP_1) | instskip(SKIP_2) | instid1(VALU_DEP_2)
	v_cndmask_b32_e64 v43, 0x7fffffff, v37, s25
	v_cndmask_b32_e64 v42, -1, v36, s25
	v_cmp_gt_i64_e64 s25, 0, v[36:37]
	v_lshrrev_b64 v[42:43], s31, v[42:43]
	s_wait_alu 0xf1ff
	s_delay_alu instid0(VALU_DEP_2) | instskip(NEXT) | instid1(VALU_DEP_2)
	v_cndmask_b32_e64 v44, 0x7fffffff, 0, s25
	v_and_b32_e32 v2, s56, v42
	v_ashrrev_i32_e32 v42, 31, v37
	s_delay_alu instid0(VALU_DEP_3) | instskip(NEXT) | instid1(VALU_DEP_3)
	v_xor_b32_e32 v37, v44, v37
	v_lshlrev_b32_e32 v2, 2, v2
	s_delay_alu instid0(VALU_DEP_3) | instskip(SKIP_4) | instid1(VALU_DEP_1)
	v_not_b32_e32 v45, v42
	ds_load_b32 v2, v2
	v_xor_b32_e32 v36, v45, v36
	s_wait_dscnt 0x0
	v_add_nc_u32_e32 v2, v2, v88
	v_lshlrev_b64_e32 v[42:43], 3, v[2:3]
	s_delay_alu instid0(VALU_DEP_1) | instskip(SKIP_1) | instid1(VALU_DEP_2)
	v_add_co_u32 v42, s25, s38, v42
	s_wait_alu 0xf1ff
	v_add_co_ci_u32_e64 v43, null, s39, v43, s25
	global_store_b64 v[42:43], v[36:37], off
	s_wait_alu 0xfffe
	s_or_b32 exec_lo, exec_lo, s26
	v_cmp_lt_u32_e64 s25, v89, v162
	s_and_saveexec_b32 s27, s25
	s_cbranch_execz .LBB1153_777
.LBB1153_845:                           ;   in Loop: Header=BB1153_687 Depth=2
	ds_load_b64 v[36:37], v108 offset:23552
	s_wait_dscnt 0x0
	v_cmp_ne_u64_e64 s26, s[34:35], v[36:37]
	s_wait_alu 0xf1ff
	s_delay_alu instid0(VALU_DEP_1) | instskip(SKIP_2) | instid1(VALU_DEP_2)
	v_cndmask_b32_e64 v43, 0x7fffffff, v37, s26
	v_cndmask_b32_e64 v42, -1, v36, s26
	v_cmp_gt_i64_e64 s26, 0, v[36:37]
	v_lshrrev_b64 v[42:43], s31, v[42:43]
	s_wait_alu 0xf1ff
	s_delay_alu instid0(VALU_DEP_2) | instskip(NEXT) | instid1(VALU_DEP_2)
	v_cndmask_b32_e64 v44, 0x7fffffff, 0, s26
	v_and_b32_e32 v2, s56, v42
	v_ashrrev_i32_e32 v42, 31, v37
	s_delay_alu instid0(VALU_DEP_3) | instskip(NEXT) | instid1(VALU_DEP_3)
	v_xor_b32_e32 v37, v44, v37
	v_lshlrev_b32_e32 v2, 2, v2
	s_delay_alu instid0(VALU_DEP_3) | instskip(SKIP_4) | instid1(VALU_DEP_1)
	v_not_b32_e32 v45, v42
	ds_load_b32 v2, v2
	v_xor_b32_e32 v36, v45, v36
	s_wait_dscnt 0x0
	v_add_nc_u32_e32 v2, v2, v89
	v_lshlrev_b64_e32 v[42:43], 3, v[2:3]
	s_delay_alu instid0(VALU_DEP_1) | instskip(SKIP_1) | instid1(VALU_DEP_2)
	v_add_co_u32 v42, s26, s38, v42
	s_wait_alu 0xf1ff
	v_add_co_ci_u32_e64 v43, null, s39, v43, s26
	global_store_b64 v[42:43], v[36:37], off
	s_wait_alu 0xfffe
	s_or_b32 exec_lo, exec_lo, s27
	v_cmp_lt_u32_e64 s26, v90, v162
	s_and_saveexec_b32 s28, s26
	s_cbranch_execz .LBB1153_778
.LBB1153_846:                           ;   in Loop: Header=BB1153_687 Depth=2
	ds_load_b64 v[36:37], v108 offset:25600
	s_wait_dscnt 0x0
	v_cmp_ne_u64_e64 s27, s[34:35], v[36:37]
	s_wait_alu 0xf1ff
	s_delay_alu instid0(VALU_DEP_1) | instskip(SKIP_2) | instid1(VALU_DEP_2)
	v_cndmask_b32_e64 v43, 0x7fffffff, v37, s27
	v_cndmask_b32_e64 v42, -1, v36, s27
	v_cmp_gt_i64_e64 s27, 0, v[36:37]
	v_lshrrev_b64 v[42:43], s31, v[42:43]
	s_wait_alu 0xf1ff
	s_delay_alu instid0(VALU_DEP_2) | instskip(NEXT) | instid1(VALU_DEP_2)
	v_cndmask_b32_e64 v44, 0x7fffffff, 0, s27
	v_and_b32_e32 v2, s56, v42
	v_ashrrev_i32_e32 v42, 31, v37
	s_delay_alu instid0(VALU_DEP_3) | instskip(NEXT) | instid1(VALU_DEP_3)
	v_xor_b32_e32 v37, v44, v37
	v_lshlrev_b32_e32 v2, 2, v2
	s_delay_alu instid0(VALU_DEP_3) | instskip(SKIP_4) | instid1(VALU_DEP_1)
	v_not_b32_e32 v45, v42
	ds_load_b32 v2, v2
	v_xor_b32_e32 v36, v45, v36
	s_wait_dscnt 0x0
	v_add_nc_u32_e32 v2, v2, v90
	v_lshlrev_b64_e32 v[42:43], 3, v[2:3]
	s_delay_alu instid0(VALU_DEP_1) | instskip(SKIP_1) | instid1(VALU_DEP_2)
	v_add_co_u32 v42, s27, s38, v42
	s_wait_alu 0xf1ff
	v_add_co_ci_u32_e64 v43, null, s39, v43, s27
	global_store_b64 v[42:43], v[36:37], off
	s_wait_alu 0xfffe
	s_or_b32 exec_lo, exec_lo, s28
	v_cmp_lt_u32_e64 s27, v91, v162
	s_and_saveexec_b32 s29, s27
	s_cbranch_execz .LBB1153_779
.LBB1153_847:                           ;   in Loop: Header=BB1153_687 Depth=2
	ds_load_b64 v[36:37], v108 offset:27648
	s_wait_dscnt 0x0
	v_cmp_ne_u64_e64 s28, s[34:35], v[36:37]
	s_wait_alu 0xf1ff
	s_delay_alu instid0(VALU_DEP_1) | instskip(SKIP_2) | instid1(VALU_DEP_2)
	v_cndmask_b32_e64 v43, 0x7fffffff, v37, s28
	v_cndmask_b32_e64 v42, -1, v36, s28
	v_cmp_gt_i64_e64 s28, 0, v[36:37]
	v_lshrrev_b64 v[42:43], s31, v[42:43]
	s_wait_alu 0xf1ff
	s_delay_alu instid0(VALU_DEP_2) | instskip(NEXT) | instid1(VALU_DEP_2)
	v_cndmask_b32_e64 v44, 0x7fffffff, 0, s28
	v_and_b32_e32 v2, s56, v42
	v_ashrrev_i32_e32 v42, 31, v37
	s_delay_alu instid0(VALU_DEP_3) | instskip(NEXT) | instid1(VALU_DEP_3)
	v_xor_b32_e32 v37, v44, v37
	v_lshlrev_b32_e32 v2, 2, v2
	s_delay_alu instid0(VALU_DEP_3) | instskip(SKIP_4) | instid1(VALU_DEP_1)
	v_not_b32_e32 v45, v42
	ds_load_b32 v2, v2
	v_xor_b32_e32 v36, v45, v36
	s_wait_dscnt 0x0
	v_add_nc_u32_e32 v2, v2, v91
	v_lshlrev_b64_e32 v[42:43], 3, v[2:3]
	s_delay_alu instid0(VALU_DEP_1) | instskip(SKIP_1) | instid1(VALU_DEP_2)
	v_add_co_u32 v42, s28, s38, v42
	s_wait_alu 0xf1ff
	v_add_co_ci_u32_e64 v43, null, s39, v43, s28
	global_store_b64 v[42:43], v[36:37], off
	s_wait_alu 0xfffe
	s_or_b32 exec_lo, exec_lo, s29
	v_cmp_lt_u32_e64 s28, v92, v162
	s_and_saveexec_b32 s30, s28
	s_cbranch_execz .LBB1153_780
.LBB1153_848:                           ;   in Loop: Header=BB1153_687 Depth=2
	ds_load_b64 v[36:37], v108 offset:29696
	s_wait_dscnt 0x0
	v_cmp_ne_u64_e64 s29, s[34:35], v[36:37]
	s_wait_alu 0xf1ff
	s_delay_alu instid0(VALU_DEP_1) | instskip(SKIP_2) | instid1(VALU_DEP_2)
	v_cndmask_b32_e64 v43, 0x7fffffff, v37, s29
	v_cndmask_b32_e64 v42, -1, v36, s29
	v_cmp_gt_i64_e64 s29, 0, v[36:37]
	v_lshrrev_b64 v[42:43], s31, v[42:43]
	s_wait_alu 0xf1ff
	s_delay_alu instid0(VALU_DEP_2) | instskip(NEXT) | instid1(VALU_DEP_2)
	v_cndmask_b32_e64 v44, 0x7fffffff, 0, s29
	v_and_b32_e32 v2, s56, v42
	v_ashrrev_i32_e32 v42, 31, v37
	s_delay_alu instid0(VALU_DEP_3) | instskip(NEXT) | instid1(VALU_DEP_3)
	v_xor_b32_e32 v37, v44, v37
	v_lshlrev_b32_e32 v2, 2, v2
	s_delay_alu instid0(VALU_DEP_3) | instskip(SKIP_4) | instid1(VALU_DEP_1)
	v_not_b32_e32 v45, v42
	ds_load_b32 v2, v2
	v_xor_b32_e32 v36, v45, v36
	s_wait_dscnt 0x0
	v_add_nc_u32_e32 v2, v2, v92
	v_lshlrev_b64_e32 v[42:43], 3, v[2:3]
	s_delay_alu instid0(VALU_DEP_1) | instskip(SKIP_1) | instid1(VALU_DEP_2)
	v_add_co_u32 v42, s29, s38, v42
	s_wait_alu 0xf1ff
	v_add_co_ci_u32_e64 v43, null, s39, v43, s29
	global_store_b64 v[42:43], v[36:37], off
	s_wait_alu 0xfffe
	s_or_b32 exec_lo, exec_lo, s30
	v_cmp_lt_u32_e64 s29, v93, v162
	s_and_saveexec_b32 s43, s29
	s_cbranch_execnz .LBB1153_781
	s_branch .LBB1153_782
.LBB1153_849:                           ;   in Loop: Header=BB1153_687 Depth=2
	global_load_b64 v[34:35], v[36:37], off
	s_wait_alu 0xfffe
	s_or_b32 exec_lo, exec_lo, s30
	s_delay_alu instid0(SALU_CYCLE_1)
	s_mov_b32 s42, exec_lo
	v_cmpx_lt_u32_e64 v128, v162
	s_cbranch_execz .LBB1153_784
.LBB1153_850:                           ;   in Loop: Header=BB1153_687 Depth=2
	global_load_b64 v[32:33], v[36:37], off offset:256
	s_wait_alu 0xfffe
	s_or_b32 exec_lo, exec_lo, s42
	s_delay_alu instid0(SALU_CYCLE_1)
	s_mov_b32 s42, exec_lo
	v_cmpx_lt_u32_e64 v129, v162
	s_cbranch_execz .LBB1153_785
.LBB1153_851:                           ;   in Loop: Header=BB1153_687 Depth=2
	global_load_b64 v[30:31], v[36:37], off offset:512
	s_wait_alu 0xfffe
	s_or_b32 exec_lo, exec_lo, s42
	s_delay_alu instid0(SALU_CYCLE_1)
	s_mov_b32 s42, exec_lo
	v_cmpx_lt_u32_e64 v130, v162
	s_cbranch_execz .LBB1153_786
.LBB1153_852:                           ;   in Loop: Header=BB1153_687 Depth=2
	global_load_b64 v[28:29], v[36:37], off offset:768
	s_wait_alu 0xfffe
	s_or_b32 exec_lo, exec_lo, s42
	s_delay_alu instid0(SALU_CYCLE_1)
	s_mov_b32 s42, exec_lo
	v_cmpx_lt_u32_e64 v131, v162
	s_cbranch_execz .LBB1153_787
.LBB1153_853:                           ;   in Loop: Header=BB1153_687 Depth=2
	global_load_b64 v[26:27], v[36:37], off offset:1024
	s_wait_alu 0xfffe
	s_or_b32 exec_lo, exec_lo, s42
	s_delay_alu instid0(SALU_CYCLE_1)
	s_mov_b32 s42, exec_lo
	v_cmpx_lt_u32_e64 v132, v162
	s_cbranch_execz .LBB1153_788
.LBB1153_854:                           ;   in Loop: Header=BB1153_687 Depth=2
	global_load_b64 v[24:25], v[36:37], off offset:1280
	s_wait_alu 0xfffe
	s_or_b32 exec_lo, exec_lo, s42
	s_delay_alu instid0(SALU_CYCLE_1)
	s_mov_b32 s42, exec_lo
	v_cmpx_lt_u32_e64 v133, v162
	s_cbranch_execz .LBB1153_789
.LBB1153_855:                           ;   in Loop: Header=BB1153_687 Depth=2
	global_load_b64 v[22:23], v[36:37], off offset:1536
	s_wait_alu 0xfffe
	s_or_b32 exec_lo, exec_lo, s42
	s_delay_alu instid0(SALU_CYCLE_1)
	s_mov_b32 s42, exec_lo
	v_cmpx_lt_u32_e64 v134, v162
	s_cbranch_execz .LBB1153_790
.LBB1153_856:                           ;   in Loop: Header=BB1153_687 Depth=2
	global_load_b64 v[20:21], v[36:37], off offset:1792
	s_wait_alu 0xfffe
	s_or_b32 exec_lo, exec_lo, s42
	s_delay_alu instid0(SALU_CYCLE_1)
	s_mov_b32 s42, exec_lo
	v_cmpx_lt_u32_e64 v135, v162
	s_cbranch_execz .LBB1153_791
.LBB1153_857:                           ;   in Loop: Header=BB1153_687 Depth=2
	global_load_b64 v[18:19], v[36:37], off offset:2048
	s_wait_alu 0xfffe
	s_or_b32 exec_lo, exec_lo, s42
	s_delay_alu instid0(SALU_CYCLE_1)
	s_mov_b32 s42, exec_lo
	v_cmpx_lt_u32_e64 v136, v162
	s_cbranch_execz .LBB1153_792
.LBB1153_858:                           ;   in Loop: Header=BB1153_687 Depth=2
	global_load_b64 v[16:17], v[36:37], off offset:2304
	s_wait_alu 0xfffe
	s_or_b32 exec_lo, exec_lo, s42
	s_delay_alu instid0(SALU_CYCLE_1)
	s_mov_b32 s42, exec_lo
	v_cmpx_lt_u32_e64 v137, v162
	s_cbranch_execz .LBB1153_793
.LBB1153_859:                           ;   in Loop: Header=BB1153_687 Depth=2
	global_load_b64 v[14:15], v[36:37], off offset:2560
	s_wait_alu 0xfffe
	s_or_b32 exec_lo, exec_lo, s42
	s_delay_alu instid0(SALU_CYCLE_1)
	s_mov_b32 s42, exec_lo
	v_cmpx_lt_u32_e64 v138, v162
	s_cbranch_execz .LBB1153_794
.LBB1153_860:                           ;   in Loop: Header=BB1153_687 Depth=2
	global_load_b64 v[12:13], v[36:37], off offset:2816
	s_wait_alu 0xfffe
	s_or_b32 exec_lo, exec_lo, s42
	s_delay_alu instid0(SALU_CYCLE_1)
	s_mov_b32 s42, exec_lo
	v_cmpx_lt_u32_e64 v139, v162
	s_cbranch_execz .LBB1153_795
.LBB1153_861:                           ;   in Loop: Header=BB1153_687 Depth=2
	global_load_b64 v[10:11], v[36:37], off offset:3072
	s_wait_alu 0xfffe
	s_or_b32 exec_lo, exec_lo, s42
	s_delay_alu instid0(SALU_CYCLE_1)
	s_mov_b32 s42, exec_lo
	v_cmpx_lt_u32_e64 v140, v162
	s_cbranch_execz .LBB1153_796
.LBB1153_862:                           ;   in Loop: Header=BB1153_687 Depth=2
	global_load_b64 v[8:9], v[36:37], off offset:3328
	s_wait_alu 0xfffe
	s_or_b32 exec_lo, exec_lo, s42
	s_delay_alu instid0(SALU_CYCLE_1)
	s_mov_b32 s42, exec_lo
	v_cmpx_lt_u32_e64 v141, v162
	s_cbranch_execz .LBB1153_797
.LBB1153_863:                           ;   in Loop: Header=BB1153_687 Depth=2
	global_load_b64 v[6:7], v[36:37], off offset:3584
	s_wait_alu 0xfffe
	s_or_b32 exec_lo, exec_lo, s42
	s_delay_alu instid0(SALU_CYCLE_1)
	s_mov_b32 s42, exec_lo
	v_cmpx_lt_u32_e64 v142, v162
	s_cbranch_execz .LBB1153_798
.LBB1153_864:                           ;   in Loop: Header=BB1153_687 Depth=2
	global_load_b64 v[4:5], v[36:37], off offset:3840
	s_wait_alu 0xfffe
	s_or_b32 exec_lo, exec_lo, s42
	s_and_saveexec_b32 s42, vcc_lo
	s_cbranch_execz .LBB1153_799
.LBB1153_865:                           ;   in Loop: Header=BB1153_687 Depth=2
	ds_load_b64 v[36:37], v108 offset:1024
	s_wait_dscnt 0x0
	v_cmp_ne_u64_e64 s30, s[34:35], v[36:37]
	s_wait_alu 0xf1ff
	s_delay_alu instid0(VALU_DEP_1) | instskip(SKIP_1) | instid1(VALU_DEP_1)
	v_cndmask_b32_e64 v37, 0x7fffffff, v37, s30
	v_cndmask_b32_e64 v36, -1, v36, s30
	v_lshrrev_b64 v[36:37], s31, v[36:37]
	s_delay_alu instid0(VALU_DEP_1)
	v_and_b32_e32 v161, s56, v36
	s_wait_alu 0xfffe
	s_or_b32 exec_lo, exec_lo, s42
	s_and_saveexec_b32 s42, s15
	s_cbranch_execz .LBB1153_800
.LBB1153_866:                           ;   in Loop: Header=BB1153_687 Depth=2
	ds_load_b64 v[36:37], v108 offset:3072
	s_wait_dscnt 0x0
	v_cmp_ne_u64_e64 s30, s[34:35], v[36:37]
	s_wait_alu 0xf1ff
	s_delay_alu instid0(VALU_DEP_1) | instskip(SKIP_1) | instid1(VALU_DEP_1)
	v_cndmask_b32_e64 v37, 0x7fffffff, v37, s30
	v_cndmask_b32_e64 v36, -1, v36, s30
	v_lshrrev_b64 v[36:37], s31, v[36:37]
	s_delay_alu instid0(VALU_DEP_1)
	v_and_b32_e32 v160, s56, v36
	s_wait_alu 0xfffe
	s_or_b32 exec_lo, exec_lo, s42
	s_and_saveexec_b32 s42, s16
	s_cbranch_execz .LBB1153_801
.LBB1153_867:                           ;   in Loop: Header=BB1153_687 Depth=2
	ds_load_b64 v[36:37], v108 offset:5120
	s_wait_dscnt 0x0
	v_cmp_ne_u64_e64 s30, s[34:35], v[36:37]
	s_wait_alu 0xf1ff
	s_delay_alu instid0(VALU_DEP_1) | instskip(SKIP_1) | instid1(VALU_DEP_1)
	v_cndmask_b32_e64 v37, 0x7fffffff, v37, s30
	v_cndmask_b32_e64 v36, -1, v36, s30
	v_lshrrev_b64 v[36:37], s31, v[36:37]
	s_delay_alu instid0(VALU_DEP_1)
	v_and_b32_e32 v159, s56, v36
	s_wait_alu 0xfffe
	s_or_b32 exec_lo, exec_lo, s42
	s_and_saveexec_b32 s42, s17
	s_cbranch_execz .LBB1153_802
.LBB1153_868:                           ;   in Loop: Header=BB1153_687 Depth=2
	ds_load_b64 v[36:37], v108 offset:7168
	s_wait_dscnt 0x0
	v_cmp_ne_u64_e64 s30, s[34:35], v[36:37]
	s_wait_alu 0xf1ff
	s_delay_alu instid0(VALU_DEP_1) | instskip(SKIP_1) | instid1(VALU_DEP_1)
	v_cndmask_b32_e64 v37, 0x7fffffff, v37, s30
	v_cndmask_b32_e64 v36, -1, v36, s30
	v_lshrrev_b64 v[36:37], s31, v[36:37]
	s_delay_alu instid0(VALU_DEP_1)
	v_and_b32_e32 v158, s56, v36
	s_wait_alu 0xfffe
	s_or_b32 exec_lo, exec_lo, s42
	s_and_saveexec_b32 s42, s18
	s_cbranch_execz .LBB1153_803
.LBB1153_869:                           ;   in Loop: Header=BB1153_687 Depth=2
	ds_load_b64 v[36:37], v108 offset:9216
	s_wait_dscnt 0x0
	v_cmp_ne_u64_e64 s30, s[34:35], v[36:37]
	s_wait_alu 0xf1ff
	s_delay_alu instid0(VALU_DEP_1) | instskip(SKIP_1) | instid1(VALU_DEP_1)
	v_cndmask_b32_e64 v37, 0x7fffffff, v37, s30
	v_cndmask_b32_e64 v36, -1, v36, s30
	v_lshrrev_b64 v[36:37], s31, v[36:37]
	s_delay_alu instid0(VALU_DEP_1)
	v_and_b32_e32 v157, s56, v36
	s_wait_alu 0xfffe
	s_or_b32 exec_lo, exec_lo, s42
	s_and_saveexec_b32 s42, s19
	s_cbranch_execz .LBB1153_804
.LBB1153_870:                           ;   in Loop: Header=BB1153_687 Depth=2
	ds_load_b64 v[36:37], v108 offset:11264
	s_wait_dscnt 0x0
	v_cmp_ne_u64_e64 s30, s[34:35], v[36:37]
	s_wait_alu 0xf1ff
	s_delay_alu instid0(VALU_DEP_1) | instskip(SKIP_1) | instid1(VALU_DEP_1)
	v_cndmask_b32_e64 v37, 0x7fffffff, v37, s30
	v_cndmask_b32_e64 v36, -1, v36, s30
	v_lshrrev_b64 v[36:37], s31, v[36:37]
	s_delay_alu instid0(VALU_DEP_1)
	v_and_b32_e32 v156, s56, v36
	s_wait_alu 0xfffe
	s_or_b32 exec_lo, exec_lo, s42
	s_and_saveexec_b32 s42, s20
	s_cbranch_execz .LBB1153_805
.LBB1153_871:                           ;   in Loop: Header=BB1153_687 Depth=2
	ds_load_b64 v[36:37], v108 offset:13312
	s_wait_dscnt 0x0
	v_cmp_ne_u64_e64 s30, s[34:35], v[36:37]
	s_wait_alu 0xf1ff
	s_delay_alu instid0(VALU_DEP_1) | instskip(SKIP_1) | instid1(VALU_DEP_1)
	v_cndmask_b32_e64 v37, 0x7fffffff, v37, s30
	v_cndmask_b32_e64 v36, -1, v36, s30
	v_lshrrev_b64 v[36:37], s31, v[36:37]
	s_delay_alu instid0(VALU_DEP_1)
	v_and_b32_e32 v155, s56, v36
	s_wait_alu 0xfffe
	s_or_b32 exec_lo, exec_lo, s42
	s_and_saveexec_b32 s42, s21
	s_cbranch_execz .LBB1153_806
.LBB1153_872:                           ;   in Loop: Header=BB1153_687 Depth=2
	ds_load_b64 v[36:37], v108 offset:15360
	s_wait_dscnt 0x0
	v_cmp_ne_u64_e64 s30, s[34:35], v[36:37]
	s_wait_alu 0xf1ff
	s_delay_alu instid0(VALU_DEP_1) | instskip(SKIP_1) | instid1(VALU_DEP_1)
	v_cndmask_b32_e64 v37, 0x7fffffff, v37, s30
	v_cndmask_b32_e64 v36, -1, v36, s30
	v_lshrrev_b64 v[36:37], s31, v[36:37]
	s_delay_alu instid0(VALU_DEP_1)
	v_and_b32_e32 v154, s56, v36
	s_wait_alu 0xfffe
	s_or_b32 exec_lo, exec_lo, s42
	s_and_saveexec_b32 s42, s22
	s_cbranch_execz .LBB1153_807
.LBB1153_873:                           ;   in Loop: Header=BB1153_687 Depth=2
	ds_load_b64 v[36:37], v108 offset:17408
	s_wait_dscnt 0x0
	v_cmp_ne_u64_e64 s30, s[34:35], v[36:37]
	s_wait_alu 0xf1ff
	s_delay_alu instid0(VALU_DEP_1) | instskip(SKIP_1) | instid1(VALU_DEP_1)
	v_cndmask_b32_e64 v37, 0x7fffffff, v37, s30
	v_cndmask_b32_e64 v36, -1, v36, s30
	v_lshrrev_b64 v[36:37], s31, v[36:37]
	s_delay_alu instid0(VALU_DEP_1)
	v_and_b32_e32 v153, s56, v36
	s_wait_alu 0xfffe
	s_or_b32 exec_lo, exec_lo, s42
	s_and_saveexec_b32 s42, s23
	s_cbranch_execz .LBB1153_808
.LBB1153_874:                           ;   in Loop: Header=BB1153_687 Depth=2
	ds_load_b64 v[36:37], v108 offset:19456
	s_wait_dscnt 0x0
	v_cmp_ne_u64_e64 s30, s[34:35], v[36:37]
	s_wait_alu 0xf1ff
	s_delay_alu instid0(VALU_DEP_1) | instskip(SKIP_1) | instid1(VALU_DEP_1)
	v_cndmask_b32_e64 v37, 0x7fffffff, v37, s30
	v_cndmask_b32_e64 v36, -1, v36, s30
	v_lshrrev_b64 v[36:37], s31, v[36:37]
	s_delay_alu instid0(VALU_DEP_1)
	v_and_b32_e32 v152, s56, v36
	s_wait_alu 0xfffe
	s_or_b32 exec_lo, exec_lo, s42
	s_and_saveexec_b32 s42, s24
	s_cbranch_execz .LBB1153_809
.LBB1153_875:                           ;   in Loop: Header=BB1153_687 Depth=2
	ds_load_b64 v[36:37], v108 offset:21504
	s_wait_dscnt 0x0
	v_cmp_ne_u64_e64 s30, s[34:35], v[36:37]
	s_wait_alu 0xf1ff
	s_delay_alu instid0(VALU_DEP_1) | instskip(SKIP_1) | instid1(VALU_DEP_1)
	v_cndmask_b32_e64 v37, 0x7fffffff, v37, s30
	v_cndmask_b32_e64 v36, -1, v36, s30
	v_lshrrev_b64 v[36:37], s31, v[36:37]
	s_delay_alu instid0(VALU_DEP_1)
	v_and_b32_e32 v151, s56, v36
	s_wait_alu 0xfffe
	s_or_b32 exec_lo, exec_lo, s42
	s_and_saveexec_b32 s42, s25
	s_cbranch_execz .LBB1153_810
.LBB1153_876:                           ;   in Loop: Header=BB1153_687 Depth=2
	ds_load_b64 v[36:37], v108 offset:23552
	s_wait_dscnt 0x0
	v_cmp_ne_u64_e64 s30, s[34:35], v[36:37]
	s_wait_alu 0xf1ff
	s_delay_alu instid0(VALU_DEP_1) | instskip(SKIP_1) | instid1(VALU_DEP_1)
	v_cndmask_b32_e64 v37, 0x7fffffff, v37, s30
	v_cndmask_b32_e64 v36, -1, v36, s30
	v_lshrrev_b64 v[36:37], s31, v[36:37]
	s_delay_alu instid0(VALU_DEP_1)
	v_and_b32_e32 v150, s56, v36
	s_wait_alu 0xfffe
	s_or_b32 exec_lo, exec_lo, s42
	s_and_saveexec_b32 s42, s26
	s_cbranch_execz .LBB1153_811
.LBB1153_877:                           ;   in Loop: Header=BB1153_687 Depth=2
	ds_load_b64 v[36:37], v108 offset:25600
	s_wait_dscnt 0x0
	v_cmp_ne_u64_e64 s30, s[34:35], v[36:37]
	s_wait_alu 0xf1ff
	s_delay_alu instid0(VALU_DEP_1) | instskip(SKIP_1) | instid1(VALU_DEP_1)
	v_cndmask_b32_e64 v37, 0x7fffffff, v37, s30
	v_cndmask_b32_e64 v36, -1, v36, s30
	v_lshrrev_b64 v[36:37], s31, v[36:37]
	s_delay_alu instid0(VALU_DEP_1)
	v_and_b32_e32 v149, s56, v36
	s_wait_alu 0xfffe
	s_or_b32 exec_lo, exec_lo, s42
	s_and_saveexec_b32 s42, s27
	s_cbranch_execz .LBB1153_812
.LBB1153_878:                           ;   in Loop: Header=BB1153_687 Depth=2
	ds_load_b64 v[36:37], v108 offset:27648
	s_wait_dscnt 0x0
	v_cmp_ne_u64_e64 s30, s[34:35], v[36:37]
	s_wait_alu 0xf1ff
	s_delay_alu instid0(VALU_DEP_1) | instskip(SKIP_1) | instid1(VALU_DEP_1)
	v_cndmask_b32_e64 v37, 0x7fffffff, v37, s30
	v_cndmask_b32_e64 v36, -1, v36, s30
	v_lshrrev_b64 v[36:37], s31, v[36:37]
	s_delay_alu instid0(VALU_DEP_1)
	v_and_b32_e32 v148, s56, v36
	s_wait_alu 0xfffe
	s_or_b32 exec_lo, exec_lo, s42
	s_and_saveexec_b32 s42, s28
	s_cbranch_execz .LBB1153_813
.LBB1153_879:                           ;   in Loop: Header=BB1153_687 Depth=2
	ds_load_b64 v[36:37], v108 offset:29696
	s_wait_dscnt 0x0
	v_cmp_ne_u64_e64 s30, s[34:35], v[36:37]
	s_wait_alu 0xf1ff
	s_delay_alu instid0(VALU_DEP_1) | instskip(SKIP_1) | instid1(VALU_DEP_1)
	v_cndmask_b32_e64 v37, 0x7fffffff, v37, s30
	v_cndmask_b32_e64 v36, -1, v36, s30
	v_lshrrev_b64 v[36:37], s31, v[36:37]
	s_delay_alu instid0(VALU_DEP_1)
	v_and_b32_e32 v147, s56, v36
	s_wait_alu 0xfffe
	s_or_b32 exec_lo, exec_lo, s42
	s_and_saveexec_b32 s42, s29
	s_cbranch_execnz .LBB1153_814
	s_branch .LBB1153_815
.LBB1153_880:                           ;   in Loop: Header=BB1153_687 Depth=2
	v_lshlrev_b32_e32 v2, 2, v161
	ds_load_b32 v2, v2
	ds_load_b64 v[36:37], v108 offset:1024
	s_wait_dscnt 0x1
	v_add_nc_u32_e32 v2, v2, v1
	s_delay_alu instid0(VALU_DEP_1) | instskip(NEXT) | instid1(VALU_DEP_1)
	v_lshlrev_b64_e32 v[38:39], 3, v[2:3]
	v_add_co_u32 v38, vcc_lo, s44, v38
	s_wait_alu 0xfffd
	s_delay_alu instid0(VALU_DEP_2)
	v_add_co_ci_u32_e64 v39, null, s45, v39, vcc_lo
	s_wait_dscnt 0x0
	global_store_b64 v[38:39], v[36:37], off
	s_wait_alu 0xfffe
	s_or_b32 exec_lo, exec_lo, s30
	s_and_saveexec_b32 s30, s15
	s_cbranch_execz .LBB1153_817
.LBB1153_881:                           ;   in Loop: Header=BB1153_687 Depth=2
	v_lshlrev_b32_e32 v2, 2, v160
	ds_load_b32 v2, v2
	ds_load_b64 v[36:37], v108 offset:3072
	s_wait_dscnt 0x1
	v_add_nc_u32_e32 v2, v2, v77
	s_delay_alu instid0(VALU_DEP_1) | instskip(NEXT) | instid1(VALU_DEP_1)
	v_lshlrev_b64_e32 v[38:39], 3, v[2:3]
	v_add_co_u32 v38, vcc_lo, s44, v38
	s_wait_alu 0xfffd
	s_delay_alu instid0(VALU_DEP_2)
	v_add_co_ci_u32_e64 v39, null, s45, v39, vcc_lo
	s_wait_dscnt 0x0
	global_store_b64 v[38:39], v[36:37], off
	s_wait_alu 0xfffe
	s_or_b32 exec_lo, exec_lo, s30
	s_and_saveexec_b32 s15, s16
	s_cbranch_execz .LBB1153_818
.LBB1153_882:                           ;   in Loop: Header=BB1153_687 Depth=2
	v_lshlrev_b32_e32 v2, 2, v159
	ds_load_b32 v2, v2
	ds_load_b64 v[36:37], v108 offset:5120
	s_wait_dscnt 0x1
	v_add_nc_u32_e32 v2, v2, v78
	s_delay_alu instid0(VALU_DEP_1) | instskip(NEXT) | instid1(VALU_DEP_1)
	v_lshlrev_b64_e32 v[38:39], 3, v[2:3]
	v_add_co_u32 v38, vcc_lo, s44, v38
	s_wait_alu 0xfffd
	s_delay_alu instid0(VALU_DEP_2)
	v_add_co_ci_u32_e64 v39, null, s45, v39, vcc_lo
	s_wait_dscnt 0x0
	global_store_b64 v[38:39], v[36:37], off
	s_wait_alu 0xfffe
	s_or_b32 exec_lo, exec_lo, s15
	s_and_saveexec_b32 s15, s17
	s_cbranch_execz .LBB1153_819
.LBB1153_883:                           ;   in Loop: Header=BB1153_687 Depth=2
	v_lshlrev_b32_e32 v2, 2, v158
	ds_load_b32 v2, v2
	ds_load_b64 v[36:37], v108 offset:7168
	s_wait_dscnt 0x1
	v_add_nc_u32_e32 v2, v2, v79
	s_delay_alu instid0(VALU_DEP_1) | instskip(NEXT) | instid1(VALU_DEP_1)
	v_lshlrev_b64_e32 v[38:39], 3, v[2:3]
	v_add_co_u32 v38, vcc_lo, s44, v38
	s_wait_alu 0xfffd
	s_delay_alu instid0(VALU_DEP_2)
	v_add_co_ci_u32_e64 v39, null, s45, v39, vcc_lo
	s_wait_dscnt 0x0
	global_store_b64 v[38:39], v[36:37], off
	s_wait_alu 0xfffe
	s_or_b32 exec_lo, exec_lo, s15
	s_and_saveexec_b32 s15, s18
	s_cbranch_execz .LBB1153_820
.LBB1153_884:                           ;   in Loop: Header=BB1153_687 Depth=2
	v_lshlrev_b32_e32 v2, 2, v157
	ds_load_b32 v2, v2
	ds_load_b64 v[36:37], v108 offset:9216
	s_wait_dscnt 0x1
	v_add_nc_u32_e32 v2, v2, v82
	s_delay_alu instid0(VALU_DEP_1) | instskip(NEXT) | instid1(VALU_DEP_1)
	v_lshlrev_b64_e32 v[38:39], 3, v[2:3]
	v_add_co_u32 v38, vcc_lo, s44, v38
	s_wait_alu 0xfffd
	s_delay_alu instid0(VALU_DEP_2)
	v_add_co_ci_u32_e64 v39, null, s45, v39, vcc_lo
	s_wait_dscnt 0x0
	global_store_b64 v[38:39], v[36:37], off
	s_wait_alu 0xfffe
	s_or_b32 exec_lo, exec_lo, s15
	s_and_saveexec_b32 s15, s19
	s_cbranch_execz .LBB1153_821
.LBB1153_885:                           ;   in Loop: Header=BB1153_687 Depth=2
	v_lshlrev_b32_e32 v2, 2, v156
	ds_load_b32 v2, v2
	ds_load_b64 v[36:37], v108 offset:11264
	s_wait_dscnt 0x1
	v_add_nc_u32_e32 v2, v2, v83
	s_delay_alu instid0(VALU_DEP_1) | instskip(NEXT) | instid1(VALU_DEP_1)
	v_lshlrev_b64_e32 v[38:39], 3, v[2:3]
	v_add_co_u32 v38, vcc_lo, s44, v38
	s_wait_alu 0xfffd
	s_delay_alu instid0(VALU_DEP_2)
	v_add_co_ci_u32_e64 v39, null, s45, v39, vcc_lo
	s_wait_dscnt 0x0
	global_store_b64 v[38:39], v[36:37], off
	s_wait_alu 0xfffe
	s_or_b32 exec_lo, exec_lo, s15
	s_and_saveexec_b32 s15, s20
	s_cbranch_execz .LBB1153_822
.LBB1153_886:                           ;   in Loop: Header=BB1153_687 Depth=2
	v_lshlrev_b32_e32 v2, 2, v155
	ds_load_b32 v2, v2
	ds_load_b64 v[36:37], v108 offset:13312
	s_wait_dscnt 0x1
	v_add_nc_u32_e32 v2, v2, v84
	s_delay_alu instid0(VALU_DEP_1) | instskip(NEXT) | instid1(VALU_DEP_1)
	v_lshlrev_b64_e32 v[38:39], 3, v[2:3]
	v_add_co_u32 v38, vcc_lo, s44, v38
	s_wait_alu 0xfffd
	s_delay_alu instid0(VALU_DEP_2)
	v_add_co_ci_u32_e64 v39, null, s45, v39, vcc_lo
	s_wait_dscnt 0x0
	global_store_b64 v[38:39], v[36:37], off
	s_wait_alu 0xfffe
	s_or_b32 exec_lo, exec_lo, s15
	s_and_saveexec_b32 s15, s21
	s_cbranch_execz .LBB1153_823
.LBB1153_887:                           ;   in Loop: Header=BB1153_687 Depth=2
	v_lshlrev_b32_e32 v2, 2, v154
	ds_load_b32 v2, v2
	ds_load_b64 v[36:37], v108 offset:15360
	s_wait_dscnt 0x1
	v_add_nc_u32_e32 v2, v2, v85
	s_delay_alu instid0(VALU_DEP_1) | instskip(NEXT) | instid1(VALU_DEP_1)
	v_lshlrev_b64_e32 v[38:39], 3, v[2:3]
	v_add_co_u32 v38, vcc_lo, s44, v38
	s_wait_alu 0xfffd
	s_delay_alu instid0(VALU_DEP_2)
	v_add_co_ci_u32_e64 v39, null, s45, v39, vcc_lo
	s_wait_dscnt 0x0
	global_store_b64 v[38:39], v[36:37], off
	s_wait_alu 0xfffe
	s_or_b32 exec_lo, exec_lo, s15
	s_and_saveexec_b32 s15, s22
	s_cbranch_execz .LBB1153_824
.LBB1153_888:                           ;   in Loop: Header=BB1153_687 Depth=2
	v_lshlrev_b32_e32 v2, 2, v153
	ds_load_b32 v2, v2
	ds_load_b64 v[36:37], v108 offset:17408
	s_wait_dscnt 0x1
	v_add_nc_u32_e32 v2, v2, v86
	s_delay_alu instid0(VALU_DEP_1) | instskip(NEXT) | instid1(VALU_DEP_1)
	v_lshlrev_b64_e32 v[38:39], 3, v[2:3]
	v_add_co_u32 v38, vcc_lo, s44, v38
	s_wait_alu 0xfffd
	s_delay_alu instid0(VALU_DEP_2)
	v_add_co_ci_u32_e64 v39, null, s45, v39, vcc_lo
	s_wait_dscnt 0x0
	global_store_b64 v[38:39], v[36:37], off
	s_wait_alu 0xfffe
	s_or_b32 exec_lo, exec_lo, s15
	s_and_saveexec_b32 s15, s23
	s_cbranch_execz .LBB1153_825
.LBB1153_889:                           ;   in Loop: Header=BB1153_687 Depth=2
	v_lshlrev_b32_e32 v2, 2, v152
	ds_load_b32 v2, v2
	ds_load_b64 v[36:37], v108 offset:19456
	s_wait_dscnt 0x1
	v_add_nc_u32_e32 v2, v2, v87
	s_delay_alu instid0(VALU_DEP_1) | instskip(NEXT) | instid1(VALU_DEP_1)
	v_lshlrev_b64_e32 v[38:39], 3, v[2:3]
	v_add_co_u32 v38, vcc_lo, s44, v38
	s_wait_alu 0xfffd
	s_delay_alu instid0(VALU_DEP_2)
	v_add_co_ci_u32_e64 v39, null, s45, v39, vcc_lo
	s_wait_dscnt 0x0
	global_store_b64 v[38:39], v[36:37], off
	s_wait_alu 0xfffe
	s_or_b32 exec_lo, exec_lo, s15
	s_and_saveexec_b32 s15, s24
	s_cbranch_execz .LBB1153_826
.LBB1153_890:                           ;   in Loop: Header=BB1153_687 Depth=2
	v_lshlrev_b32_e32 v2, 2, v151
	ds_load_b32 v2, v2
	ds_load_b64 v[36:37], v108 offset:21504
	s_wait_dscnt 0x1
	v_add_nc_u32_e32 v2, v2, v88
	s_delay_alu instid0(VALU_DEP_1) | instskip(NEXT) | instid1(VALU_DEP_1)
	v_lshlrev_b64_e32 v[38:39], 3, v[2:3]
	v_add_co_u32 v38, vcc_lo, s44, v38
	s_wait_alu 0xfffd
	s_delay_alu instid0(VALU_DEP_2)
	v_add_co_ci_u32_e64 v39, null, s45, v39, vcc_lo
	s_wait_dscnt 0x0
	global_store_b64 v[38:39], v[36:37], off
	s_wait_alu 0xfffe
	s_or_b32 exec_lo, exec_lo, s15
	s_and_saveexec_b32 s15, s25
	s_cbranch_execz .LBB1153_827
.LBB1153_891:                           ;   in Loop: Header=BB1153_687 Depth=2
	v_lshlrev_b32_e32 v2, 2, v150
	ds_load_b32 v2, v2
	ds_load_b64 v[36:37], v108 offset:23552
	s_wait_dscnt 0x1
	v_add_nc_u32_e32 v2, v2, v89
	s_delay_alu instid0(VALU_DEP_1) | instskip(NEXT) | instid1(VALU_DEP_1)
	v_lshlrev_b64_e32 v[38:39], 3, v[2:3]
	v_add_co_u32 v38, vcc_lo, s44, v38
	s_wait_alu 0xfffd
	s_delay_alu instid0(VALU_DEP_2)
	v_add_co_ci_u32_e64 v39, null, s45, v39, vcc_lo
	s_wait_dscnt 0x0
	global_store_b64 v[38:39], v[36:37], off
	s_wait_alu 0xfffe
	s_or_b32 exec_lo, exec_lo, s15
	s_and_saveexec_b32 s15, s26
	s_cbranch_execz .LBB1153_828
.LBB1153_892:                           ;   in Loop: Header=BB1153_687 Depth=2
	v_lshlrev_b32_e32 v2, 2, v149
	ds_load_b32 v2, v2
	ds_load_b64 v[36:37], v108 offset:25600
	s_wait_dscnt 0x1
	v_add_nc_u32_e32 v2, v2, v90
	s_delay_alu instid0(VALU_DEP_1) | instskip(NEXT) | instid1(VALU_DEP_1)
	v_lshlrev_b64_e32 v[38:39], 3, v[2:3]
	v_add_co_u32 v38, vcc_lo, s44, v38
	s_wait_alu 0xfffd
	s_delay_alu instid0(VALU_DEP_2)
	v_add_co_ci_u32_e64 v39, null, s45, v39, vcc_lo
	s_wait_dscnt 0x0
	global_store_b64 v[38:39], v[36:37], off
	s_wait_alu 0xfffe
	s_or_b32 exec_lo, exec_lo, s15
	s_and_saveexec_b32 s15, s27
	s_cbranch_execz .LBB1153_829
.LBB1153_893:                           ;   in Loop: Header=BB1153_687 Depth=2
	v_lshlrev_b32_e32 v2, 2, v148
	ds_load_b32 v2, v2
	ds_load_b64 v[36:37], v108 offset:27648
	s_wait_dscnt 0x1
	v_add_nc_u32_e32 v2, v2, v91
	s_delay_alu instid0(VALU_DEP_1) | instskip(NEXT) | instid1(VALU_DEP_1)
	v_lshlrev_b64_e32 v[38:39], 3, v[2:3]
	v_add_co_u32 v38, vcc_lo, s44, v38
	s_wait_alu 0xfffd
	s_delay_alu instid0(VALU_DEP_2)
	v_add_co_ci_u32_e64 v39, null, s45, v39, vcc_lo
	s_wait_dscnt 0x0
	global_store_b64 v[38:39], v[36:37], off
	s_wait_alu 0xfffe
	s_or_b32 exec_lo, exec_lo, s15
	s_and_saveexec_b32 s15, s28
	s_cbranch_execz .LBB1153_830
.LBB1153_894:                           ;   in Loop: Header=BB1153_687 Depth=2
	v_lshlrev_b32_e32 v2, 2, v147
	ds_load_b32 v2, v2
	ds_load_b64 v[36:37], v108 offset:29696
	s_wait_dscnt 0x1
	v_add_nc_u32_e32 v2, v2, v92
	s_delay_alu instid0(VALU_DEP_1) | instskip(NEXT) | instid1(VALU_DEP_1)
	v_lshlrev_b64_e32 v[38:39], 3, v[2:3]
	v_add_co_u32 v38, vcc_lo, s44, v38
	s_wait_alu 0xfffd
	s_delay_alu instid0(VALU_DEP_2)
	v_add_co_ci_u32_e64 v39, null, s45, v39, vcc_lo
	s_wait_dscnt 0x0
	global_store_b64 v[38:39], v[36:37], off
	s_wait_alu 0xfffe
	s_or_b32 exec_lo, exec_lo, s15
	s_and_saveexec_b32 s15, s29
	s_cbranch_execnz .LBB1153_831
	s_branch .LBB1153_832
.LBB1153_895:                           ;   in Loop: Header=BB1153_17 Depth=1
	s_wait_loadcnt_dscnt 0x0
	s_barrier_signal -1
	s_mov_b32 s6, 0
	s_barrier_wait -1
.LBB1153_896:                           ;   in Loop: Header=BB1153_17 Depth=1
	s_wait_alu 0xfffe
	s_and_b32 vcc_lo, exec_lo, s6
	s_wait_alu 0xfffe
	s_cbranch_vccz .LBB1153_16
; %bb.897:                              ;   in Loop: Header=BB1153_17 Depth=1
	s_mov_b32 s8, s55
	s_mov_b32 s6, s33
	s_barrier_signal -1
	s_barrier_wait -1
	global_inv scope:SCOPE_SE
                                        ; implicit-def: $vgpr4_vgpr5
                                        ; implicit-def: $vgpr6_vgpr7
                                        ; implicit-def: $vgpr8_vgpr9
                                        ; implicit-def: $vgpr10_vgpr11
                                        ; implicit-def: $vgpr12_vgpr13
                                        ; implicit-def: $vgpr14_vgpr15
                                        ; implicit-def: $vgpr16_vgpr17
                                        ; implicit-def: $vgpr18_vgpr19
                                        ; implicit-def: $vgpr20_vgpr21
                                        ; implicit-def: $vgpr22_vgpr23
                                        ; implicit-def: $vgpr24_vgpr25
                                        ; implicit-def: $vgpr26_vgpr27
                                        ; implicit-def: $vgpr28_vgpr29
                                        ; implicit-def: $vgpr30_vgpr31
                                        ; implicit-def: $vgpr32_vgpr33
                                        ; implicit-def: $vgpr34_vgpr35
	s_branch .LBB1153_899
.LBB1153_898:                           ;   in Loop: Header=BB1153_899 Depth=2
	s_wait_alu 0xfffe
	s_or_b32 exec_lo, exec_lo, s6
	s_addk_co_i32 s8, 0xf000
	s_cmp_ge_u32 s9, s51
	s_mov_b32 s6, s9
	s_cbranch_scc1 .LBB1153_967
.LBB1153_899:                           ;   Parent Loop BB1153_17 Depth=1
                                        ; =>  This Inner Loop Header: Depth=2
	s_wait_alu 0xfffe
	s_add_co_i32 s9, s6, 0x1000
	s_mov_b32 s7, -1
	s_wait_alu 0xfffe
	s_cmp_gt_u32 s9, s51
                                        ; implicit-def: $vgpr36_vgpr37
                                        ; implicit-def: $vgpr38_vgpr39
                                        ; implicit-def: $vgpr40_vgpr41
                                        ; implicit-def: $vgpr42_vgpr43
                                        ; implicit-def: $vgpr44_vgpr45
                                        ; implicit-def: $vgpr46_vgpr47
                                        ; implicit-def: $vgpr48_vgpr49
                                        ; implicit-def: $vgpr50_vgpr51
                                        ; implicit-def: $vgpr52_vgpr53
                                        ; implicit-def: $vgpr54_vgpr55
                                        ; implicit-def: $vgpr56_vgpr57
                                        ; implicit-def: $vgpr58_vgpr59
                                        ; implicit-def: $vgpr60_vgpr61
                                        ; implicit-def: $vgpr62_vgpr63
                                        ; implicit-def: $vgpr64_vgpr65
                                        ; implicit-def: $vgpr66_vgpr67
	s_cbranch_scc1 .LBB1153_901
; %bb.900:                              ;   in Loop: Header=BB1153_899 Depth=2
	s_mov_b32 s7, s34
	s_wait_alu 0xfffe
	s_lshl_b64 s[10:11], s[6:7], 3
	s_mov_b32 s7, 0
	s_wait_alu 0xfffe
	v_add_co_u32 v66, vcc_lo, v115, s10
	s_wait_alu 0xfffd
	v_add_co_ci_u32_e64 v67, null, s11, v116, vcc_lo
	s_clause 0xf
	global_load_b64 v[36:37], v[66:67], off
	global_load_b64 v[38:39], v[66:67], off offset:2048
	global_load_b64 v[40:41], v[66:67], off offset:4096
	;; [unrolled: 1-line block ×15, first 2 shown]
.LBB1153_901:                           ;   in Loop: Header=BB1153_899 Depth=2
	s_and_not1_b32 vcc_lo, exec_lo, s7
	s_movk_i32 s7, 0x1000
	s_wait_alu 0xfffe
	s_cbranch_vccnz .LBB1153_920
; %bb.902:                              ;   in Loop: Header=BB1153_899 Depth=2
	s_mov_b32 s7, s34
	s_mov_b32 s10, exec_lo
	s_wait_alu 0xfffe
	s_lshl_b64 s[6:7], s[6:7], 3
	s_wait_alu 0xfffe
	s_add_nc_u64 s[6:7], s[36:37], s[6:7]
	v_cmpx_gt_u32_e64 s8, v1
	s_cbranch_execnz .LBB1153_952
; %bb.903:                              ;   in Loop: Header=BB1153_899 Depth=2
	s_or_b32 exec_lo, exec_lo, s10
	s_delay_alu instid0(SALU_CYCLE_1)
	s_mov_b32 s10, exec_lo
	v_cmpx_gt_u32_e64 s8, v77
	s_cbranch_execnz .LBB1153_953
.LBB1153_904:                           ;   in Loop: Header=BB1153_899 Depth=2
	s_wait_alu 0xfffe
	s_or_b32 exec_lo, exec_lo, s10
	s_delay_alu instid0(SALU_CYCLE_1)
	s_mov_b32 s10, exec_lo
	v_cmpx_gt_u32_e64 s8, v78
	s_cbranch_execnz .LBB1153_954
.LBB1153_905:                           ;   in Loop: Header=BB1153_899 Depth=2
	s_wait_alu 0xfffe
	s_or_b32 exec_lo, exec_lo, s10
	s_delay_alu instid0(SALU_CYCLE_1)
	s_mov_b32 s10, exec_lo
	v_cmpx_gt_u32_e64 s8, v79
	s_cbranch_execnz .LBB1153_955
.LBB1153_906:                           ;   in Loop: Header=BB1153_899 Depth=2
	s_wait_alu 0xfffe
	s_or_b32 exec_lo, exec_lo, s10
	s_delay_alu instid0(SALU_CYCLE_1)
	s_mov_b32 s10, exec_lo
	v_cmpx_gt_u32_e64 s8, v82
	s_cbranch_execnz .LBB1153_956
.LBB1153_907:                           ;   in Loop: Header=BB1153_899 Depth=2
	s_wait_alu 0xfffe
	s_or_b32 exec_lo, exec_lo, s10
	s_delay_alu instid0(SALU_CYCLE_1)
	s_mov_b32 s10, exec_lo
	v_cmpx_gt_u32_e64 s8, v83
	s_cbranch_execnz .LBB1153_957
.LBB1153_908:                           ;   in Loop: Header=BB1153_899 Depth=2
	s_wait_alu 0xfffe
	s_or_b32 exec_lo, exec_lo, s10
	s_delay_alu instid0(SALU_CYCLE_1)
	s_mov_b32 s10, exec_lo
	v_cmpx_gt_u32_e64 s8, v84
	s_cbranch_execnz .LBB1153_958
.LBB1153_909:                           ;   in Loop: Header=BB1153_899 Depth=2
	s_wait_alu 0xfffe
	s_or_b32 exec_lo, exec_lo, s10
	s_delay_alu instid0(SALU_CYCLE_1)
	s_mov_b32 s10, exec_lo
	v_cmpx_gt_u32_e64 s8, v85
	s_cbranch_execnz .LBB1153_959
.LBB1153_910:                           ;   in Loop: Header=BB1153_899 Depth=2
	s_wait_alu 0xfffe
	s_or_b32 exec_lo, exec_lo, s10
	s_delay_alu instid0(SALU_CYCLE_1)
	s_mov_b32 s10, exec_lo
	v_cmpx_gt_u32_e64 s8, v86
	s_cbranch_execnz .LBB1153_960
.LBB1153_911:                           ;   in Loop: Header=BB1153_899 Depth=2
	s_wait_alu 0xfffe
	s_or_b32 exec_lo, exec_lo, s10
	s_delay_alu instid0(SALU_CYCLE_1)
	s_mov_b32 s10, exec_lo
	v_cmpx_gt_u32_e64 s8, v87
	s_cbranch_execnz .LBB1153_961
.LBB1153_912:                           ;   in Loop: Header=BB1153_899 Depth=2
	s_wait_alu 0xfffe
	s_or_b32 exec_lo, exec_lo, s10
	s_delay_alu instid0(SALU_CYCLE_1)
	s_mov_b32 s10, exec_lo
	v_cmpx_gt_u32_e64 s8, v88
	s_cbranch_execnz .LBB1153_962
.LBB1153_913:                           ;   in Loop: Header=BB1153_899 Depth=2
	s_wait_alu 0xfffe
	s_or_b32 exec_lo, exec_lo, s10
	s_delay_alu instid0(SALU_CYCLE_1)
	s_mov_b32 s10, exec_lo
	v_cmpx_gt_u32_e64 s8, v89
	s_cbranch_execnz .LBB1153_963
.LBB1153_914:                           ;   in Loop: Header=BB1153_899 Depth=2
	s_wait_alu 0xfffe
	s_or_b32 exec_lo, exec_lo, s10
	s_delay_alu instid0(SALU_CYCLE_1)
	s_mov_b32 s10, exec_lo
	v_cmpx_gt_u32_e64 s8, v90
	s_cbranch_execnz .LBB1153_964
.LBB1153_915:                           ;   in Loop: Header=BB1153_899 Depth=2
	s_wait_alu 0xfffe
	s_or_b32 exec_lo, exec_lo, s10
	s_delay_alu instid0(SALU_CYCLE_1)
	s_mov_b32 s10, exec_lo
	v_cmpx_gt_u32_e64 s8, v91
	s_cbranch_execnz .LBB1153_965
.LBB1153_916:                           ;   in Loop: Header=BB1153_899 Depth=2
	s_wait_alu 0xfffe
	s_or_b32 exec_lo, exec_lo, s10
	s_delay_alu instid0(SALU_CYCLE_1)
	s_mov_b32 s10, exec_lo
	v_cmpx_gt_u32_e64 s8, v92
	s_cbranch_execnz .LBB1153_966
.LBB1153_917:                           ;   in Loop: Header=BB1153_899 Depth=2
	s_wait_alu 0xfffe
	s_or_b32 exec_lo, exec_lo, s10
	s_delay_alu instid0(SALU_CYCLE_1)
	s_mov_b32 s10, exec_lo
	v_cmpx_gt_u32_e64 s8, v93
	s_cbranch_execz .LBB1153_919
.LBB1153_918:                           ;   in Loop: Header=BB1153_899 Depth=2
	global_load_b64 v[4:5], v122, s[6:7] offset:30720
.LBB1153_919:                           ;   in Loop: Header=BB1153_899 Depth=2
	s_wait_alu 0xfffe
	s_or_b32 exec_lo, exec_lo, s10
	s_wait_loadcnt 0x0
	v_dual_mov_b32 v37, v35 :: v_dual_mov_b32 v36, v34
	v_dual_mov_b32 v39, v33 :: v_dual_mov_b32 v38, v32
	;; [unrolled: 1-line block ×16, first 2 shown]
	s_mov_b32 s7, s8
.LBB1153_920:                           ;   in Loop: Header=BB1153_899 Depth=2
	s_wait_loadcnt 0x0
	s_delay_alu instid0(VALU_DEP_1)
	v_dual_mov_b32 v4, v66 :: v_dual_mov_b32 v5, v67
	v_dual_mov_b32 v6, v64 :: v_dual_mov_b32 v7, v65
	;; [unrolled: 1-line block ×16, first 2 shown]
	s_mov_b32 s6, exec_lo
	s_wait_alu 0xfffe
	v_cmpx_gt_u32_e64 s7, v1
	s_cbranch_execnz .LBB1153_936
; %bb.921:                              ;   in Loop: Header=BB1153_899 Depth=2
	s_or_b32 exec_lo, exec_lo, s6
	s_delay_alu instid0(SALU_CYCLE_1)
	s_mov_b32 s6, exec_lo
	v_cmpx_gt_u32_e64 s7, v77
	s_cbranch_execnz .LBB1153_937
.LBB1153_922:                           ;   in Loop: Header=BB1153_899 Depth=2
	s_wait_alu 0xfffe
	s_or_b32 exec_lo, exec_lo, s6
	s_delay_alu instid0(SALU_CYCLE_1)
	s_mov_b32 s6, exec_lo
	v_cmpx_gt_u32_e64 s7, v78
	s_cbranch_execnz .LBB1153_938
.LBB1153_923:                           ;   in Loop: Header=BB1153_899 Depth=2
	s_wait_alu 0xfffe
	s_or_b32 exec_lo, exec_lo, s6
	s_delay_alu instid0(SALU_CYCLE_1)
	s_mov_b32 s6, exec_lo
	v_cmpx_gt_u32_e64 s7, v79
	s_cbranch_execnz .LBB1153_939
.LBB1153_924:                           ;   in Loop: Header=BB1153_899 Depth=2
	s_wait_alu 0xfffe
	s_or_b32 exec_lo, exec_lo, s6
	s_delay_alu instid0(SALU_CYCLE_1)
	s_mov_b32 s6, exec_lo
	v_cmpx_gt_u32_e64 s7, v82
	s_cbranch_execnz .LBB1153_940
.LBB1153_925:                           ;   in Loop: Header=BB1153_899 Depth=2
	s_wait_alu 0xfffe
	s_or_b32 exec_lo, exec_lo, s6
	s_delay_alu instid0(SALU_CYCLE_1)
	s_mov_b32 s6, exec_lo
	v_cmpx_gt_u32_e64 s7, v83
	s_cbranch_execnz .LBB1153_941
.LBB1153_926:                           ;   in Loop: Header=BB1153_899 Depth=2
	s_wait_alu 0xfffe
	s_or_b32 exec_lo, exec_lo, s6
	s_delay_alu instid0(SALU_CYCLE_1)
	s_mov_b32 s6, exec_lo
	v_cmpx_gt_u32_e64 s7, v84
	s_cbranch_execnz .LBB1153_942
.LBB1153_927:                           ;   in Loop: Header=BB1153_899 Depth=2
	s_wait_alu 0xfffe
	s_or_b32 exec_lo, exec_lo, s6
	s_delay_alu instid0(SALU_CYCLE_1)
	s_mov_b32 s6, exec_lo
	v_cmpx_gt_u32_e64 s7, v85
	s_cbranch_execnz .LBB1153_943
.LBB1153_928:                           ;   in Loop: Header=BB1153_899 Depth=2
	s_wait_alu 0xfffe
	s_or_b32 exec_lo, exec_lo, s6
	s_delay_alu instid0(SALU_CYCLE_1)
	s_mov_b32 s6, exec_lo
	v_cmpx_gt_u32_e64 s7, v86
	s_cbranch_execnz .LBB1153_944
.LBB1153_929:                           ;   in Loop: Header=BB1153_899 Depth=2
	s_wait_alu 0xfffe
	s_or_b32 exec_lo, exec_lo, s6
	s_delay_alu instid0(SALU_CYCLE_1)
	s_mov_b32 s6, exec_lo
	v_cmpx_gt_u32_e64 s7, v87
	s_cbranch_execnz .LBB1153_945
.LBB1153_930:                           ;   in Loop: Header=BB1153_899 Depth=2
	s_wait_alu 0xfffe
	s_or_b32 exec_lo, exec_lo, s6
	s_delay_alu instid0(SALU_CYCLE_1)
	s_mov_b32 s6, exec_lo
	v_cmpx_gt_u32_e64 s7, v88
	s_cbranch_execnz .LBB1153_946
.LBB1153_931:                           ;   in Loop: Header=BB1153_899 Depth=2
	s_wait_alu 0xfffe
	s_or_b32 exec_lo, exec_lo, s6
	s_delay_alu instid0(SALU_CYCLE_1)
	s_mov_b32 s6, exec_lo
	v_cmpx_gt_u32_e64 s7, v89
	s_cbranch_execnz .LBB1153_947
.LBB1153_932:                           ;   in Loop: Header=BB1153_899 Depth=2
	s_wait_alu 0xfffe
	s_or_b32 exec_lo, exec_lo, s6
	s_delay_alu instid0(SALU_CYCLE_1)
	s_mov_b32 s6, exec_lo
	v_cmpx_gt_u32_e64 s7, v90
	s_cbranch_execnz .LBB1153_948
.LBB1153_933:                           ;   in Loop: Header=BB1153_899 Depth=2
	s_wait_alu 0xfffe
	s_or_b32 exec_lo, exec_lo, s6
	s_delay_alu instid0(SALU_CYCLE_1)
	s_mov_b32 s6, exec_lo
	v_cmpx_gt_u32_e64 s7, v91
	s_cbranch_execnz .LBB1153_949
.LBB1153_934:                           ;   in Loop: Header=BB1153_899 Depth=2
	s_wait_alu 0xfffe
	s_or_b32 exec_lo, exec_lo, s6
	s_delay_alu instid0(SALU_CYCLE_1)
	s_mov_b32 s6, exec_lo
	v_cmpx_gt_u32_e64 s7, v92
	s_cbranch_execnz .LBB1153_950
.LBB1153_935:                           ;   in Loop: Header=BB1153_899 Depth=2
	s_wait_alu 0xfffe
	s_or_b32 exec_lo, exec_lo, s6
	s_delay_alu instid0(SALU_CYCLE_1)
	s_mov_b32 s6, exec_lo
	v_cmpx_gt_u32_e64 s7, v93
	s_cbranch_execz .LBB1153_898
	s_branch .LBB1153_951
.LBB1153_936:                           ;   in Loop: Header=BB1153_899 Depth=2
	v_cmp_gt_i64_e32 vcc_lo, 0, v[34:35]
	v_ashrrev_i32_e32 v2, 31, v35
	s_delay_alu instid0(VALU_DEP_1) | instskip(SKIP_2) | instid1(VALU_DEP_1)
	v_not_b32_e32 v2, v2
	s_wait_alu 0xfffd
	v_cndmask_b32_e64 v36, 0x7fffffff, 0, vcc_lo
	v_xor_b32_e32 v37, v36, v35
	s_delay_alu instid0(VALU_DEP_3) | instskip(NEXT) | instid1(VALU_DEP_1)
	v_xor_b32_e32 v36, v2, v34
	v_cmp_ne_u64_e32 vcc_lo, s[34:35], v[36:37]
	s_wait_alu 0xfffd
	v_cndmask_b32_e32 v37, 0x7fffffff, v37, vcc_lo
	v_cndmask_b32_e32 v36, -1, v36, vcc_lo
	s_delay_alu instid0(VALU_DEP_1) | instskip(NEXT) | instid1(VALU_DEP_1)
	v_lshrrev_b64 v[36:37], s31, v[36:37]
	v_and_b32_e32 v2, s56, v36
	s_delay_alu instid0(VALU_DEP_1) | instskip(SKIP_2) | instid1(SALU_CYCLE_1)
	v_lshl_or_b32 v2, v2, 4, v94
	ds_add_u32 v2, v121
	s_or_b32 exec_lo, exec_lo, s6
	s_mov_b32 s6, exec_lo
	v_cmpx_gt_u32_e64 s7, v77
	s_cbranch_execz .LBB1153_922
.LBB1153_937:                           ;   in Loop: Header=BB1153_899 Depth=2
	v_cmp_gt_i64_e32 vcc_lo, 0, v[32:33]
	v_ashrrev_i32_e32 v2, 31, v33
	s_delay_alu instid0(VALU_DEP_1) | instskip(SKIP_2) | instid1(VALU_DEP_1)
	v_not_b32_e32 v2, v2
	s_wait_alu 0xfffd
	v_cndmask_b32_e64 v36, 0x7fffffff, 0, vcc_lo
	v_xor_b32_e32 v37, v36, v33
	s_delay_alu instid0(VALU_DEP_3) | instskip(NEXT) | instid1(VALU_DEP_1)
	v_xor_b32_e32 v36, v2, v32
	v_cmp_ne_u64_e32 vcc_lo, s[34:35], v[36:37]
	s_wait_alu 0xfffd
	v_cndmask_b32_e32 v37, 0x7fffffff, v37, vcc_lo
	v_cndmask_b32_e32 v36, -1, v36, vcc_lo
	s_delay_alu instid0(VALU_DEP_1) | instskip(NEXT) | instid1(VALU_DEP_1)
	v_lshrrev_b64 v[36:37], s31, v[36:37]
	v_and_b32_e32 v2, s56, v36
	s_delay_alu instid0(VALU_DEP_1) | instskip(SKIP_3) | instid1(SALU_CYCLE_1)
	v_lshl_or_b32 v2, v2, 4, v94
	ds_add_u32 v2, v121
	s_wait_alu 0xfffe
	s_or_b32 exec_lo, exec_lo, s6
	s_mov_b32 s6, exec_lo
	v_cmpx_gt_u32_e64 s7, v78
	s_cbranch_execz .LBB1153_923
.LBB1153_938:                           ;   in Loop: Header=BB1153_899 Depth=2
	v_cmp_gt_i64_e32 vcc_lo, 0, v[30:31]
	v_ashrrev_i32_e32 v2, 31, v31
	s_delay_alu instid0(VALU_DEP_1) | instskip(SKIP_2) | instid1(VALU_DEP_1)
	v_not_b32_e32 v2, v2
	s_wait_alu 0xfffd
	v_cndmask_b32_e64 v36, 0x7fffffff, 0, vcc_lo
	v_xor_b32_e32 v37, v36, v31
	s_delay_alu instid0(VALU_DEP_3) | instskip(NEXT) | instid1(VALU_DEP_1)
	v_xor_b32_e32 v36, v2, v30
	v_cmp_ne_u64_e32 vcc_lo, s[34:35], v[36:37]
	s_wait_alu 0xfffd
	v_cndmask_b32_e32 v37, 0x7fffffff, v37, vcc_lo
	v_cndmask_b32_e32 v36, -1, v36, vcc_lo
	s_delay_alu instid0(VALU_DEP_1) | instskip(NEXT) | instid1(VALU_DEP_1)
	v_lshrrev_b64 v[36:37], s31, v[36:37]
	v_and_b32_e32 v2, s56, v36
	s_delay_alu instid0(VALU_DEP_1) | instskip(SKIP_3) | instid1(SALU_CYCLE_1)
	v_lshl_or_b32 v2, v2, 4, v94
	ds_add_u32 v2, v121
	s_wait_alu 0xfffe
	s_or_b32 exec_lo, exec_lo, s6
	s_mov_b32 s6, exec_lo
	v_cmpx_gt_u32_e64 s7, v79
	s_cbranch_execz .LBB1153_924
.LBB1153_939:                           ;   in Loop: Header=BB1153_899 Depth=2
	v_cmp_gt_i64_e32 vcc_lo, 0, v[28:29]
	v_ashrrev_i32_e32 v2, 31, v29
	s_delay_alu instid0(VALU_DEP_1) | instskip(SKIP_2) | instid1(VALU_DEP_1)
	v_not_b32_e32 v2, v2
	s_wait_alu 0xfffd
	v_cndmask_b32_e64 v36, 0x7fffffff, 0, vcc_lo
	v_xor_b32_e32 v37, v36, v29
	s_delay_alu instid0(VALU_DEP_3) | instskip(NEXT) | instid1(VALU_DEP_1)
	v_xor_b32_e32 v36, v2, v28
	v_cmp_ne_u64_e32 vcc_lo, s[34:35], v[36:37]
	s_wait_alu 0xfffd
	v_cndmask_b32_e32 v37, 0x7fffffff, v37, vcc_lo
	v_cndmask_b32_e32 v36, -1, v36, vcc_lo
	s_delay_alu instid0(VALU_DEP_1) | instskip(NEXT) | instid1(VALU_DEP_1)
	v_lshrrev_b64 v[36:37], s31, v[36:37]
	v_and_b32_e32 v2, s56, v36
	s_delay_alu instid0(VALU_DEP_1) | instskip(SKIP_3) | instid1(SALU_CYCLE_1)
	v_lshl_or_b32 v2, v2, 4, v94
	ds_add_u32 v2, v121
	s_wait_alu 0xfffe
	s_or_b32 exec_lo, exec_lo, s6
	s_mov_b32 s6, exec_lo
	v_cmpx_gt_u32_e64 s7, v82
	s_cbranch_execz .LBB1153_925
.LBB1153_940:                           ;   in Loop: Header=BB1153_899 Depth=2
	v_cmp_gt_i64_e32 vcc_lo, 0, v[26:27]
	v_ashrrev_i32_e32 v2, 31, v27
	s_delay_alu instid0(VALU_DEP_1) | instskip(SKIP_2) | instid1(VALU_DEP_1)
	v_not_b32_e32 v2, v2
	s_wait_alu 0xfffd
	v_cndmask_b32_e64 v36, 0x7fffffff, 0, vcc_lo
	v_xor_b32_e32 v37, v36, v27
	s_delay_alu instid0(VALU_DEP_3) | instskip(NEXT) | instid1(VALU_DEP_1)
	v_xor_b32_e32 v36, v2, v26
	v_cmp_ne_u64_e32 vcc_lo, s[34:35], v[36:37]
	s_wait_alu 0xfffd
	v_cndmask_b32_e32 v37, 0x7fffffff, v37, vcc_lo
	v_cndmask_b32_e32 v36, -1, v36, vcc_lo
	s_delay_alu instid0(VALU_DEP_1) | instskip(NEXT) | instid1(VALU_DEP_1)
	v_lshrrev_b64 v[36:37], s31, v[36:37]
	v_and_b32_e32 v2, s56, v36
	s_delay_alu instid0(VALU_DEP_1) | instskip(SKIP_3) | instid1(SALU_CYCLE_1)
	v_lshl_or_b32 v2, v2, 4, v94
	ds_add_u32 v2, v121
	s_wait_alu 0xfffe
	s_or_b32 exec_lo, exec_lo, s6
	s_mov_b32 s6, exec_lo
	v_cmpx_gt_u32_e64 s7, v83
	s_cbranch_execz .LBB1153_926
.LBB1153_941:                           ;   in Loop: Header=BB1153_899 Depth=2
	v_cmp_gt_i64_e32 vcc_lo, 0, v[24:25]
	v_ashrrev_i32_e32 v2, 31, v25
	s_delay_alu instid0(VALU_DEP_1) | instskip(SKIP_2) | instid1(VALU_DEP_1)
	v_not_b32_e32 v2, v2
	s_wait_alu 0xfffd
	v_cndmask_b32_e64 v36, 0x7fffffff, 0, vcc_lo
	v_xor_b32_e32 v37, v36, v25
	s_delay_alu instid0(VALU_DEP_3) | instskip(NEXT) | instid1(VALU_DEP_1)
	v_xor_b32_e32 v36, v2, v24
	v_cmp_ne_u64_e32 vcc_lo, s[34:35], v[36:37]
	s_wait_alu 0xfffd
	v_cndmask_b32_e32 v37, 0x7fffffff, v37, vcc_lo
	v_cndmask_b32_e32 v36, -1, v36, vcc_lo
	s_delay_alu instid0(VALU_DEP_1) | instskip(NEXT) | instid1(VALU_DEP_1)
	v_lshrrev_b64 v[36:37], s31, v[36:37]
	v_and_b32_e32 v2, s56, v36
	s_delay_alu instid0(VALU_DEP_1) | instskip(SKIP_3) | instid1(SALU_CYCLE_1)
	v_lshl_or_b32 v2, v2, 4, v94
	ds_add_u32 v2, v121
	s_wait_alu 0xfffe
	s_or_b32 exec_lo, exec_lo, s6
	s_mov_b32 s6, exec_lo
	v_cmpx_gt_u32_e64 s7, v84
	s_cbranch_execz .LBB1153_927
.LBB1153_942:                           ;   in Loop: Header=BB1153_899 Depth=2
	v_cmp_gt_i64_e32 vcc_lo, 0, v[22:23]
	v_ashrrev_i32_e32 v2, 31, v23
	s_delay_alu instid0(VALU_DEP_1) | instskip(SKIP_2) | instid1(VALU_DEP_1)
	v_not_b32_e32 v2, v2
	s_wait_alu 0xfffd
	v_cndmask_b32_e64 v36, 0x7fffffff, 0, vcc_lo
	v_xor_b32_e32 v37, v36, v23
	s_delay_alu instid0(VALU_DEP_3) | instskip(NEXT) | instid1(VALU_DEP_1)
	v_xor_b32_e32 v36, v2, v22
	v_cmp_ne_u64_e32 vcc_lo, s[34:35], v[36:37]
	s_wait_alu 0xfffd
	v_cndmask_b32_e32 v37, 0x7fffffff, v37, vcc_lo
	v_cndmask_b32_e32 v36, -1, v36, vcc_lo
	s_delay_alu instid0(VALU_DEP_1) | instskip(NEXT) | instid1(VALU_DEP_1)
	v_lshrrev_b64 v[36:37], s31, v[36:37]
	v_and_b32_e32 v2, s56, v36
	s_delay_alu instid0(VALU_DEP_1) | instskip(SKIP_3) | instid1(SALU_CYCLE_1)
	v_lshl_or_b32 v2, v2, 4, v94
	ds_add_u32 v2, v121
	s_wait_alu 0xfffe
	s_or_b32 exec_lo, exec_lo, s6
	s_mov_b32 s6, exec_lo
	v_cmpx_gt_u32_e64 s7, v85
	s_cbranch_execz .LBB1153_928
.LBB1153_943:                           ;   in Loop: Header=BB1153_899 Depth=2
	v_cmp_gt_i64_e32 vcc_lo, 0, v[20:21]
	v_ashrrev_i32_e32 v2, 31, v21
	s_delay_alu instid0(VALU_DEP_1) | instskip(SKIP_2) | instid1(VALU_DEP_1)
	v_not_b32_e32 v2, v2
	s_wait_alu 0xfffd
	v_cndmask_b32_e64 v36, 0x7fffffff, 0, vcc_lo
	v_xor_b32_e32 v37, v36, v21
	s_delay_alu instid0(VALU_DEP_3) | instskip(NEXT) | instid1(VALU_DEP_1)
	v_xor_b32_e32 v36, v2, v20
	v_cmp_ne_u64_e32 vcc_lo, s[34:35], v[36:37]
	s_wait_alu 0xfffd
	v_cndmask_b32_e32 v37, 0x7fffffff, v37, vcc_lo
	v_cndmask_b32_e32 v36, -1, v36, vcc_lo
	s_delay_alu instid0(VALU_DEP_1) | instskip(NEXT) | instid1(VALU_DEP_1)
	v_lshrrev_b64 v[36:37], s31, v[36:37]
	v_and_b32_e32 v2, s56, v36
	s_delay_alu instid0(VALU_DEP_1) | instskip(SKIP_3) | instid1(SALU_CYCLE_1)
	v_lshl_or_b32 v2, v2, 4, v94
	ds_add_u32 v2, v121
	s_wait_alu 0xfffe
	s_or_b32 exec_lo, exec_lo, s6
	s_mov_b32 s6, exec_lo
	v_cmpx_gt_u32_e64 s7, v86
	s_cbranch_execz .LBB1153_929
.LBB1153_944:                           ;   in Loop: Header=BB1153_899 Depth=2
	v_cmp_gt_i64_e32 vcc_lo, 0, v[18:19]
	v_ashrrev_i32_e32 v2, 31, v19
	s_delay_alu instid0(VALU_DEP_1) | instskip(SKIP_2) | instid1(VALU_DEP_1)
	v_not_b32_e32 v2, v2
	s_wait_alu 0xfffd
	v_cndmask_b32_e64 v36, 0x7fffffff, 0, vcc_lo
	v_xor_b32_e32 v37, v36, v19
	s_delay_alu instid0(VALU_DEP_3) | instskip(NEXT) | instid1(VALU_DEP_1)
	v_xor_b32_e32 v36, v2, v18
	v_cmp_ne_u64_e32 vcc_lo, s[34:35], v[36:37]
	s_wait_alu 0xfffd
	v_cndmask_b32_e32 v37, 0x7fffffff, v37, vcc_lo
	v_cndmask_b32_e32 v36, -1, v36, vcc_lo
	s_delay_alu instid0(VALU_DEP_1) | instskip(NEXT) | instid1(VALU_DEP_1)
	v_lshrrev_b64 v[36:37], s31, v[36:37]
	v_and_b32_e32 v2, s56, v36
	s_delay_alu instid0(VALU_DEP_1) | instskip(SKIP_3) | instid1(SALU_CYCLE_1)
	v_lshl_or_b32 v2, v2, 4, v94
	ds_add_u32 v2, v121
	s_wait_alu 0xfffe
	s_or_b32 exec_lo, exec_lo, s6
	s_mov_b32 s6, exec_lo
	v_cmpx_gt_u32_e64 s7, v87
	s_cbranch_execz .LBB1153_930
.LBB1153_945:                           ;   in Loop: Header=BB1153_899 Depth=2
	v_cmp_gt_i64_e32 vcc_lo, 0, v[16:17]
	v_ashrrev_i32_e32 v2, 31, v17
	s_delay_alu instid0(VALU_DEP_1) | instskip(SKIP_2) | instid1(VALU_DEP_1)
	v_not_b32_e32 v2, v2
	s_wait_alu 0xfffd
	v_cndmask_b32_e64 v36, 0x7fffffff, 0, vcc_lo
	v_xor_b32_e32 v37, v36, v17
	s_delay_alu instid0(VALU_DEP_3) | instskip(NEXT) | instid1(VALU_DEP_1)
	v_xor_b32_e32 v36, v2, v16
	v_cmp_ne_u64_e32 vcc_lo, s[34:35], v[36:37]
	s_wait_alu 0xfffd
	v_cndmask_b32_e32 v37, 0x7fffffff, v37, vcc_lo
	v_cndmask_b32_e32 v36, -1, v36, vcc_lo
	s_delay_alu instid0(VALU_DEP_1) | instskip(NEXT) | instid1(VALU_DEP_1)
	v_lshrrev_b64 v[36:37], s31, v[36:37]
	v_and_b32_e32 v2, s56, v36
	s_delay_alu instid0(VALU_DEP_1) | instskip(SKIP_3) | instid1(SALU_CYCLE_1)
	v_lshl_or_b32 v2, v2, 4, v94
	ds_add_u32 v2, v121
	s_wait_alu 0xfffe
	s_or_b32 exec_lo, exec_lo, s6
	s_mov_b32 s6, exec_lo
	v_cmpx_gt_u32_e64 s7, v88
	s_cbranch_execz .LBB1153_931
.LBB1153_946:                           ;   in Loop: Header=BB1153_899 Depth=2
	v_cmp_gt_i64_e32 vcc_lo, 0, v[14:15]
	v_ashrrev_i32_e32 v2, 31, v15
	s_delay_alu instid0(VALU_DEP_1) | instskip(SKIP_2) | instid1(VALU_DEP_1)
	v_not_b32_e32 v2, v2
	s_wait_alu 0xfffd
	v_cndmask_b32_e64 v36, 0x7fffffff, 0, vcc_lo
	v_xor_b32_e32 v37, v36, v15
	s_delay_alu instid0(VALU_DEP_3) | instskip(NEXT) | instid1(VALU_DEP_1)
	v_xor_b32_e32 v36, v2, v14
	v_cmp_ne_u64_e32 vcc_lo, s[34:35], v[36:37]
	s_wait_alu 0xfffd
	v_cndmask_b32_e32 v37, 0x7fffffff, v37, vcc_lo
	v_cndmask_b32_e32 v36, -1, v36, vcc_lo
	s_delay_alu instid0(VALU_DEP_1) | instskip(NEXT) | instid1(VALU_DEP_1)
	v_lshrrev_b64 v[36:37], s31, v[36:37]
	v_and_b32_e32 v2, s56, v36
	s_delay_alu instid0(VALU_DEP_1) | instskip(SKIP_3) | instid1(SALU_CYCLE_1)
	v_lshl_or_b32 v2, v2, 4, v94
	ds_add_u32 v2, v121
	s_wait_alu 0xfffe
	s_or_b32 exec_lo, exec_lo, s6
	s_mov_b32 s6, exec_lo
	v_cmpx_gt_u32_e64 s7, v89
	s_cbranch_execz .LBB1153_932
.LBB1153_947:                           ;   in Loop: Header=BB1153_899 Depth=2
	v_cmp_gt_i64_e32 vcc_lo, 0, v[12:13]
	v_ashrrev_i32_e32 v2, 31, v13
	s_delay_alu instid0(VALU_DEP_1) | instskip(SKIP_2) | instid1(VALU_DEP_1)
	v_not_b32_e32 v2, v2
	s_wait_alu 0xfffd
	v_cndmask_b32_e64 v36, 0x7fffffff, 0, vcc_lo
	v_xor_b32_e32 v37, v36, v13
	s_delay_alu instid0(VALU_DEP_3) | instskip(NEXT) | instid1(VALU_DEP_1)
	v_xor_b32_e32 v36, v2, v12
	v_cmp_ne_u64_e32 vcc_lo, s[34:35], v[36:37]
	s_wait_alu 0xfffd
	v_cndmask_b32_e32 v37, 0x7fffffff, v37, vcc_lo
	v_cndmask_b32_e32 v36, -1, v36, vcc_lo
	s_delay_alu instid0(VALU_DEP_1) | instskip(NEXT) | instid1(VALU_DEP_1)
	v_lshrrev_b64 v[36:37], s31, v[36:37]
	v_and_b32_e32 v2, s56, v36
	s_delay_alu instid0(VALU_DEP_1) | instskip(SKIP_3) | instid1(SALU_CYCLE_1)
	v_lshl_or_b32 v2, v2, 4, v94
	ds_add_u32 v2, v121
	s_wait_alu 0xfffe
	s_or_b32 exec_lo, exec_lo, s6
	s_mov_b32 s6, exec_lo
	v_cmpx_gt_u32_e64 s7, v90
	s_cbranch_execz .LBB1153_933
.LBB1153_948:                           ;   in Loop: Header=BB1153_899 Depth=2
	v_cmp_gt_i64_e32 vcc_lo, 0, v[10:11]
	v_ashrrev_i32_e32 v2, 31, v11
	s_delay_alu instid0(VALU_DEP_1) | instskip(SKIP_2) | instid1(VALU_DEP_1)
	v_not_b32_e32 v2, v2
	s_wait_alu 0xfffd
	v_cndmask_b32_e64 v36, 0x7fffffff, 0, vcc_lo
	v_xor_b32_e32 v37, v36, v11
	s_delay_alu instid0(VALU_DEP_3) | instskip(NEXT) | instid1(VALU_DEP_1)
	v_xor_b32_e32 v36, v2, v10
	v_cmp_ne_u64_e32 vcc_lo, s[34:35], v[36:37]
	s_wait_alu 0xfffd
	v_cndmask_b32_e32 v37, 0x7fffffff, v37, vcc_lo
	v_cndmask_b32_e32 v36, -1, v36, vcc_lo
	s_delay_alu instid0(VALU_DEP_1) | instskip(NEXT) | instid1(VALU_DEP_1)
	v_lshrrev_b64 v[36:37], s31, v[36:37]
	v_and_b32_e32 v2, s56, v36
	s_delay_alu instid0(VALU_DEP_1) | instskip(SKIP_3) | instid1(SALU_CYCLE_1)
	v_lshl_or_b32 v2, v2, 4, v94
	ds_add_u32 v2, v121
	s_wait_alu 0xfffe
	s_or_b32 exec_lo, exec_lo, s6
	s_mov_b32 s6, exec_lo
	v_cmpx_gt_u32_e64 s7, v91
	s_cbranch_execz .LBB1153_934
.LBB1153_949:                           ;   in Loop: Header=BB1153_899 Depth=2
	v_cmp_gt_i64_e32 vcc_lo, 0, v[8:9]
	v_ashrrev_i32_e32 v2, 31, v9
	s_delay_alu instid0(VALU_DEP_1) | instskip(SKIP_2) | instid1(VALU_DEP_1)
	v_not_b32_e32 v2, v2
	s_wait_alu 0xfffd
	v_cndmask_b32_e64 v36, 0x7fffffff, 0, vcc_lo
	v_xor_b32_e32 v37, v36, v9
	s_delay_alu instid0(VALU_DEP_3) | instskip(NEXT) | instid1(VALU_DEP_1)
	v_xor_b32_e32 v36, v2, v8
	v_cmp_ne_u64_e32 vcc_lo, s[34:35], v[36:37]
	s_wait_alu 0xfffd
	v_cndmask_b32_e32 v37, 0x7fffffff, v37, vcc_lo
	v_cndmask_b32_e32 v36, -1, v36, vcc_lo
	s_delay_alu instid0(VALU_DEP_1) | instskip(NEXT) | instid1(VALU_DEP_1)
	v_lshrrev_b64 v[36:37], s31, v[36:37]
	v_and_b32_e32 v2, s56, v36
	s_delay_alu instid0(VALU_DEP_1) | instskip(SKIP_3) | instid1(SALU_CYCLE_1)
	v_lshl_or_b32 v2, v2, 4, v94
	ds_add_u32 v2, v121
	s_wait_alu 0xfffe
	s_or_b32 exec_lo, exec_lo, s6
	s_mov_b32 s6, exec_lo
	v_cmpx_gt_u32_e64 s7, v92
	s_cbranch_execz .LBB1153_935
.LBB1153_950:                           ;   in Loop: Header=BB1153_899 Depth=2
	v_cmp_gt_i64_e32 vcc_lo, 0, v[6:7]
	v_ashrrev_i32_e32 v2, 31, v7
	s_delay_alu instid0(VALU_DEP_1) | instskip(SKIP_2) | instid1(VALU_DEP_1)
	v_not_b32_e32 v2, v2
	s_wait_alu 0xfffd
	v_cndmask_b32_e64 v36, 0x7fffffff, 0, vcc_lo
	v_xor_b32_e32 v37, v36, v7
	s_delay_alu instid0(VALU_DEP_3) | instskip(NEXT) | instid1(VALU_DEP_1)
	v_xor_b32_e32 v36, v2, v6
	v_cmp_ne_u64_e32 vcc_lo, s[34:35], v[36:37]
	s_wait_alu 0xfffd
	v_cndmask_b32_e32 v37, 0x7fffffff, v37, vcc_lo
	v_cndmask_b32_e32 v36, -1, v36, vcc_lo
	s_delay_alu instid0(VALU_DEP_1) | instskip(NEXT) | instid1(VALU_DEP_1)
	v_lshrrev_b64 v[36:37], s31, v[36:37]
	v_and_b32_e32 v2, s56, v36
	s_delay_alu instid0(VALU_DEP_1) | instskip(SKIP_3) | instid1(SALU_CYCLE_1)
	v_lshl_or_b32 v2, v2, 4, v94
	ds_add_u32 v2, v121
	s_wait_alu 0xfffe
	s_or_b32 exec_lo, exec_lo, s6
	s_mov_b32 s6, exec_lo
	v_cmpx_gt_u32_e64 s7, v93
	s_cbranch_execz .LBB1153_898
.LBB1153_951:                           ;   in Loop: Header=BB1153_899 Depth=2
	v_cmp_gt_i64_e32 vcc_lo, 0, v[4:5]
	v_ashrrev_i32_e32 v2, 31, v5
	s_delay_alu instid0(VALU_DEP_1) | instskip(SKIP_2) | instid1(VALU_DEP_1)
	v_not_b32_e32 v2, v2
	s_wait_alu 0xfffd
	v_cndmask_b32_e64 v36, 0x7fffffff, 0, vcc_lo
	v_xor_b32_e32 v37, v36, v5
	s_delay_alu instid0(VALU_DEP_3) | instskip(NEXT) | instid1(VALU_DEP_1)
	v_xor_b32_e32 v36, v2, v4
	v_cmp_ne_u64_e32 vcc_lo, s[34:35], v[36:37]
	s_wait_alu 0xfffd
	v_cndmask_b32_e32 v37, 0x7fffffff, v37, vcc_lo
	v_cndmask_b32_e32 v36, -1, v36, vcc_lo
	s_delay_alu instid0(VALU_DEP_1) | instskip(NEXT) | instid1(VALU_DEP_1)
	v_lshrrev_b64 v[36:37], s31, v[36:37]
	v_and_b32_e32 v2, s56, v36
	s_delay_alu instid0(VALU_DEP_1)
	v_lshl_or_b32 v2, v2, 4, v94
	ds_add_u32 v2, v121
	s_branch .LBB1153_898
.LBB1153_952:                           ;   in Loop: Header=BB1153_899 Depth=2
	global_load_b64 v[34:35], v122, s[6:7]
	s_or_b32 exec_lo, exec_lo, s10
	s_delay_alu instid0(SALU_CYCLE_1)
	s_mov_b32 s10, exec_lo
	v_cmpx_gt_u32_e64 s8, v77
	s_cbranch_execz .LBB1153_904
.LBB1153_953:                           ;   in Loop: Header=BB1153_899 Depth=2
	global_load_b64 v[32:33], v122, s[6:7] offset:2048
	s_wait_alu 0xfffe
	s_or_b32 exec_lo, exec_lo, s10
	s_delay_alu instid0(SALU_CYCLE_1)
	s_mov_b32 s10, exec_lo
	v_cmpx_gt_u32_e64 s8, v78
	s_cbranch_execz .LBB1153_905
.LBB1153_954:                           ;   in Loop: Header=BB1153_899 Depth=2
	global_load_b64 v[30:31], v122, s[6:7] offset:4096
	s_wait_alu 0xfffe
	s_or_b32 exec_lo, exec_lo, s10
	s_delay_alu instid0(SALU_CYCLE_1)
	s_mov_b32 s10, exec_lo
	v_cmpx_gt_u32_e64 s8, v79
	s_cbranch_execz .LBB1153_906
.LBB1153_955:                           ;   in Loop: Header=BB1153_899 Depth=2
	global_load_b64 v[28:29], v122, s[6:7] offset:6144
	s_wait_alu 0xfffe
	s_or_b32 exec_lo, exec_lo, s10
	s_delay_alu instid0(SALU_CYCLE_1)
	s_mov_b32 s10, exec_lo
	v_cmpx_gt_u32_e64 s8, v82
	s_cbranch_execz .LBB1153_907
.LBB1153_956:                           ;   in Loop: Header=BB1153_899 Depth=2
	global_load_b64 v[26:27], v122, s[6:7] offset:8192
	s_wait_alu 0xfffe
	s_or_b32 exec_lo, exec_lo, s10
	s_delay_alu instid0(SALU_CYCLE_1)
	s_mov_b32 s10, exec_lo
	v_cmpx_gt_u32_e64 s8, v83
	s_cbranch_execz .LBB1153_908
.LBB1153_957:                           ;   in Loop: Header=BB1153_899 Depth=2
	global_load_b64 v[24:25], v122, s[6:7] offset:10240
	s_wait_alu 0xfffe
	s_or_b32 exec_lo, exec_lo, s10
	s_delay_alu instid0(SALU_CYCLE_1)
	s_mov_b32 s10, exec_lo
	v_cmpx_gt_u32_e64 s8, v84
	s_cbranch_execz .LBB1153_909
.LBB1153_958:                           ;   in Loop: Header=BB1153_899 Depth=2
	global_load_b64 v[22:23], v122, s[6:7] offset:12288
	s_wait_alu 0xfffe
	s_or_b32 exec_lo, exec_lo, s10
	s_delay_alu instid0(SALU_CYCLE_1)
	s_mov_b32 s10, exec_lo
	v_cmpx_gt_u32_e64 s8, v85
	s_cbranch_execz .LBB1153_910
.LBB1153_959:                           ;   in Loop: Header=BB1153_899 Depth=2
	global_load_b64 v[20:21], v122, s[6:7] offset:14336
	s_wait_alu 0xfffe
	s_or_b32 exec_lo, exec_lo, s10
	s_delay_alu instid0(SALU_CYCLE_1)
	s_mov_b32 s10, exec_lo
	v_cmpx_gt_u32_e64 s8, v86
	s_cbranch_execz .LBB1153_911
.LBB1153_960:                           ;   in Loop: Header=BB1153_899 Depth=2
	global_load_b64 v[18:19], v122, s[6:7] offset:16384
	s_wait_alu 0xfffe
	s_or_b32 exec_lo, exec_lo, s10
	s_delay_alu instid0(SALU_CYCLE_1)
	s_mov_b32 s10, exec_lo
	v_cmpx_gt_u32_e64 s8, v87
	s_cbranch_execz .LBB1153_912
.LBB1153_961:                           ;   in Loop: Header=BB1153_899 Depth=2
	global_load_b64 v[16:17], v122, s[6:7] offset:18432
	s_wait_alu 0xfffe
	s_or_b32 exec_lo, exec_lo, s10
	s_delay_alu instid0(SALU_CYCLE_1)
	s_mov_b32 s10, exec_lo
	v_cmpx_gt_u32_e64 s8, v88
	s_cbranch_execz .LBB1153_913
.LBB1153_962:                           ;   in Loop: Header=BB1153_899 Depth=2
	global_load_b64 v[14:15], v122, s[6:7] offset:20480
	s_wait_alu 0xfffe
	s_or_b32 exec_lo, exec_lo, s10
	s_delay_alu instid0(SALU_CYCLE_1)
	s_mov_b32 s10, exec_lo
	v_cmpx_gt_u32_e64 s8, v89
	s_cbranch_execz .LBB1153_914
.LBB1153_963:                           ;   in Loop: Header=BB1153_899 Depth=2
	global_load_b64 v[12:13], v122, s[6:7] offset:22528
	s_wait_alu 0xfffe
	s_or_b32 exec_lo, exec_lo, s10
	s_delay_alu instid0(SALU_CYCLE_1)
	s_mov_b32 s10, exec_lo
	v_cmpx_gt_u32_e64 s8, v90
	s_cbranch_execz .LBB1153_915
.LBB1153_964:                           ;   in Loop: Header=BB1153_899 Depth=2
	global_load_b64 v[10:11], v122, s[6:7] offset:24576
	s_wait_alu 0xfffe
	s_or_b32 exec_lo, exec_lo, s10
	s_delay_alu instid0(SALU_CYCLE_1)
	s_mov_b32 s10, exec_lo
	v_cmpx_gt_u32_e64 s8, v91
	s_cbranch_execz .LBB1153_916
.LBB1153_965:                           ;   in Loop: Header=BB1153_899 Depth=2
	global_load_b64 v[8:9], v122, s[6:7] offset:26624
	s_wait_alu 0xfffe
	s_or_b32 exec_lo, exec_lo, s10
	s_delay_alu instid0(SALU_CYCLE_1)
	s_mov_b32 s10, exec_lo
	v_cmpx_gt_u32_e64 s8, v92
	s_cbranch_execz .LBB1153_917
.LBB1153_966:                           ;   in Loop: Header=BB1153_899 Depth=2
	global_load_b64 v[6:7], v122, s[6:7] offset:28672
	s_wait_alu 0xfffe
	s_or_b32 exec_lo, exec_lo, s10
	s_delay_alu instid0(SALU_CYCLE_1)
	s_mov_b32 s10, exec_lo
	v_cmpx_gt_u32_e64 s8, v93
	s_cbranch_execnz .LBB1153_918
	s_branch .LBB1153_919
.LBB1153_967:                           ;   in Loop: Header=BB1153_17 Depth=1
	v_mov_b32_e32 v2, 0
	s_wait_dscnt 0x0
	s_barrier_signal -1
	s_barrier_wait -1
	global_inv scope:SCOPE_SE
	s_and_saveexec_b32 s6, s2
	s_cbranch_execz .LBB1153_969
; %bb.968:                              ;   in Loop: Header=BB1153_17 Depth=1
	ds_load_2addr_b64 v[4:7], v96 offset1:1
	s_wait_dscnt 0x0
	v_add_nc_u32_e32 v2, v5, v4
	s_delay_alu instid0(VALU_DEP_1)
	v_add3_u32 v2, v2, v6, v7
.LBB1153_969:                           ;   in Loop: Header=BB1153_17 Depth=1
	s_wait_alu 0xfffe
	s_or_b32 exec_lo, exec_lo, s6
	v_and_b32_e32 v4, 15, v123
	s_delay_alu instid0(VALU_DEP_2) | instskip(SKIP_1) | instid1(VALU_DEP_3)
	v_mov_b32_dpp v5, v2 row_shr:1 row_mask:0xf bank_mask:0xf
	v_and_b32_e32 v6, 16, v123
	v_cmp_eq_u32_e64 s6, 0, v4
	v_cmp_lt_u32_e64 s7, 1, v4
	v_cmp_lt_u32_e64 s8, 3, v4
	;; [unrolled: 1-line block ×3, first 2 shown]
	v_cmp_eq_u32_e64 s10, 0, v6
	s_wait_alu 0xf1ff
	v_cndmask_b32_e64 v5, v5, 0, s6
	s_delay_alu instid0(VALU_DEP_1) | instskip(NEXT) | instid1(VALU_DEP_1)
	v_add_nc_u32_e32 v2, v5, v2
	v_mov_b32_dpp v5, v2 row_shr:2 row_mask:0xf bank_mask:0xf
	s_delay_alu instid0(VALU_DEP_1) | instskip(NEXT) | instid1(VALU_DEP_1)
	v_cndmask_b32_e64 v5, 0, v5, s7
	v_add_nc_u32_e32 v2, v2, v5
	s_delay_alu instid0(VALU_DEP_1) | instskip(NEXT) | instid1(VALU_DEP_1)
	v_mov_b32_dpp v5, v2 row_shr:4 row_mask:0xf bank_mask:0xf
	v_cndmask_b32_e64 v5, 0, v5, s8
	s_delay_alu instid0(VALU_DEP_1) | instskip(NEXT) | instid1(VALU_DEP_1)
	v_add_nc_u32_e32 v2, v2, v5
	v_mov_b32_dpp v5, v2 row_shr:8 row_mask:0xf bank_mask:0xf
	s_delay_alu instid0(VALU_DEP_1) | instskip(SKIP_1) | instid1(VALU_DEP_2)
	v_cndmask_b32_e64 v4, 0, v5, s9
	v_bfe_i32 v5, v123, 4, 1
	v_add_nc_u32_e32 v2, v2, v4
	ds_swizzle_b32 v4, v2 offset:swizzle(BROADCAST,32,15)
	s_wait_dscnt 0x0
	v_and_b32_e32 v4, v5, v4
	s_delay_alu instid0(VALU_DEP_1)
	v_add_nc_u32_e32 v4, v2, v4
	s_and_saveexec_b32 s11, s3
; %bb.970:                              ;   in Loop: Header=BB1153_17 Depth=1
	ds_store_b32 v97, v4
; %bb.971:                              ;   in Loop: Header=BB1153_17 Depth=1
	s_wait_alu 0xfffe
	s_or_b32 exec_lo, exec_lo, s11
	v_and_b32_e32 v2, 7, v123
	s_wait_loadcnt_dscnt 0x0
	s_barrier_signal -1
	s_barrier_wait -1
	global_inv scope:SCOPE_SE
	s_and_saveexec_b32 s11, s4
	s_cbranch_execz .LBB1153_973
; %bb.972:                              ;   in Loop: Header=BB1153_17 Depth=1
	ds_load_b32 v5, v98
	v_cmp_ne_u32_e32 vcc_lo, 0, v2
	s_wait_dscnt 0x0
	v_mov_b32_dpp v6, v5 row_shr:1 row_mask:0xf bank_mask:0xf
	s_wait_alu 0xfffd
	s_delay_alu instid0(VALU_DEP_1) | instskip(SKIP_1) | instid1(VALU_DEP_2)
	v_cndmask_b32_e32 v6, 0, v6, vcc_lo
	v_cmp_lt_u32_e32 vcc_lo, 1, v2
	v_add_nc_u32_e32 v5, v6, v5
	s_delay_alu instid0(VALU_DEP_1) | instskip(SKIP_1) | instid1(VALU_DEP_1)
	v_mov_b32_dpp v6, v5 row_shr:2 row_mask:0xf bank_mask:0xf
	s_wait_alu 0xfffd
	v_cndmask_b32_e32 v6, 0, v6, vcc_lo
	v_cmp_lt_u32_e32 vcc_lo, 3, v2
	s_delay_alu instid0(VALU_DEP_2) | instskip(NEXT) | instid1(VALU_DEP_1)
	v_add_nc_u32_e32 v5, v5, v6
	v_mov_b32_dpp v6, v5 row_shr:4 row_mask:0xf bank_mask:0xf
	s_wait_alu 0xfffd
	s_delay_alu instid0(VALU_DEP_1) | instskip(NEXT) | instid1(VALU_DEP_1)
	v_cndmask_b32_e32 v6, 0, v6, vcc_lo
	v_add_nc_u32_e32 v5, v5, v6
	ds_store_b32 v98, v5
.LBB1153_973:                           ;   in Loop: Header=BB1153_17 Depth=1
	s_wait_alu 0xfffe
	s_or_b32 exec_lo, exec_lo, s11
	v_mov_b32_e32 v5, 0
	s_wait_loadcnt_dscnt 0x0
	s_barrier_signal -1
	s_barrier_wait -1
	global_inv scope:SCOPE_SE
	s_and_saveexec_b32 s11, s5
; %bb.974:                              ;   in Loop: Header=BB1153_17 Depth=1
	ds_load_b32 v5, v99
; %bb.975:                              ;   in Loop: Header=BB1153_17 Depth=1
	s_wait_alu 0xfffe
	s_or_b32 exec_lo, exec_lo, s11
	v_sub_co_u32 v6, s11, v123, 1
	s_wait_dscnt 0x0
	v_add_nc_u32_e32 v4, v5, v4
	s_wait_loadcnt 0x0
	s_barrier_signal -1
	v_cmp_gt_i32_e32 vcc_lo, 0, v6
	s_barrier_wait -1
	global_inv scope:SCOPE_SE
	s_wait_alu 0xfffd
	v_cndmask_b32_e32 v6, v6, v123, vcc_lo
	s_delay_alu instid0(VALU_DEP_1)
	v_lshlrev_b32_e32 v124, 2, v6
	ds_bpermute_b32 v4, v124, v4
	s_and_saveexec_b32 s12, s2
	s_cbranch_execz .LBB1153_977
; %bb.976:                              ;   in Loop: Header=BB1153_17 Depth=1
	s_wait_dscnt 0x0
	v_cndmask_b32_e64 v4, v4, v5, s11
	s_delay_alu instid0(VALU_DEP_1)
	v_add_nc_u32_e32 v4, s33, v4
	ds_store_b32 v76, v4
.LBB1153_977:                           ;   in Loop: Header=BB1153_17 Depth=1
	s_wait_alu 0xfffe
	s_or_b32 exec_lo, exec_lo, s12
	s_load_b64 s[12:13], s[52:53], 0x0
	s_mov_b32 s15, s34
	v_lshlrev_b32_e32 v6, 3, v123
	v_or_b32_e32 v125, v123, v100
	s_mov_b32 s57, s55
	s_mov_b32 s42, s33
                                        ; implicit-def: $vgpr8_vgpr9
                                        ; implicit-def: $vgpr10_vgpr11
                                        ; implicit-def: $vgpr12_vgpr13
                                        ; implicit-def: $vgpr14_vgpr15
                                        ; implicit-def: $vgpr16_vgpr17
                                        ; implicit-def: $vgpr18_vgpr19
                                        ; implicit-def: $vgpr20_vgpr21
                                        ; implicit-def: $vgpr22_vgpr23
                                        ; implicit-def: $vgpr24_vgpr25
                                        ; implicit-def: $vgpr26_vgpr27
                                        ; implicit-def: $vgpr28_vgpr29
                                        ; implicit-def: $vgpr30_vgpr31
                                        ; implicit-def: $vgpr32_vgpr33
                                        ; implicit-def: $vgpr34_vgpr35
                                        ; implicit-def: $vgpr146
                                        ; implicit-def: $vgpr147
                                        ; implicit-def: $vgpr148
                                        ; implicit-def: $vgpr149
                                        ; implicit-def: $vgpr150
                                        ; implicit-def: $vgpr151
                                        ; implicit-def: $vgpr152
                                        ; implicit-def: $vgpr153
                                        ; implicit-def: $vgpr154
                                        ; implicit-def: $vgpr155
                                        ; implicit-def: $vgpr156
                                        ; implicit-def: $vgpr157
                                        ; implicit-def: $vgpr158
                                        ; implicit-def: $vgpr159
                                        ; implicit-def: $vgpr160
                                        ; implicit-def: $vgpr161
	s_delay_alu instid0(VALU_DEP_2)
	v_add_co_u32 v126, vcc_lo, v117, v6
	s_wait_alu 0xfffd
	v_add_co_ci_u32_e64 v127, null, 0, v118, vcc_lo
	v_add_co_u32 v143, vcc_lo, v119, v6
	v_or_b32_e32 v128, 32, v125
	v_or_b32_e32 v129, 64, v125
	;; [unrolled: 1-line block ×7, first 2 shown]
	s_wait_kmcnt 0x0
	s_cmp_lt_u32 ttmp7, s13
	s_mov_b32 s13, s34
	s_cselect_b32 s14, 14, 20
	s_cmp_lt_u32 ttmp9, s12
	s_wait_alu 0xfffe
	s_add_nc_u64 s[14:15], s[52:53], s[14:15]
	s_cselect_b32 s12, 12, 18
	s_load_u16 s15, s[14:15], 0x0
	s_add_nc_u64 s[12:13], s[52:53], s[12:13]
	v_or_b32_e32 v135, 0x100, v125
	s_load_u16 s16, s[12:13], 0x0
	v_cmp_eq_u32_e64 s12, 0, v2
	v_cmp_lt_u32_e64 s13, 1, v2
	v_cmp_lt_u32_e64 s14, 3, v2
	v_or_b32_e32 v136, 0x120, v125
	v_or_b32_e32 v137, 0x140, v125
	;; [unrolled: 1-line block ×7, first 2 shown]
	v_add_co_ci_u32_e64 v144, null, 0, v120, vcc_lo
                                        ; implicit-def: $vgpr6_vgpr7
	s_wait_kmcnt 0x0
	v_mad_u32_u24 v2, v102, s15, v0
	s_wait_dscnt 0x0
	s_delay_alu instid0(VALU_DEP_1) | instskip(NEXT) | instid1(VALU_DEP_1)
	v_mad_co_u64_u32 v[4:5], null, v2, s16, v[1:2]
	v_lshrrev_b32_e32 v2, 3, v4
                                        ; implicit-def: $vgpr4_vgpr5
	s_delay_alu instid0(VALU_DEP_1)
	v_and_b32_e32 v145, 0x1ffffffc, v2
	s_branch .LBB1153_979
.LBB1153_978:                           ;   in Loop: Header=BB1153_979 Depth=2
	s_wait_alu 0xfffe
	s_or_b32 exec_lo, exec_lo, s15
	s_addk_co_i32 s57, 0xf000
	s_cmp_lt_u32 s58, s51
	s_mov_b32 s42, s58
	s_cbranch_scc0 .LBB1153_15
.LBB1153_979:                           ;   Parent Loop BB1153_17 Depth=1
                                        ; =>  This Inner Loop Header: Depth=2
	s_wait_alu 0xfffe
	s_add_co_i32 s58, s42, 0x1000
	s_wait_alu 0xfffe
	s_cmp_gt_u32 s58, s51
	s_cbranch_scc1 .LBB1153_981
; %bb.980:                              ;   in Loop: Header=BB1153_979 Depth=2
	s_mov_b32 s43, s34
	s_mov_b32 s15, -1
	s_wait_alu 0xfffe
	s_lshl_b64 s[16:17], s[42:43], 3
	s_wait_alu 0xfffe
	v_add_co_u32 v42, vcc_lo, v143, s16
	s_wait_alu 0xfffd
	v_add_co_ci_u32_e64 v43, null, s17, v144, vcc_lo
	s_clause 0xe
	global_load_b64 v[36:37], v[42:43], off
	global_load_b64 v[38:39], v[42:43], off offset:256
	global_load_b64 v[40:41], v[42:43], off offset:512
	;; [unrolled: 1-line block ×14, first 2 shown]
	s_movk_i32 s16, 0x1000
	s_cbranch_execz .LBB1153_982
	s_branch .LBB1153_1013
.LBB1153_981:                           ;   in Loop: Header=BB1153_979 Depth=2
	s_mov_b32 s15, 0
                                        ; implicit-def: $vgpr36_vgpr37
                                        ; implicit-def: $vgpr38_vgpr39
                                        ; implicit-def: $vgpr40_vgpr41
                                        ; implicit-def: $vgpr48_vgpr49
                                        ; implicit-def: $vgpr52_vgpr53
                                        ; implicit-def: $vgpr56_vgpr57
                                        ; implicit-def: $vgpr60_vgpr61
                                        ; implicit-def: $vgpr64_vgpr65
                                        ; implicit-def: $vgpr66_vgpr67
                                        ; implicit-def: $vgpr62_vgpr63
                                        ; implicit-def: $vgpr58_vgpr59
                                        ; implicit-def: $vgpr54_vgpr55
                                        ; implicit-def: $vgpr50_vgpr51
                                        ; implicit-def: $vgpr46_vgpr47
                                        ; implicit-def: $vgpr44_vgpr45
	s_movk_i32 s16, 0x1000
.LBB1153_982:                           ;   in Loop: Header=BB1153_979 Depth=2
	s_mov_b32 s43, s34
	s_wait_loadcnt 0xd
	v_mov_b32_e32 v38, -1
	s_wait_alu 0xfffe
	s_lshl_b64 s[16:17], s[42:43], 3
	v_dual_mov_b32 v39, -1 :: v_dual_mov_b32 v36, -1
	s_wait_alu 0xfffe
	v_add_co_u32 v42, vcc_lo, v143, s16
	s_wait_alu 0xfffd
	v_add_co_ci_u32_e64 v43, null, s17, v144, vcc_lo
	v_mov_b32_e32 v37, -1
	s_mov_b32 s15, exec_lo
	v_cmpx_gt_u32_e64 s57, v125
	s_cbranch_execz .LBB1153_984
; %bb.983:                              ;   in Loop: Header=BB1153_979 Depth=2
	global_load_b64 v[36:37], v[42:43], off
.LBB1153_984:                           ;   in Loop: Header=BB1153_979 Depth=2
	s_wait_alu 0xfffe
	s_or_b32 exec_lo, exec_lo, s15
	s_delay_alu instid0(SALU_CYCLE_1)
	s_mov_b32 s15, exec_lo
	v_cmpx_gt_u32_e64 s57, v128
	s_cbranch_execz .LBB1153_986
; %bb.985:                              ;   in Loop: Header=BB1153_979 Depth=2
	global_load_b64 v[38:39], v[42:43], off offset:256
.LBB1153_986:                           ;   in Loop: Header=BB1153_979 Depth=2
	s_wait_alu 0xfffe
	s_or_b32 exec_lo, exec_lo, s15
	s_wait_loadcnt 0xb
	v_mov_b32_e32 v48, -1
	v_dual_mov_b32 v49, -1 :: v_dual_mov_b32 v40, -1
	v_mov_b32_e32 v41, -1
	s_mov_b32 s15, exec_lo
	v_cmpx_gt_u32_e64 s57, v129
	s_cbranch_execz .LBB1153_988
; %bb.987:                              ;   in Loop: Header=BB1153_979 Depth=2
	global_load_b64 v[40:41], v[42:43], off offset:512
.LBB1153_988:                           ;   in Loop: Header=BB1153_979 Depth=2
	s_wait_alu 0xfffe
	s_or_b32 exec_lo, exec_lo, s15
	s_delay_alu instid0(SALU_CYCLE_1)
	s_mov_b32 s15, exec_lo
	v_cmpx_gt_u32_e64 s57, v130
	s_cbranch_execz .LBB1153_990
; %bb.989:                              ;   in Loop: Header=BB1153_979 Depth=2
	global_load_b64 v[48:49], v[42:43], off offset:768
.LBB1153_990:                           ;   in Loop: Header=BB1153_979 Depth=2
	s_wait_alu 0xfffe
	s_or_b32 exec_lo, exec_lo, s15
	s_wait_loadcnt 0x9
	v_mov_b32_e32 v56, -1
	v_dual_mov_b32 v57, -1 :: v_dual_mov_b32 v52, -1
	v_mov_b32_e32 v53, -1
	s_mov_b32 s15, exec_lo
	v_cmpx_gt_u32_e64 s57, v131
	s_cbranch_execz .LBB1153_992
; %bb.991:                              ;   in Loop: Header=BB1153_979 Depth=2
	global_load_b64 v[52:53], v[42:43], off offset:1024
.LBB1153_992:                           ;   in Loop: Header=BB1153_979 Depth=2
	;; [unrolled: 21-line block ×3, first 2 shown]
	s_wait_alu 0xfffe
	s_or_b32 exec_lo, exec_lo, s15
	s_delay_alu instid0(SALU_CYCLE_1)
	s_mov_b32 s15, exec_lo
	v_cmpx_gt_u32_e64 s57, v134
	s_cbranch_execz .LBB1153_998
; %bb.997:                              ;   in Loop: Header=BB1153_979 Depth=2
	global_load_b64 v[64:65], v[42:43], off offset:1792
.LBB1153_998:                           ;   in Loop: Header=BB1153_979 Depth=2
	s_wait_alu 0xfffe
	s_or_b32 exec_lo, exec_lo, s15
	s_wait_loadcnt 0x5
	v_mov_b32_e32 v62, -1
	v_dual_mov_b32 v63, -1 :: v_dual_mov_b32 v66, -1
	v_mov_b32_e32 v67, -1
	s_mov_b32 s15, exec_lo
	v_cmpx_gt_u32_e64 s57, v135
	s_cbranch_execz .LBB1153_1000
; %bb.999:                              ;   in Loop: Header=BB1153_979 Depth=2
	global_load_b64 v[66:67], v[42:43], off offset:2048
.LBB1153_1000:                          ;   in Loop: Header=BB1153_979 Depth=2
	s_wait_alu 0xfffe
	s_or_b32 exec_lo, exec_lo, s15
	s_delay_alu instid0(SALU_CYCLE_1)
	s_mov_b32 s15, exec_lo
	v_cmpx_gt_u32_e64 s57, v136
	s_cbranch_execz .LBB1153_1002
; %bb.1001:                             ;   in Loop: Header=BB1153_979 Depth=2
	global_load_b64 v[62:63], v[42:43], off offset:2304
.LBB1153_1002:                          ;   in Loop: Header=BB1153_979 Depth=2
	s_wait_alu 0xfffe
	s_or_b32 exec_lo, exec_lo, s15
	s_wait_loadcnt 0x3
	v_mov_b32_e32 v54, -1
	v_dual_mov_b32 v55, -1 :: v_dual_mov_b32 v58, -1
	v_mov_b32_e32 v59, -1
	s_mov_b32 s15, exec_lo
	v_cmpx_gt_u32_e64 s57, v137
	s_cbranch_execz .LBB1153_1004
; %bb.1003:                             ;   in Loop: Header=BB1153_979 Depth=2
	global_load_b64 v[58:59], v[42:43], off offset:2560
.LBB1153_1004:                          ;   in Loop: Header=BB1153_979 Depth=2
	s_wait_alu 0xfffe
	s_or_b32 exec_lo, exec_lo, s15
	s_delay_alu instid0(SALU_CYCLE_1)
	s_mov_b32 s15, exec_lo
	v_cmpx_gt_u32_e64 s57, v138
	s_cbranch_execz .LBB1153_1006
; %bb.1005:                             ;   in Loop: Header=BB1153_979 Depth=2
	global_load_b64 v[54:55], v[42:43], off offset:2816
.LBB1153_1006:                          ;   in Loop: Header=BB1153_979 Depth=2
	s_wait_alu 0xfffe
	s_or_b32 exec_lo, exec_lo, s15
	s_wait_loadcnt 0x1
	v_mov_b32_e32 v46, -1
	v_dual_mov_b32 v47, -1 :: v_dual_mov_b32 v50, -1
	v_mov_b32_e32 v51, -1
	s_mov_b32 s15, exec_lo
	v_cmpx_gt_u32_e64 s57, v139
	s_cbranch_execz .LBB1153_1008
; %bb.1007:                             ;   in Loop: Header=BB1153_979 Depth=2
	global_load_b64 v[50:51], v[42:43], off offset:3072
.LBB1153_1008:                          ;   in Loop: Header=BB1153_979 Depth=2
	s_wait_alu 0xfffe
	s_or_b32 exec_lo, exec_lo, s15
	s_delay_alu instid0(SALU_CYCLE_1)
	s_mov_b32 s15, exec_lo
	v_cmpx_gt_u32_e64 s57, v140
	s_cbranch_execz .LBB1153_1010
; %bb.1009:                             ;   in Loop: Header=BB1153_979 Depth=2
	global_load_b64 v[46:47], v[42:43], off offset:3328
.LBB1153_1010:                          ;   in Loop: Header=BB1153_979 Depth=2
	s_wait_alu 0xfffe
	s_or_b32 exec_lo, exec_lo, s15
	s_wait_loadcnt 0x0
	v_mov_b32_e32 v44, -1
	v_mov_b32_e32 v45, -1
	s_mov_b32 s15, exec_lo
	v_cmpx_gt_u32_e64 s57, v141
	s_cbranch_execz .LBB1153_1012
; %bb.1011:                             ;   in Loop: Header=BB1153_979 Depth=2
	global_load_b64 v[44:45], v[42:43], off offset:3584
.LBB1153_1012:                          ;   in Loop: Header=BB1153_979 Depth=2
	s_wait_alu 0xfffe
	s_or_b32 exec_lo, exec_lo, s15
	v_cmp_gt_u32_e64 s15, s57, v142
	s_sub_co_i32 s16, s51, s42
.LBB1153_1013:                          ;   in Loop: Header=BB1153_979 Depth=2
	v_mov_b32_e32 v42, -1
	v_dual_mov_b32 v43, -1 :: v_dual_mov_b32 v162, s57
	s_and_saveexec_b32 s17, s15
	s_cbranch_execz .LBB1153_1015
; %bb.1014:                             ;   in Loop: Header=BB1153_979 Depth=2
	s_lshl_b64 s[18:19], s[42:43], 3
	s_wait_alu 0xfffe
	v_mov_b32_e32 v162, s16
	v_add_co_u32 v42, vcc_lo, v143, s18
	s_wait_alu 0xfffd
	v_add_co_ci_u32_e64 v43, null, s19, v144, vcc_lo
	global_load_b64 v[42:43], v[42:43], off offset:3840
.LBB1153_1015:                          ;   in Loop: Header=BB1153_979 Depth=2
	s_wait_alu 0xfffe
	s_or_b32 exec_lo, exec_lo, s17
	s_wait_loadcnt 0xe
	v_cmp_gt_i64_e32 vcc_lo, 0, v[36:37]
	v_ashrrev_i32_e32 v2, 31, v37
	v_add_nc_u32_e32 v164, 0x420, v101
	v_add_nc_u32_e32 v165, 0x428, v101
	v_add_nc_u32_e32 v166, 0x430, v101
	s_delay_alu instid0(VALU_DEP_4) | instskip(SKIP_2) | instid1(VALU_DEP_2)
	v_not_b32_e32 v2, v2
	s_wait_alu 0xfffd
	v_cndmask_b32_e64 v68, 0x7fffffff, 0, vcc_lo
	v_xor_b32_e32 v36, v2, v36
	s_delay_alu instid0(VALU_DEP_2) | instskip(NEXT) | instid1(VALU_DEP_1)
	v_xor_b32_e32 v37, v68, v37
	v_cmp_ne_u64_e32 vcc_lo, s[34:35], v[36:37]
	s_wait_alu 0xfffd
	v_cndmask_b32_e32 v69, 0x7fffffff, v37, vcc_lo
	v_cndmask_b32_e32 v68, -1, v36, vcc_lo
	s_delay_alu instid0(VALU_DEP_1) | instskip(NEXT) | instid1(VALU_DEP_1)
	v_lshrrev_b64 v[68:69], s31, v[68:69]
	v_and_b32_e32 v69, s56, v68
	s_delay_alu instid0(VALU_DEP_1)
	v_and_b32_e32 v2, 1, v69
	v_lshlrev_b32_e32 v68, 30, v69
	v_lshlrev_b32_e32 v70, 29, v69
	v_lshlrev_b32_e32 v71, 28, v69
	v_lshlrev_b32_e32 v73, 27, v69
	v_add_co_u32 v2, s15, v2, -1
	s_wait_alu 0xf1ff
	v_cndmask_b32_e64 v72, 0, 1, s15
	v_not_b32_e32 v163, v68
	v_cmp_gt_i32_e64 s15, 0, v68
	v_not_b32_e32 v68, v70
	v_lshlrev_b32_e32 v74, 26, v69
	v_cmp_ne_u32_e32 vcc_lo, 0, v72
	v_ashrrev_i32_e32 v163, 31, v163
	v_lshlrev_b32_e32 v75, 25, v69
	v_ashrrev_i32_e32 v68, 31, v68
	v_lshlrev_b32_e32 v72, 24, v69
	s_wait_alu 0xfffd
	v_xor_b32_e32 v2, vcc_lo, v2
	v_cmp_gt_i32_e32 vcc_lo, 0, v70
	v_not_b32_e32 v70, v71
	s_wait_alu 0xf1ff
	v_xor_b32_e32 v163, s15, v163
	v_cmp_gt_i32_e64 s15, 0, v71
	v_and_b32_e32 v2, exec_lo, v2
	v_not_b32_e32 v71, v73
	v_ashrrev_i32_e32 v70, 31, v70
	s_wait_alu 0xfffd
	v_xor_b32_e32 v68, vcc_lo, v68
	v_cmp_gt_i32_e32 vcc_lo, 0, v73
	v_and_b32_e32 v2, v2, v163
	v_not_b32_e32 v73, v74
	v_ashrrev_i32_e32 v71, 31, v71
	s_wait_alu 0xf1ff
	v_xor_b32_e32 v70, s15, v70
	v_cmp_gt_i32_e64 s15, 0, v74
	v_and_b32_e32 v2, v2, v68
	v_not_b32_e32 v68, v75
	v_ashrrev_i32_e32 v73, 31, v73
	s_wait_alu 0xfffd
	v_xor_b32_e32 v71, vcc_lo, v71
	v_cmp_gt_i32_e32 vcc_lo, 0, v75
	v_and_b32_e32 v2, v2, v70
	v_not_b32_e32 v70, v72
	v_ashrrev_i32_e32 v68, 31, v68
	s_wait_alu 0xf1ff
	v_xor_b32_e32 v73, s15, v73
	v_cmp_gt_i32_e64 s15, 0, v72
	v_and_b32_e32 v2, v2, v71
	v_ashrrev_i32_e32 v70, 31, v70
	s_wait_alu 0xfffd
	v_xor_b32_e32 v68, vcc_lo, v68
	v_mul_u32_u24_e32 v69, 36, v69
	v_add_nc_u32_e32 v163, 0x438, v101
	v_and_b32_e32 v2, v2, v73
	s_wait_alu 0xf1ff
	v_xor_b32_e32 v70, s15, v70
	v_add_nc_u32_e32 v167, v145, v69
	ds_store_2addr_b32 v163, v3, v3 offset1:1
	v_and_b32_e32 v2, v2, v68
	ds_store_2addr_b32 v164, v3, v3 offset1:1
	ds_store_2addr_b32 v165, v3, v3 offset1:1
	;; [unrolled: 1-line block ×3, first 2 shown]
	ds_store_b32 v101, v3 offset:1088
	s_wait_loadcnt_dscnt 0x0
	s_barrier_signal -1
	s_barrier_wait -1
	v_and_b32_e32 v68, v2, v70
	global_inv scope:SCOPE_SE
	; wave barrier
	v_mbcnt_lo_u32_b32 v2, v68, 0
	v_cmp_ne_u32_e64 s15, 0, v68
	s_delay_alu instid0(VALU_DEP_2)
	v_cmp_eq_u32_e32 vcc_lo, 0, v2
	s_and_b32 s16, s15, vcc_lo
	s_wait_alu 0xfffe
	s_and_saveexec_b32 s15, s16
; %bb.1016:                             ;   in Loop: Header=BB1153_979 Depth=2
	v_bcnt_u32_b32 v68, v68, 0
	ds_store_b32 v167, v68 offset:1056
; %bb.1017:                             ;   in Loop: Header=BB1153_979 Depth=2
	s_wait_alu 0xfffe
	s_or_b32 exec_lo, exec_lo, s15
	v_cmp_gt_i64_e32 vcc_lo, 0, v[38:39]
	v_ashrrev_i32_e32 v68, 31, v39
	; wave barrier
	s_delay_alu instid0(VALU_DEP_1) | instskip(SKIP_2) | instid1(VALU_DEP_2)
	v_not_b32_e32 v68, v68
	s_wait_alu 0xfffd
	v_cndmask_b32_e64 v69, 0x7fffffff, 0, vcc_lo
	v_xor_b32_e32 v38, v68, v38
	s_delay_alu instid0(VALU_DEP_2) | instskip(NEXT) | instid1(VALU_DEP_1)
	v_xor_b32_e32 v39, v69, v39
	v_cmp_ne_u64_e32 vcc_lo, s[34:35], v[38:39]
	s_wait_alu 0xfffd
	v_cndmask_b32_e32 v69, 0x7fffffff, v39, vcc_lo
	v_cndmask_b32_e32 v68, -1, v38, vcc_lo
	s_delay_alu instid0(VALU_DEP_1) | instskip(NEXT) | instid1(VALU_DEP_1)
	v_lshrrev_b64 v[68:69], s31, v[68:69]
	v_and_b32_e32 v69, s56, v68
	s_delay_alu instid0(VALU_DEP_1)
	v_and_b32_e32 v68, 1, v69
	v_lshlrev_b32_e32 v70, 30, v69
	v_lshlrev_b32_e32 v71, 29, v69
	;; [unrolled: 1-line block ×4, first 2 shown]
	v_add_co_u32 v68, s15, v68, -1
	s_wait_alu 0xf1ff
	v_cndmask_b32_e64 v73, 0, 1, s15
	v_not_b32_e32 v169, v70
	v_cmp_gt_i32_e64 s15, 0, v70
	v_not_b32_e32 v70, v71
	v_lshlrev_b32_e32 v75, 26, v69
	v_cmp_ne_u32_e32 vcc_lo, 0, v73
	v_ashrrev_i32_e32 v169, 31, v169
	v_lshlrev_b32_e32 v168, 25, v69
	v_ashrrev_i32_e32 v70, 31, v70
	v_lshlrev_b32_e32 v73, 24, v69
	s_wait_alu 0xfffd
	v_xor_b32_e32 v68, vcc_lo, v68
	v_cmp_gt_i32_e32 vcc_lo, 0, v71
	v_not_b32_e32 v71, v72
	s_wait_alu 0xf1ff
	v_xor_b32_e32 v169, s15, v169
	v_cmp_gt_i32_e64 s15, 0, v72
	v_and_b32_e32 v68, exec_lo, v68
	v_not_b32_e32 v72, v74
	v_ashrrev_i32_e32 v71, 31, v71
	s_wait_alu 0xfffd
	v_xor_b32_e32 v70, vcc_lo, v70
	v_cmp_gt_i32_e32 vcc_lo, 0, v74
	v_and_b32_e32 v68, v68, v169
	v_not_b32_e32 v74, v75
	v_ashrrev_i32_e32 v72, 31, v72
	s_wait_alu 0xf1ff
	v_xor_b32_e32 v71, s15, v71
	v_cmp_gt_i32_e64 s15, 0, v75
	v_and_b32_e32 v68, v68, v70
	v_not_b32_e32 v70, v168
	v_ashrrev_i32_e32 v74, 31, v74
	s_wait_alu 0xfffd
	v_xor_b32_e32 v72, vcc_lo, v72
	v_cmp_gt_i32_e32 vcc_lo, 0, v168
	v_and_b32_e32 v68, v68, v71
	v_not_b32_e32 v71, v73
	v_ashrrev_i32_e32 v70, 31, v70
	s_wait_alu 0xf1ff
	v_xor_b32_e32 v74, s15, v74
	v_cmp_gt_i32_e64 s15, 0, v73
	v_and_b32_e32 v68, v68, v72
	v_ashrrev_i32_e32 v71, 31, v71
	s_wait_alu 0xfffd
	v_xor_b32_e32 v70, vcc_lo, v70
	v_mad_u32_u24 v72, v69, 36, v145
	v_mul_u32_u24_e32 v69, 36, v69
	v_and_b32_e32 v68, v68, v74
	s_wait_alu 0xf1ff
	v_xor_b32_e32 v71, s15, v71
	ds_load_b32 v168, v72 offset:1056
	v_add_nc_u32_e32 v170, v145, v69
	v_and_b32_e32 v68, v68, v70
	; wave barrier
	s_delay_alu instid0(VALU_DEP_1) | instskip(NEXT) | instid1(VALU_DEP_1)
	v_and_b32_e32 v68, v68, v71
	v_mbcnt_lo_u32_b32 v169, v68, 0
	v_cmp_ne_u32_e64 s15, 0, v68
	s_delay_alu instid0(VALU_DEP_2)
	v_cmp_eq_u32_e32 vcc_lo, 0, v169
	s_and_b32 s16, s15, vcc_lo
	s_wait_alu 0xfffe
	s_and_saveexec_b32 s15, s16
	s_cbranch_execz .LBB1153_1019
; %bb.1018:                             ;   in Loop: Header=BB1153_979 Depth=2
	s_wait_dscnt 0x0
	v_bcnt_u32_b32 v68, v68, v168
	ds_store_b32 v170, v68 offset:1056
.LBB1153_1019:                          ;   in Loop: Header=BB1153_979 Depth=2
	s_wait_alu 0xfffe
	s_or_b32 exec_lo, exec_lo, s15
	v_cmp_gt_i64_e32 vcc_lo, 0, v[40:41]
	v_ashrrev_i32_e32 v68, 31, v41
	; wave barrier
	s_delay_alu instid0(VALU_DEP_1) | instskip(SKIP_2) | instid1(VALU_DEP_2)
	v_not_b32_e32 v68, v68
	s_wait_alu 0xfffd
	v_cndmask_b32_e64 v69, 0x7fffffff, 0, vcc_lo
	v_xor_b32_e32 v40, v68, v40
	s_delay_alu instid0(VALU_DEP_2) | instskip(NEXT) | instid1(VALU_DEP_1)
	v_xor_b32_e32 v41, v69, v41
	v_cmp_ne_u64_e32 vcc_lo, s[34:35], v[40:41]
	s_wait_alu 0xfffd
	v_cndmask_b32_e32 v69, 0x7fffffff, v41, vcc_lo
	v_cndmask_b32_e32 v68, -1, v40, vcc_lo
	s_delay_alu instid0(VALU_DEP_1) | instskip(NEXT) | instid1(VALU_DEP_1)
	v_lshrrev_b64 v[68:69], s31, v[68:69]
	v_and_b32_e32 v69, s56, v68
	s_delay_alu instid0(VALU_DEP_1)
	v_and_b32_e32 v68, 1, v69
	v_lshlrev_b32_e32 v70, 30, v69
	v_lshlrev_b32_e32 v71, 29, v69
	;; [unrolled: 1-line block ×4, first 2 shown]
	v_add_co_u32 v68, s15, v68, -1
	s_wait_alu 0xf1ff
	v_cndmask_b32_e64 v73, 0, 1, s15
	v_not_b32_e32 v172, v70
	v_cmp_gt_i32_e64 s15, 0, v70
	v_not_b32_e32 v70, v71
	v_lshlrev_b32_e32 v75, 26, v69
	v_cmp_ne_u32_e32 vcc_lo, 0, v73
	v_ashrrev_i32_e32 v172, 31, v172
	v_lshlrev_b32_e32 v171, 25, v69
	v_ashrrev_i32_e32 v70, 31, v70
	v_lshlrev_b32_e32 v73, 24, v69
	s_wait_alu 0xfffd
	v_xor_b32_e32 v68, vcc_lo, v68
	v_cmp_gt_i32_e32 vcc_lo, 0, v71
	v_not_b32_e32 v71, v72
	s_wait_alu 0xf1ff
	v_xor_b32_e32 v172, s15, v172
	v_cmp_gt_i32_e64 s15, 0, v72
	v_and_b32_e32 v68, exec_lo, v68
	v_not_b32_e32 v72, v74
	v_ashrrev_i32_e32 v71, 31, v71
	s_wait_alu 0xfffd
	v_xor_b32_e32 v70, vcc_lo, v70
	v_cmp_gt_i32_e32 vcc_lo, 0, v74
	v_and_b32_e32 v68, v68, v172
	v_not_b32_e32 v74, v75
	v_ashrrev_i32_e32 v72, 31, v72
	s_wait_alu 0xf1ff
	v_xor_b32_e32 v71, s15, v71
	v_cmp_gt_i32_e64 s15, 0, v75
	v_and_b32_e32 v68, v68, v70
	v_not_b32_e32 v70, v171
	v_ashrrev_i32_e32 v74, 31, v74
	s_wait_alu 0xfffd
	v_xor_b32_e32 v72, vcc_lo, v72
	v_cmp_gt_i32_e32 vcc_lo, 0, v171
	v_and_b32_e32 v68, v68, v71
	v_not_b32_e32 v71, v73
	v_ashrrev_i32_e32 v70, 31, v70
	s_wait_alu 0xf1ff
	v_xor_b32_e32 v74, s15, v74
	v_cmp_gt_i32_e64 s15, 0, v73
	v_and_b32_e32 v68, v68, v72
	v_ashrrev_i32_e32 v71, 31, v71
	s_wait_alu 0xfffd
	v_xor_b32_e32 v70, vcc_lo, v70
	v_mad_u32_u24 v72, v69, 36, v145
	v_mul_u32_u24_e32 v69, 36, v69
	v_and_b32_e32 v68, v68, v74
	s_wait_alu 0xf1ff
	v_xor_b32_e32 v71, s15, v71
	ds_load_b32 v171, v72 offset:1056
	v_add_nc_u32_e32 v173, v145, v69
	v_and_b32_e32 v68, v68, v70
	; wave barrier
	s_delay_alu instid0(VALU_DEP_1) | instskip(NEXT) | instid1(VALU_DEP_1)
	v_and_b32_e32 v68, v68, v71
	v_mbcnt_lo_u32_b32 v172, v68, 0
	v_cmp_ne_u32_e64 s15, 0, v68
	s_delay_alu instid0(VALU_DEP_2)
	v_cmp_eq_u32_e32 vcc_lo, 0, v172
	s_and_b32 s16, s15, vcc_lo
	s_wait_alu 0xfffe
	s_and_saveexec_b32 s15, s16
	s_cbranch_execz .LBB1153_1021
; %bb.1020:                             ;   in Loop: Header=BB1153_979 Depth=2
	s_wait_dscnt 0x0
	v_bcnt_u32_b32 v68, v68, v171
	ds_store_b32 v173, v68 offset:1056
.LBB1153_1021:                          ;   in Loop: Header=BB1153_979 Depth=2
	s_wait_alu 0xfffe
	s_or_b32 exec_lo, exec_lo, s15
	v_cmp_gt_i64_e32 vcc_lo, 0, v[48:49]
	v_ashrrev_i32_e32 v68, 31, v49
	; wave barrier
	s_delay_alu instid0(VALU_DEP_1) | instskip(SKIP_2) | instid1(VALU_DEP_2)
	v_not_b32_e32 v68, v68
	s_wait_alu 0xfffd
	v_cndmask_b32_e64 v69, 0x7fffffff, 0, vcc_lo
	v_xor_b32_e32 v48, v68, v48
	s_delay_alu instid0(VALU_DEP_2) | instskip(NEXT) | instid1(VALU_DEP_1)
	v_xor_b32_e32 v49, v69, v49
	v_cmp_ne_u64_e32 vcc_lo, s[34:35], v[48:49]
	s_wait_alu 0xfffd
	v_cndmask_b32_e32 v69, 0x7fffffff, v49, vcc_lo
	v_cndmask_b32_e32 v68, -1, v48, vcc_lo
	s_delay_alu instid0(VALU_DEP_1) | instskip(NEXT) | instid1(VALU_DEP_1)
	v_lshrrev_b64 v[68:69], s31, v[68:69]
	v_and_b32_e32 v69, s56, v68
	s_delay_alu instid0(VALU_DEP_1)
	v_and_b32_e32 v68, 1, v69
	v_lshlrev_b32_e32 v70, 30, v69
	v_lshlrev_b32_e32 v71, 29, v69
	;; [unrolled: 1-line block ×4, first 2 shown]
	v_add_co_u32 v68, s15, v68, -1
	s_wait_alu 0xf1ff
	v_cndmask_b32_e64 v73, 0, 1, s15
	v_not_b32_e32 v175, v70
	v_cmp_gt_i32_e64 s15, 0, v70
	v_not_b32_e32 v70, v71
	v_lshlrev_b32_e32 v75, 26, v69
	v_cmp_ne_u32_e32 vcc_lo, 0, v73
	v_ashrrev_i32_e32 v175, 31, v175
	v_lshlrev_b32_e32 v174, 25, v69
	v_ashrrev_i32_e32 v70, 31, v70
	v_lshlrev_b32_e32 v73, 24, v69
	s_wait_alu 0xfffd
	v_xor_b32_e32 v68, vcc_lo, v68
	v_cmp_gt_i32_e32 vcc_lo, 0, v71
	v_not_b32_e32 v71, v72
	s_wait_alu 0xf1ff
	v_xor_b32_e32 v175, s15, v175
	v_cmp_gt_i32_e64 s15, 0, v72
	v_and_b32_e32 v68, exec_lo, v68
	v_not_b32_e32 v72, v74
	v_ashrrev_i32_e32 v71, 31, v71
	s_wait_alu 0xfffd
	v_xor_b32_e32 v70, vcc_lo, v70
	v_cmp_gt_i32_e32 vcc_lo, 0, v74
	v_and_b32_e32 v68, v68, v175
	v_not_b32_e32 v74, v75
	v_ashrrev_i32_e32 v72, 31, v72
	s_wait_alu 0xf1ff
	v_xor_b32_e32 v71, s15, v71
	v_cmp_gt_i32_e64 s15, 0, v75
	v_and_b32_e32 v68, v68, v70
	v_not_b32_e32 v70, v174
	v_ashrrev_i32_e32 v74, 31, v74
	s_wait_alu 0xfffd
	v_xor_b32_e32 v72, vcc_lo, v72
	v_cmp_gt_i32_e32 vcc_lo, 0, v174
	v_and_b32_e32 v68, v68, v71
	v_not_b32_e32 v71, v73
	v_ashrrev_i32_e32 v70, 31, v70
	s_wait_alu 0xf1ff
	v_xor_b32_e32 v74, s15, v74
	v_cmp_gt_i32_e64 s15, 0, v73
	v_and_b32_e32 v68, v68, v72
	v_ashrrev_i32_e32 v71, 31, v71
	s_wait_alu 0xfffd
	v_xor_b32_e32 v70, vcc_lo, v70
	v_mad_u32_u24 v72, v69, 36, v145
	v_mul_u32_u24_e32 v69, 36, v69
	v_and_b32_e32 v68, v68, v74
	s_wait_alu 0xf1ff
	v_xor_b32_e32 v71, s15, v71
	ds_load_b32 v174, v72 offset:1056
	v_add_nc_u32_e32 v176, v145, v69
	v_and_b32_e32 v68, v68, v70
	; wave barrier
	s_delay_alu instid0(VALU_DEP_1) | instskip(NEXT) | instid1(VALU_DEP_1)
	v_and_b32_e32 v68, v68, v71
	v_mbcnt_lo_u32_b32 v175, v68, 0
	v_cmp_ne_u32_e64 s15, 0, v68
	s_delay_alu instid0(VALU_DEP_2)
	v_cmp_eq_u32_e32 vcc_lo, 0, v175
	s_and_b32 s16, s15, vcc_lo
	s_wait_alu 0xfffe
	s_and_saveexec_b32 s15, s16
	s_cbranch_execz .LBB1153_1023
; %bb.1022:                             ;   in Loop: Header=BB1153_979 Depth=2
	s_wait_dscnt 0x0
	v_bcnt_u32_b32 v68, v68, v174
	ds_store_b32 v176, v68 offset:1056
.LBB1153_1023:                          ;   in Loop: Header=BB1153_979 Depth=2
	s_wait_alu 0xfffe
	s_or_b32 exec_lo, exec_lo, s15
	v_cmp_gt_i64_e32 vcc_lo, 0, v[52:53]
	v_ashrrev_i32_e32 v68, 31, v53
	; wave barrier
	s_delay_alu instid0(VALU_DEP_1) | instskip(SKIP_2) | instid1(VALU_DEP_2)
	v_not_b32_e32 v68, v68
	s_wait_alu 0xfffd
	v_cndmask_b32_e64 v69, 0x7fffffff, 0, vcc_lo
	v_xor_b32_e32 v52, v68, v52
	s_delay_alu instid0(VALU_DEP_2) | instskip(NEXT) | instid1(VALU_DEP_1)
	v_xor_b32_e32 v53, v69, v53
	v_cmp_ne_u64_e32 vcc_lo, s[34:35], v[52:53]
	s_wait_alu 0xfffd
	v_cndmask_b32_e32 v69, 0x7fffffff, v53, vcc_lo
	v_cndmask_b32_e32 v68, -1, v52, vcc_lo
	s_delay_alu instid0(VALU_DEP_1) | instskip(NEXT) | instid1(VALU_DEP_1)
	v_lshrrev_b64 v[68:69], s31, v[68:69]
	v_and_b32_e32 v69, s56, v68
	s_delay_alu instid0(VALU_DEP_1)
	v_and_b32_e32 v68, 1, v69
	v_lshlrev_b32_e32 v70, 30, v69
	v_lshlrev_b32_e32 v71, 29, v69
	v_lshlrev_b32_e32 v72, 28, v69
	v_lshlrev_b32_e32 v74, 27, v69
	v_add_co_u32 v68, s15, v68, -1
	s_wait_alu 0xf1ff
	v_cndmask_b32_e64 v73, 0, 1, s15
	v_not_b32_e32 v178, v70
	v_cmp_gt_i32_e64 s15, 0, v70
	v_not_b32_e32 v70, v71
	v_lshlrev_b32_e32 v75, 26, v69
	v_cmp_ne_u32_e32 vcc_lo, 0, v73
	v_ashrrev_i32_e32 v178, 31, v178
	v_lshlrev_b32_e32 v177, 25, v69
	v_ashrrev_i32_e32 v70, 31, v70
	v_lshlrev_b32_e32 v73, 24, v69
	s_wait_alu 0xfffd
	v_xor_b32_e32 v68, vcc_lo, v68
	v_cmp_gt_i32_e32 vcc_lo, 0, v71
	v_not_b32_e32 v71, v72
	s_wait_alu 0xf1ff
	v_xor_b32_e32 v178, s15, v178
	v_cmp_gt_i32_e64 s15, 0, v72
	v_and_b32_e32 v68, exec_lo, v68
	v_not_b32_e32 v72, v74
	v_ashrrev_i32_e32 v71, 31, v71
	s_wait_alu 0xfffd
	v_xor_b32_e32 v70, vcc_lo, v70
	v_cmp_gt_i32_e32 vcc_lo, 0, v74
	v_and_b32_e32 v68, v68, v178
	v_not_b32_e32 v74, v75
	v_ashrrev_i32_e32 v72, 31, v72
	s_wait_alu 0xf1ff
	v_xor_b32_e32 v71, s15, v71
	v_cmp_gt_i32_e64 s15, 0, v75
	v_and_b32_e32 v68, v68, v70
	v_not_b32_e32 v70, v177
	v_ashrrev_i32_e32 v74, 31, v74
	s_wait_alu 0xfffd
	v_xor_b32_e32 v72, vcc_lo, v72
	v_cmp_gt_i32_e32 vcc_lo, 0, v177
	v_and_b32_e32 v68, v68, v71
	v_not_b32_e32 v71, v73
	v_ashrrev_i32_e32 v70, 31, v70
	s_wait_alu 0xf1ff
	v_xor_b32_e32 v74, s15, v74
	v_cmp_gt_i32_e64 s15, 0, v73
	v_and_b32_e32 v68, v68, v72
	v_ashrrev_i32_e32 v71, 31, v71
	s_wait_alu 0xfffd
	v_xor_b32_e32 v70, vcc_lo, v70
	v_mad_u32_u24 v72, v69, 36, v145
	v_mul_u32_u24_e32 v69, 36, v69
	v_and_b32_e32 v68, v68, v74
	s_wait_alu 0xf1ff
	v_xor_b32_e32 v71, s15, v71
	ds_load_b32 v177, v72 offset:1056
	v_add_nc_u32_e32 v179, v145, v69
	v_and_b32_e32 v68, v68, v70
	; wave barrier
	s_delay_alu instid0(VALU_DEP_1) | instskip(NEXT) | instid1(VALU_DEP_1)
	v_and_b32_e32 v68, v68, v71
	v_mbcnt_lo_u32_b32 v178, v68, 0
	v_cmp_ne_u32_e64 s15, 0, v68
	s_delay_alu instid0(VALU_DEP_2)
	v_cmp_eq_u32_e32 vcc_lo, 0, v178
	s_and_b32 s16, s15, vcc_lo
	s_wait_alu 0xfffe
	s_and_saveexec_b32 s15, s16
	s_cbranch_execz .LBB1153_1025
; %bb.1024:                             ;   in Loop: Header=BB1153_979 Depth=2
	s_wait_dscnt 0x0
	v_bcnt_u32_b32 v68, v68, v177
	ds_store_b32 v179, v68 offset:1056
.LBB1153_1025:                          ;   in Loop: Header=BB1153_979 Depth=2
	s_wait_alu 0xfffe
	s_or_b32 exec_lo, exec_lo, s15
	v_cmp_gt_i64_e32 vcc_lo, 0, v[56:57]
	v_ashrrev_i32_e32 v68, 31, v57
	; wave barrier
	s_delay_alu instid0(VALU_DEP_1) | instskip(SKIP_2) | instid1(VALU_DEP_2)
	v_not_b32_e32 v68, v68
	s_wait_alu 0xfffd
	v_cndmask_b32_e64 v69, 0x7fffffff, 0, vcc_lo
	v_xor_b32_e32 v56, v68, v56
	s_delay_alu instid0(VALU_DEP_2) | instskip(NEXT) | instid1(VALU_DEP_1)
	v_xor_b32_e32 v57, v69, v57
	v_cmp_ne_u64_e32 vcc_lo, s[34:35], v[56:57]
	s_wait_alu 0xfffd
	v_cndmask_b32_e32 v69, 0x7fffffff, v57, vcc_lo
	v_cndmask_b32_e32 v68, -1, v56, vcc_lo
	s_delay_alu instid0(VALU_DEP_1) | instskip(NEXT) | instid1(VALU_DEP_1)
	v_lshrrev_b64 v[68:69], s31, v[68:69]
	v_and_b32_e32 v69, s56, v68
	s_delay_alu instid0(VALU_DEP_1)
	v_and_b32_e32 v68, 1, v69
	v_lshlrev_b32_e32 v70, 30, v69
	v_lshlrev_b32_e32 v71, 29, v69
	;; [unrolled: 1-line block ×4, first 2 shown]
	v_add_co_u32 v68, s15, v68, -1
	s_wait_alu 0xf1ff
	v_cndmask_b32_e64 v73, 0, 1, s15
	v_not_b32_e32 v181, v70
	v_cmp_gt_i32_e64 s15, 0, v70
	v_not_b32_e32 v70, v71
	v_lshlrev_b32_e32 v75, 26, v69
	v_cmp_ne_u32_e32 vcc_lo, 0, v73
	v_ashrrev_i32_e32 v181, 31, v181
	v_lshlrev_b32_e32 v180, 25, v69
	v_ashrrev_i32_e32 v70, 31, v70
	v_lshlrev_b32_e32 v73, 24, v69
	s_wait_alu 0xfffd
	v_xor_b32_e32 v68, vcc_lo, v68
	v_cmp_gt_i32_e32 vcc_lo, 0, v71
	v_not_b32_e32 v71, v72
	s_wait_alu 0xf1ff
	v_xor_b32_e32 v181, s15, v181
	v_cmp_gt_i32_e64 s15, 0, v72
	v_and_b32_e32 v68, exec_lo, v68
	v_not_b32_e32 v72, v74
	v_ashrrev_i32_e32 v71, 31, v71
	s_wait_alu 0xfffd
	v_xor_b32_e32 v70, vcc_lo, v70
	v_cmp_gt_i32_e32 vcc_lo, 0, v74
	v_and_b32_e32 v68, v68, v181
	v_not_b32_e32 v74, v75
	v_ashrrev_i32_e32 v72, 31, v72
	s_wait_alu 0xf1ff
	v_xor_b32_e32 v71, s15, v71
	v_cmp_gt_i32_e64 s15, 0, v75
	v_and_b32_e32 v68, v68, v70
	v_not_b32_e32 v70, v180
	v_ashrrev_i32_e32 v74, 31, v74
	s_wait_alu 0xfffd
	v_xor_b32_e32 v72, vcc_lo, v72
	v_cmp_gt_i32_e32 vcc_lo, 0, v180
	v_and_b32_e32 v68, v68, v71
	v_not_b32_e32 v71, v73
	v_ashrrev_i32_e32 v70, 31, v70
	s_wait_alu 0xf1ff
	v_xor_b32_e32 v74, s15, v74
	v_cmp_gt_i32_e64 s15, 0, v73
	v_and_b32_e32 v68, v68, v72
	v_ashrrev_i32_e32 v71, 31, v71
	s_wait_alu 0xfffd
	v_xor_b32_e32 v70, vcc_lo, v70
	v_mad_u32_u24 v72, v69, 36, v145
	v_mul_u32_u24_e32 v69, 36, v69
	v_and_b32_e32 v68, v68, v74
	s_wait_alu 0xf1ff
	v_xor_b32_e32 v71, s15, v71
	ds_load_b32 v180, v72 offset:1056
	v_add_nc_u32_e32 v182, v145, v69
	v_and_b32_e32 v68, v68, v70
	; wave barrier
	s_delay_alu instid0(VALU_DEP_1) | instskip(NEXT) | instid1(VALU_DEP_1)
	v_and_b32_e32 v68, v68, v71
	v_mbcnt_lo_u32_b32 v181, v68, 0
	v_cmp_ne_u32_e64 s15, 0, v68
	s_delay_alu instid0(VALU_DEP_2)
	v_cmp_eq_u32_e32 vcc_lo, 0, v181
	s_and_b32 s16, s15, vcc_lo
	s_wait_alu 0xfffe
	s_and_saveexec_b32 s15, s16
	s_cbranch_execz .LBB1153_1027
; %bb.1026:                             ;   in Loop: Header=BB1153_979 Depth=2
	s_wait_dscnt 0x0
	v_bcnt_u32_b32 v68, v68, v180
	ds_store_b32 v182, v68 offset:1056
.LBB1153_1027:                          ;   in Loop: Header=BB1153_979 Depth=2
	s_wait_alu 0xfffe
	s_or_b32 exec_lo, exec_lo, s15
	v_cmp_gt_i64_e32 vcc_lo, 0, v[60:61]
	v_ashrrev_i32_e32 v68, 31, v61
	; wave barrier
	s_delay_alu instid0(VALU_DEP_1) | instskip(SKIP_2) | instid1(VALU_DEP_2)
	v_not_b32_e32 v68, v68
	s_wait_alu 0xfffd
	v_cndmask_b32_e64 v69, 0x7fffffff, 0, vcc_lo
	v_xor_b32_e32 v60, v68, v60
	s_delay_alu instid0(VALU_DEP_2) | instskip(NEXT) | instid1(VALU_DEP_1)
	v_xor_b32_e32 v61, v69, v61
	v_cmp_ne_u64_e32 vcc_lo, s[34:35], v[60:61]
	s_wait_alu 0xfffd
	v_cndmask_b32_e32 v69, 0x7fffffff, v61, vcc_lo
	v_cndmask_b32_e32 v68, -1, v60, vcc_lo
	s_delay_alu instid0(VALU_DEP_1) | instskip(NEXT) | instid1(VALU_DEP_1)
	v_lshrrev_b64 v[68:69], s31, v[68:69]
	v_and_b32_e32 v69, s56, v68
	s_delay_alu instid0(VALU_DEP_1)
	v_and_b32_e32 v68, 1, v69
	v_lshlrev_b32_e32 v70, 30, v69
	v_lshlrev_b32_e32 v71, 29, v69
	;; [unrolled: 1-line block ×4, first 2 shown]
	v_add_co_u32 v68, s15, v68, -1
	s_wait_alu 0xf1ff
	v_cndmask_b32_e64 v73, 0, 1, s15
	v_not_b32_e32 v184, v70
	v_cmp_gt_i32_e64 s15, 0, v70
	v_not_b32_e32 v70, v71
	v_lshlrev_b32_e32 v75, 26, v69
	v_cmp_ne_u32_e32 vcc_lo, 0, v73
	v_ashrrev_i32_e32 v184, 31, v184
	v_lshlrev_b32_e32 v183, 25, v69
	v_ashrrev_i32_e32 v70, 31, v70
	v_lshlrev_b32_e32 v73, 24, v69
	s_wait_alu 0xfffd
	v_xor_b32_e32 v68, vcc_lo, v68
	v_cmp_gt_i32_e32 vcc_lo, 0, v71
	v_not_b32_e32 v71, v72
	s_wait_alu 0xf1ff
	v_xor_b32_e32 v184, s15, v184
	v_cmp_gt_i32_e64 s15, 0, v72
	v_and_b32_e32 v68, exec_lo, v68
	v_not_b32_e32 v72, v74
	v_ashrrev_i32_e32 v71, 31, v71
	s_wait_alu 0xfffd
	v_xor_b32_e32 v70, vcc_lo, v70
	v_cmp_gt_i32_e32 vcc_lo, 0, v74
	v_and_b32_e32 v68, v68, v184
	v_not_b32_e32 v74, v75
	v_ashrrev_i32_e32 v72, 31, v72
	s_wait_alu 0xf1ff
	v_xor_b32_e32 v71, s15, v71
	v_cmp_gt_i32_e64 s15, 0, v75
	v_and_b32_e32 v68, v68, v70
	v_not_b32_e32 v70, v183
	v_ashrrev_i32_e32 v74, 31, v74
	s_wait_alu 0xfffd
	v_xor_b32_e32 v72, vcc_lo, v72
	v_cmp_gt_i32_e32 vcc_lo, 0, v183
	v_and_b32_e32 v68, v68, v71
	v_not_b32_e32 v71, v73
	v_ashrrev_i32_e32 v70, 31, v70
	s_wait_alu 0xf1ff
	v_xor_b32_e32 v74, s15, v74
	v_cmp_gt_i32_e64 s15, 0, v73
	v_and_b32_e32 v68, v68, v72
	v_ashrrev_i32_e32 v71, 31, v71
	s_wait_alu 0xfffd
	v_xor_b32_e32 v70, vcc_lo, v70
	v_mad_u32_u24 v72, v69, 36, v145
	v_mul_u32_u24_e32 v69, 36, v69
	v_and_b32_e32 v68, v68, v74
	s_wait_alu 0xf1ff
	v_xor_b32_e32 v71, s15, v71
	ds_load_b32 v183, v72 offset:1056
	v_add_nc_u32_e32 v185, v145, v69
	v_and_b32_e32 v68, v68, v70
	; wave barrier
	s_delay_alu instid0(VALU_DEP_1) | instskip(NEXT) | instid1(VALU_DEP_1)
	v_and_b32_e32 v68, v68, v71
	v_mbcnt_lo_u32_b32 v184, v68, 0
	v_cmp_ne_u32_e64 s15, 0, v68
	s_delay_alu instid0(VALU_DEP_2)
	v_cmp_eq_u32_e32 vcc_lo, 0, v184
	s_and_b32 s16, s15, vcc_lo
	s_wait_alu 0xfffe
	s_and_saveexec_b32 s15, s16
	s_cbranch_execz .LBB1153_1029
; %bb.1028:                             ;   in Loop: Header=BB1153_979 Depth=2
	s_wait_dscnt 0x0
	v_bcnt_u32_b32 v68, v68, v183
	ds_store_b32 v185, v68 offset:1056
.LBB1153_1029:                          ;   in Loop: Header=BB1153_979 Depth=2
	s_wait_alu 0xfffe
	s_or_b32 exec_lo, exec_lo, s15
	v_cmp_gt_i64_e32 vcc_lo, 0, v[64:65]
	v_ashrrev_i32_e32 v68, 31, v65
	; wave barrier
	s_delay_alu instid0(VALU_DEP_1) | instskip(SKIP_2) | instid1(VALU_DEP_2)
	v_not_b32_e32 v68, v68
	s_wait_alu 0xfffd
	v_cndmask_b32_e64 v69, 0x7fffffff, 0, vcc_lo
	v_xor_b32_e32 v64, v68, v64
	s_delay_alu instid0(VALU_DEP_2) | instskip(NEXT) | instid1(VALU_DEP_1)
	v_xor_b32_e32 v65, v69, v65
	v_cmp_ne_u64_e32 vcc_lo, s[34:35], v[64:65]
	s_wait_alu 0xfffd
	v_cndmask_b32_e32 v69, 0x7fffffff, v65, vcc_lo
	v_cndmask_b32_e32 v68, -1, v64, vcc_lo
	s_delay_alu instid0(VALU_DEP_1) | instskip(NEXT) | instid1(VALU_DEP_1)
	v_lshrrev_b64 v[68:69], s31, v[68:69]
	v_and_b32_e32 v69, s56, v68
	s_delay_alu instid0(VALU_DEP_1)
	v_and_b32_e32 v68, 1, v69
	v_lshlrev_b32_e32 v70, 30, v69
	v_lshlrev_b32_e32 v71, 29, v69
	;; [unrolled: 1-line block ×4, first 2 shown]
	v_add_co_u32 v68, s15, v68, -1
	s_wait_alu 0xf1ff
	v_cndmask_b32_e64 v73, 0, 1, s15
	v_not_b32_e32 v187, v70
	v_cmp_gt_i32_e64 s15, 0, v70
	v_not_b32_e32 v70, v71
	v_lshlrev_b32_e32 v75, 26, v69
	v_cmp_ne_u32_e32 vcc_lo, 0, v73
	v_ashrrev_i32_e32 v187, 31, v187
	v_lshlrev_b32_e32 v186, 25, v69
	v_ashrrev_i32_e32 v70, 31, v70
	v_lshlrev_b32_e32 v73, 24, v69
	s_wait_alu 0xfffd
	v_xor_b32_e32 v68, vcc_lo, v68
	v_cmp_gt_i32_e32 vcc_lo, 0, v71
	v_not_b32_e32 v71, v72
	s_wait_alu 0xf1ff
	v_xor_b32_e32 v187, s15, v187
	v_cmp_gt_i32_e64 s15, 0, v72
	v_and_b32_e32 v68, exec_lo, v68
	v_not_b32_e32 v72, v74
	v_ashrrev_i32_e32 v71, 31, v71
	s_wait_alu 0xfffd
	v_xor_b32_e32 v70, vcc_lo, v70
	v_cmp_gt_i32_e32 vcc_lo, 0, v74
	v_and_b32_e32 v68, v68, v187
	v_not_b32_e32 v74, v75
	v_ashrrev_i32_e32 v72, 31, v72
	s_wait_alu 0xf1ff
	v_xor_b32_e32 v71, s15, v71
	v_cmp_gt_i32_e64 s15, 0, v75
	v_and_b32_e32 v68, v68, v70
	v_not_b32_e32 v70, v186
	v_ashrrev_i32_e32 v74, 31, v74
	s_wait_alu 0xfffd
	v_xor_b32_e32 v72, vcc_lo, v72
	v_cmp_gt_i32_e32 vcc_lo, 0, v186
	v_and_b32_e32 v68, v68, v71
	v_not_b32_e32 v71, v73
	v_ashrrev_i32_e32 v70, 31, v70
	s_wait_alu 0xf1ff
	v_xor_b32_e32 v74, s15, v74
	v_cmp_gt_i32_e64 s15, 0, v73
	v_and_b32_e32 v68, v68, v72
	v_ashrrev_i32_e32 v71, 31, v71
	s_wait_alu 0xfffd
	v_xor_b32_e32 v70, vcc_lo, v70
	v_mad_u32_u24 v72, v69, 36, v145
	v_mul_u32_u24_e32 v69, 36, v69
	v_and_b32_e32 v68, v68, v74
	s_wait_alu 0xf1ff
	v_xor_b32_e32 v71, s15, v71
	ds_load_b32 v186, v72 offset:1056
	v_add_nc_u32_e32 v188, v145, v69
	v_and_b32_e32 v68, v68, v70
	; wave barrier
	s_delay_alu instid0(VALU_DEP_1) | instskip(NEXT) | instid1(VALU_DEP_1)
	v_and_b32_e32 v68, v68, v71
	v_mbcnt_lo_u32_b32 v187, v68, 0
	v_cmp_ne_u32_e64 s15, 0, v68
	s_delay_alu instid0(VALU_DEP_2)
	v_cmp_eq_u32_e32 vcc_lo, 0, v187
	s_and_b32 s16, s15, vcc_lo
	s_wait_alu 0xfffe
	s_and_saveexec_b32 s15, s16
	s_cbranch_execz .LBB1153_1031
; %bb.1030:                             ;   in Loop: Header=BB1153_979 Depth=2
	s_wait_dscnt 0x0
	v_bcnt_u32_b32 v68, v68, v186
	ds_store_b32 v188, v68 offset:1056
.LBB1153_1031:                          ;   in Loop: Header=BB1153_979 Depth=2
	s_wait_alu 0xfffe
	s_or_b32 exec_lo, exec_lo, s15
	v_cmp_gt_i64_e32 vcc_lo, 0, v[66:67]
	v_ashrrev_i32_e32 v68, 31, v67
	; wave barrier
	s_delay_alu instid0(VALU_DEP_1) | instskip(SKIP_2) | instid1(VALU_DEP_2)
	v_not_b32_e32 v68, v68
	s_wait_alu 0xfffd
	v_cndmask_b32_e64 v69, 0x7fffffff, 0, vcc_lo
	v_xor_b32_e32 v66, v68, v66
	s_delay_alu instid0(VALU_DEP_2) | instskip(NEXT) | instid1(VALU_DEP_1)
	v_xor_b32_e32 v67, v69, v67
	v_cmp_ne_u64_e32 vcc_lo, s[34:35], v[66:67]
	s_wait_alu 0xfffd
	v_cndmask_b32_e32 v69, 0x7fffffff, v67, vcc_lo
	v_cndmask_b32_e32 v68, -1, v66, vcc_lo
	s_delay_alu instid0(VALU_DEP_1) | instskip(NEXT) | instid1(VALU_DEP_1)
	v_lshrrev_b64 v[68:69], s31, v[68:69]
	v_and_b32_e32 v69, s56, v68
	s_delay_alu instid0(VALU_DEP_1)
	v_and_b32_e32 v68, 1, v69
	v_lshlrev_b32_e32 v70, 30, v69
	v_lshlrev_b32_e32 v71, 29, v69
	;; [unrolled: 1-line block ×4, first 2 shown]
	v_add_co_u32 v68, s15, v68, -1
	s_wait_alu 0xf1ff
	v_cndmask_b32_e64 v73, 0, 1, s15
	v_not_b32_e32 v190, v70
	v_cmp_gt_i32_e64 s15, 0, v70
	v_not_b32_e32 v70, v71
	v_lshlrev_b32_e32 v75, 26, v69
	v_cmp_ne_u32_e32 vcc_lo, 0, v73
	v_ashrrev_i32_e32 v190, 31, v190
	v_lshlrev_b32_e32 v189, 25, v69
	v_ashrrev_i32_e32 v70, 31, v70
	v_lshlrev_b32_e32 v73, 24, v69
	s_wait_alu 0xfffd
	v_xor_b32_e32 v68, vcc_lo, v68
	v_cmp_gt_i32_e32 vcc_lo, 0, v71
	v_not_b32_e32 v71, v72
	s_wait_alu 0xf1ff
	v_xor_b32_e32 v190, s15, v190
	v_cmp_gt_i32_e64 s15, 0, v72
	v_and_b32_e32 v68, exec_lo, v68
	v_not_b32_e32 v72, v74
	v_ashrrev_i32_e32 v71, 31, v71
	s_wait_alu 0xfffd
	v_xor_b32_e32 v70, vcc_lo, v70
	v_cmp_gt_i32_e32 vcc_lo, 0, v74
	v_and_b32_e32 v68, v68, v190
	v_not_b32_e32 v74, v75
	v_ashrrev_i32_e32 v72, 31, v72
	s_wait_alu 0xf1ff
	v_xor_b32_e32 v71, s15, v71
	v_cmp_gt_i32_e64 s15, 0, v75
	v_and_b32_e32 v68, v68, v70
	v_not_b32_e32 v70, v189
	v_ashrrev_i32_e32 v74, 31, v74
	s_wait_alu 0xfffd
	v_xor_b32_e32 v72, vcc_lo, v72
	v_cmp_gt_i32_e32 vcc_lo, 0, v189
	v_and_b32_e32 v68, v68, v71
	v_not_b32_e32 v71, v73
	v_ashrrev_i32_e32 v70, 31, v70
	s_wait_alu 0xf1ff
	v_xor_b32_e32 v74, s15, v74
	v_cmp_gt_i32_e64 s15, 0, v73
	v_and_b32_e32 v68, v68, v72
	v_ashrrev_i32_e32 v71, 31, v71
	s_wait_alu 0xfffd
	v_xor_b32_e32 v70, vcc_lo, v70
	v_mad_u32_u24 v72, v69, 36, v145
	v_mul_u32_u24_e32 v69, 36, v69
	v_and_b32_e32 v68, v68, v74
	s_wait_alu 0xf1ff
	v_xor_b32_e32 v71, s15, v71
	ds_load_b32 v189, v72 offset:1056
	v_add_nc_u32_e32 v191, v145, v69
	v_and_b32_e32 v68, v68, v70
	; wave barrier
	s_delay_alu instid0(VALU_DEP_1) | instskip(NEXT) | instid1(VALU_DEP_1)
	v_and_b32_e32 v68, v68, v71
	v_mbcnt_lo_u32_b32 v190, v68, 0
	v_cmp_ne_u32_e64 s15, 0, v68
	s_delay_alu instid0(VALU_DEP_2)
	v_cmp_eq_u32_e32 vcc_lo, 0, v190
	s_and_b32 s16, s15, vcc_lo
	s_wait_alu 0xfffe
	s_and_saveexec_b32 s15, s16
	s_cbranch_execz .LBB1153_1033
; %bb.1032:                             ;   in Loop: Header=BB1153_979 Depth=2
	s_wait_dscnt 0x0
	v_bcnt_u32_b32 v68, v68, v189
	ds_store_b32 v191, v68 offset:1056
.LBB1153_1033:                          ;   in Loop: Header=BB1153_979 Depth=2
	s_wait_alu 0xfffe
	s_or_b32 exec_lo, exec_lo, s15
	v_cmp_gt_i64_e32 vcc_lo, 0, v[62:63]
	v_ashrrev_i32_e32 v68, 31, v63
	; wave barrier
	s_delay_alu instid0(VALU_DEP_1) | instskip(SKIP_2) | instid1(VALU_DEP_2)
	v_not_b32_e32 v68, v68
	s_wait_alu 0xfffd
	v_cndmask_b32_e64 v69, 0x7fffffff, 0, vcc_lo
	v_xor_b32_e32 v62, v68, v62
	s_delay_alu instid0(VALU_DEP_2) | instskip(NEXT) | instid1(VALU_DEP_1)
	v_xor_b32_e32 v63, v69, v63
	v_cmp_ne_u64_e32 vcc_lo, s[34:35], v[62:63]
	s_wait_alu 0xfffd
	v_cndmask_b32_e32 v69, 0x7fffffff, v63, vcc_lo
	v_cndmask_b32_e32 v68, -1, v62, vcc_lo
	s_delay_alu instid0(VALU_DEP_1) | instskip(NEXT) | instid1(VALU_DEP_1)
	v_lshrrev_b64 v[68:69], s31, v[68:69]
	v_and_b32_e32 v69, s56, v68
	s_delay_alu instid0(VALU_DEP_1)
	v_and_b32_e32 v68, 1, v69
	v_lshlrev_b32_e32 v70, 30, v69
	v_lshlrev_b32_e32 v71, 29, v69
	v_lshlrev_b32_e32 v72, 28, v69
	v_lshlrev_b32_e32 v74, 27, v69
	v_add_co_u32 v68, s15, v68, -1
	s_wait_alu 0xf1ff
	v_cndmask_b32_e64 v73, 0, 1, s15
	v_not_b32_e32 v193, v70
	v_cmp_gt_i32_e64 s15, 0, v70
	v_not_b32_e32 v70, v71
	v_lshlrev_b32_e32 v75, 26, v69
	v_cmp_ne_u32_e32 vcc_lo, 0, v73
	v_ashrrev_i32_e32 v193, 31, v193
	v_lshlrev_b32_e32 v192, 25, v69
	v_ashrrev_i32_e32 v70, 31, v70
	v_lshlrev_b32_e32 v73, 24, v69
	s_wait_alu 0xfffd
	v_xor_b32_e32 v68, vcc_lo, v68
	v_cmp_gt_i32_e32 vcc_lo, 0, v71
	v_not_b32_e32 v71, v72
	s_wait_alu 0xf1ff
	v_xor_b32_e32 v193, s15, v193
	v_cmp_gt_i32_e64 s15, 0, v72
	v_and_b32_e32 v68, exec_lo, v68
	v_not_b32_e32 v72, v74
	v_ashrrev_i32_e32 v71, 31, v71
	s_wait_alu 0xfffd
	v_xor_b32_e32 v70, vcc_lo, v70
	v_cmp_gt_i32_e32 vcc_lo, 0, v74
	v_and_b32_e32 v68, v68, v193
	v_not_b32_e32 v74, v75
	v_ashrrev_i32_e32 v72, 31, v72
	s_wait_alu 0xf1ff
	v_xor_b32_e32 v71, s15, v71
	v_cmp_gt_i32_e64 s15, 0, v75
	v_and_b32_e32 v68, v68, v70
	v_not_b32_e32 v70, v192
	v_ashrrev_i32_e32 v74, 31, v74
	s_wait_alu 0xfffd
	v_xor_b32_e32 v72, vcc_lo, v72
	v_cmp_gt_i32_e32 vcc_lo, 0, v192
	v_and_b32_e32 v68, v68, v71
	v_not_b32_e32 v71, v73
	v_ashrrev_i32_e32 v70, 31, v70
	s_wait_alu 0xf1ff
	v_xor_b32_e32 v74, s15, v74
	v_cmp_gt_i32_e64 s15, 0, v73
	v_and_b32_e32 v68, v68, v72
	v_ashrrev_i32_e32 v71, 31, v71
	s_wait_alu 0xfffd
	v_xor_b32_e32 v70, vcc_lo, v70
	v_mad_u32_u24 v72, v69, 36, v145
	v_mul_u32_u24_e32 v69, 36, v69
	v_and_b32_e32 v68, v68, v74
	s_wait_alu 0xf1ff
	v_xor_b32_e32 v71, s15, v71
	ds_load_b32 v192, v72 offset:1056
	v_add_nc_u32_e32 v194, v145, v69
	v_and_b32_e32 v68, v68, v70
	; wave barrier
	s_delay_alu instid0(VALU_DEP_1) | instskip(NEXT) | instid1(VALU_DEP_1)
	v_and_b32_e32 v68, v68, v71
	v_mbcnt_lo_u32_b32 v193, v68, 0
	v_cmp_ne_u32_e64 s15, 0, v68
	s_delay_alu instid0(VALU_DEP_2)
	v_cmp_eq_u32_e32 vcc_lo, 0, v193
	s_and_b32 s16, s15, vcc_lo
	s_wait_alu 0xfffe
	s_and_saveexec_b32 s15, s16
	s_cbranch_execz .LBB1153_1035
; %bb.1034:                             ;   in Loop: Header=BB1153_979 Depth=2
	s_wait_dscnt 0x0
	v_bcnt_u32_b32 v68, v68, v192
	ds_store_b32 v194, v68 offset:1056
.LBB1153_1035:                          ;   in Loop: Header=BB1153_979 Depth=2
	s_wait_alu 0xfffe
	s_or_b32 exec_lo, exec_lo, s15
	v_cmp_gt_i64_e32 vcc_lo, 0, v[58:59]
	v_ashrrev_i32_e32 v68, 31, v59
	; wave barrier
	s_delay_alu instid0(VALU_DEP_1) | instskip(SKIP_2) | instid1(VALU_DEP_2)
	v_not_b32_e32 v68, v68
	s_wait_alu 0xfffd
	v_cndmask_b32_e64 v69, 0x7fffffff, 0, vcc_lo
	v_xor_b32_e32 v58, v68, v58
	s_delay_alu instid0(VALU_DEP_2) | instskip(NEXT) | instid1(VALU_DEP_1)
	v_xor_b32_e32 v59, v69, v59
	v_cmp_ne_u64_e32 vcc_lo, s[34:35], v[58:59]
	s_wait_alu 0xfffd
	v_cndmask_b32_e32 v69, 0x7fffffff, v59, vcc_lo
	v_cndmask_b32_e32 v68, -1, v58, vcc_lo
	s_delay_alu instid0(VALU_DEP_1) | instskip(NEXT) | instid1(VALU_DEP_1)
	v_lshrrev_b64 v[68:69], s31, v[68:69]
	v_and_b32_e32 v69, s56, v68
	s_delay_alu instid0(VALU_DEP_1)
	v_and_b32_e32 v68, 1, v69
	v_lshlrev_b32_e32 v70, 30, v69
	v_lshlrev_b32_e32 v71, 29, v69
	;; [unrolled: 1-line block ×4, first 2 shown]
	v_add_co_u32 v68, s15, v68, -1
	s_wait_alu 0xf1ff
	v_cndmask_b32_e64 v73, 0, 1, s15
	v_not_b32_e32 v196, v70
	v_cmp_gt_i32_e64 s15, 0, v70
	v_not_b32_e32 v70, v71
	v_lshlrev_b32_e32 v75, 26, v69
	v_cmp_ne_u32_e32 vcc_lo, 0, v73
	v_ashrrev_i32_e32 v196, 31, v196
	v_lshlrev_b32_e32 v195, 25, v69
	v_ashrrev_i32_e32 v70, 31, v70
	v_lshlrev_b32_e32 v73, 24, v69
	s_wait_alu 0xfffd
	v_xor_b32_e32 v68, vcc_lo, v68
	v_cmp_gt_i32_e32 vcc_lo, 0, v71
	v_not_b32_e32 v71, v72
	s_wait_alu 0xf1ff
	v_xor_b32_e32 v196, s15, v196
	v_cmp_gt_i32_e64 s15, 0, v72
	v_and_b32_e32 v68, exec_lo, v68
	v_not_b32_e32 v72, v74
	v_ashrrev_i32_e32 v71, 31, v71
	s_wait_alu 0xfffd
	v_xor_b32_e32 v70, vcc_lo, v70
	v_cmp_gt_i32_e32 vcc_lo, 0, v74
	v_and_b32_e32 v68, v68, v196
	v_not_b32_e32 v74, v75
	v_ashrrev_i32_e32 v72, 31, v72
	s_wait_alu 0xf1ff
	v_xor_b32_e32 v71, s15, v71
	v_cmp_gt_i32_e64 s15, 0, v75
	v_and_b32_e32 v68, v68, v70
	v_not_b32_e32 v70, v195
	v_ashrrev_i32_e32 v74, 31, v74
	s_wait_alu 0xfffd
	v_xor_b32_e32 v72, vcc_lo, v72
	v_cmp_gt_i32_e32 vcc_lo, 0, v195
	v_and_b32_e32 v68, v68, v71
	v_not_b32_e32 v71, v73
	v_ashrrev_i32_e32 v70, 31, v70
	s_wait_alu 0xf1ff
	v_xor_b32_e32 v74, s15, v74
	v_cmp_gt_i32_e64 s15, 0, v73
	v_and_b32_e32 v68, v68, v72
	v_ashrrev_i32_e32 v71, 31, v71
	s_wait_alu 0xfffd
	v_xor_b32_e32 v70, vcc_lo, v70
	v_mad_u32_u24 v72, v69, 36, v145
	v_mul_u32_u24_e32 v69, 36, v69
	v_and_b32_e32 v68, v68, v74
	s_wait_alu 0xf1ff
	v_xor_b32_e32 v71, s15, v71
	ds_load_b32 v195, v72 offset:1056
	v_add_nc_u32_e32 v197, v145, v69
	v_and_b32_e32 v68, v68, v70
	; wave barrier
	s_delay_alu instid0(VALU_DEP_1) | instskip(NEXT) | instid1(VALU_DEP_1)
	v_and_b32_e32 v68, v68, v71
	v_mbcnt_lo_u32_b32 v196, v68, 0
	v_cmp_ne_u32_e64 s15, 0, v68
	s_delay_alu instid0(VALU_DEP_2)
	v_cmp_eq_u32_e32 vcc_lo, 0, v196
	s_and_b32 s16, s15, vcc_lo
	s_wait_alu 0xfffe
	s_and_saveexec_b32 s15, s16
	s_cbranch_execz .LBB1153_1037
; %bb.1036:                             ;   in Loop: Header=BB1153_979 Depth=2
	s_wait_dscnt 0x0
	v_bcnt_u32_b32 v68, v68, v195
	ds_store_b32 v197, v68 offset:1056
.LBB1153_1037:                          ;   in Loop: Header=BB1153_979 Depth=2
	s_wait_alu 0xfffe
	s_or_b32 exec_lo, exec_lo, s15
	v_cmp_gt_i64_e32 vcc_lo, 0, v[54:55]
	v_ashrrev_i32_e32 v68, 31, v55
	; wave barrier
	s_delay_alu instid0(VALU_DEP_1) | instskip(SKIP_2) | instid1(VALU_DEP_2)
	v_not_b32_e32 v68, v68
	s_wait_alu 0xfffd
	v_cndmask_b32_e64 v69, 0x7fffffff, 0, vcc_lo
	v_xor_b32_e32 v54, v68, v54
	s_delay_alu instid0(VALU_DEP_2) | instskip(NEXT) | instid1(VALU_DEP_1)
	v_xor_b32_e32 v55, v69, v55
	v_cmp_ne_u64_e32 vcc_lo, s[34:35], v[54:55]
	s_wait_alu 0xfffd
	v_cndmask_b32_e32 v69, 0x7fffffff, v55, vcc_lo
	v_cndmask_b32_e32 v68, -1, v54, vcc_lo
	s_delay_alu instid0(VALU_DEP_1) | instskip(NEXT) | instid1(VALU_DEP_1)
	v_lshrrev_b64 v[68:69], s31, v[68:69]
	v_and_b32_e32 v69, s56, v68
	s_delay_alu instid0(VALU_DEP_1)
	v_and_b32_e32 v68, 1, v69
	v_lshlrev_b32_e32 v70, 30, v69
	v_lshlrev_b32_e32 v71, 29, v69
	;; [unrolled: 1-line block ×4, first 2 shown]
	v_add_co_u32 v68, s15, v68, -1
	s_wait_alu 0xf1ff
	v_cndmask_b32_e64 v73, 0, 1, s15
	v_not_b32_e32 v199, v70
	v_cmp_gt_i32_e64 s15, 0, v70
	v_not_b32_e32 v70, v71
	v_lshlrev_b32_e32 v75, 26, v69
	v_cmp_ne_u32_e32 vcc_lo, 0, v73
	v_ashrrev_i32_e32 v199, 31, v199
	v_lshlrev_b32_e32 v198, 25, v69
	v_ashrrev_i32_e32 v70, 31, v70
	v_lshlrev_b32_e32 v73, 24, v69
	s_wait_alu 0xfffd
	v_xor_b32_e32 v68, vcc_lo, v68
	v_cmp_gt_i32_e32 vcc_lo, 0, v71
	v_not_b32_e32 v71, v72
	s_wait_alu 0xf1ff
	v_xor_b32_e32 v199, s15, v199
	v_cmp_gt_i32_e64 s15, 0, v72
	v_and_b32_e32 v68, exec_lo, v68
	v_not_b32_e32 v72, v74
	v_ashrrev_i32_e32 v71, 31, v71
	s_wait_alu 0xfffd
	v_xor_b32_e32 v70, vcc_lo, v70
	v_cmp_gt_i32_e32 vcc_lo, 0, v74
	v_and_b32_e32 v68, v68, v199
	v_not_b32_e32 v74, v75
	v_ashrrev_i32_e32 v72, 31, v72
	s_wait_alu 0xf1ff
	v_xor_b32_e32 v71, s15, v71
	v_cmp_gt_i32_e64 s15, 0, v75
	v_and_b32_e32 v68, v68, v70
	v_not_b32_e32 v70, v198
	v_ashrrev_i32_e32 v74, 31, v74
	s_wait_alu 0xfffd
	v_xor_b32_e32 v72, vcc_lo, v72
	v_cmp_gt_i32_e32 vcc_lo, 0, v198
	v_and_b32_e32 v68, v68, v71
	v_not_b32_e32 v71, v73
	v_ashrrev_i32_e32 v70, 31, v70
	s_wait_alu 0xf1ff
	v_xor_b32_e32 v74, s15, v74
	v_cmp_gt_i32_e64 s15, 0, v73
	v_and_b32_e32 v68, v68, v72
	v_ashrrev_i32_e32 v71, 31, v71
	s_wait_alu 0xfffd
	v_xor_b32_e32 v70, vcc_lo, v70
	v_mad_u32_u24 v72, v69, 36, v145
	v_mul_u32_u24_e32 v69, 36, v69
	v_and_b32_e32 v68, v68, v74
	s_wait_alu 0xf1ff
	v_xor_b32_e32 v71, s15, v71
	ds_load_b32 v198, v72 offset:1056
	v_add_nc_u32_e32 v200, v145, v69
	v_and_b32_e32 v68, v68, v70
	; wave barrier
	s_delay_alu instid0(VALU_DEP_1) | instskip(NEXT) | instid1(VALU_DEP_1)
	v_and_b32_e32 v68, v68, v71
	v_mbcnt_lo_u32_b32 v199, v68, 0
	v_cmp_ne_u32_e64 s15, 0, v68
	s_delay_alu instid0(VALU_DEP_2)
	v_cmp_eq_u32_e32 vcc_lo, 0, v199
	s_and_b32 s16, s15, vcc_lo
	s_wait_alu 0xfffe
	s_and_saveexec_b32 s15, s16
	s_cbranch_execz .LBB1153_1039
; %bb.1038:                             ;   in Loop: Header=BB1153_979 Depth=2
	s_wait_dscnt 0x0
	v_bcnt_u32_b32 v68, v68, v198
	ds_store_b32 v200, v68 offset:1056
.LBB1153_1039:                          ;   in Loop: Header=BB1153_979 Depth=2
	s_wait_alu 0xfffe
	s_or_b32 exec_lo, exec_lo, s15
	v_cmp_gt_i64_e32 vcc_lo, 0, v[50:51]
	v_ashrrev_i32_e32 v68, 31, v51
	; wave barrier
	s_delay_alu instid0(VALU_DEP_1) | instskip(SKIP_2) | instid1(VALU_DEP_2)
	v_not_b32_e32 v68, v68
	s_wait_alu 0xfffd
	v_cndmask_b32_e64 v69, 0x7fffffff, 0, vcc_lo
	v_xor_b32_e32 v50, v68, v50
	s_delay_alu instid0(VALU_DEP_2) | instskip(NEXT) | instid1(VALU_DEP_1)
	v_xor_b32_e32 v51, v69, v51
	v_cmp_ne_u64_e32 vcc_lo, s[34:35], v[50:51]
	s_wait_alu 0xfffd
	v_cndmask_b32_e32 v69, 0x7fffffff, v51, vcc_lo
	v_cndmask_b32_e32 v68, -1, v50, vcc_lo
	s_delay_alu instid0(VALU_DEP_1) | instskip(NEXT) | instid1(VALU_DEP_1)
	v_lshrrev_b64 v[68:69], s31, v[68:69]
	v_and_b32_e32 v69, s56, v68
	s_delay_alu instid0(VALU_DEP_1)
	v_and_b32_e32 v68, 1, v69
	v_lshlrev_b32_e32 v70, 30, v69
	v_lshlrev_b32_e32 v71, 29, v69
	;; [unrolled: 1-line block ×4, first 2 shown]
	v_add_co_u32 v68, s15, v68, -1
	s_wait_alu 0xf1ff
	v_cndmask_b32_e64 v73, 0, 1, s15
	v_not_b32_e32 v202, v70
	v_cmp_gt_i32_e64 s15, 0, v70
	v_not_b32_e32 v70, v71
	v_lshlrev_b32_e32 v75, 26, v69
	v_cmp_ne_u32_e32 vcc_lo, 0, v73
	v_ashrrev_i32_e32 v202, 31, v202
	v_lshlrev_b32_e32 v201, 25, v69
	v_ashrrev_i32_e32 v70, 31, v70
	v_lshlrev_b32_e32 v73, 24, v69
	s_wait_alu 0xfffd
	v_xor_b32_e32 v68, vcc_lo, v68
	v_cmp_gt_i32_e32 vcc_lo, 0, v71
	v_not_b32_e32 v71, v72
	s_wait_alu 0xf1ff
	v_xor_b32_e32 v202, s15, v202
	v_cmp_gt_i32_e64 s15, 0, v72
	v_and_b32_e32 v68, exec_lo, v68
	v_not_b32_e32 v72, v74
	v_ashrrev_i32_e32 v71, 31, v71
	s_wait_alu 0xfffd
	v_xor_b32_e32 v70, vcc_lo, v70
	v_cmp_gt_i32_e32 vcc_lo, 0, v74
	v_and_b32_e32 v68, v68, v202
	v_not_b32_e32 v74, v75
	v_ashrrev_i32_e32 v72, 31, v72
	s_wait_alu 0xf1ff
	v_xor_b32_e32 v71, s15, v71
	v_cmp_gt_i32_e64 s15, 0, v75
	v_and_b32_e32 v68, v68, v70
	v_not_b32_e32 v70, v201
	v_ashrrev_i32_e32 v74, 31, v74
	s_wait_alu 0xfffd
	v_xor_b32_e32 v72, vcc_lo, v72
	v_cmp_gt_i32_e32 vcc_lo, 0, v201
	v_and_b32_e32 v68, v68, v71
	v_not_b32_e32 v71, v73
	v_ashrrev_i32_e32 v70, 31, v70
	s_wait_alu 0xf1ff
	v_xor_b32_e32 v74, s15, v74
	v_cmp_gt_i32_e64 s15, 0, v73
	v_and_b32_e32 v68, v68, v72
	v_ashrrev_i32_e32 v71, 31, v71
	s_wait_alu 0xfffd
	v_xor_b32_e32 v70, vcc_lo, v70
	v_mad_u32_u24 v72, v69, 36, v145
	v_mul_u32_u24_e32 v69, 36, v69
	v_and_b32_e32 v68, v68, v74
	s_wait_alu 0xf1ff
	v_xor_b32_e32 v71, s15, v71
	ds_load_b32 v201, v72 offset:1056
	v_add_nc_u32_e32 v203, v145, v69
	v_and_b32_e32 v68, v68, v70
	; wave barrier
	s_delay_alu instid0(VALU_DEP_1) | instskip(NEXT) | instid1(VALU_DEP_1)
	v_and_b32_e32 v68, v68, v71
	v_mbcnt_lo_u32_b32 v202, v68, 0
	v_cmp_ne_u32_e64 s15, 0, v68
	s_delay_alu instid0(VALU_DEP_2)
	v_cmp_eq_u32_e32 vcc_lo, 0, v202
	s_and_b32 s16, s15, vcc_lo
	s_wait_alu 0xfffe
	s_and_saveexec_b32 s15, s16
	s_cbranch_execz .LBB1153_1041
; %bb.1040:                             ;   in Loop: Header=BB1153_979 Depth=2
	s_wait_dscnt 0x0
	v_bcnt_u32_b32 v68, v68, v201
	ds_store_b32 v203, v68 offset:1056
.LBB1153_1041:                          ;   in Loop: Header=BB1153_979 Depth=2
	s_wait_alu 0xfffe
	s_or_b32 exec_lo, exec_lo, s15
	v_cmp_gt_i64_e32 vcc_lo, 0, v[46:47]
	v_ashrrev_i32_e32 v68, 31, v47
	; wave barrier
	s_delay_alu instid0(VALU_DEP_1) | instskip(SKIP_2) | instid1(VALU_DEP_2)
	v_not_b32_e32 v68, v68
	s_wait_alu 0xfffd
	v_cndmask_b32_e64 v69, 0x7fffffff, 0, vcc_lo
	v_xor_b32_e32 v46, v68, v46
	s_delay_alu instid0(VALU_DEP_2) | instskip(NEXT) | instid1(VALU_DEP_1)
	v_xor_b32_e32 v47, v69, v47
	v_cmp_ne_u64_e32 vcc_lo, s[34:35], v[46:47]
	s_wait_alu 0xfffd
	v_cndmask_b32_e32 v69, 0x7fffffff, v47, vcc_lo
	v_cndmask_b32_e32 v68, -1, v46, vcc_lo
	s_delay_alu instid0(VALU_DEP_1) | instskip(NEXT) | instid1(VALU_DEP_1)
	v_lshrrev_b64 v[68:69], s31, v[68:69]
	v_and_b32_e32 v69, s56, v68
	s_delay_alu instid0(VALU_DEP_1)
	v_and_b32_e32 v68, 1, v69
	v_lshlrev_b32_e32 v70, 30, v69
	v_lshlrev_b32_e32 v71, 29, v69
	;; [unrolled: 1-line block ×4, first 2 shown]
	v_add_co_u32 v68, s15, v68, -1
	s_wait_alu 0xf1ff
	v_cndmask_b32_e64 v73, 0, 1, s15
	v_not_b32_e32 v205, v70
	v_cmp_gt_i32_e64 s15, 0, v70
	v_not_b32_e32 v70, v71
	v_lshlrev_b32_e32 v75, 26, v69
	v_cmp_ne_u32_e32 vcc_lo, 0, v73
	v_ashrrev_i32_e32 v205, 31, v205
	v_lshlrev_b32_e32 v204, 25, v69
	v_ashrrev_i32_e32 v70, 31, v70
	v_lshlrev_b32_e32 v73, 24, v69
	s_wait_alu 0xfffd
	v_xor_b32_e32 v68, vcc_lo, v68
	v_cmp_gt_i32_e32 vcc_lo, 0, v71
	v_not_b32_e32 v71, v72
	s_wait_alu 0xf1ff
	v_xor_b32_e32 v205, s15, v205
	v_cmp_gt_i32_e64 s15, 0, v72
	v_and_b32_e32 v68, exec_lo, v68
	v_not_b32_e32 v72, v74
	v_ashrrev_i32_e32 v71, 31, v71
	s_wait_alu 0xfffd
	v_xor_b32_e32 v70, vcc_lo, v70
	v_cmp_gt_i32_e32 vcc_lo, 0, v74
	v_and_b32_e32 v68, v68, v205
	v_not_b32_e32 v74, v75
	v_ashrrev_i32_e32 v72, 31, v72
	s_wait_alu 0xf1ff
	v_xor_b32_e32 v71, s15, v71
	v_cmp_gt_i32_e64 s15, 0, v75
	v_and_b32_e32 v68, v68, v70
	v_not_b32_e32 v70, v204
	v_ashrrev_i32_e32 v74, 31, v74
	s_wait_alu 0xfffd
	v_xor_b32_e32 v72, vcc_lo, v72
	v_cmp_gt_i32_e32 vcc_lo, 0, v204
	v_and_b32_e32 v68, v68, v71
	v_not_b32_e32 v71, v73
	v_ashrrev_i32_e32 v70, 31, v70
	s_wait_alu 0xf1ff
	v_xor_b32_e32 v74, s15, v74
	v_cmp_gt_i32_e64 s15, 0, v73
	v_and_b32_e32 v68, v68, v72
	v_ashrrev_i32_e32 v71, 31, v71
	s_wait_alu 0xfffd
	v_xor_b32_e32 v70, vcc_lo, v70
	v_mad_u32_u24 v72, v69, 36, v145
	v_mul_u32_u24_e32 v69, 36, v69
	v_and_b32_e32 v68, v68, v74
	s_wait_alu 0xf1ff
	v_xor_b32_e32 v71, s15, v71
	ds_load_b32 v204, v72 offset:1056
	v_add_nc_u32_e32 v206, v145, v69
	v_and_b32_e32 v68, v68, v70
	; wave barrier
	s_delay_alu instid0(VALU_DEP_1) | instskip(NEXT) | instid1(VALU_DEP_1)
	v_and_b32_e32 v68, v68, v71
	v_mbcnt_lo_u32_b32 v205, v68, 0
	v_cmp_ne_u32_e64 s15, 0, v68
	s_delay_alu instid0(VALU_DEP_2)
	v_cmp_eq_u32_e32 vcc_lo, 0, v205
	s_and_b32 s16, s15, vcc_lo
	s_wait_alu 0xfffe
	s_and_saveexec_b32 s15, s16
	s_cbranch_execz .LBB1153_1043
; %bb.1042:                             ;   in Loop: Header=BB1153_979 Depth=2
	s_wait_dscnt 0x0
	v_bcnt_u32_b32 v68, v68, v204
	ds_store_b32 v206, v68 offset:1056
.LBB1153_1043:                          ;   in Loop: Header=BB1153_979 Depth=2
	s_wait_alu 0xfffe
	s_or_b32 exec_lo, exec_lo, s15
	v_cmp_gt_i64_e32 vcc_lo, 0, v[44:45]
	v_ashrrev_i32_e32 v68, 31, v45
	; wave barrier
	s_delay_alu instid0(VALU_DEP_1) | instskip(SKIP_2) | instid1(VALU_DEP_2)
	v_not_b32_e32 v68, v68
	s_wait_alu 0xfffd
	v_cndmask_b32_e64 v69, 0x7fffffff, 0, vcc_lo
	v_xor_b32_e32 v44, v68, v44
	s_delay_alu instid0(VALU_DEP_2) | instskip(NEXT) | instid1(VALU_DEP_1)
	v_xor_b32_e32 v45, v69, v45
	v_cmp_ne_u64_e32 vcc_lo, s[34:35], v[44:45]
	s_wait_alu 0xfffd
	v_cndmask_b32_e32 v69, 0x7fffffff, v45, vcc_lo
	v_cndmask_b32_e32 v68, -1, v44, vcc_lo
	s_delay_alu instid0(VALU_DEP_1) | instskip(NEXT) | instid1(VALU_DEP_1)
	v_lshrrev_b64 v[68:69], s31, v[68:69]
	v_and_b32_e32 v69, s56, v68
	s_delay_alu instid0(VALU_DEP_1)
	v_and_b32_e32 v68, 1, v69
	v_lshlrev_b32_e32 v70, 30, v69
	v_lshlrev_b32_e32 v71, 29, v69
	;; [unrolled: 1-line block ×4, first 2 shown]
	v_add_co_u32 v68, s15, v68, -1
	s_wait_alu 0xf1ff
	v_cndmask_b32_e64 v73, 0, 1, s15
	v_not_b32_e32 v208, v70
	v_cmp_gt_i32_e64 s15, 0, v70
	v_not_b32_e32 v70, v71
	v_lshlrev_b32_e32 v75, 26, v69
	v_cmp_ne_u32_e32 vcc_lo, 0, v73
	v_ashrrev_i32_e32 v208, 31, v208
	v_lshlrev_b32_e32 v207, 25, v69
	v_ashrrev_i32_e32 v70, 31, v70
	v_lshlrev_b32_e32 v73, 24, v69
	s_wait_alu 0xfffd
	v_xor_b32_e32 v68, vcc_lo, v68
	v_cmp_gt_i32_e32 vcc_lo, 0, v71
	v_not_b32_e32 v71, v72
	s_wait_alu 0xf1ff
	v_xor_b32_e32 v208, s15, v208
	v_cmp_gt_i32_e64 s15, 0, v72
	v_and_b32_e32 v68, exec_lo, v68
	v_not_b32_e32 v72, v74
	v_ashrrev_i32_e32 v71, 31, v71
	s_wait_alu 0xfffd
	v_xor_b32_e32 v70, vcc_lo, v70
	v_cmp_gt_i32_e32 vcc_lo, 0, v74
	v_and_b32_e32 v68, v68, v208
	v_not_b32_e32 v74, v75
	v_ashrrev_i32_e32 v72, 31, v72
	s_wait_alu 0xf1ff
	v_xor_b32_e32 v71, s15, v71
	v_cmp_gt_i32_e64 s15, 0, v75
	v_and_b32_e32 v68, v68, v70
	v_not_b32_e32 v70, v207
	v_ashrrev_i32_e32 v74, 31, v74
	s_wait_alu 0xfffd
	v_xor_b32_e32 v72, vcc_lo, v72
	v_cmp_gt_i32_e32 vcc_lo, 0, v207
	v_and_b32_e32 v68, v68, v71
	v_not_b32_e32 v71, v73
	v_ashrrev_i32_e32 v70, 31, v70
	s_wait_alu 0xf1ff
	v_xor_b32_e32 v74, s15, v74
	v_cmp_gt_i32_e64 s15, 0, v73
	v_and_b32_e32 v68, v68, v72
	v_ashrrev_i32_e32 v71, 31, v71
	s_wait_alu 0xfffd
	v_xor_b32_e32 v70, vcc_lo, v70
	v_mad_u32_u24 v72, v69, 36, v145
	v_mul_u32_u24_e32 v69, 36, v69
	v_and_b32_e32 v68, v68, v74
	s_wait_alu 0xf1ff
	v_xor_b32_e32 v71, s15, v71
	ds_load_b32 v207, v72 offset:1056
	v_add_nc_u32_e32 v209, v145, v69
	v_and_b32_e32 v68, v68, v70
	; wave barrier
	s_delay_alu instid0(VALU_DEP_1) | instskip(NEXT) | instid1(VALU_DEP_1)
	v_and_b32_e32 v68, v68, v71
	v_mbcnt_lo_u32_b32 v208, v68, 0
	v_cmp_ne_u32_e64 s15, 0, v68
	s_delay_alu instid0(VALU_DEP_2)
	v_cmp_eq_u32_e32 vcc_lo, 0, v208
	s_and_b32 s16, s15, vcc_lo
	s_wait_alu 0xfffe
	s_and_saveexec_b32 s15, s16
	s_cbranch_execz .LBB1153_1045
; %bb.1044:                             ;   in Loop: Header=BB1153_979 Depth=2
	s_wait_dscnt 0x0
	v_bcnt_u32_b32 v68, v68, v207
	ds_store_b32 v209, v68 offset:1056
.LBB1153_1045:                          ;   in Loop: Header=BB1153_979 Depth=2
	s_wait_alu 0xfffe
	s_or_b32 exec_lo, exec_lo, s15
	v_cmp_gt_i64_e32 vcc_lo, 0, v[42:43]
	v_ashrrev_i32_e32 v68, 31, v43
	; wave barrier
	s_delay_alu instid0(VALU_DEP_1) | instskip(SKIP_2) | instid1(VALU_DEP_2)
	v_not_b32_e32 v68, v68
	s_wait_alu 0xfffd
	v_cndmask_b32_e64 v69, 0x7fffffff, 0, vcc_lo
	v_xor_b32_e32 v42, v68, v42
	s_delay_alu instid0(VALU_DEP_2) | instskip(NEXT) | instid1(VALU_DEP_1)
	v_xor_b32_e32 v43, v69, v43
	v_cmp_ne_u64_e32 vcc_lo, s[34:35], v[42:43]
	s_wait_alu 0xfffd
	v_cndmask_b32_e32 v69, 0x7fffffff, v43, vcc_lo
	v_cndmask_b32_e32 v68, -1, v42, vcc_lo
	s_delay_alu instid0(VALU_DEP_1) | instskip(NEXT) | instid1(VALU_DEP_1)
	v_lshrrev_b64 v[68:69], s31, v[68:69]
	v_and_b32_e32 v69, s56, v68
	s_delay_alu instid0(VALU_DEP_1)
	v_and_b32_e32 v68, 1, v69
	v_lshlrev_b32_e32 v70, 30, v69
	v_lshlrev_b32_e32 v71, 29, v69
	v_lshlrev_b32_e32 v72, 28, v69
	v_lshlrev_b32_e32 v74, 27, v69
	v_add_co_u32 v68, s15, v68, -1
	s_wait_alu 0xf1ff
	v_cndmask_b32_e64 v73, 0, 1, s15
	v_not_b32_e32 v211, v70
	v_cmp_gt_i32_e64 s15, 0, v70
	v_not_b32_e32 v70, v71
	v_lshlrev_b32_e32 v75, 26, v69
	v_cmp_ne_u32_e32 vcc_lo, 0, v73
	v_ashrrev_i32_e32 v211, 31, v211
	v_lshlrev_b32_e32 v210, 25, v69
	v_ashrrev_i32_e32 v70, 31, v70
	v_lshlrev_b32_e32 v73, 24, v69
	s_wait_alu 0xfffd
	v_xor_b32_e32 v68, vcc_lo, v68
	v_cmp_gt_i32_e32 vcc_lo, 0, v71
	v_not_b32_e32 v71, v72
	s_wait_alu 0xf1ff
	v_xor_b32_e32 v211, s15, v211
	v_cmp_gt_i32_e64 s15, 0, v72
	v_and_b32_e32 v68, exec_lo, v68
	v_not_b32_e32 v72, v74
	v_ashrrev_i32_e32 v71, 31, v71
	s_wait_alu 0xfffd
	v_xor_b32_e32 v70, vcc_lo, v70
	v_cmp_gt_i32_e32 vcc_lo, 0, v74
	v_and_b32_e32 v68, v68, v211
	v_not_b32_e32 v74, v75
	v_ashrrev_i32_e32 v72, 31, v72
	s_wait_alu 0xf1ff
	v_xor_b32_e32 v71, s15, v71
	v_cmp_gt_i32_e64 s15, 0, v75
	v_and_b32_e32 v68, v68, v70
	v_not_b32_e32 v70, v210
	v_ashrrev_i32_e32 v74, 31, v74
	s_wait_alu 0xfffd
	v_xor_b32_e32 v72, vcc_lo, v72
	v_cmp_gt_i32_e32 vcc_lo, 0, v210
	v_and_b32_e32 v68, v68, v71
	v_not_b32_e32 v71, v73
	v_ashrrev_i32_e32 v70, 31, v70
	s_wait_alu 0xf1ff
	v_xor_b32_e32 v74, s15, v74
	v_cmp_gt_i32_e64 s15, 0, v73
	v_and_b32_e32 v68, v68, v72
	v_ashrrev_i32_e32 v71, 31, v71
	s_wait_alu 0xfffd
	v_xor_b32_e32 v70, vcc_lo, v70
	v_mad_u32_u24 v72, v69, 36, v145
	v_mul_u32_u24_e32 v69, 36, v69
	v_and_b32_e32 v68, v68, v74
	s_wait_alu 0xf1ff
	v_xor_b32_e32 v71, s15, v71
	ds_load_b32 v210, v72 offset:1056
	v_add_nc_u32_e32 v212, v145, v69
	v_and_b32_e32 v68, v68, v70
	; wave barrier
	s_delay_alu instid0(VALU_DEP_1) | instskip(NEXT) | instid1(VALU_DEP_1)
	v_and_b32_e32 v68, v68, v71
	v_mbcnt_lo_u32_b32 v211, v68, 0
	v_cmp_ne_u32_e64 s15, 0, v68
	s_delay_alu instid0(VALU_DEP_2)
	v_cmp_eq_u32_e32 vcc_lo, 0, v211
	s_and_b32 s16, s15, vcc_lo
	s_wait_alu 0xfffe
	s_and_saveexec_b32 s15, s16
	s_cbranch_execz .LBB1153_1047
; %bb.1046:                             ;   in Loop: Header=BB1153_979 Depth=2
	s_wait_dscnt 0x0
	v_bcnt_u32_b32 v68, v68, v210
	ds_store_b32 v212, v68 offset:1056
.LBB1153_1047:                          ;   in Loop: Header=BB1153_979 Depth=2
	s_wait_alu 0xfffe
	s_or_b32 exec_lo, exec_lo, s15
	; wave barrier
	s_wait_loadcnt_dscnt 0x0
	s_barrier_signal -1
	s_barrier_wait -1
	global_inv scope:SCOPE_SE
	ds_load_2addr_b32 v[74:75], v164 offset1:1
	ds_load_2addr_b32 v[72:73], v165 offset1:1
	;; [unrolled: 1-line block ×4, first 2 shown]
	ds_load_b32 v213, v101 offset:1088
	s_wait_dscnt 0x3
	v_add3_u32 v214, v75, v74, v72
	s_wait_dscnt 0x2
	s_delay_alu instid0(VALU_DEP_1) | instskip(SKIP_1) | instid1(VALU_DEP_1)
	v_add3_u32 v214, v214, v73, v70
	s_wait_dscnt 0x1
	v_add3_u32 v214, v214, v71, v68
	s_wait_dscnt 0x0
	s_delay_alu instid0(VALU_DEP_1) | instskip(NEXT) | instid1(VALU_DEP_1)
	v_add3_u32 v213, v214, v69, v213
	v_mov_b32_dpp v214, v213 row_shr:1 row_mask:0xf bank_mask:0xf
	s_delay_alu instid0(VALU_DEP_1) | instskip(NEXT) | instid1(VALU_DEP_1)
	v_cndmask_b32_e64 v214, v214, 0, s6
	v_add_nc_u32_e32 v213, v214, v213
	s_delay_alu instid0(VALU_DEP_1) | instskip(NEXT) | instid1(VALU_DEP_1)
	v_mov_b32_dpp v214, v213 row_shr:2 row_mask:0xf bank_mask:0xf
	v_cndmask_b32_e64 v214, 0, v214, s7
	s_delay_alu instid0(VALU_DEP_1) | instskip(NEXT) | instid1(VALU_DEP_1)
	v_add_nc_u32_e32 v213, v213, v214
	v_mov_b32_dpp v214, v213 row_shr:4 row_mask:0xf bank_mask:0xf
	s_delay_alu instid0(VALU_DEP_1) | instskip(NEXT) | instid1(VALU_DEP_1)
	v_cndmask_b32_e64 v214, 0, v214, s8
	v_add_nc_u32_e32 v213, v213, v214
	s_delay_alu instid0(VALU_DEP_1) | instskip(NEXT) | instid1(VALU_DEP_1)
	v_mov_b32_dpp v214, v213 row_shr:8 row_mask:0xf bank_mask:0xf
	v_cndmask_b32_e64 v214, 0, v214, s9
	s_delay_alu instid0(VALU_DEP_1) | instskip(SKIP_3) | instid1(VALU_DEP_1)
	v_add_nc_u32_e32 v213, v213, v214
	ds_swizzle_b32 v214, v213 offset:swizzle(BROADCAST,32,15)
	s_wait_dscnt 0x0
	v_cndmask_b32_e64 v214, v214, 0, s10
	v_add_nc_u32_e32 v213, v213, v214
	s_and_saveexec_b32 s15, s3
; %bb.1048:                             ;   in Loop: Header=BB1153_979 Depth=2
	ds_store_b32 v95, v213 offset:1024
; %bb.1049:                             ;   in Loop: Header=BB1153_979 Depth=2
	s_wait_alu 0xfffe
	s_or_b32 exec_lo, exec_lo, s15
	s_wait_loadcnt_dscnt 0x0
	s_barrier_signal -1
	s_barrier_wait -1
	global_inv scope:SCOPE_SE
	s_and_saveexec_b32 s15, s4
	s_cbranch_execz .LBB1153_1051
; %bb.1050:                             ;   in Loop: Header=BB1153_979 Depth=2
	ds_load_b32 v214, v103 offset:1024
	s_wait_dscnt 0x0
	v_mov_b32_dpp v215, v214 row_shr:1 row_mask:0xf bank_mask:0xf
	s_delay_alu instid0(VALU_DEP_1) | instskip(NEXT) | instid1(VALU_DEP_1)
	v_cndmask_b32_e64 v215, v215, 0, s12
	v_add_nc_u32_e32 v214, v215, v214
	s_delay_alu instid0(VALU_DEP_1) | instskip(NEXT) | instid1(VALU_DEP_1)
	v_mov_b32_dpp v215, v214 row_shr:2 row_mask:0xf bank_mask:0xf
	v_cndmask_b32_e64 v215, 0, v215, s13
	s_delay_alu instid0(VALU_DEP_1) | instskip(NEXT) | instid1(VALU_DEP_1)
	v_add_nc_u32_e32 v214, v214, v215
	v_mov_b32_dpp v215, v214 row_shr:4 row_mask:0xf bank_mask:0xf
	s_delay_alu instid0(VALU_DEP_1) | instskip(NEXT) | instid1(VALU_DEP_1)
	v_cndmask_b32_e64 v215, 0, v215, s14
	v_add_nc_u32_e32 v214, v214, v215
	ds_store_b32 v103, v214 offset:1024
.LBB1153_1051:                          ;   in Loop: Header=BB1153_979 Depth=2
	s_wait_alu 0xfffe
	s_or_b32 exec_lo, exec_lo, s15
	v_mov_b32_e32 v214, 0
	s_wait_loadcnt_dscnt 0x0
	s_barrier_signal -1
	s_barrier_wait -1
	global_inv scope:SCOPE_SE
	s_and_saveexec_b32 s15, s5
; %bb.1052:                             ;   in Loop: Header=BB1153_979 Depth=2
	ds_load_b32 v214, v95 offset:1020
; %bb.1053:                             ;   in Loop: Header=BB1153_979 Depth=2
	s_wait_alu 0xfffe
	s_or_b32 exec_lo, exec_lo, s15
	s_wait_dscnt 0x0
	v_add_nc_u32_e32 v213, v214, v213
	ds_bpermute_b32 v213, v124, v213
	s_wait_dscnt 0x0
	v_cndmask_b32_e64 v213, v213, v214, s11
	s_delay_alu instid0(VALU_DEP_1) | instskip(NEXT) | instid1(VALU_DEP_1)
	v_cndmask_b32_e64 v213, v213, 0, s0
	v_add_nc_u32_e32 v74, v213, v74
	s_delay_alu instid0(VALU_DEP_1) | instskip(NEXT) | instid1(VALU_DEP_1)
	v_add_nc_u32_e32 v75, v74, v75
	v_add_nc_u32_e32 v72, v75, v72
	s_delay_alu instid0(VALU_DEP_1) | instskip(NEXT) | instid1(VALU_DEP_1)
	v_add_nc_u32_e32 v73, v72, v73
	v_add_nc_u32_e32 v70, v73, v70
	s_delay_alu instid0(VALU_DEP_1) | instskip(NEXT) | instid1(VALU_DEP_1)
	v_add_nc_u32_e32 v71, v70, v71
	v_add_nc_u32_e32 v68, v71, v68
	s_delay_alu instid0(VALU_DEP_1)
	v_add_nc_u32_e32 v69, v68, v69
	ds_store_2addr_b32 v163, v71, v68 offset1:1
	ds_store_2addr_b32 v164, v213, v74 offset1:1
	;; [unrolled: 1-line block ×4, first 2 shown]
	ds_store_b32 v101, v69 offset:1088
	s_wait_loadcnt_dscnt 0x0
	s_barrier_signal -1
	s_barrier_wait -1
	global_inv scope:SCOPE_SE
	ds_load_b32 v69, v167 offset:1056
	ds_load_b32 v74, v170 offset:1056
	;; [unrolled: 1-line block ×17, first 2 shown]
	v_mov_b32_e32 v68, 0x1000
	s_and_saveexec_b32 s15, s1
; %bb.1054:                             ;   in Loop: Header=BB1153_979 Depth=2
	ds_load_b32 v68, v101 offset:1092
; %bb.1055:                             ;   in Loop: Header=BB1153_979 Depth=2
	s_wait_alu 0xfffe
	s_or_b32 exec_lo, exec_lo, s15
	s_wait_loadcnt_dscnt 0x0
	s_barrier_signal -1
	s_barrier_wait -1
	global_inv scope:SCOPE_SE
	s_and_saveexec_b32 s15, s2
	s_cbranch_execz .LBB1153_1057
; %bb.1056:                             ;   in Loop: Header=BB1153_979 Depth=2
	ds_load_b32 v185, v76
	s_wait_dscnt 0x0
	v_sub_nc_u32_e32 v182, v185, v182
	ds_store_b32 v76, v182
.LBB1153_1057:                          ;   in Loop: Header=BB1153_979 Depth=2
	s_wait_alu 0xfffe
	s_or_b32 exec_lo, exec_lo, s15
	v_lshlrev_b32_e32 v2, 3, v2
	v_lshlrev_b32_e32 v169, 3, v169
	;; [unrolled: 1-line block ×5, first 2 shown]
	v_lshl_add_u32 v69, v69, 3, v2
	v_lshlrev_b32_e32 v2, 3, v171
	v_lshlrev_b32_e32 v73, 3, v73
	v_lshlrev_b32_e32 v171, 3, v175
	v_lshlrev_b32_e32 v174, 3, v174
	ds_store_b64 v69, v[36:37] offset:1024
	v_lshlrev_b32_e32 v36, 3, v72
	v_lshlrev_b32_e32 v37, 3, v178
	;; [unrolled: 1-line block ×7, first 2 shown]
	v_add3_u32 v70, v169, v168, v74
	v_add3_u32 v71, v172, v2, v73
	;; [unrolled: 1-line block ×5, first 2 shown]
	v_lshlrev_b32_e32 v2, 3, v184
	v_lshlrev_b32_e32 v36, 3, v183
	;; [unrolled: 1-line block ×3, first 2 shown]
	ds_store_b64 v70, v[38:39] offset:1024
	ds_store_b64 v71, v[40:41] offset:1024
	;; [unrolled: 1-line block ×5, first 2 shown]
	v_lshlrev_b32_e32 v39, 3, v187
	v_lshlrev_b32_e32 v40, 3, v186
	;; [unrolled: 1-line block ×12, first 2 shown]
	v_add3_u32 v38, v2, v36, v37
	v_add3_u32 v39, v39, v40, v41
	;; [unrolled: 1-line block ×5, first 2 shown]
	ds_store_b64 v38, v[60:61] offset:1024
	ds_store_b64 v39, v[64:65] offset:1024
	;; [unrolled: 1-line block ×5, first 2 shown]
	v_lshlrev_b32_e32 v2, 3, v199
	v_lshlrev_b32_e32 v36, 3, v198
	;; [unrolled: 1-line block ×15, first 2 shown]
	v_add3_u32 v49, v2, v36, v37
	v_add3_u32 v52, v52, v53, v56
	;; [unrolled: 1-line block ×5, first 2 shown]
	v_cmp_lt_u32_e32 vcc_lo, v1, v162
	ds_store_b64 v49, v[54:55] offset:1024
	ds_store_b64 v52, v[50:51] offset:1024
	;; [unrolled: 1-line block ×5, first 2 shown]
	s_wait_loadcnt_dscnt 0x0
	s_barrier_signal -1
	s_barrier_wait -1
	global_inv scope:SCOPE_SE
	s_and_saveexec_b32 s16, vcc_lo
	s_cbranch_execnz .LBB1153_1126
; %bb.1058:                             ;   in Loop: Header=BB1153_979 Depth=2
	s_wait_alu 0xfffe
	s_or_b32 exec_lo, exec_lo, s16
	v_cmp_lt_u32_e64 s15, v77, v162
	s_and_saveexec_b32 s17, s15
	s_cbranch_execnz .LBB1153_1127
.LBB1153_1059:                          ;   in Loop: Header=BB1153_979 Depth=2
	s_wait_alu 0xfffe
	s_or_b32 exec_lo, exec_lo, s17
	v_cmp_lt_u32_e64 s16, v78, v162
	s_and_saveexec_b32 s18, s16
	s_cbranch_execnz .LBB1153_1128
.LBB1153_1060:                          ;   in Loop: Header=BB1153_979 Depth=2
	s_wait_alu 0xfffe
	s_or_b32 exec_lo, exec_lo, s18
	v_cmp_lt_u32_e64 s17, v79, v162
	s_and_saveexec_b32 s19, s17
	s_cbranch_execnz .LBB1153_1129
.LBB1153_1061:                          ;   in Loop: Header=BB1153_979 Depth=2
	s_wait_alu 0xfffe
	s_or_b32 exec_lo, exec_lo, s19
	v_cmp_lt_u32_e64 s18, v82, v162
	s_and_saveexec_b32 s20, s18
	s_cbranch_execnz .LBB1153_1130
.LBB1153_1062:                          ;   in Loop: Header=BB1153_979 Depth=2
	s_wait_alu 0xfffe
	s_or_b32 exec_lo, exec_lo, s20
	v_cmp_lt_u32_e64 s19, v83, v162
	s_and_saveexec_b32 s21, s19
	s_cbranch_execnz .LBB1153_1131
.LBB1153_1063:                          ;   in Loop: Header=BB1153_979 Depth=2
	s_wait_alu 0xfffe
	s_or_b32 exec_lo, exec_lo, s21
	v_cmp_lt_u32_e64 s20, v84, v162
	s_and_saveexec_b32 s22, s20
	s_cbranch_execnz .LBB1153_1132
.LBB1153_1064:                          ;   in Loop: Header=BB1153_979 Depth=2
	s_wait_alu 0xfffe
	s_or_b32 exec_lo, exec_lo, s22
	v_cmp_lt_u32_e64 s21, v85, v162
	s_and_saveexec_b32 s23, s21
	s_cbranch_execnz .LBB1153_1133
.LBB1153_1065:                          ;   in Loop: Header=BB1153_979 Depth=2
	s_wait_alu 0xfffe
	s_or_b32 exec_lo, exec_lo, s23
	v_cmp_lt_u32_e64 s22, v86, v162
	s_and_saveexec_b32 s24, s22
	s_cbranch_execnz .LBB1153_1134
.LBB1153_1066:                          ;   in Loop: Header=BB1153_979 Depth=2
	s_wait_alu 0xfffe
	s_or_b32 exec_lo, exec_lo, s24
	v_cmp_lt_u32_e64 s23, v87, v162
	s_and_saveexec_b32 s25, s23
	s_cbranch_execnz .LBB1153_1135
.LBB1153_1067:                          ;   in Loop: Header=BB1153_979 Depth=2
	s_wait_alu 0xfffe
	s_or_b32 exec_lo, exec_lo, s25
	v_cmp_lt_u32_e64 s24, v88, v162
	s_and_saveexec_b32 s26, s24
	s_cbranch_execnz .LBB1153_1136
.LBB1153_1068:                          ;   in Loop: Header=BB1153_979 Depth=2
	s_wait_alu 0xfffe
	s_or_b32 exec_lo, exec_lo, s26
	v_cmp_lt_u32_e64 s25, v89, v162
	s_and_saveexec_b32 s27, s25
	s_cbranch_execnz .LBB1153_1137
.LBB1153_1069:                          ;   in Loop: Header=BB1153_979 Depth=2
	s_wait_alu 0xfffe
	s_or_b32 exec_lo, exec_lo, s27
	v_cmp_lt_u32_e64 s26, v90, v162
	s_and_saveexec_b32 s28, s26
	s_cbranch_execnz .LBB1153_1138
.LBB1153_1070:                          ;   in Loop: Header=BB1153_979 Depth=2
	s_wait_alu 0xfffe
	s_or_b32 exec_lo, exec_lo, s28
	v_cmp_lt_u32_e64 s27, v91, v162
	s_and_saveexec_b32 s29, s27
	s_cbranch_execnz .LBB1153_1139
.LBB1153_1071:                          ;   in Loop: Header=BB1153_979 Depth=2
	s_wait_alu 0xfffe
	s_or_b32 exec_lo, exec_lo, s29
	v_cmp_lt_u32_e64 s28, v92, v162
	s_and_saveexec_b32 s30, s28
	s_cbranch_execnz .LBB1153_1140
.LBB1153_1072:                          ;   in Loop: Header=BB1153_979 Depth=2
	s_wait_alu 0xfffe
	s_or_b32 exec_lo, exec_lo, s30
	v_cmp_lt_u32_e64 s29, v93, v162
	s_and_saveexec_b32 s43, s29
	s_cbranch_execz .LBB1153_1074
.LBB1153_1073:                          ;   in Loop: Header=BB1153_979 Depth=2
	ds_load_b64 v[36:37], v108 offset:31744
	s_wait_dscnt 0x0
	v_cmp_ne_u64_e64 s30, s[34:35], v[36:37]
	s_wait_alu 0xf1ff
	s_delay_alu instid0(VALU_DEP_1) | instskip(SKIP_2) | instid1(VALU_DEP_2)
	v_cndmask_b32_e64 v43, 0x7fffffff, v37, s30
	v_cndmask_b32_e64 v42, -1, v36, s30
	v_cmp_gt_i64_e64 s30, 0, v[36:37]
	v_lshrrev_b64 v[42:43], s31, v[42:43]
	s_wait_alu 0xf1ff
	s_delay_alu instid0(VALU_DEP_2) | instskip(NEXT) | instid1(VALU_DEP_2)
	v_cndmask_b32_e64 v44, 0x7fffffff, 0, s30
	v_and_b32_e32 v2, s56, v42
	v_ashrrev_i32_e32 v42, 31, v37
	s_delay_alu instid0(VALU_DEP_3) | instskip(NEXT) | instid1(VALU_DEP_3)
	v_xor_b32_e32 v37, v44, v37
	v_lshlrev_b32_e32 v2, 2, v2
	s_delay_alu instid0(VALU_DEP_3) | instskip(SKIP_4) | instid1(VALU_DEP_1)
	v_not_b32_e32 v45, v42
	ds_load_b32 v2, v2
	v_xor_b32_e32 v36, v45, v36
	s_wait_dscnt 0x0
	v_add_nc_u32_e32 v2, v2, v93
	v_lshlrev_b64_e32 v[42:43], 3, v[2:3]
	s_delay_alu instid0(VALU_DEP_1) | instskip(SKIP_1) | instid1(VALU_DEP_2)
	v_add_co_u32 v42, s30, s40, v42
	s_wait_alu 0xf1ff
	v_add_co_ci_u32_e64 v43, null, s41, v43, s30
	global_store_b64 v[42:43], v[36:37], off
.LBB1153_1074:                          ;   in Loop: Header=BB1153_979 Depth=2
	s_wait_alu 0xfffe
	s_or_b32 exec_lo, exec_lo, s43
	s_mov_b32 s43, s34
	s_wait_alu 0xfffe
	s_lshl_b64 s[42:43], s[42:43], 3
	s_wait_alu 0xfffe
	v_add_co_u32 v36, s30, v126, s42
	s_wait_alu 0xf1ff
	v_add_co_ci_u32_e64 v37, null, s43, v127, s30
	v_cmp_lt_u32_e64 s30, v125, v162
	s_and_saveexec_b32 s42, s30
	s_wait_alu 0xfffe
	s_xor_b32 s30, exec_lo, s42
	s_cbranch_execnz .LBB1153_1141
; %bb.1075:                             ;   in Loop: Header=BB1153_979 Depth=2
	s_wait_alu 0xfffe
	s_or_b32 exec_lo, exec_lo, s30
	s_delay_alu instid0(SALU_CYCLE_1)
	s_mov_b32 s42, exec_lo
	v_cmpx_lt_u32_e64 v128, v162
	s_cbranch_execnz .LBB1153_1142
.LBB1153_1076:                          ;   in Loop: Header=BB1153_979 Depth=2
	s_wait_alu 0xfffe
	s_or_b32 exec_lo, exec_lo, s42
	s_delay_alu instid0(SALU_CYCLE_1)
	s_mov_b32 s42, exec_lo
	v_cmpx_lt_u32_e64 v129, v162
	s_cbranch_execnz .LBB1153_1143
.LBB1153_1077:                          ;   in Loop: Header=BB1153_979 Depth=2
	s_wait_alu 0xfffe
	s_or_b32 exec_lo, exec_lo, s42
	s_delay_alu instid0(SALU_CYCLE_1)
	s_mov_b32 s42, exec_lo
	v_cmpx_lt_u32_e64 v130, v162
	s_cbranch_execnz .LBB1153_1144
.LBB1153_1078:                          ;   in Loop: Header=BB1153_979 Depth=2
	s_wait_alu 0xfffe
	s_or_b32 exec_lo, exec_lo, s42
	s_delay_alu instid0(SALU_CYCLE_1)
	s_mov_b32 s42, exec_lo
	v_cmpx_lt_u32_e64 v131, v162
	s_cbranch_execnz .LBB1153_1145
.LBB1153_1079:                          ;   in Loop: Header=BB1153_979 Depth=2
	s_wait_alu 0xfffe
	s_or_b32 exec_lo, exec_lo, s42
	s_delay_alu instid0(SALU_CYCLE_1)
	s_mov_b32 s42, exec_lo
	v_cmpx_lt_u32_e64 v132, v162
	s_cbranch_execnz .LBB1153_1146
.LBB1153_1080:                          ;   in Loop: Header=BB1153_979 Depth=2
	s_wait_alu 0xfffe
	s_or_b32 exec_lo, exec_lo, s42
	s_delay_alu instid0(SALU_CYCLE_1)
	s_mov_b32 s42, exec_lo
	v_cmpx_lt_u32_e64 v133, v162
	s_cbranch_execnz .LBB1153_1147
.LBB1153_1081:                          ;   in Loop: Header=BB1153_979 Depth=2
	s_wait_alu 0xfffe
	s_or_b32 exec_lo, exec_lo, s42
	s_delay_alu instid0(SALU_CYCLE_1)
	s_mov_b32 s42, exec_lo
	v_cmpx_lt_u32_e64 v134, v162
	s_cbranch_execnz .LBB1153_1148
.LBB1153_1082:                          ;   in Loop: Header=BB1153_979 Depth=2
	s_wait_alu 0xfffe
	s_or_b32 exec_lo, exec_lo, s42
	s_delay_alu instid0(SALU_CYCLE_1)
	s_mov_b32 s42, exec_lo
	v_cmpx_lt_u32_e64 v135, v162
	s_cbranch_execnz .LBB1153_1149
.LBB1153_1083:                          ;   in Loop: Header=BB1153_979 Depth=2
	s_wait_alu 0xfffe
	s_or_b32 exec_lo, exec_lo, s42
	s_delay_alu instid0(SALU_CYCLE_1)
	s_mov_b32 s42, exec_lo
	v_cmpx_lt_u32_e64 v136, v162
	s_cbranch_execnz .LBB1153_1150
.LBB1153_1084:                          ;   in Loop: Header=BB1153_979 Depth=2
	s_wait_alu 0xfffe
	s_or_b32 exec_lo, exec_lo, s42
	s_delay_alu instid0(SALU_CYCLE_1)
	s_mov_b32 s42, exec_lo
	v_cmpx_lt_u32_e64 v137, v162
	s_cbranch_execnz .LBB1153_1151
.LBB1153_1085:                          ;   in Loop: Header=BB1153_979 Depth=2
	s_wait_alu 0xfffe
	s_or_b32 exec_lo, exec_lo, s42
	s_delay_alu instid0(SALU_CYCLE_1)
	s_mov_b32 s42, exec_lo
	v_cmpx_lt_u32_e64 v138, v162
	s_cbranch_execnz .LBB1153_1152
.LBB1153_1086:                          ;   in Loop: Header=BB1153_979 Depth=2
	s_wait_alu 0xfffe
	s_or_b32 exec_lo, exec_lo, s42
	s_delay_alu instid0(SALU_CYCLE_1)
	s_mov_b32 s42, exec_lo
	v_cmpx_lt_u32_e64 v139, v162
	s_cbranch_execnz .LBB1153_1153
.LBB1153_1087:                          ;   in Loop: Header=BB1153_979 Depth=2
	s_wait_alu 0xfffe
	s_or_b32 exec_lo, exec_lo, s42
	s_delay_alu instid0(SALU_CYCLE_1)
	s_mov_b32 s42, exec_lo
	v_cmpx_lt_u32_e64 v140, v162
	s_cbranch_execnz .LBB1153_1154
.LBB1153_1088:                          ;   in Loop: Header=BB1153_979 Depth=2
	s_wait_alu 0xfffe
	s_or_b32 exec_lo, exec_lo, s42
	s_delay_alu instid0(SALU_CYCLE_1)
	s_mov_b32 s42, exec_lo
	v_cmpx_lt_u32_e64 v141, v162
	s_cbranch_execnz .LBB1153_1155
.LBB1153_1089:                          ;   in Loop: Header=BB1153_979 Depth=2
	s_wait_alu 0xfffe
	s_or_b32 exec_lo, exec_lo, s42
	s_delay_alu instid0(SALU_CYCLE_1)
	s_mov_b32 s42, exec_lo
	v_cmpx_lt_u32_e64 v142, v162
	s_cbranch_execnz .LBB1153_1156
.LBB1153_1090:                          ;   in Loop: Header=BB1153_979 Depth=2
	s_wait_alu 0xfffe
	s_or_b32 exec_lo, exec_lo, s42
	s_and_saveexec_b32 s42, vcc_lo
	s_cbranch_execnz .LBB1153_1157
.LBB1153_1091:                          ;   in Loop: Header=BB1153_979 Depth=2
	s_wait_alu 0xfffe
	s_or_b32 exec_lo, exec_lo, s42
	s_and_saveexec_b32 s42, s15
	s_cbranch_execnz .LBB1153_1158
.LBB1153_1092:                          ;   in Loop: Header=BB1153_979 Depth=2
	s_wait_alu 0xfffe
	s_or_b32 exec_lo, exec_lo, s42
	s_and_saveexec_b32 s42, s16
	s_cbranch_execnz .LBB1153_1159
.LBB1153_1093:                          ;   in Loop: Header=BB1153_979 Depth=2
	s_wait_alu 0xfffe
	s_or_b32 exec_lo, exec_lo, s42
	s_and_saveexec_b32 s42, s17
	s_cbranch_execnz .LBB1153_1160
.LBB1153_1094:                          ;   in Loop: Header=BB1153_979 Depth=2
	s_wait_alu 0xfffe
	s_or_b32 exec_lo, exec_lo, s42
	s_and_saveexec_b32 s42, s18
	s_cbranch_execnz .LBB1153_1161
.LBB1153_1095:                          ;   in Loop: Header=BB1153_979 Depth=2
	s_wait_alu 0xfffe
	s_or_b32 exec_lo, exec_lo, s42
	s_and_saveexec_b32 s42, s19
	s_cbranch_execnz .LBB1153_1162
.LBB1153_1096:                          ;   in Loop: Header=BB1153_979 Depth=2
	s_wait_alu 0xfffe
	s_or_b32 exec_lo, exec_lo, s42
	s_and_saveexec_b32 s42, s20
	s_cbranch_execnz .LBB1153_1163
.LBB1153_1097:                          ;   in Loop: Header=BB1153_979 Depth=2
	s_wait_alu 0xfffe
	s_or_b32 exec_lo, exec_lo, s42
	s_and_saveexec_b32 s42, s21
	s_cbranch_execnz .LBB1153_1164
.LBB1153_1098:                          ;   in Loop: Header=BB1153_979 Depth=2
	s_wait_alu 0xfffe
	s_or_b32 exec_lo, exec_lo, s42
	s_and_saveexec_b32 s42, s22
	s_cbranch_execnz .LBB1153_1165
.LBB1153_1099:                          ;   in Loop: Header=BB1153_979 Depth=2
	s_wait_alu 0xfffe
	s_or_b32 exec_lo, exec_lo, s42
	s_and_saveexec_b32 s42, s23
	s_cbranch_execnz .LBB1153_1166
.LBB1153_1100:                          ;   in Loop: Header=BB1153_979 Depth=2
	s_wait_alu 0xfffe
	s_or_b32 exec_lo, exec_lo, s42
	s_and_saveexec_b32 s42, s24
	s_cbranch_execnz .LBB1153_1167
.LBB1153_1101:                          ;   in Loop: Header=BB1153_979 Depth=2
	s_wait_alu 0xfffe
	s_or_b32 exec_lo, exec_lo, s42
	s_and_saveexec_b32 s42, s25
	s_cbranch_execnz .LBB1153_1168
.LBB1153_1102:                          ;   in Loop: Header=BB1153_979 Depth=2
	s_wait_alu 0xfffe
	s_or_b32 exec_lo, exec_lo, s42
	s_and_saveexec_b32 s42, s26
	s_cbranch_execnz .LBB1153_1169
.LBB1153_1103:                          ;   in Loop: Header=BB1153_979 Depth=2
	s_wait_alu 0xfffe
	s_or_b32 exec_lo, exec_lo, s42
	s_and_saveexec_b32 s42, s27
	s_cbranch_execnz .LBB1153_1170
.LBB1153_1104:                          ;   in Loop: Header=BB1153_979 Depth=2
	s_wait_alu 0xfffe
	s_or_b32 exec_lo, exec_lo, s42
	s_and_saveexec_b32 s42, s28
	s_cbranch_execnz .LBB1153_1171
.LBB1153_1105:                          ;   in Loop: Header=BB1153_979 Depth=2
	s_wait_alu 0xfffe
	s_or_b32 exec_lo, exec_lo, s42
	s_and_saveexec_b32 s42, s29
	s_cbranch_execz .LBB1153_1107
.LBB1153_1106:                          ;   in Loop: Header=BB1153_979 Depth=2
	ds_load_b64 v[36:37], v108 offset:31744
	s_wait_dscnt 0x0
	v_cmp_ne_u64_e64 s30, s[34:35], v[36:37]
	s_wait_alu 0xf1ff
	s_delay_alu instid0(VALU_DEP_1) | instskip(SKIP_1) | instid1(VALU_DEP_1)
	v_cndmask_b32_e64 v37, 0x7fffffff, v37, s30
	v_cndmask_b32_e64 v36, -1, v36, s30
	v_lshrrev_b64 v[36:37], s31, v[36:37]
	s_delay_alu instid0(VALU_DEP_1)
	v_and_b32_e32 v146, s56, v36
.LBB1153_1107:                          ;   in Loop: Header=BB1153_979 Depth=2
	s_wait_alu 0xfffe
	s_or_b32 exec_lo, exec_lo, s42
	s_wait_loadcnt 0x0
	s_wait_storecnt 0x0
	s_barrier_signal -1
	s_barrier_wait -1
	global_inv scope:SCOPE_SE
	ds_store_b64 v69, v[34:35] offset:1024
	ds_store_b64 v70, v[32:33] offset:1024
	;; [unrolled: 1-line block ×16, first 2 shown]
	s_wait_loadcnt_dscnt 0x0
	s_barrier_signal -1
	s_barrier_wait -1
	global_inv scope:SCOPE_SE
	s_and_saveexec_b32 s30, vcc_lo
	s_cbranch_execnz .LBB1153_1172
; %bb.1108:                             ;   in Loop: Header=BB1153_979 Depth=2
	s_wait_alu 0xfffe
	s_or_b32 exec_lo, exec_lo, s30
	s_and_saveexec_b32 s30, s15
	s_cbranch_execnz .LBB1153_1173
.LBB1153_1109:                          ;   in Loop: Header=BB1153_979 Depth=2
	s_wait_alu 0xfffe
	s_or_b32 exec_lo, exec_lo, s30
	s_and_saveexec_b32 s15, s16
	s_cbranch_execnz .LBB1153_1174
.LBB1153_1110:                          ;   in Loop: Header=BB1153_979 Depth=2
	s_wait_alu 0xfffe
	s_or_b32 exec_lo, exec_lo, s15
	s_and_saveexec_b32 s15, s17
	s_cbranch_execnz .LBB1153_1175
.LBB1153_1111:                          ;   in Loop: Header=BB1153_979 Depth=2
	s_wait_alu 0xfffe
	s_or_b32 exec_lo, exec_lo, s15
	s_and_saveexec_b32 s15, s18
	s_cbranch_execnz .LBB1153_1176
.LBB1153_1112:                          ;   in Loop: Header=BB1153_979 Depth=2
	s_wait_alu 0xfffe
	s_or_b32 exec_lo, exec_lo, s15
	s_and_saveexec_b32 s15, s19
	s_cbranch_execnz .LBB1153_1177
.LBB1153_1113:                          ;   in Loop: Header=BB1153_979 Depth=2
	s_wait_alu 0xfffe
	s_or_b32 exec_lo, exec_lo, s15
	s_and_saveexec_b32 s15, s20
	s_cbranch_execnz .LBB1153_1178
.LBB1153_1114:                          ;   in Loop: Header=BB1153_979 Depth=2
	s_wait_alu 0xfffe
	s_or_b32 exec_lo, exec_lo, s15
	s_and_saveexec_b32 s15, s21
	s_cbranch_execnz .LBB1153_1179
.LBB1153_1115:                          ;   in Loop: Header=BB1153_979 Depth=2
	s_wait_alu 0xfffe
	s_or_b32 exec_lo, exec_lo, s15
	s_and_saveexec_b32 s15, s22
	s_cbranch_execnz .LBB1153_1180
.LBB1153_1116:                          ;   in Loop: Header=BB1153_979 Depth=2
	s_wait_alu 0xfffe
	s_or_b32 exec_lo, exec_lo, s15
	s_and_saveexec_b32 s15, s23
	s_cbranch_execnz .LBB1153_1181
.LBB1153_1117:                          ;   in Loop: Header=BB1153_979 Depth=2
	s_wait_alu 0xfffe
	s_or_b32 exec_lo, exec_lo, s15
	s_and_saveexec_b32 s15, s24
	s_cbranch_execnz .LBB1153_1182
.LBB1153_1118:                          ;   in Loop: Header=BB1153_979 Depth=2
	s_wait_alu 0xfffe
	s_or_b32 exec_lo, exec_lo, s15
	s_and_saveexec_b32 s15, s25
	s_cbranch_execnz .LBB1153_1183
.LBB1153_1119:                          ;   in Loop: Header=BB1153_979 Depth=2
	s_wait_alu 0xfffe
	s_or_b32 exec_lo, exec_lo, s15
	s_and_saveexec_b32 s15, s26
	s_cbranch_execnz .LBB1153_1184
.LBB1153_1120:                          ;   in Loop: Header=BB1153_979 Depth=2
	s_wait_alu 0xfffe
	s_or_b32 exec_lo, exec_lo, s15
	s_and_saveexec_b32 s15, s27
	s_cbranch_execnz .LBB1153_1185
.LBB1153_1121:                          ;   in Loop: Header=BB1153_979 Depth=2
	s_wait_alu 0xfffe
	s_or_b32 exec_lo, exec_lo, s15
	s_and_saveexec_b32 s15, s28
	s_cbranch_execnz .LBB1153_1186
.LBB1153_1122:                          ;   in Loop: Header=BB1153_979 Depth=2
	s_wait_alu 0xfffe
	s_or_b32 exec_lo, exec_lo, s15
	s_and_saveexec_b32 s15, s29
	s_cbranch_execz .LBB1153_1124
.LBB1153_1123:                          ;   in Loop: Header=BB1153_979 Depth=2
	v_lshlrev_b32_e32 v2, 2, v146
	ds_load_b32 v2, v2
	ds_load_b64 v[36:37], v108 offset:31744
	s_wait_dscnt 0x1
	v_add_nc_u32_e32 v2, v2, v93
	s_delay_alu instid0(VALU_DEP_1) | instskip(NEXT) | instid1(VALU_DEP_1)
	v_lshlrev_b64_e32 v[38:39], 3, v[2:3]
	v_add_co_u32 v38, vcc_lo, s46, v38
	s_wait_alu 0xfffd
	s_delay_alu instid0(VALU_DEP_2)
	v_add_co_ci_u32_e64 v39, null, s47, v39, vcc_lo
	s_wait_dscnt 0x0
	global_store_b64 v[38:39], v[36:37], off
.LBB1153_1124:                          ;   in Loop: Header=BB1153_979 Depth=2
	s_wait_alu 0xfffe
	s_or_b32 exec_lo, exec_lo, s15
	s_wait_loadcnt 0x0
	s_wait_storecnt 0x0
	s_barrier_signal -1
	s_barrier_wait -1
	global_inv scope:SCOPE_SE
	s_and_saveexec_b32 s15, s2
	s_cbranch_execz .LBB1153_978
; %bb.1125:                             ;   in Loop: Header=BB1153_979 Depth=2
	ds_load_b32 v2, v76
	s_wait_dscnt 0x0
	v_add_nc_u32_e32 v2, v2, v68
	ds_store_b32 v76, v2
	s_branch .LBB1153_978
.LBB1153_1126:                          ;   in Loop: Header=BB1153_979 Depth=2
	ds_load_b64 v[36:37], v108 offset:1024
	s_wait_dscnt 0x0
	v_cmp_ne_u64_e64 s15, s[34:35], v[36:37]
	s_wait_alu 0xf1ff
	s_delay_alu instid0(VALU_DEP_1) | instskip(SKIP_2) | instid1(VALU_DEP_2)
	v_cndmask_b32_e64 v43, 0x7fffffff, v37, s15
	v_cndmask_b32_e64 v42, -1, v36, s15
	v_cmp_gt_i64_e64 s15, 0, v[36:37]
	v_lshrrev_b64 v[42:43], s31, v[42:43]
	s_wait_alu 0xf1ff
	s_delay_alu instid0(VALU_DEP_2) | instskip(NEXT) | instid1(VALU_DEP_2)
	v_cndmask_b32_e64 v44, 0x7fffffff, 0, s15
	v_and_b32_e32 v2, s56, v42
	v_ashrrev_i32_e32 v42, 31, v37
	s_delay_alu instid0(VALU_DEP_3) | instskip(NEXT) | instid1(VALU_DEP_3)
	v_xor_b32_e32 v37, v44, v37
	v_lshlrev_b32_e32 v2, 2, v2
	s_delay_alu instid0(VALU_DEP_3) | instskip(SKIP_4) | instid1(VALU_DEP_1)
	v_not_b32_e32 v45, v42
	ds_load_b32 v2, v2
	v_xor_b32_e32 v36, v45, v36
	s_wait_dscnt 0x0
	v_add_nc_u32_e32 v2, v2, v1
	v_lshlrev_b64_e32 v[42:43], 3, v[2:3]
	s_delay_alu instid0(VALU_DEP_1) | instskip(SKIP_1) | instid1(VALU_DEP_2)
	v_add_co_u32 v42, s15, s40, v42
	s_wait_alu 0xf1ff
	v_add_co_ci_u32_e64 v43, null, s41, v43, s15
	global_store_b64 v[42:43], v[36:37], off
	s_wait_alu 0xfffe
	s_or_b32 exec_lo, exec_lo, s16
	v_cmp_lt_u32_e64 s15, v77, v162
	s_and_saveexec_b32 s17, s15
	s_cbranch_execz .LBB1153_1059
.LBB1153_1127:                          ;   in Loop: Header=BB1153_979 Depth=2
	ds_load_b64 v[36:37], v108 offset:3072
	s_wait_dscnt 0x0
	v_cmp_ne_u64_e64 s16, s[34:35], v[36:37]
	s_wait_alu 0xf1ff
	s_delay_alu instid0(VALU_DEP_1) | instskip(SKIP_2) | instid1(VALU_DEP_2)
	v_cndmask_b32_e64 v43, 0x7fffffff, v37, s16
	v_cndmask_b32_e64 v42, -1, v36, s16
	v_cmp_gt_i64_e64 s16, 0, v[36:37]
	v_lshrrev_b64 v[42:43], s31, v[42:43]
	s_wait_alu 0xf1ff
	s_delay_alu instid0(VALU_DEP_2) | instskip(NEXT) | instid1(VALU_DEP_2)
	v_cndmask_b32_e64 v44, 0x7fffffff, 0, s16
	v_and_b32_e32 v2, s56, v42
	v_ashrrev_i32_e32 v42, 31, v37
	s_delay_alu instid0(VALU_DEP_3) | instskip(NEXT) | instid1(VALU_DEP_3)
	v_xor_b32_e32 v37, v44, v37
	v_lshlrev_b32_e32 v2, 2, v2
	s_delay_alu instid0(VALU_DEP_3) | instskip(SKIP_4) | instid1(VALU_DEP_1)
	v_not_b32_e32 v45, v42
	ds_load_b32 v2, v2
	v_xor_b32_e32 v36, v45, v36
	s_wait_dscnt 0x0
	v_add_nc_u32_e32 v2, v2, v77
	v_lshlrev_b64_e32 v[42:43], 3, v[2:3]
	s_delay_alu instid0(VALU_DEP_1) | instskip(SKIP_1) | instid1(VALU_DEP_2)
	v_add_co_u32 v42, s16, s40, v42
	s_wait_alu 0xf1ff
	v_add_co_ci_u32_e64 v43, null, s41, v43, s16
	global_store_b64 v[42:43], v[36:37], off
	s_wait_alu 0xfffe
	s_or_b32 exec_lo, exec_lo, s17
	v_cmp_lt_u32_e64 s16, v78, v162
	s_and_saveexec_b32 s18, s16
	s_cbranch_execz .LBB1153_1060
.LBB1153_1128:                          ;   in Loop: Header=BB1153_979 Depth=2
	ds_load_b64 v[36:37], v108 offset:5120
	s_wait_dscnt 0x0
	v_cmp_ne_u64_e64 s17, s[34:35], v[36:37]
	s_wait_alu 0xf1ff
	s_delay_alu instid0(VALU_DEP_1) | instskip(SKIP_2) | instid1(VALU_DEP_2)
	v_cndmask_b32_e64 v43, 0x7fffffff, v37, s17
	v_cndmask_b32_e64 v42, -1, v36, s17
	v_cmp_gt_i64_e64 s17, 0, v[36:37]
	v_lshrrev_b64 v[42:43], s31, v[42:43]
	s_wait_alu 0xf1ff
	s_delay_alu instid0(VALU_DEP_2) | instskip(NEXT) | instid1(VALU_DEP_2)
	v_cndmask_b32_e64 v44, 0x7fffffff, 0, s17
	v_and_b32_e32 v2, s56, v42
	v_ashrrev_i32_e32 v42, 31, v37
	s_delay_alu instid0(VALU_DEP_3) | instskip(NEXT) | instid1(VALU_DEP_3)
	v_xor_b32_e32 v37, v44, v37
	v_lshlrev_b32_e32 v2, 2, v2
	s_delay_alu instid0(VALU_DEP_3) | instskip(SKIP_4) | instid1(VALU_DEP_1)
	v_not_b32_e32 v45, v42
	ds_load_b32 v2, v2
	v_xor_b32_e32 v36, v45, v36
	s_wait_dscnt 0x0
	v_add_nc_u32_e32 v2, v2, v78
	v_lshlrev_b64_e32 v[42:43], 3, v[2:3]
	s_delay_alu instid0(VALU_DEP_1) | instskip(SKIP_1) | instid1(VALU_DEP_2)
	v_add_co_u32 v42, s17, s40, v42
	s_wait_alu 0xf1ff
	v_add_co_ci_u32_e64 v43, null, s41, v43, s17
	global_store_b64 v[42:43], v[36:37], off
	s_wait_alu 0xfffe
	s_or_b32 exec_lo, exec_lo, s18
	v_cmp_lt_u32_e64 s17, v79, v162
	s_and_saveexec_b32 s19, s17
	s_cbranch_execz .LBB1153_1061
.LBB1153_1129:                          ;   in Loop: Header=BB1153_979 Depth=2
	ds_load_b64 v[36:37], v108 offset:7168
	s_wait_dscnt 0x0
	v_cmp_ne_u64_e64 s18, s[34:35], v[36:37]
	s_wait_alu 0xf1ff
	s_delay_alu instid0(VALU_DEP_1) | instskip(SKIP_2) | instid1(VALU_DEP_2)
	v_cndmask_b32_e64 v43, 0x7fffffff, v37, s18
	v_cndmask_b32_e64 v42, -1, v36, s18
	v_cmp_gt_i64_e64 s18, 0, v[36:37]
	v_lshrrev_b64 v[42:43], s31, v[42:43]
	s_wait_alu 0xf1ff
	s_delay_alu instid0(VALU_DEP_2) | instskip(NEXT) | instid1(VALU_DEP_2)
	v_cndmask_b32_e64 v44, 0x7fffffff, 0, s18
	v_and_b32_e32 v2, s56, v42
	v_ashrrev_i32_e32 v42, 31, v37
	s_delay_alu instid0(VALU_DEP_3) | instskip(NEXT) | instid1(VALU_DEP_3)
	v_xor_b32_e32 v37, v44, v37
	v_lshlrev_b32_e32 v2, 2, v2
	s_delay_alu instid0(VALU_DEP_3) | instskip(SKIP_4) | instid1(VALU_DEP_1)
	v_not_b32_e32 v45, v42
	ds_load_b32 v2, v2
	v_xor_b32_e32 v36, v45, v36
	s_wait_dscnt 0x0
	v_add_nc_u32_e32 v2, v2, v79
	v_lshlrev_b64_e32 v[42:43], 3, v[2:3]
	s_delay_alu instid0(VALU_DEP_1) | instskip(SKIP_1) | instid1(VALU_DEP_2)
	v_add_co_u32 v42, s18, s40, v42
	s_wait_alu 0xf1ff
	v_add_co_ci_u32_e64 v43, null, s41, v43, s18
	global_store_b64 v[42:43], v[36:37], off
	s_wait_alu 0xfffe
	s_or_b32 exec_lo, exec_lo, s19
	v_cmp_lt_u32_e64 s18, v82, v162
	s_and_saveexec_b32 s20, s18
	s_cbranch_execz .LBB1153_1062
.LBB1153_1130:                          ;   in Loop: Header=BB1153_979 Depth=2
	ds_load_b64 v[36:37], v108 offset:9216
	s_wait_dscnt 0x0
	v_cmp_ne_u64_e64 s19, s[34:35], v[36:37]
	s_wait_alu 0xf1ff
	s_delay_alu instid0(VALU_DEP_1) | instskip(SKIP_2) | instid1(VALU_DEP_2)
	v_cndmask_b32_e64 v43, 0x7fffffff, v37, s19
	v_cndmask_b32_e64 v42, -1, v36, s19
	v_cmp_gt_i64_e64 s19, 0, v[36:37]
	v_lshrrev_b64 v[42:43], s31, v[42:43]
	s_wait_alu 0xf1ff
	s_delay_alu instid0(VALU_DEP_2) | instskip(NEXT) | instid1(VALU_DEP_2)
	v_cndmask_b32_e64 v44, 0x7fffffff, 0, s19
	v_and_b32_e32 v2, s56, v42
	v_ashrrev_i32_e32 v42, 31, v37
	s_delay_alu instid0(VALU_DEP_3) | instskip(NEXT) | instid1(VALU_DEP_3)
	v_xor_b32_e32 v37, v44, v37
	v_lshlrev_b32_e32 v2, 2, v2
	s_delay_alu instid0(VALU_DEP_3) | instskip(SKIP_4) | instid1(VALU_DEP_1)
	v_not_b32_e32 v45, v42
	ds_load_b32 v2, v2
	v_xor_b32_e32 v36, v45, v36
	s_wait_dscnt 0x0
	v_add_nc_u32_e32 v2, v2, v82
	v_lshlrev_b64_e32 v[42:43], 3, v[2:3]
	s_delay_alu instid0(VALU_DEP_1) | instskip(SKIP_1) | instid1(VALU_DEP_2)
	v_add_co_u32 v42, s19, s40, v42
	s_wait_alu 0xf1ff
	v_add_co_ci_u32_e64 v43, null, s41, v43, s19
	global_store_b64 v[42:43], v[36:37], off
	s_wait_alu 0xfffe
	s_or_b32 exec_lo, exec_lo, s20
	v_cmp_lt_u32_e64 s19, v83, v162
	s_and_saveexec_b32 s21, s19
	s_cbranch_execz .LBB1153_1063
.LBB1153_1131:                          ;   in Loop: Header=BB1153_979 Depth=2
	ds_load_b64 v[36:37], v108 offset:11264
	s_wait_dscnt 0x0
	v_cmp_ne_u64_e64 s20, s[34:35], v[36:37]
	s_wait_alu 0xf1ff
	s_delay_alu instid0(VALU_DEP_1) | instskip(SKIP_2) | instid1(VALU_DEP_2)
	v_cndmask_b32_e64 v43, 0x7fffffff, v37, s20
	v_cndmask_b32_e64 v42, -1, v36, s20
	v_cmp_gt_i64_e64 s20, 0, v[36:37]
	v_lshrrev_b64 v[42:43], s31, v[42:43]
	s_wait_alu 0xf1ff
	s_delay_alu instid0(VALU_DEP_2) | instskip(NEXT) | instid1(VALU_DEP_2)
	v_cndmask_b32_e64 v44, 0x7fffffff, 0, s20
	v_and_b32_e32 v2, s56, v42
	v_ashrrev_i32_e32 v42, 31, v37
	s_delay_alu instid0(VALU_DEP_3) | instskip(NEXT) | instid1(VALU_DEP_3)
	v_xor_b32_e32 v37, v44, v37
	v_lshlrev_b32_e32 v2, 2, v2
	s_delay_alu instid0(VALU_DEP_3) | instskip(SKIP_4) | instid1(VALU_DEP_1)
	v_not_b32_e32 v45, v42
	ds_load_b32 v2, v2
	v_xor_b32_e32 v36, v45, v36
	s_wait_dscnt 0x0
	v_add_nc_u32_e32 v2, v2, v83
	v_lshlrev_b64_e32 v[42:43], 3, v[2:3]
	s_delay_alu instid0(VALU_DEP_1) | instskip(SKIP_1) | instid1(VALU_DEP_2)
	v_add_co_u32 v42, s20, s40, v42
	s_wait_alu 0xf1ff
	v_add_co_ci_u32_e64 v43, null, s41, v43, s20
	global_store_b64 v[42:43], v[36:37], off
	s_wait_alu 0xfffe
	s_or_b32 exec_lo, exec_lo, s21
	v_cmp_lt_u32_e64 s20, v84, v162
	s_and_saveexec_b32 s22, s20
	s_cbranch_execz .LBB1153_1064
.LBB1153_1132:                          ;   in Loop: Header=BB1153_979 Depth=2
	ds_load_b64 v[36:37], v108 offset:13312
	s_wait_dscnt 0x0
	v_cmp_ne_u64_e64 s21, s[34:35], v[36:37]
	s_wait_alu 0xf1ff
	s_delay_alu instid0(VALU_DEP_1) | instskip(SKIP_2) | instid1(VALU_DEP_2)
	v_cndmask_b32_e64 v43, 0x7fffffff, v37, s21
	v_cndmask_b32_e64 v42, -1, v36, s21
	v_cmp_gt_i64_e64 s21, 0, v[36:37]
	v_lshrrev_b64 v[42:43], s31, v[42:43]
	s_wait_alu 0xf1ff
	s_delay_alu instid0(VALU_DEP_2) | instskip(NEXT) | instid1(VALU_DEP_2)
	v_cndmask_b32_e64 v44, 0x7fffffff, 0, s21
	v_and_b32_e32 v2, s56, v42
	v_ashrrev_i32_e32 v42, 31, v37
	s_delay_alu instid0(VALU_DEP_3) | instskip(NEXT) | instid1(VALU_DEP_3)
	v_xor_b32_e32 v37, v44, v37
	v_lshlrev_b32_e32 v2, 2, v2
	s_delay_alu instid0(VALU_DEP_3) | instskip(SKIP_4) | instid1(VALU_DEP_1)
	v_not_b32_e32 v45, v42
	ds_load_b32 v2, v2
	v_xor_b32_e32 v36, v45, v36
	s_wait_dscnt 0x0
	v_add_nc_u32_e32 v2, v2, v84
	v_lshlrev_b64_e32 v[42:43], 3, v[2:3]
	s_delay_alu instid0(VALU_DEP_1) | instskip(SKIP_1) | instid1(VALU_DEP_2)
	v_add_co_u32 v42, s21, s40, v42
	s_wait_alu 0xf1ff
	v_add_co_ci_u32_e64 v43, null, s41, v43, s21
	global_store_b64 v[42:43], v[36:37], off
	s_wait_alu 0xfffe
	s_or_b32 exec_lo, exec_lo, s22
	v_cmp_lt_u32_e64 s21, v85, v162
	s_and_saveexec_b32 s23, s21
	s_cbranch_execz .LBB1153_1065
.LBB1153_1133:                          ;   in Loop: Header=BB1153_979 Depth=2
	ds_load_b64 v[36:37], v108 offset:15360
	s_wait_dscnt 0x0
	v_cmp_ne_u64_e64 s22, s[34:35], v[36:37]
	s_wait_alu 0xf1ff
	s_delay_alu instid0(VALU_DEP_1) | instskip(SKIP_2) | instid1(VALU_DEP_2)
	v_cndmask_b32_e64 v43, 0x7fffffff, v37, s22
	v_cndmask_b32_e64 v42, -1, v36, s22
	v_cmp_gt_i64_e64 s22, 0, v[36:37]
	v_lshrrev_b64 v[42:43], s31, v[42:43]
	s_wait_alu 0xf1ff
	s_delay_alu instid0(VALU_DEP_2) | instskip(NEXT) | instid1(VALU_DEP_2)
	v_cndmask_b32_e64 v44, 0x7fffffff, 0, s22
	v_and_b32_e32 v2, s56, v42
	v_ashrrev_i32_e32 v42, 31, v37
	s_delay_alu instid0(VALU_DEP_3) | instskip(NEXT) | instid1(VALU_DEP_3)
	v_xor_b32_e32 v37, v44, v37
	v_lshlrev_b32_e32 v2, 2, v2
	s_delay_alu instid0(VALU_DEP_3) | instskip(SKIP_4) | instid1(VALU_DEP_1)
	v_not_b32_e32 v45, v42
	ds_load_b32 v2, v2
	v_xor_b32_e32 v36, v45, v36
	s_wait_dscnt 0x0
	v_add_nc_u32_e32 v2, v2, v85
	v_lshlrev_b64_e32 v[42:43], 3, v[2:3]
	s_delay_alu instid0(VALU_DEP_1) | instskip(SKIP_1) | instid1(VALU_DEP_2)
	v_add_co_u32 v42, s22, s40, v42
	s_wait_alu 0xf1ff
	v_add_co_ci_u32_e64 v43, null, s41, v43, s22
	global_store_b64 v[42:43], v[36:37], off
	s_wait_alu 0xfffe
	s_or_b32 exec_lo, exec_lo, s23
	v_cmp_lt_u32_e64 s22, v86, v162
	s_and_saveexec_b32 s24, s22
	s_cbranch_execz .LBB1153_1066
.LBB1153_1134:                          ;   in Loop: Header=BB1153_979 Depth=2
	ds_load_b64 v[36:37], v108 offset:17408
	s_wait_dscnt 0x0
	v_cmp_ne_u64_e64 s23, s[34:35], v[36:37]
	s_wait_alu 0xf1ff
	s_delay_alu instid0(VALU_DEP_1) | instskip(SKIP_2) | instid1(VALU_DEP_2)
	v_cndmask_b32_e64 v43, 0x7fffffff, v37, s23
	v_cndmask_b32_e64 v42, -1, v36, s23
	v_cmp_gt_i64_e64 s23, 0, v[36:37]
	v_lshrrev_b64 v[42:43], s31, v[42:43]
	s_wait_alu 0xf1ff
	s_delay_alu instid0(VALU_DEP_2) | instskip(NEXT) | instid1(VALU_DEP_2)
	v_cndmask_b32_e64 v44, 0x7fffffff, 0, s23
	v_and_b32_e32 v2, s56, v42
	v_ashrrev_i32_e32 v42, 31, v37
	s_delay_alu instid0(VALU_DEP_3) | instskip(NEXT) | instid1(VALU_DEP_3)
	v_xor_b32_e32 v37, v44, v37
	v_lshlrev_b32_e32 v2, 2, v2
	s_delay_alu instid0(VALU_DEP_3) | instskip(SKIP_4) | instid1(VALU_DEP_1)
	v_not_b32_e32 v45, v42
	ds_load_b32 v2, v2
	v_xor_b32_e32 v36, v45, v36
	s_wait_dscnt 0x0
	v_add_nc_u32_e32 v2, v2, v86
	v_lshlrev_b64_e32 v[42:43], 3, v[2:3]
	s_delay_alu instid0(VALU_DEP_1) | instskip(SKIP_1) | instid1(VALU_DEP_2)
	v_add_co_u32 v42, s23, s40, v42
	s_wait_alu 0xf1ff
	v_add_co_ci_u32_e64 v43, null, s41, v43, s23
	global_store_b64 v[42:43], v[36:37], off
	s_wait_alu 0xfffe
	s_or_b32 exec_lo, exec_lo, s24
	v_cmp_lt_u32_e64 s23, v87, v162
	s_and_saveexec_b32 s25, s23
	s_cbranch_execz .LBB1153_1067
.LBB1153_1135:                          ;   in Loop: Header=BB1153_979 Depth=2
	ds_load_b64 v[36:37], v108 offset:19456
	s_wait_dscnt 0x0
	v_cmp_ne_u64_e64 s24, s[34:35], v[36:37]
	s_wait_alu 0xf1ff
	s_delay_alu instid0(VALU_DEP_1) | instskip(SKIP_2) | instid1(VALU_DEP_2)
	v_cndmask_b32_e64 v43, 0x7fffffff, v37, s24
	v_cndmask_b32_e64 v42, -1, v36, s24
	v_cmp_gt_i64_e64 s24, 0, v[36:37]
	v_lshrrev_b64 v[42:43], s31, v[42:43]
	s_wait_alu 0xf1ff
	s_delay_alu instid0(VALU_DEP_2) | instskip(NEXT) | instid1(VALU_DEP_2)
	v_cndmask_b32_e64 v44, 0x7fffffff, 0, s24
	v_and_b32_e32 v2, s56, v42
	v_ashrrev_i32_e32 v42, 31, v37
	s_delay_alu instid0(VALU_DEP_3) | instskip(NEXT) | instid1(VALU_DEP_3)
	v_xor_b32_e32 v37, v44, v37
	v_lshlrev_b32_e32 v2, 2, v2
	s_delay_alu instid0(VALU_DEP_3) | instskip(SKIP_4) | instid1(VALU_DEP_1)
	v_not_b32_e32 v45, v42
	ds_load_b32 v2, v2
	v_xor_b32_e32 v36, v45, v36
	s_wait_dscnt 0x0
	v_add_nc_u32_e32 v2, v2, v87
	v_lshlrev_b64_e32 v[42:43], 3, v[2:3]
	s_delay_alu instid0(VALU_DEP_1) | instskip(SKIP_1) | instid1(VALU_DEP_2)
	v_add_co_u32 v42, s24, s40, v42
	s_wait_alu 0xf1ff
	v_add_co_ci_u32_e64 v43, null, s41, v43, s24
	global_store_b64 v[42:43], v[36:37], off
	s_wait_alu 0xfffe
	s_or_b32 exec_lo, exec_lo, s25
	v_cmp_lt_u32_e64 s24, v88, v162
	s_and_saveexec_b32 s26, s24
	s_cbranch_execz .LBB1153_1068
.LBB1153_1136:                          ;   in Loop: Header=BB1153_979 Depth=2
	ds_load_b64 v[36:37], v108 offset:21504
	s_wait_dscnt 0x0
	v_cmp_ne_u64_e64 s25, s[34:35], v[36:37]
	s_wait_alu 0xf1ff
	s_delay_alu instid0(VALU_DEP_1) | instskip(SKIP_2) | instid1(VALU_DEP_2)
	v_cndmask_b32_e64 v43, 0x7fffffff, v37, s25
	v_cndmask_b32_e64 v42, -1, v36, s25
	v_cmp_gt_i64_e64 s25, 0, v[36:37]
	v_lshrrev_b64 v[42:43], s31, v[42:43]
	s_wait_alu 0xf1ff
	s_delay_alu instid0(VALU_DEP_2) | instskip(NEXT) | instid1(VALU_DEP_2)
	v_cndmask_b32_e64 v44, 0x7fffffff, 0, s25
	v_and_b32_e32 v2, s56, v42
	v_ashrrev_i32_e32 v42, 31, v37
	s_delay_alu instid0(VALU_DEP_3) | instskip(NEXT) | instid1(VALU_DEP_3)
	v_xor_b32_e32 v37, v44, v37
	v_lshlrev_b32_e32 v2, 2, v2
	s_delay_alu instid0(VALU_DEP_3) | instskip(SKIP_4) | instid1(VALU_DEP_1)
	v_not_b32_e32 v45, v42
	ds_load_b32 v2, v2
	v_xor_b32_e32 v36, v45, v36
	s_wait_dscnt 0x0
	v_add_nc_u32_e32 v2, v2, v88
	v_lshlrev_b64_e32 v[42:43], 3, v[2:3]
	s_delay_alu instid0(VALU_DEP_1) | instskip(SKIP_1) | instid1(VALU_DEP_2)
	v_add_co_u32 v42, s25, s40, v42
	s_wait_alu 0xf1ff
	v_add_co_ci_u32_e64 v43, null, s41, v43, s25
	global_store_b64 v[42:43], v[36:37], off
	s_wait_alu 0xfffe
	s_or_b32 exec_lo, exec_lo, s26
	v_cmp_lt_u32_e64 s25, v89, v162
	s_and_saveexec_b32 s27, s25
	s_cbranch_execz .LBB1153_1069
.LBB1153_1137:                          ;   in Loop: Header=BB1153_979 Depth=2
	ds_load_b64 v[36:37], v108 offset:23552
	s_wait_dscnt 0x0
	v_cmp_ne_u64_e64 s26, s[34:35], v[36:37]
	s_wait_alu 0xf1ff
	s_delay_alu instid0(VALU_DEP_1) | instskip(SKIP_2) | instid1(VALU_DEP_2)
	v_cndmask_b32_e64 v43, 0x7fffffff, v37, s26
	v_cndmask_b32_e64 v42, -1, v36, s26
	v_cmp_gt_i64_e64 s26, 0, v[36:37]
	v_lshrrev_b64 v[42:43], s31, v[42:43]
	s_wait_alu 0xf1ff
	s_delay_alu instid0(VALU_DEP_2) | instskip(NEXT) | instid1(VALU_DEP_2)
	v_cndmask_b32_e64 v44, 0x7fffffff, 0, s26
	v_and_b32_e32 v2, s56, v42
	v_ashrrev_i32_e32 v42, 31, v37
	s_delay_alu instid0(VALU_DEP_3) | instskip(NEXT) | instid1(VALU_DEP_3)
	v_xor_b32_e32 v37, v44, v37
	v_lshlrev_b32_e32 v2, 2, v2
	s_delay_alu instid0(VALU_DEP_3) | instskip(SKIP_4) | instid1(VALU_DEP_1)
	v_not_b32_e32 v45, v42
	ds_load_b32 v2, v2
	v_xor_b32_e32 v36, v45, v36
	s_wait_dscnt 0x0
	v_add_nc_u32_e32 v2, v2, v89
	v_lshlrev_b64_e32 v[42:43], 3, v[2:3]
	s_delay_alu instid0(VALU_DEP_1) | instskip(SKIP_1) | instid1(VALU_DEP_2)
	v_add_co_u32 v42, s26, s40, v42
	s_wait_alu 0xf1ff
	v_add_co_ci_u32_e64 v43, null, s41, v43, s26
	global_store_b64 v[42:43], v[36:37], off
	s_wait_alu 0xfffe
	s_or_b32 exec_lo, exec_lo, s27
	v_cmp_lt_u32_e64 s26, v90, v162
	s_and_saveexec_b32 s28, s26
	s_cbranch_execz .LBB1153_1070
.LBB1153_1138:                          ;   in Loop: Header=BB1153_979 Depth=2
	ds_load_b64 v[36:37], v108 offset:25600
	s_wait_dscnt 0x0
	v_cmp_ne_u64_e64 s27, s[34:35], v[36:37]
	s_wait_alu 0xf1ff
	s_delay_alu instid0(VALU_DEP_1) | instskip(SKIP_2) | instid1(VALU_DEP_2)
	v_cndmask_b32_e64 v43, 0x7fffffff, v37, s27
	v_cndmask_b32_e64 v42, -1, v36, s27
	v_cmp_gt_i64_e64 s27, 0, v[36:37]
	v_lshrrev_b64 v[42:43], s31, v[42:43]
	s_wait_alu 0xf1ff
	s_delay_alu instid0(VALU_DEP_2) | instskip(NEXT) | instid1(VALU_DEP_2)
	v_cndmask_b32_e64 v44, 0x7fffffff, 0, s27
	v_and_b32_e32 v2, s56, v42
	v_ashrrev_i32_e32 v42, 31, v37
	s_delay_alu instid0(VALU_DEP_3) | instskip(NEXT) | instid1(VALU_DEP_3)
	v_xor_b32_e32 v37, v44, v37
	v_lshlrev_b32_e32 v2, 2, v2
	s_delay_alu instid0(VALU_DEP_3) | instskip(SKIP_4) | instid1(VALU_DEP_1)
	v_not_b32_e32 v45, v42
	ds_load_b32 v2, v2
	v_xor_b32_e32 v36, v45, v36
	s_wait_dscnt 0x0
	v_add_nc_u32_e32 v2, v2, v90
	v_lshlrev_b64_e32 v[42:43], 3, v[2:3]
	s_delay_alu instid0(VALU_DEP_1) | instskip(SKIP_1) | instid1(VALU_DEP_2)
	v_add_co_u32 v42, s27, s40, v42
	s_wait_alu 0xf1ff
	v_add_co_ci_u32_e64 v43, null, s41, v43, s27
	global_store_b64 v[42:43], v[36:37], off
	s_wait_alu 0xfffe
	s_or_b32 exec_lo, exec_lo, s28
	v_cmp_lt_u32_e64 s27, v91, v162
	s_and_saveexec_b32 s29, s27
	s_cbranch_execz .LBB1153_1071
.LBB1153_1139:                          ;   in Loop: Header=BB1153_979 Depth=2
	ds_load_b64 v[36:37], v108 offset:27648
	s_wait_dscnt 0x0
	v_cmp_ne_u64_e64 s28, s[34:35], v[36:37]
	s_wait_alu 0xf1ff
	s_delay_alu instid0(VALU_DEP_1) | instskip(SKIP_2) | instid1(VALU_DEP_2)
	v_cndmask_b32_e64 v43, 0x7fffffff, v37, s28
	v_cndmask_b32_e64 v42, -1, v36, s28
	v_cmp_gt_i64_e64 s28, 0, v[36:37]
	v_lshrrev_b64 v[42:43], s31, v[42:43]
	s_wait_alu 0xf1ff
	s_delay_alu instid0(VALU_DEP_2) | instskip(NEXT) | instid1(VALU_DEP_2)
	v_cndmask_b32_e64 v44, 0x7fffffff, 0, s28
	v_and_b32_e32 v2, s56, v42
	v_ashrrev_i32_e32 v42, 31, v37
	s_delay_alu instid0(VALU_DEP_3) | instskip(NEXT) | instid1(VALU_DEP_3)
	v_xor_b32_e32 v37, v44, v37
	v_lshlrev_b32_e32 v2, 2, v2
	s_delay_alu instid0(VALU_DEP_3) | instskip(SKIP_4) | instid1(VALU_DEP_1)
	v_not_b32_e32 v45, v42
	ds_load_b32 v2, v2
	v_xor_b32_e32 v36, v45, v36
	s_wait_dscnt 0x0
	v_add_nc_u32_e32 v2, v2, v91
	v_lshlrev_b64_e32 v[42:43], 3, v[2:3]
	s_delay_alu instid0(VALU_DEP_1) | instskip(SKIP_1) | instid1(VALU_DEP_2)
	v_add_co_u32 v42, s28, s40, v42
	s_wait_alu 0xf1ff
	v_add_co_ci_u32_e64 v43, null, s41, v43, s28
	global_store_b64 v[42:43], v[36:37], off
	s_wait_alu 0xfffe
	s_or_b32 exec_lo, exec_lo, s29
	v_cmp_lt_u32_e64 s28, v92, v162
	s_and_saveexec_b32 s30, s28
	s_cbranch_execz .LBB1153_1072
.LBB1153_1140:                          ;   in Loop: Header=BB1153_979 Depth=2
	ds_load_b64 v[36:37], v108 offset:29696
	s_wait_dscnt 0x0
	v_cmp_ne_u64_e64 s29, s[34:35], v[36:37]
	s_wait_alu 0xf1ff
	s_delay_alu instid0(VALU_DEP_1) | instskip(SKIP_2) | instid1(VALU_DEP_2)
	v_cndmask_b32_e64 v43, 0x7fffffff, v37, s29
	v_cndmask_b32_e64 v42, -1, v36, s29
	v_cmp_gt_i64_e64 s29, 0, v[36:37]
	v_lshrrev_b64 v[42:43], s31, v[42:43]
	s_wait_alu 0xf1ff
	s_delay_alu instid0(VALU_DEP_2) | instskip(NEXT) | instid1(VALU_DEP_2)
	v_cndmask_b32_e64 v44, 0x7fffffff, 0, s29
	v_and_b32_e32 v2, s56, v42
	v_ashrrev_i32_e32 v42, 31, v37
	s_delay_alu instid0(VALU_DEP_3) | instskip(NEXT) | instid1(VALU_DEP_3)
	v_xor_b32_e32 v37, v44, v37
	v_lshlrev_b32_e32 v2, 2, v2
	s_delay_alu instid0(VALU_DEP_3) | instskip(SKIP_4) | instid1(VALU_DEP_1)
	v_not_b32_e32 v45, v42
	ds_load_b32 v2, v2
	v_xor_b32_e32 v36, v45, v36
	s_wait_dscnt 0x0
	v_add_nc_u32_e32 v2, v2, v92
	v_lshlrev_b64_e32 v[42:43], 3, v[2:3]
	s_delay_alu instid0(VALU_DEP_1) | instskip(SKIP_1) | instid1(VALU_DEP_2)
	v_add_co_u32 v42, s29, s40, v42
	s_wait_alu 0xf1ff
	v_add_co_ci_u32_e64 v43, null, s41, v43, s29
	global_store_b64 v[42:43], v[36:37], off
	s_wait_alu 0xfffe
	s_or_b32 exec_lo, exec_lo, s30
	v_cmp_lt_u32_e64 s29, v93, v162
	s_and_saveexec_b32 s43, s29
	s_cbranch_execnz .LBB1153_1073
	s_branch .LBB1153_1074
.LBB1153_1141:                          ;   in Loop: Header=BB1153_979 Depth=2
	global_load_b64 v[34:35], v[36:37], off
	s_wait_alu 0xfffe
	s_or_b32 exec_lo, exec_lo, s30
	s_delay_alu instid0(SALU_CYCLE_1)
	s_mov_b32 s42, exec_lo
	v_cmpx_lt_u32_e64 v128, v162
	s_cbranch_execz .LBB1153_1076
.LBB1153_1142:                          ;   in Loop: Header=BB1153_979 Depth=2
	global_load_b64 v[32:33], v[36:37], off offset:256
	s_wait_alu 0xfffe
	s_or_b32 exec_lo, exec_lo, s42
	s_delay_alu instid0(SALU_CYCLE_1)
	s_mov_b32 s42, exec_lo
	v_cmpx_lt_u32_e64 v129, v162
	s_cbranch_execz .LBB1153_1077
.LBB1153_1143:                          ;   in Loop: Header=BB1153_979 Depth=2
	global_load_b64 v[30:31], v[36:37], off offset:512
	s_wait_alu 0xfffe
	s_or_b32 exec_lo, exec_lo, s42
	s_delay_alu instid0(SALU_CYCLE_1)
	s_mov_b32 s42, exec_lo
	v_cmpx_lt_u32_e64 v130, v162
	s_cbranch_execz .LBB1153_1078
.LBB1153_1144:                          ;   in Loop: Header=BB1153_979 Depth=2
	global_load_b64 v[28:29], v[36:37], off offset:768
	s_wait_alu 0xfffe
	s_or_b32 exec_lo, exec_lo, s42
	s_delay_alu instid0(SALU_CYCLE_1)
	s_mov_b32 s42, exec_lo
	v_cmpx_lt_u32_e64 v131, v162
	s_cbranch_execz .LBB1153_1079
.LBB1153_1145:                          ;   in Loop: Header=BB1153_979 Depth=2
	global_load_b64 v[26:27], v[36:37], off offset:1024
	s_wait_alu 0xfffe
	s_or_b32 exec_lo, exec_lo, s42
	s_delay_alu instid0(SALU_CYCLE_1)
	s_mov_b32 s42, exec_lo
	v_cmpx_lt_u32_e64 v132, v162
	s_cbranch_execz .LBB1153_1080
.LBB1153_1146:                          ;   in Loop: Header=BB1153_979 Depth=2
	global_load_b64 v[24:25], v[36:37], off offset:1280
	s_wait_alu 0xfffe
	s_or_b32 exec_lo, exec_lo, s42
	s_delay_alu instid0(SALU_CYCLE_1)
	s_mov_b32 s42, exec_lo
	v_cmpx_lt_u32_e64 v133, v162
	s_cbranch_execz .LBB1153_1081
.LBB1153_1147:                          ;   in Loop: Header=BB1153_979 Depth=2
	global_load_b64 v[22:23], v[36:37], off offset:1536
	s_wait_alu 0xfffe
	s_or_b32 exec_lo, exec_lo, s42
	s_delay_alu instid0(SALU_CYCLE_1)
	s_mov_b32 s42, exec_lo
	v_cmpx_lt_u32_e64 v134, v162
	s_cbranch_execz .LBB1153_1082
.LBB1153_1148:                          ;   in Loop: Header=BB1153_979 Depth=2
	global_load_b64 v[20:21], v[36:37], off offset:1792
	s_wait_alu 0xfffe
	s_or_b32 exec_lo, exec_lo, s42
	s_delay_alu instid0(SALU_CYCLE_1)
	s_mov_b32 s42, exec_lo
	v_cmpx_lt_u32_e64 v135, v162
	s_cbranch_execz .LBB1153_1083
.LBB1153_1149:                          ;   in Loop: Header=BB1153_979 Depth=2
	global_load_b64 v[18:19], v[36:37], off offset:2048
	s_wait_alu 0xfffe
	s_or_b32 exec_lo, exec_lo, s42
	s_delay_alu instid0(SALU_CYCLE_1)
	s_mov_b32 s42, exec_lo
	v_cmpx_lt_u32_e64 v136, v162
	s_cbranch_execz .LBB1153_1084
.LBB1153_1150:                          ;   in Loop: Header=BB1153_979 Depth=2
	global_load_b64 v[16:17], v[36:37], off offset:2304
	s_wait_alu 0xfffe
	s_or_b32 exec_lo, exec_lo, s42
	s_delay_alu instid0(SALU_CYCLE_1)
	s_mov_b32 s42, exec_lo
	v_cmpx_lt_u32_e64 v137, v162
	s_cbranch_execz .LBB1153_1085
.LBB1153_1151:                          ;   in Loop: Header=BB1153_979 Depth=2
	global_load_b64 v[14:15], v[36:37], off offset:2560
	s_wait_alu 0xfffe
	s_or_b32 exec_lo, exec_lo, s42
	s_delay_alu instid0(SALU_CYCLE_1)
	s_mov_b32 s42, exec_lo
	v_cmpx_lt_u32_e64 v138, v162
	s_cbranch_execz .LBB1153_1086
.LBB1153_1152:                          ;   in Loop: Header=BB1153_979 Depth=2
	global_load_b64 v[12:13], v[36:37], off offset:2816
	s_wait_alu 0xfffe
	s_or_b32 exec_lo, exec_lo, s42
	s_delay_alu instid0(SALU_CYCLE_1)
	s_mov_b32 s42, exec_lo
	v_cmpx_lt_u32_e64 v139, v162
	s_cbranch_execz .LBB1153_1087
.LBB1153_1153:                          ;   in Loop: Header=BB1153_979 Depth=2
	global_load_b64 v[10:11], v[36:37], off offset:3072
	s_wait_alu 0xfffe
	s_or_b32 exec_lo, exec_lo, s42
	s_delay_alu instid0(SALU_CYCLE_1)
	s_mov_b32 s42, exec_lo
	v_cmpx_lt_u32_e64 v140, v162
	s_cbranch_execz .LBB1153_1088
.LBB1153_1154:                          ;   in Loop: Header=BB1153_979 Depth=2
	global_load_b64 v[8:9], v[36:37], off offset:3328
	s_wait_alu 0xfffe
	s_or_b32 exec_lo, exec_lo, s42
	s_delay_alu instid0(SALU_CYCLE_1)
	s_mov_b32 s42, exec_lo
	v_cmpx_lt_u32_e64 v141, v162
	s_cbranch_execz .LBB1153_1089
.LBB1153_1155:                          ;   in Loop: Header=BB1153_979 Depth=2
	global_load_b64 v[6:7], v[36:37], off offset:3584
	s_wait_alu 0xfffe
	s_or_b32 exec_lo, exec_lo, s42
	s_delay_alu instid0(SALU_CYCLE_1)
	s_mov_b32 s42, exec_lo
	v_cmpx_lt_u32_e64 v142, v162
	s_cbranch_execz .LBB1153_1090
.LBB1153_1156:                          ;   in Loop: Header=BB1153_979 Depth=2
	global_load_b64 v[4:5], v[36:37], off offset:3840
	s_wait_alu 0xfffe
	s_or_b32 exec_lo, exec_lo, s42
	s_and_saveexec_b32 s42, vcc_lo
	s_cbranch_execz .LBB1153_1091
.LBB1153_1157:                          ;   in Loop: Header=BB1153_979 Depth=2
	ds_load_b64 v[36:37], v108 offset:1024
	s_wait_dscnt 0x0
	v_cmp_ne_u64_e64 s30, s[34:35], v[36:37]
	s_wait_alu 0xf1ff
	s_delay_alu instid0(VALU_DEP_1) | instskip(SKIP_1) | instid1(VALU_DEP_1)
	v_cndmask_b32_e64 v37, 0x7fffffff, v37, s30
	v_cndmask_b32_e64 v36, -1, v36, s30
	v_lshrrev_b64 v[36:37], s31, v[36:37]
	s_delay_alu instid0(VALU_DEP_1)
	v_and_b32_e32 v161, s56, v36
	s_wait_alu 0xfffe
	s_or_b32 exec_lo, exec_lo, s42
	s_and_saveexec_b32 s42, s15
	s_cbranch_execz .LBB1153_1092
.LBB1153_1158:                          ;   in Loop: Header=BB1153_979 Depth=2
	ds_load_b64 v[36:37], v108 offset:3072
	s_wait_dscnt 0x0
	v_cmp_ne_u64_e64 s30, s[34:35], v[36:37]
	s_wait_alu 0xf1ff
	s_delay_alu instid0(VALU_DEP_1) | instskip(SKIP_1) | instid1(VALU_DEP_1)
	v_cndmask_b32_e64 v37, 0x7fffffff, v37, s30
	v_cndmask_b32_e64 v36, -1, v36, s30
	v_lshrrev_b64 v[36:37], s31, v[36:37]
	s_delay_alu instid0(VALU_DEP_1)
	v_and_b32_e32 v160, s56, v36
	s_wait_alu 0xfffe
	s_or_b32 exec_lo, exec_lo, s42
	s_and_saveexec_b32 s42, s16
	s_cbranch_execz .LBB1153_1093
.LBB1153_1159:                          ;   in Loop: Header=BB1153_979 Depth=2
	ds_load_b64 v[36:37], v108 offset:5120
	s_wait_dscnt 0x0
	v_cmp_ne_u64_e64 s30, s[34:35], v[36:37]
	s_wait_alu 0xf1ff
	s_delay_alu instid0(VALU_DEP_1) | instskip(SKIP_1) | instid1(VALU_DEP_1)
	v_cndmask_b32_e64 v37, 0x7fffffff, v37, s30
	v_cndmask_b32_e64 v36, -1, v36, s30
	v_lshrrev_b64 v[36:37], s31, v[36:37]
	s_delay_alu instid0(VALU_DEP_1)
	v_and_b32_e32 v159, s56, v36
	s_wait_alu 0xfffe
	s_or_b32 exec_lo, exec_lo, s42
	s_and_saveexec_b32 s42, s17
	s_cbranch_execz .LBB1153_1094
.LBB1153_1160:                          ;   in Loop: Header=BB1153_979 Depth=2
	ds_load_b64 v[36:37], v108 offset:7168
	s_wait_dscnt 0x0
	v_cmp_ne_u64_e64 s30, s[34:35], v[36:37]
	s_wait_alu 0xf1ff
	s_delay_alu instid0(VALU_DEP_1) | instskip(SKIP_1) | instid1(VALU_DEP_1)
	v_cndmask_b32_e64 v37, 0x7fffffff, v37, s30
	v_cndmask_b32_e64 v36, -1, v36, s30
	v_lshrrev_b64 v[36:37], s31, v[36:37]
	s_delay_alu instid0(VALU_DEP_1)
	v_and_b32_e32 v158, s56, v36
	s_wait_alu 0xfffe
	s_or_b32 exec_lo, exec_lo, s42
	s_and_saveexec_b32 s42, s18
	s_cbranch_execz .LBB1153_1095
.LBB1153_1161:                          ;   in Loop: Header=BB1153_979 Depth=2
	ds_load_b64 v[36:37], v108 offset:9216
	s_wait_dscnt 0x0
	v_cmp_ne_u64_e64 s30, s[34:35], v[36:37]
	s_wait_alu 0xf1ff
	s_delay_alu instid0(VALU_DEP_1) | instskip(SKIP_1) | instid1(VALU_DEP_1)
	v_cndmask_b32_e64 v37, 0x7fffffff, v37, s30
	v_cndmask_b32_e64 v36, -1, v36, s30
	v_lshrrev_b64 v[36:37], s31, v[36:37]
	s_delay_alu instid0(VALU_DEP_1)
	v_and_b32_e32 v157, s56, v36
	s_wait_alu 0xfffe
	s_or_b32 exec_lo, exec_lo, s42
	s_and_saveexec_b32 s42, s19
	s_cbranch_execz .LBB1153_1096
.LBB1153_1162:                          ;   in Loop: Header=BB1153_979 Depth=2
	ds_load_b64 v[36:37], v108 offset:11264
	s_wait_dscnt 0x0
	v_cmp_ne_u64_e64 s30, s[34:35], v[36:37]
	s_wait_alu 0xf1ff
	s_delay_alu instid0(VALU_DEP_1) | instskip(SKIP_1) | instid1(VALU_DEP_1)
	v_cndmask_b32_e64 v37, 0x7fffffff, v37, s30
	v_cndmask_b32_e64 v36, -1, v36, s30
	v_lshrrev_b64 v[36:37], s31, v[36:37]
	s_delay_alu instid0(VALU_DEP_1)
	v_and_b32_e32 v156, s56, v36
	s_wait_alu 0xfffe
	s_or_b32 exec_lo, exec_lo, s42
	s_and_saveexec_b32 s42, s20
	s_cbranch_execz .LBB1153_1097
.LBB1153_1163:                          ;   in Loop: Header=BB1153_979 Depth=2
	ds_load_b64 v[36:37], v108 offset:13312
	s_wait_dscnt 0x0
	v_cmp_ne_u64_e64 s30, s[34:35], v[36:37]
	s_wait_alu 0xf1ff
	s_delay_alu instid0(VALU_DEP_1) | instskip(SKIP_1) | instid1(VALU_DEP_1)
	v_cndmask_b32_e64 v37, 0x7fffffff, v37, s30
	v_cndmask_b32_e64 v36, -1, v36, s30
	v_lshrrev_b64 v[36:37], s31, v[36:37]
	s_delay_alu instid0(VALU_DEP_1)
	v_and_b32_e32 v155, s56, v36
	s_wait_alu 0xfffe
	s_or_b32 exec_lo, exec_lo, s42
	s_and_saveexec_b32 s42, s21
	s_cbranch_execz .LBB1153_1098
.LBB1153_1164:                          ;   in Loop: Header=BB1153_979 Depth=2
	ds_load_b64 v[36:37], v108 offset:15360
	s_wait_dscnt 0x0
	v_cmp_ne_u64_e64 s30, s[34:35], v[36:37]
	s_wait_alu 0xf1ff
	s_delay_alu instid0(VALU_DEP_1) | instskip(SKIP_1) | instid1(VALU_DEP_1)
	v_cndmask_b32_e64 v37, 0x7fffffff, v37, s30
	v_cndmask_b32_e64 v36, -1, v36, s30
	v_lshrrev_b64 v[36:37], s31, v[36:37]
	s_delay_alu instid0(VALU_DEP_1)
	v_and_b32_e32 v154, s56, v36
	s_wait_alu 0xfffe
	s_or_b32 exec_lo, exec_lo, s42
	s_and_saveexec_b32 s42, s22
	s_cbranch_execz .LBB1153_1099
.LBB1153_1165:                          ;   in Loop: Header=BB1153_979 Depth=2
	ds_load_b64 v[36:37], v108 offset:17408
	s_wait_dscnt 0x0
	v_cmp_ne_u64_e64 s30, s[34:35], v[36:37]
	s_wait_alu 0xf1ff
	s_delay_alu instid0(VALU_DEP_1) | instskip(SKIP_1) | instid1(VALU_DEP_1)
	v_cndmask_b32_e64 v37, 0x7fffffff, v37, s30
	v_cndmask_b32_e64 v36, -1, v36, s30
	v_lshrrev_b64 v[36:37], s31, v[36:37]
	s_delay_alu instid0(VALU_DEP_1)
	v_and_b32_e32 v153, s56, v36
	s_wait_alu 0xfffe
	s_or_b32 exec_lo, exec_lo, s42
	s_and_saveexec_b32 s42, s23
	s_cbranch_execz .LBB1153_1100
.LBB1153_1166:                          ;   in Loop: Header=BB1153_979 Depth=2
	ds_load_b64 v[36:37], v108 offset:19456
	s_wait_dscnt 0x0
	v_cmp_ne_u64_e64 s30, s[34:35], v[36:37]
	s_wait_alu 0xf1ff
	s_delay_alu instid0(VALU_DEP_1) | instskip(SKIP_1) | instid1(VALU_DEP_1)
	v_cndmask_b32_e64 v37, 0x7fffffff, v37, s30
	v_cndmask_b32_e64 v36, -1, v36, s30
	v_lshrrev_b64 v[36:37], s31, v[36:37]
	s_delay_alu instid0(VALU_DEP_1)
	v_and_b32_e32 v152, s56, v36
	s_wait_alu 0xfffe
	s_or_b32 exec_lo, exec_lo, s42
	s_and_saveexec_b32 s42, s24
	s_cbranch_execz .LBB1153_1101
.LBB1153_1167:                          ;   in Loop: Header=BB1153_979 Depth=2
	ds_load_b64 v[36:37], v108 offset:21504
	s_wait_dscnt 0x0
	v_cmp_ne_u64_e64 s30, s[34:35], v[36:37]
	s_wait_alu 0xf1ff
	s_delay_alu instid0(VALU_DEP_1) | instskip(SKIP_1) | instid1(VALU_DEP_1)
	v_cndmask_b32_e64 v37, 0x7fffffff, v37, s30
	v_cndmask_b32_e64 v36, -1, v36, s30
	v_lshrrev_b64 v[36:37], s31, v[36:37]
	s_delay_alu instid0(VALU_DEP_1)
	v_and_b32_e32 v151, s56, v36
	s_wait_alu 0xfffe
	s_or_b32 exec_lo, exec_lo, s42
	s_and_saveexec_b32 s42, s25
	s_cbranch_execz .LBB1153_1102
.LBB1153_1168:                          ;   in Loop: Header=BB1153_979 Depth=2
	ds_load_b64 v[36:37], v108 offset:23552
	s_wait_dscnt 0x0
	v_cmp_ne_u64_e64 s30, s[34:35], v[36:37]
	s_wait_alu 0xf1ff
	s_delay_alu instid0(VALU_DEP_1) | instskip(SKIP_1) | instid1(VALU_DEP_1)
	v_cndmask_b32_e64 v37, 0x7fffffff, v37, s30
	v_cndmask_b32_e64 v36, -1, v36, s30
	v_lshrrev_b64 v[36:37], s31, v[36:37]
	s_delay_alu instid0(VALU_DEP_1)
	v_and_b32_e32 v150, s56, v36
	s_wait_alu 0xfffe
	s_or_b32 exec_lo, exec_lo, s42
	s_and_saveexec_b32 s42, s26
	s_cbranch_execz .LBB1153_1103
.LBB1153_1169:                          ;   in Loop: Header=BB1153_979 Depth=2
	ds_load_b64 v[36:37], v108 offset:25600
	s_wait_dscnt 0x0
	v_cmp_ne_u64_e64 s30, s[34:35], v[36:37]
	s_wait_alu 0xf1ff
	s_delay_alu instid0(VALU_DEP_1) | instskip(SKIP_1) | instid1(VALU_DEP_1)
	v_cndmask_b32_e64 v37, 0x7fffffff, v37, s30
	v_cndmask_b32_e64 v36, -1, v36, s30
	v_lshrrev_b64 v[36:37], s31, v[36:37]
	s_delay_alu instid0(VALU_DEP_1)
	v_and_b32_e32 v149, s56, v36
	s_wait_alu 0xfffe
	s_or_b32 exec_lo, exec_lo, s42
	s_and_saveexec_b32 s42, s27
	s_cbranch_execz .LBB1153_1104
.LBB1153_1170:                          ;   in Loop: Header=BB1153_979 Depth=2
	ds_load_b64 v[36:37], v108 offset:27648
	s_wait_dscnt 0x0
	v_cmp_ne_u64_e64 s30, s[34:35], v[36:37]
	s_wait_alu 0xf1ff
	s_delay_alu instid0(VALU_DEP_1) | instskip(SKIP_1) | instid1(VALU_DEP_1)
	v_cndmask_b32_e64 v37, 0x7fffffff, v37, s30
	v_cndmask_b32_e64 v36, -1, v36, s30
	v_lshrrev_b64 v[36:37], s31, v[36:37]
	s_delay_alu instid0(VALU_DEP_1)
	v_and_b32_e32 v148, s56, v36
	s_wait_alu 0xfffe
	s_or_b32 exec_lo, exec_lo, s42
	s_and_saveexec_b32 s42, s28
	s_cbranch_execz .LBB1153_1105
.LBB1153_1171:                          ;   in Loop: Header=BB1153_979 Depth=2
	ds_load_b64 v[36:37], v108 offset:29696
	s_wait_dscnt 0x0
	v_cmp_ne_u64_e64 s30, s[34:35], v[36:37]
	s_wait_alu 0xf1ff
	s_delay_alu instid0(VALU_DEP_1) | instskip(SKIP_1) | instid1(VALU_DEP_1)
	v_cndmask_b32_e64 v37, 0x7fffffff, v37, s30
	v_cndmask_b32_e64 v36, -1, v36, s30
	v_lshrrev_b64 v[36:37], s31, v[36:37]
	s_delay_alu instid0(VALU_DEP_1)
	v_and_b32_e32 v147, s56, v36
	s_wait_alu 0xfffe
	s_or_b32 exec_lo, exec_lo, s42
	s_and_saveexec_b32 s42, s29
	s_cbranch_execnz .LBB1153_1106
	s_branch .LBB1153_1107
.LBB1153_1172:                          ;   in Loop: Header=BB1153_979 Depth=2
	v_lshlrev_b32_e32 v2, 2, v161
	ds_load_b32 v2, v2
	ds_load_b64 v[36:37], v108 offset:1024
	s_wait_dscnt 0x1
	v_add_nc_u32_e32 v2, v2, v1
	s_delay_alu instid0(VALU_DEP_1) | instskip(NEXT) | instid1(VALU_DEP_1)
	v_lshlrev_b64_e32 v[38:39], 3, v[2:3]
	v_add_co_u32 v38, vcc_lo, s46, v38
	s_wait_alu 0xfffd
	s_delay_alu instid0(VALU_DEP_2)
	v_add_co_ci_u32_e64 v39, null, s47, v39, vcc_lo
	s_wait_dscnt 0x0
	global_store_b64 v[38:39], v[36:37], off
	s_wait_alu 0xfffe
	s_or_b32 exec_lo, exec_lo, s30
	s_and_saveexec_b32 s30, s15
	s_cbranch_execz .LBB1153_1109
.LBB1153_1173:                          ;   in Loop: Header=BB1153_979 Depth=2
	v_lshlrev_b32_e32 v2, 2, v160
	ds_load_b32 v2, v2
	ds_load_b64 v[36:37], v108 offset:3072
	s_wait_dscnt 0x1
	v_add_nc_u32_e32 v2, v2, v77
	s_delay_alu instid0(VALU_DEP_1) | instskip(NEXT) | instid1(VALU_DEP_1)
	v_lshlrev_b64_e32 v[38:39], 3, v[2:3]
	v_add_co_u32 v38, vcc_lo, s46, v38
	s_wait_alu 0xfffd
	s_delay_alu instid0(VALU_DEP_2)
	v_add_co_ci_u32_e64 v39, null, s47, v39, vcc_lo
	s_wait_dscnt 0x0
	global_store_b64 v[38:39], v[36:37], off
	s_wait_alu 0xfffe
	s_or_b32 exec_lo, exec_lo, s30
	s_and_saveexec_b32 s15, s16
	s_cbranch_execz .LBB1153_1110
.LBB1153_1174:                          ;   in Loop: Header=BB1153_979 Depth=2
	v_lshlrev_b32_e32 v2, 2, v159
	ds_load_b32 v2, v2
	ds_load_b64 v[36:37], v108 offset:5120
	s_wait_dscnt 0x1
	v_add_nc_u32_e32 v2, v2, v78
	s_delay_alu instid0(VALU_DEP_1) | instskip(NEXT) | instid1(VALU_DEP_1)
	v_lshlrev_b64_e32 v[38:39], 3, v[2:3]
	v_add_co_u32 v38, vcc_lo, s46, v38
	s_wait_alu 0xfffd
	s_delay_alu instid0(VALU_DEP_2)
	v_add_co_ci_u32_e64 v39, null, s47, v39, vcc_lo
	s_wait_dscnt 0x0
	global_store_b64 v[38:39], v[36:37], off
	s_wait_alu 0xfffe
	s_or_b32 exec_lo, exec_lo, s15
	s_and_saveexec_b32 s15, s17
	s_cbranch_execz .LBB1153_1111
.LBB1153_1175:                          ;   in Loop: Header=BB1153_979 Depth=2
	v_lshlrev_b32_e32 v2, 2, v158
	ds_load_b32 v2, v2
	ds_load_b64 v[36:37], v108 offset:7168
	s_wait_dscnt 0x1
	v_add_nc_u32_e32 v2, v2, v79
	s_delay_alu instid0(VALU_DEP_1) | instskip(NEXT) | instid1(VALU_DEP_1)
	v_lshlrev_b64_e32 v[38:39], 3, v[2:3]
	v_add_co_u32 v38, vcc_lo, s46, v38
	s_wait_alu 0xfffd
	s_delay_alu instid0(VALU_DEP_2)
	v_add_co_ci_u32_e64 v39, null, s47, v39, vcc_lo
	s_wait_dscnt 0x0
	global_store_b64 v[38:39], v[36:37], off
	s_wait_alu 0xfffe
	s_or_b32 exec_lo, exec_lo, s15
	s_and_saveexec_b32 s15, s18
	s_cbranch_execz .LBB1153_1112
.LBB1153_1176:                          ;   in Loop: Header=BB1153_979 Depth=2
	v_lshlrev_b32_e32 v2, 2, v157
	ds_load_b32 v2, v2
	ds_load_b64 v[36:37], v108 offset:9216
	s_wait_dscnt 0x1
	v_add_nc_u32_e32 v2, v2, v82
	s_delay_alu instid0(VALU_DEP_1) | instskip(NEXT) | instid1(VALU_DEP_1)
	v_lshlrev_b64_e32 v[38:39], 3, v[2:3]
	v_add_co_u32 v38, vcc_lo, s46, v38
	s_wait_alu 0xfffd
	s_delay_alu instid0(VALU_DEP_2)
	v_add_co_ci_u32_e64 v39, null, s47, v39, vcc_lo
	s_wait_dscnt 0x0
	global_store_b64 v[38:39], v[36:37], off
	s_wait_alu 0xfffe
	s_or_b32 exec_lo, exec_lo, s15
	s_and_saveexec_b32 s15, s19
	s_cbranch_execz .LBB1153_1113
.LBB1153_1177:                          ;   in Loop: Header=BB1153_979 Depth=2
	v_lshlrev_b32_e32 v2, 2, v156
	ds_load_b32 v2, v2
	ds_load_b64 v[36:37], v108 offset:11264
	s_wait_dscnt 0x1
	v_add_nc_u32_e32 v2, v2, v83
	s_delay_alu instid0(VALU_DEP_1) | instskip(NEXT) | instid1(VALU_DEP_1)
	v_lshlrev_b64_e32 v[38:39], 3, v[2:3]
	v_add_co_u32 v38, vcc_lo, s46, v38
	s_wait_alu 0xfffd
	s_delay_alu instid0(VALU_DEP_2)
	v_add_co_ci_u32_e64 v39, null, s47, v39, vcc_lo
	s_wait_dscnt 0x0
	global_store_b64 v[38:39], v[36:37], off
	s_wait_alu 0xfffe
	s_or_b32 exec_lo, exec_lo, s15
	s_and_saveexec_b32 s15, s20
	s_cbranch_execz .LBB1153_1114
.LBB1153_1178:                          ;   in Loop: Header=BB1153_979 Depth=2
	v_lshlrev_b32_e32 v2, 2, v155
	ds_load_b32 v2, v2
	ds_load_b64 v[36:37], v108 offset:13312
	s_wait_dscnt 0x1
	v_add_nc_u32_e32 v2, v2, v84
	s_delay_alu instid0(VALU_DEP_1) | instskip(NEXT) | instid1(VALU_DEP_1)
	v_lshlrev_b64_e32 v[38:39], 3, v[2:3]
	v_add_co_u32 v38, vcc_lo, s46, v38
	s_wait_alu 0xfffd
	s_delay_alu instid0(VALU_DEP_2)
	v_add_co_ci_u32_e64 v39, null, s47, v39, vcc_lo
	s_wait_dscnt 0x0
	global_store_b64 v[38:39], v[36:37], off
	s_wait_alu 0xfffe
	s_or_b32 exec_lo, exec_lo, s15
	s_and_saveexec_b32 s15, s21
	s_cbranch_execz .LBB1153_1115
.LBB1153_1179:                          ;   in Loop: Header=BB1153_979 Depth=2
	v_lshlrev_b32_e32 v2, 2, v154
	ds_load_b32 v2, v2
	ds_load_b64 v[36:37], v108 offset:15360
	s_wait_dscnt 0x1
	v_add_nc_u32_e32 v2, v2, v85
	s_delay_alu instid0(VALU_DEP_1) | instskip(NEXT) | instid1(VALU_DEP_1)
	v_lshlrev_b64_e32 v[38:39], 3, v[2:3]
	v_add_co_u32 v38, vcc_lo, s46, v38
	s_wait_alu 0xfffd
	s_delay_alu instid0(VALU_DEP_2)
	v_add_co_ci_u32_e64 v39, null, s47, v39, vcc_lo
	s_wait_dscnt 0x0
	global_store_b64 v[38:39], v[36:37], off
	s_wait_alu 0xfffe
	s_or_b32 exec_lo, exec_lo, s15
	s_and_saveexec_b32 s15, s22
	s_cbranch_execz .LBB1153_1116
.LBB1153_1180:                          ;   in Loop: Header=BB1153_979 Depth=2
	v_lshlrev_b32_e32 v2, 2, v153
	ds_load_b32 v2, v2
	ds_load_b64 v[36:37], v108 offset:17408
	s_wait_dscnt 0x1
	v_add_nc_u32_e32 v2, v2, v86
	s_delay_alu instid0(VALU_DEP_1) | instskip(NEXT) | instid1(VALU_DEP_1)
	v_lshlrev_b64_e32 v[38:39], 3, v[2:3]
	v_add_co_u32 v38, vcc_lo, s46, v38
	s_wait_alu 0xfffd
	s_delay_alu instid0(VALU_DEP_2)
	v_add_co_ci_u32_e64 v39, null, s47, v39, vcc_lo
	s_wait_dscnt 0x0
	global_store_b64 v[38:39], v[36:37], off
	s_wait_alu 0xfffe
	s_or_b32 exec_lo, exec_lo, s15
	s_and_saveexec_b32 s15, s23
	s_cbranch_execz .LBB1153_1117
.LBB1153_1181:                          ;   in Loop: Header=BB1153_979 Depth=2
	v_lshlrev_b32_e32 v2, 2, v152
	ds_load_b32 v2, v2
	ds_load_b64 v[36:37], v108 offset:19456
	s_wait_dscnt 0x1
	v_add_nc_u32_e32 v2, v2, v87
	s_delay_alu instid0(VALU_DEP_1) | instskip(NEXT) | instid1(VALU_DEP_1)
	v_lshlrev_b64_e32 v[38:39], 3, v[2:3]
	v_add_co_u32 v38, vcc_lo, s46, v38
	s_wait_alu 0xfffd
	s_delay_alu instid0(VALU_DEP_2)
	v_add_co_ci_u32_e64 v39, null, s47, v39, vcc_lo
	s_wait_dscnt 0x0
	global_store_b64 v[38:39], v[36:37], off
	s_wait_alu 0xfffe
	s_or_b32 exec_lo, exec_lo, s15
	s_and_saveexec_b32 s15, s24
	s_cbranch_execz .LBB1153_1118
.LBB1153_1182:                          ;   in Loop: Header=BB1153_979 Depth=2
	v_lshlrev_b32_e32 v2, 2, v151
	ds_load_b32 v2, v2
	ds_load_b64 v[36:37], v108 offset:21504
	s_wait_dscnt 0x1
	v_add_nc_u32_e32 v2, v2, v88
	s_delay_alu instid0(VALU_DEP_1) | instskip(NEXT) | instid1(VALU_DEP_1)
	v_lshlrev_b64_e32 v[38:39], 3, v[2:3]
	v_add_co_u32 v38, vcc_lo, s46, v38
	s_wait_alu 0xfffd
	s_delay_alu instid0(VALU_DEP_2)
	v_add_co_ci_u32_e64 v39, null, s47, v39, vcc_lo
	s_wait_dscnt 0x0
	global_store_b64 v[38:39], v[36:37], off
	s_wait_alu 0xfffe
	s_or_b32 exec_lo, exec_lo, s15
	s_and_saveexec_b32 s15, s25
	s_cbranch_execz .LBB1153_1119
.LBB1153_1183:                          ;   in Loop: Header=BB1153_979 Depth=2
	v_lshlrev_b32_e32 v2, 2, v150
	ds_load_b32 v2, v2
	ds_load_b64 v[36:37], v108 offset:23552
	s_wait_dscnt 0x1
	v_add_nc_u32_e32 v2, v2, v89
	s_delay_alu instid0(VALU_DEP_1) | instskip(NEXT) | instid1(VALU_DEP_1)
	v_lshlrev_b64_e32 v[38:39], 3, v[2:3]
	v_add_co_u32 v38, vcc_lo, s46, v38
	s_wait_alu 0xfffd
	s_delay_alu instid0(VALU_DEP_2)
	v_add_co_ci_u32_e64 v39, null, s47, v39, vcc_lo
	s_wait_dscnt 0x0
	global_store_b64 v[38:39], v[36:37], off
	s_wait_alu 0xfffe
	s_or_b32 exec_lo, exec_lo, s15
	s_and_saveexec_b32 s15, s26
	s_cbranch_execz .LBB1153_1120
.LBB1153_1184:                          ;   in Loop: Header=BB1153_979 Depth=2
	v_lshlrev_b32_e32 v2, 2, v149
	ds_load_b32 v2, v2
	ds_load_b64 v[36:37], v108 offset:25600
	s_wait_dscnt 0x1
	v_add_nc_u32_e32 v2, v2, v90
	s_delay_alu instid0(VALU_DEP_1) | instskip(NEXT) | instid1(VALU_DEP_1)
	v_lshlrev_b64_e32 v[38:39], 3, v[2:3]
	v_add_co_u32 v38, vcc_lo, s46, v38
	s_wait_alu 0xfffd
	s_delay_alu instid0(VALU_DEP_2)
	v_add_co_ci_u32_e64 v39, null, s47, v39, vcc_lo
	s_wait_dscnt 0x0
	global_store_b64 v[38:39], v[36:37], off
	s_wait_alu 0xfffe
	s_or_b32 exec_lo, exec_lo, s15
	s_and_saveexec_b32 s15, s27
	s_cbranch_execz .LBB1153_1121
.LBB1153_1185:                          ;   in Loop: Header=BB1153_979 Depth=2
	v_lshlrev_b32_e32 v2, 2, v148
	ds_load_b32 v2, v2
	ds_load_b64 v[36:37], v108 offset:27648
	s_wait_dscnt 0x1
	v_add_nc_u32_e32 v2, v2, v91
	s_delay_alu instid0(VALU_DEP_1) | instskip(NEXT) | instid1(VALU_DEP_1)
	v_lshlrev_b64_e32 v[38:39], 3, v[2:3]
	v_add_co_u32 v38, vcc_lo, s46, v38
	s_wait_alu 0xfffd
	s_delay_alu instid0(VALU_DEP_2)
	v_add_co_ci_u32_e64 v39, null, s47, v39, vcc_lo
	s_wait_dscnt 0x0
	global_store_b64 v[38:39], v[36:37], off
	s_wait_alu 0xfffe
	s_or_b32 exec_lo, exec_lo, s15
	s_and_saveexec_b32 s15, s28
	s_cbranch_execz .LBB1153_1122
.LBB1153_1186:                          ;   in Loop: Header=BB1153_979 Depth=2
	v_lshlrev_b32_e32 v2, 2, v147
	ds_load_b32 v2, v2
	ds_load_b64 v[36:37], v108 offset:29696
	s_wait_dscnt 0x1
	v_add_nc_u32_e32 v2, v2, v92
	s_delay_alu instid0(VALU_DEP_1) | instskip(NEXT) | instid1(VALU_DEP_1)
	v_lshlrev_b64_e32 v[38:39], 3, v[2:3]
	v_add_co_u32 v38, vcc_lo, s46, v38
	s_wait_alu 0xfffd
	s_delay_alu instid0(VALU_DEP_2)
	v_add_co_ci_u32_e64 v39, null, s47, v39, vcc_lo
	s_wait_dscnt 0x0
	global_store_b64 v[38:39], v[36:37], off
	s_wait_alu 0xfffe
	s_or_b32 exec_lo, exec_lo, s15
	s_and_saveexec_b32 s15, s29
	s_cbranch_execnz .LBB1153_1123
	s_branch .LBB1153_1124
.LBB1153_1187:
	s_endpgm
	.section	.rodata,"a",@progbits
	.p2align	6, 0x0
	.amdhsa_kernel _ZN7rocprim17ROCPRIM_400000_NS6detail17trampoline_kernelINS0_14default_configENS1_36segmented_radix_sort_config_selectorIdlEEZNS1_25segmented_radix_sort_implIS3_Lb1EPKdPdPKlPlN2at6native12_GLOBAL__N_18offset_tEEE10hipError_tPvRmT1_PNSt15iterator_traitsISK_E10value_typeET2_T3_PNSL_ISQ_E10value_typeET4_jRbjT5_SW_jjP12ihipStream_tbEUlT_E2_NS1_11comp_targetILNS1_3genE10ELNS1_11target_archE1201ELNS1_3gpuE5ELNS1_3repE0EEENS1_30default_config_static_selectorELNS0_4arch9wavefront6targetE0EEEvSK_
		.amdhsa_group_segment_fixed_size 33824
		.amdhsa_private_segment_fixed_size 176
		.amdhsa_kernarg_size 336
		.amdhsa_user_sgpr_count 2
		.amdhsa_user_sgpr_dispatch_ptr 0
		.amdhsa_user_sgpr_queue_ptr 0
		.amdhsa_user_sgpr_kernarg_segment_ptr 1
		.amdhsa_user_sgpr_dispatch_id 0
		.amdhsa_user_sgpr_private_segment_size 0
		.amdhsa_wavefront_size32 1
		.amdhsa_uses_dynamic_stack 0
		.amdhsa_enable_private_segment 1
		.amdhsa_system_sgpr_workgroup_id_x 1
		.amdhsa_system_sgpr_workgroup_id_y 1
		.amdhsa_system_sgpr_workgroup_id_z 0
		.amdhsa_system_sgpr_workgroup_info 0
		.amdhsa_system_vgpr_workitem_id 2
		.amdhsa_next_free_vgpr 248
		.amdhsa_next_free_sgpr 60
		.amdhsa_reserve_vcc 1
		.amdhsa_float_round_mode_32 0
		.amdhsa_float_round_mode_16_64 0
		.amdhsa_float_denorm_mode_32 3
		.amdhsa_float_denorm_mode_16_64 3
		.amdhsa_fp16_overflow 0
		.amdhsa_workgroup_processor_mode 1
		.amdhsa_memory_ordered 1
		.amdhsa_forward_progress 1
		.amdhsa_inst_pref_size 255
		.amdhsa_round_robin_scheduling 0
		.amdhsa_exception_fp_ieee_invalid_op 0
		.amdhsa_exception_fp_denorm_src 0
		.amdhsa_exception_fp_ieee_div_zero 0
		.amdhsa_exception_fp_ieee_overflow 0
		.amdhsa_exception_fp_ieee_underflow 0
		.amdhsa_exception_fp_ieee_inexact 0
		.amdhsa_exception_int_div_zero 0
	.end_amdhsa_kernel
	.section	.text._ZN7rocprim17ROCPRIM_400000_NS6detail17trampoline_kernelINS0_14default_configENS1_36segmented_radix_sort_config_selectorIdlEEZNS1_25segmented_radix_sort_implIS3_Lb1EPKdPdPKlPlN2at6native12_GLOBAL__N_18offset_tEEE10hipError_tPvRmT1_PNSt15iterator_traitsISK_E10value_typeET2_T3_PNSL_ISQ_E10value_typeET4_jRbjT5_SW_jjP12ihipStream_tbEUlT_E2_NS1_11comp_targetILNS1_3genE10ELNS1_11target_archE1201ELNS1_3gpuE5ELNS1_3repE0EEENS1_30default_config_static_selectorELNS0_4arch9wavefront6targetE0EEEvSK_,"axG",@progbits,_ZN7rocprim17ROCPRIM_400000_NS6detail17trampoline_kernelINS0_14default_configENS1_36segmented_radix_sort_config_selectorIdlEEZNS1_25segmented_radix_sort_implIS3_Lb1EPKdPdPKlPlN2at6native12_GLOBAL__N_18offset_tEEE10hipError_tPvRmT1_PNSt15iterator_traitsISK_E10value_typeET2_T3_PNSL_ISQ_E10value_typeET4_jRbjT5_SW_jjP12ihipStream_tbEUlT_E2_NS1_11comp_targetILNS1_3genE10ELNS1_11target_archE1201ELNS1_3gpuE5ELNS1_3repE0EEENS1_30default_config_static_selectorELNS0_4arch9wavefront6targetE0EEEvSK_,comdat
.Lfunc_end1153:
	.size	_ZN7rocprim17ROCPRIM_400000_NS6detail17trampoline_kernelINS0_14default_configENS1_36segmented_radix_sort_config_selectorIdlEEZNS1_25segmented_radix_sort_implIS3_Lb1EPKdPdPKlPlN2at6native12_GLOBAL__N_18offset_tEEE10hipError_tPvRmT1_PNSt15iterator_traitsISK_E10value_typeET2_T3_PNSL_ISQ_E10value_typeET4_jRbjT5_SW_jjP12ihipStream_tbEUlT_E2_NS1_11comp_targetILNS1_3genE10ELNS1_11target_archE1201ELNS1_3gpuE5ELNS1_3repE0EEENS1_30default_config_static_selectorELNS0_4arch9wavefront6targetE0EEEvSK_, .Lfunc_end1153-_ZN7rocprim17ROCPRIM_400000_NS6detail17trampoline_kernelINS0_14default_configENS1_36segmented_radix_sort_config_selectorIdlEEZNS1_25segmented_radix_sort_implIS3_Lb1EPKdPdPKlPlN2at6native12_GLOBAL__N_18offset_tEEE10hipError_tPvRmT1_PNSt15iterator_traitsISK_E10value_typeET2_T3_PNSL_ISQ_E10value_typeET4_jRbjT5_SW_jjP12ihipStream_tbEUlT_E2_NS1_11comp_targetILNS1_3genE10ELNS1_11target_archE1201ELNS1_3gpuE5ELNS1_3repE0EEENS1_30default_config_static_selectorELNS0_4arch9wavefront6targetE0EEEvSK_
                                        ; -- End function
	.set _ZN7rocprim17ROCPRIM_400000_NS6detail17trampoline_kernelINS0_14default_configENS1_36segmented_radix_sort_config_selectorIdlEEZNS1_25segmented_radix_sort_implIS3_Lb1EPKdPdPKlPlN2at6native12_GLOBAL__N_18offset_tEEE10hipError_tPvRmT1_PNSt15iterator_traitsISK_E10value_typeET2_T3_PNSL_ISQ_E10value_typeET4_jRbjT5_SW_jjP12ihipStream_tbEUlT_E2_NS1_11comp_targetILNS1_3genE10ELNS1_11target_archE1201ELNS1_3gpuE5ELNS1_3repE0EEENS1_30default_config_static_selectorELNS0_4arch9wavefront6targetE0EEEvSK_.num_vgpr, max(216, .L_ZN7rocprim17ROCPRIM_400000_NS6detail26segmented_warp_sort_helperINS1_20WarpSortHelperConfigILj8ELj4ELj256EEEdlLi256ELb1EvE4sortIPKdPdPKlPlEEvT_S9_T0_T1_SC_T2_bjjjjRNS5_12storage_typeE.num_vgpr, .L_ZN7rocprim17ROCPRIM_400000_NS6detail40segmented_radix_sort_single_block_helperIdlLj256ELj16ELb1EE4sortIPKdPdPKlPlEEbT_T0_T1_T2_jjjjRNS3_12storage_typeE.num_vgpr)
	.set _ZN7rocprim17ROCPRIM_400000_NS6detail17trampoline_kernelINS0_14default_configENS1_36segmented_radix_sort_config_selectorIdlEEZNS1_25segmented_radix_sort_implIS3_Lb1EPKdPdPKlPlN2at6native12_GLOBAL__N_18offset_tEEE10hipError_tPvRmT1_PNSt15iterator_traitsISK_E10value_typeET2_T3_PNSL_ISQ_E10value_typeET4_jRbjT5_SW_jjP12ihipStream_tbEUlT_E2_NS1_11comp_targetILNS1_3genE10ELNS1_11target_archE1201ELNS1_3gpuE5ELNS1_3repE0EEENS1_30default_config_static_selectorELNS0_4arch9wavefront6targetE0EEEvSK_.num_agpr, max(0, .L_ZN7rocprim17ROCPRIM_400000_NS6detail26segmented_warp_sort_helperINS1_20WarpSortHelperConfigILj8ELj4ELj256EEEdlLi256ELb1EvE4sortIPKdPdPKlPlEEvT_S9_T0_T1_SC_T2_bjjjjRNS5_12storage_typeE.num_agpr, .L_ZN7rocprim17ROCPRIM_400000_NS6detail40segmented_radix_sort_single_block_helperIdlLj256ELj16ELb1EE4sortIPKdPdPKlPlEEbT_T0_T1_T2_jjjjRNS3_12storage_typeE.num_agpr)
	.set _ZN7rocprim17ROCPRIM_400000_NS6detail17trampoline_kernelINS0_14default_configENS1_36segmented_radix_sort_config_selectorIdlEEZNS1_25segmented_radix_sort_implIS3_Lb1EPKdPdPKlPlN2at6native12_GLOBAL__N_18offset_tEEE10hipError_tPvRmT1_PNSt15iterator_traitsISK_E10value_typeET2_T3_PNSL_ISQ_E10value_typeET4_jRbjT5_SW_jjP12ihipStream_tbEUlT_E2_NS1_11comp_targetILNS1_3genE10ELNS1_11target_archE1201ELNS1_3gpuE5ELNS1_3repE0EEENS1_30default_config_static_selectorELNS0_4arch9wavefront6targetE0EEEvSK_.numbered_sgpr, max(60, .L_ZN7rocprim17ROCPRIM_400000_NS6detail26segmented_warp_sort_helperINS1_20WarpSortHelperConfigILj8ELj4ELj256EEEdlLi256ELb1EvE4sortIPKdPdPKlPlEEvT_S9_T0_T1_SC_T2_bjjjjRNS5_12storage_typeE.numbered_sgpr, .L_ZN7rocprim17ROCPRIM_400000_NS6detail40segmented_radix_sort_single_block_helperIdlLj256ELj16ELb1EE4sortIPKdPdPKlPlEEbT_T0_T1_T2_jjjjRNS3_12storage_typeE.numbered_sgpr)
	.set _ZN7rocprim17ROCPRIM_400000_NS6detail17trampoline_kernelINS0_14default_configENS1_36segmented_radix_sort_config_selectorIdlEEZNS1_25segmented_radix_sort_implIS3_Lb1EPKdPdPKlPlN2at6native12_GLOBAL__N_18offset_tEEE10hipError_tPvRmT1_PNSt15iterator_traitsISK_E10value_typeET2_T3_PNSL_ISQ_E10value_typeET4_jRbjT5_SW_jjP12ihipStream_tbEUlT_E2_NS1_11comp_targetILNS1_3genE10ELNS1_11target_archE1201ELNS1_3gpuE5ELNS1_3repE0EEENS1_30default_config_static_selectorELNS0_4arch9wavefront6targetE0EEEvSK_.num_named_barrier, max(0, .L_ZN7rocprim17ROCPRIM_400000_NS6detail26segmented_warp_sort_helperINS1_20WarpSortHelperConfigILj8ELj4ELj256EEEdlLi256ELb1EvE4sortIPKdPdPKlPlEEvT_S9_T0_T1_SC_T2_bjjjjRNS5_12storage_typeE.num_named_barrier, .L_ZN7rocprim17ROCPRIM_400000_NS6detail40segmented_radix_sort_single_block_helperIdlLj256ELj16ELb1EE4sortIPKdPdPKlPlEEbT_T0_T1_T2_jjjjRNS3_12storage_typeE.num_named_barrier)
	.set _ZN7rocprim17ROCPRIM_400000_NS6detail17trampoline_kernelINS0_14default_configENS1_36segmented_radix_sort_config_selectorIdlEEZNS1_25segmented_radix_sort_implIS3_Lb1EPKdPdPKlPlN2at6native12_GLOBAL__N_18offset_tEEE10hipError_tPvRmT1_PNSt15iterator_traitsISK_E10value_typeET2_T3_PNSL_ISQ_E10value_typeET4_jRbjT5_SW_jjP12ihipStream_tbEUlT_E2_NS1_11comp_targetILNS1_3genE10ELNS1_11target_archE1201ELNS1_3gpuE5ELNS1_3repE0EEENS1_30default_config_static_selectorELNS0_4arch9wavefront6targetE0EEEvSK_.private_seg_size, 0+max(.L_ZN7rocprim17ROCPRIM_400000_NS6detail26segmented_warp_sort_helperINS1_20WarpSortHelperConfigILj8ELj4ELj256EEEdlLi256ELb1EvE4sortIPKdPdPKlPlEEvT_S9_T0_T1_SC_T2_bjjjjRNS5_12storage_typeE.private_seg_size, .L_ZN7rocprim17ROCPRIM_400000_NS6detail40segmented_radix_sort_single_block_helperIdlLj256ELj16ELb1EE4sortIPKdPdPKlPlEEbT_T0_T1_T2_jjjjRNS3_12storage_typeE.private_seg_size)
	.set _ZN7rocprim17ROCPRIM_400000_NS6detail17trampoline_kernelINS0_14default_configENS1_36segmented_radix_sort_config_selectorIdlEEZNS1_25segmented_radix_sort_implIS3_Lb1EPKdPdPKlPlN2at6native12_GLOBAL__N_18offset_tEEE10hipError_tPvRmT1_PNSt15iterator_traitsISK_E10value_typeET2_T3_PNSL_ISQ_E10value_typeET4_jRbjT5_SW_jjP12ihipStream_tbEUlT_E2_NS1_11comp_targetILNS1_3genE10ELNS1_11target_archE1201ELNS1_3gpuE5ELNS1_3repE0EEENS1_30default_config_static_selectorELNS0_4arch9wavefront6targetE0EEEvSK_.uses_vcc, or(1, .L_ZN7rocprim17ROCPRIM_400000_NS6detail26segmented_warp_sort_helperINS1_20WarpSortHelperConfigILj8ELj4ELj256EEEdlLi256ELb1EvE4sortIPKdPdPKlPlEEvT_S9_T0_T1_SC_T2_bjjjjRNS5_12storage_typeE.uses_vcc, .L_ZN7rocprim17ROCPRIM_400000_NS6detail40segmented_radix_sort_single_block_helperIdlLj256ELj16ELb1EE4sortIPKdPdPKlPlEEbT_T0_T1_T2_jjjjRNS3_12storage_typeE.uses_vcc)
	.set _ZN7rocprim17ROCPRIM_400000_NS6detail17trampoline_kernelINS0_14default_configENS1_36segmented_radix_sort_config_selectorIdlEEZNS1_25segmented_radix_sort_implIS3_Lb1EPKdPdPKlPlN2at6native12_GLOBAL__N_18offset_tEEE10hipError_tPvRmT1_PNSt15iterator_traitsISK_E10value_typeET2_T3_PNSL_ISQ_E10value_typeET4_jRbjT5_SW_jjP12ihipStream_tbEUlT_E2_NS1_11comp_targetILNS1_3genE10ELNS1_11target_archE1201ELNS1_3gpuE5ELNS1_3repE0EEENS1_30default_config_static_selectorELNS0_4arch9wavefront6targetE0EEEvSK_.uses_flat_scratch, or(0, .L_ZN7rocprim17ROCPRIM_400000_NS6detail26segmented_warp_sort_helperINS1_20WarpSortHelperConfigILj8ELj4ELj256EEEdlLi256ELb1EvE4sortIPKdPdPKlPlEEvT_S9_T0_T1_SC_T2_bjjjjRNS5_12storage_typeE.uses_flat_scratch, .L_ZN7rocprim17ROCPRIM_400000_NS6detail40segmented_radix_sort_single_block_helperIdlLj256ELj16ELb1EE4sortIPKdPdPKlPlEEbT_T0_T1_T2_jjjjRNS3_12storage_typeE.uses_flat_scratch)
	.set _ZN7rocprim17ROCPRIM_400000_NS6detail17trampoline_kernelINS0_14default_configENS1_36segmented_radix_sort_config_selectorIdlEEZNS1_25segmented_radix_sort_implIS3_Lb1EPKdPdPKlPlN2at6native12_GLOBAL__N_18offset_tEEE10hipError_tPvRmT1_PNSt15iterator_traitsISK_E10value_typeET2_T3_PNSL_ISQ_E10value_typeET4_jRbjT5_SW_jjP12ihipStream_tbEUlT_E2_NS1_11comp_targetILNS1_3genE10ELNS1_11target_archE1201ELNS1_3gpuE5ELNS1_3repE0EEENS1_30default_config_static_selectorELNS0_4arch9wavefront6targetE0EEEvSK_.has_dyn_sized_stack, or(0, .L_ZN7rocprim17ROCPRIM_400000_NS6detail26segmented_warp_sort_helperINS1_20WarpSortHelperConfigILj8ELj4ELj256EEEdlLi256ELb1EvE4sortIPKdPdPKlPlEEvT_S9_T0_T1_SC_T2_bjjjjRNS5_12storage_typeE.has_dyn_sized_stack, .L_ZN7rocprim17ROCPRIM_400000_NS6detail40segmented_radix_sort_single_block_helperIdlLj256ELj16ELb1EE4sortIPKdPdPKlPlEEbT_T0_T1_T2_jjjjRNS3_12storage_typeE.has_dyn_sized_stack)
	.set _ZN7rocprim17ROCPRIM_400000_NS6detail17trampoline_kernelINS0_14default_configENS1_36segmented_radix_sort_config_selectorIdlEEZNS1_25segmented_radix_sort_implIS3_Lb1EPKdPdPKlPlN2at6native12_GLOBAL__N_18offset_tEEE10hipError_tPvRmT1_PNSt15iterator_traitsISK_E10value_typeET2_T3_PNSL_ISQ_E10value_typeET4_jRbjT5_SW_jjP12ihipStream_tbEUlT_E2_NS1_11comp_targetILNS1_3genE10ELNS1_11target_archE1201ELNS1_3gpuE5ELNS1_3repE0EEENS1_30default_config_static_selectorELNS0_4arch9wavefront6targetE0EEEvSK_.has_recursion, or(0, .L_ZN7rocprim17ROCPRIM_400000_NS6detail26segmented_warp_sort_helperINS1_20WarpSortHelperConfigILj8ELj4ELj256EEEdlLi256ELb1EvE4sortIPKdPdPKlPlEEvT_S9_T0_T1_SC_T2_bjjjjRNS5_12storage_typeE.has_recursion, .L_ZN7rocprim17ROCPRIM_400000_NS6detail40segmented_radix_sort_single_block_helperIdlLj256ELj16ELb1EE4sortIPKdPdPKlPlEEbT_T0_T1_T2_jjjjRNS3_12storage_typeE.has_recursion)
	.set _ZN7rocprim17ROCPRIM_400000_NS6detail17trampoline_kernelINS0_14default_configENS1_36segmented_radix_sort_config_selectorIdlEEZNS1_25segmented_radix_sort_implIS3_Lb1EPKdPdPKlPlN2at6native12_GLOBAL__N_18offset_tEEE10hipError_tPvRmT1_PNSt15iterator_traitsISK_E10value_typeET2_T3_PNSL_ISQ_E10value_typeET4_jRbjT5_SW_jjP12ihipStream_tbEUlT_E2_NS1_11comp_targetILNS1_3genE10ELNS1_11target_archE1201ELNS1_3gpuE5ELNS1_3repE0EEENS1_30default_config_static_selectorELNS0_4arch9wavefront6targetE0EEEvSK_.has_indirect_call, or(0, .L_ZN7rocprim17ROCPRIM_400000_NS6detail26segmented_warp_sort_helperINS1_20WarpSortHelperConfigILj8ELj4ELj256EEEdlLi256ELb1EvE4sortIPKdPdPKlPlEEvT_S9_T0_T1_SC_T2_bjjjjRNS5_12storage_typeE.has_indirect_call, .L_ZN7rocprim17ROCPRIM_400000_NS6detail40segmented_radix_sort_single_block_helperIdlLj256ELj16ELb1EE4sortIPKdPdPKlPlEEbT_T0_T1_T2_jjjjRNS3_12storage_typeE.has_indirect_call)
	.section	.AMDGPU.csdata,"",@progbits
; Kernel info:
; codeLenInByte = 91436
; TotalNumSgprs: 62
; NumVgprs: 248
; ScratchSize: 176
; MemoryBound: 0
; FloatMode: 240
; IeeeMode: 1
; LDSByteSize: 33824 bytes/workgroup (compile time only)
; SGPRBlocks: 0
; VGPRBlocks: 30
; NumSGPRsForWavesPerEU: 62
; NumVGPRsForWavesPerEU: 248
; Occupancy: 5
; WaveLimiterHint : 1
; COMPUTE_PGM_RSRC2:SCRATCH_EN: 1
; COMPUTE_PGM_RSRC2:USER_SGPR: 2
; COMPUTE_PGM_RSRC2:TRAP_HANDLER: 0
; COMPUTE_PGM_RSRC2:TGID_X_EN: 1
; COMPUTE_PGM_RSRC2:TGID_Y_EN: 1
; COMPUTE_PGM_RSRC2:TGID_Z_EN: 0
; COMPUTE_PGM_RSRC2:TIDIG_COMP_CNT: 2
	.section	.text._ZN7rocprim17ROCPRIM_400000_NS6detail17trampoline_kernelINS0_14default_configENS1_36segmented_radix_sort_config_selectorIdlEEZNS1_25segmented_radix_sort_implIS3_Lb1EPKdPdPKlPlN2at6native12_GLOBAL__N_18offset_tEEE10hipError_tPvRmT1_PNSt15iterator_traitsISK_E10value_typeET2_T3_PNSL_ISQ_E10value_typeET4_jRbjT5_SW_jjP12ihipStream_tbEUlT_E2_NS1_11comp_targetILNS1_3genE10ELNS1_11target_archE1200ELNS1_3gpuE4ELNS1_3repE0EEENS1_30default_config_static_selectorELNS0_4arch9wavefront6targetE0EEEvSK_,"axG",@progbits,_ZN7rocprim17ROCPRIM_400000_NS6detail17trampoline_kernelINS0_14default_configENS1_36segmented_radix_sort_config_selectorIdlEEZNS1_25segmented_radix_sort_implIS3_Lb1EPKdPdPKlPlN2at6native12_GLOBAL__N_18offset_tEEE10hipError_tPvRmT1_PNSt15iterator_traitsISK_E10value_typeET2_T3_PNSL_ISQ_E10value_typeET4_jRbjT5_SW_jjP12ihipStream_tbEUlT_E2_NS1_11comp_targetILNS1_3genE10ELNS1_11target_archE1200ELNS1_3gpuE4ELNS1_3repE0EEENS1_30default_config_static_selectorELNS0_4arch9wavefront6targetE0EEEvSK_,comdat
	.globl	_ZN7rocprim17ROCPRIM_400000_NS6detail17trampoline_kernelINS0_14default_configENS1_36segmented_radix_sort_config_selectorIdlEEZNS1_25segmented_radix_sort_implIS3_Lb1EPKdPdPKlPlN2at6native12_GLOBAL__N_18offset_tEEE10hipError_tPvRmT1_PNSt15iterator_traitsISK_E10value_typeET2_T3_PNSL_ISQ_E10value_typeET4_jRbjT5_SW_jjP12ihipStream_tbEUlT_E2_NS1_11comp_targetILNS1_3genE10ELNS1_11target_archE1200ELNS1_3gpuE4ELNS1_3repE0EEENS1_30default_config_static_selectorELNS0_4arch9wavefront6targetE0EEEvSK_ ; -- Begin function _ZN7rocprim17ROCPRIM_400000_NS6detail17trampoline_kernelINS0_14default_configENS1_36segmented_radix_sort_config_selectorIdlEEZNS1_25segmented_radix_sort_implIS3_Lb1EPKdPdPKlPlN2at6native12_GLOBAL__N_18offset_tEEE10hipError_tPvRmT1_PNSt15iterator_traitsISK_E10value_typeET2_T3_PNSL_ISQ_E10value_typeET4_jRbjT5_SW_jjP12ihipStream_tbEUlT_E2_NS1_11comp_targetILNS1_3genE10ELNS1_11target_archE1200ELNS1_3gpuE4ELNS1_3repE0EEENS1_30default_config_static_selectorELNS0_4arch9wavefront6targetE0EEEvSK_
	.p2align	8
	.type	_ZN7rocprim17ROCPRIM_400000_NS6detail17trampoline_kernelINS0_14default_configENS1_36segmented_radix_sort_config_selectorIdlEEZNS1_25segmented_radix_sort_implIS3_Lb1EPKdPdPKlPlN2at6native12_GLOBAL__N_18offset_tEEE10hipError_tPvRmT1_PNSt15iterator_traitsISK_E10value_typeET2_T3_PNSL_ISQ_E10value_typeET4_jRbjT5_SW_jjP12ihipStream_tbEUlT_E2_NS1_11comp_targetILNS1_3genE10ELNS1_11target_archE1200ELNS1_3gpuE4ELNS1_3repE0EEENS1_30default_config_static_selectorELNS0_4arch9wavefront6targetE0EEEvSK_,@function
_ZN7rocprim17ROCPRIM_400000_NS6detail17trampoline_kernelINS0_14default_configENS1_36segmented_radix_sort_config_selectorIdlEEZNS1_25segmented_radix_sort_implIS3_Lb1EPKdPdPKlPlN2at6native12_GLOBAL__N_18offset_tEEE10hipError_tPvRmT1_PNSt15iterator_traitsISK_E10value_typeET2_T3_PNSL_ISQ_E10value_typeET4_jRbjT5_SW_jjP12ihipStream_tbEUlT_E2_NS1_11comp_targetILNS1_3genE10ELNS1_11target_archE1200ELNS1_3gpuE4ELNS1_3repE0EEENS1_30default_config_static_selectorELNS0_4arch9wavefront6targetE0EEEvSK_: ; @_ZN7rocprim17ROCPRIM_400000_NS6detail17trampoline_kernelINS0_14default_configENS1_36segmented_radix_sort_config_selectorIdlEEZNS1_25segmented_radix_sort_implIS3_Lb1EPKdPdPKlPlN2at6native12_GLOBAL__N_18offset_tEEE10hipError_tPvRmT1_PNSt15iterator_traitsISK_E10value_typeET2_T3_PNSL_ISQ_E10value_typeET4_jRbjT5_SW_jjP12ihipStream_tbEUlT_E2_NS1_11comp_targetILNS1_3genE10ELNS1_11target_archE1200ELNS1_3gpuE4ELNS1_3repE0EEENS1_30default_config_static_selectorELNS0_4arch9wavefront6targetE0EEEvSK_
; %bb.0:
	.section	.rodata,"a",@progbits
	.p2align	6, 0x0
	.amdhsa_kernel _ZN7rocprim17ROCPRIM_400000_NS6detail17trampoline_kernelINS0_14default_configENS1_36segmented_radix_sort_config_selectorIdlEEZNS1_25segmented_radix_sort_implIS3_Lb1EPKdPdPKlPlN2at6native12_GLOBAL__N_18offset_tEEE10hipError_tPvRmT1_PNSt15iterator_traitsISK_E10value_typeET2_T3_PNSL_ISQ_E10value_typeET4_jRbjT5_SW_jjP12ihipStream_tbEUlT_E2_NS1_11comp_targetILNS1_3genE10ELNS1_11target_archE1200ELNS1_3gpuE4ELNS1_3repE0EEENS1_30default_config_static_selectorELNS0_4arch9wavefront6targetE0EEEvSK_
		.amdhsa_group_segment_fixed_size 0
		.amdhsa_private_segment_fixed_size 0
		.amdhsa_kernarg_size 80
		.amdhsa_user_sgpr_count 2
		.amdhsa_user_sgpr_dispatch_ptr 0
		.amdhsa_user_sgpr_queue_ptr 0
		.amdhsa_user_sgpr_kernarg_segment_ptr 1
		.amdhsa_user_sgpr_dispatch_id 0
		.amdhsa_user_sgpr_private_segment_size 0
		.amdhsa_wavefront_size32 1
		.amdhsa_uses_dynamic_stack 0
		.amdhsa_enable_private_segment 0
		.amdhsa_system_sgpr_workgroup_id_x 1
		.amdhsa_system_sgpr_workgroup_id_y 0
		.amdhsa_system_sgpr_workgroup_id_z 0
		.amdhsa_system_sgpr_workgroup_info 0
		.amdhsa_system_vgpr_workitem_id 0
		.amdhsa_next_free_vgpr 1
		.amdhsa_next_free_sgpr 1
		.amdhsa_reserve_vcc 0
		.amdhsa_float_round_mode_32 0
		.amdhsa_float_round_mode_16_64 0
		.amdhsa_float_denorm_mode_32 3
		.amdhsa_float_denorm_mode_16_64 3
		.amdhsa_fp16_overflow 0
		.amdhsa_workgroup_processor_mode 1
		.amdhsa_memory_ordered 1
		.amdhsa_forward_progress 1
		.amdhsa_inst_pref_size 0
		.amdhsa_round_robin_scheduling 0
		.amdhsa_exception_fp_ieee_invalid_op 0
		.amdhsa_exception_fp_denorm_src 0
		.amdhsa_exception_fp_ieee_div_zero 0
		.amdhsa_exception_fp_ieee_overflow 0
		.amdhsa_exception_fp_ieee_underflow 0
		.amdhsa_exception_fp_ieee_inexact 0
		.amdhsa_exception_int_div_zero 0
	.end_amdhsa_kernel
	.section	.text._ZN7rocprim17ROCPRIM_400000_NS6detail17trampoline_kernelINS0_14default_configENS1_36segmented_radix_sort_config_selectorIdlEEZNS1_25segmented_radix_sort_implIS3_Lb1EPKdPdPKlPlN2at6native12_GLOBAL__N_18offset_tEEE10hipError_tPvRmT1_PNSt15iterator_traitsISK_E10value_typeET2_T3_PNSL_ISQ_E10value_typeET4_jRbjT5_SW_jjP12ihipStream_tbEUlT_E2_NS1_11comp_targetILNS1_3genE10ELNS1_11target_archE1200ELNS1_3gpuE4ELNS1_3repE0EEENS1_30default_config_static_selectorELNS0_4arch9wavefront6targetE0EEEvSK_,"axG",@progbits,_ZN7rocprim17ROCPRIM_400000_NS6detail17trampoline_kernelINS0_14default_configENS1_36segmented_radix_sort_config_selectorIdlEEZNS1_25segmented_radix_sort_implIS3_Lb1EPKdPdPKlPlN2at6native12_GLOBAL__N_18offset_tEEE10hipError_tPvRmT1_PNSt15iterator_traitsISK_E10value_typeET2_T3_PNSL_ISQ_E10value_typeET4_jRbjT5_SW_jjP12ihipStream_tbEUlT_E2_NS1_11comp_targetILNS1_3genE10ELNS1_11target_archE1200ELNS1_3gpuE4ELNS1_3repE0EEENS1_30default_config_static_selectorELNS0_4arch9wavefront6targetE0EEEvSK_,comdat
.Lfunc_end1154:
	.size	_ZN7rocprim17ROCPRIM_400000_NS6detail17trampoline_kernelINS0_14default_configENS1_36segmented_radix_sort_config_selectorIdlEEZNS1_25segmented_radix_sort_implIS3_Lb1EPKdPdPKlPlN2at6native12_GLOBAL__N_18offset_tEEE10hipError_tPvRmT1_PNSt15iterator_traitsISK_E10value_typeET2_T3_PNSL_ISQ_E10value_typeET4_jRbjT5_SW_jjP12ihipStream_tbEUlT_E2_NS1_11comp_targetILNS1_3genE10ELNS1_11target_archE1200ELNS1_3gpuE4ELNS1_3repE0EEENS1_30default_config_static_selectorELNS0_4arch9wavefront6targetE0EEEvSK_, .Lfunc_end1154-_ZN7rocprim17ROCPRIM_400000_NS6detail17trampoline_kernelINS0_14default_configENS1_36segmented_radix_sort_config_selectorIdlEEZNS1_25segmented_radix_sort_implIS3_Lb1EPKdPdPKlPlN2at6native12_GLOBAL__N_18offset_tEEE10hipError_tPvRmT1_PNSt15iterator_traitsISK_E10value_typeET2_T3_PNSL_ISQ_E10value_typeET4_jRbjT5_SW_jjP12ihipStream_tbEUlT_E2_NS1_11comp_targetILNS1_3genE10ELNS1_11target_archE1200ELNS1_3gpuE4ELNS1_3repE0EEENS1_30default_config_static_selectorELNS0_4arch9wavefront6targetE0EEEvSK_
                                        ; -- End function
	.set _ZN7rocprim17ROCPRIM_400000_NS6detail17trampoline_kernelINS0_14default_configENS1_36segmented_radix_sort_config_selectorIdlEEZNS1_25segmented_radix_sort_implIS3_Lb1EPKdPdPKlPlN2at6native12_GLOBAL__N_18offset_tEEE10hipError_tPvRmT1_PNSt15iterator_traitsISK_E10value_typeET2_T3_PNSL_ISQ_E10value_typeET4_jRbjT5_SW_jjP12ihipStream_tbEUlT_E2_NS1_11comp_targetILNS1_3genE10ELNS1_11target_archE1200ELNS1_3gpuE4ELNS1_3repE0EEENS1_30default_config_static_selectorELNS0_4arch9wavefront6targetE0EEEvSK_.num_vgpr, 0
	.set _ZN7rocprim17ROCPRIM_400000_NS6detail17trampoline_kernelINS0_14default_configENS1_36segmented_radix_sort_config_selectorIdlEEZNS1_25segmented_radix_sort_implIS3_Lb1EPKdPdPKlPlN2at6native12_GLOBAL__N_18offset_tEEE10hipError_tPvRmT1_PNSt15iterator_traitsISK_E10value_typeET2_T3_PNSL_ISQ_E10value_typeET4_jRbjT5_SW_jjP12ihipStream_tbEUlT_E2_NS1_11comp_targetILNS1_3genE10ELNS1_11target_archE1200ELNS1_3gpuE4ELNS1_3repE0EEENS1_30default_config_static_selectorELNS0_4arch9wavefront6targetE0EEEvSK_.num_agpr, 0
	.set _ZN7rocprim17ROCPRIM_400000_NS6detail17trampoline_kernelINS0_14default_configENS1_36segmented_radix_sort_config_selectorIdlEEZNS1_25segmented_radix_sort_implIS3_Lb1EPKdPdPKlPlN2at6native12_GLOBAL__N_18offset_tEEE10hipError_tPvRmT1_PNSt15iterator_traitsISK_E10value_typeET2_T3_PNSL_ISQ_E10value_typeET4_jRbjT5_SW_jjP12ihipStream_tbEUlT_E2_NS1_11comp_targetILNS1_3genE10ELNS1_11target_archE1200ELNS1_3gpuE4ELNS1_3repE0EEENS1_30default_config_static_selectorELNS0_4arch9wavefront6targetE0EEEvSK_.numbered_sgpr, 0
	.set _ZN7rocprim17ROCPRIM_400000_NS6detail17trampoline_kernelINS0_14default_configENS1_36segmented_radix_sort_config_selectorIdlEEZNS1_25segmented_radix_sort_implIS3_Lb1EPKdPdPKlPlN2at6native12_GLOBAL__N_18offset_tEEE10hipError_tPvRmT1_PNSt15iterator_traitsISK_E10value_typeET2_T3_PNSL_ISQ_E10value_typeET4_jRbjT5_SW_jjP12ihipStream_tbEUlT_E2_NS1_11comp_targetILNS1_3genE10ELNS1_11target_archE1200ELNS1_3gpuE4ELNS1_3repE0EEENS1_30default_config_static_selectorELNS0_4arch9wavefront6targetE0EEEvSK_.num_named_barrier, 0
	.set _ZN7rocprim17ROCPRIM_400000_NS6detail17trampoline_kernelINS0_14default_configENS1_36segmented_radix_sort_config_selectorIdlEEZNS1_25segmented_radix_sort_implIS3_Lb1EPKdPdPKlPlN2at6native12_GLOBAL__N_18offset_tEEE10hipError_tPvRmT1_PNSt15iterator_traitsISK_E10value_typeET2_T3_PNSL_ISQ_E10value_typeET4_jRbjT5_SW_jjP12ihipStream_tbEUlT_E2_NS1_11comp_targetILNS1_3genE10ELNS1_11target_archE1200ELNS1_3gpuE4ELNS1_3repE0EEENS1_30default_config_static_selectorELNS0_4arch9wavefront6targetE0EEEvSK_.private_seg_size, 0
	.set _ZN7rocprim17ROCPRIM_400000_NS6detail17trampoline_kernelINS0_14default_configENS1_36segmented_radix_sort_config_selectorIdlEEZNS1_25segmented_radix_sort_implIS3_Lb1EPKdPdPKlPlN2at6native12_GLOBAL__N_18offset_tEEE10hipError_tPvRmT1_PNSt15iterator_traitsISK_E10value_typeET2_T3_PNSL_ISQ_E10value_typeET4_jRbjT5_SW_jjP12ihipStream_tbEUlT_E2_NS1_11comp_targetILNS1_3genE10ELNS1_11target_archE1200ELNS1_3gpuE4ELNS1_3repE0EEENS1_30default_config_static_selectorELNS0_4arch9wavefront6targetE0EEEvSK_.uses_vcc, 0
	.set _ZN7rocprim17ROCPRIM_400000_NS6detail17trampoline_kernelINS0_14default_configENS1_36segmented_radix_sort_config_selectorIdlEEZNS1_25segmented_radix_sort_implIS3_Lb1EPKdPdPKlPlN2at6native12_GLOBAL__N_18offset_tEEE10hipError_tPvRmT1_PNSt15iterator_traitsISK_E10value_typeET2_T3_PNSL_ISQ_E10value_typeET4_jRbjT5_SW_jjP12ihipStream_tbEUlT_E2_NS1_11comp_targetILNS1_3genE10ELNS1_11target_archE1200ELNS1_3gpuE4ELNS1_3repE0EEENS1_30default_config_static_selectorELNS0_4arch9wavefront6targetE0EEEvSK_.uses_flat_scratch, 0
	.set _ZN7rocprim17ROCPRIM_400000_NS6detail17trampoline_kernelINS0_14default_configENS1_36segmented_radix_sort_config_selectorIdlEEZNS1_25segmented_radix_sort_implIS3_Lb1EPKdPdPKlPlN2at6native12_GLOBAL__N_18offset_tEEE10hipError_tPvRmT1_PNSt15iterator_traitsISK_E10value_typeET2_T3_PNSL_ISQ_E10value_typeET4_jRbjT5_SW_jjP12ihipStream_tbEUlT_E2_NS1_11comp_targetILNS1_3genE10ELNS1_11target_archE1200ELNS1_3gpuE4ELNS1_3repE0EEENS1_30default_config_static_selectorELNS0_4arch9wavefront6targetE0EEEvSK_.has_dyn_sized_stack, 0
	.set _ZN7rocprim17ROCPRIM_400000_NS6detail17trampoline_kernelINS0_14default_configENS1_36segmented_radix_sort_config_selectorIdlEEZNS1_25segmented_radix_sort_implIS3_Lb1EPKdPdPKlPlN2at6native12_GLOBAL__N_18offset_tEEE10hipError_tPvRmT1_PNSt15iterator_traitsISK_E10value_typeET2_T3_PNSL_ISQ_E10value_typeET4_jRbjT5_SW_jjP12ihipStream_tbEUlT_E2_NS1_11comp_targetILNS1_3genE10ELNS1_11target_archE1200ELNS1_3gpuE4ELNS1_3repE0EEENS1_30default_config_static_selectorELNS0_4arch9wavefront6targetE0EEEvSK_.has_recursion, 0
	.set _ZN7rocprim17ROCPRIM_400000_NS6detail17trampoline_kernelINS0_14default_configENS1_36segmented_radix_sort_config_selectorIdlEEZNS1_25segmented_radix_sort_implIS3_Lb1EPKdPdPKlPlN2at6native12_GLOBAL__N_18offset_tEEE10hipError_tPvRmT1_PNSt15iterator_traitsISK_E10value_typeET2_T3_PNSL_ISQ_E10value_typeET4_jRbjT5_SW_jjP12ihipStream_tbEUlT_E2_NS1_11comp_targetILNS1_3genE10ELNS1_11target_archE1200ELNS1_3gpuE4ELNS1_3repE0EEENS1_30default_config_static_selectorELNS0_4arch9wavefront6targetE0EEEvSK_.has_indirect_call, 0
	.section	.AMDGPU.csdata,"",@progbits
; Kernel info:
; codeLenInByte = 0
; TotalNumSgprs: 0
; NumVgprs: 0
; ScratchSize: 0
; MemoryBound: 0
; FloatMode: 240
; IeeeMode: 1
; LDSByteSize: 0 bytes/workgroup (compile time only)
; SGPRBlocks: 0
; VGPRBlocks: 0
; NumSGPRsForWavesPerEU: 1
; NumVGPRsForWavesPerEU: 1
; Occupancy: 16
; WaveLimiterHint : 0
; COMPUTE_PGM_RSRC2:SCRATCH_EN: 0
; COMPUTE_PGM_RSRC2:USER_SGPR: 2
; COMPUTE_PGM_RSRC2:TRAP_HANDLER: 0
; COMPUTE_PGM_RSRC2:TGID_X_EN: 1
; COMPUTE_PGM_RSRC2:TGID_Y_EN: 0
; COMPUTE_PGM_RSRC2:TGID_Z_EN: 0
; COMPUTE_PGM_RSRC2:TIDIG_COMP_CNT: 0
	.section	.text._ZN7rocprim17ROCPRIM_400000_NS6detail17trampoline_kernelINS0_14default_configENS1_36segmented_radix_sort_config_selectorIdlEEZNS1_25segmented_radix_sort_implIS3_Lb1EPKdPdPKlPlN2at6native12_GLOBAL__N_18offset_tEEE10hipError_tPvRmT1_PNSt15iterator_traitsISK_E10value_typeET2_T3_PNSL_ISQ_E10value_typeET4_jRbjT5_SW_jjP12ihipStream_tbEUlT_E2_NS1_11comp_targetILNS1_3genE9ELNS1_11target_archE1100ELNS1_3gpuE3ELNS1_3repE0EEENS1_30default_config_static_selectorELNS0_4arch9wavefront6targetE0EEEvSK_,"axG",@progbits,_ZN7rocprim17ROCPRIM_400000_NS6detail17trampoline_kernelINS0_14default_configENS1_36segmented_radix_sort_config_selectorIdlEEZNS1_25segmented_radix_sort_implIS3_Lb1EPKdPdPKlPlN2at6native12_GLOBAL__N_18offset_tEEE10hipError_tPvRmT1_PNSt15iterator_traitsISK_E10value_typeET2_T3_PNSL_ISQ_E10value_typeET4_jRbjT5_SW_jjP12ihipStream_tbEUlT_E2_NS1_11comp_targetILNS1_3genE9ELNS1_11target_archE1100ELNS1_3gpuE3ELNS1_3repE0EEENS1_30default_config_static_selectorELNS0_4arch9wavefront6targetE0EEEvSK_,comdat
	.globl	_ZN7rocprim17ROCPRIM_400000_NS6detail17trampoline_kernelINS0_14default_configENS1_36segmented_radix_sort_config_selectorIdlEEZNS1_25segmented_radix_sort_implIS3_Lb1EPKdPdPKlPlN2at6native12_GLOBAL__N_18offset_tEEE10hipError_tPvRmT1_PNSt15iterator_traitsISK_E10value_typeET2_T3_PNSL_ISQ_E10value_typeET4_jRbjT5_SW_jjP12ihipStream_tbEUlT_E2_NS1_11comp_targetILNS1_3genE9ELNS1_11target_archE1100ELNS1_3gpuE3ELNS1_3repE0EEENS1_30default_config_static_selectorELNS0_4arch9wavefront6targetE0EEEvSK_ ; -- Begin function _ZN7rocprim17ROCPRIM_400000_NS6detail17trampoline_kernelINS0_14default_configENS1_36segmented_radix_sort_config_selectorIdlEEZNS1_25segmented_radix_sort_implIS3_Lb1EPKdPdPKlPlN2at6native12_GLOBAL__N_18offset_tEEE10hipError_tPvRmT1_PNSt15iterator_traitsISK_E10value_typeET2_T3_PNSL_ISQ_E10value_typeET4_jRbjT5_SW_jjP12ihipStream_tbEUlT_E2_NS1_11comp_targetILNS1_3genE9ELNS1_11target_archE1100ELNS1_3gpuE3ELNS1_3repE0EEENS1_30default_config_static_selectorELNS0_4arch9wavefront6targetE0EEEvSK_
	.p2align	8
	.type	_ZN7rocprim17ROCPRIM_400000_NS6detail17trampoline_kernelINS0_14default_configENS1_36segmented_radix_sort_config_selectorIdlEEZNS1_25segmented_radix_sort_implIS3_Lb1EPKdPdPKlPlN2at6native12_GLOBAL__N_18offset_tEEE10hipError_tPvRmT1_PNSt15iterator_traitsISK_E10value_typeET2_T3_PNSL_ISQ_E10value_typeET4_jRbjT5_SW_jjP12ihipStream_tbEUlT_E2_NS1_11comp_targetILNS1_3genE9ELNS1_11target_archE1100ELNS1_3gpuE3ELNS1_3repE0EEENS1_30default_config_static_selectorELNS0_4arch9wavefront6targetE0EEEvSK_,@function
_ZN7rocprim17ROCPRIM_400000_NS6detail17trampoline_kernelINS0_14default_configENS1_36segmented_radix_sort_config_selectorIdlEEZNS1_25segmented_radix_sort_implIS3_Lb1EPKdPdPKlPlN2at6native12_GLOBAL__N_18offset_tEEE10hipError_tPvRmT1_PNSt15iterator_traitsISK_E10value_typeET2_T3_PNSL_ISQ_E10value_typeET4_jRbjT5_SW_jjP12ihipStream_tbEUlT_E2_NS1_11comp_targetILNS1_3genE9ELNS1_11target_archE1100ELNS1_3gpuE3ELNS1_3repE0EEENS1_30default_config_static_selectorELNS0_4arch9wavefront6targetE0EEEvSK_: ; @_ZN7rocprim17ROCPRIM_400000_NS6detail17trampoline_kernelINS0_14default_configENS1_36segmented_radix_sort_config_selectorIdlEEZNS1_25segmented_radix_sort_implIS3_Lb1EPKdPdPKlPlN2at6native12_GLOBAL__N_18offset_tEEE10hipError_tPvRmT1_PNSt15iterator_traitsISK_E10value_typeET2_T3_PNSL_ISQ_E10value_typeET4_jRbjT5_SW_jjP12ihipStream_tbEUlT_E2_NS1_11comp_targetILNS1_3genE9ELNS1_11target_archE1100ELNS1_3gpuE3ELNS1_3repE0EEENS1_30default_config_static_selectorELNS0_4arch9wavefront6targetE0EEEvSK_
; %bb.0:
	.section	.rodata,"a",@progbits
	.p2align	6, 0x0
	.amdhsa_kernel _ZN7rocprim17ROCPRIM_400000_NS6detail17trampoline_kernelINS0_14default_configENS1_36segmented_radix_sort_config_selectorIdlEEZNS1_25segmented_radix_sort_implIS3_Lb1EPKdPdPKlPlN2at6native12_GLOBAL__N_18offset_tEEE10hipError_tPvRmT1_PNSt15iterator_traitsISK_E10value_typeET2_T3_PNSL_ISQ_E10value_typeET4_jRbjT5_SW_jjP12ihipStream_tbEUlT_E2_NS1_11comp_targetILNS1_3genE9ELNS1_11target_archE1100ELNS1_3gpuE3ELNS1_3repE0EEENS1_30default_config_static_selectorELNS0_4arch9wavefront6targetE0EEEvSK_
		.amdhsa_group_segment_fixed_size 0
		.amdhsa_private_segment_fixed_size 0
		.amdhsa_kernarg_size 80
		.amdhsa_user_sgpr_count 2
		.amdhsa_user_sgpr_dispatch_ptr 0
		.amdhsa_user_sgpr_queue_ptr 0
		.amdhsa_user_sgpr_kernarg_segment_ptr 1
		.amdhsa_user_sgpr_dispatch_id 0
		.amdhsa_user_sgpr_private_segment_size 0
		.amdhsa_wavefront_size32 1
		.amdhsa_uses_dynamic_stack 0
		.amdhsa_enable_private_segment 0
		.amdhsa_system_sgpr_workgroup_id_x 1
		.amdhsa_system_sgpr_workgroup_id_y 0
		.amdhsa_system_sgpr_workgroup_id_z 0
		.amdhsa_system_sgpr_workgroup_info 0
		.amdhsa_system_vgpr_workitem_id 0
		.amdhsa_next_free_vgpr 1
		.amdhsa_next_free_sgpr 1
		.amdhsa_reserve_vcc 0
		.amdhsa_float_round_mode_32 0
		.amdhsa_float_round_mode_16_64 0
		.amdhsa_float_denorm_mode_32 3
		.amdhsa_float_denorm_mode_16_64 3
		.amdhsa_fp16_overflow 0
		.amdhsa_workgroup_processor_mode 1
		.amdhsa_memory_ordered 1
		.amdhsa_forward_progress 1
		.amdhsa_inst_pref_size 0
		.amdhsa_round_robin_scheduling 0
		.amdhsa_exception_fp_ieee_invalid_op 0
		.amdhsa_exception_fp_denorm_src 0
		.amdhsa_exception_fp_ieee_div_zero 0
		.amdhsa_exception_fp_ieee_overflow 0
		.amdhsa_exception_fp_ieee_underflow 0
		.amdhsa_exception_fp_ieee_inexact 0
		.amdhsa_exception_int_div_zero 0
	.end_amdhsa_kernel
	.section	.text._ZN7rocprim17ROCPRIM_400000_NS6detail17trampoline_kernelINS0_14default_configENS1_36segmented_radix_sort_config_selectorIdlEEZNS1_25segmented_radix_sort_implIS3_Lb1EPKdPdPKlPlN2at6native12_GLOBAL__N_18offset_tEEE10hipError_tPvRmT1_PNSt15iterator_traitsISK_E10value_typeET2_T3_PNSL_ISQ_E10value_typeET4_jRbjT5_SW_jjP12ihipStream_tbEUlT_E2_NS1_11comp_targetILNS1_3genE9ELNS1_11target_archE1100ELNS1_3gpuE3ELNS1_3repE0EEENS1_30default_config_static_selectorELNS0_4arch9wavefront6targetE0EEEvSK_,"axG",@progbits,_ZN7rocprim17ROCPRIM_400000_NS6detail17trampoline_kernelINS0_14default_configENS1_36segmented_radix_sort_config_selectorIdlEEZNS1_25segmented_radix_sort_implIS3_Lb1EPKdPdPKlPlN2at6native12_GLOBAL__N_18offset_tEEE10hipError_tPvRmT1_PNSt15iterator_traitsISK_E10value_typeET2_T3_PNSL_ISQ_E10value_typeET4_jRbjT5_SW_jjP12ihipStream_tbEUlT_E2_NS1_11comp_targetILNS1_3genE9ELNS1_11target_archE1100ELNS1_3gpuE3ELNS1_3repE0EEENS1_30default_config_static_selectorELNS0_4arch9wavefront6targetE0EEEvSK_,comdat
.Lfunc_end1155:
	.size	_ZN7rocprim17ROCPRIM_400000_NS6detail17trampoline_kernelINS0_14default_configENS1_36segmented_radix_sort_config_selectorIdlEEZNS1_25segmented_radix_sort_implIS3_Lb1EPKdPdPKlPlN2at6native12_GLOBAL__N_18offset_tEEE10hipError_tPvRmT1_PNSt15iterator_traitsISK_E10value_typeET2_T3_PNSL_ISQ_E10value_typeET4_jRbjT5_SW_jjP12ihipStream_tbEUlT_E2_NS1_11comp_targetILNS1_3genE9ELNS1_11target_archE1100ELNS1_3gpuE3ELNS1_3repE0EEENS1_30default_config_static_selectorELNS0_4arch9wavefront6targetE0EEEvSK_, .Lfunc_end1155-_ZN7rocprim17ROCPRIM_400000_NS6detail17trampoline_kernelINS0_14default_configENS1_36segmented_radix_sort_config_selectorIdlEEZNS1_25segmented_radix_sort_implIS3_Lb1EPKdPdPKlPlN2at6native12_GLOBAL__N_18offset_tEEE10hipError_tPvRmT1_PNSt15iterator_traitsISK_E10value_typeET2_T3_PNSL_ISQ_E10value_typeET4_jRbjT5_SW_jjP12ihipStream_tbEUlT_E2_NS1_11comp_targetILNS1_3genE9ELNS1_11target_archE1100ELNS1_3gpuE3ELNS1_3repE0EEENS1_30default_config_static_selectorELNS0_4arch9wavefront6targetE0EEEvSK_
                                        ; -- End function
	.set _ZN7rocprim17ROCPRIM_400000_NS6detail17trampoline_kernelINS0_14default_configENS1_36segmented_radix_sort_config_selectorIdlEEZNS1_25segmented_radix_sort_implIS3_Lb1EPKdPdPKlPlN2at6native12_GLOBAL__N_18offset_tEEE10hipError_tPvRmT1_PNSt15iterator_traitsISK_E10value_typeET2_T3_PNSL_ISQ_E10value_typeET4_jRbjT5_SW_jjP12ihipStream_tbEUlT_E2_NS1_11comp_targetILNS1_3genE9ELNS1_11target_archE1100ELNS1_3gpuE3ELNS1_3repE0EEENS1_30default_config_static_selectorELNS0_4arch9wavefront6targetE0EEEvSK_.num_vgpr, 0
	.set _ZN7rocprim17ROCPRIM_400000_NS6detail17trampoline_kernelINS0_14default_configENS1_36segmented_radix_sort_config_selectorIdlEEZNS1_25segmented_radix_sort_implIS3_Lb1EPKdPdPKlPlN2at6native12_GLOBAL__N_18offset_tEEE10hipError_tPvRmT1_PNSt15iterator_traitsISK_E10value_typeET2_T3_PNSL_ISQ_E10value_typeET4_jRbjT5_SW_jjP12ihipStream_tbEUlT_E2_NS1_11comp_targetILNS1_3genE9ELNS1_11target_archE1100ELNS1_3gpuE3ELNS1_3repE0EEENS1_30default_config_static_selectorELNS0_4arch9wavefront6targetE0EEEvSK_.num_agpr, 0
	.set _ZN7rocprim17ROCPRIM_400000_NS6detail17trampoline_kernelINS0_14default_configENS1_36segmented_radix_sort_config_selectorIdlEEZNS1_25segmented_radix_sort_implIS3_Lb1EPKdPdPKlPlN2at6native12_GLOBAL__N_18offset_tEEE10hipError_tPvRmT1_PNSt15iterator_traitsISK_E10value_typeET2_T3_PNSL_ISQ_E10value_typeET4_jRbjT5_SW_jjP12ihipStream_tbEUlT_E2_NS1_11comp_targetILNS1_3genE9ELNS1_11target_archE1100ELNS1_3gpuE3ELNS1_3repE0EEENS1_30default_config_static_selectorELNS0_4arch9wavefront6targetE0EEEvSK_.numbered_sgpr, 0
	.set _ZN7rocprim17ROCPRIM_400000_NS6detail17trampoline_kernelINS0_14default_configENS1_36segmented_radix_sort_config_selectorIdlEEZNS1_25segmented_radix_sort_implIS3_Lb1EPKdPdPKlPlN2at6native12_GLOBAL__N_18offset_tEEE10hipError_tPvRmT1_PNSt15iterator_traitsISK_E10value_typeET2_T3_PNSL_ISQ_E10value_typeET4_jRbjT5_SW_jjP12ihipStream_tbEUlT_E2_NS1_11comp_targetILNS1_3genE9ELNS1_11target_archE1100ELNS1_3gpuE3ELNS1_3repE0EEENS1_30default_config_static_selectorELNS0_4arch9wavefront6targetE0EEEvSK_.num_named_barrier, 0
	.set _ZN7rocprim17ROCPRIM_400000_NS6detail17trampoline_kernelINS0_14default_configENS1_36segmented_radix_sort_config_selectorIdlEEZNS1_25segmented_radix_sort_implIS3_Lb1EPKdPdPKlPlN2at6native12_GLOBAL__N_18offset_tEEE10hipError_tPvRmT1_PNSt15iterator_traitsISK_E10value_typeET2_T3_PNSL_ISQ_E10value_typeET4_jRbjT5_SW_jjP12ihipStream_tbEUlT_E2_NS1_11comp_targetILNS1_3genE9ELNS1_11target_archE1100ELNS1_3gpuE3ELNS1_3repE0EEENS1_30default_config_static_selectorELNS0_4arch9wavefront6targetE0EEEvSK_.private_seg_size, 0
	.set _ZN7rocprim17ROCPRIM_400000_NS6detail17trampoline_kernelINS0_14default_configENS1_36segmented_radix_sort_config_selectorIdlEEZNS1_25segmented_radix_sort_implIS3_Lb1EPKdPdPKlPlN2at6native12_GLOBAL__N_18offset_tEEE10hipError_tPvRmT1_PNSt15iterator_traitsISK_E10value_typeET2_T3_PNSL_ISQ_E10value_typeET4_jRbjT5_SW_jjP12ihipStream_tbEUlT_E2_NS1_11comp_targetILNS1_3genE9ELNS1_11target_archE1100ELNS1_3gpuE3ELNS1_3repE0EEENS1_30default_config_static_selectorELNS0_4arch9wavefront6targetE0EEEvSK_.uses_vcc, 0
	.set _ZN7rocprim17ROCPRIM_400000_NS6detail17trampoline_kernelINS0_14default_configENS1_36segmented_radix_sort_config_selectorIdlEEZNS1_25segmented_radix_sort_implIS3_Lb1EPKdPdPKlPlN2at6native12_GLOBAL__N_18offset_tEEE10hipError_tPvRmT1_PNSt15iterator_traitsISK_E10value_typeET2_T3_PNSL_ISQ_E10value_typeET4_jRbjT5_SW_jjP12ihipStream_tbEUlT_E2_NS1_11comp_targetILNS1_3genE9ELNS1_11target_archE1100ELNS1_3gpuE3ELNS1_3repE0EEENS1_30default_config_static_selectorELNS0_4arch9wavefront6targetE0EEEvSK_.uses_flat_scratch, 0
	.set _ZN7rocprim17ROCPRIM_400000_NS6detail17trampoline_kernelINS0_14default_configENS1_36segmented_radix_sort_config_selectorIdlEEZNS1_25segmented_radix_sort_implIS3_Lb1EPKdPdPKlPlN2at6native12_GLOBAL__N_18offset_tEEE10hipError_tPvRmT1_PNSt15iterator_traitsISK_E10value_typeET2_T3_PNSL_ISQ_E10value_typeET4_jRbjT5_SW_jjP12ihipStream_tbEUlT_E2_NS1_11comp_targetILNS1_3genE9ELNS1_11target_archE1100ELNS1_3gpuE3ELNS1_3repE0EEENS1_30default_config_static_selectorELNS0_4arch9wavefront6targetE0EEEvSK_.has_dyn_sized_stack, 0
	.set _ZN7rocprim17ROCPRIM_400000_NS6detail17trampoline_kernelINS0_14default_configENS1_36segmented_radix_sort_config_selectorIdlEEZNS1_25segmented_radix_sort_implIS3_Lb1EPKdPdPKlPlN2at6native12_GLOBAL__N_18offset_tEEE10hipError_tPvRmT1_PNSt15iterator_traitsISK_E10value_typeET2_T3_PNSL_ISQ_E10value_typeET4_jRbjT5_SW_jjP12ihipStream_tbEUlT_E2_NS1_11comp_targetILNS1_3genE9ELNS1_11target_archE1100ELNS1_3gpuE3ELNS1_3repE0EEENS1_30default_config_static_selectorELNS0_4arch9wavefront6targetE0EEEvSK_.has_recursion, 0
	.set _ZN7rocprim17ROCPRIM_400000_NS6detail17trampoline_kernelINS0_14default_configENS1_36segmented_radix_sort_config_selectorIdlEEZNS1_25segmented_radix_sort_implIS3_Lb1EPKdPdPKlPlN2at6native12_GLOBAL__N_18offset_tEEE10hipError_tPvRmT1_PNSt15iterator_traitsISK_E10value_typeET2_T3_PNSL_ISQ_E10value_typeET4_jRbjT5_SW_jjP12ihipStream_tbEUlT_E2_NS1_11comp_targetILNS1_3genE9ELNS1_11target_archE1100ELNS1_3gpuE3ELNS1_3repE0EEENS1_30default_config_static_selectorELNS0_4arch9wavefront6targetE0EEEvSK_.has_indirect_call, 0
	.section	.AMDGPU.csdata,"",@progbits
; Kernel info:
; codeLenInByte = 0
; TotalNumSgprs: 0
; NumVgprs: 0
; ScratchSize: 0
; MemoryBound: 0
; FloatMode: 240
; IeeeMode: 1
; LDSByteSize: 0 bytes/workgroup (compile time only)
; SGPRBlocks: 0
; VGPRBlocks: 0
; NumSGPRsForWavesPerEU: 1
; NumVGPRsForWavesPerEU: 1
; Occupancy: 16
; WaveLimiterHint : 0
; COMPUTE_PGM_RSRC2:SCRATCH_EN: 0
; COMPUTE_PGM_RSRC2:USER_SGPR: 2
; COMPUTE_PGM_RSRC2:TRAP_HANDLER: 0
; COMPUTE_PGM_RSRC2:TGID_X_EN: 1
; COMPUTE_PGM_RSRC2:TGID_Y_EN: 0
; COMPUTE_PGM_RSRC2:TGID_Z_EN: 0
; COMPUTE_PGM_RSRC2:TIDIG_COMP_CNT: 0
	.section	.text._ZN7rocprim17ROCPRIM_400000_NS6detail17trampoline_kernelINS0_14default_configENS1_36segmented_radix_sort_config_selectorIdlEEZNS1_25segmented_radix_sort_implIS3_Lb1EPKdPdPKlPlN2at6native12_GLOBAL__N_18offset_tEEE10hipError_tPvRmT1_PNSt15iterator_traitsISK_E10value_typeET2_T3_PNSL_ISQ_E10value_typeET4_jRbjT5_SW_jjP12ihipStream_tbEUlT_E2_NS1_11comp_targetILNS1_3genE8ELNS1_11target_archE1030ELNS1_3gpuE2ELNS1_3repE0EEENS1_30default_config_static_selectorELNS0_4arch9wavefront6targetE0EEEvSK_,"axG",@progbits,_ZN7rocprim17ROCPRIM_400000_NS6detail17trampoline_kernelINS0_14default_configENS1_36segmented_radix_sort_config_selectorIdlEEZNS1_25segmented_radix_sort_implIS3_Lb1EPKdPdPKlPlN2at6native12_GLOBAL__N_18offset_tEEE10hipError_tPvRmT1_PNSt15iterator_traitsISK_E10value_typeET2_T3_PNSL_ISQ_E10value_typeET4_jRbjT5_SW_jjP12ihipStream_tbEUlT_E2_NS1_11comp_targetILNS1_3genE8ELNS1_11target_archE1030ELNS1_3gpuE2ELNS1_3repE0EEENS1_30default_config_static_selectorELNS0_4arch9wavefront6targetE0EEEvSK_,comdat
	.globl	_ZN7rocprim17ROCPRIM_400000_NS6detail17trampoline_kernelINS0_14default_configENS1_36segmented_radix_sort_config_selectorIdlEEZNS1_25segmented_radix_sort_implIS3_Lb1EPKdPdPKlPlN2at6native12_GLOBAL__N_18offset_tEEE10hipError_tPvRmT1_PNSt15iterator_traitsISK_E10value_typeET2_T3_PNSL_ISQ_E10value_typeET4_jRbjT5_SW_jjP12ihipStream_tbEUlT_E2_NS1_11comp_targetILNS1_3genE8ELNS1_11target_archE1030ELNS1_3gpuE2ELNS1_3repE0EEENS1_30default_config_static_selectorELNS0_4arch9wavefront6targetE0EEEvSK_ ; -- Begin function _ZN7rocprim17ROCPRIM_400000_NS6detail17trampoline_kernelINS0_14default_configENS1_36segmented_radix_sort_config_selectorIdlEEZNS1_25segmented_radix_sort_implIS3_Lb1EPKdPdPKlPlN2at6native12_GLOBAL__N_18offset_tEEE10hipError_tPvRmT1_PNSt15iterator_traitsISK_E10value_typeET2_T3_PNSL_ISQ_E10value_typeET4_jRbjT5_SW_jjP12ihipStream_tbEUlT_E2_NS1_11comp_targetILNS1_3genE8ELNS1_11target_archE1030ELNS1_3gpuE2ELNS1_3repE0EEENS1_30default_config_static_selectorELNS0_4arch9wavefront6targetE0EEEvSK_
	.p2align	8
	.type	_ZN7rocprim17ROCPRIM_400000_NS6detail17trampoline_kernelINS0_14default_configENS1_36segmented_radix_sort_config_selectorIdlEEZNS1_25segmented_radix_sort_implIS3_Lb1EPKdPdPKlPlN2at6native12_GLOBAL__N_18offset_tEEE10hipError_tPvRmT1_PNSt15iterator_traitsISK_E10value_typeET2_T3_PNSL_ISQ_E10value_typeET4_jRbjT5_SW_jjP12ihipStream_tbEUlT_E2_NS1_11comp_targetILNS1_3genE8ELNS1_11target_archE1030ELNS1_3gpuE2ELNS1_3repE0EEENS1_30default_config_static_selectorELNS0_4arch9wavefront6targetE0EEEvSK_,@function
_ZN7rocprim17ROCPRIM_400000_NS6detail17trampoline_kernelINS0_14default_configENS1_36segmented_radix_sort_config_selectorIdlEEZNS1_25segmented_radix_sort_implIS3_Lb1EPKdPdPKlPlN2at6native12_GLOBAL__N_18offset_tEEE10hipError_tPvRmT1_PNSt15iterator_traitsISK_E10value_typeET2_T3_PNSL_ISQ_E10value_typeET4_jRbjT5_SW_jjP12ihipStream_tbEUlT_E2_NS1_11comp_targetILNS1_3genE8ELNS1_11target_archE1030ELNS1_3gpuE2ELNS1_3repE0EEENS1_30default_config_static_selectorELNS0_4arch9wavefront6targetE0EEEvSK_: ; @_ZN7rocprim17ROCPRIM_400000_NS6detail17trampoline_kernelINS0_14default_configENS1_36segmented_radix_sort_config_selectorIdlEEZNS1_25segmented_radix_sort_implIS3_Lb1EPKdPdPKlPlN2at6native12_GLOBAL__N_18offset_tEEE10hipError_tPvRmT1_PNSt15iterator_traitsISK_E10value_typeET2_T3_PNSL_ISQ_E10value_typeET4_jRbjT5_SW_jjP12ihipStream_tbEUlT_E2_NS1_11comp_targetILNS1_3genE8ELNS1_11target_archE1030ELNS1_3gpuE2ELNS1_3repE0EEENS1_30default_config_static_selectorELNS0_4arch9wavefront6targetE0EEEvSK_
; %bb.0:
	.section	.rodata,"a",@progbits
	.p2align	6, 0x0
	.amdhsa_kernel _ZN7rocprim17ROCPRIM_400000_NS6detail17trampoline_kernelINS0_14default_configENS1_36segmented_radix_sort_config_selectorIdlEEZNS1_25segmented_radix_sort_implIS3_Lb1EPKdPdPKlPlN2at6native12_GLOBAL__N_18offset_tEEE10hipError_tPvRmT1_PNSt15iterator_traitsISK_E10value_typeET2_T3_PNSL_ISQ_E10value_typeET4_jRbjT5_SW_jjP12ihipStream_tbEUlT_E2_NS1_11comp_targetILNS1_3genE8ELNS1_11target_archE1030ELNS1_3gpuE2ELNS1_3repE0EEENS1_30default_config_static_selectorELNS0_4arch9wavefront6targetE0EEEvSK_
		.amdhsa_group_segment_fixed_size 0
		.amdhsa_private_segment_fixed_size 0
		.amdhsa_kernarg_size 80
		.amdhsa_user_sgpr_count 2
		.amdhsa_user_sgpr_dispatch_ptr 0
		.amdhsa_user_sgpr_queue_ptr 0
		.amdhsa_user_sgpr_kernarg_segment_ptr 1
		.amdhsa_user_sgpr_dispatch_id 0
		.amdhsa_user_sgpr_private_segment_size 0
		.amdhsa_wavefront_size32 1
		.amdhsa_uses_dynamic_stack 0
		.amdhsa_enable_private_segment 0
		.amdhsa_system_sgpr_workgroup_id_x 1
		.amdhsa_system_sgpr_workgroup_id_y 0
		.amdhsa_system_sgpr_workgroup_id_z 0
		.amdhsa_system_sgpr_workgroup_info 0
		.amdhsa_system_vgpr_workitem_id 0
		.amdhsa_next_free_vgpr 1
		.amdhsa_next_free_sgpr 1
		.amdhsa_reserve_vcc 0
		.amdhsa_float_round_mode_32 0
		.amdhsa_float_round_mode_16_64 0
		.amdhsa_float_denorm_mode_32 3
		.amdhsa_float_denorm_mode_16_64 3
		.amdhsa_fp16_overflow 0
		.amdhsa_workgroup_processor_mode 1
		.amdhsa_memory_ordered 1
		.amdhsa_forward_progress 1
		.amdhsa_inst_pref_size 0
		.amdhsa_round_robin_scheduling 0
		.amdhsa_exception_fp_ieee_invalid_op 0
		.amdhsa_exception_fp_denorm_src 0
		.amdhsa_exception_fp_ieee_div_zero 0
		.amdhsa_exception_fp_ieee_overflow 0
		.amdhsa_exception_fp_ieee_underflow 0
		.amdhsa_exception_fp_ieee_inexact 0
		.amdhsa_exception_int_div_zero 0
	.end_amdhsa_kernel
	.section	.text._ZN7rocprim17ROCPRIM_400000_NS6detail17trampoline_kernelINS0_14default_configENS1_36segmented_radix_sort_config_selectorIdlEEZNS1_25segmented_radix_sort_implIS3_Lb1EPKdPdPKlPlN2at6native12_GLOBAL__N_18offset_tEEE10hipError_tPvRmT1_PNSt15iterator_traitsISK_E10value_typeET2_T3_PNSL_ISQ_E10value_typeET4_jRbjT5_SW_jjP12ihipStream_tbEUlT_E2_NS1_11comp_targetILNS1_3genE8ELNS1_11target_archE1030ELNS1_3gpuE2ELNS1_3repE0EEENS1_30default_config_static_selectorELNS0_4arch9wavefront6targetE0EEEvSK_,"axG",@progbits,_ZN7rocprim17ROCPRIM_400000_NS6detail17trampoline_kernelINS0_14default_configENS1_36segmented_radix_sort_config_selectorIdlEEZNS1_25segmented_radix_sort_implIS3_Lb1EPKdPdPKlPlN2at6native12_GLOBAL__N_18offset_tEEE10hipError_tPvRmT1_PNSt15iterator_traitsISK_E10value_typeET2_T3_PNSL_ISQ_E10value_typeET4_jRbjT5_SW_jjP12ihipStream_tbEUlT_E2_NS1_11comp_targetILNS1_3genE8ELNS1_11target_archE1030ELNS1_3gpuE2ELNS1_3repE0EEENS1_30default_config_static_selectorELNS0_4arch9wavefront6targetE0EEEvSK_,comdat
.Lfunc_end1156:
	.size	_ZN7rocprim17ROCPRIM_400000_NS6detail17trampoline_kernelINS0_14default_configENS1_36segmented_radix_sort_config_selectorIdlEEZNS1_25segmented_radix_sort_implIS3_Lb1EPKdPdPKlPlN2at6native12_GLOBAL__N_18offset_tEEE10hipError_tPvRmT1_PNSt15iterator_traitsISK_E10value_typeET2_T3_PNSL_ISQ_E10value_typeET4_jRbjT5_SW_jjP12ihipStream_tbEUlT_E2_NS1_11comp_targetILNS1_3genE8ELNS1_11target_archE1030ELNS1_3gpuE2ELNS1_3repE0EEENS1_30default_config_static_selectorELNS0_4arch9wavefront6targetE0EEEvSK_, .Lfunc_end1156-_ZN7rocprim17ROCPRIM_400000_NS6detail17trampoline_kernelINS0_14default_configENS1_36segmented_radix_sort_config_selectorIdlEEZNS1_25segmented_radix_sort_implIS3_Lb1EPKdPdPKlPlN2at6native12_GLOBAL__N_18offset_tEEE10hipError_tPvRmT1_PNSt15iterator_traitsISK_E10value_typeET2_T3_PNSL_ISQ_E10value_typeET4_jRbjT5_SW_jjP12ihipStream_tbEUlT_E2_NS1_11comp_targetILNS1_3genE8ELNS1_11target_archE1030ELNS1_3gpuE2ELNS1_3repE0EEENS1_30default_config_static_selectorELNS0_4arch9wavefront6targetE0EEEvSK_
                                        ; -- End function
	.set _ZN7rocprim17ROCPRIM_400000_NS6detail17trampoline_kernelINS0_14default_configENS1_36segmented_radix_sort_config_selectorIdlEEZNS1_25segmented_radix_sort_implIS3_Lb1EPKdPdPKlPlN2at6native12_GLOBAL__N_18offset_tEEE10hipError_tPvRmT1_PNSt15iterator_traitsISK_E10value_typeET2_T3_PNSL_ISQ_E10value_typeET4_jRbjT5_SW_jjP12ihipStream_tbEUlT_E2_NS1_11comp_targetILNS1_3genE8ELNS1_11target_archE1030ELNS1_3gpuE2ELNS1_3repE0EEENS1_30default_config_static_selectorELNS0_4arch9wavefront6targetE0EEEvSK_.num_vgpr, 0
	.set _ZN7rocprim17ROCPRIM_400000_NS6detail17trampoline_kernelINS0_14default_configENS1_36segmented_radix_sort_config_selectorIdlEEZNS1_25segmented_radix_sort_implIS3_Lb1EPKdPdPKlPlN2at6native12_GLOBAL__N_18offset_tEEE10hipError_tPvRmT1_PNSt15iterator_traitsISK_E10value_typeET2_T3_PNSL_ISQ_E10value_typeET4_jRbjT5_SW_jjP12ihipStream_tbEUlT_E2_NS1_11comp_targetILNS1_3genE8ELNS1_11target_archE1030ELNS1_3gpuE2ELNS1_3repE0EEENS1_30default_config_static_selectorELNS0_4arch9wavefront6targetE0EEEvSK_.num_agpr, 0
	.set _ZN7rocprim17ROCPRIM_400000_NS6detail17trampoline_kernelINS0_14default_configENS1_36segmented_radix_sort_config_selectorIdlEEZNS1_25segmented_radix_sort_implIS3_Lb1EPKdPdPKlPlN2at6native12_GLOBAL__N_18offset_tEEE10hipError_tPvRmT1_PNSt15iterator_traitsISK_E10value_typeET2_T3_PNSL_ISQ_E10value_typeET4_jRbjT5_SW_jjP12ihipStream_tbEUlT_E2_NS1_11comp_targetILNS1_3genE8ELNS1_11target_archE1030ELNS1_3gpuE2ELNS1_3repE0EEENS1_30default_config_static_selectorELNS0_4arch9wavefront6targetE0EEEvSK_.numbered_sgpr, 0
	.set _ZN7rocprim17ROCPRIM_400000_NS6detail17trampoline_kernelINS0_14default_configENS1_36segmented_radix_sort_config_selectorIdlEEZNS1_25segmented_radix_sort_implIS3_Lb1EPKdPdPKlPlN2at6native12_GLOBAL__N_18offset_tEEE10hipError_tPvRmT1_PNSt15iterator_traitsISK_E10value_typeET2_T3_PNSL_ISQ_E10value_typeET4_jRbjT5_SW_jjP12ihipStream_tbEUlT_E2_NS1_11comp_targetILNS1_3genE8ELNS1_11target_archE1030ELNS1_3gpuE2ELNS1_3repE0EEENS1_30default_config_static_selectorELNS0_4arch9wavefront6targetE0EEEvSK_.num_named_barrier, 0
	.set _ZN7rocprim17ROCPRIM_400000_NS6detail17trampoline_kernelINS0_14default_configENS1_36segmented_radix_sort_config_selectorIdlEEZNS1_25segmented_radix_sort_implIS3_Lb1EPKdPdPKlPlN2at6native12_GLOBAL__N_18offset_tEEE10hipError_tPvRmT1_PNSt15iterator_traitsISK_E10value_typeET2_T3_PNSL_ISQ_E10value_typeET4_jRbjT5_SW_jjP12ihipStream_tbEUlT_E2_NS1_11comp_targetILNS1_3genE8ELNS1_11target_archE1030ELNS1_3gpuE2ELNS1_3repE0EEENS1_30default_config_static_selectorELNS0_4arch9wavefront6targetE0EEEvSK_.private_seg_size, 0
	.set _ZN7rocprim17ROCPRIM_400000_NS6detail17trampoline_kernelINS0_14default_configENS1_36segmented_radix_sort_config_selectorIdlEEZNS1_25segmented_radix_sort_implIS3_Lb1EPKdPdPKlPlN2at6native12_GLOBAL__N_18offset_tEEE10hipError_tPvRmT1_PNSt15iterator_traitsISK_E10value_typeET2_T3_PNSL_ISQ_E10value_typeET4_jRbjT5_SW_jjP12ihipStream_tbEUlT_E2_NS1_11comp_targetILNS1_3genE8ELNS1_11target_archE1030ELNS1_3gpuE2ELNS1_3repE0EEENS1_30default_config_static_selectorELNS0_4arch9wavefront6targetE0EEEvSK_.uses_vcc, 0
	.set _ZN7rocprim17ROCPRIM_400000_NS6detail17trampoline_kernelINS0_14default_configENS1_36segmented_radix_sort_config_selectorIdlEEZNS1_25segmented_radix_sort_implIS3_Lb1EPKdPdPKlPlN2at6native12_GLOBAL__N_18offset_tEEE10hipError_tPvRmT1_PNSt15iterator_traitsISK_E10value_typeET2_T3_PNSL_ISQ_E10value_typeET4_jRbjT5_SW_jjP12ihipStream_tbEUlT_E2_NS1_11comp_targetILNS1_3genE8ELNS1_11target_archE1030ELNS1_3gpuE2ELNS1_3repE0EEENS1_30default_config_static_selectorELNS0_4arch9wavefront6targetE0EEEvSK_.uses_flat_scratch, 0
	.set _ZN7rocprim17ROCPRIM_400000_NS6detail17trampoline_kernelINS0_14default_configENS1_36segmented_radix_sort_config_selectorIdlEEZNS1_25segmented_radix_sort_implIS3_Lb1EPKdPdPKlPlN2at6native12_GLOBAL__N_18offset_tEEE10hipError_tPvRmT1_PNSt15iterator_traitsISK_E10value_typeET2_T3_PNSL_ISQ_E10value_typeET4_jRbjT5_SW_jjP12ihipStream_tbEUlT_E2_NS1_11comp_targetILNS1_3genE8ELNS1_11target_archE1030ELNS1_3gpuE2ELNS1_3repE0EEENS1_30default_config_static_selectorELNS0_4arch9wavefront6targetE0EEEvSK_.has_dyn_sized_stack, 0
	.set _ZN7rocprim17ROCPRIM_400000_NS6detail17trampoline_kernelINS0_14default_configENS1_36segmented_radix_sort_config_selectorIdlEEZNS1_25segmented_radix_sort_implIS3_Lb1EPKdPdPKlPlN2at6native12_GLOBAL__N_18offset_tEEE10hipError_tPvRmT1_PNSt15iterator_traitsISK_E10value_typeET2_T3_PNSL_ISQ_E10value_typeET4_jRbjT5_SW_jjP12ihipStream_tbEUlT_E2_NS1_11comp_targetILNS1_3genE8ELNS1_11target_archE1030ELNS1_3gpuE2ELNS1_3repE0EEENS1_30default_config_static_selectorELNS0_4arch9wavefront6targetE0EEEvSK_.has_recursion, 0
	.set _ZN7rocprim17ROCPRIM_400000_NS6detail17trampoline_kernelINS0_14default_configENS1_36segmented_radix_sort_config_selectorIdlEEZNS1_25segmented_radix_sort_implIS3_Lb1EPKdPdPKlPlN2at6native12_GLOBAL__N_18offset_tEEE10hipError_tPvRmT1_PNSt15iterator_traitsISK_E10value_typeET2_T3_PNSL_ISQ_E10value_typeET4_jRbjT5_SW_jjP12ihipStream_tbEUlT_E2_NS1_11comp_targetILNS1_3genE8ELNS1_11target_archE1030ELNS1_3gpuE2ELNS1_3repE0EEENS1_30default_config_static_selectorELNS0_4arch9wavefront6targetE0EEEvSK_.has_indirect_call, 0
	.section	.AMDGPU.csdata,"",@progbits
; Kernel info:
; codeLenInByte = 0
; TotalNumSgprs: 0
; NumVgprs: 0
; ScratchSize: 0
; MemoryBound: 0
; FloatMode: 240
; IeeeMode: 1
; LDSByteSize: 0 bytes/workgroup (compile time only)
; SGPRBlocks: 0
; VGPRBlocks: 0
; NumSGPRsForWavesPerEU: 1
; NumVGPRsForWavesPerEU: 1
; Occupancy: 16
; WaveLimiterHint : 0
; COMPUTE_PGM_RSRC2:SCRATCH_EN: 0
; COMPUTE_PGM_RSRC2:USER_SGPR: 2
; COMPUTE_PGM_RSRC2:TRAP_HANDLER: 0
; COMPUTE_PGM_RSRC2:TGID_X_EN: 1
; COMPUTE_PGM_RSRC2:TGID_Y_EN: 0
; COMPUTE_PGM_RSRC2:TGID_Z_EN: 0
; COMPUTE_PGM_RSRC2:TIDIG_COMP_CNT: 0
	.section	.text._ZN7rocprim17ROCPRIM_400000_NS6detail17trampoline_kernelINS0_13select_configILj256ELj13ELNS0_17block_load_methodE3ELS4_3ELS4_3ELNS0_20block_scan_algorithmE0ELj4294967295EEENS1_25partition_config_selectorILNS1_17partition_subalgoE4EjNS0_10empty_typeEbEEZZNS1_14partition_implILS8_4ELb0ES6_15HIP_vector_typeIjLj2EENS0_17counting_iteratorIjlEEPS9_SG_NS0_5tupleIJPjSI_NS0_16reverse_iteratorISI_EEEEENSH_IJSG_SG_SG_EEES9_SI_JZNS1_25segmented_radix_sort_implINS0_14default_configELb0EPKdPdPKlPlN2at6native12_GLOBAL__N_18offset_tEEE10hipError_tPvRmT1_PNSt15iterator_traitsIS12_E10value_typeET2_T3_PNS13_IS18_E10value_typeET4_jRbjT5_S1E_jjP12ihipStream_tbEUljE_ZNSN_ISO_Lb0ESQ_SR_ST_SU_SY_EESZ_S10_S11_S12_S16_S17_S18_S1B_S1C_jS1D_jS1E_S1E_jjS1G_bEUljE0_EEESZ_S10_S11_S18_S1C_S1E_T6_T7_T9_mT8_S1G_bDpT10_ENKUlT_T0_E_clISt17integral_constantIbLb0EES1U_EEDaS1P_S1Q_EUlS1P_E_NS1_11comp_targetILNS1_3genE0ELNS1_11target_archE4294967295ELNS1_3gpuE0ELNS1_3repE0EEENS1_30default_config_static_selectorELNS0_4arch9wavefront6targetE0EEEvS12_,"axG",@progbits,_ZN7rocprim17ROCPRIM_400000_NS6detail17trampoline_kernelINS0_13select_configILj256ELj13ELNS0_17block_load_methodE3ELS4_3ELS4_3ELNS0_20block_scan_algorithmE0ELj4294967295EEENS1_25partition_config_selectorILNS1_17partition_subalgoE4EjNS0_10empty_typeEbEEZZNS1_14partition_implILS8_4ELb0ES6_15HIP_vector_typeIjLj2EENS0_17counting_iteratorIjlEEPS9_SG_NS0_5tupleIJPjSI_NS0_16reverse_iteratorISI_EEEEENSH_IJSG_SG_SG_EEES9_SI_JZNS1_25segmented_radix_sort_implINS0_14default_configELb0EPKdPdPKlPlN2at6native12_GLOBAL__N_18offset_tEEE10hipError_tPvRmT1_PNSt15iterator_traitsIS12_E10value_typeET2_T3_PNS13_IS18_E10value_typeET4_jRbjT5_S1E_jjP12ihipStream_tbEUljE_ZNSN_ISO_Lb0ESQ_SR_ST_SU_SY_EESZ_S10_S11_S12_S16_S17_S18_S1B_S1C_jS1D_jS1E_S1E_jjS1G_bEUljE0_EEESZ_S10_S11_S18_S1C_S1E_T6_T7_T9_mT8_S1G_bDpT10_ENKUlT_T0_E_clISt17integral_constantIbLb0EES1U_EEDaS1P_S1Q_EUlS1P_E_NS1_11comp_targetILNS1_3genE0ELNS1_11target_archE4294967295ELNS1_3gpuE0ELNS1_3repE0EEENS1_30default_config_static_selectorELNS0_4arch9wavefront6targetE0EEEvS12_,comdat
	.globl	_ZN7rocprim17ROCPRIM_400000_NS6detail17trampoline_kernelINS0_13select_configILj256ELj13ELNS0_17block_load_methodE3ELS4_3ELS4_3ELNS0_20block_scan_algorithmE0ELj4294967295EEENS1_25partition_config_selectorILNS1_17partition_subalgoE4EjNS0_10empty_typeEbEEZZNS1_14partition_implILS8_4ELb0ES6_15HIP_vector_typeIjLj2EENS0_17counting_iteratorIjlEEPS9_SG_NS0_5tupleIJPjSI_NS0_16reverse_iteratorISI_EEEEENSH_IJSG_SG_SG_EEES9_SI_JZNS1_25segmented_radix_sort_implINS0_14default_configELb0EPKdPdPKlPlN2at6native12_GLOBAL__N_18offset_tEEE10hipError_tPvRmT1_PNSt15iterator_traitsIS12_E10value_typeET2_T3_PNS13_IS18_E10value_typeET4_jRbjT5_S1E_jjP12ihipStream_tbEUljE_ZNSN_ISO_Lb0ESQ_SR_ST_SU_SY_EESZ_S10_S11_S12_S16_S17_S18_S1B_S1C_jS1D_jS1E_S1E_jjS1G_bEUljE0_EEESZ_S10_S11_S18_S1C_S1E_T6_T7_T9_mT8_S1G_bDpT10_ENKUlT_T0_E_clISt17integral_constantIbLb0EES1U_EEDaS1P_S1Q_EUlS1P_E_NS1_11comp_targetILNS1_3genE0ELNS1_11target_archE4294967295ELNS1_3gpuE0ELNS1_3repE0EEENS1_30default_config_static_selectorELNS0_4arch9wavefront6targetE0EEEvS12_ ; -- Begin function _ZN7rocprim17ROCPRIM_400000_NS6detail17trampoline_kernelINS0_13select_configILj256ELj13ELNS0_17block_load_methodE3ELS4_3ELS4_3ELNS0_20block_scan_algorithmE0ELj4294967295EEENS1_25partition_config_selectorILNS1_17partition_subalgoE4EjNS0_10empty_typeEbEEZZNS1_14partition_implILS8_4ELb0ES6_15HIP_vector_typeIjLj2EENS0_17counting_iteratorIjlEEPS9_SG_NS0_5tupleIJPjSI_NS0_16reverse_iteratorISI_EEEEENSH_IJSG_SG_SG_EEES9_SI_JZNS1_25segmented_radix_sort_implINS0_14default_configELb0EPKdPdPKlPlN2at6native12_GLOBAL__N_18offset_tEEE10hipError_tPvRmT1_PNSt15iterator_traitsIS12_E10value_typeET2_T3_PNS13_IS18_E10value_typeET4_jRbjT5_S1E_jjP12ihipStream_tbEUljE_ZNSN_ISO_Lb0ESQ_SR_ST_SU_SY_EESZ_S10_S11_S12_S16_S17_S18_S1B_S1C_jS1D_jS1E_S1E_jjS1G_bEUljE0_EEESZ_S10_S11_S18_S1C_S1E_T6_T7_T9_mT8_S1G_bDpT10_ENKUlT_T0_E_clISt17integral_constantIbLb0EES1U_EEDaS1P_S1Q_EUlS1P_E_NS1_11comp_targetILNS1_3genE0ELNS1_11target_archE4294967295ELNS1_3gpuE0ELNS1_3repE0EEENS1_30default_config_static_selectorELNS0_4arch9wavefront6targetE0EEEvS12_
	.p2align	8
	.type	_ZN7rocprim17ROCPRIM_400000_NS6detail17trampoline_kernelINS0_13select_configILj256ELj13ELNS0_17block_load_methodE3ELS4_3ELS4_3ELNS0_20block_scan_algorithmE0ELj4294967295EEENS1_25partition_config_selectorILNS1_17partition_subalgoE4EjNS0_10empty_typeEbEEZZNS1_14partition_implILS8_4ELb0ES6_15HIP_vector_typeIjLj2EENS0_17counting_iteratorIjlEEPS9_SG_NS0_5tupleIJPjSI_NS0_16reverse_iteratorISI_EEEEENSH_IJSG_SG_SG_EEES9_SI_JZNS1_25segmented_radix_sort_implINS0_14default_configELb0EPKdPdPKlPlN2at6native12_GLOBAL__N_18offset_tEEE10hipError_tPvRmT1_PNSt15iterator_traitsIS12_E10value_typeET2_T3_PNS13_IS18_E10value_typeET4_jRbjT5_S1E_jjP12ihipStream_tbEUljE_ZNSN_ISO_Lb0ESQ_SR_ST_SU_SY_EESZ_S10_S11_S12_S16_S17_S18_S1B_S1C_jS1D_jS1E_S1E_jjS1G_bEUljE0_EEESZ_S10_S11_S18_S1C_S1E_T6_T7_T9_mT8_S1G_bDpT10_ENKUlT_T0_E_clISt17integral_constantIbLb0EES1U_EEDaS1P_S1Q_EUlS1P_E_NS1_11comp_targetILNS1_3genE0ELNS1_11target_archE4294967295ELNS1_3gpuE0ELNS1_3repE0EEENS1_30default_config_static_selectorELNS0_4arch9wavefront6targetE0EEEvS12_,@function
_ZN7rocprim17ROCPRIM_400000_NS6detail17trampoline_kernelINS0_13select_configILj256ELj13ELNS0_17block_load_methodE3ELS4_3ELS4_3ELNS0_20block_scan_algorithmE0ELj4294967295EEENS1_25partition_config_selectorILNS1_17partition_subalgoE4EjNS0_10empty_typeEbEEZZNS1_14partition_implILS8_4ELb0ES6_15HIP_vector_typeIjLj2EENS0_17counting_iteratorIjlEEPS9_SG_NS0_5tupleIJPjSI_NS0_16reverse_iteratorISI_EEEEENSH_IJSG_SG_SG_EEES9_SI_JZNS1_25segmented_radix_sort_implINS0_14default_configELb0EPKdPdPKlPlN2at6native12_GLOBAL__N_18offset_tEEE10hipError_tPvRmT1_PNSt15iterator_traitsIS12_E10value_typeET2_T3_PNS13_IS18_E10value_typeET4_jRbjT5_S1E_jjP12ihipStream_tbEUljE_ZNSN_ISO_Lb0ESQ_SR_ST_SU_SY_EESZ_S10_S11_S12_S16_S17_S18_S1B_S1C_jS1D_jS1E_S1E_jjS1G_bEUljE0_EEESZ_S10_S11_S18_S1C_S1E_T6_T7_T9_mT8_S1G_bDpT10_ENKUlT_T0_E_clISt17integral_constantIbLb0EES1U_EEDaS1P_S1Q_EUlS1P_E_NS1_11comp_targetILNS1_3genE0ELNS1_11target_archE4294967295ELNS1_3gpuE0ELNS1_3repE0EEENS1_30default_config_static_selectorELNS0_4arch9wavefront6targetE0EEEvS12_: ; @_ZN7rocprim17ROCPRIM_400000_NS6detail17trampoline_kernelINS0_13select_configILj256ELj13ELNS0_17block_load_methodE3ELS4_3ELS4_3ELNS0_20block_scan_algorithmE0ELj4294967295EEENS1_25partition_config_selectorILNS1_17partition_subalgoE4EjNS0_10empty_typeEbEEZZNS1_14partition_implILS8_4ELb0ES6_15HIP_vector_typeIjLj2EENS0_17counting_iteratorIjlEEPS9_SG_NS0_5tupleIJPjSI_NS0_16reverse_iteratorISI_EEEEENSH_IJSG_SG_SG_EEES9_SI_JZNS1_25segmented_radix_sort_implINS0_14default_configELb0EPKdPdPKlPlN2at6native12_GLOBAL__N_18offset_tEEE10hipError_tPvRmT1_PNSt15iterator_traitsIS12_E10value_typeET2_T3_PNS13_IS18_E10value_typeET4_jRbjT5_S1E_jjP12ihipStream_tbEUljE_ZNSN_ISO_Lb0ESQ_SR_ST_SU_SY_EESZ_S10_S11_S12_S16_S17_S18_S1B_S1C_jS1D_jS1E_S1E_jjS1G_bEUljE0_EEESZ_S10_S11_S18_S1C_S1E_T6_T7_T9_mT8_S1G_bDpT10_ENKUlT_T0_E_clISt17integral_constantIbLb0EES1U_EEDaS1P_S1Q_EUlS1P_E_NS1_11comp_targetILNS1_3genE0ELNS1_11target_archE4294967295ELNS1_3gpuE0ELNS1_3repE0EEENS1_30default_config_static_selectorELNS0_4arch9wavefront6targetE0EEEvS12_
; %bb.0:
	.section	.rodata,"a",@progbits
	.p2align	6, 0x0
	.amdhsa_kernel _ZN7rocprim17ROCPRIM_400000_NS6detail17trampoline_kernelINS0_13select_configILj256ELj13ELNS0_17block_load_methodE3ELS4_3ELS4_3ELNS0_20block_scan_algorithmE0ELj4294967295EEENS1_25partition_config_selectorILNS1_17partition_subalgoE4EjNS0_10empty_typeEbEEZZNS1_14partition_implILS8_4ELb0ES6_15HIP_vector_typeIjLj2EENS0_17counting_iteratorIjlEEPS9_SG_NS0_5tupleIJPjSI_NS0_16reverse_iteratorISI_EEEEENSH_IJSG_SG_SG_EEES9_SI_JZNS1_25segmented_radix_sort_implINS0_14default_configELb0EPKdPdPKlPlN2at6native12_GLOBAL__N_18offset_tEEE10hipError_tPvRmT1_PNSt15iterator_traitsIS12_E10value_typeET2_T3_PNS13_IS18_E10value_typeET4_jRbjT5_S1E_jjP12ihipStream_tbEUljE_ZNSN_ISO_Lb0ESQ_SR_ST_SU_SY_EESZ_S10_S11_S12_S16_S17_S18_S1B_S1C_jS1D_jS1E_S1E_jjS1G_bEUljE0_EEESZ_S10_S11_S18_S1C_S1E_T6_T7_T9_mT8_S1G_bDpT10_ENKUlT_T0_E_clISt17integral_constantIbLb0EES1U_EEDaS1P_S1Q_EUlS1P_E_NS1_11comp_targetILNS1_3genE0ELNS1_11target_archE4294967295ELNS1_3gpuE0ELNS1_3repE0EEENS1_30default_config_static_selectorELNS0_4arch9wavefront6targetE0EEEvS12_
		.amdhsa_group_segment_fixed_size 0
		.amdhsa_private_segment_fixed_size 0
		.amdhsa_kernarg_size 176
		.amdhsa_user_sgpr_count 2
		.amdhsa_user_sgpr_dispatch_ptr 0
		.amdhsa_user_sgpr_queue_ptr 0
		.amdhsa_user_sgpr_kernarg_segment_ptr 1
		.amdhsa_user_sgpr_dispatch_id 0
		.amdhsa_user_sgpr_private_segment_size 0
		.amdhsa_wavefront_size32 1
		.amdhsa_uses_dynamic_stack 0
		.amdhsa_enable_private_segment 0
		.amdhsa_system_sgpr_workgroup_id_x 1
		.amdhsa_system_sgpr_workgroup_id_y 0
		.amdhsa_system_sgpr_workgroup_id_z 0
		.amdhsa_system_sgpr_workgroup_info 0
		.amdhsa_system_vgpr_workitem_id 0
		.amdhsa_next_free_vgpr 1
		.amdhsa_next_free_sgpr 1
		.amdhsa_reserve_vcc 0
		.amdhsa_float_round_mode_32 0
		.amdhsa_float_round_mode_16_64 0
		.amdhsa_float_denorm_mode_32 3
		.amdhsa_float_denorm_mode_16_64 3
		.amdhsa_fp16_overflow 0
		.amdhsa_workgroup_processor_mode 1
		.amdhsa_memory_ordered 1
		.amdhsa_forward_progress 1
		.amdhsa_inst_pref_size 0
		.amdhsa_round_robin_scheduling 0
		.amdhsa_exception_fp_ieee_invalid_op 0
		.amdhsa_exception_fp_denorm_src 0
		.amdhsa_exception_fp_ieee_div_zero 0
		.amdhsa_exception_fp_ieee_overflow 0
		.amdhsa_exception_fp_ieee_underflow 0
		.amdhsa_exception_fp_ieee_inexact 0
		.amdhsa_exception_int_div_zero 0
	.end_amdhsa_kernel
	.section	.text._ZN7rocprim17ROCPRIM_400000_NS6detail17trampoline_kernelINS0_13select_configILj256ELj13ELNS0_17block_load_methodE3ELS4_3ELS4_3ELNS0_20block_scan_algorithmE0ELj4294967295EEENS1_25partition_config_selectorILNS1_17partition_subalgoE4EjNS0_10empty_typeEbEEZZNS1_14partition_implILS8_4ELb0ES6_15HIP_vector_typeIjLj2EENS0_17counting_iteratorIjlEEPS9_SG_NS0_5tupleIJPjSI_NS0_16reverse_iteratorISI_EEEEENSH_IJSG_SG_SG_EEES9_SI_JZNS1_25segmented_radix_sort_implINS0_14default_configELb0EPKdPdPKlPlN2at6native12_GLOBAL__N_18offset_tEEE10hipError_tPvRmT1_PNSt15iterator_traitsIS12_E10value_typeET2_T3_PNS13_IS18_E10value_typeET4_jRbjT5_S1E_jjP12ihipStream_tbEUljE_ZNSN_ISO_Lb0ESQ_SR_ST_SU_SY_EESZ_S10_S11_S12_S16_S17_S18_S1B_S1C_jS1D_jS1E_S1E_jjS1G_bEUljE0_EEESZ_S10_S11_S18_S1C_S1E_T6_T7_T9_mT8_S1G_bDpT10_ENKUlT_T0_E_clISt17integral_constantIbLb0EES1U_EEDaS1P_S1Q_EUlS1P_E_NS1_11comp_targetILNS1_3genE0ELNS1_11target_archE4294967295ELNS1_3gpuE0ELNS1_3repE0EEENS1_30default_config_static_selectorELNS0_4arch9wavefront6targetE0EEEvS12_,"axG",@progbits,_ZN7rocprim17ROCPRIM_400000_NS6detail17trampoline_kernelINS0_13select_configILj256ELj13ELNS0_17block_load_methodE3ELS4_3ELS4_3ELNS0_20block_scan_algorithmE0ELj4294967295EEENS1_25partition_config_selectorILNS1_17partition_subalgoE4EjNS0_10empty_typeEbEEZZNS1_14partition_implILS8_4ELb0ES6_15HIP_vector_typeIjLj2EENS0_17counting_iteratorIjlEEPS9_SG_NS0_5tupleIJPjSI_NS0_16reverse_iteratorISI_EEEEENSH_IJSG_SG_SG_EEES9_SI_JZNS1_25segmented_radix_sort_implINS0_14default_configELb0EPKdPdPKlPlN2at6native12_GLOBAL__N_18offset_tEEE10hipError_tPvRmT1_PNSt15iterator_traitsIS12_E10value_typeET2_T3_PNS13_IS18_E10value_typeET4_jRbjT5_S1E_jjP12ihipStream_tbEUljE_ZNSN_ISO_Lb0ESQ_SR_ST_SU_SY_EESZ_S10_S11_S12_S16_S17_S18_S1B_S1C_jS1D_jS1E_S1E_jjS1G_bEUljE0_EEESZ_S10_S11_S18_S1C_S1E_T6_T7_T9_mT8_S1G_bDpT10_ENKUlT_T0_E_clISt17integral_constantIbLb0EES1U_EEDaS1P_S1Q_EUlS1P_E_NS1_11comp_targetILNS1_3genE0ELNS1_11target_archE4294967295ELNS1_3gpuE0ELNS1_3repE0EEENS1_30default_config_static_selectorELNS0_4arch9wavefront6targetE0EEEvS12_,comdat
.Lfunc_end1157:
	.size	_ZN7rocprim17ROCPRIM_400000_NS6detail17trampoline_kernelINS0_13select_configILj256ELj13ELNS0_17block_load_methodE3ELS4_3ELS4_3ELNS0_20block_scan_algorithmE0ELj4294967295EEENS1_25partition_config_selectorILNS1_17partition_subalgoE4EjNS0_10empty_typeEbEEZZNS1_14partition_implILS8_4ELb0ES6_15HIP_vector_typeIjLj2EENS0_17counting_iteratorIjlEEPS9_SG_NS0_5tupleIJPjSI_NS0_16reverse_iteratorISI_EEEEENSH_IJSG_SG_SG_EEES9_SI_JZNS1_25segmented_radix_sort_implINS0_14default_configELb0EPKdPdPKlPlN2at6native12_GLOBAL__N_18offset_tEEE10hipError_tPvRmT1_PNSt15iterator_traitsIS12_E10value_typeET2_T3_PNS13_IS18_E10value_typeET4_jRbjT5_S1E_jjP12ihipStream_tbEUljE_ZNSN_ISO_Lb0ESQ_SR_ST_SU_SY_EESZ_S10_S11_S12_S16_S17_S18_S1B_S1C_jS1D_jS1E_S1E_jjS1G_bEUljE0_EEESZ_S10_S11_S18_S1C_S1E_T6_T7_T9_mT8_S1G_bDpT10_ENKUlT_T0_E_clISt17integral_constantIbLb0EES1U_EEDaS1P_S1Q_EUlS1P_E_NS1_11comp_targetILNS1_3genE0ELNS1_11target_archE4294967295ELNS1_3gpuE0ELNS1_3repE0EEENS1_30default_config_static_selectorELNS0_4arch9wavefront6targetE0EEEvS12_, .Lfunc_end1157-_ZN7rocprim17ROCPRIM_400000_NS6detail17trampoline_kernelINS0_13select_configILj256ELj13ELNS0_17block_load_methodE3ELS4_3ELS4_3ELNS0_20block_scan_algorithmE0ELj4294967295EEENS1_25partition_config_selectorILNS1_17partition_subalgoE4EjNS0_10empty_typeEbEEZZNS1_14partition_implILS8_4ELb0ES6_15HIP_vector_typeIjLj2EENS0_17counting_iteratorIjlEEPS9_SG_NS0_5tupleIJPjSI_NS0_16reverse_iteratorISI_EEEEENSH_IJSG_SG_SG_EEES9_SI_JZNS1_25segmented_radix_sort_implINS0_14default_configELb0EPKdPdPKlPlN2at6native12_GLOBAL__N_18offset_tEEE10hipError_tPvRmT1_PNSt15iterator_traitsIS12_E10value_typeET2_T3_PNS13_IS18_E10value_typeET4_jRbjT5_S1E_jjP12ihipStream_tbEUljE_ZNSN_ISO_Lb0ESQ_SR_ST_SU_SY_EESZ_S10_S11_S12_S16_S17_S18_S1B_S1C_jS1D_jS1E_S1E_jjS1G_bEUljE0_EEESZ_S10_S11_S18_S1C_S1E_T6_T7_T9_mT8_S1G_bDpT10_ENKUlT_T0_E_clISt17integral_constantIbLb0EES1U_EEDaS1P_S1Q_EUlS1P_E_NS1_11comp_targetILNS1_3genE0ELNS1_11target_archE4294967295ELNS1_3gpuE0ELNS1_3repE0EEENS1_30default_config_static_selectorELNS0_4arch9wavefront6targetE0EEEvS12_
                                        ; -- End function
	.set _ZN7rocprim17ROCPRIM_400000_NS6detail17trampoline_kernelINS0_13select_configILj256ELj13ELNS0_17block_load_methodE3ELS4_3ELS4_3ELNS0_20block_scan_algorithmE0ELj4294967295EEENS1_25partition_config_selectorILNS1_17partition_subalgoE4EjNS0_10empty_typeEbEEZZNS1_14partition_implILS8_4ELb0ES6_15HIP_vector_typeIjLj2EENS0_17counting_iteratorIjlEEPS9_SG_NS0_5tupleIJPjSI_NS0_16reverse_iteratorISI_EEEEENSH_IJSG_SG_SG_EEES9_SI_JZNS1_25segmented_radix_sort_implINS0_14default_configELb0EPKdPdPKlPlN2at6native12_GLOBAL__N_18offset_tEEE10hipError_tPvRmT1_PNSt15iterator_traitsIS12_E10value_typeET2_T3_PNS13_IS18_E10value_typeET4_jRbjT5_S1E_jjP12ihipStream_tbEUljE_ZNSN_ISO_Lb0ESQ_SR_ST_SU_SY_EESZ_S10_S11_S12_S16_S17_S18_S1B_S1C_jS1D_jS1E_S1E_jjS1G_bEUljE0_EEESZ_S10_S11_S18_S1C_S1E_T6_T7_T9_mT8_S1G_bDpT10_ENKUlT_T0_E_clISt17integral_constantIbLb0EES1U_EEDaS1P_S1Q_EUlS1P_E_NS1_11comp_targetILNS1_3genE0ELNS1_11target_archE4294967295ELNS1_3gpuE0ELNS1_3repE0EEENS1_30default_config_static_selectorELNS0_4arch9wavefront6targetE0EEEvS12_.num_vgpr, 0
	.set _ZN7rocprim17ROCPRIM_400000_NS6detail17trampoline_kernelINS0_13select_configILj256ELj13ELNS0_17block_load_methodE3ELS4_3ELS4_3ELNS0_20block_scan_algorithmE0ELj4294967295EEENS1_25partition_config_selectorILNS1_17partition_subalgoE4EjNS0_10empty_typeEbEEZZNS1_14partition_implILS8_4ELb0ES6_15HIP_vector_typeIjLj2EENS0_17counting_iteratorIjlEEPS9_SG_NS0_5tupleIJPjSI_NS0_16reverse_iteratorISI_EEEEENSH_IJSG_SG_SG_EEES9_SI_JZNS1_25segmented_radix_sort_implINS0_14default_configELb0EPKdPdPKlPlN2at6native12_GLOBAL__N_18offset_tEEE10hipError_tPvRmT1_PNSt15iterator_traitsIS12_E10value_typeET2_T3_PNS13_IS18_E10value_typeET4_jRbjT5_S1E_jjP12ihipStream_tbEUljE_ZNSN_ISO_Lb0ESQ_SR_ST_SU_SY_EESZ_S10_S11_S12_S16_S17_S18_S1B_S1C_jS1D_jS1E_S1E_jjS1G_bEUljE0_EEESZ_S10_S11_S18_S1C_S1E_T6_T7_T9_mT8_S1G_bDpT10_ENKUlT_T0_E_clISt17integral_constantIbLb0EES1U_EEDaS1P_S1Q_EUlS1P_E_NS1_11comp_targetILNS1_3genE0ELNS1_11target_archE4294967295ELNS1_3gpuE0ELNS1_3repE0EEENS1_30default_config_static_selectorELNS0_4arch9wavefront6targetE0EEEvS12_.num_agpr, 0
	.set _ZN7rocprim17ROCPRIM_400000_NS6detail17trampoline_kernelINS0_13select_configILj256ELj13ELNS0_17block_load_methodE3ELS4_3ELS4_3ELNS0_20block_scan_algorithmE0ELj4294967295EEENS1_25partition_config_selectorILNS1_17partition_subalgoE4EjNS0_10empty_typeEbEEZZNS1_14partition_implILS8_4ELb0ES6_15HIP_vector_typeIjLj2EENS0_17counting_iteratorIjlEEPS9_SG_NS0_5tupleIJPjSI_NS0_16reverse_iteratorISI_EEEEENSH_IJSG_SG_SG_EEES9_SI_JZNS1_25segmented_radix_sort_implINS0_14default_configELb0EPKdPdPKlPlN2at6native12_GLOBAL__N_18offset_tEEE10hipError_tPvRmT1_PNSt15iterator_traitsIS12_E10value_typeET2_T3_PNS13_IS18_E10value_typeET4_jRbjT5_S1E_jjP12ihipStream_tbEUljE_ZNSN_ISO_Lb0ESQ_SR_ST_SU_SY_EESZ_S10_S11_S12_S16_S17_S18_S1B_S1C_jS1D_jS1E_S1E_jjS1G_bEUljE0_EEESZ_S10_S11_S18_S1C_S1E_T6_T7_T9_mT8_S1G_bDpT10_ENKUlT_T0_E_clISt17integral_constantIbLb0EES1U_EEDaS1P_S1Q_EUlS1P_E_NS1_11comp_targetILNS1_3genE0ELNS1_11target_archE4294967295ELNS1_3gpuE0ELNS1_3repE0EEENS1_30default_config_static_selectorELNS0_4arch9wavefront6targetE0EEEvS12_.numbered_sgpr, 0
	.set _ZN7rocprim17ROCPRIM_400000_NS6detail17trampoline_kernelINS0_13select_configILj256ELj13ELNS0_17block_load_methodE3ELS4_3ELS4_3ELNS0_20block_scan_algorithmE0ELj4294967295EEENS1_25partition_config_selectorILNS1_17partition_subalgoE4EjNS0_10empty_typeEbEEZZNS1_14partition_implILS8_4ELb0ES6_15HIP_vector_typeIjLj2EENS0_17counting_iteratorIjlEEPS9_SG_NS0_5tupleIJPjSI_NS0_16reverse_iteratorISI_EEEEENSH_IJSG_SG_SG_EEES9_SI_JZNS1_25segmented_radix_sort_implINS0_14default_configELb0EPKdPdPKlPlN2at6native12_GLOBAL__N_18offset_tEEE10hipError_tPvRmT1_PNSt15iterator_traitsIS12_E10value_typeET2_T3_PNS13_IS18_E10value_typeET4_jRbjT5_S1E_jjP12ihipStream_tbEUljE_ZNSN_ISO_Lb0ESQ_SR_ST_SU_SY_EESZ_S10_S11_S12_S16_S17_S18_S1B_S1C_jS1D_jS1E_S1E_jjS1G_bEUljE0_EEESZ_S10_S11_S18_S1C_S1E_T6_T7_T9_mT8_S1G_bDpT10_ENKUlT_T0_E_clISt17integral_constantIbLb0EES1U_EEDaS1P_S1Q_EUlS1P_E_NS1_11comp_targetILNS1_3genE0ELNS1_11target_archE4294967295ELNS1_3gpuE0ELNS1_3repE0EEENS1_30default_config_static_selectorELNS0_4arch9wavefront6targetE0EEEvS12_.num_named_barrier, 0
	.set _ZN7rocprim17ROCPRIM_400000_NS6detail17trampoline_kernelINS0_13select_configILj256ELj13ELNS0_17block_load_methodE3ELS4_3ELS4_3ELNS0_20block_scan_algorithmE0ELj4294967295EEENS1_25partition_config_selectorILNS1_17partition_subalgoE4EjNS0_10empty_typeEbEEZZNS1_14partition_implILS8_4ELb0ES6_15HIP_vector_typeIjLj2EENS0_17counting_iteratorIjlEEPS9_SG_NS0_5tupleIJPjSI_NS0_16reverse_iteratorISI_EEEEENSH_IJSG_SG_SG_EEES9_SI_JZNS1_25segmented_radix_sort_implINS0_14default_configELb0EPKdPdPKlPlN2at6native12_GLOBAL__N_18offset_tEEE10hipError_tPvRmT1_PNSt15iterator_traitsIS12_E10value_typeET2_T3_PNS13_IS18_E10value_typeET4_jRbjT5_S1E_jjP12ihipStream_tbEUljE_ZNSN_ISO_Lb0ESQ_SR_ST_SU_SY_EESZ_S10_S11_S12_S16_S17_S18_S1B_S1C_jS1D_jS1E_S1E_jjS1G_bEUljE0_EEESZ_S10_S11_S18_S1C_S1E_T6_T7_T9_mT8_S1G_bDpT10_ENKUlT_T0_E_clISt17integral_constantIbLb0EES1U_EEDaS1P_S1Q_EUlS1P_E_NS1_11comp_targetILNS1_3genE0ELNS1_11target_archE4294967295ELNS1_3gpuE0ELNS1_3repE0EEENS1_30default_config_static_selectorELNS0_4arch9wavefront6targetE0EEEvS12_.private_seg_size, 0
	.set _ZN7rocprim17ROCPRIM_400000_NS6detail17trampoline_kernelINS0_13select_configILj256ELj13ELNS0_17block_load_methodE3ELS4_3ELS4_3ELNS0_20block_scan_algorithmE0ELj4294967295EEENS1_25partition_config_selectorILNS1_17partition_subalgoE4EjNS0_10empty_typeEbEEZZNS1_14partition_implILS8_4ELb0ES6_15HIP_vector_typeIjLj2EENS0_17counting_iteratorIjlEEPS9_SG_NS0_5tupleIJPjSI_NS0_16reverse_iteratorISI_EEEEENSH_IJSG_SG_SG_EEES9_SI_JZNS1_25segmented_radix_sort_implINS0_14default_configELb0EPKdPdPKlPlN2at6native12_GLOBAL__N_18offset_tEEE10hipError_tPvRmT1_PNSt15iterator_traitsIS12_E10value_typeET2_T3_PNS13_IS18_E10value_typeET4_jRbjT5_S1E_jjP12ihipStream_tbEUljE_ZNSN_ISO_Lb0ESQ_SR_ST_SU_SY_EESZ_S10_S11_S12_S16_S17_S18_S1B_S1C_jS1D_jS1E_S1E_jjS1G_bEUljE0_EEESZ_S10_S11_S18_S1C_S1E_T6_T7_T9_mT8_S1G_bDpT10_ENKUlT_T0_E_clISt17integral_constantIbLb0EES1U_EEDaS1P_S1Q_EUlS1P_E_NS1_11comp_targetILNS1_3genE0ELNS1_11target_archE4294967295ELNS1_3gpuE0ELNS1_3repE0EEENS1_30default_config_static_selectorELNS0_4arch9wavefront6targetE0EEEvS12_.uses_vcc, 0
	.set _ZN7rocprim17ROCPRIM_400000_NS6detail17trampoline_kernelINS0_13select_configILj256ELj13ELNS0_17block_load_methodE3ELS4_3ELS4_3ELNS0_20block_scan_algorithmE0ELj4294967295EEENS1_25partition_config_selectorILNS1_17partition_subalgoE4EjNS0_10empty_typeEbEEZZNS1_14partition_implILS8_4ELb0ES6_15HIP_vector_typeIjLj2EENS0_17counting_iteratorIjlEEPS9_SG_NS0_5tupleIJPjSI_NS0_16reverse_iteratorISI_EEEEENSH_IJSG_SG_SG_EEES9_SI_JZNS1_25segmented_radix_sort_implINS0_14default_configELb0EPKdPdPKlPlN2at6native12_GLOBAL__N_18offset_tEEE10hipError_tPvRmT1_PNSt15iterator_traitsIS12_E10value_typeET2_T3_PNS13_IS18_E10value_typeET4_jRbjT5_S1E_jjP12ihipStream_tbEUljE_ZNSN_ISO_Lb0ESQ_SR_ST_SU_SY_EESZ_S10_S11_S12_S16_S17_S18_S1B_S1C_jS1D_jS1E_S1E_jjS1G_bEUljE0_EEESZ_S10_S11_S18_S1C_S1E_T6_T7_T9_mT8_S1G_bDpT10_ENKUlT_T0_E_clISt17integral_constantIbLb0EES1U_EEDaS1P_S1Q_EUlS1P_E_NS1_11comp_targetILNS1_3genE0ELNS1_11target_archE4294967295ELNS1_3gpuE0ELNS1_3repE0EEENS1_30default_config_static_selectorELNS0_4arch9wavefront6targetE0EEEvS12_.uses_flat_scratch, 0
	.set _ZN7rocprim17ROCPRIM_400000_NS6detail17trampoline_kernelINS0_13select_configILj256ELj13ELNS0_17block_load_methodE3ELS4_3ELS4_3ELNS0_20block_scan_algorithmE0ELj4294967295EEENS1_25partition_config_selectorILNS1_17partition_subalgoE4EjNS0_10empty_typeEbEEZZNS1_14partition_implILS8_4ELb0ES6_15HIP_vector_typeIjLj2EENS0_17counting_iteratorIjlEEPS9_SG_NS0_5tupleIJPjSI_NS0_16reverse_iteratorISI_EEEEENSH_IJSG_SG_SG_EEES9_SI_JZNS1_25segmented_radix_sort_implINS0_14default_configELb0EPKdPdPKlPlN2at6native12_GLOBAL__N_18offset_tEEE10hipError_tPvRmT1_PNSt15iterator_traitsIS12_E10value_typeET2_T3_PNS13_IS18_E10value_typeET4_jRbjT5_S1E_jjP12ihipStream_tbEUljE_ZNSN_ISO_Lb0ESQ_SR_ST_SU_SY_EESZ_S10_S11_S12_S16_S17_S18_S1B_S1C_jS1D_jS1E_S1E_jjS1G_bEUljE0_EEESZ_S10_S11_S18_S1C_S1E_T6_T7_T9_mT8_S1G_bDpT10_ENKUlT_T0_E_clISt17integral_constantIbLb0EES1U_EEDaS1P_S1Q_EUlS1P_E_NS1_11comp_targetILNS1_3genE0ELNS1_11target_archE4294967295ELNS1_3gpuE0ELNS1_3repE0EEENS1_30default_config_static_selectorELNS0_4arch9wavefront6targetE0EEEvS12_.has_dyn_sized_stack, 0
	.set _ZN7rocprim17ROCPRIM_400000_NS6detail17trampoline_kernelINS0_13select_configILj256ELj13ELNS0_17block_load_methodE3ELS4_3ELS4_3ELNS0_20block_scan_algorithmE0ELj4294967295EEENS1_25partition_config_selectorILNS1_17partition_subalgoE4EjNS0_10empty_typeEbEEZZNS1_14partition_implILS8_4ELb0ES6_15HIP_vector_typeIjLj2EENS0_17counting_iteratorIjlEEPS9_SG_NS0_5tupleIJPjSI_NS0_16reverse_iteratorISI_EEEEENSH_IJSG_SG_SG_EEES9_SI_JZNS1_25segmented_radix_sort_implINS0_14default_configELb0EPKdPdPKlPlN2at6native12_GLOBAL__N_18offset_tEEE10hipError_tPvRmT1_PNSt15iterator_traitsIS12_E10value_typeET2_T3_PNS13_IS18_E10value_typeET4_jRbjT5_S1E_jjP12ihipStream_tbEUljE_ZNSN_ISO_Lb0ESQ_SR_ST_SU_SY_EESZ_S10_S11_S12_S16_S17_S18_S1B_S1C_jS1D_jS1E_S1E_jjS1G_bEUljE0_EEESZ_S10_S11_S18_S1C_S1E_T6_T7_T9_mT8_S1G_bDpT10_ENKUlT_T0_E_clISt17integral_constantIbLb0EES1U_EEDaS1P_S1Q_EUlS1P_E_NS1_11comp_targetILNS1_3genE0ELNS1_11target_archE4294967295ELNS1_3gpuE0ELNS1_3repE0EEENS1_30default_config_static_selectorELNS0_4arch9wavefront6targetE0EEEvS12_.has_recursion, 0
	.set _ZN7rocprim17ROCPRIM_400000_NS6detail17trampoline_kernelINS0_13select_configILj256ELj13ELNS0_17block_load_methodE3ELS4_3ELS4_3ELNS0_20block_scan_algorithmE0ELj4294967295EEENS1_25partition_config_selectorILNS1_17partition_subalgoE4EjNS0_10empty_typeEbEEZZNS1_14partition_implILS8_4ELb0ES6_15HIP_vector_typeIjLj2EENS0_17counting_iteratorIjlEEPS9_SG_NS0_5tupleIJPjSI_NS0_16reverse_iteratorISI_EEEEENSH_IJSG_SG_SG_EEES9_SI_JZNS1_25segmented_radix_sort_implINS0_14default_configELb0EPKdPdPKlPlN2at6native12_GLOBAL__N_18offset_tEEE10hipError_tPvRmT1_PNSt15iterator_traitsIS12_E10value_typeET2_T3_PNS13_IS18_E10value_typeET4_jRbjT5_S1E_jjP12ihipStream_tbEUljE_ZNSN_ISO_Lb0ESQ_SR_ST_SU_SY_EESZ_S10_S11_S12_S16_S17_S18_S1B_S1C_jS1D_jS1E_S1E_jjS1G_bEUljE0_EEESZ_S10_S11_S18_S1C_S1E_T6_T7_T9_mT8_S1G_bDpT10_ENKUlT_T0_E_clISt17integral_constantIbLb0EES1U_EEDaS1P_S1Q_EUlS1P_E_NS1_11comp_targetILNS1_3genE0ELNS1_11target_archE4294967295ELNS1_3gpuE0ELNS1_3repE0EEENS1_30default_config_static_selectorELNS0_4arch9wavefront6targetE0EEEvS12_.has_indirect_call, 0
	.section	.AMDGPU.csdata,"",@progbits
; Kernel info:
; codeLenInByte = 0
; TotalNumSgprs: 0
; NumVgprs: 0
; ScratchSize: 0
; MemoryBound: 0
; FloatMode: 240
; IeeeMode: 1
; LDSByteSize: 0 bytes/workgroup (compile time only)
; SGPRBlocks: 0
; VGPRBlocks: 0
; NumSGPRsForWavesPerEU: 1
; NumVGPRsForWavesPerEU: 1
; Occupancy: 16
; WaveLimiterHint : 0
; COMPUTE_PGM_RSRC2:SCRATCH_EN: 0
; COMPUTE_PGM_RSRC2:USER_SGPR: 2
; COMPUTE_PGM_RSRC2:TRAP_HANDLER: 0
; COMPUTE_PGM_RSRC2:TGID_X_EN: 1
; COMPUTE_PGM_RSRC2:TGID_Y_EN: 0
; COMPUTE_PGM_RSRC2:TGID_Z_EN: 0
; COMPUTE_PGM_RSRC2:TIDIG_COMP_CNT: 0
	.section	.text._ZN7rocprim17ROCPRIM_400000_NS6detail17trampoline_kernelINS0_13select_configILj256ELj13ELNS0_17block_load_methodE3ELS4_3ELS4_3ELNS0_20block_scan_algorithmE0ELj4294967295EEENS1_25partition_config_selectorILNS1_17partition_subalgoE4EjNS0_10empty_typeEbEEZZNS1_14partition_implILS8_4ELb0ES6_15HIP_vector_typeIjLj2EENS0_17counting_iteratorIjlEEPS9_SG_NS0_5tupleIJPjSI_NS0_16reverse_iteratorISI_EEEEENSH_IJSG_SG_SG_EEES9_SI_JZNS1_25segmented_radix_sort_implINS0_14default_configELb0EPKdPdPKlPlN2at6native12_GLOBAL__N_18offset_tEEE10hipError_tPvRmT1_PNSt15iterator_traitsIS12_E10value_typeET2_T3_PNS13_IS18_E10value_typeET4_jRbjT5_S1E_jjP12ihipStream_tbEUljE_ZNSN_ISO_Lb0ESQ_SR_ST_SU_SY_EESZ_S10_S11_S12_S16_S17_S18_S1B_S1C_jS1D_jS1E_S1E_jjS1G_bEUljE0_EEESZ_S10_S11_S18_S1C_S1E_T6_T7_T9_mT8_S1G_bDpT10_ENKUlT_T0_E_clISt17integral_constantIbLb0EES1U_EEDaS1P_S1Q_EUlS1P_E_NS1_11comp_targetILNS1_3genE5ELNS1_11target_archE942ELNS1_3gpuE9ELNS1_3repE0EEENS1_30default_config_static_selectorELNS0_4arch9wavefront6targetE0EEEvS12_,"axG",@progbits,_ZN7rocprim17ROCPRIM_400000_NS6detail17trampoline_kernelINS0_13select_configILj256ELj13ELNS0_17block_load_methodE3ELS4_3ELS4_3ELNS0_20block_scan_algorithmE0ELj4294967295EEENS1_25partition_config_selectorILNS1_17partition_subalgoE4EjNS0_10empty_typeEbEEZZNS1_14partition_implILS8_4ELb0ES6_15HIP_vector_typeIjLj2EENS0_17counting_iteratorIjlEEPS9_SG_NS0_5tupleIJPjSI_NS0_16reverse_iteratorISI_EEEEENSH_IJSG_SG_SG_EEES9_SI_JZNS1_25segmented_radix_sort_implINS0_14default_configELb0EPKdPdPKlPlN2at6native12_GLOBAL__N_18offset_tEEE10hipError_tPvRmT1_PNSt15iterator_traitsIS12_E10value_typeET2_T3_PNS13_IS18_E10value_typeET4_jRbjT5_S1E_jjP12ihipStream_tbEUljE_ZNSN_ISO_Lb0ESQ_SR_ST_SU_SY_EESZ_S10_S11_S12_S16_S17_S18_S1B_S1C_jS1D_jS1E_S1E_jjS1G_bEUljE0_EEESZ_S10_S11_S18_S1C_S1E_T6_T7_T9_mT8_S1G_bDpT10_ENKUlT_T0_E_clISt17integral_constantIbLb0EES1U_EEDaS1P_S1Q_EUlS1P_E_NS1_11comp_targetILNS1_3genE5ELNS1_11target_archE942ELNS1_3gpuE9ELNS1_3repE0EEENS1_30default_config_static_selectorELNS0_4arch9wavefront6targetE0EEEvS12_,comdat
	.globl	_ZN7rocprim17ROCPRIM_400000_NS6detail17trampoline_kernelINS0_13select_configILj256ELj13ELNS0_17block_load_methodE3ELS4_3ELS4_3ELNS0_20block_scan_algorithmE0ELj4294967295EEENS1_25partition_config_selectorILNS1_17partition_subalgoE4EjNS0_10empty_typeEbEEZZNS1_14partition_implILS8_4ELb0ES6_15HIP_vector_typeIjLj2EENS0_17counting_iteratorIjlEEPS9_SG_NS0_5tupleIJPjSI_NS0_16reverse_iteratorISI_EEEEENSH_IJSG_SG_SG_EEES9_SI_JZNS1_25segmented_radix_sort_implINS0_14default_configELb0EPKdPdPKlPlN2at6native12_GLOBAL__N_18offset_tEEE10hipError_tPvRmT1_PNSt15iterator_traitsIS12_E10value_typeET2_T3_PNS13_IS18_E10value_typeET4_jRbjT5_S1E_jjP12ihipStream_tbEUljE_ZNSN_ISO_Lb0ESQ_SR_ST_SU_SY_EESZ_S10_S11_S12_S16_S17_S18_S1B_S1C_jS1D_jS1E_S1E_jjS1G_bEUljE0_EEESZ_S10_S11_S18_S1C_S1E_T6_T7_T9_mT8_S1G_bDpT10_ENKUlT_T0_E_clISt17integral_constantIbLb0EES1U_EEDaS1P_S1Q_EUlS1P_E_NS1_11comp_targetILNS1_3genE5ELNS1_11target_archE942ELNS1_3gpuE9ELNS1_3repE0EEENS1_30default_config_static_selectorELNS0_4arch9wavefront6targetE0EEEvS12_ ; -- Begin function _ZN7rocprim17ROCPRIM_400000_NS6detail17trampoline_kernelINS0_13select_configILj256ELj13ELNS0_17block_load_methodE3ELS4_3ELS4_3ELNS0_20block_scan_algorithmE0ELj4294967295EEENS1_25partition_config_selectorILNS1_17partition_subalgoE4EjNS0_10empty_typeEbEEZZNS1_14partition_implILS8_4ELb0ES6_15HIP_vector_typeIjLj2EENS0_17counting_iteratorIjlEEPS9_SG_NS0_5tupleIJPjSI_NS0_16reverse_iteratorISI_EEEEENSH_IJSG_SG_SG_EEES9_SI_JZNS1_25segmented_radix_sort_implINS0_14default_configELb0EPKdPdPKlPlN2at6native12_GLOBAL__N_18offset_tEEE10hipError_tPvRmT1_PNSt15iterator_traitsIS12_E10value_typeET2_T3_PNS13_IS18_E10value_typeET4_jRbjT5_S1E_jjP12ihipStream_tbEUljE_ZNSN_ISO_Lb0ESQ_SR_ST_SU_SY_EESZ_S10_S11_S12_S16_S17_S18_S1B_S1C_jS1D_jS1E_S1E_jjS1G_bEUljE0_EEESZ_S10_S11_S18_S1C_S1E_T6_T7_T9_mT8_S1G_bDpT10_ENKUlT_T0_E_clISt17integral_constantIbLb0EES1U_EEDaS1P_S1Q_EUlS1P_E_NS1_11comp_targetILNS1_3genE5ELNS1_11target_archE942ELNS1_3gpuE9ELNS1_3repE0EEENS1_30default_config_static_selectorELNS0_4arch9wavefront6targetE0EEEvS12_
	.p2align	8
	.type	_ZN7rocprim17ROCPRIM_400000_NS6detail17trampoline_kernelINS0_13select_configILj256ELj13ELNS0_17block_load_methodE3ELS4_3ELS4_3ELNS0_20block_scan_algorithmE0ELj4294967295EEENS1_25partition_config_selectorILNS1_17partition_subalgoE4EjNS0_10empty_typeEbEEZZNS1_14partition_implILS8_4ELb0ES6_15HIP_vector_typeIjLj2EENS0_17counting_iteratorIjlEEPS9_SG_NS0_5tupleIJPjSI_NS0_16reverse_iteratorISI_EEEEENSH_IJSG_SG_SG_EEES9_SI_JZNS1_25segmented_radix_sort_implINS0_14default_configELb0EPKdPdPKlPlN2at6native12_GLOBAL__N_18offset_tEEE10hipError_tPvRmT1_PNSt15iterator_traitsIS12_E10value_typeET2_T3_PNS13_IS18_E10value_typeET4_jRbjT5_S1E_jjP12ihipStream_tbEUljE_ZNSN_ISO_Lb0ESQ_SR_ST_SU_SY_EESZ_S10_S11_S12_S16_S17_S18_S1B_S1C_jS1D_jS1E_S1E_jjS1G_bEUljE0_EEESZ_S10_S11_S18_S1C_S1E_T6_T7_T9_mT8_S1G_bDpT10_ENKUlT_T0_E_clISt17integral_constantIbLb0EES1U_EEDaS1P_S1Q_EUlS1P_E_NS1_11comp_targetILNS1_3genE5ELNS1_11target_archE942ELNS1_3gpuE9ELNS1_3repE0EEENS1_30default_config_static_selectorELNS0_4arch9wavefront6targetE0EEEvS12_,@function
_ZN7rocprim17ROCPRIM_400000_NS6detail17trampoline_kernelINS0_13select_configILj256ELj13ELNS0_17block_load_methodE3ELS4_3ELS4_3ELNS0_20block_scan_algorithmE0ELj4294967295EEENS1_25partition_config_selectorILNS1_17partition_subalgoE4EjNS0_10empty_typeEbEEZZNS1_14partition_implILS8_4ELb0ES6_15HIP_vector_typeIjLj2EENS0_17counting_iteratorIjlEEPS9_SG_NS0_5tupleIJPjSI_NS0_16reverse_iteratorISI_EEEEENSH_IJSG_SG_SG_EEES9_SI_JZNS1_25segmented_radix_sort_implINS0_14default_configELb0EPKdPdPKlPlN2at6native12_GLOBAL__N_18offset_tEEE10hipError_tPvRmT1_PNSt15iterator_traitsIS12_E10value_typeET2_T3_PNS13_IS18_E10value_typeET4_jRbjT5_S1E_jjP12ihipStream_tbEUljE_ZNSN_ISO_Lb0ESQ_SR_ST_SU_SY_EESZ_S10_S11_S12_S16_S17_S18_S1B_S1C_jS1D_jS1E_S1E_jjS1G_bEUljE0_EEESZ_S10_S11_S18_S1C_S1E_T6_T7_T9_mT8_S1G_bDpT10_ENKUlT_T0_E_clISt17integral_constantIbLb0EES1U_EEDaS1P_S1Q_EUlS1P_E_NS1_11comp_targetILNS1_3genE5ELNS1_11target_archE942ELNS1_3gpuE9ELNS1_3repE0EEENS1_30default_config_static_selectorELNS0_4arch9wavefront6targetE0EEEvS12_: ; @_ZN7rocprim17ROCPRIM_400000_NS6detail17trampoline_kernelINS0_13select_configILj256ELj13ELNS0_17block_load_methodE3ELS4_3ELS4_3ELNS0_20block_scan_algorithmE0ELj4294967295EEENS1_25partition_config_selectorILNS1_17partition_subalgoE4EjNS0_10empty_typeEbEEZZNS1_14partition_implILS8_4ELb0ES6_15HIP_vector_typeIjLj2EENS0_17counting_iteratorIjlEEPS9_SG_NS0_5tupleIJPjSI_NS0_16reverse_iteratorISI_EEEEENSH_IJSG_SG_SG_EEES9_SI_JZNS1_25segmented_radix_sort_implINS0_14default_configELb0EPKdPdPKlPlN2at6native12_GLOBAL__N_18offset_tEEE10hipError_tPvRmT1_PNSt15iterator_traitsIS12_E10value_typeET2_T3_PNS13_IS18_E10value_typeET4_jRbjT5_S1E_jjP12ihipStream_tbEUljE_ZNSN_ISO_Lb0ESQ_SR_ST_SU_SY_EESZ_S10_S11_S12_S16_S17_S18_S1B_S1C_jS1D_jS1E_S1E_jjS1G_bEUljE0_EEESZ_S10_S11_S18_S1C_S1E_T6_T7_T9_mT8_S1G_bDpT10_ENKUlT_T0_E_clISt17integral_constantIbLb0EES1U_EEDaS1P_S1Q_EUlS1P_E_NS1_11comp_targetILNS1_3genE5ELNS1_11target_archE942ELNS1_3gpuE9ELNS1_3repE0EEENS1_30default_config_static_selectorELNS0_4arch9wavefront6targetE0EEEvS12_
; %bb.0:
	.section	.rodata,"a",@progbits
	.p2align	6, 0x0
	.amdhsa_kernel _ZN7rocprim17ROCPRIM_400000_NS6detail17trampoline_kernelINS0_13select_configILj256ELj13ELNS0_17block_load_methodE3ELS4_3ELS4_3ELNS0_20block_scan_algorithmE0ELj4294967295EEENS1_25partition_config_selectorILNS1_17partition_subalgoE4EjNS0_10empty_typeEbEEZZNS1_14partition_implILS8_4ELb0ES6_15HIP_vector_typeIjLj2EENS0_17counting_iteratorIjlEEPS9_SG_NS0_5tupleIJPjSI_NS0_16reverse_iteratorISI_EEEEENSH_IJSG_SG_SG_EEES9_SI_JZNS1_25segmented_radix_sort_implINS0_14default_configELb0EPKdPdPKlPlN2at6native12_GLOBAL__N_18offset_tEEE10hipError_tPvRmT1_PNSt15iterator_traitsIS12_E10value_typeET2_T3_PNS13_IS18_E10value_typeET4_jRbjT5_S1E_jjP12ihipStream_tbEUljE_ZNSN_ISO_Lb0ESQ_SR_ST_SU_SY_EESZ_S10_S11_S12_S16_S17_S18_S1B_S1C_jS1D_jS1E_S1E_jjS1G_bEUljE0_EEESZ_S10_S11_S18_S1C_S1E_T6_T7_T9_mT8_S1G_bDpT10_ENKUlT_T0_E_clISt17integral_constantIbLb0EES1U_EEDaS1P_S1Q_EUlS1P_E_NS1_11comp_targetILNS1_3genE5ELNS1_11target_archE942ELNS1_3gpuE9ELNS1_3repE0EEENS1_30default_config_static_selectorELNS0_4arch9wavefront6targetE0EEEvS12_
		.amdhsa_group_segment_fixed_size 0
		.amdhsa_private_segment_fixed_size 0
		.amdhsa_kernarg_size 176
		.amdhsa_user_sgpr_count 2
		.amdhsa_user_sgpr_dispatch_ptr 0
		.amdhsa_user_sgpr_queue_ptr 0
		.amdhsa_user_sgpr_kernarg_segment_ptr 1
		.amdhsa_user_sgpr_dispatch_id 0
		.amdhsa_user_sgpr_private_segment_size 0
		.amdhsa_wavefront_size32 1
		.amdhsa_uses_dynamic_stack 0
		.amdhsa_enable_private_segment 0
		.amdhsa_system_sgpr_workgroup_id_x 1
		.amdhsa_system_sgpr_workgroup_id_y 0
		.amdhsa_system_sgpr_workgroup_id_z 0
		.amdhsa_system_sgpr_workgroup_info 0
		.amdhsa_system_vgpr_workitem_id 0
		.amdhsa_next_free_vgpr 1
		.amdhsa_next_free_sgpr 1
		.amdhsa_reserve_vcc 0
		.amdhsa_float_round_mode_32 0
		.amdhsa_float_round_mode_16_64 0
		.amdhsa_float_denorm_mode_32 3
		.amdhsa_float_denorm_mode_16_64 3
		.amdhsa_fp16_overflow 0
		.amdhsa_workgroup_processor_mode 1
		.amdhsa_memory_ordered 1
		.amdhsa_forward_progress 1
		.amdhsa_inst_pref_size 0
		.amdhsa_round_robin_scheduling 0
		.amdhsa_exception_fp_ieee_invalid_op 0
		.amdhsa_exception_fp_denorm_src 0
		.amdhsa_exception_fp_ieee_div_zero 0
		.amdhsa_exception_fp_ieee_overflow 0
		.amdhsa_exception_fp_ieee_underflow 0
		.amdhsa_exception_fp_ieee_inexact 0
		.amdhsa_exception_int_div_zero 0
	.end_amdhsa_kernel
	.section	.text._ZN7rocprim17ROCPRIM_400000_NS6detail17trampoline_kernelINS0_13select_configILj256ELj13ELNS0_17block_load_methodE3ELS4_3ELS4_3ELNS0_20block_scan_algorithmE0ELj4294967295EEENS1_25partition_config_selectorILNS1_17partition_subalgoE4EjNS0_10empty_typeEbEEZZNS1_14partition_implILS8_4ELb0ES6_15HIP_vector_typeIjLj2EENS0_17counting_iteratorIjlEEPS9_SG_NS0_5tupleIJPjSI_NS0_16reverse_iteratorISI_EEEEENSH_IJSG_SG_SG_EEES9_SI_JZNS1_25segmented_radix_sort_implINS0_14default_configELb0EPKdPdPKlPlN2at6native12_GLOBAL__N_18offset_tEEE10hipError_tPvRmT1_PNSt15iterator_traitsIS12_E10value_typeET2_T3_PNS13_IS18_E10value_typeET4_jRbjT5_S1E_jjP12ihipStream_tbEUljE_ZNSN_ISO_Lb0ESQ_SR_ST_SU_SY_EESZ_S10_S11_S12_S16_S17_S18_S1B_S1C_jS1D_jS1E_S1E_jjS1G_bEUljE0_EEESZ_S10_S11_S18_S1C_S1E_T6_T7_T9_mT8_S1G_bDpT10_ENKUlT_T0_E_clISt17integral_constantIbLb0EES1U_EEDaS1P_S1Q_EUlS1P_E_NS1_11comp_targetILNS1_3genE5ELNS1_11target_archE942ELNS1_3gpuE9ELNS1_3repE0EEENS1_30default_config_static_selectorELNS0_4arch9wavefront6targetE0EEEvS12_,"axG",@progbits,_ZN7rocprim17ROCPRIM_400000_NS6detail17trampoline_kernelINS0_13select_configILj256ELj13ELNS0_17block_load_methodE3ELS4_3ELS4_3ELNS0_20block_scan_algorithmE0ELj4294967295EEENS1_25partition_config_selectorILNS1_17partition_subalgoE4EjNS0_10empty_typeEbEEZZNS1_14partition_implILS8_4ELb0ES6_15HIP_vector_typeIjLj2EENS0_17counting_iteratorIjlEEPS9_SG_NS0_5tupleIJPjSI_NS0_16reverse_iteratorISI_EEEEENSH_IJSG_SG_SG_EEES9_SI_JZNS1_25segmented_radix_sort_implINS0_14default_configELb0EPKdPdPKlPlN2at6native12_GLOBAL__N_18offset_tEEE10hipError_tPvRmT1_PNSt15iterator_traitsIS12_E10value_typeET2_T3_PNS13_IS18_E10value_typeET4_jRbjT5_S1E_jjP12ihipStream_tbEUljE_ZNSN_ISO_Lb0ESQ_SR_ST_SU_SY_EESZ_S10_S11_S12_S16_S17_S18_S1B_S1C_jS1D_jS1E_S1E_jjS1G_bEUljE0_EEESZ_S10_S11_S18_S1C_S1E_T6_T7_T9_mT8_S1G_bDpT10_ENKUlT_T0_E_clISt17integral_constantIbLb0EES1U_EEDaS1P_S1Q_EUlS1P_E_NS1_11comp_targetILNS1_3genE5ELNS1_11target_archE942ELNS1_3gpuE9ELNS1_3repE0EEENS1_30default_config_static_selectorELNS0_4arch9wavefront6targetE0EEEvS12_,comdat
.Lfunc_end1158:
	.size	_ZN7rocprim17ROCPRIM_400000_NS6detail17trampoline_kernelINS0_13select_configILj256ELj13ELNS0_17block_load_methodE3ELS4_3ELS4_3ELNS0_20block_scan_algorithmE0ELj4294967295EEENS1_25partition_config_selectorILNS1_17partition_subalgoE4EjNS0_10empty_typeEbEEZZNS1_14partition_implILS8_4ELb0ES6_15HIP_vector_typeIjLj2EENS0_17counting_iteratorIjlEEPS9_SG_NS0_5tupleIJPjSI_NS0_16reverse_iteratorISI_EEEEENSH_IJSG_SG_SG_EEES9_SI_JZNS1_25segmented_radix_sort_implINS0_14default_configELb0EPKdPdPKlPlN2at6native12_GLOBAL__N_18offset_tEEE10hipError_tPvRmT1_PNSt15iterator_traitsIS12_E10value_typeET2_T3_PNS13_IS18_E10value_typeET4_jRbjT5_S1E_jjP12ihipStream_tbEUljE_ZNSN_ISO_Lb0ESQ_SR_ST_SU_SY_EESZ_S10_S11_S12_S16_S17_S18_S1B_S1C_jS1D_jS1E_S1E_jjS1G_bEUljE0_EEESZ_S10_S11_S18_S1C_S1E_T6_T7_T9_mT8_S1G_bDpT10_ENKUlT_T0_E_clISt17integral_constantIbLb0EES1U_EEDaS1P_S1Q_EUlS1P_E_NS1_11comp_targetILNS1_3genE5ELNS1_11target_archE942ELNS1_3gpuE9ELNS1_3repE0EEENS1_30default_config_static_selectorELNS0_4arch9wavefront6targetE0EEEvS12_, .Lfunc_end1158-_ZN7rocprim17ROCPRIM_400000_NS6detail17trampoline_kernelINS0_13select_configILj256ELj13ELNS0_17block_load_methodE3ELS4_3ELS4_3ELNS0_20block_scan_algorithmE0ELj4294967295EEENS1_25partition_config_selectorILNS1_17partition_subalgoE4EjNS0_10empty_typeEbEEZZNS1_14partition_implILS8_4ELb0ES6_15HIP_vector_typeIjLj2EENS0_17counting_iteratorIjlEEPS9_SG_NS0_5tupleIJPjSI_NS0_16reverse_iteratorISI_EEEEENSH_IJSG_SG_SG_EEES9_SI_JZNS1_25segmented_radix_sort_implINS0_14default_configELb0EPKdPdPKlPlN2at6native12_GLOBAL__N_18offset_tEEE10hipError_tPvRmT1_PNSt15iterator_traitsIS12_E10value_typeET2_T3_PNS13_IS18_E10value_typeET4_jRbjT5_S1E_jjP12ihipStream_tbEUljE_ZNSN_ISO_Lb0ESQ_SR_ST_SU_SY_EESZ_S10_S11_S12_S16_S17_S18_S1B_S1C_jS1D_jS1E_S1E_jjS1G_bEUljE0_EEESZ_S10_S11_S18_S1C_S1E_T6_T7_T9_mT8_S1G_bDpT10_ENKUlT_T0_E_clISt17integral_constantIbLb0EES1U_EEDaS1P_S1Q_EUlS1P_E_NS1_11comp_targetILNS1_3genE5ELNS1_11target_archE942ELNS1_3gpuE9ELNS1_3repE0EEENS1_30default_config_static_selectorELNS0_4arch9wavefront6targetE0EEEvS12_
                                        ; -- End function
	.set _ZN7rocprim17ROCPRIM_400000_NS6detail17trampoline_kernelINS0_13select_configILj256ELj13ELNS0_17block_load_methodE3ELS4_3ELS4_3ELNS0_20block_scan_algorithmE0ELj4294967295EEENS1_25partition_config_selectorILNS1_17partition_subalgoE4EjNS0_10empty_typeEbEEZZNS1_14partition_implILS8_4ELb0ES6_15HIP_vector_typeIjLj2EENS0_17counting_iteratorIjlEEPS9_SG_NS0_5tupleIJPjSI_NS0_16reverse_iteratorISI_EEEEENSH_IJSG_SG_SG_EEES9_SI_JZNS1_25segmented_radix_sort_implINS0_14default_configELb0EPKdPdPKlPlN2at6native12_GLOBAL__N_18offset_tEEE10hipError_tPvRmT1_PNSt15iterator_traitsIS12_E10value_typeET2_T3_PNS13_IS18_E10value_typeET4_jRbjT5_S1E_jjP12ihipStream_tbEUljE_ZNSN_ISO_Lb0ESQ_SR_ST_SU_SY_EESZ_S10_S11_S12_S16_S17_S18_S1B_S1C_jS1D_jS1E_S1E_jjS1G_bEUljE0_EEESZ_S10_S11_S18_S1C_S1E_T6_T7_T9_mT8_S1G_bDpT10_ENKUlT_T0_E_clISt17integral_constantIbLb0EES1U_EEDaS1P_S1Q_EUlS1P_E_NS1_11comp_targetILNS1_3genE5ELNS1_11target_archE942ELNS1_3gpuE9ELNS1_3repE0EEENS1_30default_config_static_selectorELNS0_4arch9wavefront6targetE0EEEvS12_.num_vgpr, 0
	.set _ZN7rocprim17ROCPRIM_400000_NS6detail17trampoline_kernelINS0_13select_configILj256ELj13ELNS0_17block_load_methodE3ELS4_3ELS4_3ELNS0_20block_scan_algorithmE0ELj4294967295EEENS1_25partition_config_selectorILNS1_17partition_subalgoE4EjNS0_10empty_typeEbEEZZNS1_14partition_implILS8_4ELb0ES6_15HIP_vector_typeIjLj2EENS0_17counting_iteratorIjlEEPS9_SG_NS0_5tupleIJPjSI_NS0_16reverse_iteratorISI_EEEEENSH_IJSG_SG_SG_EEES9_SI_JZNS1_25segmented_radix_sort_implINS0_14default_configELb0EPKdPdPKlPlN2at6native12_GLOBAL__N_18offset_tEEE10hipError_tPvRmT1_PNSt15iterator_traitsIS12_E10value_typeET2_T3_PNS13_IS18_E10value_typeET4_jRbjT5_S1E_jjP12ihipStream_tbEUljE_ZNSN_ISO_Lb0ESQ_SR_ST_SU_SY_EESZ_S10_S11_S12_S16_S17_S18_S1B_S1C_jS1D_jS1E_S1E_jjS1G_bEUljE0_EEESZ_S10_S11_S18_S1C_S1E_T6_T7_T9_mT8_S1G_bDpT10_ENKUlT_T0_E_clISt17integral_constantIbLb0EES1U_EEDaS1P_S1Q_EUlS1P_E_NS1_11comp_targetILNS1_3genE5ELNS1_11target_archE942ELNS1_3gpuE9ELNS1_3repE0EEENS1_30default_config_static_selectorELNS0_4arch9wavefront6targetE0EEEvS12_.num_agpr, 0
	.set _ZN7rocprim17ROCPRIM_400000_NS6detail17trampoline_kernelINS0_13select_configILj256ELj13ELNS0_17block_load_methodE3ELS4_3ELS4_3ELNS0_20block_scan_algorithmE0ELj4294967295EEENS1_25partition_config_selectorILNS1_17partition_subalgoE4EjNS0_10empty_typeEbEEZZNS1_14partition_implILS8_4ELb0ES6_15HIP_vector_typeIjLj2EENS0_17counting_iteratorIjlEEPS9_SG_NS0_5tupleIJPjSI_NS0_16reverse_iteratorISI_EEEEENSH_IJSG_SG_SG_EEES9_SI_JZNS1_25segmented_radix_sort_implINS0_14default_configELb0EPKdPdPKlPlN2at6native12_GLOBAL__N_18offset_tEEE10hipError_tPvRmT1_PNSt15iterator_traitsIS12_E10value_typeET2_T3_PNS13_IS18_E10value_typeET4_jRbjT5_S1E_jjP12ihipStream_tbEUljE_ZNSN_ISO_Lb0ESQ_SR_ST_SU_SY_EESZ_S10_S11_S12_S16_S17_S18_S1B_S1C_jS1D_jS1E_S1E_jjS1G_bEUljE0_EEESZ_S10_S11_S18_S1C_S1E_T6_T7_T9_mT8_S1G_bDpT10_ENKUlT_T0_E_clISt17integral_constantIbLb0EES1U_EEDaS1P_S1Q_EUlS1P_E_NS1_11comp_targetILNS1_3genE5ELNS1_11target_archE942ELNS1_3gpuE9ELNS1_3repE0EEENS1_30default_config_static_selectorELNS0_4arch9wavefront6targetE0EEEvS12_.numbered_sgpr, 0
	.set _ZN7rocprim17ROCPRIM_400000_NS6detail17trampoline_kernelINS0_13select_configILj256ELj13ELNS0_17block_load_methodE3ELS4_3ELS4_3ELNS0_20block_scan_algorithmE0ELj4294967295EEENS1_25partition_config_selectorILNS1_17partition_subalgoE4EjNS0_10empty_typeEbEEZZNS1_14partition_implILS8_4ELb0ES6_15HIP_vector_typeIjLj2EENS0_17counting_iteratorIjlEEPS9_SG_NS0_5tupleIJPjSI_NS0_16reverse_iteratorISI_EEEEENSH_IJSG_SG_SG_EEES9_SI_JZNS1_25segmented_radix_sort_implINS0_14default_configELb0EPKdPdPKlPlN2at6native12_GLOBAL__N_18offset_tEEE10hipError_tPvRmT1_PNSt15iterator_traitsIS12_E10value_typeET2_T3_PNS13_IS18_E10value_typeET4_jRbjT5_S1E_jjP12ihipStream_tbEUljE_ZNSN_ISO_Lb0ESQ_SR_ST_SU_SY_EESZ_S10_S11_S12_S16_S17_S18_S1B_S1C_jS1D_jS1E_S1E_jjS1G_bEUljE0_EEESZ_S10_S11_S18_S1C_S1E_T6_T7_T9_mT8_S1G_bDpT10_ENKUlT_T0_E_clISt17integral_constantIbLb0EES1U_EEDaS1P_S1Q_EUlS1P_E_NS1_11comp_targetILNS1_3genE5ELNS1_11target_archE942ELNS1_3gpuE9ELNS1_3repE0EEENS1_30default_config_static_selectorELNS0_4arch9wavefront6targetE0EEEvS12_.num_named_barrier, 0
	.set _ZN7rocprim17ROCPRIM_400000_NS6detail17trampoline_kernelINS0_13select_configILj256ELj13ELNS0_17block_load_methodE3ELS4_3ELS4_3ELNS0_20block_scan_algorithmE0ELj4294967295EEENS1_25partition_config_selectorILNS1_17partition_subalgoE4EjNS0_10empty_typeEbEEZZNS1_14partition_implILS8_4ELb0ES6_15HIP_vector_typeIjLj2EENS0_17counting_iteratorIjlEEPS9_SG_NS0_5tupleIJPjSI_NS0_16reverse_iteratorISI_EEEEENSH_IJSG_SG_SG_EEES9_SI_JZNS1_25segmented_radix_sort_implINS0_14default_configELb0EPKdPdPKlPlN2at6native12_GLOBAL__N_18offset_tEEE10hipError_tPvRmT1_PNSt15iterator_traitsIS12_E10value_typeET2_T3_PNS13_IS18_E10value_typeET4_jRbjT5_S1E_jjP12ihipStream_tbEUljE_ZNSN_ISO_Lb0ESQ_SR_ST_SU_SY_EESZ_S10_S11_S12_S16_S17_S18_S1B_S1C_jS1D_jS1E_S1E_jjS1G_bEUljE0_EEESZ_S10_S11_S18_S1C_S1E_T6_T7_T9_mT8_S1G_bDpT10_ENKUlT_T0_E_clISt17integral_constantIbLb0EES1U_EEDaS1P_S1Q_EUlS1P_E_NS1_11comp_targetILNS1_3genE5ELNS1_11target_archE942ELNS1_3gpuE9ELNS1_3repE0EEENS1_30default_config_static_selectorELNS0_4arch9wavefront6targetE0EEEvS12_.private_seg_size, 0
	.set _ZN7rocprim17ROCPRIM_400000_NS6detail17trampoline_kernelINS0_13select_configILj256ELj13ELNS0_17block_load_methodE3ELS4_3ELS4_3ELNS0_20block_scan_algorithmE0ELj4294967295EEENS1_25partition_config_selectorILNS1_17partition_subalgoE4EjNS0_10empty_typeEbEEZZNS1_14partition_implILS8_4ELb0ES6_15HIP_vector_typeIjLj2EENS0_17counting_iteratorIjlEEPS9_SG_NS0_5tupleIJPjSI_NS0_16reverse_iteratorISI_EEEEENSH_IJSG_SG_SG_EEES9_SI_JZNS1_25segmented_radix_sort_implINS0_14default_configELb0EPKdPdPKlPlN2at6native12_GLOBAL__N_18offset_tEEE10hipError_tPvRmT1_PNSt15iterator_traitsIS12_E10value_typeET2_T3_PNS13_IS18_E10value_typeET4_jRbjT5_S1E_jjP12ihipStream_tbEUljE_ZNSN_ISO_Lb0ESQ_SR_ST_SU_SY_EESZ_S10_S11_S12_S16_S17_S18_S1B_S1C_jS1D_jS1E_S1E_jjS1G_bEUljE0_EEESZ_S10_S11_S18_S1C_S1E_T6_T7_T9_mT8_S1G_bDpT10_ENKUlT_T0_E_clISt17integral_constantIbLb0EES1U_EEDaS1P_S1Q_EUlS1P_E_NS1_11comp_targetILNS1_3genE5ELNS1_11target_archE942ELNS1_3gpuE9ELNS1_3repE0EEENS1_30default_config_static_selectorELNS0_4arch9wavefront6targetE0EEEvS12_.uses_vcc, 0
	.set _ZN7rocprim17ROCPRIM_400000_NS6detail17trampoline_kernelINS0_13select_configILj256ELj13ELNS0_17block_load_methodE3ELS4_3ELS4_3ELNS0_20block_scan_algorithmE0ELj4294967295EEENS1_25partition_config_selectorILNS1_17partition_subalgoE4EjNS0_10empty_typeEbEEZZNS1_14partition_implILS8_4ELb0ES6_15HIP_vector_typeIjLj2EENS0_17counting_iteratorIjlEEPS9_SG_NS0_5tupleIJPjSI_NS0_16reverse_iteratorISI_EEEEENSH_IJSG_SG_SG_EEES9_SI_JZNS1_25segmented_radix_sort_implINS0_14default_configELb0EPKdPdPKlPlN2at6native12_GLOBAL__N_18offset_tEEE10hipError_tPvRmT1_PNSt15iterator_traitsIS12_E10value_typeET2_T3_PNS13_IS18_E10value_typeET4_jRbjT5_S1E_jjP12ihipStream_tbEUljE_ZNSN_ISO_Lb0ESQ_SR_ST_SU_SY_EESZ_S10_S11_S12_S16_S17_S18_S1B_S1C_jS1D_jS1E_S1E_jjS1G_bEUljE0_EEESZ_S10_S11_S18_S1C_S1E_T6_T7_T9_mT8_S1G_bDpT10_ENKUlT_T0_E_clISt17integral_constantIbLb0EES1U_EEDaS1P_S1Q_EUlS1P_E_NS1_11comp_targetILNS1_3genE5ELNS1_11target_archE942ELNS1_3gpuE9ELNS1_3repE0EEENS1_30default_config_static_selectorELNS0_4arch9wavefront6targetE0EEEvS12_.uses_flat_scratch, 0
	.set _ZN7rocprim17ROCPRIM_400000_NS6detail17trampoline_kernelINS0_13select_configILj256ELj13ELNS0_17block_load_methodE3ELS4_3ELS4_3ELNS0_20block_scan_algorithmE0ELj4294967295EEENS1_25partition_config_selectorILNS1_17partition_subalgoE4EjNS0_10empty_typeEbEEZZNS1_14partition_implILS8_4ELb0ES6_15HIP_vector_typeIjLj2EENS0_17counting_iteratorIjlEEPS9_SG_NS0_5tupleIJPjSI_NS0_16reverse_iteratorISI_EEEEENSH_IJSG_SG_SG_EEES9_SI_JZNS1_25segmented_radix_sort_implINS0_14default_configELb0EPKdPdPKlPlN2at6native12_GLOBAL__N_18offset_tEEE10hipError_tPvRmT1_PNSt15iterator_traitsIS12_E10value_typeET2_T3_PNS13_IS18_E10value_typeET4_jRbjT5_S1E_jjP12ihipStream_tbEUljE_ZNSN_ISO_Lb0ESQ_SR_ST_SU_SY_EESZ_S10_S11_S12_S16_S17_S18_S1B_S1C_jS1D_jS1E_S1E_jjS1G_bEUljE0_EEESZ_S10_S11_S18_S1C_S1E_T6_T7_T9_mT8_S1G_bDpT10_ENKUlT_T0_E_clISt17integral_constantIbLb0EES1U_EEDaS1P_S1Q_EUlS1P_E_NS1_11comp_targetILNS1_3genE5ELNS1_11target_archE942ELNS1_3gpuE9ELNS1_3repE0EEENS1_30default_config_static_selectorELNS0_4arch9wavefront6targetE0EEEvS12_.has_dyn_sized_stack, 0
	.set _ZN7rocprim17ROCPRIM_400000_NS6detail17trampoline_kernelINS0_13select_configILj256ELj13ELNS0_17block_load_methodE3ELS4_3ELS4_3ELNS0_20block_scan_algorithmE0ELj4294967295EEENS1_25partition_config_selectorILNS1_17partition_subalgoE4EjNS0_10empty_typeEbEEZZNS1_14partition_implILS8_4ELb0ES6_15HIP_vector_typeIjLj2EENS0_17counting_iteratorIjlEEPS9_SG_NS0_5tupleIJPjSI_NS0_16reverse_iteratorISI_EEEEENSH_IJSG_SG_SG_EEES9_SI_JZNS1_25segmented_radix_sort_implINS0_14default_configELb0EPKdPdPKlPlN2at6native12_GLOBAL__N_18offset_tEEE10hipError_tPvRmT1_PNSt15iterator_traitsIS12_E10value_typeET2_T3_PNS13_IS18_E10value_typeET4_jRbjT5_S1E_jjP12ihipStream_tbEUljE_ZNSN_ISO_Lb0ESQ_SR_ST_SU_SY_EESZ_S10_S11_S12_S16_S17_S18_S1B_S1C_jS1D_jS1E_S1E_jjS1G_bEUljE0_EEESZ_S10_S11_S18_S1C_S1E_T6_T7_T9_mT8_S1G_bDpT10_ENKUlT_T0_E_clISt17integral_constantIbLb0EES1U_EEDaS1P_S1Q_EUlS1P_E_NS1_11comp_targetILNS1_3genE5ELNS1_11target_archE942ELNS1_3gpuE9ELNS1_3repE0EEENS1_30default_config_static_selectorELNS0_4arch9wavefront6targetE0EEEvS12_.has_recursion, 0
	.set _ZN7rocprim17ROCPRIM_400000_NS6detail17trampoline_kernelINS0_13select_configILj256ELj13ELNS0_17block_load_methodE3ELS4_3ELS4_3ELNS0_20block_scan_algorithmE0ELj4294967295EEENS1_25partition_config_selectorILNS1_17partition_subalgoE4EjNS0_10empty_typeEbEEZZNS1_14partition_implILS8_4ELb0ES6_15HIP_vector_typeIjLj2EENS0_17counting_iteratorIjlEEPS9_SG_NS0_5tupleIJPjSI_NS0_16reverse_iteratorISI_EEEEENSH_IJSG_SG_SG_EEES9_SI_JZNS1_25segmented_radix_sort_implINS0_14default_configELb0EPKdPdPKlPlN2at6native12_GLOBAL__N_18offset_tEEE10hipError_tPvRmT1_PNSt15iterator_traitsIS12_E10value_typeET2_T3_PNS13_IS18_E10value_typeET4_jRbjT5_S1E_jjP12ihipStream_tbEUljE_ZNSN_ISO_Lb0ESQ_SR_ST_SU_SY_EESZ_S10_S11_S12_S16_S17_S18_S1B_S1C_jS1D_jS1E_S1E_jjS1G_bEUljE0_EEESZ_S10_S11_S18_S1C_S1E_T6_T7_T9_mT8_S1G_bDpT10_ENKUlT_T0_E_clISt17integral_constantIbLb0EES1U_EEDaS1P_S1Q_EUlS1P_E_NS1_11comp_targetILNS1_3genE5ELNS1_11target_archE942ELNS1_3gpuE9ELNS1_3repE0EEENS1_30default_config_static_selectorELNS0_4arch9wavefront6targetE0EEEvS12_.has_indirect_call, 0
	.section	.AMDGPU.csdata,"",@progbits
; Kernel info:
; codeLenInByte = 0
; TotalNumSgprs: 0
; NumVgprs: 0
; ScratchSize: 0
; MemoryBound: 0
; FloatMode: 240
; IeeeMode: 1
; LDSByteSize: 0 bytes/workgroup (compile time only)
; SGPRBlocks: 0
; VGPRBlocks: 0
; NumSGPRsForWavesPerEU: 1
; NumVGPRsForWavesPerEU: 1
; Occupancy: 16
; WaveLimiterHint : 0
; COMPUTE_PGM_RSRC2:SCRATCH_EN: 0
; COMPUTE_PGM_RSRC2:USER_SGPR: 2
; COMPUTE_PGM_RSRC2:TRAP_HANDLER: 0
; COMPUTE_PGM_RSRC2:TGID_X_EN: 1
; COMPUTE_PGM_RSRC2:TGID_Y_EN: 0
; COMPUTE_PGM_RSRC2:TGID_Z_EN: 0
; COMPUTE_PGM_RSRC2:TIDIG_COMP_CNT: 0
	.section	.text._ZN7rocprim17ROCPRIM_400000_NS6detail17trampoline_kernelINS0_13select_configILj256ELj13ELNS0_17block_load_methodE3ELS4_3ELS4_3ELNS0_20block_scan_algorithmE0ELj4294967295EEENS1_25partition_config_selectorILNS1_17partition_subalgoE4EjNS0_10empty_typeEbEEZZNS1_14partition_implILS8_4ELb0ES6_15HIP_vector_typeIjLj2EENS0_17counting_iteratorIjlEEPS9_SG_NS0_5tupleIJPjSI_NS0_16reverse_iteratorISI_EEEEENSH_IJSG_SG_SG_EEES9_SI_JZNS1_25segmented_radix_sort_implINS0_14default_configELb0EPKdPdPKlPlN2at6native12_GLOBAL__N_18offset_tEEE10hipError_tPvRmT1_PNSt15iterator_traitsIS12_E10value_typeET2_T3_PNS13_IS18_E10value_typeET4_jRbjT5_S1E_jjP12ihipStream_tbEUljE_ZNSN_ISO_Lb0ESQ_SR_ST_SU_SY_EESZ_S10_S11_S12_S16_S17_S18_S1B_S1C_jS1D_jS1E_S1E_jjS1G_bEUljE0_EEESZ_S10_S11_S18_S1C_S1E_T6_T7_T9_mT8_S1G_bDpT10_ENKUlT_T0_E_clISt17integral_constantIbLb0EES1U_EEDaS1P_S1Q_EUlS1P_E_NS1_11comp_targetILNS1_3genE4ELNS1_11target_archE910ELNS1_3gpuE8ELNS1_3repE0EEENS1_30default_config_static_selectorELNS0_4arch9wavefront6targetE0EEEvS12_,"axG",@progbits,_ZN7rocprim17ROCPRIM_400000_NS6detail17trampoline_kernelINS0_13select_configILj256ELj13ELNS0_17block_load_methodE3ELS4_3ELS4_3ELNS0_20block_scan_algorithmE0ELj4294967295EEENS1_25partition_config_selectorILNS1_17partition_subalgoE4EjNS0_10empty_typeEbEEZZNS1_14partition_implILS8_4ELb0ES6_15HIP_vector_typeIjLj2EENS0_17counting_iteratorIjlEEPS9_SG_NS0_5tupleIJPjSI_NS0_16reverse_iteratorISI_EEEEENSH_IJSG_SG_SG_EEES9_SI_JZNS1_25segmented_radix_sort_implINS0_14default_configELb0EPKdPdPKlPlN2at6native12_GLOBAL__N_18offset_tEEE10hipError_tPvRmT1_PNSt15iterator_traitsIS12_E10value_typeET2_T3_PNS13_IS18_E10value_typeET4_jRbjT5_S1E_jjP12ihipStream_tbEUljE_ZNSN_ISO_Lb0ESQ_SR_ST_SU_SY_EESZ_S10_S11_S12_S16_S17_S18_S1B_S1C_jS1D_jS1E_S1E_jjS1G_bEUljE0_EEESZ_S10_S11_S18_S1C_S1E_T6_T7_T9_mT8_S1G_bDpT10_ENKUlT_T0_E_clISt17integral_constantIbLb0EES1U_EEDaS1P_S1Q_EUlS1P_E_NS1_11comp_targetILNS1_3genE4ELNS1_11target_archE910ELNS1_3gpuE8ELNS1_3repE0EEENS1_30default_config_static_selectorELNS0_4arch9wavefront6targetE0EEEvS12_,comdat
	.globl	_ZN7rocprim17ROCPRIM_400000_NS6detail17trampoline_kernelINS0_13select_configILj256ELj13ELNS0_17block_load_methodE3ELS4_3ELS4_3ELNS0_20block_scan_algorithmE0ELj4294967295EEENS1_25partition_config_selectorILNS1_17partition_subalgoE4EjNS0_10empty_typeEbEEZZNS1_14partition_implILS8_4ELb0ES6_15HIP_vector_typeIjLj2EENS0_17counting_iteratorIjlEEPS9_SG_NS0_5tupleIJPjSI_NS0_16reverse_iteratorISI_EEEEENSH_IJSG_SG_SG_EEES9_SI_JZNS1_25segmented_radix_sort_implINS0_14default_configELb0EPKdPdPKlPlN2at6native12_GLOBAL__N_18offset_tEEE10hipError_tPvRmT1_PNSt15iterator_traitsIS12_E10value_typeET2_T3_PNS13_IS18_E10value_typeET4_jRbjT5_S1E_jjP12ihipStream_tbEUljE_ZNSN_ISO_Lb0ESQ_SR_ST_SU_SY_EESZ_S10_S11_S12_S16_S17_S18_S1B_S1C_jS1D_jS1E_S1E_jjS1G_bEUljE0_EEESZ_S10_S11_S18_S1C_S1E_T6_T7_T9_mT8_S1G_bDpT10_ENKUlT_T0_E_clISt17integral_constantIbLb0EES1U_EEDaS1P_S1Q_EUlS1P_E_NS1_11comp_targetILNS1_3genE4ELNS1_11target_archE910ELNS1_3gpuE8ELNS1_3repE0EEENS1_30default_config_static_selectorELNS0_4arch9wavefront6targetE0EEEvS12_ ; -- Begin function _ZN7rocprim17ROCPRIM_400000_NS6detail17trampoline_kernelINS0_13select_configILj256ELj13ELNS0_17block_load_methodE3ELS4_3ELS4_3ELNS0_20block_scan_algorithmE0ELj4294967295EEENS1_25partition_config_selectorILNS1_17partition_subalgoE4EjNS0_10empty_typeEbEEZZNS1_14partition_implILS8_4ELb0ES6_15HIP_vector_typeIjLj2EENS0_17counting_iteratorIjlEEPS9_SG_NS0_5tupleIJPjSI_NS0_16reverse_iteratorISI_EEEEENSH_IJSG_SG_SG_EEES9_SI_JZNS1_25segmented_radix_sort_implINS0_14default_configELb0EPKdPdPKlPlN2at6native12_GLOBAL__N_18offset_tEEE10hipError_tPvRmT1_PNSt15iterator_traitsIS12_E10value_typeET2_T3_PNS13_IS18_E10value_typeET4_jRbjT5_S1E_jjP12ihipStream_tbEUljE_ZNSN_ISO_Lb0ESQ_SR_ST_SU_SY_EESZ_S10_S11_S12_S16_S17_S18_S1B_S1C_jS1D_jS1E_S1E_jjS1G_bEUljE0_EEESZ_S10_S11_S18_S1C_S1E_T6_T7_T9_mT8_S1G_bDpT10_ENKUlT_T0_E_clISt17integral_constantIbLb0EES1U_EEDaS1P_S1Q_EUlS1P_E_NS1_11comp_targetILNS1_3genE4ELNS1_11target_archE910ELNS1_3gpuE8ELNS1_3repE0EEENS1_30default_config_static_selectorELNS0_4arch9wavefront6targetE0EEEvS12_
	.p2align	8
	.type	_ZN7rocprim17ROCPRIM_400000_NS6detail17trampoline_kernelINS0_13select_configILj256ELj13ELNS0_17block_load_methodE3ELS4_3ELS4_3ELNS0_20block_scan_algorithmE0ELj4294967295EEENS1_25partition_config_selectorILNS1_17partition_subalgoE4EjNS0_10empty_typeEbEEZZNS1_14partition_implILS8_4ELb0ES6_15HIP_vector_typeIjLj2EENS0_17counting_iteratorIjlEEPS9_SG_NS0_5tupleIJPjSI_NS0_16reverse_iteratorISI_EEEEENSH_IJSG_SG_SG_EEES9_SI_JZNS1_25segmented_radix_sort_implINS0_14default_configELb0EPKdPdPKlPlN2at6native12_GLOBAL__N_18offset_tEEE10hipError_tPvRmT1_PNSt15iterator_traitsIS12_E10value_typeET2_T3_PNS13_IS18_E10value_typeET4_jRbjT5_S1E_jjP12ihipStream_tbEUljE_ZNSN_ISO_Lb0ESQ_SR_ST_SU_SY_EESZ_S10_S11_S12_S16_S17_S18_S1B_S1C_jS1D_jS1E_S1E_jjS1G_bEUljE0_EEESZ_S10_S11_S18_S1C_S1E_T6_T7_T9_mT8_S1G_bDpT10_ENKUlT_T0_E_clISt17integral_constantIbLb0EES1U_EEDaS1P_S1Q_EUlS1P_E_NS1_11comp_targetILNS1_3genE4ELNS1_11target_archE910ELNS1_3gpuE8ELNS1_3repE0EEENS1_30default_config_static_selectorELNS0_4arch9wavefront6targetE0EEEvS12_,@function
_ZN7rocprim17ROCPRIM_400000_NS6detail17trampoline_kernelINS0_13select_configILj256ELj13ELNS0_17block_load_methodE3ELS4_3ELS4_3ELNS0_20block_scan_algorithmE0ELj4294967295EEENS1_25partition_config_selectorILNS1_17partition_subalgoE4EjNS0_10empty_typeEbEEZZNS1_14partition_implILS8_4ELb0ES6_15HIP_vector_typeIjLj2EENS0_17counting_iteratorIjlEEPS9_SG_NS0_5tupleIJPjSI_NS0_16reverse_iteratorISI_EEEEENSH_IJSG_SG_SG_EEES9_SI_JZNS1_25segmented_radix_sort_implINS0_14default_configELb0EPKdPdPKlPlN2at6native12_GLOBAL__N_18offset_tEEE10hipError_tPvRmT1_PNSt15iterator_traitsIS12_E10value_typeET2_T3_PNS13_IS18_E10value_typeET4_jRbjT5_S1E_jjP12ihipStream_tbEUljE_ZNSN_ISO_Lb0ESQ_SR_ST_SU_SY_EESZ_S10_S11_S12_S16_S17_S18_S1B_S1C_jS1D_jS1E_S1E_jjS1G_bEUljE0_EEESZ_S10_S11_S18_S1C_S1E_T6_T7_T9_mT8_S1G_bDpT10_ENKUlT_T0_E_clISt17integral_constantIbLb0EES1U_EEDaS1P_S1Q_EUlS1P_E_NS1_11comp_targetILNS1_3genE4ELNS1_11target_archE910ELNS1_3gpuE8ELNS1_3repE0EEENS1_30default_config_static_selectorELNS0_4arch9wavefront6targetE0EEEvS12_: ; @_ZN7rocprim17ROCPRIM_400000_NS6detail17trampoline_kernelINS0_13select_configILj256ELj13ELNS0_17block_load_methodE3ELS4_3ELS4_3ELNS0_20block_scan_algorithmE0ELj4294967295EEENS1_25partition_config_selectorILNS1_17partition_subalgoE4EjNS0_10empty_typeEbEEZZNS1_14partition_implILS8_4ELb0ES6_15HIP_vector_typeIjLj2EENS0_17counting_iteratorIjlEEPS9_SG_NS0_5tupleIJPjSI_NS0_16reverse_iteratorISI_EEEEENSH_IJSG_SG_SG_EEES9_SI_JZNS1_25segmented_radix_sort_implINS0_14default_configELb0EPKdPdPKlPlN2at6native12_GLOBAL__N_18offset_tEEE10hipError_tPvRmT1_PNSt15iterator_traitsIS12_E10value_typeET2_T3_PNS13_IS18_E10value_typeET4_jRbjT5_S1E_jjP12ihipStream_tbEUljE_ZNSN_ISO_Lb0ESQ_SR_ST_SU_SY_EESZ_S10_S11_S12_S16_S17_S18_S1B_S1C_jS1D_jS1E_S1E_jjS1G_bEUljE0_EEESZ_S10_S11_S18_S1C_S1E_T6_T7_T9_mT8_S1G_bDpT10_ENKUlT_T0_E_clISt17integral_constantIbLb0EES1U_EEDaS1P_S1Q_EUlS1P_E_NS1_11comp_targetILNS1_3genE4ELNS1_11target_archE910ELNS1_3gpuE8ELNS1_3repE0EEENS1_30default_config_static_selectorELNS0_4arch9wavefront6targetE0EEEvS12_
; %bb.0:
	.section	.rodata,"a",@progbits
	.p2align	6, 0x0
	.amdhsa_kernel _ZN7rocprim17ROCPRIM_400000_NS6detail17trampoline_kernelINS0_13select_configILj256ELj13ELNS0_17block_load_methodE3ELS4_3ELS4_3ELNS0_20block_scan_algorithmE0ELj4294967295EEENS1_25partition_config_selectorILNS1_17partition_subalgoE4EjNS0_10empty_typeEbEEZZNS1_14partition_implILS8_4ELb0ES6_15HIP_vector_typeIjLj2EENS0_17counting_iteratorIjlEEPS9_SG_NS0_5tupleIJPjSI_NS0_16reverse_iteratorISI_EEEEENSH_IJSG_SG_SG_EEES9_SI_JZNS1_25segmented_radix_sort_implINS0_14default_configELb0EPKdPdPKlPlN2at6native12_GLOBAL__N_18offset_tEEE10hipError_tPvRmT1_PNSt15iterator_traitsIS12_E10value_typeET2_T3_PNS13_IS18_E10value_typeET4_jRbjT5_S1E_jjP12ihipStream_tbEUljE_ZNSN_ISO_Lb0ESQ_SR_ST_SU_SY_EESZ_S10_S11_S12_S16_S17_S18_S1B_S1C_jS1D_jS1E_S1E_jjS1G_bEUljE0_EEESZ_S10_S11_S18_S1C_S1E_T6_T7_T9_mT8_S1G_bDpT10_ENKUlT_T0_E_clISt17integral_constantIbLb0EES1U_EEDaS1P_S1Q_EUlS1P_E_NS1_11comp_targetILNS1_3genE4ELNS1_11target_archE910ELNS1_3gpuE8ELNS1_3repE0EEENS1_30default_config_static_selectorELNS0_4arch9wavefront6targetE0EEEvS12_
		.amdhsa_group_segment_fixed_size 0
		.amdhsa_private_segment_fixed_size 0
		.amdhsa_kernarg_size 176
		.amdhsa_user_sgpr_count 2
		.amdhsa_user_sgpr_dispatch_ptr 0
		.amdhsa_user_sgpr_queue_ptr 0
		.amdhsa_user_sgpr_kernarg_segment_ptr 1
		.amdhsa_user_sgpr_dispatch_id 0
		.amdhsa_user_sgpr_private_segment_size 0
		.amdhsa_wavefront_size32 1
		.amdhsa_uses_dynamic_stack 0
		.amdhsa_enable_private_segment 0
		.amdhsa_system_sgpr_workgroup_id_x 1
		.amdhsa_system_sgpr_workgroup_id_y 0
		.amdhsa_system_sgpr_workgroup_id_z 0
		.amdhsa_system_sgpr_workgroup_info 0
		.amdhsa_system_vgpr_workitem_id 0
		.amdhsa_next_free_vgpr 1
		.amdhsa_next_free_sgpr 1
		.amdhsa_reserve_vcc 0
		.amdhsa_float_round_mode_32 0
		.amdhsa_float_round_mode_16_64 0
		.amdhsa_float_denorm_mode_32 3
		.amdhsa_float_denorm_mode_16_64 3
		.amdhsa_fp16_overflow 0
		.amdhsa_workgroup_processor_mode 1
		.amdhsa_memory_ordered 1
		.amdhsa_forward_progress 1
		.amdhsa_inst_pref_size 0
		.amdhsa_round_robin_scheduling 0
		.amdhsa_exception_fp_ieee_invalid_op 0
		.amdhsa_exception_fp_denorm_src 0
		.amdhsa_exception_fp_ieee_div_zero 0
		.amdhsa_exception_fp_ieee_overflow 0
		.amdhsa_exception_fp_ieee_underflow 0
		.amdhsa_exception_fp_ieee_inexact 0
		.amdhsa_exception_int_div_zero 0
	.end_amdhsa_kernel
	.section	.text._ZN7rocprim17ROCPRIM_400000_NS6detail17trampoline_kernelINS0_13select_configILj256ELj13ELNS0_17block_load_methodE3ELS4_3ELS4_3ELNS0_20block_scan_algorithmE0ELj4294967295EEENS1_25partition_config_selectorILNS1_17partition_subalgoE4EjNS0_10empty_typeEbEEZZNS1_14partition_implILS8_4ELb0ES6_15HIP_vector_typeIjLj2EENS0_17counting_iteratorIjlEEPS9_SG_NS0_5tupleIJPjSI_NS0_16reverse_iteratorISI_EEEEENSH_IJSG_SG_SG_EEES9_SI_JZNS1_25segmented_radix_sort_implINS0_14default_configELb0EPKdPdPKlPlN2at6native12_GLOBAL__N_18offset_tEEE10hipError_tPvRmT1_PNSt15iterator_traitsIS12_E10value_typeET2_T3_PNS13_IS18_E10value_typeET4_jRbjT5_S1E_jjP12ihipStream_tbEUljE_ZNSN_ISO_Lb0ESQ_SR_ST_SU_SY_EESZ_S10_S11_S12_S16_S17_S18_S1B_S1C_jS1D_jS1E_S1E_jjS1G_bEUljE0_EEESZ_S10_S11_S18_S1C_S1E_T6_T7_T9_mT8_S1G_bDpT10_ENKUlT_T0_E_clISt17integral_constantIbLb0EES1U_EEDaS1P_S1Q_EUlS1P_E_NS1_11comp_targetILNS1_3genE4ELNS1_11target_archE910ELNS1_3gpuE8ELNS1_3repE0EEENS1_30default_config_static_selectorELNS0_4arch9wavefront6targetE0EEEvS12_,"axG",@progbits,_ZN7rocprim17ROCPRIM_400000_NS6detail17trampoline_kernelINS0_13select_configILj256ELj13ELNS0_17block_load_methodE3ELS4_3ELS4_3ELNS0_20block_scan_algorithmE0ELj4294967295EEENS1_25partition_config_selectorILNS1_17partition_subalgoE4EjNS0_10empty_typeEbEEZZNS1_14partition_implILS8_4ELb0ES6_15HIP_vector_typeIjLj2EENS0_17counting_iteratorIjlEEPS9_SG_NS0_5tupleIJPjSI_NS0_16reverse_iteratorISI_EEEEENSH_IJSG_SG_SG_EEES9_SI_JZNS1_25segmented_radix_sort_implINS0_14default_configELb0EPKdPdPKlPlN2at6native12_GLOBAL__N_18offset_tEEE10hipError_tPvRmT1_PNSt15iterator_traitsIS12_E10value_typeET2_T3_PNS13_IS18_E10value_typeET4_jRbjT5_S1E_jjP12ihipStream_tbEUljE_ZNSN_ISO_Lb0ESQ_SR_ST_SU_SY_EESZ_S10_S11_S12_S16_S17_S18_S1B_S1C_jS1D_jS1E_S1E_jjS1G_bEUljE0_EEESZ_S10_S11_S18_S1C_S1E_T6_T7_T9_mT8_S1G_bDpT10_ENKUlT_T0_E_clISt17integral_constantIbLb0EES1U_EEDaS1P_S1Q_EUlS1P_E_NS1_11comp_targetILNS1_3genE4ELNS1_11target_archE910ELNS1_3gpuE8ELNS1_3repE0EEENS1_30default_config_static_selectorELNS0_4arch9wavefront6targetE0EEEvS12_,comdat
.Lfunc_end1159:
	.size	_ZN7rocprim17ROCPRIM_400000_NS6detail17trampoline_kernelINS0_13select_configILj256ELj13ELNS0_17block_load_methodE3ELS4_3ELS4_3ELNS0_20block_scan_algorithmE0ELj4294967295EEENS1_25partition_config_selectorILNS1_17partition_subalgoE4EjNS0_10empty_typeEbEEZZNS1_14partition_implILS8_4ELb0ES6_15HIP_vector_typeIjLj2EENS0_17counting_iteratorIjlEEPS9_SG_NS0_5tupleIJPjSI_NS0_16reverse_iteratorISI_EEEEENSH_IJSG_SG_SG_EEES9_SI_JZNS1_25segmented_radix_sort_implINS0_14default_configELb0EPKdPdPKlPlN2at6native12_GLOBAL__N_18offset_tEEE10hipError_tPvRmT1_PNSt15iterator_traitsIS12_E10value_typeET2_T3_PNS13_IS18_E10value_typeET4_jRbjT5_S1E_jjP12ihipStream_tbEUljE_ZNSN_ISO_Lb0ESQ_SR_ST_SU_SY_EESZ_S10_S11_S12_S16_S17_S18_S1B_S1C_jS1D_jS1E_S1E_jjS1G_bEUljE0_EEESZ_S10_S11_S18_S1C_S1E_T6_T7_T9_mT8_S1G_bDpT10_ENKUlT_T0_E_clISt17integral_constantIbLb0EES1U_EEDaS1P_S1Q_EUlS1P_E_NS1_11comp_targetILNS1_3genE4ELNS1_11target_archE910ELNS1_3gpuE8ELNS1_3repE0EEENS1_30default_config_static_selectorELNS0_4arch9wavefront6targetE0EEEvS12_, .Lfunc_end1159-_ZN7rocprim17ROCPRIM_400000_NS6detail17trampoline_kernelINS0_13select_configILj256ELj13ELNS0_17block_load_methodE3ELS4_3ELS4_3ELNS0_20block_scan_algorithmE0ELj4294967295EEENS1_25partition_config_selectorILNS1_17partition_subalgoE4EjNS0_10empty_typeEbEEZZNS1_14partition_implILS8_4ELb0ES6_15HIP_vector_typeIjLj2EENS0_17counting_iteratorIjlEEPS9_SG_NS0_5tupleIJPjSI_NS0_16reverse_iteratorISI_EEEEENSH_IJSG_SG_SG_EEES9_SI_JZNS1_25segmented_radix_sort_implINS0_14default_configELb0EPKdPdPKlPlN2at6native12_GLOBAL__N_18offset_tEEE10hipError_tPvRmT1_PNSt15iterator_traitsIS12_E10value_typeET2_T3_PNS13_IS18_E10value_typeET4_jRbjT5_S1E_jjP12ihipStream_tbEUljE_ZNSN_ISO_Lb0ESQ_SR_ST_SU_SY_EESZ_S10_S11_S12_S16_S17_S18_S1B_S1C_jS1D_jS1E_S1E_jjS1G_bEUljE0_EEESZ_S10_S11_S18_S1C_S1E_T6_T7_T9_mT8_S1G_bDpT10_ENKUlT_T0_E_clISt17integral_constantIbLb0EES1U_EEDaS1P_S1Q_EUlS1P_E_NS1_11comp_targetILNS1_3genE4ELNS1_11target_archE910ELNS1_3gpuE8ELNS1_3repE0EEENS1_30default_config_static_selectorELNS0_4arch9wavefront6targetE0EEEvS12_
                                        ; -- End function
	.set _ZN7rocprim17ROCPRIM_400000_NS6detail17trampoline_kernelINS0_13select_configILj256ELj13ELNS0_17block_load_methodE3ELS4_3ELS4_3ELNS0_20block_scan_algorithmE0ELj4294967295EEENS1_25partition_config_selectorILNS1_17partition_subalgoE4EjNS0_10empty_typeEbEEZZNS1_14partition_implILS8_4ELb0ES6_15HIP_vector_typeIjLj2EENS0_17counting_iteratorIjlEEPS9_SG_NS0_5tupleIJPjSI_NS0_16reverse_iteratorISI_EEEEENSH_IJSG_SG_SG_EEES9_SI_JZNS1_25segmented_radix_sort_implINS0_14default_configELb0EPKdPdPKlPlN2at6native12_GLOBAL__N_18offset_tEEE10hipError_tPvRmT1_PNSt15iterator_traitsIS12_E10value_typeET2_T3_PNS13_IS18_E10value_typeET4_jRbjT5_S1E_jjP12ihipStream_tbEUljE_ZNSN_ISO_Lb0ESQ_SR_ST_SU_SY_EESZ_S10_S11_S12_S16_S17_S18_S1B_S1C_jS1D_jS1E_S1E_jjS1G_bEUljE0_EEESZ_S10_S11_S18_S1C_S1E_T6_T7_T9_mT8_S1G_bDpT10_ENKUlT_T0_E_clISt17integral_constantIbLb0EES1U_EEDaS1P_S1Q_EUlS1P_E_NS1_11comp_targetILNS1_3genE4ELNS1_11target_archE910ELNS1_3gpuE8ELNS1_3repE0EEENS1_30default_config_static_selectorELNS0_4arch9wavefront6targetE0EEEvS12_.num_vgpr, 0
	.set _ZN7rocprim17ROCPRIM_400000_NS6detail17trampoline_kernelINS0_13select_configILj256ELj13ELNS0_17block_load_methodE3ELS4_3ELS4_3ELNS0_20block_scan_algorithmE0ELj4294967295EEENS1_25partition_config_selectorILNS1_17partition_subalgoE4EjNS0_10empty_typeEbEEZZNS1_14partition_implILS8_4ELb0ES6_15HIP_vector_typeIjLj2EENS0_17counting_iteratorIjlEEPS9_SG_NS0_5tupleIJPjSI_NS0_16reverse_iteratorISI_EEEEENSH_IJSG_SG_SG_EEES9_SI_JZNS1_25segmented_radix_sort_implINS0_14default_configELb0EPKdPdPKlPlN2at6native12_GLOBAL__N_18offset_tEEE10hipError_tPvRmT1_PNSt15iterator_traitsIS12_E10value_typeET2_T3_PNS13_IS18_E10value_typeET4_jRbjT5_S1E_jjP12ihipStream_tbEUljE_ZNSN_ISO_Lb0ESQ_SR_ST_SU_SY_EESZ_S10_S11_S12_S16_S17_S18_S1B_S1C_jS1D_jS1E_S1E_jjS1G_bEUljE0_EEESZ_S10_S11_S18_S1C_S1E_T6_T7_T9_mT8_S1G_bDpT10_ENKUlT_T0_E_clISt17integral_constantIbLb0EES1U_EEDaS1P_S1Q_EUlS1P_E_NS1_11comp_targetILNS1_3genE4ELNS1_11target_archE910ELNS1_3gpuE8ELNS1_3repE0EEENS1_30default_config_static_selectorELNS0_4arch9wavefront6targetE0EEEvS12_.num_agpr, 0
	.set _ZN7rocprim17ROCPRIM_400000_NS6detail17trampoline_kernelINS0_13select_configILj256ELj13ELNS0_17block_load_methodE3ELS4_3ELS4_3ELNS0_20block_scan_algorithmE0ELj4294967295EEENS1_25partition_config_selectorILNS1_17partition_subalgoE4EjNS0_10empty_typeEbEEZZNS1_14partition_implILS8_4ELb0ES6_15HIP_vector_typeIjLj2EENS0_17counting_iteratorIjlEEPS9_SG_NS0_5tupleIJPjSI_NS0_16reverse_iteratorISI_EEEEENSH_IJSG_SG_SG_EEES9_SI_JZNS1_25segmented_radix_sort_implINS0_14default_configELb0EPKdPdPKlPlN2at6native12_GLOBAL__N_18offset_tEEE10hipError_tPvRmT1_PNSt15iterator_traitsIS12_E10value_typeET2_T3_PNS13_IS18_E10value_typeET4_jRbjT5_S1E_jjP12ihipStream_tbEUljE_ZNSN_ISO_Lb0ESQ_SR_ST_SU_SY_EESZ_S10_S11_S12_S16_S17_S18_S1B_S1C_jS1D_jS1E_S1E_jjS1G_bEUljE0_EEESZ_S10_S11_S18_S1C_S1E_T6_T7_T9_mT8_S1G_bDpT10_ENKUlT_T0_E_clISt17integral_constantIbLb0EES1U_EEDaS1P_S1Q_EUlS1P_E_NS1_11comp_targetILNS1_3genE4ELNS1_11target_archE910ELNS1_3gpuE8ELNS1_3repE0EEENS1_30default_config_static_selectorELNS0_4arch9wavefront6targetE0EEEvS12_.numbered_sgpr, 0
	.set _ZN7rocprim17ROCPRIM_400000_NS6detail17trampoline_kernelINS0_13select_configILj256ELj13ELNS0_17block_load_methodE3ELS4_3ELS4_3ELNS0_20block_scan_algorithmE0ELj4294967295EEENS1_25partition_config_selectorILNS1_17partition_subalgoE4EjNS0_10empty_typeEbEEZZNS1_14partition_implILS8_4ELb0ES6_15HIP_vector_typeIjLj2EENS0_17counting_iteratorIjlEEPS9_SG_NS0_5tupleIJPjSI_NS0_16reverse_iteratorISI_EEEEENSH_IJSG_SG_SG_EEES9_SI_JZNS1_25segmented_radix_sort_implINS0_14default_configELb0EPKdPdPKlPlN2at6native12_GLOBAL__N_18offset_tEEE10hipError_tPvRmT1_PNSt15iterator_traitsIS12_E10value_typeET2_T3_PNS13_IS18_E10value_typeET4_jRbjT5_S1E_jjP12ihipStream_tbEUljE_ZNSN_ISO_Lb0ESQ_SR_ST_SU_SY_EESZ_S10_S11_S12_S16_S17_S18_S1B_S1C_jS1D_jS1E_S1E_jjS1G_bEUljE0_EEESZ_S10_S11_S18_S1C_S1E_T6_T7_T9_mT8_S1G_bDpT10_ENKUlT_T0_E_clISt17integral_constantIbLb0EES1U_EEDaS1P_S1Q_EUlS1P_E_NS1_11comp_targetILNS1_3genE4ELNS1_11target_archE910ELNS1_3gpuE8ELNS1_3repE0EEENS1_30default_config_static_selectorELNS0_4arch9wavefront6targetE0EEEvS12_.num_named_barrier, 0
	.set _ZN7rocprim17ROCPRIM_400000_NS6detail17trampoline_kernelINS0_13select_configILj256ELj13ELNS0_17block_load_methodE3ELS4_3ELS4_3ELNS0_20block_scan_algorithmE0ELj4294967295EEENS1_25partition_config_selectorILNS1_17partition_subalgoE4EjNS0_10empty_typeEbEEZZNS1_14partition_implILS8_4ELb0ES6_15HIP_vector_typeIjLj2EENS0_17counting_iteratorIjlEEPS9_SG_NS0_5tupleIJPjSI_NS0_16reverse_iteratorISI_EEEEENSH_IJSG_SG_SG_EEES9_SI_JZNS1_25segmented_radix_sort_implINS0_14default_configELb0EPKdPdPKlPlN2at6native12_GLOBAL__N_18offset_tEEE10hipError_tPvRmT1_PNSt15iterator_traitsIS12_E10value_typeET2_T3_PNS13_IS18_E10value_typeET4_jRbjT5_S1E_jjP12ihipStream_tbEUljE_ZNSN_ISO_Lb0ESQ_SR_ST_SU_SY_EESZ_S10_S11_S12_S16_S17_S18_S1B_S1C_jS1D_jS1E_S1E_jjS1G_bEUljE0_EEESZ_S10_S11_S18_S1C_S1E_T6_T7_T9_mT8_S1G_bDpT10_ENKUlT_T0_E_clISt17integral_constantIbLb0EES1U_EEDaS1P_S1Q_EUlS1P_E_NS1_11comp_targetILNS1_3genE4ELNS1_11target_archE910ELNS1_3gpuE8ELNS1_3repE0EEENS1_30default_config_static_selectorELNS0_4arch9wavefront6targetE0EEEvS12_.private_seg_size, 0
	.set _ZN7rocprim17ROCPRIM_400000_NS6detail17trampoline_kernelINS0_13select_configILj256ELj13ELNS0_17block_load_methodE3ELS4_3ELS4_3ELNS0_20block_scan_algorithmE0ELj4294967295EEENS1_25partition_config_selectorILNS1_17partition_subalgoE4EjNS0_10empty_typeEbEEZZNS1_14partition_implILS8_4ELb0ES6_15HIP_vector_typeIjLj2EENS0_17counting_iteratorIjlEEPS9_SG_NS0_5tupleIJPjSI_NS0_16reverse_iteratorISI_EEEEENSH_IJSG_SG_SG_EEES9_SI_JZNS1_25segmented_radix_sort_implINS0_14default_configELb0EPKdPdPKlPlN2at6native12_GLOBAL__N_18offset_tEEE10hipError_tPvRmT1_PNSt15iterator_traitsIS12_E10value_typeET2_T3_PNS13_IS18_E10value_typeET4_jRbjT5_S1E_jjP12ihipStream_tbEUljE_ZNSN_ISO_Lb0ESQ_SR_ST_SU_SY_EESZ_S10_S11_S12_S16_S17_S18_S1B_S1C_jS1D_jS1E_S1E_jjS1G_bEUljE0_EEESZ_S10_S11_S18_S1C_S1E_T6_T7_T9_mT8_S1G_bDpT10_ENKUlT_T0_E_clISt17integral_constantIbLb0EES1U_EEDaS1P_S1Q_EUlS1P_E_NS1_11comp_targetILNS1_3genE4ELNS1_11target_archE910ELNS1_3gpuE8ELNS1_3repE0EEENS1_30default_config_static_selectorELNS0_4arch9wavefront6targetE0EEEvS12_.uses_vcc, 0
	.set _ZN7rocprim17ROCPRIM_400000_NS6detail17trampoline_kernelINS0_13select_configILj256ELj13ELNS0_17block_load_methodE3ELS4_3ELS4_3ELNS0_20block_scan_algorithmE0ELj4294967295EEENS1_25partition_config_selectorILNS1_17partition_subalgoE4EjNS0_10empty_typeEbEEZZNS1_14partition_implILS8_4ELb0ES6_15HIP_vector_typeIjLj2EENS0_17counting_iteratorIjlEEPS9_SG_NS0_5tupleIJPjSI_NS0_16reverse_iteratorISI_EEEEENSH_IJSG_SG_SG_EEES9_SI_JZNS1_25segmented_radix_sort_implINS0_14default_configELb0EPKdPdPKlPlN2at6native12_GLOBAL__N_18offset_tEEE10hipError_tPvRmT1_PNSt15iterator_traitsIS12_E10value_typeET2_T3_PNS13_IS18_E10value_typeET4_jRbjT5_S1E_jjP12ihipStream_tbEUljE_ZNSN_ISO_Lb0ESQ_SR_ST_SU_SY_EESZ_S10_S11_S12_S16_S17_S18_S1B_S1C_jS1D_jS1E_S1E_jjS1G_bEUljE0_EEESZ_S10_S11_S18_S1C_S1E_T6_T7_T9_mT8_S1G_bDpT10_ENKUlT_T0_E_clISt17integral_constantIbLb0EES1U_EEDaS1P_S1Q_EUlS1P_E_NS1_11comp_targetILNS1_3genE4ELNS1_11target_archE910ELNS1_3gpuE8ELNS1_3repE0EEENS1_30default_config_static_selectorELNS0_4arch9wavefront6targetE0EEEvS12_.uses_flat_scratch, 0
	.set _ZN7rocprim17ROCPRIM_400000_NS6detail17trampoline_kernelINS0_13select_configILj256ELj13ELNS0_17block_load_methodE3ELS4_3ELS4_3ELNS0_20block_scan_algorithmE0ELj4294967295EEENS1_25partition_config_selectorILNS1_17partition_subalgoE4EjNS0_10empty_typeEbEEZZNS1_14partition_implILS8_4ELb0ES6_15HIP_vector_typeIjLj2EENS0_17counting_iteratorIjlEEPS9_SG_NS0_5tupleIJPjSI_NS0_16reverse_iteratorISI_EEEEENSH_IJSG_SG_SG_EEES9_SI_JZNS1_25segmented_radix_sort_implINS0_14default_configELb0EPKdPdPKlPlN2at6native12_GLOBAL__N_18offset_tEEE10hipError_tPvRmT1_PNSt15iterator_traitsIS12_E10value_typeET2_T3_PNS13_IS18_E10value_typeET4_jRbjT5_S1E_jjP12ihipStream_tbEUljE_ZNSN_ISO_Lb0ESQ_SR_ST_SU_SY_EESZ_S10_S11_S12_S16_S17_S18_S1B_S1C_jS1D_jS1E_S1E_jjS1G_bEUljE0_EEESZ_S10_S11_S18_S1C_S1E_T6_T7_T9_mT8_S1G_bDpT10_ENKUlT_T0_E_clISt17integral_constantIbLb0EES1U_EEDaS1P_S1Q_EUlS1P_E_NS1_11comp_targetILNS1_3genE4ELNS1_11target_archE910ELNS1_3gpuE8ELNS1_3repE0EEENS1_30default_config_static_selectorELNS0_4arch9wavefront6targetE0EEEvS12_.has_dyn_sized_stack, 0
	.set _ZN7rocprim17ROCPRIM_400000_NS6detail17trampoline_kernelINS0_13select_configILj256ELj13ELNS0_17block_load_methodE3ELS4_3ELS4_3ELNS0_20block_scan_algorithmE0ELj4294967295EEENS1_25partition_config_selectorILNS1_17partition_subalgoE4EjNS0_10empty_typeEbEEZZNS1_14partition_implILS8_4ELb0ES6_15HIP_vector_typeIjLj2EENS0_17counting_iteratorIjlEEPS9_SG_NS0_5tupleIJPjSI_NS0_16reverse_iteratorISI_EEEEENSH_IJSG_SG_SG_EEES9_SI_JZNS1_25segmented_radix_sort_implINS0_14default_configELb0EPKdPdPKlPlN2at6native12_GLOBAL__N_18offset_tEEE10hipError_tPvRmT1_PNSt15iterator_traitsIS12_E10value_typeET2_T3_PNS13_IS18_E10value_typeET4_jRbjT5_S1E_jjP12ihipStream_tbEUljE_ZNSN_ISO_Lb0ESQ_SR_ST_SU_SY_EESZ_S10_S11_S12_S16_S17_S18_S1B_S1C_jS1D_jS1E_S1E_jjS1G_bEUljE0_EEESZ_S10_S11_S18_S1C_S1E_T6_T7_T9_mT8_S1G_bDpT10_ENKUlT_T0_E_clISt17integral_constantIbLb0EES1U_EEDaS1P_S1Q_EUlS1P_E_NS1_11comp_targetILNS1_3genE4ELNS1_11target_archE910ELNS1_3gpuE8ELNS1_3repE0EEENS1_30default_config_static_selectorELNS0_4arch9wavefront6targetE0EEEvS12_.has_recursion, 0
	.set _ZN7rocprim17ROCPRIM_400000_NS6detail17trampoline_kernelINS0_13select_configILj256ELj13ELNS0_17block_load_methodE3ELS4_3ELS4_3ELNS0_20block_scan_algorithmE0ELj4294967295EEENS1_25partition_config_selectorILNS1_17partition_subalgoE4EjNS0_10empty_typeEbEEZZNS1_14partition_implILS8_4ELb0ES6_15HIP_vector_typeIjLj2EENS0_17counting_iteratorIjlEEPS9_SG_NS0_5tupleIJPjSI_NS0_16reverse_iteratorISI_EEEEENSH_IJSG_SG_SG_EEES9_SI_JZNS1_25segmented_radix_sort_implINS0_14default_configELb0EPKdPdPKlPlN2at6native12_GLOBAL__N_18offset_tEEE10hipError_tPvRmT1_PNSt15iterator_traitsIS12_E10value_typeET2_T3_PNS13_IS18_E10value_typeET4_jRbjT5_S1E_jjP12ihipStream_tbEUljE_ZNSN_ISO_Lb0ESQ_SR_ST_SU_SY_EESZ_S10_S11_S12_S16_S17_S18_S1B_S1C_jS1D_jS1E_S1E_jjS1G_bEUljE0_EEESZ_S10_S11_S18_S1C_S1E_T6_T7_T9_mT8_S1G_bDpT10_ENKUlT_T0_E_clISt17integral_constantIbLb0EES1U_EEDaS1P_S1Q_EUlS1P_E_NS1_11comp_targetILNS1_3genE4ELNS1_11target_archE910ELNS1_3gpuE8ELNS1_3repE0EEENS1_30default_config_static_selectorELNS0_4arch9wavefront6targetE0EEEvS12_.has_indirect_call, 0
	.section	.AMDGPU.csdata,"",@progbits
; Kernel info:
; codeLenInByte = 0
; TotalNumSgprs: 0
; NumVgprs: 0
; ScratchSize: 0
; MemoryBound: 0
; FloatMode: 240
; IeeeMode: 1
; LDSByteSize: 0 bytes/workgroup (compile time only)
; SGPRBlocks: 0
; VGPRBlocks: 0
; NumSGPRsForWavesPerEU: 1
; NumVGPRsForWavesPerEU: 1
; Occupancy: 16
; WaveLimiterHint : 0
; COMPUTE_PGM_RSRC2:SCRATCH_EN: 0
; COMPUTE_PGM_RSRC2:USER_SGPR: 2
; COMPUTE_PGM_RSRC2:TRAP_HANDLER: 0
; COMPUTE_PGM_RSRC2:TGID_X_EN: 1
; COMPUTE_PGM_RSRC2:TGID_Y_EN: 0
; COMPUTE_PGM_RSRC2:TGID_Z_EN: 0
; COMPUTE_PGM_RSRC2:TIDIG_COMP_CNT: 0
	.section	.text._ZN7rocprim17ROCPRIM_400000_NS6detail17trampoline_kernelINS0_13select_configILj256ELj13ELNS0_17block_load_methodE3ELS4_3ELS4_3ELNS0_20block_scan_algorithmE0ELj4294967295EEENS1_25partition_config_selectorILNS1_17partition_subalgoE4EjNS0_10empty_typeEbEEZZNS1_14partition_implILS8_4ELb0ES6_15HIP_vector_typeIjLj2EENS0_17counting_iteratorIjlEEPS9_SG_NS0_5tupleIJPjSI_NS0_16reverse_iteratorISI_EEEEENSH_IJSG_SG_SG_EEES9_SI_JZNS1_25segmented_radix_sort_implINS0_14default_configELb0EPKdPdPKlPlN2at6native12_GLOBAL__N_18offset_tEEE10hipError_tPvRmT1_PNSt15iterator_traitsIS12_E10value_typeET2_T3_PNS13_IS18_E10value_typeET4_jRbjT5_S1E_jjP12ihipStream_tbEUljE_ZNSN_ISO_Lb0ESQ_SR_ST_SU_SY_EESZ_S10_S11_S12_S16_S17_S18_S1B_S1C_jS1D_jS1E_S1E_jjS1G_bEUljE0_EEESZ_S10_S11_S18_S1C_S1E_T6_T7_T9_mT8_S1G_bDpT10_ENKUlT_T0_E_clISt17integral_constantIbLb0EES1U_EEDaS1P_S1Q_EUlS1P_E_NS1_11comp_targetILNS1_3genE3ELNS1_11target_archE908ELNS1_3gpuE7ELNS1_3repE0EEENS1_30default_config_static_selectorELNS0_4arch9wavefront6targetE0EEEvS12_,"axG",@progbits,_ZN7rocprim17ROCPRIM_400000_NS6detail17trampoline_kernelINS0_13select_configILj256ELj13ELNS0_17block_load_methodE3ELS4_3ELS4_3ELNS0_20block_scan_algorithmE0ELj4294967295EEENS1_25partition_config_selectorILNS1_17partition_subalgoE4EjNS0_10empty_typeEbEEZZNS1_14partition_implILS8_4ELb0ES6_15HIP_vector_typeIjLj2EENS0_17counting_iteratorIjlEEPS9_SG_NS0_5tupleIJPjSI_NS0_16reverse_iteratorISI_EEEEENSH_IJSG_SG_SG_EEES9_SI_JZNS1_25segmented_radix_sort_implINS0_14default_configELb0EPKdPdPKlPlN2at6native12_GLOBAL__N_18offset_tEEE10hipError_tPvRmT1_PNSt15iterator_traitsIS12_E10value_typeET2_T3_PNS13_IS18_E10value_typeET4_jRbjT5_S1E_jjP12ihipStream_tbEUljE_ZNSN_ISO_Lb0ESQ_SR_ST_SU_SY_EESZ_S10_S11_S12_S16_S17_S18_S1B_S1C_jS1D_jS1E_S1E_jjS1G_bEUljE0_EEESZ_S10_S11_S18_S1C_S1E_T6_T7_T9_mT8_S1G_bDpT10_ENKUlT_T0_E_clISt17integral_constantIbLb0EES1U_EEDaS1P_S1Q_EUlS1P_E_NS1_11comp_targetILNS1_3genE3ELNS1_11target_archE908ELNS1_3gpuE7ELNS1_3repE0EEENS1_30default_config_static_selectorELNS0_4arch9wavefront6targetE0EEEvS12_,comdat
	.globl	_ZN7rocprim17ROCPRIM_400000_NS6detail17trampoline_kernelINS0_13select_configILj256ELj13ELNS0_17block_load_methodE3ELS4_3ELS4_3ELNS0_20block_scan_algorithmE0ELj4294967295EEENS1_25partition_config_selectorILNS1_17partition_subalgoE4EjNS0_10empty_typeEbEEZZNS1_14partition_implILS8_4ELb0ES6_15HIP_vector_typeIjLj2EENS0_17counting_iteratorIjlEEPS9_SG_NS0_5tupleIJPjSI_NS0_16reverse_iteratorISI_EEEEENSH_IJSG_SG_SG_EEES9_SI_JZNS1_25segmented_radix_sort_implINS0_14default_configELb0EPKdPdPKlPlN2at6native12_GLOBAL__N_18offset_tEEE10hipError_tPvRmT1_PNSt15iterator_traitsIS12_E10value_typeET2_T3_PNS13_IS18_E10value_typeET4_jRbjT5_S1E_jjP12ihipStream_tbEUljE_ZNSN_ISO_Lb0ESQ_SR_ST_SU_SY_EESZ_S10_S11_S12_S16_S17_S18_S1B_S1C_jS1D_jS1E_S1E_jjS1G_bEUljE0_EEESZ_S10_S11_S18_S1C_S1E_T6_T7_T9_mT8_S1G_bDpT10_ENKUlT_T0_E_clISt17integral_constantIbLb0EES1U_EEDaS1P_S1Q_EUlS1P_E_NS1_11comp_targetILNS1_3genE3ELNS1_11target_archE908ELNS1_3gpuE7ELNS1_3repE0EEENS1_30default_config_static_selectorELNS0_4arch9wavefront6targetE0EEEvS12_ ; -- Begin function _ZN7rocprim17ROCPRIM_400000_NS6detail17trampoline_kernelINS0_13select_configILj256ELj13ELNS0_17block_load_methodE3ELS4_3ELS4_3ELNS0_20block_scan_algorithmE0ELj4294967295EEENS1_25partition_config_selectorILNS1_17partition_subalgoE4EjNS0_10empty_typeEbEEZZNS1_14partition_implILS8_4ELb0ES6_15HIP_vector_typeIjLj2EENS0_17counting_iteratorIjlEEPS9_SG_NS0_5tupleIJPjSI_NS0_16reverse_iteratorISI_EEEEENSH_IJSG_SG_SG_EEES9_SI_JZNS1_25segmented_radix_sort_implINS0_14default_configELb0EPKdPdPKlPlN2at6native12_GLOBAL__N_18offset_tEEE10hipError_tPvRmT1_PNSt15iterator_traitsIS12_E10value_typeET2_T3_PNS13_IS18_E10value_typeET4_jRbjT5_S1E_jjP12ihipStream_tbEUljE_ZNSN_ISO_Lb0ESQ_SR_ST_SU_SY_EESZ_S10_S11_S12_S16_S17_S18_S1B_S1C_jS1D_jS1E_S1E_jjS1G_bEUljE0_EEESZ_S10_S11_S18_S1C_S1E_T6_T7_T9_mT8_S1G_bDpT10_ENKUlT_T0_E_clISt17integral_constantIbLb0EES1U_EEDaS1P_S1Q_EUlS1P_E_NS1_11comp_targetILNS1_3genE3ELNS1_11target_archE908ELNS1_3gpuE7ELNS1_3repE0EEENS1_30default_config_static_selectorELNS0_4arch9wavefront6targetE0EEEvS12_
	.p2align	8
	.type	_ZN7rocprim17ROCPRIM_400000_NS6detail17trampoline_kernelINS0_13select_configILj256ELj13ELNS0_17block_load_methodE3ELS4_3ELS4_3ELNS0_20block_scan_algorithmE0ELj4294967295EEENS1_25partition_config_selectorILNS1_17partition_subalgoE4EjNS0_10empty_typeEbEEZZNS1_14partition_implILS8_4ELb0ES6_15HIP_vector_typeIjLj2EENS0_17counting_iteratorIjlEEPS9_SG_NS0_5tupleIJPjSI_NS0_16reverse_iteratorISI_EEEEENSH_IJSG_SG_SG_EEES9_SI_JZNS1_25segmented_radix_sort_implINS0_14default_configELb0EPKdPdPKlPlN2at6native12_GLOBAL__N_18offset_tEEE10hipError_tPvRmT1_PNSt15iterator_traitsIS12_E10value_typeET2_T3_PNS13_IS18_E10value_typeET4_jRbjT5_S1E_jjP12ihipStream_tbEUljE_ZNSN_ISO_Lb0ESQ_SR_ST_SU_SY_EESZ_S10_S11_S12_S16_S17_S18_S1B_S1C_jS1D_jS1E_S1E_jjS1G_bEUljE0_EEESZ_S10_S11_S18_S1C_S1E_T6_T7_T9_mT8_S1G_bDpT10_ENKUlT_T0_E_clISt17integral_constantIbLb0EES1U_EEDaS1P_S1Q_EUlS1P_E_NS1_11comp_targetILNS1_3genE3ELNS1_11target_archE908ELNS1_3gpuE7ELNS1_3repE0EEENS1_30default_config_static_selectorELNS0_4arch9wavefront6targetE0EEEvS12_,@function
_ZN7rocprim17ROCPRIM_400000_NS6detail17trampoline_kernelINS0_13select_configILj256ELj13ELNS0_17block_load_methodE3ELS4_3ELS4_3ELNS0_20block_scan_algorithmE0ELj4294967295EEENS1_25partition_config_selectorILNS1_17partition_subalgoE4EjNS0_10empty_typeEbEEZZNS1_14partition_implILS8_4ELb0ES6_15HIP_vector_typeIjLj2EENS0_17counting_iteratorIjlEEPS9_SG_NS0_5tupleIJPjSI_NS0_16reverse_iteratorISI_EEEEENSH_IJSG_SG_SG_EEES9_SI_JZNS1_25segmented_radix_sort_implINS0_14default_configELb0EPKdPdPKlPlN2at6native12_GLOBAL__N_18offset_tEEE10hipError_tPvRmT1_PNSt15iterator_traitsIS12_E10value_typeET2_T3_PNS13_IS18_E10value_typeET4_jRbjT5_S1E_jjP12ihipStream_tbEUljE_ZNSN_ISO_Lb0ESQ_SR_ST_SU_SY_EESZ_S10_S11_S12_S16_S17_S18_S1B_S1C_jS1D_jS1E_S1E_jjS1G_bEUljE0_EEESZ_S10_S11_S18_S1C_S1E_T6_T7_T9_mT8_S1G_bDpT10_ENKUlT_T0_E_clISt17integral_constantIbLb0EES1U_EEDaS1P_S1Q_EUlS1P_E_NS1_11comp_targetILNS1_3genE3ELNS1_11target_archE908ELNS1_3gpuE7ELNS1_3repE0EEENS1_30default_config_static_selectorELNS0_4arch9wavefront6targetE0EEEvS12_: ; @_ZN7rocprim17ROCPRIM_400000_NS6detail17trampoline_kernelINS0_13select_configILj256ELj13ELNS0_17block_load_methodE3ELS4_3ELS4_3ELNS0_20block_scan_algorithmE0ELj4294967295EEENS1_25partition_config_selectorILNS1_17partition_subalgoE4EjNS0_10empty_typeEbEEZZNS1_14partition_implILS8_4ELb0ES6_15HIP_vector_typeIjLj2EENS0_17counting_iteratorIjlEEPS9_SG_NS0_5tupleIJPjSI_NS0_16reverse_iteratorISI_EEEEENSH_IJSG_SG_SG_EEES9_SI_JZNS1_25segmented_radix_sort_implINS0_14default_configELb0EPKdPdPKlPlN2at6native12_GLOBAL__N_18offset_tEEE10hipError_tPvRmT1_PNSt15iterator_traitsIS12_E10value_typeET2_T3_PNS13_IS18_E10value_typeET4_jRbjT5_S1E_jjP12ihipStream_tbEUljE_ZNSN_ISO_Lb0ESQ_SR_ST_SU_SY_EESZ_S10_S11_S12_S16_S17_S18_S1B_S1C_jS1D_jS1E_S1E_jjS1G_bEUljE0_EEESZ_S10_S11_S18_S1C_S1E_T6_T7_T9_mT8_S1G_bDpT10_ENKUlT_T0_E_clISt17integral_constantIbLb0EES1U_EEDaS1P_S1Q_EUlS1P_E_NS1_11comp_targetILNS1_3genE3ELNS1_11target_archE908ELNS1_3gpuE7ELNS1_3repE0EEENS1_30default_config_static_selectorELNS0_4arch9wavefront6targetE0EEEvS12_
; %bb.0:
	.section	.rodata,"a",@progbits
	.p2align	6, 0x0
	.amdhsa_kernel _ZN7rocprim17ROCPRIM_400000_NS6detail17trampoline_kernelINS0_13select_configILj256ELj13ELNS0_17block_load_methodE3ELS4_3ELS4_3ELNS0_20block_scan_algorithmE0ELj4294967295EEENS1_25partition_config_selectorILNS1_17partition_subalgoE4EjNS0_10empty_typeEbEEZZNS1_14partition_implILS8_4ELb0ES6_15HIP_vector_typeIjLj2EENS0_17counting_iteratorIjlEEPS9_SG_NS0_5tupleIJPjSI_NS0_16reverse_iteratorISI_EEEEENSH_IJSG_SG_SG_EEES9_SI_JZNS1_25segmented_radix_sort_implINS0_14default_configELb0EPKdPdPKlPlN2at6native12_GLOBAL__N_18offset_tEEE10hipError_tPvRmT1_PNSt15iterator_traitsIS12_E10value_typeET2_T3_PNS13_IS18_E10value_typeET4_jRbjT5_S1E_jjP12ihipStream_tbEUljE_ZNSN_ISO_Lb0ESQ_SR_ST_SU_SY_EESZ_S10_S11_S12_S16_S17_S18_S1B_S1C_jS1D_jS1E_S1E_jjS1G_bEUljE0_EEESZ_S10_S11_S18_S1C_S1E_T6_T7_T9_mT8_S1G_bDpT10_ENKUlT_T0_E_clISt17integral_constantIbLb0EES1U_EEDaS1P_S1Q_EUlS1P_E_NS1_11comp_targetILNS1_3genE3ELNS1_11target_archE908ELNS1_3gpuE7ELNS1_3repE0EEENS1_30default_config_static_selectorELNS0_4arch9wavefront6targetE0EEEvS12_
		.amdhsa_group_segment_fixed_size 0
		.amdhsa_private_segment_fixed_size 0
		.amdhsa_kernarg_size 176
		.amdhsa_user_sgpr_count 2
		.amdhsa_user_sgpr_dispatch_ptr 0
		.amdhsa_user_sgpr_queue_ptr 0
		.amdhsa_user_sgpr_kernarg_segment_ptr 1
		.amdhsa_user_sgpr_dispatch_id 0
		.amdhsa_user_sgpr_private_segment_size 0
		.amdhsa_wavefront_size32 1
		.amdhsa_uses_dynamic_stack 0
		.amdhsa_enable_private_segment 0
		.amdhsa_system_sgpr_workgroup_id_x 1
		.amdhsa_system_sgpr_workgroup_id_y 0
		.amdhsa_system_sgpr_workgroup_id_z 0
		.amdhsa_system_sgpr_workgroup_info 0
		.amdhsa_system_vgpr_workitem_id 0
		.amdhsa_next_free_vgpr 1
		.amdhsa_next_free_sgpr 1
		.amdhsa_reserve_vcc 0
		.amdhsa_float_round_mode_32 0
		.amdhsa_float_round_mode_16_64 0
		.amdhsa_float_denorm_mode_32 3
		.amdhsa_float_denorm_mode_16_64 3
		.amdhsa_fp16_overflow 0
		.amdhsa_workgroup_processor_mode 1
		.amdhsa_memory_ordered 1
		.amdhsa_forward_progress 1
		.amdhsa_inst_pref_size 0
		.amdhsa_round_robin_scheduling 0
		.amdhsa_exception_fp_ieee_invalid_op 0
		.amdhsa_exception_fp_denorm_src 0
		.amdhsa_exception_fp_ieee_div_zero 0
		.amdhsa_exception_fp_ieee_overflow 0
		.amdhsa_exception_fp_ieee_underflow 0
		.amdhsa_exception_fp_ieee_inexact 0
		.amdhsa_exception_int_div_zero 0
	.end_amdhsa_kernel
	.section	.text._ZN7rocprim17ROCPRIM_400000_NS6detail17trampoline_kernelINS0_13select_configILj256ELj13ELNS0_17block_load_methodE3ELS4_3ELS4_3ELNS0_20block_scan_algorithmE0ELj4294967295EEENS1_25partition_config_selectorILNS1_17partition_subalgoE4EjNS0_10empty_typeEbEEZZNS1_14partition_implILS8_4ELb0ES6_15HIP_vector_typeIjLj2EENS0_17counting_iteratorIjlEEPS9_SG_NS0_5tupleIJPjSI_NS0_16reverse_iteratorISI_EEEEENSH_IJSG_SG_SG_EEES9_SI_JZNS1_25segmented_radix_sort_implINS0_14default_configELb0EPKdPdPKlPlN2at6native12_GLOBAL__N_18offset_tEEE10hipError_tPvRmT1_PNSt15iterator_traitsIS12_E10value_typeET2_T3_PNS13_IS18_E10value_typeET4_jRbjT5_S1E_jjP12ihipStream_tbEUljE_ZNSN_ISO_Lb0ESQ_SR_ST_SU_SY_EESZ_S10_S11_S12_S16_S17_S18_S1B_S1C_jS1D_jS1E_S1E_jjS1G_bEUljE0_EEESZ_S10_S11_S18_S1C_S1E_T6_T7_T9_mT8_S1G_bDpT10_ENKUlT_T0_E_clISt17integral_constantIbLb0EES1U_EEDaS1P_S1Q_EUlS1P_E_NS1_11comp_targetILNS1_3genE3ELNS1_11target_archE908ELNS1_3gpuE7ELNS1_3repE0EEENS1_30default_config_static_selectorELNS0_4arch9wavefront6targetE0EEEvS12_,"axG",@progbits,_ZN7rocprim17ROCPRIM_400000_NS6detail17trampoline_kernelINS0_13select_configILj256ELj13ELNS0_17block_load_methodE3ELS4_3ELS4_3ELNS0_20block_scan_algorithmE0ELj4294967295EEENS1_25partition_config_selectorILNS1_17partition_subalgoE4EjNS0_10empty_typeEbEEZZNS1_14partition_implILS8_4ELb0ES6_15HIP_vector_typeIjLj2EENS0_17counting_iteratorIjlEEPS9_SG_NS0_5tupleIJPjSI_NS0_16reverse_iteratorISI_EEEEENSH_IJSG_SG_SG_EEES9_SI_JZNS1_25segmented_radix_sort_implINS0_14default_configELb0EPKdPdPKlPlN2at6native12_GLOBAL__N_18offset_tEEE10hipError_tPvRmT1_PNSt15iterator_traitsIS12_E10value_typeET2_T3_PNS13_IS18_E10value_typeET4_jRbjT5_S1E_jjP12ihipStream_tbEUljE_ZNSN_ISO_Lb0ESQ_SR_ST_SU_SY_EESZ_S10_S11_S12_S16_S17_S18_S1B_S1C_jS1D_jS1E_S1E_jjS1G_bEUljE0_EEESZ_S10_S11_S18_S1C_S1E_T6_T7_T9_mT8_S1G_bDpT10_ENKUlT_T0_E_clISt17integral_constantIbLb0EES1U_EEDaS1P_S1Q_EUlS1P_E_NS1_11comp_targetILNS1_3genE3ELNS1_11target_archE908ELNS1_3gpuE7ELNS1_3repE0EEENS1_30default_config_static_selectorELNS0_4arch9wavefront6targetE0EEEvS12_,comdat
.Lfunc_end1160:
	.size	_ZN7rocprim17ROCPRIM_400000_NS6detail17trampoline_kernelINS0_13select_configILj256ELj13ELNS0_17block_load_methodE3ELS4_3ELS4_3ELNS0_20block_scan_algorithmE0ELj4294967295EEENS1_25partition_config_selectorILNS1_17partition_subalgoE4EjNS0_10empty_typeEbEEZZNS1_14partition_implILS8_4ELb0ES6_15HIP_vector_typeIjLj2EENS0_17counting_iteratorIjlEEPS9_SG_NS0_5tupleIJPjSI_NS0_16reverse_iteratorISI_EEEEENSH_IJSG_SG_SG_EEES9_SI_JZNS1_25segmented_radix_sort_implINS0_14default_configELb0EPKdPdPKlPlN2at6native12_GLOBAL__N_18offset_tEEE10hipError_tPvRmT1_PNSt15iterator_traitsIS12_E10value_typeET2_T3_PNS13_IS18_E10value_typeET4_jRbjT5_S1E_jjP12ihipStream_tbEUljE_ZNSN_ISO_Lb0ESQ_SR_ST_SU_SY_EESZ_S10_S11_S12_S16_S17_S18_S1B_S1C_jS1D_jS1E_S1E_jjS1G_bEUljE0_EEESZ_S10_S11_S18_S1C_S1E_T6_T7_T9_mT8_S1G_bDpT10_ENKUlT_T0_E_clISt17integral_constantIbLb0EES1U_EEDaS1P_S1Q_EUlS1P_E_NS1_11comp_targetILNS1_3genE3ELNS1_11target_archE908ELNS1_3gpuE7ELNS1_3repE0EEENS1_30default_config_static_selectorELNS0_4arch9wavefront6targetE0EEEvS12_, .Lfunc_end1160-_ZN7rocprim17ROCPRIM_400000_NS6detail17trampoline_kernelINS0_13select_configILj256ELj13ELNS0_17block_load_methodE3ELS4_3ELS4_3ELNS0_20block_scan_algorithmE0ELj4294967295EEENS1_25partition_config_selectorILNS1_17partition_subalgoE4EjNS0_10empty_typeEbEEZZNS1_14partition_implILS8_4ELb0ES6_15HIP_vector_typeIjLj2EENS0_17counting_iteratorIjlEEPS9_SG_NS0_5tupleIJPjSI_NS0_16reverse_iteratorISI_EEEEENSH_IJSG_SG_SG_EEES9_SI_JZNS1_25segmented_radix_sort_implINS0_14default_configELb0EPKdPdPKlPlN2at6native12_GLOBAL__N_18offset_tEEE10hipError_tPvRmT1_PNSt15iterator_traitsIS12_E10value_typeET2_T3_PNS13_IS18_E10value_typeET4_jRbjT5_S1E_jjP12ihipStream_tbEUljE_ZNSN_ISO_Lb0ESQ_SR_ST_SU_SY_EESZ_S10_S11_S12_S16_S17_S18_S1B_S1C_jS1D_jS1E_S1E_jjS1G_bEUljE0_EEESZ_S10_S11_S18_S1C_S1E_T6_T7_T9_mT8_S1G_bDpT10_ENKUlT_T0_E_clISt17integral_constantIbLb0EES1U_EEDaS1P_S1Q_EUlS1P_E_NS1_11comp_targetILNS1_3genE3ELNS1_11target_archE908ELNS1_3gpuE7ELNS1_3repE0EEENS1_30default_config_static_selectorELNS0_4arch9wavefront6targetE0EEEvS12_
                                        ; -- End function
	.set _ZN7rocprim17ROCPRIM_400000_NS6detail17trampoline_kernelINS0_13select_configILj256ELj13ELNS0_17block_load_methodE3ELS4_3ELS4_3ELNS0_20block_scan_algorithmE0ELj4294967295EEENS1_25partition_config_selectorILNS1_17partition_subalgoE4EjNS0_10empty_typeEbEEZZNS1_14partition_implILS8_4ELb0ES6_15HIP_vector_typeIjLj2EENS0_17counting_iteratorIjlEEPS9_SG_NS0_5tupleIJPjSI_NS0_16reverse_iteratorISI_EEEEENSH_IJSG_SG_SG_EEES9_SI_JZNS1_25segmented_radix_sort_implINS0_14default_configELb0EPKdPdPKlPlN2at6native12_GLOBAL__N_18offset_tEEE10hipError_tPvRmT1_PNSt15iterator_traitsIS12_E10value_typeET2_T3_PNS13_IS18_E10value_typeET4_jRbjT5_S1E_jjP12ihipStream_tbEUljE_ZNSN_ISO_Lb0ESQ_SR_ST_SU_SY_EESZ_S10_S11_S12_S16_S17_S18_S1B_S1C_jS1D_jS1E_S1E_jjS1G_bEUljE0_EEESZ_S10_S11_S18_S1C_S1E_T6_T7_T9_mT8_S1G_bDpT10_ENKUlT_T0_E_clISt17integral_constantIbLb0EES1U_EEDaS1P_S1Q_EUlS1P_E_NS1_11comp_targetILNS1_3genE3ELNS1_11target_archE908ELNS1_3gpuE7ELNS1_3repE0EEENS1_30default_config_static_selectorELNS0_4arch9wavefront6targetE0EEEvS12_.num_vgpr, 0
	.set _ZN7rocprim17ROCPRIM_400000_NS6detail17trampoline_kernelINS0_13select_configILj256ELj13ELNS0_17block_load_methodE3ELS4_3ELS4_3ELNS0_20block_scan_algorithmE0ELj4294967295EEENS1_25partition_config_selectorILNS1_17partition_subalgoE4EjNS0_10empty_typeEbEEZZNS1_14partition_implILS8_4ELb0ES6_15HIP_vector_typeIjLj2EENS0_17counting_iteratorIjlEEPS9_SG_NS0_5tupleIJPjSI_NS0_16reverse_iteratorISI_EEEEENSH_IJSG_SG_SG_EEES9_SI_JZNS1_25segmented_radix_sort_implINS0_14default_configELb0EPKdPdPKlPlN2at6native12_GLOBAL__N_18offset_tEEE10hipError_tPvRmT1_PNSt15iterator_traitsIS12_E10value_typeET2_T3_PNS13_IS18_E10value_typeET4_jRbjT5_S1E_jjP12ihipStream_tbEUljE_ZNSN_ISO_Lb0ESQ_SR_ST_SU_SY_EESZ_S10_S11_S12_S16_S17_S18_S1B_S1C_jS1D_jS1E_S1E_jjS1G_bEUljE0_EEESZ_S10_S11_S18_S1C_S1E_T6_T7_T9_mT8_S1G_bDpT10_ENKUlT_T0_E_clISt17integral_constantIbLb0EES1U_EEDaS1P_S1Q_EUlS1P_E_NS1_11comp_targetILNS1_3genE3ELNS1_11target_archE908ELNS1_3gpuE7ELNS1_3repE0EEENS1_30default_config_static_selectorELNS0_4arch9wavefront6targetE0EEEvS12_.num_agpr, 0
	.set _ZN7rocprim17ROCPRIM_400000_NS6detail17trampoline_kernelINS0_13select_configILj256ELj13ELNS0_17block_load_methodE3ELS4_3ELS4_3ELNS0_20block_scan_algorithmE0ELj4294967295EEENS1_25partition_config_selectorILNS1_17partition_subalgoE4EjNS0_10empty_typeEbEEZZNS1_14partition_implILS8_4ELb0ES6_15HIP_vector_typeIjLj2EENS0_17counting_iteratorIjlEEPS9_SG_NS0_5tupleIJPjSI_NS0_16reverse_iteratorISI_EEEEENSH_IJSG_SG_SG_EEES9_SI_JZNS1_25segmented_radix_sort_implINS0_14default_configELb0EPKdPdPKlPlN2at6native12_GLOBAL__N_18offset_tEEE10hipError_tPvRmT1_PNSt15iterator_traitsIS12_E10value_typeET2_T3_PNS13_IS18_E10value_typeET4_jRbjT5_S1E_jjP12ihipStream_tbEUljE_ZNSN_ISO_Lb0ESQ_SR_ST_SU_SY_EESZ_S10_S11_S12_S16_S17_S18_S1B_S1C_jS1D_jS1E_S1E_jjS1G_bEUljE0_EEESZ_S10_S11_S18_S1C_S1E_T6_T7_T9_mT8_S1G_bDpT10_ENKUlT_T0_E_clISt17integral_constantIbLb0EES1U_EEDaS1P_S1Q_EUlS1P_E_NS1_11comp_targetILNS1_3genE3ELNS1_11target_archE908ELNS1_3gpuE7ELNS1_3repE0EEENS1_30default_config_static_selectorELNS0_4arch9wavefront6targetE0EEEvS12_.numbered_sgpr, 0
	.set _ZN7rocprim17ROCPRIM_400000_NS6detail17trampoline_kernelINS0_13select_configILj256ELj13ELNS0_17block_load_methodE3ELS4_3ELS4_3ELNS0_20block_scan_algorithmE0ELj4294967295EEENS1_25partition_config_selectorILNS1_17partition_subalgoE4EjNS0_10empty_typeEbEEZZNS1_14partition_implILS8_4ELb0ES6_15HIP_vector_typeIjLj2EENS0_17counting_iteratorIjlEEPS9_SG_NS0_5tupleIJPjSI_NS0_16reverse_iteratorISI_EEEEENSH_IJSG_SG_SG_EEES9_SI_JZNS1_25segmented_radix_sort_implINS0_14default_configELb0EPKdPdPKlPlN2at6native12_GLOBAL__N_18offset_tEEE10hipError_tPvRmT1_PNSt15iterator_traitsIS12_E10value_typeET2_T3_PNS13_IS18_E10value_typeET4_jRbjT5_S1E_jjP12ihipStream_tbEUljE_ZNSN_ISO_Lb0ESQ_SR_ST_SU_SY_EESZ_S10_S11_S12_S16_S17_S18_S1B_S1C_jS1D_jS1E_S1E_jjS1G_bEUljE0_EEESZ_S10_S11_S18_S1C_S1E_T6_T7_T9_mT8_S1G_bDpT10_ENKUlT_T0_E_clISt17integral_constantIbLb0EES1U_EEDaS1P_S1Q_EUlS1P_E_NS1_11comp_targetILNS1_3genE3ELNS1_11target_archE908ELNS1_3gpuE7ELNS1_3repE0EEENS1_30default_config_static_selectorELNS0_4arch9wavefront6targetE0EEEvS12_.num_named_barrier, 0
	.set _ZN7rocprim17ROCPRIM_400000_NS6detail17trampoline_kernelINS0_13select_configILj256ELj13ELNS0_17block_load_methodE3ELS4_3ELS4_3ELNS0_20block_scan_algorithmE0ELj4294967295EEENS1_25partition_config_selectorILNS1_17partition_subalgoE4EjNS0_10empty_typeEbEEZZNS1_14partition_implILS8_4ELb0ES6_15HIP_vector_typeIjLj2EENS0_17counting_iteratorIjlEEPS9_SG_NS0_5tupleIJPjSI_NS0_16reverse_iteratorISI_EEEEENSH_IJSG_SG_SG_EEES9_SI_JZNS1_25segmented_radix_sort_implINS0_14default_configELb0EPKdPdPKlPlN2at6native12_GLOBAL__N_18offset_tEEE10hipError_tPvRmT1_PNSt15iterator_traitsIS12_E10value_typeET2_T3_PNS13_IS18_E10value_typeET4_jRbjT5_S1E_jjP12ihipStream_tbEUljE_ZNSN_ISO_Lb0ESQ_SR_ST_SU_SY_EESZ_S10_S11_S12_S16_S17_S18_S1B_S1C_jS1D_jS1E_S1E_jjS1G_bEUljE0_EEESZ_S10_S11_S18_S1C_S1E_T6_T7_T9_mT8_S1G_bDpT10_ENKUlT_T0_E_clISt17integral_constantIbLb0EES1U_EEDaS1P_S1Q_EUlS1P_E_NS1_11comp_targetILNS1_3genE3ELNS1_11target_archE908ELNS1_3gpuE7ELNS1_3repE0EEENS1_30default_config_static_selectorELNS0_4arch9wavefront6targetE0EEEvS12_.private_seg_size, 0
	.set _ZN7rocprim17ROCPRIM_400000_NS6detail17trampoline_kernelINS0_13select_configILj256ELj13ELNS0_17block_load_methodE3ELS4_3ELS4_3ELNS0_20block_scan_algorithmE0ELj4294967295EEENS1_25partition_config_selectorILNS1_17partition_subalgoE4EjNS0_10empty_typeEbEEZZNS1_14partition_implILS8_4ELb0ES6_15HIP_vector_typeIjLj2EENS0_17counting_iteratorIjlEEPS9_SG_NS0_5tupleIJPjSI_NS0_16reverse_iteratorISI_EEEEENSH_IJSG_SG_SG_EEES9_SI_JZNS1_25segmented_radix_sort_implINS0_14default_configELb0EPKdPdPKlPlN2at6native12_GLOBAL__N_18offset_tEEE10hipError_tPvRmT1_PNSt15iterator_traitsIS12_E10value_typeET2_T3_PNS13_IS18_E10value_typeET4_jRbjT5_S1E_jjP12ihipStream_tbEUljE_ZNSN_ISO_Lb0ESQ_SR_ST_SU_SY_EESZ_S10_S11_S12_S16_S17_S18_S1B_S1C_jS1D_jS1E_S1E_jjS1G_bEUljE0_EEESZ_S10_S11_S18_S1C_S1E_T6_T7_T9_mT8_S1G_bDpT10_ENKUlT_T0_E_clISt17integral_constantIbLb0EES1U_EEDaS1P_S1Q_EUlS1P_E_NS1_11comp_targetILNS1_3genE3ELNS1_11target_archE908ELNS1_3gpuE7ELNS1_3repE0EEENS1_30default_config_static_selectorELNS0_4arch9wavefront6targetE0EEEvS12_.uses_vcc, 0
	.set _ZN7rocprim17ROCPRIM_400000_NS6detail17trampoline_kernelINS0_13select_configILj256ELj13ELNS0_17block_load_methodE3ELS4_3ELS4_3ELNS0_20block_scan_algorithmE0ELj4294967295EEENS1_25partition_config_selectorILNS1_17partition_subalgoE4EjNS0_10empty_typeEbEEZZNS1_14partition_implILS8_4ELb0ES6_15HIP_vector_typeIjLj2EENS0_17counting_iteratorIjlEEPS9_SG_NS0_5tupleIJPjSI_NS0_16reverse_iteratorISI_EEEEENSH_IJSG_SG_SG_EEES9_SI_JZNS1_25segmented_radix_sort_implINS0_14default_configELb0EPKdPdPKlPlN2at6native12_GLOBAL__N_18offset_tEEE10hipError_tPvRmT1_PNSt15iterator_traitsIS12_E10value_typeET2_T3_PNS13_IS18_E10value_typeET4_jRbjT5_S1E_jjP12ihipStream_tbEUljE_ZNSN_ISO_Lb0ESQ_SR_ST_SU_SY_EESZ_S10_S11_S12_S16_S17_S18_S1B_S1C_jS1D_jS1E_S1E_jjS1G_bEUljE0_EEESZ_S10_S11_S18_S1C_S1E_T6_T7_T9_mT8_S1G_bDpT10_ENKUlT_T0_E_clISt17integral_constantIbLb0EES1U_EEDaS1P_S1Q_EUlS1P_E_NS1_11comp_targetILNS1_3genE3ELNS1_11target_archE908ELNS1_3gpuE7ELNS1_3repE0EEENS1_30default_config_static_selectorELNS0_4arch9wavefront6targetE0EEEvS12_.uses_flat_scratch, 0
	.set _ZN7rocprim17ROCPRIM_400000_NS6detail17trampoline_kernelINS0_13select_configILj256ELj13ELNS0_17block_load_methodE3ELS4_3ELS4_3ELNS0_20block_scan_algorithmE0ELj4294967295EEENS1_25partition_config_selectorILNS1_17partition_subalgoE4EjNS0_10empty_typeEbEEZZNS1_14partition_implILS8_4ELb0ES6_15HIP_vector_typeIjLj2EENS0_17counting_iteratorIjlEEPS9_SG_NS0_5tupleIJPjSI_NS0_16reverse_iteratorISI_EEEEENSH_IJSG_SG_SG_EEES9_SI_JZNS1_25segmented_radix_sort_implINS0_14default_configELb0EPKdPdPKlPlN2at6native12_GLOBAL__N_18offset_tEEE10hipError_tPvRmT1_PNSt15iterator_traitsIS12_E10value_typeET2_T3_PNS13_IS18_E10value_typeET4_jRbjT5_S1E_jjP12ihipStream_tbEUljE_ZNSN_ISO_Lb0ESQ_SR_ST_SU_SY_EESZ_S10_S11_S12_S16_S17_S18_S1B_S1C_jS1D_jS1E_S1E_jjS1G_bEUljE0_EEESZ_S10_S11_S18_S1C_S1E_T6_T7_T9_mT8_S1G_bDpT10_ENKUlT_T0_E_clISt17integral_constantIbLb0EES1U_EEDaS1P_S1Q_EUlS1P_E_NS1_11comp_targetILNS1_3genE3ELNS1_11target_archE908ELNS1_3gpuE7ELNS1_3repE0EEENS1_30default_config_static_selectorELNS0_4arch9wavefront6targetE0EEEvS12_.has_dyn_sized_stack, 0
	.set _ZN7rocprim17ROCPRIM_400000_NS6detail17trampoline_kernelINS0_13select_configILj256ELj13ELNS0_17block_load_methodE3ELS4_3ELS4_3ELNS0_20block_scan_algorithmE0ELj4294967295EEENS1_25partition_config_selectorILNS1_17partition_subalgoE4EjNS0_10empty_typeEbEEZZNS1_14partition_implILS8_4ELb0ES6_15HIP_vector_typeIjLj2EENS0_17counting_iteratorIjlEEPS9_SG_NS0_5tupleIJPjSI_NS0_16reverse_iteratorISI_EEEEENSH_IJSG_SG_SG_EEES9_SI_JZNS1_25segmented_radix_sort_implINS0_14default_configELb0EPKdPdPKlPlN2at6native12_GLOBAL__N_18offset_tEEE10hipError_tPvRmT1_PNSt15iterator_traitsIS12_E10value_typeET2_T3_PNS13_IS18_E10value_typeET4_jRbjT5_S1E_jjP12ihipStream_tbEUljE_ZNSN_ISO_Lb0ESQ_SR_ST_SU_SY_EESZ_S10_S11_S12_S16_S17_S18_S1B_S1C_jS1D_jS1E_S1E_jjS1G_bEUljE0_EEESZ_S10_S11_S18_S1C_S1E_T6_T7_T9_mT8_S1G_bDpT10_ENKUlT_T0_E_clISt17integral_constantIbLb0EES1U_EEDaS1P_S1Q_EUlS1P_E_NS1_11comp_targetILNS1_3genE3ELNS1_11target_archE908ELNS1_3gpuE7ELNS1_3repE0EEENS1_30default_config_static_selectorELNS0_4arch9wavefront6targetE0EEEvS12_.has_recursion, 0
	.set _ZN7rocprim17ROCPRIM_400000_NS6detail17trampoline_kernelINS0_13select_configILj256ELj13ELNS0_17block_load_methodE3ELS4_3ELS4_3ELNS0_20block_scan_algorithmE0ELj4294967295EEENS1_25partition_config_selectorILNS1_17partition_subalgoE4EjNS0_10empty_typeEbEEZZNS1_14partition_implILS8_4ELb0ES6_15HIP_vector_typeIjLj2EENS0_17counting_iteratorIjlEEPS9_SG_NS0_5tupleIJPjSI_NS0_16reverse_iteratorISI_EEEEENSH_IJSG_SG_SG_EEES9_SI_JZNS1_25segmented_radix_sort_implINS0_14default_configELb0EPKdPdPKlPlN2at6native12_GLOBAL__N_18offset_tEEE10hipError_tPvRmT1_PNSt15iterator_traitsIS12_E10value_typeET2_T3_PNS13_IS18_E10value_typeET4_jRbjT5_S1E_jjP12ihipStream_tbEUljE_ZNSN_ISO_Lb0ESQ_SR_ST_SU_SY_EESZ_S10_S11_S12_S16_S17_S18_S1B_S1C_jS1D_jS1E_S1E_jjS1G_bEUljE0_EEESZ_S10_S11_S18_S1C_S1E_T6_T7_T9_mT8_S1G_bDpT10_ENKUlT_T0_E_clISt17integral_constantIbLb0EES1U_EEDaS1P_S1Q_EUlS1P_E_NS1_11comp_targetILNS1_3genE3ELNS1_11target_archE908ELNS1_3gpuE7ELNS1_3repE0EEENS1_30default_config_static_selectorELNS0_4arch9wavefront6targetE0EEEvS12_.has_indirect_call, 0
	.section	.AMDGPU.csdata,"",@progbits
; Kernel info:
; codeLenInByte = 0
; TotalNumSgprs: 0
; NumVgprs: 0
; ScratchSize: 0
; MemoryBound: 0
; FloatMode: 240
; IeeeMode: 1
; LDSByteSize: 0 bytes/workgroup (compile time only)
; SGPRBlocks: 0
; VGPRBlocks: 0
; NumSGPRsForWavesPerEU: 1
; NumVGPRsForWavesPerEU: 1
; Occupancy: 16
; WaveLimiterHint : 0
; COMPUTE_PGM_RSRC2:SCRATCH_EN: 0
; COMPUTE_PGM_RSRC2:USER_SGPR: 2
; COMPUTE_PGM_RSRC2:TRAP_HANDLER: 0
; COMPUTE_PGM_RSRC2:TGID_X_EN: 1
; COMPUTE_PGM_RSRC2:TGID_Y_EN: 0
; COMPUTE_PGM_RSRC2:TGID_Z_EN: 0
; COMPUTE_PGM_RSRC2:TIDIG_COMP_CNT: 0
	.section	.text._ZN7rocprim17ROCPRIM_400000_NS6detail17trampoline_kernelINS0_13select_configILj256ELj13ELNS0_17block_load_methodE3ELS4_3ELS4_3ELNS0_20block_scan_algorithmE0ELj4294967295EEENS1_25partition_config_selectorILNS1_17partition_subalgoE4EjNS0_10empty_typeEbEEZZNS1_14partition_implILS8_4ELb0ES6_15HIP_vector_typeIjLj2EENS0_17counting_iteratorIjlEEPS9_SG_NS0_5tupleIJPjSI_NS0_16reverse_iteratorISI_EEEEENSH_IJSG_SG_SG_EEES9_SI_JZNS1_25segmented_radix_sort_implINS0_14default_configELb0EPKdPdPKlPlN2at6native12_GLOBAL__N_18offset_tEEE10hipError_tPvRmT1_PNSt15iterator_traitsIS12_E10value_typeET2_T3_PNS13_IS18_E10value_typeET4_jRbjT5_S1E_jjP12ihipStream_tbEUljE_ZNSN_ISO_Lb0ESQ_SR_ST_SU_SY_EESZ_S10_S11_S12_S16_S17_S18_S1B_S1C_jS1D_jS1E_S1E_jjS1G_bEUljE0_EEESZ_S10_S11_S18_S1C_S1E_T6_T7_T9_mT8_S1G_bDpT10_ENKUlT_T0_E_clISt17integral_constantIbLb0EES1U_EEDaS1P_S1Q_EUlS1P_E_NS1_11comp_targetILNS1_3genE2ELNS1_11target_archE906ELNS1_3gpuE6ELNS1_3repE0EEENS1_30default_config_static_selectorELNS0_4arch9wavefront6targetE0EEEvS12_,"axG",@progbits,_ZN7rocprim17ROCPRIM_400000_NS6detail17trampoline_kernelINS0_13select_configILj256ELj13ELNS0_17block_load_methodE3ELS4_3ELS4_3ELNS0_20block_scan_algorithmE0ELj4294967295EEENS1_25partition_config_selectorILNS1_17partition_subalgoE4EjNS0_10empty_typeEbEEZZNS1_14partition_implILS8_4ELb0ES6_15HIP_vector_typeIjLj2EENS0_17counting_iteratorIjlEEPS9_SG_NS0_5tupleIJPjSI_NS0_16reverse_iteratorISI_EEEEENSH_IJSG_SG_SG_EEES9_SI_JZNS1_25segmented_radix_sort_implINS0_14default_configELb0EPKdPdPKlPlN2at6native12_GLOBAL__N_18offset_tEEE10hipError_tPvRmT1_PNSt15iterator_traitsIS12_E10value_typeET2_T3_PNS13_IS18_E10value_typeET4_jRbjT5_S1E_jjP12ihipStream_tbEUljE_ZNSN_ISO_Lb0ESQ_SR_ST_SU_SY_EESZ_S10_S11_S12_S16_S17_S18_S1B_S1C_jS1D_jS1E_S1E_jjS1G_bEUljE0_EEESZ_S10_S11_S18_S1C_S1E_T6_T7_T9_mT8_S1G_bDpT10_ENKUlT_T0_E_clISt17integral_constantIbLb0EES1U_EEDaS1P_S1Q_EUlS1P_E_NS1_11comp_targetILNS1_3genE2ELNS1_11target_archE906ELNS1_3gpuE6ELNS1_3repE0EEENS1_30default_config_static_selectorELNS0_4arch9wavefront6targetE0EEEvS12_,comdat
	.globl	_ZN7rocprim17ROCPRIM_400000_NS6detail17trampoline_kernelINS0_13select_configILj256ELj13ELNS0_17block_load_methodE3ELS4_3ELS4_3ELNS0_20block_scan_algorithmE0ELj4294967295EEENS1_25partition_config_selectorILNS1_17partition_subalgoE4EjNS0_10empty_typeEbEEZZNS1_14partition_implILS8_4ELb0ES6_15HIP_vector_typeIjLj2EENS0_17counting_iteratorIjlEEPS9_SG_NS0_5tupleIJPjSI_NS0_16reverse_iteratorISI_EEEEENSH_IJSG_SG_SG_EEES9_SI_JZNS1_25segmented_radix_sort_implINS0_14default_configELb0EPKdPdPKlPlN2at6native12_GLOBAL__N_18offset_tEEE10hipError_tPvRmT1_PNSt15iterator_traitsIS12_E10value_typeET2_T3_PNS13_IS18_E10value_typeET4_jRbjT5_S1E_jjP12ihipStream_tbEUljE_ZNSN_ISO_Lb0ESQ_SR_ST_SU_SY_EESZ_S10_S11_S12_S16_S17_S18_S1B_S1C_jS1D_jS1E_S1E_jjS1G_bEUljE0_EEESZ_S10_S11_S18_S1C_S1E_T6_T7_T9_mT8_S1G_bDpT10_ENKUlT_T0_E_clISt17integral_constantIbLb0EES1U_EEDaS1P_S1Q_EUlS1P_E_NS1_11comp_targetILNS1_3genE2ELNS1_11target_archE906ELNS1_3gpuE6ELNS1_3repE0EEENS1_30default_config_static_selectorELNS0_4arch9wavefront6targetE0EEEvS12_ ; -- Begin function _ZN7rocprim17ROCPRIM_400000_NS6detail17trampoline_kernelINS0_13select_configILj256ELj13ELNS0_17block_load_methodE3ELS4_3ELS4_3ELNS0_20block_scan_algorithmE0ELj4294967295EEENS1_25partition_config_selectorILNS1_17partition_subalgoE4EjNS0_10empty_typeEbEEZZNS1_14partition_implILS8_4ELb0ES6_15HIP_vector_typeIjLj2EENS0_17counting_iteratorIjlEEPS9_SG_NS0_5tupleIJPjSI_NS0_16reverse_iteratorISI_EEEEENSH_IJSG_SG_SG_EEES9_SI_JZNS1_25segmented_radix_sort_implINS0_14default_configELb0EPKdPdPKlPlN2at6native12_GLOBAL__N_18offset_tEEE10hipError_tPvRmT1_PNSt15iterator_traitsIS12_E10value_typeET2_T3_PNS13_IS18_E10value_typeET4_jRbjT5_S1E_jjP12ihipStream_tbEUljE_ZNSN_ISO_Lb0ESQ_SR_ST_SU_SY_EESZ_S10_S11_S12_S16_S17_S18_S1B_S1C_jS1D_jS1E_S1E_jjS1G_bEUljE0_EEESZ_S10_S11_S18_S1C_S1E_T6_T7_T9_mT8_S1G_bDpT10_ENKUlT_T0_E_clISt17integral_constantIbLb0EES1U_EEDaS1P_S1Q_EUlS1P_E_NS1_11comp_targetILNS1_3genE2ELNS1_11target_archE906ELNS1_3gpuE6ELNS1_3repE0EEENS1_30default_config_static_selectorELNS0_4arch9wavefront6targetE0EEEvS12_
	.p2align	8
	.type	_ZN7rocprim17ROCPRIM_400000_NS6detail17trampoline_kernelINS0_13select_configILj256ELj13ELNS0_17block_load_methodE3ELS4_3ELS4_3ELNS0_20block_scan_algorithmE0ELj4294967295EEENS1_25partition_config_selectorILNS1_17partition_subalgoE4EjNS0_10empty_typeEbEEZZNS1_14partition_implILS8_4ELb0ES6_15HIP_vector_typeIjLj2EENS0_17counting_iteratorIjlEEPS9_SG_NS0_5tupleIJPjSI_NS0_16reverse_iteratorISI_EEEEENSH_IJSG_SG_SG_EEES9_SI_JZNS1_25segmented_radix_sort_implINS0_14default_configELb0EPKdPdPKlPlN2at6native12_GLOBAL__N_18offset_tEEE10hipError_tPvRmT1_PNSt15iterator_traitsIS12_E10value_typeET2_T3_PNS13_IS18_E10value_typeET4_jRbjT5_S1E_jjP12ihipStream_tbEUljE_ZNSN_ISO_Lb0ESQ_SR_ST_SU_SY_EESZ_S10_S11_S12_S16_S17_S18_S1B_S1C_jS1D_jS1E_S1E_jjS1G_bEUljE0_EEESZ_S10_S11_S18_S1C_S1E_T6_T7_T9_mT8_S1G_bDpT10_ENKUlT_T0_E_clISt17integral_constantIbLb0EES1U_EEDaS1P_S1Q_EUlS1P_E_NS1_11comp_targetILNS1_3genE2ELNS1_11target_archE906ELNS1_3gpuE6ELNS1_3repE0EEENS1_30default_config_static_selectorELNS0_4arch9wavefront6targetE0EEEvS12_,@function
_ZN7rocprim17ROCPRIM_400000_NS6detail17trampoline_kernelINS0_13select_configILj256ELj13ELNS0_17block_load_methodE3ELS4_3ELS4_3ELNS0_20block_scan_algorithmE0ELj4294967295EEENS1_25partition_config_selectorILNS1_17partition_subalgoE4EjNS0_10empty_typeEbEEZZNS1_14partition_implILS8_4ELb0ES6_15HIP_vector_typeIjLj2EENS0_17counting_iteratorIjlEEPS9_SG_NS0_5tupleIJPjSI_NS0_16reverse_iteratorISI_EEEEENSH_IJSG_SG_SG_EEES9_SI_JZNS1_25segmented_radix_sort_implINS0_14default_configELb0EPKdPdPKlPlN2at6native12_GLOBAL__N_18offset_tEEE10hipError_tPvRmT1_PNSt15iterator_traitsIS12_E10value_typeET2_T3_PNS13_IS18_E10value_typeET4_jRbjT5_S1E_jjP12ihipStream_tbEUljE_ZNSN_ISO_Lb0ESQ_SR_ST_SU_SY_EESZ_S10_S11_S12_S16_S17_S18_S1B_S1C_jS1D_jS1E_S1E_jjS1G_bEUljE0_EEESZ_S10_S11_S18_S1C_S1E_T6_T7_T9_mT8_S1G_bDpT10_ENKUlT_T0_E_clISt17integral_constantIbLb0EES1U_EEDaS1P_S1Q_EUlS1P_E_NS1_11comp_targetILNS1_3genE2ELNS1_11target_archE906ELNS1_3gpuE6ELNS1_3repE0EEENS1_30default_config_static_selectorELNS0_4arch9wavefront6targetE0EEEvS12_: ; @_ZN7rocprim17ROCPRIM_400000_NS6detail17trampoline_kernelINS0_13select_configILj256ELj13ELNS0_17block_load_methodE3ELS4_3ELS4_3ELNS0_20block_scan_algorithmE0ELj4294967295EEENS1_25partition_config_selectorILNS1_17partition_subalgoE4EjNS0_10empty_typeEbEEZZNS1_14partition_implILS8_4ELb0ES6_15HIP_vector_typeIjLj2EENS0_17counting_iteratorIjlEEPS9_SG_NS0_5tupleIJPjSI_NS0_16reverse_iteratorISI_EEEEENSH_IJSG_SG_SG_EEES9_SI_JZNS1_25segmented_radix_sort_implINS0_14default_configELb0EPKdPdPKlPlN2at6native12_GLOBAL__N_18offset_tEEE10hipError_tPvRmT1_PNSt15iterator_traitsIS12_E10value_typeET2_T3_PNS13_IS18_E10value_typeET4_jRbjT5_S1E_jjP12ihipStream_tbEUljE_ZNSN_ISO_Lb0ESQ_SR_ST_SU_SY_EESZ_S10_S11_S12_S16_S17_S18_S1B_S1C_jS1D_jS1E_S1E_jjS1G_bEUljE0_EEESZ_S10_S11_S18_S1C_S1E_T6_T7_T9_mT8_S1G_bDpT10_ENKUlT_T0_E_clISt17integral_constantIbLb0EES1U_EEDaS1P_S1Q_EUlS1P_E_NS1_11comp_targetILNS1_3genE2ELNS1_11target_archE906ELNS1_3gpuE6ELNS1_3repE0EEENS1_30default_config_static_selectorELNS0_4arch9wavefront6targetE0EEEvS12_
; %bb.0:
	.section	.rodata,"a",@progbits
	.p2align	6, 0x0
	.amdhsa_kernel _ZN7rocprim17ROCPRIM_400000_NS6detail17trampoline_kernelINS0_13select_configILj256ELj13ELNS0_17block_load_methodE3ELS4_3ELS4_3ELNS0_20block_scan_algorithmE0ELj4294967295EEENS1_25partition_config_selectorILNS1_17partition_subalgoE4EjNS0_10empty_typeEbEEZZNS1_14partition_implILS8_4ELb0ES6_15HIP_vector_typeIjLj2EENS0_17counting_iteratorIjlEEPS9_SG_NS0_5tupleIJPjSI_NS0_16reverse_iteratorISI_EEEEENSH_IJSG_SG_SG_EEES9_SI_JZNS1_25segmented_radix_sort_implINS0_14default_configELb0EPKdPdPKlPlN2at6native12_GLOBAL__N_18offset_tEEE10hipError_tPvRmT1_PNSt15iterator_traitsIS12_E10value_typeET2_T3_PNS13_IS18_E10value_typeET4_jRbjT5_S1E_jjP12ihipStream_tbEUljE_ZNSN_ISO_Lb0ESQ_SR_ST_SU_SY_EESZ_S10_S11_S12_S16_S17_S18_S1B_S1C_jS1D_jS1E_S1E_jjS1G_bEUljE0_EEESZ_S10_S11_S18_S1C_S1E_T6_T7_T9_mT8_S1G_bDpT10_ENKUlT_T0_E_clISt17integral_constantIbLb0EES1U_EEDaS1P_S1Q_EUlS1P_E_NS1_11comp_targetILNS1_3genE2ELNS1_11target_archE906ELNS1_3gpuE6ELNS1_3repE0EEENS1_30default_config_static_selectorELNS0_4arch9wavefront6targetE0EEEvS12_
		.amdhsa_group_segment_fixed_size 0
		.amdhsa_private_segment_fixed_size 0
		.amdhsa_kernarg_size 176
		.amdhsa_user_sgpr_count 2
		.amdhsa_user_sgpr_dispatch_ptr 0
		.amdhsa_user_sgpr_queue_ptr 0
		.amdhsa_user_sgpr_kernarg_segment_ptr 1
		.amdhsa_user_sgpr_dispatch_id 0
		.amdhsa_user_sgpr_private_segment_size 0
		.amdhsa_wavefront_size32 1
		.amdhsa_uses_dynamic_stack 0
		.amdhsa_enable_private_segment 0
		.amdhsa_system_sgpr_workgroup_id_x 1
		.amdhsa_system_sgpr_workgroup_id_y 0
		.amdhsa_system_sgpr_workgroup_id_z 0
		.amdhsa_system_sgpr_workgroup_info 0
		.amdhsa_system_vgpr_workitem_id 0
		.amdhsa_next_free_vgpr 1
		.amdhsa_next_free_sgpr 1
		.amdhsa_reserve_vcc 0
		.amdhsa_float_round_mode_32 0
		.amdhsa_float_round_mode_16_64 0
		.amdhsa_float_denorm_mode_32 3
		.amdhsa_float_denorm_mode_16_64 3
		.amdhsa_fp16_overflow 0
		.amdhsa_workgroup_processor_mode 1
		.amdhsa_memory_ordered 1
		.amdhsa_forward_progress 1
		.amdhsa_inst_pref_size 0
		.amdhsa_round_robin_scheduling 0
		.amdhsa_exception_fp_ieee_invalid_op 0
		.amdhsa_exception_fp_denorm_src 0
		.amdhsa_exception_fp_ieee_div_zero 0
		.amdhsa_exception_fp_ieee_overflow 0
		.amdhsa_exception_fp_ieee_underflow 0
		.amdhsa_exception_fp_ieee_inexact 0
		.amdhsa_exception_int_div_zero 0
	.end_amdhsa_kernel
	.section	.text._ZN7rocprim17ROCPRIM_400000_NS6detail17trampoline_kernelINS0_13select_configILj256ELj13ELNS0_17block_load_methodE3ELS4_3ELS4_3ELNS0_20block_scan_algorithmE0ELj4294967295EEENS1_25partition_config_selectorILNS1_17partition_subalgoE4EjNS0_10empty_typeEbEEZZNS1_14partition_implILS8_4ELb0ES6_15HIP_vector_typeIjLj2EENS0_17counting_iteratorIjlEEPS9_SG_NS0_5tupleIJPjSI_NS0_16reverse_iteratorISI_EEEEENSH_IJSG_SG_SG_EEES9_SI_JZNS1_25segmented_radix_sort_implINS0_14default_configELb0EPKdPdPKlPlN2at6native12_GLOBAL__N_18offset_tEEE10hipError_tPvRmT1_PNSt15iterator_traitsIS12_E10value_typeET2_T3_PNS13_IS18_E10value_typeET4_jRbjT5_S1E_jjP12ihipStream_tbEUljE_ZNSN_ISO_Lb0ESQ_SR_ST_SU_SY_EESZ_S10_S11_S12_S16_S17_S18_S1B_S1C_jS1D_jS1E_S1E_jjS1G_bEUljE0_EEESZ_S10_S11_S18_S1C_S1E_T6_T7_T9_mT8_S1G_bDpT10_ENKUlT_T0_E_clISt17integral_constantIbLb0EES1U_EEDaS1P_S1Q_EUlS1P_E_NS1_11comp_targetILNS1_3genE2ELNS1_11target_archE906ELNS1_3gpuE6ELNS1_3repE0EEENS1_30default_config_static_selectorELNS0_4arch9wavefront6targetE0EEEvS12_,"axG",@progbits,_ZN7rocprim17ROCPRIM_400000_NS6detail17trampoline_kernelINS0_13select_configILj256ELj13ELNS0_17block_load_methodE3ELS4_3ELS4_3ELNS0_20block_scan_algorithmE0ELj4294967295EEENS1_25partition_config_selectorILNS1_17partition_subalgoE4EjNS0_10empty_typeEbEEZZNS1_14partition_implILS8_4ELb0ES6_15HIP_vector_typeIjLj2EENS0_17counting_iteratorIjlEEPS9_SG_NS0_5tupleIJPjSI_NS0_16reverse_iteratorISI_EEEEENSH_IJSG_SG_SG_EEES9_SI_JZNS1_25segmented_radix_sort_implINS0_14default_configELb0EPKdPdPKlPlN2at6native12_GLOBAL__N_18offset_tEEE10hipError_tPvRmT1_PNSt15iterator_traitsIS12_E10value_typeET2_T3_PNS13_IS18_E10value_typeET4_jRbjT5_S1E_jjP12ihipStream_tbEUljE_ZNSN_ISO_Lb0ESQ_SR_ST_SU_SY_EESZ_S10_S11_S12_S16_S17_S18_S1B_S1C_jS1D_jS1E_S1E_jjS1G_bEUljE0_EEESZ_S10_S11_S18_S1C_S1E_T6_T7_T9_mT8_S1G_bDpT10_ENKUlT_T0_E_clISt17integral_constantIbLb0EES1U_EEDaS1P_S1Q_EUlS1P_E_NS1_11comp_targetILNS1_3genE2ELNS1_11target_archE906ELNS1_3gpuE6ELNS1_3repE0EEENS1_30default_config_static_selectorELNS0_4arch9wavefront6targetE0EEEvS12_,comdat
.Lfunc_end1161:
	.size	_ZN7rocprim17ROCPRIM_400000_NS6detail17trampoline_kernelINS0_13select_configILj256ELj13ELNS0_17block_load_methodE3ELS4_3ELS4_3ELNS0_20block_scan_algorithmE0ELj4294967295EEENS1_25partition_config_selectorILNS1_17partition_subalgoE4EjNS0_10empty_typeEbEEZZNS1_14partition_implILS8_4ELb0ES6_15HIP_vector_typeIjLj2EENS0_17counting_iteratorIjlEEPS9_SG_NS0_5tupleIJPjSI_NS0_16reverse_iteratorISI_EEEEENSH_IJSG_SG_SG_EEES9_SI_JZNS1_25segmented_radix_sort_implINS0_14default_configELb0EPKdPdPKlPlN2at6native12_GLOBAL__N_18offset_tEEE10hipError_tPvRmT1_PNSt15iterator_traitsIS12_E10value_typeET2_T3_PNS13_IS18_E10value_typeET4_jRbjT5_S1E_jjP12ihipStream_tbEUljE_ZNSN_ISO_Lb0ESQ_SR_ST_SU_SY_EESZ_S10_S11_S12_S16_S17_S18_S1B_S1C_jS1D_jS1E_S1E_jjS1G_bEUljE0_EEESZ_S10_S11_S18_S1C_S1E_T6_T7_T9_mT8_S1G_bDpT10_ENKUlT_T0_E_clISt17integral_constantIbLb0EES1U_EEDaS1P_S1Q_EUlS1P_E_NS1_11comp_targetILNS1_3genE2ELNS1_11target_archE906ELNS1_3gpuE6ELNS1_3repE0EEENS1_30default_config_static_selectorELNS0_4arch9wavefront6targetE0EEEvS12_, .Lfunc_end1161-_ZN7rocprim17ROCPRIM_400000_NS6detail17trampoline_kernelINS0_13select_configILj256ELj13ELNS0_17block_load_methodE3ELS4_3ELS4_3ELNS0_20block_scan_algorithmE0ELj4294967295EEENS1_25partition_config_selectorILNS1_17partition_subalgoE4EjNS0_10empty_typeEbEEZZNS1_14partition_implILS8_4ELb0ES6_15HIP_vector_typeIjLj2EENS0_17counting_iteratorIjlEEPS9_SG_NS0_5tupleIJPjSI_NS0_16reverse_iteratorISI_EEEEENSH_IJSG_SG_SG_EEES9_SI_JZNS1_25segmented_radix_sort_implINS0_14default_configELb0EPKdPdPKlPlN2at6native12_GLOBAL__N_18offset_tEEE10hipError_tPvRmT1_PNSt15iterator_traitsIS12_E10value_typeET2_T3_PNS13_IS18_E10value_typeET4_jRbjT5_S1E_jjP12ihipStream_tbEUljE_ZNSN_ISO_Lb0ESQ_SR_ST_SU_SY_EESZ_S10_S11_S12_S16_S17_S18_S1B_S1C_jS1D_jS1E_S1E_jjS1G_bEUljE0_EEESZ_S10_S11_S18_S1C_S1E_T6_T7_T9_mT8_S1G_bDpT10_ENKUlT_T0_E_clISt17integral_constantIbLb0EES1U_EEDaS1P_S1Q_EUlS1P_E_NS1_11comp_targetILNS1_3genE2ELNS1_11target_archE906ELNS1_3gpuE6ELNS1_3repE0EEENS1_30default_config_static_selectorELNS0_4arch9wavefront6targetE0EEEvS12_
                                        ; -- End function
	.set _ZN7rocprim17ROCPRIM_400000_NS6detail17trampoline_kernelINS0_13select_configILj256ELj13ELNS0_17block_load_methodE3ELS4_3ELS4_3ELNS0_20block_scan_algorithmE0ELj4294967295EEENS1_25partition_config_selectorILNS1_17partition_subalgoE4EjNS0_10empty_typeEbEEZZNS1_14partition_implILS8_4ELb0ES6_15HIP_vector_typeIjLj2EENS0_17counting_iteratorIjlEEPS9_SG_NS0_5tupleIJPjSI_NS0_16reverse_iteratorISI_EEEEENSH_IJSG_SG_SG_EEES9_SI_JZNS1_25segmented_radix_sort_implINS0_14default_configELb0EPKdPdPKlPlN2at6native12_GLOBAL__N_18offset_tEEE10hipError_tPvRmT1_PNSt15iterator_traitsIS12_E10value_typeET2_T3_PNS13_IS18_E10value_typeET4_jRbjT5_S1E_jjP12ihipStream_tbEUljE_ZNSN_ISO_Lb0ESQ_SR_ST_SU_SY_EESZ_S10_S11_S12_S16_S17_S18_S1B_S1C_jS1D_jS1E_S1E_jjS1G_bEUljE0_EEESZ_S10_S11_S18_S1C_S1E_T6_T7_T9_mT8_S1G_bDpT10_ENKUlT_T0_E_clISt17integral_constantIbLb0EES1U_EEDaS1P_S1Q_EUlS1P_E_NS1_11comp_targetILNS1_3genE2ELNS1_11target_archE906ELNS1_3gpuE6ELNS1_3repE0EEENS1_30default_config_static_selectorELNS0_4arch9wavefront6targetE0EEEvS12_.num_vgpr, 0
	.set _ZN7rocprim17ROCPRIM_400000_NS6detail17trampoline_kernelINS0_13select_configILj256ELj13ELNS0_17block_load_methodE3ELS4_3ELS4_3ELNS0_20block_scan_algorithmE0ELj4294967295EEENS1_25partition_config_selectorILNS1_17partition_subalgoE4EjNS0_10empty_typeEbEEZZNS1_14partition_implILS8_4ELb0ES6_15HIP_vector_typeIjLj2EENS0_17counting_iteratorIjlEEPS9_SG_NS0_5tupleIJPjSI_NS0_16reverse_iteratorISI_EEEEENSH_IJSG_SG_SG_EEES9_SI_JZNS1_25segmented_radix_sort_implINS0_14default_configELb0EPKdPdPKlPlN2at6native12_GLOBAL__N_18offset_tEEE10hipError_tPvRmT1_PNSt15iterator_traitsIS12_E10value_typeET2_T3_PNS13_IS18_E10value_typeET4_jRbjT5_S1E_jjP12ihipStream_tbEUljE_ZNSN_ISO_Lb0ESQ_SR_ST_SU_SY_EESZ_S10_S11_S12_S16_S17_S18_S1B_S1C_jS1D_jS1E_S1E_jjS1G_bEUljE0_EEESZ_S10_S11_S18_S1C_S1E_T6_T7_T9_mT8_S1G_bDpT10_ENKUlT_T0_E_clISt17integral_constantIbLb0EES1U_EEDaS1P_S1Q_EUlS1P_E_NS1_11comp_targetILNS1_3genE2ELNS1_11target_archE906ELNS1_3gpuE6ELNS1_3repE0EEENS1_30default_config_static_selectorELNS0_4arch9wavefront6targetE0EEEvS12_.num_agpr, 0
	.set _ZN7rocprim17ROCPRIM_400000_NS6detail17trampoline_kernelINS0_13select_configILj256ELj13ELNS0_17block_load_methodE3ELS4_3ELS4_3ELNS0_20block_scan_algorithmE0ELj4294967295EEENS1_25partition_config_selectorILNS1_17partition_subalgoE4EjNS0_10empty_typeEbEEZZNS1_14partition_implILS8_4ELb0ES6_15HIP_vector_typeIjLj2EENS0_17counting_iteratorIjlEEPS9_SG_NS0_5tupleIJPjSI_NS0_16reverse_iteratorISI_EEEEENSH_IJSG_SG_SG_EEES9_SI_JZNS1_25segmented_radix_sort_implINS0_14default_configELb0EPKdPdPKlPlN2at6native12_GLOBAL__N_18offset_tEEE10hipError_tPvRmT1_PNSt15iterator_traitsIS12_E10value_typeET2_T3_PNS13_IS18_E10value_typeET4_jRbjT5_S1E_jjP12ihipStream_tbEUljE_ZNSN_ISO_Lb0ESQ_SR_ST_SU_SY_EESZ_S10_S11_S12_S16_S17_S18_S1B_S1C_jS1D_jS1E_S1E_jjS1G_bEUljE0_EEESZ_S10_S11_S18_S1C_S1E_T6_T7_T9_mT8_S1G_bDpT10_ENKUlT_T0_E_clISt17integral_constantIbLb0EES1U_EEDaS1P_S1Q_EUlS1P_E_NS1_11comp_targetILNS1_3genE2ELNS1_11target_archE906ELNS1_3gpuE6ELNS1_3repE0EEENS1_30default_config_static_selectorELNS0_4arch9wavefront6targetE0EEEvS12_.numbered_sgpr, 0
	.set _ZN7rocprim17ROCPRIM_400000_NS6detail17trampoline_kernelINS0_13select_configILj256ELj13ELNS0_17block_load_methodE3ELS4_3ELS4_3ELNS0_20block_scan_algorithmE0ELj4294967295EEENS1_25partition_config_selectorILNS1_17partition_subalgoE4EjNS0_10empty_typeEbEEZZNS1_14partition_implILS8_4ELb0ES6_15HIP_vector_typeIjLj2EENS0_17counting_iteratorIjlEEPS9_SG_NS0_5tupleIJPjSI_NS0_16reverse_iteratorISI_EEEEENSH_IJSG_SG_SG_EEES9_SI_JZNS1_25segmented_radix_sort_implINS0_14default_configELb0EPKdPdPKlPlN2at6native12_GLOBAL__N_18offset_tEEE10hipError_tPvRmT1_PNSt15iterator_traitsIS12_E10value_typeET2_T3_PNS13_IS18_E10value_typeET4_jRbjT5_S1E_jjP12ihipStream_tbEUljE_ZNSN_ISO_Lb0ESQ_SR_ST_SU_SY_EESZ_S10_S11_S12_S16_S17_S18_S1B_S1C_jS1D_jS1E_S1E_jjS1G_bEUljE0_EEESZ_S10_S11_S18_S1C_S1E_T6_T7_T9_mT8_S1G_bDpT10_ENKUlT_T0_E_clISt17integral_constantIbLb0EES1U_EEDaS1P_S1Q_EUlS1P_E_NS1_11comp_targetILNS1_3genE2ELNS1_11target_archE906ELNS1_3gpuE6ELNS1_3repE0EEENS1_30default_config_static_selectorELNS0_4arch9wavefront6targetE0EEEvS12_.num_named_barrier, 0
	.set _ZN7rocprim17ROCPRIM_400000_NS6detail17trampoline_kernelINS0_13select_configILj256ELj13ELNS0_17block_load_methodE3ELS4_3ELS4_3ELNS0_20block_scan_algorithmE0ELj4294967295EEENS1_25partition_config_selectorILNS1_17partition_subalgoE4EjNS0_10empty_typeEbEEZZNS1_14partition_implILS8_4ELb0ES6_15HIP_vector_typeIjLj2EENS0_17counting_iteratorIjlEEPS9_SG_NS0_5tupleIJPjSI_NS0_16reverse_iteratorISI_EEEEENSH_IJSG_SG_SG_EEES9_SI_JZNS1_25segmented_radix_sort_implINS0_14default_configELb0EPKdPdPKlPlN2at6native12_GLOBAL__N_18offset_tEEE10hipError_tPvRmT1_PNSt15iterator_traitsIS12_E10value_typeET2_T3_PNS13_IS18_E10value_typeET4_jRbjT5_S1E_jjP12ihipStream_tbEUljE_ZNSN_ISO_Lb0ESQ_SR_ST_SU_SY_EESZ_S10_S11_S12_S16_S17_S18_S1B_S1C_jS1D_jS1E_S1E_jjS1G_bEUljE0_EEESZ_S10_S11_S18_S1C_S1E_T6_T7_T9_mT8_S1G_bDpT10_ENKUlT_T0_E_clISt17integral_constantIbLb0EES1U_EEDaS1P_S1Q_EUlS1P_E_NS1_11comp_targetILNS1_3genE2ELNS1_11target_archE906ELNS1_3gpuE6ELNS1_3repE0EEENS1_30default_config_static_selectorELNS0_4arch9wavefront6targetE0EEEvS12_.private_seg_size, 0
	.set _ZN7rocprim17ROCPRIM_400000_NS6detail17trampoline_kernelINS0_13select_configILj256ELj13ELNS0_17block_load_methodE3ELS4_3ELS4_3ELNS0_20block_scan_algorithmE0ELj4294967295EEENS1_25partition_config_selectorILNS1_17partition_subalgoE4EjNS0_10empty_typeEbEEZZNS1_14partition_implILS8_4ELb0ES6_15HIP_vector_typeIjLj2EENS0_17counting_iteratorIjlEEPS9_SG_NS0_5tupleIJPjSI_NS0_16reverse_iteratorISI_EEEEENSH_IJSG_SG_SG_EEES9_SI_JZNS1_25segmented_radix_sort_implINS0_14default_configELb0EPKdPdPKlPlN2at6native12_GLOBAL__N_18offset_tEEE10hipError_tPvRmT1_PNSt15iterator_traitsIS12_E10value_typeET2_T3_PNS13_IS18_E10value_typeET4_jRbjT5_S1E_jjP12ihipStream_tbEUljE_ZNSN_ISO_Lb0ESQ_SR_ST_SU_SY_EESZ_S10_S11_S12_S16_S17_S18_S1B_S1C_jS1D_jS1E_S1E_jjS1G_bEUljE0_EEESZ_S10_S11_S18_S1C_S1E_T6_T7_T9_mT8_S1G_bDpT10_ENKUlT_T0_E_clISt17integral_constantIbLb0EES1U_EEDaS1P_S1Q_EUlS1P_E_NS1_11comp_targetILNS1_3genE2ELNS1_11target_archE906ELNS1_3gpuE6ELNS1_3repE0EEENS1_30default_config_static_selectorELNS0_4arch9wavefront6targetE0EEEvS12_.uses_vcc, 0
	.set _ZN7rocprim17ROCPRIM_400000_NS6detail17trampoline_kernelINS0_13select_configILj256ELj13ELNS0_17block_load_methodE3ELS4_3ELS4_3ELNS0_20block_scan_algorithmE0ELj4294967295EEENS1_25partition_config_selectorILNS1_17partition_subalgoE4EjNS0_10empty_typeEbEEZZNS1_14partition_implILS8_4ELb0ES6_15HIP_vector_typeIjLj2EENS0_17counting_iteratorIjlEEPS9_SG_NS0_5tupleIJPjSI_NS0_16reverse_iteratorISI_EEEEENSH_IJSG_SG_SG_EEES9_SI_JZNS1_25segmented_radix_sort_implINS0_14default_configELb0EPKdPdPKlPlN2at6native12_GLOBAL__N_18offset_tEEE10hipError_tPvRmT1_PNSt15iterator_traitsIS12_E10value_typeET2_T3_PNS13_IS18_E10value_typeET4_jRbjT5_S1E_jjP12ihipStream_tbEUljE_ZNSN_ISO_Lb0ESQ_SR_ST_SU_SY_EESZ_S10_S11_S12_S16_S17_S18_S1B_S1C_jS1D_jS1E_S1E_jjS1G_bEUljE0_EEESZ_S10_S11_S18_S1C_S1E_T6_T7_T9_mT8_S1G_bDpT10_ENKUlT_T0_E_clISt17integral_constantIbLb0EES1U_EEDaS1P_S1Q_EUlS1P_E_NS1_11comp_targetILNS1_3genE2ELNS1_11target_archE906ELNS1_3gpuE6ELNS1_3repE0EEENS1_30default_config_static_selectorELNS0_4arch9wavefront6targetE0EEEvS12_.uses_flat_scratch, 0
	.set _ZN7rocprim17ROCPRIM_400000_NS6detail17trampoline_kernelINS0_13select_configILj256ELj13ELNS0_17block_load_methodE3ELS4_3ELS4_3ELNS0_20block_scan_algorithmE0ELj4294967295EEENS1_25partition_config_selectorILNS1_17partition_subalgoE4EjNS0_10empty_typeEbEEZZNS1_14partition_implILS8_4ELb0ES6_15HIP_vector_typeIjLj2EENS0_17counting_iteratorIjlEEPS9_SG_NS0_5tupleIJPjSI_NS0_16reverse_iteratorISI_EEEEENSH_IJSG_SG_SG_EEES9_SI_JZNS1_25segmented_radix_sort_implINS0_14default_configELb0EPKdPdPKlPlN2at6native12_GLOBAL__N_18offset_tEEE10hipError_tPvRmT1_PNSt15iterator_traitsIS12_E10value_typeET2_T3_PNS13_IS18_E10value_typeET4_jRbjT5_S1E_jjP12ihipStream_tbEUljE_ZNSN_ISO_Lb0ESQ_SR_ST_SU_SY_EESZ_S10_S11_S12_S16_S17_S18_S1B_S1C_jS1D_jS1E_S1E_jjS1G_bEUljE0_EEESZ_S10_S11_S18_S1C_S1E_T6_T7_T9_mT8_S1G_bDpT10_ENKUlT_T0_E_clISt17integral_constantIbLb0EES1U_EEDaS1P_S1Q_EUlS1P_E_NS1_11comp_targetILNS1_3genE2ELNS1_11target_archE906ELNS1_3gpuE6ELNS1_3repE0EEENS1_30default_config_static_selectorELNS0_4arch9wavefront6targetE0EEEvS12_.has_dyn_sized_stack, 0
	.set _ZN7rocprim17ROCPRIM_400000_NS6detail17trampoline_kernelINS0_13select_configILj256ELj13ELNS0_17block_load_methodE3ELS4_3ELS4_3ELNS0_20block_scan_algorithmE0ELj4294967295EEENS1_25partition_config_selectorILNS1_17partition_subalgoE4EjNS0_10empty_typeEbEEZZNS1_14partition_implILS8_4ELb0ES6_15HIP_vector_typeIjLj2EENS0_17counting_iteratorIjlEEPS9_SG_NS0_5tupleIJPjSI_NS0_16reverse_iteratorISI_EEEEENSH_IJSG_SG_SG_EEES9_SI_JZNS1_25segmented_radix_sort_implINS0_14default_configELb0EPKdPdPKlPlN2at6native12_GLOBAL__N_18offset_tEEE10hipError_tPvRmT1_PNSt15iterator_traitsIS12_E10value_typeET2_T3_PNS13_IS18_E10value_typeET4_jRbjT5_S1E_jjP12ihipStream_tbEUljE_ZNSN_ISO_Lb0ESQ_SR_ST_SU_SY_EESZ_S10_S11_S12_S16_S17_S18_S1B_S1C_jS1D_jS1E_S1E_jjS1G_bEUljE0_EEESZ_S10_S11_S18_S1C_S1E_T6_T7_T9_mT8_S1G_bDpT10_ENKUlT_T0_E_clISt17integral_constantIbLb0EES1U_EEDaS1P_S1Q_EUlS1P_E_NS1_11comp_targetILNS1_3genE2ELNS1_11target_archE906ELNS1_3gpuE6ELNS1_3repE0EEENS1_30default_config_static_selectorELNS0_4arch9wavefront6targetE0EEEvS12_.has_recursion, 0
	.set _ZN7rocprim17ROCPRIM_400000_NS6detail17trampoline_kernelINS0_13select_configILj256ELj13ELNS0_17block_load_methodE3ELS4_3ELS4_3ELNS0_20block_scan_algorithmE0ELj4294967295EEENS1_25partition_config_selectorILNS1_17partition_subalgoE4EjNS0_10empty_typeEbEEZZNS1_14partition_implILS8_4ELb0ES6_15HIP_vector_typeIjLj2EENS0_17counting_iteratorIjlEEPS9_SG_NS0_5tupleIJPjSI_NS0_16reverse_iteratorISI_EEEEENSH_IJSG_SG_SG_EEES9_SI_JZNS1_25segmented_radix_sort_implINS0_14default_configELb0EPKdPdPKlPlN2at6native12_GLOBAL__N_18offset_tEEE10hipError_tPvRmT1_PNSt15iterator_traitsIS12_E10value_typeET2_T3_PNS13_IS18_E10value_typeET4_jRbjT5_S1E_jjP12ihipStream_tbEUljE_ZNSN_ISO_Lb0ESQ_SR_ST_SU_SY_EESZ_S10_S11_S12_S16_S17_S18_S1B_S1C_jS1D_jS1E_S1E_jjS1G_bEUljE0_EEESZ_S10_S11_S18_S1C_S1E_T6_T7_T9_mT8_S1G_bDpT10_ENKUlT_T0_E_clISt17integral_constantIbLb0EES1U_EEDaS1P_S1Q_EUlS1P_E_NS1_11comp_targetILNS1_3genE2ELNS1_11target_archE906ELNS1_3gpuE6ELNS1_3repE0EEENS1_30default_config_static_selectorELNS0_4arch9wavefront6targetE0EEEvS12_.has_indirect_call, 0
	.section	.AMDGPU.csdata,"",@progbits
; Kernel info:
; codeLenInByte = 0
; TotalNumSgprs: 0
; NumVgprs: 0
; ScratchSize: 0
; MemoryBound: 0
; FloatMode: 240
; IeeeMode: 1
; LDSByteSize: 0 bytes/workgroup (compile time only)
; SGPRBlocks: 0
; VGPRBlocks: 0
; NumSGPRsForWavesPerEU: 1
; NumVGPRsForWavesPerEU: 1
; Occupancy: 16
; WaveLimiterHint : 0
; COMPUTE_PGM_RSRC2:SCRATCH_EN: 0
; COMPUTE_PGM_RSRC2:USER_SGPR: 2
; COMPUTE_PGM_RSRC2:TRAP_HANDLER: 0
; COMPUTE_PGM_RSRC2:TGID_X_EN: 1
; COMPUTE_PGM_RSRC2:TGID_Y_EN: 0
; COMPUTE_PGM_RSRC2:TGID_Z_EN: 0
; COMPUTE_PGM_RSRC2:TIDIG_COMP_CNT: 0
	.section	.text._ZN7rocprim17ROCPRIM_400000_NS6detail17trampoline_kernelINS0_13select_configILj256ELj13ELNS0_17block_load_methodE3ELS4_3ELS4_3ELNS0_20block_scan_algorithmE0ELj4294967295EEENS1_25partition_config_selectorILNS1_17partition_subalgoE4EjNS0_10empty_typeEbEEZZNS1_14partition_implILS8_4ELb0ES6_15HIP_vector_typeIjLj2EENS0_17counting_iteratorIjlEEPS9_SG_NS0_5tupleIJPjSI_NS0_16reverse_iteratorISI_EEEEENSH_IJSG_SG_SG_EEES9_SI_JZNS1_25segmented_radix_sort_implINS0_14default_configELb0EPKdPdPKlPlN2at6native12_GLOBAL__N_18offset_tEEE10hipError_tPvRmT1_PNSt15iterator_traitsIS12_E10value_typeET2_T3_PNS13_IS18_E10value_typeET4_jRbjT5_S1E_jjP12ihipStream_tbEUljE_ZNSN_ISO_Lb0ESQ_SR_ST_SU_SY_EESZ_S10_S11_S12_S16_S17_S18_S1B_S1C_jS1D_jS1E_S1E_jjS1G_bEUljE0_EEESZ_S10_S11_S18_S1C_S1E_T6_T7_T9_mT8_S1G_bDpT10_ENKUlT_T0_E_clISt17integral_constantIbLb0EES1U_EEDaS1P_S1Q_EUlS1P_E_NS1_11comp_targetILNS1_3genE10ELNS1_11target_archE1200ELNS1_3gpuE4ELNS1_3repE0EEENS1_30default_config_static_selectorELNS0_4arch9wavefront6targetE0EEEvS12_,"axG",@progbits,_ZN7rocprim17ROCPRIM_400000_NS6detail17trampoline_kernelINS0_13select_configILj256ELj13ELNS0_17block_load_methodE3ELS4_3ELS4_3ELNS0_20block_scan_algorithmE0ELj4294967295EEENS1_25partition_config_selectorILNS1_17partition_subalgoE4EjNS0_10empty_typeEbEEZZNS1_14partition_implILS8_4ELb0ES6_15HIP_vector_typeIjLj2EENS0_17counting_iteratorIjlEEPS9_SG_NS0_5tupleIJPjSI_NS0_16reverse_iteratorISI_EEEEENSH_IJSG_SG_SG_EEES9_SI_JZNS1_25segmented_radix_sort_implINS0_14default_configELb0EPKdPdPKlPlN2at6native12_GLOBAL__N_18offset_tEEE10hipError_tPvRmT1_PNSt15iterator_traitsIS12_E10value_typeET2_T3_PNS13_IS18_E10value_typeET4_jRbjT5_S1E_jjP12ihipStream_tbEUljE_ZNSN_ISO_Lb0ESQ_SR_ST_SU_SY_EESZ_S10_S11_S12_S16_S17_S18_S1B_S1C_jS1D_jS1E_S1E_jjS1G_bEUljE0_EEESZ_S10_S11_S18_S1C_S1E_T6_T7_T9_mT8_S1G_bDpT10_ENKUlT_T0_E_clISt17integral_constantIbLb0EES1U_EEDaS1P_S1Q_EUlS1P_E_NS1_11comp_targetILNS1_3genE10ELNS1_11target_archE1200ELNS1_3gpuE4ELNS1_3repE0EEENS1_30default_config_static_selectorELNS0_4arch9wavefront6targetE0EEEvS12_,comdat
	.globl	_ZN7rocprim17ROCPRIM_400000_NS6detail17trampoline_kernelINS0_13select_configILj256ELj13ELNS0_17block_load_methodE3ELS4_3ELS4_3ELNS0_20block_scan_algorithmE0ELj4294967295EEENS1_25partition_config_selectorILNS1_17partition_subalgoE4EjNS0_10empty_typeEbEEZZNS1_14partition_implILS8_4ELb0ES6_15HIP_vector_typeIjLj2EENS0_17counting_iteratorIjlEEPS9_SG_NS0_5tupleIJPjSI_NS0_16reverse_iteratorISI_EEEEENSH_IJSG_SG_SG_EEES9_SI_JZNS1_25segmented_radix_sort_implINS0_14default_configELb0EPKdPdPKlPlN2at6native12_GLOBAL__N_18offset_tEEE10hipError_tPvRmT1_PNSt15iterator_traitsIS12_E10value_typeET2_T3_PNS13_IS18_E10value_typeET4_jRbjT5_S1E_jjP12ihipStream_tbEUljE_ZNSN_ISO_Lb0ESQ_SR_ST_SU_SY_EESZ_S10_S11_S12_S16_S17_S18_S1B_S1C_jS1D_jS1E_S1E_jjS1G_bEUljE0_EEESZ_S10_S11_S18_S1C_S1E_T6_T7_T9_mT8_S1G_bDpT10_ENKUlT_T0_E_clISt17integral_constantIbLb0EES1U_EEDaS1P_S1Q_EUlS1P_E_NS1_11comp_targetILNS1_3genE10ELNS1_11target_archE1200ELNS1_3gpuE4ELNS1_3repE0EEENS1_30default_config_static_selectorELNS0_4arch9wavefront6targetE0EEEvS12_ ; -- Begin function _ZN7rocprim17ROCPRIM_400000_NS6detail17trampoline_kernelINS0_13select_configILj256ELj13ELNS0_17block_load_methodE3ELS4_3ELS4_3ELNS0_20block_scan_algorithmE0ELj4294967295EEENS1_25partition_config_selectorILNS1_17partition_subalgoE4EjNS0_10empty_typeEbEEZZNS1_14partition_implILS8_4ELb0ES6_15HIP_vector_typeIjLj2EENS0_17counting_iteratorIjlEEPS9_SG_NS0_5tupleIJPjSI_NS0_16reverse_iteratorISI_EEEEENSH_IJSG_SG_SG_EEES9_SI_JZNS1_25segmented_radix_sort_implINS0_14default_configELb0EPKdPdPKlPlN2at6native12_GLOBAL__N_18offset_tEEE10hipError_tPvRmT1_PNSt15iterator_traitsIS12_E10value_typeET2_T3_PNS13_IS18_E10value_typeET4_jRbjT5_S1E_jjP12ihipStream_tbEUljE_ZNSN_ISO_Lb0ESQ_SR_ST_SU_SY_EESZ_S10_S11_S12_S16_S17_S18_S1B_S1C_jS1D_jS1E_S1E_jjS1G_bEUljE0_EEESZ_S10_S11_S18_S1C_S1E_T6_T7_T9_mT8_S1G_bDpT10_ENKUlT_T0_E_clISt17integral_constantIbLb0EES1U_EEDaS1P_S1Q_EUlS1P_E_NS1_11comp_targetILNS1_3genE10ELNS1_11target_archE1200ELNS1_3gpuE4ELNS1_3repE0EEENS1_30default_config_static_selectorELNS0_4arch9wavefront6targetE0EEEvS12_
	.p2align	8
	.type	_ZN7rocprim17ROCPRIM_400000_NS6detail17trampoline_kernelINS0_13select_configILj256ELj13ELNS0_17block_load_methodE3ELS4_3ELS4_3ELNS0_20block_scan_algorithmE0ELj4294967295EEENS1_25partition_config_selectorILNS1_17partition_subalgoE4EjNS0_10empty_typeEbEEZZNS1_14partition_implILS8_4ELb0ES6_15HIP_vector_typeIjLj2EENS0_17counting_iteratorIjlEEPS9_SG_NS0_5tupleIJPjSI_NS0_16reverse_iteratorISI_EEEEENSH_IJSG_SG_SG_EEES9_SI_JZNS1_25segmented_radix_sort_implINS0_14default_configELb0EPKdPdPKlPlN2at6native12_GLOBAL__N_18offset_tEEE10hipError_tPvRmT1_PNSt15iterator_traitsIS12_E10value_typeET2_T3_PNS13_IS18_E10value_typeET4_jRbjT5_S1E_jjP12ihipStream_tbEUljE_ZNSN_ISO_Lb0ESQ_SR_ST_SU_SY_EESZ_S10_S11_S12_S16_S17_S18_S1B_S1C_jS1D_jS1E_S1E_jjS1G_bEUljE0_EEESZ_S10_S11_S18_S1C_S1E_T6_T7_T9_mT8_S1G_bDpT10_ENKUlT_T0_E_clISt17integral_constantIbLb0EES1U_EEDaS1P_S1Q_EUlS1P_E_NS1_11comp_targetILNS1_3genE10ELNS1_11target_archE1200ELNS1_3gpuE4ELNS1_3repE0EEENS1_30default_config_static_selectorELNS0_4arch9wavefront6targetE0EEEvS12_,@function
_ZN7rocprim17ROCPRIM_400000_NS6detail17trampoline_kernelINS0_13select_configILj256ELj13ELNS0_17block_load_methodE3ELS4_3ELS4_3ELNS0_20block_scan_algorithmE0ELj4294967295EEENS1_25partition_config_selectorILNS1_17partition_subalgoE4EjNS0_10empty_typeEbEEZZNS1_14partition_implILS8_4ELb0ES6_15HIP_vector_typeIjLj2EENS0_17counting_iteratorIjlEEPS9_SG_NS0_5tupleIJPjSI_NS0_16reverse_iteratorISI_EEEEENSH_IJSG_SG_SG_EEES9_SI_JZNS1_25segmented_radix_sort_implINS0_14default_configELb0EPKdPdPKlPlN2at6native12_GLOBAL__N_18offset_tEEE10hipError_tPvRmT1_PNSt15iterator_traitsIS12_E10value_typeET2_T3_PNS13_IS18_E10value_typeET4_jRbjT5_S1E_jjP12ihipStream_tbEUljE_ZNSN_ISO_Lb0ESQ_SR_ST_SU_SY_EESZ_S10_S11_S12_S16_S17_S18_S1B_S1C_jS1D_jS1E_S1E_jjS1G_bEUljE0_EEESZ_S10_S11_S18_S1C_S1E_T6_T7_T9_mT8_S1G_bDpT10_ENKUlT_T0_E_clISt17integral_constantIbLb0EES1U_EEDaS1P_S1Q_EUlS1P_E_NS1_11comp_targetILNS1_3genE10ELNS1_11target_archE1200ELNS1_3gpuE4ELNS1_3repE0EEENS1_30default_config_static_selectorELNS0_4arch9wavefront6targetE0EEEvS12_: ; @_ZN7rocprim17ROCPRIM_400000_NS6detail17trampoline_kernelINS0_13select_configILj256ELj13ELNS0_17block_load_methodE3ELS4_3ELS4_3ELNS0_20block_scan_algorithmE0ELj4294967295EEENS1_25partition_config_selectorILNS1_17partition_subalgoE4EjNS0_10empty_typeEbEEZZNS1_14partition_implILS8_4ELb0ES6_15HIP_vector_typeIjLj2EENS0_17counting_iteratorIjlEEPS9_SG_NS0_5tupleIJPjSI_NS0_16reverse_iteratorISI_EEEEENSH_IJSG_SG_SG_EEES9_SI_JZNS1_25segmented_radix_sort_implINS0_14default_configELb0EPKdPdPKlPlN2at6native12_GLOBAL__N_18offset_tEEE10hipError_tPvRmT1_PNSt15iterator_traitsIS12_E10value_typeET2_T3_PNS13_IS18_E10value_typeET4_jRbjT5_S1E_jjP12ihipStream_tbEUljE_ZNSN_ISO_Lb0ESQ_SR_ST_SU_SY_EESZ_S10_S11_S12_S16_S17_S18_S1B_S1C_jS1D_jS1E_S1E_jjS1G_bEUljE0_EEESZ_S10_S11_S18_S1C_S1E_T6_T7_T9_mT8_S1G_bDpT10_ENKUlT_T0_E_clISt17integral_constantIbLb0EES1U_EEDaS1P_S1Q_EUlS1P_E_NS1_11comp_targetILNS1_3genE10ELNS1_11target_archE1200ELNS1_3gpuE4ELNS1_3repE0EEENS1_30default_config_static_selectorELNS0_4arch9wavefront6targetE0EEEvS12_
; %bb.0:
	s_clause 0x6
	s_load_b32 s6, s[0:1], 0x80
	s_load_b128 s[24:27], s[0:1], 0x58
	s_load_b64 s[34:35], s[0:1], 0x10
	s_load_b64 s[2:3], s[0:1], 0x68
	s_load_b32 s7, s[0:1], 0x8
	s_load_b64 s[42:43], s[0:1], 0xa8
	s_load_b256 s[16:23], s[0:1], 0x88
	s_mov_b32 s5, 0
	s_mul_i32 s40, ttmp9, 0xd00
	s_wait_kmcnt 0x0
	s_mul_i32 s4, s6, 0xd00
	s_load_b128 s[28:31], s[26:27], 0x0
	s_add_co_i32 s8, s4, s34
	s_add_co_i32 s6, s6, -1
	s_sub_co_i32 s33, s2, s8
	s_add_nc_u64 s[4:5], s[34:35], s[4:5]
	s_addk_co_i32 s33, 0xd00
	s_cmp_eq_u32 ttmp9, s6
	v_cmp_gt_u64_e64 s2, s[2:3], s[4:5]
	s_cselect_b32 s15, -1, 0
	s_cmp_lg_u32 ttmp9, s6
	s_mov_b32 s5, -1
	s_cselect_b32 s3, -1, 0
	s_add_co_i32 s4, s7, s40
	s_wait_alu 0xfffe
	s_or_b32 s3, s3, s2
	s_add_co_i32 s4, s4, s34
	s_wait_alu 0xfffe
	s_and_b32 vcc_lo, exec_lo, s3
	v_add_nc_u32_e32 v1, s4, v0
	s_cbranch_vccz .LBB1162_2
; %bb.1:
	s_delay_alu instid0(VALU_DEP_1)
	v_add_nc_u32_e32 v2, 0x100, v1
	v_lshlrev_b32_e32 v10, 2, v0
	v_add_nc_u32_e32 v3, 0x200, v1
	v_add_nc_u32_e32 v4, 0x300, v1
	;; [unrolled: 1-line block ×11, first 2 shown]
	ds_store_2addr_stride64_b32 v10, v1, v2 offset1:4
	ds_store_2addr_stride64_b32 v10, v3, v4 offset0:8 offset1:12
	ds_store_2addr_stride64_b32 v10, v5, v6 offset0:16 offset1:20
	;; [unrolled: 1-line block ×5, first 2 shown]
	ds_store_b32 v10, v14 offset:12288
	s_wait_dscnt 0x0
	s_barrier_signal -1
	s_mov_b32 s5, 0
	s_barrier_wait -1
.LBB1162_2:
	v_cmp_gt_u32_e64 s2, s33, v0
	v_or_b32_e32 v38, 0x100, v0
	v_or_b32_e32 v37, 0x200, v0
	;; [unrolled: 1-line block ×12, first 2 shown]
	s_wait_alu 0xfffe
	s_and_not1_b32 vcc_lo, exec_lo, s5
	s_cbranch_vccnz .LBB1162_4
; %bb.3:
	v_cmp_gt_u32_e32 vcc_lo, s33, v38
	v_add_nc_u32_e32 v3, s4, v37
	v_add_nc_u32_e32 v2, s4, v38
	v_cndmask_b32_e64 v1, 0, v1, s2
	v_lshlrev_b32_e32 v14, 2, v0
	s_delay_alu instid0(VALU_DEP_3)
	v_cndmask_b32_e32 v2, 0, v2, vcc_lo
	v_cmp_gt_u32_e32 vcc_lo, s33, v37
	s_wait_alu 0xfffd
	v_cndmask_b32_e32 v3, 0, v3, vcc_lo
	v_cmp_gt_u32_e32 vcc_lo, s33, v36
	v_add_nc_u32_e32 v5, s4, v35
	v_add_nc_u32_e32 v4, s4, v36
	s_wait_alu 0xfffd
	s_delay_alu instid0(VALU_DEP_1)
	v_cndmask_b32_e32 v4, 0, v4, vcc_lo
	v_cmp_gt_u32_e32 vcc_lo, s33, v35
	s_wait_alu 0xfffd
	v_cndmask_b32_e32 v5, 0, v5, vcc_lo
	v_cmp_gt_u32_e32 vcc_lo, s33, v34
	v_add_nc_u32_e32 v7, s4, v33
	v_add_nc_u32_e32 v6, s4, v34
	s_wait_alu 0xfffd
	s_delay_alu instid0(VALU_DEP_1)
	v_cndmask_b32_e32 v6, 0, v6, vcc_lo
	v_cmp_gt_u32_e32 vcc_lo, s33, v33
	s_wait_alu 0xfffd
	v_cndmask_b32_e32 v7, 0, v7, vcc_lo
	v_cmp_gt_u32_e32 vcc_lo, s33, v32
	v_add_nc_u32_e32 v9, s4, v31
	v_add_nc_u32_e32 v8, s4, v32
	s_wait_alu 0xfffd
	s_delay_alu instid0(VALU_DEP_1)
	v_cndmask_b32_e32 v8, 0, v8, vcc_lo
	v_cmp_gt_u32_e32 vcc_lo, s33, v31
	s_wait_alu 0xfffd
	v_cndmask_b32_e32 v9, 0, v9, vcc_lo
	v_cmp_gt_u32_e32 vcc_lo, s33, v30
	v_add_nc_u32_e32 v11, s4, v29
	v_add_nc_u32_e32 v10, s4, v30
	s_wait_alu 0xfffd
	s_delay_alu instid0(VALU_DEP_1)
	v_cndmask_b32_e32 v10, 0, v10, vcc_lo
	v_cmp_gt_u32_e32 vcc_lo, s33, v29
	s_wait_alu 0xfffd
	v_cndmask_b32_e32 v11, 0, v11, vcc_lo
	v_cmp_gt_u32_e32 vcc_lo, s33, v28
	v_add_nc_u32_e32 v13, s4, v27
	v_add_nc_u32_e32 v12, s4, v28
	s_wait_alu 0xfffd
	s_delay_alu instid0(VALU_DEP_1)
	v_cndmask_b32_e32 v12, 0, v12, vcc_lo
	v_cmp_gt_u32_e32 vcc_lo, s33, v27
	s_wait_alu 0xfffd
	v_cndmask_b32_e32 v13, 0, v13, vcc_lo
	ds_store_2addr_stride64_b32 v14, v1, v2 offset1:4
	ds_store_2addr_stride64_b32 v14, v3, v4 offset0:8 offset1:12
	ds_store_2addr_stride64_b32 v14, v5, v6 offset0:16 offset1:20
	;; [unrolled: 1-line block ×5, first 2 shown]
	ds_store_b32 v14, v13 offset:12288
	s_wait_dscnt 0x0
	s_barrier_signal -1
	s_barrier_wait -1
.LBB1162_4:
	v_mul_u32_u24_e32 v41, 13, v0
	s_clause 0x1
	s_load_b128 s[36:39], s[0:1], 0x28
	s_load_b64 s[26:27], s[0:1], 0x38
	global_inv scope:SCOPE_SE
	v_cndmask_b32_e64 v39, 0, 1, s3
	s_and_not1_b32 vcc_lo, exec_lo, s3
	v_lshlrev_b32_e32 v1, 2, v41
	ds_load_2addr_b32 v[19:20], v1 offset1:1
	ds_load_2addr_b32 v[17:18], v1 offset0:2 offset1:3
	ds_load_2addr_b32 v[15:16], v1 offset0:4 offset1:5
	;; [unrolled: 1-line block ×5, first 2 shown]
	ds_load_b32 v40, v1 offset:48
	s_wait_loadcnt_dscnt 0x0
	s_barrier_signal -1
	s_barrier_wait -1
	global_inv scope:SCOPE_SE
	s_wait_alu 0xfffe
	s_cbranch_vccnz .LBB1162_32
; %bb.5:
	v_add_nc_u32_e32 v1, s17, v19
	v_add_nc_u32_e32 v2, s19, v19
	s_mov_b32 s44, 0
	s_mov_b32 s41, 0
	s_mov_b32 s3, exec_lo
	v_mul_lo_u32 v1, v1, s16
	v_mul_lo_u32 v2, v2, s18
	s_delay_alu instid0(VALU_DEP_1) | instskip(NEXT) | instid1(VALU_DEP_1)
	v_sub_nc_u32_e32 v1, v1, v2
	v_cmp_lt_u32_e32 vcc_lo, s20, v1
	v_cmpx_ge_u32_e64 s20, v1
	s_cbranch_execz .LBB1162_7
; %bb.6:
	v_add_nc_u32_e32 v1, s22, v19
	v_add_nc_u32_e32 v2, s42, v19
	s_delay_alu instid0(VALU_DEP_2) | instskip(NEXT) | instid1(VALU_DEP_2)
	v_mul_lo_u32 v1, v1, s21
	v_mul_lo_u32 v2, v2, s23
	s_delay_alu instid0(VALU_DEP_1) | instskip(NEXT) | instid1(VALU_DEP_1)
	v_sub_nc_u32_e32 v1, v1, v2
	v_cmp_lt_u32_e64 s2, s43, v1
	s_and_b32 s41, s2, exec_lo
.LBB1162_7:
	s_wait_alu 0xfffe
	s_or_b32 exec_lo, exec_lo, s3
	v_add_nc_u32_e32 v1, s17, v20
	v_add_nc_u32_e32 v2, s19, v20
	s_mov_b32 s4, exec_lo
	s_delay_alu instid0(VALU_DEP_2) | instskip(NEXT) | instid1(VALU_DEP_2)
	v_mul_lo_u32 v1, v1, s16
	v_mul_lo_u32 v2, v2, s18
	s_delay_alu instid0(VALU_DEP_1) | instskip(NEXT) | instid1(VALU_DEP_1)
	v_sub_nc_u32_e32 v1, v1, v2
	v_cmp_lt_u32_e64 s2, s20, v1
	v_cmpx_ge_u32_e64 s20, v1
	s_cbranch_execz .LBB1162_9
; %bb.8:
	v_add_nc_u32_e32 v1, s22, v20
	v_add_nc_u32_e32 v2, s42, v20
	s_delay_alu instid0(VALU_DEP_2) | instskip(NEXT) | instid1(VALU_DEP_2)
	v_mul_lo_u32 v1, v1, s21
	v_mul_lo_u32 v2, v2, s23
	s_delay_alu instid0(VALU_DEP_1) | instskip(NEXT) | instid1(VALU_DEP_1)
	v_sub_nc_u32_e32 v1, v1, v2
	v_cmp_lt_u32_e64 s3, s43, v1
	s_and_b32 s44, s3, exec_lo
.LBB1162_9:
	s_wait_alu 0xfffe
	s_or_b32 exec_lo, exec_lo, s4
	v_add_nc_u32_e32 v1, s17, v17
	v_add_nc_u32_e32 v2, s19, v17
	s_mov_b32 s46, 0
	s_mov_b32 s45, 0
	s_mov_b32 s5, exec_lo
	v_mul_lo_u32 v1, v1, s16
	v_mul_lo_u32 v2, v2, s18
	s_delay_alu instid0(VALU_DEP_1) | instskip(NEXT) | instid1(VALU_DEP_1)
	v_sub_nc_u32_e32 v1, v1, v2
	v_cmp_lt_u32_e64 s3, s20, v1
	v_cmpx_ge_u32_e64 s20, v1
	s_cbranch_execz .LBB1162_11
; %bb.10:
	v_add_nc_u32_e32 v1, s22, v17
	v_add_nc_u32_e32 v2, s42, v17
	s_delay_alu instid0(VALU_DEP_2) | instskip(NEXT) | instid1(VALU_DEP_2)
	v_mul_lo_u32 v1, v1, s21
	v_mul_lo_u32 v2, v2, s23
	s_delay_alu instid0(VALU_DEP_1) | instskip(NEXT) | instid1(VALU_DEP_1)
	v_sub_nc_u32_e32 v1, v1, v2
	v_cmp_lt_u32_e64 s4, s43, v1
	s_and_b32 s45, s4, exec_lo
.LBB1162_11:
	s_wait_alu 0xfffe
	s_or_b32 exec_lo, exec_lo, s5
	v_add_nc_u32_e32 v1, s17, v18
	v_add_nc_u32_e32 v2, s19, v18
	s_mov_b32 s6, exec_lo
	s_delay_alu instid0(VALU_DEP_2) | instskip(NEXT) | instid1(VALU_DEP_2)
	v_mul_lo_u32 v1, v1, s16
	v_mul_lo_u32 v2, v2, s18
	s_delay_alu instid0(VALU_DEP_1) | instskip(NEXT) | instid1(VALU_DEP_1)
	v_sub_nc_u32_e32 v1, v1, v2
	v_cmp_lt_u32_e64 s4, s20, v1
	v_cmpx_ge_u32_e64 s20, v1
	s_cbranch_execz .LBB1162_13
; %bb.12:
	v_add_nc_u32_e32 v1, s22, v18
	v_add_nc_u32_e32 v2, s42, v18
	s_delay_alu instid0(VALU_DEP_2) | instskip(NEXT) | instid1(VALU_DEP_2)
	v_mul_lo_u32 v1, v1, s21
	v_mul_lo_u32 v2, v2, s23
	s_delay_alu instid0(VALU_DEP_1) | instskip(NEXT) | instid1(VALU_DEP_1)
	v_sub_nc_u32_e32 v1, v1, v2
	v_cmp_lt_u32_e64 s5, s43, v1
	s_and_b32 s46, s5, exec_lo
.LBB1162_13:
	s_or_b32 exec_lo, exec_lo, s6
	v_add_nc_u32_e32 v1, s17, v15
	v_add_nc_u32_e32 v2, s19, v15
	s_mov_b32 s48, 0
	s_mov_b32 s47, 0
	s_mov_b32 s7, exec_lo
	v_mul_lo_u32 v1, v1, s16
	v_mul_lo_u32 v2, v2, s18
	s_delay_alu instid0(VALU_DEP_1) | instskip(NEXT) | instid1(VALU_DEP_1)
	v_sub_nc_u32_e32 v1, v1, v2
	v_cmp_lt_u32_e64 s5, s20, v1
	v_cmpx_ge_u32_e64 s20, v1
	s_cbranch_execz .LBB1162_15
; %bb.14:
	v_add_nc_u32_e32 v1, s22, v15
	v_add_nc_u32_e32 v2, s42, v15
	s_delay_alu instid0(VALU_DEP_2) | instskip(NEXT) | instid1(VALU_DEP_2)
	v_mul_lo_u32 v1, v1, s21
	v_mul_lo_u32 v2, v2, s23
	s_delay_alu instid0(VALU_DEP_1) | instskip(NEXT) | instid1(VALU_DEP_1)
	v_sub_nc_u32_e32 v1, v1, v2
	v_cmp_lt_u32_e64 s6, s43, v1
	s_and_b32 s47, s6, exec_lo
.LBB1162_15:
	s_or_b32 exec_lo, exec_lo, s7
	v_add_nc_u32_e32 v1, s17, v16
	v_add_nc_u32_e32 v2, s19, v16
	s_mov_b32 s8, exec_lo
	s_delay_alu instid0(VALU_DEP_2) | instskip(NEXT) | instid1(VALU_DEP_2)
	v_mul_lo_u32 v1, v1, s16
	v_mul_lo_u32 v2, v2, s18
	s_delay_alu instid0(VALU_DEP_1) | instskip(NEXT) | instid1(VALU_DEP_1)
	v_sub_nc_u32_e32 v1, v1, v2
	v_cmp_lt_u32_e64 s6, s20, v1
	v_cmpx_ge_u32_e64 s20, v1
	s_cbranch_execz .LBB1162_17
; %bb.16:
	v_add_nc_u32_e32 v1, s22, v16
	v_add_nc_u32_e32 v2, s42, v16
	s_delay_alu instid0(VALU_DEP_2) | instskip(NEXT) | instid1(VALU_DEP_2)
	v_mul_lo_u32 v1, v1, s21
	v_mul_lo_u32 v2, v2, s23
	s_delay_alu instid0(VALU_DEP_1) | instskip(NEXT) | instid1(VALU_DEP_1)
	v_sub_nc_u32_e32 v1, v1, v2
	v_cmp_lt_u32_e64 s7, s43, v1
	s_and_b32 s48, s7, exec_lo
.LBB1162_17:
	s_or_b32 exec_lo, exec_lo, s8
	v_add_nc_u32_e32 v1, s17, v13
	v_add_nc_u32_e32 v2, s19, v13
	s_mov_b32 s50, 0
	s_mov_b32 s49, 0
	s_mov_b32 s9, exec_lo
	v_mul_lo_u32 v1, v1, s16
	v_mul_lo_u32 v2, v2, s18
	s_delay_alu instid0(VALU_DEP_1) | instskip(NEXT) | instid1(VALU_DEP_1)
	v_sub_nc_u32_e32 v1, v1, v2
	v_cmp_lt_u32_e64 s7, s20, v1
	v_cmpx_ge_u32_e64 s20, v1
	s_cbranch_execz .LBB1162_19
; %bb.18:
	v_add_nc_u32_e32 v1, s22, v13
	v_add_nc_u32_e32 v2, s42, v13
	s_delay_alu instid0(VALU_DEP_2) | instskip(NEXT) | instid1(VALU_DEP_2)
	v_mul_lo_u32 v1, v1, s21
	v_mul_lo_u32 v2, v2, s23
	s_delay_alu instid0(VALU_DEP_1) | instskip(NEXT) | instid1(VALU_DEP_1)
	v_sub_nc_u32_e32 v1, v1, v2
	v_cmp_lt_u32_e64 s8, s43, v1
	s_and_b32 s49, s8, exec_lo
.LBB1162_19:
	s_or_b32 exec_lo, exec_lo, s9
	v_add_nc_u32_e32 v1, s17, v14
	v_add_nc_u32_e32 v2, s19, v14
	s_mov_b32 s10, exec_lo
	s_delay_alu instid0(VALU_DEP_2) | instskip(NEXT) | instid1(VALU_DEP_2)
	v_mul_lo_u32 v1, v1, s16
	v_mul_lo_u32 v2, v2, s18
	s_delay_alu instid0(VALU_DEP_1) | instskip(NEXT) | instid1(VALU_DEP_1)
	v_sub_nc_u32_e32 v1, v1, v2
	v_cmp_lt_u32_e64 s8, s20, v1
	v_cmpx_ge_u32_e64 s20, v1
	s_cbranch_execz .LBB1162_21
; %bb.20:
	v_add_nc_u32_e32 v1, s22, v14
	v_add_nc_u32_e32 v2, s42, v14
	s_delay_alu instid0(VALU_DEP_2) | instskip(NEXT) | instid1(VALU_DEP_2)
	v_mul_lo_u32 v1, v1, s21
	v_mul_lo_u32 v2, v2, s23
	s_delay_alu instid0(VALU_DEP_1) | instskip(NEXT) | instid1(VALU_DEP_1)
	v_sub_nc_u32_e32 v1, v1, v2
	v_cmp_lt_u32_e64 s9, s43, v1
	s_and_b32 s50, s9, exec_lo
.LBB1162_21:
	s_or_b32 exec_lo, exec_lo, s10
	v_add_nc_u32_e32 v1, s17, v11
	v_add_nc_u32_e32 v2, s19, v11
	s_mov_b32 s53, 0
	s_mov_b32 s52, 0
	s_mov_b32 s11, exec_lo
	v_mul_lo_u32 v1, v1, s16
	v_mul_lo_u32 v2, v2, s18
	s_delay_alu instid0(VALU_DEP_1) | instskip(NEXT) | instid1(VALU_DEP_1)
	v_sub_nc_u32_e32 v1, v1, v2
	v_cmp_lt_u32_e64 s9, s20, v1
	v_cmpx_ge_u32_e64 s20, v1
	s_cbranch_execz .LBB1162_23
; %bb.22:
	v_add_nc_u32_e32 v1, s22, v11
	v_add_nc_u32_e32 v2, s42, v11
	s_delay_alu instid0(VALU_DEP_2) | instskip(NEXT) | instid1(VALU_DEP_2)
	v_mul_lo_u32 v1, v1, s21
	v_mul_lo_u32 v2, v2, s23
	s_delay_alu instid0(VALU_DEP_1) | instskip(NEXT) | instid1(VALU_DEP_1)
	v_sub_nc_u32_e32 v1, v1, v2
	v_cmp_lt_u32_e64 s10, s43, v1
	s_and_b32 s52, s10, exec_lo
.LBB1162_23:
	s_or_b32 exec_lo, exec_lo, s11
	v_add_nc_u32_e32 v1, s17, v12
	v_add_nc_u32_e32 v2, s19, v12
	s_mov_b32 s12, exec_lo
	s_delay_alu instid0(VALU_DEP_2) | instskip(NEXT) | instid1(VALU_DEP_2)
	v_mul_lo_u32 v1, v1, s16
	v_mul_lo_u32 v2, v2, s18
	s_delay_alu instid0(VALU_DEP_1) | instskip(NEXT) | instid1(VALU_DEP_1)
	v_sub_nc_u32_e32 v1, v1, v2
	v_cmp_lt_u32_e64 s10, s20, v1
	v_cmpx_ge_u32_e64 s20, v1
	s_cbranch_execz .LBB1162_25
; %bb.24:
	v_add_nc_u32_e32 v1, s22, v12
	v_add_nc_u32_e32 v2, s42, v12
	s_delay_alu instid0(VALU_DEP_2) | instskip(NEXT) | instid1(VALU_DEP_2)
	v_mul_lo_u32 v1, v1, s21
	v_mul_lo_u32 v2, v2, s23
	s_delay_alu instid0(VALU_DEP_1) | instskip(NEXT) | instid1(VALU_DEP_1)
	v_sub_nc_u32_e32 v1, v1, v2
	v_cmp_lt_u32_e64 s11, s43, v1
	s_and_b32 s53, s11, exec_lo
.LBB1162_25:
	s_or_b32 exec_lo, exec_lo, s12
	v_add_nc_u32_e32 v1, s17, v9
	v_add_nc_u32_e32 v2, s19, v9
	s_mov_b32 s54, 0
	s_mov_b32 s55, 0
	s_mov_b32 s13, exec_lo
	v_mul_lo_u32 v1, v1, s16
	v_mul_lo_u32 v2, v2, s18
	s_delay_alu instid0(VALU_DEP_1) | instskip(NEXT) | instid1(VALU_DEP_1)
	v_sub_nc_u32_e32 v1, v1, v2
	v_cmp_lt_u32_e64 s11, s20, v1
	v_cmpx_ge_u32_e64 s20, v1
	s_cbranch_execz .LBB1162_27
; %bb.26:
	v_add_nc_u32_e32 v1, s22, v9
	v_add_nc_u32_e32 v2, s42, v9
	s_delay_alu instid0(VALU_DEP_2) | instskip(NEXT) | instid1(VALU_DEP_2)
	v_mul_lo_u32 v1, v1, s21
	v_mul_lo_u32 v2, v2, s23
	s_delay_alu instid0(VALU_DEP_1) | instskip(NEXT) | instid1(VALU_DEP_1)
	v_sub_nc_u32_e32 v1, v1, v2
	v_cmp_lt_u32_e64 s12, s43, v1
	s_and_b32 s55, s12, exec_lo
.LBB1162_27:
	s_or_b32 exec_lo, exec_lo, s13
	v_add_nc_u32_e32 v1, s17, v10
	v_add_nc_u32_e32 v2, s19, v10
	s_mov_b32 s14, exec_lo
	s_delay_alu instid0(VALU_DEP_2) | instskip(NEXT) | instid1(VALU_DEP_2)
	v_mul_lo_u32 v1, v1, s16
	v_mul_lo_u32 v2, v2, s18
	s_delay_alu instid0(VALU_DEP_1) | instskip(NEXT) | instid1(VALU_DEP_1)
	v_sub_nc_u32_e32 v1, v1, v2
	v_cmp_lt_u32_e64 s13, s20, v1
	v_cmpx_ge_u32_e64 s20, v1
	s_cbranch_execz .LBB1162_29
; %bb.28:
	v_add_nc_u32_e32 v1, s22, v10
	v_add_nc_u32_e32 v2, s42, v10
	s_delay_alu instid0(VALU_DEP_2) | instskip(NEXT) | instid1(VALU_DEP_2)
	v_mul_lo_u32 v1, v1, s21
	v_mul_lo_u32 v2, v2, s23
	s_delay_alu instid0(VALU_DEP_1) | instskip(NEXT) | instid1(VALU_DEP_1)
	v_sub_nc_u32_e32 v1, v1, v2
	v_cmp_lt_u32_e64 s12, s43, v1
	s_and_b32 s54, s12, exec_lo
.LBB1162_29:
	s_or_b32 exec_lo, exec_lo, s14
	v_add_nc_u32_e32 v1, s17, v40
	v_add_nc_u32_e32 v2, s19, v40
	s_mov_b32 s51, 0
	s_mov_b32 s56, 0
	s_mov_b32 s57, exec_lo
	v_mul_lo_u32 v1, v1, s16
	v_mul_lo_u32 v2, v2, s18
	s_delay_alu instid0(VALU_DEP_1) | instskip(NEXT) | instid1(VALU_DEP_1)
	v_sub_nc_u32_e32 v1, v1, v2
	v_cmp_lt_u32_e64 s12, s20, v1
	v_cmpx_ge_u32_e64 s20, v1
	s_cbranch_execz .LBB1162_31
; %bb.30:
	v_add_nc_u32_e32 v1, s22, v40
	v_add_nc_u32_e32 v2, s42, v40
	s_delay_alu instid0(VALU_DEP_2) | instskip(NEXT) | instid1(VALU_DEP_2)
	v_mul_lo_u32 v1, v1, s21
	v_mul_lo_u32 v2, v2, s23
	s_delay_alu instid0(VALU_DEP_1) | instskip(NEXT) | instid1(VALU_DEP_1)
	v_sub_nc_u32_e32 v1, v1, v2
	v_cmp_lt_u32_e64 s14, s43, v1
	s_and_b32 s56, s14, exec_lo
.LBB1162_31:
	s_or_b32 exec_lo, exec_lo, s57
	v_cndmask_b32_e64 v2, 0, 1, s2
	s_wait_alu 0xf1ff
	v_cndmask_b32_e64 v4, 0, 1, s4
	s_wait_alu 0xfffd
	v_cndmask_b32_e64 v1, 0, 1, vcc_lo
	v_cndmask_b32_e64 v3, 0, 1, s3
	v_cndmask_b32_e64 v6, 0, 1, s6
	v_lshlrev_b16 v2, 8, v2
	v_lshlrev_b16 v4, 8, v4
	v_cndmask_b32_e64 v8, 0, 1, s8
	v_cndmask_b32_e64 v22, 0, 1, s10
	;; [unrolled: 1-line block ×3, first 2 shown]
	v_or_b32_e32 v1, v1, v2
	v_or_b32_e32 v2, v3, v4
	v_cndmask_b32_e64 v51, 0, 1, s41
	v_cndmask_b32_e64 v5, 0, 1, s5
	;; [unrolled: 1-line block ×3, first 2 shown]
	v_and_b32_e32 v1, 0xffff, v1
	v_lshlrev_b32_e32 v2, 16, v2
	v_cndmask_b32_e64 v21, 0, 1, s9
	v_cndmask_b32_e64 v23, 0, 1, s11
	;; [unrolled: 1-line block ×8, first 2 shown]
	v_or_b32_e32 v42, v1, v2
	v_lshlrev_b16 v1, 8, v6
	v_lshlrev_b16 v2, 8, v8
	;; [unrolled: 1-line block ×5, first 2 shown]
	v_cndmask_b32_e64 v26, 0, 1, s53
	v_cndmask_b32_e64 v44, 0, 1, s50
	;; [unrolled: 1-line block ×5, first 2 shown]
	v_or_b32_e32 v1, v5, v1
	v_or_b32_e32 v2, v7, v2
	;; [unrolled: 1-line block ×5, first 2 shown]
	v_lshlrev_b16 v4, 8, v4
	v_lshlrev_b16 v8, 8, v49
	;; [unrolled: 1-line block ×5, first 2 shown]
	v_or_b32_e32 v4, v50, v4
	v_or_b32_e32 v3, v3, v8
	;; [unrolled: 1-line block ×5, first 2 shown]
	v_and_b32_e32 v1, 0xffff, v1
	v_lshlrev_b32_e32 v2, 16, v2
	v_and_b32_e32 v5, 0xffff, v5
	v_lshlrev_b32_e32 v6, 16, v6
	;; [unrolled: 2-line block ×5, first 2 shown]
	v_cndmask_b32_e64 v45, 0, 1, s54
	v_cndmask_b32_e64 v48, 0, 1, s56
	v_or_b32_e32 v44, v1, v2
	v_or_b32_e32 v47, v5, v6
	;; [unrolled: 1-line block ×5, first 2 shown]
	s_load_b64 s[4:5], s[0:1], 0x78
	s_and_b32 vcc_lo, exec_lo, s51
	s_wait_alu 0xfffe
	s_cbranch_vccnz .LBB1162_33
	s_branch .LBB1162_110
.LBB1162_32:
                                        ; implicit-def: $vgpr48
                                        ; implicit-def: $vgpr45
                                        ; implicit-def: $vgpr46
                                        ; implicit-def: $vgpr43
                                        ; implicit-def: $vgpr49
                                        ; implicit-def: $vgpr47
                                        ; implicit-def: $vgpr44
                                        ; implicit-def: $vgpr42
	s_load_b64 s[4:5], s[0:1], 0x78
	s_cbranch_execz .LBB1162_110
.LBB1162_33:
	v_dual_mov_b32 v2, 0 :: v_dual_mov_b32 v1, 0
	s_mov_b32 s1, exec_lo
	v_cmpx_gt_u32_e64 s33, v41
	s_cbranch_execz .LBB1162_37
; %bb.34:
	v_add_nc_u32_e32 v1, s17, v19
	v_add_nc_u32_e32 v2, s19, v19
	s_mov_b32 s3, 0
	s_mov_b32 s2, exec_lo
	s_delay_alu instid0(VALU_DEP_2) | instskip(NEXT) | instid1(VALU_DEP_2)
	v_mul_lo_u32 v1, v1, s16
	v_mul_lo_u32 v2, v2, s18
	s_delay_alu instid0(VALU_DEP_1) | instskip(NEXT) | instid1(VALU_DEP_1)
	v_sub_nc_u32_e32 v1, v1, v2
	v_cmp_lt_u32_e32 vcc_lo, s20, v1
	v_cmpx_ge_u32_e64 s20, v1
	s_cbranch_execz .LBB1162_36
; %bb.35:
	v_add_nc_u32_e32 v1, s22, v19
	v_add_nc_u32_e32 v2, s42, v19
	s_delay_alu instid0(VALU_DEP_2) | instskip(NEXT) | instid1(VALU_DEP_2)
	v_mul_lo_u32 v1, v1, s21
	v_mul_lo_u32 v2, v2, s23
	s_delay_alu instid0(VALU_DEP_1) | instskip(NEXT) | instid1(VALU_DEP_1)
	v_sub_nc_u32_e32 v1, v1, v2
	v_cmp_lt_u32_e64 s0, s43, v1
	s_and_b32 s3, s0, exec_lo
.LBB1162_36:
	s_wait_alu 0xfffe
	s_or_b32 exec_lo, exec_lo, s2
	v_cndmask_b32_e64 v2, 0, 1, s3
	s_wait_alu 0xfffd
	v_cndmask_b32_e64 v1, 0, 1, vcc_lo
.LBB1162_37:
	s_or_b32 exec_lo, exec_lo, s1
	s_delay_alu instid0(VALU_DEP_2) | instskip(SKIP_1) | instid1(VALU_DEP_3)
	v_lshlrev_b16 v2, 8, v2
	v_add_nc_u32_e32 v3, 1, v41
	v_and_b32_e32 v6, 0xff, v1
	v_lshlrev_b16 v1, 8, 0
                                        ; implicit-def: $vgpr5
                                        ; implicit-def: $vgpr8
                                        ; implicit-def: $vgpr4
	s_delay_alu instid0(VALU_DEP_4) | instskip(NEXT) | instid1(VALU_DEP_4)
	v_and_b32_e32 v2, 0xffff, v2
	v_cmp_le_u32_e32 vcc_lo, s33, v3
                                        ; implicit-def: $vgpr3
	s_delay_alu instid0(VALU_DEP_2) | instskip(SKIP_2) | instid1(SALU_CYCLE_1)
	v_lshrrev_b32_e32 v21, 8, v2
	v_and_b32_e32 v7, 0xff, v2
                                        ; implicit-def: $vgpr2
	s_and_saveexec_b32 s0, vcc_lo
	s_xor_b32 s0, exec_lo, s0
	s_cbranch_execz .LBB1162_39
; %bb.38:
	v_lshlrev_b16 v2, 8, v21
	v_and_b32_e32 v4, 0xffff, v1
                                        ; implicit-def: $vgpr21
	v_mov_b32_e32 v5, 0
	s_delay_alu instid0(VALU_DEP_3) | instskip(SKIP_1) | instid1(VALU_DEP_2)
	v_or_b32_e32 v3, v7, v2
	v_mov_b32_e32 v2, 0
                                        ; implicit-def: $vgpr7
	v_and_b32_e32 v8, 0xffff, v3
	v_and_b32_e32 v3, 0xffff, v1
                                        ; implicit-def: $vgpr1
.LBB1162_39:
	s_and_not1_saveexec_b32 s1, s0
	s_cbranch_execz .LBB1162_43
; %bb.40:
	v_add_nc_u32_e32 v2, s17, v20
	v_add_nc_u32_e32 v3, s19, v20
	s_mov_b32 s2, 0
	s_mov_b32 s3, exec_lo
	s_delay_alu instid0(VALU_DEP_2) | instskip(NEXT) | instid1(VALU_DEP_2)
	v_mul_lo_u32 v2, v2, s16
	v_mul_lo_u32 v3, v3, s18
	s_delay_alu instid0(VALU_DEP_1) | instskip(NEXT) | instid1(VALU_DEP_1)
	v_sub_nc_u32_e32 v2, v2, v3
	v_cmp_lt_u32_e32 vcc_lo, s20, v2
	v_cmpx_ge_u32_e64 s20, v2
	s_cbranch_execz .LBB1162_42
; %bb.41:
	v_add_nc_u32_e32 v2, s22, v20
	v_add_nc_u32_e32 v3, s42, v20
	s_delay_alu instid0(VALU_DEP_2) | instskip(NEXT) | instid1(VALU_DEP_2)
	v_mul_lo_u32 v2, v2, s21
	v_mul_lo_u32 v3, v3, s23
	s_delay_alu instid0(VALU_DEP_1) | instskip(NEXT) | instid1(VALU_DEP_1)
	v_sub_nc_u32_e32 v2, v2, v3
	v_cmp_lt_u32_e64 s0, s43, v2
	s_and_b32 s2, s0, exec_lo
.LBB1162_42:
	s_wait_alu 0xfffe
	s_or_b32 exec_lo, exec_lo, s3
	s_wait_alu 0xfffd
	v_cndmask_b32_e64 v2, 0, 1, vcc_lo
	v_lshlrev_b16 v3, 8, v21
	v_dual_mov_b32 v5, 0 :: v_dual_and_b32 v4, 0xffff, v1
	s_delay_alu instid0(VALU_DEP_3) | instskip(NEXT) | instid1(VALU_DEP_3)
	v_lshlrev_b16 v2, 8, v2
	v_or_b32_e32 v3, v7, v3
	v_cndmask_b32_e64 v7, 0, 1, s2
	s_delay_alu instid0(VALU_DEP_3) | instskip(NEXT) | instid1(VALU_DEP_3)
	v_or_b32_e32 v6, v6, v2
	v_dual_mov_b32 v2, 0 :: v_dual_and_b32 v3, 0xffff, v3
	s_delay_alu instid0(VALU_DEP_2) | instskip(NEXT) | instid1(VALU_DEP_2)
	v_and_b32_e32 v6, 0xffff, v6
	v_lshl_or_b32 v8, v7, 16, v3
	v_and_b32_e32 v3, 0xffff, v1
.LBB1162_43:
	s_or_b32 exec_lo, exec_lo, s1
	v_add_nc_u32_e32 v1, 2, v41
	v_and_b32_e32 v21, 0xff, v6
	v_lshrrev_b32_e32 v22, 8, v6
                                        ; implicit-def: $vgpr7
	s_delay_alu instid0(VALU_DEP_3) | instskip(SKIP_1) | instid1(SALU_CYCLE_1)
	v_cmp_le_u32_e32 vcc_lo, s33, v1
                                        ; implicit-def: $vgpr1
	s_and_saveexec_b32 s0, vcc_lo
	s_xor_b32 s0, exec_lo, s0
	s_cbranch_execz .LBB1162_45
; %bb.44:
	v_lshlrev_b16 v1, 8, v22
	v_perm_b32 v4, v4, v4, 0x3060504
                                        ; implicit-def: $vgpr22
	s_delay_alu instid0(VALU_DEP_2) | instskip(SKIP_1) | instid1(VALU_DEP_2)
	v_or_b32_e32 v1, v21, v1
	v_and_b32_e32 v21, 0xff0000, v8
	v_and_b32_e32 v1, 0xffff, v1
	s_delay_alu instid0(VALU_DEP_1) | instskip(NEXT) | instid1(VALU_DEP_3)
	v_and_or_b32 v7, 0xff000000, v6, v1
	v_perm_b32 v1, v8, v21, 0x3020504
                                        ; implicit-def: $vgpr21
                                        ; implicit-def: $vgpr6
                                        ; implicit-def: $vgpr8
.LBB1162_45:
	s_and_not1_saveexec_b32 s1, s0
	s_cbranch_execz .LBB1162_49
; %bb.46:
	v_add_nc_u32_e32 v1, s17, v17
	v_add_nc_u32_e32 v7, s19, v17
	s_mov_b32 s2, 0
	s_mov_b32 s3, exec_lo
	s_delay_alu instid0(VALU_DEP_2) | instskip(NEXT) | instid1(VALU_DEP_2)
	v_mul_lo_u32 v1, v1, s16
	v_mul_lo_u32 v7, v7, s18
	s_delay_alu instid0(VALU_DEP_1) | instskip(NEXT) | instid1(VALU_DEP_1)
	v_sub_nc_u32_e32 v1, v1, v7
	v_cmp_lt_u32_e32 vcc_lo, s20, v1
	v_cmpx_ge_u32_e64 s20, v1
	s_cbranch_execz .LBB1162_48
; %bb.47:
	v_add_nc_u32_e32 v1, s22, v17
	v_add_nc_u32_e32 v7, s42, v17
	s_delay_alu instid0(VALU_DEP_2) | instskip(NEXT) | instid1(VALU_DEP_2)
	v_mul_lo_u32 v1, v1, s21
	v_mul_lo_u32 v7, v7, s23
	s_delay_alu instid0(VALU_DEP_1) | instskip(NEXT) | instid1(VALU_DEP_1)
	v_sub_nc_u32_e32 v1, v1, v7
	v_cmp_lt_u32_e64 s0, s43, v1
	s_and_b32 s2, s0, exec_lo
.LBB1162_48:
	s_wait_alu 0xfffe
	s_or_b32 exec_lo, exec_lo, s3
	v_lshrrev_b32_e32 v6, 24, v6
	v_cndmask_b32_e64 v7, 0, 1, s2
	v_lshrrev_b32_e32 v23, 8, v8
	v_lshrrev_b32_e32 v24, 16, v8
	s_wait_alu 0xfffd
	v_cndmask_b32_e64 v1, 0, 1, vcc_lo
	v_lshlrev_b16 v22, 8, v22
	v_lshlrev_b16 v6, 8, v6
	v_and_b32_e32 v8, 0xff, v8
	v_lshlrev_b16 v23, 8, v23
	v_lshlrev_b16 v7, 8, v7
	v_and_b32_e32 v24, 0xff, v24
	v_or_b32_e32 v21, v21, v22
	v_or_b32_e32 v1, v1, v6
	;; [unrolled: 1-line block ×3, first 2 shown]
	s_delay_alu instid0(VALU_DEP_4) | instskip(NEXT) | instid1(VALU_DEP_4)
	v_or_b32_e32 v7, v24, v7
	v_and_b32_e32 v8, 0xffff, v21
	s_delay_alu instid0(VALU_DEP_4) | instskip(NEXT) | instid1(VALU_DEP_4)
	v_lshlrev_b32_e32 v1, 16, v1
	v_and_b32_e32 v6, 0xffff, v6
	s_delay_alu instid0(VALU_DEP_4) | instskip(NEXT) | instid1(VALU_DEP_3)
	v_lshlrev_b32_e32 v21, 16, v7
	v_or_b32_e32 v7, v8, v1
	s_delay_alu instid0(VALU_DEP_2)
	v_or_b32_e32 v1, v6, v21
.LBB1162_49:
	s_or_b32 exec_lo, exec_lo, s1
	v_add_nc_u32_e32 v6, 3, v41
	v_lshrrev_b32_e32 v8, 24, v5
	v_lshrrev_b32_e32 v21, 16, v5
	;; [unrolled: 1-line block ×3, first 2 shown]
                                        ; implicit-def: $vgpr42
	s_delay_alu instid0(VALU_DEP_4) | instskip(SKIP_1) | instid1(SALU_CYCLE_1)
	v_cmp_le_u32_e32 vcc_lo, s33, v6
                                        ; implicit-def: $vgpr6
	s_and_saveexec_b32 s0, vcc_lo
	s_xor_b32 s0, exec_lo, s0
	s_cbranch_execz .LBB1162_51
; %bb.50:
	v_lshlrev_b16 v6, 8, v8
	v_and_b32_e32 v8, 0xff, v21
	v_lshlrev_b16 v5, 8, v5
	v_perm_b32 v4, v4, v4, 0x3060504
	v_perm_b32 v3, v3, v3, 0x3060504
                                        ; implicit-def: $vgpr21
	s_delay_alu instid0(VALU_DEP_4) | instskip(SKIP_2) | instid1(VALU_DEP_3)
	v_or_b32_e32 v6, v8, v6
	v_and_b32_e32 v8, 0xff0000, v7
	v_and_b32_e32 v5, 0xffff, v5
	v_lshlrev_b32_e32 v6, 16, v6
	s_delay_alu instid0(VALU_DEP_3) | instskip(NEXT) | instid1(VALU_DEP_2)
	v_perm_b32 v42, v7, v8, 0x3020504
                                        ; implicit-def: $vgpr7
                                        ; implicit-def: $vgpr8
	v_or_b32_e32 v6, v5, v6
                                        ; implicit-def: $vgpr5
.LBB1162_51:
	s_and_not1_saveexec_b32 s1, s0
	s_cbranch_execz .LBB1162_55
; %bb.52:
	v_add_nc_u32_e32 v6, s17, v18
	v_add_nc_u32_e32 v22, s19, v18
	s_mov_b32 s2, 0
	s_mov_b32 s3, exec_lo
	s_delay_alu instid0(VALU_DEP_2) | instskip(NEXT) | instid1(VALU_DEP_2)
	v_mul_lo_u32 v6, v6, s16
	v_mul_lo_u32 v22, v22, s18
	s_delay_alu instid0(VALU_DEP_1) | instskip(NEXT) | instid1(VALU_DEP_1)
	v_sub_nc_u32_e32 v6, v6, v22
	v_cmp_lt_u32_e32 vcc_lo, s20, v6
	v_cmpx_ge_u32_e64 s20, v6
	s_cbranch_execz .LBB1162_54
; %bb.53:
	v_add_nc_u32_e32 v6, s22, v18
	v_add_nc_u32_e32 v22, s42, v18
	s_delay_alu instid0(VALU_DEP_2) | instskip(NEXT) | instid1(VALU_DEP_2)
	v_mul_lo_u32 v6, v6, s21
	v_mul_lo_u32 v22, v22, s23
	s_delay_alu instid0(VALU_DEP_1) | instskip(NEXT) | instid1(VALU_DEP_1)
	v_sub_nc_u32_e32 v6, v6, v22
	v_cmp_lt_u32_e64 s0, s43, v6
	s_and_b32 s2, s0, exec_lo
.LBB1162_54:
	s_wait_alu 0xfffe
	s_or_b32 exec_lo, exec_lo, s3
	v_lshrrev_b32_e32 v6, 8, v7
	s_wait_alu 0xfffd
	v_cndmask_b32_e64 v22, 0, 1, vcc_lo
	v_lshrrev_b32_e32 v23, 16, v7
	v_cndmask_b32_e64 v24, 0, 1, s2
	v_and_b32_e32 v7, 0xff, v7
	v_lshlrev_b16 v6, 8, v6
	v_lshlrev_b16 v22, 8, v22
	v_and_b32_e32 v23, 0xff, v23
	v_lshlrev_b16 v8, 8, v8
	v_and_b32_e32 v21, 0xff, v21
	v_lshlrev_b16 v5, 8, v5
	v_or_b32_e32 v6, v7, v6
	v_or_b32_e32 v7, v23, v22
	s_delay_alu instid0(VALU_DEP_4) | instskip(NEXT) | instid1(VALU_DEP_4)
	v_or_b32_e32 v8, v21, v8
	v_or_b32_e32 v5, v24, v5
	s_delay_alu instid0(VALU_DEP_4) | instskip(NEXT) | instid1(VALU_DEP_4)
	v_and_b32_e32 v6, 0xffff, v6
	v_lshlrev_b32_e32 v7, 16, v7
	s_delay_alu instid0(VALU_DEP_4) | instskip(NEXT) | instid1(VALU_DEP_4)
	v_lshlrev_b32_e32 v8, 16, v8
	v_and_b32_e32 v5, 0xffff, v5
	s_delay_alu instid0(VALU_DEP_3) | instskip(NEXT) | instid1(VALU_DEP_2)
	v_or_b32_e32 v42, v6, v7
	v_or_b32_e32 v6, v5, v8
.LBB1162_55:
	s_or_b32 exec_lo, exec_lo, s1
	v_add_nc_u32_e32 v5, 4, v41
	v_lshrrev_b32_e32 v21, 8, v4
	v_lshrrev_b32_e32 v22, 16, v4
	;; [unrolled: 1-line block ×4, first 2 shown]
	v_cmp_le_u32_e32 vcc_lo, s33, v5
	v_lshrrev_b32_e32 v8, 16, v6
                                        ; implicit-def: $vgpr4
                                        ; implicit-def: $vgpr5
	s_and_saveexec_b32 s0, vcc_lo
	s_delay_alu instid0(SALU_CYCLE_1)
	s_xor_b32 s0, exec_lo, s0
	s_cbranch_execz .LBB1162_57
; %bb.56:
	v_lshlrev_b16 v4, 8, v23
	v_and_b32_e32 v5, 0xff, v22
	v_lshlrev_b16 v21, 8, v21
	v_lshlrev_b16 v7, 8, v7
	v_and_b32_e32 v8, 0xff, v8
	v_perm_b32 v3, v3, v3, 0x3060504
	v_or_b32_e32 v4, v5, v4
	v_and_b32_e32 v5, 0xffff, v21
                                        ; implicit-def: $vgpr21
                                        ; implicit-def: $vgpr22
                                        ; implicit-def: $vgpr23
	s_delay_alu instid0(VALU_DEP_4) | instskip(NEXT) | instid1(VALU_DEP_3)
	v_or_b32_e32 v7, v8, v7
	v_lshlrev_b32_e32 v8, 16, v4
	s_delay_alu instid0(VALU_DEP_2) | instskip(NEXT) | instid1(VALU_DEP_2)
	v_perm_b32 v4, v7, v6, 0x5040c00
                                        ; implicit-def: $vgpr6
                                        ; implicit-def: $vgpr7
	v_or_b32_e32 v5, v5, v8
                                        ; implicit-def: $vgpr8
.LBB1162_57:
	s_and_not1_saveexec_b32 s1, s0
	s_cbranch_execz .LBB1162_61
; %bb.58:
	v_add_nc_u32_e32 v4, s17, v15
	v_add_nc_u32_e32 v5, s19, v15
	s_mov_b32 s2, 0
	s_mov_b32 s3, exec_lo
	s_delay_alu instid0(VALU_DEP_2) | instskip(NEXT) | instid1(VALU_DEP_2)
	v_mul_lo_u32 v4, v4, s16
	v_mul_lo_u32 v5, v5, s18
	s_delay_alu instid0(VALU_DEP_1) | instskip(NEXT) | instid1(VALU_DEP_1)
	v_sub_nc_u32_e32 v4, v4, v5
	v_cmp_lt_u32_e32 vcc_lo, s20, v4
	v_cmpx_ge_u32_e64 s20, v4
	s_cbranch_execz .LBB1162_60
; %bb.59:
	v_add_nc_u32_e32 v4, s22, v15
	v_add_nc_u32_e32 v5, s42, v15
	s_delay_alu instid0(VALU_DEP_2) | instskip(NEXT) | instid1(VALU_DEP_2)
	v_mul_lo_u32 v4, v4, s21
	v_mul_lo_u32 v5, v5, s23
	s_delay_alu instid0(VALU_DEP_1) | instskip(NEXT) | instid1(VALU_DEP_1)
	v_sub_nc_u32_e32 v4, v4, v5
	v_cmp_lt_u32_e64 s0, s43, v4
	s_and_b32 s2, s0, exec_lo
.LBB1162_60:
	s_wait_alu 0xfffe
	s_or_b32 exec_lo, exec_lo, s3
	v_cndmask_b32_e64 v4, 0, 1, s2
	s_wait_alu 0xfffd
	v_cndmask_b32_e64 v5, 0, 1, vcc_lo
	v_lshlrev_b16 v23, 8, v23
	v_and_b32_e32 v22, 0xff, v22
	v_lshlrev_b16 v21, 8, v21
	v_lshlrev_b16 v4, 8, v4
	v_and_b32_e32 v6, 0xff, v6
	v_lshlrev_b16 v7, 8, v7
	v_and_b32_e32 v8, 0xff, v8
	v_or_b32_e32 v22, v22, v23
	v_or_b32_e32 v5, v5, v21
	;; [unrolled: 1-line block ×3, first 2 shown]
	s_delay_alu instid0(VALU_DEP_4) | instskip(NEXT) | instid1(VALU_DEP_4)
	v_or_b32_e32 v6, v8, v7
	v_lshlrev_b32_e32 v7, 16, v22
	s_delay_alu instid0(VALU_DEP_4) | instskip(NEXT) | instid1(VALU_DEP_4)
	v_and_b32_e32 v5, 0xffff, v5
	v_and_b32_e32 v4, 0xffff, v4
	s_delay_alu instid0(VALU_DEP_4) | instskip(NEXT) | instid1(VALU_DEP_3)
	v_lshlrev_b32_e32 v6, 16, v6
	v_or_b32_e32 v5, v5, v7
	s_delay_alu instid0(VALU_DEP_2)
	v_or_b32_e32 v4, v4, v6
.LBB1162_61:
	s_or_b32 exec_lo, exec_lo, s1
	v_add_nc_u32_e32 v6, 5, v41
	s_delay_alu instid0(VALU_DEP_2)
	v_lshrrev_b32_e32 v21, 16, v5
	v_lshrrev_b32_e32 v23, 24, v5
	v_and_b32_e32 v8, 0xff, v4
	v_lshrrev_b32_e32 v22, 8, v4
	v_cmp_le_u32_e32 vcc_lo, s33, v6
                                        ; implicit-def: $vgpr6
                                        ; implicit-def: $vgpr7
	s_and_saveexec_b32 s0, vcc_lo
	s_delay_alu instid0(SALU_CYCLE_1)
	s_xor_b32 s0, exec_lo, s0
	s_cbranch_execz .LBB1162_63
; %bb.62:
	v_lshlrev_b16 v6, 8, v22
	v_lshlrev_b16 v7, 8, v23
	v_and_b32_e32 v21, 0xff, v21
	v_perm_b32 v3, v3, v3, 0x3060504
                                        ; implicit-def: $vgpr23
                                        ; implicit-def: $vgpr22
	s_delay_alu instid0(VALU_DEP_4) | instskip(NEXT) | instid1(VALU_DEP_3)
	v_or_b32_e32 v6, v8, v6
                                        ; implicit-def: $vgpr8
	v_or_b32_e32 v7, v21, v7
                                        ; implicit-def: $vgpr21
	s_delay_alu instid0(VALU_DEP_2) | instskip(NEXT) | instid1(VALU_DEP_2)
	v_and_b32_e32 v6, 0xffff, v6
	v_perm_b32 v7, v7, v5, 0x5040c00
                                        ; implicit-def: $vgpr5
	s_delay_alu instid0(VALU_DEP_2)
	v_and_or_b32 v6, 0xff000000, v4, v6
                                        ; implicit-def: $vgpr4
.LBB1162_63:
	s_and_not1_saveexec_b32 s1, s0
	s_cbranch_execz .LBB1162_67
; %bb.64:
	v_add_nc_u32_e32 v6, s17, v16
	v_add_nc_u32_e32 v7, s19, v16
	s_mov_b32 s2, 0
	s_mov_b32 s3, exec_lo
	s_delay_alu instid0(VALU_DEP_2) | instskip(NEXT) | instid1(VALU_DEP_2)
	v_mul_lo_u32 v6, v6, s16
	v_mul_lo_u32 v7, v7, s18
	s_delay_alu instid0(VALU_DEP_1) | instskip(NEXT) | instid1(VALU_DEP_1)
	v_sub_nc_u32_e32 v6, v6, v7
	v_cmp_lt_u32_e32 vcc_lo, s20, v6
	v_cmpx_ge_u32_e64 s20, v6
	s_cbranch_execz .LBB1162_66
; %bb.65:
	v_add_nc_u32_e32 v6, s22, v16
	v_add_nc_u32_e32 v7, s42, v16
	s_delay_alu instid0(VALU_DEP_2) | instskip(NEXT) | instid1(VALU_DEP_2)
	v_mul_lo_u32 v6, v6, s21
	v_mul_lo_u32 v7, v7, s23
	s_delay_alu instid0(VALU_DEP_1) | instskip(NEXT) | instid1(VALU_DEP_1)
	v_sub_nc_u32_e32 v6, v6, v7
	v_cmp_lt_u32_e64 s0, s43, v6
	s_and_b32 s2, s0, exec_lo
.LBB1162_66:
	s_wait_alu 0xfffe
	s_or_b32 exec_lo, exec_lo, s3
	s_wait_alu 0xfffd
	v_cndmask_b32_e64 v6, 0, 1, vcc_lo
	v_lshrrev_b32_e32 v4, 24, v4
	v_cndmask_b32_e64 v7, 0, 1, s2
	v_lshlrev_b16 v23, 8, v23
	v_and_b32_e32 v21, 0xff, v21
	v_lshlrev_b16 v6, 8, v6
	v_lshlrev_b16 v22, 8, v22
	v_and_b32_e32 v5, 0xff, v5
	v_lshlrev_b16 v4, 8, v4
	v_or_b32_e32 v21, v21, v23
	s_delay_alu instid0(VALU_DEP_4) | instskip(NEXT) | instid1(VALU_DEP_4)
	v_or_b32_e32 v8, v8, v22
	v_or_b32_e32 v5, v5, v6
	s_delay_alu instid0(VALU_DEP_4) | instskip(NEXT) | instid1(VALU_DEP_4)
	v_or_b32_e32 v4, v7, v4
	v_lshlrev_b32_e32 v6, 16, v21
	s_delay_alu instid0(VALU_DEP_4) | instskip(NEXT) | instid1(VALU_DEP_4)
	v_and_b32_e32 v8, 0xffff, v8
	v_and_b32_e32 v5, 0xffff, v5
	s_delay_alu instid0(VALU_DEP_4) | instskip(NEXT) | instid1(VALU_DEP_2)
	v_lshlrev_b32_e32 v4, 16, v4
	v_or_b32_e32 v7, v5, v6
	s_delay_alu instid0(VALU_DEP_2)
	v_or_b32_e32 v6, v8, v4
.LBB1162_67:
	s_or_b32 exec_lo, exec_lo, s1
	v_add_nc_u32_e32 v4, 6, v41
	s_delay_alu instid0(VALU_DEP_3) | instskip(NEXT) | instid1(VALU_DEP_2)
	v_lshrrev_b32_e32 v8, 8, v7
                                        ; implicit-def: $vgpr43
                                        ; implicit-def: $vgpr5
	v_cmp_le_u32_e32 vcc_lo, s33, v4
	v_and_b32_e32 v4, 0xff, v7
	s_and_saveexec_b32 s0, vcc_lo
	s_delay_alu instid0(SALU_CYCLE_1)
	s_xor_b32 s0, exec_lo, s0
	s_cbranch_execz .LBB1162_69
; %bb.68:
	v_lshlrev_b16 v5, 8, v8
	v_perm_b32 v3, v3, v3, 0x3060504
                                        ; implicit-def: $vgpr8
	s_delay_alu instid0(VALU_DEP_2) | instskip(SKIP_1) | instid1(VALU_DEP_2)
	v_or_b32_e32 v4, v4, v5
	v_and_b32_e32 v5, 0xff0000, v6
	v_and_b32_e32 v4, 0xffff, v4
	s_delay_alu instid0(VALU_DEP_2) | instskip(NEXT) | instid1(VALU_DEP_2)
	v_perm_b32 v43, v6, v5, 0x3020504
                                        ; implicit-def: $vgpr6
	v_and_or_b32 v5, 0xff000000, v7, v4
                                        ; implicit-def: $vgpr4
                                        ; implicit-def: $vgpr7
.LBB1162_69:
	s_and_not1_saveexec_b32 s1, s0
	s_cbranch_execz .LBB1162_73
; %bb.70:
	v_add_nc_u32_e32 v5, s17, v13
	v_add_nc_u32_e32 v21, s19, v13
	s_mov_b32 s2, 0
	s_mov_b32 s3, exec_lo
	s_delay_alu instid0(VALU_DEP_2) | instskip(NEXT) | instid1(VALU_DEP_2)
	v_mul_lo_u32 v5, v5, s16
	v_mul_lo_u32 v21, v21, s18
	s_delay_alu instid0(VALU_DEP_1) | instskip(NEXT) | instid1(VALU_DEP_1)
	v_sub_nc_u32_e32 v5, v5, v21
	v_cmp_lt_u32_e32 vcc_lo, s20, v5
	v_cmpx_ge_u32_e64 s20, v5
	s_cbranch_execz .LBB1162_72
; %bb.71:
	v_add_nc_u32_e32 v5, s22, v13
	v_add_nc_u32_e32 v21, s42, v13
	s_delay_alu instid0(VALU_DEP_2) | instskip(NEXT) | instid1(VALU_DEP_2)
	v_mul_lo_u32 v5, v5, s21
	v_mul_lo_u32 v21, v21, s23
	s_delay_alu instid0(VALU_DEP_1) | instskip(NEXT) | instid1(VALU_DEP_1)
	v_sub_nc_u32_e32 v5, v5, v21
	v_cmp_lt_u32_e64 s0, s43, v5
	s_and_b32 s2, s0, exec_lo
.LBB1162_72:
	s_wait_alu 0xfffe
	s_or_b32 exec_lo, exec_lo, s3
	v_lshrrev_b32_e32 v7, 24, v7
	v_cndmask_b32_e64 v21, 0, 1, s2
	v_lshrrev_b32_e32 v22, 8, v6
	v_lshrrev_b32_e32 v23, 16, v6
	s_wait_alu 0xfffd
	v_cndmask_b32_e64 v5, 0, 1, vcc_lo
	v_lshlrev_b16 v8, 8, v8
	v_lshlrev_b16 v7, 8, v7
	v_and_b32_e32 v6, 0xff, v6
	v_lshlrev_b16 v22, 8, v22
	v_lshlrev_b16 v21, 8, v21
	v_and_b32_e32 v23, 0xff, v23
	v_or_b32_e32 v4, v4, v8
	v_or_b32_e32 v5, v5, v7
	;; [unrolled: 1-line block ×3, first 2 shown]
	s_delay_alu instid0(VALU_DEP_4) | instskip(NEXT) | instid1(VALU_DEP_4)
	v_or_b32_e32 v7, v23, v21
	v_and_b32_e32 v4, 0xffff, v4
	s_delay_alu instid0(VALU_DEP_4) | instskip(NEXT) | instid1(VALU_DEP_4)
	v_lshlrev_b32_e32 v5, 16, v5
	v_and_b32_e32 v6, 0xffff, v6
	s_delay_alu instid0(VALU_DEP_4) | instskip(NEXT) | instid1(VALU_DEP_3)
	v_lshlrev_b32_e32 v7, 16, v7
	v_or_b32_e32 v5, v4, v5
	s_delay_alu instid0(VALU_DEP_2)
	v_or_b32_e32 v43, v6, v7
.LBB1162_73:
	s_or_b32 exec_lo, exec_lo, s1
	v_add_nc_u32_e32 v4, 7, v41
	v_lshrrev_b32_e32 v6, 8, v3
	v_lshrrev_b32_e32 v7, 16, v3
	;; [unrolled: 1-line block ×3, first 2 shown]
                                        ; implicit-def: $vgpr44
	s_delay_alu instid0(VALU_DEP_4) | instskip(SKIP_1) | instid1(SALU_CYCLE_1)
	v_cmp_le_u32_e32 vcc_lo, s33, v4
                                        ; implicit-def: $vgpr4
	s_and_saveexec_b32 s0, vcc_lo
	s_xor_b32 s0, exec_lo, s0
	s_cbranch_execz .LBB1162_75
; %bb.74:
	v_lshlrev_b16 v3, 8, v3
	v_and_b32_e32 v4, 0xff, v7
                                        ; implicit-def: $vgpr7
	s_delay_alu instid0(VALU_DEP_1) | instskip(SKIP_2) | instid1(VALU_DEP_3)
	v_or_b32_e32 v3, v4, v3
	v_lshlrev_b16 v4, 8, v6
	v_and_b32_e32 v6, 0xff0000, v5
	v_lshlrev_b32_e32 v3, 16, v3
	s_delay_alu instid0(VALU_DEP_3) | instskip(NEXT) | instid1(VALU_DEP_3)
	v_and_b32_e32 v4, 0xffff, v4
	v_perm_b32 v44, v5, v6, 0x3020504
                                        ; implicit-def: $vgpr5
                                        ; implicit-def: $vgpr6
	s_delay_alu instid0(VALU_DEP_2)
	v_or_b32_e32 v4, v4, v3
                                        ; implicit-def: $vgpr3
.LBB1162_75:
	s_and_not1_saveexec_b32 s1, s0
	s_cbranch_execz .LBB1162_79
; %bb.76:
	v_add_nc_u32_e32 v4, s17, v14
	v_add_nc_u32_e32 v8, s19, v14
	s_mov_b32 s2, 0
	s_mov_b32 s3, exec_lo
	s_delay_alu instid0(VALU_DEP_2) | instskip(NEXT) | instid1(VALU_DEP_2)
	v_mul_lo_u32 v4, v4, s16
	v_mul_lo_u32 v8, v8, s18
	s_delay_alu instid0(VALU_DEP_1) | instskip(NEXT) | instid1(VALU_DEP_1)
	v_sub_nc_u32_e32 v4, v4, v8
	v_cmp_lt_u32_e32 vcc_lo, s20, v4
	v_cmpx_ge_u32_e64 s20, v4
	s_cbranch_execz .LBB1162_78
; %bb.77:
	v_add_nc_u32_e32 v4, s22, v14
	v_add_nc_u32_e32 v8, s42, v14
	s_delay_alu instid0(VALU_DEP_2) | instskip(NEXT) | instid1(VALU_DEP_2)
	v_mul_lo_u32 v4, v4, s21
	v_mul_lo_u32 v8, v8, s23
	s_delay_alu instid0(VALU_DEP_1) | instskip(NEXT) | instid1(VALU_DEP_1)
	v_sub_nc_u32_e32 v4, v4, v8
	v_cmp_lt_u32_e64 s0, s43, v4
	s_and_b32 s2, s0, exec_lo
.LBB1162_78:
	s_wait_alu 0xfffe
	s_or_b32 exec_lo, exec_lo, s3
	v_lshrrev_b32_e32 v4, 8, v5
	s_wait_alu 0xfffd
	v_cndmask_b32_e64 v8, 0, 1, vcc_lo
	v_lshrrev_b32_e32 v21, 16, v5
	v_cndmask_b32_e64 v22, 0, 1, s2
	v_and_b32_e32 v5, 0xff, v5
	v_lshlrev_b16 v4, 8, v4
	v_lshlrev_b16 v8, 8, v8
	v_and_b32_e32 v21, 0xff, v21
	v_lshlrev_b16 v3, 8, v3
	v_and_b32_e32 v7, 0xff, v7
	v_lshlrev_b16 v6, 8, v6
	v_or_b32_e32 v4, v5, v4
	v_or_b32_e32 v5, v21, v8
	s_delay_alu instid0(VALU_DEP_4) | instskip(NEXT) | instid1(VALU_DEP_4)
	v_or_b32_e32 v3, v7, v3
	v_or_b32_e32 v6, v22, v6
	s_delay_alu instid0(VALU_DEP_4) | instskip(NEXT) | instid1(VALU_DEP_4)
	v_and_b32_e32 v4, 0xffff, v4
	v_lshlrev_b32_e32 v5, 16, v5
	s_delay_alu instid0(VALU_DEP_4) | instskip(NEXT) | instid1(VALU_DEP_4)
	v_lshlrev_b32_e32 v3, 16, v3
	v_and_b32_e32 v6, 0xffff, v6
	s_delay_alu instid0(VALU_DEP_3) | instskip(NEXT) | instid1(VALU_DEP_2)
	v_or_b32_e32 v44, v4, v5
	v_or_b32_e32 v4, v6, v3
.LBB1162_79:
	s_or_b32 exec_lo, exec_lo, s1
	v_add_nc_u32_e32 v3, 8, v41
	s_delay_alu instid0(VALU_DEP_2)
	v_lshrrev_b32_e32 v5, 16, v4
	v_lshrrev_b32_e32 v6, 24, v4
	;; [unrolled: 1-line block ×4, first 2 shown]
	v_cmp_le_u32_e32 vcc_lo, s33, v3
	v_lshrrev_b32_e32 v7, 8, v2
                                        ; implicit-def: $vgpr2
                                        ; implicit-def: $vgpr3
	s_and_saveexec_b32 s0, vcc_lo
	s_delay_alu instid0(SALU_CYCLE_1)
	s_xor_b32 s0, exec_lo, s0
	s_cbranch_execz .LBB1162_81
; %bb.80:
	v_lshlrev_b16 v2, 8, v8
	v_and_b32_e32 v3, 0xff, v21
	v_lshlrev_b16 v7, 8, v7
	v_lshlrev_b16 v6, 8, v6
	v_perm_b32 v1, v1, v1, 0x3060504
                                        ; implicit-def: $vgpr8
                                        ; implicit-def: $vgpr21
	s_delay_alu instid0(VALU_DEP_4) | instskip(SKIP_2) | instid1(VALU_DEP_3)
	v_or_b32_e32 v2, v3, v2
	v_and_b32_e32 v3, 0xff, v5
	v_and_b32_e32 v5, 0xffff, v7
                                        ; implicit-def: $vgpr7
	v_lshlrev_b32_e32 v2, 16, v2
	s_delay_alu instid0(VALU_DEP_3) | instskip(NEXT) | instid1(VALU_DEP_2)
	v_or_b32_e32 v6, v3, v6
	v_or_b32_e32 v3, v5, v2
	s_delay_alu instid0(VALU_DEP_2)
	v_perm_b32 v2, v6, v4, 0x5040c00
                                        ; implicit-def: $vgpr4
                                        ; implicit-def: $vgpr5
                                        ; implicit-def: $vgpr6
.LBB1162_81:
	s_and_not1_saveexec_b32 s1, s0
	s_cbranch_execz .LBB1162_85
; %bb.82:
	v_add_nc_u32_e32 v2, s17, v11
	v_add_nc_u32_e32 v3, s19, v11
	s_mov_b32 s2, 0
	s_mov_b32 s3, exec_lo
	s_delay_alu instid0(VALU_DEP_2) | instskip(NEXT) | instid1(VALU_DEP_2)
	v_mul_lo_u32 v2, v2, s16
	v_mul_lo_u32 v3, v3, s18
	s_delay_alu instid0(VALU_DEP_1) | instskip(NEXT) | instid1(VALU_DEP_1)
	v_sub_nc_u32_e32 v2, v2, v3
	v_cmp_lt_u32_e32 vcc_lo, s20, v2
	v_cmpx_ge_u32_e64 s20, v2
	s_cbranch_execz .LBB1162_84
; %bb.83:
	v_add_nc_u32_e32 v2, s22, v11
	v_add_nc_u32_e32 v3, s42, v11
	s_delay_alu instid0(VALU_DEP_2) | instskip(NEXT) | instid1(VALU_DEP_2)
	v_mul_lo_u32 v2, v2, s21
	v_mul_lo_u32 v3, v3, s23
	s_delay_alu instid0(VALU_DEP_1) | instskip(NEXT) | instid1(VALU_DEP_1)
	v_sub_nc_u32_e32 v2, v2, v3
	v_cmp_lt_u32_e64 s0, s43, v2
	s_and_b32 s2, s0, exec_lo
.LBB1162_84:
	s_wait_alu 0xfffe
	s_or_b32 exec_lo, exec_lo, s3
	v_cndmask_b32_e64 v2, 0, 1, s2
	s_wait_alu 0xfffd
	v_cndmask_b32_e64 v3, 0, 1, vcc_lo
	v_lshlrev_b16 v8, 8, v8
	v_and_b32_e32 v21, 0xff, v21
	v_lshlrev_b16 v7, 8, v7
	v_lshlrev_b16 v2, 8, v2
	v_and_b32_e32 v4, 0xff, v4
	v_lshlrev_b16 v6, 8, v6
	v_and_b32_e32 v5, 0xff, v5
	v_or_b32_e32 v8, v21, v8
	v_or_b32_e32 v3, v3, v7
	;; [unrolled: 1-line block ×3, first 2 shown]
	s_delay_alu instid0(VALU_DEP_4) | instskip(NEXT) | instid1(VALU_DEP_4)
	v_or_b32_e32 v4, v5, v6
	v_lshlrev_b32_e32 v5, 16, v8
	s_delay_alu instid0(VALU_DEP_4) | instskip(NEXT) | instid1(VALU_DEP_4)
	v_and_b32_e32 v3, 0xffff, v3
	v_and_b32_e32 v2, 0xffff, v2
	s_delay_alu instid0(VALU_DEP_4) | instskip(NEXT) | instid1(VALU_DEP_3)
	v_lshlrev_b32_e32 v4, 16, v4
	v_or_b32_e32 v3, v3, v5
	s_delay_alu instid0(VALU_DEP_2)
	v_or_b32_e32 v2, v2, v4
.LBB1162_85:
	s_or_b32 exec_lo, exec_lo, s1
	v_add_nc_u32_e32 v4, 9, v41
	s_delay_alu instid0(VALU_DEP_2)
	v_lshrrev_b32_e32 v6, 8, v2
	v_lshrrev_b32_e32 v21, 24, v3
	v_lshrrev_b32_e32 v8, 16, v3
	v_and_b32_e32 v7, 0xff, v2
	v_cmp_le_u32_e32 vcc_lo, s33, v4
                                        ; implicit-def: $vgpr4
                                        ; implicit-def: $vgpr5
	s_and_saveexec_b32 s0, vcc_lo
	s_delay_alu instid0(SALU_CYCLE_1)
	s_xor_b32 s0, exec_lo, s0
	s_cbranch_execz .LBB1162_87
; %bb.86:
	v_lshlrev_b16 v4, 8, v6
	v_lshlrev_b16 v5, 8, v21
	v_and_b32_e32 v6, 0xff, v8
	v_perm_b32 v1, v1, v1, 0x3060504
                                        ; implicit-def: $vgpr21
                                        ; implicit-def: $vgpr8
	s_delay_alu instid0(VALU_DEP_4) | instskip(NEXT) | instid1(VALU_DEP_3)
	v_or_b32_e32 v4, v7, v4
                                        ; implicit-def: $vgpr7
	v_or_b32_e32 v5, v6, v5
                                        ; implicit-def: $vgpr6
	s_delay_alu instid0(VALU_DEP_2) | instskip(NEXT) | instid1(VALU_DEP_2)
	v_and_b32_e32 v4, 0xffff, v4
	v_perm_b32 v5, v5, v3, 0x5040c00
                                        ; implicit-def: $vgpr3
	s_delay_alu instid0(VALU_DEP_2)
	v_and_or_b32 v4, 0xff000000, v2, v4
                                        ; implicit-def: $vgpr2
.LBB1162_87:
	s_and_not1_saveexec_b32 s1, s0
	s_cbranch_execz .LBB1162_91
; %bb.88:
	v_add_nc_u32_e32 v4, s17, v12
	v_add_nc_u32_e32 v5, s19, v12
	s_mov_b32 s2, 0
	s_mov_b32 s3, exec_lo
	s_delay_alu instid0(VALU_DEP_2) | instskip(NEXT) | instid1(VALU_DEP_2)
	v_mul_lo_u32 v4, v4, s16
	v_mul_lo_u32 v5, v5, s18
	s_delay_alu instid0(VALU_DEP_1) | instskip(NEXT) | instid1(VALU_DEP_1)
	v_sub_nc_u32_e32 v4, v4, v5
	v_cmp_lt_u32_e32 vcc_lo, s20, v4
	v_cmpx_ge_u32_e64 s20, v4
	s_cbranch_execz .LBB1162_90
; %bb.89:
	v_add_nc_u32_e32 v4, s22, v12
	v_add_nc_u32_e32 v5, s42, v12
	s_delay_alu instid0(VALU_DEP_2) | instskip(NEXT) | instid1(VALU_DEP_2)
	v_mul_lo_u32 v4, v4, s21
	v_mul_lo_u32 v5, v5, s23
	s_delay_alu instid0(VALU_DEP_1) | instskip(NEXT) | instid1(VALU_DEP_1)
	v_sub_nc_u32_e32 v4, v4, v5
	v_cmp_lt_u32_e64 s0, s43, v4
	s_and_b32 s2, s0, exec_lo
.LBB1162_90:
	s_wait_alu 0xfffe
	s_or_b32 exec_lo, exec_lo, s3
	s_wait_alu 0xfffd
	v_cndmask_b32_e64 v4, 0, 1, vcc_lo
	v_lshrrev_b32_e32 v2, 24, v2
	v_cndmask_b32_e64 v5, 0, 1, s2
	v_lshlrev_b16 v21, 8, v21
	v_and_b32_e32 v8, 0xff, v8
	v_lshlrev_b16 v4, 8, v4
	v_lshlrev_b16 v6, 8, v6
	v_and_b32_e32 v3, 0xff, v3
	v_lshlrev_b16 v2, 8, v2
	v_or_b32_e32 v8, v8, v21
	s_delay_alu instid0(VALU_DEP_4) | instskip(NEXT) | instid1(VALU_DEP_4)
	v_or_b32_e32 v6, v7, v6
	v_or_b32_e32 v3, v3, v4
	s_delay_alu instid0(VALU_DEP_4) | instskip(NEXT) | instid1(VALU_DEP_4)
	v_or_b32_e32 v2, v5, v2
	v_lshlrev_b32_e32 v4, 16, v8
	s_delay_alu instid0(VALU_DEP_4) | instskip(NEXT) | instid1(VALU_DEP_4)
	v_and_b32_e32 v6, 0xffff, v6
	v_and_b32_e32 v3, 0xffff, v3
	s_delay_alu instid0(VALU_DEP_4) | instskip(NEXT) | instid1(VALU_DEP_2)
	v_lshlrev_b32_e32 v2, 16, v2
	v_or_b32_e32 v5, v3, v4
	s_delay_alu instid0(VALU_DEP_2)
	v_or_b32_e32 v4, v6, v2
.LBB1162_91:
	s_or_b32 exec_lo, exec_lo, s1
	v_add_nc_u32_e32 v2, 10, v41
	s_delay_alu instid0(VALU_DEP_3) | instskip(SKIP_1) | instid1(VALU_DEP_3)
	v_and_b32_e32 v3, 0xff, v5
	v_lshrrev_b32_e32 v6, 8, v5
                                        ; implicit-def: $vgpr46
	v_cmp_le_u32_e32 vcc_lo, s33, v2
                                        ; implicit-def: $vgpr2
	s_and_saveexec_b32 s0, vcc_lo
	s_delay_alu instid0(SALU_CYCLE_1)
	s_xor_b32 s0, exec_lo, s0
	s_cbranch_execz .LBB1162_93
; %bb.92:
	v_lshlrev_b16 v2, 8, v6
	v_perm_b32 v1, v1, v1, 0x3060504
                                        ; implicit-def: $vgpr6
	s_delay_alu instid0(VALU_DEP_2) | instskip(SKIP_1) | instid1(VALU_DEP_2)
	v_or_b32_e32 v2, v3, v2
	v_and_b32_e32 v3, 0xff0000, v4
	v_and_b32_e32 v2, 0xffff, v2
	s_delay_alu instid0(VALU_DEP_2) | instskip(NEXT) | instid1(VALU_DEP_2)
	v_perm_b32 v46, v4, v3, 0x3020504
                                        ; implicit-def: $vgpr3
                                        ; implicit-def: $vgpr4
	v_and_or_b32 v2, 0xff000000, v5, v2
                                        ; implicit-def: $vgpr5
.LBB1162_93:
	s_and_not1_saveexec_b32 s1, s0
	s_cbranch_execz .LBB1162_97
; %bb.94:
	v_add_nc_u32_e32 v2, s17, v9
	v_add_nc_u32_e32 v7, s19, v9
	s_mov_b32 s2, 0
	s_mov_b32 s3, exec_lo
	s_delay_alu instid0(VALU_DEP_2) | instskip(NEXT) | instid1(VALU_DEP_2)
	v_mul_lo_u32 v2, v2, s16
	v_mul_lo_u32 v7, v7, s18
	s_delay_alu instid0(VALU_DEP_1) | instskip(NEXT) | instid1(VALU_DEP_1)
	v_sub_nc_u32_e32 v2, v2, v7
	v_cmp_lt_u32_e32 vcc_lo, s20, v2
	v_cmpx_ge_u32_e64 s20, v2
	s_cbranch_execz .LBB1162_96
; %bb.95:
	v_add_nc_u32_e32 v2, s22, v9
	v_add_nc_u32_e32 v7, s42, v9
	s_delay_alu instid0(VALU_DEP_2) | instskip(NEXT) | instid1(VALU_DEP_2)
	v_mul_lo_u32 v2, v2, s21
	v_mul_lo_u32 v7, v7, s23
	s_delay_alu instid0(VALU_DEP_1) | instskip(NEXT) | instid1(VALU_DEP_1)
	v_sub_nc_u32_e32 v2, v2, v7
	v_cmp_lt_u32_e64 s0, s43, v2
	s_and_b32 s2, s0, exec_lo
.LBB1162_96:
	s_wait_alu 0xfffe
	s_or_b32 exec_lo, exec_lo, s3
	v_lshrrev_b32_e32 v5, 24, v5
	v_cndmask_b32_e64 v7, 0, 1, s2
	v_lshrrev_b32_e32 v8, 8, v4
	v_lshrrev_b32_e32 v21, 16, v4
	s_wait_alu 0xfffd
	v_cndmask_b32_e64 v2, 0, 1, vcc_lo
	v_lshlrev_b16 v6, 8, v6
	v_lshlrev_b16 v5, 8, v5
	v_and_b32_e32 v4, 0xff, v4
	v_lshlrev_b16 v8, 8, v8
	v_lshlrev_b16 v7, 8, v7
	v_and_b32_e32 v21, 0xff, v21
	v_or_b32_e32 v3, v3, v6
	v_or_b32_e32 v2, v2, v5
	;; [unrolled: 1-line block ×3, first 2 shown]
	s_delay_alu instid0(VALU_DEP_4) | instskip(NEXT) | instid1(VALU_DEP_4)
	v_or_b32_e32 v5, v21, v7
	v_and_b32_e32 v3, 0xffff, v3
	s_delay_alu instid0(VALU_DEP_4) | instskip(NEXT) | instid1(VALU_DEP_4)
	v_lshlrev_b32_e32 v2, 16, v2
	v_and_b32_e32 v4, 0xffff, v4
	s_delay_alu instid0(VALU_DEP_4) | instskip(NEXT) | instid1(VALU_DEP_3)
	v_lshlrev_b32_e32 v5, 16, v5
	v_or_b32_e32 v2, v3, v2
	s_delay_alu instid0(VALU_DEP_2)
	v_or_b32_e32 v46, v4, v5
.LBB1162_97:
	s_or_b32 exec_lo, exec_lo, s1
	v_add_nc_u32_e32 v3, 11, v41
	v_mov_b32_e32 v45, 0
	s_mov_b32 s0, exec_lo
                                        ; implicit-def: $vgpr47
	s_delay_alu instid0(VALU_DEP_2)
	v_cmpx_le_u32_e64 s33, v3
	s_xor_b32 s0, exec_lo, s0
; %bb.98:
	v_and_b32_e32 v3, 0xff0000, v2
	v_perm_b32 v1, v1, v1, 0x3060504
	s_delay_alu instid0(VALU_DEP_2)
	v_perm_b32 v47, v2, v3, 0x3020504
                                        ; implicit-def: $vgpr2
; %bb.99:
	s_and_not1_saveexec_b32 s1, s0
	s_cbranch_execz .LBB1162_103
; %bb.100:
	v_add_nc_u32_e32 v3, s17, v10
	v_add_nc_u32_e32 v4, s19, v10
	s_mov_b32 s2, 0
	s_mov_b32 s3, exec_lo
	s_delay_alu instid0(VALU_DEP_2) | instskip(NEXT) | instid1(VALU_DEP_2)
	v_mul_lo_u32 v3, v3, s16
	v_mul_lo_u32 v4, v4, s18
	s_delay_alu instid0(VALU_DEP_1) | instskip(NEXT) | instid1(VALU_DEP_1)
	v_sub_nc_u32_e32 v3, v3, v4
	v_cmp_lt_u32_e32 vcc_lo, s20, v3
	v_cmpx_ge_u32_e64 s20, v3
	s_cbranch_execz .LBB1162_102
; %bb.101:
	v_add_nc_u32_e32 v3, s22, v10
	v_add_nc_u32_e32 v4, s42, v10
	s_delay_alu instid0(VALU_DEP_2) | instskip(NEXT) | instid1(VALU_DEP_2)
	v_mul_lo_u32 v3, v3, s21
	v_mul_lo_u32 v4, v4, s23
	s_delay_alu instid0(VALU_DEP_1) | instskip(NEXT) | instid1(VALU_DEP_1)
	v_sub_nc_u32_e32 v3, v3, v4
	v_cmp_lt_u32_e64 s0, s43, v3
	s_and_b32 s2, s0, exec_lo
.LBB1162_102:
	s_wait_alu 0xfffe
	s_or_b32 exec_lo, exec_lo, s3
	v_lshrrev_b32_e32 v3, 8, v2
	s_wait_alu 0xfffd
	v_cndmask_b32_e64 v4, 0, 1, vcc_lo
	v_lshrrev_b32_e32 v5, 16, v2
	v_and_b32_e32 v2, 0xff, v2
	v_cndmask_b32_e64 v45, 0, 1, s2
	v_lshlrev_b16 v3, 8, v3
	v_lshlrev_b16 v4, 8, v4
	v_and_b32_e32 v5, 0xff, v5
	s_delay_alu instid0(VALU_DEP_3) | instskip(NEXT) | instid1(VALU_DEP_2)
	v_or_b32_e32 v2, v2, v3
	v_or_b32_e32 v3, v5, v4
	s_delay_alu instid0(VALU_DEP_2) | instskip(NEXT) | instid1(VALU_DEP_2)
	v_and_b32_e32 v2, 0xffff, v2
	v_lshlrev_b32_e32 v3, 16, v3
	s_delay_alu instid0(VALU_DEP_1)
	v_or_b32_e32 v47, v2, v3
.LBB1162_103:
	s_or_b32 exec_lo, exec_lo, s1
	v_add_nc_u32_e32 v4, 12, v41
	v_lshrrev_b32_e32 v2, 8, v1
	v_lshrrev_b32_e32 v3, 16, v1
	;; [unrolled: 1-line block ×3, first 2 shown]
	s_mov_b32 s0, exec_lo
                                        ; implicit-def: $vgpr49
	v_cmpx_le_u32_e64 s33, v4
	s_xor_b32 s0, exec_lo, s0
	s_cbranch_execz .LBB1162_105
; %bb.104:
	v_lshlrev_b16 v1, 8, v1
	v_and_b32_e32 v3, 0xff, v3
	v_lshlrev_b16 v2, 8, v2
	s_delay_alu instid0(VALU_DEP_2) | instskip(NEXT) | instid1(VALU_DEP_2)
	v_or_b32_e32 v1, v3, v1
	v_and_b32_e32 v2, 0xffff, v2
                                        ; implicit-def: $vgpr3
	s_delay_alu instid0(VALU_DEP_2) | instskip(NEXT) | instid1(VALU_DEP_1)
	v_lshlrev_b32_e32 v1, 16, v1
	v_or_b32_e32 v49, v2, v1
                                        ; implicit-def: $vgpr1
                                        ; implicit-def: $vgpr2
.LBB1162_105:
	s_or_saveexec_b32 s1, s0
	v_mov_b32_e32 v48, 0
	s_xor_b32 exec_lo, exec_lo, s1
	s_cbranch_execz .LBB1162_109
; %bb.106:
	v_add_nc_u32_e32 v4, s17, v40
	v_add_nc_u32_e32 v5, s19, v40
	s_mov_b32 s2, 0
	s_mov_b32 s3, exec_lo
	s_delay_alu instid0(VALU_DEP_2) | instskip(NEXT) | instid1(VALU_DEP_2)
	v_mul_lo_u32 v4, v4, s16
	v_mul_lo_u32 v5, v5, s18
	s_delay_alu instid0(VALU_DEP_1) | instskip(NEXT) | instid1(VALU_DEP_1)
	v_sub_nc_u32_e32 v4, v4, v5
	v_cmp_lt_u32_e32 vcc_lo, s20, v4
	v_cmpx_ge_u32_e64 s20, v4
	s_cbranch_execz .LBB1162_108
; %bb.107:
	v_add_nc_u32_e32 v4, s22, v40
	v_add_nc_u32_e32 v5, s42, v40
	s_delay_alu instid0(VALU_DEP_2) | instskip(NEXT) | instid1(VALU_DEP_2)
	v_mul_lo_u32 v4, v4, s21
	v_mul_lo_u32 v5, v5, s23
	s_delay_alu instid0(VALU_DEP_1) | instskip(NEXT) | instid1(VALU_DEP_1)
	v_sub_nc_u32_e32 v4, v4, v5
	v_cmp_lt_u32_e64 s0, s43, v4
	s_and_b32 s2, s0, exec_lo
.LBB1162_108:
	s_wait_alu 0xfffe
	s_or_b32 exec_lo, exec_lo, s3
	s_wait_alu 0xfffd
	v_cndmask_b32_e64 v4, 0, 1, vcc_lo
	v_lshlrev_b16 v1, 8, v1
	v_and_b32_e32 v3, 0xff, v3
	v_lshlrev_b16 v2, 8, v2
	v_cndmask_b32_e64 v48, 0, 1, s2
	s_delay_alu instid0(VALU_DEP_3) | instskip(NEXT) | instid1(VALU_DEP_3)
	v_or_b32_e32 v1, v3, v1
	v_or_b32_e32 v2, v4, v2
	s_delay_alu instid0(VALU_DEP_2) | instskip(NEXT) | instid1(VALU_DEP_2)
	v_lshlrev_b32_e32 v1, 16, v1
	v_and_b32_e32 v2, 0xffff, v2
	s_delay_alu instid0(VALU_DEP_1)
	v_or_b32_e32 v49, v2, v1
.LBB1162_109:
	s_or_b32 exec_lo, exec_lo, s1
.LBB1162_110:
	v_and_b32_e32 v72, 0xff, v42
	s_delay_alu instid0(VALU_DEP_2)
	v_bfe_u32 v73, v49, 8, 8
	v_bfe_u32 v70, v42, 8, 8
	;; [unrolled: 1-line block ×4, first 2 shown]
	v_lshrrev_b32_e32 v55, 24, v49
	v_lshrrev_b32_e32 v54, 24, v42
	v_and_b32_e32 v68, 0xff, v43
	v_and_b32_e32 v66, 0xff, v44
	v_bfe_u32 v67, v43, 8, 8
	v_add3_u32 v1, v70, v72, v69
	v_add3_u32 v2, v71, v73, v55
	v_bfe_u32 v64, v44, 8, 8
	v_bfe_u32 v65, v43, 16, 8
	;; [unrolled: 1-line block ×3, first 2 shown]
	v_lshrrev_b32_e32 v53, 24, v43
	v_add3_u32 v1, v1, v54, v66
	v_add3_u32 v2, v2, v68, v67
	v_lshrrev_b32_e32 v52, 24, v44
	v_and_b32_e32 v63, 0xff, v46
	v_and_b32_e32 v61, 0xff, v47
	v_bfe_u32 v62, v46, 8, 8
	v_add3_u32 v1, v1, v64, v59
	v_add3_u32 v2, v2, v65, v53
	v_bfe_u32 v58, v47, 8, 8
	v_bfe_u32 v60, v46, 16, 8
	;; [unrolled: 1-line block ×3, first 2 shown]
	v_lshrrev_b32_e32 v51, 24, v46
	v_add3_u32 v1, v1, v52, v61
	v_add3_u32 v2, v2, v63, v62
	v_mbcnt_lo_u32_b32 v74, -1, 0
	v_lshrrev_b32_e32 v50, 24, v47
	v_and_b32_e32 v57, 0xff, v45
	v_and_b32_e32 v3, 0xff, v49
	;; [unrolled: 1-line block ×3, first 2 shown]
	v_add3_u32 v1, v1, v58, v56
	v_add3_u32 v2, v2, v60, v51
	v_and_b32_e32 v76, 15, v74
	v_and_b32_e32 v78, 16, v74
	v_lshrrev_b32_e32 v75, 5, v0
	v_add3_u32 v79, v1, v50, v3
	v_add3_u32 v80, v2, v57, v4
	v_cmp_eq_u32_e64 s1, 0, v76
	v_cmp_lt_u32_e64 s0, 1, v76
	v_cmp_lt_u32_e64 s2, 3, v76
	v_or_b32_e32 v77, 31, v0
	s_cmp_lg_u32 ttmp9, 0
	s_mov_b32 s3, -1
	v_cmp_lt_u32_e32 vcc_lo, 7, v76
	s_cbranch_scc0 .LBB1162_131
; %bb.111:
	v_mov_b32_dpp v2, v79 row_shr:1 row_mask:0xf bank_mask:0xf
	v_mov_b32_dpp v1, v80 row_shr:1 row_mask:0xf bank_mask:0xf
	s_mov_b32 s3, exec_lo
	s_delay_alu instid0(VALU_DEP_2) | instskip(NEXT) | instid1(VALU_DEP_2)
	v_add_nc_u32_e32 v2, v2, v79
	v_add_nc_u32_e32 v1, v1, v80
	s_delay_alu instid0(VALU_DEP_2) | instskip(NEXT) | instid1(VALU_DEP_2)
	v_cndmask_b32_e64 v2, v2, v79, s1
	v_cndmask_b32_e64 v1, v1, v80, s1
	s_delay_alu instid0(VALU_DEP_2) | instskip(NEXT) | instid1(VALU_DEP_2)
	v_mov_b32_dpp v4, v2 row_shr:2 row_mask:0xf bank_mask:0xf
	v_mov_b32_dpp v3, v1 row_shr:2 row_mask:0xf bank_mask:0xf
	s_delay_alu instid0(VALU_DEP_2) | instskip(NEXT) | instid1(VALU_DEP_1)
	v_add_nc_u32_e32 v4, v2, v4
	v_cndmask_b32_e64 v2, v2, v4, s0
	s_delay_alu instid0(VALU_DEP_1) | instskip(NEXT) | instid1(VALU_DEP_1)
	v_mov_b32_dpp v4, v2 row_shr:4 row_mask:0xf bank_mask:0xf
	v_add_nc_u32_e32 v4, v2, v4
	s_wait_alu 0xf1ff
	s_delay_alu instid0(VALU_DEP_1) | instskip(NEXT) | instid1(VALU_DEP_1)
	v_cndmask_b32_e64 v2, v2, v4, s2
	v_mov_b32_dpp v4, v2 row_shr:8 row_mask:0xf bank_mask:0xf
	s_delay_alu instid0(VALU_DEP_1) | instskip(SKIP_1) | instid1(VALU_DEP_1)
	v_add_nc_u32_e32 v4, v2, v4
	s_wait_alu 0xfffd
	v_dual_cndmask_b32 v2, v2, v4 :: v_dual_add_nc_u32 v3, v1, v3
	s_delay_alu instid0(VALU_DEP_1) | instskip(SKIP_2) | instid1(VALU_DEP_1)
	v_cndmask_b32_e64 v1, v1, v3, s0
	ds_swizzle_b32 v4, v2 offset:swizzle(BROADCAST,32,15)
	v_mov_b32_dpp v3, v1 row_shr:4 row_mask:0xf bank_mask:0xf
	v_add_nc_u32_e32 v3, v1, v3
	s_delay_alu instid0(VALU_DEP_1) | instskip(NEXT) | instid1(VALU_DEP_1)
	v_cndmask_b32_e64 v1, v1, v3, s2
	v_mov_b32_dpp v3, v1 row_shr:8 row_mask:0xf bank_mask:0xf
	s_wait_dscnt 0x0
	v_add_nc_u32_e32 v4, v2, v4
	s_delay_alu instid0(VALU_DEP_2) | instskip(NEXT) | instid1(VALU_DEP_1)
	v_add_nc_u32_e32 v3, v1, v3
	v_cndmask_b32_e32 v1, v1, v3, vcc_lo
	v_cmp_eq_u32_e32 vcc_lo, 0, v78
	ds_swizzle_b32 v3, v1 offset:swizzle(BROADCAST,32,15)
	s_wait_dscnt 0x0
	v_add_nc_u32_e32 v3, v1, v3
	v_cmpx_eq_u32_e64 v0, v77
; %bb.112:
	s_wait_alu 0xfffd
	s_delay_alu instid0(VALU_DEP_2)
	v_dual_cndmask_b32 v6, v3, v1 :: v_dual_lshlrev_b32 v7, 3, v75
	v_cndmask_b32_e32 v5, v4, v2, vcc_lo
	ds_store_b64 v7, v[5:6]
; %bb.113:
	s_wait_alu 0xfffe
	s_or_b32 exec_lo, exec_lo, s3
	s_delay_alu instid0(SALU_CYCLE_1)
	s_mov_b32 s3, exec_lo
	s_wait_loadcnt_dscnt 0x0
	s_barrier_signal -1
	s_barrier_wait -1
	global_inv scope:SCOPE_SE
	v_cmpx_gt_u32_e32 8, v0
	s_cbranch_execz .LBB1162_115
; %bb.114:
	v_lshlrev_b32_e32 v7, 3, v0
	v_and_b32_e32 v22, 7, v74
	ds_load_b64 v[5:6], v7
	v_cmp_eq_u32_e64 s2, 0, v22
	s_wait_dscnt 0x0
	v_mov_b32_dpp v8, v5 row_shr:1 row_mask:0xf bank_mask:0xf
	v_mov_b32_dpp v21, v6 row_shr:1 row_mask:0xf bank_mask:0xf
	s_delay_alu instid0(VALU_DEP_2) | instskip(NEXT) | instid1(VALU_DEP_2)
	v_add_nc_u32_e32 v8, v8, v5
	v_add_nc_u32_e32 v21, v21, v6
	s_wait_alu 0xf1ff
	s_delay_alu instid0(VALU_DEP_2) | instskip(NEXT) | instid1(VALU_DEP_2)
	v_cndmask_b32_e64 v5, v8, v5, s2
	v_cndmask_b32_e64 v6, v21, v6, s2
	v_cmp_lt_u32_e64 s2, 1, v22
	s_delay_alu instid0(VALU_DEP_3) | instskip(NEXT) | instid1(VALU_DEP_3)
	v_mov_b32_dpp v8, v5 row_shr:2 row_mask:0xf bank_mask:0xf
	v_mov_b32_dpp v21, v6 row_shr:2 row_mask:0xf bank_mask:0xf
	s_delay_alu instid0(VALU_DEP_2) | instskip(NEXT) | instid1(VALU_DEP_2)
	v_add_nc_u32_e32 v8, v5, v8
	v_add_nc_u32_e32 v21, v6, v21
	s_wait_alu 0xf1ff
	s_delay_alu instid0(VALU_DEP_2) | instskip(NEXT) | instid1(VALU_DEP_2)
	v_cndmask_b32_e64 v5, v5, v8, s2
	v_cndmask_b32_e64 v6, v6, v21, s2
	v_cmp_lt_u32_e64 s2, 3, v22
	s_delay_alu instid0(VALU_DEP_3) | instskip(NEXT) | instid1(VALU_DEP_3)
	v_mov_b32_dpp v8, v5 row_shr:4 row_mask:0xf bank_mask:0xf
	v_mov_b32_dpp v21, v6 row_shr:4 row_mask:0xf bank_mask:0xf
	s_wait_alu 0xf1ff
	s_delay_alu instid0(VALU_DEP_2) | instskip(NEXT) | instid1(VALU_DEP_2)
	v_cndmask_b32_e64 v8, 0, v8, s2
	v_cndmask_b32_e64 v21, 0, v21, s2
	s_delay_alu instid0(VALU_DEP_2) | instskip(NEXT) | instid1(VALU_DEP_2)
	v_add_nc_u32_e32 v5, v8, v5
	v_add_nc_u32_e32 v6, v21, v6
	ds_store_b64 v7, v[5:6]
.LBB1162_115:
	s_wait_alu 0xfffe
	s_or_b32 exec_lo, exec_lo, s3
	v_dual_cndmask_b32 v1, v3, v1 :: v_dual_cndmask_b32 v2, v4, v2
	s_mov_b32 s3, exec_lo
	v_cmp_gt_u32_e32 vcc_lo, 32, v0
	s_wait_loadcnt_dscnt 0x0
	s_barrier_signal -1
	s_barrier_wait -1
	global_inv scope:SCOPE_SE
                                        ; implicit-def: $vgpr21
	v_cmpx_lt_u32_e32 31, v0
	s_cbranch_execz .LBB1162_117
; %bb.116:
	v_lshl_add_u32 v3, v75, 3, -8
	ds_load_b64 v[21:22], v3
	s_wait_dscnt 0x0
	v_add_nc_u32_e32 v1, v22, v1
	v_add_nc_u32_e32 v2, v21, v2
.LBB1162_117:
	s_wait_alu 0xfffe
	s_or_b32 exec_lo, exec_lo, s3
	v_sub_co_u32 v3, s2, v74, 1
	s_delay_alu instid0(VALU_DEP_1) | instskip(SKIP_1) | instid1(VALU_DEP_1)
	v_cmp_gt_i32_e64 s3, 0, v3
	s_wait_alu 0xf1ff
	v_cndmask_b32_e64 v3, v3, v74, s3
	s_delay_alu instid0(VALU_DEP_1)
	v_lshlrev_b32_e32 v3, 2, v3
	ds_bpermute_b32 v81, v3, v2
	ds_bpermute_b32 v82, v3, v1
	s_and_saveexec_b32 s3, vcc_lo
	s_cbranch_execz .LBB1162_136
; %bb.118:
	v_mov_b32_e32 v4, 0
	ds_load_b64 v[1:2], v4 offset:56
	s_and_saveexec_b32 s6, s2
	s_cbranch_execz .LBB1162_120
; %bb.119:
	s_add_co_i32 s8, ttmp9, 32
	s_mov_b32 s9, 0
	s_wait_alu 0xfffe
	s_lshl_b64 s[8:9], s[8:9], 4
	s_wait_kmcnt 0x0
	s_wait_alu 0xfffe
	s_add_nc_u64 s[8:9], s[4:5], s[8:9]
	v_mov_b32_e32 v3, 1
	s_wait_alu 0xfffe
	v_dual_mov_b32 v5, s8 :: v_dual_mov_b32 v6, s9
	s_wait_dscnt 0x0
	;;#ASMSTART
	global_store_b128 v[5:6], v[1:4] off scope:SCOPE_DEV	
s_wait_storecnt 0x0
	;;#ASMEND
.LBB1162_120:
	s_wait_alu 0xfffe
	s_or_b32 exec_lo, exec_lo, s6
	v_xad_u32 v23, v74, -1, ttmp9
	s_mov_b32 s7, 0
	s_mov_b32 s6, exec_lo
	s_delay_alu instid0(VALU_DEP_1) | instskip(NEXT) | instid1(VALU_DEP_1)
	v_add_nc_u32_e32 v3, 32, v23
	v_lshlrev_b64_e32 v[3:4], 4, v[3:4]
	s_wait_kmcnt 0x0
	s_delay_alu instid0(VALU_DEP_1) | instskip(SKIP_1) | instid1(VALU_DEP_2)
	v_add_co_u32 v3, vcc_lo, s4, v3
	s_wait_alu 0xfffd
	v_add_co_ci_u32_e64 v4, null, s5, v4, vcc_lo
	;;#ASMSTART
	global_load_b128 v[5:8], v[3:4] off scope:SCOPE_DEV	
s_wait_loadcnt 0x0
	;;#ASMEND
	v_and_b32_e32 v8, 0xff, v7
	s_delay_alu instid0(VALU_DEP_1)
	v_cmpx_eq_u16_e32 0, v8
	s_cbranch_execz .LBB1162_123
.LBB1162_121:                           ; =>This Inner Loop Header: Depth=1
	;;#ASMSTART
	global_load_b128 v[5:8], v[3:4] off scope:SCOPE_DEV	
s_wait_loadcnt 0x0
	;;#ASMEND
	v_and_b32_e32 v8, 0xff, v7
	s_delay_alu instid0(VALU_DEP_1)
	v_cmp_ne_u16_e32 vcc_lo, 0, v8
	s_wait_alu 0xfffe
	s_or_b32 s7, vcc_lo, s7
	s_wait_alu 0xfffe
	s_and_not1_b32 exec_lo, exec_lo, s7
	s_cbranch_execnz .LBB1162_121
; %bb.122:
	s_or_b32 exec_lo, exec_lo, s7
.LBB1162_123:
	s_wait_alu 0xfffe
	s_or_b32 exec_lo, exec_lo, s6
	v_cmp_ne_u32_e32 vcc_lo, 31, v74
	v_lshlrev_b32_e64 v84, v74, -1
	v_add_nc_u32_e32 v86, 2, v74
	v_add_nc_u32_e32 v88, 4, v74
	;; [unrolled: 1-line block ×3, first 2 shown]
	s_wait_alu 0xfffd
	v_add_co_ci_u32_e64 v3, null, 0, v74, vcc_lo
	v_lshl_or_b32 v91, v74, 2, 64
	v_add_nc_u32_e32 v92, 16, v74
	s_delay_alu instid0(VALU_DEP_3)
	v_lshlrev_b32_e32 v83, 2, v3
	v_and_b32_e32 v3, 0xff, v7
	ds_bpermute_b32 v4, v83, v6
	v_cmp_eq_u16_e32 vcc_lo, 2, v3
	s_wait_alu 0xfffd
	v_and_b32_e32 v8, vcc_lo, v84
	v_cmp_gt_u32_e32 vcc_lo, 30, v74
	s_delay_alu instid0(VALU_DEP_2) | instskip(SKIP_2) | instid1(VALU_DEP_2)
	v_or_b32_e32 v8, 0x80000000, v8
	s_wait_alu 0xfffd
	v_cndmask_b32_e64 v24, 0, 2, vcc_lo
	v_ctz_i32_b32_e32 v8, v8
	s_delay_alu instid0(VALU_DEP_2) | instskip(SKIP_2) | instid1(VALU_DEP_3)
	v_add_lshl_u32 v85, v24, v74, 2
	s_wait_dscnt 0x0
	v_add_nc_u32_e32 v4, v4, v6
	v_cmp_lt_u32_e32 vcc_lo, v74, v8
	s_wait_alu 0xfffd
	s_delay_alu instid0(VALU_DEP_2) | instskip(SKIP_3) | instid1(VALU_DEP_1)
	v_cndmask_b32_e32 v4, v6, v4, vcc_lo
	ds_bpermute_b32 v3, v83, v5
	s_wait_dscnt 0x0
	v_add_nc_u32_e32 v3, v3, v5
	v_cndmask_b32_e32 v3, v5, v3, vcc_lo
	ds_bpermute_b32 v5, v85, v4
	v_cmp_gt_u32_e32 vcc_lo, 28, v74
	ds_bpermute_b32 v6, v85, v3
	s_wait_alu 0xfffd
	v_cndmask_b32_e64 v24, 0, 4, vcc_lo
	v_cmp_gt_u32_e32 vcc_lo, v86, v8
	s_delay_alu instid0(VALU_DEP_2)
	v_add_lshl_u32 v87, v24, v74, 2
	s_wait_dscnt 0x1
	v_add_nc_u32_e32 v5, v4, v5
	s_wait_dscnt 0x0
	v_add_nc_u32_e32 v6, v3, v6
	s_wait_alu 0xfffd
	s_delay_alu instid0(VALU_DEP_1)
	v_dual_cndmask_b32 v4, v5, v4 :: v_dual_cndmask_b32 v3, v6, v3
	ds_bpermute_b32 v5, v87, v4
	v_cmp_gt_u32_e32 vcc_lo, 24, v74
	ds_bpermute_b32 v6, v87, v3
	s_wait_alu 0xfffd
	v_cndmask_b32_e64 v24, 0, 8, vcc_lo
	v_cmp_gt_u32_e32 vcc_lo, v88, v8
	s_delay_alu instid0(VALU_DEP_2)
	v_add_lshl_u32 v89, v24, v74, 2
	s_wait_dscnt 0x1
	v_dual_mov_b32 v24, 0 :: v_dual_add_nc_u32 v5, v4, v5
	s_wait_dscnt 0x0
	v_add_nc_u32_e32 v6, v3, v6
	s_wait_alu 0xfffd
	s_delay_alu instid0(VALU_DEP_1)
	v_dual_cndmask_b32 v4, v5, v4 :: v_dual_cndmask_b32 v3, v6, v3
	ds_bpermute_b32 v5, v89, v4
	v_cmp_gt_u32_e32 vcc_lo, v90, v8
	ds_bpermute_b32 v6, v89, v3
	s_wait_dscnt 0x1
	v_add_nc_u32_e32 v5, v4, v5
	s_wait_dscnt 0x0
	v_add_nc_u32_e32 v6, v3, v6
	s_wait_alu 0xfffd
	s_delay_alu instid0(VALU_DEP_1)
	v_dual_cndmask_b32 v4, v5, v4 :: v_dual_cndmask_b32 v3, v6, v3
	ds_bpermute_b32 v6, v91, v4
	v_cmp_le_u32_e32 vcc_lo, v92, v8
	ds_bpermute_b32 v5, v91, v3
	s_wait_dscnt 0x0
	s_wait_alu 0xfffd
	v_dual_cndmask_b32 v6, 0, v6 :: v_dual_cndmask_b32 v5, 0, v5
	s_delay_alu instid0(VALU_DEP_1) | instskip(NEXT) | instid1(VALU_DEP_2)
	v_add_nc_u32_e32 v6, v6, v4
	v_add_nc_u32_e32 v5, v5, v3
	s_branch .LBB1162_127
.LBB1162_124:                           ;   in Loop: Header=BB1162_127 Depth=1
	s_or_b32 exec_lo, exec_lo, s7
.LBB1162_125:                           ;   in Loop: Header=BB1162_127 Depth=1
	s_wait_alu 0xfffe
	s_or_b32 exec_lo, exec_lo, s6
	ds_bpermute_b32 v8, v83, v5
	ds_bpermute_b32 v25, v83, v6
	v_subrev_nc_u32_e32 v23, 32, v23
	s_mov_b32 s6, 0
	s_wait_dscnt 0x1
	v_add_nc_u32_e32 v8, v8, v5
	v_and_b32_e32 v26, 0xff, v7
	s_wait_dscnt 0x0
	v_add_nc_u32_e32 v25, v25, v6
	s_delay_alu instid0(VALU_DEP_2) | instskip(SKIP_2) | instid1(VALU_DEP_1)
	v_cmp_eq_u16_e32 vcc_lo, 2, v26
	s_wait_alu 0xfffd
	v_and_or_b32 v26, vcc_lo, v84, 0x80000000
	v_ctz_i32_b32_e32 v26, v26
	s_delay_alu instid0(VALU_DEP_1)
	v_cmp_lt_u32_e32 vcc_lo, v74, v26
	s_wait_alu 0xfffd
	v_dual_cndmask_b32 v6, v6, v25 :: v_dual_cndmask_b32 v5, v5, v8
	v_cmp_gt_u32_e32 vcc_lo, v86, v26
	ds_bpermute_b32 v25, v85, v6
	ds_bpermute_b32 v8, v85, v5
	s_wait_dscnt 0x1
	v_add_nc_u32_e32 v25, v6, v25
	s_wait_dscnt 0x0
	v_add_nc_u32_e32 v8, v5, v8
	s_wait_alu 0xfffd
	s_delay_alu instid0(VALU_DEP_1)
	v_dual_cndmask_b32 v6, v25, v6 :: v_dual_cndmask_b32 v5, v8, v5
	v_cmp_gt_u32_e32 vcc_lo, v88, v26
	ds_bpermute_b32 v25, v87, v6
	ds_bpermute_b32 v8, v87, v5
	s_wait_dscnt 0x1
	v_add_nc_u32_e32 v25, v6, v25
	s_wait_dscnt 0x0
	v_add_nc_u32_e32 v8, v5, v8
	s_wait_alu 0xfffd
	s_delay_alu instid0(VALU_DEP_1)
	;; [unrolled: 10-line block ×3, first 2 shown]
	v_dual_cndmask_b32 v6, v25, v6 :: v_dual_cndmask_b32 v5, v8, v5
	v_cmp_le_u32_e32 vcc_lo, v92, v26
	ds_bpermute_b32 v25, v91, v6
	ds_bpermute_b32 v8, v91, v5
	s_wait_dscnt 0x0
	s_wait_alu 0xfffd
	v_dual_cndmask_b32 v25, 0, v25 :: v_dual_cndmask_b32 v8, 0, v8
	s_delay_alu instid0(VALU_DEP_1) | instskip(NEXT) | instid1(VALU_DEP_2)
	v_add3_u32 v6, v6, v4, v25
	v_add3_u32 v5, v5, v3, v8
.LBB1162_126:                           ;   in Loop: Header=BB1162_127 Depth=1
	s_wait_alu 0xfffe
	s_and_b32 vcc_lo, exec_lo, s6
	s_wait_alu 0xfffe
	s_cbranch_vccnz .LBB1162_132
.LBB1162_127:                           ; =>This Loop Header: Depth=1
                                        ;     Child Loop BB1162_130 Depth 2
	v_and_b32_e32 v3, 0xff, v7
	s_mov_b32 s6, -1
                                        ; implicit-def: $vgpr7
	s_delay_alu instid0(VALU_DEP_1)
	v_cmp_ne_u16_e32 vcc_lo, 2, v3
	v_dual_mov_b32 v3, v5 :: v_dual_mov_b32 v4, v6
                                        ; implicit-def: $vgpr5_vgpr6
	s_cmp_lg_u32 vcc_lo, exec_lo
	s_cbranch_scc1 .LBB1162_126
; %bb.128:                              ;   in Loop: Header=BB1162_127 Depth=1
	v_lshlrev_b64_e32 v[5:6], 4, v[23:24]
	s_mov_b32 s6, exec_lo
	s_delay_alu instid0(VALU_DEP_1) | instskip(SKIP_1) | instid1(VALU_DEP_2)
	v_add_co_u32 v25, vcc_lo, s4, v5
	s_wait_alu 0xfffd
	v_add_co_ci_u32_e64 v26, null, s5, v6, vcc_lo
	;;#ASMSTART
	global_load_b128 v[5:8], v[25:26] off scope:SCOPE_DEV	
s_wait_loadcnt 0x0
	;;#ASMEND
	v_and_b32_e32 v8, 0xff, v7
	s_delay_alu instid0(VALU_DEP_1)
	v_cmpx_eq_u16_e32 0, v8
	s_cbranch_execz .LBB1162_125
; %bb.129:                              ;   in Loop: Header=BB1162_127 Depth=1
	s_mov_b32 s7, 0
.LBB1162_130:                           ;   Parent Loop BB1162_127 Depth=1
                                        ; =>  This Inner Loop Header: Depth=2
	;;#ASMSTART
	global_load_b128 v[5:8], v[25:26] off scope:SCOPE_DEV	
s_wait_loadcnt 0x0
	;;#ASMEND
	v_and_b32_e32 v8, 0xff, v7
	s_delay_alu instid0(VALU_DEP_1)
	v_cmp_ne_u16_e32 vcc_lo, 0, v8
	s_wait_alu 0xfffe
	s_or_b32 s7, vcc_lo, s7
	s_wait_alu 0xfffe
	s_and_not1_b32 exec_lo, exec_lo, s7
	s_cbranch_execnz .LBB1162_130
	s_branch .LBB1162_124
.LBB1162_131:
                                        ; implicit-def: $vgpr81
                                        ; implicit-def: $vgpr3
                                        ; implicit-def: $vgpr82
	s_wait_alu 0xfffe
	s_and_b32 vcc_lo, exec_lo, s3
	s_wait_alu 0xfffe
	s_cbranch_vccnz .LBB1162_137
	s_branch .LBB1162_146
.LBB1162_132:
	s_and_saveexec_b32 s6, s2
	s_cbranch_execnz .LBB1162_374
; %bb.133:
	s_wait_alu 0xfffe
	s_or_b32 exec_lo, exec_lo, s6
	s_and_saveexec_b32 s6, s2
	s_cbranch_execnz .LBB1162_375
.LBB1162_134:
	s_wait_alu 0xfffe
	s_or_b32 exec_lo, exec_lo, s6
	v_cmp_eq_u32_e32 vcc_lo, 0, v0
	s_and_b32 exec_lo, exec_lo, vcc_lo
.LBB1162_135:
	v_mov_b32_e32 v1, 0
	ds_store_b64 v1, v[3:4] offset:56
.LBB1162_136:
	s_wait_alu 0xfffe
	s_or_b32 exec_lo, exec_lo, s3
	s_wait_dscnt 0x0
	v_cndmask_b32_e64 v8, v82, v22, s2
	v_mov_b32_e32 v1, 0
	s_wait_loadcnt 0x0
	s_barrier_signal -1
	s_barrier_wait -1
	global_inv scope:SCOPE_SE
	ds_load_b64 v[5:6], v1 offset:56
	s_wait_loadcnt_dscnt 0x0
	s_barrier_signal -1
	s_barrier_wait -1
	global_inv scope:SCOPE_SE
	v_cndmask_b32_e64 v7, v81, v21, s2
	v_cmp_eq_u32_e32 vcc_lo, 0, v0
	v_add_nc_u32_e32 v8, v6, v8
	ds_load_b128 v[1:4], v1 offset:13312
	v_add_nc_u32_e32 v7, v5, v7
	s_wait_alu 0xfffd
	s_delay_alu instid0(VALU_DEP_1)
	v_dual_cndmask_b32 v81, v8, v6 :: v_dual_cndmask_b32 v82, v7, v5
	s_branch .LBB1162_146
.LBB1162_137:
	s_wait_dscnt 0x0
	v_mov_b32_dpp v2, v80 row_shr:1 row_mask:0xf bank_mask:0xf
	v_cmp_lt_u32_e32 vcc_lo, 3, v76
	v_mov_b32_dpp v1, v79 row_shr:1 row_mask:0xf bank_mask:0xf
	s_delay_alu instid0(VALU_DEP_3) | instskip(NEXT) | instid1(VALU_DEP_1)
	v_add_nc_u32_e32 v2, v2, v80
	v_cndmask_b32_e64 v2, v2, v80, s1
	s_delay_alu instid0(VALU_DEP_1) | instskip(NEXT) | instid1(VALU_DEP_1)
	v_mov_b32_dpp v4, v2 row_shr:2 row_mask:0xf bank_mask:0xf
	v_add_nc_u32_e32 v4, v2, v4
	s_delay_alu instid0(VALU_DEP_1) | instskip(NEXT) | instid1(VALU_DEP_1)
	v_cndmask_b32_e64 v2, v2, v4, s0
	v_mov_b32_dpp v4, v2 row_shr:4 row_mask:0xf bank_mask:0xf
	s_delay_alu instid0(VALU_DEP_1) | instskip(SKIP_1) | instid1(VALU_DEP_1)
	v_add_nc_u32_e32 v4, v2, v4
	s_wait_alu 0xfffd
	v_dual_cndmask_b32 v2, v2, v4 :: v_dual_add_nc_u32 v1, v1, v79
	s_delay_alu instid0(VALU_DEP_1) | instskip(SKIP_1) | instid1(VALU_DEP_2)
	v_cndmask_b32_e64 v1, v1, v79, s1
	s_mov_b32 s1, exec_lo
	v_mov_b32_dpp v4, v2 row_shr:8 row_mask:0xf bank_mask:0xf
	s_delay_alu instid0(VALU_DEP_2) | instskip(NEXT) | instid1(VALU_DEP_1)
	v_mov_b32_dpp v3, v1 row_shr:2 row_mask:0xf bank_mask:0xf
	v_add_nc_u32_e32 v3, v1, v3
	s_delay_alu instid0(VALU_DEP_1) | instskip(NEXT) | instid1(VALU_DEP_1)
	v_cndmask_b32_e64 v1, v1, v3, s0
	v_mov_b32_dpp v3, v1 row_shr:4 row_mask:0xf bank_mask:0xf
	s_delay_alu instid0(VALU_DEP_1) | instskip(NEXT) | instid1(VALU_DEP_1)
	v_add_nc_u32_e32 v3, v1, v3
	v_cndmask_b32_e32 v3, v1, v3, vcc_lo
	v_cmp_lt_u32_e32 vcc_lo, 7, v76
	s_delay_alu instid0(VALU_DEP_2) | instskip(NEXT) | instid1(VALU_DEP_1)
	v_mov_b32_dpp v1, v3 row_shr:8 row_mask:0xf bank_mask:0xf
	v_add_nc_u32_e32 v5, v3, v1
	v_add_nc_u32_e32 v1, v2, v4
	s_wait_alu 0xfffd
	s_delay_alu instid0(VALU_DEP_1) | instskip(NEXT) | instid1(VALU_DEP_3)
	v_cndmask_b32_e32 v1, v2, v1, vcc_lo
	v_cndmask_b32_e32 v2, v3, v5, vcc_lo
	v_cmp_eq_u32_e32 vcc_lo, 0, v78
	ds_swizzle_b32 v3, v1 offset:swizzle(BROADCAST,32,15)
	ds_swizzle_b32 v4, v2 offset:swizzle(BROADCAST,32,15)
	s_wait_dscnt 0x1
	v_add_nc_u32_e32 v3, v1, v3
	s_wait_dscnt 0x0
	v_add_nc_u32_e32 v4, v2, v4
	v_cmpx_eq_u32_e64 v0, v77
; %bb.138:
	s_wait_alu 0xfffd
	s_delay_alu instid0(VALU_DEP_2)
	v_dual_cndmask_b32 v5, v4, v2 :: v_dual_cndmask_b32 v6, v3, v1
	v_lshlrev_b32_e32 v7, 3, v75
	ds_store_b64 v7, v[5:6]
; %bb.139:
	s_wait_alu 0xfffe
	s_or_b32 exec_lo, exec_lo, s1
	s_delay_alu instid0(SALU_CYCLE_1)
	s_mov_b32 s1, exec_lo
	s_wait_loadcnt_dscnt 0x0
	s_barrier_signal -1
	s_barrier_wait -1
	global_inv scope:SCOPE_SE
	v_cmpx_gt_u32_e32 8, v0
	s_cbranch_execz .LBB1162_141
; %bb.140:
	v_lshlrev_b32_e32 v7, 3, v0
	v_and_b32_e32 v22, 7, v74
	ds_load_b64 v[5:6], v7
	v_cmp_eq_u32_e64 s0, 0, v22
	s_wait_dscnt 0x0
	v_mov_b32_dpp v8, v5 row_shr:1 row_mask:0xf bank_mask:0xf
	v_mov_b32_dpp v21, v6 row_shr:1 row_mask:0xf bank_mask:0xf
	s_delay_alu instid0(VALU_DEP_2) | instskip(NEXT) | instid1(VALU_DEP_2)
	v_add_nc_u32_e32 v8, v8, v5
	v_add_nc_u32_e32 v21, v21, v6
	s_wait_alu 0xf1ff
	s_delay_alu instid0(VALU_DEP_2) | instskip(NEXT) | instid1(VALU_DEP_2)
	v_cndmask_b32_e64 v5, v8, v5, s0
	v_cndmask_b32_e64 v6, v21, v6, s0
	v_cmp_lt_u32_e64 s0, 1, v22
	s_delay_alu instid0(VALU_DEP_3) | instskip(NEXT) | instid1(VALU_DEP_3)
	v_mov_b32_dpp v8, v5 row_shr:2 row_mask:0xf bank_mask:0xf
	v_mov_b32_dpp v21, v6 row_shr:2 row_mask:0xf bank_mask:0xf
	s_delay_alu instid0(VALU_DEP_2) | instskip(NEXT) | instid1(VALU_DEP_2)
	v_add_nc_u32_e32 v8, v5, v8
	v_add_nc_u32_e32 v21, v6, v21
	s_wait_alu 0xf1ff
	s_delay_alu instid0(VALU_DEP_2) | instskip(NEXT) | instid1(VALU_DEP_2)
	v_cndmask_b32_e64 v5, v5, v8, s0
	v_cndmask_b32_e64 v6, v6, v21, s0
	v_cmp_lt_u32_e64 s0, 3, v22
	s_delay_alu instid0(VALU_DEP_3) | instskip(NEXT) | instid1(VALU_DEP_3)
	v_mov_b32_dpp v8, v5 row_shr:4 row_mask:0xf bank_mask:0xf
	v_mov_b32_dpp v21, v6 row_shr:4 row_mask:0xf bank_mask:0xf
	s_wait_alu 0xf1ff
	s_delay_alu instid0(VALU_DEP_2) | instskip(NEXT) | instid1(VALU_DEP_2)
	v_cndmask_b32_e64 v8, 0, v8, s0
	v_cndmask_b32_e64 v21, 0, v21, s0
	s_delay_alu instid0(VALU_DEP_2) | instskip(NEXT) | instid1(VALU_DEP_2)
	v_add_nc_u32_e32 v5, v8, v5
	v_add_nc_u32_e32 v6, v21, v6
	ds_store_b64 v7, v[5:6]
.LBB1162_141:
	s_wait_alu 0xfffe
	s_or_b32 exec_lo, exec_lo, s1
	v_dual_mov_b32 v7, 0 :: v_dual_mov_b32 v6, 0
	v_mov_b32_e32 v5, 0
	s_mov_b32 s1, exec_lo
	s_wait_loadcnt_dscnt 0x0
	s_barrier_signal -1
	s_barrier_wait -1
	global_inv scope:SCOPE_SE
	v_cmpx_lt_u32_e32 31, v0
; %bb.142:
	v_lshl_add_u32 v5, v75, 3, -8
	ds_load_b64 v[5:6], v5
; %bb.143:
	s_wait_alu 0xfffe
	s_or_b32 exec_lo, exec_lo, s1
	v_sub_co_u32 v8, s0, v74, 1
	v_dual_cndmask_b32 v2, v4, v2 :: v_dual_cndmask_b32 v1, v3, v1
	v_cmp_eq_u32_e32 vcc_lo, 0, v0
	s_delay_alu instid0(VALU_DEP_3) | instskip(SKIP_1) | instid1(VALU_DEP_3)
	v_cmp_gt_i32_e64 s1, 0, v8
	s_wait_dscnt 0x0
	v_add_nc_u32_e32 v2, v5, v2
	v_add_nc_u32_e32 v1, v6, v1
	s_wait_alu 0xf1ff
	v_cndmask_b32_e64 v4, v8, v74, s1
	s_delay_alu instid0(VALU_DEP_1)
	v_lshlrev_b32_e32 v3, 2, v4
	ds_bpermute_b32 v8, v3, v2
	ds_bpermute_b32 v21, v3, v1
	ds_load_b64 v[1:2], v7 offset:56
	s_and_saveexec_b32 s1, vcc_lo
	s_cbranch_execz .LBB1162_145
; %bb.144:
	s_wait_kmcnt 0x0
	s_add_nc_u64 s[2:3], s[4:5], 0x200
	v_dual_mov_b32 v3, 2 :: v_dual_mov_b32 v4, 0
	s_wait_alu 0xfffe
	v_dual_mov_b32 v23, s3 :: v_dual_mov_b32 v22, s2
	s_wait_dscnt 0x0
	;;#ASMSTART
	global_store_b128 v[22:23], v[1:4] off scope:SCOPE_DEV	
s_wait_storecnt 0x0
	;;#ASMEND
.LBB1162_145:
	s_wait_alu 0xfffe
	s_or_b32 exec_lo, exec_lo, s1
	s_wait_dscnt 0x1
	v_cndmask_b32_e64 v3, v21, v6, s0
	v_cndmask_b32_e64 v5, v8, v5, s0
	v_mov_b32_e32 v4, 0
	s_wait_loadcnt_dscnt 0x0
	s_barrier_signal -1
	v_cndmask_b32_e64 v81, v3, 0, vcc_lo
	v_cndmask_b32_e64 v82, v5, 0, vcc_lo
	v_mov_b32_e32 v3, 0
	s_barrier_wait -1
	global_inv scope:SCOPE_SE
.LBB1162_146:
	v_lshrrev_b32_e32 v77, 8, v49
	s_delay_alu instid0(VALU_DEP_2)
	v_add_nc_u32_e32 v73, v81, v73
	s_wait_dscnt 0x0
	v_sub_nc_u32_e32 v81, v81, v4
	v_lshlrev_b32_e32 v84, 1, v1
	v_lshrrev_b32_e32 v75, 16, v49
	v_and_b32_e32 v77, 1, v77
	v_add_nc_u32_e32 v71, v73, v71
	v_add_nc_u32_e32 v81, v81, v1
	v_add3_u32 v87, v84, v2, v41
	v_and_b32_e32 v75, 1, v75
	v_cmp_eq_u32_e32 vcc_lo, 1, v77
	v_add_nc_u32_e32 v72, v82, v72
	v_sub_nc_u32_e32 v82, v82, v3
	v_sub_nc_u32_e32 v73, v73, v4
	v_lshrrev_b32_e32 v76, 8, v42
	v_lshrrev_b32_e32 v74, 16, v42
	v_and_b32_e32 v42, 1, v42
	v_add_nc_u32_e32 v41, v82, v81
	v_add_nc_u32_e32 v73, v73, v1
	v_and_b32_e32 v76, 1, v76
	s_wait_kmcnt 0x0
	v_add_co_u32 v5, s0, s28, v3
	v_sub_nc_u32_e32 v41, v87, v41
	s_wait_alu 0xf1ff
	v_add_co_ci_u32_e64 v6, null, s29, 0, s0
	v_sub_co_u32 v80, s0, s30, v1
	s_wait_alu 0xfffd
	v_cndmask_b32_e32 v41, v41, v81, vcc_lo
	v_cmp_eq_u32_e32 vcc_lo, 1, v75
	v_add_nc_u32_e32 v78, v71, v55
	v_sub_nc_u32_e32 v71, v71, v4
	s_wait_alu 0xf1ff
	v_sub_co_ci_u32_e64 v83, null, s31, 0, s0
	v_and_b32_e32 v55, 1, v55
	v_and_b32_e32 v74, 1, v74
	v_add_nc_u32_e32 v71, v71, v1
	v_add_nc_u32_e32 v70, v72, v70
	v_sub_nc_u32_e32 v72, v72, v3
	v_lshrrev_b32_e32 v26, 8, v43
	v_lshrrev_b32_e32 v25, 16, v43
	v_and_b32_e32 v43, 1, v43
	v_lshrrev_b32_e32 v23, 16, v44
	v_add_nc_u32_e32 v88, v73, v72
	v_and_b32_e32 v26, 1, v26
	v_lshrrev_b32_e32 v24, 8, v44
	v_and_b32_e32 v44, 1, v44
	v_lshrrev_b32_e32 v8, 16, v46
	v_sub_nc_u32_e32 v88, v87, v88
	v_lshrrev_b32_e32 v22, 8, v46
	v_and_b32_e32 v24, 1, v24
	v_lshrrev_b32_e32 v21, 8, v47
	v_and_b32_e32 v8, 1, v8
	v_add_nc_u32_e32 v88, 1, v88
	v_and_b32_e32 v22, 1, v22
	v_lshrrev_b32_e32 v7, 16, v47
	s_mov_b32 s41, 0
	s_wait_alu 0xfffd
	v_cndmask_b32_e32 v73, v88, v73, vcc_lo
	v_cmp_eq_u32_e32 vcc_lo, 1, v42
	v_add_nc_u32_e32 v68, v78, v68
	v_and_b32_e32 v7, 1, v7
	s_wait_alu 0xfffd
	v_cndmask_b32_e32 v81, v41, v82, vcc_lo
	v_cmp_eq_u32_e32 vcc_lo, 1, v76
	v_add_nc_u32_e32 v69, v70, v69
	v_sub_nc_u32_e32 v70, v70, v3
	v_sub_nc_u32_e32 v76, v78, v4
	s_wait_alu 0xfffd
	v_dual_cndmask_b32 v72, v73, v72 :: v_dual_add_nc_u32 v67, v68, v67
	v_add_co_u32 v41, vcc_lo, v80, v4
	v_add_nc_u32_e32 v75, v71, v70
	s_wait_alu 0xfffd
	v_add_co_ci_u32_e64 v42, null, 0, v83, vcc_lo
	v_cmp_eq_u32_e32 vcc_lo, 1, v55
	v_add_nc_u32_e32 v79, v69, v54
	v_sub_nc_u32_e32 v73, v87, v75
	v_sub_nc_u32_e32 v69, v69, v3
	;; [unrolled: 1-line block ×3, first 2 shown]
	v_lshlrev_b32_e32 v75, 2, v81
	v_lshlrev_b32_e32 v72, 2, v72
	v_add_nc_u32_e32 v73, 2, v73
	ds_store_b32 v75, v19
	ds_store_b32 v72, v20
	s_wait_alu 0xfffd
	v_dual_cndmask_b32 v55, v73, v71 :: v_dual_add_nc_u32 v68, v68, v1
	v_add_nc_u32_e32 v71, v76, v1
	v_cmp_eq_u32_e32 vcc_lo, 1, v74
	v_and_b32_e32 v54, 1, v54
	s_delay_alu instid0(VALU_DEP_3) | instskip(SKIP_4) | instid1(VALU_DEP_3)
	v_add_nc_u32_e32 v73, v69, v71
	s_wait_alu 0xfffd
	v_cndmask_b32_e32 v55, v55, v70, vcc_lo
	v_sub_nc_u32_e32 v70, v79, v3
	v_cmp_eq_u32_e32 vcc_lo, 1, v43
	v_lshlrev_b32_e32 v19, 2, v55
	s_delay_alu instid0(VALU_DEP_3)
	v_add_nc_u32_e32 v20, v70, v68
	v_sub_nc_u32_e32 v55, v87, v73
	ds_store_b32 v19, v17
	v_sub_nc_u32_e32 v20, v87, v20
	v_add_nc_u32_e32 v55, 3, v55
	v_and_b32_e32 v19, 1, v25
	s_wait_alu 0xfffd
	s_delay_alu instid0(VALU_DEP_2) | instskip(SKIP_2) | instid1(VALU_DEP_2)
	v_dual_cndmask_b32 v43, v55, v71 :: v_dual_add_nc_u32 v20, 4, v20
	v_cmp_eq_u32_e32 vcc_lo, 1, v26
	s_wait_alu 0xfffd
	v_cndmask_b32_e32 v20, v20, v68, vcc_lo
	v_cmp_eq_u32_e32 vcc_lo, 1, v54
	s_wait_alu 0xfffd
	v_cndmask_b32_e32 v26, v43, v69, vcc_lo
	v_cmp_eq_u32_e32 vcc_lo, 1, v44
	v_add_nc_u32_e32 v65, v67, v65
	v_sub_nc_u32_e32 v67, v67, v4
	s_delay_alu instid0(VALU_DEP_4)
	v_lshlrev_b32_e32 v17, 2, v26
	s_wait_alu 0xfffd
	v_cndmask_b32_e32 v20, v20, v70, vcc_lo
	v_cmp_eq_u32_e32 vcc_lo, 1, v19
	v_add_nc_u32_e32 v67, v67, v1
	v_add_nc_u32_e32 v66, v79, v66
	;; [unrolled: 1-line block ×3, first 2 shown]
	v_sub_nc_u32_e32 v26, v65, v4
	v_lshlrev_b32_e32 v20, 2, v20
	ds_store_b32 v17, v18
	ds_store_b32 v20, v15
	v_add_nc_u32_e32 v64, v66, v64
	v_sub_nc_u32_e32 v66, v66, v3
	v_add_nc_u32_e32 v26, v26, v1
	v_add_nc_u32_e32 v63, v85, v63
	v_and_b32_e32 v20, 1, v53
	s_delay_alu instid0(VALU_DEP_4) | instskip(NEXT) | instid1(VALU_DEP_1)
	v_add_nc_u32_e32 v55, v66, v67
	v_sub_nc_u32_e32 v43, v87, v55
	s_delay_alu instid0(VALU_DEP_1) | instskip(SKIP_2) | instid1(VALU_DEP_2)
	v_add_nc_u32_e32 v25, 5, v43
	v_sub_nc_u32_e32 v43, v85, v4
	s_wait_alu 0xfffd
	v_cndmask_b32_e32 v19, v25, v67, vcc_lo
	v_cmp_eq_u32_e32 vcc_lo, 1, v24
	s_delay_alu instid0(VALU_DEP_3) | instskip(SKIP_1) | instid1(VALU_DEP_3)
	v_add_nc_u32_e32 v43, v43, v1
	s_wait_alu 0xfffd
	v_cndmask_b32_e32 v19, v19, v66, vcc_lo
	v_add_nc_u32_e32 v59, v64, v59
	v_sub_nc_u32_e32 v25, v64, v3
	v_cmp_eq_u32_e32 vcc_lo, 1, v20
	v_and_b32_e32 v20, 1, v52
	v_lshlrev_b32_e32 v15, 2, v19
	v_sub_nc_u32_e32 v24, v59, v3
	v_add_nc_u32_e32 v44, v25, v26
	v_add_nc_u32_e32 v86, v59, v52
	v_and_b32_e32 v19, 1, v23
	v_sub_nc_u32_e32 v23, v63, v4
	v_add_nc_u32_e32 v17, v24, v43
	v_sub_nc_u32_e32 v18, v87, v44
	v_and_b32_e32 v44, 1, v46
	v_sub_nc_u32_e32 v46, v86, v3
	v_add_nc_u32_e32 v23, v23, v1
	v_sub_nc_u32_e32 v17, v87, v17
	v_add_nc_u32_e32 v18, 6, v18
	v_add_nc_u32_e32 v61, v86, v61
	s_wait_alu 0xfffd
	s_delay_alu instid0(VALU_DEP_2)
	v_dual_cndmask_b32 v18, v18, v26 :: v_dual_add_nc_u32 v17, 7, v17
	v_cmp_eq_u32_e32 vcc_lo, 1, v44
	v_add_nc_u32_e32 v26, v46, v23
	v_add_nc_u32_e32 v58, v61, v58
	s_wait_alu 0xfffd
	v_cndmask_b32_e32 v17, v17, v43, vcc_lo
	v_cmp_eq_u32_e32 vcc_lo, 1, v19
	v_sub_nc_u32_e32 v19, v87, v26
	s_wait_alu 0xfffd
	v_cndmask_b32_e32 v18, v18, v25, vcc_lo
	v_cmp_eq_u32_e32 vcc_lo, 1, v20
	v_add_nc_u32_e32 v62, v63, v62
	v_add_nc_u32_e32 v19, 8, v19
	v_sub_nc_u32_e32 v25, v61, v3
	s_wait_alu 0xfffd
	v_dual_cndmask_b32 v17, v17, v24 :: v_dual_lshlrev_b32 v18, 2, v18
	v_sub_nc_u32_e32 v20, v62, v4
	v_and_b32_e32 v24, 1, v47
	v_cmp_eq_u32_e32 vcc_lo, 1, v22
	s_delay_alu instid0(VALU_DEP_4) | instskip(NEXT) | instid1(VALU_DEP_4)
	v_lshlrev_b32_e32 v17, 2, v17
	v_add_nc_u32_e32 v20, v20, v1
	ds_store_b32 v15, v16
	ds_store_b32 v18, v13
	;; [unrolled: 1-line block ×3, first 2 shown]
	s_wait_alu 0xfffd
	v_cndmask_b32_e32 v19, v19, v23, vcc_lo
	v_cmp_eq_u32_e32 vcc_lo, 1, v24
	v_add_nc_u32_e32 v60, v62, v60
	v_add_nc_u32_e32 v22, v25, v20
	v_sub_nc_u32_e32 v17, v58, v3
	v_and_b32_e32 v15, 1, v21
	s_wait_alu 0xfffd
	v_cndmask_b32_e32 v19, v19, v46, vcc_lo
	v_sub_nc_u32_e32 v16, v60, v4
	v_sub_nc_u32_e32 v13, v87, v22
	v_cmp_eq_u32_e32 vcc_lo, 1, v8
	v_add_nc_u32_e32 v89, v60, v51
	v_lshlrev_b32_e32 v14, 2, v19
	v_add_nc_u32_e32 v16, v16, v1
	v_add_nc_u32_e32 v13, 9, v13
	s_delay_alu instid0(VALU_DEP_4)
	v_sub_nc_u32_e32 v18, v89, v4
	ds_store_b32 v14, v11
	v_add_nc_u32_e32 v19, v17, v16
	s_wait_alu 0xfffd
	v_cndmask_b32_e32 v8, v13, v20, vcc_lo
	v_cmp_eq_u32_e32 vcc_lo, 1, v15
	v_and_b32_e32 v15, 1, v51
	v_and_b32_e32 v20, 1, v45
	v_sub_nc_u32_e32 v14, v87, v19
	v_add_nc_u32_e32 v18, v18, v1
	s_wait_alu 0xfffd
	v_cndmask_b32_e32 v8, v8, v25, vcc_lo
	v_cmp_eq_u32_e32 vcc_lo, 1, v15
	v_add_nc_u32_e32 v57, v89, v57
	v_add_nc_u32_e32 v14, 10, v14
	v_and_b32_e32 v15, 1, v50
	v_lshlrev_b32_e32 v8, 2, v8
	s_delay_alu instid0(VALU_DEP_4)
	v_sub_nc_u32_e32 v19, v57, v4
	s_wait_alu 0xfffd
	v_cndmask_b32_e32 v14, v14, v16, vcc_lo
	v_cmp_eq_u32_e32 vcc_lo, 1, v20
	v_add_nc_u32_e32 v56, v58, v56
	v_add_nc_u32_e32 v19, v19, v1
	s_delay_alu instid0(VALU_DEP_2) | instskip(NEXT) | instid1(VALU_DEP_1)
	v_sub_nc_u32_e32 v13, v56, v3
	v_add_nc_u32_e32 v11, v13, v18
	s_delay_alu instid0(VALU_DEP_1) | instskip(NEXT) | instid1(VALU_DEP_1)
	v_sub_nc_u32_e32 v11, v87, v11
	v_add_nc_u32_e32 v11, 11, v11
	s_wait_alu 0xfffd
	s_delay_alu instid0(VALU_DEP_1) | instskip(SKIP_2) | instid1(VALU_DEP_2)
	v_cndmask_b32_e32 v11, v11, v18, vcc_lo
	v_add_nc_u32_e32 v77, v56, v50
	v_cmp_eq_u32_e32 vcc_lo, 1, v7
	v_sub_nc_u32_e32 v3, v77, v3
	s_wait_alu 0xfffd
	v_cndmask_b32_e32 v7, v14, v17, vcc_lo
	v_cmp_eq_u32_e32 vcc_lo, 1, v15
	v_and_b32_e32 v15, 1, v49
	v_add_nc_u32_e32 v16, v3, v19
	s_delay_alu instid0(VALU_DEP_4) | instskip(SKIP_4) | instid1(VALU_DEP_3)
	v_lshlrev_b32_e32 v7, 2, v7
	s_wait_alu 0xfffd
	v_cndmask_b32_e32 v11, v11, v13, vcc_lo
	v_and_b32_e32 v13, 1, v48
	v_sub_nc_u32_e32 v14, v87, v16
	v_lshlrev_b32_e32 v11, 2, v11
	s_delay_alu instid0(VALU_DEP_3)
	v_cmp_eq_u32_e32 vcc_lo, 1, v13
	ds_store_b32 v8, v12
	ds_store_b32 v7, v9
	;; [unrolled: 1-line block ×3, first 2 shown]
	v_add_nc_u32_e32 v14, 12, v14
	v_add_co_u32 v7, s0, v2, v84
	s_wait_alu 0xf1ff
	v_add_co_ci_u32_e64 v8, null, 0, 0, s0
	s_wait_alu 0xfffd
	v_cndmask_b32_e32 v13, v14, v19, vcc_lo
	v_cmp_eq_u32_e32 vcc_lo, 1, v15
	s_wait_alu 0xfffe
	s_add_nc_u64 s[0:1], s[34:35], s[40:41]
	v_lshlrev_b64_e32 v[9:10], 2, v[5:6]
	v_add_nc_u32_e32 v12, v1, v2
	s_wait_alu 0xfffd
	v_cndmask_b32_e32 v3, v13, v3, vcc_lo
	v_add_co_u32 v7, vcc_lo, v7, v41
	s_wait_alu 0xfffd
	v_add_co_ci_u32_e64 v8, null, v8, v42, vcc_lo
	s_delay_alu instid0(VALU_DEP_3)
	v_lshlrev_b32_e32 v3, 2, v3
	ds_store_b32 v3, v40
	v_add_co_u32 v3, vcc_lo, v7, v5
	s_wait_alu 0xfffd
	v_add_co_ci_u32_e64 v7, null, v8, v6, vcc_lo
	s_wait_loadcnt_dscnt 0x0
	s_wait_alu 0xfffe
	v_sub_co_u32 v3, vcc_lo, s0, v3
	s_wait_alu 0xfffd
	v_sub_co_ci_u32_e64 v11, null, s1, v7, vcc_lo
	v_lshlrev_b64_e32 v[7:8], 2, v[41:42]
	v_add_co_u32 v9, s0, s36, v9
	s_wait_alu 0xf1ff
	v_add_co_ci_u32_e64 v10, null, s37, v10, s0
	s_mov_b32 s0, -1
	v_add_co_u32 v7, vcc_lo, s38, v7
	s_wait_alu 0xfffd
	v_add_co_ci_u32_e64 v8, null, s39, v8, vcc_lo
	v_cmp_ne_u32_e32 vcc_lo, 1, v39
	s_barrier_signal -1
	s_barrier_wait -1
	global_inv scope:SCOPE_SE
	s_cbranch_vccz .LBB1162_150
; %bb.147:
	s_wait_alu 0xfffe
	s_and_b32 vcc_lo, exec_lo, s0
	s_wait_alu 0xfffe
	s_cbranch_vccnz .LBB1162_255
.LBB1162_148:
	v_cmp_eq_u32_e32 vcc_lo, 0, v0
	s_and_b32 s0, vcc_lo, s15
	s_wait_alu 0xfffe
	s_and_saveexec_b32 s1, s0
	s_cbranch_execnz .LBB1162_373
.LBB1162_149:
	s_endpgm
.LBB1162_150:
	s_mov_b32 s0, exec_lo
	v_cmpx_ge_u32_e64 v0, v1
	s_wait_alu 0xfffe
	s_xor_b32 s0, exec_lo, s0
	s_cbranch_execz .LBB1162_156
; %bb.151:
	s_mov_b32 s1, exec_lo
	v_cmpx_ge_u32_e64 v0, v12
	s_wait_alu 0xfffe
	s_xor_b32 s1, exec_lo, s1
	s_cbranch_execz .LBB1162_153
; %bb.152:
	v_lshlrev_b32_e32 v13, 2, v0
	ds_load_b32 v15, v13
	v_add_co_u32 v13, vcc_lo, v3, v0
	s_wait_alu 0xfffd
	v_add_co_ci_u32_e64 v14, null, 0, v11, vcc_lo
	s_delay_alu instid0(VALU_DEP_1) | instskip(NEXT) | instid1(VALU_DEP_1)
	v_lshlrev_b64_e32 v[13:14], 2, v[13:14]
	v_sub_co_u32 v13, vcc_lo, s26, v13
	s_wait_alu 0xfffd
	s_delay_alu instid0(VALU_DEP_2)
	v_sub_co_ci_u32_e64 v14, null, s27, v14, vcc_lo
	s_wait_dscnt 0x0
	global_store_b32 v[13:14], v15, off offset:-4
.LBB1162_153:
	s_wait_alu 0xfffe
	s_and_not1_saveexec_b32 s1, s1
	s_cbranch_execz .LBB1162_155
; %bb.154:
	v_lshlrev_b32_e32 v13, 2, v0
	v_readfirstlane_b32 s2, v7
	v_readfirstlane_b32 s3, v8
	ds_load_b32 v14, v13
	s_wait_dscnt 0x0
	global_store_b32 v13, v14, s[2:3]
.LBB1162_155:
	s_wait_alu 0xfffe
	s_or_b32 exec_lo, exec_lo, s1
.LBB1162_156:
	s_wait_alu 0xfffe
	s_and_not1_saveexec_b32 s0, s0
	s_cbranch_execz .LBB1162_158
; %bb.157:
	v_lshlrev_b32_e32 v13, 2, v0
	v_readfirstlane_b32 s2, v9
	v_readfirstlane_b32 s3, v10
	ds_load_b32 v14, v13
	s_wait_dscnt 0x0
	global_store_b32 v13, v14, s[2:3]
.LBB1162_158:
	s_wait_alu 0xfffe
	s_or_b32 exec_lo, exec_lo, s0
	s_delay_alu instid0(SALU_CYCLE_1)
	s_mov_b32 s0, exec_lo
	v_cmpx_ge_u32_e64 v38, v1
	s_wait_alu 0xfffe
	s_xor_b32 s0, exec_lo, s0
	s_cbranch_execz .LBB1162_164
; %bb.159:
	s_mov_b32 s1, exec_lo
	v_cmpx_ge_u32_e64 v38, v12
	s_wait_alu 0xfffe
	s_xor_b32 s1, exec_lo, s1
	s_cbranch_execz .LBB1162_161
; %bb.160:
	v_lshlrev_b32_e32 v13, 2, v0
	ds_load_b32 v15, v13 offset:1024
	v_add_co_u32 v13, vcc_lo, v3, v0
	s_wait_alu 0xfffd
	v_add_co_ci_u32_e64 v14, null, 0, v11, vcc_lo
	s_delay_alu instid0(VALU_DEP_1) | instskip(NEXT) | instid1(VALU_DEP_1)
	v_lshlrev_b64_e32 v[13:14], 2, v[13:14]
	v_sub_co_u32 v13, vcc_lo, s26, v13
	s_wait_alu 0xfffd
	s_delay_alu instid0(VALU_DEP_2)
	v_sub_co_ci_u32_e64 v14, null, s27, v14, vcc_lo
	s_wait_dscnt 0x0
	global_store_b32 v[13:14], v15, off offset:-1028
.LBB1162_161:
	s_wait_alu 0xfffe
	s_and_not1_saveexec_b32 s1, s1
	s_cbranch_execz .LBB1162_163
; %bb.162:
	v_lshlrev_b32_e32 v13, 2, v0
	v_readfirstlane_b32 s2, v7
	v_readfirstlane_b32 s3, v8
	ds_load_b32 v14, v13 offset:1024
	s_wait_dscnt 0x0
	global_store_b32 v13, v14, s[2:3] offset:1024
.LBB1162_163:
	s_wait_alu 0xfffe
	s_or_b32 exec_lo, exec_lo, s1
.LBB1162_164:
	s_wait_alu 0xfffe
	s_and_not1_saveexec_b32 s0, s0
	s_cbranch_execz .LBB1162_166
; %bb.165:
	v_lshlrev_b32_e32 v13, 2, v0
	v_readfirstlane_b32 s2, v9
	v_readfirstlane_b32 s3, v10
	ds_load_b32 v14, v13 offset:1024
	s_wait_dscnt 0x0
	global_store_b32 v13, v14, s[2:3] offset:1024
.LBB1162_166:
	s_wait_alu 0xfffe
	s_or_b32 exec_lo, exec_lo, s0
	s_delay_alu instid0(SALU_CYCLE_1)
	s_mov_b32 s0, exec_lo
	v_cmpx_ge_u32_e64 v37, v1
	s_wait_alu 0xfffe
	s_xor_b32 s0, exec_lo, s0
	s_cbranch_execz .LBB1162_172
; %bb.167:
	s_mov_b32 s1, exec_lo
	v_cmpx_ge_u32_e64 v37, v12
	s_wait_alu 0xfffe
	s_xor_b32 s1, exec_lo, s1
	s_cbranch_execz .LBB1162_169
; %bb.168:
	v_lshlrev_b32_e32 v13, 2, v0
	ds_load_b32 v15, v13 offset:2048
	v_add_co_u32 v13, vcc_lo, v3, v0
	s_wait_alu 0xfffd
	v_add_co_ci_u32_e64 v14, null, 0, v11, vcc_lo
	s_delay_alu instid0(VALU_DEP_1) | instskip(NEXT) | instid1(VALU_DEP_1)
	v_lshlrev_b64_e32 v[13:14], 2, v[13:14]
	v_sub_co_u32 v13, vcc_lo, s26, v13
	s_wait_alu 0xfffd
	s_delay_alu instid0(VALU_DEP_2)
	v_sub_co_ci_u32_e64 v14, null, s27, v14, vcc_lo
	s_wait_dscnt 0x0
	global_store_b32 v[13:14], v15, off offset:-2052
.LBB1162_169:
	s_wait_alu 0xfffe
	s_and_not1_saveexec_b32 s1, s1
	s_cbranch_execz .LBB1162_171
; %bb.170:
	v_lshlrev_b32_e32 v13, 2, v0
	v_readfirstlane_b32 s2, v7
	v_readfirstlane_b32 s3, v8
	ds_load_b32 v14, v13 offset:2048
	s_wait_dscnt 0x0
	global_store_b32 v13, v14, s[2:3] offset:2048
.LBB1162_171:
	s_wait_alu 0xfffe
	s_or_b32 exec_lo, exec_lo, s1
.LBB1162_172:
	s_wait_alu 0xfffe
	s_and_not1_saveexec_b32 s0, s0
	s_cbranch_execz .LBB1162_174
; %bb.173:
	v_lshlrev_b32_e32 v13, 2, v0
	v_readfirstlane_b32 s2, v9
	v_readfirstlane_b32 s3, v10
	ds_load_b32 v14, v13 offset:2048
	s_wait_dscnt 0x0
	global_store_b32 v13, v14, s[2:3] offset:2048
.LBB1162_174:
	;; [unrolled: 54-line block ×12, first 2 shown]
	s_wait_alu 0xfffe
	s_or_b32 exec_lo, exec_lo, s0
	s_branch .LBB1162_148
.LBB1162_255:
	s_mov_b32 s0, exec_lo
	v_cmpx_gt_u32_e64 s33, v0
	s_cbranch_execz .LBB1162_264
; %bb.256:
	s_mov_b32 s1, exec_lo
	v_cmpx_ge_u32_e64 v0, v1
	s_wait_alu 0xfffe
	s_xor_b32 s1, exec_lo, s1
	s_cbranch_execz .LBB1162_262
; %bb.257:
	s_mov_b32 s2, exec_lo
	v_cmpx_ge_u32_e64 v0, v12
	s_wait_alu 0xfffe
	s_xor_b32 s2, exec_lo, s2
	s_cbranch_execz .LBB1162_259
; %bb.258:
	v_lshlrev_b32_e32 v13, 2, v0
	ds_load_b32 v15, v13
	v_add_co_u32 v13, vcc_lo, v3, v0
	s_wait_alu 0xfffd
	v_add_co_ci_u32_e64 v14, null, 0, v11, vcc_lo
	s_delay_alu instid0(VALU_DEP_1) | instskip(NEXT) | instid1(VALU_DEP_1)
	v_lshlrev_b64_e32 v[13:14], 2, v[13:14]
	v_sub_co_u32 v13, vcc_lo, s26, v13
	s_wait_alu 0xfffd
	s_delay_alu instid0(VALU_DEP_2)
	v_sub_co_ci_u32_e64 v14, null, s27, v14, vcc_lo
	s_wait_dscnt 0x0
	global_store_b32 v[13:14], v15, off offset:-4
.LBB1162_259:
	s_wait_alu 0xfffe
	s_and_not1_saveexec_b32 s2, s2
	s_cbranch_execz .LBB1162_261
; %bb.260:
	v_lshlrev_b32_e32 v13, 2, v0
	v_readfirstlane_b32 s4, v7
	v_readfirstlane_b32 s5, v8
	ds_load_b32 v14, v13
	s_wait_dscnt 0x0
	global_store_b32 v13, v14, s[4:5]
.LBB1162_261:
	s_wait_alu 0xfffe
	s_or_b32 exec_lo, exec_lo, s2
.LBB1162_262:
	s_wait_alu 0xfffe
	s_and_not1_saveexec_b32 s1, s1
	s_cbranch_execz .LBB1162_264
; %bb.263:
	v_lshlrev_b32_e32 v13, 2, v0
	v_readfirstlane_b32 s2, v9
	v_readfirstlane_b32 s3, v10
	ds_load_b32 v14, v13
	s_wait_dscnt 0x0
	global_store_b32 v13, v14, s[2:3]
.LBB1162_264:
	s_wait_alu 0xfffe
	s_or_b32 exec_lo, exec_lo, s0
	s_delay_alu instid0(SALU_CYCLE_1)
	s_mov_b32 s0, exec_lo
	v_cmpx_gt_u32_e64 s33, v38
	s_cbranch_execz .LBB1162_273
; %bb.265:
	s_mov_b32 s1, exec_lo
	v_cmpx_ge_u32_e64 v38, v1
	s_wait_alu 0xfffe
	s_xor_b32 s1, exec_lo, s1
	s_cbranch_execz .LBB1162_271
; %bb.266:
	s_mov_b32 s2, exec_lo
	v_cmpx_ge_u32_e64 v38, v12
	s_wait_alu 0xfffe
	s_xor_b32 s2, exec_lo, s2
	s_cbranch_execz .LBB1162_268
; %bb.267:
	v_lshlrev_b32_e32 v13, 2, v0
	ds_load_b32 v15, v13 offset:1024
	v_add_co_u32 v13, vcc_lo, v3, v0
	s_wait_alu 0xfffd
	v_add_co_ci_u32_e64 v14, null, 0, v11, vcc_lo
	s_delay_alu instid0(VALU_DEP_1) | instskip(NEXT) | instid1(VALU_DEP_1)
	v_lshlrev_b64_e32 v[13:14], 2, v[13:14]
	v_sub_co_u32 v13, vcc_lo, s26, v13
	s_wait_alu 0xfffd
	s_delay_alu instid0(VALU_DEP_2)
	v_sub_co_ci_u32_e64 v14, null, s27, v14, vcc_lo
	s_wait_dscnt 0x0
	global_store_b32 v[13:14], v15, off offset:-1028
.LBB1162_268:
	s_wait_alu 0xfffe
	s_and_not1_saveexec_b32 s2, s2
	s_cbranch_execz .LBB1162_270
; %bb.269:
	v_lshlrev_b32_e32 v13, 2, v0
	v_readfirstlane_b32 s4, v7
	v_readfirstlane_b32 s5, v8
	ds_load_b32 v14, v13 offset:1024
	s_wait_dscnt 0x0
	global_store_b32 v13, v14, s[4:5] offset:1024
.LBB1162_270:
	s_wait_alu 0xfffe
	s_or_b32 exec_lo, exec_lo, s2
.LBB1162_271:
	s_wait_alu 0xfffe
	s_and_not1_saveexec_b32 s1, s1
	s_cbranch_execz .LBB1162_273
; %bb.272:
	v_lshlrev_b32_e32 v13, 2, v0
	v_readfirstlane_b32 s2, v9
	v_readfirstlane_b32 s3, v10
	ds_load_b32 v14, v13 offset:1024
	s_wait_dscnt 0x0
	global_store_b32 v13, v14, s[2:3] offset:1024
.LBB1162_273:
	s_wait_alu 0xfffe
	s_or_b32 exec_lo, exec_lo, s0
	s_delay_alu instid0(SALU_CYCLE_1)
	s_mov_b32 s0, exec_lo
	v_cmpx_gt_u32_e64 s33, v37
	s_cbranch_execz .LBB1162_282
; %bb.274:
	s_mov_b32 s1, exec_lo
	v_cmpx_ge_u32_e64 v37, v1
	s_wait_alu 0xfffe
	s_xor_b32 s1, exec_lo, s1
	s_cbranch_execz .LBB1162_280
; %bb.275:
	s_mov_b32 s2, exec_lo
	v_cmpx_ge_u32_e64 v37, v12
	s_wait_alu 0xfffe
	s_xor_b32 s2, exec_lo, s2
	s_cbranch_execz .LBB1162_277
; %bb.276:
	v_lshlrev_b32_e32 v13, 2, v0
	ds_load_b32 v15, v13 offset:2048
	v_add_co_u32 v13, vcc_lo, v3, v0
	s_wait_alu 0xfffd
	v_add_co_ci_u32_e64 v14, null, 0, v11, vcc_lo
	s_delay_alu instid0(VALU_DEP_1) | instskip(NEXT) | instid1(VALU_DEP_1)
	v_lshlrev_b64_e32 v[13:14], 2, v[13:14]
	v_sub_co_u32 v13, vcc_lo, s26, v13
	s_wait_alu 0xfffd
	s_delay_alu instid0(VALU_DEP_2)
	v_sub_co_ci_u32_e64 v14, null, s27, v14, vcc_lo
	s_wait_dscnt 0x0
	global_store_b32 v[13:14], v15, off offset:-2052
.LBB1162_277:
	s_wait_alu 0xfffe
	s_and_not1_saveexec_b32 s2, s2
	s_cbranch_execz .LBB1162_279
; %bb.278:
	v_lshlrev_b32_e32 v13, 2, v0
	v_readfirstlane_b32 s4, v7
	v_readfirstlane_b32 s5, v8
	ds_load_b32 v14, v13 offset:2048
	s_wait_dscnt 0x0
	global_store_b32 v13, v14, s[4:5] offset:2048
.LBB1162_279:
	s_wait_alu 0xfffe
	s_or_b32 exec_lo, exec_lo, s2
.LBB1162_280:
	s_wait_alu 0xfffe
	s_and_not1_saveexec_b32 s1, s1
	s_cbranch_execz .LBB1162_282
; %bb.281:
	v_lshlrev_b32_e32 v13, 2, v0
	v_readfirstlane_b32 s2, v9
	v_readfirstlane_b32 s3, v10
	ds_load_b32 v14, v13 offset:2048
	s_wait_dscnt 0x0
	global_store_b32 v13, v14, s[2:3] offset:2048
.LBB1162_282:
	;; [unrolled: 58-line block ×11, first 2 shown]
	s_wait_alu 0xfffe
	s_or_b32 exec_lo, exec_lo, s0
	s_delay_alu instid0(SALU_CYCLE_1)
	s_mov_b32 s0, exec_lo
	v_cmpx_gt_u32_e64 s33, v27
	s_cbranch_execz .LBB1162_372
; %bb.364:
	s_mov_b32 s1, exec_lo
	v_cmpx_ge_u32_e64 v27, v1
	s_wait_alu 0xfffe
	s_xor_b32 s1, exec_lo, s1
	s_cbranch_execz .LBB1162_370
; %bb.365:
	s_mov_b32 s2, exec_lo
	v_cmpx_ge_u32_e64 v27, v12
	s_wait_alu 0xfffe
	s_xor_b32 s2, exec_lo, s2
	s_cbranch_execz .LBB1162_367
; %bb.366:
	v_lshlrev_b32_e32 v7, 2, v0
	ds_load_b32 v9, v7 offset:12288
	v_add_co_u32 v7, vcc_lo, v3, v0
	s_wait_alu 0xfffd
	v_add_co_ci_u32_e64 v8, null, 0, v11, vcc_lo
	s_delay_alu instid0(VALU_DEP_1) | instskip(NEXT) | instid1(VALU_DEP_1)
	v_lshlrev_b64_e32 v[7:8], 2, v[7:8]
	v_sub_co_u32 v7, vcc_lo, s26, v7
	s_wait_alu 0xfffd
	s_delay_alu instid0(VALU_DEP_2)
	v_sub_co_ci_u32_e64 v8, null, s27, v8, vcc_lo
	s_wait_dscnt 0x0
	global_store_b32 v[7:8], v9, off offset:-12292
                                        ; implicit-def: $vgpr7_vgpr8
.LBB1162_367:
	s_wait_alu 0xfffe
	s_and_not1_saveexec_b32 s2, s2
	s_cbranch_execz .LBB1162_369
; %bb.368:
	v_lshlrev_b32_e32 v3, 2, v0
	v_readfirstlane_b32 s4, v7
	v_readfirstlane_b32 s5, v8
	ds_load_b32 v9, v3 offset:12288
	s_wait_dscnt 0x0
	global_store_b32 v3, v9, s[4:5] offset:12288
.LBB1162_369:
	s_wait_alu 0xfffe
	s_or_b32 exec_lo, exec_lo, s2
                                        ; implicit-def: $vgpr9_vgpr10
.LBB1162_370:
	s_wait_alu 0xfffe
	s_and_not1_saveexec_b32 s1, s1
	s_cbranch_execz .LBB1162_372
; %bb.371:
	v_lshlrev_b32_e32 v3, 2, v0
	v_readfirstlane_b32 s2, v9
	v_readfirstlane_b32 s3, v10
	ds_load_b32 v7, v3 offset:12288
	s_wait_dscnt 0x0
	global_store_b32 v3, v7, s[2:3] offset:12288
.LBB1162_372:
	s_wait_alu 0xfffe
	s_or_b32 exec_lo, exec_lo, s0
	v_cmp_eq_u32_e32 vcc_lo, 0, v0
	s_and_b32 s0, vcc_lo, s15
	s_wait_alu 0xfffe
	s_and_saveexec_b32 s1, s0
	s_cbranch_execz .LBB1162_149
.LBB1162_373:
	v_add_co_u32 v0, s0, s30, v2
	s_wait_alu 0xf1ff
	v_add_co_ci_u32_e64 v3, null, s31, 0, s0
	v_mov_b32_e32 v7, 0
	s_delay_alu instid0(VALU_DEP_3) | instskip(SKIP_1) | instid1(VALU_DEP_3)
	v_add_co_u32 v2, vcc_lo, v0, v4
	s_wait_alu 0xfffd
	v_add_co_ci_u32_e64 v3, null, 0, v3, vcc_lo
	v_add_co_u32 v0, vcc_lo, v5, v1
	s_wait_alu 0xfffd
	v_add_co_ci_u32_e64 v1, null, 0, v6, vcc_lo
	global_store_b128 v7, v[0:3], s[24:25]
	s_endpgm
.LBB1162_374:
	s_add_co_i32 s8, ttmp9, 32
	s_mov_b32 s9, 0
	v_dual_mov_b32 v7, 2 :: v_dual_add_nc_u32 v6, v4, v2
	s_wait_alu 0xfffe
	s_lshl_b64 s[8:9], s[8:9], 4
	v_dual_mov_b32 v8, 0 :: v_dual_add_nc_u32 v5, v3, v1
	s_wait_alu 0xfffe
	s_add_nc_u64 s[8:9], s[4:5], s[8:9]
	s_wait_alu 0xfffe
	v_dual_mov_b32 v24, s9 :: v_dual_mov_b32 v23, s8
	;;#ASMSTART
	global_store_b128 v[23:24], v[5:8] off scope:SCOPE_DEV	
s_wait_storecnt 0x0
	;;#ASMEND
	s_or_b32 exec_lo, exec_lo, s6
	s_and_saveexec_b32 s6, s2
	s_cbranch_execz .LBB1162_134
.LBB1162_375:
	v_mov_b32_e32 v5, 0
	ds_store_b128 v5, v[1:4] offset:13312
	s_wait_alu 0xfffe
	s_or_b32 exec_lo, exec_lo, s6
	v_cmp_eq_u32_e32 vcc_lo, 0, v0
	s_and_b32 exec_lo, exec_lo, vcc_lo
	s_cbranch_execnz .LBB1162_135
	s_branch .LBB1162_136
	.section	.rodata,"a",@progbits
	.p2align	6, 0x0
	.amdhsa_kernel _ZN7rocprim17ROCPRIM_400000_NS6detail17trampoline_kernelINS0_13select_configILj256ELj13ELNS0_17block_load_methodE3ELS4_3ELS4_3ELNS0_20block_scan_algorithmE0ELj4294967295EEENS1_25partition_config_selectorILNS1_17partition_subalgoE4EjNS0_10empty_typeEbEEZZNS1_14partition_implILS8_4ELb0ES6_15HIP_vector_typeIjLj2EENS0_17counting_iteratorIjlEEPS9_SG_NS0_5tupleIJPjSI_NS0_16reverse_iteratorISI_EEEEENSH_IJSG_SG_SG_EEES9_SI_JZNS1_25segmented_radix_sort_implINS0_14default_configELb0EPKdPdPKlPlN2at6native12_GLOBAL__N_18offset_tEEE10hipError_tPvRmT1_PNSt15iterator_traitsIS12_E10value_typeET2_T3_PNS13_IS18_E10value_typeET4_jRbjT5_S1E_jjP12ihipStream_tbEUljE_ZNSN_ISO_Lb0ESQ_SR_ST_SU_SY_EESZ_S10_S11_S12_S16_S17_S18_S1B_S1C_jS1D_jS1E_S1E_jjS1G_bEUljE0_EEESZ_S10_S11_S18_S1C_S1E_T6_T7_T9_mT8_S1G_bDpT10_ENKUlT_T0_E_clISt17integral_constantIbLb0EES1U_EEDaS1P_S1Q_EUlS1P_E_NS1_11comp_targetILNS1_3genE10ELNS1_11target_archE1200ELNS1_3gpuE4ELNS1_3repE0EEENS1_30default_config_static_selectorELNS0_4arch9wavefront6targetE0EEEvS12_
		.amdhsa_group_segment_fixed_size 13328
		.amdhsa_private_segment_fixed_size 0
		.amdhsa_kernarg_size 176
		.amdhsa_user_sgpr_count 2
		.amdhsa_user_sgpr_dispatch_ptr 0
		.amdhsa_user_sgpr_queue_ptr 0
		.amdhsa_user_sgpr_kernarg_segment_ptr 1
		.amdhsa_user_sgpr_dispatch_id 0
		.amdhsa_user_sgpr_private_segment_size 0
		.amdhsa_wavefront_size32 1
		.amdhsa_uses_dynamic_stack 0
		.amdhsa_enable_private_segment 0
		.amdhsa_system_sgpr_workgroup_id_x 1
		.amdhsa_system_sgpr_workgroup_id_y 0
		.amdhsa_system_sgpr_workgroup_id_z 0
		.amdhsa_system_sgpr_workgroup_info 0
		.amdhsa_system_vgpr_workitem_id 0
		.amdhsa_next_free_vgpr 93
		.amdhsa_next_free_sgpr 58
		.amdhsa_reserve_vcc 1
		.amdhsa_float_round_mode_32 0
		.amdhsa_float_round_mode_16_64 0
		.amdhsa_float_denorm_mode_32 3
		.amdhsa_float_denorm_mode_16_64 3
		.amdhsa_fp16_overflow 0
		.amdhsa_workgroup_processor_mode 1
		.amdhsa_memory_ordered 1
		.amdhsa_forward_progress 1
		.amdhsa_inst_pref_size 148
		.amdhsa_round_robin_scheduling 0
		.amdhsa_exception_fp_ieee_invalid_op 0
		.amdhsa_exception_fp_denorm_src 0
		.amdhsa_exception_fp_ieee_div_zero 0
		.amdhsa_exception_fp_ieee_overflow 0
		.amdhsa_exception_fp_ieee_underflow 0
		.amdhsa_exception_fp_ieee_inexact 0
		.amdhsa_exception_int_div_zero 0
	.end_amdhsa_kernel
	.section	.text._ZN7rocprim17ROCPRIM_400000_NS6detail17trampoline_kernelINS0_13select_configILj256ELj13ELNS0_17block_load_methodE3ELS4_3ELS4_3ELNS0_20block_scan_algorithmE0ELj4294967295EEENS1_25partition_config_selectorILNS1_17partition_subalgoE4EjNS0_10empty_typeEbEEZZNS1_14partition_implILS8_4ELb0ES6_15HIP_vector_typeIjLj2EENS0_17counting_iteratorIjlEEPS9_SG_NS0_5tupleIJPjSI_NS0_16reverse_iteratorISI_EEEEENSH_IJSG_SG_SG_EEES9_SI_JZNS1_25segmented_radix_sort_implINS0_14default_configELb0EPKdPdPKlPlN2at6native12_GLOBAL__N_18offset_tEEE10hipError_tPvRmT1_PNSt15iterator_traitsIS12_E10value_typeET2_T3_PNS13_IS18_E10value_typeET4_jRbjT5_S1E_jjP12ihipStream_tbEUljE_ZNSN_ISO_Lb0ESQ_SR_ST_SU_SY_EESZ_S10_S11_S12_S16_S17_S18_S1B_S1C_jS1D_jS1E_S1E_jjS1G_bEUljE0_EEESZ_S10_S11_S18_S1C_S1E_T6_T7_T9_mT8_S1G_bDpT10_ENKUlT_T0_E_clISt17integral_constantIbLb0EES1U_EEDaS1P_S1Q_EUlS1P_E_NS1_11comp_targetILNS1_3genE10ELNS1_11target_archE1200ELNS1_3gpuE4ELNS1_3repE0EEENS1_30default_config_static_selectorELNS0_4arch9wavefront6targetE0EEEvS12_,"axG",@progbits,_ZN7rocprim17ROCPRIM_400000_NS6detail17trampoline_kernelINS0_13select_configILj256ELj13ELNS0_17block_load_methodE3ELS4_3ELS4_3ELNS0_20block_scan_algorithmE0ELj4294967295EEENS1_25partition_config_selectorILNS1_17partition_subalgoE4EjNS0_10empty_typeEbEEZZNS1_14partition_implILS8_4ELb0ES6_15HIP_vector_typeIjLj2EENS0_17counting_iteratorIjlEEPS9_SG_NS0_5tupleIJPjSI_NS0_16reverse_iteratorISI_EEEEENSH_IJSG_SG_SG_EEES9_SI_JZNS1_25segmented_radix_sort_implINS0_14default_configELb0EPKdPdPKlPlN2at6native12_GLOBAL__N_18offset_tEEE10hipError_tPvRmT1_PNSt15iterator_traitsIS12_E10value_typeET2_T3_PNS13_IS18_E10value_typeET4_jRbjT5_S1E_jjP12ihipStream_tbEUljE_ZNSN_ISO_Lb0ESQ_SR_ST_SU_SY_EESZ_S10_S11_S12_S16_S17_S18_S1B_S1C_jS1D_jS1E_S1E_jjS1G_bEUljE0_EEESZ_S10_S11_S18_S1C_S1E_T6_T7_T9_mT8_S1G_bDpT10_ENKUlT_T0_E_clISt17integral_constantIbLb0EES1U_EEDaS1P_S1Q_EUlS1P_E_NS1_11comp_targetILNS1_3genE10ELNS1_11target_archE1200ELNS1_3gpuE4ELNS1_3repE0EEENS1_30default_config_static_selectorELNS0_4arch9wavefront6targetE0EEEvS12_,comdat
.Lfunc_end1162:
	.size	_ZN7rocprim17ROCPRIM_400000_NS6detail17trampoline_kernelINS0_13select_configILj256ELj13ELNS0_17block_load_methodE3ELS4_3ELS4_3ELNS0_20block_scan_algorithmE0ELj4294967295EEENS1_25partition_config_selectorILNS1_17partition_subalgoE4EjNS0_10empty_typeEbEEZZNS1_14partition_implILS8_4ELb0ES6_15HIP_vector_typeIjLj2EENS0_17counting_iteratorIjlEEPS9_SG_NS0_5tupleIJPjSI_NS0_16reverse_iteratorISI_EEEEENSH_IJSG_SG_SG_EEES9_SI_JZNS1_25segmented_radix_sort_implINS0_14default_configELb0EPKdPdPKlPlN2at6native12_GLOBAL__N_18offset_tEEE10hipError_tPvRmT1_PNSt15iterator_traitsIS12_E10value_typeET2_T3_PNS13_IS18_E10value_typeET4_jRbjT5_S1E_jjP12ihipStream_tbEUljE_ZNSN_ISO_Lb0ESQ_SR_ST_SU_SY_EESZ_S10_S11_S12_S16_S17_S18_S1B_S1C_jS1D_jS1E_S1E_jjS1G_bEUljE0_EEESZ_S10_S11_S18_S1C_S1E_T6_T7_T9_mT8_S1G_bDpT10_ENKUlT_T0_E_clISt17integral_constantIbLb0EES1U_EEDaS1P_S1Q_EUlS1P_E_NS1_11comp_targetILNS1_3genE10ELNS1_11target_archE1200ELNS1_3gpuE4ELNS1_3repE0EEENS1_30default_config_static_selectorELNS0_4arch9wavefront6targetE0EEEvS12_, .Lfunc_end1162-_ZN7rocprim17ROCPRIM_400000_NS6detail17trampoline_kernelINS0_13select_configILj256ELj13ELNS0_17block_load_methodE3ELS4_3ELS4_3ELNS0_20block_scan_algorithmE0ELj4294967295EEENS1_25partition_config_selectorILNS1_17partition_subalgoE4EjNS0_10empty_typeEbEEZZNS1_14partition_implILS8_4ELb0ES6_15HIP_vector_typeIjLj2EENS0_17counting_iteratorIjlEEPS9_SG_NS0_5tupleIJPjSI_NS0_16reverse_iteratorISI_EEEEENSH_IJSG_SG_SG_EEES9_SI_JZNS1_25segmented_radix_sort_implINS0_14default_configELb0EPKdPdPKlPlN2at6native12_GLOBAL__N_18offset_tEEE10hipError_tPvRmT1_PNSt15iterator_traitsIS12_E10value_typeET2_T3_PNS13_IS18_E10value_typeET4_jRbjT5_S1E_jjP12ihipStream_tbEUljE_ZNSN_ISO_Lb0ESQ_SR_ST_SU_SY_EESZ_S10_S11_S12_S16_S17_S18_S1B_S1C_jS1D_jS1E_S1E_jjS1G_bEUljE0_EEESZ_S10_S11_S18_S1C_S1E_T6_T7_T9_mT8_S1G_bDpT10_ENKUlT_T0_E_clISt17integral_constantIbLb0EES1U_EEDaS1P_S1Q_EUlS1P_E_NS1_11comp_targetILNS1_3genE10ELNS1_11target_archE1200ELNS1_3gpuE4ELNS1_3repE0EEENS1_30default_config_static_selectorELNS0_4arch9wavefront6targetE0EEEvS12_
                                        ; -- End function
	.set _ZN7rocprim17ROCPRIM_400000_NS6detail17trampoline_kernelINS0_13select_configILj256ELj13ELNS0_17block_load_methodE3ELS4_3ELS4_3ELNS0_20block_scan_algorithmE0ELj4294967295EEENS1_25partition_config_selectorILNS1_17partition_subalgoE4EjNS0_10empty_typeEbEEZZNS1_14partition_implILS8_4ELb0ES6_15HIP_vector_typeIjLj2EENS0_17counting_iteratorIjlEEPS9_SG_NS0_5tupleIJPjSI_NS0_16reverse_iteratorISI_EEEEENSH_IJSG_SG_SG_EEES9_SI_JZNS1_25segmented_radix_sort_implINS0_14default_configELb0EPKdPdPKlPlN2at6native12_GLOBAL__N_18offset_tEEE10hipError_tPvRmT1_PNSt15iterator_traitsIS12_E10value_typeET2_T3_PNS13_IS18_E10value_typeET4_jRbjT5_S1E_jjP12ihipStream_tbEUljE_ZNSN_ISO_Lb0ESQ_SR_ST_SU_SY_EESZ_S10_S11_S12_S16_S17_S18_S1B_S1C_jS1D_jS1E_S1E_jjS1G_bEUljE0_EEESZ_S10_S11_S18_S1C_S1E_T6_T7_T9_mT8_S1G_bDpT10_ENKUlT_T0_E_clISt17integral_constantIbLb0EES1U_EEDaS1P_S1Q_EUlS1P_E_NS1_11comp_targetILNS1_3genE10ELNS1_11target_archE1200ELNS1_3gpuE4ELNS1_3repE0EEENS1_30default_config_static_selectorELNS0_4arch9wavefront6targetE0EEEvS12_.num_vgpr, 93
	.set _ZN7rocprim17ROCPRIM_400000_NS6detail17trampoline_kernelINS0_13select_configILj256ELj13ELNS0_17block_load_methodE3ELS4_3ELS4_3ELNS0_20block_scan_algorithmE0ELj4294967295EEENS1_25partition_config_selectorILNS1_17partition_subalgoE4EjNS0_10empty_typeEbEEZZNS1_14partition_implILS8_4ELb0ES6_15HIP_vector_typeIjLj2EENS0_17counting_iteratorIjlEEPS9_SG_NS0_5tupleIJPjSI_NS0_16reverse_iteratorISI_EEEEENSH_IJSG_SG_SG_EEES9_SI_JZNS1_25segmented_radix_sort_implINS0_14default_configELb0EPKdPdPKlPlN2at6native12_GLOBAL__N_18offset_tEEE10hipError_tPvRmT1_PNSt15iterator_traitsIS12_E10value_typeET2_T3_PNS13_IS18_E10value_typeET4_jRbjT5_S1E_jjP12ihipStream_tbEUljE_ZNSN_ISO_Lb0ESQ_SR_ST_SU_SY_EESZ_S10_S11_S12_S16_S17_S18_S1B_S1C_jS1D_jS1E_S1E_jjS1G_bEUljE0_EEESZ_S10_S11_S18_S1C_S1E_T6_T7_T9_mT8_S1G_bDpT10_ENKUlT_T0_E_clISt17integral_constantIbLb0EES1U_EEDaS1P_S1Q_EUlS1P_E_NS1_11comp_targetILNS1_3genE10ELNS1_11target_archE1200ELNS1_3gpuE4ELNS1_3repE0EEENS1_30default_config_static_selectorELNS0_4arch9wavefront6targetE0EEEvS12_.num_agpr, 0
	.set _ZN7rocprim17ROCPRIM_400000_NS6detail17trampoline_kernelINS0_13select_configILj256ELj13ELNS0_17block_load_methodE3ELS4_3ELS4_3ELNS0_20block_scan_algorithmE0ELj4294967295EEENS1_25partition_config_selectorILNS1_17partition_subalgoE4EjNS0_10empty_typeEbEEZZNS1_14partition_implILS8_4ELb0ES6_15HIP_vector_typeIjLj2EENS0_17counting_iteratorIjlEEPS9_SG_NS0_5tupleIJPjSI_NS0_16reverse_iteratorISI_EEEEENSH_IJSG_SG_SG_EEES9_SI_JZNS1_25segmented_radix_sort_implINS0_14default_configELb0EPKdPdPKlPlN2at6native12_GLOBAL__N_18offset_tEEE10hipError_tPvRmT1_PNSt15iterator_traitsIS12_E10value_typeET2_T3_PNS13_IS18_E10value_typeET4_jRbjT5_S1E_jjP12ihipStream_tbEUljE_ZNSN_ISO_Lb0ESQ_SR_ST_SU_SY_EESZ_S10_S11_S12_S16_S17_S18_S1B_S1C_jS1D_jS1E_S1E_jjS1G_bEUljE0_EEESZ_S10_S11_S18_S1C_S1E_T6_T7_T9_mT8_S1G_bDpT10_ENKUlT_T0_E_clISt17integral_constantIbLb0EES1U_EEDaS1P_S1Q_EUlS1P_E_NS1_11comp_targetILNS1_3genE10ELNS1_11target_archE1200ELNS1_3gpuE4ELNS1_3repE0EEENS1_30default_config_static_selectorELNS0_4arch9wavefront6targetE0EEEvS12_.numbered_sgpr, 58
	.set _ZN7rocprim17ROCPRIM_400000_NS6detail17trampoline_kernelINS0_13select_configILj256ELj13ELNS0_17block_load_methodE3ELS4_3ELS4_3ELNS0_20block_scan_algorithmE0ELj4294967295EEENS1_25partition_config_selectorILNS1_17partition_subalgoE4EjNS0_10empty_typeEbEEZZNS1_14partition_implILS8_4ELb0ES6_15HIP_vector_typeIjLj2EENS0_17counting_iteratorIjlEEPS9_SG_NS0_5tupleIJPjSI_NS0_16reverse_iteratorISI_EEEEENSH_IJSG_SG_SG_EEES9_SI_JZNS1_25segmented_radix_sort_implINS0_14default_configELb0EPKdPdPKlPlN2at6native12_GLOBAL__N_18offset_tEEE10hipError_tPvRmT1_PNSt15iterator_traitsIS12_E10value_typeET2_T3_PNS13_IS18_E10value_typeET4_jRbjT5_S1E_jjP12ihipStream_tbEUljE_ZNSN_ISO_Lb0ESQ_SR_ST_SU_SY_EESZ_S10_S11_S12_S16_S17_S18_S1B_S1C_jS1D_jS1E_S1E_jjS1G_bEUljE0_EEESZ_S10_S11_S18_S1C_S1E_T6_T7_T9_mT8_S1G_bDpT10_ENKUlT_T0_E_clISt17integral_constantIbLb0EES1U_EEDaS1P_S1Q_EUlS1P_E_NS1_11comp_targetILNS1_3genE10ELNS1_11target_archE1200ELNS1_3gpuE4ELNS1_3repE0EEENS1_30default_config_static_selectorELNS0_4arch9wavefront6targetE0EEEvS12_.num_named_barrier, 0
	.set _ZN7rocprim17ROCPRIM_400000_NS6detail17trampoline_kernelINS0_13select_configILj256ELj13ELNS0_17block_load_methodE3ELS4_3ELS4_3ELNS0_20block_scan_algorithmE0ELj4294967295EEENS1_25partition_config_selectorILNS1_17partition_subalgoE4EjNS0_10empty_typeEbEEZZNS1_14partition_implILS8_4ELb0ES6_15HIP_vector_typeIjLj2EENS0_17counting_iteratorIjlEEPS9_SG_NS0_5tupleIJPjSI_NS0_16reverse_iteratorISI_EEEEENSH_IJSG_SG_SG_EEES9_SI_JZNS1_25segmented_radix_sort_implINS0_14default_configELb0EPKdPdPKlPlN2at6native12_GLOBAL__N_18offset_tEEE10hipError_tPvRmT1_PNSt15iterator_traitsIS12_E10value_typeET2_T3_PNS13_IS18_E10value_typeET4_jRbjT5_S1E_jjP12ihipStream_tbEUljE_ZNSN_ISO_Lb0ESQ_SR_ST_SU_SY_EESZ_S10_S11_S12_S16_S17_S18_S1B_S1C_jS1D_jS1E_S1E_jjS1G_bEUljE0_EEESZ_S10_S11_S18_S1C_S1E_T6_T7_T9_mT8_S1G_bDpT10_ENKUlT_T0_E_clISt17integral_constantIbLb0EES1U_EEDaS1P_S1Q_EUlS1P_E_NS1_11comp_targetILNS1_3genE10ELNS1_11target_archE1200ELNS1_3gpuE4ELNS1_3repE0EEENS1_30default_config_static_selectorELNS0_4arch9wavefront6targetE0EEEvS12_.private_seg_size, 0
	.set _ZN7rocprim17ROCPRIM_400000_NS6detail17trampoline_kernelINS0_13select_configILj256ELj13ELNS0_17block_load_methodE3ELS4_3ELS4_3ELNS0_20block_scan_algorithmE0ELj4294967295EEENS1_25partition_config_selectorILNS1_17partition_subalgoE4EjNS0_10empty_typeEbEEZZNS1_14partition_implILS8_4ELb0ES6_15HIP_vector_typeIjLj2EENS0_17counting_iteratorIjlEEPS9_SG_NS0_5tupleIJPjSI_NS0_16reverse_iteratorISI_EEEEENSH_IJSG_SG_SG_EEES9_SI_JZNS1_25segmented_radix_sort_implINS0_14default_configELb0EPKdPdPKlPlN2at6native12_GLOBAL__N_18offset_tEEE10hipError_tPvRmT1_PNSt15iterator_traitsIS12_E10value_typeET2_T3_PNS13_IS18_E10value_typeET4_jRbjT5_S1E_jjP12ihipStream_tbEUljE_ZNSN_ISO_Lb0ESQ_SR_ST_SU_SY_EESZ_S10_S11_S12_S16_S17_S18_S1B_S1C_jS1D_jS1E_S1E_jjS1G_bEUljE0_EEESZ_S10_S11_S18_S1C_S1E_T6_T7_T9_mT8_S1G_bDpT10_ENKUlT_T0_E_clISt17integral_constantIbLb0EES1U_EEDaS1P_S1Q_EUlS1P_E_NS1_11comp_targetILNS1_3genE10ELNS1_11target_archE1200ELNS1_3gpuE4ELNS1_3repE0EEENS1_30default_config_static_selectorELNS0_4arch9wavefront6targetE0EEEvS12_.uses_vcc, 1
	.set _ZN7rocprim17ROCPRIM_400000_NS6detail17trampoline_kernelINS0_13select_configILj256ELj13ELNS0_17block_load_methodE3ELS4_3ELS4_3ELNS0_20block_scan_algorithmE0ELj4294967295EEENS1_25partition_config_selectorILNS1_17partition_subalgoE4EjNS0_10empty_typeEbEEZZNS1_14partition_implILS8_4ELb0ES6_15HIP_vector_typeIjLj2EENS0_17counting_iteratorIjlEEPS9_SG_NS0_5tupleIJPjSI_NS0_16reverse_iteratorISI_EEEEENSH_IJSG_SG_SG_EEES9_SI_JZNS1_25segmented_radix_sort_implINS0_14default_configELb0EPKdPdPKlPlN2at6native12_GLOBAL__N_18offset_tEEE10hipError_tPvRmT1_PNSt15iterator_traitsIS12_E10value_typeET2_T3_PNS13_IS18_E10value_typeET4_jRbjT5_S1E_jjP12ihipStream_tbEUljE_ZNSN_ISO_Lb0ESQ_SR_ST_SU_SY_EESZ_S10_S11_S12_S16_S17_S18_S1B_S1C_jS1D_jS1E_S1E_jjS1G_bEUljE0_EEESZ_S10_S11_S18_S1C_S1E_T6_T7_T9_mT8_S1G_bDpT10_ENKUlT_T0_E_clISt17integral_constantIbLb0EES1U_EEDaS1P_S1Q_EUlS1P_E_NS1_11comp_targetILNS1_3genE10ELNS1_11target_archE1200ELNS1_3gpuE4ELNS1_3repE0EEENS1_30default_config_static_selectorELNS0_4arch9wavefront6targetE0EEEvS12_.uses_flat_scratch, 0
	.set _ZN7rocprim17ROCPRIM_400000_NS6detail17trampoline_kernelINS0_13select_configILj256ELj13ELNS0_17block_load_methodE3ELS4_3ELS4_3ELNS0_20block_scan_algorithmE0ELj4294967295EEENS1_25partition_config_selectorILNS1_17partition_subalgoE4EjNS0_10empty_typeEbEEZZNS1_14partition_implILS8_4ELb0ES6_15HIP_vector_typeIjLj2EENS0_17counting_iteratorIjlEEPS9_SG_NS0_5tupleIJPjSI_NS0_16reverse_iteratorISI_EEEEENSH_IJSG_SG_SG_EEES9_SI_JZNS1_25segmented_radix_sort_implINS0_14default_configELb0EPKdPdPKlPlN2at6native12_GLOBAL__N_18offset_tEEE10hipError_tPvRmT1_PNSt15iterator_traitsIS12_E10value_typeET2_T3_PNS13_IS18_E10value_typeET4_jRbjT5_S1E_jjP12ihipStream_tbEUljE_ZNSN_ISO_Lb0ESQ_SR_ST_SU_SY_EESZ_S10_S11_S12_S16_S17_S18_S1B_S1C_jS1D_jS1E_S1E_jjS1G_bEUljE0_EEESZ_S10_S11_S18_S1C_S1E_T6_T7_T9_mT8_S1G_bDpT10_ENKUlT_T0_E_clISt17integral_constantIbLb0EES1U_EEDaS1P_S1Q_EUlS1P_E_NS1_11comp_targetILNS1_3genE10ELNS1_11target_archE1200ELNS1_3gpuE4ELNS1_3repE0EEENS1_30default_config_static_selectorELNS0_4arch9wavefront6targetE0EEEvS12_.has_dyn_sized_stack, 0
	.set _ZN7rocprim17ROCPRIM_400000_NS6detail17trampoline_kernelINS0_13select_configILj256ELj13ELNS0_17block_load_methodE3ELS4_3ELS4_3ELNS0_20block_scan_algorithmE0ELj4294967295EEENS1_25partition_config_selectorILNS1_17partition_subalgoE4EjNS0_10empty_typeEbEEZZNS1_14partition_implILS8_4ELb0ES6_15HIP_vector_typeIjLj2EENS0_17counting_iteratorIjlEEPS9_SG_NS0_5tupleIJPjSI_NS0_16reverse_iteratorISI_EEEEENSH_IJSG_SG_SG_EEES9_SI_JZNS1_25segmented_radix_sort_implINS0_14default_configELb0EPKdPdPKlPlN2at6native12_GLOBAL__N_18offset_tEEE10hipError_tPvRmT1_PNSt15iterator_traitsIS12_E10value_typeET2_T3_PNS13_IS18_E10value_typeET4_jRbjT5_S1E_jjP12ihipStream_tbEUljE_ZNSN_ISO_Lb0ESQ_SR_ST_SU_SY_EESZ_S10_S11_S12_S16_S17_S18_S1B_S1C_jS1D_jS1E_S1E_jjS1G_bEUljE0_EEESZ_S10_S11_S18_S1C_S1E_T6_T7_T9_mT8_S1G_bDpT10_ENKUlT_T0_E_clISt17integral_constantIbLb0EES1U_EEDaS1P_S1Q_EUlS1P_E_NS1_11comp_targetILNS1_3genE10ELNS1_11target_archE1200ELNS1_3gpuE4ELNS1_3repE0EEENS1_30default_config_static_selectorELNS0_4arch9wavefront6targetE0EEEvS12_.has_recursion, 0
	.set _ZN7rocprim17ROCPRIM_400000_NS6detail17trampoline_kernelINS0_13select_configILj256ELj13ELNS0_17block_load_methodE3ELS4_3ELS4_3ELNS0_20block_scan_algorithmE0ELj4294967295EEENS1_25partition_config_selectorILNS1_17partition_subalgoE4EjNS0_10empty_typeEbEEZZNS1_14partition_implILS8_4ELb0ES6_15HIP_vector_typeIjLj2EENS0_17counting_iteratorIjlEEPS9_SG_NS0_5tupleIJPjSI_NS0_16reverse_iteratorISI_EEEEENSH_IJSG_SG_SG_EEES9_SI_JZNS1_25segmented_radix_sort_implINS0_14default_configELb0EPKdPdPKlPlN2at6native12_GLOBAL__N_18offset_tEEE10hipError_tPvRmT1_PNSt15iterator_traitsIS12_E10value_typeET2_T3_PNS13_IS18_E10value_typeET4_jRbjT5_S1E_jjP12ihipStream_tbEUljE_ZNSN_ISO_Lb0ESQ_SR_ST_SU_SY_EESZ_S10_S11_S12_S16_S17_S18_S1B_S1C_jS1D_jS1E_S1E_jjS1G_bEUljE0_EEESZ_S10_S11_S18_S1C_S1E_T6_T7_T9_mT8_S1G_bDpT10_ENKUlT_T0_E_clISt17integral_constantIbLb0EES1U_EEDaS1P_S1Q_EUlS1P_E_NS1_11comp_targetILNS1_3genE10ELNS1_11target_archE1200ELNS1_3gpuE4ELNS1_3repE0EEENS1_30default_config_static_selectorELNS0_4arch9wavefront6targetE0EEEvS12_.has_indirect_call, 0
	.section	.AMDGPU.csdata,"",@progbits
; Kernel info:
; codeLenInByte = 18900
; TotalNumSgprs: 60
; NumVgprs: 93
; ScratchSize: 0
; MemoryBound: 0
; FloatMode: 240
; IeeeMode: 1
; LDSByteSize: 13328 bytes/workgroup (compile time only)
; SGPRBlocks: 0
; VGPRBlocks: 11
; NumSGPRsForWavesPerEU: 60
; NumVGPRsForWavesPerEU: 93
; Occupancy: 16
; WaveLimiterHint : 1
; COMPUTE_PGM_RSRC2:SCRATCH_EN: 0
; COMPUTE_PGM_RSRC2:USER_SGPR: 2
; COMPUTE_PGM_RSRC2:TRAP_HANDLER: 0
; COMPUTE_PGM_RSRC2:TGID_X_EN: 1
; COMPUTE_PGM_RSRC2:TGID_Y_EN: 0
; COMPUTE_PGM_RSRC2:TGID_Z_EN: 0
; COMPUTE_PGM_RSRC2:TIDIG_COMP_CNT: 0
	.section	.text._ZN7rocprim17ROCPRIM_400000_NS6detail17trampoline_kernelINS0_13select_configILj256ELj13ELNS0_17block_load_methodE3ELS4_3ELS4_3ELNS0_20block_scan_algorithmE0ELj4294967295EEENS1_25partition_config_selectorILNS1_17partition_subalgoE4EjNS0_10empty_typeEbEEZZNS1_14partition_implILS8_4ELb0ES6_15HIP_vector_typeIjLj2EENS0_17counting_iteratorIjlEEPS9_SG_NS0_5tupleIJPjSI_NS0_16reverse_iteratorISI_EEEEENSH_IJSG_SG_SG_EEES9_SI_JZNS1_25segmented_radix_sort_implINS0_14default_configELb0EPKdPdPKlPlN2at6native12_GLOBAL__N_18offset_tEEE10hipError_tPvRmT1_PNSt15iterator_traitsIS12_E10value_typeET2_T3_PNS13_IS18_E10value_typeET4_jRbjT5_S1E_jjP12ihipStream_tbEUljE_ZNSN_ISO_Lb0ESQ_SR_ST_SU_SY_EESZ_S10_S11_S12_S16_S17_S18_S1B_S1C_jS1D_jS1E_S1E_jjS1G_bEUljE0_EEESZ_S10_S11_S18_S1C_S1E_T6_T7_T9_mT8_S1G_bDpT10_ENKUlT_T0_E_clISt17integral_constantIbLb0EES1U_EEDaS1P_S1Q_EUlS1P_E_NS1_11comp_targetILNS1_3genE9ELNS1_11target_archE1100ELNS1_3gpuE3ELNS1_3repE0EEENS1_30default_config_static_selectorELNS0_4arch9wavefront6targetE0EEEvS12_,"axG",@progbits,_ZN7rocprim17ROCPRIM_400000_NS6detail17trampoline_kernelINS0_13select_configILj256ELj13ELNS0_17block_load_methodE3ELS4_3ELS4_3ELNS0_20block_scan_algorithmE0ELj4294967295EEENS1_25partition_config_selectorILNS1_17partition_subalgoE4EjNS0_10empty_typeEbEEZZNS1_14partition_implILS8_4ELb0ES6_15HIP_vector_typeIjLj2EENS0_17counting_iteratorIjlEEPS9_SG_NS0_5tupleIJPjSI_NS0_16reverse_iteratorISI_EEEEENSH_IJSG_SG_SG_EEES9_SI_JZNS1_25segmented_radix_sort_implINS0_14default_configELb0EPKdPdPKlPlN2at6native12_GLOBAL__N_18offset_tEEE10hipError_tPvRmT1_PNSt15iterator_traitsIS12_E10value_typeET2_T3_PNS13_IS18_E10value_typeET4_jRbjT5_S1E_jjP12ihipStream_tbEUljE_ZNSN_ISO_Lb0ESQ_SR_ST_SU_SY_EESZ_S10_S11_S12_S16_S17_S18_S1B_S1C_jS1D_jS1E_S1E_jjS1G_bEUljE0_EEESZ_S10_S11_S18_S1C_S1E_T6_T7_T9_mT8_S1G_bDpT10_ENKUlT_T0_E_clISt17integral_constantIbLb0EES1U_EEDaS1P_S1Q_EUlS1P_E_NS1_11comp_targetILNS1_3genE9ELNS1_11target_archE1100ELNS1_3gpuE3ELNS1_3repE0EEENS1_30default_config_static_selectorELNS0_4arch9wavefront6targetE0EEEvS12_,comdat
	.globl	_ZN7rocprim17ROCPRIM_400000_NS6detail17trampoline_kernelINS0_13select_configILj256ELj13ELNS0_17block_load_methodE3ELS4_3ELS4_3ELNS0_20block_scan_algorithmE0ELj4294967295EEENS1_25partition_config_selectorILNS1_17partition_subalgoE4EjNS0_10empty_typeEbEEZZNS1_14partition_implILS8_4ELb0ES6_15HIP_vector_typeIjLj2EENS0_17counting_iteratorIjlEEPS9_SG_NS0_5tupleIJPjSI_NS0_16reverse_iteratorISI_EEEEENSH_IJSG_SG_SG_EEES9_SI_JZNS1_25segmented_radix_sort_implINS0_14default_configELb0EPKdPdPKlPlN2at6native12_GLOBAL__N_18offset_tEEE10hipError_tPvRmT1_PNSt15iterator_traitsIS12_E10value_typeET2_T3_PNS13_IS18_E10value_typeET4_jRbjT5_S1E_jjP12ihipStream_tbEUljE_ZNSN_ISO_Lb0ESQ_SR_ST_SU_SY_EESZ_S10_S11_S12_S16_S17_S18_S1B_S1C_jS1D_jS1E_S1E_jjS1G_bEUljE0_EEESZ_S10_S11_S18_S1C_S1E_T6_T7_T9_mT8_S1G_bDpT10_ENKUlT_T0_E_clISt17integral_constantIbLb0EES1U_EEDaS1P_S1Q_EUlS1P_E_NS1_11comp_targetILNS1_3genE9ELNS1_11target_archE1100ELNS1_3gpuE3ELNS1_3repE0EEENS1_30default_config_static_selectorELNS0_4arch9wavefront6targetE0EEEvS12_ ; -- Begin function _ZN7rocprim17ROCPRIM_400000_NS6detail17trampoline_kernelINS0_13select_configILj256ELj13ELNS0_17block_load_methodE3ELS4_3ELS4_3ELNS0_20block_scan_algorithmE0ELj4294967295EEENS1_25partition_config_selectorILNS1_17partition_subalgoE4EjNS0_10empty_typeEbEEZZNS1_14partition_implILS8_4ELb0ES6_15HIP_vector_typeIjLj2EENS0_17counting_iteratorIjlEEPS9_SG_NS0_5tupleIJPjSI_NS0_16reverse_iteratorISI_EEEEENSH_IJSG_SG_SG_EEES9_SI_JZNS1_25segmented_radix_sort_implINS0_14default_configELb0EPKdPdPKlPlN2at6native12_GLOBAL__N_18offset_tEEE10hipError_tPvRmT1_PNSt15iterator_traitsIS12_E10value_typeET2_T3_PNS13_IS18_E10value_typeET4_jRbjT5_S1E_jjP12ihipStream_tbEUljE_ZNSN_ISO_Lb0ESQ_SR_ST_SU_SY_EESZ_S10_S11_S12_S16_S17_S18_S1B_S1C_jS1D_jS1E_S1E_jjS1G_bEUljE0_EEESZ_S10_S11_S18_S1C_S1E_T6_T7_T9_mT8_S1G_bDpT10_ENKUlT_T0_E_clISt17integral_constantIbLb0EES1U_EEDaS1P_S1Q_EUlS1P_E_NS1_11comp_targetILNS1_3genE9ELNS1_11target_archE1100ELNS1_3gpuE3ELNS1_3repE0EEENS1_30default_config_static_selectorELNS0_4arch9wavefront6targetE0EEEvS12_
	.p2align	8
	.type	_ZN7rocprim17ROCPRIM_400000_NS6detail17trampoline_kernelINS0_13select_configILj256ELj13ELNS0_17block_load_methodE3ELS4_3ELS4_3ELNS0_20block_scan_algorithmE0ELj4294967295EEENS1_25partition_config_selectorILNS1_17partition_subalgoE4EjNS0_10empty_typeEbEEZZNS1_14partition_implILS8_4ELb0ES6_15HIP_vector_typeIjLj2EENS0_17counting_iteratorIjlEEPS9_SG_NS0_5tupleIJPjSI_NS0_16reverse_iteratorISI_EEEEENSH_IJSG_SG_SG_EEES9_SI_JZNS1_25segmented_radix_sort_implINS0_14default_configELb0EPKdPdPKlPlN2at6native12_GLOBAL__N_18offset_tEEE10hipError_tPvRmT1_PNSt15iterator_traitsIS12_E10value_typeET2_T3_PNS13_IS18_E10value_typeET4_jRbjT5_S1E_jjP12ihipStream_tbEUljE_ZNSN_ISO_Lb0ESQ_SR_ST_SU_SY_EESZ_S10_S11_S12_S16_S17_S18_S1B_S1C_jS1D_jS1E_S1E_jjS1G_bEUljE0_EEESZ_S10_S11_S18_S1C_S1E_T6_T7_T9_mT8_S1G_bDpT10_ENKUlT_T0_E_clISt17integral_constantIbLb0EES1U_EEDaS1P_S1Q_EUlS1P_E_NS1_11comp_targetILNS1_3genE9ELNS1_11target_archE1100ELNS1_3gpuE3ELNS1_3repE0EEENS1_30default_config_static_selectorELNS0_4arch9wavefront6targetE0EEEvS12_,@function
_ZN7rocprim17ROCPRIM_400000_NS6detail17trampoline_kernelINS0_13select_configILj256ELj13ELNS0_17block_load_methodE3ELS4_3ELS4_3ELNS0_20block_scan_algorithmE0ELj4294967295EEENS1_25partition_config_selectorILNS1_17partition_subalgoE4EjNS0_10empty_typeEbEEZZNS1_14partition_implILS8_4ELb0ES6_15HIP_vector_typeIjLj2EENS0_17counting_iteratorIjlEEPS9_SG_NS0_5tupleIJPjSI_NS0_16reverse_iteratorISI_EEEEENSH_IJSG_SG_SG_EEES9_SI_JZNS1_25segmented_radix_sort_implINS0_14default_configELb0EPKdPdPKlPlN2at6native12_GLOBAL__N_18offset_tEEE10hipError_tPvRmT1_PNSt15iterator_traitsIS12_E10value_typeET2_T3_PNS13_IS18_E10value_typeET4_jRbjT5_S1E_jjP12ihipStream_tbEUljE_ZNSN_ISO_Lb0ESQ_SR_ST_SU_SY_EESZ_S10_S11_S12_S16_S17_S18_S1B_S1C_jS1D_jS1E_S1E_jjS1G_bEUljE0_EEESZ_S10_S11_S18_S1C_S1E_T6_T7_T9_mT8_S1G_bDpT10_ENKUlT_T0_E_clISt17integral_constantIbLb0EES1U_EEDaS1P_S1Q_EUlS1P_E_NS1_11comp_targetILNS1_3genE9ELNS1_11target_archE1100ELNS1_3gpuE3ELNS1_3repE0EEENS1_30default_config_static_selectorELNS0_4arch9wavefront6targetE0EEEvS12_: ; @_ZN7rocprim17ROCPRIM_400000_NS6detail17trampoline_kernelINS0_13select_configILj256ELj13ELNS0_17block_load_methodE3ELS4_3ELS4_3ELNS0_20block_scan_algorithmE0ELj4294967295EEENS1_25partition_config_selectorILNS1_17partition_subalgoE4EjNS0_10empty_typeEbEEZZNS1_14partition_implILS8_4ELb0ES6_15HIP_vector_typeIjLj2EENS0_17counting_iteratorIjlEEPS9_SG_NS0_5tupleIJPjSI_NS0_16reverse_iteratorISI_EEEEENSH_IJSG_SG_SG_EEES9_SI_JZNS1_25segmented_radix_sort_implINS0_14default_configELb0EPKdPdPKlPlN2at6native12_GLOBAL__N_18offset_tEEE10hipError_tPvRmT1_PNSt15iterator_traitsIS12_E10value_typeET2_T3_PNS13_IS18_E10value_typeET4_jRbjT5_S1E_jjP12ihipStream_tbEUljE_ZNSN_ISO_Lb0ESQ_SR_ST_SU_SY_EESZ_S10_S11_S12_S16_S17_S18_S1B_S1C_jS1D_jS1E_S1E_jjS1G_bEUljE0_EEESZ_S10_S11_S18_S1C_S1E_T6_T7_T9_mT8_S1G_bDpT10_ENKUlT_T0_E_clISt17integral_constantIbLb0EES1U_EEDaS1P_S1Q_EUlS1P_E_NS1_11comp_targetILNS1_3genE9ELNS1_11target_archE1100ELNS1_3gpuE3ELNS1_3repE0EEENS1_30default_config_static_selectorELNS0_4arch9wavefront6targetE0EEEvS12_
; %bb.0:
	.section	.rodata,"a",@progbits
	.p2align	6, 0x0
	.amdhsa_kernel _ZN7rocprim17ROCPRIM_400000_NS6detail17trampoline_kernelINS0_13select_configILj256ELj13ELNS0_17block_load_methodE3ELS4_3ELS4_3ELNS0_20block_scan_algorithmE0ELj4294967295EEENS1_25partition_config_selectorILNS1_17partition_subalgoE4EjNS0_10empty_typeEbEEZZNS1_14partition_implILS8_4ELb0ES6_15HIP_vector_typeIjLj2EENS0_17counting_iteratorIjlEEPS9_SG_NS0_5tupleIJPjSI_NS0_16reverse_iteratorISI_EEEEENSH_IJSG_SG_SG_EEES9_SI_JZNS1_25segmented_radix_sort_implINS0_14default_configELb0EPKdPdPKlPlN2at6native12_GLOBAL__N_18offset_tEEE10hipError_tPvRmT1_PNSt15iterator_traitsIS12_E10value_typeET2_T3_PNS13_IS18_E10value_typeET4_jRbjT5_S1E_jjP12ihipStream_tbEUljE_ZNSN_ISO_Lb0ESQ_SR_ST_SU_SY_EESZ_S10_S11_S12_S16_S17_S18_S1B_S1C_jS1D_jS1E_S1E_jjS1G_bEUljE0_EEESZ_S10_S11_S18_S1C_S1E_T6_T7_T9_mT8_S1G_bDpT10_ENKUlT_T0_E_clISt17integral_constantIbLb0EES1U_EEDaS1P_S1Q_EUlS1P_E_NS1_11comp_targetILNS1_3genE9ELNS1_11target_archE1100ELNS1_3gpuE3ELNS1_3repE0EEENS1_30default_config_static_selectorELNS0_4arch9wavefront6targetE0EEEvS12_
		.amdhsa_group_segment_fixed_size 0
		.amdhsa_private_segment_fixed_size 0
		.amdhsa_kernarg_size 176
		.amdhsa_user_sgpr_count 2
		.amdhsa_user_sgpr_dispatch_ptr 0
		.amdhsa_user_sgpr_queue_ptr 0
		.amdhsa_user_sgpr_kernarg_segment_ptr 1
		.amdhsa_user_sgpr_dispatch_id 0
		.amdhsa_user_sgpr_private_segment_size 0
		.amdhsa_wavefront_size32 1
		.amdhsa_uses_dynamic_stack 0
		.amdhsa_enable_private_segment 0
		.amdhsa_system_sgpr_workgroup_id_x 1
		.amdhsa_system_sgpr_workgroup_id_y 0
		.amdhsa_system_sgpr_workgroup_id_z 0
		.amdhsa_system_sgpr_workgroup_info 0
		.amdhsa_system_vgpr_workitem_id 0
		.amdhsa_next_free_vgpr 1
		.amdhsa_next_free_sgpr 1
		.amdhsa_reserve_vcc 0
		.amdhsa_float_round_mode_32 0
		.amdhsa_float_round_mode_16_64 0
		.amdhsa_float_denorm_mode_32 3
		.amdhsa_float_denorm_mode_16_64 3
		.amdhsa_fp16_overflow 0
		.amdhsa_workgroup_processor_mode 1
		.amdhsa_memory_ordered 1
		.amdhsa_forward_progress 1
		.amdhsa_inst_pref_size 0
		.amdhsa_round_robin_scheduling 0
		.amdhsa_exception_fp_ieee_invalid_op 0
		.amdhsa_exception_fp_denorm_src 0
		.amdhsa_exception_fp_ieee_div_zero 0
		.amdhsa_exception_fp_ieee_overflow 0
		.amdhsa_exception_fp_ieee_underflow 0
		.amdhsa_exception_fp_ieee_inexact 0
		.amdhsa_exception_int_div_zero 0
	.end_amdhsa_kernel
	.section	.text._ZN7rocprim17ROCPRIM_400000_NS6detail17trampoline_kernelINS0_13select_configILj256ELj13ELNS0_17block_load_methodE3ELS4_3ELS4_3ELNS0_20block_scan_algorithmE0ELj4294967295EEENS1_25partition_config_selectorILNS1_17partition_subalgoE4EjNS0_10empty_typeEbEEZZNS1_14partition_implILS8_4ELb0ES6_15HIP_vector_typeIjLj2EENS0_17counting_iteratorIjlEEPS9_SG_NS0_5tupleIJPjSI_NS0_16reverse_iteratorISI_EEEEENSH_IJSG_SG_SG_EEES9_SI_JZNS1_25segmented_radix_sort_implINS0_14default_configELb0EPKdPdPKlPlN2at6native12_GLOBAL__N_18offset_tEEE10hipError_tPvRmT1_PNSt15iterator_traitsIS12_E10value_typeET2_T3_PNS13_IS18_E10value_typeET4_jRbjT5_S1E_jjP12ihipStream_tbEUljE_ZNSN_ISO_Lb0ESQ_SR_ST_SU_SY_EESZ_S10_S11_S12_S16_S17_S18_S1B_S1C_jS1D_jS1E_S1E_jjS1G_bEUljE0_EEESZ_S10_S11_S18_S1C_S1E_T6_T7_T9_mT8_S1G_bDpT10_ENKUlT_T0_E_clISt17integral_constantIbLb0EES1U_EEDaS1P_S1Q_EUlS1P_E_NS1_11comp_targetILNS1_3genE9ELNS1_11target_archE1100ELNS1_3gpuE3ELNS1_3repE0EEENS1_30default_config_static_selectorELNS0_4arch9wavefront6targetE0EEEvS12_,"axG",@progbits,_ZN7rocprim17ROCPRIM_400000_NS6detail17trampoline_kernelINS0_13select_configILj256ELj13ELNS0_17block_load_methodE3ELS4_3ELS4_3ELNS0_20block_scan_algorithmE0ELj4294967295EEENS1_25partition_config_selectorILNS1_17partition_subalgoE4EjNS0_10empty_typeEbEEZZNS1_14partition_implILS8_4ELb0ES6_15HIP_vector_typeIjLj2EENS0_17counting_iteratorIjlEEPS9_SG_NS0_5tupleIJPjSI_NS0_16reverse_iteratorISI_EEEEENSH_IJSG_SG_SG_EEES9_SI_JZNS1_25segmented_radix_sort_implINS0_14default_configELb0EPKdPdPKlPlN2at6native12_GLOBAL__N_18offset_tEEE10hipError_tPvRmT1_PNSt15iterator_traitsIS12_E10value_typeET2_T3_PNS13_IS18_E10value_typeET4_jRbjT5_S1E_jjP12ihipStream_tbEUljE_ZNSN_ISO_Lb0ESQ_SR_ST_SU_SY_EESZ_S10_S11_S12_S16_S17_S18_S1B_S1C_jS1D_jS1E_S1E_jjS1G_bEUljE0_EEESZ_S10_S11_S18_S1C_S1E_T6_T7_T9_mT8_S1G_bDpT10_ENKUlT_T0_E_clISt17integral_constantIbLb0EES1U_EEDaS1P_S1Q_EUlS1P_E_NS1_11comp_targetILNS1_3genE9ELNS1_11target_archE1100ELNS1_3gpuE3ELNS1_3repE0EEENS1_30default_config_static_selectorELNS0_4arch9wavefront6targetE0EEEvS12_,comdat
.Lfunc_end1163:
	.size	_ZN7rocprim17ROCPRIM_400000_NS6detail17trampoline_kernelINS0_13select_configILj256ELj13ELNS0_17block_load_methodE3ELS4_3ELS4_3ELNS0_20block_scan_algorithmE0ELj4294967295EEENS1_25partition_config_selectorILNS1_17partition_subalgoE4EjNS0_10empty_typeEbEEZZNS1_14partition_implILS8_4ELb0ES6_15HIP_vector_typeIjLj2EENS0_17counting_iteratorIjlEEPS9_SG_NS0_5tupleIJPjSI_NS0_16reverse_iteratorISI_EEEEENSH_IJSG_SG_SG_EEES9_SI_JZNS1_25segmented_radix_sort_implINS0_14default_configELb0EPKdPdPKlPlN2at6native12_GLOBAL__N_18offset_tEEE10hipError_tPvRmT1_PNSt15iterator_traitsIS12_E10value_typeET2_T3_PNS13_IS18_E10value_typeET4_jRbjT5_S1E_jjP12ihipStream_tbEUljE_ZNSN_ISO_Lb0ESQ_SR_ST_SU_SY_EESZ_S10_S11_S12_S16_S17_S18_S1B_S1C_jS1D_jS1E_S1E_jjS1G_bEUljE0_EEESZ_S10_S11_S18_S1C_S1E_T6_T7_T9_mT8_S1G_bDpT10_ENKUlT_T0_E_clISt17integral_constantIbLb0EES1U_EEDaS1P_S1Q_EUlS1P_E_NS1_11comp_targetILNS1_3genE9ELNS1_11target_archE1100ELNS1_3gpuE3ELNS1_3repE0EEENS1_30default_config_static_selectorELNS0_4arch9wavefront6targetE0EEEvS12_, .Lfunc_end1163-_ZN7rocprim17ROCPRIM_400000_NS6detail17trampoline_kernelINS0_13select_configILj256ELj13ELNS0_17block_load_methodE3ELS4_3ELS4_3ELNS0_20block_scan_algorithmE0ELj4294967295EEENS1_25partition_config_selectorILNS1_17partition_subalgoE4EjNS0_10empty_typeEbEEZZNS1_14partition_implILS8_4ELb0ES6_15HIP_vector_typeIjLj2EENS0_17counting_iteratorIjlEEPS9_SG_NS0_5tupleIJPjSI_NS0_16reverse_iteratorISI_EEEEENSH_IJSG_SG_SG_EEES9_SI_JZNS1_25segmented_radix_sort_implINS0_14default_configELb0EPKdPdPKlPlN2at6native12_GLOBAL__N_18offset_tEEE10hipError_tPvRmT1_PNSt15iterator_traitsIS12_E10value_typeET2_T3_PNS13_IS18_E10value_typeET4_jRbjT5_S1E_jjP12ihipStream_tbEUljE_ZNSN_ISO_Lb0ESQ_SR_ST_SU_SY_EESZ_S10_S11_S12_S16_S17_S18_S1B_S1C_jS1D_jS1E_S1E_jjS1G_bEUljE0_EEESZ_S10_S11_S18_S1C_S1E_T6_T7_T9_mT8_S1G_bDpT10_ENKUlT_T0_E_clISt17integral_constantIbLb0EES1U_EEDaS1P_S1Q_EUlS1P_E_NS1_11comp_targetILNS1_3genE9ELNS1_11target_archE1100ELNS1_3gpuE3ELNS1_3repE0EEENS1_30default_config_static_selectorELNS0_4arch9wavefront6targetE0EEEvS12_
                                        ; -- End function
	.set _ZN7rocprim17ROCPRIM_400000_NS6detail17trampoline_kernelINS0_13select_configILj256ELj13ELNS0_17block_load_methodE3ELS4_3ELS4_3ELNS0_20block_scan_algorithmE0ELj4294967295EEENS1_25partition_config_selectorILNS1_17partition_subalgoE4EjNS0_10empty_typeEbEEZZNS1_14partition_implILS8_4ELb0ES6_15HIP_vector_typeIjLj2EENS0_17counting_iteratorIjlEEPS9_SG_NS0_5tupleIJPjSI_NS0_16reverse_iteratorISI_EEEEENSH_IJSG_SG_SG_EEES9_SI_JZNS1_25segmented_radix_sort_implINS0_14default_configELb0EPKdPdPKlPlN2at6native12_GLOBAL__N_18offset_tEEE10hipError_tPvRmT1_PNSt15iterator_traitsIS12_E10value_typeET2_T3_PNS13_IS18_E10value_typeET4_jRbjT5_S1E_jjP12ihipStream_tbEUljE_ZNSN_ISO_Lb0ESQ_SR_ST_SU_SY_EESZ_S10_S11_S12_S16_S17_S18_S1B_S1C_jS1D_jS1E_S1E_jjS1G_bEUljE0_EEESZ_S10_S11_S18_S1C_S1E_T6_T7_T9_mT8_S1G_bDpT10_ENKUlT_T0_E_clISt17integral_constantIbLb0EES1U_EEDaS1P_S1Q_EUlS1P_E_NS1_11comp_targetILNS1_3genE9ELNS1_11target_archE1100ELNS1_3gpuE3ELNS1_3repE0EEENS1_30default_config_static_selectorELNS0_4arch9wavefront6targetE0EEEvS12_.num_vgpr, 0
	.set _ZN7rocprim17ROCPRIM_400000_NS6detail17trampoline_kernelINS0_13select_configILj256ELj13ELNS0_17block_load_methodE3ELS4_3ELS4_3ELNS0_20block_scan_algorithmE0ELj4294967295EEENS1_25partition_config_selectorILNS1_17partition_subalgoE4EjNS0_10empty_typeEbEEZZNS1_14partition_implILS8_4ELb0ES6_15HIP_vector_typeIjLj2EENS0_17counting_iteratorIjlEEPS9_SG_NS0_5tupleIJPjSI_NS0_16reverse_iteratorISI_EEEEENSH_IJSG_SG_SG_EEES9_SI_JZNS1_25segmented_radix_sort_implINS0_14default_configELb0EPKdPdPKlPlN2at6native12_GLOBAL__N_18offset_tEEE10hipError_tPvRmT1_PNSt15iterator_traitsIS12_E10value_typeET2_T3_PNS13_IS18_E10value_typeET4_jRbjT5_S1E_jjP12ihipStream_tbEUljE_ZNSN_ISO_Lb0ESQ_SR_ST_SU_SY_EESZ_S10_S11_S12_S16_S17_S18_S1B_S1C_jS1D_jS1E_S1E_jjS1G_bEUljE0_EEESZ_S10_S11_S18_S1C_S1E_T6_T7_T9_mT8_S1G_bDpT10_ENKUlT_T0_E_clISt17integral_constantIbLb0EES1U_EEDaS1P_S1Q_EUlS1P_E_NS1_11comp_targetILNS1_3genE9ELNS1_11target_archE1100ELNS1_3gpuE3ELNS1_3repE0EEENS1_30default_config_static_selectorELNS0_4arch9wavefront6targetE0EEEvS12_.num_agpr, 0
	.set _ZN7rocprim17ROCPRIM_400000_NS6detail17trampoline_kernelINS0_13select_configILj256ELj13ELNS0_17block_load_methodE3ELS4_3ELS4_3ELNS0_20block_scan_algorithmE0ELj4294967295EEENS1_25partition_config_selectorILNS1_17partition_subalgoE4EjNS0_10empty_typeEbEEZZNS1_14partition_implILS8_4ELb0ES6_15HIP_vector_typeIjLj2EENS0_17counting_iteratorIjlEEPS9_SG_NS0_5tupleIJPjSI_NS0_16reverse_iteratorISI_EEEEENSH_IJSG_SG_SG_EEES9_SI_JZNS1_25segmented_radix_sort_implINS0_14default_configELb0EPKdPdPKlPlN2at6native12_GLOBAL__N_18offset_tEEE10hipError_tPvRmT1_PNSt15iterator_traitsIS12_E10value_typeET2_T3_PNS13_IS18_E10value_typeET4_jRbjT5_S1E_jjP12ihipStream_tbEUljE_ZNSN_ISO_Lb0ESQ_SR_ST_SU_SY_EESZ_S10_S11_S12_S16_S17_S18_S1B_S1C_jS1D_jS1E_S1E_jjS1G_bEUljE0_EEESZ_S10_S11_S18_S1C_S1E_T6_T7_T9_mT8_S1G_bDpT10_ENKUlT_T0_E_clISt17integral_constantIbLb0EES1U_EEDaS1P_S1Q_EUlS1P_E_NS1_11comp_targetILNS1_3genE9ELNS1_11target_archE1100ELNS1_3gpuE3ELNS1_3repE0EEENS1_30default_config_static_selectorELNS0_4arch9wavefront6targetE0EEEvS12_.numbered_sgpr, 0
	.set _ZN7rocprim17ROCPRIM_400000_NS6detail17trampoline_kernelINS0_13select_configILj256ELj13ELNS0_17block_load_methodE3ELS4_3ELS4_3ELNS0_20block_scan_algorithmE0ELj4294967295EEENS1_25partition_config_selectorILNS1_17partition_subalgoE4EjNS0_10empty_typeEbEEZZNS1_14partition_implILS8_4ELb0ES6_15HIP_vector_typeIjLj2EENS0_17counting_iteratorIjlEEPS9_SG_NS0_5tupleIJPjSI_NS0_16reverse_iteratorISI_EEEEENSH_IJSG_SG_SG_EEES9_SI_JZNS1_25segmented_radix_sort_implINS0_14default_configELb0EPKdPdPKlPlN2at6native12_GLOBAL__N_18offset_tEEE10hipError_tPvRmT1_PNSt15iterator_traitsIS12_E10value_typeET2_T3_PNS13_IS18_E10value_typeET4_jRbjT5_S1E_jjP12ihipStream_tbEUljE_ZNSN_ISO_Lb0ESQ_SR_ST_SU_SY_EESZ_S10_S11_S12_S16_S17_S18_S1B_S1C_jS1D_jS1E_S1E_jjS1G_bEUljE0_EEESZ_S10_S11_S18_S1C_S1E_T6_T7_T9_mT8_S1G_bDpT10_ENKUlT_T0_E_clISt17integral_constantIbLb0EES1U_EEDaS1P_S1Q_EUlS1P_E_NS1_11comp_targetILNS1_3genE9ELNS1_11target_archE1100ELNS1_3gpuE3ELNS1_3repE0EEENS1_30default_config_static_selectorELNS0_4arch9wavefront6targetE0EEEvS12_.num_named_barrier, 0
	.set _ZN7rocprim17ROCPRIM_400000_NS6detail17trampoline_kernelINS0_13select_configILj256ELj13ELNS0_17block_load_methodE3ELS4_3ELS4_3ELNS0_20block_scan_algorithmE0ELj4294967295EEENS1_25partition_config_selectorILNS1_17partition_subalgoE4EjNS0_10empty_typeEbEEZZNS1_14partition_implILS8_4ELb0ES6_15HIP_vector_typeIjLj2EENS0_17counting_iteratorIjlEEPS9_SG_NS0_5tupleIJPjSI_NS0_16reverse_iteratorISI_EEEEENSH_IJSG_SG_SG_EEES9_SI_JZNS1_25segmented_radix_sort_implINS0_14default_configELb0EPKdPdPKlPlN2at6native12_GLOBAL__N_18offset_tEEE10hipError_tPvRmT1_PNSt15iterator_traitsIS12_E10value_typeET2_T3_PNS13_IS18_E10value_typeET4_jRbjT5_S1E_jjP12ihipStream_tbEUljE_ZNSN_ISO_Lb0ESQ_SR_ST_SU_SY_EESZ_S10_S11_S12_S16_S17_S18_S1B_S1C_jS1D_jS1E_S1E_jjS1G_bEUljE0_EEESZ_S10_S11_S18_S1C_S1E_T6_T7_T9_mT8_S1G_bDpT10_ENKUlT_T0_E_clISt17integral_constantIbLb0EES1U_EEDaS1P_S1Q_EUlS1P_E_NS1_11comp_targetILNS1_3genE9ELNS1_11target_archE1100ELNS1_3gpuE3ELNS1_3repE0EEENS1_30default_config_static_selectorELNS0_4arch9wavefront6targetE0EEEvS12_.private_seg_size, 0
	.set _ZN7rocprim17ROCPRIM_400000_NS6detail17trampoline_kernelINS0_13select_configILj256ELj13ELNS0_17block_load_methodE3ELS4_3ELS4_3ELNS0_20block_scan_algorithmE0ELj4294967295EEENS1_25partition_config_selectorILNS1_17partition_subalgoE4EjNS0_10empty_typeEbEEZZNS1_14partition_implILS8_4ELb0ES6_15HIP_vector_typeIjLj2EENS0_17counting_iteratorIjlEEPS9_SG_NS0_5tupleIJPjSI_NS0_16reverse_iteratorISI_EEEEENSH_IJSG_SG_SG_EEES9_SI_JZNS1_25segmented_radix_sort_implINS0_14default_configELb0EPKdPdPKlPlN2at6native12_GLOBAL__N_18offset_tEEE10hipError_tPvRmT1_PNSt15iterator_traitsIS12_E10value_typeET2_T3_PNS13_IS18_E10value_typeET4_jRbjT5_S1E_jjP12ihipStream_tbEUljE_ZNSN_ISO_Lb0ESQ_SR_ST_SU_SY_EESZ_S10_S11_S12_S16_S17_S18_S1B_S1C_jS1D_jS1E_S1E_jjS1G_bEUljE0_EEESZ_S10_S11_S18_S1C_S1E_T6_T7_T9_mT8_S1G_bDpT10_ENKUlT_T0_E_clISt17integral_constantIbLb0EES1U_EEDaS1P_S1Q_EUlS1P_E_NS1_11comp_targetILNS1_3genE9ELNS1_11target_archE1100ELNS1_3gpuE3ELNS1_3repE0EEENS1_30default_config_static_selectorELNS0_4arch9wavefront6targetE0EEEvS12_.uses_vcc, 0
	.set _ZN7rocprim17ROCPRIM_400000_NS6detail17trampoline_kernelINS0_13select_configILj256ELj13ELNS0_17block_load_methodE3ELS4_3ELS4_3ELNS0_20block_scan_algorithmE0ELj4294967295EEENS1_25partition_config_selectorILNS1_17partition_subalgoE4EjNS0_10empty_typeEbEEZZNS1_14partition_implILS8_4ELb0ES6_15HIP_vector_typeIjLj2EENS0_17counting_iteratorIjlEEPS9_SG_NS0_5tupleIJPjSI_NS0_16reverse_iteratorISI_EEEEENSH_IJSG_SG_SG_EEES9_SI_JZNS1_25segmented_radix_sort_implINS0_14default_configELb0EPKdPdPKlPlN2at6native12_GLOBAL__N_18offset_tEEE10hipError_tPvRmT1_PNSt15iterator_traitsIS12_E10value_typeET2_T3_PNS13_IS18_E10value_typeET4_jRbjT5_S1E_jjP12ihipStream_tbEUljE_ZNSN_ISO_Lb0ESQ_SR_ST_SU_SY_EESZ_S10_S11_S12_S16_S17_S18_S1B_S1C_jS1D_jS1E_S1E_jjS1G_bEUljE0_EEESZ_S10_S11_S18_S1C_S1E_T6_T7_T9_mT8_S1G_bDpT10_ENKUlT_T0_E_clISt17integral_constantIbLb0EES1U_EEDaS1P_S1Q_EUlS1P_E_NS1_11comp_targetILNS1_3genE9ELNS1_11target_archE1100ELNS1_3gpuE3ELNS1_3repE0EEENS1_30default_config_static_selectorELNS0_4arch9wavefront6targetE0EEEvS12_.uses_flat_scratch, 0
	.set _ZN7rocprim17ROCPRIM_400000_NS6detail17trampoline_kernelINS0_13select_configILj256ELj13ELNS0_17block_load_methodE3ELS4_3ELS4_3ELNS0_20block_scan_algorithmE0ELj4294967295EEENS1_25partition_config_selectorILNS1_17partition_subalgoE4EjNS0_10empty_typeEbEEZZNS1_14partition_implILS8_4ELb0ES6_15HIP_vector_typeIjLj2EENS0_17counting_iteratorIjlEEPS9_SG_NS0_5tupleIJPjSI_NS0_16reverse_iteratorISI_EEEEENSH_IJSG_SG_SG_EEES9_SI_JZNS1_25segmented_radix_sort_implINS0_14default_configELb0EPKdPdPKlPlN2at6native12_GLOBAL__N_18offset_tEEE10hipError_tPvRmT1_PNSt15iterator_traitsIS12_E10value_typeET2_T3_PNS13_IS18_E10value_typeET4_jRbjT5_S1E_jjP12ihipStream_tbEUljE_ZNSN_ISO_Lb0ESQ_SR_ST_SU_SY_EESZ_S10_S11_S12_S16_S17_S18_S1B_S1C_jS1D_jS1E_S1E_jjS1G_bEUljE0_EEESZ_S10_S11_S18_S1C_S1E_T6_T7_T9_mT8_S1G_bDpT10_ENKUlT_T0_E_clISt17integral_constantIbLb0EES1U_EEDaS1P_S1Q_EUlS1P_E_NS1_11comp_targetILNS1_3genE9ELNS1_11target_archE1100ELNS1_3gpuE3ELNS1_3repE0EEENS1_30default_config_static_selectorELNS0_4arch9wavefront6targetE0EEEvS12_.has_dyn_sized_stack, 0
	.set _ZN7rocprim17ROCPRIM_400000_NS6detail17trampoline_kernelINS0_13select_configILj256ELj13ELNS0_17block_load_methodE3ELS4_3ELS4_3ELNS0_20block_scan_algorithmE0ELj4294967295EEENS1_25partition_config_selectorILNS1_17partition_subalgoE4EjNS0_10empty_typeEbEEZZNS1_14partition_implILS8_4ELb0ES6_15HIP_vector_typeIjLj2EENS0_17counting_iteratorIjlEEPS9_SG_NS0_5tupleIJPjSI_NS0_16reverse_iteratorISI_EEEEENSH_IJSG_SG_SG_EEES9_SI_JZNS1_25segmented_radix_sort_implINS0_14default_configELb0EPKdPdPKlPlN2at6native12_GLOBAL__N_18offset_tEEE10hipError_tPvRmT1_PNSt15iterator_traitsIS12_E10value_typeET2_T3_PNS13_IS18_E10value_typeET4_jRbjT5_S1E_jjP12ihipStream_tbEUljE_ZNSN_ISO_Lb0ESQ_SR_ST_SU_SY_EESZ_S10_S11_S12_S16_S17_S18_S1B_S1C_jS1D_jS1E_S1E_jjS1G_bEUljE0_EEESZ_S10_S11_S18_S1C_S1E_T6_T7_T9_mT8_S1G_bDpT10_ENKUlT_T0_E_clISt17integral_constantIbLb0EES1U_EEDaS1P_S1Q_EUlS1P_E_NS1_11comp_targetILNS1_3genE9ELNS1_11target_archE1100ELNS1_3gpuE3ELNS1_3repE0EEENS1_30default_config_static_selectorELNS0_4arch9wavefront6targetE0EEEvS12_.has_recursion, 0
	.set _ZN7rocprim17ROCPRIM_400000_NS6detail17trampoline_kernelINS0_13select_configILj256ELj13ELNS0_17block_load_methodE3ELS4_3ELS4_3ELNS0_20block_scan_algorithmE0ELj4294967295EEENS1_25partition_config_selectorILNS1_17partition_subalgoE4EjNS0_10empty_typeEbEEZZNS1_14partition_implILS8_4ELb0ES6_15HIP_vector_typeIjLj2EENS0_17counting_iteratorIjlEEPS9_SG_NS0_5tupleIJPjSI_NS0_16reverse_iteratorISI_EEEEENSH_IJSG_SG_SG_EEES9_SI_JZNS1_25segmented_radix_sort_implINS0_14default_configELb0EPKdPdPKlPlN2at6native12_GLOBAL__N_18offset_tEEE10hipError_tPvRmT1_PNSt15iterator_traitsIS12_E10value_typeET2_T3_PNS13_IS18_E10value_typeET4_jRbjT5_S1E_jjP12ihipStream_tbEUljE_ZNSN_ISO_Lb0ESQ_SR_ST_SU_SY_EESZ_S10_S11_S12_S16_S17_S18_S1B_S1C_jS1D_jS1E_S1E_jjS1G_bEUljE0_EEESZ_S10_S11_S18_S1C_S1E_T6_T7_T9_mT8_S1G_bDpT10_ENKUlT_T0_E_clISt17integral_constantIbLb0EES1U_EEDaS1P_S1Q_EUlS1P_E_NS1_11comp_targetILNS1_3genE9ELNS1_11target_archE1100ELNS1_3gpuE3ELNS1_3repE0EEENS1_30default_config_static_selectorELNS0_4arch9wavefront6targetE0EEEvS12_.has_indirect_call, 0
	.section	.AMDGPU.csdata,"",@progbits
; Kernel info:
; codeLenInByte = 0
; TotalNumSgprs: 0
; NumVgprs: 0
; ScratchSize: 0
; MemoryBound: 0
; FloatMode: 240
; IeeeMode: 1
; LDSByteSize: 0 bytes/workgroup (compile time only)
; SGPRBlocks: 0
; VGPRBlocks: 0
; NumSGPRsForWavesPerEU: 1
; NumVGPRsForWavesPerEU: 1
; Occupancy: 16
; WaveLimiterHint : 0
; COMPUTE_PGM_RSRC2:SCRATCH_EN: 0
; COMPUTE_PGM_RSRC2:USER_SGPR: 2
; COMPUTE_PGM_RSRC2:TRAP_HANDLER: 0
; COMPUTE_PGM_RSRC2:TGID_X_EN: 1
; COMPUTE_PGM_RSRC2:TGID_Y_EN: 0
; COMPUTE_PGM_RSRC2:TGID_Z_EN: 0
; COMPUTE_PGM_RSRC2:TIDIG_COMP_CNT: 0
	.section	.text._ZN7rocprim17ROCPRIM_400000_NS6detail17trampoline_kernelINS0_13select_configILj256ELj13ELNS0_17block_load_methodE3ELS4_3ELS4_3ELNS0_20block_scan_algorithmE0ELj4294967295EEENS1_25partition_config_selectorILNS1_17partition_subalgoE4EjNS0_10empty_typeEbEEZZNS1_14partition_implILS8_4ELb0ES6_15HIP_vector_typeIjLj2EENS0_17counting_iteratorIjlEEPS9_SG_NS0_5tupleIJPjSI_NS0_16reverse_iteratorISI_EEEEENSH_IJSG_SG_SG_EEES9_SI_JZNS1_25segmented_radix_sort_implINS0_14default_configELb0EPKdPdPKlPlN2at6native12_GLOBAL__N_18offset_tEEE10hipError_tPvRmT1_PNSt15iterator_traitsIS12_E10value_typeET2_T3_PNS13_IS18_E10value_typeET4_jRbjT5_S1E_jjP12ihipStream_tbEUljE_ZNSN_ISO_Lb0ESQ_SR_ST_SU_SY_EESZ_S10_S11_S12_S16_S17_S18_S1B_S1C_jS1D_jS1E_S1E_jjS1G_bEUljE0_EEESZ_S10_S11_S18_S1C_S1E_T6_T7_T9_mT8_S1G_bDpT10_ENKUlT_T0_E_clISt17integral_constantIbLb0EES1U_EEDaS1P_S1Q_EUlS1P_E_NS1_11comp_targetILNS1_3genE8ELNS1_11target_archE1030ELNS1_3gpuE2ELNS1_3repE0EEENS1_30default_config_static_selectorELNS0_4arch9wavefront6targetE0EEEvS12_,"axG",@progbits,_ZN7rocprim17ROCPRIM_400000_NS6detail17trampoline_kernelINS0_13select_configILj256ELj13ELNS0_17block_load_methodE3ELS4_3ELS4_3ELNS0_20block_scan_algorithmE0ELj4294967295EEENS1_25partition_config_selectorILNS1_17partition_subalgoE4EjNS0_10empty_typeEbEEZZNS1_14partition_implILS8_4ELb0ES6_15HIP_vector_typeIjLj2EENS0_17counting_iteratorIjlEEPS9_SG_NS0_5tupleIJPjSI_NS0_16reverse_iteratorISI_EEEEENSH_IJSG_SG_SG_EEES9_SI_JZNS1_25segmented_radix_sort_implINS0_14default_configELb0EPKdPdPKlPlN2at6native12_GLOBAL__N_18offset_tEEE10hipError_tPvRmT1_PNSt15iterator_traitsIS12_E10value_typeET2_T3_PNS13_IS18_E10value_typeET4_jRbjT5_S1E_jjP12ihipStream_tbEUljE_ZNSN_ISO_Lb0ESQ_SR_ST_SU_SY_EESZ_S10_S11_S12_S16_S17_S18_S1B_S1C_jS1D_jS1E_S1E_jjS1G_bEUljE0_EEESZ_S10_S11_S18_S1C_S1E_T6_T7_T9_mT8_S1G_bDpT10_ENKUlT_T0_E_clISt17integral_constantIbLb0EES1U_EEDaS1P_S1Q_EUlS1P_E_NS1_11comp_targetILNS1_3genE8ELNS1_11target_archE1030ELNS1_3gpuE2ELNS1_3repE0EEENS1_30default_config_static_selectorELNS0_4arch9wavefront6targetE0EEEvS12_,comdat
	.globl	_ZN7rocprim17ROCPRIM_400000_NS6detail17trampoline_kernelINS0_13select_configILj256ELj13ELNS0_17block_load_methodE3ELS4_3ELS4_3ELNS0_20block_scan_algorithmE0ELj4294967295EEENS1_25partition_config_selectorILNS1_17partition_subalgoE4EjNS0_10empty_typeEbEEZZNS1_14partition_implILS8_4ELb0ES6_15HIP_vector_typeIjLj2EENS0_17counting_iteratorIjlEEPS9_SG_NS0_5tupleIJPjSI_NS0_16reverse_iteratorISI_EEEEENSH_IJSG_SG_SG_EEES9_SI_JZNS1_25segmented_radix_sort_implINS0_14default_configELb0EPKdPdPKlPlN2at6native12_GLOBAL__N_18offset_tEEE10hipError_tPvRmT1_PNSt15iterator_traitsIS12_E10value_typeET2_T3_PNS13_IS18_E10value_typeET4_jRbjT5_S1E_jjP12ihipStream_tbEUljE_ZNSN_ISO_Lb0ESQ_SR_ST_SU_SY_EESZ_S10_S11_S12_S16_S17_S18_S1B_S1C_jS1D_jS1E_S1E_jjS1G_bEUljE0_EEESZ_S10_S11_S18_S1C_S1E_T6_T7_T9_mT8_S1G_bDpT10_ENKUlT_T0_E_clISt17integral_constantIbLb0EES1U_EEDaS1P_S1Q_EUlS1P_E_NS1_11comp_targetILNS1_3genE8ELNS1_11target_archE1030ELNS1_3gpuE2ELNS1_3repE0EEENS1_30default_config_static_selectorELNS0_4arch9wavefront6targetE0EEEvS12_ ; -- Begin function _ZN7rocprim17ROCPRIM_400000_NS6detail17trampoline_kernelINS0_13select_configILj256ELj13ELNS0_17block_load_methodE3ELS4_3ELS4_3ELNS0_20block_scan_algorithmE0ELj4294967295EEENS1_25partition_config_selectorILNS1_17partition_subalgoE4EjNS0_10empty_typeEbEEZZNS1_14partition_implILS8_4ELb0ES6_15HIP_vector_typeIjLj2EENS0_17counting_iteratorIjlEEPS9_SG_NS0_5tupleIJPjSI_NS0_16reverse_iteratorISI_EEEEENSH_IJSG_SG_SG_EEES9_SI_JZNS1_25segmented_radix_sort_implINS0_14default_configELb0EPKdPdPKlPlN2at6native12_GLOBAL__N_18offset_tEEE10hipError_tPvRmT1_PNSt15iterator_traitsIS12_E10value_typeET2_T3_PNS13_IS18_E10value_typeET4_jRbjT5_S1E_jjP12ihipStream_tbEUljE_ZNSN_ISO_Lb0ESQ_SR_ST_SU_SY_EESZ_S10_S11_S12_S16_S17_S18_S1B_S1C_jS1D_jS1E_S1E_jjS1G_bEUljE0_EEESZ_S10_S11_S18_S1C_S1E_T6_T7_T9_mT8_S1G_bDpT10_ENKUlT_T0_E_clISt17integral_constantIbLb0EES1U_EEDaS1P_S1Q_EUlS1P_E_NS1_11comp_targetILNS1_3genE8ELNS1_11target_archE1030ELNS1_3gpuE2ELNS1_3repE0EEENS1_30default_config_static_selectorELNS0_4arch9wavefront6targetE0EEEvS12_
	.p2align	8
	.type	_ZN7rocprim17ROCPRIM_400000_NS6detail17trampoline_kernelINS0_13select_configILj256ELj13ELNS0_17block_load_methodE3ELS4_3ELS4_3ELNS0_20block_scan_algorithmE0ELj4294967295EEENS1_25partition_config_selectorILNS1_17partition_subalgoE4EjNS0_10empty_typeEbEEZZNS1_14partition_implILS8_4ELb0ES6_15HIP_vector_typeIjLj2EENS0_17counting_iteratorIjlEEPS9_SG_NS0_5tupleIJPjSI_NS0_16reverse_iteratorISI_EEEEENSH_IJSG_SG_SG_EEES9_SI_JZNS1_25segmented_radix_sort_implINS0_14default_configELb0EPKdPdPKlPlN2at6native12_GLOBAL__N_18offset_tEEE10hipError_tPvRmT1_PNSt15iterator_traitsIS12_E10value_typeET2_T3_PNS13_IS18_E10value_typeET4_jRbjT5_S1E_jjP12ihipStream_tbEUljE_ZNSN_ISO_Lb0ESQ_SR_ST_SU_SY_EESZ_S10_S11_S12_S16_S17_S18_S1B_S1C_jS1D_jS1E_S1E_jjS1G_bEUljE0_EEESZ_S10_S11_S18_S1C_S1E_T6_T7_T9_mT8_S1G_bDpT10_ENKUlT_T0_E_clISt17integral_constantIbLb0EES1U_EEDaS1P_S1Q_EUlS1P_E_NS1_11comp_targetILNS1_3genE8ELNS1_11target_archE1030ELNS1_3gpuE2ELNS1_3repE0EEENS1_30default_config_static_selectorELNS0_4arch9wavefront6targetE0EEEvS12_,@function
_ZN7rocprim17ROCPRIM_400000_NS6detail17trampoline_kernelINS0_13select_configILj256ELj13ELNS0_17block_load_methodE3ELS4_3ELS4_3ELNS0_20block_scan_algorithmE0ELj4294967295EEENS1_25partition_config_selectorILNS1_17partition_subalgoE4EjNS0_10empty_typeEbEEZZNS1_14partition_implILS8_4ELb0ES6_15HIP_vector_typeIjLj2EENS0_17counting_iteratorIjlEEPS9_SG_NS0_5tupleIJPjSI_NS0_16reverse_iteratorISI_EEEEENSH_IJSG_SG_SG_EEES9_SI_JZNS1_25segmented_radix_sort_implINS0_14default_configELb0EPKdPdPKlPlN2at6native12_GLOBAL__N_18offset_tEEE10hipError_tPvRmT1_PNSt15iterator_traitsIS12_E10value_typeET2_T3_PNS13_IS18_E10value_typeET4_jRbjT5_S1E_jjP12ihipStream_tbEUljE_ZNSN_ISO_Lb0ESQ_SR_ST_SU_SY_EESZ_S10_S11_S12_S16_S17_S18_S1B_S1C_jS1D_jS1E_S1E_jjS1G_bEUljE0_EEESZ_S10_S11_S18_S1C_S1E_T6_T7_T9_mT8_S1G_bDpT10_ENKUlT_T0_E_clISt17integral_constantIbLb0EES1U_EEDaS1P_S1Q_EUlS1P_E_NS1_11comp_targetILNS1_3genE8ELNS1_11target_archE1030ELNS1_3gpuE2ELNS1_3repE0EEENS1_30default_config_static_selectorELNS0_4arch9wavefront6targetE0EEEvS12_: ; @_ZN7rocprim17ROCPRIM_400000_NS6detail17trampoline_kernelINS0_13select_configILj256ELj13ELNS0_17block_load_methodE3ELS4_3ELS4_3ELNS0_20block_scan_algorithmE0ELj4294967295EEENS1_25partition_config_selectorILNS1_17partition_subalgoE4EjNS0_10empty_typeEbEEZZNS1_14partition_implILS8_4ELb0ES6_15HIP_vector_typeIjLj2EENS0_17counting_iteratorIjlEEPS9_SG_NS0_5tupleIJPjSI_NS0_16reverse_iteratorISI_EEEEENSH_IJSG_SG_SG_EEES9_SI_JZNS1_25segmented_radix_sort_implINS0_14default_configELb0EPKdPdPKlPlN2at6native12_GLOBAL__N_18offset_tEEE10hipError_tPvRmT1_PNSt15iterator_traitsIS12_E10value_typeET2_T3_PNS13_IS18_E10value_typeET4_jRbjT5_S1E_jjP12ihipStream_tbEUljE_ZNSN_ISO_Lb0ESQ_SR_ST_SU_SY_EESZ_S10_S11_S12_S16_S17_S18_S1B_S1C_jS1D_jS1E_S1E_jjS1G_bEUljE0_EEESZ_S10_S11_S18_S1C_S1E_T6_T7_T9_mT8_S1G_bDpT10_ENKUlT_T0_E_clISt17integral_constantIbLb0EES1U_EEDaS1P_S1Q_EUlS1P_E_NS1_11comp_targetILNS1_3genE8ELNS1_11target_archE1030ELNS1_3gpuE2ELNS1_3repE0EEENS1_30default_config_static_selectorELNS0_4arch9wavefront6targetE0EEEvS12_
; %bb.0:
	.section	.rodata,"a",@progbits
	.p2align	6, 0x0
	.amdhsa_kernel _ZN7rocprim17ROCPRIM_400000_NS6detail17trampoline_kernelINS0_13select_configILj256ELj13ELNS0_17block_load_methodE3ELS4_3ELS4_3ELNS0_20block_scan_algorithmE0ELj4294967295EEENS1_25partition_config_selectorILNS1_17partition_subalgoE4EjNS0_10empty_typeEbEEZZNS1_14partition_implILS8_4ELb0ES6_15HIP_vector_typeIjLj2EENS0_17counting_iteratorIjlEEPS9_SG_NS0_5tupleIJPjSI_NS0_16reverse_iteratorISI_EEEEENSH_IJSG_SG_SG_EEES9_SI_JZNS1_25segmented_radix_sort_implINS0_14default_configELb0EPKdPdPKlPlN2at6native12_GLOBAL__N_18offset_tEEE10hipError_tPvRmT1_PNSt15iterator_traitsIS12_E10value_typeET2_T3_PNS13_IS18_E10value_typeET4_jRbjT5_S1E_jjP12ihipStream_tbEUljE_ZNSN_ISO_Lb0ESQ_SR_ST_SU_SY_EESZ_S10_S11_S12_S16_S17_S18_S1B_S1C_jS1D_jS1E_S1E_jjS1G_bEUljE0_EEESZ_S10_S11_S18_S1C_S1E_T6_T7_T9_mT8_S1G_bDpT10_ENKUlT_T0_E_clISt17integral_constantIbLb0EES1U_EEDaS1P_S1Q_EUlS1P_E_NS1_11comp_targetILNS1_3genE8ELNS1_11target_archE1030ELNS1_3gpuE2ELNS1_3repE0EEENS1_30default_config_static_selectorELNS0_4arch9wavefront6targetE0EEEvS12_
		.amdhsa_group_segment_fixed_size 0
		.amdhsa_private_segment_fixed_size 0
		.amdhsa_kernarg_size 176
		.amdhsa_user_sgpr_count 2
		.amdhsa_user_sgpr_dispatch_ptr 0
		.amdhsa_user_sgpr_queue_ptr 0
		.amdhsa_user_sgpr_kernarg_segment_ptr 1
		.amdhsa_user_sgpr_dispatch_id 0
		.amdhsa_user_sgpr_private_segment_size 0
		.amdhsa_wavefront_size32 1
		.amdhsa_uses_dynamic_stack 0
		.amdhsa_enable_private_segment 0
		.amdhsa_system_sgpr_workgroup_id_x 1
		.amdhsa_system_sgpr_workgroup_id_y 0
		.amdhsa_system_sgpr_workgroup_id_z 0
		.amdhsa_system_sgpr_workgroup_info 0
		.amdhsa_system_vgpr_workitem_id 0
		.amdhsa_next_free_vgpr 1
		.amdhsa_next_free_sgpr 1
		.amdhsa_reserve_vcc 0
		.amdhsa_float_round_mode_32 0
		.amdhsa_float_round_mode_16_64 0
		.amdhsa_float_denorm_mode_32 3
		.amdhsa_float_denorm_mode_16_64 3
		.amdhsa_fp16_overflow 0
		.amdhsa_workgroup_processor_mode 1
		.amdhsa_memory_ordered 1
		.amdhsa_forward_progress 1
		.amdhsa_inst_pref_size 0
		.amdhsa_round_robin_scheduling 0
		.amdhsa_exception_fp_ieee_invalid_op 0
		.amdhsa_exception_fp_denorm_src 0
		.amdhsa_exception_fp_ieee_div_zero 0
		.amdhsa_exception_fp_ieee_overflow 0
		.amdhsa_exception_fp_ieee_underflow 0
		.amdhsa_exception_fp_ieee_inexact 0
		.amdhsa_exception_int_div_zero 0
	.end_amdhsa_kernel
	.section	.text._ZN7rocprim17ROCPRIM_400000_NS6detail17trampoline_kernelINS0_13select_configILj256ELj13ELNS0_17block_load_methodE3ELS4_3ELS4_3ELNS0_20block_scan_algorithmE0ELj4294967295EEENS1_25partition_config_selectorILNS1_17partition_subalgoE4EjNS0_10empty_typeEbEEZZNS1_14partition_implILS8_4ELb0ES6_15HIP_vector_typeIjLj2EENS0_17counting_iteratorIjlEEPS9_SG_NS0_5tupleIJPjSI_NS0_16reverse_iteratorISI_EEEEENSH_IJSG_SG_SG_EEES9_SI_JZNS1_25segmented_radix_sort_implINS0_14default_configELb0EPKdPdPKlPlN2at6native12_GLOBAL__N_18offset_tEEE10hipError_tPvRmT1_PNSt15iterator_traitsIS12_E10value_typeET2_T3_PNS13_IS18_E10value_typeET4_jRbjT5_S1E_jjP12ihipStream_tbEUljE_ZNSN_ISO_Lb0ESQ_SR_ST_SU_SY_EESZ_S10_S11_S12_S16_S17_S18_S1B_S1C_jS1D_jS1E_S1E_jjS1G_bEUljE0_EEESZ_S10_S11_S18_S1C_S1E_T6_T7_T9_mT8_S1G_bDpT10_ENKUlT_T0_E_clISt17integral_constantIbLb0EES1U_EEDaS1P_S1Q_EUlS1P_E_NS1_11comp_targetILNS1_3genE8ELNS1_11target_archE1030ELNS1_3gpuE2ELNS1_3repE0EEENS1_30default_config_static_selectorELNS0_4arch9wavefront6targetE0EEEvS12_,"axG",@progbits,_ZN7rocprim17ROCPRIM_400000_NS6detail17trampoline_kernelINS0_13select_configILj256ELj13ELNS0_17block_load_methodE3ELS4_3ELS4_3ELNS0_20block_scan_algorithmE0ELj4294967295EEENS1_25partition_config_selectorILNS1_17partition_subalgoE4EjNS0_10empty_typeEbEEZZNS1_14partition_implILS8_4ELb0ES6_15HIP_vector_typeIjLj2EENS0_17counting_iteratorIjlEEPS9_SG_NS0_5tupleIJPjSI_NS0_16reverse_iteratorISI_EEEEENSH_IJSG_SG_SG_EEES9_SI_JZNS1_25segmented_radix_sort_implINS0_14default_configELb0EPKdPdPKlPlN2at6native12_GLOBAL__N_18offset_tEEE10hipError_tPvRmT1_PNSt15iterator_traitsIS12_E10value_typeET2_T3_PNS13_IS18_E10value_typeET4_jRbjT5_S1E_jjP12ihipStream_tbEUljE_ZNSN_ISO_Lb0ESQ_SR_ST_SU_SY_EESZ_S10_S11_S12_S16_S17_S18_S1B_S1C_jS1D_jS1E_S1E_jjS1G_bEUljE0_EEESZ_S10_S11_S18_S1C_S1E_T6_T7_T9_mT8_S1G_bDpT10_ENKUlT_T0_E_clISt17integral_constantIbLb0EES1U_EEDaS1P_S1Q_EUlS1P_E_NS1_11comp_targetILNS1_3genE8ELNS1_11target_archE1030ELNS1_3gpuE2ELNS1_3repE0EEENS1_30default_config_static_selectorELNS0_4arch9wavefront6targetE0EEEvS12_,comdat
.Lfunc_end1164:
	.size	_ZN7rocprim17ROCPRIM_400000_NS6detail17trampoline_kernelINS0_13select_configILj256ELj13ELNS0_17block_load_methodE3ELS4_3ELS4_3ELNS0_20block_scan_algorithmE0ELj4294967295EEENS1_25partition_config_selectorILNS1_17partition_subalgoE4EjNS0_10empty_typeEbEEZZNS1_14partition_implILS8_4ELb0ES6_15HIP_vector_typeIjLj2EENS0_17counting_iteratorIjlEEPS9_SG_NS0_5tupleIJPjSI_NS0_16reverse_iteratorISI_EEEEENSH_IJSG_SG_SG_EEES9_SI_JZNS1_25segmented_radix_sort_implINS0_14default_configELb0EPKdPdPKlPlN2at6native12_GLOBAL__N_18offset_tEEE10hipError_tPvRmT1_PNSt15iterator_traitsIS12_E10value_typeET2_T3_PNS13_IS18_E10value_typeET4_jRbjT5_S1E_jjP12ihipStream_tbEUljE_ZNSN_ISO_Lb0ESQ_SR_ST_SU_SY_EESZ_S10_S11_S12_S16_S17_S18_S1B_S1C_jS1D_jS1E_S1E_jjS1G_bEUljE0_EEESZ_S10_S11_S18_S1C_S1E_T6_T7_T9_mT8_S1G_bDpT10_ENKUlT_T0_E_clISt17integral_constantIbLb0EES1U_EEDaS1P_S1Q_EUlS1P_E_NS1_11comp_targetILNS1_3genE8ELNS1_11target_archE1030ELNS1_3gpuE2ELNS1_3repE0EEENS1_30default_config_static_selectorELNS0_4arch9wavefront6targetE0EEEvS12_, .Lfunc_end1164-_ZN7rocprim17ROCPRIM_400000_NS6detail17trampoline_kernelINS0_13select_configILj256ELj13ELNS0_17block_load_methodE3ELS4_3ELS4_3ELNS0_20block_scan_algorithmE0ELj4294967295EEENS1_25partition_config_selectorILNS1_17partition_subalgoE4EjNS0_10empty_typeEbEEZZNS1_14partition_implILS8_4ELb0ES6_15HIP_vector_typeIjLj2EENS0_17counting_iteratorIjlEEPS9_SG_NS0_5tupleIJPjSI_NS0_16reverse_iteratorISI_EEEEENSH_IJSG_SG_SG_EEES9_SI_JZNS1_25segmented_radix_sort_implINS0_14default_configELb0EPKdPdPKlPlN2at6native12_GLOBAL__N_18offset_tEEE10hipError_tPvRmT1_PNSt15iterator_traitsIS12_E10value_typeET2_T3_PNS13_IS18_E10value_typeET4_jRbjT5_S1E_jjP12ihipStream_tbEUljE_ZNSN_ISO_Lb0ESQ_SR_ST_SU_SY_EESZ_S10_S11_S12_S16_S17_S18_S1B_S1C_jS1D_jS1E_S1E_jjS1G_bEUljE0_EEESZ_S10_S11_S18_S1C_S1E_T6_T7_T9_mT8_S1G_bDpT10_ENKUlT_T0_E_clISt17integral_constantIbLb0EES1U_EEDaS1P_S1Q_EUlS1P_E_NS1_11comp_targetILNS1_3genE8ELNS1_11target_archE1030ELNS1_3gpuE2ELNS1_3repE0EEENS1_30default_config_static_selectorELNS0_4arch9wavefront6targetE0EEEvS12_
                                        ; -- End function
	.set _ZN7rocprim17ROCPRIM_400000_NS6detail17trampoline_kernelINS0_13select_configILj256ELj13ELNS0_17block_load_methodE3ELS4_3ELS4_3ELNS0_20block_scan_algorithmE0ELj4294967295EEENS1_25partition_config_selectorILNS1_17partition_subalgoE4EjNS0_10empty_typeEbEEZZNS1_14partition_implILS8_4ELb0ES6_15HIP_vector_typeIjLj2EENS0_17counting_iteratorIjlEEPS9_SG_NS0_5tupleIJPjSI_NS0_16reverse_iteratorISI_EEEEENSH_IJSG_SG_SG_EEES9_SI_JZNS1_25segmented_radix_sort_implINS0_14default_configELb0EPKdPdPKlPlN2at6native12_GLOBAL__N_18offset_tEEE10hipError_tPvRmT1_PNSt15iterator_traitsIS12_E10value_typeET2_T3_PNS13_IS18_E10value_typeET4_jRbjT5_S1E_jjP12ihipStream_tbEUljE_ZNSN_ISO_Lb0ESQ_SR_ST_SU_SY_EESZ_S10_S11_S12_S16_S17_S18_S1B_S1C_jS1D_jS1E_S1E_jjS1G_bEUljE0_EEESZ_S10_S11_S18_S1C_S1E_T6_T7_T9_mT8_S1G_bDpT10_ENKUlT_T0_E_clISt17integral_constantIbLb0EES1U_EEDaS1P_S1Q_EUlS1P_E_NS1_11comp_targetILNS1_3genE8ELNS1_11target_archE1030ELNS1_3gpuE2ELNS1_3repE0EEENS1_30default_config_static_selectorELNS0_4arch9wavefront6targetE0EEEvS12_.num_vgpr, 0
	.set _ZN7rocprim17ROCPRIM_400000_NS6detail17trampoline_kernelINS0_13select_configILj256ELj13ELNS0_17block_load_methodE3ELS4_3ELS4_3ELNS0_20block_scan_algorithmE0ELj4294967295EEENS1_25partition_config_selectorILNS1_17partition_subalgoE4EjNS0_10empty_typeEbEEZZNS1_14partition_implILS8_4ELb0ES6_15HIP_vector_typeIjLj2EENS0_17counting_iteratorIjlEEPS9_SG_NS0_5tupleIJPjSI_NS0_16reverse_iteratorISI_EEEEENSH_IJSG_SG_SG_EEES9_SI_JZNS1_25segmented_radix_sort_implINS0_14default_configELb0EPKdPdPKlPlN2at6native12_GLOBAL__N_18offset_tEEE10hipError_tPvRmT1_PNSt15iterator_traitsIS12_E10value_typeET2_T3_PNS13_IS18_E10value_typeET4_jRbjT5_S1E_jjP12ihipStream_tbEUljE_ZNSN_ISO_Lb0ESQ_SR_ST_SU_SY_EESZ_S10_S11_S12_S16_S17_S18_S1B_S1C_jS1D_jS1E_S1E_jjS1G_bEUljE0_EEESZ_S10_S11_S18_S1C_S1E_T6_T7_T9_mT8_S1G_bDpT10_ENKUlT_T0_E_clISt17integral_constantIbLb0EES1U_EEDaS1P_S1Q_EUlS1P_E_NS1_11comp_targetILNS1_3genE8ELNS1_11target_archE1030ELNS1_3gpuE2ELNS1_3repE0EEENS1_30default_config_static_selectorELNS0_4arch9wavefront6targetE0EEEvS12_.num_agpr, 0
	.set _ZN7rocprim17ROCPRIM_400000_NS6detail17trampoline_kernelINS0_13select_configILj256ELj13ELNS0_17block_load_methodE3ELS4_3ELS4_3ELNS0_20block_scan_algorithmE0ELj4294967295EEENS1_25partition_config_selectorILNS1_17partition_subalgoE4EjNS0_10empty_typeEbEEZZNS1_14partition_implILS8_4ELb0ES6_15HIP_vector_typeIjLj2EENS0_17counting_iteratorIjlEEPS9_SG_NS0_5tupleIJPjSI_NS0_16reverse_iteratorISI_EEEEENSH_IJSG_SG_SG_EEES9_SI_JZNS1_25segmented_radix_sort_implINS0_14default_configELb0EPKdPdPKlPlN2at6native12_GLOBAL__N_18offset_tEEE10hipError_tPvRmT1_PNSt15iterator_traitsIS12_E10value_typeET2_T3_PNS13_IS18_E10value_typeET4_jRbjT5_S1E_jjP12ihipStream_tbEUljE_ZNSN_ISO_Lb0ESQ_SR_ST_SU_SY_EESZ_S10_S11_S12_S16_S17_S18_S1B_S1C_jS1D_jS1E_S1E_jjS1G_bEUljE0_EEESZ_S10_S11_S18_S1C_S1E_T6_T7_T9_mT8_S1G_bDpT10_ENKUlT_T0_E_clISt17integral_constantIbLb0EES1U_EEDaS1P_S1Q_EUlS1P_E_NS1_11comp_targetILNS1_3genE8ELNS1_11target_archE1030ELNS1_3gpuE2ELNS1_3repE0EEENS1_30default_config_static_selectorELNS0_4arch9wavefront6targetE0EEEvS12_.numbered_sgpr, 0
	.set _ZN7rocprim17ROCPRIM_400000_NS6detail17trampoline_kernelINS0_13select_configILj256ELj13ELNS0_17block_load_methodE3ELS4_3ELS4_3ELNS0_20block_scan_algorithmE0ELj4294967295EEENS1_25partition_config_selectorILNS1_17partition_subalgoE4EjNS0_10empty_typeEbEEZZNS1_14partition_implILS8_4ELb0ES6_15HIP_vector_typeIjLj2EENS0_17counting_iteratorIjlEEPS9_SG_NS0_5tupleIJPjSI_NS0_16reverse_iteratorISI_EEEEENSH_IJSG_SG_SG_EEES9_SI_JZNS1_25segmented_radix_sort_implINS0_14default_configELb0EPKdPdPKlPlN2at6native12_GLOBAL__N_18offset_tEEE10hipError_tPvRmT1_PNSt15iterator_traitsIS12_E10value_typeET2_T3_PNS13_IS18_E10value_typeET4_jRbjT5_S1E_jjP12ihipStream_tbEUljE_ZNSN_ISO_Lb0ESQ_SR_ST_SU_SY_EESZ_S10_S11_S12_S16_S17_S18_S1B_S1C_jS1D_jS1E_S1E_jjS1G_bEUljE0_EEESZ_S10_S11_S18_S1C_S1E_T6_T7_T9_mT8_S1G_bDpT10_ENKUlT_T0_E_clISt17integral_constantIbLb0EES1U_EEDaS1P_S1Q_EUlS1P_E_NS1_11comp_targetILNS1_3genE8ELNS1_11target_archE1030ELNS1_3gpuE2ELNS1_3repE0EEENS1_30default_config_static_selectorELNS0_4arch9wavefront6targetE0EEEvS12_.num_named_barrier, 0
	.set _ZN7rocprim17ROCPRIM_400000_NS6detail17trampoline_kernelINS0_13select_configILj256ELj13ELNS0_17block_load_methodE3ELS4_3ELS4_3ELNS0_20block_scan_algorithmE0ELj4294967295EEENS1_25partition_config_selectorILNS1_17partition_subalgoE4EjNS0_10empty_typeEbEEZZNS1_14partition_implILS8_4ELb0ES6_15HIP_vector_typeIjLj2EENS0_17counting_iteratorIjlEEPS9_SG_NS0_5tupleIJPjSI_NS0_16reverse_iteratorISI_EEEEENSH_IJSG_SG_SG_EEES9_SI_JZNS1_25segmented_radix_sort_implINS0_14default_configELb0EPKdPdPKlPlN2at6native12_GLOBAL__N_18offset_tEEE10hipError_tPvRmT1_PNSt15iterator_traitsIS12_E10value_typeET2_T3_PNS13_IS18_E10value_typeET4_jRbjT5_S1E_jjP12ihipStream_tbEUljE_ZNSN_ISO_Lb0ESQ_SR_ST_SU_SY_EESZ_S10_S11_S12_S16_S17_S18_S1B_S1C_jS1D_jS1E_S1E_jjS1G_bEUljE0_EEESZ_S10_S11_S18_S1C_S1E_T6_T7_T9_mT8_S1G_bDpT10_ENKUlT_T0_E_clISt17integral_constantIbLb0EES1U_EEDaS1P_S1Q_EUlS1P_E_NS1_11comp_targetILNS1_3genE8ELNS1_11target_archE1030ELNS1_3gpuE2ELNS1_3repE0EEENS1_30default_config_static_selectorELNS0_4arch9wavefront6targetE0EEEvS12_.private_seg_size, 0
	.set _ZN7rocprim17ROCPRIM_400000_NS6detail17trampoline_kernelINS0_13select_configILj256ELj13ELNS0_17block_load_methodE3ELS4_3ELS4_3ELNS0_20block_scan_algorithmE0ELj4294967295EEENS1_25partition_config_selectorILNS1_17partition_subalgoE4EjNS0_10empty_typeEbEEZZNS1_14partition_implILS8_4ELb0ES6_15HIP_vector_typeIjLj2EENS0_17counting_iteratorIjlEEPS9_SG_NS0_5tupleIJPjSI_NS0_16reverse_iteratorISI_EEEEENSH_IJSG_SG_SG_EEES9_SI_JZNS1_25segmented_radix_sort_implINS0_14default_configELb0EPKdPdPKlPlN2at6native12_GLOBAL__N_18offset_tEEE10hipError_tPvRmT1_PNSt15iterator_traitsIS12_E10value_typeET2_T3_PNS13_IS18_E10value_typeET4_jRbjT5_S1E_jjP12ihipStream_tbEUljE_ZNSN_ISO_Lb0ESQ_SR_ST_SU_SY_EESZ_S10_S11_S12_S16_S17_S18_S1B_S1C_jS1D_jS1E_S1E_jjS1G_bEUljE0_EEESZ_S10_S11_S18_S1C_S1E_T6_T7_T9_mT8_S1G_bDpT10_ENKUlT_T0_E_clISt17integral_constantIbLb0EES1U_EEDaS1P_S1Q_EUlS1P_E_NS1_11comp_targetILNS1_3genE8ELNS1_11target_archE1030ELNS1_3gpuE2ELNS1_3repE0EEENS1_30default_config_static_selectorELNS0_4arch9wavefront6targetE0EEEvS12_.uses_vcc, 0
	.set _ZN7rocprim17ROCPRIM_400000_NS6detail17trampoline_kernelINS0_13select_configILj256ELj13ELNS0_17block_load_methodE3ELS4_3ELS4_3ELNS0_20block_scan_algorithmE0ELj4294967295EEENS1_25partition_config_selectorILNS1_17partition_subalgoE4EjNS0_10empty_typeEbEEZZNS1_14partition_implILS8_4ELb0ES6_15HIP_vector_typeIjLj2EENS0_17counting_iteratorIjlEEPS9_SG_NS0_5tupleIJPjSI_NS0_16reverse_iteratorISI_EEEEENSH_IJSG_SG_SG_EEES9_SI_JZNS1_25segmented_radix_sort_implINS0_14default_configELb0EPKdPdPKlPlN2at6native12_GLOBAL__N_18offset_tEEE10hipError_tPvRmT1_PNSt15iterator_traitsIS12_E10value_typeET2_T3_PNS13_IS18_E10value_typeET4_jRbjT5_S1E_jjP12ihipStream_tbEUljE_ZNSN_ISO_Lb0ESQ_SR_ST_SU_SY_EESZ_S10_S11_S12_S16_S17_S18_S1B_S1C_jS1D_jS1E_S1E_jjS1G_bEUljE0_EEESZ_S10_S11_S18_S1C_S1E_T6_T7_T9_mT8_S1G_bDpT10_ENKUlT_T0_E_clISt17integral_constantIbLb0EES1U_EEDaS1P_S1Q_EUlS1P_E_NS1_11comp_targetILNS1_3genE8ELNS1_11target_archE1030ELNS1_3gpuE2ELNS1_3repE0EEENS1_30default_config_static_selectorELNS0_4arch9wavefront6targetE0EEEvS12_.uses_flat_scratch, 0
	.set _ZN7rocprim17ROCPRIM_400000_NS6detail17trampoline_kernelINS0_13select_configILj256ELj13ELNS0_17block_load_methodE3ELS4_3ELS4_3ELNS0_20block_scan_algorithmE0ELj4294967295EEENS1_25partition_config_selectorILNS1_17partition_subalgoE4EjNS0_10empty_typeEbEEZZNS1_14partition_implILS8_4ELb0ES6_15HIP_vector_typeIjLj2EENS0_17counting_iteratorIjlEEPS9_SG_NS0_5tupleIJPjSI_NS0_16reverse_iteratorISI_EEEEENSH_IJSG_SG_SG_EEES9_SI_JZNS1_25segmented_radix_sort_implINS0_14default_configELb0EPKdPdPKlPlN2at6native12_GLOBAL__N_18offset_tEEE10hipError_tPvRmT1_PNSt15iterator_traitsIS12_E10value_typeET2_T3_PNS13_IS18_E10value_typeET4_jRbjT5_S1E_jjP12ihipStream_tbEUljE_ZNSN_ISO_Lb0ESQ_SR_ST_SU_SY_EESZ_S10_S11_S12_S16_S17_S18_S1B_S1C_jS1D_jS1E_S1E_jjS1G_bEUljE0_EEESZ_S10_S11_S18_S1C_S1E_T6_T7_T9_mT8_S1G_bDpT10_ENKUlT_T0_E_clISt17integral_constantIbLb0EES1U_EEDaS1P_S1Q_EUlS1P_E_NS1_11comp_targetILNS1_3genE8ELNS1_11target_archE1030ELNS1_3gpuE2ELNS1_3repE0EEENS1_30default_config_static_selectorELNS0_4arch9wavefront6targetE0EEEvS12_.has_dyn_sized_stack, 0
	.set _ZN7rocprim17ROCPRIM_400000_NS6detail17trampoline_kernelINS0_13select_configILj256ELj13ELNS0_17block_load_methodE3ELS4_3ELS4_3ELNS0_20block_scan_algorithmE0ELj4294967295EEENS1_25partition_config_selectorILNS1_17partition_subalgoE4EjNS0_10empty_typeEbEEZZNS1_14partition_implILS8_4ELb0ES6_15HIP_vector_typeIjLj2EENS0_17counting_iteratorIjlEEPS9_SG_NS0_5tupleIJPjSI_NS0_16reverse_iteratorISI_EEEEENSH_IJSG_SG_SG_EEES9_SI_JZNS1_25segmented_radix_sort_implINS0_14default_configELb0EPKdPdPKlPlN2at6native12_GLOBAL__N_18offset_tEEE10hipError_tPvRmT1_PNSt15iterator_traitsIS12_E10value_typeET2_T3_PNS13_IS18_E10value_typeET4_jRbjT5_S1E_jjP12ihipStream_tbEUljE_ZNSN_ISO_Lb0ESQ_SR_ST_SU_SY_EESZ_S10_S11_S12_S16_S17_S18_S1B_S1C_jS1D_jS1E_S1E_jjS1G_bEUljE0_EEESZ_S10_S11_S18_S1C_S1E_T6_T7_T9_mT8_S1G_bDpT10_ENKUlT_T0_E_clISt17integral_constantIbLb0EES1U_EEDaS1P_S1Q_EUlS1P_E_NS1_11comp_targetILNS1_3genE8ELNS1_11target_archE1030ELNS1_3gpuE2ELNS1_3repE0EEENS1_30default_config_static_selectorELNS0_4arch9wavefront6targetE0EEEvS12_.has_recursion, 0
	.set _ZN7rocprim17ROCPRIM_400000_NS6detail17trampoline_kernelINS0_13select_configILj256ELj13ELNS0_17block_load_methodE3ELS4_3ELS4_3ELNS0_20block_scan_algorithmE0ELj4294967295EEENS1_25partition_config_selectorILNS1_17partition_subalgoE4EjNS0_10empty_typeEbEEZZNS1_14partition_implILS8_4ELb0ES6_15HIP_vector_typeIjLj2EENS0_17counting_iteratorIjlEEPS9_SG_NS0_5tupleIJPjSI_NS0_16reverse_iteratorISI_EEEEENSH_IJSG_SG_SG_EEES9_SI_JZNS1_25segmented_radix_sort_implINS0_14default_configELb0EPKdPdPKlPlN2at6native12_GLOBAL__N_18offset_tEEE10hipError_tPvRmT1_PNSt15iterator_traitsIS12_E10value_typeET2_T3_PNS13_IS18_E10value_typeET4_jRbjT5_S1E_jjP12ihipStream_tbEUljE_ZNSN_ISO_Lb0ESQ_SR_ST_SU_SY_EESZ_S10_S11_S12_S16_S17_S18_S1B_S1C_jS1D_jS1E_S1E_jjS1G_bEUljE0_EEESZ_S10_S11_S18_S1C_S1E_T6_T7_T9_mT8_S1G_bDpT10_ENKUlT_T0_E_clISt17integral_constantIbLb0EES1U_EEDaS1P_S1Q_EUlS1P_E_NS1_11comp_targetILNS1_3genE8ELNS1_11target_archE1030ELNS1_3gpuE2ELNS1_3repE0EEENS1_30default_config_static_selectorELNS0_4arch9wavefront6targetE0EEEvS12_.has_indirect_call, 0
	.section	.AMDGPU.csdata,"",@progbits
; Kernel info:
; codeLenInByte = 0
; TotalNumSgprs: 0
; NumVgprs: 0
; ScratchSize: 0
; MemoryBound: 0
; FloatMode: 240
; IeeeMode: 1
; LDSByteSize: 0 bytes/workgroup (compile time only)
; SGPRBlocks: 0
; VGPRBlocks: 0
; NumSGPRsForWavesPerEU: 1
; NumVGPRsForWavesPerEU: 1
; Occupancy: 16
; WaveLimiterHint : 0
; COMPUTE_PGM_RSRC2:SCRATCH_EN: 0
; COMPUTE_PGM_RSRC2:USER_SGPR: 2
; COMPUTE_PGM_RSRC2:TRAP_HANDLER: 0
; COMPUTE_PGM_RSRC2:TGID_X_EN: 1
; COMPUTE_PGM_RSRC2:TGID_Y_EN: 0
; COMPUTE_PGM_RSRC2:TGID_Z_EN: 0
; COMPUTE_PGM_RSRC2:TIDIG_COMP_CNT: 0
	.section	.text._ZN7rocprim17ROCPRIM_400000_NS6detail17trampoline_kernelINS0_13select_configILj256ELj13ELNS0_17block_load_methodE3ELS4_3ELS4_3ELNS0_20block_scan_algorithmE0ELj4294967295EEENS1_25partition_config_selectorILNS1_17partition_subalgoE4EjNS0_10empty_typeEbEEZZNS1_14partition_implILS8_4ELb0ES6_15HIP_vector_typeIjLj2EENS0_17counting_iteratorIjlEEPS9_SG_NS0_5tupleIJPjSI_NS0_16reverse_iteratorISI_EEEEENSH_IJSG_SG_SG_EEES9_SI_JZNS1_25segmented_radix_sort_implINS0_14default_configELb0EPKdPdPKlPlN2at6native12_GLOBAL__N_18offset_tEEE10hipError_tPvRmT1_PNSt15iterator_traitsIS12_E10value_typeET2_T3_PNS13_IS18_E10value_typeET4_jRbjT5_S1E_jjP12ihipStream_tbEUljE_ZNSN_ISO_Lb0ESQ_SR_ST_SU_SY_EESZ_S10_S11_S12_S16_S17_S18_S1B_S1C_jS1D_jS1E_S1E_jjS1G_bEUljE0_EEESZ_S10_S11_S18_S1C_S1E_T6_T7_T9_mT8_S1G_bDpT10_ENKUlT_T0_E_clISt17integral_constantIbLb1EES1U_EEDaS1P_S1Q_EUlS1P_E_NS1_11comp_targetILNS1_3genE0ELNS1_11target_archE4294967295ELNS1_3gpuE0ELNS1_3repE0EEENS1_30default_config_static_selectorELNS0_4arch9wavefront6targetE0EEEvS12_,"axG",@progbits,_ZN7rocprim17ROCPRIM_400000_NS6detail17trampoline_kernelINS0_13select_configILj256ELj13ELNS0_17block_load_methodE3ELS4_3ELS4_3ELNS0_20block_scan_algorithmE0ELj4294967295EEENS1_25partition_config_selectorILNS1_17partition_subalgoE4EjNS0_10empty_typeEbEEZZNS1_14partition_implILS8_4ELb0ES6_15HIP_vector_typeIjLj2EENS0_17counting_iteratorIjlEEPS9_SG_NS0_5tupleIJPjSI_NS0_16reverse_iteratorISI_EEEEENSH_IJSG_SG_SG_EEES9_SI_JZNS1_25segmented_radix_sort_implINS0_14default_configELb0EPKdPdPKlPlN2at6native12_GLOBAL__N_18offset_tEEE10hipError_tPvRmT1_PNSt15iterator_traitsIS12_E10value_typeET2_T3_PNS13_IS18_E10value_typeET4_jRbjT5_S1E_jjP12ihipStream_tbEUljE_ZNSN_ISO_Lb0ESQ_SR_ST_SU_SY_EESZ_S10_S11_S12_S16_S17_S18_S1B_S1C_jS1D_jS1E_S1E_jjS1G_bEUljE0_EEESZ_S10_S11_S18_S1C_S1E_T6_T7_T9_mT8_S1G_bDpT10_ENKUlT_T0_E_clISt17integral_constantIbLb1EES1U_EEDaS1P_S1Q_EUlS1P_E_NS1_11comp_targetILNS1_3genE0ELNS1_11target_archE4294967295ELNS1_3gpuE0ELNS1_3repE0EEENS1_30default_config_static_selectorELNS0_4arch9wavefront6targetE0EEEvS12_,comdat
	.globl	_ZN7rocprim17ROCPRIM_400000_NS6detail17trampoline_kernelINS0_13select_configILj256ELj13ELNS0_17block_load_methodE3ELS4_3ELS4_3ELNS0_20block_scan_algorithmE0ELj4294967295EEENS1_25partition_config_selectorILNS1_17partition_subalgoE4EjNS0_10empty_typeEbEEZZNS1_14partition_implILS8_4ELb0ES6_15HIP_vector_typeIjLj2EENS0_17counting_iteratorIjlEEPS9_SG_NS0_5tupleIJPjSI_NS0_16reverse_iteratorISI_EEEEENSH_IJSG_SG_SG_EEES9_SI_JZNS1_25segmented_radix_sort_implINS0_14default_configELb0EPKdPdPKlPlN2at6native12_GLOBAL__N_18offset_tEEE10hipError_tPvRmT1_PNSt15iterator_traitsIS12_E10value_typeET2_T3_PNS13_IS18_E10value_typeET4_jRbjT5_S1E_jjP12ihipStream_tbEUljE_ZNSN_ISO_Lb0ESQ_SR_ST_SU_SY_EESZ_S10_S11_S12_S16_S17_S18_S1B_S1C_jS1D_jS1E_S1E_jjS1G_bEUljE0_EEESZ_S10_S11_S18_S1C_S1E_T6_T7_T9_mT8_S1G_bDpT10_ENKUlT_T0_E_clISt17integral_constantIbLb1EES1U_EEDaS1P_S1Q_EUlS1P_E_NS1_11comp_targetILNS1_3genE0ELNS1_11target_archE4294967295ELNS1_3gpuE0ELNS1_3repE0EEENS1_30default_config_static_selectorELNS0_4arch9wavefront6targetE0EEEvS12_ ; -- Begin function _ZN7rocprim17ROCPRIM_400000_NS6detail17trampoline_kernelINS0_13select_configILj256ELj13ELNS0_17block_load_methodE3ELS4_3ELS4_3ELNS0_20block_scan_algorithmE0ELj4294967295EEENS1_25partition_config_selectorILNS1_17partition_subalgoE4EjNS0_10empty_typeEbEEZZNS1_14partition_implILS8_4ELb0ES6_15HIP_vector_typeIjLj2EENS0_17counting_iteratorIjlEEPS9_SG_NS0_5tupleIJPjSI_NS0_16reverse_iteratorISI_EEEEENSH_IJSG_SG_SG_EEES9_SI_JZNS1_25segmented_radix_sort_implINS0_14default_configELb0EPKdPdPKlPlN2at6native12_GLOBAL__N_18offset_tEEE10hipError_tPvRmT1_PNSt15iterator_traitsIS12_E10value_typeET2_T3_PNS13_IS18_E10value_typeET4_jRbjT5_S1E_jjP12ihipStream_tbEUljE_ZNSN_ISO_Lb0ESQ_SR_ST_SU_SY_EESZ_S10_S11_S12_S16_S17_S18_S1B_S1C_jS1D_jS1E_S1E_jjS1G_bEUljE0_EEESZ_S10_S11_S18_S1C_S1E_T6_T7_T9_mT8_S1G_bDpT10_ENKUlT_T0_E_clISt17integral_constantIbLb1EES1U_EEDaS1P_S1Q_EUlS1P_E_NS1_11comp_targetILNS1_3genE0ELNS1_11target_archE4294967295ELNS1_3gpuE0ELNS1_3repE0EEENS1_30default_config_static_selectorELNS0_4arch9wavefront6targetE0EEEvS12_
	.p2align	8
	.type	_ZN7rocprim17ROCPRIM_400000_NS6detail17trampoline_kernelINS0_13select_configILj256ELj13ELNS0_17block_load_methodE3ELS4_3ELS4_3ELNS0_20block_scan_algorithmE0ELj4294967295EEENS1_25partition_config_selectorILNS1_17partition_subalgoE4EjNS0_10empty_typeEbEEZZNS1_14partition_implILS8_4ELb0ES6_15HIP_vector_typeIjLj2EENS0_17counting_iteratorIjlEEPS9_SG_NS0_5tupleIJPjSI_NS0_16reverse_iteratorISI_EEEEENSH_IJSG_SG_SG_EEES9_SI_JZNS1_25segmented_radix_sort_implINS0_14default_configELb0EPKdPdPKlPlN2at6native12_GLOBAL__N_18offset_tEEE10hipError_tPvRmT1_PNSt15iterator_traitsIS12_E10value_typeET2_T3_PNS13_IS18_E10value_typeET4_jRbjT5_S1E_jjP12ihipStream_tbEUljE_ZNSN_ISO_Lb0ESQ_SR_ST_SU_SY_EESZ_S10_S11_S12_S16_S17_S18_S1B_S1C_jS1D_jS1E_S1E_jjS1G_bEUljE0_EEESZ_S10_S11_S18_S1C_S1E_T6_T7_T9_mT8_S1G_bDpT10_ENKUlT_T0_E_clISt17integral_constantIbLb1EES1U_EEDaS1P_S1Q_EUlS1P_E_NS1_11comp_targetILNS1_3genE0ELNS1_11target_archE4294967295ELNS1_3gpuE0ELNS1_3repE0EEENS1_30default_config_static_selectorELNS0_4arch9wavefront6targetE0EEEvS12_,@function
_ZN7rocprim17ROCPRIM_400000_NS6detail17trampoline_kernelINS0_13select_configILj256ELj13ELNS0_17block_load_methodE3ELS4_3ELS4_3ELNS0_20block_scan_algorithmE0ELj4294967295EEENS1_25partition_config_selectorILNS1_17partition_subalgoE4EjNS0_10empty_typeEbEEZZNS1_14partition_implILS8_4ELb0ES6_15HIP_vector_typeIjLj2EENS0_17counting_iteratorIjlEEPS9_SG_NS0_5tupleIJPjSI_NS0_16reverse_iteratorISI_EEEEENSH_IJSG_SG_SG_EEES9_SI_JZNS1_25segmented_radix_sort_implINS0_14default_configELb0EPKdPdPKlPlN2at6native12_GLOBAL__N_18offset_tEEE10hipError_tPvRmT1_PNSt15iterator_traitsIS12_E10value_typeET2_T3_PNS13_IS18_E10value_typeET4_jRbjT5_S1E_jjP12ihipStream_tbEUljE_ZNSN_ISO_Lb0ESQ_SR_ST_SU_SY_EESZ_S10_S11_S12_S16_S17_S18_S1B_S1C_jS1D_jS1E_S1E_jjS1G_bEUljE0_EEESZ_S10_S11_S18_S1C_S1E_T6_T7_T9_mT8_S1G_bDpT10_ENKUlT_T0_E_clISt17integral_constantIbLb1EES1U_EEDaS1P_S1Q_EUlS1P_E_NS1_11comp_targetILNS1_3genE0ELNS1_11target_archE4294967295ELNS1_3gpuE0ELNS1_3repE0EEENS1_30default_config_static_selectorELNS0_4arch9wavefront6targetE0EEEvS12_: ; @_ZN7rocprim17ROCPRIM_400000_NS6detail17trampoline_kernelINS0_13select_configILj256ELj13ELNS0_17block_load_methodE3ELS4_3ELS4_3ELNS0_20block_scan_algorithmE0ELj4294967295EEENS1_25partition_config_selectorILNS1_17partition_subalgoE4EjNS0_10empty_typeEbEEZZNS1_14partition_implILS8_4ELb0ES6_15HIP_vector_typeIjLj2EENS0_17counting_iteratorIjlEEPS9_SG_NS0_5tupleIJPjSI_NS0_16reverse_iteratorISI_EEEEENSH_IJSG_SG_SG_EEES9_SI_JZNS1_25segmented_radix_sort_implINS0_14default_configELb0EPKdPdPKlPlN2at6native12_GLOBAL__N_18offset_tEEE10hipError_tPvRmT1_PNSt15iterator_traitsIS12_E10value_typeET2_T3_PNS13_IS18_E10value_typeET4_jRbjT5_S1E_jjP12ihipStream_tbEUljE_ZNSN_ISO_Lb0ESQ_SR_ST_SU_SY_EESZ_S10_S11_S12_S16_S17_S18_S1B_S1C_jS1D_jS1E_S1E_jjS1G_bEUljE0_EEESZ_S10_S11_S18_S1C_S1E_T6_T7_T9_mT8_S1G_bDpT10_ENKUlT_T0_E_clISt17integral_constantIbLb1EES1U_EEDaS1P_S1Q_EUlS1P_E_NS1_11comp_targetILNS1_3genE0ELNS1_11target_archE4294967295ELNS1_3gpuE0ELNS1_3repE0EEENS1_30default_config_static_selectorELNS0_4arch9wavefront6targetE0EEEvS12_
; %bb.0:
	.section	.rodata,"a",@progbits
	.p2align	6, 0x0
	.amdhsa_kernel _ZN7rocprim17ROCPRIM_400000_NS6detail17trampoline_kernelINS0_13select_configILj256ELj13ELNS0_17block_load_methodE3ELS4_3ELS4_3ELNS0_20block_scan_algorithmE0ELj4294967295EEENS1_25partition_config_selectorILNS1_17partition_subalgoE4EjNS0_10empty_typeEbEEZZNS1_14partition_implILS8_4ELb0ES6_15HIP_vector_typeIjLj2EENS0_17counting_iteratorIjlEEPS9_SG_NS0_5tupleIJPjSI_NS0_16reverse_iteratorISI_EEEEENSH_IJSG_SG_SG_EEES9_SI_JZNS1_25segmented_radix_sort_implINS0_14default_configELb0EPKdPdPKlPlN2at6native12_GLOBAL__N_18offset_tEEE10hipError_tPvRmT1_PNSt15iterator_traitsIS12_E10value_typeET2_T3_PNS13_IS18_E10value_typeET4_jRbjT5_S1E_jjP12ihipStream_tbEUljE_ZNSN_ISO_Lb0ESQ_SR_ST_SU_SY_EESZ_S10_S11_S12_S16_S17_S18_S1B_S1C_jS1D_jS1E_S1E_jjS1G_bEUljE0_EEESZ_S10_S11_S18_S1C_S1E_T6_T7_T9_mT8_S1G_bDpT10_ENKUlT_T0_E_clISt17integral_constantIbLb1EES1U_EEDaS1P_S1Q_EUlS1P_E_NS1_11comp_targetILNS1_3genE0ELNS1_11target_archE4294967295ELNS1_3gpuE0ELNS1_3repE0EEENS1_30default_config_static_selectorELNS0_4arch9wavefront6targetE0EEEvS12_
		.amdhsa_group_segment_fixed_size 0
		.amdhsa_private_segment_fixed_size 0
		.amdhsa_kernarg_size 184
		.amdhsa_user_sgpr_count 2
		.amdhsa_user_sgpr_dispatch_ptr 0
		.amdhsa_user_sgpr_queue_ptr 0
		.amdhsa_user_sgpr_kernarg_segment_ptr 1
		.amdhsa_user_sgpr_dispatch_id 0
		.amdhsa_user_sgpr_private_segment_size 0
		.amdhsa_wavefront_size32 1
		.amdhsa_uses_dynamic_stack 0
		.amdhsa_enable_private_segment 0
		.amdhsa_system_sgpr_workgroup_id_x 1
		.amdhsa_system_sgpr_workgroup_id_y 0
		.amdhsa_system_sgpr_workgroup_id_z 0
		.amdhsa_system_sgpr_workgroup_info 0
		.amdhsa_system_vgpr_workitem_id 0
		.amdhsa_next_free_vgpr 1
		.amdhsa_next_free_sgpr 1
		.amdhsa_reserve_vcc 0
		.amdhsa_float_round_mode_32 0
		.amdhsa_float_round_mode_16_64 0
		.amdhsa_float_denorm_mode_32 3
		.amdhsa_float_denorm_mode_16_64 3
		.amdhsa_fp16_overflow 0
		.amdhsa_workgroup_processor_mode 1
		.amdhsa_memory_ordered 1
		.amdhsa_forward_progress 1
		.amdhsa_inst_pref_size 0
		.amdhsa_round_robin_scheduling 0
		.amdhsa_exception_fp_ieee_invalid_op 0
		.amdhsa_exception_fp_denorm_src 0
		.amdhsa_exception_fp_ieee_div_zero 0
		.amdhsa_exception_fp_ieee_overflow 0
		.amdhsa_exception_fp_ieee_underflow 0
		.amdhsa_exception_fp_ieee_inexact 0
		.amdhsa_exception_int_div_zero 0
	.end_amdhsa_kernel
	.section	.text._ZN7rocprim17ROCPRIM_400000_NS6detail17trampoline_kernelINS0_13select_configILj256ELj13ELNS0_17block_load_methodE3ELS4_3ELS4_3ELNS0_20block_scan_algorithmE0ELj4294967295EEENS1_25partition_config_selectorILNS1_17partition_subalgoE4EjNS0_10empty_typeEbEEZZNS1_14partition_implILS8_4ELb0ES6_15HIP_vector_typeIjLj2EENS0_17counting_iteratorIjlEEPS9_SG_NS0_5tupleIJPjSI_NS0_16reverse_iteratorISI_EEEEENSH_IJSG_SG_SG_EEES9_SI_JZNS1_25segmented_radix_sort_implINS0_14default_configELb0EPKdPdPKlPlN2at6native12_GLOBAL__N_18offset_tEEE10hipError_tPvRmT1_PNSt15iterator_traitsIS12_E10value_typeET2_T3_PNS13_IS18_E10value_typeET4_jRbjT5_S1E_jjP12ihipStream_tbEUljE_ZNSN_ISO_Lb0ESQ_SR_ST_SU_SY_EESZ_S10_S11_S12_S16_S17_S18_S1B_S1C_jS1D_jS1E_S1E_jjS1G_bEUljE0_EEESZ_S10_S11_S18_S1C_S1E_T6_T7_T9_mT8_S1G_bDpT10_ENKUlT_T0_E_clISt17integral_constantIbLb1EES1U_EEDaS1P_S1Q_EUlS1P_E_NS1_11comp_targetILNS1_3genE0ELNS1_11target_archE4294967295ELNS1_3gpuE0ELNS1_3repE0EEENS1_30default_config_static_selectorELNS0_4arch9wavefront6targetE0EEEvS12_,"axG",@progbits,_ZN7rocprim17ROCPRIM_400000_NS6detail17trampoline_kernelINS0_13select_configILj256ELj13ELNS0_17block_load_methodE3ELS4_3ELS4_3ELNS0_20block_scan_algorithmE0ELj4294967295EEENS1_25partition_config_selectorILNS1_17partition_subalgoE4EjNS0_10empty_typeEbEEZZNS1_14partition_implILS8_4ELb0ES6_15HIP_vector_typeIjLj2EENS0_17counting_iteratorIjlEEPS9_SG_NS0_5tupleIJPjSI_NS0_16reverse_iteratorISI_EEEEENSH_IJSG_SG_SG_EEES9_SI_JZNS1_25segmented_radix_sort_implINS0_14default_configELb0EPKdPdPKlPlN2at6native12_GLOBAL__N_18offset_tEEE10hipError_tPvRmT1_PNSt15iterator_traitsIS12_E10value_typeET2_T3_PNS13_IS18_E10value_typeET4_jRbjT5_S1E_jjP12ihipStream_tbEUljE_ZNSN_ISO_Lb0ESQ_SR_ST_SU_SY_EESZ_S10_S11_S12_S16_S17_S18_S1B_S1C_jS1D_jS1E_S1E_jjS1G_bEUljE0_EEESZ_S10_S11_S18_S1C_S1E_T6_T7_T9_mT8_S1G_bDpT10_ENKUlT_T0_E_clISt17integral_constantIbLb1EES1U_EEDaS1P_S1Q_EUlS1P_E_NS1_11comp_targetILNS1_3genE0ELNS1_11target_archE4294967295ELNS1_3gpuE0ELNS1_3repE0EEENS1_30default_config_static_selectorELNS0_4arch9wavefront6targetE0EEEvS12_,comdat
.Lfunc_end1165:
	.size	_ZN7rocprim17ROCPRIM_400000_NS6detail17trampoline_kernelINS0_13select_configILj256ELj13ELNS0_17block_load_methodE3ELS4_3ELS4_3ELNS0_20block_scan_algorithmE0ELj4294967295EEENS1_25partition_config_selectorILNS1_17partition_subalgoE4EjNS0_10empty_typeEbEEZZNS1_14partition_implILS8_4ELb0ES6_15HIP_vector_typeIjLj2EENS0_17counting_iteratorIjlEEPS9_SG_NS0_5tupleIJPjSI_NS0_16reverse_iteratorISI_EEEEENSH_IJSG_SG_SG_EEES9_SI_JZNS1_25segmented_radix_sort_implINS0_14default_configELb0EPKdPdPKlPlN2at6native12_GLOBAL__N_18offset_tEEE10hipError_tPvRmT1_PNSt15iterator_traitsIS12_E10value_typeET2_T3_PNS13_IS18_E10value_typeET4_jRbjT5_S1E_jjP12ihipStream_tbEUljE_ZNSN_ISO_Lb0ESQ_SR_ST_SU_SY_EESZ_S10_S11_S12_S16_S17_S18_S1B_S1C_jS1D_jS1E_S1E_jjS1G_bEUljE0_EEESZ_S10_S11_S18_S1C_S1E_T6_T7_T9_mT8_S1G_bDpT10_ENKUlT_T0_E_clISt17integral_constantIbLb1EES1U_EEDaS1P_S1Q_EUlS1P_E_NS1_11comp_targetILNS1_3genE0ELNS1_11target_archE4294967295ELNS1_3gpuE0ELNS1_3repE0EEENS1_30default_config_static_selectorELNS0_4arch9wavefront6targetE0EEEvS12_, .Lfunc_end1165-_ZN7rocprim17ROCPRIM_400000_NS6detail17trampoline_kernelINS0_13select_configILj256ELj13ELNS0_17block_load_methodE3ELS4_3ELS4_3ELNS0_20block_scan_algorithmE0ELj4294967295EEENS1_25partition_config_selectorILNS1_17partition_subalgoE4EjNS0_10empty_typeEbEEZZNS1_14partition_implILS8_4ELb0ES6_15HIP_vector_typeIjLj2EENS0_17counting_iteratorIjlEEPS9_SG_NS0_5tupleIJPjSI_NS0_16reverse_iteratorISI_EEEEENSH_IJSG_SG_SG_EEES9_SI_JZNS1_25segmented_radix_sort_implINS0_14default_configELb0EPKdPdPKlPlN2at6native12_GLOBAL__N_18offset_tEEE10hipError_tPvRmT1_PNSt15iterator_traitsIS12_E10value_typeET2_T3_PNS13_IS18_E10value_typeET4_jRbjT5_S1E_jjP12ihipStream_tbEUljE_ZNSN_ISO_Lb0ESQ_SR_ST_SU_SY_EESZ_S10_S11_S12_S16_S17_S18_S1B_S1C_jS1D_jS1E_S1E_jjS1G_bEUljE0_EEESZ_S10_S11_S18_S1C_S1E_T6_T7_T9_mT8_S1G_bDpT10_ENKUlT_T0_E_clISt17integral_constantIbLb1EES1U_EEDaS1P_S1Q_EUlS1P_E_NS1_11comp_targetILNS1_3genE0ELNS1_11target_archE4294967295ELNS1_3gpuE0ELNS1_3repE0EEENS1_30default_config_static_selectorELNS0_4arch9wavefront6targetE0EEEvS12_
                                        ; -- End function
	.set _ZN7rocprim17ROCPRIM_400000_NS6detail17trampoline_kernelINS0_13select_configILj256ELj13ELNS0_17block_load_methodE3ELS4_3ELS4_3ELNS0_20block_scan_algorithmE0ELj4294967295EEENS1_25partition_config_selectorILNS1_17partition_subalgoE4EjNS0_10empty_typeEbEEZZNS1_14partition_implILS8_4ELb0ES6_15HIP_vector_typeIjLj2EENS0_17counting_iteratorIjlEEPS9_SG_NS0_5tupleIJPjSI_NS0_16reverse_iteratorISI_EEEEENSH_IJSG_SG_SG_EEES9_SI_JZNS1_25segmented_radix_sort_implINS0_14default_configELb0EPKdPdPKlPlN2at6native12_GLOBAL__N_18offset_tEEE10hipError_tPvRmT1_PNSt15iterator_traitsIS12_E10value_typeET2_T3_PNS13_IS18_E10value_typeET4_jRbjT5_S1E_jjP12ihipStream_tbEUljE_ZNSN_ISO_Lb0ESQ_SR_ST_SU_SY_EESZ_S10_S11_S12_S16_S17_S18_S1B_S1C_jS1D_jS1E_S1E_jjS1G_bEUljE0_EEESZ_S10_S11_S18_S1C_S1E_T6_T7_T9_mT8_S1G_bDpT10_ENKUlT_T0_E_clISt17integral_constantIbLb1EES1U_EEDaS1P_S1Q_EUlS1P_E_NS1_11comp_targetILNS1_3genE0ELNS1_11target_archE4294967295ELNS1_3gpuE0ELNS1_3repE0EEENS1_30default_config_static_selectorELNS0_4arch9wavefront6targetE0EEEvS12_.num_vgpr, 0
	.set _ZN7rocprim17ROCPRIM_400000_NS6detail17trampoline_kernelINS0_13select_configILj256ELj13ELNS0_17block_load_methodE3ELS4_3ELS4_3ELNS0_20block_scan_algorithmE0ELj4294967295EEENS1_25partition_config_selectorILNS1_17partition_subalgoE4EjNS0_10empty_typeEbEEZZNS1_14partition_implILS8_4ELb0ES6_15HIP_vector_typeIjLj2EENS0_17counting_iteratorIjlEEPS9_SG_NS0_5tupleIJPjSI_NS0_16reverse_iteratorISI_EEEEENSH_IJSG_SG_SG_EEES9_SI_JZNS1_25segmented_radix_sort_implINS0_14default_configELb0EPKdPdPKlPlN2at6native12_GLOBAL__N_18offset_tEEE10hipError_tPvRmT1_PNSt15iterator_traitsIS12_E10value_typeET2_T3_PNS13_IS18_E10value_typeET4_jRbjT5_S1E_jjP12ihipStream_tbEUljE_ZNSN_ISO_Lb0ESQ_SR_ST_SU_SY_EESZ_S10_S11_S12_S16_S17_S18_S1B_S1C_jS1D_jS1E_S1E_jjS1G_bEUljE0_EEESZ_S10_S11_S18_S1C_S1E_T6_T7_T9_mT8_S1G_bDpT10_ENKUlT_T0_E_clISt17integral_constantIbLb1EES1U_EEDaS1P_S1Q_EUlS1P_E_NS1_11comp_targetILNS1_3genE0ELNS1_11target_archE4294967295ELNS1_3gpuE0ELNS1_3repE0EEENS1_30default_config_static_selectorELNS0_4arch9wavefront6targetE0EEEvS12_.num_agpr, 0
	.set _ZN7rocprim17ROCPRIM_400000_NS6detail17trampoline_kernelINS0_13select_configILj256ELj13ELNS0_17block_load_methodE3ELS4_3ELS4_3ELNS0_20block_scan_algorithmE0ELj4294967295EEENS1_25partition_config_selectorILNS1_17partition_subalgoE4EjNS0_10empty_typeEbEEZZNS1_14partition_implILS8_4ELb0ES6_15HIP_vector_typeIjLj2EENS0_17counting_iteratorIjlEEPS9_SG_NS0_5tupleIJPjSI_NS0_16reverse_iteratorISI_EEEEENSH_IJSG_SG_SG_EEES9_SI_JZNS1_25segmented_radix_sort_implINS0_14default_configELb0EPKdPdPKlPlN2at6native12_GLOBAL__N_18offset_tEEE10hipError_tPvRmT1_PNSt15iterator_traitsIS12_E10value_typeET2_T3_PNS13_IS18_E10value_typeET4_jRbjT5_S1E_jjP12ihipStream_tbEUljE_ZNSN_ISO_Lb0ESQ_SR_ST_SU_SY_EESZ_S10_S11_S12_S16_S17_S18_S1B_S1C_jS1D_jS1E_S1E_jjS1G_bEUljE0_EEESZ_S10_S11_S18_S1C_S1E_T6_T7_T9_mT8_S1G_bDpT10_ENKUlT_T0_E_clISt17integral_constantIbLb1EES1U_EEDaS1P_S1Q_EUlS1P_E_NS1_11comp_targetILNS1_3genE0ELNS1_11target_archE4294967295ELNS1_3gpuE0ELNS1_3repE0EEENS1_30default_config_static_selectorELNS0_4arch9wavefront6targetE0EEEvS12_.numbered_sgpr, 0
	.set _ZN7rocprim17ROCPRIM_400000_NS6detail17trampoline_kernelINS0_13select_configILj256ELj13ELNS0_17block_load_methodE3ELS4_3ELS4_3ELNS0_20block_scan_algorithmE0ELj4294967295EEENS1_25partition_config_selectorILNS1_17partition_subalgoE4EjNS0_10empty_typeEbEEZZNS1_14partition_implILS8_4ELb0ES6_15HIP_vector_typeIjLj2EENS0_17counting_iteratorIjlEEPS9_SG_NS0_5tupleIJPjSI_NS0_16reverse_iteratorISI_EEEEENSH_IJSG_SG_SG_EEES9_SI_JZNS1_25segmented_radix_sort_implINS0_14default_configELb0EPKdPdPKlPlN2at6native12_GLOBAL__N_18offset_tEEE10hipError_tPvRmT1_PNSt15iterator_traitsIS12_E10value_typeET2_T3_PNS13_IS18_E10value_typeET4_jRbjT5_S1E_jjP12ihipStream_tbEUljE_ZNSN_ISO_Lb0ESQ_SR_ST_SU_SY_EESZ_S10_S11_S12_S16_S17_S18_S1B_S1C_jS1D_jS1E_S1E_jjS1G_bEUljE0_EEESZ_S10_S11_S18_S1C_S1E_T6_T7_T9_mT8_S1G_bDpT10_ENKUlT_T0_E_clISt17integral_constantIbLb1EES1U_EEDaS1P_S1Q_EUlS1P_E_NS1_11comp_targetILNS1_3genE0ELNS1_11target_archE4294967295ELNS1_3gpuE0ELNS1_3repE0EEENS1_30default_config_static_selectorELNS0_4arch9wavefront6targetE0EEEvS12_.num_named_barrier, 0
	.set _ZN7rocprim17ROCPRIM_400000_NS6detail17trampoline_kernelINS0_13select_configILj256ELj13ELNS0_17block_load_methodE3ELS4_3ELS4_3ELNS0_20block_scan_algorithmE0ELj4294967295EEENS1_25partition_config_selectorILNS1_17partition_subalgoE4EjNS0_10empty_typeEbEEZZNS1_14partition_implILS8_4ELb0ES6_15HIP_vector_typeIjLj2EENS0_17counting_iteratorIjlEEPS9_SG_NS0_5tupleIJPjSI_NS0_16reverse_iteratorISI_EEEEENSH_IJSG_SG_SG_EEES9_SI_JZNS1_25segmented_radix_sort_implINS0_14default_configELb0EPKdPdPKlPlN2at6native12_GLOBAL__N_18offset_tEEE10hipError_tPvRmT1_PNSt15iterator_traitsIS12_E10value_typeET2_T3_PNS13_IS18_E10value_typeET4_jRbjT5_S1E_jjP12ihipStream_tbEUljE_ZNSN_ISO_Lb0ESQ_SR_ST_SU_SY_EESZ_S10_S11_S12_S16_S17_S18_S1B_S1C_jS1D_jS1E_S1E_jjS1G_bEUljE0_EEESZ_S10_S11_S18_S1C_S1E_T6_T7_T9_mT8_S1G_bDpT10_ENKUlT_T0_E_clISt17integral_constantIbLb1EES1U_EEDaS1P_S1Q_EUlS1P_E_NS1_11comp_targetILNS1_3genE0ELNS1_11target_archE4294967295ELNS1_3gpuE0ELNS1_3repE0EEENS1_30default_config_static_selectorELNS0_4arch9wavefront6targetE0EEEvS12_.private_seg_size, 0
	.set _ZN7rocprim17ROCPRIM_400000_NS6detail17trampoline_kernelINS0_13select_configILj256ELj13ELNS0_17block_load_methodE3ELS4_3ELS4_3ELNS0_20block_scan_algorithmE0ELj4294967295EEENS1_25partition_config_selectorILNS1_17partition_subalgoE4EjNS0_10empty_typeEbEEZZNS1_14partition_implILS8_4ELb0ES6_15HIP_vector_typeIjLj2EENS0_17counting_iteratorIjlEEPS9_SG_NS0_5tupleIJPjSI_NS0_16reverse_iteratorISI_EEEEENSH_IJSG_SG_SG_EEES9_SI_JZNS1_25segmented_radix_sort_implINS0_14default_configELb0EPKdPdPKlPlN2at6native12_GLOBAL__N_18offset_tEEE10hipError_tPvRmT1_PNSt15iterator_traitsIS12_E10value_typeET2_T3_PNS13_IS18_E10value_typeET4_jRbjT5_S1E_jjP12ihipStream_tbEUljE_ZNSN_ISO_Lb0ESQ_SR_ST_SU_SY_EESZ_S10_S11_S12_S16_S17_S18_S1B_S1C_jS1D_jS1E_S1E_jjS1G_bEUljE0_EEESZ_S10_S11_S18_S1C_S1E_T6_T7_T9_mT8_S1G_bDpT10_ENKUlT_T0_E_clISt17integral_constantIbLb1EES1U_EEDaS1P_S1Q_EUlS1P_E_NS1_11comp_targetILNS1_3genE0ELNS1_11target_archE4294967295ELNS1_3gpuE0ELNS1_3repE0EEENS1_30default_config_static_selectorELNS0_4arch9wavefront6targetE0EEEvS12_.uses_vcc, 0
	.set _ZN7rocprim17ROCPRIM_400000_NS6detail17trampoline_kernelINS0_13select_configILj256ELj13ELNS0_17block_load_methodE3ELS4_3ELS4_3ELNS0_20block_scan_algorithmE0ELj4294967295EEENS1_25partition_config_selectorILNS1_17partition_subalgoE4EjNS0_10empty_typeEbEEZZNS1_14partition_implILS8_4ELb0ES6_15HIP_vector_typeIjLj2EENS0_17counting_iteratorIjlEEPS9_SG_NS0_5tupleIJPjSI_NS0_16reverse_iteratorISI_EEEEENSH_IJSG_SG_SG_EEES9_SI_JZNS1_25segmented_radix_sort_implINS0_14default_configELb0EPKdPdPKlPlN2at6native12_GLOBAL__N_18offset_tEEE10hipError_tPvRmT1_PNSt15iterator_traitsIS12_E10value_typeET2_T3_PNS13_IS18_E10value_typeET4_jRbjT5_S1E_jjP12ihipStream_tbEUljE_ZNSN_ISO_Lb0ESQ_SR_ST_SU_SY_EESZ_S10_S11_S12_S16_S17_S18_S1B_S1C_jS1D_jS1E_S1E_jjS1G_bEUljE0_EEESZ_S10_S11_S18_S1C_S1E_T6_T7_T9_mT8_S1G_bDpT10_ENKUlT_T0_E_clISt17integral_constantIbLb1EES1U_EEDaS1P_S1Q_EUlS1P_E_NS1_11comp_targetILNS1_3genE0ELNS1_11target_archE4294967295ELNS1_3gpuE0ELNS1_3repE0EEENS1_30default_config_static_selectorELNS0_4arch9wavefront6targetE0EEEvS12_.uses_flat_scratch, 0
	.set _ZN7rocprim17ROCPRIM_400000_NS6detail17trampoline_kernelINS0_13select_configILj256ELj13ELNS0_17block_load_methodE3ELS4_3ELS4_3ELNS0_20block_scan_algorithmE0ELj4294967295EEENS1_25partition_config_selectorILNS1_17partition_subalgoE4EjNS0_10empty_typeEbEEZZNS1_14partition_implILS8_4ELb0ES6_15HIP_vector_typeIjLj2EENS0_17counting_iteratorIjlEEPS9_SG_NS0_5tupleIJPjSI_NS0_16reverse_iteratorISI_EEEEENSH_IJSG_SG_SG_EEES9_SI_JZNS1_25segmented_radix_sort_implINS0_14default_configELb0EPKdPdPKlPlN2at6native12_GLOBAL__N_18offset_tEEE10hipError_tPvRmT1_PNSt15iterator_traitsIS12_E10value_typeET2_T3_PNS13_IS18_E10value_typeET4_jRbjT5_S1E_jjP12ihipStream_tbEUljE_ZNSN_ISO_Lb0ESQ_SR_ST_SU_SY_EESZ_S10_S11_S12_S16_S17_S18_S1B_S1C_jS1D_jS1E_S1E_jjS1G_bEUljE0_EEESZ_S10_S11_S18_S1C_S1E_T6_T7_T9_mT8_S1G_bDpT10_ENKUlT_T0_E_clISt17integral_constantIbLb1EES1U_EEDaS1P_S1Q_EUlS1P_E_NS1_11comp_targetILNS1_3genE0ELNS1_11target_archE4294967295ELNS1_3gpuE0ELNS1_3repE0EEENS1_30default_config_static_selectorELNS0_4arch9wavefront6targetE0EEEvS12_.has_dyn_sized_stack, 0
	.set _ZN7rocprim17ROCPRIM_400000_NS6detail17trampoline_kernelINS0_13select_configILj256ELj13ELNS0_17block_load_methodE3ELS4_3ELS4_3ELNS0_20block_scan_algorithmE0ELj4294967295EEENS1_25partition_config_selectorILNS1_17partition_subalgoE4EjNS0_10empty_typeEbEEZZNS1_14partition_implILS8_4ELb0ES6_15HIP_vector_typeIjLj2EENS0_17counting_iteratorIjlEEPS9_SG_NS0_5tupleIJPjSI_NS0_16reverse_iteratorISI_EEEEENSH_IJSG_SG_SG_EEES9_SI_JZNS1_25segmented_radix_sort_implINS0_14default_configELb0EPKdPdPKlPlN2at6native12_GLOBAL__N_18offset_tEEE10hipError_tPvRmT1_PNSt15iterator_traitsIS12_E10value_typeET2_T3_PNS13_IS18_E10value_typeET4_jRbjT5_S1E_jjP12ihipStream_tbEUljE_ZNSN_ISO_Lb0ESQ_SR_ST_SU_SY_EESZ_S10_S11_S12_S16_S17_S18_S1B_S1C_jS1D_jS1E_S1E_jjS1G_bEUljE0_EEESZ_S10_S11_S18_S1C_S1E_T6_T7_T9_mT8_S1G_bDpT10_ENKUlT_T0_E_clISt17integral_constantIbLb1EES1U_EEDaS1P_S1Q_EUlS1P_E_NS1_11comp_targetILNS1_3genE0ELNS1_11target_archE4294967295ELNS1_3gpuE0ELNS1_3repE0EEENS1_30default_config_static_selectorELNS0_4arch9wavefront6targetE0EEEvS12_.has_recursion, 0
	.set _ZN7rocprim17ROCPRIM_400000_NS6detail17trampoline_kernelINS0_13select_configILj256ELj13ELNS0_17block_load_methodE3ELS4_3ELS4_3ELNS0_20block_scan_algorithmE0ELj4294967295EEENS1_25partition_config_selectorILNS1_17partition_subalgoE4EjNS0_10empty_typeEbEEZZNS1_14partition_implILS8_4ELb0ES6_15HIP_vector_typeIjLj2EENS0_17counting_iteratorIjlEEPS9_SG_NS0_5tupleIJPjSI_NS0_16reverse_iteratorISI_EEEEENSH_IJSG_SG_SG_EEES9_SI_JZNS1_25segmented_radix_sort_implINS0_14default_configELb0EPKdPdPKlPlN2at6native12_GLOBAL__N_18offset_tEEE10hipError_tPvRmT1_PNSt15iterator_traitsIS12_E10value_typeET2_T3_PNS13_IS18_E10value_typeET4_jRbjT5_S1E_jjP12ihipStream_tbEUljE_ZNSN_ISO_Lb0ESQ_SR_ST_SU_SY_EESZ_S10_S11_S12_S16_S17_S18_S1B_S1C_jS1D_jS1E_S1E_jjS1G_bEUljE0_EEESZ_S10_S11_S18_S1C_S1E_T6_T7_T9_mT8_S1G_bDpT10_ENKUlT_T0_E_clISt17integral_constantIbLb1EES1U_EEDaS1P_S1Q_EUlS1P_E_NS1_11comp_targetILNS1_3genE0ELNS1_11target_archE4294967295ELNS1_3gpuE0ELNS1_3repE0EEENS1_30default_config_static_selectorELNS0_4arch9wavefront6targetE0EEEvS12_.has_indirect_call, 0
	.section	.AMDGPU.csdata,"",@progbits
; Kernel info:
; codeLenInByte = 0
; TotalNumSgprs: 0
; NumVgprs: 0
; ScratchSize: 0
; MemoryBound: 0
; FloatMode: 240
; IeeeMode: 1
; LDSByteSize: 0 bytes/workgroup (compile time only)
; SGPRBlocks: 0
; VGPRBlocks: 0
; NumSGPRsForWavesPerEU: 1
; NumVGPRsForWavesPerEU: 1
; Occupancy: 16
; WaveLimiterHint : 0
; COMPUTE_PGM_RSRC2:SCRATCH_EN: 0
; COMPUTE_PGM_RSRC2:USER_SGPR: 2
; COMPUTE_PGM_RSRC2:TRAP_HANDLER: 0
; COMPUTE_PGM_RSRC2:TGID_X_EN: 1
; COMPUTE_PGM_RSRC2:TGID_Y_EN: 0
; COMPUTE_PGM_RSRC2:TGID_Z_EN: 0
; COMPUTE_PGM_RSRC2:TIDIG_COMP_CNT: 0
	.section	.text._ZN7rocprim17ROCPRIM_400000_NS6detail17trampoline_kernelINS0_13select_configILj256ELj13ELNS0_17block_load_methodE3ELS4_3ELS4_3ELNS0_20block_scan_algorithmE0ELj4294967295EEENS1_25partition_config_selectorILNS1_17partition_subalgoE4EjNS0_10empty_typeEbEEZZNS1_14partition_implILS8_4ELb0ES6_15HIP_vector_typeIjLj2EENS0_17counting_iteratorIjlEEPS9_SG_NS0_5tupleIJPjSI_NS0_16reverse_iteratorISI_EEEEENSH_IJSG_SG_SG_EEES9_SI_JZNS1_25segmented_radix_sort_implINS0_14default_configELb0EPKdPdPKlPlN2at6native12_GLOBAL__N_18offset_tEEE10hipError_tPvRmT1_PNSt15iterator_traitsIS12_E10value_typeET2_T3_PNS13_IS18_E10value_typeET4_jRbjT5_S1E_jjP12ihipStream_tbEUljE_ZNSN_ISO_Lb0ESQ_SR_ST_SU_SY_EESZ_S10_S11_S12_S16_S17_S18_S1B_S1C_jS1D_jS1E_S1E_jjS1G_bEUljE0_EEESZ_S10_S11_S18_S1C_S1E_T6_T7_T9_mT8_S1G_bDpT10_ENKUlT_T0_E_clISt17integral_constantIbLb1EES1U_EEDaS1P_S1Q_EUlS1P_E_NS1_11comp_targetILNS1_3genE5ELNS1_11target_archE942ELNS1_3gpuE9ELNS1_3repE0EEENS1_30default_config_static_selectorELNS0_4arch9wavefront6targetE0EEEvS12_,"axG",@progbits,_ZN7rocprim17ROCPRIM_400000_NS6detail17trampoline_kernelINS0_13select_configILj256ELj13ELNS0_17block_load_methodE3ELS4_3ELS4_3ELNS0_20block_scan_algorithmE0ELj4294967295EEENS1_25partition_config_selectorILNS1_17partition_subalgoE4EjNS0_10empty_typeEbEEZZNS1_14partition_implILS8_4ELb0ES6_15HIP_vector_typeIjLj2EENS0_17counting_iteratorIjlEEPS9_SG_NS0_5tupleIJPjSI_NS0_16reverse_iteratorISI_EEEEENSH_IJSG_SG_SG_EEES9_SI_JZNS1_25segmented_radix_sort_implINS0_14default_configELb0EPKdPdPKlPlN2at6native12_GLOBAL__N_18offset_tEEE10hipError_tPvRmT1_PNSt15iterator_traitsIS12_E10value_typeET2_T3_PNS13_IS18_E10value_typeET4_jRbjT5_S1E_jjP12ihipStream_tbEUljE_ZNSN_ISO_Lb0ESQ_SR_ST_SU_SY_EESZ_S10_S11_S12_S16_S17_S18_S1B_S1C_jS1D_jS1E_S1E_jjS1G_bEUljE0_EEESZ_S10_S11_S18_S1C_S1E_T6_T7_T9_mT8_S1G_bDpT10_ENKUlT_T0_E_clISt17integral_constantIbLb1EES1U_EEDaS1P_S1Q_EUlS1P_E_NS1_11comp_targetILNS1_3genE5ELNS1_11target_archE942ELNS1_3gpuE9ELNS1_3repE0EEENS1_30default_config_static_selectorELNS0_4arch9wavefront6targetE0EEEvS12_,comdat
	.globl	_ZN7rocprim17ROCPRIM_400000_NS6detail17trampoline_kernelINS0_13select_configILj256ELj13ELNS0_17block_load_methodE3ELS4_3ELS4_3ELNS0_20block_scan_algorithmE0ELj4294967295EEENS1_25partition_config_selectorILNS1_17partition_subalgoE4EjNS0_10empty_typeEbEEZZNS1_14partition_implILS8_4ELb0ES6_15HIP_vector_typeIjLj2EENS0_17counting_iteratorIjlEEPS9_SG_NS0_5tupleIJPjSI_NS0_16reverse_iteratorISI_EEEEENSH_IJSG_SG_SG_EEES9_SI_JZNS1_25segmented_radix_sort_implINS0_14default_configELb0EPKdPdPKlPlN2at6native12_GLOBAL__N_18offset_tEEE10hipError_tPvRmT1_PNSt15iterator_traitsIS12_E10value_typeET2_T3_PNS13_IS18_E10value_typeET4_jRbjT5_S1E_jjP12ihipStream_tbEUljE_ZNSN_ISO_Lb0ESQ_SR_ST_SU_SY_EESZ_S10_S11_S12_S16_S17_S18_S1B_S1C_jS1D_jS1E_S1E_jjS1G_bEUljE0_EEESZ_S10_S11_S18_S1C_S1E_T6_T7_T9_mT8_S1G_bDpT10_ENKUlT_T0_E_clISt17integral_constantIbLb1EES1U_EEDaS1P_S1Q_EUlS1P_E_NS1_11comp_targetILNS1_3genE5ELNS1_11target_archE942ELNS1_3gpuE9ELNS1_3repE0EEENS1_30default_config_static_selectorELNS0_4arch9wavefront6targetE0EEEvS12_ ; -- Begin function _ZN7rocprim17ROCPRIM_400000_NS6detail17trampoline_kernelINS0_13select_configILj256ELj13ELNS0_17block_load_methodE3ELS4_3ELS4_3ELNS0_20block_scan_algorithmE0ELj4294967295EEENS1_25partition_config_selectorILNS1_17partition_subalgoE4EjNS0_10empty_typeEbEEZZNS1_14partition_implILS8_4ELb0ES6_15HIP_vector_typeIjLj2EENS0_17counting_iteratorIjlEEPS9_SG_NS0_5tupleIJPjSI_NS0_16reverse_iteratorISI_EEEEENSH_IJSG_SG_SG_EEES9_SI_JZNS1_25segmented_radix_sort_implINS0_14default_configELb0EPKdPdPKlPlN2at6native12_GLOBAL__N_18offset_tEEE10hipError_tPvRmT1_PNSt15iterator_traitsIS12_E10value_typeET2_T3_PNS13_IS18_E10value_typeET4_jRbjT5_S1E_jjP12ihipStream_tbEUljE_ZNSN_ISO_Lb0ESQ_SR_ST_SU_SY_EESZ_S10_S11_S12_S16_S17_S18_S1B_S1C_jS1D_jS1E_S1E_jjS1G_bEUljE0_EEESZ_S10_S11_S18_S1C_S1E_T6_T7_T9_mT8_S1G_bDpT10_ENKUlT_T0_E_clISt17integral_constantIbLb1EES1U_EEDaS1P_S1Q_EUlS1P_E_NS1_11comp_targetILNS1_3genE5ELNS1_11target_archE942ELNS1_3gpuE9ELNS1_3repE0EEENS1_30default_config_static_selectorELNS0_4arch9wavefront6targetE0EEEvS12_
	.p2align	8
	.type	_ZN7rocprim17ROCPRIM_400000_NS6detail17trampoline_kernelINS0_13select_configILj256ELj13ELNS0_17block_load_methodE3ELS4_3ELS4_3ELNS0_20block_scan_algorithmE0ELj4294967295EEENS1_25partition_config_selectorILNS1_17partition_subalgoE4EjNS0_10empty_typeEbEEZZNS1_14partition_implILS8_4ELb0ES6_15HIP_vector_typeIjLj2EENS0_17counting_iteratorIjlEEPS9_SG_NS0_5tupleIJPjSI_NS0_16reverse_iteratorISI_EEEEENSH_IJSG_SG_SG_EEES9_SI_JZNS1_25segmented_radix_sort_implINS0_14default_configELb0EPKdPdPKlPlN2at6native12_GLOBAL__N_18offset_tEEE10hipError_tPvRmT1_PNSt15iterator_traitsIS12_E10value_typeET2_T3_PNS13_IS18_E10value_typeET4_jRbjT5_S1E_jjP12ihipStream_tbEUljE_ZNSN_ISO_Lb0ESQ_SR_ST_SU_SY_EESZ_S10_S11_S12_S16_S17_S18_S1B_S1C_jS1D_jS1E_S1E_jjS1G_bEUljE0_EEESZ_S10_S11_S18_S1C_S1E_T6_T7_T9_mT8_S1G_bDpT10_ENKUlT_T0_E_clISt17integral_constantIbLb1EES1U_EEDaS1P_S1Q_EUlS1P_E_NS1_11comp_targetILNS1_3genE5ELNS1_11target_archE942ELNS1_3gpuE9ELNS1_3repE0EEENS1_30default_config_static_selectorELNS0_4arch9wavefront6targetE0EEEvS12_,@function
_ZN7rocprim17ROCPRIM_400000_NS6detail17trampoline_kernelINS0_13select_configILj256ELj13ELNS0_17block_load_methodE3ELS4_3ELS4_3ELNS0_20block_scan_algorithmE0ELj4294967295EEENS1_25partition_config_selectorILNS1_17partition_subalgoE4EjNS0_10empty_typeEbEEZZNS1_14partition_implILS8_4ELb0ES6_15HIP_vector_typeIjLj2EENS0_17counting_iteratorIjlEEPS9_SG_NS0_5tupleIJPjSI_NS0_16reverse_iteratorISI_EEEEENSH_IJSG_SG_SG_EEES9_SI_JZNS1_25segmented_radix_sort_implINS0_14default_configELb0EPKdPdPKlPlN2at6native12_GLOBAL__N_18offset_tEEE10hipError_tPvRmT1_PNSt15iterator_traitsIS12_E10value_typeET2_T3_PNS13_IS18_E10value_typeET4_jRbjT5_S1E_jjP12ihipStream_tbEUljE_ZNSN_ISO_Lb0ESQ_SR_ST_SU_SY_EESZ_S10_S11_S12_S16_S17_S18_S1B_S1C_jS1D_jS1E_S1E_jjS1G_bEUljE0_EEESZ_S10_S11_S18_S1C_S1E_T6_T7_T9_mT8_S1G_bDpT10_ENKUlT_T0_E_clISt17integral_constantIbLb1EES1U_EEDaS1P_S1Q_EUlS1P_E_NS1_11comp_targetILNS1_3genE5ELNS1_11target_archE942ELNS1_3gpuE9ELNS1_3repE0EEENS1_30default_config_static_selectorELNS0_4arch9wavefront6targetE0EEEvS12_: ; @_ZN7rocprim17ROCPRIM_400000_NS6detail17trampoline_kernelINS0_13select_configILj256ELj13ELNS0_17block_load_methodE3ELS4_3ELS4_3ELNS0_20block_scan_algorithmE0ELj4294967295EEENS1_25partition_config_selectorILNS1_17partition_subalgoE4EjNS0_10empty_typeEbEEZZNS1_14partition_implILS8_4ELb0ES6_15HIP_vector_typeIjLj2EENS0_17counting_iteratorIjlEEPS9_SG_NS0_5tupleIJPjSI_NS0_16reverse_iteratorISI_EEEEENSH_IJSG_SG_SG_EEES9_SI_JZNS1_25segmented_radix_sort_implINS0_14default_configELb0EPKdPdPKlPlN2at6native12_GLOBAL__N_18offset_tEEE10hipError_tPvRmT1_PNSt15iterator_traitsIS12_E10value_typeET2_T3_PNS13_IS18_E10value_typeET4_jRbjT5_S1E_jjP12ihipStream_tbEUljE_ZNSN_ISO_Lb0ESQ_SR_ST_SU_SY_EESZ_S10_S11_S12_S16_S17_S18_S1B_S1C_jS1D_jS1E_S1E_jjS1G_bEUljE0_EEESZ_S10_S11_S18_S1C_S1E_T6_T7_T9_mT8_S1G_bDpT10_ENKUlT_T0_E_clISt17integral_constantIbLb1EES1U_EEDaS1P_S1Q_EUlS1P_E_NS1_11comp_targetILNS1_3genE5ELNS1_11target_archE942ELNS1_3gpuE9ELNS1_3repE0EEENS1_30default_config_static_selectorELNS0_4arch9wavefront6targetE0EEEvS12_
; %bb.0:
	.section	.rodata,"a",@progbits
	.p2align	6, 0x0
	.amdhsa_kernel _ZN7rocprim17ROCPRIM_400000_NS6detail17trampoline_kernelINS0_13select_configILj256ELj13ELNS0_17block_load_methodE3ELS4_3ELS4_3ELNS0_20block_scan_algorithmE0ELj4294967295EEENS1_25partition_config_selectorILNS1_17partition_subalgoE4EjNS0_10empty_typeEbEEZZNS1_14partition_implILS8_4ELb0ES6_15HIP_vector_typeIjLj2EENS0_17counting_iteratorIjlEEPS9_SG_NS0_5tupleIJPjSI_NS0_16reverse_iteratorISI_EEEEENSH_IJSG_SG_SG_EEES9_SI_JZNS1_25segmented_radix_sort_implINS0_14default_configELb0EPKdPdPKlPlN2at6native12_GLOBAL__N_18offset_tEEE10hipError_tPvRmT1_PNSt15iterator_traitsIS12_E10value_typeET2_T3_PNS13_IS18_E10value_typeET4_jRbjT5_S1E_jjP12ihipStream_tbEUljE_ZNSN_ISO_Lb0ESQ_SR_ST_SU_SY_EESZ_S10_S11_S12_S16_S17_S18_S1B_S1C_jS1D_jS1E_S1E_jjS1G_bEUljE0_EEESZ_S10_S11_S18_S1C_S1E_T6_T7_T9_mT8_S1G_bDpT10_ENKUlT_T0_E_clISt17integral_constantIbLb1EES1U_EEDaS1P_S1Q_EUlS1P_E_NS1_11comp_targetILNS1_3genE5ELNS1_11target_archE942ELNS1_3gpuE9ELNS1_3repE0EEENS1_30default_config_static_selectorELNS0_4arch9wavefront6targetE0EEEvS12_
		.amdhsa_group_segment_fixed_size 0
		.amdhsa_private_segment_fixed_size 0
		.amdhsa_kernarg_size 184
		.amdhsa_user_sgpr_count 2
		.amdhsa_user_sgpr_dispatch_ptr 0
		.amdhsa_user_sgpr_queue_ptr 0
		.amdhsa_user_sgpr_kernarg_segment_ptr 1
		.amdhsa_user_sgpr_dispatch_id 0
		.amdhsa_user_sgpr_private_segment_size 0
		.amdhsa_wavefront_size32 1
		.amdhsa_uses_dynamic_stack 0
		.amdhsa_enable_private_segment 0
		.amdhsa_system_sgpr_workgroup_id_x 1
		.amdhsa_system_sgpr_workgroup_id_y 0
		.amdhsa_system_sgpr_workgroup_id_z 0
		.amdhsa_system_sgpr_workgroup_info 0
		.amdhsa_system_vgpr_workitem_id 0
		.amdhsa_next_free_vgpr 1
		.amdhsa_next_free_sgpr 1
		.amdhsa_reserve_vcc 0
		.amdhsa_float_round_mode_32 0
		.amdhsa_float_round_mode_16_64 0
		.amdhsa_float_denorm_mode_32 3
		.amdhsa_float_denorm_mode_16_64 3
		.amdhsa_fp16_overflow 0
		.amdhsa_workgroup_processor_mode 1
		.amdhsa_memory_ordered 1
		.amdhsa_forward_progress 1
		.amdhsa_inst_pref_size 0
		.amdhsa_round_robin_scheduling 0
		.amdhsa_exception_fp_ieee_invalid_op 0
		.amdhsa_exception_fp_denorm_src 0
		.amdhsa_exception_fp_ieee_div_zero 0
		.amdhsa_exception_fp_ieee_overflow 0
		.amdhsa_exception_fp_ieee_underflow 0
		.amdhsa_exception_fp_ieee_inexact 0
		.amdhsa_exception_int_div_zero 0
	.end_amdhsa_kernel
	.section	.text._ZN7rocprim17ROCPRIM_400000_NS6detail17trampoline_kernelINS0_13select_configILj256ELj13ELNS0_17block_load_methodE3ELS4_3ELS4_3ELNS0_20block_scan_algorithmE0ELj4294967295EEENS1_25partition_config_selectorILNS1_17partition_subalgoE4EjNS0_10empty_typeEbEEZZNS1_14partition_implILS8_4ELb0ES6_15HIP_vector_typeIjLj2EENS0_17counting_iteratorIjlEEPS9_SG_NS0_5tupleIJPjSI_NS0_16reverse_iteratorISI_EEEEENSH_IJSG_SG_SG_EEES9_SI_JZNS1_25segmented_radix_sort_implINS0_14default_configELb0EPKdPdPKlPlN2at6native12_GLOBAL__N_18offset_tEEE10hipError_tPvRmT1_PNSt15iterator_traitsIS12_E10value_typeET2_T3_PNS13_IS18_E10value_typeET4_jRbjT5_S1E_jjP12ihipStream_tbEUljE_ZNSN_ISO_Lb0ESQ_SR_ST_SU_SY_EESZ_S10_S11_S12_S16_S17_S18_S1B_S1C_jS1D_jS1E_S1E_jjS1G_bEUljE0_EEESZ_S10_S11_S18_S1C_S1E_T6_T7_T9_mT8_S1G_bDpT10_ENKUlT_T0_E_clISt17integral_constantIbLb1EES1U_EEDaS1P_S1Q_EUlS1P_E_NS1_11comp_targetILNS1_3genE5ELNS1_11target_archE942ELNS1_3gpuE9ELNS1_3repE0EEENS1_30default_config_static_selectorELNS0_4arch9wavefront6targetE0EEEvS12_,"axG",@progbits,_ZN7rocprim17ROCPRIM_400000_NS6detail17trampoline_kernelINS0_13select_configILj256ELj13ELNS0_17block_load_methodE3ELS4_3ELS4_3ELNS0_20block_scan_algorithmE0ELj4294967295EEENS1_25partition_config_selectorILNS1_17partition_subalgoE4EjNS0_10empty_typeEbEEZZNS1_14partition_implILS8_4ELb0ES6_15HIP_vector_typeIjLj2EENS0_17counting_iteratorIjlEEPS9_SG_NS0_5tupleIJPjSI_NS0_16reverse_iteratorISI_EEEEENSH_IJSG_SG_SG_EEES9_SI_JZNS1_25segmented_radix_sort_implINS0_14default_configELb0EPKdPdPKlPlN2at6native12_GLOBAL__N_18offset_tEEE10hipError_tPvRmT1_PNSt15iterator_traitsIS12_E10value_typeET2_T3_PNS13_IS18_E10value_typeET4_jRbjT5_S1E_jjP12ihipStream_tbEUljE_ZNSN_ISO_Lb0ESQ_SR_ST_SU_SY_EESZ_S10_S11_S12_S16_S17_S18_S1B_S1C_jS1D_jS1E_S1E_jjS1G_bEUljE0_EEESZ_S10_S11_S18_S1C_S1E_T6_T7_T9_mT8_S1G_bDpT10_ENKUlT_T0_E_clISt17integral_constantIbLb1EES1U_EEDaS1P_S1Q_EUlS1P_E_NS1_11comp_targetILNS1_3genE5ELNS1_11target_archE942ELNS1_3gpuE9ELNS1_3repE0EEENS1_30default_config_static_selectorELNS0_4arch9wavefront6targetE0EEEvS12_,comdat
.Lfunc_end1166:
	.size	_ZN7rocprim17ROCPRIM_400000_NS6detail17trampoline_kernelINS0_13select_configILj256ELj13ELNS0_17block_load_methodE3ELS4_3ELS4_3ELNS0_20block_scan_algorithmE0ELj4294967295EEENS1_25partition_config_selectorILNS1_17partition_subalgoE4EjNS0_10empty_typeEbEEZZNS1_14partition_implILS8_4ELb0ES6_15HIP_vector_typeIjLj2EENS0_17counting_iteratorIjlEEPS9_SG_NS0_5tupleIJPjSI_NS0_16reverse_iteratorISI_EEEEENSH_IJSG_SG_SG_EEES9_SI_JZNS1_25segmented_radix_sort_implINS0_14default_configELb0EPKdPdPKlPlN2at6native12_GLOBAL__N_18offset_tEEE10hipError_tPvRmT1_PNSt15iterator_traitsIS12_E10value_typeET2_T3_PNS13_IS18_E10value_typeET4_jRbjT5_S1E_jjP12ihipStream_tbEUljE_ZNSN_ISO_Lb0ESQ_SR_ST_SU_SY_EESZ_S10_S11_S12_S16_S17_S18_S1B_S1C_jS1D_jS1E_S1E_jjS1G_bEUljE0_EEESZ_S10_S11_S18_S1C_S1E_T6_T7_T9_mT8_S1G_bDpT10_ENKUlT_T0_E_clISt17integral_constantIbLb1EES1U_EEDaS1P_S1Q_EUlS1P_E_NS1_11comp_targetILNS1_3genE5ELNS1_11target_archE942ELNS1_3gpuE9ELNS1_3repE0EEENS1_30default_config_static_selectorELNS0_4arch9wavefront6targetE0EEEvS12_, .Lfunc_end1166-_ZN7rocprim17ROCPRIM_400000_NS6detail17trampoline_kernelINS0_13select_configILj256ELj13ELNS0_17block_load_methodE3ELS4_3ELS4_3ELNS0_20block_scan_algorithmE0ELj4294967295EEENS1_25partition_config_selectorILNS1_17partition_subalgoE4EjNS0_10empty_typeEbEEZZNS1_14partition_implILS8_4ELb0ES6_15HIP_vector_typeIjLj2EENS0_17counting_iteratorIjlEEPS9_SG_NS0_5tupleIJPjSI_NS0_16reverse_iteratorISI_EEEEENSH_IJSG_SG_SG_EEES9_SI_JZNS1_25segmented_radix_sort_implINS0_14default_configELb0EPKdPdPKlPlN2at6native12_GLOBAL__N_18offset_tEEE10hipError_tPvRmT1_PNSt15iterator_traitsIS12_E10value_typeET2_T3_PNS13_IS18_E10value_typeET4_jRbjT5_S1E_jjP12ihipStream_tbEUljE_ZNSN_ISO_Lb0ESQ_SR_ST_SU_SY_EESZ_S10_S11_S12_S16_S17_S18_S1B_S1C_jS1D_jS1E_S1E_jjS1G_bEUljE0_EEESZ_S10_S11_S18_S1C_S1E_T6_T7_T9_mT8_S1G_bDpT10_ENKUlT_T0_E_clISt17integral_constantIbLb1EES1U_EEDaS1P_S1Q_EUlS1P_E_NS1_11comp_targetILNS1_3genE5ELNS1_11target_archE942ELNS1_3gpuE9ELNS1_3repE0EEENS1_30default_config_static_selectorELNS0_4arch9wavefront6targetE0EEEvS12_
                                        ; -- End function
	.set _ZN7rocprim17ROCPRIM_400000_NS6detail17trampoline_kernelINS0_13select_configILj256ELj13ELNS0_17block_load_methodE3ELS4_3ELS4_3ELNS0_20block_scan_algorithmE0ELj4294967295EEENS1_25partition_config_selectorILNS1_17partition_subalgoE4EjNS0_10empty_typeEbEEZZNS1_14partition_implILS8_4ELb0ES6_15HIP_vector_typeIjLj2EENS0_17counting_iteratorIjlEEPS9_SG_NS0_5tupleIJPjSI_NS0_16reverse_iteratorISI_EEEEENSH_IJSG_SG_SG_EEES9_SI_JZNS1_25segmented_radix_sort_implINS0_14default_configELb0EPKdPdPKlPlN2at6native12_GLOBAL__N_18offset_tEEE10hipError_tPvRmT1_PNSt15iterator_traitsIS12_E10value_typeET2_T3_PNS13_IS18_E10value_typeET4_jRbjT5_S1E_jjP12ihipStream_tbEUljE_ZNSN_ISO_Lb0ESQ_SR_ST_SU_SY_EESZ_S10_S11_S12_S16_S17_S18_S1B_S1C_jS1D_jS1E_S1E_jjS1G_bEUljE0_EEESZ_S10_S11_S18_S1C_S1E_T6_T7_T9_mT8_S1G_bDpT10_ENKUlT_T0_E_clISt17integral_constantIbLb1EES1U_EEDaS1P_S1Q_EUlS1P_E_NS1_11comp_targetILNS1_3genE5ELNS1_11target_archE942ELNS1_3gpuE9ELNS1_3repE0EEENS1_30default_config_static_selectorELNS0_4arch9wavefront6targetE0EEEvS12_.num_vgpr, 0
	.set _ZN7rocprim17ROCPRIM_400000_NS6detail17trampoline_kernelINS0_13select_configILj256ELj13ELNS0_17block_load_methodE3ELS4_3ELS4_3ELNS0_20block_scan_algorithmE0ELj4294967295EEENS1_25partition_config_selectorILNS1_17partition_subalgoE4EjNS0_10empty_typeEbEEZZNS1_14partition_implILS8_4ELb0ES6_15HIP_vector_typeIjLj2EENS0_17counting_iteratorIjlEEPS9_SG_NS0_5tupleIJPjSI_NS0_16reverse_iteratorISI_EEEEENSH_IJSG_SG_SG_EEES9_SI_JZNS1_25segmented_radix_sort_implINS0_14default_configELb0EPKdPdPKlPlN2at6native12_GLOBAL__N_18offset_tEEE10hipError_tPvRmT1_PNSt15iterator_traitsIS12_E10value_typeET2_T3_PNS13_IS18_E10value_typeET4_jRbjT5_S1E_jjP12ihipStream_tbEUljE_ZNSN_ISO_Lb0ESQ_SR_ST_SU_SY_EESZ_S10_S11_S12_S16_S17_S18_S1B_S1C_jS1D_jS1E_S1E_jjS1G_bEUljE0_EEESZ_S10_S11_S18_S1C_S1E_T6_T7_T9_mT8_S1G_bDpT10_ENKUlT_T0_E_clISt17integral_constantIbLb1EES1U_EEDaS1P_S1Q_EUlS1P_E_NS1_11comp_targetILNS1_3genE5ELNS1_11target_archE942ELNS1_3gpuE9ELNS1_3repE0EEENS1_30default_config_static_selectorELNS0_4arch9wavefront6targetE0EEEvS12_.num_agpr, 0
	.set _ZN7rocprim17ROCPRIM_400000_NS6detail17trampoline_kernelINS0_13select_configILj256ELj13ELNS0_17block_load_methodE3ELS4_3ELS4_3ELNS0_20block_scan_algorithmE0ELj4294967295EEENS1_25partition_config_selectorILNS1_17partition_subalgoE4EjNS0_10empty_typeEbEEZZNS1_14partition_implILS8_4ELb0ES6_15HIP_vector_typeIjLj2EENS0_17counting_iteratorIjlEEPS9_SG_NS0_5tupleIJPjSI_NS0_16reverse_iteratorISI_EEEEENSH_IJSG_SG_SG_EEES9_SI_JZNS1_25segmented_radix_sort_implINS0_14default_configELb0EPKdPdPKlPlN2at6native12_GLOBAL__N_18offset_tEEE10hipError_tPvRmT1_PNSt15iterator_traitsIS12_E10value_typeET2_T3_PNS13_IS18_E10value_typeET4_jRbjT5_S1E_jjP12ihipStream_tbEUljE_ZNSN_ISO_Lb0ESQ_SR_ST_SU_SY_EESZ_S10_S11_S12_S16_S17_S18_S1B_S1C_jS1D_jS1E_S1E_jjS1G_bEUljE0_EEESZ_S10_S11_S18_S1C_S1E_T6_T7_T9_mT8_S1G_bDpT10_ENKUlT_T0_E_clISt17integral_constantIbLb1EES1U_EEDaS1P_S1Q_EUlS1P_E_NS1_11comp_targetILNS1_3genE5ELNS1_11target_archE942ELNS1_3gpuE9ELNS1_3repE0EEENS1_30default_config_static_selectorELNS0_4arch9wavefront6targetE0EEEvS12_.numbered_sgpr, 0
	.set _ZN7rocprim17ROCPRIM_400000_NS6detail17trampoline_kernelINS0_13select_configILj256ELj13ELNS0_17block_load_methodE3ELS4_3ELS4_3ELNS0_20block_scan_algorithmE0ELj4294967295EEENS1_25partition_config_selectorILNS1_17partition_subalgoE4EjNS0_10empty_typeEbEEZZNS1_14partition_implILS8_4ELb0ES6_15HIP_vector_typeIjLj2EENS0_17counting_iteratorIjlEEPS9_SG_NS0_5tupleIJPjSI_NS0_16reverse_iteratorISI_EEEEENSH_IJSG_SG_SG_EEES9_SI_JZNS1_25segmented_radix_sort_implINS0_14default_configELb0EPKdPdPKlPlN2at6native12_GLOBAL__N_18offset_tEEE10hipError_tPvRmT1_PNSt15iterator_traitsIS12_E10value_typeET2_T3_PNS13_IS18_E10value_typeET4_jRbjT5_S1E_jjP12ihipStream_tbEUljE_ZNSN_ISO_Lb0ESQ_SR_ST_SU_SY_EESZ_S10_S11_S12_S16_S17_S18_S1B_S1C_jS1D_jS1E_S1E_jjS1G_bEUljE0_EEESZ_S10_S11_S18_S1C_S1E_T6_T7_T9_mT8_S1G_bDpT10_ENKUlT_T0_E_clISt17integral_constantIbLb1EES1U_EEDaS1P_S1Q_EUlS1P_E_NS1_11comp_targetILNS1_3genE5ELNS1_11target_archE942ELNS1_3gpuE9ELNS1_3repE0EEENS1_30default_config_static_selectorELNS0_4arch9wavefront6targetE0EEEvS12_.num_named_barrier, 0
	.set _ZN7rocprim17ROCPRIM_400000_NS6detail17trampoline_kernelINS0_13select_configILj256ELj13ELNS0_17block_load_methodE3ELS4_3ELS4_3ELNS0_20block_scan_algorithmE0ELj4294967295EEENS1_25partition_config_selectorILNS1_17partition_subalgoE4EjNS0_10empty_typeEbEEZZNS1_14partition_implILS8_4ELb0ES6_15HIP_vector_typeIjLj2EENS0_17counting_iteratorIjlEEPS9_SG_NS0_5tupleIJPjSI_NS0_16reverse_iteratorISI_EEEEENSH_IJSG_SG_SG_EEES9_SI_JZNS1_25segmented_radix_sort_implINS0_14default_configELb0EPKdPdPKlPlN2at6native12_GLOBAL__N_18offset_tEEE10hipError_tPvRmT1_PNSt15iterator_traitsIS12_E10value_typeET2_T3_PNS13_IS18_E10value_typeET4_jRbjT5_S1E_jjP12ihipStream_tbEUljE_ZNSN_ISO_Lb0ESQ_SR_ST_SU_SY_EESZ_S10_S11_S12_S16_S17_S18_S1B_S1C_jS1D_jS1E_S1E_jjS1G_bEUljE0_EEESZ_S10_S11_S18_S1C_S1E_T6_T7_T9_mT8_S1G_bDpT10_ENKUlT_T0_E_clISt17integral_constantIbLb1EES1U_EEDaS1P_S1Q_EUlS1P_E_NS1_11comp_targetILNS1_3genE5ELNS1_11target_archE942ELNS1_3gpuE9ELNS1_3repE0EEENS1_30default_config_static_selectorELNS0_4arch9wavefront6targetE0EEEvS12_.private_seg_size, 0
	.set _ZN7rocprim17ROCPRIM_400000_NS6detail17trampoline_kernelINS0_13select_configILj256ELj13ELNS0_17block_load_methodE3ELS4_3ELS4_3ELNS0_20block_scan_algorithmE0ELj4294967295EEENS1_25partition_config_selectorILNS1_17partition_subalgoE4EjNS0_10empty_typeEbEEZZNS1_14partition_implILS8_4ELb0ES6_15HIP_vector_typeIjLj2EENS0_17counting_iteratorIjlEEPS9_SG_NS0_5tupleIJPjSI_NS0_16reverse_iteratorISI_EEEEENSH_IJSG_SG_SG_EEES9_SI_JZNS1_25segmented_radix_sort_implINS0_14default_configELb0EPKdPdPKlPlN2at6native12_GLOBAL__N_18offset_tEEE10hipError_tPvRmT1_PNSt15iterator_traitsIS12_E10value_typeET2_T3_PNS13_IS18_E10value_typeET4_jRbjT5_S1E_jjP12ihipStream_tbEUljE_ZNSN_ISO_Lb0ESQ_SR_ST_SU_SY_EESZ_S10_S11_S12_S16_S17_S18_S1B_S1C_jS1D_jS1E_S1E_jjS1G_bEUljE0_EEESZ_S10_S11_S18_S1C_S1E_T6_T7_T9_mT8_S1G_bDpT10_ENKUlT_T0_E_clISt17integral_constantIbLb1EES1U_EEDaS1P_S1Q_EUlS1P_E_NS1_11comp_targetILNS1_3genE5ELNS1_11target_archE942ELNS1_3gpuE9ELNS1_3repE0EEENS1_30default_config_static_selectorELNS0_4arch9wavefront6targetE0EEEvS12_.uses_vcc, 0
	.set _ZN7rocprim17ROCPRIM_400000_NS6detail17trampoline_kernelINS0_13select_configILj256ELj13ELNS0_17block_load_methodE3ELS4_3ELS4_3ELNS0_20block_scan_algorithmE0ELj4294967295EEENS1_25partition_config_selectorILNS1_17partition_subalgoE4EjNS0_10empty_typeEbEEZZNS1_14partition_implILS8_4ELb0ES6_15HIP_vector_typeIjLj2EENS0_17counting_iteratorIjlEEPS9_SG_NS0_5tupleIJPjSI_NS0_16reverse_iteratorISI_EEEEENSH_IJSG_SG_SG_EEES9_SI_JZNS1_25segmented_radix_sort_implINS0_14default_configELb0EPKdPdPKlPlN2at6native12_GLOBAL__N_18offset_tEEE10hipError_tPvRmT1_PNSt15iterator_traitsIS12_E10value_typeET2_T3_PNS13_IS18_E10value_typeET4_jRbjT5_S1E_jjP12ihipStream_tbEUljE_ZNSN_ISO_Lb0ESQ_SR_ST_SU_SY_EESZ_S10_S11_S12_S16_S17_S18_S1B_S1C_jS1D_jS1E_S1E_jjS1G_bEUljE0_EEESZ_S10_S11_S18_S1C_S1E_T6_T7_T9_mT8_S1G_bDpT10_ENKUlT_T0_E_clISt17integral_constantIbLb1EES1U_EEDaS1P_S1Q_EUlS1P_E_NS1_11comp_targetILNS1_3genE5ELNS1_11target_archE942ELNS1_3gpuE9ELNS1_3repE0EEENS1_30default_config_static_selectorELNS0_4arch9wavefront6targetE0EEEvS12_.uses_flat_scratch, 0
	.set _ZN7rocprim17ROCPRIM_400000_NS6detail17trampoline_kernelINS0_13select_configILj256ELj13ELNS0_17block_load_methodE3ELS4_3ELS4_3ELNS0_20block_scan_algorithmE0ELj4294967295EEENS1_25partition_config_selectorILNS1_17partition_subalgoE4EjNS0_10empty_typeEbEEZZNS1_14partition_implILS8_4ELb0ES6_15HIP_vector_typeIjLj2EENS0_17counting_iteratorIjlEEPS9_SG_NS0_5tupleIJPjSI_NS0_16reverse_iteratorISI_EEEEENSH_IJSG_SG_SG_EEES9_SI_JZNS1_25segmented_radix_sort_implINS0_14default_configELb0EPKdPdPKlPlN2at6native12_GLOBAL__N_18offset_tEEE10hipError_tPvRmT1_PNSt15iterator_traitsIS12_E10value_typeET2_T3_PNS13_IS18_E10value_typeET4_jRbjT5_S1E_jjP12ihipStream_tbEUljE_ZNSN_ISO_Lb0ESQ_SR_ST_SU_SY_EESZ_S10_S11_S12_S16_S17_S18_S1B_S1C_jS1D_jS1E_S1E_jjS1G_bEUljE0_EEESZ_S10_S11_S18_S1C_S1E_T6_T7_T9_mT8_S1G_bDpT10_ENKUlT_T0_E_clISt17integral_constantIbLb1EES1U_EEDaS1P_S1Q_EUlS1P_E_NS1_11comp_targetILNS1_3genE5ELNS1_11target_archE942ELNS1_3gpuE9ELNS1_3repE0EEENS1_30default_config_static_selectorELNS0_4arch9wavefront6targetE0EEEvS12_.has_dyn_sized_stack, 0
	.set _ZN7rocprim17ROCPRIM_400000_NS6detail17trampoline_kernelINS0_13select_configILj256ELj13ELNS0_17block_load_methodE3ELS4_3ELS4_3ELNS0_20block_scan_algorithmE0ELj4294967295EEENS1_25partition_config_selectorILNS1_17partition_subalgoE4EjNS0_10empty_typeEbEEZZNS1_14partition_implILS8_4ELb0ES6_15HIP_vector_typeIjLj2EENS0_17counting_iteratorIjlEEPS9_SG_NS0_5tupleIJPjSI_NS0_16reverse_iteratorISI_EEEEENSH_IJSG_SG_SG_EEES9_SI_JZNS1_25segmented_radix_sort_implINS0_14default_configELb0EPKdPdPKlPlN2at6native12_GLOBAL__N_18offset_tEEE10hipError_tPvRmT1_PNSt15iterator_traitsIS12_E10value_typeET2_T3_PNS13_IS18_E10value_typeET4_jRbjT5_S1E_jjP12ihipStream_tbEUljE_ZNSN_ISO_Lb0ESQ_SR_ST_SU_SY_EESZ_S10_S11_S12_S16_S17_S18_S1B_S1C_jS1D_jS1E_S1E_jjS1G_bEUljE0_EEESZ_S10_S11_S18_S1C_S1E_T6_T7_T9_mT8_S1G_bDpT10_ENKUlT_T0_E_clISt17integral_constantIbLb1EES1U_EEDaS1P_S1Q_EUlS1P_E_NS1_11comp_targetILNS1_3genE5ELNS1_11target_archE942ELNS1_3gpuE9ELNS1_3repE0EEENS1_30default_config_static_selectorELNS0_4arch9wavefront6targetE0EEEvS12_.has_recursion, 0
	.set _ZN7rocprim17ROCPRIM_400000_NS6detail17trampoline_kernelINS0_13select_configILj256ELj13ELNS0_17block_load_methodE3ELS4_3ELS4_3ELNS0_20block_scan_algorithmE0ELj4294967295EEENS1_25partition_config_selectorILNS1_17partition_subalgoE4EjNS0_10empty_typeEbEEZZNS1_14partition_implILS8_4ELb0ES6_15HIP_vector_typeIjLj2EENS0_17counting_iteratorIjlEEPS9_SG_NS0_5tupleIJPjSI_NS0_16reverse_iteratorISI_EEEEENSH_IJSG_SG_SG_EEES9_SI_JZNS1_25segmented_radix_sort_implINS0_14default_configELb0EPKdPdPKlPlN2at6native12_GLOBAL__N_18offset_tEEE10hipError_tPvRmT1_PNSt15iterator_traitsIS12_E10value_typeET2_T3_PNS13_IS18_E10value_typeET4_jRbjT5_S1E_jjP12ihipStream_tbEUljE_ZNSN_ISO_Lb0ESQ_SR_ST_SU_SY_EESZ_S10_S11_S12_S16_S17_S18_S1B_S1C_jS1D_jS1E_S1E_jjS1G_bEUljE0_EEESZ_S10_S11_S18_S1C_S1E_T6_T7_T9_mT8_S1G_bDpT10_ENKUlT_T0_E_clISt17integral_constantIbLb1EES1U_EEDaS1P_S1Q_EUlS1P_E_NS1_11comp_targetILNS1_3genE5ELNS1_11target_archE942ELNS1_3gpuE9ELNS1_3repE0EEENS1_30default_config_static_selectorELNS0_4arch9wavefront6targetE0EEEvS12_.has_indirect_call, 0
	.section	.AMDGPU.csdata,"",@progbits
; Kernel info:
; codeLenInByte = 0
; TotalNumSgprs: 0
; NumVgprs: 0
; ScratchSize: 0
; MemoryBound: 0
; FloatMode: 240
; IeeeMode: 1
; LDSByteSize: 0 bytes/workgroup (compile time only)
; SGPRBlocks: 0
; VGPRBlocks: 0
; NumSGPRsForWavesPerEU: 1
; NumVGPRsForWavesPerEU: 1
; Occupancy: 16
; WaveLimiterHint : 0
; COMPUTE_PGM_RSRC2:SCRATCH_EN: 0
; COMPUTE_PGM_RSRC2:USER_SGPR: 2
; COMPUTE_PGM_RSRC2:TRAP_HANDLER: 0
; COMPUTE_PGM_RSRC2:TGID_X_EN: 1
; COMPUTE_PGM_RSRC2:TGID_Y_EN: 0
; COMPUTE_PGM_RSRC2:TGID_Z_EN: 0
; COMPUTE_PGM_RSRC2:TIDIG_COMP_CNT: 0
	.section	.text._ZN7rocprim17ROCPRIM_400000_NS6detail17trampoline_kernelINS0_13select_configILj256ELj13ELNS0_17block_load_methodE3ELS4_3ELS4_3ELNS0_20block_scan_algorithmE0ELj4294967295EEENS1_25partition_config_selectorILNS1_17partition_subalgoE4EjNS0_10empty_typeEbEEZZNS1_14partition_implILS8_4ELb0ES6_15HIP_vector_typeIjLj2EENS0_17counting_iteratorIjlEEPS9_SG_NS0_5tupleIJPjSI_NS0_16reverse_iteratorISI_EEEEENSH_IJSG_SG_SG_EEES9_SI_JZNS1_25segmented_radix_sort_implINS0_14default_configELb0EPKdPdPKlPlN2at6native12_GLOBAL__N_18offset_tEEE10hipError_tPvRmT1_PNSt15iterator_traitsIS12_E10value_typeET2_T3_PNS13_IS18_E10value_typeET4_jRbjT5_S1E_jjP12ihipStream_tbEUljE_ZNSN_ISO_Lb0ESQ_SR_ST_SU_SY_EESZ_S10_S11_S12_S16_S17_S18_S1B_S1C_jS1D_jS1E_S1E_jjS1G_bEUljE0_EEESZ_S10_S11_S18_S1C_S1E_T6_T7_T9_mT8_S1G_bDpT10_ENKUlT_T0_E_clISt17integral_constantIbLb1EES1U_EEDaS1P_S1Q_EUlS1P_E_NS1_11comp_targetILNS1_3genE4ELNS1_11target_archE910ELNS1_3gpuE8ELNS1_3repE0EEENS1_30default_config_static_selectorELNS0_4arch9wavefront6targetE0EEEvS12_,"axG",@progbits,_ZN7rocprim17ROCPRIM_400000_NS6detail17trampoline_kernelINS0_13select_configILj256ELj13ELNS0_17block_load_methodE3ELS4_3ELS4_3ELNS0_20block_scan_algorithmE0ELj4294967295EEENS1_25partition_config_selectorILNS1_17partition_subalgoE4EjNS0_10empty_typeEbEEZZNS1_14partition_implILS8_4ELb0ES6_15HIP_vector_typeIjLj2EENS0_17counting_iteratorIjlEEPS9_SG_NS0_5tupleIJPjSI_NS0_16reverse_iteratorISI_EEEEENSH_IJSG_SG_SG_EEES9_SI_JZNS1_25segmented_radix_sort_implINS0_14default_configELb0EPKdPdPKlPlN2at6native12_GLOBAL__N_18offset_tEEE10hipError_tPvRmT1_PNSt15iterator_traitsIS12_E10value_typeET2_T3_PNS13_IS18_E10value_typeET4_jRbjT5_S1E_jjP12ihipStream_tbEUljE_ZNSN_ISO_Lb0ESQ_SR_ST_SU_SY_EESZ_S10_S11_S12_S16_S17_S18_S1B_S1C_jS1D_jS1E_S1E_jjS1G_bEUljE0_EEESZ_S10_S11_S18_S1C_S1E_T6_T7_T9_mT8_S1G_bDpT10_ENKUlT_T0_E_clISt17integral_constantIbLb1EES1U_EEDaS1P_S1Q_EUlS1P_E_NS1_11comp_targetILNS1_3genE4ELNS1_11target_archE910ELNS1_3gpuE8ELNS1_3repE0EEENS1_30default_config_static_selectorELNS0_4arch9wavefront6targetE0EEEvS12_,comdat
	.globl	_ZN7rocprim17ROCPRIM_400000_NS6detail17trampoline_kernelINS0_13select_configILj256ELj13ELNS0_17block_load_methodE3ELS4_3ELS4_3ELNS0_20block_scan_algorithmE0ELj4294967295EEENS1_25partition_config_selectorILNS1_17partition_subalgoE4EjNS0_10empty_typeEbEEZZNS1_14partition_implILS8_4ELb0ES6_15HIP_vector_typeIjLj2EENS0_17counting_iteratorIjlEEPS9_SG_NS0_5tupleIJPjSI_NS0_16reverse_iteratorISI_EEEEENSH_IJSG_SG_SG_EEES9_SI_JZNS1_25segmented_radix_sort_implINS0_14default_configELb0EPKdPdPKlPlN2at6native12_GLOBAL__N_18offset_tEEE10hipError_tPvRmT1_PNSt15iterator_traitsIS12_E10value_typeET2_T3_PNS13_IS18_E10value_typeET4_jRbjT5_S1E_jjP12ihipStream_tbEUljE_ZNSN_ISO_Lb0ESQ_SR_ST_SU_SY_EESZ_S10_S11_S12_S16_S17_S18_S1B_S1C_jS1D_jS1E_S1E_jjS1G_bEUljE0_EEESZ_S10_S11_S18_S1C_S1E_T6_T7_T9_mT8_S1G_bDpT10_ENKUlT_T0_E_clISt17integral_constantIbLb1EES1U_EEDaS1P_S1Q_EUlS1P_E_NS1_11comp_targetILNS1_3genE4ELNS1_11target_archE910ELNS1_3gpuE8ELNS1_3repE0EEENS1_30default_config_static_selectorELNS0_4arch9wavefront6targetE0EEEvS12_ ; -- Begin function _ZN7rocprim17ROCPRIM_400000_NS6detail17trampoline_kernelINS0_13select_configILj256ELj13ELNS0_17block_load_methodE3ELS4_3ELS4_3ELNS0_20block_scan_algorithmE0ELj4294967295EEENS1_25partition_config_selectorILNS1_17partition_subalgoE4EjNS0_10empty_typeEbEEZZNS1_14partition_implILS8_4ELb0ES6_15HIP_vector_typeIjLj2EENS0_17counting_iteratorIjlEEPS9_SG_NS0_5tupleIJPjSI_NS0_16reverse_iteratorISI_EEEEENSH_IJSG_SG_SG_EEES9_SI_JZNS1_25segmented_radix_sort_implINS0_14default_configELb0EPKdPdPKlPlN2at6native12_GLOBAL__N_18offset_tEEE10hipError_tPvRmT1_PNSt15iterator_traitsIS12_E10value_typeET2_T3_PNS13_IS18_E10value_typeET4_jRbjT5_S1E_jjP12ihipStream_tbEUljE_ZNSN_ISO_Lb0ESQ_SR_ST_SU_SY_EESZ_S10_S11_S12_S16_S17_S18_S1B_S1C_jS1D_jS1E_S1E_jjS1G_bEUljE0_EEESZ_S10_S11_S18_S1C_S1E_T6_T7_T9_mT8_S1G_bDpT10_ENKUlT_T0_E_clISt17integral_constantIbLb1EES1U_EEDaS1P_S1Q_EUlS1P_E_NS1_11comp_targetILNS1_3genE4ELNS1_11target_archE910ELNS1_3gpuE8ELNS1_3repE0EEENS1_30default_config_static_selectorELNS0_4arch9wavefront6targetE0EEEvS12_
	.p2align	8
	.type	_ZN7rocprim17ROCPRIM_400000_NS6detail17trampoline_kernelINS0_13select_configILj256ELj13ELNS0_17block_load_methodE3ELS4_3ELS4_3ELNS0_20block_scan_algorithmE0ELj4294967295EEENS1_25partition_config_selectorILNS1_17partition_subalgoE4EjNS0_10empty_typeEbEEZZNS1_14partition_implILS8_4ELb0ES6_15HIP_vector_typeIjLj2EENS0_17counting_iteratorIjlEEPS9_SG_NS0_5tupleIJPjSI_NS0_16reverse_iteratorISI_EEEEENSH_IJSG_SG_SG_EEES9_SI_JZNS1_25segmented_radix_sort_implINS0_14default_configELb0EPKdPdPKlPlN2at6native12_GLOBAL__N_18offset_tEEE10hipError_tPvRmT1_PNSt15iterator_traitsIS12_E10value_typeET2_T3_PNS13_IS18_E10value_typeET4_jRbjT5_S1E_jjP12ihipStream_tbEUljE_ZNSN_ISO_Lb0ESQ_SR_ST_SU_SY_EESZ_S10_S11_S12_S16_S17_S18_S1B_S1C_jS1D_jS1E_S1E_jjS1G_bEUljE0_EEESZ_S10_S11_S18_S1C_S1E_T6_T7_T9_mT8_S1G_bDpT10_ENKUlT_T0_E_clISt17integral_constantIbLb1EES1U_EEDaS1P_S1Q_EUlS1P_E_NS1_11comp_targetILNS1_3genE4ELNS1_11target_archE910ELNS1_3gpuE8ELNS1_3repE0EEENS1_30default_config_static_selectorELNS0_4arch9wavefront6targetE0EEEvS12_,@function
_ZN7rocprim17ROCPRIM_400000_NS6detail17trampoline_kernelINS0_13select_configILj256ELj13ELNS0_17block_load_methodE3ELS4_3ELS4_3ELNS0_20block_scan_algorithmE0ELj4294967295EEENS1_25partition_config_selectorILNS1_17partition_subalgoE4EjNS0_10empty_typeEbEEZZNS1_14partition_implILS8_4ELb0ES6_15HIP_vector_typeIjLj2EENS0_17counting_iteratorIjlEEPS9_SG_NS0_5tupleIJPjSI_NS0_16reverse_iteratorISI_EEEEENSH_IJSG_SG_SG_EEES9_SI_JZNS1_25segmented_radix_sort_implINS0_14default_configELb0EPKdPdPKlPlN2at6native12_GLOBAL__N_18offset_tEEE10hipError_tPvRmT1_PNSt15iterator_traitsIS12_E10value_typeET2_T3_PNS13_IS18_E10value_typeET4_jRbjT5_S1E_jjP12ihipStream_tbEUljE_ZNSN_ISO_Lb0ESQ_SR_ST_SU_SY_EESZ_S10_S11_S12_S16_S17_S18_S1B_S1C_jS1D_jS1E_S1E_jjS1G_bEUljE0_EEESZ_S10_S11_S18_S1C_S1E_T6_T7_T9_mT8_S1G_bDpT10_ENKUlT_T0_E_clISt17integral_constantIbLb1EES1U_EEDaS1P_S1Q_EUlS1P_E_NS1_11comp_targetILNS1_3genE4ELNS1_11target_archE910ELNS1_3gpuE8ELNS1_3repE0EEENS1_30default_config_static_selectorELNS0_4arch9wavefront6targetE0EEEvS12_: ; @_ZN7rocprim17ROCPRIM_400000_NS6detail17trampoline_kernelINS0_13select_configILj256ELj13ELNS0_17block_load_methodE3ELS4_3ELS4_3ELNS0_20block_scan_algorithmE0ELj4294967295EEENS1_25partition_config_selectorILNS1_17partition_subalgoE4EjNS0_10empty_typeEbEEZZNS1_14partition_implILS8_4ELb0ES6_15HIP_vector_typeIjLj2EENS0_17counting_iteratorIjlEEPS9_SG_NS0_5tupleIJPjSI_NS0_16reverse_iteratorISI_EEEEENSH_IJSG_SG_SG_EEES9_SI_JZNS1_25segmented_radix_sort_implINS0_14default_configELb0EPKdPdPKlPlN2at6native12_GLOBAL__N_18offset_tEEE10hipError_tPvRmT1_PNSt15iterator_traitsIS12_E10value_typeET2_T3_PNS13_IS18_E10value_typeET4_jRbjT5_S1E_jjP12ihipStream_tbEUljE_ZNSN_ISO_Lb0ESQ_SR_ST_SU_SY_EESZ_S10_S11_S12_S16_S17_S18_S1B_S1C_jS1D_jS1E_S1E_jjS1G_bEUljE0_EEESZ_S10_S11_S18_S1C_S1E_T6_T7_T9_mT8_S1G_bDpT10_ENKUlT_T0_E_clISt17integral_constantIbLb1EES1U_EEDaS1P_S1Q_EUlS1P_E_NS1_11comp_targetILNS1_3genE4ELNS1_11target_archE910ELNS1_3gpuE8ELNS1_3repE0EEENS1_30default_config_static_selectorELNS0_4arch9wavefront6targetE0EEEvS12_
; %bb.0:
	.section	.rodata,"a",@progbits
	.p2align	6, 0x0
	.amdhsa_kernel _ZN7rocprim17ROCPRIM_400000_NS6detail17trampoline_kernelINS0_13select_configILj256ELj13ELNS0_17block_load_methodE3ELS4_3ELS4_3ELNS0_20block_scan_algorithmE0ELj4294967295EEENS1_25partition_config_selectorILNS1_17partition_subalgoE4EjNS0_10empty_typeEbEEZZNS1_14partition_implILS8_4ELb0ES6_15HIP_vector_typeIjLj2EENS0_17counting_iteratorIjlEEPS9_SG_NS0_5tupleIJPjSI_NS0_16reverse_iteratorISI_EEEEENSH_IJSG_SG_SG_EEES9_SI_JZNS1_25segmented_radix_sort_implINS0_14default_configELb0EPKdPdPKlPlN2at6native12_GLOBAL__N_18offset_tEEE10hipError_tPvRmT1_PNSt15iterator_traitsIS12_E10value_typeET2_T3_PNS13_IS18_E10value_typeET4_jRbjT5_S1E_jjP12ihipStream_tbEUljE_ZNSN_ISO_Lb0ESQ_SR_ST_SU_SY_EESZ_S10_S11_S12_S16_S17_S18_S1B_S1C_jS1D_jS1E_S1E_jjS1G_bEUljE0_EEESZ_S10_S11_S18_S1C_S1E_T6_T7_T9_mT8_S1G_bDpT10_ENKUlT_T0_E_clISt17integral_constantIbLb1EES1U_EEDaS1P_S1Q_EUlS1P_E_NS1_11comp_targetILNS1_3genE4ELNS1_11target_archE910ELNS1_3gpuE8ELNS1_3repE0EEENS1_30default_config_static_selectorELNS0_4arch9wavefront6targetE0EEEvS12_
		.amdhsa_group_segment_fixed_size 0
		.amdhsa_private_segment_fixed_size 0
		.amdhsa_kernarg_size 184
		.amdhsa_user_sgpr_count 2
		.amdhsa_user_sgpr_dispatch_ptr 0
		.amdhsa_user_sgpr_queue_ptr 0
		.amdhsa_user_sgpr_kernarg_segment_ptr 1
		.amdhsa_user_sgpr_dispatch_id 0
		.amdhsa_user_sgpr_private_segment_size 0
		.amdhsa_wavefront_size32 1
		.amdhsa_uses_dynamic_stack 0
		.amdhsa_enable_private_segment 0
		.amdhsa_system_sgpr_workgroup_id_x 1
		.amdhsa_system_sgpr_workgroup_id_y 0
		.amdhsa_system_sgpr_workgroup_id_z 0
		.amdhsa_system_sgpr_workgroup_info 0
		.amdhsa_system_vgpr_workitem_id 0
		.amdhsa_next_free_vgpr 1
		.amdhsa_next_free_sgpr 1
		.amdhsa_reserve_vcc 0
		.amdhsa_float_round_mode_32 0
		.amdhsa_float_round_mode_16_64 0
		.amdhsa_float_denorm_mode_32 3
		.amdhsa_float_denorm_mode_16_64 3
		.amdhsa_fp16_overflow 0
		.amdhsa_workgroup_processor_mode 1
		.amdhsa_memory_ordered 1
		.amdhsa_forward_progress 1
		.amdhsa_inst_pref_size 0
		.amdhsa_round_robin_scheduling 0
		.amdhsa_exception_fp_ieee_invalid_op 0
		.amdhsa_exception_fp_denorm_src 0
		.amdhsa_exception_fp_ieee_div_zero 0
		.amdhsa_exception_fp_ieee_overflow 0
		.amdhsa_exception_fp_ieee_underflow 0
		.amdhsa_exception_fp_ieee_inexact 0
		.amdhsa_exception_int_div_zero 0
	.end_amdhsa_kernel
	.section	.text._ZN7rocprim17ROCPRIM_400000_NS6detail17trampoline_kernelINS0_13select_configILj256ELj13ELNS0_17block_load_methodE3ELS4_3ELS4_3ELNS0_20block_scan_algorithmE0ELj4294967295EEENS1_25partition_config_selectorILNS1_17partition_subalgoE4EjNS0_10empty_typeEbEEZZNS1_14partition_implILS8_4ELb0ES6_15HIP_vector_typeIjLj2EENS0_17counting_iteratorIjlEEPS9_SG_NS0_5tupleIJPjSI_NS0_16reverse_iteratorISI_EEEEENSH_IJSG_SG_SG_EEES9_SI_JZNS1_25segmented_radix_sort_implINS0_14default_configELb0EPKdPdPKlPlN2at6native12_GLOBAL__N_18offset_tEEE10hipError_tPvRmT1_PNSt15iterator_traitsIS12_E10value_typeET2_T3_PNS13_IS18_E10value_typeET4_jRbjT5_S1E_jjP12ihipStream_tbEUljE_ZNSN_ISO_Lb0ESQ_SR_ST_SU_SY_EESZ_S10_S11_S12_S16_S17_S18_S1B_S1C_jS1D_jS1E_S1E_jjS1G_bEUljE0_EEESZ_S10_S11_S18_S1C_S1E_T6_T7_T9_mT8_S1G_bDpT10_ENKUlT_T0_E_clISt17integral_constantIbLb1EES1U_EEDaS1P_S1Q_EUlS1P_E_NS1_11comp_targetILNS1_3genE4ELNS1_11target_archE910ELNS1_3gpuE8ELNS1_3repE0EEENS1_30default_config_static_selectorELNS0_4arch9wavefront6targetE0EEEvS12_,"axG",@progbits,_ZN7rocprim17ROCPRIM_400000_NS6detail17trampoline_kernelINS0_13select_configILj256ELj13ELNS0_17block_load_methodE3ELS4_3ELS4_3ELNS0_20block_scan_algorithmE0ELj4294967295EEENS1_25partition_config_selectorILNS1_17partition_subalgoE4EjNS0_10empty_typeEbEEZZNS1_14partition_implILS8_4ELb0ES6_15HIP_vector_typeIjLj2EENS0_17counting_iteratorIjlEEPS9_SG_NS0_5tupleIJPjSI_NS0_16reverse_iteratorISI_EEEEENSH_IJSG_SG_SG_EEES9_SI_JZNS1_25segmented_radix_sort_implINS0_14default_configELb0EPKdPdPKlPlN2at6native12_GLOBAL__N_18offset_tEEE10hipError_tPvRmT1_PNSt15iterator_traitsIS12_E10value_typeET2_T3_PNS13_IS18_E10value_typeET4_jRbjT5_S1E_jjP12ihipStream_tbEUljE_ZNSN_ISO_Lb0ESQ_SR_ST_SU_SY_EESZ_S10_S11_S12_S16_S17_S18_S1B_S1C_jS1D_jS1E_S1E_jjS1G_bEUljE0_EEESZ_S10_S11_S18_S1C_S1E_T6_T7_T9_mT8_S1G_bDpT10_ENKUlT_T0_E_clISt17integral_constantIbLb1EES1U_EEDaS1P_S1Q_EUlS1P_E_NS1_11comp_targetILNS1_3genE4ELNS1_11target_archE910ELNS1_3gpuE8ELNS1_3repE0EEENS1_30default_config_static_selectorELNS0_4arch9wavefront6targetE0EEEvS12_,comdat
.Lfunc_end1167:
	.size	_ZN7rocprim17ROCPRIM_400000_NS6detail17trampoline_kernelINS0_13select_configILj256ELj13ELNS0_17block_load_methodE3ELS4_3ELS4_3ELNS0_20block_scan_algorithmE0ELj4294967295EEENS1_25partition_config_selectorILNS1_17partition_subalgoE4EjNS0_10empty_typeEbEEZZNS1_14partition_implILS8_4ELb0ES6_15HIP_vector_typeIjLj2EENS0_17counting_iteratorIjlEEPS9_SG_NS0_5tupleIJPjSI_NS0_16reverse_iteratorISI_EEEEENSH_IJSG_SG_SG_EEES9_SI_JZNS1_25segmented_radix_sort_implINS0_14default_configELb0EPKdPdPKlPlN2at6native12_GLOBAL__N_18offset_tEEE10hipError_tPvRmT1_PNSt15iterator_traitsIS12_E10value_typeET2_T3_PNS13_IS18_E10value_typeET4_jRbjT5_S1E_jjP12ihipStream_tbEUljE_ZNSN_ISO_Lb0ESQ_SR_ST_SU_SY_EESZ_S10_S11_S12_S16_S17_S18_S1B_S1C_jS1D_jS1E_S1E_jjS1G_bEUljE0_EEESZ_S10_S11_S18_S1C_S1E_T6_T7_T9_mT8_S1G_bDpT10_ENKUlT_T0_E_clISt17integral_constantIbLb1EES1U_EEDaS1P_S1Q_EUlS1P_E_NS1_11comp_targetILNS1_3genE4ELNS1_11target_archE910ELNS1_3gpuE8ELNS1_3repE0EEENS1_30default_config_static_selectorELNS0_4arch9wavefront6targetE0EEEvS12_, .Lfunc_end1167-_ZN7rocprim17ROCPRIM_400000_NS6detail17trampoline_kernelINS0_13select_configILj256ELj13ELNS0_17block_load_methodE3ELS4_3ELS4_3ELNS0_20block_scan_algorithmE0ELj4294967295EEENS1_25partition_config_selectorILNS1_17partition_subalgoE4EjNS0_10empty_typeEbEEZZNS1_14partition_implILS8_4ELb0ES6_15HIP_vector_typeIjLj2EENS0_17counting_iteratorIjlEEPS9_SG_NS0_5tupleIJPjSI_NS0_16reverse_iteratorISI_EEEEENSH_IJSG_SG_SG_EEES9_SI_JZNS1_25segmented_radix_sort_implINS0_14default_configELb0EPKdPdPKlPlN2at6native12_GLOBAL__N_18offset_tEEE10hipError_tPvRmT1_PNSt15iterator_traitsIS12_E10value_typeET2_T3_PNS13_IS18_E10value_typeET4_jRbjT5_S1E_jjP12ihipStream_tbEUljE_ZNSN_ISO_Lb0ESQ_SR_ST_SU_SY_EESZ_S10_S11_S12_S16_S17_S18_S1B_S1C_jS1D_jS1E_S1E_jjS1G_bEUljE0_EEESZ_S10_S11_S18_S1C_S1E_T6_T7_T9_mT8_S1G_bDpT10_ENKUlT_T0_E_clISt17integral_constantIbLb1EES1U_EEDaS1P_S1Q_EUlS1P_E_NS1_11comp_targetILNS1_3genE4ELNS1_11target_archE910ELNS1_3gpuE8ELNS1_3repE0EEENS1_30default_config_static_selectorELNS0_4arch9wavefront6targetE0EEEvS12_
                                        ; -- End function
	.set _ZN7rocprim17ROCPRIM_400000_NS6detail17trampoline_kernelINS0_13select_configILj256ELj13ELNS0_17block_load_methodE3ELS4_3ELS4_3ELNS0_20block_scan_algorithmE0ELj4294967295EEENS1_25partition_config_selectorILNS1_17partition_subalgoE4EjNS0_10empty_typeEbEEZZNS1_14partition_implILS8_4ELb0ES6_15HIP_vector_typeIjLj2EENS0_17counting_iteratorIjlEEPS9_SG_NS0_5tupleIJPjSI_NS0_16reverse_iteratorISI_EEEEENSH_IJSG_SG_SG_EEES9_SI_JZNS1_25segmented_radix_sort_implINS0_14default_configELb0EPKdPdPKlPlN2at6native12_GLOBAL__N_18offset_tEEE10hipError_tPvRmT1_PNSt15iterator_traitsIS12_E10value_typeET2_T3_PNS13_IS18_E10value_typeET4_jRbjT5_S1E_jjP12ihipStream_tbEUljE_ZNSN_ISO_Lb0ESQ_SR_ST_SU_SY_EESZ_S10_S11_S12_S16_S17_S18_S1B_S1C_jS1D_jS1E_S1E_jjS1G_bEUljE0_EEESZ_S10_S11_S18_S1C_S1E_T6_T7_T9_mT8_S1G_bDpT10_ENKUlT_T0_E_clISt17integral_constantIbLb1EES1U_EEDaS1P_S1Q_EUlS1P_E_NS1_11comp_targetILNS1_3genE4ELNS1_11target_archE910ELNS1_3gpuE8ELNS1_3repE0EEENS1_30default_config_static_selectorELNS0_4arch9wavefront6targetE0EEEvS12_.num_vgpr, 0
	.set _ZN7rocprim17ROCPRIM_400000_NS6detail17trampoline_kernelINS0_13select_configILj256ELj13ELNS0_17block_load_methodE3ELS4_3ELS4_3ELNS0_20block_scan_algorithmE0ELj4294967295EEENS1_25partition_config_selectorILNS1_17partition_subalgoE4EjNS0_10empty_typeEbEEZZNS1_14partition_implILS8_4ELb0ES6_15HIP_vector_typeIjLj2EENS0_17counting_iteratorIjlEEPS9_SG_NS0_5tupleIJPjSI_NS0_16reverse_iteratorISI_EEEEENSH_IJSG_SG_SG_EEES9_SI_JZNS1_25segmented_radix_sort_implINS0_14default_configELb0EPKdPdPKlPlN2at6native12_GLOBAL__N_18offset_tEEE10hipError_tPvRmT1_PNSt15iterator_traitsIS12_E10value_typeET2_T3_PNS13_IS18_E10value_typeET4_jRbjT5_S1E_jjP12ihipStream_tbEUljE_ZNSN_ISO_Lb0ESQ_SR_ST_SU_SY_EESZ_S10_S11_S12_S16_S17_S18_S1B_S1C_jS1D_jS1E_S1E_jjS1G_bEUljE0_EEESZ_S10_S11_S18_S1C_S1E_T6_T7_T9_mT8_S1G_bDpT10_ENKUlT_T0_E_clISt17integral_constantIbLb1EES1U_EEDaS1P_S1Q_EUlS1P_E_NS1_11comp_targetILNS1_3genE4ELNS1_11target_archE910ELNS1_3gpuE8ELNS1_3repE0EEENS1_30default_config_static_selectorELNS0_4arch9wavefront6targetE0EEEvS12_.num_agpr, 0
	.set _ZN7rocprim17ROCPRIM_400000_NS6detail17trampoline_kernelINS0_13select_configILj256ELj13ELNS0_17block_load_methodE3ELS4_3ELS4_3ELNS0_20block_scan_algorithmE0ELj4294967295EEENS1_25partition_config_selectorILNS1_17partition_subalgoE4EjNS0_10empty_typeEbEEZZNS1_14partition_implILS8_4ELb0ES6_15HIP_vector_typeIjLj2EENS0_17counting_iteratorIjlEEPS9_SG_NS0_5tupleIJPjSI_NS0_16reverse_iteratorISI_EEEEENSH_IJSG_SG_SG_EEES9_SI_JZNS1_25segmented_radix_sort_implINS0_14default_configELb0EPKdPdPKlPlN2at6native12_GLOBAL__N_18offset_tEEE10hipError_tPvRmT1_PNSt15iterator_traitsIS12_E10value_typeET2_T3_PNS13_IS18_E10value_typeET4_jRbjT5_S1E_jjP12ihipStream_tbEUljE_ZNSN_ISO_Lb0ESQ_SR_ST_SU_SY_EESZ_S10_S11_S12_S16_S17_S18_S1B_S1C_jS1D_jS1E_S1E_jjS1G_bEUljE0_EEESZ_S10_S11_S18_S1C_S1E_T6_T7_T9_mT8_S1G_bDpT10_ENKUlT_T0_E_clISt17integral_constantIbLb1EES1U_EEDaS1P_S1Q_EUlS1P_E_NS1_11comp_targetILNS1_3genE4ELNS1_11target_archE910ELNS1_3gpuE8ELNS1_3repE0EEENS1_30default_config_static_selectorELNS0_4arch9wavefront6targetE0EEEvS12_.numbered_sgpr, 0
	.set _ZN7rocprim17ROCPRIM_400000_NS6detail17trampoline_kernelINS0_13select_configILj256ELj13ELNS0_17block_load_methodE3ELS4_3ELS4_3ELNS0_20block_scan_algorithmE0ELj4294967295EEENS1_25partition_config_selectorILNS1_17partition_subalgoE4EjNS0_10empty_typeEbEEZZNS1_14partition_implILS8_4ELb0ES6_15HIP_vector_typeIjLj2EENS0_17counting_iteratorIjlEEPS9_SG_NS0_5tupleIJPjSI_NS0_16reverse_iteratorISI_EEEEENSH_IJSG_SG_SG_EEES9_SI_JZNS1_25segmented_radix_sort_implINS0_14default_configELb0EPKdPdPKlPlN2at6native12_GLOBAL__N_18offset_tEEE10hipError_tPvRmT1_PNSt15iterator_traitsIS12_E10value_typeET2_T3_PNS13_IS18_E10value_typeET4_jRbjT5_S1E_jjP12ihipStream_tbEUljE_ZNSN_ISO_Lb0ESQ_SR_ST_SU_SY_EESZ_S10_S11_S12_S16_S17_S18_S1B_S1C_jS1D_jS1E_S1E_jjS1G_bEUljE0_EEESZ_S10_S11_S18_S1C_S1E_T6_T7_T9_mT8_S1G_bDpT10_ENKUlT_T0_E_clISt17integral_constantIbLb1EES1U_EEDaS1P_S1Q_EUlS1P_E_NS1_11comp_targetILNS1_3genE4ELNS1_11target_archE910ELNS1_3gpuE8ELNS1_3repE0EEENS1_30default_config_static_selectorELNS0_4arch9wavefront6targetE0EEEvS12_.num_named_barrier, 0
	.set _ZN7rocprim17ROCPRIM_400000_NS6detail17trampoline_kernelINS0_13select_configILj256ELj13ELNS0_17block_load_methodE3ELS4_3ELS4_3ELNS0_20block_scan_algorithmE0ELj4294967295EEENS1_25partition_config_selectorILNS1_17partition_subalgoE4EjNS0_10empty_typeEbEEZZNS1_14partition_implILS8_4ELb0ES6_15HIP_vector_typeIjLj2EENS0_17counting_iteratorIjlEEPS9_SG_NS0_5tupleIJPjSI_NS0_16reverse_iteratorISI_EEEEENSH_IJSG_SG_SG_EEES9_SI_JZNS1_25segmented_radix_sort_implINS0_14default_configELb0EPKdPdPKlPlN2at6native12_GLOBAL__N_18offset_tEEE10hipError_tPvRmT1_PNSt15iterator_traitsIS12_E10value_typeET2_T3_PNS13_IS18_E10value_typeET4_jRbjT5_S1E_jjP12ihipStream_tbEUljE_ZNSN_ISO_Lb0ESQ_SR_ST_SU_SY_EESZ_S10_S11_S12_S16_S17_S18_S1B_S1C_jS1D_jS1E_S1E_jjS1G_bEUljE0_EEESZ_S10_S11_S18_S1C_S1E_T6_T7_T9_mT8_S1G_bDpT10_ENKUlT_T0_E_clISt17integral_constantIbLb1EES1U_EEDaS1P_S1Q_EUlS1P_E_NS1_11comp_targetILNS1_3genE4ELNS1_11target_archE910ELNS1_3gpuE8ELNS1_3repE0EEENS1_30default_config_static_selectorELNS0_4arch9wavefront6targetE0EEEvS12_.private_seg_size, 0
	.set _ZN7rocprim17ROCPRIM_400000_NS6detail17trampoline_kernelINS0_13select_configILj256ELj13ELNS0_17block_load_methodE3ELS4_3ELS4_3ELNS0_20block_scan_algorithmE0ELj4294967295EEENS1_25partition_config_selectorILNS1_17partition_subalgoE4EjNS0_10empty_typeEbEEZZNS1_14partition_implILS8_4ELb0ES6_15HIP_vector_typeIjLj2EENS0_17counting_iteratorIjlEEPS9_SG_NS0_5tupleIJPjSI_NS0_16reverse_iteratorISI_EEEEENSH_IJSG_SG_SG_EEES9_SI_JZNS1_25segmented_radix_sort_implINS0_14default_configELb0EPKdPdPKlPlN2at6native12_GLOBAL__N_18offset_tEEE10hipError_tPvRmT1_PNSt15iterator_traitsIS12_E10value_typeET2_T3_PNS13_IS18_E10value_typeET4_jRbjT5_S1E_jjP12ihipStream_tbEUljE_ZNSN_ISO_Lb0ESQ_SR_ST_SU_SY_EESZ_S10_S11_S12_S16_S17_S18_S1B_S1C_jS1D_jS1E_S1E_jjS1G_bEUljE0_EEESZ_S10_S11_S18_S1C_S1E_T6_T7_T9_mT8_S1G_bDpT10_ENKUlT_T0_E_clISt17integral_constantIbLb1EES1U_EEDaS1P_S1Q_EUlS1P_E_NS1_11comp_targetILNS1_3genE4ELNS1_11target_archE910ELNS1_3gpuE8ELNS1_3repE0EEENS1_30default_config_static_selectorELNS0_4arch9wavefront6targetE0EEEvS12_.uses_vcc, 0
	.set _ZN7rocprim17ROCPRIM_400000_NS6detail17trampoline_kernelINS0_13select_configILj256ELj13ELNS0_17block_load_methodE3ELS4_3ELS4_3ELNS0_20block_scan_algorithmE0ELj4294967295EEENS1_25partition_config_selectorILNS1_17partition_subalgoE4EjNS0_10empty_typeEbEEZZNS1_14partition_implILS8_4ELb0ES6_15HIP_vector_typeIjLj2EENS0_17counting_iteratorIjlEEPS9_SG_NS0_5tupleIJPjSI_NS0_16reverse_iteratorISI_EEEEENSH_IJSG_SG_SG_EEES9_SI_JZNS1_25segmented_radix_sort_implINS0_14default_configELb0EPKdPdPKlPlN2at6native12_GLOBAL__N_18offset_tEEE10hipError_tPvRmT1_PNSt15iterator_traitsIS12_E10value_typeET2_T3_PNS13_IS18_E10value_typeET4_jRbjT5_S1E_jjP12ihipStream_tbEUljE_ZNSN_ISO_Lb0ESQ_SR_ST_SU_SY_EESZ_S10_S11_S12_S16_S17_S18_S1B_S1C_jS1D_jS1E_S1E_jjS1G_bEUljE0_EEESZ_S10_S11_S18_S1C_S1E_T6_T7_T9_mT8_S1G_bDpT10_ENKUlT_T0_E_clISt17integral_constantIbLb1EES1U_EEDaS1P_S1Q_EUlS1P_E_NS1_11comp_targetILNS1_3genE4ELNS1_11target_archE910ELNS1_3gpuE8ELNS1_3repE0EEENS1_30default_config_static_selectorELNS0_4arch9wavefront6targetE0EEEvS12_.uses_flat_scratch, 0
	.set _ZN7rocprim17ROCPRIM_400000_NS6detail17trampoline_kernelINS0_13select_configILj256ELj13ELNS0_17block_load_methodE3ELS4_3ELS4_3ELNS0_20block_scan_algorithmE0ELj4294967295EEENS1_25partition_config_selectorILNS1_17partition_subalgoE4EjNS0_10empty_typeEbEEZZNS1_14partition_implILS8_4ELb0ES6_15HIP_vector_typeIjLj2EENS0_17counting_iteratorIjlEEPS9_SG_NS0_5tupleIJPjSI_NS0_16reverse_iteratorISI_EEEEENSH_IJSG_SG_SG_EEES9_SI_JZNS1_25segmented_radix_sort_implINS0_14default_configELb0EPKdPdPKlPlN2at6native12_GLOBAL__N_18offset_tEEE10hipError_tPvRmT1_PNSt15iterator_traitsIS12_E10value_typeET2_T3_PNS13_IS18_E10value_typeET4_jRbjT5_S1E_jjP12ihipStream_tbEUljE_ZNSN_ISO_Lb0ESQ_SR_ST_SU_SY_EESZ_S10_S11_S12_S16_S17_S18_S1B_S1C_jS1D_jS1E_S1E_jjS1G_bEUljE0_EEESZ_S10_S11_S18_S1C_S1E_T6_T7_T9_mT8_S1G_bDpT10_ENKUlT_T0_E_clISt17integral_constantIbLb1EES1U_EEDaS1P_S1Q_EUlS1P_E_NS1_11comp_targetILNS1_3genE4ELNS1_11target_archE910ELNS1_3gpuE8ELNS1_3repE0EEENS1_30default_config_static_selectorELNS0_4arch9wavefront6targetE0EEEvS12_.has_dyn_sized_stack, 0
	.set _ZN7rocprim17ROCPRIM_400000_NS6detail17trampoline_kernelINS0_13select_configILj256ELj13ELNS0_17block_load_methodE3ELS4_3ELS4_3ELNS0_20block_scan_algorithmE0ELj4294967295EEENS1_25partition_config_selectorILNS1_17partition_subalgoE4EjNS0_10empty_typeEbEEZZNS1_14partition_implILS8_4ELb0ES6_15HIP_vector_typeIjLj2EENS0_17counting_iteratorIjlEEPS9_SG_NS0_5tupleIJPjSI_NS0_16reverse_iteratorISI_EEEEENSH_IJSG_SG_SG_EEES9_SI_JZNS1_25segmented_radix_sort_implINS0_14default_configELb0EPKdPdPKlPlN2at6native12_GLOBAL__N_18offset_tEEE10hipError_tPvRmT1_PNSt15iterator_traitsIS12_E10value_typeET2_T3_PNS13_IS18_E10value_typeET4_jRbjT5_S1E_jjP12ihipStream_tbEUljE_ZNSN_ISO_Lb0ESQ_SR_ST_SU_SY_EESZ_S10_S11_S12_S16_S17_S18_S1B_S1C_jS1D_jS1E_S1E_jjS1G_bEUljE0_EEESZ_S10_S11_S18_S1C_S1E_T6_T7_T9_mT8_S1G_bDpT10_ENKUlT_T0_E_clISt17integral_constantIbLb1EES1U_EEDaS1P_S1Q_EUlS1P_E_NS1_11comp_targetILNS1_3genE4ELNS1_11target_archE910ELNS1_3gpuE8ELNS1_3repE0EEENS1_30default_config_static_selectorELNS0_4arch9wavefront6targetE0EEEvS12_.has_recursion, 0
	.set _ZN7rocprim17ROCPRIM_400000_NS6detail17trampoline_kernelINS0_13select_configILj256ELj13ELNS0_17block_load_methodE3ELS4_3ELS4_3ELNS0_20block_scan_algorithmE0ELj4294967295EEENS1_25partition_config_selectorILNS1_17partition_subalgoE4EjNS0_10empty_typeEbEEZZNS1_14partition_implILS8_4ELb0ES6_15HIP_vector_typeIjLj2EENS0_17counting_iteratorIjlEEPS9_SG_NS0_5tupleIJPjSI_NS0_16reverse_iteratorISI_EEEEENSH_IJSG_SG_SG_EEES9_SI_JZNS1_25segmented_radix_sort_implINS0_14default_configELb0EPKdPdPKlPlN2at6native12_GLOBAL__N_18offset_tEEE10hipError_tPvRmT1_PNSt15iterator_traitsIS12_E10value_typeET2_T3_PNS13_IS18_E10value_typeET4_jRbjT5_S1E_jjP12ihipStream_tbEUljE_ZNSN_ISO_Lb0ESQ_SR_ST_SU_SY_EESZ_S10_S11_S12_S16_S17_S18_S1B_S1C_jS1D_jS1E_S1E_jjS1G_bEUljE0_EEESZ_S10_S11_S18_S1C_S1E_T6_T7_T9_mT8_S1G_bDpT10_ENKUlT_T0_E_clISt17integral_constantIbLb1EES1U_EEDaS1P_S1Q_EUlS1P_E_NS1_11comp_targetILNS1_3genE4ELNS1_11target_archE910ELNS1_3gpuE8ELNS1_3repE0EEENS1_30default_config_static_selectorELNS0_4arch9wavefront6targetE0EEEvS12_.has_indirect_call, 0
	.section	.AMDGPU.csdata,"",@progbits
; Kernel info:
; codeLenInByte = 0
; TotalNumSgprs: 0
; NumVgprs: 0
; ScratchSize: 0
; MemoryBound: 0
; FloatMode: 240
; IeeeMode: 1
; LDSByteSize: 0 bytes/workgroup (compile time only)
; SGPRBlocks: 0
; VGPRBlocks: 0
; NumSGPRsForWavesPerEU: 1
; NumVGPRsForWavesPerEU: 1
; Occupancy: 16
; WaveLimiterHint : 0
; COMPUTE_PGM_RSRC2:SCRATCH_EN: 0
; COMPUTE_PGM_RSRC2:USER_SGPR: 2
; COMPUTE_PGM_RSRC2:TRAP_HANDLER: 0
; COMPUTE_PGM_RSRC2:TGID_X_EN: 1
; COMPUTE_PGM_RSRC2:TGID_Y_EN: 0
; COMPUTE_PGM_RSRC2:TGID_Z_EN: 0
; COMPUTE_PGM_RSRC2:TIDIG_COMP_CNT: 0
	.section	.text._ZN7rocprim17ROCPRIM_400000_NS6detail17trampoline_kernelINS0_13select_configILj256ELj13ELNS0_17block_load_methodE3ELS4_3ELS4_3ELNS0_20block_scan_algorithmE0ELj4294967295EEENS1_25partition_config_selectorILNS1_17partition_subalgoE4EjNS0_10empty_typeEbEEZZNS1_14partition_implILS8_4ELb0ES6_15HIP_vector_typeIjLj2EENS0_17counting_iteratorIjlEEPS9_SG_NS0_5tupleIJPjSI_NS0_16reverse_iteratorISI_EEEEENSH_IJSG_SG_SG_EEES9_SI_JZNS1_25segmented_radix_sort_implINS0_14default_configELb0EPKdPdPKlPlN2at6native12_GLOBAL__N_18offset_tEEE10hipError_tPvRmT1_PNSt15iterator_traitsIS12_E10value_typeET2_T3_PNS13_IS18_E10value_typeET4_jRbjT5_S1E_jjP12ihipStream_tbEUljE_ZNSN_ISO_Lb0ESQ_SR_ST_SU_SY_EESZ_S10_S11_S12_S16_S17_S18_S1B_S1C_jS1D_jS1E_S1E_jjS1G_bEUljE0_EEESZ_S10_S11_S18_S1C_S1E_T6_T7_T9_mT8_S1G_bDpT10_ENKUlT_T0_E_clISt17integral_constantIbLb1EES1U_EEDaS1P_S1Q_EUlS1P_E_NS1_11comp_targetILNS1_3genE3ELNS1_11target_archE908ELNS1_3gpuE7ELNS1_3repE0EEENS1_30default_config_static_selectorELNS0_4arch9wavefront6targetE0EEEvS12_,"axG",@progbits,_ZN7rocprim17ROCPRIM_400000_NS6detail17trampoline_kernelINS0_13select_configILj256ELj13ELNS0_17block_load_methodE3ELS4_3ELS4_3ELNS0_20block_scan_algorithmE0ELj4294967295EEENS1_25partition_config_selectorILNS1_17partition_subalgoE4EjNS0_10empty_typeEbEEZZNS1_14partition_implILS8_4ELb0ES6_15HIP_vector_typeIjLj2EENS0_17counting_iteratorIjlEEPS9_SG_NS0_5tupleIJPjSI_NS0_16reverse_iteratorISI_EEEEENSH_IJSG_SG_SG_EEES9_SI_JZNS1_25segmented_radix_sort_implINS0_14default_configELb0EPKdPdPKlPlN2at6native12_GLOBAL__N_18offset_tEEE10hipError_tPvRmT1_PNSt15iterator_traitsIS12_E10value_typeET2_T3_PNS13_IS18_E10value_typeET4_jRbjT5_S1E_jjP12ihipStream_tbEUljE_ZNSN_ISO_Lb0ESQ_SR_ST_SU_SY_EESZ_S10_S11_S12_S16_S17_S18_S1B_S1C_jS1D_jS1E_S1E_jjS1G_bEUljE0_EEESZ_S10_S11_S18_S1C_S1E_T6_T7_T9_mT8_S1G_bDpT10_ENKUlT_T0_E_clISt17integral_constantIbLb1EES1U_EEDaS1P_S1Q_EUlS1P_E_NS1_11comp_targetILNS1_3genE3ELNS1_11target_archE908ELNS1_3gpuE7ELNS1_3repE0EEENS1_30default_config_static_selectorELNS0_4arch9wavefront6targetE0EEEvS12_,comdat
	.globl	_ZN7rocprim17ROCPRIM_400000_NS6detail17trampoline_kernelINS0_13select_configILj256ELj13ELNS0_17block_load_methodE3ELS4_3ELS4_3ELNS0_20block_scan_algorithmE0ELj4294967295EEENS1_25partition_config_selectorILNS1_17partition_subalgoE4EjNS0_10empty_typeEbEEZZNS1_14partition_implILS8_4ELb0ES6_15HIP_vector_typeIjLj2EENS0_17counting_iteratorIjlEEPS9_SG_NS0_5tupleIJPjSI_NS0_16reverse_iteratorISI_EEEEENSH_IJSG_SG_SG_EEES9_SI_JZNS1_25segmented_radix_sort_implINS0_14default_configELb0EPKdPdPKlPlN2at6native12_GLOBAL__N_18offset_tEEE10hipError_tPvRmT1_PNSt15iterator_traitsIS12_E10value_typeET2_T3_PNS13_IS18_E10value_typeET4_jRbjT5_S1E_jjP12ihipStream_tbEUljE_ZNSN_ISO_Lb0ESQ_SR_ST_SU_SY_EESZ_S10_S11_S12_S16_S17_S18_S1B_S1C_jS1D_jS1E_S1E_jjS1G_bEUljE0_EEESZ_S10_S11_S18_S1C_S1E_T6_T7_T9_mT8_S1G_bDpT10_ENKUlT_T0_E_clISt17integral_constantIbLb1EES1U_EEDaS1P_S1Q_EUlS1P_E_NS1_11comp_targetILNS1_3genE3ELNS1_11target_archE908ELNS1_3gpuE7ELNS1_3repE0EEENS1_30default_config_static_selectorELNS0_4arch9wavefront6targetE0EEEvS12_ ; -- Begin function _ZN7rocprim17ROCPRIM_400000_NS6detail17trampoline_kernelINS0_13select_configILj256ELj13ELNS0_17block_load_methodE3ELS4_3ELS4_3ELNS0_20block_scan_algorithmE0ELj4294967295EEENS1_25partition_config_selectorILNS1_17partition_subalgoE4EjNS0_10empty_typeEbEEZZNS1_14partition_implILS8_4ELb0ES6_15HIP_vector_typeIjLj2EENS0_17counting_iteratorIjlEEPS9_SG_NS0_5tupleIJPjSI_NS0_16reverse_iteratorISI_EEEEENSH_IJSG_SG_SG_EEES9_SI_JZNS1_25segmented_radix_sort_implINS0_14default_configELb0EPKdPdPKlPlN2at6native12_GLOBAL__N_18offset_tEEE10hipError_tPvRmT1_PNSt15iterator_traitsIS12_E10value_typeET2_T3_PNS13_IS18_E10value_typeET4_jRbjT5_S1E_jjP12ihipStream_tbEUljE_ZNSN_ISO_Lb0ESQ_SR_ST_SU_SY_EESZ_S10_S11_S12_S16_S17_S18_S1B_S1C_jS1D_jS1E_S1E_jjS1G_bEUljE0_EEESZ_S10_S11_S18_S1C_S1E_T6_T7_T9_mT8_S1G_bDpT10_ENKUlT_T0_E_clISt17integral_constantIbLb1EES1U_EEDaS1P_S1Q_EUlS1P_E_NS1_11comp_targetILNS1_3genE3ELNS1_11target_archE908ELNS1_3gpuE7ELNS1_3repE0EEENS1_30default_config_static_selectorELNS0_4arch9wavefront6targetE0EEEvS12_
	.p2align	8
	.type	_ZN7rocprim17ROCPRIM_400000_NS6detail17trampoline_kernelINS0_13select_configILj256ELj13ELNS0_17block_load_methodE3ELS4_3ELS4_3ELNS0_20block_scan_algorithmE0ELj4294967295EEENS1_25partition_config_selectorILNS1_17partition_subalgoE4EjNS0_10empty_typeEbEEZZNS1_14partition_implILS8_4ELb0ES6_15HIP_vector_typeIjLj2EENS0_17counting_iteratorIjlEEPS9_SG_NS0_5tupleIJPjSI_NS0_16reverse_iteratorISI_EEEEENSH_IJSG_SG_SG_EEES9_SI_JZNS1_25segmented_radix_sort_implINS0_14default_configELb0EPKdPdPKlPlN2at6native12_GLOBAL__N_18offset_tEEE10hipError_tPvRmT1_PNSt15iterator_traitsIS12_E10value_typeET2_T3_PNS13_IS18_E10value_typeET4_jRbjT5_S1E_jjP12ihipStream_tbEUljE_ZNSN_ISO_Lb0ESQ_SR_ST_SU_SY_EESZ_S10_S11_S12_S16_S17_S18_S1B_S1C_jS1D_jS1E_S1E_jjS1G_bEUljE0_EEESZ_S10_S11_S18_S1C_S1E_T6_T7_T9_mT8_S1G_bDpT10_ENKUlT_T0_E_clISt17integral_constantIbLb1EES1U_EEDaS1P_S1Q_EUlS1P_E_NS1_11comp_targetILNS1_3genE3ELNS1_11target_archE908ELNS1_3gpuE7ELNS1_3repE0EEENS1_30default_config_static_selectorELNS0_4arch9wavefront6targetE0EEEvS12_,@function
_ZN7rocprim17ROCPRIM_400000_NS6detail17trampoline_kernelINS0_13select_configILj256ELj13ELNS0_17block_load_methodE3ELS4_3ELS4_3ELNS0_20block_scan_algorithmE0ELj4294967295EEENS1_25partition_config_selectorILNS1_17partition_subalgoE4EjNS0_10empty_typeEbEEZZNS1_14partition_implILS8_4ELb0ES6_15HIP_vector_typeIjLj2EENS0_17counting_iteratorIjlEEPS9_SG_NS0_5tupleIJPjSI_NS0_16reverse_iteratorISI_EEEEENSH_IJSG_SG_SG_EEES9_SI_JZNS1_25segmented_radix_sort_implINS0_14default_configELb0EPKdPdPKlPlN2at6native12_GLOBAL__N_18offset_tEEE10hipError_tPvRmT1_PNSt15iterator_traitsIS12_E10value_typeET2_T3_PNS13_IS18_E10value_typeET4_jRbjT5_S1E_jjP12ihipStream_tbEUljE_ZNSN_ISO_Lb0ESQ_SR_ST_SU_SY_EESZ_S10_S11_S12_S16_S17_S18_S1B_S1C_jS1D_jS1E_S1E_jjS1G_bEUljE0_EEESZ_S10_S11_S18_S1C_S1E_T6_T7_T9_mT8_S1G_bDpT10_ENKUlT_T0_E_clISt17integral_constantIbLb1EES1U_EEDaS1P_S1Q_EUlS1P_E_NS1_11comp_targetILNS1_3genE3ELNS1_11target_archE908ELNS1_3gpuE7ELNS1_3repE0EEENS1_30default_config_static_selectorELNS0_4arch9wavefront6targetE0EEEvS12_: ; @_ZN7rocprim17ROCPRIM_400000_NS6detail17trampoline_kernelINS0_13select_configILj256ELj13ELNS0_17block_load_methodE3ELS4_3ELS4_3ELNS0_20block_scan_algorithmE0ELj4294967295EEENS1_25partition_config_selectorILNS1_17partition_subalgoE4EjNS0_10empty_typeEbEEZZNS1_14partition_implILS8_4ELb0ES6_15HIP_vector_typeIjLj2EENS0_17counting_iteratorIjlEEPS9_SG_NS0_5tupleIJPjSI_NS0_16reverse_iteratorISI_EEEEENSH_IJSG_SG_SG_EEES9_SI_JZNS1_25segmented_radix_sort_implINS0_14default_configELb0EPKdPdPKlPlN2at6native12_GLOBAL__N_18offset_tEEE10hipError_tPvRmT1_PNSt15iterator_traitsIS12_E10value_typeET2_T3_PNS13_IS18_E10value_typeET4_jRbjT5_S1E_jjP12ihipStream_tbEUljE_ZNSN_ISO_Lb0ESQ_SR_ST_SU_SY_EESZ_S10_S11_S12_S16_S17_S18_S1B_S1C_jS1D_jS1E_S1E_jjS1G_bEUljE0_EEESZ_S10_S11_S18_S1C_S1E_T6_T7_T9_mT8_S1G_bDpT10_ENKUlT_T0_E_clISt17integral_constantIbLb1EES1U_EEDaS1P_S1Q_EUlS1P_E_NS1_11comp_targetILNS1_3genE3ELNS1_11target_archE908ELNS1_3gpuE7ELNS1_3repE0EEENS1_30default_config_static_selectorELNS0_4arch9wavefront6targetE0EEEvS12_
; %bb.0:
	.section	.rodata,"a",@progbits
	.p2align	6, 0x0
	.amdhsa_kernel _ZN7rocprim17ROCPRIM_400000_NS6detail17trampoline_kernelINS0_13select_configILj256ELj13ELNS0_17block_load_methodE3ELS4_3ELS4_3ELNS0_20block_scan_algorithmE0ELj4294967295EEENS1_25partition_config_selectorILNS1_17partition_subalgoE4EjNS0_10empty_typeEbEEZZNS1_14partition_implILS8_4ELb0ES6_15HIP_vector_typeIjLj2EENS0_17counting_iteratorIjlEEPS9_SG_NS0_5tupleIJPjSI_NS0_16reverse_iteratorISI_EEEEENSH_IJSG_SG_SG_EEES9_SI_JZNS1_25segmented_radix_sort_implINS0_14default_configELb0EPKdPdPKlPlN2at6native12_GLOBAL__N_18offset_tEEE10hipError_tPvRmT1_PNSt15iterator_traitsIS12_E10value_typeET2_T3_PNS13_IS18_E10value_typeET4_jRbjT5_S1E_jjP12ihipStream_tbEUljE_ZNSN_ISO_Lb0ESQ_SR_ST_SU_SY_EESZ_S10_S11_S12_S16_S17_S18_S1B_S1C_jS1D_jS1E_S1E_jjS1G_bEUljE0_EEESZ_S10_S11_S18_S1C_S1E_T6_T7_T9_mT8_S1G_bDpT10_ENKUlT_T0_E_clISt17integral_constantIbLb1EES1U_EEDaS1P_S1Q_EUlS1P_E_NS1_11comp_targetILNS1_3genE3ELNS1_11target_archE908ELNS1_3gpuE7ELNS1_3repE0EEENS1_30default_config_static_selectorELNS0_4arch9wavefront6targetE0EEEvS12_
		.amdhsa_group_segment_fixed_size 0
		.amdhsa_private_segment_fixed_size 0
		.amdhsa_kernarg_size 184
		.amdhsa_user_sgpr_count 2
		.amdhsa_user_sgpr_dispatch_ptr 0
		.amdhsa_user_sgpr_queue_ptr 0
		.amdhsa_user_sgpr_kernarg_segment_ptr 1
		.amdhsa_user_sgpr_dispatch_id 0
		.amdhsa_user_sgpr_private_segment_size 0
		.amdhsa_wavefront_size32 1
		.amdhsa_uses_dynamic_stack 0
		.amdhsa_enable_private_segment 0
		.amdhsa_system_sgpr_workgroup_id_x 1
		.amdhsa_system_sgpr_workgroup_id_y 0
		.amdhsa_system_sgpr_workgroup_id_z 0
		.amdhsa_system_sgpr_workgroup_info 0
		.amdhsa_system_vgpr_workitem_id 0
		.amdhsa_next_free_vgpr 1
		.amdhsa_next_free_sgpr 1
		.amdhsa_reserve_vcc 0
		.amdhsa_float_round_mode_32 0
		.amdhsa_float_round_mode_16_64 0
		.amdhsa_float_denorm_mode_32 3
		.amdhsa_float_denorm_mode_16_64 3
		.amdhsa_fp16_overflow 0
		.amdhsa_workgroup_processor_mode 1
		.amdhsa_memory_ordered 1
		.amdhsa_forward_progress 1
		.amdhsa_inst_pref_size 0
		.amdhsa_round_robin_scheduling 0
		.amdhsa_exception_fp_ieee_invalid_op 0
		.amdhsa_exception_fp_denorm_src 0
		.amdhsa_exception_fp_ieee_div_zero 0
		.amdhsa_exception_fp_ieee_overflow 0
		.amdhsa_exception_fp_ieee_underflow 0
		.amdhsa_exception_fp_ieee_inexact 0
		.amdhsa_exception_int_div_zero 0
	.end_amdhsa_kernel
	.section	.text._ZN7rocprim17ROCPRIM_400000_NS6detail17trampoline_kernelINS0_13select_configILj256ELj13ELNS0_17block_load_methodE3ELS4_3ELS4_3ELNS0_20block_scan_algorithmE0ELj4294967295EEENS1_25partition_config_selectorILNS1_17partition_subalgoE4EjNS0_10empty_typeEbEEZZNS1_14partition_implILS8_4ELb0ES6_15HIP_vector_typeIjLj2EENS0_17counting_iteratorIjlEEPS9_SG_NS0_5tupleIJPjSI_NS0_16reverse_iteratorISI_EEEEENSH_IJSG_SG_SG_EEES9_SI_JZNS1_25segmented_radix_sort_implINS0_14default_configELb0EPKdPdPKlPlN2at6native12_GLOBAL__N_18offset_tEEE10hipError_tPvRmT1_PNSt15iterator_traitsIS12_E10value_typeET2_T3_PNS13_IS18_E10value_typeET4_jRbjT5_S1E_jjP12ihipStream_tbEUljE_ZNSN_ISO_Lb0ESQ_SR_ST_SU_SY_EESZ_S10_S11_S12_S16_S17_S18_S1B_S1C_jS1D_jS1E_S1E_jjS1G_bEUljE0_EEESZ_S10_S11_S18_S1C_S1E_T6_T7_T9_mT8_S1G_bDpT10_ENKUlT_T0_E_clISt17integral_constantIbLb1EES1U_EEDaS1P_S1Q_EUlS1P_E_NS1_11comp_targetILNS1_3genE3ELNS1_11target_archE908ELNS1_3gpuE7ELNS1_3repE0EEENS1_30default_config_static_selectorELNS0_4arch9wavefront6targetE0EEEvS12_,"axG",@progbits,_ZN7rocprim17ROCPRIM_400000_NS6detail17trampoline_kernelINS0_13select_configILj256ELj13ELNS0_17block_load_methodE3ELS4_3ELS4_3ELNS0_20block_scan_algorithmE0ELj4294967295EEENS1_25partition_config_selectorILNS1_17partition_subalgoE4EjNS0_10empty_typeEbEEZZNS1_14partition_implILS8_4ELb0ES6_15HIP_vector_typeIjLj2EENS0_17counting_iteratorIjlEEPS9_SG_NS0_5tupleIJPjSI_NS0_16reverse_iteratorISI_EEEEENSH_IJSG_SG_SG_EEES9_SI_JZNS1_25segmented_radix_sort_implINS0_14default_configELb0EPKdPdPKlPlN2at6native12_GLOBAL__N_18offset_tEEE10hipError_tPvRmT1_PNSt15iterator_traitsIS12_E10value_typeET2_T3_PNS13_IS18_E10value_typeET4_jRbjT5_S1E_jjP12ihipStream_tbEUljE_ZNSN_ISO_Lb0ESQ_SR_ST_SU_SY_EESZ_S10_S11_S12_S16_S17_S18_S1B_S1C_jS1D_jS1E_S1E_jjS1G_bEUljE0_EEESZ_S10_S11_S18_S1C_S1E_T6_T7_T9_mT8_S1G_bDpT10_ENKUlT_T0_E_clISt17integral_constantIbLb1EES1U_EEDaS1P_S1Q_EUlS1P_E_NS1_11comp_targetILNS1_3genE3ELNS1_11target_archE908ELNS1_3gpuE7ELNS1_3repE0EEENS1_30default_config_static_selectorELNS0_4arch9wavefront6targetE0EEEvS12_,comdat
.Lfunc_end1168:
	.size	_ZN7rocprim17ROCPRIM_400000_NS6detail17trampoline_kernelINS0_13select_configILj256ELj13ELNS0_17block_load_methodE3ELS4_3ELS4_3ELNS0_20block_scan_algorithmE0ELj4294967295EEENS1_25partition_config_selectorILNS1_17partition_subalgoE4EjNS0_10empty_typeEbEEZZNS1_14partition_implILS8_4ELb0ES6_15HIP_vector_typeIjLj2EENS0_17counting_iteratorIjlEEPS9_SG_NS0_5tupleIJPjSI_NS0_16reverse_iteratorISI_EEEEENSH_IJSG_SG_SG_EEES9_SI_JZNS1_25segmented_radix_sort_implINS0_14default_configELb0EPKdPdPKlPlN2at6native12_GLOBAL__N_18offset_tEEE10hipError_tPvRmT1_PNSt15iterator_traitsIS12_E10value_typeET2_T3_PNS13_IS18_E10value_typeET4_jRbjT5_S1E_jjP12ihipStream_tbEUljE_ZNSN_ISO_Lb0ESQ_SR_ST_SU_SY_EESZ_S10_S11_S12_S16_S17_S18_S1B_S1C_jS1D_jS1E_S1E_jjS1G_bEUljE0_EEESZ_S10_S11_S18_S1C_S1E_T6_T7_T9_mT8_S1G_bDpT10_ENKUlT_T0_E_clISt17integral_constantIbLb1EES1U_EEDaS1P_S1Q_EUlS1P_E_NS1_11comp_targetILNS1_3genE3ELNS1_11target_archE908ELNS1_3gpuE7ELNS1_3repE0EEENS1_30default_config_static_selectorELNS0_4arch9wavefront6targetE0EEEvS12_, .Lfunc_end1168-_ZN7rocprim17ROCPRIM_400000_NS6detail17trampoline_kernelINS0_13select_configILj256ELj13ELNS0_17block_load_methodE3ELS4_3ELS4_3ELNS0_20block_scan_algorithmE0ELj4294967295EEENS1_25partition_config_selectorILNS1_17partition_subalgoE4EjNS0_10empty_typeEbEEZZNS1_14partition_implILS8_4ELb0ES6_15HIP_vector_typeIjLj2EENS0_17counting_iteratorIjlEEPS9_SG_NS0_5tupleIJPjSI_NS0_16reverse_iteratorISI_EEEEENSH_IJSG_SG_SG_EEES9_SI_JZNS1_25segmented_radix_sort_implINS0_14default_configELb0EPKdPdPKlPlN2at6native12_GLOBAL__N_18offset_tEEE10hipError_tPvRmT1_PNSt15iterator_traitsIS12_E10value_typeET2_T3_PNS13_IS18_E10value_typeET4_jRbjT5_S1E_jjP12ihipStream_tbEUljE_ZNSN_ISO_Lb0ESQ_SR_ST_SU_SY_EESZ_S10_S11_S12_S16_S17_S18_S1B_S1C_jS1D_jS1E_S1E_jjS1G_bEUljE0_EEESZ_S10_S11_S18_S1C_S1E_T6_T7_T9_mT8_S1G_bDpT10_ENKUlT_T0_E_clISt17integral_constantIbLb1EES1U_EEDaS1P_S1Q_EUlS1P_E_NS1_11comp_targetILNS1_3genE3ELNS1_11target_archE908ELNS1_3gpuE7ELNS1_3repE0EEENS1_30default_config_static_selectorELNS0_4arch9wavefront6targetE0EEEvS12_
                                        ; -- End function
	.set _ZN7rocprim17ROCPRIM_400000_NS6detail17trampoline_kernelINS0_13select_configILj256ELj13ELNS0_17block_load_methodE3ELS4_3ELS4_3ELNS0_20block_scan_algorithmE0ELj4294967295EEENS1_25partition_config_selectorILNS1_17partition_subalgoE4EjNS0_10empty_typeEbEEZZNS1_14partition_implILS8_4ELb0ES6_15HIP_vector_typeIjLj2EENS0_17counting_iteratorIjlEEPS9_SG_NS0_5tupleIJPjSI_NS0_16reverse_iteratorISI_EEEEENSH_IJSG_SG_SG_EEES9_SI_JZNS1_25segmented_radix_sort_implINS0_14default_configELb0EPKdPdPKlPlN2at6native12_GLOBAL__N_18offset_tEEE10hipError_tPvRmT1_PNSt15iterator_traitsIS12_E10value_typeET2_T3_PNS13_IS18_E10value_typeET4_jRbjT5_S1E_jjP12ihipStream_tbEUljE_ZNSN_ISO_Lb0ESQ_SR_ST_SU_SY_EESZ_S10_S11_S12_S16_S17_S18_S1B_S1C_jS1D_jS1E_S1E_jjS1G_bEUljE0_EEESZ_S10_S11_S18_S1C_S1E_T6_T7_T9_mT8_S1G_bDpT10_ENKUlT_T0_E_clISt17integral_constantIbLb1EES1U_EEDaS1P_S1Q_EUlS1P_E_NS1_11comp_targetILNS1_3genE3ELNS1_11target_archE908ELNS1_3gpuE7ELNS1_3repE0EEENS1_30default_config_static_selectorELNS0_4arch9wavefront6targetE0EEEvS12_.num_vgpr, 0
	.set _ZN7rocprim17ROCPRIM_400000_NS6detail17trampoline_kernelINS0_13select_configILj256ELj13ELNS0_17block_load_methodE3ELS4_3ELS4_3ELNS0_20block_scan_algorithmE0ELj4294967295EEENS1_25partition_config_selectorILNS1_17partition_subalgoE4EjNS0_10empty_typeEbEEZZNS1_14partition_implILS8_4ELb0ES6_15HIP_vector_typeIjLj2EENS0_17counting_iteratorIjlEEPS9_SG_NS0_5tupleIJPjSI_NS0_16reverse_iteratorISI_EEEEENSH_IJSG_SG_SG_EEES9_SI_JZNS1_25segmented_radix_sort_implINS0_14default_configELb0EPKdPdPKlPlN2at6native12_GLOBAL__N_18offset_tEEE10hipError_tPvRmT1_PNSt15iterator_traitsIS12_E10value_typeET2_T3_PNS13_IS18_E10value_typeET4_jRbjT5_S1E_jjP12ihipStream_tbEUljE_ZNSN_ISO_Lb0ESQ_SR_ST_SU_SY_EESZ_S10_S11_S12_S16_S17_S18_S1B_S1C_jS1D_jS1E_S1E_jjS1G_bEUljE0_EEESZ_S10_S11_S18_S1C_S1E_T6_T7_T9_mT8_S1G_bDpT10_ENKUlT_T0_E_clISt17integral_constantIbLb1EES1U_EEDaS1P_S1Q_EUlS1P_E_NS1_11comp_targetILNS1_3genE3ELNS1_11target_archE908ELNS1_3gpuE7ELNS1_3repE0EEENS1_30default_config_static_selectorELNS0_4arch9wavefront6targetE0EEEvS12_.num_agpr, 0
	.set _ZN7rocprim17ROCPRIM_400000_NS6detail17trampoline_kernelINS0_13select_configILj256ELj13ELNS0_17block_load_methodE3ELS4_3ELS4_3ELNS0_20block_scan_algorithmE0ELj4294967295EEENS1_25partition_config_selectorILNS1_17partition_subalgoE4EjNS0_10empty_typeEbEEZZNS1_14partition_implILS8_4ELb0ES6_15HIP_vector_typeIjLj2EENS0_17counting_iteratorIjlEEPS9_SG_NS0_5tupleIJPjSI_NS0_16reverse_iteratorISI_EEEEENSH_IJSG_SG_SG_EEES9_SI_JZNS1_25segmented_radix_sort_implINS0_14default_configELb0EPKdPdPKlPlN2at6native12_GLOBAL__N_18offset_tEEE10hipError_tPvRmT1_PNSt15iterator_traitsIS12_E10value_typeET2_T3_PNS13_IS18_E10value_typeET4_jRbjT5_S1E_jjP12ihipStream_tbEUljE_ZNSN_ISO_Lb0ESQ_SR_ST_SU_SY_EESZ_S10_S11_S12_S16_S17_S18_S1B_S1C_jS1D_jS1E_S1E_jjS1G_bEUljE0_EEESZ_S10_S11_S18_S1C_S1E_T6_T7_T9_mT8_S1G_bDpT10_ENKUlT_T0_E_clISt17integral_constantIbLb1EES1U_EEDaS1P_S1Q_EUlS1P_E_NS1_11comp_targetILNS1_3genE3ELNS1_11target_archE908ELNS1_3gpuE7ELNS1_3repE0EEENS1_30default_config_static_selectorELNS0_4arch9wavefront6targetE0EEEvS12_.numbered_sgpr, 0
	.set _ZN7rocprim17ROCPRIM_400000_NS6detail17trampoline_kernelINS0_13select_configILj256ELj13ELNS0_17block_load_methodE3ELS4_3ELS4_3ELNS0_20block_scan_algorithmE0ELj4294967295EEENS1_25partition_config_selectorILNS1_17partition_subalgoE4EjNS0_10empty_typeEbEEZZNS1_14partition_implILS8_4ELb0ES6_15HIP_vector_typeIjLj2EENS0_17counting_iteratorIjlEEPS9_SG_NS0_5tupleIJPjSI_NS0_16reverse_iteratorISI_EEEEENSH_IJSG_SG_SG_EEES9_SI_JZNS1_25segmented_radix_sort_implINS0_14default_configELb0EPKdPdPKlPlN2at6native12_GLOBAL__N_18offset_tEEE10hipError_tPvRmT1_PNSt15iterator_traitsIS12_E10value_typeET2_T3_PNS13_IS18_E10value_typeET4_jRbjT5_S1E_jjP12ihipStream_tbEUljE_ZNSN_ISO_Lb0ESQ_SR_ST_SU_SY_EESZ_S10_S11_S12_S16_S17_S18_S1B_S1C_jS1D_jS1E_S1E_jjS1G_bEUljE0_EEESZ_S10_S11_S18_S1C_S1E_T6_T7_T9_mT8_S1G_bDpT10_ENKUlT_T0_E_clISt17integral_constantIbLb1EES1U_EEDaS1P_S1Q_EUlS1P_E_NS1_11comp_targetILNS1_3genE3ELNS1_11target_archE908ELNS1_3gpuE7ELNS1_3repE0EEENS1_30default_config_static_selectorELNS0_4arch9wavefront6targetE0EEEvS12_.num_named_barrier, 0
	.set _ZN7rocprim17ROCPRIM_400000_NS6detail17trampoline_kernelINS0_13select_configILj256ELj13ELNS0_17block_load_methodE3ELS4_3ELS4_3ELNS0_20block_scan_algorithmE0ELj4294967295EEENS1_25partition_config_selectorILNS1_17partition_subalgoE4EjNS0_10empty_typeEbEEZZNS1_14partition_implILS8_4ELb0ES6_15HIP_vector_typeIjLj2EENS0_17counting_iteratorIjlEEPS9_SG_NS0_5tupleIJPjSI_NS0_16reverse_iteratorISI_EEEEENSH_IJSG_SG_SG_EEES9_SI_JZNS1_25segmented_radix_sort_implINS0_14default_configELb0EPKdPdPKlPlN2at6native12_GLOBAL__N_18offset_tEEE10hipError_tPvRmT1_PNSt15iterator_traitsIS12_E10value_typeET2_T3_PNS13_IS18_E10value_typeET4_jRbjT5_S1E_jjP12ihipStream_tbEUljE_ZNSN_ISO_Lb0ESQ_SR_ST_SU_SY_EESZ_S10_S11_S12_S16_S17_S18_S1B_S1C_jS1D_jS1E_S1E_jjS1G_bEUljE0_EEESZ_S10_S11_S18_S1C_S1E_T6_T7_T9_mT8_S1G_bDpT10_ENKUlT_T0_E_clISt17integral_constantIbLb1EES1U_EEDaS1P_S1Q_EUlS1P_E_NS1_11comp_targetILNS1_3genE3ELNS1_11target_archE908ELNS1_3gpuE7ELNS1_3repE0EEENS1_30default_config_static_selectorELNS0_4arch9wavefront6targetE0EEEvS12_.private_seg_size, 0
	.set _ZN7rocprim17ROCPRIM_400000_NS6detail17trampoline_kernelINS0_13select_configILj256ELj13ELNS0_17block_load_methodE3ELS4_3ELS4_3ELNS0_20block_scan_algorithmE0ELj4294967295EEENS1_25partition_config_selectorILNS1_17partition_subalgoE4EjNS0_10empty_typeEbEEZZNS1_14partition_implILS8_4ELb0ES6_15HIP_vector_typeIjLj2EENS0_17counting_iteratorIjlEEPS9_SG_NS0_5tupleIJPjSI_NS0_16reverse_iteratorISI_EEEEENSH_IJSG_SG_SG_EEES9_SI_JZNS1_25segmented_radix_sort_implINS0_14default_configELb0EPKdPdPKlPlN2at6native12_GLOBAL__N_18offset_tEEE10hipError_tPvRmT1_PNSt15iterator_traitsIS12_E10value_typeET2_T3_PNS13_IS18_E10value_typeET4_jRbjT5_S1E_jjP12ihipStream_tbEUljE_ZNSN_ISO_Lb0ESQ_SR_ST_SU_SY_EESZ_S10_S11_S12_S16_S17_S18_S1B_S1C_jS1D_jS1E_S1E_jjS1G_bEUljE0_EEESZ_S10_S11_S18_S1C_S1E_T6_T7_T9_mT8_S1G_bDpT10_ENKUlT_T0_E_clISt17integral_constantIbLb1EES1U_EEDaS1P_S1Q_EUlS1P_E_NS1_11comp_targetILNS1_3genE3ELNS1_11target_archE908ELNS1_3gpuE7ELNS1_3repE0EEENS1_30default_config_static_selectorELNS0_4arch9wavefront6targetE0EEEvS12_.uses_vcc, 0
	.set _ZN7rocprim17ROCPRIM_400000_NS6detail17trampoline_kernelINS0_13select_configILj256ELj13ELNS0_17block_load_methodE3ELS4_3ELS4_3ELNS0_20block_scan_algorithmE0ELj4294967295EEENS1_25partition_config_selectorILNS1_17partition_subalgoE4EjNS0_10empty_typeEbEEZZNS1_14partition_implILS8_4ELb0ES6_15HIP_vector_typeIjLj2EENS0_17counting_iteratorIjlEEPS9_SG_NS0_5tupleIJPjSI_NS0_16reverse_iteratorISI_EEEEENSH_IJSG_SG_SG_EEES9_SI_JZNS1_25segmented_radix_sort_implINS0_14default_configELb0EPKdPdPKlPlN2at6native12_GLOBAL__N_18offset_tEEE10hipError_tPvRmT1_PNSt15iterator_traitsIS12_E10value_typeET2_T3_PNS13_IS18_E10value_typeET4_jRbjT5_S1E_jjP12ihipStream_tbEUljE_ZNSN_ISO_Lb0ESQ_SR_ST_SU_SY_EESZ_S10_S11_S12_S16_S17_S18_S1B_S1C_jS1D_jS1E_S1E_jjS1G_bEUljE0_EEESZ_S10_S11_S18_S1C_S1E_T6_T7_T9_mT8_S1G_bDpT10_ENKUlT_T0_E_clISt17integral_constantIbLb1EES1U_EEDaS1P_S1Q_EUlS1P_E_NS1_11comp_targetILNS1_3genE3ELNS1_11target_archE908ELNS1_3gpuE7ELNS1_3repE0EEENS1_30default_config_static_selectorELNS0_4arch9wavefront6targetE0EEEvS12_.uses_flat_scratch, 0
	.set _ZN7rocprim17ROCPRIM_400000_NS6detail17trampoline_kernelINS0_13select_configILj256ELj13ELNS0_17block_load_methodE3ELS4_3ELS4_3ELNS0_20block_scan_algorithmE0ELj4294967295EEENS1_25partition_config_selectorILNS1_17partition_subalgoE4EjNS0_10empty_typeEbEEZZNS1_14partition_implILS8_4ELb0ES6_15HIP_vector_typeIjLj2EENS0_17counting_iteratorIjlEEPS9_SG_NS0_5tupleIJPjSI_NS0_16reverse_iteratorISI_EEEEENSH_IJSG_SG_SG_EEES9_SI_JZNS1_25segmented_radix_sort_implINS0_14default_configELb0EPKdPdPKlPlN2at6native12_GLOBAL__N_18offset_tEEE10hipError_tPvRmT1_PNSt15iterator_traitsIS12_E10value_typeET2_T3_PNS13_IS18_E10value_typeET4_jRbjT5_S1E_jjP12ihipStream_tbEUljE_ZNSN_ISO_Lb0ESQ_SR_ST_SU_SY_EESZ_S10_S11_S12_S16_S17_S18_S1B_S1C_jS1D_jS1E_S1E_jjS1G_bEUljE0_EEESZ_S10_S11_S18_S1C_S1E_T6_T7_T9_mT8_S1G_bDpT10_ENKUlT_T0_E_clISt17integral_constantIbLb1EES1U_EEDaS1P_S1Q_EUlS1P_E_NS1_11comp_targetILNS1_3genE3ELNS1_11target_archE908ELNS1_3gpuE7ELNS1_3repE0EEENS1_30default_config_static_selectorELNS0_4arch9wavefront6targetE0EEEvS12_.has_dyn_sized_stack, 0
	.set _ZN7rocprim17ROCPRIM_400000_NS6detail17trampoline_kernelINS0_13select_configILj256ELj13ELNS0_17block_load_methodE3ELS4_3ELS4_3ELNS0_20block_scan_algorithmE0ELj4294967295EEENS1_25partition_config_selectorILNS1_17partition_subalgoE4EjNS0_10empty_typeEbEEZZNS1_14partition_implILS8_4ELb0ES6_15HIP_vector_typeIjLj2EENS0_17counting_iteratorIjlEEPS9_SG_NS0_5tupleIJPjSI_NS0_16reverse_iteratorISI_EEEEENSH_IJSG_SG_SG_EEES9_SI_JZNS1_25segmented_radix_sort_implINS0_14default_configELb0EPKdPdPKlPlN2at6native12_GLOBAL__N_18offset_tEEE10hipError_tPvRmT1_PNSt15iterator_traitsIS12_E10value_typeET2_T3_PNS13_IS18_E10value_typeET4_jRbjT5_S1E_jjP12ihipStream_tbEUljE_ZNSN_ISO_Lb0ESQ_SR_ST_SU_SY_EESZ_S10_S11_S12_S16_S17_S18_S1B_S1C_jS1D_jS1E_S1E_jjS1G_bEUljE0_EEESZ_S10_S11_S18_S1C_S1E_T6_T7_T9_mT8_S1G_bDpT10_ENKUlT_T0_E_clISt17integral_constantIbLb1EES1U_EEDaS1P_S1Q_EUlS1P_E_NS1_11comp_targetILNS1_3genE3ELNS1_11target_archE908ELNS1_3gpuE7ELNS1_3repE0EEENS1_30default_config_static_selectorELNS0_4arch9wavefront6targetE0EEEvS12_.has_recursion, 0
	.set _ZN7rocprim17ROCPRIM_400000_NS6detail17trampoline_kernelINS0_13select_configILj256ELj13ELNS0_17block_load_methodE3ELS4_3ELS4_3ELNS0_20block_scan_algorithmE0ELj4294967295EEENS1_25partition_config_selectorILNS1_17partition_subalgoE4EjNS0_10empty_typeEbEEZZNS1_14partition_implILS8_4ELb0ES6_15HIP_vector_typeIjLj2EENS0_17counting_iteratorIjlEEPS9_SG_NS0_5tupleIJPjSI_NS0_16reverse_iteratorISI_EEEEENSH_IJSG_SG_SG_EEES9_SI_JZNS1_25segmented_radix_sort_implINS0_14default_configELb0EPKdPdPKlPlN2at6native12_GLOBAL__N_18offset_tEEE10hipError_tPvRmT1_PNSt15iterator_traitsIS12_E10value_typeET2_T3_PNS13_IS18_E10value_typeET4_jRbjT5_S1E_jjP12ihipStream_tbEUljE_ZNSN_ISO_Lb0ESQ_SR_ST_SU_SY_EESZ_S10_S11_S12_S16_S17_S18_S1B_S1C_jS1D_jS1E_S1E_jjS1G_bEUljE0_EEESZ_S10_S11_S18_S1C_S1E_T6_T7_T9_mT8_S1G_bDpT10_ENKUlT_T0_E_clISt17integral_constantIbLb1EES1U_EEDaS1P_S1Q_EUlS1P_E_NS1_11comp_targetILNS1_3genE3ELNS1_11target_archE908ELNS1_3gpuE7ELNS1_3repE0EEENS1_30default_config_static_selectorELNS0_4arch9wavefront6targetE0EEEvS12_.has_indirect_call, 0
	.section	.AMDGPU.csdata,"",@progbits
; Kernel info:
; codeLenInByte = 0
; TotalNumSgprs: 0
; NumVgprs: 0
; ScratchSize: 0
; MemoryBound: 0
; FloatMode: 240
; IeeeMode: 1
; LDSByteSize: 0 bytes/workgroup (compile time only)
; SGPRBlocks: 0
; VGPRBlocks: 0
; NumSGPRsForWavesPerEU: 1
; NumVGPRsForWavesPerEU: 1
; Occupancy: 16
; WaveLimiterHint : 0
; COMPUTE_PGM_RSRC2:SCRATCH_EN: 0
; COMPUTE_PGM_RSRC2:USER_SGPR: 2
; COMPUTE_PGM_RSRC2:TRAP_HANDLER: 0
; COMPUTE_PGM_RSRC2:TGID_X_EN: 1
; COMPUTE_PGM_RSRC2:TGID_Y_EN: 0
; COMPUTE_PGM_RSRC2:TGID_Z_EN: 0
; COMPUTE_PGM_RSRC2:TIDIG_COMP_CNT: 0
	.section	.text._ZN7rocprim17ROCPRIM_400000_NS6detail17trampoline_kernelINS0_13select_configILj256ELj13ELNS0_17block_load_methodE3ELS4_3ELS4_3ELNS0_20block_scan_algorithmE0ELj4294967295EEENS1_25partition_config_selectorILNS1_17partition_subalgoE4EjNS0_10empty_typeEbEEZZNS1_14partition_implILS8_4ELb0ES6_15HIP_vector_typeIjLj2EENS0_17counting_iteratorIjlEEPS9_SG_NS0_5tupleIJPjSI_NS0_16reverse_iteratorISI_EEEEENSH_IJSG_SG_SG_EEES9_SI_JZNS1_25segmented_radix_sort_implINS0_14default_configELb0EPKdPdPKlPlN2at6native12_GLOBAL__N_18offset_tEEE10hipError_tPvRmT1_PNSt15iterator_traitsIS12_E10value_typeET2_T3_PNS13_IS18_E10value_typeET4_jRbjT5_S1E_jjP12ihipStream_tbEUljE_ZNSN_ISO_Lb0ESQ_SR_ST_SU_SY_EESZ_S10_S11_S12_S16_S17_S18_S1B_S1C_jS1D_jS1E_S1E_jjS1G_bEUljE0_EEESZ_S10_S11_S18_S1C_S1E_T6_T7_T9_mT8_S1G_bDpT10_ENKUlT_T0_E_clISt17integral_constantIbLb1EES1U_EEDaS1P_S1Q_EUlS1P_E_NS1_11comp_targetILNS1_3genE2ELNS1_11target_archE906ELNS1_3gpuE6ELNS1_3repE0EEENS1_30default_config_static_selectorELNS0_4arch9wavefront6targetE0EEEvS12_,"axG",@progbits,_ZN7rocprim17ROCPRIM_400000_NS6detail17trampoline_kernelINS0_13select_configILj256ELj13ELNS0_17block_load_methodE3ELS4_3ELS4_3ELNS0_20block_scan_algorithmE0ELj4294967295EEENS1_25partition_config_selectorILNS1_17partition_subalgoE4EjNS0_10empty_typeEbEEZZNS1_14partition_implILS8_4ELb0ES6_15HIP_vector_typeIjLj2EENS0_17counting_iteratorIjlEEPS9_SG_NS0_5tupleIJPjSI_NS0_16reverse_iteratorISI_EEEEENSH_IJSG_SG_SG_EEES9_SI_JZNS1_25segmented_radix_sort_implINS0_14default_configELb0EPKdPdPKlPlN2at6native12_GLOBAL__N_18offset_tEEE10hipError_tPvRmT1_PNSt15iterator_traitsIS12_E10value_typeET2_T3_PNS13_IS18_E10value_typeET4_jRbjT5_S1E_jjP12ihipStream_tbEUljE_ZNSN_ISO_Lb0ESQ_SR_ST_SU_SY_EESZ_S10_S11_S12_S16_S17_S18_S1B_S1C_jS1D_jS1E_S1E_jjS1G_bEUljE0_EEESZ_S10_S11_S18_S1C_S1E_T6_T7_T9_mT8_S1G_bDpT10_ENKUlT_T0_E_clISt17integral_constantIbLb1EES1U_EEDaS1P_S1Q_EUlS1P_E_NS1_11comp_targetILNS1_3genE2ELNS1_11target_archE906ELNS1_3gpuE6ELNS1_3repE0EEENS1_30default_config_static_selectorELNS0_4arch9wavefront6targetE0EEEvS12_,comdat
	.globl	_ZN7rocprim17ROCPRIM_400000_NS6detail17trampoline_kernelINS0_13select_configILj256ELj13ELNS0_17block_load_methodE3ELS4_3ELS4_3ELNS0_20block_scan_algorithmE0ELj4294967295EEENS1_25partition_config_selectorILNS1_17partition_subalgoE4EjNS0_10empty_typeEbEEZZNS1_14partition_implILS8_4ELb0ES6_15HIP_vector_typeIjLj2EENS0_17counting_iteratorIjlEEPS9_SG_NS0_5tupleIJPjSI_NS0_16reverse_iteratorISI_EEEEENSH_IJSG_SG_SG_EEES9_SI_JZNS1_25segmented_radix_sort_implINS0_14default_configELb0EPKdPdPKlPlN2at6native12_GLOBAL__N_18offset_tEEE10hipError_tPvRmT1_PNSt15iterator_traitsIS12_E10value_typeET2_T3_PNS13_IS18_E10value_typeET4_jRbjT5_S1E_jjP12ihipStream_tbEUljE_ZNSN_ISO_Lb0ESQ_SR_ST_SU_SY_EESZ_S10_S11_S12_S16_S17_S18_S1B_S1C_jS1D_jS1E_S1E_jjS1G_bEUljE0_EEESZ_S10_S11_S18_S1C_S1E_T6_T7_T9_mT8_S1G_bDpT10_ENKUlT_T0_E_clISt17integral_constantIbLb1EES1U_EEDaS1P_S1Q_EUlS1P_E_NS1_11comp_targetILNS1_3genE2ELNS1_11target_archE906ELNS1_3gpuE6ELNS1_3repE0EEENS1_30default_config_static_selectorELNS0_4arch9wavefront6targetE0EEEvS12_ ; -- Begin function _ZN7rocprim17ROCPRIM_400000_NS6detail17trampoline_kernelINS0_13select_configILj256ELj13ELNS0_17block_load_methodE3ELS4_3ELS4_3ELNS0_20block_scan_algorithmE0ELj4294967295EEENS1_25partition_config_selectorILNS1_17partition_subalgoE4EjNS0_10empty_typeEbEEZZNS1_14partition_implILS8_4ELb0ES6_15HIP_vector_typeIjLj2EENS0_17counting_iteratorIjlEEPS9_SG_NS0_5tupleIJPjSI_NS0_16reverse_iteratorISI_EEEEENSH_IJSG_SG_SG_EEES9_SI_JZNS1_25segmented_radix_sort_implINS0_14default_configELb0EPKdPdPKlPlN2at6native12_GLOBAL__N_18offset_tEEE10hipError_tPvRmT1_PNSt15iterator_traitsIS12_E10value_typeET2_T3_PNS13_IS18_E10value_typeET4_jRbjT5_S1E_jjP12ihipStream_tbEUljE_ZNSN_ISO_Lb0ESQ_SR_ST_SU_SY_EESZ_S10_S11_S12_S16_S17_S18_S1B_S1C_jS1D_jS1E_S1E_jjS1G_bEUljE0_EEESZ_S10_S11_S18_S1C_S1E_T6_T7_T9_mT8_S1G_bDpT10_ENKUlT_T0_E_clISt17integral_constantIbLb1EES1U_EEDaS1P_S1Q_EUlS1P_E_NS1_11comp_targetILNS1_3genE2ELNS1_11target_archE906ELNS1_3gpuE6ELNS1_3repE0EEENS1_30default_config_static_selectorELNS0_4arch9wavefront6targetE0EEEvS12_
	.p2align	8
	.type	_ZN7rocprim17ROCPRIM_400000_NS6detail17trampoline_kernelINS0_13select_configILj256ELj13ELNS0_17block_load_methodE3ELS4_3ELS4_3ELNS0_20block_scan_algorithmE0ELj4294967295EEENS1_25partition_config_selectorILNS1_17partition_subalgoE4EjNS0_10empty_typeEbEEZZNS1_14partition_implILS8_4ELb0ES6_15HIP_vector_typeIjLj2EENS0_17counting_iteratorIjlEEPS9_SG_NS0_5tupleIJPjSI_NS0_16reverse_iteratorISI_EEEEENSH_IJSG_SG_SG_EEES9_SI_JZNS1_25segmented_radix_sort_implINS0_14default_configELb0EPKdPdPKlPlN2at6native12_GLOBAL__N_18offset_tEEE10hipError_tPvRmT1_PNSt15iterator_traitsIS12_E10value_typeET2_T3_PNS13_IS18_E10value_typeET4_jRbjT5_S1E_jjP12ihipStream_tbEUljE_ZNSN_ISO_Lb0ESQ_SR_ST_SU_SY_EESZ_S10_S11_S12_S16_S17_S18_S1B_S1C_jS1D_jS1E_S1E_jjS1G_bEUljE0_EEESZ_S10_S11_S18_S1C_S1E_T6_T7_T9_mT8_S1G_bDpT10_ENKUlT_T0_E_clISt17integral_constantIbLb1EES1U_EEDaS1P_S1Q_EUlS1P_E_NS1_11comp_targetILNS1_3genE2ELNS1_11target_archE906ELNS1_3gpuE6ELNS1_3repE0EEENS1_30default_config_static_selectorELNS0_4arch9wavefront6targetE0EEEvS12_,@function
_ZN7rocprim17ROCPRIM_400000_NS6detail17trampoline_kernelINS0_13select_configILj256ELj13ELNS0_17block_load_methodE3ELS4_3ELS4_3ELNS0_20block_scan_algorithmE0ELj4294967295EEENS1_25partition_config_selectorILNS1_17partition_subalgoE4EjNS0_10empty_typeEbEEZZNS1_14partition_implILS8_4ELb0ES6_15HIP_vector_typeIjLj2EENS0_17counting_iteratorIjlEEPS9_SG_NS0_5tupleIJPjSI_NS0_16reverse_iteratorISI_EEEEENSH_IJSG_SG_SG_EEES9_SI_JZNS1_25segmented_radix_sort_implINS0_14default_configELb0EPKdPdPKlPlN2at6native12_GLOBAL__N_18offset_tEEE10hipError_tPvRmT1_PNSt15iterator_traitsIS12_E10value_typeET2_T3_PNS13_IS18_E10value_typeET4_jRbjT5_S1E_jjP12ihipStream_tbEUljE_ZNSN_ISO_Lb0ESQ_SR_ST_SU_SY_EESZ_S10_S11_S12_S16_S17_S18_S1B_S1C_jS1D_jS1E_S1E_jjS1G_bEUljE0_EEESZ_S10_S11_S18_S1C_S1E_T6_T7_T9_mT8_S1G_bDpT10_ENKUlT_T0_E_clISt17integral_constantIbLb1EES1U_EEDaS1P_S1Q_EUlS1P_E_NS1_11comp_targetILNS1_3genE2ELNS1_11target_archE906ELNS1_3gpuE6ELNS1_3repE0EEENS1_30default_config_static_selectorELNS0_4arch9wavefront6targetE0EEEvS12_: ; @_ZN7rocprim17ROCPRIM_400000_NS6detail17trampoline_kernelINS0_13select_configILj256ELj13ELNS0_17block_load_methodE3ELS4_3ELS4_3ELNS0_20block_scan_algorithmE0ELj4294967295EEENS1_25partition_config_selectorILNS1_17partition_subalgoE4EjNS0_10empty_typeEbEEZZNS1_14partition_implILS8_4ELb0ES6_15HIP_vector_typeIjLj2EENS0_17counting_iteratorIjlEEPS9_SG_NS0_5tupleIJPjSI_NS0_16reverse_iteratorISI_EEEEENSH_IJSG_SG_SG_EEES9_SI_JZNS1_25segmented_radix_sort_implINS0_14default_configELb0EPKdPdPKlPlN2at6native12_GLOBAL__N_18offset_tEEE10hipError_tPvRmT1_PNSt15iterator_traitsIS12_E10value_typeET2_T3_PNS13_IS18_E10value_typeET4_jRbjT5_S1E_jjP12ihipStream_tbEUljE_ZNSN_ISO_Lb0ESQ_SR_ST_SU_SY_EESZ_S10_S11_S12_S16_S17_S18_S1B_S1C_jS1D_jS1E_S1E_jjS1G_bEUljE0_EEESZ_S10_S11_S18_S1C_S1E_T6_T7_T9_mT8_S1G_bDpT10_ENKUlT_T0_E_clISt17integral_constantIbLb1EES1U_EEDaS1P_S1Q_EUlS1P_E_NS1_11comp_targetILNS1_3genE2ELNS1_11target_archE906ELNS1_3gpuE6ELNS1_3repE0EEENS1_30default_config_static_selectorELNS0_4arch9wavefront6targetE0EEEvS12_
; %bb.0:
	.section	.rodata,"a",@progbits
	.p2align	6, 0x0
	.amdhsa_kernel _ZN7rocprim17ROCPRIM_400000_NS6detail17trampoline_kernelINS0_13select_configILj256ELj13ELNS0_17block_load_methodE3ELS4_3ELS4_3ELNS0_20block_scan_algorithmE0ELj4294967295EEENS1_25partition_config_selectorILNS1_17partition_subalgoE4EjNS0_10empty_typeEbEEZZNS1_14partition_implILS8_4ELb0ES6_15HIP_vector_typeIjLj2EENS0_17counting_iteratorIjlEEPS9_SG_NS0_5tupleIJPjSI_NS0_16reverse_iteratorISI_EEEEENSH_IJSG_SG_SG_EEES9_SI_JZNS1_25segmented_radix_sort_implINS0_14default_configELb0EPKdPdPKlPlN2at6native12_GLOBAL__N_18offset_tEEE10hipError_tPvRmT1_PNSt15iterator_traitsIS12_E10value_typeET2_T3_PNS13_IS18_E10value_typeET4_jRbjT5_S1E_jjP12ihipStream_tbEUljE_ZNSN_ISO_Lb0ESQ_SR_ST_SU_SY_EESZ_S10_S11_S12_S16_S17_S18_S1B_S1C_jS1D_jS1E_S1E_jjS1G_bEUljE0_EEESZ_S10_S11_S18_S1C_S1E_T6_T7_T9_mT8_S1G_bDpT10_ENKUlT_T0_E_clISt17integral_constantIbLb1EES1U_EEDaS1P_S1Q_EUlS1P_E_NS1_11comp_targetILNS1_3genE2ELNS1_11target_archE906ELNS1_3gpuE6ELNS1_3repE0EEENS1_30default_config_static_selectorELNS0_4arch9wavefront6targetE0EEEvS12_
		.amdhsa_group_segment_fixed_size 0
		.amdhsa_private_segment_fixed_size 0
		.amdhsa_kernarg_size 184
		.amdhsa_user_sgpr_count 2
		.amdhsa_user_sgpr_dispatch_ptr 0
		.amdhsa_user_sgpr_queue_ptr 0
		.amdhsa_user_sgpr_kernarg_segment_ptr 1
		.amdhsa_user_sgpr_dispatch_id 0
		.amdhsa_user_sgpr_private_segment_size 0
		.amdhsa_wavefront_size32 1
		.amdhsa_uses_dynamic_stack 0
		.amdhsa_enable_private_segment 0
		.amdhsa_system_sgpr_workgroup_id_x 1
		.amdhsa_system_sgpr_workgroup_id_y 0
		.amdhsa_system_sgpr_workgroup_id_z 0
		.amdhsa_system_sgpr_workgroup_info 0
		.amdhsa_system_vgpr_workitem_id 0
		.amdhsa_next_free_vgpr 1
		.amdhsa_next_free_sgpr 1
		.amdhsa_reserve_vcc 0
		.amdhsa_float_round_mode_32 0
		.amdhsa_float_round_mode_16_64 0
		.amdhsa_float_denorm_mode_32 3
		.amdhsa_float_denorm_mode_16_64 3
		.amdhsa_fp16_overflow 0
		.amdhsa_workgroup_processor_mode 1
		.amdhsa_memory_ordered 1
		.amdhsa_forward_progress 1
		.amdhsa_inst_pref_size 0
		.amdhsa_round_robin_scheduling 0
		.amdhsa_exception_fp_ieee_invalid_op 0
		.amdhsa_exception_fp_denorm_src 0
		.amdhsa_exception_fp_ieee_div_zero 0
		.amdhsa_exception_fp_ieee_overflow 0
		.amdhsa_exception_fp_ieee_underflow 0
		.amdhsa_exception_fp_ieee_inexact 0
		.amdhsa_exception_int_div_zero 0
	.end_amdhsa_kernel
	.section	.text._ZN7rocprim17ROCPRIM_400000_NS6detail17trampoline_kernelINS0_13select_configILj256ELj13ELNS0_17block_load_methodE3ELS4_3ELS4_3ELNS0_20block_scan_algorithmE0ELj4294967295EEENS1_25partition_config_selectorILNS1_17partition_subalgoE4EjNS0_10empty_typeEbEEZZNS1_14partition_implILS8_4ELb0ES6_15HIP_vector_typeIjLj2EENS0_17counting_iteratorIjlEEPS9_SG_NS0_5tupleIJPjSI_NS0_16reverse_iteratorISI_EEEEENSH_IJSG_SG_SG_EEES9_SI_JZNS1_25segmented_radix_sort_implINS0_14default_configELb0EPKdPdPKlPlN2at6native12_GLOBAL__N_18offset_tEEE10hipError_tPvRmT1_PNSt15iterator_traitsIS12_E10value_typeET2_T3_PNS13_IS18_E10value_typeET4_jRbjT5_S1E_jjP12ihipStream_tbEUljE_ZNSN_ISO_Lb0ESQ_SR_ST_SU_SY_EESZ_S10_S11_S12_S16_S17_S18_S1B_S1C_jS1D_jS1E_S1E_jjS1G_bEUljE0_EEESZ_S10_S11_S18_S1C_S1E_T6_T7_T9_mT8_S1G_bDpT10_ENKUlT_T0_E_clISt17integral_constantIbLb1EES1U_EEDaS1P_S1Q_EUlS1P_E_NS1_11comp_targetILNS1_3genE2ELNS1_11target_archE906ELNS1_3gpuE6ELNS1_3repE0EEENS1_30default_config_static_selectorELNS0_4arch9wavefront6targetE0EEEvS12_,"axG",@progbits,_ZN7rocprim17ROCPRIM_400000_NS6detail17trampoline_kernelINS0_13select_configILj256ELj13ELNS0_17block_load_methodE3ELS4_3ELS4_3ELNS0_20block_scan_algorithmE0ELj4294967295EEENS1_25partition_config_selectorILNS1_17partition_subalgoE4EjNS0_10empty_typeEbEEZZNS1_14partition_implILS8_4ELb0ES6_15HIP_vector_typeIjLj2EENS0_17counting_iteratorIjlEEPS9_SG_NS0_5tupleIJPjSI_NS0_16reverse_iteratorISI_EEEEENSH_IJSG_SG_SG_EEES9_SI_JZNS1_25segmented_radix_sort_implINS0_14default_configELb0EPKdPdPKlPlN2at6native12_GLOBAL__N_18offset_tEEE10hipError_tPvRmT1_PNSt15iterator_traitsIS12_E10value_typeET2_T3_PNS13_IS18_E10value_typeET4_jRbjT5_S1E_jjP12ihipStream_tbEUljE_ZNSN_ISO_Lb0ESQ_SR_ST_SU_SY_EESZ_S10_S11_S12_S16_S17_S18_S1B_S1C_jS1D_jS1E_S1E_jjS1G_bEUljE0_EEESZ_S10_S11_S18_S1C_S1E_T6_T7_T9_mT8_S1G_bDpT10_ENKUlT_T0_E_clISt17integral_constantIbLb1EES1U_EEDaS1P_S1Q_EUlS1P_E_NS1_11comp_targetILNS1_3genE2ELNS1_11target_archE906ELNS1_3gpuE6ELNS1_3repE0EEENS1_30default_config_static_selectorELNS0_4arch9wavefront6targetE0EEEvS12_,comdat
.Lfunc_end1169:
	.size	_ZN7rocprim17ROCPRIM_400000_NS6detail17trampoline_kernelINS0_13select_configILj256ELj13ELNS0_17block_load_methodE3ELS4_3ELS4_3ELNS0_20block_scan_algorithmE0ELj4294967295EEENS1_25partition_config_selectorILNS1_17partition_subalgoE4EjNS0_10empty_typeEbEEZZNS1_14partition_implILS8_4ELb0ES6_15HIP_vector_typeIjLj2EENS0_17counting_iteratorIjlEEPS9_SG_NS0_5tupleIJPjSI_NS0_16reverse_iteratorISI_EEEEENSH_IJSG_SG_SG_EEES9_SI_JZNS1_25segmented_radix_sort_implINS0_14default_configELb0EPKdPdPKlPlN2at6native12_GLOBAL__N_18offset_tEEE10hipError_tPvRmT1_PNSt15iterator_traitsIS12_E10value_typeET2_T3_PNS13_IS18_E10value_typeET4_jRbjT5_S1E_jjP12ihipStream_tbEUljE_ZNSN_ISO_Lb0ESQ_SR_ST_SU_SY_EESZ_S10_S11_S12_S16_S17_S18_S1B_S1C_jS1D_jS1E_S1E_jjS1G_bEUljE0_EEESZ_S10_S11_S18_S1C_S1E_T6_T7_T9_mT8_S1G_bDpT10_ENKUlT_T0_E_clISt17integral_constantIbLb1EES1U_EEDaS1P_S1Q_EUlS1P_E_NS1_11comp_targetILNS1_3genE2ELNS1_11target_archE906ELNS1_3gpuE6ELNS1_3repE0EEENS1_30default_config_static_selectorELNS0_4arch9wavefront6targetE0EEEvS12_, .Lfunc_end1169-_ZN7rocprim17ROCPRIM_400000_NS6detail17trampoline_kernelINS0_13select_configILj256ELj13ELNS0_17block_load_methodE3ELS4_3ELS4_3ELNS0_20block_scan_algorithmE0ELj4294967295EEENS1_25partition_config_selectorILNS1_17partition_subalgoE4EjNS0_10empty_typeEbEEZZNS1_14partition_implILS8_4ELb0ES6_15HIP_vector_typeIjLj2EENS0_17counting_iteratorIjlEEPS9_SG_NS0_5tupleIJPjSI_NS0_16reverse_iteratorISI_EEEEENSH_IJSG_SG_SG_EEES9_SI_JZNS1_25segmented_radix_sort_implINS0_14default_configELb0EPKdPdPKlPlN2at6native12_GLOBAL__N_18offset_tEEE10hipError_tPvRmT1_PNSt15iterator_traitsIS12_E10value_typeET2_T3_PNS13_IS18_E10value_typeET4_jRbjT5_S1E_jjP12ihipStream_tbEUljE_ZNSN_ISO_Lb0ESQ_SR_ST_SU_SY_EESZ_S10_S11_S12_S16_S17_S18_S1B_S1C_jS1D_jS1E_S1E_jjS1G_bEUljE0_EEESZ_S10_S11_S18_S1C_S1E_T6_T7_T9_mT8_S1G_bDpT10_ENKUlT_T0_E_clISt17integral_constantIbLb1EES1U_EEDaS1P_S1Q_EUlS1P_E_NS1_11comp_targetILNS1_3genE2ELNS1_11target_archE906ELNS1_3gpuE6ELNS1_3repE0EEENS1_30default_config_static_selectorELNS0_4arch9wavefront6targetE0EEEvS12_
                                        ; -- End function
	.set _ZN7rocprim17ROCPRIM_400000_NS6detail17trampoline_kernelINS0_13select_configILj256ELj13ELNS0_17block_load_methodE3ELS4_3ELS4_3ELNS0_20block_scan_algorithmE0ELj4294967295EEENS1_25partition_config_selectorILNS1_17partition_subalgoE4EjNS0_10empty_typeEbEEZZNS1_14partition_implILS8_4ELb0ES6_15HIP_vector_typeIjLj2EENS0_17counting_iteratorIjlEEPS9_SG_NS0_5tupleIJPjSI_NS0_16reverse_iteratorISI_EEEEENSH_IJSG_SG_SG_EEES9_SI_JZNS1_25segmented_radix_sort_implINS0_14default_configELb0EPKdPdPKlPlN2at6native12_GLOBAL__N_18offset_tEEE10hipError_tPvRmT1_PNSt15iterator_traitsIS12_E10value_typeET2_T3_PNS13_IS18_E10value_typeET4_jRbjT5_S1E_jjP12ihipStream_tbEUljE_ZNSN_ISO_Lb0ESQ_SR_ST_SU_SY_EESZ_S10_S11_S12_S16_S17_S18_S1B_S1C_jS1D_jS1E_S1E_jjS1G_bEUljE0_EEESZ_S10_S11_S18_S1C_S1E_T6_T7_T9_mT8_S1G_bDpT10_ENKUlT_T0_E_clISt17integral_constantIbLb1EES1U_EEDaS1P_S1Q_EUlS1P_E_NS1_11comp_targetILNS1_3genE2ELNS1_11target_archE906ELNS1_3gpuE6ELNS1_3repE0EEENS1_30default_config_static_selectorELNS0_4arch9wavefront6targetE0EEEvS12_.num_vgpr, 0
	.set _ZN7rocprim17ROCPRIM_400000_NS6detail17trampoline_kernelINS0_13select_configILj256ELj13ELNS0_17block_load_methodE3ELS4_3ELS4_3ELNS0_20block_scan_algorithmE0ELj4294967295EEENS1_25partition_config_selectorILNS1_17partition_subalgoE4EjNS0_10empty_typeEbEEZZNS1_14partition_implILS8_4ELb0ES6_15HIP_vector_typeIjLj2EENS0_17counting_iteratorIjlEEPS9_SG_NS0_5tupleIJPjSI_NS0_16reverse_iteratorISI_EEEEENSH_IJSG_SG_SG_EEES9_SI_JZNS1_25segmented_radix_sort_implINS0_14default_configELb0EPKdPdPKlPlN2at6native12_GLOBAL__N_18offset_tEEE10hipError_tPvRmT1_PNSt15iterator_traitsIS12_E10value_typeET2_T3_PNS13_IS18_E10value_typeET4_jRbjT5_S1E_jjP12ihipStream_tbEUljE_ZNSN_ISO_Lb0ESQ_SR_ST_SU_SY_EESZ_S10_S11_S12_S16_S17_S18_S1B_S1C_jS1D_jS1E_S1E_jjS1G_bEUljE0_EEESZ_S10_S11_S18_S1C_S1E_T6_T7_T9_mT8_S1G_bDpT10_ENKUlT_T0_E_clISt17integral_constantIbLb1EES1U_EEDaS1P_S1Q_EUlS1P_E_NS1_11comp_targetILNS1_3genE2ELNS1_11target_archE906ELNS1_3gpuE6ELNS1_3repE0EEENS1_30default_config_static_selectorELNS0_4arch9wavefront6targetE0EEEvS12_.num_agpr, 0
	.set _ZN7rocprim17ROCPRIM_400000_NS6detail17trampoline_kernelINS0_13select_configILj256ELj13ELNS0_17block_load_methodE3ELS4_3ELS4_3ELNS0_20block_scan_algorithmE0ELj4294967295EEENS1_25partition_config_selectorILNS1_17partition_subalgoE4EjNS0_10empty_typeEbEEZZNS1_14partition_implILS8_4ELb0ES6_15HIP_vector_typeIjLj2EENS0_17counting_iteratorIjlEEPS9_SG_NS0_5tupleIJPjSI_NS0_16reverse_iteratorISI_EEEEENSH_IJSG_SG_SG_EEES9_SI_JZNS1_25segmented_radix_sort_implINS0_14default_configELb0EPKdPdPKlPlN2at6native12_GLOBAL__N_18offset_tEEE10hipError_tPvRmT1_PNSt15iterator_traitsIS12_E10value_typeET2_T3_PNS13_IS18_E10value_typeET4_jRbjT5_S1E_jjP12ihipStream_tbEUljE_ZNSN_ISO_Lb0ESQ_SR_ST_SU_SY_EESZ_S10_S11_S12_S16_S17_S18_S1B_S1C_jS1D_jS1E_S1E_jjS1G_bEUljE0_EEESZ_S10_S11_S18_S1C_S1E_T6_T7_T9_mT8_S1G_bDpT10_ENKUlT_T0_E_clISt17integral_constantIbLb1EES1U_EEDaS1P_S1Q_EUlS1P_E_NS1_11comp_targetILNS1_3genE2ELNS1_11target_archE906ELNS1_3gpuE6ELNS1_3repE0EEENS1_30default_config_static_selectorELNS0_4arch9wavefront6targetE0EEEvS12_.numbered_sgpr, 0
	.set _ZN7rocprim17ROCPRIM_400000_NS6detail17trampoline_kernelINS0_13select_configILj256ELj13ELNS0_17block_load_methodE3ELS4_3ELS4_3ELNS0_20block_scan_algorithmE0ELj4294967295EEENS1_25partition_config_selectorILNS1_17partition_subalgoE4EjNS0_10empty_typeEbEEZZNS1_14partition_implILS8_4ELb0ES6_15HIP_vector_typeIjLj2EENS0_17counting_iteratorIjlEEPS9_SG_NS0_5tupleIJPjSI_NS0_16reverse_iteratorISI_EEEEENSH_IJSG_SG_SG_EEES9_SI_JZNS1_25segmented_radix_sort_implINS0_14default_configELb0EPKdPdPKlPlN2at6native12_GLOBAL__N_18offset_tEEE10hipError_tPvRmT1_PNSt15iterator_traitsIS12_E10value_typeET2_T3_PNS13_IS18_E10value_typeET4_jRbjT5_S1E_jjP12ihipStream_tbEUljE_ZNSN_ISO_Lb0ESQ_SR_ST_SU_SY_EESZ_S10_S11_S12_S16_S17_S18_S1B_S1C_jS1D_jS1E_S1E_jjS1G_bEUljE0_EEESZ_S10_S11_S18_S1C_S1E_T6_T7_T9_mT8_S1G_bDpT10_ENKUlT_T0_E_clISt17integral_constantIbLb1EES1U_EEDaS1P_S1Q_EUlS1P_E_NS1_11comp_targetILNS1_3genE2ELNS1_11target_archE906ELNS1_3gpuE6ELNS1_3repE0EEENS1_30default_config_static_selectorELNS0_4arch9wavefront6targetE0EEEvS12_.num_named_barrier, 0
	.set _ZN7rocprim17ROCPRIM_400000_NS6detail17trampoline_kernelINS0_13select_configILj256ELj13ELNS0_17block_load_methodE3ELS4_3ELS4_3ELNS0_20block_scan_algorithmE0ELj4294967295EEENS1_25partition_config_selectorILNS1_17partition_subalgoE4EjNS0_10empty_typeEbEEZZNS1_14partition_implILS8_4ELb0ES6_15HIP_vector_typeIjLj2EENS0_17counting_iteratorIjlEEPS9_SG_NS0_5tupleIJPjSI_NS0_16reverse_iteratorISI_EEEEENSH_IJSG_SG_SG_EEES9_SI_JZNS1_25segmented_radix_sort_implINS0_14default_configELb0EPKdPdPKlPlN2at6native12_GLOBAL__N_18offset_tEEE10hipError_tPvRmT1_PNSt15iterator_traitsIS12_E10value_typeET2_T3_PNS13_IS18_E10value_typeET4_jRbjT5_S1E_jjP12ihipStream_tbEUljE_ZNSN_ISO_Lb0ESQ_SR_ST_SU_SY_EESZ_S10_S11_S12_S16_S17_S18_S1B_S1C_jS1D_jS1E_S1E_jjS1G_bEUljE0_EEESZ_S10_S11_S18_S1C_S1E_T6_T7_T9_mT8_S1G_bDpT10_ENKUlT_T0_E_clISt17integral_constantIbLb1EES1U_EEDaS1P_S1Q_EUlS1P_E_NS1_11comp_targetILNS1_3genE2ELNS1_11target_archE906ELNS1_3gpuE6ELNS1_3repE0EEENS1_30default_config_static_selectorELNS0_4arch9wavefront6targetE0EEEvS12_.private_seg_size, 0
	.set _ZN7rocprim17ROCPRIM_400000_NS6detail17trampoline_kernelINS0_13select_configILj256ELj13ELNS0_17block_load_methodE3ELS4_3ELS4_3ELNS0_20block_scan_algorithmE0ELj4294967295EEENS1_25partition_config_selectorILNS1_17partition_subalgoE4EjNS0_10empty_typeEbEEZZNS1_14partition_implILS8_4ELb0ES6_15HIP_vector_typeIjLj2EENS0_17counting_iteratorIjlEEPS9_SG_NS0_5tupleIJPjSI_NS0_16reverse_iteratorISI_EEEEENSH_IJSG_SG_SG_EEES9_SI_JZNS1_25segmented_radix_sort_implINS0_14default_configELb0EPKdPdPKlPlN2at6native12_GLOBAL__N_18offset_tEEE10hipError_tPvRmT1_PNSt15iterator_traitsIS12_E10value_typeET2_T3_PNS13_IS18_E10value_typeET4_jRbjT5_S1E_jjP12ihipStream_tbEUljE_ZNSN_ISO_Lb0ESQ_SR_ST_SU_SY_EESZ_S10_S11_S12_S16_S17_S18_S1B_S1C_jS1D_jS1E_S1E_jjS1G_bEUljE0_EEESZ_S10_S11_S18_S1C_S1E_T6_T7_T9_mT8_S1G_bDpT10_ENKUlT_T0_E_clISt17integral_constantIbLb1EES1U_EEDaS1P_S1Q_EUlS1P_E_NS1_11comp_targetILNS1_3genE2ELNS1_11target_archE906ELNS1_3gpuE6ELNS1_3repE0EEENS1_30default_config_static_selectorELNS0_4arch9wavefront6targetE0EEEvS12_.uses_vcc, 0
	.set _ZN7rocprim17ROCPRIM_400000_NS6detail17trampoline_kernelINS0_13select_configILj256ELj13ELNS0_17block_load_methodE3ELS4_3ELS4_3ELNS0_20block_scan_algorithmE0ELj4294967295EEENS1_25partition_config_selectorILNS1_17partition_subalgoE4EjNS0_10empty_typeEbEEZZNS1_14partition_implILS8_4ELb0ES6_15HIP_vector_typeIjLj2EENS0_17counting_iteratorIjlEEPS9_SG_NS0_5tupleIJPjSI_NS0_16reverse_iteratorISI_EEEEENSH_IJSG_SG_SG_EEES9_SI_JZNS1_25segmented_radix_sort_implINS0_14default_configELb0EPKdPdPKlPlN2at6native12_GLOBAL__N_18offset_tEEE10hipError_tPvRmT1_PNSt15iterator_traitsIS12_E10value_typeET2_T3_PNS13_IS18_E10value_typeET4_jRbjT5_S1E_jjP12ihipStream_tbEUljE_ZNSN_ISO_Lb0ESQ_SR_ST_SU_SY_EESZ_S10_S11_S12_S16_S17_S18_S1B_S1C_jS1D_jS1E_S1E_jjS1G_bEUljE0_EEESZ_S10_S11_S18_S1C_S1E_T6_T7_T9_mT8_S1G_bDpT10_ENKUlT_T0_E_clISt17integral_constantIbLb1EES1U_EEDaS1P_S1Q_EUlS1P_E_NS1_11comp_targetILNS1_3genE2ELNS1_11target_archE906ELNS1_3gpuE6ELNS1_3repE0EEENS1_30default_config_static_selectorELNS0_4arch9wavefront6targetE0EEEvS12_.uses_flat_scratch, 0
	.set _ZN7rocprim17ROCPRIM_400000_NS6detail17trampoline_kernelINS0_13select_configILj256ELj13ELNS0_17block_load_methodE3ELS4_3ELS4_3ELNS0_20block_scan_algorithmE0ELj4294967295EEENS1_25partition_config_selectorILNS1_17partition_subalgoE4EjNS0_10empty_typeEbEEZZNS1_14partition_implILS8_4ELb0ES6_15HIP_vector_typeIjLj2EENS0_17counting_iteratorIjlEEPS9_SG_NS0_5tupleIJPjSI_NS0_16reverse_iteratorISI_EEEEENSH_IJSG_SG_SG_EEES9_SI_JZNS1_25segmented_radix_sort_implINS0_14default_configELb0EPKdPdPKlPlN2at6native12_GLOBAL__N_18offset_tEEE10hipError_tPvRmT1_PNSt15iterator_traitsIS12_E10value_typeET2_T3_PNS13_IS18_E10value_typeET4_jRbjT5_S1E_jjP12ihipStream_tbEUljE_ZNSN_ISO_Lb0ESQ_SR_ST_SU_SY_EESZ_S10_S11_S12_S16_S17_S18_S1B_S1C_jS1D_jS1E_S1E_jjS1G_bEUljE0_EEESZ_S10_S11_S18_S1C_S1E_T6_T7_T9_mT8_S1G_bDpT10_ENKUlT_T0_E_clISt17integral_constantIbLb1EES1U_EEDaS1P_S1Q_EUlS1P_E_NS1_11comp_targetILNS1_3genE2ELNS1_11target_archE906ELNS1_3gpuE6ELNS1_3repE0EEENS1_30default_config_static_selectorELNS0_4arch9wavefront6targetE0EEEvS12_.has_dyn_sized_stack, 0
	.set _ZN7rocprim17ROCPRIM_400000_NS6detail17trampoline_kernelINS0_13select_configILj256ELj13ELNS0_17block_load_methodE3ELS4_3ELS4_3ELNS0_20block_scan_algorithmE0ELj4294967295EEENS1_25partition_config_selectorILNS1_17partition_subalgoE4EjNS0_10empty_typeEbEEZZNS1_14partition_implILS8_4ELb0ES6_15HIP_vector_typeIjLj2EENS0_17counting_iteratorIjlEEPS9_SG_NS0_5tupleIJPjSI_NS0_16reverse_iteratorISI_EEEEENSH_IJSG_SG_SG_EEES9_SI_JZNS1_25segmented_radix_sort_implINS0_14default_configELb0EPKdPdPKlPlN2at6native12_GLOBAL__N_18offset_tEEE10hipError_tPvRmT1_PNSt15iterator_traitsIS12_E10value_typeET2_T3_PNS13_IS18_E10value_typeET4_jRbjT5_S1E_jjP12ihipStream_tbEUljE_ZNSN_ISO_Lb0ESQ_SR_ST_SU_SY_EESZ_S10_S11_S12_S16_S17_S18_S1B_S1C_jS1D_jS1E_S1E_jjS1G_bEUljE0_EEESZ_S10_S11_S18_S1C_S1E_T6_T7_T9_mT8_S1G_bDpT10_ENKUlT_T0_E_clISt17integral_constantIbLb1EES1U_EEDaS1P_S1Q_EUlS1P_E_NS1_11comp_targetILNS1_3genE2ELNS1_11target_archE906ELNS1_3gpuE6ELNS1_3repE0EEENS1_30default_config_static_selectorELNS0_4arch9wavefront6targetE0EEEvS12_.has_recursion, 0
	.set _ZN7rocprim17ROCPRIM_400000_NS6detail17trampoline_kernelINS0_13select_configILj256ELj13ELNS0_17block_load_methodE3ELS4_3ELS4_3ELNS0_20block_scan_algorithmE0ELj4294967295EEENS1_25partition_config_selectorILNS1_17partition_subalgoE4EjNS0_10empty_typeEbEEZZNS1_14partition_implILS8_4ELb0ES6_15HIP_vector_typeIjLj2EENS0_17counting_iteratorIjlEEPS9_SG_NS0_5tupleIJPjSI_NS0_16reverse_iteratorISI_EEEEENSH_IJSG_SG_SG_EEES9_SI_JZNS1_25segmented_radix_sort_implINS0_14default_configELb0EPKdPdPKlPlN2at6native12_GLOBAL__N_18offset_tEEE10hipError_tPvRmT1_PNSt15iterator_traitsIS12_E10value_typeET2_T3_PNS13_IS18_E10value_typeET4_jRbjT5_S1E_jjP12ihipStream_tbEUljE_ZNSN_ISO_Lb0ESQ_SR_ST_SU_SY_EESZ_S10_S11_S12_S16_S17_S18_S1B_S1C_jS1D_jS1E_S1E_jjS1G_bEUljE0_EEESZ_S10_S11_S18_S1C_S1E_T6_T7_T9_mT8_S1G_bDpT10_ENKUlT_T0_E_clISt17integral_constantIbLb1EES1U_EEDaS1P_S1Q_EUlS1P_E_NS1_11comp_targetILNS1_3genE2ELNS1_11target_archE906ELNS1_3gpuE6ELNS1_3repE0EEENS1_30default_config_static_selectorELNS0_4arch9wavefront6targetE0EEEvS12_.has_indirect_call, 0
	.section	.AMDGPU.csdata,"",@progbits
; Kernel info:
; codeLenInByte = 0
; TotalNumSgprs: 0
; NumVgprs: 0
; ScratchSize: 0
; MemoryBound: 0
; FloatMode: 240
; IeeeMode: 1
; LDSByteSize: 0 bytes/workgroup (compile time only)
; SGPRBlocks: 0
; VGPRBlocks: 0
; NumSGPRsForWavesPerEU: 1
; NumVGPRsForWavesPerEU: 1
; Occupancy: 16
; WaveLimiterHint : 0
; COMPUTE_PGM_RSRC2:SCRATCH_EN: 0
; COMPUTE_PGM_RSRC2:USER_SGPR: 2
; COMPUTE_PGM_RSRC2:TRAP_HANDLER: 0
; COMPUTE_PGM_RSRC2:TGID_X_EN: 1
; COMPUTE_PGM_RSRC2:TGID_Y_EN: 0
; COMPUTE_PGM_RSRC2:TGID_Z_EN: 0
; COMPUTE_PGM_RSRC2:TIDIG_COMP_CNT: 0
	.section	.text._ZN7rocprim17ROCPRIM_400000_NS6detail17trampoline_kernelINS0_13select_configILj256ELj13ELNS0_17block_load_methodE3ELS4_3ELS4_3ELNS0_20block_scan_algorithmE0ELj4294967295EEENS1_25partition_config_selectorILNS1_17partition_subalgoE4EjNS0_10empty_typeEbEEZZNS1_14partition_implILS8_4ELb0ES6_15HIP_vector_typeIjLj2EENS0_17counting_iteratorIjlEEPS9_SG_NS0_5tupleIJPjSI_NS0_16reverse_iteratorISI_EEEEENSH_IJSG_SG_SG_EEES9_SI_JZNS1_25segmented_radix_sort_implINS0_14default_configELb0EPKdPdPKlPlN2at6native12_GLOBAL__N_18offset_tEEE10hipError_tPvRmT1_PNSt15iterator_traitsIS12_E10value_typeET2_T3_PNS13_IS18_E10value_typeET4_jRbjT5_S1E_jjP12ihipStream_tbEUljE_ZNSN_ISO_Lb0ESQ_SR_ST_SU_SY_EESZ_S10_S11_S12_S16_S17_S18_S1B_S1C_jS1D_jS1E_S1E_jjS1G_bEUljE0_EEESZ_S10_S11_S18_S1C_S1E_T6_T7_T9_mT8_S1G_bDpT10_ENKUlT_T0_E_clISt17integral_constantIbLb1EES1U_EEDaS1P_S1Q_EUlS1P_E_NS1_11comp_targetILNS1_3genE10ELNS1_11target_archE1200ELNS1_3gpuE4ELNS1_3repE0EEENS1_30default_config_static_selectorELNS0_4arch9wavefront6targetE0EEEvS12_,"axG",@progbits,_ZN7rocprim17ROCPRIM_400000_NS6detail17trampoline_kernelINS0_13select_configILj256ELj13ELNS0_17block_load_methodE3ELS4_3ELS4_3ELNS0_20block_scan_algorithmE0ELj4294967295EEENS1_25partition_config_selectorILNS1_17partition_subalgoE4EjNS0_10empty_typeEbEEZZNS1_14partition_implILS8_4ELb0ES6_15HIP_vector_typeIjLj2EENS0_17counting_iteratorIjlEEPS9_SG_NS0_5tupleIJPjSI_NS0_16reverse_iteratorISI_EEEEENSH_IJSG_SG_SG_EEES9_SI_JZNS1_25segmented_radix_sort_implINS0_14default_configELb0EPKdPdPKlPlN2at6native12_GLOBAL__N_18offset_tEEE10hipError_tPvRmT1_PNSt15iterator_traitsIS12_E10value_typeET2_T3_PNS13_IS18_E10value_typeET4_jRbjT5_S1E_jjP12ihipStream_tbEUljE_ZNSN_ISO_Lb0ESQ_SR_ST_SU_SY_EESZ_S10_S11_S12_S16_S17_S18_S1B_S1C_jS1D_jS1E_S1E_jjS1G_bEUljE0_EEESZ_S10_S11_S18_S1C_S1E_T6_T7_T9_mT8_S1G_bDpT10_ENKUlT_T0_E_clISt17integral_constantIbLb1EES1U_EEDaS1P_S1Q_EUlS1P_E_NS1_11comp_targetILNS1_3genE10ELNS1_11target_archE1200ELNS1_3gpuE4ELNS1_3repE0EEENS1_30default_config_static_selectorELNS0_4arch9wavefront6targetE0EEEvS12_,comdat
	.globl	_ZN7rocprim17ROCPRIM_400000_NS6detail17trampoline_kernelINS0_13select_configILj256ELj13ELNS0_17block_load_methodE3ELS4_3ELS4_3ELNS0_20block_scan_algorithmE0ELj4294967295EEENS1_25partition_config_selectorILNS1_17partition_subalgoE4EjNS0_10empty_typeEbEEZZNS1_14partition_implILS8_4ELb0ES6_15HIP_vector_typeIjLj2EENS0_17counting_iteratorIjlEEPS9_SG_NS0_5tupleIJPjSI_NS0_16reverse_iteratorISI_EEEEENSH_IJSG_SG_SG_EEES9_SI_JZNS1_25segmented_radix_sort_implINS0_14default_configELb0EPKdPdPKlPlN2at6native12_GLOBAL__N_18offset_tEEE10hipError_tPvRmT1_PNSt15iterator_traitsIS12_E10value_typeET2_T3_PNS13_IS18_E10value_typeET4_jRbjT5_S1E_jjP12ihipStream_tbEUljE_ZNSN_ISO_Lb0ESQ_SR_ST_SU_SY_EESZ_S10_S11_S12_S16_S17_S18_S1B_S1C_jS1D_jS1E_S1E_jjS1G_bEUljE0_EEESZ_S10_S11_S18_S1C_S1E_T6_T7_T9_mT8_S1G_bDpT10_ENKUlT_T0_E_clISt17integral_constantIbLb1EES1U_EEDaS1P_S1Q_EUlS1P_E_NS1_11comp_targetILNS1_3genE10ELNS1_11target_archE1200ELNS1_3gpuE4ELNS1_3repE0EEENS1_30default_config_static_selectorELNS0_4arch9wavefront6targetE0EEEvS12_ ; -- Begin function _ZN7rocprim17ROCPRIM_400000_NS6detail17trampoline_kernelINS0_13select_configILj256ELj13ELNS0_17block_load_methodE3ELS4_3ELS4_3ELNS0_20block_scan_algorithmE0ELj4294967295EEENS1_25partition_config_selectorILNS1_17partition_subalgoE4EjNS0_10empty_typeEbEEZZNS1_14partition_implILS8_4ELb0ES6_15HIP_vector_typeIjLj2EENS0_17counting_iteratorIjlEEPS9_SG_NS0_5tupleIJPjSI_NS0_16reverse_iteratorISI_EEEEENSH_IJSG_SG_SG_EEES9_SI_JZNS1_25segmented_radix_sort_implINS0_14default_configELb0EPKdPdPKlPlN2at6native12_GLOBAL__N_18offset_tEEE10hipError_tPvRmT1_PNSt15iterator_traitsIS12_E10value_typeET2_T3_PNS13_IS18_E10value_typeET4_jRbjT5_S1E_jjP12ihipStream_tbEUljE_ZNSN_ISO_Lb0ESQ_SR_ST_SU_SY_EESZ_S10_S11_S12_S16_S17_S18_S1B_S1C_jS1D_jS1E_S1E_jjS1G_bEUljE0_EEESZ_S10_S11_S18_S1C_S1E_T6_T7_T9_mT8_S1G_bDpT10_ENKUlT_T0_E_clISt17integral_constantIbLb1EES1U_EEDaS1P_S1Q_EUlS1P_E_NS1_11comp_targetILNS1_3genE10ELNS1_11target_archE1200ELNS1_3gpuE4ELNS1_3repE0EEENS1_30default_config_static_selectorELNS0_4arch9wavefront6targetE0EEEvS12_
	.p2align	8
	.type	_ZN7rocprim17ROCPRIM_400000_NS6detail17trampoline_kernelINS0_13select_configILj256ELj13ELNS0_17block_load_methodE3ELS4_3ELS4_3ELNS0_20block_scan_algorithmE0ELj4294967295EEENS1_25partition_config_selectorILNS1_17partition_subalgoE4EjNS0_10empty_typeEbEEZZNS1_14partition_implILS8_4ELb0ES6_15HIP_vector_typeIjLj2EENS0_17counting_iteratorIjlEEPS9_SG_NS0_5tupleIJPjSI_NS0_16reverse_iteratorISI_EEEEENSH_IJSG_SG_SG_EEES9_SI_JZNS1_25segmented_radix_sort_implINS0_14default_configELb0EPKdPdPKlPlN2at6native12_GLOBAL__N_18offset_tEEE10hipError_tPvRmT1_PNSt15iterator_traitsIS12_E10value_typeET2_T3_PNS13_IS18_E10value_typeET4_jRbjT5_S1E_jjP12ihipStream_tbEUljE_ZNSN_ISO_Lb0ESQ_SR_ST_SU_SY_EESZ_S10_S11_S12_S16_S17_S18_S1B_S1C_jS1D_jS1E_S1E_jjS1G_bEUljE0_EEESZ_S10_S11_S18_S1C_S1E_T6_T7_T9_mT8_S1G_bDpT10_ENKUlT_T0_E_clISt17integral_constantIbLb1EES1U_EEDaS1P_S1Q_EUlS1P_E_NS1_11comp_targetILNS1_3genE10ELNS1_11target_archE1200ELNS1_3gpuE4ELNS1_3repE0EEENS1_30default_config_static_selectorELNS0_4arch9wavefront6targetE0EEEvS12_,@function
_ZN7rocprim17ROCPRIM_400000_NS6detail17trampoline_kernelINS0_13select_configILj256ELj13ELNS0_17block_load_methodE3ELS4_3ELS4_3ELNS0_20block_scan_algorithmE0ELj4294967295EEENS1_25partition_config_selectorILNS1_17partition_subalgoE4EjNS0_10empty_typeEbEEZZNS1_14partition_implILS8_4ELb0ES6_15HIP_vector_typeIjLj2EENS0_17counting_iteratorIjlEEPS9_SG_NS0_5tupleIJPjSI_NS0_16reverse_iteratorISI_EEEEENSH_IJSG_SG_SG_EEES9_SI_JZNS1_25segmented_radix_sort_implINS0_14default_configELb0EPKdPdPKlPlN2at6native12_GLOBAL__N_18offset_tEEE10hipError_tPvRmT1_PNSt15iterator_traitsIS12_E10value_typeET2_T3_PNS13_IS18_E10value_typeET4_jRbjT5_S1E_jjP12ihipStream_tbEUljE_ZNSN_ISO_Lb0ESQ_SR_ST_SU_SY_EESZ_S10_S11_S12_S16_S17_S18_S1B_S1C_jS1D_jS1E_S1E_jjS1G_bEUljE0_EEESZ_S10_S11_S18_S1C_S1E_T6_T7_T9_mT8_S1G_bDpT10_ENKUlT_T0_E_clISt17integral_constantIbLb1EES1U_EEDaS1P_S1Q_EUlS1P_E_NS1_11comp_targetILNS1_3genE10ELNS1_11target_archE1200ELNS1_3gpuE4ELNS1_3repE0EEENS1_30default_config_static_selectorELNS0_4arch9wavefront6targetE0EEEvS12_: ; @_ZN7rocprim17ROCPRIM_400000_NS6detail17trampoline_kernelINS0_13select_configILj256ELj13ELNS0_17block_load_methodE3ELS4_3ELS4_3ELNS0_20block_scan_algorithmE0ELj4294967295EEENS1_25partition_config_selectorILNS1_17partition_subalgoE4EjNS0_10empty_typeEbEEZZNS1_14partition_implILS8_4ELb0ES6_15HIP_vector_typeIjLj2EENS0_17counting_iteratorIjlEEPS9_SG_NS0_5tupleIJPjSI_NS0_16reverse_iteratorISI_EEEEENSH_IJSG_SG_SG_EEES9_SI_JZNS1_25segmented_radix_sort_implINS0_14default_configELb0EPKdPdPKlPlN2at6native12_GLOBAL__N_18offset_tEEE10hipError_tPvRmT1_PNSt15iterator_traitsIS12_E10value_typeET2_T3_PNS13_IS18_E10value_typeET4_jRbjT5_S1E_jjP12ihipStream_tbEUljE_ZNSN_ISO_Lb0ESQ_SR_ST_SU_SY_EESZ_S10_S11_S12_S16_S17_S18_S1B_S1C_jS1D_jS1E_S1E_jjS1G_bEUljE0_EEESZ_S10_S11_S18_S1C_S1E_T6_T7_T9_mT8_S1G_bDpT10_ENKUlT_T0_E_clISt17integral_constantIbLb1EES1U_EEDaS1P_S1Q_EUlS1P_E_NS1_11comp_targetILNS1_3genE10ELNS1_11target_archE1200ELNS1_3gpuE4ELNS1_3repE0EEENS1_30default_config_static_selectorELNS0_4arch9wavefront6targetE0EEEvS12_
; %bb.0:
	s_endpgm
	.section	.rodata,"a",@progbits
	.p2align	6, 0x0
	.amdhsa_kernel _ZN7rocprim17ROCPRIM_400000_NS6detail17trampoline_kernelINS0_13select_configILj256ELj13ELNS0_17block_load_methodE3ELS4_3ELS4_3ELNS0_20block_scan_algorithmE0ELj4294967295EEENS1_25partition_config_selectorILNS1_17partition_subalgoE4EjNS0_10empty_typeEbEEZZNS1_14partition_implILS8_4ELb0ES6_15HIP_vector_typeIjLj2EENS0_17counting_iteratorIjlEEPS9_SG_NS0_5tupleIJPjSI_NS0_16reverse_iteratorISI_EEEEENSH_IJSG_SG_SG_EEES9_SI_JZNS1_25segmented_radix_sort_implINS0_14default_configELb0EPKdPdPKlPlN2at6native12_GLOBAL__N_18offset_tEEE10hipError_tPvRmT1_PNSt15iterator_traitsIS12_E10value_typeET2_T3_PNS13_IS18_E10value_typeET4_jRbjT5_S1E_jjP12ihipStream_tbEUljE_ZNSN_ISO_Lb0ESQ_SR_ST_SU_SY_EESZ_S10_S11_S12_S16_S17_S18_S1B_S1C_jS1D_jS1E_S1E_jjS1G_bEUljE0_EEESZ_S10_S11_S18_S1C_S1E_T6_T7_T9_mT8_S1G_bDpT10_ENKUlT_T0_E_clISt17integral_constantIbLb1EES1U_EEDaS1P_S1Q_EUlS1P_E_NS1_11comp_targetILNS1_3genE10ELNS1_11target_archE1200ELNS1_3gpuE4ELNS1_3repE0EEENS1_30default_config_static_selectorELNS0_4arch9wavefront6targetE0EEEvS12_
		.amdhsa_group_segment_fixed_size 0
		.amdhsa_private_segment_fixed_size 0
		.amdhsa_kernarg_size 184
		.amdhsa_user_sgpr_count 2
		.amdhsa_user_sgpr_dispatch_ptr 0
		.amdhsa_user_sgpr_queue_ptr 0
		.amdhsa_user_sgpr_kernarg_segment_ptr 1
		.amdhsa_user_sgpr_dispatch_id 0
		.amdhsa_user_sgpr_private_segment_size 0
		.amdhsa_wavefront_size32 1
		.amdhsa_uses_dynamic_stack 0
		.amdhsa_enable_private_segment 0
		.amdhsa_system_sgpr_workgroup_id_x 1
		.amdhsa_system_sgpr_workgroup_id_y 0
		.amdhsa_system_sgpr_workgroup_id_z 0
		.amdhsa_system_sgpr_workgroup_info 0
		.amdhsa_system_vgpr_workitem_id 0
		.amdhsa_next_free_vgpr 1
		.amdhsa_next_free_sgpr 1
		.amdhsa_reserve_vcc 0
		.amdhsa_float_round_mode_32 0
		.amdhsa_float_round_mode_16_64 0
		.amdhsa_float_denorm_mode_32 3
		.amdhsa_float_denorm_mode_16_64 3
		.amdhsa_fp16_overflow 0
		.amdhsa_workgroup_processor_mode 1
		.amdhsa_memory_ordered 1
		.amdhsa_forward_progress 1
		.amdhsa_inst_pref_size 1
		.amdhsa_round_robin_scheduling 0
		.amdhsa_exception_fp_ieee_invalid_op 0
		.amdhsa_exception_fp_denorm_src 0
		.amdhsa_exception_fp_ieee_div_zero 0
		.amdhsa_exception_fp_ieee_overflow 0
		.amdhsa_exception_fp_ieee_underflow 0
		.amdhsa_exception_fp_ieee_inexact 0
		.amdhsa_exception_int_div_zero 0
	.end_amdhsa_kernel
	.section	.text._ZN7rocprim17ROCPRIM_400000_NS6detail17trampoline_kernelINS0_13select_configILj256ELj13ELNS0_17block_load_methodE3ELS4_3ELS4_3ELNS0_20block_scan_algorithmE0ELj4294967295EEENS1_25partition_config_selectorILNS1_17partition_subalgoE4EjNS0_10empty_typeEbEEZZNS1_14partition_implILS8_4ELb0ES6_15HIP_vector_typeIjLj2EENS0_17counting_iteratorIjlEEPS9_SG_NS0_5tupleIJPjSI_NS0_16reverse_iteratorISI_EEEEENSH_IJSG_SG_SG_EEES9_SI_JZNS1_25segmented_radix_sort_implINS0_14default_configELb0EPKdPdPKlPlN2at6native12_GLOBAL__N_18offset_tEEE10hipError_tPvRmT1_PNSt15iterator_traitsIS12_E10value_typeET2_T3_PNS13_IS18_E10value_typeET4_jRbjT5_S1E_jjP12ihipStream_tbEUljE_ZNSN_ISO_Lb0ESQ_SR_ST_SU_SY_EESZ_S10_S11_S12_S16_S17_S18_S1B_S1C_jS1D_jS1E_S1E_jjS1G_bEUljE0_EEESZ_S10_S11_S18_S1C_S1E_T6_T7_T9_mT8_S1G_bDpT10_ENKUlT_T0_E_clISt17integral_constantIbLb1EES1U_EEDaS1P_S1Q_EUlS1P_E_NS1_11comp_targetILNS1_3genE10ELNS1_11target_archE1200ELNS1_3gpuE4ELNS1_3repE0EEENS1_30default_config_static_selectorELNS0_4arch9wavefront6targetE0EEEvS12_,"axG",@progbits,_ZN7rocprim17ROCPRIM_400000_NS6detail17trampoline_kernelINS0_13select_configILj256ELj13ELNS0_17block_load_methodE3ELS4_3ELS4_3ELNS0_20block_scan_algorithmE0ELj4294967295EEENS1_25partition_config_selectorILNS1_17partition_subalgoE4EjNS0_10empty_typeEbEEZZNS1_14partition_implILS8_4ELb0ES6_15HIP_vector_typeIjLj2EENS0_17counting_iteratorIjlEEPS9_SG_NS0_5tupleIJPjSI_NS0_16reverse_iteratorISI_EEEEENSH_IJSG_SG_SG_EEES9_SI_JZNS1_25segmented_radix_sort_implINS0_14default_configELb0EPKdPdPKlPlN2at6native12_GLOBAL__N_18offset_tEEE10hipError_tPvRmT1_PNSt15iterator_traitsIS12_E10value_typeET2_T3_PNS13_IS18_E10value_typeET4_jRbjT5_S1E_jjP12ihipStream_tbEUljE_ZNSN_ISO_Lb0ESQ_SR_ST_SU_SY_EESZ_S10_S11_S12_S16_S17_S18_S1B_S1C_jS1D_jS1E_S1E_jjS1G_bEUljE0_EEESZ_S10_S11_S18_S1C_S1E_T6_T7_T9_mT8_S1G_bDpT10_ENKUlT_T0_E_clISt17integral_constantIbLb1EES1U_EEDaS1P_S1Q_EUlS1P_E_NS1_11comp_targetILNS1_3genE10ELNS1_11target_archE1200ELNS1_3gpuE4ELNS1_3repE0EEENS1_30default_config_static_selectorELNS0_4arch9wavefront6targetE0EEEvS12_,comdat
.Lfunc_end1170:
	.size	_ZN7rocprim17ROCPRIM_400000_NS6detail17trampoline_kernelINS0_13select_configILj256ELj13ELNS0_17block_load_methodE3ELS4_3ELS4_3ELNS0_20block_scan_algorithmE0ELj4294967295EEENS1_25partition_config_selectorILNS1_17partition_subalgoE4EjNS0_10empty_typeEbEEZZNS1_14partition_implILS8_4ELb0ES6_15HIP_vector_typeIjLj2EENS0_17counting_iteratorIjlEEPS9_SG_NS0_5tupleIJPjSI_NS0_16reverse_iteratorISI_EEEEENSH_IJSG_SG_SG_EEES9_SI_JZNS1_25segmented_radix_sort_implINS0_14default_configELb0EPKdPdPKlPlN2at6native12_GLOBAL__N_18offset_tEEE10hipError_tPvRmT1_PNSt15iterator_traitsIS12_E10value_typeET2_T3_PNS13_IS18_E10value_typeET4_jRbjT5_S1E_jjP12ihipStream_tbEUljE_ZNSN_ISO_Lb0ESQ_SR_ST_SU_SY_EESZ_S10_S11_S12_S16_S17_S18_S1B_S1C_jS1D_jS1E_S1E_jjS1G_bEUljE0_EEESZ_S10_S11_S18_S1C_S1E_T6_T7_T9_mT8_S1G_bDpT10_ENKUlT_T0_E_clISt17integral_constantIbLb1EES1U_EEDaS1P_S1Q_EUlS1P_E_NS1_11comp_targetILNS1_3genE10ELNS1_11target_archE1200ELNS1_3gpuE4ELNS1_3repE0EEENS1_30default_config_static_selectorELNS0_4arch9wavefront6targetE0EEEvS12_, .Lfunc_end1170-_ZN7rocprim17ROCPRIM_400000_NS6detail17trampoline_kernelINS0_13select_configILj256ELj13ELNS0_17block_load_methodE3ELS4_3ELS4_3ELNS0_20block_scan_algorithmE0ELj4294967295EEENS1_25partition_config_selectorILNS1_17partition_subalgoE4EjNS0_10empty_typeEbEEZZNS1_14partition_implILS8_4ELb0ES6_15HIP_vector_typeIjLj2EENS0_17counting_iteratorIjlEEPS9_SG_NS0_5tupleIJPjSI_NS0_16reverse_iteratorISI_EEEEENSH_IJSG_SG_SG_EEES9_SI_JZNS1_25segmented_radix_sort_implINS0_14default_configELb0EPKdPdPKlPlN2at6native12_GLOBAL__N_18offset_tEEE10hipError_tPvRmT1_PNSt15iterator_traitsIS12_E10value_typeET2_T3_PNS13_IS18_E10value_typeET4_jRbjT5_S1E_jjP12ihipStream_tbEUljE_ZNSN_ISO_Lb0ESQ_SR_ST_SU_SY_EESZ_S10_S11_S12_S16_S17_S18_S1B_S1C_jS1D_jS1E_S1E_jjS1G_bEUljE0_EEESZ_S10_S11_S18_S1C_S1E_T6_T7_T9_mT8_S1G_bDpT10_ENKUlT_T0_E_clISt17integral_constantIbLb1EES1U_EEDaS1P_S1Q_EUlS1P_E_NS1_11comp_targetILNS1_3genE10ELNS1_11target_archE1200ELNS1_3gpuE4ELNS1_3repE0EEENS1_30default_config_static_selectorELNS0_4arch9wavefront6targetE0EEEvS12_
                                        ; -- End function
	.set _ZN7rocprim17ROCPRIM_400000_NS6detail17trampoline_kernelINS0_13select_configILj256ELj13ELNS0_17block_load_methodE3ELS4_3ELS4_3ELNS0_20block_scan_algorithmE0ELj4294967295EEENS1_25partition_config_selectorILNS1_17partition_subalgoE4EjNS0_10empty_typeEbEEZZNS1_14partition_implILS8_4ELb0ES6_15HIP_vector_typeIjLj2EENS0_17counting_iteratorIjlEEPS9_SG_NS0_5tupleIJPjSI_NS0_16reverse_iteratorISI_EEEEENSH_IJSG_SG_SG_EEES9_SI_JZNS1_25segmented_radix_sort_implINS0_14default_configELb0EPKdPdPKlPlN2at6native12_GLOBAL__N_18offset_tEEE10hipError_tPvRmT1_PNSt15iterator_traitsIS12_E10value_typeET2_T3_PNS13_IS18_E10value_typeET4_jRbjT5_S1E_jjP12ihipStream_tbEUljE_ZNSN_ISO_Lb0ESQ_SR_ST_SU_SY_EESZ_S10_S11_S12_S16_S17_S18_S1B_S1C_jS1D_jS1E_S1E_jjS1G_bEUljE0_EEESZ_S10_S11_S18_S1C_S1E_T6_T7_T9_mT8_S1G_bDpT10_ENKUlT_T0_E_clISt17integral_constantIbLb1EES1U_EEDaS1P_S1Q_EUlS1P_E_NS1_11comp_targetILNS1_3genE10ELNS1_11target_archE1200ELNS1_3gpuE4ELNS1_3repE0EEENS1_30default_config_static_selectorELNS0_4arch9wavefront6targetE0EEEvS12_.num_vgpr, 0
	.set _ZN7rocprim17ROCPRIM_400000_NS6detail17trampoline_kernelINS0_13select_configILj256ELj13ELNS0_17block_load_methodE3ELS4_3ELS4_3ELNS0_20block_scan_algorithmE0ELj4294967295EEENS1_25partition_config_selectorILNS1_17partition_subalgoE4EjNS0_10empty_typeEbEEZZNS1_14partition_implILS8_4ELb0ES6_15HIP_vector_typeIjLj2EENS0_17counting_iteratorIjlEEPS9_SG_NS0_5tupleIJPjSI_NS0_16reverse_iteratorISI_EEEEENSH_IJSG_SG_SG_EEES9_SI_JZNS1_25segmented_radix_sort_implINS0_14default_configELb0EPKdPdPKlPlN2at6native12_GLOBAL__N_18offset_tEEE10hipError_tPvRmT1_PNSt15iterator_traitsIS12_E10value_typeET2_T3_PNS13_IS18_E10value_typeET4_jRbjT5_S1E_jjP12ihipStream_tbEUljE_ZNSN_ISO_Lb0ESQ_SR_ST_SU_SY_EESZ_S10_S11_S12_S16_S17_S18_S1B_S1C_jS1D_jS1E_S1E_jjS1G_bEUljE0_EEESZ_S10_S11_S18_S1C_S1E_T6_T7_T9_mT8_S1G_bDpT10_ENKUlT_T0_E_clISt17integral_constantIbLb1EES1U_EEDaS1P_S1Q_EUlS1P_E_NS1_11comp_targetILNS1_3genE10ELNS1_11target_archE1200ELNS1_3gpuE4ELNS1_3repE0EEENS1_30default_config_static_selectorELNS0_4arch9wavefront6targetE0EEEvS12_.num_agpr, 0
	.set _ZN7rocprim17ROCPRIM_400000_NS6detail17trampoline_kernelINS0_13select_configILj256ELj13ELNS0_17block_load_methodE3ELS4_3ELS4_3ELNS0_20block_scan_algorithmE0ELj4294967295EEENS1_25partition_config_selectorILNS1_17partition_subalgoE4EjNS0_10empty_typeEbEEZZNS1_14partition_implILS8_4ELb0ES6_15HIP_vector_typeIjLj2EENS0_17counting_iteratorIjlEEPS9_SG_NS0_5tupleIJPjSI_NS0_16reverse_iteratorISI_EEEEENSH_IJSG_SG_SG_EEES9_SI_JZNS1_25segmented_radix_sort_implINS0_14default_configELb0EPKdPdPKlPlN2at6native12_GLOBAL__N_18offset_tEEE10hipError_tPvRmT1_PNSt15iterator_traitsIS12_E10value_typeET2_T3_PNS13_IS18_E10value_typeET4_jRbjT5_S1E_jjP12ihipStream_tbEUljE_ZNSN_ISO_Lb0ESQ_SR_ST_SU_SY_EESZ_S10_S11_S12_S16_S17_S18_S1B_S1C_jS1D_jS1E_S1E_jjS1G_bEUljE0_EEESZ_S10_S11_S18_S1C_S1E_T6_T7_T9_mT8_S1G_bDpT10_ENKUlT_T0_E_clISt17integral_constantIbLb1EES1U_EEDaS1P_S1Q_EUlS1P_E_NS1_11comp_targetILNS1_3genE10ELNS1_11target_archE1200ELNS1_3gpuE4ELNS1_3repE0EEENS1_30default_config_static_selectorELNS0_4arch9wavefront6targetE0EEEvS12_.numbered_sgpr, 0
	.set _ZN7rocprim17ROCPRIM_400000_NS6detail17trampoline_kernelINS0_13select_configILj256ELj13ELNS0_17block_load_methodE3ELS4_3ELS4_3ELNS0_20block_scan_algorithmE0ELj4294967295EEENS1_25partition_config_selectorILNS1_17partition_subalgoE4EjNS0_10empty_typeEbEEZZNS1_14partition_implILS8_4ELb0ES6_15HIP_vector_typeIjLj2EENS0_17counting_iteratorIjlEEPS9_SG_NS0_5tupleIJPjSI_NS0_16reverse_iteratorISI_EEEEENSH_IJSG_SG_SG_EEES9_SI_JZNS1_25segmented_radix_sort_implINS0_14default_configELb0EPKdPdPKlPlN2at6native12_GLOBAL__N_18offset_tEEE10hipError_tPvRmT1_PNSt15iterator_traitsIS12_E10value_typeET2_T3_PNS13_IS18_E10value_typeET4_jRbjT5_S1E_jjP12ihipStream_tbEUljE_ZNSN_ISO_Lb0ESQ_SR_ST_SU_SY_EESZ_S10_S11_S12_S16_S17_S18_S1B_S1C_jS1D_jS1E_S1E_jjS1G_bEUljE0_EEESZ_S10_S11_S18_S1C_S1E_T6_T7_T9_mT8_S1G_bDpT10_ENKUlT_T0_E_clISt17integral_constantIbLb1EES1U_EEDaS1P_S1Q_EUlS1P_E_NS1_11comp_targetILNS1_3genE10ELNS1_11target_archE1200ELNS1_3gpuE4ELNS1_3repE0EEENS1_30default_config_static_selectorELNS0_4arch9wavefront6targetE0EEEvS12_.num_named_barrier, 0
	.set _ZN7rocprim17ROCPRIM_400000_NS6detail17trampoline_kernelINS0_13select_configILj256ELj13ELNS0_17block_load_methodE3ELS4_3ELS4_3ELNS0_20block_scan_algorithmE0ELj4294967295EEENS1_25partition_config_selectorILNS1_17partition_subalgoE4EjNS0_10empty_typeEbEEZZNS1_14partition_implILS8_4ELb0ES6_15HIP_vector_typeIjLj2EENS0_17counting_iteratorIjlEEPS9_SG_NS0_5tupleIJPjSI_NS0_16reverse_iteratorISI_EEEEENSH_IJSG_SG_SG_EEES9_SI_JZNS1_25segmented_radix_sort_implINS0_14default_configELb0EPKdPdPKlPlN2at6native12_GLOBAL__N_18offset_tEEE10hipError_tPvRmT1_PNSt15iterator_traitsIS12_E10value_typeET2_T3_PNS13_IS18_E10value_typeET4_jRbjT5_S1E_jjP12ihipStream_tbEUljE_ZNSN_ISO_Lb0ESQ_SR_ST_SU_SY_EESZ_S10_S11_S12_S16_S17_S18_S1B_S1C_jS1D_jS1E_S1E_jjS1G_bEUljE0_EEESZ_S10_S11_S18_S1C_S1E_T6_T7_T9_mT8_S1G_bDpT10_ENKUlT_T0_E_clISt17integral_constantIbLb1EES1U_EEDaS1P_S1Q_EUlS1P_E_NS1_11comp_targetILNS1_3genE10ELNS1_11target_archE1200ELNS1_3gpuE4ELNS1_3repE0EEENS1_30default_config_static_selectorELNS0_4arch9wavefront6targetE0EEEvS12_.private_seg_size, 0
	.set _ZN7rocprim17ROCPRIM_400000_NS6detail17trampoline_kernelINS0_13select_configILj256ELj13ELNS0_17block_load_methodE3ELS4_3ELS4_3ELNS0_20block_scan_algorithmE0ELj4294967295EEENS1_25partition_config_selectorILNS1_17partition_subalgoE4EjNS0_10empty_typeEbEEZZNS1_14partition_implILS8_4ELb0ES6_15HIP_vector_typeIjLj2EENS0_17counting_iteratorIjlEEPS9_SG_NS0_5tupleIJPjSI_NS0_16reverse_iteratorISI_EEEEENSH_IJSG_SG_SG_EEES9_SI_JZNS1_25segmented_radix_sort_implINS0_14default_configELb0EPKdPdPKlPlN2at6native12_GLOBAL__N_18offset_tEEE10hipError_tPvRmT1_PNSt15iterator_traitsIS12_E10value_typeET2_T3_PNS13_IS18_E10value_typeET4_jRbjT5_S1E_jjP12ihipStream_tbEUljE_ZNSN_ISO_Lb0ESQ_SR_ST_SU_SY_EESZ_S10_S11_S12_S16_S17_S18_S1B_S1C_jS1D_jS1E_S1E_jjS1G_bEUljE0_EEESZ_S10_S11_S18_S1C_S1E_T6_T7_T9_mT8_S1G_bDpT10_ENKUlT_T0_E_clISt17integral_constantIbLb1EES1U_EEDaS1P_S1Q_EUlS1P_E_NS1_11comp_targetILNS1_3genE10ELNS1_11target_archE1200ELNS1_3gpuE4ELNS1_3repE0EEENS1_30default_config_static_selectorELNS0_4arch9wavefront6targetE0EEEvS12_.uses_vcc, 0
	.set _ZN7rocprim17ROCPRIM_400000_NS6detail17trampoline_kernelINS0_13select_configILj256ELj13ELNS0_17block_load_methodE3ELS4_3ELS4_3ELNS0_20block_scan_algorithmE0ELj4294967295EEENS1_25partition_config_selectorILNS1_17partition_subalgoE4EjNS0_10empty_typeEbEEZZNS1_14partition_implILS8_4ELb0ES6_15HIP_vector_typeIjLj2EENS0_17counting_iteratorIjlEEPS9_SG_NS0_5tupleIJPjSI_NS0_16reverse_iteratorISI_EEEEENSH_IJSG_SG_SG_EEES9_SI_JZNS1_25segmented_radix_sort_implINS0_14default_configELb0EPKdPdPKlPlN2at6native12_GLOBAL__N_18offset_tEEE10hipError_tPvRmT1_PNSt15iterator_traitsIS12_E10value_typeET2_T3_PNS13_IS18_E10value_typeET4_jRbjT5_S1E_jjP12ihipStream_tbEUljE_ZNSN_ISO_Lb0ESQ_SR_ST_SU_SY_EESZ_S10_S11_S12_S16_S17_S18_S1B_S1C_jS1D_jS1E_S1E_jjS1G_bEUljE0_EEESZ_S10_S11_S18_S1C_S1E_T6_T7_T9_mT8_S1G_bDpT10_ENKUlT_T0_E_clISt17integral_constantIbLb1EES1U_EEDaS1P_S1Q_EUlS1P_E_NS1_11comp_targetILNS1_3genE10ELNS1_11target_archE1200ELNS1_3gpuE4ELNS1_3repE0EEENS1_30default_config_static_selectorELNS0_4arch9wavefront6targetE0EEEvS12_.uses_flat_scratch, 0
	.set _ZN7rocprim17ROCPRIM_400000_NS6detail17trampoline_kernelINS0_13select_configILj256ELj13ELNS0_17block_load_methodE3ELS4_3ELS4_3ELNS0_20block_scan_algorithmE0ELj4294967295EEENS1_25partition_config_selectorILNS1_17partition_subalgoE4EjNS0_10empty_typeEbEEZZNS1_14partition_implILS8_4ELb0ES6_15HIP_vector_typeIjLj2EENS0_17counting_iteratorIjlEEPS9_SG_NS0_5tupleIJPjSI_NS0_16reverse_iteratorISI_EEEEENSH_IJSG_SG_SG_EEES9_SI_JZNS1_25segmented_radix_sort_implINS0_14default_configELb0EPKdPdPKlPlN2at6native12_GLOBAL__N_18offset_tEEE10hipError_tPvRmT1_PNSt15iterator_traitsIS12_E10value_typeET2_T3_PNS13_IS18_E10value_typeET4_jRbjT5_S1E_jjP12ihipStream_tbEUljE_ZNSN_ISO_Lb0ESQ_SR_ST_SU_SY_EESZ_S10_S11_S12_S16_S17_S18_S1B_S1C_jS1D_jS1E_S1E_jjS1G_bEUljE0_EEESZ_S10_S11_S18_S1C_S1E_T6_T7_T9_mT8_S1G_bDpT10_ENKUlT_T0_E_clISt17integral_constantIbLb1EES1U_EEDaS1P_S1Q_EUlS1P_E_NS1_11comp_targetILNS1_3genE10ELNS1_11target_archE1200ELNS1_3gpuE4ELNS1_3repE0EEENS1_30default_config_static_selectorELNS0_4arch9wavefront6targetE0EEEvS12_.has_dyn_sized_stack, 0
	.set _ZN7rocprim17ROCPRIM_400000_NS6detail17trampoline_kernelINS0_13select_configILj256ELj13ELNS0_17block_load_methodE3ELS4_3ELS4_3ELNS0_20block_scan_algorithmE0ELj4294967295EEENS1_25partition_config_selectorILNS1_17partition_subalgoE4EjNS0_10empty_typeEbEEZZNS1_14partition_implILS8_4ELb0ES6_15HIP_vector_typeIjLj2EENS0_17counting_iteratorIjlEEPS9_SG_NS0_5tupleIJPjSI_NS0_16reverse_iteratorISI_EEEEENSH_IJSG_SG_SG_EEES9_SI_JZNS1_25segmented_radix_sort_implINS0_14default_configELb0EPKdPdPKlPlN2at6native12_GLOBAL__N_18offset_tEEE10hipError_tPvRmT1_PNSt15iterator_traitsIS12_E10value_typeET2_T3_PNS13_IS18_E10value_typeET4_jRbjT5_S1E_jjP12ihipStream_tbEUljE_ZNSN_ISO_Lb0ESQ_SR_ST_SU_SY_EESZ_S10_S11_S12_S16_S17_S18_S1B_S1C_jS1D_jS1E_S1E_jjS1G_bEUljE0_EEESZ_S10_S11_S18_S1C_S1E_T6_T7_T9_mT8_S1G_bDpT10_ENKUlT_T0_E_clISt17integral_constantIbLb1EES1U_EEDaS1P_S1Q_EUlS1P_E_NS1_11comp_targetILNS1_3genE10ELNS1_11target_archE1200ELNS1_3gpuE4ELNS1_3repE0EEENS1_30default_config_static_selectorELNS0_4arch9wavefront6targetE0EEEvS12_.has_recursion, 0
	.set _ZN7rocprim17ROCPRIM_400000_NS6detail17trampoline_kernelINS0_13select_configILj256ELj13ELNS0_17block_load_methodE3ELS4_3ELS4_3ELNS0_20block_scan_algorithmE0ELj4294967295EEENS1_25partition_config_selectorILNS1_17partition_subalgoE4EjNS0_10empty_typeEbEEZZNS1_14partition_implILS8_4ELb0ES6_15HIP_vector_typeIjLj2EENS0_17counting_iteratorIjlEEPS9_SG_NS0_5tupleIJPjSI_NS0_16reverse_iteratorISI_EEEEENSH_IJSG_SG_SG_EEES9_SI_JZNS1_25segmented_radix_sort_implINS0_14default_configELb0EPKdPdPKlPlN2at6native12_GLOBAL__N_18offset_tEEE10hipError_tPvRmT1_PNSt15iterator_traitsIS12_E10value_typeET2_T3_PNS13_IS18_E10value_typeET4_jRbjT5_S1E_jjP12ihipStream_tbEUljE_ZNSN_ISO_Lb0ESQ_SR_ST_SU_SY_EESZ_S10_S11_S12_S16_S17_S18_S1B_S1C_jS1D_jS1E_S1E_jjS1G_bEUljE0_EEESZ_S10_S11_S18_S1C_S1E_T6_T7_T9_mT8_S1G_bDpT10_ENKUlT_T0_E_clISt17integral_constantIbLb1EES1U_EEDaS1P_S1Q_EUlS1P_E_NS1_11comp_targetILNS1_3genE10ELNS1_11target_archE1200ELNS1_3gpuE4ELNS1_3repE0EEENS1_30default_config_static_selectorELNS0_4arch9wavefront6targetE0EEEvS12_.has_indirect_call, 0
	.section	.AMDGPU.csdata,"",@progbits
; Kernel info:
; codeLenInByte = 4
; TotalNumSgprs: 0
; NumVgprs: 0
; ScratchSize: 0
; MemoryBound: 0
; FloatMode: 240
; IeeeMode: 1
; LDSByteSize: 0 bytes/workgroup (compile time only)
; SGPRBlocks: 0
; VGPRBlocks: 0
; NumSGPRsForWavesPerEU: 1
; NumVGPRsForWavesPerEU: 1
; Occupancy: 16
; WaveLimiterHint : 0
; COMPUTE_PGM_RSRC2:SCRATCH_EN: 0
; COMPUTE_PGM_RSRC2:USER_SGPR: 2
; COMPUTE_PGM_RSRC2:TRAP_HANDLER: 0
; COMPUTE_PGM_RSRC2:TGID_X_EN: 1
; COMPUTE_PGM_RSRC2:TGID_Y_EN: 0
; COMPUTE_PGM_RSRC2:TGID_Z_EN: 0
; COMPUTE_PGM_RSRC2:TIDIG_COMP_CNT: 0
	.section	.text._ZN7rocprim17ROCPRIM_400000_NS6detail17trampoline_kernelINS0_13select_configILj256ELj13ELNS0_17block_load_methodE3ELS4_3ELS4_3ELNS0_20block_scan_algorithmE0ELj4294967295EEENS1_25partition_config_selectorILNS1_17partition_subalgoE4EjNS0_10empty_typeEbEEZZNS1_14partition_implILS8_4ELb0ES6_15HIP_vector_typeIjLj2EENS0_17counting_iteratorIjlEEPS9_SG_NS0_5tupleIJPjSI_NS0_16reverse_iteratorISI_EEEEENSH_IJSG_SG_SG_EEES9_SI_JZNS1_25segmented_radix_sort_implINS0_14default_configELb0EPKdPdPKlPlN2at6native12_GLOBAL__N_18offset_tEEE10hipError_tPvRmT1_PNSt15iterator_traitsIS12_E10value_typeET2_T3_PNS13_IS18_E10value_typeET4_jRbjT5_S1E_jjP12ihipStream_tbEUljE_ZNSN_ISO_Lb0ESQ_SR_ST_SU_SY_EESZ_S10_S11_S12_S16_S17_S18_S1B_S1C_jS1D_jS1E_S1E_jjS1G_bEUljE0_EEESZ_S10_S11_S18_S1C_S1E_T6_T7_T9_mT8_S1G_bDpT10_ENKUlT_T0_E_clISt17integral_constantIbLb1EES1U_EEDaS1P_S1Q_EUlS1P_E_NS1_11comp_targetILNS1_3genE9ELNS1_11target_archE1100ELNS1_3gpuE3ELNS1_3repE0EEENS1_30default_config_static_selectorELNS0_4arch9wavefront6targetE0EEEvS12_,"axG",@progbits,_ZN7rocprim17ROCPRIM_400000_NS6detail17trampoline_kernelINS0_13select_configILj256ELj13ELNS0_17block_load_methodE3ELS4_3ELS4_3ELNS0_20block_scan_algorithmE0ELj4294967295EEENS1_25partition_config_selectorILNS1_17partition_subalgoE4EjNS0_10empty_typeEbEEZZNS1_14partition_implILS8_4ELb0ES6_15HIP_vector_typeIjLj2EENS0_17counting_iteratorIjlEEPS9_SG_NS0_5tupleIJPjSI_NS0_16reverse_iteratorISI_EEEEENSH_IJSG_SG_SG_EEES9_SI_JZNS1_25segmented_radix_sort_implINS0_14default_configELb0EPKdPdPKlPlN2at6native12_GLOBAL__N_18offset_tEEE10hipError_tPvRmT1_PNSt15iterator_traitsIS12_E10value_typeET2_T3_PNS13_IS18_E10value_typeET4_jRbjT5_S1E_jjP12ihipStream_tbEUljE_ZNSN_ISO_Lb0ESQ_SR_ST_SU_SY_EESZ_S10_S11_S12_S16_S17_S18_S1B_S1C_jS1D_jS1E_S1E_jjS1G_bEUljE0_EEESZ_S10_S11_S18_S1C_S1E_T6_T7_T9_mT8_S1G_bDpT10_ENKUlT_T0_E_clISt17integral_constantIbLb1EES1U_EEDaS1P_S1Q_EUlS1P_E_NS1_11comp_targetILNS1_3genE9ELNS1_11target_archE1100ELNS1_3gpuE3ELNS1_3repE0EEENS1_30default_config_static_selectorELNS0_4arch9wavefront6targetE0EEEvS12_,comdat
	.globl	_ZN7rocprim17ROCPRIM_400000_NS6detail17trampoline_kernelINS0_13select_configILj256ELj13ELNS0_17block_load_methodE3ELS4_3ELS4_3ELNS0_20block_scan_algorithmE0ELj4294967295EEENS1_25partition_config_selectorILNS1_17partition_subalgoE4EjNS0_10empty_typeEbEEZZNS1_14partition_implILS8_4ELb0ES6_15HIP_vector_typeIjLj2EENS0_17counting_iteratorIjlEEPS9_SG_NS0_5tupleIJPjSI_NS0_16reverse_iteratorISI_EEEEENSH_IJSG_SG_SG_EEES9_SI_JZNS1_25segmented_radix_sort_implINS0_14default_configELb0EPKdPdPKlPlN2at6native12_GLOBAL__N_18offset_tEEE10hipError_tPvRmT1_PNSt15iterator_traitsIS12_E10value_typeET2_T3_PNS13_IS18_E10value_typeET4_jRbjT5_S1E_jjP12ihipStream_tbEUljE_ZNSN_ISO_Lb0ESQ_SR_ST_SU_SY_EESZ_S10_S11_S12_S16_S17_S18_S1B_S1C_jS1D_jS1E_S1E_jjS1G_bEUljE0_EEESZ_S10_S11_S18_S1C_S1E_T6_T7_T9_mT8_S1G_bDpT10_ENKUlT_T0_E_clISt17integral_constantIbLb1EES1U_EEDaS1P_S1Q_EUlS1P_E_NS1_11comp_targetILNS1_3genE9ELNS1_11target_archE1100ELNS1_3gpuE3ELNS1_3repE0EEENS1_30default_config_static_selectorELNS0_4arch9wavefront6targetE0EEEvS12_ ; -- Begin function _ZN7rocprim17ROCPRIM_400000_NS6detail17trampoline_kernelINS0_13select_configILj256ELj13ELNS0_17block_load_methodE3ELS4_3ELS4_3ELNS0_20block_scan_algorithmE0ELj4294967295EEENS1_25partition_config_selectorILNS1_17partition_subalgoE4EjNS0_10empty_typeEbEEZZNS1_14partition_implILS8_4ELb0ES6_15HIP_vector_typeIjLj2EENS0_17counting_iteratorIjlEEPS9_SG_NS0_5tupleIJPjSI_NS0_16reverse_iteratorISI_EEEEENSH_IJSG_SG_SG_EEES9_SI_JZNS1_25segmented_radix_sort_implINS0_14default_configELb0EPKdPdPKlPlN2at6native12_GLOBAL__N_18offset_tEEE10hipError_tPvRmT1_PNSt15iterator_traitsIS12_E10value_typeET2_T3_PNS13_IS18_E10value_typeET4_jRbjT5_S1E_jjP12ihipStream_tbEUljE_ZNSN_ISO_Lb0ESQ_SR_ST_SU_SY_EESZ_S10_S11_S12_S16_S17_S18_S1B_S1C_jS1D_jS1E_S1E_jjS1G_bEUljE0_EEESZ_S10_S11_S18_S1C_S1E_T6_T7_T9_mT8_S1G_bDpT10_ENKUlT_T0_E_clISt17integral_constantIbLb1EES1U_EEDaS1P_S1Q_EUlS1P_E_NS1_11comp_targetILNS1_3genE9ELNS1_11target_archE1100ELNS1_3gpuE3ELNS1_3repE0EEENS1_30default_config_static_selectorELNS0_4arch9wavefront6targetE0EEEvS12_
	.p2align	8
	.type	_ZN7rocprim17ROCPRIM_400000_NS6detail17trampoline_kernelINS0_13select_configILj256ELj13ELNS0_17block_load_methodE3ELS4_3ELS4_3ELNS0_20block_scan_algorithmE0ELj4294967295EEENS1_25partition_config_selectorILNS1_17partition_subalgoE4EjNS0_10empty_typeEbEEZZNS1_14partition_implILS8_4ELb0ES6_15HIP_vector_typeIjLj2EENS0_17counting_iteratorIjlEEPS9_SG_NS0_5tupleIJPjSI_NS0_16reverse_iteratorISI_EEEEENSH_IJSG_SG_SG_EEES9_SI_JZNS1_25segmented_radix_sort_implINS0_14default_configELb0EPKdPdPKlPlN2at6native12_GLOBAL__N_18offset_tEEE10hipError_tPvRmT1_PNSt15iterator_traitsIS12_E10value_typeET2_T3_PNS13_IS18_E10value_typeET4_jRbjT5_S1E_jjP12ihipStream_tbEUljE_ZNSN_ISO_Lb0ESQ_SR_ST_SU_SY_EESZ_S10_S11_S12_S16_S17_S18_S1B_S1C_jS1D_jS1E_S1E_jjS1G_bEUljE0_EEESZ_S10_S11_S18_S1C_S1E_T6_T7_T9_mT8_S1G_bDpT10_ENKUlT_T0_E_clISt17integral_constantIbLb1EES1U_EEDaS1P_S1Q_EUlS1P_E_NS1_11comp_targetILNS1_3genE9ELNS1_11target_archE1100ELNS1_3gpuE3ELNS1_3repE0EEENS1_30default_config_static_selectorELNS0_4arch9wavefront6targetE0EEEvS12_,@function
_ZN7rocprim17ROCPRIM_400000_NS6detail17trampoline_kernelINS0_13select_configILj256ELj13ELNS0_17block_load_methodE3ELS4_3ELS4_3ELNS0_20block_scan_algorithmE0ELj4294967295EEENS1_25partition_config_selectorILNS1_17partition_subalgoE4EjNS0_10empty_typeEbEEZZNS1_14partition_implILS8_4ELb0ES6_15HIP_vector_typeIjLj2EENS0_17counting_iteratorIjlEEPS9_SG_NS0_5tupleIJPjSI_NS0_16reverse_iteratorISI_EEEEENSH_IJSG_SG_SG_EEES9_SI_JZNS1_25segmented_radix_sort_implINS0_14default_configELb0EPKdPdPKlPlN2at6native12_GLOBAL__N_18offset_tEEE10hipError_tPvRmT1_PNSt15iterator_traitsIS12_E10value_typeET2_T3_PNS13_IS18_E10value_typeET4_jRbjT5_S1E_jjP12ihipStream_tbEUljE_ZNSN_ISO_Lb0ESQ_SR_ST_SU_SY_EESZ_S10_S11_S12_S16_S17_S18_S1B_S1C_jS1D_jS1E_S1E_jjS1G_bEUljE0_EEESZ_S10_S11_S18_S1C_S1E_T6_T7_T9_mT8_S1G_bDpT10_ENKUlT_T0_E_clISt17integral_constantIbLb1EES1U_EEDaS1P_S1Q_EUlS1P_E_NS1_11comp_targetILNS1_3genE9ELNS1_11target_archE1100ELNS1_3gpuE3ELNS1_3repE0EEENS1_30default_config_static_selectorELNS0_4arch9wavefront6targetE0EEEvS12_: ; @_ZN7rocprim17ROCPRIM_400000_NS6detail17trampoline_kernelINS0_13select_configILj256ELj13ELNS0_17block_load_methodE3ELS4_3ELS4_3ELNS0_20block_scan_algorithmE0ELj4294967295EEENS1_25partition_config_selectorILNS1_17partition_subalgoE4EjNS0_10empty_typeEbEEZZNS1_14partition_implILS8_4ELb0ES6_15HIP_vector_typeIjLj2EENS0_17counting_iteratorIjlEEPS9_SG_NS0_5tupleIJPjSI_NS0_16reverse_iteratorISI_EEEEENSH_IJSG_SG_SG_EEES9_SI_JZNS1_25segmented_radix_sort_implINS0_14default_configELb0EPKdPdPKlPlN2at6native12_GLOBAL__N_18offset_tEEE10hipError_tPvRmT1_PNSt15iterator_traitsIS12_E10value_typeET2_T3_PNS13_IS18_E10value_typeET4_jRbjT5_S1E_jjP12ihipStream_tbEUljE_ZNSN_ISO_Lb0ESQ_SR_ST_SU_SY_EESZ_S10_S11_S12_S16_S17_S18_S1B_S1C_jS1D_jS1E_S1E_jjS1G_bEUljE0_EEESZ_S10_S11_S18_S1C_S1E_T6_T7_T9_mT8_S1G_bDpT10_ENKUlT_T0_E_clISt17integral_constantIbLb1EES1U_EEDaS1P_S1Q_EUlS1P_E_NS1_11comp_targetILNS1_3genE9ELNS1_11target_archE1100ELNS1_3gpuE3ELNS1_3repE0EEENS1_30default_config_static_selectorELNS0_4arch9wavefront6targetE0EEEvS12_
; %bb.0:
	.section	.rodata,"a",@progbits
	.p2align	6, 0x0
	.amdhsa_kernel _ZN7rocprim17ROCPRIM_400000_NS6detail17trampoline_kernelINS0_13select_configILj256ELj13ELNS0_17block_load_methodE3ELS4_3ELS4_3ELNS0_20block_scan_algorithmE0ELj4294967295EEENS1_25partition_config_selectorILNS1_17partition_subalgoE4EjNS0_10empty_typeEbEEZZNS1_14partition_implILS8_4ELb0ES6_15HIP_vector_typeIjLj2EENS0_17counting_iteratorIjlEEPS9_SG_NS0_5tupleIJPjSI_NS0_16reverse_iteratorISI_EEEEENSH_IJSG_SG_SG_EEES9_SI_JZNS1_25segmented_radix_sort_implINS0_14default_configELb0EPKdPdPKlPlN2at6native12_GLOBAL__N_18offset_tEEE10hipError_tPvRmT1_PNSt15iterator_traitsIS12_E10value_typeET2_T3_PNS13_IS18_E10value_typeET4_jRbjT5_S1E_jjP12ihipStream_tbEUljE_ZNSN_ISO_Lb0ESQ_SR_ST_SU_SY_EESZ_S10_S11_S12_S16_S17_S18_S1B_S1C_jS1D_jS1E_S1E_jjS1G_bEUljE0_EEESZ_S10_S11_S18_S1C_S1E_T6_T7_T9_mT8_S1G_bDpT10_ENKUlT_T0_E_clISt17integral_constantIbLb1EES1U_EEDaS1P_S1Q_EUlS1P_E_NS1_11comp_targetILNS1_3genE9ELNS1_11target_archE1100ELNS1_3gpuE3ELNS1_3repE0EEENS1_30default_config_static_selectorELNS0_4arch9wavefront6targetE0EEEvS12_
		.amdhsa_group_segment_fixed_size 0
		.amdhsa_private_segment_fixed_size 0
		.amdhsa_kernarg_size 184
		.amdhsa_user_sgpr_count 2
		.amdhsa_user_sgpr_dispatch_ptr 0
		.amdhsa_user_sgpr_queue_ptr 0
		.amdhsa_user_sgpr_kernarg_segment_ptr 1
		.amdhsa_user_sgpr_dispatch_id 0
		.amdhsa_user_sgpr_private_segment_size 0
		.amdhsa_wavefront_size32 1
		.amdhsa_uses_dynamic_stack 0
		.amdhsa_enable_private_segment 0
		.amdhsa_system_sgpr_workgroup_id_x 1
		.amdhsa_system_sgpr_workgroup_id_y 0
		.amdhsa_system_sgpr_workgroup_id_z 0
		.amdhsa_system_sgpr_workgroup_info 0
		.amdhsa_system_vgpr_workitem_id 0
		.amdhsa_next_free_vgpr 1
		.amdhsa_next_free_sgpr 1
		.amdhsa_reserve_vcc 0
		.amdhsa_float_round_mode_32 0
		.amdhsa_float_round_mode_16_64 0
		.amdhsa_float_denorm_mode_32 3
		.amdhsa_float_denorm_mode_16_64 3
		.amdhsa_fp16_overflow 0
		.amdhsa_workgroup_processor_mode 1
		.amdhsa_memory_ordered 1
		.amdhsa_forward_progress 1
		.amdhsa_inst_pref_size 0
		.amdhsa_round_robin_scheduling 0
		.amdhsa_exception_fp_ieee_invalid_op 0
		.amdhsa_exception_fp_denorm_src 0
		.amdhsa_exception_fp_ieee_div_zero 0
		.amdhsa_exception_fp_ieee_overflow 0
		.amdhsa_exception_fp_ieee_underflow 0
		.amdhsa_exception_fp_ieee_inexact 0
		.amdhsa_exception_int_div_zero 0
	.end_amdhsa_kernel
	.section	.text._ZN7rocprim17ROCPRIM_400000_NS6detail17trampoline_kernelINS0_13select_configILj256ELj13ELNS0_17block_load_methodE3ELS4_3ELS4_3ELNS0_20block_scan_algorithmE0ELj4294967295EEENS1_25partition_config_selectorILNS1_17partition_subalgoE4EjNS0_10empty_typeEbEEZZNS1_14partition_implILS8_4ELb0ES6_15HIP_vector_typeIjLj2EENS0_17counting_iteratorIjlEEPS9_SG_NS0_5tupleIJPjSI_NS0_16reverse_iteratorISI_EEEEENSH_IJSG_SG_SG_EEES9_SI_JZNS1_25segmented_radix_sort_implINS0_14default_configELb0EPKdPdPKlPlN2at6native12_GLOBAL__N_18offset_tEEE10hipError_tPvRmT1_PNSt15iterator_traitsIS12_E10value_typeET2_T3_PNS13_IS18_E10value_typeET4_jRbjT5_S1E_jjP12ihipStream_tbEUljE_ZNSN_ISO_Lb0ESQ_SR_ST_SU_SY_EESZ_S10_S11_S12_S16_S17_S18_S1B_S1C_jS1D_jS1E_S1E_jjS1G_bEUljE0_EEESZ_S10_S11_S18_S1C_S1E_T6_T7_T9_mT8_S1G_bDpT10_ENKUlT_T0_E_clISt17integral_constantIbLb1EES1U_EEDaS1P_S1Q_EUlS1P_E_NS1_11comp_targetILNS1_3genE9ELNS1_11target_archE1100ELNS1_3gpuE3ELNS1_3repE0EEENS1_30default_config_static_selectorELNS0_4arch9wavefront6targetE0EEEvS12_,"axG",@progbits,_ZN7rocprim17ROCPRIM_400000_NS6detail17trampoline_kernelINS0_13select_configILj256ELj13ELNS0_17block_load_methodE3ELS4_3ELS4_3ELNS0_20block_scan_algorithmE0ELj4294967295EEENS1_25partition_config_selectorILNS1_17partition_subalgoE4EjNS0_10empty_typeEbEEZZNS1_14partition_implILS8_4ELb0ES6_15HIP_vector_typeIjLj2EENS0_17counting_iteratorIjlEEPS9_SG_NS0_5tupleIJPjSI_NS0_16reverse_iteratorISI_EEEEENSH_IJSG_SG_SG_EEES9_SI_JZNS1_25segmented_radix_sort_implINS0_14default_configELb0EPKdPdPKlPlN2at6native12_GLOBAL__N_18offset_tEEE10hipError_tPvRmT1_PNSt15iterator_traitsIS12_E10value_typeET2_T3_PNS13_IS18_E10value_typeET4_jRbjT5_S1E_jjP12ihipStream_tbEUljE_ZNSN_ISO_Lb0ESQ_SR_ST_SU_SY_EESZ_S10_S11_S12_S16_S17_S18_S1B_S1C_jS1D_jS1E_S1E_jjS1G_bEUljE0_EEESZ_S10_S11_S18_S1C_S1E_T6_T7_T9_mT8_S1G_bDpT10_ENKUlT_T0_E_clISt17integral_constantIbLb1EES1U_EEDaS1P_S1Q_EUlS1P_E_NS1_11comp_targetILNS1_3genE9ELNS1_11target_archE1100ELNS1_3gpuE3ELNS1_3repE0EEENS1_30default_config_static_selectorELNS0_4arch9wavefront6targetE0EEEvS12_,comdat
.Lfunc_end1171:
	.size	_ZN7rocprim17ROCPRIM_400000_NS6detail17trampoline_kernelINS0_13select_configILj256ELj13ELNS0_17block_load_methodE3ELS4_3ELS4_3ELNS0_20block_scan_algorithmE0ELj4294967295EEENS1_25partition_config_selectorILNS1_17partition_subalgoE4EjNS0_10empty_typeEbEEZZNS1_14partition_implILS8_4ELb0ES6_15HIP_vector_typeIjLj2EENS0_17counting_iteratorIjlEEPS9_SG_NS0_5tupleIJPjSI_NS0_16reverse_iteratorISI_EEEEENSH_IJSG_SG_SG_EEES9_SI_JZNS1_25segmented_radix_sort_implINS0_14default_configELb0EPKdPdPKlPlN2at6native12_GLOBAL__N_18offset_tEEE10hipError_tPvRmT1_PNSt15iterator_traitsIS12_E10value_typeET2_T3_PNS13_IS18_E10value_typeET4_jRbjT5_S1E_jjP12ihipStream_tbEUljE_ZNSN_ISO_Lb0ESQ_SR_ST_SU_SY_EESZ_S10_S11_S12_S16_S17_S18_S1B_S1C_jS1D_jS1E_S1E_jjS1G_bEUljE0_EEESZ_S10_S11_S18_S1C_S1E_T6_T7_T9_mT8_S1G_bDpT10_ENKUlT_T0_E_clISt17integral_constantIbLb1EES1U_EEDaS1P_S1Q_EUlS1P_E_NS1_11comp_targetILNS1_3genE9ELNS1_11target_archE1100ELNS1_3gpuE3ELNS1_3repE0EEENS1_30default_config_static_selectorELNS0_4arch9wavefront6targetE0EEEvS12_, .Lfunc_end1171-_ZN7rocprim17ROCPRIM_400000_NS6detail17trampoline_kernelINS0_13select_configILj256ELj13ELNS0_17block_load_methodE3ELS4_3ELS4_3ELNS0_20block_scan_algorithmE0ELj4294967295EEENS1_25partition_config_selectorILNS1_17partition_subalgoE4EjNS0_10empty_typeEbEEZZNS1_14partition_implILS8_4ELb0ES6_15HIP_vector_typeIjLj2EENS0_17counting_iteratorIjlEEPS9_SG_NS0_5tupleIJPjSI_NS0_16reverse_iteratorISI_EEEEENSH_IJSG_SG_SG_EEES9_SI_JZNS1_25segmented_radix_sort_implINS0_14default_configELb0EPKdPdPKlPlN2at6native12_GLOBAL__N_18offset_tEEE10hipError_tPvRmT1_PNSt15iterator_traitsIS12_E10value_typeET2_T3_PNS13_IS18_E10value_typeET4_jRbjT5_S1E_jjP12ihipStream_tbEUljE_ZNSN_ISO_Lb0ESQ_SR_ST_SU_SY_EESZ_S10_S11_S12_S16_S17_S18_S1B_S1C_jS1D_jS1E_S1E_jjS1G_bEUljE0_EEESZ_S10_S11_S18_S1C_S1E_T6_T7_T9_mT8_S1G_bDpT10_ENKUlT_T0_E_clISt17integral_constantIbLb1EES1U_EEDaS1P_S1Q_EUlS1P_E_NS1_11comp_targetILNS1_3genE9ELNS1_11target_archE1100ELNS1_3gpuE3ELNS1_3repE0EEENS1_30default_config_static_selectorELNS0_4arch9wavefront6targetE0EEEvS12_
                                        ; -- End function
	.set _ZN7rocprim17ROCPRIM_400000_NS6detail17trampoline_kernelINS0_13select_configILj256ELj13ELNS0_17block_load_methodE3ELS4_3ELS4_3ELNS0_20block_scan_algorithmE0ELj4294967295EEENS1_25partition_config_selectorILNS1_17partition_subalgoE4EjNS0_10empty_typeEbEEZZNS1_14partition_implILS8_4ELb0ES6_15HIP_vector_typeIjLj2EENS0_17counting_iteratorIjlEEPS9_SG_NS0_5tupleIJPjSI_NS0_16reverse_iteratorISI_EEEEENSH_IJSG_SG_SG_EEES9_SI_JZNS1_25segmented_radix_sort_implINS0_14default_configELb0EPKdPdPKlPlN2at6native12_GLOBAL__N_18offset_tEEE10hipError_tPvRmT1_PNSt15iterator_traitsIS12_E10value_typeET2_T3_PNS13_IS18_E10value_typeET4_jRbjT5_S1E_jjP12ihipStream_tbEUljE_ZNSN_ISO_Lb0ESQ_SR_ST_SU_SY_EESZ_S10_S11_S12_S16_S17_S18_S1B_S1C_jS1D_jS1E_S1E_jjS1G_bEUljE0_EEESZ_S10_S11_S18_S1C_S1E_T6_T7_T9_mT8_S1G_bDpT10_ENKUlT_T0_E_clISt17integral_constantIbLb1EES1U_EEDaS1P_S1Q_EUlS1P_E_NS1_11comp_targetILNS1_3genE9ELNS1_11target_archE1100ELNS1_3gpuE3ELNS1_3repE0EEENS1_30default_config_static_selectorELNS0_4arch9wavefront6targetE0EEEvS12_.num_vgpr, 0
	.set _ZN7rocprim17ROCPRIM_400000_NS6detail17trampoline_kernelINS0_13select_configILj256ELj13ELNS0_17block_load_methodE3ELS4_3ELS4_3ELNS0_20block_scan_algorithmE0ELj4294967295EEENS1_25partition_config_selectorILNS1_17partition_subalgoE4EjNS0_10empty_typeEbEEZZNS1_14partition_implILS8_4ELb0ES6_15HIP_vector_typeIjLj2EENS0_17counting_iteratorIjlEEPS9_SG_NS0_5tupleIJPjSI_NS0_16reverse_iteratorISI_EEEEENSH_IJSG_SG_SG_EEES9_SI_JZNS1_25segmented_radix_sort_implINS0_14default_configELb0EPKdPdPKlPlN2at6native12_GLOBAL__N_18offset_tEEE10hipError_tPvRmT1_PNSt15iterator_traitsIS12_E10value_typeET2_T3_PNS13_IS18_E10value_typeET4_jRbjT5_S1E_jjP12ihipStream_tbEUljE_ZNSN_ISO_Lb0ESQ_SR_ST_SU_SY_EESZ_S10_S11_S12_S16_S17_S18_S1B_S1C_jS1D_jS1E_S1E_jjS1G_bEUljE0_EEESZ_S10_S11_S18_S1C_S1E_T6_T7_T9_mT8_S1G_bDpT10_ENKUlT_T0_E_clISt17integral_constantIbLb1EES1U_EEDaS1P_S1Q_EUlS1P_E_NS1_11comp_targetILNS1_3genE9ELNS1_11target_archE1100ELNS1_3gpuE3ELNS1_3repE0EEENS1_30default_config_static_selectorELNS0_4arch9wavefront6targetE0EEEvS12_.num_agpr, 0
	.set _ZN7rocprim17ROCPRIM_400000_NS6detail17trampoline_kernelINS0_13select_configILj256ELj13ELNS0_17block_load_methodE3ELS4_3ELS4_3ELNS0_20block_scan_algorithmE0ELj4294967295EEENS1_25partition_config_selectorILNS1_17partition_subalgoE4EjNS0_10empty_typeEbEEZZNS1_14partition_implILS8_4ELb0ES6_15HIP_vector_typeIjLj2EENS0_17counting_iteratorIjlEEPS9_SG_NS0_5tupleIJPjSI_NS0_16reverse_iteratorISI_EEEEENSH_IJSG_SG_SG_EEES9_SI_JZNS1_25segmented_radix_sort_implINS0_14default_configELb0EPKdPdPKlPlN2at6native12_GLOBAL__N_18offset_tEEE10hipError_tPvRmT1_PNSt15iterator_traitsIS12_E10value_typeET2_T3_PNS13_IS18_E10value_typeET4_jRbjT5_S1E_jjP12ihipStream_tbEUljE_ZNSN_ISO_Lb0ESQ_SR_ST_SU_SY_EESZ_S10_S11_S12_S16_S17_S18_S1B_S1C_jS1D_jS1E_S1E_jjS1G_bEUljE0_EEESZ_S10_S11_S18_S1C_S1E_T6_T7_T9_mT8_S1G_bDpT10_ENKUlT_T0_E_clISt17integral_constantIbLb1EES1U_EEDaS1P_S1Q_EUlS1P_E_NS1_11comp_targetILNS1_3genE9ELNS1_11target_archE1100ELNS1_3gpuE3ELNS1_3repE0EEENS1_30default_config_static_selectorELNS0_4arch9wavefront6targetE0EEEvS12_.numbered_sgpr, 0
	.set _ZN7rocprim17ROCPRIM_400000_NS6detail17trampoline_kernelINS0_13select_configILj256ELj13ELNS0_17block_load_methodE3ELS4_3ELS4_3ELNS0_20block_scan_algorithmE0ELj4294967295EEENS1_25partition_config_selectorILNS1_17partition_subalgoE4EjNS0_10empty_typeEbEEZZNS1_14partition_implILS8_4ELb0ES6_15HIP_vector_typeIjLj2EENS0_17counting_iteratorIjlEEPS9_SG_NS0_5tupleIJPjSI_NS0_16reverse_iteratorISI_EEEEENSH_IJSG_SG_SG_EEES9_SI_JZNS1_25segmented_radix_sort_implINS0_14default_configELb0EPKdPdPKlPlN2at6native12_GLOBAL__N_18offset_tEEE10hipError_tPvRmT1_PNSt15iterator_traitsIS12_E10value_typeET2_T3_PNS13_IS18_E10value_typeET4_jRbjT5_S1E_jjP12ihipStream_tbEUljE_ZNSN_ISO_Lb0ESQ_SR_ST_SU_SY_EESZ_S10_S11_S12_S16_S17_S18_S1B_S1C_jS1D_jS1E_S1E_jjS1G_bEUljE0_EEESZ_S10_S11_S18_S1C_S1E_T6_T7_T9_mT8_S1G_bDpT10_ENKUlT_T0_E_clISt17integral_constantIbLb1EES1U_EEDaS1P_S1Q_EUlS1P_E_NS1_11comp_targetILNS1_3genE9ELNS1_11target_archE1100ELNS1_3gpuE3ELNS1_3repE0EEENS1_30default_config_static_selectorELNS0_4arch9wavefront6targetE0EEEvS12_.num_named_barrier, 0
	.set _ZN7rocprim17ROCPRIM_400000_NS6detail17trampoline_kernelINS0_13select_configILj256ELj13ELNS0_17block_load_methodE3ELS4_3ELS4_3ELNS0_20block_scan_algorithmE0ELj4294967295EEENS1_25partition_config_selectorILNS1_17partition_subalgoE4EjNS0_10empty_typeEbEEZZNS1_14partition_implILS8_4ELb0ES6_15HIP_vector_typeIjLj2EENS0_17counting_iteratorIjlEEPS9_SG_NS0_5tupleIJPjSI_NS0_16reverse_iteratorISI_EEEEENSH_IJSG_SG_SG_EEES9_SI_JZNS1_25segmented_radix_sort_implINS0_14default_configELb0EPKdPdPKlPlN2at6native12_GLOBAL__N_18offset_tEEE10hipError_tPvRmT1_PNSt15iterator_traitsIS12_E10value_typeET2_T3_PNS13_IS18_E10value_typeET4_jRbjT5_S1E_jjP12ihipStream_tbEUljE_ZNSN_ISO_Lb0ESQ_SR_ST_SU_SY_EESZ_S10_S11_S12_S16_S17_S18_S1B_S1C_jS1D_jS1E_S1E_jjS1G_bEUljE0_EEESZ_S10_S11_S18_S1C_S1E_T6_T7_T9_mT8_S1G_bDpT10_ENKUlT_T0_E_clISt17integral_constantIbLb1EES1U_EEDaS1P_S1Q_EUlS1P_E_NS1_11comp_targetILNS1_3genE9ELNS1_11target_archE1100ELNS1_3gpuE3ELNS1_3repE0EEENS1_30default_config_static_selectorELNS0_4arch9wavefront6targetE0EEEvS12_.private_seg_size, 0
	.set _ZN7rocprim17ROCPRIM_400000_NS6detail17trampoline_kernelINS0_13select_configILj256ELj13ELNS0_17block_load_methodE3ELS4_3ELS4_3ELNS0_20block_scan_algorithmE0ELj4294967295EEENS1_25partition_config_selectorILNS1_17partition_subalgoE4EjNS0_10empty_typeEbEEZZNS1_14partition_implILS8_4ELb0ES6_15HIP_vector_typeIjLj2EENS0_17counting_iteratorIjlEEPS9_SG_NS0_5tupleIJPjSI_NS0_16reverse_iteratorISI_EEEEENSH_IJSG_SG_SG_EEES9_SI_JZNS1_25segmented_radix_sort_implINS0_14default_configELb0EPKdPdPKlPlN2at6native12_GLOBAL__N_18offset_tEEE10hipError_tPvRmT1_PNSt15iterator_traitsIS12_E10value_typeET2_T3_PNS13_IS18_E10value_typeET4_jRbjT5_S1E_jjP12ihipStream_tbEUljE_ZNSN_ISO_Lb0ESQ_SR_ST_SU_SY_EESZ_S10_S11_S12_S16_S17_S18_S1B_S1C_jS1D_jS1E_S1E_jjS1G_bEUljE0_EEESZ_S10_S11_S18_S1C_S1E_T6_T7_T9_mT8_S1G_bDpT10_ENKUlT_T0_E_clISt17integral_constantIbLb1EES1U_EEDaS1P_S1Q_EUlS1P_E_NS1_11comp_targetILNS1_3genE9ELNS1_11target_archE1100ELNS1_3gpuE3ELNS1_3repE0EEENS1_30default_config_static_selectorELNS0_4arch9wavefront6targetE0EEEvS12_.uses_vcc, 0
	.set _ZN7rocprim17ROCPRIM_400000_NS6detail17trampoline_kernelINS0_13select_configILj256ELj13ELNS0_17block_load_methodE3ELS4_3ELS4_3ELNS0_20block_scan_algorithmE0ELj4294967295EEENS1_25partition_config_selectorILNS1_17partition_subalgoE4EjNS0_10empty_typeEbEEZZNS1_14partition_implILS8_4ELb0ES6_15HIP_vector_typeIjLj2EENS0_17counting_iteratorIjlEEPS9_SG_NS0_5tupleIJPjSI_NS0_16reverse_iteratorISI_EEEEENSH_IJSG_SG_SG_EEES9_SI_JZNS1_25segmented_radix_sort_implINS0_14default_configELb0EPKdPdPKlPlN2at6native12_GLOBAL__N_18offset_tEEE10hipError_tPvRmT1_PNSt15iterator_traitsIS12_E10value_typeET2_T3_PNS13_IS18_E10value_typeET4_jRbjT5_S1E_jjP12ihipStream_tbEUljE_ZNSN_ISO_Lb0ESQ_SR_ST_SU_SY_EESZ_S10_S11_S12_S16_S17_S18_S1B_S1C_jS1D_jS1E_S1E_jjS1G_bEUljE0_EEESZ_S10_S11_S18_S1C_S1E_T6_T7_T9_mT8_S1G_bDpT10_ENKUlT_T0_E_clISt17integral_constantIbLb1EES1U_EEDaS1P_S1Q_EUlS1P_E_NS1_11comp_targetILNS1_3genE9ELNS1_11target_archE1100ELNS1_3gpuE3ELNS1_3repE0EEENS1_30default_config_static_selectorELNS0_4arch9wavefront6targetE0EEEvS12_.uses_flat_scratch, 0
	.set _ZN7rocprim17ROCPRIM_400000_NS6detail17trampoline_kernelINS0_13select_configILj256ELj13ELNS0_17block_load_methodE3ELS4_3ELS4_3ELNS0_20block_scan_algorithmE0ELj4294967295EEENS1_25partition_config_selectorILNS1_17partition_subalgoE4EjNS0_10empty_typeEbEEZZNS1_14partition_implILS8_4ELb0ES6_15HIP_vector_typeIjLj2EENS0_17counting_iteratorIjlEEPS9_SG_NS0_5tupleIJPjSI_NS0_16reverse_iteratorISI_EEEEENSH_IJSG_SG_SG_EEES9_SI_JZNS1_25segmented_radix_sort_implINS0_14default_configELb0EPKdPdPKlPlN2at6native12_GLOBAL__N_18offset_tEEE10hipError_tPvRmT1_PNSt15iterator_traitsIS12_E10value_typeET2_T3_PNS13_IS18_E10value_typeET4_jRbjT5_S1E_jjP12ihipStream_tbEUljE_ZNSN_ISO_Lb0ESQ_SR_ST_SU_SY_EESZ_S10_S11_S12_S16_S17_S18_S1B_S1C_jS1D_jS1E_S1E_jjS1G_bEUljE0_EEESZ_S10_S11_S18_S1C_S1E_T6_T7_T9_mT8_S1G_bDpT10_ENKUlT_T0_E_clISt17integral_constantIbLb1EES1U_EEDaS1P_S1Q_EUlS1P_E_NS1_11comp_targetILNS1_3genE9ELNS1_11target_archE1100ELNS1_3gpuE3ELNS1_3repE0EEENS1_30default_config_static_selectorELNS0_4arch9wavefront6targetE0EEEvS12_.has_dyn_sized_stack, 0
	.set _ZN7rocprim17ROCPRIM_400000_NS6detail17trampoline_kernelINS0_13select_configILj256ELj13ELNS0_17block_load_methodE3ELS4_3ELS4_3ELNS0_20block_scan_algorithmE0ELj4294967295EEENS1_25partition_config_selectorILNS1_17partition_subalgoE4EjNS0_10empty_typeEbEEZZNS1_14partition_implILS8_4ELb0ES6_15HIP_vector_typeIjLj2EENS0_17counting_iteratorIjlEEPS9_SG_NS0_5tupleIJPjSI_NS0_16reverse_iteratorISI_EEEEENSH_IJSG_SG_SG_EEES9_SI_JZNS1_25segmented_radix_sort_implINS0_14default_configELb0EPKdPdPKlPlN2at6native12_GLOBAL__N_18offset_tEEE10hipError_tPvRmT1_PNSt15iterator_traitsIS12_E10value_typeET2_T3_PNS13_IS18_E10value_typeET4_jRbjT5_S1E_jjP12ihipStream_tbEUljE_ZNSN_ISO_Lb0ESQ_SR_ST_SU_SY_EESZ_S10_S11_S12_S16_S17_S18_S1B_S1C_jS1D_jS1E_S1E_jjS1G_bEUljE0_EEESZ_S10_S11_S18_S1C_S1E_T6_T7_T9_mT8_S1G_bDpT10_ENKUlT_T0_E_clISt17integral_constantIbLb1EES1U_EEDaS1P_S1Q_EUlS1P_E_NS1_11comp_targetILNS1_3genE9ELNS1_11target_archE1100ELNS1_3gpuE3ELNS1_3repE0EEENS1_30default_config_static_selectorELNS0_4arch9wavefront6targetE0EEEvS12_.has_recursion, 0
	.set _ZN7rocprim17ROCPRIM_400000_NS6detail17trampoline_kernelINS0_13select_configILj256ELj13ELNS0_17block_load_methodE3ELS4_3ELS4_3ELNS0_20block_scan_algorithmE0ELj4294967295EEENS1_25partition_config_selectorILNS1_17partition_subalgoE4EjNS0_10empty_typeEbEEZZNS1_14partition_implILS8_4ELb0ES6_15HIP_vector_typeIjLj2EENS0_17counting_iteratorIjlEEPS9_SG_NS0_5tupleIJPjSI_NS0_16reverse_iteratorISI_EEEEENSH_IJSG_SG_SG_EEES9_SI_JZNS1_25segmented_radix_sort_implINS0_14default_configELb0EPKdPdPKlPlN2at6native12_GLOBAL__N_18offset_tEEE10hipError_tPvRmT1_PNSt15iterator_traitsIS12_E10value_typeET2_T3_PNS13_IS18_E10value_typeET4_jRbjT5_S1E_jjP12ihipStream_tbEUljE_ZNSN_ISO_Lb0ESQ_SR_ST_SU_SY_EESZ_S10_S11_S12_S16_S17_S18_S1B_S1C_jS1D_jS1E_S1E_jjS1G_bEUljE0_EEESZ_S10_S11_S18_S1C_S1E_T6_T7_T9_mT8_S1G_bDpT10_ENKUlT_T0_E_clISt17integral_constantIbLb1EES1U_EEDaS1P_S1Q_EUlS1P_E_NS1_11comp_targetILNS1_3genE9ELNS1_11target_archE1100ELNS1_3gpuE3ELNS1_3repE0EEENS1_30default_config_static_selectorELNS0_4arch9wavefront6targetE0EEEvS12_.has_indirect_call, 0
	.section	.AMDGPU.csdata,"",@progbits
; Kernel info:
; codeLenInByte = 0
; TotalNumSgprs: 0
; NumVgprs: 0
; ScratchSize: 0
; MemoryBound: 0
; FloatMode: 240
; IeeeMode: 1
; LDSByteSize: 0 bytes/workgroup (compile time only)
; SGPRBlocks: 0
; VGPRBlocks: 0
; NumSGPRsForWavesPerEU: 1
; NumVGPRsForWavesPerEU: 1
; Occupancy: 16
; WaveLimiterHint : 0
; COMPUTE_PGM_RSRC2:SCRATCH_EN: 0
; COMPUTE_PGM_RSRC2:USER_SGPR: 2
; COMPUTE_PGM_RSRC2:TRAP_HANDLER: 0
; COMPUTE_PGM_RSRC2:TGID_X_EN: 1
; COMPUTE_PGM_RSRC2:TGID_Y_EN: 0
; COMPUTE_PGM_RSRC2:TGID_Z_EN: 0
; COMPUTE_PGM_RSRC2:TIDIG_COMP_CNT: 0
	.section	.text._ZN7rocprim17ROCPRIM_400000_NS6detail17trampoline_kernelINS0_13select_configILj256ELj13ELNS0_17block_load_methodE3ELS4_3ELS4_3ELNS0_20block_scan_algorithmE0ELj4294967295EEENS1_25partition_config_selectorILNS1_17partition_subalgoE4EjNS0_10empty_typeEbEEZZNS1_14partition_implILS8_4ELb0ES6_15HIP_vector_typeIjLj2EENS0_17counting_iteratorIjlEEPS9_SG_NS0_5tupleIJPjSI_NS0_16reverse_iteratorISI_EEEEENSH_IJSG_SG_SG_EEES9_SI_JZNS1_25segmented_radix_sort_implINS0_14default_configELb0EPKdPdPKlPlN2at6native12_GLOBAL__N_18offset_tEEE10hipError_tPvRmT1_PNSt15iterator_traitsIS12_E10value_typeET2_T3_PNS13_IS18_E10value_typeET4_jRbjT5_S1E_jjP12ihipStream_tbEUljE_ZNSN_ISO_Lb0ESQ_SR_ST_SU_SY_EESZ_S10_S11_S12_S16_S17_S18_S1B_S1C_jS1D_jS1E_S1E_jjS1G_bEUljE0_EEESZ_S10_S11_S18_S1C_S1E_T6_T7_T9_mT8_S1G_bDpT10_ENKUlT_T0_E_clISt17integral_constantIbLb1EES1U_EEDaS1P_S1Q_EUlS1P_E_NS1_11comp_targetILNS1_3genE8ELNS1_11target_archE1030ELNS1_3gpuE2ELNS1_3repE0EEENS1_30default_config_static_selectorELNS0_4arch9wavefront6targetE0EEEvS12_,"axG",@progbits,_ZN7rocprim17ROCPRIM_400000_NS6detail17trampoline_kernelINS0_13select_configILj256ELj13ELNS0_17block_load_methodE3ELS4_3ELS4_3ELNS0_20block_scan_algorithmE0ELj4294967295EEENS1_25partition_config_selectorILNS1_17partition_subalgoE4EjNS0_10empty_typeEbEEZZNS1_14partition_implILS8_4ELb0ES6_15HIP_vector_typeIjLj2EENS0_17counting_iteratorIjlEEPS9_SG_NS0_5tupleIJPjSI_NS0_16reverse_iteratorISI_EEEEENSH_IJSG_SG_SG_EEES9_SI_JZNS1_25segmented_radix_sort_implINS0_14default_configELb0EPKdPdPKlPlN2at6native12_GLOBAL__N_18offset_tEEE10hipError_tPvRmT1_PNSt15iterator_traitsIS12_E10value_typeET2_T3_PNS13_IS18_E10value_typeET4_jRbjT5_S1E_jjP12ihipStream_tbEUljE_ZNSN_ISO_Lb0ESQ_SR_ST_SU_SY_EESZ_S10_S11_S12_S16_S17_S18_S1B_S1C_jS1D_jS1E_S1E_jjS1G_bEUljE0_EEESZ_S10_S11_S18_S1C_S1E_T6_T7_T9_mT8_S1G_bDpT10_ENKUlT_T0_E_clISt17integral_constantIbLb1EES1U_EEDaS1P_S1Q_EUlS1P_E_NS1_11comp_targetILNS1_3genE8ELNS1_11target_archE1030ELNS1_3gpuE2ELNS1_3repE0EEENS1_30default_config_static_selectorELNS0_4arch9wavefront6targetE0EEEvS12_,comdat
	.globl	_ZN7rocprim17ROCPRIM_400000_NS6detail17trampoline_kernelINS0_13select_configILj256ELj13ELNS0_17block_load_methodE3ELS4_3ELS4_3ELNS0_20block_scan_algorithmE0ELj4294967295EEENS1_25partition_config_selectorILNS1_17partition_subalgoE4EjNS0_10empty_typeEbEEZZNS1_14partition_implILS8_4ELb0ES6_15HIP_vector_typeIjLj2EENS0_17counting_iteratorIjlEEPS9_SG_NS0_5tupleIJPjSI_NS0_16reverse_iteratorISI_EEEEENSH_IJSG_SG_SG_EEES9_SI_JZNS1_25segmented_radix_sort_implINS0_14default_configELb0EPKdPdPKlPlN2at6native12_GLOBAL__N_18offset_tEEE10hipError_tPvRmT1_PNSt15iterator_traitsIS12_E10value_typeET2_T3_PNS13_IS18_E10value_typeET4_jRbjT5_S1E_jjP12ihipStream_tbEUljE_ZNSN_ISO_Lb0ESQ_SR_ST_SU_SY_EESZ_S10_S11_S12_S16_S17_S18_S1B_S1C_jS1D_jS1E_S1E_jjS1G_bEUljE0_EEESZ_S10_S11_S18_S1C_S1E_T6_T7_T9_mT8_S1G_bDpT10_ENKUlT_T0_E_clISt17integral_constantIbLb1EES1U_EEDaS1P_S1Q_EUlS1P_E_NS1_11comp_targetILNS1_3genE8ELNS1_11target_archE1030ELNS1_3gpuE2ELNS1_3repE0EEENS1_30default_config_static_selectorELNS0_4arch9wavefront6targetE0EEEvS12_ ; -- Begin function _ZN7rocprim17ROCPRIM_400000_NS6detail17trampoline_kernelINS0_13select_configILj256ELj13ELNS0_17block_load_methodE3ELS4_3ELS4_3ELNS0_20block_scan_algorithmE0ELj4294967295EEENS1_25partition_config_selectorILNS1_17partition_subalgoE4EjNS0_10empty_typeEbEEZZNS1_14partition_implILS8_4ELb0ES6_15HIP_vector_typeIjLj2EENS0_17counting_iteratorIjlEEPS9_SG_NS0_5tupleIJPjSI_NS0_16reverse_iteratorISI_EEEEENSH_IJSG_SG_SG_EEES9_SI_JZNS1_25segmented_radix_sort_implINS0_14default_configELb0EPKdPdPKlPlN2at6native12_GLOBAL__N_18offset_tEEE10hipError_tPvRmT1_PNSt15iterator_traitsIS12_E10value_typeET2_T3_PNS13_IS18_E10value_typeET4_jRbjT5_S1E_jjP12ihipStream_tbEUljE_ZNSN_ISO_Lb0ESQ_SR_ST_SU_SY_EESZ_S10_S11_S12_S16_S17_S18_S1B_S1C_jS1D_jS1E_S1E_jjS1G_bEUljE0_EEESZ_S10_S11_S18_S1C_S1E_T6_T7_T9_mT8_S1G_bDpT10_ENKUlT_T0_E_clISt17integral_constantIbLb1EES1U_EEDaS1P_S1Q_EUlS1P_E_NS1_11comp_targetILNS1_3genE8ELNS1_11target_archE1030ELNS1_3gpuE2ELNS1_3repE0EEENS1_30default_config_static_selectorELNS0_4arch9wavefront6targetE0EEEvS12_
	.p2align	8
	.type	_ZN7rocprim17ROCPRIM_400000_NS6detail17trampoline_kernelINS0_13select_configILj256ELj13ELNS0_17block_load_methodE3ELS4_3ELS4_3ELNS0_20block_scan_algorithmE0ELj4294967295EEENS1_25partition_config_selectorILNS1_17partition_subalgoE4EjNS0_10empty_typeEbEEZZNS1_14partition_implILS8_4ELb0ES6_15HIP_vector_typeIjLj2EENS0_17counting_iteratorIjlEEPS9_SG_NS0_5tupleIJPjSI_NS0_16reverse_iteratorISI_EEEEENSH_IJSG_SG_SG_EEES9_SI_JZNS1_25segmented_radix_sort_implINS0_14default_configELb0EPKdPdPKlPlN2at6native12_GLOBAL__N_18offset_tEEE10hipError_tPvRmT1_PNSt15iterator_traitsIS12_E10value_typeET2_T3_PNS13_IS18_E10value_typeET4_jRbjT5_S1E_jjP12ihipStream_tbEUljE_ZNSN_ISO_Lb0ESQ_SR_ST_SU_SY_EESZ_S10_S11_S12_S16_S17_S18_S1B_S1C_jS1D_jS1E_S1E_jjS1G_bEUljE0_EEESZ_S10_S11_S18_S1C_S1E_T6_T7_T9_mT8_S1G_bDpT10_ENKUlT_T0_E_clISt17integral_constantIbLb1EES1U_EEDaS1P_S1Q_EUlS1P_E_NS1_11comp_targetILNS1_3genE8ELNS1_11target_archE1030ELNS1_3gpuE2ELNS1_3repE0EEENS1_30default_config_static_selectorELNS0_4arch9wavefront6targetE0EEEvS12_,@function
_ZN7rocprim17ROCPRIM_400000_NS6detail17trampoline_kernelINS0_13select_configILj256ELj13ELNS0_17block_load_methodE3ELS4_3ELS4_3ELNS0_20block_scan_algorithmE0ELj4294967295EEENS1_25partition_config_selectorILNS1_17partition_subalgoE4EjNS0_10empty_typeEbEEZZNS1_14partition_implILS8_4ELb0ES6_15HIP_vector_typeIjLj2EENS0_17counting_iteratorIjlEEPS9_SG_NS0_5tupleIJPjSI_NS0_16reverse_iteratorISI_EEEEENSH_IJSG_SG_SG_EEES9_SI_JZNS1_25segmented_radix_sort_implINS0_14default_configELb0EPKdPdPKlPlN2at6native12_GLOBAL__N_18offset_tEEE10hipError_tPvRmT1_PNSt15iterator_traitsIS12_E10value_typeET2_T3_PNS13_IS18_E10value_typeET4_jRbjT5_S1E_jjP12ihipStream_tbEUljE_ZNSN_ISO_Lb0ESQ_SR_ST_SU_SY_EESZ_S10_S11_S12_S16_S17_S18_S1B_S1C_jS1D_jS1E_S1E_jjS1G_bEUljE0_EEESZ_S10_S11_S18_S1C_S1E_T6_T7_T9_mT8_S1G_bDpT10_ENKUlT_T0_E_clISt17integral_constantIbLb1EES1U_EEDaS1P_S1Q_EUlS1P_E_NS1_11comp_targetILNS1_3genE8ELNS1_11target_archE1030ELNS1_3gpuE2ELNS1_3repE0EEENS1_30default_config_static_selectorELNS0_4arch9wavefront6targetE0EEEvS12_: ; @_ZN7rocprim17ROCPRIM_400000_NS6detail17trampoline_kernelINS0_13select_configILj256ELj13ELNS0_17block_load_methodE3ELS4_3ELS4_3ELNS0_20block_scan_algorithmE0ELj4294967295EEENS1_25partition_config_selectorILNS1_17partition_subalgoE4EjNS0_10empty_typeEbEEZZNS1_14partition_implILS8_4ELb0ES6_15HIP_vector_typeIjLj2EENS0_17counting_iteratorIjlEEPS9_SG_NS0_5tupleIJPjSI_NS0_16reverse_iteratorISI_EEEEENSH_IJSG_SG_SG_EEES9_SI_JZNS1_25segmented_radix_sort_implINS0_14default_configELb0EPKdPdPKlPlN2at6native12_GLOBAL__N_18offset_tEEE10hipError_tPvRmT1_PNSt15iterator_traitsIS12_E10value_typeET2_T3_PNS13_IS18_E10value_typeET4_jRbjT5_S1E_jjP12ihipStream_tbEUljE_ZNSN_ISO_Lb0ESQ_SR_ST_SU_SY_EESZ_S10_S11_S12_S16_S17_S18_S1B_S1C_jS1D_jS1E_S1E_jjS1G_bEUljE0_EEESZ_S10_S11_S18_S1C_S1E_T6_T7_T9_mT8_S1G_bDpT10_ENKUlT_T0_E_clISt17integral_constantIbLb1EES1U_EEDaS1P_S1Q_EUlS1P_E_NS1_11comp_targetILNS1_3genE8ELNS1_11target_archE1030ELNS1_3gpuE2ELNS1_3repE0EEENS1_30default_config_static_selectorELNS0_4arch9wavefront6targetE0EEEvS12_
; %bb.0:
	.section	.rodata,"a",@progbits
	.p2align	6, 0x0
	.amdhsa_kernel _ZN7rocprim17ROCPRIM_400000_NS6detail17trampoline_kernelINS0_13select_configILj256ELj13ELNS0_17block_load_methodE3ELS4_3ELS4_3ELNS0_20block_scan_algorithmE0ELj4294967295EEENS1_25partition_config_selectorILNS1_17partition_subalgoE4EjNS0_10empty_typeEbEEZZNS1_14partition_implILS8_4ELb0ES6_15HIP_vector_typeIjLj2EENS0_17counting_iteratorIjlEEPS9_SG_NS0_5tupleIJPjSI_NS0_16reverse_iteratorISI_EEEEENSH_IJSG_SG_SG_EEES9_SI_JZNS1_25segmented_radix_sort_implINS0_14default_configELb0EPKdPdPKlPlN2at6native12_GLOBAL__N_18offset_tEEE10hipError_tPvRmT1_PNSt15iterator_traitsIS12_E10value_typeET2_T3_PNS13_IS18_E10value_typeET4_jRbjT5_S1E_jjP12ihipStream_tbEUljE_ZNSN_ISO_Lb0ESQ_SR_ST_SU_SY_EESZ_S10_S11_S12_S16_S17_S18_S1B_S1C_jS1D_jS1E_S1E_jjS1G_bEUljE0_EEESZ_S10_S11_S18_S1C_S1E_T6_T7_T9_mT8_S1G_bDpT10_ENKUlT_T0_E_clISt17integral_constantIbLb1EES1U_EEDaS1P_S1Q_EUlS1P_E_NS1_11comp_targetILNS1_3genE8ELNS1_11target_archE1030ELNS1_3gpuE2ELNS1_3repE0EEENS1_30default_config_static_selectorELNS0_4arch9wavefront6targetE0EEEvS12_
		.amdhsa_group_segment_fixed_size 0
		.amdhsa_private_segment_fixed_size 0
		.amdhsa_kernarg_size 184
		.amdhsa_user_sgpr_count 2
		.amdhsa_user_sgpr_dispatch_ptr 0
		.amdhsa_user_sgpr_queue_ptr 0
		.amdhsa_user_sgpr_kernarg_segment_ptr 1
		.amdhsa_user_sgpr_dispatch_id 0
		.amdhsa_user_sgpr_private_segment_size 0
		.amdhsa_wavefront_size32 1
		.amdhsa_uses_dynamic_stack 0
		.amdhsa_enable_private_segment 0
		.amdhsa_system_sgpr_workgroup_id_x 1
		.amdhsa_system_sgpr_workgroup_id_y 0
		.amdhsa_system_sgpr_workgroup_id_z 0
		.amdhsa_system_sgpr_workgroup_info 0
		.amdhsa_system_vgpr_workitem_id 0
		.amdhsa_next_free_vgpr 1
		.amdhsa_next_free_sgpr 1
		.amdhsa_reserve_vcc 0
		.amdhsa_float_round_mode_32 0
		.amdhsa_float_round_mode_16_64 0
		.amdhsa_float_denorm_mode_32 3
		.amdhsa_float_denorm_mode_16_64 3
		.amdhsa_fp16_overflow 0
		.amdhsa_workgroup_processor_mode 1
		.amdhsa_memory_ordered 1
		.amdhsa_forward_progress 1
		.amdhsa_inst_pref_size 0
		.amdhsa_round_robin_scheduling 0
		.amdhsa_exception_fp_ieee_invalid_op 0
		.amdhsa_exception_fp_denorm_src 0
		.amdhsa_exception_fp_ieee_div_zero 0
		.amdhsa_exception_fp_ieee_overflow 0
		.amdhsa_exception_fp_ieee_underflow 0
		.amdhsa_exception_fp_ieee_inexact 0
		.amdhsa_exception_int_div_zero 0
	.end_amdhsa_kernel
	.section	.text._ZN7rocprim17ROCPRIM_400000_NS6detail17trampoline_kernelINS0_13select_configILj256ELj13ELNS0_17block_load_methodE3ELS4_3ELS4_3ELNS0_20block_scan_algorithmE0ELj4294967295EEENS1_25partition_config_selectorILNS1_17partition_subalgoE4EjNS0_10empty_typeEbEEZZNS1_14partition_implILS8_4ELb0ES6_15HIP_vector_typeIjLj2EENS0_17counting_iteratorIjlEEPS9_SG_NS0_5tupleIJPjSI_NS0_16reverse_iteratorISI_EEEEENSH_IJSG_SG_SG_EEES9_SI_JZNS1_25segmented_radix_sort_implINS0_14default_configELb0EPKdPdPKlPlN2at6native12_GLOBAL__N_18offset_tEEE10hipError_tPvRmT1_PNSt15iterator_traitsIS12_E10value_typeET2_T3_PNS13_IS18_E10value_typeET4_jRbjT5_S1E_jjP12ihipStream_tbEUljE_ZNSN_ISO_Lb0ESQ_SR_ST_SU_SY_EESZ_S10_S11_S12_S16_S17_S18_S1B_S1C_jS1D_jS1E_S1E_jjS1G_bEUljE0_EEESZ_S10_S11_S18_S1C_S1E_T6_T7_T9_mT8_S1G_bDpT10_ENKUlT_T0_E_clISt17integral_constantIbLb1EES1U_EEDaS1P_S1Q_EUlS1P_E_NS1_11comp_targetILNS1_3genE8ELNS1_11target_archE1030ELNS1_3gpuE2ELNS1_3repE0EEENS1_30default_config_static_selectorELNS0_4arch9wavefront6targetE0EEEvS12_,"axG",@progbits,_ZN7rocprim17ROCPRIM_400000_NS6detail17trampoline_kernelINS0_13select_configILj256ELj13ELNS0_17block_load_methodE3ELS4_3ELS4_3ELNS0_20block_scan_algorithmE0ELj4294967295EEENS1_25partition_config_selectorILNS1_17partition_subalgoE4EjNS0_10empty_typeEbEEZZNS1_14partition_implILS8_4ELb0ES6_15HIP_vector_typeIjLj2EENS0_17counting_iteratorIjlEEPS9_SG_NS0_5tupleIJPjSI_NS0_16reverse_iteratorISI_EEEEENSH_IJSG_SG_SG_EEES9_SI_JZNS1_25segmented_radix_sort_implINS0_14default_configELb0EPKdPdPKlPlN2at6native12_GLOBAL__N_18offset_tEEE10hipError_tPvRmT1_PNSt15iterator_traitsIS12_E10value_typeET2_T3_PNS13_IS18_E10value_typeET4_jRbjT5_S1E_jjP12ihipStream_tbEUljE_ZNSN_ISO_Lb0ESQ_SR_ST_SU_SY_EESZ_S10_S11_S12_S16_S17_S18_S1B_S1C_jS1D_jS1E_S1E_jjS1G_bEUljE0_EEESZ_S10_S11_S18_S1C_S1E_T6_T7_T9_mT8_S1G_bDpT10_ENKUlT_T0_E_clISt17integral_constantIbLb1EES1U_EEDaS1P_S1Q_EUlS1P_E_NS1_11comp_targetILNS1_3genE8ELNS1_11target_archE1030ELNS1_3gpuE2ELNS1_3repE0EEENS1_30default_config_static_selectorELNS0_4arch9wavefront6targetE0EEEvS12_,comdat
.Lfunc_end1172:
	.size	_ZN7rocprim17ROCPRIM_400000_NS6detail17trampoline_kernelINS0_13select_configILj256ELj13ELNS0_17block_load_methodE3ELS4_3ELS4_3ELNS0_20block_scan_algorithmE0ELj4294967295EEENS1_25partition_config_selectorILNS1_17partition_subalgoE4EjNS0_10empty_typeEbEEZZNS1_14partition_implILS8_4ELb0ES6_15HIP_vector_typeIjLj2EENS0_17counting_iteratorIjlEEPS9_SG_NS0_5tupleIJPjSI_NS0_16reverse_iteratorISI_EEEEENSH_IJSG_SG_SG_EEES9_SI_JZNS1_25segmented_radix_sort_implINS0_14default_configELb0EPKdPdPKlPlN2at6native12_GLOBAL__N_18offset_tEEE10hipError_tPvRmT1_PNSt15iterator_traitsIS12_E10value_typeET2_T3_PNS13_IS18_E10value_typeET4_jRbjT5_S1E_jjP12ihipStream_tbEUljE_ZNSN_ISO_Lb0ESQ_SR_ST_SU_SY_EESZ_S10_S11_S12_S16_S17_S18_S1B_S1C_jS1D_jS1E_S1E_jjS1G_bEUljE0_EEESZ_S10_S11_S18_S1C_S1E_T6_T7_T9_mT8_S1G_bDpT10_ENKUlT_T0_E_clISt17integral_constantIbLb1EES1U_EEDaS1P_S1Q_EUlS1P_E_NS1_11comp_targetILNS1_3genE8ELNS1_11target_archE1030ELNS1_3gpuE2ELNS1_3repE0EEENS1_30default_config_static_selectorELNS0_4arch9wavefront6targetE0EEEvS12_, .Lfunc_end1172-_ZN7rocprim17ROCPRIM_400000_NS6detail17trampoline_kernelINS0_13select_configILj256ELj13ELNS0_17block_load_methodE3ELS4_3ELS4_3ELNS0_20block_scan_algorithmE0ELj4294967295EEENS1_25partition_config_selectorILNS1_17partition_subalgoE4EjNS0_10empty_typeEbEEZZNS1_14partition_implILS8_4ELb0ES6_15HIP_vector_typeIjLj2EENS0_17counting_iteratorIjlEEPS9_SG_NS0_5tupleIJPjSI_NS0_16reverse_iteratorISI_EEEEENSH_IJSG_SG_SG_EEES9_SI_JZNS1_25segmented_radix_sort_implINS0_14default_configELb0EPKdPdPKlPlN2at6native12_GLOBAL__N_18offset_tEEE10hipError_tPvRmT1_PNSt15iterator_traitsIS12_E10value_typeET2_T3_PNS13_IS18_E10value_typeET4_jRbjT5_S1E_jjP12ihipStream_tbEUljE_ZNSN_ISO_Lb0ESQ_SR_ST_SU_SY_EESZ_S10_S11_S12_S16_S17_S18_S1B_S1C_jS1D_jS1E_S1E_jjS1G_bEUljE0_EEESZ_S10_S11_S18_S1C_S1E_T6_T7_T9_mT8_S1G_bDpT10_ENKUlT_T0_E_clISt17integral_constantIbLb1EES1U_EEDaS1P_S1Q_EUlS1P_E_NS1_11comp_targetILNS1_3genE8ELNS1_11target_archE1030ELNS1_3gpuE2ELNS1_3repE0EEENS1_30default_config_static_selectorELNS0_4arch9wavefront6targetE0EEEvS12_
                                        ; -- End function
	.set _ZN7rocprim17ROCPRIM_400000_NS6detail17trampoline_kernelINS0_13select_configILj256ELj13ELNS0_17block_load_methodE3ELS4_3ELS4_3ELNS0_20block_scan_algorithmE0ELj4294967295EEENS1_25partition_config_selectorILNS1_17partition_subalgoE4EjNS0_10empty_typeEbEEZZNS1_14partition_implILS8_4ELb0ES6_15HIP_vector_typeIjLj2EENS0_17counting_iteratorIjlEEPS9_SG_NS0_5tupleIJPjSI_NS0_16reverse_iteratorISI_EEEEENSH_IJSG_SG_SG_EEES9_SI_JZNS1_25segmented_radix_sort_implINS0_14default_configELb0EPKdPdPKlPlN2at6native12_GLOBAL__N_18offset_tEEE10hipError_tPvRmT1_PNSt15iterator_traitsIS12_E10value_typeET2_T3_PNS13_IS18_E10value_typeET4_jRbjT5_S1E_jjP12ihipStream_tbEUljE_ZNSN_ISO_Lb0ESQ_SR_ST_SU_SY_EESZ_S10_S11_S12_S16_S17_S18_S1B_S1C_jS1D_jS1E_S1E_jjS1G_bEUljE0_EEESZ_S10_S11_S18_S1C_S1E_T6_T7_T9_mT8_S1G_bDpT10_ENKUlT_T0_E_clISt17integral_constantIbLb1EES1U_EEDaS1P_S1Q_EUlS1P_E_NS1_11comp_targetILNS1_3genE8ELNS1_11target_archE1030ELNS1_3gpuE2ELNS1_3repE0EEENS1_30default_config_static_selectorELNS0_4arch9wavefront6targetE0EEEvS12_.num_vgpr, 0
	.set _ZN7rocprim17ROCPRIM_400000_NS6detail17trampoline_kernelINS0_13select_configILj256ELj13ELNS0_17block_load_methodE3ELS4_3ELS4_3ELNS0_20block_scan_algorithmE0ELj4294967295EEENS1_25partition_config_selectorILNS1_17partition_subalgoE4EjNS0_10empty_typeEbEEZZNS1_14partition_implILS8_4ELb0ES6_15HIP_vector_typeIjLj2EENS0_17counting_iteratorIjlEEPS9_SG_NS0_5tupleIJPjSI_NS0_16reverse_iteratorISI_EEEEENSH_IJSG_SG_SG_EEES9_SI_JZNS1_25segmented_radix_sort_implINS0_14default_configELb0EPKdPdPKlPlN2at6native12_GLOBAL__N_18offset_tEEE10hipError_tPvRmT1_PNSt15iterator_traitsIS12_E10value_typeET2_T3_PNS13_IS18_E10value_typeET4_jRbjT5_S1E_jjP12ihipStream_tbEUljE_ZNSN_ISO_Lb0ESQ_SR_ST_SU_SY_EESZ_S10_S11_S12_S16_S17_S18_S1B_S1C_jS1D_jS1E_S1E_jjS1G_bEUljE0_EEESZ_S10_S11_S18_S1C_S1E_T6_T7_T9_mT8_S1G_bDpT10_ENKUlT_T0_E_clISt17integral_constantIbLb1EES1U_EEDaS1P_S1Q_EUlS1P_E_NS1_11comp_targetILNS1_3genE8ELNS1_11target_archE1030ELNS1_3gpuE2ELNS1_3repE0EEENS1_30default_config_static_selectorELNS0_4arch9wavefront6targetE0EEEvS12_.num_agpr, 0
	.set _ZN7rocprim17ROCPRIM_400000_NS6detail17trampoline_kernelINS0_13select_configILj256ELj13ELNS0_17block_load_methodE3ELS4_3ELS4_3ELNS0_20block_scan_algorithmE0ELj4294967295EEENS1_25partition_config_selectorILNS1_17partition_subalgoE4EjNS0_10empty_typeEbEEZZNS1_14partition_implILS8_4ELb0ES6_15HIP_vector_typeIjLj2EENS0_17counting_iteratorIjlEEPS9_SG_NS0_5tupleIJPjSI_NS0_16reverse_iteratorISI_EEEEENSH_IJSG_SG_SG_EEES9_SI_JZNS1_25segmented_radix_sort_implINS0_14default_configELb0EPKdPdPKlPlN2at6native12_GLOBAL__N_18offset_tEEE10hipError_tPvRmT1_PNSt15iterator_traitsIS12_E10value_typeET2_T3_PNS13_IS18_E10value_typeET4_jRbjT5_S1E_jjP12ihipStream_tbEUljE_ZNSN_ISO_Lb0ESQ_SR_ST_SU_SY_EESZ_S10_S11_S12_S16_S17_S18_S1B_S1C_jS1D_jS1E_S1E_jjS1G_bEUljE0_EEESZ_S10_S11_S18_S1C_S1E_T6_T7_T9_mT8_S1G_bDpT10_ENKUlT_T0_E_clISt17integral_constantIbLb1EES1U_EEDaS1P_S1Q_EUlS1P_E_NS1_11comp_targetILNS1_3genE8ELNS1_11target_archE1030ELNS1_3gpuE2ELNS1_3repE0EEENS1_30default_config_static_selectorELNS0_4arch9wavefront6targetE0EEEvS12_.numbered_sgpr, 0
	.set _ZN7rocprim17ROCPRIM_400000_NS6detail17trampoline_kernelINS0_13select_configILj256ELj13ELNS0_17block_load_methodE3ELS4_3ELS4_3ELNS0_20block_scan_algorithmE0ELj4294967295EEENS1_25partition_config_selectorILNS1_17partition_subalgoE4EjNS0_10empty_typeEbEEZZNS1_14partition_implILS8_4ELb0ES6_15HIP_vector_typeIjLj2EENS0_17counting_iteratorIjlEEPS9_SG_NS0_5tupleIJPjSI_NS0_16reverse_iteratorISI_EEEEENSH_IJSG_SG_SG_EEES9_SI_JZNS1_25segmented_radix_sort_implINS0_14default_configELb0EPKdPdPKlPlN2at6native12_GLOBAL__N_18offset_tEEE10hipError_tPvRmT1_PNSt15iterator_traitsIS12_E10value_typeET2_T3_PNS13_IS18_E10value_typeET4_jRbjT5_S1E_jjP12ihipStream_tbEUljE_ZNSN_ISO_Lb0ESQ_SR_ST_SU_SY_EESZ_S10_S11_S12_S16_S17_S18_S1B_S1C_jS1D_jS1E_S1E_jjS1G_bEUljE0_EEESZ_S10_S11_S18_S1C_S1E_T6_T7_T9_mT8_S1G_bDpT10_ENKUlT_T0_E_clISt17integral_constantIbLb1EES1U_EEDaS1P_S1Q_EUlS1P_E_NS1_11comp_targetILNS1_3genE8ELNS1_11target_archE1030ELNS1_3gpuE2ELNS1_3repE0EEENS1_30default_config_static_selectorELNS0_4arch9wavefront6targetE0EEEvS12_.num_named_barrier, 0
	.set _ZN7rocprim17ROCPRIM_400000_NS6detail17trampoline_kernelINS0_13select_configILj256ELj13ELNS0_17block_load_methodE3ELS4_3ELS4_3ELNS0_20block_scan_algorithmE0ELj4294967295EEENS1_25partition_config_selectorILNS1_17partition_subalgoE4EjNS0_10empty_typeEbEEZZNS1_14partition_implILS8_4ELb0ES6_15HIP_vector_typeIjLj2EENS0_17counting_iteratorIjlEEPS9_SG_NS0_5tupleIJPjSI_NS0_16reverse_iteratorISI_EEEEENSH_IJSG_SG_SG_EEES9_SI_JZNS1_25segmented_radix_sort_implINS0_14default_configELb0EPKdPdPKlPlN2at6native12_GLOBAL__N_18offset_tEEE10hipError_tPvRmT1_PNSt15iterator_traitsIS12_E10value_typeET2_T3_PNS13_IS18_E10value_typeET4_jRbjT5_S1E_jjP12ihipStream_tbEUljE_ZNSN_ISO_Lb0ESQ_SR_ST_SU_SY_EESZ_S10_S11_S12_S16_S17_S18_S1B_S1C_jS1D_jS1E_S1E_jjS1G_bEUljE0_EEESZ_S10_S11_S18_S1C_S1E_T6_T7_T9_mT8_S1G_bDpT10_ENKUlT_T0_E_clISt17integral_constantIbLb1EES1U_EEDaS1P_S1Q_EUlS1P_E_NS1_11comp_targetILNS1_3genE8ELNS1_11target_archE1030ELNS1_3gpuE2ELNS1_3repE0EEENS1_30default_config_static_selectorELNS0_4arch9wavefront6targetE0EEEvS12_.private_seg_size, 0
	.set _ZN7rocprim17ROCPRIM_400000_NS6detail17trampoline_kernelINS0_13select_configILj256ELj13ELNS0_17block_load_methodE3ELS4_3ELS4_3ELNS0_20block_scan_algorithmE0ELj4294967295EEENS1_25partition_config_selectorILNS1_17partition_subalgoE4EjNS0_10empty_typeEbEEZZNS1_14partition_implILS8_4ELb0ES6_15HIP_vector_typeIjLj2EENS0_17counting_iteratorIjlEEPS9_SG_NS0_5tupleIJPjSI_NS0_16reverse_iteratorISI_EEEEENSH_IJSG_SG_SG_EEES9_SI_JZNS1_25segmented_radix_sort_implINS0_14default_configELb0EPKdPdPKlPlN2at6native12_GLOBAL__N_18offset_tEEE10hipError_tPvRmT1_PNSt15iterator_traitsIS12_E10value_typeET2_T3_PNS13_IS18_E10value_typeET4_jRbjT5_S1E_jjP12ihipStream_tbEUljE_ZNSN_ISO_Lb0ESQ_SR_ST_SU_SY_EESZ_S10_S11_S12_S16_S17_S18_S1B_S1C_jS1D_jS1E_S1E_jjS1G_bEUljE0_EEESZ_S10_S11_S18_S1C_S1E_T6_T7_T9_mT8_S1G_bDpT10_ENKUlT_T0_E_clISt17integral_constantIbLb1EES1U_EEDaS1P_S1Q_EUlS1P_E_NS1_11comp_targetILNS1_3genE8ELNS1_11target_archE1030ELNS1_3gpuE2ELNS1_3repE0EEENS1_30default_config_static_selectorELNS0_4arch9wavefront6targetE0EEEvS12_.uses_vcc, 0
	.set _ZN7rocprim17ROCPRIM_400000_NS6detail17trampoline_kernelINS0_13select_configILj256ELj13ELNS0_17block_load_methodE3ELS4_3ELS4_3ELNS0_20block_scan_algorithmE0ELj4294967295EEENS1_25partition_config_selectorILNS1_17partition_subalgoE4EjNS0_10empty_typeEbEEZZNS1_14partition_implILS8_4ELb0ES6_15HIP_vector_typeIjLj2EENS0_17counting_iteratorIjlEEPS9_SG_NS0_5tupleIJPjSI_NS0_16reverse_iteratorISI_EEEEENSH_IJSG_SG_SG_EEES9_SI_JZNS1_25segmented_radix_sort_implINS0_14default_configELb0EPKdPdPKlPlN2at6native12_GLOBAL__N_18offset_tEEE10hipError_tPvRmT1_PNSt15iterator_traitsIS12_E10value_typeET2_T3_PNS13_IS18_E10value_typeET4_jRbjT5_S1E_jjP12ihipStream_tbEUljE_ZNSN_ISO_Lb0ESQ_SR_ST_SU_SY_EESZ_S10_S11_S12_S16_S17_S18_S1B_S1C_jS1D_jS1E_S1E_jjS1G_bEUljE0_EEESZ_S10_S11_S18_S1C_S1E_T6_T7_T9_mT8_S1G_bDpT10_ENKUlT_T0_E_clISt17integral_constantIbLb1EES1U_EEDaS1P_S1Q_EUlS1P_E_NS1_11comp_targetILNS1_3genE8ELNS1_11target_archE1030ELNS1_3gpuE2ELNS1_3repE0EEENS1_30default_config_static_selectorELNS0_4arch9wavefront6targetE0EEEvS12_.uses_flat_scratch, 0
	.set _ZN7rocprim17ROCPRIM_400000_NS6detail17trampoline_kernelINS0_13select_configILj256ELj13ELNS0_17block_load_methodE3ELS4_3ELS4_3ELNS0_20block_scan_algorithmE0ELj4294967295EEENS1_25partition_config_selectorILNS1_17partition_subalgoE4EjNS0_10empty_typeEbEEZZNS1_14partition_implILS8_4ELb0ES6_15HIP_vector_typeIjLj2EENS0_17counting_iteratorIjlEEPS9_SG_NS0_5tupleIJPjSI_NS0_16reverse_iteratorISI_EEEEENSH_IJSG_SG_SG_EEES9_SI_JZNS1_25segmented_radix_sort_implINS0_14default_configELb0EPKdPdPKlPlN2at6native12_GLOBAL__N_18offset_tEEE10hipError_tPvRmT1_PNSt15iterator_traitsIS12_E10value_typeET2_T3_PNS13_IS18_E10value_typeET4_jRbjT5_S1E_jjP12ihipStream_tbEUljE_ZNSN_ISO_Lb0ESQ_SR_ST_SU_SY_EESZ_S10_S11_S12_S16_S17_S18_S1B_S1C_jS1D_jS1E_S1E_jjS1G_bEUljE0_EEESZ_S10_S11_S18_S1C_S1E_T6_T7_T9_mT8_S1G_bDpT10_ENKUlT_T0_E_clISt17integral_constantIbLb1EES1U_EEDaS1P_S1Q_EUlS1P_E_NS1_11comp_targetILNS1_3genE8ELNS1_11target_archE1030ELNS1_3gpuE2ELNS1_3repE0EEENS1_30default_config_static_selectorELNS0_4arch9wavefront6targetE0EEEvS12_.has_dyn_sized_stack, 0
	.set _ZN7rocprim17ROCPRIM_400000_NS6detail17trampoline_kernelINS0_13select_configILj256ELj13ELNS0_17block_load_methodE3ELS4_3ELS4_3ELNS0_20block_scan_algorithmE0ELj4294967295EEENS1_25partition_config_selectorILNS1_17partition_subalgoE4EjNS0_10empty_typeEbEEZZNS1_14partition_implILS8_4ELb0ES6_15HIP_vector_typeIjLj2EENS0_17counting_iteratorIjlEEPS9_SG_NS0_5tupleIJPjSI_NS0_16reverse_iteratorISI_EEEEENSH_IJSG_SG_SG_EEES9_SI_JZNS1_25segmented_radix_sort_implINS0_14default_configELb0EPKdPdPKlPlN2at6native12_GLOBAL__N_18offset_tEEE10hipError_tPvRmT1_PNSt15iterator_traitsIS12_E10value_typeET2_T3_PNS13_IS18_E10value_typeET4_jRbjT5_S1E_jjP12ihipStream_tbEUljE_ZNSN_ISO_Lb0ESQ_SR_ST_SU_SY_EESZ_S10_S11_S12_S16_S17_S18_S1B_S1C_jS1D_jS1E_S1E_jjS1G_bEUljE0_EEESZ_S10_S11_S18_S1C_S1E_T6_T7_T9_mT8_S1G_bDpT10_ENKUlT_T0_E_clISt17integral_constantIbLb1EES1U_EEDaS1P_S1Q_EUlS1P_E_NS1_11comp_targetILNS1_3genE8ELNS1_11target_archE1030ELNS1_3gpuE2ELNS1_3repE0EEENS1_30default_config_static_selectorELNS0_4arch9wavefront6targetE0EEEvS12_.has_recursion, 0
	.set _ZN7rocprim17ROCPRIM_400000_NS6detail17trampoline_kernelINS0_13select_configILj256ELj13ELNS0_17block_load_methodE3ELS4_3ELS4_3ELNS0_20block_scan_algorithmE0ELj4294967295EEENS1_25partition_config_selectorILNS1_17partition_subalgoE4EjNS0_10empty_typeEbEEZZNS1_14partition_implILS8_4ELb0ES6_15HIP_vector_typeIjLj2EENS0_17counting_iteratorIjlEEPS9_SG_NS0_5tupleIJPjSI_NS0_16reverse_iteratorISI_EEEEENSH_IJSG_SG_SG_EEES9_SI_JZNS1_25segmented_radix_sort_implINS0_14default_configELb0EPKdPdPKlPlN2at6native12_GLOBAL__N_18offset_tEEE10hipError_tPvRmT1_PNSt15iterator_traitsIS12_E10value_typeET2_T3_PNS13_IS18_E10value_typeET4_jRbjT5_S1E_jjP12ihipStream_tbEUljE_ZNSN_ISO_Lb0ESQ_SR_ST_SU_SY_EESZ_S10_S11_S12_S16_S17_S18_S1B_S1C_jS1D_jS1E_S1E_jjS1G_bEUljE0_EEESZ_S10_S11_S18_S1C_S1E_T6_T7_T9_mT8_S1G_bDpT10_ENKUlT_T0_E_clISt17integral_constantIbLb1EES1U_EEDaS1P_S1Q_EUlS1P_E_NS1_11comp_targetILNS1_3genE8ELNS1_11target_archE1030ELNS1_3gpuE2ELNS1_3repE0EEENS1_30default_config_static_selectorELNS0_4arch9wavefront6targetE0EEEvS12_.has_indirect_call, 0
	.section	.AMDGPU.csdata,"",@progbits
; Kernel info:
; codeLenInByte = 0
; TotalNumSgprs: 0
; NumVgprs: 0
; ScratchSize: 0
; MemoryBound: 0
; FloatMode: 240
; IeeeMode: 1
; LDSByteSize: 0 bytes/workgroup (compile time only)
; SGPRBlocks: 0
; VGPRBlocks: 0
; NumSGPRsForWavesPerEU: 1
; NumVGPRsForWavesPerEU: 1
; Occupancy: 16
; WaveLimiterHint : 0
; COMPUTE_PGM_RSRC2:SCRATCH_EN: 0
; COMPUTE_PGM_RSRC2:USER_SGPR: 2
; COMPUTE_PGM_RSRC2:TRAP_HANDLER: 0
; COMPUTE_PGM_RSRC2:TGID_X_EN: 1
; COMPUTE_PGM_RSRC2:TGID_Y_EN: 0
; COMPUTE_PGM_RSRC2:TGID_Z_EN: 0
; COMPUTE_PGM_RSRC2:TIDIG_COMP_CNT: 0
	.section	.text._ZN7rocprim17ROCPRIM_400000_NS6detail17trampoline_kernelINS0_13select_configILj256ELj13ELNS0_17block_load_methodE3ELS4_3ELS4_3ELNS0_20block_scan_algorithmE0ELj4294967295EEENS1_25partition_config_selectorILNS1_17partition_subalgoE4EjNS0_10empty_typeEbEEZZNS1_14partition_implILS8_4ELb0ES6_15HIP_vector_typeIjLj2EENS0_17counting_iteratorIjlEEPS9_SG_NS0_5tupleIJPjSI_NS0_16reverse_iteratorISI_EEEEENSH_IJSG_SG_SG_EEES9_SI_JZNS1_25segmented_radix_sort_implINS0_14default_configELb0EPKdPdPKlPlN2at6native12_GLOBAL__N_18offset_tEEE10hipError_tPvRmT1_PNSt15iterator_traitsIS12_E10value_typeET2_T3_PNS13_IS18_E10value_typeET4_jRbjT5_S1E_jjP12ihipStream_tbEUljE_ZNSN_ISO_Lb0ESQ_SR_ST_SU_SY_EESZ_S10_S11_S12_S16_S17_S18_S1B_S1C_jS1D_jS1E_S1E_jjS1G_bEUljE0_EEESZ_S10_S11_S18_S1C_S1E_T6_T7_T9_mT8_S1G_bDpT10_ENKUlT_T0_E_clISt17integral_constantIbLb1EES1T_IbLb0EEEEDaS1P_S1Q_EUlS1P_E_NS1_11comp_targetILNS1_3genE0ELNS1_11target_archE4294967295ELNS1_3gpuE0ELNS1_3repE0EEENS1_30default_config_static_selectorELNS0_4arch9wavefront6targetE0EEEvS12_,"axG",@progbits,_ZN7rocprim17ROCPRIM_400000_NS6detail17trampoline_kernelINS0_13select_configILj256ELj13ELNS0_17block_load_methodE3ELS4_3ELS4_3ELNS0_20block_scan_algorithmE0ELj4294967295EEENS1_25partition_config_selectorILNS1_17partition_subalgoE4EjNS0_10empty_typeEbEEZZNS1_14partition_implILS8_4ELb0ES6_15HIP_vector_typeIjLj2EENS0_17counting_iteratorIjlEEPS9_SG_NS0_5tupleIJPjSI_NS0_16reverse_iteratorISI_EEEEENSH_IJSG_SG_SG_EEES9_SI_JZNS1_25segmented_radix_sort_implINS0_14default_configELb0EPKdPdPKlPlN2at6native12_GLOBAL__N_18offset_tEEE10hipError_tPvRmT1_PNSt15iterator_traitsIS12_E10value_typeET2_T3_PNS13_IS18_E10value_typeET4_jRbjT5_S1E_jjP12ihipStream_tbEUljE_ZNSN_ISO_Lb0ESQ_SR_ST_SU_SY_EESZ_S10_S11_S12_S16_S17_S18_S1B_S1C_jS1D_jS1E_S1E_jjS1G_bEUljE0_EEESZ_S10_S11_S18_S1C_S1E_T6_T7_T9_mT8_S1G_bDpT10_ENKUlT_T0_E_clISt17integral_constantIbLb1EES1T_IbLb0EEEEDaS1P_S1Q_EUlS1P_E_NS1_11comp_targetILNS1_3genE0ELNS1_11target_archE4294967295ELNS1_3gpuE0ELNS1_3repE0EEENS1_30default_config_static_selectorELNS0_4arch9wavefront6targetE0EEEvS12_,comdat
	.globl	_ZN7rocprim17ROCPRIM_400000_NS6detail17trampoline_kernelINS0_13select_configILj256ELj13ELNS0_17block_load_methodE3ELS4_3ELS4_3ELNS0_20block_scan_algorithmE0ELj4294967295EEENS1_25partition_config_selectorILNS1_17partition_subalgoE4EjNS0_10empty_typeEbEEZZNS1_14partition_implILS8_4ELb0ES6_15HIP_vector_typeIjLj2EENS0_17counting_iteratorIjlEEPS9_SG_NS0_5tupleIJPjSI_NS0_16reverse_iteratorISI_EEEEENSH_IJSG_SG_SG_EEES9_SI_JZNS1_25segmented_radix_sort_implINS0_14default_configELb0EPKdPdPKlPlN2at6native12_GLOBAL__N_18offset_tEEE10hipError_tPvRmT1_PNSt15iterator_traitsIS12_E10value_typeET2_T3_PNS13_IS18_E10value_typeET4_jRbjT5_S1E_jjP12ihipStream_tbEUljE_ZNSN_ISO_Lb0ESQ_SR_ST_SU_SY_EESZ_S10_S11_S12_S16_S17_S18_S1B_S1C_jS1D_jS1E_S1E_jjS1G_bEUljE0_EEESZ_S10_S11_S18_S1C_S1E_T6_T7_T9_mT8_S1G_bDpT10_ENKUlT_T0_E_clISt17integral_constantIbLb1EES1T_IbLb0EEEEDaS1P_S1Q_EUlS1P_E_NS1_11comp_targetILNS1_3genE0ELNS1_11target_archE4294967295ELNS1_3gpuE0ELNS1_3repE0EEENS1_30default_config_static_selectorELNS0_4arch9wavefront6targetE0EEEvS12_ ; -- Begin function _ZN7rocprim17ROCPRIM_400000_NS6detail17trampoline_kernelINS0_13select_configILj256ELj13ELNS0_17block_load_methodE3ELS4_3ELS4_3ELNS0_20block_scan_algorithmE0ELj4294967295EEENS1_25partition_config_selectorILNS1_17partition_subalgoE4EjNS0_10empty_typeEbEEZZNS1_14partition_implILS8_4ELb0ES6_15HIP_vector_typeIjLj2EENS0_17counting_iteratorIjlEEPS9_SG_NS0_5tupleIJPjSI_NS0_16reverse_iteratorISI_EEEEENSH_IJSG_SG_SG_EEES9_SI_JZNS1_25segmented_radix_sort_implINS0_14default_configELb0EPKdPdPKlPlN2at6native12_GLOBAL__N_18offset_tEEE10hipError_tPvRmT1_PNSt15iterator_traitsIS12_E10value_typeET2_T3_PNS13_IS18_E10value_typeET4_jRbjT5_S1E_jjP12ihipStream_tbEUljE_ZNSN_ISO_Lb0ESQ_SR_ST_SU_SY_EESZ_S10_S11_S12_S16_S17_S18_S1B_S1C_jS1D_jS1E_S1E_jjS1G_bEUljE0_EEESZ_S10_S11_S18_S1C_S1E_T6_T7_T9_mT8_S1G_bDpT10_ENKUlT_T0_E_clISt17integral_constantIbLb1EES1T_IbLb0EEEEDaS1P_S1Q_EUlS1P_E_NS1_11comp_targetILNS1_3genE0ELNS1_11target_archE4294967295ELNS1_3gpuE0ELNS1_3repE0EEENS1_30default_config_static_selectorELNS0_4arch9wavefront6targetE0EEEvS12_
	.p2align	8
	.type	_ZN7rocprim17ROCPRIM_400000_NS6detail17trampoline_kernelINS0_13select_configILj256ELj13ELNS0_17block_load_methodE3ELS4_3ELS4_3ELNS0_20block_scan_algorithmE0ELj4294967295EEENS1_25partition_config_selectorILNS1_17partition_subalgoE4EjNS0_10empty_typeEbEEZZNS1_14partition_implILS8_4ELb0ES6_15HIP_vector_typeIjLj2EENS0_17counting_iteratorIjlEEPS9_SG_NS0_5tupleIJPjSI_NS0_16reverse_iteratorISI_EEEEENSH_IJSG_SG_SG_EEES9_SI_JZNS1_25segmented_radix_sort_implINS0_14default_configELb0EPKdPdPKlPlN2at6native12_GLOBAL__N_18offset_tEEE10hipError_tPvRmT1_PNSt15iterator_traitsIS12_E10value_typeET2_T3_PNS13_IS18_E10value_typeET4_jRbjT5_S1E_jjP12ihipStream_tbEUljE_ZNSN_ISO_Lb0ESQ_SR_ST_SU_SY_EESZ_S10_S11_S12_S16_S17_S18_S1B_S1C_jS1D_jS1E_S1E_jjS1G_bEUljE0_EEESZ_S10_S11_S18_S1C_S1E_T6_T7_T9_mT8_S1G_bDpT10_ENKUlT_T0_E_clISt17integral_constantIbLb1EES1T_IbLb0EEEEDaS1P_S1Q_EUlS1P_E_NS1_11comp_targetILNS1_3genE0ELNS1_11target_archE4294967295ELNS1_3gpuE0ELNS1_3repE0EEENS1_30default_config_static_selectorELNS0_4arch9wavefront6targetE0EEEvS12_,@function
_ZN7rocprim17ROCPRIM_400000_NS6detail17trampoline_kernelINS0_13select_configILj256ELj13ELNS0_17block_load_methodE3ELS4_3ELS4_3ELNS0_20block_scan_algorithmE0ELj4294967295EEENS1_25partition_config_selectorILNS1_17partition_subalgoE4EjNS0_10empty_typeEbEEZZNS1_14partition_implILS8_4ELb0ES6_15HIP_vector_typeIjLj2EENS0_17counting_iteratorIjlEEPS9_SG_NS0_5tupleIJPjSI_NS0_16reverse_iteratorISI_EEEEENSH_IJSG_SG_SG_EEES9_SI_JZNS1_25segmented_radix_sort_implINS0_14default_configELb0EPKdPdPKlPlN2at6native12_GLOBAL__N_18offset_tEEE10hipError_tPvRmT1_PNSt15iterator_traitsIS12_E10value_typeET2_T3_PNS13_IS18_E10value_typeET4_jRbjT5_S1E_jjP12ihipStream_tbEUljE_ZNSN_ISO_Lb0ESQ_SR_ST_SU_SY_EESZ_S10_S11_S12_S16_S17_S18_S1B_S1C_jS1D_jS1E_S1E_jjS1G_bEUljE0_EEESZ_S10_S11_S18_S1C_S1E_T6_T7_T9_mT8_S1G_bDpT10_ENKUlT_T0_E_clISt17integral_constantIbLb1EES1T_IbLb0EEEEDaS1P_S1Q_EUlS1P_E_NS1_11comp_targetILNS1_3genE0ELNS1_11target_archE4294967295ELNS1_3gpuE0ELNS1_3repE0EEENS1_30default_config_static_selectorELNS0_4arch9wavefront6targetE0EEEvS12_: ; @_ZN7rocprim17ROCPRIM_400000_NS6detail17trampoline_kernelINS0_13select_configILj256ELj13ELNS0_17block_load_methodE3ELS4_3ELS4_3ELNS0_20block_scan_algorithmE0ELj4294967295EEENS1_25partition_config_selectorILNS1_17partition_subalgoE4EjNS0_10empty_typeEbEEZZNS1_14partition_implILS8_4ELb0ES6_15HIP_vector_typeIjLj2EENS0_17counting_iteratorIjlEEPS9_SG_NS0_5tupleIJPjSI_NS0_16reverse_iteratorISI_EEEEENSH_IJSG_SG_SG_EEES9_SI_JZNS1_25segmented_radix_sort_implINS0_14default_configELb0EPKdPdPKlPlN2at6native12_GLOBAL__N_18offset_tEEE10hipError_tPvRmT1_PNSt15iterator_traitsIS12_E10value_typeET2_T3_PNS13_IS18_E10value_typeET4_jRbjT5_S1E_jjP12ihipStream_tbEUljE_ZNSN_ISO_Lb0ESQ_SR_ST_SU_SY_EESZ_S10_S11_S12_S16_S17_S18_S1B_S1C_jS1D_jS1E_S1E_jjS1G_bEUljE0_EEESZ_S10_S11_S18_S1C_S1E_T6_T7_T9_mT8_S1G_bDpT10_ENKUlT_T0_E_clISt17integral_constantIbLb1EES1T_IbLb0EEEEDaS1P_S1Q_EUlS1P_E_NS1_11comp_targetILNS1_3genE0ELNS1_11target_archE4294967295ELNS1_3gpuE0ELNS1_3repE0EEENS1_30default_config_static_selectorELNS0_4arch9wavefront6targetE0EEEvS12_
; %bb.0:
	.section	.rodata,"a",@progbits
	.p2align	6, 0x0
	.amdhsa_kernel _ZN7rocprim17ROCPRIM_400000_NS6detail17trampoline_kernelINS0_13select_configILj256ELj13ELNS0_17block_load_methodE3ELS4_3ELS4_3ELNS0_20block_scan_algorithmE0ELj4294967295EEENS1_25partition_config_selectorILNS1_17partition_subalgoE4EjNS0_10empty_typeEbEEZZNS1_14partition_implILS8_4ELb0ES6_15HIP_vector_typeIjLj2EENS0_17counting_iteratorIjlEEPS9_SG_NS0_5tupleIJPjSI_NS0_16reverse_iteratorISI_EEEEENSH_IJSG_SG_SG_EEES9_SI_JZNS1_25segmented_radix_sort_implINS0_14default_configELb0EPKdPdPKlPlN2at6native12_GLOBAL__N_18offset_tEEE10hipError_tPvRmT1_PNSt15iterator_traitsIS12_E10value_typeET2_T3_PNS13_IS18_E10value_typeET4_jRbjT5_S1E_jjP12ihipStream_tbEUljE_ZNSN_ISO_Lb0ESQ_SR_ST_SU_SY_EESZ_S10_S11_S12_S16_S17_S18_S1B_S1C_jS1D_jS1E_S1E_jjS1G_bEUljE0_EEESZ_S10_S11_S18_S1C_S1E_T6_T7_T9_mT8_S1G_bDpT10_ENKUlT_T0_E_clISt17integral_constantIbLb1EES1T_IbLb0EEEEDaS1P_S1Q_EUlS1P_E_NS1_11comp_targetILNS1_3genE0ELNS1_11target_archE4294967295ELNS1_3gpuE0ELNS1_3repE0EEENS1_30default_config_static_selectorELNS0_4arch9wavefront6targetE0EEEvS12_
		.amdhsa_group_segment_fixed_size 0
		.amdhsa_private_segment_fixed_size 0
		.amdhsa_kernarg_size 176
		.amdhsa_user_sgpr_count 2
		.amdhsa_user_sgpr_dispatch_ptr 0
		.amdhsa_user_sgpr_queue_ptr 0
		.amdhsa_user_sgpr_kernarg_segment_ptr 1
		.amdhsa_user_sgpr_dispatch_id 0
		.amdhsa_user_sgpr_private_segment_size 0
		.amdhsa_wavefront_size32 1
		.amdhsa_uses_dynamic_stack 0
		.amdhsa_enable_private_segment 0
		.amdhsa_system_sgpr_workgroup_id_x 1
		.amdhsa_system_sgpr_workgroup_id_y 0
		.amdhsa_system_sgpr_workgroup_id_z 0
		.amdhsa_system_sgpr_workgroup_info 0
		.amdhsa_system_vgpr_workitem_id 0
		.amdhsa_next_free_vgpr 1
		.amdhsa_next_free_sgpr 1
		.amdhsa_reserve_vcc 0
		.amdhsa_float_round_mode_32 0
		.amdhsa_float_round_mode_16_64 0
		.amdhsa_float_denorm_mode_32 3
		.amdhsa_float_denorm_mode_16_64 3
		.amdhsa_fp16_overflow 0
		.amdhsa_workgroup_processor_mode 1
		.amdhsa_memory_ordered 1
		.amdhsa_forward_progress 1
		.amdhsa_inst_pref_size 0
		.amdhsa_round_robin_scheduling 0
		.amdhsa_exception_fp_ieee_invalid_op 0
		.amdhsa_exception_fp_denorm_src 0
		.amdhsa_exception_fp_ieee_div_zero 0
		.amdhsa_exception_fp_ieee_overflow 0
		.amdhsa_exception_fp_ieee_underflow 0
		.amdhsa_exception_fp_ieee_inexact 0
		.amdhsa_exception_int_div_zero 0
	.end_amdhsa_kernel
	.section	.text._ZN7rocprim17ROCPRIM_400000_NS6detail17trampoline_kernelINS0_13select_configILj256ELj13ELNS0_17block_load_methodE3ELS4_3ELS4_3ELNS0_20block_scan_algorithmE0ELj4294967295EEENS1_25partition_config_selectorILNS1_17partition_subalgoE4EjNS0_10empty_typeEbEEZZNS1_14partition_implILS8_4ELb0ES6_15HIP_vector_typeIjLj2EENS0_17counting_iteratorIjlEEPS9_SG_NS0_5tupleIJPjSI_NS0_16reverse_iteratorISI_EEEEENSH_IJSG_SG_SG_EEES9_SI_JZNS1_25segmented_radix_sort_implINS0_14default_configELb0EPKdPdPKlPlN2at6native12_GLOBAL__N_18offset_tEEE10hipError_tPvRmT1_PNSt15iterator_traitsIS12_E10value_typeET2_T3_PNS13_IS18_E10value_typeET4_jRbjT5_S1E_jjP12ihipStream_tbEUljE_ZNSN_ISO_Lb0ESQ_SR_ST_SU_SY_EESZ_S10_S11_S12_S16_S17_S18_S1B_S1C_jS1D_jS1E_S1E_jjS1G_bEUljE0_EEESZ_S10_S11_S18_S1C_S1E_T6_T7_T9_mT8_S1G_bDpT10_ENKUlT_T0_E_clISt17integral_constantIbLb1EES1T_IbLb0EEEEDaS1P_S1Q_EUlS1P_E_NS1_11comp_targetILNS1_3genE0ELNS1_11target_archE4294967295ELNS1_3gpuE0ELNS1_3repE0EEENS1_30default_config_static_selectorELNS0_4arch9wavefront6targetE0EEEvS12_,"axG",@progbits,_ZN7rocprim17ROCPRIM_400000_NS6detail17trampoline_kernelINS0_13select_configILj256ELj13ELNS0_17block_load_methodE3ELS4_3ELS4_3ELNS0_20block_scan_algorithmE0ELj4294967295EEENS1_25partition_config_selectorILNS1_17partition_subalgoE4EjNS0_10empty_typeEbEEZZNS1_14partition_implILS8_4ELb0ES6_15HIP_vector_typeIjLj2EENS0_17counting_iteratorIjlEEPS9_SG_NS0_5tupleIJPjSI_NS0_16reverse_iteratorISI_EEEEENSH_IJSG_SG_SG_EEES9_SI_JZNS1_25segmented_radix_sort_implINS0_14default_configELb0EPKdPdPKlPlN2at6native12_GLOBAL__N_18offset_tEEE10hipError_tPvRmT1_PNSt15iterator_traitsIS12_E10value_typeET2_T3_PNS13_IS18_E10value_typeET4_jRbjT5_S1E_jjP12ihipStream_tbEUljE_ZNSN_ISO_Lb0ESQ_SR_ST_SU_SY_EESZ_S10_S11_S12_S16_S17_S18_S1B_S1C_jS1D_jS1E_S1E_jjS1G_bEUljE0_EEESZ_S10_S11_S18_S1C_S1E_T6_T7_T9_mT8_S1G_bDpT10_ENKUlT_T0_E_clISt17integral_constantIbLb1EES1T_IbLb0EEEEDaS1P_S1Q_EUlS1P_E_NS1_11comp_targetILNS1_3genE0ELNS1_11target_archE4294967295ELNS1_3gpuE0ELNS1_3repE0EEENS1_30default_config_static_selectorELNS0_4arch9wavefront6targetE0EEEvS12_,comdat
.Lfunc_end1173:
	.size	_ZN7rocprim17ROCPRIM_400000_NS6detail17trampoline_kernelINS0_13select_configILj256ELj13ELNS0_17block_load_methodE3ELS4_3ELS4_3ELNS0_20block_scan_algorithmE0ELj4294967295EEENS1_25partition_config_selectorILNS1_17partition_subalgoE4EjNS0_10empty_typeEbEEZZNS1_14partition_implILS8_4ELb0ES6_15HIP_vector_typeIjLj2EENS0_17counting_iteratorIjlEEPS9_SG_NS0_5tupleIJPjSI_NS0_16reverse_iteratorISI_EEEEENSH_IJSG_SG_SG_EEES9_SI_JZNS1_25segmented_radix_sort_implINS0_14default_configELb0EPKdPdPKlPlN2at6native12_GLOBAL__N_18offset_tEEE10hipError_tPvRmT1_PNSt15iterator_traitsIS12_E10value_typeET2_T3_PNS13_IS18_E10value_typeET4_jRbjT5_S1E_jjP12ihipStream_tbEUljE_ZNSN_ISO_Lb0ESQ_SR_ST_SU_SY_EESZ_S10_S11_S12_S16_S17_S18_S1B_S1C_jS1D_jS1E_S1E_jjS1G_bEUljE0_EEESZ_S10_S11_S18_S1C_S1E_T6_T7_T9_mT8_S1G_bDpT10_ENKUlT_T0_E_clISt17integral_constantIbLb1EES1T_IbLb0EEEEDaS1P_S1Q_EUlS1P_E_NS1_11comp_targetILNS1_3genE0ELNS1_11target_archE4294967295ELNS1_3gpuE0ELNS1_3repE0EEENS1_30default_config_static_selectorELNS0_4arch9wavefront6targetE0EEEvS12_, .Lfunc_end1173-_ZN7rocprim17ROCPRIM_400000_NS6detail17trampoline_kernelINS0_13select_configILj256ELj13ELNS0_17block_load_methodE3ELS4_3ELS4_3ELNS0_20block_scan_algorithmE0ELj4294967295EEENS1_25partition_config_selectorILNS1_17partition_subalgoE4EjNS0_10empty_typeEbEEZZNS1_14partition_implILS8_4ELb0ES6_15HIP_vector_typeIjLj2EENS0_17counting_iteratorIjlEEPS9_SG_NS0_5tupleIJPjSI_NS0_16reverse_iteratorISI_EEEEENSH_IJSG_SG_SG_EEES9_SI_JZNS1_25segmented_radix_sort_implINS0_14default_configELb0EPKdPdPKlPlN2at6native12_GLOBAL__N_18offset_tEEE10hipError_tPvRmT1_PNSt15iterator_traitsIS12_E10value_typeET2_T3_PNS13_IS18_E10value_typeET4_jRbjT5_S1E_jjP12ihipStream_tbEUljE_ZNSN_ISO_Lb0ESQ_SR_ST_SU_SY_EESZ_S10_S11_S12_S16_S17_S18_S1B_S1C_jS1D_jS1E_S1E_jjS1G_bEUljE0_EEESZ_S10_S11_S18_S1C_S1E_T6_T7_T9_mT8_S1G_bDpT10_ENKUlT_T0_E_clISt17integral_constantIbLb1EES1T_IbLb0EEEEDaS1P_S1Q_EUlS1P_E_NS1_11comp_targetILNS1_3genE0ELNS1_11target_archE4294967295ELNS1_3gpuE0ELNS1_3repE0EEENS1_30default_config_static_selectorELNS0_4arch9wavefront6targetE0EEEvS12_
                                        ; -- End function
	.set _ZN7rocprim17ROCPRIM_400000_NS6detail17trampoline_kernelINS0_13select_configILj256ELj13ELNS0_17block_load_methodE3ELS4_3ELS4_3ELNS0_20block_scan_algorithmE0ELj4294967295EEENS1_25partition_config_selectorILNS1_17partition_subalgoE4EjNS0_10empty_typeEbEEZZNS1_14partition_implILS8_4ELb0ES6_15HIP_vector_typeIjLj2EENS0_17counting_iteratorIjlEEPS9_SG_NS0_5tupleIJPjSI_NS0_16reverse_iteratorISI_EEEEENSH_IJSG_SG_SG_EEES9_SI_JZNS1_25segmented_radix_sort_implINS0_14default_configELb0EPKdPdPKlPlN2at6native12_GLOBAL__N_18offset_tEEE10hipError_tPvRmT1_PNSt15iterator_traitsIS12_E10value_typeET2_T3_PNS13_IS18_E10value_typeET4_jRbjT5_S1E_jjP12ihipStream_tbEUljE_ZNSN_ISO_Lb0ESQ_SR_ST_SU_SY_EESZ_S10_S11_S12_S16_S17_S18_S1B_S1C_jS1D_jS1E_S1E_jjS1G_bEUljE0_EEESZ_S10_S11_S18_S1C_S1E_T6_T7_T9_mT8_S1G_bDpT10_ENKUlT_T0_E_clISt17integral_constantIbLb1EES1T_IbLb0EEEEDaS1P_S1Q_EUlS1P_E_NS1_11comp_targetILNS1_3genE0ELNS1_11target_archE4294967295ELNS1_3gpuE0ELNS1_3repE0EEENS1_30default_config_static_selectorELNS0_4arch9wavefront6targetE0EEEvS12_.num_vgpr, 0
	.set _ZN7rocprim17ROCPRIM_400000_NS6detail17trampoline_kernelINS0_13select_configILj256ELj13ELNS0_17block_load_methodE3ELS4_3ELS4_3ELNS0_20block_scan_algorithmE0ELj4294967295EEENS1_25partition_config_selectorILNS1_17partition_subalgoE4EjNS0_10empty_typeEbEEZZNS1_14partition_implILS8_4ELb0ES6_15HIP_vector_typeIjLj2EENS0_17counting_iteratorIjlEEPS9_SG_NS0_5tupleIJPjSI_NS0_16reverse_iteratorISI_EEEEENSH_IJSG_SG_SG_EEES9_SI_JZNS1_25segmented_radix_sort_implINS0_14default_configELb0EPKdPdPKlPlN2at6native12_GLOBAL__N_18offset_tEEE10hipError_tPvRmT1_PNSt15iterator_traitsIS12_E10value_typeET2_T3_PNS13_IS18_E10value_typeET4_jRbjT5_S1E_jjP12ihipStream_tbEUljE_ZNSN_ISO_Lb0ESQ_SR_ST_SU_SY_EESZ_S10_S11_S12_S16_S17_S18_S1B_S1C_jS1D_jS1E_S1E_jjS1G_bEUljE0_EEESZ_S10_S11_S18_S1C_S1E_T6_T7_T9_mT8_S1G_bDpT10_ENKUlT_T0_E_clISt17integral_constantIbLb1EES1T_IbLb0EEEEDaS1P_S1Q_EUlS1P_E_NS1_11comp_targetILNS1_3genE0ELNS1_11target_archE4294967295ELNS1_3gpuE0ELNS1_3repE0EEENS1_30default_config_static_selectorELNS0_4arch9wavefront6targetE0EEEvS12_.num_agpr, 0
	.set _ZN7rocprim17ROCPRIM_400000_NS6detail17trampoline_kernelINS0_13select_configILj256ELj13ELNS0_17block_load_methodE3ELS4_3ELS4_3ELNS0_20block_scan_algorithmE0ELj4294967295EEENS1_25partition_config_selectorILNS1_17partition_subalgoE4EjNS0_10empty_typeEbEEZZNS1_14partition_implILS8_4ELb0ES6_15HIP_vector_typeIjLj2EENS0_17counting_iteratorIjlEEPS9_SG_NS0_5tupleIJPjSI_NS0_16reverse_iteratorISI_EEEEENSH_IJSG_SG_SG_EEES9_SI_JZNS1_25segmented_radix_sort_implINS0_14default_configELb0EPKdPdPKlPlN2at6native12_GLOBAL__N_18offset_tEEE10hipError_tPvRmT1_PNSt15iterator_traitsIS12_E10value_typeET2_T3_PNS13_IS18_E10value_typeET4_jRbjT5_S1E_jjP12ihipStream_tbEUljE_ZNSN_ISO_Lb0ESQ_SR_ST_SU_SY_EESZ_S10_S11_S12_S16_S17_S18_S1B_S1C_jS1D_jS1E_S1E_jjS1G_bEUljE0_EEESZ_S10_S11_S18_S1C_S1E_T6_T7_T9_mT8_S1G_bDpT10_ENKUlT_T0_E_clISt17integral_constantIbLb1EES1T_IbLb0EEEEDaS1P_S1Q_EUlS1P_E_NS1_11comp_targetILNS1_3genE0ELNS1_11target_archE4294967295ELNS1_3gpuE0ELNS1_3repE0EEENS1_30default_config_static_selectorELNS0_4arch9wavefront6targetE0EEEvS12_.numbered_sgpr, 0
	.set _ZN7rocprim17ROCPRIM_400000_NS6detail17trampoline_kernelINS0_13select_configILj256ELj13ELNS0_17block_load_methodE3ELS4_3ELS4_3ELNS0_20block_scan_algorithmE0ELj4294967295EEENS1_25partition_config_selectorILNS1_17partition_subalgoE4EjNS0_10empty_typeEbEEZZNS1_14partition_implILS8_4ELb0ES6_15HIP_vector_typeIjLj2EENS0_17counting_iteratorIjlEEPS9_SG_NS0_5tupleIJPjSI_NS0_16reverse_iteratorISI_EEEEENSH_IJSG_SG_SG_EEES9_SI_JZNS1_25segmented_radix_sort_implINS0_14default_configELb0EPKdPdPKlPlN2at6native12_GLOBAL__N_18offset_tEEE10hipError_tPvRmT1_PNSt15iterator_traitsIS12_E10value_typeET2_T3_PNS13_IS18_E10value_typeET4_jRbjT5_S1E_jjP12ihipStream_tbEUljE_ZNSN_ISO_Lb0ESQ_SR_ST_SU_SY_EESZ_S10_S11_S12_S16_S17_S18_S1B_S1C_jS1D_jS1E_S1E_jjS1G_bEUljE0_EEESZ_S10_S11_S18_S1C_S1E_T6_T7_T9_mT8_S1G_bDpT10_ENKUlT_T0_E_clISt17integral_constantIbLb1EES1T_IbLb0EEEEDaS1P_S1Q_EUlS1P_E_NS1_11comp_targetILNS1_3genE0ELNS1_11target_archE4294967295ELNS1_3gpuE0ELNS1_3repE0EEENS1_30default_config_static_selectorELNS0_4arch9wavefront6targetE0EEEvS12_.num_named_barrier, 0
	.set _ZN7rocprim17ROCPRIM_400000_NS6detail17trampoline_kernelINS0_13select_configILj256ELj13ELNS0_17block_load_methodE3ELS4_3ELS4_3ELNS0_20block_scan_algorithmE0ELj4294967295EEENS1_25partition_config_selectorILNS1_17partition_subalgoE4EjNS0_10empty_typeEbEEZZNS1_14partition_implILS8_4ELb0ES6_15HIP_vector_typeIjLj2EENS0_17counting_iteratorIjlEEPS9_SG_NS0_5tupleIJPjSI_NS0_16reverse_iteratorISI_EEEEENSH_IJSG_SG_SG_EEES9_SI_JZNS1_25segmented_radix_sort_implINS0_14default_configELb0EPKdPdPKlPlN2at6native12_GLOBAL__N_18offset_tEEE10hipError_tPvRmT1_PNSt15iterator_traitsIS12_E10value_typeET2_T3_PNS13_IS18_E10value_typeET4_jRbjT5_S1E_jjP12ihipStream_tbEUljE_ZNSN_ISO_Lb0ESQ_SR_ST_SU_SY_EESZ_S10_S11_S12_S16_S17_S18_S1B_S1C_jS1D_jS1E_S1E_jjS1G_bEUljE0_EEESZ_S10_S11_S18_S1C_S1E_T6_T7_T9_mT8_S1G_bDpT10_ENKUlT_T0_E_clISt17integral_constantIbLb1EES1T_IbLb0EEEEDaS1P_S1Q_EUlS1P_E_NS1_11comp_targetILNS1_3genE0ELNS1_11target_archE4294967295ELNS1_3gpuE0ELNS1_3repE0EEENS1_30default_config_static_selectorELNS0_4arch9wavefront6targetE0EEEvS12_.private_seg_size, 0
	.set _ZN7rocprim17ROCPRIM_400000_NS6detail17trampoline_kernelINS0_13select_configILj256ELj13ELNS0_17block_load_methodE3ELS4_3ELS4_3ELNS0_20block_scan_algorithmE0ELj4294967295EEENS1_25partition_config_selectorILNS1_17partition_subalgoE4EjNS0_10empty_typeEbEEZZNS1_14partition_implILS8_4ELb0ES6_15HIP_vector_typeIjLj2EENS0_17counting_iteratorIjlEEPS9_SG_NS0_5tupleIJPjSI_NS0_16reverse_iteratorISI_EEEEENSH_IJSG_SG_SG_EEES9_SI_JZNS1_25segmented_radix_sort_implINS0_14default_configELb0EPKdPdPKlPlN2at6native12_GLOBAL__N_18offset_tEEE10hipError_tPvRmT1_PNSt15iterator_traitsIS12_E10value_typeET2_T3_PNS13_IS18_E10value_typeET4_jRbjT5_S1E_jjP12ihipStream_tbEUljE_ZNSN_ISO_Lb0ESQ_SR_ST_SU_SY_EESZ_S10_S11_S12_S16_S17_S18_S1B_S1C_jS1D_jS1E_S1E_jjS1G_bEUljE0_EEESZ_S10_S11_S18_S1C_S1E_T6_T7_T9_mT8_S1G_bDpT10_ENKUlT_T0_E_clISt17integral_constantIbLb1EES1T_IbLb0EEEEDaS1P_S1Q_EUlS1P_E_NS1_11comp_targetILNS1_3genE0ELNS1_11target_archE4294967295ELNS1_3gpuE0ELNS1_3repE0EEENS1_30default_config_static_selectorELNS0_4arch9wavefront6targetE0EEEvS12_.uses_vcc, 0
	.set _ZN7rocprim17ROCPRIM_400000_NS6detail17trampoline_kernelINS0_13select_configILj256ELj13ELNS0_17block_load_methodE3ELS4_3ELS4_3ELNS0_20block_scan_algorithmE0ELj4294967295EEENS1_25partition_config_selectorILNS1_17partition_subalgoE4EjNS0_10empty_typeEbEEZZNS1_14partition_implILS8_4ELb0ES6_15HIP_vector_typeIjLj2EENS0_17counting_iteratorIjlEEPS9_SG_NS0_5tupleIJPjSI_NS0_16reverse_iteratorISI_EEEEENSH_IJSG_SG_SG_EEES9_SI_JZNS1_25segmented_radix_sort_implINS0_14default_configELb0EPKdPdPKlPlN2at6native12_GLOBAL__N_18offset_tEEE10hipError_tPvRmT1_PNSt15iterator_traitsIS12_E10value_typeET2_T3_PNS13_IS18_E10value_typeET4_jRbjT5_S1E_jjP12ihipStream_tbEUljE_ZNSN_ISO_Lb0ESQ_SR_ST_SU_SY_EESZ_S10_S11_S12_S16_S17_S18_S1B_S1C_jS1D_jS1E_S1E_jjS1G_bEUljE0_EEESZ_S10_S11_S18_S1C_S1E_T6_T7_T9_mT8_S1G_bDpT10_ENKUlT_T0_E_clISt17integral_constantIbLb1EES1T_IbLb0EEEEDaS1P_S1Q_EUlS1P_E_NS1_11comp_targetILNS1_3genE0ELNS1_11target_archE4294967295ELNS1_3gpuE0ELNS1_3repE0EEENS1_30default_config_static_selectorELNS0_4arch9wavefront6targetE0EEEvS12_.uses_flat_scratch, 0
	.set _ZN7rocprim17ROCPRIM_400000_NS6detail17trampoline_kernelINS0_13select_configILj256ELj13ELNS0_17block_load_methodE3ELS4_3ELS4_3ELNS0_20block_scan_algorithmE0ELj4294967295EEENS1_25partition_config_selectorILNS1_17partition_subalgoE4EjNS0_10empty_typeEbEEZZNS1_14partition_implILS8_4ELb0ES6_15HIP_vector_typeIjLj2EENS0_17counting_iteratorIjlEEPS9_SG_NS0_5tupleIJPjSI_NS0_16reverse_iteratorISI_EEEEENSH_IJSG_SG_SG_EEES9_SI_JZNS1_25segmented_radix_sort_implINS0_14default_configELb0EPKdPdPKlPlN2at6native12_GLOBAL__N_18offset_tEEE10hipError_tPvRmT1_PNSt15iterator_traitsIS12_E10value_typeET2_T3_PNS13_IS18_E10value_typeET4_jRbjT5_S1E_jjP12ihipStream_tbEUljE_ZNSN_ISO_Lb0ESQ_SR_ST_SU_SY_EESZ_S10_S11_S12_S16_S17_S18_S1B_S1C_jS1D_jS1E_S1E_jjS1G_bEUljE0_EEESZ_S10_S11_S18_S1C_S1E_T6_T7_T9_mT8_S1G_bDpT10_ENKUlT_T0_E_clISt17integral_constantIbLb1EES1T_IbLb0EEEEDaS1P_S1Q_EUlS1P_E_NS1_11comp_targetILNS1_3genE0ELNS1_11target_archE4294967295ELNS1_3gpuE0ELNS1_3repE0EEENS1_30default_config_static_selectorELNS0_4arch9wavefront6targetE0EEEvS12_.has_dyn_sized_stack, 0
	.set _ZN7rocprim17ROCPRIM_400000_NS6detail17trampoline_kernelINS0_13select_configILj256ELj13ELNS0_17block_load_methodE3ELS4_3ELS4_3ELNS0_20block_scan_algorithmE0ELj4294967295EEENS1_25partition_config_selectorILNS1_17partition_subalgoE4EjNS0_10empty_typeEbEEZZNS1_14partition_implILS8_4ELb0ES6_15HIP_vector_typeIjLj2EENS0_17counting_iteratorIjlEEPS9_SG_NS0_5tupleIJPjSI_NS0_16reverse_iteratorISI_EEEEENSH_IJSG_SG_SG_EEES9_SI_JZNS1_25segmented_radix_sort_implINS0_14default_configELb0EPKdPdPKlPlN2at6native12_GLOBAL__N_18offset_tEEE10hipError_tPvRmT1_PNSt15iterator_traitsIS12_E10value_typeET2_T3_PNS13_IS18_E10value_typeET4_jRbjT5_S1E_jjP12ihipStream_tbEUljE_ZNSN_ISO_Lb0ESQ_SR_ST_SU_SY_EESZ_S10_S11_S12_S16_S17_S18_S1B_S1C_jS1D_jS1E_S1E_jjS1G_bEUljE0_EEESZ_S10_S11_S18_S1C_S1E_T6_T7_T9_mT8_S1G_bDpT10_ENKUlT_T0_E_clISt17integral_constantIbLb1EES1T_IbLb0EEEEDaS1P_S1Q_EUlS1P_E_NS1_11comp_targetILNS1_3genE0ELNS1_11target_archE4294967295ELNS1_3gpuE0ELNS1_3repE0EEENS1_30default_config_static_selectorELNS0_4arch9wavefront6targetE0EEEvS12_.has_recursion, 0
	.set _ZN7rocprim17ROCPRIM_400000_NS6detail17trampoline_kernelINS0_13select_configILj256ELj13ELNS0_17block_load_methodE3ELS4_3ELS4_3ELNS0_20block_scan_algorithmE0ELj4294967295EEENS1_25partition_config_selectorILNS1_17partition_subalgoE4EjNS0_10empty_typeEbEEZZNS1_14partition_implILS8_4ELb0ES6_15HIP_vector_typeIjLj2EENS0_17counting_iteratorIjlEEPS9_SG_NS0_5tupleIJPjSI_NS0_16reverse_iteratorISI_EEEEENSH_IJSG_SG_SG_EEES9_SI_JZNS1_25segmented_radix_sort_implINS0_14default_configELb0EPKdPdPKlPlN2at6native12_GLOBAL__N_18offset_tEEE10hipError_tPvRmT1_PNSt15iterator_traitsIS12_E10value_typeET2_T3_PNS13_IS18_E10value_typeET4_jRbjT5_S1E_jjP12ihipStream_tbEUljE_ZNSN_ISO_Lb0ESQ_SR_ST_SU_SY_EESZ_S10_S11_S12_S16_S17_S18_S1B_S1C_jS1D_jS1E_S1E_jjS1G_bEUljE0_EEESZ_S10_S11_S18_S1C_S1E_T6_T7_T9_mT8_S1G_bDpT10_ENKUlT_T0_E_clISt17integral_constantIbLb1EES1T_IbLb0EEEEDaS1P_S1Q_EUlS1P_E_NS1_11comp_targetILNS1_3genE0ELNS1_11target_archE4294967295ELNS1_3gpuE0ELNS1_3repE0EEENS1_30default_config_static_selectorELNS0_4arch9wavefront6targetE0EEEvS12_.has_indirect_call, 0
	.section	.AMDGPU.csdata,"",@progbits
; Kernel info:
; codeLenInByte = 0
; TotalNumSgprs: 0
; NumVgprs: 0
; ScratchSize: 0
; MemoryBound: 0
; FloatMode: 240
; IeeeMode: 1
; LDSByteSize: 0 bytes/workgroup (compile time only)
; SGPRBlocks: 0
; VGPRBlocks: 0
; NumSGPRsForWavesPerEU: 1
; NumVGPRsForWavesPerEU: 1
; Occupancy: 16
; WaveLimiterHint : 0
; COMPUTE_PGM_RSRC2:SCRATCH_EN: 0
; COMPUTE_PGM_RSRC2:USER_SGPR: 2
; COMPUTE_PGM_RSRC2:TRAP_HANDLER: 0
; COMPUTE_PGM_RSRC2:TGID_X_EN: 1
; COMPUTE_PGM_RSRC2:TGID_Y_EN: 0
; COMPUTE_PGM_RSRC2:TGID_Z_EN: 0
; COMPUTE_PGM_RSRC2:TIDIG_COMP_CNT: 0
	.section	.text._ZN7rocprim17ROCPRIM_400000_NS6detail17trampoline_kernelINS0_13select_configILj256ELj13ELNS0_17block_load_methodE3ELS4_3ELS4_3ELNS0_20block_scan_algorithmE0ELj4294967295EEENS1_25partition_config_selectorILNS1_17partition_subalgoE4EjNS0_10empty_typeEbEEZZNS1_14partition_implILS8_4ELb0ES6_15HIP_vector_typeIjLj2EENS0_17counting_iteratorIjlEEPS9_SG_NS0_5tupleIJPjSI_NS0_16reverse_iteratorISI_EEEEENSH_IJSG_SG_SG_EEES9_SI_JZNS1_25segmented_radix_sort_implINS0_14default_configELb0EPKdPdPKlPlN2at6native12_GLOBAL__N_18offset_tEEE10hipError_tPvRmT1_PNSt15iterator_traitsIS12_E10value_typeET2_T3_PNS13_IS18_E10value_typeET4_jRbjT5_S1E_jjP12ihipStream_tbEUljE_ZNSN_ISO_Lb0ESQ_SR_ST_SU_SY_EESZ_S10_S11_S12_S16_S17_S18_S1B_S1C_jS1D_jS1E_S1E_jjS1G_bEUljE0_EEESZ_S10_S11_S18_S1C_S1E_T6_T7_T9_mT8_S1G_bDpT10_ENKUlT_T0_E_clISt17integral_constantIbLb1EES1T_IbLb0EEEEDaS1P_S1Q_EUlS1P_E_NS1_11comp_targetILNS1_3genE5ELNS1_11target_archE942ELNS1_3gpuE9ELNS1_3repE0EEENS1_30default_config_static_selectorELNS0_4arch9wavefront6targetE0EEEvS12_,"axG",@progbits,_ZN7rocprim17ROCPRIM_400000_NS6detail17trampoline_kernelINS0_13select_configILj256ELj13ELNS0_17block_load_methodE3ELS4_3ELS4_3ELNS0_20block_scan_algorithmE0ELj4294967295EEENS1_25partition_config_selectorILNS1_17partition_subalgoE4EjNS0_10empty_typeEbEEZZNS1_14partition_implILS8_4ELb0ES6_15HIP_vector_typeIjLj2EENS0_17counting_iteratorIjlEEPS9_SG_NS0_5tupleIJPjSI_NS0_16reverse_iteratorISI_EEEEENSH_IJSG_SG_SG_EEES9_SI_JZNS1_25segmented_radix_sort_implINS0_14default_configELb0EPKdPdPKlPlN2at6native12_GLOBAL__N_18offset_tEEE10hipError_tPvRmT1_PNSt15iterator_traitsIS12_E10value_typeET2_T3_PNS13_IS18_E10value_typeET4_jRbjT5_S1E_jjP12ihipStream_tbEUljE_ZNSN_ISO_Lb0ESQ_SR_ST_SU_SY_EESZ_S10_S11_S12_S16_S17_S18_S1B_S1C_jS1D_jS1E_S1E_jjS1G_bEUljE0_EEESZ_S10_S11_S18_S1C_S1E_T6_T7_T9_mT8_S1G_bDpT10_ENKUlT_T0_E_clISt17integral_constantIbLb1EES1T_IbLb0EEEEDaS1P_S1Q_EUlS1P_E_NS1_11comp_targetILNS1_3genE5ELNS1_11target_archE942ELNS1_3gpuE9ELNS1_3repE0EEENS1_30default_config_static_selectorELNS0_4arch9wavefront6targetE0EEEvS12_,comdat
	.globl	_ZN7rocprim17ROCPRIM_400000_NS6detail17trampoline_kernelINS0_13select_configILj256ELj13ELNS0_17block_load_methodE3ELS4_3ELS4_3ELNS0_20block_scan_algorithmE0ELj4294967295EEENS1_25partition_config_selectorILNS1_17partition_subalgoE4EjNS0_10empty_typeEbEEZZNS1_14partition_implILS8_4ELb0ES6_15HIP_vector_typeIjLj2EENS0_17counting_iteratorIjlEEPS9_SG_NS0_5tupleIJPjSI_NS0_16reverse_iteratorISI_EEEEENSH_IJSG_SG_SG_EEES9_SI_JZNS1_25segmented_radix_sort_implINS0_14default_configELb0EPKdPdPKlPlN2at6native12_GLOBAL__N_18offset_tEEE10hipError_tPvRmT1_PNSt15iterator_traitsIS12_E10value_typeET2_T3_PNS13_IS18_E10value_typeET4_jRbjT5_S1E_jjP12ihipStream_tbEUljE_ZNSN_ISO_Lb0ESQ_SR_ST_SU_SY_EESZ_S10_S11_S12_S16_S17_S18_S1B_S1C_jS1D_jS1E_S1E_jjS1G_bEUljE0_EEESZ_S10_S11_S18_S1C_S1E_T6_T7_T9_mT8_S1G_bDpT10_ENKUlT_T0_E_clISt17integral_constantIbLb1EES1T_IbLb0EEEEDaS1P_S1Q_EUlS1P_E_NS1_11comp_targetILNS1_3genE5ELNS1_11target_archE942ELNS1_3gpuE9ELNS1_3repE0EEENS1_30default_config_static_selectorELNS0_4arch9wavefront6targetE0EEEvS12_ ; -- Begin function _ZN7rocprim17ROCPRIM_400000_NS6detail17trampoline_kernelINS0_13select_configILj256ELj13ELNS0_17block_load_methodE3ELS4_3ELS4_3ELNS0_20block_scan_algorithmE0ELj4294967295EEENS1_25partition_config_selectorILNS1_17partition_subalgoE4EjNS0_10empty_typeEbEEZZNS1_14partition_implILS8_4ELb0ES6_15HIP_vector_typeIjLj2EENS0_17counting_iteratorIjlEEPS9_SG_NS0_5tupleIJPjSI_NS0_16reverse_iteratorISI_EEEEENSH_IJSG_SG_SG_EEES9_SI_JZNS1_25segmented_radix_sort_implINS0_14default_configELb0EPKdPdPKlPlN2at6native12_GLOBAL__N_18offset_tEEE10hipError_tPvRmT1_PNSt15iterator_traitsIS12_E10value_typeET2_T3_PNS13_IS18_E10value_typeET4_jRbjT5_S1E_jjP12ihipStream_tbEUljE_ZNSN_ISO_Lb0ESQ_SR_ST_SU_SY_EESZ_S10_S11_S12_S16_S17_S18_S1B_S1C_jS1D_jS1E_S1E_jjS1G_bEUljE0_EEESZ_S10_S11_S18_S1C_S1E_T6_T7_T9_mT8_S1G_bDpT10_ENKUlT_T0_E_clISt17integral_constantIbLb1EES1T_IbLb0EEEEDaS1P_S1Q_EUlS1P_E_NS1_11comp_targetILNS1_3genE5ELNS1_11target_archE942ELNS1_3gpuE9ELNS1_3repE0EEENS1_30default_config_static_selectorELNS0_4arch9wavefront6targetE0EEEvS12_
	.p2align	8
	.type	_ZN7rocprim17ROCPRIM_400000_NS6detail17trampoline_kernelINS0_13select_configILj256ELj13ELNS0_17block_load_methodE3ELS4_3ELS4_3ELNS0_20block_scan_algorithmE0ELj4294967295EEENS1_25partition_config_selectorILNS1_17partition_subalgoE4EjNS0_10empty_typeEbEEZZNS1_14partition_implILS8_4ELb0ES6_15HIP_vector_typeIjLj2EENS0_17counting_iteratorIjlEEPS9_SG_NS0_5tupleIJPjSI_NS0_16reverse_iteratorISI_EEEEENSH_IJSG_SG_SG_EEES9_SI_JZNS1_25segmented_radix_sort_implINS0_14default_configELb0EPKdPdPKlPlN2at6native12_GLOBAL__N_18offset_tEEE10hipError_tPvRmT1_PNSt15iterator_traitsIS12_E10value_typeET2_T3_PNS13_IS18_E10value_typeET4_jRbjT5_S1E_jjP12ihipStream_tbEUljE_ZNSN_ISO_Lb0ESQ_SR_ST_SU_SY_EESZ_S10_S11_S12_S16_S17_S18_S1B_S1C_jS1D_jS1E_S1E_jjS1G_bEUljE0_EEESZ_S10_S11_S18_S1C_S1E_T6_T7_T9_mT8_S1G_bDpT10_ENKUlT_T0_E_clISt17integral_constantIbLb1EES1T_IbLb0EEEEDaS1P_S1Q_EUlS1P_E_NS1_11comp_targetILNS1_3genE5ELNS1_11target_archE942ELNS1_3gpuE9ELNS1_3repE0EEENS1_30default_config_static_selectorELNS0_4arch9wavefront6targetE0EEEvS12_,@function
_ZN7rocprim17ROCPRIM_400000_NS6detail17trampoline_kernelINS0_13select_configILj256ELj13ELNS0_17block_load_methodE3ELS4_3ELS4_3ELNS0_20block_scan_algorithmE0ELj4294967295EEENS1_25partition_config_selectorILNS1_17partition_subalgoE4EjNS0_10empty_typeEbEEZZNS1_14partition_implILS8_4ELb0ES6_15HIP_vector_typeIjLj2EENS0_17counting_iteratorIjlEEPS9_SG_NS0_5tupleIJPjSI_NS0_16reverse_iteratorISI_EEEEENSH_IJSG_SG_SG_EEES9_SI_JZNS1_25segmented_radix_sort_implINS0_14default_configELb0EPKdPdPKlPlN2at6native12_GLOBAL__N_18offset_tEEE10hipError_tPvRmT1_PNSt15iterator_traitsIS12_E10value_typeET2_T3_PNS13_IS18_E10value_typeET4_jRbjT5_S1E_jjP12ihipStream_tbEUljE_ZNSN_ISO_Lb0ESQ_SR_ST_SU_SY_EESZ_S10_S11_S12_S16_S17_S18_S1B_S1C_jS1D_jS1E_S1E_jjS1G_bEUljE0_EEESZ_S10_S11_S18_S1C_S1E_T6_T7_T9_mT8_S1G_bDpT10_ENKUlT_T0_E_clISt17integral_constantIbLb1EES1T_IbLb0EEEEDaS1P_S1Q_EUlS1P_E_NS1_11comp_targetILNS1_3genE5ELNS1_11target_archE942ELNS1_3gpuE9ELNS1_3repE0EEENS1_30default_config_static_selectorELNS0_4arch9wavefront6targetE0EEEvS12_: ; @_ZN7rocprim17ROCPRIM_400000_NS6detail17trampoline_kernelINS0_13select_configILj256ELj13ELNS0_17block_load_methodE3ELS4_3ELS4_3ELNS0_20block_scan_algorithmE0ELj4294967295EEENS1_25partition_config_selectorILNS1_17partition_subalgoE4EjNS0_10empty_typeEbEEZZNS1_14partition_implILS8_4ELb0ES6_15HIP_vector_typeIjLj2EENS0_17counting_iteratorIjlEEPS9_SG_NS0_5tupleIJPjSI_NS0_16reverse_iteratorISI_EEEEENSH_IJSG_SG_SG_EEES9_SI_JZNS1_25segmented_radix_sort_implINS0_14default_configELb0EPKdPdPKlPlN2at6native12_GLOBAL__N_18offset_tEEE10hipError_tPvRmT1_PNSt15iterator_traitsIS12_E10value_typeET2_T3_PNS13_IS18_E10value_typeET4_jRbjT5_S1E_jjP12ihipStream_tbEUljE_ZNSN_ISO_Lb0ESQ_SR_ST_SU_SY_EESZ_S10_S11_S12_S16_S17_S18_S1B_S1C_jS1D_jS1E_S1E_jjS1G_bEUljE0_EEESZ_S10_S11_S18_S1C_S1E_T6_T7_T9_mT8_S1G_bDpT10_ENKUlT_T0_E_clISt17integral_constantIbLb1EES1T_IbLb0EEEEDaS1P_S1Q_EUlS1P_E_NS1_11comp_targetILNS1_3genE5ELNS1_11target_archE942ELNS1_3gpuE9ELNS1_3repE0EEENS1_30default_config_static_selectorELNS0_4arch9wavefront6targetE0EEEvS12_
; %bb.0:
	.section	.rodata,"a",@progbits
	.p2align	6, 0x0
	.amdhsa_kernel _ZN7rocprim17ROCPRIM_400000_NS6detail17trampoline_kernelINS0_13select_configILj256ELj13ELNS0_17block_load_methodE3ELS4_3ELS4_3ELNS0_20block_scan_algorithmE0ELj4294967295EEENS1_25partition_config_selectorILNS1_17partition_subalgoE4EjNS0_10empty_typeEbEEZZNS1_14partition_implILS8_4ELb0ES6_15HIP_vector_typeIjLj2EENS0_17counting_iteratorIjlEEPS9_SG_NS0_5tupleIJPjSI_NS0_16reverse_iteratorISI_EEEEENSH_IJSG_SG_SG_EEES9_SI_JZNS1_25segmented_radix_sort_implINS0_14default_configELb0EPKdPdPKlPlN2at6native12_GLOBAL__N_18offset_tEEE10hipError_tPvRmT1_PNSt15iterator_traitsIS12_E10value_typeET2_T3_PNS13_IS18_E10value_typeET4_jRbjT5_S1E_jjP12ihipStream_tbEUljE_ZNSN_ISO_Lb0ESQ_SR_ST_SU_SY_EESZ_S10_S11_S12_S16_S17_S18_S1B_S1C_jS1D_jS1E_S1E_jjS1G_bEUljE0_EEESZ_S10_S11_S18_S1C_S1E_T6_T7_T9_mT8_S1G_bDpT10_ENKUlT_T0_E_clISt17integral_constantIbLb1EES1T_IbLb0EEEEDaS1P_S1Q_EUlS1P_E_NS1_11comp_targetILNS1_3genE5ELNS1_11target_archE942ELNS1_3gpuE9ELNS1_3repE0EEENS1_30default_config_static_selectorELNS0_4arch9wavefront6targetE0EEEvS12_
		.amdhsa_group_segment_fixed_size 0
		.amdhsa_private_segment_fixed_size 0
		.amdhsa_kernarg_size 176
		.amdhsa_user_sgpr_count 2
		.amdhsa_user_sgpr_dispatch_ptr 0
		.amdhsa_user_sgpr_queue_ptr 0
		.amdhsa_user_sgpr_kernarg_segment_ptr 1
		.amdhsa_user_sgpr_dispatch_id 0
		.amdhsa_user_sgpr_private_segment_size 0
		.amdhsa_wavefront_size32 1
		.amdhsa_uses_dynamic_stack 0
		.amdhsa_enable_private_segment 0
		.amdhsa_system_sgpr_workgroup_id_x 1
		.amdhsa_system_sgpr_workgroup_id_y 0
		.amdhsa_system_sgpr_workgroup_id_z 0
		.amdhsa_system_sgpr_workgroup_info 0
		.amdhsa_system_vgpr_workitem_id 0
		.amdhsa_next_free_vgpr 1
		.amdhsa_next_free_sgpr 1
		.amdhsa_reserve_vcc 0
		.amdhsa_float_round_mode_32 0
		.amdhsa_float_round_mode_16_64 0
		.amdhsa_float_denorm_mode_32 3
		.amdhsa_float_denorm_mode_16_64 3
		.amdhsa_fp16_overflow 0
		.amdhsa_workgroup_processor_mode 1
		.amdhsa_memory_ordered 1
		.amdhsa_forward_progress 1
		.amdhsa_inst_pref_size 0
		.amdhsa_round_robin_scheduling 0
		.amdhsa_exception_fp_ieee_invalid_op 0
		.amdhsa_exception_fp_denorm_src 0
		.amdhsa_exception_fp_ieee_div_zero 0
		.amdhsa_exception_fp_ieee_overflow 0
		.amdhsa_exception_fp_ieee_underflow 0
		.amdhsa_exception_fp_ieee_inexact 0
		.amdhsa_exception_int_div_zero 0
	.end_amdhsa_kernel
	.section	.text._ZN7rocprim17ROCPRIM_400000_NS6detail17trampoline_kernelINS0_13select_configILj256ELj13ELNS0_17block_load_methodE3ELS4_3ELS4_3ELNS0_20block_scan_algorithmE0ELj4294967295EEENS1_25partition_config_selectorILNS1_17partition_subalgoE4EjNS0_10empty_typeEbEEZZNS1_14partition_implILS8_4ELb0ES6_15HIP_vector_typeIjLj2EENS0_17counting_iteratorIjlEEPS9_SG_NS0_5tupleIJPjSI_NS0_16reverse_iteratorISI_EEEEENSH_IJSG_SG_SG_EEES9_SI_JZNS1_25segmented_radix_sort_implINS0_14default_configELb0EPKdPdPKlPlN2at6native12_GLOBAL__N_18offset_tEEE10hipError_tPvRmT1_PNSt15iterator_traitsIS12_E10value_typeET2_T3_PNS13_IS18_E10value_typeET4_jRbjT5_S1E_jjP12ihipStream_tbEUljE_ZNSN_ISO_Lb0ESQ_SR_ST_SU_SY_EESZ_S10_S11_S12_S16_S17_S18_S1B_S1C_jS1D_jS1E_S1E_jjS1G_bEUljE0_EEESZ_S10_S11_S18_S1C_S1E_T6_T7_T9_mT8_S1G_bDpT10_ENKUlT_T0_E_clISt17integral_constantIbLb1EES1T_IbLb0EEEEDaS1P_S1Q_EUlS1P_E_NS1_11comp_targetILNS1_3genE5ELNS1_11target_archE942ELNS1_3gpuE9ELNS1_3repE0EEENS1_30default_config_static_selectorELNS0_4arch9wavefront6targetE0EEEvS12_,"axG",@progbits,_ZN7rocprim17ROCPRIM_400000_NS6detail17trampoline_kernelINS0_13select_configILj256ELj13ELNS0_17block_load_methodE3ELS4_3ELS4_3ELNS0_20block_scan_algorithmE0ELj4294967295EEENS1_25partition_config_selectorILNS1_17partition_subalgoE4EjNS0_10empty_typeEbEEZZNS1_14partition_implILS8_4ELb0ES6_15HIP_vector_typeIjLj2EENS0_17counting_iteratorIjlEEPS9_SG_NS0_5tupleIJPjSI_NS0_16reverse_iteratorISI_EEEEENSH_IJSG_SG_SG_EEES9_SI_JZNS1_25segmented_radix_sort_implINS0_14default_configELb0EPKdPdPKlPlN2at6native12_GLOBAL__N_18offset_tEEE10hipError_tPvRmT1_PNSt15iterator_traitsIS12_E10value_typeET2_T3_PNS13_IS18_E10value_typeET4_jRbjT5_S1E_jjP12ihipStream_tbEUljE_ZNSN_ISO_Lb0ESQ_SR_ST_SU_SY_EESZ_S10_S11_S12_S16_S17_S18_S1B_S1C_jS1D_jS1E_S1E_jjS1G_bEUljE0_EEESZ_S10_S11_S18_S1C_S1E_T6_T7_T9_mT8_S1G_bDpT10_ENKUlT_T0_E_clISt17integral_constantIbLb1EES1T_IbLb0EEEEDaS1P_S1Q_EUlS1P_E_NS1_11comp_targetILNS1_3genE5ELNS1_11target_archE942ELNS1_3gpuE9ELNS1_3repE0EEENS1_30default_config_static_selectorELNS0_4arch9wavefront6targetE0EEEvS12_,comdat
.Lfunc_end1174:
	.size	_ZN7rocprim17ROCPRIM_400000_NS6detail17trampoline_kernelINS0_13select_configILj256ELj13ELNS0_17block_load_methodE3ELS4_3ELS4_3ELNS0_20block_scan_algorithmE0ELj4294967295EEENS1_25partition_config_selectorILNS1_17partition_subalgoE4EjNS0_10empty_typeEbEEZZNS1_14partition_implILS8_4ELb0ES6_15HIP_vector_typeIjLj2EENS0_17counting_iteratorIjlEEPS9_SG_NS0_5tupleIJPjSI_NS0_16reverse_iteratorISI_EEEEENSH_IJSG_SG_SG_EEES9_SI_JZNS1_25segmented_radix_sort_implINS0_14default_configELb0EPKdPdPKlPlN2at6native12_GLOBAL__N_18offset_tEEE10hipError_tPvRmT1_PNSt15iterator_traitsIS12_E10value_typeET2_T3_PNS13_IS18_E10value_typeET4_jRbjT5_S1E_jjP12ihipStream_tbEUljE_ZNSN_ISO_Lb0ESQ_SR_ST_SU_SY_EESZ_S10_S11_S12_S16_S17_S18_S1B_S1C_jS1D_jS1E_S1E_jjS1G_bEUljE0_EEESZ_S10_S11_S18_S1C_S1E_T6_T7_T9_mT8_S1G_bDpT10_ENKUlT_T0_E_clISt17integral_constantIbLb1EES1T_IbLb0EEEEDaS1P_S1Q_EUlS1P_E_NS1_11comp_targetILNS1_3genE5ELNS1_11target_archE942ELNS1_3gpuE9ELNS1_3repE0EEENS1_30default_config_static_selectorELNS0_4arch9wavefront6targetE0EEEvS12_, .Lfunc_end1174-_ZN7rocprim17ROCPRIM_400000_NS6detail17trampoline_kernelINS0_13select_configILj256ELj13ELNS0_17block_load_methodE3ELS4_3ELS4_3ELNS0_20block_scan_algorithmE0ELj4294967295EEENS1_25partition_config_selectorILNS1_17partition_subalgoE4EjNS0_10empty_typeEbEEZZNS1_14partition_implILS8_4ELb0ES6_15HIP_vector_typeIjLj2EENS0_17counting_iteratorIjlEEPS9_SG_NS0_5tupleIJPjSI_NS0_16reverse_iteratorISI_EEEEENSH_IJSG_SG_SG_EEES9_SI_JZNS1_25segmented_radix_sort_implINS0_14default_configELb0EPKdPdPKlPlN2at6native12_GLOBAL__N_18offset_tEEE10hipError_tPvRmT1_PNSt15iterator_traitsIS12_E10value_typeET2_T3_PNS13_IS18_E10value_typeET4_jRbjT5_S1E_jjP12ihipStream_tbEUljE_ZNSN_ISO_Lb0ESQ_SR_ST_SU_SY_EESZ_S10_S11_S12_S16_S17_S18_S1B_S1C_jS1D_jS1E_S1E_jjS1G_bEUljE0_EEESZ_S10_S11_S18_S1C_S1E_T6_T7_T9_mT8_S1G_bDpT10_ENKUlT_T0_E_clISt17integral_constantIbLb1EES1T_IbLb0EEEEDaS1P_S1Q_EUlS1P_E_NS1_11comp_targetILNS1_3genE5ELNS1_11target_archE942ELNS1_3gpuE9ELNS1_3repE0EEENS1_30default_config_static_selectorELNS0_4arch9wavefront6targetE0EEEvS12_
                                        ; -- End function
	.set _ZN7rocprim17ROCPRIM_400000_NS6detail17trampoline_kernelINS0_13select_configILj256ELj13ELNS0_17block_load_methodE3ELS4_3ELS4_3ELNS0_20block_scan_algorithmE0ELj4294967295EEENS1_25partition_config_selectorILNS1_17partition_subalgoE4EjNS0_10empty_typeEbEEZZNS1_14partition_implILS8_4ELb0ES6_15HIP_vector_typeIjLj2EENS0_17counting_iteratorIjlEEPS9_SG_NS0_5tupleIJPjSI_NS0_16reverse_iteratorISI_EEEEENSH_IJSG_SG_SG_EEES9_SI_JZNS1_25segmented_radix_sort_implINS0_14default_configELb0EPKdPdPKlPlN2at6native12_GLOBAL__N_18offset_tEEE10hipError_tPvRmT1_PNSt15iterator_traitsIS12_E10value_typeET2_T3_PNS13_IS18_E10value_typeET4_jRbjT5_S1E_jjP12ihipStream_tbEUljE_ZNSN_ISO_Lb0ESQ_SR_ST_SU_SY_EESZ_S10_S11_S12_S16_S17_S18_S1B_S1C_jS1D_jS1E_S1E_jjS1G_bEUljE0_EEESZ_S10_S11_S18_S1C_S1E_T6_T7_T9_mT8_S1G_bDpT10_ENKUlT_T0_E_clISt17integral_constantIbLb1EES1T_IbLb0EEEEDaS1P_S1Q_EUlS1P_E_NS1_11comp_targetILNS1_3genE5ELNS1_11target_archE942ELNS1_3gpuE9ELNS1_3repE0EEENS1_30default_config_static_selectorELNS0_4arch9wavefront6targetE0EEEvS12_.num_vgpr, 0
	.set _ZN7rocprim17ROCPRIM_400000_NS6detail17trampoline_kernelINS0_13select_configILj256ELj13ELNS0_17block_load_methodE3ELS4_3ELS4_3ELNS0_20block_scan_algorithmE0ELj4294967295EEENS1_25partition_config_selectorILNS1_17partition_subalgoE4EjNS0_10empty_typeEbEEZZNS1_14partition_implILS8_4ELb0ES6_15HIP_vector_typeIjLj2EENS0_17counting_iteratorIjlEEPS9_SG_NS0_5tupleIJPjSI_NS0_16reverse_iteratorISI_EEEEENSH_IJSG_SG_SG_EEES9_SI_JZNS1_25segmented_radix_sort_implINS0_14default_configELb0EPKdPdPKlPlN2at6native12_GLOBAL__N_18offset_tEEE10hipError_tPvRmT1_PNSt15iterator_traitsIS12_E10value_typeET2_T3_PNS13_IS18_E10value_typeET4_jRbjT5_S1E_jjP12ihipStream_tbEUljE_ZNSN_ISO_Lb0ESQ_SR_ST_SU_SY_EESZ_S10_S11_S12_S16_S17_S18_S1B_S1C_jS1D_jS1E_S1E_jjS1G_bEUljE0_EEESZ_S10_S11_S18_S1C_S1E_T6_T7_T9_mT8_S1G_bDpT10_ENKUlT_T0_E_clISt17integral_constantIbLb1EES1T_IbLb0EEEEDaS1P_S1Q_EUlS1P_E_NS1_11comp_targetILNS1_3genE5ELNS1_11target_archE942ELNS1_3gpuE9ELNS1_3repE0EEENS1_30default_config_static_selectorELNS0_4arch9wavefront6targetE0EEEvS12_.num_agpr, 0
	.set _ZN7rocprim17ROCPRIM_400000_NS6detail17trampoline_kernelINS0_13select_configILj256ELj13ELNS0_17block_load_methodE3ELS4_3ELS4_3ELNS0_20block_scan_algorithmE0ELj4294967295EEENS1_25partition_config_selectorILNS1_17partition_subalgoE4EjNS0_10empty_typeEbEEZZNS1_14partition_implILS8_4ELb0ES6_15HIP_vector_typeIjLj2EENS0_17counting_iteratorIjlEEPS9_SG_NS0_5tupleIJPjSI_NS0_16reverse_iteratorISI_EEEEENSH_IJSG_SG_SG_EEES9_SI_JZNS1_25segmented_radix_sort_implINS0_14default_configELb0EPKdPdPKlPlN2at6native12_GLOBAL__N_18offset_tEEE10hipError_tPvRmT1_PNSt15iterator_traitsIS12_E10value_typeET2_T3_PNS13_IS18_E10value_typeET4_jRbjT5_S1E_jjP12ihipStream_tbEUljE_ZNSN_ISO_Lb0ESQ_SR_ST_SU_SY_EESZ_S10_S11_S12_S16_S17_S18_S1B_S1C_jS1D_jS1E_S1E_jjS1G_bEUljE0_EEESZ_S10_S11_S18_S1C_S1E_T6_T7_T9_mT8_S1G_bDpT10_ENKUlT_T0_E_clISt17integral_constantIbLb1EES1T_IbLb0EEEEDaS1P_S1Q_EUlS1P_E_NS1_11comp_targetILNS1_3genE5ELNS1_11target_archE942ELNS1_3gpuE9ELNS1_3repE0EEENS1_30default_config_static_selectorELNS0_4arch9wavefront6targetE0EEEvS12_.numbered_sgpr, 0
	.set _ZN7rocprim17ROCPRIM_400000_NS6detail17trampoline_kernelINS0_13select_configILj256ELj13ELNS0_17block_load_methodE3ELS4_3ELS4_3ELNS0_20block_scan_algorithmE0ELj4294967295EEENS1_25partition_config_selectorILNS1_17partition_subalgoE4EjNS0_10empty_typeEbEEZZNS1_14partition_implILS8_4ELb0ES6_15HIP_vector_typeIjLj2EENS0_17counting_iteratorIjlEEPS9_SG_NS0_5tupleIJPjSI_NS0_16reverse_iteratorISI_EEEEENSH_IJSG_SG_SG_EEES9_SI_JZNS1_25segmented_radix_sort_implINS0_14default_configELb0EPKdPdPKlPlN2at6native12_GLOBAL__N_18offset_tEEE10hipError_tPvRmT1_PNSt15iterator_traitsIS12_E10value_typeET2_T3_PNS13_IS18_E10value_typeET4_jRbjT5_S1E_jjP12ihipStream_tbEUljE_ZNSN_ISO_Lb0ESQ_SR_ST_SU_SY_EESZ_S10_S11_S12_S16_S17_S18_S1B_S1C_jS1D_jS1E_S1E_jjS1G_bEUljE0_EEESZ_S10_S11_S18_S1C_S1E_T6_T7_T9_mT8_S1G_bDpT10_ENKUlT_T0_E_clISt17integral_constantIbLb1EES1T_IbLb0EEEEDaS1P_S1Q_EUlS1P_E_NS1_11comp_targetILNS1_3genE5ELNS1_11target_archE942ELNS1_3gpuE9ELNS1_3repE0EEENS1_30default_config_static_selectorELNS0_4arch9wavefront6targetE0EEEvS12_.num_named_barrier, 0
	.set _ZN7rocprim17ROCPRIM_400000_NS6detail17trampoline_kernelINS0_13select_configILj256ELj13ELNS0_17block_load_methodE3ELS4_3ELS4_3ELNS0_20block_scan_algorithmE0ELj4294967295EEENS1_25partition_config_selectorILNS1_17partition_subalgoE4EjNS0_10empty_typeEbEEZZNS1_14partition_implILS8_4ELb0ES6_15HIP_vector_typeIjLj2EENS0_17counting_iteratorIjlEEPS9_SG_NS0_5tupleIJPjSI_NS0_16reverse_iteratorISI_EEEEENSH_IJSG_SG_SG_EEES9_SI_JZNS1_25segmented_radix_sort_implINS0_14default_configELb0EPKdPdPKlPlN2at6native12_GLOBAL__N_18offset_tEEE10hipError_tPvRmT1_PNSt15iterator_traitsIS12_E10value_typeET2_T3_PNS13_IS18_E10value_typeET4_jRbjT5_S1E_jjP12ihipStream_tbEUljE_ZNSN_ISO_Lb0ESQ_SR_ST_SU_SY_EESZ_S10_S11_S12_S16_S17_S18_S1B_S1C_jS1D_jS1E_S1E_jjS1G_bEUljE0_EEESZ_S10_S11_S18_S1C_S1E_T6_T7_T9_mT8_S1G_bDpT10_ENKUlT_T0_E_clISt17integral_constantIbLb1EES1T_IbLb0EEEEDaS1P_S1Q_EUlS1P_E_NS1_11comp_targetILNS1_3genE5ELNS1_11target_archE942ELNS1_3gpuE9ELNS1_3repE0EEENS1_30default_config_static_selectorELNS0_4arch9wavefront6targetE0EEEvS12_.private_seg_size, 0
	.set _ZN7rocprim17ROCPRIM_400000_NS6detail17trampoline_kernelINS0_13select_configILj256ELj13ELNS0_17block_load_methodE3ELS4_3ELS4_3ELNS0_20block_scan_algorithmE0ELj4294967295EEENS1_25partition_config_selectorILNS1_17partition_subalgoE4EjNS0_10empty_typeEbEEZZNS1_14partition_implILS8_4ELb0ES6_15HIP_vector_typeIjLj2EENS0_17counting_iteratorIjlEEPS9_SG_NS0_5tupleIJPjSI_NS0_16reverse_iteratorISI_EEEEENSH_IJSG_SG_SG_EEES9_SI_JZNS1_25segmented_radix_sort_implINS0_14default_configELb0EPKdPdPKlPlN2at6native12_GLOBAL__N_18offset_tEEE10hipError_tPvRmT1_PNSt15iterator_traitsIS12_E10value_typeET2_T3_PNS13_IS18_E10value_typeET4_jRbjT5_S1E_jjP12ihipStream_tbEUljE_ZNSN_ISO_Lb0ESQ_SR_ST_SU_SY_EESZ_S10_S11_S12_S16_S17_S18_S1B_S1C_jS1D_jS1E_S1E_jjS1G_bEUljE0_EEESZ_S10_S11_S18_S1C_S1E_T6_T7_T9_mT8_S1G_bDpT10_ENKUlT_T0_E_clISt17integral_constantIbLb1EES1T_IbLb0EEEEDaS1P_S1Q_EUlS1P_E_NS1_11comp_targetILNS1_3genE5ELNS1_11target_archE942ELNS1_3gpuE9ELNS1_3repE0EEENS1_30default_config_static_selectorELNS0_4arch9wavefront6targetE0EEEvS12_.uses_vcc, 0
	.set _ZN7rocprim17ROCPRIM_400000_NS6detail17trampoline_kernelINS0_13select_configILj256ELj13ELNS0_17block_load_methodE3ELS4_3ELS4_3ELNS0_20block_scan_algorithmE0ELj4294967295EEENS1_25partition_config_selectorILNS1_17partition_subalgoE4EjNS0_10empty_typeEbEEZZNS1_14partition_implILS8_4ELb0ES6_15HIP_vector_typeIjLj2EENS0_17counting_iteratorIjlEEPS9_SG_NS0_5tupleIJPjSI_NS0_16reverse_iteratorISI_EEEEENSH_IJSG_SG_SG_EEES9_SI_JZNS1_25segmented_radix_sort_implINS0_14default_configELb0EPKdPdPKlPlN2at6native12_GLOBAL__N_18offset_tEEE10hipError_tPvRmT1_PNSt15iterator_traitsIS12_E10value_typeET2_T3_PNS13_IS18_E10value_typeET4_jRbjT5_S1E_jjP12ihipStream_tbEUljE_ZNSN_ISO_Lb0ESQ_SR_ST_SU_SY_EESZ_S10_S11_S12_S16_S17_S18_S1B_S1C_jS1D_jS1E_S1E_jjS1G_bEUljE0_EEESZ_S10_S11_S18_S1C_S1E_T6_T7_T9_mT8_S1G_bDpT10_ENKUlT_T0_E_clISt17integral_constantIbLb1EES1T_IbLb0EEEEDaS1P_S1Q_EUlS1P_E_NS1_11comp_targetILNS1_3genE5ELNS1_11target_archE942ELNS1_3gpuE9ELNS1_3repE0EEENS1_30default_config_static_selectorELNS0_4arch9wavefront6targetE0EEEvS12_.uses_flat_scratch, 0
	.set _ZN7rocprim17ROCPRIM_400000_NS6detail17trampoline_kernelINS0_13select_configILj256ELj13ELNS0_17block_load_methodE3ELS4_3ELS4_3ELNS0_20block_scan_algorithmE0ELj4294967295EEENS1_25partition_config_selectorILNS1_17partition_subalgoE4EjNS0_10empty_typeEbEEZZNS1_14partition_implILS8_4ELb0ES6_15HIP_vector_typeIjLj2EENS0_17counting_iteratorIjlEEPS9_SG_NS0_5tupleIJPjSI_NS0_16reverse_iteratorISI_EEEEENSH_IJSG_SG_SG_EEES9_SI_JZNS1_25segmented_radix_sort_implINS0_14default_configELb0EPKdPdPKlPlN2at6native12_GLOBAL__N_18offset_tEEE10hipError_tPvRmT1_PNSt15iterator_traitsIS12_E10value_typeET2_T3_PNS13_IS18_E10value_typeET4_jRbjT5_S1E_jjP12ihipStream_tbEUljE_ZNSN_ISO_Lb0ESQ_SR_ST_SU_SY_EESZ_S10_S11_S12_S16_S17_S18_S1B_S1C_jS1D_jS1E_S1E_jjS1G_bEUljE0_EEESZ_S10_S11_S18_S1C_S1E_T6_T7_T9_mT8_S1G_bDpT10_ENKUlT_T0_E_clISt17integral_constantIbLb1EES1T_IbLb0EEEEDaS1P_S1Q_EUlS1P_E_NS1_11comp_targetILNS1_3genE5ELNS1_11target_archE942ELNS1_3gpuE9ELNS1_3repE0EEENS1_30default_config_static_selectorELNS0_4arch9wavefront6targetE0EEEvS12_.has_dyn_sized_stack, 0
	.set _ZN7rocprim17ROCPRIM_400000_NS6detail17trampoline_kernelINS0_13select_configILj256ELj13ELNS0_17block_load_methodE3ELS4_3ELS4_3ELNS0_20block_scan_algorithmE0ELj4294967295EEENS1_25partition_config_selectorILNS1_17partition_subalgoE4EjNS0_10empty_typeEbEEZZNS1_14partition_implILS8_4ELb0ES6_15HIP_vector_typeIjLj2EENS0_17counting_iteratorIjlEEPS9_SG_NS0_5tupleIJPjSI_NS0_16reverse_iteratorISI_EEEEENSH_IJSG_SG_SG_EEES9_SI_JZNS1_25segmented_radix_sort_implINS0_14default_configELb0EPKdPdPKlPlN2at6native12_GLOBAL__N_18offset_tEEE10hipError_tPvRmT1_PNSt15iterator_traitsIS12_E10value_typeET2_T3_PNS13_IS18_E10value_typeET4_jRbjT5_S1E_jjP12ihipStream_tbEUljE_ZNSN_ISO_Lb0ESQ_SR_ST_SU_SY_EESZ_S10_S11_S12_S16_S17_S18_S1B_S1C_jS1D_jS1E_S1E_jjS1G_bEUljE0_EEESZ_S10_S11_S18_S1C_S1E_T6_T7_T9_mT8_S1G_bDpT10_ENKUlT_T0_E_clISt17integral_constantIbLb1EES1T_IbLb0EEEEDaS1P_S1Q_EUlS1P_E_NS1_11comp_targetILNS1_3genE5ELNS1_11target_archE942ELNS1_3gpuE9ELNS1_3repE0EEENS1_30default_config_static_selectorELNS0_4arch9wavefront6targetE0EEEvS12_.has_recursion, 0
	.set _ZN7rocprim17ROCPRIM_400000_NS6detail17trampoline_kernelINS0_13select_configILj256ELj13ELNS0_17block_load_methodE3ELS4_3ELS4_3ELNS0_20block_scan_algorithmE0ELj4294967295EEENS1_25partition_config_selectorILNS1_17partition_subalgoE4EjNS0_10empty_typeEbEEZZNS1_14partition_implILS8_4ELb0ES6_15HIP_vector_typeIjLj2EENS0_17counting_iteratorIjlEEPS9_SG_NS0_5tupleIJPjSI_NS0_16reverse_iteratorISI_EEEEENSH_IJSG_SG_SG_EEES9_SI_JZNS1_25segmented_radix_sort_implINS0_14default_configELb0EPKdPdPKlPlN2at6native12_GLOBAL__N_18offset_tEEE10hipError_tPvRmT1_PNSt15iterator_traitsIS12_E10value_typeET2_T3_PNS13_IS18_E10value_typeET4_jRbjT5_S1E_jjP12ihipStream_tbEUljE_ZNSN_ISO_Lb0ESQ_SR_ST_SU_SY_EESZ_S10_S11_S12_S16_S17_S18_S1B_S1C_jS1D_jS1E_S1E_jjS1G_bEUljE0_EEESZ_S10_S11_S18_S1C_S1E_T6_T7_T9_mT8_S1G_bDpT10_ENKUlT_T0_E_clISt17integral_constantIbLb1EES1T_IbLb0EEEEDaS1P_S1Q_EUlS1P_E_NS1_11comp_targetILNS1_3genE5ELNS1_11target_archE942ELNS1_3gpuE9ELNS1_3repE0EEENS1_30default_config_static_selectorELNS0_4arch9wavefront6targetE0EEEvS12_.has_indirect_call, 0
	.section	.AMDGPU.csdata,"",@progbits
; Kernel info:
; codeLenInByte = 0
; TotalNumSgprs: 0
; NumVgprs: 0
; ScratchSize: 0
; MemoryBound: 0
; FloatMode: 240
; IeeeMode: 1
; LDSByteSize: 0 bytes/workgroup (compile time only)
; SGPRBlocks: 0
; VGPRBlocks: 0
; NumSGPRsForWavesPerEU: 1
; NumVGPRsForWavesPerEU: 1
; Occupancy: 16
; WaveLimiterHint : 0
; COMPUTE_PGM_RSRC2:SCRATCH_EN: 0
; COMPUTE_PGM_RSRC2:USER_SGPR: 2
; COMPUTE_PGM_RSRC2:TRAP_HANDLER: 0
; COMPUTE_PGM_RSRC2:TGID_X_EN: 1
; COMPUTE_PGM_RSRC2:TGID_Y_EN: 0
; COMPUTE_PGM_RSRC2:TGID_Z_EN: 0
; COMPUTE_PGM_RSRC2:TIDIG_COMP_CNT: 0
	.section	.text._ZN7rocprim17ROCPRIM_400000_NS6detail17trampoline_kernelINS0_13select_configILj256ELj13ELNS0_17block_load_methodE3ELS4_3ELS4_3ELNS0_20block_scan_algorithmE0ELj4294967295EEENS1_25partition_config_selectorILNS1_17partition_subalgoE4EjNS0_10empty_typeEbEEZZNS1_14partition_implILS8_4ELb0ES6_15HIP_vector_typeIjLj2EENS0_17counting_iteratorIjlEEPS9_SG_NS0_5tupleIJPjSI_NS0_16reverse_iteratorISI_EEEEENSH_IJSG_SG_SG_EEES9_SI_JZNS1_25segmented_radix_sort_implINS0_14default_configELb0EPKdPdPKlPlN2at6native12_GLOBAL__N_18offset_tEEE10hipError_tPvRmT1_PNSt15iterator_traitsIS12_E10value_typeET2_T3_PNS13_IS18_E10value_typeET4_jRbjT5_S1E_jjP12ihipStream_tbEUljE_ZNSN_ISO_Lb0ESQ_SR_ST_SU_SY_EESZ_S10_S11_S12_S16_S17_S18_S1B_S1C_jS1D_jS1E_S1E_jjS1G_bEUljE0_EEESZ_S10_S11_S18_S1C_S1E_T6_T7_T9_mT8_S1G_bDpT10_ENKUlT_T0_E_clISt17integral_constantIbLb1EES1T_IbLb0EEEEDaS1P_S1Q_EUlS1P_E_NS1_11comp_targetILNS1_3genE4ELNS1_11target_archE910ELNS1_3gpuE8ELNS1_3repE0EEENS1_30default_config_static_selectorELNS0_4arch9wavefront6targetE0EEEvS12_,"axG",@progbits,_ZN7rocprim17ROCPRIM_400000_NS6detail17trampoline_kernelINS0_13select_configILj256ELj13ELNS0_17block_load_methodE3ELS4_3ELS4_3ELNS0_20block_scan_algorithmE0ELj4294967295EEENS1_25partition_config_selectorILNS1_17partition_subalgoE4EjNS0_10empty_typeEbEEZZNS1_14partition_implILS8_4ELb0ES6_15HIP_vector_typeIjLj2EENS0_17counting_iteratorIjlEEPS9_SG_NS0_5tupleIJPjSI_NS0_16reverse_iteratorISI_EEEEENSH_IJSG_SG_SG_EEES9_SI_JZNS1_25segmented_radix_sort_implINS0_14default_configELb0EPKdPdPKlPlN2at6native12_GLOBAL__N_18offset_tEEE10hipError_tPvRmT1_PNSt15iterator_traitsIS12_E10value_typeET2_T3_PNS13_IS18_E10value_typeET4_jRbjT5_S1E_jjP12ihipStream_tbEUljE_ZNSN_ISO_Lb0ESQ_SR_ST_SU_SY_EESZ_S10_S11_S12_S16_S17_S18_S1B_S1C_jS1D_jS1E_S1E_jjS1G_bEUljE0_EEESZ_S10_S11_S18_S1C_S1E_T6_T7_T9_mT8_S1G_bDpT10_ENKUlT_T0_E_clISt17integral_constantIbLb1EES1T_IbLb0EEEEDaS1P_S1Q_EUlS1P_E_NS1_11comp_targetILNS1_3genE4ELNS1_11target_archE910ELNS1_3gpuE8ELNS1_3repE0EEENS1_30default_config_static_selectorELNS0_4arch9wavefront6targetE0EEEvS12_,comdat
	.globl	_ZN7rocprim17ROCPRIM_400000_NS6detail17trampoline_kernelINS0_13select_configILj256ELj13ELNS0_17block_load_methodE3ELS4_3ELS4_3ELNS0_20block_scan_algorithmE0ELj4294967295EEENS1_25partition_config_selectorILNS1_17partition_subalgoE4EjNS0_10empty_typeEbEEZZNS1_14partition_implILS8_4ELb0ES6_15HIP_vector_typeIjLj2EENS0_17counting_iteratorIjlEEPS9_SG_NS0_5tupleIJPjSI_NS0_16reverse_iteratorISI_EEEEENSH_IJSG_SG_SG_EEES9_SI_JZNS1_25segmented_radix_sort_implINS0_14default_configELb0EPKdPdPKlPlN2at6native12_GLOBAL__N_18offset_tEEE10hipError_tPvRmT1_PNSt15iterator_traitsIS12_E10value_typeET2_T3_PNS13_IS18_E10value_typeET4_jRbjT5_S1E_jjP12ihipStream_tbEUljE_ZNSN_ISO_Lb0ESQ_SR_ST_SU_SY_EESZ_S10_S11_S12_S16_S17_S18_S1B_S1C_jS1D_jS1E_S1E_jjS1G_bEUljE0_EEESZ_S10_S11_S18_S1C_S1E_T6_T7_T9_mT8_S1G_bDpT10_ENKUlT_T0_E_clISt17integral_constantIbLb1EES1T_IbLb0EEEEDaS1P_S1Q_EUlS1P_E_NS1_11comp_targetILNS1_3genE4ELNS1_11target_archE910ELNS1_3gpuE8ELNS1_3repE0EEENS1_30default_config_static_selectorELNS0_4arch9wavefront6targetE0EEEvS12_ ; -- Begin function _ZN7rocprim17ROCPRIM_400000_NS6detail17trampoline_kernelINS0_13select_configILj256ELj13ELNS0_17block_load_methodE3ELS4_3ELS4_3ELNS0_20block_scan_algorithmE0ELj4294967295EEENS1_25partition_config_selectorILNS1_17partition_subalgoE4EjNS0_10empty_typeEbEEZZNS1_14partition_implILS8_4ELb0ES6_15HIP_vector_typeIjLj2EENS0_17counting_iteratorIjlEEPS9_SG_NS0_5tupleIJPjSI_NS0_16reverse_iteratorISI_EEEEENSH_IJSG_SG_SG_EEES9_SI_JZNS1_25segmented_radix_sort_implINS0_14default_configELb0EPKdPdPKlPlN2at6native12_GLOBAL__N_18offset_tEEE10hipError_tPvRmT1_PNSt15iterator_traitsIS12_E10value_typeET2_T3_PNS13_IS18_E10value_typeET4_jRbjT5_S1E_jjP12ihipStream_tbEUljE_ZNSN_ISO_Lb0ESQ_SR_ST_SU_SY_EESZ_S10_S11_S12_S16_S17_S18_S1B_S1C_jS1D_jS1E_S1E_jjS1G_bEUljE0_EEESZ_S10_S11_S18_S1C_S1E_T6_T7_T9_mT8_S1G_bDpT10_ENKUlT_T0_E_clISt17integral_constantIbLb1EES1T_IbLb0EEEEDaS1P_S1Q_EUlS1P_E_NS1_11comp_targetILNS1_3genE4ELNS1_11target_archE910ELNS1_3gpuE8ELNS1_3repE0EEENS1_30default_config_static_selectorELNS0_4arch9wavefront6targetE0EEEvS12_
	.p2align	8
	.type	_ZN7rocprim17ROCPRIM_400000_NS6detail17trampoline_kernelINS0_13select_configILj256ELj13ELNS0_17block_load_methodE3ELS4_3ELS4_3ELNS0_20block_scan_algorithmE0ELj4294967295EEENS1_25partition_config_selectorILNS1_17partition_subalgoE4EjNS0_10empty_typeEbEEZZNS1_14partition_implILS8_4ELb0ES6_15HIP_vector_typeIjLj2EENS0_17counting_iteratorIjlEEPS9_SG_NS0_5tupleIJPjSI_NS0_16reverse_iteratorISI_EEEEENSH_IJSG_SG_SG_EEES9_SI_JZNS1_25segmented_radix_sort_implINS0_14default_configELb0EPKdPdPKlPlN2at6native12_GLOBAL__N_18offset_tEEE10hipError_tPvRmT1_PNSt15iterator_traitsIS12_E10value_typeET2_T3_PNS13_IS18_E10value_typeET4_jRbjT5_S1E_jjP12ihipStream_tbEUljE_ZNSN_ISO_Lb0ESQ_SR_ST_SU_SY_EESZ_S10_S11_S12_S16_S17_S18_S1B_S1C_jS1D_jS1E_S1E_jjS1G_bEUljE0_EEESZ_S10_S11_S18_S1C_S1E_T6_T7_T9_mT8_S1G_bDpT10_ENKUlT_T0_E_clISt17integral_constantIbLb1EES1T_IbLb0EEEEDaS1P_S1Q_EUlS1P_E_NS1_11comp_targetILNS1_3genE4ELNS1_11target_archE910ELNS1_3gpuE8ELNS1_3repE0EEENS1_30default_config_static_selectorELNS0_4arch9wavefront6targetE0EEEvS12_,@function
_ZN7rocprim17ROCPRIM_400000_NS6detail17trampoline_kernelINS0_13select_configILj256ELj13ELNS0_17block_load_methodE3ELS4_3ELS4_3ELNS0_20block_scan_algorithmE0ELj4294967295EEENS1_25partition_config_selectorILNS1_17partition_subalgoE4EjNS0_10empty_typeEbEEZZNS1_14partition_implILS8_4ELb0ES6_15HIP_vector_typeIjLj2EENS0_17counting_iteratorIjlEEPS9_SG_NS0_5tupleIJPjSI_NS0_16reverse_iteratorISI_EEEEENSH_IJSG_SG_SG_EEES9_SI_JZNS1_25segmented_radix_sort_implINS0_14default_configELb0EPKdPdPKlPlN2at6native12_GLOBAL__N_18offset_tEEE10hipError_tPvRmT1_PNSt15iterator_traitsIS12_E10value_typeET2_T3_PNS13_IS18_E10value_typeET4_jRbjT5_S1E_jjP12ihipStream_tbEUljE_ZNSN_ISO_Lb0ESQ_SR_ST_SU_SY_EESZ_S10_S11_S12_S16_S17_S18_S1B_S1C_jS1D_jS1E_S1E_jjS1G_bEUljE0_EEESZ_S10_S11_S18_S1C_S1E_T6_T7_T9_mT8_S1G_bDpT10_ENKUlT_T0_E_clISt17integral_constantIbLb1EES1T_IbLb0EEEEDaS1P_S1Q_EUlS1P_E_NS1_11comp_targetILNS1_3genE4ELNS1_11target_archE910ELNS1_3gpuE8ELNS1_3repE0EEENS1_30default_config_static_selectorELNS0_4arch9wavefront6targetE0EEEvS12_: ; @_ZN7rocprim17ROCPRIM_400000_NS6detail17trampoline_kernelINS0_13select_configILj256ELj13ELNS0_17block_load_methodE3ELS4_3ELS4_3ELNS0_20block_scan_algorithmE0ELj4294967295EEENS1_25partition_config_selectorILNS1_17partition_subalgoE4EjNS0_10empty_typeEbEEZZNS1_14partition_implILS8_4ELb0ES6_15HIP_vector_typeIjLj2EENS0_17counting_iteratorIjlEEPS9_SG_NS0_5tupleIJPjSI_NS0_16reverse_iteratorISI_EEEEENSH_IJSG_SG_SG_EEES9_SI_JZNS1_25segmented_radix_sort_implINS0_14default_configELb0EPKdPdPKlPlN2at6native12_GLOBAL__N_18offset_tEEE10hipError_tPvRmT1_PNSt15iterator_traitsIS12_E10value_typeET2_T3_PNS13_IS18_E10value_typeET4_jRbjT5_S1E_jjP12ihipStream_tbEUljE_ZNSN_ISO_Lb0ESQ_SR_ST_SU_SY_EESZ_S10_S11_S12_S16_S17_S18_S1B_S1C_jS1D_jS1E_S1E_jjS1G_bEUljE0_EEESZ_S10_S11_S18_S1C_S1E_T6_T7_T9_mT8_S1G_bDpT10_ENKUlT_T0_E_clISt17integral_constantIbLb1EES1T_IbLb0EEEEDaS1P_S1Q_EUlS1P_E_NS1_11comp_targetILNS1_3genE4ELNS1_11target_archE910ELNS1_3gpuE8ELNS1_3repE0EEENS1_30default_config_static_selectorELNS0_4arch9wavefront6targetE0EEEvS12_
; %bb.0:
	.section	.rodata,"a",@progbits
	.p2align	6, 0x0
	.amdhsa_kernel _ZN7rocprim17ROCPRIM_400000_NS6detail17trampoline_kernelINS0_13select_configILj256ELj13ELNS0_17block_load_methodE3ELS4_3ELS4_3ELNS0_20block_scan_algorithmE0ELj4294967295EEENS1_25partition_config_selectorILNS1_17partition_subalgoE4EjNS0_10empty_typeEbEEZZNS1_14partition_implILS8_4ELb0ES6_15HIP_vector_typeIjLj2EENS0_17counting_iteratorIjlEEPS9_SG_NS0_5tupleIJPjSI_NS0_16reverse_iteratorISI_EEEEENSH_IJSG_SG_SG_EEES9_SI_JZNS1_25segmented_radix_sort_implINS0_14default_configELb0EPKdPdPKlPlN2at6native12_GLOBAL__N_18offset_tEEE10hipError_tPvRmT1_PNSt15iterator_traitsIS12_E10value_typeET2_T3_PNS13_IS18_E10value_typeET4_jRbjT5_S1E_jjP12ihipStream_tbEUljE_ZNSN_ISO_Lb0ESQ_SR_ST_SU_SY_EESZ_S10_S11_S12_S16_S17_S18_S1B_S1C_jS1D_jS1E_S1E_jjS1G_bEUljE0_EEESZ_S10_S11_S18_S1C_S1E_T6_T7_T9_mT8_S1G_bDpT10_ENKUlT_T0_E_clISt17integral_constantIbLb1EES1T_IbLb0EEEEDaS1P_S1Q_EUlS1P_E_NS1_11comp_targetILNS1_3genE4ELNS1_11target_archE910ELNS1_3gpuE8ELNS1_3repE0EEENS1_30default_config_static_selectorELNS0_4arch9wavefront6targetE0EEEvS12_
		.amdhsa_group_segment_fixed_size 0
		.amdhsa_private_segment_fixed_size 0
		.amdhsa_kernarg_size 176
		.amdhsa_user_sgpr_count 2
		.amdhsa_user_sgpr_dispatch_ptr 0
		.amdhsa_user_sgpr_queue_ptr 0
		.amdhsa_user_sgpr_kernarg_segment_ptr 1
		.amdhsa_user_sgpr_dispatch_id 0
		.amdhsa_user_sgpr_private_segment_size 0
		.amdhsa_wavefront_size32 1
		.amdhsa_uses_dynamic_stack 0
		.amdhsa_enable_private_segment 0
		.amdhsa_system_sgpr_workgroup_id_x 1
		.amdhsa_system_sgpr_workgroup_id_y 0
		.amdhsa_system_sgpr_workgroup_id_z 0
		.amdhsa_system_sgpr_workgroup_info 0
		.amdhsa_system_vgpr_workitem_id 0
		.amdhsa_next_free_vgpr 1
		.amdhsa_next_free_sgpr 1
		.amdhsa_reserve_vcc 0
		.amdhsa_float_round_mode_32 0
		.amdhsa_float_round_mode_16_64 0
		.amdhsa_float_denorm_mode_32 3
		.amdhsa_float_denorm_mode_16_64 3
		.amdhsa_fp16_overflow 0
		.amdhsa_workgroup_processor_mode 1
		.amdhsa_memory_ordered 1
		.amdhsa_forward_progress 1
		.amdhsa_inst_pref_size 0
		.amdhsa_round_robin_scheduling 0
		.amdhsa_exception_fp_ieee_invalid_op 0
		.amdhsa_exception_fp_denorm_src 0
		.amdhsa_exception_fp_ieee_div_zero 0
		.amdhsa_exception_fp_ieee_overflow 0
		.amdhsa_exception_fp_ieee_underflow 0
		.amdhsa_exception_fp_ieee_inexact 0
		.amdhsa_exception_int_div_zero 0
	.end_amdhsa_kernel
	.section	.text._ZN7rocprim17ROCPRIM_400000_NS6detail17trampoline_kernelINS0_13select_configILj256ELj13ELNS0_17block_load_methodE3ELS4_3ELS4_3ELNS0_20block_scan_algorithmE0ELj4294967295EEENS1_25partition_config_selectorILNS1_17partition_subalgoE4EjNS0_10empty_typeEbEEZZNS1_14partition_implILS8_4ELb0ES6_15HIP_vector_typeIjLj2EENS0_17counting_iteratorIjlEEPS9_SG_NS0_5tupleIJPjSI_NS0_16reverse_iteratorISI_EEEEENSH_IJSG_SG_SG_EEES9_SI_JZNS1_25segmented_radix_sort_implINS0_14default_configELb0EPKdPdPKlPlN2at6native12_GLOBAL__N_18offset_tEEE10hipError_tPvRmT1_PNSt15iterator_traitsIS12_E10value_typeET2_T3_PNS13_IS18_E10value_typeET4_jRbjT5_S1E_jjP12ihipStream_tbEUljE_ZNSN_ISO_Lb0ESQ_SR_ST_SU_SY_EESZ_S10_S11_S12_S16_S17_S18_S1B_S1C_jS1D_jS1E_S1E_jjS1G_bEUljE0_EEESZ_S10_S11_S18_S1C_S1E_T6_T7_T9_mT8_S1G_bDpT10_ENKUlT_T0_E_clISt17integral_constantIbLb1EES1T_IbLb0EEEEDaS1P_S1Q_EUlS1P_E_NS1_11comp_targetILNS1_3genE4ELNS1_11target_archE910ELNS1_3gpuE8ELNS1_3repE0EEENS1_30default_config_static_selectorELNS0_4arch9wavefront6targetE0EEEvS12_,"axG",@progbits,_ZN7rocprim17ROCPRIM_400000_NS6detail17trampoline_kernelINS0_13select_configILj256ELj13ELNS0_17block_load_methodE3ELS4_3ELS4_3ELNS0_20block_scan_algorithmE0ELj4294967295EEENS1_25partition_config_selectorILNS1_17partition_subalgoE4EjNS0_10empty_typeEbEEZZNS1_14partition_implILS8_4ELb0ES6_15HIP_vector_typeIjLj2EENS0_17counting_iteratorIjlEEPS9_SG_NS0_5tupleIJPjSI_NS0_16reverse_iteratorISI_EEEEENSH_IJSG_SG_SG_EEES9_SI_JZNS1_25segmented_radix_sort_implINS0_14default_configELb0EPKdPdPKlPlN2at6native12_GLOBAL__N_18offset_tEEE10hipError_tPvRmT1_PNSt15iterator_traitsIS12_E10value_typeET2_T3_PNS13_IS18_E10value_typeET4_jRbjT5_S1E_jjP12ihipStream_tbEUljE_ZNSN_ISO_Lb0ESQ_SR_ST_SU_SY_EESZ_S10_S11_S12_S16_S17_S18_S1B_S1C_jS1D_jS1E_S1E_jjS1G_bEUljE0_EEESZ_S10_S11_S18_S1C_S1E_T6_T7_T9_mT8_S1G_bDpT10_ENKUlT_T0_E_clISt17integral_constantIbLb1EES1T_IbLb0EEEEDaS1P_S1Q_EUlS1P_E_NS1_11comp_targetILNS1_3genE4ELNS1_11target_archE910ELNS1_3gpuE8ELNS1_3repE0EEENS1_30default_config_static_selectorELNS0_4arch9wavefront6targetE0EEEvS12_,comdat
.Lfunc_end1175:
	.size	_ZN7rocprim17ROCPRIM_400000_NS6detail17trampoline_kernelINS0_13select_configILj256ELj13ELNS0_17block_load_methodE3ELS4_3ELS4_3ELNS0_20block_scan_algorithmE0ELj4294967295EEENS1_25partition_config_selectorILNS1_17partition_subalgoE4EjNS0_10empty_typeEbEEZZNS1_14partition_implILS8_4ELb0ES6_15HIP_vector_typeIjLj2EENS0_17counting_iteratorIjlEEPS9_SG_NS0_5tupleIJPjSI_NS0_16reverse_iteratorISI_EEEEENSH_IJSG_SG_SG_EEES9_SI_JZNS1_25segmented_radix_sort_implINS0_14default_configELb0EPKdPdPKlPlN2at6native12_GLOBAL__N_18offset_tEEE10hipError_tPvRmT1_PNSt15iterator_traitsIS12_E10value_typeET2_T3_PNS13_IS18_E10value_typeET4_jRbjT5_S1E_jjP12ihipStream_tbEUljE_ZNSN_ISO_Lb0ESQ_SR_ST_SU_SY_EESZ_S10_S11_S12_S16_S17_S18_S1B_S1C_jS1D_jS1E_S1E_jjS1G_bEUljE0_EEESZ_S10_S11_S18_S1C_S1E_T6_T7_T9_mT8_S1G_bDpT10_ENKUlT_T0_E_clISt17integral_constantIbLb1EES1T_IbLb0EEEEDaS1P_S1Q_EUlS1P_E_NS1_11comp_targetILNS1_3genE4ELNS1_11target_archE910ELNS1_3gpuE8ELNS1_3repE0EEENS1_30default_config_static_selectorELNS0_4arch9wavefront6targetE0EEEvS12_, .Lfunc_end1175-_ZN7rocprim17ROCPRIM_400000_NS6detail17trampoline_kernelINS0_13select_configILj256ELj13ELNS0_17block_load_methodE3ELS4_3ELS4_3ELNS0_20block_scan_algorithmE0ELj4294967295EEENS1_25partition_config_selectorILNS1_17partition_subalgoE4EjNS0_10empty_typeEbEEZZNS1_14partition_implILS8_4ELb0ES6_15HIP_vector_typeIjLj2EENS0_17counting_iteratorIjlEEPS9_SG_NS0_5tupleIJPjSI_NS0_16reverse_iteratorISI_EEEEENSH_IJSG_SG_SG_EEES9_SI_JZNS1_25segmented_radix_sort_implINS0_14default_configELb0EPKdPdPKlPlN2at6native12_GLOBAL__N_18offset_tEEE10hipError_tPvRmT1_PNSt15iterator_traitsIS12_E10value_typeET2_T3_PNS13_IS18_E10value_typeET4_jRbjT5_S1E_jjP12ihipStream_tbEUljE_ZNSN_ISO_Lb0ESQ_SR_ST_SU_SY_EESZ_S10_S11_S12_S16_S17_S18_S1B_S1C_jS1D_jS1E_S1E_jjS1G_bEUljE0_EEESZ_S10_S11_S18_S1C_S1E_T6_T7_T9_mT8_S1G_bDpT10_ENKUlT_T0_E_clISt17integral_constantIbLb1EES1T_IbLb0EEEEDaS1P_S1Q_EUlS1P_E_NS1_11comp_targetILNS1_3genE4ELNS1_11target_archE910ELNS1_3gpuE8ELNS1_3repE0EEENS1_30default_config_static_selectorELNS0_4arch9wavefront6targetE0EEEvS12_
                                        ; -- End function
	.set _ZN7rocprim17ROCPRIM_400000_NS6detail17trampoline_kernelINS0_13select_configILj256ELj13ELNS0_17block_load_methodE3ELS4_3ELS4_3ELNS0_20block_scan_algorithmE0ELj4294967295EEENS1_25partition_config_selectorILNS1_17partition_subalgoE4EjNS0_10empty_typeEbEEZZNS1_14partition_implILS8_4ELb0ES6_15HIP_vector_typeIjLj2EENS0_17counting_iteratorIjlEEPS9_SG_NS0_5tupleIJPjSI_NS0_16reverse_iteratorISI_EEEEENSH_IJSG_SG_SG_EEES9_SI_JZNS1_25segmented_radix_sort_implINS0_14default_configELb0EPKdPdPKlPlN2at6native12_GLOBAL__N_18offset_tEEE10hipError_tPvRmT1_PNSt15iterator_traitsIS12_E10value_typeET2_T3_PNS13_IS18_E10value_typeET4_jRbjT5_S1E_jjP12ihipStream_tbEUljE_ZNSN_ISO_Lb0ESQ_SR_ST_SU_SY_EESZ_S10_S11_S12_S16_S17_S18_S1B_S1C_jS1D_jS1E_S1E_jjS1G_bEUljE0_EEESZ_S10_S11_S18_S1C_S1E_T6_T7_T9_mT8_S1G_bDpT10_ENKUlT_T0_E_clISt17integral_constantIbLb1EES1T_IbLb0EEEEDaS1P_S1Q_EUlS1P_E_NS1_11comp_targetILNS1_3genE4ELNS1_11target_archE910ELNS1_3gpuE8ELNS1_3repE0EEENS1_30default_config_static_selectorELNS0_4arch9wavefront6targetE0EEEvS12_.num_vgpr, 0
	.set _ZN7rocprim17ROCPRIM_400000_NS6detail17trampoline_kernelINS0_13select_configILj256ELj13ELNS0_17block_load_methodE3ELS4_3ELS4_3ELNS0_20block_scan_algorithmE0ELj4294967295EEENS1_25partition_config_selectorILNS1_17partition_subalgoE4EjNS0_10empty_typeEbEEZZNS1_14partition_implILS8_4ELb0ES6_15HIP_vector_typeIjLj2EENS0_17counting_iteratorIjlEEPS9_SG_NS0_5tupleIJPjSI_NS0_16reverse_iteratorISI_EEEEENSH_IJSG_SG_SG_EEES9_SI_JZNS1_25segmented_radix_sort_implINS0_14default_configELb0EPKdPdPKlPlN2at6native12_GLOBAL__N_18offset_tEEE10hipError_tPvRmT1_PNSt15iterator_traitsIS12_E10value_typeET2_T3_PNS13_IS18_E10value_typeET4_jRbjT5_S1E_jjP12ihipStream_tbEUljE_ZNSN_ISO_Lb0ESQ_SR_ST_SU_SY_EESZ_S10_S11_S12_S16_S17_S18_S1B_S1C_jS1D_jS1E_S1E_jjS1G_bEUljE0_EEESZ_S10_S11_S18_S1C_S1E_T6_T7_T9_mT8_S1G_bDpT10_ENKUlT_T0_E_clISt17integral_constantIbLb1EES1T_IbLb0EEEEDaS1P_S1Q_EUlS1P_E_NS1_11comp_targetILNS1_3genE4ELNS1_11target_archE910ELNS1_3gpuE8ELNS1_3repE0EEENS1_30default_config_static_selectorELNS0_4arch9wavefront6targetE0EEEvS12_.num_agpr, 0
	.set _ZN7rocprim17ROCPRIM_400000_NS6detail17trampoline_kernelINS0_13select_configILj256ELj13ELNS0_17block_load_methodE3ELS4_3ELS4_3ELNS0_20block_scan_algorithmE0ELj4294967295EEENS1_25partition_config_selectorILNS1_17partition_subalgoE4EjNS0_10empty_typeEbEEZZNS1_14partition_implILS8_4ELb0ES6_15HIP_vector_typeIjLj2EENS0_17counting_iteratorIjlEEPS9_SG_NS0_5tupleIJPjSI_NS0_16reverse_iteratorISI_EEEEENSH_IJSG_SG_SG_EEES9_SI_JZNS1_25segmented_radix_sort_implINS0_14default_configELb0EPKdPdPKlPlN2at6native12_GLOBAL__N_18offset_tEEE10hipError_tPvRmT1_PNSt15iterator_traitsIS12_E10value_typeET2_T3_PNS13_IS18_E10value_typeET4_jRbjT5_S1E_jjP12ihipStream_tbEUljE_ZNSN_ISO_Lb0ESQ_SR_ST_SU_SY_EESZ_S10_S11_S12_S16_S17_S18_S1B_S1C_jS1D_jS1E_S1E_jjS1G_bEUljE0_EEESZ_S10_S11_S18_S1C_S1E_T6_T7_T9_mT8_S1G_bDpT10_ENKUlT_T0_E_clISt17integral_constantIbLb1EES1T_IbLb0EEEEDaS1P_S1Q_EUlS1P_E_NS1_11comp_targetILNS1_3genE4ELNS1_11target_archE910ELNS1_3gpuE8ELNS1_3repE0EEENS1_30default_config_static_selectorELNS0_4arch9wavefront6targetE0EEEvS12_.numbered_sgpr, 0
	.set _ZN7rocprim17ROCPRIM_400000_NS6detail17trampoline_kernelINS0_13select_configILj256ELj13ELNS0_17block_load_methodE3ELS4_3ELS4_3ELNS0_20block_scan_algorithmE0ELj4294967295EEENS1_25partition_config_selectorILNS1_17partition_subalgoE4EjNS0_10empty_typeEbEEZZNS1_14partition_implILS8_4ELb0ES6_15HIP_vector_typeIjLj2EENS0_17counting_iteratorIjlEEPS9_SG_NS0_5tupleIJPjSI_NS0_16reverse_iteratorISI_EEEEENSH_IJSG_SG_SG_EEES9_SI_JZNS1_25segmented_radix_sort_implINS0_14default_configELb0EPKdPdPKlPlN2at6native12_GLOBAL__N_18offset_tEEE10hipError_tPvRmT1_PNSt15iterator_traitsIS12_E10value_typeET2_T3_PNS13_IS18_E10value_typeET4_jRbjT5_S1E_jjP12ihipStream_tbEUljE_ZNSN_ISO_Lb0ESQ_SR_ST_SU_SY_EESZ_S10_S11_S12_S16_S17_S18_S1B_S1C_jS1D_jS1E_S1E_jjS1G_bEUljE0_EEESZ_S10_S11_S18_S1C_S1E_T6_T7_T9_mT8_S1G_bDpT10_ENKUlT_T0_E_clISt17integral_constantIbLb1EES1T_IbLb0EEEEDaS1P_S1Q_EUlS1P_E_NS1_11comp_targetILNS1_3genE4ELNS1_11target_archE910ELNS1_3gpuE8ELNS1_3repE0EEENS1_30default_config_static_selectorELNS0_4arch9wavefront6targetE0EEEvS12_.num_named_barrier, 0
	.set _ZN7rocprim17ROCPRIM_400000_NS6detail17trampoline_kernelINS0_13select_configILj256ELj13ELNS0_17block_load_methodE3ELS4_3ELS4_3ELNS0_20block_scan_algorithmE0ELj4294967295EEENS1_25partition_config_selectorILNS1_17partition_subalgoE4EjNS0_10empty_typeEbEEZZNS1_14partition_implILS8_4ELb0ES6_15HIP_vector_typeIjLj2EENS0_17counting_iteratorIjlEEPS9_SG_NS0_5tupleIJPjSI_NS0_16reverse_iteratorISI_EEEEENSH_IJSG_SG_SG_EEES9_SI_JZNS1_25segmented_radix_sort_implINS0_14default_configELb0EPKdPdPKlPlN2at6native12_GLOBAL__N_18offset_tEEE10hipError_tPvRmT1_PNSt15iterator_traitsIS12_E10value_typeET2_T3_PNS13_IS18_E10value_typeET4_jRbjT5_S1E_jjP12ihipStream_tbEUljE_ZNSN_ISO_Lb0ESQ_SR_ST_SU_SY_EESZ_S10_S11_S12_S16_S17_S18_S1B_S1C_jS1D_jS1E_S1E_jjS1G_bEUljE0_EEESZ_S10_S11_S18_S1C_S1E_T6_T7_T9_mT8_S1G_bDpT10_ENKUlT_T0_E_clISt17integral_constantIbLb1EES1T_IbLb0EEEEDaS1P_S1Q_EUlS1P_E_NS1_11comp_targetILNS1_3genE4ELNS1_11target_archE910ELNS1_3gpuE8ELNS1_3repE0EEENS1_30default_config_static_selectorELNS0_4arch9wavefront6targetE0EEEvS12_.private_seg_size, 0
	.set _ZN7rocprim17ROCPRIM_400000_NS6detail17trampoline_kernelINS0_13select_configILj256ELj13ELNS0_17block_load_methodE3ELS4_3ELS4_3ELNS0_20block_scan_algorithmE0ELj4294967295EEENS1_25partition_config_selectorILNS1_17partition_subalgoE4EjNS0_10empty_typeEbEEZZNS1_14partition_implILS8_4ELb0ES6_15HIP_vector_typeIjLj2EENS0_17counting_iteratorIjlEEPS9_SG_NS0_5tupleIJPjSI_NS0_16reverse_iteratorISI_EEEEENSH_IJSG_SG_SG_EEES9_SI_JZNS1_25segmented_radix_sort_implINS0_14default_configELb0EPKdPdPKlPlN2at6native12_GLOBAL__N_18offset_tEEE10hipError_tPvRmT1_PNSt15iterator_traitsIS12_E10value_typeET2_T3_PNS13_IS18_E10value_typeET4_jRbjT5_S1E_jjP12ihipStream_tbEUljE_ZNSN_ISO_Lb0ESQ_SR_ST_SU_SY_EESZ_S10_S11_S12_S16_S17_S18_S1B_S1C_jS1D_jS1E_S1E_jjS1G_bEUljE0_EEESZ_S10_S11_S18_S1C_S1E_T6_T7_T9_mT8_S1G_bDpT10_ENKUlT_T0_E_clISt17integral_constantIbLb1EES1T_IbLb0EEEEDaS1P_S1Q_EUlS1P_E_NS1_11comp_targetILNS1_3genE4ELNS1_11target_archE910ELNS1_3gpuE8ELNS1_3repE0EEENS1_30default_config_static_selectorELNS0_4arch9wavefront6targetE0EEEvS12_.uses_vcc, 0
	.set _ZN7rocprim17ROCPRIM_400000_NS6detail17trampoline_kernelINS0_13select_configILj256ELj13ELNS0_17block_load_methodE3ELS4_3ELS4_3ELNS0_20block_scan_algorithmE0ELj4294967295EEENS1_25partition_config_selectorILNS1_17partition_subalgoE4EjNS0_10empty_typeEbEEZZNS1_14partition_implILS8_4ELb0ES6_15HIP_vector_typeIjLj2EENS0_17counting_iteratorIjlEEPS9_SG_NS0_5tupleIJPjSI_NS0_16reverse_iteratorISI_EEEEENSH_IJSG_SG_SG_EEES9_SI_JZNS1_25segmented_radix_sort_implINS0_14default_configELb0EPKdPdPKlPlN2at6native12_GLOBAL__N_18offset_tEEE10hipError_tPvRmT1_PNSt15iterator_traitsIS12_E10value_typeET2_T3_PNS13_IS18_E10value_typeET4_jRbjT5_S1E_jjP12ihipStream_tbEUljE_ZNSN_ISO_Lb0ESQ_SR_ST_SU_SY_EESZ_S10_S11_S12_S16_S17_S18_S1B_S1C_jS1D_jS1E_S1E_jjS1G_bEUljE0_EEESZ_S10_S11_S18_S1C_S1E_T6_T7_T9_mT8_S1G_bDpT10_ENKUlT_T0_E_clISt17integral_constantIbLb1EES1T_IbLb0EEEEDaS1P_S1Q_EUlS1P_E_NS1_11comp_targetILNS1_3genE4ELNS1_11target_archE910ELNS1_3gpuE8ELNS1_3repE0EEENS1_30default_config_static_selectorELNS0_4arch9wavefront6targetE0EEEvS12_.uses_flat_scratch, 0
	.set _ZN7rocprim17ROCPRIM_400000_NS6detail17trampoline_kernelINS0_13select_configILj256ELj13ELNS0_17block_load_methodE3ELS4_3ELS4_3ELNS0_20block_scan_algorithmE0ELj4294967295EEENS1_25partition_config_selectorILNS1_17partition_subalgoE4EjNS0_10empty_typeEbEEZZNS1_14partition_implILS8_4ELb0ES6_15HIP_vector_typeIjLj2EENS0_17counting_iteratorIjlEEPS9_SG_NS0_5tupleIJPjSI_NS0_16reverse_iteratorISI_EEEEENSH_IJSG_SG_SG_EEES9_SI_JZNS1_25segmented_radix_sort_implINS0_14default_configELb0EPKdPdPKlPlN2at6native12_GLOBAL__N_18offset_tEEE10hipError_tPvRmT1_PNSt15iterator_traitsIS12_E10value_typeET2_T3_PNS13_IS18_E10value_typeET4_jRbjT5_S1E_jjP12ihipStream_tbEUljE_ZNSN_ISO_Lb0ESQ_SR_ST_SU_SY_EESZ_S10_S11_S12_S16_S17_S18_S1B_S1C_jS1D_jS1E_S1E_jjS1G_bEUljE0_EEESZ_S10_S11_S18_S1C_S1E_T6_T7_T9_mT8_S1G_bDpT10_ENKUlT_T0_E_clISt17integral_constantIbLb1EES1T_IbLb0EEEEDaS1P_S1Q_EUlS1P_E_NS1_11comp_targetILNS1_3genE4ELNS1_11target_archE910ELNS1_3gpuE8ELNS1_3repE0EEENS1_30default_config_static_selectorELNS0_4arch9wavefront6targetE0EEEvS12_.has_dyn_sized_stack, 0
	.set _ZN7rocprim17ROCPRIM_400000_NS6detail17trampoline_kernelINS0_13select_configILj256ELj13ELNS0_17block_load_methodE3ELS4_3ELS4_3ELNS0_20block_scan_algorithmE0ELj4294967295EEENS1_25partition_config_selectorILNS1_17partition_subalgoE4EjNS0_10empty_typeEbEEZZNS1_14partition_implILS8_4ELb0ES6_15HIP_vector_typeIjLj2EENS0_17counting_iteratorIjlEEPS9_SG_NS0_5tupleIJPjSI_NS0_16reverse_iteratorISI_EEEEENSH_IJSG_SG_SG_EEES9_SI_JZNS1_25segmented_radix_sort_implINS0_14default_configELb0EPKdPdPKlPlN2at6native12_GLOBAL__N_18offset_tEEE10hipError_tPvRmT1_PNSt15iterator_traitsIS12_E10value_typeET2_T3_PNS13_IS18_E10value_typeET4_jRbjT5_S1E_jjP12ihipStream_tbEUljE_ZNSN_ISO_Lb0ESQ_SR_ST_SU_SY_EESZ_S10_S11_S12_S16_S17_S18_S1B_S1C_jS1D_jS1E_S1E_jjS1G_bEUljE0_EEESZ_S10_S11_S18_S1C_S1E_T6_T7_T9_mT8_S1G_bDpT10_ENKUlT_T0_E_clISt17integral_constantIbLb1EES1T_IbLb0EEEEDaS1P_S1Q_EUlS1P_E_NS1_11comp_targetILNS1_3genE4ELNS1_11target_archE910ELNS1_3gpuE8ELNS1_3repE0EEENS1_30default_config_static_selectorELNS0_4arch9wavefront6targetE0EEEvS12_.has_recursion, 0
	.set _ZN7rocprim17ROCPRIM_400000_NS6detail17trampoline_kernelINS0_13select_configILj256ELj13ELNS0_17block_load_methodE3ELS4_3ELS4_3ELNS0_20block_scan_algorithmE0ELj4294967295EEENS1_25partition_config_selectorILNS1_17partition_subalgoE4EjNS0_10empty_typeEbEEZZNS1_14partition_implILS8_4ELb0ES6_15HIP_vector_typeIjLj2EENS0_17counting_iteratorIjlEEPS9_SG_NS0_5tupleIJPjSI_NS0_16reverse_iteratorISI_EEEEENSH_IJSG_SG_SG_EEES9_SI_JZNS1_25segmented_radix_sort_implINS0_14default_configELb0EPKdPdPKlPlN2at6native12_GLOBAL__N_18offset_tEEE10hipError_tPvRmT1_PNSt15iterator_traitsIS12_E10value_typeET2_T3_PNS13_IS18_E10value_typeET4_jRbjT5_S1E_jjP12ihipStream_tbEUljE_ZNSN_ISO_Lb0ESQ_SR_ST_SU_SY_EESZ_S10_S11_S12_S16_S17_S18_S1B_S1C_jS1D_jS1E_S1E_jjS1G_bEUljE0_EEESZ_S10_S11_S18_S1C_S1E_T6_T7_T9_mT8_S1G_bDpT10_ENKUlT_T0_E_clISt17integral_constantIbLb1EES1T_IbLb0EEEEDaS1P_S1Q_EUlS1P_E_NS1_11comp_targetILNS1_3genE4ELNS1_11target_archE910ELNS1_3gpuE8ELNS1_3repE0EEENS1_30default_config_static_selectorELNS0_4arch9wavefront6targetE0EEEvS12_.has_indirect_call, 0
	.section	.AMDGPU.csdata,"",@progbits
; Kernel info:
; codeLenInByte = 0
; TotalNumSgprs: 0
; NumVgprs: 0
; ScratchSize: 0
; MemoryBound: 0
; FloatMode: 240
; IeeeMode: 1
; LDSByteSize: 0 bytes/workgroup (compile time only)
; SGPRBlocks: 0
; VGPRBlocks: 0
; NumSGPRsForWavesPerEU: 1
; NumVGPRsForWavesPerEU: 1
; Occupancy: 16
; WaveLimiterHint : 0
; COMPUTE_PGM_RSRC2:SCRATCH_EN: 0
; COMPUTE_PGM_RSRC2:USER_SGPR: 2
; COMPUTE_PGM_RSRC2:TRAP_HANDLER: 0
; COMPUTE_PGM_RSRC2:TGID_X_EN: 1
; COMPUTE_PGM_RSRC2:TGID_Y_EN: 0
; COMPUTE_PGM_RSRC2:TGID_Z_EN: 0
; COMPUTE_PGM_RSRC2:TIDIG_COMP_CNT: 0
	.section	.text._ZN7rocprim17ROCPRIM_400000_NS6detail17trampoline_kernelINS0_13select_configILj256ELj13ELNS0_17block_load_methodE3ELS4_3ELS4_3ELNS0_20block_scan_algorithmE0ELj4294967295EEENS1_25partition_config_selectorILNS1_17partition_subalgoE4EjNS0_10empty_typeEbEEZZNS1_14partition_implILS8_4ELb0ES6_15HIP_vector_typeIjLj2EENS0_17counting_iteratorIjlEEPS9_SG_NS0_5tupleIJPjSI_NS0_16reverse_iteratorISI_EEEEENSH_IJSG_SG_SG_EEES9_SI_JZNS1_25segmented_radix_sort_implINS0_14default_configELb0EPKdPdPKlPlN2at6native12_GLOBAL__N_18offset_tEEE10hipError_tPvRmT1_PNSt15iterator_traitsIS12_E10value_typeET2_T3_PNS13_IS18_E10value_typeET4_jRbjT5_S1E_jjP12ihipStream_tbEUljE_ZNSN_ISO_Lb0ESQ_SR_ST_SU_SY_EESZ_S10_S11_S12_S16_S17_S18_S1B_S1C_jS1D_jS1E_S1E_jjS1G_bEUljE0_EEESZ_S10_S11_S18_S1C_S1E_T6_T7_T9_mT8_S1G_bDpT10_ENKUlT_T0_E_clISt17integral_constantIbLb1EES1T_IbLb0EEEEDaS1P_S1Q_EUlS1P_E_NS1_11comp_targetILNS1_3genE3ELNS1_11target_archE908ELNS1_3gpuE7ELNS1_3repE0EEENS1_30default_config_static_selectorELNS0_4arch9wavefront6targetE0EEEvS12_,"axG",@progbits,_ZN7rocprim17ROCPRIM_400000_NS6detail17trampoline_kernelINS0_13select_configILj256ELj13ELNS0_17block_load_methodE3ELS4_3ELS4_3ELNS0_20block_scan_algorithmE0ELj4294967295EEENS1_25partition_config_selectorILNS1_17partition_subalgoE4EjNS0_10empty_typeEbEEZZNS1_14partition_implILS8_4ELb0ES6_15HIP_vector_typeIjLj2EENS0_17counting_iteratorIjlEEPS9_SG_NS0_5tupleIJPjSI_NS0_16reverse_iteratorISI_EEEEENSH_IJSG_SG_SG_EEES9_SI_JZNS1_25segmented_radix_sort_implINS0_14default_configELb0EPKdPdPKlPlN2at6native12_GLOBAL__N_18offset_tEEE10hipError_tPvRmT1_PNSt15iterator_traitsIS12_E10value_typeET2_T3_PNS13_IS18_E10value_typeET4_jRbjT5_S1E_jjP12ihipStream_tbEUljE_ZNSN_ISO_Lb0ESQ_SR_ST_SU_SY_EESZ_S10_S11_S12_S16_S17_S18_S1B_S1C_jS1D_jS1E_S1E_jjS1G_bEUljE0_EEESZ_S10_S11_S18_S1C_S1E_T6_T7_T9_mT8_S1G_bDpT10_ENKUlT_T0_E_clISt17integral_constantIbLb1EES1T_IbLb0EEEEDaS1P_S1Q_EUlS1P_E_NS1_11comp_targetILNS1_3genE3ELNS1_11target_archE908ELNS1_3gpuE7ELNS1_3repE0EEENS1_30default_config_static_selectorELNS0_4arch9wavefront6targetE0EEEvS12_,comdat
	.globl	_ZN7rocprim17ROCPRIM_400000_NS6detail17trampoline_kernelINS0_13select_configILj256ELj13ELNS0_17block_load_methodE3ELS4_3ELS4_3ELNS0_20block_scan_algorithmE0ELj4294967295EEENS1_25partition_config_selectorILNS1_17partition_subalgoE4EjNS0_10empty_typeEbEEZZNS1_14partition_implILS8_4ELb0ES6_15HIP_vector_typeIjLj2EENS0_17counting_iteratorIjlEEPS9_SG_NS0_5tupleIJPjSI_NS0_16reverse_iteratorISI_EEEEENSH_IJSG_SG_SG_EEES9_SI_JZNS1_25segmented_radix_sort_implINS0_14default_configELb0EPKdPdPKlPlN2at6native12_GLOBAL__N_18offset_tEEE10hipError_tPvRmT1_PNSt15iterator_traitsIS12_E10value_typeET2_T3_PNS13_IS18_E10value_typeET4_jRbjT5_S1E_jjP12ihipStream_tbEUljE_ZNSN_ISO_Lb0ESQ_SR_ST_SU_SY_EESZ_S10_S11_S12_S16_S17_S18_S1B_S1C_jS1D_jS1E_S1E_jjS1G_bEUljE0_EEESZ_S10_S11_S18_S1C_S1E_T6_T7_T9_mT8_S1G_bDpT10_ENKUlT_T0_E_clISt17integral_constantIbLb1EES1T_IbLb0EEEEDaS1P_S1Q_EUlS1P_E_NS1_11comp_targetILNS1_3genE3ELNS1_11target_archE908ELNS1_3gpuE7ELNS1_3repE0EEENS1_30default_config_static_selectorELNS0_4arch9wavefront6targetE0EEEvS12_ ; -- Begin function _ZN7rocprim17ROCPRIM_400000_NS6detail17trampoline_kernelINS0_13select_configILj256ELj13ELNS0_17block_load_methodE3ELS4_3ELS4_3ELNS0_20block_scan_algorithmE0ELj4294967295EEENS1_25partition_config_selectorILNS1_17partition_subalgoE4EjNS0_10empty_typeEbEEZZNS1_14partition_implILS8_4ELb0ES6_15HIP_vector_typeIjLj2EENS0_17counting_iteratorIjlEEPS9_SG_NS0_5tupleIJPjSI_NS0_16reverse_iteratorISI_EEEEENSH_IJSG_SG_SG_EEES9_SI_JZNS1_25segmented_radix_sort_implINS0_14default_configELb0EPKdPdPKlPlN2at6native12_GLOBAL__N_18offset_tEEE10hipError_tPvRmT1_PNSt15iterator_traitsIS12_E10value_typeET2_T3_PNS13_IS18_E10value_typeET4_jRbjT5_S1E_jjP12ihipStream_tbEUljE_ZNSN_ISO_Lb0ESQ_SR_ST_SU_SY_EESZ_S10_S11_S12_S16_S17_S18_S1B_S1C_jS1D_jS1E_S1E_jjS1G_bEUljE0_EEESZ_S10_S11_S18_S1C_S1E_T6_T7_T9_mT8_S1G_bDpT10_ENKUlT_T0_E_clISt17integral_constantIbLb1EES1T_IbLb0EEEEDaS1P_S1Q_EUlS1P_E_NS1_11comp_targetILNS1_3genE3ELNS1_11target_archE908ELNS1_3gpuE7ELNS1_3repE0EEENS1_30default_config_static_selectorELNS0_4arch9wavefront6targetE0EEEvS12_
	.p2align	8
	.type	_ZN7rocprim17ROCPRIM_400000_NS6detail17trampoline_kernelINS0_13select_configILj256ELj13ELNS0_17block_load_methodE3ELS4_3ELS4_3ELNS0_20block_scan_algorithmE0ELj4294967295EEENS1_25partition_config_selectorILNS1_17partition_subalgoE4EjNS0_10empty_typeEbEEZZNS1_14partition_implILS8_4ELb0ES6_15HIP_vector_typeIjLj2EENS0_17counting_iteratorIjlEEPS9_SG_NS0_5tupleIJPjSI_NS0_16reverse_iteratorISI_EEEEENSH_IJSG_SG_SG_EEES9_SI_JZNS1_25segmented_radix_sort_implINS0_14default_configELb0EPKdPdPKlPlN2at6native12_GLOBAL__N_18offset_tEEE10hipError_tPvRmT1_PNSt15iterator_traitsIS12_E10value_typeET2_T3_PNS13_IS18_E10value_typeET4_jRbjT5_S1E_jjP12ihipStream_tbEUljE_ZNSN_ISO_Lb0ESQ_SR_ST_SU_SY_EESZ_S10_S11_S12_S16_S17_S18_S1B_S1C_jS1D_jS1E_S1E_jjS1G_bEUljE0_EEESZ_S10_S11_S18_S1C_S1E_T6_T7_T9_mT8_S1G_bDpT10_ENKUlT_T0_E_clISt17integral_constantIbLb1EES1T_IbLb0EEEEDaS1P_S1Q_EUlS1P_E_NS1_11comp_targetILNS1_3genE3ELNS1_11target_archE908ELNS1_3gpuE7ELNS1_3repE0EEENS1_30default_config_static_selectorELNS0_4arch9wavefront6targetE0EEEvS12_,@function
_ZN7rocprim17ROCPRIM_400000_NS6detail17trampoline_kernelINS0_13select_configILj256ELj13ELNS0_17block_load_methodE3ELS4_3ELS4_3ELNS0_20block_scan_algorithmE0ELj4294967295EEENS1_25partition_config_selectorILNS1_17partition_subalgoE4EjNS0_10empty_typeEbEEZZNS1_14partition_implILS8_4ELb0ES6_15HIP_vector_typeIjLj2EENS0_17counting_iteratorIjlEEPS9_SG_NS0_5tupleIJPjSI_NS0_16reverse_iteratorISI_EEEEENSH_IJSG_SG_SG_EEES9_SI_JZNS1_25segmented_radix_sort_implINS0_14default_configELb0EPKdPdPKlPlN2at6native12_GLOBAL__N_18offset_tEEE10hipError_tPvRmT1_PNSt15iterator_traitsIS12_E10value_typeET2_T3_PNS13_IS18_E10value_typeET4_jRbjT5_S1E_jjP12ihipStream_tbEUljE_ZNSN_ISO_Lb0ESQ_SR_ST_SU_SY_EESZ_S10_S11_S12_S16_S17_S18_S1B_S1C_jS1D_jS1E_S1E_jjS1G_bEUljE0_EEESZ_S10_S11_S18_S1C_S1E_T6_T7_T9_mT8_S1G_bDpT10_ENKUlT_T0_E_clISt17integral_constantIbLb1EES1T_IbLb0EEEEDaS1P_S1Q_EUlS1P_E_NS1_11comp_targetILNS1_3genE3ELNS1_11target_archE908ELNS1_3gpuE7ELNS1_3repE0EEENS1_30default_config_static_selectorELNS0_4arch9wavefront6targetE0EEEvS12_: ; @_ZN7rocprim17ROCPRIM_400000_NS6detail17trampoline_kernelINS0_13select_configILj256ELj13ELNS0_17block_load_methodE3ELS4_3ELS4_3ELNS0_20block_scan_algorithmE0ELj4294967295EEENS1_25partition_config_selectorILNS1_17partition_subalgoE4EjNS0_10empty_typeEbEEZZNS1_14partition_implILS8_4ELb0ES6_15HIP_vector_typeIjLj2EENS0_17counting_iteratorIjlEEPS9_SG_NS0_5tupleIJPjSI_NS0_16reverse_iteratorISI_EEEEENSH_IJSG_SG_SG_EEES9_SI_JZNS1_25segmented_radix_sort_implINS0_14default_configELb0EPKdPdPKlPlN2at6native12_GLOBAL__N_18offset_tEEE10hipError_tPvRmT1_PNSt15iterator_traitsIS12_E10value_typeET2_T3_PNS13_IS18_E10value_typeET4_jRbjT5_S1E_jjP12ihipStream_tbEUljE_ZNSN_ISO_Lb0ESQ_SR_ST_SU_SY_EESZ_S10_S11_S12_S16_S17_S18_S1B_S1C_jS1D_jS1E_S1E_jjS1G_bEUljE0_EEESZ_S10_S11_S18_S1C_S1E_T6_T7_T9_mT8_S1G_bDpT10_ENKUlT_T0_E_clISt17integral_constantIbLb1EES1T_IbLb0EEEEDaS1P_S1Q_EUlS1P_E_NS1_11comp_targetILNS1_3genE3ELNS1_11target_archE908ELNS1_3gpuE7ELNS1_3repE0EEENS1_30default_config_static_selectorELNS0_4arch9wavefront6targetE0EEEvS12_
; %bb.0:
	.section	.rodata,"a",@progbits
	.p2align	6, 0x0
	.amdhsa_kernel _ZN7rocprim17ROCPRIM_400000_NS6detail17trampoline_kernelINS0_13select_configILj256ELj13ELNS0_17block_load_methodE3ELS4_3ELS4_3ELNS0_20block_scan_algorithmE0ELj4294967295EEENS1_25partition_config_selectorILNS1_17partition_subalgoE4EjNS0_10empty_typeEbEEZZNS1_14partition_implILS8_4ELb0ES6_15HIP_vector_typeIjLj2EENS0_17counting_iteratorIjlEEPS9_SG_NS0_5tupleIJPjSI_NS0_16reverse_iteratorISI_EEEEENSH_IJSG_SG_SG_EEES9_SI_JZNS1_25segmented_radix_sort_implINS0_14default_configELb0EPKdPdPKlPlN2at6native12_GLOBAL__N_18offset_tEEE10hipError_tPvRmT1_PNSt15iterator_traitsIS12_E10value_typeET2_T3_PNS13_IS18_E10value_typeET4_jRbjT5_S1E_jjP12ihipStream_tbEUljE_ZNSN_ISO_Lb0ESQ_SR_ST_SU_SY_EESZ_S10_S11_S12_S16_S17_S18_S1B_S1C_jS1D_jS1E_S1E_jjS1G_bEUljE0_EEESZ_S10_S11_S18_S1C_S1E_T6_T7_T9_mT8_S1G_bDpT10_ENKUlT_T0_E_clISt17integral_constantIbLb1EES1T_IbLb0EEEEDaS1P_S1Q_EUlS1P_E_NS1_11comp_targetILNS1_3genE3ELNS1_11target_archE908ELNS1_3gpuE7ELNS1_3repE0EEENS1_30default_config_static_selectorELNS0_4arch9wavefront6targetE0EEEvS12_
		.amdhsa_group_segment_fixed_size 0
		.amdhsa_private_segment_fixed_size 0
		.amdhsa_kernarg_size 176
		.amdhsa_user_sgpr_count 2
		.amdhsa_user_sgpr_dispatch_ptr 0
		.amdhsa_user_sgpr_queue_ptr 0
		.amdhsa_user_sgpr_kernarg_segment_ptr 1
		.amdhsa_user_sgpr_dispatch_id 0
		.amdhsa_user_sgpr_private_segment_size 0
		.amdhsa_wavefront_size32 1
		.amdhsa_uses_dynamic_stack 0
		.amdhsa_enable_private_segment 0
		.amdhsa_system_sgpr_workgroup_id_x 1
		.amdhsa_system_sgpr_workgroup_id_y 0
		.amdhsa_system_sgpr_workgroup_id_z 0
		.amdhsa_system_sgpr_workgroup_info 0
		.amdhsa_system_vgpr_workitem_id 0
		.amdhsa_next_free_vgpr 1
		.amdhsa_next_free_sgpr 1
		.amdhsa_reserve_vcc 0
		.amdhsa_float_round_mode_32 0
		.amdhsa_float_round_mode_16_64 0
		.amdhsa_float_denorm_mode_32 3
		.amdhsa_float_denorm_mode_16_64 3
		.amdhsa_fp16_overflow 0
		.amdhsa_workgroup_processor_mode 1
		.amdhsa_memory_ordered 1
		.amdhsa_forward_progress 1
		.amdhsa_inst_pref_size 0
		.amdhsa_round_robin_scheduling 0
		.amdhsa_exception_fp_ieee_invalid_op 0
		.amdhsa_exception_fp_denorm_src 0
		.amdhsa_exception_fp_ieee_div_zero 0
		.amdhsa_exception_fp_ieee_overflow 0
		.amdhsa_exception_fp_ieee_underflow 0
		.amdhsa_exception_fp_ieee_inexact 0
		.amdhsa_exception_int_div_zero 0
	.end_amdhsa_kernel
	.section	.text._ZN7rocprim17ROCPRIM_400000_NS6detail17trampoline_kernelINS0_13select_configILj256ELj13ELNS0_17block_load_methodE3ELS4_3ELS4_3ELNS0_20block_scan_algorithmE0ELj4294967295EEENS1_25partition_config_selectorILNS1_17partition_subalgoE4EjNS0_10empty_typeEbEEZZNS1_14partition_implILS8_4ELb0ES6_15HIP_vector_typeIjLj2EENS0_17counting_iteratorIjlEEPS9_SG_NS0_5tupleIJPjSI_NS0_16reverse_iteratorISI_EEEEENSH_IJSG_SG_SG_EEES9_SI_JZNS1_25segmented_radix_sort_implINS0_14default_configELb0EPKdPdPKlPlN2at6native12_GLOBAL__N_18offset_tEEE10hipError_tPvRmT1_PNSt15iterator_traitsIS12_E10value_typeET2_T3_PNS13_IS18_E10value_typeET4_jRbjT5_S1E_jjP12ihipStream_tbEUljE_ZNSN_ISO_Lb0ESQ_SR_ST_SU_SY_EESZ_S10_S11_S12_S16_S17_S18_S1B_S1C_jS1D_jS1E_S1E_jjS1G_bEUljE0_EEESZ_S10_S11_S18_S1C_S1E_T6_T7_T9_mT8_S1G_bDpT10_ENKUlT_T0_E_clISt17integral_constantIbLb1EES1T_IbLb0EEEEDaS1P_S1Q_EUlS1P_E_NS1_11comp_targetILNS1_3genE3ELNS1_11target_archE908ELNS1_3gpuE7ELNS1_3repE0EEENS1_30default_config_static_selectorELNS0_4arch9wavefront6targetE0EEEvS12_,"axG",@progbits,_ZN7rocprim17ROCPRIM_400000_NS6detail17trampoline_kernelINS0_13select_configILj256ELj13ELNS0_17block_load_methodE3ELS4_3ELS4_3ELNS0_20block_scan_algorithmE0ELj4294967295EEENS1_25partition_config_selectorILNS1_17partition_subalgoE4EjNS0_10empty_typeEbEEZZNS1_14partition_implILS8_4ELb0ES6_15HIP_vector_typeIjLj2EENS0_17counting_iteratorIjlEEPS9_SG_NS0_5tupleIJPjSI_NS0_16reverse_iteratorISI_EEEEENSH_IJSG_SG_SG_EEES9_SI_JZNS1_25segmented_radix_sort_implINS0_14default_configELb0EPKdPdPKlPlN2at6native12_GLOBAL__N_18offset_tEEE10hipError_tPvRmT1_PNSt15iterator_traitsIS12_E10value_typeET2_T3_PNS13_IS18_E10value_typeET4_jRbjT5_S1E_jjP12ihipStream_tbEUljE_ZNSN_ISO_Lb0ESQ_SR_ST_SU_SY_EESZ_S10_S11_S12_S16_S17_S18_S1B_S1C_jS1D_jS1E_S1E_jjS1G_bEUljE0_EEESZ_S10_S11_S18_S1C_S1E_T6_T7_T9_mT8_S1G_bDpT10_ENKUlT_T0_E_clISt17integral_constantIbLb1EES1T_IbLb0EEEEDaS1P_S1Q_EUlS1P_E_NS1_11comp_targetILNS1_3genE3ELNS1_11target_archE908ELNS1_3gpuE7ELNS1_3repE0EEENS1_30default_config_static_selectorELNS0_4arch9wavefront6targetE0EEEvS12_,comdat
.Lfunc_end1176:
	.size	_ZN7rocprim17ROCPRIM_400000_NS6detail17trampoline_kernelINS0_13select_configILj256ELj13ELNS0_17block_load_methodE3ELS4_3ELS4_3ELNS0_20block_scan_algorithmE0ELj4294967295EEENS1_25partition_config_selectorILNS1_17partition_subalgoE4EjNS0_10empty_typeEbEEZZNS1_14partition_implILS8_4ELb0ES6_15HIP_vector_typeIjLj2EENS0_17counting_iteratorIjlEEPS9_SG_NS0_5tupleIJPjSI_NS0_16reverse_iteratorISI_EEEEENSH_IJSG_SG_SG_EEES9_SI_JZNS1_25segmented_radix_sort_implINS0_14default_configELb0EPKdPdPKlPlN2at6native12_GLOBAL__N_18offset_tEEE10hipError_tPvRmT1_PNSt15iterator_traitsIS12_E10value_typeET2_T3_PNS13_IS18_E10value_typeET4_jRbjT5_S1E_jjP12ihipStream_tbEUljE_ZNSN_ISO_Lb0ESQ_SR_ST_SU_SY_EESZ_S10_S11_S12_S16_S17_S18_S1B_S1C_jS1D_jS1E_S1E_jjS1G_bEUljE0_EEESZ_S10_S11_S18_S1C_S1E_T6_T7_T9_mT8_S1G_bDpT10_ENKUlT_T0_E_clISt17integral_constantIbLb1EES1T_IbLb0EEEEDaS1P_S1Q_EUlS1P_E_NS1_11comp_targetILNS1_3genE3ELNS1_11target_archE908ELNS1_3gpuE7ELNS1_3repE0EEENS1_30default_config_static_selectorELNS0_4arch9wavefront6targetE0EEEvS12_, .Lfunc_end1176-_ZN7rocprim17ROCPRIM_400000_NS6detail17trampoline_kernelINS0_13select_configILj256ELj13ELNS0_17block_load_methodE3ELS4_3ELS4_3ELNS0_20block_scan_algorithmE0ELj4294967295EEENS1_25partition_config_selectorILNS1_17partition_subalgoE4EjNS0_10empty_typeEbEEZZNS1_14partition_implILS8_4ELb0ES6_15HIP_vector_typeIjLj2EENS0_17counting_iteratorIjlEEPS9_SG_NS0_5tupleIJPjSI_NS0_16reverse_iteratorISI_EEEEENSH_IJSG_SG_SG_EEES9_SI_JZNS1_25segmented_radix_sort_implINS0_14default_configELb0EPKdPdPKlPlN2at6native12_GLOBAL__N_18offset_tEEE10hipError_tPvRmT1_PNSt15iterator_traitsIS12_E10value_typeET2_T3_PNS13_IS18_E10value_typeET4_jRbjT5_S1E_jjP12ihipStream_tbEUljE_ZNSN_ISO_Lb0ESQ_SR_ST_SU_SY_EESZ_S10_S11_S12_S16_S17_S18_S1B_S1C_jS1D_jS1E_S1E_jjS1G_bEUljE0_EEESZ_S10_S11_S18_S1C_S1E_T6_T7_T9_mT8_S1G_bDpT10_ENKUlT_T0_E_clISt17integral_constantIbLb1EES1T_IbLb0EEEEDaS1P_S1Q_EUlS1P_E_NS1_11comp_targetILNS1_3genE3ELNS1_11target_archE908ELNS1_3gpuE7ELNS1_3repE0EEENS1_30default_config_static_selectorELNS0_4arch9wavefront6targetE0EEEvS12_
                                        ; -- End function
	.set _ZN7rocprim17ROCPRIM_400000_NS6detail17trampoline_kernelINS0_13select_configILj256ELj13ELNS0_17block_load_methodE3ELS4_3ELS4_3ELNS0_20block_scan_algorithmE0ELj4294967295EEENS1_25partition_config_selectorILNS1_17partition_subalgoE4EjNS0_10empty_typeEbEEZZNS1_14partition_implILS8_4ELb0ES6_15HIP_vector_typeIjLj2EENS0_17counting_iteratorIjlEEPS9_SG_NS0_5tupleIJPjSI_NS0_16reverse_iteratorISI_EEEEENSH_IJSG_SG_SG_EEES9_SI_JZNS1_25segmented_radix_sort_implINS0_14default_configELb0EPKdPdPKlPlN2at6native12_GLOBAL__N_18offset_tEEE10hipError_tPvRmT1_PNSt15iterator_traitsIS12_E10value_typeET2_T3_PNS13_IS18_E10value_typeET4_jRbjT5_S1E_jjP12ihipStream_tbEUljE_ZNSN_ISO_Lb0ESQ_SR_ST_SU_SY_EESZ_S10_S11_S12_S16_S17_S18_S1B_S1C_jS1D_jS1E_S1E_jjS1G_bEUljE0_EEESZ_S10_S11_S18_S1C_S1E_T6_T7_T9_mT8_S1G_bDpT10_ENKUlT_T0_E_clISt17integral_constantIbLb1EES1T_IbLb0EEEEDaS1P_S1Q_EUlS1P_E_NS1_11comp_targetILNS1_3genE3ELNS1_11target_archE908ELNS1_3gpuE7ELNS1_3repE0EEENS1_30default_config_static_selectorELNS0_4arch9wavefront6targetE0EEEvS12_.num_vgpr, 0
	.set _ZN7rocprim17ROCPRIM_400000_NS6detail17trampoline_kernelINS0_13select_configILj256ELj13ELNS0_17block_load_methodE3ELS4_3ELS4_3ELNS0_20block_scan_algorithmE0ELj4294967295EEENS1_25partition_config_selectorILNS1_17partition_subalgoE4EjNS0_10empty_typeEbEEZZNS1_14partition_implILS8_4ELb0ES6_15HIP_vector_typeIjLj2EENS0_17counting_iteratorIjlEEPS9_SG_NS0_5tupleIJPjSI_NS0_16reverse_iteratorISI_EEEEENSH_IJSG_SG_SG_EEES9_SI_JZNS1_25segmented_radix_sort_implINS0_14default_configELb0EPKdPdPKlPlN2at6native12_GLOBAL__N_18offset_tEEE10hipError_tPvRmT1_PNSt15iterator_traitsIS12_E10value_typeET2_T3_PNS13_IS18_E10value_typeET4_jRbjT5_S1E_jjP12ihipStream_tbEUljE_ZNSN_ISO_Lb0ESQ_SR_ST_SU_SY_EESZ_S10_S11_S12_S16_S17_S18_S1B_S1C_jS1D_jS1E_S1E_jjS1G_bEUljE0_EEESZ_S10_S11_S18_S1C_S1E_T6_T7_T9_mT8_S1G_bDpT10_ENKUlT_T0_E_clISt17integral_constantIbLb1EES1T_IbLb0EEEEDaS1P_S1Q_EUlS1P_E_NS1_11comp_targetILNS1_3genE3ELNS1_11target_archE908ELNS1_3gpuE7ELNS1_3repE0EEENS1_30default_config_static_selectorELNS0_4arch9wavefront6targetE0EEEvS12_.num_agpr, 0
	.set _ZN7rocprim17ROCPRIM_400000_NS6detail17trampoline_kernelINS0_13select_configILj256ELj13ELNS0_17block_load_methodE3ELS4_3ELS4_3ELNS0_20block_scan_algorithmE0ELj4294967295EEENS1_25partition_config_selectorILNS1_17partition_subalgoE4EjNS0_10empty_typeEbEEZZNS1_14partition_implILS8_4ELb0ES6_15HIP_vector_typeIjLj2EENS0_17counting_iteratorIjlEEPS9_SG_NS0_5tupleIJPjSI_NS0_16reverse_iteratorISI_EEEEENSH_IJSG_SG_SG_EEES9_SI_JZNS1_25segmented_radix_sort_implINS0_14default_configELb0EPKdPdPKlPlN2at6native12_GLOBAL__N_18offset_tEEE10hipError_tPvRmT1_PNSt15iterator_traitsIS12_E10value_typeET2_T3_PNS13_IS18_E10value_typeET4_jRbjT5_S1E_jjP12ihipStream_tbEUljE_ZNSN_ISO_Lb0ESQ_SR_ST_SU_SY_EESZ_S10_S11_S12_S16_S17_S18_S1B_S1C_jS1D_jS1E_S1E_jjS1G_bEUljE0_EEESZ_S10_S11_S18_S1C_S1E_T6_T7_T9_mT8_S1G_bDpT10_ENKUlT_T0_E_clISt17integral_constantIbLb1EES1T_IbLb0EEEEDaS1P_S1Q_EUlS1P_E_NS1_11comp_targetILNS1_3genE3ELNS1_11target_archE908ELNS1_3gpuE7ELNS1_3repE0EEENS1_30default_config_static_selectorELNS0_4arch9wavefront6targetE0EEEvS12_.numbered_sgpr, 0
	.set _ZN7rocprim17ROCPRIM_400000_NS6detail17trampoline_kernelINS0_13select_configILj256ELj13ELNS0_17block_load_methodE3ELS4_3ELS4_3ELNS0_20block_scan_algorithmE0ELj4294967295EEENS1_25partition_config_selectorILNS1_17partition_subalgoE4EjNS0_10empty_typeEbEEZZNS1_14partition_implILS8_4ELb0ES6_15HIP_vector_typeIjLj2EENS0_17counting_iteratorIjlEEPS9_SG_NS0_5tupleIJPjSI_NS0_16reverse_iteratorISI_EEEEENSH_IJSG_SG_SG_EEES9_SI_JZNS1_25segmented_radix_sort_implINS0_14default_configELb0EPKdPdPKlPlN2at6native12_GLOBAL__N_18offset_tEEE10hipError_tPvRmT1_PNSt15iterator_traitsIS12_E10value_typeET2_T3_PNS13_IS18_E10value_typeET4_jRbjT5_S1E_jjP12ihipStream_tbEUljE_ZNSN_ISO_Lb0ESQ_SR_ST_SU_SY_EESZ_S10_S11_S12_S16_S17_S18_S1B_S1C_jS1D_jS1E_S1E_jjS1G_bEUljE0_EEESZ_S10_S11_S18_S1C_S1E_T6_T7_T9_mT8_S1G_bDpT10_ENKUlT_T0_E_clISt17integral_constantIbLb1EES1T_IbLb0EEEEDaS1P_S1Q_EUlS1P_E_NS1_11comp_targetILNS1_3genE3ELNS1_11target_archE908ELNS1_3gpuE7ELNS1_3repE0EEENS1_30default_config_static_selectorELNS0_4arch9wavefront6targetE0EEEvS12_.num_named_barrier, 0
	.set _ZN7rocprim17ROCPRIM_400000_NS6detail17trampoline_kernelINS0_13select_configILj256ELj13ELNS0_17block_load_methodE3ELS4_3ELS4_3ELNS0_20block_scan_algorithmE0ELj4294967295EEENS1_25partition_config_selectorILNS1_17partition_subalgoE4EjNS0_10empty_typeEbEEZZNS1_14partition_implILS8_4ELb0ES6_15HIP_vector_typeIjLj2EENS0_17counting_iteratorIjlEEPS9_SG_NS0_5tupleIJPjSI_NS0_16reverse_iteratorISI_EEEEENSH_IJSG_SG_SG_EEES9_SI_JZNS1_25segmented_radix_sort_implINS0_14default_configELb0EPKdPdPKlPlN2at6native12_GLOBAL__N_18offset_tEEE10hipError_tPvRmT1_PNSt15iterator_traitsIS12_E10value_typeET2_T3_PNS13_IS18_E10value_typeET4_jRbjT5_S1E_jjP12ihipStream_tbEUljE_ZNSN_ISO_Lb0ESQ_SR_ST_SU_SY_EESZ_S10_S11_S12_S16_S17_S18_S1B_S1C_jS1D_jS1E_S1E_jjS1G_bEUljE0_EEESZ_S10_S11_S18_S1C_S1E_T6_T7_T9_mT8_S1G_bDpT10_ENKUlT_T0_E_clISt17integral_constantIbLb1EES1T_IbLb0EEEEDaS1P_S1Q_EUlS1P_E_NS1_11comp_targetILNS1_3genE3ELNS1_11target_archE908ELNS1_3gpuE7ELNS1_3repE0EEENS1_30default_config_static_selectorELNS0_4arch9wavefront6targetE0EEEvS12_.private_seg_size, 0
	.set _ZN7rocprim17ROCPRIM_400000_NS6detail17trampoline_kernelINS0_13select_configILj256ELj13ELNS0_17block_load_methodE3ELS4_3ELS4_3ELNS0_20block_scan_algorithmE0ELj4294967295EEENS1_25partition_config_selectorILNS1_17partition_subalgoE4EjNS0_10empty_typeEbEEZZNS1_14partition_implILS8_4ELb0ES6_15HIP_vector_typeIjLj2EENS0_17counting_iteratorIjlEEPS9_SG_NS0_5tupleIJPjSI_NS0_16reverse_iteratorISI_EEEEENSH_IJSG_SG_SG_EEES9_SI_JZNS1_25segmented_radix_sort_implINS0_14default_configELb0EPKdPdPKlPlN2at6native12_GLOBAL__N_18offset_tEEE10hipError_tPvRmT1_PNSt15iterator_traitsIS12_E10value_typeET2_T3_PNS13_IS18_E10value_typeET4_jRbjT5_S1E_jjP12ihipStream_tbEUljE_ZNSN_ISO_Lb0ESQ_SR_ST_SU_SY_EESZ_S10_S11_S12_S16_S17_S18_S1B_S1C_jS1D_jS1E_S1E_jjS1G_bEUljE0_EEESZ_S10_S11_S18_S1C_S1E_T6_T7_T9_mT8_S1G_bDpT10_ENKUlT_T0_E_clISt17integral_constantIbLb1EES1T_IbLb0EEEEDaS1P_S1Q_EUlS1P_E_NS1_11comp_targetILNS1_3genE3ELNS1_11target_archE908ELNS1_3gpuE7ELNS1_3repE0EEENS1_30default_config_static_selectorELNS0_4arch9wavefront6targetE0EEEvS12_.uses_vcc, 0
	.set _ZN7rocprim17ROCPRIM_400000_NS6detail17trampoline_kernelINS0_13select_configILj256ELj13ELNS0_17block_load_methodE3ELS4_3ELS4_3ELNS0_20block_scan_algorithmE0ELj4294967295EEENS1_25partition_config_selectorILNS1_17partition_subalgoE4EjNS0_10empty_typeEbEEZZNS1_14partition_implILS8_4ELb0ES6_15HIP_vector_typeIjLj2EENS0_17counting_iteratorIjlEEPS9_SG_NS0_5tupleIJPjSI_NS0_16reverse_iteratorISI_EEEEENSH_IJSG_SG_SG_EEES9_SI_JZNS1_25segmented_radix_sort_implINS0_14default_configELb0EPKdPdPKlPlN2at6native12_GLOBAL__N_18offset_tEEE10hipError_tPvRmT1_PNSt15iterator_traitsIS12_E10value_typeET2_T3_PNS13_IS18_E10value_typeET4_jRbjT5_S1E_jjP12ihipStream_tbEUljE_ZNSN_ISO_Lb0ESQ_SR_ST_SU_SY_EESZ_S10_S11_S12_S16_S17_S18_S1B_S1C_jS1D_jS1E_S1E_jjS1G_bEUljE0_EEESZ_S10_S11_S18_S1C_S1E_T6_T7_T9_mT8_S1G_bDpT10_ENKUlT_T0_E_clISt17integral_constantIbLb1EES1T_IbLb0EEEEDaS1P_S1Q_EUlS1P_E_NS1_11comp_targetILNS1_3genE3ELNS1_11target_archE908ELNS1_3gpuE7ELNS1_3repE0EEENS1_30default_config_static_selectorELNS0_4arch9wavefront6targetE0EEEvS12_.uses_flat_scratch, 0
	.set _ZN7rocprim17ROCPRIM_400000_NS6detail17trampoline_kernelINS0_13select_configILj256ELj13ELNS0_17block_load_methodE3ELS4_3ELS4_3ELNS0_20block_scan_algorithmE0ELj4294967295EEENS1_25partition_config_selectorILNS1_17partition_subalgoE4EjNS0_10empty_typeEbEEZZNS1_14partition_implILS8_4ELb0ES6_15HIP_vector_typeIjLj2EENS0_17counting_iteratorIjlEEPS9_SG_NS0_5tupleIJPjSI_NS0_16reverse_iteratorISI_EEEEENSH_IJSG_SG_SG_EEES9_SI_JZNS1_25segmented_radix_sort_implINS0_14default_configELb0EPKdPdPKlPlN2at6native12_GLOBAL__N_18offset_tEEE10hipError_tPvRmT1_PNSt15iterator_traitsIS12_E10value_typeET2_T3_PNS13_IS18_E10value_typeET4_jRbjT5_S1E_jjP12ihipStream_tbEUljE_ZNSN_ISO_Lb0ESQ_SR_ST_SU_SY_EESZ_S10_S11_S12_S16_S17_S18_S1B_S1C_jS1D_jS1E_S1E_jjS1G_bEUljE0_EEESZ_S10_S11_S18_S1C_S1E_T6_T7_T9_mT8_S1G_bDpT10_ENKUlT_T0_E_clISt17integral_constantIbLb1EES1T_IbLb0EEEEDaS1P_S1Q_EUlS1P_E_NS1_11comp_targetILNS1_3genE3ELNS1_11target_archE908ELNS1_3gpuE7ELNS1_3repE0EEENS1_30default_config_static_selectorELNS0_4arch9wavefront6targetE0EEEvS12_.has_dyn_sized_stack, 0
	.set _ZN7rocprim17ROCPRIM_400000_NS6detail17trampoline_kernelINS0_13select_configILj256ELj13ELNS0_17block_load_methodE3ELS4_3ELS4_3ELNS0_20block_scan_algorithmE0ELj4294967295EEENS1_25partition_config_selectorILNS1_17partition_subalgoE4EjNS0_10empty_typeEbEEZZNS1_14partition_implILS8_4ELb0ES6_15HIP_vector_typeIjLj2EENS0_17counting_iteratorIjlEEPS9_SG_NS0_5tupleIJPjSI_NS0_16reverse_iteratorISI_EEEEENSH_IJSG_SG_SG_EEES9_SI_JZNS1_25segmented_radix_sort_implINS0_14default_configELb0EPKdPdPKlPlN2at6native12_GLOBAL__N_18offset_tEEE10hipError_tPvRmT1_PNSt15iterator_traitsIS12_E10value_typeET2_T3_PNS13_IS18_E10value_typeET4_jRbjT5_S1E_jjP12ihipStream_tbEUljE_ZNSN_ISO_Lb0ESQ_SR_ST_SU_SY_EESZ_S10_S11_S12_S16_S17_S18_S1B_S1C_jS1D_jS1E_S1E_jjS1G_bEUljE0_EEESZ_S10_S11_S18_S1C_S1E_T6_T7_T9_mT8_S1G_bDpT10_ENKUlT_T0_E_clISt17integral_constantIbLb1EES1T_IbLb0EEEEDaS1P_S1Q_EUlS1P_E_NS1_11comp_targetILNS1_3genE3ELNS1_11target_archE908ELNS1_3gpuE7ELNS1_3repE0EEENS1_30default_config_static_selectorELNS0_4arch9wavefront6targetE0EEEvS12_.has_recursion, 0
	.set _ZN7rocprim17ROCPRIM_400000_NS6detail17trampoline_kernelINS0_13select_configILj256ELj13ELNS0_17block_load_methodE3ELS4_3ELS4_3ELNS0_20block_scan_algorithmE0ELj4294967295EEENS1_25partition_config_selectorILNS1_17partition_subalgoE4EjNS0_10empty_typeEbEEZZNS1_14partition_implILS8_4ELb0ES6_15HIP_vector_typeIjLj2EENS0_17counting_iteratorIjlEEPS9_SG_NS0_5tupleIJPjSI_NS0_16reverse_iteratorISI_EEEEENSH_IJSG_SG_SG_EEES9_SI_JZNS1_25segmented_radix_sort_implINS0_14default_configELb0EPKdPdPKlPlN2at6native12_GLOBAL__N_18offset_tEEE10hipError_tPvRmT1_PNSt15iterator_traitsIS12_E10value_typeET2_T3_PNS13_IS18_E10value_typeET4_jRbjT5_S1E_jjP12ihipStream_tbEUljE_ZNSN_ISO_Lb0ESQ_SR_ST_SU_SY_EESZ_S10_S11_S12_S16_S17_S18_S1B_S1C_jS1D_jS1E_S1E_jjS1G_bEUljE0_EEESZ_S10_S11_S18_S1C_S1E_T6_T7_T9_mT8_S1G_bDpT10_ENKUlT_T0_E_clISt17integral_constantIbLb1EES1T_IbLb0EEEEDaS1P_S1Q_EUlS1P_E_NS1_11comp_targetILNS1_3genE3ELNS1_11target_archE908ELNS1_3gpuE7ELNS1_3repE0EEENS1_30default_config_static_selectorELNS0_4arch9wavefront6targetE0EEEvS12_.has_indirect_call, 0
	.section	.AMDGPU.csdata,"",@progbits
; Kernel info:
; codeLenInByte = 0
; TotalNumSgprs: 0
; NumVgprs: 0
; ScratchSize: 0
; MemoryBound: 0
; FloatMode: 240
; IeeeMode: 1
; LDSByteSize: 0 bytes/workgroup (compile time only)
; SGPRBlocks: 0
; VGPRBlocks: 0
; NumSGPRsForWavesPerEU: 1
; NumVGPRsForWavesPerEU: 1
; Occupancy: 16
; WaveLimiterHint : 0
; COMPUTE_PGM_RSRC2:SCRATCH_EN: 0
; COMPUTE_PGM_RSRC2:USER_SGPR: 2
; COMPUTE_PGM_RSRC2:TRAP_HANDLER: 0
; COMPUTE_PGM_RSRC2:TGID_X_EN: 1
; COMPUTE_PGM_RSRC2:TGID_Y_EN: 0
; COMPUTE_PGM_RSRC2:TGID_Z_EN: 0
; COMPUTE_PGM_RSRC2:TIDIG_COMP_CNT: 0
	.section	.text._ZN7rocprim17ROCPRIM_400000_NS6detail17trampoline_kernelINS0_13select_configILj256ELj13ELNS0_17block_load_methodE3ELS4_3ELS4_3ELNS0_20block_scan_algorithmE0ELj4294967295EEENS1_25partition_config_selectorILNS1_17partition_subalgoE4EjNS0_10empty_typeEbEEZZNS1_14partition_implILS8_4ELb0ES6_15HIP_vector_typeIjLj2EENS0_17counting_iteratorIjlEEPS9_SG_NS0_5tupleIJPjSI_NS0_16reverse_iteratorISI_EEEEENSH_IJSG_SG_SG_EEES9_SI_JZNS1_25segmented_radix_sort_implINS0_14default_configELb0EPKdPdPKlPlN2at6native12_GLOBAL__N_18offset_tEEE10hipError_tPvRmT1_PNSt15iterator_traitsIS12_E10value_typeET2_T3_PNS13_IS18_E10value_typeET4_jRbjT5_S1E_jjP12ihipStream_tbEUljE_ZNSN_ISO_Lb0ESQ_SR_ST_SU_SY_EESZ_S10_S11_S12_S16_S17_S18_S1B_S1C_jS1D_jS1E_S1E_jjS1G_bEUljE0_EEESZ_S10_S11_S18_S1C_S1E_T6_T7_T9_mT8_S1G_bDpT10_ENKUlT_T0_E_clISt17integral_constantIbLb1EES1T_IbLb0EEEEDaS1P_S1Q_EUlS1P_E_NS1_11comp_targetILNS1_3genE2ELNS1_11target_archE906ELNS1_3gpuE6ELNS1_3repE0EEENS1_30default_config_static_selectorELNS0_4arch9wavefront6targetE0EEEvS12_,"axG",@progbits,_ZN7rocprim17ROCPRIM_400000_NS6detail17trampoline_kernelINS0_13select_configILj256ELj13ELNS0_17block_load_methodE3ELS4_3ELS4_3ELNS0_20block_scan_algorithmE0ELj4294967295EEENS1_25partition_config_selectorILNS1_17partition_subalgoE4EjNS0_10empty_typeEbEEZZNS1_14partition_implILS8_4ELb0ES6_15HIP_vector_typeIjLj2EENS0_17counting_iteratorIjlEEPS9_SG_NS0_5tupleIJPjSI_NS0_16reverse_iteratorISI_EEEEENSH_IJSG_SG_SG_EEES9_SI_JZNS1_25segmented_radix_sort_implINS0_14default_configELb0EPKdPdPKlPlN2at6native12_GLOBAL__N_18offset_tEEE10hipError_tPvRmT1_PNSt15iterator_traitsIS12_E10value_typeET2_T3_PNS13_IS18_E10value_typeET4_jRbjT5_S1E_jjP12ihipStream_tbEUljE_ZNSN_ISO_Lb0ESQ_SR_ST_SU_SY_EESZ_S10_S11_S12_S16_S17_S18_S1B_S1C_jS1D_jS1E_S1E_jjS1G_bEUljE0_EEESZ_S10_S11_S18_S1C_S1E_T6_T7_T9_mT8_S1G_bDpT10_ENKUlT_T0_E_clISt17integral_constantIbLb1EES1T_IbLb0EEEEDaS1P_S1Q_EUlS1P_E_NS1_11comp_targetILNS1_3genE2ELNS1_11target_archE906ELNS1_3gpuE6ELNS1_3repE0EEENS1_30default_config_static_selectorELNS0_4arch9wavefront6targetE0EEEvS12_,comdat
	.globl	_ZN7rocprim17ROCPRIM_400000_NS6detail17trampoline_kernelINS0_13select_configILj256ELj13ELNS0_17block_load_methodE3ELS4_3ELS4_3ELNS0_20block_scan_algorithmE0ELj4294967295EEENS1_25partition_config_selectorILNS1_17partition_subalgoE4EjNS0_10empty_typeEbEEZZNS1_14partition_implILS8_4ELb0ES6_15HIP_vector_typeIjLj2EENS0_17counting_iteratorIjlEEPS9_SG_NS0_5tupleIJPjSI_NS0_16reverse_iteratorISI_EEEEENSH_IJSG_SG_SG_EEES9_SI_JZNS1_25segmented_radix_sort_implINS0_14default_configELb0EPKdPdPKlPlN2at6native12_GLOBAL__N_18offset_tEEE10hipError_tPvRmT1_PNSt15iterator_traitsIS12_E10value_typeET2_T3_PNS13_IS18_E10value_typeET4_jRbjT5_S1E_jjP12ihipStream_tbEUljE_ZNSN_ISO_Lb0ESQ_SR_ST_SU_SY_EESZ_S10_S11_S12_S16_S17_S18_S1B_S1C_jS1D_jS1E_S1E_jjS1G_bEUljE0_EEESZ_S10_S11_S18_S1C_S1E_T6_T7_T9_mT8_S1G_bDpT10_ENKUlT_T0_E_clISt17integral_constantIbLb1EES1T_IbLb0EEEEDaS1P_S1Q_EUlS1P_E_NS1_11comp_targetILNS1_3genE2ELNS1_11target_archE906ELNS1_3gpuE6ELNS1_3repE0EEENS1_30default_config_static_selectorELNS0_4arch9wavefront6targetE0EEEvS12_ ; -- Begin function _ZN7rocprim17ROCPRIM_400000_NS6detail17trampoline_kernelINS0_13select_configILj256ELj13ELNS0_17block_load_methodE3ELS4_3ELS4_3ELNS0_20block_scan_algorithmE0ELj4294967295EEENS1_25partition_config_selectorILNS1_17partition_subalgoE4EjNS0_10empty_typeEbEEZZNS1_14partition_implILS8_4ELb0ES6_15HIP_vector_typeIjLj2EENS0_17counting_iteratorIjlEEPS9_SG_NS0_5tupleIJPjSI_NS0_16reverse_iteratorISI_EEEEENSH_IJSG_SG_SG_EEES9_SI_JZNS1_25segmented_radix_sort_implINS0_14default_configELb0EPKdPdPKlPlN2at6native12_GLOBAL__N_18offset_tEEE10hipError_tPvRmT1_PNSt15iterator_traitsIS12_E10value_typeET2_T3_PNS13_IS18_E10value_typeET4_jRbjT5_S1E_jjP12ihipStream_tbEUljE_ZNSN_ISO_Lb0ESQ_SR_ST_SU_SY_EESZ_S10_S11_S12_S16_S17_S18_S1B_S1C_jS1D_jS1E_S1E_jjS1G_bEUljE0_EEESZ_S10_S11_S18_S1C_S1E_T6_T7_T9_mT8_S1G_bDpT10_ENKUlT_T0_E_clISt17integral_constantIbLb1EES1T_IbLb0EEEEDaS1P_S1Q_EUlS1P_E_NS1_11comp_targetILNS1_3genE2ELNS1_11target_archE906ELNS1_3gpuE6ELNS1_3repE0EEENS1_30default_config_static_selectorELNS0_4arch9wavefront6targetE0EEEvS12_
	.p2align	8
	.type	_ZN7rocprim17ROCPRIM_400000_NS6detail17trampoline_kernelINS0_13select_configILj256ELj13ELNS0_17block_load_methodE3ELS4_3ELS4_3ELNS0_20block_scan_algorithmE0ELj4294967295EEENS1_25partition_config_selectorILNS1_17partition_subalgoE4EjNS0_10empty_typeEbEEZZNS1_14partition_implILS8_4ELb0ES6_15HIP_vector_typeIjLj2EENS0_17counting_iteratorIjlEEPS9_SG_NS0_5tupleIJPjSI_NS0_16reverse_iteratorISI_EEEEENSH_IJSG_SG_SG_EEES9_SI_JZNS1_25segmented_radix_sort_implINS0_14default_configELb0EPKdPdPKlPlN2at6native12_GLOBAL__N_18offset_tEEE10hipError_tPvRmT1_PNSt15iterator_traitsIS12_E10value_typeET2_T3_PNS13_IS18_E10value_typeET4_jRbjT5_S1E_jjP12ihipStream_tbEUljE_ZNSN_ISO_Lb0ESQ_SR_ST_SU_SY_EESZ_S10_S11_S12_S16_S17_S18_S1B_S1C_jS1D_jS1E_S1E_jjS1G_bEUljE0_EEESZ_S10_S11_S18_S1C_S1E_T6_T7_T9_mT8_S1G_bDpT10_ENKUlT_T0_E_clISt17integral_constantIbLb1EES1T_IbLb0EEEEDaS1P_S1Q_EUlS1P_E_NS1_11comp_targetILNS1_3genE2ELNS1_11target_archE906ELNS1_3gpuE6ELNS1_3repE0EEENS1_30default_config_static_selectorELNS0_4arch9wavefront6targetE0EEEvS12_,@function
_ZN7rocprim17ROCPRIM_400000_NS6detail17trampoline_kernelINS0_13select_configILj256ELj13ELNS0_17block_load_methodE3ELS4_3ELS4_3ELNS0_20block_scan_algorithmE0ELj4294967295EEENS1_25partition_config_selectorILNS1_17partition_subalgoE4EjNS0_10empty_typeEbEEZZNS1_14partition_implILS8_4ELb0ES6_15HIP_vector_typeIjLj2EENS0_17counting_iteratorIjlEEPS9_SG_NS0_5tupleIJPjSI_NS0_16reverse_iteratorISI_EEEEENSH_IJSG_SG_SG_EEES9_SI_JZNS1_25segmented_radix_sort_implINS0_14default_configELb0EPKdPdPKlPlN2at6native12_GLOBAL__N_18offset_tEEE10hipError_tPvRmT1_PNSt15iterator_traitsIS12_E10value_typeET2_T3_PNS13_IS18_E10value_typeET4_jRbjT5_S1E_jjP12ihipStream_tbEUljE_ZNSN_ISO_Lb0ESQ_SR_ST_SU_SY_EESZ_S10_S11_S12_S16_S17_S18_S1B_S1C_jS1D_jS1E_S1E_jjS1G_bEUljE0_EEESZ_S10_S11_S18_S1C_S1E_T6_T7_T9_mT8_S1G_bDpT10_ENKUlT_T0_E_clISt17integral_constantIbLb1EES1T_IbLb0EEEEDaS1P_S1Q_EUlS1P_E_NS1_11comp_targetILNS1_3genE2ELNS1_11target_archE906ELNS1_3gpuE6ELNS1_3repE0EEENS1_30default_config_static_selectorELNS0_4arch9wavefront6targetE0EEEvS12_: ; @_ZN7rocprim17ROCPRIM_400000_NS6detail17trampoline_kernelINS0_13select_configILj256ELj13ELNS0_17block_load_methodE3ELS4_3ELS4_3ELNS0_20block_scan_algorithmE0ELj4294967295EEENS1_25partition_config_selectorILNS1_17partition_subalgoE4EjNS0_10empty_typeEbEEZZNS1_14partition_implILS8_4ELb0ES6_15HIP_vector_typeIjLj2EENS0_17counting_iteratorIjlEEPS9_SG_NS0_5tupleIJPjSI_NS0_16reverse_iteratorISI_EEEEENSH_IJSG_SG_SG_EEES9_SI_JZNS1_25segmented_radix_sort_implINS0_14default_configELb0EPKdPdPKlPlN2at6native12_GLOBAL__N_18offset_tEEE10hipError_tPvRmT1_PNSt15iterator_traitsIS12_E10value_typeET2_T3_PNS13_IS18_E10value_typeET4_jRbjT5_S1E_jjP12ihipStream_tbEUljE_ZNSN_ISO_Lb0ESQ_SR_ST_SU_SY_EESZ_S10_S11_S12_S16_S17_S18_S1B_S1C_jS1D_jS1E_S1E_jjS1G_bEUljE0_EEESZ_S10_S11_S18_S1C_S1E_T6_T7_T9_mT8_S1G_bDpT10_ENKUlT_T0_E_clISt17integral_constantIbLb1EES1T_IbLb0EEEEDaS1P_S1Q_EUlS1P_E_NS1_11comp_targetILNS1_3genE2ELNS1_11target_archE906ELNS1_3gpuE6ELNS1_3repE0EEENS1_30default_config_static_selectorELNS0_4arch9wavefront6targetE0EEEvS12_
; %bb.0:
	.section	.rodata,"a",@progbits
	.p2align	6, 0x0
	.amdhsa_kernel _ZN7rocprim17ROCPRIM_400000_NS6detail17trampoline_kernelINS0_13select_configILj256ELj13ELNS0_17block_load_methodE3ELS4_3ELS4_3ELNS0_20block_scan_algorithmE0ELj4294967295EEENS1_25partition_config_selectorILNS1_17partition_subalgoE4EjNS0_10empty_typeEbEEZZNS1_14partition_implILS8_4ELb0ES6_15HIP_vector_typeIjLj2EENS0_17counting_iteratorIjlEEPS9_SG_NS0_5tupleIJPjSI_NS0_16reverse_iteratorISI_EEEEENSH_IJSG_SG_SG_EEES9_SI_JZNS1_25segmented_radix_sort_implINS0_14default_configELb0EPKdPdPKlPlN2at6native12_GLOBAL__N_18offset_tEEE10hipError_tPvRmT1_PNSt15iterator_traitsIS12_E10value_typeET2_T3_PNS13_IS18_E10value_typeET4_jRbjT5_S1E_jjP12ihipStream_tbEUljE_ZNSN_ISO_Lb0ESQ_SR_ST_SU_SY_EESZ_S10_S11_S12_S16_S17_S18_S1B_S1C_jS1D_jS1E_S1E_jjS1G_bEUljE0_EEESZ_S10_S11_S18_S1C_S1E_T6_T7_T9_mT8_S1G_bDpT10_ENKUlT_T0_E_clISt17integral_constantIbLb1EES1T_IbLb0EEEEDaS1P_S1Q_EUlS1P_E_NS1_11comp_targetILNS1_3genE2ELNS1_11target_archE906ELNS1_3gpuE6ELNS1_3repE0EEENS1_30default_config_static_selectorELNS0_4arch9wavefront6targetE0EEEvS12_
		.amdhsa_group_segment_fixed_size 0
		.amdhsa_private_segment_fixed_size 0
		.amdhsa_kernarg_size 176
		.amdhsa_user_sgpr_count 2
		.amdhsa_user_sgpr_dispatch_ptr 0
		.amdhsa_user_sgpr_queue_ptr 0
		.amdhsa_user_sgpr_kernarg_segment_ptr 1
		.amdhsa_user_sgpr_dispatch_id 0
		.amdhsa_user_sgpr_private_segment_size 0
		.amdhsa_wavefront_size32 1
		.amdhsa_uses_dynamic_stack 0
		.amdhsa_enable_private_segment 0
		.amdhsa_system_sgpr_workgroup_id_x 1
		.amdhsa_system_sgpr_workgroup_id_y 0
		.amdhsa_system_sgpr_workgroup_id_z 0
		.amdhsa_system_sgpr_workgroup_info 0
		.amdhsa_system_vgpr_workitem_id 0
		.amdhsa_next_free_vgpr 1
		.amdhsa_next_free_sgpr 1
		.amdhsa_reserve_vcc 0
		.amdhsa_float_round_mode_32 0
		.amdhsa_float_round_mode_16_64 0
		.amdhsa_float_denorm_mode_32 3
		.amdhsa_float_denorm_mode_16_64 3
		.amdhsa_fp16_overflow 0
		.amdhsa_workgroup_processor_mode 1
		.amdhsa_memory_ordered 1
		.amdhsa_forward_progress 1
		.amdhsa_inst_pref_size 0
		.amdhsa_round_robin_scheduling 0
		.amdhsa_exception_fp_ieee_invalid_op 0
		.amdhsa_exception_fp_denorm_src 0
		.amdhsa_exception_fp_ieee_div_zero 0
		.amdhsa_exception_fp_ieee_overflow 0
		.amdhsa_exception_fp_ieee_underflow 0
		.amdhsa_exception_fp_ieee_inexact 0
		.amdhsa_exception_int_div_zero 0
	.end_amdhsa_kernel
	.section	.text._ZN7rocprim17ROCPRIM_400000_NS6detail17trampoline_kernelINS0_13select_configILj256ELj13ELNS0_17block_load_methodE3ELS4_3ELS4_3ELNS0_20block_scan_algorithmE0ELj4294967295EEENS1_25partition_config_selectorILNS1_17partition_subalgoE4EjNS0_10empty_typeEbEEZZNS1_14partition_implILS8_4ELb0ES6_15HIP_vector_typeIjLj2EENS0_17counting_iteratorIjlEEPS9_SG_NS0_5tupleIJPjSI_NS0_16reverse_iteratorISI_EEEEENSH_IJSG_SG_SG_EEES9_SI_JZNS1_25segmented_radix_sort_implINS0_14default_configELb0EPKdPdPKlPlN2at6native12_GLOBAL__N_18offset_tEEE10hipError_tPvRmT1_PNSt15iterator_traitsIS12_E10value_typeET2_T3_PNS13_IS18_E10value_typeET4_jRbjT5_S1E_jjP12ihipStream_tbEUljE_ZNSN_ISO_Lb0ESQ_SR_ST_SU_SY_EESZ_S10_S11_S12_S16_S17_S18_S1B_S1C_jS1D_jS1E_S1E_jjS1G_bEUljE0_EEESZ_S10_S11_S18_S1C_S1E_T6_T7_T9_mT8_S1G_bDpT10_ENKUlT_T0_E_clISt17integral_constantIbLb1EES1T_IbLb0EEEEDaS1P_S1Q_EUlS1P_E_NS1_11comp_targetILNS1_3genE2ELNS1_11target_archE906ELNS1_3gpuE6ELNS1_3repE0EEENS1_30default_config_static_selectorELNS0_4arch9wavefront6targetE0EEEvS12_,"axG",@progbits,_ZN7rocprim17ROCPRIM_400000_NS6detail17trampoline_kernelINS0_13select_configILj256ELj13ELNS0_17block_load_methodE3ELS4_3ELS4_3ELNS0_20block_scan_algorithmE0ELj4294967295EEENS1_25partition_config_selectorILNS1_17partition_subalgoE4EjNS0_10empty_typeEbEEZZNS1_14partition_implILS8_4ELb0ES6_15HIP_vector_typeIjLj2EENS0_17counting_iteratorIjlEEPS9_SG_NS0_5tupleIJPjSI_NS0_16reverse_iteratorISI_EEEEENSH_IJSG_SG_SG_EEES9_SI_JZNS1_25segmented_radix_sort_implINS0_14default_configELb0EPKdPdPKlPlN2at6native12_GLOBAL__N_18offset_tEEE10hipError_tPvRmT1_PNSt15iterator_traitsIS12_E10value_typeET2_T3_PNS13_IS18_E10value_typeET4_jRbjT5_S1E_jjP12ihipStream_tbEUljE_ZNSN_ISO_Lb0ESQ_SR_ST_SU_SY_EESZ_S10_S11_S12_S16_S17_S18_S1B_S1C_jS1D_jS1E_S1E_jjS1G_bEUljE0_EEESZ_S10_S11_S18_S1C_S1E_T6_T7_T9_mT8_S1G_bDpT10_ENKUlT_T0_E_clISt17integral_constantIbLb1EES1T_IbLb0EEEEDaS1P_S1Q_EUlS1P_E_NS1_11comp_targetILNS1_3genE2ELNS1_11target_archE906ELNS1_3gpuE6ELNS1_3repE0EEENS1_30default_config_static_selectorELNS0_4arch9wavefront6targetE0EEEvS12_,comdat
.Lfunc_end1177:
	.size	_ZN7rocprim17ROCPRIM_400000_NS6detail17trampoline_kernelINS0_13select_configILj256ELj13ELNS0_17block_load_methodE3ELS4_3ELS4_3ELNS0_20block_scan_algorithmE0ELj4294967295EEENS1_25partition_config_selectorILNS1_17partition_subalgoE4EjNS0_10empty_typeEbEEZZNS1_14partition_implILS8_4ELb0ES6_15HIP_vector_typeIjLj2EENS0_17counting_iteratorIjlEEPS9_SG_NS0_5tupleIJPjSI_NS0_16reverse_iteratorISI_EEEEENSH_IJSG_SG_SG_EEES9_SI_JZNS1_25segmented_radix_sort_implINS0_14default_configELb0EPKdPdPKlPlN2at6native12_GLOBAL__N_18offset_tEEE10hipError_tPvRmT1_PNSt15iterator_traitsIS12_E10value_typeET2_T3_PNS13_IS18_E10value_typeET4_jRbjT5_S1E_jjP12ihipStream_tbEUljE_ZNSN_ISO_Lb0ESQ_SR_ST_SU_SY_EESZ_S10_S11_S12_S16_S17_S18_S1B_S1C_jS1D_jS1E_S1E_jjS1G_bEUljE0_EEESZ_S10_S11_S18_S1C_S1E_T6_T7_T9_mT8_S1G_bDpT10_ENKUlT_T0_E_clISt17integral_constantIbLb1EES1T_IbLb0EEEEDaS1P_S1Q_EUlS1P_E_NS1_11comp_targetILNS1_3genE2ELNS1_11target_archE906ELNS1_3gpuE6ELNS1_3repE0EEENS1_30default_config_static_selectorELNS0_4arch9wavefront6targetE0EEEvS12_, .Lfunc_end1177-_ZN7rocprim17ROCPRIM_400000_NS6detail17trampoline_kernelINS0_13select_configILj256ELj13ELNS0_17block_load_methodE3ELS4_3ELS4_3ELNS0_20block_scan_algorithmE0ELj4294967295EEENS1_25partition_config_selectorILNS1_17partition_subalgoE4EjNS0_10empty_typeEbEEZZNS1_14partition_implILS8_4ELb0ES6_15HIP_vector_typeIjLj2EENS0_17counting_iteratorIjlEEPS9_SG_NS0_5tupleIJPjSI_NS0_16reverse_iteratorISI_EEEEENSH_IJSG_SG_SG_EEES9_SI_JZNS1_25segmented_radix_sort_implINS0_14default_configELb0EPKdPdPKlPlN2at6native12_GLOBAL__N_18offset_tEEE10hipError_tPvRmT1_PNSt15iterator_traitsIS12_E10value_typeET2_T3_PNS13_IS18_E10value_typeET4_jRbjT5_S1E_jjP12ihipStream_tbEUljE_ZNSN_ISO_Lb0ESQ_SR_ST_SU_SY_EESZ_S10_S11_S12_S16_S17_S18_S1B_S1C_jS1D_jS1E_S1E_jjS1G_bEUljE0_EEESZ_S10_S11_S18_S1C_S1E_T6_T7_T9_mT8_S1G_bDpT10_ENKUlT_T0_E_clISt17integral_constantIbLb1EES1T_IbLb0EEEEDaS1P_S1Q_EUlS1P_E_NS1_11comp_targetILNS1_3genE2ELNS1_11target_archE906ELNS1_3gpuE6ELNS1_3repE0EEENS1_30default_config_static_selectorELNS0_4arch9wavefront6targetE0EEEvS12_
                                        ; -- End function
	.set _ZN7rocprim17ROCPRIM_400000_NS6detail17trampoline_kernelINS0_13select_configILj256ELj13ELNS0_17block_load_methodE3ELS4_3ELS4_3ELNS0_20block_scan_algorithmE0ELj4294967295EEENS1_25partition_config_selectorILNS1_17partition_subalgoE4EjNS0_10empty_typeEbEEZZNS1_14partition_implILS8_4ELb0ES6_15HIP_vector_typeIjLj2EENS0_17counting_iteratorIjlEEPS9_SG_NS0_5tupleIJPjSI_NS0_16reverse_iteratorISI_EEEEENSH_IJSG_SG_SG_EEES9_SI_JZNS1_25segmented_radix_sort_implINS0_14default_configELb0EPKdPdPKlPlN2at6native12_GLOBAL__N_18offset_tEEE10hipError_tPvRmT1_PNSt15iterator_traitsIS12_E10value_typeET2_T3_PNS13_IS18_E10value_typeET4_jRbjT5_S1E_jjP12ihipStream_tbEUljE_ZNSN_ISO_Lb0ESQ_SR_ST_SU_SY_EESZ_S10_S11_S12_S16_S17_S18_S1B_S1C_jS1D_jS1E_S1E_jjS1G_bEUljE0_EEESZ_S10_S11_S18_S1C_S1E_T6_T7_T9_mT8_S1G_bDpT10_ENKUlT_T0_E_clISt17integral_constantIbLb1EES1T_IbLb0EEEEDaS1P_S1Q_EUlS1P_E_NS1_11comp_targetILNS1_3genE2ELNS1_11target_archE906ELNS1_3gpuE6ELNS1_3repE0EEENS1_30default_config_static_selectorELNS0_4arch9wavefront6targetE0EEEvS12_.num_vgpr, 0
	.set _ZN7rocprim17ROCPRIM_400000_NS6detail17trampoline_kernelINS0_13select_configILj256ELj13ELNS0_17block_load_methodE3ELS4_3ELS4_3ELNS0_20block_scan_algorithmE0ELj4294967295EEENS1_25partition_config_selectorILNS1_17partition_subalgoE4EjNS0_10empty_typeEbEEZZNS1_14partition_implILS8_4ELb0ES6_15HIP_vector_typeIjLj2EENS0_17counting_iteratorIjlEEPS9_SG_NS0_5tupleIJPjSI_NS0_16reverse_iteratorISI_EEEEENSH_IJSG_SG_SG_EEES9_SI_JZNS1_25segmented_radix_sort_implINS0_14default_configELb0EPKdPdPKlPlN2at6native12_GLOBAL__N_18offset_tEEE10hipError_tPvRmT1_PNSt15iterator_traitsIS12_E10value_typeET2_T3_PNS13_IS18_E10value_typeET4_jRbjT5_S1E_jjP12ihipStream_tbEUljE_ZNSN_ISO_Lb0ESQ_SR_ST_SU_SY_EESZ_S10_S11_S12_S16_S17_S18_S1B_S1C_jS1D_jS1E_S1E_jjS1G_bEUljE0_EEESZ_S10_S11_S18_S1C_S1E_T6_T7_T9_mT8_S1G_bDpT10_ENKUlT_T0_E_clISt17integral_constantIbLb1EES1T_IbLb0EEEEDaS1P_S1Q_EUlS1P_E_NS1_11comp_targetILNS1_3genE2ELNS1_11target_archE906ELNS1_3gpuE6ELNS1_3repE0EEENS1_30default_config_static_selectorELNS0_4arch9wavefront6targetE0EEEvS12_.num_agpr, 0
	.set _ZN7rocprim17ROCPRIM_400000_NS6detail17trampoline_kernelINS0_13select_configILj256ELj13ELNS0_17block_load_methodE3ELS4_3ELS4_3ELNS0_20block_scan_algorithmE0ELj4294967295EEENS1_25partition_config_selectorILNS1_17partition_subalgoE4EjNS0_10empty_typeEbEEZZNS1_14partition_implILS8_4ELb0ES6_15HIP_vector_typeIjLj2EENS0_17counting_iteratorIjlEEPS9_SG_NS0_5tupleIJPjSI_NS0_16reverse_iteratorISI_EEEEENSH_IJSG_SG_SG_EEES9_SI_JZNS1_25segmented_radix_sort_implINS0_14default_configELb0EPKdPdPKlPlN2at6native12_GLOBAL__N_18offset_tEEE10hipError_tPvRmT1_PNSt15iterator_traitsIS12_E10value_typeET2_T3_PNS13_IS18_E10value_typeET4_jRbjT5_S1E_jjP12ihipStream_tbEUljE_ZNSN_ISO_Lb0ESQ_SR_ST_SU_SY_EESZ_S10_S11_S12_S16_S17_S18_S1B_S1C_jS1D_jS1E_S1E_jjS1G_bEUljE0_EEESZ_S10_S11_S18_S1C_S1E_T6_T7_T9_mT8_S1G_bDpT10_ENKUlT_T0_E_clISt17integral_constantIbLb1EES1T_IbLb0EEEEDaS1P_S1Q_EUlS1P_E_NS1_11comp_targetILNS1_3genE2ELNS1_11target_archE906ELNS1_3gpuE6ELNS1_3repE0EEENS1_30default_config_static_selectorELNS0_4arch9wavefront6targetE0EEEvS12_.numbered_sgpr, 0
	.set _ZN7rocprim17ROCPRIM_400000_NS6detail17trampoline_kernelINS0_13select_configILj256ELj13ELNS0_17block_load_methodE3ELS4_3ELS4_3ELNS0_20block_scan_algorithmE0ELj4294967295EEENS1_25partition_config_selectorILNS1_17partition_subalgoE4EjNS0_10empty_typeEbEEZZNS1_14partition_implILS8_4ELb0ES6_15HIP_vector_typeIjLj2EENS0_17counting_iteratorIjlEEPS9_SG_NS0_5tupleIJPjSI_NS0_16reverse_iteratorISI_EEEEENSH_IJSG_SG_SG_EEES9_SI_JZNS1_25segmented_radix_sort_implINS0_14default_configELb0EPKdPdPKlPlN2at6native12_GLOBAL__N_18offset_tEEE10hipError_tPvRmT1_PNSt15iterator_traitsIS12_E10value_typeET2_T3_PNS13_IS18_E10value_typeET4_jRbjT5_S1E_jjP12ihipStream_tbEUljE_ZNSN_ISO_Lb0ESQ_SR_ST_SU_SY_EESZ_S10_S11_S12_S16_S17_S18_S1B_S1C_jS1D_jS1E_S1E_jjS1G_bEUljE0_EEESZ_S10_S11_S18_S1C_S1E_T6_T7_T9_mT8_S1G_bDpT10_ENKUlT_T0_E_clISt17integral_constantIbLb1EES1T_IbLb0EEEEDaS1P_S1Q_EUlS1P_E_NS1_11comp_targetILNS1_3genE2ELNS1_11target_archE906ELNS1_3gpuE6ELNS1_3repE0EEENS1_30default_config_static_selectorELNS0_4arch9wavefront6targetE0EEEvS12_.num_named_barrier, 0
	.set _ZN7rocprim17ROCPRIM_400000_NS6detail17trampoline_kernelINS0_13select_configILj256ELj13ELNS0_17block_load_methodE3ELS4_3ELS4_3ELNS0_20block_scan_algorithmE0ELj4294967295EEENS1_25partition_config_selectorILNS1_17partition_subalgoE4EjNS0_10empty_typeEbEEZZNS1_14partition_implILS8_4ELb0ES6_15HIP_vector_typeIjLj2EENS0_17counting_iteratorIjlEEPS9_SG_NS0_5tupleIJPjSI_NS0_16reverse_iteratorISI_EEEEENSH_IJSG_SG_SG_EEES9_SI_JZNS1_25segmented_radix_sort_implINS0_14default_configELb0EPKdPdPKlPlN2at6native12_GLOBAL__N_18offset_tEEE10hipError_tPvRmT1_PNSt15iterator_traitsIS12_E10value_typeET2_T3_PNS13_IS18_E10value_typeET4_jRbjT5_S1E_jjP12ihipStream_tbEUljE_ZNSN_ISO_Lb0ESQ_SR_ST_SU_SY_EESZ_S10_S11_S12_S16_S17_S18_S1B_S1C_jS1D_jS1E_S1E_jjS1G_bEUljE0_EEESZ_S10_S11_S18_S1C_S1E_T6_T7_T9_mT8_S1G_bDpT10_ENKUlT_T0_E_clISt17integral_constantIbLb1EES1T_IbLb0EEEEDaS1P_S1Q_EUlS1P_E_NS1_11comp_targetILNS1_3genE2ELNS1_11target_archE906ELNS1_3gpuE6ELNS1_3repE0EEENS1_30default_config_static_selectorELNS0_4arch9wavefront6targetE0EEEvS12_.private_seg_size, 0
	.set _ZN7rocprim17ROCPRIM_400000_NS6detail17trampoline_kernelINS0_13select_configILj256ELj13ELNS0_17block_load_methodE3ELS4_3ELS4_3ELNS0_20block_scan_algorithmE0ELj4294967295EEENS1_25partition_config_selectorILNS1_17partition_subalgoE4EjNS0_10empty_typeEbEEZZNS1_14partition_implILS8_4ELb0ES6_15HIP_vector_typeIjLj2EENS0_17counting_iteratorIjlEEPS9_SG_NS0_5tupleIJPjSI_NS0_16reverse_iteratorISI_EEEEENSH_IJSG_SG_SG_EEES9_SI_JZNS1_25segmented_radix_sort_implINS0_14default_configELb0EPKdPdPKlPlN2at6native12_GLOBAL__N_18offset_tEEE10hipError_tPvRmT1_PNSt15iterator_traitsIS12_E10value_typeET2_T3_PNS13_IS18_E10value_typeET4_jRbjT5_S1E_jjP12ihipStream_tbEUljE_ZNSN_ISO_Lb0ESQ_SR_ST_SU_SY_EESZ_S10_S11_S12_S16_S17_S18_S1B_S1C_jS1D_jS1E_S1E_jjS1G_bEUljE0_EEESZ_S10_S11_S18_S1C_S1E_T6_T7_T9_mT8_S1G_bDpT10_ENKUlT_T0_E_clISt17integral_constantIbLb1EES1T_IbLb0EEEEDaS1P_S1Q_EUlS1P_E_NS1_11comp_targetILNS1_3genE2ELNS1_11target_archE906ELNS1_3gpuE6ELNS1_3repE0EEENS1_30default_config_static_selectorELNS0_4arch9wavefront6targetE0EEEvS12_.uses_vcc, 0
	.set _ZN7rocprim17ROCPRIM_400000_NS6detail17trampoline_kernelINS0_13select_configILj256ELj13ELNS0_17block_load_methodE3ELS4_3ELS4_3ELNS0_20block_scan_algorithmE0ELj4294967295EEENS1_25partition_config_selectorILNS1_17partition_subalgoE4EjNS0_10empty_typeEbEEZZNS1_14partition_implILS8_4ELb0ES6_15HIP_vector_typeIjLj2EENS0_17counting_iteratorIjlEEPS9_SG_NS0_5tupleIJPjSI_NS0_16reverse_iteratorISI_EEEEENSH_IJSG_SG_SG_EEES9_SI_JZNS1_25segmented_radix_sort_implINS0_14default_configELb0EPKdPdPKlPlN2at6native12_GLOBAL__N_18offset_tEEE10hipError_tPvRmT1_PNSt15iterator_traitsIS12_E10value_typeET2_T3_PNS13_IS18_E10value_typeET4_jRbjT5_S1E_jjP12ihipStream_tbEUljE_ZNSN_ISO_Lb0ESQ_SR_ST_SU_SY_EESZ_S10_S11_S12_S16_S17_S18_S1B_S1C_jS1D_jS1E_S1E_jjS1G_bEUljE0_EEESZ_S10_S11_S18_S1C_S1E_T6_T7_T9_mT8_S1G_bDpT10_ENKUlT_T0_E_clISt17integral_constantIbLb1EES1T_IbLb0EEEEDaS1P_S1Q_EUlS1P_E_NS1_11comp_targetILNS1_3genE2ELNS1_11target_archE906ELNS1_3gpuE6ELNS1_3repE0EEENS1_30default_config_static_selectorELNS0_4arch9wavefront6targetE0EEEvS12_.uses_flat_scratch, 0
	.set _ZN7rocprim17ROCPRIM_400000_NS6detail17trampoline_kernelINS0_13select_configILj256ELj13ELNS0_17block_load_methodE3ELS4_3ELS4_3ELNS0_20block_scan_algorithmE0ELj4294967295EEENS1_25partition_config_selectorILNS1_17partition_subalgoE4EjNS0_10empty_typeEbEEZZNS1_14partition_implILS8_4ELb0ES6_15HIP_vector_typeIjLj2EENS0_17counting_iteratorIjlEEPS9_SG_NS0_5tupleIJPjSI_NS0_16reverse_iteratorISI_EEEEENSH_IJSG_SG_SG_EEES9_SI_JZNS1_25segmented_radix_sort_implINS0_14default_configELb0EPKdPdPKlPlN2at6native12_GLOBAL__N_18offset_tEEE10hipError_tPvRmT1_PNSt15iterator_traitsIS12_E10value_typeET2_T3_PNS13_IS18_E10value_typeET4_jRbjT5_S1E_jjP12ihipStream_tbEUljE_ZNSN_ISO_Lb0ESQ_SR_ST_SU_SY_EESZ_S10_S11_S12_S16_S17_S18_S1B_S1C_jS1D_jS1E_S1E_jjS1G_bEUljE0_EEESZ_S10_S11_S18_S1C_S1E_T6_T7_T9_mT8_S1G_bDpT10_ENKUlT_T0_E_clISt17integral_constantIbLb1EES1T_IbLb0EEEEDaS1P_S1Q_EUlS1P_E_NS1_11comp_targetILNS1_3genE2ELNS1_11target_archE906ELNS1_3gpuE6ELNS1_3repE0EEENS1_30default_config_static_selectorELNS0_4arch9wavefront6targetE0EEEvS12_.has_dyn_sized_stack, 0
	.set _ZN7rocprim17ROCPRIM_400000_NS6detail17trampoline_kernelINS0_13select_configILj256ELj13ELNS0_17block_load_methodE3ELS4_3ELS4_3ELNS0_20block_scan_algorithmE0ELj4294967295EEENS1_25partition_config_selectorILNS1_17partition_subalgoE4EjNS0_10empty_typeEbEEZZNS1_14partition_implILS8_4ELb0ES6_15HIP_vector_typeIjLj2EENS0_17counting_iteratorIjlEEPS9_SG_NS0_5tupleIJPjSI_NS0_16reverse_iteratorISI_EEEEENSH_IJSG_SG_SG_EEES9_SI_JZNS1_25segmented_radix_sort_implINS0_14default_configELb0EPKdPdPKlPlN2at6native12_GLOBAL__N_18offset_tEEE10hipError_tPvRmT1_PNSt15iterator_traitsIS12_E10value_typeET2_T3_PNS13_IS18_E10value_typeET4_jRbjT5_S1E_jjP12ihipStream_tbEUljE_ZNSN_ISO_Lb0ESQ_SR_ST_SU_SY_EESZ_S10_S11_S12_S16_S17_S18_S1B_S1C_jS1D_jS1E_S1E_jjS1G_bEUljE0_EEESZ_S10_S11_S18_S1C_S1E_T6_T7_T9_mT8_S1G_bDpT10_ENKUlT_T0_E_clISt17integral_constantIbLb1EES1T_IbLb0EEEEDaS1P_S1Q_EUlS1P_E_NS1_11comp_targetILNS1_3genE2ELNS1_11target_archE906ELNS1_3gpuE6ELNS1_3repE0EEENS1_30default_config_static_selectorELNS0_4arch9wavefront6targetE0EEEvS12_.has_recursion, 0
	.set _ZN7rocprim17ROCPRIM_400000_NS6detail17trampoline_kernelINS0_13select_configILj256ELj13ELNS0_17block_load_methodE3ELS4_3ELS4_3ELNS0_20block_scan_algorithmE0ELj4294967295EEENS1_25partition_config_selectorILNS1_17partition_subalgoE4EjNS0_10empty_typeEbEEZZNS1_14partition_implILS8_4ELb0ES6_15HIP_vector_typeIjLj2EENS0_17counting_iteratorIjlEEPS9_SG_NS0_5tupleIJPjSI_NS0_16reverse_iteratorISI_EEEEENSH_IJSG_SG_SG_EEES9_SI_JZNS1_25segmented_radix_sort_implINS0_14default_configELb0EPKdPdPKlPlN2at6native12_GLOBAL__N_18offset_tEEE10hipError_tPvRmT1_PNSt15iterator_traitsIS12_E10value_typeET2_T3_PNS13_IS18_E10value_typeET4_jRbjT5_S1E_jjP12ihipStream_tbEUljE_ZNSN_ISO_Lb0ESQ_SR_ST_SU_SY_EESZ_S10_S11_S12_S16_S17_S18_S1B_S1C_jS1D_jS1E_S1E_jjS1G_bEUljE0_EEESZ_S10_S11_S18_S1C_S1E_T6_T7_T9_mT8_S1G_bDpT10_ENKUlT_T0_E_clISt17integral_constantIbLb1EES1T_IbLb0EEEEDaS1P_S1Q_EUlS1P_E_NS1_11comp_targetILNS1_3genE2ELNS1_11target_archE906ELNS1_3gpuE6ELNS1_3repE0EEENS1_30default_config_static_selectorELNS0_4arch9wavefront6targetE0EEEvS12_.has_indirect_call, 0
	.section	.AMDGPU.csdata,"",@progbits
; Kernel info:
; codeLenInByte = 0
; TotalNumSgprs: 0
; NumVgprs: 0
; ScratchSize: 0
; MemoryBound: 0
; FloatMode: 240
; IeeeMode: 1
; LDSByteSize: 0 bytes/workgroup (compile time only)
; SGPRBlocks: 0
; VGPRBlocks: 0
; NumSGPRsForWavesPerEU: 1
; NumVGPRsForWavesPerEU: 1
; Occupancy: 16
; WaveLimiterHint : 0
; COMPUTE_PGM_RSRC2:SCRATCH_EN: 0
; COMPUTE_PGM_RSRC2:USER_SGPR: 2
; COMPUTE_PGM_RSRC2:TRAP_HANDLER: 0
; COMPUTE_PGM_RSRC2:TGID_X_EN: 1
; COMPUTE_PGM_RSRC2:TGID_Y_EN: 0
; COMPUTE_PGM_RSRC2:TGID_Z_EN: 0
; COMPUTE_PGM_RSRC2:TIDIG_COMP_CNT: 0
	.section	.text._ZN7rocprim17ROCPRIM_400000_NS6detail17trampoline_kernelINS0_13select_configILj256ELj13ELNS0_17block_load_methodE3ELS4_3ELS4_3ELNS0_20block_scan_algorithmE0ELj4294967295EEENS1_25partition_config_selectorILNS1_17partition_subalgoE4EjNS0_10empty_typeEbEEZZNS1_14partition_implILS8_4ELb0ES6_15HIP_vector_typeIjLj2EENS0_17counting_iteratorIjlEEPS9_SG_NS0_5tupleIJPjSI_NS0_16reverse_iteratorISI_EEEEENSH_IJSG_SG_SG_EEES9_SI_JZNS1_25segmented_radix_sort_implINS0_14default_configELb0EPKdPdPKlPlN2at6native12_GLOBAL__N_18offset_tEEE10hipError_tPvRmT1_PNSt15iterator_traitsIS12_E10value_typeET2_T3_PNS13_IS18_E10value_typeET4_jRbjT5_S1E_jjP12ihipStream_tbEUljE_ZNSN_ISO_Lb0ESQ_SR_ST_SU_SY_EESZ_S10_S11_S12_S16_S17_S18_S1B_S1C_jS1D_jS1E_S1E_jjS1G_bEUljE0_EEESZ_S10_S11_S18_S1C_S1E_T6_T7_T9_mT8_S1G_bDpT10_ENKUlT_T0_E_clISt17integral_constantIbLb1EES1T_IbLb0EEEEDaS1P_S1Q_EUlS1P_E_NS1_11comp_targetILNS1_3genE10ELNS1_11target_archE1200ELNS1_3gpuE4ELNS1_3repE0EEENS1_30default_config_static_selectorELNS0_4arch9wavefront6targetE0EEEvS12_,"axG",@progbits,_ZN7rocprim17ROCPRIM_400000_NS6detail17trampoline_kernelINS0_13select_configILj256ELj13ELNS0_17block_load_methodE3ELS4_3ELS4_3ELNS0_20block_scan_algorithmE0ELj4294967295EEENS1_25partition_config_selectorILNS1_17partition_subalgoE4EjNS0_10empty_typeEbEEZZNS1_14partition_implILS8_4ELb0ES6_15HIP_vector_typeIjLj2EENS0_17counting_iteratorIjlEEPS9_SG_NS0_5tupleIJPjSI_NS0_16reverse_iteratorISI_EEEEENSH_IJSG_SG_SG_EEES9_SI_JZNS1_25segmented_radix_sort_implINS0_14default_configELb0EPKdPdPKlPlN2at6native12_GLOBAL__N_18offset_tEEE10hipError_tPvRmT1_PNSt15iterator_traitsIS12_E10value_typeET2_T3_PNS13_IS18_E10value_typeET4_jRbjT5_S1E_jjP12ihipStream_tbEUljE_ZNSN_ISO_Lb0ESQ_SR_ST_SU_SY_EESZ_S10_S11_S12_S16_S17_S18_S1B_S1C_jS1D_jS1E_S1E_jjS1G_bEUljE0_EEESZ_S10_S11_S18_S1C_S1E_T6_T7_T9_mT8_S1G_bDpT10_ENKUlT_T0_E_clISt17integral_constantIbLb1EES1T_IbLb0EEEEDaS1P_S1Q_EUlS1P_E_NS1_11comp_targetILNS1_3genE10ELNS1_11target_archE1200ELNS1_3gpuE4ELNS1_3repE0EEENS1_30default_config_static_selectorELNS0_4arch9wavefront6targetE0EEEvS12_,comdat
	.globl	_ZN7rocprim17ROCPRIM_400000_NS6detail17trampoline_kernelINS0_13select_configILj256ELj13ELNS0_17block_load_methodE3ELS4_3ELS4_3ELNS0_20block_scan_algorithmE0ELj4294967295EEENS1_25partition_config_selectorILNS1_17partition_subalgoE4EjNS0_10empty_typeEbEEZZNS1_14partition_implILS8_4ELb0ES6_15HIP_vector_typeIjLj2EENS0_17counting_iteratorIjlEEPS9_SG_NS0_5tupleIJPjSI_NS0_16reverse_iteratorISI_EEEEENSH_IJSG_SG_SG_EEES9_SI_JZNS1_25segmented_radix_sort_implINS0_14default_configELb0EPKdPdPKlPlN2at6native12_GLOBAL__N_18offset_tEEE10hipError_tPvRmT1_PNSt15iterator_traitsIS12_E10value_typeET2_T3_PNS13_IS18_E10value_typeET4_jRbjT5_S1E_jjP12ihipStream_tbEUljE_ZNSN_ISO_Lb0ESQ_SR_ST_SU_SY_EESZ_S10_S11_S12_S16_S17_S18_S1B_S1C_jS1D_jS1E_S1E_jjS1G_bEUljE0_EEESZ_S10_S11_S18_S1C_S1E_T6_T7_T9_mT8_S1G_bDpT10_ENKUlT_T0_E_clISt17integral_constantIbLb1EES1T_IbLb0EEEEDaS1P_S1Q_EUlS1P_E_NS1_11comp_targetILNS1_3genE10ELNS1_11target_archE1200ELNS1_3gpuE4ELNS1_3repE0EEENS1_30default_config_static_selectorELNS0_4arch9wavefront6targetE0EEEvS12_ ; -- Begin function _ZN7rocprim17ROCPRIM_400000_NS6detail17trampoline_kernelINS0_13select_configILj256ELj13ELNS0_17block_load_methodE3ELS4_3ELS4_3ELNS0_20block_scan_algorithmE0ELj4294967295EEENS1_25partition_config_selectorILNS1_17partition_subalgoE4EjNS0_10empty_typeEbEEZZNS1_14partition_implILS8_4ELb0ES6_15HIP_vector_typeIjLj2EENS0_17counting_iteratorIjlEEPS9_SG_NS0_5tupleIJPjSI_NS0_16reverse_iteratorISI_EEEEENSH_IJSG_SG_SG_EEES9_SI_JZNS1_25segmented_radix_sort_implINS0_14default_configELb0EPKdPdPKlPlN2at6native12_GLOBAL__N_18offset_tEEE10hipError_tPvRmT1_PNSt15iterator_traitsIS12_E10value_typeET2_T3_PNS13_IS18_E10value_typeET4_jRbjT5_S1E_jjP12ihipStream_tbEUljE_ZNSN_ISO_Lb0ESQ_SR_ST_SU_SY_EESZ_S10_S11_S12_S16_S17_S18_S1B_S1C_jS1D_jS1E_S1E_jjS1G_bEUljE0_EEESZ_S10_S11_S18_S1C_S1E_T6_T7_T9_mT8_S1G_bDpT10_ENKUlT_T0_E_clISt17integral_constantIbLb1EES1T_IbLb0EEEEDaS1P_S1Q_EUlS1P_E_NS1_11comp_targetILNS1_3genE10ELNS1_11target_archE1200ELNS1_3gpuE4ELNS1_3repE0EEENS1_30default_config_static_selectorELNS0_4arch9wavefront6targetE0EEEvS12_
	.p2align	8
	.type	_ZN7rocprim17ROCPRIM_400000_NS6detail17trampoline_kernelINS0_13select_configILj256ELj13ELNS0_17block_load_methodE3ELS4_3ELS4_3ELNS0_20block_scan_algorithmE0ELj4294967295EEENS1_25partition_config_selectorILNS1_17partition_subalgoE4EjNS0_10empty_typeEbEEZZNS1_14partition_implILS8_4ELb0ES6_15HIP_vector_typeIjLj2EENS0_17counting_iteratorIjlEEPS9_SG_NS0_5tupleIJPjSI_NS0_16reverse_iteratorISI_EEEEENSH_IJSG_SG_SG_EEES9_SI_JZNS1_25segmented_radix_sort_implINS0_14default_configELb0EPKdPdPKlPlN2at6native12_GLOBAL__N_18offset_tEEE10hipError_tPvRmT1_PNSt15iterator_traitsIS12_E10value_typeET2_T3_PNS13_IS18_E10value_typeET4_jRbjT5_S1E_jjP12ihipStream_tbEUljE_ZNSN_ISO_Lb0ESQ_SR_ST_SU_SY_EESZ_S10_S11_S12_S16_S17_S18_S1B_S1C_jS1D_jS1E_S1E_jjS1G_bEUljE0_EEESZ_S10_S11_S18_S1C_S1E_T6_T7_T9_mT8_S1G_bDpT10_ENKUlT_T0_E_clISt17integral_constantIbLb1EES1T_IbLb0EEEEDaS1P_S1Q_EUlS1P_E_NS1_11comp_targetILNS1_3genE10ELNS1_11target_archE1200ELNS1_3gpuE4ELNS1_3repE0EEENS1_30default_config_static_selectorELNS0_4arch9wavefront6targetE0EEEvS12_,@function
_ZN7rocprim17ROCPRIM_400000_NS6detail17trampoline_kernelINS0_13select_configILj256ELj13ELNS0_17block_load_methodE3ELS4_3ELS4_3ELNS0_20block_scan_algorithmE0ELj4294967295EEENS1_25partition_config_selectorILNS1_17partition_subalgoE4EjNS0_10empty_typeEbEEZZNS1_14partition_implILS8_4ELb0ES6_15HIP_vector_typeIjLj2EENS0_17counting_iteratorIjlEEPS9_SG_NS0_5tupleIJPjSI_NS0_16reverse_iteratorISI_EEEEENSH_IJSG_SG_SG_EEES9_SI_JZNS1_25segmented_radix_sort_implINS0_14default_configELb0EPKdPdPKlPlN2at6native12_GLOBAL__N_18offset_tEEE10hipError_tPvRmT1_PNSt15iterator_traitsIS12_E10value_typeET2_T3_PNS13_IS18_E10value_typeET4_jRbjT5_S1E_jjP12ihipStream_tbEUljE_ZNSN_ISO_Lb0ESQ_SR_ST_SU_SY_EESZ_S10_S11_S12_S16_S17_S18_S1B_S1C_jS1D_jS1E_S1E_jjS1G_bEUljE0_EEESZ_S10_S11_S18_S1C_S1E_T6_T7_T9_mT8_S1G_bDpT10_ENKUlT_T0_E_clISt17integral_constantIbLb1EES1T_IbLb0EEEEDaS1P_S1Q_EUlS1P_E_NS1_11comp_targetILNS1_3genE10ELNS1_11target_archE1200ELNS1_3gpuE4ELNS1_3repE0EEENS1_30default_config_static_selectorELNS0_4arch9wavefront6targetE0EEEvS12_: ; @_ZN7rocprim17ROCPRIM_400000_NS6detail17trampoline_kernelINS0_13select_configILj256ELj13ELNS0_17block_load_methodE3ELS4_3ELS4_3ELNS0_20block_scan_algorithmE0ELj4294967295EEENS1_25partition_config_selectorILNS1_17partition_subalgoE4EjNS0_10empty_typeEbEEZZNS1_14partition_implILS8_4ELb0ES6_15HIP_vector_typeIjLj2EENS0_17counting_iteratorIjlEEPS9_SG_NS0_5tupleIJPjSI_NS0_16reverse_iteratorISI_EEEEENSH_IJSG_SG_SG_EEES9_SI_JZNS1_25segmented_radix_sort_implINS0_14default_configELb0EPKdPdPKlPlN2at6native12_GLOBAL__N_18offset_tEEE10hipError_tPvRmT1_PNSt15iterator_traitsIS12_E10value_typeET2_T3_PNS13_IS18_E10value_typeET4_jRbjT5_S1E_jjP12ihipStream_tbEUljE_ZNSN_ISO_Lb0ESQ_SR_ST_SU_SY_EESZ_S10_S11_S12_S16_S17_S18_S1B_S1C_jS1D_jS1E_S1E_jjS1G_bEUljE0_EEESZ_S10_S11_S18_S1C_S1E_T6_T7_T9_mT8_S1G_bDpT10_ENKUlT_T0_E_clISt17integral_constantIbLb1EES1T_IbLb0EEEEDaS1P_S1Q_EUlS1P_E_NS1_11comp_targetILNS1_3genE10ELNS1_11target_archE1200ELNS1_3gpuE4ELNS1_3repE0EEENS1_30default_config_static_selectorELNS0_4arch9wavefront6targetE0EEEvS12_
; %bb.0:
	s_endpgm
	.section	.rodata,"a",@progbits
	.p2align	6, 0x0
	.amdhsa_kernel _ZN7rocprim17ROCPRIM_400000_NS6detail17trampoline_kernelINS0_13select_configILj256ELj13ELNS0_17block_load_methodE3ELS4_3ELS4_3ELNS0_20block_scan_algorithmE0ELj4294967295EEENS1_25partition_config_selectorILNS1_17partition_subalgoE4EjNS0_10empty_typeEbEEZZNS1_14partition_implILS8_4ELb0ES6_15HIP_vector_typeIjLj2EENS0_17counting_iteratorIjlEEPS9_SG_NS0_5tupleIJPjSI_NS0_16reverse_iteratorISI_EEEEENSH_IJSG_SG_SG_EEES9_SI_JZNS1_25segmented_radix_sort_implINS0_14default_configELb0EPKdPdPKlPlN2at6native12_GLOBAL__N_18offset_tEEE10hipError_tPvRmT1_PNSt15iterator_traitsIS12_E10value_typeET2_T3_PNS13_IS18_E10value_typeET4_jRbjT5_S1E_jjP12ihipStream_tbEUljE_ZNSN_ISO_Lb0ESQ_SR_ST_SU_SY_EESZ_S10_S11_S12_S16_S17_S18_S1B_S1C_jS1D_jS1E_S1E_jjS1G_bEUljE0_EEESZ_S10_S11_S18_S1C_S1E_T6_T7_T9_mT8_S1G_bDpT10_ENKUlT_T0_E_clISt17integral_constantIbLb1EES1T_IbLb0EEEEDaS1P_S1Q_EUlS1P_E_NS1_11comp_targetILNS1_3genE10ELNS1_11target_archE1200ELNS1_3gpuE4ELNS1_3repE0EEENS1_30default_config_static_selectorELNS0_4arch9wavefront6targetE0EEEvS12_
		.amdhsa_group_segment_fixed_size 0
		.amdhsa_private_segment_fixed_size 0
		.amdhsa_kernarg_size 176
		.amdhsa_user_sgpr_count 2
		.amdhsa_user_sgpr_dispatch_ptr 0
		.amdhsa_user_sgpr_queue_ptr 0
		.amdhsa_user_sgpr_kernarg_segment_ptr 1
		.amdhsa_user_sgpr_dispatch_id 0
		.amdhsa_user_sgpr_private_segment_size 0
		.amdhsa_wavefront_size32 1
		.amdhsa_uses_dynamic_stack 0
		.amdhsa_enable_private_segment 0
		.amdhsa_system_sgpr_workgroup_id_x 1
		.amdhsa_system_sgpr_workgroup_id_y 0
		.amdhsa_system_sgpr_workgroup_id_z 0
		.amdhsa_system_sgpr_workgroup_info 0
		.amdhsa_system_vgpr_workitem_id 0
		.amdhsa_next_free_vgpr 1
		.amdhsa_next_free_sgpr 1
		.amdhsa_reserve_vcc 0
		.amdhsa_float_round_mode_32 0
		.amdhsa_float_round_mode_16_64 0
		.amdhsa_float_denorm_mode_32 3
		.amdhsa_float_denorm_mode_16_64 3
		.amdhsa_fp16_overflow 0
		.amdhsa_workgroup_processor_mode 1
		.amdhsa_memory_ordered 1
		.amdhsa_forward_progress 1
		.amdhsa_inst_pref_size 1
		.amdhsa_round_robin_scheduling 0
		.amdhsa_exception_fp_ieee_invalid_op 0
		.amdhsa_exception_fp_denorm_src 0
		.amdhsa_exception_fp_ieee_div_zero 0
		.amdhsa_exception_fp_ieee_overflow 0
		.amdhsa_exception_fp_ieee_underflow 0
		.amdhsa_exception_fp_ieee_inexact 0
		.amdhsa_exception_int_div_zero 0
	.end_amdhsa_kernel
	.section	.text._ZN7rocprim17ROCPRIM_400000_NS6detail17trampoline_kernelINS0_13select_configILj256ELj13ELNS0_17block_load_methodE3ELS4_3ELS4_3ELNS0_20block_scan_algorithmE0ELj4294967295EEENS1_25partition_config_selectorILNS1_17partition_subalgoE4EjNS0_10empty_typeEbEEZZNS1_14partition_implILS8_4ELb0ES6_15HIP_vector_typeIjLj2EENS0_17counting_iteratorIjlEEPS9_SG_NS0_5tupleIJPjSI_NS0_16reverse_iteratorISI_EEEEENSH_IJSG_SG_SG_EEES9_SI_JZNS1_25segmented_radix_sort_implINS0_14default_configELb0EPKdPdPKlPlN2at6native12_GLOBAL__N_18offset_tEEE10hipError_tPvRmT1_PNSt15iterator_traitsIS12_E10value_typeET2_T3_PNS13_IS18_E10value_typeET4_jRbjT5_S1E_jjP12ihipStream_tbEUljE_ZNSN_ISO_Lb0ESQ_SR_ST_SU_SY_EESZ_S10_S11_S12_S16_S17_S18_S1B_S1C_jS1D_jS1E_S1E_jjS1G_bEUljE0_EEESZ_S10_S11_S18_S1C_S1E_T6_T7_T9_mT8_S1G_bDpT10_ENKUlT_T0_E_clISt17integral_constantIbLb1EES1T_IbLb0EEEEDaS1P_S1Q_EUlS1P_E_NS1_11comp_targetILNS1_3genE10ELNS1_11target_archE1200ELNS1_3gpuE4ELNS1_3repE0EEENS1_30default_config_static_selectorELNS0_4arch9wavefront6targetE0EEEvS12_,"axG",@progbits,_ZN7rocprim17ROCPRIM_400000_NS6detail17trampoline_kernelINS0_13select_configILj256ELj13ELNS0_17block_load_methodE3ELS4_3ELS4_3ELNS0_20block_scan_algorithmE0ELj4294967295EEENS1_25partition_config_selectorILNS1_17partition_subalgoE4EjNS0_10empty_typeEbEEZZNS1_14partition_implILS8_4ELb0ES6_15HIP_vector_typeIjLj2EENS0_17counting_iteratorIjlEEPS9_SG_NS0_5tupleIJPjSI_NS0_16reverse_iteratorISI_EEEEENSH_IJSG_SG_SG_EEES9_SI_JZNS1_25segmented_radix_sort_implINS0_14default_configELb0EPKdPdPKlPlN2at6native12_GLOBAL__N_18offset_tEEE10hipError_tPvRmT1_PNSt15iterator_traitsIS12_E10value_typeET2_T3_PNS13_IS18_E10value_typeET4_jRbjT5_S1E_jjP12ihipStream_tbEUljE_ZNSN_ISO_Lb0ESQ_SR_ST_SU_SY_EESZ_S10_S11_S12_S16_S17_S18_S1B_S1C_jS1D_jS1E_S1E_jjS1G_bEUljE0_EEESZ_S10_S11_S18_S1C_S1E_T6_T7_T9_mT8_S1G_bDpT10_ENKUlT_T0_E_clISt17integral_constantIbLb1EES1T_IbLb0EEEEDaS1P_S1Q_EUlS1P_E_NS1_11comp_targetILNS1_3genE10ELNS1_11target_archE1200ELNS1_3gpuE4ELNS1_3repE0EEENS1_30default_config_static_selectorELNS0_4arch9wavefront6targetE0EEEvS12_,comdat
.Lfunc_end1178:
	.size	_ZN7rocprim17ROCPRIM_400000_NS6detail17trampoline_kernelINS0_13select_configILj256ELj13ELNS0_17block_load_methodE3ELS4_3ELS4_3ELNS0_20block_scan_algorithmE0ELj4294967295EEENS1_25partition_config_selectorILNS1_17partition_subalgoE4EjNS0_10empty_typeEbEEZZNS1_14partition_implILS8_4ELb0ES6_15HIP_vector_typeIjLj2EENS0_17counting_iteratorIjlEEPS9_SG_NS0_5tupleIJPjSI_NS0_16reverse_iteratorISI_EEEEENSH_IJSG_SG_SG_EEES9_SI_JZNS1_25segmented_radix_sort_implINS0_14default_configELb0EPKdPdPKlPlN2at6native12_GLOBAL__N_18offset_tEEE10hipError_tPvRmT1_PNSt15iterator_traitsIS12_E10value_typeET2_T3_PNS13_IS18_E10value_typeET4_jRbjT5_S1E_jjP12ihipStream_tbEUljE_ZNSN_ISO_Lb0ESQ_SR_ST_SU_SY_EESZ_S10_S11_S12_S16_S17_S18_S1B_S1C_jS1D_jS1E_S1E_jjS1G_bEUljE0_EEESZ_S10_S11_S18_S1C_S1E_T6_T7_T9_mT8_S1G_bDpT10_ENKUlT_T0_E_clISt17integral_constantIbLb1EES1T_IbLb0EEEEDaS1P_S1Q_EUlS1P_E_NS1_11comp_targetILNS1_3genE10ELNS1_11target_archE1200ELNS1_3gpuE4ELNS1_3repE0EEENS1_30default_config_static_selectorELNS0_4arch9wavefront6targetE0EEEvS12_, .Lfunc_end1178-_ZN7rocprim17ROCPRIM_400000_NS6detail17trampoline_kernelINS0_13select_configILj256ELj13ELNS0_17block_load_methodE3ELS4_3ELS4_3ELNS0_20block_scan_algorithmE0ELj4294967295EEENS1_25partition_config_selectorILNS1_17partition_subalgoE4EjNS0_10empty_typeEbEEZZNS1_14partition_implILS8_4ELb0ES6_15HIP_vector_typeIjLj2EENS0_17counting_iteratorIjlEEPS9_SG_NS0_5tupleIJPjSI_NS0_16reverse_iteratorISI_EEEEENSH_IJSG_SG_SG_EEES9_SI_JZNS1_25segmented_radix_sort_implINS0_14default_configELb0EPKdPdPKlPlN2at6native12_GLOBAL__N_18offset_tEEE10hipError_tPvRmT1_PNSt15iterator_traitsIS12_E10value_typeET2_T3_PNS13_IS18_E10value_typeET4_jRbjT5_S1E_jjP12ihipStream_tbEUljE_ZNSN_ISO_Lb0ESQ_SR_ST_SU_SY_EESZ_S10_S11_S12_S16_S17_S18_S1B_S1C_jS1D_jS1E_S1E_jjS1G_bEUljE0_EEESZ_S10_S11_S18_S1C_S1E_T6_T7_T9_mT8_S1G_bDpT10_ENKUlT_T0_E_clISt17integral_constantIbLb1EES1T_IbLb0EEEEDaS1P_S1Q_EUlS1P_E_NS1_11comp_targetILNS1_3genE10ELNS1_11target_archE1200ELNS1_3gpuE4ELNS1_3repE0EEENS1_30default_config_static_selectorELNS0_4arch9wavefront6targetE0EEEvS12_
                                        ; -- End function
	.set _ZN7rocprim17ROCPRIM_400000_NS6detail17trampoline_kernelINS0_13select_configILj256ELj13ELNS0_17block_load_methodE3ELS4_3ELS4_3ELNS0_20block_scan_algorithmE0ELj4294967295EEENS1_25partition_config_selectorILNS1_17partition_subalgoE4EjNS0_10empty_typeEbEEZZNS1_14partition_implILS8_4ELb0ES6_15HIP_vector_typeIjLj2EENS0_17counting_iteratorIjlEEPS9_SG_NS0_5tupleIJPjSI_NS0_16reverse_iteratorISI_EEEEENSH_IJSG_SG_SG_EEES9_SI_JZNS1_25segmented_radix_sort_implINS0_14default_configELb0EPKdPdPKlPlN2at6native12_GLOBAL__N_18offset_tEEE10hipError_tPvRmT1_PNSt15iterator_traitsIS12_E10value_typeET2_T3_PNS13_IS18_E10value_typeET4_jRbjT5_S1E_jjP12ihipStream_tbEUljE_ZNSN_ISO_Lb0ESQ_SR_ST_SU_SY_EESZ_S10_S11_S12_S16_S17_S18_S1B_S1C_jS1D_jS1E_S1E_jjS1G_bEUljE0_EEESZ_S10_S11_S18_S1C_S1E_T6_T7_T9_mT8_S1G_bDpT10_ENKUlT_T0_E_clISt17integral_constantIbLb1EES1T_IbLb0EEEEDaS1P_S1Q_EUlS1P_E_NS1_11comp_targetILNS1_3genE10ELNS1_11target_archE1200ELNS1_3gpuE4ELNS1_3repE0EEENS1_30default_config_static_selectorELNS0_4arch9wavefront6targetE0EEEvS12_.num_vgpr, 0
	.set _ZN7rocprim17ROCPRIM_400000_NS6detail17trampoline_kernelINS0_13select_configILj256ELj13ELNS0_17block_load_methodE3ELS4_3ELS4_3ELNS0_20block_scan_algorithmE0ELj4294967295EEENS1_25partition_config_selectorILNS1_17partition_subalgoE4EjNS0_10empty_typeEbEEZZNS1_14partition_implILS8_4ELb0ES6_15HIP_vector_typeIjLj2EENS0_17counting_iteratorIjlEEPS9_SG_NS0_5tupleIJPjSI_NS0_16reverse_iteratorISI_EEEEENSH_IJSG_SG_SG_EEES9_SI_JZNS1_25segmented_radix_sort_implINS0_14default_configELb0EPKdPdPKlPlN2at6native12_GLOBAL__N_18offset_tEEE10hipError_tPvRmT1_PNSt15iterator_traitsIS12_E10value_typeET2_T3_PNS13_IS18_E10value_typeET4_jRbjT5_S1E_jjP12ihipStream_tbEUljE_ZNSN_ISO_Lb0ESQ_SR_ST_SU_SY_EESZ_S10_S11_S12_S16_S17_S18_S1B_S1C_jS1D_jS1E_S1E_jjS1G_bEUljE0_EEESZ_S10_S11_S18_S1C_S1E_T6_T7_T9_mT8_S1G_bDpT10_ENKUlT_T0_E_clISt17integral_constantIbLb1EES1T_IbLb0EEEEDaS1P_S1Q_EUlS1P_E_NS1_11comp_targetILNS1_3genE10ELNS1_11target_archE1200ELNS1_3gpuE4ELNS1_3repE0EEENS1_30default_config_static_selectorELNS0_4arch9wavefront6targetE0EEEvS12_.num_agpr, 0
	.set _ZN7rocprim17ROCPRIM_400000_NS6detail17trampoline_kernelINS0_13select_configILj256ELj13ELNS0_17block_load_methodE3ELS4_3ELS4_3ELNS0_20block_scan_algorithmE0ELj4294967295EEENS1_25partition_config_selectorILNS1_17partition_subalgoE4EjNS0_10empty_typeEbEEZZNS1_14partition_implILS8_4ELb0ES6_15HIP_vector_typeIjLj2EENS0_17counting_iteratorIjlEEPS9_SG_NS0_5tupleIJPjSI_NS0_16reverse_iteratorISI_EEEEENSH_IJSG_SG_SG_EEES9_SI_JZNS1_25segmented_radix_sort_implINS0_14default_configELb0EPKdPdPKlPlN2at6native12_GLOBAL__N_18offset_tEEE10hipError_tPvRmT1_PNSt15iterator_traitsIS12_E10value_typeET2_T3_PNS13_IS18_E10value_typeET4_jRbjT5_S1E_jjP12ihipStream_tbEUljE_ZNSN_ISO_Lb0ESQ_SR_ST_SU_SY_EESZ_S10_S11_S12_S16_S17_S18_S1B_S1C_jS1D_jS1E_S1E_jjS1G_bEUljE0_EEESZ_S10_S11_S18_S1C_S1E_T6_T7_T9_mT8_S1G_bDpT10_ENKUlT_T0_E_clISt17integral_constantIbLb1EES1T_IbLb0EEEEDaS1P_S1Q_EUlS1P_E_NS1_11comp_targetILNS1_3genE10ELNS1_11target_archE1200ELNS1_3gpuE4ELNS1_3repE0EEENS1_30default_config_static_selectorELNS0_4arch9wavefront6targetE0EEEvS12_.numbered_sgpr, 0
	.set _ZN7rocprim17ROCPRIM_400000_NS6detail17trampoline_kernelINS0_13select_configILj256ELj13ELNS0_17block_load_methodE3ELS4_3ELS4_3ELNS0_20block_scan_algorithmE0ELj4294967295EEENS1_25partition_config_selectorILNS1_17partition_subalgoE4EjNS0_10empty_typeEbEEZZNS1_14partition_implILS8_4ELb0ES6_15HIP_vector_typeIjLj2EENS0_17counting_iteratorIjlEEPS9_SG_NS0_5tupleIJPjSI_NS0_16reverse_iteratorISI_EEEEENSH_IJSG_SG_SG_EEES9_SI_JZNS1_25segmented_radix_sort_implINS0_14default_configELb0EPKdPdPKlPlN2at6native12_GLOBAL__N_18offset_tEEE10hipError_tPvRmT1_PNSt15iterator_traitsIS12_E10value_typeET2_T3_PNS13_IS18_E10value_typeET4_jRbjT5_S1E_jjP12ihipStream_tbEUljE_ZNSN_ISO_Lb0ESQ_SR_ST_SU_SY_EESZ_S10_S11_S12_S16_S17_S18_S1B_S1C_jS1D_jS1E_S1E_jjS1G_bEUljE0_EEESZ_S10_S11_S18_S1C_S1E_T6_T7_T9_mT8_S1G_bDpT10_ENKUlT_T0_E_clISt17integral_constantIbLb1EES1T_IbLb0EEEEDaS1P_S1Q_EUlS1P_E_NS1_11comp_targetILNS1_3genE10ELNS1_11target_archE1200ELNS1_3gpuE4ELNS1_3repE0EEENS1_30default_config_static_selectorELNS0_4arch9wavefront6targetE0EEEvS12_.num_named_barrier, 0
	.set _ZN7rocprim17ROCPRIM_400000_NS6detail17trampoline_kernelINS0_13select_configILj256ELj13ELNS0_17block_load_methodE3ELS4_3ELS4_3ELNS0_20block_scan_algorithmE0ELj4294967295EEENS1_25partition_config_selectorILNS1_17partition_subalgoE4EjNS0_10empty_typeEbEEZZNS1_14partition_implILS8_4ELb0ES6_15HIP_vector_typeIjLj2EENS0_17counting_iteratorIjlEEPS9_SG_NS0_5tupleIJPjSI_NS0_16reverse_iteratorISI_EEEEENSH_IJSG_SG_SG_EEES9_SI_JZNS1_25segmented_radix_sort_implINS0_14default_configELb0EPKdPdPKlPlN2at6native12_GLOBAL__N_18offset_tEEE10hipError_tPvRmT1_PNSt15iterator_traitsIS12_E10value_typeET2_T3_PNS13_IS18_E10value_typeET4_jRbjT5_S1E_jjP12ihipStream_tbEUljE_ZNSN_ISO_Lb0ESQ_SR_ST_SU_SY_EESZ_S10_S11_S12_S16_S17_S18_S1B_S1C_jS1D_jS1E_S1E_jjS1G_bEUljE0_EEESZ_S10_S11_S18_S1C_S1E_T6_T7_T9_mT8_S1G_bDpT10_ENKUlT_T0_E_clISt17integral_constantIbLb1EES1T_IbLb0EEEEDaS1P_S1Q_EUlS1P_E_NS1_11comp_targetILNS1_3genE10ELNS1_11target_archE1200ELNS1_3gpuE4ELNS1_3repE0EEENS1_30default_config_static_selectorELNS0_4arch9wavefront6targetE0EEEvS12_.private_seg_size, 0
	.set _ZN7rocprim17ROCPRIM_400000_NS6detail17trampoline_kernelINS0_13select_configILj256ELj13ELNS0_17block_load_methodE3ELS4_3ELS4_3ELNS0_20block_scan_algorithmE0ELj4294967295EEENS1_25partition_config_selectorILNS1_17partition_subalgoE4EjNS0_10empty_typeEbEEZZNS1_14partition_implILS8_4ELb0ES6_15HIP_vector_typeIjLj2EENS0_17counting_iteratorIjlEEPS9_SG_NS0_5tupleIJPjSI_NS0_16reverse_iteratorISI_EEEEENSH_IJSG_SG_SG_EEES9_SI_JZNS1_25segmented_radix_sort_implINS0_14default_configELb0EPKdPdPKlPlN2at6native12_GLOBAL__N_18offset_tEEE10hipError_tPvRmT1_PNSt15iterator_traitsIS12_E10value_typeET2_T3_PNS13_IS18_E10value_typeET4_jRbjT5_S1E_jjP12ihipStream_tbEUljE_ZNSN_ISO_Lb0ESQ_SR_ST_SU_SY_EESZ_S10_S11_S12_S16_S17_S18_S1B_S1C_jS1D_jS1E_S1E_jjS1G_bEUljE0_EEESZ_S10_S11_S18_S1C_S1E_T6_T7_T9_mT8_S1G_bDpT10_ENKUlT_T0_E_clISt17integral_constantIbLb1EES1T_IbLb0EEEEDaS1P_S1Q_EUlS1P_E_NS1_11comp_targetILNS1_3genE10ELNS1_11target_archE1200ELNS1_3gpuE4ELNS1_3repE0EEENS1_30default_config_static_selectorELNS0_4arch9wavefront6targetE0EEEvS12_.uses_vcc, 0
	.set _ZN7rocprim17ROCPRIM_400000_NS6detail17trampoline_kernelINS0_13select_configILj256ELj13ELNS0_17block_load_methodE3ELS4_3ELS4_3ELNS0_20block_scan_algorithmE0ELj4294967295EEENS1_25partition_config_selectorILNS1_17partition_subalgoE4EjNS0_10empty_typeEbEEZZNS1_14partition_implILS8_4ELb0ES6_15HIP_vector_typeIjLj2EENS0_17counting_iteratorIjlEEPS9_SG_NS0_5tupleIJPjSI_NS0_16reverse_iteratorISI_EEEEENSH_IJSG_SG_SG_EEES9_SI_JZNS1_25segmented_radix_sort_implINS0_14default_configELb0EPKdPdPKlPlN2at6native12_GLOBAL__N_18offset_tEEE10hipError_tPvRmT1_PNSt15iterator_traitsIS12_E10value_typeET2_T3_PNS13_IS18_E10value_typeET4_jRbjT5_S1E_jjP12ihipStream_tbEUljE_ZNSN_ISO_Lb0ESQ_SR_ST_SU_SY_EESZ_S10_S11_S12_S16_S17_S18_S1B_S1C_jS1D_jS1E_S1E_jjS1G_bEUljE0_EEESZ_S10_S11_S18_S1C_S1E_T6_T7_T9_mT8_S1G_bDpT10_ENKUlT_T0_E_clISt17integral_constantIbLb1EES1T_IbLb0EEEEDaS1P_S1Q_EUlS1P_E_NS1_11comp_targetILNS1_3genE10ELNS1_11target_archE1200ELNS1_3gpuE4ELNS1_3repE0EEENS1_30default_config_static_selectorELNS0_4arch9wavefront6targetE0EEEvS12_.uses_flat_scratch, 0
	.set _ZN7rocprim17ROCPRIM_400000_NS6detail17trampoline_kernelINS0_13select_configILj256ELj13ELNS0_17block_load_methodE3ELS4_3ELS4_3ELNS0_20block_scan_algorithmE0ELj4294967295EEENS1_25partition_config_selectorILNS1_17partition_subalgoE4EjNS0_10empty_typeEbEEZZNS1_14partition_implILS8_4ELb0ES6_15HIP_vector_typeIjLj2EENS0_17counting_iteratorIjlEEPS9_SG_NS0_5tupleIJPjSI_NS0_16reverse_iteratorISI_EEEEENSH_IJSG_SG_SG_EEES9_SI_JZNS1_25segmented_radix_sort_implINS0_14default_configELb0EPKdPdPKlPlN2at6native12_GLOBAL__N_18offset_tEEE10hipError_tPvRmT1_PNSt15iterator_traitsIS12_E10value_typeET2_T3_PNS13_IS18_E10value_typeET4_jRbjT5_S1E_jjP12ihipStream_tbEUljE_ZNSN_ISO_Lb0ESQ_SR_ST_SU_SY_EESZ_S10_S11_S12_S16_S17_S18_S1B_S1C_jS1D_jS1E_S1E_jjS1G_bEUljE0_EEESZ_S10_S11_S18_S1C_S1E_T6_T7_T9_mT8_S1G_bDpT10_ENKUlT_T0_E_clISt17integral_constantIbLb1EES1T_IbLb0EEEEDaS1P_S1Q_EUlS1P_E_NS1_11comp_targetILNS1_3genE10ELNS1_11target_archE1200ELNS1_3gpuE4ELNS1_3repE0EEENS1_30default_config_static_selectorELNS0_4arch9wavefront6targetE0EEEvS12_.has_dyn_sized_stack, 0
	.set _ZN7rocprim17ROCPRIM_400000_NS6detail17trampoline_kernelINS0_13select_configILj256ELj13ELNS0_17block_load_methodE3ELS4_3ELS4_3ELNS0_20block_scan_algorithmE0ELj4294967295EEENS1_25partition_config_selectorILNS1_17partition_subalgoE4EjNS0_10empty_typeEbEEZZNS1_14partition_implILS8_4ELb0ES6_15HIP_vector_typeIjLj2EENS0_17counting_iteratorIjlEEPS9_SG_NS0_5tupleIJPjSI_NS0_16reverse_iteratorISI_EEEEENSH_IJSG_SG_SG_EEES9_SI_JZNS1_25segmented_radix_sort_implINS0_14default_configELb0EPKdPdPKlPlN2at6native12_GLOBAL__N_18offset_tEEE10hipError_tPvRmT1_PNSt15iterator_traitsIS12_E10value_typeET2_T3_PNS13_IS18_E10value_typeET4_jRbjT5_S1E_jjP12ihipStream_tbEUljE_ZNSN_ISO_Lb0ESQ_SR_ST_SU_SY_EESZ_S10_S11_S12_S16_S17_S18_S1B_S1C_jS1D_jS1E_S1E_jjS1G_bEUljE0_EEESZ_S10_S11_S18_S1C_S1E_T6_T7_T9_mT8_S1G_bDpT10_ENKUlT_T0_E_clISt17integral_constantIbLb1EES1T_IbLb0EEEEDaS1P_S1Q_EUlS1P_E_NS1_11comp_targetILNS1_3genE10ELNS1_11target_archE1200ELNS1_3gpuE4ELNS1_3repE0EEENS1_30default_config_static_selectorELNS0_4arch9wavefront6targetE0EEEvS12_.has_recursion, 0
	.set _ZN7rocprim17ROCPRIM_400000_NS6detail17trampoline_kernelINS0_13select_configILj256ELj13ELNS0_17block_load_methodE3ELS4_3ELS4_3ELNS0_20block_scan_algorithmE0ELj4294967295EEENS1_25partition_config_selectorILNS1_17partition_subalgoE4EjNS0_10empty_typeEbEEZZNS1_14partition_implILS8_4ELb0ES6_15HIP_vector_typeIjLj2EENS0_17counting_iteratorIjlEEPS9_SG_NS0_5tupleIJPjSI_NS0_16reverse_iteratorISI_EEEEENSH_IJSG_SG_SG_EEES9_SI_JZNS1_25segmented_radix_sort_implINS0_14default_configELb0EPKdPdPKlPlN2at6native12_GLOBAL__N_18offset_tEEE10hipError_tPvRmT1_PNSt15iterator_traitsIS12_E10value_typeET2_T3_PNS13_IS18_E10value_typeET4_jRbjT5_S1E_jjP12ihipStream_tbEUljE_ZNSN_ISO_Lb0ESQ_SR_ST_SU_SY_EESZ_S10_S11_S12_S16_S17_S18_S1B_S1C_jS1D_jS1E_S1E_jjS1G_bEUljE0_EEESZ_S10_S11_S18_S1C_S1E_T6_T7_T9_mT8_S1G_bDpT10_ENKUlT_T0_E_clISt17integral_constantIbLb1EES1T_IbLb0EEEEDaS1P_S1Q_EUlS1P_E_NS1_11comp_targetILNS1_3genE10ELNS1_11target_archE1200ELNS1_3gpuE4ELNS1_3repE0EEENS1_30default_config_static_selectorELNS0_4arch9wavefront6targetE0EEEvS12_.has_indirect_call, 0
	.section	.AMDGPU.csdata,"",@progbits
; Kernel info:
; codeLenInByte = 4
; TotalNumSgprs: 0
; NumVgprs: 0
; ScratchSize: 0
; MemoryBound: 0
; FloatMode: 240
; IeeeMode: 1
; LDSByteSize: 0 bytes/workgroup (compile time only)
; SGPRBlocks: 0
; VGPRBlocks: 0
; NumSGPRsForWavesPerEU: 1
; NumVGPRsForWavesPerEU: 1
; Occupancy: 16
; WaveLimiterHint : 0
; COMPUTE_PGM_RSRC2:SCRATCH_EN: 0
; COMPUTE_PGM_RSRC2:USER_SGPR: 2
; COMPUTE_PGM_RSRC2:TRAP_HANDLER: 0
; COMPUTE_PGM_RSRC2:TGID_X_EN: 1
; COMPUTE_PGM_RSRC2:TGID_Y_EN: 0
; COMPUTE_PGM_RSRC2:TGID_Z_EN: 0
; COMPUTE_PGM_RSRC2:TIDIG_COMP_CNT: 0
	.section	.text._ZN7rocprim17ROCPRIM_400000_NS6detail17trampoline_kernelINS0_13select_configILj256ELj13ELNS0_17block_load_methodE3ELS4_3ELS4_3ELNS0_20block_scan_algorithmE0ELj4294967295EEENS1_25partition_config_selectorILNS1_17partition_subalgoE4EjNS0_10empty_typeEbEEZZNS1_14partition_implILS8_4ELb0ES6_15HIP_vector_typeIjLj2EENS0_17counting_iteratorIjlEEPS9_SG_NS0_5tupleIJPjSI_NS0_16reverse_iteratorISI_EEEEENSH_IJSG_SG_SG_EEES9_SI_JZNS1_25segmented_radix_sort_implINS0_14default_configELb0EPKdPdPKlPlN2at6native12_GLOBAL__N_18offset_tEEE10hipError_tPvRmT1_PNSt15iterator_traitsIS12_E10value_typeET2_T3_PNS13_IS18_E10value_typeET4_jRbjT5_S1E_jjP12ihipStream_tbEUljE_ZNSN_ISO_Lb0ESQ_SR_ST_SU_SY_EESZ_S10_S11_S12_S16_S17_S18_S1B_S1C_jS1D_jS1E_S1E_jjS1G_bEUljE0_EEESZ_S10_S11_S18_S1C_S1E_T6_T7_T9_mT8_S1G_bDpT10_ENKUlT_T0_E_clISt17integral_constantIbLb1EES1T_IbLb0EEEEDaS1P_S1Q_EUlS1P_E_NS1_11comp_targetILNS1_3genE9ELNS1_11target_archE1100ELNS1_3gpuE3ELNS1_3repE0EEENS1_30default_config_static_selectorELNS0_4arch9wavefront6targetE0EEEvS12_,"axG",@progbits,_ZN7rocprim17ROCPRIM_400000_NS6detail17trampoline_kernelINS0_13select_configILj256ELj13ELNS0_17block_load_methodE3ELS4_3ELS4_3ELNS0_20block_scan_algorithmE0ELj4294967295EEENS1_25partition_config_selectorILNS1_17partition_subalgoE4EjNS0_10empty_typeEbEEZZNS1_14partition_implILS8_4ELb0ES6_15HIP_vector_typeIjLj2EENS0_17counting_iteratorIjlEEPS9_SG_NS0_5tupleIJPjSI_NS0_16reverse_iteratorISI_EEEEENSH_IJSG_SG_SG_EEES9_SI_JZNS1_25segmented_radix_sort_implINS0_14default_configELb0EPKdPdPKlPlN2at6native12_GLOBAL__N_18offset_tEEE10hipError_tPvRmT1_PNSt15iterator_traitsIS12_E10value_typeET2_T3_PNS13_IS18_E10value_typeET4_jRbjT5_S1E_jjP12ihipStream_tbEUljE_ZNSN_ISO_Lb0ESQ_SR_ST_SU_SY_EESZ_S10_S11_S12_S16_S17_S18_S1B_S1C_jS1D_jS1E_S1E_jjS1G_bEUljE0_EEESZ_S10_S11_S18_S1C_S1E_T6_T7_T9_mT8_S1G_bDpT10_ENKUlT_T0_E_clISt17integral_constantIbLb1EES1T_IbLb0EEEEDaS1P_S1Q_EUlS1P_E_NS1_11comp_targetILNS1_3genE9ELNS1_11target_archE1100ELNS1_3gpuE3ELNS1_3repE0EEENS1_30default_config_static_selectorELNS0_4arch9wavefront6targetE0EEEvS12_,comdat
	.globl	_ZN7rocprim17ROCPRIM_400000_NS6detail17trampoline_kernelINS0_13select_configILj256ELj13ELNS0_17block_load_methodE3ELS4_3ELS4_3ELNS0_20block_scan_algorithmE0ELj4294967295EEENS1_25partition_config_selectorILNS1_17partition_subalgoE4EjNS0_10empty_typeEbEEZZNS1_14partition_implILS8_4ELb0ES6_15HIP_vector_typeIjLj2EENS0_17counting_iteratorIjlEEPS9_SG_NS0_5tupleIJPjSI_NS0_16reverse_iteratorISI_EEEEENSH_IJSG_SG_SG_EEES9_SI_JZNS1_25segmented_radix_sort_implINS0_14default_configELb0EPKdPdPKlPlN2at6native12_GLOBAL__N_18offset_tEEE10hipError_tPvRmT1_PNSt15iterator_traitsIS12_E10value_typeET2_T3_PNS13_IS18_E10value_typeET4_jRbjT5_S1E_jjP12ihipStream_tbEUljE_ZNSN_ISO_Lb0ESQ_SR_ST_SU_SY_EESZ_S10_S11_S12_S16_S17_S18_S1B_S1C_jS1D_jS1E_S1E_jjS1G_bEUljE0_EEESZ_S10_S11_S18_S1C_S1E_T6_T7_T9_mT8_S1G_bDpT10_ENKUlT_T0_E_clISt17integral_constantIbLb1EES1T_IbLb0EEEEDaS1P_S1Q_EUlS1P_E_NS1_11comp_targetILNS1_3genE9ELNS1_11target_archE1100ELNS1_3gpuE3ELNS1_3repE0EEENS1_30default_config_static_selectorELNS0_4arch9wavefront6targetE0EEEvS12_ ; -- Begin function _ZN7rocprim17ROCPRIM_400000_NS6detail17trampoline_kernelINS0_13select_configILj256ELj13ELNS0_17block_load_methodE3ELS4_3ELS4_3ELNS0_20block_scan_algorithmE0ELj4294967295EEENS1_25partition_config_selectorILNS1_17partition_subalgoE4EjNS0_10empty_typeEbEEZZNS1_14partition_implILS8_4ELb0ES6_15HIP_vector_typeIjLj2EENS0_17counting_iteratorIjlEEPS9_SG_NS0_5tupleIJPjSI_NS0_16reverse_iteratorISI_EEEEENSH_IJSG_SG_SG_EEES9_SI_JZNS1_25segmented_radix_sort_implINS0_14default_configELb0EPKdPdPKlPlN2at6native12_GLOBAL__N_18offset_tEEE10hipError_tPvRmT1_PNSt15iterator_traitsIS12_E10value_typeET2_T3_PNS13_IS18_E10value_typeET4_jRbjT5_S1E_jjP12ihipStream_tbEUljE_ZNSN_ISO_Lb0ESQ_SR_ST_SU_SY_EESZ_S10_S11_S12_S16_S17_S18_S1B_S1C_jS1D_jS1E_S1E_jjS1G_bEUljE0_EEESZ_S10_S11_S18_S1C_S1E_T6_T7_T9_mT8_S1G_bDpT10_ENKUlT_T0_E_clISt17integral_constantIbLb1EES1T_IbLb0EEEEDaS1P_S1Q_EUlS1P_E_NS1_11comp_targetILNS1_3genE9ELNS1_11target_archE1100ELNS1_3gpuE3ELNS1_3repE0EEENS1_30default_config_static_selectorELNS0_4arch9wavefront6targetE0EEEvS12_
	.p2align	8
	.type	_ZN7rocprim17ROCPRIM_400000_NS6detail17trampoline_kernelINS0_13select_configILj256ELj13ELNS0_17block_load_methodE3ELS4_3ELS4_3ELNS0_20block_scan_algorithmE0ELj4294967295EEENS1_25partition_config_selectorILNS1_17partition_subalgoE4EjNS0_10empty_typeEbEEZZNS1_14partition_implILS8_4ELb0ES6_15HIP_vector_typeIjLj2EENS0_17counting_iteratorIjlEEPS9_SG_NS0_5tupleIJPjSI_NS0_16reverse_iteratorISI_EEEEENSH_IJSG_SG_SG_EEES9_SI_JZNS1_25segmented_radix_sort_implINS0_14default_configELb0EPKdPdPKlPlN2at6native12_GLOBAL__N_18offset_tEEE10hipError_tPvRmT1_PNSt15iterator_traitsIS12_E10value_typeET2_T3_PNS13_IS18_E10value_typeET4_jRbjT5_S1E_jjP12ihipStream_tbEUljE_ZNSN_ISO_Lb0ESQ_SR_ST_SU_SY_EESZ_S10_S11_S12_S16_S17_S18_S1B_S1C_jS1D_jS1E_S1E_jjS1G_bEUljE0_EEESZ_S10_S11_S18_S1C_S1E_T6_T7_T9_mT8_S1G_bDpT10_ENKUlT_T0_E_clISt17integral_constantIbLb1EES1T_IbLb0EEEEDaS1P_S1Q_EUlS1P_E_NS1_11comp_targetILNS1_3genE9ELNS1_11target_archE1100ELNS1_3gpuE3ELNS1_3repE0EEENS1_30default_config_static_selectorELNS0_4arch9wavefront6targetE0EEEvS12_,@function
_ZN7rocprim17ROCPRIM_400000_NS6detail17trampoline_kernelINS0_13select_configILj256ELj13ELNS0_17block_load_methodE3ELS4_3ELS4_3ELNS0_20block_scan_algorithmE0ELj4294967295EEENS1_25partition_config_selectorILNS1_17partition_subalgoE4EjNS0_10empty_typeEbEEZZNS1_14partition_implILS8_4ELb0ES6_15HIP_vector_typeIjLj2EENS0_17counting_iteratorIjlEEPS9_SG_NS0_5tupleIJPjSI_NS0_16reverse_iteratorISI_EEEEENSH_IJSG_SG_SG_EEES9_SI_JZNS1_25segmented_radix_sort_implINS0_14default_configELb0EPKdPdPKlPlN2at6native12_GLOBAL__N_18offset_tEEE10hipError_tPvRmT1_PNSt15iterator_traitsIS12_E10value_typeET2_T3_PNS13_IS18_E10value_typeET4_jRbjT5_S1E_jjP12ihipStream_tbEUljE_ZNSN_ISO_Lb0ESQ_SR_ST_SU_SY_EESZ_S10_S11_S12_S16_S17_S18_S1B_S1C_jS1D_jS1E_S1E_jjS1G_bEUljE0_EEESZ_S10_S11_S18_S1C_S1E_T6_T7_T9_mT8_S1G_bDpT10_ENKUlT_T0_E_clISt17integral_constantIbLb1EES1T_IbLb0EEEEDaS1P_S1Q_EUlS1P_E_NS1_11comp_targetILNS1_3genE9ELNS1_11target_archE1100ELNS1_3gpuE3ELNS1_3repE0EEENS1_30default_config_static_selectorELNS0_4arch9wavefront6targetE0EEEvS12_: ; @_ZN7rocprim17ROCPRIM_400000_NS6detail17trampoline_kernelINS0_13select_configILj256ELj13ELNS0_17block_load_methodE3ELS4_3ELS4_3ELNS0_20block_scan_algorithmE0ELj4294967295EEENS1_25partition_config_selectorILNS1_17partition_subalgoE4EjNS0_10empty_typeEbEEZZNS1_14partition_implILS8_4ELb0ES6_15HIP_vector_typeIjLj2EENS0_17counting_iteratorIjlEEPS9_SG_NS0_5tupleIJPjSI_NS0_16reverse_iteratorISI_EEEEENSH_IJSG_SG_SG_EEES9_SI_JZNS1_25segmented_radix_sort_implINS0_14default_configELb0EPKdPdPKlPlN2at6native12_GLOBAL__N_18offset_tEEE10hipError_tPvRmT1_PNSt15iterator_traitsIS12_E10value_typeET2_T3_PNS13_IS18_E10value_typeET4_jRbjT5_S1E_jjP12ihipStream_tbEUljE_ZNSN_ISO_Lb0ESQ_SR_ST_SU_SY_EESZ_S10_S11_S12_S16_S17_S18_S1B_S1C_jS1D_jS1E_S1E_jjS1G_bEUljE0_EEESZ_S10_S11_S18_S1C_S1E_T6_T7_T9_mT8_S1G_bDpT10_ENKUlT_T0_E_clISt17integral_constantIbLb1EES1T_IbLb0EEEEDaS1P_S1Q_EUlS1P_E_NS1_11comp_targetILNS1_3genE9ELNS1_11target_archE1100ELNS1_3gpuE3ELNS1_3repE0EEENS1_30default_config_static_selectorELNS0_4arch9wavefront6targetE0EEEvS12_
; %bb.0:
	.section	.rodata,"a",@progbits
	.p2align	6, 0x0
	.amdhsa_kernel _ZN7rocprim17ROCPRIM_400000_NS6detail17trampoline_kernelINS0_13select_configILj256ELj13ELNS0_17block_load_methodE3ELS4_3ELS4_3ELNS0_20block_scan_algorithmE0ELj4294967295EEENS1_25partition_config_selectorILNS1_17partition_subalgoE4EjNS0_10empty_typeEbEEZZNS1_14partition_implILS8_4ELb0ES6_15HIP_vector_typeIjLj2EENS0_17counting_iteratorIjlEEPS9_SG_NS0_5tupleIJPjSI_NS0_16reverse_iteratorISI_EEEEENSH_IJSG_SG_SG_EEES9_SI_JZNS1_25segmented_radix_sort_implINS0_14default_configELb0EPKdPdPKlPlN2at6native12_GLOBAL__N_18offset_tEEE10hipError_tPvRmT1_PNSt15iterator_traitsIS12_E10value_typeET2_T3_PNS13_IS18_E10value_typeET4_jRbjT5_S1E_jjP12ihipStream_tbEUljE_ZNSN_ISO_Lb0ESQ_SR_ST_SU_SY_EESZ_S10_S11_S12_S16_S17_S18_S1B_S1C_jS1D_jS1E_S1E_jjS1G_bEUljE0_EEESZ_S10_S11_S18_S1C_S1E_T6_T7_T9_mT8_S1G_bDpT10_ENKUlT_T0_E_clISt17integral_constantIbLb1EES1T_IbLb0EEEEDaS1P_S1Q_EUlS1P_E_NS1_11comp_targetILNS1_3genE9ELNS1_11target_archE1100ELNS1_3gpuE3ELNS1_3repE0EEENS1_30default_config_static_selectorELNS0_4arch9wavefront6targetE0EEEvS12_
		.amdhsa_group_segment_fixed_size 0
		.amdhsa_private_segment_fixed_size 0
		.amdhsa_kernarg_size 176
		.amdhsa_user_sgpr_count 2
		.amdhsa_user_sgpr_dispatch_ptr 0
		.amdhsa_user_sgpr_queue_ptr 0
		.amdhsa_user_sgpr_kernarg_segment_ptr 1
		.amdhsa_user_sgpr_dispatch_id 0
		.amdhsa_user_sgpr_private_segment_size 0
		.amdhsa_wavefront_size32 1
		.amdhsa_uses_dynamic_stack 0
		.amdhsa_enable_private_segment 0
		.amdhsa_system_sgpr_workgroup_id_x 1
		.amdhsa_system_sgpr_workgroup_id_y 0
		.amdhsa_system_sgpr_workgroup_id_z 0
		.amdhsa_system_sgpr_workgroup_info 0
		.amdhsa_system_vgpr_workitem_id 0
		.amdhsa_next_free_vgpr 1
		.amdhsa_next_free_sgpr 1
		.amdhsa_reserve_vcc 0
		.amdhsa_float_round_mode_32 0
		.amdhsa_float_round_mode_16_64 0
		.amdhsa_float_denorm_mode_32 3
		.amdhsa_float_denorm_mode_16_64 3
		.amdhsa_fp16_overflow 0
		.amdhsa_workgroup_processor_mode 1
		.amdhsa_memory_ordered 1
		.amdhsa_forward_progress 1
		.amdhsa_inst_pref_size 0
		.amdhsa_round_robin_scheduling 0
		.amdhsa_exception_fp_ieee_invalid_op 0
		.amdhsa_exception_fp_denorm_src 0
		.amdhsa_exception_fp_ieee_div_zero 0
		.amdhsa_exception_fp_ieee_overflow 0
		.amdhsa_exception_fp_ieee_underflow 0
		.amdhsa_exception_fp_ieee_inexact 0
		.amdhsa_exception_int_div_zero 0
	.end_amdhsa_kernel
	.section	.text._ZN7rocprim17ROCPRIM_400000_NS6detail17trampoline_kernelINS0_13select_configILj256ELj13ELNS0_17block_load_methodE3ELS4_3ELS4_3ELNS0_20block_scan_algorithmE0ELj4294967295EEENS1_25partition_config_selectorILNS1_17partition_subalgoE4EjNS0_10empty_typeEbEEZZNS1_14partition_implILS8_4ELb0ES6_15HIP_vector_typeIjLj2EENS0_17counting_iteratorIjlEEPS9_SG_NS0_5tupleIJPjSI_NS0_16reverse_iteratorISI_EEEEENSH_IJSG_SG_SG_EEES9_SI_JZNS1_25segmented_radix_sort_implINS0_14default_configELb0EPKdPdPKlPlN2at6native12_GLOBAL__N_18offset_tEEE10hipError_tPvRmT1_PNSt15iterator_traitsIS12_E10value_typeET2_T3_PNS13_IS18_E10value_typeET4_jRbjT5_S1E_jjP12ihipStream_tbEUljE_ZNSN_ISO_Lb0ESQ_SR_ST_SU_SY_EESZ_S10_S11_S12_S16_S17_S18_S1B_S1C_jS1D_jS1E_S1E_jjS1G_bEUljE0_EEESZ_S10_S11_S18_S1C_S1E_T6_T7_T9_mT8_S1G_bDpT10_ENKUlT_T0_E_clISt17integral_constantIbLb1EES1T_IbLb0EEEEDaS1P_S1Q_EUlS1P_E_NS1_11comp_targetILNS1_3genE9ELNS1_11target_archE1100ELNS1_3gpuE3ELNS1_3repE0EEENS1_30default_config_static_selectorELNS0_4arch9wavefront6targetE0EEEvS12_,"axG",@progbits,_ZN7rocprim17ROCPRIM_400000_NS6detail17trampoline_kernelINS0_13select_configILj256ELj13ELNS0_17block_load_methodE3ELS4_3ELS4_3ELNS0_20block_scan_algorithmE0ELj4294967295EEENS1_25partition_config_selectorILNS1_17partition_subalgoE4EjNS0_10empty_typeEbEEZZNS1_14partition_implILS8_4ELb0ES6_15HIP_vector_typeIjLj2EENS0_17counting_iteratorIjlEEPS9_SG_NS0_5tupleIJPjSI_NS0_16reverse_iteratorISI_EEEEENSH_IJSG_SG_SG_EEES9_SI_JZNS1_25segmented_radix_sort_implINS0_14default_configELb0EPKdPdPKlPlN2at6native12_GLOBAL__N_18offset_tEEE10hipError_tPvRmT1_PNSt15iterator_traitsIS12_E10value_typeET2_T3_PNS13_IS18_E10value_typeET4_jRbjT5_S1E_jjP12ihipStream_tbEUljE_ZNSN_ISO_Lb0ESQ_SR_ST_SU_SY_EESZ_S10_S11_S12_S16_S17_S18_S1B_S1C_jS1D_jS1E_S1E_jjS1G_bEUljE0_EEESZ_S10_S11_S18_S1C_S1E_T6_T7_T9_mT8_S1G_bDpT10_ENKUlT_T0_E_clISt17integral_constantIbLb1EES1T_IbLb0EEEEDaS1P_S1Q_EUlS1P_E_NS1_11comp_targetILNS1_3genE9ELNS1_11target_archE1100ELNS1_3gpuE3ELNS1_3repE0EEENS1_30default_config_static_selectorELNS0_4arch9wavefront6targetE0EEEvS12_,comdat
.Lfunc_end1179:
	.size	_ZN7rocprim17ROCPRIM_400000_NS6detail17trampoline_kernelINS0_13select_configILj256ELj13ELNS0_17block_load_methodE3ELS4_3ELS4_3ELNS0_20block_scan_algorithmE0ELj4294967295EEENS1_25partition_config_selectorILNS1_17partition_subalgoE4EjNS0_10empty_typeEbEEZZNS1_14partition_implILS8_4ELb0ES6_15HIP_vector_typeIjLj2EENS0_17counting_iteratorIjlEEPS9_SG_NS0_5tupleIJPjSI_NS0_16reverse_iteratorISI_EEEEENSH_IJSG_SG_SG_EEES9_SI_JZNS1_25segmented_radix_sort_implINS0_14default_configELb0EPKdPdPKlPlN2at6native12_GLOBAL__N_18offset_tEEE10hipError_tPvRmT1_PNSt15iterator_traitsIS12_E10value_typeET2_T3_PNS13_IS18_E10value_typeET4_jRbjT5_S1E_jjP12ihipStream_tbEUljE_ZNSN_ISO_Lb0ESQ_SR_ST_SU_SY_EESZ_S10_S11_S12_S16_S17_S18_S1B_S1C_jS1D_jS1E_S1E_jjS1G_bEUljE0_EEESZ_S10_S11_S18_S1C_S1E_T6_T7_T9_mT8_S1G_bDpT10_ENKUlT_T0_E_clISt17integral_constantIbLb1EES1T_IbLb0EEEEDaS1P_S1Q_EUlS1P_E_NS1_11comp_targetILNS1_3genE9ELNS1_11target_archE1100ELNS1_3gpuE3ELNS1_3repE0EEENS1_30default_config_static_selectorELNS0_4arch9wavefront6targetE0EEEvS12_, .Lfunc_end1179-_ZN7rocprim17ROCPRIM_400000_NS6detail17trampoline_kernelINS0_13select_configILj256ELj13ELNS0_17block_load_methodE3ELS4_3ELS4_3ELNS0_20block_scan_algorithmE0ELj4294967295EEENS1_25partition_config_selectorILNS1_17partition_subalgoE4EjNS0_10empty_typeEbEEZZNS1_14partition_implILS8_4ELb0ES6_15HIP_vector_typeIjLj2EENS0_17counting_iteratorIjlEEPS9_SG_NS0_5tupleIJPjSI_NS0_16reverse_iteratorISI_EEEEENSH_IJSG_SG_SG_EEES9_SI_JZNS1_25segmented_radix_sort_implINS0_14default_configELb0EPKdPdPKlPlN2at6native12_GLOBAL__N_18offset_tEEE10hipError_tPvRmT1_PNSt15iterator_traitsIS12_E10value_typeET2_T3_PNS13_IS18_E10value_typeET4_jRbjT5_S1E_jjP12ihipStream_tbEUljE_ZNSN_ISO_Lb0ESQ_SR_ST_SU_SY_EESZ_S10_S11_S12_S16_S17_S18_S1B_S1C_jS1D_jS1E_S1E_jjS1G_bEUljE0_EEESZ_S10_S11_S18_S1C_S1E_T6_T7_T9_mT8_S1G_bDpT10_ENKUlT_T0_E_clISt17integral_constantIbLb1EES1T_IbLb0EEEEDaS1P_S1Q_EUlS1P_E_NS1_11comp_targetILNS1_3genE9ELNS1_11target_archE1100ELNS1_3gpuE3ELNS1_3repE0EEENS1_30default_config_static_selectorELNS0_4arch9wavefront6targetE0EEEvS12_
                                        ; -- End function
	.set _ZN7rocprim17ROCPRIM_400000_NS6detail17trampoline_kernelINS0_13select_configILj256ELj13ELNS0_17block_load_methodE3ELS4_3ELS4_3ELNS0_20block_scan_algorithmE0ELj4294967295EEENS1_25partition_config_selectorILNS1_17partition_subalgoE4EjNS0_10empty_typeEbEEZZNS1_14partition_implILS8_4ELb0ES6_15HIP_vector_typeIjLj2EENS0_17counting_iteratorIjlEEPS9_SG_NS0_5tupleIJPjSI_NS0_16reverse_iteratorISI_EEEEENSH_IJSG_SG_SG_EEES9_SI_JZNS1_25segmented_radix_sort_implINS0_14default_configELb0EPKdPdPKlPlN2at6native12_GLOBAL__N_18offset_tEEE10hipError_tPvRmT1_PNSt15iterator_traitsIS12_E10value_typeET2_T3_PNS13_IS18_E10value_typeET4_jRbjT5_S1E_jjP12ihipStream_tbEUljE_ZNSN_ISO_Lb0ESQ_SR_ST_SU_SY_EESZ_S10_S11_S12_S16_S17_S18_S1B_S1C_jS1D_jS1E_S1E_jjS1G_bEUljE0_EEESZ_S10_S11_S18_S1C_S1E_T6_T7_T9_mT8_S1G_bDpT10_ENKUlT_T0_E_clISt17integral_constantIbLb1EES1T_IbLb0EEEEDaS1P_S1Q_EUlS1P_E_NS1_11comp_targetILNS1_3genE9ELNS1_11target_archE1100ELNS1_3gpuE3ELNS1_3repE0EEENS1_30default_config_static_selectorELNS0_4arch9wavefront6targetE0EEEvS12_.num_vgpr, 0
	.set _ZN7rocprim17ROCPRIM_400000_NS6detail17trampoline_kernelINS0_13select_configILj256ELj13ELNS0_17block_load_methodE3ELS4_3ELS4_3ELNS0_20block_scan_algorithmE0ELj4294967295EEENS1_25partition_config_selectorILNS1_17partition_subalgoE4EjNS0_10empty_typeEbEEZZNS1_14partition_implILS8_4ELb0ES6_15HIP_vector_typeIjLj2EENS0_17counting_iteratorIjlEEPS9_SG_NS0_5tupleIJPjSI_NS0_16reverse_iteratorISI_EEEEENSH_IJSG_SG_SG_EEES9_SI_JZNS1_25segmented_radix_sort_implINS0_14default_configELb0EPKdPdPKlPlN2at6native12_GLOBAL__N_18offset_tEEE10hipError_tPvRmT1_PNSt15iterator_traitsIS12_E10value_typeET2_T3_PNS13_IS18_E10value_typeET4_jRbjT5_S1E_jjP12ihipStream_tbEUljE_ZNSN_ISO_Lb0ESQ_SR_ST_SU_SY_EESZ_S10_S11_S12_S16_S17_S18_S1B_S1C_jS1D_jS1E_S1E_jjS1G_bEUljE0_EEESZ_S10_S11_S18_S1C_S1E_T6_T7_T9_mT8_S1G_bDpT10_ENKUlT_T0_E_clISt17integral_constantIbLb1EES1T_IbLb0EEEEDaS1P_S1Q_EUlS1P_E_NS1_11comp_targetILNS1_3genE9ELNS1_11target_archE1100ELNS1_3gpuE3ELNS1_3repE0EEENS1_30default_config_static_selectorELNS0_4arch9wavefront6targetE0EEEvS12_.num_agpr, 0
	.set _ZN7rocprim17ROCPRIM_400000_NS6detail17trampoline_kernelINS0_13select_configILj256ELj13ELNS0_17block_load_methodE3ELS4_3ELS4_3ELNS0_20block_scan_algorithmE0ELj4294967295EEENS1_25partition_config_selectorILNS1_17partition_subalgoE4EjNS0_10empty_typeEbEEZZNS1_14partition_implILS8_4ELb0ES6_15HIP_vector_typeIjLj2EENS0_17counting_iteratorIjlEEPS9_SG_NS0_5tupleIJPjSI_NS0_16reverse_iteratorISI_EEEEENSH_IJSG_SG_SG_EEES9_SI_JZNS1_25segmented_radix_sort_implINS0_14default_configELb0EPKdPdPKlPlN2at6native12_GLOBAL__N_18offset_tEEE10hipError_tPvRmT1_PNSt15iterator_traitsIS12_E10value_typeET2_T3_PNS13_IS18_E10value_typeET4_jRbjT5_S1E_jjP12ihipStream_tbEUljE_ZNSN_ISO_Lb0ESQ_SR_ST_SU_SY_EESZ_S10_S11_S12_S16_S17_S18_S1B_S1C_jS1D_jS1E_S1E_jjS1G_bEUljE0_EEESZ_S10_S11_S18_S1C_S1E_T6_T7_T9_mT8_S1G_bDpT10_ENKUlT_T0_E_clISt17integral_constantIbLb1EES1T_IbLb0EEEEDaS1P_S1Q_EUlS1P_E_NS1_11comp_targetILNS1_3genE9ELNS1_11target_archE1100ELNS1_3gpuE3ELNS1_3repE0EEENS1_30default_config_static_selectorELNS0_4arch9wavefront6targetE0EEEvS12_.numbered_sgpr, 0
	.set _ZN7rocprim17ROCPRIM_400000_NS6detail17trampoline_kernelINS0_13select_configILj256ELj13ELNS0_17block_load_methodE3ELS4_3ELS4_3ELNS0_20block_scan_algorithmE0ELj4294967295EEENS1_25partition_config_selectorILNS1_17partition_subalgoE4EjNS0_10empty_typeEbEEZZNS1_14partition_implILS8_4ELb0ES6_15HIP_vector_typeIjLj2EENS0_17counting_iteratorIjlEEPS9_SG_NS0_5tupleIJPjSI_NS0_16reverse_iteratorISI_EEEEENSH_IJSG_SG_SG_EEES9_SI_JZNS1_25segmented_radix_sort_implINS0_14default_configELb0EPKdPdPKlPlN2at6native12_GLOBAL__N_18offset_tEEE10hipError_tPvRmT1_PNSt15iterator_traitsIS12_E10value_typeET2_T3_PNS13_IS18_E10value_typeET4_jRbjT5_S1E_jjP12ihipStream_tbEUljE_ZNSN_ISO_Lb0ESQ_SR_ST_SU_SY_EESZ_S10_S11_S12_S16_S17_S18_S1B_S1C_jS1D_jS1E_S1E_jjS1G_bEUljE0_EEESZ_S10_S11_S18_S1C_S1E_T6_T7_T9_mT8_S1G_bDpT10_ENKUlT_T0_E_clISt17integral_constantIbLb1EES1T_IbLb0EEEEDaS1P_S1Q_EUlS1P_E_NS1_11comp_targetILNS1_3genE9ELNS1_11target_archE1100ELNS1_3gpuE3ELNS1_3repE0EEENS1_30default_config_static_selectorELNS0_4arch9wavefront6targetE0EEEvS12_.num_named_barrier, 0
	.set _ZN7rocprim17ROCPRIM_400000_NS6detail17trampoline_kernelINS0_13select_configILj256ELj13ELNS0_17block_load_methodE3ELS4_3ELS4_3ELNS0_20block_scan_algorithmE0ELj4294967295EEENS1_25partition_config_selectorILNS1_17partition_subalgoE4EjNS0_10empty_typeEbEEZZNS1_14partition_implILS8_4ELb0ES6_15HIP_vector_typeIjLj2EENS0_17counting_iteratorIjlEEPS9_SG_NS0_5tupleIJPjSI_NS0_16reverse_iteratorISI_EEEEENSH_IJSG_SG_SG_EEES9_SI_JZNS1_25segmented_radix_sort_implINS0_14default_configELb0EPKdPdPKlPlN2at6native12_GLOBAL__N_18offset_tEEE10hipError_tPvRmT1_PNSt15iterator_traitsIS12_E10value_typeET2_T3_PNS13_IS18_E10value_typeET4_jRbjT5_S1E_jjP12ihipStream_tbEUljE_ZNSN_ISO_Lb0ESQ_SR_ST_SU_SY_EESZ_S10_S11_S12_S16_S17_S18_S1B_S1C_jS1D_jS1E_S1E_jjS1G_bEUljE0_EEESZ_S10_S11_S18_S1C_S1E_T6_T7_T9_mT8_S1G_bDpT10_ENKUlT_T0_E_clISt17integral_constantIbLb1EES1T_IbLb0EEEEDaS1P_S1Q_EUlS1P_E_NS1_11comp_targetILNS1_3genE9ELNS1_11target_archE1100ELNS1_3gpuE3ELNS1_3repE0EEENS1_30default_config_static_selectorELNS0_4arch9wavefront6targetE0EEEvS12_.private_seg_size, 0
	.set _ZN7rocprim17ROCPRIM_400000_NS6detail17trampoline_kernelINS0_13select_configILj256ELj13ELNS0_17block_load_methodE3ELS4_3ELS4_3ELNS0_20block_scan_algorithmE0ELj4294967295EEENS1_25partition_config_selectorILNS1_17partition_subalgoE4EjNS0_10empty_typeEbEEZZNS1_14partition_implILS8_4ELb0ES6_15HIP_vector_typeIjLj2EENS0_17counting_iteratorIjlEEPS9_SG_NS0_5tupleIJPjSI_NS0_16reverse_iteratorISI_EEEEENSH_IJSG_SG_SG_EEES9_SI_JZNS1_25segmented_radix_sort_implINS0_14default_configELb0EPKdPdPKlPlN2at6native12_GLOBAL__N_18offset_tEEE10hipError_tPvRmT1_PNSt15iterator_traitsIS12_E10value_typeET2_T3_PNS13_IS18_E10value_typeET4_jRbjT5_S1E_jjP12ihipStream_tbEUljE_ZNSN_ISO_Lb0ESQ_SR_ST_SU_SY_EESZ_S10_S11_S12_S16_S17_S18_S1B_S1C_jS1D_jS1E_S1E_jjS1G_bEUljE0_EEESZ_S10_S11_S18_S1C_S1E_T6_T7_T9_mT8_S1G_bDpT10_ENKUlT_T0_E_clISt17integral_constantIbLb1EES1T_IbLb0EEEEDaS1P_S1Q_EUlS1P_E_NS1_11comp_targetILNS1_3genE9ELNS1_11target_archE1100ELNS1_3gpuE3ELNS1_3repE0EEENS1_30default_config_static_selectorELNS0_4arch9wavefront6targetE0EEEvS12_.uses_vcc, 0
	.set _ZN7rocprim17ROCPRIM_400000_NS6detail17trampoline_kernelINS0_13select_configILj256ELj13ELNS0_17block_load_methodE3ELS4_3ELS4_3ELNS0_20block_scan_algorithmE0ELj4294967295EEENS1_25partition_config_selectorILNS1_17partition_subalgoE4EjNS0_10empty_typeEbEEZZNS1_14partition_implILS8_4ELb0ES6_15HIP_vector_typeIjLj2EENS0_17counting_iteratorIjlEEPS9_SG_NS0_5tupleIJPjSI_NS0_16reverse_iteratorISI_EEEEENSH_IJSG_SG_SG_EEES9_SI_JZNS1_25segmented_radix_sort_implINS0_14default_configELb0EPKdPdPKlPlN2at6native12_GLOBAL__N_18offset_tEEE10hipError_tPvRmT1_PNSt15iterator_traitsIS12_E10value_typeET2_T3_PNS13_IS18_E10value_typeET4_jRbjT5_S1E_jjP12ihipStream_tbEUljE_ZNSN_ISO_Lb0ESQ_SR_ST_SU_SY_EESZ_S10_S11_S12_S16_S17_S18_S1B_S1C_jS1D_jS1E_S1E_jjS1G_bEUljE0_EEESZ_S10_S11_S18_S1C_S1E_T6_T7_T9_mT8_S1G_bDpT10_ENKUlT_T0_E_clISt17integral_constantIbLb1EES1T_IbLb0EEEEDaS1P_S1Q_EUlS1P_E_NS1_11comp_targetILNS1_3genE9ELNS1_11target_archE1100ELNS1_3gpuE3ELNS1_3repE0EEENS1_30default_config_static_selectorELNS0_4arch9wavefront6targetE0EEEvS12_.uses_flat_scratch, 0
	.set _ZN7rocprim17ROCPRIM_400000_NS6detail17trampoline_kernelINS0_13select_configILj256ELj13ELNS0_17block_load_methodE3ELS4_3ELS4_3ELNS0_20block_scan_algorithmE0ELj4294967295EEENS1_25partition_config_selectorILNS1_17partition_subalgoE4EjNS0_10empty_typeEbEEZZNS1_14partition_implILS8_4ELb0ES6_15HIP_vector_typeIjLj2EENS0_17counting_iteratorIjlEEPS9_SG_NS0_5tupleIJPjSI_NS0_16reverse_iteratorISI_EEEEENSH_IJSG_SG_SG_EEES9_SI_JZNS1_25segmented_radix_sort_implINS0_14default_configELb0EPKdPdPKlPlN2at6native12_GLOBAL__N_18offset_tEEE10hipError_tPvRmT1_PNSt15iterator_traitsIS12_E10value_typeET2_T3_PNS13_IS18_E10value_typeET4_jRbjT5_S1E_jjP12ihipStream_tbEUljE_ZNSN_ISO_Lb0ESQ_SR_ST_SU_SY_EESZ_S10_S11_S12_S16_S17_S18_S1B_S1C_jS1D_jS1E_S1E_jjS1G_bEUljE0_EEESZ_S10_S11_S18_S1C_S1E_T6_T7_T9_mT8_S1G_bDpT10_ENKUlT_T0_E_clISt17integral_constantIbLb1EES1T_IbLb0EEEEDaS1P_S1Q_EUlS1P_E_NS1_11comp_targetILNS1_3genE9ELNS1_11target_archE1100ELNS1_3gpuE3ELNS1_3repE0EEENS1_30default_config_static_selectorELNS0_4arch9wavefront6targetE0EEEvS12_.has_dyn_sized_stack, 0
	.set _ZN7rocprim17ROCPRIM_400000_NS6detail17trampoline_kernelINS0_13select_configILj256ELj13ELNS0_17block_load_methodE3ELS4_3ELS4_3ELNS0_20block_scan_algorithmE0ELj4294967295EEENS1_25partition_config_selectorILNS1_17partition_subalgoE4EjNS0_10empty_typeEbEEZZNS1_14partition_implILS8_4ELb0ES6_15HIP_vector_typeIjLj2EENS0_17counting_iteratorIjlEEPS9_SG_NS0_5tupleIJPjSI_NS0_16reverse_iteratorISI_EEEEENSH_IJSG_SG_SG_EEES9_SI_JZNS1_25segmented_radix_sort_implINS0_14default_configELb0EPKdPdPKlPlN2at6native12_GLOBAL__N_18offset_tEEE10hipError_tPvRmT1_PNSt15iterator_traitsIS12_E10value_typeET2_T3_PNS13_IS18_E10value_typeET4_jRbjT5_S1E_jjP12ihipStream_tbEUljE_ZNSN_ISO_Lb0ESQ_SR_ST_SU_SY_EESZ_S10_S11_S12_S16_S17_S18_S1B_S1C_jS1D_jS1E_S1E_jjS1G_bEUljE0_EEESZ_S10_S11_S18_S1C_S1E_T6_T7_T9_mT8_S1G_bDpT10_ENKUlT_T0_E_clISt17integral_constantIbLb1EES1T_IbLb0EEEEDaS1P_S1Q_EUlS1P_E_NS1_11comp_targetILNS1_3genE9ELNS1_11target_archE1100ELNS1_3gpuE3ELNS1_3repE0EEENS1_30default_config_static_selectorELNS0_4arch9wavefront6targetE0EEEvS12_.has_recursion, 0
	.set _ZN7rocprim17ROCPRIM_400000_NS6detail17trampoline_kernelINS0_13select_configILj256ELj13ELNS0_17block_load_methodE3ELS4_3ELS4_3ELNS0_20block_scan_algorithmE0ELj4294967295EEENS1_25partition_config_selectorILNS1_17partition_subalgoE4EjNS0_10empty_typeEbEEZZNS1_14partition_implILS8_4ELb0ES6_15HIP_vector_typeIjLj2EENS0_17counting_iteratorIjlEEPS9_SG_NS0_5tupleIJPjSI_NS0_16reverse_iteratorISI_EEEEENSH_IJSG_SG_SG_EEES9_SI_JZNS1_25segmented_radix_sort_implINS0_14default_configELb0EPKdPdPKlPlN2at6native12_GLOBAL__N_18offset_tEEE10hipError_tPvRmT1_PNSt15iterator_traitsIS12_E10value_typeET2_T3_PNS13_IS18_E10value_typeET4_jRbjT5_S1E_jjP12ihipStream_tbEUljE_ZNSN_ISO_Lb0ESQ_SR_ST_SU_SY_EESZ_S10_S11_S12_S16_S17_S18_S1B_S1C_jS1D_jS1E_S1E_jjS1G_bEUljE0_EEESZ_S10_S11_S18_S1C_S1E_T6_T7_T9_mT8_S1G_bDpT10_ENKUlT_T0_E_clISt17integral_constantIbLb1EES1T_IbLb0EEEEDaS1P_S1Q_EUlS1P_E_NS1_11comp_targetILNS1_3genE9ELNS1_11target_archE1100ELNS1_3gpuE3ELNS1_3repE0EEENS1_30default_config_static_selectorELNS0_4arch9wavefront6targetE0EEEvS12_.has_indirect_call, 0
	.section	.AMDGPU.csdata,"",@progbits
; Kernel info:
; codeLenInByte = 0
; TotalNumSgprs: 0
; NumVgprs: 0
; ScratchSize: 0
; MemoryBound: 0
; FloatMode: 240
; IeeeMode: 1
; LDSByteSize: 0 bytes/workgroup (compile time only)
; SGPRBlocks: 0
; VGPRBlocks: 0
; NumSGPRsForWavesPerEU: 1
; NumVGPRsForWavesPerEU: 1
; Occupancy: 16
; WaveLimiterHint : 0
; COMPUTE_PGM_RSRC2:SCRATCH_EN: 0
; COMPUTE_PGM_RSRC2:USER_SGPR: 2
; COMPUTE_PGM_RSRC2:TRAP_HANDLER: 0
; COMPUTE_PGM_RSRC2:TGID_X_EN: 1
; COMPUTE_PGM_RSRC2:TGID_Y_EN: 0
; COMPUTE_PGM_RSRC2:TGID_Z_EN: 0
; COMPUTE_PGM_RSRC2:TIDIG_COMP_CNT: 0
	.section	.text._ZN7rocprim17ROCPRIM_400000_NS6detail17trampoline_kernelINS0_13select_configILj256ELj13ELNS0_17block_load_methodE3ELS4_3ELS4_3ELNS0_20block_scan_algorithmE0ELj4294967295EEENS1_25partition_config_selectorILNS1_17partition_subalgoE4EjNS0_10empty_typeEbEEZZNS1_14partition_implILS8_4ELb0ES6_15HIP_vector_typeIjLj2EENS0_17counting_iteratorIjlEEPS9_SG_NS0_5tupleIJPjSI_NS0_16reverse_iteratorISI_EEEEENSH_IJSG_SG_SG_EEES9_SI_JZNS1_25segmented_radix_sort_implINS0_14default_configELb0EPKdPdPKlPlN2at6native12_GLOBAL__N_18offset_tEEE10hipError_tPvRmT1_PNSt15iterator_traitsIS12_E10value_typeET2_T3_PNS13_IS18_E10value_typeET4_jRbjT5_S1E_jjP12ihipStream_tbEUljE_ZNSN_ISO_Lb0ESQ_SR_ST_SU_SY_EESZ_S10_S11_S12_S16_S17_S18_S1B_S1C_jS1D_jS1E_S1E_jjS1G_bEUljE0_EEESZ_S10_S11_S18_S1C_S1E_T6_T7_T9_mT8_S1G_bDpT10_ENKUlT_T0_E_clISt17integral_constantIbLb1EES1T_IbLb0EEEEDaS1P_S1Q_EUlS1P_E_NS1_11comp_targetILNS1_3genE8ELNS1_11target_archE1030ELNS1_3gpuE2ELNS1_3repE0EEENS1_30default_config_static_selectorELNS0_4arch9wavefront6targetE0EEEvS12_,"axG",@progbits,_ZN7rocprim17ROCPRIM_400000_NS6detail17trampoline_kernelINS0_13select_configILj256ELj13ELNS0_17block_load_methodE3ELS4_3ELS4_3ELNS0_20block_scan_algorithmE0ELj4294967295EEENS1_25partition_config_selectorILNS1_17partition_subalgoE4EjNS0_10empty_typeEbEEZZNS1_14partition_implILS8_4ELb0ES6_15HIP_vector_typeIjLj2EENS0_17counting_iteratorIjlEEPS9_SG_NS0_5tupleIJPjSI_NS0_16reverse_iteratorISI_EEEEENSH_IJSG_SG_SG_EEES9_SI_JZNS1_25segmented_radix_sort_implINS0_14default_configELb0EPKdPdPKlPlN2at6native12_GLOBAL__N_18offset_tEEE10hipError_tPvRmT1_PNSt15iterator_traitsIS12_E10value_typeET2_T3_PNS13_IS18_E10value_typeET4_jRbjT5_S1E_jjP12ihipStream_tbEUljE_ZNSN_ISO_Lb0ESQ_SR_ST_SU_SY_EESZ_S10_S11_S12_S16_S17_S18_S1B_S1C_jS1D_jS1E_S1E_jjS1G_bEUljE0_EEESZ_S10_S11_S18_S1C_S1E_T6_T7_T9_mT8_S1G_bDpT10_ENKUlT_T0_E_clISt17integral_constantIbLb1EES1T_IbLb0EEEEDaS1P_S1Q_EUlS1P_E_NS1_11comp_targetILNS1_3genE8ELNS1_11target_archE1030ELNS1_3gpuE2ELNS1_3repE0EEENS1_30default_config_static_selectorELNS0_4arch9wavefront6targetE0EEEvS12_,comdat
	.globl	_ZN7rocprim17ROCPRIM_400000_NS6detail17trampoline_kernelINS0_13select_configILj256ELj13ELNS0_17block_load_methodE3ELS4_3ELS4_3ELNS0_20block_scan_algorithmE0ELj4294967295EEENS1_25partition_config_selectorILNS1_17partition_subalgoE4EjNS0_10empty_typeEbEEZZNS1_14partition_implILS8_4ELb0ES6_15HIP_vector_typeIjLj2EENS0_17counting_iteratorIjlEEPS9_SG_NS0_5tupleIJPjSI_NS0_16reverse_iteratorISI_EEEEENSH_IJSG_SG_SG_EEES9_SI_JZNS1_25segmented_radix_sort_implINS0_14default_configELb0EPKdPdPKlPlN2at6native12_GLOBAL__N_18offset_tEEE10hipError_tPvRmT1_PNSt15iterator_traitsIS12_E10value_typeET2_T3_PNS13_IS18_E10value_typeET4_jRbjT5_S1E_jjP12ihipStream_tbEUljE_ZNSN_ISO_Lb0ESQ_SR_ST_SU_SY_EESZ_S10_S11_S12_S16_S17_S18_S1B_S1C_jS1D_jS1E_S1E_jjS1G_bEUljE0_EEESZ_S10_S11_S18_S1C_S1E_T6_T7_T9_mT8_S1G_bDpT10_ENKUlT_T0_E_clISt17integral_constantIbLb1EES1T_IbLb0EEEEDaS1P_S1Q_EUlS1P_E_NS1_11comp_targetILNS1_3genE8ELNS1_11target_archE1030ELNS1_3gpuE2ELNS1_3repE0EEENS1_30default_config_static_selectorELNS0_4arch9wavefront6targetE0EEEvS12_ ; -- Begin function _ZN7rocprim17ROCPRIM_400000_NS6detail17trampoline_kernelINS0_13select_configILj256ELj13ELNS0_17block_load_methodE3ELS4_3ELS4_3ELNS0_20block_scan_algorithmE0ELj4294967295EEENS1_25partition_config_selectorILNS1_17partition_subalgoE4EjNS0_10empty_typeEbEEZZNS1_14partition_implILS8_4ELb0ES6_15HIP_vector_typeIjLj2EENS0_17counting_iteratorIjlEEPS9_SG_NS0_5tupleIJPjSI_NS0_16reverse_iteratorISI_EEEEENSH_IJSG_SG_SG_EEES9_SI_JZNS1_25segmented_radix_sort_implINS0_14default_configELb0EPKdPdPKlPlN2at6native12_GLOBAL__N_18offset_tEEE10hipError_tPvRmT1_PNSt15iterator_traitsIS12_E10value_typeET2_T3_PNS13_IS18_E10value_typeET4_jRbjT5_S1E_jjP12ihipStream_tbEUljE_ZNSN_ISO_Lb0ESQ_SR_ST_SU_SY_EESZ_S10_S11_S12_S16_S17_S18_S1B_S1C_jS1D_jS1E_S1E_jjS1G_bEUljE0_EEESZ_S10_S11_S18_S1C_S1E_T6_T7_T9_mT8_S1G_bDpT10_ENKUlT_T0_E_clISt17integral_constantIbLb1EES1T_IbLb0EEEEDaS1P_S1Q_EUlS1P_E_NS1_11comp_targetILNS1_3genE8ELNS1_11target_archE1030ELNS1_3gpuE2ELNS1_3repE0EEENS1_30default_config_static_selectorELNS0_4arch9wavefront6targetE0EEEvS12_
	.p2align	8
	.type	_ZN7rocprim17ROCPRIM_400000_NS6detail17trampoline_kernelINS0_13select_configILj256ELj13ELNS0_17block_load_methodE3ELS4_3ELS4_3ELNS0_20block_scan_algorithmE0ELj4294967295EEENS1_25partition_config_selectorILNS1_17partition_subalgoE4EjNS0_10empty_typeEbEEZZNS1_14partition_implILS8_4ELb0ES6_15HIP_vector_typeIjLj2EENS0_17counting_iteratorIjlEEPS9_SG_NS0_5tupleIJPjSI_NS0_16reverse_iteratorISI_EEEEENSH_IJSG_SG_SG_EEES9_SI_JZNS1_25segmented_radix_sort_implINS0_14default_configELb0EPKdPdPKlPlN2at6native12_GLOBAL__N_18offset_tEEE10hipError_tPvRmT1_PNSt15iterator_traitsIS12_E10value_typeET2_T3_PNS13_IS18_E10value_typeET4_jRbjT5_S1E_jjP12ihipStream_tbEUljE_ZNSN_ISO_Lb0ESQ_SR_ST_SU_SY_EESZ_S10_S11_S12_S16_S17_S18_S1B_S1C_jS1D_jS1E_S1E_jjS1G_bEUljE0_EEESZ_S10_S11_S18_S1C_S1E_T6_T7_T9_mT8_S1G_bDpT10_ENKUlT_T0_E_clISt17integral_constantIbLb1EES1T_IbLb0EEEEDaS1P_S1Q_EUlS1P_E_NS1_11comp_targetILNS1_3genE8ELNS1_11target_archE1030ELNS1_3gpuE2ELNS1_3repE0EEENS1_30default_config_static_selectorELNS0_4arch9wavefront6targetE0EEEvS12_,@function
_ZN7rocprim17ROCPRIM_400000_NS6detail17trampoline_kernelINS0_13select_configILj256ELj13ELNS0_17block_load_methodE3ELS4_3ELS4_3ELNS0_20block_scan_algorithmE0ELj4294967295EEENS1_25partition_config_selectorILNS1_17partition_subalgoE4EjNS0_10empty_typeEbEEZZNS1_14partition_implILS8_4ELb0ES6_15HIP_vector_typeIjLj2EENS0_17counting_iteratorIjlEEPS9_SG_NS0_5tupleIJPjSI_NS0_16reverse_iteratorISI_EEEEENSH_IJSG_SG_SG_EEES9_SI_JZNS1_25segmented_radix_sort_implINS0_14default_configELb0EPKdPdPKlPlN2at6native12_GLOBAL__N_18offset_tEEE10hipError_tPvRmT1_PNSt15iterator_traitsIS12_E10value_typeET2_T3_PNS13_IS18_E10value_typeET4_jRbjT5_S1E_jjP12ihipStream_tbEUljE_ZNSN_ISO_Lb0ESQ_SR_ST_SU_SY_EESZ_S10_S11_S12_S16_S17_S18_S1B_S1C_jS1D_jS1E_S1E_jjS1G_bEUljE0_EEESZ_S10_S11_S18_S1C_S1E_T6_T7_T9_mT8_S1G_bDpT10_ENKUlT_T0_E_clISt17integral_constantIbLb1EES1T_IbLb0EEEEDaS1P_S1Q_EUlS1P_E_NS1_11comp_targetILNS1_3genE8ELNS1_11target_archE1030ELNS1_3gpuE2ELNS1_3repE0EEENS1_30default_config_static_selectorELNS0_4arch9wavefront6targetE0EEEvS12_: ; @_ZN7rocprim17ROCPRIM_400000_NS6detail17trampoline_kernelINS0_13select_configILj256ELj13ELNS0_17block_load_methodE3ELS4_3ELS4_3ELNS0_20block_scan_algorithmE0ELj4294967295EEENS1_25partition_config_selectorILNS1_17partition_subalgoE4EjNS0_10empty_typeEbEEZZNS1_14partition_implILS8_4ELb0ES6_15HIP_vector_typeIjLj2EENS0_17counting_iteratorIjlEEPS9_SG_NS0_5tupleIJPjSI_NS0_16reverse_iteratorISI_EEEEENSH_IJSG_SG_SG_EEES9_SI_JZNS1_25segmented_radix_sort_implINS0_14default_configELb0EPKdPdPKlPlN2at6native12_GLOBAL__N_18offset_tEEE10hipError_tPvRmT1_PNSt15iterator_traitsIS12_E10value_typeET2_T3_PNS13_IS18_E10value_typeET4_jRbjT5_S1E_jjP12ihipStream_tbEUljE_ZNSN_ISO_Lb0ESQ_SR_ST_SU_SY_EESZ_S10_S11_S12_S16_S17_S18_S1B_S1C_jS1D_jS1E_S1E_jjS1G_bEUljE0_EEESZ_S10_S11_S18_S1C_S1E_T6_T7_T9_mT8_S1G_bDpT10_ENKUlT_T0_E_clISt17integral_constantIbLb1EES1T_IbLb0EEEEDaS1P_S1Q_EUlS1P_E_NS1_11comp_targetILNS1_3genE8ELNS1_11target_archE1030ELNS1_3gpuE2ELNS1_3repE0EEENS1_30default_config_static_selectorELNS0_4arch9wavefront6targetE0EEEvS12_
; %bb.0:
	.section	.rodata,"a",@progbits
	.p2align	6, 0x0
	.amdhsa_kernel _ZN7rocprim17ROCPRIM_400000_NS6detail17trampoline_kernelINS0_13select_configILj256ELj13ELNS0_17block_load_methodE3ELS4_3ELS4_3ELNS0_20block_scan_algorithmE0ELj4294967295EEENS1_25partition_config_selectorILNS1_17partition_subalgoE4EjNS0_10empty_typeEbEEZZNS1_14partition_implILS8_4ELb0ES6_15HIP_vector_typeIjLj2EENS0_17counting_iteratorIjlEEPS9_SG_NS0_5tupleIJPjSI_NS0_16reverse_iteratorISI_EEEEENSH_IJSG_SG_SG_EEES9_SI_JZNS1_25segmented_radix_sort_implINS0_14default_configELb0EPKdPdPKlPlN2at6native12_GLOBAL__N_18offset_tEEE10hipError_tPvRmT1_PNSt15iterator_traitsIS12_E10value_typeET2_T3_PNS13_IS18_E10value_typeET4_jRbjT5_S1E_jjP12ihipStream_tbEUljE_ZNSN_ISO_Lb0ESQ_SR_ST_SU_SY_EESZ_S10_S11_S12_S16_S17_S18_S1B_S1C_jS1D_jS1E_S1E_jjS1G_bEUljE0_EEESZ_S10_S11_S18_S1C_S1E_T6_T7_T9_mT8_S1G_bDpT10_ENKUlT_T0_E_clISt17integral_constantIbLb1EES1T_IbLb0EEEEDaS1P_S1Q_EUlS1P_E_NS1_11comp_targetILNS1_3genE8ELNS1_11target_archE1030ELNS1_3gpuE2ELNS1_3repE0EEENS1_30default_config_static_selectorELNS0_4arch9wavefront6targetE0EEEvS12_
		.amdhsa_group_segment_fixed_size 0
		.amdhsa_private_segment_fixed_size 0
		.amdhsa_kernarg_size 176
		.amdhsa_user_sgpr_count 2
		.amdhsa_user_sgpr_dispatch_ptr 0
		.amdhsa_user_sgpr_queue_ptr 0
		.amdhsa_user_sgpr_kernarg_segment_ptr 1
		.amdhsa_user_sgpr_dispatch_id 0
		.amdhsa_user_sgpr_private_segment_size 0
		.amdhsa_wavefront_size32 1
		.amdhsa_uses_dynamic_stack 0
		.amdhsa_enable_private_segment 0
		.amdhsa_system_sgpr_workgroup_id_x 1
		.amdhsa_system_sgpr_workgroup_id_y 0
		.amdhsa_system_sgpr_workgroup_id_z 0
		.amdhsa_system_sgpr_workgroup_info 0
		.amdhsa_system_vgpr_workitem_id 0
		.amdhsa_next_free_vgpr 1
		.amdhsa_next_free_sgpr 1
		.amdhsa_reserve_vcc 0
		.amdhsa_float_round_mode_32 0
		.amdhsa_float_round_mode_16_64 0
		.amdhsa_float_denorm_mode_32 3
		.amdhsa_float_denorm_mode_16_64 3
		.amdhsa_fp16_overflow 0
		.amdhsa_workgroup_processor_mode 1
		.amdhsa_memory_ordered 1
		.amdhsa_forward_progress 1
		.amdhsa_inst_pref_size 0
		.amdhsa_round_robin_scheduling 0
		.amdhsa_exception_fp_ieee_invalid_op 0
		.amdhsa_exception_fp_denorm_src 0
		.amdhsa_exception_fp_ieee_div_zero 0
		.amdhsa_exception_fp_ieee_overflow 0
		.amdhsa_exception_fp_ieee_underflow 0
		.amdhsa_exception_fp_ieee_inexact 0
		.amdhsa_exception_int_div_zero 0
	.end_amdhsa_kernel
	.section	.text._ZN7rocprim17ROCPRIM_400000_NS6detail17trampoline_kernelINS0_13select_configILj256ELj13ELNS0_17block_load_methodE3ELS4_3ELS4_3ELNS0_20block_scan_algorithmE0ELj4294967295EEENS1_25partition_config_selectorILNS1_17partition_subalgoE4EjNS0_10empty_typeEbEEZZNS1_14partition_implILS8_4ELb0ES6_15HIP_vector_typeIjLj2EENS0_17counting_iteratorIjlEEPS9_SG_NS0_5tupleIJPjSI_NS0_16reverse_iteratorISI_EEEEENSH_IJSG_SG_SG_EEES9_SI_JZNS1_25segmented_radix_sort_implINS0_14default_configELb0EPKdPdPKlPlN2at6native12_GLOBAL__N_18offset_tEEE10hipError_tPvRmT1_PNSt15iterator_traitsIS12_E10value_typeET2_T3_PNS13_IS18_E10value_typeET4_jRbjT5_S1E_jjP12ihipStream_tbEUljE_ZNSN_ISO_Lb0ESQ_SR_ST_SU_SY_EESZ_S10_S11_S12_S16_S17_S18_S1B_S1C_jS1D_jS1E_S1E_jjS1G_bEUljE0_EEESZ_S10_S11_S18_S1C_S1E_T6_T7_T9_mT8_S1G_bDpT10_ENKUlT_T0_E_clISt17integral_constantIbLb1EES1T_IbLb0EEEEDaS1P_S1Q_EUlS1P_E_NS1_11comp_targetILNS1_3genE8ELNS1_11target_archE1030ELNS1_3gpuE2ELNS1_3repE0EEENS1_30default_config_static_selectorELNS0_4arch9wavefront6targetE0EEEvS12_,"axG",@progbits,_ZN7rocprim17ROCPRIM_400000_NS6detail17trampoline_kernelINS0_13select_configILj256ELj13ELNS0_17block_load_methodE3ELS4_3ELS4_3ELNS0_20block_scan_algorithmE0ELj4294967295EEENS1_25partition_config_selectorILNS1_17partition_subalgoE4EjNS0_10empty_typeEbEEZZNS1_14partition_implILS8_4ELb0ES6_15HIP_vector_typeIjLj2EENS0_17counting_iteratorIjlEEPS9_SG_NS0_5tupleIJPjSI_NS0_16reverse_iteratorISI_EEEEENSH_IJSG_SG_SG_EEES9_SI_JZNS1_25segmented_radix_sort_implINS0_14default_configELb0EPKdPdPKlPlN2at6native12_GLOBAL__N_18offset_tEEE10hipError_tPvRmT1_PNSt15iterator_traitsIS12_E10value_typeET2_T3_PNS13_IS18_E10value_typeET4_jRbjT5_S1E_jjP12ihipStream_tbEUljE_ZNSN_ISO_Lb0ESQ_SR_ST_SU_SY_EESZ_S10_S11_S12_S16_S17_S18_S1B_S1C_jS1D_jS1E_S1E_jjS1G_bEUljE0_EEESZ_S10_S11_S18_S1C_S1E_T6_T7_T9_mT8_S1G_bDpT10_ENKUlT_T0_E_clISt17integral_constantIbLb1EES1T_IbLb0EEEEDaS1P_S1Q_EUlS1P_E_NS1_11comp_targetILNS1_3genE8ELNS1_11target_archE1030ELNS1_3gpuE2ELNS1_3repE0EEENS1_30default_config_static_selectorELNS0_4arch9wavefront6targetE0EEEvS12_,comdat
.Lfunc_end1180:
	.size	_ZN7rocprim17ROCPRIM_400000_NS6detail17trampoline_kernelINS0_13select_configILj256ELj13ELNS0_17block_load_methodE3ELS4_3ELS4_3ELNS0_20block_scan_algorithmE0ELj4294967295EEENS1_25partition_config_selectorILNS1_17partition_subalgoE4EjNS0_10empty_typeEbEEZZNS1_14partition_implILS8_4ELb0ES6_15HIP_vector_typeIjLj2EENS0_17counting_iteratorIjlEEPS9_SG_NS0_5tupleIJPjSI_NS0_16reverse_iteratorISI_EEEEENSH_IJSG_SG_SG_EEES9_SI_JZNS1_25segmented_radix_sort_implINS0_14default_configELb0EPKdPdPKlPlN2at6native12_GLOBAL__N_18offset_tEEE10hipError_tPvRmT1_PNSt15iterator_traitsIS12_E10value_typeET2_T3_PNS13_IS18_E10value_typeET4_jRbjT5_S1E_jjP12ihipStream_tbEUljE_ZNSN_ISO_Lb0ESQ_SR_ST_SU_SY_EESZ_S10_S11_S12_S16_S17_S18_S1B_S1C_jS1D_jS1E_S1E_jjS1G_bEUljE0_EEESZ_S10_S11_S18_S1C_S1E_T6_T7_T9_mT8_S1G_bDpT10_ENKUlT_T0_E_clISt17integral_constantIbLb1EES1T_IbLb0EEEEDaS1P_S1Q_EUlS1P_E_NS1_11comp_targetILNS1_3genE8ELNS1_11target_archE1030ELNS1_3gpuE2ELNS1_3repE0EEENS1_30default_config_static_selectorELNS0_4arch9wavefront6targetE0EEEvS12_, .Lfunc_end1180-_ZN7rocprim17ROCPRIM_400000_NS6detail17trampoline_kernelINS0_13select_configILj256ELj13ELNS0_17block_load_methodE3ELS4_3ELS4_3ELNS0_20block_scan_algorithmE0ELj4294967295EEENS1_25partition_config_selectorILNS1_17partition_subalgoE4EjNS0_10empty_typeEbEEZZNS1_14partition_implILS8_4ELb0ES6_15HIP_vector_typeIjLj2EENS0_17counting_iteratorIjlEEPS9_SG_NS0_5tupleIJPjSI_NS0_16reverse_iteratorISI_EEEEENSH_IJSG_SG_SG_EEES9_SI_JZNS1_25segmented_radix_sort_implINS0_14default_configELb0EPKdPdPKlPlN2at6native12_GLOBAL__N_18offset_tEEE10hipError_tPvRmT1_PNSt15iterator_traitsIS12_E10value_typeET2_T3_PNS13_IS18_E10value_typeET4_jRbjT5_S1E_jjP12ihipStream_tbEUljE_ZNSN_ISO_Lb0ESQ_SR_ST_SU_SY_EESZ_S10_S11_S12_S16_S17_S18_S1B_S1C_jS1D_jS1E_S1E_jjS1G_bEUljE0_EEESZ_S10_S11_S18_S1C_S1E_T6_T7_T9_mT8_S1G_bDpT10_ENKUlT_T0_E_clISt17integral_constantIbLb1EES1T_IbLb0EEEEDaS1P_S1Q_EUlS1P_E_NS1_11comp_targetILNS1_3genE8ELNS1_11target_archE1030ELNS1_3gpuE2ELNS1_3repE0EEENS1_30default_config_static_selectorELNS0_4arch9wavefront6targetE0EEEvS12_
                                        ; -- End function
	.set _ZN7rocprim17ROCPRIM_400000_NS6detail17trampoline_kernelINS0_13select_configILj256ELj13ELNS0_17block_load_methodE3ELS4_3ELS4_3ELNS0_20block_scan_algorithmE0ELj4294967295EEENS1_25partition_config_selectorILNS1_17partition_subalgoE4EjNS0_10empty_typeEbEEZZNS1_14partition_implILS8_4ELb0ES6_15HIP_vector_typeIjLj2EENS0_17counting_iteratorIjlEEPS9_SG_NS0_5tupleIJPjSI_NS0_16reverse_iteratorISI_EEEEENSH_IJSG_SG_SG_EEES9_SI_JZNS1_25segmented_radix_sort_implINS0_14default_configELb0EPKdPdPKlPlN2at6native12_GLOBAL__N_18offset_tEEE10hipError_tPvRmT1_PNSt15iterator_traitsIS12_E10value_typeET2_T3_PNS13_IS18_E10value_typeET4_jRbjT5_S1E_jjP12ihipStream_tbEUljE_ZNSN_ISO_Lb0ESQ_SR_ST_SU_SY_EESZ_S10_S11_S12_S16_S17_S18_S1B_S1C_jS1D_jS1E_S1E_jjS1G_bEUljE0_EEESZ_S10_S11_S18_S1C_S1E_T6_T7_T9_mT8_S1G_bDpT10_ENKUlT_T0_E_clISt17integral_constantIbLb1EES1T_IbLb0EEEEDaS1P_S1Q_EUlS1P_E_NS1_11comp_targetILNS1_3genE8ELNS1_11target_archE1030ELNS1_3gpuE2ELNS1_3repE0EEENS1_30default_config_static_selectorELNS0_4arch9wavefront6targetE0EEEvS12_.num_vgpr, 0
	.set _ZN7rocprim17ROCPRIM_400000_NS6detail17trampoline_kernelINS0_13select_configILj256ELj13ELNS0_17block_load_methodE3ELS4_3ELS4_3ELNS0_20block_scan_algorithmE0ELj4294967295EEENS1_25partition_config_selectorILNS1_17partition_subalgoE4EjNS0_10empty_typeEbEEZZNS1_14partition_implILS8_4ELb0ES6_15HIP_vector_typeIjLj2EENS0_17counting_iteratorIjlEEPS9_SG_NS0_5tupleIJPjSI_NS0_16reverse_iteratorISI_EEEEENSH_IJSG_SG_SG_EEES9_SI_JZNS1_25segmented_radix_sort_implINS0_14default_configELb0EPKdPdPKlPlN2at6native12_GLOBAL__N_18offset_tEEE10hipError_tPvRmT1_PNSt15iterator_traitsIS12_E10value_typeET2_T3_PNS13_IS18_E10value_typeET4_jRbjT5_S1E_jjP12ihipStream_tbEUljE_ZNSN_ISO_Lb0ESQ_SR_ST_SU_SY_EESZ_S10_S11_S12_S16_S17_S18_S1B_S1C_jS1D_jS1E_S1E_jjS1G_bEUljE0_EEESZ_S10_S11_S18_S1C_S1E_T6_T7_T9_mT8_S1G_bDpT10_ENKUlT_T0_E_clISt17integral_constantIbLb1EES1T_IbLb0EEEEDaS1P_S1Q_EUlS1P_E_NS1_11comp_targetILNS1_3genE8ELNS1_11target_archE1030ELNS1_3gpuE2ELNS1_3repE0EEENS1_30default_config_static_selectorELNS0_4arch9wavefront6targetE0EEEvS12_.num_agpr, 0
	.set _ZN7rocprim17ROCPRIM_400000_NS6detail17trampoline_kernelINS0_13select_configILj256ELj13ELNS0_17block_load_methodE3ELS4_3ELS4_3ELNS0_20block_scan_algorithmE0ELj4294967295EEENS1_25partition_config_selectorILNS1_17partition_subalgoE4EjNS0_10empty_typeEbEEZZNS1_14partition_implILS8_4ELb0ES6_15HIP_vector_typeIjLj2EENS0_17counting_iteratorIjlEEPS9_SG_NS0_5tupleIJPjSI_NS0_16reverse_iteratorISI_EEEEENSH_IJSG_SG_SG_EEES9_SI_JZNS1_25segmented_radix_sort_implINS0_14default_configELb0EPKdPdPKlPlN2at6native12_GLOBAL__N_18offset_tEEE10hipError_tPvRmT1_PNSt15iterator_traitsIS12_E10value_typeET2_T3_PNS13_IS18_E10value_typeET4_jRbjT5_S1E_jjP12ihipStream_tbEUljE_ZNSN_ISO_Lb0ESQ_SR_ST_SU_SY_EESZ_S10_S11_S12_S16_S17_S18_S1B_S1C_jS1D_jS1E_S1E_jjS1G_bEUljE0_EEESZ_S10_S11_S18_S1C_S1E_T6_T7_T9_mT8_S1G_bDpT10_ENKUlT_T0_E_clISt17integral_constantIbLb1EES1T_IbLb0EEEEDaS1P_S1Q_EUlS1P_E_NS1_11comp_targetILNS1_3genE8ELNS1_11target_archE1030ELNS1_3gpuE2ELNS1_3repE0EEENS1_30default_config_static_selectorELNS0_4arch9wavefront6targetE0EEEvS12_.numbered_sgpr, 0
	.set _ZN7rocprim17ROCPRIM_400000_NS6detail17trampoline_kernelINS0_13select_configILj256ELj13ELNS0_17block_load_methodE3ELS4_3ELS4_3ELNS0_20block_scan_algorithmE0ELj4294967295EEENS1_25partition_config_selectorILNS1_17partition_subalgoE4EjNS0_10empty_typeEbEEZZNS1_14partition_implILS8_4ELb0ES6_15HIP_vector_typeIjLj2EENS0_17counting_iteratorIjlEEPS9_SG_NS0_5tupleIJPjSI_NS0_16reverse_iteratorISI_EEEEENSH_IJSG_SG_SG_EEES9_SI_JZNS1_25segmented_radix_sort_implINS0_14default_configELb0EPKdPdPKlPlN2at6native12_GLOBAL__N_18offset_tEEE10hipError_tPvRmT1_PNSt15iterator_traitsIS12_E10value_typeET2_T3_PNS13_IS18_E10value_typeET4_jRbjT5_S1E_jjP12ihipStream_tbEUljE_ZNSN_ISO_Lb0ESQ_SR_ST_SU_SY_EESZ_S10_S11_S12_S16_S17_S18_S1B_S1C_jS1D_jS1E_S1E_jjS1G_bEUljE0_EEESZ_S10_S11_S18_S1C_S1E_T6_T7_T9_mT8_S1G_bDpT10_ENKUlT_T0_E_clISt17integral_constantIbLb1EES1T_IbLb0EEEEDaS1P_S1Q_EUlS1P_E_NS1_11comp_targetILNS1_3genE8ELNS1_11target_archE1030ELNS1_3gpuE2ELNS1_3repE0EEENS1_30default_config_static_selectorELNS0_4arch9wavefront6targetE0EEEvS12_.num_named_barrier, 0
	.set _ZN7rocprim17ROCPRIM_400000_NS6detail17trampoline_kernelINS0_13select_configILj256ELj13ELNS0_17block_load_methodE3ELS4_3ELS4_3ELNS0_20block_scan_algorithmE0ELj4294967295EEENS1_25partition_config_selectorILNS1_17partition_subalgoE4EjNS0_10empty_typeEbEEZZNS1_14partition_implILS8_4ELb0ES6_15HIP_vector_typeIjLj2EENS0_17counting_iteratorIjlEEPS9_SG_NS0_5tupleIJPjSI_NS0_16reverse_iteratorISI_EEEEENSH_IJSG_SG_SG_EEES9_SI_JZNS1_25segmented_radix_sort_implINS0_14default_configELb0EPKdPdPKlPlN2at6native12_GLOBAL__N_18offset_tEEE10hipError_tPvRmT1_PNSt15iterator_traitsIS12_E10value_typeET2_T3_PNS13_IS18_E10value_typeET4_jRbjT5_S1E_jjP12ihipStream_tbEUljE_ZNSN_ISO_Lb0ESQ_SR_ST_SU_SY_EESZ_S10_S11_S12_S16_S17_S18_S1B_S1C_jS1D_jS1E_S1E_jjS1G_bEUljE0_EEESZ_S10_S11_S18_S1C_S1E_T6_T7_T9_mT8_S1G_bDpT10_ENKUlT_T0_E_clISt17integral_constantIbLb1EES1T_IbLb0EEEEDaS1P_S1Q_EUlS1P_E_NS1_11comp_targetILNS1_3genE8ELNS1_11target_archE1030ELNS1_3gpuE2ELNS1_3repE0EEENS1_30default_config_static_selectorELNS0_4arch9wavefront6targetE0EEEvS12_.private_seg_size, 0
	.set _ZN7rocprim17ROCPRIM_400000_NS6detail17trampoline_kernelINS0_13select_configILj256ELj13ELNS0_17block_load_methodE3ELS4_3ELS4_3ELNS0_20block_scan_algorithmE0ELj4294967295EEENS1_25partition_config_selectorILNS1_17partition_subalgoE4EjNS0_10empty_typeEbEEZZNS1_14partition_implILS8_4ELb0ES6_15HIP_vector_typeIjLj2EENS0_17counting_iteratorIjlEEPS9_SG_NS0_5tupleIJPjSI_NS0_16reverse_iteratorISI_EEEEENSH_IJSG_SG_SG_EEES9_SI_JZNS1_25segmented_radix_sort_implINS0_14default_configELb0EPKdPdPKlPlN2at6native12_GLOBAL__N_18offset_tEEE10hipError_tPvRmT1_PNSt15iterator_traitsIS12_E10value_typeET2_T3_PNS13_IS18_E10value_typeET4_jRbjT5_S1E_jjP12ihipStream_tbEUljE_ZNSN_ISO_Lb0ESQ_SR_ST_SU_SY_EESZ_S10_S11_S12_S16_S17_S18_S1B_S1C_jS1D_jS1E_S1E_jjS1G_bEUljE0_EEESZ_S10_S11_S18_S1C_S1E_T6_T7_T9_mT8_S1G_bDpT10_ENKUlT_T0_E_clISt17integral_constantIbLb1EES1T_IbLb0EEEEDaS1P_S1Q_EUlS1P_E_NS1_11comp_targetILNS1_3genE8ELNS1_11target_archE1030ELNS1_3gpuE2ELNS1_3repE0EEENS1_30default_config_static_selectorELNS0_4arch9wavefront6targetE0EEEvS12_.uses_vcc, 0
	.set _ZN7rocprim17ROCPRIM_400000_NS6detail17trampoline_kernelINS0_13select_configILj256ELj13ELNS0_17block_load_methodE3ELS4_3ELS4_3ELNS0_20block_scan_algorithmE0ELj4294967295EEENS1_25partition_config_selectorILNS1_17partition_subalgoE4EjNS0_10empty_typeEbEEZZNS1_14partition_implILS8_4ELb0ES6_15HIP_vector_typeIjLj2EENS0_17counting_iteratorIjlEEPS9_SG_NS0_5tupleIJPjSI_NS0_16reverse_iteratorISI_EEEEENSH_IJSG_SG_SG_EEES9_SI_JZNS1_25segmented_radix_sort_implINS0_14default_configELb0EPKdPdPKlPlN2at6native12_GLOBAL__N_18offset_tEEE10hipError_tPvRmT1_PNSt15iterator_traitsIS12_E10value_typeET2_T3_PNS13_IS18_E10value_typeET4_jRbjT5_S1E_jjP12ihipStream_tbEUljE_ZNSN_ISO_Lb0ESQ_SR_ST_SU_SY_EESZ_S10_S11_S12_S16_S17_S18_S1B_S1C_jS1D_jS1E_S1E_jjS1G_bEUljE0_EEESZ_S10_S11_S18_S1C_S1E_T6_T7_T9_mT8_S1G_bDpT10_ENKUlT_T0_E_clISt17integral_constantIbLb1EES1T_IbLb0EEEEDaS1P_S1Q_EUlS1P_E_NS1_11comp_targetILNS1_3genE8ELNS1_11target_archE1030ELNS1_3gpuE2ELNS1_3repE0EEENS1_30default_config_static_selectorELNS0_4arch9wavefront6targetE0EEEvS12_.uses_flat_scratch, 0
	.set _ZN7rocprim17ROCPRIM_400000_NS6detail17trampoline_kernelINS0_13select_configILj256ELj13ELNS0_17block_load_methodE3ELS4_3ELS4_3ELNS0_20block_scan_algorithmE0ELj4294967295EEENS1_25partition_config_selectorILNS1_17partition_subalgoE4EjNS0_10empty_typeEbEEZZNS1_14partition_implILS8_4ELb0ES6_15HIP_vector_typeIjLj2EENS0_17counting_iteratorIjlEEPS9_SG_NS0_5tupleIJPjSI_NS0_16reverse_iteratorISI_EEEEENSH_IJSG_SG_SG_EEES9_SI_JZNS1_25segmented_radix_sort_implINS0_14default_configELb0EPKdPdPKlPlN2at6native12_GLOBAL__N_18offset_tEEE10hipError_tPvRmT1_PNSt15iterator_traitsIS12_E10value_typeET2_T3_PNS13_IS18_E10value_typeET4_jRbjT5_S1E_jjP12ihipStream_tbEUljE_ZNSN_ISO_Lb0ESQ_SR_ST_SU_SY_EESZ_S10_S11_S12_S16_S17_S18_S1B_S1C_jS1D_jS1E_S1E_jjS1G_bEUljE0_EEESZ_S10_S11_S18_S1C_S1E_T6_T7_T9_mT8_S1G_bDpT10_ENKUlT_T0_E_clISt17integral_constantIbLb1EES1T_IbLb0EEEEDaS1P_S1Q_EUlS1P_E_NS1_11comp_targetILNS1_3genE8ELNS1_11target_archE1030ELNS1_3gpuE2ELNS1_3repE0EEENS1_30default_config_static_selectorELNS0_4arch9wavefront6targetE0EEEvS12_.has_dyn_sized_stack, 0
	.set _ZN7rocprim17ROCPRIM_400000_NS6detail17trampoline_kernelINS0_13select_configILj256ELj13ELNS0_17block_load_methodE3ELS4_3ELS4_3ELNS0_20block_scan_algorithmE0ELj4294967295EEENS1_25partition_config_selectorILNS1_17partition_subalgoE4EjNS0_10empty_typeEbEEZZNS1_14partition_implILS8_4ELb0ES6_15HIP_vector_typeIjLj2EENS0_17counting_iteratorIjlEEPS9_SG_NS0_5tupleIJPjSI_NS0_16reverse_iteratorISI_EEEEENSH_IJSG_SG_SG_EEES9_SI_JZNS1_25segmented_radix_sort_implINS0_14default_configELb0EPKdPdPKlPlN2at6native12_GLOBAL__N_18offset_tEEE10hipError_tPvRmT1_PNSt15iterator_traitsIS12_E10value_typeET2_T3_PNS13_IS18_E10value_typeET4_jRbjT5_S1E_jjP12ihipStream_tbEUljE_ZNSN_ISO_Lb0ESQ_SR_ST_SU_SY_EESZ_S10_S11_S12_S16_S17_S18_S1B_S1C_jS1D_jS1E_S1E_jjS1G_bEUljE0_EEESZ_S10_S11_S18_S1C_S1E_T6_T7_T9_mT8_S1G_bDpT10_ENKUlT_T0_E_clISt17integral_constantIbLb1EES1T_IbLb0EEEEDaS1P_S1Q_EUlS1P_E_NS1_11comp_targetILNS1_3genE8ELNS1_11target_archE1030ELNS1_3gpuE2ELNS1_3repE0EEENS1_30default_config_static_selectorELNS0_4arch9wavefront6targetE0EEEvS12_.has_recursion, 0
	.set _ZN7rocprim17ROCPRIM_400000_NS6detail17trampoline_kernelINS0_13select_configILj256ELj13ELNS0_17block_load_methodE3ELS4_3ELS4_3ELNS0_20block_scan_algorithmE0ELj4294967295EEENS1_25partition_config_selectorILNS1_17partition_subalgoE4EjNS0_10empty_typeEbEEZZNS1_14partition_implILS8_4ELb0ES6_15HIP_vector_typeIjLj2EENS0_17counting_iteratorIjlEEPS9_SG_NS0_5tupleIJPjSI_NS0_16reverse_iteratorISI_EEEEENSH_IJSG_SG_SG_EEES9_SI_JZNS1_25segmented_radix_sort_implINS0_14default_configELb0EPKdPdPKlPlN2at6native12_GLOBAL__N_18offset_tEEE10hipError_tPvRmT1_PNSt15iterator_traitsIS12_E10value_typeET2_T3_PNS13_IS18_E10value_typeET4_jRbjT5_S1E_jjP12ihipStream_tbEUljE_ZNSN_ISO_Lb0ESQ_SR_ST_SU_SY_EESZ_S10_S11_S12_S16_S17_S18_S1B_S1C_jS1D_jS1E_S1E_jjS1G_bEUljE0_EEESZ_S10_S11_S18_S1C_S1E_T6_T7_T9_mT8_S1G_bDpT10_ENKUlT_T0_E_clISt17integral_constantIbLb1EES1T_IbLb0EEEEDaS1P_S1Q_EUlS1P_E_NS1_11comp_targetILNS1_3genE8ELNS1_11target_archE1030ELNS1_3gpuE2ELNS1_3repE0EEENS1_30default_config_static_selectorELNS0_4arch9wavefront6targetE0EEEvS12_.has_indirect_call, 0
	.section	.AMDGPU.csdata,"",@progbits
; Kernel info:
; codeLenInByte = 0
; TotalNumSgprs: 0
; NumVgprs: 0
; ScratchSize: 0
; MemoryBound: 0
; FloatMode: 240
; IeeeMode: 1
; LDSByteSize: 0 bytes/workgroup (compile time only)
; SGPRBlocks: 0
; VGPRBlocks: 0
; NumSGPRsForWavesPerEU: 1
; NumVGPRsForWavesPerEU: 1
; Occupancy: 16
; WaveLimiterHint : 0
; COMPUTE_PGM_RSRC2:SCRATCH_EN: 0
; COMPUTE_PGM_RSRC2:USER_SGPR: 2
; COMPUTE_PGM_RSRC2:TRAP_HANDLER: 0
; COMPUTE_PGM_RSRC2:TGID_X_EN: 1
; COMPUTE_PGM_RSRC2:TGID_Y_EN: 0
; COMPUTE_PGM_RSRC2:TGID_Z_EN: 0
; COMPUTE_PGM_RSRC2:TIDIG_COMP_CNT: 0
	.section	.text._ZN7rocprim17ROCPRIM_400000_NS6detail17trampoline_kernelINS0_13select_configILj256ELj13ELNS0_17block_load_methodE3ELS4_3ELS4_3ELNS0_20block_scan_algorithmE0ELj4294967295EEENS1_25partition_config_selectorILNS1_17partition_subalgoE4EjNS0_10empty_typeEbEEZZNS1_14partition_implILS8_4ELb0ES6_15HIP_vector_typeIjLj2EENS0_17counting_iteratorIjlEEPS9_SG_NS0_5tupleIJPjSI_NS0_16reverse_iteratorISI_EEEEENSH_IJSG_SG_SG_EEES9_SI_JZNS1_25segmented_radix_sort_implINS0_14default_configELb0EPKdPdPKlPlN2at6native12_GLOBAL__N_18offset_tEEE10hipError_tPvRmT1_PNSt15iterator_traitsIS12_E10value_typeET2_T3_PNS13_IS18_E10value_typeET4_jRbjT5_S1E_jjP12ihipStream_tbEUljE_ZNSN_ISO_Lb0ESQ_SR_ST_SU_SY_EESZ_S10_S11_S12_S16_S17_S18_S1B_S1C_jS1D_jS1E_S1E_jjS1G_bEUljE0_EEESZ_S10_S11_S18_S1C_S1E_T6_T7_T9_mT8_S1G_bDpT10_ENKUlT_T0_E_clISt17integral_constantIbLb0EES1T_IbLb1EEEEDaS1P_S1Q_EUlS1P_E_NS1_11comp_targetILNS1_3genE0ELNS1_11target_archE4294967295ELNS1_3gpuE0ELNS1_3repE0EEENS1_30default_config_static_selectorELNS0_4arch9wavefront6targetE0EEEvS12_,"axG",@progbits,_ZN7rocprim17ROCPRIM_400000_NS6detail17trampoline_kernelINS0_13select_configILj256ELj13ELNS0_17block_load_methodE3ELS4_3ELS4_3ELNS0_20block_scan_algorithmE0ELj4294967295EEENS1_25partition_config_selectorILNS1_17partition_subalgoE4EjNS0_10empty_typeEbEEZZNS1_14partition_implILS8_4ELb0ES6_15HIP_vector_typeIjLj2EENS0_17counting_iteratorIjlEEPS9_SG_NS0_5tupleIJPjSI_NS0_16reverse_iteratorISI_EEEEENSH_IJSG_SG_SG_EEES9_SI_JZNS1_25segmented_radix_sort_implINS0_14default_configELb0EPKdPdPKlPlN2at6native12_GLOBAL__N_18offset_tEEE10hipError_tPvRmT1_PNSt15iterator_traitsIS12_E10value_typeET2_T3_PNS13_IS18_E10value_typeET4_jRbjT5_S1E_jjP12ihipStream_tbEUljE_ZNSN_ISO_Lb0ESQ_SR_ST_SU_SY_EESZ_S10_S11_S12_S16_S17_S18_S1B_S1C_jS1D_jS1E_S1E_jjS1G_bEUljE0_EEESZ_S10_S11_S18_S1C_S1E_T6_T7_T9_mT8_S1G_bDpT10_ENKUlT_T0_E_clISt17integral_constantIbLb0EES1T_IbLb1EEEEDaS1P_S1Q_EUlS1P_E_NS1_11comp_targetILNS1_3genE0ELNS1_11target_archE4294967295ELNS1_3gpuE0ELNS1_3repE0EEENS1_30default_config_static_selectorELNS0_4arch9wavefront6targetE0EEEvS12_,comdat
	.globl	_ZN7rocprim17ROCPRIM_400000_NS6detail17trampoline_kernelINS0_13select_configILj256ELj13ELNS0_17block_load_methodE3ELS4_3ELS4_3ELNS0_20block_scan_algorithmE0ELj4294967295EEENS1_25partition_config_selectorILNS1_17partition_subalgoE4EjNS0_10empty_typeEbEEZZNS1_14partition_implILS8_4ELb0ES6_15HIP_vector_typeIjLj2EENS0_17counting_iteratorIjlEEPS9_SG_NS0_5tupleIJPjSI_NS0_16reverse_iteratorISI_EEEEENSH_IJSG_SG_SG_EEES9_SI_JZNS1_25segmented_radix_sort_implINS0_14default_configELb0EPKdPdPKlPlN2at6native12_GLOBAL__N_18offset_tEEE10hipError_tPvRmT1_PNSt15iterator_traitsIS12_E10value_typeET2_T3_PNS13_IS18_E10value_typeET4_jRbjT5_S1E_jjP12ihipStream_tbEUljE_ZNSN_ISO_Lb0ESQ_SR_ST_SU_SY_EESZ_S10_S11_S12_S16_S17_S18_S1B_S1C_jS1D_jS1E_S1E_jjS1G_bEUljE0_EEESZ_S10_S11_S18_S1C_S1E_T6_T7_T9_mT8_S1G_bDpT10_ENKUlT_T0_E_clISt17integral_constantIbLb0EES1T_IbLb1EEEEDaS1P_S1Q_EUlS1P_E_NS1_11comp_targetILNS1_3genE0ELNS1_11target_archE4294967295ELNS1_3gpuE0ELNS1_3repE0EEENS1_30default_config_static_selectorELNS0_4arch9wavefront6targetE0EEEvS12_ ; -- Begin function _ZN7rocprim17ROCPRIM_400000_NS6detail17trampoline_kernelINS0_13select_configILj256ELj13ELNS0_17block_load_methodE3ELS4_3ELS4_3ELNS0_20block_scan_algorithmE0ELj4294967295EEENS1_25partition_config_selectorILNS1_17partition_subalgoE4EjNS0_10empty_typeEbEEZZNS1_14partition_implILS8_4ELb0ES6_15HIP_vector_typeIjLj2EENS0_17counting_iteratorIjlEEPS9_SG_NS0_5tupleIJPjSI_NS0_16reverse_iteratorISI_EEEEENSH_IJSG_SG_SG_EEES9_SI_JZNS1_25segmented_radix_sort_implINS0_14default_configELb0EPKdPdPKlPlN2at6native12_GLOBAL__N_18offset_tEEE10hipError_tPvRmT1_PNSt15iterator_traitsIS12_E10value_typeET2_T3_PNS13_IS18_E10value_typeET4_jRbjT5_S1E_jjP12ihipStream_tbEUljE_ZNSN_ISO_Lb0ESQ_SR_ST_SU_SY_EESZ_S10_S11_S12_S16_S17_S18_S1B_S1C_jS1D_jS1E_S1E_jjS1G_bEUljE0_EEESZ_S10_S11_S18_S1C_S1E_T6_T7_T9_mT8_S1G_bDpT10_ENKUlT_T0_E_clISt17integral_constantIbLb0EES1T_IbLb1EEEEDaS1P_S1Q_EUlS1P_E_NS1_11comp_targetILNS1_3genE0ELNS1_11target_archE4294967295ELNS1_3gpuE0ELNS1_3repE0EEENS1_30default_config_static_selectorELNS0_4arch9wavefront6targetE0EEEvS12_
	.p2align	8
	.type	_ZN7rocprim17ROCPRIM_400000_NS6detail17trampoline_kernelINS0_13select_configILj256ELj13ELNS0_17block_load_methodE3ELS4_3ELS4_3ELNS0_20block_scan_algorithmE0ELj4294967295EEENS1_25partition_config_selectorILNS1_17partition_subalgoE4EjNS0_10empty_typeEbEEZZNS1_14partition_implILS8_4ELb0ES6_15HIP_vector_typeIjLj2EENS0_17counting_iteratorIjlEEPS9_SG_NS0_5tupleIJPjSI_NS0_16reverse_iteratorISI_EEEEENSH_IJSG_SG_SG_EEES9_SI_JZNS1_25segmented_radix_sort_implINS0_14default_configELb0EPKdPdPKlPlN2at6native12_GLOBAL__N_18offset_tEEE10hipError_tPvRmT1_PNSt15iterator_traitsIS12_E10value_typeET2_T3_PNS13_IS18_E10value_typeET4_jRbjT5_S1E_jjP12ihipStream_tbEUljE_ZNSN_ISO_Lb0ESQ_SR_ST_SU_SY_EESZ_S10_S11_S12_S16_S17_S18_S1B_S1C_jS1D_jS1E_S1E_jjS1G_bEUljE0_EEESZ_S10_S11_S18_S1C_S1E_T6_T7_T9_mT8_S1G_bDpT10_ENKUlT_T0_E_clISt17integral_constantIbLb0EES1T_IbLb1EEEEDaS1P_S1Q_EUlS1P_E_NS1_11comp_targetILNS1_3genE0ELNS1_11target_archE4294967295ELNS1_3gpuE0ELNS1_3repE0EEENS1_30default_config_static_selectorELNS0_4arch9wavefront6targetE0EEEvS12_,@function
_ZN7rocprim17ROCPRIM_400000_NS6detail17trampoline_kernelINS0_13select_configILj256ELj13ELNS0_17block_load_methodE3ELS4_3ELS4_3ELNS0_20block_scan_algorithmE0ELj4294967295EEENS1_25partition_config_selectorILNS1_17partition_subalgoE4EjNS0_10empty_typeEbEEZZNS1_14partition_implILS8_4ELb0ES6_15HIP_vector_typeIjLj2EENS0_17counting_iteratorIjlEEPS9_SG_NS0_5tupleIJPjSI_NS0_16reverse_iteratorISI_EEEEENSH_IJSG_SG_SG_EEES9_SI_JZNS1_25segmented_radix_sort_implINS0_14default_configELb0EPKdPdPKlPlN2at6native12_GLOBAL__N_18offset_tEEE10hipError_tPvRmT1_PNSt15iterator_traitsIS12_E10value_typeET2_T3_PNS13_IS18_E10value_typeET4_jRbjT5_S1E_jjP12ihipStream_tbEUljE_ZNSN_ISO_Lb0ESQ_SR_ST_SU_SY_EESZ_S10_S11_S12_S16_S17_S18_S1B_S1C_jS1D_jS1E_S1E_jjS1G_bEUljE0_EEESZ_S10_S11_S18_S1C_S1E_T6_T7_T9_mT8_S1G_bDpT10_ENKUlT_T0_E_clISt17integral_constantIbLb0EES1T_IbLb1EEEEDaS1P_S1Q_EUlS1P_E_NS1_11comp_targetILNS1_3genE0ELNS1_11target_archE4294967295ELNS1_3gpuE0ELNS1_3repE0EEENS1_30default_config_static_selectorELNS0_4arch9wavefront6targetE0EEEvS12_: ; @_ZN7rocprim17ROCPRIM_400000_NS6detail17trampoline_kernelINS0_13select_configILj256ELj13ELNS0_17block_load_methodE3ELS4_3ELS4_3ELNS0_20block_scan_algorithmE0ELj4294967295EEENS1_25partition_config_selectorILNS1_17partition_subalgoE4EjNS0_10empty_typeEbEEZZNS1_14partition_implILS8_4ELb0ES6_15HIP_vector_typeIjLj2EENS0_17counting_iteratorIjlEEPS9_SG_NS0_5tupleIJPjSI_NS0_16reverse_iteratorISI_EEEEENSH_IJSG_SG_SG_EEES9_SI_JZNS1_25segmented_radix_sort_implINS0_14default_configELb0EPKdPdPKlPlN2at6native12_GLOBAL__N_18offset_tEEE10hipError_tPvRmT1_PNSt15iterator_traitsIS12_E10value_typeET2_T3_PNS13_IS18_E10value_typeET4_jRbjT5_S1E_jjP12ihipStream_tbEUljE_ZNSN_ISO_Lb0ESQ_SR_ST_SU_SY_EESZ_S10_S11_S12_S16_S17_S18_S1B_S1C_jS1D_jS1E_S1E_jjS1G_bEUljE0_EEESZ_S10_S11_S18_S1C_S1E_T6_T7_T9_mT8_S1G_bDpT10_ENKUlT_T0_E_clISt17integral_constantIbLb0EES1T_IbLb1EEEEDaS1P_S1Q_EUlS1P_E_NS1_11comp_targetILNS1_3genE0ELNS1_11target_archE4294967295ELNS1_3gpuE0ELNS1_3repE0EEENS1_30default_config_static_selectorELNS0_4arch9wavefront6targetE0EEEvS12_
; %bb.0:
	.section	.rodata,"a",@progbits
	.p2align	6, 0x0
	.amdhsa_kernel _ZN7rocprim17ROCPRIM_400000_NS6detail17trampoline_kernelINS0_13select_configILj256ELj13ELNS0_17block_load_methodE3ELS4_3ELS4_3ELNS0_20block_scan_algorithmE0ELj4294967295EEENS1_25partition_config_selectorILNS1_17partition_subalgoE4EjNS0_10empty_typeEbEEZZNS1_14partition_implILS8_4ELb0ES6_15HIP_vector_typeIjLj2EENS0_17counting_iteratorIjlEEPS9_SG_NS0_5tupleIJPjSI_NS0_16reverse_iteratorISI_EEEEENSH_IJSG_SG_SG_EEES9_SI_JZNS1_25segmented_radix_sort_implINS0_14default_configELb0EPKdPdPKlPlN2at6native12_GLOBAL__N_18offset_tEEE10hipError_tPvRmT1_PNSt15iterator_traitsIS12_E10value_typeET2_T3_PNS13_IS18_E10value_typeET4_jRbjT5_S1E_jjP12ihipStream_tbEUljE_ZNSN_ISO_Lb0ESQ_SR_ST_SU_SY_EESZ_S10_S11_S12_S16_S17_S18_S1B_S1C_jS1D_jS1E_S1E_jjS1G_bEUljE0_EEESZ_S10_S11_S18_S1C_S1E_T6_T7_T9_mT8_S1G_bDpT10_ENKUlT_T0_E_clISt17integral_constantIbLb0EES1T_IbLb1EEEEDaS1P_S1Q_EUlS1P_E_NS1_11comp_targetILNS1_3genE0ELNS1_11target_archE4294967295ELNS1_3gpuE0ELNS1_3repE0EEENS1_30default_config_static_selectorELNS0_4arch9wavefront6targetE0EEEvS12_
		.amdhsa_group_segment_fixed_size 0
		.amdhsa_private_segment_fixed_size 0
		.amdhsa_kernarg_size 184
		.amdhsa_user_sgpr_count 2
		.amdhsa_user_sgpr_dispatch_ptr 0
		.amdhsa_user_sgpr_queue_ptr 0
		.amdhsa_user_sgpr_kernarg_segment_ptr 1
		.amdhsa_user_sgpr_dispatch_id 0
		.amdhsa_user_sgpr_private_segment_size 0
		.amdhsa_wavefront_size32 1
		.amdhsa_uses_dynamic_stack 0
		.amdhsa_enable_private_segment 0
		.amdhsa_system_sgpr_workgroup_id_x 1
		.amdhsa_system_sgpr_workgroup_id_y 0
		.amdhsa_system_sgpr_workgroup_id_z 0
		.amdhsa_system_sgpr_workgroup_info 0
		.amdhsa_system_vgpr_workitem_id 0
		.amdhsa_next_free_vgpr 1
		.amdhsa_next_free_sgpr 1
		.amdhsa_reserve_vcc 0
		.amdhsa_float_round_mode_32 0
		.amdhsa_float_round_mode_16_64 0
		.amdhsa_float_denorm_mode_32 3
		.amdhsa_float_denorm_mode_16_64 3
		.amdhsa_fp16_overflow 0
		.amdhsa_workgroup_processor_mode 1
		.amdhsa_memory_ordered 1
		.amdhsa_forward_progress 1
		.amdhsa_inst_pref_size 0
		.amdhsa_round_robin_scheduling 0
		.amdhsa_exception_fp_ieee_invalid_op 0
		.amdhsa_exception_fp_denorm_src 0
		.amdhsa_exception_fp_ieee_div_zero 0
		.amdhsa_exception_fp_ieee_overflow 0
		.amdhsa_exception_fp_ieee_underflow 0
		.amdhsa_exception_fp_ieee_inexact 0
		.amdhsa_exception_int_div_zero 0
	.end_amdhsa_kernel
	.section	.text._ZN7rocprim17ROCPRIM_400000_NS6detail17trampoline_kernelINS0_13select_configILj256ELj13ELNS0_17block_load_methodE3ELS4_3ELS4_3ELNS0_20block_scan_algorithmE0ELj4294967295EEENS1_25partition_config_selectorILNS1_17partition_subalgoE4EjNS0_10empty_typeEbEEZZNS1_14partition_implILS8_4ELb0ES6_15HIP_vector_typeIjLj2EENS0_17counting_iteratorIjlEEPS9_SG_NS0_5tupleIJPjSI_NS0_16reverse_iteratorISI_EEEEENSH_IJSG_SG_SG_EEES9_SI_JZNS1_25segmented_radix_sort_implINS0_14default_configELb0EPKdPdPKlPlN2at6native12_GLOBAL__N_18offset_tEEE10hipError_tPvRmT1_PNSt15iterator_traitsIS12_E10value_typeET2_T3_PNS13_IS18_E10value_typeET4_jRbjT5_S1E_jjP12ihipStream_tbEUljE_ZNSN_ISO_Lb0ESQ_SR_ST_SU_SY_EESZ_S10_S11_S12_S16_S17_S18_S1B_S1C_jS1D_jS1E_S1E_jjS1G_bEUljE0_EEESZ_S10_S11_S18_S1C_S1E_T6_T7_T9_mT8_S1G_bDpT10_ENKUlT_T0_E_clISt17integral_constantIbLb0EES1T_IbLb1EEEEDaS1P_S1Q_EUlS1P_E_NS1_11comp_targetILNS1_3genE0ELNS1_11target_archE4294967295ELNS1_3gpuE0ELNS1_3repE0EEENS1_30default_config_static_selectorELNS0_4arch9wavefront6targetE0EEEvS12_,"axG",@progbits,_ZN7rocprim17ROCPRIM_400000_NS6detail17trampoline_kernelINS0_13select_configILj256ELj13ELNS0_17block_load_methodE3ELS4_3ELS4_3ELNS0_20block_scan_algorithmE0ELj4294967295EEENS1_25partition_config_selectorILNS1_17partition_subalgoE4EjNS0_10empty_typeEbEEZZNS1_14partition_implILS8_4ELb0ES6_15HIP_vector_typeIjLj2EENS0_17counting_iteratorIjlEEPS9_SG_NS0_5tupleIJPjSI_NS0_16reverse_iteratorISI_EEEEENSH_IJSG_SG_SG_EEES9_SI_JZNS1_25segmented_radix_sort_implINS0_14default_configELb0EPKdPdPKlPlN2at6native12_GLOBAL__N_18offset_tEEE10hipError_tPvRmT1_PNSt15iterator_traitsIS12_E10value_typeET2_T3_PNS13_IS18_E10value_typeET4_jRbjT5_S1E_jjP12ihipStream_tbEUljE_ZNSN_ISO_Lb0ESQ_SR_ST_SU_SY_EESZ_S10_S11_S12_S16_S17_S18_S1B_S1C_jS1D_jS1E_S1E_jjS1G_bEUljE0_EEESZ_S10_S11_S18_S1C_S1E_T6_T7_T9_mT8_S1G_bDpT10_ENKUlT_T0_E_clISt17integral_constantIbLb0EES1T_IbLb1EEEEDaS1P_S1Q_EUlS1P_E_NS1_11comp_targetILNS1_3genE0ELNS1_11target_archE4294967295ELNS1_3gpuE0ELNS1_3repE0EEENS1_30default_config_static_selectorELNS0_4arch9wavefront6targetE0EEEvS12_,comdat
.Lfunc_end1181:
	.size	_ZN7rocprim17ROCPRIM_400000_NS6detail17trampoline_kernelINS0_13select_configILj256ELj13ELNS0_17block_load_methodE3ELS4_3ELS4_3ELNS0_20block_scan_algorithmE0ELj4294967295EEENS1_25partition_config_selectorILNS1_17partition_subalgoE4EjNS0_10empty_typeEbEEZZNS1_14partition_implILS8_4ELb0ES6_15HIP_vector_typeIjLj2EENS0_17counting_iteratorIjlEEPS9_SG_NS0_5tupleIJPjSI_NS0_16reverse_iteratorISI_EEEEENSH_IJSG_SG_SG_EEES9_SI_JZNS1_25segmented_radix_sort_implINS0_14default_configELb0EPKdPdPKlPlN2at6native12_GLOBAL__N_18offset_tEEE10hipError_tPvRmT1_PNSt15iterator_traitsIS12_E10value_typeET2_T3_PNS13_IS18_E10value_typeET4_jRbjT5_S1E_jjP12ihipStream_tbEUljE_ZNSN_ISO_Lb0ESQ_SR_ST_SU_SY_EESZ_S10_S11_S12_S16_S17_S18_S1B_S1C_jS1D_jS1E_S1E_jjS1G_bEUljE0_EEESZ_S10_S11_S18_S1C_S1E_T6_T7_T9_mT8_S1G_bDpT10_ENKUlT_T0_E_clISt17integral_constantIbLb0EES1T_IbLb1EEEEDaS1P_S1Q_EUlS1P_E_NS1_11comp_targetILNS1_3genE0ELNS1_11target_archE4294967295ELNS1_3gpuE0ELNS1_3repE0EEENS1_30default_config_static_selectorELNS0_4arch9wavefront6targetE0EEEvS12_, .Lfunc_end1181-_ZN7rocprim17ROCPRIM_400000_NS6detail17trampoline_kernelINS0_13select_configILj256ELj13ELNS0_17block_load_methodE3ELS4_3ELS4_3ELNS0_20block_scan_algorithmE0ELj4294967295EEENS1_25partition_config_selectorILNS1_17partition_subalgoE4EjNS0_10empty_typeEbEEZZNS1_14partition_implILS8_4ELb0ES6_15HIP_vector_typeIjLj2EENS0_17counting_iteratorIjlEEPS9_SG_NS0_5tupleIJPjSI_NS0_16reverse_iteratorISI_EEEEENSH_IJSG_SG_SG_EEES9_SI_JZNS1_25segmented_radix_sort_implINS0_14default_configELb0EPKdPdPKlPlN2at6native12_GLOBAL__N_18offset_tEEE10hipError_tPvRmT1_PNSt15iterator_traitsIS12_E10value_typeET2_T3_PNS13_IS18_E10value_typeET4_jRbjT5_S1E_jjP12ihipStream_tbEUljE_ZNSN_ISO_Lb0ESQ_SR_ST_SU_SY_EESZ_S10_S11_S12_S16_S17_S18_S1B_S1C_jS1D_jS1E_S1E_jjS1G_bEUljE0_EEESZ_S10_S11_S18_S1C_S1E_T6_T7_T9_mT8_S1G_bDpT10_ENKUlT_T0_E_clISt17integral_constantIbLb0EES1T_IbLb1EEEEDaS1P_S1Q_EUlS1P_E_NS1_11comp_targetILNS1_3genE0ELNS1_11target_archE4294967295ELNS1_3gpuE0ELNS1_3repE0EEENS1_30default_config_static_selectorELNS0_4arch9wavefront6targetE0EEEvS12_
                                        ; -- End function
	.set _ZN7rocprim17ROCPRIM_400000_NS6detail17trampoline_kernelINS0_13select_configILj256ELj13ELNS0_17block_load_methodE3ELS4_3ELS4_3ELNS0_20block_scan_algorithmE0ELj4294967295EEENS1_25partition_config_selectorILNS1_17partition_subalgoE4EjNS0_10empty_typeEbEEZZNS1_14partition_implILS8_4ELb0ES6_15HIP_vector_typeIjLj2EENS0_17counting_iteratorIjlEEPS9_SG_NS0_5tupleIJPjSI_NS0_16reverse_iteratorISI_EEEEENSH_IJSG_SG_SG_EEES9_SI_JZNS1_25segmented_radix_sort_implINS0_14default_configELb0EPKdPdPKlPlN2at6native12_GLOBAL__N_18offset_tEEE10hipError_tPvRmT1_PNSt15iterator_traitsIS12_E10value_typeET2_T3_PNS13_IS18_E10value_typeET4_jRbjT5_S1E_jjP12ihipStream_tbEUljE_ZNSN_ISO_Lb0ESQ_SR_ST_SU_SY_EESZ_S10_S11_S12_S16_S17_S18_S1B_S1C_jS1D_jS1E_S1E_jjS1G_bEUljE0_EEESZ_S10_S11_S18_S1C_S1E_T6_T7_T9_mT8_S1G_bDpT10_ENKUlT_T0_E_clISt17integral_constantIbLb0EES1T_IbLb1EEEEDaS1P_S1Q_EUlS1P_E_NS1_11comp_targetILNS1_3genE0ELNS1_11target_archE4294967295ELNS1_3gpuE0ELNS1_3repE0EEENS1_30default_config_static_selectorELNS0_4arch9wavefront6targetE0EEEvS12_.num_vgpr, 0
	.set _ZN7rocprim17ROCPRIM_400000_NS6detail17trampoline_kernelINS0_13select_configILj256ELj13ELNS0_17block_load_methodE3ELS4_3ELS4_3ELNS0_20block_scan_algorithmE0ELj4294967295EEENS1_25partition_config_selectorILNS1_17partition_subalgoE4EjNS0_10empty_typeEbEEZZNS1_14partition_implILS8_4ELb0ES6_15HIP_vector_typeIjLj2EENS0_17counting_iteratorIjlEEPS9_SG_NS0_5tupleIJPjSI_NS0_16reverse_iteratorISI_EEEEENSH_IJSG_SG_SG_EEES9_SI_JZNS1_25segmented_radix_sort_implINS0_14default_configELb0EPKdPdPKlPlN2at6native12_GLOBAL__N_18offset_tEEE10hipError_tPvRmT1_PNSt15iterator_traitsIS12_E10value_typeET2_T3_PNS13_IS18_E10value_typeET4_jRbjT5_S1E_jjP12ihipStream_tbEUljE_ZNSN_ISO_Lb0ESQ_SR_ST_SU_SY_EESZ_S10_S11_S12_S16_S17_S18_S1B_S1C_jS1D_jS1E_S1E_jjS1G_bEUljE0_EEESZ_S10_S11_S18_S1C_S1E_T6_T7_T9_mT8_S1G_bDpT10_ENKUlT_T0_E_clISt17integral_constantIbLb0EES1T_IbLb1EEEEDaS1P_S1Q_EUlS1P_E_NS1_11comp_targetILNS1_3genE0ELNS1_11target_archE4294967295ELNS1_3gpuE0ELNS1_3repE0EEENS1_30default_config_static_selectorELNS0_4arch9wavefront6targetE0EEEvS12_.num_agpr, 0
	.set _ZN7rocprim17ROCPRIM_400000_NS6detail17trampoline_kernelINS0_13select_configILj256ELj13ELNS0_17block_load_methodE3ELS4_3ELS4_3ELNS0_20block_scan_algorithmE0ELj4294967295EEENS1_25partition_config_selectorILNS1_17partition_subalgoE4EjNS0_10empty_typeEbEEZZNS1_14partition_implILS8_4ELb0ES6_15HIP_vector_typeIjLj2EENS0_17counting_iteratorIjlEEPS9_SG_NS0_5tupleIJPjSI_NS0_16reverse_iteratorISI_EEEEENSH_IJSG_SG_SG_EEES9_SI_JZNS1_25segmented_radix_sort_implINS0_14default_configELb0EPKdPdPKlPlN2at6native12_GLOBAL__N_18offset_tEEE10hipError_tPvRmT1_PNSt15iterator_traitsIS12_E10value_typeET2_T3_PNS13_IS18_E10value_typeET4_jRbjT5_S1E_jjP12ihipStream_tbEUljE_ZNSN_ISO_Lb0ESQ_SR_ST_SU_SY_EESZ_S10_S11_S12_S16_S17_S18_S1B_S1C_jS1D_jS1E_S1E_jjS1G_bEUljE0_EEESZ_S10_S11_S18_S1C_S1E_T6_T7_T9_mT8_S1G_bDpT10_ENKUlT_T0_E_clISt17integral_constantIbLb0EES1T_IbLb1EEEEDaS1P_S1Q_EUlS1P_E_NS1_11comp_targetILNS1_3genE0ELNS1_11target_archE4294967295ELNS1_3gpuE0ELNS1_3repE0EEENS1_30default_config_static_selectorELNS0_4arch9wavefront6targetE0EEEvS12_.numbered_sgpr, 0
	.set _ZN7rocprim17ROCPRIM_400000_NS6detail17trampoline_kernelINS0_13select_configILj256ELj13ELNS0_17block_load_methodE3ELS4_3ELS4_3ELNS0_20block_scan_algorithmE0ELj4294967295EEENS1_25partition_config_selectorILNS1_17partition_subalgoE4EjNS0_10empty_typeEbEEZZNS1_14partition_implILS8_4ELb0ES6_15HIP_vector_typeIjLj2EENS0_17counting_iteratorIjlEEPS9_SG_NS0_5tupleIJPjSI_NS0_16reverse_iteratorISI_EEEEENSH_IJSG_SG_SG_EEES9_SI_JZNS1_25segmented_radix_sort_implINS0_14default_configELb0EPKdPdPKlPlN2at6native12_GLOBAL__N_18offset_tEEE10hipError_tPvRmT1_PNSt15iterator_traitsIS12_E10value_typeET2_T3_PNS13_IS18_E10value_typeET4_jRbjT5_S1E_jjP12ihipStream_tbEUljE_ZNSN_ISO_Lb0ESQ_SR_ST_SU_SY_EESZ_S10_S11_S12_S16_S17_S18_S1B_S1C_jS1D_jS1E_S1E_jjS1G_bEUljE0_EEESZ_S10_S11_S18_S1C_S1E_T6_T7_T9_mT8_S1G_bDpT10_ENKUlT_T0_E_clISt17integral_constantIbLb0EES1T_IbLb1EEEEDaS1P_S1Q_EUlS1P_E_NS1_11comp_targetILNS1_3genE0ELNS1_11target_archE4294967295ELNS1_3gpuE0ELNS1_3repE0EEENS1_30default_config_static_selectorELNS0_4arch9wavefront6targetE0EEEvS12_.num_named_barrier, 0
	.set _ZN7rocprim17ROCPRIM_400000_NS6detail17trampoline_kernelINS0_13select_configILj256ELj13ELNS0_17block_load_methodE3ELS4_3ELS4_3ELNS0_20block_scan_algorithmE0ELj4294967295EEENS1_25partition_config_selectorILNS1_17partition_subalgoE4EjNS0_10empty_typeEbEEZZNS1_14partition_implILS8_4ELb0ES6_15HIP_vector_typeIjLj2EENS0_17counting_iteratorIjlEEPS9_SG_NS0_5tupleIJPjSI_NS0_16reverse_iteratorISI_EEEEENSH_IJSG_SG_SG_EEES9_SI_JZNS1_25segmented_radix_sort_implINS0_14default_configELb0EPKdPdPKlPlN2at6native12_GLOBAL__N_18offset_tEEE10hipError_tPvRmT1_PNSt15iterator_traitsIS12_E10value_typeET2_T3_PNS13_IS18_E10value_typeET4_jRbjT5_S1E_jjP12ihipStream_tbEUljE_ZNSN_ISO_Lb0ESQ_SR_ST_SU_SY_EESZ_S10_S11_S12_S16_S17_S18_S1B_S1C_jS1D_jS1E_S1E_jjS1G_bEUljE0_EEESZ_S10_S11_S18_S1C_S1E_T6_T7_T9_mT8_S1G_bDpT10_ENKUlT_T0_E_clISt17integral_constantIbLb0EES1T_IbLb1EEEEDaS1P_S1Q_EUlS1P_E_NS1_11comp_targetILNS1_3genE0ELNS1_11target_archE4294967295ELNS1_3gpuE0ELNS1_3repE0EEENS1_30default_config_static_selectorELNS0_4arch9wavefront6targetE0EEEvS12_.private_seg_size, 0
	.set _ZN7rocprim17ROCPRIM_400000_NS6detail17trampoline_kernelINS0_13select_configILj256ELj13ELNS0_17block_load_methodE3ELS4_3ELS4_3ELNS0_20block_scan_algorithmE0ELj4294967295EEENS1_25partition_config_selectorILNS1_17partition_subalgoE4EjNS0_10empty_typeEbEEZZNS1_14partition_implILS8_4ELb0ES6_15HIP_vector_typeIjLj2EENS0_17counting_iteratorIjlEEPS9_SG_NS0_5tupleIJPjSI_NS0_16reverse_iteratorISI_EEEEENSH_IJSG_SG_SG_EEES9_SI_JZNS1_25segmented_radix_sort_implINS0_14default_configELb0EPKdPdPKlPlN2at6native12_GLOBAL__N_18offset_tEEE10hipError_tPvRmT1_PNSt15iterator_traitsIS12_E10value_typeET2_T3_PNS13_IS18_E10value_typeET4_jRbjT5_S1E_jjP12ihipStream_tbEUljE_ZNSN_ISO_Lb0ESQ_SR_ST_SU_SY_EESZ_S10_S11_S12_S16_S17_S18_S1B_S1C_jS1D_jS1E_S1E_jjS1G_bEUljE0_EEESZ_S10_S11_S18_S1C_S1E_T6_T7_T9_mT8_S1G_bDpT10_ENKUlT_T0_E_clISt17integral_constantIbLb0EES1T_IbLb1EEEEDaS1P_S1Q_EUlS1P_E_NS1_11comp_targetILNS1_3genE0ELNS1_11target_archE4294967295ELNS1_3gpuE0ELNS1_3repE0EEENS1_30default_config_static_selectorELNS0_4arch9wavefront6targetE0EEEvS12_.uses_vcc, 0
	.set _ZN7rocprim17ROCPRIM_400000_NS6detail17trampoline_kernelINS0_13select_configILj256ELj13ELNS0_17block_load_methodE3ELS4_3ELS4_3ELNS0_20block_scan_algorithmE0ELj4294967295EEENS1_25partition_config_selectorILNS1_17partition_subalgoE4EjNS0_10empty_typeEbEEZZNS1_14partition_implILS8_4ELb0ES6_15HIP_vector_typeIjLj2EENS0_17counting_iteratorIjlEEPS9_SG_NS0_5tupleIJPjSI_NS0_16reverse_iteratorISI_EEEEENSH_IJSG_SG_SG_EEES9_SI_JZNS1_25segmented_radix_sort_implINS0_14default_configELb0EPKdPdPKlPlN2at6native12_GLOBAL__N_18offset_tEEE10hipError_tPvRmT1_PNSt15iterator_traitsIS12_E10value_typeET2_T3_PNS13_IS18_E10value_typeET4_jRbjT5_S1E_jjP12ihipStream_tbEUljE_ZNSN_ISO_Lb0ESQ_SR_ST_SU_SY_EESZ_S10_S11_S12_S16_S17_S18_S1B_S1C_jS1D_jS1E_S1E_jjS1G_bEUljE0_EEESZ_S10_S11_S18_S1C_S1E_T6_T7_T9_mT8_S1G_bDpT10_ENKUlT_T0_E_clISt17integral_constantIbLb0EES1T_IbLb1EEEEDaS1P_S1Q_EUlS1P_E_NS1_11comp_targetILNS1_3genE0ELNS1_11target_archE4294967295ELNS1_3gpuE0ELNS1_3repE0EEENS1_30default_config_static_selectorELNS0_4arch9wavefront6targetE0EEEvS12_.uses_flat_scratch, 0
	.set _ZN7rocprim17ROCPRIM_400000_NS6detail17trampoline_kernelINS0_13select_configILj256ELj13ELNS0_17block_load_methodE3ELS4_3ELS4_3ELNS0_20block_scan_algorithmE0ELj4294967295EEENS1_25partition_config_selectorILNS1_17partition_subalgoE4EjNS0_10empty_typeEbEEZZNS1_14partition_implILS8_4ELb0ES6_15HIP_vector_typeIjLj2EENS0_17counting_iteratorIjlEEPS9_SG_NS0_5tupleIJPjSI_NS0_16reverse_iteratorISI_EEEEENSH_IJSG_SG_SG_EEES9_SI_JZNS1_25segmented_radix_sort_implINS0_14default_configELb0EPKdPdPKlPlN2at6native12_GLOBAL__N_18offset_tEEE10hipError_tPvRmT1_PNSt15iterator_traitsIS12_E10value_typeET2_T3_PNS13_IS18_E10value_typeET4_jRbjT5_S1E_jjP12ihipStream_tbEUljE_ZNSN_ISO_Lb0ESQ_SR_ST_SU_SY_EESZ_S10_S11_S12_S16_S17_S18_S1B_S1C_jS1D_jS1E_S1E_jjS1G_bEUljE0_EEESZ_S10_S11_S18_S1C_S1E_T6_T7_T9_mT8_S1G_bDpT10_ENKUlT_T0_E_clISt17integral_constantIbLb0EES1T_IbLb1EEEEDaS1P_S1Q_EUlS1P_E_NS1_11comp_targetILNS1_3genE0ELNS1_11target_archE4294967295ELNS1_3gpuE0ELNS1_3repE0EEENS1_30default_config_static_selectorELNS0_4arch9wavefront6targetE0EEEvS12_.has_dyn_sized_stack, 0
	.set _ZN7rocprim17ROCPRIM_400000_NS6detail17trampoline_kernelINS0_13select_configILj256ELj13ELNS0_17block_load_methodE3ELS4_3ELS4_3ELNS0_20block_scan_algorithmE0ELj4294967295EEENS1_25partition_config_selectorILNS1_17partition_subalgoE4EjNS0_10empty_typeEbEEZZNS1_14partition_implILS8_4ELb0ES6_15HIP_vector_typeIjLj2EENS0_17counting_iteratorIjlEEPS9_SG_NS0_5tupleIJPjSI_NS0_16reverse_iteratorISI_EEEEENSH_IJSG_SG_SG_EEES9_SI_JZNS1_25segmented_radix_sort_implINS0_14default_configELb0EPKdPdPKlPlN2at6native12_GLOBAL__N_18offset_tEEE10hipError_tPvRmT1_PNSt15iterator_traitsIS12_E10value_typeET2_T3_PNS13_IS18_E10value_typeET4_jRbjT5_S1E_jjP12ihipStream_tbEUljE_ZNSN_ISO_Lb0ESQ_SR_ST_SU_SY_EESZ_S10_S11_S12_S16_S17_S18_S1B_S1C_jS1D_jS1E_S1E_jjS1G_bEUljE0_EEESZ_S10_S11_S18_S1C_S1E_T6_T7_T9_mT8_S1G_bDpT10_ENKUlT_T0_E_clISt17integral_constantIbLb0EES1T_IbLb1EEEEDaS1P_S1Q_EUlS1P_E_NS1_11comp_targetILNS1_3genE0ELNS1_11target_archE4294967295ELNS1_3gpuE0ELNS1_3repE0EEENS1_30default_config_static_selectorELNS0_4arch9wavefront6targetE0EEEvS12_.has_recursion, 0
	.set _ZN7rocprim17ROCPRIM_400000_NS6detail17trampoline_kernelINS0_13select_configILj256ELj13ELNS0_17block_load_methodE3ELS4_3ELS4_3ELNS0_20block_scan_algorithmE0ELj4294967295EEENS1_25partition_config_selectorILNS1_17partition_subalgoE4EjNS0_10empty_typeEbEEZZNS1_14partition_implILS8_4ELb0ES6_15HIP_vector_typeIjLj2EENS0_17counting_iteratorIjlEEPS9_SG_NS0_5tupleIJPjSI_NS0_16reverse_iteratorISI_EEEEENSH_IJSG_SG_SG_EEES9_SI_JZNS1_25segmented_radix_sort_implINS0_14default_configELb0EPKdPdPKlPlN2at6native12_GLOBAL__N_18offset_tEEE10hipError_tPvRmT1_PNSt15iterator_traitsIS12_E10value_typeET2_T3_PNS13_IS18_E10value_typeET4_jRbjT5_S1E_jjP12ihipStream_tbEUljE_ZNSN_ISO_Lb0ESQ_SR_ST_SU_SY_EESZ_S10_S11_S12_S16_S17_S18_S1B_S1C_jS1D_jS1E_S1E_jjS1G_bEUljE0_EEESZ_S10_S11_S18_S1C_S1E_T6_T7_T9_mT8_S1G_bDpT10_ENKUlT_T0_E_clISt17integral_constantIbLb0EES1T_IbLb1EEEEDaS1P_S1Q_EUlS1P_E_NS1_11comp_targetILNS1_3genE0ELNS1_11target_archE4294967295ELNS1_3gpuE0ELNS1_3repE0EEENS1_30default_config_static_selectorELNS0_4arch9wavefront6targetE0EEEvS12_.has_indirect_call, 0
	.section	.AMDGPU.csdata,"",@progbits
; Kernel info:
; codeLenInByte = 0
; TotalNumSgprs: 0
; NumVgprs: 0
; ScratchSize: 0
; MemoryBound: 0
; FloatMode: 240
; IeeeMode: 1
; LDSByteSize: 0 bytes/workgroup (compile time only)
; SGPRBlocks: 0
; VGPRBlocks: 0
; NumSGPRsForWavesPerEU: 1
; NumVGPRsForWavesPerEU: 1
; Occupancy: 16
; WaveLimiterHint : 0
; COMPUTE_PGM_RSRC2:SCRATCH_EN: 0
; COMPUTE_PGM_RSRC2:USER_SGPR: 2
; COMPUTE_PGM_RSRC2:TRAP_HANDLER: 0
; COMPUTE_PGM_RSRC2:TGID_X_EN: 1
; COMPUTE_PGM_RSRC2:TGID_Y_EN: 0
; COMPUTE_PGM_RSRC2:TGID_Z_EN: 0
; COMPUTE_PGM_RSRC2:TIDIG_COMP_CNT: 0
	.section	.text._ZN7rocprim17ROCPRIM_400000_NS6detail17trampoline_kernelINS0_13select_configILj256ELj13ELNS0_17block_load_methodE3ELS4_3ELS4_3ELNS0_20block_scan_algorithmE0ELj4294967295EEENS1_25partition_config_selectorILNS1_17partition_subalgoE4EjNS0_10empty_typeEbEEZZNS1_14partition_implILS8_4ELb0ES6_15HIP_vector_typeIjLj2EENS0_17counting_iteratorIjlEEPS9_SG_NS0_5tupleIJPjSI_NS0_16reverse_iteratorISI_EEEEENSH_IJSG_SG_SG_EEES9_SI_JZNS1_25segmented_radix_sort_implINS0_14default_configELb0EPKdPdPKlPlN2at6native12_GLOBAL__N_18offset_tEEE10hipError_tPvRmT1_PNSt15iterator_traitsIS12_E10value_typeET2_T3_PNS13_IS18_E10value_typeET4_jRbjT5_S1E_jjP12ihipStream_tbEUljE_ZNSN_ISO_Lb0ESQ_SR_ST_SU_SY_EESZ_S10_S11_S12_S16_S17_S18_S1B_S1C_jS1D_jS1E_S1E_jjS1G_bEUljE0_EEESZ_S10_S11_S18_S1C_S1E_T6_T7_T9_mT8_S1G_bDpT10_ENKUlT_T0_E_clISt17integral_constantIbLb0EES1T_IbLb1EEEEDaS1P_S1Q_EUlS1P_E_NS1_11comp_targetILNS1_3genE5ELNS1_11target_archE942ELNS1_3gpuE9ELNS1_3repE0EEENS1_30default_config_static_selectorELNS0_4arch9wavefront6targetE0EEEvS12_,"axG",@progbits,_ZN7rocprim17ROCPRIM_400000_NS6detail17trampoline_kernelINS0_13select_configILj256ELj13ELNS0_17block_load_methodE3ELS4_3ELS4_3ELNS0_20block_scan_algorithmE0ELj4294967295EEENS1_25partition_config_selectorILNS1_17partition_subalgoE4EjNS0_10empty_typeEbEEZZNS1_14partition_implILS8_4ELb0ES6_15HIP_vector_typeIjLj2EENS0_17counting_iteratorIjlEEPS9_SG_NS0_5tupleIJPjSI_NS0_16reverse_iteratorISI_EEEEENSH_IJSG_SG_SG_EEES9_SI_JZNS1_25segmented_radix_sort_implINS0_14default_configELb0EPKdPdPKlPlN2at6native12_GLOBAL__N_18offset_tEEE10hipError_tPvRmT1_PNSt15iterator_traitsIS12_E10value_typeET2_T3_PNS13_IS18_E10value_typeET4_jRbjT5_S1E_jjP12ihipStream_tbEUljE_ZNSN_ISO_Lb0ESQ_SR_ST_SU_SY_EESZ_S10_S11_S12_S16_S17_S18_S1B_S1C_jS1D_jS1E_S1E_jjS1G_bEUljE0_EEESZ_S10_S11_S18_S1C_S1E_T6_T7_T9_mT8_S1G_bDpT10_ENKUlT_T0_E_clISt17integral_constantIbLb0EES1T_IbLb1EEEEDaS1P_S1Q_EUlS1P_E_NS1_11comp_targetILNS1_3genE5ELNS1_11target_archE942ELNS1_3gpuE9ELNS1_3repE0EEENS1_30default_config_static_selectorELNS0_4arch9wavefront6targetE0EEEvS12_,comdat
	.globl	_ZN7rocprim17ROCPRIM_400000_NS6detail17trampoline_kernelINS0_13select_configILj256ELj13ELNS0_17block_load_methodE3ELS4_3ELS4_3ELNS0_20block_scan_algorithmE0ELj4294967295EEENS1_25partition_config_selectorILNS1_17partition_subalgoE4EjNS0_10empty_typeEbEEZZNS1_14partition_implILS8_4ELb0ES6_15HIP_vector_typeIjLj2EENS0_17counting_iteratorIjlEEPS9_SG_NS0_5tupleIJPjSI_NS0_16reverse_iteratorISI_EEEEENSH_IJSG_SG_SG_EEES9_SI_JZNS1_25segmented_radix_sort_implINS0_14default_configELb0EPKdPdPKlPlN2at6native12_GLOBAL__N_18offset_tEEE10hipError_tPvRmT1_PNSt15iterator_traitsIS12_E10value_typeET2_T3_PNS13_IS18_E10value_typeET4_jRbjT5_S1E_jjP12ihipStream_tbEUljE_ZNSN_ISO_Lb0ESQ_SR_ST_SU_SY_EESZ_S10_S11_S12_S16_S17_S18_S1B_S1C_jS1D_jS1E_S1E_jjS1G_bEUljE0_EEESZ_S10_S11_S18_S1C_S1E_T6_T7_T9_mT8_S1G_bDpT10_ENKUlT_T0_E_clISt17integral_constantIbLb0EES1T_IbLb1EEEEDaS1P_S1Q_EUlS1P_E_NS1_11comp_targetILNS1_3genE5ELNS1_11target_archE942ELNS1_3gpuE9ELNS1_3repE0EEENS1_30default_config_static_selectorELNS0_4arch9wavefront6targetE0EEEvS12_ ; -- Begin function _ZN7rocprim17ROCPRIM_400000_NS6detail17trampoline_kernelINS0_13select_configILj256ELj13ELNS0_17block_load_methodE3ELS4_3ELS4_3ELNS0_20block_scan_algorithmE0ELj4294967295EEENS1_25partition_config_selectorILNS1_17partition_subalgoE4EjNS0_10empty_typeEbEEZZNS1_14partition_implILS8_4ELb0ES6_15HIP_vector_typeIjLj2EENS0_17counting_iteratorIjlEEPS9_SG_NS0_5tupleIJPjSI_NS0_16reverse_iteratorISI_EEEEENSH_IJSG_SG_SG_EEES9_SI_JZNS1_25segmented_radix_sort_implINS0_14default_configELb0EPKdPdPKlPlN2at6native12_GLOBAL__N_18offset_tEEE10hipError_tPvRmT1_PNSt15iterator_traitsIS12_E10value_typeET2_T3_PNS13_IS18_E10value_typeET4_jRbjT5_S1E_jjP12ihipStream_tbEUljE_ZNSN_ISO_Lb0ESQ_SR_ST_SU_SY_EESZ_S10_S11_S12_S16_S17_S18_S1B_S1C_jS1D_jS1E_S1E_jjS1G_bEUljE0_EEESZ_S10_S11_S18_S1C_S1E_T6_T7_T9_mT8_S1G_bDpT10_ENKUlT_T0_E_clISt17integral_constantIbLb0EES1T_IbLb1EEEEDaS1P_S1Q_EUlS1P_E_NS1_11comp_targetILNS1_3genE5ELNS1_11target_archE942ELNS1_3gpuE9ELNS1_3repE0EEENS1_30default_config_static_selectorELNS0_4arch9wavefront6targetE0EEEvS12_
	.p2align	8
	.type	_ZN7rocprim17ROCPRIM_400000_NS6detail17trampoline_kernelINS0_13select_configILj256ELj13ELNS0_17block_load_methodE3ELS4_3ELS4_3ELNS0_20block_scan_algorithmE0ELj4294967295EEENS1_25partition_config_selectorILNS1_17partition_subalgoE4EjNS0_10empty_typeEbEEZZNS1_14partition_implILS8_4ELb0ES6_15HIP_vector_typeIjLj2EENS0_17counting_iteratorIjlEEPS9_SG_NS0_5tupleIJPjSI_NS0_16reverse_iteratorISI_EEEEENSH_IJSG_SG_SG_EEES9_SI_JZNS1_25segmented_radix_sort_implINS0_14default_configELb0EPKdPdPKlPlN2at6native12_GLOBAL__N_18offset_tEEE10hipError_tPvRmT1_PNSt15iterator_traitsIS12_E10value_typeET2_T3_PNS13_IS18_E10value_typeET4_jRbjT5_S1E_jjP12ihipStream_tbEUljE_ZNSN_ISO_Lb0ESQ_SR_ST_SU_SY_EESZ_S10_S11_S12_S16_S17_S18_S1B_S1C_jS1D_jS1E_S1E_jjS1G_bEUljE0_EEESZ_S10_S11_S18_S1C_S1E_T6_T7_T9_mT8_S1G_bDpT10_ENKUlT_T0_E_clISt17integral_constantIbLb0EES1T_IbLb1EEEEDaS1P_S1Q_EUlS1P_E_NS1_11comp_targetILNS1_3genE5ELNS1_11target_archE942ELNS1_3gpuE9ELNS1_3repE0EEENS1_30default_config_static_selectorELNS0_4arch9wavefront6targetE0EEEvS12_,@function
_ZN7rocprim17ROCPRIM_400000_NS6detail17trampoline_kernelINS0_13select_configILj256ELj13ELNS0_17block_load_methodE3ELS4_3ELS4_3ELNS0_20block_scan_algorithmE0ELj4294967295EEENS1_25partition_config_selectorILNS1_17partition_subalgoE4EjNS0_10empty_typeEbEEZZNS1_14partition_implILS8_4ELb0ES6_15HIP_vector_typeIjLj2EENS0_17counting_iteratorIjlEEPS9_SG_NS0_5tupleIJPjSI_NS0_16reverse_iteratorISI_EEEEENSH_IJSG_SG_SG_EEES9_SI_JZNS1_25segmented_radix_sort_implINS0_14default_configELb0EPKdPdPKlPlN2at6native12_GLOBAL__N_18offset_tEEE10hipError_tPvRmT1_PNSt15iterator_traitsIS12_E10value_typeET2_T3_PNS13_IS18_E10value_typeET4_jRbjT5_S1E_jjP12ihipStream_tbEUljE_ZNSN_ISO_Lb0ESQ_SR_ST_SU_SY_EESZ_S10_S11_S12_S16_S17_S18_S1B_S1C_jS1D_jS1E_S1E_jjS1G_bEUljE0_EEESZ_S10_S11_S18_S1C_S1E_T6_T7_T9_mT8_S1G_bDpT10_ENKUlT_T0_E_clISt17integral_constantIbLb0EES1T_IbLb1EEEEDaS1P_S1Q_EUlS1P_E_NS1_11comp_targetILNS1_3genE5ELNS1_11target_archE942ELNS1_3gpuE9ELNS1_3repE0EEENS1_30default_config_static_selectorELNS0_4arch9wavefront6targetE0EEEvS12_: ; @_ZN7rocprim17ROCPRIM_400000_NS6detail17trampoline_kernelINS0_13select_configILj256ELj13ELNS0_17block_load_methodE3ELS4_3ELS4_3ELNS0_20block_scan_algorithmE0ELj4294967295EEENS1_25partition_config_selectorILNS1_17partition_subalgoE4EjNS0_10empty_typeEbEEZZNS1_14partition_implILS8_4ELb0ES6_15HIP_vector_typeIjLj2EENS0_17counting_iteratorIjlEEPS9_SG_NS0_5tupleIJPjSI_NS0_16reverse_iteratorISI_EEEEENSH_IJSG_SG_SG_EEES9_SI_JZNS1_25segmented_radix_sort_implINS0_14default_configELb0EPKdPdPKlPlN2at6native12_GLOBAL__N_18offset_tEEE10hipError_tPvRmT1_PNSt15iterator_traitsIS12_E10value_typeET2_T3_PNS13_IS18_E10value_typeET4_jRbjT5_S1E_jjP12ihipStream_tbEUljE_ZNSN_ISO_Lb0ESQ_SR_ST_SU_SY_EESZ_S10_S11_S12_S16_S17_S18_S1B_S1C_jS1D_jS1E_S1E_jjS1G_bEUljE0_EEESZ_S10_S11_S18_S1C_S1E_T6_T7_T9_mT8_S1G_bDpT10_ENKUlT_T0_E_clISt17integral_constantIbLb0EES1T_IbLb1EEEEDaS1P_S1Q_EUlS1P_E_NS1_11comp_targetILNS1_3genE5ELNS1_11target_archE942ELNS1_3gpuE9ELNS1_3repE0EEENS1_30default_config_static_selectorELNS0_4arch9wavefront6targetE0EEEvS12_
; %bb.0:
	.section	.rodata,"a",@progbits
	.p2align	6, 0x0
	.amdhsa_kernel _ZN7rocprim17ROCPRIM_400000_NS6detail17trampoline_kernelINS0_13select_configILj256ELj13ELNS0_17block_load_methodE3ELS4_3ELS4_3ELNS0_20block_scan_algorithmE0ELj4294967295EEENS1_25partition_config_selectorILNS1_17partition_subalgoE4EjNS0_10empty_typeEbEEZZNS1_14partition_implILS8_4ELb0ES6_15HIP_vector_typeIjLj2EENS0_17counting_iteratorIjlEEPS9_SG_NS0_5tupleIJPjSI_NS0_16reverse_iteratorISI_EEEEENSH_IJSG_SG_SG_EEES9_SI_JZNS1_25segmented_radix_sort_implINS0_14default_configELb0EPKdPdPKlPlN2at6native12_GLOBAL__N_18offset_tEEE10hipError_tPvRmT1_PNSt15iterator_traitsIS12_E10value_typeET2_T3_PNS13_IS18_E10value_typeET4_jRbjT5_S1E_jjP12ihipStream_tbEUljE_ZNSN_ISO_Lb0ESQ_SR_ST_SU_SY_EESZ_S10_S11_S12_S16_S17_S18_S1B_S1C_jS1D_jS1E_S1E_jjS1G_bEUljE0_EEESZ_S10_S11_S18_S1C_S1E_T6_T7_T9_mT8_S1G_bDpT10_ENKUlT_T0_E_clISt17integral_constantIbLb0EES1T_IbLb1EEEEDaS1P_S1Q_EUlS1P_E_NS1_11comp_targetILNS1_3genE5ELNS1_11target_archE942ELNS1_3gpuE9ELNS1_3repE0EEENS1_30default_config_static_selectorELNS0_4arch9wavefront6targetE0EEEvS12_
		.amdhsa_group_segment_fixed_size 0
		.amdhsa_private_segment_fixed_size 0
		.amdhsa_kernarg_size 184
		.amdhsa_user_sgpr_count 2
		.amdhsa_user_sgpr_dispatch_ptr 0
		.amdhsa_user_sgpr_queue_ptr 0
		.amdhsa_user_sgpr_kernarg_segment_ptr 1
		.amdhsa_user_sgpr_dispatch_id 0
		.amdhsa_user_sgpr_private_segment_size 0
		.amdhsa_wavefront_size32 1
		.amdhsa_uses_dynamic_stack 0
		.amdhsa_enable_private_segment 0
		.amdhsa_system_sgpr_workgroup_id_x 1
		.amdhsa_system_sgpr_workgroup_id_y 0
		.amdhsa_system_sgpr_workgroup_id_z 0
		.amdhsa_system_sgpr_workgroup_info 0
		.amdhsa_system_vgpr_workitem_id 0
		.amdhsa_next_free_vgpr 1
		.amdhsa_next_free_sgpr 1
		.amdhsa_reserve_vcc 0
		.amdhsa_float_round_mode_32 0
		.amdhsa_float_round_mode_16_64 0
		.amdhsa_float_denorm_mode_32 3
		.amdhsa_float_denorm_mode_16_64 3
		.amdhsa_fp16_overflow 0
		.amdhsa_workgroup_processor_mode 1
		.amdhsa_memory_ordered 1
		.amdhsa_forward_progress 1
		.amdhsa_inst_pref_size 0
		.amdhsa_round_robin_scheduling 0
		.amdhsa_exception_fp_ieee_invalid_op 0
		.amdhsa_exception_fp_denorm_src 0
		.amdhsa_exception_fp_ieee_div_zero 0
		.amdhsa_exception_fp_ieee_overflow 0
		.amdhsa_exception_fp_ieee_underflow 0
		.amdhsa_exception_fp_ieee_inexact 0
		.amdhsa_exception_int_div_zero 0
	.end_amdhsa_kernel
	.section	.text._ZN7rocprim17ROCPRIM_400000_NS6detail17trampoline_kernelINS0_13select_configILj256ELj13ELNS0_17block_load_methodE3ELS4_3ELS4_3ELNS0_20block_scan_algorithmE0ELj4294967295EEENS1_25partition_config_selectorILNS1_17partition_subalgoE4EjNS0_10empty_typeEbEEZZNS1_14partition_implILS8_4ELb0ES6_15HIP_vector_typeIjLj2EENS0_17counting_iteratorIjlEEPS9_SG_NS0_5tupleIJPjSI_NS0_16reverse_iteratorISI_EEEEENSH_IJSG_SG_SG_EEES9_SI_JZNS1_25segmented_radix_sort_implINS0_14default_configELb0EPKdPdPKlPlN2at6native12_GLOBAL__N_18offset_tEEE10hipError_tPvRmT1_PNSt15iterator_traitsIS12_E10value_typeET2_T3_PNS13_IS18_E10value_typeET4_jRbjT5_S1E_jjP12ihipStream_tbEUljE_ZNSN_ISO_Lb0ESQ_SR_ST_SU_SY_EESZ_S10_S11_S12_S16_S17_S18_S1B_S1C_jS1D_jS1E_S1E_jjS1G_bEUljE0_EEESZ_S10_S11_S18_S1C_S1E_T6_T7_T9_mT8_S1G_bDpT10_ENKUlT_T0_E_clISt17integral_constantIbLb0EES1T_IbLb1EEEEDaS1P_S1Q_EUlS1P_E_NS1_11comp_targetILNS1_3genE5ELNS1_11target_archE942ELNS1_3gpuE9ELNS1_3repE0EEENS1_30default_config_static_selectorELNS0_4arch9wavefront6targetE0EEEvS12_,"axG",@progbits,_ZN7rocprim17ROCPRIM_400000_NS6detail17trampoline_kernelINS0_13select_configILj256ELj13ELNS0_17block_load_methodE3ELS4_3ELS4_3ELNS0_20block_scan_algorithmE0ELj4294967295EEENS1_25partition_config_selectorILNS1_17partition_subalgoE4EjNS0_10empty_typeEbEEZZNS1_14partition_implILS8_4ELb0ES6_15HIP_vector_typeIjLj2EENS0_17counting_iteratorIjlEEPS9_SG_NS0_5tupleIJPjSI_NS0_16reverse_iteratorISI_EEEEENSH_IJSG_SG_SG_EEES9_SI_JZNS1_25segmented_radix_sort_implINS0_14default_configELb0EPKdPdPKlPlN2at6native12_GLOBAL__N_18offset_tEEE10hipError_tPvRmT1_PNSt15iterator_traitsIS12_E10value_typeET2_T3_PNS13_IS18_E10value_typeET4_jRbjT5_S1E_jjP12ihipStream_tbEUljE_ZNSN_ISO_Lb0ESQ_SR_ST_SU_SY_EESZ_S10_S11_S12_S16_S17_S18_S1B_S1C_jS1D_jS1E_S1E_jjS1G_bEUljE0_EEESZ_S10_S11_S18_S1C_S1E_T6_T7_T9_mT8_S1G_bDpT10_ENKUlT_T0_E_clISt17integral_constantIbLb0EES1T_IbLb1EEEEDaS1P_S1Q_EUlS1P_E_NS1_11comp_targetILNS1_3genE5ELNS1_11target_archE942ELNS1_3gpuE9ELNS1_3repE0EEENS1_30default_config_static_selectorELNS0_4arch9wavefront6targetE0EEEvS12_,comdat
.Lfunc_end1182:
	.size	_ZN7rocprim17ROCPRIM_400000_NS6detail17trampoline_kernelINS0_13select_configILj256ELj13ELNS0_17block_load_methodE3ELS4_3ELS4_3ELNS0_20block_scan_algorithmE0ELj4294967295EEENS1_25partition_config_selectorILNS1_17partition_subalgoE4EjNS0_10empty_typeEbEEZZNS1_14partition_implILS8_4ELb0ES6_15HIP_vector_typeIjLj2EENS0_17counting_iteratorIjlEEPS9_SG_NS0_5tupleIJPjSI_NS0_16reverse_iteratorISI_EEEEENSH_IJSG_SG_SG_EEES9_SI_JZNS1_25segmented_radix_sort_implINS0_14default_configELb0EPKdPdPKlPlN2at6native12_GLOBAL__N_18offset_tEEE10hipError_tPvRmT1_PNSt15iterator_traitsIS12_E10value_typeET2_T3_PNS13_IS18_E10value_typeET4_jRbjT5_S1E_jjP12ihipStream_tbEUljE_ZNSN_ISO_Lb0ESQ_SR_ST_SU_SY_EESZ_S10_S11_S12_S16_S17_S18_S1B_S1C_jS1D_jS1E_S1E_jjS1G_bEUljE0_EEESZ_S10_S11_S18_S1C_S1E_T6_T7_T9_mT8_S1G_bDpT10_ENKUlT_T0_E_clISt17integral_constantIbLb0EES1T_IbLb1EEEEDaS1P_S1Q_EUlS1P_E_NS1_11comp_targetILNS1_3genE5ELNS1_11target_archE942ELNS1_3gpuE9ELNS1_3repE0EEENS1_30default_config_static_selectorELNS0_4arch9wavefront6targetE0EEEvS12_, .Lfunc_end1182-_ZN7rocprim17ROCPRIM_400000_NS6detail17trampoline_kernelINS0_13select_configILj256ELj13ELNS0_17block_load_methodE3ELS4_3ELS4_3ELNS0_20block_scan_algorithmE0ELj4294967295EEENS1_25partition_config_selectorILNS1_17partition_subalgoE4EjNS0_10empty_typeEbEEZZNS1_14partition_implILS8_4ELb0ES6_15HIP_vector_typeIjLj2EENS0_17counting_iteratorIjlEEPS9_SG_NS0_5tupleIJPjSI_NS0_16reverse_iteratorISI_EEEEENSH_IJSG_SG_SG_EEES9_SI_JZNS1_25segmented_radix_sort_implINS0_14default_configELb0EPKdPdPKlPlN2at6native12_GLOBAL__N_18offset_tEEE10hipError_tPvRmT1_PNSt15iterator_traitsIS12_E10value_typeET2_T3_PNS13_IS18_E10value_typeET4_jRbjT5_S1E_jjP12ihipStream_tbEUljE_ZNSN_ISO_Lb0ESQ_SR_ST_SU_SY_EESZ_S10_S11_S12_S16_S17_S18_S1B_S1C_jS1D_jS1E_S1E_jjS1G_bEUljE0_EEESZ_S10_S11_S18_S1C_S1E_T6_T7_T9_mT8_S1G_bDpT10_ENKUlT_T0_E_clISt17integral_constantIbLb0EES1T_IbLb1EEEEDaS1P_S1Q_EUlS1P_E_NS1_11comp_targetILNS1_3genE5ELNS1_11target_archE942ELNS1_3gpuE9ELNS1_3repE0EEENS1_30default_config_static_selectorELNS0_4arch9wavefront6targetE0EEEvS12_
                                        ; -- End function
	.set _ZN7rocprim17ROCPRIM_400000_NS6detail17trampoline_kernelINS0_13select_configILj256ELj13ELNS0_17block_load_methodE3ELS4_3ELS4_3ELNS0_20block_scan_algorithmE0ELj4294967295EEENS1_25partition_config_selectorILNS1_17partition_subalgoE4EjNS0_10empty_typeEbEEZZNS1_14partition_implILS8_4ELb0ES6_15HIP_vector_typeIjLj2EENS0_17counting_iteratorIjlEEPS9_SG_NS0_5tupleIJPjSI_NS0_16reverse_iteratorISI_EEEEENSH_IJSG_SG_SG_EEES9_SI_JZNS1_25segmented_radix_sort_implINS0_14default_configELb0EPKdPdPKlPlN2at6native12_GLOBAL__N_18offset_tEEE10hipError_tPvRmT1_PNSt15iterator_traitsIS12_E10value_typeET2_T3_PNS13_IS18_E10value_typeET4_jRbjT5_S1E_jjP12ihipStream_tbEUljE_ZNSN_ISO_Lb0ESQ_SR_ST_SU_SY_EESZ_S10_S11_S12_S16_S17_S18_S1B_S1C_jS1D_jS1E_S1E_jjS1G_bEUljE0_EEESZ_S10_S11_S18_S1C_S1E_T6_T7_T9_mT8_S1G_bDpT10_ENKUlT_T0_E_clISt17integral_constantIbLb0EES1T_IbLb1EEEEDaS1P_S1Q_EUlS1P_E_NS1_11comp_targetILNS1_3genE5ELNS1_11target_archE942ELNS1_3gpuE9ELNS1_3repE0EEENS1_30default_config_static_selectorELNS0_4arch9wavefront6targetE0EEEvS12_.num_vgpr, 0
	.set _ZN7rocprim17ROCPRIM_400000_NS6detail17trampoline_kernelINS0_13select_configILj256ELj13ELNS0_17block_load_methodE3ELS4_3ELS4_3ELNS0_20block_scan_algorithmE0ELj4294967295EEENS1_25partition_config_selectorILNS1_17partition_subalgoE4EjNS0_10empty_typeEbEEZZNS1_14partition_implILS8_4ELb0ES6_15HIP_vector_typeIjLj2EENS0_17counting_iteratorIjlEEPS9_SG_NS0_5tupleIJPjSI_NS0_16reverse_iteratorISI_EEEEENSH_IJSG_SG_SG_EEES9_SI_JZNS1_25segmented_radix_sort_implINS0_14default_configELb0EPKdPdPKlPlN2at6native12_GLOBAL__N_18offset_tEEE10hipError_tPvRmT1_PNSt15iterator_traitsIS12_E10value_typeET2_T3_PNS13_IS18_E10value_typeET4_jRbjT5_S1E_jjP12ihipStream_tbEUljE_ZNSN_ISO_Lb0ESQ_SR_ST_SU_SY_EESZ_S10_S11_S12_S16_S17_S18_S1B_S1C_jS1D_jS1E_S1E_jjS1G_bEUljE0_EEESZ_S10_S11_S18_S1C_S1E_T6_T7_T9_mT8_S1G_bDpT10_ENKUlT_T0_E_clISt17integral_constantIbLb0EES1T_IbLb1EEEEDaS1P_S1Q_EUlS1P_E_NS1_11comp_targetILNS1_3genE5ELNS1_11target_archE942ELNS1_3gpuE9ELNS1_3repE0EEENS1_30default_config_static_selectorELNS0_4arch9wavefront6targetE0EEEvS12_.num_agpr, 0
	.set _ZN7rocprim17ROCPRIM_400000_NS6detail17trampoline_kernelINS0_13select_configILj256ELj13ELNS0_17block_load_methodE3ELS4_3ELS4_3ELNS0_20block_scan_algorithmE0ELj4294967295EEENS1_25partition_config_selectorILNS1_17partition_subalgoE4EjNS0_10empty_typeEbEEZZNS1_14partition_implILS8_4ELb0ES6_15HIP_vector_typeIjLj2EENS0_17counting_iteratorIjlEEPS9_SG_NS0_5tupleIJPjSI_NS0_16reverse_iteratorISI_EEEEENSH_IJSG_SG_SG_EEES9_SI_JZNS1_25segmented_radix_sort_implINS0_14default_configELb0EPKdPdPKlPlN2at6native12_GLOBAL__N_18offset_tEEE10hipError_tPvRmT1_PNSt15iterator_traitsIS12_E10value_typeET2_T3_PNS13_IS18_E10value_typeET4_jRbjT5_S1E_jjP12ihipStream_tbEUljE_ZNSN_ISO_Lb0ESQ_SR_ST_SU_SY_EESZ_S10_S11_S12_S16_S17_S18_S1B_S1C_jS1D_jS1E_S1E_jjS1G_bEUljE0_EEESZ_S10_S11_S18_S1C_S1E_T6_T7_T9_mT8_S1G_bDpT10_ENKUlT_T0_E_clISt17integral_constantIbLb0EES1T_IbLb1EEEEDaS1P_S1Q_EUlS1P_E_NS1_11comp_targetILNS1_3genE5ELNS1_11target_archE942ELNS1_3gpuE9ELNS1_3repE0EEENS1_30default_config_static_selectorELNS0_4arch9wavefront6targetE0EEEvS12_.numbered_sgpr, 0
	.set _ZN7rocprim17ROCPRIM_400000_NS6detail17trampoline_kernelINS0_13select_configILj256ELj13ELNS0_17block_load_methodE3ELS4_3ELS4_3ELNS0_20block_scan_algorithmE0ELj4294967295EEENS1_25partition_config_selectorILNS1_17partition_subalgoE4EjNS0_10empty_typeEbEEZZNS1_14partition_implILS8_4ELb0ES6_15HIP_vector_typeIjLj2EENS0_17counting_iteratorIjlEEPS9_SG_NS0_5tupleIJPjSI_NS0_16reverse_iteratorISI_EEEEENSH_IJSG_SG_SG_EEES9_SI_JZNS1_25segmented_radix_sort_implINS0_14default_configELb0EPKdPdPKlPlN2at6native12_GLOBAL__N_18offset_tEEE10hipError_tPvRmT1_PNSt15iterator_traitsIS12_E10value_typeET2_T3_PNS13_IS18_E10value_typeET4_jRbjT5_S1E_jjP12ihipStream_tbEUljE_ZNSN_ISO_Lb0ESQ_SR_ST_SU_SY_EESZ_S10_S11_S12_S16_S17_S18_S1B_S1C_jS1D_jS1E_S1E_jjS1G_bEUljE0_EEESZ_S10_S11_S18_S1C_S1E_T6_T7_T9_mT8_S1G_bDpT10_ENKUlT_T0_E_clISt17integral_constantIbLb0EES1T_IbLb1EEEEDaS1P_S1Q_EUlS1P_E_NS1_11comp_targetILNS1_3genE5ELNS1_11target_archE942ELNS1_3gpuE9ELNS1_3repE0EEENS1_30default_config_static_selectorELNS0_4arch9wavefront6targetE0EEEvS12_.num_named_barrier, 0
	.set _ZN7rocprim17ROCPRIM_400000_NS6detail17trampoline_kernelINS0_13select_configILj256ELj13ELNS0_17block_load_methodE3ELS4_3ELS4_3ELNS0_20block_scan_algorithmE0ELj4294967295EEENS1_25partition_config_selectorILNS1_17partition_subalgoE4EjNS0_10empty_typeEbEEZZNS1_14partition_implILS8_4ELb0ES6_15HIP_vector_typeIjLj2EENS0_17counting_iteratorIjlEEPS9_SG_NS0_5tupleIJPjSI_NS0_16reverse_iteratorISI_EEEEENSH_IJSG_SG_SG_EEES9_SI_JZNS1_25segmented_radix_sort_implINS0_14default_configELb0EPKdPdPKlPlN2at6native12_GLOBAL__N_18offset_tEEE10hipError_tPvRmT1_PNSt15iterator_traitsIS12_E10value_typeET2_T3_PNS13_IS18_E10value_typeET4_jRbjT5_S1E_jjP12ihipStream_tbEUljE_ZNSN_ISO_Lb0ESQ_SR_ST_SU_SY_EESZ_S10_S11_S12_S16_S17_S18_S1B_S1C_jS1D_jS1E_S1E_jjS1G_bEUljE0_EEESZ_S10_S11_S18_S1C_S1E_T6_T7_T9_mT8_S1G_bDpT10_ENKUlT_T0_E_clISt17integral_constantIbLb0EES1T_IbLb1EEEEDaS1P_S1Q_EUlS1P_E_NS1_11comp_targetILNS1_3genE5ELNS1_11target_archE942ELNS1_3gpuE9ELNS1_3repE0EEENS1_30default_config_static_selectorELNS0_4arch9wavefront6targetE0EEEvS12_.private_seg_size, 0
	.set _ZN7rocprim17ROCPRIM_400000_NS6detail17trampoline_kernelINS0_13select_configILj256ELj13ELNS0_17block_load_methodE3ELS4_3ELS4_3ELNS0_20block_scan_algorithmE0ELj4294967295EEENS1_25partition_config_selectorILNS1_17partition_subalgoE4EjNS0_10empty_typeEbEEZZNS1_14partition_implILS8_4ELb0ES6_15HIP_vector_typeIjLj2EENS0_17counting_iteratorIjlEEPS9_SG_NS0_5tupleIJPjSI_NS0_16reverse_iteratorISI_EEEEENSH_IJSG_SG_SG_EEES9_SI_JZNS1_25segmented_radix_sort_implINS0_14default_configELb0EPKdPdPKlPlN2at6native12_GLOBAL__N_18offset_tEEE10hipError_tPvRmT1_PNSt15iterator_traitsIS12_E10value_typeET2_T3_PNS13_IS18_E10value_typeET4_jRbjT5_S1E_jjP12ihipStream_tbEUljE_ZNSN_ISO_Lb0ESQ_SR_ST_SU_SY_EESZ_S10_S11_S12_S16_S17_S18_S1B_S1C_jS1D_jS1E_S1E_jjS1G_bEUljE0_EEESZ_S10_S11_S18_S1C_S1E_T6_T7_T9_mT8_S1G_bDpT10_ENKUlT_T0_E_clISt17integral_constantIbLb0EES1T_IbLb1EEEEDaS1P_S1Q_EUlS1P_E_NS1_11comp_targetILNS1_3genE5ELNS1_11target_archE942ELNS1_3gpuE9ELNS1_3repE0EEENS1_30default_config_static_selectorELNS0_4arch9wavefront6targetE0EEEvS12_.uses_vcc, 0
	.set _ZN7rocprim17ROCPRIM_400000_NS6detail17trampoline_kernelINS0_13select_configILj256ELj13ELNS0_17block_load_methodE3ELS4_3ELS4_3ELNS0_20block_scan_algorithmE0ELj4294967295EEENS1_25partition_config_selectorILNS1_17partition_subalgoE4EjNS0_10empty_typeEbEEZZNS1_14partition_implILS8_4ELb0ES6_15HIP_vector_typeIjLj2EENS0_17counting_iteratorIjlEEPS9_SG_NS0_5tupleIJPjSI_NS0_16reverse_iteratorISI_EEEEENSH_IJSG_SG_SG_EEES9_SI_JZNS1_25segmented_radix_sort_implINS0_14default_configELb0EPKdPdPKlPlN2at6native12_GLOBAL__N_18offset_tEEE10hipError_tPvRmT1_PNSt15iterator_traitsIS12_E10value_typeET2_T3_PNS13_IS18_E10value_typeET4_jRbjT5_S1E_jjP12ihipStream_tbEUljE_ZNSN_ISO_Lb0ESQ_SR_ST_SU_SY_EESZ_S10_S11_S12_S16_S17_S18_S1B_S1C_jS1D_jS1E_S1E_jjS1G_bEUljE0_EEESZ_S10_S11_S18_S1C_S1E_T6_T7_T9_mT8_S1G_bDpT10_ENKUlT_T0_E_clISt17integral_constantIbLb0EES1T_IbLb1EEEEDaS1P_S1Q_EUlS1P_E_NS1_11comp_targetILNS1_3genE5ELNS1_11target_archE942ELNS1_3gpuE9ELNS1_3repE0EEENS1_30default_config_static_selectorELNS0_4arch9wavefront6targetE0EEEvS12_.uses_flat_scratch, 0
	.set _ZN7rocprim17ROCPRIM_400000_NS6detail17trampoline_kernelINS0_13select_configILj256ELj13ELNS0_17block_load_methodE3ELS4_3ELS4_3ELNS0_20block_scan_algorithmE0ELj4294967295EEENS1_25partition_config_selectorILNS1_17partition_subalgoE4EjNS0_10empty_typeEbEEZZNS1_14partition_implILS8_4ELb0ES6_15HIP_vector_typeIjLj2EENS0_17counting_iteratorIjlEEPS9_SG_NS0_5tupleIJPjSI_NS0_16reverse_iteratorISI_EEEEENSH_IJSG_SG_SG_EEES9_SI_JZNS1_25segmented_radix_sort_implINS0_14default_configELb0EPKdPdPKlPlN2at6native12_GLOBAL__N_18offset_tEEE10hipError_tPvRmT1_PNSt15iterator_traitsIS12_E10value_typeET2_T3_PNS13_IS18_E10value_typeET4_jRbjT5_S1E_jjP12ihipStream_tbEUljE_ZNSN_ISO_Lb0ESQ_SR_ST_SU_SY_EESZ_S10_S11_S12_S16_S17_S18_S1B_S1C_jS1D_jS1E_S1E_jjS1G_bEUljE0_EEESZ_S10_S11_S18_S1C_S1E_T6_T7_T9_mT8_S1G_bDpT10_ENKUlT_T0_E_clISt17integral_constantIbLb0EES1T_IbLb1EEEEDaS1P_S1Q_EUlS1P_E_NS1_11comp_targetILNS1_3genE5ELNS1_11target_archE942ELNS1_3gpuE9ELNS1_3repE0EEENS1_30default_config_static_selectorELNS0_4arch9wavefront6targetE0EEEvS12_.has_dyn_sized_stack, 0
	.set _ZN7rocprim17ROCPRIM_400000_NS6detail17trampoline_kernelINS0_13select_configILj256ELj13ELNS0_17block_load_methodE3ELS4_3ELS4_3ELNS0_20block_scan_algorithmE0ELj4294967295EEENS1_25partition_config_selectorILNS1_17partition_subalgoE4EjNS0_10empty_typeEbEEZZNS1_14partition_implILS8_4ELb0ES6_15HIP_vector_typeIjLj2EENS0_17counting_iteratorIjlEEPS9_SG_NS0_5tupleIJPjSI_NS0_16reverse_iteratorISI_EEEEENSH_IJSG_SG_SG_EEES9_SI_JZNS1_25segmented_radix_sort_implINS0_14default_configELb0EPKdPdPKlPlN2at6native12_GLOBAL__N_18offset_tEEE10hipError_tPvRmT1_PNSt15iterator_traitsIS12_E10value_typeET2_T3_PNS13_IS18_E10value_typeET4_jRbjT5_S1E_jjP12ihipStream_tbEUljE_ZNSN_ISO_Lb0ESQ_SR_ST_SU_SY_EESZ_S10_S11_S12_S16_S17_S18_S1B_S1C_jS1D_jS1E_S1E_jjS1G_bEUljE0_EEESZ_S10_S11_S18_S1C_S1E_T6_T7_T9_mT8_S1G_bDpT10_ENKUlT_T0_E_clISt17integral_constantIbLb0EES1T_IbLb1EEEEDaS1P_S1Q_EUlS1P_E_NS1_11comp_targetILNS1_3genE5ELNS1_11target_archE942ELNS1_3gpuE9ELNS1_3repE0EEENS1_30default_config_static_selectorELNS0_4arch9wavefront6targetE0EEEvS12_.has_recursion, 0
	.set _ZN7rocprim17ROCPRIM_400000_NS6detail17trampoline_kernelINS0_13select_configILj256ELj13ELNS0_17block_load_methodE3ELS4_3ELS4_3ELNS0_20block_scan_algorithmE0ELj4294967295EEENS1_25partition_config_selectorILNS1_17partition_subalgoE4EjNS0_10empty_typeEbEEZZNS1_14partition_implILS8_4ELb0ES6_15HIP_vector_typeIjLj2EENS0_17counting_iteratorIjlEEPS9_SG_NS0_5tupleIJPjSI_NS0_16reverse_iteratorISI_EEEEENSH_IJSG_SG_SG_EEES9_SI_JZNS1_25segmented_radix_sort_implINS0_14default_configELb0EPKdPdPKlPlN2at6native12_GLOBAL__N_18offset_tEEE10hipError_tPvRmT1_PNSt15iterator_traitsIS12_E10value_typeET2_T3_PNS13_IS18_E10value_typeET4_jRbjT5_S1E_jjP12ihipStream_tbEUljE_ZNSN_ISO_Lb0ESQ_SR_ST_SU_SY_EESZ_S10_S11_S12_S16_S17_S18_S1B_S1C_jS1D_jS1E_S1E_jjS1G_bEUljE0_EEESZ_S10_S11_S18_S1C_S1E_T6_T7_T9_mT8_S1G_bDpT10_ENKUlT_T0_E_clISt17integral_constantIbLb0EES1T_IbLb1EEEEDaS1P_S1Q_EUlS1P_E_NS1_11comp_targetILNS1_3genE5ELNS1_11target_archE942ELNS1_3gpuE9ELNS1_3repE0EEENS1_30default_config_static_selectorELNS0_4arch9wavefront6targetE0EEEvS12_.has_indirect_call, 0
	.section	.AMDGPU.csdata,"",@progbits
; Kernel info:
; codeLenInByte = 0
; TotalNumSgprs: 0
; NumVgprs: 0
; ScratchSize: 0
; MemoryBound: 0
; FloatMode: 240
; IeeeMode: 1
; LDSByteSize: 0 bytes/workgroup (compile time only)
; SGPRBlocks: 0
; VGPRBlocks: 0
; NumSGPRsForWavesPerEU: 1
; NumVGPRsForWavesPerEU: 1
; Occupancy: 16
; WaveLimiterHint : 0
; COMPUTE_PGM_RSRC2:SCRATCH_EN: 0
; COMPUTE_PGM_RSRC2:USER_SGPR: 2
; COMPUTE_PGM_RSRC2:TRAP_HANDLER: 0
; COMPUTE_PGM_RSRC2:TGID_X_EN: 1
; COMPUTE_PGM_RSRC2:TGID_Y_EN: 0
; COMPUTE_PGM_RSRC2:TGID_Z_EN: 0
; COMPUTE_PGM_RSRC2:TIDIG_COMP_CNT: 0
	.section	.text._ZN7rocprim17ROCPRIM_400000_NS6detail17trampoline_kernelINS0_13select_configILj256ELj13ELNS0_17block_load_methodE3ELS4_3ELS4_3ELNS0_20block_scan_algorithmE0ELj4294967295EEENS1_25partition_config_selectorILNS1_17partition_subalgoE4EjNS0_10empty_typeEbEEZZNS1_14partition_implILS8_4ELb0ES6_15HIP_vector_typeIjLj2EENS0_17counting_iteratorIjlEEPS9_SG_NS0_5tupleIJPjSI_NS0_16reverse_iteratorISI_EEEEENSH_IJSG_SG_SG_EEES9_SI_JZNS1_25segmented_radix_sort_implINS0_14default_configELb0EPKdPdPKlPlN2at6native12_GLOBAL__N_18offset_tEEE10hipError_tPvRmT1_PNSt15iterator_traitsIS12_E10value_typeET2_T3_PNS13_IS18_E10value_typeET4_jRbjT5_S1E_jjP12ihipStream_tbEUljE_ZNSN_ISO_Lb0ESQ_SR_ST_SU_SY_EESZ_S10_S11_S12_S16_S17_S18_S1B_S1C_jS1D_jS1E_S1E_jjS1G_bEUljE0_EEESZ_S10_S11_S18_S1C_S1E_T6_T7_T9_mT8_S1G_bDpT10_ENKUlT_T0_E_clISt17integral_constantIbLb0EES1T_IbLb1EEEEDaS1P_S1Q_EUlS1P_E_NS1_11comp_targetILNS1_3genE4ELNS1_11target_archE910ELNS1_3gpuE8ELNS1_3repE0EEENS1_30default_config_static_selectorELNS0_4arch9wavefront6targetE0EEEvS12_,"axG",@progbits,_ZN7rocprim17ROCPRIM_400000_NS6detail17trampoline_kernelINS0_13select_configILj256ELj13ELNS0_17block_load_methodE3ELS4_3ELS4_3ELNS0_20block_scan_algorithmE0ELj4294967295EEENS1_25partition_config_selectorILNS1_17partition_subalgoE4EjNS0_10empty_typeEbEEZZNS1_14partition_implILS8_4ELb0ES6_15HIP_vector_typeIjLj2EENS0_17counting_iteratorIjlEEPS9_SG_NS0_5tupleIJPjSI_NS0_16reverse_iteratorISI_EEEEENSH_IJSG_SG_SG_EEES9_SI_JZNS1_25segmented_radix_sort_implINS0_14default_configELb0EPKdPdPKlPlN2at6native12_GLOBAL__N_18offset_tEEE10hipError_tPvRmT1_PNSt15iterator_traitsIS12_E10value_typeET2_T3_PNS13_IS18_E10value_typeET4_jRbjT5_S1E_jjP12ihipStream_tbEUljE_ZNSN_ISO_Lb0ESQ_SR_ST_SU_SY_EESZ_S10_S11_S12_S16_S17_S18_S1B_S1C_jS1D_jS1E_S1E_jjS1G_bEUljE0_EEESZ_S10_S11_S18_S1C_S1E_T6_T7_T9_mT8_S1G_bDpT10_ENKUlT_T0_E_clISt17integral_constantIbLb0EES1T_IbLb1EEEEDaS1P_S1Q_EUlS1P_E_NS1_11comp_targetILNS1_3genE4ELNS1_11target_archE910ELNS1_3gpuE8ELNS1_3repE0EEENS1_30default_config_static_selectorELNS0_4arch9wavefront6targetE0EEEvS12_,comdat
	.globl	_ZN7rocprim17ROCPRIM_400000_NS6detail17trampoline_kernelINS0_13select_configILj256ELj13ELNS0_17block_load_methodE3ELS4_3ELS4_3ELNS0_20block_scan_algorithmE0ELj4294967295EEENS1_25partition_config_selectorILNS1_17partition_subalgoE4EjNS0_10empty_typeEbEEZZNS1_14partition_implILS8_4ELb0ES6_15HIP_vector_typeIjLj2EENS0_17counting_iteratorIjlEEPS9_SG_NS0_5tupleIJPjSI_NS0_16reverse_iteratorISI_EEEEENSH_IJSG_SG_SG_EEES9_SI_JZNS1_25segmented_radix_sort_implINS0_14default_configELb0EPKdPdPKlPlN2at6native12_GLOBAL__N_18offset_tEEE10hipError_tPvRmT1_PNSt15iterator_traitsIS12_E10value_typeET2_T3_PNS13_IS18_E10value_typeET4_jRbjT5_S1E_jjP12ihipStream_tbEUljE_ZNSN_ISO_Lb0ESQ_SR_ST_SU_SY_EESZ_S10_S11_S12_S16_S17_S18_S1B_S1C_jS1D_jS1E_S1E_jjS1G_bEUljE0_EEESZ_S10_S11_S18_S1C_S1E_T6_T7_T9_mT8_S1G_bDpT10_ENKUlT_T0_E_clISt17integral_constantIbLb0EES1T_IbLb1EEEEDaS1P_S1Q_EUlS1P_E_NS1_11comp_targetILNS1_3genE4ELNS1_11target_archE910ELNS1_3gpuE8ELNS1_3repE0EEENS1_30default_config_static_selectorELNS0_4arch9wavefront6targetE0EEEvS12_ ; -- Begin function _ZN7rocprim17ROCPRIM_400000_NS6detail17trampoline_kernelINS0_13select_configILj256ELj13ELNS0_17block_load_methodE3ELS4_3ELS4_3ELNS0_20block_scan_algorithmE0ELj4294967295EEENS1_25partition_config_selectorILNS1_17partition_subalgoE4EjNS0_10empty_typeEbEEZZNS1_14partition_implILS8_4ELb0ES6_15HIP_vector_typeIjLj2EENS0_17counting_iteratorIjlEEPS9_SG_NS0_5tupleIJPjSI_NS0_16reverse_iteratorISI_EEEEENSH_IJSG_SG_SG_EEES9_SI_JZNS1_25segmented_radix_sort_implINS0_14default_configELb0EPKdPdPKlPlN2at6native12_GLOBAL__N_18offset_tEEE10hipError_tPvRmT1_PNSt15iterator_traitsIS12_E10value_typeET2_T3_PNS13_IS18_E10value_typeET4_jRbjT5_S1E_jjP12ihipStream_tbEUljE_ZNSN_ISO_Lb0ESQ_SR_ST_SU_SY_EESZ_S10_S11_S12_S16_S17_S18_S1B_S1C_jS1D_jS1E_S1E_jjS1G_bEUljE0_EEESZ_S10_S11_S18_S1C_S1E_T6_T7_T9_mT8_S1G_bDpT10_ENKUlT_T0_E_clISt17integral_constantIbLb0EES1T_IbLb1EEEEDaS1P_S1Q_EUlS1P_E_NS1_11comp_targetILNS1_3genE4ELNS1_11target_archE910ELNS1_3gpuE8ELNS1_3repE0EEENS1_30default_config_static_selectorELNS0_4arch9wavefront6targetE0EEEvS12_
	.p2align	8
	.type	_ZN7rocprim17ROCPRIM_400000_NS6detail17trampoline_kernelINS0_13select_configILj256ELj13ELNS0_17block_load_methodE3ELS4_3ELS4_3ELNS0_20block_scan_algorithmE0ELj4294967295EEENS1_25partition_config_selectorILNS1_17partition_subalgoE4EjNS0_10empty_typeEbEEZZNS1_14partition_implILS8_4ELb0ES6_15HIP_vector_typeIjLj2EENS0_17counting_iteratorIjlEEPS9_SG_NS0_5tupleIJPjSI_NS0_16reverse_iteratorISI_EEEEENSH_IJSG_SG_SG_EEES9_SI_JZNS1_25segmented_radix_sort_implINS0_14default_configELb0EPKdPdPKlPlN2at6native12_GLOBAL__N_18offset_tEEE10hipError_tPvRmT1_PNSt15iterator_traitsIS12_E10value_typeET2_T3_PNS13_IS18_E10value_typeET4_jRbjT5_S1E_jjP12ihipStream_tbEUljE_ZNSN_ISO_Lb0ESQ_SR_ST_SU_SY_EESZ_S10_S11_S12_S16_S17_S18_S1B_S1C_jS1D_jS1E_S1E_jjS1G_bEUljE0_EEESZ_S10_S11_S18_S1C_S1E_T6_T7_T9_mT8_S1G_bDpT10_ENKUlT_T0_E_clISt17integral_constantIbLb0EES1T_IbLb1EEEEDaS1P_S1Q_EUlS1P_E_NS1_11comp_targetILNS1_3genE4ELNS1_11target_archE910ELNS1_3gpuE8ELNS1_3repE0EEENS1_30default_config_static_selectorELNS0_4arch9wavefront6targetE0EEEvS12_,@function
_ZN7rocprim17ROCPRIM_400000_NS6detail17trampoline_kernelINS0_13select_configILj256ELj13ELNS0_17block_load_methodE3ELS4_3ELS4_3ELNS0_20block_scan_algorithmE0ELj4294967295EEENS1_25partition_config_selectorILNS1_17partition_subalgoE4EjNS0_10empty_typeEbEEZZNS1_14partition_implILS8_4ELb0ES6_15HIP_vector_typeIjLj2EENS0_17counting_iteratorIjlEEPS9_SG_NS0_5tupleIJPjSI_NS0_16reverse_iteratorISI_EEEEENSH_IJSG_SG_SG_EEES9_SI_JZNS1_25segmented_radix_sort_implINS0_14default_configELb0EPKdPdPKlPlN2at6native12_GLOBAL__N_18offset_tEEE10hipError_tPvRmT1_PNSt15iterator_traitsIS12_E10value_typeET2_T3_PNS13_IS18_E10value_typeET4_jRbjT5_S1E_jjP12ihipStream_tbEUljE_ZNSN_ISO_Lb0ESQ_SR_ST_SU_SY_EESZ_S10_S11_S12_S16_S17_S18_S1B_S1C_jS1D_jS1E_S1E_jjS1G_bEUljE0_EEESZ_S10_S11_S18_S1C_S1E_T6_T7_T9_mT8_S1G_bDpT10_ENKUlT_T0_E_clISt17integral_constantIbLb0EES1T_IbLb1EEEEDaS1P_S1Q_EUlS1P_E_NS1_11comp_targetILNS1_3genE4ELNS1_11target_archE910ELNS1_3gpuE8ELNS1_3repE0EEENS1_30default_config_static_selectorELNS0_4arch9wavefront6targetE0EEEvS12_: ; @_ZN7rocprim17ROCPRIM_400000_NS6detail17trampoline_kernelINS0_13select_configILj256ELj13ELNS0_17block_load_methodE3ELS4_3ELS4_3ELNS0_20block_scan_algorithmE0ELj4294967295EEENS1_25partition_config_selectorILNS1_17partition_subalgoE4EjNS0_10empty_typeEbEEZZNS1_14partition_implILS8_4ELb0ES6_15HIP_vector_typeIjLj2EENS0_17counting_iteratorIjlEEPS9_SG_NS0_5tupleIJPjSI_NS0_16reverse_iteratorISI_EEEEENSH_IJSG_SG_SG_EEES9_SI_JZNS1_25segmented_radix_sort_implINS0_14default_configELb0EPKdPdPKlPlN2at6native12_GLOBAL__N_18offset_tEEE10hipError_tPvRmT1_PNSt15iterator_traitsIS12_E10value_typeET2_T3_PNS13_IS18_E10value_typeET4_jRbjT5_S1E_jjP12ihipStream_tbEUljE_ZNSN_ISO_Lb0ESQ_SR_ST_SU_SY_EESZ_S10_S11_S12_S16_S17_S18_S1B_S1C_jS1D_jS1E_S1E_jjS1G_bEUljE0_EEESZ_S10_S11_S18_S1C_S1E_T6_T7_T9_mT8_S1G_bDpT10_ENKUlT_T0_E_clISt17integral_constantIbLb0EES1T_IbLb1EEEEDaS1P_S1Q_EUlS1P_E_NS1_11comp_targetILNS1_3genE4ELNS1_11target_archE910ELNS1_3gpuE8ELNS1_3repE0EEENS1_30default_config_static_selectorELNS0_4arch9wavefront6targetE0EEEvS12_
; %bb.0:
	.section	.rodata,"a",@progbits
	.p2align	6, 0x0
	.amdhsa_kernel _ZN7rocprim17ROCPRIM_400000_NS6detail17trampoline_kernelINS0_13select_configILj256ELj13ELNS0_17block_load_methodE3ELS4_3ELS4_3ELNS0_20block_scan_algorithmE0ELj4294967295EEENS1_25partition_config_selectorILNS1_17partition_subalgoE4EjNS0_10empty_typeEbEEZZNS1_14partition_implILS8_4ELb0ES6_15HIP_vector_typeIjLj2EENS0_17counting_iteratorIjlEEPS9_SG_NS0_5tupleIJPjSI_NS0_16reverse_iteratorISI_EEEEENSH_IJSG_SG_SG_EEES9_SI_JZNS1_25segmented_radix_sort_implINS0_14default_configELb0EPKdPdPKlPlN2at6native12_GLOBAL__N_18offset_tEEE10hipError_tPvRmT1_PNSt15iterator_traitsIS12_E10value_typeET2_T3_PNS13_IS18_E10value_typeET4_jRbjT5_S1E_jjP12ihipStream_tbEUljE_ZNSN_ISO_Lb0ESQ_SR_ST_SU_SY_EESZ_S10_S11_S12_S16_S17_S18_S1B_S1C_jS1D_jS1E_S1E_jjS1G_bEUljE0_EEESZ_S10_S11_S18_S1C_S1E_T6_T7_T9_mT8_S1G_bDpT10_ENKUlT_T0_E_clISt17integral_constantIbLb0EES1T_IbLb1EEEEDaS1P_S1Q_EUlS1P_E_NS1_11comp_targetILNS1_3genE4ELNS1_11target_archE910ELNS1_3gpuE8ELNS1_3repE0EEENS1_30default_config_static_selectorELNS0_4arch9wavefront6targetE0EEEvS12_
		.amdhsa_group_segment_fixed_size 0
		.amdhsa_private_segment_fixed_size 0
		.amdhsa_kernarg_size 184
		.amdhsa_user_sgpr_count 2
		.amdhsa_user_sgpr_dispatch_ptr 0
		.amdhsa_user_sgpr_queue_ptr 0
		.amdhsa_user_sgpr_kernarg_segment_ptr 1
		.amdhsa_user_sgpr_dispatch_id 0
		.amdhsa_user_sgpr_private_segment_size 0
		.amdhsa_wavefront_size32 1
		.amdhsa_uses_dynamic_stack 0
		.amdhsa_enable_private_segment 0
		.amdhsa_system_sgpr_workgroup_id_x 1
		.amdhsa_system_sgpr_workgroup_id_y 0
		.amdhsa_system_sgpr_workgroup_id_z 0
		.amdhsa_system_sgpr_workgroup_info 0
		.amdhsa_system_vgpr_workitem_id 0
		.amdhsa_next_free_vgpr 1
		.amdhsa_next_free_sgpr 1
		.amdhsa_reserve_vcc 0
		.amdhsa_float_round_mode_32 0
		.amdhsa_float_round_mode_16_64 0
		.amdhsa_float_denorm_mode_32 3
		.amdhsa_float_denorm_mode_16_64 3
		.amdhsa_fp16_overflow 0
		.amdhsa_workgroup_processor_mode 1
		.amdhsa_memory_ordered 1
		.amdhsa_forward_progress 1
		.amdhsa_inst_pref_size 0
		.amdhsa_round_robin_scheduling 0
		.amdhsa_exception_fp_ieee_invalid_op 0
		.amdhsa_exception_fp_denorm_src 0
		.amdhsa_exception_fp_ieee_div_zero 0
		.amdhsa_exception_fp_ieee_overflow 0
		.amdhsa_exception_fp_ieee_underflow 0
		.amdhsa_exception_fp_ieee_inexact 0
		.amdhsa_exception_int_div_zero 0
	.end_amdhsa_kernel
	.section	.text._ZN7rocprim17ROCPRIM_400000_NS6detail17trampoline_kernelINS0_13select_configILj256ELj13ELNS0_17block_load_methodE3ELS4_3ELS4_3ELNS0_20block_scan_algorithmE0ELj4294967295EEENS1_25partition_config_selectorILNS1_17partition_subalgoE4EjNS0_10empty_typeEbEEZZNS1_14partition_implILS8_4ELb0ES6_15HIP_vector_typeIjLj2EENS0_17counting_iteratorIjlEEPS9_SG_NS0_5tupleIJPjSI_NS0_16reverse_iteratorISI_EEEEENSH_IJSG_SG_SG_EEES9_SI_JZNS1_25segmented_radix_sort_implINS0_14default_configELb0EPKdPdPKlPlN2at6native12_GLOBAL__N_18offset_tEEE10hipError_tPvRmT1_PNSt15iterator_traitsIS12_E10value_typeET2_T3_PNS13_IS18_E10value_typeET4_jRbjT5_S1E_jjP12ihipStream_tbEUljE_ZNSN_ISO_Lb0ESQ_SR_ST_SU_SY_EESZ_S10_S11_S12_S16_S17_S18_S1B_S1C_jS1D_jS1E_S1E_jjS1G_bEUljE0_EEESZ_S10_S11_S18_S1C_S1E_T6_T7_T9_mT8_S1G_bDpT10_ENKUlT_T0_E_clISt17integral_constantIbLb0EES1T_IbLb1EEEEDaS1P_S1Q_EUlS1P_E_NS1_11comp_targetILNS1_3genE4ELNS1_11target_archE910ELNS1_3gpuE8ELNS1_3repE0EEENS1_30default_config_static_selectorELNS0_4arch9wavefront6targetE0EEEvS12_,"axG",@progbits,_ZN7rocprim17ROCPRIM_400000_NS6detail17trampoline_kernelINS0_13select_configILj256ELj13ELNS0_17block_load_methodE3ELS4_3ELS4_3ELNS0_20block_scan_algorithmE0ELj4294967295EEENS1_25partition_config_selectorILNS1_17partition_subalgoE4EjNS0_10empty_typeEbEEZZNS1_14partition_implILS8_4ELb0ES6_15HIP_vector_typeIjLj2EENS0_17counting_iteratorIjlEEPS9_SG_NS0_5tupleIJPjSI_NS0_16reverse_iteratorISI_EEEEENSH_IJSG_SG_SG_EEES9_SI_JZNS1_25segmented_radix_sort_implINS0_14default_configELb0EPKdPdPKlPlN2at6native12_GLOBAL__N_18offset_tEEE10hipError_tPvRmT1_PNSt15iterator_traitsIS12_E10value_typeET2_T3_PNS13_IS18_E10value_typeET4_jRbjT5_S1E_jjP12ihipStream_tbEUljE_ZNSN_ISO_Lb0ESQ_SR_ST_SU_SY_EESZ_S10_S11_S12_S16_S17_S18_S1B_S1C_jS1D_jS1E_S1E_jjS1G_bEUljE0_EEESZ_S10_S11_S18_S1C_S1E_T6_T7_T9_mT8_S1G_bDpT10_ENKUlT_T0_E_clISt17integral_constantIbLb0EES1T_IbLb1EEEEDaS1P_S1Q_EUlS1P_E_NS1_11comp_targetILNS1_3genE4ELNS1_11target_archE910ELNS1_3gpuE8ELNS1_3repE0EEENS1_30default_config_static_selectorELNS0_4arch9wavefront6targetE0EEEvS12_,comdat
.Lfunc_end1183:
	.size	_ZN7rocprim17ROCPRIM_400000_NS6detail17trampoline_kernelINS0_13select_configILj256ELj13ELNS0_17block_load_methodE3ELS4_3ELS4_3ELNS0_20block_scan_algorithmE0ELj4294967295EEENS1_25partition_config_selectorILNS1_17partition_subalgoE4EjNS0_10empty_typeEbEEZZNS1_14partition_implILS8_4ELb0ES6_15HIP_vector_typeIjLj2EENS0_17counting_iteratorIjlEEPS9_SG_NS0_5tupleIJPjSI_NS0_16reverse_iteratorISI_EEEEENSH_IJSG_SG_SG_EEES9_SI_JZNS1_25segmented_radix_sort_implINS0_14default_configELb0EPKdPdPKlPlN2at6native12_GLOBAL__N_18offset_tEEE10hipError_tPvRmT1_PNSt15iterator_traitsIS12_E10value_typeET2_T3_PNS13_IS18_E10value_typeET4_jRbjT5_S1E_jjP12ihipStream_tbEUljE_ZNSN_ISO_Lb0ESQ_SR_ST_SU_SY_EESZ_S10_S11_S12_S16_S17_S18_S1B_S1C_jS1D_jS1E_S1E_jjS1G_bEUljE0_EEESZ_S10_S11_S18_S1C_S1E_T6_T7_T9_mT8_S1G_bDpT10_ENKUlT_T0_E_clISt17integral_constantIbLb0EES1T_IbLb1EEEEDaS1P_S1Q_EUlS1P_E_NS1_11comp_targetILNS1_3genE4ELNS1_11target_archE910ELNS1_3gpuE8ELNS1_3repE0EEENS1_30default_config_static_selectorELNS0_4arch9wavefront6targetE0EEEvS12_, .Lfunc_end1183-_ZN7rocprim17ROCPRIM_400000_NS6detail17trampoline_kernelINS0_13select_configILj256ELj13ELNS0_17block_load_methodE3ELS4_3ELS4_3ELNS0_20block_scan_algorithmE0ELj4294967295EEENS1_25partition_config_selectorILNS1_17partition_subalgoE4EjNS0_10empty_typeEbEEZZNS1_14partition_implILS8_4ELb0ES6_15HIP_vector_typeIjLj2EENS0_17counting_iteratorIjlEEPS9_SG_NS0_5tupleIJPjSI_NS0_16reverse_iteratorISI_EEEEENSH_IJSG_SG_SG_EEES9_SI_JZNS1_25segmented_radix_sort_implINS0_14default_configELb0EPKdPdPKlPlN2at6native12_GLOBAL__N_18offset_tEEE10hipError_tPvRmT1_PNSt15iterator_traitsIS12_E10value_typeET2_T3_PNS13_IS18_E10value_typeET4_jRbjT5_S1E_jjP12ihipStream_tbEUljE_ZNSN_ISO_Lb0ESQ_SR_ST_SU_SY_EESZ_S10_S11_S12_S16_S17_S18_S1B_S1C_jS1D_jS1E_S1E_jjS1G_bEUljE0_EEESZ_S10_S11_S18_S1C_S1E_T6_T7_T9_mT8_S1G_bDpT10_ENKUlT_T0_E_clISt17integral_constantIbLb0EES1T_IbLb1EEEEDaS1P_S1Q_EUlS1P_E_NS1_11comp_targetILNS1_3genE4ELNS1_11target_archE910ELNS1_3gpuE8ELNS1_3repE0EEENS1_30default_config_static_selectorELNS0_4arch9wavefront6targetE0EEEvS12_
                                        ; -- End function
	.set _ZN7rocprim17ROCPRIM_400000_NS6detail17trampoline_kernelINS0_13select_configILj256ELj13ELNS0_17block_load_methodE3ELS4_3ELS4_3ELNS0_20block_scan_algorithmE0ELj4294967295EEENS1_25partition_config_selectorILNS1_17partition_subalgoE4EjNS0_10empty_typeEbEEZZNS1_14partition_implILS8_4ELb0ES6_15HIP_vector_typeIjLj2EENS0_17counting_iteratorIjlEEPS9_SG_NS0_5tupleIJPjSI_NS0_16reverse_iteratorISI_EEEEENSH_IJSG_SG_SG_EEES9_SI_JZNS1_25segmented_radix_sort_implINS0_14default_configELb0EPKdPdPKlPlN2at6native12_GLOBAL__N_18offset_tEEE10hipError_tPvRmT1_PNSt15iterator_traitsIS12_E10value_typeET2_T3_PNS13_IS18_E10value_typeET4_jRbjT5_S1E_jjP12ihipStream_tbEUljE_ZNSN_ISO_Lb0ESQ_SR_ST_SU_SY_EESZ_S10_S11_S12_S16_S17_S18_S1B_S1C_jS1D_jS1E_S1E_jjS1G_bEUljE0_EEESZ_S10_S11_S18_S1C_S1E_T6_T7_T9_mT8_S1G_bDpT10_ENKUlT_T0_E_clISt17integral_constantIbLb0EES1T_IbLb1EEEEDaS1P_S1Q_EUlS1P_E_NS1_11comp_targetILNS1_3genE4ELNS1_11target_archE910ELNS1_3gpuE8ELNS1_3repE0EEENS1_30default_config_static_selectorELNS0_4arch9wavefront6targetE0EEEvS12_.num_vgpr, 0
	.set _ZN7rocprim17ROCPRIM_400000_NS6detail17trampoline_kernelINS0_13select_configILj256ELj13ELNS0_17block_load_methodE3ELS4_3ELS4_3ELNS0_20block_scan_algorithmE0ELj4294967295EEENS1_25partition_config_selectorILNS1_17partition_subalgoE4EjNS0_10empty_typeEbEEZZNS1_14partition_implILS8_4ELb0ES6_15HIP_vector_typeIjLj2EENS0_17counting_iteratorIjlEEPS9_SG_NS0_5tupleIJPjSI_NS0_16reverse_iteratorISI_EEEEENSH_IJSG_SG_SG_EEES9_SI_JZNS1_25segmented_radix_sort_implINS0_14default_configELb0EPKdPdPKlPlN2at6native12_GLOBAL__N_18offset_tEEE10hipError_tPvRmT1_PNSt15iterator_traitsIS12_E10value_typeET2_T3_PNS13_IS18_E10value_typeET4_jRbjT5_S1E_jjP12ihipStream_tbEUljE_ZNSN_ISO_Lb0ESQ_SR_ST_SU_SY_EESZ_S10_S11_S12_S16_S17_S18_S1B_S1C_jS1D_jS1E_S1E_jjS1G_bEUljE0_EEESZ_S10_S11_S18_S1C_S1E_T6_T7_T9_mT8_S1G_bDpT10_ENKUlT_T0_E_clISt17integral_constantIbLb0EES1T_IbLb1EEEEDaS1P_S1Q_EUlS1P_E_NS1_11comp_targetILNS1_3genE4ELNS1_11target_archE910ELNS1_3gpuE8ELNS1_3repE0EEENS1_30default_config_static_selectorELNS0_4arch9wavefront6targetE0EEEvS12_.num_agpr, 0
	.set _ZN7rocprim17ROCPRIM_400000_NS6detail17trampoline_kernelINS0_13select_configILj256ELj13ELNS0_17block_load_methodE3ELS4_3ELS4_3ELNS0_20block_scan_algorithmE0ELj4294967295EEENS1_25partition_config_selectorILNS1_17partition_subalgoE4EjNS0_10empty_typeEbEEZZNS1_14partition_implILS8_4ELb0ES6_15HIP_vector_typeIjLj2EENS0_17counting_iteratorIjlEEPS9_SG_NS0_5tupleIJPjSI_NS0_16reverse_iteratorISI_EEEEENSH_IJSG_SG_SG_EEES9_SI_JZNS1_25segmented_radix_sort_implINS0_14default_configELb0EPKdPdPKlPlN2at6native12_GLOBAL__N_18offset_tEEE10hipError_tPvRmT1_PNSt15iterator_traitsIS12_E10value_typeET2_T3_PNS13_IS18_E10value_typeET4_jRbjT5_S1E_jjP12ihipStream_tbEUljE_ZNSN_ISO_Lb0ESQ_SR_ST_SU_SY_EESZ_S10_S11_S12_S16_S17_S18_S1B_S1C_jS1D_jS1E_S1E_jjS1G_bEUljE0_EEESZ_S10_S11_S18_S1C_S1E_T6_T7_T9_mT8_S1G_bDpT10_ENKUlT_T0_E_clISt17integral_constantIbLb0EES1T_IbLb1EEEEDaS1P_S1Q_EUlS1P_E_NS1_11comp_targetILNS1_3genE4ELNS1_11target_archE910ELNS1_3gpuE8ELNS1_3repE0EEENS1_30default_config_static_selectorELNS0_4arch9wavefront6targetE0EEEvS12_.numbered_sgpr, 0
	.set _ZN7rocprim17ROCPRIM_400000_NS6detail17trampoline_kernelINS0_13select_configILj256ELj13ELNS0_17block_load_methodE3ELS4_3ELS4_3ELNS0_20block_scan_algorithmE0ELj4294967295EEENS1_25partition_config_selectorILNS1_17partition_subalgoE4EjNS0_10empty_typeEbEEZZNS1_14partition_implILS8_4ELb0ES6_15HIP_vector_typeIjLj2EENS0_17counting_iteratorIjlEEPS9_SG_NS0_5tupleIJPjSI_NS0_16reverse_iteratorISI_EEEEENSH_IJSG_SG_SG_EEES9_SI_JZNS1_25segmented_radix_sort_implINS0_14default_configELb0EPKdPdPKlPlN2at6native12_GLOBAL__N_18offset_tEEE10hipError_tPvRmT1_PNSt15iterator_traitsIS12_E10value_typeET2_T3_PNS13_IS18_E10value_typeET4_jRbjT5_S1E_jjP12ihipStream_tbEUljE_ZNSN_ISO_Lb0ESQ_SR_ST_SU_SY_EESZ_S10_S11_S12_S16_S17_S18_S1B_S1C_jS1D_jS1E_S1E_jjS1G_bEUljE0_EEESZ_S10_S11_S18_S1C_S1E_T6_T7_T9_mT8_S1G_bDpT10_ENKUlT_T0_E_clISt17integral_constantIbLb0EES1T_IbLb1EEEEDaS1P_S1Q_EUlS1P_E_NS1_11comp_targetILNS1_3genE4ELNS1_11target_archE910ELNS1_3gpuE8ELNS1_3repE0EEENS1_30default_config_static_selectorELNS0_4arch9wavefront6targetE0EEEvS12_.num_named_barrier, 0
	.set _ZN7rocprim17ROCPRIM_400000_NS6detail17trampoline_kernelINS0_13select_configILj256ELj13ELNS0_17block_load_methodE3ELS4_3ELS4_3ELNS0_20block_scan_algorithmE0ELj4294967295EEENS1_25partition_config_selectorILNS1_17partition_subalgoE4EjNS0_10empty_typeEbEEZZNS1_14partition_implILS8_4ELb0ES6_15HIP_vector_typeIjLj2EENS0_17counting_iteratorIjlEEPS9_SG_NS0_5tupleIJPjSI_NS0_16reverse_iteratorISI_EEEEENSH_IJSG_SG_SG_EEES9_SI_JZNS1_25segmented_radix_sort_implINS0_14default_configELb0EPKdPdPKlPlN2at6native12_GLOBAL__N_18offset_tEEE10hipError_tPvRmT1_PNSt15iterator_traitsIS12_E10value_typeET2_T3_PNS13_IS18_E10value_typeET4_jRbjT5_S1E_jjP12ihipStream_tbEUljE_ZNSN_ISO_Lb0ESQ_SR_ST_SU_SY_EESZ_S10_S11_S12_S16_S17_S18_S1B_S1C_jS1D_jS1E_S1E_jjS1G_bEUljE0_EEESZ_S10_S11_S18_S1C_S1E_T6_T7_T9_mT8_S1G_bDpT10_ENKUlT_T0_E_clISt17integral_constantIbLb0EES1T_IbLb1EEEEDaS1P_S1Q_EUlS1P_E_NS1_11comp_targetILNS1_3genE4ELNS1_11target_archE910ELNS1_3gpuE8ELNS1_3repE0EEENS1_30default_config_static_selectorELNS0_4arch9wavefront6targetE0EEEvS12_.private_seg_size, 0
	.set _ZN7rocprim17ROCPRIM_400000_NS6detail17trampoline_kernelINS0_13select_configILj256ELj13ELNS0_17block_load_methodE3ELS4_3ELS4_3ELNS0_20block_scan_algorithmE0ELj4294967295EEENS1_25partition_config_selectorILNS1_17partition_subalgoE4EjNS0_10empty_typeEbEEZZNS1_14partition_implILS8_4ELb0ES6_15HIP_vector_typeIjLj2EENS0_17counting_iteratorIjlEEPS9_SG_NS0_5tupleIJPjSI_NS0_16reverse_iteratorISI_EEEEENSH_IJSG_SG_SG_EEES9_SI_JZNS1_25segmented_radix_sort_implINS0_14default_configELb0EPKdPdPKlPlN2at6native12_GLOBAL__N_18offset_tEEE10hipError_tPvRmT1_PNSt15iterator_traitsIS12_E10value_typeET2_T3_PNS13_IS18_E10value_typeET4_jRbjT5_S1E_jjP12ihipStream_tbEUljE_ZNSN_ISO_Lb0ESQ_SR_ST_SU_SY_EESZ_S10_S11_S12_S16_S17_S18_S1B_S1C_jS1D_jS1E_S1E_jjS1G_bEUljE0_EEESZ_S10_S11_S18_S1C_S1E_T6_T7_T9_mT8_S1G_bDpT10_ENKUlT_T0_E_clISt17integral_constantIbLb0EES1T_IbLb1EEEEDaS1P_S1Q_EUlS1P_E_NS1_11comp_targetILNS1_3genE4ELNS1_11target_archE910ELNS1_3gpuE8ELNS1_3repE0EEENS1_30default_config_static_selectorELNS0_4arch9wavefront6targetE0EEEvS12_.uses_vcc, 0
	.set _ZN7rocprim17ROCPRIM_400000_NS6detail17trampoline_kernelINS0_13select_configILj256ELj13ELNS0_17block_load_methodE3ELS4_3ELS4_3ELNS0_20block_scan_algorithmE0ELj4294967295EEENS1_25partition_config_selectorILNS1_17partition_subalgoE4EjNS0_10empty_typeEbEEZZNS1_14partition_implILS8_4ELb0ES6_15HIP_vector_typeIjLj2EENS0_17counting_iteratorIjlEEPS9_SG_NS0_5tupleIJPjSI_NS0_16reverse_iteratorISI_EEEEENSH_IJSG_SG_SG_EEES9_SI_JZNS1_25segmented_radix_sort_implINS0_14default_configELb0EPKdPdPKlPlN2at6native12_GLOBAL__N_18offset_tEEE10hipError_tPvRmT1_PNSt15iterator_traitsIS12_E10value_typeET2_T3_PNS13_IS18_E10value_typeET4_jRbjT5_S1E_jjP12ihipStream_tbEUljE_ZNSN_ISO_Lb0ESQ_SR_ST_SU_SY_EESZ_S10_S11_S12_S16_S17_S18_S1B_S1C_jS1D_jS1E_S1E_jjS1G_bEUljE0_EEESZ_S10_S11_S18_S1C_S1E_T6_T7_T9_mT8_S1G_bDpT10_ENKUlT_T0_E_clISt17integral_constantIbLb0EES1T_IbLb1EEEEDaS1P_S1Q_EUlS1P_E_NS1_11comp_targetILNS1_3genE4ELNS1_11target_archE910ELNS1_3gpuE8ELNS1_3repE0EEENS1_30default_config_static_selectorELNS0_4arch9wavefront6targetE0EEEvS12_.uses_flat_scratch, 0
	.set _ZN7rocprim17ROCPRIM_400000_NS6detail17trampoline_kernelINS0_13select_configILj256ELj13ELNS0_17block_load_methodE3ELS4_3ELS4_3ELNS0_20block_scan_algorithmE0ELj4294967295EEENS1_25partition_config_selectorILNS1_17partition_subalgoE4EjNS0_10empty_typeEbEEZZNS1_14partition_implILS8_4ELb0ES6_15HIP_vector_typeIjLj2EENS0_17counting_iteratorIjlEEPS9_SG_NS0_5tupleIJPjSI_NS0_16reverse_iteratorISI_EEEEENSH_IJSG_SG_SG_EEES9_SI_JZNS1_25segmented_radix_sort_implINS0_14default_configELb0EPKdPdPKlPlN2at6native12_GLOBAL__N_18offset_tEEE10hipError_tPvRmT1_PNSt15iterator_traitsIS12_E10value_typeET2_T3_PNS13_IS18_E10value_typeET4_jRbjT5_S1E_jjP12ihipStream_tbEUljE_ZNSN_ISO_Lb0ESQ_SR_ST_SU_SY_EESZ_S10_S11_S12_S16_S17_S18_S1B_S1C_jS1D_jS1E_S1E_jjS1G_bEUljE0_EEESZ_S10_S11_S18_S1C_S1E_T6_T7_T9_mT8_S1G_bDpT10_ENKUlT_T0_E_clISt17integral_constantIbLb0EES1T_IbLb1EEEEDaS1P_S1Q_EUlS1P_E_NS1_11comp_targetILNS1_3genE4ELNS1_11target_archE910ELNS1_3gpuE8ELNS1_3repE0EEENS1_30default_config_static_selectorELNS0_4arch9wavefront6targetE0EEEvS12_.has_dyn_sized_stack, 0
	.set _ZN7rocprim17ROCPRIM_400000_NS6detail17trampoline_kernelINS0_13select_configILj256ELj13ELNS0_17block_load_methodE3ELS4_3ELS4_3ELNS0_20block_scan_algorithmE0ELj4294967295EEENS1_25partition_config_selectorILNS1_17partition_subalgoE4EjNS0_10empty_typeEbEEZZNS1_14partition_implILS8_4ELb0ES6_15HIP_vector_typeIjLj2EENS0_17counting_iteratorIjlEEPS9_SG_NS0_5tupleIJPjSI_NS0_16reverse_iteratorISI_EEEEENSH_IJSG_SG_SG_EEES9_SI_JZNS1_25segmented_radix_sort_implINS0_14default_configELb0EPKdPdPKlPlN2at6native12_GLOBAL__N_18offset_tEEE10hipError_tPvRmT1_PNSt15iterator_traitsIS12_E10value_typeET2_T3_PNS13_IS18_E10value_typeET4_jRbjT5_S1E_jjP12ihipStream_tbEUljE_ZNSN_ISO_Lb0ESQ_SR_ST_SU_SY_EESZ_S10_S11_S12_S16_S17_S18_S1B_S1C_jS1D_jS1E_S1E_jjS1G_bEUljE0_EEESZ_S10_S11_S18_S1C_S1E_T6_T7_T9_mT8_S1G_bDpT10_ENKUlT_T0_E_clISt17integral_constantIbLb0EES1T_IbLb1EEEEDaS1P_S1Q_EUlS1P_E_NS1_11comp_targetILNS1_3genE4ELNS1_11target_archE910ELNS1_3gpuE8ELNS1_3repE0EEENS1_30default_config_static_selectorELNS0_4arch9wavefront6targetE0EEEvS12_.has_recursion, 0
	.set _ZN7rocprim17ROCPRIM_400000_NS6detail17trampoline_kernelINS0_13select_configILj256ELj13ELNS0_17block_load_methodE3ELS4_3ELS4_3ELNS0_20block_scan_algorithmE0ELj4294967295EEENS1_25partition_config_selectorILNS1_17partition_subalgoE4EjNS0_10empty_typeEbEEZZNS1_14partition_implILS8_4ELb0ES6_15HIP_vector_typeIjLj2EENS0_17counting_iteratorIjlEEPS9_SG_NS0_5tupleIJPjSI_NS0_16reverse_iteratorISI_EEEEENSH_IJSG_SG_SG_EEES9_SI_JZNS1_25segmented_radix_sort_implINS0_14default_configELb0EPKdPdPKlPlN2at6native12_GLOBAL__N_18offset_tEEE10hipError_tPvRmT1_PNSt15iterator_traitsIS12_E10value_typeET2_T3_PNS13_IS18_E10value_typeET4_jRbjT5_S1E_jjP12ihipStream_tbEUljE_ZNSN_ISO_Lb0ESQ_SR_ST_SU_SY_EESZ_S10_S11_S12_S16_S17_S18_S1B_S1C_jS1D_jS1E_S1E_jjS1G_bEUljE0_EEESZ_S10_S11_S18_S1C_S1E_T6_T7_T9_mT8_S1G_bDpT10_ENKUlT_T0_E_clISt17integral_constantIbLb0EES1T_IbLb1EEEEDaS1P_S1Q_EUlS1P_E_NS1_11comp_targetILNS1_3genE4ELNS1_11target_archE910ELNS1_3gpuE8ELNS1_3repE0EEENS1_30default_config_static_selectorELNS0_4arch9wavefront6targetE0EEEvS12_.has_indirect_call, 0
	.section	.AMDGPU.csdata,"",@progbits
; Kernel info:
; codeLenInByte = 0
; TotalNumSgprs: 0
; NumVgprs: 0
; ScratchSize: 0
; MemoryBound: 0
; FloatMode: 240
; IeeeMode: 1
; LDSByteSize: 0 bytes/workgroup (compile time only)
; SGPRBlocks: 0
; VGPRBlocks: 0
; NumSGPRsForWavesPerEU: 1
; NumVGPRsForWavesPerEU: 1
; Occupancy: 16
; WaveLimiterHint : 0
; COMPUTE_PGM_RSRC2:SCRATCH_EN: 0
; COMPUTE_PGM_RSRC2:USER_SGPR: 2
; COMPUTE_PGM_RSRC2:TRAP_HANDLER: 0
; COMPUTE_PGM_RSRC2:TGID_X_EN: 1
; COMPUTE_PGM_RSRC2:TGID_Y_EN: 0
; COMPUTE_PGM_RSRC2:TGID_Z_EN: 0
; COMPUTE_PGM_RSRC2:TIDIG_COMP_CNT: 0
	.section	.text._ZN7rocprim17ROCPRIM_400000_NS6detail17trampoline_kernelINS0_13select_configILj256ELj13ELNS0_17block_load_methodE3ELS4_3ELS4_3ELNS0_20block_scan_algorithmE0ELj4294967295EEENS1_25partition_config_selectorILNS1_17partition_subalgoE4EjNS0_10empty_typeEbEEZZNS1_14partition_implILS8_4ELb0ES6_15HIP_vector_typeIjLj2EENS0_17counting_iteratorIjlEEPS9_SG_NS0_5tupleIJPjSI_NS0_16reverse_iteratorISI_EEEEENSH_IJSG_SG_SG_EEES9_SI_JZNS1_25segmented_radix_sort_implINS0_14default_configELb0EPKdPdPKlPlN2at6native12_GLOBAL__N_18offset_tEEE10hipError_tPvRmT1_PNSt15iterator_traitsIS12_E10value_typeET2_T3_PNS13_IS18_E10value_typeET4_jRbjT5_S1E_jjP12ihipStream_tbEUljE_ZNSN_ISO_Lb0ESQ_SR_ST_SU_SY_EESZ_S10_S11_S12_S16_S17_S18_S1B_S1C_jS1D_jS1E_S1E_jjS1G_bEUljE0_EEESZ_S10_S11_S18_S1C_S1E_T6_T7_T9_mT8_S1G_bDpT10_ENKUlT_T0_E_clISt17integral_constantIbLb0EES1T_IbLb1EEEEDaS1P_S1Q_EUlS1P_E_NS1_11comp_targetILNS1_3genE3ELNS1_11target_archE908ELNS1_3gpuE7ELNS1_3repE0EEENS1_30default_config_static_selectorELNS0_4arch9wavefront6targetE0EEEvS12_,"axG",@progbits,_ZN7rocprim17ROCPRIM_400000_NS6detail17trampoline_kernelINS0_13select_configILj256ELj13ELNS0_17block_load_methodE3ELS4_3ELS4_3ELNS0_20block_scan_algorithmE0ELj4294967295EEENS1_25partition_config_selectorILNS1_17partition_subalgoE4EjNS0_10empty_typeEbEEZZNS1_14partition_implILS8_4ELb0ES6_15HIP_vector_typeIjLj2EENS0_17counting_iteratorIjlEEPS9_SG_NS0_5tupleIJPjSI_NS0_16reverse_iteratorISI_EEEEENSH_IJSG_SG_SG_EEES9_SI_JZNS1_25segmented_radix_sort_implINS0_14default_configELb0EPKdPdPKlPlN2at6native12_GLOBAL__N_18offset_tEEE10hipError_tPvRmT1_PNSt15iterator_traitsIS12_E10value_typeET2_T3_PNS13_IS18_E10value_typeET4_jRbjT5_S1E_jjP12ihipStream_tbEUljE_ZNSN_ISO_Lb0ESQ_SR_ST_SU_SY_EESZ_S10_S11_S12_S16_S17_S18_S1B_S1C_jS1D_jS1E_S1E_jjS1G_bEUljE0_EEESZ_S10_S11_S18_S1C_S1E_T6_T7_T9_mT8_S1G_bDpT10_ENKUlT_T0_E_clISt17integral_constantIbLb0EES1T_IbLb1EEEEDaS1P_S1Q_EUlS1P_E_NS1_11comp_targetILNS1_3genE3ELNS1_11target_archE908ELNS1_3gpuE7ELNS1_3repE0EEENS1_30default_config_static_selectorELNS0_4arch9wavefront6targetE0EEEvS12_,comdat
	.globl	_ZN7rocprim17ROCPRIM_400000_NS6detail17trampoline_kernelINS0_13select_configILj256ELj13ELNS0_17block_load_methodE3ELS4_3ELS4_3ELNS0_20block_scan_algorithmE0ELj4294967295EEENS1_25partition_config_selectorILNS1_17partition_subalgoE4EjNS0_10empty_typeEbEEZZNS1_14partition_implILS8_4ELb0ES6_15HIP_vector_typeIjLj2EENS0_17counting_iteratorIjlEEPS9_SG_NS0_5tupleIJPjSI_NS0_16reverse_iteratorISI_EEEEENSH_IJSG_SG_SG_EEES9_SI_JZNS1_25segmented_radix_sort_implINS0_14default_configELb0EPKdPdPKlPlN2at6native12_GLOBAL__N_18offset_tEEE10hipError_tPvRmT1_PNSt15iterator_traitsIS12_E10value_typeET2_T3_PNS13_IS18_E10value_typeET4_jRbjT5_S1E_jjP12ihipStream_tbEUljE_ZNSN_ISO_Lb0ESQ_SR_ST_SU_SY_EESZ_S10_S11_S12_S16_S17_S18_S1B_S1C_jS1D_jS1E_S1E_jjS1G_bEUljE0_EEESZ_S10_S11_S18_S1C_S1E_T6_T7_T9_mT8_S1G_bDpT10_ENKUlT_T0_E_clISt17integral_constantIbLb0EES1T_IbLb1EEEEDaS1P_S1Q_EUlS1P_E_NS1_11comp_targetILNS1_3genE3ELNS1_11target_archE908ELNS1_3gpuE7ELNS1_3repE0EEENS1_30default_config_static_selectorELNS0_4arch9wavefront6targetE0EEEvS12_ ; -- Begin function _ZN7rocprim17ROCPRIM_400000_NS6detail17trampoline_kernelINS0_13select_configILj256ELj13ELNS0_17block_load_methodE3ELS4_3ELS4_3ELNS0_20block_scan_algorithmE0ELj4294967295EEENS1_25partition_config_selectorILNS1_17partition_subalgoE4EjNS0_10empty_typeEbEEZZNS1_14partition_implILS8_4ELb0ES6_15HIP_vector_typeIjLj2EENS0_17counting_iteratorIjlEEPS9_SG_NS0_5tupleIJPjSI_NS0_16reverse_iteratorISI_EEEEENSH_IJSG_SG_SG_EEES9_SI_JZNS1_25segmented_radix_sort_implINS0_14default_configELb0EPKdPdPKlPlN2at6native12_GLOBAL__N_18offset_tEEE10hipError_tPvRmT1_PNSt15iterator_traitsIS12_E10value_typeET2_T3_PNS13_IS18_E10value_typeET4_jRbjT5_S1E_jjP12ihipStream_tbEUljE_ZNSN_ISO_Lb0ESQ_SR_ST_SU_SY_EESZ_S10_S11_S12_S16_S17_S18_S1B_S1C_jS1D_jS1E_S1E_jjS1G_bEUljE0_EEESZ_S10_S11_S18_S1C_S1E_T6_T7_T9_mT8_S1G_bDpT10_ENKUlT_T0_E_clISt17integral_constantIbLb0EES1T_IbLb1EEEEDaS1P_S1Q_EUlS1P_E_NS1_11comp_targetILNS1_3genE3ELNS1_11target_archE908ELNS1_3gpuE7ELNS1_3repE0EEENS1_30default_config_static_selectorELNS0_4arch9wavefront6targetE0EEEvS12_
	.p2align	8
	.type	_ZN7rocprim17ROCPRIM_400000_NS6detail17trampoline_kernelINS0_13select_configILj256ELj13ELNS0_17block_load_methodE3ELS4_3ELS4_3ELNS0_20block_scan_algorithmE0ELj4294967295EEENS1_25partition_config_selectorILNS1_17partition_subalgoE4EjNS0_10empty_typeEbEEZZNS1_14partition_implILS8_4ELb0ES6_15HIP_vector_typeIjLj2EENS0_17counting_iteratorIjlEEPS9_SG_NS0_5tupleIJPjSI_NS0_16reverse_iteratorISI_EEEEENSH_IJSG_SG_SG_EEES9_SI_JZNS1_25segmented_radix_sort_implINS0_14default_configELb0EPKdPdPKlPlN2at6native12_GLOBAL__N_18offset_tEEE10hipError_tPvRmT1_PNSt15iterator_traitsIS12_E10value_typeET2_T3_PNS13_IS18_E10value_typeET4_jRbjT5_S1E_jjP12ihipStream_tbEUljE_ZNSN_ISO_Lb0ESQ_SR_ST_SU_SY_EESZ_S10_S11_S12_S16_S17_S18_S1B_S1C_jS1D_jS1E_S1E_jjS1G_bEUljE0_EEESZ_S10_S11_S18_S1C_S1E_T6_T7_T9_mT8_S1G_bDpT10_ENKUlT_T0_E_clISt17integral_constantIbLb0EES1T_IbLb1EEEEDaS1P_S1Q_EUlS1P_E_NS1_11comp_targetILNS1_3genE3ELNS1_11target_archE908ELNS1_3gpuE7ELNS1_3repE0EEENS1_30default_config_static_selectorELNS0_4arch9wavefront6targetE0EEEvS12_,@function
_ZN7rocprim17ROCPRIM_400000_NS6detail17trampoline_kernelINS0_13select_configILj256ELj13ELNS0_17block_load_methodE3ELS4_3ELS4_3ELNS0_20block_scan_algorithmE0ELj4294967295EEENS1_25partition_config_selectorILNS1_17partition_subalgoE4EjNS0_10empty_typeEbEEZZNS1_14partition_implILS8_4ELb0ES6_15HIP_vector_typeIjLj2EENS0_17counting_iteratorIjlEEPS9_SG_NS0_5tupleIJPjSI_NS0_16reverse_iteratorISI_EEEEENSH_IJSG_SG_SG_EEES9_SI_JZNS1_25segmented_radix_sort_implINS0_14default_configELb0EPKdPdPKlPlN2at6native12_GLOBAL__N_18offset_tEEE10hipError_tPvRmT1_PNSt15iterator_traitsIS12_E10value_typeET2_T3_PNS13_IS18_E10value_typeET4_jRbjT5_S1E_jjP12ihipStream_tbEUljE_ZNSN_ISO_Lb0ESQ_SR_ST_SU_SY_EESZ_S10_S11_S12_S16_S17_S18_S1B_S1C_jS1D_jS1E_S1E_jjS1G_bEUljE0_EEESZ_S10_S11_S18_S1C_S1E_T6_T7_T9_mT8_S1G_bDpT10_ENKUlT_T0_E_clISt17integral_constantIbLb0EES1T_IbLb1EEEEDaS1P_S1Q_EUlS1P_E_NS1_11comp_targetILNS1_3genE3ELNS1_11target_archE908ELNS1_3gpuE7ELNS1_3repE0EEENS1_30default_config_static_selectorELNS0_4arch9wavefront6targetE0EEEvS12_: ; @_ZN7rocprim17ROCPRIM_400000_NS6detail17trampoline_kernelINS0_13select_configILj256ELj13ELNS0_17block_load_methodE3ELS4_3ELS4_3ELNS0_20block_scan_algorithmE0ELj4294967295EEENS1_25partition_config_selectorILNS1_17partition_subalgoE4EjNS0_10empty_typeEbEEZZNS1_14partition_implILS8_4ELb0ES6_15HIP_vector_typeIjLj2EENS0_17counting_iteratorIjlEEPS9_SG_NS0_5tupleIJPjSI_NS0_16reverse_iteratorISI_EEEEENSH_IJSG_SG_SG_EEES9_SI_JZNS1_25segmented_radix_sort_implINS0_14default_configELb0EPKdPdPKlPlN2at6native12_GLOBAL__N_18offset_tEEE10hipError_tPvRmT1_PNSt15iterator_traitsIS12_E10value_typeET2_T3_PNS13_IS18_E10value_typeET4_jRbjT5_S1E_jjP12ihipStream_tbEUljE_ZNSN_ISO_Lb0ESQ_SR_ST_SU_SY_EESZ_S10_S11_S12_S16_S17_S18_S1B_S1C_jS1D_jS1E_S1E_jjS1G_bEUljE0_EEESZ_S10_S11_S18_S1C_S1E_T6_T7_T9_mT8_S1G_bDpT10_ENKUlT_T0_E_clISt17integral_constantIbLb0EES1T_IbLb1EEEEDaS1P_S1Q_EUlS1P_E_NS1_11comp_targetILNS1_3genE3ELNS1_11target_archE908ELNS1_3gpuE7ELNS1_3repE0EEENS1_30default_config_static_selectorELNS0_4arch9wavefront6targetE0EEEvS12_
; %bb.0:
	.section	.rodata,"a",@progbits
	.p2align	6, 0x0
	.amdhsa_kernel _ZN7rocprim17ROCPRIM_400000_NS6detail17trampoline_kernelINS0_13select_configILj256ELj13ELNS0_17block_load_methodE3ELS4_3ELS4_3ELNS0_20block_scan_algorithmE0ELj4294967295EEENS1_25partition_config_selectorILNS1_17partition_subalgoE4EjNS0_10empty_typeEbEEZZNS1_14partition_implILS8_4ELb0ES6_15HIP_vector_typeIjLj2EENS0_17counting_iteratorIjlEEPS9_SG_NS0_5tupleIJPjSI_NS0_16reverse_iteratorISI_EEEEENSH_IJSG_SG_SG_EEES9_SI_JZNS1_25segmented_radix_sort_implINS0_14default_configELb0EPKdPdPKlPlN2at6native12_GLOBAL__N_18offset_tEEE10hipError_tPvRmT1_PNSt15iterator_traitsIS12_E10value_typeET2_T3_PNS13_IS18_E10value_typeET4_jRbjT5_S1E_jjP12ihipStream_tbEUljE_ZNSN_ISO_Lb0ESQ_SR_ST_SU_SY_EESZ_S10_S11_S12_S16_S17_S18_S1B_S1C_jS1D_jS1E_S1E_jjS1G_bEUljE0_EEESZ_S10_S11_S18_S1C_S1E_T6_T7_T9_mT8_S1G_bDpT10_ENKUlT_T0_E_clISt17integral_constantIbLb0EES1T_IbLb1EEEEDaS1P_S1Q_EUlS1P_E_NS1_11comp_targetILNS1_3genE3ELNS1_11target_archE908ELNS1_3gpuE7ELNS1_3repE0EEENS1_30default_config_static_selectorELNS0_4arch9wavefront6targetE0EEEvS12_
		.amdhsa_group_segment_fixed_size 0
		.amdhsa_private_segment_fixed_size 0
		.amdhsa_kernarg_size 184
		.amdhsa_user_sgpr_count 2
		.amdhsa_user_sgpr_dispatch_ptr 0
		.amdhsa_user_sgpr_queue_ptr 0
		.amdhsa_user_sgpr_kernarg_segment_ptr 1
		.amdhsa_user_sgpr_dispatch_id 0
		.amdhsa_user_sgpr_private_segment_size 0
		.amdhsa_wavefront_size32 1
		.amdhsa_uses_dynamic_stack 0
		.amdhsa_enable_private_segment 0
		.amdhsa_system_sgpr_workgroup_id_x 1
		.amdhsa_system_sgpr_workgroup_id_y 0
		.amdhsa_system_sgpr_workgroup_id_z 0
		.amdhsa_system_sgpr_workgroup_info 0
		.amdhsa_system_vgpr_workitem_id 0
		.amdhsa_next_free_vgpr 1
		.amdhsa_next_free_sgpr 1
		.amdhsa_reserve_vcc 0
		.amdhsa_float_round_mode_32 0
		.amdhsa_float_round_mode_16_64 0
		.amdhsa_float_denorm_mode_32 3
		.amdhsa_float_denorm_mode_16_64 3
		.amdhsa_fp16_overflow 0
		.amdhsa_workgroup_processor_mode 1
		.amdhsa_memory_ordered 1
		.amdhsa_forward_progress 1
		.amdhsa_inst_pref_size 0
		.amdhsa_round_robin_scheduling 0
		.amdhsa_exception_fp_ieee_invalid_op 0
		.amdhsa_exception_fp_denorm_src 0
		.amdhsa_exception_fp_ieee_div_zero 0
		.amdhsa_exception_fp_ieee_overflow 0
		.amdhsa_exception_fp_ieee_underflow 0
		.amdhsa_exception_fp_ieee_inexact 0
		.amdhsa_exception_int_div_zero 0
	.end_amdhsa_kernel
	.section	.text._ZN7rocprim17ROCPRIM_400000_NS6detail17trampoline_kernelINS0_13select_configILj256ELj13ELNS0_17block_load_methodE3ELS4_3ELS4_3ELNS0_20block_scan_algorithmE0ELj4294967295EEENS1_25partition_config_selectorILNS1_17partition_subalgoE4EjNS0_10empty_typeEbEEZZNS1_14partition_implILS8_4ELb0ES6_15HIP_vector_typeIjLj2EENS0_17counting_iteratorIjlEEPS9_SG_NS0_5tupleIJPjSI_NS0_16reverse_iteratorISI_EEEEENSH_IJSG_SG_SG_EEES9_SI_JZNS1_25segmented_radix_sort_implINS0_14default_configELb0EPKdPdPKlPlN2at6native12_GLOBAL__N_18offset_tEEE10hipError_tPvRmT1_PNSt15iterator_traitsIS12_E10value_typeET2_T3_PNS13_IS18_E10value_typeET4_jRbjT5_S1E_jjP12ihipStream_tbEUljE_ZNSN_ISO_Lb0ESQ_SR_ST_SU_SY_EESZ_S10_S11_S12_S16_S17_S18_S1B_S1C_jS1D_jS1E_S1E_jjS1G_bEUljE0_EEESZ_S10_S11_S18_S1C_S1E_T6_T7_T9_mT8_S1G_bDpT10_ENKUlT_T0_E_clISt17integral_constantIbLb0EES1T_IbLb1EEEEDaS1P_S1Q_EUlS1P_E_NS1_11comp_targetILNS1_3genE3ELNS1_11target_archE908ELNS1_3gpuE7ELNS1_3repE0EEENS1_30default_config_static_selectorELNS0_4arch9wavefront6targetE0EEEvS12_,"axG",@progbits,_ZN7rocprim17ROCPRIM_400000_NS6detail17trampoline_kernelINS0_13select_configILj256ELj13ELNS0_17block_load_methodE3ELS4_3ELS4_3ELNS0_20block_scan_algorithmE0ELj4294967295EEENS1_25partition_config_selectorILNS1_17partition_subalgoE4EjNS0_10empty_typeEbEEZZNS1_14partition_implILS8_4ELb0ES6_15HIP_vector_typeIjLj2EENS0_17counting_iteratorIjlEEPS9_SG_NS0_5tupleIJPjSI_NS0_16reverse_iteratorISI_EEEEENSH_IJSG_SG_SG_EEES9_SI_JZNS1_25segmented_radix_sort_implINS0_14default_configELb0EPKdPdPKlPlN2at6native12_GLOBAL__N_18offset_tEEE10hipError_tPvRmT1_PNSt15iterator_traitsIS12_E10value_typeET2_T3_PNS13_IS18_E10value_typeET4_jRbjT5_S1E_jjP12ihipStream_tbEUljE_ZNSN_ISO_Lb0ESQ_SR_ST_SU_SY_EESZ_S10_S11_S12_S16_S17_S18_S1B_S1C_jS1D_jS1E_S1E_jjS1G_bEUljE0_EEESZ_S10_S11_S18_S1C_S1E_T6_T7_T9_mT8_S1G_bDpT10_ENKUlT_T0_E_clISt17integral_constantIbLb0EES1T_IbLb1EEEEDaS1P_S1Q_EUlS1P_E_NS1_11comp_targetILNS1_3genE3ELNS1_11target_archE908ELNS1_3gpuE7ELNS1_3repE0EEENS1_30default_config_static_selectorELNS0_4arch9wavefront6targetE0EEEvS12_,comdat
.Lfunc_end1184:
	.size	_ZN7rocprim17ROCPRIM_400000_NS6detail17trampoline_kernelINS0_13select_configILj256ELj13ELNS0_17block_load_methodE3ELS4_3ELS4_3ELNS0_20block_scan_algorithmE0ELj4294967295EEENS1_25partition_config_selectorILNS1_17partition_subalgoE4EjNS0_10empty_typeEbEEZZNS1_14partition_implILS8_4ELb0ES6_15HIP_vector_typeIjLj2EENS0_17counting_iteratorIjlEEPS9_SG_NS0_5tupleIJPjSI_NS0_16reverse_iteratorISI_EEEEENSH_IJSG_SG_SG_EEES9_SI_JZNS1_25segmented_radix_sort_implINS0_14default_configELb0EPKdPdPKlPlN2at6native12_GLOBAL__N_18offset_tEEE10hipError_tPvRmT1_PNSt15iterator_traitsIS12_E10value_typeET2_T3_PNS13_IS18_E10value_typeET4_jRbjT5_S1E_jjP12ihipStream_tbEUljE_ZNSN_ISO_Lb0ESQ_SR_ST_SU_SY_EESZ_S10_S11_S12_S16_S17_S18_S1B_S1C_jS1D_jS1E_S1E_jjS1G_bEUljE0_EEESZ_S10_S11_S18_S1C_S1E_T6_T7_T9_mT8_S1G_bDpT10_ENKUlT_T0_E_clISt17integral_constantIbLb0EES1T_IbLb1EEEEDaS1P_S1Q_EUlS1P_E_NS1_11comp_targetILNS1_3genE3ELNS1_11target_archE908ELNS1_3gpuE7ELNS1_3repE0EEENS1_30default_config_static_selectorELNS0_4arch9wavefront6targetE0EEEvS12_, .Lfunc_end1184-_ZN7rocprim17ROCPRIM_400000_NS6detail17trampoline_kernelINS0_13select_configILj256ELj13ELNS0_17block_load_methodE3ELS4_3ELS4_3ELNS0_20block_scan_algorithmE0ELj4294967295EEENS1_25partition_config_selectorILNS1_17partition_subalgoE4EjNS0_10empty_typeEbEEZZNS1_14partition_implILS8_4ELb0ES6_15HIP_vector_typeIjLj2EENS0_17counting_iteratorIjlEEPS9_SG_NS0_5tupleIJPjSI_NS0_16reverse_iteratorISI_EEEEENSH_IJSG_SG_SG_EEES9_SI_JZNS1_25segmented_radix_sort_implINS0_14default_configELb0EPKdPdPKlPlN2at6native12_GLOBAL__N_18offset_tEEE10hipError_tPvRmT1_PNSt15iterator_traitsIS12_E10value_typeET2_T3_PNS13_IS18_E10value_typeET4_jRbjT5_S1E_jjP12ihipStream_tbEUljE_ZNSN_ISO_Lb0ESQ_SR_ST_SU_SY_EESZ_S10_S11_S12_S16_S17_S18_S1B_S1C_jS1D_jS1E_S1E_jjS1G_bEUljE0_EEESZ_S10_S11_S18_S1C_S1E_T6_T7_T9_mT8_S1G_bDpT10_ENKUlT_T0_E_clISt17integral_constantIbLb0EES1T_IbLb1EEEEDaS1P_S1Q_EUlS1P_E_NS1_11comp_targetILNS1_3genE3ELNS1_11target_archE908ELNS1_3gpuE7ELNS1_3repE0EEENS1_30default_config_static_selectorELNS0_4arch9wavefront6targetE0EEEvS12_
                                        ; -- End function
	.set _ZN7rocprim17ROCPRIM_400000_NS6detail17trampoline_kernelINS0_13select_configILj256ELj13ELNS0_17block_load_methodE3ELS4_3ELS4_3ELNS0_20block_scan_algorithmE0ELj4294967295EEENS1_25partition_config_selectorILNS1_17partition_subalgoE4EjNS0_10empty_typeEbEEZZNS1_14partition_implILS8_4ELb0ES6_15HIP_vector_typeIjLj2EENS0_17counting_iteratorIjlEEPS9_SG_NS0_5tupleIJPjSI_NS0_16reverse_iteratorISI_EEEEENSH_IJSG_SG_SG_EEES9_SI_JZNS1_25segmented_radix_sort_implINS0_14default_configELb0EPKdPdPKlPlN2at6native12_GLOBAL__N_18offset_tEEE10hipError_tPvRmT1_PNSt15iterator_traitsIS12_E10value_typeET2_T3_PNS13_IS18_E10value_typeET4_jRbjT5_S1E_jjP12ihipStream_tbEUljE_ZNSN_ISO_Lb0ESQ_SR_ST_SU_SY_EESZ_S10_S11_S12_S16_S17_S18_S1B_S1C_jS1D_jS1E_S1E_jjS1G_bEUljE0_EEESZ_S10_S11_S18_S1C_S1E_T6_T7_T9_mT8_S1G_bDpT10_ENKUlT_T0_E_clISt17integral_constantIbLb0EES1T_IbLb1EEEEDaS1P_S1Q_EUlS1P_E_NS1_11comp_targetILNS1_3genE3ELNS1_11target_archE908ELNS1_3gpuE7ELNS1_3repE0EEENS1_30default_config_static_selectorELNS0_4arch9wavefront6targetE0EEEvS12_.num_vgpr, 0
	.set _ZN7rocprim17ROCPRIM_400000_NS6detail17trampoline_kernelINS0_13select_configILj256ELj13ELNS0_17block_load_methodE3ELS4_3ELS4_3ELNS0_20block_scan_algorithmE0ELj4294967295EEENS1_25partition_config_selectorILNS1_17partition_subalgoE4EjNS0_10empty_typeEbEEZZNS1_14partition_implILS8_4ELb0ES6_15HIP_vector_typeIjLj2EENS0_17counting_iteratorIjlEEPS9_SG_NS0_5tupleIJPjSI_NS0_16reverse_iteratorISI_EEEEENSH_IJSG_SG_SG_EEES9_SI_JZNS1_25segmented_radix_sort_implINS0_14default_configELb0EPKdPdPKlPlN2at6native12_GLOBAL__N_18offset_tEEE10hipError_tPvRmT1_PNSt15iterator_traitsIS12_E10value_typeET2_T3_PNS13_IS18_E10value_typeET4_jRbjT5_S1E_jjP12ihipStream_tbEUljE_ZNSN_ISO_Lb0ESQ_SR_ST_SU_SY_EESZ_S10_S11_S12_S16_S17_S18_S1B_S1C_jS1D_jS1E_S1E_jjS1G_bEUljE0_EEESZ_S10_S11_S18_S1C_S1E_T6_T7_T9_mT8_S1G_bDpT10_ENKUlT_T0_E_clISt17integral_constantIbLb0EES1T_IbLb1EEEEDaS1P_S1Q_EUlS1P_E_NS1_11comp_targetILNS1_3genE3ELNS1_11target_archE908ELNS1_3gpuE7ELNS1_3repE0EEENS1_30default_config_static_selectorELNS0_4arch9wavefront6targetE0EEEvS12_.num_agpr, 0
	.set _ZN7rocprim17ROCPRIM_400000_NS6detail17trampoline_kernelINS0_13select_configILj256ELj13ELNS0_17block_load_methodE3ELS4_3ELS4_3ELNS0_20block_scan_algorithmE0ELj4294967295EEENS1_25partition_config_selectorILNS1_17partition_subalgoE4EjNS0_10empty_typeEbEEZZNS1_14partition_implILS8_4ELb0ES6_15HIP_vector_typeIjLj2EENS0_17counting_iteratorIjlEEPS9_SG_NS0_5tupleIJPjSI_NS0_16reverse_iteratorISI_EEEEENSH_IJSG_SG_SG_EEES9_SI_JZNS1_25segmented_radix_sort_implINS0_14default_configELb0EPKdPdPKlPlN2at6native12_GLOBAL__N_18offset_tEEE10hipError_tPvRmT1_PNSt15iterator_traitsIS12_E10value_typeET2_T3_PNS13_IS18_E10value_typeET4_jRbjT5_S1E_jjP12ihipStream_tbEUljE_ZNSN_ISO_Lb0ESQ_SR_ST_SU_SY_EESZ_S10_S11_S12_S16_S17_S18_S1B_S1C_jS1D_jS1E_S1E_jjS1G_bEUljE0_EEESZ_S10_S11_S18_S1C_S1E_T6_T7_T9_mT8_S1G_bDpT10_ENKUlT_T0_E_clISt17integral_constantIbLb0EES1T_IbLb1EEEEDaS1P_S1Q_EUlS1P_E_NS1_11comp_targetILNS1_3genE3ELNS1_11target_archE908ELNS1_3gpuE7ELNS1_3repE0EEENS1_30default_config_static_selectorELNS0_4arch9wavefront6targetE0EEEvS12_.numbered_sgpr, 0
	.set _ZN7rocprim17ROCPRIM_400000_NS6detail17trampoline_kernelINS0_13select_configILj256ELj13ELNS0_17block_load_methodE3ELS4_3ELS4_3ELNS0_20block_scan_algorithmE0ELj4294967295EEENS1_25partition_config_selectorILNS1_17partition_subalgoE4EjNS0_10empty_typeEbEEZZNS1_14partition_implILS8_4ELb0ES6_15HIP_vector_typeIjLj2EENS0_17counting_iteratorIjlEEPS9_SG_NS0_5tupleIJPjSI_NS0_16reverse_iteratorISI_EEEEENSH_IJSG_SG_SG_EEES9_SI_JZNS1_25segmented_radix_sort_implINS0_14default_configELb0EPKdPdPKlPlN2at6native12_GLOBAL__N_18offset_tEEE10hipError_tPvRmT1_PNSt15iterator_traitsIS12_E10value_typeET2_T3_PNS13_IS18_E10value_typeET4_jRbjT5_S1E_jjP12ihipStream_tbEUljE_ZNSN_ISO_Lb0ESQ_SR_ST_SU_SY_EESZ_S10_S11_S12_S16_S17_S18_S1B_S1C_jS1D_jS1E_S1E_jjS1G_bEUljE0_EEESZ_S10_S11_S18_S1C_S1E_T6_T7_T9_mT8_S1G_bDpT10_ENKUlT_T0_E_clISt17integral_constantIbLb0EES1T_IbLb1EEEEDaS1P_S1Q_EUlS1P_E_NS1_11comp_targetILNS1_3genE3ELNS1_11target_archE908ELNS1_3gpuE7ELNS1_3repE0EEENS1_30default_config_static_selectorELNS0_4arch9wavefront6targetE0EEEvS12_.num_named_barrier, 0
	.set _ZN7rocprim17ROCPRIM_400000_NS6detail17trampoline_kernelINS0_13select_configILj256ELj13ELNS0_17block_load_methodE3ELS4_3ELS4_3ELNS0_20block_scan_algorithmE0ELj4294967295EEENS1_25partition_config_selectorILNS1_17partition_subalgoE4EjNS0_10empty_typeEbEEZZNS1_14partition_implILS8_4ELb0ES6_15HIP_vector_typeIjLj2EENS0_17counting_iteratorIjlEEPS9_SG_NS0_5tupleIJPjSI_NS0_16reverse_iteratorISI_EEEEENSH_IJSG_SG_SG_EEES9_SI_JZNS1_25segmented_radix_sort_implINS0_14default_configELb0EPKdPdPKlPlN2at6native12_GLOBAL__N_18offset_tEEE10hipError_tPvRmT1_PNSt15iterator_traitsIS12_E10value_typeET2_T3_PNS13_IS18_E10value_typeET4_jRbjT5_S1E_jjP12ihipStream_tbEUljE_ZNSN_ISO_Lb0ESQ_SR_ST_SU_SY_EESZ_S10_S11_S12_S16_S17_S18_S1B_S1C_jS1D_jS1E_S1E_jjS1G_bEUljE0_EEESZ_S10_S11_S18_S1C_S1E_T6_T7_T9_mT8_S1G_bDpT10_ENKUlT_T0_E_clISt17integral_constantIbLb0EES1T_IbLb1EEEEDaS1P_S1Q_EUlS1P_E_NS1_11comp_targetILNS1_3genE3ELNS1_11target_archE908ELNS1_3gpuE7ELNS1_3repE0EEENS1_30default_config_static_selectorELNS0_4arch9wavefront6targetE0EEEvS12_.private_seg_size, 0
	.set _ZN7rocprim17ROCPRIM_400000_NS6detail17trampoline_kernelINS0_13select_configILj256ELj13ELNS0_17block_load_methodE3ELS4_3ELS4_3ELNS0_20block_scan_algorithmE0ELj4294967295EEENS1_25partition_config_selectorILNS1_17partition_subalgoE4EjNS0_10empty_typeEbEEZZNS1_14partition_implILS8_4ELb0ES6_15HIP_vector_typeIjLj2EENS0_17counting_iteratorIjlEEPS9_SG_NS0_5tupleIJPjSI_NS0_16reverse_iteratorISI_EEEEENSH_IJSG_SG_SG_EEES9_SI_JZNS1_25segmented_radix_sort_implINS0_14default_configELb0EPKdPdPKlPlN2at6native12_GLOBAL__N_18offset_tEEE10hipError_tPvRmT1_PNSt15iterator_traitsIS12_E10value_typeET2_T3_PNS13_IS18_E10value_typeET4_jRbjT5_S1E_jjP12ihipStream_tbEUljE_ZNSN_ISO_Lb0ESQ_SR_ST_SU_SY_EESZ_S10_S11_S12_S16_S17_S18_S1B_S1C_jS1D_jS1E_S1E_jjS1G_bEUljE0_EEESZ_S10_S11_S18_S1C_S1E_T6_T7_T9_mT8_S1G_bDpT10_ENKUlT_T0_E_clISt17integral_constantIbLb0EES1T_IbLb1EEEEDaS1P_S1Q_EUlS1P_E_NS1_11comp_targetILNS1_3genE3ELNS1_11target_archE908ELNS1_3gpuE7ELNS1_3repE0EEENS1_30default_config_static_selectorELNS0_4arch9wavefront6targetE0EEEvS12_.uses_vcc, 0
	.set _ZN7rocprim17ROCPRIM_400000_NS6detail17trampoline_kernelINS0_13select_configILj256ELj13ELNS0_17block_load_methodE3ELS4_3ELS4_3ELNS0_20block_scan_algorithmE0ELj4294967295EEENS1_25partition_config_selectorILNS1_17partition_subalgoE4EjNS0_10empty_typeEbEEZZNS1_14partition_implILS8_4ELb0ES6_15HIP_vector_typeIjLj2EENS0_17counting_iteratorIjlEEPS9_SG_NS0_5tupleIJPjSI_NS0_16reverse_iteratorISI_EEEEENSH_IJSG_SG_SG_EEES9_SI_JZNS1_25segmented_radix_sort_implINS0_14default_configELb0EPKdPdPKlPlN2at6native12_GLOBAL__N_18offset_tEEE10hipError_tPvRmT1_PNSt15iterator_traitsIS12_E10value_typeET2_T3_PNS13_IS18_E10value_typeET4_jRbjT5_S1E_jjP12ihipStream_tbEUljE_ZNSN_ISO_Lb0ESQ_SR_ST_SU_SY_EESZ_S10_S11_S12_S16_S17_S18_S1B_S1C_jS1D_jS1E_S1E_jjS1G_bEUljE0_EEESZ_S10_S11_S18_S1C_S1E_T6_T7_T9_mT8_S1G_bDpT10_ENKUlT_T0_E_clISt17integral_constantIbLb0EES1T_IbLb1EEEEDaS1P_S1Q_EUlS1P_E_NS1_11comp_targetILNS1_3genE3ELNS1_11target_archE908ELNS1_3gpuE7ELNS1_3repE0EEENS1_30default_config_static_selectorELNS0_4arch9wavefront6targetE0EEEvS12_.uses_flat_scratch, 0
	.set _ZN7rocprim17ROCPRIM_400000_NS6detail17trampoline_kernelINS0_13select_configILj256ELj13ELNS0_17block_load_methodE3ELS4_3ELS4_3ELNS0_20block_scan_algorithmE0ELj4294967295EEENS1_25partition_config_selectorILNS1_17partition_subalgoE4EjNS0_10empty_typeEbEEZZNS1_14partition_implILS8_4ELb0ES6_15HIP_vector_typeIjLj2EENS0_17counting_iteratorIjlEEPS9_SG_NS0_5tupleIJPjSI_NS0_16reverse_iteratorISI_EEEEENSH_IJSG_SG_SG_EEES9_SI_JZNS1_25segmented_radix_sort_implINS0_14default_configELb0EPKdPdPKlPlN2at6native12_GLOBAL__N_18offset_tEEE10hipError_tPvRmT1_PNSt15iterator_traitsIS12_E10value_typeET2_T3_PNS13_IS18_E10value_typeET4_jRbjT5_S1E_jjP12ihipStream_tbEUljE_ZNSN_ISO_Lb0ESQ_SR_ST_SU_SY_EESZ_S10_S11_S12_S16_S17_S18_S1B_S1C_jS1D_jS1E_S1E_jjS1G_bEUljE0_EEESZ_S10_S11_S18_S1C_S1E_T6_T7_T9_mT8_S1G_bDpT10_ENKUlT_T0_E_clISt17integral_constantIbLb0EES1T_IbLb1EEEEDaS1P_S1Q_EUlS1P_E_NS1_11comp_targetILNS1_3genE3ELNS1_11target_archE908ELNS1_3gpuE7ELNS1_3repE0EEENS1_30default_config_static_selectorELNS0_4arch9wavefront6targetE0EEEvS12_.has_dyn_sized_stack, 0
	.set _ZN7rocprim17ROCPRIM_400000_NS6detail17trampoline_kernelINS0_13select_configILj256ELj13ELNS0_17block_load_methodE3ELS4_3ELS4_3ELNS0_20block_scan_algorithmE0ELj4294967295EEENS1_25partition_config_selectorILNS1_17partition_subalgoE4EjNS0_10empty_typeEbEEZZNS1_14partition_implILS8_4ELb0ES6_15HIP_vector_typeIjLj2EENS0_17counting_iteratorIjlEEPS9_SG_NS0_5tupleIJPjSI_NS0_16reverse_iteratorISI_EEEEENSH_IJSG_SG_SG_EEES9_SI_JZNS1_25segmented_radix_sort_implINS0_14default_configELb0EPKdPdPKlPlN2at6native12_GLOBAL__N_18offset_tEEE10hipError_tPvRmT1_PNSt15iterator_traitsIS12_E10value_typeET2_T3_PNS13_IS18_E10value_typeET4_jRbjT5_S1E_jjP12ihipStream_tbEUljE_ZNSN_ISO_Lb0ESQ_SR_ST_SU_SY_EESZ_S10_S11_S12_S16_S17_S18_S1B_S1C_jS1D_jS1E_S1E_jjS1G_bEUljE0_EEESZ_S10_S11_S18_S1C_S1E_T6_T7_T9_mT8_S1G_bDpT10_ENKUlT_T0_E_clISt17integral_constantIbLb0EES1T_IbLb1EEEEDaS1P_S1Q_EUlS1P_E_NS1_11comp_targetILNS1_3genE3ELNS1_11target_archE908ELNS1_3gpuE7ELNS1_3repE0EEENS1_30default_config_static_selectorELNS0_4arch9wavefront6targetE0EEEvS12_.has_recursion, 0
	.set _ZN7rocprim17ROCPRIM_400000_NS6detail17trampoline_kernelINS0_13select_configILj256ELj13ELNS0_17block_load_methodE3ELS4_3ELS4_3ELNS0_20block_scan_algorithmE0ELj4294967295EEENS1_25partition_config_selectorILNS1_17partition_subalgoE4EjNS0_10empty_typeEbEEZZNS1_14partition_implILS8_4ELb0ES6_15HIP_vector_typeIjLj2EENS0_17counting_iteratorIjlEEPS9_SG_NS0_5tupleIJPjSI_NS0_16reverse_iteratorISI_EEEEENSH_IJSG_SG_SG_EEES9_SI_JZNS1_25segmented_radix_sort_implINS0_14default_configELb0EPKdPdPKlPlN2at6native12_GLOBAL__N_18offset_tEEE10hipError_tPvRmT1_PNSt15iterator_traitsIS12_E10value_typeET2_T3_PNS13_IS18_E10value_typeET4_jRbjT5_S1E_jjP12ihipStream_tbEUljE_ZNSN_ISO_Lb0ESQ_SR_ST_SU_SY_EESZ_S10_S11_S12_S16_S17_S18_S1B_S1C_jS1D_jS1E_S1E_jjS1G_bEUljE0_EEESZ_S10_S11_S18_S1C_S1E_T6_T7_T9_mT8_S1G_bDpT10_ENKUlT_T0_E_clISt17integral_constantIbLb0EES1T_IbLb1EEEEDaS1P_S1Q_EUlS1P_E_NS1_11comp_targetILNS1_3genE3ELNS1_11target_archE908ELNS1_3gpuE7ELNS1_3repE0EEENS1_30default_config_static_selectorELNS0_4arch9wavefront6targetE0EEEvS12_.has_indirect_call, 0
	.section	.AMDGPU.csdata,"",@progbits
; Kernel info:
; codeLenInByte = 0
; TotalNumSgprs: 0
; NumVgprs: 0
; ScratchSize: 0
; MemoryBound: 0
; FloatMode: 240
; IeeeMode: 1
; LDSByteSize: 0 bytes/workgroup (compile time only)
; SGPRBlocks: 0
; VGPRBlocks: 0
; NumSGPRsForWavesPerEU: 1
; NumVGPRsForWavesPerEU: 1
; Occupancy: 16
; WaveLimiterHint : 0
; COMPUTE_PGM_RSRC2:SCRATCH_EN: 0
; COMPUTE_PGM_RSRC2:USER_SGPR: 2
; COMPUTE_PGM_RSRC2:TRAP_HANDLER: 0
; COMPUTE_PGM_RSRC2:TGID_X_EN: 1
; COMPUTE_PGM_RSRC2:TGID_Y_EN: 0
; COMPUTE_PGM_RSRC2:TGID_Z_EN: 0
; COMPUTE_PGM_RSRC2:TIDIG_COMP_CNT: 0
	.section	.text._ZN7rocprim17ROCPRIM_400000_NS6detail17trampoline_kernelINS0_13select_configILj256ELj13ELNS0_17block_load_methodE3ELS4_3ELS4_3ELNS0_20block_scan_algorithmE0ELj4294967295EEENS1_25partition_config_selectorILNS1_17partition_subalgoE4EjNS0_10empty_typeEbEEZZNS1_14partition_implILS8_4ELb0ES6_15HIP_vector_typeIjLj2EENS0_17counting_iteratorIjlEEPS9_SG_NS0_5tupleIJPjSI_NS0_16reverse_iteratorISI_EEEEENSH_IJSG_SG_SG_EEES9_SI_JZNS1_25segmented_radix_sort_implINS0_14default_configELb0EPKdPdPKlPlN2at6native12_GLOBAL__N_18offset_tEEE10hipError_tPvRmT1_PNSt15iterator_traitsIS12_E10value_typeET2_T3_PNS13_IS18_E10value_typeET4_jRbjT5_S1E_jjP12ihipStream_tbEUljE_ZNSN_ISO_Lb0ESQ_SR_ST_SU_SY_EESZ_S10_S11_S12_S16_S17_S18_S1B_S1C_jS1D_jS1E_S1E_jjS1G_bEUljE0_EEESZ_S10_S11_S18_S1C_S1E_T6_T7_T9_mT8_S1G_bDpT10_ENKUlT_T0_E_clISt17integral_constantIbLb0EES1T_IbLb1EEEEDaS1P_S1Q_EUlS1P_E_NS1_11comp_targetILNS1_3genE2ELNS1_11target_archE906ELNS1_3gpuE6ELNS1_3repE0EEENS1_30default_config_static_selectorELNS0_4arch9wavefront6targetE0EEEvS12_,"axG",@progbits,_ZN7rocprim17ROCPRIM_400000_NS6detail17trampoline_kernelINS0_13select_configILj256ELj13ELNS0_17block_load_methodE3ELS4_3ELS4_3ELNS0_20block_scan_algorithmE0ELj4294967295EEENS1_25partition_config_selectorILNS1_17partition_subalgoE4EjNS0_10empty_typeEbEEZZNS1_14partition_implILS8_4ELb0ES6_15HIP_vector_typeIjLj2EENS0_17counting_iteratorIjlEEPS9_SG_NS0_5tupleIJPjSI_NS0_16reverse_iteratorISI_EEEEENSH_IJSG_SG_SG_EEES9_SI_JZNS1_25segmented_radix_sort_implINS0_14default_configELb0EPKdPdPKlPlN2at6native12_GLOBAL__N_18offset_tEEE10hipError_tPvRmT1_PNSt15iterator_traitsIS12_E10value_typeET2_T3_PNS13_IS18_E10value_typeET4_jRbjT5_S1E_jjP12ihipStream_tbEUljE_ZNSN_ISO_Lb0ESQ_SR_ST_SU_SY_EESZ_S10_S11_S12_S16_S17_S18_S1B_S1C_jS1D_jS1E_S1E_jjS1G_bEUljE0_EEESZ_S10_S11_S18_S1C_S1E_T6_T7_T9_mT8_S1G_bDpT10_ENKUlT_T0_E_clISt17integral_constantIbLb0EES1T_IbLb1EEEEDaS1P_S1Q_EUlS1P_E_NS1_11comp_targetILNS1_3genE2ELNS1_11target_archE906ELNS1_3gpuE6ELNS1_3repE0EEENS1_30default_config_static_selectorELNS0_4arch9wavefront6targetE0EEEvS12_,comdat
	.globl	_ZN7rocprim17ROCPRIM_400000_NS6detail17trampoline_kernelINS0_13select_configILj256ELj13ELNS0_17block_load_methodE3ELS4_3ELS4_3ELNS0_20block_scan_algorithmE0ELj4294967295EEENS1_25partition_config_selectorILNS1_17partition_subalgoE4EjNS0_10empty_typeEbEEZZNS1_14partition_implILS8_4ELb0ES6_15HIP_vector_typeIjLj2EENS0_17counting_iteratorIjlEEPS9_SG_NS0_5tupleIJPjSI_NS0_16reverse_iteratorISI_EEEEENSH_IJSG_SG_SG_EEES9_SI_JZNS1_25segmented_radix_sort_implINS0_14default_configELb0EPKdPdPKlPlN2at6native12_GLOBAL__N_18offset_tEEE10hipError_tPvRmT1_PNSt15iterator_traitsIS12_E10value_typeET2_T3_PNS13_IS18_E10value_typeET4_jRbjT5_S1E_jjP12ihipStream_tbEUljE_ZNSN_ISO_Lb0ESQ_SR_ST_SU_SY_EESZ_S10_S11_S12_S16_S17_S18_S1B_S1C_jS1D_jS1E_S1E_jjS1G_bEUljE0_EEESZ_S10_S11_S18_S1C_S1E_T6_T7_T9_mT8_S1G_bDpT10_ENKUlT_T0_E_clISt17integral_constantIbLb0EES1T_IbLb1EEEEDaS1P_S1Q_EUlS1P_E_NS1_11comp_targetILNS1_3genE2ELNS1_11target_archE906ELNS1_3gpuE6ELNS1_3repE0EEENS1_30default_config_static_selectorELNS0_4arch9wavefront6targetE0EEEvS12_ ; -- Begin function _ZN7rocprim17ROCPRIM_400000_NS6detail17trampoline_kernelINS0_13select_configILj256ELj13ELNS0_17block_load_methodE3ELS4_3ELS4_3ELNS0_20block_scan_algorithmE0ELj4294967295EEENS1_25partition_config_selectorILNS1_17partition_subalgoE4EjNS0_10empty_typeEbEEZZNS1_14partition_implILS8_4ELb0ES6_15HIP_vector_typeIjLj2EENS0_17counting_iteratorIjlEEPS9_SG_NS0_5tupleIJPjSI_NS0_16reverse_iteratorISI_EEEEENSH_IJSG_SG_SG_EEES9_SI_JZNS1_25segmented_radix_sort_implINS0_14default_configELb0EPKdPdPKlPlN2at6native12_GLOBAL__N_18offset_tEEE10hipError_tPvRmT1_PNSt15iterator_traitsIS12_E10value_typeET2_T3_PNS13_IS18_E10value_typeET4_jRbjT5_S1E_jjP12ihipStream_tbEUljE_ZNSN_ISO_Lb0ESQ_SR_ST_SU_SY_EESZ_S10_S11_S12_S16_S17_S18_S1B_S1C_jS1D_jS1E_S1E_jjS1G_bEUljE0_EEESZ_S10_S11_S18_S1C_S1E_T6_T7_T9_mT8_S1G_bDpT10_ENKUlT_T0_E_clISt17integral_constantIbLb0EES1T_IbLb1EEEEDaS1P_S1Q_EUlS1P_E_NS1_11comp_targetILNS1_3genE2ELNS1_11target_archE906ELNS1_3gpuE6ELNS1_3repE0EEENS1_30default_config_static_selectorELNS0_4arch9wavefront6targetE0EEEvS12_
	.p2align	8
	.type	_ZN7rocprim17ROCPRIM_400000_NS6detail17trampoline_kernelINS0_13select_configILj256ELj13ELNS0_17block_load_methodE3ELS4_3ELS4_3ELNS0_20block_scan_algorithmE0ELj4294967295EEENS1_25partition_config_selectorILNS1_17partition_subalgoE4EjNS0_10empty_typeEbEEZZNS1_14partition_implILS8_4ELb0ES6_15HIP_vector_typeIjLj2EENS0_17counting_iteratorIjlEEPS9_SG_NS0_5tupleIJPjSI_NS0_16reverse_iteratorISI_EEEEENSH_IJSG_SG_SG_EEES9_SI_JZNS1_25segmented_radix_sort_implINS0_14default_configELb0EPKdPdPKlPlN2at6native12_GLOBAL__N_18offset_tEEE10hipError_tPvRmT1_PNSt15iterator_traitsIS12_E10value_typeET2_T3_PNS13_IS18_E10value_typeET4_jRbjT5_S1E_jjP12ihipStream_tbEUljE_ZNSN_ISO_Lb0ESQ_SR_ST_SU_SY_EESZ_S10_S11_S12_S16_S17_S18_S1B_S1C_jS1D_jS1E_S1E_jjS1G_bEUljE0_EEESZ_S10_S11_S18_S1C_S1E_T6_T7_T9_mT8_S1G_bDpT10_ENKUlT_T0_E_clISt17integral_constantIbLb0EES1T_IbLb1EEEEDaS1P_S1Q_EUlS1P_E_NS1_11comp_targetILNS1_3genE2ELNS1_11target_archE906ELNS1_3gpuE6ELNS1_3repE0EEENS1_30default_config_static_selectorELNS0_4arch9wavefront6targetE0EEEvS12_,@function
_ZN7rocprim17ROCPRIM_400000_NS6detail17trampoline_kernelINS0_13select_configILj256ELj13ELNS0_17block_load_methodE3ELS4_3ELS4_3ELNS0_20block_scan_algorithmE0ELj4294967295EEENS1_25partition_config_selectorILNS1_17partition_subalgoE4EjNS0_10empty_typeEbEEZZNS1_14partition_implILS8_4ELb0ES6_15HIP_vector_typeIjLj2EENS0_17counting_iteratorIjlEEPS9_SG_NS0_5tupleIJPjSI_NS0_16reverse_iteratorISI_EEEEENSH_IJSG_SG_SG_EEES9_SI_JZNS1_25segmented_radix_sort_implINS0_14default_configELb0EPKdPdPKlPlN2at6native12_GLOBAL__N_18offset_tEEE10hipError_tPvRmT1_PNSt15iterator_traitsIS12_E10value_typeET2_T3_PNS13_IS18_E10value_typeET4_jRbjT5_S1E_jjP12ihipStream_tbEUljE_ZNSN_ISO_Lb0ESQ_SR_ST_SU_SY_EESZ_S10_S11_S12_S16_S17_S18_S1B_S1C_jS1D_jS1E_S1E_jjS1G_bEUljE0_EEESZ_S10_S11_S18_S1C_S1E_T6_T7_T9_mT8_S1G_bDpT10_ENKUlT_T0_E_clISt17integral_constantIbLb0EES1T_IbLb1EEEEDaS1P_S1Q_EUlS1P_E_NS1_11comp_targetILNS1_3genE2ELNS1_11target_archE906ELNS1_3gpuE6ELNS1_3repE0EEENS1_30default_config_static_selectorELNS0_4arch9wavefront6targetE0EEEvS12_: ; @_ZN7rocprim17ROCPRIM_400000_NS6detail17trampoline_kernelINS0_13select_configILj256ELj13ELNS0_17block_load_methodE3ELS4_3ELS4_3ELNS0_20block_scan_algorithmE0ELj4294967295EEENS1_25partition_config_selectorILNS1_17partition_subalgoE4EjNS0_10empty_typeEbEEZZNS1_14partition_implILS8_4ELb0ES6_15HIP_vector_typeIjLj2EENS0_17counting_iteratorIjlEEPS9_SG_NS0_5tupleIJPjSI_NS0_16reverse_iteratorISI_EEEEENSH_IJSG_SG_SG_EEES9_SI_JZNS1_25segmented_radix_sort_implINS0_14default_configELb0EPKdPdPKlPlN2at6native12_GLOBAL__N_18offset_tEEE10hipError_tPvRmT1_PNSt15iterator_traitsIS12_E10value_typeET2_T3_PNS13_IS18_E10value_typeET4_jRbjT5_S1E_jjP12ihipStream_tbEUljE_ZNSN_ISO_Lb0ESQ_SR_ST_SU_SY_EESZ_S10_S11_S12_S16_S17_S18_S1B_S1C_jS1D_jS1E_S1E_jjS1G_bEUljE0_EEESZ_S10_S11_S18_S1C_S1E_T6_T7_T9_mT8_S1G_bDpT10_ENKUlT_T0_E_clISt17integral_constantIbLb0EES1T_IbLb1EEEEDaS1P_S1Q_EUlS1P_E_NS1_11comp_targetILNS1_3genE2ELNS1_11target_archE906ELNS1_3gpuE6ELNS1_3repE0EEENS1_30default_config_static_selectorELNS0_4arch9wavefront6targetE0EEEvS12_
; %bb.0:
	.section	.rodata,"a",@progbits
	.p2align	6, 0x0
	.amdhsa_kernel _ZN7rocprim17ROCPRIM_400000_NS6detail17trampoline_kernelINS0_13select_configILj256ELj13ELNS0_17block_load_methodE3ELS4_3ELS4_3ELNS0_20block_scan_algorithmE0ELj4294967295EEENS1_25partition_config_selectorILNS1_17partition_subalgoE4EjNS0_10empty_typeEbEEZZNS1_14partition_implILS8_4ELb0ES6_15HIP_vector_typeIjLj2EENS0_17counting_iteratorIjlEEPS9_SG_NS0_5tupleIJPjSI_NS0_16reverse_iteratorISI_EEEEENSH_IJSG_SG_SG_EEES9_SI_JZNS1_25segmented_radix_sort_implINS0_14default_configELb0EPKdPdPKlPlN2at6native12_GLOBAL__N_18offset_tEEE10hipError_tPvRmT1_PNSt15iterator_traitsIS12_E10value_typeET2_T3_PNS13_IS18_E10value_typeET4_jRbjT5_S1E_jjP12ihipStream_tbEUljE_ZNSN_ISO_Lb0ESQ_SR_ST_SU_SY_EESZ_S10_S11_S12_S16_S17_S18_S1B_S1C_jS1D_jS1E_S1E_jjS1G_bEUljE0_EEESZ_S10_S11_S18_S1C_S1E_T6_T7_T9_mT8_S1G_bDpT10_ENKUlT_T0_E_clISt17integral_constantIbLb0EES1T_IbLb1EEEEDaS1P_S1Q_EUlS1P_E_NS1_11comp_targetILNS1_3genE2ELNS1_11target_archE906ELNS1_3gpuE6ELNS1_3repE0EEENS1_30default_config_static_selectorELNS0_4arch9wavefront6targetE0EEEvS12_
		.amdhsa_group_segment_fixed_size 0
		.amdhsa_private_segment_fixed_size 0
		.amdhsa_kernarg_size 184
		.amdhsa_user_sgpr_count 2
		.amdhsa_user_sgpr_dispatch_ptr 0
		.amdhsa_user_sgpr_queue_ptr 0
		.amdhsa_user_sgpr_kernarg_segment_ptr 1
		.amdhsa_user_sgpr_dispatch_id 0
		.amdhsa_user_sgpr_private_segment_size 0
		.amdhsa_wavefront_size32 1
		.amdhsa_uses_dynamic_stack 0
		.amdhsa_enable_private_segment 0
		.amdhsa_system_sgpr_workgroup_id_x 1
		.amdhsa_system_sgpr_workgroup_id_y 0
		.amdhsa_system_sgpr_workgroup_id_z 0
		.amdhsa_system_sgpr_workgroup_info 0
		.amdhsa_system_vgpr_workitem_id 0
		.amdhsa_next_free_vgpr 1
		.amdhsa_next_free_sgpr 1
		.amdhsa_reserve_vcc 0
		.amdhsa_float_round_mode_32 0
		.amdhsa_float_round_mode_16_64 0
		.amdhsa_float_denorm_mode_32 3
		.amdhsa_float_denorm_mode_16_64 3
		.amdhsa_fp16_overflow 0
		.amdhsa_workgroup_processor_mode 1
		.amdhsa_memory_ordered 1
		.amdhsa_forward_progress 1
		.amdhsa_inst_pref_size 0
		.amdhsa_round_robin_scheduling 0
		.amdhsa_exception_fp_ieee_invalid_op 0
		.amdhsa_exception_fp_denorm_src 0
		.amdhsa_exception_fp_ieee_div_zero 0
		.amdhsa_exception_fp_ieee_overflow 0
		.amdhsa_exception_fp_ieee_underflow 0
		.amdhsa_exception_fp_ieee_inexact 0
		.amdhsa_exception_int_div_zero 0
	.end_amdhsa_kernel
	.section	.text._ZN7rocprim17ROCPRIM_400000_NS6detail17trampoline_kernelINS0_13select_configILj256ELj13ELNS0_17block_load_methodE3ELS4_3ELS4_3ELNS0_20block_scan_algorithmE0ELj4294967295EEENS1_25partition_config_selectorILNS1_17partition_subalgoE4EjNS0_10empty_typeEbEEZZNS1_14partition_implILS8_4ELb0ES6_15HIP_vector_typeIjLj2EENS0_17counting_iteratorIjlEEPS9_SG_NS0_5tupleIJPjSI_NS0_16reverse_iteratorISI_EEEEENSH_IJSG_SG_SG_EEES9_SI_JZNS1_25segmented_radix_sort_implINS0_14default_configELb0EPKdPdPKlPlN2at6native12_GLOBAL__N_18offset_tEEE10hipError_tPvRmT1_PNSt15iterator_traitsIS12_E10value_typeET2_T3_PNS13_IS18_E10value_typeET4_jRbjT5_S1E_jjP12ihipStream_tbEUljE_ZNSN_ISO_Lb0ESQ_SR_ST_SU_SY_EESZ_S10_S11_S12_S16_S17_S18_S1B_S1C_jS1D_jS1E_S1E_jjS1G_bEUljE0_EEESZ_S10_S11_S18_S1C_S1E_T6_T7_T9_mT8_S1G_bDpT10_ENKUlT_T0_E_clISt17integral_constantIbLb0EES1T_IbLb1EEEEDaS1P_S1Q_EUlS1P_E_NS1_11comp_targetILNS1_3genE2ELNS1_11target_archE906ELNS1_3gpuE6ELNS1_3repE0EEENS1_30default_config_static_selectorELNS0_4arch9wavefront6targetE0EEEvS12_,"axG",@progbits,_ZN7rocprim17ROCPRIM_400000_NS6detail17trampoline_kernelINS0_13select_configILj256ELj13ELNS0_17block_load_methodE3ELS4_3ELS4_3ELNS0_20block_scan_algorithmE0ELj4294967295EEENS1_25partition_config_selectorILNS1_17partition_subalgoE4EjNS0_10empty_typeEbEEZZNS1_14partition_implILS8_4ELb0ES6_15HIP_vector_typeIjLj2EENS0_17counting_iteratorIjlEEPS9_SG_NS0_5tupleIJPjSI_NS0_16reverse_iteratorISI_EEEEENSH_IJSG_SG_SG_EEES9_SI_JZNS1_25segmented_radix_sort_implINS0_14default_configELb0EPKdPdPKlPlN2at6native12_GLOBAL__N_18offset_tEEE10hipError_tPvRmT1_PNSt15iterator_traitsIS12_E10value_typeET2_T3_PNS13_IS18_E10value_typeET4_jRbjT5_S1E_jjP12ihipStream_tbEUljE_ZNSN_ISO_Lb0ESQ_SR_ST_SU_SY_EESZ_S10_S11_S12_S16_S17_S18_S1B_S1C_jS1D_jS1E_S1E_jjS1G_bEUljE0_EEESZ_S10_S11_S18_S1C_S1E_T6_T7_T9_mT8_S1G_bDpT10_ENKUlT_T0_E_clISt17integral_constantIbLb0EES1T_IbLb1EEEEDaS1P_S1Q_EUlS1P_E_NS1_11comp_targetILNS1_3genE2ELNS1_11target_archE906ELNS1_3gpuE6ELNS1_3repE0EEENS1_30default_config_static_selectorELNS0_4arch9wavefront6targetE0EEEvS12_,comdat
.Lfunc_end1185:
	.size	_ZN7rocprim17ROCPRIM_400000_NS6detail17trampoline_kernelINS0_13select_configILj256ELj13ELNS0_17block_load_methodE3ELS4_3ELS4_3ELNS0_20block_scan_algorithmE0ELj4294967295EEENS1_25partition_config_selectorILNS1_17partition_subalgoE4EjNS0_10empty_typeEbEEZZNS1_14partition_implILS8_4ELb0ES6_15HIP_vector_typeIjLj2EENS0_17counting_iteratorIjlEEPS9_SG_NS0_5tupleIJPjSI_NS0_16reverse_iteratorISI_EEEEENSH_IJSG_SG_SG_EEES9_SI_JZNS1_25segmented_radix_sort_implINS0_14default_configELb0EPKdPdPKlPlN2at6native12_GLOBAL__N_18offset_tEEE10hipError_tPvRmT1_PNSt15iterator_traitsIS12_E10value_typeET2_T3_PNS13_IS18_E10value_typeET4_jRbjT5_S1E_jjP12ihipStream_tbEUljE_ZNSN_ISO_Lb0ESQ_SR_ST_SU_SY_EESZ_S10_S11_S12_S16_S17_S18_S1B_S1C_jS1D_jS1E_S1E_jjS1G_bEUljE0_EEESZ_S10_S11_S18_S1C_S1E_T6_T7_T9_mT8_S1G_bDpT10_ENKUlT_T0_E_clISt17integral_constantIbLb0EES1T_IbLb1EEEEDaS1P_S1Q_EUlS1P_E_NS1_11comp_targetILNS1_3genE2ELNS1_11target_archE906ELNS1_3gpuE6ELNS1_3repE0EEENS1_30default_config_static_selectorELNS0_4arch9wavefront6targetE0EEEvS12_, .Lfunc_end1185-_ZN7rocprim17ROCPRIM_400000_NS6detail17trampoline_kernelINS0_13select_configILj256ELj13ELNS0_17block_load_methodE3ELS4_3ELS4_3ELNS0_20block_scan_algorithmE0ELj4294967295EEENS1_25partition_config_selectorILNS1_17partition_subalgoE4EjNS0_10empty_typeEbEEZZNS1_14partition_implILS8_4ELb0ES6_15HIP_vector_typeIjLj2EENS0_17counting_iteratorIjlEEPS9_SG_NS0_5tupleIJPjSI_NS0_16reverse_iteratorISI_EEEEENSH_IJSG_SG_SG_EEES9_SI_JZNS1_25segmented_radix_sort_implINS0_14default_configELb0EPKdPdPKlPlN2at6native12_GLOBAL__N_18offset_tEEE10hipError_tPvRmT1_PNSt15iterator_traitsIS12_E10value_typeET2_T3_PNS13_IS18_E10value_typeET4_jRbjT5_S1E_jjP12ihipStream_tbEUljE_ZNSN_ISO_Lb0ESQ_SR_ST_SU_SY_EESZ_S10_S11_S12_S16_S17_S18_S1B_S1C_jS1D_jS1E_S1E_jjS1G_bEUljE0_EEESZ_S10_S11_S18_S1C_S1E_T6_T7_T9_mT8_S1G_bDpT10_ENKUlT_T0_E_clISt17integral_constantIbLb0EES1T_IbLb1EEEEDaS1P_S1Q_EUlS1P_E_NS1_11comp_targetILNS1_3genE2ELNS1_11target_archE906ELNS1_3gpuE6ELNS1_3repE0EEENS1_30default_config_static_selectorELNS0_4arch9wavefront6targetE0EEEvS12_
                                        ; -- End function
	.set _ZN7rocprim17ROCPRIM_400000_NS6detail17trampoline_kernelINS0_13select_configILj256ELj13ELNS0_17block_load_methodE3ELS4_3ELS4_3ELNS0_20block_scan_algorithmE0ELj4294967295EEENS1_25partition_config_selectorILNS1_17partition_subalgoE4EjNS0_10empty_typeEbEEZZNS1_14partition_implILS8_4ELb0ES6_15HIP_vector_typeIjLj2EENS0_17counting_iteratorIjlEEPS9_SG_NS0_5tupleIJPjSI_NS0_16reverse_iteratorISI_EEEEENSH_IJSG_SG_SG_EEES9_SI_JZNS1_25segmented_radix_sort_implINS0_14default_configELb0EPKdPdPKlPlN2at6native12_GLOBAL__N_18offset_tEEE10hipError_tPvRmT1_PNSt15iterator_traitsIS12_E10value_typeET2_T3_PNS13_IS18_E10value_typeET4_jRbjT5_S1E_jjP12ihipStream_tbEUljE_ZNSN_ISO_Lb0ESQ_SR_ST_SU_SY_EESZ_S10_S11_S12_S16_S17_S18_S1B_S1C_jS1D_jS1E_S1E_jjS1G_bEUljE0_EEESZ_S10_S11_S18_S1C_S1E_T6_T7_T9_mT8_S1G_bDpT10_ENKUlT_T0_E_clISt17integral_constantIbLb0EES1T_IbLb1EEEEDaS1P_S1Q_EUlS1P_E_NS1_11comp_targetILNS1_3genE2ELNS1_11target_archE906ELNS1_3gpuE6ELNS1_3repE0EEENS1_30default_config_static_selectorELNS0_4arch9wavefront6targetE0EEEvS12_.num_vgpr, 0
	.set _ZN7rocprim17ROCPRIM_400000_NS6detail17trampoline_kernelINS0_13select_configILj256ELj13ELNS0_17block_load_methodE3ELS4_3ELS4_3ELNS0_20block_scan_algorithmE0ELj4294967295EEENS1_25partition_config_selectorILNS1_17partition_subalgoE4EjNS0_10empty_typeEbEEZZNS1_14partition_implILS8_4ELb0ES6_15HIP_vector_typeIjLj2EENS0_17counting_iteratorIjlEEPS9_SG_NS0_5tupleIJPjSI_NS0_16reverse_iteratorISI_EEEEENSH_IJSG_SG_SG_EEES9_SI_JZNS1_25segmented_radix_sort_implINS0_14default_configELb0EPKdPdPKlPlN2at6native12_GLOBAL__N_18offset_tEEE10hipError_tPvRmT1_PNSt15iterator_traitsIS12_E10value_typeET2_T3_PNS13_IS18_E10value_typeET4_jRbjT5_S1E_jjP12ihipStream_tbEUljE_ZNSN_ISO_Lb0ESQ_SR_ST_SU_SY_EESZ_S10_S11_S12_S16_S17_S18_S1B_S1C_jS1D_jS1E_S1E_jjS1G_bEUljE0_EEESZ_S10_S11_S18_S1C_S1E_T6_T7_T9_mT8_S1G_bDpT10_ENKUlT_T0_E_clISt17integral_constantIbLb0EES1T_IbLb1EEEEDaS1P_S1Q_EUlS1P_E_NS1_11comp_targetILNS1_3genE2ELNS1_11target_archE906ELNS1_3gpuE6ELNS1_3repE0EEENS1_30default_config_static_selectorELNS0_4arch9wavefront6targetE0EEEvS12_.num_agpr, 0
	.set _ZN7rocprim17ROCPRIM_400000_NS6detail17trampoline_kernelINS0_13select_configILj256ELj13ELNS0_17block_load_methodE3ELS4_3ELS4_3ELNS0_20block_scan_algorithmE0ELj4294967295EEENS1_25partition_config_selectorILNS1_17partition_subalgoE4EjNS0_10empty_typeEbEEZZNS1_14partition_implILS8_4ELb0ES6_15HIP_vector_typeIjLj2EENS0_17counting_iteratorIjlEEPS9_SG_NS0_5tupleIJPjSI_NS0_16reverse_iteratorISI_EEEEENSH_IJSG_SG_SG_EEES9_SI_JZNS1_25segmented_radix_sort_implINS0_14default_configELb0EPKdPdPKlPlN2at6native12_GLOBAL__N_18offset_tEEE10hipError_tPvRmT1_PNSt15iterator_traitsIS12_E10value_typeET2_T3_PNS13_IS18_E10value_typeET4_jRbjT5_S1E_jjP12ihipStream_tbEUljE_ZNSN_ISO_Lb0ESQ_SR_ST_SU_SY_EESZ_S10_S11_S12_S16_S17_S18_S1B_S1C_jS1D_jS1E_S1E_jjS1G_bEUljE0_EEESZ_S10_S11_S18_S1C_S1E_T6_T7_T9_mT8_S1G_bDpT10_ENKUlT_T0_E_clISt17integral_constantIbLb0EES1T_IbLb1EEEEDaS1P_S1Q_EUlS1P_E_NS1_11comp_targetILNS1_3genE2ELNS1_11target_archE906ELNS1_3gpuE6ELNS1_3repE0EEENS1_30default_config_static_selectorELNS0_4arch9wavefront6targetE0EEEvS12_.numbered_sgpr, 0
	.set _ZN7rocprim17ROCPRIM_400000_NS6detail17trampoline_kernelINS0_13select_configILj256ELj13ELNS0_17block_load_methodE3ELS4_3ELS4_3ELNS0_20block_scan_algorithmE0ELj4294967295EEENS1_25partition_config_selectorILNS1_17partition_subalgoE4EjNS0_10empty_typeEbEEZZNS1_14partition_implILS8_4ELb0ES6_15HIP_vector_typeIjLj2EENS0_17counting_iteratorIjlEEPS9_SG_NS0_5tupleIJPjSI_NS0_16reverse_iteratorISI_EEEEENSH_IJSG_SG_SG_EEES9_SI_JZNS1_25segmented_radix_sort_implINS0_14default_configELb0EPKdPdPKlPlN2at6native12_GLOBAL__N_18offset_tEEE10hipError_tPvRmT1_PNSt15iterator_traitsIS12_E10value_typeET2_T3_PNS13_IS18_E10value_typeET4_jRbjT5_S1E_jjP12ihipStream_tbEUljE_ZNSN_ISO_Lb0ESQ_SR_ST_SU_SY_EESZ_S10_S11_S12_S16_S17_S18_S1B_S1C_jS1D_jS1E_S1E_jjS1G_bEUljE0_EEESZ_S10_S11_S18_S1C_S1E_T6_T7_T9_mT8_S1G_bDpT10_ENKUlT_T0_E_clISt17integral_constantIbLb0EES1T_IbLb1EEEEDaS1P_S1Q_EUlS1P_E_NS1_11comp_targetILNS1_3genE2ELNS1_11target_archE906ELNS1_3gpuE6ELNS1_3repE0EEENS1_30default_config_static_selectorELNS0_4arch9wavefront6targetE0EEEvS12_.num_named_barrier, 0
	.set _ZN7rocprim17ROCPRIM_400000_NS6detail17trampoline_kernelINS0_13select_configILj256ELj13ELNS0_17block_load_methodE3ELS4_3ELS4_3ELNS0_20block_scan_algorithmE0ELj4294967295EEENS1_25partition_config_selectorILNS1_17partition_subalgoE4EjNS0_10empty_typeEbEEZZNS1_14partition_implILS8_4ELb0ES6_15HIP_vector_typeIjLj2EENS0_17counting_iteratorIjlEEPS9_SG_NS0_5tupleIJPjSI_NS0_16reverse_iteratorISI_EEEEENSH_IJSG_SG_SG_EEES9_SI_JZNS1_25segmented_radix_sort_implINS0_14default_configELb0EPKdPdPKlPlN2at6native12_GLOBAL__N_18offset_tEEE10hipError_tPvRmT1_PNSt15iterator_traitsIS12_E10value_typeET2_T3_PNS13_IS18_E10value_typeET4_jRbjT5_S1E_jjP12ihipStream_tbEUljE_ZNSN_ISO_Lb0ESQ_SR_ST_SU_SY_EESZ_S10_S11_S12_S16_S17_S18_S1B_S1C_jS1D_jS1E_S1E_jjS1G_bEUljE0_EEESZ_S10_S11_S18_S1C_S1E_T6_T7_T9_mT8_S1G_bDpT10_ENKUlT_T0_E_clISt17integral_constantIbLb0EES1T_IbLb1EEEEDaS1P_S1Q_EUlS1P_E_NS1_11comp_targetILNS1_3genE2ELNS1_11target_archE906ELNS1_3gpuE6ELNS1_3repE0EEENS1_30default_config_static_selectorELNS0_4arch9wavefront6targetE0EEEvS12_.private_seg_size, 0
	.set _ZN7rocprim17ROCPRIM_400000_NS6detail17trampoline_kernelINS0_13select_configILj256ELj13ELNS0_17block_load_methodE3ELS4_3ELS4_3ELNS0_20block_scan_algorithmE0ELj4294967295EEENS1_25partition_config_selectorILNS1_17partition_subalgoE4EjNS0_10empty_typeEbEEZZNS1_14partition_implILS8_4ELb0ES6_15HIP_vector_typeIjLj2EENS0_17counting_iteratorIjlEEPS9_SG_NS0_5tupleIJPjSI_NS0_16reverse_iteratorISI_EEEEENSH_IJSG_SG_SG_EEES9_SI_JZNS1_25segmented_radix_sort_implINS0_14default_configELb0EPKdPdPKlPlN2at6native12_GLOBAL__N_18offset_tEEE10hipError_tPvRmT1_PNSt15iterator_traitsIS12_E10value_typeET2_T3_PNS13_IS18_E10value_typeET4_jRbjT5_S1E_jjP12ihipStream_tbEUljE_ZNSN_ISO_Lb0ESQ_SR_ST_SU_SY_EESZ_S10_S11_S12_S16_S17_S18_S1B_S1C_jS1D_jS1E_S1E_jjS1G_bEUljE0_EEESZ_S10_S11_S18_S1C_S1E_T6_T7_T9_mT8_S1G_bDpT10_ENKUlT_T0_E_clISt17integral_constantIbLb0EES1T_IbLb1EEEEDaS1P_S1Q_EUlS1P_E_NS1_11comp_targetILNS1_3genE2ELNS1_11target_archE906ELNS1_3gpuE6ELNS1_3repE0EEENS1_30default_config_static_selectorELNS0_4arch9wavefront6targetE0EEEvS12_.uses_vcc, 0
	.set _ZN7rocprim17ROCPRIM_400000_NS6detail17trampoline_kernelINS0_13select_configILj256ELj13ELNS0_17block_load_methodE3ELS4_3ELS4_3ELNS0_20block_scan_algorithmE0ELj4294967295EEENS1_25partition_config_selectorILNS1_17partition_subalgoE4EjNS0_10empty_typeEbEEZZNS1_14partition_implILS8_4ELb0ES6_15HIP_vector_typeIjLj2EENS0_17counting_iteratorIjlEEPS9_SG_NS0_5tupleIJPjSI_NS0_16reverse_iteratorISI_EEEEENSH_IJSG_SG_SG_EEES9_SI_JZNS1_25segmented_radix_sort_implINS0_14default_configELb0EPKdPdPKlPlN2at6native12_GLOBAL__N_18offset_tEEE10hipError_tPvRmT1_PNSt15iterator_traitsIS12_E10value_typeET2_T3_PNS13_IS18_E10value_typeET4_jRbjT5_S1E_jjP12ihipStream_tbEUljE_ZNSN_ISO_Lb0ESQ_SR_ST_SU_SY_EESZ_S10_S11_S12_S16_S17_S18_S1B_S1C_jS1D_jS1E_S1E_jjS1G_bEUljE0_EEESZ_S10_S11_S18_S1C_S1E_T6_T7_T9_mT8_S1G_bDpT10_ENKUlT_T0_E_clISt17integral_constantIbLb0EES1T_IbLb1EEEEDaS1P_S1Q_EUlS1P_E_NS1_11comp_targetILNS1_3genE2ELNS1_11target_archE906ELNS1_3gpuE6ELNS1_3repE0EEENS1_30default_config_static_selectorELNS0_4arch9wavefront6targetE0EEEvS12_.uses_flat_scratch, 0
	.set _ZN7rocprim17ROCPRIM_400000_NS6detail17trampoline_kernelINS0_13select_configILj256ELj13ELNS0_17block_load_methodE3ELS4_3ELS4_3ELNS0_20block_scan_algorithmE0ELj4294967295EEENS1_25partition_config_selectorILNS1_17partition_subalgoE4EjNS0_10empty_typeEbEEZZNS1_14partition_implILS8_4ELb0ES6_15HIP_vector_typeIjLj2EENS0_17counting_iteratorIjlEEPS9_SG_NS0_5tupleIJPjSI_NS0_16reverse_iteratorISI_EEEEENSH_IJSG_SG_SG_EEES9_SI_JZNS1_25segmented_radix_sort_implINS0_14default_configELb0EPKdPdPKlPlN2at6native12_GLOBAL__N_18offset_tEEE10hipError_tPvRmT1_PNSt15iterator_traitsIS12_E10value_typeET2_T3_PNS13_IS18_E10value_typeET4_jRbjT5_S1E_jjP12ihipStream_tbEUljE_ZNSN_ISO_Lb0ESQ_SR_ST_SU_SY_EESZ_S10_S11_S12_S16_S17_S18_S1B_S1C_jS1D_jS1E_S1E_jjS1G_bEUljE0_EEESZ_S10_S11_S18_S1C_S1E_T6_T7_T9_mT8_S1G_bDpT10_ENKUlT_T0_E_clISt17integral_constantIbLb0EES1T_IbLb1EEEEDaS1P_S1Q_EUlS1P_E_NS1_11comp_targetILNS1_3genE2ELNS1_11target_archE906ELNS1_3gpuE6ELNS1_3repE0EEENS1_30default_config_static_selectorELNS0_4arch9wavefront6targetE0EEEvS12_.has_dyn_sized_stack, 0
	.set _ZN7rocprim17ROCPRIM_400000_NS6detail17trampoline_kernelINS0_13select_configILj256ELj13ELNS0_17block_load_methodE3ELS4_3ELS4_3ELNS0_20block_scan_algorithmE0ELj4294967295EEENS1_25partition_config_selectorILNS1_17partition_subalgoE4EjNS0_10empty_typeEbEEZZNS1_14partition_implILS8_4ELb0ES6_15HIP_vector_typeIjLj2EENS0_17counting_iteratorIjlEEPS9_SG_NS0_5tupleIJPjSI_NS0_16reverse_iteratorISI_EEEEENSH_IJSG_SG_SG_EEES9_SI_JZNS1_25segmented_radix_sort_implINS0_14default_configELb0EPKdPdPKlPlN2at6native12_GLOBAL__N_18offset_tEEE10hipError_tPvRmT1_PNSt15iterator_traitsIS12_E10value_typeET2_T3_PNS13_IS18_E10value_typeET4_jRbjT5_S1E_jjP12ihipStream_tbEUljE_ZNSN_ISO_Lb0ESQ_SR_ST_SU_SY_EESZ_S10_S11_S12_S16_S17_S18_S1B_S1C_jS1D_jS1E_S1E_jjS1G_bEUljE0_EEESZ_S10_S11_S18_S1C_S1E_T6_T7_T9_mT8_S1G_bDpT10_ENKUlT_T0_E_clISt17integral_constantIbLb0EES1T_IbLb1EEEEDaS1P_S1Q_EUlS1P_E_NS1_11comp_targetILNS1_3genE2ELNS1_11target_archE906ELNS1_3gpuE6ELNS1_3repE0EEENS1_30default_config_static_selectorELNS0_4arch9wavefront6targetE0EEEvS12_.has_recursion, 0
	.set _ZN7rocprim17ROCPRIM_400000_NS6detail17trampoline_kernelINS0_13select_configILj256ELj13ELNS0_17block_load_methodE3ELS4_3ELS4_3ELNS0_20block_scan_algorithmE0ELj4294967295EEENS1_25partition_config_selectorILNS1_17partition_subalgoE4EjNS0_10empty_typeEbEEZZNS1_14partition_implILS8_4ELb0ES6_15HIP_vector_typeIjLj2EENS0_17counting_iteratorIjlEEPS9_SG_NS0_5tupleIJPjSI_NS0_16reverse_iteratorISI_EEEEENSH_IJSG_SG_SG_EEES9_SI_JZNS1_25segmented_radix_sort_implINS0_14default_configELb0EPKdPdPKlPlN2at6native12_GLOBAL__N_18offset_tEEE10hipError_tPvRmT1_PNSt15iterator_traitsIS12_E10value_typeET2_T3_PNS13_IS18_E10value_typeET4_jRbjT5_S1E_jjP12ihipStream_tbEUljE_ZNSN_ISO_Lb0ESQ_SR_ST_SU_SY_EESZ_S10_S11_S12_S16_S17_S18_S1B_S1C_jS1D_jS1E_S1E_jjS1G_bEUljE0_EEESZ_S10_S11_S18_S1C_S1E_T6_T7_T9_mT8_S1G_bDpT10_ENKUlT_T0_E_clISt17integral_constantIbLb0EES1T_IbLb1EEEEDaS1P_S1Q_EUlS1P_E_NS1_11comp_targetILNS1_3genE2ELNS1_11target_archE906ELNS1_3gpuE6ELNS1_3repE0EEENS1_30default_config_static_selectorELNS0_4arch9wavefront6targetE0EEEvS12_.has_indirect_call, 0
	.section	.AMDGPU.csdata,"",@progbits
; Kernel info:
; codeLenInByte = 0
; TotalNumSgprs: 0
; NumVgprs: 0
; ScratchSize: 0
; MemoryBound: 0
; FloatMode: 240
; IeeeMode: 1
; LDSByteSize: 0 bytes/workgroup (compile time only)
; SGPRBlocks: 0
; VGPRBlocks: 0
; NumSGPRsForWavesPerEU: 1
; NumVGPRsForWavesPerEU: 1
; Occupancy: 16
; WaveLimiterHint : 0
; COMPUTE_PGM_RSRC2:SCRATCH_EN: 0
; COMPUTE_PGM_RSRC2:USER_SGPR: 2
; COMPUTE_PGM_RSRC2:TRAP_HANDLER: 0
; COMPUTE_PGM_RSRC2:TGID_X_EN: 1
; COMPUTE_PGM_RSRC2:TGID_Y_EN: 0
; COMPUTE_PGM_RSRC2:TGID_Z_EN: 0
; COMPUTE_PGM_RSRC2:TIDIG_COMP_CNT: 0
	.section	.text._ZN7rocprim17ROCPRIM_400000_NS6detail17trampoline_kernelINS0_13select_configILj256ELj13ELNS0_17block_load_methodE3ELS4_3ELS4_3ELNS0_20block_scan_algorithmE0ELj4294967295EEENS1_25partition_config_selectorILNS1_17partition_subalgoE4EjNS0_10empty_typeEbEEZZNS1_14partition_implILS8_4ELb0ES6_15HIP_vector_typeIjLj2EENS0_17counting_iteratorIjlEEPS9_SG_NS0_5tupleIJPjSI_NS0_16reverse_iteratorISI_EEEEENSH_IJSG_SG_SG_EEES9_SI_JZNS1_25segmented_radix_sort_implINS0_14default_configELb0EPKdPdPKlPlN2at6native12_GLOBAL__N_18offset_tEEE10hipError_tPvRmT1_PNSt15iterator_traitsIS12_E10value_typeET2_T3_PNS13_IS18_E10value_typeET4_jRbjT5_S1E_jjP12ihipStream_tbEUljE_ZNSN_ISO_Lb0ESQ_SR_ST_SU_SY_EESZ_S10_S11_S12_S16_S17_S18_S1B_S1C_jS1D_jS1E_S1E_jjS1G_bEUljE0_EEESZ_S10_S11_S18_S1C_S1E_T6_T7_T9_mT8_S1G_bDpT10_ENKUlT_T0_E_clISt17integral_constantIbLb0EES1T_IbLb1EEEEDaS1P_S1Q_EUlS1P_E_NS1_11comp_targetILNS1_3genE10ELNS1_11target_archE1200ELNS1_3gpuE4ELNS1_3repE0EEENS1_30default_config_static_selectorELNS0_4arch9wavefront6targetE0EEEvS12_,"axG",@progbits,_ZN7rocprim17ROCPRIM_400000_NS6detail17trampoline_kernelINS0_13select_configILj256ELj13ELNS0_17block_load_methodE3ELS4_3ELS4_3ELNS0_20block_scan_algorithmE0ELj4294967295EEENS1_25partition_config_selectorILNS1_17partition_subalgoE4EjNS0_10empty_typeEbEEZZNS1_14partition_implILS8_4ELb0ES6_15HIP_vector_typeIjLj2EENS0_17counting_iteratorIjlEEPS9_SG_NS0_5tupleIJPjSI_NS0_16reverse_iteratorISI_EEEEENSH_IJSG_SG_SG_EEES9_SI_JZNS1_25segmented_radix_sort_implINS0_14default_configELb0EPKdPdPKlPlN2at6native12_GLOBAL__N_18offset_tEEE10hipError_tPvRmT1_PNSt15iterator_traitsIS12_E10value_typeET2_T3_PNS13_IS18_E10value_typeET4_jRbjT5_S1E_jjP12ihipStream_tbEUljE_ZNSN_ISO_Lb0ESQ_SR_ST_SU_SY_EESZ_S10_S11_S12_S16_S17_S18_S1B_S1C_jS1D_jS1E_S1E_jjS1G_bEUljE0_EEESZ_S10_S11_S18_S1C_S1E_T6_T7_T9_mT8_S1G_bDpT10_ENKUlT_T0_E_clISt17integral_constantIbLb0EES1T_IbLb1EEEEDaS1P_S1Q_EUlS1P_E_NS1_11comp_targetILNS1_3genE10ELNS1_11target_archE1200ELNS1_3gpuE4ELNS1_3repE0EEENS1_30default_config_static_selectorELNS0_4arch9wavefront6targetE0EEEvS12_,comdat
	.globl	_ZN7rocprim17ROCPRIM_400000_NS6detail17trampoline_kernelINS0_13select_configILj256ELj13ELNS0_17block_load_methodE3ELS4_3ELS4_3ELNS0_20block_scan_algorithmE0ELj4294967295EEENS1_25partition_config_selectorILNS1_17partition_subalgoE4EjNS0_10empty_typeEbEEZZNS1_14partition_implILS8_4ELb0ES6_15HIP_vector_typeIjLj2EENS0_17counting_iteratorIjlEEPS9_SG_NS0_5tupleIJPjSI_NS0_16reverse_iteratorISI_EEEEENSH_IJSG_SG_SG_EEES9_SI_JZNS1_25segmented_radix_sort_implINS0_14default_configELb0EPKdPdPKlPlN2at6native12_GLOBAL__N_18offset_tEEE10hipError_tPvRmT1_PNSt15iterator_traitsIS12_E10value_typeET2_T3_PNS13_IS18_E10value_typeET4_jRbjT5_S1E_jjP12ihipStream_tbEUljE_ZNSN_ISO_Lb0ESQ_SR_ST_SU_SY_EESZ_S10_S11_S12_S16_S17_S18_S1B_S1C_jS1D_jS1E_S1E_jjS1G_bEUljE0_EEESZ_S10_S11_S18_S1C_S1E_T6_T7_T9_mT8_S1G_bDpT10_ENKUlT_T0_E_clISt17integral_constantIbLb0EES1T_IbLb1EEEEDaS1P_S1Q_EUlS1P_E_NS1_11comp_targetILNS1_3genE10ELNS1_11target_archE1200ELNS1_3gpuE4ELNS1_3repE0EEENS1_30default_config_static_selectorELNS0_4arch9wavefront6targetE0EEEvS12_ ; -- Begin function _ZN7rocprim17ROCPRIM_400000_NS6detail17trampoline_kernelINS0_13select_configILj256ELj13ELNS0_17block_load_methodE3ELS4_3ELS4_3ELNS0_20block_scan_algorithmE0ELj4294967295EEENS1_25partition_config_selectorILNS1_17partition_subalgoE4EjNS0_10empty_typeEbEEZZNS1_14partition_implILS8_4ELb0ES6_15HIP_vector_typeIjLj2EENS0_17counting_iteratorIjlEEPS9_SG_NS0_5tupleIJPjSI_NS0_16reverse_iteratorISI_EEEEENSH_IJSG_SG_SG_EEES9_SI_JZNS1_25segmented_radix_sort_implINS0_14default_configELb0EPKdPdPKlPlN2at6native12_GLOBAL__N_18offset_tEEE10hipError_tPvRmT1_PNSt15iterator_traitsIS12_E10value_typeET2_T3_PNS13_IS18_E10value_typeET4_jRbjT5_S1E_jjP12ihipStream_tbEUljE_ZNSN_ISO_Lb0ESQ_SR_ST_SU_SY_EESZ_S10_S11_S12_S16_S17_S18_S1B_S1C_jS1D_jS1E_S1E_jjS1G_bEUljE0_EEESZ_S10_S11_S18_S1C_S1E_T6_T7_T9_mT8_S1G_bDpT10_ENKUlT_T0_E_clISt17integral_constantIbLb0EES1T_IbLb1EEEEDaS1P_S1Q_EUlS1P_E_NS1_11comp_targetILNS1_3genE10ELNS1_11target_archE1200ELNS1_3gpuE4ELNS1_3repE0EEENS1_30default_config_static_selectorELNS0_4arch9wavefront6targetE0EEEvS12_
	.p2align	8
	.type	_ZN7rocprim17ROCPRIM_400000_NS6detail17trampoline_kernelINS0_13select_configILj256ELj13ELNS0_17block_load_methodE3ELS4_3ELS4_3ELNS0_20block_scan_algorithmE0ELj4294967295EEENS1_25partition_config_selectorILNS1_17partition_subalgoE4EjNS0_10empty_typeEbEEZZNS1_14partition_implILS8_4ELb0ES6_15HIP_vector_typeIjLj2EENS0_17counting_iteratorIjlEEPS9_SG_NS0_5tupleIJPjSI_NS0_16reverse_iteratorISI_EEEEENSH_IJSG_SG_SG_EEES9_SI_JZNS1_25segmented_radix_sort_implINS0_14default_configELb0EPKdPdPKlPlN2at6native12_GLOBAL__N_18offset_tEEE10hipError_tPvRmT1_PNSt15iterator_traitsIS12_E10value_typeET2_T3_PNS13_IS18_E10value_typeET4_jRbjT5_S1E_jjP12ihipStream_tbEUljE_ZNSN_ISO_Lb0ESQ_SR_ST_SU_SY_EESZ_S10_S11_S12_S16_S17_S18_S1B_S1C_jS1D_jS1E_S1E_jjS1G_bEUljE0_EEESZ_S10_S11_S18_S1C_S1E_T6_T7_T9_mT8_S1G_bDpT10_ENKUlT_T0_E_clISt17integral_constantIbLb0EES1T_IbLb1EEEEDaS1P_S1Q_EUlS1P_E_NS1_11comp_targetILNS1_3genE10ELNS1_11target_archE1200ELNS1_3gpuE4ELNS1_3repE0EEENS1_30default_config_static_selectorELNS0_4arch9wavefront6targetE0EEEvS12_,@function
_ZN7rocprim17ROCPRIM_400000_NS6detail17trampoline_kernelINS0_13select_configILj256ELj13ELNS0_17block_load_methodE3ELS4_3ELS4_3ELNS0_20block_scan_algorithmE0ELj4294967295EEENS1_25partition_config_selectorILNS1_17partition_subalgoE4EjNS0_10empty_typeEbEEZZNS1_14partition_implILS8_4ELb0ES6_15HIP_vector_typeIjLj2EENS0_17counting_iteratorIjlEEPS9_SG_NS0_5tupleIJPjSI_NS0_16reverse_iteratorISI_EEEEENSH_IJSG_SG_SG_EEES9_SI_JZNS1_25segmented_radix_sort_implINS0_14default_configELb0EPKdPdPKlPlN2at6native12_GLOBAL__N_18offset_tEEE10hipError_tPvRmT1_PNSt15iterator_traitsIS12_E10value_typeET2_T3_PNS13_IS18_E10value_typeET4_jRbjT5_S1E_jjP12ihipStream_tbEUljE_ZNSN_ISO_Lb0ESQ_SR_ST_SU_SY_EESZ_S10_S11_S12_S16_S17_S18_S1B_S1C_jS1D_jS1E_S1E_jjS1G_bEUljE0_EEESZ_S10_S11_S18_S1C_S1E_T6_T7_T9_mT8_S1G_bDpT10_ENKUlT_T0_E_clISt17integral_constantIbLb0EES1T_IbLb1EEEEDaS1P_S1Q_EUlS1P_E_NS1_11comp_targetILNS1_3genE10ELNS1_11target_archE1200ELNS1_3gpuE4ELNS1_3repE0EEENS1_30default_config_static_selectorELNS0_4arch9wavefront6targetE0EEEvS12_: ; @_ZN7rocprim17ROCPRIM_400000_NS6detail17trampoline_kernelINS0_13select_configILj256ELj13ELNS0_17block_load_methodE3ELS4_3ELS4_3ELNS0_20block_scan_algorithmE0ELj4294967295EEENS1_25partition_config_selectorILNS1_17partition_subalgoE4EjNS0_10empty_typeEbEEZZNS1_14partition_implILS8_4ELb0ES6_15HIP_vector_typeIjLj2EENS0_17counting_iteratorIjlEEPS9_SG_NS0_5tupleIJPjSI_NS0_16reverse_iteratorISI_EEEEENSH_IJSG_SG_SG_EEES9_SI_JZNS1_25segmented_radix_sort_implINS0_14default_configELb0EPKdPdPKlPlN2at6native12_GLOBAL__N_18offset_tEEE10hipError_tPvRmT1_PNSt15iterator_traitsIS12_E10value_typeET2_T3_PNS13_IS18_E10value_typeET4_jRbjT5_S1E_jjP12ihipStream_tbEUljE_ZNSN_ISO_Lb0ESQ_SR_ST_SU_SY_EESZ_S10_S11_S12_S16_S17_S18_S1B_S1C_jS1D_jS1E_S1E_jjS1G_bEUljE0_EEESZ_S10_S11_S18_S1C_S1E_T6_T7_T9_mT8_S1G_bDpT10_ENKUlT_T0_E_clISt17integral_constantIbLb0EES1T_IbLb1EEEEDaS1P_S1Q_EUlS1P_E_NS1_11comp_targetILNS1_3genE10ELNS1_11target_archE1200ELNS1_3gpuE4ELNS1_3repE0EEENS1_30default_config_static_selectorELNS0_4arch9wavefront6targetE0EEEvS12_
; %bb.0:
	s_clause 0x7
	s_load_b64 s[34:35], s[0:1], 0x10
	s_load_b128 s[28:31], s[0:1], 0x28
	s_load_b64 s[14:15], s[0:1], 0x38
	s_load_b128 s[24:27], s[0:1], 0x58
	s_load_b64 s[4:5], s[0:1], 0x68
	s_load_b64 s[36:37], s[0:1], 0x78
	;; [unrolled: 1-line block ×3, first 2 shown]
	s_load_b256 s[16:23], s[0:1], 0x90
	v_cmp_eq_u32_e64 s2, 0, v0
	s_and_saveexec_b32 s3, s2
	s_cbranch_execz .LBB1186_4
; %bb.1:
	s_mov_b32 s7, exec_lo
	s_mov_b32 s6, exec_lo
	v_mbcnt_lo_u32_b32 v1, s7, 0
                                        ; implicit-def: $vgpr2
	s_delay_alu instid0(VALU_DEP_1)
	v_cmpx_eq_u32_e32 0, v1
	s_cbranch_execz .LBB1186_3
; %bb.2:
	s_load_b64 s[8:9], s[0:1], 0x88
	s_bcnt1_i32_b32 s7, s7
	s_wait_alu 0xfffe
	v_dual_mov_b32 v2, 0 :: v_dual_mov_b32 v3, s7
	s_wait_kmcnt 0x0
	global_atomic_add_u32 v2, v2, v3, s[8:9] th:TH_ATOMIC_RETURN scope:SCOPE_DEV
.LBB1186_3:
	s_or_b32 exec_lo, exec_lo, s6
	s_wait_loadcnt 0x0
	v_readfirstlane_b32 s6, v2
	s_wait_alu 0xf1ff
	s_delay_alu instid0(VALU_DEP_1)
	v_dual_mov_b32 v2, 0 :: v_dual_add_nc_u32 v1, s6, v1
	ds_store_b32 v2, v1
.LBB1186_4:
	s_or_b32 exec_lo, exec_lo, s3
	v_mov_b32_e32 v1, 0
	s_clause 0x1
	s_load_b32 s3, s[0:1], 0x8
	s_load_b32 s0, s[0:1], 0x80
	s_wait_dscnt 0x0
	s_barrier_signal -1
	s_barrier_wait -1
	global_inv scope:SCOPE_SE
	ds_load_b32 v5, v1
	s_wait_loadcnt_dscnt 0x0
	s_barrier_signal -1
	s_barrier_wait -1
	global_inv scope:SCOPE_SE
	s_wait_kmcnt 0x0
	global_load_b128 v[1:4], v1, s[26:27]
	s_mov_b32 s1, 0
	s_add_co_i32 s3, s3, s34
	s_add_co_i32 s6, s0, -1
	s_mulk_i32 s0, 0xd00
	s_delay_alu instid0(SALU_CYCLE_1)
	s_add_co_i32 s7, s0, s34
	s_add_nc_u64 s[0:1], s[34:35], s[0:1]
	v_readfirstlane_b32 s33, v5
	v_cmp_gt_u64_e64 s0, s[4:5], s[0:1]
	s_wait_alu 0xfffe
	s_sub_co_i32 s27, s4, s7
	v_cmp_ne_u32_e32 vcc_lo, s6, v5
	v_mul_lo_u32 v43, 0xd00, v5
	s_addk_co_i32 s27, 0xd00
	s_cmp_eq_u32 s33, s6
	s_mov_b32 s4, -1
	s_cselect_b32 s26, -1, 0
	s_or_b32 s1, s0, vcc_lo
	s_wait_alu 0xfffe
	s_and_b32 vcc_lo, exec_lo, s1
	s_cbranch_vccz .LBB1186_6
; %bb.5:
	v_add3_u32 v5, v43, s3, v0
	v_lshlrev_b32_e32 v14, 2, v0
	s_mov_b32 s4, 0
	s_delay_alu instid0(VALU_DEP_2)
	v_add_nc_u32_e32 v6, 0x100, v5
	v_add_nc_u32_e32 v7, 0x200, v5
	;; [unrolled: 1-line block ×12, first 2 shown]
	ds_store_2addr_stride64_b32 v14, v5, v6 offset1:4
	ds_store_2addr_stride64_b32 v14, v7, v8 offset0:8 offset1:12
	ds_store_2addr_stride64_b32 v14, v9, v10 offset0:16 offset1:20
	;; [unrolled: 1-line block ×5, first 2 shown]
	ds_store_b32 v14, v18 offset:12288
	s_wait_loadcnt_dscnt 0x0
	s_barrier_signal -1
	s_barrier_wait -1
.LBB1186_6:
	v_cmp_gt_u32_e64 s0, s27, v0
	v_or_b32_e32 v42, 0x100, v0
	v_or_b32_e32 v41, 0x200, v0
	;; [unrolled: 1-line block ×12, first 2 shown]
	s_wait_alu 0xfffe
	s_and_not1_b32 vcc_lo, exec_lo, s4
	s_cbranch_vccnz .LBB1186_8
; %bb.7:
	v_add_nc_u32_e32 v5, s3, v43
	v_cmp_gt_u32_e32 vcc_lo, s27, v42
	s_delay_alu instid0(VALU_DEP_2) | instskip(NEXT) | instid1(VALU_DEP_1)
	v_add_nc_u32_e32 v7, v5, v42
	v_dual_cndmask_b32 v7, 0, v7 :: v_dual_add_nc_u32 v8, v5, v41
	v_cmp_gt_u32_e32 vcc_lo, s27, v41
	s_wait_alu 0xfffd
	s_delay_alu instid0(VALU_DEP_2)
	v_cndmask_b32_e32 v8, 0, v8, vcc_lo
	v_cmp_gt_u32_e32 vcc_lo, s27, v40
	v_add_nc_u32_e32 v17, v5, v32
	v_add_nc_u32_e32 v14, v5, v35
	;; [unrolled: 1-line block ×9, first 2 shown]
	s_wait_alu 0xfffd
	v_cndmask_b32_e32 v9, 0, v9, vcc_lo
	v_cmp_gt_u32_e32 vcc_lo, s27, v39
	v_cndmask_b32_e64 v6, 0, v6, s0
	s_wait_alu 0xfffd
	v_cndmask_b32_e32 v10, 0, v10, vcc_lo
	v_cmp_gt_u32_e32 vcc_lo, s27, v38
	v_add_nc_u32_e32 v12, v5, v37
	v_add_nc_u32_e32 v5, v5, v31
	s_wait_alu 0xfffd
	v_cndmask_b32_e32 v11, 0, v11, vcc_lo
	v_cmp_gt_u32_e32 vcc_lo, s27, v37
	s_wait_alu 0xfffd
	v_cndmask_b32_e32 v12, 0, v12, vcc_lo
	v_cmp_gt_u32_e32 vcc_lo, s27, v36
	;; [unrolled: 3-line block ×7, first 2 shown]
	s_wait_alu 0xfffd
	v_dual_cndmask_b32 v5, 0, v5 :: v_dual_lshlrev_b32 v18, 2, v0
	ds_store_2addr_stride64_b32 v18, v6, v7 offset1:4
	ds_store_2addr_stride64_b32 v18, v8, v9 offset0:8 offset1:12
	ds_store_2addr_stride64_b32 v18, v10, v11 offset0:16 offset1:20
	;; [unrolled: 1-line block ×5, first 2 shown]
	ds_store_b32 v18, v5 offset:12288
	s_wait_loadcnt_dscnt 0x0
	s_barrier_signal -1
	s_barrier_wait -1
.LBB1186_8:
	v_mul_u32_u24_e32 v46, 13, v0
	s_wait_loadcnt 0x0
	global_inv scope:SCOPE_SE
	v_cndmask_b32_e64 v44, 0, 1, s1
	s_and_not1_b32 vcc_lo, exec_lo, s1
	v_lshlrev_b32_e32 v5, 2, v46
	ds_load_2addr_b32 v[23:24], v5 offset1:1
	ds_load_2addr_b32 v[21:22], v5 offset0:2 offset1:3
	ds_load_2addr_b32 v[19:20], v5 offset0:4 offset1:5
	;; [unrolled: 1-line block ×5, first 2 shown]
	ds_load_b32 v45, v5 offset:48
	s_wait_loadcnt_dscnt 0x0
	s_barrier_signal -1
	s_barrier_wait -1
	global_inv scope:SCOPE_SE
	s_wait_alu 0xfffe
	s_cbranch_vccnz .LBB1186_36
; %bb.9:
	v_add_nc_u32_e32 v5, s17, v23
	v_add_nc_u32_e32 v6, s19, v23
	s_mov_b32 s41, 0
	s_mov_b32 s40, 0
	s_mov_b32 s1, exec_lo
	v_mul_lo_u32 v5, v5, s16
	v_mul_lo_u32 v6, v6, s18
	s_delay_alu instid0(VALU_DEP_1) | instskip(NEXT) | instid1(VALU_DEP_1)
	v_sub_nc_u32_e32 v5, v5, v6
	v_cmp_lt_u32_e32 vcc_lo, s20, v5
	v_cmpx_ge_u32_e64 s20, v5
	s_cbranch_execz .LBB1186_11
; %bb.10:
	v_add_nc_u32_e32 v5, s22, v23
	v_add_nc_u32_e32 v6, s38, v23
	s_delay_alu instid0(VALU_DEP_2) | instskip(NEXT) | instid1(VALU_DEP_2)
	v_mul_lo_u32 v5, v5, s21
	v_mul_lo_u32 v6, v6, s23
	s_delay_alu instid0(VALU_DEP_1) | instskip(NEXT) | instid1(VALU_DEP_1)
	v_sub_nc_u32_e32 v5, v5, v6
	v_cmp_lt_u32_e64 s0, s39, v5
	s_and_b32 s40, s0, exec_lo
.LBB1186_11:
	s_wait_alu 0xfffe
	s_or_b32 exec_lo, exec_lo, s1
	v_add_nc_u32_e32 v5, s17, v24
	v_add_nc_u32_e32 v6, s19, v24
	s_mov_b32 s3, exec_lo
	s_delay_alu instid0(VALU_DEP_2) | instskip(NEXT) | instid1(VALU_DEP_2)
	v_mul_lo_u32 v5, v5, s16
	v_mul_lo_u32 v6, v6, s18
	s_delay_alu instid0(VALU_DEP_1) | instskip(NEXT) | instid1(VALU_DEP_1)
	v_sub_nc_u32_e32 v5, v5, v6
	v_cmp_lt_u32_e64 s0, s20, v5
	v_cmpx_ge_u32_e64 s20, v5
	s_cbranch_execz .LBB1186_13
; %bb.12:
	v_add_nc_u32_e32 v5, s22, v24
	v_add_nc_u32_e32 v6, s38, v24
	s_delay_alu instid0(VALU_DEP_2) | instskip(NEXT) | instid1(VALU_DEP_2)
	v_mul_lo_u32 v5, v5, s21
	v_mul_lo_u32 v6, v6, s23
	s_delay_alu instid0(VALU_DEP_1) | instskip(NEXT) | instid1(VALU_DEP_1)
	v_sub_nc_u32_e32 v5, v5, v6
	v_cmp_lt_u32_e64 s1, s39, v5
	s_and_b32 s41, s1, exec_lo
.LBB1186_13:
	s_wait_alu 0xfffe
	s_or_b32 exec_lo, exec_lo, s3
	v_add_nc_u32_e32 v5, s17, v21
	v_add_nc_u32_e32 v6, s19, v21
	s_mov_b32 s43, 0
	s_mov_b32 s42, 0
	s_mov_b32 s4, exec_lo
	v_mul_lo_u32 v5, v5, s16
	v_mul_lo_u32 v6, v6, s18
	s_delay_alu instid0(VALU_DEP_1) | instskip(NEXT) | instid1(VALU_DEP_1)
	v_sub_nc_u32_e32 v5, v5, v6
	v_cmp_lt_u32_e64 s1, s20, v5
	v_cmpx_ge_u32_e64 s20, v5
	s_cbranch_execz .LBB1186_15
; %bb.14:
	v_add_nc_u32_e32 v5, s22, v21
	v_add_nc_u32_e32 v6, s38, v21
	s_delay_alu instid0(VALU_DEP_2) | instskip(NEXT) | instid1(VALU_DEP_2)
	v_mul_lo_u32 v5, v5, s21
	v_mul_lo_u32 v6, v6, s23
	s_delay_alu instid0(VALU_DEP_1) | instskip(NEXT) | instid1(VALU_DEP_1)
	v_sub_nc_u32_e32 v5, v5, v6
	v_cmp_lt_u32_e64 s3, s39, v5
	s_and_b32 s42, s3, exec_lo
.LBB1186_15:
	s_wait_alu 0xfffe
	s_or_b32 exec_lo, exec_lo, s4
	v_add_nc_u32_e32 v5, s17, v22
	v_add_nc_u32_e32 v6, s19, v22
	s_mov_b32 s5, exec_lo
	s_delay_alu instid0(VALU_DEP_2) | instskip(NEXT) | instid1(VALU_DEP_2)
	v_mul_lo_u32 v5, v5, s16
	v_mul_lo_u32 v6, v6, s18
	s_delay_alu instid0(VALU_DEP_1) | instskip(NEXT) | instid1(VALU_DEP_1)
	v_sub_nc_u32_e32 v5, v5, v6
	v_cmp_lt_u32_e64 s3, s20, v5
	v_cmpx_ge_u32_e64 s20, v5
	s_cbranch_execz .LBB1186_17
; %bb.16:
	v_add_nc_u32_e32 v5, s22, v22
	v_add_nc_u32_e32 v6, s38, v22
	s_delay_alu instid0(VALU_DEP_2) | instskip(NEXT) | instid1(VALU_DEP_2)
	v_mul_lo_u32 v5, v5, s21
	v_mul_lo_u32 v6, v6, s23
	s_delay_alu instid0(VALU_DEP_1) | instskip(NEXT) | instid1(VALU_DEP_1)
	v_sub_nc_u32_e32 v5, v5, v6
	v_cmp_lt_u32_e64 s4, s39, v5
	s_and_b32 s43, s4, exec_lo
.LBB1186_17:
	s_wait_alu 0xfffe
	s_or_b32 exec_lo, exec_lo, s5
	v_add_nc_u32_e32 v5, s17, v19
	v_add_nc_u32_e32 v6, s19, v19
	s_mov_b32 s45, 0
	s_mov_b32 s44, 0
	s_mov_b32 s6, exec_lo
	v_mul_lo_u32 v5, v5, s16
	v_mul_lo_u32 v6, v6, s18
	s_delay_alu instid0(VALU_DEP_1) | instskip(NEXT) | instid1(VALU_DEP_1)
	v_sub_nc_u32_e32 v5, v5, v6
	v_cmp_lt_u32_e64 s4, s20, v5
	;; [unrolled: 49-line block ×3, first 2 shown]
	v_cmpx_ge_u32_e64 s20, v5
	s_cbranch_execz .LBB1186_23
; %bb.22:
	v_add_nc_u32_e32 v5, s22, v17
	v_add_nc_u32_e32 v6, s38, v17
	s_delay_alu instid0(VALU_DEP_2) | instskip(NEXT) | instid1(VALU_DEP_2)
	v_mul_lo_u32 v5, v5, s21
	v_mul_lo_u32 v6, v6, s23
	s_delay_alu instid0(VALU_DEP_1) | instskip(NEXT) | instid1(VALU_DEP_1)
	v_sub_nc_u32_e32 v5, v5, v6
	v_cmp_lt_u32_e64 s7, s39, v5
	s_and_b32 s46, s7, exec_lo
.LBB1186_23:
	s_or_b32 exec_lo, exec_lo, s8
	v_add_nc_u32_e32 v5, s17, v18
	v_add_nc_u32_e32 v6, s19, v18
	s_mov_b32 s9, exec_lo
	s_delay_alu instid0(VALU_DEP_2) | instskip(NEXT) | instid1(VALU_DEP_2)
	v_mul_lo_u32 v5, v5, s16
	v_mul_lo_u32 v6, v6, s18
	s_delay_alu instid0(VALU_DEP_1) | instskip(NEXT) | instid1(VALU_DEP_1)
	v_sub_nc_u32_e32 v5, v5, v6
	v_cmp_lt_u32_e64 s7, s20, v5
	v_cmpx_ge_u32_e64 s20, v5
	s_cbranch_execz .LBB1186_25
; %bb.24:
	v_add_nc_u32_e32 v5, s22, v18
	v_add_nc_u32_e32 v6, s38, v18
	s_delay_alu instid0(VALU_DEP_2) | instskip(NEXT) | instid1(VALU_DEP_2)
	v_mul_lo_u32 v5, v5, s21
	v_mul_lo_u32 v6, v6, s23
	s_delay_alu instid0(VALU_DEP_1) | instskip(NEXT) | instid1(VALU_DEP_1)
	v_sub_nc_u32_e32 v5, v5, v6
	v_cmp_lt_u32_e64 s8, s39, v5
	s_and_b32 s47, s8, exec_lo
.LBB1186_25:
	s_or_b32 exec_lo, exec_lo, s9
	v_add_nc_u32_e32 v5, s17, v15
	v_add_nc_u32_e32 v6, s19, v15
	s_mov_b32 s50, 0
	s_mov_b32 s49, 0
	s_mov_b32 s10, exec_lo
	v_mul_lo_u32 v5, v5, s16
	v_mul_lo_u32 v6, v6, s18
	s_delay_alu instid0(VALU_DEP_1) | instskip(NEXT) | instid1(VALU_DEP_1)
	v_sub_nc_u32_e32 v5, v5, v6
	v_cmp_lt_u32_e64 s8, s20, v5
	v_cmpx_ge_u32_e64 s20, v5
	s_cbranch_execz .LBB1186_27
; %bb.26:
	v_add_nc_u32_e32 v5, s22, v15
	v_add_nc_u32_e32 v6, s38, v15
	s_delay_alu instid0(VALU_DEP_2) | instskip(NEXT) | instid1(VALU_DEP_2)
	v_mul_lo_u32 v5, v5, s21
	v_mul_lo_u32 v6, v6, s23
	s_delay_alu instid0(VALU_DEP_1) | instskip(NEXT) | instid1(VALU_DEP_1)
	v_sub_nc_u32_e32 v5, v5, v6
	v_cmp_lt_u32_e64 s9, s39, v5
	s_and_b32 s49, s9, exec_lo
.LBB1186_27:
	s_or_b32 exec_lo, exec_lo, s10
	v_add_nc_u32_e32 v5, s17, v16
	v_add_nc_u32_e32 v6, s19, v16
	s_mov_b32 s11, exec_lo
	s_delay_alu instid0(VALU_DEP_2) | instskip(NEXT) | instid1(VALU_DEP_2)
	v_mul_lo_u32 v5, v5, s16
	v_mul_lo_u32 v6, v6, s18
	s_delay_alu instid0(VALU_DEP_1) | instskip(NEXT) | instid1(VALU_DEP_1)
	v_sub_nc_u32_e32 v5, v5, v6
	v_cmp_lt_u32_e64 s9, s20, v5
	v_cmpx_ge_u32_e64 s20, v5
	s_cbranch_execz .LBB1186_29
; %bb.28:
	v_add_nc_u32_e32 v5, s22, v16
	v_add_nc_u32_e32 v6, s38, v16
	s_delay_alu instid0(VALU_DEP_2) | instskip(NEXT) | instid1(VALU_DEP_2)
	v_mul_lo_u32 v5, v5, s21
	v_mul_lo_u32 v6, v6, s23
	s_delay_alu instid0(VALU_DEP_1) | instskip(NEXT) | instid1(VALU_DEP_1)
	v_sub_nc_u32_e32 v5, v5, v6
	v_cmp_lt_u32_e64 s10, s39, v5
	s_and_b32 s50, s10, exec_lo
.LBB1186_29:
	s_or_b32 exec_lo, exec_lo, s11
	v_add_nc_u32_e32 v5, s17, v13
	v_add_nc_u32_e32 v6, s19, v13
	s_mov_b32 s51, 0
	s_mov_b32 s52, 0
	s_mov_b32 s12, exec_lo
	v_mul_lo_u32 v5, v5, s16
	v_mul_lo_u32 v6, v6, s18
	s_delay_alu instid0(VALU_DEP_1) | instskip(NEXT) | instid1(VALU_DEP_1)
	v_sub_nc_u32_e32 v5, v5, v6
	v_cmp_lt_u32_e64 s10, s20, v5
	;; [unrolled: 47-line block ×3, first 2 shown]
	v_cmpx_ge_u32_e64 s20, v5
	s_cbranch_execz .LBB1186_35
; %bb.34:
	v_add_nc_u32_e32 v5, s22, v45
	v_add_nc_u32_e32 v6, s38, v45
	s_delay_alu instid0(VALU_DEP_2) | instskip(NEXT) | instid1(VALU_DEP_2)
	v_mul_lo_u32 v5, v5, s21
	v_mul_lo_u32 v6, v6, s23
	s_delay_alu instid0(VALU_DEP_1) | instskip(NEXT) | instid1(VALU_DEP_1)
	v_sub_nc_u32_e32 v5, v5, v6
	v_cmp_lt_u32_e64 s13, s39, v5
	s_and_b32 s53, s13, exec_lo
.LBB1186_35:
	s_or_b32 exec_lo, exec_lo, s54
	v_cndmask_b32_e64 v6, 0, 1, s0
	v_cndmask_b32_e64 v8, 0, 1, s3
	s_wait_alu 0xfffd
	v_cndmask_b32_e64 v5, 0, 1, vcc_lo
	v_cndmask_b32_e64 v7, 0, 1, s1
	v_cndmask_b32_e64 v10, 0, 1, s5
	v_lshlrev_b16 v6, 8, v6
	v_lshlrev_b16 v8, 8, v8
	s_wait_alu 0xf1ff
	v_cndmask_b32_e64 v12, 0, 1, s7
	v_cndmask_b32_e64 v26, 0, 1, s9
	v_cndmask_b32_e64 v29, 0, 1, s12
	v_or_b32_e32 v5, v5, v6
	v_or_b32_e32 v6, v7, v8
	v_cndmask_b32_e64 v56, 0, 1, s40
	v_cndmask_b32_e64 v9, 0, 1, s4
	;; [unrolled: 1-line block ×3, first 2 shown]
	v_and_b32_e32 v5, 0xffff, v5
	v_lshlrev_b32_e32 v6, 16, v6
	v_cndmask_b32_e64 v25, 0, 1, s8
	v_cndmask_b32_e64 v27, 0, 1, s10
	;; [unrolled: 1-line block ×8, first 2 shown]
	v_or_b32_e32 v47, v5, v6
	v_lshlrev_b16 v5, 8, v10
	v_lshlrev_b16 v6, 8, v12
	;; [unrolled: 1-line block ×5, first 2 shown]
	v_cndmask_b32_e64 v30, 0, 1, s50
	v_cndmask_b32_e64 v49, 0, 1, s47
	;; [unrolled: 1-line block ×5, first 2 shown]
	v_or_b32_e32 v5, v9, v5
	v_or_b32_e32 v6, v11, v6
	;; [unrolled: 1-line block ×5, first 2 shown]
	v_lshlrev_b16 v8, 8, v8
	v_lshlrev_b16 v12, 8, v54
	;; [unrolled: 1-line block ×5, first 2 shown]
	v_or_b32_e32 v8, v55, v8
	v_or_b32_e32 v7, v7, v12
	;; [unrolled: 1-line block ×5, first 2 shown]
	v_and_b32_e32 v5, 0xffff, v5
	v_lshlrev_b32_e32 v6, 16, v6
	v_and_b32_e32 v9, 0xffff, v9
	v_lshlrev_b32_e32 v10, 16, v10
	;; [unrolled: 2-line block ×5, first 2 shown]
	v_cndmask_b32_e64 v50, 0, 1, s51
	v_cndmask_b32_e64 v53, 0, 1, s53
	v_or_b32_e32 v49, v5, v6
	v_or_b32_e32 v52, v9, v10
	;; [unrolled: 1-line block ×5, first 2 shown]
	s_and_b32 vcc_lo, exec_lo, s48
	s_wait_alu 0xfffe
	s_cbranch_vccnz .LBB1186_37
	s_branch .LBB1186_114
.LBB1186_36:
                                        ; implicit-def: $vgpr53
                                        ; implicit-def: $vgpr50
                                        ; implicit-def: $vgpr51
                                        ; implicit-def: $vgpr48
                                        ; implicit-def: $vgpr54
                                        ; implicit-def: $vgpr52
                                        ; implicit-def: $vgpr49
                                        ; implicit-def: $vgpr47
	s_cbranch_execz .LBB1186_114
.LBB1186_37:
	v_dual_mov_b32 v6, 0 :: v_dual_mov_b32 v5, 0
	s_mov_b32 s1, exec_lo
	v_cmpx_gt_u32_e64 s27, v46
	s_cbranch_execz .LBB1186_41
; %bb.38:
	v_add_nc_u32_e32 v5, s17, v23
	v_add_nc_u32_e32 v6, s19, v23
	s_mov_b32 s4, 0
	s_mov_b32 s3, exec_lo
	s_delay_alu instid0(VALU_DEP_2) | instskip(NEXT) | instid1(VALU_DEP_2)
	v_mul_lo_u32 v5, v5, s16
	v_mul_lo_u32 v6, v6, s18
	s_delay_alu instid0(VALU_DEP_1) | instskip(NEXT) | instid1(VALU_DEP_1)
	v_sub_nc_u32_e32 v5, v5, v6
	v_cmp_lt_u32_e32 vcc_lo, s20, v5
	v_cmpx_ge_u32_e64 s20, v5
	s_cbranch_execz .LBB1186_40
; %bb.39:
	v_add_nc_u32_e32 v5, s22, v23
	v_add_nc_u32_e32 v6, s38, v23
	s_delay_alu instid0(VALU_DEP_2) | instskip(NEXT) | instid1(VALU_DEP_2)
	v_mul_lo_u32 v5, v5, s21
	v_mul_lo_u32 v6, v6, s23
	s_delay_alu instid0(VALU_DEP_1) | instskip(NEXT) | instid1(VALU_DEP_1)
	v_sub_nc_u32_e32 v5, v5, v6
	v_cmp_lt_u32_e64 s0, s39, v5
	s_and_b32 s4, s0, exec_lo
.LBB1186_40:
	s_wait_alu 0xfffe
	s_or_b32 exec_lo, exec_lo, s3
	v_cndmask_b32_e64 v6, 0, 1, s4
	s_wait_alu 0xfffd
	v_cndmask_b32_e64 v5, 0, 1, vcc_lo
.LBB1186_41:
	s_wait_alu 0xfffe
	s_or_b32 exec_lo, exec_lo, s1
	v_lshlrev_b16 v6, 8, v6
	v_add_nc_u32_e32 v7, 1, v46
	v_and_b32_e32 v10, 0xff, v5
	v_lshlrev_b16 v5, 8, 0
                                        ; implicit-def: $vgpr9
                                        ; implicit-def: $vgpr12
                                        ; implicit-def: $vgpr8
	s_delay_alu instid0(VALU_DEP_4) | instskip(NEXT) | instid1(VALU_DEP_4)
	v_and_b32_e32 v6, 0xffff, v6
	v_cmp_le_u32_e32 vcc_lo, s27, v7
                                        ; implicit-def: $vgpr7
	s_delay_alu instid0(VALU_DEP_2)
	v_lshrrev_b32_e32 v25, 8, v6
	v_and_b32_e32 v11, 0xff, v6
                                        ; implicit-def: $vgpr6
	s_and_saveexec_b32 s0, vcc_lo
	s_wait_alu 0xfffe
	s_xor_b32 s0, exec_lo, s0
	s_cbranch_execz .LBB1186_43
; %bb.42:
	v_lshlrev_b16 v6, 8, v25
	v_and_b32_e32 v8, 0xffff, v5
                                        ; implicit-def: $vgpr25
	v_mov_b32_e32 v9, 0
	s_delay_alu instid0(VALU_DEP_3) | instskip(SKIP_1) | instid1(VALU_DEP_2)
	v_or_b32_e32 v7, v11, v6
	v_mov_b32_e32 v6, 0
                                        ; implicit-def: $vgpr11
	v_and_b32_e32 v12, 0xffff, v7
	v_and_b32_e32 v7, 0xffff, v5
                                        ; implicit-def: $vgpr5
.LBB1186_43:
	s_wait_alu 0xfffe
	s_and_not1_saveexec_b32 s1, s0
	s_cbranch_execz .LBB1186_47
; %bb.44:
	v_add_nc_u32_e32 v6, s17, v24
	v_add_nc_u32_e32 v7, s19, v24
	s_mov_b32 s3, 0
	s_mov_b32 s4, exec_lo
	s_delay_alu instid0(VALU_DEP_2) | instskip(NEXT) | instid1(VALU_DEP_2)
	v_mul_lo_u32 v6, v6, s16
	v_mul_lo_u32 v7, v7, s18
	s_delay_alu instid0(VALU_DEP_1) | instskip(NEXT) | instid1(VALU_DEP_1)
	v_sub_nc_u32_e32 v6, v6, v7
	v_cmp_lt_u32_e32 vcc_lo, s20, v6
	v_cmpx_ge_u32_e64 s20, v6
	s_cbranch_execz .LBB1186_46
; %bb.45:
	v_add_nc_u32_e32 v6, s22, v24
	v_add_nc_u32_e32 v7, s38, v24
	s_delay_alu instid0(VALU_DEP_2) | instskip(NEXT) | instid1(VALU_DEP_2)
	v_mul_lo_u32 v6, v6, s21
	v_mul_lo_u32 v7, v7, s23
	s_delay_alu instid0(VALU_DEP_1) | instskip(NEXT) | instid1(VALU_DEP_1)
	v_sub_nc_u32_e32 v6, v6, v7
	v_cmp_lt_u32_e64 s0, s39, v6
	s_and_b32 s3, s0, exec_lo
.LBB1186_46:
	s_wait_alu 0xfffe
	s_or_b32 exec_lo, exec_lo, s4
	s_wait_alu 0xfffd
	v_cndmask_b32_e64 v6, 0, 1, vcc_lo
	v_lshlrev_b16 v7, 8, v25
	v_dual_mov_b32 v9, 0 :: v_dual_and_b32 v8, 0xffff, v5
	s_delay_alu instid0(VALU_DEP_3) | instskip(NEXT) | instid1(VALU_DEP_3)
	v_lshlrev_b16 v6, 8, v6
	v_or_b32_e32 v7, v11, v7
	v_cndmask_b32_e64 v11, 0, 1, s3
	s_delay_alu instid0(VALU_DEP_3) | instskip(NEXT) | instid1(VALU_DEP_3)
	v_or_b32_e32 v10, v10, v6
	v_dual_mov_b32 v6, 0 :: v_dual_and_b32 v7, 0xffff, v7
	s_delay_alu instid0(VALU_DEP_2) | instskip(NEXT) | instid1(VALU_DEP_2)
	v_and_b32_e32 v10, 0xffff, v10
	v_lshl_or_b32 v12, v11, 16, v7
	v_and_b32_e32 v7, 0xffff, v5
.LBB1186_47:
	s_wait_alu 0xfffe
	s_or_b32 exec_lo, exec_lo, s1
	v_add_nc_u32_e32 v5, 2, v46
	v_and_b32_e32 v25, 0xff, v10
	v_lshrrev_b32_e32 v26, 8, v10
                                        ; implicit-def: $vgpr11
	s_delay_alu instid0(VALU_DEP_3)
	v_cmp_le_u32_e32 vcc_lo, s27, v5
                                        ; implicit-def: $vgpr5
	s_and_saveexec_b32 s0, vcc_lo
	s_wait_alu 0xfffe
	s_xor_b32 s0, exec_lo, s0
	s_cbranch_execz .LBB1186_49
; %bb.48:
	v_lshlrev_b16 v5, 8, v26
	v_perm_b32 v8, v8, v8, 0x3060504
                                        ; implicit-def: $vgpr26
	s_delay_alu instid0(VALU_DEP_2) | instskip(SKIP_1) | instid1(VALU_DEP_2)
	v_or_b32_e32 v5, v25, v5
	v_and_b32_e32 v25, 0xff0000, v12
	v_and_b32_e32 v5, 0xffff, v5
	s_delay_alu instid0(VALU_DEP_1) | instskip(NEXT) | instid1(VALU_DEP_3)
	v_and_or_b32 v11, 0xff000000, v10, v5
	v_perm_b32 v5, v12, v25, 0x3020504
                                        ; implicit-def: $vgpr25
                                        ; implicit-def: $vgpr10
                                        ; implicit-def: $vgpr12
.LBB1186_49:
	s_wait_alu 0xfffe
	s_and_not1_saveexec_b32 s1, s0
	s_cbranch_execz .LBB1186_53
; %bb.50:
	v_add_nc_u32_e32 v5, s17, v21
	v_add_nc_u32_e32 v11, s19, v21
	s_mov_b32 s3, 0
	s_mov_b32 s4, exec_lo
	s_delay_alu instid0(VALU_DEP_2) | instskip(NEXT) | instid1(VALU_DEP_2)
	v_mul_lo_u32 v5, v5, s16
	v_mul_lo_u32 v11, v11, s18
	s_delay_alu instid0(VALU_DEP_1) | instskip(NEXT) | instid1(VALU_DEP_1)
	v_sub_nc_u32_e32 v5, v5, v11
	v_cmp_lt_u32_e32 vcc_lo, s20, v5
	v_cmpx_ge_u32_e64 s20, v5
	s_cbranch_execz .LBB1186_52
; %bb.51:
	v_add_nc_u32_e32 v5, s22, v21
	v_add_nc_u32_e32 v11, s38, v21
	s_delay_alu instid0(VALU_DEP_2) | instskip(NEXT) | instid1(VALU_DEP_2)
	v_mul_lo_u32 v5, v5, s21
	v_mul_lo_u32 v11, v11, s23
	s_delay_alu instid0(VALU_DEP_1) | instskip(NEXT) | instid1(VALU_DEP_1)
	v_sub_nc_u32_e32 v5, v5, v11
	v_cmp_lt_u32_e64 s0, s39, v5
	s_and_b32 s3, s0, exec_lo
.LBB1186_52:
	s_wait_alu 0xfffe
	s_or_b32 exec_lo, exec_lo, s4
	v_lshrrev_b32_e32 v10, 24, v10
	v_cndmask_b32_e64 v11, 0, 1, s3
	v_lshrrev_b32_e32 v27, 8, v12
	v_lshrrev_b32_e32 v28, 16, v12
	s_wait_alu 0xfffd
	v_cndmask_b32_e64 v5, 0, 1, vcc_lo
	v_lshlrev_b16 v26, 8, v26
	v_lshlrev_b16 v10, 8, v10
	v_and_b32_e32 v12, 0xff, v12
	v_lshlrev_b16 v27, 8, v27
	v_lshlrev_b16 v11, 8, v11
	v_and_b32_e32 v28, 0xff, v28
	v_or_b32_e32 v25, v25, v26
	v_or_b32_e32 v5, v5, v10
	;; [unrolled: 1-line block ×3, first 2 shown]
	s_delay_alu instid0(VALU_DEP_4) | instskip(NEXT) | instid1(VALU_DEP_4)
	v_or_b32_e32 v11, v28, v11
	v_and_b32_e32 v12, 0xffff, v25
	s_delay_alu instid0(VALU_DEP_4) | instskip(NEXT) | instid1(VALU_DEP_4)
	v_lshlrev_b32_e32 v5, 16, v5
	v_and_b32_e32 v10, 0xffff, v10
	s_delay_alu instid0(VALU_DEP_4) | instskip(NEXT) | instid1(VALU_DEP_3)
	v_lshlrev_b32_e32 v25, 16, v11
	v_or_b32_e32 v11, v12, v5
	s_delay_alu instid0(VALU_DEP_2)
	v_or_b32_e32 v5, v10, v25
.LBB1186_53:
	s_wait_alu 0xfffe
	s_or_b32 exec_lo, exec_lo, s1
	v_add_nc_u32_e32 v10, 3, v46
	v_lshrrev_b32_e32 v12, 24, v9
	v_lshrrev_b32_e32 v25, 16, v9
	;; [unrolled: 1-line block ×3, first 2 shown]
                                        ; implicit-def: $vgpr47
	s_delay_alu instid0(VALU_DEP_4)
	v_cmp_le_u32_e32 vcc_lo, s27, v10
                                        ; implicit-def: $vgpr10
	s_and_saveexec_b32 s0, vcc_lo
	s_wait_alu 0xfffe
	s_xor_b32 s0, exec_lo, s0
	s_cbranch_execz .LBB1186_55
; %bb.54:
	v_lshlrev_b16 v10, 8, v12
	v_and_b32_e32 v12, 0xff, v25
	v_lshlrev_b16 v9, 8, v9
	v_perm_b32 v8, v8, v8, 0x3060504
	v_perm_b32 v7, v7, v7, 0x3060504
                                        ; implicit-def: $vgpr25
	s_delay_alu instid0(VALU_DEP_4) | instskip(SKIP_2) | instid1(VALU_DEP_3)
	v_or_b32_e32 v10, v12, v10
	v_and_b32_e32 v12, 0xff0000, v11
	v_and_b32_e32 v9, 0xffff, v9
	v_lshlrev_b32_e32 v10, 16, v10
	s_delay_alu instid0(VALU_DEP_3) | instskip(NEXT) | instid1(VALU_DEP_2)
	v_perm_b32 v47, v11, v12, 0x3020504
                                        ; implicit-def: $vgpr11
                                        ; implicit-def: $vgpr12
	v_or_b32_e32 v10, v9, v10
                                        ; implicit-def: $vgpr9
.LBB1186_55:
	s_wait_alu 0xfffe
	s_and_not1_saveexec_b32 s1, s0
	s_cbranch_execz .LBB1186_59
; %bb.56:
	v_add_nc_u32_e32 v10, s17, v22
	v_add_nc_u32_e32 v26, s19, v22
	s_mov_b32 s3, 0
	s_mov_b32 s4, exec_lo
	s_delay_alu instid0(VALU_DEP_2) | instskip(NEXT) | instid1(VALU_DEP_2)
	v_mul_lo_u32 v10, v10, s16
	v_mul_lo_u32 v26, v26, s18
	s_delay_alu instid0(VALU_DEP_1) | instskip(NEXT) | instid1(VALU_DEP_1)
	v_sub_nc_u32_e32 v10, v10, v26
	v_cmp_lt_u32_e32 vcc_lo, s20, v10
	v_cmpx_ge_u32_e64 s20, v10
	s_cbranch_execz .LBB1186_58
; %bb.57:
	v_add_nc_u32_e32 v10, s22, v22
	v_add_nc_u32_e32 v26, s38, v22
	s_delay_alu instid0(VALU_DEP_2) | instskip(NEXT) | instid1(VALU_DEP_2)
	v_mul_lo_u32 v10, v10, s21
	v_mul_lo_u32 v26, v26, s23
	s_delay_alu instid0(VALU_DEP_1) | instskip(NEXT) | instid1(VALU_DEP_1)
	v_sub_nc_u32_e32 v10, v10, v26
	v_cmp_lt_u32_e64 s0, s39, v10
	s_and_b32 s3, s0, exec_lo
.LBB1186_58:
	s_wait_alu 0xfffe
	s_or_b32 exec_lo, exec_lo, s4
	v_lshrrev_b32_e32 v10, 8, v11
	s_wait_alu 0xfffd
	v_cndmask_b32_e64 v26, 0, 1, vcc_lo
	v_lshrrev_b32_e32 v27, 16, v11
	v_cndmask_b32_e64 v28, 0, 1, s3
	v_and_b32_e32 v11, 0xff, v11
	v_lshlrev_b16 v10, 8, v10
	v_lshlrev_b16 v26, 8, v26
	v_and_b32_e32 v27, 0xff, v27
	v_lshlrev_b16 v12, 8, v12
	v_and_b32_e32 v25, 0xff, v25
	v_lshlrev_b16 v9, 8, v9
	v_or_b32_e32 v10, v11, v10
	v_or_b32_e32 v11, v27, v26
	s_delay_alu instid0(VALU_DEP_4) | instskip(NEXT) | instid1(VALU_DEP_4)
	v_or_b32_e32 v12, v25, v12
	v_or_b32_e32 v9, v28, v9
	s_delay_alu instid0(VALU_DEP_4) | instskip(NEXT) | instid1(VALU_DEP_4)
	v_and_b32_e32 v10, 0xffff, v10
	v_lshlrev_b32_e32 v11, 16, v11
	s_delay_alu instid0(VALU_DEP_4) | instskip(NEXT) | instid1(VALU_DEP_4)
	v_lshlrev_b32_e32 v12, 16, v12
	v_and_b32_e32 v9, 0xffff, v9
	s_delay_alu instid0(VALU_DEP_3) | instskip(NEXT) | instid1(VALU_DEP_2)
	v_or_b32_e32 v47, v10, v11
	v_or_b32_e32 v10, v9, v12
.LBB1186_59:
	s_wait_alu 0xfffe
	s_or_b32 exec_lo, exec_lo, s1
	v_add_nc_u32_e32 v9, 4, v46
	v_lshrrev_b32_e32 v25, 8, v8
	v_lshrrev_b32_e32 v26, 16, v8
	;; [unrolled: 1-line block ×4, first 2 shown]
	v_cmp_le_u32_e32 vcc_lo, s27, v9
	v_lshrrev_b32_e32 v12, 16, v10
                                        ; implicit-def: $vgpr8
                                        ; implicit-def: $vgpr9
	s_and_saveexec_b32 s0, vcc_lo
	s_wait_alu 0xfffe
	s_xor_b32 s0, exec_lo, s0
	s_cbranch_execz .LBB1186_61
; %bb.60:
	v_lshlrev_b16 v8, 8, v27
	v_and_b32_e32 v9, 0xff, v26
	v_lshlrev_b16 v25, 8, v25
	v_lshlrev_b16 v11, 8, v11
	v_and_b32_e32 v12, 0xff, v12
	v_perm_b32 v7, v7, v7, 0x3060504
	v_or_b32_e32 v8, v9, v8
	v_and_b32_e32 v9, 0xffff, v25
                                        ; implicit-def: $vgpr25
                                        ; implicit-def: $vgpr26
                                        ; implicit-def: $vgpr27
	s_delay_alu instid0(VALU_DEP_4) | instskip(NEXT) | instid1(VALU_DEP_3)
	v_or_b32_e32 v11, v12, v11
	v_lshlrev_b32_e32 v12, 16, v8
	s_delay_alu instid0(VALU_DEP_2) | instskip(NEXT) | instid1(VALU_DEP_2)
	v_perm_b32 v8, v11, v10, 0x5040c00
                                        ; implicit-def: $vgpr10
                                        ; implicit-def: $vgpr11
	v_or_b32_e32 v9, v9, v12
                                        ; implicit-def: $vgpr12
.LBB1186_61:
	s_wait_alu 0xfffe
	s_and_not1_saveexec_b32 s1, s0
	s_cbranch_execz .LBB1186_65
; %bb.62:
	v_add_nc_u32_e32 v8, s17, v19
	v_add_nc_u32_e32 v9, s19, v19
	s_mov_b32 s3, 0
	s_mov_b32 s4, exec_lo
	s_delay_alu instid0(VALU_DEP_2) | instskip(NEXT) | instid1(VALU_DEP_2)
	v_mul_lo_u32 v8, v8, s16
	v_mul_lo_u32 v9, v9, s18
	s_delay_alu instid0(VALU_DEP_1) | instskip(NEXT) | instid1(VALU_DEP_1)
	v_sub_nc_u32_e32 v8, v8, v9
	v_cmp_lt_u32_e32 vcc_lo, s20, v8
	v_cmpx_ge_u32_e64 s20, v8
	s_cbranch_execz .LBB1186_64
; %bb.63:
	v_add_nc_u32_e32 v8, s22, v19
	v_add_nc_u32_e32 v9, s38, v19
	s_delay_alu instid0(VALU_DEP_2) | instskip(NEXT) | instid1(VALU_DEP_2)
	v_mul_lo_u32 v8, v8, s21
	v_mul_lo_u32 v9, v9, s23
	s_delay_alu instid0(VALU_DEP_1) | instskip(NEXT) | instid1(VALU_DEP_1)
	v_sub_nc_u32_e32 v8, v8, v9
	v_cmp_lt_u32_e64 s0, s39, v8
	s_and_b32 s3, s0, exec_lo
.LBB1186_64:
	s_wait_alu 0xfffe
	s_or_b32 exec_lo, exec_lo, s4
	v_cndmask_b32_e64 v8, 0, 1, s3
	s_wait_alu 0xfffd
	v_cndmask_b32_e64 v9, 0, 1, vcc_lo
	v_lshlrev_b16 v27, 8, v27
	v_and_b32_e32 v26, 0xff, v26
	v_lshlrev_b16 v25, 8, v25
	v_lshlrev_b16 v8, 8, v8
	v_and_b32_e32 v10, 0xff, v10
	v_lshlrev_b16 v11, 8, v11
	v_and_b32_e32 v12, 0xff, v12
	v_or_b32_e32 v26, v26, v27
	v_or_b32_e32 v9, v9, v25
	;; [unrolled: 1-line block ×3, first 2 shown]
	s_delay_alu instid0(VALU_DEP_4) | instskip(NEXT) | instid1(VALU_DEP_4)
	v_or_b32_e32 v10, v12, v11
	v_lshlrev_b32_e32 v11, 16, v26
	s_delay_alu instid0(VALU_DEP_4) | instskip(NEXT) | instid1(VALU_DEP_4)
	v_and_b32_e32 v9, 0xffff, v9
	v_and_b32_e32 v8, 0xffff, v8
	s_delay_alu instid0(VALU_DEP_4) | instskip(NEXT) | instid1(VALU_DEP_3)
	v_lshlrev_b32_e32 v10, 16, v10
	v_or_b32_e32 v9, v9, v11
	s_delay_alu instid0(VALU_DEP_2)
	v_or_b32_e32 v8, v8, v10
.LBB1186_65:
	s_wait_alu 0xfffe
	s_or_b32 exec_lo, exec_lo, s1
	v_add_nc_u32_e32 v10, 5, v46
	v_lshrrev_b32_e32 v25, 16, v9
	v_lshrrev_b32_e32 v27, 24, v9
	v_and_b32_e32 v12, 0xff, v8
	v_lshrrev_b32_e32 v26, 8, v8
	v_cmp_le_u32_e32 vcc_lo, s27, v10
                                        ; implicit-def: $vgpr10
                                        ; implicit-def: $vgpr11
	s_and_saveexec_b32 s0, vcc_lo
	s_wait_alu 0xfffe
	s_xor_b32 s0, exec_lo, s0
	s_cbranch_execz .LBB1186_67
; %bb.66:
	v_lshlrev_b16 v10, 8, v26
	v_lshlrev_b16 v11, 8, v27
	v_and_b32_e32 v25, 0xff, v25
	v_perm_b32 v7, v7, v7, 0x3060504
                                        ; implicit-def: $vgpr27
                                        ; implicit-def: $vgpr26
	s_delay_alu instid0(VALU_DEP_4) | instskip(NEXT) | instid1(VALU_DEP_3)
	v_or_b32_e32 v10, v12, v10
                                        ; implicit-def: $vgpr12
	v_or_b32_e32 v11, v25, v11
                                        ; implicit-def: $vgpr25
	s_delay_alu instid0(VALU_DEP_2) | instskip(NEXT) | instid1(VALU_DEP_2)
	v_and_b32_e32 v10, 0xffff, v10
	v_perm_b32 v11, v11, v9, 0x5040c00
                                        ; implicit-def: $vgpr9
	s_delay_alu instid0(VALU_DEP_2)
	v_and_or_b32 v10, 0xff000000, v8, v10
                                        ; implicit-def: $vgpr8
.LBB1186_67:
	s_wait_alu 0xfffe
	s_and_not1_saveexec_b32 s1, s0
	s_cbranch_execz .LBB1186_71
; %bb.68:
	v_add_nc_u32_e32 v10, s17, v20
	v_add_nc_u32_e32 v11, s19, v20
	s_mov_b32 s3, 0
	s_mov_b32 s4, exec_lo
	s_delay_alu instid0(VALU_DEP_2) | instskip(NEXT) | instid1(VALU_DEP_2)
	v_mul_lo_u32 v10, v10, s16
	v_mul_lo_u32 v11, v11, s18
	s_delay_alu instid0(VALU_DEP_1) | instskip(NEXT) | instid1(VALU_DEP_1)
	v_sub_nc_u32_e32 v10, v10, v11
	v_cmp_lt_u32_e32 vcc_lo, s20, v10
	v_cmpx_ge_u32_e64 s20, v10
	s_cbranch_execz .LBB1186_70
; %bb.69:
	v_add_nc_u32_e32 v10, s22, v20
	v_add_nc_u32_e32 v11, s38, v20
	s_delay_alu instid0(VALU_DEP_2) | instskip(NEXT) | instid1(VALU_DEP_2)
	v_mul_lo_u32 v10, v10, s21
	v_mul_lo_u32 v11, v11, s23
	s_delay_alu instid0(VALU_DEP_1) | instskip(NEXT) | instid1(VALU_DEP_1)
	v_sub_nc_u32_e32 v10, v10, v11
	v_cmp_lt_u32_e64 s0, s39, v10
	s_and_b32 s3, s0, exec_lo
.LBB1186_70:
	s_wait_alu 0xfffe
	s_or_b32 exec_lo, exec_lo, s4
	s_wait_alu 0xfffd
	v_cndmask_b32_e64 v10, 0, 1, vcc_lo
	v_lshrrev_b32_e32 v8, 24, v8
	v_cndmask_b32_e64 v11, 0, 1, s3
	v_lshlrev_b16 v27, 8, v27
	v_and_b32_e32 v25, 0xff, v25
	v_lshlrev_b16 v10, 8, v10
	v_lshlrev_b16 v26, 8, v26
	v_and_b32_e32 v9, 0xff, v9
	v_lshlrev_b16 v8, 8, v8
	v_or_b32_e32 v25, v25, v27
	s_delay_alu instid0(VALU_DEP_4) | instskip(NEXT) | instid1(VALU_DEP_4)
	v_or_b32_e32 v12, v12, v26
	v_or_b32_e32 v9, v9, v10
	s_delay_alu instid0(VALU_DEP_4) | instskip(NEXT) | instid1(VALU_DEP_4)
	v_or_b32_e32 v8, v11, v8
	v_lshlrev_b32_e32 v10, 16, v25
	s_delay_alu instid0(VALU_DEP_4) | instskip(NEXT) | instid1(VALU_DEP_4)
	v_and_b32_e32 v12, 0xffff, v12
	v_and_b32_e32 v9, 0xffff, v9
	s_delay_alu instid0(VALU_DEP_4) | instskip(NEXT) | instid1(VALU_DEP_2)
	v_lshlrev_b32_e32 v8, 16, v8
	v_or_b32_e32 v11, v9, v10
	s_delay_alu instid0(VALU_DEP_2)
	v_or_b32_e32 v10, v12, v8
.LBB1186_71:
	s_wait_alu 0xfffe
	s_or_b32 exec_lo, exec_lo, s1
	v_add_nc_u32_e32 v8, 6, v46
	v_lshrrev_b32_e32 v12, 8, v11
                                        ; implicit-def: $vgpr48
                                        ; implicit-def: $vgpr9
	s_delay_alu instid0(VALU_DEP_2)
	v_cmp_le_u32_e32 vcc_lo, s27, v8
	v_and_b32_e32 v8, 0xff, v11
	s_and_saveexec_b32 s0, vcc_lo
	s_wait_alu 0xfffe
	s_xor_b32 s0, exec_lo, s0
	s_cbranch_execz .LBB1186_73
; %bb.72:
	v_lshlrev_b16 v9, 8, v12
	v_perm_b32 v7, v7, v7, 0x3060504
                                        ; implicit-def: $vgpr12
	s_delay_alu instid0(VALU_DEP_2) | instskip(SKIP_1) | instid1(VALU_DEP_2)
	v_or_b32_e32 v8, v8, v9
	v_and_b32_e32 v9, 0xff0000, v10
	v_and_b32_e32 v8, 0xffff, v8
	s_delay_alu instid0(VALU_DEP_2) | instskip(NEXT) | instid1(VALU_DEP_2)
	v_perm_b32 v48, v10, v9, 0x3020504
                                        ; implicit-def: $vgpr10
	v_and_or_b32 v9, 0xff000000, v11, v8
                                        ; implicit-def: $vgpr8
                                        ; implicit-def: $vgpr11
.LBB1186_73:
	s_wait_alu 0xfffe
	s_and_not1_saveexec_b32 s1, s0
	s_cbranch_execz .LBB1186_77
; %bb.74:
	v_add_nc_u32_e32 v9, s17, v17
	v_add_nc_u32_e32 v25, s19, v17
	s_mov_b32 s3, 0
	s_mov_b32 s4, exec_lo
	s_delay_alu instid0(VALU_DEP_2) | instskip(NEXT) | instid1(VALU_DEP_2)
	v_mul_lo_u32 v9, v9, s16
	v_mul_lo_u32 v25, v25, s18
	s_delay_alu instid0(VALU_DEP_1) | instskip(NEXT) | instid1(VALU_DEP_1)
	v_sub_nc_u32_e32 v9, v9, v25
	v_cmp_lt_u32_e32 vcc_lo, s20, v9
	v_cmpx_ge_u32_e64 s20, v9
	s_cbranch_execz .LBB1186_76
; %bb.75:
	v_add_nc_u32_e32 v9, s22, v17
	v_add_nc_u32_e32 v25, s38, v17
	s_delay_alu instid0(VALU_DEP_2) | instskip(NEXT) | instid1(VALU_DEP_2)
	v_mul_lo_u32 v9, v9, s21
	v_mul_lo_u32 v25, v25, s23
	s_delay_alu instid0(VALU_DEP_1) | instskip(NEXT) | instid1(VALU_DEP_1)
	v_sub_nc_u32_e32 v9, v9, v25
	v_cmp_lt_u32_e64 s0, s39, v9
	s_and_b32 s3, s0, exec_lo
.LBB1186_76:
	s_wait_alu 0xfffe
	s_or_b32 exec_lo, exec_lo, s4
	v_lshrrev_b32_e32 v11, 24, v11
	v_cndmask_b32_e64 v25, 0, 1, s3
	v_lshrrev_b32_e32 v26, 8, v10
	v_lshrrev_b32_e32 v27, 16, v10
	s_wait_alu 0xfffd
	v_cndmask_b32_e64 v9, 0, 1, vcc_lo
	v_lshlrev_b16 v12, 8, v12
	v_lshlrev_b16 v11, 8, v11
	v_and_b32_e32 v10, 0xff, v10
	v_lshlrev_b16 v26, 8, v26
	v_lshlrev_b16 v25, 8, v25
	v_and_b32_e32 v27, 0xff, v27
	v_or_b32_e32 v8, v8, v12
	v_or_b32_e32 v9, v9, v11
	;; [unrolled: 1-line block ×3, first 2 shown]
	s_delay_alu instid0(VALU_DEP_4) | instskip(NEXT) | instid1(VALU_DEP_4)
	v_or_b32_e32 v11, v27, v25
	v_and_b32_e32 v8, 0xffff, v8
	s_delay_alu instid0(VALU_DEP_4) | instskip(NEXT) | instid1(VALU_DEP_4)
	v_lshlrev_b32_e32 v9, 16, v9
	v_and_b32_e32 v10, 0xffff, v10
	s_delay_alu instid0(VALU_DEP_4) | instskip(NEXT) | instid1(VALU_DEP_3)
	v_lshlrev_b32_e32 v11, 16, v11
	v_or_b32_e32 v9, v8, v9
	s_delay_alu instid0(VALU_DEP_2)
	v_or_b32_e32 v48, v10, v11
.LBB1186_77:
	s_wait_alu 0xfffe
	s_or_b32 exec_lo, exec_lo, s1
	v_add_nc_u32_e32 v8, 7, v46
	v_lshrrev_b32_e32 v10, 8, v7
	v_lshrrev_b32_e32 v11, 16, v7
	;; [unrolled: 1-line block ×3, first 2 shown]
                                        ; implicit-def: $vgpr49
	s_delay_alu instid0(VALU_DEP_4)
	v_cmp_le_u32_e32 vcc_lo, s27, v8
                                        ; implicit-def: $vgpr8
	s_and_saveexec_b32 s0, vcc_lo
	s_wait_alu 0xfffe
	s_xor_b32 s0, exec_lo, s0
	s_cbranch_execz .LBB1186_79
; %bb.78:
	v_lshlrev_b16 v7, 8, v7
	v_and_b32_e32 v8, 0xff, v11
                                        ; implicit-def: $vgpr11
	s_delay_alu instid0(VALU_DEP_1) | instskip(SKIP_2) | instid1(VALU_DEP_3)
	v_or_b32_e32 v7, v8, v7
	v_lshlrev_b16 v8, 8, v10
	v_and_b32_e32 v10, 0xff0000, v9
	v_lshlrev_b32_e32 v7, 16, v7
	s_delay_alu instid0(VALU_DEP_3) | instskip(NEXT) | instid1(VALU_DEP_3)
	v_and_b32_e32 v8, 0xffff, v8
	v_perm_b32 v49, v9, v10, 0x3020504
                                        ; implicit-def: $vgpr9
                                        ; implicit-def: $vgpr10
	s_delay_alu instid0(VALU_DEP_2)
	v_or_b32_e32 v8, v8, v7
                                        ; implicit-def: $vgpr7
.LBB1186_79:
	s_wait_alu 0xfffe
	s_and_not1_saveexec_b32 s1, s0
	s_cbranch_execz .LBB1186_83
; %bb.80:
	v_add_nc_u32_e32 v8, s17, v18
	v_add_nc_u32_e32 v12, s19, v18
	s_mov_b32 s3, 0
	s_mov_b32 s4, exec_lo
	s_delay_alu instid0(VALU_DEP_2) | instskip(NEXT) | instid1(VALU_DEP_2)
	v_mul_lo_u32 v8, v8, s16
	v_mul_lo_u32 v12, v12, s18
	s_delay_alu instid0(VALU_DEP_1) | instskip(NEXT) | instid1(VALU_DEP_1)
	v_sub_nc_u32_e32 v8, v8, v12
	v_cmp_lt_u32_e32 vcc_lo, s20, v8
	v_cmpx_ge_u32_e64 s20, v8
	s_cbranch_execz .LBB1186_82
; %bb.81:
	v_add_nc_u32_e32 v8, s22, v18
	v_add_nc_u32_e32 v12, s38, v18
	s_delay_alu instid0(VALU_DEP_2) | instskip(NEXT) | instid1(VALU_DEP_2)
	v_mul_lo_u32 v8, v8, s21
	v_mul_lo_u32 v12, v12, s23
	s_delay_alu instid0(VALU_DEP_1) | instskip(NEXT) | instid1(VALU_DEP_1)
	v_sub_nc_u32_e32 v8, v8, v12
	v_cmp_lt_u32_e64 s0, s39, v8
	s_and_b32 s3, s0, exec_lo
.LBB1186_82:
	s_wait_alu 0xfffe
	s_or_b32 exec_lo, exec_lo, s4
	v_lshrrev_b32_e32 v8, 8, v9
	s_wait_alu 0xfffd
	v_cndmask_b32_e64 v12, 0, 1, vcc_lo
	v_lshrrev_b32_e32 v25, 16, v9
	v_cndmask_b32_e64 v26, 0, 1, s3
	v_and_b32_e32 v9, 0xff, v9
	v_lshlrev_b16 v8, 8, v8
	v_lshlrev_b16 v12, 8, v12
	v_and_b32_e32 v25, 0xff, v25
	v_lshlrev_b16 v7, 8, v7
	v_and_b32_e32 v11, 0xff, v11
	v_lshlrev_b16 v10, 8, v10
	v_or_b32_e32 v8, v9, v8
	v_or_b32_e32 v9, v25, v12
	s_delay_alu instid0(VALU_DEP_4) | instskip(NEXT) | instid1(VALU_DEP_4)
	v_or_b32_e32 v7, v11, v7
	v_or_b32_e32 v10, v26, v10
	s_delay_alu instid0(VALU_DEP_4) | instskip(NEXT) | instid1(VALU_DEP_4)
	v_and_b32_e32 v8, 0xffff, v8
	v_lshlrev_b32_e32 v9, 16, v9
	s_delay_alu instid0(VALU_DEP_4) | instskip(NEXT) | instid1(VALU_DEP_4)
	v_lshlrev_b32_e32 v7, 16, v7
	v_and_b32_e32 v10, 0xffff, v10
	s_delay_alu instid0(VALU_DEP_3) | instskip(NEXT) | instid1(VALU_DEP_2)
	v_or_b32_e32 v49, v8, v9
	v_or_b32_e32 v8, v10, v7
.LBB1186_83:
	s_wait_alu 0xfffe
	s_or_b32 exec_lo, exec_lo, s1
	v_add_nc_u32_e32 v7, 8, v46
	s_delay_alu instid0(VALU_DEP_2)
	v_lshrrev_b32_e32 v9, 16, v8
	v_lshrrev_b32_e32 v10, 24, v8
	;; [unrolled: 1-line block ×4, first 2 shown]
	v_cmp_le_u32_e32 vcc_lo, s27, v7
	v_lshrrev_b32_e32 v11, 8, v6
                                        ; implicit-def: $vgpr6
                                        ; implicit-def: $vgpr7
	s_and_saveexec_b32 s0, vcc_lo
	s_wait_alu 0xfffe
	s_xor_b32 s0, exec_lo, s0
	s_cbranch_execz .LBB1186_85
; %bb.84:
	v_lshlrev_b16 v6, 8, v12
	v_and_b32_e32 v7, 0xff, v25
	v_lshlrev_b16 v11, 8, v11
	v_lshlrev_b16 v10, 8, v10
	v_perm_b32 v5, v5, v5, 0x3060504
                                        ; implicit-def: $vgpr12
                                        ; implicit-def: $vgpr25
	s_delay_alu instid0(VALU_DEP_4) | instskip(SKIP_2) | instid1(VALU_DEP_3)
	v_or_b32_e32 v6, v7, v6
	v_and_b32_e32 v7, 0xff, v9
	v_and_b32_e32 v9, 0xffff, v11
                                        ; implicit-def: $vgpr11
	v_lshlrev_b32_e32 v6, 16, v6
	s_delay_alu instid0(VALU_DEP_3) | instskip(NEXT) | instid1(VALU_DEP_2)
	v_or_b32_e32 v10, v7, v10
	v_or_b32_e32 v7, v9, v6
	s_delay_alu instid0(VALU_DEP_2)
	v_perm_b32 v6, v10, v8, 0x5040c00
                                        ; implicit-def: $vgpr8
                                        ; implicit-def: $vgpr9
                                        ; implicit-def: $vgpr10
.LBB1186_85:
	s_wait_alu 0xfffe
	s_and_not1_saveexec_b32 s1, s0
	s_cbranch_execz .LBB1186_89
; %bb.86:
	v_add_nc_u32_e32 v6, s17, v15
	v_add_nc_u32_e32 v7, s19, v15
	s_mov_b32 s3, 0
	s_mov_b32 s4, exec_lo
	s_delay_alu instid0(VALU_DEP_2) | instskip(NEXT) | instid1(VALU_DEP_2)
	v_mul_lo_u32 v6, v6, s16
	v_mul_lo_u32 v7, v7, s18
	s_delay_alu instid0(VALU_DEP_1) | instskip(NEXT) | instid1(VALU_DEP_1)
	v_sub_nc_u32_e32 v6, v6, v7
	v_cmp_lt_u32_e32 vcc_lo, s20, v6
	v_cmpx_ge_u32_e64 s20, v6
	s_cbranch_execz .LBB1186_88
; %bb.87:
	v_add_nc_u32_e32 v6, s22, v15
	v_add_nc_u32_e32 v7, s38, v15
	s_delay_alu instid0(VALU_DEP_2) | instskip(NEXT) | instid1(VALU_DEP_2)
	v_mul_lo_u32 v6, v6, s21
	v_mul_lo_u32 v7, v7, s23
	s_delay_alu instid0(VALU_DEP_1) | instskip(NEXT) | instid1(VALU_DEP_1)
	v_sub_nc_u32_e32 v6, v6, v7
	v_cmp_lt_u32_e64 s0, s39, v6
	s_and_b32 s3, s0, exec_lo
.LBB1186_88:
	s_wait_alu 0xfffe
	s_or_b32 exec_lo, exec_lo, s4
	v_cndmask_b32_e64 v6, 0, 1, s3
	s_wait_alu 0xfffd
	v_cndmask_b32_e64 v7, 0, 1, vcc_lo
	v_lshlrev_b16 v12, 8, v12
	v_and_b32_e32 v25, 0xff, v25
	v_lshlrev_b16 v11, 8, v11
	v_lshlrev_b16 v6, 8, v6
	v_and_b32_e32 v8, 0xff, v8
	v_lshlrev_b16 v10, 8, v10
	v_and_b32_e32 v9, 0xff, v9
	v_or_b32_e32 v12, v25, v12
	v_or_b32_e32 v7, v7, v11
	;; [unrolled: 1-line block ×3, first 2 shown]
	s_delay_alu instid0(VALU_DEP_4) | instskip(NEXT) | instid1(VALU_DEP_4)
	v_or_b32_e32 v8, v9, v10
	v_lshlrev_b32_e32 v9, 16, v12
	s_delay_alu instid0(VALU_DEP_4) | instskip(NEXT) | instid1(VALU_DEP_4)
	v_and_b32_e32 v7, 0xffff, v7
	v_and_b32_e32 v6, 0xffff, v6
	s_delay_alu instid0(VALU_DEP_4) | instskip(NEXT) | instid1(VALU_DEP_3)
	v_lshlrev_b32_e32 v8, 16, v8
	v_or_b32_e32 v7, v7, v9
	s_delay_alu instid0(VALU_DEP_2)
	v_or_b32_e32 v6, v6, v8
.LBB1186_89:
	s_wait_alu 0xfffe
	s_or_b32 exec_lo, exec_lo, s1
	v_add_nc_u32_e32 v8, 9, v46
	s_delay_alu instid0(VALU_DEP_2)
	v_lshrrev_b32_e32 v10, 8, v6
	v_lshrrev_b32_e32 v25, 24, v7
	;; [unrolled: 1-line block ×3, first 2 shown]
	v_and_b32_e32 v11, 0xff, v6
	v_cmp_le_u32_e32 vcc_lo, s27, v8
                                        ; implicit-def: $vgpr8
                                        ; implicit-def: $vgpr9
	s_and_saveexec_b32 s0, vcc_lo
	s_wait_alu 0xfffe
	s_xor_b32 s0, exec_lo, s0
	s_cbranch_execz .LBB1186_91
; %bb.90:
	v_lshlrev_b16 v8, 8, v10
	v_lshlrev_b16 v9, 8, v25
	v_and_b32_e32 v10, 0xff, v12
	v_perm_b32 v5, v5, v5, 0x3060504
                                        ; implicit-def: $vgpr25
                                        ; implicit-def: $vgpr12
	s_delay_alu instid0(VALU_DEP_4) | instskip(NEXT) | instid1(VALU_DEP_3)
	v_or_b32_e32 v8, v11, v8
                                        ; implicit-def: $vgpr11
	v_or_b32_e32 v9, v10, v9
                                        ; implicit-def: $vgpr10
	s_delay_alu instid0(VALU_DEP_2) | instskip(NEXT) | instid1(VALU_DEP_2)
	v_and_b32_e32 v8, 0xffff, v8
	v_perm_b32 v9, v9, v7, 0x5040c00
                                        ; implicit-def: $vgpr7
	s_delay_alu instid0(VALU_DEP_2)
	v_and_or_b32 v8, 0xff000000, v6, v8
                                        ; implicit-def: $vgpr6
.LBB1186_91:
	s_wait_alu 0xfffe
	s_and_not1_saveexec_b32 s1, s0
	s_cbranch_execz .LBB1186_95
; %bb.92:
	v_add_nc_u32_e32 v8, s17, v16
	v_add_nc_u32_e32 v9, s19, v16
	s_mov_b32 s3, 0
	s_mov_b32 s4, exec_lo
	s_delay_alu instid0(VALU_DEP_2) | instskip(NEXT) | instid1(VALU_DEP_2)
	v_mul_lo_u32 v8, v8, s16
	v_mul_lo_u32 v9, v9, s18
	s_delay_alu instid0(VALU_DEP_1) | instskip(NEXT) | instid1(VALU_DEP_1)
	v_sub_nc_u32_e32 v8, v8, v9
	v_cmp_lt_u32_e32 vcc_lo, s20, v8
	v_cmpx_ge_u32_e64 s20, v8
	s_cbranch_execz .LBB1186_94
; %bb.93:
	v_add_nc_u32_e32 v8, s22, v16
	v_add_nc_u32_e32 v9, s38, v16
	s_delay_alu instid0(VALU_DEP_2) | instskip(NEXT) | instid1(VALU_DEP_2)
	v_mul_lo_u32 v8, v8, s21
	v_mul_lo_u32 v9, v9, s23
	s_delay_alu instid0(VALU_DEP_1) | instskip(NEXT) | instid1(VALU_DEP_1)
	v_sub_nc_u32_e32 v8, v8, v9
	v_cmp_lt_u32_e64 s0, s39, v8
	s_and_b32 s3, s0, exec_lo
.LBB1186_94:
	s_wait_alu 0xfffe
	s_or_b32 exec_lo, exec_lo, s4
	s_wait_alu 0xfffd
	v_cndmask_b32_e64 v8, 0, 1, vcc_lo
	v_lshrrev_b32_e32 v6, 24, v6
	v_cndmask_b32_e64 v9, 0, 1, s3
	v_lshlrev_b16 v25, 8, v25
	v_and_b32_e32 v12, 0xff, v12
	v_lshlrev_b16 v8, 8, v8
	v_lshlrev_b16 v10, 8, v10
	v_and_b32_e32 v7, 0xff, v7
	v_lshlrev_b16 v6, 8, v6
	v_or_b32_e32 v12, v12, v25
	s_delay_alu instid0(VALU_DEP_4) | instskip(NEXT) | instid1(VALU_DEP_4)
	v_or_b32_e32 v10, v11, v10
	v_or_b32_e32 v7, v7, v8
	s_delay_alu instid0(VALU_DEP_4) | instskip(NEXT) | instid1(VALU_DEP_4)
	v_or_b32_e32 v6, v9, v6
	v_lshlrev_b32_e32 v8, 16, v12
	s_delay_alu instid0(VALU_DEP_4) | instskip(NEXT) | instid1(VALU_DEP_4)
	v_and_b32_e32 v10, 0xffff, v10
	v_and_b32_e32 v7, 0xffff, v7
	s_delay_alu instid0(VALU_DEP_4) | instskip(NEXT) | instid1(VALU_DEP_2)
	v_lshlrev_b32_e32 v6, 16, v6
	v_or_b32_e32 v9, v7, v8
	s_delay_alu instid0(VALU_DEP_2)
	v_or_b32_e32 v8, v10, v6
.LBB1186_95:
	s_wait_alu 0xfffe
	s_or_b32 exec_lo, exec_lo, s1
	v_add_nc_u32_e32 v6, 10, v46
	v_and_b32_e32 v7, 0xff, v9
	v_lshrrev_b32_e32 v10, 8, v9
                                        ; implicit-def: $vgpr51
	s_delay_alu instid0(VALU_DEP_3)
	v_cmp_le_u32_e32 vcc_lo, s27, v6
                                        ; implicit-def: $vgpr6
	s_and_saveexec_b32 s0, vcc_lo
	s_wait_alu 0xfffe
	s_xor_b32 s0, exec_lo, s0
	s_cbranch_execz .LBB1186_97
; %bb.96:
	v_lshlrev_b16 v6, 8, v10
	v_perm_b32 v5, v5, v5, 0x3060504
                                        ; implicit-def: $vgpr10
	s_delay_alu instid0(VALU_DEP_2) | instskip(SKIP_1) | instid1(VALU_DEP_2)
	v_or_b32_e32 v6, v7, v6
	v_and_b32_e32 v7, 0xff0000, v8
	v_and_b32_e32 v6, 0xffff, v6
	s_delay_alu instid0(VALU_DEP_2) | instskip(NEXT) | instid1(VALU_DEP_2)
	v_perm_b32 v51, v8, v7, 0x3020504
                                        ; implicit-def: $vgpr7
                                        ; implicit-def: $vgpr8
	v_and_or_b32 v6, 0xff000000, v9, v6
                                        ; implicit-def: $vgpr9
.LBB1186_97:
	s_wait_alu 0xfffe
	s_and_not1_saveexec_b32 s1, s0
	s_cbranch_execz .LBB1186_101
; %bb.98:
	v_add_nc_u32_e32 v6, s17, v13
	v_add_nc_u32_e32 v11, s19, v13
	s_mov_b32 s3, 0
	s_mov_b32 s4, exec_lo
	s_delay_alu instid0(VALU_DEP_2) | instskip(NEXT) | instid1(VALU_DEP_2)
	v_mul_lo_u32 v6, v6, s16
	v_mul_lo_u32 v11, v11, s18
	s_delay_alu instid0(VALU_DEP_1) | instskip(NEXT) | instid1(VALU_DEP_1)
	v_sub_nc_u32_e32 v6, v6, v11
	v_cmp_lt_u32_e32 vcc_lo, s20, v6
	v_cmpx_ge_u32_e64 s20, v6
	s_cbranch_execz .LBB1186_100
; %bb.99:
	v_add_nc_u32_e32 v6, s22, v13
	v_add_nc_u32_e32 v11, s38, v13
	s_delay_alu instid0(VALU_DEP_2) | instskip(NEXT) | instid1(VALU_DEP_2)
	v_mul_lo_u32 v6, v6, s21
	v_mul_lo_u32 v11, v11, s23
	s_delay_alu instid0(VALU_DEP_1) | instskip(NEXT) | instid1(VALU_DEP_1)
	v_sub_nc_u32_e32 v6, v6, v11
	v_cmp_lt_u32_e64 s0, s39, v6
	s_and_b32 s3, s0, exec_lo
.LBB1186_100:
	s_wait_alu 0xfffe
	s_or_b32 exec_lo, exec_lo, s4
	v_lshrrev_b32_e32 v9, 24, v9
	v_cndmask_b32_e64 v11, 0, 1, s3
	v_lshrrev_b32_e32 v12, 8, v8
	v_lshrrev_b32_e32 v25, 16, v8
	s_wait_alu 0xfffd
	v_cndmask_b32_e64 v6, 0, 1, vcc_lo
	v_lshlrev_b16 v10, 8, v10
	v_lshlrev_b16 v9, 8, v9
	v_and_b32_e32 v8, 0xff, v8
	v_lshlrev_b16 v12, 8, v12
	v_lshlrev_b16 v11, 8, v11
	v_and_b32_e32 v25, 0xff, v25
	v_or_b32_e32 v7, v7, v10
	v_or_b32_e32 v6, v6, v9
	;; [unrolled: 1-line block ×3, first 2 shown]
	s_delay_alu instid0(VALU_DEP_4) | instskip(NEXT) | instid1(VALU_DEP_4)
	v_or_b32_e32 v9, v25, v11
	v_and_b32_e32 v7, 0xffff, v7
	s_delay_alu instid0(VALU_DEP_4) | instskip(NEXT) | instid1(VALU_DEP_4)
	v_lshlrev_b32_e32 v6, 16, v6
	v_and_b32_e32 v8, 0xffff, v8
	s_delay_alu instid0(VALU_DEP_4) | instskip(NEXT) | instid1(VALU_DEP_3)
	v_lshlrev_b32_e32 v9, 16, v9
	v_or_b32_e32 v6, v7, v6
	s_delay_alu instid0(VALU_DEP_2)
	v_or_b32_e32 v51, v8, v9
.LBB1186_101:
	s_wait_alu 0xfffe
	s_or_b32 exec_lo, exec_lo, s1
	v_dual_mov_b32 v50, 0 :: v_dual_add_nc_u32 v7, 11, v46
	s_mov_b32 s0, exec_lo
                                        ; implicit-def: $vgpr52
	s_delay_alu instid0(VALU_DEP_1)
	v_cmpx_le_u32_e64 s27, v7
	s_wait_alu 0xfffe
	s_xor_b32 s0, exec_lo, s0
; %bb.102:
	v_and_b32_e32 v7, 0xff0000, v6
	v_perm_b32 v5, v5, v5, 0x3060504
	s_delay_alu instid0(VALU_DEP_2)
	v_perm_b32 v52, v6, v7, 0x3020504
                                        ; implicit-def: $vgpr6
; %bb.103:
	s_wait_alu 0xfffe
	s_and_not1_saveexec_b32 s1, s0
	s_cbranch_execz .LBB1186_107
; %bb.104:
	v_add_nc_u32_e32 v7, s17, v14
	v_add_nc_u32_e32 v8, s19, v14
	s_mov_b32 s3, 0
	s_mov_b32 s4, exec_lo
	s_delay_alu instid0(VALU_DEP_2) | instskip(NEXT) | instid1(VALU_DEP_2)
	v_mul_lo_u32 v7, v7, s16
	v_mul_lo_u32 v8, v8, s18
	s_delay_alu instid0(VALU_DEP_1) | instskip(NEXT) | instid1(VALU_DEP_1)
	v_sub_nc_u32_e32 v7, v7, v8
	v_cmp_lt_u32_e32 vcc_lo, s20, v7
	v_cmpx_ge_u32_e64 s20, v7
	s_cbranch_execz .LBB1186_106
; %bb.105:
	v_add_nc_u32_e32 v7, s22, v14
	v_add_nc_u32_e32 v8, s38, v14
	s_delay_alu instid0(VALU_DEP_2) | instskip(NEXT) | instid1(VALU_DEP_2)
	v_mul_lo_u32 v7, v7, s21
	v_mul_lo_u32 v8, v8, s23
	s_delay_alu instid0(VALU_DEP_1) | instskip(NEXT) | instid1(VALU_DEP_1)
	v_sub_nc_u32_e32 v7, v7, v8
	v_cmp_lt_u32_e64 s0, s39, v7
	s_and_b32 s3, s0, exec_lo
.LBB1186_106:
	s_wait_alu 0xfffe
	s_or_b32 exec_lo, exec_lo, s4
	v_lshrrev_b32_e32 v7, 8, v6
	s_wait_alu 0xfffd
	v_cndmask_b32_e64 v8, 0, 1, vcc_lo
	v_lshrrev_b32_e32 v9, 16, v6
	v_and_b32_e32 v6, 0xff, v6
	v_cndmask_b32_e64 v50, 0, 1, s3
	v_lshlrev_b16 v7, 8, v7
	v_lshlrev_b16 v8, 8, v8
	v_and_b32_e32 v9, 0xff, v9
	s_delay_alu instid0(VALU_DEP_3) | instskip(NEXT) | instid1(VALU_DEP_2)
	v_or_b32_e32 v6, v6, v7
	v_or_b32_e32 v7, v9, v8
	s_delay_alu instid0(VALU_DEP_2) | instskip(NEXT) | instid1(VALU_DEP_2)
	v_and_b32_e32 v6, 0xffff, v6
	v_lshlrev_b32_e32 v7, 16, v7
	s_delay_alu instid0(VALU_DEP_1)
	v_or_b32_e32 v52, v6, v7
.LBB1186_107:
	s_wait_alu 0xfffe
	s_or_b32 exec_lo, exec_lo, s1
	v_add_nc_u32_e32 v8, 12, v46
	v_lshrrev_b32_e32 v6, 8, v5
	v_lshrrev_b32_e32 v7, 16, v5
	;; [unrolled: 1-line block ×3, first 2 shown]
	s_mov_b32 s0, exec_lo
                                        ; implicit-def: $vgpr54
	v_cmpx_le_u32_e64 s27, v8
	s_wait_alu 0xfffe
	s_xor_b32 s0, exec_lo, s0
	s_cbranch_execz .LBB1186_109
; %bb.108:
	v_lshlrev_b16 v5, 8, v5
	v_and_b32_e32 v7, 0xff, v7
	v_lshlrev_b16 v6, 8, v6
	s_delay_alu instid0(VALU_DEP_2) | instskip(NEXT) | instid1(VALU_DEP_2)
	v_or_b32_e32 v5, v7, v5
	v_and_b32_e32 v6, 0xffff, v6
                                        ; implicit-def: $vgpr7
	s_delay_alu instid0(VALU_DEP_2) | instskip(NEXT) | instid1(VALU_DEP_1)
	v_lshlrev_b32_e32 v5, 16, v5
	v_or_b32_e32 v54, v6, v5
                                        ; implicit-def: $vgpr5
                                        ; implicit-def: $vgpr6
.LBB1186_109:
	s_wait_alu 0xfffe
	s_or_saveexec_b32 s1, s0
	v_mov_b32_e32 v53, 0
	s_wait_alu 0xfffe
	s_xor_b32 exec_lo, exec_lo, s1
	s_cbranch_execz .LBB1186_113
; %bb.110:
	v_add_nc_u32_e32 v8, s17, v45
	v_add_nc_u32_e32 v9, s19, v45
	s_mov_b32 s3, 0
	s_mov_b32 s4, exec_lo
	s_delay_alu instid0(VALU_DEP_2) | instskip(NEXT) | instid1(VALU_DEP_2)
	v_mul_lo_u32 v8, v8, s16
	v_mul_lo_u32 v9, v9, s18
	s_delay_alu instid0(VALU_DEP_1) | instskip(NEXT) | instid1(VALU_DEP_1)
	v_sub_nc_u32_e32 v8, v8, v9
	v_cmp_lt_u32_e32 vcc_lo, s20, v8
	v_cmpx_ge_u32_e64 s20, v8
	s_cbranch_execz .LBB1186_112
; %bb.111:
	v_add_nc_u32_e32 v8, s22, v45
	v_add_nc_u32_e32 v9, s38, v45
	s_delay_alu instid0(VALU_DEP_2) | instskip(NEXT) | instid1(VALU_DEP_2)
	v_mul_lo_u32 v8, v8, s21
	v_mul_lo_u32 v9, v9, s23
	s_delay_alu instid0(VALU_DEP_1) | instskip(NEXT) | instid1(VALU_DEP_1)
	v_sub_nc_u32_e32 v8, v8, v9
	v_cmp_lt_u32_e64 s0, s39, v8
	s_and_b32 s3, s0, exec_lo
.LBB1186_112:
	s_wait_alu 0xfffe
	s_or_b32 exec_lo, exec_lo, s4
	s_wait_alu 0xfffd
	v_cndmask_b32_e64 v8, 0, 1, vcc_lo
	v_lshlrev_b16 v5, 8, v5
	v_and_b32_e32 v7, 0xff, v7
	v_lshlrev_b16 v6, 8, v6
	v_cndmask_b32_e64 v53, 0, 1, s3
	s_delay_alu instid0(VALU_DEP_3) | instskip(NEXT) | instid1(VALU_DEP_3)
	v_or_b32_e32 v5, v7, v5
	v_or_b32_e32 v6, v8, v6
	s_delay_alu instid0(VALU_DEP_2) | instskip(NEXT) | instid1(VALU_DEP_2)
	v_lshlrev_b32_e32 v5, 16, v5
	v_and_b32_e32 v6, 0xffff, v6
	s_delay_alu instid0(VALU_DEP_1)
	v_or_b32_e32 v54, v6, v5
.LBB1186_113:
	s_or_b32 exec_lo, exec_lo, s1
.LBB1186_114:
	v_and_b32_e32 v77, 0xff, v47
	s_delay_alu instid0(VALU_DEP_2)
	v_bfe_u32 v78, v54, 8, 8
	v_bfe_u32 v74, v47, 8, 8
	v_bfe_u32 v75, v54, 16, 8
	v_bfe_u32 v76, v47, 16, 8
	v_lshrrev_b32_e32 v60, 24, v54
	v_lshrrev_b32_e32 v59, 24, v47
	v_and_b32_e32 v73, 0xff, v48
	v_and_b32_e32 v71, 0xff, v49
	v_bfe_u32 v72, v48, 8, 8
	v_add3_u32 v5, v74, v77, v76
	v_add3_u32 v6, v75, v78, v60
	v_bfe_u32 v69, v49, 8, 8
	v_bfe_u32 v70, v48, 16, 8
	;; [unrolled: 1-line block ×3, first 2 shown]
	v_lshrrev_b32_e32 v58, 24, v48
	v_add3_u32 v5, v5, v59, v71
	v_add3_u32 v6, v6, v73, v72
	v_lshrrev_b32_e32 v57, 24, v49
	v_and_b32_e32 v68, 0xff, v51
	v_and_b32_e32 v66, 0xff, v52
	v_bfe_u32 v67, v51, 8, 8
	v_add3_u32 v5, v5, v69, v65
	v_add3_u32 v6, v6, v70, v58
	v_bfe_u32 v63, v52, 8, 8
	v_bfe_u32 v64, v51, 16, 8
	;; [unrolled: 1-line block ×3, first 2 shown]
	v_lshrrev_b32_e32 v56, 24, v51
	v_add3_u32 v5, v5, v57, v66
	v_add3_u32 v6, v6, v68, v67
	v_mbcnt_lo_u32_b32 v79, -1, 0
	v_lshrrev_b32_e32 v55, 24, v52
	v_and_b32_e32 v61, 0xff, v50
	v_and_b32_e32 v7, 0xff, v54
	;; [unrolled: 1-line block ×3, first 2 shown]
	v_add3_u32 v5, v5, v63, v62
	v_add3_u32 v6, v6, v64, v56
	v_and_b32_e32 v81, 15, v79
	v_and_b32_e32 v83, 16, v79
	v_lshrrev_b32_e32 v80, 5, v0
	v_add3_u32 v84, v5, v55, v7
	v_add3_u32 v85, v6, v61, v8
	v_cmp_eq_u32_e64 s1, 0, v81
	v_cmp_lt_u32_e64 s0, 1, v81
	v_cmp_lt_u32_e64 s3, 3, v81
	v_or_b32_e32 v82, 31, v0
	s_cmp_lg_u32 s33, 0
	s_mov_b32 s4, -1
	v_cmp_lt_u32_e32 vcc_lo, 7, v81
	s_cbranch_scc0 .LBB1186_135
; %bb.115:
	v_mov_b32_dpp v6, v84 row_shr:1 row_mask:0xf bank_mask:0xf
	v_mov_b32_dpp v5, v85 row_shr:1 row_mask:0xf bank_mask:0xf
	s_mov_b32 s4, exec_lo
	s_delay_alu instid0(VALU_DEP_2) | instskip(SKIP_1) | instid1(VALU_DEP_1)
	v_add_nc_u32_e32 v6, v6, v84
	s_wait_alu 0xf1ff
	v_cndmask_b32_e64 v6, v6, v84, s1
	s_delay_alu instid0(VALU_DEP_1) | instskip(NEXT) | instid1(VALU_DEP_1)
	v_mov_b32_dpp v8, v6 row_shr:2 row_mask:0xf bank_mask:0xf
	v_add_nc_u32_e32 v8, v6, v8
	s_delay_alu instid0(VALU_DEP_1) | instskip(NEXT) | instid1(VALU_DEP_1)
	v_cndmask_b32_e64 v6, v6, v8, s0
	v_mov_b32_dpp v8, v6 row_shr:4 row_mask:0xf bank_mask:0xf
	s_delay_alu instid0(VALU_DEP_1) | instskip(NEXT) | instid1(VALU_DEP_1)
	v_add_nc_u32_e32 v8, v6, v8
	v_cndmask_b32_e64 v6, v6, v8, s3
	s_delay_alu instid0(VALU_DEP_1) | instskip(NEXT) | instid1(VALU_DEP_1)
	v_mov_b32_dpp v8, v6 row_shr:8 row_mask:0xf bank_mask:0xf
	v_add_nc_u32_e32 v8, v6, v8
	s_wait_alu 0xfffd
	s_delay_alu instid0(VALU_DEP_1) | instskip(NEXT) | instid1(VALU_DEP_1)
	v_dual_cndmask_b32 v6, v6, v8 :: v_dual_add_nc_u32 v5, v5, v85
	v_cndmask_b32_e64 v5, v5, v85, s1
	ds_swizzle_b32 v8, v6 offset:swizzle(BROADCAST,32,15)
	v_mov_b32_dpp v7, v5 row_shr:2 row_mask:0xf bank_mask:0xf
	s_delay_alu instid0(VALU_DEP_1) | instskip(NEXT) | instid1(VALU_DEP_1)
	v_add_nc_u32_e32 v7, v5, v7
	v_cndmask_b32_e64 v5, v5, v7, s0
	s_delay_alu instid0(VALU_DEP_1) | instskip(SKIP_2) | instid1(VALU_DEP_2)
	v_mov_b32_dpp v7, v5 row_shr:4 row_mask:0xf bank_mask:0xf
	s_wait_dscnt 0x0
	v_add_nc_u32_e32 v8, v6, v8
	v_add_nc_u32_e32 v7, v5, v7
	s_delay_alu instid0(VALU_DEP_1) | instskip(NEXT) | instid1(VALU_DEP_1)
	v_cndmask_b32_e64 v5, v5, v7, s3
	v_mov_b32_dpp v7, v5 row_shr:8 row_mask:0xf bank_mask:0xf
	s_delay_alu instid0(VALU_DEP_1) | instskip(NEXT) | instid1(VALU_DEP_1)
	v_add_nc_u32_e32 v7, v5, v7
	v_cndmask_b32_e32 v5, v5, v7, vcc_lo
	v_cmp_eq_u32_e32 vcc_lo, 0, v83
	ds_swizzle_b32 v7, v5 offset:swizzle(BROADCAST,32,15)
	s_wait_dscnt 0x0
	v_add_nc_u32_e32 v7, v5, v7
	v_cmpx_eq_u32_e64 v0, v82
; %bb.116:
	s_wait_alu 0xfffd
	s_delay_alu instid0(VALU_DEP_2)
	v_dual_cndmask_b32 v10, v7, v5 :: v_dual_lshlrev_b32 v11, 3, v80
	v_cndmask_b32_e32 v9, v8, v6, vcc_lo
	ds_store_b64 v11, v[9:10]
; %bb.117:
	s_wait_alu 0xfffe
	s_or_b32 exec_lo, exec_lo, s4
	s_delay_alu instid0(SALU_CYCLE_1)
	s_mov_b32 s4, exec_lo
	s_wait_loadcnt_dscnt 0x0
	s_barrier_signal -1
	s_barrier_wait -1
	global_inv scope:SCOPE_SE
	v_cmpx_gt_u32_e32 8, v0
	s_cbranch_execz .LBB1186_119
; %bb.118:
	v_lshlrev_b32_e32 v11, 3, v0
	v_and_b32_e32 v26, 7, v79
	ds_load_b64 v[9:10], v11
	v_cmp_eq_u32_e64 s3, 0, v26
	s_wait_dscnt 0x0
	v_mov_b32_dpp v12, v9 row_shr:1 row_mask:0xf bank_mask:0xf
	v_mov_b32_dpp v25, v10 row_shr:1 row_mask:0xf bank_mask:0xf
	s_delay_alu instid0(VALU_DEP_2) | instskip(NEXT) | instid1(VALU_DEP_2)
	v_add_nc_u32_e32 v12, v12, v9
	v_add_nc_u32_e32 v25, v25, v10
	s_wait_alu 0xf1ff
	s_delay_alu instid0(VALU_DEP_2) | instskip(NEXT) | instid1(VALU_DEP_2)
	v_cndmask_b32_e64 v9, v12, v9, s3
	v_cndmask_b32_e64 v10, v25, v10, s3
	v_cmp_lt_u32_e64 s3, 1, v26
	s_delay_alu instid0(VALU_DEP_3) | instskip(NEXT) | instid1(VALU_DEP_3)
	v_mov_b32_dpp v12, v9 row_shr:2 row_mask:0xf bank_mask:0xf
	v_mov_b32_dpp v25, v10 row_shr:2 row_mask:0xf bank_mask:0xf
	s_delay_alu instid0(VALU_DEP_2) | instskip(NEXT) | instid1(VALU_DEP_2)
	v_add_nc_u32_e32 v12, v9, v12
	v_add_nc_u32_e32 v25, v10, v25
	s_wait_alu 0xf1ff
	s_delay_alu instid0(VALU_DEP_2) | instskip(NEXT) | instid1(VALU_DEP_2)
	v_cndmask_b32_e64 v9, v9, v12, s3
	v_cndmask_b32_e64 v10, v10, v25, s3
	v_cmp_lt_u32_e64 s3, 3, v26
	s_delay_alu instid0(VALU_DEP_3) | instskip(NEXT) | instid1(VALU_DEP_3)
	v_mov_b32_dpp v12, v9 row_shr:4 row_mask:0xf bank_mask:0xf
	v_mov_b32_dpp v25, v10 row_shr:4 row_mask:0xf bank_mask:0xf
	s_wait_alu 0xf1ff
	s_delay_alu instid0(VALU_DEP_2) | instskip(NEXT) | instid1(VALU_DEP_2)
	v_cndmask_b32_e64 v12, 0, v12, s3
	v_cndmask_b32_e64 v25, 0, v25, s3
	s_delay_alu instid0(VALU_DEP_2) | instskip(NEXT) | instid1(VALU_DEP_2)
	v_add_nc_u32_e32 v9, v12, v9
	v_add_nc_u32_e32 v10, v25, v10
	ds_store_b64 v11, v[9:10]
.LBB1186_119:
	s_wait_alu 0xfffe
	s_or_b32 exec_lo, exec_lo, s4
	v_dual_cndmask_b32 v5, v7, v5 :: v_dual_cndmask_b32 v6, v8, v6
	s_mov_b32 s4, exec_lo
	v_cmp_gt_u32_e32 vcc_lo, 32, v0
	s_wait_loadcnt_dscnt 0x0
	s_barrier_signal -1
	s_barrier_wait -1
	global_inv scope:SCOPE_SE
                                        ; implicit-def: $vgpr25
	v_cmpx_lt_u32_e32 31, v0
	s_cbranch_execz .LBB1186_121
; %bb.120:
	v_lshl_add_u32 v7, v80, 3, -8
	ds_load_b64 v[25:26], v7
	s_wait_dscnt 0x0
	v_add_nc_u32_e32 v5, v26, v5
	v_add_nc_u32_e32 v6, v25, v6
.LBB1186_121:
	s_wait_alu 0xfffe
	s_or_b32 exec_lo, exec_lo, s4
	v_sub_co_u32 v7, s3, v79, 1
	s_delay_alu instid0(VALU_DEP_1) | instskip(SKIP_1) | instid1(VALU_DEP_1)
	v_cmp_gt_i32_e64 s4, 0, v7
	s_wait_alu 0xf1ff
	v_cndmask_b32_e64 v7, v7, v79, s4
	s_delay_alu instid0(VALU_DEP_1)
	v_lshlrev_b32_e32 v7, 2, v7
	ds_bpermute_b32 v86, v7, v6
	ds_bpermute_b32 v87, v7, v5
	s_and_saveexec_b32 s4, vcc_lo
	s_cbranch_execz .LBB1186_140
; %bb.122:
	v_mov_b32_e32 v8, 0
	ds_load_b64 v[5:6], v8 offset:56
	s_and_saveexec_b32 s5, s3
	s_cbranch_execz .LBB1186_124
; %bb.123:
	s_add_co_i32 s6, s33, 32
	s_mov_b32 s7, 0
	s_wait_alu 0xfffe
	s_lshl_b64 s[6:7], s[6:7], 4
	s_wait_alu 0xfffe
	s_add_nc_u64 s[6:7], s[36:37], s[6:7]
	s_wait_alu 0xfffe
	v_dual_mov_b32 v7, 1 :: v_dual_mov_b32 v10, s7
	v_mov_b32_e32 v9, s6
	s_wait_dscnt 0x0
	;;#ASMSTART
	global_store_b128 v[9:10], v[5:8] off scope:SCOPE_DEV	
s_wait_storecnt 0x0
	;;#ASMEND
.LBB1186_124:
	s_wait_alu 0xfffe
	s_or_b32 exec_lo, exec_lo, s5
	v_xad_u32 v27, v79, -1, s33
	s_mov_b32 s6, 0
	s_mov_b32 s5, exec_lo
	s_delay_alu instid0(VALU_DEP_1) | instskip(NEXT) | instid1(VALU_DEP_1)
	v_add_nc_u32_e32 v7, 32, v27
	v_lshlrev_b64_e32 v[7:8], 4, v[7:8]
	s_delay_alu instid0(VALU_DEP_1) | instskip(SKIP_1) | instid1(VALU_DEP_2)
	v_add_co_u32 v7, vcc_lo, s36, v7
	s_wait_alu 0xfffd
	v_add_co_ci_u32_e64 v8, null, s37, v8, vcc_lo
	;;#ASMSTART
	global_load_b128 v[9:12], v[7:8] off scope:SCOPE_DEV	
s_wait_loadcnt 0x0
	;;#ASMEND
	v_and_b32_e32 v12, 0xff, v11
	s_delay_alu instid0(VALU_DEP_1)
	v_cmpx_eq_u16_e32 0, v12
	s_cbranch_execz .LBB1186_127
.LBB1186_125:                           ; =>This Inner Loop Header: Depth=1
	;;#ASMSTART
	global_load_b128 v[9:12], v[7:8] off scope:SCOPE_DEV	
s_wait_loadcnt 0x0
	;;#ASMEND
	v_and_b32_e32 v12, 0xff, v11
	s_delay_alu instid0(VALU_DEP_1)
	v_cmp_ne_u16_e32 vcc_lo, 0, v12
	s_wait_alu 0xfffe
	s_or_b32 s6, vcc_lo, s6
	s_wait_alu 0xfffe
	s_and_not1_b32 exec_lo, exec_lo, s6
	s_cbranch_execnz .LBB1186_125
; %bb.126:
	s_or_b32 exec_lo, exec_lo, s6
.LBB1186_127:
	s_wait_alu 0xfffe
	s_or_b32 exec_lo, exec_lo, s5
	v_cmp_ne_u32_e32 vcc_lo, 31, v79
	v_lshlrev_b32_e64 v89, v79, -1
	v_add_nc_u32_e32 v91, 2, v79
	v_add_nc_u32_e32 v93, 4, v79
	;; [unrolled: 1-line block ×3, first 2 shown]
	s_wait_alu 0xfffd
	v_add_co_ci_u32_e64 v7, null, 0, v79, vcc_lo
	v_lshl_or_b32 v96, v79, 2, 64
	v_add_nc_u32_e32 v97, 16, v79
	s_delay_alu instid0(VALU_DEP_3) | instskip(SKIP_4) | instid1(VALU_DEP_1)
	v_lshlrev_b32_e32 v88, 2, v7
	ds_bpermute_b32 v8, v88, v10
	s_wait_dscnt 0x0
	v_add_nc_u32_e32 v8, v8, v10
	v_and_b32_e32 v7, 0xff, v11
	v_cmp_eq_u16_e32 vcc_lo, 2, v7
	ds_bpermute_b32 v7, v88, v9
	s_wait_dscnt 0x0
	v_add_nc_u32_e32 v7, v7, v9
	s_wait_alu 0xfffd
	v_and_b32_e32 v12, vcc_lo, v89
	v_cmp_gt_u32_e32 vcc_lo, 30, v79
	s_delay_alu instid0(VALU_DEP_2) | instskip(SKIP_2) | instid1(VALU_DEP_2)
	v_or_b32_e32 v12, 0x80000000, v12
	s_wait_alu 0xfffd
	v_cndmask_b32_e64 v28, 0, 2, vcc_lo
	v_ctz_i32_b32_e32 v12, v12
	s_delay_alu instid0(VALU_DEP_2) | instskip(NEXT) | instid1(VALU_DEP_2)
	v_add_lshl_u32 v90, v28, v79, 2
	v_cmp_lt_u32_e32 vcc_lo, v79, v12
	s_wait_alu 0xfffd
	v_dual_cndmask_b32 v8, v10, v8 :: v_dual_cndmask_b32 v7, v9, v7
	v_cmp_gt_u32_e32 vcc_lo, 28, v79
	ds_bpermute_b32 v9, v90, v8
	ds_bpermute_b32 v10, v90, v7
	s_wait_alu 0xfffd
	v_cndmask_b32_e64 v28, 0, 4, vcc_lo
	v_cmp_gt_u32_e32 vcc_lo, v91, v12
	s_delay_alu instid0(VALU_DEP_2)
	v_add_lshl_u32 v92, v28, v79, 2
	s_wait_dscnt 0x1
	v_add_nc_u32_e32 v9, v8, v9
	s_wait_dscnt 0x0
	v_add_nc_u32_e32 v10, v7, v10
	s_wait_alu 0xfffd
	s_delay_alu instid0(VALU_DEP_1)
	v_dual_cndmask_b32 v8, v9, v8 :: v_dual_cndmask_b32 v7, v10, v7
	v_cmp_gt_u32_e32 vcc_lo, 24, v79
	ds_bpermute_b32 v9, v92, v8
	ds_bpermute_b32 v10, v92, v7
	s_wait_alu 0xfffd
	v_cndmask_b32_e64 v28, 0, 8, vcc_lo
	v_cmp_gt_u32_e32 vcc_lo, v93, v12
	s_delay_alu instid0(VALU_DEP_2)
	v_add_lshl_u32 v94, v28, v79, 2
	s_wait_dscnt 0x1
	v_dual_mov_b32 v28, 0 :: v_dual_add_nc_u32 v9, v8, v9
	s_wait_dscnt 0x0
	v_add_nc_u32_e32 v10, v7, v10
	s_wait_alu 0xfffd
	s_delay_alu instid0(VALU_DEP_1)
	v_dual_cndmask_b32 v8, v9, v8 :: v_dual_cndmask_b32 v7, v10, v7
	v_cmp_gt_u32_e32 vcc_lo, v95, v12
	ds_bpermute_b32 v9, v94, v8
	ds_bpermute_b32 v10, v94, v7
	s_wait_dscnt 0x1
	v_add_nc_u32_e32 v9, v8, v9
	s_wait_dscnt 0x0
	v_add_nc_u32_e32 v10, v7, v10
	s_wait_alu 0xfffd
	s_delay_alu instid0(VALU_DEP_1)
	v_dual_cndmask_b32 v8, v9, v8 :: v_dual_cndmask_b32 v7, v10, v7
	v_cmp_le_u32_e32 vcc_lo, v97, v12
	ds_bpermute_b32 v10, v96, v8
	ds_bpermute_b32 v9, v96, v7
	s_wait_dscnt 0x0
	s_wait_alu 0xfffd
	v_dual_cndmask_b32 v10, 0, v10 :: v_dual_cndmask_b32 v9, 0, v9
	s_delay_alu instid0(VALU_DEP_1) | instskip(NEXT) | instid1(VALU_DEP_2)
	v_add_nc_u32_e32 v10, v10, v8
	v_add_nc_u32_e32 v9, v9, v7
	s_branch .LBB1186_131
.LBB1186_128:                           ;   in Loop: Header=BB1186_131 Depth=1
	s_or_b32 exec_lo, exec_lo, s6
.LBB1186_129:                           ;   in Loop: Header=BB1186_131 Depth=1
	s_wait_alu 0xfffe
	s_or_b32 exec_lo, exec_lo, s5
	ds_bpermute_b32 v12, v88, v9
	ds_bpermute_b32 v29, v88, v10
	v_subrev_nc_u32_e32 v27, 32, v27
	s_mov_b32 s5, 0
	s_wait_dscnt 0x1
	v_add_nc_u32_e32 v12, v12, v9
	v_and_b32_e32 v30, 0xff, v11
	s_wait_dscnt 0x0
	v_add_nc_u32_e32 v29, v29, v10
	s_delay_alu instid0(VALU_DEP_2) | instskip(SKIP_2) | instid1(VALU_DEP_1)
	v_cmp_eq_u16_e32 vcc_lo, 2, v30
	s_wait_alu 0xfffd
	v_and_or_b32 v30, vcc_lo, v89, 0x80000000
	v_ctz_i32_b32_e32 v30, v30
	s_delay_alu instid0(VALU_DEP_1)
	v_cmp_lt_u32_e32 vcc_lo, v79, v30
	s_wait_alu 0xfffd
	v_dual_cndmask_b32 v10, v10, v29 :: v_dual_cndmask_b32 v9, v9, v12
	v_cmp_gt_u32_e32 vcc_lo, v91, v30
	ds_bpermute_b32 v29, v90, v10
	ds_bpermute_b32 v12, v90, v9
	s_wait_dscnt 0x1
	v_add_nc_u32_e32 v29, v10, v29
	s_wait_dscnt 0x0
	v_add_nc_u32_e32 v12, v9, v12
	s_wait_alu 0xfffd
	s_delay_alu instid0(VALU_DEP_1)
	v_dual_cndmask_b32 v10, v29, v10 :: v_dual_cndmask_b32 v9, v12, v9
	v_cmp_gt_u32_e32 vcc_lo, v93, v30
	ds_bpermute_b32 v29, v92, v10
	ds_bpermute_b32 v12, v92, v9
	s_wait_dscnt 0x1
	v_add_nc_u32_e32 v29, v10, v29
	s_wait_dscnt 0x0
	v_add_nc_u32_e32 v12, v9, v12
	s_wait_alu 0xfffd
	s_delay_alu instid0(VALU_DEP_1)
	;; [unrolled: 10-line block ×3, first 2 shown]
	v_dual_cndmask_b32 v10, v29, v10 :: v_dual_cndmask_b32 v9, v12, v9
	v_cmp_le_u32_e32 vcc_lo, v97, v30
	ds_bpermute_b32 v29, v96, v10
	ds_bpermute_b32 v12, v96, v9
	s_wait_dscnt 0x0
	s_wait_alu 0xfffd
	v_dual_cndmask_b32 v29, 0, v29 :: v_dual_cndmask_b32 v12, 0, v12
	s_delay_alu instid0(VALU_DEP_1) | instskip(NEXT) | instid1(VALU_DEP_2)
	v_add3_u32 v10, v10, v8, v29
	v_add3_u32 v9, v9, v7, v12
.LBB1186_130:                           ;   in Loop: Header=BB1186_131 Depth=1
	s_wait_alu 0xfffe
	s_and_b32 vcc_lo, exec_lo, s5
	s_wait_alu 0xfffe
	s_cbranch_vccnz .LBB1186_136
.LBB1186_131:                           ; =>This Loop Header: Depth=1
                                        ;     Child Loop BB1186_134 Depth 2
	v_and_b32_e32 v7, 0xff, v11
	s_mov_b32 s5, -1
                                        ; implicit-def: $vgpr11
	s_delay_alu instid0(VALU_DEP_1)
	v_cmp_ne_u16_e32 vcc_lo, 2, v7
	v_dual_mov_b32 v7, v9 :: v_dual_mov_b32 v8, v10
                                        ; implicit-def: $vgpr9_vgpr10
	s_cmp_lg_u32 vcc_lo, exec_lo
	s_cbranch_scc1 .LBB1186_130
; %bb.132:                              ;   in Loop: Header=BB1186_131 Depth=1
	v_lshlrev_b64_e32 v[9:10], 4, v[27:28]
	s_mov_b32 s5, exec_lo
	s_delay_alu instid0(VALU_DEP_1) | instskip(SKIP_1) | instid1(VALU_DEP_2)
	v_add_co_u32 v29, vcc_lo, s36, v9
	s_wait_alu 0xfffd
	v_add_co_ci_u32_e64 v30, null, s37, v10, vcc_lo
	;;#ASMSTART
	global_load_b128 v[9:12], v[29:30] off scope:SCOPE_DEV	
s_wait_loadcnt 0x0
	;;#ASMEND
	v_and_b32_e32 v12, 0xff, v11
	s_delay_alu instid0(VALU_DEP_1)
	v_cmpx_eq_u16_e32 0, v12
	s_cbranch_execz .LBB1186_129
; %bb.133:                              ;   in Loop: Header=BB1186_131 Depth=1
	s_mov_b32 s6, 0
.LBB1186_134:                           ;   Parent Loop BB1186_131 Depth=1
                                        ; =>  This Inner Loop Header: Depth=2
	;;#ASMSTART
	global_load_b128 v[9:12], v[29:30] off scope:SCOPE_DEV	
s_wait_loadcnt 0x0
	;;#ASMEND
	v_and_b32_e32 v12, 0xff, v11
	s_delay_alu instid0(VALU_DEP_1)
	v_cmp_ne_u16_e32 vcc_lo, 0, v12
	s_wait_alu 0xfffe
	s_or_b32 s6, vcc_lo, s6
	s_wait_alu 0xfffe
	s_and_not1_b32 exec_lo, exec_lo, s6
	s_cbranch_execnz .LBB1186_134
	s_branch .LBB1186_128
.LBB1186_135:
                                        ; implicit-def: $vgpr29
                                        ; implicit-def: $vgpr7
                                        ; implicit-def: $vgpr86
	s_wait_alu 0xfffe
	s_and_b32 vcc_lo, exec_lo, s4
	s_wait_alu 0xfffe
	s_cbranch_vccnz .LBB1186_141
	s_branch .LBB1186_150
.LBB1186_136:
	s_and_saveexec_b32 s5, s3
	s_cbranch_execnz .LBB1186_378
; %bb.137:
	s_wait_alu 0xfffe
	s_or_b32 exec_lo, exec_lo, s5
	s_and_saveexec_b32 s5, s3
	s_cbranch_execnz .LBB1186_379
.LBB1186_138:
	s_wait_alu 0xfffe
	s_or_b32 exec_lo, exec_lo, s5
	s_delay_alu instid0(SALU_CYCLE_1)
	s_and_b32 exec_lo, exec_lo, s2
.LBB1186_139:
	v_mov_b32_e32 v5, 0
	ds_store_b64 v5, v[7:8] offset:56
.LBB1186_140:
	s_wait_alu 0xfffe
	s_or_b32 exec_lo, exec_lo, s4
	s_wait_dscnt 0x1
	v_cndmask_b32_e64 v12, v86, v25, s3
	v_mov_b32_e32 v5, 0
	s_wait_loadcnt_dscnt 0x0
	s_barrier_signal -1
	s_barrier_wait -1
	global_inv scope:SCOPE_SE
	ds_load_b64 v[9:10], v5 offset:56
	s_wait_loadcnt_dscnt 0x0
	s_barrier_signal -1
	s_barrier_wait -1
	global_inv scope:SCOPE_SE
	v_cndmask_b32_e64 v11, v87, v26, s3
	v_add_nc_u32_e32 v12, v9, v12
	ds_load_b128 v[5:8], v5 offset:13312
	v_add_nc_u32_e32 v11, v10, v11
	v_cndmask_b32_e64 v86, v12, v9, s2
	s_delay_alu instid0(VALU_DEP_2)
	v_cndmask_b32_e64 v29, v11, v10, s2
	s_branch .LBB1186_150
.LBB1186_141:
	s_wait_dscnt 0x0
	v_mov_b32_dpp v5, v84 row_shr:1 row_mask:0xf bank_mask:0xf
	v_cmp_lt_u32_e32 vcc_lo, 3, v81
	v_mov_b32_dpp v6, v85 row_shr:1 row_mask:0xf bank_mask:0xf
	s_delay_alu instid0(VALU_DEP_3) | instskip(NEXT) | instid1(VALU_DEP_1)
	v_add_nc_u32_e32 v5, v5, v84
	v_cndmask_b32_e64 v5, v5, v84, s1
	s_delay_alu instid0(VALU_DEP_1) | instskip(NEXT) | instid1(VALU_DEP_1)
	v_mov_b32_dpp v7, v5 row_shr:2 row_mask:0xf bank_mask:0xf
	v_add_nc_u32_e32 v7, v5, v7
	s_delay_alu instid0(VALU_DEP_1) | instskip(NEXT) | instid1(VALU_DEP_1)
	v_cndmask_b32_e64 v5, v5, v7, s0
	v_mov_b32_dpp v7, v5 row_shr:4 row_mask:0xf bank_mask:0xf
	s_delay_alu instid0(VALU_DEP_1) | instskip(SKIP_1) | instid1(VALU_DEP_1)
	v_add_nc_u32_e32 v7, v5, v7
	s_wait_alu 0xfffd
	v_dual_cndmask_b32 v7, v5, v7 :: v_dual_add_nc_u32 v6, v6, v85
	s_delay_alu instid0(VALU_DEP_1) | instskip(SKIP_1) | instid1(VALU_DEP_2)
	v_cndmask_b32_e64 v6, v6, v85, s1
	s_mov_b32 s1, exec_lo
	v_mov_b32_dpp v5, v7 row_shr:8 row_mask:0xf bank_mask:0xf
	s_delay_alu instid0(VALU_DEP_2) | instskip(NEXT) | instid1(VALU_DEP_2)
	v_mov_b32_dpp v8, v6 row_shr:2 row_mask:0xf bank_mask:0xf
	v_add_nc_u32_e32 v9, v7, v5
	s_delay_alu instid0(VALU_DEP_2) | instskip(NEXT) | instid1(VALU_DEP_1)
	v_add_nc_u32_e32 v8, v6, v8
	v_cndmask_b32_e64 v6, v6, v8, s0
	s_delay_alu instid0(VALU_DEP_1) | instskip(NEXT) | instid1(VALU_DEP_1)
	v_mov_b32_dpp v8, v6 row_shr:4 row_mask:0xf bank_mask:0xf
	v_add_nc_u32_e32 v8, v6, v8
	s_delay_alu instid0(VALU_DEP_1) | instskip(SKIP_1) | instid1(VALU_DEP_2)
	v_cndmask_b32_e32 v6, v6, v8, vcc_lo
	v_cmp_lt_u32_e32 vcc_lo, 7, v81
	v_mov_b32_dpp v8, v6 row_shr:8 row_mask:0xf bank_mask:0xf
	s_delay_alu instid0(VALU_DEP_1) | instskip(SKIP_1) | instid1(VALU_DEP_1)
	v_add_nc_u32_e32 v5, v6, v8
	s_wait_alu 0xfffd
	v_cndmask_b32_e32 v5, v6, v5, vcc_lo
	v_cndmask_b32_e32 v6, v7, v9, vcc_lo
	v_cmp_eq_u32_e32 vcc_lo, 0, v83
	ds_swizzle_b32 v7, v5 offset:swizzle(BROADCAST,32,15)
	ds_swizzle_b32 v8, v6 offset:swizzle(BROADCAST,32,15)
	s_wait_dscnt 0x1
	v_add_nc_u32_e32 v7, v5, v7
	s_wait_dscnt 0x0
	v_add_nc_u32_e32 v8, v6, v8
	v_cmpx_eq_u32_e64 v0, v82
; %bb.142:
	s_wait_alu 0xfffd
	s_delay_alu instid0(VALU_DEP_2)
	v_dual_cndmask_b32 v9, v8, v6 :: v_dual_cndmask_b32 v10, v7, v5
	v_lshlrev_b32_e32 v11, 3, v80
	ds_store_b64 v11, v[9:10]
; %bb.143:
	s_wait_alu 0xfffe
	s_or_b32 exec_lo, exec_lo, s1
	s_delay_alu instid0(SALU_CYCLE_1)
	s_mov_b32 s1, exec_lo
	s_wait_loadcnt_dscnt 0x0
	s_barrier_signal -1
	s_barrier_wait -1
	global_inv scope:SCOPE_SE
	v_cmpx_gt_u32_e32 8, v0
	s_cbranch_execz .LBB1186_145
; %bb.144:
	v_lshlrev_b32_e32 v11, 3, v0
	v_and_b32_e32 v26, 7, v79
	ds_load_b64 v[9:10], v11
	v_cmp_eq_u32_e64 s0, 0, v26
	s_wait_dscnt 0x0
	v_mov_b32_dpp v12, v9 row_shr:1 row_mask:0xf bank_mask:0xf
	v_mov_b32_dpp v25, v10 row_shr:1 row_mask:0xf bank_mask:0xf
	s_delay_alu instid0(VALU_DEP_2) | instskip(NEXT) | instid1(VALU_DEP_2)
	v_add_nc_u32_e32 v12, v12, v9
	v_add_nc_u32_e32 v25, v25, v10
	s_wait_alu 0xf1ff
	s_delay_alu instid0(VALU_DEP_2) | instskip(NEXT) | instid1(VALU_DEP_2)
	v_cndmask_b32_e64 v9, v12, v9, s0
	v_cndmask_b32_e64 v10, v25, v10, s0
	v_cmp_lt_u32_e64 s0, 1, v26
	s_delay_alu instid0(VALU_DEP_3) | instskip(NEXT) | instid1(VALU_DEP_3)
	v_mov_b32_dpp v12, v9 row_shr:2 row_mask:0xf bank_mask:0xf
	v_mov_b32_dpp v25, v10 row_shr:2 row_mask:0xf bank_mask:0xf
	s_delay_alu instid0(VALU_DEP_2) | instskip(NEXT) | instid1(VALU_DEP_2)
	v_add_nc_u32_e32 v12, v9, v12
	v_add_nc_u32_e32 v25, v10, v25
	s_wait_alu 0xf1ff
	s_delay_alu instid0(VALU_DEP_2) | instskip(NEXT) | instid1(VALU_DEP_2)
	v_cndmask_b32_e64 v9, v9, v12, s0
	v_cndmask_b32_e64 v10, v10, v25, s0
	v_cmp_lt_u32_e64 s0, 3, v26
	s_delay_alu instid0(VALU_DEP_3) | instskip(NEXT) | instid1(VALU_DEP_3)
	v_mov_b32_dpp v12, v9 row_shr:4 row_mask:0xf bank_mask:0xf
	v_mov_b32_dpp v25, v10 row_shr:4 row_mask:0xf bank_mask:0xf
	s_wait_alu 0xf1ff
	s_delay_alu instid0(VALU_DEP_2) | instskip(NEXT) | instid1(VALU_DEP_2)
	v_cndmask_b32_e64 v12, 0, v12, s0
	v_cndmask_b32_e64 v25, 0, v25, s0
	s_delay_alu instid0(VALU_DEP_2) | instskip(NEXT) | instid1(VALU_DEP_2)
	v_add_nc_u32_e32 v9, v12, v9
	v_add_nc_u32_e32 v10, v25, v10
	ds_store_b64 v11, v[9:10]
.LBB1186_145:
	s_wait_alu 0xfffe
	s_or_b32 exec_lo, exec_lo, s1
	v_dual_mov_b32 v11, 0 :: v_dual_mov_b32 v10, 0
	v_mov_b32_e32 v9, 0
	s_mov_b32 s1, exec_lo
	s_wait_loadcnt_dscnt 0x0
	s_barrier_signal -1
	s_barrier_wait -1
	global_inv scope:SCOPE_SE
	v_cmpx_lt_u32_e32 31, v0
; %bb.146:
	v_lshl_add_u32 v9, v80, 3, -8
	ds_load_b64 v[9:10], v9
; %bb.147:
	s_wait_alu 0xfffe
	s_or_b32 exec_lo, exec_lo, s1
	v_sub_co_u32 v12, s0, v79, 1
	v_dual_cndmask_b32 v6, v8, v6 :: v_dual_cndmask_b32 v5, v7, v5
	s_delay_alu instid0(VALU_DEP_2) | instskip(SKIP_1) | instid1(VALU_DEP_2)
	v_cmp_gt_i32_e64 s1, 0, v12
	s_wait_dscnt 0x0
	v_add_nc_u32_e32 v6, v9, v6
	s_delay_alu instid0(VALU_DEP_3) | instskip(SKIP_2) | instid1(VALU_DEP_1)
	v_add_nc_u32_e32 v5, v10, v5
	s_wait_alu 0xf1ff
	v_cndmask_b32_e64 v8, v12, v79, s1
	v_lshlrev_b32_e32 v7, 2, v8
	ds_bpermute_b32 v12, v7, v6
	ds_bpermute_b32 v25, v7, v5
	ds_load_b64 v[5:6], v11 offset:56
	s_and_saveexec_b32 s1, s2
	s_cbranch_execz .LBB1186_149
; %bb.148:
	s_add_nc_u64 s[4:5], s[36:37], 0x200
	v_dual_mov_b32 v7, 2 :: v_dual_mov_b32 v8, 0
	s_wait_alu 0xfffe
	v_dual_mov_b32 v27, s5 :: v_dual_mov_b32 v26, s4
	s_wait_dscnt 0x0
	;;#ASMSTART
	global_store_b128 v[26:27], v[5:8] off scope:SCOPE_DEV	
s_wait_storecnt 0x0
	;;#ASMEND
.LBB1186_149:
	s_wait_alu 0xfffe
	s_or_b32 exec_lo, exec_lo, s1
	s_wait_dscnt 0x1
	v_cndmask_b32_e64 v7, v25, v10, s0
	v_cndmask_b32_e64 v9, v12, v9, s0
	v_mov_b32_e32 v8, 0
	s_wait_loadcnt_dscnt 0x0
	s_barrier_signal -1
	v_cndmask_b32_e64 v29, v7, 0, s2
	v_cndmask_b32_e64 v86, v9, 0, s2
	v_mov_b32_e32 v7, 0
	s_barrier_wait -1
	global_inv scope:SCOPE_SE
.LBB1186_150:
	v_lshrrev_b32_e32 v81, 8, v54
	s_wait_dscnt 0x0
	v_add_co_u32 v1, vcc_lo, v1, v7
	s_wait_alu 0xfffd
	v_add_co_ci_u32_e64 v2, null, 0, v2, vcc_lo
	v_and_b32_e32 v81, 1, v81
	v_sub_co_u32 v84, vcc_lo, v3, v5
	s_wait_alu 0xfffd
	v_subrev_co_ci_u32_e64 v85, null, 0, v4, vcc_lo
	s_delay_alu instid0(VALU_DEP_3)
	v_cmp_eq_u32_e32 vcc_lo, 1, v81
	v_add_nc_u32_e32 v78, v29, v78
	v_sub_nc_u32_e32 v29, v29, v8
	v_lshlrev_b32_e32 v87, 1, v5
	v_lshrrev_b32_e32 v79, 16, v54
	v_lshrrev_b32_e32 v80, 8, v47
	v_add_nc_u32_e32 v75, v78, v75
	v_sub_nc_u32_e32 v78, v78, v8
	v_add_nc_u32_e32 v29, v29, v5
	v_add3_u32 v90, v87, v6, v46
	v_and_b32_e32 v79, 1, v79
	v_lshrrev_b32_e32 v30, 16, v47
	v_add_nc_u32_e32 v78, v78, v5
	v_add_nc_u32_e32 v77, v86, v77
	v_sub_nc_u32_e32 v86, v86, v7
	v_and_b32_e32 v47, 1, v47
	v_and_b32_e32 v80, 1, v80
	;; [unrolled: 1-line block ×3, first 2 shown]
	v_add_nc_u32_e32 v74, v77, v74
	v_sub_nc_u32_e32 v77, v77, v7
	v_add_nc_u32_e32 v46, v86, v29
	v_lshrrev_b32_e32 v28, 8, v48
	v_lshrrev_b32_e32 v27, 16, v48
	v_and_b32_e32 v48, 1, v48
	v_add_nc_u32_e32 v91, v78, v77
	v_sub_nc_u32_e32 v46, v90, v46
	v_and_b32_e32 v28, 1, v28
	v_lshrrev_b32_e32 v25, 16, v49
	v_lshrrev_b32_e32 v26, 8, v49
	v_sub_nc_u32_e32 v91, v90, v91
	s_wait_alu 0xfffd
	v_cndmask_b32_e32 v29, v46, v29, vcc_lo
	v_cmp_eq_u32_e32 vcc_lo, 1, v79
	v_lshrrev_b32_e32 v12, 8, v51
	v_and_b32_e32 v26, 1, v26
	v_add_nc_u32_e32 v91, 1, v91
	v_lshrrev_b32_e32 v10, 16, v51
	v_lshrrev_b32_e32 v11, 8, v52
	v_and_b32_e32 v12, 1, v12
	v_lshrrev_b32_e32 v9, 16, v52
	s_wait_alu 0xfffd
	v_cndmask_b32_e32 v46, v91, v78, vcc_lo
	v_cmp_eq_u32_e32 vcc_lo, 1, v47
	v_add_nc_u32_e32 v82, v75, v60
	v_sub_nc_u32_e32 v75, v75, v8
	v_and_b32_e32 v60, 1, v60
	v_and_b32_e32 v10, 1, v10
	s_wait_alu 0xfffd
	v_cndmask_b32_e32 v29, v29, v86, vcc_lo
	v_cmp_eq_u32_e32 vcc_lo, 1, v80
	v_add_nc_u32_e32 v75, v75, v5
	v_sub_nc_u32_e32 v80, v82, v8
	v_and_b32_e32 v11, 1, v11
	v_lshlrev_b32_e32 v29, 2, v29
	s_wait_alu 0xfffd
	v_cndmask_b32_e32 v77, v46, v77, vcc_lo
	v_add_nc_u32_e32 v76, v74, v76
	v_sub_nc_u32_e32 v74, v74, v7
	v_add_co_u32 v46, vcc_lo, v84, v8
	s_wait_alu 0xfffd
	v_add_co_ci_u32_e64 v47, null, 0, v85, vcc_lo
	s_delay_alu instid0(VALU_DEP_3)
	v_add_nc_u32_e32 v79, v75, v74
	v_cmp_eq_u32_e32 vcc_lo, 1, v60
	v_add_nc_u32_e32 v83, v76, v59
	v_lshlrev_b32_e32 v77, 2, v77
	ds_store_b32 v29, v23
	ds_store_b32 v77, v24
	v_sub_nc_u32_e32 v79, v90, v79
	v_and_b32_e32 v9, 1, v9
	s_delay_alu instid0(VALU_DEP_2) | instskip(SKIP_1) | instid1(VALU_DEP_1)
	v_add_nc_u32_e32 v79, 2, v79
	s_wait_alu 0xfffd
	v_dual_cndmask_b32 v60, v79, v75 :: v_dual_add_nc_u32 v73, v82, v73
	s_delay_alu instid0(VALU_DEP_1)
	v_add_nc_u32_e32 v72, v73, v72
	v_sub_nc_u32_e32 v75, v76, v7
	v_sub_nc_u32_e32 v73, v73, v8
	v_add_nc_u32_e32 v76, v80, v5
	v_cmp_eq_u32_e32 vcc_lo, 1, v30
	s_wait_alu 0xfffd
	s_delay_alu instid0(VALU_DEP_3)
	v_dual_cndmask_b32 v30, v60, v74 :: v_dual_add_nc_u32 v73, v73, v5
	v_sub_nc_u32_e32 v60, v83, v7
	v_add_nc_u32_e32 v74, v75, v76
	v_cmp_eq_u32_e32 vcc_lo, 1, v48
	v_and_b32_e32 v48, 1, v49
	v_lshlrev_b32_e32 v23, 2, v30
	v_add_nc_u32_e32 v24, v60, v73
	v_sub_nc_u32_e32 v29, v90, v74
	v_and_b32_e32 v30, 1, v59
	v_sub_nc_u32_e32 v59, v72, v8
	ds_store_b32 v23, v21
	v_sub_nc_u32_e32 v24, v90, v24
	v_add_nc_u32_e32 v29, 3, v29
	v_and_b32_e32 v23, 1, v27
	v_add_nc_u32_e32 v59, v59, v5
	s_delay_alu instid0(VALU_DEP_4)
	v_add_nc_u32_e32 v24, 4, v24
	s_wait_alu 0xfffd
	v_cndmask_b32_e32 v29, v29, v76, vcc_lo
	v_cmp_eq_u32_e32 vcc_lo, 1, v28
	s_wait_alu 0xfffd
	v_dual_cndmask_b32 v24, v24, v73 :: v_dual_add_nc_u32 v71, v83, v71
	s_delay_alu instid0(VALU_DEP_1) | instskip(SKIP_2) | instid1(VALU_DEP_3)
	v_add_nc_u32_e32 v69, v71, v69
	v_sub_nc_u32_e32 v71, v71, v7
	v_cmp_eq_u32_e32 vcc_lo, 1, v30
	v_add_nc_u32_e32 v65, v69, v65
	s_delay_alu instid0(VALU_DEP_3)
	v_add_nc_u32_e32 v49, v71, v59
	s_wait_alu 0xfffd
	v_cndmask_b32_e32 v28, v29, v75, vcc_lo
	v_cmp_eq_u32_e32 vcc_lo, 1, v48
	v_add_nc_u32_e32 v89, v65, v57
	v_sub_nc_u32_e32 v29, v90, v49
	s_delay_alu instid0(VALU_DEP_4)
	v_lshlrev_b32_e32 v21, 2, v28
	s_wait_alu 0xfffd
	v_cndmask_b32_e32 v24, v24, v60, vcc_lo
	v_cmp_eq_u32_e32 vcc_lo, 1, v23
	v_sub_nc_u32_e32 v48, v89, v7
	v_add_nc_u32_e32 v27, 5, v29
	v_add_nc_u32_e32 v66, v89, v66
	v_lshlrev_b32_e32 v24, 2, v24
	ds_store_b32 v21, v22
	ds_store_b32 v24, v19
	s_wait_alu 0xfffd
	v_cndmask_b32_e32 v23, v27, v59, vcc_lo
	v_cmp_eq_u32_e32 vcc_lo, 1, v26
	v_sub_nc_u32_e32 v27, v69, v7
	v_sub_nc_u32_e32 v26, v65, v7
	v_and_b32_e32 v24, 1, v58
	v_add_nc_u32_e32 v63, v66, v63
	s_wait_alu 0xfffd
	v_dual_cndmask_b32 v23, v23, v71 :: v_dual_add_nc_u32 v70, v72, v70
	s_delay_alu instid0(VALU_DEP_3) | instskip(SKIP_1) | instid1(VALU_DEP_3)
	v_cmp_eq_u32_e32 vcc_lo, 1, v24
	v_and_b32_e32 v24, 1, v57
	v_lshlrev_b32_e32 v19, 2, v23
	s_delay_alu instid0(VALU_DEP_4) | instskip(SKIP_3) | instid1(VALU_DEP_4)
	v_add_nc_u32_e32 v88, v70, v58
	v_sub_nc_u32_e32 v28, v70, v8
	v_and_b32_e32 v23, 1, v25
	v_add_nc_u32_e32 v62, v63, v62
	v_sub_nc_u32_e32 v29, v88, v8
	s_delay_alu instid0(VALU_DEP_4) | instskip(SKIP_1) | instid1(VALU_DEP_4)
	v_add_nc_u32_e32 v28, v28, v5
	v_add_nc_u32_e32 v68, v88, v68
	;; [unrolled: 1-line block ×3, first 2 shown]
	s_delay_alu instid0(VALU_DEP_4) | instskip(NEXT) | instid1(VALU_DEP_4)
	v_add_nc_u32_e32 v29, v29, v5
	v_add_nc_u32_e32 v30, v27, v28
	s_delay_alu instid0(VALU_DEP_4) | instskip(SKIP_1) | instid1(VALU_DEP_4)
	v_sub_nc_u32_e32 v25, v68, v8
	v_add_nc_u32_e32 v67, v68, v67
	v_add_nc_u32_e32 v21, v26, v29
	s_delay_alu instid0(VALU_DEP_4)
	v_sub_nc_u32_e32 v22, v90, v30
	v_and_b32_e32 v30, 1, v51
	v_add_nc_u32_e32 v25, v25, v5
	v_add_nc_u32_e32 v64, v67, v64
	v_sub_nc_u32_e32 v21, v90, v21
	v_add_nc_u32_e32 v22, 6, v22
	s_delay_alu instid0(VALU_DEP_3) | instskip(SKIP_1) | instid1(VALU_DEP_2)
	v_add_nc_u32_e32 v92, v64, v56
	s_wait_alu 0xfffd
	v_dual_cndmask_b32 v22, v22, v28 :: v_dual_add_nc_u32 v21, 7, v21
	v_cmp_eq_u32_e32 vcc_lo, 1, v30
	v_add_nc_u32_e32 v28, v48, v25
	v_add_nc_u32_e32 v61, v92, v61
	s_wait_alu 0xfffd
	v_cndmask_b32_e32 v21, v21, v29, vcc_lo
	v_cmp_eq_u32_e32 vcc_lo, 1, v23
	v_sub_nc_u32_e32 v23, v90, v28
	s_wait_alu 0xfffd
	v_cndmask_b32_e32 v22, v22, v27, vcc_lo
	v_cmp_eq_u32_e32 vcc_lo, 1, v24
	v_sub_nc_u32_e32 v24, v67, v8
	v_add_nc_u32_e32 v23, 8, v23
	v_sub_nc_u32_e32 v27, v66, v7
	v_lshlrev_b32_e32 v22, 2, v22
	s_wait_alu 0xfffd
	v_dual_cndmask_b32 v21, v21, v26 :: v_dual_add_nc_u32 v24, v24, v5
	v_cmp_eq_u32_e32 vcc_lo, 1, v12
	v_and_b32_e32 v26, 1, v52
	s_delay_alu instid0(VALU_DEP_3)
	v_lshlrev_b32_e32 v21, 2, v21
	ds_store_b32 v19, v20
	ds_store_b32 v22, v17
	;; [unrolled: 1-line block ×3, first 2 shown]
	s_wait_alu 0xfffd
	v_cndmask_b32_e32 v12, v23, v25, vcc_lo
	v_add_nc_u32_e32 v23, v27, v24
	v_cmp_eq_u32_e32 vcc_lo, 1, v26
	v_sub_nc_u32_e32 v18, v64, v8
	v_sub_nc_u32_e32 v19, v63, v7
	;; [unrolled: 1-line block ×4, first 2 shown]
	s_wait_alu 0xfffd
	v_cndmask_b32_e32 v12, v12, v48, vcc_lo
	v_add_nc_u32_e32 v18, v18, v5
	v_cmp_eq_u32_e32 vcc_lo, 1, v10
	v_add_nc_u32_e32 v20, v20, v5
	v_add_nc_u32_e32 v17, 9, v17
	v_lshlrev_b32_e32 v12, 2, v12
	v_add_nc_u32_e32 v21, v19, v18
	v_and_b32_e32 v22, 1, v50
	s_wait_alu 0xfffd
	v_cndmask_b32_e32 v10, v17, v24, vcc_lo
	v_sub_nc_u32_e32 v17, v62, v7
	ds_store_b32 v12, v15
	v_cmp_eq_u32_e32 vcc_lo, 1, v11
	v_sub_nc_u32_e32 v12, v90, v21
	v_and_b32_e32 v15, 1, v56
	v_add_nc_u32_e32 v11, v17, v20
	v_sub_nc_u32_e32 v21, v61, v8
	s_wait_alu 0xfffd
	v_cndmask_b32_e32 v10, v10, v27, vcc_lo
	v_add_nc_u32_e32 v12, 10, v12
	v_cmp_eq_u32_e32 vcc_lo, 1, v15
	v_sub_nc_u32_e32 v11, v90, v11
	v_sub_nc_u32_e32 v7, v78, v7
	v_add_nc_u32_e32 v21, v21, v5
	s_wait_alu 0xfffd
	v_dual_cndmask_b32 v12, v12, v18 :: v_dual_and_b32 v15, 1, v55
	v_add_nc_u32_e32 v11, 11, v11
	v_cmp_eq_u32_e32 vcc_lo, 1, v22
	v_add_nc_u32_e32 v18, v7, v21
	s_wait_alu 0xfffd
	s_delay_alu instid0(VALU_DEP_3)
	v_dual_cndmask_b32 v11, v11, v20 :: v_dual_lshlrev_b32 v10, 2, v10
	v_cmp_eq_u32_e32 vcc_lo, 1, v9
	s_wait_alu 0xfffd
	v_cndmask_b32_e32 v9, v12, v19, vcc_lo
	v_cmp_eq_u32_e32 vcc_lo, 1, v15
	v_sub_nc_u32_e32 v12, v90, v18
	v_and_b32_e32 v15, 1, v53
	s_delay_alu instid0(VALU_DEP_4) | instskip(SKIP_1) | instid1(VALU_DEP_3)
	v_lshlrev_b32_e32 v9, 2, v9
	s_wait_alu 0xfffd
	v_dual_cndmask_b32 v11, v11, v17 :: v_dual_add_nc_u32 v12, 12, v12
	v_and_b32_e32 v17, 1, v54
	v_cmp_eq_u32_e32 vcc_lo, 1, v15
	s_delay_alu instid0(VALU_DEP_3)
	v_lshlrev_b32_e32 v11, 2, v11
	ds_store_b32 v10, v16
	ds_store_b32 v9, v13
	;; [unrolled: 1-line block ×3, first 2 shown]
	s_wait_alu 0xfffd
	v_cndmask_b32_e32 v12, v12, v21, vcc_lo
	v_cmp_eq_u32_e32 vcc_lo, 1, v17
	v_add_co_u32 v9, s0, v6, v87
	s_wait_alu 0xf1ff
	v_add_co_ci_u32_e64 v10, null, 0, 0, s0
	s_wait_alu 0xfffd
	v_cndmask_b32_e32 v7, v12, v7, vcc_lo
	v_add_co_u32 v9, vcc_lo, v9, v46
	s_wait_alu 0xfffd
	v_add_co_ci_u32_e64 v10, null, v10, v47, vcc_lo
	s_delay_alu instid0(VALU_DEP_3)
	v_lshlrev_b32_e32 v7, 2, v7
	v_add_co_u32 v11, s0, s34, v43
	v_add_co_u32 v9, vcc_lo, v9, v1
	s_wait_alu 0xf1ff
	v_add_co_ci_u32_e64 v12, null, s35, 0, s0
	s_wait_alu 0xfffd
	v_add_co_ci_u32_e64 v10, null, v10, v2, vcc_lo
	ds_store_b32 v7, v45
	v_sub_co_u32 v7, vcc_lo, v11, v9
	s_wait_alu 0xfffd
	v_sub_co_ci_u32_e64 v13, null, v12, v10, vcc_lo
	v_lshlrev_b64_e32 v[9:10], 2, v[46:47]
	v_lshlrev_b64_e32 v[11:12], 2, v[1:2]
	v_add_nc_u32_e32 v14, v5, v6
	s_wait_loadcnt_dscnt 0x0
	s_barrier_signal -1
	s_barrier_wait -1
	v_add_co_u32 v9, vcc_lo, s30, v9
	s_wait_alu 0xfffd
	v_add_co_ci_u32_e64 v10, null, s31, v10, vcc_lo
	v_cmp_ne_u32_e32 vcc_lo, 1, v44
	v_add_co_u32 v11, s0, s28, v11
	s_wait_alu 0xf1ff
	v_add_co_ci_u32_e64 v12, null, s29, v12, s0
	s_mov_b32 s0, -1
	global_inv scope:SCOPE_SE
	s_cbranch_vccz .LBB1186_154
; %bb.151:
	s_wait_alu 0xfffe
	s_and_b32 vcc_lo, exec_lo, s0
	s_wait_alu 0xfffe
	s_cbranch_vccnz .LBB1186_259
.LBB1186_152:
	s_and_b32 s0, s2, s26
	s_wait_alu 0xfffe
	s_and_saveexec_b32 s1, s0
	s_cbranch_execnz .LBB1186_377
.LBB1186_153:
	s_nop 0
	s_sendmsg sendmsg(MSG_DEALLOC_VGPRS)
	s_endpgm
.LBB1186_154:
	s_mov_b32 s0, exec_lo
	v_cmpx_ge_u32_e64 v0, v5
	s_wait_alu 0xfffe
	s_xor_b32 s0, exec_lo, s0
	s_cbranch_execz .LBB1186_160
; %bb.155:
	s_mov_b32 s1, exec_lo
	v_cmpx_ge_u32_e64 v0, v14
	s_wait_alu 0xfffe
	s_xor_b32 s1, exec_lo, s1
	s_cbranch_execz .LBB1186_157
; %bb.156:
	v_lshlrev_b32_e32 v15, 2, v0
	ds_load_b32 v17, v15
	v_add_co_u32 v15, vcc_lo, v7, v0
	s_wait_alu 0xfffd
	v_add_co_ci_u32_e64 v16, null, 0, v13, vcc_lo
	s_delay_alu instid0(VALU_DEP_1) | instskip(NEXT) | instid1(VALU_DEP_1)
	v_lshlrev_b64_e32 v[15:16], 2, v[15:16]
	v_sub_co_u32 v15, vcc_lo, s14, v15
	s_wait_alu 0xfffd
	s_delay_alu instid0(VALU_DEP_2)
	v_sub_co_ci_u32_e64 v16, null, s15, v16, vcc_lo
	s_wait_dscnt 0x0
	global_store_b32 v[15:16], v17, off offset:-4
.LBB1186_157:
	s_wait_alu 0xfffe
	s_and_not1_saveexec_b32 s1, s1
	s_cbranch_execz .LBB1186_159
; %bb.158:
	v_lshlrev_b32_e32 v15, 2, v0
	v_readfirstlane_b32 s4, v9
	v_readfirstlane_b32 s5, v10
	ds_load_b32 v16, v15
	s_wait_dscnt 0x0
	global_store_b32 v15, v16, s[4:5]
.LBB1186_159:
	s_wait_alu 0xfffe
	s_or_b32 exec_lo, exec_lo, s1
.LBB1186_160:
	s_wait_alu 0xfffe
	s_and_not1_saveexec_b32 s0, s0
	s_cbranch_execz .LBB1186_162
; %bb.161:
	v_lshlrev_b32_e32 v15, 2, v0
	v_readfirstlane_b32 s4, v11
	v_readfirstlane_b32 s5, v12
	ds_load_b32 v16, v15
	s_wait_dscnt 0x0
	global_store_b32 v15, v16, s[4:5]
.LBB1186_162:
	s_wait_alu 0xfffe
	s_or_b32 exec_lo, exec_lo, s0
	s_delay_alu instid0(SALU_CYCLE_1)
	s_mov_b32 s0, exec_lo
	v_cmpx_ge_u32_e64 v42, v5
	s_wait_alu 0xfffe
	s_xor_b32 s0, exec_lo, s0
	s_cbranch_execz .LBB1186_168
; %bb.163:
	s_mov_b32 s1, exec_lo
	v_cmpx_ge_u32_e64 v42, v14
	s_wait_alu 0xfffe
	s_xor_b32 s1, exec_lo, s1
	s_cbranch_execz .LBB1186_165
; %bb.164:
	v_lshlrev_b32_e32 v15, 2, v0
	ds_load_b32 v17, v15 offset:1024
	v_add_co_u32 v15, vcc_lo, v7, v0
	s_wait_alu 0xfffd
	v_add_co_ci_u32_e64 v16, null, 0, v13, vcc_lo
	s_delay_alu instid0(VALU_DEP_1) | instskip(NEXT) | instid1(VALU_DEP_1)
	v_lshlrev_b64_e32 v[15:16], 2, v[15:16]
	v_sub_co_u32 v15, vcc_lo, s14, v15
	s_wait_alu 0xfffd
	s_delay_alu instid0(VALU_DEP_2)
	v_sub_co_ci_u32_e64 v16, null, s15, v16, vcc_lo
	s_wait_dscnt 0x0
	global_store_b32 v[15:16], v17, off offset:-1028
.LBB1186_165:
	s_wait_alu 0xfffe
	s_and_not1_saveexec_b32 s1, s1
	s_cbranch_execz .LBB1186_167
; %bb.166:
	v_lshlrev_b32_e32 v15, 2, v0
	v_readfirstlane_b32 s4, v9
	v_readfirstlane_b32 s5, v10
	ds_load_b32 v16, v15 offset:1024
	s_wait_dscnt 0x0
	global_store_b32 v15, v16, s[4:5] offset:1024
.LBB1186_167:
	s_wait_alu 0xfffe
	s_or_b32 exec_lo, exec_lo, s1
.LBB1186_168:
	s_wait_alu 0xfffe
	s_and_not1_saveexec_b32 s0, s0
	s_cbranch_execz .LBB1186_170
; %bb.169:
	v_lshlrev_b32_e32 v15, 2, v0
	v_readfirstlane_b32 s4, v11
	v_readfirstlane_b32 s5, v12
	ds_load_b32 v16, v15 offset:1024
	s_wait_dscnt 0x0
	global_store_b32 v15, v16, s[4:5] offset:1024
.LBB1186_170:
	s_wait_alu 0xfffe
	s_or_b32 exec_lo, exec_lo, s0
	s_delay_alu instid0(SALU_CYCLE_1)
	s_mov_b32 s0, exec_lo
	v_cmpx_ge_u32_e64 v41, v5
	s_wait_alu 0xfffe
	s_xor_b32 s0, exec_lo, s0
	s_cbranch_execz .LBB1186_176
; %bb.171:
	s_mov_b32 s1, exec_lo
	v_cmpx_ge_u32_e64 v41, v14
	s_wait_alu 0xfffe
	s_xor_b32 s1, exec_lo, s1
	s_cbranch_execz .LBB1186_173
; %bb.172:
	v_lshlrev_b32_e32 v15, 2, v0
	ds_load_b32 v17, v15 offset:2048
	v_add_co_u32 v15, vcc_lo, v7, v0
	s_wait_alu 0xfffd
	v_add_co_ci_u32_e64 v16, null, 0, v13, vcc_lo
	s_delay_alu instid0(VALU_DEP_1) | instskip(NEXT) | instid1(VALU_DEP_1)
	v_lshlrev_b64_e32 v[15:16], 2, v[15:16]
	v_sub_co_u32 v15, vcc_lo, s14, v15
	s_wait_alu 0xfffd
	s_delay_alu instid0(VALU_DEP_2)
	v_sub_co_ci_u32_e64 v16, null, s15, v16, vcc_lo
	s_wait_dscnt 0x0
	global_store_b32 v[15:16], v17, off offset:-2052
.LBB1186_173:
	s_wait_alu 0xfffe
	s_and_not1_saveexec_b32 s1, s1
	s_cbranch_execz .LBB1186_175
; %bb.174:
	v_lshlrev_b32_e32 v15, 2, v0
	v_readfirstlane_b32 s4, v9
	v_readfirstlane_b32 s5, v10
	ds_load_b32 v16, v15 offset:2048
	s_wait_dscnt 0x0
	global_store_b32 v15, v16, s[4:5] offset:2048
.LBB1186_175:
	s_wait_alu 0xfffe
	s_or_b32 exec_lo, exec_lo, s1
.LBB1186_176:
	s_wait_alu 0xfffe
	s_and_not1_saveexec_b32 s0, s0
	s_cbranch_execz .LBB1186_178
; %bb.177:
	v_lshlrev_b32_e32 v15, 2, v0
	v_readfirstlane_b32 s4, v11
	v_readfirstlane_b32 s5, v12
	ds_load_b32 v16, v15 offset:2048
	s_wait_dscnt 0x0
	global_store_b32 v15, v16, s[4:5] offset:2048
.LBB1186_178:
	;; [unrolled: 54-line block ×12, first 2 shown]
	s_wait_alu 0xfffe
	s_or_b32 exec_lo, exec_lo, s0
	s_branch .LBB1186_152
.LBB1186_259:
	s_mov_b32 s0, exec_lo
	v_cmpx_gt_u32_e64 s27, v0
	s_cbranch_execz .LBB1186_268
; %bb.260:
	s_mov_b32 s1, exec_lo
	v_cmpx_ge_u32_e64 v0, v5
	s_wait_alu 0xfffe
	s_xor_b32 s1, exec_lo, s1
	s_cbranch_execz .LBB1186_266
; %bb.261:
	s_mov_b32 s3, exec_lo
	v_cmpx_ge_u32_e64 v0, v14
	s_wait_alu 0xfffe
	s_xor_b32 s3, exec_lo, s3
	s_cbranch_execz .LBB1186_263
; %bb.262:
	v_lshlrev_b32_e32 v15, 2, v0
	ds_load_b32 v17, v15
	v_add_co_u32 v15, vcc_lo, v7, v0
	s_wait_alu 0xfffd
	v_add_co_ci_u32_e64 v16, null, 0, v13, vcc_lo
	s_delay_alu instid0(VALU_DEP_1) | instskip(NEXT) | instid1(VALU_DEP_1)
	v_lshlrev_b64_e32 v[15:16], 2, v[15:16]
	v_sub_co_u32 v15, vcc_lo, s14, v15
	s_wait_alu 0xfffd
	s_delay_alu instid0(VALU_DEP_2)
	v_sub_co_ci_u32_e64 v16, null, s15, v16, vcc_lo
	s_wait_dscnt 0x0
	global_store_b32 v[15:16], v17, off offset:-4
.LBB1186_263:
	s_wait_alu 0xfffe
	s_and_not1_saveexec_b32 s3, s3
	s_cbranch_execz .LBB1186_265
; %bb.264:
	v_lshlrev_b32_e32 v15, 2, v0
	v_readfirstlane_b32 s4, v9
	v_readfirstlane_b32 s5, v10
	ds_load_b32 v16, v15
	s_wait_dscnt 0x0
	global_store_b32 v15, v16, s[4:5]
.LBB1186_265:
	s_wait_alu 0xfffe
	s_or_b32 exec_lo, exec_lo, s3
.LBB1186_266:
	s_wait_alu 0xfffe
	s_and_not1_saveexec_b32 s1, s1
	s_cbranch_execz .LBB1186_268
; %bb.267:
	v_lshlrev_b32_e32 v15, 2, v0
	v_readfirstlane_b32 s4, v11
	v_readfirstlane_b32 s5, v12
	ds_load_b32 v16, v15
	s_wait_dscnt 0x0
	global_store_b32 v15, v16, s[4:5]
.LBB1186_268:
	s_wait_alu 0xfffe
	s_or_b32 exec_lo, exec_lo, s0
	s_delay_alu instid0(SALU_CYCLE_1)
	s_mov_b32 s0, exec_lo
	v_cmpx_gt_u32_e64 s27, v42
	s_cbranch_execz .LBB1186_277
; %bb.269:
	s_mov_b32 s1, exec_lo
	v_cmpx_ge_u32_e64 v42, v5
	s_wait_alu 0xfffe
	s_xor_b32 s1, exec_lo, s1
	s_cbranch_execz .LBB1186_275
; %bb.270:
	s_mov_b32 s3, exec_lo
	v_cmpx_ge_u32_e64 v42, v14
	s_wait_alu 0xfffe
	s_xor_b32 s3, exec_lo, s3
	s_cbranch_execz .LBB1186_272
; %bb.271:
	v_lshlrev_b32_e32 v15, 2, v0
	ds_load_b32 v17, v15 offset:1024
	v_add_co_u32 v15, vcc_lo, v7, v0
	s_wait_alu 0xfffd
	v_add_co_ci_u32_e64 v16, null, 0, v13, vcc_lo
	s_delay_alu instid0(VALU_DEP_1) | instskip(NEXT) | instid1(VALU_DEP_1)
	v_lshlrev_b64_e32 v[15:16], 2, v[15:16]
	v_sub_co_u32 v15, vcc_lo, s14, v15
	s_wait_alu 0xfffd
	s_delay_alu instid0(VALU_DEP_2)
	v_sub_co_ci_u32_e64 v16, null, s15, v16, vcc_lo
	s_wait_dscnt 0x0
	global_store_b32 v[15:16], v17, off offset:-1028
.LBB1186_272:
	s_wait_alu 0xfffe
	s_and_not1_saveexec_b32 s3, s3
	s_cbranch_execz .LBB1186_274
; %bb.273:
	v_lshlrev_b32_e32 v15, 2, v0
	v_readfirstlane_b32 s4, v9
	v_readfirstlane_b32 s5, v10
	ds_load_b32 v16, v15 offset:1024
	s_wait_dscnt 0x0
	global_store_b32 v15, v16, s[4:5] offset:1024
.LBB1186_274:
	s_wait_alu 0xfffe
	s_or_b32 exec_lo, exec_lo, s3
.LBB1186_275:
	s_wait_alu 0xfffe
	s_and_not1_saveexec_b32 s1, s1
	s_cbranch_execz .LBB1186_277
; %bb.276:
	v_lshlrev_b32_e32 v15, 2, v0
	v_readfirstlane_b32 s4, v11
	v_readfirstlane_b32 s5, v12
	ds_load_b32 v16, v15 offset:1024
	s_wait_dscnt 0x0
	global_store_b32 v15, v16, s[4:5] offset:1024
.LBB1186_277:
	s_wait_alu 0xfffe
	s_or_b32 exec_lo, exec_lo, s0
	s_delay_alu instid0(SALU_CYCLE_1)
	s_mov_b32 s0, exec_lo
	v_cmpx_gt_u32_e64 s27, v41
	s_cbranch_execz .LBB1186_286
; %bb.278:
	s_mov_b32 s1, exec_lo
	v_cmpx_ge_u32_e64 v41, v5
	s_wait_alu 0xfffe
	s_xor_b32 s1, exec_lo, s1
	s_cbranch_execz .LBB1186_284
; %bb.279:
	s_mov_b32 s3, exec_lo
	v_cmpx_ge_u32_e64 v41, v14
	s_wait_alu 0xfffe
	s_xor_b32 s3, exec_lo, s3
	s_cbranch_execz .LBB1186_281
; %bb.280:
	v_lshlrev_b32_e32 v15, 2, v0
	ds_load_b32 v17, v15 offset:2048
	v_add_co_u32 v15, vcc_lo, v7, v0
	s_wait_alu 0xfffd
	v_add_co_ci_u32_e64 v16, null, 0, v13, vcc_lo
	s_delay_alu instid0(VALU_DEP_1) | instskip(NEXT) | instid1(VALU_DEP_1)
	v_lshlrev_b64_e32 v[15:16], 2, v[15:16]
	v_sub_co_u32 v15, vcc_lo, s14, v15
	s_wait_alu 0xfffd
	s_delay_alu instid0(VALU_DEP_2)
	v_sub_co_ci_u32_e64 v16, null, s15, v16, vcc_lo
	s_wait_dscnt 0x0
	global_store_b32 v[15:16], v17, off offset:-2052
.LBB1186_281:
	s_wait_alu 0xfffe
	s_and_not1_saveexec_b32 s3, s3
	s_cbranch_execz .LBB1186_283
; %bb.282:
	v_lshlrev_b32_e32 v15, 2, v0
	v_readfirstlane_b32 s4, v9
	v_readfirstlane_b32 s5, v10
	ds_load_b32 v16, v15 offset:2048
	s_wait_dscnt 0x0
	global_store_b32 v15, v16, s[4:5] offset:2048
.LBB1186_283:
	s_wait_alu 0xfffe
	s_or_b32 exec_lo, exec_lo, s3
.LBB1186_284:
	s_wait_alu 0xfffe
	s_and_not1_saveexec_b32 s1, s1
	s_cbranch_execz .LBB1186_286
; %bb.285:
	v_lshlrev_b32_e32 v15, 2, v0
	v_readfirstlane_b32 s4, v11
	v_readfirstlane_b32 s5, v12
	ds_load_b32 v16, v15 offset:2048
	s_wait_dscnt 0x0
	global_store_b32 v15, v16, s[4:5] offset:2048
.LBB1186_286:
	;; [unrolled: 58-line block ×11, first 2 shown]
	s_wait_alu 0xfffe
	s_or_b32 exec_lo, exec_lo, s0
	s_delay_alu instid0(SALU_CYCLE_1)
	s_mov_b32 s0, exec_lo
	v_cmpx_gt_u32_e64 s27, v31
	s_cbranch_execz .LBB1186_376
; %bb.368:
	s_mov_b32 s1, exec_lo
	v_cmpx_ge_u32_e64 v31, v5
	s_wait_alu 0xfffe
	s_xor_b32 s1, exec_lo, s1
	s_cbranch_execz .LBB1186_374
; %bb.369:
	s_mov_b32 s3, exec_lo
	v_cmpx_ge_u32_e64 v31, v14
	s_wait_alu 0xfffe
	s_xor_b32 s3, exec_lo, s3
	s_cbranch_execz .LBB1186_371
; %bb.370:
	v_lshlrev_b32_e32 v9, 2, v0
	ds_load_b32 v11, v9 offset:12288
	v_add_co_u32 v9, vcc_lo, v7, v0
	s_wait_alu 0xfffd
	v_add_co_ci_u32_e64 v10, null, 0, v13, vcc_lo
                                        ; implicit-def: $vgpr0
	s_delay_alu instid0(VALU_DEP_1) | instskip(NEXT) | instid1(VALU_DEP_1)
	v_lshlrev_b64_e32 v[9:10], 2, v[9:10]
	v_sub_co_u32 v9, vcc_lo, s14, v9
	s_wait_alu 0xfffd
	s_delay_alu instid0(VALU_DEP_2)
	v_sub_co_ci_u32_e64 v10, null, s15, v10, vcc_lo
	s_wait_dscnt 0x0
	global_store_b32 v[9:10], v11, off offset:-12292
                                        ; implicit-def: $vgpr9_vgpr10
.LBB1186_371:
	s_wait_alu 0xfffe
	s_and_not1_saveexec_b32 s3, s3
	s_cbranch_execz .LBB1186_373
; %bb.372:
	v_lshlrev_b32_e32 v0, 2, v0
	v_readfirstlane_b32 s4, v9
	v_readfirstlane_b32 s5, v10
	ds_load_b32 v7, v0 offset:12288
	s_wait_dscnt 0x0
	global_store_b32 v0, v7, s[4:5] offset:12288
.LBB1186_373:
	s_wait_alu 0xfffe
	s_or_b32 exec_lo, exec_lo, s3
                                        ; implicit-def: $vgpr0
                                        ; implicit-def: $vgpr11_vgpr12
.LBB1186_374:
	s_wait_alu 0xfffe
	s_and_not1_saveexec_b32 s1, s1
	s_cbranch_execz .LBB1186_376
; %bb.375:
	v_lshlrev_b32_e32 v0, 2, v0
	v_readfirstlane_b32 s4, v11
	v_readfirstlane_b32 s5, v12
	ds_load_b32 v7, v0 offset:12288
	s_wait_dscnt 0x0
	global_store_b32 v0, v7, s[4:5] offset:12288
.LBB1186_376:
	s_wait_alu 0xfffe
	s_or_b32 exec_lo, exec_lo, s0
	s_and_b32 s0, s2, s26
	s_wait_alu 0xfffe
	s_and_saveexec_b32 s1, s0
	s_cbranch_execz .LBB1186_153
.LBB1186_377:
	v_add_co_u32 v0, vcc_lo, v3, v6
	s_wait_alu 0xfffd
	v_add_co_ci_u32_e64 v4, null, 0, v4, vcc_lo
	v_mov_b32_e32 v6, 0
	s_delay_alu instid0(VALU_DEP_3) | instskip(SKIP_1) | instid1(VALU_DEP_3)
	v_add_co_u32 v3, vcc_lo, v0, v8
	s_wait_alu 0xfffd
	v_add_co_ci_u32_e64 v4, null, 0, v4, vcc_lo
	v_add_co_u32 v1, vcc_lo, v1, v5
	s_wait_alu 0xfffd
	v_add_co_ci_u32_e64 v2, null, 0, v2, vcc_lo
	global_store_b128 v6, v[1:4], s[24:25]
	s_nop 0
	s_sendmsg sendmsg(MSG_DEALLOC_VGPRS)
	s_endpgm
.LBB1186_378:
	s_add_co_i32 s6, s33, 32
	s_mov_b32 s7, 0
	v_dual_mov_b32 v11, 2 :: v_dual_add_nc_u32 v10, v8, v6
	s_wait_alu 0xfffe
	s_lshl_b64 s[6:7], s[6:7], 4
	v_dual_mov_b32 v12, 0 :: v_dual_add_nc_u32 v9, v7, v5
	s_wait_alu 0xfffe
	s_add_nc_u64 s[6:7], s[36:37], s[6:7]
	s_wait_alu 0xfffe
	v_dual_mov_b32 v28, s7 :: v_dual_mov_b32 v27, s6
	;;#ASMSTART
	global_store_b128 v[27:28], v[9:12] off scope:SCOPE_DEV	
s_wait_storecnt 0x0
	;;#ASMEND
	s_or_b32 exec_lo, exec_lo, s5
	s_and_saveexec_b32 s5, s3
	s_cbranch_execz .LBB1186_138
.LBB1186_379:
	v_mov_b32_e32 v9, 0
	ds_store_b128 v9, v[5:8] offset:13312
	s_wait_alu 0xfffe
	s_or_b32 exec_lo, exec_lo, s5
	s_delay_alu instid0(SALU_CYCLE_1)
	s_and_b32 exec_lo, exec_lo, s2
	s_cbranch_execnz .LBB1186_139
	s_branch .LBB1186_140
	.section	.rodata,"a",@progbits
	.p2align	6, 0x0
	.amdhsa_kernel _ZN7rocprim17ROCPRIM_400000_NS6detail17trampoline_kernelINS0_13select_configILj256ELj13ELNS0_17block_load_methodE3ELS4_3ELS4_3ELNS0_20block_scan_algorithmE0ELj4294967295EEENS1_25partition_config_selectorILNS1_17partition_subalgoE4EjNS0_10empty_typeEbEEZZNS1_14partition_implILS8_4ELb0ES6_15HIP_vector_typeIjLj2EENS0_17counting_iteratorIjlEEPS9_SG_NS0_5tupleIJPjSI_NS0_16reverse_iteratorISI_EEEEENSH_IJSG_SG_SG_EEES9_SI_JZNS1_25segmented_radix_sort_implINS0_14default_configELb0EPKdPdPKlPlN2at6native12_GLOBAL__N_18offset_tEEE10hipError_tPvRmT1_PNSt15iterator_traitsIS12_E10value_typeET2_T3_PNS13_IS18_E10value_typeET4_jRbjT5_S1E_jjP12ihipStream_tbEUljE_ZNSN_ISO_Lb0ESQ_SR_ST_SU_SY_EESZ_S10_S11_S12_S16_S17_S18_S1B_S1C_jS1D_jS1E_S1E_jjS1G_bEUljE0_EEESZ_S10_S11_S18_S1C_S1E_T6_T7_T9_mT8_S1G_bDpT10_ENKUlT_T0_E_clISt17integral_constantIbLb0EES1T_IbLb1EEEEDaS1P_S1Q_EUlS1P_E_NS1_11comp_targetILNS1_3genE10ELNS1_11target_archE1200ELNS1_3gpuE4ELNS1_3repE0EEENS1_30default_config_static_selectorELNS0_4arch9wavefront6targetE0EEEvS12_
		.amdhsa_group_segment_fixed_size 13328
		.amdhsa_private_segment_fixed_size 0
		.amdhsa_kernarg_size 184
		.amdhsa_user_sgpr_count 2
		.amdhsa_user_sgpr_dispatch_ptr 0
		.amdhsa_user_sgpr_queue_ptr 0
		.amdhsa_user_sgpr_kernarg_segment_ptr 1
		.amdhsa_user_sgpr_dispatch_id 0
		.amdhsa_user_sgpr_private_segment_size 0
		.amdhsa_wavefront_size32 1
		.amdhsa_uses_dynamic_stack 0
		.amdhsa_enable_private_segment 0
		.amdhsa_system_sgpr_workgroup_id_x 1
		.amdhsa_system_sgpr_workgroup_id_y 0
		.amdhsa_system_sgpr_workgroup_id_z 0
		.amdhsa_system_sgpr_workgroup_info 0
		.amdhsa_system_vgpr_workitem_id 0
		.amdhsa_next_free_vgpr 98
		.amdhsa_next_free_sgpr 55
		.amdhsa_reserve_vcc 1
		.amdhsa_float_round_mode_32 0
		.amdhsa_float_round_mode_16_64 0
		.amdhsa_float_denorm_mode_32 3
		.amdhsa_float_denorm_mode_16_64 3
		.amdhsa_fp16_overflow 0
		.amdhsa_workgroup_processor_mode 1
		.amdhsa_memory_ordered 1
		.amdhsa_forward_progress 1
		.amdhsa_inst_pref_size 151
		.amdhsa_round_robin_scheduling 0
		.amdhsa_exception_fp_ieee_invalid_op 0
		.amdhsa_exception_fp_denorm_src 0
		.amdhsa_exception_fp_ieee_div_zero 0
		.amdhsa_exception_fp_ieee_overflow 0
		.amdhsa_exception_fp_ieee_underflow 0
		.amdhsa_exception_fp_ieee_inexact 0
		.amdhsa_exception_int_div_zero 0
	.end_amdhsa_kernel
	.section	.text._ZN7rocprim17ROCPRIM_400000_NS6detail17trampoline_kernelINS0_13select_configILj256ELj13ELNS0_17block_load_methodE3ELS4_3ELS4_3ELNS0_20block_scan_algorithmE0ELj4294967295EEENS1_25partition_config_selectorILNS1_17partition_subalgoE4EjNS0_10empty_typeEbEEZZNS1_14partition_implILS8_4ELb0ES6_15HIP_vector_typeIjLj2EENS0_17counting_iteratorIjlEEPS9_SG_NS0_5tupleIJPjSI_NS0_16reverse_iteratorISI_EEEEENSH_IJSG_SG_SG_EEES9_SI_JZNS1_25segmented_radix_sort_implINS0_14default_configELb0EPKdPdPKlPlN2at6native12_GLOBAL__N_18offset_tEEE10hipError_tPvRmT1_PNSt15iterator_traitsIS12_E10value_typeET2_T3_PNS13_IS18_E10value_typeET4_jRbjT5_S1E_jjP12ihipStream_tbEUljE_ZNSN_ISO_Lb0ESQ_SR_ST_SU_SY_EESZ_S10_S11_S12_S16_S17_S18_S1B_S1C_jS1D_jS1E_S1E_jjS1G_bEUljE0_EEESZ_S10_S11_S18_S1C_S1E_T6_T7_T9_mT8_S1G_bDpT10_ENKUlT_T0_E_clISt17integral_constantIbLb0EES1T_IbLb1EEEEDaS1P_S1Q_EUlS1P_E_NS1_11comp_targetILNS1_3genE10ELNS1_11target_archE1200ELNS1_3gpuE4ELNS1_3repE0EEENS1_30default_config_static_selectorELNS0_4arch9wavefront6targetE0EEEvS12_,"axG",@progbits,_ZN7rocprim17ROCPRIM_400000_NS6detail17trampoline_kernelINS0_13select_configILj256ELj13ELNS0_17block_load_methodE3ELS4_3ELS4_3ELNS0_20block_scan_algorithmE0ELj4294967295EEENS1_25partition_config_selectorILNS1_17partition_subalgoE4EjNS0_10empty_typeEbEEZZNS1_14partition_implILS8_4ELb0ES6_15HIP_vector_typeIjLj2EENS0_17counting_iteratorIjlEEPS9_SG_NS0_5tupleIJPjSI_NS0_16reverse_iteratorISI_EEEEENSH_IJSG_SG_SG_EEES9_SI_JZNS1_25segmented_radix_sort_implINS0_14default_configELb0EPKdPdPKlPlN2at6native12_GLOBAL__N_18offset_tEEE10hipError_tPvRmT1_PNSt15iterator_traitsIS12_E10value_typeET2_T3_PNS13_IS18_E10value_typeET4_jRbjT5_S1E_jjP12ihipStream_tbEUljE_ZNSN_ISO_Lb0ESQ_SR_ST_SU_SY_EESZ_S10_S11_S12_S16_S17_S18_S1B_S1C_jS1D_jS1E_S1E_jjS1G_bEUljE0_EEESZ_S10_S11_S18_S1C_S1E_T6_T7_T9_mT8_S1G_bDpT10_ENKUlT_T0_E_clISt17integral_constantIbLb0EES1T_IbLb1EEEEDaS1P_S1Q_EUlS1P_E_NS1_11comp_targetILNS1_3genE10ELNS1_11target_archE1200ELNS1_3gpuE4ELNS1_3repE0EEENS1_30default_config_static_selectorELNS0_4arch9wavefront6targetE0EEEvS12_,comdat
.Lfunc_end1186:
	.size	_ZN7rocprim17ROCPRIM_400000_NS6detail17trampoline_kernelINS0_13select_configILj256ELj13ELNS0_17block_load_methodE3ELS4_3ELS4_3ELNS0_20block_scan_algorithmE0ELj4294967295EEENS1_25partition_config_selectorILNS1_17partition_subalgoE4EjNS0_10empty_typeEbEEZZNS1_14partition_implILS8_4ELb0ES6_15HIP_vector_typeIjLj2EENS0_17counting_iteratorIjlEEPS9_SG_NS0_5tupleIJPjSI_NS0_16reverse_iteratorISI_EEEEENSH_IJSG_SG_SG_EEES9_SI_JZNS1_25segmented_radix_sort_implINS0_14default_configELb0EPKdPdPKlPlN2at6native12_GLOBAL__N_18offset_tEEE10hipError_tPvRmT1_PNSt15iterator_traitsIS12_E10value_typeET2_T3_PNS13_IS18_E10value_typeET4_jRbjT5_S1E_jjP12ihipStream_tbEUljE_ZNSN_ISO_Lb0ESQ_SR_ST_SU_SY_EESZ_S10_S11_S12_S16_S17_S18_S1B_S1C_jS1D_jS1E_S1E_jjS1G_bEUljE0_EEESZ_S10_S11_S18_S1C_S1E_T6_T7_T9_mT8_S1G_bDpT10_ENKUlT_T0_E_clISt17integral_constantIbLb0EES1T_IbLb1EEEEDaS1P_S1Q_EUlS1P_E_NS1_11comp_targetILNS1_3genE10ELNS1_11target_archE1200ELNS1_3gpuE4ELNS1_3repE0EEENS1_30default_config_static_selectorELNS0_4arch9wavefront6targetE0EEEvS12_, .Lfunc_end1186-_ZN7rocprim17ROCPRIM_400000_NS6detail17trampoline_kernelINS0_13select_configILj256ELj13ELNS0_17block_load_methodE3ELS4_3ELS4_3ELNS0_20block_scan_algorithmE0ELj4294967295EEENS1_25partition_config_selectorILNS1_17partition_subalgoE4EjNS0_10empty_typeEbEEZZNS1_14partition_implILS8_4ELb0ES6_15HIP_vector_typeIjLj2EENS0_17counting_iteratorIjlEEPS9_SG_NS0_5tupleIJPjSI_NS0_16reverse_iteratorISI_EEEEENSH_IJSG_SG_SG_EEES9_SI_JZNS1_25segmented_radix_sort_implINS0_14default_configELb0EPKdPdPKlPlN2at6native12_GLOBAL__N_18offset_tEEE10hipError_tPvRmT1_PNSt15iterator_traitsIS12_E10value_typeET2_T3_PNS13_IS18_E10value_typeET4_jRbjT5_S1E_jjP12ihipStream_tbEUljE_ZNSN_ISO_Lb0ESQ_SR_ST_SU_SY_EESZ_S10_S11_S12_S16_S17_S18_S1B_S1C_jS1D_jS1E_S1E_jjS1G_bEUljE0_EEESZ_S10_S11_S18_S1C_S1E_T6_T7_T9_mT8_S1G_bDpT10_ENKUlT_T0_E_clISt17integral_constantIbLb0EES1T_IbLb1EEEEDaS1P_S1Q_EUlS1P_E_NS1_11comp_targetILNS1_3genE10ELNS1_11target_archE1200ELNS1_3gpuE4ELNS1_3repE0EEENS1_30default_config_static_selectorELNS0_4arch9wavefront6targetE0EEEvS12_
                                        ; -- End function
	.set _ZN7rocprim17ROCPRIM_400000_NS6detail17trampoline_kernelINS0_13select_configILj256ELj13ELNS0_17block_load_methodE3ELS4_3ELS4_3ELNS0_20block_scan_algorithmE0ELj4294967295EEENS1_25partition_config_selectorILNS1_17partition_subalgoE4EjNS0_10empty_typeEbEEZZNS1_14partition_implILS8_4ELb0ES6_15HIP_vector_typeIjLj2EENS0_17counting_iteratorIjlEEPS9_SG_NS0_5tupleIJPjSI_NS0_16reverse_iteratorISI_EEEEENSH_IJSG_SG_SG_EEES9_SI_JZNS1_25segmented_radix_sort_implINS0_14default_configELb0EPKdPdPKlPlN2at6native12_GLOBAL__N_18offset_tEEE10hipError_tPvRmT1_PNSt15iterator_traitsIS12_E10value_typeET2_T3_PNS13_IS18_E10value_typeET4_jRbjT5_S1E_jjP12ihipStream_tbEUljE_ZNSN_ISO_Lb0ESQ_SR_ST_SU_SY_EESZ_S10_S11_S12_S16_S17_S18_S1B_S1C_jS1D_jS1E_S1E_jjS1G_bEUljE0_EEESZ_S10_S11_S18_S1C_S1E_T6_T7_T9_mT8_S1G_bDpT10_ENKUlT_T0_E_clISt17integral_constantIbLb0EES1T_IbLb1EEEEDaS1P_S1Q_EUlS1P_E_NS1_11comp_targetILNS1_3genE10ELNS1_11target_archE1200ELNS1_3gpuE4ELNS1_3repE0EEENS1_30default_config_static_selectorELNS0_4arch9wavefront6targetE0EEEvS12_.num_vgpr, 98
	.set _ZN7rocprim17ROCPRIM_400000_NS6detail17trampoline_kernelINS0_13select_configILj256ELj13ELNS0_17block_load_methodE3ELS4_3ELS4_3ELNS0_20block_scan_algorithmE0ELj4294967295EEENS1_25partition_config_selectorILNS1_17partition_subalgoE4EjNS0_10empty_typeEbEEZZNS1_14partition_implILS8_4ELb0ES6_15HIP_vector_typeIjLj2EENS0_17counting_iteratorIjlEEPS9_SG_NS0_5tupleIJPjSI_NS0_16reverse_iteratorISI_EEEEENSH_IJSG_SG_SG_EEES9_SI_JZNS1_25segmented_radix_sort_implINS0_14default_configELb0EPKdPdPKlPlN2at6native12_GLOBAL__N_18offset_tEEE10hipError_tPvRmT1_PNSt15iterator_traitsIS12_E10value_typeET2_T3_PNS13_IS18_E10value_typeET4_jRbjT5_S1E_jjP12ihipStream_tbEUljE_ZNSN_ISO_Lb0ESQ_SR_ST_SU_SY_EESZ_S10_S11_S12_S16_S17_S18_S1B_S1C_jS1D_jS1E_S1E_jjS1G_bEUljE0_EEESZ_S10_S11_S18_S1C_S1E_T6_T7_T9_mT8_S1G_bDpT10_ENKUlT_T0_E_clISt17integral_constantIbLb0EES1T_IbLb1EEEEDaS1P_S1Q_EUlS1P_E_NS1_11comp_targetILNS1_3genE10ELNS1_11target_archE1200ELNS1_3gpuE4ELNS1_3repE0EEENS1_30default_config_static_selectorELNS0_4arch9wavefront6targetE0EEEvS12_.num_agpr, 0
	.set _ZN7rocprim17ROCPRIM_400000_NS6detail17trampoline_kernelINS0_13select_configILj256ELj13ELNS0_17block_load_methodE3ELS4_3ELS4_3ELNS0_20block_scan_algorithmE0ELj4294967295EEENS1_25partition_config_selectorILNS1_17partition_subalgoE4EjNS0_10empty_typeEbEEZZNS1_14partition_implILS8_4ELb0ES6_15HIP_vector_typeIjLj2EENS0_17counting_iteratorIjlEEPS9_SG_NS0_5tupleIJPjSI_NS0_16reverse_iteratorISI_EEEEENSH_IJSG_SG_SG_EEES9_SI_JZNS1_25segmented_radix_sort_implINS0_14default_configELb0EPKdPdPKlPlN2at6native12_GLOBAL__N_18offset_tEEE10hipError_tPvRmT1_PNSt15iterator_traitsIS12_E10value_typeET2_T3_PNS13_IS18_E10value_typeET4_jRbjT5_S1E_jjP12ihipStream_tbEUljE_ZNSN_ISO_Lb0ESQ_SR_ST_SU_SY_EESZ_S10_S11_S12_S16_S17_S18_S1B_S1C_jS1D_jS1E_S1E_jjS1G_bEUljE0_EEESZ_S10_S11_S18_S1C_S1E_T6_T7_T9_mT8_S1G_bDpT10_ENKUlT_T0_E_clISt17integral_constantIbLb0EES1T_IbLb1EEEEDaS1P_S1Q_EUlS1P_E_NS1_11comp_targetILNS1_3genE10ELNS1_11target_archE1200ELNS1_3gpuE4ELNS1_3repE0EEENS1_30default_config_static_selectorELNS0_4arch9wavefront6targetE0EEEvS12_.numbered_sgpr, 55
	.set _ZN7rocprim17ROCPRIM_400000_NS6detail17trampoline_kernelINS0_13select_configILj256ELj13ELNS0_17block_load_methodE3ELS4_3ELS4_3ELNS0_20block_scan_algorithmE0ELj4294967295EEENS1_25partition_config_selectorILNS1_17partition_subalgoE4EjNS0_10empty_typeEbEEZZNS1_14partition_implILS8_4ELb0ES6_15HIP_vector_typeIjLj2EENS0_17counting_iteratorIjlEEPS9_SG_NS0_5tupleIJPjSI_NS0_16reverse_iteratorISI_EEEEENSH_IJSG_SG_SG_EEES9_SI_JZNS1_25segmented_radix_sort_implINS0_14default_configELb0EPKdPdPKlPlN2at6native12_GLOBAL__N_18offset_tEEE10hipError_tPvRmT1_PNSt15iterator_traitsIS12_E10value_typeET2_T3_PNS13_IS18_E10value_typeET4_jRbjT5_S1E_jjP12ihipStream_tbEUljE_ZNSN_ISO_Lb0ESQ_SR_ST_SU_SY_EESZ_S10_S11_S12_S16_S17_S18_S1B_S1C_jS1D_jS1E_S1E_jjS1G_bEUljE0_EEESZ_S10_S11_S18_S1C_S1E_T6_T7_T9_mT8_S1G_bDpT10_ENKUlT_T0_E_clISt17integral_constantIbLb0EES1T_IbLb1EEEEDaS1P_S1Q_EUlS1P_E_NS1_11comp_targetILNS1_3genE10ELNS1_11target_archE1200ELNS1_3gpuE4ELNS1_3repE0EEENS1_30default_config_static_selectorELNS0_4arch9wavefront6targetE0EEEvS12_.num_named_barrier, 0
	.set _ZN7rocprim17ROCPRIM_400000_NS6detail17trampoline_kernelINS0_13select_configILj256ELj13ELNS0_17block_load_methodE3ELS4_3ELS4_3ELNS0_20block_scan_algorithmE0ELj4294967295EEENS1_25partition_config_selectorILNS1_17partition_subalgoE4EjNS0_10empty_typeEbEEZZNS1_14partition_implILS8_4ELb0ES6_15HIP_vector_typeIjLj2EENS0_17counting_iteratorIjlEEPS9_SG_NS0_5tupleIJPjSI_NS0_16reverse_iteratorISI_EEEEENSH_IJSG_SG_SG_EEES9_SI_JZNS1_25segmented_radix_sort_implINS0_14default_configELb0EPKdPdPKlPlN2at6native12_GLOBAL__N_18offset_tEEE10hipError_tPvRmT1_PNSt15iterator_traitsIS12_E10value_typeET2_T3_PNS13_IS18_E10value_typeET4_jRbjT5_S1E_jjP12ihipStream_tbEUljE_ZNSN_ISO_Lb0ESQ_SR_ST_SU_SY_EESZ_S10_S11_S12_S16_S17_S18_S1B_S1C_jS1D_jS1E_S1E_jjS1G_bEUljE0_EEESZ_S10_S11_S18_S1C_S1E_T6_T7_T9_mT8_S1G_bDpT10_ENKUlT_T0_E_clISt17integral_constantIbLb0EES1T_IbLb1EEEEDaS1P_S1Q_EUlS1P_E_NS1_11comp_targetILNS1_3genE10ELNS1_11target_archE1200ELNS1_3gpuE4ELNS1_3repE0EEENS1_30default_config_static_selectorELNS0_4arch9wavefront6targetE0EEEvS12_.private_seg_size, 0
	.set _ZN7rocprim17ROCPRIM_400000_NS6detail17trampoline_kernelINS0_13select_configILj256ELj13ELNS0_17block_load_methodE3ELS4_3ELS4_3ELNS0_20block_scan_algorithmE0ELj4294967295EEENS1_25partition_config_selectorILNS1_17partition_subalgoE4EjNS0_10empty_typeEbEEZZNS1_14partition_implILS8_4ELb0ES6_15HIP_vector_typeIjLj2EENS0_17counting_iteratorIjlEEPS9_SG_NS0_5tupleIJPjSI_NS0_16reverse_iteratorISI_EEEEENSH_IJSG_SG_SG_EEES9_SI_JZNS1_25segmented_radix_sort_implINS0_14default_configELb0EPKdPdPKlPlN2at6native12_GLOBAL__N_18offset_tEEE10hipError_tPvRmT1_PNSt15iterator_traitsIS12_E10value_typeET2_T3_PNS13_IS18_E10value_typeET4_jRbjT5_S1E_jjP12ihipStream_tbEUljE_ZNSN_ISO_Lb0ESQ_SR_ST_SU_SY_EESZ_S10_S11_S12_S16_S17_S18_S1B_S1C_jS1D_jS1E_S1E_jjS1G_bEUljE0_EEESZ_S10_S11_S18_S1C_S1E_T6_T7_T9_mT8_S1G_bDpT10_ENKUlT_T0_E_clISt17integral_constantIbLb0EES1T_IbLb1EEEEDaS1P_S1Q_EUlS1P_E_NS1_11comp_targetILNS1_3genE10ELNS1_11target_archE1200ELNS1_3gpuE4ELNS1_3repE0EEENS1_30default_config_static_selectorELNS0_4arch9wavefront6targetE0EEEvS12_.uses_vcc, 1
	.set _ZN7rocprim17ROCPRIM_400000_NS6detail17trampoline_kernelINS0_13select_configILj256ELj13ELNS0_17block_load_methodE3ELS4_3ELS4_3ELNS0_20block_scan_algorithmE0ELj4294967295EEENS1_25partition_config_selectorILNS1_17partition_subalgoE4EjNS0_10empty_typeEbEEZZNS1_14partition_implILS8_4ELb0ES6_15HIP_vector_typeIjLj2EENS0_17counting_iteratorIjlEEPS9_SG_NS0_5tupleIJPjSI_NS0_16reverse_iteratorISI_EEEEENSH_IJSG_SG_SG_EEES9_SI_JZNS1_25segmented_radix_sort_implINS0_14default_configELb0EPKdPdPKlPlN2at6native12_GLOBAL__N_18offset_tEEE10hipError_tPvRmT1_PNSt15iterator_traitsIS12_E10value_typeET2_T3_PNS13_IS18_E10value_typeET4_jRbjT5_S1E_jjP12ihipStream_tbEUljE_ZNSN_ISO_Lb0ESQ_SR_ST_SU_SY_EESZ_S10_S11_S12_S16_S17_S18_S1B_S1C_jS1D_jS1E_S1E_jjS1G_bEUljE0_EEESZ_S10_S11_S18_S1C_S1E_T6_T7_T9_mT8_S1G_bDpT10_ENKUlT_T0_E_clISt17integral_constantIbLb0EES1T_IbLb1EEEEDaS1P_S1Q_EUlS1P_E_NS1_11comp_targetILNS1_3genE10ELNS1_11target_archE1200ELNS1_3gpuE4ELNS1_3repE0EEENS1_30default_config_static_selectorELNS0_4arch9wavefront6targetE0EEEvS12_.uses_flat_scratch, 0
	.set _ZN7rocprim17ROCPRIM_400000_NS6detail17trampoline_kernelINS0_13select_configILj256ELj13ELNS0_17block_load_methodE3ELS4_3ELS4_3ELNS0_20block_scan_algorithmE0ELj4294967295EEENS1_25partition_config_selectorILNS1_17partition_subalgoE4EjNS0_10empty_typeEbEEZZNS1_14partition_implILS8_4ELb0ES6_15HIP_vector_typeIjLj2EENS0_17counting_iteratorIjlEEPS9_SG_NS0_5tupleIJPjSI_NS0_16reverse_iteratorISI_EEEEENSH_IJSG_SG_SG_EEES9_SI_JZNS1_25segmented_radix_sort_implINS0_14default_configELb0EPKdPdPKlPlN2at6native12_GLOBAL__N_18offset_tEEE10hipError_tPvRmT1_PNSt15iterator_traitsIS12_E10value_typeET2_T3_PNS13_IS18_E10value_typeET4_jRbjT5_S1E_jjP12ihipStream_tbEUljE_ZNSN_ISO_Lb0ESQ_SR_ST_SU_SY_EESZ_S10_S11_S12_S16_S17_S18_S1B_S1C_jS1D_jS1E_S1E_jjS1G_bEUljE0_EEESZ_S10_S11_S18_S1C_S1E_T6_T7_T9_mT8_S1G_bDpT10_ENKUlT_T0_E_clISt17integral_constantIbLb0EES1T_IbLb1EEEEDaS1P_S1Q_EUlS1P_E_NS1_11comp_targetILNS1_3genE10ELNS1_11target_archE1200ELNS1_3gpuE4ELNS1_3repE0EEENS1_30default_config_static_selectorELNS0_4arch9wavefront6targetE0EEEvS12_.has_dyn_sized_stack, 0
	.set _ZN7rocprim17ROCPRIM_400000_NS6detail17trampoline_kernelINS0_13select_configILj256ELj13ELNS0_17block_load_methodE3ELS4_3ELS4_3ELNS0_20block_scan_algorithmE0ELj4294967295EEENS1_25partition_config_selectorILNS1_17partition_subalgoE4EjNS0_10empty_typeEbEEZZNS1_14partition_implILS8_4ELb0ES6_15HIP_vector_typeIjLj2EENS0_17counting_iteratorIjlEEPS9_SG_NS0_5tupleIJPjSI_NS0_16reverse_iteratorISI_EEEEENSH_IJSG_SG_SG_EEES9_SI_JZNS1_25segmented_radix_sort_implINS0_14default_configELb0EPKdPdPKlPlN2at6native12_GLOBAL__N_18offset_tEEE10hipError_tPvRmT1_PNSt15iterator_traitsIS12_E10value_typeET2_T3_PNS13_IS18_E10value_typeET4_jRbjT5_S1E_jjP12ihipStream_tbEUljE_ZNSN_ISO_Lb0ESQ_SR_ST_SU_SY_EESZ_S10_S11_S12_S16_S17_S18_S1B_S1C_jS1D_jS1E_S1E_jjS1G_bEUljE0_EEESZ_S10_S11_S18_S1C_S1E_T6_T7_T9_mT8_S1G_bDpT10_ENKUlT_T0_E_clISt17integral_constantIbLb0EES1T_IbLb1EEEEDaS1P_S1Q_EUlS1P_E_NS1_11comp_targetILNS1_3genE10ELNS1_11target_archE1200ELNS1_3gpuE4ELNS1_3repE0EEENS1_30default_config_static_selectorELNS0_4arch9wavefront6targetE0EEEvS12_.has_recursion, 0
	.set _ZN7rocprim17ROCPRIM_400000_NS6detail17trampoline_kernelINS0_13select_configILj256ELj13ELNS0_17block_load_methodE3ELS4_3ELS4_3ELNS0_20block_scan_algorithmE0ELj4294967295EEENS1_25partition_config_selectorILNS1_17partition_subalgoE4EjNS0_10empty_typeEbEEZZNS1_14partition_implILS8_4ELb0ES6_15HIP_vector_typeIjLj2EENS0_17counting_iteratorIjlEEPS9_SG_NS0_5tupleIJPjSI_NS0_16reverse_iteratorISI_EEEEENSH_IJSG_SG_SG_EEES9_SI_JZNS1_25segmented_radix_sort_implINS0_14default_configELb0EPKdPdPKlPlN2at6native12_GLOBAL__N_18offset_tEEE10hipError_tPvRmT1_PNSt15iterator_traitsIS12_E10value_typeET2_T3_PNS13_IS18_E10value_typeET4_jRbjT5_S1E_jjP12ihipStream_tbEUljE_ZNSN_ISO_Lb0ESQ_SR_ST_SU_SY_EESZ_S10_S11_S12_S16_S17_S18_S1B_S1C_jS1D_jS1E_S1E_jjS1G_bEUljE0_EEESZ_S10_S11_S18_S1C_S1E_T6_T7_T9_mT8_S1G_bDpT10_ENKUlT_T0_E_clISt17integral_constantIbLb0EES1T_IbLb1EEEEDaS1P_S1Q_EUlS1P_E_NS1_11comp_targetILNS1_3genE10ELNS1_11target_archE1200ELNS1_3gpuE4ELNS1_3repE0EEENS1_30default_config_static_selectorELNS0_4arch9wavefront6targetE0EEEvS12_.has_indirect_call, 0
	.section	.AMDGPU.csdata,"",@progbits
; Kernel info:
; codeLenInByte = 19208
; TotalNumSgprs: 57
; NumVgprs: 98
; ScratchSize: 0
; MemoryBound: 0
; FloatMode: 240
; IeeeMode: 1
; LDSByteSize: 13328 bytes/workgroup (compile time only)
; SGPRBlocks: 0
; VGPRBlocks: 12
; NumSGPRsForWavesPerEU: 57
; NumVGPRsForWavesPerEU: 98
; Occupancy: 12
; WaveLimiterHint : 1
; COMPUTE_PGM_RSRC2:SCRATCH_EN: 0
; COMPUTE_PGM_RSRC2:USER_SGPR: 2
; COMPUTE_PGM_RSRC2:TRAP_HANDLER: 0
; COMPUTE_PGM_RSRC2:TGID_X_EN: 1
; COMPUTE_PGM_RSRC2:TGID_Y_EN: 0
; COMPUTE_PGM_RSRC2:TGID_Z_EN: 0
; COMPUTE_PGM_RSRC2:TIDIG_COMP_CNT: 0
	.section	.text._ZN7rocprim17ROCPRIM_400000_NS6detail17trampoline_kernelINS0_13select_configILj256ELj13ELNS0_17block_load_methodE3ELS4_3ELS4_3ELNS0_20block_scan_algorithmE0ELj4294967295EEENS1_25partition_config_selectorILNS1_17partition_subalgoE4EjNS0_10empty_typeEbEEZZNS1_14partition_implILS8_4ELb0ES6_15HIP_vector_typeIjLj2EENS0_17counting_iteratorIjlEEPS9_SG_NS0_5tupleIJPjSI_NS0_16reverse_iteratorISI_EEEEENSH_IJSG_SG_SG_EEES9_SI_JZNS1_25segmented_radix_sort_implINS0_14default_configELb0EPKdPdPKlPlN2at6native12_GLOBAL__N_18offset_tEEE10hipError_tPvRmT1_PNSt15iterator_traitsIS12_E10value_typeET2_T3_PNS13_IS18_E10value_typeET4_jRbjT5_S1E_jjP12ihipStream_tbEUljE_ZNSN_ISO_Lb0ESQ_SR_ST_SU_SY_EESZ_S10_S11_S12_S16_S17_S18_S1B_S1C_jS1D_jS1E_S1E_jjS1G_bEUljE0_EEESZ_S10_S11_S18_S1C_S1E_T6_T7_T9_mT8_S1G_bDpT10_ENKUlT_T0_E_clISt17integral_constantIbLb0EES1T_IbLb1EEEEDaS1P_S1Q_EUlS1P_E_NS1_11comp_targetILNS1_3genE9ELNS1_11target_archE1100ELNS1_3gpuE3ELNS1_3repE0EEENS1_30default_config_static_selectorELNS0_4arch9wavefront6targetE0EEEvS12_,"axG",@progbits,_ZN7rocprim17ROCPRIM_400000_NS6detail17trampoline_kernelINS0_13select_configILj256ELj13ELNS0_17block_load_methodE3ELS4_3ELS4_3ELNS0_20block_scan_algorithmE0ELj4294967295EEENS1_25partition_config_selectorILNS1_17partition_subalgoE4EjNS0_10empty_typeEbEEZZNS1_14partition_implILS8_4ELb0ES6_15HIP_vector_typeIjLj2EENS0_17counting_iteratorIjlEEPS9_SG_NS0_5tupleIJPjSI_NS0_16reverse_iteratorISI_EEEEENSH_IJSG_SG_SG_EEES9_SI_JZNS1_25segmented_radix_sort_implINS0_14default_configELb0EPKdPdPKlPlN2at6native12_GLOBAL__N_18offset_tEEE10hipError_tPvRmT1_PNSt15iterator_traitsIS12_E10value_typeET2_T3_PNS13_IS18_E10value_typeET4_jRbjT5_S1E_jjP12ihipStream_tbEUljE_ZNSN_ISO_Lb0ESQ_SR_ST_SU_SY_EESZ_S10_S11_S12_S16_S17_S18_S1B_S1C_jS1D_jS1E_S1E_jjS1G_bEUljE0_EEESZ_S10_S11_S18_S1C_S1E_T6_T7_T9_mT8_S1G_bDpT10_ENKUlT_T0_E_clISt17integral_constantIbLb0EES1T_IbLb1EEEEDaS1P_S1Q_EUlS1P_E_NS1_11comp_targetILNS1_3genE9ELNS1_11target_archE1100ELNS1_3gpuE3ELNS1_3repE0EEENS1_30default_config_static_selectorELNS0_4arch9wavefront6targetE0EEEvS12_,comdat
	.globl	_ZN7rocprim17ROCPRIM_400000_NS6detail17trampoline_kernelINS0_13select_configILj256ELj13ELNS0_17block_load_methodE3ELS4_3ELS4_3ELNS0_20block_scan_algorithmE0ELj4294967295EEENS1_25partition_config_selectorILNS1_17partition_subalgoE4EjNS0_10empty_typeEbEEZZNS1_14partition_implILS8_4ELb0ES6_15HIP_vector_typeIjLj2EENS0_17counting_iteratorIjlEEPS9_SG_NS0_5tupleIJPjSI_NS0_16reverse_iteratorISI_EEEEENSH_IJSG_SG_SG_EEES9_SI_JZNS1_25segmented_radix_sort_implINS0_14default_configELb0EPKdPdPKlPlN2at6native12_GLOBAL__N_18offset_tEEE10hipError_tPvRmT1_PNSt15iterator_traitsIS12_E10value_typeET2_T3_PNS13_IS18_E10value_typeET4_jRbjT5_S1E_jjP12ihipStream_tbEUljE_ZNSN_ISO_Lb0ESQ_SR_ST_SU_SY_EESZ_S10_S11_S12_S16_S17_S18_S1B_S1C_jS1D_jS1E_S1E_jjS1G_bEUljE0_EEESZ_S10_S11_S18_S1C_S1E_T6_T7_T9_mT8_S1G_bDpT10_ENKUlT_T0_E_clISt17integral_constantIbLb0EES1T_IbLb1EEEEDaS1P_S1Q_EUlS1P_E_NS1_11comp_targetILNS1_3genE9ELNS1_11target_archE1100ELNS1_3gpuE3ELNS1_3repE0EEENS1_30default_config_static_selectorELNS0_4arch9wavefront6targetE0EEEvS12_ ; -- Begin function _ZN7rocprim17ROCPRIM_400000_NS6detail17trampoline_kernelINS0_13select_configILj256ELj13ELNS0_17block_load_methodE3ELS4_3ELS4_3ELNS0_20block_scan_algorithmE0ELj4294967295EEENS1_25partition_config_selectorILNS1_17partition_subalgoE4EjNS0_10empty_typeEbEEZZNS1_14partition_implILS8_4ELb0ES6_15HIP_vector_typeIjLj2EENS0_17counting_iteratorIjlEEPS9_SG_NS0_5tupleIJPjSI_NS0_16reverse_iteratorISI_EEEEENSH_IJSG_SG_SG_EEES9_SI_JZNS1_25segmented_radix_sort_implINS0_14default_configELb0EPKdPdPKlPlN2at6native12_GLOBAL__N_18offset_tEEE10hipError_tPvRmT1_PNSt15iterator_traitsIS12_E10value_typeET2_T3_PNS13_IS18_E10value_typeET4_jRbjT5_S1E_jjP12ihipStream_tbEUljE_ZNSN_ISO_Lb0ESQ_SR_ST_SU_SY_EESZ_S10_S11_S12_S16_S17_S18_S1B_S1C_jS1D_jS1E_S1E_jjS1G_bEUljE0_EEESZ_S10_S11_S18_S1C_S1E_T6_T7_T9_mT8_S1G_bDpT10_ENKUlT_T0_E_clISt17integral_constantIbLb0EES1T_IbLb1EEEEDaS1P_S1Q_EUlS1P_E_NS1_11comp_targetILNS1_3genE9ELNS1_11target_archE1100ELNS1_3gpuE3ELNS1_3repE0EEENS1_30default_config_static_selectorELNS0_4arch9wavefront6targetE0EEEvS12_
	.p2align	8
	.type	_ZN7rocprim17ROCPRIM_400000_NS6detail17trampoline_kernelINS0_13select_configILj256ELj13ELNS0_17block_load_methodE3ELS4_3ELS4_3ELNS0_20block_scan_algorithmE0ELj4294967295EEENS1_25partition_config_selectorILNS1_17partition_subalgoE4EjNS0_10empty_typeEbEEZZNS1_14partition_implILS8_4ELb0ES6_15HIP_vector_typeIjLj2EENS0_17counting_iteratorIjlEEPS9_SG_NS0_5tupleIJPjSI_NS0_16reverse_iteratorISI_EEEEENSH_IJSG_SG_SG_EEES9_SI_JZNS1_25segmented_radix_sort_implINS0_14default_configELb0EPKdPdPKlPlN2at6native12_GLOBAL__N_18offset_tEEE10hipError_tPvRmT1_PNSt15iterator_traitsIS12_E10value_typeET2_T3_PNS13_IS18_E10value_typeET4_jRbjT5_S1E_jjP12ihipStream_tbEUljE_ZNSN_ISO_Lb0ESQ_SR_ST_SU_SY_EESZ_S10_S11_S12_S16_S17_S18_S1B_S1C_jS1D_jS1E_S1E_jjS1G_bEUljE0_EEESZ_S10_S11_S18_S1C_S1E_T6_T7_T9_mT8_S1G_bDpT10_ENKUlT_T0_E_clISt17integral_constantIbLb0EES1T_IbLb1EEEEDaS1P_S1Q_EUlS1P_E_NS1_11comp_targetILNS1_3genE9ELNS1_11target_archE1100ELNS1_3gpuE3ELNS1_3repE0EEENS1_30default_config_static_selectorELNS0_4arch9wavefront6targetE0EEEvS12_,@function
_ZN7rocprim17ROCPRIM_400000_NS6detail17trampoline_kernelINS0_13select_configILj256ELj13ELNS0_17block_load_methodE3ELS4_3ELS4_3ELNS0_20block_scan_algorithmE0ELj4294967295EEENS1_25partition_config_selectorILNS1_17partition_subalgoE4EjNS0_10empty_typeEbEEZZNS1_14partition_implILS8_4ELb0ES6_15HIP_vector_typeIjLj2EENS0_17counting_iteratorIjlEEPS9_SG_NS0_5tupleIJPjSI_NS0_16reverse_iteratorISI_EEEEENSH_IJSG_SG_SG_EEES9_SI_JZNS1_25segmented_radix_sort_implINS0_14default_configELb0EPKdPdPKlPlN2at6native12_GLOBAL__N_18offset_tEEE10hipError_tPvRmT1_PNSt15iterator_traitsIS12_E10value_typeET2_T3_PNS13_IS18_E10value_typeET4_jRbjT5_S1E_jjP12ihipStream_tbEUljE_ZNSN_ISO_Lb0ESQ_SR_ST_SU_SY_EESZ_S10_S11_S12_S16_S17_S18_S1B_S1C_jS1D_jS1E_S1E_jjS1G_bEUljE0_EEESZ_S10_S11_S18_S1C_S1E_T6_T7_T9_mT8_S1G_bDpT10_ENKUlT_T0_E_clISt17integral_constantIbLb0EES1T_IbLb1EEEEDaS1P_S1Q_EUlS1P_E_NS1_11comp_targetILNS1_3genE9ELNS1_11target_archE1100ELNS1_3gpuE3ELNS1_3repE0EEENS1_30default_config_static_selectorELNS0_4arch9wavefront6targetE0EEEvS12_: ; @_ZN7rocprim17ROCPRIM_400000_NS6detail17trampoline_kernelINS0_13select_configILj256ELj13ELNS0_17block_load_methodE3ELS4_3ELS4_3ELNS0_20block_scan_algorithmE0ELj4294967295EEENS1_25partition_config_selectorILNS1_17partition_subalgoE4EjNS0_10empty_typeEbEEZZNS1_14partition_implILS8_4ELb0ES6_15HIP_vector_typeIjLj2EENS0_17counting_iteratorIjlEEPS9_SG_NS0_5tupleIJPjSI_NS0_16reverse_iteratorISI_EEEEENSH_IJSG_SG_SG_EEES9_SI_JZNS1_25segmented_radix_sort_implINS0_14default_configELb0EPKdPdPKlPlN2at6native12_GLOBAL__N_18offset_tEEE10hipError_tPvRmT1_PNSt15iterator_traitsIS12_E10value_typeET2_T3_PNS13_IS18_E10value_typeET4_jRbjT5_S1E_jjP12ihipStream_tbEUljE_ZNSN_ISO_Lb0ESQ_SR_ST_SU_SY_EESZ_S10_S11_S12_S16_S17_S18_S1B_S1C_jS1D_jS1E_S1E_jjS1G_bEUljE0_EEESZ_S10_S11_S18_S1C_S1E_T6_T7_T9_mT8_S1G_bDpT10_ENKUlT_T0_E_clISt17integral_constantIbLb0EES1T_IbLb1EEEEDaS1P_S1Q_EUlS1P_E_NS1_11comp_targetILNS1_3genE9ELNS1_11target_archE1100ELNS1_3gpuE3ELNS1_3repE0EEENS1_30default_config_static_selectorELNS0_4arch9wavefront6targetE0EEEvS12_
; %bb.0:
	.section	.rodata,"a",@progbits
	.p2align	6, 0x0
	.amdhsa_kernel _ZN7rocprim17ROCPRIM_400000_NS6detail17trampoline_kernelINS0_13select_configILj256ELj13ELNS0_17block_load_methodE3ELS4_3ELS4_3ELNS0_20block_scan_algorithmE0ELj4294967295EEENS1_25partition_config_selectorILNS1_17partition_subalgoE4EjNS0_10empty_typeEbEEZZNS1_14partition_implILS8_4ELb0ES6_15HIP_vector_typeIjLj2EENS0_17counting_iteratorIjlEEPS9_SG_NS0_5tupleIJPjSI_NS0_16reverse_iteratorISI_EEEEENSH_IJSG_SG_SG_EEES9_SI_JZNS1_25segmented_radix_sort_implINS0_14default_configELb0EPKdPdPKlPlN2at6native12_GLOBAL__N_18offset_tEEE10hipError_tPvRmT1_PNSt15iterator_traitsIS12_E10value_typeET2_T3_PNS13_IS18_E10value_typeET4_jRbjT5_S1E_jjP12ihipStream_tbEUljE_ZNSN_ISO_Lb0ESQ_SR_ST_SU_SY_EESZ_S10_S11_S12_S16_S17_S18_S1B_S1C_jS1D_jS1E_S1E_jjS1G_bEUljE0_EEESZ_S10_S11_S18_S1C_S1E_T6_T7_T9_mT8_S1G_bDpT10_ENKUlT_T0_E_clISt17integral_constantIbLb0EES1T_IbLb1EEEEDaS1P_S1Q_EUlS1P_E_NS1_11comp_targetILNS1_3genE9ELNS1_11target_archE1100ELNS1_3gpuE3ELNS1_3repE0EEENS1_30default_config_static_selectorELNS0_4arch9wavefront6targetE0EEEvS12_
		.amdhsa_group_segment_fixed_size 0
		.amdhsa_private_segment_fixed_size 0
		.amdhsa_kernarg_size 184
		.amdhsa_user_sgpr_count 2
		.amdhsa_user_sgpr_dispatch_ptr 0
		.amdhsa_user_sgpr_queue_ptr 0
		.amdhsa_user_sgpr_kernarg_segment_ptr 1
		.amdhsa_user_sgpr_dispatch_id 0
		.amdhsa_user_sgpr_private_segment_size 0
		.amdhsa_wavefront_size32 1
		.amdhsa_uses_dynamic_stack 0
		.amdhsa_enable_private_segment 0
		.amdhsa_system_sgpr_workgroup_id_x 1
		.amdhsa_system_sgpr_workgroup_id_y 0
		.amdhsa_system_sgpr_workgroup_id_z 0
		.amdhsa_system_sgpr_workgroup_info 0
		.amdhsa_system_vgpr_workitem_id 0
		.amdhsa_next_free_vgpr 1
		.amdhsa_next_free_sgpr 1
		.amdhsa_reserve_vcc 0
		.amdhsa_float_round_mode_32 0
		.amdhsa_float_round_mode_16_64 0
		.amdhsa_float_denorm_mode_32 3
		.amdhsa_float_denorm_mode_16_64 3
		.amdhsa_fp16_overflow 0
		.amdhsa_workgroup_processor_mode 1
		.amdhsa_memory_ordered 1
		.amdhsa_forward_progress 1
		.amdhsa_inst_pref_size 0
		.amdhsa_round_robin_scheduling 0
		.amdhsa_exception_fp_ieee_invalid_op 0
		.amdhsa_exception_fp_denorm_src 0
		.amdhsa_exception_fp_ieee_div_zero 0
		.amdhsa_exception_fp_ieee_overflow 0
		.amdhsa_exception_fp_ieee_underflow 0
		.amdhsa_exception_fp_ieee_inexact 0
		.amdhsa_exception_int_div_zero 0
	.end_amdhsa_kernel
	.section	.text._ZN7rocprim17ROCPRIM_400000_NS6detail17trampoline_kernelINS0_13select_configILj256ELj13ELNS0_17block_load_methodE3ELS4_3ELS4_3ELNS0_20block_scan_algorithmE0ELj4294967295EEENS1_25partition_config_selectorILNS1_17partition_subalgoE4EjNS0_10empty_typeEbEEZZNS1_14partition_implILS8_4ELb0ES6_15HIP_vector_typeIjLj2EENS0_17counting_iteratorIjlEEPS9_SG_NS0_5tupleIJPjSI_NS0_16reverse_iteratorISI_EEEEENSH_IJSG_SG_SG_EEES9_SI_JZNS1_25segmented_radix_sort_implINS0_14default_configELb0EPKdPdPKlPlN2at6native12_GLOBAL__N_18offset_tEEE10hipError_tPvRmT1_PNSt15iterator_traitsIS12_E10value_typeET2_T3_PNS13_IS18_E10value_typeET4_jRbjT5_S1E_jjP12ihipStream_tbEUljE_ZNSN_ISO_Lb0ESQ_SR_ST_SU_SY_EESZ_S10_S11_S12_S16_S17_S18_S1B_S1C_jS1D_jS1E_S1E_jjS1G_bEUljE0_EEESZ_S10_S11_S18_S1C_S1E_T6_T7_T9_mT8_S1G_bDpT10_ENKUlT_T0_E_clISt17integral_constantIbLb0EES1T_IbLb1EEEEDaS1P_S1Q_EUlS1P_E_NS1_11comp_targetILNS1_3genE9ELNS1_11target_archE1100ELNS1_3gpuE3ELNS1_3repE0EEENS1_30default_config_static_selectorELNS0_4arch9wavefront6targetE0EEEvS12_,"axG",@progbits,_ZN7rocprim17ROCPRIM_400000_NS6detail17trampoline_kernelINS0_13select_configILj256ELj13ELNS0_17block_load_methodE3ELS4_3ELS4_3ELNS0_20block_scan_algorithmE0ELj4294967295EEENS1_25partition_config_selectorILNS1_17partition_subalgoE4EjNS0_10empty_typeEbEEZZNS1_14partition_implILS8_4ELb0ES6_15HIP_vector_typeIjLj2EENS0_17counting_iteratorIjlEEPS9_SG_NS0_5tupleIJPjSI_NS0_16reverse_iteratorISI_EEEEENSH_IJSG_SG_SG_EEES9_SI_JZNS1_25segmented_radix_sort_implINS0_14default_configELb0EPKdPdPKlPlN2at6native12_GLOBAL__N_18offset_tEEE10hipError_tPvRmT1_PNSt15iterator_traitsIS12_E10value_typeET2_T3_PNS13_IS18_E10value_typeET4_jRbjT5_S1E_jjP12ihipStream_tbEUljE_ZNSN_ISO_Lb0ESQ_SR_ST_SU_SY_EESZ_S10_S11_S12_S16_S17_S18_S1B_S1C_jS1D_jS1E_S1E_jjS1G_bEUljE0_EEESZ_S10_S11_S18_S1C_S1E_T6_T7_T9_mT8_S1G_bDpT10_ENKUlT_T0_E_clISt17integral_constantIbLb0EES1T_IbLb1EEEEDaS1P_S1Q_EUlS1P_E_NS1_11comp_targetILNS1_3genE9ELNS1_11target_archE1100ELNS1_3gpuE3ELNS1_3repE0EEENS1_30default_config_static_selectorELNS0_4arch9wavefront6targetE0EEEvS12_,comdat
.Lfunc_end1187:
	.size	_ZN7rocprim17ROCPRIM_400000_NS6detail17trampoline_kernelINS0_13select_configILj256ELj13ELNS0_17block_load_methodE3ELS4_3ELS4_3ELNS0_20block_scan_algorithmE0ELj4294967295EEENS1_25partition_config_selectorILNS1_17partition_subalgoE4EjNS0_10empty_typeEbEEZZNS1_14partition_implILS8_4ELb0ES6_15HIP_vector_typeIjLj2EENS0_17counting_iteratorIjlEEPS9_SG_NS0_5tupleIJPjSI_NS0_16reverse_iteratorISI_EEEEENSH_IJSG_SG_SG_EEES9_SI_JZNS1_25segmented_radix_sort_implINS0_14default_configELb0EPKdPdPKlPlN2at6native12_GLOBAL__N_18offset_tEEE10hipError_tPvRmT1_PNSt15iterator_traitsIS12_E10value_typeET2_T3_PNS13_IS18_E10value_typeET4_jRbjT5_S1E_jjP12ihipStream_tbEUljE_ZNSN_ISO_Lb0ESQ_SR_ST_SU_SY_EESZ_S10_S11_S12_S16_S17_S18_S1B_S1C_jS1D_jS1E_S1E_jjS1G_bEUljE0_EEESZ_S10_S11_S18_S1C_S1E_T6_T7_T9_mT8_S1G_bDpT10_ENKUlT_T0_E_clISt17integral_constantIbLb0EES1T_IbLb1EEEEDaS1P_S1Q_EUlS1P_E_NS1_11comp_targetILNS1_3genE9ELNS1_11target_archE1100ELNS1_3gpuE3ELNS1_3repE0EEENS1_30default_config_static_selectorELNS0_4arch9wavefront6targetE0EEEvS12_, .Lfunc_end1187-_ZN7rocprim17ROCPRIM_400000_NS6detail17trampoline_kernelINS0_13select_configILj256ELj13ELNS0_17block_load_methodE3ELS4_3ELS4_3ELNS0_20block_scan_algorithmE0ELj4294967295EEENS1_25partition_config_selectorILNS1_17partition_subalgoE4EjNS0_10empty_typeEbEEZZNS1_14partition_implILS8_4ELb0ES6_15HIP_vector_typeIjLj2EENS0_17counting_iteratorIjlEEPS9_SG_NS0_5tupleIJPjSI_NS0_16reverse_iteratorISI_EEEEENSH_IJSG_SG_SG_EEES9_SI_JZNS1_25segmented_radix_sort_implINS0_14default_configELb0EPKdPdPKlPlN2at6native12_GLOBAL__N_18offset_tEEE10hipError_tPvRmT1_PNSt15iterator_traitsIS12_E10value_typeET2_T3_PNS13_IS18_E10value_typeET4_jRbjT5_S1E_jjP12ihipStream_tbEUljE_ZNSN_ISO_Lb0ESQ_SR_ST_SU_SY_EESZ_S10_S11_S12_S16_S17_S18_S1B_S1C_jS1D_jS1E_S1E_jjS1G_bEUljE0_EEESZ_S10_S11_S18_S1C_S1E_T6_T7_T9_mT8_S1G_bDpT10_ENKUlT_T0_E_clISt17integral_constantIbLb0EES1T_IbLb1EEEEDaS1P_S1Q_EUlS1P_E_NS1_11comp_targetILNS1_3genE9ELNS1_11target_archE1100ELNS1_3gpuE3ELNS1_3repE0EEENS1_30default_config_static_selectorELNS0_4arch9wavefront6targetE0EEEvS12_
                                        ; -- End function
	.set _ZN7rocprim17ROCPRIM_400000_NS6detail17trampoline_kernelINS0_13select_configILj256ELj13ELNS0_17block_load_methodE3ELS4_3ELS4_3ELNS0_20block_scan_algorithmE0ELj4294967295EEENS1_25partition_config_selectorILNS1_17partition_subalgoE4EjNS0_10empty_typeEbEEZZNS1_14partition_implILS8_4ELb0ES6_15HIP_vector_typeIjLj2EENS0_17counting_iteratorIjlEEPS9_SG_NS0_5tupleIJPjSI_NS0_16reverse_iteratorISI_EEEEENSH_IJSG_SG_SG_EEES9_SI_JZNS1_25segmented_radix_sort_implINS0_14default_configELb0EPKdPdPKlPlN2at6native12_GLOBAL__N_18offset_tEEE10hipError_tPvRmT1_PNSt15iterator_traitsIS12_E10value_typeET2_T3_PNS13_IS18_E10value_typeET4_jRbjT5_S1E_jjP12ihipStream_tbEUljE_ZNSN_ISO_Lb0ESQ_SR_ST_SU_SY_EESZ_S10_S11_S12_S16_S17_S18_S1B_S1C_jS1D_jS1E_S1E_jjS1G_bEUljE0_EEESZ_S10_S11_S18_S1C_S1E_T6_T7_T9_mT8_S1G_bDpT10_ENKUlT_T0_E_clISt17integral_constantIbLb0EES1T_IbLb1EEEEDaS1P_S1Q_EUlS1P_E_NS1_11comp_targetILNS1_3genE9ELNS1_11target_archE1100ELNS1_3gpuE3ELNS1_3repE0EEENS1_30default_config_static_selectorELNS0_4arch9wavefront6targetE0EEEvS12_.num_vgpr, 0
	.set _ZN7rocprim17ROCPRIM_400000_NS6detail17trampoline_kernelINS0_13select_configILj256ELj13ELNS0_17block_load_methodE3ELS4_3ELS4_3ELNS0_20block_scan_algorithmE0ELj4294967295EEENS1_25partition_config_selectorILNS1_17partition_subalgoE4EjNS0_10empty_typeEbEEZZNS1_14partition_implILS8_4ELb0ES6_15HIP_vector_typeIjLj2EENS0_17counting_iteratorIjlEEPS9_SG_NS0_5tupleIJPjSI_NS0_16reverse_iteratorISI_EEEEENSH_IJSG_SG_SG_EEES9_SI_JZNS1_25segmented_radix_sort_implINS0_14default_configELb0EPKdPdPKlPlN2at6native12_GLOBAL__N_18offset_tEEE10hipError_tPvRmT1_PNSt15iterator_traitsIS12_E10value_typeET2_T3_PNS13_IS18_E10value_typeET4_jRbjT5_S1E_jjP12ihipStream_tbEUljE_ZNSN_ISO_Lb0ESQ_SR_ST_SU_SY_EESZ_S10_S11_S12_S16_S17_S18_S1B_S1C_jS1D_jS1E_S1E_jjS1G_bEUljE0_EEESZ_S10_S11_S18_S1C_S1E_T6_T7_T9_mT8_S1G_bDpT10_ENKUlT_T0_E_clISt17integral_constantIbLb0EES1T_IbLb1EEEEDaS1P_S1Q_EUlS1P_E_NS1_11comp_targetILNS1_3genE9ELNS1_11target_archE1100ELNS1_3gpuE3ELNS1_3repE0EEENS1_30default_config_static_selectorELNS0_4arch9wavefront6targetE0EEEvS12_.num_agpr, 0
	.set _ZN7rocprim17ROCPRIM_400000_NS6detail17trampoline_kernelINS0_13select_configILj256ELj13ELNS0_17block_load_methodE3ELS4_3ELS4_3ELNS0_20block_scan_algorithmE0ELj4294967295EEENS1_25partition_config_selectorILNS1_17partition_subalgoE4EjNS0_10empty_typeEbEEZZNS1_14partition_implILS8_4ELb0ES6_15HIP_vector_typeIjLj2EENS0_17counting_iteratorIjlEEPS9_SG_NS0_5tupleIJPjSI_NS0_16reverse_iteratorISI_EEEEENSH_IJSG_SG_SG_EEES9_SI_JZNS1_25segmented_radix_sort_implINS0_14default_configELb0EPKdPdPKlPlN2at6native12_GLOBAL__N_18offset_tEEE10hipError_tPvRmT1_PNSt15iterator_traitsIS12_E10value_typeET2_T3_PNS13_IS18_E10value_typeET4_jRbjT5_S1E_jjP12ihipStream_tbEUljE_ZNSN_ISO_Lb0ESQ_SR_ST_SU_SY_EESZ_S10_S11_S12_S16_S17_S18_S1B_S1C_jS1D_jS1E_S1E_jjS1G_bEUljE0_EEESZ_S10_S11_S18_S1C_S1E_T6_T7_T9_mT8_S1G_bDpT10_ENKUlT_T0_E_clISt17integral_constantIbLb0EES1T_IbLb1EEEEDaS1P_S1Q_EUlS1P_E_NS1_11comp_targetILNS1_3genE9ELNS1_11target_archE1100ELNS1_3gpuE3ELNS1_3repE0EEENS1_30default_config_static_selectorELNS0_4arch9wavefront6targetE0EEEvS12_.numbered_sgpr, 0
	.set _ZN7rocprim17ROCPRIM_400000_NS6detail17trampoline_kernelINS0_13select_configILj256ELj13ELNS0_17block_load_methodE3ELS4_3ELS4_3ELNS0_20block_scan_algorithmE0ELj4294967295EEENS1_25partition_config_selectorILNS1_17partition_subalgoE4EjNS0_10empty_typeEbEEZZNS1_14partition_implILS8_4ELb0ES6_15HIP_vector_typeIjLj2EENS0_17counting_iteratorIjlEEPS9_SG_NS0_5tupleIJPjSI_NS0_16reverse_iteratorISI_EEEEENSH_IJSG_SG_SG_EEES9_SI_JZNS1_25segmented_radix_sort_implINS0_14default_configELb0EPKdPdPKlPlN2at6native12_GLOBAL__N_18offset_tEEE10hipError_tPvRmT1_PNSt15iterator_traitsIS12_E10value_typeET2_T3_PNS13_IS18_E10value_typeET4_jRbjT5_S1E_jjP12ihipStream_tbEUljE_ZNSN_ISO_Lb0ESQ_SR_ST_SU_SY_EESZ_S10_S11_S12_S16_S17_S18_S1B_S1C_jS1D_jS1E_S1E_jjS1G_bEUljE0_EEESZ_S10_S11_S18_S1C_S1E_T6_T7_T9_mT8_S1G_bDpT10_ENKUlT_T0_E_clISt17integral_constantIbLb0EES1T_IbLb1EEEEDaS1P_S1Q_EUlS1P_E_NS1_11comp_targetILNS1_3genE9ELNS1_11target_archE1100ELNS1_3gpuE3ELNS1_3repE0EEENS1_30default_config_static_selectorELNS0_4arch9wavefront6targetE0EEEvS12_.num_named_barrier, 0
	.set _ZN7rocprim17ROCPRIM_400000_NS6detail17trampoline_kernelINS0_13select_configILj256ELj13ELNS0_17block_load_methodE3ELS4_3ELS4_3ELNS0_20block_scan_algorithmE0ELj4294967295EEENS1_25partition_config_selectorILNS1_17partition_subalgoE4EjNS0_10empty_typeEbEEZZNS1_14partition_implILS8_4ELb0ES6_15HIP_vector_typeIjLj2EENS0_17counting_iteratorIjlEEPS9_SG_NS0_5tupleIJPjSI_NS0_16reverse_iteratorISI_EEEEENSH_IJSG_SG_SG_EEES9_SI_JZNS1_25segmented_radix_sort_implINS0_14default_configELb0EPKdPdPKlPlN2at6native12_GLOBAL__N_18offset_tEEE10hipError_tPvRmT1_PNSt15iterator_traitsIS12_E10value_typeET2_T3_PNS13_IS18_E10value_typeET4_jRbjT5_S1E_jjP12ihipStream_tbEUljE_ZNSN_ISO_Lb0ESQ_SR_ST_SU_SY_EESZ_S10_S11_S12_S16_S17_S18_S1B_S1C_jS1D_jS1E_S1E_jjS1G_bEUljE0_EEESZ_S10_S11_S18_S1C_S1E_T6_T7_T9_mT8_S1G_bDpT10_ENKUlT_T0_E_clISt17integral_constantIbLb0EES1T_IbLb1EEEEDaS1P_S1Q_EUlS1P_E_NS1_11comp_targetILNS1_3genE9ELNS1_11target_archE1100ELNS1_3gpuE3ELNS1_3repE0EEENS1_30default_config_static_selectorELNS0_4arch9wavefront6targetE0EEEvS12_.private_seg_size, 0
	.set _ZN7rocprim17ROCPRIM_400000_NS6detail17trampoline_kernelINS0_13select_configILj256ELj13ELNS0_17block_load_methodE3ELS4_3ELS4_3ELNS0_20block_scan_algorithmE0ELj4294967295EEENS1_25partition_config_selectorILNS1_17partition_subalgoE4EjNS0_10empty_typeEbEEZZNS1_14partition_implILS8_4ELb0ES6_15HIP_vector_typeIjLj2EENS0_17counting_iteratorIjlEEPS9_SG_NS0_5tupleIJPjSI_NS0_16reverse_iteratorISI_EEEEENSH_IJSG_SG_SG_EEES9_SI_JZNS1_25segmented_radix_sort_implINS0_14default_configELb0EPKdPdPKlPlN2at6native12_GLOBAL__N_18offset_tEEE10hipError_tPvRmT1_PNSt15iterator_traitsIS12_E10value_typeET2_T3_PNS13_IS18_E10value_typeET4_jRbjT5_S1E_jjP12ihipStream_tbEUljE_ZNSN_ISO_Lb0ESQ_SR_ST_SU_SY_EESZ_S10_S11_S12_S16_S17_S18_S1B_S1C_jS1D_jS1E_S1E_jjS1G_bEUljE0_EEESZ_S10_S11_S18_S1C_S1E_T6_T7_T9_mT8_S1G_bDpT10_ENKUlT_T0_E_clISt17integral_constantIbLb0EES1T_IbLb1EEEEDaS1P_S1Q_EUlS1P_E_NS1_11comp_targetILNS1_3genE9ELNS1_11target_archE1100ELNS1_3gpuE3ELNS1_3repE0EEENS1_30default_config_static_selectorELNS0_4arch9wavefront6targetE0EEEvS12_.uses_vcc, 0
	.set _ZN7rocprim17ROCPRIM_400000_NS6detail17trampoline_kernelINS0_13select_configILj256ELj13ELNS0_17block_load_methodE3ELS4_3ELS4_3ELNS0_20block_scan_algorithmE0ELj4294967295EEENS1_25partition_config_selectorILNS1_17partition_subalgoE4EjNS0_10empty_typeEbEEZZNS1_14partition_implILS8_4ELb0ES6_15HIP_vector_typeIjLj2EENS0_17counting_iteratorIjlEEPS9_SG_NS0_5tupleIJPjSI_NS0_16reverse_iteratorISI_EEEEENSH_IJSG_SG_SG_EEES9_SI_JZNS1_25segmented_radix_sort_implINS0_14default_configELb0EPKdPdPKlPlN2at6native12_GLOBAL__N_18offset_tEEE10hipError_tPvRmT1_PNSt15iterator_traitsIS12_E10value_typeET2_T3_PNS13_IS18_E10value_typeET4_jRbjT5_S1E_jjP12ihipStream_tbEUljE_ZNSN_ISO_Lb0ESQ_SR_ST_SU_SY_EESZ_S10_S11_S12_S16_S17_S18_S1B_S1C_jS1D_jS1E_S1E_jjS1G_bEUljE0_EEESZ_S10_S11_S18_S1C_S1E_T6_T7_T9_mT8_S1G_bDpT10_ENKUlT_T0_E_clISt17integral_constantIbLb0EES1T_IbLb1EEEEDaS1P_S1Q_EUlS1P_E_NS1_11comp_targetILNS1_3genE9ELNS1_11target_archE1100ELNS1_3gpuE3ELNS1_3repE0EEENS1_30default_config_static_selectorELNS0_4arch9wavefront6targetE0EEEvS12_.uses_flat_scratch, 0
	.set _ZN7rocprim17ROCPRIM_400000_NS6detail17trampoline_kernelINS0_13select_configILj256ELj13ELNS0_17block_load_methodE3ELS4_3ELS4_3ELNS0_20block_scan_algorithmE0ELj4294967295EEENS1_25partition_config_selectorILNS1_17partition_subalgoE4EjNS0_10empty_typeEbEEZZNS1_14partition_implILS8_4ELb0ES6_15HIP_vector_typeIjLj2EENS0_17counting_iteratorIjlEEPS9_SG_NS0_5tupleIJPjSI_NS0_16reverse_iteratorISI_EEEEENSH_IJSG_SG_SG_EEES9_SI_JZNS1_25segmented_radix_sort_implINS0_14default_configELb0EPKdPdPKlPlN2at6native12_GLOBAL__N_18offset_tEEE10hipError_tPvRmT1_PNSt15iterator_traitsIS12_E10value_typeET2_T3_PNS13_IS18_E10value_typeET4_jRbjT5_S1E_jjP12ihipStream_tbEUljE_ZNSN_ISO_Lb0ESQ_SR_ST_SU_SY_EESZ_S10_S11_S12_S16_S17_S18_S1B_S1C_jS1D_jS1E_S1E_jjS1G_bEUljE0_EEESZ_S10_S11_S18_S1C_S1E_T6_T7_T9_mT8_S1G_bDpT10_ENKUlT_T0_E_clISt17integral_constantIbLb0EES1T_IbLb1EEEEDaS1P_S1Q_EUlS1P_E_NS1_11comp_targetILNS1_3genE9ELNS1_11target_archE1100ELNS1_3gpuE3ELNS1_3repE0EEENS1_30default_config_static_selectorELNS0_4arch9wavefront6targetE0EEEvS12_.has_dyn_sized_stack, 0
	.set _ZN7rocprim17ROCPRIM_400000_NS6detail17trampoline_kernelINS0_13select_configILj256ELj13ELNS0_17block_load_methodE3ELS4_3ELS4_3ELNS0_20block_scan_algorithmE0ELj4294967295EEENS1_25partition_config_selectorILNS1_17partition_subalgoE4EjNS0_10empty_typeEbEEZZNS1_14partition_implILS8_4ELb0ES6_15HIP_vector_typeIjLj2EENS0_17counting_iteratorIjlEEPS9_SG_NS0_5tupleIJPjSI_NS0_16reverse_iteratorISI_EEEEENSH_IJSG_SG_SG_EEES9_SI_JZNS1_25segmented_radix_sort_implINS0_14default_configELb0EPKdPdPKlPlN2at6native12_GLOBAL__N_18offset_tEEE10hipError_tPvRmT1_PNSt15iterator_traitsIS12_E10value_typeET2_T3_PNS13_IS18_E10value_typeET4_jRbjT5_S1E_jjP12ihipStream_tbEUljE_ZNSN_ISO_Lb0ESQ_SR_ST_SU_SY_EESZ_S10_S11_S12_S16_S17_S18_S1B_S1C_jS1D_jS1E_S1E_jjS1G_bEUljE0_EEESZ_S10_S11_S18_S1C_S1E_T6_T7_T9_mT8_S1G_bDpT10_ENKUlT_T0_E_clISt17integral_constantIbLb0EES1T_IbLb1EEEEDaS1P_S1Q_EUlS1P_E_NS1_11comp_targetILNS1_3genE9ELNS1_11target_archE1100ELNS1_3gpuE3ELNS1_3repE0EEENS1_30default_config_static_selectorELNS0_4arch9wavefront6targetE0EEEvS12_.has_recursion, 0
	.set _ZN7rocprim17ROCPRIM_400000_NS6detail17trampoline_kernelINS0_13select_configILj256ELj13ELNS0_17block_load_methodE3ELS4_3ELS4_3ELNS0_20block_scan_algorithmE0ELj4294967295EEENS1_25partition_config_selectorILNS1_17partition_subalgoE4EjNS0_10empty_typeEbEEZZNS1_14partition_implILS8_4ELb0ES6_15HIP_vector_typeIjLj2EENS0_17counting_iteratorIjlEEPS9_SG_NS0_5tupleIJPjSI_NS0_16reverse_iteratorISI_EEEEENSH_IJSG_SG_SG_EEES9_SI_JZNS1_25segmented_radix_sort_implINS0_14default_configELb0EPKdPdPKlPlN2at6native12_GLOBAL__N_18offset_tEEE10hipError_tPvRmT1_PNSt15iterator_traitsIS12_E10value_typeET2_T3_PNS13_IS18_E10value_typeET4_jRbjT5_S1E_jjP12ihipStream_tbEUljE_ZNSN_ISO_Lb0ESQ_SR_ST_SU_SY_EESZ_S10_S11_S12_S16_S17_S18_S1B_S1C_jS1D_jS1E_S1E_jjS1G_bEUljE0_EEESZ_S10_S11_S18_S1C_S1E_T6_T7_T9_mT8_S1G_bDpT10_ENKUlT_T0_E_clISt17integral_constantIbLb0EES1T_IbLb1EEEEDaS1P_S1Q_EUlS1P_E_NS1_11comp_targetILNS1_3genE9ELNS1_11target_archE1100ELNS1_3gpuE3ELNS1_3repE0EEENS1_30default_config_static_selectorELNS0_4arch9wavefront6targetE0EEEvS12_.has_indirect_call, 0
	.section	.AMDGPU.csdata,"",@progbits
; Kernel info:
; codeLenInByte = 0
; TotalNumSgprs: 0
; NumVgprs: 0
; ScratchSize: 0
; MemoryBound: 0
; FloatMode: 240
; IeeeMode: 1
; LDSByteSize: 0 bytes/workgroup (compile time only)
; SGPRBlocks: 0
; VGPRBlocks: 0
; NumSGPRsForWavesPerEU: 1
; NumVGPRsForWavesPerEU: 1
; Occupancy: 16
; WaveLimiterHint : 0
; COMPUTE_PGM_RSRC2:SCRATCH_EN: 0
; COMPUTE_PGM_RSRC2:USER_SGPR: 2
; COMPUTE_PGM_RSRC2:TRAP_HANDLER: 0
; COMPUTE_PGM_RSRC2:TGID_X_EN: 1
; COMPUTE_PGM_RSRC2:TGID_Y_EN: 0
; COMPUTE_PGM_RSRC2:TGID_Z_EN: 0
; COMPUTE_PGM_RSRC2:TIDIG_COMP_CNT: 0
	.section	.text._ZN7rocprim17ROCPRIM_400000_NS6detail17trampoline_kernelINS0_13select_configILj256ELj13ELNS0_17block_load_methodE3ELS4_3ELS4_3ELNS0_20block_scan_algorithmE0ELj4294967295EEENS1_25partition_config_selectorILNS1_17partition_subalgoE4EjNS0_10empty_typeEbEEZZNS1_14partition_implILS8_4ELb0ES6_15HIP_vector_typeIjLj2EENS0_17counting_iteratorIjlEEPS9_SG_NS0_5tupleIJPjSI_NS0_16reverse_iteratorISI_EEEEENSH_IJSG_SG_SG_EEES9_SI_JZNS1_25segmented_radix_sort_implINS0_14default_configELb0EPKdPdPKlPlN2at6native12_GLOBAL__N_18offset_tEEE10hipError_tPvRmT1_PNSt15iterator_traitsIS12_E10value_typeET2_T3_PNS13_IS18_E10value_typeET4_jRbjT5_S1E_jjP12ihipStream_tbEUljE_ZNSN_ISO_Lb0ESQ_SR_ST_SU_SY_EESZ_S10_S11_S12_S16_S17_S18_S1B_S1C_jS1D_jS1E_S1E_jjS1G_bEUljE0_EEESZ_S10_S11_S18_S1C_S1E_T6_T7_T9_mT8_S1G_bDpT10_ENKUlT_T0_E_clISt17integral_constantIbLb0EES1T_IbLb1EEEEDaS1P_S1Q_EUlS1P_E_NS1_11comp_targetILNS1_3genE8ELNS1_11target_archE1030ELNS1_3gpuE2ELNS1_3repE0EEENS1_30default_config_static_selectorELNS0_4arch9wavefront6targetE0EEEvS12_,"axG",@progbits,_ZN7rocprim17ROCPRIM_400000_NS6detail17trampoline_kernelINS0_13select_configILj256ELj13ELNS0_17block_load_methodE3ELS4_3ELS4_3ELNS0_20block_scan_algorithmE0ELj4294967295EEENS1_25partition_config_selectorILNS1_17partition_subalgoE4EjNS0_10empty_typeEbEEZZNS1_14partition_implILS8_4ELb0ES6_15HIP_vector_typeIjLj2EENS0_17counting_iteratorIjlEEPS9_SG_NS0_5tupleIJPjSI_NS0_16reverse_iteratorISI_EEEEENSH_IJSG_SG_SG_EEES9_SI_JZNS1_25segmented_radix_sort_implINS0_14default_configELb0EPKdPdPKlPlN2at6native12_GLOBAL__N_18offset_tEEE10hipError_tPvRmT1_PNSt15iterator_traitsIS12_E10value_typeET2_T3_PNS13_IS18_E10value_typeET4_jRbjT5_S1E_jjP12ihipStream_tbEUljE_ZNSN_ISO_Lb0ESQ_SR_ST_SU_SY_EESZ_S10_S11_S12_S16_S17_S18_S1B_S1C_jS1D_jS1E_S1E_jjS1G_bEUljE0_EEESZ_S10_S11_S18_S1C_S1E_T6_T7_T9_mT8_S1G_bDpT10_ENKUlT_T0_E_clISt17integral_constantIbLb0EES1T_IbLb1EEEEDaS1P_S1Q_EUlS1P_E_NS1_11comp_targetILNS1_3genE8ELNS1_11target_archE1030ELNS1_3gpuE2ELNS1_3repE0EEENS1_30default_config_static_selectorELNS0_4arch9wavefront6targetE0EEEvS12_,comdat
	.globl	_ZN7rocprim17ROCPRIM_400000_NS6detail17trampoline_kernelINS0_13select_configILj256ELj13ELNS0_17block_load_methodE3ELS4_3ELS4_3ELNS0_20block_scan_algorithmE0ELj4294967295EEENS1_25partition_config_selectorILNS1_17partition_subalgoE4EjNS0_10empty_typeEbEEZZNS1_14partition_implILS8_4ELb0ES6_15HIP_vector_typeIjLj2EENS0_17counting_iteratorIjlEEPS9_SG_NS0_5tupleIJPjSI_NS0_16reverse_iteratorISI_EEEEENSH_IJSG_SG_SG_EEES9_SI_JZNS1_25segmented_radix_sort_implINS0_14default_configELb0EPKdPdPKlPlN2at6native12_GLOBAL__N_18offset_tEEE10hipError_tPvRmT1_PNSt15iterator_traitsIS12_E10value_typeET2_T3_PNS13_IS18_E10value_typeET4_jRbjT5_S1E_jjP12ihipStream_tbEUljE_ZNSN_ISO_Lb0ESQ_SR_ST_SU_SY_EESZ_S10_S11_S12_S16_S17_S18_S1B_S1C_jS1D_jS1E_S1E_jjS1G_bEUljE0_EEESZ_S10_S11_S18_S1C_S1E_T6_T7_T9_mT8_S1G_bDpT10_ENKUlT_T0_E_clISt17integral_constantIbLb0EES1T_IbLb1EEEEDaS1P_S1Q_EUlS1P_E_NS1_11comp_targetILNS1_3genE8ELNS1_11target_archE1030ELNS1_3gpuE2ELNS1_3repE0EEENS1_30default_config_static_selectorELNS0_4arch9wavefront6targetE0EEEvS12_ ; -- Begin function _ZN7rocprim17ROCPRIM_400000_NS6detail17trampoline_kernelINS0_13select_configILj256ELj13ELNS0_17block_load_methodE3ELS4_3ELS4_3ELNS0_20block_scan_algorithmE0ELj4294967295EEENS1_25partition_config_selectorILNS1_17partition_subalgoE4EjNS0_10empty_typeEbEEZZNS1_14partition_implILS8_4ELb0ES6_15HIP_vector_typeIjLj2EENS0_17counting_iteratorIjlEEPS9_SG_NS0_5tupleIJPjSI_NS0_16reverse_iteratorISI_EEEEENSH_IJSG_SG_SG_EEES9_SI_JZNS1_25segmented_radix_sort_implINS0_14default_configELb0EPKdPdPKlPlN2at6native12_GLOBAL__N_18offset_tEEE10hipError_tPvRmT1_PNSt15iterator_traitsIS12_E10value_typeET2_T3_PNS13_IS18_E10value_typeET4_jRbjT5_S1E_jjP12ihipStream_tbEUljE_ZNSN_ISO_Lb0ESQ_SR_ST_SU_SY_EESZ_S10_S11_S12_S16_S17_S18_S1B_S1C_jS1D_jS1E_S1E_jjS1G_bEUljE0_EEESZ_S10_S11_S18_S1C_S1E_T6_T7_T9_mT8_S1G_bDpT10_ENKUlT_T0_E_clISt17integral_constantIbLb0EES1T_IbLb1EEEEDaS1P_S1Q_EUlS1P_E_NS1_11comp_targetILNS1_3genE8ELNS1_11target_archE1030ELNS1_3gpuE2ELNS1_3repE0EEENS1_30default_config_static_selectorELNS0_4arch9wavefront6targetE0EEEvS12_
	.p2align	8
	.type	_ZN7rocprim17ROCPRIM_400000_NS6detail17trampoline_kernelINS0_13select_configILj256ELj13ELNS0_17block_load_methodE3ELS4_3ELS4_3ELNS0_20block_scan_algorithmE0ELj4294967295EEENS1_25partition_config_selectorILNS1_17partition_subalgoE4EjNS0_10empty_typeEbEEZZNS1_14partition_implILS8_4ELb0ES6_15HIP_vector_typeIjLj2EENS0_17counting_iteratorIjlEEPS9_SG_NS0_5tupleIJPjSI_NS0_16reverse_iteratorISI_EEEEENSH_IJSG_SG_SG_EEES9_SI_JZNS1_25segmented_radix_sort_implINS0_14default_configELb0EPKdPdPKlPlN2at6native12_GLOBAL__N_18offset_tEEE10hipError_tPvRmT1_PNSt15iterator_traitsIS12_E10value_typeET2_T3_PNS13_IS18_E10value_typeET4_jRbjT5_S1E_jjP12ihipStream_tbEUljE_ZNSN_ISO_Lb0ESQ_SR_ST_SU_SY_EESZ_S10_S11_S12_S16_S17_S18_S1B_S1C_jS1D_jS1E_S1E_jjS1G_bEUljE0_EEESZ_S10_S11_S18_S1C_S1E_T6_T7_T9_mT8_S1G_bDpT10_ENKUlT_T0_E_clISt17integral_constantIbLb0EES1T_IbLb1EEEEDaS1P_S1Q_EUlS1P_E_NS1_11comp_targetILNS1_3genE8ELNS1_11target_archE1030ELNS1_3gpuE2ELNS1_3repE0EEENS1_30default_config_static_selectorELNS0_4arch9wavefront6targetE0EEEvS12_,@function
_ZN7rocprim17ROCPRIM_400000_NS6detail17trampoline_kernelINS0_13select_configILj256ELj13ELNS0_17block_load_methodE3ELS4_3ELS4_3ELNS0_20block_scan_algorithmE0ELj4294967295EEENS1_25partition_config_selectorILNS1_17partition_subalgoE4EjNS0_10empty_typeEbEEZZNS1_14partition_implILS8_4ELb0ES6_15HIP_vector_typeIjLj2EENS0_17counting_iteratorIjlEEPS9_SG_NS0_5tupleIJPjSI_NS0_16reverse_iteratorISI_EEEEENSH_IJSG_SG_SG_EEES9_SI_JZNS1_25segmented_radix_sort_implINS0_14default_configELb0EPKdPdPKlPlN2at6native12_GLOBAL__N_18offset_tEEE10hipError_tPvRmT1_PNSt15iterator_traitsIS12_E10value_typeET2_T3_PNS13_IS18_E10value_typeET4_jRbjT5_S1E_jjP12ihipStream_tbEUljE_ZNSN_ISO_Lb0ESQ_SR_ST_SU_SY_EESZ_S10_S11_S12_S16_S17_S18_S1B_S1C_jS1D_jS1E_S1E_jjS1G_bEUljE0_EEESZ_S10_S11_S18_S1C_S1E_T6_T7_T9_mT8_S1G_bDpT10_ENKUlT_T0_E_clISt17integral_constantIbLb0EES1T_IbLb1EEEEDaS1P_S1Q_EUlS1P_E_NS1_11comp_targetILNS1_3genE8ELNS1_11target_archE1030ELNS1_3gpuE2ELNS1_3repE0EEENS1_30default_config_static_selectorELNS0_4arch9wavefront6targetE0EEEvS12_: ; @_ZN7rocprim17ROCPRIM_400000_NS6detail17trampoline_kernelINS0_13select_configILj256ELj13ELNS0_17block_load_methodE3ELS4_3ELS4_3ELNS0_20block_scan_algorithmE0ELj4294967295EEENS1_25partition_config_selectorILNS1_17partition_subalgoE4EjNS0_10empty_typeEbEEZZNS1_14partition_implILS8_4ELb0ES6_15HIP_vector_typeIjLj2EENS0_17counting_iteratorIjlEEPS9_SG_NS0_5tupleIJPjSI_NS0_16reverse_iteratorISI_EEEEENSH_IJSG_SG_SG_EEES9_SI_JZNS1_25segmented_radix_sort_implINS0_14default_configELb0EPKdPdPKlPlN2at6native12_GLOBAL__N_18offset_tEEE10hipError_tPvRmT1_PNSt15iterator_traitsIS12_E10value_typeET2_T3_PNS13_IS18_E10value_typeET4_jRbjT5_S1E_jjP12ihipStream_tbEUljE_ZNSN_ISO_Lb0ESQ_SR_ST_SU_SY_EESZ_S10_S11_S12_S16_S17_S18_S1B_S1C_jS1D_jS1E_S1E_jjS1G_bEUljE0_EEESZ_S10_S11_S18_S1C_S1E_T6_T7_T9_mT8_S1G_bDpT10_ENKUlT_T0_E_clISt17integral_constantIbLb0EES1T_IbLb1EEEEDaS1P_S1Q_EUlS1P_E_NS1_11comp_targetILNS1_3genE8ELNS1_11target_archE1030ELNS1_3gpuE2ELNS1_3repE0EEENS1_30default_config_static_selectorELNS0_4arch9wavefront6targetE0EEEvS12_
; %bb.0:
	.section	.rodata,"a",@progbits
	.p2align	6, 0x0
	.amdhsa_kernel _ZN7rocprim17ROCPRIM_400000_NS6detail17trampoline_kernelINS0_13select_configILj256ELj13ELNS0_17block_load_methodE3ELS4_3ELS4_3ELNS0_20block_scan_algorithmE0ELj4294967295EEENS1_25partition_config_selectorILNS1_17partition_subalgoE4EjNS0_10empty_typeEbEEZZNS1_14partition_implILS8_4ELb0ES6_15HIP_vector_typeIjLj2EENS0_17counting_iteratorIjlEEPS9_SG_NS0_5tupleIJPjSI_NS0_16reverse_iteratorISI_EEEEENSH_IJSG_SG_SG_EEES9_SI_JZNS1_25segmented_radix_sort_implINS0_14default_configELb0EPKdPdPKlPlN2at6native12_GLOBAL__N_18offset_tEEE10hipError_tPvRmT1_PNSt15iterator_traitsIS12_E10value_typeET2_T3_PNS13_IS18_E10value_typeET4_jRbjT5_S1E_jjP12ihipStream_tbEUljE_ZNSN_ISO_Lb0ESQ_SR_ST_SU_SY_EESZ_S10_S11_S12_S16_S17_S18_S1B_S1C_jS1D_jS1E_S1E_jjS1G_bEUljE0_EEESZ_S10_S11_S18_S1C_S1E_T6_T7_T9_mT8_S1G_bDpT10_ENKUlT_T0_E_clISt17integral_constantIbLb0EES1T_IbLb1EEEEDaS1P_S1Q_EUlS1P_E_NS1_11comp_targetILNS1_3genE8ELNS1_11target_archE1030ELNS1_3gpuE2ELNS1_3repE0EEENS1_30default_config_static_selectorELNS0_4arch9wavefront6targetE0EEEvS12_
		.amdhsa_group_segment_fixed_size 0
		.amdhsa_private_segment_fixed_size 0
		.amdhsa_kernarg_size 184
		.amdhsa_user_sgpr_count 2
		.amdhsa_user_sgpr_dispatch_ptr 0
		.amdhsa_user_sgpr_queue_ptr 0
		.amdhsa_user_sgpr_kernarg_segment_ptr 1
		.amdhsa_user_sgpr_dispatch_id 0
		.amdhsa_user_sgpr_private_segment_size 0
		.amdhsa_wavefront_size32 1
		.amdhsa_uses_dynamic_stack 0
		.amdhsa_enable_private_segment 0
		.amdhsa_system_sgpr_workgroup_id_x 1
		.amdhsa_system_sgpr_workgroup_id_y 0
		.amdhsa_system_sgpr_workgroup_id_z 0
		.amdhsa_system_sgpr_workgroup_info 0
		.amdhsa_system_vgpr_workitem_id 0
		.amdhsa_next_free_vgpr 1
		.amdhsa_next_free_sgpr 1
		.amdhsa_reserve_vcc 0
		.amdhsa_float_round_mode_32 0
		.amdhsa_float_round_mode_16_64 0
		.amdhsa_float_denorm_mode_32 3
		.amdhsa_float_denorm_mode_16_64 3
		.amdhsa_fp16_overflow 0
		.amdhsa_workgroup_processor_mode 1
		.amdhsa_memory_ordered 1
		.amdhsa_forward_progress 1
		.amdhsa_inst_pref_size 0
		.amdhsa_round_robin_scheduling 0
		.amdhsa_exception_fp_ieee_invalid_op 0
		.amdhsa_exception_fp_denorm_src 0
		.amdhsa_exception_fp_ieee_div_zero 0
		.amdhsa_exception_fp_ieee_overflow 0
		.amdhsa_exception_fp_ieee_underflow 0
		.amdhsa_exception_fp_ieee_inexact 0
		.amdhsa_exception_int_div_zero 0
	.end_amdhsa_kernel
	.section	.text._ZN7rocprim17ROCPRIM_400000_NS6detail17trampoline_kernelINS0_13select_configILj256ELj13ELNS0_17block_load_methodE3ELS4_3ELS4_3ELNS0_20block_scan_algorithmE0ELj4294967295EEENS1_25partition_config_selectorILNS1_17partition_subalgoE4EjNS0_10empty_typeEbEEZZNS1_14partition_implILS8_4ELb0ES6_15HIP_vector_typeIjLj2EENS0_17counting_iteratorIjlEEPS9_SG_NS0_5tupleIJPjSI_NS0_16reverse_iteratorISI_EEEEENSH_IJSG_SG_SG_EEES9_SI_JZNS1_25segmented_radix_sort_implINS0_14default_configELb0EPKdPdPKlPlN2at6native12_GLOBAL__N_18offset_tEEE10hipError_tPvRmT1_PNSt15iterator_traitsIS12_E10value_typeET2_T3_PNS13_IS18_E10value_typeET4_jRbjT5_S1E_jjP12ihipStream_tbEUljE_ZNSN_ISO_Lb0ESQ_SR_ST_SU_SY_EESZ_S10_S11_S12_S16_S17_S18_S1B_S1C_jS1D_jS1E_S1E_jjS1G_bEUljE0_EEESZ_S10_S11_S18_S1C_S1E_T6_T7_T9_mT8_S1G_bDpT10_ENKUlT_T0_E_clISt17integral_constantIbLb0EES1T_IbLb1EEEEDaS1P_S1Q_EUlS1P_E_NS1_11comp_targetILNS1_3genE8ELNS1_11target_archE1030ELNS1_3gpuE2ELNS1_3repE0EEENS1_30default_config_static_selectorELNS0_4arch9wavefront6targetE0EEEvS12_,"axG",@progbits,_ZN7rocprim17ROCPRIM_400000_NS6detail17trampoline_kernelINS0_13select_configILj256ELj13ELNS0_17block_load_methodE3ELS4_3ELS4_3ELNS0_20block_scan_algorithmE0ELj4294967295EEENS1_25partition_config_selectorILNS1_17partition_subalgoE4EjNS0_10empty_typeEbEEZZNS1_14partition_implILS8_4ELb0ES6_15HIP_vector_typeIjLj2EENS0_17counting_iteratorIjlEEPS9_SG_NS0_5tupleIJPjSI_NS0_16reverse_iteratorISI_EEEEENSH_IJSG_SG_SG_EEES9_SI_JZNS1_25segmented_radix_sort_implINS0_14default_configELb0EPKdPdPKlPlN2at6native12_GLOBAL__N_18offset_tEEE10hipError_tPvRmT1_PNSt15iterator_traitsIS12_E10value_typeET2_T3_PNS13_IS18_E10value_typeET4_jRbjT5_S1E_jjP12ihipStream_tbEUljE_ZNSN_ISO_Lb0ESQ_SR_ST_SU_SY_EESZ_S10_S11_S12_S16_S17_S18_S1B_S1C_jS1D_jS1E_S1E_jjS1G_bEUljE0_EEESZ_S10_S11_S18_S1C_S1E_T6_T7_T9_mT8_S1G_bDpT10_ENKUlT_T0_E_clISt17integral_constantIbLb0EES1T_IbLb1EEEEDaS1P_S1Q_EUlS1P_E_NS1_11comp_targetILNS1_3genE8ELNS1_11target_archE1030ELNS1_3gpuE2ELNS1_3repE0EEENS1_30default_config_static_selectorELNS0_4arch9wavefront6targetE0EEEvS12_,comdat
.Lfunc_end1188:
	.size	_ZN7rocprim17ROCPRIM_400000_NS6detail17trampoline_kernelINS0_13select_configILj256ELj13ELNS0_17block_load_methodE3ELS4_3ELS4_3ELNS0_20block_scan_algorithmE0ELj4294967295EEENS1_25partition_config_selectorILNS1_17partition_subalgoE4EjNS0_10empty_typeEbEEZZNS1_14partition_implILS8_4ELb0ES6_15HIP_vector_typeIjLj2EENS0_17counting_iteratorIjlEEPS9_SG_NS0_5tupleIJPjSI_NS0_16reverse_iteratorISI_EEEEENSH_IJSG_SG_SG_EEES9_SI_JZNS1_25segmented_radix_sort_implINS0_14default_configELb0EPKdPdPKlPlN2at6native12_GLOBAL__N_18offset_tEEE10hipError_tPvRmT1_PNSt15iterator_traitsIS12_E10value_typeET2_T3_PNS13_IS18_E10value_typeET4_jRbjT5_S1E_jjP12ihipStream_tbEUljE_ZNSN_ISO_Lb0ESQ_SR_ST_SU_SY_EESZ_S10_S11_S12_S16_S17_S18_S1B_S1C_jS1D_jS1E_S1E_jjS1G_bEUljE0_EEESZ_S10_S11_S18_S1C_S1E_T6_T7_T9_mT8_S1G_bDpT10_ENKUlT_T0_E_clISt17integral_constantIbLb0EES1T_IbLb1EEEEDaS1P_S1Q_EUlS1P_E_NS1_11comp_targetILNS1_3genE8ELNS1_11target_archE1030ELNS1_3gpuE2ELNS1_3repE0EEENS1_30default_config_static_selectorELNS0_4arch9wavefront6targetE0EEEvS12_, .Lfunc_end1188-_ZN7rocprim17ROCPRIM_400000_NS6detail17trampoline_kernelINS0_13select_configILj256ELj13ELNS0_17block_load_methodE3ELS4_3ELS4_3ELNS0_20block_scan_algorithmE0ELj4294967295EEENS1_25partition_config_selectorILNS1_17partition_subalgoE4EjNS0_10empty_typeEbEEZZNS1_14partition_implILS8_4ELb0ES6_15HIP_vector_typeIjLj2EENS0_17counting_iteratorIjlEEPS9_SG_NS0_5tupleIJPjSI_NS0_16reverse_iteratorISI_EEEEENSH_IJSG_SG_SG_EEES9_SI_JZNS1_25segmented_radix_sort_implINS0_14default_configELb0EPKdPdPKlPlN2at6native12_GLOBAL__N_18offset_tEEE10hipError_tPvRmT1_PNSt15iterator_traitsIS12_E10value_typeET2_T3_PNS13_IS18_E10value_typeET4_jRbjT5_S1E_jjP12ihipStream_tbEUljE_ZNSN_ISO_Lb0ESQ_SR_ST_SU_SY_EESZ_S10_S11_S12_S16_S17_S18_S1B_S1C_jS1D_jS1E_S1E_jjS1G_bEUljE0_EEESZ_S10_S11_S18_S1C_S1E_T6_T7_T9_mT8_S1G_bDpT10_ENKUlT_T0_E_clISt17integral_constantIbLb0EES1T_IbLb1EEEEDaS1P_S1Q_EUlS1P_E_NS1_11comp_targetILNS1_3genE8ELNS1_11target_archE1030ELNS1_3gpuE2ELNS1_3repE0EEENS1_30default_config_static_selectorELNS0_4arch9wavefront6targetE0EEEvS12_
                                        ; -- End function
	.set _ZN7rocprim17ROCPRIM_400000_NS6detail17trampoline_kernelINS0_13select_configILj256ELj13ELNS0_17block_load_methodE3ELS4_3ELS4_3ELNS0_20block_scan_algorithmE0ELj4294967295EEENS1_25partition_config_selectorILNS1_17partition_subalgoE4EjNS0_10empty_typeEbEEZZNS1_14partition_implILS8_4ELb0ES6_15HIP_vector_typeIjLj2EENS0_17counting_iteratorIjlEEPS9_SG_NS0_5tupleIJPjSI_NS0_16reverse_iteratorISI_EEEEENSH_IJSG_SG_SG_EEES9_SI_JZNS1_25segmented_radix_sort_implINS0_14default_configELb0EPKdPdPKlPlN2at6native12_GLOBAL__N_18offset_tEEE10hipError_tPvRmT1_PNSt15iterator_traitsIS12_E10value_typeET2_T3_PNS13_IS18_E10value_typeET4_jRbjT5_S1E_jjP12ihipStream_tbEUljE_ZNSN_ISO_Lb0ESQ_SR_ST_SU_SY_EESZ_S10_S11_S12_S16_S17_S18_S1B_S1C_jS1D_jS1E_S1E_jjS1G_bEUljE0_EEESZ_S10_S11_S18_S1C_S1E_T6_T7_T9_mT8_S1G_bDpT10_ENKUlT_T0_E_clISt17integral_constantIbLb0EES1T_IbLb1EEEEDaS1P_S1Q_EUlS1P_E_NS1_11comp_targetILNS1_3genE8ELNS1_11target_archE1030ELNS1_3gpuE2ELNS1_3repE0EEENS1_30default_config_static_selectorELNS0_4arch9wavefront6targetE0EEEvS12_.num_vgpr, 0
	.set _ZN7rocprim17ROCPRIM_400000_NS6detail17trampoline_kernelINS0_13select_configILj256ELj13ELNS0_17block_load_methodE3ELS4_3ELS4_3ELNS0_20block_scan_algorithmE0ELj4294967295EEENS1_25partition_config_selectorILNS1_17partition_subalgoE4EjNS0_10empty_typeEbEEZZNS1_14partition_implILS8_4ELb0ES6_15HIP_vector_typeIjLj2EENS0_17counting_iteratorIjlEEPS9_SG_NS0_5tupleIJPjSI_NS0_16reverse_iteratorISI_EEEEENSH_IJSG_SG_SG_EEES9_SI_JZNS1_25segmented_radix_sort_implINS0_14default_configELb0EPKdPdPKlPlN2at6native12_GLOBAL__N_18offset_tEEE10hipError_tPvRmT1_PNSt15iterator_traitsIS12_E10value_typeET2_T3_PNS13_IS18_E10value_typeET4_jRbjT5_S1E_jjP12ihipStream_tbEUljE_ZNSN_ISO_Lb0ESQ_SR_ST_SU_SY_EESZ_S10_S11_S12_S16_S17_S18_S1B_S1C_jS1D_jS1E_S1E_jjS1G_bEUljE0_EEESZ_S10_S11_S18_S1C_S1E_T6_T7_T9_mT8_S1G_bDpT10_ENKUlT_T0_E_clISt17integral_constantIbLb0EES1T_IbLb1EEEEDaS1P_S1Q_EUlS1P_E_NS1_11comp_targetILNS1_3genE8ELNS1_11target_archE1030ELNS1_3gpuE2ELNS1_3repE0EEENS1_30default_config_static_selectorELNS0_4arch9wavefront6targetE0EEEvS12_.num_agpr, 0
	.set _ZN7rocprim17ROCPRIM_400000_NS6detail17trampoline_kernelINS0_13select_configILj256ELj13ELNS0_17block_load_methodE3ELS4_3ELS4_3ELNS0_20block_scan_algorithmE0ELj4294967295EEENS1_25partition_config_selectorILNS1_17partition_subalgoE4EjNS0_10empty_typeEbEEZZNS1_14partition_implILS8_4ELb0ES6_15HIP_vector_typeIjLj2EENS0_17counting_iteratorIjlEEPS9_SG_NS0_5tupleIJPjSI_NS0_16reverse_iteratorISI_EEEEENSH_IJSG_SG_SG_EEES9_SI_JZNS1_25segmented_radix_sort_implINS0_14default_configELb0EPKdPdPKlPlN2at6native12_GLOBAL__N_18offset_tEEE10hipError_tPvRmT1_PNSt15iterator_traitsIS12_E10value_typeET2_T3_PNS13_IS18_E10value_typeET4_jRbjT5_S1E_jjP12ihipStream_tbEUljE_ZNSN_ISO_Lb0ESQ_SR_ST_SU_SY_EESZ_S10_S11_S12_S16_S17_S18_S1B_S1C_jS1D_jS1E_S1E_jjS1G_bEUljE0_EEESZ_S10_S11_S18_S1C_S1E_T6_T7_T9_mT8_S1G_bDpT10_ENKUlT_T0_E_clISt17integral_constantIbLb0EES1T_IbLb1EEEEDaS1P_S1Q_EUlS1P_E_NS1_11comp_targetILNS1_3genE8ELNS1_11target_archE1030ELNS1_3gpuE2ELNS1_3repE0EEENS1_30default_config_static_selectorELNS0_4arch9wavefront6targetE0EEEvS12_.numbered_sgpr, 0
	.set _ZN7rocprim17ROCPRIM_400000_NS6detail17trampoline_kernelINS0_13select_configILj256ELj13ELNS0_17block_load_methodE3ELS4_3ELS4_3ELNS0_20block_scan_algorithmE0ELj4294967295EEENS1_25partition_config_selectorILNS1_17partition_subalgoE4EjNS0_10empty_typeEbEEZZNS1_14partition_implILS8_4ELb0ES6_15HIP_vector_typeIjLj2EENS0_17counting_iteratorIjlEEPS9_SG_NS0_5tupleIJPjSI_NS0_16reverse_iteratorISI_EEEEENSH_IJSG_SG_SG_EEES9_SI_JZNS1_25segmented_radix_sort_implINS0_14default_configELb0EPKdPdPKlPlN2at6native12_GLOBAL__N_18offset_tEEE10hipError_tPvRmT1_PNSt15iterator_traitsIS12_E10value_typeET2_T3_PNS13_IS18_E10value_typeET4_jRbjT5_S1E_jjP12ihipStream_tbEUljE_ZNSN_ISO_Lb0ESQ_SR_ST_SU_SY_EESZ_S10_S11_S12_S16_S17_S18_S1B_S1C_jS1D_jS1E_S1E_jjS1G_bEUljE0_EEESZ_S10_S11_S18_S1C_S1E_T6_T7_T9_mT8_S1G_bDpT10_ENKUlT_T0_E_clISt17integral_constantIbLb0EES1T_IbLb1EEEEDaS1P_S1Q_EUlS1P_E_NS1_11comp_targetILNS1_3genE8ELNS1_11target_archE1030ELNS1_3gpuE2ELNS1_3repE0EEENS1_30default_config_static_selectorELNS0_4arch9wavefront6targetE0EEEvS12_.num_named_barrier, 0
	.set _ZN7rocprim17ROCPRIM_400000_NS6detail17trampoline_kernelINS0_13select_configILj256ELj13ELNS0_17block_load_methodE3ELS4_3ELS4_3ELNS0_20block_scan_algorithmE0ELj4294967295EEENS1_25partition_config_selectorILNS1_17partition_subalgoE4EjNS0_10empty_typeEbEEZZNS1_14partition_implILS8_4ELb0ES6_15HIP_vector_typeIjLj2EENS0_17counting_iteratorIjlEEPS9_SG_NS0_5tupleIJPjSI_NS0_16reverse_iteratorISI_EEEEENSH_IJSG_SG_SG_EEES9_SI_JZNS1_25segmented_radix_sort_implINS0_14default_configELb0EPKdPdPKlPlN2at6native12_GLOBAL__N_18offset_tEEE10hipError_tPvRmT1_PNSt15iterator_traitsIS12_E10value_typeET2_T3_PNS13_IS18_E10value_typeET4_jRbjT5_S1E_jjP12ihipStream_tbEUljE_ZNSN_ISO_Lb0ESQ_SR_ST_SU_SY_EESZ_S10_S11_S12_S16_S17_S18_S1B_S1C_jS1D_jS1E_S1E_jjS1G_bEUljE0_EEESZ_S10_S11_S18_S1C_S1E_T6_T7_T9_mT8_S1G_bDpT10_ENKUlT_T0_E_clISt17integral_constantIbLb0EES1T_IbLb1EEEEDaS1P_S1Q_EUlS1P_E_NS1_11comp_targetILNS1_3genE8ELNS1_11target_archE1030ELNS1_3gpuE2ELNS1_3repE0EEENS1_30default_config_static_selectorELNS0_4arch9wavefront6targetE0EEEvS12_.private_seg_size, 0
	.set _ZN7rocprim17ROCPRIM_400000_NS6detail17trampoline_kernelINS0_13select_configILj256ELj13ELNS0_17block_load_methodE3ELS4_3ELS4_3ELNS0_20block_scan_algorithmE0ELj4294967295EEENS1_25partition_config_selectorILNS1_17partition_subalgoE4EjNS0_10empty_typeEbEEZZNS1_14partition_implILS8_4ELb0ES6_15HIP_vector_typeIjLj2EENS0_17counting_iteratorIjlEEPS9_SG_NS0_5tupleIJPjSI_NS0_16reverse_iteratorISI_EEEEENSH_IJSG_SG_SG_EEES9_SI_JZNS1_25segmented_radix_sort_implINS0_14default_configELb0EPKdPdPKlPlN2at6native12_GLOBAL__N_18offset_tEEE10hipError_tPvRmT1_PNSt15iterator_traitsIS12_E10value_typeET2_T3_PNS13_IS18_E10value_typeET4_jRbjT5_S1E_jjP12ihipStream_tbEUljE_ZNSN_ISO_Lb0ESQ_SR_ST_SU_SY_EESZ_S10_S11_S12_S16_S17_S18_S1B_S1C_jS1D_jS1E_S1E_jjS1G_bEUljE0_EEESZ_S10_S11_S18_S1C_S1E_T6_T7_T9_mT8_S1G_bDpT10_ENKUlT_T0_E_clISt17integral_constantIbLb0EES1T_IbLb1EEEEDaS1P_S1Q_EUlS1P_E_NS1_11comp_targetILNS1_3genE8ELNS1_11target_archE1030ELNS1_3gpuE2ELNS1_3repE0EEENS1_30default_config_static_selectorELNS0_4arch9wavefront6targetE0EEEvS12_.uses_vcc, 0
	.set _ZN7rocprim17ROCPRIM_400000_NS6detail17trampoline_kernelINS0_13select_configILj256ELj13ELNS0_17block_load_methodE3ELS4_3ELS4_3ELNS0_20block_scan_algorithmE0ELj4294967295EEENS1_25partition_config_selectorILNS1_17partition_subalgoE4EjNS0_10empty_typeEbEEZZNS1_14partition_implILS8_4ELb0ES6_15HIP_vector_typeIjLj2EENS0_17counting_iteratorIjlEEPS9_SG_NS0_5tupleIJPjSI_NS0_16reverse_iteratorISI_EEEEENSH_IJSG_SG_SG_EEES9_SI_JZNS1_25segmented_radix_sort_implINS0_14default_configELb0EPKdPdPKlPlN2at6native12_GLOBAL__N_18offset_tEEE10hipError_tPvRmT1_PNSt15iterator_traitsIS12_E10value_typeET2_T3_PNS13_IS18_E10value_typeET4_jRbjT5_S1E_jjP12ihipStream_tbEUljE_ZNSN_ISO_Lb0ESQ_SR_ST_SU_SY_EESZ_S10_S11_S12_S16_S17_S18_S1B_S1C_jS1D_jS1E_S1E_jjS1G_bEUljE0_EEESZ_S10_S11_S18_S1C_S1E_T6_T7_T9_mT8_S1G_bDpT10_ENKUlT_T0_E_clISt17integral_constantIbLb0EES1T_IbLb1EEEEDaS1P_S1Q_EUlS1P_E_NS1_11comp_targetILNS1_3genE8ELNS1_11target_archE1030ELNS1_3gpuE2ELNS1_3repE0EEENS1_30default_config_static_selectorELNS0_4arch9wavefront6targetE0EEEvS12_.uses_flat_scratch, 0
	.set _ZN7rocprim17ROCPRIM_400000_NS6detail17trampoline_kernelINS0_13select_configILj256ELj13ELNS0_17block_load_methodE3ELS4_3ELS4_3ELNS0_20block_scan_algorithmE0ELj4294967295EEENS1_25partition_config_selectorILNS1_17partition_subalgoE4EjNS0_10empty_typeEbEEZZNS1_14partition_implILS8_4ELb0ES6_15HIP_vector_typeIjLj2EENS0_17counting_iteratorIjlEEPS9_SG_NS0_5tupleIJPjSI_NS0_16reverse_iteratorISI_EEEEENSH_IJSG_SG_SG_EEES9_SI_JZNS1_25segmented_radix_sort_implINS0_14default_configELb0EPKdPdPKlPlN2at6native12_GLOBAL__N_18offset_tEEE10hipError_tPvRmT1_PNSt15iterator_traitsIS12_E10value_typeET2_T3_PNS13_IS18_E10value_typeET4_jRbjT5_S1E_jjP12ihipStream_tbEUljE_ZNSN_ISO_Lb0ESQ_SR_ST_SU_SY_EESZ_S10_S11_S12_S16_S17_S18_S1B_S1C_jS1D_jS1E_S1E_jjS1G_bEUljE0_EEESZ_S10_S11_S18_S1C_S1E_T6_T7_T9_mT8_S1G_bDpT10_ENKUlT_T0_E_clISt17integral_constantIbLb0EES1T_IbLb1EEEEDaS1P_S1Q_EUlS1P_E_NS1_11comp_targetILNS1_3genE8ELNS1_11target_archE1030ELNS1_3gpuE2ELNS1_3repE0EEENS1_30default_config_static_selectorELNS0_4arch9wavefront6targetE0EEEvS12_.has_dyn_sized_stack, 0
	.set _ZN7rocprim17ROCPRIM_400000_NS6detail17trampoline_kernelINS0_13select_configILj256ELj13ELNS0_17block_load_methodE3ELS4_3ELS4_3ELNS0_20block_scan_algorithmE0ELj4294967295EEENS1_25partition_config_selectorILNS1_17partition_subalgoE4EjNS0_10empty_typeEbEEZZNS1_14partition_implILS8_4ELb0ES6_15HIP_vector_typeIjLj2EENS0_17counting_iteratorIjlEEPS9_SG_NS0_5tupleIJPjSI_NS0_16reverse_iteratorISI_EEEEENSH_IJSG_SG_SG_EEES9_SI_JZNS1_25segmented_radix_sort_implINS0_14default_configELb0EPKdPdPKlPlN2at6native12_GLOBAL__N_18offset_tEEE10hipError_tPvRmT1_PNSt15iterator_traitsIS12_E10value_typeET2_T3_PNS13_IS18_E10value_typeET4_jRbjT5_S1E_jjP12ihipStream_tbEUljE_ZNSN_ISO_Lb0ESQ_SR_ST_SU_SY_EESZ_S10_S11_S12_S16_S17_S18_S1B_S1C_jS1D_jS1E_S1E_jjS1G_bEUljE0_EEESZ_S10_S11_S18_S1C_S1E_T6_T7_T9_mT8_S1G_bDpT10_ENKUlT_T0_E_clISt17integral_constantIbLb0EES1T_IbLb1EEEEDaS1P_S1Q_EUlS1P_E_NS1_11comp_targetILNS1_3genE8ELNS1_11target_archE1030ELNS1_3gpuE2ELNS1_3repE0EEENS1_30default_config_static_selectorELNS0_4arch9wavefront6targetE0EEEvS12_.has_recursion, 0
	.set _ZN7rocprim17ROCPRIM_400000_NS6detail17trampoline_kernelINS0_13select_configILj256ELj13ELNS0_17block_load_methodE3ELS4_3ELS4_3ELNS0_20block_scan_algorithmE0ELj4294967295EEENS1_25partition_config_selectorILNS1_17partition_subalgoE4EjNS0_10empty_typeEbEEZZNS1_14partition_implILS8_4ELb0ES6_15HIP_vector_typeIjLj2EENS0_17counting_iteratorIjlEEPS9_SG_NS0_5tupleIJPjSI_NS0_16reverse_iteratorISI_EEEEENSH_IJSG_SG_SG_EEES9_SI_JZNS1_25segmented_radix_sort_implINS0_14default_configELb0EPKdPdPKlPlN2at6native12_GLOBAL__N_18offset_tEEE10hipError_tPvRmT1_PNSt15iterator_traitsIS12_E10value_typeET2_T3_PNS13_IS18_E10value_typeET4_jRbjT5_S1E_jjP12ihipStream_tbEUljE_ZNSN_ISO_Lb0ESQ_SR_ST_SU_SY_EESZ_S10_S11_S12_S16_S17_S18_S1B_S1C_jS1D_jS1E_S1E_jjS1G_bEUljE0_EEESZ_S10_S11_S18_S1C_S1E_T6_T7_T9_mT8_S1G_bDpT10_ENKUlT_T0_E_clISt17integral_constantIbLb0EES1T_IbLb1EEEEDaS1P_S1Q_EUlS1P_E_NS1_11comp_targetILNS1_3genE8ELNS1_11target_archE1030ELNS1_3gpuE2ELNS1_3repE0EEENS1_30default_config_static_selectorELNS0_4arch9wavefront6targetE0EEEvS12_.has_indirect_call, 0
	.section	.AMDGPU.csdata,"",@progbits
; Kernel info:
; codeLenInByte = 0
; TotalNumSgprs: 0
; NumVgprs: 0
; ScratchSize: 0
; MemoryBound: 0
; FloatMode: 240
; IeeeMode: 1
; LDSByteSize: 0 bytes/workgroup (compile time only)
; SGPRBlocks: 0
; VGPRBlocks: 0
; NumSGPRsForWavesPerEU: 1
; NumVGPRsForWavesPerEU: 1
; Occupancy: 16
; WaveLimiterHint : 0
; COMPUTE_PGM_RSRC2:SCRATCH_EN: 0
; COMPUTE_PGM_RSRC2:USER_SGPR: 2
; COMPUTE_PGM_RSRC2:TRAP_HANDLER: 0
; COMPUTE_PGM_RSRC2:TGID_X_EN: 1
; COMPUTE_PGM_RSRC2:TGID_Y_EN: 0
; COMPUTE_PGM_RSRC2:TGID_Z_EN: 0
; COMPUTE_PGM_RSRC2:TIDIG_COMP_CNT: 0
	.section	.text._ZN7rocprim17ROCPRIM_400000_NS6detail17trampoline_kernelINS0_13select_configILj256ELj13ELNS0_17block_load_methodE3ELS4_3ELS4_3ELNS0_20block_scan_algorithmE0ELj4294967295EEENS1_25partition_config_selectorILNS1_17partition_subalgoE3EjNS0_10empty_typeEbEEZZNS1_14partition_implILS8_3ELb0ES6_jNS0_17counting_iteratorIjlEEPS9_SE_NS0_5tupleIJPjSE_EEENSF_IJSE_SE_EEES9_SG_JZNS1_25segmented_radix_sort_implINS0_14default_configELb0EPKdPdPKlPlN2at6native12_GLOBAL__N_18offset_tEEE10hipError_tPvRmT1_PNSt15iterator_traitsISY_E10value_typeET2_T3_PNSZ_IS14_E10value_typeET4_jRbjT5_S1A_jjP12ihipStream_tbEUljE_EEESV_SW_SX_S14_S18_S1A_T6_T7_T9_mT8_S1C_bDpT10_ENKUlT_T0_E_clISt17integral_constantIbLb0EES1P_EEDaS1K_S1L_EUlS1K_E_NS1_11comp_targetILNS1_3genE0ELNS1_11target_archE4294967295ELNS1_3gpuE0ELNS1_3repE0EEENS1_30default_config_static_selectorELNS0_4arch9wavefront6targetE0EEEvSY_,"axG",@progbits,_ZN7rocprim17ROCPRIM_400000_NS6detail17trampoline_kernelINS0_13select_configILj256ELj13ELNS0_17block_load_methodE3ELS4_3ELS4_3ELNS0_20block_scan_algorithmE0ELj4294967295EEENS1_25partition_config_selectorILNS1_17partition_subalgoE3EjNS0_10empty_typeEbEEZZNS1_14partition_implILS8_3ELb0ES6_jNS0_17counting_iteratorIjlEEPS9_SE_NS0_5tupleIJPjSE_EEENSF_IJSE_SE_EEES9_SG_JZNS1_25segmented_radix_sort_implINS0_14default_configELb0EPKdPdPKlPlN2at6native12_GLOBAL__N_18offset_tEEE10hipError_tPvRmT1_PNSt15iterator_traitsISY_E10value_typeET2_T3_PNSZ_IS14_E10value_typeET4_jRbjT5_S1A_jjP12ihipStream_tbEUljE_EEESV_SW_SX_S14_S18_S1A_T6_T7_T9_mT8_S1C_bDpT10_ENKUlT_T0_E_clISt17integral_constantIbLb0EES1P_EEDaS1K_S1L_EUlS1K_E_NS1_11comp_targetILNS1_3genE0ELNS1_11target_archE4294967295ELNS1_3gpuE0ELNS1_3repE0EEENS1_30default_config_static_selectorELNS0_4arch9wavefront6targetE0EEEvSY_,comdat
	.globl	_ZN7rocprim17ROCPRIM_400000_NS6detail17trampoline_kernelINS0_13select_configILj256ELj13ELNS0_17block_load_methodE3ELS4_3ELS4_3ELNS0_20block_scan_algorithmE0ELj4294967295EEENS1_25partition_config_selectorILNS1_17partition_subalgoE3EjNS0_10empty_typeEbEEZZNS1_14partition_implILS8_3ELb0ES6_jNS0_17counting_iteratorIjlEEPS9_SE_NS0_5tupleIJPjSE_EEENSF_IJSE_SE_EEES9_SG_JZNS1_25segmented_radix_sort_implINS0_14default_configELb0EPKdPdPKlPlN2at6native12_GLOBAL__N_18offset_tEEE10hipError_tPvRmT1_PNSt15iterator_traitsISY_E10value_typeET2_T3_PNSZ_IS14_E10value_typeET4_jRbjT5_S1A_jjP12ihipStream_tbEUljE_EEESV_SW_SX_S14_S18_S1A_T6_T7_T9_mT8_S1C_bDpT10_ENKUlT_T0_E_clISt17integral_constantIbLb0EES1P_EEDaS1K_S1L_EUlS1K_E_NS1_11comp_targetILNS1_3genE0ELNS1_11target_archE4294967295ELNS1_3gpuE0ELNS1_3repE0EEENS1_30default_config_static_selectorELNS0_4arch9wavefront6targetE0EEEvSY_ ; -- Begin function _ZN7rocprim17ROCPRIM_400000_NS6detail17trampoline_kernelINS0_13select_configILj256ELj13ELNS0_17block_load_methodE3ELS4_3ELS4_3ELNS0_20block_scan_algorithmE0ELj4294967295EEENS1_25partition_config_selectorILNS1_17partition_subalgoE3EjNS0_10empty_typeEbEEZZNS1_14partition_implILS8_3ELb0ES6_jNS0_17counting_iteratorIjlEEPS9_SE_NS0_5tupleIJPjSE_EEENSF_IJSE_SE_EEES9_SG_JZNS1_25segmented_radix_sort_implINS0_14default_configELb0EPKdPdPKlPlN2at6native12_GLOBAL__N_18offset_tEEE10hipError_tPvRmT1_PNSt15iterator_traitsISY_E10value_typeET2_T3_PNSZ_IS14_E10value_typeET4_jRbjT5_S1A_jjP12ihipStream_tbEUljE_EEESV_SW_SX_S14_S18_S1A_T6_T7_T9_mT8_S1C_bDpT10_ENKUlT_T0_E_clISt17integral_constantIbLb0EES1P_EEDaS1K_S1L_EUlS1K_E_NS1_11comp_targetILNS1_3genE0ELNS1_11target_archE4294967295ELNS1_3gpuE0ELNS1_3repE0EEENS1_30default_config_static_selectorELNS0_4arch9wavefront6targetE0EEEvSY_
	.p2align	8
	.type	_ZN7rocprim17ROCPRIM_400000_NS6detail17trampoline_kernelINS0_13select_configILj256ELj13ELNS0_17block_load_methodE3ELS4_3ELS4_3ELNS0_20block_scan_algorithmE0ELj4294967295EEENS1_25partition_config_selectorILNS1_17partition_subalgoE3EjNS0_10empty_typeEbEEZZNS1_14partition_implILS8_3ELb0ES6_jNS0_17counting_iteratorIjlEEPS9_SE_NS0_5tupleIJPjSE_EEENSF_IJSE_SE_EEES9_SG_JZNS1_25segmented_radix_sort_implINS0_14default_configELb0EPKdPdPKlPlN2at6native12_GLOBAL__N_18offset_tEEE10hipError_tPvRmT1_PNSt15iterator_traitsISY_E10value_typeET2_T3_PNSZ_IS14_E10value_typeET4_jRbjT5_S1A_jjP12ihipStream_tbEUljE_EEESV_SW_SX_S14_S18_S1A_T6_T7_T9_mT8_S1C_bDpT10_ENKUlT_T0_E_clISt17integral_constantIbLb0EES1P_EEDaS1K_S1L_EUlS1K_E_NS1_11comp_targetILNS1_3genE0ELNS1_11target_archE4294967295ELNS1_3gpuE0ELNS1_3repE0EEENS1_30default_config_static_selectorELNS0_4arch9wavefront6targetE0EEEvSY_,@function
_ZN7rocprim17ROCPRIM_400000_NS6detail17trampoline_kernelINS0_13select_configILj256ELj13ELNS0_17block_load_methodE3ELS4_3ELS4_3ELNS0_20block_scan_algorithmE0ELj4294967295EEENS1_25partition_config_selectorILNS1_17partition_subalgoE3EjNS0_10empty_typeEbEEZZNS1_14partition_implILS8_3ELb0ES6_jNS0_17counting_iteratorIjlEEPS9_SE_NS0_5tupleIJPjSE_EEENSF_IJSE_SE_EEES9_SG_JZNS1_25segmented_radix_sort_implINS0_14default_configELb0EPKdPdPKlPlN2at6native12_GLOBAL__N_18offset_tEEE10hipError_tPvRmT1_PNSt15iterator_traitsISY_E10value_typeET2_T3_PNSZ_IS14_E10value_typeET4_jRbjT5_S1A_jjP12ihipStream_tbEUljE_EEESV_SW_SX_S14_S18_S1A_T6_T7_T9_mT8_S1C_bDpT10_ENKUlT_T0_E_clISt17integral_constantIbLb0EES1P_EEDaS1K_S1L_EUlS1K_E_NS1_11comp_targetILNS1_3genE0ELNS1_11target_archE4294967295ELNS1_3gpuE0ELNS1_3repE0EEENS1_30default_config_static_selectorELNS0_4arch9wavefront6targetE0EEEvSY_: ; @_ZN7rocprim17ROCPRIM_400000_NS6detail17trampoline_kernelINS0_13select_configILj256ELj13ELNS0_17block_load_methodE3ELS4_3ELS4_3ELNS0_20block_scan_algorithmE0ELj4294967295EEENS1_25partition_config_selectorILNS1_17partition_subalgoE3EjNS0_10empty_typeEbEEZZNS1_14partition_implILS8_3ELb0ES6_jNS0_17counting_iteratorIjlEEPS9_SE_NS0_5tupleIJPjSE_EEENSF_IJSE_SE_EEES9_SG_JZNS1_25segmented_radix_sort_implINS0_14default_configELb0EPKdPdPKlPlN2at6native12_GLOBAL__N_18offset_tEEE10hipError_tPvRmT1_PNSt15iterator_traitsISY_E10value_typeET2_T3_PNSZ_IS14_E10value_typeET4_jRbjT5_S1A_jjP12ihipStream_tbEUljE_EEESV_SW_SX_S14_S18_S1A_T6_T7_T9_mT8_S1C_bDpT10_ENKUlT_T0_E_clISt17integral_constantIbLb0EES1P_EEDaS1K_S1L_EUlS1K_E_NS1_11comp_targetILNS1_3genE0ELNS1_11target_archE4294967295ELNS1_3gpuE0ELNS1_3repE0EEENS1_30default_config_static_selectorELNS0_4arch9wavefront6targetE0EEEvSY_
; %bb.0:
	.section	.rodata,"a",@progbits
	.p2align	6, 0x0
	.amdhsa_kernel _ZN7rocprim17ROCPRIM_400000_NS6detail17trampoline_kernelINS0_13select_configILj256ELj13ELNS0_17block_load_methodE3ELS4_3ELS4_3ELNS0_20block_scan_algorithmE0ELj4294967295EEENS1_25partition_config_selectorILNS1_17partition_subalgoE3EjNS0_10empty_typeEbEEZZNS1_14partition_implILS8_3ELb0ES6_jNS0_17counting_iteratorIjlEEPS9_SE_NS0_5tupleIJPjSE_EEENSF_IJSE_SE_EEES9_SG_JZNS1_25segmented_radix_sort_implINS0_14default_configELb0EPKdPdPKlPlN2at6native12_GLOBAL__N_18offset_tEEE10hipError_tPvRmT1_PNSt15iterator_traitsISY_E10value_typeET2_T3_PNSZ_IS14_E10value_typeET4_jRbjT5_S1A_jjP12ihipStream_tbEUljE_EEESV_SW_SX_S14_S18_S1A_T6_T7_T9_mT8_S1C_bDpT10_ENKUlT_T0_E_clISt17integral_constantIbLb0EES1P_EEDaS1K_S1L_EUlS1K_E_NS1_11comp_targetILNS1_3genE0ELNS1_11target_archE4294967295ELNS1_3gpuE0ELNS1_3repE0EEENS1_30default_config_static_selectorELNS0_4arch9wavefront6targetE0EEEvSY_
		.amdhsa_group_segment_fixed_size 0
		.amdhsa_private_segment_fixed_size 0
		.amdhsa_kernarg_size 144
		.amdhsa_user_sgpr_count 2
		.amdhsa_user_sgpr_dispatch_ptr 0
		.amdhsa_user_sgpr_queue_ptr 0
		.amdhsa_user_sgpr_kernarg_segment_ptr 1
		.amdhsa_user_sgpr_dispatch_id 0
		.amdhsa_user_sgpr_private_segment_size 0
		.amdhsa_wavefront_size32 1
		.amdhsa_uses_dynamic_stack 0
		.amdhsa_enable_private_segment 0
		.amdhsa_system_sgpr_workgroup_id_x 1
		.amdhsa_system_sgpr_workgroup_id_y 0
		.amdhsa_system_sgpr_workgroup_id_z 0
		.amdhsa_system_sgpr_workgroup_info 0
		.amdhsa_system_vgpr_workitem_id 0
		.amdhsa_next_free_vgpr 1
		.amdhsa_next_free_sgpr 1
		.amdhsa_reserve_vcc 0
		.amdhsa_float_round_mode_32 0
		.amdhsa_float_round_mode_16_64 0
		.amdhsa_float_denorm_mode_32 3
		.amdhsa_float_denorm_mode_16_64 3
		.amdhsa_fp16_overflow 0
		.amdhsa_workgroup_processor_mode 1
		.amdhsa_memory_ordered 1
		.amdhsa_forward_progress 1
		.amdhsa_inst_pref_size 0
		.amdhsa_round_robin_scheduling 0
		.amdhsa_exception_fp_ieee_invalid_op 0
		.amdhsa_exception_fp_denorm_src 0
		.amdhsa_exception_fp_ieee_div_zero 0
		.amdhsa_exception_fp_ieee_overflow 0
		.amdhsa_exception_fp_ieee_underflow 0
		.amdhsa_exception_fp_ieee_inexact 0
		.amdhsa_exception_int_div_zero 0
	.end_amdhsa_kernel
	.section	.text._ZN7rocprim17ROCPRIM_400000_NS6detail17trampoline_kernelINS0_13select_configILj256ELj13ELNS0_17block_load_methodE3ELS4_3ELS4_3ELNS0_20block_scan_algorithmE0ELj4294967295EEENS1_25partition_config_selectorILNS1_17partition_subalgoE3EjNS0_10empty_typeEbEEZZNS1_14partition_implILS8_3ELb0ES6_jNS0_17counting_iteratorIjlEEPS9_SE_NS0_5tupleIJPjSE_EEENSF_IJSE_SE_EEES9_SG_JZNS1_25segmented_radix_sort_implINS0_14default_configELb0EPKdPdPKlPlN2at6native12_GLOBAL__N_18offset_tEEE10hipError_tPvRmT1_PNSt15iterator_traitsISY_E10value_typeET2_T3_PNSZ_IS14_E10value_typeET4_jRbjT5_S1A_jjP12ihipStream_tbEUljE_EEESV_SW_SX_S14_S18_S1A_T6_T7_T9_mT8_S1C_bDpT10_ENKUlT_T0_E_clISt17integral_constantIbLb0EES1P_EEDaS1K_S1L_EUlS1K_E_NS1_11comp_targetILNS1_3genE0ELNS1_11target_archE4294967295ELNS1_3gpuE0ELNS1_3repE0EEENS1_30default_config_static_selectorELNS0_4arch9wavefront6targetE0EEEvSY_,"axG",@progbits,_ZN7rocprim17ROCPRIM_400000_NS6detail17trampoline_kernelINS0_13select_configILj256ELj13ELNS0_17block_load_methodE3ELS4_3ELS4_3ELNS0_20block_scan_algorithmE0ELj4294967295EEENS1_25partition_config_selectorILNS1_17partition_subalgoE3EjNS0_10empty_typeEbEEZZNS1_14partition_implILS8_3ELb0ES6_jNS0_17counting_iteratorIjlEEPS9_SE_NS0_5tupleIJPjSE_EEENSF_IJSE_SE_EEES9_SG_JZNS1_25segmented_radix_sort_implINS0_14default_configELb0EPKdPdPKlPlN2at6native12_GLOBAL__N_18offset_tEEE10hipError_tPvRmT1_PNSt15iterator_traitsISY_E10value_typeET2_T3_PNSZ_IS14_E10value_typeET4_jRbjT5_S1A_jjP12ihipStream_tbEUljE_EEESV_SW_SX_S14_S18_S1A_T6_T7_T9_mT8_S1C_bDpT10_ENKUlT_T0_E_clISt17integral_constantIbLb0EES1P_EEDaS1K_S1L_EUlS1K_E_NS1_11comp_targetILNS1_3genE0ELNS1_11target_archE4294967295ELNS1_3gpuE0ELNS1_3repE0EEENS1_30default_config_static_selectorELNS0_4arch9wavefront6targetE0EEEvSY_,comdat
.Lfunc_end1189:
	.size	_ZN7rocprim17ROCPRIM_400000_NS6detail17trampoline_kernelINS0_13select_configILj256ELj13ELNS0_17block_load_methodE3ELS4_3ELS4_3ELNS0_20block_scan_algorithmE0ELj4294967295EEENS1_25partition_config_selectorILNS1_17partition_subalgoE3EjNS0_10empty_typeEbEEZZNS1_14partition_implILS8_3ELb0ES6_jNS0_17counting_iteratorIjlEEPS9_SE_NS0_5tupleIJPjSE_EEENSF_IJSE_SE_EEES9_SG_JZNS1_25segmented_radix_sort_implINS0_14default_configELb0EPKdPdPKlPlN2at6native12_GLOBAL__N_18offset_tEEE10hipError_tPvRmT1_PNSt15iterator_traitsISY_E10value_typeET2_T3_PNSZ_IS14_E10value_typeET4_jRbjT5_S1A_jjP12ihipStream_tbEUljE_EEESV_SW_SX_S14_S18_S1A_T6_T7_T9_mT8_S1C_bDpT10_ENKUlT_T0_E_clISt17integral_constantIbLb0EES1P_EEDaS1K_S1L_EUlS1K_E_NS1_11comp_targetILNS1_3genE0ELNS1_11target_archE4294967295ELNS1_3gpuE0ELNS1_3repE0EEENS1_30default_config_static_selectorELNS0_4arch9wavefront6targetE0EEEvSY_, .Lfunc_end1189-_ZN7rocprim17ROCPRIM_400000_NS6detail17trampoline_kernelINS0_13select_configILj256ELj13ELNS0_17block_load_methodE3ELS4_3ELS4_3ELNS0_20block_scan_algorithmE0ELj4294967295EEENS1_25partition_config_selectorILNS1_17partition_subalgoE3EjNS0_10empty_typeEbEEZZNS1_14partition_implILS8_3ELb0ES6_jNS0_17counting_iteratorIjlEEPS9_SE_NS0_5tupleIJPjSE_EEENSF_IJSE_SE_EEES9_SG_JZNS1_25segmented_radix_sort_implINS0_14default_configELb0EPKdPdPKlPlN2at6native12_GLOBAL__N_18offset_tEEE10hipError_tPvRmT1_PNSt15iterator_traitsISY_E10value_typeET2_T3_PNSZ_IS14_E10value_typeET4_jRbjT5_S1A_jjP12ihipStream_tbEUljE_EEESV_SW_SX_S14_S18_S1A_T6_T7_T9_mT8_S1C_bDpT10_ENKUlT_T0_E_clISt17integral_constantIbLb0EES1P_EEDaS1K_S1L_EUlS1K_E_NS1_11comp_targetILNS1_3genE0ELNS1_11target_archE4294967295ELNS1_3gpuE0ELNS1_3repE0EEENS1_30default_config_static_selectorELNS0_4arch9wavefront6targetE0EEEvSY_
                                        ; -- End function
	.set _ZN7rocprim17ROCPRIM_400000_NS6detail17trampoline_kernelINS0_13select_configILj256ELj13ELNS0_17block_load_methodE3ELS4_3ELS4_3ELNS0_20block_scan_algorithmE0ELj4294967295EEENS1_25partition_config_selectorILNS1_17partition_subalgoE3EjNS0_10empty_typeEbEEZZNS1_14partition_implILS8_3ELb0ES6_jNS0_17counting_iteratorIjlEEPS9_SE_NS0_5tupleIJPjSE_EEENSF_IJSE_SE_EEES9_SG_JZNS1_25segmented_radix_sort_implINS0_14default_configELb0EPKdPdPKlPlN2at6native12_GLOBAL__N_18offset_tEEE10hipError_tPvRmT1_PNSt15iterator_traitsISY_E10value_typeET2_T3_PNSZ_IS14_E10value_typeET4_jRbjT5_S1A_jjP12ihipStream_tbEUljE_EEESV_SW_SX_S14_S18_S1A_T6_T7_T9_mT8_S1C_bDpT10_ENKUlT_T0_E_clISt17integral_constantIbLb0EES1P_EEDaS1K_S1L_EUlS1K_E_NS1_11comp_targetILNS1_3genE0ELNS1_11target_archE4294967295ELNS1_3gpuE0ELNS1_3repE0EEENS1_30default_config_static_selectorELNS0_4arch9wavefront6targetE0EEEvSY_.num_vgpr, 0
	.set _ZN7rocprim17ROCPRIM_400000_NS6detail17trampoline_kernelINS0_13select_configILj256ELj13ELNS0_17block_load_methodE3ELS4_3ELS4_3ELNS0_20block_scan_algorithmE0ELj4294967295EEENS1_25partition_config_selectorILNS1_17partition_subalgoE3EjNS0_10empty_typeEbEEZZNS1_14partition_implILS8_3ELb0ES6_jNS0_17counting_iteratorIjlEEPS9_SE_NS0_5tupleIJPjSE_EEENSF_IJSE_SE_EEES9_SG_JZNS1_25segmented_radix_sort_implINS0_14default_configELb0EPKdPdPKlPlN2at6native12_GLOBAL__N_18offset_tEEE10hipError_tPvRmT1_PNSt15iterator_traitsISY_E10value_typeET2_T3_PNSZ_IS14_E10value_typeET4_jRbjT5_S1A_jjP12ihipStream_tbEUljE_EEESV_SW_SX_S14_S18_S1A_T6_T7_T9_mT8_S1C_bDpT10_ENKUlT_T0_E_clISt17integral_constantIbLb0EES1P_EEDaS1K_S1L_EUlS1K_E_NS1_11comp_targetILNS1_3genE0ELNS1_11target_archE4294967295ELNS1_3gpuE0ELNS1_3repE0EEENS1_30default_config_static_selectorELNS0_4arch9wavefront6targetE0EEEvSY_.num_agpr, 0
	.set _ZN7rocprim17ROCPRIM_400000_NS6detail17trampoline_kernelINS0_13select_configILj256ELj13ELNS0_17block_load_methodE3ELS4_3ELS4_3ELNS0_20block_scan_algorithmE0ELj4294967295EEENS1_25partition_config_selectorILNS1_17partition_subalgoE3EjNS0_10empty_typeEbEEZZNS1_14partition_implILS8_3ELb0ES6_jNS0_17counting_iteratorIjlEEPS9_SE_NS0_5tupleIJPjSE_EEENSF_IJSE_SE_EEES9_SG_JZNS1_25segmented_radix_sort_implINS0_14default_configELb0EPKdPdPKlPlN2at6native12_GLOBAL__N_18offset_tEEE10hipError_tPvRmT1_PNSt15iterator_traitsISY_E10value_typeET2_T3_PNSZ_IS14_E10value_typeET4_jRbjT5_S1A_jjP12ihipStream_tbEUljE_EEESV_SW_SX_S14_S18_S1A_T6_T7_T9_mT8_S1C_bDpT10_ENKUlT_T0_E_clISt17integral_constantIbLb0EES1P_EEDaS1K_S1L_EUlS1K_E_NS1_11comp_targetILNS1_3genE0ELNS1_11target_archE4294967295ELNS1_3gpuE0ELNS1_3repE0EEENS1_30default_config_static_selectorELNS0_4arch9wavefront6targetE0EEEvSY_.numbered_sgpr, 0
	.set _ZN7rocprim17ROCPRIM_400000_NS6detail17trampoline_kernelINS0_13select_configILj256ELj13ELNS0_17block_load_methodE3ELS4_3ELS4_3ELNS0_20block_scan_algorithmE0ELj4294967295EEENS1_25partition_config_selectorILNS1_17partition_subalgoE3EjNS0_10empty_typeEbEEZZNS1_14partition_implILS8_3ELb0ES6_jNS0_17counting_iteratorIjlEEPS9_SE_NS0_5tupleIJPjSE_EEENSF_IJSE_SE_EEES9_SG_JZNS1_25segmented_radix_sort_implINS0_14default_configELb0EPKdPdPKlPlN2at6native12_GLOBAL__N_18offset_tEEE10hipError_tPvRmT1_PNSt15iterator_traitsISY_E10value_typeET2_T3_PNSZ_IS14_E10value_typeET4_jRbjT5_S1A_jjP12ihipStream_tbEUljE_EEESV_SW_SX_S14_S18_S1A_T6_T7_T9_mT8_S1C_bDpT10_ENKUlT_T0_E_clISt17integral_constantIbLb0EES1P_EEDaS1K_S1L_EUlS1K_E_NS1_11comp_targetILNS1_3genE0ELNS1_11target_archE4294967295ELNS1_3gpuE0ELNS1_3repE0EEENS1_30default_config_static_selectorELNS0_4arch9wavefront6targetE0EEEvSY_.num_named_barrier, 0
	.set _ZN7rocprim17ROCPRIM_400000_NS6detail17trampoline_kernelINS0_13select_configILj256ELj13ELNS0_17block_load_methodE3ELS4_3ELS4_3ELNS0_20block_scan_algorithmE0ELj4294967295EEENS1_25partition_config_selectorILNS1_17partition_subalgoE3EjNS0_10empty_typeEbEEZZNS1_14partition_implILS8_3ELb0ES6_jNS0_17counting_iteratorIjlEEPS9_SE_NS0_5tupleIJPjSE_EEENSF_IJSE_SE_EEES9_SG_JZNS1_25segmented_radix_sort_implINS0_14default_configELb0EPKdPdPKlPlN2at6native12_GLOBAL__N_18offset_tEEE10hipError_tPvRmT1_PNSt15iterator_traitsISY_E10value_typeET2_T3_PNSZ_IS14_E10value_typeET4_jRbjT5_S1A_jjP12ihipStream_tbEUljE_EEESV_SW_SX_S14_S18_S1A_T6_T7_T9_mT8_S1C_bDpT10_ENKUlT_T0_E_clISt17integral_constantIbLb0EES1P_EEDaS1K_S1L_EUlS1K_E_NS1_11comp_targetILNS1_3genE0ELNS1_11target_archE4294967295ELNS1_3gpuE0ELNS1_3repE0EEENS1_30default_config_static_selectorELNS0_4arch9wavefront6targetE0EEEvSY_.private_seg_size, 0
	.set _ZN7rocprim17ROCPRIM_400000_NS6detail17trampoline_kernelINS0_13select_configILj256ELj13ELNS0_17block_load_methodE3ELS4_3ELS4_3ELNS0_20block_scan_algorithmE0ELj4294967295EEENS1_25partition_config_selectorILNS1_17partition_subalgoE3EjNS0_10empty_typeEbEEZZNS1_14partition_implILS8_3ELb0ES6_jNS0_17counting_iteratorIjlEEPS9_SE_NS0_5tupleIJPjSE_EEENSF_IJSE_SE_EEES9_SG_JZNS1_25segmented_radix_sort_implINS0_14default_configELb0EPKdPdPKlPlN2at6native12_GLOBAL__N_18offset_tEEE10hipError_tPvRmT1_PNSt15iterator_traitsISY_E10value_typeET2_T3_PNSZ_IS14_E10value_typeET4_jRbjT5_S1A_jjP12ihipStream_tbEUljE_EEESV_SW_SX_S14_S18_S1A_T6_T7_T9_mT8_S1C_bDpT10_ENKUlT_T0_E_clISt17integral_constantIbLb0EES1P_EEDaS1K_S1L_EUlS1K_E_NS1_11comp_targetILNS1_3genE0ELNS1_11target_archE4294967295ELNS1_3gpuE0ELNS1_3repE0EEENS1_30default_config_static_selectorELNS0_4arch9wavefront6targetE0EEEvSY_.uses_vcc, 0
	.set _ZN7rocprim17ROCPRIM_400000_NS6detail17trampoline_kernelINS0_13select_configILj256ELj13ELNS0_17block_load_methodE3ELS4_3ELS4_3ELNS0_20block_scan_algorithmE0ELj4294967295EEENS1_25partition_config_selectorILNS1_17partition_subalgoE3EjNS0_10empty_typeEbEEZZNS1_14partition_implILS8_3ELb0ES6_jNS0_17counting_iteratorIjlEEPS9_SE_NS0_5tupleIJPjSE_EEENSF_IJSE_SE_EEES9_SG_JZNS1_25segmented_radix_sort_implINS0_14default_configELb0EPKdPdPKlPlN2at6native12_GLOBAL__N_18offset_tEEE10hipError_tPvRmT1_PNSt15iterator_traitsISY_E10value_typeET2_T3_PNSZ_IS14_E10value_typeET4_jRbjT5_S1A_jjP12ihipStream_tbEUljE_EEESV_SW_SX_S14_S18_S1A_T6_T7_T9_mT8_S1C_bDpT10_ENKUlT_T0_E_clISt17integral_constantIbLb0EES1P_EEDaS1K_S1L_EUlS1K_E_NS1_11comp_targetILNS1_3genE0ELNS1_11target_archE4294967295ELNS1_3gpuE0ELNS1_3repE0EEENS1_30default_config_static_selectorELNS0_4arch9wavefront6targetE0EEEvSY_.uses_flat_scratch, 0
	.set _ZN7rocprim17ROCPRIM_400000_NS6detail17trampoline_kernelINS0_13select_configILj256ELj13ELNS0_17block_load_methodE3ELS4_3ELS4_3ELNS0_20block_scan_algorithmE0ELj4294967295EEENS1_25partition_config_selectorILNS1_17partition_subalgoE3EjNS0_10empty_typeEbEEZZNS1_14partition_implILS8_3ELb0ES6_jNS0_17counting_iteratorIjlEEPS9_SE_NS0_5tupleIJPjSE_EEENSF_IJSE_SE_EEES9_SG_JZNS1_25segmented_radix_sort_implINS0_14default_configELb0EPKdPdPKlPlN2at6native12_GLOBAL__N_18offset_tEEE10hipError_tPvRmT1_PNSt15iterator_traitsISY_E10value_typeET2_T3_PNSZ_IS14_E10value_typeET4_jRbjT5_S1A_jjP12ihipStream_tbEUljE_EEESV_SW_SX_S14_S18_S1A_T6_T7_T9_mT8_S1C_bDpT10_ENKUlT_T0_E_clISt17integral_constantIbLb0EES1P_EEDaS1K_S1L_EUlS1K_E_NS1_11comp_targetILNS1_3genE0ELNS1_11target_archE4294967295ELNS1_3gpuE0ELNS1_3repE0EEENS1_30default_config_static_selectorELNS0_4arch9wavefront6targetE0EEEvSY_.has_dyn_sized_stack, 0
	.set _ZN7rocprim17ROCPRIM_400000_NS6detail17trampoline_kernelINS0_13select_configILj256ELj13ELNS0_17block_load_methodE3ELS4_3ELS4_3ELNS0_20block_scan_algorithmE0ELj4294967295EEENS1_25partition_config_selectorILNS1_17partition_subalgoE3EjNS0_10empty_typeEbEEZZNS1_14partition_implILS8_3ELb0ES6_jNS0_17counting_iteratorIjlEEPS9_SE_NS0_5tupleIJPjSE_EEENSF_IJSE_SE_EEES9_SG_JZNS1_25segmented_radix_sort_implINS0_14default_configELb0EPKdPdPKlPlN2at6native12_GLOBAL__N_18offset_tEEE10hipError_tPvRmT1_PNSt15iterator_traitsISY_E10value_typeET2_T3_PNSZ_IS14_E10value_typeET4_jRbjT5_S1A_jjP12ihipStream_tbEUljE_EEESV_SW_SX_S14_S18_S1A_T6_T7_T9_mT8_S1C_bDpT10_ENKUlT_T0_E_clISt17integral_constantIbLb0EES1P_EEDaS1K_S1L_EUlS1K_E_NS1_11comp_targetILNS1_3genE0ELNS1_11target_archE4294967295ELNS1_3gpuE0ELNS1_3repE0EEENS1_30default_config_static_selectorELNS0_4arch9wavefront6targetE0EEEvSY_.has_recursion, 0
	.set _ZN7rocprim17ROCPRIM_400000_NS6detail17trampoline_kernelINS0_13select_configILj256ELj13ELNS0_17block_load_methodE3ELS4_3ELS4_3ELNS0_20block_scan_algorithmE0ELj4294967295EEENS1_25partition_config_selectorILNS1_17partition_subalgoE3EjNS0_10empty_typeEbEEZZNS1_14partition_implILS8_3ELb0ES6_jNS0_17counting_iteratorIjlEEPS9_SE_NS0_5tupleIJPjSE_EEENSF_IJSE_SE_EEES9_SG_JZNS1_25segmented_radix_sort_implINS0_14default_configELb0EPKdPdPKlPlN2at6native12_GLOBAL__N_18offset_tEEE10hipError_tPvRmT1_PNSt15iterator_traitsISY_E10value_typeET2_T3_PNSZ_IS14_E10value_typeET4_jRbjT5_S1A_jjP12ihipStream_tbEUljE_EEESV_SW_SX_S14_S18_S1A_T6_T7_T9_mT8_S1C_bDpT10_ENKUlT_T0_E_clISt17integral_constantIbLb0EES1P_EEDaS1K_S1L_EUlS1K_E_NS1_11comp_targetILNS1_3genE0ELNS1_11target_archE4294967295ELNS1_3gpuE0ELNS1_3repE0EEENS1_30default_config_static_selectorELNS0_4arch9wavefront6targetE0EEEvSY_.has_indirect_call, 0
	.section	.AMDGPU.csdata,"",@progbits
; Kernel info:
; codeLenInByte = 0
; TotalNumSgprs: 0
; NumVgprs: 0
; ScratchSize: 0
; MemoryBound: 0
; FloatMode: 240
; IeeeMode: 1
; LDSByteSize: 0 bytes/workgroup (compile time only)
; SGPRBlocks: 0
; VGPRBlocks: 0
; NumSGPRsForWavesPerEU: 1
; NumVGPRsForWavesPerEU: 1
; Occupancy: 16
; WaveLimiterHint : 0
; COMPUTE_PGM_RSRC2:SCRATCH_EN: 0
; COMPUTE_PGM_RSRC2:USER_SGPR: 2
; COMPUTE_PGM_RSRC2:TRAP_HANDLER: 0
; COMPUTE_PGM_RSRC2:TGID_X_EN: 1
; COMPUTE_PGM_RSRC2:TGID_Y_EN: 0
; COMPUTE_PGM_RSRC2:TGID_Z_EN: 0
; COMPUTE_PGM_RSRC2:TIDIG_COMP_CNT: 0
	.section	.text._ZN7rocprim17ROCPRIM_400000_NS6detail17trampoline_kernelINS0_13select_configILj256ELj13ELNS0_17block_load_methodE3ELS4_3ELS4_3ELNS0_20block_scan_algorithmE0ELj4294967295EEENS1_25partition_config_selectorILNS1_17partition_subalgoE3EjNS0_10empty_typeEbEEZZNS1_14partition_implILS8_3ELb0ES6_jNS0_17counting_iteratorIjlEEPS9_SE_NS0_5tupleIJPjSE_EEENSF_IJSE_SE_EEES9_SG_JZNS1_25segmented_radix_sort_implINS0_14default_configELb0EPKdPdPKlPlN2at6native12_GLOBAL__N_18offset_tEEE10hipError_tPvRmT1_PNSt15iterator_traitsISY_E10value_typeET2_T3_PNSZ_IS14_E10value_typeET4_jRbjT5_S1A_jjP12ihipStream_tbEUljE_EEESV_SW_SX_S14_S18_S1A_T6_T7_T9_mT8_S1C_bDpT10_ENKUlT_T0_E_clISt17integral_constantIbLb0EES1P_EEDaS1K_S1L_EUlS1K_E_NS1_11comp_targetILNS1_3genE5ELNS1_11target_archE942ELNS1_3gpuE9ELNS1_3repE0EEENS1_30default_config_static_selectorELNS0_4arch9wavefront6targetE0EEEvSY_,"axG",@progbits,_ZN7rocprim17ROCPRIM_400000_NS6detail17trampoline_kernelINS0_13select_configILj256ELj13ELNS0_17block_load_methodE3ELS4_3ELS4_3ELNS0_20block_scan_algorithmE0ELj4294967295EEENS1_25partition_config_selectorILNS1_17partition_subalgoE3EjNS0_10empty_typeEbEEZZNS1_14partition_implILS8_3ELb0ES6_jNS0_17counting_iteratorIjlEEPS9_SE_NS0_5tupleIJPjSE_EEENSF_IJSE_SE_EEES9_SG_JZNS1_25segmented_radix_sort_implINS0_14default_configELb0EPKdPdPKlPlN2at6native12_GLOBAL__N_18offset_tEEE10hipError_tPvRmT1_PNSt15iterator_traitsISY_E10value_typeET2_T3_PNSZ_IS14_E10value_typeET4_jRbjT5_S1A_jjP12ihipStream_tbEUljE_EEESV_SW_SX_S14_S18_S1A_T6_T7_T9_mT8_S1C_bDpT10_ENKUlT_T0_E_clISt17integral_constantIbLb0EES1P_EEDaS1K_S1L_EUlS1K_E_NS1_11comp_targetILNS1_3genE5ELNS1_11target_archE942ELNS1_3gpuE9ELNS1_3repE0EEENS1_30default_config_static_selectorELNS0_4arch9wavefront6targetE0EEEvSY_,comdat
	.globl	_ZN7rocprim17ROCPRIM_400000_NS6detail17trampoline_kernelINS0_13select_configILj256ELj13ELNS0_17block_load_methodE3ELS4_3ELS4_3ELNS0_20block_scan_algorithmE0ELj4294967295EEENS1_25partition_config_selectorILNS1_17partition_subalgoE3EjNS0_10empty_typeEbEEZZNS1_14partition_implILS8_3ELb0ES6_jNS0_17counting_iteratorIjlEEPS9_SE_NS0_5tupleIJPjSE_EEENSF_IJSE_SE_EEES9_SG_JZNS1_25segmented_radix_sort_implINS0_14default_configELb0EPKdPdPKlPlN2at6native12_GLOBAL__N_18offset_tEEE10hipError_tPvRmT1_PNSt15iterator_traitsISY_E10value_typeET2_T3_PNSZ_IS14_E10value_typeET4_jRbjT5_S1A_jjP12ihipStream_tbEUljE_EEESV_SW_SX_S14_S18_S1A_T6_T7_T9_mT8_S1C_bDpT10_ENKUlT_T0_E_clISt17integral_constantIbLb0EES1P_EEDaS1K_S1L_EUlS1K_E_NS1_11comp_targetILNS1_3genE5ELNS1_11target_archE942ELNS1_3gpuE9ELNS1_3repE0EEENS1_30default_config_static_selectorELNS0_4arch9wavefront6targetE0EEEvSY_ ; -- Begin function _ZN7rocprim17ROCPRIM_400000_NS6detail17trampoline_kernelINS0_13select_configILj256ELj13ELNS0_17block_load_methodE3ELS4_3ELS4_3ELNS0_20block_scan_algorithmE0ELj4294967295EEENS1_25partition_config_selectorILNS1_17partition_subalgoE3EjNS0_10empty_typeEbEEZZNS1_14partition_implILS8_3ELb0ES6_jNS0_17counting_iteratorIjlEEPS9_SE_NS0_5tupleIJPjSE_EEENSF_IJSE_SE_EEES9_SG_JZNS1_25segmented_radix_sort_implINS0_14default_configELb0EPKdPdPKlPlN2at6native12_GLOBAL__N_18offset_tEEE10hipError_tPvRmT1_PNSt15iterator_traitsISY_E10value_typeET2_T3_PNSZ_IS14_E10value_typeET4_jRbjT5_S1A_jjP12ihipStream_tbEUljE_EEESV_SW_SX_S14_S18_S1A_T6_T7_T9_mT8_S1C_bDpT10_ENKUlT_T0_E_clISt17integral_constantIbLb0EES1P_EEDaS1K_S1L_EUlS1K_E_NS1_11comp_targetILNS1_3genE5ELNS1_11target_archE942ELNS1_3gpuE9ELNS1_3repE0EEENS1_30default_config_static_selectorELNS0_4arch9wavefront6targetE0EEEvSY_
	.p2align	8
	.type	_ZN7rocprim17ROCPRIM_400000_NS6detail17trampoline_kernelINS0_13select_configILj256ELj13ELNS0_17block_load_methodE3ELS4_3ELS4_3ELNS0_20block_scan_algorithmE0ELj4294967295EEENS1_25partition_config_selectorILNS1_17partition_subalgoE3EjNS0_10empty_typeEbEEZZNS1_14partition_implILS8_3ELb0ES6_jNS0_17counting_iteratorIjlEEPS9_SE_NS0_5tupleIJPjSE_EEENSF_IJSE_SE_EEES9_SG_JZNS1_25segmented_radix_sort_implINS0_14default_configELb0EPKdPdPKlPlN2at6native12_GLOBAL__N_18offset_tEEE10hipError_tPvRmT1_PNSt15iterator_traitsISY_E10value_typeET2_T3_PNSZ_IS14_E10value_typeET4_jRbjT5_S1A_jjP12ihipStream_tbEUljE_EEESV_SW_SX_S14_S18_S1A_T6_T7_T9_mT8_S1C_bDpT10_ENKUlT_T0_E_clISt17integral_constantIbLb0EES1P_EEDaS1K_S1L_EUlS1K_E_NS1_11comp_targetILNS1_3genE5ELNS1_11target_archE942ELNS1_3gpuE9ELNS1_3repE0EEENS1_30default_config_static_selectorELNS0_4arch9wavefront6targetE0EEEvSY_,@function
_ZN7rocprim17ROCPRIM_400000_NS6detail17trampoline_kernelINS0_13select_configILj256ELj13ELNS0_17block_load_methodE3ELS4_3ELS4_3ELNS0_20block_scan_algorithmE0ELj4294967295EEENS1_25partition_config_selectorILNS1_17partition_subalgoE3EjNS0_10empty_typeEbEEZZNS1_14partition_implILS8_3ELb0ES6_jNS0_17counting_iteratorIjlEEPS9_SE_NS0_5tupleIJPjSE_EEENSF_IJSE_SE_EEES9_SG_JZNS1_25segmented_radix_sort_implINS0_14default_configELb0EPKdPdPKlPlN2at6native12_GLOBAL__N_18offset_tEEE10hipError_tPvRmT1_PNSt15iterator_traitsISY_E10value_typeET2_T3_PNSZ_IS14_E10value_typeET4_jRbjT5_S1A_jjP12ihipStream_tbEUljE_EEESV_SW_SX_S14_S18_S1A_T6_T7_T9_mT8_S1C_bDpT10_ENKUlT_T0_E_clISt17integral_constantIbLb0EES1P_EEDaS1K_S1L_EUlS1K_E_NS1_11comp_targetILNS1_3genE5ELNS1_11target_archE942ELNS1_3gpuE9ELNS1_3repE0EEENS1_30default_config_static_selectorELNS0_4arch9wavefront6targetE0EEEvSY_: ; @_ZN7rocprim17ROCPRIM_400000_NS6detail17trampoline_kernelINS0_13select_configILj256ELj13ELNS0_17block_load_methodE3ELS4_3ELS4_3ELNS0_20block_scan_algorithmE0ELj4294967295EEENS1_25partition_config_selectorILNS1_17partition_subalgoE3EjNS0_10empty_typeEbEEZZNS1_14partition_implILS8_3ELb0ES6_jNS0_17counting_iteratorIjlEEPS9_SE_NS0_5tupleIJPjSE_EEENSF_IJSE_SE_EEES9_SG_JZNS1_25segmented_radix_sort_implINS0_14default_configELb0EPKdPdPKlPlN2at6native12_GLOBAL__N_18offset_tEEE10hipError_tPvRmT1_PNSt15iterator_traitsISY_E10value_typeET2_T3_PNSZ_IS14_E10value_typeET4_jRbjT5_S1A_jjP12ihipStream_tbEUljE_EEESV_SW_SX_S14_S18_S1A_T6_T7_T9_mT8_S1C_bDpT10_ENKUlT_T0_E_clISt17integral_constantIbLb0EES1P_EEDaS1K_S1L_EUlS1K_E_NS1_11comp_targetILNS1_3genE5ELNS1_11target_archE942ELNS1_3gpuE9ELNS1_3repE0EEENS1_30default_config_static_selectorELNS0_4arch9wavefront6targetE0EEEvSY_
; %bb.0:
	.section	.rodata,"a",@progbits
	.p2align	6, 0x0
	.amdhsa_kernel _ZN7rocprim17ROCPRIM_400000_NS6detail17trampoline_kernelINS0_13select_configILj256ELj13ELNS0_17block_load_methodE3ELS4_3ELS4_3ELNS0_20block_scan_algorithmE0ELj4294967295EEENS1_25partition_config_selectorILNS1_17partition_subalgoE3EjNS0_10empty_typeEbEEZZNS1_14partition_implILS8_3ELb0ES6_jNS0_17counting_iteratorIjlEEPS9_SE_NS0_5tupleIJPjSE_EEENSF_IJSE_SE_EEES9_SG_JZNS1_25segmented_radix_sort_implINS0_14default_configELb0EPKdPdPKlPlN2at6native12_GLOBAL__N_18offset_tEEE10hipError_tPvRmT1_PNSt15iterator_traitsISY_E10value_typeET2_T3_PNSZ_IS14_E10value_typeET4_jRbjT5_S1A_jjP12ihipStream_tbEUljE_EEESV_SW_SX_S14_S18_S1A_T6_T7_T9_mT8_S1C_bDpT10_ENKUlT_T0_E_clISt17integral_constantIbLb0EES1P_EEDaS1K_S1L_EUlS1K_E_NS1_11comp_targetILNS1_3genE5ELNS1_11target_archE942ELNS1_3gpuE9ELNS1_3repE0EEENS1_30default_config_static_selectorELNS0_4arch9wavefront6targetE0EEEvSY_
		.amdhsa_group_segment_fixed_size 0
		.amdhsa_private_segment_fixed_size 0
		.amdhsa_kernarg_size 144
		.amdhsa_user_sgpr_count 2
		.amdhsa_user_sgpr_dispatch_ptr 0
		.amdhsa_user_sgpr_queue_ptr 0
		.amdhsa_user_sgpr_kernarg_segment_ptr 1
		.amdhsa_user_sgpr_dispatch_id 0
		.amdhsa_user_sgpr_private_segment_size 0
		.amdhsa_wavefront_size32 1
		.amdhsa_uses_dynamic_stack 0
		.amdhsa_enable_private_segment 0
		.amdhsa_system_sgpr_workgroup_id_x 1
		.amdhsa_system_sgpr_workgroup_id_y 0
		.amdhsa_system_sgpr_workgroup_id_z 0
		.amdhsa_system_sgpr_workgroup_info 0
		.amdhsa_system_vgpr_workitem_id 0
		.amdhsa_next_free_vgpr 1
		.amdhsa_next_free_sgpr 1
		.amdhsa_reserve_vcc 0
		.amdhsa_float_round_mode_32 0
		.amdhsa_float_round_mode_16_64 0
		.amdhsa_float_denorm_mode_32 3
		.amdhsa_float_denorm_mode_16_64 3
		.amdhsa_fp16_overflow 0
		.amdhsa_workgroup_processor_mode 1
		.amdhsa_memory_ordered 1
		.amdhsa_forward_progress 1
		.amdhsa_inst_pref_size 0
		.amdhsa_round_robin_scheduling 0
		.amdhsa_exception_fp_ieee_invalid_op 0
		.amdhsa_exception_fp_denorm_src 0
		.amdhsa_exception_fp_ieee_div_zero 0
		.amdhsa_exception_fp_ieee_overflow 0
		.amdhsa_exception_fp_ieee_underflow 0
		.amdhsa_exception_fp_ieee_inexact 0
		.amdhsa_exception_int_div_zero 0
	.end_amdhsa_kernel
	.section	.text._ZN7rocprim17ROCPRIM_400000_NS6detail17trampoline_kernelINS0_13select_configILj256ELj13ELNS0_17block_load_methodE3ELS4_3ELS4_3ELNS0_20block_scan_algorithmE0ELj4294967295EEENS1_25partition_config_selectorILNS1_17partition_subalgoE3EjNS0_10empty_typeEbEEZZNS1_14partition_implILS8_3ELb0ES6_jNS0_17counting_iteratorIjlEEPS9_SE_NS0_5tupleIJPjSE_EEENSF_IJSE_SE_EEES9_SG_JZNS1_25segmented_radix_sort_implINS0_14default_configELb0EPKdPdPKlPlN2at6native12_GLOBAL__N_18offset_tEEE10hipError_tPvRmT1_PNSt15iterator_traitsISY_E10value_typeET2_T3_PNSZ_IS14_E10value_typeET4_jRbjT5_S1A_jjP12ihipStream_tbEUljE_EEESV_SW_SX_S14_S18_S1A_T6_T7_T9_mT8_S1C_bDpT10_ENKUlT_T0_E_clISt17integral_constantIbLb0EES1P_EEDaS1K_S1L_EUlS1K_E_NS1_11comp_targetILNS1_3genE5ELNS1_11target_archE942ELNS1_3gpuE9ELNS1_3repE0EEENS1_30default_config_static_selectorELNS0_4arch9wavefront6targetE0EEEvSY_,"axG",@progbits,_ZN7rocprim17ROCPRIM_400000_NS6detail17trampoline_kernelINS0_13select_configILj256ELj13ELNS0_17block_load_methodE3ELS4_3ELS4_3ELNS0_20block_scan_algorithmE0ELj4294967295EEENS1_25partition_config_selectorILNS1_17partition_subalgoE3EjNS0_10empty_typeEbEEZZNS1_14partition_implILS8_3ELb0ES6_jNS0_17counting_iteratorIjlEEPS9_SE_NS0_5tupleIJPjSE_EEENSF_IJSE_SE_EEES9_SG_JZNS1_25segmented_radix_sort_implINS0_14default_configELb0EPKdPdPKlPlN2at6native12_GLOBAL__N_18offset_tEEE10hipError_tPvRmT1_PNSt15iterator_traitsISY_E10value_typeET2_T3_PNSZ_IS14_E10value_typeET4_jRbjT5_S1A_jjP12ihipStream_tbEUljE_EEESV_SW_SX_S14_S18_S1A_T6_T7_T9_mT8_S1C_bDpT10_ENKUlT_T0_E_clISt17integral_constantIbLb0EES1P_EEDaS1K_S1L_EUlS1K_E_NS1_11comp_targetILNS1_3genE5ELNS1_11target_archE942ELNS1_3gpuE9ELNS1_3repE0EEENS1_30default_config_static_selectorELNS0_4arch9wavefront6targetE0EEEvSY_,comdat
.Lfunc_end1190:
	.size	_ZN7rocprim17ROCPRIM_400000_NS6detail17trampoline_kernelINS0_13select_configILj256ELj13ELNS0_17block_load_methodE3ELS4_3ELS4_3ELNS0_20block_scan_algorithmE0ELj4294967295EEENS1_25partition_config_selectorILNS1_17partition_subalgoE3EjNS0_10empty_typeEbEEZZNS1_14partition_implILS8_3ELb0ES6_jNS0_17counting_iteratorIjlEEPS9_SE_NS0_5tupleIJPjSE_EEENSF_IJSE_SE_EEES9_SG_JZNS1_25segmented_radix_sort_implINS0_14default_configELb0EPKdPdPKlPlN2at6native12_GLOBAL__N_18offset_tEEE10hipError_tPvRmT1_PNSt15iterator_traitsISY_E10value_typeET2_T3_PNSZ_IS14_E10value_typeET4_jRbjT5_S1A_jjP12ihipStream_tbEUljE_EEESV_SW_SX_S14_S18_S1A_T6_T7_T9_mT8_S1C_bDpT10_ENKUlT_T0_E_clISt17integral_constantIbLb0EES1P_EEDaS1K_S1L_EUlS1K_E_NS1_11comp_targetILNS1_3genE5ELNS1_11target_archE942ELNS1_3gpuE9ELNS1_3repE0EEENS1_30default_config_static_selectorELNS0_4arch9wavefront6targetE0EEEvSY_, .Lfunc_end1190-_ZN7rocprim17ROCPRIM_400000_NS6detail17trampoline_kernelINS0_13select_configILj256ELj13ELNS0_17block_load_methodE3ELS4_3ELS4_3ELNS0_20block_scan_algorithmE0ELj4294967295EEENS1_25partition_config_selectorILNS1_17partition_subalgoE3EjNS0_10empty_typeEbEEZZNS1_14partition_implILS8_3ELb0ES6_jNS0_17counting_iteratorIjlEEPS9_SE_NS0_5tupleIJPjSE_EEENSF_IJSE_SE_EEES9_SG_JZNS1_25segmented_radix_sort_implINS0_14default_configELb0EPKdPdPKlPlN2at6native12_GLOBAL__N_18offset_tEEE10hipError_tPvRmT1_PNSt15iterator_traitsISY_E10value_typeET2_T3_PNSZ_IS14_E10value_typeET4_jRbjT5_S1A_jjP12ihipStream_tbEUljE_EEESV_SW_SX_S14_S18_S1A_T6_T7_T9_mT8_S1C_bDpT10_ENKUlT_T0_E_clISt17integral_constantIbLb0EES1P_EEDaS1K_S1L_EUlS1K_E_NS1_11comp_targetILNS1_3genE5ELNS1_11target_archE942ELNS1_3gpuE9ELNS1_3repE0EEENS1_30default_config_static_selectorELNS0_4arch9wavefront6targetE0EEEvSY_
                                        ; -- End function
	.set _ZN7rocprim17ROCPRIM_400000_NS6detail17trampoline_kernelINS0_13select_configILj256ELj13ELNS0_17block_load_methodE3ELS4_3ELS4_3ELNS0_20block_scan_algorithmE0ELj4294967295EEENS1_25partition_config_selectorILNS1_17partition_subalgoE3EjNS0_10empty_typeEbEEZZNS1_14partition_implILS8_3ELb0ES6_jNS0_17counting_iteratorIjlEEPS9_SE_NS0_5tupleIJPjSE_EEENSF_IJSE_SE_EEES9_SG_JZNS1_25segmented_radix_sort_implINS0_14default_configELb0EPKdPdPKlPlN2at6native12_GLOBAL__N_18offset_tEEE10hipError_tPvRmT1_PNSt15iterator_traitsISY_E10value_typeET2_T3_PNSZ_IS14_E10value_typeET4_jRbjT5_S1A_jjP12ihipStream_tbEUljE_EEESV_SW_SX_S14_S18_S1A_T6_T7_T9_mT8_S1C_bDpT10_ENKUlT_T0_E_clISt17integral_constantIbLb0EES1P_EEDaS1K_S1L_EUlS1K_E_NS1_11comp_targetILNS1_3genE5ELNS1_11target_archE942ELNS1_3gpuE9ELNS1_3repE0EEENS1_30default_config_static_selectorELNS0_4arch9wavefront6targetE0EEEvSY_.num_vgpr, 0
	.set _ZN7rocprim17ROCPRIM_400000_NS6detail17trampoline_kernelINS0_13select_configILj256ELj13ELNS0_17block_load_methodE3ELS4_3ELS4_3ELNS0_20block_scan_algorithmE0ELj4294967295EEENS1_25partition_config_selectorILNS1_17partition_subalgoE3EjNS0_10empty_typeEbEEZZNS1_14partition_implILS8_3ELb0ES6_jNS0_17counting_iteratorIjlEEPS9_SE_NS0_5tupleIJPjSE_EEENSF_IJSE_SE_EEES9_SG_JZNS1_25segmented_radix_sort_implINS0_14default_configELb0EPKdPdPKlPlN2at6native12_GLOBAL__N_18offset_tEEE10hipError_tPvRmT1_PNSt15iterator_traitsISY_E10value_typeET2_T3_PNSZ_IS14_E10value_typeET4_jRbjT5_S1A_jjP12ihipStream_tbEUljE_EEESV_SW_SX_S14_S18_S1A_T6_T7_T9_mT8_S1C_bDpT10_ENKUlT_T0_E_clISt17integral_constantIbLb0EES1P_EEDaS1K_S1L_EUlS1K_E_NS1_11comp_targetILNS1_3genE5ELNS1_11target_archE942ELNS1_3gpuE9ELNS1_3repE0EEENS1_30default_config_static_selectorELNS0_4arch9wavefront6targetE0EEEvSY_.num_agpr, 0
	.set _ZN7rocprim17ROCPRIM_400000_NS6detail17trampoline_kernelINS0_13select_configILj256ELj13ELNS0_17block_load_methodE3ELS4_3ELS4_3ELNS0_20block_scan_algorithmE0ELj4294967295EEENS1_25partition_config_selectorILNS1_17partition_subalgoE3EjNS0_10empty_typeEbEEZZNS1_14partition_implILS8_3ELb0ES6_jNS0_17counting_iteratorIjlEEPS9_SE_NS0_5tupleIJPjSE_EEENSF_IJSE_SE_EEES9_SG_JZNS1_25segmented_radix_sort_implINS0_14default_configELb0EPKdPdPKlPlN2at6native12_GLOBAL__N_18offset_tEEE10hipError_tPvRmT1_PNSt15iterator_traitsISY_E10value_typeET2_T3_PNSZ_IS14_E10value_typeET4_jRbjT5_S1A_jjP12ihipStream_tbEUljE_EEESV_SW_SX_S14_S18_S1A_T6_T7_T9_mT8_S1C_bDpT10_ENKUlT_T0_E_clISt17integral_constantIbLb0EES1P_EEDaS1K_S1L_EUlS1K_E_NS1_11comp_targetILNS1_3genE5ELNS1_11target_archE942ELNS1_3gpuE9ELNS1_3repE0EEENS1_30default_config_static_selectorELNS0_4arch9wavefront6targetE0EEEvSY_.numbered_sgpr, 0
	.set _ZN7rocprim17ROCPRIM_400000_NS6detail17trampoline_kernelINS0_13select_configILj256ELj13ELNS0_17block_load_methodE3ELS4_3ELS4_3ELNS0_20block_scan_algorithmE0ELj4294967295EEENS1_25partition_config_selectorILNS1_17partition_subalgoE3EjNS0_10empty_typeEbEEZZNS1_14partition_implILS8_3ELb0ES6_jNS0_17counting_iteratorIjlEEPS9_SE_NS0_5tupleIJPjSE_EEENSF_IJSE_SE_EEES9_SG_JZNS1_25segmented_radix_sort_implINS0_14default_configELb0EPKdPdPKlPlN2at6native12_GLOBAL__N_18offset_tEEE10hipError_tPvRmT1_PNSt15iterator_traitsISY_E10value_typeET2_T3_PNSZ_IS14_E10value_typeET4_jRbjT5_S1A_jjP12ihipStream_tbEUljE_EEESV_SW_SX_S14_S18_S1A_T6_T7_T9_mT8_S1C_bDpT10_ENKUlT_T0_E_clISt17integral_constantIbLb0EES1P_EEDaS1K_S1L_EUlS1K_E_NS1_11comp_targetILNS1_3genE5ELNS1_11target_archE942ELNS1_3gpuE9ELNS1_3repE0EEENS1_30default_config_static_selectorELNS0_4arch9wavefront6targetE0EEEvSY_.num_named_barrier, 0
	.set _ZN7rocprim17ROCPRIM_400000_NS6detail17trampoline_kernelINS0_13select_configILj256ELj13ELNS0_17block_load_methodE3ELS4_3ELS4_3ELNS0_20block_scan_algorithmE0ELj4294967295EEENS1_25partition_config_selectorILNS1_17partition_subalgoE3EjNS0_10empty_typeEbEEZZNS1_14partition_implILS8_3ELb0ES6_jNS0_17counting_iteratorIjlEEPS9_SE_NS0_5tupleIJPjSE_EEENSF_IJSE_SE_EEES9_SG_JZNS1_25segmented_radix_sort_implINS0_14default_configELb0EPKdPdPKlPlN2at6native12_GLOBAL__N_18offset_tEEE10hipError_tPvRmT1_PNSt15iterator_traitsISY_E10value_typeET2_T3_PNSZ_IS14_E10value_typeET4_jRbjT5_S1A_jjP12ihipStream_tbEUljE_EEESV_SW_SX_S14_S18_S1A_T6_T7_T9_mT8_S1C_bDpT10_ENKUlT_T0_E_clISt17integral_constantIbLb0EES1P_EEDaS1K_S1L_EUlS1K_E_NS1_11comp_targetILNS1_3genE5ELNS1_11target_archE942ELNS1_3gpuE9ELNS1_3repE0EEENS1_30default_config_static_selectorELNS0_4arch9wavefront6targetE0EEEvSY_.private_seg_size, 0
	.set _ZN7rocprim17ROCPRIM_400000_NS6detail17trampoline_kernelINS0_13select_configILj256ELj13ELNS0_17block_load_methodE3ELS4_3ELS4_3ELNS0_20block_scan_algorithmE0ELj4294967295EEENS1_25partition_config_selectorILNS1_17partition_subalgoE3EjNS0_10empty_typeEbEEZZNS1_14partition_implILS8_3ELb0ES6_jNS0_17counting_iteratorIjlEEPS9_SE_NS0_5tupleIJPjSE_EEENSF_IJSE_SE_EEES9_SG_JZNS1_25segmented_radix_sort_implINS0_14default_configELb0EPKdPdPKlPlN2at6native12_GLOBAL__N_18offset_tEEE10hipError_tPvRmT1_PNSt15iterator_traitsISY_E10value_typeET2_T3_PNSZ_IS14_E10value_typeET4_jRbjT5_S1A_jjP12ihipStream_tbEUljE_EEESV_SW_SX_S14_S18_S1A_T6_T7_T9_mT8_S1C_bDpT10_ENKUlT_T0_E_clISt17integral_constantIbLb0EES1P_EEDaS1K_S1L_EUlS1K_E_NS1_11comp_targetILNS1_3genE5ELNS1_11target_archE942ELNS1_3gpuE9ELNS1_3repE0EEENS1_30default_config_static_selectorELNS0_4arch9wavefront6targetE0EEEvSY_.uses_vcc, 0
	.set _ZN7rocprim17ROCPRIM_400000_NS6detail17trampoline_kernelINS0_13select_configILj256ELj13ELNS0_17block_load_methodE3ELS4_3ELS4_3ELNS0_20block_scan_algorithmE0ELj4294967295EEENS1_25partition_config_selectorILNS1_17partition_subalgoE3EjNS0_10empty_typeEbEEZZNS1_14partition_implILS8_3ELb0ES6_jNS0_17counting_iteratorIjlEEPS9_SE_NS0_5tupleIJPjSE_EEENSF_IJSE_SE_EEES9_SG_JZNS1_25segmented_radix_sort_implINS0_14default_configELb0EPKdPdPKlPlN2at6native12_GLOBAL__N_18offset_tEEE10hipError_tPvRmT1_PNSt15iterator_traitsISY_E10value_typeET2_T3_PNSZ_IS14_E10value_typeET4_jRbjT5_S1A_jjP12ihipStream_tbEUljE_EEESV_SW_SX_S14_S18_S1A_T6_T7_T9_mT8_S1C_bDpT10_ENKUlT_T0_E_clISt17integral_constantIbLb0EES1P_EEDaS1K_S1L_EUlS1K_E_NS1_11comp_targetILNS1_3genE5ELNS1_11target_archE942ELNS1_3gpuE9ELNS1_3repE0EEENS1_30default_config_static_selectorELNS0_4arch9wavefront6targetE0EEEvSY_.uses_flat_scratch, 0
	.set _ZN7rocprim17ROCPRIM_400000_NS6detail17trampoline_kernelINS0_13select_configILj256ELj13ELNS0_17block_load_methodE3ELS4_3ELS4_3ELNS0_20block_scan_algorithmE0ELj4294967295EEENS1_25partition_config_selectorILNS1_17partition_subalgoE3EjNS0_10empty_typeEbEEZZNS1_14partition_implILS8_3ELb0ES6_jNS0_17counting_iteratorIjlEEPS9_SE_NS0_5tupleIJPjSE_EEENSF_IJSE_SE_EEES9_SG_JZNS1_25segmented_radix_sort_implINS0_14default_configELb0EPKdPdPKlPlN2at6native12_GLOBAL__N_18offset_tEEE10hipError_tPvRmT1_PNSt15iterator_traitsISY_E10value_typeET2_T3_PNSZ_IS14_E10value_typeET4_jRbjT5_S1A_jjP12ihipStream_tbEUljE_EEESV_SW_SX_S14_S18_S1A_T6_T7_T9_mT8_S1C_bDpT10_ENKUlT_T0_E_clISt17integral_constantIbLb0EES1P_EEDaS1K_S1L_EUlS1K_E_NS1_11comp_targetILNS1_3genE5ELNS1_11target_archE942ELNS1_3gpuE9ELNS1_3repE0EEENS1_30default_config_static_selectorELNS0_4arch9wavefront6targetE0EEEvSY_.has_dyn_sized_stack, 0
	.set _ZN7rocprim17ROCPRIM_400000_NS6detail17trampoline_kernelINS0_13select_configILj256ELj13ELNS0_17block_load_methodE3ELS4_3ELS4_3ELNS0_20block_scan_algorithmE0ELj4294967295EEENS1_25partition_config_selectorILNS1_17partition_subalgoE3EjNS0_10empty_typeEbEEZZNS1_14partition_implILS8_3ELb0ES6_jNS0_17counting_iteratorIjlEEPS9_SE_NS0_5tupleIJPjSE_EEENSF_IJSE_SE_EEES9_SG_JZNS1_25segmented_radix_sort_implINS0_14default_configELb0EPKdPdPKlPlN2at6native12_GLOBAL__N_18offset_tEEE10hipError_tPvRmT1_PNSt15iterator_traitsISY_E10value_typeET2_T3_PNSZ_IS14_E10value_typeET4_jRbjT5_S1A_jjP12ihipStream_tbEUljE_EEESV_SW_SX_S14_S18_S1A_T6_T7_T9_mT8_S1C_bDpT10_ENKUlT_T0_E_clISt17integral_constantIbLb0EES1P_EEDaS1K_S1L_EUlS1K_E_NS1_11comp_targetILNS1_3genE5ELNS1_11target_archE942ELNS1_3gpuE9ELNS1_3repE0EEENS1_30default_config_static_selectorELNS0_4arch9wavefront6targetE0EEEvSY_.has_recursion, 0
	.set _ZN7rocprim17ROCPRIM_400000_NS6detail17trampoline_kernelINS0_13select_configILj256ELj13ELNS0_17block_load_methodE3ELS4_3ELS4_3ELNS0_20block_scan_algorithmE0ELj4294967295EEENS1_25partition_config_selectorILNS1_17partition_subalgoE3EjNS0_10empty_typeEbEEZZNS1_14partition_implILS8_3ELb0ES6_jNS0_17counting_iteratorIjlEEPS9_SE_NS0_5tupleIJPjSE_EEENSF_IJSE_SE_EEES9_SG_JZNS1_25segmented_radix_sort_implINS0_14default_configELb0EPKdPdPKlPlN2at6native12_GLOBAL__N_18offset_tEEE10hipError_tPvRmT1_PNSt15iterator_traitsISY_E10value_typeET2_T3_PNSZ_IS14_E10value_typeET4_jRbjT5_S1A_jjP12ihipStream_tbEUljE_EEESV_SW_SX_S14_S18_S1A_T6_T7_T9_mT8_S1C_bDpT10_ENKUlT_T0_E_clISt17integral_constantIbLb0EES1P_EEDaS1K_S1L_EUlS1K_E_NS1_11comp_targetILNS1_3genE5ELNS1_11target_archE942ELNS1_3gpuE9ELNS1_3repE0EEENS1_30default_config_static_selectorELNS0_4arch9wavefront6targetE0EEEvSY_.has_indirect_call, 0
	.section	.AMDGPU.csdata,"",@progbits
; Kernel info:
; codeLenInByte = 0
; TotalNumSgprs: 0
; NumVgprs: 0
; ScratchSize: 0
; MemoryBound: 0
; FloatMode: 240
; IeeeMode: 1
; LDSByteSize: 0 bytes/workgroup (compile time only)
; SGPRBlocks: 0
; VGPRBlocks: 0
; NumSGPRsForWavesPerEU: 1
; NumVGPRsForWavesPerEU: 1
; Occupancy: 16
; WaveLimiterHint : 0
; COMPUTE_PGM_RSRC2:SCRATCH_EN: 0
; COMPUTE_PGM_RSRC2:USER_SGPR: 2
; COMPUTE_PGM_RSRC2:TRAP_HANDLER: 0
; COMPUTE_PGM_RSRC2:TGID_X_EN: 1
; COMPUTE_PGM_RSRC2:TGID_Y_EN: 0
; COMPUTE_PGM_RSRC2:TGID_Z_EN: 0
; COMPUTE_PGM_RSRC2:TIDIG_COMP_CNT: 0
	.section	.text._ZN7rocprim17ROCPRIM_400000_NS6detail17trampoline_kernelINS0_13select_configILj256ELj13ELNS0_17block_load_methodE3ELS4_3ELS4_3ELNS0_20block_scan_algorithmE0ELj4294967295EEENS1_25partition_config_selectorILNS1_17partition_subalgoE3EjNS0_10empty_typeEbEEZZNS1_14partition_implILS8_3ELb0ES6_jNS0_17counting_iteratorIjlEEPS9_SE_NS0_5tupleIJPjSE_EEENSF_IJSE_SE_EEES9_SG_JZNS1_25segmented_radix_sort_implINS0_14default_configELb0EPKdPdPKlPlN2at6native12_GLOBAL__N_18offset_tEEE10hipError_tPvRmT1_PNSt15iterator_traitsISY_E10value_typeET2_T3_PNSZ_IS14_E10value_typeET4_jRbjT5_S1A_jjP12ihipStream_tbEUljE_EEESV_SW_SX_S14_S18_S1A_T6_T7_T9_mT8_S1C_bDpT10_ENKUlT_T0_E_clISt17integral_constantIbLb0EES1P_EEDaS1K_S1L_EUlS1K_E_NS1_11comp_targetILNS1_3genE4ELNS1_11target_archE910ELNS1_3gpuE8ELNS1_3repE0EEENS1_30default_config_static_selectorELNS0_4arch9wavefront6targetE0EEEvSY_,"axG",@progbits,_ZN7rocprim17ROCPRIM_400000_NS6detail17trampoline_kernelINS0_13select_configILj256ELj13ELNS0_17block_load_methodE3ELS4_3ELS4_3ELNS0_20block_scan_algorithmE0ELj4294967295EEENS1_25partition_config_selectorILNS1_17partition_subalgoE3EjNS0_10empty_typeEbEEZZNS1_14partition_implILS8_3ELb0ES6_jNS0_17counting_iteratorIjlEEPS9_SE_NS0_5tupleIJPjSE_EEENSF_IJSE_SE_EEES9_SG_JZNS1_25segmented_radix_sort_implINS0_14default_configELb0EPKdPdPKlPlN2at6native12_GLOBAL__N_18offset_tEEE10hipError_tPvRmT1_PNSt15iterator_traitsISY_E10value_typeET2_T3_PNSZ_IS14_E10value_typeET4_jRbjT5_S1A_jjP12ihipStream_tbEUljE_EEESV_SW_SX_S14_S18_S1A_T6_T7_T9_mT8_S1C_bDpT10_ENKUlT_T0_E_clISt17integral_constantIbLb0EES1P_EEDaS1K_S1L_EUlS1K_E_NS1_11comp_targetILNS1_3genE4ELNS1_11target_archE910ELNS1_3gpuE8ELNS1_3repE0EEENS1_30default_config_static_selectorELNS0_4arch9wavefront6targetE0EEEvSY_,comdat
	.globl	_ZN7rocprim17ROCPRIM_400000_NS6detail17trampoline_kernelINS0_13select_configILj256ELj13ELNS0_17block_load_methodE3ELS4_3ELS4_3ELNS0_20block_scan_algorithmE0ELj4294967295EEENS1_25partition_config_selectorILNS1_17partition_subalgoE3EjNS0_10empty_typeEbEEZZNS1_14partition_implILS8_3ELb0ES6_jNS0_17counting_iteratorIjlEEPS9_SE_NS0_5tupleIJPjSE_EEENSF_IJSE_SE_EEES9_SG_JZNS1_25segmented_radix_sort_implINS0_14default_configELb0EPKdPdPKlPlN2at6native12_GLOBAL__N_18offset_tEEE10hipError_tPvRmT1_PNSt15iterator_traitsISY_E10value_typeET2_T3_PNSZ_IS14_E10value_typeET4_jRbjT5_S1A_jjP12ihipStream_tbEUljE_EEESV_SW_SX_S14_S18_S1A_T6_T7_T9_mT8_S1C_bDpT10_ENKUlT_T0_E_clISt17integral_constantIbLb0EES1P_EEDaS1K_S1L_EUlS1K_E_NS1_11comp_targetILNS1_3genE4ELNS1_11target_archE910ELNS1_3gpuE8ELNS1_3repE0EEENS1_30default_config_static_selectorELNS0_4arch9wavefront6targetE0EEEvSY_ ; -- Begin function _ZN7rocprim17ROCPRIM_400000_NS6detail17trampoline_kernelINS0_13select_configILj256ELj13ELNS0_17block_load_methodE3ELS4_3ELS4_3ELNS0_20block_scan_algorithmE0ELj4294967295EEENS1_25partition_config_selectorILNS1_17partition_subalgoE3EjNS0_10empty_typeEbEEZZNS1_14partition_implILS8_3ELb0ES6_jNS0_17counting_iteratorIjlEEPS9_SE_NS0_5tupleIJPjSE_EEENSF_IJSE_SE_EEES9_SG_JZNS1_25segmented_radix_sort_implINS0_14default_configELb0EPKdPdPKlPlN2at6native12_GLOBAL__N_18offset_tEEE10hipError_tPvRmT1_PNSt15iterator_traitsISY_E10value_typeET2_T3_PNSZ_IS14_E10value_typeET4_jRbjT5_S1A_jjP12ihipStream_tbEUljE_EEESV_SW_SX_S14_S18_S1A_T6_T7_T9_mT8_S1C_bDpT10_ENKUlT_T0_E_clISt17integral_constantIbLb0EES1P_EEDaS1K_S1L_EUlS1K_E_NS1_11comp_targetILNS1_3genE4ELNS1_11target_archE910ELNS1_3gpuE8ELNS1_3repE0EEENS1_30default_config_static_selectorELNS0_4arch9wavefront6targetE0EEEvSY_
	.p2align	8
	.type	_ZN7rocprim17ROCPRIM_400000_NS6detail17trampoline_kernelINS0_13select_configILj256ELj13ELNS0_17block_load_methodE3ELS4_3ELS4_3ELNS0_20block_scan_algorithmE0ELj4294967295EEENS1_25partition_config_selectorILNS1_17partition_subalgoE3EjNS0_10empty_typeEbEEZZNS1_14partition_implILS8_3ELb0ES6_jNS0_17counting_iteratorIjlEEPS9_SE_NS0_5tupleIJPjSE_EEENSF_IJSE_SE_EEES9_SG_JZNS1_25segmented_radix_sort_implINS0_14default_configELb0EPKdPdPKlPlN2at6native12_GLOBAL__N_18offset_tEEE10hipError_tPvRmT1_PNSt15iterator_traitsISY_E10value_typeET2_T3_PNSZ_IS14_E10value_typeET4_jRbjT5_S1A_jjP12ihipStream_tbEUljE_EEESV_SW_SX_S14_S18_S1A_T6_T7_T9_mT8_S1C_bDpT10_ENKUlT_T0_E_clISt17integral_constantIbLb0EES1P_EEDaS1K_S1L_EUlS1K_E_NS1_11comp_targetILNS1_3genE4ELNS1_11target_archE910ELNS1_3gpuE8ELNS1_3repE0EEENS1_30default_config_static_selectorELNS0_4arch9wavefront6targetE0EEEvSY_,@function
_ZN7rocprim17ROCPRIM_400000_NS6detail17trampoline_kernelINS0_13select_configILj256ELj13ELNS0_17block_load_methodE3ELS4_3ELS4_3ELNS0_20block_scan_algorithmE0ELj4294967295EEENS1_25partition_config_selectorILNS1_17partition_subalgoE3EjNS0_10empty_typeEbEEZZNS1_14partition_implILS8_3ELb0ES6_jNS0_17counting_iteratorIjlEEPS9_SE_NS0_5tupleIJPjSE_EEENSF_IJSE_SE_EEES9_SG_JZNS1_25segmented_radix_sort_implINS0_14default_configELb0EPKdPdPKlPlN2at6native12_GLOBAL__N_18offset_tEEE10hipError_tPvRmT1_PNSt15iterator_traitsISY_E10value_typeET2_T3_PNSZ_IS14_E10value_typeET4_jRbjT5_S1A_jjP12ihipStream_tbEUljE_EEESV_SW_SX_S14_S18_S1A_T6_T7_T9_mT8_S1C_bDpT10_ENKUlT_T0_E_clISt17integral_constantIbLb0EES1P_EEDaS1K_S1L_EUlS1K_E_NS1_11comp_targetILNS1_3genE4ELNS1_11target_archE910ELNS1_3gpuE8ELNS1_3repE0EEENS1_30default_config_static_selectorELNS0_4arch9wavefront6targetE0EEEvSY_: ; @_ZN7rocprim17ROCPRIM_400000_NS6detail17trampoline_kernelINS0_13select_configILj256ELj13ELNS0_17block_load_methodE3ELS4_3ELS4_3ELNS0_20block_scan_algorithmE0ELj4294967295EEENS1_25partition_config_selectorILNS1_17partition_subalgoE3EjNS0_10empty_typeEbEEZZNS1_14partition_implILS8_3ELb0ES6_jNS0_17counting_iteratorIjlEEPS9_SE_NS0_5tupleIJPjSE_EEENSF_IJSE_SE_EEES9_SG_JZNS1_25segmented_radix_sort_implINS0_14default_configELb0EPKdPdPKlPlN2at6native12_GLOBAL__N_18offset_tEEE10hipError_tPvRmT1_PNSt15iterator_traitsISY_E10value_typeET2_T3_PNSZ_IS14_E10value_typeET4_jRbjT5_S1A_jjP12ihipStream_tbEUljE_EEESV_SW_SX_S14_S18_S1A_T6_T7_T9_mT8_S1C_bDpT10_ENKUlT_T0_E_clISt17integral_constantIbLb0EES1P_EEDaS1K_S1L_EUlS1K_E_NS1_11comp_targetILNS1_3genE4ELNS1_11target_archE910ELNS1_3gpuE8ELNS1_3repE0EEENS1_30default_config_static_selectorELNS0_4arch9wavefront6targetE0EEEvSY_
; %bb.0:
	.section	.rodata,"a",@progbits
	.p2align	6, 0x0
	.amdhsa_kernel _ZN7rocprim17ROCPRIM_400000_NS6detail17trampoline_kernelINS0_13select_configILj256ELj13ELNS0_17block_load_methodE3ELS4_3ELS4_3ELNS0_20block_scan_algorithmE0ELj4294967295EEENS1_25partition_config_selectorILNS1_17partition_subalgoE3EjNS0_10empty_typeEbEEZZNS1_14partition_implILS8_3ELb0ES6_jNS0_17counting_iteratorIjlEEPS9_SE_NS0_5tupleIJPjSE_EEENSF_IJSE_SE_EEES9_SG_JZNS1_25segmented_radix_sort_implINS0_14default_configELb0EPKdPdPKlPlN2at6native12_GLOBAL__N_18offset_tEEE10hipError_tPvRmT1_PNSt15iterator_traitsISY_E10value_typeET2_T3_PNSZ_IS14_E10value_typeET4_jRbjT5_S1A_jjP12ihipStream_tbEUljE_EEESV_SW_SX_S14_S18_S1A_T6_T7_T9_mT8_S1C_bDpT10_ENKUlT_T0_E_clISt17integral_constantIbLb0EES1P_EEDaS1K_S1L_EUlS1K_E_NS1_11comp_targetILNS1_3genE4ELNS1_11target_archE910ELNS1_3gpuE8ELNS1_3repE0EEENS1_30default_config_static_selectorELNS0_4arch9wavefront6targetE0EEEvSY_
		.amdhsa_group_segment_fixed_size 0
		.amdhsa_private_segment_fixed_size 0
		.amdhsa_kernarg_size 144
		.amdhsa_user_sgpr_count 2
		.amdhsa_user_sgpr_dispatch_ptr 0
		.amdhsa_user_sgpr_queue_ptr 0
		.amdhsa_user_sgpr_kernarg_segment_ptr 1
		.amdhsa_user_sgpr_dispatch_id 0
		.amdhsa_user_sgpr_private_segment_size 0
		.amdhsa_wavefront_size32 1
		.amdhsa_uses_dynamic_stack 0
		.amdhsa_enable_private_segment 0
		.amdhsa_system_sgpr_workgroup_id_x 1
		.amdhsa_system_sgpr_workgroup_id_y 0
		.amdhsa_system_sgpr_workgroup_id_z 0
		.amdhsa_system_sgpr_workgroup_info 0
		.amdhsa_system_vgpr_workitem_id 0
		.amdhsa_next_free_vgpr 1
		.amdhsa_next_free_sgpr 1
		.amdhsa_reserve_vcc 0
		.amdhsa_float_round_mode_32 0
		.amdhsa_float_round_mode_16_64 0
		.amdhsa_float_denorm_mode_32 3
		.amdhsa_float_denorm_mode_16_64 3
		.amdhsa_fp16_overflow 0
		.amdhsa_workgroup_processor_mode 1
		.amdhsa_memory_ordered 1
		.amdhsa_forward_progress 1
		.amdhsa_inst_pref_size 0
		.amdhsa_round_robin_scheduling 0
		.amdhsa_exception_fp_ieee_invalid_op 0
		.amdhsa_exception_fp_denorm_src 0
		.amdhsa_exception_fp_ieee_div_zero 0
		.amdhsa_exception_fp_ieee_overflow 0
		.amdhsa_exception_fp_ieee_underflow 0
		.amdhsa_exception_fp_ieee_inexact 0
		.amdhsa_exception_int_div_zero 0
	.end_amdhsa_kernel
	.section	.text._ZN7rocprim17ROCPRIM_400000_NS6detail17trampoline_kernelINS0_13select_configILj256ELj13ELNS0_17block_load_methodE3ELS4_3ELS4_3ELNS0_20block_scan_algorithmE0ELj4294967295EEENS1_25partition_config_selectorILNS1_17partition_subalgoE3EjNS0_10empty_typeEbEEZZNS1_14partition_implILS8_3ELb0ES6_jNS0_17counting_iteratorIjlEEPS9_SE_NS0_5tupleIJPjSE_EEENSF_IJSE_SE_EEES9_SG_JZNS1_25segmented_radix_sort_implINS0_14default_configELb0EPKdPdPKlPlN2at6native12_GLOBAL__N_18offset_tEEE10hipError_tPvRmT1_PNSt15iterator_traitsISY_E10value_typeET2_T3_PNSZ_IS14_E10value_typeET4_jRbjT5_S1A_jjP12ihipStream_tbEUljE_EEESV_SW_SX_S14_S18_S1A_T6_T7_T9_mT8_S1C_bDpT10_ENKUlT_T0_E_clISt17integral_constantIbLb0EES1P_EEDaS1K_S1L_EUlS1K_E_NS1_11comp_targetILNS1_3genE4ELNS1_11target_archE910ELNS1_3gpuE8ELNS1_3repE0EEENS1_30default_config_static_selectorELNS0_4arch9wavefront6targetE0EEEvSY_,"axG",@progbits,_ZN7rocprim17ROCPRIM_400000_NS6detail17trampoline_kernelINS0_13select_configILj256ELj13ELNS0_17block_load_methodE3ELS4_3ELS4_3ELNS0_20block_scan_algorithmE0ELj4294967295EEENS1_25partition_config_selectorILNS1_17partition_subalgoE3EjNS0_10empty_typeEbEEZZNS1_14partition_implILS8_3ELb0ES6_jNS0_17counting_iteratorIjlEEPS9_SE_NS0_5tupleIJPjSE_EEENSF_IJSE_SE_EEES9_SG_JZNS1_25segmented_radix_sort_implINS0_14default_configELb0EPKdPdPKlPlN2at6native12_GLOBAL__N_18offset_tEEE10hipError_tPvRmT1_PNSt15iterator_traitsISY_E10value_typeET2_T3_PNSZ_IS14_E10value_typeET4_jRbjT5_S1A_jjP12ihipStream_tbEUljE_EEESV_SW_SX_S14_S18_S1A_T6_T7_T9_mT8_S1C_bDpT10_ENKUlT_T0_E_clISt17integral_constantIbLb0EES1P_EEDaS1K_S1L_EUlS1K_E_NS1_11comp_targetILNS1_3genE4ELNS1_11target_archE910ELNS1_3gpuE8ELNS1_3repE0EEENS1_30default_config_static_selectorELNS0_4arch9wavefront6targetE0EEEvSY_,comdat
.Lfunc_end1191:
	.size	_ZN7rocprim17ROCPRIM_400000_NS6detail17trampoline_kernelINS0_13select_configILj256ELj13ELNS0_17block_load_methodE3ELS4_3ELS4_3ELNS0_20block_scan_algorithmE0ELj4294967295EEENS1_25partition_config_selectorILNS1_17partition_subalgoE3EjNS0_10empty_typeEbEEZZNS1_14partition_implILS8_3ELb0ES6_jNS0_17counting_iteratorIjlEEPS9_SE_NS0_5tupleIJPjSE_EEENSF_IJSE_SE_EEES9_SG_JZNS1_25segmented_radix_sort_implINS0_14default_configELb0EPKdPdPKlPlN2at6native12_GLOBAL__N_18offset_tEEE10hipError_tPvRmT1_PNSt15iterator_traitsISY_E10value_typeET2_T3_PNSZ_IS14_E10value_typeET4_jRbjT5_S1A_jjP12ihipStream_tbEUljE_EEESV_SW_SX_S14_S18_S1A_T6_T7_T9_mT8_S1C_bDpT10_ENKUlT_T0_E_clISt17integral_constantIbLb0EES1P_EEDaS1K_S1L_EUlS1K_E_NS1_11comp_targetILNS1_3genE4ELNS1_11target_archE910ELNS1_3gpuE8ELNS1_3repE0EEENS1_30default_config_static_selectorELNS0_4arch9wavefront6targetE0EEEvSY_, .Lfunc_end1191-_ZN7rocprim17ROCPRIM_400000_NS6detail17trampoline_kernelINS0_13select_configILj256ELj13ELNS0_17block_load_methodE3ELS4_3ELS4_3ELNS0_20block_scan_algorithmE0ELj4294967295EEENS1_25partition_config_selectorILNS1_17partition_subalgoE3EjNS0_10empty_typeEbEEZZNS1_14partition_implILS8_3ELb0ES6_jNS0_17counting_iteratorIjlEEPS9_SE_NS0_5tupleIJPjSE_EEENSF_IJSE_SE_EEES9_SG_JZNS1_25segmented_radix_sort_implINS0_14default_configELb0EPKdPdPKlPlN2at6native12_GLOBAL__N_18offset_tEEE10hipError_tPvRmT1_PNSt15iterator_traitsISY_E10value_typeET2_T3_PNSZ_IS14_E10value_typeET4_jRbjT5_S1A_jjP12ihipStream_tbEUljE_EEESV_SW_SX_S14_S18_S1A_T6_T7_T9_mT8_S1C_bDpT10_ENKUlT_T0_E_clISt17integral_constantIbLb0EES1P_EEDaS1K_S1L_EUlS1K_E_NS1_11comp_targetILNS1_3genE4ELNS1_11target_archE910ELNS1_3gpuE8ELNS1_3repE0EEENS1_30default_config_static_selectorELNS0_4arch9wavefront6targetE0EEEvSY_
                                        ; -- End function
	.set _ZN7rocprim17ROCPRIM_400000_NS6detail17trampoline_kernelINS0_13select_configILj256ELj13ELNS0_17block_load_methodE3ELS4_3ELS4_3ELNS0_20block_scan_algorithmE0ELj4294967295EEENS1_25partition_config_selectorILNS1_17partition_subalgoE3EjNS0_10empty_typeEbEEZZNS1_14partition_implILS8_3ELb0ES6_jNS0_17counting_iteratorIjlEEPS9_SE_NS0_5tupleIJPjSE_EEENSF_IJSE_SE_EEES9_SG_JZNS1_25segmented_radix_sort_implINS0_14default_configELb0EPKdPdPKlPlN2at6native12_GLOBAL__N_18offset_tEEE10hipError_tPvRmT1_PNSt15iterator_traitsISY_E10value_typeET2_T3_PNSZ_IS14_E10value_typeET4_jRbjT5_S1A_jjP12ihipStream_tbEUljE_EEESV_SW_SX_S14_S18_S1A_T6_T7_T9_mT8_S1C_bDpT10_ENKUlT_T0_E_clISt17integral_constantIbLb0EES1P_EEDaS1K_S1L_EUlS1K_E_NS1_11comp_targetILNS1_3genE4ELNS1_11target_archE910ELNS1_3gpuE8ELNS1_3repE0EEENS1_30default_config_static_selectorELNS0_4arch9wavefront6targetE0EEEvSY_.num_vgpr, 0
	.set _ZN7rocprim17ROCPRIM_400000_NS6detail17trampoline_kernelINS0_13select_configILj256ELj13ELNS0_17block_load_methodE3ELS4_3ELS4_3ELNS0_20block_scan_algorithmE0ELj4294967295EEENS1_25partition_config_selectorILNS1_17partition_subalgoE3EjNS0_10empty_typeEbEEZZNS1_14partition_implILS8_3ELb0ES6_jNS0_17counting_iteratorIjlEEPS9_SE_NS0_5tupleIJPjSE_EEENSF_IJSE_SE_EEES9_SG_JZNS1_25segmented_radix_sort_implINS0_14default_configELb0EPKdPdPKlPlN2at6native12_GLOBAL__N_18offset_tEEE10hipError_tPvRmT1_PNSt15iterator_traitsISY_E10value_typeET2_T3_PNSZ_IS14_E10value_typeET4_jRbjT5_S1A_jjP12ihipStream_tbEUljE_EEESV_SW_SX_S14_S18_S1A_T6_T7_T9_mT8_S1C_bDpT10_ENKUlT_T0_E_clISt17integral_constantIbLb0EES1P_EEDaS1K_S1L_EUlS1K_E_NS1_11comp_targetILNS1_3genE4ELNS1_11target_archE910ELNS1_3gpuE8ELNS1_3repE0EEENS1_30default_config_static_selectorELNS0_4arch9wavefront6targetE0EEEvSY_.num_agpr, 0
	.set _ZN7rocprim17ROCPRIM_400000_NS6detail17trampoline_kernelINS0_13select_configILj256ELj13ELNS0_17block_load_methodE3ELS4_3ELS4_3ELNS0_20block_scan_algorithmE0ELj4294967295EEENS1_25partition_config_selectorILNS1_17partition_subalgoE3EjNS0_10empty_typeEbEEZZNS1_14partition_implILS8_3ELb0ES6_jNS0_17counting_iteratorIjlEEPS9_SE_NS0_5tupleIJPjSE_EEENSF_IJSE_SE_EEES9_SG_JZNS1_25segmented_radix_sort_implINS0_14default_configELb0EPKdPdPKlPlN2at6native12_GLOBAL__N_18offset_tEEE10hipError_tPvRmT1_PNSt15iterator_traitsISY_E10value_typeET2_T3_PNSZ_IS14_E10value_typeET4_jRbjT5_S1A_jjP12ihipStream_tbEUljE_EEESV_SW_SX_S14_S18_S1A_T6_T7_T9_mT8_S1C_bDpT10_ENKUlT_T0_E_clISt17integral_constantIbLb0EES1P_EEDaS1K_S1L_EUlS1K_E_NS1_11comp_targetILNS1_3genE4ELNS1_11target_archE910ELNS1_3gpuE8ELNS1_3repE0EEENS1_30default_config_static_selectorELNS0_4arch9wavefront6targetE0EEEvSY_.numbered_sgpr, 0
	.set _ZN7rocprim17ROCPRIM_400000_NS6detail17trampoline_kernelINS0_13select_configILj256ELj13ELNS0_17block_load_methodE3ELS4_3ELS4_3ELNS0_20block_scan_algorithmE0ELj4294967295EEENS1_25partition_config_selectorILNS1_17partition_subalgoE3EjNS0_10empty_typeEbEEZZNS1_14partition_implILS8_3ELb0ES6_jNS0_17counting_iteratorIjlEEPS9_SE_NS0_5tupleIJPjSE_EEENSF_IJSE_SE_EEES9_SG_JZNS1_25segmented_radix_sort_implINS0_14default_configELb0EPKdPdPKlPlN2at6native12_GLOBAL__N_18offset_tEEE10hipError_tPvRmT1_PNSt15iterator_traitsISY_E10value_typeET2_T3_PNSZ_IS14_E10value_typeET4_jRbjT5_S1A_jjP12ihipStream_tbEUljE_EEESV_SW_SX_S14_S18_S1A_T6_T7_T9_mT8_S1C_bDpT10_ENKUlT_T0_E_clISt17integral_constantIbLb0EES1P_EEDaS1K_S1L_EUlS1K_E_NS1_11comp_targetILNS1_3genE4ELNS1_11target_archE910ELNS1_3gpuE8ELNS1_3repE0EEENS1_30default_config_static_selectorELNS0_4arch9wavefront6targetE0EEEvSY_.num_named_barrier, 0
	.set _ZN7rocprim17ROCPRIM_400000_NS6detail17trampoline_kernelINS0_13select_configILj256ELj13ELNS0_17block_load_methodE3ELS4_3ELS4_3ELNS0_20block_scan_algorithmE0ELj4294967295EEENS1_25partition_config_selectorILNS1_17partition_subalgoE3EjNS0_10empty_typeEbEEZZNS1_14partition_implILS8_3ELb0ES6_jNS0_17counting_iteratorIjlEEPS9_SE_NS0_5tupleIJPjSE_EEENSF_IJSE_SE_EEES9_SG_JZNS1_25segmented_radix_sort_implINS0_14default_configELb0EPKdPdPKlPlN2at6native12_GLOBAL__N_18offset_tEEE10hipError_tPvRmT1_PNSt15iterator_traitsISY_E10value_typeET2_T3_PNSZ_IS14_E10value_typeET4_jRbjT5_S1A_jjP12ihipStream_tbEUljE_EEESV_SW_SX_S14_S18_S1A_T6_T7_T9_mT8_S1C_bDpT10_ENKUlT_T0_E_clISt17integral_constantIbLb0EES1P_EEDaS1K_S1L_EUlS1K_E_NS1_11comp_targetILNS1_3genE4ELNS1_11target_archE910ELNS1_3gpuE8ELNS1_3repE0EEENS1_30default_config_static_selectorELNS0_4arch9wavefront6targetE0EEEvSY_.private_seg_size, 0
	.set _ZN7rocprim17ROCPRIM_400000_NS6detail17trampoline_kernelINS0_13select_configILj256ELj13ELNS0_17block_load_methodE3ELS4_3ELS4_3ELNS0_20block_scan_algorithmE0ELj4294967295EEENS1_25partition_config_selectorILNS1_17partition_subalgoE3EjNS0_10empty_typeEbEEZZNS1_14partition_implILS8_3ELb0ES6_jNS0_17counting_iteratorIjlEEPS9_SE_NS0_5tupleIJPjSE_EEENSF_IJSE_SE_EEES9_SG_JZNS1_25segmented_radix_sort_implINS0_14default_configELb0EPKdPdPKlPlN2at6native12_GLOBAL__N_18offset_tEEE10hipError_tPvRmT1_PNSt15iterator_traitsISY_E10value_typeET2_T3_PNSZ_IS14_E10value_typeET4_jRbjT5_S1A_jjP12ihipStream_tbEUljE_EEESV_SW_SX_S14_S18_S1A_T6_T7_T9_mT8_S1C_bDpT10_ENKUlT_T0_E_clISt17integral_constantIbLb0EES1P_EEDaS1K_S1L_EUlS1K_E_NS1_11comp_targetILNS1_3genE4ELNS1_11target_archE910ELNS1_3gpuE8ELNS1_3repE0EEENS1_30default_config_static_selectorELNS0_4arch9wavefront6targetE0EEEvSY_.uses_vcc, 0
	.set _ZN7rocprim17ROCPRIM_400000_NS6detail17trampoline_kernelINS0_13select_configILj256ELj13ELNS0_17block_load_methodE3ELS4_3ELS4_3ELNS0_20block_scan_algorithmE0ELj4294967295EEENS1_25partition_config_selectorILNS1_17partition_subalgoE3EjNS0_10empty_typeEbEEZZNS1_14partition_implILS8_3ELb0ES6_jNS0_17counting_iteratorIjlEEPS9_SE_NS0_5tupleIJPjSE_EEENSF_IJSE_SE_EEES9_SG_JZNS1_25segmented_radix_sort_implINS0_14default_configELb0EPKdPdPKlPlN2at6native12_GLOBAL__N_18offset_tEEE10hipError_tPvRmT1_PNSt15iterator_traitsISY_E10value_typeET2_T3_PNSZ_IS14_E10value_typeET4_jRbjT5_S1A_jjP12ihipStream_tbEUljE_EEESV_SW_SX_S14_S18_S1A_T6_T7_T9_mT8_S1C_bDpT10_ENKUlT_T0_E_clISt17integral_constantIbLb0EES1P_EEDaS1K_S1L_EUlS1K_E_NS1_11comp_targetILNS1_3genE4ELNS1_11target_archE910ELNS1_3gpuE8ELNS1_3repE0EEENS1_30default_config_static_selectorELNS0_4arch9wavefront6targetE0EEEvSY_.uses_flat_scratch, 0
	.set _ZN7rocprim17ROCPRIM_400000_NS6detail17trampoline_kernelINS0_13select_configILj256ELj13ELNS0_17block_load_methodE3ELS4_3ELS4_3ELNS0_20block_scan_algorithmE0ELj4294967295EEENS1_25partition_config_selectorILNS1_17partition_subalgoE3EjNS0_10empty_typeEbEEZZNS1_14partition_implILS8_3ELb0ES6_jNS0_17counting_iteratorIjlEEPS9_SE_NS0_5tupleIJPjSE_EEENSF_IJSE_SE_EEES9_SG_JZNS1_25segmented_radix_sort_implINS0_14default_configELb0EPKdPdPKlPlN2at6native12_GLOBAL__N_18offset_tEEE10hipError_tPvRmT1_PNSt15iterator_traitsISY_E10value_typeET2_T3_PNSZ_IS14_E10value_typeET4_jRbjT5_S1A_jjP12ihipStream_tbEUljE_EEESV_SW_SX_S14_S18_S1A_T6_T7_T9_mT8_S1C_bDpT10_ENKUlT_T0_E_clISt17integral_constantIbLb0EES1P_EEDaS1K_S1L_EUlS1K_E_NS1_11comp_targetILNS1_3genE4ELNS1_11target_archE910ELNS1_3gpuE8ELNS1_3repE0EEENS1_30default_config_static_selectorELNS0_4arch9wavefront6targetE0EEEvSY_.has_dyn_sized_stack, 0
	.set _ZN7rocprim17ROCPRIM_400000_NS6detail17trampoline_kernelINS0_13select_configILj256ELj13ELNS0_17block_load_methodE3ELS4_3ELS4_3ELNS0_20block_scan_algorithmE0ELj4294967295EEENS1_25partition_config_selectorILNS1_17partition_subalgoE3EjNS0_10empty_typeEbEEZZNS1_14partition_implILS8_3ELb0ES6_jNS0_17counting_iteratorIjlEEPS9_SE_NS0_5tupleIJPjSE_EEENSF_IJSE_SE_EEES9_SG_JZNS1_25segmented_radix_sort_implINS0_14default_configELb0EPKdPdPKlPlN2at6native12_GLOBAL__N_18offset_tEEE10hipError_tPvRmT1_PNSt15iterator_traitsISY_E10value_typeET2_T3_PNSZ_IS14_E10value_typeET4_jRbjT5_S1A_jjP12ihipStream_tbEUljE_EEESV_SW_SX_S14_S18_S1A_T6_T7_T9_mT8_S1C_bDpT10_ENKUlT_T0_E_clISt17integral_constantIbLb0EES1P_EEDaS1K_S1L_EUlS1K_E_NS1_11comp_targetILNS1_3genE4ELNS1_11target_archE910ELNS1_3gpuE8ELNS1_3repE0EEENS1_30default_config_static_selectorELNS0_4arch9wavefront6targetE0EEEvSY_.has_recursion, 0
	.set _ZN7rocprim17ROCPRIM_400000_NS6detail17trampoline_kernelINS0_13select_configILj256ELj13ELNS0_17block_load_methodE3ELS4_3ELS4_3ELNS0_20block_scan_algorithmE0ELj4294967295EEENS1_25partition_config_selectorILNS1_17partition_subalgoE3EjNS0_10empty_typeEbEEZZNS1_14partition_implILS8_3ELb0ES6_jNS0_17counting_iteratorIjlEEPS9_SE_NS0_5tupleIJPjSE_EEENSF_IJSE_SE_EEES9_SG_JZNS1_25segmented_radix_sort_implINS0_14default_configELb0EPKdPdPKlPlN2at6native12_GLOBAL__N_18offset_tEEE10hipError_tPvRmT1_PNSt15iterator_traitsISY_E10value_typeET2_T3_PNSZ_IS14_E10value_typeET4_jRbjT5_S1A_jjP12ihipStream_tbEUljE_EEESV_SW_SX_S14_S18_S1A_T6_T7_T9_mT8_S1C_bDpT10_ENKUlT_T0_E_clISt17integral_constantIbLb0EES1P_EEDaS1K_S1L_EUlS1K_E_NS1_11comp_targetILNS1_3genE4ELNS1_11target_archE910ELNS1_3gpuE8ELNS1_3repE0EEENS1_30default_config_static_selectorELNS0_4arch9wavefront6targetE0EEEvSY_.has_indirect_call, 0
	.section	.AMDGPU.csdata,"",@progbits
; Kernel info:
; codeLenInByte = 0
; TotalNumSgprs: 0
; NumVgprs: 0
; ScratchSize: 0
; MemoryBound: 0
; FloatMode: 240
; IeeeMode: 1
; LDSByteSize: 0 bytes/workgroup (compile time only)
; SGPRBlocks: 0
; VGPRBlocks: 0
; NumSGPRsForWavesPerEU: 1
; NumVGPRsForWavesPerEU: 1
; Occupancy: 16
; WaveLimiterHint : 0
; COMPUTE_PGM_RSRC2:SCRATCH_EN: 0
; COMPUTE_PGM_RSRC2:USER_SGPR: 2
; COMPUTE_PGM_RSRC2:TRAP_HANDLER: 0
; COMPUTE_PGM_RSRC2:TGID_X_EN: 1
; COMPUTE_PGM_RSRC2:TGID_Y_EN: 0
; COMPUTE_PGM_RSRC2:TGID_Z_EN: 0
; COMPUTE_PGM_RSRC2:TIDIG_COMP_CNT: 0
	.section	.text._ZN7rocprim17ROCPRIM_400000_NS6detail17trampoline_kernelINS0_13select_configILj256ELj13ELNS0_17block_load_methodE3ELS4_3ELS4_3ELNS0_20block_scan_algorithmE0ELj4294967295EEENS1_25partition_config_selectorILNS1_17partition_subalgoE3EjNS0_10empty_typeEbEEZZNS1_14partition_implILS8_3ELb0ES6_jNS0_17counting_iteratorIjlEEPS9_SE_NS0_5tupleIJPjSE_EEENSF_IJSE_SE_EEES9_SG_JZNS1_25segmented_radix_sort_implINS0_14default_configELb0EPKdPdPKlPlN2at6native12_GLOBAL__N_18offset_tEEE10hipError_tPvRmT1_PNSt15iterator_traitsISY_E10value_typeET2_T3_PNSZ_IS14_E10value_typeET4_jRbjT5_S1A_jjP12ihipStream_tbEUljE_EEESV_SW_SX_S14_S18_S1A_T6_T7_T9_mT8_S1C_bDpT10_ENKUlT_T0_E_clISt17integral_constantIbLb0EES1P_EEDaS1K_S1L_EUlS1K_E_NS1_11comp_targetILNS1_3genE3ELNS1_11target_archE908ELNS1_3gpuE7ELNS1_3repE0EEENS1_30default_config_static_selectorELNS0_4arch9wavefront6targetE0EEEvSY_,"axG",@progbits,_ZN7rocprim17ROCPRIM_400000_NS6detail17trampoline_kernelINS0_13select_configILj256ELj13ELNS0_17block_load_methodE3ELS4_3ELS4_3ELNS0_20block_scan_algorithmE0ELj4294967295EEENS1_25partition_config_selectorILNS1_17partition_subalgoE3EjNS0_10empty_typeEbEEZZNS1_14partition_implILS8_3ELb0ES6_jNS0_17counting_iteratorIjlEEPS9_SE_NS0_5tupleIJPjSE_EEENSF_IJSE_SE_EEES9_SG_JZNS1_25segmented_radix_sort_implINS0_14default_configELb0EPKdPdPKlPlN2at6native12_GLOBAL__N_18offset_tEEE10hipError_tPvRmT1_PNSt15iterator_traitsISY_E10value_typeET2_T3_PNSZ_IS14_E10value_typeET4_jRbjT5_S1A_jjP12ihipStream_tbEUljE_EEESV_SW_SX_S14_S18_S1A_T6_T7_T9_mT8_S1C_bDpT10_ENKUlT_T0_E_clISt17integral_constantIbLb0EES1P_EEDaS1K_S1L_EUlS1K_E_NS1_11comp_targetILNS1_3genE3ELNS1_11target_archE908ELNS1_3gpuE7ELNS1_3repE0EEENS1_30default_config_static_selectorELNS0_4arch9wavefront6targetE0EEEvSY_,comdat
	.globl	_ZN7rocprim17ROCPRIM_400000_NS6detail17trampoline_kernelINS0_13select_configILj256ELj13ELNS0_17block_load_methodE3ELS4_3ELS4_3ELNS0_20block_scan_algorithmE0ELj4294967295EEENS1_25partition_config_selectorILNS1_17partition_subalgoE3EjNS0_10empty_typeEbEEZZNS1_14partition_implILS8_3ELb0ES6_jNS0_17counting_iteratorIjlEEPS9_SE_NS0_5tupleIJPjSE_EEENSF_IJSE_SE_EEES9_SG_JZNS1_25segmented_radix_sort_implINS0_14default_configELb0EPKdPdPKlPlN2at6native12_GLOBAL__N_18offset_tEEE10hipError_tPvRmT1_PNSt15iterator_traitsISY_E10value_typeET2_T3_PNSZ_IS14_E10value_typeET4_jRbjT5_S1A_jjP12ihipStream_tbEUljE_EEESV_SW_SX_S14_S18_S1A_T6_T7_T9_mT8_S1C_bDpT10_ENKUlT_T0_E_clISt17integral_constantIbLb0EES1P_EEDaS1K_S1L_EUlS1K_E_NS1_11comp_targetILNS1_3genE3ELNS1_11target_archE908ELNS1_3gpuE7ELNS1_3repE0EEENS1_30default_config_static_selectorELNS0_4arch9wavefront6targetE0EEEvSY_ ; -- Begin function _ZN7rocprim17ROCPRIM_400000_NS6detail17trampoline_kernelINS0_13select_configILj256ELj13ELNS0_17block_load_methodE3ELS4_3ELS4_3ELNS0_20block_scan_algorithmE0ELj4294967295EEENS1_25partition_config_selectorILNS1_17partition_subalgoE3EjNS0_10empty_typeEbEEZZNS1_14partition_implILS8_3ELb0ES6_jNS0_17counting_iteratorIjlEEPS9_SE_NS0_5tupleIJPjSE_EEENSF_IJSE_SE_EEES9_SG_JZNS1_25segmented_radix_sort_implINS0_14default_configELb0EPKdPdPKlPlN2at6native12_GLOBAL__N_18offset_tEEE10hipError_tPvRmT1_PNSt15iterator_traitsISY_E10value_typeET2_T3_PNSZ_IS14_E10value_typeET4_jRbjT5_S1A_jjP12ihipStream_tbEUljE_EEESV_SW_SX_S14_S18_S1A_T6_T7_T9_mT8_S1C_bDpT10_ENKUlT_T0_E_clISt17integral_constantIbLb0EES1P_EEDaS1K_S1L_EUlS1K_E_NS1_11comp_targetILNS1_3genE3ELNS1_11target_archE908ELNS1_3gpuE7ELNS1_3repE0EEENS1_30default_config_static_selectorELNS0_4arch9wavefront6targetE0EEEvSY_
	.p2align	8
	.type	_ZN7rocprim17ROCPRIM_400000_NS6detail17trampoline_kernelINS0_13select_configILj256ELj13ELNS0_17block_load_methodE3ELS4_3ELS4_3ELNS0_20block_scan_algorithmE0ELj4294967295EEENS1_25partition_config_selectorILNS1_17partition_subalgoE3EjNS0_10empty_typeEbEEZZNS1_14partition_implILS8_3ELb0ES6_jNS0_17counting_iteratorIjlEEPS9_SE_NS0_5tupleIJPjSE_EEENSF_IJSE_SE_EEES9_SG_JZNS1_25segmented_radix_sort_implINS0_14default_configELb0EPKdPdPKlPlN2at6native12_GLOBAL__N_18offset_tEEE10hipError_tPvRmT1_PNSt15iterator_traitsISY_E10value_typeET2_T3_PNSZ_IS14_E10value_typeET4_jRbjT5_S1A_jjP12ihipStream_tbEUljE_EEESV_SW_SX_S14_S18_S1A_T6_T7_T9_mT8_S1C_bDpT10_ENKUlT_T0_E_clISt17integral_constantIbLb0EES1P_EEDaS1K_S1L_EUlS1K_E_NS1_11comp_targetILNS1_3genE3ELNS1_11target_archE908ELNS1_3gpuE7ELNS1_3repE0EEENS1_30default_config_static_selectorELNS0_4arch9wavefront6targetE0EEEvSY_,@function
_ZN7rocprim17ROCPRIM_400000_NS6detail17trampoline_kernelINS0_13select_configILj256ELj13ELNS0_17block_load_methodE3ELS4_3ELS4_3ELNS0_20block_scan_algorithmE0ELj4294967295EEENS1_25partition_config_selectorILNS1_17partition_subalgoE3EjNS0_10empty_typeEbEEZZNS1_14partition_implILS8_3ELb0ES6_jNS0_17counting_iteratorIjlEEPS9_SE_NS0_5tupleIJPjSE_EEENSF_IJSE_SE_EEES9_SG_JZNS1_25segmented_radix_sort_implINS0_14default_configELb0EPKdPdPKlPlN2at6native12_GLOBAL__N_18offset_tEEE10hipError_tPvRmT1_PNSt15iterator_traitsISY_E10value_typeET2_T3_PNSZ_IS14_E10value_typeET4_jRbjT5_S1A_jjP12ihipStream_tbEUljE_EEESV_SW_SX_S14_S18_S1A_T6_T7_T9_mT8_S1C_bDpT10_ENKUlT_T0_E_clISt17integral_constantIbLb0EES1P_EEDaS1K_S1L_EUlS1K_E_NS1_11comp_targetILNS1_3genE3ELNS1_11target_archE908ELNS1_3gpuE7ELNS1_3repE0EEENS1_30default_config_static_selectorELNS0_4arch9wavefront6targetE0EEEvSY_: ; @_ZN7rocprim17ROCPRIM_400000_NS6detail17trampoline_kernelINS0_13select_configILj256ELj13ELNS0_17block_load_methodE3ELS4_3ELS4_3ELNS0_20block_scan_algorithmE0ELj4294967295EEENS1_25partition_config_selectorILNS1_17partition_subalgoE3EjNS0_10empty_typeEbEEZZNS1_14partition_implILS8_3ELb0ES6_jNS0_17counting_iteratorIjlEEPS9_SE_NS0_5tupleIJPjSE_EEENSF_IJSE_SE_EEES9_SG_JZNS1_25segmented_radix_sort_implINS0_14default_configELb0EPKdPdPKlPlN2at6native12_GLOBAL__N_18offset_tEEE10hipError_tPvRmT1_PNSt15iterator_traitsISY_E10value_typeET2_T3_PNSZ_IS14_E10value_typeET4_jRbjT5_S1A_jjP12ihipStream_tbEUljE_EEESV_SW_SX_S14_S18_S1A_T6_T7_T9_mT8_S1C_bDpT10_ENKUlT_T0_E_clISt17integral_constantIbLb0EES1P_EEDaS1K_S1L_EUlS1K_E_NS1_11comp_targetILNS1_3genE3ELNS1_11target_archE908ELNS1_3gpuE7ELNS1_3repE0EEENS1_30default_config_static_selectorELNS0_4arch9wavefront6targetE0EEEvSY_
; %bb.0:
	.section	.rodata,"a",@progbits
	.p2align	6, 0x0
	.amdhsa_kernel _ZN7rocprim17ROCPRIM_400000_NS6detail17trampoline_kernelINS0_13select_configILj256ELj13ELNS0_17block_load_methodE3ELS4_3ELS4_3ELNS0_20block_scan_algorithmE0ELj4294967295EEENS1_25partition_config_selectorILNS1_17partition_subalgoE3EjNS0_10empty_typeEbEEZZNS1_14partition_implILS8_3ELb0ES6_jNS0_17counting_iteratorIjlEEPS9_SE_NS0_5tupleIJPjSE_EEENSF_IJSE_SE_EEES9_SG_JZNS1_25segmented_radix_sort_implINS0_14default_configELb0EPKdPdPKlPlN2at6native12_GLOBAL__N_18offset_tEEE10hipError_tPvRmT1_PNSt15iterator_traitsISY_E10value_typeET2_T3_PNSZ_IS14_E10value_typeET4_jRbjT5_S1A_jjP12ihipStream_tbEUljE_EEESV_SW_SX_S14_S18_S1A_T6_T7_T9_mT8_S1C_bDpT10_ENKUlT_T0_E_clISt17integral_constantIbLb0EES1P_EEDaS1K_S1L_EUlS1K_E_NS1_11comp_targetILNS1_3genE3ELNS1_11target_archE908ELNS1_3gpuE7ELNS1_3repE0EEENS1_30default_config_static_selectorELNS0_4arch9wavefront6targetE0EEEvSY_
		.amdhsa_group_segment_fixed_size 0
		.amdhsa_private_segment_fixed_size 0
		.amdhsa_kernarg_size 144
		.amdhsa_user_sgpr_count 2
		.amdhsa_user_sgpr_dispatch_ptr 0
		.amdhsa_user_sgpr_queue_ptr 0
		.amdhsa_user_sgpr_kernarg_segment_ptr 1
		.amdhsa_user_sgpr_dispatch_id 0
		.amdhsa_user_sgpr_private_segment_size 0
		.amdhsa_wavefront_size32 1
		.amdhsa_uses_dynamic_stack 0
		.amdhsa_enable_private_segment 0
		.amdhsa_system_sgpr_workgroup_id_x 1
		.amdhsa_system_sgpr_workgroup_id_y 0
		.amdhsa_system_sgpr_workgroup_id_z 0
		.amdhsa_system_sgpr_workgroup_info 0
		.amdhsa_system_vgpr_workitem_id 0
		.amdhsa_next_free_vgpr 1
		.amdhsa_next_free_sgpr 1
		.amdhsa_reserve_vcc 0
		.amdhsa_float_round_mode_32 0
		.amdhsa_float_round_mode_16_64 0
		.amdhsa_float_denorm_mode_32 3
		.amdhsa_float_denorm_mode_16_64 3
		.amdhsa_fp16_overflow 0
		.amdhsa_workgroup_processor_mode 1
		.amdhsa_memory_ordered 1
		.amdhsa_forward_progress 1
		.amdhsa_inst_pref_size 0
		.amdhsa_round_robin_scheduling 0
		.amdhsa_exception_fp_ieee_invalid_op 0
		.amdhsa_exception_fp_denorm_src 0
		.amdhsa_exception_fp_ieee_div_zero 0
		.amdhsa_exception_fp_ieee_overflow 0
		.amdhsa_exception_fp_ieee_underflow 0
		.amdhsa_exception_fp_ieee_inexact 0
		.amdhsa_exception_int_div_zero 0
	.end_amdhsa_kernel
	.section	.text._ZN7rocprim17ROCPRIM_400000_NS6detail17trampoline_kernelINS0_13select_configILj256ELj13ELNS0_17block_load_methodE3ELS4_3ELS4_3ELNS0_20block_scan_algorithmE0ELj4294967295EEENS1_25partition_config_selectorILNS1_17partition_subalgoE3EjNS0_10empty_typeEbEEZZNS1_14partition_implILS8_3ELb0ES6_jNS0_17counting_iteratorIjlEEPS9_SE_NS0_5tupleIJPjSE_EEENSF_IJSE_SE_EEES9_SG_JZNS1_25segmented_radix_sort_implINS0_14default_configELb0EPKdPdPKlPlN2at6native12_GLOBAL__N_18offset_tEEE10hipError_tPvRmT1_PNSt15iterator_traitsISY_E10value_typeET2_T3_PNSZ_IS14_E10value_typeET4_jRbjT5_S1A_jjP12ihipStream_tbEUljE_EEESV_SW_SX_S14_S18_S1A_T6_T7_T9_mT8_S1C_bDpT10_ENKUlT_T0_E_clISt17integral_constantIbLb0EES1P_EEDaS1K_S1L_EUlS1K_E_NS1_11comp_targetILNS1_3genE3ELNS1_11target_archE908ELNS1_3gpuE7ELNS1_3repE0EEENS1_30default_config_static_selectorELNS0_4arch9wavefront6targetE0EEEvSY_,"axG",@progbits,_ZN7rocprim17ROCPRIM_400000_NS6detail17trampoline_kernelINS0_13select_configILj256ELj13ELNS0_17block_load_methodE3ELS4_3ELS4_3ELNS0_20block_scan_algorithmE0ELj4294967295EEENS1_25partition_config_selectorILNS1_17partition_subalgoE3EjNS0_10empty_typeEbEEZZNS1_14partition_implILS8_3ELb0ES6_jNS0_17counting_iteratorIjlEEPS9_SE_NS0_5tupleIJPjSE_EEENSF_IJSE_SE_EEES9_SG_JZNS1_25segmented_radix_sort_implINS0_14default_configELb0EPKdPdPKlPlN2at6native12_GLOBAL__N_18offset_tEEE10hipError_tPvRmT1_PNSt15iterator_traitsISY_E10value_typeET2_T3_PNSZ_IS14_E10value_typeET4_jRbjT5_S1A_jjP12ihipStream_tbEUljE_EEESV_SW_SX_S14_S18_S1A_T6_T7_T9_mT8_S1C_bDpT10_ENKUlT_T0_E_clISt17integral_constantIbLb0EES1P_EEDaS1K_S1L_EUlS1K_E_NS1_11comp_targetILNS1_3genE3ELNS1_11target_archE908ELNS1_3gpuE7ELNS1_3repE0EEENS1_30default_config_static_selectorELNS0_4arch9wavefront6targetE0EEEvSY_,comdat
.Lfunc_end1192:
	.size	_ZN7rocprim17ROCPRIM_400000_NS6detail17trampoline_kernelINS0_13select_configILj256ELj13ELNS0_17block_load_methodE3ELS4_3ELS4_3ELNS0_20block_scan_algorithmE0ELj4294967295EEENS1_25partition_config_selectorILNS1_17partition_subalgoE3EjNS0_10empty_typeEbEEZZNS1_14partition_implILS8_3ELb0ES6_jNS0_17counting_iteratorIjlEEPS9_SE_NS0_5tupleIJPjSE_EEENSF_IJSE_SE_EEES9_SG_JZNS1_25segmented_radix_sort_implINS0_14default_configELb0EPKdPdPKlPlN2at6native12_GLOBAL__N_18offset_tEEE10hipError_tPvRmT1_PNSt15iterator_traitsISY_E10value_typeET2_T3_PNSZ_IS14_E10value_typeET4_jRbjT5_S1A_jjP12ihipStream_tbEUljE_EEESV_SW_SX_S14_S18_S1A_T6_T7_T9_mT8_S1C_bDpT10_ENKUlT_T0_E_clISt17integral_constantIbLb0EES1P_EEDaS1K_S1L_EUlS1K_E_NS1_11comp_targetILNS1_3genE3ELNS1_11target_archE908ELNS1_3gpuE7ELNS1_3repE0EEENS1_30default_config_static_selectorELNS0_4arch9wavefront6targetE0EEEvSY_, .Lfunc_end1192-_ZN7rocprim17ROCPRIM_400000_NS6detail17trampoline_kernelINS0_13select_configILj256ELj13ELNS0_17block_load_methodE3ELS4_3ELS4_3ELNS0_20block_scan_algorithmE0ELj4294967295EEENS1_25partition_config_selectorILNS1_17partition_subalgoE3EjNS0_10empty_typeEbEEZZNS1_14partition_implILS8_3ELb0ES6_jNS0_17counting_iteratorIjlEEPS9_SE_NS0_5tupleIJPjSE_EEENSF_IJSE_SE_EEES9_SG_JZNS1_25segmented_radix_sort_implINS0_14default_configELb0EPKdPdPKlPlN2at6native12_GLOBAL__N_18offset_tEEE10hipError_tPvRmT1_PNSt15iterator_traitsISY_E10value_typeET2_T3_PNSZ_IS14_E10value_typeET4_jRbjT5_S1A_jjP12ihipStream_tbEUljE_EEESV_SW_SX_S14_S18_S1A_T6_T7_T9_mT8_S1C_bDpT10_ENKUlT_T0_E_clISt17integral_constantIbLb0EES1P_EEDaS1K_S1L_EUlS1K_E_NS1_11comp_targetILNS1_3genE3ELNS1_11target_archE908ELNS1_3gpuE7ELNS1_3repE0EEENS1_30default_config_static_selectorELNS0_4arch9wavefront6targetE0EEEvSY_
                                        ; -- End function
	.set _ZN7rocprim17ROCPRIM_400000_NS6detail17trampoline_kernelINS0_13select_configILj256ELj13ELNS0_17block_load_methodE3ELS4_3ELS4_3ELNS0_20block_scan_algorithmE0ELj4294967295EEENS1_25partition_config_selectorILNS1_17partition_subalgoE3EjNS0_10empty_typeEbEEZZNS1_14partition_implILS8_3ELb0ES6_jNS0_17counting_iteratorIjlEEPS9_SE_NS0_5tupleIJPjSE_EEENSF_IJSE_SE_EEES9_SG_JZNS1_25segmented_radix_sort_implINS0_14default_configELb0EPKdPdPKlPlN2at6native12_GLOBAL__N_18offset_tEEE10hipError_tPvRmT1_PNSt15iterator_traitsISY_E10value_typeET2_T3_PNSZ_IS14_E10value_typeET4_jRbjT5_S1A_jjP12ihipStream_tbEUljE_EEESV_SW_SX_S14_S18_S1A_T6_T7_T9_mT8_S1C_bDpT10_ENKUlT_T0_E_clISt17integral_constantIbLb0EES1P_EEDaS1K_S1L_EUlS1K_E_NS1_11comp_targetILNS1_3genE3ELNS1_11target_archE908ELNS1_3gpuE7ELNS1_3repE0EEENS1_30default_config_static_selectorELNS0_4arch9wavefront6targetE0EEEvSY_.num_vgpr, 0
	.set _ZN7rocprim17ROCPRIM_400000_NS6detail17trampoline_kernelINS0_13select_configILj256ELj13ELNS0_17block_load_methodE3ELS4_3ELS4_3ELNS0_20block_scan_algorithmE0ELj4294967295EEENS1_25partition_config_selectorILNS1_17partition_subalgoE3EjNS0_10empty_typeEbEEZZNS1_14partition_implILS8_3ELb0ES6_jNS0_17counting_iteratorIjlEEPS9_SE_NS0_5tupleIJPjSE_EEENSF_IJSE_SE_EEES9_SG_JZNS1_25segmented_radix_sort_implINS0_14default_configELb0EPKdPdPKlPlN2at6native12_GLOBAL__N_18offset_tEEE10hipError_tPvRmT1_PNSt15iterator_traitsISY_E10value_typeET2_T3_PNSZ_IS14_E10value_typeET4_jRbjT5_S1A_jjP12ihipStream_tbEUljE_EEESV_SW_SX_S14_S18_S1A_T6_T7_T9_mT8_S1C_bDpT10_ENKUlT_T0_E_clISt17integral_constantIbLb0EES1P_EEDaS1K_S1L_EUlS1K_E_NS1_11comp_targetILNS1_3genE3ELNS1_11target_archE908ELNS1_3gpuE7ELNS1_3repE0EEENS1_30default_config_static_selectorELNS0_4arch9wavefront6targetE0EEEvSY_.num_agpr, 0
	.set _ZN7rocprim17ROCPRIM_400000_NS6detail17trampoline_kernelINS0_13select_configILj256ELj13ELNS0_17block_load_methodE3ELS4_3ELS4_3ELNS0_20block_scan_algorithmE0ELj4294967295EEENS1_25partition_config_selectorILNS1_17partition_subalgoE3EjNS0_10empty_typeEbEEZZNS1_14partition_implILS8_3ELb0ES6_jNS0_17counting_iteratorIjlEEPS9_SE_NS0_5tupleIJPjSE_EEENSF_IJSE_SE_EEES9_SG_JZNS1_25segmented_radix_sort_implINS0_14default_configELb0EPKdPdPKlPlN2at6native12_GLOBAL__N_18offset_tEEE10hipError_tPvRmT1_PNSt15iterator_traitsISY_E10value_typeET2_T3_PNSZ_IS14_E10value_typeET4_jRbjT5_S1A_jjP12ihipStream_tbEUljE_EEESV_SW_SX_S14_S18_S1A_T6_T7_T9_mT8_S1C_bDpT10_ENKUlT_T0_E_clISt17integral_constantIbLb0EES1P_EEDaS1K_S1L_EUlS1K_E_NS1_11comp_targetILNS1_3genE3ELNS1_11target_archE908ELNS1_3gpuE7ELNS1_3repE0EEENS1_30default_config_static_selectorELNS0_4arch9wavefront6targetE0EEEvSY_.numbered_sgpr, 0
	.set _ZN7rocprim17ROCPRIM_400000_NS6detail17trampoline_kernelINS0_13select_configILj256ELj13ELNS0_17block_load_methodE3ELS4_3ELS4_3ELNS0_20block_scan_algorithmE0ELj4294967295EEENS1_25partition_config_selectorILNS1_17partition_subalgoE3EjNS0_10empty_typeEbEEZZNS1_14partition_implILS8_3ELb0ES6_jNS0_17counting_iteratorIjlEEPS9_SE_NS0_5tupleIJPjSE_EEENSF_IJSE_SE_EEES9_SG_JZNS1_25segmented_radix_sort_implINS0_14default_configELb0EPKdPdPKlPlN2at6native12_GLOBAL__N_18offset_tEEE10hipError_tPvRmT1_PNSt15iterator_traitsISY_E10value_typeET2_T3_PNSZ_IS14_E10value_typeET4_jRbjT5_S1A_jjP12ihipStream_tbEUljE_EEESV_SW_SX_S14_S18_S1A_T6_T7_T9_mT8_S1C_bDpT10_ENKUlT_T0_E_clISt17integral_constantIbLb0EES1P_EEDaS1K_S1L_EUlS1K_E_NS1_11comp_targetILNS1_3genE3ELNS1_11target_archE908ELNS1_3gpuE7ELNS1_3repE0EEENS1_30default_config_static_selectorELNS0_4arch9wavefront6targetE0EEEvSY_.num_named_barrier, 0
	.set _ZN7rocprim17ROCPRIM_400000_NS6detail17trampoline_kernelINS0_13select_configILj256ELj13ELNS0_17block_load_methodE3ELS4_3ELS4_3ELNS0_20block_scan_algorithmE0ELj4294967295EEENS1_25partition_config_selectorILNS1_17partition_subalgoE3EjNS0_10empty_typeEbEEZZNS1_14partition_implILS8_3ELb0ES6_jNS0_17counting_iteratorIjlEEPS9_SE_NS0_5tupleIJPjSE_EEENSF_IJSE_SE_EEES9_SG_JZNS1_25segmented_radix_sort_implINS0_14default_configELb0EPKdPdPKlPlN2at6native12_GLOBAL__N_18offset_tEEE10hipError_tPvRmT1_PNSt15iterator_traitsISY_E10value_typeET2_T3_PNSZ_IS14_E10value_typeET4_jRbjT5_S1A_jjP12ihipStream_tbEUljE_EEESV_SW_SX_S14_S18_S1A_T6_T7_T9_mT8_S1C_bDpT10_ENKUlT_T0_E_clISt17integral_constantIbLb0EES1P_EEDaS1K_S1L_EUlS1K_E_NS1_11comp_targetILNS1_3genE3ELNS1_11target_archE908ELNS1_3gpuE7ELNS1_3repE0EEENS1_30default_config_static_selectorELNS0_4arch9wavefront6targetE0EEEvSY_.private_seg_size, 0
	.set _ZN7rocprim17ROCPRIM_400000_NS6detail17trampoline_kernelINS0_13select_configILj256ELj13ELNS0_17block_load_methodE3ELS4_3ELS4_3ELNS0_20block_scan_algorithmE0ELj4294967295EEENS1_25partition_config_selectorILNS1_17partition_subalgoE3EjNS0_10empty_typeEbEEZZNS1_14partition_implILS8_3ELb0ES6_jNS0_17counting_iteratorIjlEEPS9_SE_NS0_5tupleIJPjSE_EEENSF_IJSE_SE_EEES9_SG_JZNS1_25segmented_radix_sort_implINS0_14default_configELb0EPKdPdPKlPlN2at6native12_GLOBAL__N_18offset_tEEE10hipError_tPvRmT1_PNSt15iterator_traitsISY_E10value_typeET2_T3_PNSZ_IS14_E10value_typeET4_jRbjT5_S1A_jjP12ihipStream_tbEUljE_EEESV_SW_SX_S14_S18_S1A_T6_T7_T9_mT8_S1C_bDpT10_ENKUlT_T0_E_clISt17integral_constantIbLb0EES1P_EEDaS1K_S1L_EUlS1K_E_NS1_11comp_targetILNS1_3genE3ELNS1_11target_archE908ELNS1_3gpuE7ELNS1_3repE0EEENS1_30default_config_static_selectorELNS0_4arch9wavefront6targetE0EEEvSY_.uses_vcc, 0
	.set _ZN7rocprim17ROCPRIM_400000_NS6detail17trampoline_kernelINS0_13select_configILj256ELj13ELNS0_17block_load_methodE3ELS4_3ELS4_3ELNS0_20block_scan_algorithmE0ELj4294967295EEENS1_25partition_config_selectorILNS1_17partition_subalgoE3EjNS0_10empty_typeEbEEZZNS1_14partition_implILS8_3ELb0ES6_jNS0_17counting_iteratorIjlEEPS9_SE_NS0_5tupleIJPjSE_EEENSF_IJSE_SE_EEES9_SG_JZNS1_25segmented_radix_sort_implINS0_14default_configELb0EPKdPdPKlPlN2at6native12_GLOBAL__N_18offset_tEEE10hipError_tPvRmT1_PNSt15iterator_traitsISY_E10value_typeET2_T3_PNSZ_IS14_E10value_typeET4_jRbjT5_S1A_jjP12ihipStream_tbEUljE_EEESV_SW_SX_S14_S18_S1A_T6_T7_T9_mT8_S1C_bDpT10_ENKUlT_T0_E_clISt17integral_constantIbLb0EES1P_EEDaS1K_S1L_EUlS1K_E_NS1_11comp_targetILNS1_3genE3ELNS1_11target_archE908ELNS1_3gpuE7ELNS1_3repE0EEENS1_30default_config_static_selectorELNS0_4arch9wavefront6targetE0EEEvSY_.uses_flat_scratch, 0
	.set _ZN7rocprim17ROCPRIM_400000_NS6detail17trampoline_kernelINS0_13select_configILj256ELj13ELNS0_17block_load_methodE3ELS4_3ELS4_3ELNS0_20block_scan_algorithmE0ELj4294967295EEENS1_25partition_config_selectorILNS1_17partition_subalgoE3EjNS0_10empty_typeEbEEZZNS1_14partition_implILS8_3ELb0ES6_jNS0_17counting_iteratorIjlEEPS9_SE_NS0_5tupleIJPjSE_EEENSF_IJSE_SE_EEES9_SG_JZNS1_25segmented_radix_sort_implINS0_14default_configELb0EPKdPdPKlPlN2at6native12_GLOBAL__N_18offset_tEEE10hipError_tPvRmT1_PNSt15iterator_traitsISY_E10value_typeET2_T3_PNSZ_IS14_E10value_typeET4_jRbjT5_S1A_jjP12ihipStream_tbEUljE_EEESV_SW_SX_S14_S18_S1A_T6_T7_T9_mT8_S1C_bDpT10_ENKUlT_T0_E_clISt17integral_constantIbLb0EES1P_EEDaS1K_S1L_EUlS1K_E_NS1_11comp_targetILNS1_3genE3ELNS1_11target_archE908ELNS1_3gpuE7ELNS1_3repE0EEENS1_30default_config_static_selectorELNS0_4arch9wavefront6targetE0EEEvSY_.has_dyn_sized_stack, 0
	.set _ZN7rocprim17ROCPRIM_400000_NS6detail17trampoline_kernelINS0_13select_configILj256ELj13ELNS0_17block_load_methodE3ELS4_3ELS4_3ELNS0_20block_scan_algorithmE0ELj4294967295EEENS1_25partition_config_selectorILNS1_17partition_subalgoE3EjNS0_10empty_typeEbEEZZNS1_14partition_implILS8_3ELb0ES6_jNS0_17counting_iteratorIjlEEPS9_SE_NS0_5tupleIJPjSE_EEENSF_IJSE_SE_EEES9_SG_JZNS1_25segmented_radix_sort_implINS0_14default_configELb0EPKdPdPKlPlN2at6native12_GLOBAL__N_18offset_tEEE10hipError_tPvRmT1_PNSt15iterator_traitsISY_E10value_typeET2_T3_PNSZ_IS14_E10value_typeET4_jRbjT5_S1A_jjP12ihipStream_tbEUljE_EEESV_SW_SX_S14_S18_S1A_T6_T7_T9_mT8_S1C_bDpT10_ENKUlT_T0_E_clISt17integral_constantIbLb0EES1P_EEDaS1K_S1L_EUlS1K_E_NS1_11comp_targetILNS1_3genE3ELNS1_11target_archE908ELNS1_3gpuE7ELNS1_3repE0EEENS1_30default_config_static_selectorELNS0_4arch9wavefront6targetE0EEEvSY_.has_recursion, 0
	.set _ZN7rocprim17ROCPRIM_400000_NS6detail17trampoline_kernelINS0_13select_configILj256ELj13ELNS0_17block_load_methodE3ELS4_3ELS4_3ELNS0_20block_scan_algorithmE0ELj4294967295EEENS1_25partition_config_selectorILNS1_17partition_subalgoE3EjNS0_10empty_typeEbEEZZNS1_14partition_implILS8_3ELb0ES6_jNS0_17counting_iteratorIjlEEPS9_SE_NS0_5tupleIJPjSE_EEENSF_IJSE_SE_EEES9_SG_JZNS1_25segmented_radix_sort_implINS0_14default_configELb0EPKdPdPKlPlN2at6native12_GLOBAL__N_18offset_tEEE10hipError_tPvRmT1_PNSt15iterator_traitsISY_E10value_typeET2_T3_PNSZ_IS14_E10value_typeET4_jRbjT5_S1A_jjP12ihipStream_tbEUljE_EEESV_SW_SX_S14_S18_S1A_T6_T7_T9_mT8_S1C_bDpT10_ENKUlT_T0_E_clISt17integral_constantIbLb0EES1P_EEDaS1K_S1L_EUlS1K_E_NS1_11comp_targetILNS1_3genE3ELNS1_11target_archE908ELNS1_3gpuE7ELNS1_3repE0EEENS1_30default_config_static_selectorELNS0_4arch9wavefront6targetE0EEEvSY_.has_indirect_call, 0
	.section	.AMDGPU.csdata,"",@progbits
; Kernel info:
; codeLenInByte = 0
; TotalNumSgprs: 0
; NumVgprs: 0
; ScratchSize: 0
; MemoryBound: 0
; FloatMode: 240
; IeeeMode: 1
; LDSByteSize: 0 bytes/workgroup (compile time only)
; SGPRBlocks: 0
; VGPRBlocks: 0
; NumSGPRsForWavesPerEU: 1
; NumVGPRsForWavesPerEU: 1
; Occupancy: 16
; WaveLimiterHint : 0
; COMPUTE_PGM_RSRC2:SCRATCH_EN: 0
; COMPUTE_PGM_RSRC2:USER_SGPR: 2
; COMPUTE_PGM_RSRC2:TRAP_HANDLER: 0
; COMPUTE_PGM_RSRC2:TGID_X_EN: 1
; COMPUTE_PGM_RSRC2:TGID_Y_EN: 0
; COMPUTE_PGM_RSRC2:TGID_Z_EN: 0
; COMPUTE_PGM_RSRC2:TIDIG_COMP_CNT: 0
	.section	.text._ZN7rocprim17ROCPRIM_400000_NS6detail17trampoline_kernelINS0_13select_configILj256ELj13ELNS0_17block_load_methodE3ELS4_3ELS4_3ELNS0_20block_scan_algorithmE0ELj4294967295EEENS1_25partition_config_selectorILNS1_17partition_subalgoE3EjNS0_10empty_typeEbEEZZNS1_14partition_implILS8_3ELb0ES6_jNS0_17counting_iteratorIjlEEPS9_SE_NS0_5tupleIJPjSE_EEENSF_IJSE_SE_EEES9_SG_JZNS1_25segmented_radix_sort_implINS0_14default_configELb0EPKdPdPKlPlN2at6native12_GLOBAL__N_18offset_tEEE10hipError_tPvRmT1_PNSt15iterator_traitsISY_E10value_typeET2_T3_PNSZ_IS14_E10value_typeET4_jRbjT5_S1A_jjP12ihipStream_tbEUljE_EEESV_SW_SX_S14_S18_S1A_T6_T7_T9_mT8_S1C_bDpT10_ENKUlT_T0_E_clISt17integral_constantIbLb0EES1P_EEDaS1K_S1L_EUlS1K_E_NS1_11comp_targetILNS1_3genE2ELNS1_11target_archE906ELNS1_3gpuE6ELNS1_3repE0EEENS1_30default_config_static_selectorELNS0_4arch9wavefront6targetE0EEEvSY_,"axG",@progbits,_ZN7rocprim17ROCPRIM_400000_NS6detail17trampoline_kernelINS0_13select_configILj256ELj13ELNS0_17block_load_methodE3ELS4_3ELS4_3ELNS0_20block_scan_algorithmE0ELj4294967295EEENS1_25partition_config_selectorILNS1_17partition_subalgoE3EjNS0_10empty_typeEbEEZZNS1_14partition_implILS8_3ELb0ES6_jNS0_17counting_iteratorIjlEEPS9_SE_NS0_5tupleIJPjSE_EEENSF_IJSE_SE_EEES9_SG_JZNS1_25segmented_radix_sort_implINS0_14default_configELb0EPKdPdPKlPlN2at6native12_GLOBAL__N_18offset_tEEE10hipError_tPvRmT1_PNSt15iterator_traitsISY_E10value_typeET2_T3_PNSZ_IS14_E10value_typeET4_jRbjT5_S1A_jjP12ihipStream_tbEUljE_EEESV_SW_SX_S14_S18_S1A_T6_T7_T9_mT8_S1C_bDpT10_ENKUlT_T0_E_clISt17integral_constantIbLb0EES1P_EEDaS1K_S1L_EUlS1K_E_NS1_11comp_targetILNS1_3genE2ELNS1_11target_archE906ELNS1_3gpuE6ELNS1_3repE0EEENS1_30default_config_static_selectorELNS0_4arch9wavefront6targetE0EEEvSY_,comdat
	.globl	_ZN7rocprim17ROCPRIM_400000_NS6detail17trampoline_kernelINS0_13select_configILj256ELj13ELNS0_17block_load_methodE3ELS4_3ELS4_3ELNS0_20block_scan_algorithmE0ELj4294967295EEENS1_25partition_config_selectorILNS1_17partition_subalgoE3EjNS0_10empty_typeEbEEZZNS1_14partition_implILS8_3ELb0ES6_jNS0_17counting_iteratorIjlEEPS9_SE_NS0_5tupleIJPjSE_EEENSF_IJSE_SE_EEES9_SG_JZNS1_25segmented_radix_sort_implINS0_14default_configELb0EPKdPdPKlPlN2at6native12_GLOBAL__N_18offset_tEEE10hipError_tPvRmT1_PNSt15iterator_traitsISY_E10value_typeET2_T3_PNSZ_IS14_E10value_typeET4_jRbjT5_S1A_jjP12ihipStream_tbEUljE_EEESV_SW_SX_S14_S18_S1A_T6_T7_T9_mT8_S1C_bDpT10_ENKUlT_T0_E_clISt17integral_constantIbLb0EES1P_EEDaS1K_S1L_EUlS1K_E_NS1_11comp_targetILNS1_3genE2ELNS1_11target_archE906ELNS1_3gpuE6ELNS1_3repE0EEENS1_30default_config_static_selectorELNS0_4arch9wavefront6targetE0EEEvSY_ ; -- Begin function _ZN7rocprim17ROCPRIM_400000_NS6detail17trampoline_kernelINS0_13select_configILj256ELj13ELNS0_17block_load_methodE3ELS4_3ELS4_3ELNS0_20block_scan_algorithmE0ELj4294967295EEENS1_25partition_config_selectorILNS1_17partition_subalgoE3EjNS0_10empty_typeEbEEZZNS1_14partition_implILS8_3ELb0ES6_jNS0_17counting_iteratorIjlEEPS9_SE_NS0_5tupleIJPjSE_EEENSF_IJSE_SE_EEES9_SG_JZNS1_25segmented_radix_sort_implINS0_14default_configELb0EPKdPdPKlPlN2at6native12_GLOBAL__N_18offset_tEEE10hipError_tPvRmT1_PNSt15iterator_traitsISY_E10value_typeET2_T3_PNSZ_IS14_E10value_typeET4_jRbjT5_S1A_jjP12ihipStream_tbEUljE_EEESV_SW_SX_S14_S18_S1A_T6_T7_T9_mT8_S1C_bDpT10_ENKUlT_T0_E_clISt17integral_constantIbLb0EES1P_EEDaS1K_S1L_EUlS1K_E_NS1_11comp_targetILNS1_3genE2ELNS1_11target_archE906ELNS1_3gpuE6ELNS1_3repE0EEENS1_30default_config_static_selectorELNS0_4arch9wavefront6targetE0EEEvSY_
	.p2align	8
	.type	_ZN7rocprim17ROCPRIM_400000_NS6detail17trampoline_kernelINS0_13select_configILj256ELj13ELNS0_17block_load_methodE3ELS4_3ELS4_3ELNS0_20block_scan_algorithmE0ELj4294967295EEENS1_25partition_config_selectorILNS1_17partition_subalgoE3EjNS0_10empty_typeEbEEZZNS1_14partition_implILS8_3ELb0ES6_jNS0_17counting_iteratorIjlEEPS9_SE_NS0_5tupleIJPjSE_EEENSF_IJSE_SE_EEES9_SG_JZNS1_25segmented_radix_sort_implINS0_14default_configELb0EPKdPdPKlPlN2at6native12_GLOBAL__N_18offset_tEEE10hipError_tPvRmT1_PNSt15iterator_traitsISY_E10value_typeET2_T3_PNSZ_IS14_E10value_typeET4_jRbjT5_S1A_jjP12ihipStream_tbEUljE_EEESV_SW_SX_S14_S18_S1A_T6_T7_T9_mT8_S1C_bDpT10_ENKUlT_T0_E_clISt17integral_constantIbLb0EES1P_EEDaS1K_S1L_EUlS1K_E_NS1_11comp_targetILNS1_3genE2ELNS1_11target_archE906ELNS1_3gpuE6ELNS1_3repE0EEENS1_30default_config_static_selectorELNS0_4arch9wavefront6targetE0EEEvSY_,@function
_ZN7rocprim17ROCPRIM_400000_NS6detail17trampoline_kernelINS0_13select_configILj256ELj13ELNS0_17block_load_methodE3ELS4_3ELS4_3ELNS0_20block_scan_algorithmE0ELj4294967295EEENS1_25partition_config_selectorILNS1_17partition_subalgoE3EjNS0_10empty_typeEbEEZZNS1_14partition_implILS8_3ELb0ES6_jNS0_17counting_iteratorIjlEEPS9_SE_NS0_5tupleIJPjSE_EEENSF_IJSE_SE_EEES9_SG_JZNS1_25segmented_radix_sort_implINS0_14default_configELb0EPKdPdPKlPlN2at6native12_GLOBAL__N_18offset_tEEE10hipError_tPvRmT1_PNSt15iterator_traitsISY_E10value_typeET2_T3_PNSZ_IS14_E10value_typeET4_jRbjT5_S1A_jjP12ihipStream_tbEUljE_EEESV_SW_SX_S14_S18_S1A_T6_T7_T9_mT8_S1C_bDpT10_ENKUlT_T0_E_clISt17integral_constantIbLb0EES1P_EEDaS1K_S1L_EUlS1K_E_NS1_11comp_targetILNS1_3genE2ELNS1_11target_archE906ELNS1_3gpuE6ELNS1_3repE0EEENS1_30default_config_static_selectorELNS0_4arch9wavefront6targetE0EEEvSY_: ; @_ZN7rocprim17ROCPRIM_400000_NS6detail17trampoline_kernelINS0_13select_configILj256ELj13ELNS0_17block_load_methodE3ELS4_3ELS4_3ELNS0_20block_scan_algorithmE0ELj4294967295EEENS1_25partition_config_selectorILNS1_17partition_subalgoE3EjNS0_10empty_typeEbEEZZNS1_14partition_implILS8_3ELb0ES6_jNS0_17counting_iteratorIjlEEPS9_SE_NS0_5tupleIJPjSE_EEENSF_IJSE_SE_EEES9_SG_JZNS1_25segmented_radix_sort_implINS0_14default_configELb0EPKdPdPKlPlN2at6native12_GLOBAL__N_18offset_tEEE10hipError_tPvRmT1_PNSt15iterator_traitsISY_E10value_typeET2_T3_PNSZ_IS14_E10value_typeET4_jRbjT5_S1A_jjP12ihipStream_tbEUljE_EEESV_SW_SX_S14_S18_S1A_T6_T7_T9_mT8_S1C_bDpT10_ENKUlT_T0_E_clISt17integral_constantIbLb0EES1P_EEDaS1K_S1L_EUlS1K_E_NS1_11comp_targetILNS1_3genE2ELNS1_11target_archE906ELNS1_3gpuE6ELNS1_3repE0EEENS1_30default_config_static_selectorELNS0_4arch9wavefront6targetE0EEEvSY_
; %bb.0:
	.section	.rodata,"a",@progbits
	.p2align	6, 0x0
	.amdhsa_kernel _ZN7rocprim17ROCPRIM_400000_NS6detail17trampoline_kernelINS0_13select_configILj256ELj13ELNS0_17block_load_methodE3ELS4_3ELS4_3ELNS0_20block_scan_algorithmE0ELj4294967295EEENS1_25partition_config_selectorILNS1_17partition_subalgoE3EjNS0_10empty_typeEbEEZZNS1_14partition_implILS8_3ELb0ES6_jNS0_17counting_iteratorIjlEEPS9_SE_NS0_5tupleIJPjSE_EEENSF_IJSE_SE_EEES9_SG_JZNS1_25segmented_radix_sort_implINS0_14default_configELb0EPKdPdPKlPlN2at6native12_GLOBAL__N_18offset_tEEE10hipError_tPvRmT1_PNSt15iterator_traitsISY_E10value_typeET2_T3_PNSZ_IS14_E10value_typeET4_jRbjT5_S1A_jjP12ihipStream_tbEUljE_EEESV_SW_SX_S14_S18_S1A_T6_T7_T9_mT8_S1C_bDpT10_ENKUlT_T0_E_clISt17integral_constantIbLb0EES1P_EEDaS1K_S1L_EUlS1K_E_NS1_11comp_targetILNS1_3genE2ELNS1_11target_archE906ELNS1_3gpuE6ELNS1_3repE0EEENS1_30default_config_static_selectorELNS0_4arch9wavefront6targetE0EEEvSY_
		.amdhsa_group_segment_fixed_size 0
		.amdhsa_private_segment_fixed_size 0
		.amdhsa_kernarg_size 144
		.amdhsa_user_sgpr_count 2
		.amdhsa_user_sgpr_dispatch_ptr 0
		.amdhsa_user_sgpr_queue_ptr 0
		.amdhsa_user_sgpr_kernarg_segment_ptr 1
		.amdhsa_user_sgpr_dispatch_id 0
		.amdhsa_user_sgpr_private_segment_size 0
		.amdhsa_wavefront_size32 1
		.amdhsa_uses_dynamic_stack 0
		.amdhsa_enable_private_segment 0
		.amdhsa_system_sgpr_workgroup_id_x 1
		.amdhsa_system_sgpr_workgroup_id_y 0
		.amdhsa_system_sgpr_workgroup_id_z 0
		.amdhsa_system_sgpr_workgroup_info 0
		.amdhsa_system_vgpr_workitem_id 0
		.amdhsa_next_free_vgpr 1
		.amdhsa_next_free_sgpr 1
		.amdhsa_reserve_vcc 0
		.amdhsa_float_round_mode_32 0
		.amdhsa_float_round_mode_16_64 0
		.amdhsa_float_denorm_mode_32 3
		.amdhsa_float_denorm_mode_16_64 3
		.amdhsa_fp16_overflow 0
		.amdhsa_workgroup_processor_mode 1
		.amdhsa_memory_ordered 1
		.amdhsa_forward_progress 1
		.amdhsa_inst_pref_size 0
		.amdhsa_round_robin_scheduling 0
		.amdhsa_exception_fp_ieee_invalid_op 0
		.amdhsa_exception_fp_denorm_src 0
		.amdhsa_exception_fp_ieee_div_zero 0
		.amdhsa_exception_fp_ieee_overflow 0
		.amdhsa_exception_fp_ieee_underflow 0
		.amdhsa_exception_fp_ieee_inexact 0
		.amdhsa_exception_int_div_zero 0
	.end_amdhsa_kernel
	.section	.text._ZN7rocprim17ROCPRIM_400000_NS6detail17trampoline_kernelINS0_13select_configILj256ELj13ELNS0_17block_load_methodE3ELS4_3ELS4_3ELNS0_20block_scan_algorithmE0ELj4294967295EEENS1_25partition_config_selectorILNS1_17partition_subalgoE3EjNS0_10empty_typeEbEEZZNS1_14partition_implILS8_3ELb0ES6_jNS0_17counting_iteratorIjlEEPS9_SE_NS0_5tupleIJPjSE_EEENSF_IJSE_SE_EEES9_SG_JZNS1_25segmented_radix_sort_implINS0_14default_configELb0EPKdPdPKlPlN2at6native12_GLOBAL__N_18offset_tEEE10hipError_tPvRmT1_PNSt15iterator_traitsISY_E10value_typeET2_T3_PNSZ_IS14_E10value_typeET4_jRbjT5_S1A_jjP12ihipStream_tbEUljE_EEESV_SW_SX_S14_S18_S1A_T6_T7_T9_mT8_S1C_bDpT10_ENKUlT_T0_E_clISt17integral_constantIbLb0EES1P_EEDaS1K_S1L_EUlS1K_E_NS1_11comp_targetILNS1_3genE2ELNS1_11target_archE906ELNS1_3gpuE6ELNS1_3repE0EEENS1_30default_config_static_selectorELNS0_4arch9wavefront6targetE0EEEvSY_,"axG",@progbits,_ZN7rocprim17ROCPRIM_400000_NS6detail17trampoline_kernelINS0_13select_configILj256ELj13ELNS0_17block_load_methodE3ELS4_3ELS4_3ELNS0_20block_scan_algorithmE0ELj4294967295EEENS1_25partition_config_selectorILNS1_17partition_subalgoE3EjNS0_10empty_typeEbEEZZNS1_14partition_implILS8_3ELb0ES6_jNS0_17counting_iteratorIjlEEPS9_SE_NS0_5tupleIJPjSE_EEENSF_IJSE_SE_EEES9_SG_JZNS1_25segmented_radix_sort_implINS0_14default_configELb0EPKdPdPKlPlN2at6native12_GLOBAL__N_18offset_tEEE10hipError_tPvRmT1_PNSt15iterator_traitsISY_E10value_typeET2_T3_PNSZ_IS14_E10value_typeET4_jRbjT5_S1A_jjP12ihipStream_tbEUljE_EEESV_SW_SX_S14_S18_S1A_T6_T7_T9_mT8_S1C_bDpT10_ENKUlT_T0_E_clISt17integral_constantIbLb0EES1P_EEDaS1K_S1L_EUlS1K_E_NS1_11comp_targetILNS1_3genE2ELNS1_11target_archE906ELNS1_3gpuE6ELNS1_3repE0EEENS1_30default_config_static_selectorELNS0_4arch9wavefront6targetE0EEEvSY_,comdat
.Lfunc_end1193:
	.size	_ZN7rocprim17ROCPRIM_400000_NS6detail17trampoline_kernelINS0_13select_configILj256ELj13ELNS0_17block_load_methodE3ELS4_3ELS4_3ELNS0_20block_scan_algorithmE0ELj4294967295EEENS1_25partition_config_selectorILNS1_17partition_subalgoE3EjNS0_10empty_typeEbEEZZNS1_14partition_implILS8_3ELb0ES6_jNS0_17counting_iteratorIjlEEPS9_SE_NS0_5tupleIJPjSE_EEENSF_IJSE_SE_EEES9_SG_JZNS1_25segmented_radix_sort_implINS0_14default_configELb0EPKdPdPKlPlN2at6native12_GLOBAL__N_18offset_tEEE10hipError_tPvRmT1_PNSt15iterator_traitsISY_E10value_typeET2_T3_PNSZ_IS14_E10value_typeET4_jRbjT5_S1A_jjP12ihipStream_tbEUljE_EEESV_SW_SX_S14_S18_S1A_T6_T7_T9_mT8_S1C_bDpT10_ENKUlT_T0_E_clISt17integral_constantIbLb0EES1P_EEDaS1K_S1L_EUlS1K_E_NS1_11comp_targetILNS1_3genE2ELNS1_11target_archE906ELNS1_3gpuE6ELNS1_3repE0EEENS1_30default_config_static_selectorELNS0_4arch9wavefront6targetE0EEEvSY_, .Lfunc_end1193-_ZN7rocprim17ROCPRIM_400000_NS6detail17trampoline_kernelINS0_13select_configILj256ELj13ELNS0_17block_load_methodE3ELS4_3ELS4_3ELNS0_20block_scan_algorithmE0ELj4294967295EEENS1_25partition_config_selectorILNS1_17partition_subalgoE3EjNS0_10empty_typeEbEEZZNS1_14partition_implILS8_3ELb0ES6_jNS0_17counting_iteratorIjlEEPS9_SE_NS0_5tupleIJPjSE_EEENSF_IJSE_SE_EEES9_SG_JZNS1_25segmented_radix_sort_implINS0_14default_configELb0EPKdPdPKlPlN2at6native12_GLOBAL__N_18offset_tEEE10hipError_tPvRmT1_PNSt15iterator_traitsISY_E10value_typeET2_T3_PNSZ_IS14_E10value_typeET4_jRbjT5_S1A_jjP12ihipStream_tbEUljE_EEESV_SW_SX_S14_S18_S1A_T6_T7_T9_mT8_S1C_bDpT10_ENKUlT_T0_E_clISt17integral_constantIbLb0EES1P_EEDaS1K_S1L_EUlS1K_E_NS1_11comp_targetILNS1_3genE2ELNS1_11target_archE906ELNS1_3gpuE6ELNS1_3repE0EEENS1_30default_config_static_selectorELNS0_4arch9wavefront6targetE0EEEvSY_
                                        ; -- End function
	.set _ZN7rocprim17ROCPRIM_400000_NS6detail17trampoline_kernelINS0_13select_configILj256ELj13ELNS0_17block_load_methodE3ELS4_3ELS4_3ELNS0_20block_scan_algorithmE0ELj4294967295EEENS1_25partition_config_selectorILNS1_17partition_subalgoE3EjNS0_10empty_typeEbEEZZNS1_14partition_implILS8_3ELb0ES6_jNS0_17counting_iteratorIjlEEPS9_SE_NS0_5tupleIJPjSE_EEENSF_IJSE_SE_EEES9_SG_JZNS1_25segmented_radix_sort_implINS0_14default_configELb0EPKdPdPKlPlN2at6native12_GLOBAL__N_18offset_tEEE10hipError_tPvRmT1_PNSt15iterator_traitsISY_E10value_typeET2_T3_PNSZ_IS14_E10value_typeET4_jRbjT5_S1A_jjP12ihipStream_tbEUljE_EEESV_SW_SX_S14_S18_S1A_T6_T7_T9_mT8_S1C_bDpT10_ENKUlT_T0_E_clISt17integral_constantIbLb0EES1P_EEDaS1K_S1L_EUlS1K_E_NS1_11comp_targetILNS1_3genE2ELNS1_11target_archE906ELNS1_3gpuE6ELNS1_3repE0EEENS1_30default_config_static_selectorELNS0_4arch9wavefront6targetE0EEEvSY_.num_vgpr, 0
	.set _ZN7rocprim17ROCPRIM_400000_NS6detail17trampoline_kernelINS0_13select_configILj256ELj13ELNS0_17block_load_methodE3ELS4_3ELS4_3ELNS0_20block_scan_algorithmE0ELj4294967295EEENS1_25partition_config_selectorILNS1_17partition_subalgoE3EjNS0_10empty_typeEbEEZZNS1_14partition_implILS8_3ELb0ES6_jNS0_17counting_iteratorIjlEEPS9_SE_NS0_5tupleIJPjSE_EEENSF_IJSE_SE_EEES9_SG_JZNS1_25segmented_radix_sort_implINS0_14default_configELb0EPKdPdPKlPlN2at6native12_GLOBAL__N_18offset_tEEE10hipError_tPvRmT1_PNSt15iterator_traitsISY_E10value_typeET2_T3_PNSZ_IS14_E10value_typeET4_jRbjT5_S1A_jjP12ihipStream_tbEUljE_EEESV_SW_SX_S14_S18_S1A_T6_T7_T9_mT8_S1C_bDpT10_ENKUlT_T0_E_clISt17integral_constantIbLb0EES1P_EEDaS1K_S1L_EUlS1K_E_NS1_11comp_targetILNS1_3genE2ELNS1_11target_archE906ELNS1_3gpuE6ELNS1_3repE0EEENS1_30default_config_static_selectorELNS0_4arch9wavefront6targetE0EEEvSY_.num_agpr, 0
	.set _ZN7rocprim17ROCPRIM_400000_NS6detail17trampoline_kernelINS0_13select_configILj256ELj13ELNS0_17block_load_methodE3ELS4_3ELS4_3ELNS0_20block_scan_algorithmE0ELj4294967295EEENS1_25partition_config_selectorILNS1_17partition_subalgoE3EjNS0_10empty_typeEbEEZZNS1_14partition_implILS8_3ELb0ES6_jNS0_17counting_iteratorIjlEEPS9_SE_NS0_5tupleIJPjSE_EEENSF_IJSE_SE_EEES9_SG_JZNS1_25segmented_radix_sort_implINS0_14default_configELb0EPKdPdPKlPlN2at6native12_GLOBAL__N_18offset_tEEE10hipError_tPvRmT1_PNSt15iterator_traitsISY_E10value_typeET2_T3_PNSZ_IS14_E10value_typeET4_jRbjT5_S1A_jjP12ihipStream_tbEUljE_EEESV_SW_SX_S14_S18_S1A_T6_T7_T9_mT8_S1C_bDpT10_ENKUlT_T0_E_clISt17integral_constantIbLb0EES1P_EEDaS1K_S1L_EUlS1K_E_NS1_11comp_targetILNS1_3genE2ELNS1_11target_archE906ELNS1_3gpuE6ELNS1_3repE0EEENS1_30default_config_static_selectorELNS0_4arch9wavefront6targetE0EEEvSY_.numbered_sgpr, 0
	.set _ZN7rocprim17ROCPRIM_400000_NS6detail17trampoline_kernelINS0_13select_configILj256ELj13ELNS0_17block_load_methodE3ELS4_3ELS4_3ELNS0_20block_scan_algorithmE0ELj4294967295EEENS1_25partition_config_selectorILNS1_17partition_subalgoE3EjNS0_10empty_typeEbEEZZNS1_14partition_implILS8_3ELb0ES6_jNS0_17counting_iteratorIjlEEPS9_SE_NS0_5tupleIJPjSE_EEENSF_IJSE_SE_EEES9_SG_JZNS1_25segmented_radix_sort_implINS0_14default_configELb0EPKdPdPKlPlN2at6native12_GLOBAL__N_18offset_tEEE10hipError_tPvRmT1_PNSt15iterator_traitsISY_E10value_typeET2_T3_PNSZ_IS14_E10value_typeET4_jRbjT5_S1A_jjP12ihipStream_tbEUljE_EEESV_SW_SX_S14_S18_S1A_T6_T7_T9_mT8_S1C_bDpT10_ENKUlT_T0_E_clISt17integral_constantIbLb0EES1P_EEDaS1K_S1L_EUlS1K_E_NS1_11comp_targetILNS1_3genE2ELNS1_11target_archE906ELNS1_3gpuE6ELNS1_3repE0EEENS1_30default_config_static_selectorELNS0_4arch9wavefront6targetE0EEEvSY_.num_named_barrier, 0
	.set _ZN7rocprim17ROCPRIM_400000_NS6detail17trampoline_kernelINS0_13select_configILj256ELj13ELNS0_17block_load_methodE3ELS4_3ELS4_3ELNS0_20block_scan_algorithmE0ELj4294967295EEENS1_25partition_config_selectorILNS1_17partition_subalgoE3EjNS0_10empty_typeEbEEZZNS1_14partition_implILS8_3ELb0ES6_jNS0_17counting_iteratorIjlEEPS9_SE_NS0_5tupleIJPjSE_EEENSF_IJSE_SE_EEES9_SG_JZNS1_25segmented_radix_sort_implINS0_14default_configELb0EPKdPdPKlPlN2at6native12_GLOBAL__N_18offset_tEEE10hipError_tPvRmT1_PNSt15iterator_traitsISY_E10value_typeET2_T3_PNSZ_IS14_E10value_typeET4_jRbjT5_S1A_jjP12ihipStream_tbEUljE_EEESV_SW_SX_S14_S18_S1A_T6_T7_T9_mT8_S1C_bDpT10_ENKUlT_T0_E_clISt17integral_constantIbLb0EES1P_EEDaS1K_S1L_EUlS1K_E_NS1_11comp_targetILNS1_3genE2ELNS1_11target_archE906ELNS1_3gpuE6ELNS1_3repE0EEENS1_30default_config_static_selectorELNS0_4arch9wavefront6targetE0EEEvSY_.private_seg_size, 0
	.set _ZN7rocprim17ROCPRIM_400000_NS6detail17trampoline_kernelINS0_13select_configILj256ELj13ELNS0_17block_load_methodE3ELS4_3ELS4_3ELNS0_20block_scan_algorithmE0ELj4294967295EEENS1_25partition_config_selectorILNS1_17partition_subalgoE3EjNS0_10empty_typeEbEEZZNS1_14partition_implILS8_3ELb0ES6_jNS0_17counting_iteratorIjlEEPS9_SE_NS0_5tupleIJPjSE_EEENSF_IJSE_SE_EEES9_SG_JZNS1_25segmented_radix_sort_implINS0_14default_configELb0EPKdPdPKlPlN2at6native12_GLOBAL__N_18offset_tEEE10hipError_tPvRmT1_PNSt15iterator_traitsISY_E10value_typeET2_T3_PNSZ_IS14_E10value_typeET4_jRbjT5_S1A_jjP12ihipStream_tbEUljE_EEESV_SW_SX_S14_S18_S1A_T6_T7_T9_mT8_S1C_bDpT10_ENKUlT_T0_E_clISt17integral_constantIbLb0EES1P_EEDaS1K_S1L_EUlS1K_E_NS1_11comp_targetILNS1_3genE2ELNS1_11target_archE906ELNS1_3gpuE6ELNS1_3repE0EEENS1_30default_config_static_selectorELNS0_4arch9wavefront6targetE0EEEvSY_.uses_vcc, 0
	.set _ZN7rocprim17ROCPRIM_400000_NS6detail17trampoline_kernelINS0_13select_configILj256ELj13ELNS0_17block_load_methodE3ELS4_3ELS4_3ELNS0_20block_scan_algorithmE0ELj4294967295EEENS1_25partition_config_selectorILNS1_17partition_subalgoE3EjNS0_10empty_typeEbEEZZNS1_14partition_implILS8_3ELb0ES6_jNS0_17counting_iteratorIjlEEPS9_SE_NS0_5tupleIJPjSE_EEENSF_IJSE_SE_EEES9_SG_JZNS1_25segmented_radix_sort_implINS0_14default_configELb0EPKdPdPKlPlN2at6native12_GLOBAL__N_18offset_tEEE10hipError_tPvRmT1_PNSt15iterator_traitsISY_E10value_typeET2_T3_PNSZ_IS14_E10value_typeET4_jRbjT5_S1A_jjP12ihipStream_tbEUljE_EEESV_SW_SX_S14_S18_S1A_T6_T7_T9_mT8_S1C_bDpT10_ENKUlT_T0_E_clISt17integral_constantIbLb0EES1P_EEDaS1K_S1L_EUlS1K_E_NS1_11comp_targetILNS1_3genE2ELNS1_11target_archE906ELNS1_3gpuE6ELNS1_3repE0EEENS1_30default_config_static_selectorELNS0_4arch9wavefront6targetE0EEEvSY_.uses_flat_scratch, 0
	.set _ZN7rocprim17ROCPRIM_400000_NS6detail17trampoline_kernelINS0_13select_configILj256ELj13ELNS0_17block_load_methodE3ELS4_3ELS4_3ELNS0_20block_scan_algorithmE0ELj4294967295EEENS1_25partition_config_selectorILNS1_17partition_subalgoE3EjNS0_10empty_typeEbEEZZNS1_14partition_implILS8_3ELb0ES6_jNS0_17counting_iteratorIjlEEPS9_SE_NS0_5tupleIJPjSE_EEENSF_IJSE_SE_EEES9_SG_JZNS1_25segmented_radix_sort_implINS0_14default_configELb0EPKdPdPKlPlN2at6native12_GLOBAL__N_18offset_tEEE10hipError_tPvRmT1_PNSt15iterator_traitsISY_E10value_typeET2_T3_PNSZ_IS14_E10value_typeET4_jRbjT5_S1A_jjP12ihipStream_tbEUljE_EEESV_SW_SX_S14_S18_S1A_T6_T7_T9_mT8_S1C_bDpT10_ENKUlT_T0_E_clISt17integral_constantIbLb0EES1P_EEDaS1K_S1L_EUlS1K_E_NS1_11comp_targetILNS1_3genE2ELNS1_11target_archE906ELNS1_3gpuE6ELNS1_3repE0EEENS1_30default_config_static_selectorELNS0_4arch9wavefront6targetE0EEEvSY_.has_dyn_sized_stack, 0
	.set _ZN7rocprim17ROCPRIM_400000_NS6detail17trampoline_kernelINS0_13select_configILj256ELj13ELNS0_17block_load_methodE3ELS4_3ELS4_3ELNS0_20block_scan_algorithmE0ELj4294967295EEENS1_25partition_config_selectorILNS1_17partition_subalgoE3EjNS0_10empty_typeEbEEZZNS1_14partition_implILS8_3ELb0ES6_jNS0_17counting_iteratorIjlEEPS9_SE_NS0_5tupleIJPjSE_EEENSF_IJSE_SE_EEES9_SG_JZNS1_25segmented_radix_sort_implINS0_14default_configELb0EPKdPdPKlPlN2at6native12_GLOBAL__N_18offset_tEEE10hipError_tPvRmT1_PNSt15iterator_traitsISY_E10value_typeET2_T3_PNSZ_IS14_E10value_typeET4_jRbjT5_S1A_jjP12ihipStream_tbEUljE_EEESV_SW_SX_S14_S18_S1A_T6_T7_T9_mT8_S1C_bDpT10_ENKUlT_T0_E_clISt17integral_constantIbLb0EES1P_EEDaS1K_S1L_EUlS1K_E_NS1_11comp_targetILNS1_3genE2ELNS1_11target_archE906ELNS1_3gpuE6ELNS1_3repE0EEENS1_30default_config_static_selectorELNS0_4arch9wavefront6targetE0EEEvSY_.has_recursion, 0
	.set _ZN7rocprim17ROCPRIM_400000_NS6detail17trampoline_kernelINS0_13select_configILj256ELj13ELNS0_17block_load_methodE3ELS4_3ELS4_3ELNS0_20block_scan_algorithmE0ELj4294967295EEENS1_25partition_config_selectorILNS1_17partition_subalgoE3EjNS0_10empty_typeEbEEZZNS1_14partition_implILS8_3ELb0ES6_jNS0_17counting_iteratorIjlEEPS9_SE_NS0_5tupleIJPjSE_EEENSF_IJSE_SE_EEES9_SG_JZNS1_25segmented_radix_sort_implINS0_14default_configELb0EPKdPdPKlPlN2at6native12_GLOBAL__N_18offset_tEEE10hipError_tPvRmT1_PNSt15iterator_traitsISY_E10value_typeET2_T3_PNSZ_IS14_E10value_typeET4_jRbjT5_S1A_jjP12ihipStream_tbEUljE_EEESV_SW_SX_S14_S18_S1A_T6_T7_T9_mT8_S1C_bDpT10_ENKUlT_T0_E_clISt17integral_constantIbLb0EES1P_EEDaS1K_S1L_EUlS1K_E_NS1_11comp_targetILNS1_3genE2ELNS1_11target_archE906ELNS1_3gpuE6ELNS1_3repE0EEENS1_30default_config_static_selectorELNS0_4arch9wavefront6targetE0EEEvSY_.has_indirect_call, 0
	.section	.AMDGPU.csdata,"",@progbits
; Kernel info:
; codeLenInByte = 0
; TotalNumSgprs: 0
; NumVgprs: 0
; ScratchSize: 0
; MemoryBound: 0
; FloatMode: 240
; IeeeMode: 1
; LDSByteSize: 0 bytes/workgroup (compile time only)
; SGPRBlocks: 0
; VGPRBlocks: 0
; NumSGPRsForWavesPerEU: 1
; NumVGPRsForWavesPerEU: 1
; Occupancy: 16
; WaveLimiterHint : 0
; COMPUTE_PGM_RSRC2:SCRATCH_EN: 0
; COMPUTE_PGM_RSRC2:USER_SGPR: 2
; COMPUTE_PGM_RSRC2:TRAP_HANDLER: 0
; COMPUTE_PGM_RSRC2:TGID_X_EN: 1
; COMPUTE_PGM_RSRC2:TGID_Y_EN: 0
; COMPUTE_PGM_RSRC2:TGID_Z_EN: 0
; COMPUTE_PGM_RSRC2:TIDIG_COMP_CNT: 0
	.section	.text._ZN7rocprim17ROCPRIM_400000_NS6detail17trampoline_kernelINS0_13select_configILj256ELj13ELNS0_17block_load_methodE3ELS4_3ELS4_3ELNS0_20block_scan_algorithmE0ELj4294967295EEENS1_25partition_config_selectorILNS1_17partition_subalgoE3EjNS0_10empty_typeEbEEZZNS1_14partition_implILS8_3ELb0ES6_jNS0_17counting_iteratorIjlEEPS9_SE_NS0_5tupleIJPjSE_EEENSF_IJSE_SE_EEES9_SG_JZNS1_25segmented_radix_sort_implINS0_14default_configELb0EPKdPdPKlPlN2at6native12_GLOBAL__N_18offset_tEEE10hipError_tPvRmT1_PNSt15iterator_traitsISY_E10value_typeET2_T3_PNSZ_IS14_E10value_typeET4_jRbjT5_S1A_jjP12ihipStream_tbEUljE_EEESV_SW_SX_S14_S18_S1A_T6_T7_T9_mT8_S1C_bDpT10_ENKUlT_T0_E_clISt17integral_constantIbLb0EES1P_EEDaS1K_S1L_EUlS1K_E_NS1_11comp_targetILNS1_3genE10ELNS1_11target_archE1200ELNS1_3gpuE4ELNS1_3repE0EEENS1_30default_config_static_selectorELNS0_4arch9wavefront6targetE0EEEvSY_,"axG",@progbits,_ZN7rocprim17ROCPRIM_400000_NS6detail17trampoline_kernelINS0_13select_configILj256ELj13ELNS0_17block_load_methodE3ELS4_3ELS4_3ELNS0_20block_scan_algorithmE0ELj4294967295EEENS1_25partition_config_selectorILNS1_17partition_subalgoE3EjNS0_10empty_typeEbEEZZNS1_14partition_implILS8_3ELb0ES6_jNS0_17counting_iteratorIjlEEPS9_SE_NS0_5tupleIJPjSE_EEENSF_IJSE_SE_EEES9_SG_JZNS1_25segmented_radix_sort_implINS0_14default_configELb0EPKdPdPKlPlN2at6native12_GLOBAL__N_18offset_tEEE10hipError_tPvRmT1_PNSt15iterator_traitsISY_E10value_typeET2_T3_PNSZ_IS14_E10value_typeET4_jRbjT5_S1A_jjP12ihipStream_tbEUljE_EEESV_SW_SX_S14_S18_S1A_T6_T7_T9_mT8_S1C_bDpT10_ENKUlT_T0_E_clISt17integral_constantIbLb0EES1P_EEDaS1K_S1L_EUlS1K_E_NS1_11comp_targetILNS1_3genE10ELNS1_11target_archE1200ELNS1_3gpuE4ELNS1_3repE0EEENS1_30default_config_static_selectorELNS0_4arch9wavefront6targetE0EEEvSY_,comdat
	.globl	_ZN7rocprim17ROCPRIM_400000_NS6detail17trampoline_kernelINS0_13select_configILj256ELj13ELNS0_17block_load_methodE3ELS4_3ELS4_3ELNS0_20block_scan_algorithmE0ELj4294967295EEENS1_25partition_config_selectorILNS1_17partition_subalgoE3EjNS0_10empty_typeEbEEZZNS1_14partition_implILS8_3ELb0ES6_jNS0_17counting_iteratorIjlEEPS9_SE_NS0_5tupleIJPjSE_EEENSF_IJSE_SE_EEES9_SG_JZNS1_25segmented_radix_sort_implINS0_14default_configELb0EPKdPdPKlPlN2at6native12_GLOBAL__N_18offset_tEEE10hipError_tPvRmT1_PNSt15iterator_traitsISY_E10value_typeET2_T3_PNSZ_IS14_E10value_typeET4_jRbjT5_S1A_jjP12ihipStream_tbEUljE_EEESV_SW_SX_S14_S18_S1A_T6_T7_T9_mT8_S1C_bDpT10_ENKUlT_T0_E_clISt17integral_constantIbLb0EES1P_EEDaS1K_S1L_EUlS1K_E_NS1_11comp_targetILNS1_3genE10ELNS1_11target_archE1200ELNS1_3gpuE4ELNS1_3repE0EEENS1_30default_config_static_selectorELNS0_4arch9wavefront6targetE0EEEvSY_ ; -- Begin function _ZN7rocprim17ROCPRIM_400000_NS6detail17trampoline_kernelINS0_13select_configILj256ELj13ELNS0_17block_load_methodE3ELS4_3ELS4_3ELNS0_20block_scan_algorithmE0ELj4294967295EEENS1_25partition_config_selectorILNS1_17partition_subalgoE3EjNS0_10empty_typeEbEEZZNS1_14partition_implILS8_3ELb0ES6_jNS0_17counting_iteratorIjlEEPS9_SE_NS0_5tupleIJPjSE_EEENSF_IJSE_SE_EEES9_SG_JZNS1_25segmented_radix_sort_implINS0_14default_configELb0EPKdPdPKlPlN2at6native12_GLOBAL__N_18offset_tEEE10hipError_tPvRmT1_PNSt15iterator_traitsISY_E10value_typeET2_T3_PNSZ_IS14_E10value_typeET4_jRbjT5_S1A_jjP12ihipStream_tbEUljE_EEESV_SW_SX_S14_S18_S1A_T6_T7_T9_mT8_S1C_bDpT10_ENKUlT_T0_E_clISt17integral_constantIbLb0EES1P_EEDaS1K_S1L_EUlS1K_E_NS1_11comp_targetILNS1_3genE10ELNS1_11target_archE1200ELNS1_3gpuE4ELNS1_3repE0EEENS1_30default_config_static_selectorELNS0_4arch9wavefront6targetE0EEEvSY_
	.p2align	8
	.type	_ZN7rocprim17ROCPRIM_400000_NS6detail17trampoline_kernelINS0_13select_configILj256ELj13ELNS0_17block_load_methodE3ELS4_3ELS4_3ELNS0_20block_scan_algorithmE0ELj4294967295EEENS1_25partition_config_selectorILNS1_17partition_subalgoE3EjNS0_10empty_typeEbEEZZNS1_14partition_implILS8_3ELb0ES6_jNS0_17counting_iteratorIjlEEPS9_SE_NS0_5tupleIJPjSE_EEENSF_IJSE_SE_EEES9_SG_JZNS1_25segmented_radix_sort_implINS0_14default_configELb0EPKdPdPKlPlN2at6native12_GLOBAL__N_18offset_tEEE10hipError_tPvRmT1_PNSt15iterator_traitsISY_E10value_typeET2_T3_PNSZ_IS14_E10value_typeET4_jRbjT5_S1A_jjP12ihipStream_tbEUljE_EEESV_SW_SX_S14_S18_S1A_T6_T7_T9_mT8_S1C_bDpT10_ENKUlT_T0_E_clISt17integral_constantIbLb0EES1P_EEDaS1K_S1L_EUlS1K_E_NS1_11comp_targetILNS1_3genE10ELNS1_11target_archE1200ELNS1_3gpuE4ELNS1_3repE0EEENS1_30default_config_static_selectorELNS0_4arch9wavefront6targetE0EEEvSY_,@function
_ZN7rocprim17ROCPRIM_400000_NS6detail17trampoline_kernelINS0_13select_configILj256ELj13ELNS0_17block_load_methodE3ELS4_3ELS4_3ELNS0_20block_scan_algorithmE0ELj4294967295EEENS1_25partition_config_selectorILNS1_17partition_subalgoE3EjNS0_10empty_typeEbEEZZNS1_14partition_implILS8_3ELb0ES6_jNS0_17counting_iteratorIjlEEPS9_SE_NS0_5tupleIJPjSE_EEENSF_IJSE_SE_EEES9_SG_JZNS1_25segmented_radix_sort_implINS0_14default_configELb0EPKdPdPKlPlN2at6native12_GLOBAL__N_18offset_tEEE10hipError_tPvRmT1_PNSt15iterator_traitsISY_E10value_typeET2_T3_PNSZ_IS14_E10value_typeET4_jRbjT5_S1A_jjP12ihipStream_tbEUljE_EEESV_SW_SX_S14_S18_S1A_T6_T7_T9_mT8_S1C_bDpT10_ENKUlT_T0_E_clISt17integral_constantIbLb0EES1P_EEDaS1K_S1L_EUlS1K_E_NS1_11comp_targetILNS1_3genE10ELNS1_11target_archE1200ELNS1_3gpuE4ELNS1_3repE0EEENS1_30default_config_static_selectorELNS0_4arch9wavefront6targetE0EEEvSY_: ; @_ZN7rocprim17ROCPRIM_400000_NS6detail17trampoline_kernelINS0_13select_configILj256ELj13ELNS0_17block_load_methodE3ELS4_3ELS4_3ELNS0_20block_scan_algorithmE0ELj4294967295EEENS1_25partition_config_selectorILNS1_17partition_subalgoE3EjNS0_10empty_typeEbEEZZNS1_14partition_implILS8_3ELb0ES6_jNS0_17counting_iteratorIjlEEPS9_SE_NS0_5tupleIJPjSE_EEENSF_IJSE_SE_EEES9_SG_JZNS1_25segmented_radix_sort_implINS0_14default_configELb0EPKdPdPKlPlN2at6native12_GLOBAL__N_18offset_tEEE10hipError_tPvRmT1_PNSt15iterator_traitsISY_E10value_typeET2_T3_PNSZ_IS14_E10value_typeET4_jRbjT5_S1A_jjP12ihipStream_tbEUljE_EEESV_SW_SX_S14_S18_S1A_T6_T7_T9_mT8_S1C_bDpT10_ENKUlT_T0_E_clISt17integral_constantIbLb0EES1P_EEDaS1K_S1L_EUlS1K_E_NS1_11comp_targetILNS1_3genE10ELNS1_11target_archE1200ELNS1_3gpuE4ELNS1_3repE0EEENS1_30default_config_static_selectorELNS0_4arch9wavefront6targetE0EEEvSY_
; %bb.0:
	s_clause 0x6
	s_load_b32 s2, s[0:1], 0x70
	s_load_b128 s[8:11], s[0:1], 0x48
	s_load_b64 s[12:13], s[0:1], 0x10
	s_load_b64 s[14:15], s[0:1], 0x58
	s_load_b32 s20, s[0:1], 0x8
	s_load_b32 s3, s[0:1], 0x88
	s_load_b128 s[4:7], s[0:1], 0x78
	s_mov_b32 s17, 0
	v_lshlrev_b32_e32 v42, 2, v0
	s_wait_kmcnt 0x0
	s_mul_i32 s16, s2, 0xd00
	s_load_b64 s[18:19], s[10:11], 0x0
	s_add_co_i32 s10, s16, s12
	s_add_co_i32 s2, s2, -1
	s_sub_co_i32 s23, s14, s10
	s_add_nc_u64 s[10:11], s[12:13], s[16:17]
	s_addk_co_i32 s23, 0xd00
	s_cmp_eq_u32 ttmp9, s2
	s_mul_i32 s16, ttmp9, 0xd00
	s_cselect_b32 s22, -1, 0
	s_cmp_lg_u32 ttmp9, s2
	v_cmp_gt_u64_e64 s10, s[14:15], s[10:11]
	s_cselect_b32 s2, -1, 0
	s_add_co_i32 s11, s20, s16
	s_mov_b32 s17, -1
	s_wait_alu 0xfffe
	s_add_co_i32 s11, s11, s12
	s_wait_alu 0xfffe
	v_add_nc_u32_e32 v1, s11, v0
	s_or_b32 s10, s2, s10
	s_wait_alu 0xfffe
	s_and_b32 vcc_lo, exec_lo, s10
	s_cbranch_vccz .LBB1194_2
; %bb.1:
	v_add_nc_u32_e32 v2, 0x100, v1
	v_add_nc_u32_e32 v3, 0x200, v1
	;; [unrolled: 1-line block ×12, first 2 shown]
	ds_store_2addr_stride64_b32 v42, v1, v2 offset1:4
	ds_store_2addr_stride64_b32 v42, v3, v4 offset0:8 offset1:12
	ds_store_2addr_stride64_b32 v42, v5, v6 offset0:16 offset1:20
	;; [unrolled: 1-line block ×5, first 2 shown]
	ds_store_b32 v42, v13 offset:12288
	s_wait_dscnt 0x0
	s_barrier_signal -1
	s_mov_b32 s17, 0
	s_barrier_wait -1
.LBB1194_2:
	v_cmp_gt_u32_e64 s2, s23, v0
	v_or_b32_e32 v41, 0x100, v0
	v_or_b32_e32 v40, 0x200, v0
	;; [unrolled: 1-line block ×12, first 2 shown]
	s_and_not1_b32 vcc_lo, exec_lo, s17
	s_cbranch_vccnz .LBB1194_4
; %bb.3:
	v_cmp_gt_u32_e32 vcc_lo, s23, v41
	v_add_nc_u32_e32 v3, s11, v40
	v_add_nc_u32_e32 v2, s11, v41
	v_cndmask_b32_e64 v1, 0, v1, s2
	s_delay_alu instid0(VALU_DEP_2)
	v_cndmask_b32_e32 v2, 0, v2, vcc_lo
	v_cmp_gt_u32_e32 vcc_lo, s23, v40
	s_wait_alu 0xfffd
	v_cndmask_b32_e32 v3, 0, v3, vcc_lo
	v_cmp_gt_u32_e32 vcc_lo, s23, v39
	v_add_nc_u32_e32 v5, s11, v38
	v_add_nc_u32_e32 v4, s11, v39
	s_wait_alu 0xfffd
	s_delay_alu instid0(VALU_DEP_1)
	v_cndmask_b32_e32 v4, 0, v4, vcc_lo
	v_cmp_gt_u32_e32 vcc_lo, s23, v38
	s_wait_alu 0xfffd
	v_cndmask_b32_e32 v5, 0, v5, vcc_lo
	v_cmp_gt_u32_e32 vcc_lo, s23, v37
	v_add_nc_u32_e32 v7, s11, v36
	v_add_nc_u32_e32 v6, s11, v37
	s_wait_alu 0xfffd
	s_delay_alu instid0(VALU_DEP_1)
	;; [unrolled: 9-line block ×5, first 2 shown]
	v_cndmask_b32_e32 v12, 0, v12, vcc_lo
	v_cmp_gt_u32_e32 vcc_lo, s23, v30
	s_wait_alu 0xfffd
	v_cndmask_b32_e32 v13, 0, v13, vcc_lo
	ds_store_2addr_stride64_b32 v42, v1, v2 offset1:4
	ds_store_2addr_stride64_b32 v42, v3, v4 offset0:8 offset1:12
	ds_store_2addr_stride64_b32 v42, v5, v6 offset0:16 offset1:20
	;; [unrolled: 1-line block ×5, first 2 shown]
	ds_store_b32 v42, v13 offset:12288
	s_wait_dscnt 0x0
	s_barrier_signal -1
	s_barrier_wait -1
.LBB1194_4:
	v_mul_u32_u24_e32 v45, 13, v0
	global_inv scope:SCOPE_SE
	v_cndmask_b32_e64 v43, 0, 1, s10
	s_and_not1_b32 vcc_lo, exec_lo, s10
	v_lshlrev_b32_e32 v1, 2, v45
	ds_load_2addr_b32 v[26:27], v1 offset0:2 offset1:3
	ds_load_2addr_b32 v[22:23], v1 offset0:6 offset1:7
	;; [unrolled: 1-line block ×3, first 2 shown]
	ds_load_2addr_b32 v[28:29], v1 offset1:1
	ds_load_2addr_b32 v[18:19], v1 offset0:10 offset1:11
	ds_load_b32 v44, v1 offset:48
	ds_load_2addr_b32 v[20:21], v1 offset0:8 offset1:9
	s_wait_loadcnt_dscnt 0x0
	s_barrier_signal -1
	s_barrier_wait -1
	global_inv scope:SCOPE_SE
	s_wait_alu 0xfffe
	s_cbranch_vccnz .LBB1194_6
; %bb.5:
	v_add_nc_u32_e32 v1, s5, v27
	v_add_nc_u32_e32 v2, s7, v27
	;; [unrolled: 1-line block ×5, first 2 shown]
	v_mul_lo_u32 v1, v1, s4
	v_mul_lo_u32 v2, v2, s6
	v_add_nc_u32_e32 v8, s7, v26
	v_add_nc_u32_e32 v3, s5, v29
	v_add_nc_u32_e32 v6, s7, v29
	v_mul_lo_u32 v5, v5, s4
	v_mul_lo_u32 v4, v4, s4
	v_add_nc_u32_e32 v9, s5, v24
	v_mul_lo_u32 v3, v3, s4
	v_sub_nc_u32_e32 v1, v1, v2
	v_mul_lo_u32 v2, v7, s6
	v_mul_lo_u32 v7, v8, s6
	;; [unrolled: 1-line block ×3, first 2 shown]
	v_add_nc_u32_e32 v8, s5, v25
	v_add_nc_u32_e32 v10, s7, v24
	v_mul_lo_u32 v9, v9, s4
	v_cmp_lt_u32_e32 vcc_lo, s3, v1
	v_add_nc_u32_e32 v14, s7, v19
	v_sub_nc_u32_e32 v2, v4, v2
	v_sub_nc_u32_e32 v4, v5, v7
	v_add_nc_u32_e32 v5, s7, v25
	v_sub_nc_u32_e32 v3, v3, v6
	v_add_nc_u32_e32 v6, s5, v23
	v_add_nc_u32_e32 v7, s7, v23
	v_mul_lo_u32 v8, v8, s4
	v_mul_lo_u32 v5, v5, s6
	;; [unrolled: 1-line block ×5, first 2 shown]
	s_wait_alu 0xfffd
	v_cndmask_b32_e64 v1, 0, 1, vcc_lo
	v_cmp_lt_u32_e32 vcc_lo, s3, v3
	v_mul_lo_u32 v14, v14, s6
	v_add_nc_u32_e32 v15, s7, v21
	v_sub_nc_u32_e32 v5, v8, v5
	v_add_nc_u32_e32 v8, s7, v22
	s_wait_alu 0xfffd
	v_cndmask_b32_e64 v3, 0, 1, vcc_lo
	v_sub_nc_u32_e32 v6, v6, v7
	v_mul_lo_u32 v15, v15, s6
	v_cmp_lt_u32_e32 vcc_lo, s3, v5
	v_mul_lo_u32 v7, v8, s6
	v_sub_nc_u32_e32 v8, v9, v10
	v_add_nc_u32_e32 v9, s5, v19
	v_add_nc_u32_e32 v10, s5, v21
	s_wait_alu 0xfffd
	v_cndmask_b32_e64 v5, 0, 1, vcc_lo
	v_cmp_lt_u32_e32 vcc_lo, s3, v6
	v_add_nc_u32_e32 v11, s5, v22
	v_mul_lo_u32 v9, v9, s4
	v_mul_lo_u32 v10, v10, s4
	v_add_nc_u32_e32 v12, s5, v20
	s_wait_alu 0xfffd
	v_cndmask_b32_e64 v6, 0, 1, vcc_lo
	v_mul_lo_u32 v11, v11, s4
	v_add_nc_u32_e32 v16, s7, v20
	v_lshlrev_b16 v3, 8, v3
	v_add_nc_u32_e32 v13, s5, v18
	v_sub_nc_u32_e32 v9, v9, v14
	v_sub_nc_u32_e32 v10, v10, v15
	v_add_nc_u32_e32 v17, s7, v18
	v_mul_lo_u32 v12, v12, s4
	v_mul_lo_u32 v16, v16, s6
	v_cmp_lt_u32_e32 vcc_lo, s3, v9
	v_sub_nc_u32_e32 v7, v11, v7
	v_lshrrev_b32_e32 v3, 8, v3
	v_mul_lo_u32 v11, v13, s4
	v_mul_lo_u32 v13, v17, s6
	s_wait_alu 0xfffd
	v_cndmask_b32_e64 v9, 0, 1, vcc_lo
	v_cmp_lt_u32_e32 vcc_lo, s3, v2
	v_sub_nc_u32_e32 v12, v12, v16
	v_lshlrev_b16 v3, 8, v3
	v_lshlrev_b16 v1, 8, v1
	;; [unrolled: 1-line block ×3, first 2 shown]
	s_wait_alu 0xfffd
	v_cndmask_b32_e64 v2, 0, 1, vcc_lo
	v_cmp_lt_u32_e32 vcc_lo, s3, v10
	v_sub_nc_u32_e32 v11, v11, v13
	v_add_nc_u32_e32 v14, s5, v44
	v_add_nc_u32_e32 v15, s7, v44
	v_or_b32_e32 v2, v2, v3
	s_wait_alu 0xfffd
	v_cndmask_b32_e64 v10, 0, 1, vcc_lo
	v_cmp_lt_u32_e32 vcc_lo, s3, v4
	v_lshlrev_b16 v3, 8, v9
	v_lshrrev_b32_e32 v5, 8, v5
	v_lshrrev_b32_e32 v1, 8, v1
	v_lshlrev_b16 v9, 8, v10
	s_wait_alu 0xfffd
	v_cndmask_b32_e64 v4, 0, 1, vcc_lo
	v_cmp_lt_u32_e32 vcc_lo, s3, v8
	v_lshrrev_b32_e32 v3, 8, v3
	v_mul_lo_u32 v14, v14, s4
	v_lshrrev_b32_e32 v9, 8, v9
	v_mul_lo_u32 v15, v15, s6
	s_wait_alu 0xfffd
	v_cndmask_b32_e64 v8, 0, 1, vcc_lo
	v_cmp_lt_u32_e32 vcc_lo, s3, v7
	v_lshlrev_b16 v6, 8, v6
	v_lshlrev_b16 v1, 8, v1
	;; [unrolled: 1-line block ×4, first 2 shown]
	s_wait_alu 0xfffd
	v_cndmask_b32_e64 v7, 0, 1, vcc_lo
	v_cmp_lt_u32_e32 vcc_lo, s3, v12
	v_lshlrev_b16 v3, 8, v3
	v_sub_nc_u32_e32 v10, v14, v15
	v_or_b32_e32 v1, v4, v1
	v_or_b32_e32 v4, v8, v5
	s_wait_alu 0xfffd
	v_cndmask_b32_e64 v12, 0, 1, vcc_lo
	v_cmp_lt_u32_e32 vcc_lo, s3, v11
	v_or_b32_e32 v5, v7, v6
	v_and_b32_e32 v2, 0xffff, v2
	v_lshlrev_b32_e32 v1, 16, v1
	v_or_b32_e32 v6, v12, v9
	s_wait_alu 0xfffd
	v_cndmask_b32_e64 v11, 0, 1, vcc_lo
	v_and_b32_e32 v4, 0xffff, v4
	v_lshlrev_b32_e32 v5, 16, v5
	v_cmp_lt_u32_e32 vcc_lo, s3, v10
	v_and_b32_e32 v6, 0xffff, v6
	v_or_b32_e32 v3, v11, v3
	v_or_b32_e32 v51, v2, v1
	;; [unrolled: 1-line block ×3, first 2 shown]
	s_wait_alu 0xfffd
	v_cndmask_b32_e64 v46, 0, 1, vcc_lo
	v_lshlrev_b32_e32 v3, 16, v3
	s_delay_alu instid0(VALU_DEP_1)
	v_or_b32_e32 v47, v6, v3
	s_clause 0x1
	s_load_b64 s[10:11], s[0:1], 0x28
	s_load_b64 s[20:21], s[0:1], 0x68
	s_cbranch_execz .LBB1194_7
	s_branch .LBB1194_34
.LBB1194_6:
                                        ; implicit-def: $vgpr46
                                        ; implicit-def: $vgpr47
                                        ; implicit-def: $vgpr49
                                        ; implicit-def: $vgpr51
	s_clause 0x1
	s_load_b64 s[10:11], s[0:1], 0x28
	s_load_b64 s[20:21], s[0:1], 0x68
.LBB1194_7:
	v_dual_mov_b32 v2, 0 :: v_dual_mov_b32 v1, 0
	s_mov_b32 s0, exec_lo
	v_cmpx_gt_u32_e64 s23, v45
	s_cbranch_execz .LBB1194_9
; %bb.8:
	v_add_nc_u32_e32 v1, s5, v28
	v_add_nc_u32_e32 v3, s7, v28
	s_delay_alu instid0(VALU_DEP_2) | instskip(NEXT) | instid1(VALU_DEP_2)
	v_mul_lo_u32 v1, v1, s4
	v_mul_lo_u32 v3, v3, s6
	s_delay_alu instid0(VALU_DEP_1) | instskip(NEXT) | instid1(VALU_DEP_1)
	v_sub_nc_u32_e32 v1, v1, v3
	v_cmp_lt_u32_e32 vcc_lo, s3, v1
	s_wait_alu 0xfffd
	v_cndmask_b32_e64 v1, 0, 1, vcc_lo
.LBB1194_9:
	s_or_b32 exec_lo, exec_lo, s0
	v_add_nc_u32_e32 v3, 1, v45
	s_mov_b32 s0, exec_lo
	s_delay_alu instid0(VALU_DEP_1)
	v_cmpx_gt_u32_e64 s23, v3
	s_cbranch_execz .LBB1194_11
; %bb.10:
	v_add_nc_u32_e32 v2, s5, v29
	v_add_nc_u32_e32 v3, s7, v29
	s_delay_alu instid0(VALU_DEP_2) | instskip(NEXT) | instid1(VALU_DEP_2)
	v_mul_lo_u32 v2, v2, s4
	v_mul_lo_u32 v3, v3, s6
	s_delay_alu instid0(VALU_DEP_1) | instskip(NEXT) | instid1(VALU_DEP_1)
	v_sub_nc_u32_e32 v2, v2, v3
	v_cmp_lt_u32_e32 vcc_lo, s3, v2
	s_wait_alu 0xfffd
	v_cndmask_b32_e64 v2, 0, 1, vcc_lo
.LBB1194_11:
	s_or_b32 exec_lo, exec_lo, s0
	v_dual_mov_b32 v4, 0 :: v_dual_add_nc_u32 v3, 2, v45
	s_delay_alu instid0(VALU_DEP_1)
	v_cmp_gt_u32_e32 vcc_lo, s23, v3
	v_mov_b32_e32 v3, 0
	s_and_saveexec_b32 s0, vcc_lo
	s_cbranch_execz .LBB1194_13
; %bb.12:
	v_add_nc_u32_e32 v3, s5, v26
	v_add_nc_u32_e32 v5, s7, v26
	s_delay_alu instid0(VALU_DEP_2) | instskip(NEXT) | instid1(VALU_DEP_2)
	v_mul_lo_u32 v3, v3, s4
	v_mul_lo_u32 v5, v5, s6
	s_delay_alu instid0(VALU_DEP_1) | instskip(NEXT) | instid1(VALU_DEP_1)
	v_sub_nc_u32_e32 v3, v3, v5
	v_cmp_lt_u32_e32 vcc_lo, s3, v3
	s_wait_alu 0xfffd
	v_cndmask_b32_e64 v3, 0, 1, vcc_lo
.LBB1194_13:
	s_or_b32 exec_lo, exec_lo, s0
	v_add_nc_u32_e32 v5, 3, v45
	s_mov_b32 s0, exec_lo
	s_delay_alu instid0(VALU_DEP_1)
	v_cmpx_gt_u32_e64 s23, v5
	s_cbranch_execz .LBB1194_15
; %bb.14:
	v_add_nc_u32_e32 v4, s5, v27
	v_add_nc_u32_e32 v5, s7, v27
	s_delay_alu instid0(VALU_DEP_2) | instskip(NEXT) | instid1(VALU_DEP_2)
	v_mul_lo_u32 v4, v4, s4
	v_mul_lo_u32 v5, v5, s6
	s_delay_alu instid0(VALU_DEP_1) | instskip(NEXT) | instid1(VALU_DEP_1)
	v_sub_nc_u32_e32 v4, v4, v5
	v_cmp_lt_u32_e32 vcc_lo, s3, v4
	s_wait_alu 0xfffd
	v_cndmask_b32_e64 v4, 0, 1, vcc_lo
.LBB1194_15:
	s_or_b32 exec_lo, exec_lo, s0
	v_dual_mov_b32 v6, 0 :: v_dual_add_nc_u32 v5, 4, v45
	s_delay_alu instid0(VALU_DEP_1)
	v_cmp_gt_u32_e32 vcc_lo, s23, v5
	v_mov_b32_e32 v5, 0
	s_and_saveexec_b32 s0, vcc_lo
	;; [unrolled: 37-line block ×5, first 2 shown]
	s_cbranch_execz .LBB1194_29
; %bb.28:
	v_add_nc_u32_e32 v11, s5, v18
	v_add_nc_u32_e32 v13, s7, v18
	s_delay_alu instid0(VALU_DEP_2) | instskip(NEXT) | instid1(VALU_DEP_2)
	v_mul_lo_u32 v11, v11, s4
	v_mul_lo_u32 v13, v13, s6
	s_delay_alu instid0(VALU_DEP_1) | instskip(NEXT) | instid1(VALU_DEP_1)
	v_sub_nc_u32_e32 v11, v11, v13
	v_cmp_lt_u32_e32 vcc_lo, s3, v11
	s_wait_alu 0xfffd
	v_cndmask_b32_e64 v11, 0, 1, vcc_lo
.LBB1194_29:
	s_or_b32 exec_lo, exec_lo, s0
	v_add_nc_u32_e32 v13, 11, v45
	s_mov_b32 s0, exec_lo
	s_delay_alu instid0(VALU_DEP_1)
	v_cmpx_gt_u32_e64 s23, v13
	s_cbranch_execz .LBB1194_31
; %bb.30:
	v_add_nc_u32_e32 v12, s5, v19
	v_add_nc_u32_e32 v13, s7, v19
	s_delay_alu instid0(VALU_DEP_2) | instskip(NEXT) | instid1(VALU_DEP_2)
	v_mul_lo_u32 v12, v12, s4
	v_mul_lo_u32 v13, v13, s6
	s_delay_alu instid0(VALU_DEP_1) | instskip(NEXT) | instid1(VALU_DEP_1)
	v_sub_nc_u32_e32 v12, v12, v13
	v_cmp_lt_u32_e32 vcc_lo, s3, v12
	s_wait_alu 0xfffd
	v_cndmask_b32_e64 v12, 0, 1, vcc_lo
.LBB1194_31:
	s_or_b32 exec_lo, exec_lo, s0
	v_dual_mov_b32 v46, 0 :: v_dual_add_nc_u32 v13, 12, v45
	s_mov_b32 s0, exec_lo
	s_delay_alu instid0(VALU_DEP_1)
	v_cmpx_gt_u32_e64 s23, v13
	s_cbranch_execz .LBB1194_33
; %bb.32:
	v_add_nc_u32_e32 v13, s5, v44
	v_add_nc_u32_e32 v14, s7, v44
	s_delay_alu instid0(VALU_DEP_2) | instskip(NEXT) | instid1(VALU_DEP_2)
	v_mul_lo_u32 v13, v13, s4
	v_mul_lo_u32 v14, v14, s6
	s_delay_alu instid0(VALU_DEP_1) | instskip(NEXT) | instid1(VALU_DEP_1)
	v_sub_nc_u32_e32 v13, v13, v14
	v_cmp_lt_u32_e32 vcc_lo, s3, v13
	s_wait_alu 0xfffd
	v_cndmask_b32_e64 v46, 0, 1, vcc_lo
.LBB1194_33:
	s_or_b32 exec_lo, exec_lo, s0
	v_lshlrev_b16 v2, 8, v2
	v_lshlrev_b16 v4, 8, v4
	;; [unrolled: 1-line block ×5, first 2 shown]
	v_or_b32_e32 v1, v1, v2
	v_lshlrev_b16 v2, 8, v12
	v_or_b32_e32 v3, v3, v4
	v_or_b32_e32 v4, v5, v6
	;; [unrolled: 1-line block ×5, first 2 shown]
	v_and_b32_e32 v1, 0xffff, v1
	v_lshlrev_b32_e32 v3, 16, v3
	v_and_b32_e32 v4, 0xffff, v4
	v_lshlrev_b32_e32 v5, 16, v5
	;; [unrolled: 2-line block ×3, first 2 shown]
	v_or_b32_e32 v51, v1, v3
	s_delay_alu instid0(VALU_DEP_4) | instskip(NEXT) | instid1(VALU_DEP_3)
	v_or_b32_e32 v49, v4, v5
	v_or_b32_e32 v47, v6, v2
.LBB1194_34:
	s_delay_alu instid0(VALU_DEP_3)
	v_and_b32_e32 v53, 0xff, v51
	v_bfe_u32 v54, v51, 8, 8
	v_bfe_u32 v55, v51, 16, 8
	v_lshrrev_b32_e32 v52, 24, v51
	v_and_b32_e32 v56, 0xff, v49
	v_bfe_u32 v57, v49, 8, 8
	v_bfe_u32 v58, v49, 16, 8
	v_add3_u32 v1, v54, v53, v55
	v_lshrrev_b32_e32 v50, 24, v49
	v_and_b32_e32 v59, 0xff, v47
	v_bfe_u32 v60, v47, 8, 8
	v_mbcnt_lo_u32_b32 v62, -1, 0
	v_add3_u32 v1, v1, v52, v56
	v_bfe_u32 v61, v47, 16, 8
	v_lshrrev_b32_e32 v48, 24, v47
	v_and_b32_e32 v2, 0xff, v46
	v_and_b32_e32 v3, 15, v62
	v_add3_u32 v1, v1, v57, v58
	v_or_b32_e32 v4, 31, v0
	v_and_b32_e32 v5, 16, v62
	v_lshrrev_b32_e32 v63, 5, v0
	v_cmp_eq_u32_e64 s5, 0, v3
	v_add3_u32 v1, v1, v50, v59
	v_cmp_lt_u32_e64 s4, 1, v3
	v_cmp_lt_u32_e64 s3, 3, v3
	;; [unrolled: 1-line block ×3, first 2 shown]
	v_cmp_eq_u32_e64 s1, 0, v5
	v_add3_u32 v1, v1, v60, v61
	v_cmp_eq_u32_e64 s0, v0, v4
	s_cmp_lg_u32 ttmp9, 0
	s_mov_b32 s6, -1
	v_add3_u32 v64, v1, v48, v2
	s_cbranch_scc0 .LBB1194_55
; %bb.35:
	s_delay_alu instid0(VALU_DEP_1) | instskip(SKIP_1) | instid1(VALU_DEP_1)
	v_mov_b32_dpp v1, v64 row_shr:1 row_mask:0xf bank_mask:0xf
	s_wait_alu 0xf1ff
	v_cndmask_b32_e64 v1, v1, 0, s5
	s_delay_alu instid0(VALU_DEP_1) | instskip(NEXT) | instid1(VALU_DEP_1)
	v_add_nc_u32_e32 v1, v1, v64
	v_mov_b32_dpp v2, v1 row_shr:2 row_mask:0xf bank_mask:0xf
	s_delay_alu instid0(VALU_DEP_1) | instskip(NEXT) | instid1(VALU_DEP_1)
	v_cndmask_b32_e64 v2, 0, v2, s4
	v_add_nc_u32_e32 v1, v1, v2
	s_delay_alu instid0(VALU_DEP_1) | instskip(NEXT) | instid1(VALU_DEP_1)
	v_mov_b32_dpp v2, v1 row_shr:4 row_mask:0xf bank_mask:0xf
	v_cndmask_b32_e64 v2, 0, v2, s3
	s_delay_alu instid0(VALU_DEP_1) | instskip(NEXT) | instid1(VALU_DEP_1)
	v_add_nc_u32_e32 v1, v1, v2
	v_mov_b32_dpp v2, v1 row_shr:8 row_mask:0xf bank_mask:0xf
	s_delay_alu instid0(VALU_DEP_1) | instskip(NEXT) | instid1(VALU_DEP_1)
	v_cndmask_b32_e64 v2, 0, v2, s2
	v_add_nc_u32_e32 v1, v1, v2
	ds_swizzle_b32 v2, v1 offset:swizzle(BROADCAST,32,15)
	s_wait_dscnt 0x0
	v_cndmask_b32_e64 v2, v2, 0, s1
	s_delay_alu instid0(VALU_DEP_1)
	v_add_nc_u32_e32 v1, v1, v2
	s_and_saveexec_b32 s6, s0
; %bb.36:
	v_lshlrev_b32_e32 v2, 2, v63
	ds_store_b32 v2, v1
; %bb.37:
	s_wait_alu 0xfffe
	s_or_b32 exec_lo, exec_lo, s6
	s_delay_alu instid0(SALU_CYCLE_1)
	s_mov_b32 s6, exec_lo
	s_wait_loadcnt_dscnt 0x0
	s_barrier_signal -1
	s_barrier_wait -1
	global_inv scope:SCOPE_SE
	v_cmpx_gt_u32_e32 8, v0
	s_cbranch_execz .LBB1194_39
; %bb.38:
	ds_load_b32 v2, v42
	s_wait_dscnt 0x0
	v_mov_b32_dpp v4, v2 row_shr:1 row_mask:0xf bank_mask:0xf
	v_and_b32_e32 v3, 7, v62
	s_delay_alu instid0(VALU_DEP_1) | instskip(SKIP_1) | instid1(VALU_DEP_3)
	v_cmp_ne_u32_e32 vcc_lo, 0, v3
	s_wait_alu 0xfffd
	v_cndmask_b32_e32 v4, 0, v4, vcc_lo
	v_cmp_lt_u32_e32 vcc_lo, 1, v3
	s_delay_alu instid0(VALU_DEP_2) | instskip(NEXT) | instid1(VALU_DEP_1)
	v_add_nc_u32_e32 v2, v4, v2
	v_mov_b32_dpp v4, v2 row_shr:2 row_mask:0xf bank_mask:0xf
	s_wait_alu 0xfffd
	s_delay_alu instid0(VALU_DEP_1) | instskip(SKIP_1) | instid1(VALU_DEP_2)
	v_cndmask_b32_e32 v4, 0, v4, vcc_lo
	v_cmp_lt_u32_e32 vcc_lo, 3, v3
	v_add_nc_u32_e32 v2, v2, v4
	s_delay_alu instid0(VALU_DEP_1) | instskip(SKIP_1) | instid1(VALU_DEP_1)
	v_mov_b32_dpp v4, v2 row_shr:4 row_mask:0xf bank_mask:0xf
	s_wait_alu 0xfffd
	v_cndmask_b32_e32 v3, 0, v4, vcc_lo
	s_delay_alu instid0(VALU_DEP_1)
	v_add_nc_u32_e32 v2, v2, v3
	ds_store_b32 v42, v2
.LBB1194_39:
	s_wait_alu 0xfffe
	s_or_b32 exec_lo, exec_lo, s6
	s_delay_alu instid0(SALU_CYCLE_1)
	s_mov_b32 s7, exec_lo
	v_cmp_gt_u32_e32 vcc_lo, 32, v0
	s_wait_loadcnt_dscnt 0x0
	s_barrier_signal -1
	s_barrier_wait -1
	global_inv scope:SCOPE_SE
                                        ; implicit-def: $vgpr9
	v_cmpx_lt_u32_e32 31, v0
	s_cbranch_execz .LBB1194_41
; %bb.40:
	v_lshl_add_u32 v2, v63, 2, -4
	ds_load_b32 v9, v2
	s_wait_dscnt 0x0
	v_add_nc_u32_e32 v1, v9, v1
.LBB1194_41:
	s_wait_alu 0xfffe
	s_or_b32 exec_lo, exec_lo, s7
	v_sub_co_u32 v2, s6, v62, 1
	s_delay_alu instid0(VALU_DEP_1) | instskip(SKIP_1) | instid1(VALU_DEP_1)
	v_cmp_gt_i32_e64 s7, 0, v2
	s_wait_alu 0xf1ff
	v_cndmask_b32_e64 v2, v2, v62, s7
	s_delay_alu instid0(VALU_DEP_1)
	v_lshlrev_b32_e32 v2, 2, v2
	ds_bpermute_b32 v10, v2, v1
	s_and_saveexec_b32 s7, vcc_lo
	s_cbranch_execz .LBB1194_60
; %bb.42:
	v_mov_b32_e32 v5, 0
	ds_load_b32 v1, v5 offset:28
	s_and_saveexec_b32 s17, s6
	s_cbranch_execz .LBB1194_44
; %bb.43:
	s_add_co_i32 s24, ttmp9, 32
	s_mov_b32 s25, 0
	v_mov_b32_e32 v2, 1
	s_lshl_b64 s[24:25], s[24:25], 3
	s_wait_kmcnt 0x0
	s_add_nc_u64 s[24:25], s[20:21], s[24:25]
	s_wait_dscnt 0x0
	global_store_b64 v5, v[1:2], s[24:25] scope:SCOPE_DEV
.LBB1194_44:
	s_or_b32 exec_lo, exec_lo, s17
	v_xad_u32 v3, v62, -1, ttmp9
	s_mov_b32 s24, 0
	s_mov_b32 s17, exec_lo
	s_delay_alu instid0(VALU_DEP_1) | instskip(NEXT) | instid1(VALU_DEP_1)
	v_add_nc_u32_e32 v4, 32, v3
	v_lshlrev_b64_e32 v[4:5], 3, v[4:5]
	s_wait_kmcnt 0x0
	s_delay_alu instid0(VALU_DEP_1) | instskip(SKIP_1) | instid1(VALU_DEP_2)
	v_add_co_u32 v7, vcc_lo, s20, v4
	s_wait_alu 0xfffd
	v_add_co_ci_u32_e64 v8, null, s21, v5, vcc_lo
	global_load_b64 v[5:6], v[7:8], off scope:SCOPE_DEV
	s_wait_loadcnt 0x0
	v_and_b32_e32 v2, 0xff, v6
	s_delay_alu instid0(VALU_DEP_1)
	v_cmpx_eq_u16_e32 0, v2
	s_cbranch_execz .LBB1194_47
.LBB1194_45:                            ; =>This Inner Loop Header: Depth=1
	global_load_b64 v[5:6], v[7:8], off scope:SCOPE_DEV
	s_wait_loadcnt 0x0
	v_and_b32_e32 v2, 0xff, v6
	s_delay_alu instid0(VALU_DEP_1) | instskip(SKIP_1) | instid1(SALU_CYCLE_1)
	v_cmp_ne_u16_e32 vcc_lo, 0, v2
	s_or_b32 s24, vcc_lo, s24
	s_and_not1_b32 exec_lo, exec_lo, s24
	s_cbranch_execnz .LBB1194_45
; %bb.46:
	s_or_b32 exec_lo, exec_lo, s24
.LBB1194_47:
	s_delay_alu instid0(SALU_CYCLE_1)
	s_or_b32 exec_lo, exec_lo, s17
	v_cmp_ne_u32_e32 vcc_lo, 31, v62
	v_lshlrev_b32_e64 v12, v62, -1
	v_add_nc_u32_e32 v14, 2, v62
	v_add_nc_u32_e32 v16, 4, v62
	;; [unrolled: 1-line block ×3, first 2 shown]
	s_wait_alu 0xfffd
	v_add_co_ci_u32_e64 v2, null, 0, v62, vcc_lo
	v_lshl_or_b32 v66, v62, 2, 64
	v_add_nc_u32_e32 v67, 16, v62
	s_delay_alu instid0(VALU_DEP_3)
	v_lshlrev_b32_e32 v11, 2, v2
	v_and_b32_e32 v2, 0xff, v6
	ds_bpermute_b32 v4, v11, v5
	v_cmp_eq_u16_e32 vcc_lo, 2, v2
	s_wait_alu 0xfffd
	v_and_or_b32 v2, vcc_lo, v12, 0x80000000
	v_cmp_gt_u32_e32 vcc_lo, 30, v62
	s_delay_alu instid0(VALU_DEP_2) | instskip(SKIP_2) | instid1(VALU_DEP_2)
	v_ctz_i32_b32_e32 v2, v2
	s_wait_alu 0xfffd
	v_cndmask_b32_e64 v7, 0, 2, vcc_lo
	v_cmp_lt_u32_e32 vcc_lo, v62, v2
	s_delay_alu instid0(VALU_DEP_2) | instskip(SKIP_4) | instid1(VALU_DEP_2)
	v_add_lshl_u32 v13, v7, v62, 2
	s_wait_dscnt 0x0
	s_wait_alu 0xfffd
	v_cndmask_b32_e32 v4, 0, v4, vcc_lo
	v_cmp_gt_u32_e32 vcc_lo, 28, v62
	v_add_nc_u32_e32 v4, v4, v5
	s_wait_alu 0xfffd
	v_cndmask_b32_e64 v7, 0, 4, vcc_lo
	v_cmp_le_u32_e32 vcc_lo, v14, v2
	ds_bpermute_b32 v5, v13, v4
	v_add_lshl_u32 v15, v7, v62, 2
	s_wait_dscnt 0x0
	s_wait_alu 0xfffd
	v_cndmask_b32_e32 v5, 0, v5, vcc_lo
	v_cmp_gt_u32_e32 vcc_lo, 24, v62
	s_delay_alu instid0(VALU_DEP_2)
	v_add_nc_u32_e32 v4, v4, v5
	s_wait_alu 0xfffd
	v_cndmask_b32_e64 v7, 0, 8, vcc_lo
	v_cmp_le_u32_e32 vcc_lo, v16, v2
	ds_bpermute_b32 v5, v15, v4
	v_add_lshl_u32 v17, v7, v62, 2
	s_wait_dscnt 0x0
	s_wait_alu 0xfffd
	v_cndmask_b32_e32 v5, 0, v5, vcc_lo
	v_cmp_le_u32_e32 vcc_lo, v65, v2
	s_delay_alu instid0(VALU_DEP_2)
	v_add_nc_u32_e32 v4, v4, v5
	ds_bpermute_b32 v5, v17, v4
	s_wait_dscnt 0x0
	s_wait_alu 0xfffd
	v_cndmask_b32_e32 v5, 0, v5, vcc_lo
	v_cmp_le_u32_e32 vcc_lo, v67, v2
	s_delay_alu instid0(VALU_DEP_2) | instskip(SKIP_4) | instid1(VALU_DEP_1)
	v_add_nc_u32_e32 v4, v4, v5
	ds_bpermute_b32 v5, v66, v4
	s_wait_dscnt 0x0
	s_wait_alu 0xfffd
	v_cndmask_b32_e32 v2, 0, v5, vcc_lo
	v_dual_mov_b32 v4, 0 :: v_dual_add_nc_u32 v5, v4, v2
	s_branch .LBB1194_51
.LBB1194_48:                            ;   in Loop: Header=BB1194_51 Depth=1
	s_or_b32 exec_lo, exec_lo, s24
.LBB1194_49:                            ;   in Loop: Header=BB1194_51 Depth=1
	s_delay_alu instid0(SALU_CYCLE_1) | instskip(SKIP_4) | instid1(VALU_DEP_2)
	s_or_b32 exec_lo, exec_lo, s17
	ds_bpermute_b32 v8, v11, v5
	v_and_b32_e32 v7, 0xff, v6
	v_subrev_nc_u32_e32 v3, 32, v3
	s_mov_b32 s17, 0
	v_cmp_eq_u16_e32 vcc_lo, 2, v7
	s_wait_alu 0xfffd
	v_and_or_b32 v7, vcc_lo, v12, 0x80000000
	s_delay_alu instid0(VALU_DEP_1) | instskip(NEXT) | instid1(VALU_DEP_1)
	v_ctz_i32_b32_e32 v7, v7
	v_cmp_lt_u32_e32 vcc_lo, v62, v7
	s_wait_dscnt 0x0
	s_wait_alu 0xfffd
	v_cndmask_b32_e32 v8, 0, v8, vcc_lo
	v_cmp_le_u32_e32 vcc_lo, v14, v7
	s_delay_alu instid0(VALU_DEP_2)
	v_add_nc_u32_e32 v5, v8, v5
	ds_bpermute_b32 v8, v13, v5
	s_wait_dscnt 0x0
	s_wait_alu 0xfffd
	v_cndmask_b32_e32 v8, 0, v8, vcc_lo
	v_cmp_le_u32_e32 vcc_lo, v16, v7
	s_delay_alu instid0(VALU_DEP_2)
	v_add_nc_u32_e32 v5, v5, v8
	ds_bpermute_b32 v8, v15, v5
	;; [unrolled: 7-line block ×3, first 2 shown]
	s_wait_dscnt 0x0
	s_wait_alu 0xfffd
	v_cndmask_b32_e32 v8, 0, v8, vcc_lo
	v_cmp_le_u32_e32 vcc_lo, v67, v7
	s_delay_alu instid0(VALU_DEP_2) | instskip(SKIP_4) | instid1(VALU_DEP_1)
	v_add_nc_u32_e32 v5, v5, v8
	ds_bpermute_b32 v8, v66, v5
	s_wait_dscnt 0x0
	s_wait_alu 0xfffd
	v_cndmask_b32_e32 v7, 0, v8, vcc_lo
	v_add3_u32 v5, v7, v2, v5
.LBB1194_50:                            ;   in Loop: Header=BB1194_51 Depth=1
	s_and_b32 vcc_lo, exec_lo, s17
	s_wait_alu 0xfffe
	s_cbranch_vccnz .LBB1194_56
.LBB1194_51:                            ; =>This Loop Header: Depth=1
                                        ;     Child Loop BB1194_54 Depth 2
	v_and_b32_e32 v2, 0xff, v6
	s_mov_b32 s17, -1
                                        ; implicit-def: $vgpr6
	s_delay_alu instid0(VALU_DEP_1)
	v_cmp_ne_u16_e32 vcc_lo, 2, v2
	v_mov_b32_e32 v2, v5
                                        ; implicit-def: $vgpr5
	s_cmp_lg_u32 vcc_lo, exec_lo
	s_cbranch_scc1 .LBB1194_50
; %bb.52:                               ;   in Loop: Header=BB1194_51 Depth=1
	v_lshlrev_b64_e32 v[5:6], 3, v[3:4]
	s_mov_b32 s17, exec_lo
	s_delay_alu instid0(VALU_DEP_1) | instskip(SKIP_1) | instid1(VALU_DEP_2)
	v_add_co_u32 v7, vcc_lo, s20, v5
	s_wait_alu 0xfffd
	v_add_co_ci_u32_e64 v8, null, s21, v6, vcc_lo
	global_load_b64 v[5:6], v[7:8], off scope:SCOPE_DEV
	s_wait_loadcnt 0x0
	v_and_b32_e32 v68, 0xff, v6
	s_delay_alu instid0(VALU_DEP_1)
	v_cmpx_eq_u16_e32 0, v68
	s_cbranch_execz .LBB1194_49
; %bb.53:                               ;   in Loop: Header=BB1194_51 Depth=1
	s_mov_b32 s24, 0
.LBB1194_54:                            ;   Parent Loop BB1194_51 Depth=1
                                        ; =>  This Inner Loop Header: Depth=2
	global_load_b64 v[5:6], v[7:8], off scope:SCOPE_DEV
	s_wait_loadcnt 0x0
	v_and_b32_e32 v68, 0xff, v6
	s_delay_alu instid0(VALU_DEP_1) | instskip(SKIP_1) | instid1(SALU_CYCLE_1)
	v_cmp_ne_u16_e32 vcc_lo, 0, v68
	s_or_b32 s24, vcc_lo, s24
	s_and_not1_b32 exec_lo, exec_lo, s24
	s_cbranch_execnz .LBB1194_54
	s_branch .LBB1194_48
.LBB1194_55:
                                        ; implicit-def: $vgpr17
                                        ; implicit-def: $vgpr1_vgpr2_vgpr3_vgpr4_vgpr5_vgpr6_vgpr7_vgpr8_vgpr9_vgpr10_vgpr11_vgpr12_vgpr13_vgpr14_vgpr15_vgpr16
	s_wait_alu 0xfffe
	s_and_b32 vcc_lo, exec_lo, s6
	s_wait_alu 0xfffe
	s_cbranch_vccnz .LBB1194_61
	s_branch .LBB1194_70
.LBB1194_56:
	s_and_saveexec_b32 s17, s6
	s_cbranch_execz .LBB1194_58
; %bb.57:
	s_add_co_i32 s24, ttmp9, 32
	s_mov_b32 s25, 0
	v_dual_mov_b32 v4, 2 :: v_dual_add_nc_u32 v3, v2, v1
	v_mov_b32_e32 v5, 0
	s_lshl_b64 s[24:25], s[24:25], 3
	s_delay_alu instid0(SALU_CYCLE_1)
	s_add_nc_u64 s[24:25], s[20:21], s[24:25]
	global_store_b64 v5, v[3:4], s[24:25] scope:SCOPE_DEV
	ds_store_b64 v5, v[1:2] offset:13312
.LBB1194_58:
	s_or_b32 exec_lo, exec_lo, s17
	v_cmp_eq_u32_e32 vcc_lo, 0, v0
	s_and_b32 exec_lo, exec_lo, vcc_lo
; %bb.59:
	v_mov_b32_e32 v1, 0
	ds_store_b32 v1, v2 offset:28
.LBB1194_60:
	s_wait_alu 0xfffe
	s_or_b32 exec_lo, exec_lo, s7
	s_wait_dscnt 0x0
	v_cndmask_b32_e64 v2, v10, v9, s6
	v_cmp_ne_u32_e32 vcc_lo, 0, v0
	v_mov_b32_e32 v11, 0
	s_wait_loadcnt 0x0
	s_wait_storecnt 0x0
	s_barrier_signal -1
	s_barrier_wait -1
	global_inv scope:SCOPE_SE
	s_wait_alu 0xfffd
	v_cndmask_b32_e32 v2, 0, v2, vcc_lo
	ds_load_b32 v1, v11 offset:28
	s_wait_loadcnt_dscnt 0x0
	s_barrier_signal -1
	s_barrier_wait -1
	global_inv scope:SCOPE_SE
	ds_load_b64 v[16:17], v11 offset:13312
	v_add_nc_u32_e32 v1, v1, v2
	s_delay_alu instid0(VALU_DEP_1) | instskip(NEXT) | instid1(VALU_DEP_1)
	v_add_nc_u32_e32 v2, v1, v53
	v_add_nc_u32_e32 v3, v2, v54
	s_delay_alu instid0(VALU_DEP_1) | instskip(NEXT) | instid1(VALU_DEP_1)
	v_add_nc_u32_e32 v4, v3, v55
	;; [unrolled: 3-line block ×6, first 2 shown]
	v_add_nc_u32_e32 v13, v12, v48
	s_branch .LBB1194_70
.LBB1194_61:
	v_mov_b32_dpp v1, v64 row_shr:1 row_mask:0xf bank_mask:0xf
	s_delay_alu instid0(VALU_DEP_1) | instskip(NEXT) | instid1(VALU_DEP_1)
	v_cndmask_b32_e64 v1, v1, 0, s5
	v_add_nc_u32_e32 v1, v1, v64
	s_delay_alu instid0(VALU_DEP_1) | instskip(NEXT) | instid1(VALU_DEP_1)
	v_mov_b32_dpp v2, v1 row_shr:2 row_mask:0xf bank_mask:0xf
	v_cndmask_b32_e64 v2, 0, v2, s4
	s_delay_alu instid0(VALU_DEP_1) | instskip(NEXT) | instid1(VALU_DEP_1)
	v_add_nc_u32_e32 v1, v1, v2
	v_mov_b32_dpp v2, v1 row_shr:4 row_mask:0xf bank_mask:0xf
	s_delay_alu instid0(VALU_DEP_1) | instskip(NEXT) | instid1(VALU_DEP_1)
	v_cndmask_b32_e64 v2, 0, v2, s3
	v_add_nc_u32_e32 v1, v1, v2
	s_delay_alu instid0(VALU_DEP_1) | instskip(NEXT) | instid1(VALU_DEP_1)
	v_mov_b32_dpp v2, v1 row_shr:8 row_mask:0xf bank_mask:0xf
	v_cndmask_b32_e64 v2, 0, v2, s2
	s_delay_alu instid0(VALU_DEP_1) | instskip(SKIP_3) | instid1(VALU_DEP_1)
	v_add_nc_u32_e32 v1, v1, v2
	ds_swizzle_b32 v2, v1 offset:swizzle(BROADCAST,32,15)
	s_wait_dscnt 0x0
	v_cndmask_b32_e64 v2, v2, 0, s1
	v_add_nc_u32_e32 v1, v1, v2
	s_and_saveexec_b32 s1, s0
; %bb.62:
	v_lshlrev_b32_e32 v2, 2, v63
	ds_store_b32 v2, v1
; %bb.63:
	s_wait_alu 0xfffe
	s_or_b32 exec_lo, exec_lo, s1
	s_delay_alu instid0(SALU_CYCLE_1)
	s_mov_b32 s0, exec_lo
	s_wait_loadcnt_dscnt 0x0
	s_barrier_signal -1
	s_barrier_wait -1
	global_inv scope:SCOPE_SE
	v_cmpx_gt_u32_e32 8, v0
	s_cbranch_execz .LBB1194_65
; %bb.64:
	ds_load_b32 v2, v42
	s_wait_dscnt 0x0
	v_mov_b32_dpp v4, v2 row_shr:1 row_mask:0xf bank_mask:0xf
	v_and_b32_e32 v3, 7, v62
	s_delay_alu instid0(VALU_DEP_1) | instskip(SKIP_1) | instid1(VALU_DEP_3)
	v_cmp_ne_u32_e32 vcc_lo, 0, v3
	s_wait_alu 0xfffd
	v_cndmask_b32_e32 v4, 0, v4, vcc_lo
	v_cmp_lt_u32_e32 vcc_lo, 1, v3
	s_delay_alu instid0(VALU_DEP_2) | instskip(NEXT) | instid1(VALU_DEP_1)
	v_add_nc_u32_e32 v2, v4, v2
	v_mov_b32_dpp v4, v2 row_shr:2 row_mask:0xf bank_mask:0xf
	s_wait_alu 0xfffd
	s_delay_alu instid0(VALU_DEP_1) | instskip(SKIP_1) | instid1(VALU_DEP_2)
	v_cndmask_b32_e32 v4, 0, v4, vcc_lo
	v_cmp_lt_u32_e32 vcc_lo, 3, v3
	v_add_nc_u32_e32 v2, v2, v4
	s_delay_alu instid0(VALU_DEP_1) | instskip(SKIP_1) | instid1(VALU_DEP_1)
	v_mov_b32_dpp v4, v2 row_shr:4 row_mask:0xf bank_mask:0xf
	s_wait_alu 0xfffd
	v_cndmask_b32_e32 v3, 0, v4, vcc_lo
	s_delay_alu instid0(VALU_DEP_1)
	v_add_nc_u32_e32 v2, v2, v3
	ds_store_b32 v42, v2
.LBB1194_65:
	s_wait_alu 0xfffe
	s_or_b32 exec_lo, exec_lo, s0
	v_dual_mov_b32 v3, 0 :: v_dual_mov_b32 v2, 0
	s_mov_b32 s0, exec_lo
	s_wait_loadcnt_dscnt 0x0
	s_barrier_signal -1
	s_barrier_wait -1
	global_inv scope:SCOPE_SE
	v_cmpx_lt_u32_e32 31, v0
; %bb.66:
	v_lshl_add_u32 v2, v63, 2, -4
	ds_load_b32 v2, v2
; %bb.67:
	s_wait_alu 0xfffe
	s_or_b32 exec_lo, exec_lo, s0
	v_sub_co_u32 v4, vcc_lo, v62, 1
	s_wait_dscnt 0x0
	v_add_nc_u32_e32 v1, v2, v1
	ds_load_b32 v16, v3 offset:28
	v_cmp_gt_i32_e64 s0, 0, v4
	s_wait_alu 0xf1ff
	s_delay_alu instid0(VALU_DEP_1) | instskip(SKIP_1) | instid1(VALU_DEP_2)
	v_cndmask_b32_e64 v4, v4, v62, s0
	v_cmp_eq_u32_e64 s0, 0, v0
	v_lshlrev_b32_e32 v4, 2, v4
	ds_bpermute_b32 v1, v4, v1
	s_and_saveexec_b32 s1, s0
	s_cbranch_execz .LBB1194_69
; %bb.68:
	v_mov_b32_e32 v3, 0
	v_mov_b32_e32 v17, 2
	s_wait_dscnt 0x1
	s_wait_kmcnt 0x0
	global_store_b64 v3, v[16:17], s[20:21] offset:256 scope:SCOPE_DEV
.LBB1194_69:
	s_wait_alu 0xfffe
	s_or_b32 exec_lo, exec_lo, s1
	s_wait_dscnt 0x0
	s_wait_alu 0xfffd
	v_cndmask_b32_e32 v1, v1, v2, vcc_lo
	s_wait_loadcnt 0x0
	s_wait_storecnt 0x0
	s_barrier_signal -1
	s_barrier_wait -1
	global_inv scope:SCOPE_SE
	v_cndmask_b32_e64 v1, v1, 0, s0
	s_delay_alu instid0(VALU_DEP_1) | instskip(NEXT) | instid1(VALU_DEP_1)
	v_dual_mov_b32 v17, 0 :: v_dual_add_nc_u32 v2, v1, v53
	v_add_nc_u32_e32 v3, v2, v54
	s_delay_alu instid0(VALU_DEP_1) | instskip(NEXT) | instid1(VALU_DEP_1)
	v_add_nc_u32_e32 v4, v3, v55
	v_add_nc_u32_e32 v5, v4, v52
	s_delay_alu instid0(VALU_DEP_1) | instskip(NEXT) | instid1(VALU_DEP_1)
	v_add_nc_u32_e32 v6, v5, v56
	;; [unrolled: 3-line block ×5, first 2 shown]
	v_add_nc_u32_e32 v13, v12, v48
.LBB1194_70:
	v_lshrrev_b32_e32 v56, 8, v51
	v_lshrrev_b32_e32 v55, 16, v51
	s_wait_dscnt 0x0
	v_sub_nc_u32_e32 v1, v1, v17
	v_and_b32_e32 v51, 1, v51
	v_sub_nc_u32_e32 v3, v3, v17
	v_add_nc_u32_e32 v45, v16, v45
	v_sub_nc_u32_e32 v2, v2, v17
	v_sub_nc_u32_e32 v4, v4, v17
	v_cmp_eq_u32_e32 vcc_lo, 1, v51
	v_and_b32_e32 v51, 1, v55
	v_sub_nc_u32_e32 v57, v45, v1
	v_and_b32_e32 v56, 1, v56
	v_sub_nc_u32_e32 v55, v45, v2
	v_lshrrev_b32_e32 v54, 8, v49
	v_lshrrev_b32_e32 v53, 16, v49
	s_wait_alu 0xfffd
	v_cndmask_b32_e32 v1, v57, v1, vcc_lo
	v_sub_nc_u32_e32 v57, v45, v3
	v_add_nc_u32_e32 v55, 1, v55
	v_cmp_eq_u32_e32 vcc_lo, 1, v56
	v_and_b32_e32 v52, 1, v52
	v_lshlrev_b32_e32 v1, 2, v1
	v_add_nc_u32_e32 v57, 2, v57
	v_lshrrev_b32_e32 v15, 8, v47
	v_lshrrev_b32_e32 v14, 16, v47
	ds_store_b32 v1, v28
	s_wait_alu 0xfffd
	v_cndmask_b32_e32 v1, v55, v2, vcc_lo
	v_cmp_eq_u32_e32 vcc_lo, 1, v51
	s_wait_alu 0xfffd
	s_delay_alu instid0(VALU_DEP_2)
	v_dual_cndmask_b32 v2, v57, v3 :: v_dual_lshlrev_b32 v1, 2, v1
	v_sub_nc_u32_e32 v58, v45, v4
	v_cmp_eq_u32_e32 vcc_lo, 1, v52
	ds_store_b32 v1, v29
	v_lshlrev_b32_e32 v2, 2, v2
	v_add_nc_u32_e32 v58, 3, v58
	s_wait_alu 0xfffd
	s_delay_alu instid0(VALU_DEP_1) | instskip(SKIP_2) | instid1(VALU_DEP_3)
	v_cndmask_b32_e32 v3, v58, v4, vcc_lo
	v_sub_nc_u32_e32 v4, v5, v17
	v_sub_nc_u32_e32 v5, v6, v17
	v_lshlrev_b32_e32 v3, 2, v3
	s_delay_alu instid0(VALU_DEP_3) | instskip(NEXT) | instid1(VALU_DEP_3)
	v_sub_nc_u32_e32 v1, v45, v4
	v_sub_nc_u32_e32 v6, v45, v5
	ds_store_b32 v2, v26
	ds_store_b32 v3, v27
	v_and_b32_e32 v2, 1, v49
	v_add_nc_u32_e32 v1, 4, v1
	v_add_nc_u32_e32 v3, 5, v6
	v_sub_nc_u32_e32 v6, v7, v17
	v_and_b32_e32 v7, 1, v54
	v_cmp_eq_u32_e32 vcc_lo, 1, v2
	v_sub_nc_u32_e32 v2, v8, v17
	s_wait_alu 0xfffd
	v_dual_cndmask_b32 v1, v1, v4 :: v_dual_and_b32 v8, 1, v50
	v_sub_nc_u32_e32 v4, v45, v6
	v_cmp_eq_u32_e32 vcc_lo, 1, v7
	v_and_b32_e32 v7, 1, v53
	s_delay_alu instid0(VALU_DEP_4)
	v_lshlrev_b32_e32 v1, 2, v1
	s_wait_alu 0xfffd
	v_dual_cndmask_b32 v3, v3, v5 :: v_dual_add_nc_u32 v4, 6, v4
	v_sub_nc_u32_e32 v5, v45, v2
	v_cmp_eq_u32_e32 vcc_lo, 1, v7
	v_sub_nc_u32_e32 v7, v13, v17
	s_delay_alu instid0(VALU_DEP_4)
	v_lshlrev_b32_e32 v3, 2, v3
	s_wait_alu 0xfffd
	v_dual_cndmask_b32 v4, v4, v6 :: v_dual_add_nc_u32 v5, 7, v5
	v_cmp_eq_u32_e32 vcc_lo, 1, v8
	v_sub_nc_u32_e32 v6, v9, v17
	ds_store_b32 v1, v24
	ds_store_b32 v3, v25
	s_wait_alu 0xfffd
	v_dual_cndmask_b32 v2, v5, v2 :: v_dual_lshlrev_b32 v3, 2, v4
	v_and_b32_e32 v5, 1, v47
	v_sub_nc_u32_e32 v1, v45, v6
	v_sub_nc_u32_e32 v4, v10, v17
	v_and_b32_e32 v10, 1, v48
	s_delay_alu instid0(VALU_DEP_4) | instskip(SKIP_2) | instid1(VALU_DEP_2)
	v_cmp_eq_u32_e32 vcc_lo, 1, v5
	v_sub_nc_u32_e32 v5, v12, v17
	v_add_nc_u32_e32 v1, 8, v1
	v_sub_nc_u32_e32 v9, v45, v5
	s_wait_alu 0xfffd
	s_delay_alu instid0(VALU_DEP_2)
	v_dual_cndmask_b32 v1, v1, v6 :: v_dual_and_b32 v6, 1, v15
	s_wait_kmcnt 0x0
	v_add_co_u32 v15, s0, s18, v17
	v_add_nc_u32_e32 v9, 11, v9
	v_lshlrev_b32_e32 v2, 2, v2
	ds_store_b32 v3, v22
	ds_store_b32 v2, v23
	v_sub_nc_u32_e32 v3, v11, v17
	v_sub_nc_u32_e32 v2, v45, v4
	v_cmp_eq_u32_e32 vcc_lo, 1, v6
	v_and_b32_e32 v11, 1, v46
	v_lshlrev_b32_e32 v1, 2, v1
	v_sub_nc_u32_e32 v8, v45, v3
	v_add_nc_u32_e32 v2, 9, v2
	s_wait_alu 0xf1ff
	v_add_co_ci_u32_e64 v17, null, s19, 0, s0
	s_delay_alu instid0(VALU_DEP_3) | instskip(SKIP_4) | instid1(VALU_DEP_3)
	v_add_nc_u32_e32 v6, 10, v8
	v_and_b32_e32 v8, 1, v14
	s_wait_alu 0xfffd
	v_cndmask_b32_e32 v2, v2, v4, vcc_lo
	v_sub_nc_u32_e32 v4, v45, v7
	v_cmp_eq_u32_e32 vcc_lo, 1, v8
	s_delay_alu instid0(VALU_DEP_3) | instskip(SKIP_1) | instid1(VALU_DEP_3)
	v_lshlrev_b32_e32 v2, 2, v2
	s_wait_alu 0xfffd
	v_dual_cndmask_b32 v3, v6, v3 :: v_dual_add_nc_u32 v4, 12, v4
	v_cmp_eq_u32_e32 vcc_lo, 1, v10
	s_delay_alu instid0(VALU_DEP_2) | instskip(SKIP_4) | instid1(VALU_DEP_2)
	v_lshlrev_b32_e32 v3, 2, v3
	s_wait_alu 0xfffd
	v_cndmask_b32_e32 v5, v9, v5, vcc_lo
	v_cmp_eq_u32_e32 vcc_lo, 1, v11
	s_wait_alu 0xfffd
	v_dual_cndmask_b32 v4, v4, v7 :: v_dual_lshlrev_b32 v5, 2, v5
	v_cmp_ne_u32_e32 vcc_lo, 1, v43
	s_delay_alu instid0(VALU_DEP_2)
	v_lshlrev_b32_e32 v4, 2, v4
	ds_store_b32 v1, v20
	ds_store_b32 v2, v21
	;; [unrolled: 1-line block ×5, first 2 shown]
	s_wait_loadcnt_dscnt 0x0
	s_barrier_signal -1
	s_barrier_wait -1
	global_inv scope:SCOPE_SE
	ds_load_2addr_stride64_b32 v[11:12], v42 offset1:4
	ds_load_2addr_stride64_b32 v[9:10], v42 offset0:8 offset1:12
	ds_load_2addr_stride64_b32 v[7:8], v42 offset0:16 offset1:20
	;; [unrolled: 1-line block ×5, first 2 shown]
	ds_load_b32 v18, v42 offset:12288
	s_cbranch_vccnz .LBB1194_124
; %bb.71:
	s_mov_b32 s17, 0
	v_sub_co_u32 v13, vcc_lo, v15, s12
	s_sub_nc_u64 s[0:1], s[14:15], s[16:17]
	s_wait_alu 0xfffd
	v_subrev_co_ci_u32_e64 v14, null, s13, v17, vcc_lo
	s_wait_alu 0xfffe
	v_add_co_u32 v19, s0, s0, v16
	s_wait_alu 0xf1ff
	v_add_co_ci_u32_e64 v20, null, s1, 0, s0
	s_mov_b32 s0, exec_lo
	v_add_co_u32 v19, vcc_lo, v19, v13
	s_wait_alu 0xfffd
	v_add_co_ci_u32_e64 v20, null, v20, v14, vcc_lo
                                        ; implicit-def: $vgpr13_vgpr14
	v_cmpx_ge_u32_e64 v0, v16
	s_wait_alu 0xfffe
	s_xor_b32 s0, exec_lo, s0
; %bb.72:
	v_not_b32_e32 v13, v0
	s_delay_alu instid0(VALU_DEP_1) | instskip(SKIP_2) | instid1(VALU_DEP_2)
	v_ashrrev_i32_e32 v14, 31, v13
	v_add_co_u32 v13, vcc_lo, v19, v13
	s_wait_alu 0xfffd
	v_add_co_ci_u32_e64 v14, null, v20, v14, vcc_lo
; %bb.73:
	s_wait_alu 0xfffe
	s_and_not1_saveexec_b32 s0, s0
; %bb.74:
	v_add_co_u32 v13, vcc_lo, v15, v0
	s_wait_alu 0xfffd
	v_add_co_ci_u32_e64 v14, null, 0, v17, vcc_lo
; %bb.75:
	s_wait_alu 0xfffe
	s_or_b32 exec_lo, exec_lo, s0
	s_delay_alu instid0(VALU_DEP_1) | instskip(SKIP_1) | instid1(VALU_DEP_1)
	v_lshlrev_b64_e32 v[13:14], 2, v[13:14]
	s_mov_b32 s0, exec_lo
	v_add_co_u32 v13, vcc_lo, s10, v13
	s_wait_alu 0xfffd
	s_delay_alu instid0(VALU_DEP_2)
	v_add_co_ci_u32_e64 v14, null, s11, v14, vcc_lo
	s_wait_dscnt 0x6
	global_store_b32 v[13:14], v11, off
                                        ; implicit-def: $vgpr13_vgpr14
	v_cmpx_ge_u32_e64 v41, v16
	s_wait_alu 0xfffe
	s_xor_b32 s0, exec_lo, s0
; %bb.76:
	v_xor_b32_e32 v13, 0xfffffeff, v0
	s_delay_alu instid0(VALU_DEP_1) | instskip(SKIP_2) | instid1(VALU_DEP_2)
	v_ashrrev_i32_e32 v14, 31, v13
	v_add_co_u32 v13, vcc_lo, v19, v13
	s_wait_alu 0xfffd
	v_add_co_ci_u32_e64 v14, null, v20, v14, vcc_lo
; %bb.77:
	s_wait_alu 0xfffe
	s_and_not1_saveexec_b32 s0, s0
; %bb.78:
	v_add_co_u32 v13, vcc_lo, v15, v41
	s_wait_alu 0xfffd
	v_add_co_ci_u32_e64 v14, null, 0, v17, vcc_lo
; %bb.79:
	s_wait_alu 0xfffe
	s_or_b32 exec_lo, exec_lo, s0
	s_delay_alu instid0(VALU_DEP_1) | instskip(SKIP_1) | instid1(VALU_DEP_1)
	v_lshlrev_b64_e32 v[13:14], 2, v[13:14]
	s_mov_b32 s0, exec_lo
	v_add_co_u32 v13, vcc_lo, s10, v13
	s_wait_alu 0xfffd
	s_delay_alu instid0(VALU_DEP_2)
	v_add_co_ci_u32_e64 v14, null, s11, v14, vcc_lo
	global_store_b32 v[13:14], v12, off
                                        ; implicit-def: $vgpr13_vgpr14
	v_cmpx_ge_u32_e64 v40, v16
	s_wait_alu 0xfffe
	s_xor_b32 s0, exec_lo, s0
; %bb.80:
	v_xor_b32_e32 v13, 0xfffffdff, v0
	s_delay_alu instid0(VALU_DEP_1) | instskip(SKIP_2) | instid1(VALU_DEP_2)
	v_ashrrev_i32_e32 v14, 31, v13
	v_add_co_u32 v13, vcc_lo, v19, v13
	s_wait_alu 0xfffd
	v_add_co_ci_u32_e64 v14, null, v20, v14, vcc_lo
; %bb.81:
	s_wait_alu 0xfffe
	s_and_not1_saveexec_b32 s0, s0
; %bb.82:
	v_add_co_u32 v13, vcc_lo, v15, v40
	s_wait_alu 0xfffd
	v_add_co_ci_u32_e64 v14, null, 0, v17, vcc_lo
; %bb.83:
	s_wait_alu 0xfffe
	s_or_b32 exec_lo, exec_lo, s0
	s_delay_alu instid0(VALU_DEP_1) | instskip(SKIP_1) | instid1(VALU_DEP_1)
	v_lshlrev_b64_e32 v[13:14], 2, v[13:14]
	s_mov_b32 s0, exec_lo
	v_add_co_u32 v13, vcc_lo, s10, v13
	s_wait_alu 0xfffd
	s_delay_alu instid0(VALU_DEP_2)
	v_add_co_ci_u32_e64 v14, null, s11, v14, vcc_lo
	s_wait_dscnt 0x5
	global_store_b32 v[13:14], v9, off
                                        ; implicit-def: $vgpr13_vgpr14
	v_cmpx_ge_u32_e64 v39, v16
	s_wait_alu 0xfffe
	s_xor_b32 s0, exec_lo, s0
; %bb.84:
	v_xor_b32_e32 v13, 0xfffffcff, v0
	s_delay_alu instid0(VALU_DEP_1) | instskip(SKIP_2) | instid1(VALU_DEP_2)
	v_ashrrev_i32_e32 v14, 31, v13
	v_add_co_u32 v13, vcc_lo, v19, v13
	s_wait_alu 0xfffd
	v_add_co_ci_u32_e64 v14, null, v20, v14, vcc_lo
; %bb.85:
	s_wait_alu 0xfffe
	s_and_not1_saveexec_b32 s0, s0
; %bb.86:
	v_add_co_u32 v13, vcc_lo, v15, v39
	s_wait_alu 0xfffd
	v_add_co_ci_u32_e64 v14, null, 0, v17, vcc_lo
; %bb.87:
	s_wait_alu 0xfffe
	s_or_b32 exec_lo, exec_lo, s0
	s_delay_alu instid0(VALU_DEP_1) | instskip(SKIP_1) | instid1(VALU_DEP_1)
	v_lshlrev_b64_e32 v[13:14], 2, v[13:14]
	s_mov_b32 s0, exec_lo
	v_add_co_u32 v13, vcc_lo, s10, v13
	s_wait_alu 0xfffd
	s_delay_alu instid0(VALU_DEP_2)
	v_add_co_ci_u32_e64 v14, null, s11, v14, vcc_lo
	global_store_b32 v[13:14], v10, off
                                        ; implicit-def: $vgpr13_vgpr14
	v_cmpx_ge_u32_e64 v38, v16
	s_wait_alu 0xfffe
	s_xor_b32 s0, exec_lo, s0
; %bb.88:
	v_xor_b32_e32 v13, 0xfffffbff, v0
	s_delay_alu instid0(VALU_DEP_1) | instskip(SKIP_2) | instid1(VALU_DEP_2)
	v_ashrrev_i32_e32 v14, 31, v13
	v_add_co_u32 v13, vcc_lo, v19, v13
	s_wait_alu 0xfffd
	v_add_co_ci_u32_e64 v14, null, v20, v14, vcc_lo
; %bb.89:
	s_wait_alu 0xfffe
	s_and_not1_saveexec_b32 s0, s0
; %bb.90:
	v_add_co_u32 v13, vcc_lo, v15, v38
	s_wait_alu 0xfffd
	v_add_co_ci_u32_e64 v14, null, 0, v17, vcc_lo
; %bb.91:
	s_wait_alu 0xfffe
	s_or_b32 exec_lo, exec_lo, s0
	s_delay_alu instid0(VALU_DEP_1) | instskip(SKIP_1) | instid1(VALU_DEP_1)
	v_lshlrev_b64_e32 v[13:14], 2, v[13:14]
	s_mov_b32 s0, exec_lo
	v_add_co_u32 v13, vcc_lo, s10, v13
	s_wait_alu 0xfffd
	s_delay_alu instid0(VALU_DEP_2)
	v_add_co_ci_u32_e64 v14, null, s11, v14, vcc_lo
	s_wait_dscnt 0x4
	global_store_b32 v[13:14], v7, off
                                        ; implicit-def: $vgpr13_vgpr14
	v_cmpx_ge_u32_e64 v37, v16
	s_wait_alu 0xfffe
	s_xor_b32 s0, exec_lo, s0
; %bb.92:
	v_xor_b32_e32 v13, 0xfffffaff, v0
	s_delay_alu instid0(VALU_DEP_1) | instskip(SKIP_2) | instid1(VALU_DEP_2)
	v_ashrrev_i32_e32 v14, 31, v13
	v_add_co_u32 v13, vcc_lo, v19, v13
	s_wait_alu 0xfffd
	v_add_co_ci_u32_e64 v14, null, v20, v14, vcc_lo
; %bb.93:
	s_wait_alu 0xfffe
	s_and_not1_saveexec_b32 s0, s0
; %bb.94:
	v_add_co_u32 v13, vcc_lo, v15, v37
	s_wait_alu 0xfffd
	v_add_co_ci_u32_e64 v14, null, 0, v17, vcc_lo
; %bb.95:
	s_wait_alu 0xfffe
	s_or_b32 exec_lo, exec_lo, s0
	s_delay_alu instid0(VALU_DEP_1) | instskip(SKIP_1) | instid1(VALU_DEP_1)
	v_lshlrev_b64_e32 v[13:14], 2, v[13:14]
	s_mov_b32 s0, exec_lo
	v_add_co_u32 v13, vcc_lo, s10, v13
	s_wait_alu 0xfffd
	s_delay_alu instid0(VALU_DEP_2)
	v_add_co_ci_u32_e64 v14, null, s11, v14, vcc_lo
	global_store_b32 v[13:14], v8, off
                                        ; implicit-def: $vgpr13_vgpr14
	v_cmpx_ge_u32_e64 v36, v16
	s_wait_alu 0xfffe
	s_xor_b32 s0, exec_lo, s0
; %bb.96:
	v_xor_b32_e32 v13, 0xfffff9ff, v0
	s_delay_alu instid0(VALU_DEP_1) | instskip(SKIP_2) | instid1(VALU_DEP_2)
	v_ashrrev_i32_e32 v14, 31, v13
	v_add_co_u32 v13, vcc_lo, v19, v13
	s_wait_alu 0xfffd
	v_add_co_ci_u32_e64 v14, null, v20, v14, vcc_lo
; %bb.97:
	s_wait_alu 0xfffe
	s_and_not1_saveexec_b32 s0, s0
; %bb.98:
	v_add_co_u32 v13, vcc_lo, v15, v36
	s_wait_alu 0xfffd
	v_add_co_ci_u32_e64 v14, null, 0, v17, vcc_lo
; %bb.99:
	s_wait_alu 0xfffe
	s_or_b32 exec_lo, exec_lo, s0
	s_delay_alu instid0(VALU_DEP_1) | instskip(SKIP_1) | instid1(VALU_DEP_1)
	v_lshlrev_b64_e32 v[13:14], 2, v[13:14]
	s_mov_b32 s0, exec_lo
	v_add_co_u32 v13, vcc_lo, s10, v13
	s_wait_alu 0xfffd
	s_delay_alu instid0(VALU_DEP_2)
	v_add_co_ci_u32_e64 v14, null, s11, v14, vcc_lo
	s_wait_dscnt 0x3
	global_store_b32 v[13:14], v5, off
                                        ; implicit-def: $vgpr13_vgpr14
	v_cmpx_ge_u32_e64 v35, v16
	s_wait_alu 0xfffe
	s_xor_b32 s0, exec_lo, s0
; %bb.100:
	v_xor_b32_e32 v13, 0xfffff8ff, v0
	s_delay_alu instid0(VALU_DEP_1) | instskip(SKIP_2) | instid1(VALU_DEP_2)
	v_ashrrev_i32_e32 v14, 31, v13
	v_add_co_u32 v13, vcc_lo, v19, v13
	s_wait_alu 0xfffd
	v_add_co_ci_u32_e64 v14, null, v20, v14, vcc_lo
; %bb.101:
	s_wait_alu 0xfffe
	s_and_not1_saveexec_b32 s0, s0
; %bb.102:
	v_add_co_u32 v13, vcc_lo, v15, v35
	s_wait_alu 0xfffd
	v_add_co_ci_u32_e64 v14, null, 0, v17, vcc_lo
; %bb.103:
	s_wait_alu 0xfffe
	s_or_b32 exec_lo, exec_lo, s0
	s_delay_alu instid0(VALU_DEP_1) | instskip(SKIP_1) | instid1(VALU_DEP_1)
	v_lshlrev_b64_e32 v[13:14], 2, v[13:14]
	s_mov_b32 s0, exec_lo
	v_add_co_u32 v13, vcc_lo, s10, v13
	s_wait_alu 0xfffd
	s_delay_alu instid0(VALU_DEP_2)
	v_add_co_ci_u32_e64 v14, null, s11, v14, vcc_lo
	global_store_b32 v[13:14], v6, off
                                        ; implicit-def: $vgpr13_vgpr14
	v_cmpx_ge_u32_e64 v34, v16
	s_wait_alu 0xfffe
	s_xor_b32 s0, exec_lo, s0
; %bb.104:
	v_xor_b32_e32 v13, 0xfffff7ff, v0
	s_delay_alu instid0(VALU_DEP_1) | instskip(SKIP_2) | instid1(VALU_DEP_2)
	v_ashrrev_i32_e32 v14, 31, v13
	v_add_co_u32 v13, vcc_lo, v19, v13
	s_wait_alu 0xfffd
	v_add_co_ci_u32_e64 v14, null, v20, v14, vcc_lo
; %bb.105:
	s_wait_alu 0xfffe
	s_and_not1_saveexec_b32 s0, s0
; %bb.106:
	v_add_co_u32 v13, vcc_lo, v15, v34
	s_wait_alu 0xfffd
	v_add_co_ci_u32_e64 v14, null, 0, v17, vcc_lo
; %bb.107:
	s_wait_alu 0xfffe
	s_or_b32 exec_lo, exec_lo, s0
	s_delay_alu instid0(VALU_DEP_1) | instskip(SKIP_1) | instid1(VALU_DEP_1)
	v_lshlrev_b64_e32 v[13:14], 2, v[13:14]
	s_mov_b32 s0, exec_lo
	v_add_co_u32 v13, vcc_lo, s10, v13
	s_wait_alu 0xfffd
	s_delay_alu instid0(VALU_DEP_2)
	v_add_co_ci_u32_e64 v14, null, s11, v14, vcc_lo
	s_wait_dscnt 0x2
	global_store_b32 v[13:14], v3, off
                                        ; implicit-def: $vgpr13_vgpr14
	v_cmpx_ge_u32_e64 v33, v16
	s_wait_alu 0xfffe
	s_xor_b32 s0, exec_lo, s0
; %bb.108:
	v_xor_b32_e32 v13, 0xfffff6ff, v0
	s_delay_alu instid0(VALU_DEP_1) | instskip(SKIP_2) | instid1(VALU_DEP_2)
	v_ashrrev_i32_e32 v14, 31, v13
	v_add_co_u32 v13, vcc_lo, v19, v13
	s_wait_alu 0xfffd
	v_add_co_ci_u32_e64 v14, null, v20, v14, vcc_lo
; %bb.109:
	s_wait_alu 0xfffe
	s_and_not1_saveexec_b32 s0, s0
; %bb.110:
	v_add_co_u32 v13, vcc_lo, v15, v33
	s_wait_alu 0xfffd
	v_add_co_ci_u32_e64 v14, null, 0, v17, vcc_lo
; %bb.111:
	s_wait_alu 0xfffe
	s_or_b32 exec_lo, exec_lo, s0
	s_delay_alu instid0(VALU_DEP_1) | instskip(SKIP_1) | instid1(VALU_DEP_1)
	v_lshlrev_b64_e32 v[13:14], 2, v[13:14]
	s_mov_b32 s0, exec_lo
	v_add_co_u32 v13, vcc_lo, s10, v13
	s_wait_alu 0xfffd
	s_delay_alu instid0(VALU_DEP_2)
	v_add_co_ci_u32_e64 v14, null, s11, v14, vcc_lo
	global_store_b32 v[13:14], v4, off
                                        ; implicit-def: $vgpr13_vgpr14
	v_cmpx_ge_u32_e64 v32, v16
	s_wait_alu 0xfffe
	s_xor_b32 s0, exec_lo, s0
; %bb.112:
	v_xor_b32_e32 v13, 0xfffff5ff, v0
	s_delay_alu instid0(VALU_DEP_1) | instskip(SKIP_2) | instid1(VALU_DEP_2)
	v_ashrrev_i32_e32 v14, 31, v13
	v_add_co_u32 v13, vcc_lo, v19, v13
	s_wait_alu 0xfffd
	v_add_co_ci_u32_e64 v14, null, v20, v14, vcc_lo
; %bb.113:
	s_wait_alu 0xfffe
	s_and_not1_saveexec_b32 s0, s0
; %bb.114:
	v_add_co_u32 v13, vcc_lo, v15, v32
	s_wait_alu 0xfffd
	v_add_co_ci_u32_e64 v14, null, 0, v17, vcc_lo
; %bb.115:
	s_wait_alu 0xfffe
	s_or_b32 exec_lo, exec_lo, s0
	s_delay_alu instid0(VALU_DEP_1) | instskip(SKIP_1) | instid1(VALU_DEP_1)
	v_lshlrev_b64_e32 v[13:14], 2, v[13:14]
	s_mov_b32 s0, exec_lo
	v_add_co_u32 v13, vcc_lo, s10, v13
	s_wait_alu 0xfffd
	s_delay_alu instid0(VALU_DEP_2)
	v_add_co_ci_u32_e64 v14, null, s11, v14, vcc_lo
	s_wait_dscnt 0x1
	global_store_b32 v[13:14], v1, off
                                        ; implicit-def: $vgpr13_vgpr14
	v_cmpx_ge_u32_e64 v31, v16
	s_wait_alu 0xfffe
	s_xor_b32 s0, exec_lo, s0
; %bb.116:
	v_xor_b32_e32 v13, 0xfffff4ff, v0
	s_delay_alu instid0(VALU_DEP_1) | instskip(SKIP_2) | instid1(VALU_DEP_2)
	v_ashrrev_i32_e32 v14, 31, v13
	v_add_co_u32 v13, vcc_lo, v19, v13
	s_wait_alu 0xfffd
	v_add_co_ci_u32_e64 v14, null, v20, v14, vcc_lo
; %bb.117:
	s_wait_alu 0xfffe
	s_and_not1_saveexec_b32 s0, s0
; %bb.118:
	v_add_co_u32 v13, vcc_lo, v15, v31
	s_wait_alu 0xfffd
	v_add_co_ci_u32_e64 v14, null, 0, v17, vcc_lo
; %bb.119:
	s_wait_alu 0xfffe
	s_or_b32 exec_lo, exec_lo, s0
	s_delay_alu instid0(VALU_DEP_1) | instskip(SKIP_1) | instid1(VALU_DEP_1)
	v_lshlrev_b64_e32 v[13:14], 2, v[13:14]
	s_mov_b32 s0, exec_lo
	v_add_co_u32 v13, vcc_lo, s10, v13
	s_wait_alu 0xfffd
	s_delay_alu instid0(VALU_DEP_2)
	v_add_co_ci_u32_e64 v14, null, s11, v14, vcc_lo
	global_store_b32 v[13:14], v2, off
                                        ; implicit-def: $vgpr13_vgpr14
	v_cmpx_ge_u32_e64 v30, v16
	s_wait_alu 0xfffe
	s_xor_b32 s0, exec_lo, s0
; %bb.120:
	v_xor_b32_e32 v13, 0xfffff3ff, v0
	s_delay_alu instid0(VALU_DEP_1) | instskip(SKIP_2) | instid1(VALU_DEP_2)
	v_ashrrev_i32_e32 v14, 31, v13
	v_add_co_u32 v13, vcc_lo, v19, v13
	s_wait_alu 0xfffd
	v_add_co_ci_u32_e64 v14, null, v20, v14, vcc_lo
; %bb.121:
	s_wait_alu 0xfffe
	s_and_not1_saveexec_b32 s0, s0
; %bb.122:
	v_add_co_u32 v13, vcc_lo, v15, v30
	s_wait_alu 0xfffd
	v_add_co_ci_u32_e64 v14, null, 0, v17, vcc_lo
; %bb.123:
	s_wait_alu 0xfffe
	s_or_b32 exec_lo, exec_lo, s0
	s_mov_b32 s0, -1
	s_branch .LBB1194_204
.LBB1194_124:
	s_mov_b32 s0, 0
                                        ; implicit-def: $vgpr13_vgpr14
	s_cbranch_execz .LBB1194_204
; %bb.125:
	s_mov_b32 s17, 0
	s_delay_alu instid0(SALU_CYCLE_1)
	s_add_nc_u64 s[2:3], s[12:13], s[16:17]
	s_wait_alu 0xfffe
	s_sub_nc_u64 s[2:3], s[14:15], s[2:3]
	s_wait_alu 0xfffe
	v_add_co_u32 v13, s1, s2, v16
	s_wait_alu 0xf1ff
	v_add_co_ci_u32_e64 v14, null, s3, 0, s1
	s_mov_b32 s1, exec_lo
	v_add_co_u32 v19, vcc_lo, v13, v15
	s_wait_alu 0xfffd
	v_add_co_ci_u32_e64 v20, null, v14, v17, vcc_lo
	v_cmpx_gt_u32_e64 s23, v0
	s_cbranch_execz .LBB1194_161
; %bb.126:
	s_mov_b32 s2, exec_lo
                                        ; implicit-def: $vgpr13_vgpr14
	v_cmpx_ge_u32_e64 v0, v16
	s_wait_alu 0xfffe
	s_xor_b32 s2, exec_lo, s2
; %bb.127:
	v_not_b32_e32 v13, v0
	s_delay_alu instid0(VALU_DEP_1) | instskip(SKIP_2) | instid1(VALU_DEP_2)
	v_ashrrev_i32_e32 v14, 31, v13
	v_add_co_u32 v13, vcc_lo, v19, v13
	s_wait_alu 0xfffd
	v_add_co_ci_u32_e64 v14, null, v20, v14, vcc_lo
; %bb.128:
	s_wait_alu 0xfffe
	s_and_not1_saveexec_b32 s2, s2
; %bb.129:
	v_add_co_u32 v13, vcc_lo, v15, v0
	s_wait_alu 0xfffd
	v_add_co_ci_u32_e64 v14, null, 0, v17, vcc_lo
; %bb.130:
	s_wait_alu 0xfffe
	s_or_b32 exec_lo, exec_lo, s2
	s_delay_alu instid0(VALU_DEP_1) | instskip(NEXT) | instid1(VALU_DEP_1)
	v_lshlrev_b64_e32 v[13:14], 2, v[13:14]
	v_add_co_u32 v13, vcc_lo, s10, v13
	s_wait_alu 0xfffd
	s_delay_alu instid0(VALU_DEP_2) | instskip(SKIP_3) | instid1(SALU_CYCLE_1)
	v_add_co_ci_u32_e64 v14, null, s11, v14, vcc_lo
	s_wait_dscnt 0x6
	global_store_b32 v[13:14], v11, off
	s_or_b32 exec_lo, exec_lo, s1
	s_mov_b32 s1, exec_lo
	v_cmpx_gt_u32_e64 s23, v41
	s_cbranch_execnz .LBB1194_162
.LBB1194_131:
	s_wait_alu 0xfffe
	s_or_b32 exec_lo, exec_lo, s1
	s_delay_alu instid0(SALU_CYCLE_1)
	s_mov_b32 s1, exec_lo
	v_cmpx_gt_u32_e64 s23, v40
	s_cbranch_execz .LBB1194_167
.LBB1194_132:
	s_mov_b32 s2, exec_lo
                                        ; implicit-def: $vgpr11_vgpr12
	v_cmpx_ge_u32_e64 v40, v16
	s_wait_alu 0xfffe
	s_xor_b32 s2, exec_lo, s2
	s_cbranch_execz .LBB1194_134
; %bb.133:
	s_wait_dscnt 0x6
	v_xor_b32_e32 v11, 0xfffffdff, v0
                                        ; implicit-def: $vgpr40
	s_delay_alu instid0(VALU_DEP_1) | instskip(SKIP_2) | instid1(VALU_DEP_2)
	v_ashrrev_i32_e32 v12, 31, v11
	v_add_co_u32 v11, vcc_lo, v19, v11
	s_wait_alu 0xfffd
	v_add_co_ci_u32_e64 v12, null, v20, v12, vcc_lo
.LBB1194_134:
	s_wait_alu 0xfffe
	s_and_not1_saveexec_b32 s2, s2
	s_cbranch_execz .LBB1194_136
; %bb.135:
	s_wait_dscnt 0x6
	v_add_co_u32 v11, vcc_lo, v15, v40
	s_wait_alu 0xfffd
	v_add_co_ci_u32_e64 v12, null, 0, v17, vcc_lo
.LBB1194_136:
	s_wait_alu 0xfffe
	s_or_b32 exec_lo, exec_lo, s2
	s_wait_dscnt 0x6
	s_delay_alu instid0(VALU_DEP_1) | instskip(NEXT) | instid1(VALU_DEP_1)
	v_lshlrev_b64_e32 v[11:12], 2, v[11:12]
	v_add_co_u32 v11, vcc_lo, s10, v11
	s_wait_alu 0xfffd
	s_delay_alu instid0(VALU_DEP_2) | instskip(SKIP_3) | instid1(SALU_CYCLE_1)
	v_add_co_ci_u32_e64 v12, null, s11, v12, vcc_lo
	s_wait_dscnt 0x5
	global_store_b32 v[11:12], v9, off
	s_or_b32 exec_lo, exec_lo, s1
	s_mov_b32 s1, exec_lo
	v_cmpx_gt_u32_e64 s23, v39
	s_cbranch_execnz .LBB1194_168
.LBB1194_137:
	s_wait_alu 0xfffe
	s_or_b32 exec_lo, exec_lo, s1
	s_delay_alu instid0(SALU_CYCLE_1)
	s_mov_b32 s1, exec_lo
	v_cmpx_gt_u32_e64 s23, v38
	s_cbranch_execz .LBB1194_173
.LBB1194_138:
	s_mov_b32 s2, exec_lo
                                        ; implicit-def: $vgpr9_vgpr10
	v_cmpx_ge_u32_e64 v38, v16
	s_wait_alu 0xfffe
	s_xor_b32 s2, exec_lo, s2
	s_cbranch_execz .LBB1194_140
; %bb.139:
	s_wait_dscnt 0x5
	v_xor_b32_e32 v9, 0xfffffbff, v0
                                        ; implicit-def: $vgpr38
	s_delay_alu instid0(VALU_DEP_1) | instskip(SKIP_2) | instid1(VALU_DEP_2)
	v_ashrrev_i32_e32 v10, 31, v9
	v_add_co_u32 v9, vcc_lo, v19, v9
	s_wait_alu 0xfffd
	v_add_co_ci_u32_e64 v10, null, v20, v10, vcc_lo
.LBB1194_140:
	s_wait_alu 0xfffe
	s_and_not1_saveexec_b32 s2, s2
	s_cbranch_execz .LBB1194_142
; %bb.141:
	s_wait_dscnt 0x5
	v_add_co_u32 v9, vcc_lo, v15, v38
	s_wait_alu 0xfffd
	v_add_co_ci_u32_e64 v10, null, 0, v17, vcc_lo
.LBB1194_142:
	s_wait_alu 0xfffe
	s_or_b32 exec_lo, exec_lo, s2
	s_wait_dscnt 0x5
	s_delay_alu instid0(VALU_DEP_1) | instskip(NEXT) | instid1(VALU_DEP_1)
	v_lshlrev_b64_e32 v[9:10], 2, v[9:10]
	v_add_co_u32 v9, vcc_lo, s10, v9
	s_wait_alu 0xfffd
	s_delay_alu instid0(VALU_DEP_2) | instskip(SKIP_3) | instid1(SALU_CYCLE_1)
	v_add_co_ci_u32_e64 v10, null, s11, v10, vcc_lo
	s_wait_dscnt 0x4
	global_store_b32 v[9:10], v7, off
	s_or_b32 exec_lo, exec_lo, s1
	s_mov_b32 s1, exec_lo
	v_cmpx_gt_u32_e64 s23, v37
	s_cbranch_execnz .LBB1194_174
.LBB1194_143:
	s_wait_alu 0xfffe
	s_or_b32 exec_lo, exec_lo, s1
	s_delay_alu instid0(SALU_CYCLE_1)
	s_mov_b32 s1, exec_lo
	v_cmpx_gt_u32_e64 s23, v36
	s_cbranch_execz .LBB1194_179
.LBB1194_144:
	s_mov_b32 s2, exec_lo
                                        ; implicit-def: $vgpr7_vgpr8
	v_cmpx_ge_u32_e64 v36, v16
	s_wait_alu 0xfffe
	s_xor_b32 s2, exec_lo, s2
	s_cbranch_execz .LBB1194_146
; %bb.145:
	s_wait_dscnt 0x4
	v_xor_b32_e32 v7, 0xfffff9ff, v0
                                        ; implicit-def: $vgpr36
	s_delay_alu instid0(VALU_DEP_1) | instskip(SKIP_2) | instid1(VALU_DEP_2)
	v_ashrrev_i32_e32 v8, 31, v7
	v_add_co_u32 v7, vcc_lo, v19, v7
	s_wait_alu 0xfffd
	v_add_co_ci_u32_e64 v8, null, v20, v8, vcc_lo
.LBB1194_146:
	s_wait_alu 0xfffe
	s_and_not1_saveexec_b32 s2, s2
	s_cbranch_execz .LBB1194_148
; %bb.147:
	s_wait_dscnt 0x4
	v_add_co_u32 v7, vcc_lo, v15, v36
	s_wait_alu 0xfffd
	v_add_co_ci_u32_e64 v8, null, 0, v17, vcc_lo
.LBB1194_148:
	s_wait_alu 0xfffe
	s_or_b32 exec_lo, exec_lo, s2
	s_wait_dscnt 0x4
	s_delay_alu instid0(VALU_DEP_1) | instskip(NEXT) | instid1(VALU_DEP_1)
	v_lshlrev_b64_e32 v[7:8], 2, v[7:8]
	v_add_co_u32 v7, vcc_lo, s10, v7
	s_wait_alu 0xfffd
	s_delay_alu instid0(VALU_DEP_2) | instskip(SKIP_3) | instid1(SALU_CYCLE_1)
	v_add_co_ci_u32_e64 v8, null, s11, v8, vcc_lo
	s_wait_dscnt 0x3
	global_store_b32 v[7:8], v5, off
	s_or_b32 exec_lo, exec_lo, s1
	s_mov_b32 s1, exec_lo
	v_cmpx_gt_u32_e64 s23, v35
	s_cbranch_execnz .LBB1194_180
.LBB1194_149:
	s_wait_alu 0xfffe
	s_or_b32 exec_lo, exec_lo, s1
	s_delay_alu instid0(SALU_CYCLE_1)
	s_mov_b32 s1, exec_lo
	v_cmpx_gt_u32_e64 s23, v34
	s_cbranch_execz .LBB1194_185
.LBB1194_150:
	s_mov_b32 s2, exec_lo
                                        ; implicit-def: $vgpr5_vgpr6
	v_cmpx_ge_u32_e64 v34, v16
	s_wait_alu 0xfffe
	s_xor_b32 s2, exec_lo, s2
	s_cbranch_execz .LBB1194_152
; %bb.151:
	s_wait_dscnt 0x3
	v_xor_b32_e32 v5, 0xfffff7ff, v0
                                        ; implicit-def: $vgpr34
	s_delay_alu instid0(VALU_DEP_1) | instskip(SKIP_2) | instid1(VALU_DEP_2)
	v_ashrrev_i32_e32 v6, 31, v5
	v_add_co_u32 v5, vcc_lo, v19, v5
	s_wait_alu 0xfffd
	v_add_co_ci_u32_e64 v6, null, v20, v6, vcc_lo
.LBB1194_152:
	s_wait_alu 0xfffe
	s_and_not1_saveexec_b32 s2, s2
	s_cbranch_execz .LBB1194_154
; %bb.153:
	s_wait_dscnt 0x3
	v_add_co_u32 v5, vcc_lo, v15, v34
	s_wait_alu 0xfffd
	v_add_co_ci_u32_e64 v6, null, 0, v17, vcc_lo
.LBB1194_154:
	s_wait_alu 0xfffe
	s_or_b32 exec_lo, exec_lo, s2
	s_wait_dscnt 0x3
	s_delay_alu instid0(VALU_DEP_1) | instskip(NEXT) | instid1(VALU_DEP_1)
	v_lshlrev_b64_e32 v[5:6], 2, v[5:6]
	v_add_co_u32 v5, vcc_lo, s10, v5
	s_wait_alu 0xfffd
	s_delay_alu instid0(VALU_DEP_2) | instskip(SKIP_3) | instid1(SALU_CYCLE_1)
	v_add_co_ci_u32_e64 v6, null, s11, v6, vcc_lo
	s_wait_dscnt 0x2
	global_store_b32 v[5:6], v3, off
	s_or_b32 exec_lo, exec_lo, s1
	s_mov_b32 s1, exec_lo
	v_cmpx_gt_u32_e64 s23, v33
	s_cbranch_execnz .LBB1194_186
.LBB1194_155:
	s_wait_alu 0xfffe
	s_or_b32 exec_lo, exec_lo, s1
	s_delay_alu instid0(SALU_CYCLE_1)
	s_mov_b32 s1, exec_lo
	v_cmpx_gt_u32_e64 s23, v32
	s_cbranch_execz .LBB1194_191
.LBB1194_156:
	s_mov_b32 s2, exec_lo
                                        ; implicit-def: $vgpr3_vgpr4
	v_cmpx_ge_u32_e64 v32, v16
	s_wait_alu 0xfffe
	s_xor_b32 s2, exec_lo, s2
	s_cbranch_execz .LBB1194_158
; %bb.157:
	s_wait_dscnt 0x2
	v_xor_b32_e32 v3, 0xfffff5ff, v0
                                        ; implicit-def: $vgpr32
	s_delay_alu instid0(VALU_DEP_1) | instskip(SKIP_2) | instid1(VALU_DEP_2)
	v_ashrrev_i32_e32 v4, 31, v3
	v_add_co_u32 v3, vcc_lo, v19, v3
	s_wait_alu 0xfffd
	v_add_co_ci_u32_e64 v4, null, v20, v4, vcc_lo
.LBB1194_158:
	s_wait_alu 0xfffe
	s_and_not1_saveexec_b32 s2, s2
	s_cbranch_execz .LBB1194_160
; %bb.159:
	s_wait_dscnt 0x2
	v_add_co_u32 v3, vcc_lo, v15, v32
	s_wait_alu 0xfffd
	v_add_co_ci_u32_e64 v4, null, 0, v17, vcc_lo
.LBB1194_160:
	s_wait_alu 0xfffe
	s_or_b32 exec_lo, exec_lo, s2
	s_wait_dscnt 0x2
	s_delay_alu instid0(VALU_DEP_1) | instskip(NEXT) | instid1(VALU_DEP_1)
	v_lshlrev_b64_e32 v[3:4], 2, v[3:4]
	v_add_co_u32 v3, vcc_lo, s10, v3
	s_wait_alu 0xfffd
	s_delay_alu instid0(VALU_DEP_2) | instskip(SKIP_3) | instid1(SALU_CYCLE_1)
	v_add_co_ci_u32_e64 v4, null, s11, v4, vcc_lo
	s_wait_dscnt 0x1
	global_store_b32 v[3:4], v1, off
	s_or_b32 exec_lo, exec_lo, s1
	s_mov_b32 s1, exec_lo
	v_cmpx_gt_u32_e64 s23, v31
	s_cbranch_execz .LBB1194_197
	s_branch .LBB1194_192
.LBB1194_161:
	s_wait_alu 0xfffe
	s_or_b32 exec_lo, exec_lo, s1
	s_delay_alu instid0(SALU_CYCLE_1)
	s_mov_b32 s1, exec_lo
	v_cmpx_gt_u32_e64 s23, v41
	s_cbranch_execz .LBB1194_131
.LBB1194_162:
	s_mov_b32 s2, exec_lo
                                        ; implicit-def: $vgpr13_vgpr14
	v_cmpx_ge_u32_e64 v41, v16
	s_wait_alu 0xfffe
	s_xor_b32 s2, exec_lo, s2
	s_cbranch_execz .LBB1194_164
; %bb.163:
	s_wait_dscnt 0x6
	v_xor_b32_e32 v11, 0xfffffeff, v0
                                        ; implicit-def: $vgpr41
	s_delay_alu instid0(VALU_DEP_1) | instskip(SKIP_2) | instid1(VALU_DEP_2)
	v_ashrrev_i32_e32 v14, 31, v11
	v_add_co_u32 v13, vcc_lo, v19, v11
	s_wait_alu 0xfffd
	v_add_co_ci_u32_e64 v14, null, v20, v14, vcc_lo
.LBB1194_164:
	s_wait_alu 0xfffe
	s_and_not1_saveexec_b32 s2, s2
; %bb.165:
	v_add_co_u32 v13, vcc_lo, v15, v41
	s_wait_alu 0xfffd
	v_add_co_ci_u32_e64 v14, null, 0, v17, vcc_lo
; %bb.166:
	s_wait_alu 0xfffe
	s_or_b32 exec_lo, exec_lo, s2
	s_delay_alu instid0(VALU_DEP_1) | instskip(NEXT) | instid1(VALU_DEP_1)
	v_lshlrev_b64_e32 v[13:14], 2, v[13:14]
	v_add_co_u32 v13, vcc_lo, s10, v13
	s_wait_alu 0xfffd
	s_delay_alu instid0(VALU_DEP_2) | instskip(SKIP_3) | instid1(SALU_CYCLE_1)
	v_add_co_ci_u32_e64 v14, null, s11, v14, vcc_lo
	s_wait_dscnt 0x6
	global_store_b32 v[13:14], v12, off
	s_or_b32 exec_lo, exec_lo, s1
	s_mov_b32 s1, exec_lo
	v_cmpx_gt_u32_e64 s23, v40
	s_cbranch_execnz .LBB1194_132
.LBB1194_167:
	s_wait_alu 0xfffe
	s_or_b32 exec_lo, exec_lo, s1
	s_delay_alu instid0(SALU_CYCLE_1)
	s_mov_b32 s1, exec_lo
	v_cmpx_gt_u32_e64 s23, v39
	s_cbranch_execz .LBB1194_137
.LBB1194_168:
	s_mov_b32 s2, exec_lo
                                        ; implicit-def: $vgpr11_vgpr12
	v_cmpx_ge_u32_e64 v39, v16
	s_wait_alu 0xfffe
	s_xor_b32 s2, exec_lo, s2
	s_cbranch_execz .LBB1194_170
; %bb.169:
	s_wait_dscnt 0x5
	v_xor_b32_e32 v9, 0xfffffcff, v0
                                        ; implicit-def: $vgpr39
	s_delay_alu instid0(VALU_DEP_1) | instskip(SKIP_2) | instid1(VALU_DEP_2)
	v_ashrrev_i32_e32 v12, 31, v9
	v_add_co_u32 v11, vcc_lo, v19, v9
	s_wait_alu 0xfffd
	v_add_co_ci_u32_e64 v12, null, v20, v12, vcc_lo
.LBB1194_170:
	s_wait_alu 0xfffe
	s_and_not1_saveexec_b32 s2, s2
	s_cbranch_execz .LBB1194_172
; %bb.171:
	s_wait_dscnt 0x6
	v_add_co_u32 v11, vcc_lo, v15, v39
	s_wait_alu 0xfffd
	v_add_co_ci_u32_e64 v12, null, 0, v17, vcc_lo
.LBB1194_172:
	s_wait_alu 0xfffe
	s_or_b32 exec_lo, exec_lo, s2
	s_wait_dscnt 0x6
	s_delay_alu instid0(VALU_DEP_1) | instskip(NEXT) | instid1(VALU_DEP_1)
	v_lshlrev_b64_e32 v[11:12], 2, v[11:12]
	v_add_co_u32 v11, vcc_lo, s10, v11
	s_wait_alu 0xfffd
	s_delay_alu instid0(VALU_DEP_2) | instskip(SKIP_3) | instid1(SALU_CYCLE_1)
	v_add_co_ci_u32_e64 v12, null, s11, v12, vcc_lo
	s_wait_dscnt 0x5
	global_store_b32 v[11:12], v10, off
	s_or_b32 exec_lo, exec_lo, s1
	s_mov_b32 s1, exec_lo
	v_cmpx_gt_u32_e64 s23, v38
	s_cbranch_execnz .LBB1194_138
.LBB1194_173:
	s_wait_alu 0xfffe
	s_or_b32 exec_lo, exec_lo, s1
	s_delay_alu instid0(SALU_CYCLE_1)
	s_mov_b32 s1, exec_lo
	v_cmpx_gt_u32_e64 s23, v37
	s_cbranch_execz .LBB1194_143
.LBB1194_174:
	s_mov_b32 s2, exec_lo
                                        ; implicit-def: $vgpr9_vgpr10
	v_cmpx_ge_u32_e64 v37, v16
	s_wait_alu 0xfffe
	s_xor_b32 s2, exec_lo, s2
	s_cbranch_execz .LBB1194_176
; %bb.175:
	s_wait_dscnt 0x4
	v_xor_b32_e32 v7, 0xfffffaff, v0
                                        ; implicit-def: $vgpr37
	s_delay_alu instid0(VALU_DEP_1) | instskip(SKIP_2) | instid1(VALU_DEP_2)
	v_ashrrev_i32_e32 v10, 31, v7
	v_add_co_u32 v9, vcc_lo, v19, v7
	s_wait_alu 0xfffd
	v_add_co_ci_u32_e64 v10, null, v20, v10, vcc_lo
.LBB1194_176:
	s_wait_alu 0xfffe
	s_and_not1_saveexec_b32 s2, s2
	s_cbranch_execz .LBB1194_178
; %bb.177:
	s_wait_dscnt 0x5
	v_add_co_u32 v9, vcc_lo, v15, v37
	s_wait_alu 0xfffd
	v_add_co_ci_u32_e64 v10, null, 0, v17, vcc_lo
.LBB1194_178:
	s_wait_alu 0xfffe
	s_or_b32 exec_lo, exec_lo, s2
	s_wait_dscnt 0x5
	s_delay_alu instid0(VALU_DEP_1) | instskip(NEXT) | instid1(VALU_DEP_1)
	v_lshlrev_b64_e32 v[9:10], 2, v[9:10]
	v_add_co_u32 v9, vcc_lo, s10, v9
	s_wait_alu 0xfffd
	s_delay_alu instid0(VALU_DEP_2) | instskip(SKIP_3) | instid1(SALU_CYCLE_1)
	v_add_co_ci_u32_e64 v10, null, s11, v10, vcc_lo
	s_wait_dscnt 0x4
	global_store_b32 v[9:10], v8, off
	s_or_b32 exec_lo, exec_lo, s1
	s_mov_b32 s1, exec_lo
	v_cmpx_gt_u32_e64 s23, v36
	s_cbranch_execnz .LBB1194_144
.LBB1194_179:
	s_wait_alu 0xfffe
	s_or_b32 exec_lo, exec_lo, s1
	s_delay_alu instid0(SALU_CYCLE_1)
	s_mov_b32 s1, exec_lo
	v_cmpx_gt_u32_e64 s23, v35
	s_cbranch_execz .LBB1194_149
.LBB1194_180:
	s_mov_b32 s2, exec_lo
                                        ; implicit-def: $vgpr7_vgpr8
	v_cmpx_ge_u32_e64 v35, v16
	s_wait_alu 0xfffe
	s_xor_b32 s2, exec_lo, s2
	s_cbranch_execz .LBB1194_182
; %bb.181:
	s_wait_dscnt 0x3
	v_xor_b32_e32 v5, 0xfffff8ff, v0
                                        ; implicit-def: $vgpr35
	s_delay_alu instid0(VALU_DEP_1) | instskip(SKIP_2) | instid1(VALU_DEP_2)
	v_ashrrev_i32_e32 v8, 31, v5
	v_add_co_u32 v7, vcc_lo, v19, v5
	s_wait_alu 0xfffd
	v_add_co_ci_u32_e64 v8, null, v20, v8, vcc_lo
.LBB1194_182:
	s_wait_alu 0xfffe
	s_and_not1_saveexec_b32 s2, s2
	s_cbranch_execz .LBB1194_184
; %bb.183:
	s_wait_dscnt 0x4
	v_add_co_u32 v7, vcc_lo, v15, v35
	s_wait_alu 0xfffd
	v_add_co_ci_u32_e64 v8, null, 0, v17, vcc_lo
.LBB1194_184:
	s_wait_alu 0xfffe
	s_or_b32 exec_lo, exec_lo, s2
	s_wait_dscnt 0x4
	s_delay_alu instid0(VALU_DEP_1) | instskip(NEXT) | instid1(VALU_DEP_1)
	v_lshlrev_b64_e32 v[7:8], 2, v[7:8]
	v_add_co_u32 v7, vcc_lo, s10, v7
	s_wait_alu 0xfffd
	s_delay_alu instid0(VALU_DEP_2) | instskip(SKIP_3) | instid1(SALU_CYCLE_1)
	v_add_co_ci_u32_e64 v8, null, s11, v8, vcc_lo
	s_wait_dscnt 0x3
	global_store_b32 v[7:8], v6, off
	s_or_b32 exec_lo, exec_lo, s1
	s_mov_b32 s1, exec_lo
	v_cmpx_gt_u32_e64 s23, v34
	s_cbranch_execnz .LBB1194_150
.LBB1194_185:
	s_wait_alu 0xfffe
	s_or_b32 exec_lo, exec_lo, s1
	s_delay_alu instid0(SALU_CYCLE_1)
	s_mov_b32 s1, exec_lo
	v_cmpx_gt_u32_e64 s23, v33
	s_cbranch_execz .LBB1194_155
.LBB1194_186:
	s_mov_b32 s2, exec_lo
                                        ; implicit-def: $vgpr5_vgpr6
	v_cmpx_ge_u32_e64 v33, v16
	s_wait_alu 0xfffe
	s_xor_b32 s2, exec_lo, s2
	s_cbranch_execz .LBB1194_188
; %bb.187:
	s_wait_dscnt 0x2
	v_xor_b32_e32 v3, 0xfffff6ff, v0
                                        ; implicit-def: $vgpr33
	s_delay_alu instid0(VALU_DEP_1) | instskip(SKIP_2) | instid1(VALU_DEP_2)
	v_ashrrev_i32_e32 v6, 31, v3
	v_add_co_u32 v5, vcc_lo, v19, v3
	s_wait_alu 0xfffd
	v_add_co_ci_u32_e64 v6, null, v20, v6, vcc_lo
.LBB1194_188:
	s_wait_alu 0xfffe
	s_and_not1_saveexec_b32 s2, s2
	s_cbranch_execz .LBB1194_190
; %bb.189:
	s_wait_dscnt 0x3
	v_add_co_u32 v5, vcc_lo, v15, v33
	s_wait_alu 0xfffd
	v_add_co_ci_u32_e64 v6, null, 0, v17, vcc_lo
.LBB1194_190:
	s_wait_alu 0xfffe
	s_or_b32 exec_lo, exec_lo, s2
	s_wait_dscnt 0x3
	s_delay_alu instid0(VALU_DEP_1) | instskip(NEXT) | instid1(VALU_DEP_1)
	v_lshlrev_b64_e32 v[5:6], 2, v[5:6]
	v_add_co_u32 v5, vcc_lo, s10, v5
	s_wait_alu 0xfffd
	s_delay_alu instid0(VALU_DEP_2) | instskip(SKIP_3) | instid1(SALU_CYCLE_1)
	v_add_co_ci_u32_e64 v6, null, s11, v6, vcc_lo
	s_wait_dscnt 0x2
	global_store_b32 v[5:6], v4, off
	s_or_b32 exec_lo, exec_lo, s1
	s_mov_b32 s1, exec_lo
	v_cmpx_gt_u32_e64 s23, v32
	s_cbranch_execnz .LBB1194_156
.LBB1194_191:
	s_wait_alu 0xfffe
	s_or_b32 exec_lo, exec_lo, s1
	s_delay_alu instid0(SALU_CYCLE_1)
	s_mov_b32 s1, exec_lo
	v_cmpx_gt_u32_e64 s23, v31
	s_cbranch_execz .LBB1194_197
.LBB1194_192:
	s_mov_b32 s2, exec_lo
                                        ; implicit-def: $vgpr3_vgpr4
	v_cmpx_ge_u32_e64 v31, v16
	s_wait_alu 0xfffe
	s_xor_b32 s2, exec_lo, s2
	s_cbranch_execz .LBB1194_194
; %bb.193:
	s_wait_dscnt 0x1
	v_xor_b32_e32 v1, 0xfffff4ff, v0
                                        ; implicit-def: $vgpr31
	s_delay_alu instid0(VALU_DEP_1) | instskip(SKIP_2) | instid1(VALU_DEP_2)
	v_ashrrev_i32_e32 v4, 31, v1
	v_add_co_u32 v3, vcc_lo, v19, v1
	s_wait_alu 0xfffd
	v_add_co_ci_u32_e64 v4, null, v20, v4, vcc_lo
.LBB1194_194:
	s_wait_alu 0xfffe
	s_and_not1_saveexec_b32 s2, s2
	s_cbranch_execz .LBB1194_196
; %bb.195:
	s_wait_dscnt 0x2
	v_add_co_u32 v3, vcc_lo, v15, v31
	s_wait_alu 0xfffd
	v_add_co_ci_u32_e64 v4, null, 0, v17, vcc_lo
.LBB1194_196:
	s_wait_alu 0xfffe
	s_or_b32 exec_lo, exec_lo, s2
	s_wait_dscnt 0x2
	s_delay_alu instid0(VALU_DEP_1) | instskip(NEXT) | instid1(VALU_DEP_1)
	v_lshlrev_b64_e32 v[3:4], 2, v[3:4]
	v_add_co_u32 v3, vcc_lo, s10, v3
	s_wait_alu 0xfffd
	s_delay_alu instid0(VALU_DEP_2)
	v_add_co_ci_u32_e64 v4, null, s11, v4, vcc_lo
	s_wait_dscnt 0x1
	global_store_b32 v[3:4], v2, off
.LBB1194_197:
	s_wait_alu 0xfffe
	s_or_b32 exec_lo, exec_lo, s1
	s_delay_alu instid0(SALU_CYCLE_1)
	s_mov_b32 s1, exec_lo
                                        ; implicit-def: $vgpr13_vgpr14
	v_cmpx_gt_u32_e64 s23, v30
	s_cbranch_execz .LBB1194_203
; %bb.198:
	s_mov_b32 s2, exec_lo
                                        ; implicit-def: $vgpr13_vgpr14
	v_cmpx_ge_u32_e64 v30, v16
	s_wait_alu 0xfffe
	s_xor_b32 s2, exec_lo, s2
	s_cbranch_execz .LBB1194_200
; %bb.199:
	s_wait_dscnt 0x1
	v_xor_b32_e32 v1, 0xfffff3ff, v0
                                        ; implicit-def: $vgpr30
	s_delay_alu instid0(VALU_DEP_1) | instskip(SKIP_2) | instid1(VALU_DEP_2)
	v_ashrrev_i32_e32 v2, 31, v1
	v_add_co_u32 v13, vcc_lo, v19, v1
	s_wait_alu 0xfffd
	v_add_co_ci_u32_e64 v14, null, v20, v2, vcc_lo
.LBB1194_200:
	s_wait_alu 0xfffe
	s_and_not1_saveexec_b32 s2, s2
; %bb.201:
	v_add_co_u32 v13, vcc_lo, v15, v30
	s_wait_alu 0xfffd
	v_add_co_ci_u32_e64 v14, null, 0, v17, vcc_lo
; %bb.202:
	s_wait_alu 0xfffe
	s_or_b32 exec_lo, exec_lo, s2
	s_delay_alu instid0(SALU_CYCLE_1)
	s_or_b32 s0, s0, exec_lo
.LBB1194_203:
	s_wait_alu 0xfffe
	s_or_b32 exec_lo, exec_lo, s1
.LBB1194_204:
	s_wait_alu 0xfffe
	s_and_saveexec_b32 s1, s0
	s_cbranch_execz .LBB1194_206
; %bb.205:
	s_wait_dscnt 0x1
	v_lshlrev_b64_e32 v[1:2], 2, v[13:14]
	s_delay_alu instid0(VALU_DEP_1) | instskip(SKIP_1) | instid1(VALU_DEP_2)
	v_add_co_u32 v1, vcc_lo, s10, v1
	s_wait_alu 0xfffd
	v_add_co_ci_u32_e64 v2, null, s11, v2, vcc_lo
	s_wait_dscnt 0x0
	global_store_b32 v[1:2], v18, off
.LBB1194_206:
	s_wait_alu 0xfffe
	s_or_b32 exec_lo, exec_lo, s1
	v_cmp_eq_u32_e32 vcc_lo, 0, v0
	s_and_b32 s0, vcc_lo, s22
	s_wait_alu 0xfffe
	s_and_saveexec_b32 s1, s0
	s_cbranch_execz .LBB1194_208
; %bb.207:
	v_add_co_u32 v0, vcc_lo, v15, v16
	s_wait_dscnt 0x1
	v_mov_b32_e32 v2, 0
	s_wait_alu 0xfffd
	v_add_co_ci_u32_e64 v1, null, 0, v17, vcc_lo
	global_store_b64 v2, v[0:1], s[8:9]
.LBB1194_208:
	s_endpgm
	.section	.rodata,"a",@progbits
	.p2align	6, 0x0
	.amdhsa_kernel _ZN7rocprim17ROCPRIM_400000_NS6detail17trampoline_kernelINS0_13select_configILj256ELj13ELNS0_17block_load_methodE3ELS4_3ELS4_3ELNS0_20block_scan_algorithmE0ELj4294967295EEENS1_25partition_config_selectorILNS1_17partition_subalgoE3EjNS0_10empty_typeEbEEZZNS1_14partition_implILS8_3ELb0ES6_jNS0_17counting_iteratorIjlEEPS9_SE_NS0_5tupleIJPjSE_EEENSF_IJSE_SE_EEES9_SG_JZNS1_25segmented_radix_sort_implINS0_14default_configELb0EPKdPdPKlPlN2at6native12_GLOBAL__N_18offset_tEEE10hipError_tPvRmT1_PNSt15iterator_traitsISY_E10value_typeET2_T3_PNSZ_IS14_E10value_typeET4_jRbjT5_S1A_jjP12ihipStream_tbEUljE_EEESV_SW_SX_S14_S18_S1A_T6_T7_T9_mT8_S1C_bDpT10_ENKUlT_T0_E_clISt17integral_constantIbLb0EES1P_EEDaS1K_S1L_EUlS1K_E_NS1_11comp_targetILNS1_3genE10ELNS1_11target_archE1200ELNS1_3gpuE4ELNS1_3repE0EEENS1_30default_config_static_selectorELNS0_4arch9wavefront6targetE0EEEvSY_
		.amdhsa_group_segment_fixed_size 13320
		.amdhsa_private_segment_fixed_size 0
		.amdhsa_kernarg_size 144
		.amdhsa_user_sgpr_count 2
		.amdhsa_user_sgpr_dispatch_ptr 0
		.amdhsa_user_sgpr_queue_ptr 0
		.amdhsa_user_sgpr_kernarg_segment_ptr 1
		.amdhsa_user_sgpr_dispatch_id 0
		.amdhsa_user_sgpr_private_segment_size 0
		.amdhsa_wavefront_size32 1
		.amdhsa_uses_dynamic_stack 0
		.amdhsa_enable_private_segment 0
		.amdhsa_system_sgpr_workgroup_id_x 1
		.amdhsa_system_sgpr_workgroup_id_y 0
		.amdhsa_system_sgpr_workgroup_id_z 0
		.amdhsa_system_sgpr_workgroup_info 0
		.amdhsa_system_vgpr_workitem_id 0
		.amdhsa_next_free_vgpr 69
		.amdhsa_next_free_sgpr 26
		.amdhsa_reserve_vcc 1
		.amdhsa_float_round_mode_32 0
		.amdhsa_float_round_mode_16_64 0
		.amdhsa_float_denorm_mode_32 3
		.amdhsa_float_denorm_mode_16_64 3
		.amdhsa_fp16_overflow 0
		.amdhsa_workgroup_processor_mode 1
		.amdhsa_memory_ordered 1
		.amdhsa_forward_progress 1
		.amdhsa_inst_pref_size 84
		.amdhsa_round_robin_scheduling 0
		.amdhsa_exception_fp_ieee_invalid_op 0
		.amdhsa_exception_fp_denorm_src 0
		.amdhsa_exception_fp_ieee_div_zero 0
		.amdhsa_exception_fp_ieee_overflow 0
		.amdhsa_exception_fp_ieee_underflow 0
		.amdhsa_exception_fp_ieee_inexact 0
		.amdhsa_exception_int_div_zero 0
	.end_amdhsa_kernel
	.section	.text._ZN7rocprim17ROCPRIM_400000_NS6detail17trampoline_kernelINS0_13select_configILj256ELj13ELNS0_17block_load_methodE3ELS4_3ELS4_3ELNS0_20block_scan_algorithmE0ELj4294967295EEENS1_25partition_config_selectorILNS1_17partition_subalgoE3EjNS0_10empty_typeEbEEZZNS1_14partition_implILS8_3ELb0ES6_jNS0_17counting_iteratorIjlEEPS9_SE_NS0_5tupleIJPjSE_EEENSF_IJSE_SE_EEES9_SG_JZNS1_25segmented_radix_sort_implINS0_14default_configELb0EPKdPdPKlPlN2at6native12_GLOBAL__N_18offset_tEEE10hipError_tPvRmT1_PNSt15iterator_traitsISY_E10value_typeET2_T3_PNSZ_IS14_E10value_typeET4_jRbjT5_S1A_jjP12ihipStream_tbEUljE_EEESV_SW_SX_S14_S18_S1A_T6_T7_T9_mT8_S1C_bDpT10_ENKUlT_T0_E_clISt17integral_constantIbLb0EES1P_EEDaS1K_S1L_EUlS1K_E_NS1_11comp_targetILNS1_3genE10ELNS1_11target_archE1200ELNS1_3gpuE4ELNS1_3repE0EEENS1_30default_config_static_selectorELNS0_4arch9wavefront6targetE0EEEvSY_,"axG",@progbits,_ZN7rocprim17ROCPRIM_400000_NS6detail17trampoline_kernelINS0_13select_configILj256ELj13ELNS0_17block_load_methodE3ELS4_3ELS4_3ELNS0_20block_scan_algorithmE0ELj4294967295EEENS1_25partition_config_selectorILNS1_17partition_subalgoE3EjNS0_10empty_typeEbEEZZNS1_14partition_implILS8_3ELb0ES6_jNS0_17counting_iteratorIjlEEPS9_SE_NS0_5tupleIJPjSE_EEENSF_IJSE_SE_EEES9_SG_JZNS1_25segmented_radix_sort_implINS0_14default_configELb0EPKdPdPKlPlN2at6native12_GLOBAL__N_18offset_tEEE10hipError_tPvRmT1_PNSt15iterator_traitsISY_E10value_typeET2_T3_PNSZ_IS14_E10value_typeET4_jRbjT5_S1A_jjP12ihipStream_tbEUljE_EEESV_SW_SX_S14_S18_S1A_T6_T7_T9_mT8_S1C_bDpT10_ENKUlT_T0_E_clISt17integral_constantIbLb0EES1P_EEDaS1K_S1L_EUlS1K_E_NS1_11comp_targetILNS1_3genE10ELNS1_11target_archE1200ELNS1_3gpuE4ELNS1_3repE0EEENS1_30default_config_static_selectorELNS0_4arch9wavefront6targetE0EEEvSY_,comdat
.Lfunc_end1194:
	.size	_ZN7rocprim17ROCPRIM_400000_NS6detail17trampoline_kernelINS0_13select_configILj256ELj13ELNS0_17block_load_methodE3ELS4_3ELS4_3ELNS0_20block_scan_algorithmE0ELj4294967295EEENS1_25partition_config_selectorILNS1_17partition_subalgoE3EjNS0_10empty_typeEbEEZZNS1_14partition_implILS8_3ELb0ES6_jNS0_17counting_iteratorIjlEEPS9_SE_NS0_5tupleIJPjSE_EEENSF_IJSE_SE_EEES9_SG_JZNS1_25segmented_radix_sort_implINS0_14default_configELb0EPKdPdPKlPlN2at6native12_GLOBAL__N_18offset_tEEE10hipError_tPvRmT1_PNSt15iterator_traitsISY_E10value_typeET2_T3_PNSZ_IS14_E10value_typeET4_jRbjT5_S1A_jjP12ihipStream_tbEUljE_EEESV_SW_SX_S14_S18_S1A_T6_T7_T9_mT8_S1C_bDpT10_ENKUlT_T0_E_clISt17integral_constantIbLb0EES1P_EEDaS1K_S1L_EUlS1K_E_NS1_11comp_targetILNS1_3genE10ELNS1_11target_archE1200ELNS1_3gpuE4ELNS1_3repE0EEENS1_30default_config_static_selectorELNS0_4arch9wavefront6targetE0EEEvSY_, .Lfunc_end1194-_ZN7rocprim17ROCPRIM_400000_NS6detail17trampoline_kernelINS0_13select_configILj256ELj13ELNS0_17block_load_methodE3ELS4_3ELS4_3ELNS0_20block_scan_algorithmE0ELj4294967295EEENS1_25partition_config_selectorILNS1_17partition_subalgoE3EjNS0_10empty_typeEbEEZZNS1_14partition_implILS8_3ELb0ES6_jNS0_17counting_iteratorIjlEEPS9_SE_NS0_5tupleIJPjSE_EEENSF_IJSE_SE_EEES9_SG_JZNS1_25segmented_radix_sort_implINS0_14default_configELb0EPKdPdPKlPlN2at6native12_GLOBAL__N_18offset_tEEE10hipError_tPvRmT1_PNSt15iterator_traitsISY_E10value_typeET2_T3_PNSZ_IS14_E10value_typeET4_jRbjT5_S1A_jjP12ihipStream_tbEUljE_EEESV_SW_SX_S14_S18_S1A_T6_T7_T9_mT8_S1C_bDpT10_ENKUlT_T0_E_clISt17integral_constantIbLb0EES1P_EEDaS1K_S1L_EUlS1K_E_NS1_11comp_targetILNS1_3genE10ELNS1_11target_archE1200ELNS1_3gpuE4ELNS1_3repE0EEENS1_30default_config_static_selectorELNS0_4arch9wavefront6targetE0EEEvSY_
                                        ; -- End function
	.set _ZN7rocprim17ROCPRIM_400000_NS6detail17trampoline_kernelINS0_13select_configILj256ELj13ELNS0_17block_load_methodE3ELS4_3ELS4_3ELNS0_20block_scan_algorithmE0ELj4294967295EEENS1_25partition_config_selectorILNS1_17partition_subalgoE3EjNS0_10empty_typeEbEEZZNS1_14partition_implILS8_3ELb0ES6_jNS0_17counting_iteratorIjlEEPS9_SE_NS0_5tupleIJPjSE_EEENSF_IJSE_SE_EEES9_SG_JZNS1_25segmented_radix_sort_implINS0_14default_configELb0EPKdPdPKlPlN2at6native12_GLOBAL__N_18offset_tEEE10hipError_tPvRmT1_PNSt15iterator_traitsISY_E10value_typeET2_T3_PNSZ_IS14_E10value_typeET4_jRbjT5_S1A_jjP12ihipStream_tbEUljE_EEESV_SW_SX_S14_S18_S1A_T6_T7_T9_mT8_S1C_bDpT10_ENKUlT_T0_E_clISt17integral_constantIbLb0EES1P_EEDaS1K_S1L_EUlS1K_E_NS1_11comp_targetILNS1_3genE10ELNS1_11target_archE1200ELNS1_3gpuE4ELNS1_3repE0EEENS1_30default_config_static_selectorELNS0_4arch9wavefront6targetE0EEEvSY_.num_vgpr, 69
	.set _ZN7rocprim17ROCPRIM_400000_NS6detail17trampoline_kernelINS0_13select_configILj256ELj13ELNS0_17block_load_methodE3ELS4_3ELS4_3ELNS0_20block_scan_algorithmE0ELj4294967295EEENS1_25partition_config_selectorILNS1_17partition_subalgoE3EjNS0_10empty_typeEbEEZZNS1_14partition_implILS8_3ELb0ES6_jNS0_17counting_iteratorIjlEEPS9_SE_NS0_5tupleIJPjSE_EEENSF_IJSE_SE_EEES9_SG_JZNS1_25segmented_radix_sort_implINS0_14default_configELb0EPKdPdPKlPlN2at6native12_GLOBAL__N_18offset_tEEE10hipError_tPvRmT1_PNSt15iterator_traitsISY_E10value_typeET2_T3_PNSZ_IS14_E10value_typeET4_jRbjT5_S1A_jjP12ihipStream_tbEUljE_EEESV_SW_SX_S14_S18_S1A_T6_T7_T9_mT8_S1C_bDpT10_ENKUlT_T0_E_clISt17integral_constantIbLb0EES1P_EEDaS1K_S1L_EUlS1K_E_NS1_11comp_targetILNS1_3genE10ELNS1_11target_archE1200ELNS1_3gpuE4ELNS1_3repE0EEENS1_30default_config_static_selectorELNS0_4arch9wavefront6targetE0EEEvSY_.num_agpr, 0
	.set _ZN7rocprim17ROCPRIM_400000_NS6detail17trampoline_kernelINS0_13select_configILj256ELj13ELNS0_17block_load_methodE3ELS4_3ELS4_3ELNS0_20block_scan_algorithmE0ELj4294967295EEENS1_25partition_config_selectorILNS1_17partition_subalgoE3EjNS0_10empty_typeEbEEZZNS1_14partition_implILS8_3ELb0ES6_jNS0_17counting_iteratorIjlEEPS9_SE_NS0_5tupleIJPjSE_EEENSF_IJSE_SE_EEES9_SG_JZNS1_25segmented_radix_sort_implINS0_14default_configELb0EPKdPdPKlPlN2at6native12_GLOBAL__N_18offset_tEEE10hipError_tPvRmT1_PNSt15iterator_traitsISY_E10value_typeET2_T3_PNSZ_IS14_E10value_typeET4_jRbjT5_S1A_jjP12ihipStream_tbEUljE_EEESV_SW_SX_S14_S18_S1A_T6_T7_T9_mT8_S1C_bDpT10_ENKUlT_T0_E_clISt17integral_constantIbLb0EES1P_EEDaS1K_S1L_EUlS1K_E_NS1_11comp_targetILNS1_3genE10ELNS1_11target_archE1200ELNS1_3gpuE4ELNS1_3repE0EEENS1_30default_config_static_selectorELNS0_4arch9wavefront6targetE0EEEvSY_.numbered_sgpr, 26
	.set _ZN7rocprim17ROCPRIM_400000_NS6detail17trampoline_kernelINS0_13select_configILj256ELj13ELNS0_17block_load_methodE3ELS4_3ELS4_3ELNS0_20block_scan_algorithmE0ELj4294967295EEENS1_25partition_config_selectorILNS1_17partition_subalgoE3EjNS0_10empty_typeEbEEZZNS1_14partition_implILS8_3ELb0ES6_jNS0_17counting_iteratorIjlEEPS9_SE_NS0_5tupleIJPjSE_EEENSF_IJSE_SE_EEES9_SG_JZNS1_25segmented_radix_sort_implINS0_14default_configELb0EPKdPdPKlPlN2at6native12_GLOBAL__N_18offset_tEEE10hipError_tPvRmT1_PNSt15iterator_traitsISY_E10value_typeET2_T3_PNSZ_IS14_E10value_typeET4_jRbjT5_S1A_jjP12ihipStream_tbEUljE_EEESV_SW_SX_S14_S18_S1A_T6_T7_T9_mT8_S1C_bDpT10_ENKUlT_T0_E_clISt17integral_constantIbLb0EES1P_EEDaS1K_S1L_EUlS1K_E_NS1_11comp_targetILNS1_3genE10ELNS1_11target_archE1200ELNS1_3gpuE4ELNS1_3repE0EEENS1_30default_config_static_selectorELNS0_4arch9wavefront6targetE0EEEvSY_.num_named_barrier, 0
	.set _ZN7rocprim17ROCPRIM_400000_NS6detail17trampoline_kernelINS0_13select_configILj256ELj13ELNS0_17block_load_methodE3ELS4_3ELS4_3ELNS0_20block_scan_algorithmE0ELj4294967295EEENS1_25partition_config_selectorILNS1_17partition_subalgoE3EjNS0_10empty_typeEbEEZZNS1_14partition_implILS8_3ELb0ES6_jNS0_17counting_iteratorIjlEEPS9_SE_NS0_5tupleIJPjSE_EEENSF_IJSE_SE_EEES9_SG_JZNS1_25segmented_radix_sort_implINS0_14default_configELb0EPKdPdPKlPlN2at6native12_GLOBAL__N_18offset_tEEE10hipError_tPvRmT1_PNSt15iterator_traitsISY_E10value_typeET2_T3_PNSZ_IS14_E10value_typeET4_jRbjT5_S1A_jjP12ihipStream_tbEUljE_EEESV_SW_SX_S14_S18_S1A_T6_T7_T9_mT8_S1C_bDpT10_ENKUlT_T0_E_clISt17integral_constantIbLb0EES1P_EEDaS1K_S1L_EUlS1K_E_NS1_11comp_targetILNS1_3genE10ELNS1_11target_archE1200ELNS1_3gpuE4ELNS1_3repE0EEENS1_30default_config_static_selectorELNS0_4arch9wavefront6targetE0EEEvSY_.private_seg_size, 0
	.set _ZN7rocprim17ROCPRIM_400000_NS6detail17trampoline_kernelINS0_13select_configILj256ELj13ELNS0_17block_load_methodE3ELS4_3ELS4_3ELNS0_20block_scan_algorithmE0ELj4294967295EEENS1_25partition_config_selectorILNS1_17partition_subalgoE3EjNS0_10empty_typeEbEEZZNS1_14partition_implILS8_3ELb0ES6_jNS0_17counting_iteratorIjlEEPS9_SE_NS0_5tupleIJPjSE_EEENSF_IJSE_SE_EEES9_SG_JZNS1_25segmented_radix_sort_implINS0_14default_configELb0EPKdPdPKlPlN2at6native12_GLOBAL__N_18offset_tEEE10hipError_tPvRmT1_PNSt15iterator_traitsISY_E10value_typeET2_T3_PNSZ_IS14_E10value_typeET4_jRbjT5_S1A_jjP12ihipStream_tbEUljE_EEESV_SW_SX_S14_S18_S1A_T6_T7_T9_mT8_S1C_bDpT10_ENKUlT_T0_E_clISt17integral_constantIbLb0EES1P_EEDaS1K_S1L_EUlS1K_E_NS1_11comp_targetILNS1_3genE10ELNS1_11target_archE1200ELNS1_3gpuE4ELNS1_3repE0EEENS1_30default_config_static_selectorELNS0_4arch9wavefront6targetE0EEEvSY_.uses_vcc, 1
	.set _ZN7rocprim17ROCPRIM_400000_NS6detail17trampoline_kernelINS0_13select_configILj256ELj13ELNS0_17block_load_methodE3ELS4_3ELS4_3ELNS0_20block_scan_algorithmE0ELj4294967295EEENS1_25partition_config_selectorILNS1_17partition_subalgoE3EjNS0_10empty_typeEbEEZZNS1_14partition_implILS8_3ELb0ES6_jNS0_17counting_iteratorIjlEEPS9_SE_NS0_5tupleIJPjSE_EEENSF_IJSE_SE_EEES9_SG_JZNS1_25segmented_radix_sort_implINS0_14default_configELb0EPKdPdPKlPlN2at6native12_GLOBAL__N_18offset_tEEE10hipError_tPvRmT1_PNSt15iterator_traitsISY_E10value_typeET2_T3_PNSZ_IS14_E10value_typeET4_jRbjT5_S1A_jjP12ihipStream_tbEUljE_EEESV_SW_SX_S14_S18_S1A_T6_T7_T9_mT8_S1C_bDpT10_ENKUlT_T0_E_clISt17integral_constantIbLb0EES1P_EEDaS1K_S1L_EUlS1K_E_NS1_11comp_targetILNS1_3genE10ELNS1_11target_archE1200ELNS1_3gpuE4ELNS1_3repE0EEENS1_30default_config_static_selectorELNS0_4arch9wavefront6targetE0EEEvSY_.uses_flat_scratch, 0
	.set _ZN7rocprim17ROCPRIM_400000_NS6detail17trampoline_kernelINS0_13select_configILj256ELj13ELNS0_17block_load_methodE3ELS4_3ELS4_3ELNS0_20block_scan_algorithmE0ELj4294967295EEENS1_25partition_config_selectorILNS1_17partition_subalgoE3EjNS0_10empty_typeEbEEZZNS1_14partition_implILS8_3ELb0ES6_jNS0_17counting_iteratorIjlEEPS9_SE_NS0_5tupleIJPjSE_EEENSF_IJSE_SE_EEES9_SG_JZNS1_25segmented_radix_sort_implINS0_14default_configELb0EPKdPdPKlPlN2at6native12_GLOBAL__N_18offset_tEEE10hipError_tPvRmT1_PNSt15iterator_traitsISY_E10value_typeET2_T3_PNSZ_IS14_E10value_typeET4_jRbjT5_S1A_jjP12ihipStream_tbEUljE_EEESV_SW_SX_S14_S18_S1A_T6_T7_T9_mT8_S1C_bDpT10_ENKUlT_T0_E_clISt17integral_constantIbLb0EES1P_EEDaS1K_S1L_EUlS1K_E_NS1_11comp_targetILNS1_3genE10ELNS1_11target_archE1200ELNS1_3gpuE4ELNS1_3repE0EEENS1_30default_config_static_selectorELNS0_4arch9wavefront6targetE0EEEvSY_.has_dyn_sized_stack, 0
	.set _ZN7rocprim17ROCPRIM_400000_NS6detail17trampoline_kernelINS0_13select_configILj256ELj13ELNS0_17block_load_methodE3ELS4_3ELS4_3ELNS0_20block_scan_algorithmE0ELj4294967295EEENS1_25partition_config_selectorILNS1_17partition_subalgoE3EjNS0_10empty_typeEbEEZZNS1_14partition_implILS8_3ELb0ES6_jNS0_17counting_iteratorIjlEEPS9_SE_NS0_5tupleIJPjSE_EEENSF_IJSE_SE_EEES9_SG_JZNS1_25segmented_radix_sort_implINS0_14default_configELb0EPKdPdPKlPlN2at6native12_GLOBAL__N_18offset_tEEE10hipError_tPvRmT1_PNSt15iterator_traitsISY_E10value_typeET2_T3_PNSZ_IS14_E10value_typeET4_jRbjT5_S1A_jjP12ihipStream_tbEUljE_EEESV_SW_SX_S14_S18_S1A_T6_T7_T9_mT8_S1C_bDpT10_ENKUlT_T0_E_clISt17integral_constantIbLb0EES1P_EEDaS1K_S1L_EUlS1K_E_NS1_11comp_targetILNS1_3genE10ELNS1_11target_archE1200ELNS1_3gpuE4ELNS1_3repE0EEENS1_30default_config_static_selectorELNS0_4arch9wavefront6targetE0EEEvSY_.has_recursion, 0
	.set _ZN7rocprim17ROCPRIM_400000_NS6detail17trampoline_kernelINS0_13select_configILj256ELj13ELNS0_17block_load_methodE3ELS4_3ELS4_3ELNS0_20block_scan_algorithmE0ELj4294967295EEENS1_25partition_config_selectorILNS1_17partition_subalgoE3EjNS0_10empty_typeEbEEZZNS1_14partition_implILS8_3ELb0ES6_jNS0_17counting_iteratorIjlEEPS9_SE_NS0_5tupleIJPjSE_EEENSF_IJSE_SE_EEES9_SG_JZNS1_25segmented_radix_sort_implINS0_14default_configELb0EPKdPdPKlPlN2at6native12_GLOBAL__N_18offset_tEEE10hipError_tPvRmT1_PNSt15iterator_traitsISY_E10value_typeET2_T3_PNSZ_IS14_E10value_typeET4_jRbjT5_S1A_jjP12ihipStream_tbEUljE_EEESV_SW_SX_S14_S18_S1A_T6_T7_T9_mT8_S1C_bDpT10_ENKUlT_T0_E_clISt17integral_constantIbLb0EES1P_EEDaS1K_S1L_EUlS1K_E_NS1_11comp_targetILNS1_3genE10ELNS1_11target_archE1200ELNS1_3gpuE4ELNS1_3repE0EEENS1_30default_config_static_selectorELNS0_4arch9wavefront6targetE0EEEvSY_.has_indirect_call, 0
	.section	.AMDGPU.csdata,"",@progbits
; Kernel info:
; codeLenInByte = 10676
; TotalNumSgprs: 28
; NumVgprs: 69
; ScratchSize: 0
; MemoryBound: 0
; FloatMode: 240
; IeeeMode: 1
; LDSByteSize: 13320 bytes/workgroup (compile time only)
; SGPRBlocks: 0
; VGPRBlocks: 8
; NumSGPRsForWavesPerEU: 28
; NumVGPRsForWavesPerEU: 69
; Occupancy: 16
; WaveLimiterHint : 0
; COMPUTE_PGM_RSRC2:SCRATCH_EN: 0
; COMPUTE_PGM_RSRC2:USER_SGPR: 2
; COMPUTE_PGM_RSRC2:TRAP_HANDLER: 0
; COMPUTE_PGM_RSRC2:TGID_X_EN: 1
; COMPUTE_PGM_RSRC2:TGID_Y_EN: 0
; COMPUTE_PGM_RSRC2:TGID_Z_EN: 0
; COMPUTE_PGM_RSRC2:TIDIG_COMP_CNT: 0
	.section	.text._ZN7rocprim17ROCPRIM_400000_NS6detail17trampoline_kernelINS0_13select_configILj256ELj13ELNS0_17block_load_methodE3ELS4_3ELS4_3ELNS0_20block_scan_algorithmE0ELj4294967295EEENS1_25partition_config_selectorILNS1_17partition_subalgoE3EjNS0_10empty_typeEbEEZZNS1_14partition_implILS8_3ELb0ES6_jNS0_17counting_iteratorIjlEEPS9_SE_NS0_5tupleIJPjSE_EEENSF_IJSE_SE_EEES9_SG_JZNS1_25segmented_radix_sort_implINS0_14default_configELb0EPKdPdPKlPlN2at6native12_GLOBAL__N_18offset_tEEE10hipError_tPvRmT1_PNSt15iterator_traitsISY_E10value_typeET2_T3_PNSZ_IS14_E10value_typeET4_jRbjT5_S1A_jjP12ihipStream_tbEUljE_EEESV_SW_SX_S14_S18_S1A_T6_T7_T9_mT8_S1C_bDpT10_ENKUlT_T0_E_clISt17integral_constantIbLb0EES1P_EEDaS1K_S1L_EUlS1K_E_NS1_11comp_targetILNS1_3genE9ELNS1_11target_archE1100ELNS1_3gpuE3ELNS1_3repE0EEENS1_30default_config_static_selectorELNS0_4arch9wavefront6targetE0EEEvSY_,"axG",@progbits,_ZN7rocprim17ROCPRIM_400000_NS6detail17trampoline_kernelINS0_13select_configILj256ELj13ELNS0_17block_load_methodE3ELS4_3ELS4_3ELNS0_20block_scan_algorithmE0ELj4294967295EEENS1_25partition_config_selectorILNS1_17partition_subalgoE3EjNS0_10empty_typeEbEEZZNS1_14partition_implILS8_3ELb0ES6_jNS0_17counting_iteratorIjlEEPS9_SE_NS0_5tupleIJPjSE_EEENSF_IJSE_SE_EEES9_SG_JZNS1_25segmented_radix_sort_implINS0_14default_configELb0EPKdPdPKlPlN2at6native12_GLOBAL__N_18offset_tEEE10hipError_tPvRmT1_PNSt15iterator_traitsISY_E10value_typeET2_T3_PNSZ_IS14_E10value_typeET4_jRbjT5_S1A_jjP12ihipStream_tbEUljE_EEESV_SW_SX_S14_S18_S1A_T6_T7_T9_mT8_S1C_bDpT10_ENKUlT_T0_E_clISt17integral_constantIbLb0EES1P_EEDaS1K_S1L_EUlS1K_E_NS1_11comp_targetILNS1_3genE9ELNS1_11target_archE1100ELNS1_3gpuE3ELNS1_3repE0EEENS1_30default_config_static_selectorELNS0_4arch9wavefront6targetE0EEEvSY_,comdat
	.globl	_ZN7rocprim17ROCPRIM_400000_NS6detail17trampoline_kernelINS0_13select_configILj256ELj13ELNS0_17block_load_methodE3ELS4_3ELS4_3ELNS0_20block_scan_algorithmE0ELj4294967295EEENS1_25partition_config_selectorILNS1_17partition_subalgoE3EjNS0_10empty_typeEbEEZZNS1_14partition_implILS8_3ELb0ES6_jNS0_17counting_iteratorIjlEEPS9_SE_NS0_5tupleIJPjSE_EEENSF_IJSE_SE_EEES9_SG_JZNS1_25segmented_radix_sort_implINS0_14default_configELb0EPKdPdPKlPlN2at6native12_GLOBAL__N_18offset_tEEE10hipError_tPvRmT1_PNSt15iterator_traitsISY_E10value_typeET2_T3_PNSZ_IS14_E10value_typeET4_jRbjT5_S1A_jjP12ihipStream_tbEUljE_EEESV_SW_SX_S14_S18_S1A_T6_T7_T9_mT8_S1C_bDpT10_ENKUlT_T0_E_clISt17integral_constantIbLb0EES1P_EEDaS1K_S1L_EUlS1K_E_NS1_11comp_targetILNS1_3genE9ELNS1_11target_archE1100ELNS1_3gpuE3ELNS1_3repE0EEENS1_30default_config_static_selectorELNS0_4arch9wavefront6targetE0EEEvSY_ ; -- Begin function _ZN7rocprim17ROCPRIM_400000_NS6detail17trampoline_kernelINS0_13select_configILj256ELj13ELNS0_17block_load_methodE3ELS4_3ELS4_3ELNS0_20block_scan_algorithmE0ELj4294967295EEENS1_25partition_config_selectorILNS1_17partition_subalgoE3EjNS0_10empty_typeEbEEZZNS1_14partition_implILS8_3ELb0ES6_jNS0_17counting_iteratorIjlEEPS9_SE_NS0_5tupleIJPjSE_EEENSF_IJSE_SE_EEES9_SG_JZNS1_25segmented_radix_sort_implINS0_14default_configELb0EPKdPdPKlPlN2at6native12_GLOBAL__N_18offset_tEEE10hipError_tPvRmT1_PNSt15iterator_traitsISY_E10value_typeET2_T3_PNSZ_IS14_E10value_typeET4_jRbjT5_S1A_jjP12ihipStream_tbEUljE_EEESV_SW_SX_S14_S18_S1A_T6_T7_T9_mT8_S1C_bDpT10_ENKUlT_T0_E_clISt17integral_constantIbLb0EES1P_EEDaS1K_S1L_EUlS1K_E_NS1_11comp_targetILNS1_3genE9ELNS1_11target_archE1100ELNS1_3gpuE3ELNS1_3repE0EEENS1_30default_config_static_selectorELNS0_4arch9wavefront6targetE0EEEvSY_
	.p2align	8
	.type	_ZN7rocprim17ROCPRIM_400000_NS6detail17trampoline_kernelINS0_13select_configILj256ELj13ELNS0_17block_load_methodE3ELS4_3ELS4_3ELNS0_20block_scan_algorithmE0ELj4294967295EEENS1_25partition_config_selectorILNS1_17partition_subalgoE3EjNS0_10empty_typeEbEEZZNS1_14partition_implILS8_3ELb0ES6_jNS0_17counting_iteratorIjlEEPS9_SE_NS0_5tupleIJPjSE_EEENSF_IJSE_SE_EEES9_SG_JZNS1_25segmented_radix_sort_implINS0_14default_configELb0EPKdPdPKlPlN2at6native12_GLOBAL__N_18offset_tEEE10hipError_tPvRmT1_PNSt15iterator_traitsISY_E10value_typeET2_T3_PNSZ_IS14_E10value_typeET4_jRbjT5_S1A_jjP12ihipStream_tbEUljE_EEESV_SW_SX_S14_S18_S1A_T6_T7_T9_mT8_S1C_bDpT10_ENKUlT_T0_E_clISt17integral_constantIbLb0EES1P_EEDaS1K_S1L_EUlS1K_E_NS1_11comp_targetILNS1_3genE9ELNS1_11target_archE1100ELNS1_3gpuE3ELNS1_3repE0EEENS1_30default_config_static_selectorELNS0_4arch9wavefront6targetE0EEEvSY_,@function
_ZN7rocprim17ROCPRIM_400000_NS6detail17trampoline_kernelINS0_13select_configILj256ELj13ELNS0_17block_load_methodE3ELS4_3ELS4_3ELNS0_20block_scan_algorithmE0ELj4294967295EEENS1_25partition_config_selectorILNS1_17partition_subalgoE3EjNS0_10empty_typeEbEEZZNS1_14partition_implILS8_3ELb0ES6_jNS0_17counting_iteratorIjlEEPS9_SE_NS0_5tupleIJPjSE_EEENSF_IJSE_SE_EEES9_SG_JZNS1_25segmented_radix_sort_implINS0_14default_configELb0EPKdPdPKlPlN2at6native12_GLOBAL__N_18offset_tEEE10hipError_tPvRmT1_PNSt15iterator_traitsISY_E10value_typeET2_T3_PNSZ_IS14_E10value_typeET4_jRbjT5_S1A_jjP12ihipStream_tbEUljE_EEESV_SW_SX_S14_S18_S1A_T6_T7_T9_mT8_S1C_bDpT10_ENKUlT_T0_E_clISt17integral_constantIbLb0EES1P_EEDaS1K_S1L_EUlS1K_E_NS1_11comp_targetILNS1_3genE9ELNS1_11target_archE1100ELNS1_3gpuE3ELNS1_3repE0EEENS1_30default_config_static_selectorELNS0_4arch9wavefront6targetE0EEEvSY_: ; @_ZN7rocprim17ROCPRIM_400000_NS6detail17trampoline_kernelINS0_13select_configILj256ELj13ELNS0_17block_load_methodE3ELS4_3ELS4_3ELNS0_20block_scan_algorithmE0ELj4294967295EEENS1_25partition_config_selectorILNS1_17partition_subalgoE3EjNS0_10empty_typeEbEEZZNS1_14partition_implILS8_3ELb0ES6_jNS0_17counting_iteratorIjlEEPS9_SE_NS0_5tupleIJPjSE_EEENSF_IJSE_SE_EEES9_SG_JZNS1_25segmented_radix_sort_implINS0_14default_configELb0EPKdPdPKlPlN2at6native12_GLOBAL__N_18offset_tEEE10hipError_tPvRmT1_PNSt15iterator_traitsISY_E10value_typeET2_T3_PNSZ_IS14_E10value_typeET4_jRbjT5_S1A_jjP12ihipStream_tbEUljE_EEESV_SW_SX_S14_S18_S1A_T6_T7_T9_mT8_S1C_bDpT10_ENKUlT_T0_E_clISt17integral_constantIbLb0EES1P_EEDaS1K_S1L_EUlS1K_E_NS1_11comp_targetILNS1_3genE9ELNS1_11target_archE1100ELNS1_3gpuE3ELNS1_3repE0EEENS1_30default_config_static_selectorELNS0_4arch9wavefront6targetE0EEEvSY_
; %bb.0:
	.section	.rodata,"a",@progbits
	.p2align	6, 0x0
	.amdhsa_kernel _ZN7rocprim17ROCPRIM_400000_NS6detail17trampoline_kernelINS0_13select_configILj256ELj13ELNS0_17block_load_methodE3ELS4_3ELS4_3ELNS0_20block_scan_algorithmE0ELj4294967295EEENS1_25partition_config_selectorILNS1_17partition_subalgoE3EjNS0_10empty_typeEbEEZZNS1_14partition_implILS8_3ELb0ES6_jNS0_17counting_iteratorIjlEEPS9_SE_NS0_5tupleIJPjSE_EEENSF_IJSE_SE_EEES9_SG_JZNS1_25segmented_radix_sort_implINS0_14default_configELb0EPKdPdPKlPlN2at6native12_GLOBAL__N_18offset_tEEE10hipError_tPvRmT1_PNSt15iterator_traitsISY_E10value_typeET2_T3_PNSZ_IS14_E10value_typeET4_jRbjT5_S1A_jjP12ihipStream_tbEUljE_EEESV_SW_SX_S14_S18_S1A_T6_T7_T9_mT8_S1C_bDpT10_ENKUlT_T0_E_clISt17integral_constantIbLb0EES1P_EEDaS1K_S1L_EUlS1K_E_NS1_11comp_targetILNS1_3genE9ELNS1_11target_archE1100ELNS1_3gpuE3ELNS1_3repE0EEENS1_30default_config_static_selectorELNS0_4arch9wavefront6targetE0EEEvSY_
		.amdhsa_group_segment_fixed_size 0
		.amdhsa_private_segment_fixed_size 0
		.amdhsa_kernarg_size 144
		.amdhsa_user_sgpr_count 2
		.amdhsa_user_sgpr_dispatch_ptr 0
		.amdhsa_user_sgpr_queue_ptr 0
		.amdhsa_user_sgpr_kernarg_segment_ptr 1
		.amdhsa_user_sgpr_dispatch_id 0
		.amdhsa_user_sgpr_private_segment_size 0
		.amdhsa_wavefront_size32 1
		.amdhsa_uses_dynamic_stack 0
		.amdhsa_enable_private_segment 0
		.amdhsa_system_sgpr_workgroup_id_x 1
		.amdhsa_system_sgpr_workgroup_id_y 0
		.amdhsa_system_sgpr_workgroup_id_z 0
		.amdhsa_system_sgpr_workgroup_info 0
		.amdhsa_system_vgpr_workitem_id 0
		.amdhsa_next_free_vgpr 1
		.amdhsa_next_free_sgpr 1
		.amdhsa_reserve_vcc 0
		.amdhsa_float_round_mode_32 0
		.amdhsa_float_round_mode_16_64 0
		.amdhsa_float_denorm_mode_32 3
		.amdhsa_float_denorm_mode_16_64 3
		.amdhsa_fp16_overflow 0
		.amdhsa_workgroup_processor_mode 1
		.amdhsa_memory_ordered 1
		.amdhsa_forward_progress 1
		.amdhsa_inst_pref_size 0
		.amdhsa_round_robin_scheduling 0
		.amdhsa_exception_fp_ieee_invalid_op 0
		.amdhsa_exception_fp_denorm_src 0
		.amdhsa_exception_fp_ieee_div_zero 0
		.amdhsa_exception_fp_ieee_overflow 0
		.amdhsa_exception_fp_ieee_underflow 0
		.amdhsa_exception_fp_ieee_inexact 0
		.amdhsa_exception_int_div_zero 0
	.end_amdhsa_kernel
	.section	.text._ZN7rocprim17ROCPRIM_400000_NS6detail17trampoline_kernelINS0_13select_configILj256ELj13ELNS0_17block_load_methodE3ELS4_3ELS4_3ELNS0_20block_scan_algorithmE0ELj4294967295EEENS1_25partition_config_selectorILNS1_17partition_subalgoE3EjNS0_10empty_typeEbEEZZNS1_14partition_implILS8_3ELb0ES6_jNS0_17counting_iteratorIjlEEPS9_SE_NS0_5tupleIJPjSE_EEENSF_IJSE_SE_EEES9_SG_JZNS1_25segmented_radix_sort_implINS0_14default_configELb0EPKdPdPKlPlN2at6native12_GLOBAL__N_18offset_tEEE10hipError_tPvRmT1_PNSt15iterator_traitsISY_E10value_typeET2_T3_PNSZ_IS14_E10value_typeET4_jRbjT5_S1A_jjP12ihipStream_tbEUljE_EEESV_SW_SX_S14_S18_S1A_T6_T7_T9_mT8_S1C_bDpT10_ENKUlT_T0_E_clISt17integral_constantIbLb0EES1P_EEDaS1K_S1L_EUlS1K_E_NS1_11comp_targetILNS1_3genE9ELNS1_11target_archE1100ELNS1_3gpuE3ELNS1_3repE0EEENS1_30default_config_static_selectorELNS0_4arch9wavefront6targetE0EEEvSY_,"axG",@progbits,_ZN7rocprim17ROCPRIM_400000_NS6detail17trampoline_kernelINS0_13select_configILj256ELj13ELNS0_17block_load_methodE3ELS4_3ELS4_3ELNS0_20block_scan_algorithmE0ELj4294967295EEENS1_25partition_config_selectorILNS1_17partition_subalgoE3EjNS0_10empty_typeEbEEZZNS1_14partition_implILS8_3ELb0ES6_jNS0_17counting_iteratorIjlEEPS9_SE_NS0_5tupleIJPjSE_EEENSF_IJSE_SE_EEES9_SG_JZNS1_25segmented_radix_sort_implINS0_14default_configELb0EPKdPdPKlPlN2at6native12_GLOBAL__N_18offset_tEEE10hipError_tPvRmT1_PNSt15iterator_traitsISY_E10value_typeET2_T3_PNSZ_IS14_E10value_typeET4_jRbjT5_S1A_jjP12ihipStream_tbEUljE_EEESV_SW_SX_S14_S18_S1A_T6_T7_T9_mT8_S1C_bDpT10_ENKUlT_T0_E_clISt17integral_constantIbLb0EES1P_EEDaS1K_S1L_EUlS1K_E_NS1_11comp_targetILNS1_3genE9ELNS1_11target_archE1100ELNS1_3gpuE3ELNS1_3repE0EEENS1_30default_config_static_selectorELNS0_4arch9wavefront6targetE0EEEvSY_,comdat
.Lfunc_end1195:
	.size	_ZN7rocprim17ROCPRIM_400000_NS6detail17trampoline_kernelINS0_13select_configILj256ELj13ELNS0_17block_load_methodE3ELS4_3ELS4_3ELNS0_20block_scan_algorithmE0ELj4294967295EEENS1_25partition_config_selectorILNS1_17partition_subalgoE3EjNS0_10empty_typeEbEEZZNS1_14partition_implILS8_3ELb0ES6_jNS0_17counting_iteratorIjlEEPS9_SE_NS0_5tupleIJPjSE_EEENSF_IJSE_SE_EEES9_SG_JZNS1_25segmented_radix_sort_implINS0_14default_configELb0EPKdPdPKlPlN2at6native12_GLOBAL__N_18offset_tEEE10hipError_tPvRmT1_PNSt15iterator_traitsISY_E10value_typeET2_T3_PNSZ_IS14_E10value_typeET4_jRbjT5_S1A_jjP12ihipStream_tbEUljE_EEESV_SW_SX_S14_S18_S1A_T6_T7_T9_mT8_S1C_bDpT10_ENKUlT_T0_E_clISt17integral_constantIbLb0EES1P_EEDaS1K_S1L_EUlS1K_E_NS1_11comp_targetILNS1_3genE9ELNS1_11target_archE1100ELNS1_3gpuE3ELNS1_3repE0EEENS1_30default_config_static_selectorELNS0_4arch9wavefront6targetE0EEEvSY_, .Lfunc_end1195-_ZN7rocprim17ROCPRIM_400000_NS6detail17trampoline_kernelINS0_13select_configILj256ELj13ELNS0_17block_load_methodE3ELS4_3ELS4_3ELNS0_20block_scan_algorithmE0ELj4294967295EEENS1_25partition_config_selectorILNS1_17partition_subalgoE3EjNS0_10empty_typeEbEEZZNS1_14partition_implILS8_3ELb0ES6_jNS0_17counting_iteratorIjlEEPS9_SE_NS0_5tupleIJPjSE_EEENSF_IJSE_SE_EEES9_SG_JZNS1_25segmented_radix_sort_implINS0_14default_configELb0EPKdPdPKlPlN2at6native12_GLOBAL__N_18offset_tEEE10hipError_tPvRmT1_PNSt15iterator_traitsISY_E10value_typeET2_T3_PNSZ_IS14_E10value_typeET4_jRbjT5_S1A_jjP12ihipStream_tbEUljE_EEESV_SW_SX_S14_S18_S1A_T6_T7_T9_mT8_S1C_bDpT10_ENKUlT_T0_E_clISt17integral_constantIbLb0EES1P_EEDaS1K_S1L_EUlS1K_E_NS1_11comp_targetILNS1_3genE9ELNS1_11target_archE1100ELNS1_3gpuE3ELNS1_3repE0EEENS1_30default_config_static_selectorELNS0_4arch9wavefront6targetE0EEEvSY_
                                        ; -- End function
	.set _ZN7rocprim17ROCPRIM_400000_NS6detail17trampoline_kernelINS0_13select_configILj256ELj13ELNS0_17block_load_methodE3ELS4_3ELS4_3ELNS0_20block_scan_algorithmE0ELj4294967295EEENS1_25partition_config_selectorILNS1_17partition_subalgoE3EjNS0_10empty_typeEbEEZZNS1_14partition_implILS8_3ELb0ES6_jNS0_17counting_iteratorIjlEEPS9_SE_NS0_5tupleIJPjSE_EEENSF_IJSE_SE_EEES9_SG_JZNS1_25segmented_radix_sort_implINS0_14default_configELb0EPKdPdPKlPlN2at6native12_GLOBAL__N_18offset_tEEE10hipError_tPvRmT1_PNSt15iterator_traitsISY_E10value_typeET2_T3_PNSZ_IS14_E10value_typeET4_jRbjT5_S1A_jjP12ihipStream_tbEUljE_EEESV_SW_SX_S14_S18_S1A_T6_T7_T9_mT8_S1C_bDpT10_ENKUlT_T0_E_clISt17integral_constantIbLb0EES1P_EEDaS1K_S1L_EUlS1K_E_NS1_11comp_targetILNS1_3genE9ELNS1_11target_archE1100ELNS1_3gpuE3ELNS1_3repE0EEENS1_30default_config_static_selectorELNS0_4arch9wavefront6targetE0EEEvSY_.num_vgpr, 0
	.set _ZN7rocprim17ROCPRIM_400000_NS6detail17trampoline_kernelINS0_13select_configILj256ELj13ELNS0_17block_load_methodE3ELS4_3ELS4_3ELNS0_20block_scan_algorithmE0ELj4294967295EEENS1_25partition_config_selectorILNS1_17partition_subalgoE3EjNS0_10empty_typeEbEEZZNS1_14partition_implILS8_3ELb0ES6_jNS0_17counting_iteratorIjlEEPS9_SE_NS0_5tupleIJPjSE_EEENSF_IJSE_SE_EEES9_SG_JZNS1_25segmented_radix_sort_implINS0_14default_configELb0EPKdPdPKlPlN2at6native12_GLOBAL__N_18offset_tEEE10hipError_tPvRmT1_PNSt15iterator_traitsISY_E10value_typeET2_T3_PNSZ_IS14_E10value_typeET4_jRbjT5_S1A_jjP12ihipStream_tbEUljE_EEESV_SW_SX_S14_S18_S1A_T6_T7_T9_mT8_S1C_bDpT10_ENKUlT_T0_E_clISt17integral_constantIbLb0EES1P_EEDaS1K_S1L_EUlS1K_E_NS1_11comp_targetILNS1_3genE9ELNS1_11target_archE1100ELNS1_3gpuE3ELNS1_3repE0EEENS1_30default_config_static_selectorELNS0_4arch9wavefront6targetE0EEEvSY_.num_agpr, 0
	.set _ZN7rocprim17ROCPRIM_400000_NS6detail17trampoline_kernelINS0_13select_configILj256ELj13ELNS0_17block_load_methodE3ELS4_3ELS4_3ELNS0_20block_scan_algorithmE0ELj4294967295EEENS1_25partition_config_selectorILNS1_17partition_subalgoE3EjNS0_10empty_typeEbEEZZNS1_14partition_implILS8_3ELb0ES6_jNS0_17counting_iteratorIjlEEPS9_SE_NS0_5tupleIJPjSE_EEENSF_IJSE_SE_EEES9_SG_JZNS1_25segmented_radix_sort_implINS0_14default_configELb0EPKdPdPKlPlN2at6native12_GLOBAL__N_18offset_tEEE10hipError_tPvRmT1_PNSt15iterator_traitsISY_E10value_typeET2_T3_PNSZ_IS14_E10value_typeET4_jRbjT5_S1A_jjP12ihipStream_tbEUljE_EEESV_SW_SX_S14_S18_S1A_T6_T7_T9_mT8_S1C_bDpT10_ENKUlT_T0_E_clISt17integral_constantIbLb0EES1P_EEDaS1K_S1L_EUlS1K_E_NS1_11comp_targetILNS1_3genE9ELNS1_11target_archE1100ELNS1_3gpuE3ELNS1_3repE0EEENS1_30default_config_static_selectorELNS0_4arch9wavefront6targetE0EEEvSY_.numbered_sgpr, 0
	.set _ZN7rocprim17ROCPRIM_400000_NS6detail17trampoline_kernelINS0_13select_configILj256ELj13ELNS0_17block_load_methodE3ELS4_3ELS4_3ELNS0_20block_scan_algorithmE0ELj4294967295EEENS1_25partition_config_selectorILNS1_17partition_subalgoE3EjNS0_10empty_typeEbEEZZNS1_14partition_implILS8_3ELb0ES6_jNS0_17counting_iteratorIjlEEPS9_SE_NS0_5tupleIJPjSE_EEENSF_IJSE_SE_EEES9_SG_JZNS1_25segmented_radix_sort_implINS0_14default_configELb0EPKdPdPKlPlN2at6native12_GLOBAL__N_18offset_tEEE10hipError_tPvRmT1_PNSt15iterator_traitsISY_E10value_typeET2_T3_PNSZ_IS14_E10value_typeET4_jRbjT5_S1A_jjP12ihipStream_tbEUljE_EEESV_SW_SX_S14_S18_S1A_T6_T7_T9_mT8_S1C_bDpT10_ENKUlT_T0_E_clISt17integral_constantIbLb0EES1P_EEDaS1K_S1L_EUlS1K_E_NS1_11comp_targetILNS1_3genE9ELNS1_11target_archE1100ELNS1_3gpuE3ELNS1_3repE0EEENS1_30default_config_static_selectorELNS0_4arch9wavefront6targetE0EEEvSY_.num_named_barrier, 0
	.set _ZN7rocprim17ROCPRIM_400000_NS6detail17trampoline_kernelINS0_13select_configILj256ELj13ELNS0_17block_load_methodE3ELS4_3ELS4_3ELNS0_20block_scan_algorithmE0ELj4294967295EEENS1_25partition_config_selectorILNS1_17partition_subalgoE3EjNS0_10empty_typeEbEEZZNS1_14partition_implILS8_3ELb0ES6_jNS0_17counting_iteratorIjlEEPS9_SE_NS0_5tupleIJPjSE_EEENSF_IJSE_SE_EEES9_SG_JZNS1_25segmented_radix_sort_implINS0_14default_configELb0EPKdPdPKlPlN2at6native12_GLOBAL__N_18offset_tEEE10hipError_tPvRmT1_PNSt15iterator_traitsISY_E10value_typeET2_T3_PNSZ_IS14_E10value_typeET4_jRbjT5_S1A_jjP12ihipStream_tbEUljE_EEESV_SW_SX_S14_S18_S1A_T6_T7_T9_mT8_S1C_bDpT10_ENKUlT_T0_E_clISt17integral_constantIbLb0EES1P_EEDaS1K_S1L_EUlS1K_E_NS1_11comp_targetILNS1_3genE9ELNS1_11target_archE1100ELNS1_3gpuE3ELNS1_3repE0EEENS1_30default_config_static_selectorELNS0_4arch9wavefront6targetE0EEEvSY_.private_seg_size, 0
	.set _ZN7rocprim17ROCPRIM_400000_NS6detail17trampoline_kernelINS0_13select_configILj256ELj13ELNS0_17block_load_methodE3ELS4_3ELS4_3ELNS0_20block_scan_algorithmE0ELj4294967295EEENS1_25partition_config_selectorILNS1_17partition_subalgoE3EjNS0_10empty_typeEbEEZZNS1_14partition_implILS8_3ELb0ES6_jNS0_17counting_iteratorIjlEEPS9_SE_NS0_5tupleIJPjSE_EEENSF_IJSE_SE_EEES9_SG_JZNS1_25segmented_radix_sort_implINS0_14default_configELb0EPKdPdPKlPlN2at6native12_GLOBAL__N_18offset_tEEE10hipError_tPvRmT1_PNSt15iterator_traitsISY_E10value_typeET2_T3_PNSZ_IS14_E10value_typeET4_jRbjT5_S1A_jjP12ihipStream_tbEUljE_EEESV_SW_SX_S14_S18_S1A_T6_T7_T9_mT8_S1C_bDpT10_ENKUlT_T0_E_clISt17integral_constantIbLb0EES1P_EEDaS1K_S1L_EUlS1K_E_NS1_11comp_targetILNS1_3genE9ELNS1_11target_archE1100ELNS1_3gpuE3ELNS1_3repE0EEENS1_30default_config_static_selectorELNS0_4arch9wavefront6targetE0EEEvSY_.uses_vcc, 0
	.set _ZN7rocprim17ROCPRIM_400000_NS6detail17trampoline_kernelINS0_13select_configILj256ELj13ELNS0_17block_load_methodE3ELS4_3ELS4_3ELNS0_20block_scan_algorithmE0ELj4294967295EEENS1_25partition_config_selectorILNS1_17partition_subalgoE3EjNS0_10empty_typeEbEEZZNS1_14partition_implILS8_3ELb0ES6_jNS0_17counting_iteratorIjlEEPS9_SE_NS0_5tupleIJPjSE_EEENSF_IJSE_SE_EEES9_SG_JZNS1_25segmented_radix_sort_implINS0_14default_configELb0EPKdPdPKlPlN2at6native12_GLOBAL__N_18offset_tEEE10hipError_tPvRmT1_PNSt15iterator_traitsISY_E10value_typeET2_T3_PNSZ_IS14_E10value_typeET4_jRbjT5_S1A_jjP12ihipStream_tbEUljE_EEESV_SW_SX_S14_S18_S1A_T6_T7_T9_mT8_S1C_bDpT10_ENKUlT_T0_E_clISt17integral_constantIbLb0EES1P_EEDaS1K_S1L_EUlS1K_E_NS1_11comp_targetILNS1_3genE9ELNS1_11target_archE1100ELNS1_3gpuE3ELNS1_3repE0EEENS1_30default_config_static_selectorELNS0_4arch9wavefront6targetE0EEEvSY_.uses_flat_scratch, 0
	.set _ZN7rocprim17ROCPRIM_400000_NS6detail17trampoline_kernelINS0_13select_configILj256ELj13ELNS0_17block_load_methodE3ELS4_3ELS4_3ELNS0_20block_scan_algorithmE0ELj4294967295EEENS1_25partition_config_selectorILNS1_17partition_subalgoE3EjNS0_10empty_typeEbEEZZNS1_14partition_implILS8_3ELb0ES6_jNS0_17counting_iteratorIjlEEPS9_SE_NS0_5tupleIJPjSE_EEENSF_IJSE_SE_EEES9_SG_JZNS1_25segmented_radix_sort_implINS0_14default_configELb0EPKdPdPKlPlN2at6native12_GLOBAL__N_18offset_tEEE10hipError_tPvRmT1_PNSt15iterator_traitsISY_E10value_typeET2_T3_PNSZ_IS14_E10value_typeET4_jRbjT5_S1A_jjP12ihipStream_tbEUljE_EEESV_SW_SX_S14_S18_S1A_T6_T7_T9_mT8_S1C_bDpT10_ENKUlT_T0_E_clISt17integral_constantIbLb0EES1P_EEDaS1K_S1L_EUlS1K_E_NS1_11comp_targetILNS1_3genE9ELNS1_11target_archE1100ELNS1_3gpuE3ELNS1_3repE0EEENS1_30default_config_static_selectorELNS0_4arch9wavefront6targetE0EEEvSY_.has_dyn_sized_stack, 0
	.set _ZN7rocprim17ROCPRIM_400000_NS6detail17trampoline_kernelINS0_13select_configILj256ELj13ELNS0_17block_load_methodE3ELS4_3ELS4_3ELNS0_20block_scan_algorithmE0ELj4294967295EEENS1_25partition_config_selectorILNS1_17partition_subalgoE3EjNS0_10empty_typeEbEEZZNS1_14partition_implILS8_3ELb0ES6_jNS0_17counting_iteratorIjlEEPS9_SE_NS0_5tupleIJPjSE_EEENSF_IJSE_SE_EEES9_SG_JZNS1_25segmented_radix_sort_implINS0_14default_configELb0EPKdPdPKlPlN2at6native12_GLOBAL__N_18offset_tEEE10hipError_tPvRmT1_PNSt15iterator_traitsISY_E10value_typeET2_T3_PNSZ_IS14_E10value_typeET4_jRbjT5_S1A_jjP12ihipStream_tbEUljE_EEESV_SW_SX_S14_S18_S1A_T6_T7_T9_mT8_S1C_bDpT10_ENKUlT_T0_E_clISt17integral_constantIbLb0EES1P_EEDaS1K_S1L_EUlS1K_E_NS1_11comp_targetILNS1_3genE9ELNS1_11target_archE1100ELNS1_3gpuE3ELNS1_3repE0EEENS1_30default_config_static_selectorELNS0_4arch9wavefront6targetE0EEEvSY_.has_recursion, 0
	.set _ZN7rocprim17ROCPRIM_400000_NS6detail17trampoline_kernelINS0_13select_configILj256ELj13ELNS0_17block_load_methodE3ELS4_3ELS4_3ELNS0_20block_scan_algorithmE0ELj4294967295EEENS1_25partition_config_selectorILNS1_17partition_subalgoE3EjNS0_10empty_typeEbEEZZNS1_14partition_implILS8_3ELb0ES6_jNS0_17counting_iteratorIjlEEPS9_SE_NS0_5tupleIJPjSE_EEENSF_IJSE_SE_EEES9_SG_JZNS1_25segmented_radix_sort_implINS0_14default_configELb0EPKdPdPKlPlN2at6native12_GLOBAL__N_18offset_tEEE10hipError_tPvRmT1_PNSt15iterator_traitsISY_E10value_typeET2_T3_PNSZ_IS14_E10value_typeET4_jRbjT5_S1A_jjP12ihipStream_tbEUljE_EEESV_SW_SX_S14_S18_S1A_T6_T7_T9_mT8_S1C_bDpT10_ENKUlT_T0_E_clISt17integral_constantIbLb0EES1P_EEDaS1K_S1L_EUlS1K_E_NS1_11comp_targetILNS1_3genE9ELNS1_11target_archE1100ELNS1_3gpuE3ELNS1_3repE0EEENS1_30default_config_static_selectorELNS0_4arch9wavefront6targetE0EEEvSY_.has_indirect_call, 0
	.section	.AMDGPU.csdata,"",@progbits
; Kernel info:
; codeLenInByte = 0
; TotalNumSgprs: 0
; NumVgprs: 0
; ScratchSize: 0
; MemoryBound: 0
; FloatMode: 240
; IeeeMode: 1
; LDSByteSize: 0 bytes/workgroup (compile time only)
; SGPRBlocks: 0
; VGPRBlocks: 0
; NumSGPRsForWavesPerEU: 1
; NumVGPRsForWavesPerEU: 1
; Occupancy: 16
; WaveLimiterHint : 0
; COMPUTE_PGM_RSRC2:SCRATCH_EN: 0
; COMPUTE_PGM_RSRC2:USER_SGPR: 2
; COMPUTE_PGM_RSRC2:TRAP_HANDLER: 0
; COMPUTE_PGM_RSRC2:TGID_X_EN: 1
; COMPUTE_PGM_RSRC2:TGID_Y_EN: 0
; COMPUTE_PGM_RSRC2:TGID_Z_EN: 0
; COMPUTE_PGM_RSRC2:TIDIG_COMP_CNT: 0
	.section	.text._ZN7rocprim17ROCPRIM_400000_NS6detail17trampoline_kernelINS0_13select_configILj256ELj13ELNS0_17block_load_methodE3ELS4_3ELS4_3ELNS0_20block_scan_algorithmE0ELj4294967295EEENS1_25partition_config_selectorILNS1_17partition_subalgoE3EjNS0_10empty_typeEbEEZZNS1_14partition_implILS8_3ELb0ES6_jNS0_17counting_iteratorIjlEEPS9_SE_NS0_5tupleIJPjSE_EEENSF_IJSE_SE_EEES9_SG_JZNS1_25segmented_radix_sort_implINS0_14default_configELb0EPKdPdPKlPlN2at6native12_GLOBAL__N_18offset_tEEE10hipError_tPvRmT1_PNSt15iterator_traitsISY_E10value_typeET2_T3_PNSZ_IS14_E10value_typeET4_jRbjT5_S1A_jjP12ihipStream_tbEUljE_EEESV_SW_SX_S14_S18_S1A_T6_T7_T9_mT8_S1C_bDpT10_ENKUlT_T0_E_clISt17integral_constantIbLb0EES1P_EEDaS1K_S1L_EUlS1K_E_NS1_11comp_targetILNS1_3genE8ELNS1_11target_archE1030ELNS1_3gpuE2ELNS1_3repE0EEENS1_30default_config_static_selectorELNS0_4arch9wavefront6targetE0EEEvSY_,"axG",@progbits,_ZN7rocprim17ROCPRIM_400000_NS6detail17trampoline_kernelINS0_13select_configILj256ELj13ELNS0_17block_load_methodE3ELS4_3ELS4_3ELNS0_20block_scan_algorithmE0ELj4294967295EEENS1_25partition_config_selectorILNS1_17partition_subalgoE3EjNS0_10empty_typeEbEEZZNS1_14partition_implILS8_3ELb0ES6_jNS0_17counting_iteratorIjlEEPS9_SE_NS0_5tupleIJPjSE_EEENSF_IJSE_SE_EEES9_SG_JZNS1_25segmented_radix_sort_implINS0_14default_configELb0EPKdPdPKlPlN2at6native12_GLOBAL__N_18offset_tEEE10hipError_tPvRmT1_PNSt15iterator_traitsISY_E10value_typeET2_T3_PNSZ_IS14_E10value_typeET4_jRbjT5_S1A_jjP12ihipStream_tbEUljE_EEESV_SW_SX_S14_S18_S1A_T6_T7_T9_mT8_S1C_bDpT10_ENKUlT_T0_E_clISt17integral_constantIbLb0EES1P_EEDaS1K_S1L_EUlS1K_E_NS1_11comp_targetILNS1_3genE8ELNS1_11target_archE1030ELNS1_3gpuE2ELNS1_3repE0EEENS1_30default_config_static_selectorELNS0_4arch9wavefront6targetE0EEEvSY_,comdat
	.globl	_ZN7rocprim17ROCPRIM_400000_NS6detail17trampoline_kernelINS0_13select_configILj256ELj13ELNS0_17block_load_methodE3ELS4_3ELS4_3ELNS0_20block_scan_algorithmE0ELj4294967295EEENS1_25partition_config_selectorILNS1_17partition_subalgoE3EjNS0_10empty_typeEbEEZZNS1_14partition_implILS8_3ELb0ES6_jNS0_17counting_iteratorIjlEEPS9_SE_NS0_5tupleIJPjSE_EEENSF_IJSE_SE_EEES9_SG_JZNS1_25segmented_radix_sort_implINS0_14default_configELb0EPKdPdPKlPlN2at6native12_GLOBAL__N_18offset_tEEE10hipError_tPvRmT1_PNSt15iterator_traitsISY_E10value_typeET2_T3_PNSZ_IS14_E10value_typeET4_jRbjT5_S1A_jjP12ihipStream_tbEUljE_EEESV_SW_SX_S14_S18_S1A_T6_T7_T9_mT8_S1C_bDpT10_ENKUlT_T0_E_clISt17integral_constantIbLb0EES1P_EEDaS1K_S1L_EUlS1K_E_NS1_11comp_targetILNS1_3genE8ELNS1_11target_archE1030ELNS1_3gpuE2ELNS1_3repE0EEENS1_30default_config_static_selectorELNS0_4arch9wavefront6targetE0EEEvSY_ ; -- Begin function _ZN7rocprim17ROCPRIM_400000_NS6detail17trampoline_kernelINS0_13select_configILj256ELj13ELNS0_17block_load_methodE3ELS4_3ELS4_3ELNS0_20block_scan_algorithmE0ELj4294967295EEENS1_25partition_config_selectorILNS1_17partition_subalgoE3EjNS0_10empty_typeEbEEZZNS1_14partition_implILS8_3ELb0ES6_jNS0_17counting_iteratorIjlEEPS9_SE_NS0_5tupleIJPjSE_EEENSF_IJSE_SE_EEES9_SG_JZNS1_25segmented_radix_sort_implINS0_14default_configELb0EPKdPdPKlPlN2at6native12_GLOBAL__N_18offset_tEEE10hipError_tPvRmT1_PNSt15iterator_traitsISY_E10value_typeET2_T3_PNSZ_IS14_E10value_typeET4_jRbjT5_S1A_jjP12ihipStream_tbEUljE_EEESV_SW_SX_S14_S18_S1A_T6_T7_T9_mT8_S1C_bDpT10_ENKUlT_T0_E_clISt17integral_constantIbLb0EES1P_EEDaS1K_S1L_EUlS1K_E_NS1_11comp_targetILNS1_3genE8ELNS1_11target_archE1030ELNS1_3gpuE2ELNS1_3repE0EEENS1_30default_config_static_selectorELNS0_4arch9wavefront6targetE0EEEvSY_
	.p2align	8
	.type	_ZN7rocprim17ROCPRIM_400000_NS6detail17trampoline_kernelINS0_13select_configILj256ELj13ELNS0_17block_load_methodE3ELS4_3ELS4_3ELNS0_20block_scan_algorithmE0ELj4294967295EEENS1_25partition_config_selectorILNS1_17partition_subalgoE3EjNS0_10empty_typeEbEEZZNS1_14partition_implILS8_3ELb0ES6_jNS0_17counting_iteratorIjlEEPS9_SE_NS0_5tupleIJPjSE_EEENSF_IJSE_SE_EEES9_SG_JZNS1_25segmented_radix_sort_implINS0_14default_configELb0EPKdPdPKlPlN2at6native12_GLOBAL__N_18offset_tEEE10hipError_tPvRmT1_PNSt15iterator_traitsISY_E10value_typeET2_T3_PNSZ_IS14_E10value_typeET4_jRbjT5_S1A_jjP12ihipStream_tbEUljE_EEESV_SW_SX_S14_S18_S1A_T6_T7_T9_mT8_S1C_bDpT10_ENKUlT_T0_E_clISt17integral_constantIbLb0EES1P_EEDaS1K_S1L_EUlS1K_E_NS1_11comp_targetILNS1_3genE8ELNS1_11target_archE1030ELNS1_3gpuE2ELNS1_3repE0EEENS1_30default_config_static_selectorELNS0_4arch9wavefront6targetE0EEEvSY_,@function
_ZN7rocprim17ROCPRIM_400000_NS6detail17trampoline_kernelINS0_13select_configILj256ELj13ELNS0_17block_load_methodE3ELS4_3ELS4_3ELNS0_20block_scan_algorithmE0ELj4294967295EEENS1_25partition_config_selectorILNS1_17partition_subalgoE3EjNS0_10empty_typeEbEEZZNS1_14partition_implILS8_3ELb0ES6_jNS0_17counting_iteratorIjlEEPS9_SE_NS0_5tupleIJPjSE_EEENSF_IJSE_SE_EEES9_SG_JZNS1_25segmented_radix_sort_implINS0_14default_configELb0EPKdPdPKlPlN2at6native12_GLOBAL__N_18offset_tEEE10hipError_tPvRmT1_PNSt15iterator_traitsISY_E10value_typeET2_T3_PNSZ_IS14_E10value_typeET4_jRbjT5_S1A_jjP12ihipStream_tbEUljE_EEESV_SW_SX_S14_S18_S1A_T6_T7_T9_mT8_S1C_bDpT10_ENKUlT_T0_E_clISt17integral_constantIbLb0EES1P_EEDaS1K_S1L_EUlS1K_E_NS1_11comp_targetILNS1_3genE8ELNS1_11target_archE1030ELNS1_3gpuE2ELNS1_3repE0EEENS1_30default_config_static_selectorELNS0_4arch9wavefront6targetE0EEEvSY_: ; @_ZN7rocprim17ROCPRIM_400000_NS6detail17trampoline_kernelINS0_13select_configILj256ELj13ELNS0_17block_load_methodE3ELS4_3ELS4_3ELNS0_20block_scan_algorithmE0ELj4294967295EEENS1_25partition_config_selectorILNS1_17partition_subalgoE3EjNS0_10empty_typeEbEEZZNS1_14partition_implILS8_3ELb0ES6_jNS0_17counting_iteratorIjlEEPS9_SE_NS0_5tupleIJPjSE_EEENSF_IJSE_SE_EEES9_SG_JZNS1_25segmented_radix_sort_implINS0_14default_configELb0EPKdPdPKlPlN2at6native12_GLOBAL__N_18offset_tEEE10hipError_tPvRmT1_PNSt15iterator_traitsISY_E10value_typeET2_T3_PNSZ_IS14_E10value_typeET4_jRbjT5_S1A_jjP12ihipStream_tbEUljE_EEESV_SW_SX_S14_S18_S1A_T6_T7_T9_mT8_S1C_bDpT10_ENKUlT_T0_E_clISt17integral_constantIbLb0EES1P_EEDaS1K_S1L_EUlS1K_E_NS1_11comp_targetILNS1_3genE8ELNS1_11target_archE1030ELNS1_3gpuE2ELNS1_3repE0EEENS1_30default_config_static_selectorELNS0_4arch9wavefront6targetE0EEEvSY_
; %bb.0:
	.section	.rodata,"a",@progbits
	.p2align	6, 0x0
	.amdhsa_kernel _ZN7rocprim17ROCPRIM_400000_NS6detail17trampoline_kernelINS0_13select_configILj256ELj13ELNS0_17block_load_methodE3ELS4_3ELS4_3ELNS0_20block_scan_algorithmE0ELj4294967295EEENS1_25partition_config_selectorILNS1_17partition_subalgoE3EjNS0_10empty_typeEbEEZZNS1_14partition_implILS8_3ELb0ES6_jNS0_17counting_iteratorIjlEEPS9_SE_NS0_5tupleIJPjSE_EEENSF_IJSE_SE_EEES9_SG_JZNS1_25segmented_radix_sort_implINS0_14default_configELb0EPKdPdPKlPlN2at6native12_GLOBAL__N_18offset_tEEE10hipError_tPvRmT1_PNSt15iterator_traitsISY_E10value_typeET2_T3_PNSZ_IS14_E10value_typeET4_jRbjT5_S1A_jjP12ihipStream_tbEUljE_EEESV_SW_SX_S14_S18_S1A_T6_T7_T9_mT8_S1C_bDpT10_ENKUlT_T0_E_clISt17integral_constantIbLb0EES1P_EEDaS1K_S1L_EUlS1K_E_NS1_11comp_targetILNS1_3genE8ELNS1_11target_archE1030ELNS1_3gpuE2ELNS1_3repE0EEENS1_30default_config_static_selectorELNS0_4arch9wavefront6targetE0EEEvSY_
		.amdhsa_group_segment_fixed_size 0
		.amdhsa_private_segment_fixed_size 0
		.amdhsa_kernarg_size 144
		.amdhsa_user_sgpr_count 2
		.amdhsa_user_sgpr_dispatch_ptr 0
		.amdhsa_user_sgpr_queue_ptr 0
		.amdhsa_user_sgpr_kernarg_segment_ptr 1
		.amdhsa_user_sgpr_dispatch_id 0
		.amdhsa_user_sgpr_private_segment_size 0
		.amdhsa_wavefront_size32 1
		.amdhsa_uses_dynamic_stack 0
		.amdhsa_enable_private_segment 0
		.amdhsa_system_sgpr_workgroup_id_x 1
		.amdhsa_system_sgpr_workgroup_id_y 0
		.amdhsa_system_sgpr_workgroup_id_z 0
		.amdhsa_system_sgpr_workgroup_info 0
		.amdhsa_system_vgpr_workitem_id 0
		.amdhsa_next_free_vgpr 1
		.amdhsa_next_free_sgpr 1
		.amdhsa_reserve_vcc 0
		.amdhsa_float_round_mode_32 0
		.amdhsa_float_round_mode_16_64 0
		.amdhsa_float_denorm_mode_32 3
		.amdhsa_float_denorm_mode_16_64 3
		.amdhsa_fp16_overflow 0
		.amdhsa_workgroup_processor_mode 1
		.amdhsa_memory_ordered 1
		.amdhsa_forward_progress 1
		.amdhsa_inst_pref_size 0
		.amdhsa_round_robin_scheduling 0
		.amdhsa_exception_fp_ieee_invalid_op 0
		.amdhsa_exception_fp_denorm_src 0
		.amdhsa_exception_fp_ieee_div_zero 0
		.amdhsa_exception_fp_ieee_overflow 0
		.amdhsa_exception_fp_ieee_underflow 0
		.amdhsa_exception_fp_ieee_inexact 0
		.amdhsa_exception_int_div_zero 0
	.end_amdhsa_kernel
	.section	.text._ZN7rocprim17ROCPRIM_400000_NS6detail17trampoline_kernelINS0_13select_configILj256ELj13ELNS0_17block_load_methodE3ELS4_3ELS4_3ELNS0_20block_scan_algorithmE0ELj4294967295EEENS1_25partition_config_selectorILNS1_17partition_subalgoE3EjNS0_10empty_typeEbEEZZNS1_14partition_implILS8_3ELb0ES6_jNS0_17counting_iteratorIjlEEPS9_SE_NS0_5tupleIJPjSE_EEENSF_IJSE_SE_EEES9_SG_JZNS1_25segmented_radix_sort_implINS0_14default_configELb0EPKdPdPKlPlN2at6native12_GLOBAL__N_18offset_tEEE10hipError_tPvRmT1_PNSt15iterator_traitsISY_E10value_typeET2_T3_PNSZ_IS14_E10value_typeET4_jRbjT5_S1A_jjP12ihipStream_tbEUljE_EEESV_SW_SX_S14_S18_S1A_T6_T7_T9_mT8_S1C_bDpT10_ENKUlT_T0_E_clISt17integral_constantIbLb0EES1P_EEDaS1K_S1L_EUlS1K_E_NS1_11comp_targetILNS1_3genE8ELNS1_11target_archE1030ELNS1_3gpuE2ELNS1_3repE0EEENS1_30default_config_static_selectorELNS0_4arch9wavefront6targetE0EEEvSY_,"axG",@progbits,_ZN7rocprim17ROCPRIM_400000_NS6detail17trampoline_kernelINS0_13select_configILj256ELj13ELNS0_17block_load_methodE3ELS4_3ELS4_3ELNS0_20block_scan_algorithmE0ELj4294967295EEENS1_25partition_config_selectorILNS1_17partition_subalgoE3EjNS0_10empty_typeEbEEZZNS1_14partition_implILS8_3ELb0ES6_jNS0_17counting_iteratorIjlEEPS9_SE_NS0_5tupleIJPjSE_EEENSF_IJSE_SE_EEES9_SG_JZNS1_25segmented_radix_sort_implINS0_14default_configELb0EPKdPdPKlPlN2at6native12_GLOBAL__N_18offset_tEEE10hipError_tPvRmT1_PNSt15iterator_traitsISY_E10value_typeET2_T3_PNSZ_IS14_E10value_typeET4_jRbjT5_S1A_jjP12ihipStream_tbEUljE_EEESV_SW_SX_S14_S18_S1A_T6_T7_T9_mT8_S1C_bDpT10_ENKUlT_T0_E_clISt17integral_constantIbLb0EES1P_EEDaS1K_S1L_EUlS1K_E_NS1_11comp_targetILNS1_3genE8ELNS1_11target_archE1030ELNS1_3gpuE2ELNS1_3repE0EEENS1_30default_config_static_selectorELNS0_4arch9wavefront6targetE0EEEvSY_,comdat
.Lfunc_end1196:
	.size	_ZN7rocprim17ROCPRIM_400000_NS6detail17trampoline_kernelINS0_13select_configILj256ELj13ELNS0_17block_load_methodE3ELS4_3ELS4_3ELNS0_20block_scan_algorithmE0ELj4294967295EEENS1_25partition_config_selectorILNS1_17partition_subalgoE3EjNS0_10empty_typeEbEEZZNS1_14partition_implILS8_3ELb0ES6_jNS0_17counting_iteratorIjlEEPS9_SE_NS0_5tupleIJPjSE_EEENSF_IJSE_SE_EEES9_SG_JZNS1_25segmented_radix_sort_implINS0_14default_configELb0EPKdPdPKlPlN2at6native12_GLOBAL__N_18offset_tEEE10hipError_tPvRmT1_PNSt15iterator_traitsISY_E10value_typeET2_T3_PNSZ_IS14_E10value_typeET4_jRbjT5_S1A_jjP12ihipStream_tbEUljE_EEESV_SW_SX_S14_S18_S1A_T6_T7_T9_mT8_S1C_bDpT10_ENKUlT_T0_E_clISt17integral_constantIbLb0EES1P_EEDaS1K_S1L_EUlS1K_E_NS1_11comp_targetILNS1_3genE8ELNS1_11target_archE1030ELNS1_3gpuE2ELNS1_3repE0EEENS1_30default_config_static_selectorELNS0_4arch9wavefront6targetE0EEEvSY_, .Lfunc_end1196-_ZN7rocprim17ROCPRIM_400000_NS6detail17trampoline_kernelINS0_13select_configILj256ELj13ELNS0_17block_load_methodE3ELS4_3ELS4_3ELNS0_20block_scan_algorithmE0ELj4294967295EEENS1_25partition_config_selectorILNS1_17partition_subalgoE3EjNS0_10empty_typeEbEEZZNS1_14partition_implILS8_3ELb0ES6_jNS0_17counting_iteratorIjlEEPS9_SE_NS0_5tupleIJPjSE_EEENSF_IJSE_SE_EEES9_SG_JZNS1_25segmented_radix_sort_implINS0_14default_configELb0EPKdPdPKlPlN2at6native12_GLOBAL__N_18offset_tEEE10hipError_tPvRmT1_PNSt15iterator_traitsISY_E10value_typeET2_T3_PNSZ_IS14_E10value_typeET4_jRbjT5_S1A_jjP12ihipStream_tbEUljE_EEESV_SW_SX_S14_S18_S1A_T6_T7_T9_mT8_S1C_bDpT10_ENKUlT_T0_E_clISt17integral_constantIbLb0EES1P_EEDaS1K_S1L_EUlS1K_E_NS1_11comp_targetILNS1_3genE8ELNS1_11target_archE1030ELNS1_3gpuE2ELNS1_3repE0EEENS1_30default_config_static_selectorELNS0_4arch9wavefront6targetE0EEEvSY_
                                        ; -- End function
	.set _ZN7rocprim17ROCPRIM_400000_NS6detail17trampoline_kernelINS0_13select_configILj256ELj13ELNS0_17block_load_methodE3ELS4_3ELS4_3ELNS0_20block_scan_algorithmE0ELj4294967295EEENS1_25partition_config_selectorILNS1_17partition_subalgoE3EjNS0_10empty_typeEbEEZZNS1_14partition_implILS8_3ELb0ES6_jNS0_17counting_iteratorIjlEEPS9_SE_NS0_5tupleIJPjSE_EEENSF_IJSE_SE_EEES9_SG_JZNS1_25segmented_radix_sort_implINS0_14default_configELb0EPKdPdPKlPlN2at6native12_GLOBAL__N_18offset_tEEE10hipError_tPvRmT1_PNSt15iterator_traitsISY_E10value_typeET2_T3_PNSZ_IS14_E10value_typeET4_jRbjT5_S1A_jjP12ihipStream_tbEUljE_EEESV_SW_SX_S14_S18_S1A_T6_T7_T9_mT8_S1C_bDpT10_ENKUlT_T0_E_clISt17integral_constantIbLb0EES1P_EEDaS1K_S1L_EUlS1K_E_NS1_11comp_targetILNS1_3genE8ELNS1_11target_archE1030ELNS1_3gpuE2ELNS1_3repE0EEENS1_30default_config_static_selectorELNS0_4arch9wavefront6targetE0EEEvSY_.num_vgpr, 0
	.set _ZN7rocprim17ROCPRIM_400000_NS6detail17trampoline_kernelINS0_13select_configILj256ELj13ELNS0_17block_load_methodE3ELS4_3ELS4_3ELNS0_20block_scan_algorithmE0ELj4294967295EEENS1_25partition_config_selectorILNS1_17partition_subalgoE3EjNS0_10empty_typeEbEEZZNS1_14partition_implILS8_3ELb0ES6_jNS0_17counting_iteratorIjlEEPS9_SE_NS0_5tupleIJPjSE_EEENSF_IJSE_SE_EEES9_SG_JZNS1_25segmented_radix_sort_implINS0_14default_configELb0EPKdPdPKlPlN2at6native12_GLOBAL__N_18offset_tEEE10hipError_tPvRmT1_PNSt15iterator_traitsISY_E10value_typeET2_T3_PNSZ_IS14_E10value_typeET4_jRbjT5_S1A_jjP12ihipStream_tbEUljE_EEESV_SW_SX_S14_S18_S1A_T6_T7_T9_mT8_S1C_bDpT10_ENKUlT_T0_E_clISt17integral_constantIbLb0EES1P_EEDaS1K_S1L_EUlS1K_E_NS1_11comp_targetILNS1_3genE8ELNS1_11target_archE1030ELNS1_3gpuE2ELNS1_3repE0EEENS1_30default_config_static_selectorELNS0_4arch9wavefront6targetE0EEEvSY_.num_agpr, 0
	.set _ZN7rocprim17ROCPRIM_400000_NS6detail17trampoline_kernelINS0_13select_configILj256ELj13ELNS0_17block_load_methodE3ELS4_3ELS4_3ELNS0_20block_scan_algorithmE0ELj4294967295EEENS1_25partition_config_selectorILNS1_17partition_subalgoE3EjNS0_10empty_typeEbEEZZNS1_14partition_implILS8_3ELb0ES6_jNS0_17counting_iteratorIjlEEPS9_SE_NS0_5tupleIJPjSE_EEENSF_IJSE_SE_EEES9_SG_JZNS1_25segmented_radix_sort_implINS0_14default_configELb0EPKdPdPKlPlN2at6native12_GLOBAL__N_18offset_tEEE10hipError_tPvRmT1_PNSt15iterator_traitsISY_E10value_typeET2_T3_PNSZ_IS14_E10value_typeET4_jRbjT5_S1A_jjP12ihipStream_tbEUljE_EEESV_SW_SX_S14_S18_S1A_T6_T7_T9_mT8_S1C_bDpT10_ENKUlT_T0_E_clISt17integral_constantIbLb0EES1P_EEDaS1K_S1L_EUlS1K_E_NS1_11comp_targetILNS1_3genE8ELNS1_11target_archE1030ELNS1_3gpuE2ELNS1_3repE0EEENS1_30default_config_static_selectorELNS0_4arch9wavefront6targetE0EEEvSY_.numbered_sgpr, 0
	.set _ZN7rocprim17ROCPRIM_400000_NS6detail17trampoline_kernelINS0_13select_configILj256ELj13ELNS0_17block_load_methodE3ELS4_3ELS4_3ELNS0_20block_scan_algorithmE0ELj4294967295EEENS1_25partition_config_selectorILNS1_17partition_subalgoE3EjNS0_10empty_typeEbEEZZNS1_14partition_implILS8_3ELb0ES6_jNS0_17counting_iteratorIjlEEPS9_SE_NS0_5tupleIJPjSE_EEENSF_IJSE_SE_EEES9_SG_JZNS1_25segmented_radix_sort_implINS0_14default_configELb0EPKdPdPKlPlN2at6native12_GLOBAL__N_18offset_tEEE10hipError_tPvRmT1_PNSt15iterator_traitsISY_E10value_typeET2_T3_PNSZ_IS14_E10value_typeET4_jRbjT5_S1A_jjP12ihipStream_tbEUljE_EEESV_SW_SX_S14_S18_S1A_T6_T7_T9_mT8_S1C_bDpT10_ENKUlT_T0_E_clISt17integral_constantIbLb0EES1P_EEDaS1K_S1L_EUlS1K_E_NS1_11comp_targetILNS1_3genE8ELNS1_11target_archE1030ELNS1_3gpuE2ELNS1_3repE0EEENS1_30default_config_static_selectorELNS0_4arch9wavefront6targetE0EEEvSY_.num_named_barrier, 0
	.set _ZN7rocprim17ROCPRIM_400000_NS6detail17trampoline_kernelINS0_13select_configILj256ELj13ELNS0_17block_load_methodE3ELS4_3ELS4_3ELNS0_20block_scan_algorithmE0ELj4294967295EEENS1_25partition_config_selectorILNS1_17partition_subalgoE3EjNS0_10empty_typeEbEEZZNS1_14partition_implILS8_3ELb0ES6_jNS0_17counting_iteratorIjlEEPS9_SE_NS0_5tupleIJPjSE_EEENSF_IJSE_SE_EEES9_SG_JZNS1_25segmented_radix_sort_implINS0_14default_configELb0EPKdPdPKlPlN2at6native12_GLOBAL__N_18offset_tEEE10hipError_tPvRmT1_PNSt15iterator_traitsISY_E10value_typeET2_T3_PNSZ_IS14_E10value_typeET4_jRbjT5_S1A_jjP12ihipStream_tbEUljE_EEESV_SW_SX_S14_S18_S1A_T6_T7_T9_mT8_S1C_bDpT10_ENKUlT_T0_E_clISt17integral_constantIbLb0EES1P_EEDaS1K_S1L_EUlS1K_E_NS1_11comp_targetILNS1_3genE8ELNS1_11target_archE1030ELNS1_3gpuE2ELNS1_3repE0EEENS1_30default_config_static_selectorELNS0_4arch9wavefront6targetE0EEEvSY_.private_seg_size, 0
	.set _ZN7rocprim17ROCPRIM_400000_NS6detail17trampoline_kernelINS0_13select_configILj256ELj13ELNS0_17block_load_methodE3ELS4_3ELS4_3ELNS0_20block_scan_algorithmE0ELj4294967295EEENS1_25partition_config_selectorILNS1_17partition_subalgoE3EjNS0_10empty_typeEbEEZZNS1_14partition_implILS8_3ELb0ES6_jNS0_17counting_iteratorIjlEEPS9_SE_NS0_5tupleIJPjSE_EEENSF_IJSE_SE_EEES9_SG_JZNS1_25segmented_radix_sort_implINS0_14default_configELb0EPKdPdPKlPlN2at6native12_GLOBAL__N_18offset_tEEE10hipError_tPvRmT1_PNSt15iterator_traitsISY_E10value_typeET2_T3_PNSZ_IS14_E10value_typeET4_jRbjT5_S1A_jjP12ihipStream_tbEUljE_EEESV_SW_SX_S14_S18_S1A_T6_T7_T9_mT8_S1C_bDpT10_ENKUlT_T0_E_clISt17integral_constantIbLb0EES1P_EEDaS1K_S1L_EUlS1K_E_NS1_11comp_targetILNS1_3genE8ELNS1_11target_archE1030ELNS1_3gpuE2ELNS1_3repE0EEENS1_30default_config_static_selectorELNS0_4arch9wavefront6targetE0EEEvSY_.uses_vcc, 0
	.set _ZN7rocprim17ROCPRIM_400000_NS6detail17trampoline_kernelINS0_13select_configILj256ELj13ELNS0_17block_load_methodE3ELS4_3ELS4_3ELNS0_20block_scan_algorithmE0ELj4294967295EEENS1_25partition_config_selectorILNS1_17partition_subalgoE3EjNS0_10empty_typeEbEEZZNS1_14partition_implILS8_3ELb0ES6_jNS0_17counting_iteratorIjlEEPS9_SE_NS0_5tupleIJPjSE_EEENSF_IJSE_SE_EEES9_SG_JZNS1_25segmented_radix_sort_implINS0_14default_configELb0EPKdPdPKlPlN2at6native12_GLOBAL__N_18offset_tEEE10hipError_tPvRmT1_PNSt15iterator_traitsISY_E10value_typeET2_T3_PNSZ_IS14_E10value_typeET4_jRbjT5_S1A_jjP12ihipStream_tbEUljE_EEESV_SW_SX_S14_S18_S1A_T6_T7_T9_mT8_S1C_bDpT10_ENKUlT_T0_E_clISt17integral_constantIbLb0EES1P_EEDaS1K_S1L_EUlS1K_E_NS1_11comp_targetILNS1_3genE8ELNS1_11target_archE1030ELNS1_3gpuE2ELNS1_3repE0EEENS1_30default_config_static_selectorELNS0_4arch9wavefront6targetE0EEEvSY_.uses_flat_scratch, 0
	.set _ZN7rocprim17ROCPRIM_400000_NS6detail17trampoline_kernelINS0_13select_configILj256ELj13ELNS0_17block_load_methodE3ELS4_3ELS4_3ELNS0_20block_scan_algorithmE0ELj4294967295EEENS1_25partition_config_selectorILNS1_17partition_subalgoE3EjNS0_10empty_typeEbEEZZNS1_14partition_implILS8_3ELb0ES6_jNS0_17counting_iteratorIjlEEPS9_SE_NS0_5tupleIJPjSE_EEENSF_IJSE_SE_EEES9_SG_JZNS1_25segmented_radix_sort_implINS0_14default_configELb0EPKdPdPKlPlN2at6native12_GLOBAL__N_18offset_tEEE10hipError_tPvRmT1_PNSt15iterator_traitsISY_E10value_typeET2_T3_PNSZ_IS14_E10value_typeET4_jRbjT5_S1A_jjP12ihipStream_tbEUljE_EEESV_SW_SX_S14_S18_S1A_T6_T7_T9_mT8_S1C_bDpT10_ENKUlT_T0_E_clISt17integral_constantIbLb0EES1P_EEDaS1K_S1L_EUlS1K_E_NS1_11comp_targetILNS1_3genE8ELNS1_11target_archE1030ELNS1_3gpuE2ELNS1_3repE0EEENS1_30default_config_static_selectorELNS0_4arch9wavefront6targetE0EEEvSY_.has_dyn_sized_stack, 0
	.set _ZN7rocprim17ROCPRIM_400000_NS6detail17trampoline_kernelINS0_13select_configILj256ELj13ELNS0_17block_load_methodE3ELS4_3ELS4_3ELNS0_20block_scan_algorithmE0ELj4294967295EEENS1_25partition_config_selectorILNS1_17partition_subalgoE3EjNS0_10empty_typeEbEEZZNS1_14partition_implILS8_3ELb0ES6_jNS0_17counting_iteratorIjlEEPS9_SE_NS0_5tupleIJPjSE_EEENSF_IJSE_SE_EEES9_SG_JZNS1_25segmented_radix_sort_implINS0_14default_configELb0EPKdPdPKlPlN2at6native12_GLOBAL__N_18offset_tEEE10hipError_tPvRmT1_PNSt15iterator_traitsISY_E10value_typeET2_T3_PNSZ_IS14_E10value_typeET4_jRbjT5_S1A_jjP12ihipStream_tbEUljE_EEESV_SW_SX_S14_S18_S1A_T6_T7_T9_mT8_S1C_bDpT10_ENKUlT_T0_E_clISt17integral_constantIbLb0EES1P_EEDaS1K_S1L_EUlS1K_E_NS1_11comp_targetILNS1_3genE8ELNS1_11target_archE1030ELNS1_3gpuE2ELNS1_3repE0EEENS1_30default_config_static_selectorELNS0_4arch9wavefront6targetE0EEEvSY_.has_recursion, 0
	.set _ZN7rocprim17ROCPRIM_400000_NS6detail17trampoline_kernelINS0_13select_configILj256ELj13ELNS0_17block_load_methodE3ELS4_3ELS4_3ELNS0_20block_scan_algorithmE0ELj4294967295EEENS1_25partition_config_selectorILNS1_17partition_subalgoE3EjNS0_10empty_typeEbEEZZNS1_14partition_implILS8_3ELb0ES6_jNS0_17counting_iteratorIjlEEPS9_SE_NS0_5tupleIJPjSE_EEENSF_IJSE_SE_EEES9_SG_JZNS1_25segmented_radix_sort_implINS0_14default_configELb0EPKdPdPKlPlN2at6native12_GLOBAL__N_18offset_tEEE10hipError_tPvRmT1_PNSt15iterator_traitsISY_E10value_typeET2_T3_PNSZ_IS14_E10value_typeET4_jRbjT5_S1A_jjP12ihipStream_tbEUljE_EEESV_SW_SX_S14_S18_S1A_T6_T7_T9_mT8_S1C_bDpT10_ENKUlT_T0_E_clISt17integral_constantIbLb0EES1P_EEDaS1K_S1L_EUlS1K_E_NS1_11comp_targetILNS1_3genE8ELNS1_11target_archE1030ELNS1_3gpuE2ELNS1_3repE0EEENS1_30default_config_static_selectorELNS0_4arch9wavefront6targetE0EEEvSY_.has_indirect_call, 0
	.section	.AMDGPU.csdata,"",@progbits
; Kernel info:
; codeLenInByte = 0
; TotalNumSgprs: 0
; NumVgprs: 0
; ScratchSize: 0
; MemoryBound: 0
; FloatMode: 240
; IeeeMode: 1
; LDSByteSize: 0 bytes/workgroup (compile time only)
; SGPRBlocks: 0
; VGPRBlocks: 0
; NumSGPRsForWavesPerEU: 1
; NumVGPRsForWavesPerEU: 1
; Occupancy: 16
; WaveLimiterHint : 0
; COMPUTE_PGM_RSRC2:SCRATCH_EN: 0
; COMPUTE_PGM_RSRC2:USER_SGPR: 2
; COMPUTE_PGM_RSRC2:TRAP_HANDLER: 0
; COMPUTE_PGM_RSRC2:TGID_X_EN: 1
; COMPUTE_PGM_RSRC2:TGID_Y_EN: 0
; COMPUTE_PGM_RSRC2:TGID_Z_EN: 0
; COMPUTE_PGM_RSRC2:TIDIG_COMP_CNT: 0
	.section	.text._ZN7rocprim17ROCPRIM_400000_NS6detail17trampoline_kernelINS0_13select_configILj256ELj13ELNS0_17block_load_methodE3ELS4_3ELS4_3ELNS0_20block_scan_algorithmE0ELj4294967295EEENS1_25partition_config_selectorILNS1_17partition_subalgoE3EjNS0_10empty_typeEbEEZZNS1_14partition_implILS8_3ELb0ES6_jNS0_17counting_iteratorIjlEEPS9_SE_NS0_5tupleIJPjSE_EEENSF_IJSE_SE_EEES9_SG_JZNS1_25segmented_radix_sort_implINS0_14default_configELb0EPKdPdPKlPlN2at6native12_GLOBAL__N_18offset_tEEE10hipError_tPvRmT1_PNSt15iterator_traitsISY_E10value_typeET2_T3_PNSZ_IS14_E10value_typeET4_jRbjT5_S1A_jjP12ihipStream_tbEUljE_EEESV_SW_SX_S14_S18_S1A_T6_T7_T9_mT8_S1C_bDpT10_ENKUlT_T0_E_clISt17integral_constantIbLb1EES1P_EEDaS1K_S1L_EUlS1K_E_NS1_11comp_targetILNS1_3genE0ELNS1_11target_archE4294967295ELNS1_3gpuE0ELNS1_3repE0EEENS1_30default_config_static_selectorELNS0_4arch9wavefront6targetE0EEEvSY_,"axG",@progbits,_ZN7rocprim17ROCPRIM_400000_NS6detail17trampoline_kernelINS0_13select_configILj256ELj13ELNS0_17block_load_methodE3ELS4_3ELS4_3ELNS0_20block_scan_algorithmE0ELj4294967295EEENS1_25partition_config_selectorILNS1_17partition_subalgoE3EjNS0_10empty_typeEbEEZZNS1_14partition_implILS8_3ELb0ES6_jNS0_17counting_iteratorIjlEEPS9_SE_NS0_5tupleIJPjSE_EEENSF_IJSE_SE_EEES9_SG_JZNS1_25segmented_radix_sort_implINS0_14default_configELb0EPKdPdPKlPlN2at6native12_GLOBAL__N_18offset_tEEE10hipError_tPvRmT1_PNSt15iterator_traitsISY_E10value_typeET2_T3_PNSZ_IS14_E10value_typeET4_jRbjT5_S1A_jjP12ihipStream_tbEUljE_EEESV_SW_SX_S14_S18_S1A_T6_T7_T9_mT8_S1C_bDpT10_ENKUlT_T0_E_clISt17integral_constantIbLb1EES1P_EEDaS1K_S1L_EUlS1K_E_NS1_11comp_targetILNS1_3genE0ELNS1_11target_archE4294967295ELNS1_3gpuE0ELNS1_3repE0EEENS1_30default_config_static_selectorELNS0_4arch9wavefront6targetE0EEEvSY_,comdat
	.globl	_ZN7rocprim17ROCPRIM_400000_NS6detail17trampoline_kernelINS0_13select_configILj256ELj13ELNS0_17block_load_methodE3ELS4_3ELS4_3ELNS0_20block_scan_algorithmE0ELj4294967295EEENS1_25partition_config_selectorILNS1_17partition_subalgoE3EjNS0_10empty_typeEbEEZZNS1_14partition_implILS8_3ELb0ES6_jNS0_17counting_iteratorIjlEEPS9_SE_NS0_5tupleIJPjSE_EEENSF_IJSE_SE_EEES9_SG_JZNS1_25segmented_radix_sort_implINS0_14default_configELb0EPKdPdPKlPlN2at6native12_GLOBAL__N_18offset_tEEE10hipError_tPvRmT1_PNSt15iterator_traitsISY_E10value_typeET2_T3_PNSZ_IS14_E10value_typeET4_jRbjT5_S1A_jjP12ihipStream_tbEUljE_EEESV_SW_SX_S14_S18_S1A_T6_T7_T9_mT8_S1C_bDpT10_ENKUlT_T0_E_clISt17integral_constantIbLb1EES1P_EEDaS1K_S1L_EUlS1K_E_NS1_11comp_targetILNS1_3genE0ELNS1_11target_archE4294967295ELNS1_3gpuE0ELNS1_3repE0EEENS1_30default_config_static_selectorELNS0_4arch9wavefront6targetE0EEEvSY_ ; -- Begin function _ZN7rocprim17ROCPRIM_400000_NS6detail17trampoline_kernelINS0_13select_configILj256ELj13ELNS0_17block_load_methodE3ELS4_3ELS4_3ELNS0_20block_scan_algorithmE0ELj4294967295EEENS1_25partition_config_selectorILNS1_17partition_subalgoE3EjNS0_10empty_typeEbEEZZNS1_14partition_implILS8_3ELb0ES6_jNS0_17counting_iteratorIjlEEPS9_SE_NS0_5tupleIJPjSE_EEENSF_IJSE_SE_EEES9_SG_JZNS1_25segmented_radix_sort_implINS0_14default_configELb0EPKdPdPKlPlN2at6native12_GLOBAL__N_18offset_tEEE10hipError_tPvRmT1_PNSt15iterator_traitsISY_E10value_typeET2_T3_PNSZ_IS14_E10value_typeET4_jRbjT5_S1A_jjP12ihipStream_tbEUljE_EEESV_SW_SX_S14_S18_S1A_T6_T7_T9_mT8_S1C_bDpT10_ENKUlT_T0_E_clISt17integral_constantIbLb1EES1P_EEDaS1K_S1L_EUlS1K_E_NS1_11comp_targetILNS1_3genE0ELNS1_11target_archE4294967295ELNS1_3gpuE0ELNS1_3repE0EEENS1_30default_config_static_selectorELNS0_4arch9wavefront6targetE0EEEvSY_
	.p2align	8
	.type	_ZN7rocprim17ROCPRIM_400000_NS6detail17trampoline_kernelINS0_13select_configILj256ELj13ELNS0_17block_load_methodE3ELS4_3ELS4_3ELNS0_20block_scan_algorithmE0ELj4294967295EEENS1_25partition_config_selectorILNS1_17partition_subalgoE3EjNS0_10empty_typeEbEEZZNS1_14partition_implILS8_3ELb0ES6_jNS0_17counting_iteratorIjlEEPS9_SE_NS0_5tupleIJPjSE_EEENSF_IJSE_SE_EEES9_SG_JZNS1_25segmented_radix_sort_implINS0_14default_configELb0EPKdPdPKlPlN2at6native12_GLOBAL__N_18offset_tEEE10hipError_tPvRmT1_PNSt15iterator_traitsISY_E10value_typeET2_T3_PNSZ_IS14_E10value_typeET4_jRbjT5_S1A_jjP12ihipStream_tbEUljE_EEESV_SW_SX_S14_S18_S1A_T6_T7_T9_mT8_S1C_bDpT10_ENKUlT_T0_E_clISt17integral_constantIbLb1EES1P_EEDaS1K_S1L_EUlS1K_E_NS1_11comp_targetILNS1_3genE0ELNS1_11target_archE4294967295ELNS1_3gpuE0ELNS1_3repE0EEENS1_30default_config_static_selectorELNS0_4arch9wavefront6targetE0EEEvSY_,@function
_ZN7rocprim17ROCPRIM_400000_NS6detail17trampoline_kernelINS0_13select_configILj256ELj13ELNS0_17block_load_methodE3ELS4_3ELS4_3ELNS0_20block_scan_algorithmE0ELj4294967295EEENS1_25partition_config_selectorILNS1_17partition_subalgoE3EjNS0_10empty_typeEbEEZZNS1_14partition_implILS8_3ELb0ES6_jNS0_17counting_iteratorIjlEEPS9_SE_NS0_5tupleIJPjSE_EEENSF_IJSE_SE_EEES9_SG_JZNS1_25segmented_radix_sort_implINS0_14default_configELb0EPKdPdPKlPlN2at6native12_GLOBAL__N_18offset_tEEE10hipError_tPvRmT1_PNSt15iterator_traitsISY_E10value_typeET2_T3_PNSZ_IS14_E10value_typeET4_jRbjT5_S1A_jjP12ihipStream_tbEUljE_EEESV_SW_SX_S14_S18_S1A_T6_T7_T9_mT8_S1C_bDpT10_ENKUlT_T0_E_clISt17integral_constantIbLb1EES1P_EEDaS1K_S1L_EUlS1K_E_NS1_11comp_targetILNS1_3genE0ELNS1_11target_archE4294967295ELNS1_3gpuE0ELNS1_3repE0EEENS1_30default_config_static_selectorELNS0_4arch9wavefront6targetE0EEEvSY_: ; @_ZN7rocprim17ROCPRIM_400000_NS6detail17trampoline_kernelINS0_13select_configILj256ELj13ELNS0_17block_load_methodE3ELS4_3ELS4_3ELNS0_20block_scan_algorithmE0ELj4294967295EEENS1_25partition_config_selectorILNS1_17partition_subalgoE3EjNS0_10empty_typeEbEEZZNS1_14partition_implILS8_3ELb0ES6_jNS0_17counting_iteratorIjlEEPS9_SE_NS0_5tupleIJPjSE_EEENSF_IJSE_SE_EEES9_SG_JZNS1_25segmented_radix_sort_implINS0_14default_configELb0EPKdPdPKlPlN2at6native12_GLOBAL__N_18offset_tEEE10hipError_tPvRmT1_PNSt15iterator_traitsISY_E10value_typeET2_T3_PNSZ_IS14_E10value_typeET4_jRbjT5_S1A_jjP12ihipStream_tbEUljE_EEESV_SW_SX_S14_S18_S1A_T6_T7_T9_mT8_S1C_bDpT10_ENKUlT_T0_E_clISt17integral_constantIbLb1EES1P_EEDaS1K_S1L_EUlS1K_E_NS1_11comp_targetILNS1_3genE0ELNS1_11target_archE4294967295ELNS1_3gpuE0ELNS1_3repE0EEENS1_30default_config_static_selectorELNS0_4arch9wavefront6targetE0EEEvSY_
; %bb.0:
	.section	.rodata,"a",@progbits
	.p2align	6, 0x0
	.amdhsa_kernel _ZN7rocprim17ROCPRIM_400000_NS6detail17trampoline_kernelINS0_13select_configILj256ELj13ELNS0_17block_load_methodE3ELS4_3ELS4_3ELNS0_20block_scan_algorithmE0ELj4294967295EEENS1_25partition_config_selectorILNS1_17partition_subalgoE3EjNS0_10empty_typeEbEEZZNS1_14partition_implILS8_3ELb0ES6_jNS0_17counting_iteratorIjlEEPS9_SE_NS0_5tupleIJPjSE_EEENSF_IJSE_SE_EEES9_SG_JZNS1_25segmented_radix_sort_implINS0_14default_configELb0EPKdPdPKlPlN2at6native12_GLOBAL__N_18offset_tEEE10hipError_tPvRmT1_PNSt15iterator_traitsISY_E10value_typeET2_T3_PNSZ_IS14_E10value_typeET4_jRbjT5_S1A_jjP12ihipStream_tbEUljE_EEESV_SW_SX_S14_S18_S1A_T6_T7_T9_mT8_S1C_bDpT10_ENKUlT_T0_E_clISt17integral_constantIbLb1EES1P_EEDaS1K_S1L_EUlS1K_E_NS1_11comp_targetILNS1_3genE0ELNS1_11target_archE4294967295ELNS1_3gpuE0ELNS1_3repE0EEENS1_30default_config_static_selectorELNS0_4arch9wavefront6targetE0EEEvSY_
		.amdhsa_group_segment_fixed_size 0
		.amdhsa_private_segment_fixed_size 0
		.amdhsa_kernarg_size 152
		.amdhsa_user_sgpr_count 2
		.amdhsa_user_sgpr_dispatch_ptr 0
		.amdhsa_user_sgpr_queue_ptr 0
		.amdhsa_user_sgpr_kernarg_segment_ptr 1
		.amdhsa_user_sgpr_dispatch_id 0
		.amdhsa_user_sgpr_private_segment_size 0
		.amdhsa_wavefront_size32 1
		.amdhsa_uses_dynamic_stack 0
		.amdhsa_enable_private_segment 0
		.amdhsa_system_sgpr_workgroup_id_x 1
		.amdhsa_system_sgpr_workgroup_id_y 0
		.amdhsa_system_sgpr_workgroup_id_z 0
		.amdhsa_system_sgpr_workgroup_info 0
		.amdhsa_system_vgpr_workitem_id 0
		.amdhsa_next_free_vgpr 1
		.amdhsa_next_free_sgpr 1
		.amdhsa_reserve_vcc 0
		.amdhsa_float_round_mode_32 0
		.amdhsa_float_round_mode_16_64 0
		.amdhsa_float_denorm_mode_32 3
		.amdhsa_float_denorm_mode_16_64 3
		.amdhsa_fp16_overflow 0
		.amdhsa_workgroup_processor_mode 1
		.amdhsa_memory_ordered 1
		.amdhsa_forward_progress 1
		.amdhsa_inst_pref_size 0
		.amdhsa_round_robin_scheduling 0
		.amdhsa_exception_fp_ieee_invalid_op 0
		.amdhsa_exception_fp_denorm_src 0
		.amdhsa_exception_fp_ieee_div_zero 0
		.amdhsa_exception_fp_ieee_overflow 0
		.amdhsa_exception_fp_ieee_underflow 0
		.amdhsa_exception_fp_ieee_inexact 0
		.amdhsa_exception_int_div_zero 0
	.end_amdhsa_kernel
	.section	.text._ZN7rocprim17ROCPRIM_400000_NS6detail17trampoline_kernelINS0_13select_configILj256ELj13ELNS0_17block_load_methodE3ELS4_3ELS4_3ELNS0_20block_scan_algorithmE0ELj4294967295EEENS1_25partition_config_selectorILNS1_17partition_subalgoE3EjNS0_10empty_typeEbEEZZNS1_14partition_implILS8_3ELb0ES6_jNS0_17counting_iteratorIjlEEPS9_SE_NS0_5tupleIJPjSE_EEENSF_IJSE_SE_EEES9_SG_JZNS1_25segmented_radix_sort_implINS0_14default_configELb0EPKdPdPKlPlN2at6native12_GLOBAL__N_18offset_tEEE10hipError_tPvRmT1_PNSt15iterator_traitsISY_E10value_typeET2_T3_PNSZ_IS14_E10value_typeET4_jRbjT5_S1A_jjP12ihipStream_tbEUljE_EEESV_SW_SX_S14_S18_S1A_T6_T7_T9_mT8_S1C_bDpT10_ENKUlT_T0_E_clISt17integral_constantIbLb1EES1P_EEDaS1K_S1L_EUlS1K_E_NS1_11comp_targetILNS1_3genE0ELNS1_11target_archE4294967295ELNS1_3gpuE0ELNS1_3repE0EEENS1_30default_config_static_selectorELNS0_4arch9wavefront6targetE0EEEvSY_,"axG",@progbits,_ZN7rocprim17ROCPRIM_400000_NS6detail17trampoline_kernelINS0_13select_configILj256ELj13ELNS0_17block_load_methodE3ELS4_3ELS4_3ELNS0_20block_scan_algorithmE0ELj4294967295EEENS1_25partition_config_selectorILNS1_17partition_subalgoE3EjNS0_10empty_typeEbEEZZNS1_14partition_implILS8_3ELb0ES6_jNS0_17counting_iteratorIjlEEPS9_SE_NS0_5tupleIJPjSE_EEENSF_IJSE_SE_EEES9_SG_JZNS1_25segmented_radix_sort_implINS0_14default_configELb0EPKdPdPKlPlN2at6native12_GLOBAL__N_18offset_tEEE10hipError_tPvRmT1_PNSt15iterator_traitsISY_E10value_typeET2_T3_PNSZ_IS14_E10value_typeET4_jRbjT5_S1A_jjP12ihipStream_tbEUljE_EEESV_SW_SX_S14_S18_S1A_T6_T7_T9_mT8_S1C_bDpT10_ENKUlT_T0_E_clISt17integral_constantIbLb1EES1P_EEDaS1K_S1L_EUlS1K_E_NS1_11comp_targetILNS1_3genE0ELNS1_11target_archE4294967295ELNS1_3gpuE0ELNS1_3repE0EEENS1_30default_config_static_selectorELNS0_4arch9wavefront6targetE0EEEvSY_,comdat
.Lfunc_end1197:
	.size	_ZN7rocprim17ROCPRIM_400000_NS6detail17trampoline_kernelINS0_13select_configILj256ELj13ELNS0_17block_load_methodE3ELS4_3ELS4_3ELNS0_20block_scan_algorithmE0ELj4294967295EEENS1_25partition_config_selectorILNS1_17partition_subalgoE3EjNS0_10empty_typeEbEEZZNS1_14partition_implILS8_3ELb0ES6_jNS0_17counting_iteratorIjlEEPS9_SE_NS0_5tupleIJPjSE_EEENSF_IJSE_SE_EEES9_SG_JZNS1_25segmented_radix_sort_implINS0_14default_configELb0EPKdPdPKlPlN2at6native12_GLOBAL__N_18offset_tEEE10hipError_tPvRmT1_PNSt15iterator_traitsISY_E10value_typeET2_T3_PNSZ_IS14_E10value_typeET4_jRbjT5_S1A_jjP12ihipStream_tbEUljE_EEESV_SW_SX_S14_S18_S1A_T6_T7_T9_mT8_S1C_bDpT10_ENKUlT_T0_E_clISt17integral_constantIbLb1EES1P_EEDaS1K_S1L_EUlS1K_E_NS1_11comp_targetILNS1_3genE0ELNS1_11target_archE4294967295ELNS1_3gpuE0ELNS1_3repE0EEENS1_30default_config_static_selectorELNS0_4arch9wavefront6targetE0EEEvSY_, .Lfunc_end1197-_ZN7rocprim17ROCPRIM_400000_NS6detail17trampoline_kernelINS0_13select_configILj256ELj13ELNS0_17block_load_methodE3ELS4_3ELS4_3ELNS0_20block_scan_algorithmE0ELj4294967295EEENS1_25partition_config_selectorILNS1_17partition_subalgoE3EjNS0_10empty_typeEbEEZZNS1_14partition_implILS8_3ELb0ES6_jNS0_17counting_iteratorIjlEEPS9_SE_NS0_5tupleIJPjSE_EEENSF_IJSE_SE_EEES9_SG_JZNS1_25segmented_radix_sort_implINS0_14default_configELb0EPKdPdPKlPlN2at6native12_GLOBAL__N_18offset_tEEE10hipError_tPvRmT1_PNSt15iterator_traitsISY_E10value_typeET2_T3_PNSZ_IS14_E10value_typeET4_jRbjT5_S1A_jjP12ihipStream_tbEUljE_EEESV_SW_SX_S14_S18_S1A_T6_T7_T9_mT8_S1C_bDpT10_ENKUlT_T0_E_clISt17integral_constantIbLb1EES1P_EEDaS1K_S1L_EUlS1K_E_NS1_11comp_targetILNS1_3genE0ELNS1_11target_archE4294967295ELNS1_3gpuE0ELNS1_3repE0EEENS1_30default_config_static_selectorELNS0_4arch9wavefront6targetE0EEEvSY_
                                        ; -- End function
	.set _ZN7rocprim17ROCPRIM_400000_NS6detail17trampoline_kernelINS0_13select_configILj256ELj13ELNS0_17block_load_methodE3ELS4_3ELS4_3ELNS0_20block_scan_algorithmE0ELj4294967295EEENS1_25partition_config_selectorILNS1_17partition_subalgoE3EjNS0_10empty_typeEbEEZZNS1_14partition_implILS8_3ELb0ES6_jNS0_17counting_iteratorIjlEEPS9_SE_NS0_5tupleIJPjSE_EEENSF_IJSE_SE_EEES9_SG_JZNS1_25segmented_radix_sort_implINS0_14default_configELb0EPKdPdPKlPlN2at6native12_GLOBAL__N_18offset_tEEE10hipError_tPvRmT1_PNSt15iterator_traitsISY_E10value_typeET2_T3_PNSZ_IS14_E10value_typeET4_jRbjT5_S1A_jjP12ihipStream_tbEUljE_EEESV_SW_SX_S14_S18_S1A_T6_T7_T9_mT8_S1C_bDpT10_ENKUlT_T0_E_clISt17integral_constantIbLb1EES1P_EEDaS1K_S1L_EUlS1K_E_NS1_11comp_targetILNS1_3genE0ELNS1_11target_archE4294967295ELNS1_3gpuE0ELNS1_3repE0EEENS1_30default_config_static_selectorELNS0_4arch9wavefront6targetE0EEEvSY_.num_vgpr, 0
	.set _ZN7rocprim17ROCPRIM_400000_NS6detail17trampoline_kernelINS0_13select_configILj256ELj13ELNS0_17block_load_methodE3ELS4_3ELS4_3ELNS0_20block_scan_algorithmE0ELj4294967295EEENS1_25partition_config_selectorILNS1_17partition_subalgoE3EjNS0_10empty_typeEbEEZZNS1_14partition_implILS8_3ELb0ES6_jNS0_17counting_iteratorIjlEEPS9_SE_NS0_5tupleIJPjSE_EEENSF_IJSE_SE_EEES9_SG_JZNS1_25segmented_radix_sort_implINS0_14default_configELb0EPKdPdPKlPlN2at6native12_GLOBAL__N_18offset_tEEE10hipError_tPvRmT1_PNSt15iterator_traitsISY_E10value_typeET2_T3_PNSZ_IS14_E10value_typeET4_jRbjT5_S1A_jjP12ihipStream_tbEUljE_EEESV_SW_SX_S14_S18_S1A_T6_T7_T9_mT8_S1C_bDpT10_ENKUlT_T0_E_clISt17integral_constantIbLb1EES1P_EEDaS1K_S1L_EUlS1K_E_NS1_11comp_targetILNS1_3genE0ELNS1_11target_archE4294967295ELNS1_3gpuE0ELNS1_3repE0EEENS1_30default_config_static_selectorELNS0_4arch9wavefront6targetE0EEEvSY_.num_agpr, 0
	.set _ZN7rocprim17ROCPRIM_400000_NS6detail17trampoline_kernelINS0_13select_configILj256ELj13ELNS0_17block_load_methodE3ELS4_3ELS4_3ELNS0_20block_scan_algorithmE0ELj4294967295EEENS1_25partition_config_selectorILNS1_17partition_subalgoE3EjNS0_10empty_typeEbEEZZNS1_14partition_implILS8_3ELb0ES6_jNS0_17counting_iteratorIjlEEPS9_SE_NS0_5tupleIJPjSE_EEENSF_IJSE_SE_EEES9_SG_JZNS1_25segmented_radix_sort_implINS0_14default_configELb0EPKdPdPKlPlN2at6native12_GLOBAL__N_18offset_tEEE10hipError_tPvRmT1_PNSt15iterator_traitsISY_E10value_typeET2_T3_PNSZ_IS14_E10value_typeET4_jRbjT5_S1A_jjP12ihipStream_tbEUljE_EEESV_SW_SX_S14_S18_S1A_T6_T7_T9_mT8_S1C_bDpT10_ENKUlT_T0_E_clISt17integral_constantIbLb1EES1P_EEDaS1K_S1L_EUlS1K_E_NS1_11comp_targetILNS1_3genE0ELNS1_11target_archE4294967295ELNS1_3gpuE0ELNS1_3repE0EEENS1_30default_config_static_selectorELNS0_4arch9wavefront6targetE0EEEvSY_.numbered_sgpr, 0
	.set _ZN7rocprim17ROCPRIM_400000_NS6detail17trampoline_kernelINS0_13select_configILj256ELj13ELNS0_17block_load_methodE3ELS4_3ELS4_3ELNS0_20block_scan_algorithmE0ELj4294967295EEENS1_25partition_config_selectorILNS1_17partition_subalgoE3EjNS0_10empty_typeEbEEZZNS1_14partition_implILS8_3ELb0ES6_jNS0_17counting_iteratorIjlEEPS9_SE_NS0_5tupleIJPjSE_EEENSF_IJSE_SE_EEES9_SG_JZNS1_25segmented_radix_sort_implINS0_14default_configELb0EPKdPdPKlPlN2at6native12_GLOBAL__N_18offset_tEEE10hipError_tPvRmT1_PNSt15iterator_traitsISY_E10value_typeET2_T3_PNSZ_IS14_E10value_typeET4_jRbjT5_S1A_jjP12ihipStream_tbEUljE_EEESV_SW_SX_S14_S18_S1A_T6_T7_T9_mT8_S1C_bDpT10_ENKUlT_T0_E_clISt17integral_constantIbLb1EES1P_EEDaS1K_S1L_EUlS1K_E_NS1_11comp_targetILNS1_3genE0ELNS1_11target_archE4294967295ELNS1_3gpuE0ELNS1_3repE0EEENS1_30default_config_static_selectorELNS0_4arch9wavefront6targetE0EEEvSY_.num_named_barrier, 0
	.set _ZN7rocprim17ROCPRIM_400000_NS6detail17trampoline_kernelINS0_13select_configILj256ELj13ELNS0_17block_load_methodE3ELS4_3ELS4_3ELNS0_20block_scan_algorithmE0ELj4294967295EEENS1_25partition_config_selectorILNS1_17partition_subalgoE3EjNS0_10empty_typeEbEEZZNS1_14partition_implILS8_3ELb0ES6_jNS0_17counting_iteratorIjlEEPS9_SE_NS0_5tupleIJPjSE_EEENSF_IJSE_SE_EEES9_SG_JZNS1_25segmented_radix_sort_implINS0_14default_configELb0EPKdPdPKlPlN2at6native12_GLOBAL__N_18offset_tEEE10hipError_tPvRmT1_PNSt15iterator_traitsISY_E10value_typeET2_T3_PNSZ_IS14_E10value_typeET4_jRbjT5_S1A_jjP12ihipStream_tbEUljE_EEESV_SW_SX_S14_S18_S1A_T6_T7_T9_mT8_S1C_bDpT10_ENKUlT_T0_E_clISt17integral_constantIbLb1EES1P_EEDaS1K_S1L_EUlS1K_E_NS1_11comp_targetILNS1_3genE0ELNS1_11target_archE4294967295ELNS1_3gpuE0ELNS1_3repE0EEENS1_30default_config_static_selectorELNS0_4arch9wavefront6targetE0EEEvSY_.private_seg_size, 0
	.set _ZN7rocprim17ROCPRIM_400000_NS6detail17trampoline_kernelINS0_13select_configILj256ELj13ELNS0_17block_load_methodE3ELS4_3ELS4_3ELNS0_20block_scan_algorithmE0ELj4294967295EEENS1_25partition_config_selectorILNS1_17partition_subalgoE3EjNS0_10empty_typeEbEEZZNS1_14partition_implILS8_3ELb0ES6_jNS0_17counting_iteratorIjlEEPS9_SE_NS0_5tupleIJPjSE_EEENSF_IJSE_SE_EEES9_SG_JZNS1_25segmented_radix_sort_implINS0_14default_configELb0EPKdPdPKlPlN2at6native12_GLOBAL__N_18offset_tEEE10hipError_tPvRmT1_PNSt15iterator_traitsISY_E10value_typeET2_T3_PNSZ_IS14_E10value_typeET4_jRbjT5_S1A_jjP12ihipStream_tbEUljE_EEESV_SW_SX_S14_S18_S1A_T6_T7_T9_mT8_S1C_bDpT10_ENKUlT_T0_E_clISt17integral_constantIbLb1EES1P_EEDaS1K_S1L_EUlS1K_E_NS1_11comp_targetILNS1_3genE0ELNS1_11target_archE4294967295ELNS1_3gpuE0ELNS1_3repE0EEENS1_30default_config_static_selectorELNS0_4arch9wavefront6targetE0EEEvSY_.uses_vcc, 0
	.set _ZN7rocprim17ROCPRIM_400000_NS6detail17trampoline_kernelINS0_13select_configILj256ELj13ELNS0_17block_load_methodE3ELS4_3ELS4_3ELNS0_20block_scan_algorithmE0ELj4294967295EEENS1_25partition_config_selectorILNS1_17partition_subalgoE3EjNS0_10empty_typeEbEEZZNS1_14partition_implILS8_3ELb0ES6_jNS0_17counting_iteratorIjlEEPS9_SE_NS0_5tupleIJPjSE_EEENSF_IJSE_SE_EEES9_SG_JZNS1_25segmented_radix_sort_implINS0_14default_configELb0EPKdPdPKlPlN2at6native12_GLOBAL__N_18offset_tEEE10hipError_tPvRmT1_PNSt15iterator_traitsISY_E10value_typeET2_T3_PNSZ_IS14_E10value_typeET4_jRbjT5_S1A_jjP12ihipStream_tbEUljE_EEESV_SW_SX_S14_S18_S1A_T6_T7_T9_mT8_S1C_bDpT10_ENKUlT_T0_E_clISt17integral_constantIbLb1EES1P_EEDaS1K_S1L_EUlS1K_E_NS1_11comp_targetILNS1_3genE0ELNS1_11target_archE4294967295ELNS1_3gpuE0ELNS1_3repE0EEENS1_30default_config_static_selectorELNS0_4arch9wavefront6targetE0EEEvSY_.uses_flat_scratch, 0
	.set _ZN7rocprim17ROCPRIM_400000_NS6detail17trampoline_kernelINS0_13select_configILj256ELj13ELNS0_17block_load_methodE3ELS4_3ELS4_3ELNS0_20block_scan_algorithmE0ELj4294967295EEENS1_25partition_config_selectorILNS1_17partition_subalgoE3EjNS0_10empty_typeEbEEZZNS1_14partition_implILS8_3ELb0ES6_jNS0_17counting_iteratorIjlEEPS9_SE_NS0_5tupleIJPjSE_EEENSF_IJSE_SE_EEES9_SG_JZNS1_25segmented_radix_sort_implINS0_14default_configELb0EPKdPdPKlPlN2at6native12_GLOBAL__N_18offset_tEEE10hipError_tPvRmT1_PNSt15iterator_traitsISY_E10value_typeET2_T3_PNSZ_IS14_E10value_typeET4_jRbjT5_S1A_jjP12ihipStream_tbEUljE_EEESV_SW_SX_S14_S18_S1A_T6_T7_T9_mT8_S1C_bDpT10_ENKUlT_T0_E_clISt17integral_constantIbLb1EES1P_EEDaS1K_S1L_EUlS1K_E_NS1_11comp_targetILNS1_3genE0ELNS1_11target_archE4294967295ELNS1_3gpuE0ELNS1_3repE0EEENS1_30default_config_static_selectorELNS0_4arch9wavefront6targetE0EEEvSY_.has_dyn_sized_stack, 0
	.set _ZN7rocprim17ROCPRIM_400000_NS6detail17trampoline_kernelINS0_13select_configILj256ELj13ELNS0_17block_load_methodE3ELS4_3ELS4_3ELNS0_20block_scan_algorithmE0ELj4294967295EEENS1_25partition_config_selectorILNS1_17partition_subalgoE3EjNS0_10empty_typeEbEEZZNS1_14partition_implILS8_3ELb0ES6_jNS0_17counting_iteratorIjlEEPS9_SE_NS0_5tupleIJPjSE_EEENSF_IJSE_SE_EEES9_SG_JZNS1_25segmented_radix_sort_implINS0_14default_configELb0EPKdPdPKlPlN2at6native12_GLOBAL__N_18offset_tEEE10hipError_tPvRmT1_PNSt15iterator_traitsISY_E10value_typeET2_T3_PNSZ_IS14_E10value_typeET4_jRbjT5_S1A_jjP12ihipStream_tbEUljE_EEESV_SW_SX_S14_S18_S1A_T6_T7_T9_mT8_S1C_bDpT10_ENKUlT_T0_E_clISt17integral_constantIbLb1EES1P_EEDaS1K_S1L_EUlS1K_E_NS1_11comp_targetILNS1_3genE0ELNS1_11target_archE4294967295ELNS1_3gpuE0ELNS1_3repE0EEENS1_30default_config_static_selectorELNS0_4arch9wavefront6targetE0EEEvSY_.has_recursion, 0
	.set _ZN7rocprim17ROCPRIM_400000_NS6detail17trampoline_kernelINS0_13select_configILj256ELj13ELNS0_17block_load_methodE3ELS4_3ELS4_3ELNS0_20block_scan_algorithmE0ELj4294967295EEENS1_25partition_config_selectorILNS1_17partition_subalgoE3EjNS0_10empty_typeEbEEZZNS1_14partition_implILS8_3ELb0ES6_jNS0_17counting_iteratorIjlEEPS9_SE_NS0_5tupleIJPjSE_EEENSF_IJSE_SE_EEES9_SG_JZNS1_25segmented_radix_sort_implINS0_14default_configELb0EPKdPdPKlPlN2at6native12_GLOBAL__N_18offset_tEEE10hipError_tPvRmT1_PNSt15iterator_traitsISY_E10value_typeET2_T3_PNSZ_IS14_E10value_typeET4_jRbjT5_S1A_jjP12ihipStream_tbEUljE_EEESV_SW_SX_S14_S18_S1A_T6_T7_T9_mT8_S1C_bDpT10_ENKUlT_T0_E_clISt17integral_constantIbLb1EES1P_EEDaS1K_S1L_EUlS1K_E_NS1_11comp_targetILNS1_3genE0ELNS1_11target_archE4294967295ELNS1_3gpuE0ELNS1_3repE0EEENS1_30default_config_static_selectorELNS0_4arch9wavefront6targetE0EEEvSY_.has_indirect_call, 0
	.section	.AMDGPU.csdata,"",@progbits
; Kernel info:
; codeLenInByte = 0
; TotalNumSgprs: 0
; NumVgprs: 0
; ScratchSize: 0
; MemoryBound: 0
; FloatMode: 240
; IeeeMode: 1
; LDSByteSize: 0 bytes/workgroup (compile time only)
; SGPRBlocks: 0
; VGPRBlocks: 0
; NumSGPRsForWavesPerEU: 1
; NumVGPRsForWavesPerEU: 1
; Occupancy: 16
; WaveLimiterHint : 0
; COMPUTE_PGM_RSRC2:SCRATCH_EN: 0
; COMPUTE_PGM_RSRC2:USER_SGPR: 2
; COMPUTE_PGM_RSRC2:TRAP_HANDLER: 0
; COMPUTE_PGM_RSRC2:TGID_X_EN: 1
; COMPUTE_PGM_RSRC2:TGID_Y_EN: 0
; COMPUTE_PGM_RSRC2:TGID_Z_EN: 0
; COMPUTE_PGM_RSRC2:TIDIG_COMP_CNT: 0
	.section	.text._ZN7rocprim17ROCPRIM_400000_NS6detail17trampoline_kernelINS0_13select_configILj256ELj13ELNS0_17block_load_methodE3ELS4_3ELS4_3ELNS0_20block_scan_algorithmE0ELj4294967295EEENS1_25partition_config_selectorILNS1_17partition_subalgoE3EjNS0_10empty_typeEbEEZZNS1_14partition_implILS8_3ELb0ES6_jNS0_17counting_iteratorIjlEEPS9_SE_NS0_5tupleIJPjSE_EEENSF_IJSE_SE_EEES9_SG_JZNS1_25segmented_radix_sort_implINS0_14default_configELb0EPKdPdPKlPlN2at6native12_GLOBAL__N_18offset_tEEE10hipError_tPvRmT1_PNSt15iterator_traitsISY_E10value_typeET2_T3_PNSZ_IS14_E10value_typeET4_jRbjT5_S1A_jjP12ihipStream_tbEUljE_EEESV_SW_SX_S14_S18_S1A_T6_T7_T9_mT8_S1C_bDpT10_ENKUlT_T0_E_clISt17integral_constantIbLb1EES1P_EEDaS1K_S1L_EUlS1K_E_NS1_11comp_targetILNS1_3genE5ELNS1_11target_archE942ELNS1_3gpuE9ELNS1_3repE0EEENS1_30default_config_static_selectorELNS0_4arch9wavefront6targetE0EEEvSY_,"axG",@progbits,_ZN7rocprim17ROCPRIM_400000_NS6detail17trampoline_kernelINS0_13select_configILj256ELj13ELNS0_17block_load_methodE3ELS4_3ELS4_3ELNS0_20block_scan_algorithmE0ELj4294967295EEENS1_25partition_config_selectorILNS1_17partition_subalgoE3EjNS0_10empty_typeEbEEZZNS1_14partition_implILS8_3ELb0ES6_jNS0_17counting_iteratorIjlEEPS9_SE_NS0_5tupleIJPjSE_EEENSF_IJSE_SE_EEES9_SG_JZNS1_25segmented_radix_sort_implINS0_14default_configELb0EPKdPdPKlPlN2at6native12_GLOBAL__N_18offset_tEEE10hipError_tPvRmT1_PNSt15iterator_traitsISY_E10value_typeET2_T3_PNSZ_IS14_E10value_typeET4_jRbjT5_S1A_jjP12ihipStream_tbEUljE_EEESV_SW_SX_S14_S18_S1A_T6_T7_T9_mT8_S1C_bDpT10_ENKUlT_T0_E_clISt17integral_constantIbLb1EES1P_EEDaS1K_S1L_EUlS1K_E_NS1_11comp_targetILNS1_3genE5ELNS1_11target_archE942ELNS1_3gpuE9ELNS1_3repE0EEENS1_30default_config_static_selectorELNS0_4arch9wavefront6targetE0EEEvSY_,comdat
	.globl	_ZN7rocprim17ROCPRIM_400000_NS6detail17trampoline_kernelINS0_13select_configILj256ELj13ELNS0_17block_load_methodE3ELS4_3ELS4_3ELNS0_20block_scan_algorithmE0ELj4294967295EEENS1_25partition_config_selectorILNS1_17partition_subalgoE3EjNS0_10empty_typeEbEEZZNS1_14partition_implILS8_3ELb0ES6_jNS0_17counting_iteratorIjlEEPS9_SE_NS0_5tupleIJPjSE_EEENSF_IJSE_SE_EEES9_SG_JZNS1_25segmented_radix_sort_implINS0_14default_configELb0EPKdPdPKlPlN2at6native12_GLOBAL__N_18offset_tEEE10hipError_tPvRmT1_PNSt15iterator_traitsISY_E10value_typeET2_T3_PNSZ_IS14_E10value_typeET4_jRbjT5_S1A_jjP12ihipStream_tbEUljE_EEESV_SW_SX_S14_S18_S1A_T6_T7_T9_mT8_S1C_bDpT10_ENKUlT_T0_E_clISt17integral_constantIbLb1EES1P_EEDaS1K_S1L_EUlS1K_E_NS1_11comp_targetILNS1_3genE5ELNS1_11target_archE942ELNS1_3gpuE9ELNS1_3repE0EEENS1_30default_config_static_selectorELNS0_4arch9wavefront6targetE0EEEvSY_ ; -- Begin function _ZN7rocprim17ROCPRIM_400000_NS6detail17trampoline_kernelINS0_13select_configILj256ELj13ELNS0_17block_load_methodE3ELS4_3ELS4_3ELNS0_20block_scan_algorithmE0ELj4294967295EEENS1_25partition_config_selectorILNS1_17partition_subalgoE3EjNS0_10empty_typeEbEEZZNS1_14partition_implILS8_3ELb0ES6_jNS0_17counting_iteratorIjlEEPS9_SE_NS0_5tupleIJPjSE_EEENSF_IJSE_SE_EEES9_SG_JZNS1_25segmented_radix_sort_implINS0_14default_configELb0EPKdPdPKlPlN2at6native12_GLOBAL__N_18offset_tEEE10hipError_tPvRmT1_PNSt15iterator_traitsISY_E10value_typeET2_T3_PNSZ_IS14_E10value_typeET4_jRbjT5_S1A_jjP12ihipStream_tbEUljE_EEESV_SW_SX_S14_S18_S1A_T6_T7_T9_mT8_S1C_bDpT10_ENKUlT_T0_E_clISt17integral_constantIbLb1EES1P_EEDaS1K_S1L_EUlS1K_E_NS1_11comp_targetILNS1_3genE5ELNS1_11target_archE942ELNS1_3gpuE9ELNS1_3repE0EEENS1_30default_config_static_selectorELNS0_4arch9wavefront6targetE0EEEvSY_
	.p2align	8
	.type	_ZN7rocprim17ROCPRIM_400000_NS6detail17trampoline_kernelINS0_13select_configILj256ELj13ELNS0_17block_load_methodE3ELS4_3ELS4_3ELNS0_20block_scan_algorithmE0ELj4294967295EEENS1_25partition_config_selectorILNS1_17partition_subalgoE3EjNS0_10empty_typeEbEEZZNS1_14partition_implILS8_3ELb0ES6_jNS0_17counting_iteratorIjlEEPS9_SE_NS0_5tupleIJPjSE_EEENSF_IJSE_SE_EEES9_SG_JZNS1_25segmented_radix_sort_implINS0_14default_configELb0EPKdPdPKlPlN2at6native12_GLOBAL__N_18offset_tEEE10hipError_tPvRmT1_PNSt15iterator_traitsISY_E10value_typeET2_T3_PNSZ_IS14_E10value_typeET4_jRbjT5_S1A_jjP12ihipStream_tbEUljE_EEESV_SW_SX_S14_S18_S1A_T6_T7_T9_mT8_S1C_bDpT10_ENKUlT_T0_E_clISt17integral_constantIbLb1EES1P_EEDaS1K_S1L_EUlS1K_E_NS1_11comp_targetILNS1_3genE5ELNS1_11target_archE942ELNS1_3gpuE9ELNS1_3repE0EEENS1_30default_config_static_selectorELNS0_4arch9wavefront6targetE0EEEvSY_,@function
_ZN7rocprim17ROCPRIM_400000_NS6detail17trampoline_kernelINS0_13select_configILj256ELj13ELNS0_17block_load_methodE3ELS4_3ELS4_3ELNS0_20block_scan_algorithmE0ELj4294967295EEENS1_25partition_config_selectorILNS1_17partition_subalgoE3EjNS0_10empty_typeEbEEZZNS1_14partition_implILS8_3ELb0ES6_jNS0_17counting_iteratorIjlEEPS9_SE_NS0_5tupleIJPjSE_EEENSF_IJSE_SE_EEES9_SG_JZNS1_25segmented_radix_sort_implINS0_14default_configELb0EPKdPdPKlPlN2at6native12_GLOBAL__N_18offset_tEEE10hipError_tPvRmT1_PNSt15iterator_traitsISY_E10value_typeET2_T3_PNSZ_IS14_E10value_typeET4_jRbjT5_S1A_jjP12ihipStream_tbEUljE_EEESV_SW_SX_S14_S18_S1A_T6_T7_T9_mT8_S1C_bDpT10_ENKUlT_T0_E_clISt17integral_constantIbLb1EES1P_EEDaS1K_S1L_EUlS1K_E_NS1_11comp_targetILNS1_3genE5ELNS1_11target_archE942ELNS1_3gpuE9ELNS1_3repE0EEENS1_30default_config_static_selectorELNS0_4arch9wavefront6targetE0EEEvSY_: ; @_ZN7rocprim17ROCPRIM_400000_NS6detail17trampoline_kernelINS0_13select_configILj256ELj13ELNS0_17block_load_methodE3ELS4_3ELS4_3ELNS0_20block_scan_algorithmE0ELj4294967295EEENS1_25partition_config_selectorILNS1_17partition_subalgoE3EjNS0_10empty_typeEbEEZZNS1_14partition_implILS8_3ELb0ES6_jNS0_17counting_iteratorIjlEEPS9_SE_NS0_5tupleIJPjSE_EEENSF_IJSE_SE_EEES9_SG_JZNS1_25segmented_radix_sort_implINS0_14default_configELb0EPKdPdPKlPlN2at6native12_GLOBAL__N_18offset_tEEE10hipError_tPvRmT1_PNSt15iterator_traitsISY_E10value_typeET2_T3_PNSZ_IS14_E10value_typeET4_jRbjT5_S1A_jjP12ihipStream_tbEUljE_EEESV_SW_SX_S14_S18_S1A_T6_T7_T9_mT8_S1C_bDpT10_ENKUlT_T0_E_clISt17integral_constantIbLb1EES1P_EEDaS1K_S1L_EUlS1K_E_NS1_11comp_targetILNS1_3genE5ELNS1_11target_archE942ELNS1_3gpuE9ELNS1_3repE0EEENS1_30default_config_static_selectorELNS0_4arch9wavefront6targetE0EEEvSY_
; %bb.0:
	.section	.rodata,"a",@progbits
	.p2align	6, 0x0
	.amdhsa_kernel _ZN7rocprim17ROCPRIM_400000_NS6detail17trampoline_kernelINS0_13select_configILj256ELj13ELNS0_17block_load_methodE3ELS4_3ELS4_3ELNS0_20block_scan_algorithmE0ELj4294967295EEENS1_25partition_config_selectorILNS1_17partition_subalgoE3EjNS0_10empty_typeEbEEZZNS1_14partition_implILS8_3ELb0ES6_jNS0_17counting_iteratorIjlEEPS9_SE_NS0_5tupleIJPjSE_EEENSF_IJSE_SE_EEES9_SG_JZNS1_25segmented_radix_sort_implINS0_14default_configELb0EPKdPdPKlPlN2at6native12_GLOBAL__N_18offset_tEEE10hipError_tPvRmT1_PNSt15iterator_traitsISY_E10value_typeET2_T3_PNSZ_IS14_E10value_typeET4_jRbjT5_S1A_jjP12ihipStream_tbEUljE_EEESV_SW_SX_S14_S18_S1A_T6_T7_T9_mT8_S1C_bDpT10_ENKUlT_T0_E_clISt17integral_constantIbLb1EES1P_EEDaS1K_S1L_EUlS1K_E_NS1_11comp_targetILNS1_3genE5ELNS1_11target_archE942ELNS1_3gpuE9ELNS1_3repE0EEENS1_30default_config_static_selectorELNS0_4arch9wavefront6targetE0EEEvSY_
		.amdhsa_group_segment_fixed_size 0
		.amdhsa_private_segment_fixed_size 0
		.amdhsa_kernarg_size 152
		.amdhsa_user_sgpr_count 2
		.amdhsa_user_sgpr_dispatch_ptr 0
		.amdhsa_user_sgpr_queue_ptr 0
		.amdhsa_user_sgpr_kernarg_segment_ptr 1
		.amdhsa_user_sgpr_dispatch_id 0
		.amdhsa_user_sgpr_private_segment_size 0
		.amdhsa_wavefront_size32 1
		.amdhsa_uses_dynamic_stack 0
		.amdhsa_enable_private_segment 0
		.amdhsa_system_sgpr_workgroup_id_x 1
		.amdhsa_system_sgpr_workgroup_id_y 0
		.amdhsa_system_sgpr_workgroup_id_z 0
		.amdhsa_system_sgpr_workgroup_info 0
		.amdhsa_system_vgpr_workitem_id 0
		.amdhsa_next_free_vgpr 1
		.amdhsa_next_free_sgpr 1
		.amdhsa_reserve_vcc 0
		.amdhsa_float_round_mode_32 0
		.amdhsa_float_round_mode_16_64 0
		.amdhsa_float_denorm_mode_32 3
		.amdhsa_float_denorm_mode_16_64 3
		.amdhsa_fp16_overflow 0
		.amdhsa_workgroup_processor_mode 1
		.amdhsa_memory_ordered 1
		.amdhsa_forward_progress 1
		.amdhsa_inst_pref_size 0
		.amdhsa_round_robin_scheduling 0
		.amdhsa_exception_fp_ieee_invalid_op 0
		.amdhsa_exception_fp_denorm_src 0
		.amdhsa_exception_fp_ieee_div_zero 0
		.amdhsa_exception_fp_ieee_overflow 0
		.amdhsa_exception_fp_ieee_underflow 0
		.amdhsa_exception_fp_ieee_inexact 0
		.amdhsa_exception_int_div_zero 0
	.end_amdhsa_kernel
	.section	.text._ZN7rocprim17ROCPRIM_400000_NS6detail17trampoline_kernelINS0_13select_configILj256ELj13ELNS0_17block_load_methodE3ELS4_3ELS4_3ELNS0_20block_scan_algorithmE0ELj4294967295EEENS1_25partition_config_selectorILNS1_17partition_subalgoE3EjNS0_10empty_typeEbEEZZNS1_14partition_implILS8_3ELb0ES6_jNS0_17counting_iteratorIjlEEPS9_SE_NS0_5tupleIJPjSE_EEENSF_IJSE_SE_EEES9_SG_JZNS1_25segmented_radix_sort_implINS0_14default_configELb0EPKdPdPKlPlN2at6native12_GLOBAL__N_18offset_tEEE10hipError_tPvRmT1_PNSt15iterator_traitsISY_E10value_typeET2_T3_PNSZ_IS14_E10value_typeET4_jRbjT5_S1A_jjP12ihipStream_tbEUljE_EEESV_SW_SX_S14_S18_S1A_T6_T7_T9_mT8_S1C_bDpT10_ENKUlT_T0_E_clISt17integral_constantIbLb1EES1P_EEDaS1K_S1L_EUlS1K_E_NS1_11comp_targetILNS1_3genE5ELNS1_11target_archE942ELNS1_3gpuE9ELNS1_3repE0EEENS1_30default_config_static_selectorELNS0_4arch9wavefront6targetE0EEEvSY_,"axG",@progbits,_ZN7rocprim17ROCPRIM_400000_NS6detail17trampoline_kernelINS0_13select_configILj256ELj13ELNS0_17block_load_methodE3ELS4_3ELS4_3ELNS0_20block_scan_algorithmE0ELj4294967295EEENS1_25partition_config_selectorILNS1_17partition_subalgoE3EjNS0_10empty_typeEbEEZZNS1_14partition_implILS8_3ELb0ES6_jNS0_17counting_iteratorIjlEEPS9_SE_NS0_5tupleIJPjSE_EEENSF_IJSE_SE_EEES9_SG_JZNS1_25segmented_radix_sort_implINS0_14default_configELb0EPKdPdPKlPlN2at6native12_GLOBAL__N_18offset_tEEE10hipError_tPvRmT1_PNSt15iterator_traitsISY_E10value_typeET2_T3_PNSZ_IS14_E10value_typeET4_jRbjT5_S1A_jjP12ihipStream_tbEUljE_EEESV_SW_SX_S14_S18_S1A_T6_T7_T9_mT8_S1C_bDpT10_ENKUlT_T0_E_clISt17integral_constantIbLb1EES1P_EEDaS1K_S1L_EUlS1K_E_NS1_11comp_targetILNS1_3genE5ELNS1_11target_archE942ELNS1_3gpuE9ELNS1_3repE0EEENS1_30default_config_static_selectorELNS0_4arch9wavefront6targetE0EEEvSY_,comdat
.Lfunc_end1198:
	.size	_ZN7rocprim17ROCPRIM_400000_NS6detail17trampoline_kernelINS0_13select_configILj256ELj13ELNS0_17block_load_methodE3ELS4_3ELS4_3ELNS0_20block_scan_algorithmE0ELj4294967295EEENS1_25partition_config_selectorILNS1_17partition_subalgoE3EjNS0_10empty_typeEbEEZZNS1_14partition_implILS8_3ELb0ES6_jNS0_17counting_iteratorIjlEEPS9_SE_NS0_5tupleIJPjSE_EEENSF_IJSE_SE_EEES9_SG_JZNS1_25segmented_radix_sort_implINS0_14default_configELb0EPKdPdPKlPlN2at6native12_GLOBAL__N_18offset_tEEE10hipError_tPvRmT1_PNSt15iterator_traitsISY_E10value_typeET2_T3_PNSZ_IS14_E10value_typeET4_jRbjT5_S1A_jjP12ihipStream_tbEUljE_EEESV_SW_SX_S14_S18_S1A_T6_T7_T9_mT8_S1C_bDpT10_ENKUlT_T0_E_clISt17integral_constantIbLb1EES1P_EEDaS1K_S1L_EUlS1K_E_NS1_11comp_targetILNS1_3genE5ELNS1_11target_archE942ELNS1_3gpuE9ELNS1_3repE0EEENS1_30default_config_static_selectorELNS0_4arch9wavefront6targetE0EEEvSY_, .Lfunc_end1198-_ZN7rocprim17ROCPRIM_400000_NS6detail17trampoline_kernelINS0_13select_configILj256ELj13ELNS0_17block_load_methodE3ELS4_3ELS4_3ELNS0_20block_scan_algorithmE0ELj4294967295EEENS1_25partition_config_selectorILNS1_17partition_subalgoE3EjNS0_10empty_typeEbEEZZNS1_14partition_implILS8_3ELb0ES6_jNS0_17counting_iteratorIjlEEPS9_SE_NS0_5tupleIJPjSE_EEENSF_IJSE_SE_EEES9_SG_JZNS1_25segmented_radix_sort_implINS0_14default_configELb0EPKdPdPKlPlN2at6native12_GLOBAL__N_18offset_tEEE10hipError_tPvRmT1_PNSt15iterator_traitsISY_E10value_typeET2_T3_PNSZ_IS14_E10value_typeET4_jRbjT5_S1A_jjP12ihipStream_tbEUljE_EEESV_SW_SX_S14_S18_S1A_T6_T7_T9_mT8_S1C_bDpT10_ENKUlT_T0_E_clISt17integral_constantIbLb1EES1P_EEDaS1K_S1L_EUlS1K_E_NS1_11comp_targetILNS1_3genE5ELNS1_11target_archE942ELNS1_3gpuE9ELNS1_3repE0EEENS1_30default_config_static_selectorELNS0_4arch9wavefront6targetE0EEEvSY_
                                        ; -- End function
	.set _ZN7rocprim17ROCPRIM_400000_NS6detail17trampoline_kernelINS0_13select_configILj256ELj13ELNS0_17block_load_methodE3ELS4_3ELS4_3ELNS0_20block_scan_algorithmE0ELj4294967295EEENS1_25partition_config_selectorILNS1_17partition_subalgoE3EjNS0_10empty_typeEbEEZZNS1_14partition_implILS8_3ELb0ES6_jNS0_17counting_iteratorIjlEEPS9_SE_NS0_5tupleIJPjSE_EEENSF_IJSE_SE_EEES9_SG_JZNS1_25segmented_radix_sort_implINS0_14default_configELb0EPKdPdPKlPlN2at6native12_GLOBAL__N_18offset_tEEE10hipError_tPvRmT1_PNSt15iterator_traitsISY_E10value_typeET2_T3_PNSZ_IS14_E10value_typeET4_jRbjT5_S1A_jjP12ihipStream_tbEUljE_EEESV_SW_SX_S14_S18_S1A_T6_T7_T9_mT8_S1C_bDpT10_ENKUlT_T0_E_clISt17integral_constantIbLb1EES1P_EEDaS1K_S1L_EUlS1K_E_NS1_11comp_targetILNS1_3genE5ELNS1_11target_archE942ELNS1_3gpuE9ELNS1_3repE0EEENS1_30default_config_static_selectorELNS0_4arch9wavefront6targetE0EEEvSY_.num_vgpr, 0
	.set _ZN7rocprim17ROCPRIM_400000_NS6detail17trampoline_kernelINS0_13select_configILj256ELj13ELNS0_17block_load_methodE3ELS4_3ELS4_3ELNS0_20block_scan_algorithmE0ELj4294967295EEENS1_25partition_config_selectorILNS1_17partition_subalgoE3EjNS0_10empty_typeEbEEZZNS1_14partition_implILS8_3ELb0ES6_jNS0_17counting_iteratorIjlEEPS9_SE_NS0_5tupleIJPjSE_EEENSF_IJSE_SE_EEES9_SG_JZNS1_25segmented_radix_sort_implINS0_14default_configELb0EPKdPdPKlPlN2at6native12_GLOBAL__N_18offset_tEEE10hipError_tPvRmT1_PNSt15iterator_traitsISY_E10value_typeET2_T3_PNSZ_IS14_E10value_typeET4_jRbjT5_S1A_jjP12ihipStream_tbEUljE_EEESV_SW_SX_S14_S18_S1A_T6_T7_T9_mT8_S1C_bDpT10_ENKUlT_T0_E_clISt17integral_constantIbLb1EES1P_EEDaS1K_S1L_EUlS1K_E_NS1_11comp_targetILNS1_3genE5ELNS1_11target_archE942ELNS1_3gpuE9ELNS1_3repE0EEENS1_30default_config_static_selectorELNS0_4arch9wavefront6targetE0EEEvSY_.num_agpr, 0
	.set _ZN7rocprim17ROCPRIM_400000_NS6detail17trampoline_kernelINS0_13select_configILj256ELj13ELNS0_17block_load_methodE3ELS4_3ELS4_3ELNS0_20block_scan_algorithmE0ELj4294967295EEENS1_25partition_config_selectorILNS1_17partition_subalgoE3EjNS0_10empty_typeEbEEZZNS1_14partition_implILS8_3ELb0ES6_jNS0_17counting_iteratorIjlEEPS9_SE_NS0_5tupleIJPjSE_EEENSF_IJSE_SE_EEES9_SG_JZNS1_25segmented_radix_sort_implINS0_14default_configELb0EPKdPdPKlPlN2at6native12_GLOBAL__N_18offset_tEEE10hipError_tPvRmT1_PNSt15iterator_traitsISY_E10value_typeET2_T3_PNSZ_IS14_E10value_typeET4_jRbjT5_S1A_jjP12ihipStream_tbEUljE_EEESV_SW_SX_S14_S18_S1A_T6_T7_T9_mT8_S1C_bDpT10_ENKUlT_T0_E_clISt17integral_constantIbLb1EES1P_EEDaS1K_S1L_EUlS1K_E_NS1_11comp_targetILNS1_3genE5ELNS1_11target_archE942ELNS1_3gpuE9ELNS1_3repE0EEENS1_30default_config_static_selectorELNS0_4arch9wavefront6targetE0EEEvSY_.numbered_sgpr, 0
	.set _ZN7rocprim17ROCPRIM_400000_NS6detail17trampoline_kernelINS0_13select_configILj256ELj13ELNS0_17block_load_methodE3ELS4_3ELS4_3ELNS0_20block_scan_algorithmE0ELj4294967295EEENS1_25partition_config_selectorILNS1_17partition_subalgoE3EjNS0_10empty_typeEbEEZZNS1_14partition_implILS8_3ELb0ES6_jNS0_17counting_iteratorIjlEEPS9_SE_NS0_5tupleIJPjSE_EEENSF_IJSE_SE_EEES9_SG_JZNS1_25segmented_radix_sort_implINS0_14default_configELb0EPKdPdPKlPlN2at6native12_GLOBAL__N_18offset_tEEE10hipError_tPvRmT1_PNSt15iterator_traitsISY_E10value_typeET2_T3_PNSZ_IS14_E10value_typeET4_jRbjT5_S1A_jjP12ihipStream_tbEUljE_EEESV_SW_SX_S14_S18_S1A_T6_T7_T9_mT8_S1C_bDpT10_ENKUlT_T0_E_clISt17integral_constantIbLb1EES1P_EEDaS1K_S1L_EUlS1K_E_NS1_11comp_targetILNS1_3genE5ELNS1_11target_archE942ELNS1_3gpuE9ELNS1_3repE0EEENS1_30default_config_static_selectorELNS0_4arch9wavefront6targetE0EEEvSY_.num_named_barrier, 0
	.set _ZN7rocprim17ROCPRIM_400000_NS6detail17trampoline_kernelINS0_13select_configILj256ELj13ELNS0_17block_load_methodE3ELS4_3ELS4_3ELNS0_20block_scan_algorithmE0ELj4294967295EEENS1_25partition_config_selectorILNS1_17partition_subalgoE3EjNS0_10empty_typeEbEEZZNS1_14partition_implILS8_3ELb0ES6_jNS0_17counting_iteratorIjlEEPS9_SE_NS0_5tupleIJPjSE_EEENSF_IJSE_SE_EEES9_SG_JZNS1_25segmented_radix_sort_implINS0_14default_configELb0EPKdPdPKlPlN2at6native12_GLOBAL__N_18offset_tEEE10hipError_tPvRmT1_PNSt15iterator_traitsISY_E10value_typeET2_T3_PNSZ_IS14_E10value_typeET4_jRbjT5_S1A_jjP12ihipStream_tbEUljE_EEESV_SW_SX_S14_S18_S1A_T6_T7_T9_mT8_S1C_bDpT10_ENKUlT_T0_E_clISt17integral_constantIbLb1EES1P_EEDaS1K_S1L_EUlS1K_E_NS1_11comp_targetILNS1_3genE5ELNS1_11target_archE942ELNS1_3gpuE9ELNS1_3repE0EEENS1_30default_config_static_selectorELNS0_4arch9wavefront6targetE0EEEvSY_.private_seg_size, 0
	.set _ZN7rocprim17ROCPRIM_400000_NS6detail17trampoline_kernelINS0_13select_configILj256ELj13ELNS0_17block_load_methodE3ELS4_3ELS4_3ELNS0_20block_scan_algorithmE0ELj4294967295EEENS1_25partition_config_selectorILNS1_17partition_subalgoE3EjNS0_10empty_typeEbEEZZNS1_14partition_implILS8_3ELb0ES6_jNS0_17counting_iteratorIjlEEPS9_SE_NS0_5tupleIJPjSE_EEENSF_IJSE_SE_EEES9_SG_JZNS1_25segmented_radix_sort_implINS0_14default_configELb0EPKdPdPKlPlN2at6native12_GLOBAL__N_18offset_tEEE10hipError_tPvRmT1_PNSt15iterator_traitsISY_E10value_typeET2_T3_PNSZ_IS14_E10value_typeET4_jRbjT5_S1A_jjP12ihipStream_tbEUljE_EEESV_SW_SX_S14_S18_S1A_T6_T7_T9_mT8_S1C_bDpT10_ENKUlT_T0_E_clISt17integral_constantIbLb1EES1P_EEDaS1K_S1L_EUlS1K_E_NS1_11comp_targetILNS1_3genE5ELNS1_11target_archE942ELNS1_3gpuE9ELNS1_3repE0EEENS1_30default_config_static_selectorELNS0_4arch9wavefront6targetE0EEEvSY_.uses_vcc, 0
	.set _ZN7rocprim17ROCPRIM_400000_NS6detail17trampoline_kernelINS0_13select_configILj256ELj13ELNS0_17block_load_methodE3ELS4_3ELS4_3ELNS0_20block_scan_algorithmE0ELj4294967295EEENS1_25partition_config_selectorILNS1_17partition_subalgoE3EjNS0_10empty_typeEbEEZZNS1_14partition_implILS8_3ELb0ES6_jNS0_17counting_iteratorIjlEEPS9_SE_NS0_5tupleIJPjSE_EEENSF_IJSE_SE_EEES9_SG_JZNS1_25segmented_radix_sort_implINS0_14default_configELb0EPKdPdPKlPlN2at6native12_GLOBAL__N_18offset_tEEE10hipError_tPvRmT1_PNSt15iterator_traitsISY_E10value_typeET2_T3_PNSZ_IS14_E10value_typeET4_jRbjT5_S1A_jjP12ihipStream_tbEUljE_EEESV_SW_SX_S14_S18_S1A_T6_T7_T9_mT8_S1C_bDpT10_ENKUlT_T0_E_clISt17integral_constantIbLb1EES1P_EEDaS1K_S1L_EUlS1K_E_NS1_11comp_targetILNS1_3genE5ELNS1_11target_archE942ELNS1_3gpuE9ELNS1_3repE0EEENS1_30default_config_static_selectorELNS0_4arch9wavefront6targetE0EEEvSY_.uses_flat_scratch, 0
	.set _ZN7rocprim17ROCPRIM_400000_NS6detail17trampoline_kernelINS0_13select_configILj256ELj13ELNS0_17block_load_methodE3ELS4_3ELS4_3ELNS0_20block_scan_algorithmE0ELj4294967295EEENS1_25partition_config_selectorILNS1_17partition_subalgoE3EjNS0_10empty_typeEbEEZZNS1_14partition_implILS8_3ELb0ES6_jNS0_17counting_iteratorIjlEEPS9_SE_NS0_5tupleIJPjSE_EEENSF_IJSE_SE_EEES9_SG_JZNS1_25segmented_radix_sort_implINS0_14default_configELb0EPKdPdPKlPlN2at6native12_GLOBAL__N_18offset_tEEE10hipError_tPvRmT1_PNSt15iterator_traitsISY_E10value_typeET2_T3_PNSZ_IS14_E10value_typeET4_jRbjT5_S1A_jjP12ihipStream_tbEUljE_EEESV_SW_SX_S14_S18_S1A_T6_T7_T9_mT8_S1C_bDpT10_ENKUlT_T0_E_clISt17integral_constantIbLb1EES1P_EEDaS1K_S1L_EUlS1K_E_NS1_11comp_targetILNS1_3genE5ELNS1_11target_archE942ELNS1_3gpuE9ELNS1_3repE0EEENS1_30default_config_static_selectorELNS0_4arch9wavefront6targetE0EEEvSY_.has_dyn_sized_stack, 0
	.set _ZN7rocprim17ROCPRIM_400000_NS6detail17trampoline_kernelINS0_13select_configILj256ELj13ELNS0_17block_load_methodE3ELS4_3ELS4_3ELNS0_20block_scan_algorithmE0ELj4294967295EEENS1_25partition_config_selectorILNS1_17partition_subalgoE3EjNS0_10empty_typeEbEEZZNS1_14partition_implILS8_3ELb0ES6_jNS0_17counting_iteratorIjlEEPS9_SE_NS0_5tupleIJPjSE_EEENSF_IJSE_SE_EEES9_SG_JZNS1_25segmented_radix_sort_implINS0_14default_configELb0EPKdPdPKlPlN2at6native12_GLOBAL__N_18offset_tEEE10hipError_tPvRmT1_PNSt15iterator_traitsISY_E10value_typeET2_T3_PNSZ_IS14_E10value_typeET4_jRbjT5_S1A_jjP12ihipStream_tbEUljE_EEESV_SW_SX_S14_S18_S1A_T6_T7_T9_mT8_S1C_bDpT10_ENKUlT_T0_E_clISt17integral_constantIbLb1EES1P_EEDaS1K_S1L_EUlS1K_E_NS1_11comp_targetILNS1_3genE5ELNS1_11target_archE942ELNS1_3gpuE9ELNS1_3repE0EEENS1_30default_config_static_selectorELNS0_4arch9wavefront6targetE0EEEvSY_.has_recursion, 0
	.set _ZN7rocprim17ROCPRIM_400000_NS6detail17trampoline_kernelINS0_13select_configILj256ELj13ELNS0_17block_load_methodE3ELS4_3ELS4_3ELNS0_20block_scan_algorithmE0ELj4294967295EEENS1_25partition_config_selectorILNS1_17partition_subalgoE3EjNS0_10empty_typeEbEEZZNS1_14partition_implILS8_3ELb0ES6_jNS0_17counting_iteratorIjlEEPS9_SE_NS0_5tupleIJPjSE_EEENSF_IJSE_SE_EEES9_SG_JZNS1_25segmented_radix_sort_implINS0_14default_configELb0EPKdPdPKlPlN2at6native12_GLOBAL__N_18offset_tEEE10hipError_tPvRmT1_PNSt15iterator_traitsISY_E10value_typeET2_T3_PNSZ_IS14_E10value_typeET4_jRbjT5_S1A_jjP12ihipStream_tbEUljE_EEESV_SW_SX_S14_S18_S1A_T6_T7_T9_mT8_S1C_bDpT10_ENKUlT_T0_E_clISt17integral_constantIbLb1EES1P_EEDaS1K_S1L_EUlS1K_E_NS1_11comp_targetILNS1_3genE5ELNS1_11target_archE942ELNS1_3gpuE9ELNS1_3repE0EEENS1_30default_config_static_selectorELNS0_4arch9wavefront6targetE0EEEvSY_.has_indirect_call, 0
	.section	.AMDGPU.csdata,"",@progbits
; Kernel info:
; codeLenInByte = 0
; TotalNumSgprs: 0
; NumVgprs: 0
; ScratchSize: 0
; MemoryBound: 0
; FloatMode: 240
; IeeeMode: 1
; LDSByteSize: 0 bytes/workgroup (compile time only)
; SGPRBlocks: 0
; VGPRBlocks: 0
; NumSGPRsForWavesPerEU: 1
; NumVGPRsForWavesPerEU: 1
; Occupancy: 16
; WaveLimiterHint : 0
; COMPUTE_PGM_RSRC2:SCRATCH_EN: 0
; COMPUTE_PGM_RSRC2:USER_SGPR: 2
; COMPUTE_PGM_RSRC2:TRAP_HANDLER: 0
; COMPUTE_PGM_RSRC2:TGID_X_EN: 1
; COMPUTE_PGM_RSRC2:TGID_Y_EN: 0
; COMPUTE_PGM_RSRC2:TGID_Z_EN: 0
; COMPUTE_PGM_RSRC2:TIDIG_COMP_CNT: 0
	.section	.text._ZN7rocprim17ROCPRIM_400000_NS6detail17trampoline_kernelINS0_13select_configILj256ELj13ELNS0_17block_load_methodE3ELS4_3ELS4_3ELNS0_20block_scan_algorithmE0ELj4294967295EEENS1_25partition_config_selectorILNS1_17partition_subalgoE3EjNS0_10empty_typeEbEEZZNS1_14partition_implILS8_3ELb0ES6_jNS0_17counting_iteratorIjlEEPS9_SE_NS0_5tupleIJPjSE_EEENSF_IJSE_SE_EEES9_SG_JZNS1_25segmented_radix_sort_implINS0_14default_configELb0EPKdPdPKlPlN2at6native12_GLOBAL__N_18offset_tEEE10hipError_tPvRmT1_PNSt15iterator_traitsISY_E10value_typeET2_T3_PNSZ_IS14_E10value_typeET4_jRbjT5_S1A_jjP12ihipStream_tbEUljE_EEESV_SW_SX_S14_S18_S1A_T6_T7_T9_mT8_S1C_bDpT10_ENKUlT_T0_E_clISt17integral_constantIbLb1EES1P_EEDaS1K_S1L_EUlS1K_E_NS1_11comp_targetILNS1_3genE4ELNS1_11target_archE910ELNS1_3gpuE8ELNS1_3repE0EEENS1_30default_config_static_selectorELNS0_4arch9wavefront6targetE0EEEvSY_,"axG",@progbits,_ZN7rocprim17ROCPRIM_400000_NS6detail17trampoline_kernelINS0_13select_configILj256ELj13ELNS0_17block_load_methodE3ELS4_3ELS4_3ELNS0_20block_scan_algorithmE0ELj4294967295EEENS1_25partition_config_selectorILNS1_17partition_subalgoE3EjNS0_10empty_typeEbEEZZNS1_14partition_implILS8_3ELb0ES6_jNS0_17counting_iteratorIjlEEPS9_SE_NS0_5tupleIJPjSE_EEENSF_IJSE_SE_EEES9_SG_JZNS1_25segmented_radix_sort_implINS0_14default_configELb0EPKdPdPKlPlN2at6native12_GLOBAL__N_18offset_tEEE10hipError_tPvRmT1_PNSt15iterator_traitsISY_E10value_typeET2_T3_PNSZ_IS14_E10value_typeET4_jRbjT5_S1A_jjP12ihipStream_tbEUljE_EEESV_SW_SX_S14_S18_S1A_T6_T7_T9_mT8_S1C_bDpT10_ENKUlT_T0_E_clISt17integral_constantIbLb1EES1P_EEDaS1K_S1L_EUlS1K_E_NS1_11comp_targetILNS1_3genE4ELNS1_11target_archE910ELNS1_3gpuE8ELNS1_3repE0EEENS1_30default_config_static_selectorELNS0_4arch9wavefront6targetE0EEEvSY_,comdat
	.globl	_ZN7rocprim17ROCPRIM_400000_NS6detail17trampoline_kernelINS0_13select_configILj256ELj13ELNS0_17block_load_methodE3ELS4_3ELS4_3ELNS0_20block_scan_algorithmE0ELj4294967295EEENS1_25partition_config_selectorILNS1_17partition_subalgoE3EjNS0_10empty_typeEbEEZZNS1_14partition_implILS8_3ELb0ES6_jNS0_17counting_iteratorIjlEEPS9_SE_NS0_5tupleIJPjSE_EEENSF_IJSE_SE_EEES9_SG_JZNS1_25segmented_radix_sort_implINS0_14default_configELb0EPKdPdPKlPlN2at6native12_GLOBAL__N_18offset_tEEE10hipError_tPvRmT1_PNSt15iterator_traitsISY_E10value_typeET2_T3_PNSZ_IS14_E10value_typeET4_jRbjT5_S1A_jjP12ihipStream_tbEUljE_EEESV_SW_SX_S14_S18_S1A_T6_T7_T9_mT8_S1C_bDpT10_ENKUlT_T0_E_clISt17integral_constantIbLb1EES1P_EEDaS1K_S1L_EUlS1K_E_NS1_11comp_targetILNS1_3genE4ELNS1_11target_archE910ELNS1_3gpuE8ELNS1_3repE0EEENS1_30default_config_static_selectorELNS0_4arch9wavefront6targetE0EEEvSY_ ; -- Begin function _ZN7rocprim17ROCPRIM_400000_NS6detail17trampoline_kernelINS0_13select_configILj256ELj13ELNS0_17block_load_methodE3ELS4_3ELS4_3ELNS0_20block_scan_algorithmE0ELj4294967295EEENS1_25partition_config_selectorILNS1_17partition_subalgoE3EjNS0_10empty_typeEbEEZZNS1_14partition_implILS8_3ELb0ES6_jNS0_17counting_iteratorIjlEEPS9_SE_NS0_5tupleIJPjSE_EEENSF_IJSE_SE_EEES9_SG_JZNS1_25segmented_radix_sort_implINS0_14default_configELb0EPKdPdPKlPlN2at6native12_GLOBAL__N_18offset_tEEE10hipError_tPvRmT1_PNSt15iterator_traitsISY_E10value_typeET2_T3_PNSZ_IS14_E10value_typeET4_jRbjT5_S1A_jjP12ihipStream_tbEUljE_EEESV_SW_SX_S14_S18_S1A_T6_T7_T9_mT8_S1C_bDpT10_ENKUlT_T0_E_clISt17integral_constantIbLb1EES1P_EEDaS1K_S1L_EUlS1K_E_NS1_11comp_targetILNS1_3genE4ELNS1_11target_archE910ELNS1_3gpuE8ELNS1_3repE0EEENS1_30default_config_static_selectorELNS0_4arch9wavefront6targetE0EEEvSY_
	.p2align	8
	.type	_ZN7rocprim17ROCPRIM_400000_NS6detail17trampoline_kernelINS0_13select_configILj256ELj13ELNS0_17block_load_methodE3ELS4_3ELS4_3ELNS0_20block_scan_algorithmE0ELj4294967295EEENS1_25partition_config_selectorILNS1_17partition_subalgoE3EjNS0_10empty_typeEbEEZZNS1_14partition_implILS8_3ELb0ES6_jNS0_17counting_iteratorIjlEEPS9_SE_NS0_5tupleIJPjSE_EEENSF_IJSE_SE_EEES9_SG_JZNS1_25segmented_radix_sort_implINS0_14default_configELb0EPKdPdPKlPlN2at6native12_GLOBAL__N_18offset_tEEE10hipError_tPvRmT1_PNSt15iterator_traitsISY_E10value_typeET2_T3_PNSZ_IS14_E10value_typeET4_jRbjT5_S1A_jjP12ihipStream_tbEUljE_EEESV_SW_SX_S14_S18_S1A_T6_T7_T9_mT8_S1C_bDpT10_ENKUlT_T0_E_clISt17integral_constantIbLb1EES1P_EEDaS1K_S1L_EUlS1K_E_NS1_11comp_targetILNS1_3genE4ELNS1_11target_archE910ELNS1_3gpuE8ELNS1_3repE0EEENS1_30default_config_static_selectorELNS0_4arch9wavefront6targetE0EEEvSY_,@function
_ZN7rocprim17ROCPRIM_400000_NS6detail17trampoline_kernelINS0_13select_configILj256ELj13ELNS0_17block_load_methodE3ELS4_3ELS4_3ELNS0_20block_scan_algorithmE0ELj4294967295EEENS1_25partition_config_selectorILNS1_17partition_subalgoE3EjNS0_10empty_typeEbEEZZNS1_14partition_implILS8_3ELb0ES6_jNS0_17counting_iteratorIjlEEPS9_SE_NS0_5tupleIJPjSE_EEENSF_IJSE_SE_EEES9_SG_JZNS1_25segmented_radix_sort_implINS0_14default_configELb0EPKdPdPKlPlN2at6native12_GLOBAL__N_18offset_tEEE10hipError_tPvRmT1_PNSt15iterator_traitsISY_E10value_typeET2_T3_PNSZ_IS14_E10value_typeET4_jRbjT5_S1A_jjP12ihipStream_tbEUljE_EEESV_SW_SX_S14_S18_S1A_T6_T7_T9_mT8_S1C_bDpT10_ENKUlT_T0_E_clISt17integral_constantIbLb1EES1P_EEDaS1K_S1L_EUlS1K_E_NS1_11comp_targetILNS1_3genE4ELNS1_11target_archE910ELNS1_3gpuE8ELNS1_3repE0EEENS1_30default_config_static_selectorELNS0_4arch9wavefront6targetE0EEEvSY_: ; @_ZN7rocprim17ROCPRIM_400000_NS6detail17trampoline_kernelINS0_13select_configILj256ELj13ELNS0_17block_load_methodE3ELS4_3ELS4_3ELNS0_20block_scan_algorithmE0ELj4294967295EEENS1_25partition_config_selectorILNS1_17partition_subalgoE3EjNS0_10empty_typeEbEEZZNS1_14partition_implILS8_3ELb0ES6_jNS0_17counting_iteratorIjlEEPS9_SE_NS0_5tupleIJPjSE_EEENSF_IJSE_SE_EEES9_SG_JZNS1_25segmented_radix_sort_implINS0_14default_configELb0EPKdPdPKlPlN2at6native12_GLOBAL__N_18offset_tEEE10hipError_tPvRmT1_PNSt15iterator_traitsISY_E10value_typeET2_T3_PNSZ_IS14_E10value_typeET4_jRbjT5_S1A_jjP12ihipStream_tbEUljE_EEESV_SW_SX_S14_S18_S1A_T6_T7_T9_mT8_S1C_bDpT10_ENKUlT_T0_E_clISt17integral_constantIbLb1EES1P_EEDaS1K_S1L_EUlS1K_E_NS1_11comp_targetILNS1_3genE4ELNS1_11target_archE910ELNS1_3gpuE8ELNS1_3repE0EEENS1_30default_config_static_selectorELNS0_4arch9wavefront6targetE0EEEvSY_
; %bb.0:
	.section	.rodata,"a",@progbits
	.p2align	6, 0x0
	.amdhsa_kernel _ZN7rocprim17ROCPRIM_400000_NS6detail17trampoline_kernelINS0_13select_configILj256ELj13ELNS0_17block_load_methodE3ELS4_3ELS4_3ELNS0_20block_scan_algorithmE0ELj4294967295EEENS1_25partition_config_selectorILNS1_17partition_subalgoE3EjNS0_10empty_typeEbEEZZNS1_14partition_implILS8_3ELb0ES6_jNS0_17counting_iteratorIjlEEPS9_SE_NS0_5tupleIJPjSE_EEENSF_IJSE_SE_EEES9_SG_JZNS1_25segmented_radix_sort_implINS0_14default_configELb0EPKdPdPKlPlN2at6native12_GLOBAL__N_18offset_tEEE10hipError_tPvRmT1_PNSt15iterator_traitsISY_E10value_typeET2_T3_PNSZ_IS14_E10value_typeET4_jRbjT5_S1A_jjP12ihipStream_tbEUljE_EEESV_SW_SX_S14_S18_S1A_T6_T7_T9_mT8_S1C_bDpT10_ENKUlT_T0_E_clISt17integral_constantIbLb1EES1P_EEDaS1K_S1L_EUlS1K_E_NS1_11comp_targetILNS1_3genE4ELNS1_11target_archE910ELNS1_3gpuE8ELNS1_3repE0EEENS1_30default_config_static_selectorELNS0_4arch9wavefront6targetE0EEEvSY_
		.amdhsa_group_segment_fixed_size 0
		.amdhsa_private_segment_fixed_size 0
		.amdhsa_kernarg_size 152
		.amdhsa_user_sgpr_count 2
		.amdhsa_user_sgpr_dispatch_ptr 0
		.amdhsa_user_sgpr_queue_ptr 0
		.amdhsa_user_sgpr_kernarg_segment_ptr 1
		.amdhsa_user_sgpr_dispatch_id 0
		.amdhsa_user_sgpr_private_segment_size 0
		.amdhsa_wavefront_size32 1
		.amdhsa_uses_dynamic_stack 0
		.amdhsa_enable_private_segment 0
		.amdhsa_system_sgpr_workgroup_id_x 1
		.amdhsa_system_sgpr_workgroup_id_y 0
		.amdhsa_system_sgpr_workgroup_id_z 0
		.amdhsa_system_sgpr_workgroup_info 0
		.amdhsa_system_vgpr_workitem_id 0
		.amdhsa_next_free_vgpr 1
		.amdhsa_next_free_sgpr 1
		.amdhsa_reserve_vcc 0
		.amdhsa_float_round_mode_32 0
		.amdhsa_float_round_mode_16_64 0
		.amdhsa_float_denorm_mode_32 3
		.amdhsa_float_denorm_mode_16_64 3
		.amdhsa_fp16_overflow 0
		.amdhsa_workgroup_processor_mode 1
		.amdhsa_memory_ordered 1
		.amdhsa_forward_progress 1
		.amdhsa_inst_pref_size 0
		.amdhsa_round_robin_scheduling 0
		.amdhsa_exception_fp_ieee_invalid_op 0
		.amdhsa_exception_fp_denorm_src 0
		.amdhsa_exception_fp_ieee_div_zero 0
		.amdhsa_exception_fp_ieee_overflow 0
		.amdhsa_exception_fp_ieee_underflow 0
		.amdhsa_exception_fp_ieee_inexact 0
		.amdhsa_exception_int_div_zero 0
	.end_amdhsa_kernel
	.section	.text._ZN7rocprim17ROCPRIM_400000_NS6detail17trampoline_kernelINS0_13select_configILj256ELj13ELNS0_17block_load_methodE3ELS4_3ELS4_3ELNS0_20block_scan_algorithmE0ELj4294967295EEENS1_25partition_config_selectorILNS1_17partition_subalgoE3EjNS0_10empty_typeEbEEZZNS1_14partition_implILS8_3ELb0ES6_jNS0_17counting_iteratorIjlEEPS9_SE_NS0_5tupleIJPjSE_EEENSF_IJSE_SE_EEES9_SG_JZNS1_25segmented_radix_sort_implINS0_14default_configELb0EPKdPdPKlPlN2at6native12_GLOBAL__N_18offset_tEEE10hipError_tPvRmT1_PNSt15iterator_traitsISY_E10value_typeET2_T3_PNSZ_IS14_E10value_typeET4_jRbjT5_S1A_jjP12ihipStream_tbEUljE_EEESV_SW_SX_S14_S18_S1A_T6_T7_T9_mT8_S1C_bDpT10_ENKUlT_T0_E_clISt17integral_constantIbLb1EES1P_EEDaS1K_S1L_EUlS1K_E_NS1_11comp_targetILNS1_3genE4ELNS1_11target_archE910ELNS1_3gpuE8ELNS1_3repE0EEENS1_30default_config_static_selectorELNS0_4arch9wavefront6targetE0EEEvSY_,"axG",@progbits,_ZN7rocprim17ROCPRIM_400000_NS6detail17trampoline_kernelINS0_13select_configILj256ELj13ELNS0_17block_load_methodE3ELS4_3ELS4_3ELNS0_20block_scan_algorithmE0ELj4294967295EEENS1_25partition_config_selectorILNS1_17partition_subalgoE3EjNS0_10empty_typeEbEEZZNS1_14partition_implILS8_3ELb0ES6_jNS0_17counting_iteratorIjlEEPS9_SE_NS0_5tupleIJPjSE_EEENSF_IJSE_SE_EEES9_SG_JZNS1_25segmented_radix_sort_implINS0_14default_configELb0EPKdPdPKlPlN2at6native12_GLOBAL__N_18offset_tEEE10hipError_tPvRmT1_PNSt15iterator_traitsISY_E10value_typeET2_T3_PNSZ_IS14_E10value_typeET4_jRbjT5_S1A_jjP12ihipStream_tbEUljE_EEESV_SW_SX_S14_S18_S1A_T6_T7_T9_mT8_S1C_bDpT10_ENKUlT_T0_E_clISt17integral_constantIbLb1EES1P_EEDaS1K_S1L_EUlS1K_E_NS1_11comp_targetILNS1_3genE4ELNS1_11target_archE910ELNS1_3gpuE8ELNS1_3repE0EEENS1_30default_config_static_selectorELNS0_4arch9wavefront6targetE0EEEvSY_,comdat
.Lfunc_end1199:
	.size	_ZN7rocprim17ROCPRIM_400000_NS6detail17trampoline_kernelINS0_13select_configILj256ELj13ELNS0_17block_load_methodE3ELS4_3ELS4_3ELNS0_20block_scan_algorithmE0ELj4294967295EEENS1_25partition_config_selectorILNS1_17partition_subalgoE3EjNS0_10empty_typeEbEEZZNS1_14partition_implILS8_3ELb0ES6_jNS0_17counting_iteratorIjlEEPS9_SE_NS0_5tupleIJPjSE_EEENSF_IJSE_SE_EEES9_SG_JZNS1_25segmented_radix_sort_implINS0_14default_configELb0EPKdPdPKlPlN2at6native12_GLOBAL__N_18offset_tEEE10hipError_tPvRmT1_PNSt15iterator_traitsISY_E10value_typeET2_T3_PNSZ_IS14_E10value_typeET4_jRbjT5_S1A_jjP12ihipStream_tbEUljE_EEESV_SW_SX_S14_S18_S1A_T6_T7_T9_mT8_S1C_bDpT10_ENKUlT_T0_E_clISt17integral_constantIbLb1EES1P_EEDaS1K_S1L_EUlS1K_E_NS1_11comp_targetILNS1_3genE4ELNS1_11target_archE910ELNS1_3gpuE8ELNS1_3repE0EEENS1_30default_config_static_selectorELNS0_4arch9wavefront6targetE0EEEvSY_, .Lfunc_end1199-_ZN7rocprim17ROCPRIM_400000_NS6detail17trampoline_kernelINS0_13select_configILj256ELj13ELNS0_17block_load_methodE3ELS4_3ELS4_3ELNS0_20block_scan_algorithmE0ELj4294967295EEENS1_25partition_config_selectorILNS1_17partition_subalgoE3EjNS0_10empty_typeEbEEZZNS1_14partition_implILS8_3ELb0ES6_jNS0_17counting_iteratorIjlEEPS9_SE_NS0_5tupleIJPjSE_EEENSF_IJSE_SE_EEES9_SG_JZNS1_25segmented_radix_sort_implINS0_14default_configELb0EPKdPdPKlPlN2at6native12_GLOBAL__N_18offset_tEEE10hipError_tPvRmT1_PNSt15iterator_traitsISY_E10value_typeET2_T3_PNSZ_IS14_E10value_typeET4_jRbjT5_S1A_jjP12ihipStream_tbEUljE_EEESV_SW_SX_S14_S18_S1A_T6_T7_T9_mT8_S1C_bDpT10_ENKUlT_T0_E_clISt17integral_constantIbLb1EES1P_EEDaS1K_S1L_EUlS1K_E_NS1_11comp_targetILNS1_3genE4ELNS1_11target_archE910ELNS1_3gpuE8ELNS1_3repE0EEENS1_30default_config_static_selectorELNS0_4arch9wavefront6targetE0EEEvSY_
                                        ; -- End function
	.set _ZN7rocprim17ROCPRIM_400000_NS6detail17trampoline_kernelINS0_13select_configILj256ELj13ELNS0_17block_load_methodE3ELS4_3ELS4_3ELNS0_20block_scan_algorithmE0ELj4294967295EEENS1_25partition_config_selectorILNS1_17partition_subalgoE3EjNS0_10empty_typeEbEEZZNS1_14partition_implILS8_3ELb0ES6_jNS0_17counting_iteratorIjlEEPS9_SE_NS0_5tupleIJPjSE_EEENSF_IJSE_SE_EEES9_SG_JZNS1_25segmented_radix_sort_implINS0_14default_configELb0EPKdPdPKlPlN2at6native12_GLOBAL__N_18offset_tEEE10hipError_tPvRmT1_PNSt15iterator_traitsISY_E10value_typeET2_T3_PNSZ_IS14_E10value_typeET4_jRbjT5_S1A_jjP12ihipStream_tbEUljE_EEESV_SW_SX_S14_S18_S1A_T6_T7_T9_mT8_S1C_bDpT10_ENKUlT_T0_E_clISt17integral_constantIbLb1EES1P_EEDaS1K_S1L_EUlS1K_E_NS1_11comp_targetILNS1_3genE4ELNS1_11target_archE910ELNS1_3gpuE8ELNS1_3repE0EEENS1_30default_config_static_selectorELNS0_4arch9wavefront6targetE0EEEvSY_.num_vgpr, 0
	.set _ZN7rocprim17ROCPRIM_400000_NS6detail17trampoline_kernelINS0_13select_configILj256ELj13ELNS0_17block_load_methodE3ELS4_3ELS4_3ELNS0_20block_scan_algorithmE0ELj4294967295EEENS1_25partition_config_selectorILNS1_17partition_subalgoE3EjNS0_10empty_typeEbEEZZNS1_14partition_implILS8_3ELb0ES6_jNS0_17counting_iteratorIjlEEPS9_SE_NS0_5tupleIJPjSE_EEENSF_IJSE_SE_EEES9_SG_JZNS1_25segmented_radix_sort_implINS0_14default_configELb0EPKdPdPKlPlN2at6native12_GLOBAL__N_18offset_tEEE10hipError_tPvRmT1_PNSt15iterator_traitsISY_E10value_typeET2_T3_PNSZ_IS14_E10value_typeET4_jRbjT5_S1A_jjP12ihipStream_tbEUljE_EEESV_SW_SX_S14_S18_S1A_T6_T7_T9_mT8_S1C_bDpT10_ENKUlT_T0_E_clISt17integral_constantIbLb1EES1P_EEDaS1K_S1L_EUlS1K_E_NS1_11comp_targetILNS1_3genE4ELNS1_11target_archE910ELNS1_3gpuE8ELNS1_3repE0EEENS1_30default_config_static_selectorELNS0_4arch9wavefront6targetE0EEEvSY_.num_agpr, 0
	.set _ZN7rocprim17ROCPRIM_400000_NS6detail17trampoline_kernelINS0_13select_configILj256ELj13ELNS0_17block_load_methodE3ELS4_3ELS4_3ELNS0_20block_scan_algorithmE0ELj4294967295EEENS1_25partition_config_selectorILNS1_17partition_subalgoE3EjNS0_10empty_typeEbEEZZNS1_14partition_implILS8_3ELb0ES6_jNS0_17counting_iteratorIjlEEPS9_SE_NS0_5tupleIJPjSE_EEENSF_IJSE_SE_EEES9_SG_JZNS1_25segmented_radix_sort_implINS0_14default_configELb0EPKdPdPKlPlN2at6native12_GLOBAL__N_18offset_tEEE10hipError_tPvRmT1_PNSt15iterator_traitsISY_E10value_typeET2_T3_PNSZ_IS14_E10value_typeET4_jRbjT5_S1A_jjP12ihipStream_tbEUljE_EEESV_SW_SX_S14_S18_S1A_T6_T7_T9_mT8_S1C_bDpT10_ENKUlT_T0_E_clISt17integral_constantIbLb1EES1P_EEDaS1K_S1L_EUlS1K_E_NS1_11comp_targetILNS1_3genE4ELNS1_11target_archE910ELNS1_3gpuE8ELNS1_3repE0EEENS1_30default_config_static_selectorELNS0_4arch9wavefront6targetE0EEEvSY_.numbered_sgpr, 0
	.set _ZN7rocprim17ROCPRIM_400000_NS6detail17trampoline_kernelINS0_13select_configILj256ELj13ELNS0_17block_load_methodE3ELS4_3ELS4_3ELNS0_20block_scan_algorithmE0ELj4294967295EEENS1_25partition_config_selectorILNS1_17partition_subalgoE3EjNS0_10empty_typeEbEEZZNS1_14partition_implILS8_3ELb0ES6_jNS0_17counting_iteratorIjlEEPS9_SE_NS0_5tupleIJPjSE_EEENSF_IJSE_SE_EEES9_SG_JZNS1_25segmented_radix_sort_implINS0_14default_configELb0EPKdPdPKlPlN2at6native12_GLOBAL__N_18offset_tEEE10hipError_tPvRmT1_PNSt15iterator_traitsISY_E10value_typeET2_T3_PNSZ_IS14_E10value_typeET4_jRbjT5_S1A_jjP12ihipStream_tbEUljE_EEESV_SW_SX_S14_S18_S1A_T6_T7_T9_mT8_S1C_bDpT10_ENKUlT_T0_E_clISt17integral_constantIbLb1EES1P_EEDaS1K_S1L_EUlS1K_E_NS1_11comp_targetILNS1_3genE4ELNS1_11target_archE910ELNS1_3gpuE8ELNS1_3repE0EEENS1_30default_config_static_selectorELNS0_4arch9wavefront6targetE0EEEvSY_.num_named_barrier, 0
	.set _ZN7rocprim17ROCPRIM_400000_NS6detail17trampoline_kernelINS0_13select_configILj256ELj13ELNS0_17block_load_methodE3ELS4_3ELS4_3ELNS0_20block_scan_algorithmE0ELj4294967295EEENS1_25partition_config_selectorILNS1_17partition_subalgoE3EjNS0_10empty_typeEbEEZZNS1_14partition_implILS8_3ELb0ES6_jNS0_17counting_iteratorIjlEEPS9_SE_NS0_5tupleIJPjSE_EEENSF_IJSE_SE_EEES9_SG_JZNS1_25segmented_radix_sort_implINS0_14default_configELb0EPKdPdPKlPlN2at6native12_GLOBAL__N_18offset_tEEE10hipError_tPvRmT1_PNSt15iterator_traitsISY_E10value_typeET2_T3_PNSZ_IS14_E10value_typeET4_jRbjT5_S1A_jjP12ihipStream_tbEUljE_EEESV_SW_SX_S14_S18_S1A_T6_T7_T9_mT8_S1C_bDpT10_ENKUlT_T0_E_clISt17integral_constantIbLb1EES1P_EEDaS1K_S1L_EUlS1K_E_NS1_11comp_targetILNS1_3genE4ELNS1_11target_archE910ELNS1_3gpuE8ELNS1_3repE0EEENS1_30default_config_static_selectorELNS0_4arch9wavefront6targetE0EEEvSY_.private_seg_size, 0
	.set _ZN7rocprim17ROCPRIM_400000_NS6detail17trampoline_kernelINS0_13select_configILj256ELj13ELNS0_17block_load_methodE3ELS4_3ELS4_3ELNS0_20block_scan_algorithmE0ELj4294967295EEENS1_25partition_config_selectorILNS1_17partition_subalgoE3EjNS0_10empty_typeEbEEZZNS1_14partition_implILS8_3ELb0ES6_jNS0_17counting_iteratorIjlEEPS9_SE_NS0_5tupleIJPjSE_EEENSF_IJSE_SE_EEES9_SG_JZNS1_25segmented_radix_sort_implINS0_14default_configELb0EPKdPdPKlPlN2at6native12_GLOBAL__N_18offset_tEEE10hipError_tPvRmT1_PNSt15iterator_traitsISY_E10value_typeET2_T3_PNSZ_IS14_E10value_typeET4_jRbjT5_S1A_jjP12ihipStream_tbEUljE_EEESV_SW_SX_S14_S18_S1A_T6_T7_T9_mT8_S1C_bDpT10_ENKUlT_T0_E_clISt17integral_constantIbLb1EES1P_EEDaS1K_S1L_EUlS1K_E_NS1_11comp_targetILNS1_3genE4ELNS1_11target_archE910ELNS1_3gpuE8ELNS1_3repE0EEENS1_30default_config_static_selectorELNS0_4arch9wavefront6targetE0EEEvSY_.uses_vcc, 0
	.set _ZN7rocprim17ROCPRIM_400000_NS6detail17trampoline_kernelINS0_13select_configILj256ELj13ELNS0_17block_load_methodE3ELS4_3ELS4_3ELNS0_20block_scan_algorithmE0ELj4294967295EEENS1_25partition_config_selectorILNS1_17partition_subalgoE3EjNS0_10empty_typeEbEEZZNS1_14partition_implILS8_3ELb0ES6_jNS0_17counting_iteratorIjlEEPS9_SE_NS0_5tupleIJPjSE_EEENSF_IJSE_SE_EEES9_SG_JZNS1_25segmented_radix_sort_implINS0_14default_configELb0EPKdPdPKlPlN2at6native12_GLOBAL__N_18offset_tEEE10hipError_tPvRmT1_PNSt15iterator_traitsISY_E10value_typeET2_T3_PNSZ_IS14_E10value_typeET4_jRbjT5_S1A_jjP12ihipStream_tbEUljE_EEESV_SW_SX_S14_S18_S1A_T6_T7_T9_mT8_S1C_bDpT10_ENKUlT_T0_E_clISt17integral_constantIbLb1EES1P_EEDaS1K_S1L_EUlS1K_E_NS1_11comp_targetILNS1_3genE4ELNS1_11target_archE910ELNS1_3gpuE8ELNS1_3repE0EEENS1_30default_config_static_selectorELNS0_4arch9wavefront6targetE0EEEvSY_.uses_flat_scratch, 0
	.set _ZN7rocprim17ROCPRIM_400000_NS6detail17trampoline_kernelINS0_13select_configILj256ELj13ELNS0_17block_load_methodE3ELS4_3ELS4_3ELNS0_20block_scan_algorithmE0ELj4294967295EEENS1_25partition_config_selectorILNS1_17partition_subalgoE3EjNS0_10empty_typeEbEEZZNS1_14partition_implILS8_3ELb0ES6_jNS0_17counting_iteratorIjlEEPS9_SE_NS0_5tupleIJPjSE_EEENSF_IJSE_SE_EEES9_SG_JZNS1_25segmented_radix_sort_implINS0_14default_configELb0EPKdPdPKlPlN2at6native12_GLOBAL__N_18offset_tEEE10hipError_tPvRmT1_PNSt15iterator_traitsISY_E10value_typeET2_T3_PNSZ_IS14_E10value_typeET4_jRbjT5_S1A_jjP12ihipStream_tbEUljE_EEESV_SW_SX_S14_S18_S1A_T6_T7_T9_mT8_S1C_bDpT10_ENKUlT_T0_E_clISt17integral_constantIbLb1EES1P_EEDaS1K_S1L_EUlS1K_E_NS1_11comp_targetILNS1_3genE4ELNS1_11target_archE910ELNS1_3gpuE8ELNS1_3repE0EEENS1_30default_config_static_selectorELNS0_4arch9wavefront6targetE0EEEvSY_.has_dyn_sized_stack, 0
	.set _ZN7rocprim17ROCPRIM_400000_NS6detail17trampoline_kernelINS0_13select_configILj256ELj13ELNS0_17block_load_methodE3ELS4_3ELS4_3ELNS0_20block_scan_algorithmE0ELj4294967295EEENS1_25partition_config_selectorILNS1_17partition_subalgoE3EjNS0_10empty_typeEbEEZZNS1_14partition_implILS8_3ELb0ES6_jNS0_17counting_iteratorIjlEEPS9_SE_NS0_5tupleIJPjSE_EEENSF_IJSE_SE_EEES9_SG_JZNS1_25segmented_radix_sort_implINS0_14default_configELb0EPKdPdPKlPlN2at6native12_GLOBAL__N_18offset_tEEE10hipError_tPvRmT1_PNSt15iterator_traitsISY_E10value_typeET2_T3_PNSZ_IS14_E10value_typeET4_jRbjT5_S1A_jjP12ihipStream_tbEUljE_EEESV_SW_SX_S14_S18_S1A_T6_T7_T9_mT8_S1C_bDpT10_ENKUlT_T0_E_clISt17integral_constantIbLb1EES1P_EEDaS1K_S1L_EUlS1K_E_NS1_11comp_targetILNS1_3genE4ELNS1_11target_archE910ELNS1_3gpuE8ELNS1_3repE0EEENS1_30default_config_static_selectorELNS0_4arch9wavefront6targetE0EEEvSY_.has_recursion, 0
	.set _ZN7rocprim17ROCPRIM_400000_NS6detail17trampoline_kernelINS0_13select_configILj256ELj13ELNS0_17block_load_methodE3ELS4_3ELS4_3ELNS0_20block_scan_algorithmE0ELj4294967295EEENS1_25partition_config_selectorILNS1_17partition_subalgoE3EjNS0_10empty_typeEbEEZZNS1_14partition_implILS8_3ELb0ES6_jNS0_17counting_iteratorIjlEEPS9_SE_NS0_5tupleIJPjSE_EEENSF_IJSE_SE_EEES9_SG_JZNS1_25segmented_radix_sort_implINS0_14default_configELb0EPKdPdPKlPlN2at6native12_GLOBAL__N_18offset_tEEE10hipError_tPvRmT1_PNSt15iterator_traitsISY_E10value_typeET2_T3_PNSZ_IS14_E10value_typeET4_jRbjT5_S1A_jjP12ihipStream_tbEUljE_EEESV_SW_SX_S14_S18_S1A_T6_T7_T9_mT8_S1C_bDpT10_ENKUlT_T0_E_clISt17integral_constantIbLb1EES1P_EEDaS1K_S1L_EUlS1K_E_NS1_11comp_targetILNS1_3genE4ELNS1_11target_archE910ELNS1_3gpuE8ELNS1_3repE0EEENS1_30default_config_static_selectorELNS0_4arch9wavefront6targetE0EEEvSY_.has_indirect_call, 0
	.section	.AMDGPU.csdata,"",@progbits
; Kernel info:
; codeLenInByte = 0
; TotalNumSgprs: 0
; NumVgprs: 0
; ScratchSize: 0
; MemoryBound: 0
; FloatMode: 240
; IeeeMode: 1
; LDSByteSize: 0 bytes/workgroup (compile time only)
; SGPRBlocks: 0
; VGPRBlocks: 0
; NumSGPRsForWavesPerEU: 1
; NumVGPRsForWavesPerEU: 1
; Occupancy: 16
; WaveLimiterHint : 0
; COMPUTE_PGM_RSRC2:SCRATCH_EN: 0
; COMPUTE_PGM_RSRC2:USER_SGPR: 2
; COMPUTE_PGM_RSRC2:TRAP_HANDLER: 0
; COMPUTE_PGM_RSRC2:TGID_X_EN: 1
; COMPUTE_PGM_RSRC2:TGID_Y_EN: 0
; COMPUTE_PGM_RSRC2:TGID_Z_EN: 0
; COMPUTE_PGM_RSRC2:TIDIG_COMP_CNT: 0
	.section	.text._ZN7rocprim17ROCPRIM_400000_NS6detail17trampoline_kernelINS0_13select_configILj256ELj13ELNS0_17block_load_methodE3ELS4_3ELS4_3ELNS0_20block_scan_algorithmE0ELj4294967295EEENS1_25partition_config_selectorILNS1_17partition_subalgoE3EjNS0_10empty_typeEbEEZZNS1_14partition_implILS8_3ELb0ES6_jNS0_17counting_iteratorIjlEEPS9_SE_NS0_5tupleIJPjSE_EEENSF_IJSE_SE_EEES9_SG_JZNS1_25segmented_radix_sort_implINS0_14default_configELb0EPKdPdPKlPlN2at6native12_GLOBAL__N_18offset_tEEE10hipError_tPvRmT1_PNSt15iterator_traitsISY_E10value_typeET2_T3_PNSZ_IS14_E10value_typeET4_jRbjT5_S1A_jjP12ihipStream_tbEUljE_EEESV_SW_SX_S14_S18_S1A_T6_T7_T9_mT8_S1C_bDpT10_ENKUlT_T0_E_clISt17integral_constantIbLb1EES1P_EEDaS1K_S1L_EUlS1K_E_NS1_11comp_targetILNS1_3genE3ELNS1_11target_archE908ELNS1_3gpuE7ELNS1_3repE0EEENS1_30default_config_static_selectorELNS0_4arch9wavefront6targetE0EEEvSY_,"axG",@progbits,_ZN7rocprim17ROCPRIM_400000_NS6detail17trampoline_kernelINS0_13select_configILj256ELj13ELNS0_17block_load_methodE3ELS4_3ELS4_3ELNS0_20block_scan_algorithmE0ELj4294967295EEENS1_25partition_config_selectorILNS1_17partition_subalgoE3EjNS0_10empty_typeEbEEZZNS1_14partition_implILS8_3ELb0ES6_jNS0_17counting_iteratorIjlEEPS9_SE_NS0_5tupleIJPjSE_EEENSF_IJSE_SE_EEES9_SG_JZNS1_25segmented_radix_sort_implINS0_14default_configELb0EPKdPdPKlPlN2at6native12_GLOBAL__N_18offset_tEEE10hipError_tPvRmT1_PNSt15iterator_traitsISY_E10value_typeET2_T3_PNSZ_IS14_E10value_typeET4_jRbjT5_S1A_jjP12ihipStream_tbEUljE_EEESV_SW_SX_S14_S18_S1A_T6_T7_T9_mT8_S1C_bDpT10_ENKUlT_T0_E_clISt17integral_constantIbLb1EES1P_EEDaS1K_S1L_EUlS1K_E_NS1_11comp_targetILNS1_3genE3ELNS1_11target_archE908ELNS1_3gpuE7ELNS1_3repE0EEENS1_30default_config_static_selectorELNS0_4arch9wavefront6targetE0EEEvSY_,comdat
	.globl	_ZN7rocprim17ROCPRIM_400000_NS6detail17trampoline_kernelINS0_13select_configILj256ELj13ELNS0_17block_load_methodE3ELS4_3ELS4_3ELNS0_20block_scan_algorithmE0ELj4294967295EEENS1_25partition_config_selectorILNS1_17partition_subalgoE3EjNS0_10empty_typeEbEEZZNS1_14partition_implILS8_3ELb0ES6_jNS0_17counting_iteratorIjlEEPS9_SE_NS0_5tupleIJPjSE_EEENSF_IJSE_SE_EEES9_SG_JZNS1_25segmented_radix_sort_implINS0_14default_configELb0EPKdPdPKlPlN2at6native12_GLOBAL__N_18offset_tEEE10hipError_tPvRmT1_PNSt15iterator_traitsISY_E10value_typeET2_T3_PNSZ_IS14_E10value_typeET4_jRbjT5_S1A_jjP12ihipStream_tbEUljE_EEESV_SW_SX_S14_S18_S1A_T6_T7_T9_mT8_S1C_bDpT10_ENKUlT_T0_E_clISt17integral_constantIbLb1EES1P_EEDaS1K_S1L_EUlS1K_E_NS1_11comp_targetILNS1_3genE3ELNS1_11target_archE908ELNS1_3gpuE7ELNS1_3repE0EEENS1_30default_config_static_selectorELNS0_4arch9wavefront6targetE0EEEvSY_ ; -- Begin function _ZN7rocprim17ROCPRIM_400000_NS6detail17trampoline_kernelINS0_13select_configILj256ELj13ELNS0_17block_load_methodE3ELS4_3ELS4_3ELNS0_20block_scan_algorithmE0ELj4294967295EEENS1_25partition_config_selectorILNS1_17partition_subalgoE3EjNS0_10empty_typeEbEEZZNS1_14partition_implILS8_3ELb0ES6_jNS0_17counting_iteratorIjlEEPS9_SE_NS0_5tupleIJPjSE_EEENSF_IJSE_SE_EEES9_SG_JZNS1_25segmented_radix_sort_implINS0_14default_configELb0EPKdPdPKlPlN2at6native12_GLOBAL__N_18offset_tEEE10hipError_tPvRmT1_PNSt15iterator_traitsISY_E10value_typeET2_T3_PNSZ_IS14_E10value_typeET4_jRbjT5_S1A_jjP12ihipStream_tbEUljE_EEESV_SW_SX_S14_S18_S1A_T6_T7_T9_mT8_S1C_bDpT10_ENKUlT_T0_E_clISt17integral_constantIbLb1EES1P_EEDaS1K_S1L_EUlS1K_E_NS1_11comp_targetILNS1_3genE3ELNS1_11target_archE908ELNS1_3gpuE7ELNS1_3repE0EEENS1_30default_config_static_selectorELNS0_4arch9wavefront6targetE0EEEvSY_
	.p2align	8
	.type	_ZN7rocprim17ROCPRIM_400000_NS6detail17trampoline_kernelINS0_13select_configILj256ELj13ELNS0_17block_load_methodE3ELS4_3ELS4_3ELNS0_20block_scan_algorithmE0ELj4294967295EEENS1_25partition_config_selectorILNS1_17partition_subalgoE3EjNS0_10empty_typeEbEEZZNS1_14partition_implILS8_3ELb0ES6_jNS0_17counting_iteratorIjlEEPS9_SE_NS0_5tupleIJPjSE_EEENSF_IJSE_SE_EEES9_SG_JZNS1_25segmented_radix_sort_implINS0_14default_configELb0EPKdPdPKlPlN2at6native12_GLOBAL__N_18offset_tEEE10hipError_tPvRmT1_PNSt15iterator_traitsISY_E10value_typeET2_T3_PNSZ_IS14_E10value_typeET4_jRbjT5_S1A_jjP12ihipStream_tbEUljE_EEESV_SW_SX_S14_S18_S1A_T6_T7_T9_mT8_S1C_bDpT10_ENKUlT_T0_E_clISt17integral_constantIbLb1EES1P_EEDaS1K_S1L_EUlS1K_E_NS1_11comp_targetILNS1_3genE3ELNS1_11target_archE908ELNS1_3gpuE7ELNS1_3repE0EEENS1_30default_config_static_selectorELNS0_4arch9wavefront6targetE0EEEvSY_,@function
_ZN7rocprim17ROCPRIM_400000_NS6detail17trampoline_kernelINS0_13select_configILj256ELj13ELNS0_17block_load_methodE3ELS4_3ELS4_3ELNS0_20block_scan_algorithmE0ELj4294967295EEENS1_25partition_config_selectorILNS1_17partition_subalgoE3EjNS0_10empty_typeEbEEZZNS1_14partition_implILS8_3ELb0ES6_jNS0_17counting_iteratorIjlEEPS9_SE_NS0_5tupleIJPjSE_EEENSF_IJSE_SE_EEES9_SG_JZNS1_25segmented_radix_sort_implINS0_14default_configELb0EPKdPdPKlPlN2at6native12_GLOBAL__N_18offset_tEEE10hipError_tPvRmT1_PNSt15iterator_traitsISY_E10value_typeET2_T3_PNSZ_IS14_E10value_typeET4_jRbjT5_S1A_jjP12ihipStream_tbEUljE_EEESV_SW_SX_S14_S18_S1A_T6_T7_T9_mT8_S1C_bDpT10_ENKUlT_T0_E_clISt17integral_constantIbLb1EES1P_EEDaS1K_S1L_EUlS1K_E_NS1_11comp_targetILNS1_3genE3ELNS1_11target_archE908ELNS1_3gpuE7ELNS1_3repE0EEENS1_30default_config_static_selectorELNS0_4arch9wavefront6targetE0EEEvSY_: ; @_ZN7rocprim17ROCPRIM_400000_NS6detail17trampoline_kernelINS0_13select_configILj256ELj13ELNS0_17block_load_methodE3ELS4_3ELS4_3ELNS0_20block_scan_algorithmE0ELj4294967295EEENS1_25partition_config_selectorILNS1_17partition_subalgoE3EjNS0_10empty_typeEbEEZZNS1_14partition_implILS8_3ELb0ES6_jNS0_17counting_iteratorIjlEEPS9_SE_NS0_5tupleIJPjSE_EEENSF_IJSE_SE_EEES9_SG_JZNS1_25segmented_radix_sort_implINS0_14default_configELb0EPKdPdPKlPlN2at6native12_GLOBAL__N_18offset_tEEE10hipError_tPvRmT1_PNSt15iterator_traitsISY_E10value_typeET2_T3_PNSZ_IS14_E10value_typeET4_jRbjT5_S1A_jjP12ihipStream_tbEUljE_EEESV_SW_SX_S14_S18_S1A_T6_T7_T9_mT8_S1C_bDpT10_ENKUlT_T0_E_clISt17integral_constantIbLb1EES1P_EEDaS1K_S1L_EUlS1K_E_NS1_11comp_targetILNS1_3genE3ELNS1_11target_archE908ELNS1_3gpuE7ELNS1_3repE0EEENS1_30default_config_static_selectorELNS0_4arch9wavefront6targetE0EEEvSY_
; %bb.0:
	.section	.rodata,"a",@progbits
	.p2align	6, 0x0
	.amdhsa_kernel _ZN7rocprim17ROCPRIM_400000_NS6detail17trampoline_kernelINS0_13select_configILj256ELj13ELNS0_17block_load_methodE3ELS4_3ELS4_3ELNS0_20block_scan_algorithmE0ELj4294967295EEENS1_25partition_config_selectorILNS1_17partition_subalgoE3EjNS0_10empty_typeEbEEZZNS1_14partition_implILS8_3ELb0ES6_jNS0_17counting_iteratorIjlEEPS9_SE_NS0_5tupleIJPjSE_EEENSF_IJSE_SE_EEES9_SG_JZNS1_25segmented_radix_sort_implINS0_14default_configELb0EPKdPdPKlPlN2at6native12_GLOBAL__N_18offset_tEEE10hipError_tPvRmT1_PNSt15iterator_traitsISY_E10value_typeET2_T3_PNSZ_IS14_E10value_typeET4_jRbjT5_S1A_jjP12ihipStream_tbEUljE_EEESV_SW_SX_S14_S18_S1A_T6_T7_T9_mT8_S1C_bDpT10_ENKUlT_T0_E_clISt17integral_constantIbLb1EES1P_EEDaS1K_S1L_EUlS1K_E_NS1_11comp_targetILNS1_3genE3ELNS1_11target_archE908ELNS1_3gpuE7ELNS1_3repE0EEENS1_30default_config_static_selectorELNS0_4arch9wavefront6targetE0EEEvSY_
		.amdhsa_group_segment_fixed_size 0
		.amdhsa_private_segment_fixed_size 0
		.amdhsa_kernarg_size 152
		.amdhsa_user_sgpr_count 2
		.amdhsa_user_sgpr_dispatch_ptr 0
		.amdhsa_user_sgpr_queue_ptr 0
		.amdhsa_user_sgpr_kernarg_segment_ptr 1
		.amdhsa_user_sgpr_dispatch_id 0
		.amdhsa_user_sgpr_private_segment_size 0
		.amdhsa_wavefront_size32 1
		.amdhsa_uses_dynamic_stack 0
		.amdhsa_enable_private_segment 0
		.amdhsa_system_sgpr_workgroup_id_x 1
		.amdhsa_system_sgpr_workgroup_id_y 0
		.amdhsa_system_sgpr_workgroup_id_z 0
		.amdhsa_system_sgpr_workgroup_info 0
		.amdhsa_system_vgpr_workitem_id 0
		.amdhsa_next_free_vgpr 1
		.amdhsa_next_free_sgpr 1
		.amdhsa_reserve_vcc 0
		.amdhsa_float_round_mode_32 0
		.amdhsa_float_round_mode_16_64 0
		.amdhsa_float_denorm_mode_32 3
		.amdhsa_float_denorm_mode_16_64 3
		.amdhsa_fp16_overflow 0
		.amdhsa_workgroup_processor_mode 1
		.amdhsa_memory_ordered 1
		.amdhsa_forward_progress 1
		.amdhsa_inst_pref_size 0
		.amdhsa_round_robin_scheduling 0
		.amdhsa_exception_fp_ieee_invalid_op 0
		.amdhsa_exception_fp_denorm_src 0
		.amdhsa_exception_fp_ieee_div_zero 0
		.amdhsa_exception_fp_ieee_overflow 0
		.amdhsa_exception_fp_ieee_underflow 0
		.amdhsa_exception_fp_ieee_inexact 0
		.amdhsa_exception_int_div_zero 0
	.end_amdhsa_kernel
	.section	.text._ZN7rocprim17ROCPRIM_400000_NS6detail17trampoline_kernelINS0_13select_configILj256ELj13ELNS0_17block_load_methodE3ELS4_3ELS4_3ELNS0_20block_scan_algorithmE0ELj4294967295EEENS1_25partition_config_selectorILNS1_17partition_subalgoE3EjNS0_10empty_typeEbEEZZNS1_14partition_implILS8_3ELb0ES6_jNS0_17counting_iteratorIjlEEPS9_SE_NS0_5tupleIJPjSE_EEENSF_IJSE_SE_EEES9_SG_JZNS1_25segmented_radix_sort_implINS0_14default_configELb0EPKdPdPKlPlN2at6native12_GLOBAL__N_18offset_tEEE10hipError_tPvRmT1_PNSt15iterator_traitsISY_E10value_typeET2_T3_PNSZ_IS14_E10value_typeET4_jRbjT5_S1A_jjP12ihipStream_tbEUljE_EEESV_SW_SX_S14_S18_S1A_T6_T7_T9_mT8_S1C_bDpT10_ENKUlT_T0_E_clISt17integral_constantIbLb1EES1P_EEDaS1K_S1L_EUlS1K_E_NS1_11comp_targetILNS1_3genE3ELNS1_11target_archE908ELNS1_3gpuE7ELNS1_3repE0EEENS1_30default_config_static_selectorELNS0_4arch9wavefront6targetE0EEEvSY_,"axG",@progbits,_ZN7rocprim17ROCPRIM_400000_NS6detail17trampoline_kernelINS0_13select_configILj256ELj13ELNS0_17block_load_methodE3ELS4_3ELS4_3ELNS0_20block_scan_algorithmE0ELj4294967295EEENS1_25partition_config_selectorILNS1_17partition_subalgoE3EjNS0_10empty_typeEbEEZZNS1_14partition_implILS8_3ELb0ES6_jNS0_17counting_iteratorIjlEEPS9_SE_NS0_5tupleIJPjSE_EEENSF_IJSE_SE_EEES9_SG_JZNS1_25segmented_radix_sort_implINS0_14default_configELb0EPKdPdPKlPlN2at6native12_GLOBAL__N_18offset_tEEE10hipError_tPvRmT1_PNSt15iterator_traitsISY_E10value_typeET2_T3_PNSZ_IS14_E10value_typeET4_jRbjT5_S1A_jjP12ihipStream_tbEUljE_EEESV_SW_SX_S14_S18_S1A_T6_T7_T9_mT8_S1C_bDpT10_ENKUlT_T0_E_clISt17integral_constantIbLb1EES1P_EEDaS1K_S1L_EUlS1K_E_NS1_11comp_targetILNS1_3genE3ELNS1_11target_archE908ELNS1_3gpuE7ELNS1_3repE0EEENS1_30default_config_static_selectorELNS0_4arch9wavefront6targetE0EEEvSY_,comdat
.Lfunc_end1200:
	.size	_ZN7rocprim17ROCPRIM_400000_NS6detail17trampoline_kernelINS0_13select_configILj256ELj13ELNS0_17block_load_methodE3ELS4_3ELS4_3ELNS0_20block_scan_algorithmE0ELj4294967295EEENS1_25partition_config_selectorILNS1_17partition_subalgoE3EjNS0_10empty_typeEbEEZZNS1_14partition_implILS8_3ELb0ES6_jNS0_17counting_iteratorIjlEEPS9_SE_NS0_5tupleIJPjSE_EEENSF_IJSE_SE_EEES9_SG_JZNS1_25segmented_radix_sort_implINS0_14default_configELb0EPKdPdPKlPlN2at6native12_GLOBAL__N_18offset_tEEE10hipError_tPvRmT1_PNSt15iterator_traitsISY_E10value_typeET2_T3_PNSZ_IS14_E10value_typeET4_jRbjT5_S1A_jjP12ihipStream_tbEUljE_EEESV_SW_SX_S14_S18_S1A_T6_T7_T9_mT8_S1C_bDpT10_ENKUlT_T0_E_clISt17integral_constantIbLb1EES1P_EEDaS1K_S1L_EUlS1K_E_NS1_11comp_targetILNS1_3genE3ELNS1_11target_archE908ELNS1_3gpuE7ELNS1_3repE0EEENS1_30default_config_static_selectorELNS0_4arch9wavefront6targetE0EEEvSY_, .Lfunc_end1200-_ZN7rocprim17ROCPRIM_400000_NS6detail17trampoline_kernelINS0_13select_configILj256ELj13ELNS0_17block_load_methodE3ELS4_3ELS4_3ELNS0_20block_scan_algorithmE0ELj4294967295EEENS1_25partition_config_selectorILNS1_17partition_subalgoE3EjNS0_10empty_typeEbEEZZNS1_14partition_implILS8_3ELb0ES6_jNS0_17counting_iteratorIjlEEPS9_SE_NS0_5tupleIJPjSE_EEENSF_IJSE_SE_EEES9_SG_JZNS1_25segmented_radix_sort_implINS0_14default_configELb0EPKdPdPKlPlN2at6native12_GLOBAL__N_18offset_tEEE10hipError_tPvRmT1_PNSt15iterator_traitsISY_E10value_typeET2_T3_PNSZ_IS14_E10value_typeET4_jRbjT5_S1A_jjP12ihipStream_tbEUljE_EEESV_SW_SX_S14_S18_S1A_T6_T7_T9_mT8_S1C_bDpT10_ENKUlT_T0_E_clISt17integral_constantIbLb1EES1P_EEDaS1K_S1L_EUlS1K_E_NS1_11comp_targetILNS1_3genE3ELNS1_11target_archE908ELNS1_3gpuE7ELNS1_3repE0EEENS1_30default_config_static_selectorELNS0_4arch9wavefront6targetE0EEEvSY_
                                        ; -- End function
	.set _ZN7rocprim17ROCPRIM_400000_NS6detail17trampoline_kernelINS0_13select_configILj256ELj13ELNS0_17block_load_methodE3ELS4_3ELS4_3ELNS0_20block_scan_algorithmE0ELj4294967295EEENS1_25partition_config_selectorILNS1_17partition_subalgoE3EjNS0_10empty_typeEbEEZZNS1_14partition_implILS8_3ELb0ES6_jNS0_17counting_iteratorIjlEEPS9_SE_NS0_5tupleIJPjSE_EEENSF_IJSE_SE_EEES9_SG_JZNS1_25segmented_radix_sort_implINS0_14default_configELb0EPKdPdPKlPlN2at6native12_GLOBAL__N_18offset_tEEE10hipError_tPvRmT1_PNSt15iterator_traitsISY_E10value_typeET2_T3_PNSZ_IS14_E10value_typeET4_jRbjT5_S1A_jjP12ihipStream_tbEUljE_EEESV_SW_SX_S14_S18_S1A_T6_T7_T9_mT8_S1C_bDpT10_ENKUlT_T0_E_clISt17integral_constantIbLb1EES1P_EEDaS1K_S1L_EUlS1K_E_NS1_11comp_targetILNS1_3genE3ELNS1_11target_archE908ELNS1_3gpuE7ELNS1_3repE0EEENS1_30default_config_static_selectorELNS0_4arch9wavefront6targetE0EEEvSY_.num_vgpr, 0
	.set _ZN7rocprim17ROCPRIM_400000_NS6detail17trampoline_kernelINS0_13select_configILj256ELj13ELNS0_17block_load_methodE3ELS4_3ELS4_3ELNS0_20block_scan_algorithmE0ELj4294967295EEENS1_25partition_config_selectorILNS1_17partition_subalgoE3EjNS0_10empty_typeEbEEZZNS1_14partition_implILS8_3ELb0ES6_jNS0_17counting_iteratorIjlEEPS9_SE_NS0_5tupleIJPjSE_EEENSF_IJSE_SE_EEES9_SG_JZNS1_25segmented_radix_sort_implINS0_14default_configELb0EPKdPdPKlPlN2at6native12_GLOBAL__N_18offset_tEEE10hipError_tPvRmT1_PNSt15iterator_traitsISY_E10value_typeET2_T3_PNSZ_IS14_E10value_typeET4_jRbjT5_S1A_jjP12ihipStream_tbEUljE_EEESV_SW_SX_S14_S18_S1A_T6_T7_T9_mT8_S1C_bDpT10_ENKUlT_T0_E_clISt17integral_constantIbLb1EES1P_EEDaS1K_S1L_EUlS1K_E_NS1_11comp_targetILNS1_3genE3ELNS1_11target_archE908ELNS1_3gpuE7ELNS1_3repE0EEENS1_30default_config_static_selectorELNS0_4arch9wavefront6targetE0EEEvSY_.num_agpr, 0
	.set _ZN7rocprim17ROCPRIM_400000_NS6detail17trampoline_kernelINS0_13select_configILj256ELj13ELNS0_17block_load_methodE3ELS4_3ELS4_3ELNS0_20block_scan_algorithmE0ELj4294967295EEENS1_25partition_config_selectorILNS1_17partition_subalgoE3EjNS0_10empty_typeEbEEZZNS1_14partition_implILS8_3ELb0ES6_jNS0_17counting_iteratorIjlEEPS9_SE_NS0_5tupleIJPjSE_EEENSF_IJSE_SE_EEES9_SG_JZNS1_25segmented_radix_sort_implINS0_14default_configELb0EPKdPdPKlPlN2at6native12_GLOBAL__N_18offset_tEEE10hipError_tPvRmT1_PNSt15iterator_traitsISY_E10value_typeET2_T3_PNSZ_IS14_E10value_typeET4_jRbjT5_S1A_jjP12ihipStream_tbEUljE_EEESV_SW_SX_S14_S18_S1A_T6_T7_T9_mT8_S1C_bDpT10_ENKUlT_T0_E_clISt17integral_constantIbLb1EES1P_EEDaS1K_S1L_EUlS1K_E_NS1_11comp_targetILNS1_3genE3ELNS1_11target_archE908ELNS1_3gpuE7ELNS1_3repE0EEENS1_30default_config_static_selectorELNS0_4arch9wavefront6targetE0EEEvSY_.numbered_sgpr, 0
	.set _ZN7rocprim17ROCPRIM_400000_NS6detail17trampoline_kernelINS0_13select_configILj256ELj13ELNS0_17block_load_methodE3ELS4_3ELS4_3ELNS0_20block_scan_algorithmE0ELj4294967295EEENS1_25partition_config_selectorILNS1_17partition_subalgoE3EjNS0_10empty_typeEbEEZZNS1_14partition_implILS8_3ELb0ES6_jNS0_17counting_iteratorIjlEEPS9_SE_NS0_5tupleIJPjSE_EEENSF_IJSE_SE_EEES9_SG_JZNS1_25segmented_radix_sort_implINS0_14default_configELb0EPKdPdPKlPlN2at6native12_GLOBAL__N_18offset_tEEE10hipError_tPvRmT1_PNSt15iterator_traitsISY_E10value_typeET2_T3_PNSZ_IS14_E10value_typeET4_jRbjT5_S1A_jjP12ihipStream_tbEUljE_EEESV_SW_SX_S14_S18_S1A_T6_T7_T9_mT8_S1C_bDpT10_ENKUlT_T0_E_clISt17integral_constantIbLb1EES1P_EEDaS1K_S1L_EUlS1K_E_NS1_11comp_targetILNS1_3genE3ELNS1_11target_archE908ELNS1_3gpuE7ELNS1_3repE0EEENS1_30default_config_static_selectorELNS0_4arch9wavefront6targetE0EEEvSY_.num_named_barrier, 0
	.set _ZN7rocprim17ROCPRIM_400000_NS6detail17trampoline_kernelINS0_13select_configILj256ELj13ELNS0_17block_load_methodE3ELS4_3ELS4_3ELNS0_20block_scan_algorithmE0ELj4294967295EEENS1_25partition_config_selectorILNS1_17partition_subalgoE3EjNS0_10empty_typeEbEEZZNS1_14partition_implILS8_3ELb0ES6_jNS0_17counting_iteratorIjlEEPS9_SE_NS0_5tupleIJPjSE_EEENSF_IJSE_SE_EEES9_SG_JZNS1_25segmented_radix_sort_implINS0_14default_configELb0EPKdPdPKlPlN2at6native12_GLOBAL__N_18offset_tEEE10hipError_tPvRmT1_PNSt15iterator_traitsISY_E10value_typeET2_T3_PNSZ_IS14_E10value_typeET4_jRbjT5_S1A_jjP12ihipStream_tbEUljE_EEESV_SW_SX_S14_S18_S1A_T6_T7_T9_mT8_S1C_bDpT10_ENKUlT_T0_E_clISt17integral_constantIbLb1EES1P_EEDaS1K_S1L_EUlS1K_E_NS1_11comp_targetILNS1_3genE3ELNS1_11target_archE908ELNS1_3gpuE7ELNS1_3repE0EEENS1_30default_config_static_selectorELNS0_4arch9wavefront6targetE0EEEvSY_.private_seg_size, 0
	.set _ZN7rocprim17ROCPRIM_400000_NS6detail17trampoline_kernelINS0_13select_configILj256ELj13ELNS0_17block_load_methodE3ELS4_3ELS4_3ELNS0_20block_scan_algorithmE0ELj4294967295EEENS1_25partition_config_selectorILNS1_17partition_subalgoE3EjNS0_10empty_typeEbEEZZNS1_14partition_implILS8_3ELb0ES6_jNS0_17counting_iteratorIjlEEPS9_SE_NS0_5tupleIJPjSE_EEENSF_IJSE_SE_EEES9_SG_JZNS1_25segmented_radix_sort_implINS0_14default_configELb0EPKdPdPKlPlN2at6native12_GLOBAL__N_18offset_tEEE10hipError_tPvRmT1_PNSt15iterator_traitsISY_E10value_typeET2_T3_PNSZ_IS14_E10value_typeET4_jRbjT5_S1A_jjP12ihipStream_tbEUljE_EEESV_SW_SX_S14_S18_S1A_T6_T7_T9_mT8_S1C_bDpT10_ENKUlT_T0_E_clISt17integral_constantIbLb1EES1P_EEDaS1K_S1L_EUlS1K_E_NS1_11comp_targetILNS1_3genE3ELNS1_11target_archE908ELNS1_3gpuE7ELNS1_3repE0EEENS1_30default_config_static_selectorELNS0_4arch9wavefront6targetE0EEEvSY_.uses_vcc, 0
	.set _ZN7rocprim17ROCPRIM_400000_NS6detail17trampoline_kernelINS0_13select_configILj256ELj13ELNS0_17block_load_methodE3ELS4_3ELS4_3ELNS0_20block_scan_algorithmE0ELj4294967295EEENS1_25partition_config_selectorILNS1_17partition_subalgoE3EjNS0_10empty_typeEbEEZZNS1_14partition_implILS8_3ELb0ES6_jNS0_17counting_iteratorIjlEEPS9_SE_NS0_5tupleIJPjSE_EEENSF_IJSE_SE_EEES9_SG_JZNS1_25segmented_radix_sort_implINS0_14default_configELb0EPKdPdPKlPlN2at6native12_GLOBAL__N_18offset_tEEE10hipError_tPvRmT1_PNSt15iterator_traitsISY_E10value_typeET2_T3_PNSZ_IS14_E10value_typeET4_jRbjT5_S1A_jjP12ihipStream_tbEUljE_EEESV_SW_SX_S14_S18_S1A_T6_T7_T9_mT8_S1C_bDpT10_ENKUlT_T0_E_clISt17integral_constantIbLb1EES1P_EEDaS1K_S1L_EUlS1K_E_NS1_11comp_targetILNS1_3genE3ELNS1_11target_archE908ELNS1_3gpuE7ELNS1_3repE0EEENS1_30default_config_static_selectorELNS0_4arch9wavefront6targetE0EEEvSY_.uses_flat_scratch, 0
	.set _ZN7rocprim17ROCPRIM_400000_NS6detail17trampoline_kernelINS0_13select_configILj256ELj13ELNS0_17block_load_methodE3ELS4_3ELS4_3ELNS0_20block_scan_algorithmE0ELj4294967295EEENS1_25partition_config_selectorILNS1_17partition_subalgoE3EjNS0_10empty_typeEbEEZZNS1_14partition_implILS8_3ELb0ES6_jNS0_17counting_iteratorIjlEEPS9_SE_NS0_5tupleIJPjSE_EEENSF_IJSE_SE_EEES9_SG_JZNS1_25segmented_radix_sort_implINS0_14default_configELb0EPKdPdPKlPlN2at6native12_GLOBAL__N_18offset_tEEE10hipError_tPvRmT1_PNSt15iterator_traitsISY_E10value_typeET2_T3_PNSZ_IS14_E10value_typeET4_jRbjT5_S1A_jjP12ihipStream_tbEUljE_EEESV_SW_SX_S14_S18_S1A_T6_T7_T9_mT8_S1C_bDpT10_ENKUlT_T0_E_clISt17integral_constantIbLb1EES1P_EEDaS1K_S1L_EUlS1K_E_NS1_11comp_targetILNS1_3genE3ELNS1_11target_archE908ELNS1_3gpuE7ELNS1_3repE0EEENS1_30default_config_static_selectorELNS0_4arch9wavefront6targetE0EEEvSY_.has_dyn_sized_stack, 0
	.set _ZN7rocprim17ROCPRIM_400000_NS6detail17trampoline_kernelINS0_13select_configILj256ELj13ELNS0_17block_load_methodE3ELS4_3ELS4_3ELNS0_20block_scan_algorithmE0ELj4294967295EEENS1_25partition_config_selectorILNS1_17partition_subalgoE3EjNS0_10empty_typeEbEEZZNS1_14partition_implILS8_3ELb0ES6_jNS0_17counting_iteratorIjlEEPS9_SE_NS0_5tupleIJPjSE_EEENSF_IJSE_SE_EEES9_SG_JZNS1_25segmented_radix_sort_implINS0_14default_configELb0EPKdPdPKlPlN2at6native12_GLOBAL__N_18offset_tEEE10hipError_tPvRmT1_PNSt15iterator_traitsISY_E10value_typeET2_T3_PNSZ_IS14_E10value_typeET4_jRbjT5_S1A_jjP12ihipStream_tbEUljE_EEESV_SW_SX_S14_S18_S1A_T6_T7_T9_mT8_S1C_bDpT10_ENKUlT_T0_E_clISt17integral_constantIbLb1EES1P_EEDaS1K_S1L_EUlS1K_E_NS1_11comp_targetILNS1_3genE3ELNS1_11target_archE908ELNS1_3gpuE7ELNS1_3repE0EEENS1_30default_config_static_selectorELNS0_4arch9wavefront6targetE0EEEvSY_.has_recursion, 0
	.set _ZN7rocprim17ROCPRIM_400000_NS6detail17trampoline_kernelINS0_13select_configILj256ELj13ELNS0_17block_load_methodE3ELS4_3ELS4_3ELNS0_20block_scan_algorithmE0ELj4294967295EEENS1_25partition_config_selectorILNS1_17partition_subalgoE3EjNS0_10empty_typeEbEEZZNS1_14partition_implILS8_3ELb0ES6_jNS0_17counting_iteratorIjlEEPS9_SE_NS0_5tupleIJPjSE_EEENSF_IJSE_SE_EEES9_SG_JZNS1_25segmented_radix_sort_implINS0_14default_configELb0EPKdPdPKlPlN2at6native12_GLOBAL__N_18offset_tEEE10hipError_tPvRmT1_PNSt15iterator_traitsISY_E10value_typeET2_T3_PNSZ_IS14_E10value_typeET4_jRbjT5_S1A_jjP12ihipStream_tbEUljE_EEESV_SW_SX_S14_S18_S1A_T6_T7_T9_mT8_S1C_bDpT10_ENKUlT_T0_E_clISt17integral_constantIbLb1EES1P_EEDaS1K_S1L_EUlS1K_E_NS1_11comp_targetILNS1_3genE3ELNS1_11target_archE908ELNS1_3gpuE7ELNS1_3repE0EEENS1_30default_config_static_selectorELNS0_4arch9wavefront6targetE0EEEvSY_.has_indirect_call, 0
	.section	.AMDGPU.csdata,"",@progbits
; Kernel info:
; codeLenInByte = 0
; TotalNumSgprs: 0
; NumVgprs: 0
; ScratchSize: 0
; MemoryBound: 0
; FloatMode: 240
; IeeeMode: 1
; LDSByteSize: 0 bytes/workgroup (compile time only)
; SGPRBlocks: 0
; VGPRBlocks: 0
; NumSGPRsForWavesPerEU: 1
; NumVGPRsForWavesPerEU: 1
; Occupancy: 16
; WaveLimiterHint : 0
; COMPUTE_PGM_RSRC2:SCRATCH_EN: 0
; COMPUTE_PGM_RSRC2:USER_SGPR: 2
; COMPUTE_PGM_RSRC2:TRAP_HANDLER: 0
; COMPUTE_PGM_RSRC2:TGID_X_EN: 1
; COMPUTE_PGM_RSRC2:TGID_Y_EN: 0
; COMPUTE_PGM_RSRC2:TGID_Z_EN: 0
; COMPUTE_PGM_RSRC2:TIDIG_COMP_CNT: 0
	.section	.text._ZN7rocprim17ROCPRIM_400000_NS6detail17trampoline_kernelINS0_13select_configILj256ELj13ELNS0_17block_load_methodE3ELS4_3ELS4_3ELNS0_20block_scan_algorithmE0ELj4294967295EEENS1_25partition_config_selectorILNS1_17partition_subalgoE3EjNS0_10empty_typeEbEEZZNS1_14partition_implILS8_3ELb0ES6_jNS0_17counting_iteratorIjlEEPS9_SE_NS0_5tupleIJPjSE_EEENSF_IJSE_SE_EEES9_SG_JZNS1_25segmented_radix_sort_implINS0_14default_configELb0EPKdPdPKlPlN2at6native12_GLOBAL__N_18offset_tEEE10hipError_tPvRmT1_PNSt15iterator_traitsISY_E10value_typeET2_T3_PNSZ_IS14_E10value_typeET4_jRbjT5_S1A_jjP12ihipStream_tbEUljE_EEESV_SW_SX_S14_S18_S1A_T6_T7_T9_mT8_S1C_bDpT10_ENKUlT_T0_E_clISt17integral_constantIbLb1EES1P_EEDaS1K_S1L_EUlS1K_E_NS1_11comp_targetILNS1_3genE2ELNS1_11target_archE906ELNS1_3gpuE6ELNS1_3repE0EEENS1_30default_config_static_selectorELNS0_4arch9wavefront6targetE0EEEvSY_,"axG",@progbits,_ZN7rocprim17ROCPRIM_400000_NS6detail17trampoline_kernelINS0_13select_configILj256ELj13ELNS0_17block_load_methodE3ELS4_3ELS4_3ELNS0_20block_scan_algorithmE0ELj4294967295EEENS1_25partition_config_selectorILNS1_17partition_subalgoE3EjNS0_10empty_typeEbEEZZNS1_14partition_implILS8_3ELb0ES6_jNS0_17counting_iteratorIjlEEPS9_SE_NS0_5tupleIJPjSE_EEENSF_IJSE_SE_EEES9_SG_JZNS1_25segmented_radix_sort_implINS0_14default_configELb0EPKdPdPKlPlN2at6native12_GLOBAL__N_18offset_tEEE10hipError_tPvRmT1_PNSt15iterator_traitsISY_E10value_typeET2_T3_PNSZ_IS14_E10value_typeET4_jRbjT5_S1A_jjP12ihipStream_tbEUljE_EEESV_SW_SX_S14_S18_S1A_T6_T7_T9_mT8_S1C_bDpT10_ENKUlT_T0_E_clISt17integral_constantIbLb1EES1P_EEDaS1K_S1L_EUlS1K_E_NS1_11comp_targetILNS1_3genE2ELNS1_11target_archE906ELNS1_3gpuE6ELNS1_3repE0EEENS1_30default_config_static_selectorELNS0_4arch9wavefront6targetE0EEEvSY_,comdat
	.globl	_ZN7rocprim17ROCPRIM_400000_NS6detail17trampoline_kernelINS0_13select_configILj256ELj13ELNS0_17block_load_methodE3ELS4_3ELS4_3ELNS0_20block_scan_algorithmE0ELj4294967295EEENS1_25partition_config_selectorILNS1_17partition_subalgoE3EjNS0_10empty_typeEbEEZZNS1_14partition_implILS8_3ELb0ES6_jNS0_17counting_iteratorIjlEEPS9_SE_NS0_5tupleIJPjSE_EEENSF_IJSE_SE_EEES9_SG_JZNS1_25segmented_radix_sort_implINS0_14default_configELb0EPKdPdPKlPlN2at6native12_GLOBAL__N_18offset_tEEE10hipError_tPvRmT1_PNSt15iterator_traitsISY_E10value_typeET2_T3_PNSZ_IS14_E10value_typeET4_jRbjT5_S1A_jjP12ihipStream_tbEUljE_EEESV_SW_SX_S14_S18_S1A_T6_T7_T9_mT8_S1C_bDpT10_ENKUlT_T0_E_clISt17integral_constantIbLb1EES1P_EEDaS1K_S1L_EUlS1K_E_NS1_11comp_targetILNS1_3genE2ELNS1_11target_archE906ELNS1_3gpuE6ELNS1_3repE0EEENS1_30default_config_static_selectorELNS0_4arch9wavefront6targetE0EEEvSY_ ; -- Begin function _ZN7rocprim17ROCPRIM_400000_NS6detail17trampoline_kernelINS0_13select_configILj256ELj13ELNS0_17block_load_methodE3ELS4_3ELS4_3ELNS0_20block_scan_algorithmE0ELj4294967295EEENS1_25partition_config_selectorILNS1_17partition_subalgoE3EjNS0_10empty_typeEbEEZZNS1_14partition_implILS8_3ELb0ES6_jNS0_17counting_iteratorIjlEEPS9_SE_NS0_5tupleIJPjSE_EEENSF_IJSE_SE_EEES9_SG_JZNS1_25segmented_radix_sort_implINS0_14default_configELb0EPKdPdPKlPlN2at6native12_GLOBAL__N_18offset_tEEE10hipError_tPvRmT1_PNSt15iterator_traitsISY_E10value_typeET2_T3_PNSZ_IS14_E10value_typeET4_jRbjT5_S1A_jjP12ihipStream_tbEUljE_EEESV_SW_SX_S14_S18_S1A_T6_T7_T9_mT8_S1C_bDpT10_ENKUlT_T0_E_clISt17integral_constantIbLb1EES1P_EEDaS1K_S1L_EUlS1K_E_NS1_11comp_targetILNS1_3genE2ELNS1_11target_archE906ELNS1_3gpuE6ELNS1_3repE0EEENS1_30default_config_static_selectorELNS0_4arch9wavefront6targetE0EEEvSY_
	.p2align	8
	.type	_ZN7rocprim17ROCPRIM_400000_NS6detail17trampoline_kernelINS0_13select_configILj256ELj13ELNS0_17block_load_methodE3ELS4_3ELS4_3ELNS0_20block_scan_algorithmE0ELj4294967295EEENS1_25partition_config_selectorILNS1_17partition_subalgoE3EjNS0_10empty_typeEbEEZZNS1_14partition_implILS8_3ELb0ES6_jNS0_17counting_iteratorIjlEEPS9_SE_NS0_5tupleIJPjSE_EEENSF_IJSE_SE_EEES9_SG_JZNS1_25segmented_radix_sort_implINS0_14default_configELb0EPKdPdPKlPlN2at6native12_GLOBAL__N_18offset_tEEE10hipError_tPvRmT1_PNSt15iterator_traitsISY_E10value_typeET2_T3_PNSZ_IS14_E10value_typeET4_jRbjT5_S1A_jjP12ihipStream_tbEUljE_EEESV_SW_SX_S14_S18_S1A_T6_T7_T9_mT8_S1C_bDpT10_ENKUlT_T0_E_clISt17integral_constantIbLb1EES1P_EEDaS1K_S1L_EUlS1K_E_NS1_11comp_targetILNS1_3genE2ELNS1_11target_archE906ELNS1_3gpuE6ELNS1_3repE0EEENS1_30default_config_static_selectorELNS0_4arch9wavefront6targetE0EEEvSY_,@function
_ZN7rocprim17ROCPRIM_400000_NS6detail17trampoline_kernelINS0_13select_configILj256ELj13ELNS0_17block_load_methodE3ELS4_3ELS4_3ELNS0_20block_scan_algorithmE0ELj4294967295EEENS1_25partition_config_selectorILNS1_17partition_subalgoE3EjNS0_10empty_typeEbEEZZNS1_14partition_implILS8_3ELb0ES6_jNS0_17counting_iteratorIjlEEPS9_SE_NS0_5tupleIJPjSE_EEENSF_IJSE_SE_EEES9_SG_JZNS1_25segmented_radix_sort_implINS0_14default_configELb0EPKdPdPKlPlN2at6native12_GLOBAL__N_18offset_tEEE10hipError_tPvRmT1_PNSt15iterator_traitsISY_E10value_typeET2_T3_PNSZ_IS14_E10value_typeET4_jRbjT5_S1A_jjP12ihipStream_tbEUljE_EEESV_SW_SX_S14_S18_S1A_T6_T7_T9_mT8_S1C_bDpT10_ENKUlT_T0_E_clISt17integral_constantIbLb1EES1P_EEDaS1K_S1L_EUlS1K_E_NS1_11comp_targetILNS1_3genE2ELNS1_11target_archE906ELNS1_3gpuE6ELNS1_3repE0EEENS1_30default_config_static_selectorELNS0_4arch9wavefront6targetE0EEEvSY_: ; @_ZN7rocprim17ROCPRIM_400000_NS6detail17trampoline_kernelINS0_13select_configILj256ELj13ELNS0_17block_load_methodE3ELS4_3ELS4_3ELNS0_20block_scan_algorithmE0ELj4294967295EEENS1_25partition_config_selectorILNS1_17partition_subalgoE3EjNS0_10empty_typeEbEEZZNS1_14partition_implILS8_3ELb0ES6_jNS0_17counting_iteratorIjlEEPS9_SE_NS0_5tupleIJPjSE_EEENSF_IJSE_SE_EEES9_SG_JZNS1_25segmented_radix_sort_implINS0_14default_configELb0EPKdPdPKlPlN2at6native12_GLOBAL__N_18offset_tEEE10hipError_tPvRmT1_PNSt15iterator_traitsISY_E10value_typeET2_T3_PNSZ_IS14_E10value_typeET4_jRbjT5_S1A_jjP12ihipStream_tbEUljE_EEESV_SW_SX_S14_S18_S1A_T6_T7_T9_mT8_S1C_bDpT10_ENKUlT_T0_E_clISt17integral_constantIbLb1EES1P_EEDaS1K_S1L_EUlS1K_E_NS1_11comp_targetILNS1_3genE2ELNS1_11target_archE906ELNS1_3gpuE6ELNS1_3repE0EEENS1_30default_config_static_selectorELNS0_4arch9wavefront6targetE0EEEvSY_
; %bb.0:
	.section	.rodata,"a",@progbits
	.p2align	6, 0x0
	.amdhsa_kernel _ZN7rocprim17ROCPRIM_400000_NS6detail17trampoline_kernelINS0_13select_configILj256ELj13ELNS0_17block_load_methodE3ELS4_3ELS4_3ELNS0_20block_scan_algorithmE0ELj4294967295EEENS1_25partition_config_selectorILNS1_17partition_subalgoE3EjNS0_10empty_typeEbEEZZNS1_14partition_implILS8_3ELb0ES6_jNS0_17counting_iteratorIjlEEPS9_SE_NS0_5tupleIJPjSE_EEENSF_IJSE_SE_EEES9_SG_JZNS1_25segmented_radix_sort_implINS0_14default_configELb0EPKdPdPKlPlN2at6native12_GLOBAL__N_18offset_tEEE10hipError_tPvRmT1_PNSt15iterator_traitsISY_E10value_typeET2_T3_PNSZ_IS14_E10value_typeET4_jRbjT5_S1A_jjP12ihipStream_tbEUljE_EEESV_SW_SX_S14_S18_S1A_T6_T7_T9_mT8_S1C_bDpT10_ENKUlT_T0_E_clISt17integral_constantIbLb1EES1P_EEDaS1K_S1L_EUlS1K_E_NS1_11comp_targetILNS1_3genE2ELNS1_11target_archE906ELNS1_3gpuE6ELNS1_3repE0EEENS1_30default_config_static_selectorELNS0_4arch9wavefront6targetE0EEEvSY_
		.amdhsa_group_segment_fixed_size 0
		.amdhsa_private_segment_fixed_size 0
		.amdhsa_kernarg_size 152
		.amdhsa_user_sgpr_count 2
		.amdhsa_user_sgpr_dispatch_ptr 0
		.amdhsa_user_sgpr_queue_ptr 0
		.amdhsa_user_sgpr_kernarg_segment_ptr 1
		.amdhsa_user_sgpr_dispatch_id 0
		.amdhsa_user_sgpr_private_segment_size 0
		.amdhsa_wavefront_size32 1
		.amdhsa_uses_dynamic_stack 0
		.amdhsa_enable_private_segment 0
		.amdhsa_system_sgpr_workgroup_id_x 1
		.amdhsa_system_sgpr_workgroup_id_y 0
		.amdhsa_system_sgpr_workgroup_id_z 0
		.amdhsa_system_sgpr_workgroup_info 0
		.amdhsa_system_vgpr_workitem_id 0
		.amdhsa_next_free_vgpr 1
		.amdhsa_next_free_sgpr 1
		.amdhsa_reserve_vcc 0
		.amdhsa_float_round_mode_32 0
		.amdhsa_float_round_mode_16_64 0
		.amdhsa_float_denorm_mode_32 3
		.amdhsa_float_denorm_mode_16_64 3
		.amdhsa_fp16_overflow 0
		.amdhsa_workgroup_processor_mode 1
		.amdhsa_memory_ordered 1
		.amdhsa_forward_progress 1
		.amdhsa_inst_pref_size 0
		.amdhsa_round_robin_scheduling 0
		.amdhsa_exception_fp_ieee_invalid_op 0
		.amdhsa_exception_fp_denorm_src 0
		.amdhsa_exception_fp_ieee_div_zero 0
		.amdhsa_exception_fp_ieee_overflow 0
		.amdhsa_exception_fp_ieee_underflow 0
		.amdhsa_exception_fp_ieee_inexact 0
		.amdhsa_exception_int_div_zero 0
	.end_amdhsa_kernel
	.section	.text._ZN7rocprim17ROCPRIM_400000_NS6detail17trampoline_kernelINS0_13select_configILj256ELj13ELNS0_17block_load_methodE3ELS4_3ELS4_3ELNS0_20block_scan_algorithmE0ELj4294967295EEENS1_25partition_config_selectorILNS1_17partition_subalgoE3EjNS0_10empty_typeEbEEZZNS1_14partition_implILS8_3ELb0ES6_jNS0_17counting_iteratorIjlEEPS9_SE_NS0_5tupleIJPjSE_EEENSF_IJSE_SE_EEES9_SG_JZNS1_25segmented_radix_sort_implINS0_14default_configELb0EPKdPdPKlPlN2at6native12_GLOBAL__N_18offset_tEEE10hipError_tPvRmT1_PNSt15iterator_traitsISY_E10value_typeET2_T3_PNSZ_IS14_E10value_typeET4_jRbjT5_S1A_jjP12ihipStream_tbEUljE_EEESV_SW_SX_S14_S18_S1A_T6_T7_T9_mT8_S1C_bDpT10_ENKUlT_T0_E_clISt17integral_constantIbLb1EES1P_EEDaS1K_S1L_EUlS1K_E_NS1_11comp_targetILNS1_3genE2ELNS1_11target_archE906ELNS1_3gpuE6ELNS1_3repE0EEENS1_30default_config_static_selectorELNS0_4arch9wavefront6targetE0EEEvSY_,"axG",@progbits,_ZN7rocprim17ROCPRIM_400000_NS6detail17trampoline_kernelINS0_13select_configILj256ELj13ELNS0_17block_load_methodE3ELS4_3ELS4_3ELNS0_20block_scan_algorithmE0ELj4294967295EEENS1_25partition_config_selectorILNS1_17partition_subalgoE3EjNS0_10empty_typeEbEEZZNS1_14partition_implILS8_3ELb0ES6_jNS0_17counting_iteratorIjlEEPS9_SE_NS0_5tupleIJPjSE_EEENSF_IJSE_SE_EEES9_SG_JZNS1_25segmented_radix_sort_implINS0_14default_configELb0EPKdPdPKlPlN2at6native12_GLOBAL__N_18offset_tEEE10hipError_tPvRmT1_PNSt15iterator_traitsISY_E10value_typeET2_T3_PNSZ_IS14_E10value_typeET4_jRbjT5_S1A_jjP12ihipStream_tbEUljE_EEESV_SW_SX_S14_S18_S1A_T6_T7_T9_mT8_S1C_bDpT10_ENKUlT_T0_E_clISt17integral_constantIbLb1EES1P_EEDaS1K_S1L_EUlS1K_E_NS1_11comp_targetILNS1_3genE2ELNS1_11target_archE906ELNS1_3gpuE6ELNS1_3repE0EEENS1_30default_config_static_selectorELNS0_4arch9wavefront6targetE0EEEvSY_,comdat
.Lfunc_end1201:
	.size	_ZN7rocprim17ROCPRIM_400000_NS6detail17trampoline_kernelINS0_13select_configILj256ELj13ELNS0_17block_load_methodE3ELS4_3ELS4_3ELNS0_20block_scan_algorithmE0ELj4294967295EEENS1_25partition_config_selectorILNS1_17partition_subalgoE3EjNS0_10empty_typeEbEEZZNS1_14partition_implILS8_3ELb0ES6_jNS0_17counting_iteratorIjlEEPS9_SE_NS0_5tupleIJPjSE_EEENSF_IJSE_SE_EEES9_SG_JZNS1_25segmented_radix_sort_implINS0_14default_configELb0EPKdPdPKlPlN2at6native12_GLOBAL__N_18offset_tEEE10hipError_tPvRmT1_PNSt15iterator_traitsISY_E10value_typeET2_T3_PNSZ_IS14_E10value_typeET4_jRbjT5_S1A_jjP12ihipStream_tbEUljE_EEESV_SW_SX_S14_S18_S1A_T6_T7_T9_mT8_S1C_bDpT10_ENKUlT_T0_E_clISt17integral_constantIbLb1EES1P_EEDaS1K_S1L_EUlS1K_E_NS1_11comp_targetILNS1_3genE2ELNS1_11target_archE906ELNS1_3gpuE6ELNS1_3repE0EEENS1_30default_config_static_selectorELNS0_4arch9wavefront6targetE0EEEvSY_, .Lfunc_end1201-_ZN7rocprim17ROCPRIM_400000_NS6detail17trampoline_kernelINS0_13select_configILj256ELj13ELNS0_17block_load_methodE3ELS4_3ELS4_3ELNS0_20block_scan_algorithmE0ELj4294967295EEENS1_25partition_config_selectorILNS1_17partition_subalgoE3EjNS0_10empty_typeEbEEZZNS1_14partition_implILS8_3ELb0ES6_jNS0_17counting_iteratorIjlEEPS9_SE_NS0_5tupleIJPjSE_EEENSF_IJSE_SE_EEES9_SG_JZNS1_25segmented_radix_sort_implINS0_14default_configELb0EPKdPdPKlPlN2at6native12_GLOBAL__N_18offset_tEEE10hipError_tPvRmT1_PNSt15iterator_traitsISY_E10value_typeET2_T3_PNSZ_IS14_E10value_typeET4_jRbjT5_S1A_jjP12ihipStream_tbEUljE_EEESV_SW_SX_S14_S18_S1A_T6_T7_T9_mT8_S1C_bDpT10_ENKUlT_T0_E_clISt17integral_constantIbLb1EES1P_EEDaS1K_S1L_EUlS1K_E_NS1_11comp_targetILNS1_3genE2ELNS1_11target_archE906ELNS1_3gpuE6ELNS1_3repE0EEENS1_30default_config_static_selectorELNS0_4arch9wavefront6targetE0EEEvSY_
                                        ; -- End function
	.set _ZN7rocprim17ROCPRIM_400000_NS6detail17trampoline_kernelINS0_13select_configILj256ELj13ELNS0_17block_load_methodE3ELS4_3ELS4_3ELNS0_20block_scan_algorithmE0ELj4294967295EEENS1_25partition_config_selectorILNS1_17partition_subalgoE3EjNS0_10empty_typeEbEEZZNS1_14partition_implILS8_3ELb0ES6_jNS0_17counting_iteratorIjlEEPS9_SE_NS0_5tupleIJPjSE_EEENSF_IJSE_SE_EEES9_SG_JZNS1_25segmented_radix_sort_implINS0_14default_configELb0EPKdPdPKlPlN2at6native12_GLOBAL__N_18offset_tEEE10hipError_tPvRmT1_PNSt15iterator_traitsISY_E10value_typeET2_T3_PNSZ_IS14_E10value_typeET4_jRbjT5_S1A_jjP12ihipStream_tbEUljE_EEESV_SW_SX_S14_S18_S1A_T6_T7_T9_mT8_S1C_bDpT10_ENKUlT_T0_E_clISt17integral_constantIbLb1EES1P_EEDaS1K_S1L_EUlS1K_E_NS1_11comp_targetILNS1_3genE2ELNS1_11target_archE906ELNS1_3gpuE6ELNS1_3repE0EEENS1_30default_config_static_selectorELNS0_4arch9wavefront6targetE0EEEvSY_.num_vgpr, 0
	.set _ZN7rocprim17ROCPRIM_400000_NS6detail17trampoline_kernelINS0_13select_configILj256ELj13ELNS0_17block_load_methodE3ELS4_3ELS4_3ELNS0_20block_scan_algorithmE0ELj4294967295EEENS1_25partition_config_selectorILNS1_17partition_subalgoE3EjNS0_10empty_typeEbEEZZNS1_14partition_implILS8_3ELb0ES6_jNS0_17counting_iteratorIjlEEPS9_SE_NS0_5tupleIJPjSE_EEENSF_IJSE_SE_EEES9_SG_JZNS1_25segmented_radix_sort_implINS0_14default_configELb0EPKdPdPKlPlN2at6native12_GLOBAL__N_18offset_tEEE10hipError_tPvRmT1_PNSt15iterator_traitsISY_E10value_typeET2_T3_PNSZ_IS14_E10value_typeET4_jRbjT5_S1A_jjP12ihipStream_tbEUljE_EEESV_SW_SX_S14_S18_S1A_T6_T7_T9_mT8_S1C_bDpT10_ENKUlT_T0_E_clISt17integral_constantIbLb1EES1P_EEDaS1K_S1L_EUlS1K_E_NS1_11comp_targetILNS1_3genE2ELNS1_11target_archE906ELNS1_3gpuE6ELNS1_3repE0EEENS1_30default_config_static_selectorELNS0_4arch9wavefront6targetE0EEEvSY_.num_agpr, 0
	.set _ZN7rocprim17ROCPRIM_400000_NS6detail17trampoline_kernelINS0_13select_configILj256ELj13ELNS0_17block_load_methodE3ELS4_3ELS4_3ELNS0_20block_scan_algorithmE0ELj4294967295EEENS1_25partition_config_selectorILNS1_17partition_subalgoE3EjNS0_10empty_typeEbEEZZNS1_14partition_implILS8_3ELb0ES6_jNS0_17counting_iteratorIjlEEPS9_SE_NS0_5tupleIJPjSE_EEENSF_IJSE_SE_EEES9_SG_JZNS1_25segmented_radix_sort_implINS0_14default_configELb0EPKdPdPKlPlN2at6native12_GLOBAL__N_18offset_tEEE10hipError_tPvRmT1_PNSt15iterator_traitsISY_E10value_typeET2_T3_PNSZ_IS14_E10value_typeET4_jRbjT5_S1A_jjP12ihipStream_tbEUljE_EEESV_SW_SX_S14_S18_S1A_T6_T7_T9_mT8_S1C_bDpT10_ENKUlT_T0_E_clISt17integral_constantIbLb1EES1P_EEDaS1K_S1L_EUlS1K_E_NS1_11comp_targetILNS1_3genE2ELNS1_11target_archE906ELNS1_3gpuE6ELNS1_3repE0EEENS1_30default_config_static_selectorELNS0_4arch9wavefront6targetE0EEEvSY_.numbered_sgpr, 0
	.set _ZN7rocprim17ROCPRIM_400000_NS6detail17trampoline_kernelINS0_13select_configILj256ELj13ELNS0_17block_load_methodE3ELS4_3ELS4_3ELNS0_20block_scan_algorithmE0ELj4294967295EEENS1_25partition_config_selectorILNS1_17partition_subalgoE3EjNS0_10empty_typeEbEEZZNS1_14partition_implILS8_3ELb0ES6_jNS0_17counting_iteratorIjlEEPS9_SE_NS0_5tupleIJPjSE_EEENSF_IJSE_SE_EEES9_SG_JZNS1_25segmented_radix_sort_implINS0_14default_configELb0EPKdPdPKlPlN2at6native12_GLOBAL__N_18offset_tEEE10hipError_tPvRmT1_PNSt15iterator_traitsISY_E10value_typeET2_T3_PNSZ_IS14_E10value_typeET4_jRbjT5_S1A_jjP12ihipStream_tbEUljE_EEESV_SW_SX_S14_S18_S1A_T6_T7_T9_mT8_S1C_bDpT10_ENKUlT_T0_E_clISt17integral_constantIbLb1EES1P_EEDaS1K_S1L_EUlS1K_E_NS1_11comp_targetILNS1_3genE2ELNS1_11target_archE906ELNS1_3gpuE6ELNS1_3repE0EEENS1_30default_config_static_selectorELNS0_4arch9wavefront6targetE0EEEvSY_.num_named_barrier, 0
	.set _ZN7rocprim17ROCPRIM_400000_NS6detail17trampoline_kernelINS0_13select_configILj256ELj13ELNS0_17block_load_methodE3ELS4_3ELS4_3ELNS0_20block_scan_algorithmE0ELj4294967295EEENS1_25partition_config_selectorILNS1_17partition_subalgoE3EjNS0_10empty_typeEbEEZZNS1_14partition_implILS8_3ELb0ES6_jNS0_17counting_iteratorIjlEEPS9_SE_NS0_5tupleIJPjSE_EEENSF_IJSE_SE_EEES9_SG_JZNS1_25segmented_radix_sort_implINS0_14default_configELb0EPKdPdPKlPlN2at6native12_GLOBAL__N_18offset_tEEE10hipError_tPvRmT1_PNSt15iterator_traitsISY_E10value_typeET2_T3_PNSZ_IS14_E10value_typeET4_jRbjT5_S1A_jjP12ihipStream_tbEUljE_EEESV_SW_SX_S14_S18_S1A_T6_T7_T9_mT8_S1C_bDpT10_ENKUlT_T0_E_clISt17integral_constantIbLb1EES1P_EEDaS1K_S1L_EUlS1K_E_NS1_11comp_targetILNS1_3genE2ELNS1_11target_archE906ELNS1_3gpuE6ELNS1_3repE0EEENS1_30default_config_static_selectorELNS0_4arch9wavefront6targetE0EEEvSY_.private_seg_size, 0
	.set _ZN7rocprim17ROCPRIM_400000_NS6detail17trampoline_kernelINS0_13select_configILj256ELj13ELNS0_17block_load_methodE3ELS4_3ELS4_3ELNS0_20block_scan_algorithmE0ELj4294967295EEENS1_25partition_config_selectorILNS1_17partition_subalgoE3EjNS0_10empty_typeEbEEZZNS1_14partition_implILS8_3ELb0ES6_jNS0_17counting_iteratorIjlEEPS9_SE_NS0_5tupleIJPjSE_EEENSF_IJSE_SE_EEES9_SG_JZNS1_25segmented_radix_sort_implINS0_14default_configELb0EPKdPdPKlPlN2at6native12_GLOBAL__N_18offset_tEEE10hipError_tPvRmT1_PNSt15iterator_traitsISY_E10value_typeET2_T3_PNSZ_IS14_E10value_typeET4_jRbjT5_S1A_jjP12ihipStream_tbEUljE_EEESV_SW_SX_S14_S18_S1A_T6_T7_T9_mT8_S1C_bDpT10_ENKUlT_T0_E_clISt17integral_constantIbLb1EES1P_EEDaS1K_S1L_EUlS1K_E_NS1_11comp_targetILNS1_3genE2ELNS1_11target_archE906ELNS1_3gpuE6ELNS1_3repE0EEENS1_30default_config_static_selectorELNS0_4arch9wavefront6targetE0EEEvSY_.uses_vcc, 0
	.set _ZN7rocprim17ROCPRIM_400000_NS6detail17trampoline_kernelINS0_13select_configILj256ELj13ELNS0_17block_load_methodE3ELS4_3ELS4_3ELNS0_20block_scan_algorithmE0ELj4294967295EEENS1_25partition_config_selectorILNS1_17partition_subalgoE3EjNS0_10empty_typeEbEEZZNS1_14partition_implILS8_3ELb0ES6_jNS0_17counting_iteratorIjlEEPS9_SE_NS0_5tupleIJPjSE_EEENSF_IJSE_SE_EEES9_SG_JZNS1_25segmented_radix_sort_implINS0_14default_configELb0EPKdPdPKlPlN2at6native12_GLOBAL__N_18offset_tEEE10hipError_tPvRmT1_PNSt15iterator_traitsISY_E10value_typeET2_T3_PNSZ_IS14_E10value_typeET4_jRbjT5_S1A_jjP12ihipStream_tbEUljE_EEESV_SW_SX_S14_S18_S1A_T6_T7_T9_mT8_S1C_bDpT10_ENKUlT_T0_E_clISt17integral_constantIbLb1EES1P_EEDaS1K_S1L_EUlS1K_E_NS1_11comp_targetILNS1_3genE2ELNS1_11target_archE906ELNS1_3gpuE6ELNS1_3repE0EEENS1_30default_config_static_selectorELNS0_4arch9wavefront6targetE0EEEvSY_.uses_flat_scratch, 0
	.set _ZN7rocprim17ROCPRIM_400000_NS6detail17trampoline_kernelINS0_13select_configILj256ELj13ELNS0_17block_load_methodE3ELS4_3ELS4_3ELNS0_20block_scan_algorithmE0ELj4294967295EEENS1_25partition_config_selectorILNS1_17partition_subalgoE3EjNS0_10empty_typeEbEEZZNS1_14partition_implILS8_3ELb0ES6_jNS0_17counting_iteratorIjlEEPS9_SE_NS0_5tupleIJPjSE_EEENSF_IJSE_SE_EEES9_SG_JZNS1_25segmented_radix_sort_implINS0_14default_configELb0EPKdPdPKlPlN2at6native12_GLOBAL__N_18offset_tEEE10hipError_tPvRmT1_PNSt15iterator_traitsISY_E10value_typeET2_T3_PNSZ_IS14_E10value_typeET4_jRbjT5_S1A_jjP12ihipStream_tbEUljE_EEESV_SW_SX_S14_S18_S1A_T6_T7_T9_mT8_S1C_bDpT10_ENKUlT_T0_E_clISt17integral_constantIbLb1EES1P_EEDaS1K_S1L_EUlS1K_E_NS1_11comp_targetILNS1_3genE2ELNS1_11target_archE906ELNS1_3gpuE6ELNS1_3repE0EEENS1_30default_config_static_selectorELNS0_4arch9wavefront6targetE0EEEvSY_.has_dyn_sized_stack, 0
	.set _ZN7rocprim17ROCPRIM_400000_NS6detail17trampoline_kernelINS0_13select_configILj256ELj13ELNS0_17block_load_methodE3ELS4_3ELS4_3ELNS0_20block_scan_algorithmE0ELj4294967295EEENS1_25partition_config_selectorILNS1_17partition_subalgoE3EjNS0_10empty_typeEbEEZZNS1_14partition_implILS8_3ELb0ES6_jNS0_17counting_iteratorIjlEEPS9_SE_NS0_5tupleIJPjSE_EEENSF_IJSE_SE_EEES9_SG_JZNS1_25segmented_radix_sort_implINS0_14default_configELb0EPKdPdPKlPlN2at6native12_GLOBAL__N_18offset_tEEE10hipError_tPvRmT1_PNSt15iterator_traitsISY_E10value_typeET2_T3_PNSZ_IS14_E10value_typeET4_jRbjT5_S1A_jjP12ihipStream_tbEUljE_EEESV_SW_SX_S14_S18_S1A_T6_T7_T9_mT8_S1C_bDpT10_ENKUlT_T0_E_clISt17integral_constantIbLb1EES1P_EEDaS1K_S1L_EUlS1K_E_NS1_11comp_targetILNS1_3genE2ELNS1_11target_archE906ELNS1_3gpuE6ELNS1_3repE0EEENS1_30default_config_static_selectorELNS0_4arch9wavefront6targetE0EEEvSY_.has_recursion, 0
	.set _ZN7rocprim17ROCPRIM_400000_NS6detail17trampoline_kernelINS0_13select_configILj256ELj13ELNS0_17block_load_methodE3ELS4_3ELS4_3ELNS0_20block_scan_algorithmE0ELj4294967295EEENS1_25partition_config_selectorILNS1_17partition_subalgoE3EjNS0_10empty_typeEbEEZZNS1_14partition_implILS8_3ELb0ES6_jNS0_17counting_iteratorIjlEEPS9_SE_NS0_5tupleIJPjSE_EEENSF_IJSE_SE_EEES9_SG_JZNS1_25segmented_radix_sort_implINS0_14default_configELb0EPKdPdPKlPlN2at6native12_GLOBAL__N_18offset_tEEE10hipError_tPvRmT1_PNSt15iterator_traitsISY_E10value_typeET2_T3_PNSZ_IS14_E10value_typeET4_jRbjT5_S1A_jjP12ihipStream_tbEUljE_EEESV_SW_SX_S14_S18_S1A_T6_T7_T9_mT8_S1C_bDpT10_ENKUlT_T0_E_clISt17integral_constantIbLb1EES1P_EEDaS1K_S1L_EUlS1K_E_NS1_11comp_targetILNS1_3genE2ELNS1_11target_archE906ELNS1_3gpuE6ELNS1_3repE0EEENS1_30default_config_static_selectorELNS0_4arch9wavefront6targetE0EEEvSY_.has_indirect_call, 0
	.section	.AMDGPU.csdata,"",@progbits
; Kernel info:
; codeLenInByte = 0
; TotalNumSgprs: 0
; NumVgprs: 0
; ScratchSize: 0
; MemoryBound: 0
; FloatMode: 240
; IeeeMode: 1
; LDSByteSize: 0 bytes/workgroup (compile time only)
; SGPRBlocks: 0
; VGPRBlocks: 0
; NumSGPRsForWavesPerEU: 1
; NumVGPRsForWavesPerEU: 1
; Occupancy: 16
; WaveLimiterHint : 0
; COMPUTE_PGM_RSRC2:SCRATCH_EN: 0
; COMPUTE_PGM_RSRC2:USER_SGPR: 2
; COMPUTE_PGM_RSRC2:TRAP_HANDLER: 0
; COMPUTE_PGM_RSRC2:TGID_X_EN: 1
; COMPUTE_PGM_RSRC2:TGID_Y_EN: 0
; COMPUTE_PGM_RSRC2:TGID_Z_EN: 0
; COMPUTE_PGM_RSRC2:TIDIG_COMP_CNT: 0
	.section	.text._ZN7rocprim17ROCPRIM_400000_NS6detail17trampoline_kernelINS0_13select_configILj256ELj13ELNS0_17block_load_methodE3ELS4_3ELS4_3ELNS0_20block_scan_algorithmE0ELj4294967295EEENS1_25partition_config_selectorILNS1_17partition_subalgoE3EjNS0_10empty_typeEbEEZZNS1_14partition_implILS8_3ELb0ES6_jNS0_17counting_iteratorIjlEEPS9_SE_NS0_5tupleIJPjSE_EEENSF_IJSE_SE_EEES9_SG_JZNS1_25segmented_radix_sort_implINS0_14default_configELb0EPKdPdPKlPlN2at6native12_GLOBAL__N_18offset_tEEE10hipError_tPvRmT1_PNSt15iterator_traitsISY_E10value_typeET2_T3_PNSZ_IS14_E10value_typeET4_jRbjT5_S1A_jjP12ihipStream_tbEUljE_EEESV_SW_SX_S14_S18_S1A_T6_T7_T9_mT8_S1C_bDpT10_ENKUlT_T0_E_clISt17integral_constantIbLb1EES1P_EEDaS1K_S1L_EUlS1K_E_NS1_11comp_targetILNS1_3genE10ELNS1_11target_archE1200ELNS1_3gpuE4ELNS1_3repE0EEENS1_30default_config_static_selectorELNS0_4arch9wavefront6targetE0EEEvSY_,"axG",@progbits,_ZN7rocprim17ROCPRIM_400000_NS6detail17trampoline_kernelINS0_13select_configILj256ELj13ELNS0_17block_load_methodE3ELS4_3ELS4_3ELNS0_20block_scan_algorithmE0ELj4294967295EEENS1_25partition_config_selectorILNS1_17partition_subalgoE3EjNS0_10empty_typeEbEEZZNS1_14partition_implILS8_3ELb0ES6_jNS0_17counting_iteratorIjlEEPS9_SE_NS0_5tupleIJPjSE_EEENSF_IJSE_SE_EEES9_SG_JZNS1_25segmented_radix_sort_implINS0_14default_configELb0EPKdPdPKlPlN2at6native12_GLOBAL__N_18offset_tEEE10hipError_tPvRmT1_PNSt15iterator_traitsISY_E10value_typeET2_T3_PNSZ_IS14_E10value_typeET4_jRbjT5_S1A_jjP12ihipStream_tbEUljE_EEESV_SW_SX_S14_S18_S1A_T6_T7_T9_mT8_S1C_bDpT10_ENKUlT_T0_E_clISt17integral_constantIbLb1EES1P_EEDaS1K_S1L_EUlS1K_E_NS1_11comp_targetILNS1_3genE10ELNS1_11target_archE1200ELNS1_3gpuE4ELNS1_3repE0EEENS1_30default_config_static_selectorELNS0_4arch9wavefront6targetE0EEEvSY_,comdat
	.globl	_ZN7rocprim17ROCPRIM_400000_NS6detail17trampoline_kernelINS0_13select_configILj256ELj13ELNS0_17block_load_methodE3ELS4_3ELS4_3ELNS0_20block_scan_algorithmE0ELj4294967295EEENS1_25partition_config_selectorILNS1_17partition_subalgoE3EjNS0_10empty_typeEbEEZZNS1_14partition_implILS8_3ELb0ES6_jNS0_17counting_iteratorIjlEEPS9_SE_NS0_5tupleIJPjSE_EEENSF_IJSE_SE_EEES9_SG_JZNS1_25segmented_radix_sort_implINS0_14default_configELb0EPKdPdPKlPlN2at6native12_GLOBAL__N_18offset_tEEE10hipError_tPvRmT1_PNSt15iterator_traitsISY_E10value_typeET2_T3_PNSZ_IS14_E10value_typeET4_jRbjT5_S1A_jjP12ihipStream_tbEUljE_EEESV_SW_SX_S14_S18_S1A_T6_T7_T9_mT8_S1C_bDpT10_ENKUlT_T0_E_clISt17integral_constantIbLb1EES1P_EEDaS1K_S1L_EUlS1K_E_NS1_11comp_targetILNS1_3genE10ELNS1_11target_archE1200ELNS1_3gpuE4ELNS1_3repE0EEENS1_30default_config_static_selectorELNS0_4arch9wavefront6targetE0EEEvSY_ ; -- Begin function _ZN7rocprim17ROCPRIM_400000_NS6detail17trampoline_kernelINS0_13select_configILj256ELj13ELNS0_17block_load_methodE3ELS4_3ELS4_3ELNS0_20block_scan_algorithmE0ELj4294967295EEENS1_25partition_config_selectorILNS1_17partition_subalgoE3EjNS0_10empty_typeEbEEZZNS1_14partition_implILS8_3ELb0ES6_jNS0_17counting_iteratorIjlEEPS9_SE_NS0_5tupleIJPjSE_EEENSF_IJSE_SE_EEES9_SG_JZNS1_25segmented_radix_sort_implINS0_14default_configELb0EPKdPdPKlPlN2at6native12_GLOBAL__N_18offset_tEEE10hipError_tPvRmT1_PNSt15iterator_traitsISY_E10value_typeET2_T3_PNSZ_IS14_E10value_typeET4_jRbjT5_S1A_jjP12ihipStream_tbEUljE_EEESV_SW_SX_S14_S18_S1A_T6_T7_T9_mT8_S1C_bDpT10_ENKUlT_T0_E_clISt17integral_constantIbLb1EES1P_EEDaS1K_S1L_EUlS1K_E_NS1_11comp_targetILNS1_3genE10ELNS1_11target_archE1200ELNS1_3gpuE4ELNS1_3repE0EEENS1_30default_config_static_selectorELNS0_4arch9wavefront6targetE0EEEvSY_
	.p2align	8
	.type	_ZN7rocprim17ROCPRIM_400000_NS6detail17trampoline_kernelINS0_13select_configILj256ELj13ELNS0_17block_load_methodE3ELS4_3ELS4_3ELNS0_20block_scan_algorithmE0ELj4294967295EEENS1_25partition_config_selectorILNS1_17partition_subalgoE3EjNS0_10empty_typeEbEEZZNS1_14partition_implILS8_3ELb0ES6_jNS0_17counting_iteratorIjlEEPS9_SE_NS0_5tupleIJPjSE_EEENSF_IJSE_SE_EEES9_SG_JZNS1_25segmented_radix_sort_implINS0_14default_configELb0EPKdPdPKlPlN2at6native12_GLOBAL__N_18offset_tEEE10hipError_tPvRmT1_PNSt15iterator_traitsISY_E10value_typeET2_T3_PNSZ_IS14_E10value_typeET4_jRbjT5_S1A_jjP12ihipStream_tbEUljE_EEESV_SW_SX_S14_S18_S1A_T6_T7_T9_mT8_S1C_bDpT10_ENKUlT_T0_E_clISt17integral_constantIbLb1EES1P_EEDaS1K_S1L_EUlS1K_E_NS1_11comp_targetILNS1_3genE10ELNS1_11target_archE1200ELNS1_3gpuE4ELNS1_3repE0EEENS1_30default_config_static_selectorELNS0_4arch9wavefront6targetE0EEEvSY_,@function
_ZN7rocprim17ROCPRIM_400000_NS6detail17trampoline_kernelINS0_13select_configILj256ELj13ELNS0_17block_load_methodE3ELS4_3ELS4_3ELNS0_20block_scan_algorithmE0ELj4294967295EEENS1_25partition_config_selectorILNS1_17partition_subalgoE3EjNS0_10empty_typeEbEEZZNS1_14partition_implILS8_3ELb0ES6_jNS0_17counting_iteratorIjlEEPS9_SE_NS0_5tupleIJPjSE_EEENSF_IJSE_SE_EEES9_SG_JZNS1_25segmented_radix_sort_implINS0_14default_configELb0EPKdPdPKlPlN2at6native12_GLOBAL__N_18offset_tEEE10hipError_tPvRmT1_PNSt15iterator_traitsISY_E10value_typeET2_T3_PNSZ_IS14_E10value_typeET4_jRbjT5_S1A_jjP12ihipStream_tbEUljE_EEESV_SW_SX_S14_S18_S1A_T6_T7_T9_mT8_S1C_bDpT10_ENKUlT_T0_E_clISt17integral_constantIbLb1EES1P_EEDaS1K_S1L_EUlS1K_E_NS1_11comp_targetILNS1_3genE10ELNS1_11target_archE1200ELNS1_3gpuE4ELNS1_3repE0EEENS1_30default_config_static_selectorELNS0_4arch9wavefront6targetE0EEEvSY_: ; @_ZN7rocprim17ROCPRIM_400000_NS6detail17trampoline_kernelINS0_13select_configILj256ELj13ELNS0_17block_load_methodE3ELS4_3ELS4_3ELNS0_20block_scan_algorithmE0ELj4294967295EEENS1_25partition_config_selectorILNS1_17partition_subalgoE3EjNS0_10empty_typeEbEEZZNS1_14partition_implILS8_3ELb0ES6_jNS0_17counting_iteratorIjlEEPS9_SE_NS0_5tupleIJPjSE_EEENSF_IJSE_SE_EEES9_SG_JZNS1_25segmented_radix_sort_implINS0_14default_configELb0EPKdPdPKlPlN2at6native12_GLOBAL__N_18offset_tEEE10hipError_tPvRmT1_PNSt15iterator_traitsISY_E10value_typeET2_T3_PNSZ_IS14_E10value_typeET4_jRbjT5_S1A_jjP12ihipStream_tbEUljE_EEESV_SW_SX_S14_S18_S1A_T6_T7_T9_mT8_S1C_bDpT10_ENKUlT_T0_E_clISt17integral_constantIbLb1EES1P_EEDaS1K_S1L_EUlS1K_E_NS1_11comp_targetILNS1_3genE10ELNS1_11target_archE1200ELNS1_3gpuE4ELNS1_3repE0EEENS1_30default_config_static_selectorELNS0_4arch9wavefront6targetE0EEEvSY_
; %bb.0:
	s_endpgm
	.section	.rodata,"a",@progbits
	.p2align	6, 0x0
	.amdhsa_kernel _ZN7rocprim17ROCPRIM_400000_NS6detail17trampoline_kernelINS0_13select_configILj256ELj13ELNS0_17block_load_methodE3ELS4_3ELS4_3ELNS0_20block_scan_algorithmE0ELj4294967295EEENS1_25partition_config_selectorILNS1_17partition_subalgoE3EjNS0_10empty_typeEbEEZZNS1_14partition_implILS8_3ELb0ES6_jNS0_17counting_iteratorIjlEEPS9_SE_NS0_5tupleIJPjSE_EEENSF_IJSE_SE_EEES9_SG_JZNS1_25segmented_radix_sort_implINS0_14default_configELb0EPKdPdPKlPlN2at6native12_GLOBAL__N_18offset_tEEE10hipError_tPvRmT1_PNSt15iterator_traitsISY_E10value_typeET2_T3_PNSZ_IS14_E10value_typeET4_jRbjT5_S1A_jjP12ihipStream_tbEUljE_EEESV_SW_SX_S14_S18_S1A_T6_T7_T9_mT8_S1C_bDpT10_ENKUlT_T0_E_clISt17integral_constantIbLb1EES1P_EEDaS1K_S1L_EUlS1K_E_NS1_11comp_targetILNS1_3genE10ELNS1_11target_archE1200ELNS1_3gpuE4ELNS1_3repE0EEENS1_30default_config_static_selectorELNS0_4arch9wavefront6targetE0EEEvSY_
		.amdhsa_group_segment_fixed_size 0
		.amdhsa_private_segment_fixed_size 0
		.amdhsa_kernarg_size 152
		.amdhsa_user_sgpr_count 2
		.amdhsa_user_sgpr_dispatch_ptr 0
		.amdhsa_user_sgpr_queue_ptr 0
		.amdhsa_user_sgpr_kernarg_segment_ptr 1
		.amdhsa_user_sgpr_dispatch_id 0
		.amdhsa_user_sgpr_private_segment_size 0
		.amdhsa_wavefront_size32 1
		.amdhsa_uses_dynamic_stack 0
		.amdhsa_enable_private_segment 0
		.amdhsa_system_sgpr_workgroup_id_x 1
		.amdhsa_system_sgpr_workgroup_id_y 0
		.amdhsa_system_sgpr_workgroup_id_z 0
		.amdhsa_system_sgpr_workgroup_info 0
		.amdhsa_system_vgpr_workitem_id 0
		.amdhsa_next_free_vgpr 1
		.amdhsa_next_free_sgpr 1
		.amdhsa_reserve_vcc 0
		.amdhsa_float_round_mode_32 0
		.amdhsa_float_round_mode_16_64 0
		.amdhsa_float_denorm_mode_32 3
		.amdhsa_float_denorm_mode_16_64 3
		.amdhsa_fp16_overflow 0
		.amdhsa_workgroup_processor_mode 1
		.amdhsa_memory_ordered 1
		.amdhsa_forward_progress 1
		.amdhsa_inst_pref_size 1
		.amdhsa_round_robin_scheduling 0
		.amdhsa_exception_fp_ieee_invalid_op 0
		.amdhsa_exception_fp_denorm_src 0
		.amdhsa_exception_fp_ieee_div_zero 0
		.amdhsa_exception_fp_ieee_overflow 0
		.amdhsa_exception_fp_ieee_underflow 0
		.amdhsa_exception_fp_ieee_inexact 0
		.amdhsa_exception_int_div_zero 0
	.end_amdhsa_kernel
	.section	.text._ZN7rocprim17ROCPRIM_400000_NS6detail17trampoline_kernelINS0_13select_configILj256ELj13ELNS0_17block_load_methodE3ELS4_3ELS4_3ELNS0_20block_scan_algorithmE0ELj4294967295EEENS1_25partition_config_selectorILNS1_17partition_subalgoE3EjNS0_10empty_typeEbEEZZNS1_14partition_implILS8_3ELb0ES6_jNS0_17counting_iteratorIjlEEPS9_SE_NS0_5tupleIJPjSE_EEENSF_IJSE_SE_EEES9_SG_JZNS1_25segmented_radix_sort_implINS0_14default_configELb0EPKdPdPKlPlN2at6native12_GLOBAL__N_18offset_tEEE10hipError_tPvRmT1_PNSt15iterator_traitsISY_E10value_typeET2_T3_PNSZ_IS14_E10value_typeET4_jRbjT5_S1A_jjP12ihipStream_tbEUljE_EEESV_SW_SX_S14_S18_S1A_T6_T7_T9_mT8_S1C_bDpT10_ENKUlT_T0_E_clISt17integral_constantIbLb1EES1P_EEDaS1K_S1L_EUlS1K_E_NS1_11comp_targetILNS1_3genE10ELNS1_11target_archE1200ELNS1_3gpuE4ELNS1_3repE0EEENS1_30default_config_static_selectorELNS0_4arch9wavefront6targetE0EEEvSY_,"axG",@progbits,_ZN7rocprim17ROCPRIM_400000_NS6detail17trampoline_kernelINS0_13select_configILj256ELj13ELNS0_17block_load_methodE3ELS4_3ELS4_3ELNS0_20block_scan_algorithmE0ELj4294967295EEENS1_25partition_config_selectorILNS1_17partition_subalgoE3EjNS0_10empty_typeEbEEZZNS1_14partition_implILS8_3ELb0ES6_jNS0_17counting_iteratorIjlEEPS9_SE_NS0_5tupleIJPjSE_EEENSF_IJSE_SE_EEES9_SG_JZNS1_25segmented_radix_sort_implINS0_14default_configELb0EPKdPdPKlPlN2at6native12_GLOBAL__N_18offset_tEEE10hipError_tPvRmT1_PNSt15iterator_traitsISY_E10value_typeET2_T3_PNSZ_IS14_E10value_typeET4_jRbjT5_S1A_jjP12ihipStream_tbEUljE_EEESV_SW_SX_S14_S18_S1A_T6_T7_T9_mT8_S1C_bDpT10_ENKUlT_T0_E_clISt17integral_constantIbLb1EES1P_EEDaS1K_S1L_EUlS1K_E_NS1_11comp_targetILNS1_3genE10ELNS1_11target_archE1200ELNS1_3gpuE4ELNS1_3repE0EEENS1_30default_config_static_selectorELNS0_4arch9wavefront6targetE0EEEvSY_,comdat
.Lfunc_end1202:
	.size	_ZN7rocprim17ROCPRIM_400000_NS6detail17trampoline_kernelINS0_13select_configILj256ELj13ELNS0_17block_load_methodE3ELS4_3ELS4_3ELNS0_20block_scan_algorithmE0ELj4294967295EEENS1_25partition_config_selectorILNS1_17partition_subalgoE3EjNS0_10empty_typeEbEEZZNS1_14partition_implILS8_3ELb0ES6_jNS0_17counting_iteratorIjlEEPS9_SE_NS0_5tupleIJPjSE_EEENSF_IJSE_SE_EEES9_SG_JZNS1_25segmented_radix_sort_implINS0_14default_configELb0EPKdPdPKlPlN2at6native12_GLOBAL__N_18offset_tEEE10hipError_tPvRmT1_PNSt15iterator_traitsISY_E10value_typeET2_T3_PNSZ_IS14_E10value_typeET4_jRbjT5_S1A_jjP12ihipStream_tbEUljE_EEESV_SW_SX_S14_S18_S1A_T6_T7_T9_mT8_S1C_bDpT10_ENKUlT_T0_E_clISt17integral_constantIbLb1EES1P_EEDaS1K_S1L_EUlS1K_E_NS1_11comp_targetILNS1_3genE10ELNS1_11target_archE1200ELNS1_3gpuE4ELNS1_3repE0EEENS1_30default_config_static_selectorELNS0_4arch9wavefront6targetE0EEEvSY_, .Lfunc_end1202-_ZN7rocprim17ROCPRIM_400000_NS6detail17trampoline_kernelINS0_13select_configILj256ELj13ELNS0_17block_load_methodE3ELS4_3ELS4_3ELNS0_20block_scan_algorithmE0ELj4294967295EEENS1_25partition_config_selectorILNS1_17partition_subalgoE3EjNS0_10empty_typeEbEEZZNS1_14partition_implILS8_3ELb0ES6_jNS0_17counting_iteratorIjlEEPS9_SE_NS0_5tupleIJPjSE_EEENSF_IJSE_SE_EEES9_SG_JZNS1_25segmented_radix_sort_implINS0_14default_configELb0EPKdPdPKlPlN2at6native12_GLOBAL__N_18offset_tEEE10hipError_tPvRmT1_PNSt15iterator_traitsISY_E10value_typeET2_T3_PNSZ_IS14_E10value_typeET4_jRbjT5_S1A_jjP12ihipStream_tbEUljE_EEESV_SW_SX_S14_S18_S1A_T6_T7_T9_mT8_S1C_bDpT10_ENKUlT_T0_E_clISt17integral_constantIbLb1EES1P_EEDaS1K_S1L_EUlS1K_E_NS1_11comp_targetILNS1_3genE10ELNS1_11target_archE1200ELNS1_3gpuE4ELNS1_3repE0EEENS1_30default_config_static_selectorELNS0_4arch9wavefront6targetE0EEEvSY_
                                        ; -- End function
	.set _ZN7rocprim17ROCPRIM_400000_NS6detail17trampoline_kernelINS0_13select_configILj256ELj13ELNS0_17block_load_methodE3ELS4_3ELS4_3ELNS0_20block_scan_algorithmE0ELj4294967295EEENS1_25partition_config_selectorILNS1_17partition_subalgoE3EjNS0_10empty_typeEbEEZZNS1_14partition_implILS8_3ELb0ES6_jNS0_17counting_iteratorIjlEEPS9_SE_NS0_5tupleIJPjSE_EEENSF_IJSE_SE_EEES9_SG_JZNS1_25segmented_radix_sort_implINS0_14default_configELb0EPKdPdPKlPlN2at6native12_GLOBAL__N_18offset_tEEE10hipError_tPvRmT1_PNSt15iterator_traitsISY_E10value_typeET2_T3_PNSZ_IS14_E10value_typeET4_jRbjT5_S1A_jjP12ihipStream_tbEUljE_EEESV_SW_SX_S14_S18_S1A_T6_T7_T9_mT8_S1C_bDpT10_ENKUlT_T0_E_clISt17integral_constantIbLb1EES1P_EEDaS1K_S1L_EUlS1K_E_NS1_11comp_targetILNS1_3genE10ELNS1_11target_archE1200ELNS1_3gpuE4ELNS1_3repE0EEENS1_30default_config_static_selectorELNS0_4arch9wavefront6targetE0EEEvSY_.num_vgpr, 0
	.set _ZN7rocprim17ROCPRIM_400000_NS6detail17trampoline_kernelINS0_13select_configILj256ELj13ELNS0_17block_load_methodE3ELS4_3ELS4_3ELNS0_20block_scan_algorithmE0ELj4294967295EEENS1_25partition_config_selectorILNS1_17partition_subalgoE3EjNS0_10empty_typeEbEEZZNS1_14partition_implILS8_3ELb0ES6_jNS0_17counting_iteratorIjlEEPS9_SE_NS0_5tupleIJPjSE_EEENSF_IJSE_SE_EEES9_SG_JZNS1_25segmented_radix_sort_implINS0_14default_configELb0EPKdPdPKlPlN2at6native12_GLOBAL__N_18offset_tEEE10hipError_tPvRmT1_PNSt15iterator_traitsISY_E10value_typeET2_T3_PNSZ_IS14_E10value_typeET4_jRbjT5_S1A_jjP12ihipStream_tbEUljE_EEESV_SW_SX_S14_S18_S1A_T6_T7_T9_mT8_S1C_bDpT10_ENKUlT_T0_E_clISt17integral_constantIbLb1EES1P_EEDaS1K_S1L_EUlS1K_E_NS1_11comp_targetILNS1_3genE10ELNS1_11target_archE1200ELNS1_3gpuE4ELNS1_3repE0EEENS1_30default_config_static_selectorELNS0_4arch9wavefront6targetE0EEEvSY_.num_agpr, 0
	.set _ZN7rocprim17ROCPRIM_400000_NS6detail17trampoline_kernelINS0_13select_configILj256ELj13ELNS0_17block_load_methodE3ELS4_3ELS4_3ELNS0_20block_scan_algorithmE0ELj4294967295EEENS1_25partition_config_selectorILNS1_17partition_subalgoE3EjNS0_10empty_typeEbEEZZNS1_14partition_implILS8_3ELb0ES6_jNS0_17counting_iteratorIjlEEPS9_SE_NS0_5tupleIJPjSE_EEENSF_IJSE_SE_EEES9_SG_JZNS1_25segmented_radix_sort_implINS0_14default_configELb0EPKdPdPKlPlN2at6native12_GLOBAL__N_18offset_tEEE10hipError_tPvRmT1_PNSt15iterator_traitsISY_E10value_typeET2_T3_PNSZ_IS14_E10value_typeET4_jRbjT5_S1A_jjP12ihipStream_tbEUljE_EEESV_SW_SX_S14_S18_S1A_T6_T7_T9_mT8_S1C_bDpT10_ENKUlT_T0_E_clISt17integral_constantIbLb1EES1P_EEDaS1K_S1L_EUlS1K_E_NS1_11comp_targetILNS1_3genE10ELNS1_11target_archE1200ELNS1_3gpuE4ELNS1_3repE0EEENS1_30default_config_static_selectorELNS0_4arch9wavefront6targetE0EEEvSY_.numbered_sgpr, 0
	.set _ZN7rocprim17ROCPRIM_400000_NS6detail17trampoline_kernelINS0_13select_configILj256ELj13ELNS0_17block_load_methodE3ELS4_3ELS4_3ELNS0_20block_scan_algorithmE0ELj4294967295EEENS1_25partition_config_selectorILNS1_17partition_subalgoE3EjNS0_10empty_typeEbEEZZNS1_14partition_implILS8_3ELb0ES6_jNS0_17counting_iteratorIjlEEPS9_SE_NS0_5tupleIJPjSE_EEENSF_IJSE_SE_EEES9_SG_JZNS1_25segmented_radix_sort_implINS0_14default_configELb0EPKdPdPKlPlN2at6native12_GLOBAL__N_18offset_tEEE10hipError_tPvRmT1_PNSt15iterator_traitsISY_E10value_typeET2_T3_PNSZ_IS14_E10value_typeET4_jRbjT5_S1A_jjP12ihipStream_tbEUljE_EEESV_SW_SX_S14_S18_S1A_T6_T7_T9_mT8_S1C_bDpT10_ENKUlT_T0_E_clISt17integral_constantIbLb1EES1P_EEDaS1K_S1L_EUlS1K_E_NS1_11comp_targetILNS1_3genE10ELNS1_11target_archE1200ELNS1_3gpuE4ELNS1_3repE0EEENS1_30default_config_static_selectorELNS0_4arch9wavefront6targetE0EEEvSY_.num_named_barrier, 0
	.set _ZN7rocprim17ROCPRIM_400000_NS6detail17trampoline_kernelINS0_13select_configILj256ELj13ELNS0_17block_load_methodE3ELS4_3ELS4_3ELNS0_20block_scan_algorithmE0ELj4294967295EEENS1_25partition_config_selectorILNS1_17partition_subalgoE3EjNS0_10empty_typeEbEEZZNS1_14partition_implILS8_3ELb0ES6_jNS0_17counting_iteratorIjlEEPS9_SE_NS0_5tupleIJPjSE_EEENSF_IJSE_SE_EEES9_SG_JZNS1_25segmented_radix_sort_implINS0_14default_configELb0EPKdPdPKlPlN2at6native12_GLOBAL__N_18offset_tEEE10hipError_tPvRmT1_PNSt15iterator_traitsISY_E10value_typeET2_T3_PNSZ_IS14_E10value_typeET4_jRbjT5_S1A_jjP12ihipStream_tbEUljE_EEESV_SW_SX_S14_S18_S1A_T6_T7_T9_mT8_S1C_bDpT10_ENKUlT_T0_E_clISt17integral_constantIbLb1EES1P_EEDaS1K_S1L_EUlS1K_E_NS1_11comp_targetILNS1_3genE10ELNS1_11target_archE1200ELNS1_3gpuE4ELNS1_3repE0EEENS1_30default_config_static_selectorELNS0_4arch9wavefront6targetE0EEEvSY_.private_seg_size, 0
	.set _ZN7rocprim17ROCPRIM_400000_NS6detail17trampoline_kernelINS0_13select_configILj256ELj13ELNS0_17block_load_methodE3ELS4_3ELS4_3ELNS0_20block_scan_algorithmE0ELj4294967295EEENS1_25partition_config_selectorILNS1_17partition_subalgoE3EjNS0_10empty_typeEbEEZZNS1_14partition_implILS8_3ELb0ES6_jNS0_17counting_iteratorIjlEEPS9_SE_NS0_5tupleIJPjSE_EEENSF_IJSE_SE_EEES9_SG_JZNS1_25segmented_radix_sort_implINS0_14default_configELb0EPKdPdPKlPlN2at6native12_GLOBAL__N_18offset_tEEE10hipError_tPvRmT1_PNSt15iterator_traitsISY_E10value_typeET2_T3_PNSZ_IS14_E10value_typeET4_jRbjT5_S1A_jjP12ihipStream_tbEUljE_EEESV_SW_SX_S14_S18_S1A_T6_T7_T9_mT8_S1C_bDpT10_ENKUlT_T0_E_clISt17integral_constantIbLb1EES1P_EEDaS1K_S1L_EUlS1K_E_NS1_11comp_targetILNS1_3genE10ELNS1_11target_archE1200ELNS1_3gpuE4ELNS1_3repE0EEENS1_30default_config_static_selectorELNS0_4arch9wavefront6targetE0EEEvSY_.uses_vcc, 0
	.set _ZN7rocprim17ROCPRIM_400000_NS6detail17trampoline_kernelINS0_13select_configILj256ELj13ELNS0_17block_load_methodE3ELS4_3ELS4_3ELNS0_20block_scan_algorithmE0ELj4294967295EEENS1_25partition_config_selectorILNS1_17partition_subalgoE3EjNS0_10empty_typeEbEEZZNS1_14partition_implILS8_3ELb0ES6_jNS0_17counting_iteratorIjlEEPS9_SE_NS0_5tupleIJPjSE_EEENSF_IJSE_SE_EEES9_SG_JZNS1_25segmented_radix_sort_implINS0_14default_configELb0EPKdPdPKlPlN2at6native12_GLOBAL__N_18offset_tEEE10hipError_tPvRmT1_PNSt15iterator_traitsISY_E10value_typeET2_T3_PNSZ_IS14_E10value_typeET4_jRbjT5_S1A_jjP12ihipStream_tbEUljE_EEESV_SW_SX_S14_S18_S1A_T6_T7_T9_mT8_S1C_bDpT10_ENKUlT_T0_E_clISt17integral_constantIbLb1EES1P_EEDaS1K_S1L_EUlS1K_E_NS1_11comp_targetILNS1_3genE10ELNS1_11target_archE1200ELNS1_3gpuE4ELNS1_3repE0EEENS1_30default_config_static_selectorELNS0_4arch9wavefront6targetE0EEEvSY_.uses_flat_scratch, 0
	.set _ZN7rocprim17ROCPRIM_400000_NS6detail17trampoline_kernelINS0_13select_configILj256ELj13ELNS0_17block_load_methodE3ELS4_3ELS4_3ELNS0_20block_scan_algorithmE0ELj4294967295EEENS1_25partition_config_selectorILNS1_17partition_subalgoE3EjNS0_10empty_typeEbEEZZNS1_14partition_implILS8_3ELb0ES6_jNS0_17counting_iteratorIjlEEPS9_SE_NS0_5tupleIJPjSE_EEENSF_IJSE_SE_EEES9_SG_JZNS1_25segmented_radix_sort_implINS0_14default_configELb0EPKdPdPKlPlN2at6native12_GLOBAL__N_18offset_tEEE10hipError_tPvRmT1_PNSt15iterator_traitsISY_E10value_typeET2_T3_PNSZ_IS14_E10value_typeET4_jRbjT5_S1A_jjP12ihipStream_tbEUljE_EEESV_SW_SX_S14_S18_S1A_T6_T7_T9_mT8_S1C_bDpT10_ENKUlT_T0_E_clISt17integral_constantIbLb1EES1P_EEDaS1K_S1L_EUlS1K_E_NS1_11comp_targetILNS1_3genE10ELNS1_11target_archE1200ELNS1_3gpuE4ELNS1_3repE0EEENS1_30default_config_static_selectorELNS0_4arch9wavefront6targetE0EEEvSY_.has_dyn_sized_stack, 0
	.set _ZN7rocprim17ROCPRIM_400000_NS6detail17trampoline_kernelINS0_13select_configILj256ELj13ELNS0_17block_load_methodE3ELS4_3ELS4_3ELNS0_20block_scan_algorithmE0ELj4294967295EEENS1_25partition_config_selectorILNS1_17partition_subalgoE3EjNS0_10empty_typeEbEEZZNS1_14partition_implILS8_3ELb0ES6_jNS0_17counting_iteratorIjlEEPS9_SE_NS0_5tupleIJPjSE_EEENSF_IJSE_SE_EEES9_SG_JZNS1_25segmented_radix_sort_implINS0_14default_configELb0EPKdPdPKlPlN2at6native12_GLOBAL__N_18offset_tEEE10hipError_tPvRmT1_PNSt15iterator_traitsISY_E10value_typeET2_T3_PNSZ_IS14_E10value_typeET4_jRbjT5_S1A_jjP12ihipStream_tbEUljE_EEESV_SW_SX_S14_S18_S1A_T6_T7_T9_mT8_S1C_bDpT10_ENKUlT_T0_E_clISt17integral_constantIbLb1EES1P_EEDaS1K_S1L_EUlS1K_E_NS1_11comp_targetILNS1_3genE10ELNS1_11target_archE1200ELNS1_3gpuE4ELNS1_3repE0EEENS1_30default_config_static_selectorELNS0_4arch9wavefront6targetE0EEEvSY_.has_recursion, 0
	.set _ZN7rocprim17ROCPRIM_400000_NS6detail17trampoline_kernelINS0_13select_configILj256ELj13ELNS0_17block_load_methodE3ELS4_3ELS4_3ELNS0_20block_scan_algorithmE0ELj4294967295EEENS1_25partition_config_selectorILNS1_17partition_subalgoE3EjNS0_10empty_typeEbEEZZNS1_14partition_implILS8_3ELb0ES6_jNS0_17counting_iteratorIjlEEPS9_SE_NS0_5tupleIJPjSE_EEENSF_IJSE_SE_EEES9_SG_JZNS1_25segmented_radix_sort_implINS0_14default_configELb0EPKdPdPKlPlN2at6native12_GLOBAL__N_18offset_tEEE10hipError_tPvRmT1_PNSt15iterator_traitsISY_E10value_typeET2_T3_PNSZ_IS14_E10value_typeET4_jRbjT5_S1A_jjP12ihipStream_tbEUljE_EEESV_SW_SX_S14_S18_S1A_T6_T7_T9_mT8_S1C_bDpT10_ENKUlT_T0_E_clISt17integral_constantIbLb1EES1P_EEDaS1K_S1L_EUlS1K_E_NS1_11comp_targetILNS1_3genE10ELNS1_11target_archE1200ELNS1_3gpuE4ELNS1_3repE0EEENS1_30default_config_static_selectorELNS0_4arch9wavefront6targetE0EEEvSY_.has_indirect_call, 0
	.section	.AMDGPU.csdata,"",@progbits
; Kernel info:
; codeLenInByte = 4
; TotalNumSgprs: 0
; NumVgprs: 0
; ScratchSize: 0
; MemoryBound: 0
; FloatMode: 240
; IeeeMode: 1
; LDSByteSize: 0 bytes/workgroup (compile time only)
; SGPRBlocks: 0
; VGPRBlocks: 0
; NumSGPRsForWavesPerEU: 1
; NumVGPRsForWavesPerEU: 1
; Occupancy: 16
; WaveLimiterHint : 0
; COMPUTE_PGM_RSRC2:SCRATCH_EN: 0
; COMPUTE_PGM_RSRC2:USER_SGPR: 2
; COMPUTE_PGM_RSRC2:TRAP_HANDLER: 0
; COMPUTE_PGM_RSRC2:TGID_X_EN: 1
; COMPUTE_PGM_RSRC2:TGID_Y_EN: 0
; COMPUTE_PGM_RSRC2:TGID_Z_EN: 0
; COMPUTE_PGM_RSRC2:TIDIG_COMP_CNT: 0
	.section	.text._ZN7rocprim17ROCPRIM_400000_NS6detail17trampoline_kernelINS0_13select_configILj256ELj13ELNS0_17block_load_methodE3ELS4_3ELS4_3ELNS0_20block_scan_algorithmE0ELj4294967295EEENS1_25partition_config_selectorILNS1_17partition_subalgoE3EjNS0_10empty_typeEbEEZZNS1_14partition_implILS8_3ELb0ES6_jNS0_17counting_iteratorIjlEEPS9_SE_NS0_5tupleIJPjSE_EEENSF_IJSE_SE_EEES9_SG_JZNS1_25segmented_radix_sort_implINS0_14default_configELb0EPKdPdPKlPlN2at6native12_GLOBAL__N_18offset_tEEE10hipError_tPvRmT1_PNSt15iterator_traitsISY_E10value_typeET2_T3_PNSZ_IS14_E10value_typeET4_jRbjT5_S1A_jjP12ihipStream_tbEUljE_EEESV_SW_SX_S14_S18_S1A_T6_T7_T9_mT8_S1C_bDpT10_ENKUlT_T0_E_clISt17integral_constantIbLb1EES1P_EEDaS1K_S1L_EUlS1K_E_NS1_11comp_targetILNS1_3genE9ELNS1_11target_archE1100ELNS1_3gpuE3ELNS1_3repE0EEENS1_30default_config_static_selectorELNS0_4arch9wavefront6targetE0EEEvSY_,"axG",@progbits,_ZN7rocprim17ROCPRIM_400000_NS6detail17trampoline_kernelINS0_13select_configILj256ELj13ELNS0_17block_load_methodE3ELS4_3ELS4_3ELNS0_20block_scan_algorithmE0ELj4294967295EEENS1_25partition_config_selectorILNS1_17partition_subalgoE3EjNS0_10empty_typeEbEEZZNS1_14partition_implILS8_3ELb0ES6_jNS0_17counting_iteratorIjlEEPS9_SE_NS0_5tupleIJPjSE_EEENSF_IJSE_SE_EEES9_SG_JZNS1_25segmented_radix_sort_implINS0_14default_configELb0EPKdPdPKlPlN2at6native12_GLOBAL__N_18offset_tEEE10hipError_tPvRmT1_PNSt15iterator_traitsISY_E10value_typeET2_T3_PNSZ_IS14_E10value_typeET4_jRbjT5_S1A_jjP12ihipStream_tbEUljE_EEESV_SW_SX_S14_S18_S1A_T6_T7_T9_mT8_S1C_bDpT10_ENKUlT_T0_E_clISt17integral_constantIbLb1EES1P_EEDaS1K_S1L_EUlS1K_E_NS1_11comp_targetILNS1_3genE9ELNS1_11target_archE1100ELNS1_3gpuE3ELNS1_3repE0EEENS1_30default_config_static_selectorELNS0_4arch9wavefront6targetE0EEEvSY_,comdat
	.globl	_ZN7rocprim17ROCPRIM_400000_NS6detail17trampoline_kernelINS0_13select_configILj256ELj13ELNS0_17block_load_methodE3ELS4_3ELS4_3ELNS0_20block_scan_algorithmE0ELj4294967295EEENS1_25partition_config_selectorILNS1_17partition_subalgoE3EjNS0_10empty_typeEbEEZZNS1_14partition_implILS8_3ELb0ES6_jNS0_17counting_iteratorIjlEEPS9_SE_NS0_5tupleIJPjSE_EEENSF_IJSE_SE_EEES9_SG_JZNS1_25segmented_radix_sort_implINS0_14default_configELb0EPKdPdPKlPlN2at6native12_GLOBAL__N_18offset_tEEE10hipError_tPvRmT1_PNSt15iterator_traitsISY_E10value_typeET2_T3_PNSZ_IS14_E10value_typeET4_jRbjT5_S1A_jjP12ihipStream_tbEUljE_EEESV_SW_SX_S14_S18_S1A_T6_T7_T9_mT8_S1C_bDpT10_ENKUlT_T0_E_clISt17integral_constantIbLb1EES1P_EEDaS1K_S1L_EUlS1K_E_NS1_11comp_targetILNS1_3genE9ELNS1_11target_archE1100ELNS1_3gpuE3ELNS1_3repE0EEENS1_30default_config_static_selectorELNS0_4arch9wavefront6targetE0EEEvSY_ ; -- Begin function _ZN7rocprim17ROCPRIM_400000_NS6detail17trampoline_kernelINS0_13select_configILj256ELj13ELNS0_17block_load_methodE3ELS4_3ELS4_3ELNS0_20block_scan_algorithmE0ELj4294967295EEENS1_25partition_config_selectorILNS1_17partition_subalgoE3EjNS0_10empty_typeEbEEZZNS1_14partition_implILS8_3ELb0ES6_jNS0_17counting_iteratorIjlEEPS9_SE_NS0_5tupleIJPjSE_EEENSF_IJSE_SE_EEES9_SG_JZNS1_25segmented_radix_sort_implINS0_14default_configELb0EPKdPdPKlPlN2at6native12_GLOBAL__N_18offset_tEEE10hipError_tPvRmT1_PNSt15iterator_traitsISY_E10value_typeET2_T3_PNSZ_IS14_E10value_typeET4_jRbjT5_S1A_jjP12ihipStream_tbEUljE_EEESV_SW_SX_S14_S18_S1A_T6_T7_T9_mT8_S1C_bDpT10_ENKUlT_T0_E_clISt17integral_constantIbLb1EES1P_EEDaS1K_S1L_EUlS1K_E_NS1_11comp_targetILNS1_3genE9ELNS1_11target_archE1100ELNS1_3gpuE3ELNS1_3repE0EEENS1_30default_config_static_selectorELNS0_4arch9wavefront6targetE0EEEvSY_
	.p2align	8
	.type	_ZN7rocprim17ROCPRIM_400000_NS6detail17trampoline_kernelINS0_13select_configILj256ELj13ELNS0_17block_load_methodE3ELS4_3ELS4_3ELNS0_20block_scan_algorithmE0ELj4294967295EEENS1_25partition_config_selectorILNS1_17partition_subalgoE3EjNS0_10empty_typeEbEEZZNS1_14partition_implILS8_3ELb0ES6_jNS0_17counting_iteratorIjlEEPS9_SE_NS0_5tupleIJPjSE_EEENSF_IJSE_SE_EEES9_SG_JZNS1_25segmented_radix_sort_implINS0_14default_configELb0EPKdPdPKlPlN2at6native12_GLOBAL__N_18offset_tEEE10hipError_tPvRmT1_PNSt15iterator_traitsISY_E10value_typeET2_T3_PNSZ_IS14_E10value_typeET4_jRbjT5_S1A_jjP12ihipStream_tbEUljE_EEESV_SW_SX_S14_S18_S1A_T6_T7_T9_mT8_S1C_bDpT10_ENKUlT_T0_E_clISt17integral_constantIbLb1EES1P_EEDaS1K_S1L_EUlS1K_E_NS1_11comp_targetILNS1_3genE9ELNS1_11target_archE1100ELNS1_3gpuE3ELNS1_3repE0EEENS1_30default_config_static_selectorELNS0_4arch9wavefront6targetE0EEEvSY_,@function
_ZN7rocprim17ROCPRIM_400000_NS6detail17trampoline_kernelINS0_13select_configILj256ELj13ELNS0_17block_load_methodE3ELS4_3ELS4_3ELNS0_20block_scan_algorithmE0ELj4294967295EEENS1_25partition_config_selectorILNS1_17partition_subalgoE3EjNS0_10empty_typeEbEEZZNS1_14partition_implILS8_3ELb0ES6_jNS0_17counting_iteratorIjlEEPS9_SE_NS0_5tupleIJPjSE_EEENSF_IJSE_SE_EEES9_SG_JZNS1_25segmented_radix_sort_implINS0_14default_configELb0EPKdPdPKlPlN2at6native12_GLOBAL__N_18offset_tEEE10hipError_tPvRmT1_PNSt15iterator_traitsISY_E10value_typeET2_T3_PNSZ_IS14_E10value_typeET4_jRbjT5_S1A_jjP12ihipStream_tbEUljE_EEESV_SW_SX_S14_S18_S1A_T6_T7_T9_mT8_S1C_bDpT10_ENKUlT_T0_E_clISt17integral_constantIbLb1EES1P_EEDaS1K_S1L_EUlS1K_E_NS1_11comp_targetILNS1_3genE9ELNS1_11target_archE1100ELNS1_3gpuE3ELNS1_3repE0EEENS1_30default_config_static_selectorELNS0_4arch9wavefront6targetE0EEEvSY_: ; @_ZN7rocprim17ROCPRIM_400000_NS6detail17trampoline_kernelINS0_13select_configILj256ELj13ELNS0_17block_load_methodE3ELS4_3ELS4_3ELNS0_20block_scan_algorithmE0ELj4294967295EEENS1_25partition_config_selectorILNS1_17partition_subalgoE3EjNS0_10empty_typeEbEEZZNS1_14partition_implILS8_3ELb0ES6_jNS0_17counting_iteratorIjlEEPS9_SE_NS0_5tupleIJPjSE_EEENSF_IJSE_SE_EEES9_SG_JZNS1_25segmented_radix_sort_implINS0_14default_configELb0EPKdPdPKlPlN2at6native12_GLOBAL__N_18offset_tEEE10hipError_tPvRmT1_PNSt15iterator_traitsISY_E10value_typeET2_T3_PNSZ_IS14_E10value_typeET4_jRbjT5_S1A_jjP12ihipStream_tbEUljE_EEESV_SW_SX_S14_S18_S1A_T6_T7_T9_mT8_S1C_bDpT10_ENKUlT_T0_E_clISt17integral_constantIbLb1EES1P_EEDaS1K_S1L_EUlS1K_E_NS1_11comp_targetILNS1_3genE9ELNS1_11target_archE1100ELNS1_3gpuE3ELNS1_3repE0EEENS1_30default_config_static_selectorELNS0_4arch9wavefront6targetE0EEEvSY_
; %bb.0:
	.section	.rodata,"a",@progbits
	.p2align	6, 0x0
	.amdhsa_kernel _ZN7rocprim17ROCPRIM_400000_NS6detail17trampoline_kernelINS0_13select_configILj256ELj13ELNS0_17block_load_methodE3ELS4_3ELS4_3ELNS0_20block_scan_algorithmE0ELj4294967295EEENS1_25partition_config_selectorILNS1_17partition_subalgoE3EjNS0_10empty_typeEbEEZZNS1_14partition_implILS8_3ELb0ES6_jNS0_17counting_iteratorIjlEEPS9_SE_NS0_5tupleIJPjSE_EEENSF_IJSE_SE_EEES9_SG_JZNS1_25segmented_radix_sort_implINS0_14default_configELb0EPKdPdPKlPlN2at6native12_GLOBAL__N_18offset_tEEE10hipError_tPvRmT1_PNSt15iterator_traitsISY_E10value_typeET2_T3_PNSZ_IS14_E10value_typeET4_jRbjT5_S1A_jjP12ihipStream_tbEUljE_EEESV_SW_SX_S14_S18_S1A_T6_T7_T9_mT8_S1C_bDpT10_ENKUlT_T0_E_clISt17integral_constantIbLb1EES1P_EEDaS1K_S1L_EUlS1K_E_NS1_11comp_targetILNS1_3genE9ELNS1_11target_archE1100ELNS1_3gpuE3ELNS1_3repE0EEENS1_30default_config_static_selectorELNS0_4arch9wavefront6targetE0EEEvSY_
		.amdhsa_group_segment_fixed_size 0
		.amdhsa_private_segment_fixed_size 0
		.amdhsa_kernarg_size 152
		.amdhsa_user_sgpr_count 2
		.amdhsa_user_sgpr_dispatch_ptr 0
		.amdhsa_user_sgpr_queue_ptr 0
		.amdhsa_user_sgpr_kernarg_segment_ptr 1
		.amdhsa_user_sgpr_dispatch_id 0
		.amdhsa_user_sgpr_private_segment_size 0
		.amdhsa_wavefront_size32 1
		.amdhsa_uses_dynamic_stack 0
		.amdhsa_enable_private_segment 0
		.amdhsa_system_sgpr_workgroup_id_x 1
		.amdhsa_system_sgpr_workgroup_id_y 0
		.amdhsa_system_sgpr_workgroup_id_z 0
		.amdhsa_system_sgpr_workgroup_info 0
		.amdhsa_system_vgpr_workitem_id 0
		.amdhsa_next_free_vgpr 1
		.amdhsa_next_free_sgpr 1
		.amdhsa_reserve_vcc 0
		.amdhsa_float_round_mode_32 0
		.amdhsa_float_round_mode_16_64 0
		.amdhsa_float_denorm_mode_32 3
		.amdhsa_float_denorm_mode_16_64 3
		.amdhsa_fp16_overflow 0
		.amdhsa_workgroup_processor_mode 1
		.amdhsa_memory_ordered 1
		.amdhsa_forward_progress 1
		.amdhsa_inst_pref_size 0
		.amdhsa_round_robin_scheduling 0
		.amdhsa_exception_fp_ieee_invalid_op 0
		.amdhsa_exception_fp_denorm_src 0
		.amdhsa_exception_fp_ieee_div_zero 0
		.amdhsa_exception_fp_ieee_overflow 0
		.amdhsa_exception_fp_ieee_underflow 0
		.amdhsa_exception_fp_ieee_inexact 0
		.amdhsa_exception_int_div_zero 0
	.end_amdhsa_kernel
	.section	.text._ZN7rocprim17ROCPRIM_400000_NS6detail17trampoline_kernelINS0_13select_configILj256ELj13ELNS0_17block_load_methodE3ELS4_3ELS4_3ELNS0_20block_scan_algorithmE0ELj4294967295EEENS1_25partition_config_selectorILNS1_17partition_subalgoE3EjNS0_10empty_typeEbEEZZNS1_14partition_implILS8_3ELb0ES6_jNS0_17counting_iteratorIjlEEPS9_SE_NS0_5tupleIJPjSE_EEENSF_IJSE_SE_EEES9_SG_JZNS1_25segmented_radix_sort_implINS0_14default_configELb0EPKdPdPKlPlN2at6native12_GLOBAL__N_18offset_tEEE10hipError_tPvRmT1_PNSt15iterator_traitsISY_E10value_typeET2_T3_PNSZ_IS14_E10value_typeET4_jRbjT5_S1A_jjP12ihipStream_tbEUljE_EEESV_SW_SX_S14_S18_S1A_T6_T7_T9_mT8_S1C_bDpT10_ENKUlT_T0_E_clISt17integral_constantIbLb1EES1P_EEDaS1K_S1L_EUlS1K_E_NS1_11comp_targetILNS1_3genE9ELNS1_11target_archE1100ELNS1_3gpuE3ELNS1_3repE0EEENS1_30default_config_static_selectorELNS0_4arch9wavefront6targetE0EEEvSY_,"axG",@progbits,_ZN7rocprim17ROCPRIM_400000_NS6detail17trampoline_kernelINS0_13select_configILj256ELj13ELNS0_17block_load_methodE3ELS4_3ELS4_3ELNS0_20block_scan_algorithmE0ELj4294967295EEENS1_25partition_config_selectorILNS1_17partition_subalgoE3EjNS0_10empty_typeEbEEZZNS1_14partition_implILS8_3ELb0ES6_jNS0_17counting_iteratorIjlEEPS9_SE_NS0_5tupleIJPjSE_EEENSF_IJSE_SE_EEES9_SG_JZNS1_25segmented_radix_sort_implINS0_14default_configELb0EPKdPdPKlPlN2at6native12_GLOBAL__N_18offset_tEEE10hipError_tPvRmT1_PNSt15iterator_traitsISY_E10value_typeET2_T3_PNSZ_IS14_E10value_typeET4_jRbjT5_S1A_jjP12ihipStream_tbEUljE_EEESV_SW_SX_S14_S18_S1A_T6_T7_T9_mT8_S1C_bDpT10_ENKUlT_T0_E_clISt17integral_constantIbLb1EES1P_EEDaS1K_S1L_EUlS1K_E_NS1_11comp_targetILNS1_3genE9ELNS1_11target_archE1100ELNS1_3gpuE3ELNS1_3repE0EEENS1_30default_config_static_selectorELNS0_4arch9wavefront6targetE0EEEvSY_,comdat
.Lfunc_end1203:
	.size	_ZN7rocprim17ROCPRIM_400000_NS6detail17trampoline_kernelINS0_13select_configILj256ELj13ELNS0_17block_load_methodE3ELS4_3ELS4_3ELNS0_20block_scan_algorithmE0ELj4294967295EEENS1_25partition_config_selectorILNS1_17partition_subalgoE3EjNS0_10empty_typeEbEEZZNS1_14partition_implILS8_3ELb0ES6_jNS0_17counting_iteratorIjlEEPS9_SE_NS0_5tupleIJPjSE_EEENSF_IJSE_SE_EEES9_SG_JZNS1_25segmented_radix_sort_implINS0_14default_configELb0EPKdPdPKlPlN2at6native12_GLOBAL__N_18offset_tEEE10hipError_tPvRmT1_PNSt15iterator_traitsISY_E10value_typeET2_T3_PNSZ_IS14_E10value_typeET4_jRbjT5_S1A_jjP12ihipStream_tbEUljE_EEESV_SW_SX_S14_S18_S1A_T6_T7_T9_mT8_S1C_bDpT10_ENKUlT_T0_E_clISt17integral_constantIbLb1EES1P_EEDaS1K_S1L_EUlS1K_E_NS1_11comp_targetILNS1_3genE9ELNS1_11target_archE1100ELNS1_3gpuE3ELNS1_3repE0EEENS1_30default_config_static_selectorELNS0_4arch9wavefront6targetE0EEEvSY_, .Lfunc_end1203-_ZN7rocprim17ROCPRIM_400000_NS6detail17trampoline_kernelINS0_13select_configILj256ELj13ELNS0_17block_load_methodE3ELS4_3ELS4_3ELNS0_20block_scan_algorithmE0ELj4294967295EEENS1_25partition_config_selectorILNS1_17partition_subalgoE3EjNS0_10empty_typeEbEEZZNS1_14partition_implILS8_3ELb0ES6_jNS0_17counting_iteratorIjlEEPS9_SE_NS0_5tupleIJPjSE_EEENSF_IJSE_SE_EEES9_SG_JZNS1_25segmented_radix_sort_implINS0_14default_configELb0EPKdPdPKlPlN2at6native12_GLOBAL__N_18offset_tEEE10hipError_tPvRmT1_PNSt15iterator_traitsISY_E10value_typeET2_T3_PNSZ_IS14_E10value_typeET4_jRbjT5_S1A_jjP12ihipStream_tbEUljE_EEESV_SW_SX_S14_S18_S1A_T6_T7_T9_mT8_S1C_bDpT10_ENKUlT_T0_E_clISt17integral_constantIbLb1EES1P_EEDaS1K_S1L_EUlS1K_E_NS1_11comp_targetILNS1_3genE9ELNS1_11target_archE1100ELNS1_3gpuE3ELNS1_3repE0EEENS1_30default_config_static_selectorELNS0_4arch9wavefront6targetE0EEEvSY_
                                        ; -- End function
	.set _ZN7rocprim17ROCPRIM_400000_NS6detail17trampoline_kernelINS0_13select_configILj256ELj13ELNS0_17block_load_methodE3ELS4_3ELS4_3ELNS0_20block_scan_algorithmE0ELj4294967295EEENS1_25partition_config_selectorILNS1_17partition_subalgoE3EjNS0_10empty_typeEbEEZZNS1_14partition_implILS8_3ELb0ES6_jNS0_17counting_iteratorIjlEEPS9_SE_NS0_5tupleIJPjSE_EEENSF_IJSE_SE_EEES9_SG_JZNS1_25segmented_radix_sort_implINS0_14default_configELb0EPKdPdPKlPlN2at6native12_GLOBAL__N_18offset_tEEE10hipError_tPvRmT1_PNSt15iterator_traitsISY_E10value_typeET2_T3_PNSZ_IS14_E10value_typeET4_jRbjT5_S1A_jjP12ihipStream_tbEUljE_EEESV_SW_SX_S14_S18_S1A_T6_T7_T9_mT8_S1C_bDpT10_ENKUlT_T0_E_clISt17integral_constantIbLb1EES1P_EEDaS1K_S1L_EUlS1K_E_NS1_11comp_targetILNS1_3genE9ELNS1_11target_archE1100ELNS1_3gpuE3ELNS1_3repE0EEENS1_30default_config_static_selectorELNS0_4arch9wavefront6targetE0EEEvSY_.num_vgpr, 0
	.set _ZN7rocprim17ROCPRIM_400000_NS6detail17trampoline_kernelINS0_13select_configILj256ELj13ELNS0_17block_load_methodE3ELS4_3ELS4_3ELNS0_20block_scan_algorithmE0ELj4294967295EEENS1_25partition_config_selectorILNS1_17partition_subalgoE3EjNS0_10empty_typeEbEEZZNS1_14partition_implILS8_3ELb0ES6_jNS0_17counting_iteratorIjlEEPS9_SE_NS0_5tupleIJPjSE_EEENSF_IJSE_SE_EEES9_SG_JZNS1_25segmented_radix_sort_implINS0_14default_configELb0EPKdPdPKlPlN2at6native12_GLOBAL__N_18offset_tEEE10hipError_tPvRmT1_PNSt15iterator_traitsISY_E10value_typeET2_T3_PNSZ_IS14_E10value_typeET4_jRbjT5_S1A_jjP12ihipStream_tbEUljE_EEESV_SW_SX_S14_S18_S1A_T6_T7_T9_mT8_S1C_bDpT10_ENKUlT_T0_E_clISt17integral_constantIbLb1EES1P_EEDaS1K_S1L_EUlS1K_E_NS1_11comp_targetILNS1_3genE9ELNS1_11target_archE1100ELNS1_3gpuE3ELNS1_3repE0EEENS1_30default_config_static_selectorELNS0_4arch9wavefront6targetE0EEEvSY_.num_agpr, 0
	.set _ZN7rocprim17ROCPRIM_400000_NS6detail17trampoline_kernelINS0_13select_configILj256ELj13ELNS0_17block_load_methodE3ELS4_3ELS4_3ELNS0_20block_scan_algorithmE0ELj4294967295EEENS1_25partition_config_selectorILNS1_17partition_subalgoE3EjNS0_10empty_typeEbEEZZNS1_14partition_implILS8_3ELb0ES6_jNS0_17counting_iteratorIjlEEPS9_SE_NS0_5tupleIJPjSE_EEENSF_IJSE_SE_EEES9_SG_JZNS1_25segmented_radix_sort_implINS0_14default_configELb0EPKdPdPKlPlN2at6native12_GLOBAL__N_18offset_tEEE10hipError_tPvRmT1_PNSt15iterator_traitsISY_E10value_typeET2_T3_PNSZ_IS14_E10value_typeET4_jRbjT5_S1A_jjP12ihipStream_tbEUljE_EEESV_SW_SX_S14_S18_S1A_T6_T7_T9_mT8_S1C_bDpT10_ENKUlT_T0_E_clISt17integral_constantIbLb1EES1P_EEDaS1K_S1L_EUlS1K_E_NS1_11comp_targetILNS1_3genE9ELNS1_11target_archE1100ELNS1_3gpuE3ELNS1_3repE0EEENS1_30default_config_static_selectorELNS0_4arch9wavefront6targetE0EEEvSY_.numbered_sgpr, 0
	.set _ZN7rocprim17ROCPRIM_400000_NS6detail17trampoline_kernelINS0_13select_configILj256ELj13ELNS0_17block_load_methodE3ELS4_3ELS4_3ELNS0_20block_scan_algorithmE0ELj4294967295EEENS1_25partition_config_selectorILNS1_17partition_subalgoE3EjNS0_10empty_typeEbEEZZNS1_14partition_implILS8_3ELb0ES6_jNS0_17counting_iteratorIjlEEPS9_SE_NS0_5tupleIJPjSE_EEENSF_IJSE_SE_EEES9_SG_JZNS1_25segmented_radix_sort_implINS0_14default_configELb0EPKdPdPKlPlN2at6native12_GLOBAL__N_18offset_tEEE10hipError_tPvRmT1_PNSt15iterator_traitsISY_E10value_typeET2_T3_PNSZ_IS14_E10value_typeET4_jRbjT5_S1A_jjP12ihipStream_tbEUljE_EEESV_SW_SX_S14_S18_S1A_T6_T7_T9_mT8_S1C_bDpT10_ENKUlT_T0_E_clISt17integral_constantIbLb1EES1P_EEDaS1K_S1L_EUlS1K_E_NS1_11comp_targetILNS1_3genE9ELNS1_11target_archE1100ELNS1_3gpuE3ELNS1_3repE0EEENS1_30default_config_static_selectorELNS0_4arch9wavefront6targetE0EEEvSY_.num_named_barrier, 0
	.set _ZN7rocprim17ROCPRIM_400000_NS6detail17trampoline_kernelINS0_13select_configILj256ELj13ELNS0_17block_load_methodE3ELS4_3ELS4_3ELNS0_20block_scan_algorithmE0ELj4294967295EEENS1_25partition_config_selectorILNS1_17partition_subalgoE3EjNS0_10empty_typeEbEEZZNS1_14partition_implILS8_3ELb0ES6_jNS0_17counting_iteratorIjlEEPS9_SE_NS0_5tupleIJPjSE_EEENSF_IJSE_SE_EEES9_SG_JZNS1_25segmented_radix_sort_implINS0_14default_configELb0EPKdPdPKlPlN2at6native12_GLOBAL__N_18offset_tEEE10hipError_tPvRmT1_PNSt15iterator_traitsISY_E10value_typeET2_T3_PNSZ_IS14_E10value_typeET4_jRbjT5_S1A_jjP12ihipStream_tbEUljE_EEESV_SW_SX_S14_S18_S1A_T6_T7_T9_mT8_S1C_bDpT10_ENKUlT_T0_E_clISt17integral_constantIbLb1EES1P_EEDaS1K_S1L_EUlS1K_E_NS1_11comp_targetILNS1_3genE9ELNS1_11target_archE1100ELNS1_3gpuE3ELNS1_3repE0EEENS1_30default_config_static_selectorELNS0_4arch9wavefront6targetE0EEEvSY_.private_seg_size, 0
	.set _ZN7rocprim17ROCPRIM_400000_NS6detail17trampoline_kernelINS0_13select_configILj256ELj13ELNS0_17block_load_methodE3ELS4_3ELS4_3ELNS0_20block_scan_algorithmE0ELj4294967295EEENS1_25partition_config_selectorILNS1_17partition_subalgoE3EjNS0_10empty_typeEbEEZZNS1_14partition_implILS8_3ELb0ES6_jNS0_17counting_iteratorIjlEEPS9_SE_NS0_5tupleIJPjSE_EEENSF_IJSE_SE_EEES9_SG_JZNS1_25segmented_radix_sort_implINS0_14default_configELb0EPKdPdPKlPlN2at6native12_GLOBAL__N_18offset_tEEE10hipError_tPvRmT1_PNSt15iterator_traitsISY_E10value_typeET2_T3_PNSZ_IS14_E10value_typeET4_jRbjT5_S1A_jjP12ihipStream_tbEUljE_EEESV_SW_SX_S14_S18_S1A_T6_T7_T9_mT8_S1C_bDpT10_ENKUlT_T0_E_clISt17integral_constantIbLb1EES1P_EEDaS1K_S1L_EUlS1K_E_NS1_11comp_targetILNS1_3genE9ELNS1_11target_archE1100ELNS1_3gpuE3ELNS1_3repE0EEENS1_30default_config_static_selectorELNS0_4arch9wavefront6targetE0EEEvSY_.uses_vcc, 0
	.set _ZN7rocprim17ROCPRIM_400000_NS6detail17trampoline_kernelINS0_13select_configILj256ELj13ELNS0_17block_load_methodE3ELS4_3ELS4_3ELNS0_20block_scan_algorithmE0ELj4294967295EEENS1_25partition_config_selectorILNS1_17partition_subalgoE3EjNS0_10empty_typeEbEEZZNS1_14partition_implILS8_3ELb0ES6_jNS0_17counting_iteratorIjlEEPS9_SE_NS0_5tupleIJPjSE_EEENSF_IJSE_SE_EEES9_SG_JZNS1_25segmented_radix_sort_implINS0_14default_configELb0EPKdPdPKlPlN2at6native12_GLOBAL__N_18offset_tEEE10hipError_tPvRmT1_PNSt15iterator_traitsISY_E10value_typeET2_T3_PNSZ_IS14_E10value_typeET4_jRbjT5_S1A_jjP12ihipStream_tbEUljE_EEESV_SW_SX_S14_S18_S1A_T6_T7_T9_mT8_S1C_bDpT10_ENKUlT_T0_E_clISt17integral_constantIbLb1EES1P_EEDaS1K_S1L_EUlS1K_E_NS1_11comp_targetILNS1_3genE9ELNS1_11target_archE1100ELNS1_3gpuE3ELNS1_3repE0EEENS1_30default_config_static_selectorELNS0_4arch9wavefront6targetE0EEEvSY_.uses_flat_scratch, 0
	.set _ZN7rocprim17ROCPRIM_400000_NS6detail17trampoline_kernelINS0_13select_configILj256ELj13ELNS0_17block_load_methodE3ELS4_3ELS4_3ELNS0_20block_scan_algorithmE0ELj4294967295EEENS1_25partition_config_selectorILNS1_17partition_subalgoE3EjNS0_10empty_typeEbEEZZNS1_14partition_implILS8_3ELb0ES6_jNS0_17counting_iteratorIjlEEPS9_SE_NS0_5tupleIJPjSE_EEENSF_IJSE_SE_EEES9_SG_JZNS1_25segmented_radix_sort_implINS0_14default_configELb0EPKdPdPKlPlN2at6native12_GLOBAL__N_18offset_tEEE10hipError_tPvRmT1_PNSt15iterator_traitsISY_E10value_typeET2_T3_PNSZ_IS14_E10value_typeET4_jRbjT5_S1A_jjP12ihipStream_tbEUljE_EEESV_SW_SX_S14_S18_S1A_T6_T7_T9_mT8_S1C_bDpT10_ENKUlT_T0_E_clISt17integral_constantIbLb1EES1P_EEDaS1K_S1L_EUlS1K_E_NS1_11comp_targetILNS1_3genE9ELNS1_11target_archE1100ELNS1_3gpuE3ELNS1_3repE0EEENS1_30default_config_static_selectorELNS0_4arch9wavefront6targetE0EEEvSY_.has_dyn_sized_stack, 0
	.set _ZN7rocprim17ROCPRIM_400000_NS6detail17trampoline_kernelINS0_13select_configILj256ELj13ELNS0_17block_load_methodE3ELS4_3ELS4_3ELNS0_20block_scan_algorithmE0ELj4294967295EEENS1_25partition_config_selectorILNS1_17partition_subalgoE3EjNS0_10empty_typeEbEEZZNS1_14partition_implILS8_3ELb0ES6_jNS0_17counting_iteratorIjlEEPS9_SE_NS0_5tupleIJPjSE_EEENSF_IJSE_SE_EEES9_SG_JZNS1_25segmented_radix_sort_implINS0_14default_configELb0EPKdPdPKlPlN2at6native12_GLOBAL__N_18offset_tEEE10hipError_tPvRmT1_PNSt15iterator_traitsISY_E10value_typeET2_T3_PNSZ_IS14_E10value_typeET4_jRbjT5_S1A_jjP12ihipStream_tbEUljE_EEESV_SW_SX_S14_S18_S1A_T6_T7_T9_mT8_S1C_bDpT10_ENKUlT_T0_E_clISt17integral_constantIbLb1EES1P_EEDaS1K_S1L_EUlS1K_E_NS1_11comp_targetILNS1_3genE9ELNS1_11target_archE1100ELNS1_3gpuE3ELNS1_3repE0EEENS1_30default_config_static_selectorELNS0_4arch9wavefront6targetE0EEEvSY_.has_recursion, 0
	.set _ZN7rocprim17ROCPRIM_400000_NS6detail17trampoline_kernelINS0_13select_configILj256ELj13ELNS0_17block_load_methodE3ELS4_3ELS4_3ELNS0_20block_scan_algorithmE0ELj4294967295EEENS1_25partition_config_selectorILNS1_17partition_subalgoE3EjNS0_10empty_typeEbEEZZNS1_14partition_implILS8_3ELb0ES6_jNS0_17counting_iteratorIjlEEPS9_SE_NS0_5tupleIJPjSE_EEENSF_IJSE_SE_EEES9_SG_JZNS1_25segmented_radix_sort_implINS0_14default_configELb0EPKdPdPKlPlN2at6native12_GLOBAL__N_18offset_tEEE10hipError_tPvRmT1_PNSt15iterator_traitsISY_E10value_typeET2_T3_PNSZ_IS14_E10value_typeET4_jRbjT5_S1A_jjP12ihipStream_tbEUljE_EEESV_SW_SX_S14_S18_S1A_T6_T7_T9_mT8_S1C_bDpT10_ENKUlT_T0_E_clISt17integral_constantIbLb1EES1P_EEDaS1K_S1L_EUlS1K_E_NS1_11comp_targetILNS1_3genE9ELNS1_11target_archE1100ELNS1_3gpuE3ELNS1_3repE0EEENS1_30default_config_static_selectorELNS0_4arch9wavefront6targetE0EEEvSY_.has_indirect_call, 0
	.section	.AMDGPU.csdata,"",@progbits
; Kernel info:
; codeLenInByte = 0
; TotalNumSgprs: 0
; NumVgprs: 0
; ScratchSize: 0
; MemoryBound: 0
; FloatMode: 240
; IeeeMode: 1
; LDSByteSize: 0 bytes/workgroup (compile time only)
; SGPRBlocks: 0
; VGPRBlocks: 0
; NumSGPRsForWavesPerEU: 1
; NumVGPRsForWavesPerEU: 1
; Occupancy: 16
; WaveLimiterHint : 0
; COMPUTE_PGM_RSRC2:SCRATCH_EN: 0
; COMPUTE_PGM_RSRC2:USER_SGPR: 2
; COMPUTE_PGM_RSRC2:TRAP_HANDLER: 0
; COMPUTE_PGM_RSRC2:TGID_X_EN: 1
; COMPUTE_PGM_RSRC2:TGID_Y_EN: 0
; COMPUTE_PGM_RSRC2:TGID_Z_EN: 0
; COMPUTE_PGM_RSRC2:TIDIG_COMP_CNT: 0
	.section	.text._ZN7rocprim17ROCPRIM_400000_NS6detail17trampoline_kernelINS0_13select_configILj256ELj13ELNS0_17block_load_methodE3ELS4_3ELS4_3ELNS0_20block_scan_algorithmE0ELj4294967295EEENS1_25partition_config_selectorILNS1_17partition_subalgoE3EjNS0_10empty_typeEbEEZZNS1_14partition_implILS8_3ELb0ES6_jNS0_17counting_iteratorIjlEEPS9_SE_NS0_5tupleIJPjSE_EEENSF_IJSE_SE_EEES9_SG_JZNS1_25segmented_radix_sort_implINS0_14default_configELb0EPKdPdPKlPlN2at6native12_GLOBAL__N_18offset_tEEE10hipError_tPvRmT1_PNSt15iterator_traitsISY_E10value_typeET2_T3_PNSZ_IS14_E10value_typeET4_jRbjT5_S1A_jjP12ihipStream_tbEUljE_EEESV_SW_SX_S14_S18_S1A_T6_T7_T9_mT8_S1C_bDpT10_ENKUlT_T0_E_clISt17integral_constantIbLb1EES1P_EEDaS1K_S1L_EUlS1K_E_NS1_11comp_targetILNS1_3genE8ELNS1_11target_archE1030ELNS1_3gpuE2ELNS1_3repE0EEENS1_30default_config_static_selectorELNS0_4arch9wavefront6targetE0EEEvSY_,"axG",@progbits,_ZN7rocprim17ROCPRIM_400000_NS6detail17trampoline_kernelINS0_13select_configILj256ELj13ELNS0_17block_load_methodE3ELS4_3ELS4_3ELNS0_20block_scan_algorithmE0ELj4294967295EEENS1_25partition_config_selectorILNS1_17partition_subalgoE3EjNS0_10empty_typeEbEEZZNS1_14partition_implILS8_3ELb0ES6_jNS0_17counting_iteratorIjlEEPS9_SE_NS0_5tupleIJPjSE_EEENSF_IJSE_SE_EEES9_SG_JZNS1_25segmented_radix_sort_implINS0_14default_configELb0EPKdPdPKlPlN2at6native12_GLOBAL__N_18offset_tEEE10hipError_tPvRmT1_PNSt15iterator_traitsISY_E10value_typeET2_T3_PNSZ_IS14_E10value_typeET4_jRbjT5_S1A_jjP12ihipStream_tbEUljE_EEESV_SW_SX_S14_S18_S1A_T6_T7_T9_mT8_S1C_bDpT10_ENKUlT_T0_E_clISt17integral_constantIbLb1EES1P_EEDaS1K_S1L_EUlS1K_E_NS1_11comp_targetILNS1_3genE8ELNS1_11target_archE1030ELNS1_3gpuE2ELNS1_3repE0EEENS1_30default_config_static_selectorELNS0_4arch9wavefront6targetE0EEEvSY_,comdat
	.globl	_ZN7rocprim17ROCPRIM_400000_NS6detail17trampoline_kernelINS0_13select_configILj256ELj13ELNS0_17block_load_methodE3ELS4_3ELS4_3ELNS0_20block_scan_algorithmE0ELj4294967295EEENS1_25partition_config_selectorILNS1_17partition_subalgoE3EjNS0_10empty_typeEbEEZZNS1_14partition_implILS8_3ELb0ES6_jNS0_17counting_iteratorIjlEEPS9_SE_NS0_5tupleIJPjSE_EEENSF_IJSE_SE_EEES9_SG_JZNS1_25segmented_radix_sort_implINS0_14default_configELb0EPKdPdPKlPlN2at6native12_GLOBAL__N_18offset_tEEE10hipError_tPvRmT1_PNSt15iterator_traitsISY_E10value_typeET2_T3_PNSZ_IS14_E10value_typeET4_jRbjT5_S1A_jjP12ihipStream_tbEUljE_EEESV_SW_SX_S14_S18_S1A_T6_T7_T9_mT8_S1C_bDpT10_ENKUlT_T0_E_clISt17integral_constantIbLb1EES1P_EEDaS1K_S1L_EUlS1K_E_NS1_11comp_targetILNS1_3genE8ELNS1_11target_archE1030ELNS1_3gpuE2ELNS1_3repE0EEENS1_30default_config_static_selectorELNS0_4arch9wavefront6targetE0EEEvSY_ ; -- Begin function _ZN7rocprim17ROCPRIM_400000_NS6detail17trampoline_kernelINS0_13select_configILj256ELj13ELNS0_17block_load_methodE3ELS4_3ELS4_3ELNS0_20block_scan_algorithmE0ELj4294967295EEENS1_25partition_config_selectorILNS1_17partition_subalgoE3EjNS0_10empty_typeEbEEZZNS1_14partition_implILS8_3ELb0ES6_jNS0_17counting_iteratorIjlEEPS9_SE_NS0_5tupleIJPjSE_EEENSF_IJSE_SE_EEES9_SG_JZNS1_25segmented_radix_sort_implINS0_14default_configELb0EPKdPdPKlPlN2at6native12_GLOBAL__N_18offset_tEEE10hipError_tPvRmT1_PNSt15iterator_traitsISY_E10value_typeET2_T3_PNSZ_IS14_E10value_typeET4_jRbjT5_S1A_jjP12ihipStream_tbEUljE_EEESV_SW_SX_S14_S18_S1A_T6_T7_T9_mT8_S1C_bDpT10_ENKUlT_T0_E_clISt17integral_constantIbLb1EES1P_EEDaS1K_S1L_EUlS1K_E_NS1_11comp_targetILNS1_3genE8ELNS1_11target_archE1030ELNS1_3gpuE2ELNS1_3repE0EEENS1_30default_config_static_selectorELNS0_4arch9wavefront6targetE0EEEvSY_
	.p2align	8
	.type	_ZN7rocprim17ROCPRIM_400000_NS6detail17trampoline_kernelINS0_13select_configILj256ELj13ELNS0_17block_load_methodE3ELS4_3ELS4_3ELNS0_20block_scan_algorithmE0ELj4294967295EEENS1_25partition_config_selectorILNS1_17partition_subalgoE3EjNS0_10empty_typeEbEEZZNS1_14partition_implILS8_3ELb0ES6_jNS0_17counting_iteratorIjlEEPS9_SE_NS0_5tupleIJPjSE_EEENSF_IJSE_SE_EEES9_SG_JZNS1_25segmented_radix_sort_implINS0_14default_configELb0EPKdPdPKlPlN2at6native12_GLOBAL__N_18offset_tEEE10hipError_tPvRmT1_PNSt15iterator_traitsISY_E10value_typeET2_T3_PNSZ_IS14_E10value_typeET4_jRbjT5_S1A_jjP12ihipStream_tbEUljE_EEESV_SW_SX_S14_S18_S1A_T6_T7_T9_mT8_S1C_bDpT10_ENKUlT_T0_E_clISt17integral_constantIbLb1EES1P_EEDaS1K_S1L_EUlS1K_E_NS1_11comp_targetILNS1_3genE8ELNS1_11target_archE1030ELNS1_3gpuE2ELNS1_3repE0EEENS1_30default_config_static_selectorELNS0_4arch9wavefront6targetE0EEEvSY_,@function
_ZN7rocprim17ROCPRIM_400000_NS6detail17trampoline_kernelINS0_13select_configILj256ELj13ELNS0_17block_load_methodE3ELS4_3ELS4_3ELNS0_20block_scan_algorithmE0ELj4294967295EEENS1_25partition_config_selectorILNS1_17partition_subalgoE3EjNS0_10empty_typeEbEEZZNS1_14partition_implILS8_3ELb0ES6_jNS0_17counting_iteratorIjlEEPS9_SE_NS0_5tupleIJPjSE_EEENSF_IJSE_SE_EEES9_SG_JZNS1_25segmented_radix_sort_implINS0_14default_configELb0EPKdPdPKlPlN2at6native12_GLOBAL__N_18offset_tEEE10hipError_tPvRmT1_PNSt15iterator_traitsISY_E10value_typeET2_T3_PNSZ_IS14_E10value_typeET4_jRbjT5_S1A_jjP12ihipStream_tbEUljE_EEESV_SW_SX_S14_S18_S1A_T6_T7_T9_mT8_S1C_bDpT10_ENKUlT_T0_E_clISt17integral_constantIbLb1EES1P_EEDaS1K_S1L_EUlS1K_E_NS1_11comp_targetILNS1_3genE8ELNS1_11target_archE1030ELNS1_3gpuE2ELNS1_3repE0EEENS1_30default_config_static_selectorELNS0_4arch9wavefront6targetE0EEEvSY_: ; @_ZN7rocprim17ROCPRIM_400000_NS6detail17trampoline_kernelINS0_13select_configILj256ELj13ELNS0_17block_load_methodE3ELS4_3ELS4_3ELNS0_20block_scan_algorithmE0ELj4294967295EEENS1_25partition_config_selectorILNS1_17partition_subalgoE3EjNS0_10empty_typeEbEEZZNS1_14partition_implILS8_3ELb0ES6_jNS0_17counting_iteratorIjlEEPS9_SE_NS0_5tupleIJPjSE_EEENSF_IJSE_SE_EEES9_SG_JZNS1_25segmented_radix_sort_implINS0_14default_configELb0EPKdPdPKlPlN2at6native12_GLOBAL__N_18offset_tEEE10hipError_tPvRmT1_PNSt15iterator_traitsISY_E10value_typeET2_T3_PNSZ_IS14_E10value_typeET4_jRbjT5_S1A_jjP12ihipStream_tbEUljE_EEESV_SW_SX_S14_S18_S1A_T6_T7_T9_mT8_S1C_bDpT10_ENKUlT_T0_E_clISt17integral_constantIbLb1EES1P_EEDaS1K_S1L_EUlS1K_E_NS1_11comp_targetILNS1_3genE8ELNS1_11target_archE1030ELNS1_3gpuE2ELNS1_3repE0EEENS1_30default_config_static_selectorELNS0_4arch9wavefront6targetE0EEEvSY_
; %bb.0:
	.section	.rodata,"a",@progbits
	.p2align	6, 0x0
	.amdhsa_kernel _ZN7rocprim17ROCPRIM_400000_NS6detail17trampoline_kernelINS0_13select_configILj256ELj13ELNS0_17block_load_methodE3ELS4_3ELS4_3ELNS0_20block_scan_algorithmE0ELj4294967295EEENS1_25partition_config_selectorILNS1_17partition_subalgoE3EjNS0_10empty_typeEbEEZZNS1_14partition_implILS8_3ELb0ES6_jNS0_17counting_iteratorIjlEEPS9_SE_NS0_5tupleIJPjSE_EEENSF_IJSE_SE_EEES9_SG_JZNS1_25segmented_radix_sort_implINS0_14default_configELb0EPKdPdPKlPlN2at6native12_GLOBAL__N_18offset_tEEE10hipError_tPvRmT1_PNSt15iterator_traitsISY_E10value_typeET2_T3_PNSZ_IS14_E10value_typeET4_jRbjT5_S1A_jjP12ihipStream_tbEUljE_EEESV_SW_SX_S14_S18_S1A_T6_T7_T9_mT8_S1C_bDpT10_ENKUlT_T0_E_clISt17integral_constantIbLb1EES1P_EEDaS1K_S1L_EUlS1K_E_NS1_11comp_targetILNS1_3genE8ELNS1_11target_archE1030ELNS1_3gpuE2ELNS1_3repE0EEENS1_30default_config_static_selectorELNS0_4arch9wavefront6targetE0EEEvSY_
		.amdhsa_group_segment_fixed_size 0
		.amdhsa_private_segment_fixed_size 0
		.amdhsa_kernarg_size 152
		.amdhsa_user_sgpr_count 2
		.amdhsa_user_sgpr_dispatch_ptr 0
		.amdhsa_user_sgpr_queue_ptr 0
		.amdhsa_user_sgpr_kernarg_segment_ptr 1
		.amdhsa_user_sgpr_dispatch_id 0
		.amdhsa_user_sgpr_private_segment_size 0
		.amdhsa_wavefront_size32 1
		.amdhsa_uses_dynamic_stack 0
		.amdhsa_enable_private_segment 0
		.amdhsa_system_sgpr_workgroup_id_x 1
		.amdhsa_system_sgpr_workgroup_id_y 0
		.amdhsa_system_sgpr_workgroup_id_z 0
		.amdhsa_system_sgpr_workgroup_info 0
		.amdhsa_system_vgpr_workitem_id 0
		.amdhsa_next_free_vgpr 1
		.amdhsa_next_free_sgpr 1
		.amdhsa_reserve_vcc 0
		.amdhsa_float_round_mode_32 0
		.amdhsa_float_round_mode_16_64 0
		.amdhsa_float_denorm_mode_32 3
		.amdhsa_float_denorm_mode_16_64 3
		.amdhsa_fp16_overflow 0
		.amdhsa_workgroup_processor_mode 1
		.amdhsa_memory_ordered 1
		.amdhsa_forward_progress 1
		.amdhsa_inst_pref_size 0
		.amdhsa_round_robin_scheduling 0
		.amdhsa_exception_fp_ieee_invalid_op 0
		.amdhsa_exception_fp_denorm_src 0
		.amdhsa_exception_fp_ieee_div_zero 0
		.amdhsa_exception_fp_ieee_overflow 0
		.amdhsa_exception_fp_ieee_underflow 0
		.amdhsa_exception_fp_ieee_inexact 0
		.amdhsa_exception_int_div_zero 0
	.end_amdhsa_kernel
	.section	.text._ZN7rocprim17ROCPRIM_400000_NS6detail17trampoline_kernelINS0_13select_configILj256ELj13ELNS0_17block_load_methodE3ELS4_3ELS4_3ELNS0_20block_scan_algorithmE0ELj4294967295EEENS1_25partition_config_selectorILNS1_17partition_subalgoE3EjNS0_10empty_typeEbEEZZNS1_14partition_implILS8_3ELb0ES6_jNS0_17counting_iteratorIjlEEPS9_SE_NS0_5tupleIJPjSE_EEENSF_IJSE_SE_EEES9_SG_JZNS1_25segmented_radix_sort_implINS0_14default_configELb0EPKdPdPKlPlN2at6native12_GLOBAL__N_18offset_tEEE10hipError_tPvRmT1_PNSt15iterator_traitsISY_E10value_typeET2_T3_PNSZ_IS14_E10value_typeET4_jRbjT5_S1A_jjP12ihipStream_tbEUljE_EEESV_SW_SX_S14_S18_S1A_T6_T7_T9_mT8_S1C_bDpT10_ENKUlT_T0_E_clISt17integral_constantIbLb1EES1P_EEDaS1K_S1L_EUlS1K_E_NS1_11comp_targetILNS1_3genE8ELNS1_11target_archE1030ELNS1_3gpuE2ELNS1_3repE0EEENS1_30default_config_static_selectorELNS0_4arch9wavefront6targetE0EEEvSY_,"axG",@progbits,_ZN7rocprim17ROCPRIM_400000_NS6detail17trampoline_kernelINS0_13select_configILj256ELj13ELNS0_17block_load_methodE3ELS4_3ELS4_3ELNS0_20block_scan_algorithmE0ELj4294967295EEENS1_25partition_config_selectorILNS1_17partition_subalgoE3EjNS0_10empty_typeEbEEZZNS1_14partition_implILS8_3ELb0ES6_jNS0_17counting_iteratorIjlEEPS9_SE_NS0_5tupleIJPjSE_EEENSF_IJSE_SE_EEES9_SG_JZNS1_25segmented_radix_sort_implINS0_14default_configELb0EPKdPdPKlPlN2at6native12_GLOBAL__N_18offset_tEEE10hipError_tPvRmT1_PNSt15iterator_traitsISY_E10value_typeET2_T3_PNSZ_IS14_E10value_typeET4_jRbjT5_S1A_jjP12ihipStream_tbEUljE_EEESV_SW_SX_S14_S18_S1A_T6_T7_T9_mT8_S1C_bDpT10_ENKUlT_T0_E_clISt17integral_constantIbLb1EES1P_EEDaS1K_S1L_EUlS1K_E_NS1_11comp_targetILNS1_3genE8ELNS1_11target_archE1030ELNS1_3gpuE2ELNS1_3repE0EEENS1_30default_config_static_selectorELNS0_4arch9wavefront6targetE0EEEvSY_,comdat
.Lfunc_end1204:
	.size	_ZN7rocprim17ROCPRIM_400000_NS6detail17trampoline_kernelINS0_13select_configILj256ELj13ELNS0_17block_load_methodE3ELS4_3ELS4_3ELNS0_20block_scan_algorithmE0ELj4294967295EEENS1_25partition_config_selectorILNS1_17partition_subalgoE3EjNS0_10empty_typeEbEEZZNS1_14partition_implILS8_3ELb0ES6_jNS0_17counting_iteratorIjlEEPS9_SE_NS0_5tupleIJPjSE_EEENSF_IJSE_SE_EEES9_SG_JZNS1_25segmented_radix_sort_implINS0_14default_configELb0EPKdPdPKlPlN2at6native12_GLOBAL__N_18offset_tEEE10hipError_tPvRmT1_PNSt15iterator_traitsISY_E10value_typeET2_T3_PNSZ_IS14_E10value_typeET4_jRbjT5_S1A_jjP12ihipStream_tbEUljE_EEESV_SW_SX_S14_S18_S1A_T6_T7_T9_mT8_S1C_bDpT10_ENKUlT_T0_E_clISt17integral_constantIbLb1EES1P_EEDaS1K_S1L_EUlS1K_E_NS1_11comp_targetILNS1_3genE8ELNS1_11target_archE1030ELNS1_3gpuE2ELNS1_3repE0EEENS1_30default_config_static_selectorELNS0_4arch9wavefront6targetE0EEEvSY_, .Lfunc_end1204-_ZN7rocprim17ROCPRIM_400000_NS6detail17trampoline_kernelINS0_13select_configILj256ELj13ELNS0_17block_load_methodE3ELS4_3ELS4_3ELNS0_20block_scan_algorithmE0ELj4294967295EEENS1_25partition_config_selectorILNS1_17partition_subalgoE3EjNS0_10empty_typeEbEEZZNS1_14partition_implILS8_3ELb0ES6_jNS0_17counting_iteratorIjlEEPS9_SE_NS0_5tupleIJPjSE_EEENSF_IJSE_SE_EEES9_SG_JZNS1_25segmented_radix_sort_implINS0_14default_configELb0EPKdPdPKlPlN2at6native12_GLOBAL__N_18offset_tEEE10hipError_tPvRmT1_PNSt15iterator_traitsISY_E10value_typeET2_T3_PNSZ_IS14_E10value_typeET4_jRbjT5_S1A_jjP12ihipStream_tbEUljE_EEESV_SW_SX_S14_S18_S1A_T6_T7_T9_mT8_S1C_bDpT10_ENKUlT_T0_E_clISt17integral_constantIbLb1EES1P_EEDaS1K_S1L_EUlS1K_E_NS1_11comp_targetILNS1_3genE8ELNS1_11target_archE1030ELNS1_3gpuE2ELNS1_3repE0EEENS1_30default_config_static_selectorELNS0_4arch9wavefront6targetE0EEEvSY_
                                        ; -- End function
	.set _ZN7rocprim17ROCPRIM_400000_NS6detail17trampoline_kernelINS0_13select_configILj256ELj13ELNS0_17block_load_methodE3ELS4_3ELS4_3ELNS0_20block_scan_algorithmE0ELj4294967295EEENS1_25partition_config_selectorILNS1_17partition_subalgoE3EjNS0_10empty_typeEbEEZZNS1_14partition_implILS8_3ELb0ES6_jNS0_17counting_iteratorIjlEEPS9_SE_NS0_5tupleIJPjSE_EEENSF_IJSE_SE_EEES9_SG_JZNS1_25segmented_radix_sort_implINS0_14default_configELb0EPKdPdPKlPlN2at6native12_GLOBAL__N_18offset_tEEE10hipError_tPvRmT1_PNSt15iterator_traitsISY_E10value_typeET2_T3_PNSZ_IS14_E10value_typeET4_jRbjT5_S1A_jjP12ihipStream_tbEUljE_EEESV_SW_SX_S14_S18_S1A_T6_T7_T9_mT8_S1C_bDpT10_ENKUlT_T0_E_clISt17integral_constantIbLb1EES1P_EEDaS1K_S1L_EUlS1K_E_NS1_11comp_targetILNS1_3genE8ELNS1_11target_archE1030ELNS1_3gpuE2ELNS1_3repE0EEENS1_30default_config_static_selectorELNS0_4arch9wavefront6targetE0EEEvSY_.num_vgpr, 0
	.set _ZN7rocprim17ROCPRIM_400000_NS6detail17trampoline_kernelINS0_13select_configILj256ELj13ELNS0_17block_load_methodE3ELS4_3ELS4_3ELNS0_20block_scan_algorithmE0ELj4294967295EEENS1_25partition_config_selectorILNS1_17partition_subalgoE3EjNS0_10empty_typeEbEEZZNS1_14partition_implILS8_3ELb0ES6_jNS0_17counting_iteratorIjlEEPS9_SE_NS0_5tupleIJPjSE_EEENSF_IJSE_SE_EEES9_SG_JZNS1_25segmented_radix_sort_implINS0_14default_configELb0EPKdPdPKlPlN2at6native12_GLOBAL__N_18offset_tEEE10hipError_tPvRmT1_PNSt15iterator_traitsISY_E10value_typeET2_T3_PNSZ_IS14_E10value_typeET4_jRbjT5_S1A_jjP12ihipStream_tbEUljE_EEESV_SW_SX_S14_S18_S1A_T6_T7_T9_mT8_S1C_bDpT10_ENKUlT_T0_E_clISt17integral_constantIbLb1EES1P_EEDaS1K_S1L_EUlS1K_E_NS1_11comp_targetILNS1_3genE8ELNS1_11target_archE1030ELNS1_3gpuE2ELNS1_3repE0EEENS1_30default_config_static_selectorELNS0_4arch9wavefront6targetE0EEEvSY_.num_agpr, 0
	.set _ZN7rocprim17ROCPRIM_400000_NS6detail17trampoline_kernelINS0_13select_configILj256ELj13ELNS0_17block_load_methodE3ELS4_3ELS4_3ELNS0_20block_scan_algorithmE0ELj4294967295EEENS1_25partition_config_selectorILNS1_17partition_subalgoE3EjNS0_10empty_typeEbEEZZNS1_14partition_implILS8_3ELb0ES6_jNS0_17counting_iteratorIjlEEPS9_SE_NS0_5tupleIJPjSE_EEENSF_IJSE_SE_EEES9_SG_JZNS1_25segmented_radix_sort_implINS0_14default_configELb0EPKdPdPKlPlN2at6native12_GLOBAL__N_18offset_tEEE10hipError_tPvRmT1_PNSt15iterator_traitsISY_E10value_typeET2_T3_PNSZ_IS14_E10value_typeET4_jRbjT5_S1A_jjP12ihipStream_tbEUljE_EEESV_SW_SX_S14_S18_S1A_T6_T7_T9_mT8_S1C_bDpT10_ENKUlT_T0_E_clISt17integral_constantIbLb1EES1P_EEDaS1K_S1L_EUlS1K_E_NS1_11comp_targetILNS1_3genE8ELNS1_11target_archE1030ELNS1_3gpuE2ELNS1_3repE0EEENS1_30default_config_static_selectorELNS0_4arch9wavefront6targetE0EEEvSY_.numbered_sgpr, 0
	.set _ZN7rocprim17ROCPRIM_400000_NS6detail17trampoline_kernelINS0_13select_configILj256ELj13ELNS0_17block_load_methodE3ELS4_3ELS4_3ELNS0_20block_scan_algorithmE0ELj4294967295EEENS1_25partition_config_selectorILNS1_17partition_subalgoE3EjNS0_10empty_typeEbEEZZNS1_14partition_implILS8_3ELb0ES6_jNS0_17counting_iteratorIjlEEPS9_SE_NS0_5tupleIJPjSE_EEENSF_IJSE_SE_EEES9_SG_JZNS1_25segmented_radix_sort_implINS0_14default_configELb0EPKdPdPKlPlN2at6native12_GLOBAL__N_18offset_tEEE10hipError_tPvRmT1_PNSt15iterator_traitsISY_E10value_typeET2_T3_PNSZ_IS14_E10value_typeET4_jRbjT5_S1A_jjP12ihipStream_tbEUljE_EEESV_SW_SX_S14_S18_S1A_T6_T7_T9_mT8_S1C_bDpT10_ENKUlT_T0_E_clISt17integral_constantIbLb1EES1P_EEDaS1K_S1L_EUlS1K_E_NS1_11comp_targetILNS1_3genE8ELNS1_11target_archE1030ELNS1_3gpuE2ELNS1_3repE0EEENS1_30default_config_static_selectorELNS0_4arch9wavefront6targetE0EEEvSY_.num_named_barrier, 0
	.set _ZN7rocprim17ROCPRIM_400000_NS6detail17trampoline_kernelINS0_13select_configILj256ELj13ELNS0_17block_load_methodE3ELS4_3ELS4_3ELNS0_20block_scan_algorithmE0ELj4294967295EEENS1_25partition_config_selectorILNS1_17partition_subalgoE3EjNS0_10empty_typeEbEEZZNS1_14partition_implILS8_3ELb0ES6_jNS0_17counting_iteratorIjlEEPS9_SE_NS0_5tupleIJPjSE_EEENSF_IJSE_SE_EEES9_SG_JZNS1_25segmented_radix_sort_implINS0_14default_configELb0EPKdPdPKlPlN2at6native12_GLOBAL__N_18offset_tEEE10hipError_tPvRmT1_PNSt15iterator_traitsISY_E10value_typeET2_T3_PNSZ_IS14_E10value_typeET4_jRbjT5_S1A_jjP12ihipStream_tbEUljE_EEESV_SW_SX_S14_S18_S1A_T6_T7_T9_mT8_S1C_bDpT10_ENKUlT_T0_E_clISt17integral_constantIbLb1EES1P_EEDaS1K_S1L_EUlS1K_E_NS1_11comp_targetILNS1_3genE8ELNS1_11target_archE1030ELNS1_3gpuE2ELNS1_3repE0EEENS1_30default_config_static_selectorELNS0_4arch9wavefront6targetE0EEEvSY_.private_seg_size, 0
	.set _ZN7rocprim17ROCPRIM_400000_NS6detail17trampoline_kernelINS0_13select_configILj256ELj13ELNS0_17block_load_methodE3ELS4_3ELS4_3ELNS0_20block_scan_algorithmE0ELj4294967295EEENS1_25partition_config_selectorILNS1_17partition_subalgoE3EjNS0_10empty_typeEbEEZZNS1_14partition_implILS8_3ELb0ES6_jNS0_17counting_iteratorIjlEEPS9_SE_NS0_5tupleIJPjSE_EEENSF_IJSE_SE_EEES9_SG_JZNS1_25segmented_radix_sort_implINS0_14default_configELb0EPKdPdPKlPlN2at6native12_GLOBAL__N_18offset_tEEE10hipError_tPvRmT1_PNSt15iterator_traitsISY_E10value_typeET2_T3_PNSZ_IS14_E10value_typeET4_jRbjT5_S1A_jjP12ihipStream_tbEUljE_EEESV_SW_SX_S14_S18_S1A_T6_T7_T9_mT8_S1C_bDpT10_ENKUlT_T0_E_clISt17integral_constantIbLb1EES1P_EEDaS1K_S1L_EUlS1K_E_NS1_11comp_targetILNS1_3genE8ELNS1_11target_archE1030ELNS1_3gpuE2ELNS1_3repE0EEENS1_30default_config_static_selectorELNS0_4arch9wavefront6targetE0EEEvSY_.uses_vcc, 0
	.set _ZN7rocprim17ROCPRIM_400000_NS6detail17trampoline_kernelINS0_13select_configILj256ELj13ELNS0_17block_load_methodE3ELS4_3ELS4_3ELNS0_20block_scan_algorithmE0ELj4294967295EEENS1_25partition_config_selectorILNS1_17partition_subalgoE3EjNS0_10empty_typeEbEEZZNS1_14partition_implILS8_3ELb0ES6_jNS0_17counting_iteratorIjlEEPS9_SE_NS0_5tupleIJPjSE_EEENSF_IJSE_SE_EEES9_SG_JZNS1_25segmented_radix_sort_implINS0_14default_configELb0EPKdPdPKlPlN2at6native12_GLOBAL__N_18offset_tEEE10hipError_tPvRmT1_PNSt15iterator_traitsISY_E10value_typeET2_T3_PNSZ_IS14_E10value_typeET4_jRbjT5_S1A_jjP12ihipStream_tbEUljE_EEESV_SW_SX_S14_S18_S1A_T6_T7_T9_mT8_S1C_bDpT10_ENKUlT_T0_E_clISt17integral_constantIbLb1EES1P_EEDaS1K_S1L_EUlS1K_E_NS1_11comp_targetILNS1_3genE8ELNS1_11target_archE1030ELNS1_3gpuE2ELNS1_3repE0EEENS1_30default_config_static_selectorELNS0_4arch9wavefront6targetE0EEEvSY_.uses_flat_scratch, 0
	.set _ZN7rocprim17ROCPRIM_400000_NS6detail17trampoline_kernelINS0_13select_configILj256ELj13ELNS0_17block_load_methodE3ELS4_3ELS4_3ELNS0_20block_scan_algorithmE0ELj4294967295EEENS1_25partition_config_selectorILNS1_17partition_subalgoE3EjNS0_10empty_typeEbEEZZNS1_14partition_implILS8_3ELb0ES6_jNS0_17counting_iteratorIjlEEPS9_SE_NS0_5tupleIJPjSE_EEENSF_IJSE_SE_EEES9_SG_JZNS1_25segmented_radix_sort_implINS0_14default_configELb0EPKdPdPKlPlN2at6native12_GLOBAL__N_18offset_tEEE10hipError_tPvRmT1_PNSt15iterator_traitsISY_E10value_typeET2_T3_PNSZ_IS14_E10value_typeET4_jRbjT5_S1A_jjP12ihipStream_tbEUljE_EEESV_SW_SX_S14_S18_S1A_T6_T7_T9_mT8_S1C_bDpT10_ENKUlT_T0_E_clISt17integral_constantIbLb1EES1P_EEDaS1K_S1L_EUlS1K_E_NS1_11comp_targetILNS1_3genE8ELNS1_11target_archE1030ELNS1_3gpuE2ELNS1_3repE0EEENS1_30default_config_static_selectorELNS0_4arch9wavefront6targetE0EEEvSY_.has_dyn_sized_stack, 0
	.set _ZN7rocprim17ROCPRIM_400000_NS6detail17trampoline_kernelINS0_13select_configILj256ELj13ELNS0_17block_load_methodE3ELS4_3ELS4_3ELNS0_20block_scan_algorithmE0ELj4294967295EEENS1_25partition_config_selectorILNS1_17partition_subalgoE3EjNS0_10empty_typeEbEEZZNS1_14partition_implILS8_3ELb0ES6_jNS0_17counting_iteratorIjlEEPS9_SE_NS0_5tupleIJPjSE_EEENSF_IJSE_SE_EEES9_SG_JZNS1_25segmented_radix_sort_implINS0_14default_configELb0EPKdPdPKlPlN2at6native12_GLOBAL__N_18offset_tEEE10hipError_tPvRmT1_PNSt15iterator_traitsISY_E10value_typeET2_T3_PNSZ_IS14_E10value_typeET4_jRbjT5_S1A_jjP12ihipStream_tbEUljE_EEESV_SW_SX_S14_S18_S1A_T6_T7_T9_mT8_S1C_bDpT10_ENKUlT_T0_E_clISt17integral_constantIbLb1EES1P_EEDaS1K_S1L_EUlS1K_E_NS1_11comp_targetILNS1_3genE8ELNS1_11target_archE1030ELNS1_3gpuE2ELNS1_3repE0EEENS1_30default_config_static_selectorELNS0_4arch9wavefront6targetE0EEEvSY_.has_recursion, 0
	.set _ZN7rocprim17ROCPRIM_400000_NS6detail17trampoline_kernelINS0_13select_configILj256ELj13ELNS0_17block_load_methodE3ELS4_3ELS4_3ELNS0_20block_scan_algorithmE0ELj4294967295EEENS1_25partition_config_selectorILNS1_17partition_subalgoE3EjNS0_10empty_typeEbEEZZNS1_14partition_implILS8_3ELb0ES6_jNS0_17counting_iteratorIjlEEPS9_SE_NS0_5tupleIJPjSE_EEENSF_IJSE_SE_EEES9_SG_JZNS1_25segmented_radix_sort_implINS0_14default_configELb0EPKdPdPKlPlN2at6native12_GLOBAL__N_18offset_tEEE10hipError_tPvRmT1_PNSt15iterator_traitsISY_E10value_typeET2_T3_PNSZ_IS14_E10value_typeET4_jRbjT5_S1A_jjP12ihipStream_tbEUljE_EEESV_SW_SX_S14_S18_S1A_T6_T7_T9_mT8_S1C_bDpT10_ENKUlT_T0_E_clISt17integral_constantIbLb1EES1P_EEDaS1K_S1L_EUlS1K_E_NS1_11comp_targetILNS1_3genE8ELNS1_11target_archE1030ELNS1_3gpuE2ELNS1_3repE0EEENS1_30default_config_static_selectorELNS0_4arch9wavefront6targetE0EEEvSY_.has_indirect_call, 0
	.section	.AMDGPU.csdata,"",@progbits
; Kernel info:
; codeLenInByte = 0
; TotalNumSgprs: 0
; NumVgprs: 0
; ScratchSize: 0
; MemoryBound: 0
; FloatMode: 240
; IeeeMode: 1
; LDSByteSize: 0 bytes/workgroup (compile time only)
; SGPRBlocks: 0
; VGPRBlocks: 0
; NumSGPRsForWavesPerEU: 1
; NumVGPRsForWavesPerEU: 1
; Occupancy: 16
; WaveLimiterHint : 0
; COMPUTE_PGM_RSRC2:SCRATCH_EN: 0
; COMPUTE_PGM_RSRC2:USER_SGPR: 2
; COMPUTE_PGM_RSRC2:TRAP_HANDLER: 0
; COMPUTE_PGM_RSRC2:TGID_X_EN: 1
; COMPUTE_PGM_RSRC2:TGID_Y_EN: 0
; COMPUTE_PGM_RSRC2:TGID_Z_EN: 0
; COMPUTE_PGM_RSRC2:TIDIG_COMP_CNT: 0
	.section	.text._ZN7rocprim17ROCPRIM_400000_NS6detail17trampoline_kernelINS0_13select_configILj256ELj13ELNS0_17block_load_methodE3ELS4_3ELS4_3ELNS0_20block_scan_algorithmE0ELj4294967295EEENS1_25partition_config_selectorILNS1_17partition_subalgoE3EjNS0_10empty_typeEbEEZZNS1_14partition_implILS8_3ELb0ES6_jNS0_17counting_iteratorIjlEEPS9_SE_NS0_5tupleIJPjSE_EEENSF_IJSE_SE_EEES9_SG_JZNS1_25segmented_radix_sort_implINS0_14default_configELb0EPKdPdPKlPlN2at6native12_GLOBAL__N_18offset_tEEE10hipError_tPvRmT1_PNSt15iterator_traitsISY_E10value_typeET2_T3_PNSZ_IS14_E10value_typeET4_jRbjT5_S1A_jjP12ihipStream_tbEUljE_EEESV_SW_SX_S14_S18_S1A_T6_T7_T9_mT8_S1C_bDpT10_ENKUlT_T0_E_clISt17integral_constantIbLb1EES1O_IbLb0EEEEDaS1K_S1L_EUlS1K_E_NS1_11comp_targetILNS1_3genE0ELNS1_11target_archE4294967295ELNS1_3gpuE0ELNS1_3repE0EEENS1_30default_config_static_selectorELNS0_4arch9wavefront6targetE0EEEvSY_,"axG",@progbits,_ZN7rocprim17ROCPRIM_400000_NS6detail17trampoline_kernelINS0_13select_configILj256ELj13ELNS0_17block_load_methodE3ELS4_3ELS4_3ELNS0_20block_scan_algorithmE0ELj4294967295EEENS1_25partition_config_selectorILNS1_17partition_subalgoE3EjNS0_10empty_typeEbEEZZNS1_14partition_implILS8_3ELb0ES6_jNS0_17counting_iteratorIjlEEPS9_SE_NS0_5tupleIJPjSE_EEENSF_IJSE_SE_EEES9_SG_JZNS1_25segmented_radix_sort_implINS0_14default_configELb0EPKdPdPKlPlN2at6native12_GLOBAL__N_18offset_tEEE10hipError_tPvRmT1_PNSt15iterator_traitsISY_E10value_typeET2_T3_PNSZ_IS14_E10value_typeET4_jRbjT5_S1A_jjP12ihipStream_tbEUljE_EEESV_SW_SX_S14_S18_S1A_T6_T7_T9_mT8_S1C_bDpT10_ENKUlT_T0_E_clISt17integral_constantIbLb1EES1O_IbLb0EEEEDaS1K_S1L_EUlS1K_E_NS1_11comp_targetILNS1_3genE0ELNS1_11target_archE4294967295ELNS1_3gpuE0ELNS1_3repE0EEENS1_30default_config_static_selectorELNS0_4arch9wavefront6targetE0EEEvSY_,comdat
	.globl	_ZN7rocprim17ROCPRIM_400000_NS6detail17trampoline_kernelINS0_13select_configILj256ELj13ELNS0_17block_load_methodE3ELS4_3ELS4_3ELNS0_20block_scan_algorithmE0ELj4294967295EEENS1_25partition_config_selectorILNS1_17partition_subalgoE3EjNS0_10empty_typeEbEEZZNS1_14partition_implILS8_3ELb0ES6_jNS0_17counting_iteratorIjlEEPS9_SE_NS0_5tupleIJPjSE_EEENSF_IJSE_SE_EEES9_SG_JZNS1_25segmented_radix_sort_implINS0_14default_configELb0EPKdPdPKlPlN2at6native12_GLOBAL__N_18offset_tEEE10hipError_tPvRmT1_PNSt15iterator_traitsISY_E10value_typeET2_T3_PNSZ_IS14_E10value_typeET4_jRbjT5_S1A_jjP12ihipStream_tbEUljE_EEESV_SW_SX_S14_S18_S1A_T6_T7_T9_mT8_S1C_bDpT10_ENKUlT_T0_E_clISt17integral_constantIbLb1EES1O_IbLb0EEEEDaS1K_S1L_EUlS1K_E_NS1_11comp_targetILNS1_3genE0ELNS1_11target_archE4294967295ELNS1_3gpuE0ELNS1_3repE0EEENS1_30default_config_static_selectorELNS0_4arch9wavefront6targetE0EEEvSY_ ; -- Begin function _ZN7rocprim17ROCPRIM_400000_NS6detail17trampoline_kernelINS0_13select_configILj256ELj13ELNS0_17block_load_methodE3ELS4_3ELS4_3ELNS0_20block_scan_algorithmE0ELj4294967295EEENS1_25partition_config_selectorILNS1_17partition_subalgoE3EjNS0_10empty_typeEbEEZZNS1_14partition_implILS8_3ELb0ES6_jNS0_17counting_iteratorIjlEEPS9_SE_NS0_5tupleIJPjSE_EEENSF_IJSE_SE_EEES9_SG_JZNS1_25segmented_radix_sort_implINS0_14default_configELb0EPKdPdPKlPlN2at6native12_GLOBAL__N_18offset_tEEE10hipError_tPvRmT1_PNSt15iterator_traitsISY_E10value_typeET2_T3_PNSZ_IS14_E10value_typeET4_jRbjT5_S1A_jjP12ihipStream_tbEUljE_EEESV_SW_SX_S14_S18_S1A_T6_T7_T9_mT8_S1C_bDpT10_ENKUlT_T0_E_clISt17integral_constantIbLb1EES1O_IbLb0EEEEDaS1K_S1L_EUlS1K_E_NS1_11comp_targetILNS1_3genE0ELNS1_11target_archE4294967295ELNS1_3gpuE0ELNS1_3repE0EEENS1_30default_config_static_selectorELNS0_4arch9wavefront6targetE0EEEvSY_
	.p2align	8
	.type	_ZN7rocprim17ROCPRIM_400000_NS6detail17trampoline_kernelINS0_13select_configILj256ELj13ELNS0_17block_load_methodE3ELS4_3ELS4_3ELNS0_20block_scan_algorithmE0ELj4294967295EEENS1_25partition_config_selectorILNS1_17partition_subalgoE3EjNS0_10empty_typeEbEEZZNS1_14partition_implILS8_3ELb0ES6_jNS0_17counting_iteratorIjlEEPS9_SE_NS0_5tupleIJPjSE_EEENSF_IJSE_SE_EEES9_SG_JZNS1_25segmented_radix_sort_implINS0_14default_configELb0EPKdPdPKlPlN2at6native12_GLOBAL__N_18offset_tEEE10hipError_tPvRmT1_PNSt15iterator_traitsISY_E10value_typeET2_T3_PNSZ_IS14_E10value_typeET4_jRbjT5_S1A_jjP12ihipStream_tbEUljE_EEESV_SW_SX_S14_S18_S1A_T6_T7_T9_mT8_S1C_bDpT10_ENKUlT_T0_E_clISt17integral_constantIbLb1EES1O_IbLb0EEEEDaS1K_S1L_EUlS1K_E_NS1_11comp_targetILNS1_3genE0ELNS1_11target_archE4294967295ELNS1_3gpuE0ELNS1_3repE0EEENS1_30default_config_static_selectorELNS0_4arch9wavefront6targetE0EEEvSY_,@function
_ZN7rocprim17ROCPRIM_400000_NS6detail17trampoline_kernelINS0_13select_configILj256ELj13ELNS0_17block_load_methodE3ELS4_3ELS4_3ELNS0_20block_scan_algorithmE0ELj4294967295EEENS1_25partition_config_selectorILNS1_17partition_subalgoE3EjNS0_10empty_typeEbEEZZNS1_14partition_implILS8_3ELb0ES6_jNS0_17counting_iteratorIjlEEPS9_SE_NS0_5tupleIJPjSE_EEENSF_IJSE_SE_EEES9_SG_JZNS1_25segmented_radix_sort_implINS0_14default_configELb0EPKdPdPKlPlN2at6native12_GLOBAL__N_18offset_tEEE10hipError_tPvRmT1_PNSt15iterator_traitsISY_E10value_typeET2_T3_PNSZ_IS14_E10value_typeET4_jRbjT5_S1A_jjP12ihipStream_tbEUljE_EEESV_SW_SX_S14_S18_S1A_T6_T7_T9_mT8_S1C_bDpT10_ENKUlT_T0_E_clISt17integral_constantIbLb1EES1O_IbLb0EEEEDaS1K_S1L_EUlS1K_E_NS1_11comp_targetILNS1_3genE0ELNS1_11target_archE4294967295ELNS1_3gpuE0ELNS1_3repE0EEENS1_30default_config_static_selectorELNS0_4arch9wavefront6targetE0EEEvSY_: ; @_ZN7rocprim17ROCPRIM_400000_NS6detail17trampoline_kernelINS0_13select_configILj256ELj13ELNS0_17block_load_methodE3ELS4_3ELS4_3ELNS0_20block_scan_algorithmE0ELj4294967295EEENS1_25partition_config_selectorILNS1_17partition_subalgoE3EjNS0_10empty_typeEbEEZZNS1_14partition_implILS8_3ELb0ES6_jNS0_17counting_iteratorIjlEEPS9_SE_NS0_5tupleIJPjSE_EEENSF_IJSE_SE_EEES9_SG_JZNS1_25segmented_radix_sort_implINS0_14default_configELb0EPKdPdPKlPlN2at6native12_GLOBAL__N_18offset_tEEE10hipError_tPvRmT1_PNSt15iterator_traitsISY_E10value_typeET2_T3_PNSZ_IS14_E10value_typeET4_jRbjT5_S1A_jjP12ihipStream_tbEUljE_EEESV_SW_SX_S14_S18_S1A_T6_T7_T9_mT8_S1C_bDpT10_ENKUlT_T0_E_clISt17integral_constantIbLb1EES1O_IbLb0EEEEDaS1K_S1L_EUlS1K_E_NS1_11comp_targetILNS1_3genE0ELNS1_11target_archE4294967295ELNS1_3gpuE0ELNS1_3repE0EEENS1_30default_config_static_selectorELNS0_4arch9wavefront6targetE0EEEvSY_
; %bb.0:
	.section	.rodata,"a",@progbits
	.p2align	6, 0x0
	.amdhsa_kernel _ZN7rocprim17ROCPRIM_400000_NS6detail17trampoline_kernelINS0_13select_configILj256ELj13ELNS0_17block_load_methodE3ELS4_3ELS4_3ELNS0_20block_scan_algorithmE0ELj4294967295EEENS1_25partition_config_selectorILNS1_17partition_subalgoE3EjNS0_10empty_typeEbEEZZNS1_14partition_implILS8_3ELb0ES6_jNS0_17counting_iteratorIjlEEPS9_SE_NS0_5tupleIJPjSE_EEENSF_IJSE_SE_EEES9_SG_JZNS1_25segmented_radix_sort_implINS0_14default_configELb0EPKdPdPKlPlN2at6native12_GLOBAL__N_18offset_tEEE10hipError_tPvRmT1_PNSt15iterator_traitsISY_E10value_typeET2_T3_PNSZ_IS14_E10value_typeET4_jRbjT5_S1A_jjP12ihipStream_tbEUljE_EEESV_SW_SX_S14_S18_S1A_T6_T7_T9_mT8_S1C_bDpT10_ENKUlT_T0_E_clISt17integral_constantIbLb1EES1O_IbLb0EEEEDaS1K_S1L_EUlS1K_E_NS1_11comp_targetILNS1_3genE0ELNS1_11target_archE4294967295ELNS1_3gpuE0ELNS1_3repE0EEENS1_30default_config_static_selectorELNS0_4arch9wavefront6targetE0EEEvSY_
		.amdhsa_group_segment_fixed_size 0
		.amdhsa_private_segment_fixed_size 0
		.amdhsa_kernarg_size 144
		.amdhsa_user_sgpr_count 2
		.amdhsa_user_sgpr_dispatch_ptr 0
		.amdhsa_user_sgpr_queue_ptr 0
		.amdhsa_user_sgpr_kernarg_segment_ptr 1
		.amdhsa_user_sgpr_dispatch_id 0
		.amdhsa_user_sgpr_private_segment_size 0
		.amdhsa_wavefront_size32 1
		.amdhsa_uses_dynamic_stack 0
		.amdhsa_enable_private_segment 0
		.amdhsa_system_sgpr_workgroup_id_x 1
		.amdhsa_system_sgpr_workgroup_id_y 0
		.amdhsa_system_sgpr_workgroup_id_z 0
		.amdhsa_system_sgpr_workgroup_info 0
		.amdhsa_system_vgpr_workitem_id 0
		.amdhsa_next_free_vgpr 1
		.amdhsa_next_free_sgpr 1
		.amdhsa_reserve_vcc 0
		.amdhsa_float_round_mode_32 0
		.amdhsa_float_round_mode_16_64 0
		.amdhsa_float_denorm_mode_32 3
		.amdhsa_float_denorm_mode_16_64 3
		.amdhsa_fp16_overflow 0
		.amdhsa_workgroup_processor_mode 1
		.amdhsa_memory_ordered 1
		.amdhsa_forward_progress 1
		.amdhsa_inst_pref_size 0
		.amdhsa_round_robin_scheduling 0
		.amdhsa_exception_fp_ieee_invalid_op 0
		.amdhsa_exception_fp_denorm_src 0
		.amdhsa_exception_fp_ieee_div_zero 0
		.amdhsa_exception_fp_ieee_overflow 0
		.amdhsa_exception_fp_ieee_underflow 0
		.amdhsa_exception_fp_ieee_inexact 0
		.amdhsa_exception_int_div_zero 0
	.end_amdhsa_kernel
	.section	.text._ZN7rocprim17ROCPRIM_400000_NS6detail17trampoline_kernelINS0_13select_configILj256ELj13ELNS0_17block_load_methodE3ELS4_3ELS4_3ELNS0_20block_scan_algorithmE0ELj4294967295EEENS1_25partition_config_selectorILNS1_17partition_subalgoE3EjNS0_10empty_typeEbEEZZNS1_14partition_implILS8_3ELb0ES6_jNS0_17counting_iteratorIjlEEPS9_SE_NS0_5tupleIJPjSE_EEENSF_IJSE_SE_EEES9_SG_JZNS1_25segmented_radix_sort_implINS0_14default_configELb0EPKdPdPKlPlN2at6native12_GLOBAL__N_18offset_tEEE10hipError_tPvRmT1_PNSt15iterator_traitsISY_E10value_typeET2_T3_PNSZ_IS14_E10value_typeET4_jRbjT5_S1A_jjP12ihipStream_tbEUljE_EEESV_SW_SX_S14_S18_S1A_T6_T7_T9_mT8_S1C_bDpT10_ENKUlT_T0_E_clISt17integral_constantIbLb1EES1O_IbLb0EEEEDaS1K_S1L_EUlS1K_E_NS1_11comp_targetILNS1_3genE0ELNS1_11target_archE4294967295ELNS1_3gpuE0ELNS1_3repE0EEENS1_30default_config_static_selectorELNS0_4arch9wavefront6targetE0EEEvSY_,"axG",@progbits,_ZN7rocprim17ROCPRIM_400000_NS6detail17trampoline_kernelINS0_13select_configILj256ELj13ELNS0_17block_load_methodE3ELS4_3ELS4_3ELNS0_20block_scan_algorithmE0ELj4294967295EEENS1_25partition_config_selectorILNS1_17partition_subalgoE3EjNS0_10empty_typeEbEEZZNS1_14partition_implILS8_3ELb0ES6_jNS0_17counting_iteratorIjlEEPS9_SE_NS0_5tupleIJPjSE_EEENSF_IJSE_SE_EEES9_SG_JZNS1_25segmented_radix_sort_implINS0_14default_configELb0EPKdPdPKlPlN2at6native12_GLOBAL__N_18offset_tEEE10hipError_tPvRmT1_PNSt15iterator_traitsISY_E10value_typeET2_T3_PNSZ_IS14_E10value_typeET4_jRbjT5_S1A_jjP12ihipStream_tbEUljE_EEESV_SW_SX_S14_S18_S1A_T6_T7_T9_mT8_S1C_bDpT10_ENKUlT_T0_E_clISt17integral_constantIbLb1EES1O_IbLb0EEEEDaS1K_S1L_EUlS1K_E_NS1_11comp_targetILNS1_3genE0ELNS1_11target_archE4294967295ELNS1_3gpuE0ELNS1_3repE0EEENS1_30default_config_static_selectorELNS0_4arch9wavefront6targetE0EEEvSY_,comdat
.Lfunc_end1205:
	.size	_ZN7rocprim17ROCPRIM_400000_NS6detail17trampoline_kernelINS0_13select_configILj256ELj13ELNS0_17block_load_methodE3ELS4_3ELS4_3ELNS0_20block_scan_algorithmE0ELj4294967295EEENS1_25partition_config_selectorILNS1_17partition_subalgoE3EjNS0_10empty_typeEbEEZZNS1_14partition_implILS8_3ELb0ES6_jNS0_17counting_iteratorIjlEEPS9_SE_NS0_5tupleIJPjSE_EEENSF_IJSE_SE_EEES9_SG_JZNS1_25segmented_radix_sort_implINS0_14default_configELb0EPKdPdPKlPlN2at6native12_GLOBAL__N_18offset_tEEE10hipError_tPvRmT1_PNSt15iterator_traitsISY_E10value_typeET2_T3_PNSZ_IS14_E10value_typeET4_jRbjT5_S1A_jjP12ihipStream_tbEUljE_EEESV_SW_SX_S14_S18_S1A_T6_T7_T9_mT8_S1C_bDpT10_ENKUlT_T0_E_clISt17integral_constantIbLb1EES1O_IbLb0EEEEDaS1K_S1L_EUlS1K_E_NS1_11comp_targetILNS1_3genE0ELNS1_11target_archE4294967295ELNS1_3gpuE0ELNS1_3repE0EEENS1_30default_config_static_selectorELNS0_4arch9wavefront6targetE0EEEvSY_, .Lfunc_end1205-_ZN7rocprim17ROCPRIM_400000_NS6detail17trampoline_kernelINS0_13select_configILj256ELj13ELNS0_17block_load_methodE3ELS4_3ELS4_3ELNS0_20block_scan_algorithmE0ELj4294967295EEENS1_25partition_config_selectorILNS1_17partition_subalgoE3EjNS0_10empty_typeEbEEZZNS1_14partition_implILS8_3ELb0ES6_jNS0_17counting_iteratorIjlEEPS9_SE_NS0_5tupleIJPjSE_EEENSF_IJSE_SE_EEES9_SG_JZNS1_25segmented_radix_sort_implINS0_14default_configELb0EPKdPdPKlPlN2at6native12_GLOBAL__N_18offset_tEEE10hipError_tPvRmT1_PNSt15iterator_traitsISY_E10value_typeET2_T3_PNSZ_IS14_E10value_typeET4_jRbjT5_S1A_jjP12ihipStream_tbEUljE_EEESV_SW_SX_S14_S18_S1A_T6_T7_T9_mT8_S1C_bDpT10_ENKUlT_T0_E_clISt17integral_constantIbLb1EES1O_IbLb0EEEEDaS1K_S1L_EUlS1K_E_NS1_11comp_targetILNS1_3genE0ELNS1_11target_archE4294967295ELNS1_3gpuE0ELNS1_3repE0EEENS1_30default_config_static_selectorELNS0_4arch9wavefront6targetE0EEEvSY_
                                        ; -- End function
	.set _ZN7rocprim17ROCPRIM_400000_NS6detail17trampoline_kernelINS0_13select_configILj256ELj13ELNS0_17block_load_methodE3ELS4_3ELS4_3ELNS0_20block_scan_algorithmE0ELj4294967295EEENS1_25partition_config_selectorILNS1_17partition_subalgoE3EjNS0_10empty_typeEbEEZZNS1_14partition_implILS8_3ELb0ES6_jNS0_17counting_iteratorIjlEEPS9_SE_NS0_5tupleIJPjSE_EEENSF_IJSE_SE_EEES9_SG_JZNS1_25segmented_radix_sort_implINS0_14default_configELb0EPKdPdPKlPlN2at6native12_GLOBAL__N_18offset_tEEE10hipError_tPvRmT1_PNSt15iterator_traitsISY_E10value_typeET2_T3_PNSZ_IS14_E10value_typeET4_jRbjT5_S1A_jjP12ihipStream_tbEUljE_EEESV_SW_SX_S14_S18_S1A_T6_T7_T9_mT8_S1C_bDpT10_ENKUlT_T0_E_clISt17integral_constantIbLb1EES1O_IbLb0EEEEDaS1K_S1L_EUlS1K_E_NS1_11comp_targetILNS1_3genE0ELNS1_11target_archE4294967295ELNS1_3gpuE0ELNS1_3repE0EEENS1_30default_config_static_selectorELNS0_4arch9wavefront6targetE0EEEvSY_.num_vgpr, 0
	.set _ZN7rocprim17ROCPRIM_400000_NS6detail17trampoline_kernelINS0_13select_configILj256ELj13ELNS0_17block_load_methodE3ELS4_3ELS4_3ELNS0_20block_scan_algorithmE0ELj4294967295EEENS1_25partition_config_selectorILNS1_17partition_subalgoE3EjNS0_10empty_typeEbEEZZNS1_14partition_implILS8_3ELb0ES6_jNS0_17counting_iteratorIjlEEPS9_SE_NS0_5tupleIJPjSE_EEENSF_IJSE_SE_EEES9_SG_JZNS1_25segmented_radix_sort_implINS0_14default_configELb0EPKdPdPKlPlN2at6native12_GLOBAL__N_18offset_tEEE10hipError_tPvRmT1_PNSt15iterator_traitsISY_E10value_typeET2_T3_PNSZ_IS14_E10value_typeET4_jRbjT5_S1A_jjP12ihipStream_tbEUljE_EEESV_SW_SX_S14_S18_S1A_T6_T7_T9_mT8_S1C_bDpT10_ENKUlT_T0_E_clISt17integral_constantIbLb1EES1O_IbLb0EEEEDaS1K_S1L_EUlS1K_E_NS1_11comp_targetILNS1_3genE0ELNS1_11target_archE4294967295ELNS1_3gpuE0ELNS1_3repE0EEENS1_30default_config_static_selectorELNS0_4arch9wavefront6targetE0EEEvSY_.num_agpr, 0
	.set _ZN7rocprim17ROCPRIM_400000_NS6detail17trampoline_kernelINS0_13select_configILj256ELj13ELNS0_17block_load_methodE3ELS4_3ELS4_3ELNS0_20block_scan_algorithmE0ELj4294967295EEENS1_25partition_config_selectorILNS1_17partition_subalgoE3EjNS0_10empty_typeEbEEZZNS1_14partition_implILS8_3ELb0ES6_jNS0_17counting_iteratorIjlEEPS9_SE_NS0_5tupleIJPjSE_EEENSF_IJSE_SE_EEES9_SG_JZNS1_25segmented_radix_sort_implINS0_14default_configELb0EPKdPdPKlPlN2at6native12_GLOBAL__N_18offset_tEEE10hipError_tPvRmT1_PNSt15iterator_traitsISY_E10value_typeET2_T3_PNSZ_IS14_E10value_typeET4_jRbjT5_S1A_jjP12ihipStream_tbEUljE_EEESV_SW_SX_S14_S18_S1A_T6_T7_T9_mT8_S1C_bDpT10_ENKUlT_T0_E_clISt17integral_constantIbLb1EES1O_IbLb0EEEEDaS1K_S1L_EUlS1K_E_NS1_11comp_targetILNS1_3genE0ELNS1_11target_archE4294967295ELNS1_3gpuE0ELNS1_3repE0EEENS1_30default_config_static_selectorELNS0_4arch9wavefront6targetE0EEEvSY_.numbered_sgpr, 0
	.set _ZN7rocprim17ROCPRIM_400000_NS6detail17trampoline_kernelINS0_13select_configILj256ELj13ELNS0_17block_load_methodE3ELS4_3ELS4_3ELNS0_20block_scan_algorithmE0ELj4294967295EEENS1_25partition_config_selectorILNS1_17partition_subalgoE3EjNS0_10empty_typeEbEEZZNS1_14partition_implILS8_3ELb0ES6_jNS0_17counting_iteratorIjlEEPS9_SE_NS0_5tupleIJPjSE_EEENSF_IJSE_SE_EEES9_SG_JZNS1_25segmented_radix_sort_implINS0_14default_configELb0EPKdPdPKlPlN2at6native12_GLOBAL__N_18offset_tEEE10hipError_tPvRmT1_PNSt15iterator_traitsISY_E10value_typeET2_T3_PNSZ_IS14_E10value_typeET4_jRbjT5_S1A_jjP12ihipStream_tbEUljE_EEESV_SW_SX_S14_S18_S1A_T6_T7_T9_mT8_S1C_bDpT10_ENKUlT_T0_E_clISt17integral_constantIbLb1EES1O_IbLb0EEEEDaS1K_S1L_EUlS1K_E_NS1_11comp_targetILNS1_3genE0ELNS1_11target_archE4294967295ELNS1_3gpuE0ELNS1_3repE0EEENS1_30default_config_static_selectorELNS0_4arch9wavefront6targetE0EEEvSY_.num_named_barrier, 0
	.set _ZN7rocprim17ROCPRIM_400000_NS6detail17trampoline_kernelINS0_13select_configILj256ELj13ELNS0_17block_load_methodE3ELS4_3ELS4_3ELNS0_20block_scan_algorithmE0ELj4294967295EEENS1_25partition_config_selectorILNS1_17partition_subalgoE3EjNS0_10empty_typeEbEEZZNS1_14partition_implILS8_3ELb0ES6_jNS0_17counting_iteratorIjlEEPS9_SE_NS0_5tupleIJPjSE_EEENSF_IJSE_SE_EEES9_SG_JZNS1_25segmented_radix_sort_implINS0_14default_configELb0EPKdPdPKlPlN2at6native12_GLOBAL__N_18offset_tEEE10hipError_tPvRmT1_PNSt15iterator_traitsISY_E10value_typeET2_T3_PNSZ_IS14_E10value_typeET4_jRbjT5_S1A_jjP12ihipStream_tbEUljE_EEESV_SW_SX_S14_S18_S1A_T6_T7_T9_mT8_S1C_bDpT10_ENKUlT_T0_E_clISt17integral_constantIbLb1EES1O_IbLb0EEEEDaS1K_S1L_EUlS1K_E_NS1_11comp_targetILNS1_3genE0ELNS1_11target_archE4294967295ELNS1_3gpuE0ELNS1_3repE0EEENS1_30default_config_static_selectorELNS0_4arch9wavefront6targetE0EEEvSY_.private_seg_size, 0
	.set _ZN7rocprim17ROCPRIM_400000_NS6detail17trampoline_kernelINS0_13select_configILj256ELj13ELNS0_17block_load_methodE3ELS4_3ELS4_3ELNS0_20block_scan_algorithmE0ELj4294967295EEENS1_25partition_config_selectorILNS1_17partition_subalgoE3EjNS0_10empty_typeEbEEZZNS1_14partition_implILS8_3ELb0ES6_jNS0_17counting_iteratorIjlEEPS9_SE_NS0_5tupleIJPjSE_EEENSF_IJSE_SE_EEES9_SG_JZNS1_25segmented_radix_sort_implINS0_14default_configELb0EPKdPdPKlPlN2at6native12_GLOBAL__N_18offset_tEEE10hipError_tPvRmT1_PNSt15iterator_traitsISY_E10value_typeET2_T3_PNSZ_IS14_E10value_typeET4_jRbjT5_S1A_jjP12ihipStream_tbEUljE_EEESV_SW_SX_S14_S18_S1A_T6_T7_T9_mT8_S1C_bDpT10_ENKUlT_T0_E_clISt17integral_constantIbLb1EES1O_IbLb0EEEEDaS1K_S1L_EUlS1K_E_NS1_11comp_targetILNS1_3genE0ELNS1_11target_archE4294967295ELNS1_3gpuE0ELNS1_3repE0EEENS1_30default_config_static_selectorELNS0_4arch9wavefront6targetE0EEEvSY_.uses_vcc, 0
	.set _ZN7rocprim17ROCPRIM_400000_NS6detail17trampoline_kernelINS0_13select_configILj256ELj13ELNS0_17block_load_methodE3ELS4_3ELS4_3ELNS0_20block_scan_algorithmE0ELj4294967295EEENS1_25partition_config_selectorILNS1_17partition_subalgoE3EjNS0_10empty_typeEbEEZZNS1_14partition_implILS8_3ELb0ES6_jNS0_17counting_iteratorIjlEEPS9_SE_NS0_5tupleIJPjSE_EEENSF_IJSE_SE_EEES9_SG_JZNS1_25segmented_radix_sort_implINS0_14default_configELb0EPKdPdPKlPlN2at6native12_GLOBAL__N_18offset_tEEE10hipError_tPvRmT1_PNSt15iterator_traitsISY_E10value_typeET2_T3_PNSZ_IS14_E10value_typeET4_jRbjT5_S1A_jjP12ihipStream_tbEUljE_EEESV_SW_SX_S14_S18_S1A_T6_T7_T9_mT8_S1C_bDpT10_ENKUlT_T0_E_clISt17integral_constantIbLb1EES1O_IbLb0EEEEDaS1K_S1L_EUlS1K_E_NS1_11comp_targetILNS1_3genE0ELNS1_11target_archE4294967295ELNS1_3gpuE0ELNS1_3repE0EEENS1_30default_config_static_selectorELNS0_4arch9wavefront6targetE0EEEvSY_.uses_flat_scratch, 0
	.set _ZN7rocprim17ROCPRIM_400000_NS6detail17trampoline_kernelINS0_13select_configILj256ELj13ELNS0_17block_load_methodE3ELS4_3ELS4_3ELNS0_20block_scan_algorithmE0ELj4294967295EEENS1_25partition_config_selectorILNS1_17partition_subalgoE3EjNS0_10empty_typeEbEEZZNS1_14partition_implILS8_3ELb0ES6_jNS0_17counting_iteratorIjlEEPS9_SE_NS0_5tupleIJPjSE_EEENSF_IJSE_SE_EEES9_SG_JZNS1_25segmented_radix_sort_implINS0_14default_configELb0EPKdPdPKlPlN2at6native12_GLOBAL__N_18offset_tEEE10hipError_tPvRmT1_PNSt15iterator_traitsISY_E10value_typeET2_T3_PNSZ_IS14_E10value_typeET4_jRbjT5_S1A_jjP12ihipStream_tbEUljE_EEESV_SW_SX_S14_S18_S1A_T6_T7_T9_mT8_S1C_bDpT10_ENKUlT_T0_E_clISt17integral_constantIbLb1EES1O_IbLb0EEEEDaS1K_S1L_EUlS1K_E_NS1_11comp_targetILNS1_3genE0ELNS1_11target_archE4294967295ELNS1_3gpuE0ELNS1_3repE0EEENS1_30default_config_static_selectorELNS0_4arch9wavefront6targetE0EEEvSY_.has_dyn_sized_stack, 0
	.set _ZN7rocprim17ROCPRIM_400000_NS6detail17trampoline_kernelINS0_13select_configILj256ELj13ELNS0_17block_load_methodE3ELS4_3ELS4_3ELNS0_20block_scan_algorithmE0ELj4294967295EEENS1_25partition_config_selectorILNS1_17partition_subalgoE3EjNS0_10empty_typeEbEEZZNS1_14partition_implILS8_3ELb0ES6_jNS0_17counting_iteratorIjlEEPS9_SE_NS0_5tupleIJPjSE_EEENSF_IJSE_SE_EEES9_SG_JZNS1_25segmented_radix_sort_implINS0_14default_configELb0EPKdPdPKlPlN2at6native12_GLOBAL__N_18offset_tEEE10hipError_tPvRmT1_PNSt15iterator_traitsISY_E10value_typeET2_T3_PNSZ_IS14_E10value_typeET4_jRbjT5_S1A_jjP12ihipStream_tbEUljE_EEESV_SW_SX_S14_S18_S1A_T6_T7_T9_mT8_S1C_bDpT10_ENKUlT_T0_E_clISt17integral_constantIbLb1EES1O_IbLb0EEEEDaS1K_S1L_EUlS1K_E_NS1_11comp_targetILNS1_3genE0ELNS1_11target_archE4294967295ELNS1_3gpuE0ELNS1_3repE0EEENS1_30default_config_static_selectorELNS0_4arch9wavefront6targetE0EEEvSY_.has_recursion, 0
	.set _ZN7rocprim17ROCPRIM_400000_NS6detail17trampoline_kernelINS0_13select_configILj256ELj13ELNS0_17block_load_methodE3ELS4_3ELS4_3ELNS0_20block_scan_algorithmE0ELj4294967295EEENS1_25partition_config_selectorILNS1_17partition_subalgoE3EjNS0_10empty_typeEbEEZZNS1_14partition_implILS8_3ELb0ES6_jNS0_17counting_iteratorIjlEEPS9_SE_NS0_5tupleIJPjSE_EEENSF_IJSE_SE_EEES9_SG_JZNS1_25segmented_radix_sort_implINS0_14default_configELb0EPKdPdPKlPlN2at6native12_GLOBAL__N_18offset_tEEE10hipError_tPvRmT1_PNSt15iterator_traitsISY_E10value_typeET2_T3_PNSZ_IS14_E10value_typeET4_jRbjT5_S1A_jjP12ihipStream_tbEUljE_EEESV_SW_SX_S14_S18_S1A_T6_T7_T9_mT8_S1C_bDpT10_ENKUlT_T0_E_clISt17integral_constantIbLb1EES1O_IbLb0EEEEDaS1K_S1L_EUlS1K_E_NS1_11comp_targetILNS1_3genE0ELNS1_11target_archE4294967295ELNS1_3gpuE0ELNS1_3repE0EEENS1_30default_config_static_selectorELNS0_4arch9wavefront6targetE0EEEvSY_.has_indirect_call, 0
	.section	.AMDGPU.csdata,"",@progbits
; Kernel info:
; codeLenInByte = 0
; TotalNumSgprs: 0
; NumVgprs: 0
; ScratchSize: 0
; MemoryBound: 0
; FloatMode: 240
; IeeeMode: 1
; LDSByteSize: 0 bytes/workgroup (compile time only)
; SGPRBlocks: 0
; VGPRBlocks: 0
; NumSGPRsForWavesPerEU: 1
; NumVGPRsForWavesPerEU: 1
; Occupancy: 16
; WaveLimiterHint : 0
; COMPUTE_PGM_RSRC2:SCRATCH_EN: 0
; COMPUTE_PGM_RSRC2:USER_SGPR: 2
; COMPUTE_PGM_RSRC2:TRAP_HANDLER: 0
; COMPUTE_PGM_RSRC2:TGID_X_EN: 1
; COMPUTE_PGM_RSRC2:TGID_Y_EN: 0
; COMPUTE_PGM_RSRC2:TGID_Z_EN: 0
; COMPUTE_PGM_RSRC2:TIDIG_COMP_CNT: 0
	.section	.text._ZN7rocprim17ROCPRIM_400000_NS6detail17trampoline_kernelINS0_13select_configILj256ELj13ELNS0_17block_load_methodE3ELS4_3ELS4_3ELNS0_20block_scan_algorithmE0ELj4294967295EEENS1_25partition_config_selectorILNS1_17partition_subalgoE3EjNS0_10empty_typeEbEEZZNS1_14partition_implILS8_3ELb0ES6_jNS0_17counting_iteratorIjlEEPS9_SE_NS0_5tupleIJPjSE_EEENSF_IJSE_SE_EEES9_SG_JZNS1_25segmented_radix_sort_implINS0_14default_configELb0EPKdPdPKlPlN2at6native12_GLOBAL__N_18offset_tEEE10hipError_tPvRmT1_PNSt15iterator_traitsISY_E10value_typeET2_T3_PNSZ_IS14_E10value_typeET4_jRbjT5_S1A_jjP12ihipStream_tbEUljE_EEESV_SW_SX_S14_S18_S1A_T6_T7_T9_mT8_S1C_bDpT10_ENKUlT_T0_E_clISt17integral_constantIbLb1EES1O_IbLb0EEEEDaS1K_S1L_EUlS1K_E_NS1_11comp_targetILNS1_3genE5ELNS1_11target_archE942ELNS1_3gpuE9ELNS1_3repE0EEENS1_30default_config_static_selectorELNS0_4arch9wavefront6targetE0EEEvSY_,"axG",@progbits,_ZN7rocprim17ROCPRIM_400000_NS6detail17trampoline_kernelINS0_13select_configILj256ELj13ELNS0_17block_load_methodE3ELS4_3ELS4_3ELNS0_20block_scan_algorithmE0ELj4294967295EEENS1_25partition_config_selectorILNS1_17partition_subalgoE3EjNS0_10empty_typeEbEEZZNS1_14partition_implILS8_3ELb0ES6_jNS0_17counting_iteratorIjlEEPS9_SE_NS0_5tupleIJPjSE_EEENSF_IJSE_SE_EEES9_SG_JZNS1_25segmented_radix_sort_implINS0_14default_configELb0EPKdPdPKlPlN2at6native12_GLOBAL__N_18offset_tEEE10hipError_tPvRmT1_PNSt15iterator_traitsISY_E10value_typeET2_T3_PNSZ_IS14_E10value_typeET4_jRbjT5_S1A_jjP12ihipStream_tbEUljE_EEESV_SW_SX_S14_S18_S1A_T6_T7_T9_mT8_S1C_bDpT10_ENKUlT_T0_E_clISt17integral_constantIbLb1EES1O_IbLb0EEEEDaS1K_S1L_EUlS1K_E_NS1_11comp_targetILNS1_3genE5ELNS1_11target_archE942ELNS1_3gpuE9ELNS1_3repE0EEENS1_30default_config_static_selectorELNS0_4arch9wavefront6targetE0EEEvSY_,comdat
	.globl	_ZN7rocprim17ROCPRIM_400000_NS6detail17trampoline_kernelINS0_13select_configILj256ELj13ELNS0_17block_load_methodE3ELS4_3ELS4_3ELNS0_20block_scan_algorithmE0ELj4294967295EEENS1_25partition_config_selectorILNS1_17partition_subalgoE3EjNS0_10empty_typeEbEEZZNS1_14partition_implILS8_3ELb0ES6_jNS0_17counting_iteratorIjlEEPS9_SE_NS0_5tupleIJPjSE_EEENSF_IJSE_SE_EEES9_SG_JZNS1_25segmented_radix_sort_implINS0_14default_configELb0EPKdPdPKlPlN2at6native12_GLOBAL__N_18offset_tEEE10hipError_tPvRmT1_PNSt15iterator_traitsISY_E10value_typeET2_T3_PNSZ_IS14_E10value_typeET4_jRbjT5_S1A_jjP12ihipStream_tbEUljE_EEESV_SW_SX_S14_S18_S1A_T6_T7_T9_mT8_S1C_bDpT10_ENKUlT_T0_E_clISt17integral_constantIbLb1EES1O_IbLb0EEEEDaS1K_S1L_EUlS1K_E_NS1_11comp_targetILNS1_3genE5ELNS1_11target_archE942ELNS1_3gpuE9ELNS1_3repE0EEENS1_30default_config_static_selectorELNS0_4arch9wavefront6targetE0EEEvSY_ ; -- Begin function _ZN7rocprim17ROCPRIM_400000_NS6detail17trampoline_kernelINS0_13select_configILj256ELj13ELNS0_17block_load_methodE3ELS4_3ELS4_3ELNS0_20block_scan_algorithmE0ELj4294967295EEENS1_25partition_config_selectorILNS1_17partition_subalgoE3EjNS0_10empty_typeEbEEZZNS1_14partition_implILS8_3ELb0ES6_jNS0_17counting_iteratorIjlEEPS9_SE_NS0_5tupleIJPjSE_EEENSF_IJSE_SE_EEES9_SG_JZNS1_25segmented_radix_sort_implINS0_14default_configELb0EPKdPdPKlPlN2at6native12_GLOBAL__N_18offset_tEEE10hipError_tPvRmT1_PNSt15iterator_traitsISY_E10value_typeET2_T3_PNSZ_IS14_E10value_typeET4_jRbjT5_S1A_jjP12ihipStream_tbEUljE_EEESV_SW_SX_S14_S18_S1A_T6_T7_T9_mT8_S1C_bDpT10_ENKUlT_T0_E_clISt17integral_constantIbLb1EES1O_IbLb0EEEEDaS1K_S1L_EUlS1K_E_NS1_11comp_targetILNS1_3genE5ELNS1_11target_archE942ELNS1_3gpuE9ELNS1_3repE0EEENS1_30default_config_static_selectorELNS0_4arch9wavefront6targetE0EEEvSY_
	.p2align	8
	.type	_ZN7rocprim17ROCPRIM_400000_NS6detail17trampoline_kernelINS0_13select_configILj256ELj13ELNS0_17block_load_methodE3ELS4_3ELS4_3ELNS0_20block_scan_algorithmE0ELj4294967295EEENS1_25partition_config_selectorILNS1_17partition_subalgoE3EjNS0_10empty_typeEbEEZZNS1_14partition_implILS8_3ELb0ES6_jNS0_17counting_iteratorIjlEEPS9_SE_NS0_5tupleIJPjSE_EEENSF_IJSE_SE_EEES9_SG_JZNS1_25segmented_radix_sort_implINS0_14default_configELb0EPKdPdPKlPlN2at6native12_GLOBAL__N_18offset_tEEE10hipError_tPvRmT1_PNSt15iterator_traitsISY_E10value_typeET2_T3_PNSZ_IS14_E10value_typeET4_jRbjT5_S1A_jjP12ihipStream_tbEUljE_EEESV_SW_SX_S14_S18_S1A_T6_T7_T9_mT8_S1C_bDpT10_ENKUlT_T0_E_clISt17integral_constantIbLb1EES1O_IbLb0EEEEDaS1K_S1L_EUlS1K_E_NS1_11comp_targetILNS1_3genE5ELNS1_11target_archE942ELNS1_3gpuE9ELNS1_3repE0EEENS1_30default_config_static_selectorELNS0_4arch9wavefront6targetE0EEEvSY_,@function
_ZN7rocprim17ROCPRIM_400000_NS6detail17trampoline_kernelINS0_13select_configILj256ELj13ELNS0_17block_load_methodE3ELS4_3ELS4_3ELNS0_20block_scan_algorithmE0ELj4294967295EEENS1_25partition_config_selectorILNS1_17partition_subalgoE3EjNS0_10empty_typeEbEEZZNS1_14partition_implILS8_3ELb0ES6_jNS0_17counting_iteratorIjlEEPS9_SE_NS0_5tupleIJPjSE_EEENSF_IJSE_SE_EEES9_SG_JZNS1_25segmented_radix_sort_implINS0_14default_configELb0EPKdPdPKlPlN2at6native12_GLOBAL__N_18offset_tEEE10hipError_tPvRmT1_PNSt15iterator_traitsISY_E10value_typeET2_T3_PNSZ_IS14_E10value_typeET4_jRbjT5_S1A_jjP12ihipStream_tbEUljE_EEESV_SW_SX_S14_S18_S1A_T6_T7_T9_mT8_S1C_bDpT10_ENKUlT_T0_E_clISt17integral_constantIbLb1EES1O_IbLb0EEEEDaS1K_S1L_EUlS1K_E_NS1_11comp_targetILNS1_3genE5ELNS1_11target_archE942ELNS1_3gpuE9ELNS1_3repE0EEENS1_30default_config_static_selectorELNS0_4arch9wavefront6targetE0EEEvSY_: ; @_ZN7rocprim17ROCPRIM_400000_NS6detail17trampoline_kernelINS0_13select_configILj256ELj13ELNS0_17block_load_methodE3ELS4_3ELS4_3ELNS0_20block_scan_algorithmE0ELj4294967295EEENS1_25partition_config_selectorILNS1_17partition_subalgoE3EjNS0_10empty_typeEbEEZZNS1_14partition_implILS8_3ELb0ES6_jNS0_17counting_iteratorIjlEEPS9_SE_NS0_5tupleIJPjSE_EEENSF_IJSE_SE_EEES9_SG_JZNS1_25segmented_radix_sort_implINS0_14default_configELb0EPKdPdPKlPlN2at6native12_GLOBAL__N_18offset_tEEE10hipError_tPvRmT1_PNSt15iterator_traitsISY_E10value_typeET2_T3_PNSZ_IS14_E10value_typeET4_jRbjT5_S1A_jjP12ihipStream_tbEUljE_EEESV_SW_SX_S14_S18_S1A_T6_T7_T9_mT8_S1C_bDpT10_ENKUlT_T0_E_clISt17integral_constantIbLb1EES1O_IbLb0EEEEDaS1K_S1L_EUlS1K_E_NS1_11comp_targetILNS1_3genE5ELNS1_11target_archE942ELNS1_3gpuE9ELNS1_3repE0EEENS1_30default_config_static_selectorELNS0_4arch9wavefront6targetE0EEEvSY_
; %bb.0:
	.section	.rodata,"a",@progbits
	.p2align	6, 0x0
	.amdhsa_kernel _ZN7rocprim17ROCPRIM_400000_NS6detail17trampoline_kernelINS0_13select_configILj256ELj13ELNS0_17block_load_methodE3ELS4_3ELS4_3ELNS0_20block_scan_algorithmE0ELj4294967295EEENS1_25partition_config_selectorILNS1_17partition_subalgoE3EjNS0_10empty_typeEbEEZZNS1_14partition_implILS8_3ELb0ES6_jNS0_17counting_iteratorIjlEEPS9_SE_NS0_5tupleIJPjSE_EEENSF_IJSE_SE_EEES9_SG_JZNS1_25segmented_radix_sort_implINS0_14default_configELb0EPKdPdPKlPlN2at6native12_GLOBAL__N_18offset_tEEE10hipError_tPvRmT1_PNSt15iterator_traitsISY_E10value_typeET2_T3_PNSZ_IS14_E10value_typeET4_jRbjT5_S1A_jjP12ihipStream_tbEUljE_EEESV_SW_SX_S14_S18_S1A_T6_T7_T9_mT8_S1C_bDpT10_ENKUlT_T0_E_clISt17integral_constantIbLb1EES1O_IbLb0EEEEDaS1K_S1L_EUlS1K_E_NS1_11comp_targetILNS1_3genE5ELNS1_11target_archE942ELNS1_3gpuE9ELNS1_3repE0EEENS1_30default_config_static_selectorELNS0_4arch9wavefront6targetE0EEEvSY_
		.amdhsa_group_segment_fixed_size 0
		.amdhsa_private_segment_fixed_size 0
		.amdhsa_kernarg_size 144
		.amdhsa_user_sgpr_count 2
		.amdhsa_user_sgpr_dispatch_ptr 0
		.amdhsa_user_sgpr_queue_ptr 0
		.amdhsa_user_sgpr_kernarg_segment_ptr 1
		.amdhsa_user_sgpr_dispatch_id 0
		.amdhsa_user_sgpr_private_segment_size 0
		.amdhsa_wavefront_size32 1
		.amdhsa_uses_dynamic_stack 0
		.amdhsa_enable_private_segment 0
		.amdhsa_system_sgpr_workgroup_id_x 1
		.amdhsa_system_sgpr_workgroup_id_y 0
		.amdhsa_system_sgpr_workgroup_id_z 0
		.amdhsa_system_sgpr_workgroup_info 0
		.amdhsa_system_vgpr_workitem_id 0
		.amdhsa_next_free_vgpr 1
		.amdhsa_next_free_sgpr 1
		.amdhsa_reserve_vcc 0
		.amdhsa_float_round_mode_32 0
		.amdhsa_float_round_mode_16_64 0
		.amdhsa_float_denorm_mode_32 3
		.amdhsa_float_denorm_mode_16_64 3
		.amdhsa_fp16_overflow 0
		.amdhsa_workgroup_processor_mode 1
		.amdhsa_memory_ordered 1
		.amdhsa_forward_progress 1
		.amdhsa_inst_pref_size 0
		.amdhsa_round_robin_scheduling 0
		.amdhsa_exception_fp_ieee_invalid_op 0
		.amdhsa_exception_fp_denorm_src 0
		.amdhsa_exception_fp_ieee_div_zero 0
		.amdhsa_exception_fp_ieee_overflow 0
		.amdhsa_exception_fp_ieee_underflow 0
		.amdhsa_exception_fp_ieee_inexact 0
		.amdhsa_exception_int_div_zero 0
	.end_amdhsa_kernel
	.section	.text._ZN7rocprim17ROCPRIM_400000_NS6detail17trampoline_kernelINS0_13select_configILj256ELj13ELNS0_17block_load_methodE3ELS4_3ELS4_3ELNS0_20block_scan_algorithmE0ELj4294967295EEENS1_25partition_config_selectorILNS1_17partition_subalgoE3EjNS0_10empty_typeEbEEZZNS1_14partition_implILS8_3ELb0ES6_jNS0_17counting_iteratorIjlEEPS9_SE_NS0_5tupleIJPjSE_EEENSF_IJSE_SE_EEES9_SG_JZNS1_25segmented_radix_sort_implINS0_14default_configELb0EPKdPdPKlPlN2at6native12_GLOBAL__N_18offset_tEEE10hipError_tPvRmT1_PNSt15iterator_traitsISY_E10value_typeET2_T3_PNSZ_IS14_E10value_typeET4_jRbjT5_S1A_jjP12ihipStream_tbEUljE_EEESV_SW_SX_S14_S18_S1A_T6_T7_T9_mT8_S1C_bDpT10_ENKUlT_T0_E_clISt17integral_constantIbLb1EES1O_IbLb0EEEEDaS1K_S1L_EUlS1K_E_NS1_11comp_targetILNS1_3genE5ELNS1_11target_archE942ELNS1_3gpuE9ELNS1_3repE0EEENS1_30default_config_static_selectorELNS0_4arch9wavefront6targetE0EEEvSY_,"axG",@progbits,_ZN7rocprim17ROCPRIM_400000_NS6detail17trampoline_kernelINS0_13select_configILj256ELj13ELNS0_17block_load_methodE3ELS4_3ELS4_3ELNS0_20block_scan_algorithmE0ELj4294967295EEENS1_25partition_config_selectorILNS1_17partition_subalgoE3EjNS0_10empty_typeEbEEZZNS1_14partition_implILS8_3ELb0ES6_jNS0_17counting_iteratorIjlEEPS9_SE_NS0_5tupleIJPjSE_EEENSF_IJSE_SE_EEES9_SG_JZNS1_25segmented_radix_sort_implINS0_14default_configELb0EPKdPdPKlPlN2at6native12_GLOBAL__N_18offset_tEEE10hipError_tPvRmT1_PNSt15iterator_traitsISY_E10value_typeET2_T3_PNSZ_IS14_E10value_typeET4_jRbjT5_S1A_jjP12ihipStream_tbEUljE_EEESV_SW_SX_S14_S18_S1A_T6_T7_T9_mT8_S1C_bDpT10_ENKUlT_T0_E_clISt17integral_constantIbLb1EES1O_IbLb0EEEEDaS1K_S1L_EUlS1K_E_NS1_11comp_targetILNS1_3genE5ELNS1_11target_archE942ELNS1_3gpuE9ELNS1_3repE0EEENS1_30default_config_static_selectorELNS0_4arch9wavefront6targetE0EEEvSY_,comdat
.Lfunc_end1206:
	.size	_ZN7rocprim17ROCPRIM_400000_NS6detail17trampoline_kernelINS0_13select_configILj256ELj13ELNS0_17block_load_methodE3ELS4_3ELS4_3ELNS0_20block_scan_algorithmE0ELj4294967295EEENS1_25partition_config_selectorILNS1_17partition_subalgoE3EjNS0_10empty_typeEbEEZZNS1_14partition_implILS8_3ELb0ES6_jNS0_17counting_iteratorIjlEEPS9_SE_NS0_5tupleIJPjSE_EEENSF_IJSE_SE_EEES9_SG_JZNS1_25segmented_radix_sort_implINS0_14default_configELb0EPKdPdPKlPlN2at6native12_GLOBAL__N_18offset_tEEE10hipError_tPvRmT1_PNSt15iterator_traitsISY_E10value_typeET2_T3_PNSZ_IS14_E10value_typeET4_jRbjT5_S1A_jjP12ihipStream_tbEUljE_EEESV_SW_SX_S14_S18_S1A_T6_T7_T9_mT8_S1C_bDpT10_ENKUlT_T0_E_clISt17integral_constantIbLb1EES1O_IbLb0EEEEDaS1K_S1L_EUlS1K_E_NS1_11comp_targetILNS1_3genE5ELNS1_11target_archE942ELNS1_3gpuE9ELNS1_3repE0EEENS1_30default_config_static_selectorELNS0_4arch9wavefront6targetE0EEEvSY_, .Lfunc_end1206-_ZN7rocprim17ROCPRIM_400000_NS6detail17trampoline_kernelINS0_13select_configILj256ELj13ELNS0_17block_load_methodE3ELS4_3ELS4_3ELNS0_20block_scan_algorithmE0ELj4294967295EEENS1_25partition_config_selectorILNS1_17partition_subalgoE3EjNS0_10empty_typeEbEEZZNS1_14partition_implILS8_3ELb0ES6_jNS0_17counting_iteratorIjlEEPS9_SE_NS0_5tupleIJPjSE_EEENSF_IJSE_SE_EEES9_SG_JZNS1_25segmented_radix_sort_implINS0_14default_configELb0EPKdPdPKlPlN2at6native12_GLOBAL__N_18offset_tEEE10hipError_tPvRmT1_PNSt15iterator_traitsISY_E10value_typeET2_T3_PNSZ_IS14_E10value_typeET4_jRbjT5_S1A_jjP12ihipStream_tbEUljE_EEESV_SW_SX_S14_S18_S1A_T6_T7_T9_mT8_S1C_bDpT10_ENKUlT_T0_E_clISt17integral_constantIbLb1EES1O_IbLb0EEEEDaS1K_S1L_EUlS1K_E_NS1_11comp_targetILNS1_3genE5ELNS1_11target_archE942ELNS1_3gpuE9ELNS1_3repE0EEENS1_30default_config_static_selectorELNS0_4arch9wavefront6targetE0EEEvSY_
                                        ; -- End function
	.set _ZN7rocprim17ROCPRIM_400000_NS6detail17trampoline_kernelINS0_13select_configILj256ELj13ELNS0_17block_load_methodE3ELS4_3ELS4_3ELNS0_20block_scan_algorithmE0ELj4294967295EEENS1_25partition_config_selectorILNS1_17partition_subalgoE3EjNS0_10empty_typeEbEEZZNS1_14partition_implILS8_3ELb0ES6_jNS0_17counting_iteratorIjlEEPS9_SE_NS0_5tupleIJPjSE_EEENSF_IJSE_SE_EEES9_SG_JZNS1_25segmented_radix_sort_implINS0_14default_configELb0EPKdPdPKlPlN2at6native12_GLOBAL__N_18offset_tEEE10hipError_tPvRmT1_PNSt15iterator_traitsISY_E10value_typeET2_T3_PNSZ_IS14_E10value_typeET4_jRbjT5_S1A_jjP12ihipStream_tbEUljE_EEESV_SW_SX_S14_S18_S1A_T6_T7_T9_mT8_S1C_bDpT10_ENKUlT_T0_E_clISt17integral_constantIbLb1EES1O_IbLb0EEEEDaS1K_S1L_EUlS1K_E_NS1_11comp_targetILNS1_3genE5ELNS1_11target_archE942ELNS1_3gpuE9ELNS1_3repE0EEENS1_30default_config_static_selectorELNS0_4arch9wavefront6targetE0EEEvSY_.num_vgpr, 0
	.set _ZN7rocprim17ROCPRIM_400000_NS6detail17trampoline_kernelINS0_13select_configILj256ELj13ELNS0_17block_load_methodE3ELS4_3ELS4_3ELNS0_20block_scan_algorithmE0ELj4294967295EEENS1_25partition_config_selectorILNS1_17partition_subalgoE3EjNS0_10empty_typeEbEEZZNS1_14partition_implILS8_3ELb0ES6_jNS0_17counting_iteratorIjlEEPS9_SE_NS0_5tupleIJPjSE_EEENSF_IJSE_SE_EEES9_SG_JZNS1_25segmented_radix_sort_implINS0_14default_configELb0EPKdPdPKlPlN2at6native12_GLOBAL__N_18offset_tEEE10hipError_tPvRmT1_PNSt15iterator_traitsISY_E10value_typeET2_T3_PNSZ_IS14_E10value_typeET4_jRbjT5_S1A_jjP12ihipStream_tbEUljE_EEESV_SW_SX_S14_S18_S1A_T6_T7_T9_mT8_S1C_bDpT10_ENKUlT_T0_E_clISt17integral_constantIbLb1EES1O_IbLb0EEEEDaS1K_S1L_EUlS1K_E_NS1_11comp_targetILNS1_3genE5ELNS1_11target_archE942ELNS1_3gpuE9ELNS1_3repE0EEENS1_30default_config_static_selectorELNS0_4arch9wavefront6targetE0EEEvSY_.num_agpr, 0
	.set _ZN7rocprim17ROCPRIM_400000_NS6detail17trampoline_kernelINS0_13select_configILj256ELj13ELNS0_17block_load_methodE3ELS4_3ELS4_3ELNS0_20block_scan_algorithmE0ELj4294967295EEENS1_25partition_config_selectorILNS1_17partition_subalgoE3EjNS0_10empty_typeEbEEZZNS1_14partition_implILS8_3ELb0ES6_jNS0_17counting_iteratorIjlEEPS9_SE_NS0_5tupleIJPjSE_EEENSF_IJSE_SE_EEES9_SG_JZNS1_25segmented_radix_sort_implINS0_14default_configELb0EPKdPdPKlPlN2at6native12_GLOBAL__N_18offset_tEEE10hipError_tPvRmT1_PNSt15iterator_traitsISY_E10value_typeET2_T3_PNSZ_IS14_E10value_typeET4_jRbjT5_S1A_jjP12ihipStream_tbEUljE_EEESV_SW_SX_S14_S18_S1A_T6_T7_T9_mT8_S1C_bDpT10_ENKUlT_T0_E_clISt17integral_constantIbLb1EES1O_IbLb0EEEEDaS1K_S1L_EUlS1K_E_NS1_11comp_targetILNS1_3genE5ELNS1_11target_archE942ELNS1_3gpuE9ELNS1_3repE0EEENS1_30default_config_static_selectorELNS0_4arch9wavefront6targetE0EEEvSY_.numbered_sgpr, 0
	.set _ZN7rocprim17ROCPRIM_400000_NS6detail17trampoline_kernelINS0_13select_configILj256ELj13ELNS0_17block_load_methodE3ELS4_3ELS4_3ELNS0_20block_scan_algorithmE0ELj4294967295EEENS1_25partition_config_selectorILNS1_17partition_subalgoE3EjNS0_10empty_typeEbEEZZNS1_14partition_implILS8_3ELb0ES6_jNS0_17counting_iteratorIjlEEPS9_SE_NS0_5tupleIJPjSE_EEENSF_IJSE_SE_EEES9_SG_JZNS1_25segmented_radix_sort_implINS0_14default_configELb0EPKdPdPKlPlN2at6native12_GLOBAL__N_18offset_tEEE10hipError_tPvRmT1_PNSt15iterator_traitsISY_E10value_typeET2_T3_PNSZ_IS14_E10value_typeET4_jRbjT5_S1A_jjP12ihipStream_tbEUljE_EEESV_SW_SX_S14_S18_S1A_T6_T7_T9_mT8_S1C_bDpT10_ENKUlT_T0_E_clISt17integral_constantIbLb1EES1O_IbLb0EEEEDaS1K_S1L_EUlS1K_E_NS1_11comp_targetILNS1_3genE5ELNS1_11target_archE942ELNS1_3gpuE9ELNS1_3repE0EEENS1_30default_config_static_selectorELNS0_4arch9wavefront6targetE0EEEvSY_.num_named_barrier, 0
	.set _ZN7rocprim17ROCPRIM_400000_NS6detail17trampoline_kernelINS0_13select_configILj256ELj13ELNS0_17block_load_methodE3ELS4_3ELS4_3ELNS0_20block_scan_algorithmE0ELj4294967295EEENS1_25partition_config_selectorILNS1_17partition_subalgoE3EjNS0_10empty_typeEbEEZZNS1_14partition_implILS8_3ELb0ES6_jNS0_17counting_iteratorIjlEEPS9_SE_NS0_5tupleIJPjSE_EEENSF_IJSE_SE_EEES9_SG_JZNS1_25segmented_radix_sort_implINS0_14default_configELb0EPKdPdPKlPlN2at6native12_GLOBAL__N_18offset_tEEE10hipError_tPvRmT1_PNSt15iterator_traitsISY_E10value_typeET2_T3_PNSZ_IS14_E10value_typeET4_jRbjT5_S1A_jjP12ihipStream_tbEUljE_EEESV_SW_SX_S14_S18_S1A_T6_T7_T9_mT8_S1C_bDpT10_ENKUlT_T0_E_clISt17integral_constantIbLb1EES1O_IbLb0EEEEDaS1K_S1L_EUlS1K_E_NS1_11comp_targetILNS1_3genE5ELNS1_11target_archE942ELNS1_3gpuE9ELNS1_3repE0EEENS1_30default_config_static_selectorELNS0_4arch9wavefront6targetE0EEEvSY_.private_seg_size, 0
	.set _ZN7rocprim17ROCPRIM_400000_NS6detail17trampoline_kernelINS0_13select_configILj256ELj13ELNS0_17block_load_methodE3ELS4_3ELS4_3ELNS0_20block_scan_algorithmE0ELj4294967295EEENS1_25partition_config_selectorILNS1_17partition_subalgoE3EjNS0_10empty_typeEbEEZZNS1_14partition_implILS8_3ELb0ES6_jNS0_17counting_iteratorIjlEEPS9_SE_NS0_5tupleIJPjSE_EEENSF_IJSE_SE_EEES9_SG_JZNS1_25segmented_radix_sort_implINS0_14default_configELb0EPKdPdPKlPlN2at6native12_GLOBAL__N_18offset_tEEE10hipError_tPvRmT1_PNSt15iterator_traitsISY_E10value_typeET2_T3_PNSZ_IS14_E10value_typeET4_jRbjT5_S1A_jjP12ihipStream_tbEUljE_EEESV_SW_SX_S14_S18_S1A_T6_T7_T9_mT8_S1C_bDpT10_ENKUlT_T0_E_clISt17integral_constantIbLb1EES1O_IbLb0EEEEDaS1K_S1L_EUlS1K_E_NS1_11comp_targetILNS1_3genE5ELNS1_11target_archE942ELNS1_3gpuE9ELNS1_3repE0EEENS1_30default_config_static_selectorELNS0_4arch9wavefront6targetE0EEEvSY_.uses_vcc, 0
	.set _ZN7rocprim17ROCPRIM_400000_NS6detail17trampoline_kernelINS0_13select_configILj256ELj13ELNS0_17block_load_methodE3ELS4_3ELS4_3ELNS0_20block_scan_algorithmE0ELj4294967295EEENS1_25partition_config_selectorILNS1_17partition_subalgoE3EjNS0_10empty_typeEbEEZZNS1_14partition_implILS8_3ELb0ES6_jNS0_17counting_iteratorIjlEEPS9_SE_NS0_5tupleIJPjSE_EEENSF_IJSE_SE_EEES9_SG_JZNS1_25segmented_radix_sort_implINS0_14default_configELb0EPKdPdPKlPlN2at6native12_GLOBAL__N_18offset_tEEE10hipError_tPvRmT1_PNSt15iterator_traitsISY_E10value_typeET2_T3_PNSZ_IS14_E10value_typeET4_jRbjT5_S1A_jjP12ihipStream_tbEUljE_EEESV_SW_SX_S14_S18_S1A_T6_T7_T9_mT8_S1C_bDpT10_ENKUlT_T0_E_clISt17integral_constantIbLb1EES1O_IbLb0EEEEDaS1K_S1L_EUlS1K_E_NS1_11comp_targetILNS1_3genE5ELNS1_11target_archE942ELNS1_3gpuE9ELNS1_3repE0EEENS1_30default_config_static_selectorELNS0_4arch9wavefront6targetE0EEEvSY_.uses_flat_scratch, 0
	.set _ZN7rocprim17ROCPRIM_400000_NS6detail17trampoline_kernelINS0_13select_configILj256ELj13ELNS0_17block_load_methodE3ELS4_3ELS4_3ELNS0_20block_scan_algorithmE0ELj4294967295EEENS1_25partition_config_selectorILNS1_17partition_subalgoE3EjNS0_10empty_typeEbEEZZNS1_14partition_implILS8_3ELb0ES6_jNS0_17counting_iteratorIjlEEPS9_SE_NS0_5tupleIJPjSE_EEENSF_IJSE_SE_EEES9_SG_JZNS1_25segmented_radix_sort_implINS0_14default_configELb0EPKdPdPKlPlN2at6native12_GLOBAL__N_18offset_tEEE10hipError_tPvRmT1_PNSt15iterator_traitsISY_E10value_typeET2_T3_PNSZ_IS14_E10value_typeET4_jRbjT5_S1A_jjP12ihipStream_tbEUljE_EEESV_SW_SX_S14_S18_S1A_T6_T7_T9_mT8_S1C_bDpT10_ENKUlT_T0_E_clISt17integral_constantIbLb1EES1O_IbLb0EEEEDaS1K_S1L_EUlS1K_E_NS1_11comp_targetILNS1_3genE5ELNS1_11target_archE942ELNS1_3gpuE9ELNS1_3repE0EEENS1_30default_config_static_selectorELNS0_4arch9wavefront6targetE0EEEvSY_.has_dyn_sized_stack, 0
	.set _ZN7rocprim17ROCPRIM_400000_NS6detail17trampoline_kernelINS0_13select_configILj256ELj13ELNS0_17block_load_methodE3ELS4_3ELS4_3ELNS0_20block_scan_algorithmE0ELj4294967295EEENS1_25partition_config_selectorILNS1_17partition_subalgoE3EjNS0_10empty_typeEbEEZZNS1_14partition_implILS8_3ELb0ES6_jNS0_17counting_iteratorIjlEEPS9_SE_NS0_5tupleIJPjSE_EEENSF_IJSE_SE_EEES9_SG_JZNS1_25segmented_radix_sort_implINS0_14default_configELb0EPKdPdPKlPlN2at6native12_GLOBAL__N_18offset_tEEE10hipError_tPvRmT1_PNSt15iterator_traitsISY_E10value_typeET2_T3_PNSZ_IS14_E10value_typeET4_jRbjT5_S1A_jjP12ihipStream_tbEUljE_EEESV_SW_SX_S14_S18_S1A_T6_T7_T9_mT8_S1C_bDpT10_ENKUlT_T0_E_clISt17integral_constantIbLb1EES1O_IbLb0EEEEDaS1K_S1L_EUlS1K_E_NS1_11comp_targetILNS1_3genE5ELNS1_11target_archE942ELNS1_3gpuE9ELNS1_3repE0EEENS1_30default_config_static_selectorELNS0_4arch9wavefront6targetE0EEEvSY_.has_recursion, 0
	.set _ZN7rocprim17ROCPRIM_400000_NS6detail17trampoline_kernelINS0_13select_configILj256ELj13ELNS0_17block_load_methodE3ELS4_3ELS4_3ELNS0_20block_scan_algorithmE0ELj4294967295EEENS1_25partition_config_selectorILNS1_17partition_subalgoE3EjNS0_10empty_typeEbEEZZNS1_14partition_implILS8_3ELb0ES6_jNS0_17counting_iteratorIjlEEPS9_SE_NS0_5tupleIJPjSE_EEENSF_IJSE_SE_EEES9_SG_JZNS1_25segmented_radix_sort_implINS0_14default_configELb0EPKdPdPKlPlN2at6native12_GLOBAL__N_18offset_tEEE10hipError_tPvRmT1_PNSt15iterator_traitsISY_E10value_typeET2_T3_PNSZ_IS14_E10value_typeET4_jRbjT5_S1A_jjP12ihipStream_tbEUljE_EEESV_SW_SX_S14_S18_S1A_T6_T7_T9_mT8_S1C_bDpT10_ENKUlT_T0_E_clISt17integral_constantIbLb1EES1O_IbLb0EEEEDaS1K_S1L_EUlS1K_E_NS1_11comp_targetILNS1_3genE5ELNS1_11target_archE942ELNS1_3gpuE9ELNS1_3repE0EEENS1_30default_config_static_selectorELNS0_4arch9wavefront6targetE0EEEvSY_.has_indirect_call, 0
	.section	.AMDGPU.csdata,"",@progbits
; Kernel info:
; codeLenInByte = 0
; TotalNumSgprs: 0
; NumVgprs: 0
; ScratchSize: 0
; MemoryBound: 0
; FloatMode: 240
; IeeeMode: 1
; LDSByteSize: 0 bytes/workgroup (compile time only)
; SGPRBlocks: 0
; VGPRBlocks: 0
; NumSGPRsForWavesPerEU: 1
; NumVGPRsForWavesPerEU: 1
; Occupancy: 16
; WaveLimiterHint : 0
; COMPUTE_PGM_RSRC2:SCRATCH_EN: 0
; COMPUTE_PGM_RSRC2:USER_SGPR: 2
; COMPUTE_PGM_RSRC2:TRAP_HANDLER: 0
; COMPUTE_PGM_RSRC2:TGID_X_EN: 1
; COMPUTE_PGM_RSRC2:TGID_Y_EN: 0
; COMPUTE_PGM_RSRC2:TGID_Z_EN: 0
; COMPUTE_PGM_RSRC2:TIDIG_COMP_CNT: 0
	.section	.text._ZN7rocprim17ROCPRIM_400000_NS6detail17trampoline_kernelINS0_13select_configILj256ELj13ELNS0_17block_load_methodE3ELS4_3ELS4_3ELNS0_20block_scan_algorithmE0ELj4294967295EEENS1_25partition_config_selectorILNS1_17partition_subalgoE3EjNS0_10empty_typeEbEEZZNS1_14partition_implILS8_3ELb0ES6_jNS0_17counting_iteratorIjlEEPS9_SE_NS0_5tupleIJPjSE_EEENSF_IJSE_SE_EEES9_SG_JZNS1_25segmented_radix_sort_implINS0_14default_configELb0EPKdPdPKlPlN2at6native12_GLOBAL__N_18offset_tEEE10hipError_tPvRmT1_PNSt15iterator_traitsISY_E10value_typeET2_T3_PNSZ_IS14_E10value_typeET4_jRbjT5_S1A_jjP12ihipStream_tbEUljE_EEESV_SW_SX_S14_S18_S1A_T6_T7_T9_mT8_S1C_bDpT10_ENKUlT_T0_E_clISt17integral_constantIbLb1EES1O_IbLb0EEEEDaS1K_S1L_EUlS1K_E_NS1_11comp_targetILNS1_3genE4ELNS1_11target_archE910ELNS1_3gpuE8ELNS1_3repE0EEENS1_30default_config_static_selectorELNS0_4arch9wavefront6targetE0EEEvSY_,"axG",@progbits,_ZN7rocprim17ROCPRIM_400000_NS6detail17trampoline_kernelINS0_13select_configILj256ELj13ELNS0_17block_load_methodE3ELS4_3ELS4_3ELNS0_20block_scan_algorithmE0ELj4294967295EEENS1_25partition_config_selectorILNS1_17partition_subalgoE3EjNS0_10empty_typeEbEEZZNS1_14partition_implILS8_3ELb0ES6_jNS0_17counting_iteratorIjlEEPS9_SE_NS0_5tupleIJPjSE_EEENSF_IJSE_SE_EEES9_SG_JZNS1_25segmented_radix_sort_implINS0_14default_configELb0EPKdPdPKlPlN2at6native12_GLOBAL__N_18offset_tEEE10hipError_tPvRmT1_PNSt15iterator_traitsISY_E10value_typeET2_T3_PNSZ_IS14_E10value_typeET4_jRbjT5_S1A_jjP12ihipStream_tbEUljE_EEESV_SW_SX_S14_S18_S1A_T6_T7_T9_mT8_S1C_bDpT10_ENKUlT_T0_E_clISt17integral_constantIbLb1EES1O_IbLb0EEEEDaS1K_S1L_EUlS1K_E_NS1_11comp_targetILNS1_3genE4ELNS1_11target_archE910ELNS1_3gpuE8ELNS1_3repE0EEENS1_30default_config_static_selectorELNS0_4arch9wavefront6targetE0EEEvSY_,comdat
	.globl	_ZN7rocprim17ROCPRIM_400000_NS6detail17trampoline_kernelINS0_13select_configILj256ELj13ELNS0_17block_load_methodE3ELS4_3ELS4_3ELNS0_20block_scan_algorithmE0ELj4294967295EEENS1_25partition_config_selectorILNS1_17partition_subalgoE3EjNS0_10empty_typeEbEEZZNS1_14partition_implILS8_3ELb0ES6_jNS0_17counting_iteratorIjlEEPS9_SE_NS0_5tupleIJPjSE_EEENSF_IJSE_SE_EEES9_SG_JZNS1_25segmented_radix_sort_implINS0_14default_configELb0EPKdPdPKlPlN2at6native12_GLOBAL__N_18offset_tEEE10hipError_tPvRmT1_PNSt15iterator_traitsISY_E10value_typeET2_T3_PNSZ_IS14_E10value_typeET4_jRbjT5_S1A_jjP12ihipStream_tbEUljE_EEESV_SW_SX_S14_S18_S1A_T6_T7_T9_mT8_S1C_bDpT10_ENKUlT_T0_E_clISt17integral_constantIbLb1EES1O_IbLb0EEEEDaS1K_S1L_EUlS1K_E_NS1_11comp_targetILNS1_3genE4ELNS1_11target_archE910ELNS1_3gpuE8ELNS1_3repE0EEENS1_30default_config_static_selectorELNS0_4arch9wavefront6targetE0EEEvSY_ ; -- Begin function _ZN7rocprim17ROCPRIM_400000_NS6detail17trampoline_kernelINS0_13select_configILj256ELj13ELNS0_17block_load_methodE3ELS4_3ELS4_3ELNS0_20block_scan_algorithmE0ELj4294967295EEENS1_25partition_config_selectorILNS1_17partition_subalgoE3EjNS0_10empty_typeEbEEZZNS1_14partition_implILS8_3ELb0ES6_jNS0_17counting_iteratorIjlEEPS9_SE_NS0_5tupleIJPjSE_EEENSF_IJSE_SE_EEES9_SG_JZNS1_25segmented_radix_sort_implINS0_14default_configELb0EPKdPdPKlPlN2at6native12_GLOBAL__N_18offset_tEEE10hipError_tPvRmT1_PNSt15iterator_traitsISY_E10value_typeET2_T3_PNSZ_IS14_E10value_typeET4_jRbjT5_S1A_jjP12ihipStream_tbEUljE_EEESV_SW_SX_S14_S18_S1A_T6_T7_T9_mT8_S1C_bDpT10_ENKUlT_T0_E_clISt17integral_constantIbLb1EES1O_IbLb0EEEEDaS1K_S1L_EUlS1K_E_NS1_11comp_targetILNS1_3genE4ELNS1_11target_archE910ELNS1_3gpuE8ELNS1_3repE0EEENS1_30default_config_static_selectorELNS0_4arch9wavefront6targetE0EEEvSY_
	.p2align	8
	.type	_ZN7rocprim17ROCPRIM_400000_NS6detail17trampoline_kernelINS0_13select_configILj256ELj13ELNS0_17block_load_methodE3ELS4_3ELS4_3ELNS0_20block_scan_algorithmE0ELj4294967295EEENS1_25partition_config_selectorILNS1_17partition_subalgoE3EjNS0_10empty_typeEbEEZZNS1_14partition_implILS8_3ELb0ES6_jNS0_17counting_iteratorIjlEEPS9_SE_NS0_5tupleIJPjSE_EEENSF_IJSE_SE_EEES9_SG_JZNS1_25segmented_radix_sort_implINS0_14default_configELb0EPKdPdPKlPlN2at6native12_GLOBAL__N_18offset_tEEE10hipError_tPvRmT1_PNSt15iterator_traitsISY_E10value_typeET2_T3_PNSZ_IS14_E10value_typeET4_jRbjT5_S1A_jjP12ihipStream_tbEUljE_EEESV_SW_SX_S14_S18_S1A_T6_T7_T9_mT8_S1C_bDpT10_ENKUlT_T0_E_clISt17integral_constantIbLb1EES1O_IbLb0EEEEDaS1K_S1L_EUlS1K_E_NS1_11comp_targetILNS1_3genE4ELNS1_11target_archE910ELNS1_3gpuE8ELNS1_3repE0EEENS1_30default_config_static_selectorELNS0_4arch9wavefront6targetE0EEEvSY_,@function
_ZN7rocprim17ROCPRIM_400000_NS6detail17trampoline_kernelINS0_13select_configILj256ELj13ELNS0_17block_load_methodE3ELS4_3ELS4_3ELNS0_20block_scan_algorithmE0ELj4294967295EEENS1_25partition_config_selectorILNS1_17partition_subalgoE3EjNS0_10empty_typeEbEEZZNS1_14partition_implILS8_3ELb0ES6_jNS0_17counting_iteratorIjlEEPS9_SE_NS0_5tupleIJPjSE_EEENSF_IJSE_SE_EEES9_SG_JZNS1_25segmented_radix_sort_implINS0_14default_configELb0EPKdPdPKlPlN2at6native12_GLOBAL__N_18offset_tEEE10hipError_tPvRmT1_PNSt15iterator_traitsISY_E10value_typeET2_T3_PNSZ_IS14_E10value_typeET4_jRbjT5_S1A_jjP12ihipStream_tbEUljE_EEESV_SW_SX_S14_S18_S1A_T6_T7_T9_mT8_S1C_bDpT10_ENKUlT_T0_E_clISt17integral_constantIbLb1EES1O_IbLb0EEEEDaS1K_S1L_EUlS1K_E_NS1_11comp_targetILNS1_3genE4ELNS1_11target_archE910ELNS1_3gpuE8ELNS1_3repE0EEENS1_30default_config_static_selectorELNS0_4arch9wavefront6targetE0EEEvSY_: ; @_ZN7rocprim17ROCPRIM_400000_NS6detail17trampoline_kernelINS0_13select_configILj256ELj13ELNS0_17block_load_methodE3ELS4_3ELS4_3ELNS0_20block_scan_algorithmE0ELj4294967295EEENS1_25partition_config_selectorILNS1_17partition_subalgoE3EjNS0_10empty_typeEbEEZZNS1_14partition_implILS8_3ELb0ES6_jNS0_17counting_iteratorIjlEEPS9_SE_NS0_5tupleIJPjSE_EEENSF_IJSE_SE_EEES9_SG_JZNS1_25segmented_radix_sort_implINS0_14default_configELb0EPKdPdPKlPlN2at6native12_GLOBAL__N_18offset_tEEE10hipError_tPvRmT1_PNSt15iterator_traitsISY_E10value_typeET2_T3_PNSZ_IS14_E10value_typeET4_jRbjT5_S1A_jjP12ihipStream_tbEUljE_EEESV_SW_SX_S14_S18_S1A_T6_T7_T9_mT8_S1C_bDpT10_ENKUlT_T0_E_clISt17integral_constantIbLb1EES1O_IbLb0EEEEDaS1K_S1L_EUlS1K_E_NS1_11comp_targetILNS1_3genE4ELNS1_11target_archE910ELNS1_3gpuE8ELNS1_3repE0EEENS1_30default_config_static_selectorELNS0_4arch9wavefront6targetE0EEEvSY_
; %bb.0:
	.section	.rodata,"a",@progbits
	.p2align	6, 0x0
	.amdhsa_kernel _ZN7rocprim17ROCPRIM_400000_NS6detail17trampoline_kernelINS0_13select_configILj256ELj13ELNS0_17block_load_methodE3ELS4_3ELS4_3ELNS0_20block_scan_algorithmE0ELj4294967295EEENS1_25partition_config_selectorILNS1_17partition_subalgoE3EjNS0_10empty_typeEbEEZZNS1_14partition_implILS8_3ELb0ES6_jNS0_17counting_iteratorIjlEEPS9_SE_NS0_5tupleIJPjSE_EEENSF_IJSE_SE_EEES9_SG_JZNS1_25segmented_radix_sort_implINS0_14default_configELb0EPKdPdPKlPlN2at6native12_GLOBAL__N_18offset_tEEE10hipError_tPvRmT1_PNSt15iterator_traitsISY_E10value_typeET2_T3_PNSZ_IS14_E10value_typeET4_jRbjT5_S1A_jjP12ihipStream_tbEUljE_EEESV_SW_SX_S14_S18_S1A_T6_T7_T9_mT8_S1C_bDpT10_ENKUlT_T0_E_clISt17integral_constantIbLb1EES1O_IbLb0EEEEDaS1K_S1L_EUlS1K_E_NS1_11comp_targetILNS1_3genE4ELNS1_11target_archE910ELNS1_3gpuE8ELNS1_3repE0EEENS1_30default_config_static_selectorELNS0_4arch9wavefront6targetE0EEEvSY_
		.amdhsa_group_segment_fixed_size 0
		.amdhsa_private_segment_fixed_size 0
		.amdhsa_kernarg_size 144
		.amdhsa_user_sgpr_count 2
		.amdhsa_user_sgpr_dispatch_ptr 0
		.amdhsa_user_sgpr_queue_ptr 0
		.amdhsa_user_sgpr_kernarg_segment_ptr 1
		.amdhsa_user_sgpr_dispatch_id 0
		.amdhsa_user_sgpr_private_segment_size 0
		.amdhsa_wavefront_size32 1
		.amdhsa_uses_dynamic_stack 0
		.amdhsa_enable_private_segment 0
		.amdhsa_system_sgpr_workgroup_id_x 1
		.amdhsa_system_sgpr_workgroup_id_y 0
		.amdhsa_system_sgpr_workgroup_id_z 0
		.amdhsa_system_sgpr_workgroup_info 0
		.amdhsa_system_vgpr_workitem_id 0
		.amdhsa_next_free_vgpr 1
		.amdhsa_next_free_sgpr 1
		.amdhsa_reserve_vcc 0
		.amdhsa_float_round_mode_32 0
		.amdhsa_float_round_mode_16_64 0
		.amdhsa_float_denorm_mode_32 3
		.amdhsa_float_denorm_mode_16_64 3
		.amdhsa_fp16_overflow 0
		.amdhsa_workgroup_processor_mode 1
		.amdhsa_memory_ordered 1
		.amdhsa_forward_progress 1
		.amdhsa_inst_pref_size 0
		.amdhsa_round_robin_scheduling 0
		.amdhsa_exception_fp_ieee_invalid_op 0
		.amdhsa_exception_fp_denorm_src 0
		.amdhsa_exception_fp_ieee_div_zero 0
		.amdhsa_exception_fp_ieee_overflow 0
		.amdhsa_exception_fp_ieee_underflow 0
		.amdhsa_exception_fp_ieee_inexact 0
		.amdhsa_exception_int_div_zero 0
	.end_amdhsa_kernel
	.section	.text._ZN7rocprim17ROCPRIM_400000_NS6detail17trampoline_kernelINS0_13select_configILj256ELj13ELNS0_17block_load_methodE3ELS4_3ELS4_3ELNS0_20block_scan_algorithmE0ELj4294967295EEENS1_25partition_config_selectorILNS1_17partition_subalgoE3EjNS0_10empty_typeEbEEZZNS1_14partition_implILS8_3ELb0ES6_jNS0_17counting_iteratorIjlEEPS9_SE_NS0_5tupleIJPjSE_EEENSF_IJSE_SE_EEES9_SG_JZNS1_25segmented_radix_sort_implINS0_14default_configELb0EPKdPdPKlPlN2at6native12_GLOBAL__N_18offset_tEEE10hipError_tPvRmT1_PNSt15iterator_traitsISY_E10value_typeET2_T3_PNSZ_IS14_E10value_typeET4_jRbjT5_S1A_jjP12ihipStream_tbEUljE_EEESV_SW_SX_S14_S18_S1A_T6_T7_T9_mT8_S1C_bDpT10_ENKUlT_T0_E_clISt17integral_constantIbLb1EES1O_IbLb0EEEEDaS1K_S1L_EUlS1K_E_NS1_11comp_targetILNS1_3genE4ELNS1_11target_archE910ELNS1_3gpuE8ELNS1_3repE0EEENS1_30default_config_static_selectorELNS0_4arch9wavefront6targetE0EEEvSY_,"axG",@progbits,_ZN7rocprim17ROCPRIM_400000_NS6detail17trampoline_kernelINS0_13select_configILj256ELj13ELNS0_17block_load_methodE3ELS4_3ELS4_3ELNS0_20block_scan_algorithmE0ELj4294967295EEENS1_25partition_config_selectorILNS1_17partition_subalgoE3EjNS0_10empty_typeEbEEZZNS1_14partition_implILS8_3ELb0ES6_jNS0_17counting_iteratorIjlEEPS9_SE_NS0_5tupleIJPjSE_EEENSF_IJSE_SE_EEES9_SG_JZNS1_25segmented_radix_sort_implINS0_14default_configELb0EPKdPdPKlPlN2at6native12_GLOBAL__N_18offset_tEEE10hipError_tPvRmT1_PNSt15iterator_traitsISY_E10value_typeET2_T3_PNSZ_IS14_E10value_typeET4_jRbjT5_S1A_jjP12ihipStream_tbEUljE_EEESV_SW_SX_S14_S18_S1A_T6_T7_T9_mT8_S1C_bDpT10_ENKUlT_T0_E_clISt17integral_constantIbLb1EES1O_IbLb0EEEEDaS1K_S1L_EUlS1K_E_NS1_11comp_targetILNS1_3genE4ELNS1_11target_archE910ELNS1_3gpuE8ELNS1_3repE0EEENS1_30default_config_static_selectorELNS0_4arch9wavefront6targetE0EEEvSY_,comdat
.Lfunc_end1207:
	.size	_ZN7rocprim17ROCPRIM_400000_NS6detail17trampoline_kernelINS0_13select_configILj256ELj13ELNS0_17block_load_methodE3ELS4_3ELS4_3ELNS0_20block_scan_algorithmE0ELj4294967295EEENS1_25partition_config_selectorILNS1_17partition_subalgoE3EjNS0_10empty_typeEbEEZZNS1_14partition_implILS8_3ELb0ES6_jNS0_17counting_iteratorIjlEEPS9_SE_NS0_5tupleIJPjSE_EEENSF_IJSE_SE_EEES9_SG_JZNS1_25segmented_radix_sort_implINS0_14default_configELb0EPKdPdPKlPlN2at6native12_GLOBAL__N_18offset_tEEE10hipError_tPvRmT1_PNSt15iterator_traitsISY_E10value_typeET2_T3_PNSZ_IS14_E10value_typeET4_jRbjT5_S1A_jjP12ihipStream_tbEUljE_EEESV_SW_SX_S14_S18_S1A_T6_T7_T9_mT8_S1C_bDpT10_ENKUlT_T0_E_clISt17integral_constantIbLb1EES1O_IbLb0EEEEDaS1K_S1L_EUlS1K_E_NS1_11comp_targetILNS1_3genE4ELNS1_11target_archE910ELNS1_3gpuE8ELNS1_3repE0EEENS1_30default_config_static_selectorELNS0_4arch9wavefront6targetE0EEEvSY_, .Lfunc_end1207-_ZN7rocprim17ROCPRIM_400000_NS6detail17trampoline_kernelINS0_13select_configILj256ELj13ELNS0_17block_load_methodE3ELS4_3ELS4_3ELNS0_20block_scan_algorithmE0ELj4294967295EEENS1_25partition_config_selectorILNS1_17partition_subalgoE3EjNS0_10empty_typeEbEEZZNS1_14partition_implILS8_3ELb0ES6_jNS0_17counting_iteratorIjlEEPS9_SE_NS0_5tupleIJPjSE_EEENSF_IJSE_SE_EEES9_SG_JZNS1_25segmented_radix_sort_implINS0_14default_configELb0EPKdPdPKlPlN2at6native12_GLOBAL__N_18offset_tEEE10hipError_tPvRmT1_PNSt15iterator_traitsISY_E10value_typeET2_T3_PNSZ_IS14_E10value_typeET4_jRbjT5_S1A_jjP12ihipStream_tbEUljE_EEESV_SW_SX_S14_S18_S1A_T6_T7_T9_mT8_S1C_bDpT10_ENKUlT_T0_E_clISt17integral_constantIbLb1EES1O_IbLb0EEEEDaS1K_S1L_EUlS1K_E_NS1_11comp_targetILNS1_3genE4ELNS1_11target_archE910ELNS1_3gpuE8ELNS1_3repE0EEENS1_30default_config_static_selectorELNS0_4arch9wavefront6targetE0EEEvSY_
                                        ; -- End function
	.set _ZN7rocprim17ROCPRIM_400000_NS6detail17trampoline_kernelINS0_13select_configILj256ELj13ELNS0_17block_load_methodE3ELS4_3ELS4_3ELNS0_20block_scan_algorithmE0ELj4294967295EEENS1_25partition_config_selectorILNS1_17partition_subalgoE3EjNS0_10empty_typeEbEEZZNS1_14partition_implILS8_3ELb0ES6_jNS0_17counting_iteratorIjlEEPS9_SE_NS0_5tupleIJPjSE_EEENSF_IJSE_SE_EEES9_SG_JZNS1_25segmented_radix_sort_implINS0_14default_configELb0EPKdPdPKlPlN2at6native12_GLOBAL__N_18offset_tEEE10hipError_tPvRmT1_PNSt15iterator_traitsISY_E10value_typeET2_T3_PNSZ_IS14_E10value_typeET4_jRbjT5_S1A_jjP12ihipStream_tbEUljE_EEESV_SW_SX_S14_S18_S1A_T6_T7_T9_mT8_S1C_bDpT10_ENKUlT_T0_E_clISt17integral_constantIbLb1EES1O_IbLb0EEEEDaS1K_S1L_EUlS1K_E_NS1_11comp_targetILNS1_3genE4ELNS1_11target_archE910ELNS1_3gpuE8ELNS1_3repE0EEENS1_30default_config_static_selectorELNS0_4arch9wavefront6targetE0EEEvSY_.num_vgpr, 0
	.set _ZN7rocprim17ROCPRIM_400000_NS6detail17trampoline_kernelINS0_13select_configILj256ELj13ELNS0_17block_load_methodE3ELS4_3ELS4_3ELNS0_20block_scan_algorithmE0ELj4294967295EEENS1_25partition_config_selectorILNS1_17partition_subalgoE3EjNS0_10empty_typeEbEEZZNS1_14partition_implILS8_3ELb0ES6_jNS0_17counting_iteratorIjlEEPS9_SE_NS0_5tupleIJPjSE_EEENSF_IJSE_SE_EEES9_SG_JZNS1_25segmented_radix_sort_implINS0_14default_configELb0EPKdPdPKlPlN2at6native12_GLOBAL__N_18offset_tEEE10hipError_tPvRmT1_PNSt15iterator_traitsISY_E10value_typeET2_T3_PNSZ_IS14_E10value_typeET4_jRbjT5_S1A_jjP12ihipStream_tbEUljE_EEESV_SW_SX_S14_S18_S1A_T6_T7_T9_mT8_S1C_bDpT10_ENKUlT_T0_E_clISt17integral_constantIbLb1EES1O_IbLb0EEEEDaS1K_S1L_EUlS1K_E_NS1_11comp_targetILNS1_3genE4ELNS1_11target_archE910ELNS1_3gpuE8ELNS1_3repE0EEENS1_30default_config_static_selectorELNS0_4arch9wavefront6targetE0EEEvSY_.num_agpr, 0
	.set _ZN7rocprim17ROCPRIM_400000_NS6detail17trampoline_kernelINS0_13select_configILj256ELj13ELNS0_17block_load_methodE3ELS4_3ELS4_3ELNS0_20block_scan_algorithmE0ELj4294967295EEENS1_25partition_config_selectorILNS1_17partition_subalgoE3EjNS0_10empty_typeEbEEZZNS1_14partition_implILS8_3ELb0ES6_jNS0_17counting_iteratorIjlEEPS9_SE_NS0_5tupleIJPjSE_EEENSF_IJSE_SE_EEES9_SG_JZNS1_25segmented_radix_sort_implINS0_14default_configELb0EPKdPdPKlPlN2at6native12_GLOBAL__N_18offset_tEEE10hipError_tPvRmT1_PNSt15iterator_traitsISY_E10value_typeET2_T3_PNSZ_IS14_E10value_typeET4_jRbjT5_S1A_jjP12ihipStream_tbEUljE_EEESV_SW_SX_S14_S18_S1A_T6_T7_T9_mT8_S1C_bDpT10_ENKUlT_T0_E_clISt17integral_constantIbLb1EES1O_IbLb0EEEEDaS1K_S1L_EUlS1K_E_NS1_11comp_targetILNS1_3genE4ELNS1_11target_archE910ELNS1_3gpuE8ELNS1_3repE0EEENS1_30default_config_static_selectorELNS0_4arch9wavefront6targetE0EEEvSY_.numbered_sgpr, 0
	.set _ZN7rocprim17ROCPRIM_400000_NS6detail17trampoline_kernelINS0_13select_configILj256ELj13ELNS0_17block_load_methodE3ELS4_3ELS4_3ELNS0_20block_scan_algorithmE0ELj4294967295EEENS1_25partition_config_selectorILNS1_17partition_subalgoE3EjNS0_10empty_typeEbEEZZNS1_14partition_implILS8_3ELb0ES6_jNS0_17counting_iteratorIjlEEPS9_SE_NS0_5tupleIJPjSE_EEENSF_IJSE_SE_EEES9_SG_JZNS1_25segmented_radix_sort_implINS0_14default_configELb0EPKdPdPKlPlN2at6native12_GLOBAL__N_18offset_tEEE10hipError_tPvRmT1_PNSt15iterator_traitsISY_E10value_typeET2_T3_PNSZ_IS14_E10value_typeET4_jRbjT5_S1A_jjP12ihipStream_tbEUljE_EEESV_SW_SX_S14_S18_S1A_T6_T7_T9_mT8_S1C_bDpT10_ENKUlT_T0_E_clISt17integral_constantIbLb1EES1O_IbLb0EEEEDaS1K_S1L_EUlS1K_E_NS1_11comp_targetILNS1_3genE4ELNS1_11target_archE910ELNS1_3gpuE8ELNS1_3repE0EEENS1_30default_config_static_selectorELNS0_4arch9wavefront6targetE0EEEvSY_.num_named_barrier, 0
	.set _ZN7rocprim17ROCPRIM_400000_NS6detail17trampoline_kernelINS0_13select_configILj256ELj13ELNS0_17block_load_methodE3ELS4_3ELS4_3ELNS0_20block_scan_algorithmE0ELj4294967295EEENS1_25partition_config_selectorILNS1_17partition_subalgoE3EjNS0_10empty_typeEbEEZZNS1_14partition_implILS8_3ELb0ES6_jNS0_17counting_iteratorIjlEEPS9_SE_NS0_5tupleIJPjSE_EEENSF_IJSE_SE_EEES9_SG_JZNS1_25segmented_radix_sort_implINS0_14default_configELb0EPKdPdPKlPlN2at6native12_GLOBAL__N_18offset_tEEE10hipError_tPvRmT1_PNSt15iterator_traitsISY_E10value_typeET2_T3_PNSZ_IS14_E10value_typeET4_jRbjT5_S1A_jjP12ihipStream_tbEUljE_EEESV_SW_SX_S14_S18_S1A_T6_T7_T9_mT8_S1C_bDpT10_ENKUlT_T0_E_clISt17integral_constantIbLb1EES1O_IbLb0EEEEDaS1K_S1L_EUlS1K_E_NS1_11comp_targetILNS1_3genE4ELNS1_11target_archE910ELNS1_3gpuE8ELNS1_3repE0EEENS1_30default_config_static_selectorELNS0_4arch9wavefront6targetE0EEEvSY_.private_seg_size, 0
	.set _ZN7rocprim17ROCPRIM_400000_NS6detail17trampoline_kernelINS0_13select_configILj256ELj13ELNS0_17block_load_methodE3ELS4_3ELS4_3ELNS0_20block_scan_algorithmE0ELj4294967295EEENS1_25partition_config_selectorILNS1_17partition_subalgoE3EjNS0_10empty_typeEbEEZZNS1_14partition_implILS8_3ELb0ES6_jNS0_17counting_iteratorIjlEEPS9_SE_NS0_5tupleIJPjSE_EEENSF_IJSE_SE_EEES9_SG_JZNS1_25segmented_radix_sort_implINS0_14default_configELb0EPKdPdPKlPlN2at6native12_GLOBAL__N_18offset_tEEE10hipError_tPvRmT1_PNSt15iterator_traitsISY_E10value_typeET2_T3_PNSZ_IS14_E10value_typeET4_jRbjT5_S1A_jjP12ihipStream_tbEUljE_EEESV_SW_SX_S14_S18_S1A_T6_T7_T9_mT8_S1C_bDpT10_ENKUlT_T0_E_clISt17integral_constantIbLb1EES1O_IbLb0EEEEDaS1K_S1L_EUlS1K_E_NS1_11comp_targetILNS1_3genE4ELNS1_11target_archE910ELNS1_3gpuE8ELNS1_3repE0EEENS1_30default_config_static_selectorELNS0_4arch9wavefront6targetE0EEEvSY_.uses_vcc, 0
	.set _ZN7rocprim17ROCPRIM_400000_NS6detail17trampoline_kernelINS0_13select_configILj256ELj13ELNS0_17block_load_methodE3ELS4_3ELS4_3ELNS0_20block_scan_algorithmE0ELj4294967295EEENS1_25partition_config_selectorILNS1_17partition_subalgoE3EjNS0_10empty_typeEbEEZZNS1_14partition_implILS8_3ELb0ES6_jNS0_17counting_iteratorIjlEEPS9_SE_NS0_5tupleIJPjSE_EEENSF_IJSE_SE_EEES9_SG_JZNS1_25segmented_radix_sort_implINS0_14default_configELb0EPKdPdPKlPlN2at6native12_GLOBAL__N_18offset_tEEE10hipError_tPvRmT1_PNSt15iterator_traitsISY_E10value_typeET2_T3_PNSZ_IS14_E10value_typeET4_jRbjT5_S1A_jjP12ihipStream_tbEUljE_EEESV_SW_SX_S14_S18_S1A_T6_T7_T9_mT8_S1C_bDpT10_ENKUlT_T0_E_clISt17integral_constantIbLb1EES1O_IbLb0EEEEDaS1K_S1L_EUlS1K_E_NS1_11comp_targetILNS1_3genE4ELNS1_11target_archE910ELNS1_3gpuE8ELNS1_3repE0EEENS1_30default_config_static_selectorELNS0_4arch9wavefront6targetE0EEEvSY_.uses_flat_scratch, 0
	.set _ZN7rocprim17ROCPRIM_400000_NS6detail17trampoline_kernelINS0_13select_configILj256ELj13ELNS0_17block_load_methodE3ELS4_3ELS4_3ELNS0_20block_scan_algorithmE0ELj4294967295EEENS1_25partition_config_selectorILNS1_17partition_subalgoE3EjNS0_10empty_typeEbEEZZNS1_14partition_implILS8_3ELb0ES6_jNS0_17counting_iteratorIjlEEPS9_SE_NS0_5tupleIJPjSE_EEENSF_IJSE_SE_EEES9_SG_JZNS1_25segmented_radix_sort_implINS0_14default_configELb0EPKdPdPKlPlN2at6native12_GLOBAL__N_18offset_tEEE10hipError_tPvRmT1_PNSt15iterator_traitsISY_E10value_typeET2_T3_PNSZ_IS14_E10value_typeET4_jRbjT5_S1A_jjP12ihipStream_tbEUljE_EEESV_SW_SX_S14_S18_S1A_T6_T7_T9_mT8_S1C_bDpT10_ENKUlT_T0_E_clISt17integral_constantIbLb1EES1O_IbLb0EEEEDaS1K_S1L_EUlS1K_E_NS1_11comp_targetILNS1_3genE4ELNS1_11target_archE910ELNS1_3gpuE8ELNS1_3repE0EEENS1_30default_config_static_selectorELNS0_4arch9wavefront6targetE0EEEvSY_.has_dyn_sized_stack, 0
	.set _ZN7rocprim17ROCPRIM_400000_NS6detail17trampoline_kernelINS0_13select_configILj256ELj13ELNS0_17block_load_methodE3ELS4_3ELS4_3ELNS0_20block_scan_algorithmE0ELj4294967295EEENS1_25partition_config_selectorILNS1_17partition_subalgoE3EjNS0_10empty_typeEbEEZZNS1_14partition_implILS8_3ELb0ES6_jNS0_17counting_iteratorIjlEEPS9_SE_NS0_5tupleIJPjSE_EEENSF_IJSE_SE_EEES9_SG_JZNS1_25segmented_radix_sort_implINS0_14default_configELb0EPKdPdPKlPlN2at6native12_GLOBAL__N_18offset_tEEE10hipError_tPvRmT1_PNSt15iterator_traitsISY_E10value_typeET2_T3_PNSZ_IS14_E10value_typeET4_jRbjT5_S1A_jjP12ihipStream_tbEUljE_EEESV_SW_SX_S14_S18_S1A_T6_T7_T9_mT8_S1C_bDpT10_ENKUlT_T0_E_clISt17integral_constantIbLb1EES1O_IbLb0EEEEDaS1K_S1L_EUlS1K_E_NS1_11comp_targetILNS1_3genE4ELNS1_11target_archE910ELNS1_3gpuE8ELNS1_3repE0EEENS1_30default_config_static_selectorELNS0_4arch9wavefront6targetE0EEEvSY_.has_recursion, 0
	.set _ZN7rocprim17ROCPRIM_400000_NS6detail17trampoline_kernelINS0_13select_configILj256ELj13ELNS0_17block_load_methodE3ELS4_3ELS4_3ELNS0_20block_scan_algorithmE0ELj4294967295EEENS1_25partition_config_selectorILNS1_17partition_subalgoE3EjNS0_10empty_typeEbEEZZNS1_14partition_implILS8_3ELb0ES6_jNS0_17counting_iteratorIjlEEPS9_SE_NS0_5tupleIJPjSE_EEENSF_IJSE_SE_EEES9_SG_JZNS1_25segmented_radix_sort_implINS0_14default_configELb0EPKdPdPKlPlN2at6native12_GLOBAL__N_18offset_tEEE10hipError_tPvRmT1_PNSt15iterator_traitsISY_E10value_typeET2_T3_PNSZ_IS14_E10value_typeET4_jRbjT5_S1A_jjP12ihipStream_tbEUljE_EEESV_SW_SX_S14_S18_S1A_T6_T7_T9_mT8_S1C_bDpT10_ENKUlT_T0_E_clISt17integral_constantIbLb1EES1O_IbLb0EEEEDaS1K_S1L_EUlS1K_E_NS1_11comp_targetILNS1_3genE4ELNS1_11target_archE910ELNS1_3gpuE8ELNS1_3repE0EEENS1_30default_config_static_selectorELNS0_4arch9wavefront6targetE0EEEvSY_.has_indirect_call, 0
	.section	.AMDGPU.csdata,"",@progbits
; Kernel info:
; codeLenInByte = 0
; TotalNumSgprs: 0
; NumVgprs: 0
; ScratchSize: 0
; MemoryBound: 0
; FloatMode: 240
; IeeeMode: 1
; LDSByteSize: 0 bytes/workgroup (compile time only)
; SGPRBlocks: 0
; VGPRBlocks: 0
; NumSGPRsForWavesPerEU: 1
; NumVGPRsForWavesPerEU: 1
; Occupancy: 16
; WaveLimiterHint : 0
; COMPUTE_PGM_RSRC2:SCRATCH_EN: 0
; COMPUTE_PGM_RSRC2:USER_SGPR: 2
; COMPUTE_PGM_RSRC2:TRAP_HANDLER: 0
; COMPUTE_PGM_RSRC2:TGID_X_EN: 1
; COMPUTE_PGM_RSRC2:TGID_Y_EN: 0
; COMPUTE_PGM_RSRC2:TGID_Z_EN: 0
; COMPUTE_PGM_RSRC2:TIDIG_COMP_CNT: 0
	.section	.text._ZN7rocprim17ROCPRIM_400000_NS6detail17trampoline_kernelINS0_13select_configILj256ELj13ELNS0_17block_load_methodE3ELS4_3ELS4_3ELNS0_20block_scan_algorithmE0ELj4294967295EEENS1_25partition_config_selectorILNS1_17partition_subalgoE3EjNS0_10empty_typeEbEEZZNS1_14partition_implILS8_3ELb0ES6_jNS0_17counting_iteratorIjlEEPS9_SE_NS0_5tupleIJPjSE_EEENSF_IJSE_SE_EEES9_SG_JZNS1_25segmented_radix_sort_implINS0_14default_configELb0EPKdPdPKlPlN2at6native12_GLOBAL__N_18offset_tEEE10hipError_tPvRmT1_PNSt15iterator_traitsISY_E10value_typeET2_T3_PNSZ_IS14_E10value_typeET4_jRbjT5_S1A_jjP12ihipStream_tbEUljE_EEESV_SW_SX_S14_S18_S1A_T6_T7_T9_mT8_S1C_bDpT10_ENKUlT_T0_E_clISt17integral_constantIbLb1EES1O_IbLb0EEEEDaS1K_S1L_EUlS1K_E_NS1_11comp_targetILNS1_3genE3ELNS1_11target_archE908ELNS1_3gpuE7ELNS1_3repE0EEENS1_30default_config_static_selectorELNS0_4arch9wavefront6targetE0EEEvSY_,"axG",@progbits,_ZN7rocprim17ROCPRIM_400000_NS6detail17trampoline_kernelINS0_13select_configILj256ELj13ELNS0_17block_load_methodE3ELS4_3ELS4_3ELNS0_20block_scan_algorithmE0ELj4294967295EEENS1_25partition_config_selectorILNS1_17partition_subalgoE3EjNS0_10empty_typeEbEEZZNS1_14partition_implILS8_3ELb0ES6_jNS0_17counting_iteratorIjlEEPS9_SE_NS0_5tupleIJPjSE_EEENSF_IJSE_SE_EEES9_SG_JZNS1_25segmented_radix_sort_implINS0_14default_configELb0EPKdPdPKlPlN2at6native12_GLOBAL__N_18offset_tEEE10hipError_tPvRmT1_PNSt15iterator_traitsISY_E10value_typeET2_T3_PNSZ_IS14_E10value_typeET4_jRbjT5_S1A_jjP12ihipStream_tbEUljE_EEESV_SW_SX_S14_S18_S1A_T6_T7_T9_mT8_S1C_bDpT10_ENKUlT_T0_E_clISt17integral_constantIbLb1EES1O_IbLb0EEEEDaS1K_S1L_EUlS1K_E_NS1_11comp_targetILNS1_3genE3ELNS1_11target_archE908ELNS1_3gpuE7ELNS1_3repE0EEENS1_30default_config_static_selectorELNS0_4arch9wavefront6targetE0EEEvSY_,comdat
	.globl	_ZN7rocprim17ROCPRIM_400000_NS6detail17trampoline_kernelINS0_13select_configILj256ELj13ELNS0_17block_load_methodE3ELS4_3ELS4_3ELNS0_20block_scan_algorithmE0ELj4294967295EEENS1_25partition_config_selectorILNS1_17partition_subalgoE3EjNS0_10empty_typeEbEEZZNS1_14partition_implILS8_3ELb0ES6_jNS0_17counting_iteratorIjlEEPS9_SE_NS0_5tupleIJPjSE_EEENSF_IJSE_SE_EEES9_SG_JZNS1_25segmented_radix_sort_implINS0_14default_configELb0EPKdPdPKlPlN2at6native12_GLOBAL__N_18offset_tEEE10hipError_tPvRmT1_PNSt15iterator_traitsISY_E10value_typeET2_T3_PNSZ_IS14_E10value_typeET4_jRbjT5_S1A_jjP12ihipStream_tbEUljE_EEESV_SW_SX_S14_S18_S1A_T6_T7_T9_mT8_S1C_bDpT10_ENKUlT_T0_E_clISt17integral_constantIbLb1EES1O_IbLb0EEEEDaS1K_S1L_EUlS1K_E_NS1_11comp_targetILNS1_3genE3ELNS1_11target_archE908ELNS1_3gpuE7ELNS1_3repE0EEENS1_30default_config_static_selectorELNS0_4arch9wavefront6targetE0EEEvSY_ ; -- Begin function _ZN7rocprim17ROCPRIM_400000_NS6detail17trampoline_kernelINS0_13select_configILj256ELj13ELNS0_17block_load_methodE3ELS4_3ELS4_3ELNS0_20block_scan_algorithmE0ELj4294967295EEENS1_25partition_config_selectorILNS1_17partition_subalgoE3EjNS0_10empty_typeEbEEZZNS1_14partition_implILS8_3ELb0ES6_jNS0_17counting_iteratorIjlEEPS9_SE_NS0_5tupleIJPjSE_EEENSF_IJSE_SE_EEES9_SG_JZNS1_25segmented_radix_sort_implINS0_14default_configELb0EPKdPdPKlPlN2at6native12_GLOBAL__N_18offset_tEEE10hipError_tPvRmT1_PNSt15iterator_traitsISY_E10value_typeET2_T3_PNSZ_IS14_E10value_typeET4_jRbjT5_S1A_jjP12ihipStream_tbEUljE_EEESV_SW_SX_S14_S18_S1A_T6_T7_T9_mT8_S1C_bDpT10_ENKUlT_T0_E_clISt17integral_constantIbLb1EES1O_IbLb0EEEEDaS1K_S1L_EUlS1K_E_NS1_11comp_targetILNS1_3genE3ELNS1_11target_archE908ELNS1_3gpuE7ELNS1_3repE0EEENS1_30default_config_static_selectorELNS0_4arch9wavefront6targetE0EEEvSY_
	.p2align	8
	.type	_ZN7rocprim17ROCPRIM_400000_NS6detail17trampoline_kernelINS0_13select_configILj256ELj13ELNS0_17block_load_methodE3ELS4_3ELS4_3ELNS0_20block_scan_algorithmE0ELj4294967295EEENS1_25partition_config_selectorILNS1_17partition_subalgoE3EjNS0_10empty_typeEbEEZZNS1_14partition_implILS8_3ELb0ES6_jNS0_17counting_iteratorIjlEEPS9_SE_NS0_5tupleIJPjSE_EEENSF_IJSE_SE_EEES9_SG_JZNS1_25segmented_radix_sort_implINS0_14default_configELb0EPKdPdPKlPlN2at6native12_GLOBAL__N_18offset_tEEE10hipError_tPvRmT1_PNSt15iterator_traitsISY_E10value_typeET2_T3_PNSZ_IS14_E10value_typeET4_jRbjT5_S1A_jjP12ihipStream_tbEUljE_EEESV_SW_SX_S14_S18_S1A_T6_T7_T9_mT8_S1C_bDpT10_ENKUlT_T0_E_clISt17integral_constantIbLb1EES1O_IbLb0EEEEDaS1K_S1L_EUlS1K_E_NS1_11comp_targetILNS1_3genE3ELNS1_11target_archE908ELNS1_3gpuE7ELNS1_3repE0EEENS1_30default_config_static_selectorELNS0_4arch9wavefront6targetE0EEEvSY_,@function
_ZN7rocprim17ROCPRIM_400000_NS6detail17trampoline_kernelINS0_13select_configILj256ELj13ELNS0_17block_load_methodE3ELS4_3ELS4_3ELNS0_20block_scan_algorithmE0ELj4294967295EEENS1_25partition_config_selectorILNS1_17partition_subalgoE3EjNS0_10empty_typeEbEEZZNS1_14partition_implILS8_3ELb0ES6_jNS0_17counting_iteratorIjlEEPS9_SE_NS0_5tupleIJPjSE_EEENSF_IJSE_SE_EEES9_SG_JZNS1_25segmented_radix_sort_implINS0_14default_configELb0EPKdPdPKlPlN2at6native12_GLOBAL__N_18offset_tEEE10hipError_tPvRmT1_PNSt15iterator_traitsISY_E10value_typeET2_T3_PNSZ_IS14_E10value_typeET4_jRbjT5_S1A_jjP12ihipStream_tbEUljE_EEESV_SW_SX_S14_S18_S1A_T6_T7_T9_mT8_S1C_bDpT10_ENKUlT_T0_E_clISt17integral_constantIbLb1EES1O_IbLb0EEEEDaS1K_S1L_EUlS1K_E_NS1_11comp_targetILNS1_3genE3ELNS1_11target_archE908ELNS1_3gpuE7ELNS1_3repE0EEENS1_30default_config_static_selectorELNS0_4arch9wavefront6targetE0EEEvSY_: ; @_ZN7rocprim17ROCPRIM_400000_NS6detail17trampoline_kernelINS0_13select_configILj256ELj13ELNS0_17block_load_methodE3ELS4_3ELS4_3ELNS0_20block_scan_algorithmE0ELj4294967295EEENS1_25partition_config_selectorILNS1_17partition_subalgoE3EjNS0_10empty_typeEbEEZZNS1_14partition_implILS8_3ELb0ES6_jNS0_17counting_iteratorIjlEEPS9_SE_NS0_5tupleIJPjSE_EEENSF_IJSE_SE_EEES9_SG_JZNS1_25segmented_radix_sort_implINS0_14default_configELb0EPKdPdPKlPlN2at6native12_GLOBAL__N_18offset_tEEE10hipError_tPvRmT1_PNSt15iterator_traitsISY_E10value_typeET2_T3_PNSZ_IS14_E10value_typeET4_jRbjT5_S1A_jjP12ihipStream_tbEUljE_EEESV_SW_SX_S14_S18_S1A_T6_T7_T9_mT8_S1C_bDpT10_ENKUlT_T0_E_clISt17integral_constantIbLb1EES1O_IbLb0EEEEDaS1K_S1L_EUlS1K_E_NS1_11comp_targetILNS1_3genE3ELNS1_11target_archE908ELNS1_3gpuE7ELNS1_3repE0EEENS1_30default_config_static_selectorELNS0_4arch9wavefront6targetE0EEEvSY_
; %bb.0:
	.section	.rodata,"a",@progbits
	.p2align	6, 0x0
	.amdhsa_kernel _ZN7rocprim17ROCPRIM_400000_NS6detail17trampoline_kernelINS0_13select_configILj256ELj13ELNS0_17block_load_methodE3ELS4_3ELS4_3ELNS0_20block_scan_algorithmE0ELj4294967295EEENS1_25partition_config_selectorILNS1_17partition_subalgoE3EjNS0_10empty_typeEbEEZZNS1_14partition_implILS8_3ELb0ES6_jNS0_17counting_iteratorIjlEEPS9_SE_NS0_5tupleIJPjSE_EEENSF_IJSE_SE_EEES9_SG_JZNS1_25segmented_radix_sort_implINS0_14default_configELb0EPKdPdPKlPlN2at6native12_GLOBAL__N_18offset_tEEE10hipError_tPvRmT1_PNSt15iterator_traitsISY_E10value_typeET2_T3_PNSZ_IS14_E10value_typeET4_jRbjT5_S1A_jjP12ihipStream_tbEUljE_EEESV_SW_SX_S14_S18_S1A_T6_T7_T9_mT8_S1C_bDpT10_ENKUlT_T0_E_clISt17integral_constantIbLb1EES1O_IbLb0EEEEDaS1K_S1L_EUlS1K_E_NS1_11comp_targetILNS1_3genE3ELNS1_11target_archE908ELNS1_3gpuE7ELNS1_3repE0EEENS1_30default_config_static_selectorELNS0_4arch9wavefront6targetE0EEEvSY_
		.amdhsa_group_segment_fixed_size 0
		.amdhsa_private_segment_fixed_size 0
		.amdhsa_kernarg_size 144
		.amdhsa_user_sgpr_count 2
		.amdhsa_user_sgpr_dispatch_ptr 0
		.amdhsa_user_sgpr_queue_ptr 0
		.amdhsa_user_sgpr_kernarg_segment_ptr 1
		.amdhsa_user_sgpr_dispatch_id 0
		.amdhsa_user_sgpr_private_segment_size 0
		.amdhsa_wavefront_size32 1
		.amdhsa_uses_dynamic_stack 0
		.amdhsa_enable_private_segment 0
		.amdhsa_system_sgpr_workgroup_id_x 1
		.amdhsa_system_sgpr_workgroup_id_y 0
		.amdhsa_system_sgpr_workgroup_id_z 0
		.amdhsa_system_sgpr_workgroup_info 0
		.amdhsa_system_vgpr_workitem_id 0
		.amdhsa_next_free_vgpr 1
		.amdhsa_next_free_sgpr 1
		.amdhsa_reserve_vcc 0
		.amdhsa_float_round_mode_32 0
		.amdhsa_float_round_mode_16_64 0
		.amdhsa_float_denorm_mode_32 3
		.amdhsa_float_denorm_mode_16_64 3
		.amdhsa_fp16_overflow 0
		.amdhsa_workgroup_processor_mode 1
		.amdhsa_memory_ordered 1
		.amdhsa_forward_progress 1
		.amdhsa_inst_pref_size 0
		.amdhsa_round_robin_scheduling 0
		.amdhsa_exception_fp_ieee_invalid_op 0
		.amdhsa_exception_fp_denorm_src 0
		.amdhsa_exception_fp_ieee_div_zero 0
		.amdhsa_exception_fp_ieee_overflow 0
		.amdhsa_exception_fp_ieee_underflow 0
		.amdhsa_exception_fp_ieee_inexact 0
		.amdhsa_exception_int_div_zero 0
	.end_amdhsa_kernel
	.section	.text._ZN7rocprim17ROCPRIM_400000_NS6detail17trampoline_kernelINS0_13select_configILj256ELj13ELNS0_17block_load_methodE3ELS4_3ELS4_3ELNS0_20block_scan_algorithmE0ELj4294967295EEENS1_25partition_config_selectorILNS1_17partition_subalgoE3EjNS0_10empty_typeEbEEZZNS1_14partition_implILS8_3ELb0ES6_jNS0_17counting_iteratorIjlEEPS9_SE_NS0_5tupleIJPjSE_EEENSF_IJSE_SE_EEES9_SG_JZNS1_25segmented_radix_sort_implINS0_14default_configELb0EPKdPdPKlPlN2at6native12_GLOBAL__N_18offset_tEEE10hipError_tPvRmT1_PNSt15iterator_traitsISY_E10value_typeET2_T3_PNSZ_IS14_E10value_typeET4_jRbjT5_S1A_jjP12ihipStream_tbEUljE_EEESV_SW_SX_S14_S18_S1A_T6_T7_T9_mT8_S1C_bDpT10_ENKUlT_T0_E_clISt17integral_constantIbLb1EES1O_IbLb0EEEEDaS1K_S1L_EUlS1K_E_NS1_11comp_targetILNS1_3genE3ELNS1_11target_archE908ELNS1_3gpuE7ELNS1_3repE0EEENS1_30default_config_static_selectorELNS0_4arch9wavefront6targetE0EEEvSY_,"axG",@progbits,_ZN7rocprim17ROCPRIM_400000_NS6detail17trampoline_kernelINS0_13select_configILj256ELj13ELNS0_17block_load_methodE3ELS4_3ELS4_3ELNS0_20block_scan_algorithmE0ELj4294967295EEENS1_25partition_config_selectorILNS1_17partition_subalgoE3EjNS0_10empty_typeEbEEZZNS1_14partition_implILS8_3ELb0ES6_jNS0_17counting_iteratorIjlEEPS9_SE_NS0_5tupleIJPjSE_EEENSF_IJSE_SE_EEES9_SG_JZNS1_25segmented_radix_sort_implINS0_14default_configELb0EPKdPdPKlPlN2at6native12_GLOBAL__N_18offset_tEEE10hipError_tPvRmT1_PNSt15iterator_traitsISY_E10value_typeET2_T3_PNSZ_IS14_E10value_typeET4_jRbjT5_S1A_jjP12ihipStream_tbEUljE_EEESV_SW_SX_S14_S18_S1A_T6_T7_T9_mT8_S1C_bDpT10_ENKUlT_T0_E_clISt17integral_constantIbLb1EES1O_IbLb0EEEEDaS1K_S1L_EUlS1K_E_NS1_11comp_targetILNS1_3genE3ELNS1_11target_archE908ELNS1_3gpuE7ELNS1_3repE0EEENS1_30default_config_static_selectorELNS0_4arch9wavefront6targetE0EEEvSY_,comdat
.Lfunc_end1208:
	.size	_ZN7rocprim17ROCPRIM_400000_NS6detail17trampoline_kernelINS0_13select_configILj256ELj13ELNS0_17block_load_methodE3ELS4_3ELS4_3ELNS0_20block_scan_algorithmE0ELj4294967295EEENS1_25partition_config_selectorILNS1_17partition_subalgoE3EjNS0_10empty_typeEbEEZZNS1_14partition_implILS8_3ELb0ES6_jNS0_17counting_iteratorIjlEEPS9_SE_NS0_5tupleIJPjSE_EEENSF_IJSE_SE_EEES9_SG_JZNS1_25segmented_radix_sort_implINS0_14default_configELb0EPKdPdPKlPlN2at6native12_GLOBAL__N_18offset_tEEE10hipError_tPvRmT1_PNSt15iterator_traitsISY_E10value_typeET2_T3_PNSZ_IS14_E10value_typeET4_jRbjT5_S1A_jjP12ihipStream_tbEUljE_EEESV_SW_SX_S14_S18_S1A_T6_T7_T9_mT8_S1C_bDpT10_ENKUlT_T0_E_clISt17integral_constantIbLb1EES1O_IbLb0EEEEDaS1K_S1L_EUlS1K_E_NS1_11comp_targetILNS1_3genE3ELNS1_11target_archE908ELNS1_3gpuE7ELNS1_3repE0EEENS1_30default_config_static_selectorELNS0_4arch9wavefront6targetE0EEEvSY_, .Lfunc_end1208-_ZN7rocprim17ROCPRIM_400000_NS6detail17trampoline_kernelINS0_13select_configILj256ELj13ELNS0_17block_load_methodE3ELS4_3ELS4_3ELNS0_20block_scan_algorithmE0ELj4294967295EEENS1_25partition_config_selectorILNS1_17partition_subalgoE3EjNS0_10empty_typeEbEEZZNS1_14partition_implILS8_3ELb0ES6_jNS0_17counting_iteratorIjlEEPS9_SE_NS0_5tupleIJPjSE_EEENSF_IJSE_SE_EEES9_SG_JZNS1_25segmented_radix_sort_implINS0_14default_configELb0EPKdPdPKlPlN2at6native12_GLOBAL__N_18offset_tEEE10hipError_tPvRmT1_PNSt15iterator_traitsISY_E10value_typeET2_T3_PNSZ_IS14_E10value_typeET4_jRbjT5_S1A_jjP12ihipStream_tbEUljE_EEESV_SW_SX_S14_S18_S1A_T6_T7_T9_mT8_S1C_bDpT10_ENKUlT_T0_E_clISt17integral_constantIbLb1EES1O_IbLb0EEEEDaS1K_S1L_EUlS1K_E_NS1_11comp_targetILNS1_3genE3ELNS1_11target_archE908ELNS1_3gpuE7ELNS1_3repE0EEENS1_30default_config_static_selectorELNS0_4arch9wavefront6targetE0EEEvSY_
                                        ; -- End function
	.set _ZN7rocprim17ROCPRIM_400000_NS6detail17trampoline_kernelINS0_13select_configILj256ELj13ELNS0_17block_load_methodE3ELS4_3ELS4_3ELNS0_20block_scan_algorithmE0ELj4294967295EEENS1_25partition_config_selectorILNS1_17partition_subalgoE3EjNS0_10empty_typeEbEEZZNS1_14partition_implILS8_3ELb0ES6_jNS0_17counting_iteratorIjlEEPS9_SE_NS0_5tupleIJPjSE_EEENSF_IJSE_SE_EEES9_SG_JZNS1_25segmented_radix_sort_implINS0_14default_configELb0EPKdPdPKlPlN2at6native12_GLOBAL__N_18offset_tEEE10hipError_tPvRmT1_PNSt15iterator_traitsISY_E10value_typeET2_T3_PNSZ_IS14_E10value_typeET4_jRbjT5_S1A_jjP12ihipStream_tbEUljE_EEESV_SW_SX_S14_S18_S1A_T6_T7_T9_mT8_S1C_bDpT10_ENKUlT_T0_E_clISt17integral_constantIbLb1EES1O_IbLb0EEEEDaS1K_S1L_EUlS1K_E_NS1_11comp_targetILNS1_3genE3ELNS1_11target_archE908ELNS1_3gpuE7ELNS1_3repE0EEENS1_30default_config_static_selectorELNS0_4arch9wavefront6targetE0EEEvSY_.num_vgpr, 0
	.set _ZN7rocprim17ROCPRIM_400000_NS6detail17trampoline_kernelINS0_13select_configILj256ELj13ELNS0_17block_load_methodE3ELS4_3ELS4_3ELNS0_20block_scan_algorithmE0ELj4294967295EEENS1_25partition_config_selectorILNS1_17partition_subalgoE3EjNS0_10empty_typeEbEEZZNS1_14partition_implILS8_3ELb0ES6_jNS0_17counting_iteratorIjlEEPS9_SE_NS0_5tupleIJPjSE_EEENSF_IJSE_SE_EEES9_SG_JZNS1_25segmented_radix_sort_implINS0_14default_configELb0EPKdPdPKlPlN2at6native12_GLOBAL__N_18offset_tEEE10hipError_tPvRmT1_PNSt15iterator_traitsISY_E10value_typeET2_T3_PNSZ_IS14_E10value_typeET4_jRbjT5_S1A_jjP12ihipStream_tbEUljE_EEESV_SW_SX_S14_S18_S1A_T6_T7_T9_mT8_S1C_bDpT10_ENKUlT_T0_E_clISt17integral_constantIbLb1EES1O_IbLb0EEEEDaS1K_S1L_EUlS1K_E_NS1_11comp_targetILNS1_3genE3ELNS1_11target_archE908ELNS1_3gpuE7ELNS1_3repE0EEENS1_30default_config_static_selectorELNS0_4arch9wavefront6targetE0EEEvSY_.num_agpr, 0
	.set _ZN7rocprim17ROCPRIM_400000_NS6detail17trampoline_kernelINS0_13select_configILj256ELj13ELNS0_17block_load_methodE3ELS4_3ELS4_3ELNS0_20block_scan_algorithmE0ELj4294967295EEENS1_25partition_config_selectorILNS1_17partition_subalgoE3EjNS0_10empty_typeEbEEZZNS1_14partition_implILS8_3ELb0ES6_jNS0_17counting_iteratorIjlEEPS9_SE_NS0_5tupleIJPjSE_EEENSF_IJSE_SE_EEES9_SG_JZNS1_25segmented_radix_sort_implINS0_14default_configELb0EPKdPdPKlPlN2at6native12_GLOBAL__N_18offset_tEEE10hipError_tPvRmT1_PNSt15iterator_traitsISY_E10value_typeET2_T3_PNSZ_IS14_E10value_typeET4_jRbjT5_S1A_jjP12ihipStream_tbEUljE_EEESV_SW_SX_S14_S18_S1A_T6_T7_T9_mT8_S1C_bDpT10_ENKUlT_T0_E_clISt17integral_constantIbLb1EES1O_IbLb0EEEEDaS1K_S1L_EUlS1K_E_NS1_11comp_targetILNS1_3genE3ELNS1_11target_archE908ELNS1_3gpuE7ELNS1_3repE0EEENS1_30default_config_static_selectorELNS0_4arch9wavefront6targetE0EEEvSY_.numbered_sgpr, 0
	.set _ZN7rocprim17ROCPRIM_400000_NS6detail17trampoline_kernelINS0_13select_configILj256ELj13ELNS0_17block_load_methodE3ELS4_3ELS4_3ELNS0_20block_scan_algorithmE0ELj4294967295EEENS1_25partition_config_selectorILNS1_17partition_subalgoE3EjNS0_10empty_typeEbEEZZNS1_14partition_implILS8_3ELb0ES6_jNS0_17counting_iteratorIjlEEPS9_SE_NS0_5tupleIJPjSE_EEENSF_IJSE_SE_EEES9_SG_JZNS1_25segmented_radix_sort_implINS0_14default_configELb0EPKdPdPKlPlN2at6native12_GLOBAL__N_18offset_tEEE10hipError_tPvRmT1_PNSt15iterator_traitsISY_E10value_typeET2_T3_PNSZ_IS14_E10value_typeET4_jRbjT5_S1A_jjP12ihipStream_tbEUljE_EEESV_SW_SX_S14_S18_S1A_T6_T7_T9_mT8_S1C_bDpT10_ENKUlT_T0_E_clISt17integral_constantIbLb1EES1O_IbLb0EEEEDaS1K_S1L_EUlS1K_E_NS1_11comp_targetILNS1_3genE3ELNS1_11target_archE908ELNS1_3gpuE7ELNS1_3repE0EEENS1_30default_config_static_selectorELNS0_4arch9wavefront6targetE0EEEvSY_.num_named_barrier, 0
	.set _ZN7rocprim17ROCPRIM_400000_NS6detail17trampoline_kernelINS0_13select_configILj256ELj13ELNS0_17block_load_methodE3ELS4_3ELS4_3ELNS0_20block_scan_algorithmE0ELj4294967295EEENS1_25partition_config_selectorILNS1_17partition_subalgoE3EjNS0_10empty_typeEbEEZZNS1_14partition_implILS8_3ELb0ES6_jNS0_17counting_iteratorIjlEEPS9_SE_NS0_5tupleIJPjSE_EEENSF_IJSE_SE_EEES9_SG_JZNS1_25segmented_radix_sort_implINS0_14default_configELb0EPKdPdPKlPlN2at6native12_GLOBAL__N_18offset_tEEE10hipError_tPvRmT1_PNSt15iterator_traitsISY_E10value_typeET2_T3_PNSZ_IS14_E10value_typeET4_jRbjT5_S1A_jjP12ihipStream_tbEUljE_EEESV_SW_SX_S14_S18_S1A_T6_T7_T9_mT8_S1C_bDpT10_ENKUlT_T0_E_clISt17integral_constantIbLb1EES1O_IbLb0EEEEDaS1K_S1L_EUlS1K_E_NS1_11comp_targetILNS1_3genE3ELNS1_11target_archE908ELNS1_3gpuE7ELNS1_3repE0EEENS1_30default_config_static_selectorELNS0_4arch9wavefront6targetE0EEEvSY_.private_seg_size, 0
	.set _ZN7rocprim17ROCPRIM_400000_NS6detail17trampoline_kernelINS0_13select_configILj256ELj13ELNS0_17block_load_methodE3ELS4_3ELS4_3ELNS0_20block_scan_algorithmE0ELj4294967295EEENS1_25partition_config_selectorILNS1_17partition_subalgoE3EjNS0_10empty_typeEbEEZZNS1_14partition_implILS8_3ELb0ES6_jNS0_17counting_iteratorIjlEEPS9_SE_NS0_5tupleIJPjSE_EEENSF_IJSE_SE_EEES9_SG_JZNS1_25segmented_radix_sort_implINS0_14default_configELb0EPKdPdPKlPlN2at6native12_GLOBAL__N_18offset_tEEE10hipError_tPvRmT1_PNSt15iterator_traitsISY_E10value_typeET2_T3_PNSZ_IS14_E10value_typeET4_jRbjT5_S1A_jjP12ihipStream_tbEUljE_EEESV_SW_SX_S14_S18_S1A_T6_T7_T9_mT8_S1C_bDpT10_ENKUlT_T0_E_clISt17integral_constantIbLb1EES1O_IbLb0EEEEDaS1K_S1L_EUlS1K_E_NS1_11comp_targetILNS1_3genE3ELNS1_11target_archE908ELNS1_3gpuE7ELNS1_3repE0EEENS1_30default_config_static_selectorELNS0_4arch9wavefront6targetE0EEEvSY_.uses_vcc, 0
	.set _ZN7rocprim17ROCPRIM_400000_NS6detail17trampoline_kernelINS0_13select_configILj256ELj13ELNS0_17block_load_methodE3ELS4_3ELS4_3ELNS0_20block_scan_algorithmE0ELj4294967295EEENS1_25partition_config_selectorILNS1_17partition_subalgoE3EjNS0_10empty_typeEbEEZZNS1_14partition_implILS8_3ELb0ES6_jNS0_17counting_iteratorIjlEEPS9_SE_NS0_5tupleIJPjSE_EEENSF_IJSE_SE_EEES9_SG_JZNS1_25segmented_radix_sort_implINS0_14default_configELb0EPKdPdPKlPlN2at6native12_GLOBAL__N_18offset_tEEE10hipError_tPvRmT1_PNSt15iterator_traitsISY_E10value_typeET2_T3_PNSZ_IS14_E10value_typeET4_jRbjT5_S1A_jjP12ihipStream_tbEUljE_EEESV_SW_SX_S14_S18_S1A_T6_T7_T9_mT8_S1C_bDpT10_ENKUlT_T0_E_clISt17integral_constantIbLb1EES1O_IbLb0EEEEDaS1K_S1L_EUlS1K_E_NS1_11comp_targetILNS1_3genE3ELNS1_11target_archE908ELNS1_3gpuE7ELNS1_3repE0EEENS1_30default_config_static_selectorELNS0_4arch9wavefront6targetE0EEEvSY_.uses_flat_scratch, 0
	.set _ZN7rocprim17ROCPRIM_400000_NS6detail17trampoline_kernelINS0_13select_configILj256ELj13ELNS0_17block_load_methodE3ELS4_3ELS4_3ELNS0_20block_scan_algorithmE0ELj4294967295EEENS1_25partition_config_selectorILNS1_17partition_subalgoE3EjNS0_10empty_typeEbEEZZNS1_14partition_implILS8_3ELb0ES6_jNS0_17counting_iteratorIjlEEPS9_SE_NS0_5tupleIJPjSE_EEENSF_IJSE_SE_EEES9_SG_JZNS1_25segmented_radix_sort_implINS0_14default_configELb0EPKdPdPKlPlN2at6native12_GLOBAL__N_18offset_tEEE10hipError_tPvRmT1_PNSt15iterator_traitsISY_E10value_typeET2_T3_PNSZ_IS14_E10value_typeET4_jRbjT5_S1A_jjP12ihipStream_tbEUljE_EEESV_SW_SX_S14_S18_S1A_T6_T7_T9_mT8_S1C_bDpT10_ENKUlT_T0_E_clISt17integral_constantIbLb1EES1O_IbLb0EEEEDaS1K_S1L_EUlS1K_E_NS1_11comp_targetILNS1_3genE3ELNS1_11target_archE908ELNS1_3gpuE7ELNS1_3repE0EEENS1_30default_config_static_selectorELNS0_4arch9wavefront6targetE0EEEvSY_.has_dyn_sized_stack, 0
	.set _ZN7rocprim17ROCPRIM_400000_NS6detail17trampoline_kernelINS0_13select_configILj256ELj13ELNS0_17block_load_methodE3ELS4_3ELS4_3ELNS0_20block_scan_algorithmE0ELj4294967295EEENS1_25partition_config_selectorILNS1_17partition_subalgoE3EjNS0_10empty_typeEbEEZZNS1_14partition_implILS8_3ELb0ES6_jNS0_17counting_iteratorIjlEEPS9_SE_NS0_5tupleIJPjSE_EEENSF_IJSE_SE_EEES9_SG_JZNS1_25segmented_radix_sort_implINS0_14default_configELb0EPKdPdPKlPlN2at6native12_GLOBAL__N_18offset_tEEE10hipError_tPvRmT1_PNSt15iterator_traitsISY_E10value_typeET2_T3_PNSZ_IS14_E10value_typeET4_jRbjT5_S1A_jjP12ihipStream_tbEUljE_EEESV_SW_SX_S14_S18_S1A_T6_T7_T9_mT8_S1C_bDpT10_ENKUlT_T0_E_clISt17integral_constantIbLb1EES1O_IbLb0EEEEDaS1K_S1L_EUlS1K_E_NS1_11comp_targetILNS1_3genE3ELNS1_11target_archE908ELNS1_3gpuE7ELNS1_3repE0EEENS1_30default_config_static_selectorELNS0_4arch9wavefront6targetE0EEEvSY_.has_recursion, 0
	.set _ZN7rocprim17ROCPRIM_400000_NS6detail17trampoline_kernelINS0_13select_configILj256ELj13ELNS0_17block_load_methodE3ELS4_3ELS4_3ELNS0_20block_scan_algorithmE0ELj4294967295EEENS1_25partition_config_selectorILNS1_17partition_subalgoE3EjNS0_10empty_typeEbEEZZNS1_14partition_implILS8_3ELb0ES6_jNS0_17counting_iteratorIjlEEPS9_SE_NS0_5tupleIJPjSE_EEENSF_IJSE_SE_EEES9_SG_JZNS1_25segmented_radix_sort_implINS0_14default_configELb0EPKdPdPKlPlN2at6native12_GLOBAL__N_18offset_tEEE10hipError_tPvRmT1_PNSt15iterator_traitsISY_E10value_typeET2_T3_PNSZ_IS14_E10value_typeET4_jRbjT5_S1A_jjP12ihipStream_tbEUljE_EEESV_SW_SX_S14_S18_S1A_T6_T7_T9_mT8_S1C_bDpT10_ENKUlT_T0_E_clISt17integral_constantIbLb1EES1O_IbLb0EEEEDaS1K_S1L_EUlS1K_E_NS1_11comp_targetILNS1_3genE3ELNS1_11target_archE908ELNS1_3gpuE7ELNS1_3repE0EEENS1_30default_config_static_selectorELNS0_4arch9wavefront6targetE0EEEvSY_.has_indirect_call, 0
	.section	.AMDGPU.csdata,"",@progbits
; Kernel info:
; codeLenInByte = 0
; TotalNumSgprs: 0
; NumVgprs: 0
; ScratchSize: 0
; MemoryBound: 0
; FloatMode: 240
; IeeeMode: 1
; LDSByteSize: 0 bytes/workgroup (compile time only)
; SGPRBlocks: 0
; VGPRBlocks: 0
; NumSGPRsForWavesPerEU: 1
; NumVGPRsForWavesPerEU: 1
; Occupancy: 16
; WaveLimiterHint : 0
; COMPUTE_PGM_RSRC2:SCRATCH_EN: 0
; COMPUTE_PGM_RSRC2:USER_SGPR: 2
; COMPUTE_PGM_RSRC2:TRAP_HANDLER: 0
; COMPUTE_PGM_RSRC2:TGID_X_EN: 1
; COMPUTE_PGM_RSRC2:TGID_Y_EN: 0
; COMPUTE_PGM_RSRC2:TGID_Z_EN: 0
; COMPUTE_PGM_RSRC2:TIDIG_COMP_CNT: 0
	.section	.text._ZN7rocprim17ROCPRIM_400000_NS6detail17trampoline_kernelINS0_13select_configILj256ELj13ELNS0_17block_load_methodE3ELS4_3ELS4_3ELNS0_20block_scan_algorithmE0ELj4294967295EEENS1_25partition_config_selectorILNS1_17partition_subalgoE3EjNS0_10empty_typeEbEEZZNS1_14partition_implILS8_3ELb0ES6_jNS0_17counting_iteratorIjlEEPS9_SE_NS0_5tupleIJPjSE_EEENSF_IJSE_SE_EEES9_SG_JZNS1_25segmented_radix_sort_implINS0_14default_configELb0EPKdPdPKlPlN2at6native12_GLOBAL__N_18offset_tEEE10hipError_tPvRmT1_PNSt15iterator_traitsISY_E10value_typeET2_T3_PNSZ_IS14_E10value_typeET4_jRbjT5_S1A_jjP12ihipStream_tbEUljE_EEESV_SW_SX_S14_S18_S1A_T6_T7_T9_mT8_S1C_bDpT10_ENKUlT_T0_E_clISt17integral_constantIbLb1EES1O_IbLb0EEEEDaS1K_S1L_EUlS1K_E_NS1_11comp_targetILNS1_3genE2ELNS1_11target_archE906ELNS1_3gpuE6ELNS1_3repE0EEENS1_30default_config_static_selectorELNS0_4arch9wavefront6targetE0EEEvSY_,"axG",@progbits,_ZN7rocprim17ROCPRIM_400000_NS6detail17trampoline_kernelINS0_13select_configILj256ELj13ELNS0_17block_load_methodE3ELS4_3ELS4_3ELNS0_20block_scan_algorithmE0ELj4294967295EEENS1_25partition_config_selectorILNS1_17partition_subalgoE3EjNS0_10empty_typeEbEEZZNS1_14partition_implILS8_3ELb0ES6_jNS0_17counting_iteratorIjlEEPS9_SE_NS0_5tupleIJPjSE_EEENSF_IJSE_SE_EEES9_SG_JZNS1_25segmented_radix_sort_implINS0_14default_configELb0EPKdPdPKlPlN2at6native12_GLOBAL__N_18offset_tEEE10hipError_tPvRmT1_PNSt15iterator_traitsISY_E10value_typeET2_T3_PNSZ_IS14_E10value_typeET4_jRbjT5_S1A_jjP12ihipStream_tbEUljE_EEESV_SW_SX_S14_S18_S1A_T6_T7_T9_mT8_S1C_bDpT10_ENKUlT_T0_E_clISt17integral_constantIbLb1EES1O_IbLb0EEEEDaS1K_S1L_EUlS1K_E_NS1_11comp_targetILNS1_3genE2ELNS1_11target_archE906ELNS1_3gpuE6ELNS1_3repE0EEENS1_30default_config_static_selectorELNS0_4arch9wavefront6targetE0EEEvSY_,comdat
	.globl	_ZN7rocprim17ROCPRIM_400000_NS6detail17trampoline_kernelINS0_13select_configILj256ELj13ELNS0_17block_load_methodE3ELS4_3ELS4_3ELNS0_20block_scan_algorithmE0ELj4294967295EEENS1_25partition_config_selectorILNS1_17partition_subalgoE3EjNS0_10empty_typeEbEEZZNS1_14partition_implILS8_3ELb0ES6_jNS0_17counting_iteratorIjlEEPS9_SE_NS0_5tupleIJPjSE_EEENSF_IJSE_SE_EEES9_SG_JZNS1_25segmented_radix_sort_implINS0_14default_configELb0EPKdPdPKlPlN2at6native12_GLOBAL__N_18offset_tEEE10hipError_tPvRmT1_PNSt15iterator_traitsISY_E10value_typeET2_T3_PNSZ_IS14_E10value_typeET4_jRbjT5_S1A_jjP12ihipStream_tbEUljE_EEESV_SW_SX_S14_S18_S1A_T6_T7_T9_mT8_S1C_bDpT10_ENKUlT_T0_E_clISt17integral_constantIbLb1EES1O_IbLb0EEEEDaS1K_S1L_EUlS1K_E_NS1_11comp_targetILNS1_3genE2ELNS1_11target_archE906ELNS1_3gpuE6ELNS1_3repE0EEENS1_30default_config_static_selectorELNS0_4arch9wavefront6targetE0EEEvSY_ ; -- Begin function _ZN7rocprim17ROCPRIM_400000_NS6detail17trampoline_kernelINS0_13select_configILj256ELj13ELNS0_17block_load_methodE3ELS4_3ELS4_3ELNS0_20block_scan_algorithmE0ELj4294967295EEENS1_25partition_config_selectorILNS1_17partition_subalgoE3EjNS0_10empty_typeEbEEZZNS1_14partition_implILS8_3ELb0ES6_jNS0_17counting_iteratorIjlEEPS9_SE_NS0_5tupleIJPjSE_EEENSF_IJSE_SE_EEES9_SG_JZNS1_25segmented_radix_sort_implINS0_14default_configELb0EPKdPdPKlPlN2at6native12_GLOBAL__N_18offset_tEEE10hipError_tPvRmT1_PNSt15iterator_traitsISY_E10value_typeET2_T3_PNSZ_IS14_E10value_typeET4_jRbjT5_S1A_jjP12ihipStream_tbEUljE_EEESV_SW_SX_S14_S18_S1A_T6_T7_T9_mT8_S1C_bDpT10_ENKUlT_T0_E_clISt17integral_constantIbLb1EES1O_IbLb0EEEEDaS1K_S1L_EUlS1K_E_NS1_11comp_targetILNS1_3genE2ELNS1_11target_archE906ELNS1_3gpuE6ELNS1_3repE0EEENS1_30default_config_static_selectorELNS0_4arch9wavefront6targetE0EEEvSY_
	.p2align	8
	.type	_ZN7rocprim17ROCPRIM_400000_NS6detail17trampoline_kernelINS0_13select_configILj256ELj13ELNS0_17block_load_methodE3ELS4_3ELS4_3ELNS0_20block_scan_algorithmE0ELj4294967295EEENS1_25partition_config_selectorILNS1_17partition_subalgoE3EjNS0_10empty_typeEbEEZZNS1_14partition_implILS8_3ELb0ES6_jNS0_17counting_iteratorIjlEEPS9_SE_NS0_5tupleIJPjSE_EEENSF_IJSE_SE_EEES9_SG_JZNS1_25segmented_radix_sort_implINS0_14default_configELb0EPKdPdPKlPlN2at6native12_GLOBAL__N_18offset_tEEE10hipError_tPvRmT1_PNSt15iterator_traitsISY_E10value_typeET2_T3_PNSZ_IS14_E10value_typeET4_jRbjT5_S1A_jjP12ihipStream_tbEUljE_EEESV_SW_SX_S14_S18_S1A_T6_T7_T9_mT8_S1C_bDpT10_ENKUlT_T0_E_clISt17integral_constantIbLb1EES1O_IbLb0EEEEDaS1K_S1L_EUlS1K_E_NS1_11comp_targetILNS1_3genE2ELNS1_11target_archE906ELNS1_3gpuE6ELNS1_3repE0EEENS1_30default_config_static_selectorELNS0_4arch9wavefront6targetE0EEEvSY_,@function
_ZN7rocprim17ROCPRIM_400000_NS6detail17trampoline_kernelINS0_13select_configILj256ELj13ELNS0_17block_load_methodE3ELS4_3ELS4_3ELNS0_20block_scan_algorithmE0ELj4294967295EEENS1_25partition_config_selectorILNS1_17partition_subalgoE3EjNS0_10empty_typeEbEEZZNS1_14partition_implILS8_3ELb0ES6_jNS0_17counting_iteratorIjlEEPS9_SE_NS0_5tupleIJPjSE_EEENSF_IJSE_SE_EEES9_SG_JZNS1_25segmented_radix_sort_implINS0_14default_configELb0EPKdPdPKlPlN2at6native12_GLOBAL__N_18offset_tEEE10hipError_tPvRmT1_PNSt15iterator_traitsISY_E10value_typeET2_T3_PNSZ_IS14_E10value_typeET4_jRbjT5_S1A_jjP12ihipStream_tbEUljE_EEESV_SW_SX_S14_S18_S1A_T6_T7_T9_mT8_S1C_bDpT10_ENKUlT_T0_E_clISt17integral_constantIbLb1EES1O_IbLb0EEEEDaS1K_S1L_EUlS1K_E_NS1_11comp_targetILNS1_3genE2ELNS1_11target_archE906ELNS1_3gpuE6ELNS1_3repE0EEENS1_30default_config_static_selectorELNS0_4arch9wavefront6targetE0EEEvSY_: ; @_ZN7rocprim17ROCPRIM_400000_NS6detail17trampoline_kernelINS0_13select_configILj256ELj13ELNS0_17block_load_methodE3ELS4_3ELS4_3ELNS0_20block_scan_algorithmE0ELj4294967295EEENS1_25partition_config_selectorILNS1_17partition_subalgoE3EjNS0_10empty_typeEbEEZZNS1_14partition_implILS8_3ELb0ES6_jNS0_17counting_iteratorIjlEEPS9_SE_NS0_5tupleIJPjSE_EEENSF_IJSE_SE_EEES9_SG_JZNS1_25segmented_radix_sort_implINS0_14default_configELb0EPKdPdPKlPlN2at6native12_GLOBAL__N_18offset_tEEE10hipError_tPvRmT1_PNSt15iterator_traitsISY_E10value_typeET2_T3_PNSZ_IS14_E10value_typeET4_jRbjT5_S1A_jjP12ihipStream_tbEUljE_EEESV_SW_SX_S14_S18_S1A_T6_T7_T9_mT8_S1C_bDpT10_ENKUlT_T0_E_clISt17integral_constantIbLb1EES1O_IbLb0EEEEDaS1K_S1L_EUlS1K_E_NS1_11comp_targetILNS1_3genE2ELNS1_11target_archE906ELNS1_3gpuE6ELNS1_3repE0EEENS1_30default_config_static_selectorELNS0_4arch9wavefront6targetE0EEEvSY_
; %bb.0:
	.section	.rodata,"a",@progbits
	.p2align	6, 0x0
	.amdhsa_kernel _ZN7rocprim17ROCPRIM_400000_NS6detail17trampoline_kernelINS0_13select_configILj256ELj13ELNS0_17block_load_methodE3ELS4_3ELS4_3ELNS0_20block_scan_algorithmE0ELj4294967295EEENS1_25partition_config_selectorILNS1_17partition_subalgoE3EjNS0_10empty_typeEbEEZZNS1_14partition_implILS8_3ELb0ES6_jNS0_17counting_iteratorIjlEEPS9_SE_NS0_5tupleIJPjSE_EEENSF_IJSE_SE_EEES9_SG_JZNS1_25segmented_radix_sort_implINS0_14default_configELb0EPKdPdPKlPlN2at6native12_GLOBAL__N_18offset_tEEE10hipError_tPvRmT1_PNSt15iterator_traitsISY_E10value_typeET2_T3_PNSZ_IS14_E10value_typeET4_jRbjT5_S1A_jjP12ihipStream_tbEUljE_EEESV_SW_SX_S14_S18_S1A_T6_T7_T9_mT8_S1C_bDpT10_ENKUlT_T0_E_clISt17integral_constantIbLb1EES1O_IbLb0EEEEDaS1K_S1L_EUlS1K_E_NS1_11comp_targetILNS1_3genE2ELNS1_11target_archE906ELNS1_3gpuE6ELNS1_3repE0EEENS1_30default_config_static_selectorELNS0_4arch9wavefront6targetE0EEEvSY_
		.amdhsa_group_segment_fixed_size 0
		.amdhsa_private_segment_fixed_size 0
		.amdhsa_kernarg_size 144
		.amdhsa_user_sgpr_count 2
		.amdhsa_user_sgpr_dispatch_ptr 0
		.amdhsa_user_sgpr_queue_ptr 0
		.amdhsa_user_sgpr_kernarg_segment_ptr 1
		.amdhsa_user_sgpr_dispatch_id 0
		.amdhsa_user_sgpr_private_segment_size 0
		.amdhsa_wavefront_size32 1
		.amdhsa_uses_dynamic_stack 0
		.amdhsa_enable_private_segment 0
		.amdhsa_system_sgpr_workgroup_id_x 1
		.amdhsa_system_sgpr_workgroup_id_y 0
		.amdhsa_system_sgpr_workgroup_id_z 0
		.amdhsa_system_sgpr_workgroup_info 0
		.amdhsa_system_vgpr_workitem_id 0
		.amdhsa_next_free_vgpr 1
		.amdhsa_next_free_sgpr 1
		.amdhsa_reserve_vcc 0
		.amdhsa_float_round_mode_32 0
		.amdhsa_float_round_mode_16_64 0
		.amdhsa_float_denorm_mode_32 3
		.amdhsa_float_denorm_mode_16_64 3
		.amdhsa_fp16_overflow 0
		.amdhsa_workgroup_processor_mode 1
		.amdhsa_memory_ordered 1
		.amdhsa_forward_progress 1
		.amdhsa_inst_pref_size 0
		.amdhsa_round_robin_scheduling 0
		.amdhsa_exception_fp_ieee_invalid_op 0
		.amdhsa_exception_fp_denorm_src 0
		.amdhsa_exception_fp_ieee_div_zero 0
		.amdhsa_exception_fp_ieee_overflow 0
		.amdhsa_exception_fp_ieee_underflow 0
		.amdhsa_exception_fp_ieee_inexact 0
		.amdhsa_exception_int_div_zero 0
	.end_amdhsa_kernel
	.section	.text._ZN7rocprim17ROCPRIM_400000_NS6detail17trampoline_kernelINS0_13select_configILj256ELj13ELNS0_17block_load_methodE3ELS4_3ELS4_3ELNS0_20block_scan_algorithmE0ELj4294967295EEENS1_25partition_config_selectorILNS1_17partition_subalgoE3EjNS0_10empty_typeEbEEZZNS1_14partition_implILS8_3ELb0ES6_jNS0_17counting_iteratorIjlEEPS9_SE_NS0_5tupleIJPjSE_EEENSF_IJSE_SE_EEES9_SG_JZNS1_25segmented_radix_sort_implINS0_14default_configELb0EPKdPdPKlPlN2at6native12_GLOBAL__N_18offset_tEEE10hipError_tPvRmT1_PNSt15iterator_traitsISY_E10value_typeET2_T3_PNSZ_IS14_E10value_typeET4_jRbjT5_S1A_jjP12ihipStream_tbEUljE_EEESV_SW_SX_S14_S18_S1A_T6_T7_T9_mT8_S1C_bDpT10_ENKUlT_T0_E_clISt17integral_constantIbLb1EES1O_IbLb0EEEEDaS1K_S1L_EUlS1K_E_NS1_11comp_targetILNS1_3genE2ELNS1_11target_archE906ELNS1_3gpuE6ELNS1_3repE0EEENS1_30default_config_static_selectorELNS0_4arch9wavefront6targetE0EEEvSY_,"axG",@progbits,_ZN7rocprim17ROCPRIM_400000_NS6detail17trampoline_kernelINS0_13select_configILj256ELj13ELNS0_17block_load_methodE3ELS4_3ELS4_3ELNS0_20block_scan_algorithmE0ELj4294967295EEENS1_25partition_config_selectorILNS1_17partition_subalgoE3EjNS0_10empty_typeEbEEZZNS1_14partition_implILS8_3ELb0ES6_jNS0_17counting_iteratorIjlEEPS9_SE_NS0_5tupleIJPjSE_EEENSF_IJSE_SE_EEES9_SG_JZNS1_25segmented_radix_sort_implINS0_14default_configELb0EPKdPdPKlPlN2at6native12_GLOBAL__N_18offset_tEEE10hipError_tPvRmT1_PNSt15iterator_traitsISY_E10value_typeET2_T3_PNSZ_IS14_E10value_typeET4_jRbjT5_S1A_jjP12ihipStream_tbEUljE_EEESV_SW_SX_S14_S18_S1A_T6_T7_T9_mT8_S1C_bDpT10_ENKUlT_T0_E_clISt17integral_constantIbLb1EES1O_IbLb0EEEEDaS1K_S1L_EUlS1K_E_NS1_11comp_targetILNS1_3genE2ELNS1_11target_archE906ELNS1_3gpuE6ELNS1_3repE0EEENS1_30default_config_static_selectorELNS0_4arch9wavefront6targetE0EEEvSY_,comdat
.Lfunc_end1209:
	.size	_ZN7rocprim17ROCPRIM_400000_NS6detail17trampoline_kernelINS0_13select_configILj256ELj13ELNS0_17block_load_methodE3ELS4_3ELS4_3ELNS0_20block_scan_algorithmE0ELj4294967295EEENS1_25partition_config_selectorILNS1_17partition_subalgoE3EjNS0_10empty_typeEbEEZZNS1_14partition_implILS8_3ELb0ES6_jNS0_17counting_iteratorIjlEEPS9_SE_NS0_5tupleIJPjSE_EEENSF_IJSE_SE_EEES9_SG_JZNS1_25segmented_radix_sort_implINS0_14default_configELb0EPKdPdPKlPlN2at6native12_GLOBAL__N_18offset_tEEE10hipError_tPvRmT1_PNSt15iterator_traitsISY_E10value_typeET2_T3_PNSZ_IS14_E10value_typeET4_jRbjT5_S1A_jjP12ihipStream_tbEUljE_EEESV_SW_SX_S14_S18_S1A_T6_T7_T9_mT8_S1C_bDpT10_ENKUlT_T0_E_clISt17integral_constantIbLb1EES1O_IbLb0EEEEDaS1K_S1L_EUlS1K_E_NS1_11comp_targetILNS1_3genE2ELNS1_11target_archE906ELNS1_3gpuE6ELNS1_3repE0EEENS1_30default_config_static_selectorELNS0_4arch9wavefront6targetE0EEEvSY_, .Lfunc_end1209-_ZN7rocprim17ROCPRIM_400000_NS6detail17trampoline_kernelINS0_13select_configILj256ELj13ELNS0_17block_load_methodE3ELS4_3ELS4_3ELNS0_20block_scan_algorithmE0ELj4294967295EEENS1_25partition_config_selectorILNS1_17partition_subalgoE3EjNS0_10empty_typeEbEEZZNS1_14partition_implILS8_3ELb0ES6_jNS0_17counting_iteratorIjlEEPS9_SE_NS0_5tupleIJPjSE_EEENSF_IJSE_SE_EEES9_SG_JZNS1_25segmented_radix_sort_implINS0_14default_configELb0EPKdPdPKlPlN2at6native12_GLOBAL__N_18offset_tEEE10hipError_tPvRmT1_PNSt15iterator_traitsISY_E10value_typeET2_T3_PNSZ_IS14_E10value_typeET4_jRbjT5_S1A_jjP12ihipStream_tbEUljE_EEESV_SW_SX_S14_S18_S1A_T6_T7_T9_mT8_S1C_bDpT10_ENKUlT_T0_E_clISt17integral_constantIbLb1EES1O_IbLb0EEEEDaS1K_S1L_EUlS1K_E_NS1_11comp_targetILNS1_3genE2ELNS1_11target_archE906ELNS1_3gpuE6ELNS1_3repE0EEENS1_30default_config_static_selectorELNS0_4arch9wavefront6targetE0EEEvSY_
                                        ; -- End function
	.set _ZN7rocprim17ROCPRIM_400000_NS6detail17trampoline_kernelINS0_13select_configILj256ELj13ELNS0_17block_load_methodE3ELS4_3ELS4_3ELNS0_20block_scan_algorithmE0ELj4294967295EEENS1_25partition_config_selectorILNS1_17partition_subalgoE3EjNS0_10empty_typeEbEEZZNS1_14partition_implILS8_3ELb0ES6_jNS0_17counting_iteratorIjlEEPS9_SE_NS0_5tupleIJPjSE_EEENSF_IJSE_SE_EEES9_SG_JZNS1_25segmented_radix_sort_implINS0_14default_configELb0EPKdPdPKlPlN2at6native12_GLOBAL__N_18offset_tEEE10hipError_tPvRmT1_PNSt15iterator_traitsISY_E10value_typeET2_T3_PNSZ_IS14_E10value_typeET4_jRbjT5_S1A_jjP12ihipStream_tbEUljE_EEESV_SW_SX_S14_S18_S1A_T6_T7_T9_mT8_S1C_bDpT10_ENKUlT_T0_E_clISt17integral_constantIbLb1EES1O_IbLb0EEEEDaS1K_S1L_EUlS1K_E_NS1_11comp_targetILNS1_3genE2ELNS1_11target_archE906ELNS1_3gpuE6ELNS1_3repE0EEENS1_30default_config_static_selectorELNS0_4arch9wavefront6targetE0EEEvSY_.num_vgpr, 0
	.set _ZN7rocprim17ROCPRIM_400000_NS6detail17trampoline_kernelINS0_13select_configILj256ELj13ELNS0_17block_load_methodE3ELS4_3ELS4_3ELNS0_20block_scan_algorithmE0ELj4294967295EEENS1_25partition_config_selectorILNS1_17partition_subalgoE3EjNS0_10empty_typeEbEEZZNS1_14partition_implILS8_3ELb0ES6_jNS0_17counting_iteratorIjlEEPS9_SE_NS0_5tupleIJPjSE_EEENSF_IJSE_SE_EEES9_SG_JZNS1_25segmented_radix_sort_implINS0_14default_configELb0EPKdPdPKlPlN2at6native12_GLOBAL__N_18offset_tEEE10hipError_tPvRmT1_PNSt15iterator_traitsISY_E10value_typeET2_T3_PNSZ_IS14_E10value_typeET4_jRbjT5_S1A_jjP12ihipStream_tbEUljE_EEESV_SW_SX_S14_S18_S1A_T6_T7_T9_mT8_S1C_bDpT10_ENKUlT_T0_E_clISt17integral_constantIbLb1EES1O_IbLb0EEEEDaS1K_S1L_EUlS1K_E_NS1_11comp_targetILNS1_3genE2ELNS1_11target_archE906ELNS1_3gpuE6ELNS1_3repE0EEENS1_30default_config_static_selectorELNS0_4arch9wavefront6targetE0EEEvSY_.num_agpr, 0
	.set _ZN7rocprim17ROCPRIM_400000_NS6detail17trampoline_kernelINS0_13select_configILj256ELj13ELNS0_17block_load_methodE3ELS4_3ELS4_3ELNS0_20block_scan_algorithmE0ELj4294967295EEENS1_25partition_config_selectorILNS1_17partition_subalgoE3EjNS0_10empty_typeEbEEZZNS1_14partition_implILS8_3ELb0ES6_jNS0_17counting_iteratorIjlEEPS9_SE_NS0_5tupleIJPjSE_EEENSF_IJSE_SE_EEES9_SG_JZNS1_25segmented_radix_sort_implINS0_14default_configELb0EPKdPdPKlPlN2at6native12_GLOBAL__N_18offset_tEEE10hipError_tPvRmT1_PNSt15iterator_traitsISY_E10value_typeET2_T3_PNSZ_IS14_E10value_typeET4_jRbjT5_S1A_jjP12ihipStream_tbEUljE_EEESV_SW_SX_S14_S18_S1A_T6_T7_T9_mT8_S1C_bDpT10_ENKUlT_T0_E_clISt17integral_constantIbLb1EES1O_IbLb0EEEEDaS1K_S1L_EUlS1K_E_NS1_11comp_targetILNS1_3genE2ELNS1_11target_archE906ELNS1_3gpuE6ELNS1_3repE0EEENS1_30default_config_static_selectorELNS0_4arch9wavefront6targetE0EEEvSY_.numbered_sgpr, 0
	.set _ZN7rocprim17ROCPRIM_400000_NS6detail17trampoline_kernelINS0_13select_configILj256ELj13ELNS0_17block_load_methodE3ELS4_3ELS4_3ELNS0_20block_scan_algorithmE0ELj4294967295EEENS1_25partition_config_selectorILNS1_17partition_subalgoE3EjNS0_10empty_typeEbEEZZNS1_14partition_implILS8_3ELb0ES6_jNS0_17counting_iteratorIjlEEPS9_SE_NS0_5tupleIJPjSE_EEENSF_IJSE_SE_EEES9_SG_JZNS1_25segmented_radix_sort_implINS0_14default_configELb0EPKdPdPKlPlN2at6native12_GLOBAL__N_18offset_tEEE10hipError_tPvRmT1_PNSt15iterator_traitsISY_E10value_typeET2_T3_PNSZ_IS14_E10value_typeET4_jRbjT5_S1A_jjP12ihipStream_tbEUljE_EEESV_SW_SX_S14_S18_S1A_T6_T7_T9_mT8_S1C_bDpT10_ENKUlT_T0_E_clISt17integral_constantIbLb1EES1O_IbLb0EEEEDaS1K_S1L_EUlS1K_E_NS1_11comp_targetILNS1_3genE2ELNS1_11target_archE906ELNS1_3gpuE6ELNS1_3repE0EEENS1_30default_config_static_selectorELNS0_4arch9wavefront6targetE0EEEvSY_.num_named_barrier, 0
	.set _ZN7rocprim17ROCPRIM_400000_NS6detail17trampoline_kernelINS0_13select_configILj256ELj13ELNS0_17block_load_methodE3ELS4_3ELS4_3ELNS0_20block_scan_algorithmE0ELj4294967295EEENS1_25partition_config_selectorILNS1_17partition_subalgoE3EjNS0_10empty_typeEbEEZZNS1_14partition_implILS8_3ELb0ES6_jNS0_17counting_iteratorIjlEEPS9_SE_NS0_5tupleIJPjSE_EEENSF_IJSE_SE_EEES9_SG_JZNS1_25segmented_radix_sort_implINS0_14default_configELb0EPKdPdPKlPlN2at6native12_GLOBAL__N_18offset_tEEE10hipError_tPvRmT1_PNSt15iterator_traitsISY_E10value_typeET2_T3_PNSZ_IS14_E10value_typeET4_jRbjT5_S1A_jjP12ihipStream_tbEUljE_EEESV_SW_SX_S14_S18_S1A_T6_T7_T9_mT8_S1C_bDpT10_ENKUlT_T0_E_clISt17integral_constantIbLb1EES1O_IbLb0EEEEDaS1K_S1L_EUlS1K_E_NS1_11comp_targetILNS1_3genE2ELNS1_11target_archE906ELNS1_3gpuE6ELNS1_3repE0EEENS1_30default_config_static_selectorELNS0_4arch9wavefront6targetE0EEEvSY_.private_seg_size, 0
	.set _ZN7rocprim17ROCPRIM_400000_NS6detail17trampoline_kernelINS0_13select_configILj256ELj13ELNS0_17block_load_methodE3ELS4_3ELS4_3ELNS0_20block_scan_algorithmE0ELj4294967295EEENS1_25partition_config_selectorILNS1_17partition_subalgoE3EjNS0_10empty_typeEbEEZZNS1_14partition_implILS8_3ELb0ES6_jNS0_17counting_iteratorIjlEEPS9_SE_NS0_5tupleIJPjSE_EEENSF_IJSE_SE_EEES9_SG_JZNS1_25segmented_radix_sort_implINS0_14default_configELb0EPKdPdPKlPlN2at6native12_GLOBAL__N_18offset_tEEE10hipError_tPvRmT1_PNSt15iterator_traitsISY_E10value_typeET2_T3_PNSZ_IS14_E10value_typeET4_jRbjT5_S1A_jjP12ihipStream_tbEUljE_EEESV_SW_SX_S14_S18_S1A_T6_T7_T9_mT8_S1C_bDpT10_ENKUlT_T0_E_clISt17integral_constantIbLb1EES1O_IbLb0EEEEDaS1K_S1L_EUlS1K_E_NS1_11comp_targetILNS1_3genE2ELNS1_11target_archE906ELNS1_3gpuE6ELNS1_3repE0EEENS1_30default_config_static_selectorELNS0_4arch9wavefront6targetE0EEEvSY_.uses_vcc, 0
	.set _ZN7rocprim17ROCPRIM_400000_NS6detail17trampoline_kernelINS0_13select_configILj256ELj13ELNS0_17block_load_methodE3ELS4_3ELS4_3ELNS0_20block_scan_algorithmE0ELj4294967295EEENS1_25partition_config_selectorILNS1_17partition_subalgoE3EjNS0_10empty_typeEbEEZZNS1_14partition_implILS8_3ELb0ES6_jNS0_17counting_iteratorIjlEEPS9_SE_NS0_5tupleIJPjSE_EEENSF_IJSE_SE_EEES9_SG_JZNS1_25segmented_radix_sort_implINS0_14default_configELb0EPKdPdPKlPlN2at6native12_GLOBAL__N_18offset_tEEE10hipError_tPvRmT1_PNSt15iterator_traitsISY_E10value_typeET2_T3_PNSZ_IS14_E10value_typeET4_jRbjT5_S1A_jjP12ihipStream_tbEUljE_EEESV_SW_SX_S14_S18_S1A_T6_T7_T9_mT8_S1C_bDpT10_ENKUlT_T0_E_clISt17integral_constantIbLb1EES1O_IbLb0EEEEDaS1K_S1L_EUlS1K_E_NS1_11comp_targetILNS1_3genE2ELNS1_11target_archE906ELNS1_3gpuE6ELNS1_3repE0EEENS1_30default_config_static_selectorELNS0_4arch9wavefront6targetE0EEEvSY_.uses_flat_scratch, 0
	.set _ZN7rocprim17ROCPRIM_400000_NS6detail17trampoline_kernelINS0_13select_configILj256ELj13ELNS0_17block_load_methodE3ELS4_3ELS4_3ELNS0_20block_scan_algorithmE0ELj4294967295EEENS1_25partition_config_selectorILNS1_17partition_subalgoE3EjNS0_10empty_typeEbEEZZNS1_14partition_implILS8_3ELb0ES6_jNS0_17counting_iteratorIjlEEPS9_SE_NS0_5tupleIJPjSE_EEENSF_IJSE_SE_EEES9_SG_JZNS1_25segmented_radix_sort_implINS0_14default_configELb0EPKdPdPKlPlN2at6native12_GLOBAL__N_18offset_tEEE10hipError_tPvRmT1_PNSt15iterator_traitsISY_E10value_typeET2_T3_PNSZ_IS14_E10value_typeET4_jRbjT5_S1A_jjP12ihipStream_tbEUljE_EEESV_SW_SX_S14_S18_S1A_T6_T7_T9_mT8_S1C_bDpT10_ENKUlT_T0_E_clISt17integral_constantIbLb1EES1O_IbLb0EEEEDaS1K_S1L_EUlS1K_E_NS1_11comp_targetILNS1_3genE2ELNS1_11target_archE906ELNS1_3gpuE6ELNS1_3repE0EEENS1_30default_config_static_selectorELNS0_4arch9wavefront6targetE0EEEvSY_.has_dyn_sized_stack, 0
	.set _ZN7rocprim17ROCPRIM_400000_NS6detail17trampoline_kernelINS0_13select_configILj256ELj13ELNS0_17block_load_methodE3ELS4_3ELS4_3ELNS0_20block_scan_algorithmE0ELj4294967295EEENS1_25partition_config_selectorILNS1_17partition_subalgoE3EjNS0_10empty_typeEbEEZZNS1_14partition_implILS8_3ELb0ES6_jNS0_17counting_iteratorIjlEEPS9_SE_NS0_5tupleIJPjSE_EEENSF_IJSE_SE_EEES9_SG_JZNS1_25segmented_radix_sort_implINS0_14default_configELb0EPKdPdPKlPlN2at6native12_GLOBAL__N_18offset_tEEE10hipError_tPvRmT1_PNSt15iterator_traitsISY_E10value_typeET2_T3_PNSZ_IS14_E10value_typeET4_jRbjT5_S1A_jjP12ihipStream_tbEUljE_EEESV_SW_SX_S14_S18_S1A_T6_T7_T9_mT8_S1C_bDpT10_ENKUlT_T0_E_clISt17integral_constantIbLb1EES1O_IbLb0EEEEDaS1K_S1L_EUlS1K_E_NS1_11comp_targetILNS1_3genE2ELNS1_11target_archE906ELNS1_3gpuE6ELNS1_3repE0EEENS1_30default_config_static_selectorELNS0_4arch9wavefront6targetE0EEEvSY_.has_recursion, 0
	.set _ZN7rocprim17ROCPRIM_400000_NS6detail17trampoline_kernelINS0_13select_configILj256ELj13ELNS0_17block_load_methodE3ELS4_3ELS4_3ELNS0_20block_scan_algorithmE0ELj4294967295EEENS1_25partition_config_selectorILNS1_17partition_subalgoE3EjNS0_10empty_typeEbEEZZNS1_14partition_implILS8_3ELb0ES6_jNS0_17counting_iteratorIjlEEPS9_SE_NS0_5tupleIJPjSE_EEENSF_IJSE_SE_EEES9_SG_JZNS1_25segmented_radix_sort_implINS0_14default_configELb0EPKdPdPKlPlN2at6native12_GLOBAL__N_18offset_tEEE10hipError_tPvRmT1_PNSt15iterator_traitsISY_E10value_typeET2_T3_PNSZ_IS14_E10value_typeET4_jRbjT5_S1A_jjP12ihipStream_tbEUljE_EEESV_SW_SX_S14_S18_S1A_T6_T7_T9_mT8_S1C_bDpT10_ENKUlT_T0_E_clISt17integral_constantIbLb1EES1O_IbLb0EEEEDaS1K_S1L_EUlS1K_E_NS1_11comp_targetILNS1_3genE2ELNS1_11target_archE906ELNS1_3gpuE6ELNS1_3repE0EEENS1_30default_config_static_selectorELNS0_4arch9wavefront6targetE0EEEvSY_.has_indirect_call, 0
	.section	.AMDGPU.csdata,"",@progbits
; Kernel info:
; codeLenInByte = 0
; TotalNumSgprs: 0
; NumVgprs: 0
; ScratchSize: 0
; MemoryBound: 0
; FloatMode: 240
; IeeeMode: 1
; LDSByteSize: 0 bytes/workgroup (compile time only)
; SGPRBlocks: 0
; VGPRBlocks: 0
; NumSGPRsForWavesPerEU: 1
; NumVGPRsForWavesPerEU: 1
; Occupancy: 16
; WaveLimiterHint : 0
; COMPUTE_PGM_RSRC2:SCRATCH_EN: 0
; COMPUTE_PGM_RSRC2:USER_SGPR: 2
; COMPUTE_PGM_RSRC2:TRAP_HANDLER: 0
; COMPUTE_PGM_RSRC2:TGID_X_EN: 1
; COMPUTE_PGM_RSRC2:TGID_Y_EN: 0
; COMPUTE_PGM_RSRC2:TGID_Z_EN: 0
; COMPUTE_PGM_RSRC2:TIDIG_COMP_CNT: 0
	.section	.text._ZN7rocprim17ROCPRIM_400000_NS6detail17trampoline_kernelINS0_13select_configILj256ELj13ELNS0_17block_load_methodE3ELS4_3ELS4_3ELNS0_20block_scan_algorithmE0ELj4294967295EEENS1_25partition_config_selectorILNS1_17partition_subalgoE3EjNS0_10empty_typeEbEEZZNS1_14partition_implILS8_3ELb0ES6_jNS0_17counting_iteratorIjlEEPS9_SE_NS0_5tupleIJPjSE_EEENSF_IJSE_SE_EEES9_SG_JZNS1_25segmented_radix_sort_implINS0_14default_configELb0EPKdPdPKlPlN2at6native12_GLOBAL__N_18offset_tEEE10hipError_tPvRmT1_PNSt15iterator_traitsISY_E10value_typeET2_T3_PNSZ_IS14_E10value_typeET4_jRbjT5_S1A_jjP12ihipStream_tbEUljE_EEESV_SW_SX_S14_S18_S1A_T6_T7_T9_mT8_S1C_bDpT10_ENKUlT_T0_E_clISt17integral_constantIbLb1EES1O_IbLb0EEEEDaS1K_S1L_EUlS1K_E_NS1_11comp_targetILNS1_3genE10ELNS1_11target_archE1200ELNS1_3gpuE4ELNS1_3repE0EEENS1_30default_config_static_selectorELNS0_4arch9wavefront6targetE0EEEvSY_,"axG",@progbits,_ZN7rocprim17ROCPRIM_400000_NS6detail17trampoline_kernelINS0_13select_configILj256ELj13ELNS0_17block_load_methodE3ELS4_3ELS4_3ELNS0_20block_scan_algorithmE0ELj4294967295EEENS1_25partition_config_selectorILNS1_17partition_subalgoE3EjNS0_10empty_typeEbEEZZNS1_14partition_implILS8_3ELb0ES6_jNS0_17counting_iteratorIjlEEPS9_SE_NS0_5tupleIJPjSE_EEENSF_IJSE_SE_EEES9_SG_JZNS1_25segmented_radix_sort_implINS0_14default_configELb0EPKdPdPKlPlN2at6native12_GLOBAL__N_18offset_tEEE10hipError_tPvRmT1_PNSt15iterator_traitsISY_E10value_typeET2_T3_PNSZ_IS14_E10value_typeET4_jRbjT5_S1A_jjP12ihipStream_tbEUljE_EEESV_SW_SX_S14_S18_S1A_T6_T7_T9_mT8_S1C_bDpT10_ENKUlT_T0_E_clISt17integral_constantIbLb1EES1O_IbLb0EEEEDaS1K_S1L_EUlS1K_E_NS1_11comp_targetILNS1_3genE10ELNS1_11target_archE1200ELNS1_3gpuE4ELNS1_3repE0EEENS1_30default_config_static_selectorELNS0_4arch9wavefront6targetE0EEEvSY_,comdat
	.globl	_ZN7rocprim17ROCPRIM_400000_NS6detail17trampoline_kernelINS0_13select_configILj256ELj13ELNS0_17block_load_methodE3ELS4_3ELS4_3ELNS0_20block_scan_algorithmE0ELj4294967295EEENS1_25partition_config_selectorILNS1_17partition_subalgoE3EjNS0_10empty_typeEbEEZZNS1_14partition_implILS8_3ELb0ES6_jNS0_17counting_iteratorIjlEEPS9_SE_NS0_5tupleIJPjSE_EEENSF_IJSE_SE_EEES9_SG_JZNS1_25segmented_radix_sort_implINS0_14default_configELb0EPKdPdPKlPlN2at6native12_GLOBAL__N_18offset_tEEE10hipError_tPvRmT1_PNSt15iterator_traitsISY_E10value_typeET2_T3_PNSZ_IS14_E10value_typeET4_jRbjT5_S1A_jjP12ihipStream_tbEUljE_EEESV_SW_SX_S14_S18_S1A_T6_T7_T9_mT8_S1C_bDpT10_ENKUlT_T0_E_clISt17integral_constantIbLb1EES1O_IbLb0EEEEDaS1K_S1L_EUlS1K_E_NS1_11comp_targetILNS1_3genE10ELNS1_11target_archE1200ELNS1_3gpuE4ELNS1_3repE0EEENS1_30default_config_static_selectorELNS0_4arch9wavefront6targetE0EEEvSY_ ; -- Begin function _ZN7rocprim17ROCPRIM_400000_NS6detail17trampoline_kernelINS0_13select_configILj256ELj13ELNS0_17block_load_methodE3ELS4_3ELS4_3ELNS0_20block_scan_algorithmE0ELj4294967295EEENS1_25partition_config_selectorILNS1_17partition_subalgoE3EjNS0_10empty_typeEbEEZZNS1_14partition_implILS8_3ELb0ES6_jNS0_17counting_iteratorIjlEEPS9_SE_NS0_5tupleIJPjSE_EEENSF_IJSE_SE_EEES9_SG_JZNS1_25segmented_radix_sort_implINS0_14default_configELb0EPKdPdPKlPlN2at6native12_GLOBAL__N_18offset_tEEE10hipError_tPvRmT1_PNSt15iterator_traitsISY_E10value_typeET2_T3_PNSZ_IS14_E10value_typeET4_jRbjT5_S1A_jjP12ihipStream_tbEUljE_EEESV_SW_SX_S14_S18_S1A_T6_T7_T9_mT8_S1C_bDpT10_ENKUlT_T0_E_clISt17integral_constantIbLb1EES1O_IbLb0EEEEDaS1K_S1L_EUlS1K_E_NS1_11comp_targetILNS1_3genE10ELNS1_11target_archE1200ELNS1_3gpuE4ELNS1_3repE0EEENS1_30default_config_static_selectorELNS0_4arch9wavefront6targetE0EEEvSY_
	.p2align	8
	.type	_ZN7rocprim17ROCPRIM_400000_NS6detail17trampoline_kernelINS0_13select_configILj256ELj13ELNS0_17block_load_methodE3ELS4_3ELS4_3ELNS0_20block_scan_algorithmE0ELj4294967295EEENS1_25partition_config_selectorILNS1_17partition_subalgoE3EjNS0_10empty_typeEbEEZZNS1_14partition_implILS8_3ELb0ES6_jNS0_17counting_iteratorIjlEEPS9_SE_NS0_5tupleIJPjSE_EEENSF_IJSE_SE_EEES9_SG_JZNS1_25segmented_radix_sort_implINS0_14default_configELb0EPKdPdPKlPlN2at6native12_GLOBAL__N_18offset_tEEE10hipError_tPvRmT1_PNSt15iterator_traitsISY_E10value_typeET2_T3_PNSZ_IS14_E10value_typeET4_jRbjT5_S1A_jjP12ihipStream_tbEUljE_EEESV_SW_SX_S14_S18_S1A_T6_T7_T9_mT8_S1C_bDpT10_ENKUlT_T0_E_clISt17integral_constantIbLb1EES1O_IbLb0EEEEDaS1K_S1L_EUlS1K_E_NS1_11comp_targetILNS1_3genE10ELNS1_11target_archE1200ELNS1_3gpuE4ELNS1_3repE0EEENS1_30default_config_static_selectorELNS0_4arch9wavefront6targetE0EEEvSY_,@function
_ZN7rocprim17ROCPRIM_400000_NS6detail17trampoline_kernelINS0_13select_configILj256ELj13ELNS0_17block_load_methodE3ELS4_3ELS4_3ELNS0_20block_scan_algorithmE0ELj4294967295EEENS1_25partition_config_selectorILNS1_17partition_subalgoE3EjNS0_10empty_typeEbEEZZNS1_14partition_implILS8_3ELb0ES6_jNS0_17counting_iteratorIjlEEPS9_SE_NS0_5tupleIJPjSE_EEENSF_IJSE_SE_EEES9_SG_JZNS1_25segmented_radix_sort_implINS0_14default_configELb0EPKdPdPKlPlN2at6native12_GLOBAL__N_18offset_tEEE10hipError_tPvRmT1_PNSt15iterator_traitsISY_E10value_typeET2_T3_PNSZ_IS14_E10value_typeET4_jRbjT5_S1A_jjP12ihipStream_tbEUljE_EEESV_SW_SX_S14_S18_S1A_T6_T7_T9_mT8_S1C_bDpT10_ENKUlT_T0_E_clISt17integral_constantIbLb1EES1O_IbLb0EEEEDaS1K_S1L_EUlS1K_E_NS1_11comp_targetILNS1_3genE10ELNS1_11target_archE1200ELNS1_3gpuE4ELNS1_3repE0EEENS1_30default_config_static_selectorELNS0_4arch9wavefront6targetE0EEEvSY_: ; @_ZN7rocprim17ROCPRIM_400000_NS6detail17trampoline_kernelINS0_13select_configILj256ELj13ELNS0_17block_load_methodE3ELS4_3ELS4_3ELNS0_20block_scan_algorithmE0ELj4294967295EEENS1_25partition_config_selectorILNS1_17partition_subalgoE3EjNS0_10empty_typeEbEEZZNS1_14partition_implILS8_3ELb0ES6_jNS0_17counting_iteratorIjlEEPS9_SE_NS0_5tupleIJPjSE_EEENSF_IJSE_SE_EEES9_SG_JZNS1_25segmented_radix_sort_implINS0_14default_configELb0EPKdPdPKlPlN2at6native12_GLOBAL__N_18offset_tEEE10hipError_tPvRmT1_PNSt15iterator_traitsISY_E10value_typeET2_T3_PNSZ_IS14_E10value_typeET4_jRbjT5_S1A_jjP12ihipStream_tbEUljE_EEESV_SW_SX_S14_S18_S1A_T6_T7_T9_mT8_S1C_bDpT10_ENKUlT_T0_E_clISt17integral_constantIbLb1EES1O_IbLb0EEEEDaS1K_S1L_EUlS1K_E_NS1_11comp_targetILNS1_3genE10ELNS1_11target_archE1200ELNS1_3gpuE4ELNS1_3repE0EEENS1_30default_config_static_selectorELNS0_4arch9wavefront6targetE0EEEvSY_
; %bb.0:
	s_endpgm
	.section	.rodata,"a",@progbits
	.p2align	6, 0x0
	.amdhsa_kernel _ZN7rocprim17ROCPRIM_400000_NS6detail17trampoline_kernelINS0_13select_configILj256ELj13ELNS0_17block_load_methodE3ELS4_3ELS4_3ELNS0_20block_scan_algorithmE0ELj4294967295EEENS1_25partition_config_selectorILNS1_17partition_subalgoE3EjNS0_10empty_typeEbEEZZNS1_14partition_implILS8_3ELb0ES6_jNS0_17counting_iteratorIjlEEPS9_SE_NS0_5tupleIJPjSE_EEENSF_IJSE_SE_EEES9_SG_JZNS1_25segmented_radix_sort_implINS0_14default_configELb0EPKdPdPKlPlN2at6native12_GLOBAL__N_18offset_tEEE10hipError_tPvRmT1_PNSt15iterator_traitsISY_E10value_typeET2_T3_PNSZ_IS14_E10value_typeET4_jRbjT5_S1A_jjP12ihipStream_tbEUljE_EEESV_SW_SX_S14_S18_S1A_T6_T7_T9_mT8_S1C_bDpT10_ENKUlT_T0_E_clISt17integral_constantIbLb1EES1O_IbLb0EEEEDaS1K_S1L_EUlS1K_E_NS1_11comp_targetILNS1_3genE10ELNS1_11target_archE1200ELNS1_3gpuE4ELNS1_3repE0EEENS1_30default_config_static_selectorELNS0_4arch9wavefront6targetE0EEEvSY_
		.amdhsa_group_segment_fixed_size 0
		.amdhsa_private_segment_fixed_size 0
		.amdhsa_kernarg_size 144
		.amdhsa_user_sgpr_count 2
		.amdhsa_user_sgpr_dispatch_ptr 0
		.amdhsa_user_sgpr_queue_ptr 0
		.amdhsa_user_sgpr_kernarg_segment_ptr 1
		.amdhsa_user_sgpr_dispatch_id 0
		.amdhsa_user_sgpr_private_segment_size 0
		.amdhsa_wavefront_size32 1
		.amdhsa_uses_dynamic_stack 0
		.amdhsa_enable_private_segment 0
		.amdhsa_system_sgpr_workgroup_id_x 1
		.amdhsa_system_sgpr_workgroup_id_y 0
		.amdhsa_system_sgpr_workgroup_id_z 0
		.amdhsa_system_sgpr_workgroup_info 0
		.amdhsa_system_vgpr_workitem_id 0
		.amdhsa_next_free_vgpr 1
		.amdhsa_next_free_sgpr 1
		.amdhsa_reserve_vcc 0
		.amdhsa_float_round_mode_32 0
		.amdhsa_float_round_mode_16_64 0
		.amdhsa_float_denorm_mode_32 3
		.amdhsa_float_denorm_mode_16_64 3
		.amdhsa_fp16_overflow 0
		.amdhsa_workgroup_processor_mode 1
		.amdhsa_memory_ordered 1
		.amdhsa_forward_progress 1
		.amdhsa_inst_pref_size 1
		.amdhsa_round_robin_scheduling 0
		.amdhsa_exception_fp_ieee_invalid_op 0
		.amdhsa_exception_fp_denorm_src 0
		.amdhsa_exception_fp_ieee_div_zero 0
		.amdhsa_exception_fp_ieee_overflow 0
		.amdhsa_exception_fp_ieee_underflow 0
		.amdhsa_exception_fp_ieee_inexact 0
		.amdhsa_exception_int_div_zero 0
	.end_amdhsa_kernel
	.section	.text._ZN7rocprim17ROCPRIM_400000_NS6detail17trampoline_kernelINS0_13select_configILj256ELj13ELNS0_17block_load_methodE3ELS4_3ELS4_3ELNS0_20block_scan_algorithmE0ELj4294967295EEENS1_25partition_config_selectorILNS1_17partition_subalgoE3EjNS0_10empty_typeEbEEZZNS1_14partition_implILS8_3ELb0ES6_jNS0_17counting_iteratorIjlEEPS9_SE_NS0_5tupleIJPjSE_EEENSF_IJSE_SE_EEES9_SG_JZNS1_25segmented_radix_sort_implINS0_14default_configELb0EPKdPdPKlPlN2at6native12_GLOBAL__N_18offset_tEEE10hipError_tPvRmT1_PNSt15iterator_traitsISY_E10value_typeET2_T3_PNSZ_IS14_E10value_typeET4_jRbjT5_S1A_jjP12ihipStream_tbEUljE_EEESV_SW_SX_S14_S18_S1A_T6_T7_T9_mT8_S1C_bDpT10_ENKUlT_T0_E_clISt17integral_constantIbLb1EES1O_IbLb0EEEEDaS1K_S1L_EUlS1K_E_NS1_11comp_targetILNS1_3genE10ELNS1_11target_archE1200ELNS1_3gpuE4ELNS1_3repE0EEENS1_30default_config_static_selectorELNS0_4arch9wavefront6targetE0EEEvSY_,"axG",@progbits,_ZN7rocprim17ROCPRIM_400000_NS6detail17trampoline_kernelINS0_13select_configILj256ELj13ELNS0_17block_load_methodE3ELS4_3ELS4_3ELNS0_20block_scan_algorithmE0ELj4294967295EEENS1_25partition_config_selectorILNS1_17partition_subalgoE3EjNS0_10empty_typeEbEEZZNS1_14partition_implILS8_3ELb0ES6_jNS0_17counting_iteratorIjlEEPS9_SE_NS0_5tupleIJPjSE_EEENSF_IJSE_SE_EEES9_SG_JZNS1_25segmented_radix_sort_implINS0_14default_configELb0EPKdPdPKlPlN2at6native12_GLOBAL__N_18offset_tEEE10hipError_tPvRmT1_PNSt15iterator_traitsISY_E10value_typeET2_T3_PNSZ_IS14_E10value_typeET4_jRbjT5_S1A_jjP12ihipStream_tbEUljE_EEESV_SW_SX_S14_S18_S1A_T6_T7_T9_mT8_S1C_bDpT10_ENKUlT_T0_E_clISt17integral_constantIbLb1EES1O_IbLb0EEEEDaS1K_S1L_EUlS1K_E_NS1_11comp_targetILNS1_3genE10ELNS1_11target_archE1200ELNS1_3gpuE4ELNS1_3repE0EEENS1_30default_config_static_selectorELNS0_4arch9wavefront6targetE0EEEvSY_,comdat
.Lfunc_end1210:
	.size	_ZN7rocprim17ROCPRIM_400000_NS6detail17trampoline_kernelINS0_13select_configILj256ELj13ELNS0_17block_load_methodE3ELS4_3ELS4_3ELNS0_20block_scan_algorithmE0ELj4294967295EEENS1_25partition_config_selectorILNS1_17partition_subalgoE3EjNS0_10empty_typeEbEEZZNS1_14partition_implILS8_3ELb0ES6_jNS0_17counting_iteratorIjlEEPS9_SE_NS0_5tupleIJPjSE_EEENSF_IJSE_SE_EEES9_SG_JZNS1_25segmented_radix_sort_implINS0_14default_configELb0EPKdPdPKlPlN2at6native12_GLOBAL__N_18offset_tEEE10hipError_tPvRmT1_PNSt15iterator_traitsISY_E10value_typeET2_T3_PNSZ_IS14_E10value_typeET4_jRbjT5_S1A_jjP12ihipStream_tbEUljE_EEESV_SW_SX_S14_S18_S1A_T6_T7_T9_mT8_S1C_bDpT10_ENKUlT_T0_E_clISt17integral_constantIbLb1EES1O_IbLb0EEEEDaS1K_S1L_EUlS1K_E_NS1_11comp_targetILNS1_3genE10ELNS1_11target_archE1200ELNS1_3gpuE4ELNS1_3repE0EEENS1_30default_config_static_selectorELNS0_4arch9wavefront6targetE0EEEvSY_, .Lfunc_end1210-_ZN7rocprim17ROCPRIM_400000_NS6detail17trampoline_kernelINS0_13select_configILj256ELj13ELNS0_17block_load_methodE3ELS4_3ELS4_3ELNS0_20block_scan_algorithmE0ELj4294967295EEENS1_25partition_config_selectorILNS1_17partition_subalgoE3EjNS0_10empty_typeEbEEZZNS1_14partition_implILS8_3ELb0ES6_jNS0_17counting_iteratorIjlEEPS9_SE_NS0_5tupleIJPjSE_EEENSF_IJSE_SE_EEES9_SG_JZNS1_25segmented_radix_sort_implINS0_14default_configELb0EPKdPdPKlPlN2at6native12_GLOBAL__N_18offset_tEEE10hipError_tPvRmT1_PNSt15iterator_traitsISY_E10value_typeET2_T3_PNSZ_IS14_E10value_typeET4_jRbjT5_S1A_jjP12ihipStream_tbEUljE_EEESV_SW_SX_S14_S18_S1A_T6_T7_T9_mT8_S1C_bDpT10_ENKUlT_T0_E_clISt17integral_constantIbLb1EES1O_IbLb0EEEEDaS1K_S1L_EUlS1K_E_NS1_11comp_targetILNS1_3genE10ELNS1_11target_archE1200ELNS1_3gpuE4ELNS1_3repE0EEENS1_30default_config_static_selectorELNS0_4arch9wavefront6targetE0EEEvSY_
                                        ; -- End function
	.set _ZN7rocprim17ROCPRIM_400000_NS6detail17trampoline_kernelINS0_13select_configILj256ELj13ELNS0_17block_load_methodE3ELS4_3ELS4_3ELNS0_20block_scan_algorithmE0ELj4294967295EEENS1_25partition_config_selectorILNS1_17partition_subalgoE3EjNS0_10empty_typeEbEEZZNS1_14partition_implILS8_3ELb0ES6_jNS0_17counting_iteratorIjlEEPS9_SE_NS0_5tupleIJPjSE_EEENSF_IJSE_SE_EEES9_SG_JZNS1_25segmented_radix_sort_implINS0_14default_configELb0EPKdPdPKlPlN2at6native12_GLOBAL__N_18offset_tEEE10hipError_tPvRmT1_PNSt15iterator_traitsISY_E10value_typeET2_T3_PNSZ_IS14_E10value_typeET4_jRbjT5_S1A_jjP12ihipStream_tbEUljE_EEESV_SW_SX_S14_S18_S1A_T6_T7_T9_mT8_S1C_bDpT10_ENKUlT_T0_E_clISt17integral_constantIbLb1EES1O_IbLb0EEEEDaS1K_S1L_EUlS1K_E_NS1_11comp_targetILNS1_3genE10ELNS1_11target_archE1200ELNS1_3gpuE4ELNS1_3repE0EEENS1_30default_config_static_selectorELNS0_4arch9wavefront6targetE0EEEvSY_.num_vgpr, 0
	.set _ZN7rocprim17ROCPRIM_400000_NS6detail17trampoline_kernelINS0_13select_configILj256ELj13ELNS0_17block_load_methodE3ELS4_3ELS4_3ELNS0_20block_scan_algorithmE0ELj4294967295EEENS1_25partition_config_selectorILNS1_17partition_subalgoE3EjNS0_10empty_typeEbEEZZNS1_14partition_implILS8_3ELb0ES6_jNS0_17counting_iteratorIjlEEPS9_SE_NS0_5tupleIJPjSE_EEENSF_IJSE_SE_EEES9_SG_JZNS1_25segmented_radix_sort_implINS0_14default_configELb0EPKdPdPKlPlN2at6native12_GLOBAL__N_18offset_tEEE10hipError_tPvRmT1_PNSt15iterator_traitsISY_E10value_typeET2_T3_PNSZ_IS14_E10value_typeET4_jRbjT5_S1A_jjP12ihipStream_tbEUljE_EEESV_SW_SX_S14_S18_S1A_T6_T7_T9_mT8_S1C_bDpT10_ENKUlT_T0_E_clISt17integral_constantIbLb1EES1O_IbLb0EEEEDaS1K_S1L_EUlS1K_E_NS1_11comp_targetILNS1_3genE10ELNS1_11target_archE1200ELNS1_3gpuE4ELNS1_3repE0EEENS1_30default_config_static_selectorELNS0_4arch9wavefront6targetE0EEEvSY_.num_agpr, 0
	.set _ZN7rocprim17ROCPRIM_400000_NS6detail17trampoline_kernelINS0_13select_configILj256ELj13ELNS0_17block_load_methodE3ELS4_3ELS4_3ELNS0_20block_scan_algorithmE0ELj4294967295EEENS1_25partition_config_selectorILNS1_17partition_subalgoE3EjNS0_10empty_typeEbEEZZNS1_14partition_implILS8_3ELb0ES6_jNS0_17counting_iteratorIjlEEPS9_SE_NS0_5tupleIJPjSE_EEENSF_IJSE_SE_EEES9_SG_JZNS1_25segmented_radix_sort_implINS0_14default_configELb0EPKdPdPKlPlN2at6native12_GLOBAL__N_18offset_tEEE10hipError_tPvRmT1_PNSt15iterator_traitsISY_E10value_typeET2_T3_PNSZ_IS14_E10value_typeET4_jRbjT5_S1A_jjP12ihipStream_tbEUljE_EEESV_SW_SX_S14_S18_S1A_T6_T7_T9_mT8_S1C_bDpT10_ENKUlT_T0_E_clISt17integral_constantIbLb1EES1O_IbLb0EEEEDaS1K_S1L_EUlS1K_E_NS1_11comp_targetILNS1_3genE10ELNS1_11target_archE1200ELNS1_3gpuE4ELNS1_3repE0EEENS1_30default_config_static_selectorELNS0_4arch9wavefront6targetE0EEEvSY_.numbered_sgpr, 0
	.set _ZN7rocprim17ROCPRIM_400000_NS6detail17trampoline_kernelINS0_13select_configILj256ELj13ELNS0_17block_load_methodE3ELS4_3ELS4_3ELNS0_20block_scan_algorithmE0ELj4294967295EEENS1_25partition_config_selectorILNS1_17partition_subalgoE3EjNS0_10empty_typeEbEEZZNS1_14partition_implILS8_3ELb0ES6_jNS0_17counting_iteratorIjlEEPS9_SE_NS0_5tupleIJPjSE_EEENSF_IJSE_SE_EEES9_SG_JZNS1_25segmented_radix_sort_implINS0_14default_configELb0EPKdPdPKlPlN2at6native12_GLOBAL__N_18offset_tEEE10hipError_tPvRmT1_PNSt15iterator_traitsISY_E10value_typeET2_T3_PNSZ_IS14_E10value_typeET4_jRbjT5_S1A_jjP12ihipStream_tbEUljE_EEESV_SW_SX_S14_S18_S1A_T6_T7_T9_mT8_S1C_bDpT10_ENKUlT_T0_E_clISt17integral_constantIbLb1EES1O_IbLb0EEEEDaS1K_S1L_EUlS1K_E_NS1_11comp_targetILNS1_3genE10ELNS1_11target_archE1200ELNS1_3gpuE4ELNS1_3repE0EEENS1_30default_config_static_selectorELNS0_4arch9wavefront6targetE0EEEvSY_.num_named_barrier, 0
	.set _ZN7rocprim17ROCPRIM_400000_NS6detail17trampoline_kernelINS0_13select_configILj256ELj13ELNS0_17block_load_methodE3ELS4_3ELS4_3ELNS0_20block_scan_algorithmE0ELj4294967295EEENS1_25partition_config_selectorILNS1_17partition_subalgoE3EjNS0_10empty_typeEbEEZZNS1_14partition_implILS8_3ELb0ES6_jNS0_17counting_iteratorIjlEEPS9_SE_NS0_5tupleIJPjSE_EEENSF_IJSE_SE_EEES9_SG_JZNS1_25segmented_radix_sort_implINS0_14default_configELb0EPKdPdPKlPlN2at6native12_GLOBAL__N_18offset_tEEE10hipError_tPvRmT1_PNSt15iterator_traitsISY_E10value_typeET2_T3_PNSZ_IS14_E10value_typeET4_jRbjT5_S1A_jjP12ihipStream_tbEUljE_EEESV_SW_SX_S14_S18_S1A_T6_T7_T9_mT8_S1C_bDpT10_ENKUlT_T0_E_clISt17integral_constantIbLb1EES1O_IbLb0EEEEDaS1K_S1L_EUlS1K_E_NS1_11comp_targetILNS1_3genE10ELNS1_11target_archE1200ELNS1_3gpuE4ELNS1_3repE0EEENS1_30default_config_static_selectorELNS0_4arch9wavefront6targetE0EEEvSY_.private_seg_size, 0
	.set _ZN7rocprim17ROCPRIM_400000_NS6detail17trampoline_kernelINS0_13select_configILj256ELj13ELNS0_17block_load_methodE3ELS4_3ELS4_3ELNS0_20block_scan_algorithmE0ELj4294967295EEENS1_25partition_config_selectorILNS1_17partition_subalgoE3EjNS0_10empty_typeEbEEZZNS1_14partition_implILS8_3ELb0ES6_jNS0_17counting_iteratorIjlEEPS9_SE_NS0_5tupleIJPjSE_EEENSF_IJSE_SE_EEES9_SG_JZNS1_25segmented_radix_sort_implINS0_14default_configELb0EPKdPdPKlPlN2at6native12_GLOBAL__N_18offset_tEEE10hipError_tPvRmT1_PNSt15iterator_traitsISY_E10value_typeET2_T3_PNSZ_IS14_E10value_typeET4_jRbjT5_S1A_jjP12ihipStream_tbEUljE_EEESV_SW_SX_S14_S18_S1A_T6_T7_T9_mT8_S1C_bDpT10_ENKUlT_T0_E_clISt17integral_constantIbLb1EES1O_IbLb0EEEEDaS1K_S1L_EUlS1K_E_NS1_11comp_targetILNS1_3genE10ELNS1_11target_archE1200ELNS1_3gpuE4ELNS1_3repE0EEENS1_30default_config_static_selectorELNS0_4arch9wavefront6targetE0EEEvSY_.uses_vcc, 0
	.set _ZN7rocprim17ROCPRIM_400000_NS6detail17trampoline_kernelINS0_13select_configILj256ELj13ELNS0_17block_load_methodE3ELS4_3ELS4_3ELNS0_20block_scan_algorithmE0ELj4294967295EEENS1_25partition_config_selectorILNS1_17partition_subalgoE3EjNS0_10empty_typeEbEEZZNS1_14partition_implILS8_3ELb0ES6_jNS0_17counting_iteratorIjlEEPS9_SE_NS0_5tupleIJPjSE_EEENSF_IJSE_SE_EEES9_SG_JZNS1_25segmented_radix_sort_implINS0_14default_configELb0EPKdPdPKlPlN2at6native12_GLOBAL__N_18offset_tEEE10hipError_tPvRmT1_PNSt15iterator_traitsISY_E10value_typeET2_T3_PNSZ_IS14_E10value_typeET4_jRbjT5_S1A_jjP12ihipStream_tbEUljE_EEESV_SW_SX_S14_S18_S1A_T6_T7_T9_mT8_S1C_bDpT10_ENKUlT_T0_E_clISt17integral_constantIbLb1EES1O_IbLb0EEEEDaS1K_S1L_EUlS1K_E_NS1_11comp_targetILNS1_3genE10ELNS1_11target_archE1200ELNS1_3gpuE4ELNS1_3repE0EEENS1_30default_config_static_selectorELNS0_4arch9wavefront6targetE0EEEvSY_.uses_flat_scratch, 0
	.set _ZN7rocprim17ROCPRIM_400000_NS6detail17trampoline_kernelINS0_13select_configILj256ELj13ELNS0_17block_load_methodE3ELS4_3ELS4_3ELNS0_20block_scan_algorithmE0ELj4294967295EEENS1_25partition_config_selectorILNS1_17partition_subalgoE3EjNS0_10empty_typeEbEEZZNS1_14partition_implILS8_3ELb0ES6_jNS0_17counting_iteratorIjlEEPS9_SE_NS0_5tupleIJPjSE_EEENSF_IJSE_SE_EEES9_SG_JZNS1_25segmented_radix_sort_implINS0_14default_configELb0EPKdPdPKlPlN2at6native12_GLOBAL__N_18offset_tEEE10hipError_tPvRmT1_PNSt15iterator_traitsISY_E10value_typeET2_T3_PNSZ_IS14_E10value_typeET4_jRbjT5_S1A_jjP12ihipStream_tbEUljE_EEESV_SW_SX_S14_S18_S1A_T6_T7_T9_mT8_S1C_bDpT10_ENKUlT_T0_E_clISt17integral_constantIbLb1EES1O_IbLb0EEEEDaS1K_S1L_EUlS1K_E_NS1_11comp_targetILNS1_3genE10ELNS1_11target_archE1200ELNS1_3gpuE4ELNS1_3repE0EEENS1_30default_config_static_selectorELNS0_4arch9wavefront6targetE0EEEvSY_.has_dyn_sized_stack, 0
	.set _ZN7rocprim17ROCPRIM_400000_NS6detail17trampoline_kernelINS0_13select_configILj256ELj13ELNS0_17block_load_methodE3ELS4_3ELS4_3ELNS0_20block_scan_algorithmE0ELj4294967295EEENS1_25partition_config_selectorILNS1_17partition_subalgoE3EjNS0_10empty_typeEbEEZZNS1_14partition_implILS8_3ELb0ES6_jNS0_17counting_iteratorIjlEEPS9_SE_NS0_5tupleIJPjSE_EEENSF_IJSE_SE_EEES9_SG_JZNS1_25segmented_radix_sort_implINS0_14default_configELb0EPKdPdPKlPlN2at6native12_GLOBAL__N_18offset_tEEE10hipError_tPvRmT1_PNSt15iterator_traitsISY_E10value_typeET2_T3_PNSZ_IS14_E10value_typeET4_jRbjT5_S1A_jjP12ihipStream_tbEUljE_EEESV_SW_SX_S14_S18_S1A_T6_T7_T9_mT8_S1C_bDpT10_ENKUlT_T0_E_clISt17integral_constantIbLb1EES1O_IbLb0EEEEDaS1K_S1L_EUlS1K_E_NS1_11comp_targetILNS1_3genE10ELNS1_11target_archE1200ELNS1_3gpuE4ELNS1_3repE0EEENS1_30default_config_static_selectorELNS0_4arch9wavefront6targetE0EEEvSY_.has_recursion, 0
	.set _ZN7rocprim17ROCPRIM_400000_NS6detail17trampoline_kernelINS0_13select_configILj256ELj13ELNS0_17block_load_methodE3ELS4_3ELS4_3ELNS0_20block_scan_algorithmE0ELj4294967295EEENS1_25partition_config_selectorILNS1_17partition_subalgoE3EjNS0_10empty_typeEbEEZZNS1_14partition_implILS8_3ELb0ES6_jNS0_17counting_iteratorIjlEEPS9_SE_NS0_5tupleIJPjSE_EEENSF_IJSE_SE_EEES9_SG_JZNS1_25segmented_radix_sort_implINS0_14default_configELb0EPKdPdPKlPlN2at6native12_GLOBAL__N_18offset_tEEE10hipError_tPvRmT1_PNSt15iterator_traitsISY_E10value_typeET2_T3_PNSZ_IS14_E10value_typeET4_jRbjT5_S1A_jjP12ihipStream_tbEUljE_EEESV_SW_SX_S14_S18_S1A_T6_T7_T9_mT8_S1C_bDpT10_ENKUlT_T0_E_clISt17integral_constantIbLb1EES1O_IbLb0EEEEDaS1K_S1L_EUlS1K_E_NS1_11comp_targetILNS1_3genE10ELNS1_11target_archE1200ELNS1_3gpuE4ELNS1_3repE0EEENS1_30default_config_static_selectorELNS0_4arch9wavefront6targetE0EEEvSY_.has_indirect_call, 0
	.section	.AMDGPU.csdata,"",@progbits
; Kernel info:
; codeLenInByte = 4
; TotalNumSgprs: 0
; NumVgprs: 0
; ScratchSize: 0
; MemoryBound: 0
; FloatMode: 240
; IeeeMode: 1
; LDSByteSize: 0 bytes/workgroup (compile time only)
; SGPRBlocks: 0
; VGPRBlocks: 0
; NumSGPRsForWavesPerEU: 1
; NumVGPRsForWavesPerEU: 1
; Occupancy: 16
; WaveLimiterHint : 0
; COMPUTE_PGM_RSRC2:SCRATCH_EN: 0
; COMPUTE_PGM_RSRC2:USER_SGPR: 2
; COMPUTE_PGM_RSRC2:TRAP_HANDLER: 0
; COMPUTE_PGM_RSRC2:TGID_X_EN: 1
; COMPUTE_PGM_RSRC2:TGID_Y_EN: 0
; COMPUTE_PGM_RSRC2:TGID_Z_EN: 0
; COMPUTE_PGM_RSRC2:TIDIG_COMP_CNT: 0
	.section	.text._ZN7rocprim17ROCPRIM_400000_NS6detail17trampoline_kernelINS0_13select_configILj256ELj13ELNS0_17block_load_methodE3ELS4_3ELS4_3ELNS0_20block_scan_algorithmE0ELj4294967295EEENS1_25partition_config_selectorILNS1_17partition_subalgoE3EjNS0_10empty_typeEbEEZZNS1_14partition_implILS8_3ELb0ES6_jNS0_17counting_iteratorIjlEEPS9_SE_NS0_5tupleIJPjSE_EEENSF_IJSE_SE_EEES9_SG_JZNS1_25segmented_radix_sort_implINS0_14default_configELb0EPKdPdPKlPlN2at6native12_GLOBAL__N_18offset_tEEE10hipError_tPvRmT1_PNSt15iterator_traitsISY_E10value_typeET2_T3_PNSZ_IS14_E10value_typeET4_jRbjT5_S1A_jjP12ihipStream_tbEUljE_EEESV_SW_SX_S14_S18_S1A_T6_T7_T9_mT8_S1C_bDpT10_ENKUlT_T0_E_clISt17integral_constantIbLb1EES1O_IbLb0EEEEDaS1K_S1L_EUlS1K_E_NS1_11comp_targetILNS1_3genE9ELNS1_11target_archE1100ELNS1_3gpuE3ELNS1_3repE0EEENS1_30default_config_static_selectorELNS0_4arch9wavefront6targetE0EEEvSY_,"axG",@progbits,_ZN7rocprim17ROCPRIM_400000_NS6detail17trampoline_kernelINS0_13select_configILj256ELj13ELNS0_17block_load_methodE3ELS4_3ELS4_3ELNS0_20block_scan_algorithmE0ELj4294967295EEENS1_25partition_config_selectorILNS1_17partition_subalgoE3EjNS0_10empty_typeEbEEZZNS1_14partition_implILS8_3ELb0ES6_jNS0_17counting_iteratorIjlEEPS9_SE_NS0_5tupleIJPjSE_EEENSF_IJSE_SE_EEES9_SG_JZNS1_25segmented_radix_sort_implINS0_14default_configELb0EPKdPdPKlPlN2at6native12_GLOBAL__N_18offset_tEEE10hipError_tPvRmT1_PNSt15iterator_traitsISY_E10value_typeET2_T3_PNSZ_IS14_E10value_typeET4_jRbjT5_S1A_jjP12ihipStream_tbEUljE_EEESV_SW_SX_S14_S18_S1A_T6_T7_T9_mT8_S1C_bDpT10_ENKUlT_T0_E_clISt17integral_constantIbLb1EES1O_IbLb0EEEEDaS1K_S1L_EUlS1K_E_NS1_11comp_targetILNS1_3genE9ELNS1_11target_archE1100ELNS1_3gpuE3ELNS1_3repE0EEENS1_30default_config_static_selectorELNS0_4arch9wavefront6targetE0EEEvSY_,comdat
	.globl	_ZN7rocprim17ROCPRIM_400000_NS6detail17trampoline_kernelINS0_13select_configILj256ELj13ELNS0_17block_load_methodE3ELS4_3ELS4_3ELNS0_20block_scan_algorithmE0ELj4294967295EEENS1_25partition_config_selectorILNS1_17partition_subalgoE3EjNS0_10empty_typeEbEEZZNS1_14partition_implILS8_3ELb0ES6_jNS0_17counting_iteratorIjlEEPS9_SE_NS0_5tupleIJPjSE_EEENSF_IJSE_SE_EEES9_SG_JZNS1_25segmented_radix_sort_implINS0_14default_configELb0EPKdPdPKlPlN2at6native12_GLOBAL__N_18offset_tEEE10hipError_tPvRmT1_PNSt15iterator_traitsISY_E10value_typeET2_T3_PNSZ_IS14_E10value_typeET4_jRbjT5_S1A_jjP12ihipStream_tbEUljE_EEESV_SW_SX_S14_S18_S1A_T6_T7_T9_mT8_S1C_bDpT10_ENKUlT_T0_E_clISt17integral_constantIbLb1EES1O_IbLb0EEEEDaS1K_S1L_EUlS1K_E_NS1_11comp_targetILNS1_3genE9ELNS1_11target_archE1100ELNS1_3gpuE3ELNS1_3repE0EEENS1_30default_config_static_selectorELNS0_4arch9wavefront6targetE0EEEvSY_ ; -- Begin function _ZN7rocprim17ROCPRIM_400000_NS6detail17trampoline_kernelINS0_13select_configILj256ELj13ELNS0_17block_load_methodE3ELS4_3ELS4_3ELNS0_20block_scan_algorithmE0ELj4294967295EEENS1_25partition_config_selectorILNS1_17partition_subalgoE3EjNS0_10empty_typeEbEEZZNS1_14partition_implILS8_3ELb0ES6_jNS0_17counting_iteratorIjlEEPS9_SE_NS0_5tupleIJPjSE_EEENSF_IJSE_SE_EEES9_SG_JZNS1_25segmented_radix_sort_implINS0_14default_configELb0EPKdPdPKlPlN2at6native12_GLOBAL__N_18offset_tEEE10hipError_tPvRmT1_PNSt15iterator_traitsISY_E10value_typeET2_T3_PNSZ_IS14_E10value_typeET4_jRbjT5_S1A_jjP12ihipStream_tbEUljE_EEESV_SW_SX_S14_S18_S1A_T6_T7_T9_mT8_S1C_bDpT10_ENKUlT_T0_E_clISt17integral_constantIbLb1EES1O_IbLb0EEEEDaS1K_S1L_EUlS1K_E_NS1_11comp_targetILNS1_3genE9ELNS1_11target_archE1100ELNS1_3gpuE3ELNS1_3repE0EEENS1_30default_config_static_selectorELNS0_4arch9wavefront6targetE0EEEvSY_
	.p2align	8
	.type	_ZN7rocprim17ROCPRIM_400000_NS6detail17trampoline_kernelINS0_13select_configILj256ELj13ELNS0_17block_load_methodE3ELS4_3ELS4_3ELNS0_20block_scan_algorithmE0ELj4294967295EEENS1_25partition_config_selectorILNS1_17partition_subalgoE3EjNS0_10empty_typeEbEEZZNS1_14partition_implILS8_3ELb0ES6_jNS0_17counting_iteratorIjlEEPS9_SE_NS0_5tupleIJPjSE_EEENSF_IJSE_SE_EEES9_SG_JZNS1_25segmented_radix_sort_implINS0_14default_configELb0EPKdPdPKlPlN2at6native12_GLOBAL__N_18offset_tEEE10hipError_tPvRmT1_PNSt15iterator_traitsISY_E10value_typeET2_T3_PNSZ_IS14_E10value_typeET4_jRbjT5_S1A_jjP12ihipStream_tbEUljE_EEESV_SW_SX_S14_S18_S1A_T6_T7_T9_mT8_S1C_bDpT10_ENKUlT_T0_E_clISt17integral_constantIbLb1EES1O_IbLb0EEEEDaS1K_S1L_EUlS1K_E_NS1_11comp_targetILNS1_3genE9ELNS1_11target_archE1100ELNS1_3gpuE3ELNS1_3repE0EEENS1_30default_config_static_selectorELNS0_4arch9wavefront6targetE0EEEvSY_,@function
_ZN7rocprim17ROCPRIM_400000_NS6detail17trampoline_kernelINS0_13select_configILj256ELj13ELNS0_17block_load_methodE3ELS4_3ELS4_3ELNS0_20block_scan_algorithmE0ELj4294967295EEENS1_25partition_config_selectorILNS1_17partition_subalgoE3EjNS0_10empty_typeEbEEZZNS1_14partition_implILS8_3ELb0ES6_jNS0_17counting_iteratorIjlEEPS9_SE_NS0_5tupleIJPjSE_EEENSF_IJSE_SE_EEES9_SG_JZNS1_25segmented_radix_sort_implINS0_14default_configELb0EPKdPdPKlPlN2at6native12_GLOBAL__N_18offset_tEEE10hipError_tPvRmT1_PNSt15iterator_traitsISY_E10value_typeET2_T3_PNSZ_IS14_E10value_typeET4_jRbjT5_S1A_jjP12ihipStream_tbEUljE_EEESV_SW_SX_S14_S18_S1A_T6_T7_T9_mT8_S1C_bDpT10_ENKUlT_T0_E_clISt17integral_constantIbLb1EES1O_IbLb0EEEEDaS1K_S1L_EUlS1K_E_NS1_11comp_targetILNS1_3genE9ELNS1_11target_archE1100ELNS1_3gpuE3ELNS1_3repE0EEENS1_30default_config_static_selectorELNS0_4arch9wavefront6targetE0EEEvSY_: ; @_ZN7rocprim17ROCPRIM_400000_NS6detail17trampoline_kernelINS0_13select_configILj256ELj13ELNS0_17block_load_methodE3ELS4_3ELS4_3ELNS0_20block_scan_algorithmE0ELj4294967295EEENS1_25partition_config_selectorILNS1_17partition_subalgoE3EjNS0_10empty_typeEbEEZZNS1_14partition_implILS8_3ELb0ES6_jNS0_17counting_iteratorIjlEEPS9_SE_NS0_5tupleIJPjSE_EEENSF_IJSE_SE_EEES9_SG_JZNS1_25segmented_radix_sort_implINS0_14default_configELb0EPKdPdPKlPlN2at6native12_GLOBAL__N_18offset_tEEE10hipError_tPvRmT1_PNSt15iterator_traitsISY_E10value_typeET2_T3_PNSZ_IS14_E10value_typeET4_jRbjT5_S1A_jjP12ihipStream_tbEUljE_EEESV_SW_SX_S14_S18_S1A_T6_T7_T9_mT8_S1C_bDpT10_ENKUlT_T0_E_clISt17integral_constantIbLb1EES1O_IbLb0EEEEDaS1K_S1L_EUlS1K_E_NS1_11comp_targetILNS1_3genE9ELNS1_11target_archE1100ELNS1_3gpuE3ELNS1_3repE0EEENS1_30default_config_static_selectorELNS0_4arch9wavefront6targetE0EEEvSY_
; %bb.0:
	.section	.rodata,"a",@progbits
	.p2align	6, 0x0
	.amdhsa_kernel _ZN7rocprim17ROCPRIM_400000_NS6detail17trampoline_kernelINS0_13select_configILj256ELj13ELNS0_17block_load_methodE3ELS4_3ELS4_3ELNS0_20block_scan_algorithmE0ELj4294967295EEENS1_25partition_config_selectorILNS1_17partition_subalgoE3EjNS0_10empty_typeEbEEZZNS1_14partition_implILS8_3ELb0ES6_jNS0_17counting_iteratorIjlEEPS9_SE_NS0_5tupleIJPjSE_EEENSF_IJSE_SE_EEES9_SG_JZNS1_25segmented_radix_sort_implINS0_14default_configELb0EPKdPdPKlPlN2at6native12_GLOBAL__N_18offset_tEEE10hipError_tPvRmT1_PNSt15iterator_traitsISY_E10value_typeET2_T3_PNSZ_IS14_E10value_typeET4_jRbjT5_S1A_jjP12ihipStream_tbEUljE_EEESV_SW_SX_S14_S18_S1A_T6_T7_T9_mT8_S1C_bDpT10_ENKUlT_T0_E_clISt17integral_constantIbLb1EES1O_IbLb0EEEEDaS1K_S1L_EUlS1K_E_NS1_11comp_targetILNS1_3genE9ELNS1_11target_archE1100ELNS1_3gpuE3ELNS1_3repE0EEENS1_30default_config_static_selectorELNS0_4arch9wavefront6targetE0EEEvSY_
		.amdhsa_group_segment_fixed_size 0
		.amdhsa_private_segment_fixed_size 0
		.amdhsa_kernarg_size 144
		.amdhsa_user_sgpr_count 2
		.amdhsa_user_sgpr_dispatch_ptr 0
		.amdhsa_user_sgpr_queue_ptr 0
		.amdhsa_user_sgpr_kernarg_segment_ptr 1
		.amdhsa_user_sgpr_dispatch_id 0
		.amdhsa_user_sgpr_private_segment_size 0
		.amdhsa_wavefront_size32 1
		.amdhsa_uses_dynamic_stack 0
		.amdhsa_enable_private_segment 0
		.amdhsa_system_sgpr_workgroup_id_x 1
		.amdhsa_system_sgpr_workgroup_id_y 0
		.amdhsa_system_sgpr_workgroup_id_z 0
		.amdhsa_system_sgpr_workgroup_info 0
		.amdhsa_system_vgpr_workitem_id 0
		.amdhsa_next_free_vgpr 1
		.amdhsa_next_free_sgpr 1
		.amdhsa_reserve_vcc 0
		.amdhsa_float_round_mode_32 0
		.amdhsa_float_round_mode_16_64 0
		.amdhsa_float_denorm_mode_32 3
		.amdhsa_float_denorm_mode_16_64 3
		.amdhsa_fp16_overflow 0
		.amdhsa_workgroup_processor_mode 1
		.amdhsa_memory_ordered 1
		.amdhsa_forward_progress 1
		.amdhsa_inst_pref_size 0
		.amdhsa_round_robin_scheduling 0
		.amdhsa_exception_fp_ieee_invalid_op 0
		.amdhsa_exception_fp_denorm_src 0
		.amdhsa_exception_fp_ieee_div_zero 0
		.amdhsa_exception_fp_ieee_overflow 0
		.amdhsa_exception_fp_ieee_underflow 0
		.amdhsa_exception_fp_ieee_inexact 0
		.amdhsa_exception_int_div_zero 0
	.end_amdhsa_kernel
	.section	.text._ZN7rocprim17ROCPRIM_400000_NS6detail17trampoline_kernelINS0_13select_configILj256ELj13ELNS0_17block_load_methodE3ELS4_3ELS4_3ELNS0_20block_scan_algorithmE0ELj4294967295EEENS1_25partition_config_selectorILNS1_17partition_subalgoE3EjNS0_10empty_typeEbEEZZNS1_14partition_implILS8_3ELb0ES6_jNS0_17counting_iteratorIjlEEPS9_SE_NS0_5tupleIJPjSE_EEENSF_IJSE_SE_EEES9_SG_JZNS1_25segmented_radix_sort_implINS0_14default_configELb0EPKdPdPKlPlN2at6native12_GLOBAL__N_18offset_tEEE10hipError_tPvRmT1_PNSt15iterator_traitsISY_E10value_typeET2_T3_PNSZ_IS14_E10value_typeET4_jRbjT5_S1A_jjP12ihipStream_tbEUljE_EEESV_SW_SX_S14_S18_S1A_T6_T7_T9_mT8_S1C_bDpT10_ENKUlT_T0_E_clISt17integral_constantIbLb1EES1O_IbLb0EEEEDaS1K_S1L_EUlS1K_E_NS1_11comp_targetILNS1_3genE9ELNS1_11target_archE1100ELNS1_3gpuE3ELNS1_3repE0EEENS1_30default_config_static_selectorELNS0_4arch9wavefront6targetE0EEEvSY_,"axG",@progbits,_ZN7rocprim17ROCPRIM_400000_NS6detail17trampoline_kernelINS0_13select_configILj256ELj13ELNS0_17block_load_methodE3ELS4_3ELS4_3ELNS0_20block_scan_algorithmE0ELj4294967295EEENS1_25partition_config_selectorILNS1_17partition_subalgoE3EjNS0_10empty_typeEbEEZZNS1_14partition_implILS8_3ELb0ES6_jNS0_17counting_iteratorIjlEEPS9_SE_NS0_5tupleIJPjSE_EEENSF_IJSE_SE_EEES9_SG_JZNS1_25segmented_radix_sort_implINS0_14default_configELb0EPKdPdPKlPlN2at6native12_GLOBAL__N_18offset_tEEE10hipError_tPvRmT1_PNSt15iterator_traitsISY_E10value_typeET2_T3_PNSZ_IS14_E10value_typeET4_jRbjT5_S1A_jjP12ihipStream_tbEUljE_EEESV_SW_SX_S14_S18_S1A_T6_T7_T9_mT8_S1C_bDpT10_ENKUlT_T0_E_clISt17integral_constantIbLb1EES1O_IbLb0EEEEDaS1K_S1L_EUlS1K_E_NS1_11comp_targetILNS1_3genE9ELNS1_11target_archE1100ELNS1_3gpuE3ELNS1_3repE0EEENS1_30default_config_static_selectorELNS0_4arch9wavefront6targetE0EEEvSY_,comdat
.Lfunc_end1211:
	.size	_ZN7rocprim17ROCPRIM_400000_NS6detail17trampoline_kernelINS0_13select_configILj256ELj13ELNS0_17block_load_methodE3ELS4_3ELS4_3ELNS0_20block_scan_algorithmE0ELj4294967295EEENS1_25partition_config_selectorILNS1_17partition_subalgoE3EjNS0_10empty_typeEbEEZZNS1_14partition_implILS8_3ELb0ES6_jNS0_17counting_iteratorIjlEEPS9_SE_NS0_5tupleIJPjSE_EEENSF_IJSE_SE_EEES9_SG_JZNS1_25segmented_radix_sort_implINS0_14default_configELb0EPKdPdPKlPlN2at6native12_GLOBAL__N_18offset_tEEE10hipError_tPvRmT1_PNSt15iterator_traitsISY_E10value_typeET2_T3_PNSZ_IS14_E10value_typeET4_jRbjT5_S1A_jjP12ihipStream_tbEUljE_EEESV_SW_SX_S14_S18_S1A_T6_T7_T9_mT8_S1C_bDpT10_ENKUlT_T0_E_clISt17integral_constantIbLb1EES1O_IbLb0EEEEDaS1K_S1L_EUlS1K_E_NS1_11comp_targetILNS1_3genE9ELNS1_11target_archE1100ELNS1_3gpuE3ELNS1_3repE0EEENS1_30default_config_static_selectorELNS0_4arch9wavefront6targetE0EEEvSY_, .Lfunc_end1211-_ZN7rocprim17ROCPRIM_400000_NS6detail17trampoline_kernelINS0_13select_configILj256ELj13ELNS0_17block_load_methodE3ELS4_3ELS4_3ELNS0_20block_scan_algorithmE0ELj4294967295EEENS1_25partition_config_selectorILNS1_17partition_subalgoE3EjNS0_10empty_typeEbEEZZNS1_14partition_implILS8_3ELb0ES6_jNS0_17counting_iteratorIjlEEPS9_SE_NS0_5tupleIJPjSE_EEENSF_IJSE_SE_EEES9_SG_JZNS1_25segmented_radix_sort_implINS0_14default_configELb0EPKdPdPKlPlN2at6native12_GLOBAL__N_18offset_tEEE10hipError_tPvRmT1_PNSt15iterator_traitsISY_E10value_typeET2_T3_PNSZ_IS14_E10value_typeET4_jRbjT5_S1A_jjP12ihipStream_tbEUljE_EEESV_SW_SX_S14_S18_S1A_T6_T7_T9_mT8_S1C_bDpT10_ENKUlT_T0_E_clISt17integral_constantIbLb1EES1O_IbLb0EEEEDaS1K_S1L_EUlS1K_E_NS1_11comp_targetILNS1_3genE9ELNS1_11target_archE1100ELNS1_3gpuE3ELNS1_3repE0EEENS1_30default_config_static_selectorELNS0_4arch9wavefront6targetE0EEEvSY_
                                        ; -- End function
	.set _ZN7rocprim17ROCPRIM_400000_NS6detail17trampoline_kernelINS0_13select_configILj256ELj13ELNS0_17block_load_methodE3ELS4_3ELS4_3ELNS0_20block_scan_algorithmE0ELj4294967295EEENS1_25partition_config_selectorILNS1_17partition_subalgoE3EjNS0_10empty_typeEbEEZZNS1_14partition_implILS8_3ELb0ES6_jNS0_17counting_iteratorIjlEEPS9_SE_NS0_5tupleIJPjSE_EEENSF_IJSE_SE_EEES9_SG_JZNS1_25segmented_radix_sort_implINS0_14default_configELb0EPKdPdPKlPlN2at6native12_GLOBAL__N_18offset_tEEE10hipError_tPvRmT1_PNSt15iterator_traitsISY_E10value_typeET2_T3_PNSZ_IS14_E10value_typeET4_jRbjT5_S1A_jjP12ihipStream_tbEUljE_EEESV_SW_SX_S14_S18_S1A_T6_T7_T9_mT8_S1C_bDpT10_ENKUlT_T0_E_clISt17integral_constantIbLb1EES1O_IbLb0EEEEDaS1K_S1L_EUlS1K_E_NS1_11comp_targetILNS1_3genE9ELNS1_11target_archE1100ELNS1_3gpuE3ELNS1_3repE0EEENS1_30default_config_static_selectorELNS0_4arch9wavefront6targetE0EEEvSY_.num_vgpr, 0
	.set _ZN7rocprim17ROCPRIM_400000_NS6detail17trampoline_kernelINS0_13select_configILj256ELj13ELNS0_17block_load_methodE3ELS4_3ELS4_3ELNS0_20block_scan_algorithmE0ELj4294967295EEENS1_25partition_config_selectorILNS1_17partition_subalgoE3EjNS0_10empty_typeEbEEZZNS1_14partition_implILS8_3ELb0ES6_jNS0_17counting_iteratorIjlEEPS9_SE_NS0_5tupleIJPjSE_EEENSF_IJSE_SE_EEES9_SG_JZNS1_25segmented_radix_sort_implINS0_14default_configELb0EPKdPdPKlPlN2at6native12_GLOBAL__N_18offset_tEEE10hipError_tPvRmT1_PNSt15iterator_traitsISY_E10value_typeET2_T3_PNSZ_IS14_E10value_typeET4_jRbjT5_S1A_jjP12ihipStream_tbEUljE_EEESV_SW_SX_S14_S18_S1A_T6_T7_T9_mT8_S1C_bDpT10_ENKUlT_T0_E_clISt17integral_constantIbLb1EES1O_IbLb0EEEEDaS1K_S1L_EUlS1K_E_NS1_11comp_targetILNS1_3genE9ELNS1_11target_archE1100ELNS1_3gpuE3ELNS1_3repE0EEENS1_30default_config_static_selectorELNS0_4arch9wavefront6targetE0EEEvSY_.num_agpr, 0
	.set _ZN7rocprim17ROCPRIM_400000_NS6detail17trampoline_kernelINS0_13select_configILj256ELj13ELNS0_17block_load_methodE3ELS4_3ELS4_3ELNS0_20block_scan_algorithmE0ELj4294967295EEENS1_25partition_config_selectorILNS1_17partition_subalgoE3EjNS0_10empty_typeEbEEZZNS1_14partition_implILS8_3ELb0ES6_jNS0_17counting_iteratorIjlEEPS9_SE_NS0_5tupleIJPjSE_EEENSF_IJSE_SE_EEES9_SG_JZNS1_25segmented_radix_sort_implINS0_14default_configELb0EPKdPdPKlPlN2at6native12_GLOBAL__N_18offset_tEEE10hipError_tPvRmT1_PNSt15iterator_traitsISY_E10value_typeET2_T3_PNSZ_IS14_E10value_typeET4_jRbjT5_S1A_jjP12ihipStream_tbEUljE_EEESV_SW_SX_S14_S18_S1A_T6_T7_T9_mT8_S1C_bDpT10_ENKUlT_T0_E_clISt17integral_constantIbLb1EES1O_IbLb0EEEEDaS1K_S1L_EUlS1K_E_NS1_11comp_targetILNS1_3genE9ELNS1_11target_archE1100ELNS1_3gpuE3ELNS1_3repE0EEENS1_30default_config_static_selectorELNS0_4arch9wavefront6targetE0EEEvSY_.numbered_sgpr, 0
	.set _ZN7rocprim17ROCPRIM_400000_NS6detail17trampoline_kernelINS0_13select_configILj256ELj13ELNS0_17block_load_methodE3ELS4_3ELS4_3ELNS0_20block_scan_algorithmE0ELj4294967295EEENS1_25partition_config_selectorILNS1_17partition_subalgoE3EjNS0_10empty_typeEbEEZZNS1_14partition_implILS8_3ELb0ES6_jNS0_17counting_iteratorIjlEEPS9_SE_NS0_5tupleIJPjSE_EEENSF_IJSE_SE_EEES9_SG_JZNS1_25segmented_radix_sort_implINS0_14default_configELb0EPKdPdPKlPlN2at6native12_GLOBAL__N_18offset_tEEE10hipError_tPvRmT1_PNSt15iterator_traitsISY_E10value_typeET2_T3_PNSZ_IS14_E10value_typeET4_jRbjT5_S1A_jjP12ihipStream_tbEUljE_EEESV_SW_SX_S14_S18_S1A_T6_T7_T9_mT8_S1C_bDpT10_ENKUlT_T0_E_clISt17integral_constantIbLb1EES1O_IbLb0EEEEDaS1K_S1L_EUlS1K_E_NS1_11comp_targetILNS1_3genE9ELNS1_11target_archE1100ELNS1_3gpuE3ELNS1_3repE0EEENS1_30default_config_static_selectorELNS0_4arch9wavefront6targetE0EEEvSY_.num_named_barrier, 0
	.set _ZN7rocprim17ROCPRIM_400000_NS6detail17trampoline_kernelINS0_13select_configILj256ELj13ELNS0_17block_load_methodE3ELS4_3ELS4_3ELNS0_20block_scan_algorithmE0ELj4294967295EEENS1_25partition_config_selectorILNS1_17partition_subalgoE3EjNS0_10empty_typeEbEEZZNS1_14partition_implILS8_3ELb0ES6_jNS0_17counting_iteratorIjlEEPS9_SE_NS0_5tupleIJPjSE_EEENSF_IJSE_SE_EEES9_SG_JZNS1_25segmented_radix_sort_implINS0_14default_configELb0EPKdPdPKlPlN2at6native12_GLOBAL__N_18offset_tEEE10hipError_tPvRmT1_PNSt15iterator_traitsISY_E10value_typeET2_T3_PNSZ_IS14_E10value_typeET4_jRbjT5_S1A_jjP12ihipStream_tbEUljE_EEESV_SW_SX_S14_S18_S1A_T6_T7_T9_mT8_S1C_bDpT10_ENKUlT_T0_E_clISt17integral_constantIbLb1EES1O_IbLb0EEEEDaS1K_S1L_EUlS1K_E_NS1_11comp_targetILNS1_3genE9ELNS1_11target_archE1100ELNS1_3gpuE3ELNS1_3repE0EEENS1_30default_config_static_selectorELNS0_4arch9wavefront6targetE0EEEvSY_.private_seg_size, 0
	.set _ZN7rocprim17ROCPRIM_400000_NS6detail17trampoline_kernelINS0_13select_configILj256ELj13ELNS0_17block_load_methodE3ELS4_3ELS4_3ELNS0_20block_scan_algorithmE0ELj4294967295EEENS1_25partition_config_selectorILNS1_17partition_subalgoE3EjNS0_10empty_typeEbEEZZNS1_14partition_implILS8_3ELb0ES6_jNS0_17counting_iteratorIjlEEPS9_SE_NS0_5tupleIJPjSE_EEENSF_IJSE_SE_EEES9_SG_JZNS1_25segmented_radix_sort_implINS0_14default_configELb0EPKdPdPKlPlN2at6native12_GLOBAL__N_18offset_tEEE10hipError_tPvRmT1_PNSt15iterator_traitsISY_E10value_typeET2_T3_PNSZ_IS14_E10value_typeET4_jRbjT5_S1A_jjP12ihipStream_tbEUljE_EEESV_SW_SX_S14_S18_S1A_T6_T7_T9_mT8_S1C_bDpT10_ENKUlT_T0_E_clISt17integral_constantIbLb1EES1O_IbLb0EEEEDaS1K_S1L_EUlS1K_E_NS1_11comp_targetILNS1_3genE9ELNS1_11target_archE1100ELNS1_3gpuE3ELNS1_3repE0EEENS1_30default_config_static_selectorELNS0_4arch9wavefront6targetE0EEEvSY_.uses_vcc, 0
	.set _ZN7rocprim17ROCPRIM_400000_NS6detail17trampoline_kernelINS0_13select_configILj256ELj13ELNS0_17block_load_methodE3ELS4_3ELS4_3ELNS0_20block_scan_algorithmE0ELj4294967295EEENS1_25partition_config_selectorILNS1_17partition_subalgoE3EjNS0_10empty_typeEbEEZZNS1_14partition_implILS8_3ELb0ES6_jNS0_17counting_iteratorIjlEEPS9_SE_NS0_5tupleIJPjSE_EEENSF_IJSE_SE_EEES9_SG_JZNS1_25segmented_radix_sort_implINS0_14default_configELb0EPKdPdPKlPlN2at6native12_GLOBAL__N_18offset_tEEE10hipError_tPvRmT1_PNSt15iterator_traitsISY_E10value_typeET2_T3_PNSZ_IS14_E10value_typeET4_jRbjT5_S1A_jjP12ihipStream_tbEUljE_EEESV_SW_SX_S14_S18_S1A_T6_T7_T9_mT8_S1C_bDpT10_ENKUlT_T0_E_clISt17integral_constantIbLb1EES1O_IbLb0EEEEDaS1K_S1L_EUlS1K_E_NS1_11comp_targetILNS1_3genE9ELNS1_11target_archE1100ELNS1_3gpuE3ELNS1_3repE0EEENS1_30default_config_static_selectorELNS0_4arch9wavefront6targetE0EEEvSY_.uses_flat_scratch, 0
	.set _ZN7rocprim17ROCPRIM_400000_NS6detail17trampoline_kernelINS0_13select_configILj256ELj13ELNS0_17block_load_methodE3ELS4_3ELS4_3ELNS0_20block_scan_algorithmE0ELj4294967295EEENS1_25partition_config_selectorILNS1_17partition_subalgoE3EjNS0_10empty_typeEbEEZZNS1_14partition_implILS8_3ELb0ES6_jNS0_17counting_iteratorIjlEEPS9_SE_NS0_5tupleIJPjSE_EEENSF_IJSE_SE_EEES9_SG_JZNS1_25segmented_radix_sort_implINS0_14default_configELb0EPKdPdPKlPlN2at6native12_GLOBAL__N_18offset_tEEE10hipError_tPvRmT1_PNSt15iterator_traitsISY_E10value_typeET2_T3_PNSZ_IS14_E10value_typeET4_jRbjT5_S1A_jjP12ihipStream_tbEUljE_EEESV_SW_SX_S14_S18_S1A_T6_T7_T9_mT8_S1C_bDpT10_ENKUlT_T0_E_clISt17integral_constantIbLb1EES1O_IbLb0EEEEDaS1K_S1L_EUlS1K_E_NS1_11comp_targetILNS1_3genE9ELNS1_11target_archE1100ELNS1_3gpuE3ELNS1_3repE0EEENS1_30default_config_static_selectorELNS0_4arch9wavefront6targetE0EEEvSY_.has_dyn_sized_stack, 0
	.set _ZN7rocprim17ROCPRIM_400000_NS6detail17trampoline_kernelINS0_13select_configILj256ELj13ELNS0_17block_load_methodE3ELS4_3ELS4_3ELNS0_20block_scan_algorithmE0ELj4294967295EEENS1_25partition_config_selectorILNS1_17partition_subalgoE3EjNS0_10empty_typeEbEEZZNS1_14partition_implILS8_3ELb0ES6_jNS0_17counting_iteratorIjlEEPS9_SE_NS0_5tupleIJPjSE_EEENSF_IJSE_SE_EEES9_SG_JZNS1_25segmented_radix_sort_implINS0_14default_configELb0EPKdPdPKlPlN2at6native12_GLOBAL__N_18offset_tEEE10hipError_tPvRmT1_PNSt15iterator_traitsISY_E10value_typeET2_T3_PNSZ_IS14_E10value_typeET4_jRbjT5_S1A_jjP12ihipStream_tbEUljE_EEESV_SW_SX_S14_S18_S1A_T6_T7_T9_mT8_S1C_bDpT10_ENKUlT_T0_E_clISt17integral_constantIbLb1EES1O_IbLb0EEEEDaS1K_S1L_EUlS1K_E_NS1_11comp_targetILNS1_3genE9ELNS1_11target_archE1100ELNS1_3gpuE3ELNS1_3repE0EEENS1_30default_config_static_selectorELNS0_4arch9wavefront6targetE0EEEvSY_.has_recursion, 0
	.set _ZN7rocprim17ROCPRIM_400000_NS6detail17trampoline_kernelINS0_13select_configILj256ELj13ELNS0_17block_load_methodE3ELS4_3ELS4_3ELNS0_20block_scan_algorithmE0ELj4294967295EEENS1_25partition_config_selectorILNS1_17partition_subalgoE3EjNS0_10empty_typeEbEEZZNS1_14partition_implILS8_3ELb0ES6_jNS0_17counting_iteratorIjlEEPS9_SE_NS0_5tupleIJPjSE_EEENSF_IJSE_SE_EEES9_SG_JZNS1_25segmented_radix_sort_implINS0_14default_configELb0EPKdPdPKlPlN2at6native12_GLOBAL__N_18offset_tEEE10hipError_tPvRmT1_PNSt15iterator_traitsISY_E10value_typeET2_T3_PNSZ_IS14_E10value_typeET4_jRbjT5_S1A_jjP12ihipStream_tbEUljE_EEESV_SW_SX_S14_S18_S1A_T6_T7_T9_mT8_S1C_bDpT10_ENKUlT_T0_E_clISt17integral_constantIbLb1EES1O_IbLb0EEEEDaS1K_S1L_EUlS1K_E_NS1_11comp_targetILNS1_3genE9ELNS1_11target_archE1100ELNS1_3gpuE3ELNS1_3repE0EEENS1_30default_config_static_selectorELNS0_4arch9wavefront6targetE0EEEvSY_.has_indirect_call, 0
	.section	.AMDGPU.csdata,"",@progbits
; Kernel info:
; codeLenInByte = 0
; TotalNumSgprs: 0
; NumVgprs: 0
; ScratchSize: 0
; MemoryBound: 0
; FloatMode: 240
; IeeeMode: 1
; LDSByteSize: 0 bytes/workgroup (compile time only)
; SGPRBlocks: 0
; VGPRBlocks: 0
; NumSGPRsForWavesPerEU: 1
; NumVGPRsForWavesPerEU: 1
; Occupancy: 16
; WaveLimiterHint : 0
; COMPUTE_PGM_RSRC2:SCRATCH_EN: 0
; COMPUTE_PGM_RSRC2:USER_SGPR: 2
; COMPUTE_PGM_RSRC2:TRAP_HANDLER: 0
; COMPUTE_PGM_RSRC2:TGID_X_EN: 1
; COMPUTE_PGM_RSRC2:TGID_Y_EN: 0
; COMPUTE_PGM_RSRC2:TGID_Z_EN: 0
; COMPUTE_PGM_RSRC2:TIDIG_COMP_CNT: 0
	.section	.text._ZN7rocprim17ROCPRIM_400000_NS6detail17trampoline_kernelINS0_13select_configILj256ELj13ELNS0_17block_load_methodE3ELS4_3ELS4_3ELNS0_20block_scan_algorithmE0ELj4294967295EEENS1_25partition_config_selectorILNS1_17partition_subalgoE3EjNS0_10empty_typeEbEEZZNS1_14partition_implILS8_3ELb0ES6_jNS0_17counting_iteratorIjlEEPS9_SE_NS0_5tupleIJPjSE_EEENSF_IJSE_SE_EEES9_SG_JZNS1_25segmented_radix_sort_implINS0_14default_configELb0EPKdPdPKlPlN2at6native12_GLOBAL__N_18offset_tEEE10hipError_tPvRmT1_PNSt15iterator_traitsISY_E10value_typeET2_T3_PNSZ_IS14_E10value_typeET4_jRbjT5_S1A_jjP12ihipStream_tbEUljE_EEESV_SW_SX_S14_S18_S1A_T6_T7_T9_mT8_S1C_bDpT10_ENKUlT_T0_E_clISt17integral_constantIbLb1EES1O_IbLb0EEEEDaS1K_S1L_EUlS1K_E_NS1_11comp_targetILNS1_3genE8ELNS1_11target_archE1030ELNS1_3gpuE2ELNS1_3repE0EEENS1_30default_config_static_selectorELNS0_4arch9wavefront6targetE0EEEvSY_,"axG",@progbits,_ZN7rocprim17ROCPRIM_400000_NS6detail17trampoline_kernelINS0_13select_configILj256ELj13ELNS0_17block_load_methodE3ELS4_3ELS4_3ELNS0_20block_scan_algorithmE0ELj4294967295EEENS1_25partition_config_selectorILNS1_17partition_subalgoE3EjNS0_10empty_typeEbEEZZNS1_14partition_implILS8_3ELb0ES6_jNS0_17counting_iteratorIjlEEPS9_SE_NS0_5tupleIJPjSE_EEENSF_IJSE_SE_EEES9_SG_JZNS1_25segmented_radix_sort_implINS0_14default_configELb0EPKdPdPKlPlN2at6native12_GLOBAL__N_18offset_tEEE10hipError_tPvRmT1_PNSt15iterator_traitsISY_E10value_typeET2_T3_PNSZ_IS14_E10value_typeET4_jRbjT5_S1A_jjP12ihipStream_tbEUljE_EEESV_SW_SX_S14_S18_S1A_T6_T7_T9_mT8_S1C_bDpT10_ENKUlT_T0_E_clISt17integral_constantIbLb1EES1O_IbLb0EEEEDaS1K_S1L_EUlS1K_E_NS1_11comp_targetILNS1_3genE8ELNS1_11target_archE1030ELNS1_3gpuE2ELNS1_3repE0EEENS1_30default_config_static_selectorELNS0_4arch9wavefront6targetE0EEEvSY_,comdat
	.globl	_ZN7rocprim17ROCPRIM_400000_NS6detail17trampoline_kernelINS0_13select_configILj256ELj13ELNS0_17block_load_methodE3ELS4_3ELS4_3ELNS0_20block_scan_algorithmE0ELj4294967295EEENS1_25partition_config_selectorILNS1_17partition_subalgoE3EjNS0_10empty_typeEbEEZZNS1_14partition_implILS8_3ELb0ES6_jNS0_17counting_iteratorIjlEEPS9_SE_NS0_5tupleIJPjSE_EEENSF_IJSE_SE_EEES9_SG_JZNS1_25segmented_radix_sort_implINS0_14default_configELb0EPKdPdPKlPlN2at6native12_GLOBAL__N_18offset_tEEE10hipError_tPvRmT1_PNSt15iterator_traitsISY_E10value_typeET2_T3_PNSZ_IS14_E10value_typeET4_jRbjT5_S1A_jjP12ihipStream_tbEUljE_EEESV_SW_SX_S14_S18_S1A_T6_T7_T9_mT8_S1C_bDpT10_ENKUlT_T0_E_clISt17integral_constantIbLb1EES1O_IbLb0EEEEDaS1K_S1L_EUlS1K_E_NS1_11comp_targetILNS1_3genE8ELNS1_11target_archE1030ELNS1_3gpuE2ELNS1_3repE0EEENS1_30default_config_static_selectorELNS0_4arch9wavefront6targetE0EEEvSY_ ; -- Begin function _ZN7rocprim17ROCPRIM_400000_NS6detail17trampoline_kernelINS0_13select_configILj256ELj13ELNS0_17block_load_methodE3ELS4_3ELS4_3ELNS0_20block_scan_algorithmE0ELj4294967295EEENS1_25partition_config_selectorILNS1_17partition_subalgoE3EjNS0_10empty_typeEbEEZZNS1_14partition_implILS8_3ELb0ES6_jNS0_17counting_iteratorIjlEEPS9_SE_NS0_5tupleIJPjSE_EEENSF_IJSE_SE_EEES9_SG_JZNS1_25segmented_radix_sort_implINS0_14default_configELb0EPKdPdPKlPlN2at6native12_GLOBAL__N_18offset_tEEE10hipError_tPvRmT1_PNSt15iterator_traitsISY_E10value_typeET2_T3_PNSZ_IS14_E10value_typeET4_jRbjT5_S1A_jjP12ihipStream_tbEUljE_EEESV_SW_SX_S14_S18_S1A_T6_T7_T9_mT8_S1C_bDpT10_ENKUlT_T0_E_clISt17integral_constantIbLb1EES1O_IbLb0EEEEDaS1K_S1L_EUlS1K_E_NS1_11comp_targetILNS1_3genE8ELNS1_11target_archE1030ELNS1_3gpuE2ELNS1_3repE0EEENS1_30default_config_static_selectorELNS0_4arch9wavefront6targetE0EEEvSY_
	.p2align	8
	.type	_ZN7rocprim17ROCPRIM_400000_NS6detail17trampoline_kernelINS0_13select_configILj256ELj13ELNS0_17block_load_methodE3ELS4_3ELS4_3ELNS0_20block_scan_algorithmE0ELj4294967295EEENS1_25partition_config_selectorILNS1_17partition_subalgoE3EjNS0_10empty_typeEbEEZZNS1_14partition_implILS8_3ELb0ES6_jNS0_17counting_iteratorIjlEEPS9_SE_NS0_5tupleIJPjSE_EEENSF_IJSE_SE_EEES9_SG_JZNS1_25segmented_radix_sort_implINS0_14default_configELb0EPKdPdPKlPlN2at6native12_GLOBAL__N_18offset_tEEE10hipError_tPvRmT1_PNSt15iterator_traitsISY_E10value_typeET2_T3_PNSZ_IS14_E10value_typeET4_jRbjT5_S1A_jjP12ihipStream_tbEUljE_EEESV_SW_SX_S14_S18_S1A_T6_T7_T9_mT8_S1C_bDpT10_ENKUlT_T0_E_clISt17integral_constantIbLb1EES1O_IbLb0EEEEDaS1K_S1L_EUlS1K_E_NS1_11comp_targetILNS1_3genE8ELNS1_11target_archE1030ELNS1_3gpuE2ELNS1_3repE0EEENS1_30default_config_static_selectorELNS0_4arch9wavefront6targetE0EEEvSY_,@function
_ZN7rocprim17ROCPRIM_400000_NS6detail17trampoline_kernelINS0_13select_configILj256ELj13ELNS0_17block_load_methodE3ELS4_3ELS4_3ELNS0_20block_scan_algorithmE0ELj4294967295EEENS1_25partition_config_selectorILNS1_17partition_subalgoE3EjNS0_10empty_typeEbEEZZNS1_14partition_implILS8_3ELb0ES6_jNS0_17counting_iteratorIjlEEPS9_SE_NS0_5tupleIJPjSE_EEENSF_IJSE_SE_EEES9_SG_JZNS1_25segmented_radix_sort_implINS0_14default_configELb0EPKdPdPKlPlN2at6native12_GLOBAL__N_18offset_tEEE10hipError_tPvRmT1_PNSt15iterator_traitsISY_E10value_typeET2_T3_PNSZ_IS14_E10value_typeET4_jRbjT5_S1A_jjP12ihipStream_tbEUljE_EEESV_SW_SX_S14_S18_S1A_T6_T7_T9_mT8_S1C_bDpT10_ENKUlT_T0_E_clISt17integral_constantIbLb1EES1O_IbLb0EEEEDaS1K_S1L_EUlS1K_E_NS1_11comp_targetILNS1_3genE8ELNS1_11target_archE1030ELNS1_3gpuE2ELNS1_3repE0EEENS1_30default_config_static_selectorELNS0_4arch9wavefront6targetE0EEEvSY_: ; @_ZN7rocprim17ROCPRIM_400000_NS6detail17trampoline_kernelINS0_13select_configILj256ELj13ELNS0_17block_load_methodE3ELS4_3ELS4_3ELNS0_20block_scan_algorithmE0ELj4294967295EEENS1_25partition_config_selectorILNS1_17partition_subalgoE3EjNS0_10empty_typeEbEEZZNS1_14partition_implILS8_3ELb0ES6_jNS0_17counting_iteratorIjlEEPS9_SE_NS0_5tupleIJPjSE_EEENSF_IJSE_SE_EEES9_SG_JZNS1_25segmented_radix_sort_implINS0_14default_configELb0EPKdPdPKlPlN2at6native12_GLOBAL__N_18offset_tEEE10hipError_tPvRmT1_PNSt15iterator_traitsISY_E10value_typeET2_T3_PNSZ_IS14_E10value_typeET4_jRbjT5_S1A_jjP12ihipStream_tbEUljE_EEESV_SW_SX_S14_S18_S1A_T6_T7_T9_mT8_S1C_bDpT10_ENKUlT_T0_E_clISt17integral_constantIbLb1EES1O_IbLb0EEEEDaS1K_S1L_EUlS1K_E_NS1_11comp_targetILNS1_3genE8ELNS1_11target_archE1030ELNS1_3gpuE2ELNS1_3repE0EEENS1_30default_config_static_selectorELNS0_4arch9wavefront6targetE0EEEvSY_
; %bb.0:
	.section	.rodata,"a",@progbits
	.p2align	6, 0x0
	.amdhsa_kernel _ZN7rocprim17ROCPRIM_400000_NS6detail17trampoline_kernelINS0_13select_configILj256ELj13ELNS0_17block_load_methodE3ELS4_3ELS4_3ELNS0_20block_scan_algorithmE0ELj4294967295EEENS1_25partition_config_selectorILNS1_17partition_subalgoE3EjNS0_10empty_typeEbEEZZNS1_14partition_implILS8_3ELb0ES6_jNS0_17counting_iteratorIjlEEPS9_SE_NS0_5tupleIJPjSE_EEENSF_IJSE_SE_EEES9_SG_JZNS1_25segmented_radix_sort_implINS0_14default_configELb0EPKdPdPKlPlN2at6native12_GLOBAL__N_18offset_tEEE10hipError_tPvRmT1_PNSt15iterator_traitsISY_E10value_typeET2_T3_PNSZ_IS14_E10value_typeET4_jRbjT5_S1A_jjP12ihipStream_tbEUljE_EEESV_SW_SX_S14_S18_S1A_T6_T7_T9_mT8_S1C_bDpT10_ENKUlT_T0_E_clISt17integral_constantIbLb1EES1O_IbLb0EEEEDaS1K_S1L_EUlS1K_E_NS1_11comp_targetILNS1_3genE8ELNS1_11target_archE1030ELNS1_3gpuE2ELNS1_3repE0EEENS1_30default_config_static_selectorELNS0_4arch9wavefront6targetE0EEEvSY_
		.amdhsa_group_segment_fixed_size 0
		.amdhsa_private_segment_fixed_size 0
		.amdhsa_kernarg_size 144
		.amdhsa_user_sgpr_count 2
		.amdhsa_user_sgpr_dispatch_ptr 0
		.amdhsa_user_sgpr_queue_ptr 0
		.amdhsa_user_sgpr_kernarg_segment_ptr 1
		.amdhsa_user_sgpr_dispatch_id 0
		.amdhsa_user_sgpr_private_segment_size 0
		.amdhsa_wavefront_size32 1
		.amdhsa_uses_dynamic_stack 0
		.amdhsa_enable_private_segment 0
		.amdhsa_system_sgpr_workgroup_id_x 1
		.amdhsa_system_sgpr_workgroup_id_y 0
		.amdhsa_system_sgpr_workgroup_id_z 0
		.amdhsa_system_sgpr_workgroup_info 0
		.amdhsa_system_vgpr_workitem_id 0
		.amdhsa_next_free_vgpr 1
		.amdhsa_next_free_sgpr 1
		.amdhsa_reserve_vcc 0
		.amdhsa_float_round_mode_32 0
		.amdhsa_float_round_mode_16_64 0
		.amdhsa_float_denorm_mode_32 3
		.amdhsa_float_denorm_mode_16_64 3
		.amdhsa_fp16_overflow 0
		.amdhsa_workgroup_processor_mode 1
		.amdhsa_memory_ordered 1
		.amdhsa_forward_progress 1
		.amdhsa_inst_pref_size 0
		.amdhsa_round_robin_scheduling 0
		.amdhsa_exception_fp_ieee_invalid_op 0
		.amdhsa_exception_fp_denorm_src 0
		.amdhsa_exception_fp_ieee_div_zero 0
		.amdhsa_exception_fp_ieee_overflow 0
		.amdhsa_exception_fp_ieee_underflow 0
		.amdhsa_exception_fp_ieee_inexact 0
		.amdhsa_exception_int_div_zero 0
	.end_amdhsa_kernel
	.section	.text._ZN7rocprim17ROCPRIM_400000_NS6detail17trampoline_kernelINS0_13select_configILj256ELj13ELNS0_17block_load_methodE3ELS4_3ELS4_3ELNS0_20block_scan_algorithmE0ELj4294967295EEENS1_25partition_config_selectorILNS1_17partition_subalgoE3EjNS0_10empty_typeEbEEZZNS1_14partition_implILS8_3ELb0ES6_jNS0_17counting_iteratorIjlEEPS9_SE_NS0_5tupleIJPjSE_EEENSF_IJSE_SE_EEES9_SG_JZNS1_25segmented_radix_sort_implINS0_14default_configELb0EPKdPdPKlPlN2at6native12_GLOBAL__N_18offset_tEEE10hipError_tPvRmT1_PNSt15iterator_traitsISY_E10value_typeET2_T3_PNSZ_IS14_E10value_typeET4_jRbjT5_S1A_jjP12ihipStream_tbEUljE_EEESV_SW_SX_S14_S18_S1A_T6_T7_T9_mT8_S1C_bDpT10_ENKUlT_T0_E_clISt17integral_constantIbLb1EES1O_IbLb0EEEEDaS1K_S1L_EUlS1K_E_NS1_11comp_targetILNS1_3genE8ELNS1_11target_archE1030ELNS1_3gpuE2ELNS1_3repE0EEENS1_30default_config_static_selectorELNS0_4arch9wavefront6targetE0EEEvSY_,"axG",@progbits,_ZN7rocprim17ROCPRIM_400000_NS6detail17trampoline_kernelINS0_13select_configILj256ELj13ELNS0_17block_load_methodE3ELS4_3ELS4_3ELNS0_20block_scan_algorithmE0ELj4294967295EEENS1_25partition_config_selectorILNS1_17partition_subalgoE3EjNS0_10empty_typeEbEEZZNS1_14partition_implILS8_3ELb0ES6_jNS0_17counting_iteratorIjlEEPS9_SE_NS0_5tupleIJPjSE_EEENSF_IJSE_SE_EEES9_SG_JZNS1_25segmented_radix_sort_implINS0_14default_configELb0EPKdPdPKlPlN2at6native12_GLOBAL__N_18offset_tEEE10hipError_tPvRmT1_PNSt15iterator_traitsISY_E10value_typeET2_T3_PNSZ_IS14_E10value_typeET4_jRbjT5_S1A_jjP12ihipStream_tbEUljE_EEESV_SW_SX_S14_S18_S1A_T6_T7_T9_mT8_S1C_bDpT10_ENKUlT_T0_E_clISt17integral_constantIbLb1EES1O_IbLb0EEEEDaS1K_S1L_EUlS1K_E_NS1_11comp_targetILNS1_3genE8ELNS1_11target_archE1030ELNS1_3gpuE2ELNS1_3repE0EEENS1_30default_config_static_selectorELNS0_4arch9wavefront6targetE0EEEvSY_,comdat
.Lfunc_end1212:
	.size	_ZN7rocprim17ROCPRIM_400000_NS6detail17trampoline_kernelINS0_13select_configILj256ELj13ELNS0_17block_load_methodE3ELS4_3ELS4_3ELNS0_20block_scan_algorithmE0ELj4294967295EEENS1_25partition_config_selectorILNS1_17partition_subalgoE3EjNS0_10empty_typeEbEEZZNS1_14partition_implILS8_3ELb0ES6_jNS0_17counting_iteratorIjlEEPS9_SE_NS0_5tupleIJPjSE_EEENSF_IJSE_SE_EEES9_SG_JZNS1_25segmented_radix_sort_implINS0_14default_configELb0EPKdPdPKlPlN2at6native12_GLOBAL__N_18offset_tEEE10hipError_tPvRmT1_PNSt15iterator_traitsISY_E10value_typeET2_T3_PNSZ_IS14_E10value_typeET4_jRbjT5_S1A_jjP12ihipStream_tbEUljE_EEESV_SW_SX_S14_S18_S1A_T6_T7_T9_mT8_S1C_bDpT10_ENKUlT_T0_E_clISt17integral_constantIbLb1EES1O_IbLb0EEEEDaS1K_S1L_EUlS1K_E_NS1_11comp_targetILNS1_3genE8ELNS1_11target_archE1030ELNS1_3gpuE2ELNS1_3repE0EEENS1_30default_config_static_selectorELNS0_4arch9wavefront6targetE0EEEvSY_, .Lfunc_end1212-_ZN7rocprim17ROCPRIM_400000_NS6detail17trampoline_kernelINS0_13select_configILj256ELj13ELNS0_17block_load_methodE3ELS4_3ELS4_3ELNS0_20block_scan_algorithmE0ELj4294967295EEENS1_25partition_config_selectorILNS1_17partition_subalgoE3EjNS0_10empty_typeEbEEZZNS1_14partition_implILS8_3ELb0ES6_jNS0_17counting_iteratorIjlEEPS9_SE_NS0_5tupleIJPjSE_EEENSF_IJSE_SE_EEES9_SG_JZNS1_25segmented_radix_sort_implINS0_14default_configELb0EPKdPdPKlPlN2at6native12_GLOBAL__N_18offset_tEEE10hipError_tPvRmT1_PNSt15iterator_traitsISY_E10value_typeET2_T3_PNSZ_IS14_E10value_typeET4_jRbjT5_S1A_jjP12ihipStream_tbEUljE_EEESV_SW_SX_S14_S18_S1A_T6_T7_T9_mT8_S1C_bDpT10_ENKUlT_T0_E_clISt17integral_constantIbLb1EES1O_IbLb0EEEEDaS1K_S1L_EUlS1K_E_NS1_11comp_targetILNS1_3genE8ELNS1_11target_archE1030ELNS1_3gpuE2ELNS1_3repE0EEENS1_30default_config_static_selectorELNS0_4arch9wavefront6targetE0EEEvSY_
                                        ; -- End function
	.set _ZN7rocprim17ROCPRIM_400000_NS6detail17trampoline_kernelINS0_13select_configILj256ELj13ELNS0_17block_load_methodE3ELS4_3ELS4_3ELNS0_20block_scan_algorithmE0ELj4294967295EEENS1_25partition_config_selectorILNS1_17partition_subalgoE3EjNS0_10empty_typeEbEEZZNS1_14partition_implILS8_3ELb0ES6_jNS0_17counting_iteratorIjlEEPS9_SE_NS0_5tupleIJPjSE_EEENSF_IJSE_SE_EEES9_SG_JZNS1_25segmented_radix_sort_implINS0_14default_configELb0EPKdPdPKlPlN2at6native12_GLOBAL__N_18offset_tEEE10hipError_tPvRmT1_PNSt15iterator_traitsISY_E10value_typeET2_T3_PNSZ_IS14_E10value_typeET4_jRbjT5_S1A_jjP12ihipStream_tbEUljE_EEESV_SW_SX_S14_S18_S1A_T6_T7_T9_mT8_S1C_bDpT10_ENKUlT_T0_E_clISt17integral_constantIbLb1EES1O_IbLb0EEEEDaS1K_S1L_EUlS1K_E_NS1_11comp_targetILNS1_3genE8ELNS1_11target_archE1030ELNS1_3gpuE2ELNS1_3repE0EEENS1_30default_config_static_selectorELNS0_4arch9wavefront6targetE0EEEvSY_.num_vgpr, 0
	.set _ZN7rocprim17ROCPRIM_400000_NS6detail17trampoline_kernelINS0_13select_configILj256ELj13ELNS0_17block_load_methodE3ELS4_3ELS4_3ELNS0_20block_scan_algorithmE0ELj4294967295EEENS1_25partition_config_selectorILNS1_17partition_subalgoE3EjNS0_10empty_typeEbEEZZNS1_14partition_implILS8_3ELb0ES6_jNS0_17counting_iteratorIjlEEPS9_SE_NS0_5tupleIJPjSE_EEENSF_IJSE_SE_EEES9_SG_JZNS1_25segmented_radix_sort_implINS0_14default_configELb0EPKdPdPKlPlN2at6native12_GLOBAL__N_18offset_tEEE10hipError_tPvRmT1_PNSt15iterator_traitsISY_E10value_typeET2_T3_PNSZ_IS14_E10value_typeET4_jRbjT5_S1A_jjP12ihipStream_tbEUljE_EEESV_SW_SX_S14_S18_S1A_T6_T7_T9_mT8_S1C_bDpT10_ENKUlT_T0_E_clISt17integral_constantIbLb1EES1O_IbLb0EEEEDaS1K_S1L_EUlS1K_E_NS1_11comp_targetILNS1_3genE8ELNS1_11target_archE1030ELNS1_3gpuE2ELNS1_3repE0EEENS1_30default_config_static_selectorELNS0_4arch9wavefront6targetE0EEEvSY_.num_agpr, 0
	.set _ZN7rocprim17ROCPRIM_400000_NS6detail17trampoline_kernelINS0_13select_configILj256ELj13ELNS0_17block_load_methodE3ELS4_3ELS4_3ELNS0_20block_scan_algorithmE0ELj4294967295EEENS1_25partition_config_selectorILNS1_17partition_subalgoE3EjNS0_10empty_typeEbEEZZNS1_14partition_implILS8_3ELb0ES6_jNS0_17counting_iteratorIjlEEPS9_SE_NS0_5tupleIJPjSE_EEENSF_IJSE_SE_EEES9_SG_JZNS1_25segmented_radix_sort_implINS0_14default_configELb0EPKdPdPKlPlN2at6native12_GLOBAL__N_18offset_tEEE10hipError_tPvRmT1_PNSt15iterator_traitsISY_E10value_typeET2_T3_PNSZ_IS14_E10value_typeET4_jRbjT5_S1A_jjP12ihipStream_tbEUljE_EEESV_SW_SX_S14_S18_S1A_T6_T7_T9_mT8_S1C_bDpT10_ENKUlT_T0_E_clISt17integral_constantIbLb1EES1O_IbLb0EEEEDaS1K_S1L_EUlS1K_E_NS1_11comp_targetILNS1_3genE8ELNS1_11target_archE1030ELNS1_3gpuE2ELNS1_3repE0EEENS1_30default_config_static_selectorELNS0_4arch9wavefront6targetE0EEEvSY_.numbered_sgpr, 0
	.set _ZN7rocprim17ROCPRIM_400000_NS6detail17trampoline_kernelINS0_13select_configILj256ELj13ELNS0_17block_load_methodE3ELS4_3ELS4_3ELNS0_20block_scan_algorithmE0ELj4294967295EEENS1_25partition_config_selectorILNS1_17partition_subalgoE3EjNS0_10empty_typeEbEEZZNS1_14partition_implILS8_3ELb0ES6_jNS0_17counting_iteratorIjlEEPS9_SE_NS0_5tupleIJPjSE_EEENSF_IJSE_SE_EEES9_SG_JZNS1_25segmented_radix_sort_implINS0_14default_configELb0EPKdPdPKlPlN2at6native12_GLOBAL__N_18offset_tEEE10hipError_tPvRmT1_PNSt15iterator_traitsISY_E10value_typeET2_T3_PNSZ_IS14_E10value_typeET4_jRbjT5_S1A_jjP12ihipStream_tbEUljE_EEESV_SW_SX_S14_S18_S1A_T6_T7_T9_mT8_S1C_bDpT10_ENKUlT_T0_E_clISt17integral_constantIbLb1EES1O_IbLb0EEEEDaS1K_S1L_EUlS1K_E_NS1_11comp_targetILNS1_3genE8ELNS1_11target_archE1030ELNS1_3gpuE2ELNS1_3repE0EEENS1_30default_config_static_selectorELNS0_4arch9wavefront6targetE0EEEvSY_.num_named_barrier, 0
	.set _ZN7rocprim17ROCPRIM_400000_NS6detail17trampoline_kernelINS0_13select_configILj256ELj13ELNS0_17block_load_methodE3ELS4_3ELS4_3ELNS0_20block_scan_algorithmE0ELj4294967295EEENS1_25partition_config_selectorILNS1_17partition_subalgoE3EjNS0_10empty_typeEbEEZZNS1_14partition_implILS8_3ELb0ES6_jNS0_17counting_iteratorIjlEEPS9_SE_NS0_5tupleIJPjSE_EEENSF_IJSE_SE_EEES9_SG_JZNS1_25segmented_radix_sort_implINS0_14default_configELb0EPKdPdPKlPlN2at6native12_GLOBAL__N_18offset_tEEE10hipError_tPvRmT1_PNSt15iterator_traitsISY_E10value_typeET2_T3_PNSZ_IS14_E10value_typeET4_jRbjT5_S1A_jjP12ihipStream_tbEUljE_EEESV_SW_SX_S14_S18_S1A_T6_T7_T9_mT8_S1C_bDpT10_ENKUlT_T0_E_clISt17integral_constantIbLb1EES1O_IbLb0EEEEDaS1K_S1L_EUlS1K_E_NS1_11comp_targetILNS1_3genE8ELNS1_11target_archE1030ELNS1_3gpuE2ELNS1_3repE0EEENS1_30default_config_static_selectorELNS0_4arch9wavefront6targetE0EEEvSY_.private_seg_size, 0
	.set _ZN7rocprim17ROCPRIM_400000_NS6detail17trampoline_kernelINS0_13select_configILj256ELj13ELNS0_17block_load_methodE3ELS4_3ELS4_3ELNS0_20block_scan_algorithmE0ELj4294967295EEENS1_25partition_config_selectorILNS1_17partition_subalgoE3EjNS0_10empty_typeEbEEZZNS1_14partition_implILS8_3ELb0ES6_jNS0_17counting_iteratorIjlEEPS9_SE_NS0_5tupleIJPjSE_EEENSF_IJSE_SE_EEES9_SG_JZNS1_25segmented_radix_sort_implINS0_14default_configELb0EPKdPdPKlPlN2at6native12_GLOBAL__N_18offset_tEEE10hipError_tPvRmT1_PNSt15iterator_traitsISY_E10value_typeET2_T3_PNSZ_IS14_E10value_typeET4_jRbjT5_S1A_jjP12ihipStream_tbEUljE_EEESV_SW_SX_S14_S18_S1A_T6_T7_T9_mT8_S1C_bDpT10_ENKUlT_T0_E_clISt17integral_constantIbLb1EES1O_IbLb0EEEEDaS1K_S1L_EUlS1K_E_NS1_11comp_targetILNS1_3genE8ELNS1_11target_archE1030ELNS1_3gpuE2ELNS1_3repE0EEENS1_30default_config_static_selectorELNS0_4arch9wavefront6targetE0EEEvSY_.uses_vcc, 0
	.set _ZN7rocprim17ROCPRIM_400000_NS6detail17trampoline_kernelINS0_13select_configILj256ELj13ELNS0_17block_load_methodE3ELS4_3ELS4_3ELNS0_20block_scan_algorithmE0ELj4294967295EEENS1_25partition_config_selectorILNS1_17partition_subalgoE3EjNS0_10empty_typeEbEEZZNS1_14partition_implILS8_3ELb0ES6_jNS0_17counting_iteratorIjlEEPS9_SE_NS0_5tupleIJPjSE_EEENSF_IJSE_SE_EEES9_SG_JZNS1_25segmented_radix_sort_implINS0_14default_configELb0EPKdPdPKlPlN2at6native12_GLOBAL__N_18offset_tEEE10hipError_tPvRmT1_PNSt15iterator_traitsISY_E10value_typeET2_T3_PNSZ_IS14_E10value_typeET4_jRbjT5_S1A_jjP12ihipStream_tbEUljE_EEESV_SW_SX_S14_S18_S1A_T6_T7_T9_mT8_S1C_bDpT10_ENKUlT_T0_E_clISt17integral_constantIbLb1EES1O_IbLb0EEEEDaS1K_S1L_EUlS1K_E_NS1_11comp_targetILNS1_3genE8ELNS1_11target_archE1030ELNS1_3gpuE2ELNS1_3repE0EEENS1_30default_config_static_selectorELNS0_4arch9wavefront6targetE0EEEvSY_.uses_flat_scratch, 0
	.set _ZN7rocprim17ROCPRIM_400000_NS6detail17trampoline_kernelINS0_13select_configILj256ELj13ELNS0_17block_load_methodE3ELS4_3ELS4_3ELNS0_20block_scan_algorithmE0ELj4294967295EEENS1_25partition_config_selectorILNS1_17partition_subalgoE3EjNS0_10empty_typeEbEEZZNS1_14partition_implILS8_3ELb0ES6_jNS0_17counting_iteratorIjlEEPS9_SE_NS0_5tupleIJPjSE_EEENSF_IJSE_SE_EEES9_SG_JZNS1_25segmented_radix_sort_implINS0_14default_configELb0EPKdPdPKlPlN2at6native12_GLOBAL__N_18offset_tEEE10hipError_tPvRmT1_PNSt15iterator_traitsISY_E10value_typeET2_T3_PNSZ_IS14_E10value_typeET4_jRbjT5_S1A_jjP12ihipStream_tbEUljE_EEESV_SW_SX_S14_S18_S1A_T6_T7_T9_mT8_S1C_bDpT10_ENKUlT_T0_E_clISt17integral_constantIbLb1EES1O_IbLb0EEEEDaS1K_S1L_EUlS1K_E_NS1_11comp_targetILNS1_3genE8ELNS1_11target_archE1030ELNS1_3gpuE2ELNS1_3repE0EEENS1_30default_config_static_selectorELNS0_4arch9wavefront6targetE0EEEvSY_.has_dyn_sized_stack, 0
	.set _ZN7rocprim17ROCPRIM_400000_NS6detail17trampoline_kernelINS0_13select_configILj256ELj13ELNS0_17block_load_methodE3ELS4_3ELS4_3ELNS0_20block_scan_algorithmE0ELj4294967295EEENS1_25partition_config_selectorILNS1_17partition_subalgoE3EjNS0_10empty_typeEbEEZZNS1_14partition_implILS8_3ELb0ES6_jNS0_17counting_iteratorIjlEEPS9_SE_NS0_5tupleIJPjSE_EEENSF_IJSE_SE_EEES9_SG_JZNS1_25segmented_radix_sort_implINS0_14default_configELb0EPKdPdPKlPlN2at6native12_GLOBAL__N_18offset_tEEE10hipError_tPvRmT1_PNSt15iterator_traitsISY_E10value_typeET2_T3_PNSZ_IS14_E10value_typeET4_jRbjT5_S1A_jjP12ihipStream_tbEUljE_EEESV_SW_SX_S14_S18_S1A_T6_T7_T9_mT8_S1C_bDpT10_ENKUlT_T0_E_clISt17integral_constantIbLb1EES1O_IbLb0EEEEDaS1K_S1L_EUlS1K_E_NS1_11comp_targetILNS1_3genE8ELNS1_11target_archE1030ELNS1_3gpuE2ELNS1_3repE0EEENS1_30default_config_static_selectorELNS0_4arch9wavefront6targetE0EEEvSY_.has_recursion, 0
	.set _ZN7rocprim17ROCPRIM_400000_NS6detail17trampoline_kernelINS0_13select_configILj256ELj13ELNS0_17block_load_methodE3ELS4_3ELS4_3ELNS0_20block_scan_algorithmE0ELj4294967295EEENS1_25partition_config_selectorILNS1_17partition_subalgoE3EjNS0_10empty_typeEbEEZZNS1_14partition_implILS8_3ELb0ES6_jNS0_17counting_iteratorIjlEEPS9_SE_NS0_5tupleIJPjSE_EEENSF_IJSE_SE_EEES9_SG_JZNS1_25segmented_radix_sort_implINS0_14default_configELb0EPKdPdPKlPlN2at6native12_GLOBAL__N_18offset_tEEE10hipError_tPvRmT1_PNSt15iterator_traitsISY_E10value_typeET2_T3_PNSZ_IS14_E10value_typeET4_jRbjT5_S1A_jjP12ihipStream_tbEUljE_EEESV_SW_SX_S14_S18_S1A_T6_T7_T9_mT8_S1C_bDpT10_ENKUlT_T0_E_clISt17integral_constantIbLb1EES1O_IbLb0EEEEDaS1K_S1L_EUlS1K_E_NS1_11comp_targetILNS1_3genE8ELNS1_11target_archE1030ELNS1_3gpuE2ELNS1_3repE0EEENS1_30default_config_static_selectorELNS0_4arch9wavefront6targetE0EEEvSY_.has_indirect_call, 0
	.section	.AMDGPU.csdata,"",@progbits
; Kernel info:
; codeLenInByte = 0
; TotalNumSgprs: 0
; NumVgprs: 0
; ScratchSize: 0
; MemoryBound: 0
; FloatMode: 240
; IeeeMode: 1
; LDSByteSize: 0 bytes/workgroup (compile time only)
; SGPRBlocks: 0
; VGPRBlocks: 0
; NumSGPRsForWavesPerEU: 1
; NumVGPRsForWavesPerEU: 1
; Occupancy: 16
; WaveLimiterHint : 0
; COMPUTE_PGM_RSRC2:SCRATCH_EN: 0
; COMPUTE_PGM_RSRC2:USER_SGPR: 2
; COMPUTE_PGM_RSRC2:TRAP_HANDLER: 0
; COMPUTE_PGM_RSRC2:TGID_X_EN: 1
; COMPUTE_PGM_RSRC2:TGID_Y_EN: 0
; COMPUTE_PGM_RSRC2:TGID_Z_EN: 0
; COMPUTE_PGM_RSRC2:TIDIG_COMP_CNT: 0
	.section	.text._ZN7rocprim17ROCPRIM_400000_NS6detail17trampoline_kernelINS0_13select_configILj256ELj13ELNS0_17block_load_methodE3ELS4_3ELS4_3ELNS0_20block_scan_algorithmE0ELj4294967295EEENS1_25partition_config_selectorILNS1_17partition_subalgoE3EjNS0_10empty_typeEbEEZZNS1_14partition_implILS8_3ELb0ES6_jNS0_17counting_iteratorIjlEEPS9_SE_NS0_5tupleIJPjSE_EEENSF_IJSE_SE_EEES9_SG_JZNS1_25segmented_radix_sort_implINS0_14default_configELb0EPKdPdPKlPlN2at6native12_GLOBAL__N_18offset_tEEE10hipError_tPvRmT1_PNSt15iterator_traitsISY_E10value_typeET2_T3_PNSZ_IS14_E10value_typeET4_jRbjT5_S1A_jjP12ihipStream_tbEUljE_EEESV_SW_SX_S14_S18_S1A_T6_T7_T9_mT8_S1C_bDpT10_ENKUlT_T0_E_clISt17integral_constantIbLb0EES1O_IbLb1EEEEDaS1K_S1L_EUlS1K_E_NS1_11comp_targetILNS1_3genE0ELNS1_11target_archE4294967295ELNS1_3gpuE0ELNS1_3repE0EEENS1_30default_config_static_selectorELNS0_4arch9wavefront6targetE0EEEvSY_,"axG",@progbits,_ZN7rocprim17ROCPRIM_400000_NS6detail17trampoline_kernelINS0_13select_configILj256ELj13ELNS0_17block_load_methodE3ELS4_3ELS4_3ELNS0_20block_scan_algorithmE0ELj4294967295EEENS1_25partition_config_selectorILNS1_17partition_subalgoE3EjNS0_10empty_typeEbEEZZNS1_14partition_implILS8_3ELb0ES6_jNS0_17counting_iteratorIjlEEPS9_SE_NS0_5tupleIJPjSE_EEENSF_IJSE_SE_EEES9_SG_JZNS1_25segmented_radix_sort_implINS0_14default_configELb0EPKdPdPKlPlN2at6native12_GLOBAL__N_18offset_tEEE10hipError_tPvRmT1_PNSt15iterator_traitsISY_E10value_typeET2_T3_PNSZ_IS14_E10value_typeET4_jRbjT5_S1A_jjP12ihipStream_tbEUljE_EEESV_SW_SX_S14_S18_S1A_T6_T7_T9_mT8_S1C_bDpT10_ENKUlT_T0_E_clISt17integral_constantIbLb0EES1O_IbLb1EEEEDaS1K_S1L_EUlS1K_E_NS1_11comp_targetILNS1_3genE0ELNS1_11target_archE4294967295ELNS1_3gpuE0ELNS1_3repE0EEENS1_30default_config_static_selectorELNS0_4arch9wavefront6targetE0EEEvSY_,comdat
	.globl	_ZN7rocprim17ROCPRIM_400000_NS6detail17trampoline_kernelINS0_13select_configILj256ELj13ELNS0_17block_load_methodE3ELS4_3ELS4_3ELNS0_20block_scan_algorithmE0ELj4294967295EEENS1_25partition_config_selectorILNS1_17partition_subalgoE3EjNS0_10empty_typeEbEEZZNS1_14partition_implILS8_3ELb0ES6_jNS0_17counting_iteratorIjlEEPS9_SE_NS0_5tupleIJPjSE_EEENSF_IJSE_SE_EEES9_SG_JZNS1_25segmented_radix_sort_implINS0_14default_configELb0EPKdPdPKlPlN2at6native12_GLOBAL__N_18offset_tEEE10hipError_tPvRmT1_PNSt15iterator_traitsISY_E10value_typeET2_T3_PNSZ_IS14_E10value_typeET4_jRbjT5_S1A_jjP12ihipStream_tbEUljE_EEESV_SW_SX_S14_S18_S1A_T6_T7_T9_mT8_S1C_bDpT10_ENKUlT_T0_E_clISt17integral_constantIbLb0EES1O_IbLb1EEEEDaS1K_S1L_EUlS1K_E_NS1_11comp_targetILNS1_3genE0ELNS1_11target_archE4294967295ELNS1_3gpuE0ELNS1_3repE0EEENS1_30default_config_static_selectorELNS0_4arch9wavefront6targetE0EEEvSY_ ; -- Begin function _ZN7rocprim17ROCPRIM_400000_NS6detail17trampoline_kernelINS0_13select_configILj256ELj13ELNS0_17block_load_methodE3ELS4_3ELS4_3ELNS0_20block_scan_algorithmE0ELj4294967295EEENS1_25partition_config_selectorILNS1_17partition_subalgoE3EjNS0_10empty_typeEbEEZZNS1_14partition_implILS8_3ELb0ES6_jNS0_17counting_iteratorIjlEEPS9_SE_NS0_5tupleIJPjSE_EEENSF_IJSE_SE_EEES9_SG_JZNS1_25segmented_radix_sort_implINS0_14default_configELb0EPKdPdPKlPlN2at6native12_GLOBAL__N_18offset_tEEE10hipError_tPvRmT1_PNSt15iterator_traitsISY_E10value_typeET2_T3_PNSZ_IS14_E10value_typeET4_jRbjT5_S1A_jjP12ihipStream_tbEUljE_EEESV_SW_SX_S14_S18_S1A_T6_T7_T9_mT8_S1C_bDpT10_ENKUlT_T0_E_clISt17integral_constantIbLb0EES1O_IbLb1EEEEDaS1K_S1L_EUlS1K_E_NS1_11comp_targetILNS1_3genE0ELNS1_11target_archE4294967295ELNS1_3gpuE0ELNS1_3repE0EEENS1_30default_config_static_selectorELNS0_4arch9wavefront6targetE0EEEvSY_
	.p2align	8
	.type	_ZN7rocprim17ROCPRIM_400000_NS6detail17trampoline_kernelINS0_13select_configILj256ELj13ELNS0_17block_load_methodE3ELS4_3ELS4_3ELNS0_20block_scan_algorithmE0ELj4294967295EEENS1_25partition_config_selectorILNS1_17partition_subalgoE3EjNS0_10empty_typeEbEEZZNS1_14partition_implILS8_3ELb0ES6_jNS0_17counting_iteratorIjlEEPS9_SE_NS0_5tupleIJPjSE_EEENSF_IJSE_SE_EEES9_SG_JZNS1_25segmented_radix_sort_implINS0_14default_configELb0EPKdPdPKlPlN2at6native12_GLOBAL__N_18offset_tEEE10hipError_tPvRmT1_PNSt15iterator_traitsISY_E10value_typeET2_T3_PNSZ_IS14_E10value_typeET4_jRbjT5_S1A_jjP12ihipStream_tbEUljE_EEESV_SW_SX_S14_S18_S1A_T6_T7_T9_mT8_S1C_bDpT10_ENKUlT_T0_E_clISt17integral_constantIbLb0EES1O_IbLb1EEEEDaS1K_S1L_EUlS1K_E_NS1_11comp_targetILNS1_3genE0ELNS1_11target_archE4294967295ELNS1_3gpuE0ELNS1_3repE0EEENS1_30default_config_static_selectorELNS0_4arch9wavefront6targetE0EEEvSY_,@function
_ZN7rocprim17ROCPRIM_400000_NS6detail17trampoline_kernelINS0_13select_configILj256ELj13ELNS0_17block_load_methodE3ELS4_3ELS4_3ELNS0_20block_scan_algorithmE0ELj4294967295EEENS1_25partition_config_selectorILNS1_17partition_subalgoE3EjNS0_10empty_typeEbEEZZNS1_14partition_implILS8_3ELb0ES6_jNS0_17counting_iteratorIjlEEPS9_SE_NS0_5tupleIJPjSE_EEENSF_IJSE_SE_EEES9_SG_JZNS1_25segmented_radix_sort_implINS0_14default_configELb0EPKdPdPKlPlN2at6native12_GLOBAL__N_18offset_tEEE10hipError_tPvRmT1_PNSt15iterator_traitsISY_E10value_typeET2_T3_PNSZ_IS14_E10value_typeET4_jRbjT5_S1A_jjP12ihipStream_tbEUljE_EEESV_SW_SX_S14_S18_S1A_T6_T7_T9_mT8_S1C_bDpT10_ENKUlT_T0_E_clISt17integral_constantIbLb0EES1O_IbLb1EEEEDaS1K_S1L_EUlS1K_E_NS1_11comp_targetILNS1_3genE0ELNS1_11target_archE4294967295ELNS1_3gpuE0ELNS1_3repE0EEENS1_30default_config_static_selectorELNS0_4arch9wavefront6targetE0EEEvSY_: ; @_ZN7rocprim17ROCPRIM_400000_NS6detail17trampoline_kernelINS0_13select_configILj256ELj13ELNS0_17block_load_methodE3ELS4_3ELS4_3ELNS0_20block_scan_algorithmE0ELj4294967295EEENS1_25partition_config_selectorILNS1_17partition_subalgoE3EjNS0_10empty_typeEbEEZZNS1_14partition_implILS8_3ELb0ES6_jNS0_17counting_iteratorIjlEEPS9_SE_NS0_5tupleIJPjSE_EEENSF_IJSE_SE_EEES9_SG_JZNS1_25segmented_radix_sort_implINS0_14default_configELb0EPKdPdPKlPlN2at6native12_GLOBAL__N_18offset_tEEE10hipError_tPvRmT1_PNSt15iterator_traitsISY_E10value_typeET2_T3_PNSZ_IS14_E10value_typeET4_jRbjT5_S1A_jjP12ihipStream_tbEUljE_EEESV_SW_SX_S14_S18_S1A_T6_T7_T9_mT8_S1C_bDpT10_ENKUlT_T0_E_clISt17integral_constantIbLb0EES1O_IbLb1EEEEDaS1K_S1L_EUlS1K_E_NS1_11comp_targetILNS1_3genE0ELNS1_11target_archE4294967295ELNS1_3gpuE0ELNS1_3repE0EEENS1_30default_config_static_selectorELNS0_4arch9wavefront6targetE0EEEvSY_
; %bb.0:
	.section	.rodata,"a",@progbits
	.p2align	6, 0x0
	.amdhsa_kernel _ZN7rocprim17ROCPRIM_400000_NS6detail17trampoline_kernelINS0_13select_configILj256ELj13ELNS0_17block_load_methodE3ELS4_3ELS4_3ELNS0_20block_scan_algorithmE0ELj4294967295EEENS1_25partition_config_selectorILNS1_17partition_subalgoE3EjNS0_10empty_typeEbEEZZNS1_14partition_implILS8_3ELb0ES6_jNS0_17counting_iteratorIjlEEPS9_SE_NS0_5tupleIJPjSE_EEENSF_IJSE_SE_EEES9_SG_JZNS1_25segmented_radix_sort_implINS0_14default_configELb0EPKdPdPKlPlN2at6native12_GLOBAL__N_18offset_tEEE10hipError_tPvRmT1_PNSt15iterator_traitsISY_E10value_typeET2_T3_PNSZ_IS14_E10value_typeET4_jRbjT5_S1A_jjP12ihipStream_tbEUljE_EEESV_SW_SX_S14_S18_S1A_T6_T7_T9_mT8_S1C_bDpT10_ENKUlT_T0_E_clISt17integral_constantIbLb0EES1O_IbLb1EEEEDaS1K_S1L_EUlS1K_E_NS1_11comp_targetILNS1_3genE0ELNS1_11target_archE4294967295ELNS1_3gpuE0ELNS1_3repE0EEENS1_30default_config_static_selectorELNS0_4arch9wavefront6targetE0EEEvSY_
		.amdhsa_group_segment_fixed_size 0
		.amdhsa_private_segment_fixed_size 0
		.amdhsa_kernarg_size 152
		.amdhsa_user_sgpr_count 2
		.amdhsa_user_sgpr_dispatch_ptr 0
		.amdhsa_user_sgpr_queue_ptr 0
		.amdhsa_user_sgpr_kernarg_segment_ptr 1
		.amdhsa_user_sgpr_dispatch_id 0
		.amdhsa_user_sgpr_private_segment_size 0
		.amdhsa_wavefront_size32 1
		.amdhsa_uses_dynamic_stack 0
		.amdhsa_enable_private_segment 0
		.amdhsa_system_sgpr_workgroup_id_x 1
		.amdhsa_system_sgpr_workgroup_id_y 0
		.amdhsa_system_sgpr_workgroup_id_z 0
		.amdhsa_system_sgpr_workgroup_info 0
		.amdhsa_system_vgpr_workitem_id 0
		.amdhsa_next_free_vgpr 1
		.amdhsa_next_free_sgpr 1
		.amdhsa_reserve_vcc 0
		.amdhsa_float_round_mode_32 0
		.amdhsa_float_round_mode_16_64 0
		.amdhsa_float_denorm_mode_32 3
		.amdhsa_float_denorm_mode_16_64 3
		.amdhsa_fp16_overflow 0
		.amdhsa_workgroup_processor_mode 1
		.amdhsa_memory_ordered 1
		.amdhsa_forward_progress 1
		.amdhsa_inst_pref_size 0
		.amdhsa_round_robin_scheduling 0
		.amdhsa_exception_fp_ieee_invalid_op 0
		.amdhsa_exception_fp_denorm_src 0
		.amdhsa_exception_fp_ieee_div_zero 0
		.amdhsa_exception_fp_ieee_overflow 0
		.amdhsa_exception_fp_ieee_underflow 0
		.amdhsa_exception_fp_ieee_inexact 0
		.amdhsa_exception_int_div_zero 0
	.end_amdhsa_kernel
	.section	.text._ZN7rocprim17ROCPRIM_400000_NS6detail17trampoline_kernelINS0_13select_configILj256ELj13ELNS0_17block_load_methodE3ELS4_3ELS4_3ELNS0_20block_scan_algorithmE0ELj4294967295EEENS1_25partition_config_selectorILNS1_17partition_subalgoE3EjNS0_10empty_typeEbEEZZNS1_14partition_implILS8_3ELb0ES6_jNS0_17counting_iteratorIjlEEPS9_SE_NS0_5tupleIJPjSE_EEENSF_IJSE_SE_EEES9_SG_JZNS1_25segmented_radix_sort_implINS0_14default_configELb0EPKdPdPKlPlN2at6native12_GLOBAL__N_18offset_tEEE10hipError_tPvRmT1_PNSt15iterator_traitsISY_E10value_typeET2_T3_PNSZ_IS14_E10value_typeET4_jRbjT5_S1A_jjP12ihipStream_tbEUljE_EEESV_SW_SX_S14_S18_S1A_T6_T7_T9_mT8_S1C_bDpT10_ENKUlT_T0_E_clISt17integral_constantIbLb0EES1O_IbLb1EEEEDaS1K_S1L_EUlS1K_E_NS1_11comp_targetILNS1_3genE0ELNS1_11target_archE4294967295ELNS1_3gpuE0ELNS1_3repE0EEENS1_30default_config_static_selectorELNS0_4arch9wavefront6targetE0EEEvSY_,"axG",@progbits,_ZN7rocprim17ROCPRIM_400000_NS6detail17trampoline_kernelINS0_13select_configILj256ELj13ELNS0_17block_load_methodE3ELS4_3ELS4_3ELNS0_20block_scan_algorithmE0ELj4294967295EEENS1_25partition_config_selectorILNS1_17partition_subalgoE3EjNS0_10empty_typeEbEEZZNS1_14partition_implILS8_3ELb0ES6_jNS0_17counting_iteratorIjlEEPS9_SE_NS0_5tupleIJPjSE_EEENSF_IJSE_SE_EEES9_SG_JZNS1_25segmented_radix_sort_implINS0_14default_configELb0EPKdPdPKlPlN2at6native12_GLOBAL__N_18offset_tEEE10hipError_tPvRmT1_PNSt15iterator_traitsISY_E10value_typeET2_T3_PNSZ_IS14_E10value_typeET4_jRbjT5_S1A_jjP12ihipStream_tbEUljE_EEESV_SW_SX_S14_S18_S1A_T6_T7_T9_mT8_S1C_bDpT10_ENKUlT_T0_E_clISt17integral_constantIbLb0EES1O_IbLb1EEEEDaS1K_S1L_EUlS1K_E_NS1_11comp_targetILNS1_3genE0ELNS1_11target_archE4294967295ELNS1_3gpuE0ELNS1_3repE0EEENS1_30default_config_static_selectorELNS0_4arch9wavefront6targetE0EEEvSY_,comdat
.Lfunc_end1213:
	.size	_ZN7rocprim17ROCPRIM_400000_NS6detail17trampoline_kernelINS0_13select_configILj256ELj13ELNS0_17block_load_methodE3ELS4_3ELS4_3ELNS0_20block_scan_algorithmE0ELj4294967295EEENS1_25partition_config_selectorILNS1_17partition_subalgoE3EjNS0_10empty_typeEbEEZZNS1_14partition_implILS8_3ELb0ES6_jNS0_17counting_iteratorIjlEEPS9_SE_NS0_5tupleIJPjSE_EEENSF_IJSE_SE_EEES9_SG_JZNS1_25segmented_radix_sort_implINS0_14default_configELb0EPKdPdPKlPlN2at6native12_GLOBAL__N_18offset_tEEE10hipError_tPvRmT1_PNSt15iterator_traitsISY_E10value_typeET2_T3_PNSZ_IS14_E10value_typeET4_jRbjT5_S1A_jjP12ihipStream_tbEUljE_EEESV_SW_SX_S14_S18_S1A_T6_T7_T9_mT8_S1C_bDpT10_ENKUlT_T0_E_clISt17integral_constantIbLb0EES1O_IbLb1EEEEDaS1K_S1L_EUlS1K_E_NS1_11comp_targetILNS1_3genE0ELNS1_11target_archE4294967295ELNS1_3gpuE0ELNS1_3repE0EEENS1_30default_config_static_selectorELNS0_4arch9wavefront6targetE0EEEvSY_, .Lfunc_end1213-_ZN7rocprim17ROCPRIM_400000_NS6detail17trampoline_kernelINS0_13select_configILj256ELj13ELNS0_17block_load_methodE3ELS4_3ELS4_3ELNS0_20block_scan_algorithmE0ELj4294967295EEENS1_25partition_config_selectorILNS1_17partition_subalgoE3EjNS0_10empty_typeEbEEZZNS1_14partition_implILS8_3ELb0ES6_jNS0_17counting_iteratorIjlEEPS9_SE_NS0_5tupleIJPjSE_EEENSF_IJSE_SE_EEES9_SG_JZNS1_25segmented_radix_sort_implINS0_14default_configELb0EPKdPdPKlPlN2at6native12_GLOBAL__N_18offset_tEEE10hipError_tPvRmT1_PNSt15iterator_traitsISY_E10value_typeET2_T3_PNSZ_IS14_E10value_typeET4_jRbjT5_S1A_jjP12ihipStream_tbEUljE_EEESV_SW_SX_S14_S18_S1A_T6_T7_T9_mT8_S1C_bDpT10_ENKUlT_T0_E_clISt17integral_constantIbLb0EES1O_IbLb1EEEEDaS1K_S1L_EUlS1K_E_NS1_11comp_targetILNS1_3genE0ELNS1_11target_archE4294967295ELNS1_3gpuE0ELNS1_3repE0EEENS1_30default_config_static_selectorELNS0_4arch9wavefront6targetE0EEEvSY_
                                        ; -- End function
	.set _ZN7rocprim17ROCPRIM_400000_NS6detail17trampoline_kernelINS0_13select_configILj256ELj13ELNS0_17block_load_methodE3ELS4_3ELS4_3ELNS0_20block_scan_algorithmE0ELj4294967295EEENS1_25partition_config_selectorILNS1_17partition_subalgoE3EjNS0_10empty_typeEbEEZZNS1_14partition_implILS8_3ELb0ES6_jNS0_17counting_iteratorIjlEEPS9_SE_NS0_5tupleIJPjSE_EEENSF_IJSE_SE_EEES9_SG_JZNS1_25segmented_radix_sort_implINS0_14default_configELb0EPKdPdPKlPlN2at6native12_GLOBAL__N_18offset_tEEE10hipError_tPvRmT1_PNSt15iterator_traitsISY_E10value_typeET2_T3_PNSZ_IS14_E10value_typeET4_jRbjT5_S1A_jjP12ihipStream_tbEUljE_EEESV_SW_SX_S14_S18_S1A_T6_T7_T9_mT8_S1C_bDpT10_ENKUlT_T0_E_clISt17integral_constantIbLb0EES1O_IbLb1EEEEDaS1K_S1L_EUlS1K_E_NS1_11comp_targetILNS1_3genE0ELNS1_11target_archE4294967295ELNS1_3gpuE0ELNS1_3repE0EEENS1_30default_config_static_selectorELNS0_4arch9wavefront6targetE0EEEvSY_.num_vgpr, 0
	.set _ZN7rocprim17ROCPRIM_400000_NS6detail17trampoline_kernelINS0_13select_configILj256ELj13ELNS0_17block_load_methodE3ELS4_3ELS4_3ELNS0_20block_scan_algorithmE0ELj4294967295EEENS1_25partition_config_selectorILNS1_17partition_subalgoE3EjNS0_10empty_typeEbEEZZNS1_14partition_implILS8_3ELb0ES6_jNS0_17counting_iteratorIjlEEPS9_SE_NS0_5tupleIJPjSE_EEENSF_IJSE_SE_EEES9_SG_JZNS1_25segmented_radix_sort_implINS0_14default_configELb0EPKdPdPKlPlN2at6native12_GLOBAL__N_18offset_tEEE10hipError_tPvRmT1_PNSt15iterator_traitsISY_E10value_typeET2_T3_PNSZ_IS14_E10value_typeET4_jRbjT5_S1A_jjP12ihipStream_tbEUljE_EEESV_SW_SX_S14_S18_S1A_T6_T7_T9_mT8_S1C_bDpT10_ENKUlT_T0_E_clISt17integral_constantIbLb0EES1O_IbLb1EEEEDaS1K_S1L_EUlS1K_E_NS1_11comp_targetILNS1_3genE0ELNS1_11target_archE4294967295ELNS1_3gpuE0ELNS1_3repE0EEENS1_30default_config_static_selectorELNS0_4arch9wavefront6targetE0EEEvSY_.num_agpr, 0
	.set _ZN7rocprim17ROCPRIM_400000_NS6detail17trampoline_kernelINS0_13select_configILj256ELj13ELNS0_17block_load_methodE3ELS4_3ELS4_3ELNS0_20block_scan_algorithmE0ELj4294967295EEENS1_25partition_config_selectorILNS1_17partition_subalgoE3EjNS0_10empty_typeEbEEZZNS1_14partition_implILS8_3ELb0ES6_jNS0_17counting_iteratorIjlEEPS9_SE_NS0_5tupleIJPjSE_EEENSF_IJSE_SE_EEES9_SG_JZNS1_25segmented_radix_sort_implINS0_14default_configELb0EPKdPdPKlPlN2at6native12_GLOBAL__N_18offset_tEEE10hipError_tPvRmT1_PNSt15iterator_traitsISY_E10value_typeET2_T3_PNSZ_IS14_E10value_typeET4_jRbjT5_S1A_jjP12ihipStream_tbEUljE_EEESV_SW_SX_S14_S18_S1A_T6_T7_T9_mT8_S1C_bDpT10_ENKUlT_T0_E_clISt17integral_constantIbLb0EES1O_IbLb1EEEEDaS1K_S1L_EUlS1K_E_NS1_11comp_targetILNS1_3genE0ELNS1_11target_archE4294967295ELNS1_3gpuE0ELNS1_3repE0EEENS1_30default_config_static_selectorELNS0_4arch9wavefront6targetE0EEEvSY_.numbered_sgpr, 0
	.set _ZN7rocprim17ROCPRIM_400000_NS6detail17trampoline_kernelINS0_13select_configILj256ELj13ELNS0_17block_load_methodE3ELS4_3ELS4_3ELNS0_20block_scan_algorithmE0ELj4294967295EEENS1_25partition_config_selectorILNS1_17partition_subalgoE3EjNS0_10empty_typeEbEEZZNS1_14partition_implILS8_3ELb0ES6_jNS0_17counting_iteratorIjlEEPS9_SE_NS0_5tupleIJPjSE_EEENSF_IJSE_SE_EEES9_SG_JZNS1_25segmented_radix_sort_implINS0_14default_configELb0EPKdPdPKlPlN2at6native12_GLOBAL__N_18offset_tEEE10hipError_tPvRmT1_PNSt15iterator_traitsISY_E10value_typeET2_T3_PNSZ_IS14_E10value_typeET4_jRbjT5_S1A_jjP12ihipStream_tbEUljE_EEESV_SW_SX_S14_S18_S1A_T6_T7_T9_mT8_S1C_bDpT10_ENKUlT_T0_E_clISt17integral_constantIbLb0EES1O_IbLb1EEEEDaS1K_S1L_EUlS1K_E_NS1_11comp_targetILNS1_3genE0ELNS1_11target_archE4294967295ELNS1_3gpuE0ELNS1_3repE0EEENS1_30default_config_static_selectorELNS0_4arch9wavefront6targetE0EEEvSY_.num_named_barrier, 0
	.set _ZN7rocprim17ROCPRIM_400000_NS6detail17trampoline_kernelINS0_13select_configILj256ELj13ELNS0_17block_load_methodE3ELS4_3ELS4_3ELNS0_20block_scan_algorithmE0ELj4294967295EEENS1_25partition_config_selectorILNS1_17partition_subalgoE3EjNS0_10empty_typeEbEEZZNS1_14partition_implILS8_3ELb0ES6_jNS0_17counting_iteratorIjlEEPS9_SE_NS0_5tupleIJPjSE_EEENSF_IJSE_SE_EEES9_SG_JZNS1_25segmented_radix_sort_implINS0_14default_configELb0EPKdPdPKlPlN2at6native12_GLOBAL__N_18offset_tEEE10hipError_tPvRmT1_PNSt15iterator_traitsISY_E10value_typeET2_T3_PNSZ_IS14_E10value_typeET4_jRbjT5_S1A_jjP12ihipStream_tbEUljE_EEESV_SW_SX_S14_S18_S1A_T6_T7_T9_mT8_S1C_bDpT10_ENKUlT_T0_E_clISt17integral_constantIbLb0EES1O_IbLb1EEEEDaS1K_S1L_EUlS1K_E_NS1_11comp_targetILNS1_3genE0ELNS1_11target_archE4294967295ELNS1_3gpuE0ELNS1_3repE0EEENS1_30default_config_static_selectorELNS0_4arch9wavefront6targetE0EEEvSY_.private_seg_size, 0
	.set _ZN7rocprim17ROCPRIM_400000_NS6detail17trampoline_kernelINS0_13select_configILj256ELj13ELNS0_17block_load_methodE3ELS4_3ELS4_3ELNS0_20block_scan_algorithmE0ELj4294967295EEENS1_25partition_config_selectorILNS1_17partition_subalgoE3EjNS0_10empty_typeEbEEZZNS1_14partition_implILS8_3ELb0ES6_jNS0_17counting_iteratorIjlEEPS9_SE_NS0_5tupleIJPjSE_EEENSF_IJSE_SE_EEES9_SG_JZNS1_25segmented_radix_sort_implINS0_14default_configELb0EPKdPdPKlPlN2at6native12_GLOBAL__N_18offset_tEEE10hipError_tPvRmT1_PNSt15iterator_traitsISY_E10value_typeET2_T3_PNSZ_IS14_E10value_typeET4_jRbjT5_S1A_jjP12ihipStream_tbEUljE_EEESV_SW_SX_S14_S18_S1A_T6_T7_T9_mT8_S1C_bDpT10_ENKUlT_T0_E_clISt17integral_constantIbLb0EES1O_IbLb1EEEEDaS1K_S1L_EUlS1K_E_NS1_11comp_targetILNS1_3genE0ELNS1_11target_archE4294967295ELNS1_3gpuE0ELNS1_3repE0EEENS1_30default_config_static_selectorELNS0_4arch9wavefront6targetE0EEEvSY_.uses_vcc, 0
	.set _ZN7rocprim17ROCPRIM_400000_NS6detail17trampoline_kernelINS0_13select_configILj256ELj13ELNS0_17block_load_methodE3ELS4_3ELS4_3ELNS0_20block_scan_algorithmE0ELj4294967295EEENS1_25partition_config_selectorILNS1_17partition_subalgoE3EjNS0_10empty_typeEbEEZZNS1_14partition_implILS8_3ELb0ES6_jNS0_17counting_iteratorIjlEEPS9_SE_NS0_5tupleIJPjSE_EEENSF_IJSE_SE_EEES9_SG_JZNS1_25segmented_radix_sort_implINS0_14default_configELb0EPKdPdPKlPlN2at6native12_GLOBAL__N_18offset_tEEE10hipError_tPvRmT1_PNSt15iterator_traitsISY_E10value_typeET2_T3_PNSZ_IS14_E10value_typeET4_jRbjT5_S1A_jjP12ihipStream_tbEUljE_EEESV_SW_SX_S14_S18_S1A_T6_T7_T9_mT8_S1C_bDpT10_ENKUlT_T0_E_clISt17integral_constantIbLb0EES1O_IbLb1EEEEDaS1K_S1L_EUlS1K_E_NS1_11comp_targetILNS1_3genE0ELNS1_11target_archE4294967295ELNS1_3gpuE0ELNS1_3repE0EEENS1_30default_config_static_selectorELNS0_4arch9wavefront6targetE0EEEvSY_.uses_flat_scratch, 0
	.set _ZN7rocprim17ROCPRIM_400000_NS6detail17trampoline_kernelINS0_13select_configILj256ELj13ELNS0_17block_load_methodE3ELS4_3ELS4_3ELNS0_20block_scan_algorithmE0ELj4294967295EEENS1_25partition_config_selectorILNS1_17partition_subalgoE3EjNS0_10empty_typeEbEEZZNS1_14partition_implILS8_3ELb0ES6_jNS0_17counting_iteratorIjlEEPS9_SE_NS0_5tupleIJPjSE_EEENSF_IJSE_SE_EEES9_SG_JZNS1_25segmented_radix_sort_implINS0_14default_configELb0EPKdPdPKlPlN2at6native12_GLOBAL__N_18offset_tEEE10hipError_tPvRmT1_PNSt15iterator_traitsISY_E10value_typeET2_T3_PNSZ_IS14_E10value_typeET4_jRbjT5_S1A_jjP12ihipStream_tbEUljE_EEESV_SW_SX_S14_S18_S1A_T6_T7_T9_mT8_S1C_bDpT10_ENKUlT_T0_E_clISt17integral_constantIbLb0EES1O_IbLb1EEEEDaS1K_S1L_EUlS1K_E_NS1_11comp_targetILNS1_3genE0ELNS1_11target_archE4294967295ELNS1_3gpuE0ELNS1_3repE0EEENS1_30default_config_static_selectorELNS0_4arch9wavefront6targetE0EEEvSY_.has_dyn_sized_stack, 0
	.set _ZN7rocprim17ROCPRIM_400000_NS6detail17trampoline_kernelINS0_13select_configILj256ELj13ELNS0_17block_load_methodE3ELS4_3ELS4_3ELNS0_20block_scan_algorithmE0ELj4294967295EEENS1_25partition_config_selectorILNS1_17partition_subalgoE3EjNS0_10empty_typeEbEEZZNS1_14partition_implILS8_3ELb0ES6_jNS0_17counting_iteratorIjlEEPS9_SE_NS0_5tupleIJPjSE_EEENSF_IJSE_SE_EEES9_SG_JZNS1_25segmented_radix_sort_implINS0_14default_configELb0EPKdPdPKlPlN2at6native12_GLOBAL__N_18offset_tEEE10hipError_tPvRmT1_PNSt15iterator_traitsISY_E10value_typeET2_T3_PNSZ_IS14_E10value_typeET4_jRbjT5_S1A_jjP12ihipStream_tbEUljE_EEESV_SW_SX_S14_S18_S1A_T6_T7_T9_mT8_S1C_bDpT10_ENKUlT_T0_E_clISt17integral_constantIbLb0EES1O_IbLb1EEEEDaS1K_S1L_EUlS1K_E_NS1_11comp_targetILNS1_3genE0ELNS1_11target_archE4294967295ELNS1_3gpuE0ELNS1_3repE0EEENS1_30default_config_static_selectorELNS0_4arch9wavefront6targetE0EEEvSY_.has_recursion, 0
	.set _ZN7rocprim17ROCPRIM_400000_NS6detail17trampoline_kernelINS0_13select_configILj256ELj13ELNS0_17block_load_methodE3ELS4_3ELS4_3ELNS0_20block_scan_algorithmE0ELj4294967295EEENS1_25partition_config_selectorILNS1_17partition_subalgoE3EjNS0_10empty_typeEbEEZZNS1_14partition_implILS8_3ELb0ES6_jNS0_17counting_iteratorIjlEEPS9_SE_NS0_5tupleIJPjSE_EEENSF_IJSE_SE_EEES9_SG_JZNS1_25segmented_radix_sort_implINS0_14default_configELb0EPKdPdPKlPlN2at6native12_GLOBAL__N_18offset_tEEE10hipError_tPvRmT1_PNSt15iterator_traitsISY_E10value_typeET2_T3_PNSZ_IS14_E10value_typeET4_jRbjT5_S1A_jjP12ihipStream_tbEUljE_EEESV_SW_SX_S14_S18_S1A_T6_T7_T9_mT8_S1C_bDpT10_ENKUlT_T0_E_clISt17integral_constantIbLb0EES1O_IbLb1EEEEDaS1K_S1L_EUlS1K_E_NS1_11comp_targetILNS1_3genE0ELNS1_11target_archE4294967295ELNS1_3gpuE0ELNS1_3repE0EEENS1_30default_config_static_selectorELNS0_4arch9wavefront6targetE0EEEvSY_.has_indirect_call, 0
	.section	.AMDGPU.csdata,"",@progbits
; Kernel info:
; codeLenInByte = 0
; TotalNumSgprs: 0
; NumVgprs: 0
; ScratchSize: 0
; MemoryBound: 0
; FloatMode: 240
; IeeeMode: 1
; LDSByteSize: 0 bytes/workgroup (compile time only)
; SGPRBlocks: 0
; VGPRBlocks: 0
; NumSGPRsForWavesPerEU: 1
; NumVGPRsForWavesPerEU: 1
; Occupancy: 16
; WaveLimiterHint : 0
; COMPUTE_PGM_RSRC2:SCRATCH_EN: 0
; COMPUTE_PGM_RSRC2:USER_SGPR: 2
; COMPUTE_PGM_RSRC2:TRAP_HANDLER: 0
; COMPUTE_PGM_RSRC2:TGID_X_EN: 1
; COMPUTE_PGM_RSRC2:TGID_Y_EN: 0
; COMPUTE_PGM_RSRC2:TGID_Z_EN: 0
; COMPUTE_PGM_RSRC2:TIDIG_COMP_CNT: 0
	.section	.text._ZN7rocprim17ROCPRIM_400000_NS6detail17trampoline_kernelINS0_13select_configILj256ELj13ELNS0_17block_load_methodE3ELS4_3ELS4_3ELNS0_20block_scan_algorithmE0ELj4294967295EEENS1_25partition_config_selectorILNS1_17partition_subalgoE3EjNS0_10empty_typeEbEEZZNS1_14partition_implILS8_3ELb0ES6_jNS0_17counting_iteratorIjlEEPS9_SE_NS0_5tupleIJPjSE_EEENSF_IJSE_SE_EEES9_SG_JZNS1_25segmented_radix_sort_implINS0_14default_configELb0EPKdPdPKlPlN2at6native12_GLOBAL__N_18offset_tEEE10hipError_tPvRmT1_PNSt15iterator_traitsISY_E10value_typeET2_T3_PNSZ_IS14_E10value_typeET4_jRbjT5_S1A_jjP12ihipStream_tbEUljE_EEESV_SW_SX_S14_S18_S1A_T6_T7_T9_mT8_S1C_bDpT10_ENKUlT_T0_E_clISt17integral_constantIbLb0EES1O_IbLb1EEEEDaS1K_S1L_EUlS1K_E_NS1_11comp_targetILNS1_3genE5ELNS1_11target_archE942ELNS1_3gpuE9ELNS1_3repE0EEENS1_30default_config_static_selectorELNS0_4arch9wavefront6targetE0EEEvSY_,"axG",@progbits,_ZN7rocprim17ROCPRIM_400000_NS6detail17trampoline_kernelINS0_13select_configILj256ELj13ELNS0_17block_load_methodE3ELS4_3ELS4_3ELNS0_20block_scan_algorithmE0ELj4294967295EEENS1_25partition_config_selectorILNS1_17partition_subalgoE3EjNS0_10empty_typeEbEEZZNS1_14partition_implILS8_3ELb0ES6_jNS0_17counting_iteratorIjlEEPS9_SE_NS0_5tupleIJPjSE_EEENSF_IJSE_SE_EEES9_SG_JZNS1_25segmented_radix_sort_implINS0_14default_configELb0EPKdPdPKlPlN2at6native12_GLOBAL__N_18offset_tEEE10hipError_tPvRmT1_PNSt15iterator_traitsISY_E10value_typeET2_T3_PNSZ_IS14_E10value_typeET4_jRbjT5_S1A_jjP12ihipStream_tbEUljE_EEESV_SW_SX_S14_S18_S1A_T6_T7_T9_mT8_S1C_bDpT10_ENKUlT_T0_E_clISt17integral_constantIbLb0EES1O_IbLb1EEEEDaS1K_S1L_EUlS1K_E_NS1_11comp_targetILNS1_3genE5ELNS1_11target_archE942ELNS1_3gpuE9ELNS1_3repE0EEENS1_30default_config_static_selectorELNS0_4arch9wavefront6targetE0EEEvSY_,comdat
	.globl	_ZN7rocprim17ROCPRIM_400000_NS6detail17trampoline_kernelINS0_13select_configILj256ELj13ELNS0_17block_load_methodE3ELS4_3ELS4_3ELNS0_20block_scan_algorithmE0ELj4294967295EEENS1_25partition_config_selectorILNS1_17partition_subalgoE3EjNS0_10empty_typeEbEEZZNS1_14partition_implILS8_3ELb0ES6_jNS0_17counting_iteratorIjlEEPS9_SE_NS0_5tupleIJPjSE_EEENSF_IJSE_SE_EEES9_SG_JZNS1_25segmented_radix_sort_implINS0_14default_configELb0EPKdPdPKlPlN2at6native12_GLOBAL__N_18offset_tEEE10hipError_tPvRmT1_PNSt15iterator_traitsISY_E10value_typeET2_T3_PNSZ_IS14_E10value_typeET4_jRbjT5_S1A_jjP12ihipStream_tbEUljE_EEESV_SW_SX_S14_S18_S1A_T6_T7_T9_mT8_S1C_bDpT10_ENKUlT_T0_E_clISt17integral_constantIbLb0EES1O_IbLb1EEEEDaS1K_S1L_EUlS1K_E_NS1_11comp_targetILNS1_3genE5ELNS1_11target_archE942ELNS1_3gpuE9ELNS1_3repE0EEENS1_30default_config_static_selectorELNS0_4arch9wavefront6targetE0EEEvSY_ ; -- Begin function _ZN7rocprim17ROCPRIM_400000_NS6detail17trampoline_kernelINS0_13select_configILj256ELj13ELNS0_17block_load_methodE3ELS4_3ELS4_3ELNS0_20block_scan_algorithmE0ELj4294967295EEENS1_25partition_config_selectorILNS1_17partition_subalgoE3EjNS0_10empty_typeEbEEZZNS1_14partition_implILS8_3ELb0ES6_jNS0_17counting_iteratorIjlEEPS9_SE_NS0_5tupleIJPjSE_EEENSF_IJSE_SE_EEES9_SG_JZNS1_25segmented_radix_sort_implINS0_14default_configELb0EPKdPdPKlPlN2at6native12_GLOBAL__N_18offset_tEEE10hipError_tPvRmT1_PNSt15iterator_traitsISY_E10value_typeET2_T3_PNSZ_IS14_E10value_typeET4_jRbjT5_S1A_jjP12ihipStream_tbEUljE_EEESV_SW_SX_S14_S18_S1A_T6_T7_T9_mT8_S1C_bDpT10_ENKUlT_T0_E_clISt17integral_constantIbLb0EES1O_IbLb1EEEEDaS1K_S1L_EUlS1K_E_NS1_11comp_targetILNS1_3genE5ELNS1_11target_archE942ELNS1_3gpuE9ELNS1_3repE0EEENS1_30default_config_static_selectorELNS0_4arch9wavefront6targetE0EEEvSY_
	.p2align	8
	.type	_ZN7rocprim17ROCPRIM_400000_NS6detail17trampoline_kernelINS0_13select_configILj256ELj13ELNS0_17block_load_methodE3ELS4_3ELS4_3ELNS0_20block_scan_algorithmE0ELj4294967295EEENS1_25partition_config_selectorILNS1_17partition_subalgoE3EjNS0_10empty_typeEbEEZZNS1_14partition_implILS8_3ELb0ES6_jNS0_17counting_iteratorIjlEEPS9_SE_NS0_5tupleIJPjSE_EEENSF_IJSE_SE_EEES9_SG_JZNS1_25segmented_radix_sort_implINS0_14default_configELb0EPKdPdPKlPlN2at6native12_GLOBAL__N_18offset_tEEE10hipError_tPvRmT1_PNSt15iterator_traitsISY_E10value_typeET2_T3_PNSZ_IS14_E10value_typeET4_jRbjT5_S1A_jjP12ihipStream_tbEUljE_EEESV_SW_SX_S14_S18_S1A_T6_T7_T9_mT8_S1C_bDpT10_ENKUlT_T0_E_clISt17integral_constantIbLb0EES1O_IbLb1EEEEDaS1K_S1L_EUlS1K_E_NS1_11comp_targetILNS1_3genE5ELNS1_11target_archE942ELNS1_3gpuE9ELNS1_3repE0EEENS1_30default_config_static_selectorELNS0_4arch9wavefront6targetE0EEEvSY_,@function
_ZN7rocprim17ROCPRIM_400000_NS6detail17trampoline_kernelINS0_13select_configILj256ELj13ELNS0_17block_load_methodE3ELS4_3ELS4_3ELNS0_20block_scan_algorithmE0ELj4294967295EEENS1_25partition_config_selectorILNS1_17partition_subalgoE3EjNS0_10empty_typeEbEEZZNS1_14partition_implILS8_3ELb0ES6_jNS0_17counting_iteratorIjlEEPS9_SE_NS0_5tupleIJPjSE_EEENSF_IJSE_SE_EEES9_SG_JZNS1_25segmented_radix_sort_implINS0_14default_configELb0EPKdPdPKlPlN2at6native12_GLOBAL__N_18offset_tEEE10hipError_tPvRmT1_PNSt15iterator_traitsISY_E10value_typeET2_T3_PNSZ_IS14_E10value_typeET4_jRbjT5_S1A_jjP12ihipStream_tbEUljE_EEESV_SW_SX_S14_S18_S1A_T6_T7_T9_mT8_S1C_bDpT10_ENKUlT_T0_E_clISt17integral_constantIbLb0EES1O_IbLb1EEEEDaS1K_S1L_EUlS1K_E_NS1_11comp_targetILNS1_3genE5ELNS1_11target_archE942ELNS1_3gpuE9ELNS1_3repE0EEENS1_30default_config_static_selectorELNS0_4arch9wavefront6targetE0EEEvSY_: ; @_ZN7rocprim17ROCPRIM_400000_NS6detail17trampoline_kernelINS0_13select_configILj256ELj13ELNS0_17block_load_methodE3ELS4_3ELS4_3ELNS0_20block_scan_algorithmE0ELj4294967295EEENS1_25partition_config_selectorILNS1_17partition_subalgoE3EjNS0_10empty_typeEbEEZZNS1_14partition_implILS8_3ELb0ES6_jNS0_17counting_iteratorIjlEEPS9_SE_NS0_5tupleIJPjSE_EEENSF_IJSE_SE_EEES9_SG_JZNS1_25segmented_radix_sort_implINS0_14default_configELb0EPKdPdPKlPlN2at6native12_GLOBAL__N_18offset_tEEE10hipError_tPvRmT1_PNSt15iterator_traitsISY_E10value_typeET2_T3_PNSZ_IS14_E10value_typeET4_jRbjT5_S1A_jjP12ihipStream_tbEUljE_EEESV_SW_SX_S14_S18_S1A_T6_T7_T9_mT8_S1C_bDpT10_ENKUlT_T0_E_clISt17integral_constantIbLb0EES1O_IbLb1EEEEDaS1K_S1L_EUlS1K_E_NS1_11comp_targetILNS1_3genE5ELNS1_11target_archE942ELNS1_3gpuE9ELNS1_3repE0EEENS1_30default_config_static_selectorELNS0_4arch9wavefront6targetE0EEEvSY_
; %bb.0:
	.section	.rodata,"a",@progbits
	.p2align	6, 0x0
	.amdhsa_kernel _ZN7rocprim17ROCPRIM_400000_NS6detail17trampoline_kernelINS0_13select_configILj256ELj13ELNS0_17block_load_methodE3ELS4_3ELS4_3ELNS0_20block_scan_algorithmE0ELj4294967295EEENS1_25partition_config_selectorILNS1_17partition_subalgoE3EjNS0_10empty_typeEbEEZZNS1_14partition_implILS8_3ELb0ES6_jNS0_17counting_iteratorIjlEEPS9_SE_NS0_5tupleIJPjSE_EEENSF_IJSE_SE_EEES9_SG_JZNS1_25segmented_radix_sort_implINS0_14default_configELb0EPKdPdPKlPlN2at6native12_GLOBAL__N_18offset_tEEE10hipError_tPvRmT1_PNSt15iterator_traitsISY_E10value_typeET2_T3_PNSZ_IS14_E10value_typeET4_jRbjT5_S1A_jjP12ihipStream_tbEUljE_EEESV_SW_SX_S14_S18_S1A_T6_T7_T9_mT8_S1C_bDpT10_ENKUlT_T0_E_clISt17integral_constantIbLb0EES1O_IbLb1EEEEDaS1K_S1L_EUlS1K_E_NS1_11comp_targetILNS1_3genE5ELNS1_11target_archE942ELNS1_3gpuE9ELNS1_3repE0EEENS1_30default_config_static_selectorELNS0_4arch9wavefront6targetE0EEEvSY_
		.amdhsa_group_segment_fixed_size 0
		.amdhsa_private_segment_fixed_size 0
		.amdhsa_kernarg_size 152
		.amdhsa_user_sgpr_count 2
		.amdhsa_user_sgpr_dispatch_ptr 0
		.amdhsa_user_sgpr_queue_ptr 0
		.amdhsa_user_sgpr_kernarg_segment_ptr 1
		.amdhsa_user_sgpr_dispatch_id 0
		.amdhsa_user_sgpr_private_segment_size 0
		.amdhsa_wavefront_size32 1
		.amdhsa_uses_dynamic_stack 0
		.amdhsa_enable_private_segment 0
		.amdhsa_system_sgpr_workgroup_id_x 1
		.amdhsa_system_sgpr_workgroup_id_y 0
		.amdhsa_system_sgpr_workgroup_id_z 0
		.amdhsa_system_sgpr_workgroup_info 0
		.amdhsa_system_vgpr_workitem_id 0
		.amdhsa_next_free_vgpr 1
		.amdhsa_next_free_sgpr 1
		.amdhsa_reserve_vcc 0
		.amdhsa_float_round_mode_32 0
		.amdhsa_float_round_mode_16_64 0
		.amdhsa_float_denorm_mode_32 3
		.amdhsa_float_denorm_mode_16_64 3
		.amdhsa_fp16_overflow 0
		.amdhsa_workgroup_processor_mode 1
		.amdhsa_memory_ordered 1
		.amdhsa_forward_progress 1
		.amdhsa_inst_pref_size 0
		.amdhsa_round_robin_scheduling 0
		.amdhsa_exception_fp_ieee_invalid_op 0
		.amdhsa_exception_fp_denorm_src 0
		.amdhsa_exception_fp_ieee_div_zero 0
		.amdhsa_exception_fp_ieee_overflow 0
		.amdhsa_exception_fp_ieee_underflow 0
		.amdhsa_exception_fp_ieee_inexact 0
		.amdhsa_exception_int_div_zero 0
	.end_amdhsa_kernel
	.section	.text._ZN7rocprim17ROCPRIM_400000_NS6detail17trampoline_kernelINS0_13select_configILj256ELj13ELNS0_17block_load_methodE3ELS4_3ELS4_3ELNS0_20block_scan_algorithmE0ELj4294967295EEENS1_25partition_config_selectorILNS1_17partition_subalgoE3EjNS0_10empty_typeEbEEZZNS1_14partition_implILS8_3ELb0ES6_jNS0_17counting_iteratorIjlEEPS9_SE_NS0_5tupleIJPjSE_EEENSF_IJSE_SE_EEES9_SG_JZNS1_25segmented_radix_sort_implINS0_14default_configELb0EPKdPdPKlPlN2at6native12_GLOBAL__N_18offset_tEEE10hipError_tPvRmT1_PNSt15iterator_traitsISY_E10value_typeET2_T3_PNSZ_IS14_E10value_typeET4_jRbjT5_S1A_jjP12ihipStream_tbEUljE_EEESV_SW_SX_S14_S18_S1A_T6_T7_T9_mT8_S1C_bDpT10_ENKUlT_T0_E_clISt17integral_constantIbLb0EES1O_IbLb1EEEEDaS1K_S1L_EUlS1K_E_NS1_11comp_targetILNS1_3genE5ELNS1_11target_archE942ELNS1_3gpuE9ELNS1_3repE0EEENS1_30default_config_static_selectorELNS0_4arch9wavefront6targetE0EEEvSY_,"axG",@progbits,_ZN7rocprim17ROCPRIM_400000_NS6detail17trampoline_kernelINS0_13select_configILj256ELj13ELNS0_17block_load_methodE3ELS4_3ELS4_3ELNS0_20block_scan_algorithmE0ELj4294967295EEENS1_25partition_config_selectorILNS1_17partition_subalgoE3EjNS0_10empty_typeEbEEZZNS1_14partition_implILS8_3ELb0ES6_jNS0_17counting_iteratorIjlEEPS9_SE_NS0_5tupleIJPjSE_EEENSF_IJSE_SE_EEES9_SG_JZNS1_25segmented_radix_sort_implINS0_14default_configELb0EPKdPdPKlPlN2at6native12_GLOBAL__N_18offset_tEEE10hipError_tPvRmT1_PNSt15iterator_traitsISY_E10value_typeET2_T3_PNSZ_IS14_E10value_typeET4_jRbjT5_S1A_jjP12ihipStream_tbEUljE_EEESV_SW_SX_S14_S18_S1A_T6_T7_T9_mT8_S1C_bDpT10_ENKUlT_T0_E_clISt17integral_constantIbLb0EES1O_IbLb1EEEEDaS1K_S1L_EUlS1K_E_NS1_11comp_targetILNS1_3genE5ELNS1_11target_archE942ELNS1_3gpuE9ELNS1_3repE0EEENS1_30default_config_static_selectorELNS0_4arch9wavefront6targetE0EEEvSY_,comdat
.Lfunc_end1214:
	.size	_ZN7rocprim17ROCPRIM_400000_NS6detail17trampoline_kernelINS0_13select_configILj256ELj13ELNS0_17block_load_methodE3ELS4_3ELS4_3ELNS0_20block_scan_algorithmE0ELj4294967295EEENS1_25partition_config_selectorILNS1_17partition_subalgoE3EjNS0_10empty_typeEbEEZZNS1_14partition_implILS8_3ELb0ES6_jNS0_17counting_iteratorIjlEEPS9_SE_NS0_5tupleIJPjSE_EEENSF_IJSE_SE_EEES9_SG_JZNS1_25segmented_radix_sort_implINS0_14default_configELb0EPKdPdPKlPlN2at6native12_GLOBAL__N_18offset_tEEE10hipError_tPvRmT1_PNSt15iterator_traitsISY_E10value_typeET2_T3_PNSZ_IS14_E10value_typeET4_jRbjT5_S1A_jjP12ihipStream_tbEUljE_EEESV_SW_SX_S14_S18_S1A_T6_T7_T9_mT8_S1C_bDpT10_ENKUlT_T0_E_clISt17integral_constantIbLb0EES1O_IbLb1EEEEDaS1K_S1L_EUlS1K_E_NS1_11comp_targetILNS1_3genE5ELNS1_11target_archE942ELNS1_3gpuE9ELNS1_3repE0EEENS1_30default_config_static_selectorELNS0_4arch9wavefront6targetE0EEEvSY_, .Lfunc_end1214-_ZN7rocprim17ROCPRIM_400000_NS6detail17trampoline_kernelINS0_13select_configILj256ELj13ELNS0_17block_load_methodE3ELS4_3ELS4_3ELNS0_20block_scan_algorithmE0ELj4294967295EEENS1_25partition_config_selectorILNS1_17partition_subalgoE3EjNS0_10empty_typeEbEEZZNS1_14partition_implILS8_3ELb0ES6_jNS0_17counting_iteratorIjlEEPS9_SE_NS0_5tupleIJPjSE_EEENSF_IJSE_SE_EEES9_SG_JZNS1_25segmented_radix_sort_implINS0_14default_configELb0EPKdPdPKlPlN2at6native12_GLOBAL__N_18offset_tEEE10hipError_tPvRmT1_PNSt15iterator_traitsISY_E10value_typeET2_T3_PNSZ_IS14_E10value_typeET4_jRbjT5_S1A_jjP12ihipStream_tbEUljE_EEESV_SW_SX_S14_S18_S1A_T6_T7_T9_mT8_S1C_bDpT10_ENKUlT_T0_E_clISt17integral_constantIbLb0EES1O_IbLb1EEEEDaS1K_S1L_EUlS1K_E_NS1_11comp_targetILNS1_3genE5ELNS1_11target_archE942ELNS1_3gpuE9ELNS1_3repE0EEENS1_30default_config_static_selectorELNS0_4arch9wavefront6targetE0EEEvSY_
                                        ; -- End function
	.set _ZN7rocprim17ROCPRIM_400000_NS6detail17trampoline_kernelINS0_13select_configILj256ELj13ELNS0_17block_load_methodE3ELS4_3ELS4_3ELNS0_20block_scan_algorithmE0ELj4294967295EEENS1_25partition_config_selectorILNS1_17partition_subalgoE3EjNS0_10empty_typeEbEEZZNS1_14partition_implILS8_3ELb0ES6_jNS0_17counting_iteratorIjlEEPS9_SE_NS0_5tupleIJPjSE_EEENSF_IJSE_SE_EEES9_SG_JZNS1_25segmented_radix_sort_implINS0_14default_configELb0EPKdPdPKlPlN2at6native12_GLOBAL__N_18offset_tEEE10hipError_tPvRmT1_PNSt15iterator_traitsISY_E10value_typeET2_T3_PNSZ_IS14_E10value_typeET4_jRbjT5_S1A_jjP12ihipStream_tbEUljE_EEESV_SW_SX_S14_S18_S1A_T6_T7_T9_mT8_S1C_bDpT10_ENKUlT_T0_E_clISt17integral_constantIbLb0EES1O_IbLb1EEEEDaS1K_S1L_EUlS1K_E_NS1_11comp_targetILNS1_3genE5ELNS1_11target_archE942ELNS1_3gpuE9ELNS1_3repE0EEENS1_30default_config_static_selectorELNS0_4arch9wavefront6targetE0EEEvSY_.num_vgpr, 0
	.set _ZN7rocprim17ROCPRIM_400000_NS6detail17trampoline_kernelINS0_13select_configILj256ELj13ELNS0_17block_load_methodE3ELS4_3ELS4_3ELNS0_20block_scan_algorithmE0ELj4294967295EEENS1_25partition_config_selectorILNS1_17partition_subalgoE3EjNS0_10empty_typeEbEEZZNS1_14partition_implILS8_3ELb0ES6_jNS0_17counting_iteratorIjlEEPS9_SE_NS0_5tupleIJPjSE_EEENSF_IJSE_SE_EEES9_SG_JZNS1_25segmented_radix_sort_implINS0_14default_configELb0EPKdPdPKlPlN2at6native12_GLOBAL__N_18offset_tEEE10hipError_tPvRmT1_PNSt15iterator_traitsISY_E10value_typeET2_T3_PNSZ_IS14_E10value_typeET4_jRbjT5_S1A_jjP12ihipStream_tbEUljE_EEESV_SW_SX_S14_S18_S1A_T6_T7_T9_mT8_S1C_bDpT10_ENKUlT_T0_E_clISt17integral_constantIbLb0EES1O_IbLb1EEEEDaS1K_S1L_EUlS1K_E_NS1_11comp_targetILNS1_3genE5ELNS1_11target_archE942ELNS1_3gpuE9ELNS1_3repE0EEENS1_30default_config_static_selectorELNS0_4arch9wavefront6targetE0EEEvSY_.num_agpr, 0
	.set _ZN7rocprim17ROCPRIM_400000_NS6detail17trampoline_kernelINS0_13select_configILj256ELj13ELNS0_17block_load_methodE3ELS4_3ELS4_3ELNS0_20block_scan_algorithmE0ELj4294967295EEENS1_25partition_config_selectorILNS1_17partition_subalgoE3EjNS0_10empty_typeEbEEZZNS1_14partition_implILS8_3ELb0ES6_jNS0_17counting_iteratorIjlEEPS9_SE_NS0_5tupleIJPjSE_EEENSF_IJSE_SE_EEES9_SG_JZNS1_25segmented_radix_sort_implINS0_14default_configELb0EPKdPdPKlPlN2at6native12_GLOBAL__N_18offset_tEEE10hipError_tPvRmT1_PNSt15iterator_traitsISY_E10value_typeET2_T3_PNSZ_IS14_E10value_typeET4_jRbjT5_S1A_jjP12ihipStream_tbEUljE_EEESV_SW_SX_S14_S18_S1A_T6_T7_T9_mT8_S1C_bDpT10_ENKUlT_T0_E_clISt17integral_constantIbLb0EES1O_IbLb1EEEEDaS1K_S1L_EUlS1K_E_NS1_11comp_targetILNS1_3genE5ELNS1_11target_archE942ELNS1_3gpuE9ELNS1_3repE0EEENS1_30default_config_static_selectorELNS0_4arch9wavefront6targetE0EEEvSY_.numbered_sgpr, 0
	.set _ZN7rocprim17ROCPRIM_400000_NS6detail17trampoline_kernelINS0_13select_configILj256ELj13ELNS0_17block_load_methodE3ELS4_3ELS4_3ELNS0_20block_scan_algorithmE0ELj4294967295EEENS1_25partition_config_selectorILNS1_17partition_subalgoE3EjNS0_10empty_typeEbEEZZNS1_14partition_implILS8_3ELb0ES6_jNS0_17counting_iteratorIjlEEPS9_SE_NS0_5tupleIJPjSE_EEENSF_IJSE_SE_EEES9_SG_JZNS1_25segmented_radix_sort_implINS0_14default_configELb0EPKdPdPKlPlN2at6native12_GLOBAL__N_18offset_tEEE10hipError_tPvRmT1_PNSt15iterator_traitsISY_E10value_typeET2_T3_PNSZ_IS14_E10value_typeET4_jRbjT5_S1A_jjP12ihipStream_tbEUljE_EEESV_SW_SX_S14_S18_S1A_T6_T7_T9_mT8_S1C_bDpT10_ENKUlT_T0_E_clISt17integral_constantIbLb0EES1O_IbLb1EEEEDaS1K_S1L_EUlS1K_E_NS1_11comp_targetILNS1_3genE5ELNS1_11target_archE942ELNS1_3gpuE9ELNS1_3repE0EEENS1_30default_config_static_selectorELNS0_4arch9wavefront6targetE0EEEvSY_.num_named_barrier, 0
	.set _ZN7rocprim17ROCPRIM_400000_NS6detail17trampoline_kernelINS0_13select_configILj256ELj13ELNS0_17block_load_methodE3ELS4_3ELS4_3ELNS0_20block_scan_algorithmE0ELj4294967295EEENS1_25partition_config_selectorILNS1_17partition_subalgoE3EjNS0_10empty_typeEbEEZZNS1_14partition_implILS8_3ELb0ES6_jNS0_17counting_iteratorIjlEEPS9_SE_NS0_5tupleIJPjSE_EEENSF_IJSE_SE_EEES9_SG_JZNS1_25segmented_radix_sort_implINS0_14default_configELb0EPKdPdPKlPlN2at6native12_GLOBAL__N_18offset_tEEE10hipError_tPvRmT1_PNSt15iterator_traitsISY_E10value_typeET2_T3_PNSZ_IS14_E10value_typeET4_jRbjT5_S1A_jjP12ihipStream_tbEUljE_EEESV_SW_SX_S14_S18_S1A_T6_T7_T9_mT8_S1C_bDpT10_ENKUlT_T0_E_clISt17integral_constantIbLb0EES1O_IbLb1EEEEDaS1K_S1L_EUlS1K_E_NS1_11comp_targetILNS1_3genE5ELNS1_11target_archE942ELNS1_3gpuE9ELNS1_3repE0EEENS1_30default_config_static_selectorELNS0_4arch9wavefront6targetE0EEEvSY_.private_seg_size, 0
	.set _ZN7rocprim17ROCPRIM_400000_NS6detail17trampoline_kernelINS0_13select_configILj256ELj13ELNS0_17block_load_methodE3ELS4_3ELS4_3ELNS0_20block_scan_algorithmE0ELj4294967295EEENS1_25partition_config_selectorILNS1_17partition_subalgoE3EjNS0_10empty_typeEbEEZZNS1_14partition_implILS8_3ELb0ES6_jNS0_17counting_iteratorIjlEEPS9_SE_NS0_5tupleIJPjSE_EEENSF_IJSE_SE_EEES9_SG_JZNS1_25segmented_radix_sort_implINS0_14default_configELb0EPKdPdPKlPlN2at6native12_GLOBAL__N_18offset_tEEE10hipError_tPvRmT1_PNSt15iterator_traitsISY_E10value_typeET2_T3_PNSZ_IS14_E10value_typeET4_jRbjT5_S1A_jjP12ihipStream_tbEUljE_EEESV_SW_SX_S14_S18_S1A_T6_T7_T9_mT8_S1C_bDpT10_ENKUlT_T0_E_clISt17integral_constantIbLb0EES1O_IbLb1EEEEDaS1K_S1L_EUlS1K_E_NS1_11comp_targetILNS1_3genE5ELNS1_11target_archE942ELNS1_3gpuE9ELNS1_3repE0EEENS1_30default_config_static_selectorELNS0_4arch9wavefront6targetE0EEEvSY_.uses_vcc, 0
	.set _ZN7rocprim17ROCPRIM_400000_NS6detail17trampoline_kernelINS0_13select_configILj256ELj13ELNS0_17block_load_methodE3ELS4_3ELS4_3ELNS0_20block_scan_algorithmE0ELj4294967295EEENS1_25partition_config_selectorILNS1_17partition_subalgoE3EjNS0_10empty_typeEbEEZZNS1_14partition_implILS8_3ELb0ES6_jNS0_17counting_iteratorIjlEEPS9_SE_NS0_5tupleIJPjSE_EEENSF_IJSE_SE_EEES9_SG_JZNS1_25segmented_radix_sort_implINS0_14default_configELb0EPKdPdPKlPlN2at6native12_GLOBAL__N_18offset_tEEE10hipError_tPvRmT1_PNSt15iterator_traitsISY_E10value_typeET2_T3_PNSZ_IS14_E10value_typeET4_jRbjT5_S1A_jjP12ihipStream_tbEUljE_EEESV_SW_SX_S14_S18_S1A_T6_T7_T9_mT8_S1C_bDpT10_ENKUlT_T0_E_clISt17integral_constantIbLb0EES1O_IbLb1EEEEDaS1K_S1L_EUlS1K_E_NS1_11comp_targetILNS1_3genE5ELNS1_11target_archE942ELNS1_3gpuE9ELNS1_3repE0EEENS1_30default_config_static_selectorELNS0_4arch9wavefront6targetE0EEEvSY_.uses_flat_scratch, 0
	.set _ZN7rocprim17ROCPRIM_400000_NS6detail17trampoline_kernelINS0_13select_configILj256ELj13ELNS0_17block_load_methodE3ELS4_3ELS4_3ELNS0_20block_scan_algorithmE0ELj4294967295EEENS1_25partition_config_selectorILNS1_17partition_subalgoE3EjNS0_10empty_typeEbEEZZNS1_14partition_implILS8_3ELb0ES6_jNS0_17counting_iteratorIjlEEPS9_SE_NS0_5tupleIJPjSE_EEENSF_IJSE_SE_EEES9_SG_JZNS1_25segmented_radix_sort_implINS0_14default_configELb0EPKdPdPKlPlN2at6native12_GLOBAL__N_18offset_tEEE10hipError_tPvRmT1_PNSt15iterator_traitsISY_E10value_typeET2_T3_PNSZ_IS14_E10value_typeET4_jRbjT5_S1A_jjP12ihipStream_tbEUljE_EEESV_SW_SX_S14_S18_S1A_T6_T7_T9_mT8_S1C_bDpT10_ENKUlT_T0_E_clISt17integral_constantIbLb0EES1O_IbLb1EEEEDaS1K_S1L_EUlS1K_E_NS1_11comp_targetILNS1_3genE5ELNS1_11target_archE942ELNS1_3gpuE9ELNS1_3repE0EEENS1_30default_config_static_selectorELNS0_4arch9wavefront6targetE0EEEvSY_.has_dyn_sized_stack, 0
	.set _ZN7rocprim17ROCPRIM_400000_NS6detail17trampoline_kernelINS0_13select_configILj256ELj13ELNS0_17block_load_methodE3ELS4_3ELS4_3ELNS0_20block_scan_algorithmE0ELj4294967295EEENS1_25partition_config_selectorILNS1_17partition_subalgoE3EjNS0_10empty_typeEbEEZZNS1_14partition_implILS8_3ELb0ES6_jNS0_17counting_iteratorIjlEEPS9_SE_NS0_5tupleIJPjSE_EEENSF_IJSE_SE_EEES9_SG_JZNS1_25segmented_radix_sort_implINS0_14default_configELb0EPKdPdPKlPlN2at6native12_GLOBAL__N_18offset_tEEE10hipError_tPvRmT1_PNSt15iterator_traitsISY_E10value_typeET2_T3_PNSZ_IS14_E10value_typeET4_jRbjT5_S1A_jjP12ihipStream_tbEUljE_EEESV_SW_SX_S14_S18_S1A_T6_T7_T9_mT8_S1C_bDpT10_ENKUlT_T0_E_clISt17integral_constantIbLb0EES1O_IbLb1EEEEDaS1K_S1L_EUlS1K_E_NS1_11comp_targetILNS1_3genE5ELNS1_11target_archE942ELNS1_3gpuE9ELNS1_3repE0EEENS1_30default_config_static_selectorELNS0_4arch9wavefront6targetE0EEEvSY_.has_recursion, 0
	.set _ZN7rocprim17ROCPRIM_400000_NS6detail17trampoline_kernelINS0_13select_configILj256ELj13ELNS0_17block_load_methodE3ELS4_3ELS4_3ELNS0_20block_scan_algorithmE0ELj4294967295EEENS1_25partition_config_selectorILNS1_17partition_subalgoE3EjNS0_10empty_typeEbEEZZNS1_14partition_implILS8_3ELb0ES6_jNS0_17counting_iteratorIjlEEPS9_SE_NS0_5tupleIJPjSE_EEENSF_IJSE_SE_EEES9_SG_JZNS1_25segmented_radix_sort_implINS0_14default_configELb0EPKdPdPKlPlN2at6native12_GLOBAL__N_18offset_tEEE10hipError_tPvRmT1_PNSt15iterator_traitsISY_E10value_typeET2_T3_PNSZ_IS14_E10value_typeET4_jRbjT5_S1A_jjP12ihipStream_tbEUljE_EEESV_SW_SX_S14_S18_S1A_T6_T7_T9_mT8_S1C_bDpT10_ENKUlT_T0_E_clISt17integral_constantIbLb0EES1O_IbLb1EEEEDaS1K_S1L_EUlS1K_E_NS1_11comp_targetILNS1_3genE5ELNS1_11target_archE942ELNS1_3gpuE9ELNS1_3repE0EEENS1_30default_config_static_selectorELNS0_4arch9wavefront6targetE0EEEvSY_.has_indirect_call, 0
	.section	.AMDGPU.csdata,"",@progbits
; Kernel info:
; codeLenInByte = 0
; TotalNumSgprs: 0
; NumVgprs: 0
; ScratchSize: 0
; MemoryBound: 0
; FloatMode: 240
; IeeeMode: 1
; LDSByteSize: 0 bytes/workgroup (compile time only)
; SGPRBlocks: 0
; VGPRBlocks: 0
; NumSGPRsForWavesPerEU: 1
; NumVGPRsForWavesPerEU: 1
; Occupancy: 16
; WaveLimiterHint : 0
; COMPUTE_PGM_RSRC2:SCRATCH_EN: 0
; COMPUTE_PGM_RSRC2:USER_SGPR: 2
; COMPUTE_PGM_RSRC2:TRAP_HANDLER: 0
; COMPUTE_PGM_RSRC2:TGID_X_EN: 1
; COMPUTE_PGM_RSRC2:TGID_Y_EN: 0
; COMPUTE_PGM_RSRC2:TGID_Z_EN: 0
; COMPUTE_PGM_RSRC2:TIDIG_COMP_CNT: 0
	.section	.text._ZN7rocprim17ROCPRIM_400000_NS6detail17trampoline_kernelINS0_13select_configILj256ELj13ELNS0_17block_load_methodE3ELS4_3ELS4_3ELNS0_20block_scan_algorithmE0ELj4294967295EEENS1_25partition_config_selectorILNS1_17partition_subalgoE3EjNS0_10empty_typeEbEEZZNS1_14partition_implILS8_3ELb0ES6_jNS0_17counting_iteratorIjlEEPS9_SE_NS0_5tupleIJPjSE_EEENSF_IJSE_SE_EEES9_SG_JZNS1_25segmented_radix_sort_implINS0_14default_configELb0EPKdPdPKlPlN2at6native12_GLOBAL__N_18offset_tEEE10hipError_tPvRmT1_PNSt15iterator_traitsISY_E10value_typeET2_T3_PNSZ_IS14_E10value_typeET4_jRbjT5_S1A_jjP12ihipStream_tbEUljE_EEESV_SW_SX_S14_S18_S1A_T6_T7_T9_mT8_S1C_bDpT10_ENKUlT_T0_E_clISt17integral_constantIbLb0EES1O_IbLb1EEEEDaS1K_S1L_EUlS1K_E_NS1_11comp_targetILNS1_3genE4ELNS1_11target_archE910ELNS1_3gpuE8ELNS1_3repE0EEENS1_30default_config_static_selectorELNS0_4arch9wavefront6targetE0EEEvSY_,"axG",@progbits,_ZN7rocprim17ROCPRIM_400000_NS6detail17trampoline_kernelINS0_13select_configILj256ELj13ELNS0_17block_load_methodE3ELS4_3ELS4_3ELNS0_20block_scan_algorithmE0ELj4294967295EEENS1_25partition_config_selectorILNS1_17partition_subalgoE3EjNS0_10empty_typeEbEEZZNS1_14partition_implILS8_3ELb0ES6_jNS0_17counting_iteratorIjlEEPS9_SE_NS0_5tupleIJPjSE_EEENSF_IJSE_SE_EEES9_SG_JZNS1_25segmented_radix_sort_implINS0_14default_configELb0EPKdPdPKlPlN2at6native12_GLOBAL__N_18offset_tEEE10hipError_tPvRmT1_PNSt15iterator_traitsISY_E10value_typeET2_T3_PNSZ_IS14_E10value_typeET4_jRbjT5_S1A_jjP12ihipStream_tbEUljE_EEESV_SW_SX_S14_S18_S1A_T6_T7_T9_mT8_S1C_bDpT10_ENKUlT_T0_E_clISt17integral_constantIbLb0EES1O_IbLb1EEEEDaS1K_S1L_EUlS1K_E_NS1_11comp_targetILNS1_3genE4ELNS1_11target_archE910ELNS1_3gpuE8ELNS1_3repE0EEENS1_30default_config_static_selectorELNS0_4arch9wavefront6targetE0EEEvSY_,comdat
	.globl	_ZN7rocprim17ROCPRIM_400000_NS6detail17trampoline_kernelINS0_13select_configILj256ELj13ELNS0_17block_load_methodE3ELS4_3ELS4_3ELNS0_20block_scan_algorithmE0ELj4294967295EEENS1_25partition_config_selectorILNS1_17partition_subalgoE3EjNS0_10empty_typeEbEEZZNS1_14partition_implILS8_3ELb0ES6_jNS0_17counting_iteratorIjlEEPS9_SE_NS0_5tupleIJPjSE_EEENSF_IJSE_SE_EEES9_SG_JZNS1_25segmented_radix_sort_implINS0_14default_configELb0EPKdPdPKlPlN2at6native12_GLOBAL__N_18offset_tEEE10hipError_tPvRmT1_PNSt15iterator_traitsISY_E10value_typeET2_T3_PNSZ_IS14_E10value_typeET4_jRbjT5_S1A_jjP12ihipStream_tbEUljE_EEESV_SW_SX_S14_S18_S1A_T6_T7_T9_mT8_S1C_bDpT10_ENKUlT_T0_E_clISt17integral_constantIbLb0EES1O_IbLb1EEEEDaS1K_S1L_EUlS1K_E_NS1_11comp_targetILNS1_3genE4ELNS1_11target_archE910ELNS1_3gpuE8ELNS1_3repE0EEENS1_30default_config_static_selectorELNS0_4arch9wavefront6targetE0EEEvSY_ ; -- Begin function _ZN7rocprim17ROCPRIM_400000_NS6detail17trampoline_kernelINS0_13select_configILj256ELj13ELNS0_17block_load_methodE3ELS4_3ELS4_3ELNS0_20block_scan_algorithmE0ELj4294967295EEENS1_25partition_config_selectorILNS1_17partition_subalgoE3EjNS0_10empty_typeEbEEZZNS1_14partition_implILS8_3ELb0ES6_jNS0_17counting_iteratorIjlEEPS9_SE_NS0_5tupleIJPjSE_EEENSF_IJSE_SE_EEES9_SG_JZNS1_25segmented_radix_sort_implINS0_14default_configELb0EPKdPdPKlPlN2at6native12_GLOBAL__N_18offset_tEEE10hipError_tPvRmT1_PNSt15iterator_traitsISY_E10value_typeET2_T3_PNSZ_IS14_E10value_typeET4_jRbjT5_S1A_jjP12ihipStream_tbEUljE_EEESV_SW_SX_S14_S18_S1A_T6_T7_T9_mT8_S1C_bDpT10_ENKUlT_T0_E_clISt17integral_constantIbLb0EES1O_IbLb1EEEEDaS1K_S1L_EUlS1K_E_NS1_11comp_targetILNS1_3genE4ELNS1_11target_archE910ELNS1_3gpuE8ELNS1_3repE0EEENS1_30default_config_static_selectorELNS0_4arch9wavefront6targetE0EEEvSY_
	.p2align	8
	.type	_ZN7rocprim17ROCPRIM_400000_NS6detail17trampoline_kernelINS0_13select_configILj256ELj13ELNS0_17block_load_methodE3ELS4_3ELS4_3ELNS0_20block_scan_algorithmE0ELj4294967295EEENS1_25partition_config_selectorILNS1_17partition_subalgoE3EjNS0_10empty_typeEbEEZZNS1_14partition_implILS8_3ELb0ES6_jNS0_17counting_iteratorIjlEEPS9_SE_NS0_5tupleIJPjSE_EEENSF_IJSE_SE_EEES9_SG_JZNS1_25segmented_radix_sort_implINS0_14default_configELb0EPKdPdPKlPlN2at6native12_GLOBAL__N_18offset_tEEE10hipError_tPvRmT1_PNSt15iterator_traitsISY_E10value_typeET2_T3_PNSZ_IS14_E10value_typeET4_jRbjT5_S1A_jjP12ihipStream_tbEUljE_EEESV_SW_SX_S14_S18_S1A_T6_T7_T9_mT8_S1C_bDpT10_ENKUlT_T0_E_clISt17integral_constantIbLb0EES1O_IbLb1EEEEDaS1K_S1L_EUlS1K_E_NS1_11comp_targetILNS1_3genE4ELNS1_11target_archE910ELNS1_3gpuE8ELNS1_3repE0EEENS1_30default_config_static_selectorELNS0_4arch9wavefront6targetE0EEEvSY_,@function
_ZN7rocprim17ROCPRIM_400000_NS6detail17trampoline_kernelINS0_13select_configILj256ELj13ELNS0_17block_load_methodE3ELS4_3ELS4_3ELNS0_20block_scan_algorithmE0ELj4294967295EEENS1_25partition_config_selectorILNS1_17partition_subalgoE3EjNS0_10empty_typeEbEEZZNS1_14partition_implILS8_3ELb0ES6_jNS0_17counting_iteratorIjlEEPS9_SE_NS0_5tupleIJPjSE_EEENSF_IJSE_SE_EEES9_SG_JZNS1_25segmented_radix_sort_implINS0_14default_configELb0EPKdPdPKlPlN2at6native12_GLOBAL__N_18offset_tEEE10hipError_tPvRmT1_PNSt15iterator_traitsISY_E10value_typeET2_T3_PNSZ_IS14_E10value_typeET4_jRbjT5_S1A_jjP12ihipStream_tbEUljE_EEESV_SW_SX_S14_S18_S1A_T6_T7_T9_mT8_S1C_bDpT10_ENKUlT_T0_E_clISt17integral_constantIbLb0EES1O_IbLb1EEEEDaS1K_S1L_EUlS1K_E_NS1_11comp_targetILNS1_3genE4ELNS1_11target_archE910ELNS1_3gpuE8ELNS1_3repE0EEENS1_30default_config_static_selectorELNS0_4arch9wavefront6targetE0EEEvSY_: ; @_ZN7rocprim17ROCPRIM_400000_NS6detail17trampoline_kernelINS0_13select_configILj256ELj13ELNS0_17block_load_methodE3ELS4_3ELS4_3ELNS0_20block_scan_algorithmE0ELj4294967295EEENS1_25partition_config_selectorILNS1_17partition_subalgoE3EjNS0_10empty_typeEbEEZZNS1_14partition_implILS8_3ELb0ES6_jNS0_17counting_iteratorIjlEEPS9_SE_NS0_5tupleIJPjSE_EEENSF_IJSE_SE_EEES9_SG_JZNS1_25segmented_radix_sort_implINS0_14default_configELb0EPKdPdPKlPlN2at6native12_GLOBAL__N_18offset_tEEE10hipError_tPvRmT1_PNSt15iterator_traitsISY_E10value_typeET2_T3_PNSZ_IS14_E10value_typeET4_jRbjT5_S1A_jjP12ihipStream_tbEUljE_EEESV_SW_SX_S14_S18_S1A_T6_T7_T9_mT8_S1C_bDpT10_ENKUlT_T0_E_clISt17integral_constantIbLb0EES1O_IbLb1EEEEDaS1K_S1L_EUlS1K_E_NS1_11comp_targetILNS1_3genE4ELNS1_11target_archE910ELNS1_3gpuE8ELNS1_3repE0EEENS1_30default_config_static_selectorELNS0_4arch9wavefront6targetE0EEEvSY_
; %bb.0:
	.section	.rodata,"a",@progbits
	.p2align	6, 0x0
	.amdhsa_kernel _ZN7rocprim17ROCPRIM_400000_NS6detail17trampoline_kernelINS0_13select_configILj256ELj13ELNS0_17block_load_methodE3ELS4_3ELS4_3ELNS0_20block_scan_algorithmE0ELj4294967295EEENS1_25partition_config_selectorILNS1_17partition_subalgoE3EjNS0_10empty_typeEbEEZZNS1_14partition_implILS8_3ELb0ES6_jNS0_17counting_iteratorIjlEEPS9_SE_NS0_5tupleIJPjSE_EEENSF_IJSE_SE_EEES9_SG_JZNS1_25segmented_radix_sort_implINS0_14default_configELb0EPKdPdPKlPlN2at6native12_GLOBAL__N_18offset_tEEE10hipError_tPvRmT1_PNSt15iterator_traitsISY_E10value_typeET2_T3_PNSZ_IS14_E10value_typeET4_jRbjT5_S1A_jjP12ihipStream_tbEUljE_EEESV_SW_SX_S14_S18_S1A_T6_T7_T9_mT8_S1C_bDpT10_ENKUlT_T0_E_clISt17integral_constantIbLb0EES1O_IbLb1EEEEDaS1K_S1L_EUlS1K_E_NS1_11comp_targetILNS1_3genE4ELNS1_11target_archE910ELNS1_3gpuE8ELNS1_3repE0EEENS1_30default_config_static_selectorELNS0_4arch9wavefront6targetE0EEEvSY_
		.amdhsa_group_segment_fixed_size 0
		.amdhsa_private_segment_fixed_size 0
		.amdhsa_kernarg_size 152
		.amdhsa_user_sgpr_count 2
		.amdhsa_user_sgpr_dispatch_ptr 0
		.amdhsa_user_sgpr_queue_ptr 0
		.amdhsa_user_sgpr_kernarg_segment_ptr 1
		.amdhsa_user_sgpr_dispatch_id 0
		.amdhsa_user_sgpr_private_segment_size 0
		.amdhsa_wavefront_size32 1
		.amdhsa_uses_dynamic_stack 0
		.amdhsa_enable_private_segment 0
		.amdhsa_system_sgpr_workgroup_id_x 1
		.amdhsa_system_sgpr_workgroup_id_y 0
		.amdhsa_system_sgpr_workgroup_id_z 0
		.amdhsa_system_sgpr_workgroup_info 0
		.amdhsa_system_vgpr_workitem_id 0
		.amdhsa_next_free_vgpr 1
		.amdhsa_next_free_sgpr 1
		.amdhsa_reserve_vcc 0
		.amdhsa_float_round_mode_32 0
		.amdhsa_float_round_mode_16_64 0
		.amdhsa_float_denorm_mode_32 3
		.amdhsa_float_denorm_mode_16_64 3
		.amdhsa_fp16_overflow 0
		.amdhsa_workgroup_processor_mode 1
		.amdhsa_memory_ordered 1
		.amdhsa_forward_progress 1
		.amdhsa_inst_pref_size 0
		.amdhsa_round_robin_scheduling 0
		.amdhsa_exception_fp_ieee_invalid_op 0
		.amdhsa_exception_fp_denorm_src 0
		.amdhsa_exception_fp_ieee_div_zero 0
		.amdhsa_exception_fp_ieee_overflow 0
		.amdhsa_exception_fp_ieee_underflow 0
		.amdhsa_exception_fp_ieee_inexact 0
		.amdhsa_exception_int_div_zero 0
	.end_amdhsa_kernel
	.section	.text._ZN7rocprim17ROCPRIM_400000_NS6detail17trampoline_kernelINS0_13select_configILj256ELj13ELNS0_17block_load_methodE3ELS4_3ELS4_3ELNS0_20block_scan_algorithmE0ELj4294967295EEENS1_25partition_config_selectorILNS1_17partition_subalgoE3EjNS0_10empty_typeEbEEZZNS1_14partition_implILS8_3ELb0ES6_jNS0_17counting_iteratorIjlEEPS9_SE_NS0_5tupleIJPjSE_EEENSF_IJSE_SE_EEES9_SG_JZNS1_25segmented_radix_sort_implINS0_14default_configELb0EPKdPdPKlPlN2at6native12_GLOBAL__N_18offset_tEEE10hipError_tPvRmT1_PNSt15iterator_traitsISY_E10value_typeET2_T3_PNSZ_IS14_E10value_typeET4_jRbjT5_S1A_jjP12ihipStream_tbEUljE_EEESV_SW_SX_S14_S18_S1A_T6_T7_T9_mT8_S1C_bDpT10_ENKUlT_T0_E_clISt17integral_constantIbLb0EES1O_IbLb1EEEEDaS1K_S1L_EUlS1K_E_NS1_11comp_targetILNS1_3genE4ELNS1_11target_archE910ELNS1_3gpuE8ELNS1_3repE0EEENS1_30default_config_static_selectorELNS0_4arch9wavefront6targetE0EEEvSY_,"axG",@progbits,_ZN7rocprim17ROCPRIM_400000_NS6detail17trampoline_kernelINS0_13select_configILj256ELj13ELNS0_17block_load_methodE3ELS4_3ELS4_3ELNS0_20block_scan_algorithmE0ELj4294967295EEENS1_25partition_config_selectorILNS1_17partition_subalgoE3EjNS0_10empty_typeEbEEZZNS1_14partition_implILS8_3ELb0ES6_jNS0_17counting_iteratorIjlEEPS9_SE_NS0_5tupleIJPjSE_EEENSF_IJSE_SE_EEES9_SG_JZNS1_25segmented_radix_sort_implINS0_14default_configELb0EPKdPdPKlPlN2at6native12_GLOBAL__N_18offset_tEEE10hipError_tPvRmT1_PNSt15iterator_traitsISY_E10value_typeET2_T3_PNSZ_IS14_E10value_typeET4_jRbjT5_S1A_jjP12ihipStream_tbEUljE_EEESV_SW_SX_S14_S18_S1A_T6_T7_T9_mT8_S1C_bDpT10_ENKUlT_T0_E_clISt17integral_constantIbLb0EES1O_IbLb1EEEEDaS1K_S1L_EUlS1K_E_NS1_11comp_targetILNS1_3genE4ELNS1_11target_archE910ELNS1_3gpuE8ELNS1_3repE0EEENS1_30default_config_static_selectorELNS0_4arch9wavefront6targetE0EEEvSY_,comdat
.Lfunc_end1215:
	.size	_ZN7rocprim17ROCPRIM_400000_NS6detail17trampoline_kernelINS0_13select_configILj256ELj13ELNS0_17block_load_methodE3ELS4_3ELS4_3ELNS0_20block_scan_algorithmE0ELj4294967295EEENS1_25partition_config_selectorILNS1_17partition_subalgoE3EjNS0_10empty_typeEbEEZZNS1_14partition_implILS8_3ELb0ES6_jNS0_17counting_iteratorIjlEEPS9_SE_NS0_5tupleIJPjSE_EEENSF_IJSE_SE_EEES9_SG_JZNS1_25segmented_radix_sort_implINS0_14default_configELb0EPKdPdPKlPlN2at6native12_GLOBAL__N_18offset_tEEE10hipError_tPvRmT1_PNSt15iterator_traitsISY_E10value_typeET2_T3_PNSZ_IS14_E10value_typeET4_jRbjT5_S1A_jjP12ihipStream_tbEUljE_EEESV_SW_SX_S14_S18_S1A_T6_T7_T9_mT8_S1C_bDpT10_ENKUlT_T0_E_clISt17integral_constantIbLb0EES1O_IbLb1EEEEDaS1K_S1L_EUlS1K_E_NS1_11comp_targetILNS1_3genE4ELNS1_11target_archE910ELNS1_3gpuE8ELNS1_3repE0EEENS1_30default_config_static_selectorELNS0_4arch9wavefront6targetE0EEEvSY_, .Lfunc_end1215-_ZN7rocprim17ROCPRIM_400000_NS6detail17trampoline_kernelINS0_13select_configILj256ELj13ELNS0_17block_load_methodE3ELS4_3ELS4_3ELNS0_20block_scan_algorithmE0ELj4294967295EEENS1_25partition_config_selectorILNS1_17partition_subalgoE3EjNS0_10empty_typeEbEEZZNS1_14partition_implILS8_3ELb0ES6_jNS0_17counting_iteratorIjlEEPS9_SE_NS0_5tupleIJPjSE_EEENSF_IJSE_SE_EEES9_SG_JZNS1_25segmented_radix_sort_implINS0_14default_configELb0EPKdPdPKlPlN2at6native12_GLOBAL__N_18offset_tEEE10hipError_tPvRmT1_PNSt15iterator_traitsISY_E10value_typeET2_T3_PNSZ_IS14_E10value_typeET4_jRbjT5_S1A_jjP12ihipStream_tbEUljE_EEESV_SW_SX_S14_S18_S1A_T6_T7_T9_mT8_S1C_bDpT10_ENKUlT_T0_E_clISt17integral_constantIbLb0EES1O_IbLb1EEEEDaS1K_S1L_EUlS1K_E_NS1_11comp_targetILNS1_3genE4ELNS1_11target_archE910ELNS1_3gpuE8ELNS1_3repE0EEENS1_30default_config_static_selectorELNS0_4arch9wavefront6targetE0EEEvSY_
                                        ; -- End function
	.set _ZN7rocprim17ROCPRIM_400000_NS6detail17trampoline_kernelINS0_13select_configILj256ELj13ELNS0_17block_load_methodE3ELS4_3ELS4_3ELNS0_20block_scan_algorithmE0ELj4294967295EEENS1_25partition_config_selectorILNS1_17partition_subalgoE3EjNS0_10empty_typeEbEEZZNS1_14partition_implILS8_3ELb0ES6_jNS0_17counting_iteratorIjlEEPS9_SE_NS0_5tupleIJPjSE_EEENSF_IJSE_SE_EEES9_SG_JZNS1_25segmented_radix_sort_implINS0_14default_configELb0EPKdPdPKlPlN2at6native12_GLOBAL__N_18offset_tEEE10hipError_tPvRmT1_PNSt15iterator_traitsISY_E10value_typeET2_T3_PNSZ_IS14_E10value_typeET4_jRbjT5_S1A_jjP12ihipStream_tbEUljE_EEESV_SW_SX_S14_S18_S1A_T6_T7_T9_mT8_S1C_bDpT10_ENKUlT_T0_E_clISt17integral_constantIbLb0EES1O_IbLb1EEEEDaS1K_S1L_EUlS1K_E_NS1_11comp_targetILNS1_3genE4ELNS1_11target_archE910ELNS1_3gpuE8ELNS1_3repE0EEENS1_30default_config_static_selectorELNS0_4arch9wavefront6targetE0EEEvSY_.num_vgpr, 0
	.set _ZN7rocprim17ROCPRIM_400000_NS6detail17trampoline_kernelINS0_13select_configILj256ELj13ELNS0_17block_load_methodE3ELS4_3ELS4_3ELNS0_20block_scan_algorithmE0ELj4294967295EEENS1_25partition_config_selectorILNS1_17partition_subalgoE3EjNS0_10empty_typeEbEEZZNS1_14partition_implILS8_3ELb0ES6_jNS0_17counting_iteratorIjlEEPS9_SE_NS0_5tupleIJPjSE_EEENSF_IJSE_SE_EEES9_SG_JZNS1_25segmented_radix_sort_implINS0_14default_configELb0EPKdPdPKlPlN2at6native12_GLOBAL__N_18offset_tEEE10hipError_tPvRmT1_PNSt15iterator_traitsISY_E10value_typeET2_T3_PNSZ_IS14_E10value_typeET4_jRbjT5_S1A_jjP12ihipStream_tbEUljE_EEESV_SW_SX_S14_S18_S1A_T6_T7_T9_mT8_S1C_bDpT10_ENKUlT_T0_E_clISt17integral_constantIbLb0EES1O_IbLb1EEEEDaS1K_S1L_EUlS1K_E_NS1_11comp_targetILNS1_3genE4ELNS1_11target_archE910ELNS1_3gpuE8ELNS1_3repE0EEENS1_30default_config_static_selectorELNS0_4arch9wavefront6targetE0EEEvSY_.num_agpr, 0
	.set _ZN7rocprim17ROCPRIM_400000_NS6detail17trampoline_kernelINS0_13select_configILj256ELj13ELNS0_17block_load_methodE3ELS4_3ELS4_3ELNS0_20block_scan_algorithmE0ELj4294967295EEENS1_25partition_config_selectorILNS1_17partition_subalgoE3EjNS0_10empty_typeEbEEZZNS1_14partition_implILS8_3ELb0ES6_jNS0_17counting_iteratorIjlEEPS9_SE_NS0_5tupleIJPjSE_EEENSF_IJSE_SE_EEES9_SG_JZNS1_25segmented_radix_sort_implINS0_14default_configELb0EPKdPdPKlPlN2at6native12_GLOBAL__N_18offset_tEEE10hipError_tPvRmT1_PNSt15iterator_traitsISY_E10value_typeET2_T3_PNSZ_IS14_E10value_typeET4_jRbjT5_S1A_jjP12ihipStream_tbEUljE_EEESV_SW_SX_S14_S18_S1A_T6_T7_T9_mT8_S1C_bDpT10_ENKUlT_T0_E_clISt17integral_constantIbLb0EES1O_IbLb1EEEEDaS1K_S1L_EUlS1K_E_NS1_11comp_targetILNS1_3genE4ELNS1_11target_archE910ELNS1_3gpuE8ELNS1_3repE0EEENS1_30default_config_static_selectorELNS0_4arch9wavefront6targetE0EEEvSY_.numbered_sgpr, 0
	.set _ZN7rocprim17ROCPRIM_400000_NS6detail17trampoline_kernelINS0_13select_configILj256ELj13ELNS0_17block_load_methodE3ELS4_3ELS4_3ELNS0_20block_scan_algorithmE0ELj4294967295EEENS1_25partition_config_selectorILNS1_17partition_subalgoE3EjNS0_10empty_typeEbEEZZNS1_14partition_implILS8_3ELb0ES6_jNS0_17counting_iteratorIjlEEPS9_SE_NS0_5tupleIJPjSE_EEENSF_IJSE_SE_EEES9_SG_JZNS1_25segmented_radix_sort_implINS0_14default_configELb0EPKdPdPKlPlN2at6native12_GLOBAL__N_18offset_tEEE10hipError_tPvRmT1_PNSt15iterator_traitsISY_E10value_typeET2_T3_PNSZ_IS14_E10value_typeET4_jRbjT5_S1A_jjP12ihipStream_tbEUljE_EEESV_SW_SX_S14_S18_S1A_T6_T7_T9_mT8_S1C_bDpT10_ENKUlT_T0_E_clISt17integral_constantIbLb0EES1O_IbLb1EEEEDaS1K_S1L_EUlS1K_E_NS1_11comp_targetILNS1_3genE4ELNS1_11target_archE910ELNS1_3gpuE8ELNS1_3repE0EEENS1_30default_config_static_selectorELNS0_4arch9wavefront6targetE0EEEvSY_.num_named_barrier, 0
	.set _ZN7rocprim17ROCPRIM_400000_NS6detail17trampoline_kernelINS0_13select_configILj256ELj13ELNS0_17block_load_methodE3ELS4_3ELS4_3ELNS0_20block_scan_algorithmE0ELj4294967295EEENS1_25partition_config_selectorILNS1_17partition_subalgoE3EjNS0_10empty_typeEbEEZZNS1_14partition_implILS8_3ELb0ES6_jNS0_17counting_iteratorIjlEEPS9_SE_NS0_5tupleIJPjSE_EEENSF_IJSE_SE_EEES9_SG_JZNS1_25segmented_radix_sort_implINS0_14default_configELb0EPKdPdPKlPlN2at6native12_GLOBAL__N_18offset_tEEE10hipError_tPvRmT1_PNSt15iterator_traitsISY_E10value_typeET2_T3_PNSZ_IS14_E10value_typeET4_jRbjT5_S1A_jjP12ihipStream_tbEUljE_EEESV_SW_SX_S14_S18_S1A_T6_T7_T9_mT8_S1C_bDpT10_ENKUlT_T0_E_clISt17integral_constantIbLb0EES1O_IbLb1EEEEDaS1K_S1L_EUlS1K_E_NS1_11comp_targetILNS1_3genE4ELNS1_11target_archE910ELNS1_3gpuE8ELNS1_3repE0EEENS1_30default_config_static_selectorELNS0_4arch9wavefront6targetE0EEEvSY_.private_seg_size, 0
	.set _ZN7rocprim17ROCPRIM_400000_NS6detail17trampoline_kernelINS0_13select_configILj256ELj13ELNS0_17block_load_methodE3ELS4_3ELS4_3ELNS0_20block_scan_algorithmE0ELj4294967295EEENS1_25partition_config_selectorILNS1_17partition_subalgoE3EjNS0_10empty_typeEbEEZZNS1_14partition_implILS8_3ELb0ES6_jNS0_17counting_iteratorIjlEEPS9_SE_NS0_5tupleIJPjSE_EEENSF_IJSE_SE_EEES9_SG_JZNS1_25segmented_radix_sort_implINS0_14default_configELb0EPKdPdPKlPlN2at6native12_GLOBAL__N_18offset_tEEE10hipError_tPvRmT1_PNSt15iterator_traitsISY_E10value_typeET2_T3_PNSZ_IS14_E10value_typeET4_jRbjT5_S1A_jjP12ihipStream_tbEUljE_EEESV_SW_SX_S14_S18_S1A_T6_T7_T9_mT8_S1C_bDpT10_ENKUlT_T0_E_clISt17integral_constantIbLb0EES1O_IbLb1EEEEDaS1K_S1L_EUlS1K_E_NS1_11comp_targetILNS1_3genE4ELNS1_11target_archE910ELNS1_3gpuE8ELNS1_3repE0EEENS1_30default_config_static_selectorELNS0_4arch9wavefront6targetE0EEEvSY_.uses_vcc, 0
	.set _ZN7rocprim17ROCPRIM_400000_NS6detail17trampoline_kernelINS0_13select_configILj256ELj13ELNS0_17block_load_methodE3ELS4_3ELS4_3ELNS0_20block_scan_algorithmE0ELj4294967295EEENS1_25partition_config_selectorILNS1_17partition_subalgoE3EjNS0_10empty_typeEbEEZZNS1_14partition_implILS8_3ELb0ES6_jNS0_17counting_iteratorIjlEEPS9_SE_NS0_5tupleIJPjSE_EEENSF_IJSE_SE_EEES9_SG_JZNS1_25segmented_radix_sort_implINS0_14default_configELb0EPKdPdPKlPlN2at6native12_GLOBAL__N_18offset_tEEE10hipError_tPvRmT1_PNSt15iterator_traitsISY_E10value_typeET2_T3_PNSZ_IS14_E10value_typeET4_jRbjT5_S1A_jjP12ihipStream_tbEUljE_EEESV_SW_SX_S14_S18_S1A_T6_T7_T9_mT8_S1C_bDpT10_ENKUlT_T0_E_clISt17integral_constantIbLb0EES1O_IbLb1EEEEDaS1K_S1L_EUlS1K_E_NS1_11comp_targetILNS1_3genE4ELNS1_11target_archE910ELNS1_3gpuE8ELNS1_3repE0EEENS1_30default_config_static_selectorELNS0_4arch9wavefront6targetE0EEEvSY_.uses_flat_scratch, 0
	.set _ZN7rocprim17ROCPRIM_400000_NS6detail17trampoline_kernelINS0_13select_configILj256ELj13ELNS0_17block_load_methodE3ELS4_3ELS4_3ELNS0_20block_scan_algorithmE0ELj4294967295EEENS1_25partition_config_selectorILNS1_17partition_subalgoE3EjNS0_10empty_typeEbEEZZNS1_14partition_implILS8_3ELb0ES6_jNS0_17counting_iteratorIjlEEPS9_SE_NS0_5tupleIJPjSE_EEENSF_IJSE_SE_EEES9_SG_JZNS1_25segmented_radix_sort_implINS0_14default_configELb0EPKdPdPKlPlN2at6native12_GLOBAL__N_18offset_tEEE10hipError_tPvRmT1_PNSt15iterator_traitsISY_E10value_typeET2_T3_PNSZ_IS14_E10value_typeET4_jRbjT5_S1A_jjP12ihipStream_tbEUljE_EEESV_SW_SX_S14_S18_S1A_T6_T7_T9_mT8_S1C_bDpT10_ENKUlT_T0_E_clISt17integral_constantIbLb0EES1O_IbLb1EEEEDaS1K_S1L_EUlS1K_E_NS1_11comp_targetILNS1_3genE4ELNS1_11target_archE910ELNS1_3gpuE8ELNS1_3repE0EEENS1_30default_config_static_selectorELNS0_4arch9wavefront6targetE0EEEvSY_.has_dyn_sized_stack, 0
	.set _ZN7rocprim17ROCPRIM_400000_NS6detail17trampoline_kernelINS0_13select_configILj256ELj13ELNS0_17block_load_methodE3ELS4_3ELS4_3ELNS0_20block_scan_algorithmE0ELj4294967295EEENS1_25partition_config_selectorILNS1_17partition_subalgoE3EjNS0_10empty_typeEbEEZZNS1_14partition_implILS8_3ELb0ES6_jNS0_17counting_iteratorIjlEEPS9_SE_NS0_5tupleIJPjSE_EEENSF_IJSE_SE_EEES9_SG_JZNS1_25segmented_radix_sort_implINS0_14default_configELb0EPKdPdPKlPlN2at6native12_GLOBAL__N_18offset_tEEE10hipError_tPvRmT1_PNSt15iterator_traitsISY_E10value_typeET2_T3_PNSZ_IS14_E10value_typeET4_jRbjT5_S1A_jjP12ihipStream_tbEUljE_EEESV_SW_SX_S14_S18_S1A_T6_T7_T9_mT8_S1C_bDpT10_ENKUlT_T0_E_clISt17integral_constantIbLb0EES1O_IbLb1EEEEDaS1K_S1L_EUlS1K_E_NS1_11comp_targetILNS1_3genE4ELNS1_11target_archE910ELNS1_3gpuE8ELNS1_3repE0EEENS1_30default_config_static_selectorELNS0_4arch9wavefront6targetE0EEEvSY_.has_recursion, 0
	.set _ZN7rocprim17ROCPRIM_400000_NS6detail17trampoline_kernelINS0_13select_configILj256ELj13ELNS0_17block_load_methodE3ELS4_3ELS4_3ELNS0_20block_scan_algorithmE0ELj4294967295EEENS1_25partition_config_selectorILNS1_17partition_subalgoE3EjNS0_10empty_typeEbEEZZNS1_14partition_implILS8_3ELb0ES6_jNS0_17counting_iteratorIjlEEPS9_SE_NS0_5tupleIJPjSE_EEENSF_IJSE_SE_EEES9_SG_JZNS1_25segmented_radix_sort_implINS0_14default_configELb0EPKdPdPKlPlN2at6native12_GLOBAL__N_18offset_tEEE10hipError_tPvRmT1_PNSt15iterator_traitsISY_E10value_typeET2_T3_PNSZ_IS14_E10value_typeET4_jRbjT5_S1A_jjP12ihipStream_tbEUljE_EEESV_SW_SX_S14_S18_S1A_T6_T7_T9_mT8_S1C_bDpT10_ENKUlT_T0_E_clISt17integral_constantIbLb0EES1O_IbLb1EEEEDaS1K_S1L_EUlS1K_E_NS1_11comp_targetILNS1_3genE4ELNS1_11target_archE910ELNS1_3gpuE8ELNS1_3repE0EEENS1_30default_config_static_selectorELNS0_4arch9wavefront6targetE0EEEvSY_.has_indirect_call, 0
	.section	.AMDGPU.csdata,"",@progbits
; Kernel info:
; codeLenInByte = 0
; TotalNumSgprs: 0
; NumVgprs: 0
; ScratchSize: 0
; MemoryBound: 0
; FloatMode: 240
; IeeeMode: 1
; LDSByteSize: 0 bytes/workgroup (compile time only)
; SGPRBlocks: 0
; VGPRBlocks: 0
; NumSGPRsForWavesPerEU: 1
; NumVGPRsForWavesPerEU: 1
; Occupancy: 16
; WaveLimiterHint : 0
; COMPUTE_PGM_RSRC2:SCRATCH_EN: 0
; COMPUTE_PGM_RSRC2:USER_SGPR: 2
; COMPUTE_PGM_RSRC2:TRAP_HANDLER: 0
; COMPUTE_PGM_RSRC2:TGID_X_EN: 1
; COMPUTE_PGM_RSRC2:TGID_Y_EN: 0
; COMPUTE_PGM_RSRC2:TGID_Z_EN: 0
; COMPUTE_PGM_RSRC2:TIDIG_COMP_CNT: 0
	.section	.text._ZN7rocprim17ROCPRIM_400000_NS6detail17trampoline_kernelINS0_13select_configILj256ELj13ELNS0_17block_load_methodE3ELS4_3ELS4_3ELNS0_20block_scan_algorithmE0ELj4294967295EEENS1_25partition_config_selectorILNS1_17partition_subalgoE3EjNS0_10empty_typeEbEEZZNS1_14partition_implILS8_3ELb0ES6_jNS0_17counting_iteratorIjlEEPS9_SE_NS0_5tupleIJPjSE_EEENSF_IJSE_SE_EEES9_SG_JZNS1_25segmented_radix_sort_implINS0_14default_configELb0EPKdPdPKlPlN2at6native12_GLOBAL__N_18offset_tEEE10hipError_tPvRmT1_PNSt15iterator_traitsISY_E10value_typeET2_T3_PNSZ_IS14_E10value_typeET4_jRbjT5_S1A_jjP12ihipStream_tbEUljE_EEESV_SW_SX_S14_S18_S1A_T6_T7_T9_mT8_S1C_bDpT10_ENKUlT_T0_E_clISt17integral_constantIbLb0EES1O_IbLb1EEEEDaS1K_S1L_EUlS1K_E_NS1_11comp_targetILNS1_3genE3ELNS1_11target_archE908ELNS1_3gpuE7ELNS1_3repE0EEENS1_30default_config_static_selectorELNS0_4arch9wavefront6targetE0EEEvSY_,"axG",@progbits,_ZN7rocprim17ROCPRIM_400000_NS6detail17trampoline_kernelINS0_13select_configILj256ELj13ELNS0_17block_load_methodE3ELS4_3ELS4_3ELNS0_20block_scan_algorithmE0ELj4294967295EEENS1_25partition_config_selectorILNS1_17partition_subalgoE3EjNS0_10empty_typeEbEEZZNS1_14partition_implILS8_3ELb0ES6_jNS0_17counting_iteratorIjlEEPS9_SE_NS0_5tupleIJPjSE_EEENSF_IJSE_SE_EEES9_SG_JZNS1_25segmented_radix_sort_implINS0_14default_configELb0EPKdPdPKlPlN2at6native12_GLOBAL__N_18offset_tEEE10hipError_tPvRmT1_PNSt15iterator_traitsISY_E10value_typeET2_T3_PNSZ_IS14_E10value_typeET4_jRbjT5_S1A_jjP12ihipStream_tbEUljE_EEESV_SW_SX_S14_S18_S1A_T6_T7_T9_mT8_S1C_bDpT10_ENKUlT_T0_E_clISt17integral_constantIbLb0EES1O_IbLb1EEEEDaS1K_S1L_EUlS1K_E_NS1_11comp_targetILNS1_3genE3ELNS1_11target_archE908ELNS1_3gpuE7ELNS1_3repE0EEENS1_30default_config_static_selectorELNS0_4arch9wavefront6targetE0EEEvSY_,comdat
	.globl	_ZN7rocprim17ROCPRIM_400000_NS6detail17trampoline_kernelINS0_13select_configILj256ELj13ELNS0_17block_load_methodE3ELS4_3ELS4_3ELNS0_20block_scan_algorithmE0ELj4294967295EEENS1_25partition_config_selectorILNS1_17partition_subalgoE3EjNS0_10empty_typeEbEEZZNS1_14partition_implILS8_3ELb0ES6_jNS0_17counting_iteratorIjlEEPS9_SE_NS0_5tupleIJPjSE_EEENSF_IJSE_SE_EEES9_SG_JZNS1_25segmented_radix_sort_implINS0_14default_configELb0EPKdPdPKlPlN2at6native12_GLOBAL__N_18offset_tEEE10hipError_tPvRmT1_PNSt15iterator_traitsISY_E10value_typeET2_T3_PNSZ_IS14_E10value_typeET4_jRbjT5_S1A_jjP12ihipStream_tbEUljE_EEESV_SW_SX_S14_S18_S1A_T6_T7_T9_mT8_S1C_bDpT10_ENKUlT_T0_E_clISt17integral_constantIbLb0EES1O_IbLb1EEEEDaS1K_S1L_EUlS1K_E_NS1_11comp_targetILNS1_3genE3ELNS1_11target_archE908ELNS1_3gpuE7ELNS1_3repE0EEENS1_30default_config_static_selectorELNS0_4arch9wavefront6targetE0EEEvSY_ ; -- Begin function _ZN7rocprim17ROCPRIM_400000_NS6detail17trampoline_kernelINS0_13select_configILj256ELj13ELNS0_17block_load_methodE3ELS4_3ELS4_3ELNS0_20block_scan_algorithmE0ELj4294967295EEENS1_25partition_config_selectorILNS1_17partition_subalgoE3EjNS0_10empty_typeEbEEZZNS1_14partition_implILS8_3ELb0ES6_jNS0_17counting_iteratorIjlEEPS9_SE_NS0_5tupleIJPjSE_EEENSF_IJSE_SE_EEES9_SG_JZNS1_25segmented_radix_sort_implINS0_14default_configELb0EPKdPdPKlPlN2at6native12_GLOBAL__N_18offset_tEEE10hipError_tPvRmT1_PNSt15iterator_traitsISY_E10value_typeET2_T3_PNSZ_IS14_E10value_typeET4_jRbjT5_S1A_jjP12ihipStream_tbEUljE_EEESV_SW_SX_S14_S18_S1A_T6_T7_T9_mT8_S1C_bDpT10_ENKUlT_T0_E_clISt17integral_constantIbLb0EES1O_IbLb1EEEEDaS1K_S1L_EUlS1K_E_NS1_11comp_targetILNS1_3genE3ELNS1_11target_archE908ELNS1_3gpuE7ELNS1_3repE0EEENS1_30default_config_static_selectorELNS0_4arch9wavefront6targetE0EEEvSY_
	.p2align	8
	.type	_ZN7rocprim17ROCPRIM_400000_NS6detail17trampoline_kernelINS0_13select_configILj256ELj13ELNS0_17block_load_methodE3ELS4_3ELS4_3ELNS0_20block_scan_algorithmE0ELj4294967295EEENS1_25partition_config_selectorILNS1_17partition_subalgoE3EjNS0_10empty_typeEbEEZZNS1_14partition_implILS8_3ELb0ES6_jNS0_17counting_iteratorIjlEEPS9_SE_NS0_5tupleIJPjSE_EEENSF_IJSE_SE_EEES9_SG_JZNS1_25segmented_radix_sort_implINS0_14default_configELb0EPKdPdPKlPlN2at6native12_GLOBAL__N_18offset_tEEE10hipError_tPvRmT1_PNSt15iterator_traitsISY_E10value_typeET2_T3_PNSZ_IS14_E10value_typeET4_jRbjT5_S1A_jjP12ihipStream_tbEUljE_EEESV_SW_SX_S14_S18_S1A_T6_T7_T9_mT8_S1C_bDpT10_ENKUlT_T0_E_clISt17integral_constantIbLb0EES1O_IbLb1EEEEDaS1K_S1L_EUlS1K_E_NS1_11comp_targetILNS1_3genE3ELNS1_11target_archE908ELNS1_3gpuE7ELNS1_3repE0EEENS1_30default_config_static_selectorELNS0_4arch9wavefront6targetE0EEEvSY_,@function
_ZN7rocprim17ROCPRIM_400000_NS6detail17trampoline_kernelINS0_13select_configILj256ELj13ELNS0_17block_load_methodE3ELS4_3ELS4_3ELNS0_20block_scan_algorithmE0ELj4294967295EEENS1_25partition_config_selectorILNS1_17partition_subalgoE3EjNS0_10empty_typeEbEEZZNS1_14partition_implILS8_3ELb0ES6_jNS0_17counting_iteratorIjlEEPS9_SE_NS0_5tupleIJPjSE_EEENSF_IJSE_SE_EEES9_SG_JZNS1_25segmented_radix_sort_implINS0_14default_configELb0EPKdPdPKlPlN2at6native12_GLOBAL__N_18offset_tEEE10hipError_tPvRmT1_PNSt15iterator_traitsISY_E10value_typeET2_T3_PNSZ_IS14_E10value_typeET4_jRbjT5_S1A_jjP12ihipStream_tbEUljE_EEESV_SW_SX_S14_S18_S1A_T6_T7_T9_mT8_S1C_bDpT10_ENKUlT_T0_E_clISt17integral_constantIbLb0EES1O_IbLb1EEEEDaS1K_S1L_EUlS1K_E_NS1_11comp_targetILNS1_3genE3ELNS1_11target_archE908ELNS1_3gpuE7ELNS1_3repE0EEENS1_30default_config_static_selectorELNS0_4arch9wavefront6targetE0EEEvSY_: ; @_ZN7rocprim17ROCPRIM_400000_NS6detail17trampoline_kernelINS0_13select_configILj256ELj13ELNS0_17block_load_methodE3ELS4_3ELS4_3ELNS0_20block_scan_algorithmE0ELj4294967295EEENS1_25partition_config_selectorILNS1_17partition_subalgoE3EjNS0_10empty_typeEbEEZZNS1_14partition_implILS8_3ELb0ES6_jNS0_17counting_iteratorIjlEEPS9_SE_NS0_5tupleIJPjSE_EEENSF_IJSE_SE_EEES9_SG_JZNS1_25segmented_radix_sort_implINS0_14default_configELb0EPKdPdPKlPlN2at6native12_GLOBAL__N_18offset_tEEE10hipError_tPvRmT1_PNSt15iterator_traitsISY_E10value_typeET2_T3_PNSZ_IS14_E10value_typeET4_jRbjT5_S1A_jjP12ihipStream_tbEUljE_EEESV_SW_SX_S14_S18_S1A_T6_T7_T9_mT8_S1C_bDpT10_ENKUlT_T0_E_clISt17integral_constantIbLb0EES1O_IbLb1EEEEDaS1K_S1L_EUlS1K_E_NS1_11comp_targetILNS1_3genE3ELNS1_11target_archE908ELNS1_3gpuE7ELNS1_3repE0EEENS1_30default_config_static_selectorELNS0_4arch9wavefront6targetE0EEEvSY_
; %bb.0:
	.section	.rodata,"a",@progbits
	.p2align	6, 0x0
	.amdhsa_kernel _ZN7rocprim17ROCPRIM_400000_NS6detail17trampoline_kernelINS0_13select_configILj256ELj13ELNS0_17block_load_methodE3ELS4_3ELS4_3ELNS0_20block_scan_algorithmE0ELj4294967295EEENS1_25partition_config_selectorILNS1_17partition_subalgoE3EjNS0_10empty_typeEbEEZZNS1_14partition_implILS8_3ELb0ES6_jNS0_17counting_iteratorIjlEEPS9_SE_NS0_5tupleIJPjSE_EEENSF_IJSE_SE_EEES9_SG_JZNS1_25segmented_radix_sort_implINS0_14default_configELb0EPKdPdPKlPlN2at6native12_GLOBAL__N_18offset_tEEE10hipError_tPvRmT1_PNSt15iterator_traitsISY_E10value_typeET2_T3_PNSZ_IS14_E10value_typeET4_jRbjT5_S1A_jjP12ihipStream_tbEUljE_EEESV_SW_SX_S14_S18_S1A_T6_T7_T9_mT8_S1C_bDpT10_ENKUlT_T0_E_clISt17integral_constantIbLb0EES1O_IbLb1EEEEDaS1K_S1L_EUlS1K_E_NS1_11comp_targetILNS1_3genE3ELNS1_11target_archE908ELNS1_3gpuE7ELNS1_3repE0EEENS1_30default_config_static_selectorELNS0_4arch9wavefront6targetE0EEEvSY_
		.amdhsa_group_segment_fixed_size 0
		.amdhsa_private_segment_fixed_size 0
		.amdhsa_kernarg_size 152
		.amdhsa_user_sgpr_count 2
		.amdhsa_user_sgpr_dispatch_ptr 0
		.amdhsa_user_sgpr_queue_ptr 0
		.amdhsa_user_sgpr_kernarg_segment_ptr 1
		.amdhsa_user_sgpr_dispatch_id 0
		.amdhsa_user_sgpr_private_segment_size 0
		.amdhsa_wavefront_size32 1
		.amdhsa_uses_dynamic_stack 0
		.amdhsa_enable_private_segment 0
		.amdhsa_system_sgpr_workgroup_id_x 1
		.amdhsa_system_sgpr_workgroup_id_y 0
		.amdhsa_system_sgpr_workgroup_id_z 0
		.amdhsa_system_sgpr_workgroup_info 0
		.amdhsa_system_vgpr_workitem_id 0
		.amdhsa_next_free_vgpr 1
		.amdhsa_next_free_sgpr 1
		.amdhsa_reserve_vcc 0
		.amdhsa_float_round_mode_32 0
		.amdhsa_float_round_mode_16_64 0
		.amdhsa_float_denorm_mode_32 3
		.amdhsa_float_denorm_mode_16_64 3
		.amdhsa_fp16_overflow 0
		.amdhsa_workgroup_processor_mode 1
		.amdhsa_memory_ordered 1
		.amdhsa_forward_progress 1
		.amdhsa_inst_pref_size 0
		.amdhsa_round_robin_scheduling 0
		.amdhsa_exception_fp_ieee_invalid_op 0
		.amdhsa_exception_fp_denorm_src 0
		.amdhsa_exception_fp_ieee_div_zero 0
		.amdhsa_exception_fp_ieee_overflow 0
		.amdhsa_exception_fp_ieee_underflow 0
		.amdhsa_exception_fp_ieee_inexact 0
		.amdhsa_exception_int_div_zero 0
	.end_amdhsa_kernel
	.section	.text._ZN7rocprim17ROCPRIM_400000_NS6detail17trampoline_kernelINS0_13select_configILj256ELj13ELNS0_17block_load_methodE3ELS4_3ELS4_3ELNS0_20block_scan_algorithmE0ELj4294967295EEENS1_25partition_config_selectorILNS1_17partition_subalgoE3EjNS0_10empty_typeEbEEZZNS1_14partition_implILS8_3ELb0ES6_jNS0_17counting_iteratorIjlEEPS9_SE_NS0_5tupleIJPjSE_EEENSF_IJSE_SE_EEES9_SG_JZNS1_25segmented_radix_sort_implINS0_14default_configELb0EPKdPdPKlPlN2at6native12_GLOBAL__N_18offset_tEEE10hipError_tPvRmT1_PNSt15iterator_traitsISY_E10value_typeET2_T3_PNSZ_IS14_E10value_typeET4_jRbjT5_S1A_jjP12ihipStream_tbEUljE_EEESV_SW_SX_S14_S18_S1A_T6_T7_T9_mT8_S1C_bDpT10_ENKUlT_T0_E_clISt17integral_constantIbLb0EES1O_IbLb1EEEEDaS1K_S1L_EUlS1K_E_NS1_11comp_targetILNS1_3genE3ELNS1_11target_archE908ELNS1_3gpuE7ELNS1_3repE0EEENS1_30default_config_static_selectorELNS0_4arch9wavefront6targetE0EEEvSY_,"axG",@progbits,_ZN7rocprim17ROCPRIM_400000_NS6detail17trampoline_kernelINS0_13select_configILj256ELj13ELNS0_17block_load_methodE3ELS4_3ELS4_3ELNS0_20block_scan_algorithmE0ELj4294967295EEENS1_25partition_config_selectorILNS1_17partition_subalgoE3EjNS0_10empty_typeEbEEZZNS1_14partition_implILS8_3ELb0ES6_jNS0_17counting_iteratorIjlEEPS9_SE_NS0_5tupleIJPjSE_EEENSF_IJSE_SE_EEES9_SG_JZNS1_25segmented_radix_sort_implINS0_14default_configELb0EPKdPdPKlPlN2at6native12_GLOBAL__N_18offset_tEEE10hipError_tPvRmT1_PNSt15iterator_traitsISY_E10value_typeET2_T3_PNSZ_IS14_E10value_typeET4_jRbjT5_S1A_jjP12ihipStream_tbEUljE_EEESV_SW_SX_S14_S18_S1A_T6_T7_T9_mT8_S1C_bDpT10_ENKUlT_T0_E_clISt17integral_constantIbLb0EES1O_IbLb1EEEEDaS1K_S1L_EUlS1K_E_NS1_11comp_targetILNS1_3genE3ELNS1_11target_archE908ELNS1_3gpuE7ELNS1_3repE0EEENS1_30default_config_static_selectorELNS0_4arch9wavefront6targetE0EEEvSY_,comdat
.Lfunc_end1216:
	.size	_ZN7rocprim17ROCPRIM_400000_NS6detail17trampoline_kernelINS0_13select_configILj256ELj13ELNS0_17block_load_methodE3ELS4_3ELS4_3ELNS0_20block_scan_algorithmE0ELj4294967295EEENS1_25partition_config_selectorILNS1_17partition_subalgoE3EjNS0_10empty_typeEbEEZZNS1_14partition_implILS8_3ELb0ES6_jNS0_17counting_iteratorIjlEEPS9_SE_NS0_5tupleIJPjSE_EEENSF_IJSE_SE_EEES9_SG_JZNS1_25segmented_radix_sort_implINS0_14default_configELb0EPKdPdPKlPlN2at6native12_GLOBAL__N_18offset_tEEE10hipError_tPvRmT1_PNSt15iterator_traitsISY_E10value_typeET2_T3_PNSZ_IS14_E10value_typeET4_jRbjT5_S1A_jjP12ihipStream_tbEUljE_EEESV_SW_SX_S14_S18_S1A_T6_T7_T9_mT8_S1C_bDpT10_ENKUlT_T0_E_clISt17integral_constantIbLb0EES1O_IbLb1EEEEDaS1K_S1L_EUlS1K_E_NS1_11comp_targetILNS1_3genE3ELNS1_11target_archE908ELNS1_3gpuE7ELNS1_3repE0EEENS1_30default_config_static_selectorELNS0_4arch9wavefront6targetE0EEEvSY_, .Lfunc_end1216-_ZN7rocprim17ROCPRIM_400000_NS6detail17trampoline_kernelINS0_13select_configILj256ELj13ELNS0_17block_load_methodE3ELS4_3ELS4_3ELNS0_20block_scan_algorithmE0ELj4294967295EEENS1_25partition_config_selectorILNS1_17partition_subalgoE3EjNS0_10empty_typeEbEEZZNS1_14partition_implILS8_3ELb0ES6_jNS0_17counting_iteratorIjlEEPS9_SE_NS0_5tupleIJPjSE_EEENSF_IJSE_SE_EEES9_SG_JZNS1_25segmented_radix_sort_implINS0_14default_configELb0EPKdPdPKlPlN2at6native12_GLOBAL__N_18offset_tEEE10hipError_tPvRmT1_PNSt15iterator_traitsISY_E10value_typeET2_T3_PNSZ_IS14_E10value_typeET4_jRbjT5_S1A_jjP12ihipStream_tbEUljE_EEESV_SW_SX_S14_S18_S1A_T6_T7_T9_mT8_S1C_bDpT10_ENKUlT_T0_E_clISt17integral_constantIbLb0EES1O_IbLb1EEEEDaS1K_S1L_EUlS1K_E_NS1_11comp_targetILNS1_3genE3ELNS1_11target_archE908ELNS1_3gpuE7ELNS1_3repE0EEENS1_30default_config_static_selectorELNS0_4arch9wavefront6targetE0EEEvSY_
                                        ; -- End function
	.set _ZN7rocprim17ROCPRIM_400000_NS6detail17trampoline_kernelINS0_13select_configILj256ELj13ELNS0_17block_load_methodE3ELS4_3ELS4_3ELNS0_20block_scan_algorithmE0ELj4294967295EEENS1_25partition_config_selectorILNS1_17partition_subalgoE3EjNS0_10empty_typeEbEEZZNS1_14partition_implILS8_3ELb0ES6_jNS0_17counting_iteratorIjlEEPS9_SE_NS0_5tupleIJPjSE_EEENSF_IJSE_SE_EEES9_SG_JZNS1_25segmented_radix_sort_implINS0_14default_configELb0EPKdPdPKlPlN2at6native12_GLOBAL__N_18offset_tEEE10hipError_tPvRmT1_PNSt15iterator_traitsISY_E10value_typeET2_T3_PNSZ_IS14_E10value_typeET4_jRbjT5_S1A_jjP12ihipStream_tbEUljE_EEESV_SW_SX_S14_S18_S1A_T6_T7_T9_mT8_S1C_bDpT10_ENKUlT_T0_E_clISt17integral_constantIbLb0EES1O_IbLb1EEEEDaS1K_S1L_EUlS1K_E_NS1_11comp_targetILNS1_3genE3ELNS1_11target_archE908ELNS1_3gpuE7ELNS1_3repE0EEENS1_30default_config_static_selectorELNS0_4arch9wavefront6targetE0EEEvSY_.num_vgpr, 0
	.set _ZN7rocprim17ROCPRIM_400000_NS6detail17trampoline_kernelINS0_13select_configILj256ELj13ELNS0_17block_load_methodE3ELS4_3ELS4_3ELNS0_20block_scan_algorithmE0ELj4294967295EEENS1_25partition_config_selectorILNS1_17partition_subalgoE3EjNS0_10empty_typeEbEEZZNS1_14partition_implILS8_3ELb0ES6_jNS0_17counting_iteratorIjlEEPS9_SE_NS0_5tupleIJPjSE_EEENSF_IJSE_SE_EEES9_SG_JZNS1_25segmented_radix_sort_implINS0_14default_configELb0EPKdPdPKlPlN2at6native12_GLOBAL__N_18offset_tEEE10hipError_tPvRmT1_PNSt15iterator_traitsISY_E10value_typeET2_T3_PNSZ_IS14_E10value_typeET4_jRbjT5_S1A_jjP12ihipStream_tbEUljE_EEESV_SW_SX_S14_S18_S1A_T6_T7_T9_mT8_S1C_bDpT10_ENKUlT_T0_E_clISt17integral_constantIbLb0EES1O_IbLb1EEEEDaS1K_S1L_EUlS1K_E_NS1_11comp_targetILNS1_3genE3ELNS1_11target_archE908ELNS1_3gpuE7ELNS1_3repE0EEENS1_30default_config_static_selectorELNS0_4arch9wavefront6targetE0EEEvSY_.num_agpr, 0
	.set _ZN7rocprim17ROCPRIM_400000_NS6detail17trampoline_kernelINS0_13select_configILj256ELj13ELNS0_17block_load_methodE3ELS4_3ELS4_3ELNS0_20block_scan_algorithmE0ELj4294967295EEENS1_25partition_config_selectorILNS1_17partition_subalgoE3EjNS0_10empty_typeEbEEZZNS1_14partition_implILS8_3ELb0ES6_jNS0_17counting_iteratorIjlEEPS9_SE_NS0_5tupleIJPjSE_EEENSF_IJSE_SE_EEES9_SG_JZNS1_25segmented_radix_sort_implINS0_14default_configELb0EPKdPdPKlPlN2at6native12_GLOBAL__N_18offset_tEEE10hipError_tPvRmT1_PNSt15iterator_traitsISY_E10value_typeET2_T3_PNSZ_IS14_E10value_typeET4_jRbjT5_S1A_jjP12ihipStream_tbEUljE_EEESV_SW_SX_S14_S18_S1A_T6_T7_T9_mT8_S1C_bDpT10_ENKUlT_T0_E_clISt17integral_constantIbLb0EES1O_IbLb1EEEEDaS1K_S1L_EUlS1K_E_NS1_11comp_targetILNS1_3genE3ELNS1_11target_archE908ELNS1_3gpuE7ELNS1_3repE0EEENS1_30default_config_static_selectorELNS0_4arch9wavefront6targetE0EEEvSY_.numbered_sgpr, 0
	.set _ZN7rocprim17ROCPRIM_400000_NS6detail17trampoline_kernelINS0_13select_configILj256ELj13ELNS0_17block_load_methodE3ELS4_3ELS4_3ELNS0_20block_scan_algorithmE0ELj4294967295EEENS1_25partition_config_selectorILNS1_17partition_subalgoE3EjNS0_10empty_typeEbEEZZNS1_14partition_implILS8_3ELb0ES6_jNS0_17counting_iteratorIjlEEPS9_SE_NS0_5tupleIJPjSE_EEENSF_IJSE_SE_EEES9_SG_JZNS1_25segmented_radix_sort_implINS0_14default_configELb0EPKdPdPKlPlN2at6native12_GLOBAL__N_18offset_tEEE10hipError_tPvRmT1_PNSt15iterator_traitsISY_E10value_typeET2_T3_PNSZ_IS14_E10value_typeET4_jRbjT5_S1A_jjP12ihipStream_tbEUljE_EEESV_SW_SX_S14_S18_S1A_T6_T7_T9_mT8_S1C_bDpT10_ENKUlT_T0_E_clISt17integral_constantIbLb0EES1O_IbLb1EEEEDaS1K_S1L_EUlS1K_E_NS1_11comp_targetILNS1_3genE3ELNS1_11target_archE908ELNS1_3gpuE7ELNS1_3repE0EEENS1_30default_config_static_selectorELNS0_4arch9wavefront6targetE0EEEvSY_.num_named_barrier, 0
	.set _ZN7rocprim17ROCPRIM_400000_NS6detail17trampoline_kernelINS0_13select_configILj256ELj13ELNS0_17block_load_methodE3ELS4_3ELS4_3ELNS0_20block_scan_algorithmE0ELj4294967295EEENS1_25partition_config_selectorILNS1_17partition_subalgoE3EjNS0_10empty_typeEbEEZZNS1_14partition_implILS8_3ELb0ES6_jNS0_17counting_iteratorIjlEEPS9_SE_NS0_5tupleIJPjSE_EEENSF_IJSE_SE_EEES9_SG_JZNS1_25segmented_radix_sort_implINS0_14default_configELb0EPKdPdPKlPlN2at6native12_GLOBAL__N_18offset_tEEE10hipError_tPvRmT1_PNSt15iterator_traitsISY_E10value_typeET2_T3_PNSZ_IS14_E10value_typeET4_jRbjT5_S1A_jjP12ihipStream_tbEUljE_EEESV_SW_SX_S14_S18_S1A_T6_T7_T9_mT8_S1C_bDpT10_ENKUlT_T0_E_clISt17integral_constantIbLb0EES1O_IbLb1EEEEDaS1K_S1L_EUlS1K_E_NS1_11comp_targetILNS1_3genE3ELNS1_11target_archE908ELNS1_3gpuE7ELNS1_3repE0EEENS1_30default_config_static_selectorELNS0_4arch9wavefront6targetE0EEEvSY_.private_seg_size, 0
	.set _ZN7rocprim17ROCPRIM_400000_NS6detail17trampoline_kernelINS0_13select_configILj256ELj13ELNS0_17block_load_methodE3ELS4_3ELS4_3ELNS0_20block_scan_algorithmE0ELj4294967295EEENS1_25partition_config_selectorILNS1_17partition_subalgoE3EjNS0_10empty_typeEbEEZZNS1_14partition_implILS8_3ELb0ES6_jNS0_17counting_iteratorIjlEEPS9_SE_NS0_5tupleIJPjSE_EEENSF_IJSE_SE_EEES9_SG_JZNS1_25segmented_radix_sort_implINS0_14default_configELb0EPKdPdPKlPlN2at6native12_GLOBAL__N_18offset_tEEE10hipError_tPvRmT1_PNSt15iterator_traitsISY_E10value_typeET2_T3_PNSZ_IS14_E10value_typeET4_jRbjT5_S1A_jjP12ihipStream_tbEUljE_EEESV_SW_SX_S14_S18_S1A_T6_T7_T9_mT8_S1C_bDpT10_ENKUlT_T0_E_clISt17integral_constantIbLb0EES1O_IbLb1EEEEDaS1K_S1L_EUlS1K_E_NS1_11comp_targetILNS1_3genE3ELNS1_11target_archE908ELNS1_3gpuE7ELNS1_3repE0EEENS1_30default_config_static_selectorELNS0_4arch9wavefront6targetE0EEEvSY_.uses_vcc, 0
	.set _ZN7rocprim17ROCPRIM_400000_NS6detail17trampoline_kernelINS0_13select_configILj256ELj13ELNS0_17block_load_methodE3ELS4_3ELS4_3ELNS0_20block_scan_algorithmE0ELj4294967295EEENS1_25partition_config_selectorILNS1_17partition_subalgoE3EjNS0_10empty_typeEbEEZZNS1_14partition_implILS8_3ELb0ES6_jNS0_17counting_iteratorIjlEEPS9_SE_NS0_5tupleIJPjSE_EEENSF_IJSE_SE_EEES9_SG_JZNS1_25segmented_radix_sort_implINS0_14default_configELb0EPKdPdPKlPlN2at6native12_GLOBAL__N_18offset_tEEE10hipError_tPvRmT1_PNSt15iterator_traitsISY_E10value_typeET2_T3_PNSZ_IS14_E10value_typeET4_jRbjT5_S1A_jjP12ihipStream_tbEUljE_EEESV_SW_SX_S14_S18_S1A_T6_T7_T9_mT8_S1C_bDpT10_ENKUlT_T0_E_clISt17integral_constantIbLb0EES1O_IbLb1EEEEDaS1K_S1L_EUlS1K_E_NS1_11comp_targetILNS1_3genE3ELNS1_11target_archE908ELNS1_3gpuE7ELNS1_3repE0EEENS1_30default_config_static_selectorELNS0_4arch9wavefront6targetE0EEEvSY_.uses_flat_scratch, 0
	.set _ZN7rocprim17ROCPRIM_400000_NS6detail17trampoline_kernelINS0_13select_configILj256ELj13ELNS0_17block_load_methodE3ELS4_3ELS4_3ELNS0_20block_scan_algorithmE0ELj4294967295EEENS1_25partition_config_selectorILNS1_17partition_subalgoE3EjNS0_10empty_typeEbEEZZNS1_14partition_implILS8_3ELb0ES6_jNS0_17counting_iteratorIjlEEPS9_SE_NS0_5tupleIJPjSE_EEENSF_IJSE_SE_EEES9_SG_JZNS1_25segmented_radix_sort_implINS0_14default_configELb0EPKdPdPKlPlN2at6native12_GLOBAL__N_18offset_tEEE10hipError_tPvRmT1_PNSt15iterator_traitsISY_E10value_typeET2_T3_PNSZ_IS14_E10value_typeET4_jRbjT5_S1A_jjP12ihipStream_tbEUljE_EEESV_SW_SX_S14_S18_S1A_T6_T7_T9_mT8_S1C_bDpT10_ENKUlT_T0_E_clISt17integral_constantIbLb0EES1O_IbLb1EEEEDaS1K_S1L_EUlS1K_E_NS1_11comp_targetILNS1_3genE3ELNS1_11target_archE908ELNS1_3gpuE7ELNS1_3repE0EEENS1_30default_config_static_selectorELNS0_4arch9wavefront6targetE0EEEvSY_.has_dyn_sized_stack, 0
	.set _ZN7rocprim17ROCPRIM_400000_NS6detail17trampoline_kernelINS0_13select_configILj256ELj13ELNS0_17block_load_methodE3ELS4_3ELS4_3ELNS0_20block_scan_algorithmE0ELj4294967295EEENS1_25partition_config_selectorILNS1_17partition_subalgoE3EjNS0_10empty_typeEbEEZZNS1_14partition_implILS8_3ELb0ES6_jNS0_17counting_iteratorIjlEEPS9_SE_NS0_5tupleIJPjSE_EEENSF_IJSE_SE_EEES9_SG_JZNS1_25segmented_radix_sort_implINS0_14default_configELb0EPKdPdPKlPlN2at6native12_GLOBAL__N_18offset_tEEE10hipError_tPvRmT1_PNSt15iterator_traitsISY_E10value_typeET2_T3_PNSZ_IS14_E10value_typeET4_jRbjT5_S1A_jjP12ihipStream_tbEUljE_EEESV_SW_SX_S14_S18_S1A_T6_T7_T9_mT8_S1C_bDpT10_ENKUlT_T0_E_clISt17integral_constantIbLb0EES1O_IbLb1EEEEDaS1K_S1L_EUlS1K_E_NS1_11comp_targetILNS1_3genE3ELNS1_11target_archE908ELNS1_3gpuE7ELNS1_3repE0EEENS1_30default_config_static_selectorELNS0_4arch9wavefront6targetE0EEEvSY_.has_recursion, 0
	.set _ZN7rocprim17ROCPRIM_400000_NS6detail17trampoline_kernelINS0_13select_configILj256ELj13ELNS0_17block_load_methodE3ELS4_3ELS4_3ELNS0_20block_scan_algorithmE0ELj4294967295EEENS1_25partition_config_selectorILNS1_17partition_subalgoE3EjNS0_10empty_typeEbEEZZNS1_14partition_implILS8_3ELb0ES6_jNS0_17counting_iteratorIjlEEPS9_SE_NS0_5tupleIJPjSE_EEENSF_IJSE_SE_EEES9_SG_JZNS1_25segmented_radix_sort_implINS0_14default_configELb0EPKdPdPKlPlN2at6native12_GLOBAL__N_18offset_tEEE10hipError_tPvRmT1_PNSt15iterator_traitsISY_E10value_typeET2_T3_PNSZ_IS14_E10value_typeET4_jRbjT5_S1A_jjP12ihipStream_tbEUljE_EEESV_SW_SX_S14_S18_S1A_T6_T7_T9_mT8_S1C_bDpT10_ENKUlT_T0_E_clISt17integral_constantIbLb0EES1O_IbLb1EEEEDaS1K_S1L_EUlS1K_E_NS1_11comp_targetILNS1_3genE3ELNS1_11target_archE908ELNS1_3gpuE7ELNS1_3repE0EEENS1_30default_config_static_selectorELNS0_4arch9wavefront6targetE0EEEvSY_.has_indirect_call, 0
	.section	.AMDGPU.csdata,"",@progbits
; Kernel info:
; codeLenInByte = 0
; TotalNumSgprs: 0
; NumVgprs: 0
; ScratchSize: 0
; MemoryBound: 0
; FloatMode: 240
; IeeeMode: 1
; LDSByteSize: 0 bytes/workgroup (compile time only)
; SGPRBlocks: 0
; VGPRBlocks: 0
; NumSGPRsForWavesPerEU: 1
; NumVGPRsForWavesPerEU: 1
; Occupancy: 16
; WaveLimiterHint : 0
; COMPUTE_PGM_RSRC2:SCRATCH_EN: 0
; COMPUTE_PGM_RSRC2:USER_SGPR: 2
; COMPUTE_PGM_RSRC2:TRAP_HANDLER: 0
; COMPUTE_PGM_RSRC2:TGID_X_EN: 1
; COMPUTE_PGM_RSRC2:TGID_Y_EN: 0
; COMPUTE_PGM_RSRC2:TGID_Z_EN: 0
; COMPUTE_PGM_RSRC2:TIDIG_COMP_CNT: 0
	.section	.text._ZN7rocprim17ROCPRIM_400000_NS6detail17trampoline_kernelINS0_13select_configILj256ELj13ELNS0_17block_load_methodE3ELS4_3ELS4_3ELNS0_20block_scan_algorithmE0ELj4294967295EEENS1_25partition_config_selectorILNS1_17partition_subalgoE3EjNS0_10empty_typeEbEEZZNS1_14partition_implILS8_3ELb0ES6_jNS0_17counting_iteratorIjlEEPS9_SE_NS0_5tupleIJPjSE_EEENSF_IJSE_SE_EEES9_SG_JZNS1_25segmented_radix_sort_implINS0_14default_configELb0EPKdPdPKlPlN2at6native12_GLOBAL__N_18offset_tEEE10hipError_tPvRmT1_PNSt15iterator_traitsISY_E10value_typeET2_T3_PNSZ_IS14_E10value_typeET4_jRbjT5_S1A_jjP12ihipStream_tbEUljE_EEESV_SW_SX_S14_S18_S1A_T6_T7_T9_mT8_S1C_bDpT10_ENKUlT_T0_E_clISt17integral_constantIbLb0EES1O_IbLb1EEEEDaS1K_S1L_EUlS1K_E_NS1_11comp_targetILNS1_3genE2ELNS1_11target_archE906ELNS1_3gpuE6ELNS1_3repE0EEENS1_30default_config_static_selectorELNS0_4arch9wavefront6targetE0EEEvSY_,"axG",@progbits,_ZN7rocprim17ROCPRIM_400000_NS6detail17trampoline_kernelINS0_13select_configILj256ELj13ELNS0_17block_load_methodE3ELS4_3ELS4_3ELNS0_20block_scan_algorithmE0ELj4294967295EEENS1_25partition_config_selectorILNS1_17partition_subalgoE3EjNS0_10empty_typeEbEEZZNS1_14partition_implILS8_3ELb0ES6_jNS0_17counting_iteratorIjlEEPS9_SE_NS0_5tupleIJPjSE_EEENSF_IJSE_SE_EEES9_SG_JZNS1_25segmented_radix_sort_implINS0_14default_configELb0EPKdPdPKlPlN2at6native12_GLOBAL__N_18offset_tEEE10hipError_tPvRmT1_PNSt15iterator_traitsISY_E10value_typeET2_T3_PNSZ_IS14_E10value_typeET4_jRbjT5_S1A_jjP12ihipStream_tbEUljE_EEESV_SW_SX_S14_S18_S1A_T6_T7_T9_mT8_S1C_bDpT10_ENKUlT_T0_E_clISt17integral_constantIbLb0EES1O_IbLb1EEEEDaS1K_S1L_EUlS1K_E_NS1_11comp_targetILNS1_3genE2ELNS1_11target_archE906ELNS1_3gpuE6ELNS1_3repE0EEENS1_30default_config_static_selectorELNS0_4arch9wavefront6targetE0EEEvSY_,comdat
	.globl	_ZN7rocprim17ROCPRIM_400000_NS6detail17trampoline_kernelINS0_13select_configILj256ELj13ELNS0_17block_load_methodE3ELS4_3ELS4_3ELNS0_20block_scan_algorithmE0ELj4294967295EEENS1_25partition_config_selectorILNS1_17partition_subalgoE3EjNS0_10empty_typeEbEEZZNS1_14partition_implILS8_3ELb0ES6_jNS0_17counting_iteratorIjlEEPS9_SE_NS0_5tupleIJPjSE_EEENSF_IJSE_SE_EEES9_SG_JZNS1_25segmented_radix_sort_implINS0_14default_configELb0EPKdPdPKlPlN2at6native12_GLOBAL__N_18offset_tEEE10hipError_tPvRmT1_PNSt15iterator_traitsISY_E10value_typeET2_T3_PNSZ_IS14_E10value_typeET4_jRbjT5_S1A_jjP12ihipStream_tbEUljE_EEESV_SW_SX_S14_S18_S1A_T6_T7_T9_mT8_S1C_bDpT10_ENKUlT_T0_E_clISt17integral_constantIbLb0EES1O_IbLb1EEEEDaS1K_S1L_EUlS1K_E_NS1_11comp_targetILNS1_3genE2ELNS1_11target_archE906ELNS1_3gpuE6ELNS1_3repE0EEENS1_30default_config_static_selectorELNS0_4arch9wavefront6targetE0EEEvSY_ ; -- Begin function _ZN7rocprim17ROCPRIM_400000_NS6detail17trampoline_kernelINS0_13select_configILj256ELj13ELNS0_17block_load_methodE3ELS4_3ELS4_3ELNS0_20block_scan_algorithmE0ELj4294967295EEENS1_25partition_config_selectorILNS1_17partition_subalgoE3EjNS0_10empty_typeEbEEZZNS1_14partition_implILS8_3ELb0ES6_jNS0_17counting_iteratorIjlEEPS9_SE_NS0_5tupleIJPjSE_EEENSF_IJSE_SE_EEES9_SG_JZNS1_25segmented_radix_sort_implINS0_14default_configELb0EPKdPdPKlPlN2at6native12_GLOBAL__N_18offset_tEEE10hipError_tPvRmT1_PNSt15iterator_traitsISY_E10value_typeET2_T3_PNSZ_IS14_E10value_typeET4_jRbjT5_S1A_jjP12ihipStream_tbEUljE_EEESV_SW_SX_S14_S18_S1A_T6_T7_T9_mT8_S1C_bDpT10_ENKUlT_T0_E_clISt17integral_constantIbLb0EES1O_IbLb1EEEEDaS1K_S1L_EUlS1K_E_NS1_11comp_targetILNS1_3genE2ELNS1_11target_archE906ELNS1_3gpuE6ELNS1_3repE0EEENS1_30default_config_static_selectorELNS0_4arch9wavefront6targetE0EEEvSY_
	.p2align	8
	.type	_ZN7rocprim17ROCPRIM_400000_NS6detail17trampoline_kernelINS0_13select_configILj256ELj13ELNS0_17block_load_methodE3ELS4_3ELS4_3ELNS0_20block_scan_algorithmE0ELj4294967295EEENS1_25partition_config_selectorILNS1_17partition_subalgoE3EjNS0_10empty_typeEbEEZZNS1_14partition_implILS8_3ELb0ES6_jNS0_17counting_iteratorIjlEEPS9_SE_NS0_5tupleIJPjSE_EEENSF_IJSE_SE_EEES9_SG_JZNS1_25segmented_radix_sort_implINS0_14default_configELb0EPKdPdPKlPlN2at6native12_GLOBAL__N_18offset_tEEE10hipError_tPvRmT1_PNSt15iterator_traitsISY_E10value_typeET2_T3_PNSZ_IS14_E10value_typeET4_jRbjT5_S1A_jjP12ihipStream_tbEUljE_EEESV_SW_SX_S14_S18_S1A_T6_T7_T9_mT8_S1C_bDpT10_ENKUlT_T0_E_clISt17integral_constantIbLb0EES1O_IbLb1EEEEDaS1K_S1L_EUlS1K_E_NS1_11comp_targetILNS1_3genE2ELNS1_11target_archE906ELNS1_3gpuE6ELNS1_3repE0EEENS1_30default_config_static_selectorELNS0_4arch9wavefront6targetE0EEEvSY_,@function
_ZN7rocprim17ROCPRIM_400000_NS6detail17trampoline_kernelINS0_13select_configILj256ELj13ELNS0_17block_load_methodE3ELS4_3ELS4_3ELNS0_20block_scan_algorithmE0ELj4294967295EEENS1_25partition_config_selectorILNS1_17partition_subalgoE3EjNS0_10empty_typeEbEEZZNS1_14partition_implILS8_3ELb0ES6_jNS0_17counting_iteratorIjlEEPS9_SE_NS0_5tupleIJPjSE_EEENSF_IJSE_SE_EEES9_SG_JZNS1_25segmented_radix_sort_implINS0_14default_configELb0EPKdPdPKlPlN2at6native12_GLOBAL__N_18offset_tEEE10hipError_tPvRmT1_PNSt15iterator_traitsISY_E10value_typeET2_T3_PNSZ_IS14_E10value_typeET4_jRbjT5_S1A_jjP12ihipStream_tbEUljE_EEESV_SW_SX_S14_S18_S1A_T6_T7_T9_mT8_S1C_bDpT10_ENKUlT_T0_E_clISt17integral_constantIbLb0EES1O_IbLb1EEEEDaS1K_S1L_EUlS1K_E_NS1_11comp_targetILNS1_3genE2ELNS1_11target_archE906ELNS1_3gpuE6ELNS1_3repE0EEENS1_30default_config_static_selectorELNS0_4arch9wavefront6targetE0EEEvSY_: ; @_ZN7rocprim17ROCPRIM_400000_NS6detail17trampoline_kernelINS0_13select_configILj256ELj13ELNS0_17block_load_methodE3ELS4_3ELS4_3ELNS0_20block_scan_algorithmE0ELj4294967295EEENS1_25partition_config_selectorILNS1_17partition_subalgoE3EjNS0_10empty_typeEbEEZZNS1_14partition_implILS8_3ELb0ES6_jNS0_17counting_iteratorIjlEEPS9_SE_NS0_5tupleIJPjSE_EEENSF_IJSE_SE_EEES9_SG_JZNS1_25segmented_radix_sort_implINS0_14default_configELb0EPKdPdPKlPlN2at6native12_GLOBAL__N_18offset_tEEE10hipError_tPvRmT1_PNSt15iterator_traitsISY_E10value_typeET2_T3_PNSZ_IS14_E10value_typeET4_jRbjT5_S1A_jjP12ihipStream_tbEUljE_EEESV_SW_SX_S14_S18_S1A_T6_T7_T9_mT8_S1C_bDpT10_ENKUlT_T0_E_clISt17integral_constantIbLb0EES1O_IbLb1EEEEDaS1K_S1L_EUlS1K_E_NS1_11comp_targetILNS1_3genE2ELNS1_11target_archE906ELNS1_3gpuE6ELNS1_3repE0EEENS1_30default_config_static_selectorELNS0_4arch9wavefront6targetE0EEEvSY_
; %bb.0:
	.section	.rodata,"a",@progbits
	.p2align	6, 0x0
	.amdhsa_kernel _ZN7rocprim17ROCPRIM_400000_NS6detail17trampoline_kernelINS0_13select_configILj256ELj13ELNS0_17block_load_methodE3ELS4_3ELS4_3ELNS0_20block_scan_algorithmE0ELj4294967295EEENS1_25partition_config_selectorILNS1_17partition_subalgoE3EjNS0_10empty_typeEbEEZZNS1_14partition_implILS8_3ELb0ES6_jNS0_17counting_iteratorIjlEEPS9_SE_NS0_5tupleIJPjSE_EEENSF_IJSE_SE_EEES9_SG_JZNS1_25segmented_radix_sort_implINS0_14default_configELb0EPKdPdPKlPlN2at6native12_GLOBAL__N_18offset_tEEE10hipError_tPvRmT1_PNSt15iterator_traitsISY_E10value_typeET2_T3_PNSZ_IS14_E10value_typeET4_jRbjT5_S1A_jjP12ihipStream_tbEUljE_EEESV_SW_SX_S14_S18_S1A_T6_T7_T9_mT8_S1C_bDpT10_ENKUlT_T0_E_clISt17integral_constantIbLb0EES1O_IbLb1EEEEDaS1K_S1L_EUlS1K_E_NS1_11comp_targetILNS1_3genE2ELNS1_11target_archE906ELNS1_3gpuE6ELNS1_3repE0EEENS1_30default_config_static_selectorELNS0_4arch9wavefront6targetE0EEEvSY_
		.amdhsa_group_segment_fixed_size 0
		.amdhsa_private_segment_fixed_size 0
		.amdhsa_kernarg_size 152
		.amdhsa_user_sgpr_count 2
		.amdhsa_user_sgpr_dispatch_ptr 0
		.amdhsa_user_sgpr_queue_ptr 0
		.amdhsa_user_sgpr_kernarg_segment_ptr 1
		.amdhsa_user_sgpr_dispatch_id 0
		.amdhsa_user_sgpr_private_segment_size 0
		.amdhsa_wavefront_size32 1
		.amdhsa_uses_dynamic_stack 0
		.amdhsa_enable_private_segment 0
		.amdhsa_system_sgpr_workgroup_id_x 1
		.amdhsa_system_sgpr_workgroup_id_y 0
		.amdhsa_system_sgpr_workgroup_id_z 0
		.amdhsa_system_sgpr_workgroup_info 0
		.amdhsa_system_vgpr_workitem_id 0
		.amdhsa_next_free_vgpr 1
		.amdhsa_next_free_sgpr 1
		.amdhsa_reserve_vcc 0
		.amdhsa_float_round_mode_32 0
		.amdhsa_float_round_mode_16_64 0
		.amdhsa_float_denorm_mode_32 3
		.amdhsa_float_denorm_mode_16_64 3
		.amdhsa_fp16_overflow 0
		.amdhsa_workgroup_processor_mode 1
		.amdhsa_memory_ordered 1
		.amdhsa_forward_progress 1
		.amdhsa_inst_pref_size 0
		.amdhsa_round_robin_scheduling 0
		.amdhsa_exception_fp_ieee_invalid_op 0
		.amdhsa_exception_fp_denorm_src 0
		.amdhsa_exception_fp_ieee_div_zero 0
		.amdhsa_exception_fp_ieee_overflow 0
		.amdhsa_exception_fp_ieee_underflow 0
		.amdhsa_exception_fp_ieee_inexact 0
		.amdhsa_exception_int_div_zero 0
	.end_amdhsa_kernel
	.section	.text._ZN7rocprim17ROCPRIM_400000_NS6detail17trampoline_kernelINS0_13select_configILj256ELj13ELNS0_17block_load_methodE3ELS4_3ELS4_3ELNS0_20block_scan_algorithmE0ELj4294967295EEENS1_25partition_config_selectorILNS1_17partition_subalgoE3EjNS0_10empty_typeEbEEZZNS1_14partition_implILS8_3ELb0ES6_jNS0_17counting_iteratorIjlEEPS9_SE_NS0_5tupleIJPjSE_EEENSF_IJSE_SE_EEES9_SG_JZNS1_25segmented_radix_sort_implINS0_14default_configELb0EPKdPdPKlPlN2at6native12_GLOBAL__N_18offset_tEEE10hipError_tPvRmT1_PNSt15iterator_traitsISY_E10value_typeET2_T3_PNSZ_IS14_E10value_typeET4_jRbjT5_S1A_jjP12ihipStream_tbEUljE_EEESV_SW_SX_S14_S18_S1A_T6_T7_T9_mT8_S1C_bDpT10_ENKUlT_T0_E_clISt17integral_constantIbLb0EES1O_IbLb1EEEEDaS1K_S1L_EUlS1K_E_NS1_11comp_targetILNS1_3genE2ELNS1_11target_archE906ELNS1_3gpuE6ELNS1_3repE0EEENS1_30default_config_static_selectorELNS0_4arch9wavefront6targetE0EEEvSY_,"axG",@progbits,_ZN7rocprim17ROCPRIM_400000_NS6detail17trampoline_kernelINS0_13select_configILj256ELj13ELNS0_17block_load_methodE3ELS4_3ELS4_3ELNS0_20block_scan_algorithmE0ELj4294967295EEENS1_25partition_config_selectorILNS1_17partition_subalgoE3EjNS0_10empty_typeEbEEZZNS1_14partition_implILS8_3ELb0ES6_jNS0_17counting_iteratorIjlEEPS9_SE_NS0_5tupleIJPjSE_EEENSF_IJSE_SE_EEES9_SG_JZNS1_25segmented_radix_sort_implINS0_14default_configELb0EPKdPdPKlPlN2at6native12_GLOBAL__N_18offset_tEEE10hipError_tPvRmT1_PNSt15iterator_traitsISY_E10value_typeET2_T3_PNSZ_IS14_E10value_typeET4_jRbjT5_S1A_jjP12ihipStream_tbEUljE_EEESV_SW_SX_S14_S18_S1A_T6_T7_T9_mT8_S1C_bDpT10_ENKUlT_T0_E_clISt17integral_constantIbLb0EES1O_IbLb1EEEEDaS1K_S1L_EUlS1K_E_NS1_11comp_targetILNS1_3genE2ELNS1_11target_archE906ELNS1_3gpuE6ELNS1_3repE0EEENS1_30default_config_static_selectorELNS0_4arch9wavefront6targetE0EEEvSY_,comdat
.Lfunc_end1217:
	.size	_ZN7rocprim17ROCPRIM_400000_NS6detail17trampoline_kernelINS0_13select_configILj256ELj13ELNS0_17block_load_methodE3ELS4_3ELS4_3ELNS0_20block_scan_algorithmE0ELj4294967295EEENS1_25partition_config_selectorILNS1_17partition_subalgoE3EjNS0_10empty_typeEbEEZZNS1_14partition_implILS8_3ELb0ES6_jNS0_17counting_iteratorIjlEEPS9_SE_NS0_5tupleIJPjSE_EEENSF_IJSE_SE_EEES9_SG_JZNS1_25segmented_radix_sort_implINS0_14default_configELb0EPKdPdPKlPlN2at6native12_GLOBAL__N_18offset_tEEE10hipError_tPvRmT1_PNSt15iterator_traitsISY_E10value_typeET2_T3_PNSZ_IS14_E10value_typeET4_jRbjT5_S1A_jjP12ihipStream_tbEUljE_EEESV_SW_SX_S14_S18_S1A_T6_T7_T9_mT8_S1C_bDpT10_ENKUlT_T0_E_clISt17integral_constantIbLb0EES1O_IbLb1EEEEDaS1K_S1L_EUlS1K_E_NS1_11comp_targetILNS1_3genE2ELNS1_11target_archE906ELNS1_3gpuE6ELNS1_3repE0EEENS1_30default_config_static_selectorELNS0_4arch9wavefront6targetE0EEEvSY_, .Lfunc_end1217-_ZN7rocprim17ROCPRIM_400000_NS6detail17trampoline_kernelINS0_13select_configILj256ELj13ELNS0_17block_load_methodE3ELS4_3ELS4_3ELNS0_20block_scan_algorithmE0ELj4294967295EEENS1_25partition_config_selectorILNS1_17partition_subalgoE3EjNS0_10empty_typeEbEEZZNS1_14partition_implILS8_3ELb0ES6_jNS0_17counting_iteratorIjlEEPS9_SE_NS0_5tupleIJPjSE_EEENSF_IJSE_SE_EEES9_SG_JZNS1_25segmented_radix_sort_implINS0_14default_configELb0EPKdPdPKlPlN2at6native12_GLOBAL__N_18offset_tEEE10hipError_tPvRmT1_PNSt15iterator_traitsISY_E10value_typeET2_T3_PNSZ_IS14_E10value_typeET4_jRbjT5_S1A_jjP12ihipStream_tbEUljE_EEESV_SW_SX_S14_S18_S1A_T6_T7_T9_mT8_S1C_bDpT10_ENKUlT_T0_E_clISt17integral_constantIbLb0EES1O_IbLb1EEEEDaS1K_S1L_EUlS1K_E_NS1_11comp_targetILNS1_3genE2ELNS1_11target_archE906ELNS1_3gpuE6ELNS1_3repE0EEENS1_30default_config_static_selectorELNS0_4arch9wavefront6targetE0EEEvSY_
                                        ; -- End function
	.set _ZN7rocprim17ROCPRIM_400000_NS6detail17trampoline_kernelINS0_13select_configILj256ELj13ELNS0_17block_load_methodE3ELS4_3ELS4_3ELNS0_20block_scan_algorithmE0ELj4294967295EEENS1_25partition_config_selectorILNS1_17partition_subalgoE3EjNS0_10empty_typeEbEEZZNS1_14partition_implILS8_3ELb0ES6_jNS0_17counting_iteratorIjlEEPS9_SE_NS0_5tupleIJPjSE_EEENSF_IJSE_SE_EEES9_SG_JZNS1_25segmented_radix_sort_implINS0_14default_configELb0EPKdPdPKlPlN2at6native12_GLOBAL__N_18offset_tEEE10hipError_tPvRmT1_PNSt15iterator_traitsISY_E10value_typeET2_T3_PNSZ_IS14_E10value_typeET4_jRbjT5_S1A_jjP12ihipStream_tbEUljE_EEESV_SW_SX_S14_S18_S1A_T6_T7_T9_mT8_S1C_bDpT10_ENKUlT_T0_E_clISt17integral_constantIbLb0EES1O_IbLb1EEEEDaS1K_S1L_EUlS1K_E_NS1_11comp_targetILNS1_3genE2ELNS1_11target_archE906ELNS1_3gpuE6ELNS1_3repE0EEENS1_30default_config_static_selectorELNS0_4arch9wavefront6targetE0EEEvSY_.num_vgpr, 0
	.set _ZN7rocprim17ROCPRIM_400000_NS6detail17trampoline_kernelINS0_13select_configILj256ELj13ELNS0_17block_load_methodE3ELS4_3ELS4_3ELNS0_20block_scan_algorithmE0ELj4294967295EEENS1_25partition_config_selectorILNS1_17partition_subalgoE3EjNS0_10empty_typeEbEEZZNS1_14partition_implILS8_3ELb0ES6_jNS0_17counting_iteratorIjlEEPS9_SE_NS0_5tupleIJPjSE_EEENSF_IJSE_SE_EEES9_SG_JZNS1_25segmented_radix_sort_implINS0_14default_configELb0EPKdPdPKlPlN2at6native12_GLOBAL__N_18offset_tEEE10hipError_tPvRmT1_PNSt15iterator_traitsISY_E10value_typeET2_T3_PNSZ_IS14_E10value_typeET4_jRbjT5_S1A_jjP12ihipStream_tbEUljE_EEESV_SW_SX_S14_S18_S1A_T6_T7_T9_mT8_S1C_bDpT10_ENKUlT_T0_E_clISt17integral_constantIbLb0EES1O_IbLb1EEEEDaS1K_S1L_EUlS1K_E_NS1_11comp_targetILNS1_3genE2ELNS1_11target_archE906ELNS1_3gpuE6ELNS1_3repE0EEENS1_30default_config_static_selectorELNS0_4arch9wavefront6targetE0EEEvSY_.num_agpr, 0
	.set _ZN7rocprim17ROCPRIM_400000_NS6detail17trampoline_kernelINS0_13select_configILj256ELj13ELNS0_17block_load_methodE3ELS4_3ELS4_3ELNS0_20block_scan_algorithmE0ELj4294967295EEENS1_25partition_config_selectorILNS1_17partition_subalgoE3EjNS0_10empty_typeEbEEZZNS1_14partition_implILS8_3ELb0ES6_jNS0_17counting_iteratorIjlEEPS9_SE_NS0_5tupleIJPjSE_EEENSF_IJSE_SE_EEES9_SG_JZNS1_25segmented_radix_sort_implINS0_14default_configELb0EPKdPdPKlPlN2at6native12_GLOBAL__N_18offset_tEEE10hipError_tPvRmT1_PNSt15iterator_traitsISY_E10value_typeET2_T3_PNSZ_IS14_E10value_typeET4_jRbjT5_S1A_jjP12ihipStream_tbEUljE_EEESV_SW_SX_S14_S18_S1A_T6_T7_T9_mT8_S1C_bDpT10_ENKUlT_T0_E_clISt17integral_constantIbLb0EES1O_IbLb1EEEEDaS1K_S1L_EUlS1K_E_NS1_11comp_targetILNS1_3genE2ELNS1_11target_archE906ELNS1_3gpuE6ELNS1_3repE0EEENS1_30default_config_static_selectorELNS0_4arch9wavefront6targetE0EEEvSY_.numbered_sgpr, 0
	.set _ZN7rocprim17ROCPRIM_400000_NS6detail17trampoline_kernelINS0_13select_configILj256ELj13ELNS0_17block_load_methodE3ELS4_3ELS4_3ELNS0_20block_scan_algorithmE0ELj4294967295EEENS1_25partition_config_selectorILNS1_17partition_subalgoE3EjNS0_10empty_typeEbEEZZNS1_14partition_implILS8_3ELb0ES6_jNS0_17counting_iteratorIjlEEPS9_SE_NS0_5tupleIJPjSE_EEENSF_IJSE_SE_EEES9_SG_JZNS1_25segmented_radix_sort_implINS0_14default_configELb0EPKdPdPKlPlN2at6native12_GLOBAL__N_18offset_tEEE10hipError_tPvRmT1_PNSt15iterator_traitsISY_E10value_typeET2_T3_PNSZ_IS14_E10value_typeET4_jRbjT5_S1A_jjP12ihipStream_tbEUljE_EEESV_SW_SX_S14_S18_S1A_T6_T7_T9_mT8_S1C_bDpT10_ENKUlT_T0_E_clISt17integral_constantIbLb0EES1O_IbLb1EEEEDaS1K_S1L_EUlS1K_E_NS1_11comp_targetILNS1_3genE2ELNS1_11target_archE906ELNS1_3gpuE6ELNS1_3repE0EEENS1_30default_config_static_selectorELNS0_4arch9wavefront6targetE0EEEvSY_.num_named_barrier, 0
	.set _ZN7rocprim17ROCPRIM_400000_NS6detail17trampoline_kernelINS0_13select_configILj256ELj13ELNS0_17block_load_methodE3ELS4_3ELS4_3ELNS0_20block_scan_algorithmE0ELj4294967295EEENS1_25partition_config_selectorILNS1_17partition_subalgoE3EjNS0_10empty_typeEbEEZZNS1_14partition_implILS8_3ELb0ES6_jNS0_17counting_iteratorIjlEEPS9_SE_NS0_5tupleIJPjSE_EEENSF_IJSE_SE_EEES9_SG_JZNS1_25segmented_radix_sort_implINS0_14default_configELb0EPKdPdPKlPlN2at6native12_GLOBAL__N_18offset_tEEE10hipError_tPvRmT1_PNSt15iterator_traitsISY_E10value_typeET2_T3_PNSZ_IS14_E10value_typeET4_jRbjT5_S1A_jjP12ihipStream_tbEUljE_EEESV_SW_SX_S14_S18_S1A_T6_T7_T9_mT8_S1C_bDpT10_ENKUlT_T0_E_clISt17integral_constantIbLb0EES1O_IbLb1EEEEDaS1K_S1L_EUlS1K_E_NS1_11comp_targetILNS1_3genE2ELNS1_11target_archE906ELNS1_3gpuE6ELNS1_3repE0EEENS1_30default_config_static_selectorELNS0_4arch9wavefront6targetE0EEEvSY_.private_seg_size, 0
	.set _ZN7rocprim17ROCPRIM_400000_NS6detail17trampoline_kernelINS0_13select_configILj256ELj13ELNS0_17block_load_methodE3ELS4_3ELS4_3ELNS0_20block_scan_algorithmE0ELj4294967295EEENS1_25partition_config_selectorILNS1_17partition_subalgoE3EjNS0_10empty_typeEbEEZZNS1_14partition_implILS8_3ELb0ES6_jNS0_17counting_iteratorIjlEEPS9_SE_NS0_5tupleIJPjSE_EEENSF_IJSE_SE_EEES9_SG_JZNS1_25segmented_radix_sort_implINS0_14default_configELb0EPKdPdPKlPlN2at6native12_GLOBAL__N_18offset_tEEE10hipError_tPvRmT1_PNSt15iterator_traitsISY_E10value_typeET2_T3_PNSZ_IS14_E10value_typeET4_jRbjT5_S1A_jjP12ihipStream_tbEUljE_EEESV_SW_SX_S14_S18_S1A_T6_T7_T9_mT8_S1C_bDpT10_ENKUlT_T0_E_clISt17integral_constantIbLb0EES1O_IbLb1EEEEDaS1K_S1L_EUlS1K_E_NS1_11comp_targetILNS1_3genE2ELNS1_11target_archE906ELNS1_3gpuE6ELNS1_3repE0EEENS1_30default_config_static_selectorELNS0_4arch9wavefront6targetE0EEEvSY_.uses_vcc, 0
	.set _ZN7rocprim17ROCPRIM_400000_NS6detail17trampoline_kernelINS0_13select_configILj256ELj13ELNS0_17block_load_methodE3ELS4_3ELS4_3ELNS0_20block_scan_algorithmE0ELj4294967295EEENS1_25partition_config_selectorILNS1_17partition_subalgoE3EjNS0_10empty_typeEbEEZZNS1_14partition_implILS8_3ELb0ES6_jNS0_17counting_iteratorIjlEEPS9_SE_NS0_5tupleIJPjSE_EEENSF_IJSE_SE_EEES9_SG_JZNS1_25segmented_radix_sort_implINS0_14default_configELb0EPKdPdPKlPlN2at6native12_GLOBAL__N_18offset_tEEE10hipError_tPvRmT1_PNSt15iterator_traitsISY_E10value_typeET2_T3_PNSZ_IS14_E10value_typeET4_jRbjT5_S1A_jjP12ihipStream_tbEUljE_EEESV_SW_SX_S14_S18_S1A_T6_T7_T9_mT8_S1C_bDpT10_ENKUlT_T0_E_clISt17integral_constantIbLb0EES1O_IbLb1EEEEDaS1K_S1L_EUlS1K_E_NS1_11comp_targetILNS1_3genE2ELNS1_11target_archE906ELNS1_3gpuE6ELNS1_3repE0EEENS1_30default_config_static_selectorELNS0_4arch9wavefront6targetE0EEEvSY_.uses_flat_scratch, 0
	.set _ZN7rocprim17ROCPRIM_400000_NS6detail17trampoline_kernelINS0_13select_configILj256ELj13ELNS0_17block_load_methodE3ELS4_3ELS4_3ELNS0_20block_scan_algorithmE0ELj4294967295EEENS1_25partition_config_selectorILNS1_17partition_subalgoE3EjNS0_10empty_typeEbEEZZNS1_14partition_implILS8_3ELb0ES6_jNS0_17counting_iteratorIjlEEPS9_SE_NS0_5tupleIJPjSE_EEENSF_IJSE_SE_EEES9_SG_JZNS1_25segmented_radix_sort_implINS0_14default_configELb0EPKdPdPKlPlN2at6native12_GLOBAL__N_18offset_tEEE10hipError_tPvRmT1_PNSt15iterator_traitsISY_E10value_typeET2_T3_PNSZ_IS14_E10value_typeET4_jRbjT5_S1A_jjP12ihipStream_tbEUljE_EEESV_SW_SX_S14_S18_S1A_T6_T7_T9_mT8_S1C_bDpT10_ENKUlT_T0_E_clISt17integral_constantIbLb0EES1O_IbLb1EEEEDaS1K_S1L_EUlS1K_E_NS1_11comp_targetILNS1_3genE2ELNS1_11target_archE906ELNS1_3gpuE6ELNS1_3repE0EEENS1_30default_config_static_selectorELNS0_4arch9wavefront6targetE0EEEvSY_.has_dyn_sized_stack, 0
	.set _ZN7rocprim17ROCPRIM_400000_NS6detail17trampoline_kernelINS0_13select_configILj256ELj13ELNS0_17block_load_methodE3ELS4_3ELS4_3ELNS0_20block_scan_algorithmE0ELj4294967295EEENS1_25partition_config_selectorILNS1_17partition_subalgoE3EjNS0_10empty_typeEbEEZZNS1_14partition_implILS8_3ELb0ES6_jNS0_17counting_iteratorIjlEEPS9_SE_NS0_5tupleIJPjSE_EEENSF_IJSE_SE_EEES9_SG_JZNS1_25segmented_radix_sort_implINS0_14default_configELb0EPKdPdPKlPlN2at6native12_GLOBAL__N_18offset_tEEE10hipError_tPvRmT1_PNSt15iterator_traitsISY_E10value_typeET2_T3_PNSZ_IS14_E10value_typeET4_jRbjT5_S1A_jjP12ihipStream_tbEUljE_EEESV_SW_SX_S14_S18_S1A_T6_T7_T9_mT8_S1C_bDpT10_ENKUlT_T0_E_clISt17integral_constantIbLb0EES1O_IbLb1EEEEDaS1K_S1L_EUlS1K_E_NS1_11comp_targetILNS1_3genE2ELNS1_11target_archE906ELNS1_3gpuE6ELNS1_3repE0EEENS1_30default_config_static_selectorELNS0_4arch9wavefront6targetE0EEEvSY_.has_recursion, 0
	.set _ZN7rocprim17ROCPRIM_400000_NS6detail17trampoline_kernelINS0_13select_configILj256ELj13ELNS0_17block_load_methodE3ELS4_3ELS4_3ELNS0_20block_scan_algorithmE0ELj4294967295EEENS1_25partition_config_selectorILNS1_17partition_subalgoE3EjNS0_10empty_typeEbEEZZNS1_14partition_implILS8_3ELb0ES6_jNS0_17counting_iteratorIjlEEPS9_SE_NS0_5tupleIJPjSE_EEENSF_IJSE_SE_EEES9_SG_JZNS1_25segmented_radix_sort_implINS0_14default_configELb0EPKdPdPKlPlN2at6native12_GLOBAL__N_18offset_tEEE10hipError_tPvRmT1_PNSt15iterator_traitsISY_E10value_typeET2_T3_PNSZ_IS14_E10value_typeET4_jRbjT5_S1A_jjP12ihipStream_tbEUljE_EEESV_SW_SX_S14_S18_S1A_T6_T7_T9_mT8_S1C_bDpT10_ENKUlT_T0_E_clISt17integral_constantIbLb0EES1O_IbLb1EEEEDaS1K_S1L_EUlS1K_E_NS1_11comp_targetILNS1_3genE2ELNS1_11target_archE906ELNS1_3gpuE6ELNS1_3repE0EEENS1_30default_config_static_selectorELNS0_4arch9wavefront6targetE0EEEvSY_.has_indirect_call, 0
	.section	.AMDGPU.csdata,"",@progbits
; Kernel info:
; codeLenInByte = 0
; TotalNumSgprs: 0
; NumVgprs: 0
; ScratchSize: 0
; MemoryBound: 0
; FloatMode: 240
; IeeeMode: 1
; LDSByteSize: 0 bytes/workgroup (compile time only)
; SGPRBlocks: 0
; VGPRBlocks: 0
; NumSGPRsForWavesPerEU: 1
; NumVGPRsForWavesPerEU: 1
; Occupancy: 16
; WaveLimiterHint : 0
; COMPUTE_PGM_RSRC2:SCRATCH_EN: 0
; COMPUTE_PGM_RSRC2:USER_SGPR: 2
; COMPUTE_PGM_RSRC2:TRAP_HANDLER: 0
; COMPUTE_PGM_RSRC2:TGID_X_EN: 1
; COMPUTE_PGM_RSRC2:TGID_Y_EN: 0
; COMPUTE_PGM_RSRC2:TGID_Z_EN: 0
; COMPUTE_PGM_RSRC2:TIDIG_COMP_CNT: 0
	.section	.text._ZN7rocprim17ROCPRIM_400000_NS6detail17trampoline_kernelINS0_13select_configILj256ELj13ELNS0_17block_load_methodE3ELS4_3ELS4_3ELNS0_20block_scan_algorithmE0ELj4294967295EEENS1_25partition_config_selectorILNS1_17partition_subalgoE3EjNS0_10empty_typeEbEEZZNS1_14partition_implILS8_3ELb0ES6_jNS0_17counting_iteratorIjlEEPS9_SE_NS0_5tupleIJPjSE_EEENSF_IJSE_SE_EEES9_SG_JZNS1_25segmented_radix_sort_implINS0_14default_configELb0EPKdPdPKlPlN2at6native12_GLOBAL__N_18offset_tEEE10hipError_tPvRmT1_PNSt15iterator_traitsISY_E10value_typeET2_T3_PNSZ_IS14_E10value_typeET4_jRbjT5_S1A_jjP12ihipStream_tbEUljE_EEESV_SW_SX_S14_S18_S1A_T6_T7_T9_mT8_S1C_bDpT10_ENKUlT_T0_E_clISt17integral_constantIbLb0EES1O_IbLb1EEEEDaS1K_S1L_EUlS1K_E_NS1_11comp_targetILNS1_3genE10ELNS1_11target_archE1200ELNS1_3gpuE4ELNS1_3repE0EEENS1_30default_config_static_selectorELNS0_4arch9wavefront6targetE0EEEvSY_,"axG",@progbits,_ZN7rocprim17ROCPRIM_400000_NS6detail17trampoline_kernelINS0_13select_configILj256ELj13ELNS0_17block_load_methodE3ELS4_3ELS4_3ELNS0_20block_scan_algorithmE0ELj4294967295EEENS1_25partition_config_selectorILNS1_17partition_subalgoE3EjNS0_10empty_typeEbEEZZNS1_14partition_implILS8_3ELb0ES6_jNS0_17counting_iteratorIjlEEPS9_SE_NS0_5tupleIJPjSE_EEENSF_IJSE_SE_EEES9_SG_JZNS1_25segmented_radix_sort_implINS0_14default_configELb0EPKdPdPKlPlN2at6native12_GLOBAL__N_18offset_tEEE10hipError_tPvRmT1_PNSt15iterator_traitsISY_E10value_typeET2_T3_PNSZ_IS14_E10value_typeET4_jRbjT5_S1A_jjP12ihipStream_tbEUljE_EEESV_SW_SX_S14_S18_S1A_T6_T7_T9_mT8_S1C_bDpT10_ENKUlT_T0_E_clISt17integral_constantIbLb0EES1O_IbLb1EEEEDaS1K_S1L_EUlS1K_E_NS1_11comp_targetILNS1_3genE10ELNS1_11target_archE1200ELNS1_3gpuE4ELNS1_3repE0EEENS1_30default_config_static_selectorELNS0_4arch9wavefront6targetE0EEEvSY_,comdat
	.globl	_ZN7rocprim17ROCPRIM_400000_NS6detail17trampoline_kernelINS0_13select_configILj256ELj13ELNS0_17block_load_methodE3ELS4_3ELS4_3ELNS0_20block_scan_algorithmE0ELj4294967295EEENS1_25partition_config_selectorILNS1_17partition_subalgoE3EjNS0_10empty_typeEbEEZZNS1_14partition_implILS8_3ELb0ES6_jNS0_17counting_iteratorIjlEEPS9_SE_NS0_5tupleIJPjSE_EEENSF_IJSE_SE_EEES9_SG_JZNS1_25segmented_radix_sort_implINS0_14default_configELb0EPKdPdPKlPlN2at6native12_GLOBAL__N_18offset_tEEE10hipError_tPvRmT1_PNSt15iterator_traitsISY_E10value_typeET2_T3_PNSZ_IS14_E10value_typeET4_jRbjT5_S1A_jjP12ihipStream_tbEUljE_EEESV_SW_SX_S14_S18_S1A_T6_T7_T9_mT8_S1C_bDpT10_ENKUlT_T0_E_clISt17integral_constantIbLb0EES1O_IbLb1EEEEDaS1K_S1L_EUlS1K_E_NS1_11comp_targetILNS1_3genE10ELNS1_11target_archE1200ELNS1_3gpuE4ELNS1_3repE0EEENS1_30default_config_static_selectorELNS0_4arch9wavefront6targetE0EEEvSY_ ; -- Begin function _ZN7rocprim17ROCPRIM_400000_NS6detail17trampoline_kernelINS0_13select_configILj256ELj13ELNS0_17block_load_methodE3ELS4_3ELS4_3ELNS0_20block_scan_algorithmE0ELj4294967295EEENS1_25partition_config_selectorILNS1_17partition_subalgoE3EjNS0_10empty_typeEbEEZZNS1_14partition_implILS8_3ELb0ES6_jNS0_17counting_iteratorIjlEEPS9_SE_NS0_5tupleIJPjSE_EEENSF_IJSE_SE_EEES9_SG_JZNS1_25segmented_radix_sort_implINS0_14default_configELb0EPKdPdPKlPlN2at6native12_GLOBAL__N_18offset_tEEE10hipError_tPvRmT1_PNSt15iterator_traitsISY_E10value_typeET2_T3_PNSZ_IS14_E10value_typeET4_jRbjT5_S1A_jjP12ihipStream_tbEUljE_EEESV_SW_SX_S14_S18_S1A_T6_T7_T9_mT8_S1C_bDpT10_ENKUlT_T0_E_clISt17integral_constantIbLb0EES1O_IbLb1EEEEDaS1K_S1L_EUlS1K_E_NS1_11comp_targetILNS1_3genE10ELNS1_11target_archE1200ELNS1_3gpuE4ELNS1_3repE0EEENS1_30default_config_static_selectorELNS0_4arch9wavefront6targetE0EEEvSY_
	.p2align	8
	.type	_ZN7rocprim17ROCPRIM_400000_NS6detail17trampoline_kernelINS0_13select_configILj256ELj13ELNS0_17block_load_methodE3ELS4_3ELS4_3ELNS0_20block_scan_algorithmE0ELj4294967295EEENS1_25partition_config_selectorILNS1_17partition_subalgoE3EjNS0_10empty_typeEbEEZZNS1_14partition_implILS8_3ELb0ES6_jNS0_17counting_iteratorIjlEEPS9_SE_NS0_5tupleIJPjSE_EEENSF_IJSE_SE_EEES9_SG_JZNS1_25segmented_radix_sort_implINS0_14default_configELb0EPKdPdPKlPlN2at6native12_GLOBAL__N_18offset_tEEE10hipError_tPvRmT1_PNSt15iterator_traitsISY_E10value_typeET2_T3_PNSZ_IS14_E10value_typeET4_jRbjT5_S1A_jjP12ihipStream_tbEUljE_EEESV_SW_SX_S14_S18_S1A_T6_T7_T9_mT8_S1C_bDpT10_ENKUlT_T0_E_clISt17integral_constantIbLb0EES1O_IbLb1EEEEDaS1K_S1L_EUlS1K_E_NS1_11comp_targetILNS1_3genE10ELNS1_11target_archE1200ELNS1_3gpuE4ELNS1_3repE0EEENS1_30default_config_static_selectorELNS0_4arch9wavefront6targetE0EEEvSY_,@function
_ZN7rocprim17ROCPRIM_400000_NS6detail17trampoline_kernelINS0_13select_configILj256ELj13ELNS0_17block_load_methodE3ELS4_3ELS4_3ELNS0_20block_scan_algorithmE0ELj4294967295EEENS1_25partition_config_selectorILNS1_17partition_subalgoE3EjNS0_10empty_typeEbEEZZNS1_14partition_implILS8_3ELb0ES6_jNS0_17counting_iteratorIjlEEPS9_SE_NS0_5tupleIJPjSE_EEENSF_IJSE_SE_EEES9_SG_JZNS1_25segmented_radix_sort_implINS0_14default_configELb0EPKdPdPKlPlN2at6native12_GLOBAL__N_18offset_tEEE10hipError_tPvRmT1_PNSt15iterator_traitsISY_E10value_typeET2_T3_PNSZ_IS14_E10value_typeET4_jRbjT5_S1A_jjP12ihipStream_tbEUljE_EEESV_SW_SX_S14_S18_S1A_T6_T7_T9_mT8_S1C_bDpT10_ENKUlT_T0_E_clISt17integral_constantIbLb0EES1O_IbLb1EEEEDaS1K_S1L_EUlS1K_E_NS1_11comp_targetILNS1_3genE10ELNS1_11target_archE1200ELNS1_3gpuE4ELNS1_3repE0EEENS1_30default_config_static_selectorELNS0_4arch9wavefront6targetE0EEEvSY_: ; @_ZN7rocprim17ROCPRIM_400000_NS6detail17trampoline_kernelINS0_13select_configILj256ELj13ELNS0_17block_load_methodE3ELS4_3ELS4_3ELNS0_20block_scan_algorithmE0ELj4294967295EEENS1_25partition_config_selectorILNS1_17partition_subalgoE3EjNS0_10empty_typeEbEEZZNS1_14partition_implILS8_3ELb0ES6_jNS0_17counting_iteratorIjlEEPS9_SE_NS0_5tupleIJPjSE_EEENSF_IJSE_SE_EEES9_SG_JZNS1_25segmented_radix_sort_implINS0_14default_configELb0EPKdPdPKlPlN2at6native12_GLOBAL__N_18offset_tEEE10hipError_tPvRmT1_PNSt15iterator_traitsISY_E10value_typeET2_T3_PNSZ_IS14_E10value_typeET4_jRbjT5_S1A_jjP12ihipStream_tbEUljE_EEESV_SW_SX_S14_S18_S1A_T6_T7_T9_mT8_S1C_bDpT10_ENKUlT_T0_E_clISt17integral_constantIbLb0EES1O_IbLb1EEEEDaS1K_S1L_EUlS1K_E_NS1_11comp_targetILNS1_3genE10ELNS1_11target_archE1200ELNS1_3gpuE4ELNS1_3repE0EEENS1_30default_config_static_selectorELNS0_4arch9wavefront6targetE0EEEvSY_
; %bb.0:
	s_clause 0x6
	s_load_b64 s[16:17], s[0:1], 0x10
	s_load_b64 s[10:11], s[0:1], 0x28
	;; [unrolled: 1-line block ×3, first 2 shown]
	s_load_b128 s[12:15], s[0:1], 0x48
	s_load_b32 s3, s[0:1], 0x90
	s_load_b64 s[20:21], s[0:1], 0x68
	s_load_b128 s[4:7], s[0:1], 0x80
	v_cmp_eq_u32_e64 s2, 0, v0
	s_and_saveexec_b32 s8, s2
	s_cbranch_execz .LBB1218_4
; %bb.1:
	s_mov_b32 s22, exec_lo
	s_mov_b32 s9, exec_lo
	v_mbcnt_lo_u32_b32 v1, s22, 0
                                        ; implicit-def: $vgpr2
	s_delay_alu instid0(VALU_DEP_1)
	v_cmpx_eq_u32_e32 0, v1
	s_cbranch_execz .LBB1218_3
; %bb.2:
	s_load_b64 s[24:25], s[0:1], 0x78
	s_bcnt1_i32_b32 s22, s22
	s_wait_alu 0xfffe
	v_dual_mov_b32 v2, 0 :: v_dual_mov_b32 v3, s22
	s_wait_kmcnt 0x0
	global_atomic_add_u32 v2, v2, v3, s[24:25] th:TH_ATOMIC_RETURN scope:SCOPE_DEV
.LBB1218_3:
	s_or_b32 exec_lo, exec_lo, s9
	s_wait_loadcnt 0x0
	v_readfirstlane_b32 s9, v2
	s_delay_alu instid0(VALU_DEP_1)
	v_dual_mov_b32 v2, 0 :: v_dual_add_nc_u32 v1, s9, v1
	ds_store_b32 v2, v1
.LBB1218_4:
	s_or_b32 exec_lo, exec_lo, s8
	v_mov_b32_e32 v1, 0
	s_clause 0x1
	s_load_b32 s8, s[0:1], 0x8
	s_load_b32 s0, s[0:1], 0x70
	s_wait_dscnt 0x0
	s_barrier_signal -1
	s_barrier_wait -1
	global_inv scope:SCOPE_SE
	ds_load_b32 v2, v1
	s_wait_loadcnt_dscnt 0x0
	s_barrier_signal -1
	s_barrier_wait -1
	global_inv scope:SCOPE_SE
	s_wait_kmcnt 0x0
	global_load_b64 v[17:18], v1, s[14:15]
	s_mov_b32 s1, 0
	v_lshlrev_b32_e32 v45, 2, v0
	s_mov_b32 s23, -1
	s_add_co_i32 s8, s8, s16
	s_add_co_i32 s9, s0, -1
	s_mulk_i32 s0, 0xd00
	s_delay_alu instid0(SALU_CYCLE_1)
	s_add_co_i32 s14, s0, s16
	s_add_nc_u64 s[0:1], s[16:17], s[0:1]
	v_readfirstlane_b32 s15, v2
	v_cmp_gt_u64_e64 s0, s[18:19], s[0:1]
	s_sub_co_i32 s22, s18, s14
	s_wait_alu 0xfffe
	v_cmp_ne_u32_e32 vcc_lo, s9, v2
	s_addk_co_i32 s22, 0xd00
	s_cmp_eq_u32 s15, s9
	s_mul_i32 s14, s15, 0xd00
	s_cselect_b32 s9, -1, 0
	s_or_b32 s1, s0, vcc_lo
	s_wait_alu 0xfffe
	s_and_b32 vcc_lo, exec_lo, s1
	s_cbranch_vccz .LBB1218_6
; %bb.5:
	v_add3_u32 v1, s14, s8, v0
	s_mov_b32 s23, 0
	s_delay_alu instid0(VALU_DEP_1)
	v_add_nc_u32_e32 v2, 0x100, v1
	v_add_nc_u32_e32 v3, 0x200, v1
	;; [unrolled: 1-line block ×12, first 2 shown]
	ds_store_2addr_stride64_b32 v45, v1, v2 offset1:4
	ds_store_2addr_stride64_b32 v45, v3, v4 offset0:8 offset1:12
	ds_store_2addr_stride64_b32 v45, v5, v6 offset0:16 offset1:20
	;; [unrolled: 1-line block ×5, first 2 shown]
	ds_store_b32 v45, v13 offset:12288
	s_wait_loadcnt_dscnt 0x0
	s_barrier_signal -1
	s_barrier_wait -1
.LBB1218_6:
	v_cmp_gt_u32_e64 s0, s22, v0
	v_or_b32_e32 v44, 0x100, v0
	v_or_b32_e32 v43, 0x200, v0
	;; [unrolled: 1-line block ×12, first 2 shown]
	s_wait_alu 0xfffe
	s_and_not1_b32 vcc_lo, exec_lo, s23
	s_cbranch_vccnz .LBB1218_8
; %bb.7:
	s_add_co_i32 s8, s14, s8
	v_cmp_gt_u32_e32 vcc_lo, s22, v44
	s_wait_alu 0xfffe
	v_add_nc_u32_e32 v13, s8, v33
	v_add_nc_u32_e32 v12, s8, v34
	;; [unrolled: 1-line block ×12, first 2 shown]
	s_delay_alu instid0(VALU_DEP_1) | instskip(SKIP_1) | instid1(VALU_DEP_2)
	v_dual_cndmask_b32 v2, 0, v2 :: v_dual_add_nc_u32 v1, s8, v0
	v_cmp_gt_u32_e32 vcc_lo, s22, v43
	v_cndmask_b32_e64 v1, 0, v1, s0
	s_wait_alu 0xfffd
	v_cndmask_b32_e32 v3, 0, v3, vcc_lo
	v_cmp_gt_u32_e32 vcc_lo, s22, v42
	s_wait_alu 0xfffd
	v_cndmask_b32_e32 v4, 0, v4, vcc_lo
	v_cmp_gt_u32_e32 vcc_lo, s22, v41
	s_wait_alu 0xfffd
	v_cndmask_b32_e32 v5, 0, v5, vcc_lo
	v_cmp_gt_u32_e32 vcc_lo, s22, v40
	s_wait_alu 0xfffd
	v_cndmask_b32_e32 v6, 0, v6, vcc_lo
	v_cmp_gt_u32_e32 vcc_lo, s22, v39
	s_wait_alu 0xfffd
	v_cndmask_b32_e32 v7, 0, v7, vcc_lo
	v_cmp_gt_u32_e32 vcc_lo, s22, v38
	s_wait_alu 0xfffd
	v_cndmask_b32_e32 v8, 0, v8, vcc_lo
	v_cmp_gt_u32_e32 vcc_lo, s22, v37
	s_wait_alu 0xfffd
	v_cndmask_b32_e32 v9, 0, v9, vcc_lo
	v_cmp_gt_u32_e32 vcc_lo, s22, v36
	s_wait_alu 0xfffd
	v_cndmask_b32_e32 v10, 0, v10, vcc_lo
	v_cmp_gt_u32_e32 vcc_lo, s22, v35
	s_wait_alu 0xfffd
	v_cndmask_b32_e32 v11, 0, v11, vcc_lo
	v_cmp_gt_u32_e32 vcc_lo, s22, v34
	s_wait_alu 0xfffd
	v_cndmask_b32_e32 v12, 0, v12, vcc_lo
	v_cmp_gt_u32_e32 vcc_lo, s22, v33
	s_wait_alu 0xfffd
	v_cndmask_b32_e32 v13, 0, v13, vcc_lo
	ds_store_2addr_stride64_b32 v45, v1, v2 offset1:4
	ds_store_2addr_stride64_b32 v45, v3, v4 offset0:8 offset1:12
	ds_store_2addr_stride64_b32 v45, v5, v6 offset0:16 offset1:20
	;; [unrolled: 1-line block ×5, first 2 shown]
	ds_store_b32 v45, v13 offset:12288
	s_wait_loadcnt_dscnt 0x0
	s_barrier_signal -1
	s_barrier_wait -1
.LBB1218_8:
	v_mul_u32_u24_e32 v48, 13, v0
	s_wait_loadcnt 0x0
	global_inv scope:SCOPE_SE
	v_cndmask_b32_e64 v46, 0, 1, s1
	s_and_not1_b32 vcc_lo, exec_lo, s1
	v_lshlrev_b32_e32 v1, 2, v48
	ds_load_2addr_b32 v[29:30], v1 offset0:2 offset1:3
	ds_load_2addr_b32 v[25:26], v1 offset0:6 offset1:7
	ds_load_2addr_b32 v[27:28], v1 offset0:4 offset1:5
	ds_load_2addr_b32 v[31:32], v1 offset1:1
	ds_load_2addr_b32 v[21:22], v1 offset0:10 offset1:11
	ds_load_b32 v47, v1 offset:48
	ds_load_2addr_b32 v[23:24], v1 offset0:8 offset1:9
	s_wait_loadcnt_dscnt 0x0
	s_barrier_signal -1
	s_barrier_wait -1
	global_inv scope:SCOPE_SE
	s_wait_alu 0xfffe
	s_cbranch_vccnz .LBB1218_10
; %bb.9:
	v_add_nc_u32_e32 v1, s5, v30
	v_add_nc_u32_e32 v2, s7, v30
	;; [unrolled: 1-line block ×5, first 2 shown]
	v_mul_lo_u32 v1, v1, s4
	v_mul_lo_u32 v2, v2, s6
	v_add_nc_u32_e32 v8, s7, v29
	v_add_nc_u32_e32 v3, s5, v32
	v_add_nc_u32_e32 v6, s7, v32
	v_mul_lo_u32 v5, v5, s4
	v_mul_lo_u32 v4, v4, s4
	v_add_nc_u32_e32 v9, s5, v27
	v_mul_lo_u32 v3, v3, s4
	v_sub_nc_u32_e32 v1, v1, v2
	v_mul_lo_u32 v2, v7, s6
	v_mul_lo_u32 v7, v8, s6
	;; [unrolled: 1-line block ×3, first 2 shown]
	v_add_nc_u32_e32 v8, s5, v28
	v_add_nc_u32_e32 v10, s7, v27
	v_mul_lo_u32 v9, v9, s4
	v_cmp_lt_u32_e32 vcc_lo, s3, v1
	v_add_nc_u32_e32 v14, s7, v22
	v_sub_nc_u32_e32 v2, v4, v2
	v_sub_nc_u32_e32 v4, v5, v7
	v_add_nc_u32_e32 v5, s7, v28
	v_sub_nc_u32_e32 v3, v3, v6
	v_add_nc_u32_e32 v6, s5, v26
	v_add_nc_u32_e32 v7, s7, v26
	v_mul_lo_u32 v8, v8, s4
	v_mul_lo_u32 v5, v5, s6
	;; [unrolled: 1-line block ×5, first 2 shown]
	s_wait_alu 0xfffd
	v_cndmask_b32_e64 v1, 0, 1, vcc_lo
	v_cmp_lt_u32_e32 vcc_lo, s3, v3
	v_mul_lo_u32 v14, v14, s6
	v_add_nc_u32_e32 v15, s7, v24
	v_sub_nc_u32_e32 v5, v8, v5
	v_add_nc_u32_e32 v8, s7, v25
	s_wait_alu 0xfffd
	v_cndmask_b32_e64 v3, 0, 1, vcc_lo
	v_sub_nc_u32_e32 v6, v6, v7
	v_mul_lo_u32 v15, v15, s6
	v_cmp_lt_u32_e32 vcc_lo, s3, v5
	v_mul_lo_u32 v7, v8, s6
	v_sub_nc_u32_e32 v8, v9, v10
	v_add_nc_u32_e32 v9, s5, v22
	v_add_nc_u32_e32 v10, s5, v24
	s_wait_alu 0xfffd
	v_cndmask_b32_e64 v5, 0, 1, vcc_lo
	v_cmp_lt_u32_e32 vcc_lo, s3, v6
	v_add_nc_u32_e32 v11, s5, v25
	v_mul_lo_u32 v9, v9, s4
	v_mul_lo_u32 v10, v10, s4
	v_add_nc_u32_e32 v12, s5, v23
	s_wait_alu 0xfffd
	v_cndmask_b32_e64 v6, 0, 1, vcc_lo
	v_mul_lo_u32 v11, v11, s4
	v_add_nc_u32_e32 v16, s7, v23
	v_lshlrev_b16 v3, 8, v3
	v_add_nc_u32_e32 v13, s5, v21
	v_sub_nc_u32_e32 v9, v9, v14
	v_sub_nc_u32_e32 v10, v10, v15
	v_add_nc_u32_e32 v19, s7, v21
	v_mul_lo_u32 v12, v12, s4
	v_mul_lo_u32 v16, v16, s6
	v_cmp_lt_u32_e32 vcc_lo, s3, v9
	v_sub_nc_u32_e32 v7, v11, v7
	v_lshrrev_b32_e32 v3, 8, v3
	v_mul_lo_u32 v11, v13, s4
	v_mul_lo_u32 v13, v19, s6
	s_wait_alu 0xfffd
	v_cndmask_b32_e64 v9, 0, 1, vcc_lo
	v_cmp_lt_u32_e32 vcc_lo, s3, v2
	v_sub_nc_u32_e32 v12, v12, v16
	v_lshlrev_b16 v3, 8, v3
	v_lshlrev_b16 v1, 8, v1
	;; [unrolled: 1-line block ×3, first 2 shown]
	s_wait_alu 0xfffd
	v_cndmask_b32_e64 v2, 0, 1, vcc_lo
	v_cmp_lt_u32_e32 vcc_lo, s3, v10
	v_sub_nc_u32_e32 v11, v11, v13
	v_add_nc_u32_e32 v14, s5, v47
	v_add_nc_u32_e32 v15, s7, v47
	v_or_b32_e32 v2, v2, v3
	s_wait_alu 0xfffd
	v_cndmask_b32_e64 v10, 0, 1, vcc_lo
	v_cmp_lt_u32_e32 vcc_lo, s3, v4
	v_lshlrev_b16 v3, 8, v9
	v_lshrrev_b32_e32 v5, 8, v5
	v_lshrrev_b32_e32 v1, 8, v1
	v_lshlrev_b16 v9, 8, v10
	s_wait_alu 0xfffd
	v_cndmask_b32_e64 v4, 0, 1, vcc_lo
	v_cmp_lt_u32_e32 vcc_lo, s3, v8
	v_lshrrev_b32_e32 v3, 8, v3
	v_mul_lo_u32 v14, v14, s4
	v_lshrrev_b32_e32 v9, 8, v9
	v_mul_lo_u32 v15, v15, s6
	s_wait_alu 0xfffd
	v_cndmask_b32_e64 v8, 0, 1, vcc_lo
	v_cmp_lt_u32_e32 vcc_lo, s3, v7
	v_lshlrev_b16 v6, 8, v6
	v_lshlrev_b16 v1, 8, v1
	v_lshlrev_b16 v5, 8, v5
	v_lshlrev_b16 v9, 8, v9
	s_wait_alu 0xfffd
	v_cndmask_b32_e64 v7, 0, 1, vcc_lo
	v_cmp_lt_u32_e32 vcc_lo, s3, v12
	v_lshlrev_b16 v3, 8, v3
	v_sub_nc_u32_e32 v10, v14, v15
	v_or_b32_e32 v1, v4, v1
	v_or_b32_e32 v4, v8, v5
	s_wait_alu 0xfffd
	v_cndmask_b32_e64 v12, 0, 1, vcc_lo
	v_cmp_lt_u32_e32 vcc_lo, s3, v11
	v_or_b32_e32 v5, v7, v6
	v_and_b32_e32 v2, 0xffff, v2
	v_lshlrev_b32_e32 v1, 16, v1
	v_or_b32_e32 v6, v12, v9
	s_wait_alu 0xfffd
	v_cndmask_b32_e64 v11, 0, 1, vcc_lo
	v_and_b32_e32 v4, 0xffff, v4
	v_lshlrev_b32_e32 v5, 16, v5
	v_cmp_lt_u32_e32 vcc_lo, s3, v10
	v_and_b32_e32 v6, 0xffff, v6
	v_or_b32_e32 v3, v11, v3
	v_or_b32_e32 v54, v2, v1
	;; [unrolled: 1-line block ×3, first 2 shown]
	s_wait_alu 0xfffd
	v_cndmask_b32_e64 v49, 0, 1, vcc_lo
	v_lshlrev_b32_e32 v3, 16, v3
	s_delay_alu instid0(VALU_DEP_1)
	v_or_b32_e32 v50, v6, v3
	s_cbranch_execz .LBB1218_11
	s_branch .LBB1218_38
.LBB1218_10:
                                        ; implicit-def: $vgpr49
                                        ; implicit-def: $vgpr50
                                        ; implicit-def: $vgpr52
                                        ; implicit-def: $vgpr54
.LBB1218_11:
	v_dual_mov_b32 v2, 0 :: v_dual_mov_b32 v1, 0
	s_mov_b32 s0, exec_lo
	v_cmpx_gt_u32_e64 s22, v48
	s_cbranch_execz .LBB1218_13
; %bb.12:
	v_add_nc_u32_e32 v1, s5, v31
	v_add_nc_u32_e32 v3, s7, v31
	s_delay_alu instid0(VALU_DEP_2) | instskip(NEXT) | instid1(VALU_DEP_2)
	v_mul_lo_u32 v1, v1, s4
	v_mul_lo_u32 v3, v3, s6
	s_delay_alu instid0(VALU_DEP_1) | instskip(NEXT) | instid1(VALU_DEP_1)
	v_sub_nc_u32_e32 v1, v1, v3
	v_cmp_lt_u32_e32 vcc_lo, s3, v1
	s_wait_alu 0xfffd
	v_cndmask_b32_e64 v1, 0, 1, vcc_lo
.LBB1218_13:
	s_wait_alu 0xfffe
	s_or_b32 exec_lo, exec_lo, s0
	v_add_nc_u32_e32 v3, 1, v48
	s_mov_b32 s0, exec_lo
	s_delay_alu instid0(VALU_DEP_1)
	v_cmpx_gt_u32_e64 s22, v3
	s_cbranch_execz .LBB1218_15
; %bb.14:
	v_add_nc_u32_e32 v2, s5, v32
	v_add_nc_u32_e32 v3, s7, v32
	s_delay_alu instid0(VALU_DEP_2) | instskip(NEXT) | instid1(VALU_DEP_2)
	v_mul_lo_u32 v2, v2, s4
	v_mul_lo_u32 v3, v3, s6
	s_delay_alu instid0(VALU_DEP_1) | instskip(NEXT) | instid1(VALU_DEP_1)
	v_sub_nc_u32_e32 v2, v2, v3
	v_cmp_lt_u32_e32 vcc_lo, s3, v2
	s_wait_alu 0xfffd
	v_cndmask_b32_e64 v2, 0, 1, vcc_lo
.LBB1218_15:
	s_wait_alu 0xfffe
	s_or_b32 exec_lo, exec_lo, s0
	v_dual_mov_b32 v4, 0 :: v_dual_add_nc_u32 v3, 2, v48
	s_delay_alu instid0(VALU_DEP_1)
	v_cmp_gt_u32_e32 vcc_lo, s22, v3
	v_mov_b32_e32 v3, 0
	s_and_saveexec_b32 s0, vcc_lo
	s_cbranch_execz .LBB1218_17
; %bb.16:
	v_add_nc_u32_e32 v3, s5, v29
	v_add_nc_u32_e32 v5, s7, v29
	s_delay_alu instid0(VALU_DEP_2) | instskip(NEXT) | instid1(VALU_DEP_2)
	v_mul_lo_u32 v3, v3, s4
	v_mul_lo_u32 v5, v5, s6
	s_delay_alu instid0(VALU_DEP_1) | instskip(NEXT) | instid1(VALU_DEP_1)
	v_sub_nc_u32_e32 v3, v3, v5
	v_cmp_lt_u32_e32 vcc_lo, s3, v3
	s_wait_alu 0xfffd
	v_cndmask_b32_e64 v3, 0, 1, vcc_lo
.LBB1218_17:
	s_wait_alu 0xfffe
	s_or_b32 exec_lo, exec_lo, s0
	v_add_nc_u32_e32 v5, 3, v48
	s_mov_b32 s0, exec_lo
	s_delay_alu instid0(VALU_DEP_1)
	v_cmpx_gt_u32_e64 s22, v5
	s_cbranch_execz .LBB1218_19
; %bb.18:
	v_add_nc_u32_e32 v4, s5, v30
	v_add_nc_u32_e32 v5, s7, v30
	s_delay_alu instid0(VALU_DEP_2) | instskip(NEXT) | instid1(VALU_DEP_2)
	v_mul_lo_u32 v4, v4, s4
	v_mul_lo_u32 v5, v5, s6
	s_delay_alu instid0(VALU_DEP_1) | instskip(NEXT) | instid1(VALU_DEP_1)
	v_sub_nc_u32_e32 v4, v4, v5
	v_cmp_lt_u32_e32 vcc_lo, s3, v4
	s_wait_alu 0xfffd
	v_cndmask_b32_e64 v4, 0, 1, vcc_lo
.LBB1218_19:
	s_wait_alu 0xfffe
	s_or_b32 exec_lo, exec_lo, s0
	v_dual_mov_b32 v6, 0 :: v_dual_add_nc_u32 v5, 4, v48
	s_delay_alu instid0(VALU_DEP_1)
	v_cmp_gt_u32_e32 vcc_lo, s22, v5
	v_mov_b32_e32 v5, 0
	s_and_saveexec_b32 s0, vcc_lo
	;; [unrolled: 39-line block ×5, first 2 shown]
	s_cbranch_execz .LBB1218_33
; %bb.32:
	v_add_nc_u32_e32 v11, s5, v21
	v_add_nc_u32_e32 v13, s7, v21
	s_delay_alu instid0(VALU_DEP_2) | instskip(NEXT) | instid1(VALU_DEP_2)
	v_mul_lo_u32 v11, v11, s4
	v_mul_lo_u32 v13, v13, s6
	s_delay_alu instid0(VALU_DEP_1) | instskip(NEXT) | instid1(VALU_DEP_1)
	v_sub_nc_u32_e32 v11, v11, v13
	v_cmp_lt_u32_e32 vcc_lo, s3, v11
	s_wait_alu 0xfffd
	v_cndmask_b32_e64 v11, 0, 1, vcc_lo
.LBB1218_33:
	s_wait_alu 0xfffe
	s_or_b32 exec_lo, exec_lo, s0
	v_add_nc_u32_e32 v13, 11, v48
	s_mov_b32 s0, exec_lo
	s_delay_alu instid0(VALU_DEP_1)
	v_cmpx_gt_u32_e64 s22, v13
	s_cbranch_execz .LBB1218_35
; %bb.34:
	v_add_nc_u32_e32 v12, s5, v22
	v_add_nc_u32_e32 v13, s7, v22
	s_delay_alu instid0(VALU_DEP_2) | instskip(NEXT) | instid1(VALU_DEP_2)
	v_mul_lo_u32 v12, v12, s4
	v_mul_lo_u32 v13, v13, s6
	s_delay_alu instid0(VALU_DEP_1) | instskip(NEXT) | instid1(VALU_DEP_1)
	v_sub_nc_u32_e32 v12, v12, v13
	v_cmp_lt_u32_e32 vcc_lo, s3, v12
	s_wait_alu 0xfffd
	v_cndmask_b32_e64 v12, 0, 1, vcc_lo
.LBB1218_35:
	s_wait_alu 0xfffe
	s_or_b32 exec_lo, exec_lo, s0
	v_add_nc_u32_e32 v13, 12, v48
	v_mov_b32_e32 v49, 0
	s_mov_b32 s0, exec_lo
	s_delay_alu instid0(VALU_DEP_2)
	v_cmpx_gt_u32_e64 s22, v13
	s_cbranch_execz .LBB1218_37
; %bb.36:
	v_add_nc_u32_e32 v13, s5, v47
	v_add_nc_u32_e32 v14, s7, v47
	s_delay_alu instid0(VALU_DEP_2) | instskip(NEXT) | instid1(VALU_DEP_2)
	v_mul_lo_u32 v13, v13, s4
	v_mul_lo_u32 v14, v14, s6
	s_delay_alu instid0(VALU_DEP_1) | instskip(NEXT) | instid1(VALU_DEP_1)
	v_sub_nc_u32_e32 v13, v13, v14
	v_cmp_lt_u32_e32 vcc_lo, s3, v13
	s_wait_alu 0xfffd
	v_cndmask_b32_e64 v49, 0, 1, vcc_lo
.LBB1218_37:
	s_wait_alu 0xfffe
	s_or_b32 exec_lo, exec_lo, s0
	v_lshlrev_b16 v2, 8, v2
	v_lshlrev_b16 v4, 8, v4
	;; [unrolled: 1-line block ×5, first 2 shown]
	v_or_b32_e32 v1, v1, v2
	v_lshlrev_b16 v2, 8, v12
	v_or_b32_e32 v3, v3, v4
	v_or_b32_e32 v4, v5, v6
	;; [unrolled: 1-line block ×5, first 2 shown]
	v_and_b32_e32 v1, 0xffff, v1
	v_lshlrev_b32_e32 v3, 16, v3
	v_and_b32_e32 v4, 0xffff, v4
	v_lshlrev_b32_e32 v5, 16, v5
	;; [unrolled: 2-line block ×3, first 2 shown]
	v_or_b32_e32 v54, v1, v3
	s_delay_alu instid0(VALU_DEP_4) | instskip(NEXT) | instid1(VALU_DEP_3)
	v_or_b32_e32 v52, v4, v5
	v_or_b32_e32 v50, v6, v2
.LBB1218_38:
	s_delay_alu instid0(VALU_DEP_3)
	v_and_b32_e32 v56, 0xff, v54
	v_bfe_u32 v57, v54, 8, 8
	v_bfe_u32 v58, v54, 16, 8
	v_lshrrev_b32_e32 v55, 24, v54
	v_and_b32_e32 v59, 0xff, v52
	v_bfe_u32 v60, v52, 8, 8
	v_bfe_u32 v61, v52, 16, 8
	v_add3_u32 v1, v57, v56, v58
	v_lshrrev_b32_e32 v53, 24, v52
	v_and_b32_e32 v62, 0xff, v50
	v_bfe_u32 v63, v50, 8, 8
	v_mbcnt_lo_u32_b32 v65, -1, 0
	v_add3_u32 v1, v1, v55, v59
	v_bfe_u32 v64, v50, 16, 8
	v_lshrrev_b32_e32 v51, 24, v50
	v_and_b32_e32 v2, 0xff, v49
	v_and_b32_e32 v3, 15, v65
	v_add3_u32 v1, v1, v60, v61
	v_or_b32_e32 v4, 31, v0
	v_and_b32_e32 v5, 16, v65
	v_lshrrev_b32_e32 v66, 5, v0
	v_cmp_eq_u32_e64 s6, 0, v3
	v_add3_u32 v1, v1, v53, v62
	v_cmp_lt_u32_e64 s5, 1, v3
	v_cmp_lt_u32_e64 s4, 3, v3
	v_cmp_lt_u32_e64 s3, 7, v3
	v_cmp_eq_u32_e64 s1, 0, v5
	v_add3_u32 v1, v1, v63, v64
	v_cmp_eq_u32_e64 s0, v0, v4
	s_cmp_lg_u32 s15, 0
	s_mov_b32 s7, -1
	v_add3_u32 v67, v1, v51, v2
	s_cbranch_scc0 .LBB1218_59
; %bb.39:
	s_delay_alu instid0(VALU_DEP_1) | instskip(NEXT) | instid1(VALU_DEP_1)
	v_mov_b32_dpp v1, v67 row_shr:1 row_mask:0xf bank_mask:0xf
	v_cndmask_b32_e64 v1, v1, 0, s6
	s_delay_alu instid0(VALU_DEP_1) | instskip(NEXT) | instid1(VALU_DEP_1)
	v_add_nc_u32_e32 v1, v1, v67
	v_mov_b32_dpp v2, v1 row_shr:2 row_mask:0xf bank_mask:0xf
	s_delay_alu instid0(VALU_DEP_1) | instskip(NEXT) | instid1(VALU_DEP_1)
	v_cndmask_b32_e64 v2, 0, v2, s5
	v_add_nc_u32_e32 v1, v1, v2
	s_delay_alu instid0(VALU_DEP_1) | instskip(NEXT) | instid1(VALU_DEP_1)
	v_mov_b32_dpp v2, v1 row_shr:4 row_mask:0xf bank_mask:0xf
	v_cndmask_b32_e64 v2, 0, v2, s4
	s_delay_alu instid0(VALU_DEP_1) | instskip(NEXT) | instid1(VALU_DEP_1)
	v_add_nc_u32_e32 v1, v1, v2
	v_mov_b32_dpp v2, v1 row_shr:8 row_mask:0xf bank_mask:0xf
	s_delay_alu instid0(VALU_DEP_1) | instskip(NEXT) | instid1(VALU_DEP_1)
	v_cndmask_b32_e64 v2, 0, v2, s3
	v_add_nc_u32_e32 v1, v1, v2
	ds_swizzle_b32 v2, v1 offset:swizzle(BROADCAST,32,15)
	s_wait_dscnt 0x0
	v_cndmask_b32_e64 v2, v2, 0, s1
	s_delay_alu instid0(VALU_DEP_1)
	v_add_nc_u32_e32 v1, v1, v2
	s_and_saveexec_b32 s7, s0
; %bb.40:
	v_lshlrev_b32_e32 v2, 2, v66
	ds_store_b32 v2, v1
; %bb.41:
	s_wait_alu 0xfffe
	s_or_b32 exec_lo, exec_lo, s7
	s_delay_alu instid0(SALU_CYCLE_1)
	s_mov_b32 s7, exec_lo
	s_wait_loadcnt_dscnt 0x0
	s_barrier_signal -1
	s_barrier_wait -1
	global_inv scope:SCOPE_SE
	v_cmpx_gt_u32_e32 8, v0
	s_cbranch_execz .LBB1218_43
; %bb.42:
	ds_load_b32 v2, v45
	s_wait_dscnt 0x0
	v_mov_b32_dpp v4, v2 row_shr:1 row_mask:0xf bank_mask:0xf
	v_and_b32_e32 v3, 7, v65
	s_delay_alu instid0(VALU_DEP_1) | instskip(SKIP_1) | instid1(VALU_DEP_3)
	v_cmp_ne_u32_e32 vcc_lo, 0, v3
	s_wait_alu 0xfffd
	v_cndmask_b32_e32 v4, 0, v4, vcc_lo
	v_cmp_lt_u32_e32 vcc_lo, 1, v3
	s_delay_alu instid0(VALU_DEP_2) | instskip(NEXT) | instid1(VALU_DEP_1)
	v_add_nc_u32_e32 v2, v4, v2
	v_mov_b32_dpp v4, v2 row_shr:2 row_mask:0xf bank_mask:0xf
	s_wait_alu 0xfffd
	s_delay_alu instid0(VALU_DEP_1) | instskip(SKIP_1) | instid1(VALU_DEP_2)
	v_cndmask_b32_e32 v4, 0, v4, vcc_lo
	v_cmp_lt_u32_e32 vcc_lo, 3, v3
	v_add_nc_u32_e32 v2, v2, v4
	s_delay_alu instid0(VALU_DEP_1) | instskip(SKIP_1) | instid1(VALU_DEP_1)
	v_mov_b32_dpp v4, v2 row_shr:4 row_mask:0xf bank_mask:0xf
	s_wait_alu 0xfffd
	v_cndmask_b32_e32 v3, 0, v4, vcc_lo
	s_delay_alu instid0(VALU_DEP_1)
	v_add_nc_u32_e32 v2, v2, v3
	ds_store_b32 v45, v2
.LBB1218_43:
	s_wait_alu 0xfffe
	s_or_b32 exec_lo, exec_lo, s7
	s_delay_alu instid0(SALU_CYCLE_1)
	s_mov_b32 s8, exec_lo
	v_cmp_gt_u32_e32 vcc_lo, 32, v0
	s_wait_loadcnt_dscnt 0x0
	s_barrier_signal -1
	s_barrier_wait -1
	global_inv scope:SCOPE_SE
                                        ; implicit-def: $vgpr9
	v_cmpx_lt_u32_e32 31, v0
	s_cbranch_execz .LBB1218_45
; %bb.44:
	v_lshl_add_u32 v2, v66, 2, -4
	ds_load_b32 v9, v2
	s_wait_dscnt 0x0
	v_add_nc_u32_e32 v1, v9, v1
.LBB1218_45:
	s_wait_alu 0xfffe
	s_or_b32 exec_lo, exec_lo, s8
	v_sub_co_u32 v2, s7, v65, 1
	s_delay_alu instid0(VALU_DEP_1) | instskip(SKIP_1) | instid1(VALU_DEP_1)
	v_cmp_gt_i32_e64 s8, 0, v2
	s_wait_alu 0xf1ff
	v_cndmask_b32_e64 v2, v2, v65, s8
	s_delay_alu instid0(VALU_DEP_1)
	v_lshlrev_b32_e32 v2, 2, v2
	ds_bpermute_b32 v10, v2, v1
	s_and_saveexec_b32 s8, vcc_lo
	s_cbranch_execz .LBB1218_64
; %bb.46:
	v_mov_b32_e32 v5, 0
	ds_load_b32 v1, v5 offset:28
	s_and_saveexec_b32 s23, s7
	s_cbranch_execz .LBB1218_48
; %bb.47:
	s_add_co_i32 s24, s15, 32
	s_mov_b32 s25, 0
	v_mov_b32_e32 v2, 1
	s_lshl_b64 s[24:25], s[24:25], 3
	s_delay_alu instid0(SALU_CYCLE_1)
	s_add_nc_u64 s[24:25], s[20:21], s[24:25]
	s_wait_dscnt 0x0
	global_store_b64 v5, v[1:2], s[24:25] scope:SCOPE_DEV
.LBB1218_48:
	s_wait_alu 0xfffe
	s_or_b32 exec_lo, exec_lo, s23
	v_xad_u32 v3, v65, -1, s15
	s_mov_b32 s24, 0
	s_mov_b32 s23, exec_lo
	s_delay_alu instid0(VALU_DEP_1) | instskip(NEXT) | instid1(VALU_DEP_1)
	v_add_nc_u32_e32 v4, 32, v3
	v_lshlrev_b64_e32 v[4:5], 3, v[4:5]
	s_delay_alu instid0(VALU_DEP_1) | instskip(SKIP_1) | instid1(VALU_DEP_2)
	v_add_co_u32 v7, vcc_lo, s20, v4
	s_wait_alu 0xfffd
	v_add_co_ci_u32_e64 v8, null, s21, v5, vcc_lo
	global_load_b64 v[5:6], v[7:8], off scope:SCOPE_DEV
	s_wait_loadcnt 0x0
	v_and_b32_e32 v2, 0xff, v6
	s_delay_alu instid0(VALU_DEP_1)
	v_cmpx_eq_u16_e32 0, v2
	s_cbranch_execz .LBB1218_51
.LBB1218_49:                            ; =>This Inner Loop Header: Depth=1
	global_load_b64 v[5:6], v[7:8], off scope:SCOPE_DEV
	s_wait_loadcnt 0x0
	v_and_b32_e32 v2, 0xff, v6
	s_delay_alu instid0(VALU_DEP_1) | instskip(SKIP_1) | instid1(SALU_CYCLE_1)
	v_cmp_ne_u16_e32 vcc_lo, 0, v2
	s_or_b32 s24, vcc_lo, s24
	s_and_not1_b32 exec_lo, exec_lo, s24
	s_cbranch_execnz .LBB1218_49
; %bb.50:
	s_or_b32 exec_lo, exec_lo, s24
.LBB1218_51:
	s_wait_alu 0xfffe
	s_or_b32 exec_lo, exec_lo, s23
	v_cmp_ne_u32_e32 vcc_lo, 31, v65
	v_lshlrev_b32_e64 v12, v65, -1
	v_add_nc_u32_e32 v14, 2, v65
	v_add_nc_u32_e32 v16, 4, v65
	;; [unrolled: 1-line block ×3, first 2 shown]
	s_wait_alu 0xfffd
	v_add_co_ci_u32_e64 v2, null, 0, v65, vcc_lo
	v_lshl_or_b32 v68, v65, 2, 64
	v_add_nc_u32_e32 v69, 16, v65
	s_delay_alu instid0(VALU_DEP_3)
	v_lshlrev_b32_e32 v11, 2, v2
	v_and_b32_e32 v2, 0xff, v6
	ds_bpermute_b32 v4, v11, v5
	v_cmp_eq_u16_e32 vcc_lo, 2, v2
	s_wait_alu 0xfffd
	v_and_or_b32 v2, vcc_lo, v12, 0x80000000
	v_cmp_gt_u32_e32 vcc_lo, 30, v65
	s_delay_alu instid0(VALU_DEP_2) | instskip(SKIP_2) | instid1(VALU_DEP_2)
	v_ctz_i32_b32_e32 v2, v2
	s_wait_alu 0xfffd
	v_cndmask_b32_e64 v7, 0, 2, vcc_lo
	v_cmp_lt_u32_e32 vcc_lo, v65, v2
	s_delay_alu instid0(VALU_DEP_2) | instskip(SKIP_4) | instid1(VALU_DEP_2)
	v_add_lshl_u32 v13, v7, v65, 2
	s_wait_dscnt 0x0
	s_wait_alu 0xfffd
	v_cndmask_b32_e32 v4, 0, v4, vcc_lo
	v_cmp_gt_u32_e32 vcc_lo, 28, v65
	v_add_nc_u32_e32 v4, v4, v5
	s_wait_alu 0xfffd
	v_cndmask_b32_e64 v7, 0, 4, vcc_lo
	v_cmp_le_u32_e32 vcc_lo, v14, v2
	ds_bpermute_b32 v5, v13, v4
	v_add_lshl_u32 v15, v7, v65, 2
	s_wait_dscnt 0x0
	s_wait_alu 0xfffd
	v_cndmask_b32_e32 v5, 0, v5, vcc_lo
	v_cmp_gt_u32_e32 vcc_lo, 24, v65
	s_delay_alu instid0(VALU_DEP_2)
	v_add_nc_u32_e32 v4, v4, v5
	s_wait_alu 0xfffd
	v_cndmask_b32_e64 v7, 0, 8, vcc_lo
	v_cmp_le_u32_e32 vcc_lo, v16, v2
	ds_bpermute_b32 v5, v15, v4
	v_add_lshl_u32 v19, v7, v65, 2
	s_wait_dscnt 0x0
	s_wait_alu 0xfffd
	v_cndmask_b32_e32 v5, 0, v5, vcc_lo
	v_cmp_le_u32_e32 vcc_lo, v20, v2
	s_delay_alu instid0(VALU_DEP_2)
	v_add_nc_u32_e32 v4, v4, v5
	ds_bpermute_b32 v5, v19, v4
	s_wait_dscnt 0x0
	s_wait_alu 0xfffd
	v_cndmask_b32_e32 v5, 0, v5, vcc_lo
	v_cmp_le_u32_e32 vcc_lo, v69, v2
	s_delay_alu instid0(VALU_DEP_2) | instskip(SKIP_4) | instid1(VALU_DEP_1)
	v_add_nc_u32_e32 v4, v4, v5
	ds_bpermute_b32 v5, v68, v4
	s_wait_dscnt 0x0
	s_wait_alu 0xfffd
	v_cndmask_b32_e32 v2, 0, v5, vcc_lo
	v_dual_mov_b32 v4, 0 :: v_dual_add_nc_u32 v5, v4, v2
	s_branch .LBB1218_55
.LBB1218_52:                            ;   in Loop: Header=BB1218_55 Depth=1
	s_or_b32 exec_lo, exec_lo, s24
.LBB1218_53:                            ;   in Loop: Header=BB1218_55 Depth=1
	s_wait_alu 0xfffe
	s_or_b32 exec_lo, exec_lo, s23
	ds_bpermute_b32 v8, v11, v5
	v_and_b32_e32 v7, 0xff, v6
	v_subrev_nc_u32_e32 v3, 32, v3
	s_mov_b32 s23, 0
	s_delay_alu instid0(VALU_DEP_2) | instskip(SKIP_2) | instid1(VALU_DEP_1)
	v_cmp_eq_u16_e32 vcc_lo, 2, v7
	s_wait_alu 0xfffd
	v_and_or_b32 v7, vcc_lo, v12, 0x80000000
	v_ctz_i32_b32_e32 v7, v7
	s_delay_alu instid0(VALU_DEP_1) | instskip(SKIP_4) | instid1(VALU_DEP_2)
	v_cmp_lt_u32_e32 vcc_lo, v65, v7
	s_wait_dscnt 0x0
	s_wait_alu 0xfffd
	v_cndmask_b32_e32 v8, 0, v8, vcc_lo
	v_cmp_le_u32_e32 vcc_lo, v14, v7
	v_add_nc_u32_e32 v5, v8, v5
	ds_bpermute_b32 v8, v13, v5
	s_wait_dscnt 0x0
	s_wait_alu 0xfffd
	v_cndmask_b32_e32 v8, 0, v8, vcc_lo
	v_cmp_le_u32_e32 vcc_lo, v16, v7
	s_delay_alu instid0(VALU_DEP_2)
	v_add_nc_u32_e32 v5, v5, v8
	ds_bpermute_b32 v8, v15, v5
	s_wait_dscnt 0x0
	s_wait_alu 0xfffd
	v_cndmask_b32_e32 v8, 0, v8, vcc_lo
	v_cmp_le_u32_e32 vcc_lo, v20, v7
	s_delay_alu instid0(VALU_DEP_2)
	v_add_nc_u32_e32 v5, v5, v8
	ds_bpermute_b32 v8, v19, v5
	s_wait_dscnt 0x0
	s_wait_alu 0xfffd
	v_cndmask_b32_e32 v8, 0, v8, vcc_lo
	v_cmp_le_u32_e32 vcc_lo, v69, v7
	s_delay_alu instid0(VALU_DEP_2) | instskip(SKIP_4) | instid1(VALU_DEP_1)
	v_add_nc_u32_e32 v5, v5, v8
	ds_bpermute_b32 v8, v68, v5
	s_wait_dscnt 0x0
	s_wait_alu 0xfffd
	v_cndmask_b32_e32 v7, 0, v8, vcc_lo
	v_add3_u32 v5, v7, v2, v5
.LBB1218_54:                            ;   in Loop: Header=BB1218_55 Depth=1
	s_wait_alu 0xfffe
	s_and_b32 vcc_lo, exec_lo, s23
	s_wait_alu 0xfffe
	s_cbranch_vccnz .LBB1218_60
.LBB1218_55:                            ; =>This Loop Header: Depth=1
                                        ;     Child Loop BB1218_58 Depth 2
	v_and_b32_e32 v2, 0xff, v6
	s_mov_b32 s23, -1
                                        ; implicit-def: $vgpr6
	s_delay_alu instid0(VALU_DEP_1)
	v_cmp_ne_u16_e32 vcc_lo, 2, v2
	v_mov_b32_e32 v2, v5
                                        ; implicit-def: $vgpr5
	s_cmp_lg_u32 vcc_lo, exec_lo
	s_cbranch_scc1 .LBB1218_54
; %bb.56:                               ;   in Loop: Header=BB1218_55 Depth=1
	v_lshlrev_b64_e32 v[5:6], 3, v[3:4]
	s_mov_b32 s23, exec_lo
	s_delay_alu instid0(VALU_DEP_1) | instskip(SKIP_1) | instid1(VALU_DEP_2)
	v_add_co_u32 v7, vcc_lo, s20, v5
	s_wait_alu 0xfffd
	v_add_co_ci_u32_e64 v8, null, s21, v6, vcc_lo
	global_load_b64 v[5:6], v[7:8], off scope:SCOPE_DEV
	s_wait_loadcnt 0x0
	v_and_b32_e32 v70, 0xff, v6
	s_delay_alu instid0(VALU_DEP_1)
	v_cmpx_eq_u16_e32 0, v70
	s_cbranch_execz .LBB1218_53
; %bb.57:                               ;   in Loop: Header=BB1218_55 Depth=1
	s_mov_b32 s24, 0
.LBB1218_58:                            ;   Parent Loop BB1218_55 Depth=1
                                        ; =>  This Inner Loop Header: Depth=2
	global_load_b64 v[5:6], v[7:8], off scope:SCOPE_DEV
	s_wait_loadcnt 0x0
	v_and_b32_e32 v70, 0xff, v6
	s_delay_alu instid0(VALU_DEP_1) | instskip(SKIP_1) | instid1(SALU_CYCLE_1)
	v_cmp_ne_u16_e32 vcc_lo, 0, v70
	s_or_b32 s24, vcc_lo, s24
	s_and_not1_b32 exec_lo, exec_lo, s24
	s_cbranch_execnz .LBB1218_58
	s_branch .LBB1218_52
.LBB1218_59:
                                        ; implicit-def: $vgpr20
                                        ; implicit-def: $vgpr1_vgpr2_vgpr3_vgpr4_vgpr5_vgpr6_vgpr7_vgpr8_vgpr9_vgpr10_vgpr11_vgpr12_vgpr13_vgpr14_vgpr15_vgpr16
	s_wait_alu 0xfffe
	s_and_b32 vcc_lo, exec_lo, s7
	s_wait_alu 0xfffe
	s_cbranch_vccnz .LBB1218_65
	s_branch .LBB1218_74
.LBB1218_60:
	s_and_saveexec_b32 s23, s7
	s_cbranch_execz .LBB1218_62
; %bb.61:
	s_add_co_i32 s24, s15, 32
	s_mov_b32 s25, 0
	v_dual_mov_b32 v4, 2 :: v_dual_add_nc_u32 v3, v2, v1
	v_mov_b32_e32 v5, 0
	s_lshl_b64 s[24:25], s[24:25], 3
	s_delay_alu instid0(SALU_CYCLE_1)
	s_add_nc_u64 s[24:25], s[20:21], s[24:25]
	global_store_b64 v5, v[3:4], s[24:25] scope:SCOPE_DEV
	ds_store_b64 v5, v[1:2] offset:13312
.LBB1218_62:
	s_wait_alu 0xfffe
	s_or_b32 exec_lo, exec_lo, s23
	s_delay_alu instid0(SALU_CYCLE_1)
	s_and_b32 exec_lo, exec_lo, s2
; %bb.63:
	v_mov_b32_e32 v1, 0
	ds_store_b32 v1, v2 offset:28
.LBB1218_64:
	s_wait_alu 0xfffe
	s_or_b32 exec_lo, exec_lo, s8
	v_mov_b32_e32 v11, 0
	s_wait_storecnt 0x0
	s_wait_loadcnt_dscnt 0x0
	s_barrier_signal -1
	s_barrier_wait -1
	global_inv scope:SCOPE_SE
	ds_load_b32 v1, v11 offset:28
	v_cndmask_b32_e64 v2, v10, v9, s7
	s_wait_loadcnt_dscnt 0x0
	s_barrier_signal -1
	s_barrier_wait -1
	global_inv scope:SCOPE_SE
	v_cndmask_b32_e64 v2, v2, 0, s2
	s_delay_alu instid0(VALU_DEP_1) | instskip(NEXT) | instid1(VALU_DEP_1)
	v_add_nc_u32_e32 v1, v1, v2
	v_add_nc_u32_e32 v2, v1, v56
	ds_load_b64 v[19:20], v11 offset:13312
	v_add_nc_u32_e32 v3, v2, v57
	s_delay_alu instid0(VALU_DEP_1) | instskip(NEXT) | instid1(VALU_DEP_1)
	v_add_nc_u32_e32 v4, v3, v58
	v_add_nc_u32_e32 v5, v4, v55
	s_delay_alu instid0(VALU_DEP_1) | instskip(NEXT) | instid1(VALU_DEP_1)
	v_add_nc_u32_e32 v6, v5, v59
	;; [unrolled: 3-line block ×5, first 2 shown]
	v_add_nc_u32_e32 v13, v12, v51
	s_branch .LBB1218_74
.LBB1218_65:
	v_mov_b32_dpp v1, v67 row_shr:1 row_mask:0xf bank_mask:0xf
	s_delay_alu instid0(VALU_DEP_1) | instskip(NEXT) | instid1(VALU_DEP_1)
	v_cndmask_b32_e64 v1, v1, 0, s6
	v_add_nc_u32_e32 v1, v1, v67
	s_delay_alu instid0(VALU_DEP_1) | instskip(NEXT) | instid1(VALU_DEP_1)
	v_mov_b32_dpp v2, v1 row_shr:2 row_mask:0xf bank_mask:0xf
	v_cndmask_b32_e64 v2, 0, v2, s5
	s_delay_alu instid0(VALU_DEP_1) | instskip(NEXT) | instid1(VALU_DEP_1)
	v_add_nc_u32_e32 v1, v1, v2
	v_mov_b32_dpp v2, v1 row_shr:4 row_mask:0xf bank_mask:0xf
	s_delay_alu instid0(VALU_DEP_1) | instskip(NEXT) | instid1(VALU_DEP_1)
	v_cndmask_b32_e64 v2, 0, v2, s4
	v_add_nc_u32_e32 v1, v1, v2
	s_delay_alu instid0(VALU_DEP_1) | instskip(NEXT) | instid1(VALU_DEP_1)
	v_mov_b32_dpp v2, v1 row_shr:8 row_mask:0xf bank_mask:0xf
	v_cndmask_b32_e64 v2, 0, v2, s3
	s_delay_alu instid0(VALU_DEP_1) | instskip(SKIP_3) | instid1(VALU_DEP_1)
	v_add_nc_u32_e32 v1, v1, v2
	ds_swizzle_b32 v2, v1 offset:swizzle(BROADCAST,32,15)
	s_wait_dscnt 0x0
	v_cndmask_b32_e64 v2, v2, 0, s1
	v_add_nc_u32_e32 v1, v1, v2
	s_and_saveexec_b32 s1, s0
; %bb.66:
	v_lshlrev_b32_e32 v2, 2, v66
	ds_store_b32 v2, v1
; %bb.67:
	s_wait_alu 0xfffe
	s_or_b32 exec_lo, exec_lo, s1
	s_delay_alu instid0(SALU_CYCLE_1)
	s_mov_b32 s0, exec_lo
	s_wait_loadcnt_dscnt 0x0
	s_barrier_signal -1
	s_barrier_wait -1
	global_inv scope:SCOPE_SE
	v_cmpx_gt_u32_e32 8, v0
	s_cbranch_execz .LBB1218_69
; %bb.68:
	ds_load_b32 v2, v45
	s_wait_dscnt 0x0
	v_mov_b32_dpp v4, v2 row_shr:1 row_mask:0xf bank_mask:0xf
	v_and_b32_e32 v3, 7, v65
	s_delay_alu instid0(VALU_DEP_1) | instskip(SKIP_1) | instid1(VALU_DEP_3)
	v_cmp_ne_u32_e32 vcc_lo, 0, v3
	s_wait_alu 0xfffd
	v_cndmask_b32_e32 v4, 0, v4, vcc_lo
	v_cmp_lt_u32_e32 vcc_lo, 1, v3
	s_delay_alu instid0(VALU_DEP_2) | instskip(NEXT) | instid1(VALU_DEP_1)
	v_add_nc_u32_e32 v2, v4, v2
	v_mov_b32_dpp v4, v2 row_shr:2 row_mask:0xf bank_mask:0xf
	s_wait_alu 0xfffd
	s_delay_alu instid0(VALU_DEP_1) | instskip(SKIP_1) | instid1(VALU_DEP_2)
	v_cndmask_b32_e32 v4, 0, v4, vcc_lo
	v_cmp_lt_u32_e32 vcc_lo, 3, v3
	v_add_nc_u32_e32 v2, v2, v4
	s_delay_alu instid0(VALU_DEP_1) | instskip(SKIP_1) | instid1(VALU_DEP_1)
	v_mov_b32_dpp v4, v2 row_shr:4 row_mask:0xf bank_mask:0xf
	s_wait_alu 0xfffd
	v_cndmask_b32_e32 v3, 0, v4, vcc_lo
	s_delay_alu instid0(VALU_DEP_1)
	v_add_nc_u32_e32 v2, v2, v3
	ds_store_b32 v45, v2
.LBB1218_69:
	s_wait_alu 0xfffe
	s_or_b32 exec_lo, exec_lo, s0
	v_dual_mov_b32 v3, 0 :: v_dual_mov_b32 v2, 0
	s_mov_b32 s0, exec_lo
	s_wait_loadcnt_dscnt 0x0
	s_barrier_signal -1
	s_barrier_wait -1
	global_inv scope:SCOPE_SE
	v_cmpx_lt_u32_e32 31, v0
; %bb.70:
	v_lshl_add_u32 v2, v66, 2, -4
	ds_load_b32 v2, v2
; %bb.71:
	s_wait_alu 0xfffe
	s_or_b32 exec_lo, exec_lo, s0
	v_sub_co_u32 v4, vcc_lo, v65, 1
	s_wait_dscnt 0x0
	v_add_nc_u32_e32 v1, v2, v1
	ds_load_b32 v19, v3 offset:28
	v_cmp_gt_i32_e64 s0, 0, v4
	s_wait_alu 0xf1ff
	s_delay_alu instid0(VALU_DEP_1) | instskip(NEXT) | instid1(VALU_DEP_1)
	v_cndmask_b32_e64 v4, v4, v65, s0
	v_lshlrev_b32_e32 v4, 2, v4
	ds_bpermute_b32 v1, v4, v1
	s_and_saveexec_b32 s0, s2
	s_cbranch_execz .LBB1218_73
; %bb.72:
	v_dual_mov_b32 v3, 0 :: v_dual_mov_b32 v20, 2
	s_wait_dscnt 0x1
	global_store_b64 v3, v[19:20], s[20:21] offset:256 scope:SCOPE_DEV
.LBB1218_73:
	s_wait_alu 0xfffe
	s_or_b32 exec_lo, exec_lo, s0
	s_wait_dscnt 0x0
	s_wait_alu 0xfffd
	v_cndmask_b32_e32 v1, v1, v2, vcc_lo
	s_wait_loadcnt 0x0
	s_wait_storecnt 0x0
	s_barrier_signal -1
	s_barrier_wait -1
	global_inv scope:SCOPE_SE
	v_cndmask_b32_e64 v1, v1, 0, s2
	v_mov_b32_e32 v20, 0
	s_delay_alu instid0(VALU_DEP_2) | instskip(NEXT) | instid1(VALU_DEP_1)
	v_add_nc_u32_e32 v2, v1, v56
	v_add_nc_u32_e32 v3, v2, v57
	s_delay_alu instid0(VALU_DEP_1) | instskip(NEXT) | instid1(VALU_DEP_1)
	v_add_nc_u32_e32 v4, v3, v58
	v_add_nc_u32_e32 v5, v4, v55
	s_delay_alu instid0(VALU_DEP_1) | instskip(NEXT) | instid1(VALU_DEP_1)
	;; [unrolled: 3-line block ×5, first 2 shown]
	v_add_nc_u32_e32 v12, v11, v64
	v_add_nc_u32_e32 v13, v12, v51
.LBB1218_74:
	s_wait_dscnt 0x0
	v_sub_nc_u32_e32 v1, v1, v20
	v_sub_nc_u32_e32 v2, v2, v20
	v_add_nc_u32_e32 v48, v19, v48
	v_lshrrev_b32_e32 v58, 8, v54
	v_lshrrev_b32_e32 v57, 16, v54
	v_sub_nc_u32_e32 v4, v4, v20
	v_sub_nc_u32_e32 v3, v3, v20
	;; [unrolled: 1-line block ×3, first 2 shown]
	v_and_b32_e32 v54, 1, v54
	v_and_b32_e32 v58, 1, v58
	;; [unrolled: 1-line block ×3, first 2 shown]
	v_lshrrev_b32_e32 v56, 8, v52
	v_lshrrev_b32_e32 v16, 16, v52
	v_cmp_eq_u32_e32 vcc_lo, 1, v54
	v_and_b32_e32 v54, 1, v57
	v_sub_nc_u32_e32 v57, v48, v2
	v_lshrrev_b32_e32 v15, 8, v50
	v_lshrrev_b32_e32 v14, 16, v50
	s_wait_alu 0xfffd
	v_cndmask_b32_e32 v1, v59, v1, vcc_lo
	v_cmp_eq_u32_e32 vcc_lo, 1, v58
	v_add_nc_u32_e32 v57, 1, v57
	s_delay_alu instid0(VALU_DEP_3)
	v_lshlrev_b32_e32 v1, 2, v1
	ds_store_b32 v1, v31
	s_wait_alu 0xfffd
	v_cndmask_b32_e32 v1, v57, v2, vcc_lo
	v_sub_nc_u32_e32 v59, v48, v3
	v_sub_nc_u32_e32 v60, v48, v4
	v_cmp_eq_u32_e32 vcc_lo, 1, v54
	s_delay_alu instid0(VALU_DEP_4) | instskip(NEXT) | instid1(VALU_DEP_4)
	v_lshlrev_b32_e32 v1, 2, v1
	v_add_nc_u32_e32 v59, 2, v59
	s_delay_alu instid0(VALU_DEP_4)
	v_add_nc_u32_e32 v60, 3, v60
	ds_store_b32 v1, v32
	s_wait_alu 0xfffd
	v_cndmask_b32_e32 v2, v59, v3, vcc_lo
	v_cmp_eq_u32_e32 vcc_lo, 1, v55
	s_wait_alu 0xfffd
	s_delay_alu instid0(VALU_DEP_2) | instskip(SKIP_2) | instid1(VALU_DEP_3)
	v_dual_cndmask_b32 v3, v60, v4 :: v_dual_lshlrev_b32 v2, 2, v2
	v_sub_nc_u32_e32 v4, v5, v20
	v_sub_nc_u32_e32 v5, v6, v20
	v_lshlrev_b32_e32 v3, 2, v3
	s_delay_alu instid0(VALU_DEP_3) | instskip(NEXT) | instid1(VALU_DEP_3)
	v_sub_nc_u32_e32 v1, v48, v4
	v_sub_nc_u32_e32 v6, v48, v5
	ds_store_b32 v2, v29
	ds_store_b32 v3, v30
	v_and_b32_e32 v2, 1, v52
	v_add_nc_u32_e32 v1, 4, v1
	v_add_nc_u32_e32 v3, 5, v6
	v_sub_nc_u32_e32 v6, v7, v20
	v_and_b32_e32 v7, 1, v56
	v_cmp_eq_u32_e32 vcc_lo, 1, v2
	v_sub_nc_u32_e32 v2, v8, v20
	s_wait_alu 0xfffd
	v_dual_cndmask_b32 v1, v1, v4 :: v_dual_and_b32 v8, 1, v53
	v_sub_nc_u32_e32 v4, v48, v6
	v_cmp_eq_u32_e32 vcc_lo, 1, v7
	v_and_b32_e32 v7, 1, v16
	s_delay_alu instid0(VALU_DEP_4)
	v_lshlrev_b32_e32 v1, 2, v1
	s_wait_alu 0xfffd
	v_dual_cndmask_b32 v3, v3, v5 :: v_dual_add_nc_u32 v4, 6, v4
	v_sub_nc_u32_e32 v5, v48, v2
	v_cmp_eq_u32_e32 vcc_lo, 1, v7
	v_sub_nc_u32_e32 v7, v13, v20
	s_delay_alu instid0(VALU_DEP_4)
	v_lshlrev_b32_e32 v3, 2, v3
	s_wait_alu 0xfffd
	v_dual_cndmask_b32 v4, v4, v6 :: v_dual_add_nc_u32 v5, 7, v5
	v_cmp_eq_u32_e32 vcc_lo, 1, v8
	v_sub_nc_u32_e32 v6, v9, v20
	ds_store_b32 v1, v27
	ds_store_b32 v3, v28
	s_wait_alu 0xfffd
	v_dual_cndmask_b32 v2, v5, v2 :: v_dual_lshlrev_b32 v3, 2, v4
	v_sub_nc_u32_e32 v1, v48, v6
	v_and_b32_e32 v5, 1, v50
	v_sub_nc_u32_e32 v4, v10, v20
	v_and_b32_e32 v10, 1, v51
	v_lshlrev_b32_e32 v2, 2, v2
	v_add_nc_u32_e32 v1, 8, v1
	ds_store_b32 v3, v25
	ds_store_b32 v2, v26
	v_cmp_eq_u32_e32 vcc_lo, 1, v5
	v_sub_nc_u32_e32 v3, v11, v20
	v_sub_nc_u32_e32 v2, v48, v4
	;; [unrolled: 1-line block ×3, first 2 shown]
	v_and_b32_e32 v11, 1, v49
	s_wait_alu 0xfffd
	v_dual_cndmask_b32 v1, v1, v6 :: v_dual_and_b32 v6, 1, v15
	v_sub_nc_u32_e32 v8, v48, v3
	v_add_nc_u32_e32 v2, 9, v2
	v_sub_nc_u32_e32 v9, v48, v5
	s_delay_alu instid0(VALU_DEP_4)
	v_lshlrev_b32_e32 v1, 2, v1
	v_cmp_eq_u32_e32 vcc_lo, 1, v6
	v_add_nc_u32_e32 v6, 10, v8
	v_and_b32_e32 v8, 1, v14
	v_add_nc_u32_e32 v9, 11, v9
	v_add_co_u32 v15, s0, v17, v20
	s_wait_alu 0xfffd
	v_cndmask_b32_e32 v2, v2, v4, vcc_lo
	v_cmp_eq_u32_e32 vcc_lo, 1, v8
	v_sub_nc_u32_e32 v4, v48, v7
	s_wait_alu 0xf1ff
	v_add_co_ci_u32_e64 v16, null, 0, v18, s0
	s_wait_alu 0xfffd
	v_dual_cndmask_b32 v3, v6, v3 :: v_dual_lshlrev_b32 v2, 2, v2
	v_cmp_eq_u32_e32 vcc_lo, 1, v10
	v_add_nc_u32_e32 v4, 12, v4
	s_delay_alu instid0(VALU_DEP_3) | instskip(SKIP_4) | instid1(VALU_DEP_2)
	v_lshlrev_b32_e32 v3, 2, v3
	s_wait_alu 0xfffd
	v_cndmask_b32_e32 v5, v9, v5, vcc_lo
	v_cmp_eq_u32_e32 vcc_lo, 1, v11
	s_wait_alu 0xfffd
	v_dual_cndmask_b32 v4, v4, v7 :: v_dual_lshlrev_b32 v5, 2, v5
	v_cmp_ne_u32_e32 vcc_lo, 1, v46
	s_delay_alu instid0(VALU_DEP_2)
	v_lshlrev_b32_e32 v4, 2, v4
	ds_store_b32 v1, v23
	ds_store_b32 v2, v24
	;; [unrolled: 1-line block ×5, first 2 shown]
	s_wait_loadcnt_dscnt 0x0
	s_barrier_signal -1
	s_barrier_wait -1
	global_inv scope:SCOPE_SE
	ds_load_2addr_stride64_b32 v[11:12], v45 offset1:4
	ds_load_2addr_stride64_b32 v[9:10], v45 offset0:8 offset1:12
	ds_load_2addr_stride64_b32 v[7:8], v45 offset0:16 offset1:20
	;; [unrolled: 1-line block ×5, first 2 shown]
	ds_load_b32 v21, v45 offset:12288
	s_cbranch_vccnz .LBB1218_131
; %bb.75:
	s_mov_b32 s15, 0
	v_sub_co_u32 v13, vcc_lo, v15, s16
	s_wait_alu 0xfffe
	s_sub_nc_u64 s[0:1], s[18:19], s[14:15]
	s_wait_alu 0xfffd
	v_subrev_co_ci_u32_e64 v14, null, s17, v16, vcc_lo
	s_wait_alu 0xfffe
	v_add_co_u32 v17, s0, s0, v19
	s_wait_alu 0xf1ff
	v_add_co_ci_u32_e64 v18, null, s1, 0, s0
	s_mov_b32 s0, exec_lo
	v_add_co_u32 v17, vcc_lo, v17, v13
	s_wait_alu 0xfffd
	v_add_co_ci_u32_e64 v18, null, v18, v14, vcc_lo
                                        ; implicit-def: $vgpr13_vgpr14
	v_cmpx_ge_u32_e64 v0, v19
	s_wait_alu 0xfffe
	s_xor_b32 s0, exec_lo, s0
; %bb.76:
	v_not_b32_e32 v13, v0
	s_delay_alu instid0(VALU_DEP_1) | instskip(SKIP_2) | instid1(VALU_DEP_2)
	v_ashrrev_i32_e32 v14, 31, v13
	v_add_co_u32 v13, vcc_lo, v17, v13
	s_wait_alu 0xfffd
	v_add_co_ci_u32_e64 v14, null, v18, v14, vcc_lo
; %bb.77:
	s_wait_alu 0xfffe
	s_and_not1_saveexec_b32 s0, s0
; %bb.78:
	v_add_co_u32 v13, vcc_lo, v15, v0
	s_wait_alu 0xfffd
	v_add_co_ci_u32_e64 v14, null, 0, v16, vcc_lo
; %bb.79:
	s_wait_alu 0xfffe
	s_or_b32 exec_lo, exec_lo, s0
	s_delay_alu instid0(VALU_DEP_1) | instskip(SKIP_1) | instid1(VALU_DEP_1)
	v_lshlrev_b64_e32 v[13:14], 2, v[13:14]
	s_mov_b32 s0, exec_lo
	v_add_co_u32 v13, vcc_lo, s10, v13
	s_wait_alu 0xfffd
	s_delay_alu instid0(VALU_DEP_2)
	v_add_co_ci_u32_e64 v14, null, s11, v14, vcc_lo
	s_wait_dscnt 0x6
	global_store_b32 v[13:14], v11, off
                                        ; implicit-def: $vgpr13_vgpr14
	v_cmpx_ge_u32_e64 v44, v19
	s_wait_alu 0xfffe
	s_xor_b32 s0, exec_lo, s0
; %bb.80:
	v_xor_b32_e32 v13, 0xfffffeff, v0
	s_delay_alu instid0(VALU_DEP_1) | instskip(SKIP_2) | instid1(VALU_DEP_2)
	v_ashrrev_i32_e32 v14, 31, v13
	v_add_co_u32 v13, vcc_lo, v17, v13
	s_wait_alu 0xfffd
	v_add_co_ci_u32_e64 v14, null, v18, v14, vcc_lo
; %bb.81:
	s_wait_alu 0xfffe
	s_and_not1_saveexec_b32 s0, s0
; %bb.82:
	v_add_co_u32 v13, vcc_lo, v15, v44
	s_wait_alu 0xfffd
	v_add_co_ci_u32_e64 v14, null, 0, v16, vcc_lo
; %bb.83:
	s_wait_alu 0xfffe
	s_or_b32 exec_lo, exec_lo, s0
	s_delay_alu instid0(VALU_DEP_1) | instskip(SKIP_1) | instid1(VALU_DEP_1)
	v_lshlrev_b64_e32 v[13:14], 2, v[13:14]
	s_mov_b32 s0, exec_lo
	v_add_co_u32 v13, vcc_lo, s10, v13
	s_wait_alu 0xfffd
	s_delay_alu instid0(VALU_DEP_2)
	v_add_co_ci_u32_e64 v14, null, s11, v14, vcc_lo
	global_store_b32 v[13:14], v12, off
                                        ; implicit-def: $vgpr13_vgpr14
	v_cmpx_ge_u32_e64 v43, v19
	s_wait_alu 0xfffe
	s_xor_b32 s0, exec_lo, s0
; %bb.84:
	v_xor_b32_e32 v13, 0xfffffdff, v0
	s_delay_alu instid0(VALU_DEP_1) | instskip(SKIP_2) | instid1(VALU_DEP_2)
	v_ashrrev_i32_e32 v14, 31, v13
	v_add_co_u32 v13, vcc_lo, v17, v13
	s_wait_alu 0xfffd
	v_add_co_ci_u32_e64 v14, null, v18, v14, vcc_lo
; %bb.85:
	s_wait_alu 0xfffe
	s_and_not1_saveexec_b32 s0, s0
; %bb.86:
	v_add_co_u32 v13, vcc_lo, v15, v43
	s_wait_alu 0xfffd
	v_add_co_ci_u32_e64 v14, null, 0, v16, vcc_lo
; %bb.87:
	s_wait_alu 0xfffe
	s_or_b32 exec_lo, exec_lo, s0
	s_delay_alu instid0(VALU_DEP_1) | instskip(SKIP_1) | instid1(VALU_DEP_1)
	v_lshlrev_b64_e32 v[13:14], 2, v[13:14]
	s_mov_b32 s0, exec_lo
	v_add_co_u32 v13, vcc_lo, s10, v13
	s_wait_alu 0xfffd
	s_delay_alu instid0(VALU_DEP_2)
	v_add_co_ci_u32_e64 v14, null, s11, v14, vcc_lo
	s_wait_dscnt 0x5
	global_store_b32 v[13:14], v9, off
                                        ; implicit-def: $vgpr13_vgpr14
	v_cmpx_ge_u32_e64 v42, v19
	s_wait_alu 0xfffe
	s_xor_b32 s0, exec_lo, s0
; %bb.88:
	v_xor_b32_e32 v13, 0xfffffcff, v0
	s_delay_alu instid0(VALU_DEP_1) | instskip(SKIP_2) | instid1(VALU_DEP_2)
	v_ashrrev_i32_e32 v14, 31, v13
	v_add_co_u32 v13, vcc_lo, v17, v13
	s_wait_alu 0xfffd
	v_add_co_ci_u32_e64 v14, null, v18, v14, vcc_lo
; %bb.89:
	s_wait_alu 0xfffe
	s_and_not1_saveexec_b32 s0, s0
; %bb.90:
	v_add_co_u32 v13, vcc_lo, v15, v42
	s_wait_alu 0xfffd
	v_add_co_ci_u32_e64 v14, null, 0, v16, vcc_lo
; %bb.91:
	s_wait_alu 0xfffe
	s_or_b32 exec_lo, exec_lo, s0
	s_delay_alu instid0(VALU_DEP_1) | instskip(SKIP_1) | instid1(VALU_DEP_1)
	v_lshlrev_b64_e32 v[13:14], 2, v[13:14]
	s_mov_b32 s0, exec_lo
	v_add_co_u32 v13, vcc_lo, s10, v13
	s_wait_alu 0xfffd
	s_delay_alu instid0(VALU_DEP_2)
	v_add_co_ci_u32_e64 v14, null, s11, v14, vcc_lo
	global_store_b32 v[13:14], v10, off
                                        ; implicit-def: $vgpr13_vgpr14
	v_cmpx_ge_u32_e64 v41, v19
	s_wait_alu 0xfffe
	s_xor_b32 s0, exec_lo, s0
; %bb.92:
	v_xor_b32_e32 v13, 0xfffffbff, v0
	;; [unrolled: 59-line block ×6, first 2 shown]
	s_delay_alu instid0(VALU_DEP_1) | instskip(SKIP_2) | instid1(VALU_DEP_2)
	v_ashrrev_i32_e32 v14, 31, v13
	v_add_co_u32 v13, vcc_lo, v17, v13
	s_wait_alu 0xfffd
	v_add_co_ci_u32_e64 v14, null, v18, v14, vcc_lo
; %bb.125:
	s_wait_alu 0xfffe
	s_and_not1_saveexec_b32 s0, s0
; %bb.126:
	v_add_co_u32 v13, vcc_lo, v15, v33
	s_wait_alu 0xfffd
	v_add_co_ci_u32_e64 v14, null, 0, v16, vcc_lo
; %bb.127:
	s_wait_alu 0xfffe
	s_or_b32 exec_lo, exec_lo, s0
	s_mov_b32 s0, -1
.LBB1218_128:
	s_wait_alu 0xfffe
	s_and_saveexec_b32 s1, s0
	s_cbranch_execz .LBB1218_211
.LBB1218_129:
	s_wait_dscnt 0x1
	v_lshlrev_b64_e32 v[0:1], 2, v[13:14]
	s_delay_alu instid0(VALU_DEP_1) | instskip(SKIP_1) | instid1(VALU_DEP_2)
	v_add_co_u32 v0, vcc_lo, s10, v0
	s_wait_alu 0xfffd
	v_add_co_ci_u32_e64 v1, null, s11, v1, vcc_lo
	s_wait_dscnt 0x0
	global_store_b32 v[0:1], v21, off
	s_wait_alu 0xfffe
	s_or_b32 exec_lo, exec_lo, s1
	s_and_b32 s0, s2, s9
	s_wait_alu 0xfffe
	s_and_saveexec_b32 s1, s0
	s_cbranch_execnz .LBB1218_212
.LBB1218_130:
	s_endpgm
.LBB1218_131:
	s_mov_b32 s0, 0
                                        ; implicit-def: $vgpr13_vgpr14
	s_cbranch_execz .LBB1218_128
; %bb.132:
	s_mov_b32 s15, 0
	s_wait_alu 0xfffe
	s_add_nc_u64 s[4:5], s[16:17], s[14:15]
	s_wait_alu 0xfffe
	s_sub_nc_u64 s[4:5], s[18:19], s[4:5]
	s_wait_alu 0xfffe
	v_add_co_u32 v13, s1, s4, v19
	s_wait_alu 0xf1ff
	v_add_co_ci_u32_e64 v14, null, s5, 0, s1
	s_mov_b32 s1, exec_lo
	v_add_co_u32 v17, vcc_lo, v13, v15
	s_wait_alu 0xfffd
	v_add_co_ci_u32_e64 v18, null, v14, v16, vcc_lo
	v_cmpx_gt_u32_e64 s22, v0
	s_cbranch_execz .LBB1218_168
; %bb.133:
	s_mov_b32 s3, exec_lo
                                        ; implicit-def: $vgpr13_vgpr14
	v_cmpx_ge_u32_e64 v0, v19
	s_wait_alu 0xfffe
	s_xor_b32 s3, exec_lo, s3
; %bb.134:
	v_not_b32_e32 v13, v0
	s_delay_alu instid0(VALU_DEP_1) | instskip(SKIP_2) | instid1(VALU_DEP_2)
	v_ashrrev_i32_e32 v14, 31, v13
	v_add_co_u32 v13, vcc_lo, v17, v13
	s_wait_alu 0xfffd
	v_add_co_ci_u32_e64 v14, null, v18, v14, vcc_lo
; %bb.135:
	s_wait_alu 0xfffe
	s_and_not1_saveexec_b32 s3, s3
; %bb.136:
	v_add_co_u32 v13, vcc_lo, v15, v0
	s_wait_alu 0xfffd
	v_add_co_ci_u32_e64 v14, null, 0, v16, vcc_lo
; %bb.137:
	s_wait_alu 0xfffe
	s_or_b32 exec_lo, exec_lo, s3
	s_delay_alu instid0(VALU_DEP_1) | instskip(NEXT) | instid1(VALU_DEP_1)
	v_lshlrev_b64_e32 v[13:14], 2, v[13:14]
	v_add_co_u32 v13, vcc_lo, s10, v13
	s_wait_alu 0xfffd
	s_delay_alu instid0(VALU_DEP_2) | instskip(SKIP_3) | instid1(SALU_CYCLE_1)
	v_add_co_ci_u32_e64 v14, null, s11, v14, vcc_lo
	s_wait_dscnt 0x6
	global_store_b32 v[13:14], v11, off
	s_or_b32 exec_lo, exec_lo, s1
	s_mov_b32 s1, exec_lo
	v_cmpx_gt_u32_e64 s22, v44
	s_cbranch_execnz .LBB1218_169
.LBB1218_138:
	s_wait_alu 0xfffe
	s_or_b32 exec_lo, exec_lo, s1
	s_delay_alu instid0(SALU_CYCLE_1)
	s_mov_b32 s1, exec_lo
	v_cmpx_gt_u32_e64 s22, v43
	s_cbranch_execz .LBB1218_174
.LBB1218_139:
	s_mov_b32 s3, exec_lo
                                        ; implicit-def: $vgpr11_vgpr12
	v_cmpx_ge_u32_e64 v43, v19
	s_wait_alu 0xfffe
	s_xor_b32 s3, exec_lo, s3
	s_cbranch_execz .LBB1218_141
; %bb.140:
	s_wait_dscnt 0x6
	v_xor_b32_e32 v11, 0xfffffdff, v0
                                        ; implicit-def: $vgpr43
	s_delay_alu instid0(VALU_DEP_1) | instskip(SKIP_2) | instid1(VALU_DEP_2)
	v_ashrrev_i32_e32 v12, 31, v11
	v_add_co_u32 v11, vcc_lo, v17, v11
	s_wait_alu 0xfffd
	v_add_co_ci_u32_e64 v12, null, v18, v12, vcc_lo
.LBB1218_141:
	s_wait_alu 0xfffe
	s_and_not1_saveexec_b32 s3, s3
	s_cbranch_execz .LBB1218_143
; %bb.142:
	s_wait_dscnt 0x6
	v_add_co_u32 v11, vcc_lo, v15, v43
	s_wait_alu 0xfffd
	v_add_co_ci_u32_e64 v12, null, 0, v16, vcc_lo
.LBB1218_143:
	s_wait_alu 0xfffe
	s_or_b32 exec_lo, exec_lo, s3
	s_wait_dscnt 0x6
	s_delay_alu instid0(VALU_DEP_1) | instskip(NEXT) | instid1(VALU_DEP_1)
	v_lshlrev_b64_e32 v[11:12], 2, v[11:12]
	v_add_co_u32 v11, vcc_lo, s10, v11
	s_wait_alu 0xfffd
	s_delay_alu instid0(VALU_DEP_2) | instskip(SKIP_3) | instid1(SALU_CYCLE_1)
	v_add_co_ci_u32_e64 v12, null, s11, v12, vcc_lo
	s_wait_dscnt 0x5
	global_store_b32 v[11:12], v9, off
	s_or_b32 exec_lo, exec_lo, s1
	s_mov_b32 s1, exec_lo
	v_cmpx_gt_u32_e64 s22, v42
	s_cbranch_execnz .LBB1218_175
.LBB1218_144:
	s_wait_alu 0xfffe
	s_or_b32 exec_lo, exec_lo, s1
	s_delay_alu instid0(SALU_CYCLE_1)
	s_mov_b32 s1, exec_lo
	v_cmpx_gt_u32_e64 s22, v41
	s_cbranch_execz .LBB1218_180
.LBB1218_145:
	s_mov_b32 s3, exec_lo
                                        ; implicit-def: $vgpr9_vgpr10
	v_cmpx_ge_u32_e64 v41, v19
	s_wait_alu 0xfffe
	s_xor_b32 s3, exec_lo, s3
	s_cbranch_execz .LBB1218_147
; %bb.146:
	s_wait_dscnt 0x5
	v_xor_b32_e32 v9, 0xfffffbff, v0
                                        ; implicit-def: $vgpr41
	s_delay_alu instid0(VALU_DEP_1) | instskip(SKIP_2) | instid1(VALU_DEP_2)
	v_ashrrev_i32_e32 v10, 31, v9
	v_add_co_u32 v9, vcc_lo, v17, v9
	s_wait_alu 0xfffd
	v_add_co_ci_u32_e64 v10, null, v18, v10, vcc_lo
.LBB1218_147:
	s_wait_alu 0xfffe
	s_and_not1_saveexec_b32 s3, s3
	s_cbranch_execz .LBB1218_149
; %bb.148:
	s_wait_dscnt 0x5
	v_add_co_u32 v9, vcc_lo, v15, v41
	s_wait_alu 0xfffd
	v_add_co_ci_u32_e64 v10, null, 0, v16, vcc_lo
.LBB1218_149:
	s_wait_alu 0xfffe
	s_or_b32 exec_lo, exec_lo, s3
	s_wait_dscnt 0x5
	s_delay_alu instid0(VALU_DEP_1) | instskip(NEXT) | instid1(VALU_DEP_1)
	v_lshlrev_b64_e32 v[9:10], 2, v[9:10]
	v_add_co_u32 v9, vcc_lo, s10, v9
	s_wait_alu 0xfffd
	s_delay_alu instid0(VALU_DEP_2) | instskip(SKIP_3) | instid1(SALU_CYCLE_1)
	v_add_co_ci_u32_e64 v10, null, s11, v10, vcc_lo
	s_wait_dscnt 0x4
	global_store_b32 v[9:10], v7, off
	s_or_b32 exec_lo, exec_lo, s1
	s_mov_b32 s1, exec_lo
	v_cmpx_gt_u32_e64 s22, v40
	s_cbranch_execnz .LBB1218_181
.LBB1218_150:
	s_wait_alu 0xfffe
	s_or_b32 exec_lo, exec_lo, s1
	s_delay_alu instid0(SALU_CYCLE_1)
	s_mov_b32 s1, exec_lo
	v_cmpx_gt_u32_e64 s22, v39
	s_cbranch_execz .LBB1218_186
.LBB1218_151:
	s_mov_b32 s3, exec_lo
                                        ; implicit-def: $vgpr7_vgpr8
	v_cmpx_ge_u32_e64 v39, v19
	s_wait_alu 0xfffe
	s_xor_b32 s3, exec_lo, s3
	s_cbranch_execz .LBB1218_153
; %bb.152:
	s_wait_dscnt 0x4
	v_xor_b32_e32 v7, 0xfffff9ff, v0
                                        ; implicit-def: $vgpr39
	s_delay_alu instid0(VALU_DEP_1) | instskip(SKIP_2) | instid1(VALU_DEP_2)
	v_ashrrev_i32_e32 v8, 31, v7
	v_add_co_u32 v7, vcc_lo, v17, v7
	s_wait_alu 0xfffd
	v_add_co_ci_u32_e64 v8, null, v18, v8, vcc_lo
.LBB1218_153:
	s_wait_alu 0xfffe
	s_and_not1_saveexec_b32 s3, s3
	s_cbranch_execz .LBB1218_155
; %bb.154:
	s_wait_dscnt 0x4
	v_add_co_u32 v7, vcc_lo, v15, v39
	s_wait_alu 0xfffd
	v_add_co_ci_u32_e64 v8, null, 0, v16, vcc_lo
.LBB1218_155:
	s_wait_alu 0xfffe
	s_or_b32 exec_lo, exec_lo, s3
	s_wait_dscnt 0x4
	s_delay_alu instid0(VALU_DEP_1) | instskip(NEXT) | instid1(VALU_DEP_1)
	v_lshlrev_b64_e32 v[7:8], 2, v[7:8]
	v_add_co_u32 v7, vcc_lo, s10, v7
	s_wait_alu 0xfffd
	s_delay_alu instid0(VALU_DEP_2) | instskip(SKIP_3) | instid1(SALU_CYCLE_1)
	v_add_co_ci_u32_e64 v8, null, s11, v8, vcc_lo
	s_wait_dscnt 0x3
	global_store_b32 v[7:8], v5, off
	s_or_b32 exec_lo, exec_lo, s1
	s_mov_b32 s1, exec_lo
	v_cmpx_gt_u32_e64 s22, v38
	s_cbranch_execnz .LBB1218_187
.LBB1218_156:
	s_wait_alu 0xfffe
	s_or_b32 exec_lo, exec_lo, s1
	s_delay_alu instid0(SALU_CYCLE_1)
	s_mov_b32 s1, exec_lo
	v_cmpx_gt_u32_e64 s22, v37
	s_cbranch_execz .LBB1218_192
.LBB1218_157:
	s_mov_b32 s3, exec_lo
                                        ; implicit-def: $vgpr5_vgpr6
	v_cmpx_ge_u32_e64 v37, v19
	s_wait_alu 0xfffe
	s_xor_b32 s3, exec_lo, s3
	s_cbranch_execz .LBB1218_159
; %bb.158:
	s_wait_dscnt 0x3
	v_xor_b32_e32 v5, 0xfffff7ff, v0
                                        ; implicit-def: $vgpr37
	s_delay_alu instid0(VALU_DEP_1) | instskip(SKIP_2) | instid1(VALU_DEP_2)
	v_ashrrev_i32_e32 v6, 31, v5
	v_add_co_u32 v5, vcc_lo, v17, v5
	s_wait_alu 0xfffd
	v_add_co_ci_u32_e64 v6, null, v18, v6, vcc_lo
.LBB1218_159:
	s_wait_alu 0xfffe
	s_and_not1_saveexec_b32 s3, s3
	s_cbranch_execz .LBB1218_161
; %bb.160:
	s_wait_dscnt 0x3
	v_add_co_u32 v5, vcc_lo, v15, v37
	s_wait_alu 0xfffd
	v_add_co_ci_u32_e64 v6, null, 0, v16, vcc_lo
.LBB1218_161:
	s_wait_alu 0xfffe
	s_or_b32 exec_lo, exec_lo, s3
	s_wait_dscnt 0x3
	s_delay_alu instid0(VALU_DEP_1) | instskip(NEXT) | instid1(VALU_DEP_1)
	v_lshlrev_b64_e32 v[5:6], 2, v[5:6]
	v_add_co_u32 v5, vcc_lo, s10, v5
	s_wait_alu 0xfffd
	s_delay_alu instid0(VALU_DEP_2) | instskip(SKIP_3) | instid1(SALU_CYCLE_1)
	v_add_co_ci_u32_e64 v6, null, s11, v6, vcc_lo
	s_wait_dscnt 0x2
	global_store_b32 v[5:6], v3, off
	s_or_b32 exec_lo, exec_lo, s1
	s_mov_b32 s1, exec_lo
	v_cmpx_gt_u32_e64 s22, v36
	s_cbranch_execnz .LBB1218_193
.LBB1218_162:
	s_wait_alu 0xfffe
	s_or_b32 exec_lo, exec_lo, s1
	s_delay_alu instid0(SALU_CYCLE_1)
	s_mov_b32 s1, exec_lo
	v_cmpx_gt_u32_e64 s22, v35
	s_cbranch_execz .LBB1218_198
.LBB1218_163:
	s_mov_b32 s3, exec_lo
                                        ; implicit-def: $vgpr3_vgpr4
	v_cmpx_ge_u32_e64 v35, v19
	s_wait_alu 0xfffe
	s_xor_b32 s3, exec_lo, s3
	s_cbranch_execz .LBB1218_165
; %bb.164:
	s_wait_dscnt 0x2
	v_xor_b32_e32 v3, 0xfffff5ff, v0
                                        ; implicit-def: $vgpr35
	s_delay_alu instid0(VALU_DEP_1) | instskip(SKIP_2) | instid1(VALU_DEP_2)
	v_ashrrev_i32_e32 v4, 31, v3
	v_add_co_u32 v3, vcc_lo, v17, v3
	s_wait_alu 0xfffd
	v_add_co_ci_u32_e64 v4, null, v18, v4, vcc_lo
.LBB1218_165:
	s_wait_alu 0xfffe
	s_and_not1_saveexec_b32 s3, s3
	s_cbranch_execz .LBB1218_167
; %bb.166:
	s_wait_dscnt 0x2
	v_add_co_u32 v3, vcc_lo, v15, v35
	s_wait_alu 0xfffd
	v_add_co_ci_u32_e64 v4, null, 0, v16, vcc_lo
.LBB1218_167:
	s_wait_alu 0xfffe
	s_or_b32 exec_lo, exec_lo, s3
	s_wait_dscnt 0x2
	s_delay_alu instid0(VALU_DEP_1) | instskip(NEXT) | instid1(VALU_DEP_1)
	v_lshlrev_b64_e32 v[3:4], 2, v[3:4]
	v_add_co_u32 v3, vcc_lo, s10, v3
	s_wait_alu 0xfffd
	s_delay_alu instid0(VALU_DEP_2) | instskip(SKIP_3) | instid1(SALU_CYCLE_1)
	v_add_co_ci_u32_e64 v4, null, s11, v4, vcc_lo
	s_wait_dscnt 0x1
	global_store_b32 v[3:4], v1, off
	s_or_b32 exec_lo, exec_lo, s1
	s_mov_b32 s1, exec_lo
	v_cmpx_gt_u32_e64 s22, v34
	s_cbranch_execz .LBB1218_204
	s_branch .LBB1218_199
.LBB1218_168:
	s_wait_alu 0xfffe
	s_or_b32 exec_lo, exec_lo, s1
	s_delay_alu instid0(SALU_CYCLE_1)
	s_mov_b32 s1, exec_lo
	v_cmpx_gt_u32_e64 s22, v44
	s_cbranch_execz .LBB1218_138
.LBB1218_169:
	s_mov_b32 s3, exec_lo
                                        ; implicit-def: $vgpr13_vgpr14
	v_cmpx_ge_u32_e64 v44, v19
	s_wait_alu 0xfffe
	s_xor_b32 s3, exec_lo, s3
	s_cbranch_execz .LBB1218_171
; %bb.170:
	s_wait_dscnt 0x6
	v_xor_b32_e32 v11, 0xfffffeff, v0
                                        ; implicit-def: $vgpr44
	s_delay_alu instid0(VALU_DEP_1) | instskip(SKIP_2) | instid1(VALU_DEP_2)
	v_ashrrev_i32_e32 v14, 31, v11
	v_add_co_u32 v13, vcc_lo, v17, v11
	s_wait_alu 0xfffd
	v_add_co_ci_u32_e64 v14, null, v18, v14, vcc_lo
.LBB1218_171:
	s_wait_alu 0xfffe
	s_and_not1_saveexec_b32 s3, s3
; %bb.172:
	v_add_co_u32 v13, vcc_lo, v15, v44
	s_wait_alu 0xfffd
	v_add_co_ci_u32_e64 v14, null, 0, v16, vcc_lo
; %bb.173:
	s_wait_alu 0xfffe
	s_or_b32 exec_lo, exec_lo, s3
	s_delay_alu instid0(VALU_DEP_1) | instskip(NEXT) | instid1(VALU_DEP_1)
	v_lshlrev_b64_e32 v[13:14], 2, v[13:14]
	v_add_co_u32 v13, vcc_lo, s10, v13
	s_wait_alu 0xfffd
	s_delay_alu instid0(VALU_DEP_2) | instskip(SKIP_3) | instid1(SALU_CYCLE_1)
	v_add_co_ci_u32_e64 v14, null, s11, v14, vcc_lo
	s_wait_dscnt 0x6
	global_store_b32 v[13:14], v12, off
	s_or_b32 exec_lo, exec_lo, s1
	s_mov_b32 s1, exec_lo
	v_cmpx_gt_u32_e64 s22, v43
	s_cbranch_execnz .LBB1218_139
.LBB1218_174:
	s_wait_alu 0xfffe
	s_or_b32 exec_lo, exec_lo, s1
	s_delay_alu instid0(SALU_CYCLE_1)
	s_mov_b32 s1, exec_lo
	v_cmpx_gt_u32_e64 s22, v42
	s_cbranch_execz .LBB1218_144
.LBB1218_175:
	s_mov_b32 s3, exec_lo
                                        ; implicit-def: $vgpr11_vgpr12
	v_cmpx_ge_u32_e64 v42, v19
	s_wait_alu 0xfffe
	s_xor_b32 s3, exec_lo, s3
	s_cbranch_execz .LBB1218_177
; %bb.176:
	s_wait_dscnt 0x5
	v_xor_b32_e32 v9, 0xfffffcff, v0
                                        ; implicit-def: $vgpr42
	s_delay_alu instid0(VALU_DEP_1) | instskip(SKIP_2) | instid1(VALU_DEP_2)
	v_ashrrev_i32_e32 v12, 31, v9
	v_add_co_u32 v11, vcc_lo, v17, v9
	s_wait_alu 0xfffd
	v_add_co_ci_u32_e64 v12, null, v18, v12, vcc_lo
.LBB1218_177:
	s_wait_alu 0xfffe
	s_and_not1_saveexec_b32 s3, s3
	s_cbranch_execz .LBB1218_179
; %bb.178:
	s_wait_dscnt 0x6
	v_add_co_u32 v11, vcc_lo, v15, v42
	s_wait_alu 0xfffd
	v_add_co_ci_u32_e64 v12, null, 0, v16, vcc_lo
.LBB1218_179:
	s_wait_alu 0xfffe
	s_or_b32 exec_lo, exec_lo, s3
	s_wait_dscnt 0x6
	s_delay_alu instid0(VALU_DEP_1) | instskip(NEXT) | instid1(VALU_DEP_1)
	v_lshlrev_b64_e32 v[11:12], 2, v[11:12]
	v_add_co_u32 v11, vcc_lo, s10, v11
	s_wait_alu 0xfffd
	s_delay_alu instid0(VALU_DEP_2) | instskip(SKIP_3) | instid1(SALU_CYCLE_1)
	v_add_co_ci_u32_e64 v12, null, s11, v12, vcc_lo
	s_wait_dscnt 0x5
	global_store_b32 v[11:12], v10, off
	s_or_b32 exec_lo, exec_lo, s1
	s_mov_b32 s1, exec_lo
	v_cmpx_gt_u32_e64 s22, v41
	s_cbranch_execnz .LBB1218_145
.LBB1218_180:
	s_wait_alu 0xfffe
	s_or_b32 exec_lo, exec_lo, s1
	s_delay_alu instid0(SALU_CYCLE_1)
	s_mov_b32 s1, exec_lo
	v_cmpx_gt_u32_e64 s22, v40
	s_cbranch_execz .LBB1218_150
.LBB1218_181:
	s_mov_b32 s3, exec_lo
                                        ; implicit-def: $vgpr9_vgpr10
	v_cmpx_ge_u32_e64 v40, v19
	s_wait_alu 0xfffe
	s_xor_b32 s3, exec_lo, s3
	s_cbranch_execz .LBB1218_183
; %bb.182:
	s_wait_dscnt 0x4
	v_xor_b32_e32 v7, 0xfffffaff, v0
                                        ; implicit-def: $vgpr40
	s_delay_alu instid0(VALU_DEP_1) | instskip(SKIP_2) | instid1(VALU_DEP_2)
	v_ashrrev_i32_e32 v10, 31, v7
	v_add_co_u32 v9, vcc_lo, v17, v7
	s_wait_alu 0xfffd
	v_add_co_ci_u32_e64 v10, null, v18, v10, vcc_lo
.LBB1218_183:
	s_wait_alu 0xfffe
	s_and_not1_saveexec_b32 s3, s3
	s_cbranch_execz .LBB1218_185
; %bb.184:
	s_wait_dscnt 0x5
	v_add_co_u32 v9, vcc_lo, v15, v40
	s_wait_alu 0xfffd
	v_add_co_ci_u32_e64 v10, null, 0, v16, vcc_lo
.LBB1218_185:
	s_wait_alu 0xfffe
	s_or_b32 exec_lo, exec_lo, s3
	s_wait_dscnt 0x5
	s_delay_alu instid0(VALU_DEP_1) | instskip(NEXT) | instid1(VALU_DEP_1)
	v_lshlrev_b64_e32 v[9:10], 2, v[9:10]
	v_add_co_u32 v9, vcc_lo, s10, v9
	s_wait_alu 0xfffd
	s_delay_alu instid0(VALU_DEP_2) | instskip(SKIP_3) | instid1(SALU_CYCLE_1)
	v_add_co_ci_u32_e64 v10, null, s11, v10, vcc_lo
	s_wait_dscnt 0x4
	global_store_b32 v[9:10], v8, off
	s_or_b32 exec_lo, exec_lo, s1
	s_mov_b32 s1, exec_lo
	v_cmpx_gt_u32_e64 s22, v39
	s_cbranch_execnz .LBB1218_151
.LBB1218_186:
	s_wait_alu 0xfffe
	s_or_b32 exec_lo, exec_lo, s1
	s_delay_alu instid0(SALU_CYCLE_1)
	s_mov_b32 s1, exec_lo
	v_cmpx_gt_u32_e64 s22, v38
	s_cbranch_execz .LBB1218_156
.LBB1218_187:
	s_mov_b32 s3, exec_lo
                                        ; implicit-def: $vgpr7_vgpr8
	v_cmpx_ge_u32_e64 v38, v19
	s_wait_alu 0xfffe
	s_xor_b32 s3, exec_lo, s3
	s_cbranch_execz .LBB1218_189
; %bb.188:
	s_wait_dscnt 0x3
	v_xor_b32_e32 v5, 0xfffff8ff, v0
                                        ; implicit-def: $vgpr38
	s_delay_alu instid0(VALU_DEP_1) | instskip(SKIP_2) | instid1(VALU_DEP_2)
	v_ashrrev_i32_e32 v8, 31, v5
	v_add_co_u32 v7, vcc_lo, v17, v5
	s_wait_alu 0xfffd
	v_add_co_ci_u32_e64 v8, null, v18, v8, vcc_lo
.LBB1218_189:
	s_wait_alu 0xfffe
	s_and_not1_saveexec_b32 s3, s3
	s_cbranch_execz .LBB1218_191
; %bb.190:
	s_wait_dscnt 0x4
	v_add_co_u32 v7, vcc_lo, v15, v38
	s_wait_alu 0xfffd
	v_add_co_ci_u32_e64 v8, null, 0, v16, vcc_lo
.LBB1218_191:
	s_wait_alu 0xfffe
	s_or_b32 exec_lo, exec_lo, s3
	s_wait_dscnt 0x4
	s_delay_alu instid0(VALU_DEP_1) | instskip(NEXT) | instid1(VALU_DEP_1)
	v_lshlrev_b64_e32 v[7:8], 2, v[7:8]
	v_add_co_u32 v7, vcc_lo, s10, v7
	s_wait_alu 0xfffd
	s_delay_alu instid0(VALU_DEP_2) | instskip(SKIP_3) | instid1(SALU_CYCLE_1)
	v_add_co_ci_u32_e64 v8, null, s11, v8, vcc_lo
	s_wait_dscnt 0x3
	global_store_b32 v[7:8], v6, off
	s_or_b32 exec_lo, exec_lo, s1
	s_mov_b32 s1, exec_lo
	v_cmpx_gt_u32_e64 s22, v37
	s_cbranch_execnz .LBB1218_157
.LBB1218_192:
	s_wait_alu 0xfffe
	s_or_b32 exec_lo, exec_lo, s1
	s_delay_alu instid0(SALU_CYCLE_1)
	s_mov_b32 s1, exec_lo
	v_cmpx_gt_u32_e64 s22, v36
	s_cbranch_execz .LBB1218_162
.LBB1218_193:
	s_mov_b32 s3, exec_lo
                                        ; implicit-def: $vgpr5_vgpr6
	v_cmpx_ge_u32_e64 v36, v19
	s_wait_alu 0xfffe
	s_xor_b32 s3, exec_lo, s3
	s_cbranch_execz .LBB1218_195
; %bb.194:
	s_wait_dscnt 0x2
	v_xor_b32_e32 v3, 0xfffff6ff, v0
                                        ; implicit-def: $vgpr36
	s_delay_alu instid0(VALU_DEP_1) | instskip(SKIP_2) | instid1(VALU_DEP_2)
	v_ashrrev_i32_e32 v6, 31, v3
	v_add_co_u32 v5, vcc_lo, v17, v3
	s_wait_alu 0xfffd
	v_add_co_ci_u32_e64 v6, null, v18, v6, vcc_lo
.LBB1218_195:
	s_wait_alu 0xfffe
	s_and_not1_saveexec_b32 s3, s3
	s_cbranch_execz .LBB1218_197
; %bb.196:
	s_wait_dscnt 0x3
	v_add_co_u32 v5, vcc_lo, v15, v36
	s_wait_alu 0xfffd
	v_add_co_ci_u32_e64 v6, null, 0, v16, vcc_lo
.LBB1218_197:
	s_wait_alu 0xfffe
	s_or_b32 exec_lo, exec_lo, s3
	s_wait_dscnt 0x3
	s_delay_alu instid0(VALU_DEP_1) | instskip(NEXT) | instid1(VALU_DEP_1)
	v_lshlrev_b64_e32 v[5:6], 2, v[5:6]
	v_add_co_u32 v5, vcc_lo, s10, v5
	s_wait_alu 0xfffd
	s_delay_alu instid0(VALU_DEP_2) | instskip(SKIP_3) | instid1(SALU_CYCLE_1)
	v_add_co_ci_u32_e64 v6, null, s11, v6, vcc_lo
	s_wait_dscnt 0x2
	global_store_b32 v[5:6], v4, off
	s_or_b32 exec_lo, exec_lo, s1
	s_mov_b32 s1, exec_lo
	v_cmpx_gt_u32_e64 s22, v35
	s_cbranch_execnz .LBB1218_163
.LBB1218_198:
	s_wait_alu 0xfffe
	s_or_b32 exec_lo, exec_lo, s1
	s_delay_alu instid0(SALU_CYCLE_1)
	s_mov_b32 s1, exec_lo
	v_cmpx_gt_u32_e64 s22, v34
	s_cbranch_execz .LBB1218_204
.LBB1218_199:
	s_mov_b32 s3, exec_lo
                                        ; implicit-def: $vgpr3_vgpr4
	v_cmpx_ge_u32_e64 v34, v19
	s_wait_alu 0xfffe
	s_xor_b32 s3, exec_lo, s3
	s_cbranch_execz .LBB1218_201
; %bb.200:
	s_wait_dscnt 0x1
	v_xor_b32_e32 v1, 0xfffff4ff, v0
                                        ; implicit-def: $vgpr34
	s_delay_alu instid0(VALU_DEP_1) | instskip(SKIP_2) | instid1(VALU_DEP_2)
	v_ashrrev_i32_e32 v4, 31, v1
	v_add_co_u32 v3, vcc_lo, v17, v1
	s_wait_alu 0xfffd
	v_add_co_ci_u32_e64 v4, null, v18, v4, vcc_lo
.LBB1218_201:
	s_wait_alu 0xfffe
	s_and_not1_saveexec_b32 s3, s3
	s_cbranch_execz .LBB1218_203
; %bb.202:
	s_wait_dscnt 0x2
	v_add_co_u32 v3, vcc_lo, v15, v34
	s_wait_alu 0xfffd
	v_add_co_ci_u32_e64 v4, null, 0, v16, vcc_lo
.LBB1218_203:
	s_wait_alu 0xfffe
	s_or_b32 exec_lo, exec_lo, s3
	s_wait_dscnt 0x2
	s_delay_alu instid0(VALU_DEP_1) | instskip(NEXT) | instid1(VALU_DEP_1)
	v_lshlrev_b64_e32 v[3:4], 2, v[3:4]
	v_add_co_u32 v3, vcc_lo, s10, v3
	s_wait_alu 0xfffd
	s_delay_alu instid0(VALU_DEP_2)
	v_add_co_ci_u32_e64 v4, null, s11, v4, vcc_lo
	s_wait_dscnt 0x1
	global_store_b32 v[3:4], v2, off
.LBB1218_204:
	s_wait_alu 0xfffe
	s_or_b32 exec_lo, exec_lo, s1
	s_delay_alu instid0(SALU_CYCLE_1)
	s_mov_b32 s1, exec_lo
                                        ; implicit-def: $vgpr13_vgpr14
	v_cmpx_gt_u32_e64 s22, v33
	s_cbranch_execz .LBB1218_210
; %bb.205:
	s_mov_b32 s3, exec_lo
                                        ; implicit-def: $vgpr13_vgpr14
	v_cmpx_ge_u32_e64 v33, v19
	s_wait_alu 0xfffe
	s_xor_b32 s3, exec_lo, s3
	s_cbranch_execz .LBB1218_207
; %bb.206:
	v_xor_b32_e32 v0, 0xfffff3ff, v0
                                        ; implicit-def: $vgpr33
	s_wait_dscnt 0x1
	s_delay_alu instid0(VALU_DEP_1) | instskip(SKIP_2) | instid1(VALU_DEP_2)
	v_ashrrev_i32_e32 v1, 31, v0
	v_add_co_u32 v13, vcc_lo, v17, v0
	s_wait_alu 0xfffd
	v_add_co_ci_u32_e64 v14, null, v18, v1, vcc_lo
.LBB1218_207:
	s_wait_alu 0xfffe
	s_and_not1_saveexec_b32 s3, s3
; %bb.208:
	v_add_co_u32 v13, vcc_lo, v15, v33
	s_wait_alu 0xfffd
	v_add_co_ci_u32_e64 v14, null, 0, v16, vcc_lo
; %bb.209:
	s_wait_alu 0xfffe
	s_or_b32 exec_lo, exec_lo, s3
	s_delay_alu instid0(SALU_CYCLE_1)
	s_or_b32 s0, s0, exec_lo
.LBB1218_210:
	s_wait_alu 0xfffe
	s_or_b32 exec_lo, exec_lo, s1
	s_and_saveexec_b32 s1, s0
	s_cbranch_execnz .LBB1218_129
.LBB1218_211:
	s_wait_alu 0xfffe
	s_or_b32 exec_lo, exec_lo, s1
	s_and_b32 s0, s2, s9
	s_wait_alu 0xfffe
	s_and_saveexec_b32 s1, s0
	s_cbranch_execz .LBB1218_130
.LBB1218_212:
	v_add_co_u32 v0, vcc_lo, v15, v19
	s_wait_dscnt 0x1
	v_mov_b32_e32 v2, 0
	s_wait_alu 0xfffd
	v_add_co_ci_u32_e64 v1, null, 0, v16, vcc_lo
	global_store_b64 v2, v[0:1], s[12:13]
	s_endpgm
	.section	.rodata,"a",@progbits
	.p2align	6, 0x0
	.amdhsa_kernel _ZN7rocprim17ROCPRIM_400000_NS6detail17trampoline_kernelINS0_13select_configILj256ELj13ELNS0_17block_load_methodE3ELS4_3ELS4_3ELNS0_20block_scan_algorithmE0ELj4294967295EEENS1_25partition_config_selectorILNS1_17partition_subalgoE3EjNS0_10empty_typeEbEEZZNS1_14partition_implILS8_3ELb0ES6_jNS0_17counting_iteratorIjlEEPS9_SE_NS0_5tupleIJPjSE_EEENSF_IJSE_SE_EEES9_SG_JZNS1_25segmented_radix_sort_implINS0_14default_configELb0EPKdPdPKlPlN2at6native12_GLOBAL__N_18offset_tEEE10hipError_tPvRmT1_PNSt15iterator_traitsISY_E10value_typeET2_T3_PNSZ_IS14_E10value_typeET4_jRbjT5_S1A_jjP12ihipStream_tbEUljE_EEESV_SW_SX_S14_S18_S1A_T6_T7_T9_mT8_S1C_bDpT10_ENKUlT_T0_E_clISt17integral_constantIbLb0EES1O_IbLb1EEEEDaS1K_S1L_EUlS1K_E_NS1_11comp_targetILNS1_3genE10ELNS1_11target_archE1200ELNS1_3gpuE4ELNS1_3repE0EEENS1_30default_config_static_selectorELNS0_4arch9wavefront6targetE0EEEvSY_
		.amdhsa_group_segment_fixed_size 13320
		.amdhsa_private_segment_fixed_size 0
		.amdhsa_kernarg_size 152
		.amdhsa_user_sgpr_count 2
		.amdhsa_user_sgpr_dispatch_ptr 0
		.amdhsa_user_sgpr_queue_ptr 0
		.amdhsa_user_sgpr_kernarg_segment_ptr 1
		.amdhsa_user_sgpr_dispatch_id 0
		.amdhsa_user_sgpr_private_segment_size 0
		.amdhsa_wavefront_size32 1
		.amdhsa_uses_dynamic_stack 0
		.amdhsa_enable_private_segment 0
		.amdhsa_system_sgpr_workgroup_id_x 1
		.amdhsa_system_sgpr_workgroup_id_y 0
		.amdhsa_system_sgpr_workgroup_id_z 0
		.amdhsa_system_sgpr_workgroup_info 0
		.amdhsa_system_vgpr_workitem_id 0
		.amdhsa_next_free_vgpr 71
		.amdhsa_next_free_sgpr 26
		.amdhsa_reserve_vcc 1
		.amdhsa_float_round_mode_32 0
		.amdhsa_float_round_mode_16_64 0
		.amdhsa_float_denorm_mode_32 3
		.amdhsa_float_denorm_mode_16_64 3
		.amdhsa_fp16_overflow 0
		.amdhsa_workgroup_processor_mode 1
		.amdhsa_memory_ordered 1
		.amdhsa_forward_progress 1
		.amdhsa_inst_pref_size 86
		.amdhsa_round_robin_scheduling 0
		.amdhsa_exception_fp_ieee_invalid_op 0
		.amdhsa_exception_fp_denorm_src 0
		.amdhsa_exception_fp_ieee_div_zero 0
		.amdhsa_exception_fp_ieee_overflow 0
		.amdhsa_exception_fp_ieee_underflow 0
		.amdhsa_exception_fp_ieee_inexact 0
		.amdhsa_exception_int_div_zero 0
	.end_amdhsa_kernel
	.section	.text._ZN7rocprim17ROCPRIM_400000_NS6detail17trampoline_kernelINS0_13select_configILj256ELj13ELNS0_17block_load_methodE3ELS4_3ELS4_3ELNS0_20block_scan_algorithmE0ELj4294967295EEENS1_25partition_config_selectorILNS1_17partition_subalgoE3EjNS0_10empty_typeEbEEZZNS1_14partition_implILS8_3ELb0ES6_jNS0_17counting_iteratorIjlEEPS9_SE_NS0_5tupleIJPjSE_EEENSF_IJSE_SE_EEES9_SG_JZNS1_25segmented_radix_sort_implINS0_14default_configELb0EPKdPdPKlPlN2at6native12_GLOBAL__N_18offset_tEEE10hipError_tPvRmT1_PNSt15iterator_traitsISY_E10value_typeET2_T3_PNSZ_IS14_E10value_typeET4_jRbjT5_S1A_jjP12ihipStream_tbEUljE_EEESV_SW_SX_S14_S18_S1A_T6_T7_T9_mT8_S1C_bDpT10_ENKUlT_T0_E_clISt17integral_constantIbLb0EES1O_IbLb1EEEEDaS1K_S1L_EUlS1K_E_NS1_11comp_targetILNS1_3genE10ELNS1_11target_archE1200ELNS1_3gpuE4ELNS1_3repE0EEENS1_30default_config_static_selectorELNS0_4arch9wavefront6targetE0EEEvSY_,"axG",@progbits,_ZN7rocprim17ROCPRIM_400000_NS6detail17trampoline_kernelINS0_13select_configILj256ELj13ELNS0_17block_load_methodE3ELS4_3ELS4_3ELNS0_20block_scan_algorithmE0ELj4294967295EEENS1_25partition_config_selectorILNS1_17partition_subalgoE3EjNS0_10empty_typeEbEEZZNS1_14partition_implILS8_3ELb0ES6_jNS0_17counting_iteratorIjlEEPS9_SE_NS0_5tupleIJPjSE_EEENSF_IJSE_SE_EEES9_SG_JZNS1_25segmented_radix_sort_implINS0_14default_configELb0EPKdPdPKlPlN2at6native12_GLOBAL__N_18offset_tEEE10hipError_tPvRmT1_PNSt15iterator_traitsISY_E10value_typeET2_T3_PNSZ_IS14_E10value_typeET4_jRbjT5_S1A_jjP12ihipStream_tbEUljE_EEESV_SW_SX_S14_S18_S1A_T6_T7_T9_mT8_S1C_bDpT10_ENKUlT_T0_E_clISt17integral_constantIbLb0EES1O_IbLb1EEEEDaS1K_S1L_EUlS1K_E_NS1_11comp_targetILNS1_3genE10ELNS1_11target_archE1200ELNS1_3gpuE4ELNS1_3repE0EEENS1_30default_config_static_selectorELNS0_4arch9wavefront6targetE0EEEvSY_,comdat
.Lfunc_end1218:
	.size	_ZN7rocprim17ROCPRIM_400000_NS6detail17trampoline_kernelINS0_13select_configILj256ELj13ELNS0_17block_load_methodE3ELS4_3ELS4_3ELNS0_20block_scan_algorithmE0ELj4294967295EEENS1_25partition_config_selectorILNS1_17partition_subalgoE3EjNS0_10empty_typeEbEEZZNS1_14partition_implILS8_3ELb0ES6_jNS0_17counting_iteratorIjlEEPS9_SE_NS0_5tupleIJPjSE_EEENSF_IJSE_SE_EEES9_SG_JZNS1_25segmented_radix_sort_implINS0_14default_configELb0EPKdPdPKlPlN2at6native12_GLOBAL__N_18offset_tEEE10hipError_tPvRmT1_PNSt15iterator_traitsISY_E10value_typeET2_T3_PNSZ_IS14_E10value_typeET4_jRbjT5_S1A_jjP12ihipStream_tbEUljE_EEESV_SW_SX_S14_S18_S1A_T6_T7_T9_mT8_S1C_bDpT10_ENKUlT_T0_E_clISt17integral_constantIbLb0EES1O_IbLb1EEEEDaS1K_S1L_EUlS1K_E_NS1_11comp_targetILNS1_3genE10ELNS1_11target_archE1200ELNS1_3gpuE4ELNS1_3repE0EEENS1_30default_config_static_selectorELNS0_4arch9wavefront6targetE0EEEvSY_, .Lfunc_end1218-_ZN7rocprim17ROCPRIM_400000_NS6detail17trampoline_kernelINS0_13select_configILj256ELj13ELNS0_17block_load_methodE3ELS4_3ELS4_3ELNS0_20block_scan_algorithmE0ELj4294967295EEENS1_25partition_config_selectorILNS1_17partition_subalgoE3EjNS0_10empty_typeEbEEZZNS1_14partition_implILS8_3ELb0ES6_jNS0_17counting_iteratorIjlEEPS9_SE_NS0_5tupleIJPjSE_EEENSF_IJSE_SE_EEES9_SG_JZNS1_25segmented_radix_sort_implINS0_14default_configELb0EPKdPdPKlPlN2at6native12_GLOBAL__N_18offset_tEEE10hipError_tPvRmT1_PNSt15iterator_traitsISY_E10value_typeET2_T3_PNSZ_IS14_E10value_typeET4_jRbjT5_S1A_jjP12ihipStream_tbEUljE_EEESV_SW_SX_S14_S18_S1A_T6_T7_T9_mT8_S1C_bDpT10_ENKUlT_T0_E_clISt17integral_constantIbLb0EES1O_IbLb1EEEEDaS1K_S1L_EUlS1K_E_NS1_11comp_targetILNS1_3genE10ELNS1_11target_archE1200ELNS1_3gpuE4ELNS1_3repE0EEENS1_30default_config_static_selectorELNS0_4arch9wavefront6targetE0EEEvSY_
                                        ; -- End function
	.set _ZN7rocprim17ROCPRIM_400000_NS6detail17trampoline_kernelINS0_13select_configILj256ELj13ELNS0_17block_load_methodE3ELS4_3ELS4_3ELNS0_20block_scan_algorithmE0ELj4294967295EEENS1_25partition_config_selectorILNS1_17partition_subalgoE3EjNS0_10empty_typeEbEEZZNS1_14partition_implILS8_3ELb0ES6_jNS0_17counting_iteratorIjlEEPS9_SE_NS0_5tupleIJPjSE_EEENSF_IJSE_SE_EEES9_SG_JZNS1_25segmented_radix_sort_implINS0_14default_configELb0EPKdPdPKlPlN2at6native12_GLOBAL__N_18offset_tEEE10hipError_tPvRmT1_PNSt15iterator_traitsISY_E10value_typeET2_T3_PNSZ_IS14_E10value_typeET4_jRbjT5_S1A_jjP12ihipStream_tbEUljE_EEESV_SW_SX_S14_S18_S1A_T6_T7_T9_mT8_S1C_bDpT10_ENKUlT_T0_E_clISt17integral_constantIbLb0EES1O_IbLb1EEEEDaS1K_S1L_EUlS1K_E_NS1_11comp_targetILNS1_3genE10ELNS1_11target_archE1200ELNS1_3gpuE4ELNS1_3repE0EEENS1_30default_config_static_selectorELNS0_4arch9wavefront6targetE0EEEvSY_.num_vgpr, 71
	.set _ZN7rocprim17ROCPRIM_400000_NS6detail17trampoline_kernelINS0_13select_configILj256ELj13ELNS0_17block_load_methodE3ELS4_3ELS4_3ELNS0_20block_scan_algorithmE0ELj4294967295EEENS1_25partition_config_selectorILNS1_17partition_subalgoE3EjNS0_10empty_typeEbEEZZNS1_14partition_implILS8_3ELb0ES6_jNS0_17counting_iteratorIjlEEPS9_SE_NS0_5tupleIJPjSE_EEENSF_IJSE_SE_EEES9_SG_JZNS1_25segmented_radix_sort_implINS0_14default_configELb0EPKdPdPKlPlN2at6native12_GLOBAL__N_18offset_tEEE10hipError_tPvRmT1_PNSt15iterator_traitsISY_E10value_typeET2_T3_PNSZ_IS14_E10value_typeET4_jRbjT5_S1A_jjP12ihipStream_tbEUljE_EEESV_SW_SX_S14_S18_S1A_T6_T7_T9_mT8_S1C_bDpT10_ENKUlT_T0_E_clISt17integral_constantIbLb0EES1O_IbLb1EEEEDaS1K_S1L_EUlS1K_E_NS1_11comp_targetILNS1_3genE10ELNS1_11target_archE1200ELNS1_3gpuE4ELNS1_3repE0EEENS1_30default_config_static_selectorELNS0_4arch9wavefront6targetE0EEEvSY_.num_agpr, 0
	.set _ZN7rocprim17ROCPRIM_400000_NS6detail17trampoline_kernelINS0_13select_configILj256ELj13ELNS0_17block_load_methodE3ELS4_3ELS4_3ELNS0_20block_scan_algorithmE0ELj4294967295EEENS1_25partition_config_selectorILNS1_17partition_subalgoE3EjNS0_10empty_typeEbEEZZNS1_14partition_implILS8_3ELb0ES6_jNS0_17counting_iteratorIjlEEPS9_SE_NS0_5tupleIJPjSE_EEENSF_IJSE_SE_EEES9_SG_JZNS1_25segmented_radix_sort_implINS0_14default_configELb0EPKdPdPKlPlN2at6native12_GLOBAL__N_18offset_tEEE10hipError_tPvRmT1_PNSt15iterator_traitsISY_E10value_typeET2_T3_PNSZ_IS14_E10value_typeET4_jRbjT5_S1A_jjP12ihipStream_tbEUljE_EEESV_SW_SX_S14_S18_S1A_T6_T7_T9_mT8_S1C_bDpT10_ENKUlT_T0_E_clISt17integral_constantIbLb0EES1O_IbLb1EEEEDaS1K_S1L_EUlS1K_E_NS1_11comp_targetILNS1_3genE10ELNS1_11target_archE1200ELNS1_3gpuE4ELNS1_3repE0EEENS1_30default_config_static_selectorELNS0_4arch9wavefront6targetE0EEEvSY_.numbered_sgpr, 26
	.set _ZN7rocprim17ROCPRIM_400000_NS6detail17trampoline_kernelINS0_13select_configILj256ELj13ELNS0_17block_load_methodE3ELS4_3ELS4_3ELNS0_20block_scan_algorithmE0ELj4294967295EEENS1_25partition_config_selectorILNS1_17partition_subalgoE3EjNS0_10empty_typeEbEEZZNS1_14partition_implILS8_3ELb0ES6_jNS0_17counting_iteratorIjlEEPS9_SE_NS0_5tupleIJPjSE_EEENSF_IJSE_SE_EEES9_SG_JZNS1_25segmented_radix_sort_implINS0_14default_configELb0EPKdPdPKlPlN2at6native12_GLOBAL__N_18offset_tEEE10hipError_tPvRmT1_PNSt15iterator_traitsISY_E10value_typeET2_T3_PNSZ_IS14_E10value_typeET4_jRbjT5_S1A_jjP12ihipStream_tbEUljE_EEESV_SW_SX_S14_S18_S1A_T6_T7_T9_mT8_S1C_bDpT10_ENKUlT_T0_E_clISt17integral_constantIbLb0EES1O_IbLb1EEEEDaS1K_S1L_EUlS1K_E_NS1_11comp_targetILNS1_3genE10ELNS1_11target_archE1200ELNS1_3gpuE4ELNS1_3repE0EEENS1_30default_config_static_selectorELNS0_4arch9wavefront6targetE0EEEvSY_.num_named_barrier, 0
	.set _ZN7rocprim17ROCPRIM_400000_NS6detail17trampoline_kernelINS0_13select_configILj256ELj13ELNS0_17block_load_methodE3ELS4_3ELS4_3ELNS0_20block_scan_algorithmE0ELj4294967295EEENS1_25partition_config_selectorILNS1_17partition_subalgoE3EjNS0_10empty_typeEbEEZZNS1_14partition_implILS8_3ELb0ES6_jNS0_17counting_iteratorIjlEEPS9_SE_NS0_5tupleIJPjSE_EEENSF_IJSE_SE_EEES9_SG_JZNS1_25segmented_radix_sort_implINS0_14default_configELb0EPKdPdPKlPlN2at6native12_GLOBAL__N_18offset_tEEE10hipError_tPvRmT1_PNSt15iterator_traitsISY_E10value_typeET2_T3_PNSZ_IS14_E10value_typeET4_jRbjT5_S1A_jjP12ihipStream_tbEUljE_EEESV_SW_SX_S14_S18_S1A_T6_T7_T9_mT8_S1C_bDpT10_ENKUlT_T0_E_clISt17integral_constantIbLb0EES1O_IbLb1EEEEDaS1K_S1L_EUlS1K_E_NS1_11comp_targetILNS1_3genE10ELNS1_11target_archE1200ELNS1_3gpuE4ELNS1_3repE0EEENS1_30default_config_static_selectorELNS0_4arch9wavefront6targetE0EEEvSY_.private_seg_size, 0
	.set _ZN7rocprim17ROCPRIM_400000_NS6detail17trampoline_kernelINS0_13select_configILj256ELj13ELNS0_17block_load_methodE3ELS4_3ELS4_3ELNS0_20block_scan_algorithmE0ELj4294967295EEENS1_25partition_config_selectorILNS1_17partition_subalgoE3EjNS0_10empty_typeEbEEZZNS1_14partition_implILS8_3ELb0ES6_jNS0_17counting_iteratorIjlEEPS9_SE_NS0_5tupleIJPjSE_EEENSF_IJSE_SE_EEES9_SG_JZNS1_25segmented_radix_sort_implINS0_14default_configELb0EPKdPdPKlPlN2at6native12_GLOBAL__N_18offset_tEEE10hipError_tPvRmT1_PNSt15iterator_traitsISY_E10value_typeET2_T3_PNSZ_IS14_E10value_typeET4_jRbjT5_S1A_jjP12ihipStream_tbEUljE_EEESV_SW_SX_S14_S18_S1A_T6_T7_T9_mT8_S1C_bDpT10_ENKUlT_T0_E_clISt17integral_constantIbLb0EES1O_IbLb1EEEEDaS1K_S1L_EUlS1K_E_NS1_11comp_targetILNS1_3genE10ELNS1_11target_archE1200ELNS1_3gpuE4ELNS1_3repE0EEENS1_30default_config_static_selectorELNS0_4arch9wavefront6targetE0EEEvSY_.uses_vcc, 1
	.set _ZN7rocprim17ROCPRIM_400000_NS6detail17trampoline_kernelINS0_13select_configILj256ELj13ELNS0_17block_load_methodE3ELS4_3ELS4_3ELNS0_20block_scan_algorithmE0ELj4294967295EEENS1_25partition_config_selectorILNS1_17partition_subalgoE3EjNS0_10empty_typeEbEEZZNS1_14partition_implILS8_3ELb0ES6_jNS0_17counting_iteratorIjlEEPS9_SE_NS0_5tupleIJPjSE_EEENSF_IJSE_SE_EEES9_SG_JZNS1_25segmented_radix_sort_implINS0_14default_configELb0EPKdPdPKlPlN2at6native12_GLOBAL__N_18offset_tEEE10hipError_tPvRmT1_PNSt15iterator_traitsISY_E10value_typeET2_T3_PNSZ_IS14_E10value_typeET4_jRbjT5_S1A_jjP12ihipStream_tbEUljE_EEESV_SW_SX_S14_S18_S1A_T6_T7_T9_mT8_S1C_bDpT10_ENKUlT_T0_E_clISt17integral_constantIbLb0EES1O_IbLb1EEEEDaS1K_S1L_EUlS1K_E_NS1_11comp_targetILNS1_3genE10ELNS1_11target_archE1200ELNS1_3gpuE4ELNS1_3repE0EEENS1_30default_config_static_selectorELNS0_4arch9wavefront6targetE0EEEvSY_.uses_flat_scratch, 0
	.set _ZN7rocprim17ROCPRIM_400000_NS6detail17trampoline_kernelINS0_13select_configILj256ELj13ELNS0_17block_load_methodE3ELS4_3ELS4_3ELNS0_20block_scan_algorithmE0ELj4294967295EEENS1_25partition_config_selectorILNS1_17partition_subalgoE3EjNS0_10empty_typeEbEEZZNS1_14partition_implILS8_3ELb0ES6_jNS0_17counting_iteratorIjlEEPS9_SE_NS0_5tupleIJPjSE_EEENSF_IJSE_SE_EEES9_SG_JZNS1_25segmented_radix_sort_implINS0_14default_configELb0EPKdPdPKlPlN2at6native12_GLOBAL__N_18offset_tEEE10hipError_tPvRmT1_PNSt15iterator_traitsISY_E10value_typeET2_T3_PNSZ_IS14_E10value_typeET4_jRbjT5_S1A_jjP12ihipStream_tbEUljE_EEESV_SW_SX_S14_S18_S1A_T6_T7_T9_mT8_S1C_bDpT10_ENKUlT_T0_E_clISt17integral_constantIbLb0EES1O_IbLb1EEEEDaS1K_S1L_EUlS1K_E_NS1_11comp_targetILNS1_3genE10ELNS1_11target_archE1200ELNS1_3gpuE4ELNS1_3repE0EEENS1_30default_config_static_selectorELNS0_4arch9wavefront6targetE0EEEvSY_.has_dyn_sized_stack, 0
	.set _ZN7rocprim17ROCPRIM_400000_NS6detail17trampoline_kernelINS0_13select_configILj256ELj13ELNS0_17block_load_methodE3ELS4_3ELS4_3ELNS0_20block_scan_algorithmE0ELj4294967295EEENS1_25partition_config_selectorILNS1_17partition_subalgoE3EjNS0_10empty_typeEbEEZZNS1_14partition_implILS8_3ELb0ES6_jNS0_17counting_iteratorIjlEEPS9_SE_NS0_5tupleIJPjSE_EEENSF_IJSE_SE_EEES9_SG_JZNS1_25segmented_radix_sort_implINS0_14default_configELb0EPKdPdPKlPlN2at6native12_GLOBAL__N_18offset_tEEE10hipError_tPvRmT1_PNSt15iterator_traitsISY_E10value_typeET2_T3_PNSZ_IS14_E10value_typeET4_jRbjT5_S1A_jjP12ihipStream_tbEUljE_EEESV_SW_SX_S14_S18_S1A_T6_T7_T9_mT8_S1C_bDpT10_ENKUlT_T0_E_clISt17integral_constantIbLb0EES1O_IbLb1EEEEDaS1K_S1L_EUlS1K_E_NS1_11comp_targetILNS1_3genE10ELNS1_11target_archE1200ELNS1_3gpuE4ELNS1_3repE0EEENS1_30default_config_static_selectorELNS0_4arch9wavefront6targetE0EEEvSY_.has_recursion, 0
	.set _ZN7rocprim17ROCPRIM_400000_NS6detail17trampoline_kernelINS0_13select_configILj256ELj13ELNS0_17block_load_methodE3ELS4_3ELS4_3ELNS0_20block_scan_algorithmE0ELj4294967295EEENS1_25partition_config_selectorILNS1_17partition_subalgoE3EjNS0_10empty_typeEbEEZZNS1_14partition_implILS8_3ELb0ES6_jNS0_17counting_iteratorIjlEEPS9_SE_NS0_5tupleIJPjSE_EEENSF_IJSE_SE_EEES9_SG_JZNS1_25segmented_radix_sort_implINS0_14default_configELb0EPKdPdPKlPlN2at6native12_GLOBAL__N_18offset_tEEE10hipError_tPvRmT1_PNSt15iterator_traitsISY_E10value_typeET2_T3_PNSZ_IS14_E10value_typeET4_jRbjT5_S1A_jjP12ihipStream_tbEUljE_EEESV_SW_SX_S14_S18_S1A_T6_T7_T9_mT8_S1C_bDpT10_ENKUlT_T0_E_clISt17integral_constantIbLb0EES1O_IbLb1EEEEDaS1K_S1L_EUlS1K_E_NS1_11comp_targetILNS1_3genE10ELNS1_11target_archE1200ELNS1_3gpuE4ELNS1_3repE0EEENS1_30default_config_static_selectorELNS0_4arch9wavefront6targetE0EEEvSY_.has_indirect_call, 0
	.section	.AMDGPU.csdata,"",@progbits
; Kernel info:
; codeLenInByte = 10900
; TotalNumSgprs: 28
; NumVgprs: 71
; ScratchSize: 0
; MemoryBound: 0
; FloatMode: 240
; IeeeMode: 1
; LDSByteSize: 13320 bytes/workgroup (compile time only)
; SGPRBlocks: 0
; VGPRBlocks: 8
; NumSGPRsForWavesPerEU: 28
; NumVGPRsForWavesPerEU: 71
; Occupancy: 16
; WaveLimiterHint : 0
; COMPUTE_PGM_RSRC2:SCRATCH_EN: 0
; COMPUTE_PGM_RSRC2:USER_SGPR: 2
; COMPUTE_PGM_RSRC2:TRAP_HANDLER: 0
; COMPUTE_PGM_RSRC2:TGID_X_EN: 1
; COMPUTE_PGM_RSRC2:TGID_Y_EN: 0
; COMPUTE_PGM_RSRC2:TGID_Z_EN: 0
; COMPUTE_PGM_RSRC2:TIDIG_COMP_CNT: 0
	.section	.text._ZN7rocprim17ROCPRIM_400000_NS6detail17trampoline_kernelINS0_13select_configILj256ELj13ELNS0_17block_load_methodE3ELS4_3ELS4_3ELNS0_20block_scan_algorithmE0ELj4294967295EEENS1_25partition_config_selectorILNS1_17partition_subalgoE3EjNS0_10empty_typeEbEEZZNS1_14partition_implILS8_3ELb0ES6_jNS0_17counting_iteratorIjlEEPS9_SE_NS0_5tupleIJPjSE_EEENSF_IJSE_SE_EEES9_SG_JZNS1_25segmented_radix_sort_implINS0_14default_configELb0EPKdPdPKlPlN2at6native12_GLOBAL__N_18offset_tEEE10hipError_tPvRmT1_PNSt15iterator_traitsISY_E10value_typeET2_T3_PNSZ_IS14_E10value_typeET4_jRbjT5_S1A_jjP12ihipStream_tbEUljE_EEESV_SW_SX_S14_S18_S1A_T6_T7_T9_mT8_S1C_bDpT10_ENKUlT_T0_E_clISt17integral_constantIbLb0EES1O_IbLb1EEEEDaS1K_S1L_EUlS1K_E_NS1_11comp_targetILNS1_3genE9ELNS1_11target_archE1100ELNS1_3gpuE3ELNS1_3repE0EEENS1_30default_config_static_selectorELNS0_4arch9wavefront6targetE0EEEvSY_,"axG",@progbits,_ZN7rocprim17ROCPRIM_400000_NS6detail17trampoline_kernelINS0_13select_configILj256ELj13ELNS0_17block_load_methodE3ELS4_3ELS4_3ELNS0_20block_scan_algorithmE0ELj4294967295EEENS1_25partition_config_selectorILNS1_17partition_subalgoE3EjNS0_10empty_typeEbEEZZNS1_14partition_implILS8_3ELb0ES6_jNS0_17counting_iteratorIjlEEPS9_SE_NS0_5tupleIJPjSE_EEENSF_IJSE_SE_EEES9_SG_JZNS1_25segmented_radix_sort_implINS0_14default_configELb0EPKdPdPKlPlN2at6native12_GLOBAL__N_18offset_tEEE10hipError_tPvRmT1_PNSt15iterator_traitsISY_E10value_typeET2_T3_PNSZ_IS14_E10value_typeET4_jRbjT5_S1A_jjP12ihipStream_tbEUljE_EEESV_SW_SX_S14_S18_S1A_T6_T7_T9_mT8_S1C_bDpT10_ENKUlT_T0_E_clISt17integral_constantIbLb0EES1O_IbLb1EEEEDaS1K_S1L_EUlS1K_E_NS1_11comp_targetILNS1_3genE9ELNS1_11target_archE1100ELNS1_3gpuE3ELNS1_3repE0EEENS1_30default_config_static_selectorELNS0_4arch9wavefront6targetE0EEEvSY_,comdat
	.globl	_ZN7rocprim17ROCPRIM_400000_NS6detail17trampoline_kernelINS0_13select_configILj256ELj13ELNS0_17block_load_methodE3ELS4_3ELS4_3ELNS0_20block_scan_algorithmE0ELj4294967295EEENS1_25partition_config_selectorILNS1_17partition_subalgoE3EjNS0_10empty_typeEbEEZZNS1_14partition_implILS8_3ELb0ES6_jNS0_17counting_iteratorIjlEEPS9_SE_NS0_5tupleIJPjSE_EEENSF_IJSE_SE_EEES9_SG_JZNS1_25segmented_radix_sort_implINS0_14default_configELb0EPKdPdPKlPlN2at6native12_GLOBAL__N_18offset_tEEE10hipError_tPvRmT1_PNSt15iterator_traitsISY_E10value_typeET2_T3_PNSZ_IS14_E10value_typeET4_jRbjT5_S1A_jjP12ihipStream_tbEUljE_EEESV_SW_SX_S14_S18_S1A_T6_T7_T9_mT8_S1C_bDpT10_ENKUlT_T0_E_clISt17integral_constantIbLb0EES1O_IbLb1EEEEDaS1K_S1L_EUlS1K_E_NS1_11comp_targetILNS1_3genE9ELNS1_11target_archE1100ELNS1_3gpuE3ELNS1_3repE0EEENS1_30default_config_static_selectorELNS0_4arch9wavefront6targetE0EEEvSY_ ; -- Begin function _ZN7rocprim17ROCPRIM_400000_NS6detail17trampoline_kernelINS0_13select_configILj256ELj13ELNS0_17block_load_methodE3ELS4_3ELS4_3ELNS0_20block_scan_algorithmE0ELj4294967295EEENS1_25partition_config_selectorILNS1_17partition_subalgoE3EjNS0_10empty_typeEbEEZZNS1_14partition_implILS8_3ELb0ES6_jNS0_17counting_iteratorIjlEEPS9_SE_NS0_5tupleIJPjSE_EEENSF_IJSE_SE_EEES9_SG_JZNS1_25segmented_radix_sort_implINS0_14default_configELb0EPKdPdPKlPlN2at6native12_GLOBAL__N_18offset_tEEE10hipError_tPvRmT1_PNSt15iterator_traitsISY_E10value_typeET2_T3_PNSZ_IS14_E10value_typeET4_jRbjT5_S1A_jjP12ihipStream_tbEUljE_EEESV_SW_SX_S14_S18_S1A_T6_T7_T9_mT8_S1C_bDpT10_ENKUlT_T0_E_clISt17integral_constantIbLb0EES1O_IbLb1EEEEDaS1K_S1L_EUlS1K_E_NS1_11comp_targetILNS1_3genE9ELNS1_11target_archE1100ELNS1_3gpuE3ELNS1_3repE0EEENS1_30default_config_static_selectorELNS0_4arch9wavefront6targetE0EEEvSY_
	.p2align	8
	.type	_ZN7rocprim17ROCPRIM_400000_NS6detail17trampoline_kernelINS0_13select_configILj256ELj13ELNS0_17block_load_methodE3ELS4_3ELS4_3ELNS0_20block_scan_algorithmE0ELj4294967295EEENS1_25partition_config_selectorILNS1_17partition_subalgoE3EjNS0_10empty_typeEbEEZZNS1_14partition_implILS8_3ELb0ES6_jNS0_17counting_iteratorIjlEEPS9_SE_NS0_5tupleIJPjSE_EEENSF_IJSE_SE_EEES9_SG_JZNS1_25segmented_radix_sort_implINS0_14default_configELb0EPKdPdPKlPlN2at6native12_GLOBAL__N_18offset_tEEE10hipError_tPvRmT1_PNSt15iterator_traitsISY_E10value_typeET2_T3_PNSZ_IS14_E10value_typeET4_jRbjT5_S1A_jjP12ihipStream_tbEUljE_EEESV_SW_SX_S14_S18_S1A_T6_T7_T9_mT8_S1C_bDpT10_ENKUlT_T0_E_clISt17integral_constantIbLb0EES1O_IbLb1EEEEDaS1K_S1L_EUlS1K_E_NS1_11comp_targetILNS1_3genE9ELNS1_11target_archE1100ELNS1_3gpuE3ELNS1_3repE0EEENS1_30default_config_static_selectorELNS0_4arch9wavefront6targetE0EEEvSY_,@function
_ZN7rocprim17ROCPRIM_400000_NS6detail17trampoline_kernelINS0_13select_configILj256ELj13ELNS0_17block_load_methodE3ELS4_3ELS4_3ELNS0_20block_scan_algorithmE0ELj4294967295EEENS1_25partition_config_selectorILNS1_17partition_subalgoE3EjNS0_10empty_typeEbEEZZNS1_14partition_implILS8_3ELb0ES6_jNS0_17counting_iteratorIjlEEPS9_SE_NS0_5tupleIJPjSE_EEENSF_IJSE_SE_EEES9_SG_JZNS1_25segmented_radix_sort_implINS0_14default_configELb0EPKdPdPKlPlN2at6native12_GLOBAL__N_18offset_tEEE10hipError_tPvRmT1_PNSt15iterator_traitsISY_E10value_typeET2_T3_PNSZ_IS14_E10value_typeET4_jRbjT5_S1A_jjP12ihipStream_tbEUljE_EEESV_SW_SX_S14_S18_S1A_T6_T7_T9_mT8_S1C_bDpT10_ENKUlT_T0_E_clISt17integral_constantIbLb0EES1O_IbLb1EEEEDaS1K_S1L_EUlS1K_E_NS1_11comp_targetILNS1_3genE9ELNS1_11target_archE1100ELNS1_3gpuE3ELNS1_3repE0EEENS1_30default_config_static_selectorELNS0_4arch9wavefront6targetE0EEEvSY_: ; @_ZN7rocprim17ROCPRIM_400000_NS6detail17trampoline_kernelINS0_13select_configILj256ELj13ELNS0_17block_load_methodE3ELS4_3ELS4_3ELNS0_20block_scan_algorithmE0ELj4294967295EEENS1_25partition_config_selectorILNS1_17partition_subalgoE3EjNS0_10empty_typeEbEEZZNS1_14partition_implILS8_3ELb0ES6_jNS0_17counting_iteratorIjlEEPS9_SE_NS0_5tupleIJPjSE_EEENSF_IJSE_SE_EEES9_SG_JZNS1_25segmented_radix_sort_implINS0_14default_configELb0EPKdPdPKlPlN2at6native12_GLOBAL__N_18offset_tEEE10hipError_tPvRmT1_PNSt15iterator_traitsISY_E10value_typeET2_T3_PNSZ_IS14_E10value_typeET4_jRbjT5_S1A_jjP12ihipStream_tbEUljE_EEESV_SW_SX_S14_S18_S1A_T6_T7_T9_mT8_S1C_bDpT10_ENKUlT_T0_E_clISt17integral_constantIbLb0EES1O_IbLb1EEEEDaS1K_S1L_EUlS1K_E_NS1_11comp_targetILNS1_3genE9ELNS1_11target_archE1100ELNS1_3gpuE3ELNS1_3repE0EEENS1_30default_config_static_selectorELNS0_4arch9wavefront6targetE0EEEvSY_
; %bb.0:
	.section	.rodata,"a",@progbits
	.p2align	6, 0x0
	.amdhsa_kernel _ZN7rocprim17ROCPRIM_400000_NS6detail17trampoline_kernelINS0_13select_configILj256ELj13ELNS0_17block_load_methodE3ELS4_3ELS4_3ELNS0_20block_scan_algorithmE0ELj4294967295EEENS1_25partition_config_selectorILNS1_17partition_subalgoE3EjNS0_10empty_typeEbEEZZNS1_14partition_implILS8_3ELb0ES6_jNS0_17counting_iteratorIjlEEPS9_SE_NS0_5tupleIJPjSE_EEENSF_IJSE_SE_EEES9_SG_JZNS1_25segmented_radix_sort_implINS0_14default_configELb0EPKdPdPKlPlN2at6native12_GLOBAL__N_18offset_tEEE10hipError_tPvRmT1_PNSt15iterator_traitsISY_E10value_typeET2_T3_PNSZ_IS14_E10value_typeET4_jRbjT5_S1A_jjP12ihipStream_tbEUljE_EEESV_SW_SX_S14_S18_S1A_T6_T7_T9_mT8_S1C_bDpT10_ENKUlT_T0_E_clISt17integral_constantIbLb0EES1O_IbLb1EEEEDaS1K_S1L_EUlS1K_E_NS1_11comp_targetILNS1_3genE9ELNS1_11target_archE1100ELNS1_3gpuE3ELNS1_3repE0EEENS1_30default_config_static_selectorELNS0_4arch9wavefront6targetE0EEEvSY_
		.amdhsa_group_segment_fixed_size 0
		.amdhsa_private_segment_fixed_size 0
		.amdhsa_kernarg_size 152
		.amdhsa_user_sgpr_count 2
		.amdhsa_user_sgpr_dispatch_ptr 0
		.amdhsa_user_sgpr_queue_ptr 0
		.amdhsa_user_sgpr_kernarg_segment_ptr 1
		.amdhsa_user_sgpr_dispatch_id 0
		.amdhsa_user_sgpr_private_segment_size 0
		.amdhsa_wavefront_size32 1
		.amdhsa_uses_dynamic_stack 0
		.amdhsa_enable_private_segment 0
		.amdhsa_system_sgpr_workgroup_id_x 1
		.amdhsa_system_sgpr_workgroup_id_y 0
		.amdhsa_system_sgpr_workgroup_id_z 0
		.amdhsa_system_sgpr_workgroup_info 0
		.amdhsa_system_vgpr_workitem_id 0
		.amdhsa_next_free_vgpr 1
		.amdhsa_next_free_sgpr 1
		.amdhsa_reserve_vcc 0
		.amdhsa_float_round_mode_32 0
		.amdhsa_float_round_mode_16_64 0
		.amdhsa_float_denorm_mode_32 3
		.amdhsa_float_denorm_mode_16_64 3
		.amdhsa_fp16_overflow 0
		.amdhsa_workgroup_processor_mode 1
		.amdhsa_memory_ordered 1
		.amdhsa_forward_progress 1
		.amdhsa_inst_pref_size 0
		.amdhsa_round_robin_scheduling 0
		.amdhsa_exception_fp_ieee_invalid_op 0
		.amdhsa_exception_fp_denorm_src 0
		.amdhsa_exception_fp_ieee_div_zero 0
		.amdhsa_exception_fp_ieee_overflow 0
		.amdhsa_exception_fp_ieee_underflow 0
		.amdhsa_exception_fp_ieee_inexact 0
		.amdhsa_exception_int_div_zero 0
	.end_amdhsa_kernel
	.section	.text._ZN7rocprim17ROCPRIM_400000_NS6detail17trampoline_kernelINS0_13select_configILj256ELj13ELNS0_17block_load_methodE3ELS4_3ELS4_3ELNS0_20block_scan_algorithmE0ELj4294967295EEENS1_25partition_config_selectorILNS1_17partition_subalgoE3EjNS0_10empty_typeEbEEZZNS1_14partition_implILS8_3ELb0ES6_jNS0_17counting_iteratorIjlEEPS9_SE_NS0_5tupleIJPjSE_EEENSF_IJSE_SE_EEES9_SG_JZNS1_25segmented_radix_sort_implINS0_14default_configELb0EPKdPdPKlPlN2at6native12_GLOBAL__N_18offset_tEEE10hipError_tPvRmT1_PNSt15iterator_traitsISY_E10value_typeET2_T3_PNSZ_IS14_E10value_typeET4_jRbjT5_S1A_jjP12ihipStream_tbEUljE_EEESV_SW_SX_S14_S18_S1A_T6_T7_T9_mT8_S1C_bDpT10_ENKUlT_T0_E_clISt17integral_constantIbLb0EES1O_IbLb1EEEEDaS1K_S1L_EUlS1K_E_NS1_11comp_targetILNS1_3genE9ELNS1_11target_archE1100ELNS1_3gpuE3ELNS1_3repE0EEENS1_30default_config_static_selectorELNS0_4arch9wavefront6targetE0EEEvSY_,"axG",@progbits,_ZN7rocprim17ROCPRIM_400000_NS6detail17trampoline_kernelINS0_13select_configILj256ELj13ELNS0_17block_load_methodE3ELS4_3ELS4_3ELNS0_20block_scan_algorithmE0ELj4294967295EEENS1_25partition_config_selectorILNS1_17partition_subalgoE3EjNS0_10empty_typeEbEEZZNS1_14partition_implILS8_3ELb0ES6_jNS0_17counting_iteratorIjlEEPS9_SE_NS0_5tupleIJPjSE_EEENSF_IJSE_SE_EEES9_SG_JZNS1_25segmented_radix_sort_implINS0_14default_configELb0EPKdPdPKlPlN2at6native12_GLOBAL__N_18offset_tEEE10hipError_tPvRmT1_PNSt15iterator_traitsISY_E10value_typeET2_T3_PNSZ_IS14_E10value_typeET4_jRbjT5_S1A_jjP12ihipStream_tbEUljE_EEESV_SW_SX_S14_S18_S1A_T6_T7_T9_mT8_S1C_bDpT10_ENKUlT_T0_E_clISt17integral_constantIbLb0EES1O_IbLb1EEEEDaS1K_S1L_EUlS1K_E_NS1_11comp_targetILNS1_3genE9ELNS1_11target_archE1100ELNS1_3gpuE3ELNS1_3repE0EEENS1_30default_config_static_selectorELNS0_4arch9wavefront6targetE0EEEvSY_,comdat
.Lfunc_end1219:
	.size	_ZN7rocprim17ROCPRIM_400000_NS6detail17trampoline_kernelINS0_13select_configILj256ELj13ELNS0_17block_load_methodE3ELS4_3ELS4_3ELNS0_20block_scan_algorithmE0ELj4294967295EEENS1_25partition_config_selectorILNS1_17partition_subalgoE3EjNS0_10empty_typeEbEEZZNS1_14partition_implILS8_3ELb0ES6_jNS0_17counting_iteratorIjlEEPS9_SE_NS0_5tupleIJPjSE_EEENSF_IJSE_SE_EEES9_SG_JZNS1_25segmented_radix_sort_implINS0_14default_configELb0EPKdPdPKlPlN2at6native12_GLOBAL__N_18offset_tEEE10hipError_tPvRmT1_PNSt15iterator_traitsISY_E10value_typeET2_T3_PNSZ_IS14_E10value_typeET4_jRbjT5_S1A_jjP12ihipStream_tbEUljE_EEESV_SW_SX_S14_S18_S1A_T6_T7_T9_mT8_S1C_bDpT10_ENKUlT_T0_E_clISt17integral_constantIbLb0EES1O_IbLb1EEEEDaS1K_S1L_EUlS1K_E_NS1_11comp_targetILNS1_3genE9ELNS1_11target_archE1100ELNS1_3gpuE3ELNS1_3repE0EEENS1_30default_config_static_selectorELNS0_4arch9wavefront6targetE0EEEvSY_, .Lfunc_end1219-_ZN7rocprim17ROCPRIM_400000_NS6detail17trampoline_kernelINS0_13select_configILj256ELj13ELNS0_17block_load_methodE3ELS4_3ELS4_3ELNS0_20block_scan_algorithmE0ELj4294967295EEENS1_25partition_config_selectorILNS1_17partition_subalgoE3EjNS0_10empty_typeEbEEZZNS1_14partition_implILS8_3ELb0ES6_jNS0_17counting_iteratorIjlEEPS9_SE_NS0_5tupleIJPjSE_EEENSF_IJSE_SE_EEES9_SG_JZNS1_25segmented_radix_sort_implINS0_14default_configELb0EPKdPdPKlPlN2at6native12_GLOBAL__N_18offset_tEEE10hipError_tPvRmT1_PNSt15iterator_traitsISY_E10value_typeET2_T3_PNSZ_IS14_E10value_typeET4_jRbjT5_S1A_jjP12ihipStream_tbEUljE_EEESV_SW_SX_S14_S18_S1A_T6_T7_T9_mT8_S1C_bDpT10_ENKUlT_T0_E_clISt17integral_constantIbLb0EES1O_IbLb1EEEEDaS1K_S1L_EUlS1K_E_NS1_11comp_targetILNS1_3genE9ELNS1_11target_archE1100ELNS1_3gpuE3ELNS1_3repE0EEENS1_30default_config_static_selectorELNS0_4arch9wavefront6targetE0EEEvSY_
                                        ; -- End function
	.set _ZN7rocprim17ROCPRIM_400000_NS6detail17trampoline_kernelINS0_13select_configILj256ELj13ELNS0_17block_load_methodE3ELS4_3ELS4_3ELNS0_20block_scan_algorithmE0ELj4294967295EEENS1_25partition_config_selectorILNS1_17partition_subalgoE3EjNS0_10empty_typeEbEEZZNS1_14partition_implILS8_3ELb0ES6_jNS0_17counting_iteratorIjlEEPS9_SE_NS0_5tupleIJPjSE_EEENSF_IJSE_SE_EEES9_SG_JZNS1_25segmented_radix_sort_implINS0_14default_configELb0EPKdPdPKlPlN2at6native12_GLOBAL__N_18offset_tEEE10hipError_tPvRmT1_PNSt15iterator_traitsISY_E10value_typeET2_T3_PNSZ_IS14_E10value_typeET4_jRbjT5_S1A_jjP12ihipStream_tbEUljE_EEESV_SW_SX_S14_S18_S1A_T6_T7_T9_mT8_S1C_bDpT10_ENKUlT_T0_E_clISt17integral_constantIbLb0EES1O_IbLb1EEEEDaS1K_S1L_EUlS1K_E_NS1_11comp_targetILNS1_3genE9ELNS1_11target_archE1100ELNS1_3gpuE3ELNS1_3repE0EEENS1_30default_config_static_selectorELNS0_4arch9wavefront6targetE0EEEvSY_.num_vgpr, 0
	.set _ZN7rocprim17ROCPRIM_400000_NS6detail17trampoline_kernelINS0_13select_configILj256ELj13ELNS0_17block_load_methodE3ELS4_3ELS4_3ELNS0_20block_scan_algorithmE0ELj4294967295EEENS1_25partition_config_selectorILNS1_17partition_subalgoE3EjNS0_10empty_typeEbEEZZNS1_14partition_implILS8_3ELb0ES6_jNS0_17counting_iteratorIjlEEPS9_SE_NS0_5tupleIJPjSE_EEENSF_IJSE_SE_EEES9_SG_JZNS1_25segmented_radix_sort_implINS0_14default_configELb0EPKdPdPKlPlN2at6native12_GLOBAL__N_18offset_tEEE10hipError_tPvRmT1_PNSt15iterator_traitsISY_E10value_typeET2_T3_PNSZ_IS14_E10value_typeET4_jRbjT5_S1A_jjP12ihipStream_tbEUljE_EEESV_SW_SX_S14_S18_S1A_T6_T7_T9_mT8_S1C_bDpT10_ENKUlT_T0_E_clISt17integral_constantIbLb0EES1O_IbLb1EEEEDaS1K_S1L_EUlS1K_E_NS1_11comp_targetILNS1_3genE9ELNS1_11target_archE1100ELNS1_3gpuE3ELNS1_3repE0EEENS1_30default_config_static_selectorELNS0_4arch9wavefront6targetE0EEEvSY_.num_agpr, 0
	.set _ZN7rocprim17ROCPRIM_400000_NS6detail17trampoline_kernelINS0_13select_configILj256ELj13ELNS0_17block_load_methodE3ELS4_3ELS4_3ELNS0_20block_scan_algorithmE0ELj4294967295EEENS1_25partition_config_selectorILNS1_17partition_subalgoE3EjNS0_10empty_typeEbEEZZNS1_14partition_implILS8_3ELb0ES6_jNS0_17counting_iteratorIjlEEPS9_SE_NS0_5tupleIJPjSE_EEENSF_IJSE_SE_EEES9_SG_JZNS1_25segmented_radix_sort_implINS0_14default_configELb0EPKdPdPKlPlN2at6native12_GLOBAL__N_18offset_tEEE10hipError_tPvRmT1_PNSt15iterator_traitsISY_E10value_typeET2_T3_PNSZ_IS14_E10value_typeET4_jRbjT5_S1A_jjP12ihipStream_tbEUljE_EEESV_SW_SX_S14_S18_S1A_T6_T7_T9_mT8_S1C_bDpT10_ENKUlT_T0_E_clISt17integral_constantIbLb0EES1O_IbLb1EEEEDaS1K_S1L_EUlS1K_E_NS1_11comp_targetILNS1_3genE9ELNS1_11target_archE1100ELNS1_3gpuE3ELNS1_3repE0EEENS1_30default_config_static_selectorELNS0_4arch9wavefront6targetE0EEEvSY_.numbered_sgpr, 0
	.set _ZN7rocprim17ROCPRIM_400000_NS6detail17trampoline_kernelINS0_13select_configILj256ELj13ELNS0_17block_load_methodE3ELS4_3ELS4_3ELNS0_20block_scan_algorithmE0ELj4294967295EEENS1_25partition_config_selectorILNS1_17partition_subalgoE3EjNS0_10empty_typeEbEEZZNS1_14partition_implILS8_3ELb0ES6_jNS0_17counting_iteratorIjlEEPS9_SE_NS0_5tupleIJPjSE_EEENSF_IJSE_SE_EEES9_SG_JZNS1_25segmented_radix_sort_implINS0_14default_configELb0EPKdPdPKlPlN2at6native12_GLOBAL__N_18offset_tEEE10hipError_tPvRmT1_PNSt15iterator_traitsISY_E10value_typeET2_T3_PNSZ_IS14_E10value_typeET4_jRbjT5_S1A_jjP12ihipStream_tbEUljE_EEESV_SW_SX_S14_S18_S1A_T6_T7_T9_mT8_S1C_bDpT10_ENKUlT_T0_E_clISt17integral_constantIbLb0EES1O_IbLb1EEEEDaS1K_S1L_EUlS1K_E_NS1_11comp_targetILNS1_3genE9ELNS1_11target_archE1100ELNS1_3gpuE3ELNS1_3repE0EEENS1_30default_config_static_selectorELNS0_4arch9wavefront6targetE0EEEvSY_.num_named_barrier, 0
	.set _ZN7rocprim17ROCPRIM_400000_NS6detail17trampoline_kernelINS0_13select_configILj256ELj13ELNS0_17block_load_methodE3ELS4_3ELS4_3ELNS0_20block_scan_algorithmE0ELj4294967295EEENS1_25partition_config_selectorILNS1_17partition_subalgoE3EjNS0_10empty_typeEbEEZZNS1_14partition_implILS8_3ELb0ES6_jNS0_17counting_iteratorIjlEEPS9_SE_NS0_5tupleIJPjSE_EEENSF_IJSE_SE_EEES9_SG_JZNS1_25segmented_radix_sort_implINS0_14default_configELb0EPKdPdPKlPlN2at6native12_GLOBAL__N_18offset_tEEE10hipError_tPvRmT1_PNSt15iterator_traitsISY_E10value_typeET2_T3_PNSZ_IS14_E10value_typeET4_jRbjT5_S1A_jjP12ihipStream_tbEUljE_EEESV_SW_SX_S14_S18_S1A_T6_T7_T9_mT8_S1C_bDpT10_ENKUlT_T0_E_clISt17integral_constantIbLb0EES1O_IbLb1EEEEDaS1K_S1L_EUlS1K_E_NS1_11comp_targetILNS1_3genE9ELNS1_11target_archE1100ELNS1_3gpuE3ELNS1_3repE0EEENS1_30default_config_static_selectorELNS0_4arch9wavefront6targetE0EEEvSY_.private_seg_size, 0
	.set _ZN7rocprim17ROCPRIM_400000_NS6detail17trampoline_kernelINS0_13select_configILj256ELj13ELNS0_17block_load_methodE3ELS4_3ELS4_3ELNS0_20block_scan_algorithmE0ELj4294967295EEENS1_25partition_config_selectorILNS1_17partition_subalgoE3EjNS0_10empty_typeEbEEZZNS1_14partition_implILS8_3ELb0ES6_jNS0_17counting_iteratorIjlEEPS9_SE_NS0_5tupleIJPjSE_EEENSF_IJSE_SE_EEES9_SG_JZNS1_25segmented_radix_sort_implINS0_14default_configELb0EPKdPdPKlPlN2at6native12_GLOBAL__N_18offset_tEEE10hipError_tPvRmT1_PNSt15iterator_traitsISY_E10value_typeET2_T3_PNSZ_IS14_E10value_typeET4_jRbjT5_S1A_jjP12ihipStream_tbEUljE_EEESV_SW_SX_S14_S18_S1A_T6_T7_T9_mT8_S1C_bDpT10_ENKUlT_T0_E_clISt17integral_constantIbLb0EES1O_IbLb1EEEEDaS1K_S1L_EUlS1K_E_NS1_11comp_targetILNS1_3genE9ELNS1_11target_archE1100ELNS1_3gpuE3ELNS1_3repE0EEENS1_30default_config_static_selectorELNS0_4arch9wavefront6targetE0EEEvSY_.uses_vcc, 0
	.set _ZN7rocprim17ROCPRIM_400000_NS6detail17trampoline_kernelINS0_13select_configILj256ELj13ELNS0_17block_load_methodE3ELS4_3ELS4_3ELNS0_20block_scan_algorithmE0ELj4294967295EEENS1_25partition_config_selectorILNS1_17partition_subalgoE3EjNS0_10empty_typeEbEEZZNS1_14partition_implILS8_3ELb0ES6_jNS0_17counting_iteratorIjlEEPS9_SE_NS0_5tupleIJPjSE_EEENSF_IJSE_SE_EEES9_SG_JZNS1_25segmented_radix_sort_implINS0_14default_configELb0EPKdPdPKlPlN2at6native12_GLOBAL__N_18offset_tEEE10hipError_tPvRmT1_PNSt15iterator_traitsISY_E10value_typeET2_T3_PNSZ_IS14_E10value_typeET4_jRbjT5_S1A_jjP12ihipStream_tbEUljE_EEESV_SW_SX_S14_S18_S1A_T6_T7_T9_mT8_S1C_bDpT10_ENKUlT_T0_E_clISt17integral_constantIbLb0EES1O_IbLb1EEEEDaS1K_S1L_EUlS1K_E_NS1_11comp_targetILNS1_3genE9ELNS1_11target_archE1100ELNS1_3gpuE3ELNS1_3repE0EEENS1_30default_config_static_selectorELNS0_4arch9wavefront6targetE0EEEvSY_.uses_flat_scratch, 0
	.set _ZN7rocprim17ROCPRIM_400000_NS6detail17trampoline_kernelINS0_13select_configILj256ELj13ELNS0_17block_load_methodE3ELS4_3ELS4_3ELNS0_20block_scan_algorithmE0ELj4294967295EEENS1_25partition_config_selectorILNS1_17partition_subalgoE3EjNS0_10empty_typeEbEEZZNS1_14partition_implILS8_3ELb0ES6_jNS0_17counting_iteratorIjlEEPS9_SE_NS0_5tupleIJPjSE_EEENSF_IJSE_SE_EEES9_SG_JZNS1_25segmented_radix_sort_implINS0_14default_configELb0EPKdPdPKlPlN2at6native12_GLOBAL__N_18offset_tEEE10hipError_tPvRmT1_PNSt15iterator_traitsISY_E10value_typeET2_T3_PNSZ_IS14_E10value_typeET4_jRbjT5_S1A_jjP12ihipStream_tbEUljE_EEESV_SW_SX_S14_S18_S1A_T6_T7_T9_mT8_S1C_bDpT10_ENKUlT_T0_E_clISt17integral_constantIbLb0EES1O_IbLb1EEEEDaS1K_S1L_EUlS1K_E_NS1_11comp_targetILNS1_3genE9ELNS1_11target_archE1100ELNS1_3gpuE3ELNS1_3repE0EEENS1_30default_config_static_selectorELNS0_4arch9wavefront6targetE0EEEvSY_.has_dyn_sized_stack, 0
	.set _ZN7rocprim17ROCPRIM_400000_NS6detail17trampoline_kernelINS0_13select_configILj256ELj13ELNS0_17block_load_methodE3ELS4_3ELS4_3ELNS0_20block_scan_algorithmE0ELj4294967295EEENS1_25partition_config_selectorILNS1_17partition_subalgoE3EjNS0_10empty_typeEbEEZZNS1_14partition_implILS8_3ELb0ES6_jNS0_17counting_iteratorIjlEEPS9_SE_NS0_5tupleIJPjSE_EEENSF_IJSE_SE_EEES9_SG_JZNS1_25segmented_radix_sort_implINS0_14default_configELb0EPKdPdPKlPlN2at6native12_GLOBAL__N_18offset_tEEE10hipError_tPvRmT1_PNSt15iterator_traitsISY_E10value_typeET2_T3_PNSZ_IS14_E10value_typeET4_jRbjT5_S1A_jjP12ihipStream_tbEUljE_EEESV_SW_SX_S14_S18_S1A_T6_T7_T9_mT8_S1C_bDpT10_ENKUlT_T0_E_clISt17integral_constantIbLb0EES1O_IbLb1EEEEDaS1K_S1L_EUlS1K_E_NS1_11comp_targetILNS1_3genE9ELNS1_11target_archE1100ELNS1_3gpuE3ELNS1_3repE0EEENS1_30default_config_static_selectorELNS0_4arch9wavefront6targetE0EEEvSY_.has_recursion, 0
	.set _ZN7rocprim17ROCPRIM_400000_NS6detail17trampoline_kernelINS0_13select_configILj256ELj13ELNS0_17block_load_methodE3ELS4_3ELS4_3ELNS0_20block_scan_algorithmE0ELj4294967295EEENS1_25partition_config_selectorILNS1_17partition_subalgoE3EjNS0_10empty_typeEbEEZZNS1_14partition_implILS8_3ELb0ES6_jNS0_17counting_iteratorIjlEEPS9_SE_NS0_5tupleIJPjSE_EEENSF_IJSE_SE_EEES9_SG_JZNS1_25segmented_radix_sort_implINS0_14default_configELb0EPKdPdPKlPlN2at6native12_GLOBAL__N_18offset_tEEE10hipError_tPvRmT1_PNSt15iterator_traitsISY_E10value_typeET2_T3_PNSZ_IS14_E10value_typeET4_jRbjT5_S1A_jjP12ihipStream_tbEUljE_EEESV_SW_SX_S14_S18_S1A_T6_T7_T9_mT8_S1C_bDpT10_ENKUlT_T0_E_clISt17integral_constantIbLb0EES1O_IbLb1EEEEDaS1K_S1L_EUlS1K_E_NS1_11comp_targetILNS1_3genE9ELNS1_11target_archE1100ELNS1_3gpuE3ELNS1_3repE0EEENS1_30default_config_static_selectorELNS0_4arch9wavefront6targetE0EEEvSY_.has_indirect_call, 0
	.section	.AMDGPU.csdata,"",@progbits
; Kernel info:
; codeLenInByte = 0
; TotalNumSgprs: 0
; NumVgprs: 0
; ScratchSize: 0
; MemoryBound: 0
; FloatMode: 240
; IeeeMode: 1
; LDSByteSize: 0 bytes/workgroup (compile time only)
; SGPRBlocks: 0
; VGPRBlocks: 0
; NumSGPRsForWavesPerEU: 1
; NumVGPRsForWavesPerEU: 1
; Occupancy: 16
; WaveLimiterHint : 0
; COMPUTE_PGM_RSRC2:SCRATCH_EN: 0
; COMPUTE_PGM_RSRC2:USER_SGPR: 2
; COMPUTE_PGM_RSRC2:TRAP_HANDLER: 0
; COMPUTE_PGM_RSRC2:TGID_X_EN: 1
; COMPUTE_PGM_RSRC2:TGID_Y_EN: 0
; COMPUTE_PGM_RSRC2:TGID_Z_EN: 0
; COMPUTE_PGM_RSRC2:TIDIG_COMP_CNT: 0
	.section	.text._ZN7rocprim17ROCPRIM_400000_NS6detail17trampoline_kernelINS0_13select_configILj256ELj13ELNS0_17block_load_methodE3ELS4_3ELS4_3ELNS0_20block_scan_algorithmE0ELj4294967295EEENS1_25partition_config_selectorILNS1_17partition_subalgoE3EjNS0_10empty_typeEbEEZZNS1_14partition_implILS8_3ELb0ES6_jNS0_17counting_iteratorIjlEEPS9_SE_NS0_5tupleIJPjSE_EEENSF_IJSE_SE_EEES9_SG_JZNS1_25segmented_radix_sort_implINS0_14default_configELb0EPKdPdPKlPlN2at6native12_GLOBAL__N_18offset_tEEE10hipError_tPvRmT1_PNSt15iterator_traitsISY_E10value_typeET2_T3_PNSZ_IS14_E10value_typeET4_jRbjT5_S1A_jjP12ihipStream_tbEUljE_EEESV_SW_SX_S14_S18_S1A_T6_T7_T9_mT8_S1C_bDpT10_ENKUlT_T0_E_clISt17integral_constantIbLb0EES1O_IbLb1EEEEDaS1K_S1L_EUlS1K_E_NS1_11comp_targetILNS1_3genE8ELNS1_11target_archE1030ELNS1_3gpuE2ELNS1_3repE0EEENS1_30default_config_static_selectorELNS0_4arch9wavefront6targetE0EEEvSY_,"axG",@progbits,_ZN7rocprim17ROCPRIM_400000_NS6detail17trampoline_kernelINS0_13select_configILj256ELj13ELNS0_17block_load_methodE3ELS4_3ELS4_3ELNS0_20block_scan_algorithmE0ELj4294967295EEENS1_25partition_config_selectorILNS1_17partition_subalgoE3EjNS0_10empty_typeEbEEZZNS1_14partition_implILS8_3ELb0ES6_jNS0_17counting_iteratorIjlEEPS9_SE_NS0_5tupleIJPjSE_EEENSF_IJSE_SE_EEES9_SG_JZNS1_25segmented_radix_sort_implINS0_14default_configELb0EPKdPdPKlPlN2at6native12_GLOBAL__N_18offset_tEEE10hipError_tPvRmT1_PNSt15iterator_traitsISY_E10value_typeET2_T3_PNSZ_IS14_E10value_typeET4_jRbjT5_S1A_jjP12ihipStream_tbEUljE_EEESV_SW_SX_S14_S18_S1A_T6_T7_T9_mT8_S1C_bDpT10_ENKUlT_T0_E_clISt17integral_constantIbLb0EES1O_IbLb1EEEEDaS1K_S1L_EUlS1K_E_NS1_11comp_targetILNS1_3genE8ELNS1_11target_archE1030ELNS1_3gpuE2ELNS1_3repE0EEENS1_30default_config_static_selectorELNS0_4arch9wavefront6targetE0EEEvSY_,comdat
	.globl	_ZN7rocprim17ROCPRIM_400000_NS6detail17trampoline_kernelINS0_13select_configILj256ELj13ELNS0_17block_load_methodE3ELS4_3ELS4_3ELNS0_20block_scan_algorithmE0ELj4294967295EEENS1_25partition_config_selectorILNS1_17partition_subalgoE3EjNS0_10empty_typeEbEEZZNS1_14partition_implILS8_3ELb0ES6_jNS0_17counting_iteratorIjlEEPS9_SE_NS0_5tupleIJPjSE_EEENSF_IJSE_SE_EEES9_SG_JZNS1_25segmented_radix_sort_implINS0_14default_configELb0EPKdPdPKlPlN2at6native12_GLOBAL__N_18offset_tEEE10hipError_tPvRmT1_PNSt15iterator_traitsISY_E10value_typeET2_T3_PNSZ_IS14_E10value_typeET4_jRbjT5_S1A_jjP12ihipStream_tbEUljE_EEESV_SW_SX_S14_S18_S1A_T6_T7_T9_mT8_S1C_bDpT10_ENKUlT_T0_E_clISt17integral_constantIbLb0EES1O_IbLb1EEEEDaS1K_S1L_EUlS1K_E_NS1_11comp_targetILNS1_3genE8ELNS1_11target_archE1030ELNS1_3gpuE2ELNS1_3repE0EEENS1_30default_config_static_selectorELNS0_4arch9wavefront6targetE0EEEvSY_ ; -- Begin function _ZN7rocprim17ROCPRIM_400000_NS6detail17trampoline_kernelINS0_13select_configILj256ELj13ELNS0_17block_load_methodE3ELS4_3ELS4_3ELNS0_20block_scan_algorithmE0ELj4294967295EEENS1_25partition_config_selectorILNS1_17partition_subalgoE3EjNS0_10empty_typeEbEEZZNS1_14partition_implILS8_3ELb0ES6_jNS0_17counting_iteratorIjlEEPS9_SE_NS0_5tupleIJPjSE_EEENSF_IJSE_SE_EEES9_SG_JZNS1_25segmented_radix_sort_implINS0_14default_configELb0EPKdPdPKlPlN2at6native12_GLOBAL__N_18offset_tEEE10hipError_tPvRmT1_PNSt15iterator_traitsISY_E10value_typeET2_T3_PNSZ_IS14_E10value_typeET4_jRbjT5_S1A_jjP12ihipStream_tbEUljE_EEESV_SW_SX_S14_S18_S1A_T6_T7_T9_mT8_S1C_bDpT10_ENKUlT_T0_E_clISt17integral_constantIbLb0EES1O_IbLb1EEEEDaS1K_S1L_EUlS1K_E_NS1_11comp_targetILNS1_3genE8ELNS1_11target_archE1030ELNS1_3gpuE2ELNS1_3repE0EEENS1_30default_config_static_selectorELNS0_4arch9wavefront6targetE0EEEvSY_
	.p2align	8
	.type	_ZN7rocprim17ROCPRIM_400000_NS6detail17trampoline_kernelINS0_13select_configILj256ELj13ELNS0_17block_load_methodE3ELS4_3ELS4_3ELNS0_20block_scan_algorithmE0ELj4294967295EEENS1_25partition_config_selectorILNS1_17partition_subalgoE3EjNS0_10empty_typeEbEEZZNS1_14partition_implILS8_3ELb0ES6_jNS0_17counting_iteratorIjlEEPS9_SE_NS0_5tupleIJPjSE_EEENSF_IJSE_SE_EEES9_SG_JZNS1_25segmented_radix_sort_implINS0_14default_configELb0EPKdPdPKlPlN2at6native12_GLOBAL__N_18offset_tEEE10hipError_tPvRmT1_PNSt15iterator_traitsISY_E10value_typeET2_T3_PNSZ_IS14_E10value_typeET4_jRbjT5_S1A_jjP12ihipStream_tbEUljE_EEESV_SW_SX_S14_S18_S1A_T6_T7_T9_mT8_S1C_bDpT10_ENKUlT_T0_E_clISt17integral_constantIbLb0EES1O_IbLb1EEEEDaS1K_S1L_EUlS1K_E_NS1_11comp_targetILNS1_3genE8ELNS1_11target_archE1030ELNS1_3gpuE2ELNS1_3repE0EEENS1_30default_config_static_selectorELNS0_4arch9wavefront6targetE0EEEvSY_,@function
_ZN7rocprim17ROCPRIM_400000_NS6detail17trampoline_kernelINS0_13select_configILj256ELj13ELNS0_17block_load_methodE3ELS4_3ELS4_3ELNS0_20block_scan_algorithmE0ELj4294967295EEENS1_25partition_config_selectorILNS1_17partition_subalgoE3EjNS0_10empty_typeEbEEZZNS1_14partition_implILS8_3ELb0ES6_jNS0_17counting_iteratorIjlEEPS9_SE_NS0_5tupleIJPjSE_EEENSF_IJSE_SE_EEES9_SG_JZNS1_25segmented_radix_sort_implINS0_14default_configELb0EPKdPdPKlPlN2at6native12_GLOBAL__N_18offset_tEEE10hipError_tPvRmT1_PNSt15iterator_traitsISY_E10value_typeET2_T3_PNSZ_IS14_E10value_typeET4_jRbjT5_S1A_jjP12ihipStream_tbEUljE_EEESV_SW_SX_S14_S18_S1A_T6_T7_T9_mT8_S1C_bDpT10_ENKUlT_T0_E_clISt17integral_constantIbLb0EES1O_IbLb1EEEEDaS1K_S1L_EUlS1K_E_NS1_11comp_targetILNS1_3genE8ELNS1_11target_archE1030ELNS1_3gpuE2ELNS1_3repE0EEENS1_30default_config_static_selectorELNS0_4arch9wavefront6targetE0EEEvSY_: ; @_ZN7rocprim17ROCPRIM_400000_NS6detail17trampoline_kernelINS0_13select_configILj256ELj13ELNS0_17block_load_methodE3ELS4_3ELS4_3ELNS0_20block_scan_algorithmE0ELj4294967295EEENS1_25partition_config_selectorILNS1_17partition_subalgoE3EjNS0_10empty_typeEbEEZZNS1_14partition_implILS8_3ELb0ES6_jNS0_17counting_iteratorIjlEEPS9_SE_NS0_5tupleIJPjSE_EEENSF_IJSE_SE_EEES9_SG_JZNS1_25segmented_radix_sort_implINS0_14default_configELb0EPKdPdPKlPlN2at6native12_GLOBAL__N_18offset_tEEE10hipError_tPvRmT1_PNSt15iterator_traitsISY_E10value_typeET2_T3_PNSZ_IS14_E10value_typeET4_jRbjT5_S1A_jjP12ihipStream_tbEUljE_EEESV_SW_SX_S14_S18_S1A_T6_T7_T9_mT8_S1C_bDpT10_ENKUlT_T0_E_clISt17integral_constantIbLb0EES1O_IbLb1EEEEDaS1K_S1L_EUlS1K_E_NS1_11comp_targetILNS1_3genE8ELNS1_11target_archE1030ELNS1_3gpuE2ELNS1_3repE0EEENS1_30default_config_static_selectorELNS0_4arch9wavefront6targetE0EEEvSY_
; %bb.0:
	.section	.rodata,"a",@progbits
	.p2align	6, 0x0
	.amdhsa_kernel _ZN7rocprim17ROCPRIM_400000_NS6detail17trampoline_kernelINS0_13select_configILj256ELj13ELNS0_17block_load_methodE3ELS4_3ELS4_3ELNS0_20block_scan_algorithmE0ELj4294967295EEENS1_25partition_config_selectorILNS1_17partition_subalgoE3EjNS0_10empty_typeEbEEZZNS1_14partition_implILS8_3ELb0ES6_jNS0_17counting_iteratorIjlEEPS9_SE_NS0_5tupleIJPjSE_EEENSF_IJSE_SE_EEES9_SG_JZNS1_25segmented_radix_sort_implINS0_14default_configELb0EPKdPdPKlPlN2at6native12_GLOBAL__N_18offset_tEEE10hipError_tPvRmT1_PNSt15iterator_traitsISY_E10value_typeET2_T3_PNSZ_IS14_E10value_typeET4_jRbjT5_S1A_jjP12ihipStream_tbEUljE_EEESV_SW_SX_S14_S18_S1A_T6_T7_T9_mT8_S1C_bDpT10_ENKUlT_T0_E_clISt17integral_constantIbLb0EES1O_IbLb1EEEEDaS1K_S1L_EUlS1K_E_NS1_11comp_targetILNS1_3genE8ELNS1_11target_archE1030ELNS1_3gpuE2ELNS1_3repE0EEENS1_30default_config_static_selectorELNS0_4arch9wavefront6targetE0EEEvSY_
		.amdhsa_group_segment_fixed_size 0
		.amdhsa_private_segment_fixed_size 0
		.amdhsa_kernarg_size 152
		.amdhsa_user_sgpr_count 2
		.amdhsa_user_sgpr_dispatch_ptr 0
		.amdhsa_user_sgpr_queue_ptr 0
		.amdhsa_user_sgpr_kernarg_segment_ptr 1
		.amdhsa_user_sgpr_dispatch_id 0
		.amdhsa_user_sgpr_private_segment_size 0
		.amdhsa_wavefront_size32 1
		.amdhsa_uses_dynamic_stack 0
		.amdhsa_enable_private_segment 0
		.amdhsa_system_sgpr_workgroup_id_x 1
		.amdhsa_system_sgpr_workgroup_id_y 0
		.amdhsa_system_sgpr_workgroup_id_z 0
		.amdhsa_system_sgpr_workgroup_info 0
		.amdhsa_system_vgpr_workitem_id 0
		.amdhsa_next_free_vgpr 1
		.amdhsa_next_free_sgpr 1
		.amdhsa_reserve_vcc 0
		.amdhsa_float_round_mode_32 0
		.amdhsa_float_round_mode_16_64 0
		.amdhsa_float_denorm_mode_32 3
		.amdhsa_float_denorm_mode_16_64 3
		.amdhsa_fp16_overflow 0
		.amdhsa_workgroup_processor_mode 1
		.amdhsa_memory_ordered 1
		.amdhsa_forward_progress 1
		.amdhsa_inst_pref_size 0
		.amdhsa_round_robin_scheduling 0
		.amdhsa_exception_fp_ieee_invalid_op 0
		.amdhsa_exception_fp_denorm_src 0
		.amdhsa_exception_fp_ieee_div_zero 0
		.amdhsa_exception_fp_ieee_overflow 0
		.amdhsa_exception_fp_ieee_underflow 0
		.amdhsa_exception_fp_ieee_inexact 0
		.amdhsa_exception_int_div_zero 0
	.end_amdhsa_kernel
	.section	.text._ZN7rocprim17ROCPRIM_400000_NS6detail17trampoline_kernelINS0_13select_configILj256ELj13ELNS0_17block_load_methodE3ELS4_3ELS4_3ELNS0_20block_scan_algorithmE0ELj4294967295EEENS1_25partition_config_selectorILNS1_17partition_subalgoE3EjNS0_10empty_typeEbEEZZNS1_14partition_implILS8_3ELb0ES6_jNS0_17counting_iteratorIjlEEPS9_SE_NS0_5tupleIJPjSE_EEENSF_IJSE_SE_EEES9_SG_JZNS1_25segmented_radix_sort_implINS0_14default_configELb0EPKdPdPKlPlN2at6native12_GLOBAL__N_18offset_tEEE10hipError_tPvRmT1_PNSt15iterator_traitsISY_E10value_typeET2_T3_PNSZ_IS14_E10value_typeET4_jRbjT5_S1A_jjP12ihipStream_tbEUljE_EEESV_SW_SX_S14_S18_S1A_T6_T7_T9_mT8_S1C_bDpT10_ENKUlT_T0_E_clISt17integral_constantIbLb0EES1O_IbLb1EEEEDaS1K_S1L_EUlS1K_E_NS1_11comp_targetILNS1_3genE8ELNS1_11target_archE1030ELNS1_3gpuE2ELNS1_3repE0EEENS1_30default_config_static_selectorELNS0_4arch9wavefront6targetE0EEEvSY_,"axG",@progbits,_ZN7rocprim17ROCPRIM_400000_NS6detail17trampoline_kernelINS0_13select_configILj256ELj13ELNS0_17block_load_methodE3ELS4_3ELS4_3ELNS0_20block_scan_algorithmE0ELj4294967295EEENS1_25partition_config_selectorILNS1_17partition_subalgoE3EjNS0_10empty_typeEbEEZZNS1_14partition_implILS8_3ELb0ES6_jNS0_17counting_iteratorIjlEEPS9_SE_NS0_5tupleIJPjSE_EEENSF_IJSE_SE_EEES9_SG_JZNS1_25segmented_radix_sort_implINS0_14default_configELb0EPKdPdPKlPlN2at6native12_GLOBAL__N_18offset_tEEE10hipError_tPvRmT1_PNSt15iterator_traitsISY_E10value_typeET2_T3_PNSZ_IS14_E10value_typeET4_jRbjT5_S1A_jjP12ihipStream_tbEUljE_EEESV_SW_SX_S14_S18_S1A_T6_T7_T9_mT8_S1C_bDpT10_ENKUlT_T0_E_clISt17integral_constantIbLb0EES1O_IbLb1EEEEDaS1K_S1L_EUlS1K_E_NS1_11comp_targetILNS1_3genE8ELNS1_11target_archE1030ELNS1_3gpuE2ELNS1_3repE0EEENS1_30default_config_static_selectorELNS0_4arch9wavefront6targetE0EEEvSY_,comdat
.Lfunc_end1220:
	.size	_ZN7rocprim17ROCPRIM_400000_NS6detail17trampoline_kernelINS0_13select_configILj256ELj13ELNS0_17block_load_methodE3ELS4_3ELS4_3ELNS0_20block_scan_algorithmE0ELj4294967295EEENS1_25partition_config_selectorILNS1_17partition_subalgoE3EjNS0_10empty_typeEbEEZZNS1_14partition_implILS8_3ELb0ES6_jNS0_17counting_iteratorIjlEEPS9_SE_NS0_5tupleIJPjSE_EEENSF_IJSE_SE_EEES9_SG_JZNS1_25segmented_radix_sort_implINS0_14default_configELb0EPKdPdPKlPlN2at6native12_GLOBAL__N_18offset_tEEE10hipError_tPvRmT1_PNSt15iterator_traitsISY_E10value_typeET2_T3_PNSZ_IS14_E10value_typeET4_jRbjT5_S1A_jjP12ihipStream_tbEUljE_EEESV_SW_SX_S14_S18_S1A_T6_T7_T9_mT8_S1C_bDpT10_ENKUlT_T0_E_clISt17integral_constantIbLb0EES1O_IbLb1EEEEDaS1K_S1L_EUlS1K_E_NS1_11comp_targetILNS1_3genE8ELNS1_11target_archE1030ELNS1_3gpuE2ELNS1_3repE0EEENS1_30default_config_static_selectorELNS0_4arch9wavefront6targetE0EEEvSY_, .Lfunc_end1220-_ZN7rocprim17ROCPRIM_400000_NS6detail17trampoline_kernelINS0_13select_configILj256ELj13ELNS0_17block_load_methodE3ELS4_3ELS4_3ELNS0_20block_scan_algorithmE0ELj4294967295EEENS1_25partition_config_selectorILNS1_17partition_subalgoE3EjNS0_10empty_typeEbEEZZNS1_14partition_implILS8_3ELb0ES6_jNS0_17counting_iteratorIjlEEPS9_SE_NS0_5tupleIJPjSE_EEENSF_IJSE_SE_EEES9_SG_JZNS1_25segmented_radix_sort_implINS0_14default_configELb0EPKdPdPKlPlN2at6native12_GLOBAL__N_18offset_tEEE10hipError_tPvRmT1_PNSt15iterator_traitsISY_E10value_typeET2_T3_PNSZ_IS14_E10value_typeET4_jRbjT5_S1A_jjP12ihipStream_tbEUljE_EEESV_SW_SX_S14_S18_S1A_T6_T7_T9_mT8_S1C_bDpT10_ENKUlT_T0_E_clISt17integral_constantIbLb0EES1O_IbLb1EEEEDaS1K_S1L_EUlS1K_E_NS1_11comp_targetILNS1_3genE8ELNS1_11target_archE1030ELNS1_3gpuE2ELNS1_3repE0EEENS1_30default_config_static_selectorELNS0_4arch9wavefront6targetE0EEEvSY_
                                        ; -- End function
	.set _ZN7rocprim17ROCPRIM_400000_NS6detail17trampoline_kernelINS0_13select_configILj256ELj13ELNS0_17block_load_methodE3ELS4_3ELS4_3ELNS0_20block_scan_algorithmE0ELj4294967295EEENS1_25partition_config_selectorILNS1_17partition_subalgoE3EjNS0_10empty_typeEbEEZZNS1_14partition_implILS8_3ELb0ES6_jNS0_17counting_iteratorIjlEEPS9_SE_NS0_5tupleIJPjSE_EEENSF_IJSE_SE_EEES9_SG_JZNS1_25segmented_radix_sort_implINS0_14default_configELb0EPKdPdPKlPlN2at6native12_GLOBAL__N_18offset_tEEE10hipError_tPvRmT1_PNSt15iterator_traitsISY_E10value_typeET2_T3_PNSZ_IS14_E10value_typeET4_jRbjT5_S1A_jjP12ihipStream_tbEUljE_EEESV_SW_SX_S14_S18_S1A_T6_T7_T9_mT8_S1C_bDpT10_ENKUlT_T0_E_clISt17integral_constantIbLb0EES1O_IbLb1EEEEDaS1K_S1L_EUlS1K_E_NS1_11comp_targetILNS1_3genE8ELNS1_11target_archE1030ELNS1_3gpuE2ELNS1_3repE0EEENS1_30default_config_static_selectorELNS0_4arch9wavefront6targetE0EEEvSY_.num_vgpr, 0
	.set _ZN7rocprim17ROCPRIM_400000_NS6detail17trampoline_kernelINS0_13select_configILj256ELj13ELNS0_17block_load_methodE3ELS4_3ELS4_3ELNS0_20block_scan_algorithmE0ELj4294967295EEENS1_25partition_config_selectorILNS1_17partition_subalgoE3EjNS0_10empty_typeEbEEZZNS1_14partition_implILS8_3ELb0ES6_jNS0_17counting_iteratorIjlEEPS9_SE_NS0_5tupleIJPjSE_EEENSF_IJSE_SE_EEES9_SG_JZNS1_25segmented_radix_sort_implINS0_14default_configELb0EPKdPdPKlPlN2at6native12_GLOBAL__N_18offset_tEEE10hipError_tPvRmT1_PNSt15iterator_traitsISY_E10value_typeET2_T3_PNSZ_IS14_E10value_typeET4_jRbjT5_S1A_jjP12ihipStream_tbEUljE_EEESV_SW_SX_S14_S18_S1A_T6_T7_T9_mT8_S1C_bDpT10_ENKUlT_T0_E_clISt17integral_constantIbLb0EES1O_IbLb1EEEEDaS1K_S1L_EUlS1K_E_NS1_11comp_targetILNS1_3genE8ELNS1_11target_archE1030ELNS1_3gpuE2ELNS1_3repE0EEENS1_30default_config_static_selectorELNS0_4arch9wavefront6targetE0EEEvSY_.num_agpr, 0
	.set _ZN7rocprim17ROCPRIM_400000_NS6detail17trampoline_kernelINS0_13select_configILj256ELj13ELNS0_17block_load_methodE3ELS4_3ELS4_3ELNS0_20block_scan_algorithmE0ELj4294967295EEENS1_25partition_config_selectorILNS1_17partition_subalgoE3EjNS0_10empty_typeEbEEZZNS1_14partition_implILS8_3ELb0ES6_jNS0_17counting_iteratorIjlEEPS9_SE_NS0_5tupleIJPjSE_EEENSF_IJSE_SE_EEES9_SG_JZNS1_25segmented_radix_sort_implINS0_14default_configELb0EPKdPdPKlPlN2at6native12_GLOBAL__N_18offset_tEEE10hipError_tPvRmT1_PNSt15iterator_traitsISY_E10value_typeET2_T3_PNSZ_IS14_E10value_typeET4_jRbjT5_S1A_jjP12ihipStream_tbEUljE_EEESV_SW_SX_S14_S18_S1A_T6_T7_T9_mT8_S1C_bDpT10_ENKUlT_T0_E_clISt17integral_constantIbLb0EES1O_IbLb1EEEEDaS1K_S1L_EUlS1K_E_NS1_11comp_targetILNS1_3genE8ELNS1_11target_archE1030ELNS1_3gpuE2ELNS1_3repE0EEENS1_30default_config_static_selectorELNS0_4arch9wavefront6targetE0EEEvSY_.numbered_sgpr, 0
	.set _ZN7rocprim17ROCPRIM_400000_NS6detail17trampoline_kernelINS0_13select_configILj256ELj13ELNS0_17block_load_methodE3ELS4_3ELS4_3ELNS0_20block_scan_algorithmE0ELj4294967295EEENS1_25partition_config_selectorILNS1_17partition_subalgoE3EjNS0_10empty_typeEbEEZZNS1_14partition_implILS8_3ELb0ES6_jNS0_17counting_iteratorIjlEEPS9_SE_NS0_5tupleIJPjSE_EEENSF_IJSE_SE_EEES9_SG_JZNS1_25segmented_radix_sort_implINS0_14default_configELb0EPKdPdPKlPlN2at6native12_GLOBAL__N_18offset_tEEE10hipError_tPvRmT1_PNSt15iterator_traitsISY_E10value_typeET2_T3_PNSZ_IS14_E10value_typeET4_jRbjT5_S1A_jjP12ihipStream_tbEUljE_EEESV_SW_SX_S14_S18_S1A_T6_T7_T9_mT8_S1C_bDpT10_ENKUlT_T0_E_clISt17integral_constantIbLb0EES1O_IbLb1EEEEDaS1K_S1L_EUlS1K_E_NS1_11comp_targetILNS1_3genE8ELNS1_11target_archE1030ELNS1_3gpuE2ELNS1_3repE0EEENS1_30default_config_static_selectorELNS0_4arch9wavefront6targetE0EEEvSY_.num_named_barrier, 0
	.set _ZN7rocprim17ROCPRIM_400000_NS6detail17trampoline_kernelINS0_13select_configILj256ELj13ELNS0_17block_load_methodE3ELS4_3ELS4_3ELNS0_20block_scan_algorithmE0ELj4294967295EEENS1_25partition_config_selectorILNS1_17partition_subalgoE3EjNS0_10empty_typeEbEEZZNS1_14partition_implILS8_3ELb0ES6_jNS0_17counting_iteratorIjlEEPS9_SE_NS0_5tupleIJPjSE_EEENSF_IJSE_SE_EEES9_SG_JZNS1_25segmented_radix_sort_implINS0_14default_configELb0EPKdPdPKlPlN2at6native12_GLOBAL__N_18offset_tEEE10hipError_tPvRmT1_PNSt15iterator_traitsISY_E10value_typeET2_T3_PNSZ_IS14_E10value_typeET4_jRbjT5_S1A_jjP12ihipStream_tbEUljE_EEESV_SW_SX_S14_S18_S1A_T6_T7_T9_mT8_S1C_bDpT10_ENKUlT_T0_E_clISt17integral_constantIbLb0EES1O_IbLb1EEEEDaS1K_S1L_EUlS1K_E_NS1_11comp_targetILNS1_3genE8ELNS1_11target_archE1030ELNS1_3gpuE2ELNS1_3repE0EEENS1_30default_config_static_selectorELNS0_4arch9wavefront6targetE0EEEvSY_.private_seg_size, 0
	.set _ZN7rocprim17ROCPRIM_400000_NS6detail17trampoline_kernelINS0_13select_configILj256ELj13ELNS0_17block_load_methodE3ELS4_3ELS4_3ELNS0_20block_scan_algorithmE0ELj4294967295EEENS1_25partition_config_selectorILNS1_17partition_subalgoE3EjNS0_10empty_typeEbEEZZNS1_14partition_implILS8_3ELb0ES6_jNS0_17counting_iteratorIjlEEPS9_SE_NS0_5tupleIJPjSE_EEENSF_IJSE_SE_EEES9_SG_JZNS1_25segmented_radix_sort_implINS0_14default_configELb0EPKdPdPKlPlN2at6native12_GLOBAL__N_18offset_tEEE10hipError_tPvRmT1_PNSt15iterator_traitsISY_E10value_typeET2_T3_PNSZ_IS14_E10value_typeET4_jRbjT5_S1A_jjP12ihipStream_tbEUljE_EEESV_SW_SX_S14_S18_S1A_T6_T7_T9_mT8_S1C_bDpT10_ENKUlT_T0_E_clISt17integral_constantIbLb0EES1O_IbLb1EEEEDaS1K_S1L_EUlS1K_E_NS1_11comp_targetILNS1_3genE8ELNS1_11target_archE1030ELNS1_3gpuE2ELNS1_3repE0EEENS1_30default_config_static_selectorELNS0_4arch9wavefront6targetE0EEEvSY_.uses_vcc, 0
	.set _ZN7rocprim17ROCPRIM_400000_NS6detail17trampoline_kernelINS0_13select_configILj256ELj13ELNS0_17block_load_methodE3ELS4_3ELS4_3ELNS0_20block_scan_algorithmE0ELj4294967295EEENS1_25partition_config_selectorILNS1_17partition_subalgoE3EjNS0_10empty_typeEbEEZZNS1_14partition_implILS8_3ELb0ES6_jNS0_17counting_iteratorIjlEEPS9_SE_NS0_5tupleIJPjSE_EEENSF_IJSE_SE_EEES9_SG_JZNS1_25segmented_radix_sort_implINS0_14default_configELb0EPKdPdPKlPlN2at6native12_GLOBAL__N_18offset_tEEE10hipError_tPvRmT1_PNSt15iterator_traitsISY_E10value_typeET2_T3_PNSZ_IS14_E10value_typeET4_jRbjT5_S1A_jjP12ihipStream_tbEUljE_EEESV_SW_SX_S14_S18_S1A_T6_T7_T9_mT8_S1C_bDpT10_ENKUlT_T0_E_clISt17integral_constantIbLb0EES1O_IbLb1EEEEDaS1K_S1L_EUlS1K_E_NS1_11comp_targetILNS1_3genE8ELNS1_11target_archE1030ELNS1_3gpuE2ELNS1_3repE0EEENS1_30default_config_static_selectorELNS0_4arch9wavefront6targetE0EEEvSY_.uses_flat_scratch, 0
	.set _ZN7rocprim17ROCPRIM_400000_NS6detail17trampoline_kernelINS0_13select_configILj256ELj13ELNS0_17block_load_methodE3ELS4_3ELS4_3ELNS0_20block_scan_algorithmE0ELj4294967295EEENS1_25partition_config_selectorILNS1_17partition_subalgoE3EjNS0_10empty_typeEbEEZZNS1_14partition_implILS8_3ELb0ES6_jNS0_17counting_iteratorIjlEEPS9_SE_NS0_5tupleIJPjSE_EEENSF_IJSE_SE_EEES9_SG_JZNS1_25segmented_radix_sort_implINS0_14default_configELb0EPKdPdPKlPlN2at6native12_GLOBAL__N_18offset_tEEE10hipError_tPvRmT1_PNSt15iterator_traitsISY_E10value_typeET2_T3_PNSZ_IS14_E10value_typeET4_jRbjT5_S1A_jjP12ihipStream_tbEUljE_EEESV_SW_SX_S14_S18_S1A_T6_T7_T9_mT8_S1C_bDpT10_ENKUlT_T0_E_clISt17integral_constantIbLb0EES1O_IbLb1EEEEDaS1K_S1L_EUlS1K_E_NS1_11comp_targetILNS1_3genE8ELNS1_11target_archE1030ELNS1_3gpuE2ELNS1_3repE0EEENS1_30default_config_static_selectorELNS0_4arch9wavefront6targetE0EEEvSY_.has_dyn_sized_stack, 0
	.set _ZN7rocprim17ROCPRIM_400000_NS6detail17trampoline_kernelINS0_13select_configILj256ELj13ELNS0_17block_load_methodE3ELS4_3ELS4_3ELNS0_20block_scan_algorithmE0ELj4294967295EEENS1_25partition_config_selectorILNS1_17partition_subalgoE3EjNS0_10empty_typeEbEEZZNS1_14partition_implILS8_3ELb0ES6_jNS0_17counting_iteratorIjlEEPS9_SE_NS0_5tupleIJPjSE_EEENSF_IJSE_SE_EEES9_SG_JZNS1_25segmented_radix_sort_implINS0_14default_configELb0EPKdPdPKlPlN2at6native12_GLOBAL__N_18offset_tEEE10hipError_tPvRmT1_PNSt15iterator_traitsISY_E10value_typeET2_T3_PNSZ_IS14_E10value_typeET4_jRbjT5_S1A_jjP12ihipStream_tbEUljE_EEESV_SW_SX_S14_S18_S1A_T6_T7_T9_mT8_S1C_bDpT10_ENKUlT_T0_E_clISt17integral_constantIbLb0EES1O_IbLb1EEEEDaS1K_S1L_EUlS1K_E_NS1_11comp_targetILNS1_3genE8ELNS1_11target_archE1030ELNS1_3gpuE2ELNS1_3repE0EEENS1_30default_config_static_selectorELNS0_4arch9wavefront6targetE0EEEvSY_.has_recursion, 0
	.set _ZN7rocprim17ROCPRIM_400000_NS6detail17trampoline_kernelINS0_13select_configILj256ELj13ELNS0_17block_load_methodE3ELS4_3ELS4_3ELNS0_20block_scan_algorithmE0ELj4294967295EEENS1_25partition_config_selectorILNS1_17partition_subalgoE3EjNS0_10empty_typeEbEEZZNS1_14partition_implILS8_3ELb0ES6_jNS0_17counting_iteratorIjlEEPS9_SE_NS0_5tupleIJPjSE_EEENSF_IJSE_SE_EEES9_SG_JZNS1_25segmented_radix_sort_implINS0_14default_configELb0EPKdPdPKlPlN2at6native12_GLOBAL__N_18offset_tEEE10hipError_tPvRmT1_PNSt15iterator_traitsISY_E10value_typeET2_T3_PNSZ_IS14_E10value_typeET4_jRbjT5_S1A_jjP12ihipStream_tbEUljE_EEESV_SW_SX_S14_S18_S1A_T6_T7_T9_mT8_S1C_bDpT10_ENKUlT_T0_E_clISt17integral_constantIbLb0EES1O_IbLb1EEEEDaS1K_S1L_EUlS1K_E_NS1_11comp_targetILNS1_3genE8ELNS1_11target_archE1030ELNS1_3gpuE2ELNS1_3repE0EEENS1_30default_config_static_selectorELNS0_4arch9wavefront6targetE0EEEvSY_.has_indirect_call, 0
	.section	.AMDGPU.csdata,"",@progbits
; Kernel info:
; codeLenInByte = 0
; TotalNumSgprs: 0
; NumVgprs: 0
; ScratchSize: 0
; MemoryBound: 0
; FloatMode: 240
; IeeeMode: 1
; LDSByteSize: 0 bytes/workgroup (compile time only)
; SGPRBlocks: 0
; VGPRBlocks: 0
; NumSGPRsForWavesPerEU: 1
; NumVGPRsForWavesPerEU: 1
; Occupancy: 16
; WaveLimiterHint : 0
; COMPUTE_PGM_RSRC2:SCRATCH_EN: 0
; COMPUTE_PGM_RSRC2:USER_SGPR: 2
; COMPUTE_PGM_RSRC2:TRAP_HANDLER: 0
; COMPUTE_PGM_RSRC2:TGID_X_EN: 1
; COMPUTE_PGM_RSRC2:TGID_Y_EN: 0
; COMPUTE_PGM_RSRC2:TGID_Z_EN: 0
; COMPUTE_PGM_RSRC2:TIDIG_COMP_CNT: 0
	.section	.text._ZN7rocprim17ROCPRIM_400000_NS6detail17trampoline_kernelINS0_14default_configENS1_36segmented_radix_sort_config_selectorIdlEEZNS1_25segmented_radix_sort_implIS3_Lb0EPKdPdPKlPlN2at6native12_GLOBAL__N_18offset_tEEE10hipError_tPvRmT1_PNSt15iterator_traitsISK_E10value_typeET2_T3_PNSL_ISQ_E10value_typeET4_jRbjT5_SW_jjP12ihipStream_tbEUlT_E_NS1_11comp_targetILNS1_3genE0ELNS1_11target_archE4294967295ELNS1_3gpuE0ELNS1_3repE0EEENS1_30default_config_static_selectorELNS0_4arch9wavefront6targetE0EEEvSK_,"axG",@progbits,_ZN7rocprim17ROCPRIM_400000_NS6detail17trampoline_kernelINS0_14default_configENS1_36segmented_radix_sort_config_selectorIdlEEZNS1_25segmented_radix_sort_implIS3_Lb0EPKdPdPKlPlN2at6native12_GLOBAL__N_18offset_tEEE10hipError_tPvRmT1_PNSt15iterator_traitsISK_E10value_typeET2_T3_PNSL_ISQ_E10value_typeET4_jRbjT5_SW_jjP12ihipStream_tbEUlT_E_NS1_11comp_targetILNS1_3genE0ELNS1_11target_archE4294967295ELNS1_3gpuE0ELNS1_3repE0EEENS1_30default_config_static_selectorELNS0_4arch9wavefront6targetE0EEEvSK_,comdat
	.globl	_ZN7rocprim17ROCPRIM_400000_NS6detail17trampoline_kernelINS0_14default_configENS1_36segmented_radix_sort_config_selectorIdlEEZNS1_25segmented_radix_sort_implIS3_Lb0EPKdPdPKlPlN2at6native12_GLOBAL__N_18offset_tEEE10hipError_tPvRmT1_PNSt15iterator_traitsISK_E10value_typeET2_T3_PNSL_ISQ_E10value_typeET4_jRbjT5_SW_jjP12ihipStream_tbEUlT_E_NS1_11comp_targetILNS1_3genE0ELNS1_11target_archE4294967295ELNS1_3gpuE0ELNS1_3repE0EEENS1_30default_config_static_selectorELNS0_4arch9wavefront6targetE0EEEvSK_ ; -- Begin function _ZN7rocprim17ROCPRIM_400000_NS6detail17trampoline_kernelINS0_14default_configENS1_36segmented_radix_sort_config_selectorIdlEEZNS1_25segmented_radix_sort_implIS3_Lb0EPKdPdPKlPlN2at6native12_GLOBAL__N_18offset_tEEE10hipError_tPvRmT1_PNSt15iterator_traitsISK_E10value_typeET2_T3_PNSL_ISQ_E10value_typeET4_jRbjT5_SW_jjP12ihipStream_tbEUlT_E_NS1_11comp_targetILNS1_3genE0ELNS1_11target_archE4294967295ELNS1_3gpuE0ELNS1_3repE0EEENS1_30default_config_static_selectorELNS0_4arch9wavefront6targetE0EEEvSK_
	.p2align	8
	.type	_ZN7rocprim17ROCPRIM_400000_NS6detail17trampoline_kernelINS0_14default_configENS1_36segmented_radix_sort_config_selectorIdlEEZNS1_25segmented_radix_sort_implIS3_Lb0EPKdPdPKlPlN2at6native12_GLOBAL__N_18offset_tEEE10hipError_tPvRmT1_PNSt15iterator_traitsISK_E10value_typeET2_T3_PNSL_ISQ_E10value_typeET4_jRbjT5_SW_jjP12ihipStream_tbEUlT_E_NS1_11comp_targetILNS1_3genE0ELNS1_11target_archE4294967295ELNS1_3gpuE0ELNS1_3repE0EEENS1_30default_config_static_selectorELNS0_4arch9wavefront6targetE0EEEvSK_,@function
_ZN7rocprim17ROCPRIM_400000_NS6detail17trampoline_kernelINS0_14default_configENS1_36segmented_radix_sort_config_selectorIdlEEZNS1_25segmented_radix_sort_implIS3_Lb0EPKdPdPKlPlN2at6native12_GLOBAL__N_18offset_tEEE10hipError_tPvRmT1_PNSt15iterator_traitsISK_E10value_typeET2_T3_PNSL_ISQ_E10value_typeET4_jRbjT5_SW_jjP12ihipStream_tbEUlT_E_NS1_11comp_targetILNS1_3genE0ELNS1_11target_archE4294967295ELNS1_3gpuE0ELNS1_3repE0EEENS1_30default_config_static_selectorELNS0_4arch9wavefront6targetE0EEEvSK_: ; @_ZN7rocprim17ROCPRIM_400000_NS6detail17trampoline_kernelINS0_14default_configENS1_36segmented_radix_sort_config_selectorIdlEEZNS1_25segmented_radix_sort_implIS3_Lb0EPKdPdPKlPlN2at6native12_GLOBAL__N_18offset_tEEE10hipError_tPvRmT1_PNSt15iterator_traitsISK_E10value_typeET2_T3_PNSL_ISQ_E10value_typeET4_jRbjT5_SW_jjP12ihipStream_tbEUlT_E_NS1_11comp_targetILNS1_3genE0ELNS1_11target_archE4294967295ELNS1_3gpuE0ELNS1_3repE0EEENS1_30default_config_static_selectorELNS0_4arch9wavefront6targetE0EEEvSK_
; %bb.0:
	.section	.rodata,"a",@progbits
	.p2align	6, 0x0
	.amdhsa_kernel _ZN7rocprim17ROCPRIM_400000_NS6detail17trampoline_kernelINS0_14default_configENS1_36segmented_radix_sort_config_selectorIdlEEZNS1_25segmented_radix_sort_implIS3_Lb0EPKdPdPKlPlN2at6native12_GLOBAL__N_18offset_tEEE10hipError_tPvRmT1_PNSt15iterator_traitsISK_E10value_typeET2_T3_PNSL_ISQ_E10value_typeET4_jRbjT5_SW_jjP12ihipStream_tbEUlT_E_NS1_11comp_targetILNS1_3genE0ELNS1_11target_archE4294967295ELNS1_3gpuE0ELNS1_3repE0EEENS1_30default_config_static_selectorELNS0_4arch9wavefront6targetE0EEEvSK_
		.amdhsa_group_segment_fixed_size 0
		.amdhsa_private_segment_fixed_size 0
		.amdhsa_kernarg_size 96
		.amdhsa_user_sgpr_count 2
		.amdhsa_user_sgpr_dispatch_ptr 0
		.amdhsa_user_sgpr_queue_ptr 0
		.amdhsa_user_sgpr_kernarg_segment_ptr 1
		.amdhsa_user_sgpr_dispatch_id 0
		.amdhsa_user_sgpr_private_segment_size 0
		.amdhsa_wavefront_size32 1
		.amdhsa_uses_dynamic_stack 0
		.amdhsa_enable_private_segment 0
		.amdhsa_system_sgpr_workgroup_id_x 1
		.amdhsa_system_sgpr_workgroup_id_y 0
		.amdhsa_system_sgpr_workgroup_id_z 0
		.amdhsa_system_sgpr_workgroup_info 0
		.amdhsa_system_vgpr_workitem_id 0
		.amdhsa_next_free_vgpr 1
		.amdhsa_next_free_sgpr 1
		.amdhsa_reserve_vcc 0
		.amdhsa_float_round_mode_32 0
		.amdhsa_float_round_mode_16_64 0
		.amdhsa_float_denorm_mode_32 3
		.amdhsa_float_denorm_mode_16_64 3
		.amdhsa_fp16_overflow 0
		.amdhsa_workgroup_processor_mode 1
		.amdhsa_memory_ordered 1
		.amdhsa_forward_progress 1
		.amdhsa_inst_pref_size 0
		.amdhsa_round_robin_scheduling 0
		.amdhsa_exception_fp_ieee_invalid_op 0
		.amdhsa_exception_fp_denorm_src 0
		.amdhsa_exception_fp_ieee_div_zero 0
		.amdhsa_exception_fp_ieee_overflow 0
		.amdhsa_exception_fp_ieee_underflow 0
		.amdhsa_exception_fp_ieee_inexact 0
		.amdhsa_exception_int_div_zero 0
	.end_amdhsa_kernel
	.section	.text._ZN7rocprim17ROCPRIM_400000_NS6detail17trampoline_kernelINS0_14default_configENS1_36segmented_radix_sort_config_selectorIdlEEZNS1_25segmented_radix_sort_implIS3_Lb0EPKdPdPKlPlN2at6native12_GLOBAL__N_18offset_tEEE10hipError_tPvRmT1_PNSt15iterator_traitsISK_E10value_typeET2_T3_PNSL_ISQ_E10value_typeET4_jRbjT5_SW_jjP12ihipStream_tbEUlT_E_NS1_11comp_targetILNS1_3genE0ELNS1_11target_archE4294967295ELNS1_3gpuE0ELNS1_3repE0EEENS1_30default_config_static_selectorELNS0_4arch9wavefront6targetE0EEEvSK_,"axG",@progbits,_ZN7rocprim17ROCPRIM_400000_NS6detail17trampoline_kernelINS0_14default_configENS1_36segmented_radix_sort_config_selectorIdlEEZNS1_25segmented_radix_sort_implIS3_Lb0EPKdPdPKlPlN2at6native12_GLOBAL__N_18offset_tEEE10hipError_tPvRmT1_PNSt15iterator_traitsISK_E10value_typeET2_T3_PNSL_ISQ_E10value_typeET4_jRbjT5_SW_jjP12ihipStream_tbEUlT_E_NS1_11comp_targetILNS1_3genE0ELNS1_11target_archE4294967295ELNS1_3gpuE0ELNS1_3repE0EEENS1_30default_config_static_selectorELNS0_4arch9wavefront6targetE0EEEvSK_,comdat
.Lfunc_end1221:
	.size	_ZN7rocprim17ROCPRIM_400000_NS6detail17trampoline_kernelINS0_14default_configENS1_36segmented_radix_sort_config_selectorIdlEEZNS1_25segmented_radix_sort_implIS3_Lb0EPKdPdPKlPlN2at6native12_GLOBAL__N_18offset_tEEE10hipError_tPvRmT1_PNSt15iterator_traitsISK_E10value_typeET2_T3_PNSL_ISQ_E10value_typeET4_jRbjT5_SW_jjP12ihipStream_tbEUlT_E_NS1_11comp_targetILNS1_3genE0ELNS1_11target_archE4294967295ELNS1_3gpuE0ELNS1_3repE0EEENS1_30default_config_static_selectorELNS0_4arch9wavefront6targetE0EEEvSK_, .Lfunc_end1221-_ZN7rocprim17ROCPRIM_400000_NS6detail17trampoline_kernelINS0_14default_configENS1_36segmented_radix_sort_config_selectorIdlEEZNS1_25segmented_radix_sort_implIS3_Lb0EPKdPdPKlPlN2at6native12_GLOBAL__N_18offset_tEEE10hipError_tPvRmT1_PNSt15iterator_traitsISK_E10value_typeET2_T3_PNSL_ISQ_E10value_typeET4_jRbjT5_SW_jjP12ihipStream_tbEUlT_E_NS1_11comp_targetILNS1_3genE0ELNS1_11target_archE4294967295ELNS1_3gpuE0ELNS1_3repE0EEENS1_30default_config_static_selectorELNS0_4arch9wavefront6targetE0EEEvSK_
                                        ; -- End function
	.set _ZN7rocprim17ROCPRIM_400000_NS6detail17trampoline_kernelINS0_14default_configENS1_36segmented_radix_sort_config_selectorIdlEEZNS1_25segmented_radix_sort_implIS3_Lb0EPKdPdPKlPlN2at6native12_GLOBAL__N_18offset_tEEE10hipError_tPvRmT1_PNSt15iterator_traitsISK_E10value_typeET2_T3_PNSL_ISQ_E10value_typeET4_jRbjT5_SW_jjP12ihipStream_tbEUlT_E_NS1_11comp_targetILNS1_3genE0ELNS1_11target_archE4294967295ELNS1_3gpuE0ELNS1_3repE0EEENS1_30default_config_static_selectorELNS0_4arch9wavefront6targetE0EEEvSK_.num_vgpr, 0
	.set _ZN7rocprim17ROCPRIM_400000_NS6detail17trampoline_kernelINS0_14default_configENS1_36segmented_radix_sort_config_selectorIdlEEZNS1_25segmented_radix_sort_implIS3_Lb0EPKdPdPKlPlN2at6native12_GLOBAL__N_18offset_tEEE10hipError_tPvRmT1_PNSt15iterator_traitsISK_E10value_typeET2_T3_PNSL_ISQ_E10value_typeET4_jRbjT5_SW_jjP12ihipStream_tbEUlT_E_NS1_11comp_targetILNS1_3genE0ELNS1_11target_archE4294967295ELNS1_3gpuE0ELNS1_3repE0EEENS1_30default_config_static_selectorELNS0_4arch9wavefront6targetE0EEEvSK_.num_agpr, 0
	.set _ZN7rocprim17ROCPRIM_400000_NS6detail17trampoline_kernelINS0_14default_configENS1_36segmented_radix_sort_config_selectorIdlEEZNS1_25segmented_radix_sort_implIS3_Lb0EPKdPdPKlPlN2at6native12_GLOBAL__N_18offset_tEEE10hipError_tPvRmT1_PNSt15iterator_traitsISK_E10value_typeET2_T3_PNSL_ISQ_E10value_typeET4_jRbjT5_SW_jjP12ihipStream_tbEUlT_E_NS1_11comp_targetILNS1_3genE0ELNS1_11target_archE4294967295ELNS1_3gpuE0ELNS1_3repE0EEENS1_30default_config_static_selectorELNS0_4arch9wavefront6targetE0EEEvSK_.numbered_sgpr, 0
	.set _ZN7rocprim17ROCPRIM_400000_NS6detail17trampoline_kernelINS0_14default_configENS1_36segmented_radix_sort_config_selectorIdlEEZNS1_25segmented_radix_sort_implIS3_Lb0EPKdPdPKlPlN2at6native12_GLOBAL__N_18offset_tEEE10hipError_tPvRmT1_PNSt15iterator_traitsISK_E10value_typeET2_T3_PNSL_ISQ_E10value_typeET4_jRbjT5_SW_jjP12ihipStream_tbEUlT_E_NS1_11comp_targetILNS1_3genE0ELNS1_11target_archE4294967295ELNS1_3gpuE0ELNS1_3repE0EEENS1_30default_config_static_selectorELNS0_4arch9wavefront6targetE0EEEvSK_.num_named_barrier, 0
	.set _ZN7rocprim17ROCPRIM_400000_NS6detail17trampoline_kernelINS0_14default_configENS1_36segmented_radix_sort_config_selectorIdlEEZNS1_25segmented_radix_sort_implIS3_Lb0EPKdPdPKlPlN2at6native12_GLOBAL__N_18offset_tEEE10hipError_tPvRmT1_PNSt15iterator_traitsISK_E10value_typeET2_T3_PNSL_ISQ_E10value_typeET4_jRbjT5_SW_jjP12ihipStream_tbEUlT_E_NS1_11comp_targetILNS1_3genE0ELNS1_11target_archE4294967295ELNS1_3gpuE0ELNS1_3repE0EEENS1_30default_config_static_selectorELNS0_4arch9wavefront6targetE0EEEvSK_.private_seg_size, 0
	.set _ZN7rocprim17ROCPRIM_400000_NS6detail17trampoline_kernelINS0_14default_configENS1_36segmented_radix_sort_config_selectorIdlEEZNS1_25segmented_radix_sort_implIS3_Lb0EPKdPdPKlPlN2at6native12_GLOBAL__N_18offset_tEEE10hipError_tPvRmT1_PNSt15iterator_traitsISK_E10value_typeET2_T3_PNSL_ISQ_E10value_typeET4_jRbjT5_SW_jjP12ihipStream_tbEUlT_E_NS1_11comp_targetILNS1_3genE0ELNS1_11target_archE4294967295ELNS1_3gpuE0ELNS1_3repE0EEENS1_30default_config_static_selectorELNS0_4arch9wavefront6targetE0EEEvSK_.uses_vcc, 0
	.set _ZN7rocprim17ROCPRIM_400000_NS6detail17trampoline_kernelINS0_14default_configENS1_36segmented_radix_sort_config_selectorIdlEEZNS1_25segmented_radix_sort_implIS3_Lb0EPKdPdPKlPlN2at6native12_GLOBAL__N_18offset_tEEE10hipError_tPvRmT1_PNSt15iterator_traitsISK_E10value_typeET2_T3_PNSL_ISQ_E10value_typeET4_jRbjT5_SW_jjP12ihipStream_tbEUlT_E_NS1_11comp_targetILNS1_3genE0ELNS1_11target_archE4294967295ELNS1_3gpuE0ELNS1_3repE0EEENS1_30default_config_static_selectorELNS0_4arch9wavefront6targetE0EEEvSK_.uses_flat_scratch, 0
	.set _ZN7rocprim17ROCPRIM_400000_NS6detail17trampoline_kernelINS0_14default_configENS1_36segmented_radix_sort_config_selectorIdlEEZNS1_25segmented_radix_sort_implIS3_Lb0EPKdPdPKlPlN2at6native12_GLOBAL__N_18offset_tEEE10hipError_tPvRmT1_PNSt15iterator_traitsISK_E10value_typeET2_T3_PNSL_ISQ_E10value_typeET4_jRbjT5_SW_jjP12ihipStream_tbEUlT_E_NS1_11comp_targetILNS1_3genE0ELNS1_11target_archE4294967295ELNS1_3gpuE0ELNS1_3repE0EEENS1_30default_config_static_selectorELNS0_4arch9wavefront6targetE0EEEvSK_.has_dyn_sized_stack, 0
	.set _ZN7rocprim17ROCPRIM_400000_NS6detail17trampoline_kernelINS0_14default_configENS1_36segmented_radix_sort_config_selectorIdlEEZNS1_25segmented_radix_sort_implIS3_Lb0EPKdPdPKlPlN2at6native12_GLOBAL__N_18offset_tEEE10hipError_tPvRmT1_PNSt15iterator_traitsISK_E10value_typeET2_T3_PNSL_ISQ_E10value_typeET4_jRbjT5_SW_jjP12ihipStream_tbEUlT_E_NS1_11comp_targetILNS1_3genE0ELNS1_11target_archE4294967295ELNS1_3gpuE0ELNS1_3repE0EEENS1_30default_config_static_selectorELNS0_4arch9wavefront6targetE0EEEvSK_.has_recursion, 0
	.set _ZN7rocprim17ROCPRIM_400000_NS6detail17trampoline_kernelINS0_14default_configENS1_36segmented_radix_sort_config_selectorIdlEEZNS1_25segmented_radix_sort_implIS3_Lb0EPKdPdPKlPlN2at6native12_GLOBAL__N_18offset_tEEE10hipError_tPvRmT1_PNSt15iterator_traitsISK_E10value_typeET2_T3_PNSL_ISQ_E10value_typeET4_jRbjT5_SW_jjP12ihipStream_tbEUlT_E_NS1_11comp_targetILNS1_3genE0ELNS1_11target_archE4294967295ELNS1_3gpuE0ELNS1_3repE0EEENS1_30default_config_static_selectorELNS0_4arch9wavefront6targetE0EEEvSK_.has_indirect_call, 0
	.section	.AMDGPU.csdata,"",@progbits
; Kernel info:
; codeLenInByte = 0
; TotalNumSgprs: 0
; NumVgprs: 0
; ScratchSize: 0
; MemoryBound: 0
; FloatMode: 240
; IeeeMode: 1
; LDSByteSize: 0 bytes/workgroup (compile time only)
; SGPRBlocks: 0
; VGPRBlocks: 0
; NumSGPRsForWavesPerEU: 1
; NumVGPRsForWavesPerEU: 1
; Occupancy: 16
; WaveLimiterHint : 0
; COMPUTE_PGM_RSRC2:SCRATCH_EN: 0
; COMPUTE_PGM_RSRC2:USER_SGPR: 2
; COMPUTE_PGM_RSRC2:TRAP_HANDLER: 0
; COMPUTE_PGM_RSRC2:TGID_X_EN: 1
; COMPUTE_PGM_RSRC2:TGID_Y_EN: 0
; COMPUTE_PGM_RSRC2:TGID_Z_EN: 0
; COMPUTE_PGM_RSRC2:TIDIG_COMP_CNT: 0
	.section	.text._ZN7rocprim17ROCPRIM_400000_NS6detail17trampoline_kernelINS0_14default_configENS1_36segmented_radix_sort_config_selectorIdlEEZNS1_25segmented_radix_sort_implIS3_Lb0EPKdPdPKlPlN2at6native12_GLOBAL__N_18offset_tEEE10hipError_tPvRmT1_PNSt15iterator_traitsISK_E10value_typeET2_T3_PNSL_ISQ_E10value_typeET4_jRbjT5_SW_jjP12ihipStream_tbEUlT_E_NS1_11comp_targetILNS1_3genE5ELNS1_11target_archE942ELNS1_3gpuE9ELNS1_3repE0EEENS1_30default_config_static_selectorELNS0_4arch9wavefront6targetE0EEEvSK_,"axG",@progbits,_ZN7rocprim17ROCPRIM_400000_NS6detail17trampoline_kernelINS0_14default_configENS1_36segmented_radix_sort_config_selectorIdlEEZNS1_25segmented_radix_sort_implIS3_Lb0EPKdPdPKlPlN2at6native12_GLOBAL__N_18offset_tEEE10hipError_tPvRmT1_PNSt15iterator_traitsISK_E10value_typeET2_T3_PNSL_ISQ_E10value_typeET4_jRbjT5_SW_jjP12ihipStream_tbEUlT_E_NS1_11comp_targetILNS1_3genE5ELNS1_11target_archE942ELNS1_3gpuE9ELNS1_3repE0EEENS1_30default_config_static_selectorELNS0_4arch9wavefront6targetE0EEEvSK_,comdat
	.globl	_ZN7rocprim17ROCPRIM_400000_NS6detail17trampoline_kernelINS0_14default_configENS1_36segmented_radix_sort_config_selectorIdlEEZNS1_25segmented_radix_sort_implIS3_Lb0EPKdPdPKlPlN2at6native12_GLOBAL__N_18offset_tEEE10hipError_tPvRmT1_PNSt15iterator_traitsISK_E10value_typeET2_T3_PNSL_ISQ_E10value_typeET4_jRbjT5_SW_jjP12ihipStream_tbEUlT_E_NS1_11comp_targetILNS1_3genE5ELNS1_11target_archE942ELNS1_3gpuE9ELNS1_3repE0EEENS1_30default_config_static_selectorELNS0_4arch9wavefront6targetE0EEEvSK_ ; -- Begin function _ZN7rocprim17ROCPRIM_400000_NS6detail17trampoline_kernelINS0_14default_configENS1_36segmented_radix_sort_config_selectorIdlEEZNS1_25segmented_radix_sort_implIS3_Lb0EPKdPdPKlPlN2at6native12_GLOBAL__N_18offset_tEEE10hipError_tPvRmT1_PNSt15iterator_traitsISK_E10value_typeET2_T3_PNSL_ISQ_E10value_typeET4_jRbjT5_SW_jjP12ihipStream_tbEUlT_E_NS1_11comp_targetILNS1_3genE5ELNS1_11target_archE942ELNS1_3gpuE9ELNS1_3repE0EEENS1_30default_config_static_selectorELNS0_4arch9wavefront6targetE0EEEvSK_
	.p2align	8
	.type	_ZN7rocprim17ROCPRIM_400000_NS6detail17trampoline_kernelINS0_14default_configENS1_36segmented_radix_sort_config_selectorIdlEEZNS1_25segmented_radix_sort_implIS3_Lb0EPKdPdPKlPlN2at6native12_GLOBAL__N_18offset_tEEE10hipError_tPvRmT1_PNSt15iterator_traitsISK_E10value_typeET2_T3_PNSL_ISQ_E10value_typeET4_jRbjT5_SW_jjP12ihipStream_tbEUlT_E_NS1_11comp_targetILNS1_3genE5ELNS1_11target_archE942ELNS1_3gpuE9ELNS1_3repE0EEENS1_30default_config_static_selectorELNS0_4arch9wavefront6targetE0EEEvSK_,@function
_ZN7rocprim17ROCPRIM_400000_NS6detail17trampoline_kernelINS0_14default_configENS1_36segmented_radix_sort_config_selectorIdlEEZNS1_25segmented_radix_sort_implIS3_Lb0EPKdPdPKlPlN2at6native12_GLOBAL__N_18offset_tEEE10hipError_tPvRmT1_PNSt15iterator_traitsISK_E10value_typeET2_T3_PNSL_ISQ_E10value_typeET4_jRbjT5_SW_jjP12ihipStream_tbEUlT_E_NS1_11comp_targetILNS1_3genE5ELNS1_11target_archE942ELNS1_3gpuE9ELNS1_3repE0EEENS1_30default_config_static_selectorELNS0_4arch9wavefront6targetE0EEEvSK_: ; @_ZN7rocprim17ROCPRIM_400000_NS6detail17trampoline_kernelINS0_14default_configENS1_36segmented_radix_sort_config_selectorIdlEEZNS1_25segmented_radix_sort_implIS3_Lb0EPKdPdPKlPlN2at6native12_GLOBAL__N_18offset_tEEE10hipError_tPvRmT1_PNSt15iterator_traitsISK_E10value_typeET2_T3_PNSL_ISQ_E10value_typeET4_jRbjT5_SW_jjP12ihipStream_tbEUlT_E_NS1_11comp_targetILNS1_3genE5ELNS1_11target_archE942ELNS1_3gpuE9ELNS1_3repE0EEENS1_30default_config_static_selectorELNS0_4arch9wavefront6targetE0EEEvSK_
; %bb.0:
	.section	.rodata,"a",@progbits
	.p2align	6, 0x0
	.amdhsa_kernel _ZN7rocprim17ROCPRIM_400000_NS6detail17trampoline_kernelINS0_14default_configENS1_36segmented_radix_sort_config_selectorIdlEEZNS1_25segmented_radix_sort_implIS3_Lb0EPKdPdPKlPlN2at6native12_GLOBAL__N_18offset_tEEE10hipError_tPvRmT1_PNSt15iterator_traitsISK_E10value_typeET2_T3_PNSL_ISQ_E10value_typeET4_jRbjT5_SW_jjP12ihipStream_tbEUlT_E_NS1_11comp_targetILNS1_3genE5ELNS1_11target_archE942ELNS1_3gpuE9ELNS1_3repE0EEENS1_30default_config_static_selectorELNS0_4arch9wavefront6targetE0EEEvSK_
		.amdhsa_group_segment_fixed_size 0
		.amdhsa_private_segment_fixed_size 0
		.amdhsa_kernarg_size 96
		.amdhsa_user_sgpr_count 2
		.amdhsa_user_sgpr_dispatch_ptr 0
		.amdhsa_user_sgpr_queue_ptr 0
		.amdhsa_user_sgpr_kernarg_segment_ptr 1
		.amdhsa_user_sgpr_dispatch_id 0
		.amdhsa_user_sgpr_private_segment_size 0
		.amdhsa_wavefront_size32 1
		.amdhsa_uses_dynamic_stack 0
		.amdhsa_enable_private_segment 0
		.amdhsa_system_sgpr_workgroup_id_x 1
		.amdhsa_system_sgpr_workgroup_id_y 0
		.amdhsa_system_sgpr_workgroup_id_z 0
		.amdhsa_system_sgpr_workgroup_info 0
		.amdhsa_system_vgpr_workitem_id 0
		.amdhsa_next_free_vgpr 1
		.amdhsa_next_free_sgpr 1
		.amdhsa_reserve_vcc 0
		.amdhsa_float_round_mode_32 0
		.amdhsa_float_round_mode_16_64 0
		.amdhsa_float_denorm_mode_32 3
		.amdhsa_float_denorm_mode_16_64 3
		.amdhsa_fp16_overflow 0
		.amdhsa_workgroup_processor_mode 1
		.amdhsa_memory_ordered 1
		.amdhsa_forward_progress 1
		.amdhsa_inst_pref_size 0
		.amdhsa_round_robin_scheduling 0
		.amdhsa_exception_fp_ieee_invalid_op 0
		.amdhsa_exception_fp_denorm_src 0
		.amdhsa_exception_fp_ieee_div_zero 0
		.amdhsa_exception_fp_ieee_overflow 0
		.amdhsa_exception_fp_ieee_underflow 0
		.amdhsa_exception_fp_ieee_inexact 0
		.amdhsa_exception_int_div_zero 0
	.end_amdhsa_kernel
	.section	.text._ZN7rocprim17ROCPRIM_400000_NS6detail17trampoline_kernelINS0_14default_configENS1_36segmented_radix_sort_config_selectorIdlEEZNS1_25segmented_radix_sort_implIS3_Lb0EPKdPdPKlPlN2at6native12_GLOBAL__N_18offset_tEEE10hipError_tPvRmT1_PNSt15iterator_traitsISK_E10value_typeET2_T3_PNSL_ISQ_E10value_typeET4_jRbjT5_SW_jjP12ihipStream_tbEUlT_E_NS1_11comp_targetILNS1_3genE5ELNS1_11target_archE942ELNS1_3gpuE9ELNS1_3repE0EEENS1_30default_config_static_selectorELNS0_4arch9wavefront6targetE0EEEvSK_,"axG",@progbits,_ZN7rocprim17ROCPRIM_400000_NS6detail17trampoline_kernelINS0_14default_configENS1_36segmented_radix_sort_config_selectorIdlEEZNS1_25segmented_radix_sort_implIS3_Lb0EPKdPdPKlPlN2at6native12_GLOBAL__N_18offset_tEEE10hipError_tPvRmT1_PNSt15iterator_traitsISK_E10value_typeET2_T3_PNSL_ISQ_E10value_typeET4_jRbjT5_SW_jjP12ihipStream_tbEUlT_E_NS1_11comp_targetILNS1_3genE5ELNS1_11target_archE942ELNS1_3gpuE9ELNS1_3repE0EEENS1_30default_config_static_selectorELNS0_4arch9wavefront6targetE0EEEvSK_,comdat
.Lfunc_end1222:
	.size	_ZN7rocprim17ROCPRIM_400000_NS6detail17trampoline_kernelINS0_14default_configENS1_36segmented_radix_sort_config_selectorIdlEEZNS1_25segmented_radix_sort_implIS3_Lb0EPKdPdPKlPlN2at6native12_GLOBAL__N_18offset_tEEE10hipError_tPvRmT1_PNSt15iterator_traitsISK_E10value_typeET2_T3_PNSL_ISQ_E10value_typeET4_jRbjT5_SW_jjP12ihipStream_tbEUlT_E_NS1_11comp_targetILNS1_3genE5ELNS1_11target_archE942ELNS1_3gpuE9ELNS1_3repE0EEENS1_30default_config_static_selectorELNS0_4arch9wavefront6targetE0EEEvSK_, .Lfunc_end1222-_ZN7rocprim17ROCPRIM_400000_NS6detail17trampoline_kernelINS0_14default_configENS1_36segmented_radix_sort_config_selectorIdlEEZNS1_25segmented_radix_sort_implIS3_Lb0EPKdPdPKlPlN2at6native12_GLOBAL__N_18offset_tEEE10hipError_tPvRmT1_PNSt15iterator_traitsISK_E10value_typeET2_T3_PNSL_ISQ_E10value_typeET4_jRbjT5_SW_jjP12ihipStream_tbEUlT_E_NS1_11comp_targetILNS1_3genE5ELNS1_11target_archE942ELNS1_3gpuE9ELNS1_3repE0EEENS1_30default_config_static_selectorELNS0_4arch9wavefront6targetE0EEEvSK_
                                        ; -- End function
	.set _ZN7rocprim17ROCPRIM_400000_NS6detail17trampoline_kernelINS0_14default_configENS1_36segmented_radix_sort_config_selectorIdlEEZNS1_25segmented_radix_sort_implIS3_Lb0EPKdPdPKlPlN2at6native12_GLOBAL__N_18offset_tEEE10hipError_tPvRmT1_PNSt15iterator_traitsISK_E10value_typeET2_T3_PNSL_ISQ_E10value_typeET4_jRbjT5_SW_jjP12ihipStream_tbEUlT_E_NS1_11comp_targetILNS1_3genE5ELNS1_11target_archE942ELNS1_3gpuE9ELNS1_3repE0EEENS1_30default_config_static_selectorELNS0_4arch9wavefront6targetE0EEEvSK_.num_vgpr, 0
	.set _ZN7rocprim17ROCPRIM_400000_NS6detail17trampoline_kernelINS0_14default_configENS1_36segmented_radix_sort_config_selectorIdlEEZNS1_25segmented_radix_sort_implIS3_Lb0EPKdPdPKlPlN2at6native12_GLOBAL__N_18offset_tEEE10hipError_tPvRmT1_PNSt15iterator_traitsISK_E10value_typeET2_T3_PNSL_ISQ_E10value_typeET4_jRbjT5_SW_jjP12ihipStream_tbEUlT_E_NS1_11comp_targetILNS1_3genE5ELNS1_11target_archE942ELNS1_3gpuE9ELNS1_3repE0EEENS1_30default_config_static_selectorELNS0_4arch9wavefront6targetE0EEEvSK_.num_agpr, 0
	.set _ZN7rocprim17ROCPRIM_400000_NS6detail17trampoline_kernelINS0_14default_configENS1_36segmented_radix_sort_config_selectorIdlEEZNS1_25segmented_radix_sort_implIS3_Lb0EPKdPdPKlPlN2at6native12_GLOBAL__N_18offset_tEEE10hipError_tPvRmT1_PNSt15iterator_traitsISK_E10value_typeET2_T3_PNSL_ISQ_E10value_typeET4_jRbjT5_SW_jjP12ihipStream_tbEUlT_E_NS1_11comp_targetILNS1_3genE5ELNS1_11target_archE942ELNS1_3gpuE9ELNS1_3repE0EEENS1_30default_config_static_selectorELNS0_4arch9wavefront6targetE0EEEvSK_.numbered_sgpr, 0
	.set _ZN7rocprim17ROCPRIM_400000_NS6detail17trampoline_kernelINS0_14default_configENS1_36segmented_radix_sort_config_selectorIdlEEZNS1_25segmented_radix_sort_implIS3_Lb0EPKdPdPKlPlN2at6native12_GLOBAL__N_18offset_tEEE10hipError_tPvRmT1_PNSt15iterator_traitsISK_E10value_typeET2_T3_PNSL_ISQ_E10value_typeET4_jRbjT5_SW_jjP12ihipStream_tbEUlT_E_NS1_11comp_targetILNS1_3genE5ELNS1_11target_archE942ELNS1_3gpuE9ELNS1_3repE0EEENS1_30default_config_static_selectorELNS0_4arch9wavefront6targetE0EEEvSK_.num_named_barrier, 0
	.set _ZN7rocprim17ROCPRIM_400000_NS6detail17trampoline_kernelINS0_14default_configENS1_36segmented_radix_sort_config_selectorIdlEEZNS1_25segmented_radix_sort_implIS3_Lb0EPKdPdPKlPlN2at6native12_GLOBAL__N_18offset_tEEE10hipError_tPvRmT1_PNSt15iterator_traitsISK_E10value_typeET2_T3_PNSL_ISQ_E10value_typeET4_jRbjT5_SW_jjP12ihipStream_tbEUlT_E_NS1_11comp_targetILNS1_3genE5ELNS1_11target_archE942ELNS1_3gpuE9ELNS1_3repE0EEENS1_30default_config_static_selectorELNS0_4arch9wavefront6targetE0EEEvSK_.private_seg_size, 0
	.set _ZN7rocprim17ROCPRIM_400000_NS6detail17trampoline_kernelINS0_14default_configENS1_36segmented_radix_sort_config_selectorIdlEEZNS1_25segmented_radix_sort_implIS3_Lb0EPKdPdPKlPlN2at6native12_GLOBAL__N_18offset_tEEE10hipError_tPvRmT1_PNSt15iterator_traitsISK_E10value_typeET2_T3_PNSL_ISQ_E10value_typeET4_jRbjT5_SW_jjP12ihipStream_tbEUlT_E_NS1_11comp_targetILNS1_3genE5ELNS1_11target_archE942ELNS1_3gpuE9ELNS1_3repE0EEENS1_30default_config_static_selectorELNS0_4arch9wavefront6targetE0EEEvSK_.uses_vcc, 0
	.set _ZN7rocprim17ROCPRIM_400000_NS6detail17trampoline_kernelINS0_14default_configENS1_36segmented_radix_sort_config_selectorIdlEEZNS1_25segmented_radix_sort_implIS3_Lb0EPKdPdPKlPlN2at6native12_GLOBAL__N_18offset_tEEE10hipError_tPvRmT1_PNSt15iterator_traitsISK_E10value_typeET2_T3_PNSL_ISQ_E10value_typeET4_jRbjT5_SW_jjP12ihipStream_tbEUlT_E_NS1_11comp_targetILNS1_3genE5ELNS1_11target_archE942ELNS1_3gpuE9ELNS1_3repE0EEENS1_30default_config_static_selectorELNS0_4arch9wavefront6targetE0EEEvSK_.uses_flat_scratch, 0
	.set _ZN7rocprim17ROCPRIM_400000_NS6detail17trampoline_kernelINS0_14default_configENS1_36segmented_radix_sort_config_selectorIdlEEZNS1_25segmented_radix_sort_implIS3_Lb0EPKdPdPKlPlN2at6native12_GLOBAL__N_18offset_tEEE10hipError_tPvRmT1_PNSt15iterator_traitsISK_E10value_typeET2_T3_PNSL_ISQ_E10value_typeET4_jRbjT5_SW_jjP12ihipStream_tbEUlT_E_NS1_11comp_targetILNS1_3genE5ELNS1_11target_archE942ELNS1_3gpuE9ELNS1_3repE0EEENS1_30default_config_static_selectorELNS0_4arch9wavefront6targetE0EEEvSK_.has_dyn_sized_stack, 0
	.set _ZN7rocprim17ROCPRIM_400000_NS6detail17trampoline_kernelINS0_14default_configENS1_36segmented_radix_sort_config_selectorIdlEEZNS1_25segmented_radix_sort_implIS3_Lb0EPKdPdPKlPlN2at6native12_GLOBAL__N_18offset_tEEE10hipError_tPvRmT1_PNSt15iterator_traitsISK_E10value_typeET2_T3_PNSL_ISQ_E10value_typeET4_jRbjT5_SW_jjP12ihipStream_tbEUlT_E_NS1_11comp_targetILNS1_3genE5ELNS1_11target_archE942ELNS1_3gpuE9ELNS1_3repE0EEENS1_30default_config_static_selectorELNS0_4arch9wavefront6targetE0EEEvSK_.has_recursion, 0
	.set _ZN7rocprim17ROCPRIM_400000_NS6detail17trampoline_kernelINS0_14default_configENS1_36segmented_radix_sort_config_selectorIdlEEZNS1_25segmented_radix_sort_implIS3_Lb0EPKdPdPKlPlN2at6native12_GLOBAL__N_18offset_tEEE10hipError_tPvRmT1_PNSt15iterator_traitsISK_E10value_typeET2_T3_PNSL_ISQ_E10value_typeET4_jRbjT5_SW_jjP12ihipStream_tbEUlT_E_NS1_11comp_targetILNS1_3genE5ELNS1_11target_archE942ELNS1_3gpuE9ELNS1_3repE0EEENS1_30default_config_static_selectorELNS0_4arch9wavefront6targetE0EEEvSK_.has_indirect_call, 0
	.section	.AMDGPU.csdata,"",@progbits
; Kernel info:
; codeLenInByte = 0
; TotalNumSgprs: 0
; NumVgprs: 0
; ScratchSize: 0
; MemoryBound: 0
; FloatMode: 240
; IeeeMode: 1
; LDSByteSize: 0 bytes/workgroup (compile time only)
; SGPRBlocks: 0
; VGPRBlocks: 0
; NumSGPRsForWavesPerEU: 1
; NumVGPRsForWavesPerEU: 1
; Occupancy: 16
; WaveLimiterHint : 0
; COMPUTE_PGM_RSRC2:SCRATCH_EN: 0
; COMPUTE_PGM_RSRC2:USER_SGPR: 2
; COMPUTE_PGM_RSRC2:TRAP_HANDLER: 0
; COMPUTE_PGM_RSRC2:TGID_X_EN: 1
; COMPUTE_PGM_RSRC2:TGID_Y_EN: 0
; COMPUTE_PGM_RSRC2:TGID_Z_EN: 0
; COMPUTE_PGM_RSRC2:TIDIG_COMP_CNT: 0
	.section	.text._ZN7rocprim17ROCPRIM_400000_NS6detail17trampoline_kernelINS0_14default_configENS1_36segmented_radix_sort_config_selectorIdlEEZNS1_25segmented_radix_sort_implIS3_Lb0EPKdPdPKlPlN2at6native12_GLOBAL__N_18offset_tEEE10hipError_tPvRmT1_PNSt15iterator_traitsISK_E10value_typeET2_T3_PNSL_ISQ_E10value_typeET4_jRbjT5_SW_jjP12ihipStream_tbEUlT_E_NS1_11comp_targetILNS1_3genE4ELNS1_11target_archE910ELNS1_3gpuE8ELNS1_3repE0EEENS1_30default_config_static_selectorELNS0_4arch9wavefront6targetE0EEEvSK_,"axG",@progbits,_ZN7rocprim17ROCPRIM_400000_NS6detail17trampoline_kernelINS0_14default_configENS1_36segmented_radix_sort_config_selectorIdlEEZNS1_25segmented_radix_sort_implIS3_Lb0EPKdPdPKlPlN2at6native12_GLOBAL__N_18offset_tEEE10hipError_tPvRmT1_PNSt15iterator_traitsISK_E10value_typeET2_T3_PNSL_ISQ_E10value_typeET4_jRbjT5_SW_jjP12ihipStream_tbEUlT_E_NS1_11comp_targetILNS1_3genE4ELNS1_11target_archE910ELNS1_3gpuE8ELNS1_3repE0EEENS1_30default_config_static_selectorELNS0_4arch9wavefront6targetE0EEEvSK_,comdat
	.globl	_ZN7rocprim17ROCPRIM_400000_NS6detail17trampoline_kernelINS0_14default_configENS1_36segmented_radix_sort_config_selectorIdlEEZNS1_25segmented_radix_sort_implIS3_Lb0EPKdPdPKlPlN2at6native12_GLOBAL__N_18offset_tEEE10hipError_tPvRmT1_PNSt15iterator_traitsISK_E10value_typeET2_T3_PNSL_ISQ_E10value_typeET4_jRbjT5_SW_jjP12ihipStream_tbEUlT_E_NS1_11comp_targetILNS1_3genE4ELNS1_11target_archE910ELNS1_3gpuE8ELNS1_3repE0EEENS1_30default_config_static_selectorELNS0_4arch9wavefront6targetE0EEEvSK_ ; -- Begin function _ZN7rocprim17ROCPRIM_400000_NS6detail17trampoline_kernelINS0_14default_configENS1_36segmented_radix_sort_config_selectorIdlEEZNS1_25segmented_radix_sort_implIS3_Lb0EPKdPdPKlPlN2at6native12_GLOBAL__N_18offset_tEEE10hipError_tPvRmT1_PNSt15iterator_traitsISK_E10value_typeET2_T3_PNSL_ISQ_E10value_typeET4_jRbjT5_SW_jjP12ihipStream_tbEUlT_E_NS1_11comp_targetILNS1_3genE4ELNS1_11target_archE910ELNS1_3gpuE8ELNS1_3repE0EEENS1_30default_config_static_selectorELNS0_4arch9wavefront6targetE0EEEvSK_
	.p2align	8
	.type	_ZN7rocprim17ROCPRIM_400000_NS6detail17trampoline_kernelINS0_14default_configENS1_36segmented_radix_sort_config_selectorIdlEEZNS1_25segmented_radix_sort_implIS3_Lb0EPKdPdPKlPlN2at6native12_GLOBAL__N_18offset_tEEE10hipError_tPvRmT1_PNSt15iterator_traitsISK_E10value_typeET2_T3_PNSL_ISQ_E10value_typeET4_jRbjT5_SW_jjP12ihipStream_tbEUlT_E_NS1_11comp_targetILNS1_3genE4ELNS1_11target_archE910ELNS1_3gpuE8ELNS1_3repE0EEENS1_30default_config_static_selectorELNS0_4arch9wavefront6targetE0EEEvSK_,@function
_ZN7rocprim17ROCPRIM_400000_NS6detail17trampoline_kernelINS0_14default_configENS1_36segmented_radix_sort_config_selectorIdlEEZNS1_25segmented_radix_sort_implIS3_Lb0EPKdPdPKlPlN2at6native12_GLOBAL__N_18offset_tEEE10hipError_tPvRmT1_PNSt15iterator_traitsISK_E10value_typeET2_T3_PNSL_ISQ_E10value_typeET4_jRbjT5_SW_jjP12ihipStream_tbEUlT_E_NS1_11comp_targetILNS1_3genE4ELNS1_11target_archE910ELNS1_3gpuE8ELNS1_3repE0EEENS1_30default_config_static_selectorELNS0_4arch9wavefront6targetE0EEEvSK_: ; @_ZN7rocprim17ROCPRIM_400000_NS6detail17trampoline_kernelINS0_14default_configENS1_36segmented_radix_sort_config_selectorIdlEEZNS1_25segmented_radix_sort_implIS3_Lb0EPKdPdPKlPlN2at6native12_GLOBAL__N_18offset_tEEE10hipError_tPvRmT1_PNSt15iterator_traitsISK_E10value_typeET2_T3_PNSL_ISQ_E10value_typeET4_jRbjT5_SW_jjP12ihipStream_tbEUlT_E_NS1_11comp_targetILNS1_3genE4ELNS1_11target_archE910ELNS1_3gpuE8ELNS1_3repE0EEENS1_30default_config_static_selectorELNS0_4arch9wavefront6targetE0EEEvSK_
; %bb.0:
	.section	.rodata,"a",@progbits
	.p2align	6, 0x0
	.amdhsa_kernel _ZN7rocprim17ROCPRIM_400000_NS6detail17trampoline_kernelINS0_14default_configENS1_36segmented_radix_sort_config_selectorIdlEEZNS1_25segmented_radix_sort_implIS3_Lb0EPKdPdPKlPlN2at6native12_GLOBAL__N_18offset_tEEE10hipError_tPvRmT1_PNSt15iterator_traitsISK_E10value_typeET2_T3_PNSL_ISQ_E10value_typeET4_jRbjT5_SW_jjP12ihipStream_tbEUlT_E_NS1_11comp_targetILNS1_3genE4ELNS1_11target_archE910ELNS1_3gpuE8ELNS1_3repE0EEENS1_30default_config_static_selectorELNS0_4arch9wavefront6targetE0EEEvSK_
		.amdhsa_group_segment_fixed_size 0
		.amdhsa_private_segment_fixed_size 0
		.amdhsa_kernarg_size 96
		.amdhsa_user_sgpr_count 2
		.amdhsa_user_sgpr_dispatch_ptr 0
		.amdhsa_user_sgpr_queue_ptr 0
		.amdhsa_user_sgpr_kernarg_segment_ptr 1
		.amdhsa_user_sgpr_dispatch_id 0
		.amdhsa_user_sgpr_private_segment_size 0
		.amdhsa_wavefront_size32 1
		.amdhsa_uses_dynamic_stack 0
		.amdhsa_enable_private_segment 0
		.amdhsa_system_sgpr_workgroup_id_x 1
		.amdhsa_system_sgpr_workgroup_id_y 0
		.amdhsa_system_sgpr_workgroup_id_z 0
		.amdhsa_system_sgpr_workgroup_info 0
		.amdhsa_system_vgpr_workitem_id 0
		.amdhsa_next_free_vgpr 1
		.amdhsa_next_free_sgpr 1
		.amdhsa_reserve_vcc 0
		.amdhsa_float_round_mode_32 0
		.amdhsa_float_round_mode_16_64 0
		.amdhsa_float_denorm_mode_32 3
		.amdhsa_float_denorm_mode_16_64 3
		.amdhsa_fp16_overflow 0
		.amdhsa_workgroup_processor_mode 1
		.amdhsa_memory_ordered 1
		.amdhsa_forward_progress 1
		.amdhsa_inst_pref_size 0
		.amdhsa_round_robin_scheduling 0
		.amdhsa_exception_fp_ieee_invalid_op 0
		.amdhsa_exception_fp_denorm_src 0
		.amdhsa_exception_fp_ieee_div_zero 0
		.amdhsa_exception_fp_ieee_overflow 0
		.amdhsa_exception_fp_ieee_underflow 0
		.amdhsa_exception_fp_ieee_inexact 0
		.amdhsa_exception_int_div_zero 0
	.end_amdhsa_kernel
	.section	.text._ZN7rocprim17ROCPRIM_400000_NS6detail17trampoline_kernelINS0_14default_configENS1_36segmented_radix_sort_config_selectorIdlEEZNS1_25segmented_radix_sort_implIS3_Lb0EPKdPdPKlPlN2at6native12_GLOBAL__N_18offset_tEEE10hipError_tPvRmT1_PNSt15iterator_traitsISK_E10value_typeET2_T3_PNSL_ISQ_E10value_typeET4_jRbjT5_SW_jjP12ihipStream_tbEUlT_E_NS1_11comp_targetILNS1_3genE4ELNS1_11target_archE910ELNS1_3gpuE8ELNS1_3repE0EEENS1_30default_config_static_selectorELNS0_4arch9wavefront6targetE0EEEvSK_,"axG",@progbits,_ZN7rocprim17ROCPRIM_400000_NS6detail17trampoline_kernelINS0_14default_configENS1_36segmented_radix_sort_config_selectorIdlEEZNS1_25segmented_radix_sort_implIS3_Lb0EPKdPdPKlPlN2at6native12_GLOBAL__N_18offset_tEEE10hipError_tPvRmT1_PNSt15iterator_traitsISK_E10value_typeET2_T3_PNSL_ISQ_E10value_typeET4_jRbjT5_SW_jjP12ihipStream_tbEUlT_E_NS1_11comp_targetILNS1_3genE4ELNS1_11target_archE910ELNS1_3gpuE8ELNS1_3repE0EEENS1_30default_config_static_selectorELNS0_4arch9wavefront6targetE0EEEvSK_,comdat
.Lfunc_end1223:
	.size	_ZN7rocprim17ROCPRIM_400000_NS6detail17trampoline_kernelINS0_14default_configENS1_36segmented_radix_sort_config_selectorIdlEEZNS1_25segmented_radix_sort_implIS3_Lb0EPKdPdPKlPlN2at6native12_GLOBAL__N_18offset_tEEE10hipError_tPvRmT1_PNSt15iterator_traitsISK_E10value_typeET2_T3_PNSL_ISQ_E10value_typeET4_jRbjT5_SW_jjP12ihipStream_tbEUlT_E_NS1_11comp_targetILNS1_3genE4ELNS1_11target_archE910ELNS1_3gpuE8ELNS1_3repE0EEENS1_30default_config_static_selectorELNS0_4arch9wavefront6targetE0EEEvSK_, .Lfunc_end1223-_ZN7rocprim17ROCPRIM_400000_NS6detail17trampoline_kernelINS0_14default_configENS1_36segmented_radix_sort_config_selectorIdlEEZNS1_25segmented_radix_sort_implIS3_Lb0EPKdPdPKlPlN2at6native12_GLOBAL__N_18offset_tEEE10hipError_tPvRmT1_PNSt15iterator_traitsISK_E10value_typeET2_T3_PNSL_ISQ_E10value_typeET4_jRbjT5_SW_jjP12ihipStream_tbEUlT_E_NS1_11comp_targetILNS1_3genE4ELNS1_11target_archE910ELNS1_3gpuE8ELNS1_3repE0EEENS1_30default_config_static_selectorELNS0_4arch9wavefront6targetE0EEEvSK_
                                        ; -- End function
	.set _ZN7rocprim17ROCPRIM_400000_NS6detail17trampoline_kernelINS0_14default_configENS1_36segmented_radix_sort_config_selectorIdlEEZNS1_25segmented_radix_sort_implIS3_Lb0EPKdPdPKlPlN2at6native12_GLOBAL__N_18offset_tEEE10hipError_tPvRmT1_PNSt15iterator_traitsISK_E10value_typeET2_T3_PNSL_ISQ_E10value_typeET4_jRbjT5_SW_jjP12ihipStream_tbEUlT_E_NS1_11comp_targetILNS1_3genE4ELNS1_11target_archE910ELNS1_3gpuE8ELNS1_3repE0EEENS1_30default_config_static_selectorELNS0_4arch9wavefront6targetE0EEEvSK_.num_vgpr, 0
	.set _ZN7rocprim17ROCPRIM_400000_NS6detail17trampoline_kernelINS0_14default_configENS1_36segmented_radix_sort_config_selectorIdlEEZNS1_25segmented_radix_sort_implIS3_Lb0EPKdPdPKlPlN2at6native12_GLOBAL__N_18offset_tEEE10hipError_tPvRmT1_PNSt15iterator_traitsISK_E10value_typeET2_T3_PNSL_ISQ_E10value_typeET4_jRbjT5_SW_jjP12ihipStream_tbEUlT_E_NS1_11comp_targetILNS1_3genE4ELNS1_11target_archE910ELNS1_3gpuE8ELNS1_3repE0EEENS1_30default_config_static_selectorELNS0_4arch9wavefront6targetE0EEEvSK_.num_agpr, 0
	.set _ZN7rocprim17ROCPRIM_400000_NS6detail17trampoline_kernelINS0_14default_configENS1_36segmented_radix_sort_config_selectorIdlEEZNS1_25segmented_radix_sort_implIS3_Lb0EPKdPdPKlPlN2at6native12_GLOBAL__N_18offset_tEEE10hipError_tPvRmT1_PNSt15iterator_traitsISK_E10value_typeET2_T3_PNSL_ISQ_E10value_typeET4_jRbjT5_SW_jjP12ihipStream_tbEUlT_E_NS1_11comp_targetILNS1_3genE4ELNS1_11target_archE910ELNS1_3gpuE8ELNS1_3repE0EEENS1_30default_config_static_selectorELNS0_4arch9wavefront6targetE0EEEvSK_.numbered_sgpr, 0
	.set _ZN7rocprim17ROCPRIM_400000_NS6detail17trampoline_kernelINS0_14default_configENS1_36segmented_radix_sort_config_selectorIdlEEZNS1_25segmented_radix_sort_implIS3_Lb0EPKdPdPKlPlN2at6native12_GLOBAL__N_18offset_tEEE10hipError_tPvRmT1_PNSt15iterator_traitsISK_E10value_typeET2_T3_PNSL_ISQ_E10value_typeET4_jRbjT5_SW_jjP12ihipStream_tbEUlT_E_NS1_11comp_targetILNS1_3genE4ELNS1_11target_archE910ELNS1_3gpuE8ELNS1_3repE0EEENS1_30default_config_static_selectorELNS0_4arch9wavefront6targetE0EEEvSK_.num_named_barrier, 0
	.set _ZN7rocprim17ROCPRIM_400000_NS6detail17trampoline_kernelINS0_14default_configENS1_36segmented_radix_sort_config_selectorIdlEEZNS1_25segmented_radix_sort_implIS3_Lb0EPKdPdPKlPlN2at6native12_GLOBAL__N_18offset_tEEE10hipError_tPvRmT1_PNSt15iterator_traitsISK_E10value_typeET2_T3_PNSL_ISQ_E10value_typeET4_jRbjT5_SW_jjP12ihipStream_tbEUlT_E_NS1_11comp_targetILNS1_3genE4ELNS1_11target_archE910ELNS1_3gpuE8ELNS1_3repE0EEENS1_30default_config_static_selectorELNS0_4arch9wavefront6targetE0EEEvSK_.private_seg_size, 0
	.set _ZN7rocprim17ROCPRIM_400000_NS6detail17trampoline_kernelINS0_14default_configENS1_36segmented_radix_sort_config_selectorIdlEEZNS1_25segmented_radix_sort_implIS3_Lb0EPKdPdPKlPlN2at6native12_GLOBAL__N_18offset_tEEE10hipError_tPvRmT1_PNSt15iterator_traitsISK_E10value_typeET2_T3_PNSL_ISQ_E10value_typeET4_jRbjT5_SW_jjP12ihipStream_tbEUlT_E_NS1_11comp_targetILNS1_3genE4ELNS1_11target_archE910ELNS1_3gpuE8ELNS1_3repE0EEENS1_30default_config_static_selectorELNS0_4arch9wavefront6targetE0EEEvSK_.uses_vcc, 0
	.set _ZN7rocprim17ROCPRIM_400000_NS6detail17trampoline_kernelINS0_14default_configENS1_36segmented_radix_sort_config_selectorIdlEEZNS1_25segmented_radix_sort_implIS3_Lb0EPKdPdPKlPlN2at6native12_GLOBAL__N_18offset_tEEE10hipError_tPvRmT1_PNSt15iterator_traitsISK_E10value_typeET2_T3_PNSL_ISQ_E10value_typeET4_jRbjT5_SW_jjP12ihipStream_tbEUlT_E_NS1_11comp_targetILNS1_3genE4ELNS1_11target_archE910ELNS1_3gpuE8ELNS1_3repE0EEENS1_30default_config_static_selectorELNS0_4arch9wavefront6targetE0EEEvSK_.uses_flat_scratch, 0
	.set _ZN7rocprim17ROCPRIM_400000_NS6detail17trampoline_kernelINS0_14default_configENS1_36segmented_radix_sort_config_selectorIdlEEZNS1_25segmented_radix_sort_implIS3_Lb0EPKdPdPKlPlN2at6native12_GLOBAL__N_18offset_tEEE10hipError_tPvRmT1_PNSt15iterator_traitsISK_E10value_typeET2_T3_PNSL_ISQ_E10value_typeET4_jRbjT5_SW_jjP12ihipStream_tbEUlT_E_NS1_11comp_targetILNS1_3genE4ELNS1_11target_archE910ELNS1_3gpuE8ELNS1_3repE0EEENS1_30default_config_static_selectorELNS0_4arch9wavefront6targetE0EEEvSK_.has_dyn_sized_stack, 0
	.set _ZN7rocprim17ROCPRIM_400000_NS6detail17trampoline_kernelINS0_14default_configENS1_36segmented_radix_sort_config_selectorIdlEEZNS1_25segmented_radix_sort_implIS3_Lb0EPKdPdPKlPlN2at6native12_GLOBAL__N_18offset_tEEE10hipError_tPvRmT1_PNSt15iterator_traitsISK_E10value_typeET2_T3_PNSL_ISQ_E10value_typeET4_jRbjT5_SW_jjP12ihipStream_tbEUlT_E_NS1_11comp_targetILNS1_3genE4ELNS1_11target_archE910ELNS1_3gpuE8ELNS1_3repE0EEENS1_30default_config_static_selectorELNS0_4arch9wavefront6targetE0EEEvSK_.has_recursion, 0
	.set _ZN7rocprim17ROCPRIM_400000_NS6detail17trampoline_kernelINS0_14default_configENS1_36segmented_radix_sort_config_selectorIdlEEZNS1_25segmented_radix_sort_implIS3_Lb0EPKdPdPKlPlN2at6native12_GLOBAL__N_18offset_tEEE10hipError_tPvRmT1_PNSt15iterator_traitsISK_E10value_typeET2_T3_PNSL_ISQ_E10value_typeET4_jRbjT5_SW_jjP12ihipStream_tbEUlT_E_NS1_11comp_targetILNS1_3genE4ELNS1_11target_archE910ELNS1_3gpuE8ELNS1_3repE0EEENS1_30default_config_static_selectorELNS0_4arch9wavefront6targetE0EEEvSK_.has_indirect_call, 0
	.section	.AMDGPU.csdata,"",@progbits
; Kernel info:
; codeLenInByte = 0
; TotalNumSgprs: 0
; NumVgprs: 0
; ScratchSize: 0
; MemoryBound: 0
; FloatMode: 240
; IeeeMode: 1
; LDSByteSize: 0 bytes/workgroup (compile time only)
; SGPRBlocks: 0
; VGPRBlocks: 0
; NumSGPRsForWavesPerEU: 1
; NumVGPRsForWavesPerEU: 1
; Occupancy: 16
; WaveLimiterHint : 0
; COMPUTE_PGM_RSRC2:SCRATCH_EN: 0
; COMPUTE_PGM_RSRC2:USER_SGPR: 2
; COMPUTE_PGM_RSRC2:TRAP_HANDLER: 0
; COMPUTE_PGM_RSRC2:TGID_X_EN: 1
; COMPUTE_PGM_RSRC2:TGID_Y_EN: 0
; COMPUTE_PGM_RSRC2:TGID_Z_EN: 0
; COMPUTE_PGM_RSRC2:TIDIG_COMP_CNT: 0
	.section	.text._ZN7rocprim17ROCPRIM_400000_NS6detail17trampoline_kernelINS0_14default_configENS1_36segmented_radix_sort_config_selectorIdlEEZNS1_25segmented_radix_sort_implIS3_Lb0EPKdPdPKlPlN2at6native12_GLOBAL__N_18offset_tEEE10hipError_tPvRmT1_PNSt15iterator_traitsISK_E10value_typeET2_T3_PNSL_ISQ_E10value_typeET4_jRbjT5_SW_jjP12ihipStream_tbEUlT_E_NS1_11comp_targetILNS1_3genE3ELNS1_11target_archE908ELNS1_3gpuE7ELNS1_3repE0EEENS1_30default_config_static_selectorELNS0_4arch9wavefront6targetE0EEEvSK_,"axG",@progbits,_ZN7rocprim17ROCPRIM_400000_NS6detail17trampoline_kernelINS0_14default_configENS1_36segmented_radix_sort_config_selectorIdlEEZNS1_25segmented_radix_sort_implIS3_Lb0EPKdPdPKlPlN2at6native12_GLOBAL__N_18offset_tEEE10hipError_tPvRmT1_PNSt15iterator_traitsISK_E10value_typeET2_T3_PNSL_ISQ_E10value_typeET4_jRbjT5_SW_jjP12ihipStream_tbEUlT_E_NS1_11comp_targetILNS1_3genE3ELNS1_11target_archE908ELNS1_3gpuE7ELNS1_3repE0EEENS1_30default_config_static_selectorELNS0_4arch9wavefront6targetE0EEEvSK_,comdat
	.globl	_ZN7rocprim17ROCPRIM_400000_NS6detail17trampoline_kernelINS0_14default_configENS1_36segmented_radix_sort_config_selectorIdlEEZNS1_25segmented_radix_sort_implIS3_Lb0EPKdPdPKlPlN2at6native12_GLOBAL__N_18offset_tEEE10hipError_tPvRmT1_PNSt15iterator_traitsISK_E10value_typeET2_T3_PNSL_ISQ_E10value_typeET4_jRbjT5_SW_jjP12ihipStream_tbEUlT_E_NS1_11comp_targetILNS1_3genE3ELNS1_11target_archE908ELNS1_3gpuE7ELNS1_3repE0EEENS1_30default_config_static_selectorELNS0_4arch9wavefront6targetE0EEEvSK_ ; -- Begin function _ZN7rocprim17ROCPRIM_400000_NS6detail17trampoline_kernelINS0_14default_configENS1_36segmented_radix_sort_config_selectorIdlEEZNS1_25segmented_radix_sort_implIS3_Lb0EPKdPdPKlPlN2at6native12_GLOBAL__N_18offset_tEEE10hipError_tPvRmT1_PNSt15iterator_traitsISK_E10value_typeET2_T3_PNSL_ISQ_E10value_typeET4_jRbjT5_SW_jjP12ihipStream_tbEUlT_E_NS1_11comp_targetILNS1_3genE3ELNS1_11target_archE908ELNS1_3gpuE7ELNS1_3repE0EEENS1_30default_config_static_selectorELNS0_4arch9wavefront6targetE0EEEvSK_
	.p2align	8
	.type	_ZN7rocprim17ROCPRIM_400000_NS6detail17trampoline_kernelINS0_14default_configENS1_36segmented_radix_sort_config_selectorIdlEEZNS1_25segmented_radix_sort_implIS3_Lb0EPKdPdPKlPlN2at6native12_GLOBAL__N_18offset_tEEE10hipError_tPvRmT1_PNSt15iterator_traitsISK_E10value_typeET2_T3_PNSL_ISQ_E10value_typeET4_jRbjT5_SW_jjP12ihipStream_tbEUlT_E_NS1_11comp_targetILNS1_3genE3ELNS1_11target_archE908ELNS1_3gpuE7ELNS1_3repE0EEENS1_30default_config_static_selectorELNS0_4arch9wavefront6targetE0EEEvSK_,@function
_ZN7rocprim17ROCPRIM_400000_NS6detail17trampoline_kernelINS0_14default_configENS1_36segmented_radix_sort_config_selectorIdlEEZNS1_25segmented_radix_sort_implIS3_Lb0EPKdPdPKlPlN2at6native12_GLOBAL__N_18offset_tEEE10hipError_tPvRmT1_PNSt15iterator_traitsISK_E10value_typeET2_T3_PNSL_ISQ_E10value_typeET4_jRbjT5_SW_jjP12ihipStream_tbEUlT_E_NS1_11comp_targetILNS1_3genE3ELNS1_11target_archE908ELNS1_3gpuE7ELNS1_3repE0EEENS1_30default_config_static_selectorELNS0_4arch9wavefront6targetE0EEEvSK_: ; @_ZN7rocprim17ROCPRIM_400000_NS6detail17trampoline_kernelINS0_14default_configENS1_36segmented_radix_sort_config_selectorIdlEEZNS1_25segmented_radix_sort_implIS3_Lb0EPKdPdPKlPlN2at6native12_GLOBAL__N_18offset_tEEE10hipError_tPvRmT1_PNSt15iterator_traitsISK_E10value_typeET2_T3_PNSL_ISQ_E10value_typeET4_jRbjT5_SW_jjP12ihipStream_tbEUlT_E_NS1_11comp_targetILNS1_3genE3ELNS1_11target_archE908ELNS1_3gpuE7ELNS1_3repE0EEENS1_30default_config_static_selectorELNS0_4arch9wavefront6targetE0EEEvSK_
; %bb.0:
	.section	.rodata,"a",@progbits
	.p2align	6, 0x0
	.amdhsa_kernel _ZN7rocprim17ROCPRIM_400000_NS6detail17trampoline_kernelINS0_14default_configENS1_36segmented_radix_sort_config_selectorIdlEEZNS1_25segmented_radix_sort_implIS3_Lb0EPKdPdPKlPlN2at6native12_GLOBAL__N_18offset_tEEE10hipError_tPvRmT1_PNSt15iterator_traitsISK_E10value_typeET2_T3_PNSL_ISQ_E10value_typeET4_jRbjT5_SW_jjP12ihipStream_tbEUlT_E_NS1_11comp_targetILNS1_3genE3ELNS1_11target_archE908ELNS1_3gpuE7ELNS1_3repE0EEENS1_30default_config_static_selectorELNS0_4arch9wavefront6targetE0EEEvSK_
		.amdhsa_group_segment_fixed_size 0
		.amdhsa_private_segment_fixed_size 0
		.amdhsa_kernarg_size 96
		.amdhsa_user_sgpr_count 2
		.amdhsa_user_sgpr_dispatch_ptr 0
		.amdhsa_user_sgpr_queue_ptr 0
		.amdhsa_user_sgpr_kernarg_segment_ptr 1
		.amdhsa_user_sgpr_dispatch_id 0
		.amdhsa_user_sgpr_private_segment_size 0
		.amdhsa_wavefront_size32 1
		.amdhsa_uses_dynamic_stack 0
		.amdhsa_enable_private_segment 0
		.amdhsa_system_sgpr_workgroup_id_x 1
		.amdhsa_system_sgpr_workgroup_id_y 0
		.amdhsa_system_sgpr_workgroup_id_z 0
		.amdhsa_system_sgpr_workgroup_info 0
		.amdhsa_system_vgpr_workitem_id 0
		.amdhsa_next_free_vgpr 1
		.amdhsa_next_free_sgpr 1
		.amdhsa_reserve_vcc 0
		.amdhsa_float_round_mode_32 0
		.amdhsa_float_round_mode_16_64 0
		.amdhsa_float_denorm_mode_32 3
		.amdhsa_float_denorm_mode_16_64 3
		.amdhsa_fp16_overflow 0
		.amdhsa_workgroup_processor_mode 1
		.amdhsa_memory_ordered 1
		.amdhsa_forward_progress 1
		.amdhsa_inst_pref_size 0
		.amdhsa_round_robin_scheduling 0
		.amdhsa_exception_fp_ieee_invalid_op 0
		.amdhsa_exception_fp_denorm_src 0
		.amdhsa_exception_fp_ieee_div_zero 0
		.amdhsa_exception_fp_ieee_overflow 0
		.amdhsa_exception_fp_ieee_underflow 0
		.amdhsa_exception_fp_ieee_inexact 0
		.amdhsa_exception_int_div_zero 0
	.end_amdhsa_kernel
	.section	.text._ZN7rocprim17ROCPRIM_400000_NS6detail17trampoline_kernelINS0_14default_configENS1_36segmented_radix_sort_config_selectorIdlEEZNS1_25segmented_radix_sort_implIS3_Lb0EPKdPdPKlPlN2at6native12_GLOBAL__N_18offset_tEEE10hipError_tPvRmT1_PNSt15iterator_traitsISK_E10value_typeET2_T3_PNSL_ISQ_E10value_typeET4_jRbjT5_SW_jjP12ihipStream_tbEUlT_E_NS1_11comp_targetILNS1_3genE3ELNS1_11target_archE908ELNS1_3gpuE7ELNS1_3repE0EEENS1_30default_config_static_selectorELNS0_4arch9wavefront6targetE0EEEvSK_,"axG",@progbits,_ZN7rocprim17ROCPRIM_400000_NS6detail17trampoline_kernelINS0_14default_configENS1_36segmented_radix_sort_config_selectorIdlEEZNS1_25segmented_radix_sort_implIS3_Lb0EPKdPdPKlPlN2at6native12_GLOBAL__N_18offset_tEEE10hipError_tPvRmT1_PNSt15iterator_traitsISK_E10value_typeET2_T3_PNSL_ISQ_E10value_typeET4_jRbjT5_SW_jjP12ihipStream_tbEUlT_E_NS1_11comp_targetILNS1_3genE3ELNS1_11target_archE908ELNS1_3gpuE7ELNS1_3repE0EEENS1_30default_config_static_selectorELNS0_4arch9wavefront6targetE0EEEvSK_,comdat
.Lfunc_end1224:
	.size	_ZN7rocprim17ROCPRIM_400000_NS6detail17trampoline_kernelINS0_14default_configENS1_36segmented_radix_sort_config_selectorIdlEEZNS1_25segmented_radix_sort_implIS3_Lb0EPKdPdPKlPlN2at6native12_GLOBAL__N_18offset_tEEE10hipError_tPvRmT1_PNSt15iterator_traitsISK_E10value_typeET2_T3_PNSL_ISQ_E10value_typeET4_jRbjT5_SW_jjP12ihipStream_tbEUlT_E_NS1_11comp_targetILNS1_3genE3ELNS1_11target_archE908ELNS1_3gpuE7ELNS1_3repE0EEENS1_30default_config_static_selectorELNS0_4arch9wavefront6targetE0EEEvSK_, .Lfunc_end1224-_ZN7rocprim17ROCPRIM_400000_NS6detail17trampoline_kernelINS0_14default_configENS1_36segmented_radix_sort_config_selectorIdlEEZNS1_25segmented_radix_sort_implIS3_Lb0EPKdPdPKlPlN2at6native12_GLOBAL__N_18offset_tEEE10hipError_tPvRmT1_PNSt15iterator_traitsISK_E10value_typeET2_T3_PNSL_ISQ_E10value_typeET4_jRbjT5_SW_jjP12ihipStream_tbEUlT_E_NS1_11comp_targetILNS1_3genE3ELNS1_11target_archE908ELNS1_3gpuE7ELNS1_3repE0EEENS1_30default_config_static_selectorELNS0_4arch9wavefront6targetE0EEEvSK_
                                        ; -- End function
	.set _ZN7rocprim17ROCPRIM_400000_NS6detail17trampoline_kernelINS0_14default_configENS1_36segmented_radix_sort_config_selectorIdlEEZNS1_25segmented_radix_sort_implIS3_Lb0EPKdPdPKlPlN2at6native12_GLOBAL__N_18offset_tEEE10hipError_tPvRmT1_PNSt15iterator_traitsISK_E10value_typeET2_T3_PNSL_ISQ_E10value_typeET4_jRbjT5_SW_jjP12ihipStream_tbEUlT_E_NS1_11comp_targetILNS1_3genE3ELNS1_11target_archE908ELNS1_3gpuE7ELNS1_3repE0EEENS1_30default_config_static_selectorELNS0_4arch9wavefront6targetE0EEEvSK_.num_vgpr, 0
	.set _ZN7rocprim17ROCPRIM_400000_NS6detail17trampoline_kernelINS0_14default_configENS1_36segmented_radix_sort_config_selectorIdlEEZNS1_25segmented_radix_sort_implIS3_Lb0EPKdPdPKlPlN2at6native12_GLOBAL__N_18offset_tEEE10hipError_tPvRmT1_PNSt15iterator_traitsISK_E10value_typeET2_T3_PNSL_ISQ_E10value_typeET4_jRbjT5_SW_jjP12ihipStream_tbEUlT_E_NS1_11comp_targetILNS1_3genE3ELNS1_11target_archE908ELNS1_3gpuE7ELNS1_3repE0EEENS1_30default_config_static_selectorELNS0_4arch9wavefront6targetE0EEEvSK_.num_agpr, 0
	.set _ZN7rocprim17ROCPRIM_400000_NS6detail17trampoline_kernelINS0_14default_configENS1_36segmented_radix_sort_config_selectorIdlEEZNS1_25segmented_radix_sort_implIS3_Lb0EPKdPdPKlPlN2at6native12_GLOBAL__N_18offset_tEEE10hipError_tPvRmT1_PNSt15iterator_traitsISK_E10value_typeET2_T3_PNSL_ISQ_E10value_typeET4_jRbjT5_SW_jjP12ihipStream_tbEUlT_E_NS1_11comp_targetILNS1_3genE3ELNS1_11target_archE908ELNS1_3gpuE7ELNS1_3repE0EEENS1_30default_config_static_selectorELNS0_4arch9wavefront6targetE0EEEvSK_.numbered_sgpr, 0
	.set _ZN7rocprim17ROCPRIM_400000_NS6detail17trampoline_kernelINS0_14default_configENS1_36segmented_radix_sort_config_selectorIdlEEZNS1_25segmented_radix_sort_implIS3_Lb0EPKdPdPKlPlN2at6native12_GLOBAL__N_18offset_tEEE10hipError_tPvRmT1_PNSt15iterator_traitsISK_E10value_typeET2_T3_PNSL_ISQ_E10value_typeET4_jRbjT5_SW_jjP12ihipStream_tbEUlT_E_NS1_11comp_targetILNS1_3genE3ELNS1_11target_archE908ELNS1_3gpuE7ELNS1_3repE0EEENS1_30default_config_static_selectorELNS0_4arch9wavefront6targetE0EEEvSK_.num_named_barrier, 0
	.set _ZN7rocprim17ROCPRIM_400000_NS6detail17trampoline_kernelINS0_14default_configENS1_36segmented_radix_sort_config_selectorIdlEEZNS1_25segmented_radix_sort_implIS3_Lb0EPKdPdPKlPlN2at6native12_GLOBAL__N_18offset_tEEE10hipError_tPvRmT1_PNSt15iterator_traitsISK_E10value_typeET2_T3_PNSL_ISQ_E10value_typeET4_jRbjT5_SW_jjP12ihipStream_tbEUlT_E_NS1_11comp_targetILNS1_3genE3ELNS1_11target_archE908ELNS1_3gpuE7ELNS1_3repE0EEENS1_30default_config_static_selectorELNS0_4arch9wavefront6targetE0EEEvSK_.private_seg_size, 0
	.set _ZN7rocprim17ROCPRIM_400000_NS6detail17trampoline_kernelINS0_14default_configENS1_36segmented_radix_sort_config_selectorIdlEEZNS1_25segmented_radix_sort_implIS3_Lb0EPKdPdPKlPlN2at6native12_GLOBAL__N_18offset_tEEE10hipError_tPvRmT1_PNSt15iterator_traitsISK_E10value_typeET2_T3_PNSL_ISQ_E10value_typeET4_jRbjT5_SW_jjP12ihipStream_tbEUlT_E_NS1_11comp_targetILNS1_3genE3ELNS1_11target_archE908ELNS1_3gpuE7ELNS1_3repE0EEENS1_30default_config_static_selectorELNS0_4arch9wavefront6targetE0EEEvSK_.uses_vcc, 0
	.set _ZN7rocprim17ROCPRIM_400000_NS6detail17trampoline_kernelINS0_14default_configENS1_36segmented_radix_sort_config_selectorIdlEEZNS1_25segmented_radix_sort_implIS3_Lb0EPKdPdPKlPlN2at6native12_GLOBAL__N_18offset_tEEE10hipError_tPvRmT1_PNSt15iterator_traitsISK_E10value_typeET2_T3_PNSL_ISQ_E10value_typeET4_jRbjT5_SW_jjP12ihipStream_tbEUlT_E_NS1_11comp_targetILNS1_3genE3ELNS1_11target_archE908ELNS1_3gpuE7ELNS1_3repE0EEENS1_30default_config_static_selectorELNS0_4arch9wavefront6targetE0EEEvSK_.uses_flat_scratch, 0
	.set _ZN7rocprim17ROCPRIM_400000_NS6detail17trampoline_kernelINS0_14default_configENS1_36segmented_radix_sort_config_selectorIdlEEZNS1_25segmented_radix_sort_implIS3_Lb0EPKdPdPKlPlN2at6native12_GLOBAL__N_18offset_tEEE10hipError_tPvRmT1_PNSt15iterator_traitsISK_E10value_typeET2_T3_PNSL_ISQ_E10value_typeET4_jRbjT5_SW_jjP12ihipStream_tbEUlT_E_NS1_11comp_targetILNS1_3genE3ELNS1_11target_archE908ELNS1_3gpuE7ELNS1_3repE0EEENS1_30default_config_static_selectorELNS0_4arch9wavefront6targetE0EEEvSK_.has_dyn_sized_stack, 0
	.set _ZN7rocprim17ROCPRIM_400000_NS6detail17trampoline_kernelINS0_14default_configENS1_36segmented_radix_sort_config_selectorIdlEEZNS1_25segmented_radix_sort_implIS3_Lb0EPKdPdPKlPlN2at6native12_GLOBAL__N_18offset_tEEE10hipError_tPvRmT1_PNSt15iterator_traitsISK_E10value_typeET2_T3_PNSL_ISQ_E10value_typeET4_jRbjT5_SW_jjP12ihipStream_tbEUlT_E_NS1_11comp_targetILNS1_3genE3ELNS1_11target_archE908ELNS1_3gpuE7ELNS1_3repE0EEENS1_30default_config_static_selectorELNS0_4arch9wavefront6targetE0EEEvSK_.has_recursion, 0
	.set _ZN7rocprim17ROCPRIM_400000_NS6detail17trampoline_kernelINS0_14default_configENS1_36segmented_radix_sort_config_selectorIdlEEZNS1_25segmented_radix_sort_implIS3_Lb0EPKdPdPKlPlN2at6native12_GLOBAL__N_18offset_tEEE10hipError_tPvRmT1_PNSt15iterator_traitsISK_E10value_typeET2_T3_PNSL_ISQ_E10value_typeET4_jRbjT5_SW_jjP12ihipStream_tbEUlT_E_NS1_11comp_targetILNS1_3genE3ELNS1_11target_archE908ELNS1_3gpuE7ELNS1_3repE0EEENS1_30default_config_static_selectorELNS0_4arch9wavefront6targetE0EEEvSK_.has_indirect_call, 0
	.section	.AMDGPU.csdata,"",@progbits
; Kernel info:
; codeLenInByte = 0
; TotalNumSgprs: 0
; NumVgprs: 0
; ScratchSize: 0
; MemoryBound: 0
; FloatMode: 240
; IeeeMode: 1
; LDSByteSize: 0 bytes/workgroup (compile time only)
; SGPRBlocks: 0
; VGPRBlocks: 0
; NumSGPRsForWavesPerEU: 1
; NumVGPRsForWavesPerEU: 1
; Occupancy: 16
; WaveLimiterHint : 0
; COMPUTE_PGM_RSRC2:SCRATCH_EN: 0
; COMPUTE_PGM_RSRC2:USER_SGPR: 2
; COMPUTE_PGM_RSRC2:TRAP_HANDLER: 0
; COMPUTE_PGM_RSRC2:TGID_X_EN: 1
; COMPUTE_PGM_RSRC2:TGID_Y_EN: 0
; COMPUTE_PGM_RSRC2:TGID_Z_EN: 0
; COMPUTE_PGM_RSRC2:TIDIG_COMP_CNT: 0
	.section	.text._ZN7rocprim17ROCPRIM_400000_NS6detail17trampoline_kernelINS0_14default_configENS1_36segmented_radix_sort_config_selectorIdlEEZNS1_25segmented_radix_sort_implIS3_Lb0EPKdPdPKlPlN2at6native12_GLOBAL__N_18offset_tEEE10hipError_tPvRmT1_PNSt15iterator_traitsISK_E10value_typeET2_T3_PNSL_ISQ_E10value_typeET4_jRbjT5_SW_jjP12ihipStream_tbEUlT_E_NS1_11comp_targetILNS1_3genE2ELNS1_11target_archE906ELNS1_3gpuE6ELNS1_3repE0EEENS1_30default_config_static_selectorELNS0_4arch9wavefront6targetE0EEEvSK_,"axG",@progbits,_ZN7rocprim17ROCPRIM_400000_NS6detail17trampoline_kernelINS0_14default_configENS1_36segmented_radix_sort_config_selectorIdlEEZNS1_25segmented_radix_sort_implIS3_Lb0EPKdPdPKlPlN2at6native12_GLOBAL__N_18offset_tEEE10hipError_tPvRmT1_PNSt15iterator_traitsISK_E10value_typeET2_T3_PNSL_ISQ_E10value_typeET4_jRbjT5_SW_jjP12ihipStream_tbEUlT_E_NS1_11comp_targetILNS1_3genE2ELNS1_11target_archE906ELNS1_3gpuE6ELNS1_3repE0EEENS1_30default_config_static_selectorELNS0_4arch9wavefront6targetE0EEEvSK_,comdat
	.globl	_ZN7rocprim17ROCPRIM_400000_NS6detail17trampoline_kernelINS0_14default_configENS1_36segmented_radix_sort_config_selectorIdlEEZNS1_25segmented_radix_sort_implIS3_Lb0EPKdPdPKlPlN2at6native12_GLOBAL__N_18offset_tEEE10hipError_tPvRmT1_PNSt15iterator_traitsISK_E10value_typeET2_T3_PNSL_ISQ_E10value_typeET4_jRbjT5_SW_jjP12ihipStream_tbEUlT_E_NS1_11comp_targetILNS1_3genE2ELNS1_11target_archE906ELNS1_3gpuE6ELNS1_3repE0EEENS1_30default_config_static_selectorELNS0_4arch9wavefront6targetE0EEEvSK_ ; -- Begin function _ZN7rocprim17ROCPRIM_400000_NS6detail17trampoline_kernelINS0_14default_configENS1_36segmented_radix_sort_config_selectorIdlEEZNS1_25segmented_radix_sort_implIS3_Lb0EPKdPdPKlPlN2at6native12_GLOBAL__N_18offset_tEEE10hipError_tPvRmT1_PNSt15iterator_traitsISK_E10value_typeET2_T3_PNSL_ISQ_E10value_typeET4_jRbjT5_SW_jjP12ihipStream_tbEUlT_E_NS1_11comp_targetILNS1_3genE2ELNS1_11target_archE906ELNS1_3gpuE6ELNS1_3repE0EEENS1_30default_config_static_selectorELNS0_4arch9wavefront6targetE0EEEvSK_
	.p2align	8
	.type	_ZN7rocprim17ROCPRIM_400000_NS6detail17trampoline_kernelINS0_14default_configENS1_36segmented_radix_sort_config_selectorIdlEEZNS1_25segmented_radix_sort_implIS3_Lb0EPKdPdPKlPlN2at6native12_GLOBAL__N_18offset_tEEE10hipError_tPvRmT1_PNSt15iterator_traitsISK_E10value_typeET2_T3_PNSL_ISQ_E10value_typeET4_jRbjT5_SW_jjP12ihipStream_tbEUlT_E_NS1_11comp_targetILNS1_3genE2ELNS1_11target_archE906ELNS1_3gpuE6ELNS1_3repE0EEENS1_30default_config_static_selectorELNS0_4arch9wavefront6targetE0EEEvSK_,@function
_ZN7rocprim17ROCPRIM_400000_NS6detail17trampoline_kernelINS0_14default_configENS1_36segmented_radix_sort_config_selectorIdlEEZNS1_25segmented_radix_sort_implIS3_Lb0EPKdPdPKlPlN2at6native12_GLOBAL__N_18offset_tEEE10hipError_tPvRmT1_PNSt15iterator_traitsISK_E10value_typeET2_T3_PNSL_ISQ_E10value_typeET4_jRbjT5_SW_jjP12ihipStream_tbEUlT_E_NS1_11comp_targetILNS1_3genE2ELNS1_11target_archE906ELNS1_3gpuE6ELNS1_3repE0EEENS1_30default_config_static_selectorELNS0_4arch9wavefront6targetE0EEEvSK_: ; @_ZN7rocprim17ROCPRIM_400000_NS6detail17trampoline_kernelINS0_14default_configENS1_36segmented_radix_sort_config_selectorIdlEEZNS1_25segmented_radix_sort_implIS3_Lb0EPKdPdPKlPlN2at6native12_GLOBAL__N_18offset_tEEE10hipError_tPvRmT1_PNSt15iterator_traitsISK_E10value_typeET2_T3_PNSL_ISQ_E10value_typeET4_jRbjT5_SW_jjP12ihipStream_tbEUlT_E_NS1_11comp_targetILNS1_3genE2ELNS1_11target_archE906ELNS1_3gpuE6ELNS1_3repE0EEENS1_30default_config_static_selectorELNS0_4arch9wavefront6targetE0EEEvSK_
; %bb.0:
	.section	.rodata,"a",@progbits
	.p2align	6, 0x0
	.amdhsa_kernel _ZN7rocprim17ROCPRIM_400000_NS6detail17trampoline_kernelINS0_14default_configENS1_36segmented_radix_sort_config_selectorIdlEEZNS1_25segmented_radix_sort_implIS3_Lb0EPKdPdPKlPlN2at6native12_GLOBAL__N_18offset_tEEE10hipError_tPvRmT1_PNSt15iterator_traitsISK_E10value_typeET2_T3_PNSL_ISQ_E10value_typeET4_jRbjT5_SW_jjP12ihipStream_tbEUlT_E_NS1_11comp_targetILNS1_3genE2ELNS1_11target_archE906ELNS1_3gpuE6ELNS1_3repE0EEENS1_30default_config_static_selectorELNS0_4arch9wavefront6targetE0EEEvSK_
		.amdhsa_group_segment_fixed_size 0
		.amdhsa_private_segment_fixed_size 0
		.amdhsa_kernarg_size 96
		.amdhsa_user_sgpr_count 2
		.amdhsa_user_sgpr_dispatch_ptr 0
		.amdhsa_user_sgpr_queue_ptr 0
		.amdhsa_user_sgpr_kernarg_segment_ptr 1
		.amdhsa_user_sgpr_dispatch_id 0
		.amdhsa_user_sgpr_private_segment_size 0
		.amdhsa_wavefront_size32 1
		.amdhsa_uses_dynamic_stack 0
		.amdhsa_enable_private_segment 0
		.amdhsa_system_sgpr_workgroup_id_x 1
		.amdhsa_system_sgpr_workgroup_id_y 0
		.amdhsa_system_sgpr_workgroup_id_z 0
		.amdhsa_system_sgpr_workgroup_info 0
		.amdhsa_system_vgpr_workitem_id 0
		.amdhsa_next_free_vgpr 1
		.amdhsa_next_free_sgpr 1
		.amdhsa_reserve_vcc 0
		.amdhsa_float_round_mode_32 0
		.amdhsa_float_round_mode_16_64 0
		.amdhsa_float_denorm_mode_32 3
		.amdhsa_float_denorm_mode_16_64 3
		.amdhsa_fp16_overflow 0
		.amdhsa_workgroup_processor_mode 1
		.amdhsa_memory_ordered 1
		.amdhsa_forward_progress 1
		.amdhsa_inst_pref_size 0
		.amdhsa_round_robin_scheduling 0
		.amdhsa_exception_fp_ieee_invalid_op 0
		.amdhsa_exception_fp_denorm_src 0
		.amdhsa_exception_fp_ieee_div_zero 0
		.amdhsa_exception_fp_ieee_overflow 0
		.amdhsa_exception_fp_ieee_underflow 0
		.amdhsa_exception_fp_ieee_inexact 0
		.amdhsa_exception_int_div_zero 0
	.end_amdhsa_kernel
	.section	.text._ZN7rocprim17ROCPRIM_400000_NS6detail17trampoline_kernelINS0_14default_configENS1_36segmented_radix_sort_config_selectorIdlEEZNS1_25segmented_radix_sort_implIS3_Lb0EPKdPdPKlPlN2at6native12_GLOBAL__N_18offset_tEEE10hipError_tPvRmT1_PNSt15iterator_traitsISK_E10value_typeET2_T3_PNSL_ISQ_E10value_typeET4_jRbjT5_SW_jjP12ihipStream_tbEUlT_E_NS1_11comp_targetILNS1_3genE2ELNS1_11target_archE906ELNS1_3gpuE6ELNS1_3repE0EEENS1_30default_config_static_selectorELNS0_4arch9wavefront6targetE0EEEvSK_,"axG",@progbits,_ZN7rocprim17ROCPRIM_400000_NS6detail17trampoline_kernelINS0_14default_configENS1_36segmented_radix_sort_config_selectorIdlEEZNS1_25segmented_radix_sort_implIS3_Lb0EPKdPdPKlPlN2at6native12_GLOBAL__N_18offset_tEEE10hipError_tPvRmT1_PNSt15iterator_traitsISK_E10value_typeET2_T3_PNSL_ISQ_E10value_typeET4_jRbjT5_SW_jjP12ihipStream_tbEUlT_E_NS1_11comp_targetILNS1_3genE2ELNS1_11target_archE906ELNS1_3gpuE6ELNS1_3repE0EEENS1_30default_config_static_selectorELNS0_4arch9wavefront6targetE0EEEvSK_,comdat
.Lfunc_end1225:
	.size	_ZN7rocprim17ROCPRIM_400000_NS6detail17trampoline_kernelINS0_14default_configENS1_36segmented_radix_sort_config_selectorIdlEEZNS1_25segmented_radix_sort_implIS3_Lb0EPKdPdPKlPlN2at6native12_GLOBAL__N_18offset_tEEE10hipError_tPvRmT1_PNSt15iterator_traitsISK_E10value_typeET2_T3_PNSL_ISQ_E10value_typeET4_jRbjT5_SW_jjP12ihipStream_tbEUlT_E_NS1_11comp_targetILNS1_3genE2ELNS1_11target_archE906ELNS1_3gpuE6ELNS1_3repE0EEENS1_30default_config_static_selectorELNS0_4arch9wavefront6targetE0EEEvSK_, .Lfunc_end1225-_ZN7rocprim17ROCPRIM_400000_NS6detail17trampoline_kernelINS0_14default_configENS1_36segmented_radix_sort_config_selectorIdlEEZNS1_25segmented_radix_sort_implIS3_Lb0EPKdPdPKlPlN2at6native12_GLOBAL__N_18offset_tEEE10hipError_tPvRmT1_PNSt15iterator_traitsISK_E10value_typeET2_T3_PNSL_ISQ_E10value_typeET4_jRbjT5_SW_jjP12ihipStream_tbEUlT_E_NS1_11comp_targetILNS1_3genE2ELNS1_11target_archE906ELNS1_3gpuE6ELNS1_3repE0EEENS1_30default_config_static_selectorELNS0_4arch9wavefront6targetE0EEEvSK_
                                        ; -- End function
	.set _ZN7rocprim17ROCPRIM_400000_NS6detail17trampoline_kernelINS0_14default_configENS1_36segmented_radix_sort_config_selectorIdlEEZNS1_25segmented_radix_sort_implIS3_Lb0EPKdPdPKlPlN2at6native12_GLOBAL__N_18offset_tEEE10hipError_tPvRmT1_PNSt15iterator_traitsISK_E10value_typeET2_T3_PNSL_ISQ_E10value_typeET4_jRbjT5_SW_jjP12ihipStream_tbEUlT_E_NS1_11comp_targetILNS1_3genE2ELNS1_11target_archE906ELNS1_3gpuE6ELNS1_3repE0EEENS1_30default_config_static_selectorELNS0_4arch9wavefront6targetE0EEEvSK_.num_vgpr, 0
	.set _ZN7rocprim17ROCPRIM_400000_NS6detail17trampoline_kernelINS0_14default_configENS1_36segmented_radix_sort_config_selectorIdlEEZNS1_25segmented_radix_sort_implIS3_Lb0EPKdPdPKlPlN2at6native12_GLOBAL__N_18offset_tEEE10hipError_tPvRmT1_PNSt15iterator_traitsISK_E10value_typeET2_T3_PNSL_ISQ_E10value_typeET4_jRbjT5_SW_jjP12ihipStream_tbEUlT_E_NS1_11comp_targetILNS1_3genE2ELNS1_11target_archE906ELNS1_3gpuE6ELNS1_3repE0EEENS1_30default_config_static_selectorELNS0_4arch9wavefront6targetE0EEEvSK_.num_agpr, 0
	.set _ZN7rocprim17ROCPRIM_400000_NS6detail17trampoline_kernelINS0_14default_configENS1_36segmented_radix_sort_config_selectorIdlEEZNS1_25segmented_radix_sort_implIS3_Lb0EPKdPdPKlPlN2at6native12_GLOBAL__N_18offset_tEEE10hipError_tPvRmT1_PNSt15iterator_traitsISK_E10value_typeET2_T3_PNSL_ISQ_E10value_typeET4_jRbjT5_SW_jjP12ihipStream_tbEUlT_E_NS1_11comp_targetILNS1_3genE2ELNS1_11target_archE906ELNS1_3gpuE6ELNS1_3repE0EEENS1_30default_config_static_selectorELNS0_4arch9wavefront6targetE0EEEvSK_.numbered_sgpr, 0
	.set _ZN7rocprim17ROCPRIM_400000_NS6detail17trampoline_kernelINS0_14default_configENS1_36segmented_radix_sort_config_selectorIdlEEZNS1_25segmented_radix_sort_implIS3_Lb0EPKdPdPKlPlN2at6native12_GLOBAL__N_18offset_tEEE10hipError_tPvRmT1_PNSt15iterator_traitsISK_E10value_typeET2_T3_PNSL_ISQ_E10value_typeET4_jRbjT5_SW_jjP12ihipStream_tbEUlT_E_NS1_11comp_targetILNS1_3genE2ELNS1_11target_archE906ELNS1_3gpuE6ELNS1_3repE0EEENS1_30default_config_static_selectorELNS0_4arch9wavefront6targetE0EEEvSK_.num_named_barrier, 0
	.set _ZN7rocprim17ROCPRIM_400000_NS6detail17trampoline_kernelINS0_14default_configENS1_36segmented_radix_sort_config_selectorIdlEEZNS1_25segmented_radix_sort_implIS3_Lb0EPKdPdPKlPlN2at6native12_GLOBAL__N_18offset_tEEE10hipError_tPvRmT1_PNSt15iterator_traitsISK_E10value_typeET2_T3_PNSL_ISQ_E10value_typeET4_jRbjT5_SW_jjP12ihipStream_tbEUlT_E_NS1_11comp_targetILNS1_3genE2ELNS1_11target_archE906ELNS1_3gpuE6ELNS1_3repE0EEENS1_30default_config_static_selectorELNS0_4arch9wavefront6targetE0EEEvSK_.private_seg_size, 0
	.set _ZN7rocprim17ROCPRIM_400000_NS6detail17trampoline_kernelINS0_14default_configENS1_36segmented_radix_sort_config_selectorIdlEEZNS1_25segmented_radix_sort_implIS3_Lb0EPKdPdPKlPlN2at6native12_GLOBAL__N_18offset_tEEE10hipError_tPvRmT1_PNSt15iterator_traitsISK_E10value_typeET2_T3_PNSL_ISQ_E10value_typeET4_jRbjT5_SW_jjP12ihipStream_tbEUlT_E_NS1_11comp_targetILNS1_3genE2ELNS1_11target_archE906ELNS1_3gpuE6ELNS1_3repE0EEENS1_30default_config_static_selectorELNS0_4arch9wavefront6targetE0EEEvSK_.uses_vcc, 0
	.set _ZN7rocprim17ROCPRIM_400000_NS6detail17trampoline_kernelINS0_14default_configENS1_36segmented_radix_sort_config_selectorIdlEEZNS1_25segmented_radix_sort_implIS3_Lb0EPKdPdPKlPlN2at6native12_GLOBAL__N_18offset_tEEE10hipError_tPvRmT1_PNSt15iterator_traitsISK_E10value_typeET2_T3_PNSL_ISQ_E10value_typeET4_jRbjT5_SW_jjP12ihipStream_tbEUlT_E_NS1_11comp_targetILNS1_3genE2ELNS1_11target_archE906ELNS1_3gpuE6ELNS1_3repE0EEENS1_30default_config_static_selectorELNS0_4arch9wavefront6targetE0EEEvSK_.uses_flat_scratch, 0
	.set _ZN7rocprim17ROCPRIM_400000_NS6detail17trampoline_kernelINS0_14default_configENS1_36segmented_radix_sort_config_selectorIdlEEZNS1_25segmented_radix_sort_implIS3_Lb0EPKdPdPKlPlN2at6native12_GLOBAL__N_18offset_tEEE10hipError_tPvRmT1_PNSt15iterator_traitsISK_E10value_typeET2_T3_PNSL_ISQ_E10value_typeET4_jRbjT5_SW_jjP12ihipStream_tbEUlT_E_NS1_11comp_targetILNS1_3genE2ELNS1_11target_archE906ELNS1_3gpuE6ELNS1_3repE0EEENS1_30default_config_static_selectorELNS0_4arch9wavefront6targetE0EEEvSK_.has_dyn_sized_stack, 0
	.set _ZN7rocprim17ROCPRIM_400000_NS6detail17trampoline_kernelINS0_14default_configENS1_36segmented_radix_sort_config_selectorIdlEEZNS1_25segmented_radix_sort_implIS3_Lb0EPKdPdPKlPlN2at6native12_GLOBAL__N_18offset_tEEE10hipError_tPvRmT1_PNSt15iterator_traitsISK_E10value_typeET2_T3_PNSL_ISQ_E10value_typeET4_jRbjT5_SW_jjP12ihipStream_tbEUlT_E_NS1_11comp_targetILNS1_3genE2ELNS1_11target_archE906ELNS1_3gpuE6ELNS1_3repE0EEENS1_30default_config_static_selectorELNS0_4arch9wavefront6targetE0EEEvSK_.has_recursion, 0
	.set _ZN7rocprim17ROCPRIM_400000_NS6detail17trampoline_kernelINS0_14default_configENS1_36segmented_radix_sort_config_selectorIdlEEZNS1_25segmented_radix_sort_implIS3_Lb0EPKdPdPKlPlN2at6native12_GLOBAL__N_18offset_tEEE10hipError_tPvRmT1_PNSt15iterator_traitsISK_E10value_typeET2_T3_PNSL_ISQ_E10value_typeET4_jRbjT5_SW_jjP12ihipStream_tbEUlT_E_NS1_11comp_targetILNS1_3genE2ELNS1_11target_archE906ELNS1_3gpuE6ELNS1_3repE0EEENS1_30default_config_static_selectorELNS0_4arch9wavefront6targetE0EEEvSK_.has_indirect_call, 0
	.section	.AMDGPU.csdata,"",@progbits
; Kernel info:
; codeLenInByte = 0
; TotalNumSgprs: 0
; NumVgprs: 0
; ScratchSize: 0
; MemoryBound: 0
; FloatMode: 240
; IeeeMode: 1
; LDSByteSize: 0 bytes/workgroup (compile time only)
; SGPRBlocks: 0
; VGPRBlocks: 0
; NumSGPRsForWavesPerEU: 1
; NumVGPRsForWavesPerEU: 1
; Occupancy: 16
; WaveLimiterHint : 0
; COMPUTE_PGM_RSRC2:SCRATCH_EN: 0
; COMPUTE_PGM_RSRC2:USER_SGPR: 2
; COMPUTE_PGM_RSRC2:TRAP_HANDLER: 0
; COMPUTE_PGM_RSRC2:TGID_X_EN: 1
; COMPUTE_PGM_RSRC2:TGID_Y_EN: 0
; COMPUTE_PGM_RSRC2:TGID_Z_EN: 0
; COMPUTE_PGM_RSRC2:TIDIG_COMP_CNT: 0
	.text
	.p2align	2                               ; -- Begin function _ZN7rocprim17ROCPRIM_400000_NS6detail40segmented_radix_sort_single_block_helperIdlLj256ELj16ELb0EE4sortIPKdPdPKlPlEEbT_T0_T1_T2_jjjjRNS3_12storage_typeE
	.type	_ZN7rocprim17ROCPRIM_400000_NS6detail40segmented_radix_sort_single_block_helperIdlLj256ELj16ELb0EE4sortIPKdPdPKlPlEEbT_T0_T1_T2_jjjjRNS3_12storage_typeE,@function
_ZN7rocprim17ROCPRIM_400000_NS6detail40segmented_radix_sort_single_block_helperIdlLj256ELj16ELb0EE4sortIPKdPdPKlPlEEbT_T0_T1_T2_jjjjRNS3_12storage_typeE: ; @_ZN7rocprim17ROCPRIM_400000_NS6detail40segmented_radix_sort_single_block_helperIdlLj256ELj16ELb0EE4sortIPKdPdPKlPlEEbT_T0_T1_T2_jjjjRNS3_12storage_typeE
; %bb.0:
	s_wait_loadcnt_dscnt 0x0
	s_wait_expcnt 0x0
	s_wait_samplecnt 0x0
	s_wait_bvhcnt 0x0
	s_wait_kmcnt 0x0
	s_clause 0x1f
	scratch_store_b32 off, v40, s32 offset:168
	; meta instruction
	scratch_store_b32 off, v41, s32 offset:164
	; meta instruction
	;; [unrolled: 2-line block ×31, first 2 shown]
	scratch_store_b32 off, v95, s32 offset:44
	s_clause 0xa
	scratch_store_b32 off, v104, s32 offset:40
	; meta instruction
	scratch_store_b32 off, v105, s32 offset:36
	; meta instruction
	;; [unrolled: 2-line block ×10, first 2 shown]
	scratch_store_b32 off, v122, s32
	v_sub_nc_u32_e32 v119, v9, v8
	s_mov_b32 s18, exec_lo
	s_delay_alu instid0(VALU_DEP_1)
	v_cmpx_gt_u32_e32 0x1001, v119
	s_cbranch_execz .LBB1226_372
; %bb.1:
	v_bfe_u32 v9, v31, 10, 10
	v_bfe_u32 v13, v31, 20, 10
	v_and_b32_e32 v21, 0x3ff, v31
	v_mbcnt_lo_u32_b32 v54, -1, 0
	s_mov_b32 s0, exec_lo
	v_cmpx_lt_u32_e32 0x800, v119
	s_wait_alu 0xfffe
	s_xor_b32 s19, exec_lo, s0
	s_cbranch_execz .LBB1226_143
; %bb.2:
	s_load_b64 s[0:1], s[8:9], 0x0
	s_and_b32 s2, ttmp7, 0xffff
	s_mov_b32 s3, 0
	v_bfrev_b32_e32 v14, -2
	v_lshlrev_b32_e32 v55, 3, v54
	s_wait_kmcnt 0x0
	s_wait_alu 0xfffe
	s_cmp_lt_u32 s2, s1
	s_cselect_b32 s2, 14, 20
	s_cmp_lt_u32 ttmp9, s0
	s_wait_alu 0xfffe
	s_add_nc_u64 s[4:5], s[8:9], s[2:3]
	s_cselect_b32 s2, 12, 18
	s_load_u16 s4, s[4:5], 0x0
	s_add_nc_u64 s[0:1], s[8:9], s[2:3]
	s_load_u16 s0, s[0:1], 0x0
	s_wait_kmcnt 0x0
	v_mad_u32_u24 v9, v13, s4, v9
	v_mov_b32_e32 v13, -1
	s_delay_alu instid0(VALU_DEP_2) | instskip(NEXT) | instid1(VALU_DEP_1)
	v_mad_co_u64_u32 v[114:115], null, v9, s0, v[21:22]
	v_lshlrev_b32_e32 v15, 4, v114
	v_mov_b32_e32 v9, 0
	s_delay_alu instid0(VALU_DEP_1) | instskip(NEXT) | instid1(VALU_DEP_3)
	v_lshlrev_b64_e32 v[112:113], 3, v[8:9]
	v_and_b32_e32 v8, 0xfffffe00, v15
	s_delay_alu instid0(VALU_DEP_1) | instskip(NEXT) | instid1(VALU_DEP_3)
	v_lshlrev_b64_e32 v[50:51], 3, v[8:9]
	v_add_co_u32 v0, vcc_lo, v0, v112
	s_wait_alu 0xfffd
	s_delay_alu instid0(VALU_DEP_4) | instskip(SKIP_1) | instid1(VALU_DEP_3)
	v_add_co_ci_u32_e64 v1, null, v1, v113, vcc_lo
	v_or_b32_e32 v64, v8, v54
	v_add_co_u32 v0, vcc_lo, v0, v55
	s_wait_alu 0xfffd
	s_delay_alu instid0(VALU_DEP_3) | instskip(NEXT) | instid1(VALU_DEP_3)
	v_add_co_ci_u32_e64 v1, null, 0, v1, vcc_lo
	v_cmp_lt_u32_e32 vcc_lo, v64, v119
	s_delay_alu instid0(VALU_DEP_3) | instskip(SKIP_1) | instid1(VALU_DEP_3)
	v_add_co_u32 v52, s0, v0, v50
	s_wait_alu 0xf1ff
	v_add_co_ci_u32_e64 v53, null, v1, v51, s0
	v_dual_mov_b32 v0, v13 :: v_dual_mov_b32 v1, v14
	s_and_saveexec_b32 s0, vcc_lo
	s_cbranch_execz .LBB1226_4
; %bb.3:
	flat_load_b64 v[0:1], v[52:53]
.LBB1226_4:
	s_wait_alu 0xfffe
	s_or_b32 exec_lo, exec_lo, s0
	v_or_b32_e32 v8, 32, v64
	s_delay_alu instid0(VALU_DEP_1)
	v_cmp_lt_u32_e64 s0, v8, v119
	s_and_saveexec_b32 s1, s0
	s_cbranch_execz .LBB1226_6
; %bb.5:
	flat_load_b64 v[13:14], v[52:53] offset:256
.LBB1226_6:
	s_wait_alu 0xfffe
	s_or_b32 exec_lo, exec_lo, s1
	v_or_b32_e32 v15, 64, v64
	v_mov_b32_e32 v8, -1
	v_bfrev_b32_e32 v9, -2
	s_delay_alu instid0(VALU_DEP_3) | instskip(NEXT) | instid1(VALU_DEP_2)
	v_cmp_lt_u32_e64 s1, v15, v119
	v_dual_mov_b32 v16, v9 :: v_dual_mov_b32 v15, v8
	s_and_saveexec_b32 s2, s1
	s_cbranch_execz .LBB1226_8
; %bb.7:
	flat_load_b64 v[15:16], v[52:53] offset:512
.LBB1226_8:
	s_wait_alu 0xfffe
	s_or_b32 exec_lo, exec_lo, s2
	v_or_b32_e32 v17, 0x60, v64
	s_delay_alu instid0(VALU_DEP_1)
	v_cmp_lt_u32_e64 s2, v17, v119
	s_and_saveexec_b32 s3, s2
	s_cbranch_execz .LBB1226_10
; %bb.9:
	flat_load_b64 v[8:9], v[52:53] offset:768
.LBB1226_10:
	s_wait_alu 0xfffe
	s_or_b32 exec_lo, exec_lo, s3
	v_or_b32_e32 v19, 0x80, v64
	v_mov_b32_e32 v17, -1
	v_bfrev_b32_e32 v18, -2
	s_delay_alu instid0(VALU_DEP_3) | instskip(NEXT) | instid1(VALU_DEP_2)
	v_cmp_lt_u32_e64 s3, v19, v119
	v_dual_mov_b32 v20, v18 :: v_dual_mov_b32 v19, v17
	s_and_saveexec_b32 s4, s3
	s_cbranch_execz .LBB1226_12
; %bb.11:
	flat_load_b64 v[19:20], v[52:53] offset:1024
.LBB1226_12:
	s_wait_alu 0xfffe
	s_or_b32 exec_lo, exec_lo, s4
	v_or_b32_e32 v22, 0xa0, v64
	s_delay_alu instid0(VALU_DEP_1)
	v_cmp_lt_u32_e64 s4, v22, v119
	s_and_saveexec_b32 s5, s4
	s_cbranch_execz .LBB1226_14
; %bb.13:
	flat_load_b64 v[17:18], v[52:53] offset:1280
.LBB1226_14:
	s_wait_alu 0xfffe
	s_or_b32 exec_lo, exec_lo, s5
	v_or_b32_e32 v24, 0xc0, v64
	v_mov_b32_e32 v22, -1
	v_bfrev_b32_e32 v23, -2
	s_delay_alu instid0(VALU_DEP_3) | instskip(NEXT) | instid1(VALU_DEP_2)
	v_cmp_lt_u32_e64 s5, v24, v119
	v_dual_mov_b32 v25, v23 :: v_dual_mov_b32 v24, v22
	s_and_saveexec_b32 s6, s5
	s_cbranch_execz .LBB1226_16
; %bb.15:
	flat_load_b64 v[24:25], v[52:53] offset:1536
.LBB1226_16:
	s_wait_alu 0xfffe
	s_or_b32 exec_lo, exec_lo, s6
	v_or_b32_e32 v26, 0xe0, v64
	s_delay_alu instid0(VALU_DEP_1)
	v_cmp_lt_u32_e64 s6, v26, v119
	s_and_saveexec_b32 s7, s6
	s_cbranch_execz .LBB1226_18
; %bb.17:
	flat_load_b64 v[22:23], v[52:53] offset:1792
.LBB1226_18:
	s_wait_alu 0xfffe
	s_or_b32 exec_lo, exec_lo, s7
	v_or_b32_e32 v28, 0x100, v64
	v_mov_b32_e32 v26, -1
	v_bfrev_b32_e32 v27, -2
	s_delay_alu instid0(VALU_DEP_3) | instskip(NEXT) | instid1(VALU_DEP_2)
	v_cmp_lt_u32_e64 s7, v28, v119
	v_dual_mov_b32 v29, v27 :: v_dual_mov_b32 v28, v26
	s_and_saveexec_b32 s10, s7
	s_cbranch_execz .LBB1226_20
; %bb.19:
	flat_load_b64 v[28:29], v[52:53] offset:2048
.LBB1226_20:
	s_wait_alu 0xfffe
	s_or_b32 exec_lo, exec_lo, s10
	v_or_b32_e32 v30, 0x120, v64
	s_delay_alu instid0(VALU_DEP_1)
	v_cmp_lt_u32_e64 s10, v30, v119
	s_and_saveexec_b32 s11, s10
	s_cbranch_execz .LBB1226_22
; %bb.21:
	flat_load_b64 v[26:27], v[52:53] offset:2304
.LBB1226_22:
	s_wait_alu 0xfffe
	s_or_b32 exec_lo, exec_lo, s11
	v_or_b32_e32 v32, 0x140, v64
	v_mov_b32_e32 v30, -1
	v_bfrev_b32_e32 v31, -2
	s_delay_alu instid0(VALU_DEP_3) | instskip(NEXT) | instid1(VALU_DEP_2)
	v_cmp_lt_u32_e64 s11, v32, v119
	v_dual_mov_b32 v33, v31 :: v_dual_mov_b32 v32, v30
	s_and_saveexec_b32 s12, s11
	s_cbranch_execz .LBB1226_24
; %bb.23:
	flat_load_b64 v[32:33], v[52:53] offset:2560
.LBB1226_24:
	s_wait_alu 0xfffe
	s_or_b32 exec_lo, exec_lo, s12
	v_or_b32_e32 v34, 0x160, v64
	s_delay_alu instid0(VALU_DEP_1)
	v_cmp_lt_u32_e64 s12, v34, v119
	s_and_saveexec_b32 s13, s12
	s_cbranch_execz .LBB1226_26
; %bb.25:
	flat_load_b64 v[30:31], v[52:53] offset:2816
.LBB1226_26:
	s_wait_alu 0xfffe
	s_or_b32 exec_lo, exec_lo, s13
	v_or_b32_e32 v36, 0x180, v64
	v_mov_b32_e32 v34, -1
	v_bfrev_b32_e32 v35, -2
	s_delay_alu instid0(VALU_DEP_3) | instskip(NEXT) | instid1(VALU_DEP_2)
	v_cmp_lt_u32_e64 s13, v36, v119
	v_dual_mov_b32 v37, v35 :: v_dual_mov_b32 v36, v34
	s_and_saveexec_b32 s14, s13
	s_cbranch_execz .LBB1226_28
; %bb.27:
	flat_load_b64 v[36:37], v[52:53] offset:3072
.LBB1226_28:
	s_wait_alu 0xfffe
	s_or_b32 exec_lo, exec_lo, s14
	v_or_b32_e32 v38, 0x1a0, v64
	s_delay_alu instid0(VALU_DEP_1)
	v_cmp_lt_u32_e64 s14, v38, v119
	s_and_saveexec_b32 s15, s14
	s_cbranch_execz .LBB1226_30
; %bb.29:
	flat_load_b64 v[34:35], v[52:53] offset:3328
.LBB1226_30:
	s_wait_alu 0xfffe
	s_or_b32 exec_lo, exec_lo, s15
	v_or_b32_e32 v48, 0x1c0, v64
	v_mov_b32_e32 v38, -1
	v_bfrev_b32_e32 v39, -2
	s_delay_alu instid0(VALU_DEP_3) | instskip(NEXT) | instid1(VALU_DEP_2)
	v_cmp_lt_u32_e64 s15, v48, v119
	v_dual_mov_b32 v49, v39 :: v_dual_mov_b32 v48, v38
	s_and_saveexec_b32 s16, s15
	s_cbranch_execz .LBB1226_32
; %bb.31:
	flat_load_b64 v[48:49], v[52:53] offset:3584
.LBB1226_32:
	s_wait_alu 0xfffe
	s_or_b32 exec_lo, exec_lo, s16
	v_or_b32_e32 v64, 0x1e0, v64
	s_delay_alu instid0(VALU_DEP_1)
	v_cmp_lt_u32_e64 s16, v64, v119
	s_and_saveexec_b32 s17, s16
	s_cbranch_execz .LBB1226_34
; %bb.33:
	flat_load_b64 v[38:39], v[52:53] offset:3840
.LBB1226_34:
	s_wait_alu 0xfffe
	s_or_b32 exec_lo, exec_lo, s17
	v_add_co_u32 v4, s17, v4, v112
	s_wait_alu 0xf1ff
	v_add_co_ci_u32_e64 v5, null, v5, v113, s17
                                        ; implicit-def: $vgpr117_vgpr118
	s_delay_alu instid0(VALU_DEP_2) | instskip(SKIP_1) | instid1(VALU_DEP_2)
	v_add_co_u32 v4, s17, v4, v55
	s_wait_alu 0xf1ff
	v_add_co_ci_u32_e64 v5, null, 0, v5, s17
	s_delay_alu instid0(VALU_DEP_2) | instskip(SKIP_1) | instid1(VALU_DEP_2)
	v_add_co_u32 v4, s17, v4, v50
	s_wait_alu 0xf1ff
	v_add_co_ci_u32_e64 v5, null, v5, v51, s17
	s_and_saveexec_b32 s17, vcc_lo
	s_cbranch_execnz .LBB1226_196
; %bb.35:
	s_wait_alu 0xfffe
	s_or_b32 exec_lo, exec_lo, s17
                                        ; implicit-def: $vgpr130_vgpr131
	s_and_saveexec_b32 s17, s0
	s_cbranch_execnz .LBB1226_197
.LBB1226_36:
	s_wait_alu 0xfffe
	s_or_b32 exec_lo, exec_lo, s17
                                        ; implicit-def: $vgpr134_vgpr135
	s_and_saveexec_b32 s0, s1
	s_cbranch_execnz .LBB1226_198
.LBB1226_37:
	s_wait_alu 0xfffe
	s_or_b32 exec_lo, exec_lo, s0
                                        ; implicit-def: $vgpr128_vgpr129
	s_and_saveexec_b32 s0, s2
	s_cbranch_execnz .LBB1226_199
.LBB1226_38:
	s_wait_alu 0xfffe
	s_or_b32 exec_lo, exec_lo, s0
                                        ; implicit-def: $vgpr132_vgpr133
	s_and_saveexec_b32 s0, s3
	s_cbranch_execnz .LBB1226_200
.LBB1226_39:
	s_wait_alu 0xfffe
	s_or_b32 exec_lo, exec_lo, s0
                                        ; implicit-def: $vgpr144_vgpr145
	s_and_saveexec_b32 s0, s4
	s_cbranch_execnz .LBB1226_201
.LBB1226_40:
	s_wait_alu 0xfffe
	s_or_b32 exec_lo, exec_lo, s0
                                        ; implicit-def: $vgpr146_vgpr147
	s_and_saveexec_b32 s0, s5
	s_cbranch_execnz .LBB1226_202
.LBB1226_41:
	s_wait_alu 0xfffe
	s_or_b32 exec_lo, exec_lo, s0
                                        ; implicit-def: $vgpr148_vgpr149
	s_and_saveexec_b32 s0, s6
	s_cbranch_execnz .LBB1226_203
.LBB1226_42:
	s_wait_alu 0xfffe
	s_or_b32 exec_lo, exec_lo, s0
                                        ; implicit-def: $vgpr150_vgpr151
	s_and_saveexec_b32 s0, s7
	s_cbranch_execnz .LBB1226_204
.LBB1226_43:
	s_wait_alu 0xfffe
	s_or_b32 exec_lo, exec_lo, s0
                                        ; implicit-def: $vgpr160_vgpr161
	s_and_saveexec_b32 s0, s10
	s_cbranch_execnz .LBB1226_205
.LBB1226_44:
	s_wait_alu 0xfffe
	s_or_b32 exec_lo, exec_lo, s0
                                        ; implicit-def: $vgpr162_vgpr163
	s_and_saveexec_b32 s0, s11
	s_cbranch_execnz .LBB1226_206
.LBB1226_45:
	s_wait_alu 0xfffe
	s_or_b32 exec_lo, exec_lo, s0
                                        ; implicit-def: $vgpr164_vgpr165
	s_and_saveexec_b32 s0, s12
	s_cbranch_execnz .LBB1226_207
.LBB1226_46:
	s_wait_alu 0xfffe
	s_or_b32 exec_lo, exec_lo, s0
                                        ; implicit-def: $vgpr166_vgpr167
	s_and_saveexec_b32 s0, s13
	s_cbranch_execnz .LBB1226_208
.LBB1226_47:
	s_wait_alu 0xfffe
	s_or_b32 exec_lo, exec_lo, s0
                                        ; implicit-def: $vgpr176_vgpr177
	s_and_saveexec_b32 s0, s14
	s_cbranch_execnz .LBB1226_209
.LBB1226_48:
	s_wait_alu 0xfffe
	s_or_b32 exec_lo, exec_lo, s0
                                        ; implicit-def: $vgpr182_vgpr183
	s_and_saveexec_b32 s0, s15
	s_cbranch_execnz .LBB1226_210
.LBB1226_49:
	s_wait_alu 0xfffe
	s_or_b32 exec_lo, exec_lo, s0
                                        ; implicit-def: $vgpr194_vgpr195
	s_and_saveexec_b32 s0, s16
	s_cbranch_execz .LBB1226_51
.LBB1226_50:
	flat_load_b64 v[194:195], v[4:5] offset:3840
.LBB1226_51:
	s_wait_alu 0xfffe
	s_or_b32 exec_lo, exec_lo, s0
	s_wait_loadcnt_dscnt 0x0
	v_cmp_lt_i64_e32 vcc_lo, -1, v[0:1]
	v_ashrrev_i32_e32 v5, 31, v1
	s_getpc_b64 s[0:1]
	s_wait_alu 0xfffe
	s_sext_i32_i16 s1, s1
	s_add_co_u32 s0, s0, _ZN7rocprim17ROCPRIM_400000_NS16block_radix_sortIdLj256ELj16ElLj1ELj1ELj8ELNS0_26block_radix_rank_algorithmE2ELNS0_18block_padding_hintE2ELNS0_4arch9wavefront6targetE0EE19radix_bits_per_passE@rel32@lo+12
	s_wait_alu 0xfffe
	s_add_co_ci_u32 s1, s1, _ZN7rocprim17ROCPRIM_400000_NS16block_radix_sortIdLj256ELj16ElLj1ELj1ELj8ELNS0_26block_radix_rank_algorithmE2ELNS0_18block_padding_hintE2ELNS0_4arch9wavefront6targetE0EE19radix_bits_per_passE@rel32@hi+24
	v_lshrrev_b32_e32 v46, 5, v114
	s_load_b32 s20, s[0:1], 0x0
	v_cmp_lt_u32_e64 s7, 31, v21
	v_cndmask_b32_e64 v4, -1, 0x80000000, vcc_lo
	v_cmp_lt_i64_e32 vcc_lo, -1, v[13:14]
	v_xor_b32_e32 v210, v5, v0
	v_ashrrev_i32_e32 v0, 31, v16
	v_cmp_eq_u32_e64 s10, 0, v21
	v_xor_b32_e32 v211, v4, v1
	v_ashrrev_i32_e32 v4, 31, v14
	s_wait_alu 0xfffd
	v_cndmask_b32_e64 v1, -1, 0x80000000, vcc_lo
	v_cmp_lt_i64_e32 vcc_lo, -1, v[15:16]
	v_xor_b32_e32 v178, v0, v15
	v_ashrrev_i32_e32 v0, 31, v20
	v_xor_b32_e32 v180, v4, v13
	v_xor_b32_e32 v181, v1, v14
	v_ashrrev_i32_e32 v4, 31, v9
	s_wait_alu 0xfffd
	v_cndmask_b32_e64 v50, -1, 0x80000000, vcc_lo
	v_cmp_lt_i64_e32 vcc_lo, -1, v[8:9]
	v_xor_b32_e32 v196, v0, v19
	v_ashrrev_i32_e32 v0, 31, v25
	v_xor_b32_e32 v192, v4, v8
	v_ashrrev_i32_e32 v4, 31, v18
	v_xor_b32_e32 v179, v50, v16
	s_wait_alu 0xfffd
	v_cndmask_b32_e64 v1, -1, 0x80000000, vcc_lo
	v_cmp_lt_i64_e32 vcc_lo, -1, v[19:20]
	v_xor_b32_e32 v208, v0, v24
	v_ashrrev_i32_e32 v0, 31, v29
	v_xor_b32_e32 v198, v4, v17
	v_xor_b32_e32 v193, v1, v9
	v_ashrrev_i32_e32 v4, 31, v23
	s_wait_alu 0xfffd
	v_cndmask_b32_e64 v5, -1, 0x80000000, vcc_lo
	v_cmp_lt_i64_e32 vcc_lo, -1, v[17:18]
	v_xor_b32_e32 v214, v0, v28
	v_ashrrev_i32_e32 v0, 31, v33
	v_xor_b32_e32 v212, v4, v22
	v_xor_b32_e32 v197, v5, v20
	v_ashrrev_i32_e32 v4, 31, v27
	;; [unrolled: 8-line block ×4, first 2 shown]
	s_wait_alu 0xfffd
	v_cndmask_b32_e64 v1, -1, 0x80000000, vcc_lo
	v_cmp_lt_i64_e32 vcc_lo, -1, v[28:29]
	v_xor_b32_e32 v228, v0, v48
	v_and_b32_e32 v0, 0x3e0, v21
	v_xor_b32_e32 v242, v4, v34
	v_xor_b32_e32 v213, v1, v23
	v_ashrrev_i32_e32 v4, 31, v39
	s_wait_alu 0xfffd
	v_cndmask_b32_e64 v5, -1, 0x80000000, vcc_lo
	v_cmp_lt_i64_e32 vcc_lo, -1, v[26:27]
	v_min_u32_e32 v0, 0xe0, v0
	v_lshl_add_u32 v57, v21, 2, v12
	v_xor_b32_e32 v244, v4, v38
	v_xor_b32_e32 v215, v5, v29
	v_and_b32_e32 v4, 16, v54
	s_wait_alu 0xfffd
	v_cndmask_b32_e64 v1, -1, 0x80000000, vcc_lo
	v_cmp_lt_i64_e32 vcc_lo, -1, v[32:33]
	v_or_b32_e32 v0, 31, v0
	v_sub_nc_u32_e32 v91, v11, v10
	v_cmp_eq_u32_e64 s4, 0, v4
	v_xor_b32_e32 v231, v1, v27
	v_lshlrev_b32_e32 v4, 4, v21
	s_wait_alu 0xfffd
	v_cndmask_b32_e64 v5, -1, 0x80000000, vcc_lo
	v_cmp_lt_i64_e32 vcc_lo, -1, v[30:31]
	v_cmp_eq_u32_e64 s5, v21, v0
	v_lshrrev_b32_e32 v0, 3, v21
	v_and_or_b32 v4, 0x3e00, v4, v54
	v_xor_b32_e32 v225, v5, v33
	s_mov_b32 s16, -1
	s_wait_alu 0xfffd
	v_cndmask_b32_e64 v1, -1, 0x80000000, vcc_lo
	v_cmp_lt_i64_e32 vcc_lo, -1, v[36:37]
	v_and_b32_e32 v0, 0x7c, v0
	v_lshl_add_u32 v58, v4, 3, v12
	s_brev_b32 s17, -2
	v_xor_b32_e32 v241, v1, v31
	s_mov_b32 s21, 0
	s_wait_alu 0xfffd
	v_cndmask_b32_e64 v5, -1, 0x80000000, vcc_lo
	v_cmp_lt_i64_e32 vcc_lo, -1, v[34:35]
	v_add_nc_u32_e32 v56, v12, v0
	v_add_nc_u32_e32 v60, 0x100, v58
	v_add_nc_u32_e32 v61, 0x200, v58
	v_xor_b32_e32 v227, v5, v37
	v_add_nc_u32_e32 v62, 0x300, v58
	s_wait_alu 0xfffd
	v_cndmask_b32_e64 v1, -1, 0x80000000, vcc_lo
	v_cmp_lt_i64_e32 vcc_lo, -1, v[48:49]
	v_add_nc_u32_e32 v59, -4, v56
	v_add_nc_u32_e32 v63, 0x400, v58
	v_add_nc_u32_e32 v72, 0x500, v58
	v_xor_b32_e32 v243, v1, v35
	v_add_nc_u32_e32 v73, 0x600, v58
	s_wait_alu 0xfffd
	v_cndmask_b32_e64 v5, -1, 0x80000000, vcc_lo
	v_cmp_lt_i64_e32 vcc_lo, -1, v[38:39]
	v_add_nc_u32_e32 v74, 0x700, v58
	v_add_nc_u32_e32 v75, 0x800, v58
	;; [unrolled: 1-line block ×3, first 2 shown]
	v_xor_b32_e32 v229, v5, v49
	v_lshl_add_u32 v5, v21, 5, v12
	s_wait_alu 0xfffd
	v_cndmask_b32_e64 v1, -1, 0x80000000, vcc_lo
	v_add_nc_u32_e32 v77, 0xa00, v58
	v_add_nc_u32_e32 v78, 0xb00, v58
	;; [unrolled: 1-line block ×11, first 2 shown]
	v_sub_co_u32 v5, s2, v54, 1
	v_xor_b32_e32 v245, v1, v39
	v_and_b32_e32 v1, 15, v54
	v_add_nc_u32_e32 v88, 0xd00, v58
	s_delay_alu instid0(VALU_DEP_4)
	v_cmp_gt_i32_e64 s6, 0, v5
	v_add_nc_u32_e32 v89, 0xe00, v58
	v_add_nc_u32_e32 v90, 0xf00, v58
	v_cmp_eq_u32_e32 vcc_lo, 0, v1
	v_cmp_lt_u32_e64 s0, 1, v1
	v_cmp_lt_u32_e64 s1, 3, v1
	;; [unrolled: 1-line block ×3, first 2 shown]
	s_wait_alu 0xf1ff
	v_cndmask_b32_e64 v1, v5, v54, s6
	v_and_b32_e32 v5, 7, v54
	v_cmp_gt_u32_e64 s6, 8, v21
	s_wait_storecnt 0x0
	s_barrier_signal -1
	v_lshlrev_b32_e32 v47, 2, v1
	v_mov_b32_e32 v1, 0
	v_cmp_eq_u32_e64 s11, 0, v5
	v_cmp_lt_u32_e64 s12, 1, v5
	v_cmp_lt_u32_e64 s13, 3, v5
	s_barrier_wait -1
	global_inv scope:SCOPE_SE
	s_branch .LBB1226_53
.LBB1226_52:                            ;   in Loop: Header=BB1226_53 Depth=1
	s_wait_alu 0xfffe
	s_or_b32 exec_lo, exec_lo, s15
	s_delay_alu instid0(SALU_CYCLE_1)
	s_and_b32 s14, exec_lo, s22
	s_wait_alu 0xfffe
	s_or_b32 s21, s14, s21
	s_wait_alu 0xfffe
	s_and_not1_b32 exec_lo, exec_lo, s21
	s_cbranch_execz .LBB1226_93
.LBB1226_53:                            ; =>This Inner Loop Header: Depth=1
	v_dual_mov_b32 v36, v210 :: v_dual_mov_b32 v37, v211
	s_wait_kmcnt 0x0
	v_min_u32_e32 v0, s20, v91
	v_dual_mov_b32 v8, v130 :: v_dual_mov_b32 v9, v131
	v_dual_mov_b32 v13, v117 :: v_dual_mov_b32 v14, v118
	s_wait_alu 0xfffe
	v_cmp_ne_u64_e64 s14, s[16:17], v[36:37]
	v_lshlrev_b32_e64 v0, v0, -1
	v_dual_mov_b32 v15, v128 :: v_dual_mov_b32 v16, v129
	v_mov_b32_e32 v50, v182
	v_mov_b32_e32 v48, v194
	s_wait_alu 0xf1ff
	v_cndmask_b32_e64 v29, 0x80000000, v37, s14
	v_cndmask_b32_e64 v28, 0, v36, s14
	v_not_b32_e32 v130, v0
	v_mov_b32_e32 v64, v178
	v_mov_b32_e32 v52, v196
	;; [unrolled: 1-line block ×3, first 2 shown]
	v_lshrrev_b64 v[38:39], v10, v[28:29]
	v_mov_b32_e32 v68, v208
	v_dual_mov_b32 v4, v134 :: v_dual_mov_b32 v5, v135
	v_mov_b32_e32 v115, v176
	v_dual_mov_b32 v19, v132 :: v_dual_mov_b32 v20, v133
	v_and_b32_e32 v0, v38, v130
	v_dual_mov_b32 v54, v192 :: v_dual_mov_b32 v55, v193
	v_dual_mov_b32 v38, v180 :: v_dual_mov_b32 v65, v179
	s_delay_alu instid0(VALU_DEP_3)
	v_and_b32_e32 v66, 1, v0
	v_lshlrev_b32_e32 v83, 30, v0
	v_lshlrev_b32_e32 v96, 28, v0
	;; [unrolled: 1-line block ×4, first 2 shown]
	v_add_co_u32 v82, s14, v66, -1
	s_wait_alu 0xf1ff
	v_cndmask_b32_e64 v80, 0, 1, s14
	v_not_b32_e32 v84, v83
	v_lshlrev_b32_e32 v85, 29, v0
	v_cmp_gt_i32_e64 s15, 0, v83
	v_lshlrev_b32_e32 v128, 24, v0
	v_cmp_ne_u32_e64 s14, 0, v80
	v_mov_b32_e32 v80, v214
	v_ashrrev_i32_e32 v84, 31, v84
	v_not_b32_e32 v87, v85
	v_not_b32_e32 v131, v128
	s_wait_alu 0xf1ff
	v_xor_b32_e32 v86, s14, v82
	v_cmp_gt_i32_e64 s14, 0, v85
	v_xor_b32_e32 v97, s15, v84
	v_ashrrev_i32_e32 v87, 31, v87
	v_dual_mov_b32 v66, v212 :: v_dual_mov_b32 v81, v215
	v_and_b32_e32 v86, exec_lo, v86
	v_dual_mov_b32 v84, v224 :: v_dual_mov_b32 v85, v225
	v_not_b32_e32 v98, v96
	s_wait_alu 0xf1ff
	v_xor_b32_e32 v100, s14, v87
	v_and_b32_e32 v97, v86, v97
	v_cmp_gt_i32_e64 s14, 0, v96
	v_mov_b32_e32 v86, v240
	v_ashrrev_i32_e32 v96, 31, v98
	v_not_b32_e32 v98, v99
	v_dual_mov_b32 v17, v144 :: v_dual_and_b32 v100, v97, v100
	v_mov_b32_e32 v18, v145
	s_wait_alu 0xf1ff
	v_xor_b32_e32 v102, s14, v96
	v_cmp_gt_i32_e64 s14, 0, v99
	v_ashrrev_i32_e32 v98, 31, v98
	v_mov_b32_e32 v96, v226
	v_not_b32_e32 v99, v101
	v_dual_mov_b32 v97, v227 :: v_dual_and_b32 v100, v100, v102
	s_wait_alu 0xf1ff
	v_xor_b32_e32 v103, s14, v98
	v_cmp_gt_i32_e64 s14, 0, v101
	v_ashrrev_i32_e32 v101, 31, v99
	v_dual_mov_b32 v98, v242 :: v_dual_mov_b32 v99, v243
	s_delay_alu instid0(VALU_DEP_4)
	v_and_b32_e32 v118, v100, v103
	v_lshlrev_b32_e32 v102, 25, v0
	s_wait_alu 0xf1ff
	v_xor_b32_e32 v129, s14, v101
	v_lshl_add_u32 v0, v0, 3, v46
	v_dual_mov_b32 v26, v146 :: v_dual_mov_b32 v27, v147
	v_dual_mov_b32 v24, v148 :: v_dual_mov_b32 v25, v149
	s_delay_alu instid0(VALU_DEP_4)
	v_and_b32_e32 v118, v118, v129
	v_dual_mov_b32 v100, v228 :: v_dual_mov_b32 v101, v229
	v_not_b32_e32 v117, v102
	v_cmp_gt_i32_e64 s14, 0, v102
	v_mov_b32_e32 v102, v244
	v_dual_mov_b32 v22, v150 :: v_dual_mov_b32 v23, v151
	s_delay_alu instid0(VALU_DEP_4) | instskip(SKIP_3) | instid1(VALU_DEP_3)
	v_ashrrev_i32_e32 v117, 31, v117
	v_dual_mov_b32 v34, v160 :: v_dual_mov_b32 v35, v161
	v_dual_mov_b32 v32, v162 :: v_dual_mov_b32 v33, v163
	s_wait_alu 0xf1ff
	v_xor_b32_e32 v117, s14, v117
	v_cmp_gt_i32_e64 s14, 0, v128
	v_ashrrev_i32_e32 v128, 31, v131
	v_dual_mov_b32 v30, v164 :: v_dual_mov_b32 v31, v165
	s_delay_alu instid0(VALU_DEP_4)
	v_and_b32_e32 v117, v118, v117
	v_dual_mov_b32 v28, v166 :: v_dual_mov_b32 v29, v167
	s_wait_alu 0xf1ff
	v_xor_b32_e32 v118, s14, v128
	v_lshlrev_b64_e32 v[128:129], 2, v[0:1]
	v_dual_mov_b32 v116, v177 :: v_dual_mov_b32 v51, v183
	s_delay_alu instid0(VALU_DEP_3) | instskip(SKIP_1) | instid1(VALU_DEP_4)
	v_dual_mov_b32 v49, v195 :: v_dual_and_b32 v118, v117, v118
	v_mov_b32_e32 v39, v181
	v_add_co_u32 v117, null, v12, v128
	v_mov_b32_e32 v53, v197
	s_delay_alu instid0(VALU_DEP_4)
	v_mbcnt_lo_u32_b32 v0, v118, 0
	v_cmp_ne_u32_e64 s15, 0, v118
	v_mov_b32_e32 v71, v199
	v_mov_b32_e32 v69, v209
	;; [unrolled: 1-line block ×3, first 2 shown]
	v_cmp_eq_u32_e64 s14, 0, v0
	v_dual_mov_b32 v82, v230 :: v_dual_mov_b32 v83, v231
	v_mov_b32_e32 v87, v241
	v_mov_b32_e32 v103, v245
	v_add_co_u32 v117, null, v117, 32
	s_and_b32 s15, s15, s14
	ds_store_b32 v246, v1
	ds_store_b32 v247, v1
	;; [unrolled: 1-line block ×8, first 2 shown]
	s_wait_loadcnt_dscnt 0x0
	s_barrier_signal -1
	s_barrier_wait -1
	global_inv scope:SCOPE_SE
	; wave barrier
	s_wait_alu 0xfffe
	s_and_saveexec_b32 s14, s15
; %bb.54:                               ;   in Loop: Header=BB1226_53 Depth=1
	v_bcnt_u32_b32 v118, v118, 0
	ds_store_b32 v117, v118
; %bb.55:                               ;   in Loop: Header=BB1226_53 Depth=1
	s_wait_alu 0xfffe
	s_or_b32 exec_lo, exec_lo, s14
	v_cmp_ne_u64_e64 s14, s[16:17], v[38:39]
	; wave barrier
	s_wait_alu 0xf1ff
	s_delay_alu instid0(VALU_DEP_1) | instskip(SKIP_1) | instid1(VALU_DEP_1)
	v_cndmask_b32_e64 v129, 0x80000000, v39, s14
	v_cndmask_b32_e64 v128, 0, v38, s14
	v_lshrrev_b64 v[128:129], v10, v[128:129]
	s_delay_alu instid0(VALU_DEP_1) | instskip(NEXT) | instid1(VALU_DEP_1)
	v_and_b32_e32 v118, v128, v130
	v_and_b32_e32 v128, 1, v118
	v_lshlrev_b32_e32 v129, 30, v118
	v_lshlrev_b32_e32 v131, 29, v118
	;; [unrolled: 1-line block ×4, first 2 shown]
	v_add_co_u32 v128, s14, v128, -1
	s_wait_alu 0xf1ff
	v_cndmask_b32_e64 v133, 0, 1, s14
	v_not_b32_e32 v145, v129
	v_cmp_gt_i32_e64 s15, 0, v129
	v_not_b32_e32 v129, v131
	v_lshlrev_b32_e32 v135, 26, v118
	v_cmp_ne_u32_e64 s14, 0, v133
	v_ashrrev_i32_e32 v145, 31, v145
	v_lshlrev_b32_e32 v144, 25, v118
	v_ashrrev_i32_e32 v129, 31, v129
	v_lshlrev_b32_e32 v133, 24, v118
	s_wait_alu 0xf1ff
	v_xor_b32_e32 v128, s14, v128
	v_cmp_gt_i32_e64 s14, 0, v131
	v_not_b32_e32 v131, v132
	v_xor_b32_e32 v145, s15, v145
	v_cmp_gt_i32_e64 s15, 0, v132
	v_and_b32_e32 v128, exec_lo, v128
	v_not_b32_e32 v132, v134
	v_ashrrev_i32_e32 v131, 31, v131
	s_wait_alu 0xf1ff
	v_xor_b32_e32 v129, s14, v129
	v_cmp_gt_i32_e64 s14, 0, v134
	v_and_b32_e32 v128, v128, v145
	v_not_b32_e32 v134, v135
	v_ashrrev_i32_e32 v132, 31, v132
	v_xor_b32_e32 v131, s15, v131
	v_cmp_gt_i32_e64 s15, 0, v135
	v_and_b32_e32 v128, v128, v129
	v_not_b32_e32 v129, v144
	v_ashrrev_i32_e32 v134, 31, v134
	s_wait_alu 0xf1ff
	v_xor_b32_e32 v132, s14, v132
	v_cmp_gt_i32_e64 s14, 0, v144
	v_and_b32_e32 v128, v128, v131
	v_not_b32_e32 v131, v133
	v_ashrrev_i32_e32 v129, 31, v129
	v_xor_b32_e32 v134, s15, v134
	v_lshl_add_u32 v118, v118, 3, v46
	v_and_b32_e32 v128, v128, v132
	v_cmp_gt_i32_e64 s15, 0, v133
	v_ashrrev_i32_e32 v131, 31, v131
	s_wait_alu 0xf1ff
	v_xor_b32_e32 v129, s14, v129
	v_lshl_add_u32 v132, v118, 2, v12
	v_and_b32_e32 v128, v128, v134
	v_xor_b32_e32 v131, s15, v131
	ds_load_b32 v118, v132 offset:32
	v_and_b32_e32 v128, v128, v129
	v_add_nc_u32_e32 v129, 32, v132
	; wave barrier
	s_delay_alu instid0(VALU_DEP_2) | instskip(NEXT) | instid1(VALU_DEP_1)
	v_and_b32_e32 v131, v128, v131
	v_mbcnt_lo_u32_b32 v128, v131, 0
	v_cmp_ne_u32_e64 s15, 0, v131
	s_delay_alu instid0(VALU_DEP_2)
	v_cmp_eq_u32_e64 s14, 0, v128
	s_and_b32 s15, s15, s14
	s_wait_alu 0xfffe
	s_and_saveexec_b32 s14, s15
	s_cbranch_execz .LBB1226_57
; %bb.56:                               ;   in Loop: Header=BB1226_53 Depth=1
	s_wait_dscnt 0x0
	v_bcnt_u32_b32 v131, v131, v118
	ds_store_b32 v129, v131
.LBB1226_57:                            ;   in Loop: Header=BB1226_53 Depth=1
	s_wait_alu 0xfffe
	s_or_b32 exec_lo, exec_lo, s14
	v_cmp_ne_u64_e64 s14, s[16:17], v[64:65]
	; wave barrier
	s_wait_alu 0xf1ff
	s_delay_alu instid0(VALU_DEP_1) | instskip(SKIP_1) | instid1(VALU_DEP_1)
	v_cndmask_b32_e64 v132, 0x80000000, v65, s14
	v_cndmask_b32_e64 v131, 0, v64, s14
	v_lshrrev_b64 v[131:132], v10, v[131:132]
	s_delay_alu instid0(VALU_DEP_1) | instskip(NEXT) | instid1(VALU_DEP_1)
	v_and_b32_e32 v131, v131, v130
	v_and_b32_e32 v132, 1, v131
	v_lshlrev_b32_e32 v133, 30, v131
	v_lshlrev_b32_e32 v134, 29, v131
	;; [unrolled: 1-line block ×4, first 2 shown]
	v_add_co_u32 v132, s14, v132, -1
	s_wait_alu 0xf1ff
	v_cndmask_b32_e64 v144, 0, 1, s14
	v_not_b32_e32 v148, v133
	v_cmp_gt_i32_e64 s15, 0, v133
	v_not_b32_e32 v133, v134
	v_lshlrev_b32_e32 v146, 26, v131
	v_cmp_ne_u32_e64 s14, 0, v144
	v_ashrrev_i32_e32 v148, 31, v148
	v_lshlrev_b32_e32 v147, 25, v131
	v_ashrrev_i32_e32 v133, 31, v133
	v_lshlrev_b32_e32 v144, 24, v131
	s_wait_alu 0xf1ff
	v_xor_b32_e32 v132, s14, v132
	v_cmp_gt_i32_e64 s14, 0, v134
	v_not_b32_e32 v134, v135
	v_xor_b32_e32 v148, s15, v148
	v_cmp_gt_i32_e64 s15, 0, v135
	v_and_b32_e32 v132, exec_lo, v132
	v_not_b32_e32 v135, v145
	v_ashrrev_i32_e32 v134, 31, v134
	s_wait_alu 0xf1ff
	v_xor_b32_e32 v133, s14, v133
	v_cmp_gt_i32_e64 s14, 0, v145
	v_and_b32_e32 v132, v132, v148
	v_not_b32_e32 v145, v146
	v_ashrrev_i32_e32 v135, 31, v135
	v_xor_b32_e32 v134, s15, v134
	v_cmp_gt_i32_e64 s15, 0, v146
	v_and_b32_e32 v132, v132, v133
	v_not_b32_e32 v133, v147
	v_ashrrev_i32_e32 v145, 31, v145
	s_wait_alu 0xf1ff
	v_xor_b32_e32 v135, s14, v135
	v_cmp_gt_i32_e64 s14, 0, v147
	v_and_b32_e32 v132, v132, v134
	v_not_b32_e32 v134, v144
	v_ashrrev_i32_e32 v133, 31, v133
	v_xor_b32_e32 v145, s15, v145
	v_lshl_add_u32 v131, v131, 3, v46
	v_and_b32_e32 v132, v132, v135
	v_cmp_gt_i32_e64 s15, 0, v144
	v_ashrrev_i32_e32 v134, 31, v134
	s_wait_alu 0xf1ff
	v_xor_b32_e32 v133, s14, v133
	v_lshl_add_u32 v135, v131, 2, v12
	v_and_b32_e32 v132, v132, v145
	v_xor_b32_e32 v134, s15, v134
	ds_load_b32 v131, v135 offset:32
	v_and_b32_e32 v132, v132, v133
	v_add_nc_u32_e32 v133, 32, v135
	; wave barrier
	s_delay_alu instid0(VALU_DEP_2) | instskip(NEXT) | instid1(VALU_DEP_1)
	v_and_b32_e32 v134, v132, v134
	v_mbcnt_lo_u32_b32 v132, v134, 0
	v_cmp_ne_u32_e64 s15, 0, v134
	s_delay_alu instid0(VALU_DEP_2)
	v_cmp_eq_u32_e64 s14, 0, v132
	s_and_b32 s15, s15, s14
	s_wait_alu 0xfffe
	s_and_saveexec_b32 s14, s15
	s_cbranch_execz .LBB1226_59
; %bb.58:                               ;   in Loop: Header=BB1226_53 Depth=1
	s_wait_dscnt 0x0
	v_bcnt_u32_b32 v134, v134, v131
	ds_store_b32 v133, v134
.LBB1226_59:                            ;   in Loop: Header=BB1226_53 Depth=1
	s_wait_alu 0xfffe
	s_or_b32 exec_lo, exec_lo, s14
	v_cmp_ne_u64_e64 s14, s[16:17], v[54:55]
	; wave barrier
	s_wait_alu 0xf1ff
	s_delay_alu instid0(VALU_DEP_1) | instskip(SKIP_1) | instid1(VALU_DEP_1)
	v_cndmask_b32_e64 v135, 0x80000000, v55, s14
	v_cndmask_b32_e64 v134, 0, v54, s14
	v_lshrrev_b64 v[134:135], v10, v[134:135]
	s_delay_alu instid0(VALU_DEP_1) | instskip(NEXT) | instid1(VALU_DEP_1)
	v_and_b32_e32 v134, v134, v130
	v_and_b32_e32 v135, 1, v134
	v_lshlrev_b32_e32 v144, 30, v134
	v_lshlrev_b32_e32 v145, 29, v134
	;; [unrolled: 1-line block ×4, first 2 shown]
	v_add_co_u32 v135, s14, v135, -1
	s_wait_alu 0xf1ff
	v_cndmask_b32_e64 v147, 0, 1, s14
	v_not_b32_e32 v151, v144
	v_cmp_gt_i32_e64 s15, 0, v144
	v_not_b32_e32 v144, v145
	v_lshlrev_b32_e32 v149, 26, v134
	v_cmp_ne_u32_e64 s14, 0, v147
	v_ashrrev_i32_e32 v151, 31, v151
	v_lshlrev_b32_e32 v150, 25, v134
	v_ashrrev_i32_e32 v144, 31, v144
	v_lshlrev_b32_e32 v147, 24, v134
	s_wait_alu 0xf1ff
	v_xor_b32_e32 v135, s14, v135
	v_cmp_gt_i32_e64 s14, 0, v145
	v_not_b32_e32 v145, v146
	v_xor_b32_e32 v151, s15, v151
	v_cmp_gt_i32_e64 s15, 0, v146
	v_and_b32_e32 v135, exec_lo, v135
	v_not_b32_e32 v146, v148
	v_ashrrev_i32_e32 v145, 31, v145
	s_wait_alu 0xf1ff
	v_xor_b32_e32 v144, s14, v144
	v_cmp_gt_i32_e64 s14, 0, v148
	v_and_b32_e32 v135, v135, v151
	v_not_b32_e32 v148, v149
	v_ashrrev_i32_e32 v146, 31, v146
	v_xor_b32_e32 v145, s15, v145
	v_cmp_gt_i32_e64 s15, 0, v149
	v_and_b32_e32 v135, v135, v144
	v_not_b32_e32 v144, v150
	v_ashrrev_i32_e32 v148, 31, v148
	s_wait_alu 0xf1ff
	v_xor_b32_e32 v146, s14, v146
	v_cmp_gt_i32_e64 s14, 0, v150
	v_and_b32_e32 v135, v135, v145
	v_not_b32_e32 v145, v147
	v_ashrrev_i32_e32 v144, 31, v144
	v_xor_b32_e32 v148, s15, v148
	v_lshl_add_u32 v134, v134, 3, v46
	v_and_b32_e32 v135, v135, v146
	v_cmp_gt_i32_e64 s15, 0, v147
	v_ashrrev_i32_e32 v145, 31, v145
	s_wait_alu 0xf1ff
	v_xor_b32_e32 v144, s14, v144
	v_lshl_add_u32 v146, v134, 2, v12
	v_and_b32_e32 v135, v135, v148
	v_xor_b32_e32 v145, s15, v145
	ds_load_b32 v134, v146 offset:32
	v_and_b32_e32 v135, v135, v144
	v_add_nc_u32_e32 v144, 32, v146
	; wave barrier
	s_delay_alu instid0(VALU_DEP_2) | instskip(NEXT) | instid1(VALU_DEP_1)
	v_and_b32_e32 v145, v135, v145
	v_mbcnt_lo_u32_b32 v135, v145, 0
	v_cmp_ne_u32_e64 s15, 0, v145
	s_delay_alu instid0(VALU_DEP_2)
	v_cmp_eq_u32_e64 s14, 0, v135
	s_and_b32 s15, s15, s14
	s_wait_alu 0xfffe
	s_and_saveexec_b32 s14, s15
	s_cbranch_execz .LBB1226_61
; %bb.60:                               ;   in Loop: Header=BB1226_53 Depth=1
	s_wait_dscnt 0x0
	v_bcnt_u32_b32 v145, v145, v134
	ds_store_b32 v144, v145
.LBB1226_61:                            ;   in Loop: Header=BB1226_53 Depth=1
	s_wait_alu 0xfffe
	s_or_b32 exec_lo, exec_lo, s14
	v_cmp_ne_u64_e64 s14, s[16:17], v[52:53]
	; wave barrier
	s_wait_alu 0xf1ff
	s_delay_alu instid0(VALU_DEP_1) | instskip(SKIP_1) | instid1(VALU_DEP_1)
	v_cndmask_b32_e64 v146, 0x80000000, v53, s14
	v_cndmask_b32_e64 v145, 0, v52, s14
	v_lshrrev_b64 v[145:146], v10, v[145:146]
	s_delay_alu instid0(VALU_DEP_1) | instskip(NEXT) | instid1(VALU_DEP_1)
	v_and_b32_e32 v145, v145, v130
	v_and_b32_e32 v146, 1, v145
	v_lshlrev_b32_e32 v147, 30, v145
	v_lshlrev_b32_e32 v148, 29, v145
	;; [unrolled: 1-line block ×4, first 2 shown]
	v_add_co_u32 v146, s14, v146, -1
	s_wait_alu 0xf1ff
	v_cndmask_b32_e64 v150, 0, 1, s14
	v_not_b32_e32 v162, v147
	v_cmp_gt_i32_e64 s15, 0, v147
	v_not_b32_e32 v147, v148
	v_lshlrev_b32_e32 v160, 26, v145
	v_cmp_ne_u32_e64 s14, 0, v150
	v_ashrrev_i32_e32 v162, 31, v162
	v_lshlrev_b32_e32 v161, 25, v145
	v_ashrrev_i32_e32 v147, 31, v147
	v_lshlrev_b32_e32 v150, 24, v145
	s_wait_alu 0xf1ff
	v_xor_b32_e32 v146, s14, v146
	v_cmp_gt_i32_e64 s14, 0, v148
	v_not_b32_e32 v148, v149
	v_xor_b32_e32 v162, s15, v162
	v_cmp_gt_i32_e64 s15, 0, v149
	v_and_b32_e32 v146, exec_lo, v146
	v_not_b32_e32 v149, v151
	v_ashrrev_i32_e32 v148, 31, v148
	s_wait_alu 0xf1ff
	v_xor_b32_e32 v147, s14, v147
	v_cmp_gt_i32_e64 s14, 0, v151
	v_and_b32_e32 v146, v146, v162
	v_not_b32_e32 v151, v160
	v_ashrrev_i32_e32 v149, 31, v149
	v_xor_b32_e32 v148, s15, v148
	v_cmp_gt_i32_e64 s15, 0, v160
	v_and_b32_e32 v146, v146, v147
	v_not_b32_e32 v147, v161
	v_ashrrev_i32_e32 v151, 31, v151
	s_wait_alu 0xf1ff
	v_xor_b32_e32 v149, s14, v149
	v_cmp_gt_i32_e64 s14, 0, v161
	v_and_b32_e32 v146, v146, v148
	v_not_b32_e32 v148, v150
	v_ashrrev_i32_e32 v147, 31, v147
	v_xor_b32_e32 v151, s15, v151
	v_lshl_add_u32 v145, v145, 3, v46
	v_and_b32_e32 v146, v146, v149
	v_cmp_gt_i32_e64 s15, 0, v150
	v_ashrrev_i32_e32 v148, 31, v148
	s_wait_alu 0xf1ff
	v_xor_b32_e32 v147, s14, v147
	v_lshl_add_u32 v149, v145, 2, v12
	v_and_b32_e32 v146, v146, v151
	v_xor_b32_e32 v148, s15, v148
	ds_load_b32 v145, v149 offset:32
	v_and_b32_e32 v146, v146, v147
	v_add_nc_u32_e32 v147, 32, v149
	; wave barrier
	s_delay_alu instid0(VALU_DEP_2) | instskip(NEXT) | instid1(VALU_DEP_1)
	v_and_b32_e32 v148, v146, v148
	v_mbcnt_lo_u32_b32 v146, v148, 0
	v_cmp_ne_u32_e64 s15, 0, v148
	s_delay_alu instid0(VALU_DEP_2)
	v_cmp_eq_u32_e64 s14, 0, v146
	s_and_b32 s15, s15, s14
	s_wait_alu 0xfffe
	s_and_saveexec_b32 s14, s15
	s_cbranch_execz .LBB1226_63
; %bb.62:                               ;   in Loop: Header=BB1226_53 Depth=1
	s_wait_dscnt 0x0
	v_bcnt_u32_b32 v148, v148, v145
	ds_store_b32 v147, v148
.LBB1226_63:                            ;   in Loop: Header=BB1226_53 Depth=1
	s_wait_alu 0xfffe
	s_or_b32 exec_lo, exec_lo, s14
	v_cmp_ne_u64_e64 s14, s[16:17], v[70:71]
	; wave barrier
	s_wait_alu 0xf1ff
	s_delay_alu instid0(VALU_DEP_1) | instskip(SKIP_1) | instid1(VALU_DEP_1)
	v_cndmask_b32_e64 v149, 0x80000000, v71, s14
	v_cndmask_b32_e64 v148, 0, v70, s14
	v_lshrrev_b64 v[148:149], v10, v[148:149]
	s_delay_alu instid0(VALU_DEP_1) | instskip(NEXT) | instid1(VALU_DEP_1)
	v_and_b32_e32 v148, v148, v130
	v_and_b32_e32 v149, 1, v148
	v_lshlrev_b32_e32 v150, 30, v148
	v_lshlrev_b32_e32 v151, 29, v148
	;; [unrolled: 1-line block ×4, first 2 shown]
	v_add_co_u32 v149, s14, v149, -1
	s_wait_alu 0xf1ff
	v_cndmask_b32_e64 v161, 0, 1, s14
	v_not_b32_e32 v165, v150
	v_cmp_gt_i32_e64 s15, 0, v150
	v_not_b32_e32 v150, v151
	v_lshlrev_b32_e32 v163, 26, v148
	v_cmp_ne_u32_e64 s14, 0, v161
	v_ashrrev_i32_e32 v165, 31, v165
	v_lshlrev_b32_e32 v164, 25, v148
	v_ashrrev_i32_e32 v150, 31, v150
	v_lshlrev_b32_e32 v161, 24, v148
	s_wait_alu 0xf1ff
	v_xor_b32_e32 v149, s14, v149
	v_cmp_gt_i32_e64 s14, 0, v151
	v_not_b32_e32 v151, v160
	v_xor_b32_e32 v165, s15, v165
	v_cmp_gt_i32_e64 s15, 0, v160
	v_and_b32_e32 v149, exec_lo, v149
	v_not_b32_e32 v160, v162
	v_ashrrev_i32_e32 v151, 31, v151
	s_wait_alu 0xf1ff
	v_xor_b32_e32 v150, s14, v150
	v_cmp_gt_i32_e64 s14, 0, v162
	v_and_b32_e32 v149, v149, v165
	v_not_b32_e32 v162, v163
	v_ashrrev_i32_e32 v160, 31, v160
	v_xor_b32_e32 v151, s15, v151
	v_cmp_gt_i32_e64 s15, 0, v163
	v_and_b32_e32 v149, v149, v150
	v_not_b32_e32 v150, v164
	v_ashrrev_i32_e32 v162, 31, v162
	s_wait_alu 0xf1ff
	v_xor_b32_e32 v160, s14, v160
	v_cmp_gt_i32_e64 s14, 0, v164
	v_and_b32_e32 v149, v149, v151
	v_not_b32_e32 v151, v161
	v_ashrrev_i32_e32 v150, 31, v150
	v_xor_b32_e32 v162, s15, v162
	v_lshl_add_u32 v148, v148, 3, v46
	v_and_b32_e32 v149, v149, v160
	v_cmp_gt_i32_e64 s15, 0, v161
	v_ashrrev_i32_e32 v151, 31, v151
	s_wait_alu 0xf1ff
	v_xor_b32_e32 v150, s14, v150
	v_lshl_add_u32 v160, v148, 2, v12
	v_and_b32_e32 v149, v149, v162
	v_xor_b32_e32 v151, s15, v151
	ds_load_b32 v148, v160 offset:32
	v_and_b32_e32 v149, v149, v150
	v_add_nc_u32_e32 v150, 32, v160
	; wave barrier
	s_delay_alu instid0(VALU_DEP_2) | instskip(NEXT) | instid1(VALU_DEP_1)
	v_and_b32_e32 v151, v149, v151
	v_mbcnt_lo_u32_b32 v149, v151, 0
	v_cmp_ne_u32_e64 s15, 0, v151
	s_delay_alu instid0(VALU_DEP_2)
	v_cmp_eq_u32_e64 s14, 0, v149
	s_and_b32 s15, s15, s14
	s_wait_alu 0xfffe
	s_and_saveexec_b32 s14, s15
	s_cbranch_execz .LBB1226_65
; %bb.64:                               ;   in Loop: Header=BB1226_53 Depth=1
	s_wait_dscnt 0x0
	v_bcnt_u32_b32 v151, v151, v148
	ds_store_b32 v150, v151
.LBB1226_65:                            ;   in Loop: Header=BB1226_53 Depth=1
	s_wait_alu 0xfffe
	s_or_b32 exec_lo, exec_lo, s14
	v_cmp_ne_u64_e64 s14, s[16:17], v[68:69]
	; wave barrier
	s_wait_alu 0xf1ff
	s_delay_alu instid0(VALU_DEP_1) | instskip(SKIP_1) | instid1(VALU_DEP_1)
	v_cndmask_b32_e64 v161, 0x80000000, v69, s14
	v_cndmask_b32_e64 v160, 0, v68, s14
	v_lshrrev_b64 v[160:161], v10, v[160:161]
	s_delay_alu instid0(VALU_DEP_1) | instskip(NEXT) | instid1(VALU_DEP_1)
	v_and_b32_e32 v151, v160, v130
	v_and_b32_e32 v160, 1, v151
	v_lshlrev_b32_e32 v161, 30, v151
	v_lshlrev_b32_e32 v162, 29, v151
	;; [unrolled: 1-line block ×4, first 2 shown]
	v_add_co_u32 v160, s14, v160, -1
	s_wait_alu 0xf1ff
	v_cndmask_b32_e64 v164, 0, 1, s14
	v_not_b32_e32 v176, v161
	v_cmp_gt_i32_e64 s15, 0, v161
	v_not_b32_e32 v161, v162
	v_lshlrev_b32_e32 v166, 26, v151
	v_cmp_ne_u32_e64 s14, 0, v164
	v_ashrrev_i32_e32 v176, 31, v176
	v_lshlrev_b32_e32 v167, 25, v151
	v_ashrrev_i32_e32 v161, 31, v161
	v_lshlrev_b32_e32 v164, 24, v151
	s_wait_alu 0xf1ff
	v_xor_b32_e32 v160, s14, v160
	v_cmp_gt_i32_e64 s14, 0, v162
	v_not_b32_e32 v162, v163
	v_xor_b32_e32 v176, s15, v176
	v_cmp_gt_i32_e64 s15, 0, v163
	v_and_b32_e32 v160, exec_lo, v160
	v_not_b32_e32 v163, v165
	v_ashrrev_i32_e32 v162, 31, v162
	s_wait_alu 0xf1ff
	v_xor_b32_e32 v161, s14, v161
	v_cmp_gt_i32_e64 s14, 0, v165
	v_and_b32_e32 v160, v160, v176
	v_not_b32_e32 v165, v166
	v_ashrrev_i32_e32 v163, 31, v163
	v_xor_b32_e32 v162, s15, v162
	v_cmp_gt_i32_e64 s15, 0, v166
	v_and_b32_e32 v160, v160, v161
	v_not_b32_e32 v161, v167
	v_ashrrev_i32_e32 v165, 31, v165
	s_wait_alu 0xf1ff
	v_xor_b32_e32 v163, s14, v163
	v_cmp_gt_i32_e64 s14, 0, v167
	v_and_b32_e32 v160, v160, v162
	v_not_b32_e32 v162, v164
	v_ashrrev_i32_e32 v161, 31, v161
	v_xor_b32_e32 v165, s15, v165
	v_lshl_add_u32 v151, v151, 3, v46
	v_and_b32_e32 v160, v160, v163
	v_cmp_gt_i32_e64 s15, 0, v164
	v_ashrrev_i32_e32 v162, 31, v162
	s_wait_alu 0xf1ff
	v_xor_b32_e32 v161, s14, v161
	v_lshl_add_u32 v163, v151, 2, v12
	v_and_b32_e32 v160, v160, v165
	v_xor_b32_e32 v162, s15, v162
	ds_load_b32 v151, v163 offset:32
	v_and_b32_e32 v160, v160, v161
	v_add_nc_u32_e32 v161, 32, v163
	; wave barrier
	s_delay_alu instid0(VALU_DEP_2) | instskip(NEXT) | instid1(VALU_DEP_1)
	v_and_b32_e32 v162, v160, v162
	v_mbcnt_lo_u32_b32 v160, v162, 0
	v_cmp_ne_u32_e64 s15, 0, v162
	s_delay_alu instid0(VALU_DEP_2)
	v_cmp_eq_u32_e64 s14, 0, v160
	s_and_b32 s15, s15, s14
	s_wait_alu 0xfffe
	s_and_saveexec_b32 s14, s15
	s_cbranch_execz .LBB1226_67
; %bb.66:                               ;   in Loop: Header=BB1226_53 Depth=1
	s_wait_dscnt 0x0
	v_bcnt_u32_b32 v162, v162, v151
	ds_store_b32 v161, v162
.LBB1226_67:                            ;   in Loop: Header=BB1226_53 Depth=1
	s_wait_alu 0xfffe
	s_or_b32 exec_lo, exec_lo, s14
	v_cmp_ne_u64_e64 s14, s[16:17], v[66:67]
	; wave barrier
	s_wait_alu 0xf1ff
	s_delay_alu instid0(VALU_DEP_1) | instskip(SKIP_1) | instid1(VALU_DEP_1)
	v_cndmask_b32_e64 v163, 0x80000000, v67, s14
	v_cndmask_b32_e64 v162, 0, v66, s14
	v_lshrrev_b64 v[162:163], v10, v[162:163]
	s_delay_alu instid0(VALU_DEP_1) | instskip(NEXT) | instid1(VALU_DEP_1)
	v_and_b32_e32 v162, v162, v130
	v_and_b32_e32 v163, 1, v162
	v_lshlrev_b32_e32 v164, 30, v162
	v_lshlrev_b32_e32 v165, 29, v162
	;; [unrolled: 1-line block ×4, first 2 shown]
	v_add_co_u32 v163, s14, v163, -1
	s_wait_alu 0xf1ff
	v_cndmask_b32_e64 v167, 0, 1, s14
	v_not_b32_e32 v179, v164
	v_cmp_gt_i32_e64 s15, 0, v164
	v_not_b32_e32 v164, v165
	v_lshlrev_b32_e32 v177, 26, v162
	v_cmp_ne_u32_e64 s14, 0, v167
	v_ashrrev_i32_e32 v179, 31, v179
	v_lshlrev_b32_e32 v178, 25, v162
	v_ashrrev_i32_e32 v164, 31, v164
	v_lshlrev_b32_e32 v167, 24, v162
	s_wait_alu 0xf1ff
	v_xor_b32_e32 v163, s14, v163
	v_cmp_gt_i32_e64 s14, 0, v165
	v_not_b32_e32 v165, v166
	v_xor_b32_e32 v179, s15, v179
	v_cmp_gt_i32_e64 s15, 0, v166
	v_and_b32_e32 v163, exec_lo, v163
	v_not_b32_e32 v166, v176
	v_ashrrev_i32_e32 v165, 31, v165
	s_wait_alu 0xf1ff
	v_xor_b32_e32 v164, s14, v164
	v_cmp_gt_i32_e64 s14, 0, v176
	v_and_b32_e32 v163, v163, v179
	v_not_b32_e32 v176, v177
	v_ashrrev_i32_e32 v166, 31, v166
	v_xor_b32_e32 v165, s15, v165
	v_cmp_gt_i32_e64 s15, 0, v177
	v_and_b32_e32 v163, v163, v164
	v_not_b32_e32 v164, v178
	v_ashrrev_i32_e32 v176, 31, v176
	s_wait_alu 0xf1ff
	v_xor_b32_e32 v166, s14, v166
	v_cmp_gt_i32_e64 s14, 0, v178
	v_and_b32_e32 v163, v163, v165
	v_not_b32_e32 v165, v167
	v_ashrrev_i32_e32 v164, 31, v164
	v_xor_b32_e32 v176, s15, v176
	v_lshl_add_u32 v162, v162, 3, v46
	v_and_b32_e32 v163, v163, v166
	v_cmp_gt_i32_e64 s15, 0, v167
	v_ashrrev_i32_e32 v165, 31, v165
	s_wait_alu 0xf1ff
	v_xor_b32_e32 v164, s14, v164
	v_lshl_add_u32 v166, v162, 2, v12
	v_and_b32_e32 v163, v163, v176
	v_xor_b32_e32 v165, s15, v165
	ds_load_b32 v162, v166 offset:32
	v_and_b32_e32 v163, v163, v164
	v_add_nc_u32_e32 v164, 32, v166
	; wave barrier
	s_delay_alu instid0(VALU_DEP_2) | instskip(NEXT) | instid1(VALU_DEP_1)
	v_and_b32_e32 v165, v163, v165
	v_mbcnt_lo_u32_b32 v163, v165, 0
	v_cmp_ne_u32_e64 s15, 0, v165
	s_delay_alu instid0(VALU_DEP_2)
	v_cmp_eq_u32_e64 s14, 0, v163
	s_and_b32 s15, s15, s14
	s_wait_alu 0xfffe
	s_and_saveexec_b32 s14, s15
	s_cbranch_execz .LBB1226_69
; %bb.68:                               ;   in Loop: Header=BB1226_53 Depth=1
	s_wait_dscnt 0x0
	v_bcnt_u32_b32 v165, v165, v162
	ds_store_b32 v164, v165
.LBB1226_69:                            ;   in Loop: Header=BB1226_53 Depth=1
	s_wait_alu 0xfffe
	s_or_b32 exec_lo, exec_lo, s14
	v_cmp_ne_u64_e64 s14, s[16:17], v[80:81]
	; wave barrier
	s_wait_alu 0xf1ff
	s_delay_alu instid0(VALU_DEP_1) | instskip(SKIP_1) | instid1(VALU_DEP_1)
	v_cndmask_b32_e64 v166, 0x80000000, v81, s14
	v_cndmask_b32_e64 v165, 0, v80, s14
	v_lshrrev_b64 v[165:166], v10, v[165:166]
	s_delay_alu instid0(VALU_DEP_1) | instskip(NEXT) | instid1(VALU_DEP_1)
	v_and_b32_e32 v165, v165, v130
	v_and_b32_e32 v166, 1, v165
	v_lshlrev_b32_e32 v167, 30, v165
	v_lshlrev_b32_e32 v176, 29, v165
	;; [unrolled: 1-line block ×4, first 2 shown]
	v_add_co_u32 v166, s14, v166, -1
	s_wait_alu 0xf1ff
	v_cndmask_b32_e64 v178, 0, 1, s14
	v_not_b32_e32 v182, v167
	v_cmp_gt_i32_e64 s15, 0, v167
	v_not_b32_e32 v167, v176
	v_lshlrev_b32_e32 v180, 26, v165
	v_cmp_ne_u32_e64 s14, 0, v178
	v_ashrrev_i32_e32 v182, 31, v182
	v_lshlrev_b32_e32 v181, 25, v165
	v_ashrrev_i32_e32 v167, 31, v167
	v_lshlrev_b32_e32 v178, 24, v165
	s_wait_alu 0xf1ff
	v_xor_b32_e32 v166, s14, v166
	v_cmp_gt_i32_e64 s14, 0, v176
	v_not_b32_e32 v176, v177
	v_xor_b32_e32 v182, s15, v182
	v_cmp_gt_i32_e64 s15, 0, v177
	v_and_b32_e32 v166, exec_lo, v166
	v_not_b32_e32 v177, v179
	v_ashrrev_i32_e32 v176, 31, v176
	s_wait_alu 0xf1ff
	v_xor_b32_e32 v167, s14, v167
	v_cmp_gt_i32_e64 s14, 0, v179
	v_and_b32_e32 v166, v166, v182
	v_not_b32_e32 v179, v180
	v_ashrrev_i32_e32 v177, 31, v177
	v_xor_b32_e32 v176, s15, v176
	v_cmp_gt_i32_e64 s15, 0, v180
	v_and_b32_e32 v166, v166, v167
	v_not_b32_e32 v167, v181
	v_ashrrev_i32_e32 v179, 31, v179
	s_wait_alu 0xf1ff
	v_xor_b32_e32 v177, s14, v177
	v_cmp_gt_i32_e64 s14, 0, v181
	v_and_b32_e32 v166, v166, v176
	v_not_b32_e32 v176, v178
	v_ashrrev_i32_e32 v167, 31, v167
	v_xor_b32_e32 v179, s15, v179
	v_lshl_add_u32 v165, v165, 3, v46
	v_and_b32_e32 v166, v166, v177
	v_cmp_gt_i32_e64 s15, 0, v178
	v_ashrrev_i32_e32 v176, 31, v176
	s_wait_alu 0xf1ff
	v_xor_b32_e32 v167, s14, v167
	v_lshl_add_u32 v177, v165, 2, v12
	v_and_b32_e32 v166, v166, v179
	v_xor_b32_e32 v176, s15, v176
	ds_load_b32 v165, v177 offset:32
	v_and_b32_e32 v166, v166, v167
	v_add_nc_u32_e32 v167, 32, v177
	; wave barrier
	s_delay_alu instid0(VALU_DEP_2) | instskip(NEXT) | instid1(VALU_DEP_1)
	v_and_b32_e32 v176, v166, v176
	v_mbcnt_lo_u32_b32 v166, v176, 0
	v_cmp_ne_u32_e64 s15, 0, v176
	s_delay_alu instid0(VALU_DEP_2)
	v_cmp_eq_u32_e64 s14, 0, v166
	s_and_b32 s15, s15, s14
	s_wait_alu 0xfffe
	s_and_saveexec_b32 s14, s15
	s_cbranch_execz .LBB1226_71
; %bb.70:                               ;   in Loop: Header=BB1226_53 Depth=1
	s_wait_dscnt 0x0
	v_bcnt_u32_b32 v176, v176, v165
	ds_store_b32 v167, v176
.LBB1226_71:                            ;   in Loop: Header=BB1226_53 Depth=1
	s_wait_alu 0xfffe
	s_or_b32 exec_lo, exec_lo, s14
	v_cmp_ne_u64_e64 s14, s[16:17], v[82:83]
	; wave barrier
	s_wait_alu 0xf1ff
	s_delay_alu instid0(VALU_DEP_1) | instskip(SKIP_1) | instid1(VALU_DEP_1)
	v_cndmask_b32_e64 v177, 0x80000000, v83, s14
	v_cndmask_b32_e64 v176, 0, v82, s14
	v_lshrrev_b64 v[176:177], v10, v[176:177]
	s_delay_alu instid0(VALU_DEP_1) | instskip(NEXT) | instid1(VALU_DEP_1)
	v_and_b32_e32 v176, v176, v130
	v_and_b32_e32 v177, 1, v176
	v_lshlrev_b32_e32 v178, 30, v176
	v_lshlrev_b32_e32 v179, 29, v176
	;; [unrolled: 1-line block ×4, first 2 shown]
	v_add_co_u32 v177, s14, v177, -1
	s_wait_alu 0xf1ff
	v_cndmask_b32_e64 v181, 0, 1, s14
	v_not_b32_e32 v193, v178
	v_cmp_gt_i32_e64 s15, 0, v178
	v_not_b32_e32 v178, v179
	v_lshlrev_b32_e32 v183, 26, v176
	v_cmp_ne_u32_e64 s14, 0, v181
	v_ashrrev_i32_e32 v193, 31, v193
	v_lshlrev_b32_e32 v192, 25, v176
	v_ashrrev_i32_e32 v178, 31, v178
	v_lshlrev_b32_e32 v181, 24, v176
	s_wait_alu 0xf1ff
	v_xor_b32_e32 v177, s14, v177
	v_cmp_gt_i32_e64 s14, 0, v179
	v_not_b32_e32 v179, v180
	v_xor_b32_e32 v193, s15, v193
	v_cmp_gt_i32_e64 s15, 0, v180
	v_and_b32_e32 v177, exec_lo, v177
	v_not_b32_e32 v180, v182
	v_ashrrev_i32_e32 v179, 31, v179
	s_wait_alu 0xf1ff
	v_xor_b32_e32 v178, s14, v178
	v_cmp_gt_i32_e64 s14, 0, v182
	v_and_b32_e32 v177, v177, v193
	v_not_b32_e32 v182, v183
	v_ashrrev_i32_e32 v180, 31, v180
	v_xor_b32_e32 v179, s15, v179
	v_cmp_gt_i32_e64 s15, 0, v183
	v_and_b32_e32 v177, v177, v178
	v_not_b32_e32 v178, v192
	v_ashrrev_i32_e32 v182, 31, v182
	s_wait_alu 0xf1ff
	v_xor_b32_e32 v180, s14, v180
	v_cmp_gt_i32_e64 s14, 0, v192
	v_and_b32_e32 v177, v177, v179
	v_not_b32_e32 v179, v181
	v_ashrrev_i32_e32 v178, 31, v178
	v_xor_b32_e32 v182, s15, v182
	v_lshl_add_u32 v176, v176, 3, v46
	v_and_b32_e32 v177, v177, v180
	v_cmp_gt_i32_e64 s15, 0, v181
	v_ashrrev_i32_e32 v179, 31, v179
	s_wait_alu 0xf1ff
	v_xor_b32_e32 v178, s14, v178
	v_lshl_add_u32 v180, v176, 2, v12
	v_and_b32_e32 v177, v177, v182
	v_xor_b32_e32 v179, s15, v179
	ds_load_b32 v176, v180 offset:32
	v_and_b32_e32 v177, v177, v178
	v_add_nc_u32_e32 v178, 32, v180
	; wave barrier
	s_delay_alu instid0(VALU_DEP_2) | instskip(NEXT) | instid1(VALU_DEP_1)
	v_and_b32_e32 v179, v177, v179
	v_mbcnt_lo_u32_b32 v177, v179, 0
	v_cmp_ne_u32_e64 s15, 0, v179
	s_delay_alu instid0(VALU_DEP_2)
	v_cmp_eq_u32_e64 s14, 0, v177
	s_and_b32 s15, s15, s14
	s_wait_alu 0xfffe
	s_and_saveexec_b32 s14, s15
	s_cbranch_execz .LBB1226_73
; %bb.72:                               ;   in Loop: Header=BB1226_53 Depth=1
	s_wait_dscnt 0x0
	v_bcnt_u32_b32 v179, v179, v176
	ds_store_b32 v178, v179
.LBB1226_73:                            ;   in Loop: Header=BB1226_53 Depth=1
	s_wait_alu 0xfffe
	s_or_b32 exec_lo, exec_lo, s14
	v_cmp_ne_u64_e64 s14, s[16:17], v[84:85]
	; wave barrier
	s_wait_alu 0xf1ff
	s_delay_alu instid0(VALU_DEP_1) | instskip(SKIP_1) | instid1(VALU_DEP_1)
	v_cndmask_b32_e64 v180, 0x80000000, v85, s14
	v_cndmask_b32_e64 v179, 0, v84, s14
	v_lshrrev_b64 v[179:180], v10, v[179:180]
	s_delay_alu instid0(VALU_DEP_1) | instskip(NEXT) | instid1(VALU_DEP_1)
	v_and_b32_e32 v179, v179, v130
	v_and_b32_e32 v180, 1, v179
	v_lshlrev_b32_e32 v181, 30, v179
	v_lshlrev_b32_e32 v182, 29, v179
	;; [unrolled: 1-line block ×4, first 2 shown]
	v_add_co_u32 v180, s14, v180, -1
	s_wait_alu 0xf1ff
	v_cndmask_b32_e64 v192, 0, 1, s14
	v_not_b32_e32 v196, v181
	v_cmp_gt_i32_e64 s15, 0, v181
	v_not_b32_e32 v181, v182
	v_lshlrev_b32_e32 v194, 26, v179
	v_cmp_ne_u32_e64 s14, 0, v192
	v_ashrrev_i32_e32 v196, 31, v196
	v_lshlrev_b32_e32 v195, 25, v179
	v_ashrrev_i32_e32 v181, 31, v181
	v_lshlrev_b32_e32 v192, 24, v179
	s_wait_alu 0xf1ff
	v_xor_b32_e32 v180, s14, v180
	v_cmp_gt_i32_e64 s14, 0, v182
	v_not_b32_e32 v182, v183
	v_xor_b32_e32 v196, s15, v196
	v_cmp_gt_i32_e64 s15, 0, v183
	v_and_b32_e32 v180, exec_lo, v180
	v_not_b32_e32 v183, v193
	v_ashrrev_i32_e32 v182, 31, v182
	s_wait_alu 0xf1ff
	v_xor_b32_e32 v181, s14, v181
	v_cmp_gt_i32_e64 s14, 0, v193
	v_and_b32_e32 v180, v180, v196
	v_not_b32_e32 v193, v194
	v_ashrrev_i32_e32 v183, 31, v183
	v_xor_b32_e32 v182, s15, v182
	v_cmp_gt_i32_e64 s15, 0, v194
	v_and_b32_e32 v180, v180, v181
	v_not_b32_e32 v181, v195
	v_ashrrev_i32_e32 v193, 31, v193
	s_wait_alu 0xf1ff
	v_xor_b32_e32 v183, s14, v183
	v_cmp_gt_i32_e64 s14, 0, v195
	v_and_b32_e32 v180, v180, v182
	v_not_b32_e32 v182, v192
	v_ashrrev_i32_e32 v181, 31, v181
	v_xor_b32_e32 v193, s15, v193
	v_lshl_add_u32 v179, v179, 3, v46
	v_and_b32_e32 v180, v180, v183
	v_cmp_gt_i32_e64 s15, 0, v192
	v_ashrrev_i32_e32 v182, 31, v182
	s_wait_alu 0xf1ff
	v_xor_b32_e32 v181, s14, v181
	v_lshl_add_u32 v183, v179, 2, v12
	v_and_b32_e32 v180, v180, v193
	v_xor_b32_e32 v182, s15, v182
	ds_load_b32 v179, v183 offset:32
	v_and_b32_e32 v180, v180, v181
	v_add_nc_u32_e32 v181, 32, v183
	; wave barrier
	s_delay_alu instid0(VALU_DEP_2) | instskip(NEXT) | instid1(VALU_DEP_1)
	v_and_b32_e32 v182, v180, v182
	v_mbcnt_lo_u32_b32 v180, v182, 0
	v_cmp_ne_u32_e64 s15, 0, v182
	s_delay_alu instid0(VALU_DEP_2)
	v_cmp_eq_u32_e64 s14, 0, v180
	s_and_b32 s15, s15, s14
	s_wait_alu 0xfffe
	s_and_saveexec_b32 s14, s15
	s_cbranch_execz .LBB1226_75
; %bb.74:                               ;   in Loop: Header=BB1226_53 Depth=1
	s_wait_dscnt 0x0
	v_bcnt_u32_b32 v182, v182, v179
	ds_store_b32 v181, v182
.LBB1226_75:                            ;   in Loop: Header=BB1226_53 Depth=1
	s_wait_alu 0xfffe
	s_or_b32 exec_lo, exec_lo, s14
	v_cmp_ne_u64_e64 s14, s[16:17], v[86:87]
	; wave barrier
	s_wait_alu 0xf1ff
	s_delay_alu instid0(VALU_DEP_1) | instskip(SKIP_1) | instid1(VALU_DEP_1)
	v_cndmask_b32_e64 v183, 0x80000000, v87, s14
	v_cndmask_b32_e64 v182, 0, v86, s14
	v_lshrrev_b64 v[182:183], v10, v[182:183]
	s_delay_alu instid0(VALU_DEP_1) | instskip(NEXT) | instid1(VALU_DEP_1)
	v_and_b32_e32 v182, v182, v130
	v_and_b32_e32 v183, 1, v182
	v_lshlrev_b32_e32 v192, 30, v182
	v_lshlrev_b32_e32 v193, 29, v182
	;; [unrolled: 1-line block ×4, first 2 shown]
	v_add_co_u32 v183, s14, v183, -1
	s_wait_alu 0xf1ff
	v_cndmask_b32_e64 v195, 0, 1, s14
	v_not_b32_e32 v199, v192
	v_cmp_gt_i32_e64 s15, 0, v192
	v_not_b32_e32 v192, v193
	v_lshlrev_b32_e32 v197, 26, v182
	v_cmp_ne_u32_e64 s14, 0, v195
	v_ashrrev_i32_e32 v199, 31, v199
	v_lshlrev_b32_e32 v198, 25, v182
	v_ashrrev_i32_e32 v192, 31, v192
	v_lshlrev_b32_e32 v195, 24, v182
	s_wait_alu 0xf1ff
	v_xor_b32_e32 v183, s14, v183
	v_cmp_gt_i32_e64 s14, 0, v193
	v_not_b32_e32 v193, v194
	v_xor_b32_e32 v199, s15, v199
	v_cmp_gt_i32_e64 s15, 0, v194
	v_and_b32_e32 v183, exec_lo, v183
	v_not_b32_e32 v194, v196
	v_ashrrev_i32_e32 v193, 31, v193
	s_wait_alu 0xf1ff
	v_xor_b32_e32 v192, s14, v192
	v_cmp_gt_i32_e64 s14, 0, v196
	v_and_b32_e32 v183, v183, v199
	v_not_b32_e32 v196, v197
	v_ashrrev_i32_e32 v194, 31, v194
	v_xor_b32_e32 v193, s15, v193
	v_cmp_gt_i32_e64 s15, 0, v197
	v_and_b32_e32 v183, v183, v192
	v_not_b32_e32 v192, v198
	v_ashrrev_i32_e32 v196, 31, v196
	s_wait_alu 0xf1ff
	v_xor_b32_e32 v194, s14, v194
	v_cmp_gt_i32_e64 s14, 0, v198
	v_and_b32_e32 v183, v183, v193
	v_not_b32_e32 v193, v195
	v_ashrrev_i32_e32 v192, 31, v192
	v_xor_b32_e32 v196, s15, v196
	v_lshl_add_u32 v182, v182, 3, v46
	v_and_b32_e32 v183, v183, v194
	v_cmp_gt_i32_e64 s15, 0, v195
	v_ashrrev_i32_e32 v193, 31, v193
	s_wait_alu 0xf1ff
	v_xor_b32_e32 v192, s14, v192
	v_lshl_add_u32 v194, v182, 2, v12
	v_and_b32_e32 v183, v183, v196
	v_xor_b32_e32 v193, s15, v193
	ds_load_b32 v182, v194 offset:32
	v_and_b32_e32 v183, v183, v192
	v_add_nc_u32_e32 v192, 32, v194
	; wave barrier
	s_delay_alu instid0(VALU_DEP_2) | instskip(NEXT) | instid1(VALU_DEP_1)
	v_and_b32_e32 v193, v183, v193
	v_mbcnt_lo_u32_b32 v183, v193, 0
	v_cmp_ne_u32_e64 s15, 0, v193
	s_delay_alu instid0(VALU_DEP_2)
	v_cmp_eq_u32_e64 s14, 0, v183
	s_and_b32 s15, s15, s14
	s_wait_alu 0xfffe
	s_and_saveexec_b32 s14, s15
	s_cbranch_execz .LBB1226_77
; %bb.76:                               ;   in Loop: Header=BB1226_53 Depth=1
	s_wait_dscnt 0x0
	v_bcnt_u32_b32 v193, v193, v182
	ds_store_b32 v192, v193
.LBB1226_77:                            ;   in Loop: Header=BB1226_53 Depth=1
	s_wait_alu 0xfffe
	s_or_b32 exec_lo, exec_lo, s14
	v_cmp_ne_u64_e64 s14, s[16:17], v[96:97]
	; wave barrier
	s_wait_alu 0xf1ff
	s_delay_alu instid0(VALU_DEP_1) | instskip(SKIP_1) | instid1(VALU_DEP_1)
	v_cndmask_b32_e64 v194, 0x80000000, v97, s14
	v_cndmask_b32_e64 v193, 0, v96, s14
	v_lshrrev_b64 v[193:194], v10, v[193:194]
	s_delay_alu instid0(VALU_DEP_1) | instskip(NEXT) | instid1(VALU_DEP_1)
	v_and_b32_e32 v193, v193, v130
	v_and_b32_e32 v194, 1, v193
	v_lshlrev_b32_e32 v195, 30, v193
	v_lshlrev_b32_e32 v196, 29, v193
	;; [unrolled: 1-line block ×4, first 2 shown]
	v_add_co_u32 v194, s14, v194, -1
	s_wait_alu 0xf1ff
	v_cndmask_b32_e64 v198, 0, 1, s14
	v_not_b32_e32 v210, v195
	v_cmp_gt_i32_e64 s15, 0, v195
	v_not_b32_e32 v195, v196
	v_lshlrev_b32_e32 v208, 26, v193
	v_cmp_ne_u32_e64 s14, 0, v198
	v_ashrrev_i32_e32 v210, 31, v210
	v_lshlrev_b32_e32 v209, 25, v193
	v_ashrrev_i32_e32 v195, 31, v195
	v_lshlrev_b32_e32 v198, 24, v193
	s_wait_alu 0xf1ff
	v_xor_b32_e32 v194, s14, v194
	v_cmp_gt_i32_e64 s14, 0, v196
	v_not_b32_e32 v196, v197
	v_xor_b32_e32 v210, s15, v210
	v_cmp_gt_i32_e64 s15, 0, v197
	v_and_b32_e32 v194, exec_lo, v194
	v_not_b32_e32 v197, v199
	v_ashrrev_i32_e32 v196, 31, v196
	s_wait_alu 0xf1ff
	v_xor_b32_e32 v195, s14, v195
	v_cmp_gt_i32_e64 s14, 0, v199
	v_and_b32_e32 v194, v194, v210
	v_not_b32_e32 v199, v208
	v_ashrrev_i32_e32 v197, 31, v197
	v_xor_b32_e32 v196, s15, v196
	v_cmp_gt_i32_e64 s15, 0, v208
	v_and_b32_e32 v194, v194, v195
	v_not_b32_e32 v195, v209
	v_ashrrev_i32_e32 v199, 31, v199
	s_wait_alu 0xf1ff
	v_xor_b32_e32 v197, s14, v197
	v_cmp_gt_i32_e64 s14, 0, v209
	v_and_b32_e32 v194, v194, v196
	v_not_b32_e32 v196, v198
	v_ashrrev_i32_e32 v195, 31, v195
	v_xor_b32_e32 v199, s15, v199
	v_lshl_add_u32 v193, v193, 3, v46
	v_and_b32_e32 v194, v194, v197
	v_cmp_gt_i32_e64 s15, 0, v198
	v_ashrrev_i32_e32 v196, 31, v196
	s_wait_alu 0xf1ff
	v_xor_b32_e32 v195, s14, v195
	v_lshl_add_u32 v197, v193, 2, v12
	v_and_b32_e32 v194, v194, v199
	v_xor_b32_e32 v196, s15, v196
	ds_load_b32 v193, v197 offset:32
	v_and_b32_e32 v194, v194, v195
	v_add_nc_u32_e32 v195, 32, v197
	; wave barrier
	s_delay_alu instid0(VALU_DEP_2) | instskip(NEXT) | instid1(VALU_DEP_1)
	v_and_b32_e32 v196, v194, v196
	v_mbcnt_lo_u32_b32 v194, v196, 0
	v_cmp_ne_u32_e64 s15, 0, v196
	s_delay_alu instid0(VALU_DEP_2)
	v_cmp_eq_u32_e64 s14, 0, v194
	s_and_b32 s15, s15, s14
	s_wait_alu 0xfffe
	s_and_saveexec_b32 s14, s15
	s_cbranch_execz .LBB1226_79
; %bb.78:                               ;   in Loop: Header=BB1226_53 Depth=1
	s_wait_dscnt 0x0
	v_bcnt_u32_b32 v196, v196, v193
	ds_store_b32 v195, v196
.LBB1226_79:                            ;   in Loop: Header=BB1226_53 Depth=1
	s_wait_alu 0xfffe
	s_or_b32 exec_lo, exec_lo, s14
	v_cmp_ne_u64_e64 s14, s[16:17], v[98:99]
	; wave barrier
	s_wait_alu 0xf1ff
	s_delay_alu instid0(VALU_DEP_1) | instskip(SKIP_1) | instid1(VALU_DEP_1)
	v_cndmask_b32_e64 v197, 0x80000000, v99, s14
	v_cndmask_b32_e64 v196, 0, v98, s14
	v_lshrrev_b64 v[196:197], v10, v[196:197]
	s_delay_alu instid0(VALU_DEP_1) | instskip(NEXT) | instid1(VALU_DEP_1)
	v_and_b32_e32 v196, v196, v130
	v_and_b32_e32 v197, 1, v196
	v_lshlrev_b32_e32 v198, 30, v196
	v_lshlrev_b32_e32 v199, 29, v196
	;; [unrolled: 1-line block ×4, first 2 shown]
	v_add_co_u32 v197, s14, v197, -1
	s_wait_alu 0xf1ff
	v_cndmask_b32_e64 v209, 0, 1, s14
	v_not_b32_e32 v213, v198
	v_cmp_gt_i32_e64 s15, 0, v198
	v_not_b32_e32 v198, v199
	v_lshlrev_b32_e32 v211, 26, v196
	v_cmp_ne_u32_e64 s14, 0, v209
	v_ashrrev_i32_e32 v213, 31, v213
	v_lshlrev_b32_e32 v212, 25, v196
	v_ashrrev_i32_e32 v198, 31, v198
	v_lshlrev_b32_e32 v209, 24, v196
	s_wait_alu 0xf1ff
	v_xor_b32_e32 v197, s14, v197
	v_cmp_gt_i32_e64 s14, 0, v199
	v_not_b32_e32 v199, v208
	v_xor_b32_e32 v213, s15, v213
	v_cmp_gt_i32_e64 s15, 0, v208
	v_and_b32_e32 v197, exec_lo, v197
	v_not_b32_e32 v208, v210
	v_ashrrev_i32_e32 v199, 31, v199
	s_wait_alu 0xf1ff
	v_xor_b32_e32 v198, s14, v198
	v_cmp_gt_i32_e64 s14, 0, v210
	v_and_b32_e32 v197, v197, v213
	v_not_b32_e32 v210, v211
	v_ashrrev_i32_e32 v208, 31, v208
	v_xor_b32_e32 v199, s15, v199
	v_cmp_gt_i32_e64 s15, 0, v211
	v_and_b32_e32 v197, v197, v198
	v_not_b32_e32 v198, v212
	v_ashrrev_i32_e32 v210, 31, v210
	s_wait_alu 0xf1ff
	v_xor_b32_e32 v208, s14, v208
	v_cmp_gt_i32_e64 s14, 0, v212
	v_and_b32_e32 v197, v197, v199
	v_not_b32_e32 v199, v209
	v_ashrrev_i32_e32 v198, 31, v198
	v_xor_b32_e32 v210, s15, v210
	v_lshl_add_u32 v196, v196, 3, v46
	v_and_b32_e32 v197, v197, v208
	v_cmp_gt_i32_e64 s15, 0, v209
	v_ashrrev_i32_e32 v199, 31, v199
	s_wait_alu 0xf1ff
	v_xor_b32_e32 v198, s14, v198
	v_lshl_add_u32 v208, v196, 2, v12
	v_and_b32_e32 v197, v197, v210
	v_xor_b32_e32 v199, s15, v199
	ds_load_b32 v196, v208 offset:32
	v_and_b32_e32 v197, v197, v198
	v_add_nc_u32_e32 v198, 32, v208
	; wave barrier
	s_delay_alu instid0(VALU_DEP_2) | instskip(NEXT) | instid1(VALU_DEP_1)
	v_and_b32_e32 v199, v197, v199
	v_mbcnt_lo_u32_b32 v197, v199, 0
	v_cmp_ne_u32_e64 s15, 0, v199
	s_delay_alu instid0(VALU_DEP_2)
	v_cmp_eq_u32_e64 s14, 0, v197
	s_and_b32 s15, s15, s14
	s_wait_alu 0xfffe
	s_and_saveexec_b32 s14, s15
	s_cbranch_execz .LBB1226_81
; %bb.80:                               ;   in Loop: Header=BB1226_53 Depth=1
	s_wait_dscnt 0x0
	v_bcnt_u32_b32 v199, v199, v196
	ds_store_b32 v198, v199
.LBB1226_81:                            ;   in Loop: Header=BB1226_53 Depth=1
	s_wait_alu 0xfffe
	s_or_b32 exec_lo, exec_lo, s14
	v_cmp_ne_u64_e64 s14, s[16:17], v[100:101]
	; wave barrier
	s_wait_alu 0xf1ff
	s_delay_alu instid0(VALU_DEP_1) | instskip(SKIP_1) | instid1(VALU_DEP_1)
	v_cndmask_b32_e64 v209, 0x80000000, v101, s14
	v_cndmask_b32_e64 v208, 0, v100, s14
	v_lshrrev_b64 v[208:209], v10, v[208:209]
	s_delay_alu instid0(VALU_DEP_1) | instskip(NEXT) | instid1(VALU_DEP_1)
	v_and_b32_e32 v199, v208, v130
	v_and_b32_e32 v208, 1, v199
	v_lshlrev_b32_e32 v209, 30, v199
	v_lshlrev_b32_e32 v210, 29, v199
	;; [unrolled: 1-line block ×4, first 2 shown]
	v_add_co_u32 v208, s14, v208, -1
	s_wait_alu 0xf1ff
	v_cndmask_b32_e64 v212, 0, 1, s14
	v_not_b32_e32 v224, v209
	v_cmp_gt_i32_e64 s15, 0, v209
	v_not_b32_e32 v209, v210
	v_lshlrev_b32_e32 v214, 26, v199
	v_cmp_ne_u32_e64 s14, 0, v212
	v_ashrrev_i32_e32 v224, 31, v224
	v_lshlrev_b32_e32 v215, 25, v199
	v_ashrrev_i32_e32 v209, 31, v209
	v_lshlrev_b32_e32 v212, 24, v199
	s_wait_alu 0xf1ff
	v_xor_b32_e32 v208, s14, v208
	v_cmp_gt_i32_e64 s14, 0, v210
	v_not_b32_e32 v210, v211
	v_xor_b32_e32 v224, s15, v224
	v_cmp_gt_i32_e64 s15, 0, v211
	v_and_b32_e32 v208, exec_lo, v208
	v_not_b32_e32 v211, v213
	v_ashrrev_i32_e32 v210, 31, v210
	s_wait_alu 0xf1ff
	v_xor_b32_e32 v209, s14, v209
	v_cmp_gt_i32_e64 s14, 0, v213
	v_and_b32_e32 v208, v208, v224
	v_not_b32_e32 v213, v214
	v_ashrrev_i32_e32 v211, 31, v211
	v_xor_b32_e32 v210, s15, v210
	v_cmp_gt_i32_e64 s15, 0, v214
	v_and_b32_e32 v208, v208, v209
	v_not_b32_e32 v209, v215
	v_ashrrev_i32_e32 v213, 31, v213
	s_wait_alu 0xf1ff
	v_xor_b32_e32 v211, s14, v211
	v_cmp_gt_i32_e64 s14, 0, v215
	v_and_b32_e32 v208, v208, v210
	v_not_b32_e32 v210, v212
	v_ashrrev_i32_e32 v209, 31, v209
	v_xor_b32_e32 v213, s15, v213
	v_lshl_add_u32 v199, v199, 3, v46
	v_and_b32_e32 v208, v208, v211
	v_cmp_gt_i32_e64 s15, 0, v212
	v_ashrrev_i32_e32 v210, 31, v210
	s_wait_alu 0xf1ff
	v_xor_b32_e32 v209, s14, v209
	v_lshl_add_u32 v211, v199, 2, v12
	v_and_b32_e32 v208, v208, v213
	v_xor_b32_e32 v210, s15, v210
	ds_load_b32 v199, v211 offset:32
	v_and_b32_e32 v208, v208, v209
	v_add_nc_u32_e32 v209, 32, v211
	; wave barrier
	s_delay_alu instid0(VALU_DEP_2) | instskip(NEXT) | instid1(VALU_DEP_1)
	v_and_b32_e32 v210, v208, v210
	v_mbcnt_lo_u32_b32 v208, v210, 0
	v_cmp_ne_u32_e64 s15, 0, v210
	s_delay_alu instid0(VALU_DEP_2)
	v_cmp_eq_u32_e64 s14, 0, v208
	s_and_b32 s15, s15, s14
	s_wait_alu 0xfffe
	s_and_saveexec_b32 s14, s15
	s_cbranch_execz .LBB1226_83
; %bb.82:                               ;   in Loop: Header=BB1226_53 Depth=1
	s_wait_dscnt 0x0
	v_bcnt_u32_b32 v210, v210, v199
	ds_store_b32 v209, v210
.LBB1226_83:                            ;   in Loop: Header=BB1226_53 Depth=1
	s_wait_alu 0xfffe
	s_or_b32 exec_lo, exec_lo, s14
	v_cmp_ne_u64_e64 s14, s[16:17], v[102:103]
	; wave barrier
	s_wait_alu 0xf1ff
	s_delay_alu instid0(VALU_DEP_1) | instskip(SKIP_1) | instid1(VALU_DEP_1)
	v_cndmask_b32_e64 v211, 0x80000000, v103, s14
	v_cndmask_b32_e64 v210, 0, v102, s14
	v_lshrrev_b64 v[210:211], v10, v[210:211]
	s_delay_alu instid0(VALU_DEP_1) | instskip(NEXT) | instid1(VALU_DEP_1)
	v_and_b32_e32 v130, v210, v130
	v_and_b32_e32 v210, 1, v130
	v_lshlrev_b32_e32 v211, 30, v130
	v_lshlrev_b32_e32 v212, 29, v130
	;; [unrolled: 1-line block ×4, first 2 shown]
	v_add_co_u32 v210, s14, v210, -1
	s_wait_alu 0xf1ff
	v_cndmask_b32_e64 v214, 0, 1, s14
	v_not_b32_e32 v226, v211
	v_cmp_gt_i32_e64 s15, 0, v211
	v_not_b32_e32 v211, v212
	v_lshlrev_b32_e32 v224, 26, v130
	v_cmp_ne_u32_e64 s14, 0, v214
	v_ashrrev_i32_e32 v226, 31, v226
	v_lshlrev_b32_e32 v225, 25, v130
	v_ashrrev_i32_e32 v211, 31, v211
	v_lshlrev_b32_e32 v214, 24, v130
	s_wait_alu 0xf1ff
	v_xor_b32_e32 v210, s14, v210
	v_cmp_gt_i32_e64 s14, 0, v212
	v_not_b32_e32 v212, v213
	v_xor_b32_e32 v226, s15, v226
	v_cmp_gt_i32_e64 s15, 0, v213
	v_and_b32_e32 v210, exec_lo, v210
	v_not_b32_e32 v213, v215
	v_ashrrev_i32_e32 v212, 31, v212
	s_wait_alu 0xf1ff
	v_xor_b32_e32 v211, s14, v211
	v_cmp_gt_i32_e64 s14, 0, v215
	v_and_b32_e32 v210, v210, v226
	v_not_b32_e32 v215, v224
	v_ashrrev_i32_e32 v213, 31, v213
	v_xor_b32_e32 v212, s15, v212
	v_cmp_gt_i32_e64 s15, 0, v224
	v_and_b32_e32 v210, v210, v211
	v_not_b32_e32 v211, v225
	v_ashrrev_i32_e32 v215, 31, v215
	s_wait_alu 0xf1ff
	v_xor_b32_e32 v213, s14, v213
	v_cmp_gt_i32_e64 s14, 0, v225
	v_and_b32_e32 v210, v210, v212
	v_not_b32_e32 v212, v214
	v_ashrrev_i32_e32 v211, 31, v211
	v_xor_b32_e32 v215, s15, v215
	v_lshl_add_u32 v130, v130, 3, v46
	v_and_b32_e32 v210, v210, v213
	v_cmp_gt_i32_e64 s15, 0, v214
	v_ashrrev_i32_e32 v212, 31, v212
	s_wait_alu 0xf1ff
	v_xor_b32_e32 v211, s14, v211
	v_lshl_add_u32 v213, v130, 2, v12
	v_and_b32_e32 v210, v210, v215
	v_xor_b32_e32 v212, s15, v212
	ds_load_b32 v130, v213 offset:32
	v_and_b32_e32 v210, v210, v211
	v_add_nc_u32_e32 v211, 32, v213
	; wave barrier
	s_delay_alu instid0(VALU_DEP_2) | instskip(NEXT) | instid1(VALU_DEP_1)
	v_and_b32_e32 v212, v210, v212
	v_mbcnt_lo_u32_b32 v210, v212, 0
	v_cmp_ne_u32_e64 s15, 0, v212
	s_delay_alu instid0(VALU_DEP_2)
	v_cmp_eq_u32_e64 s14, 0, v210
	s_and_b32 s15, s15, s14
	s_wait_alu 0xfffe
	s_and_saveexec_b32 s14, s15
	s_cbranch_execz .LBB1226_85
; %bb.84:                               ;   in Loop: Header=BB1226_53 Depth=1
	s_wait_dscnt 0x0
	v_bcnt_u32_b32 v212, v212, v130
	ds_store_b32 v211, v212
.LBB1226_85:                            ;   in Loop: Header=BB1226_53 Depth=1
	s_wait_alu 0xfffe
	s_or_b32 exec_lo, exec_lo, s14
	; wave barrier
	s_wait_loadcnt_dscnt 0x0
	s_barrier_signal -1
	s_barrier_wait -1
	global_inv scope:SCOPE_SE
	ds_load_b32 v224, v246
	ds_load_b32 v225, v247
	;; [unrolled: 1-line block ×8, first 2 shown]
	s_wait_dscnt 0x6
	v_add_nc_u32_e32 v228, v225, v224
	s_wait_dscnt 0x4
	s_delay_alu instid0(VALU_DEP_1) | instskip(SKIP_1) | instid1(VALU_DEP_1)
	v_add3_u32 v228, v228, v226, v215
	s_wait_dscnt 0x2
	v_add3_u32 v228, v228, v214, v213
	s_wait_dscnt 0x0
	s_delay_alu instid0(VALU_DEP_1) | instskip(NEXT) | instid1(VALU_DEP_1)
	v_add3_u32 v227, v228, v212, v227
	v_mov_b32_dpp v228, v227 row_shr:1 row_mask:0xf bank_mask:0xf
	s_wait_alu 0xfffd
	s_delay_alu instid0(VALU_DEP_1) | instskip(NEXT) | instid1(VALU_DEP_1)
	v_cndmask_b32_e64 v228, v228, 0, vcc_lo
	v_add_nc_u32_e32 v227, v228, v227
	s_delay_alu instid0(VALU_DEP_1) | instskip(NEXT) | instid1(VALU_DEP_1)
	v_mov_b32_dpp v228, v227 row_shr:2 row_mask:0xf bank_mask:0xf
	v_cndmask_b32_e64 v228, 0, v228, s0
	s_delay_alu instid0(VALU_DEP_1) | instskip(NEXT) | instid1(VALU_DEP_1)
	v_add_nc_u32_e32 v227, v227, v228
	v_mov_b32_dpp v228, v227 row_shr:4 row_mask:0xf bank_mask:0xf
	s_delay_alu instid0(VALU_DEP_1) | instskip(NEXT) | instid1(VALU_DEP_1)
	v_cndmask_b32_e64 v228, 0, v228, s1
	v_add_nc_u32_e32 v227, v227, v228
	s_delay_alu instid0(VALU_DEP_1) | instskip(NEXT) | instid1(VALU_DEP_1)
	v_mov_b32_dpp v228, v227 row_shr:8 row_mask:0xf bank_mask:0xf
	v_cndmask_b32_e64 v228, 0, v228, s3
	s_delay_alu instid0(VALU_DEP_1) | instskip(SKIP_3) | instid1(VALU_DEP_1)
	v_add_nc_u32_e32 v227, v227, v228
	ds_swizzle_b32 v228, v227 offset:swizzle(BROADCAST,32,15)
	s_wait_dscnt 0x0
	v_cndmask_b32_e64 v228, v228, 0, s4
	v_add_nc_u32_e32 v227, v227, v228
	s_and_saveexec_b32 s14, s5
; %bb.86:                               ;   in Loop: Header=BB1226_53 Depth=1
	ds_store_b32 v56, v227
; %bb.87:                               ;   in Loop: Header=BB1226_53 Depth=1
	s_wait_alu 0xfffe
	s_or_b32 exec_lo, exec_lo, s14
	s_wait_loadcnt_dscnt 0x0
	s_barrier_signal -1
	s_barrier_wait -1
	global_inv scope:SCOPE_SE
	s_and_saveexec_b32 s14, s6
	s_cbranch_execz .LBB1226_89
; %bb.88:                               ;   in Loop: Header=BB1226_53 Depth=1
	ds_load_b32 v228, v57
	s_wait_dscnt 0x0
	v_mov_b32_dpp v229, v228 row_shr:1 row_mask:0xf bank_mask:0xf
	s_delay_alu instid0(VALU_DEP_1) | instskip(NEXT) | instid1(VALU_DEP_1)
	v_cndmask_b32_e64 v229, v229, 0, s11
	v_add_nc_u32_e32 v228, v229, v228
	s_delay_alu instid0(VALU_DEP_1) | instskip(NEXT) | instid1(VALU_DEP_1)
	v_mov_b32_dpp v229, v228 row_shr:2 row_mask:0xf bank_mask:0xf
	v_cndmask_b32_e64 v229, 0, v229, s12
	s_delay_alu instid0(VALU_DEP_1) | instskip(NEXT) | instid1(VALU_DEP_1)
	v_add_nc_u32_e32 v228, v228, v229
	v_mov_b32_dpp v229, v228 row_shr:4 row_mask:0xf bank_mask:0xf
	s_delay_alu instid0(VALU_DEP_1) | instskip(NEXT) | instid1(VALU_DEP_1)
	v_cndmask_b32_e64 v229, 0, v229, s13
	v_add_nc_u32_e32 v228, v228, v229
	ds_store_b32 v57, v228
.LBB1226_89:                            ;   in Loop: Header=BB1226_53 Depth=1
	s_wait_alu 0xfffe
	s_or_b32 exec_lo, exec_lo, s14
	v_mov_b32_e32 v228, 0
	s_wait_loadcnt_dscnt 0x0
	s_barrier_signal -1
	s_barrier_wait -1
	global_inv scope:SCOPE_SE
	s_and_saveexec_b32 s14, s7
; %bb.90:                               ;   in Loop: Header=BB1226_53 Depth=1
	ds_load_b32 v228, v59
; %bb.91:                               ;   in Loop: Header=BB1226_53 Depth=1
	s_wait_alu 0xfffe
	s_or_b32 exec_lo, exec_lo, s14
	s_wait_dscnt 0x0
	v_add_nc_u32_e32 v227, v228, v227
	v_dual_mov_b32 v229, v1 :: v_dual_add_nc_u32 v10, 8, v10
	s_mov_b32 s22, -1
	v_mov_b32_e32 v231, v1
	ds_bpermute_b32 v227, v47, v227
	v_cmp_lt_u32_e64 s14, v10, v11
	v_mov_b32_e32 v241, v1
	s_wait_dscnt 0x0
	v_cndmask_b32_e64 v227, v227, v228, s2
	s_delay_alu instid0(VALU_DEP_1) | instskip(NEXT) | instid1(VALU_DEP_1)
	v_cndmask_b32_e64 v228, v227, 0, s10
	v_dual_mov_b32 v227, v1 :: v_dual_add_nc_u32 v224, v228, v224
	s_delay_alu instid0(VALU_DEP_1) | instskip(NEXT) | instid1(VALU_DEP_1)
	v_dual_mov_b32 v225, v1 :: v_dual_add_nc_u32 v230, v224, v225
	v_add_nc_u32_e32 v226, v230, v226
	s_delay_alu instid0(VALU_DEP_1) | instskip(SKIP_4) | instid1(VALU_DEP_1)
	v_dual_mov_b32 v215, v1 :: v_dual_add_nc_u32 v240, v226, v215
	ds_store_b32 v246, v228
	ds_store_b32 v247, v224
	;; [unrolled: 1-line block ×3, first 2 shown]
	v_dual_mov_b32 v243, v1 :: v_dual_add_nc_u32 v214, v240, v214
	v_dual_mov_b32 v245, v1 :: v_dual_add_nc_u32 v242, v214, v213
	s_delay_alu instid0(VALU_DEP_1)
	v_dual_mov_b32 v213, v1 :: v_dual_add_nc_u32 v212, v242, v212
	ds_store_b32 v41, v226
	ds_store_b32 v42, v240
	;; [unrolled: 1-line block ×5, first 2 shown]
	s_wait_loadcnt_dscnt 0x0
	s_barrier_signal -1
	s_barrier_wait -1
	global_inv scope:SCOPE_SE
	ds_load_b32 v117, v117
	ds_load_b32 v212, v129
	;; [unrolled: 1-line block ×16, first 2 shown]
	v_mov_b32_e32 v129, v1
	v_mov_b32_e32 v133, v1
	;; [unrolled: 1-line block ×3, first 2 shown]
	s_wait_loadcnt_dscnt 0x0
	v_add_nc_u32_e32 v0, v117, v0
	v_add3_u32 v214, v128, v118, v212
	v_add3_u32 v224, v132, v131, v224
	;; [unrolled: 1-line block ×8, first 2 shown]
	v_lshlrev_b64_e32 v[144:145], 3, v[0:1]
	v_add3_u32 v128, v180, v179, v181
	v_add3_u32 v132, v183, v182, v192
	;; [unrolled: 1-line block ×5, first 2 shown]
	v_lshlrev_b64_e32 v[128:129], 3, v[128:129]
	v_add3_u32 v134, v210, v130, v211
	v_lshlrev_b64_e32 v[129:130], 3, v[132:133]
	v_mov_b32_e32 v132, v1
	v_add3_u32 v117, v197, v196, v198
	v_lshlrev_b64_e32 v[160:161], 3, v[228:229]
	v_dual_mov_b32 v118, v1 :: v_dual_mov_b32 v135, v1
	v_lshlrev_b64_e32 v[161:162], 3, v[230:231]
	v_lshlrev_b64_e32 v[162:163], 3, v[240:241]
	;; [unrolled: 1-line block ×6, first 2 shown]
	v_add_co_u32 v109, null, v12, v128
	v_add_co_u32 v110, null, v12, v129
	v_lshlrev_b64_e32 v[128:129], 3, v[131:132]
	v_lshlrev_b64_e32 v[150:151], 3, v[226:227]
	;; [unrolled: 1-line block ×3, first 2 shown]
	v_add_co_u32 v0, null, v12, v144
	v_lshlrev_b64_e32 v[144:145], 3, v[146:147]
	v_lshlrev_b64_e32 v[117:118], 3, v[117:118]
	;; [unrolled: 1-line block ×3, first 2 shown]
	v_add_co_u32 v92, null, v12, v148
	v_add_co_u32 v93, null, v12, v149
	;; [unrolled: 1-line block ×13, first 2 shown]
                                        ; implicit-def: $vgpr117_vgpr118
                                        ; implicit-def: $vgpr130_vgpr131
                                        ; implicit-def: $vgpr134_vgpr135
                                        ; implicit-def: $vgpr128_vgpr129
                                        ; implicit-def: $vgpr132_vgpr133
                                        ; implicit-def: $vgpr144_vgpr145
                                        ; implicit-def: $vgpr146_vgpr147
                                        ; implicit-def: $vgpr148_vgpr149
                                        ; implicit-def: $vgpr150_vgpr151
                                        ; implicit-def: $vgpr160_vgpr161
                                        ; implicit-def: $vgpr162_vgpr163
                                        ; implicit-def: $vgpr164_vgpr165
                                        ; implicit-def: $vgpr166_vgpr167
                                        ; implicit-def: $vgpr176_vgpr177
                                        ; implicit-def: $vgpr182_vgpr183
                                        ; implicit-def: $vgpr194_vgpr195
                                        ; implicit-def: $vgpr210_vgpr211
                                        ; implicit-def: $vgpr180_vgpr181
                                        ; implicit-def: $vgpr178_vgpr179
                                        ; implicit-def: $vgpr192_vgpr193
                                        ; implicit-def: $vgpr196_vgpr197
                                        ; implicit-def: $vgpr198_vgpr199
                                        ; implicit-def: $vgpr208_vgpr209
                                        ; implicit-def: $vgpr212_vgpr213
                                        ; implicit-def: $vgpr214_vgpr215
                                        ; implicit-def: $vgpr230_vgpr231
                                        ; implicit-def: $vgpr224_vgpr225
                                        ; implicit-def: $vgpr240_vgpr241
                                        ; implicit-def: $vgpr226_vgpr227
                                        ; implicit-def: $vgpr242_vgpr243
                                        ; implicit-def: $vgpr228_vgpr229
                                        ; implicit-def: $vgpr244_vgpr245
	s_and_saveexec_b32 s15, s14
	s_cbranch_execz .LBB1226_52
; %bb.92:                               ;   in Loop: Header=BB1226_53 Depth=1
	s_barrier_signal -1
	s_barrier_wait -1
	global_inv scope:SCOPE_SE
	ds_store_b64 v0, v[36:37]
	ds_store_b64 v92, v[38:39]
	;; [unrolled: 1-line block ×16, first 2 shown]
	s_wait_loadcnt_dscnt 0x0
	s_barrier_signal -1
	s_barrier_wait -1
	global_inv scope:SCOPE_SE
	ds_load_b64 v[210:211], v58
	ds_load_b64 v[180:181], v60
	ds_load_b64 v[178:179], v61
	ds_load_b64 v[192:193], v62
	ds_load_b64 v[196:197], v63
	ds_load_b64 v[198:199], v72
	ds_load_b64 v[208:209], v73
	ds_load_b64 v[212:213], v74
	ds_load_b64 v[214:215], v75
	ds_load_b64 v[230:231], v76
	ds_load_b64 v[224:225], v77
	ds_load_b64 v[240:241], v78
	ds_load_b64 v[226:227], v79
	ds_load_b64 v[242:243], v88
	ds_load_b64 v[228:229], v89
	ds_load_b64 v[244:245], v90
	s_wait_loadcnt_dscnt 0x0
	s_barrier_signal -1
	s_barrier_wait -1
	global_inv scope:SCOPE_SE
	ds_store_b64 v0, v[13:14]
	ds_store_b64 v92, v[8:9]
	;; [unrolled: 1-line block ×16, first 2 shown]
	s_wait_loadcnt_dscnt 0x0
	s_barrier_signal -1
	s_barrier_wait -1
	global_inv scope:SCOPE_SE
	ds_load_b64 v[117:118], v58
	ds_load_b64 v[130:131], v60
	;; [unrolled: 1-line block ×16, first 2 shown]
	v_add_nc_u32_e32 v91, -8, v91
	s_xor_b32 s22, exec_lo, -1
	s_wait_loadcnt_dscnt 0x0
	s_barrier_signal -1
	s_barrier_wait -1
	global_inv scope:SCOPE_SE
	s_branch .LBB1226_52
.LBB1226_93:
	s_or_b32 exec_lo, exec_lo, s21
	v_lshl_add_u32 v1, v21, 3, v12
	s_barrier_signal -1
	s_barrier_wait -1
	s_wait_loadcnt 0x0
	global_inv scope:SCOPE_SE
	ds_store_b64 v0, v[36:37]
	ds_store_b64 v92, v[38:39]
	;; [unrolled: 1-line block ×16, first 2 shown]
	s_wait_loadcnt_dscnt 0x0
	s_barrier_signal -1
	s_barrier_wait -1
	global_inv scope:SCOPE_SE
	ds_load_2addr_stride64_b64 v[100:103], v1 offset1:4
	ds_load_2addr_stride64_b64 v[96:99], v1 offset0:8 offset1:12
	ds_load_2addr_stride64_b64 v[84:87], v1 offset0:16 offset1:20
	;; [unrolled: 1-line block ×7, first 2 shown]
	s_wait_loadcnt_dscnt 0x0
	s_barrier_signal -1
	s_barrier_wait -1
	global_inv scope:SCOPE_SE
	ds_store_b64 v0, v[13:14]
	ds_store_b64 v92, v[8:9]
	;; [unrolled: 1-line block ×16, first 2 shown]
	s_wait_loadcnt_dscnt 0x0
	s_barrier_signal -1
	s_barrier_wait -1
	global_inv scope:SCOPE_SE
	ds_load_2addr_stride64_b64 v[48:51], v1 offset1:4
	ds_load_2addr_stride64_b64 v[32:35], v1 offset0:8 offset1:12
	ds_load_2addr_stride64_b64 v[28:31], v1 offset0:16 offset1:20
	;; [unrolled: 1-line block ×7, first 2 shown]
	v_mov_b32_e32 v115, 0
	v_add_co_u32 v2, vcc_lo, v2, v112
	s_wait_alu 0xfffd
	v_add_co_ci_u32_e64 v3, null, v3, v113, vcc_lo
	s_delay_alu instid0(VALU_DEP_3)
	v_lshlrev_b64_e32 v[0:1], 3, v[114:115]
	s_wait_loadcnt_dscnt 0x0
	s_barrier_signal -1
	s_barrier_wait -1
	global_inv scope:SCOPE_SE
	v_add_co_u32 v2, vcc_lo, v2, v0
	s_wait_alu 0xfffd
	v_add_co_ci_u32_e64 v3, null, v3, v1, vcc_lo
	v_cmp_lt_u32_e32 vcc_lo, v114, v119
	s_and_saveexec_b32 s1, vcc_lo
	s_cbranch_execz .LBB1226_95
; %bb.94:
	v_cmp_lt_i64_e64 s0, -1, v[100:101]
	v_ashrrev_i32_e32 v4, 31, v101
	s_delay_alu instid0(VALU_DEP_1) | instskip(SKIP_1) | instid1(VALU_DEP_3)
	v_not_b32_e32 v4, v4
	s_wait_alu 0xf1ff
	v_cndmask_b32_e64 v5, 0x80000000, -1, s0
	s_delay_alu instid0(VALU_DEP_2) | instskip(NEXT) | instid1(VALU_DEP_2)
	v_xor_b32_e32 v4, v4, v100
	v_xor_b32_e32 v5, v5, v101
	flat_store_b64 v[2:3], v[4:5]
.LBB1226_95:
	s_wait_alu 0xfffe
	s_or_b32 exec_lo, exec_lo, s1
	v_add_nc_u32_e32 v4, 0x100, v114
	s_delay_alu instid0(VALU_DEP_1)
	v_cmp_lt_u32_e64 s0, v4, v119
	s_and_saveexec_b32 s2, s0
	s_cbranch_execz .LBB1226_97
; %bb.96:
	v_cmp_lt_i64_e64 s1, -1, v[102:103]
	v_ashrrev_i32_e32 v4, 31, v103
	s_delay_alu instid0(VALU_DEP_1) | instskip(SKIP_1) | instid1(VALU_DEP_3)
	v_not_b32_e32 v4, v4
	s_wait_alu 0xf1ff
	v_cndmask_b32_e64 v5, 0x80000000, -1, s1
	s_delay_alu instid0(VALU_DEP_2) | instskip(NEXT) | instid1(VALU_DEP_2)
	v_xor_b32_e32 v4, v4, v102
	v_xor_b32_e32 v5, v5, v103
	flat_store_b64 v[2:3], v[4:5] offset:2048
.LBB1226_97:
	s_wait_alu 0xfffe
	s_or_b32 exec_lo, exec_lo, s2
	v_add_nc_u32_e32 v4, 0x200, v114
	s_delay_alu instid0(VALU_DEP_1)
	v_cmp_lt_u32_e64 s1, v4, v119
	s_and_saveexec_b32 s3, s1
	s_cbranch_execz .LBB1226_99
; %bb.98:
	v_cmp_lt_i64_e64 s2, -1, v[96:97]
	v_ashrrev_i32_e32 v4, 31, v97
	s_delay_alu instid0(VALU_DEP_1) | instskip(SKIP_1) | instid1(VALU_DEP_3)
	v_not_b32_e32 v4, v4
	s_wait_alu 0xf1ff
	v_cndmask_b32_e64 v5, 0x80000000, -1, s2
	s_delay_alu instid0(VALU_DEP_2) | instskip(NEXT) | instid1(VALU_DEP_2)
	v_xor_b32_e32 v4, v4, v96
	v_xor_b32_e32 v5, v5, v97
	flat_store_b64 v[2:3], v[4:5] offset:4096
.LBB1226_99:
	;; [unrolled: 19-line block ×15, first 2 shown]
	s_wait_alu 0xfffe
	s_or_b32 exec_lo, exec_lo, s20
	v_add_co_u32 v2, s17, v6, v112
	s_wait_alu 0xf1ff
	v_add_co_ci_u32_e64 v3, null, v7, v113, s17
	s_delay_alu instid0(VALU_DEP_2) | instskip(SKIP_1) | instid1(VALU_DEP_2)
	v_add_co_u32 v0, s17, v2, v0
	s_wait_alu 0xf1ff
	v_add_co_ci_u32_e64 v1, null, v3, v1, s17
	s_and_saveexec_b32 s17, vcc_lo
	s_cbranch_execnz .LBB1226_211
; %bb.126:
	s_wait_alu 0xfffe
	s_or_b32 exec_lo, exec_lo, s17
	s_and_saveexec_b32 s17, s0
	s_cbranch_execnz .LBB1226_212
.LBB1226_127:
	s_wait_alu 0xfffe
	s_or_b32 exec_lo, exec_lo, s17
	s_and_saveexec_b32 s0, s1
	s_cbranch_execnz .LBB1226_213
.LBB1226_128:
	s_wait_alu 0xfffe
	s_or_b32 exec_lo, exec_lo, s0
	s_and_saveexec_b32 s0, s2
	s_cbranch_execnz .LBB1226_214
.LBB1226_129:
	s_wait_alu 0xfffe
	s_or_b32 exec_lo, exec_lo, s0
	s_and_saveexec_b32 s0, s3
	s_cbranch_execnz .LBB1226_215
.LBB1226_130:
	s_wait_alu 0xfffe
	s_or_b32 exec_lo, exec_lo, s0
	s_and_saveexec_b32 s0, s4
	s_cbranch_execnz .LBB1226_216
.LBB1226_131:
	s_wait_alu 0xfffe
	s_or_b32 exec_lo, exec_lo, s0
	s_and_saveexec_b32 s0, s5
	s_cbranch_execnz .LBB1226_217
.LBB1226_132:
	s_wait_alu 0xfffe
	s_or_b32 exec_lo, exec_lo, s0
	s_and_saveexec_b32 s0, s6
	s_cbranch_execnz .LBB1226_218
.LBB1226_133:
	s_wait_alu 0xfffe
	s_or_b32 exec_lo, exec_lo, s0
	s_and_saveexec_b32 s0, s7
	s_cbranch_execnz .LBB1226_219
.LBB1226_134:
	s_wait_alu 0xfffe
	s_or_b32 exec_lo, exec_lo, s0
	s_and_saveexec_b32 s0, s10
	s_cbranch_execnz .LBB1226_220
.LBB1226_135:
	s_wait_alu 0xfffe
	s_or_b32 exec_lo, exec_lo, s0
	s_and_saveexec_b32 s0, s11
	s_cbranch_execnz .LBB1226_221
.LBB1226_136:
	s_wait_alu 0xfffe
	s_or_b32 exec_lo, exec_lo, s0
	s_and_saveexec_b32 s0, s12
	s_cbranch_execnz .LBB1226_222
.LBB1226_137:
	s_wait_alu 0xfffe
	s_or_b32 exec_lo, exec_lo, s0
	s_and_saveexec_b32 s0, s13
	s_cbranch_execnz .LBB1226_223
.LBB1226_138:
	s_wait_alu 0xfffe
	s_or_b32 exec_lo, exec_lo, s0
	s_and_saveexec_b32 s0, s14
	s_cbranch_execnz .LBB1226_224
.LBB1226_139:
	s_wait_alu 0xfffe
	s_or_b32 exec_lo, exec_lo, s0
	s_and_saveexec_b32 s0, s15
	s_cbranch_execnz .LBB1226_225
.LBB1226_140:
	s_wait_alu 0xfffe
	s_or_b32 exec_lo, exec_lo, s0
	s_and_saveexec_b32 s0, s16
	s_cbranch_execz .LBB1226_142
.LBB1226_141:
	flat_store_b64 v[0:1], v[10:11] offset:30720
.LBB1226_142:
	s_wait_alu 0xfffe
	s_or_b32 exec_lo, exec_lo, s0
                                        ; implicit-def: $vgpr119
                                        ; implicit-def: $vgpr0
                                        ; implicit-def: $vgpr1
                                        ; implicit-def: $vgpr2
                                        ; implicit-def: $vgpr3
                                        ; implicit-def: $vgpr4
                                        ; implicit-def: $vgpr5
                                        ; implicit-def: $vgpr6
                                        ; implicit-def: $vgpr7
                                        ; implicit-def: $vgpr8
                                        ; implicit-def: $vgpr10
                                        ; implicit-def: $vgpr11
                                        ; implicit-def: $vgpr12
                                        ; implicit-def: $vgpr9
                                        ; implicit-def: $vgpr13
                                        ; implicit-def: $vgpr21
                                        ; implicit-def: $vgpr54
.LBB1226_143:
	s_wait_alu 0xfffe
	s_and_not1_saveexec_b32 s0, s19
	s_cbranch_execz .LBB1226_372
; %bb.144:
	s_mov_b32 s0, exec_lo
	v_cmpx_lt_u32_e32 0x400, v119
	s_wait_alu 0xfffe
	s_xor_b32 s19, exec_lo, s0
	s_cbranch_execz .LBB1226_252
; %bb.145:
	s_load_b64 s[0:1], s[8:9], 0x0
	s_and_b32 s2, ttmp7, 0xffff
	s_mov_b32 s3, 0
	v_bfrev_b32_e32 v14, -2
	v_lshlrev_b32_e32 v30, 3, v54
	s_wait_kmcnt 0x0
	s_wait_alu 0xfffe
	s_cmp_lt_u32 s2, s1
	s_cselect_b32 s2, 14, 20
	s_cmp_lt_u32 ttmp9, s0
	s_wait_alu 0xfffe
	s_add_nc_u64 s[4:5], s[8:9], s[2:3]
	s_cselect_b32 s2, 12, 18
	s_load_u16 s4, s[4:5], 0x0
	s_add_nc_u64 s[0:1], s[8:9], s[2:3]
	s_load_u16 s0, s[0:1], 0x0
	s_wait_kmcnt 0x0
	v_mad_u32_u24 v9, v13, s4, v9
	v_mov_b32_e32 v13, -1
	s_delay_alu instid0(VALU_DEP_2) | instskip(SKIP_1) | instid1(VALU_DEP_1)
	v_mad_co_u64_u32 v[50:51], null, v9, s0, v[21:22]
	v_mov_b32_e32 v9, 0
	v_lshlrev_b64_e32 v[48:49], 3, v[8:9]
	s_delay_alu instid0(VALU_DEP_3) | instskip(NEXT) | instid1(VALU_DEP_2)
	v_lshlrev_b32_e32 v15, 3, v50
	v_add_co_u32 v0, vcc_lo, v0, v48
	s_delay_alu instid0(VALU_DEP_2) | instskip(SKIP_1) | instid1(VALU_DEP_4)
	v_and_b32_e32 v8, 0xffffff00, v15
	s_wait_alu 0xfffd
	v_add_co_ci_u32_e64 v1, null, v1, v49, vcc_lo
	s_delay_alu instid0(VALU_DEP_3) | instskip(NEXT) | instid1(VALU_DEP_3)
	v_add_co_u32 v0, vcc_lo, v0, v30
	v_lshlrev_b64_e32 v[26:27], 3, v[8:9]
	s_wait_alu 0xfffd
	s_delay_alu instid0(VALU_DEP_3) | instskip(SKIP_1) | instid1(VALU_DEP_3)
	v_add_co_ci_u32_e64 v1, null, 0, v1, vcc_lo
	v_or_b32_e32 v31, v8, v54
	v_add_co_u32 v28, s0, v0, v26
	s_wait_alu 0xf1ff
	s_delay_alu instid0(VALU_DEP_3)
	v_add_co_ci_u32_e64 v29, null, v1, v27, s0
	v_mov_b32_e32 v0, v13
	v_cmp_lt_u32_e32 vcc_lo, v31, v119
	v_mov_b32_e32 v1, v14
	s_and_saveexec_b32 s0, vcc_lo
	s_cbranch_execz .LBB1226_147
; %bb.146:
	flat_load_b64 v[0:1], v[28:29]
.LBB1226_147:
	s_wait_alu 0xfffe
	s_or_b32 exec_lo, exec_lo, s0
	v_or_b32_e32 v8, 32, v31
	s_delay_alu instid0(VALU_DEP_1)
	v_cmp_lt_u32_e64 s0, v8, v119
	s_and_saveexec_b32 s1, s0
	s_cbranch_execz .LBB1226_149
; %bb.148:
	flat_load_b64 v[13:14], v[28:29] offset:256
.LBB1226_149:
	s_wait_alu 0xfffe
	s_or_b32 exec_lo, exec_lo, s1
	v_or_b32_e32 v15, 64, v31
	v_mov_b32_e32 v8, -1
	v_bfrev_b32_e32 v9, -2
	s_delay_alu instid0(VALU_DEP_3) | instskip(NEXT) | instid1(VALU_DEP_2)
	v_cmp_lt_u32_e64 s1, v15, v119
	v_dual_mov_b32 v16, v9 :: v_dual_mov_b32 v15, v8
	s_and_saveexec_b32 s2, s1
	s_cbranch_execz .LBB1226_151
; %bb.150:
	flat_load_b64 v[15:16], v[28:29] offset:512
.LBB1226_151:
	s_wait_alu 0xfffe
	s_or_b32 exec_lo, exec_lo, s2
	v_or_b32_e32 v17, 0x60, v31
	s_delay_alu instid0(VALU_DEP_1)
	v_cmp_lt_u32_e64 s2, v17, v119
	s_and_saveexec_b32 s3, s2
	s_cbranch_execz .LBB1226_153
; %bb.152:
	flat_load_b64 v[8:9], v[28:29] offset:768
.LBB1226_153:
	s_wait_alu 0xfffe
	s_or_b32 exec_lo, exec_lo, s3
	v_or_b32_e32 v19, 0x80, v31
	v_mov_b32_e32 v17, -1
	v_bfrev_b32_e32 v18, -2
	s_delay_alu instid0(VALU_DEP_3) | instskip(NEXT) | instid1(VALU_DEP_2)
	v_cmp_lt_u32_e64 s3, v19, v119
	v_dual_mov_b32 v20, v18 :: v_dual_mov_b32 v19, v17
	s_and_saveexec_b32 s4, s3
	s_cbranch_execz .LBB1226_155
; %bb.154:
	flat_load_b64 v[19:20], v[28:29] offset:1024
.LBB1226_155:
	;; [unrolled: 23-line block ×3, first 2 shown]
	s_wait_alu 0xfffe
	s_or_b32 exec_lo, exec_lo, s6
	v_or_b32_e32 v31, 0xe0, v31
	s_delay_alu instid0(VALU_DEP_1)
	v_cmp_lt_u32_e64 s6, v31, v119
	s_and_saveexec_b32 s7, s6
	s_cbranch_execz .LBB1226_161
; %bb.160:
	flat_load_b64 v[22:23], v[28:29] offset:1792
.LBB1226_161:
	s_wait_alu 0xfffe
	s_or_b32 exec_lo, exec_lo, s7
	v_add_co_u32 v4, s7, v4, v48
	s_wait_alu 0xf1ff
	v_add_co_ci_u32_e64 v5, null, v5, v49, s7
                                        ; implicit-def: $vgpr38_vgpr39
	s_delay_alu instid0(VALU_DEP_2) | instskip(SKIP_1) | instid1(VALU_DEP_2)
	v_add_co_u32 v4, s7, v4, v30
	s_wait_alu 0xf1ff
	v_add_co_ci_u32_e64 v5, null, 0, v5, s7
	s_delay_alu instid0(VALU_DEP_2) | instskip(SKIP_1) | instid1(VALU_DEP_2)
	v_add_co_u32 v4, s7, v4, v26
	s_wait_alu 0xf1ff
	v_add_co_ci_u32_e64 v5, null, v5, v27, s7
	s_and_saveexec_b32 s7, vcc_lo
	s_cbranch_execnz .LBB1226_285
; %bb.162:
	s_wait_alu 0xfffe
	s_or_b32 exec_lo, exec_lo, s7
                                        ; implicit-def: $vgpr64_vgpr65
	s_and_saveexec_b32 s7, s0
	s_cbranch_execnz .LBB1226_286
.LBB1226_163:
	s_wait_alu 0xfffe
	s_or_b32 exec_lo, exec_lo, s7
                                        ; implicit-def: $vgpr66_vgpr67
	s_and_saveexec_b32 s0, s1
	s_cbranch_execnz .LBB1226_287
.LBB1226_164:
	s_wait_alu 0xfffe
	s_or_b32 exec_lo, exec_lo, s0
                                        ; implicit-def: $vgpr68_vgpr69
	s_and_saveexec_b32 s0, s2
	s_cbranch_execnz .LBB1226_288
.LBB1226_165:
	s_wait_alu 0xfffe
	s_or_b32 exec_lo, exec_lo, s0
                                        ; implicit-def: $vgpr70_vgpr71
	s_and_saveexec_b32 s0, s3
	s_cbranch_execnz .LBB1226_289
.LBB1226_166:
	s_wait_alu 0xfffe
	s_or_b32 exec_lo, exec_lo, s0
                                        ; implicit-def: $vgpr80_vgpr81
	s_and_saveexec_b32 s0, s4
	s_cbranch_execnz .LBB1226_290
.LBB1226_167:
	s_wait_alu 0xfffe
	s_or_b32 exec_lo, exec_lo, s0
                                        ; implicit-def: $vgpr82_vgpr83
	s_and_saveexec_b32 s0, s5
	s_cbranch_execnz .LBB1226_291
.LBB1226_168:
	s_wait_alu 0xfffe
	s_or_b32 exec_lo, exec_lo, s0
                                        ; implicit-def: $vgpr86_vgpr87
	s_and_saveexec_b32 s0, s6
	s_cbranch_execz .LBB1226_170
.LBB1226_169:
	flat_load_b64 v[86:87], v[4:5] offset:1792
.LBB1226_170:
	s_wait_alu 0xfffe
	s_or_b32 exec_lo, exec_lo, s0
	s_wait_loadcnt_dscnt 0x0
	v_cmp_lt_i64_e32 vcc_lo, -1, v[0:1]
	v_ashrrev_i32_e32 v5, 31, v1
	s_getpc_b64 s[0:1]
	s_wait_alu 0xfffe
	s_sext_i32_i16 s1, s1
	s_add_co_u32 s0, s0, _ZN7rocprim17ROCPRIM_400000_NS16block_radix_sortIdLj256ELj8ElLj1ELj1ELj8ELNS0_26block_radix_rank_algorithmE2ELNS0_18block_padding_hintE2ELNS0_4arch9wavefront6targetE0EE19radix_bits_per_passE@rel32@lo+12
	s_wait_alu 0xfffe
	s_add_co_ci_u32 s1, s1, _ZN7rocprim17ROCPRIM_400000_NS16block_radix_sortIdLj256ELj8ElLj1ELj1ELj8ELNS0_26block_radix_rank_algorithmE2ELNS0_18block_padding_hintE2ELNS0_4arch9wavefront6targetE0EE19radix_bits_per_passE@rel32@hi+24
	v_lshrrev_b32_e32 v134, 5, v50
	s_load_b32 s20, s[0:1], 0x0
	v_cmp_gt_u32_e64 s6, 8, v21
	v_cndmask_b32_e64 v4, -1, 0x80000000, vcc_lo
	v_cmp_lt_i64_e32 vcc_lo, -1, v[13:14]
	v_xor_b32_e32 v112, v5, v0
	v_ashrrev_i32_e32 v0, 31, v16
	v_cmp_lt_u32_e64 s7, 31, v21
	v_xor_b32_e32 v113, v4, v1
	v_ashrrev_i32_e32 v4, 31, v14
	s_wait_alu 0xfffd
	v_cndmask_b32_e64 v1, -1, 0x80000000, vcc_lo
	v_cmp_lt_i64_e32 vcc_lo, -1, v[15:16]
	v_xor_b32_e32 v98, v0, v15
	v_ashrrev_i32_e32 v0, 31, v20
	v_xor_b32_e32 v96, v4, v13
	v_xor_b32_e32 v97, v1, v14
	v_ashrrev_i32_e32 v4, 31, v9
	s_wait_alu 0xfffd
	v_cndmask_b32_e64 v26, -1, 0x80000000, vcc_lo
	v_cmp_lt_i64_e32 vcc_lo, -1, v[8:9]
	v_xor_b32_e32 v102, v0, v19
	v_ashrrev_i32_e32 v0, 31, v25
	v_xor_b32_e32 v100, v4, v8
	v_ashrrev_i32_e32 v4, 31, v18
	v_sub_co_u32 v8, s2, v54, 1
	s_wait_alu 0xfffd
	v_cndmask_b32_e64 v1, -1, 0x80000000, vcc_lo
	v_cmp_lt_i64_e32 vcc_lo, -1, v[19:20]
	v_xor_b32_e32 v116, v0, v24
	v_lshl_add_u32 v0, v21, 5, v12
	v_xor_b32_e32 v114, v4, v17
	v_xor_b32_e32 v101, v1, v9
	v_ashrrev_i32_e32 v4, 31, v23
	s_wait_alu 0xfffd
	v_cndmask_b32_e64 v5, -1, 0x80000000, vcc_lo
	v_cmp_lt_i64_e32 vcc_lo, -1, v[17:18]
	v_add_nc_u32_e32 v55, 32, v0
	v_add_nc_u32_e32 v118, 36, v0
	;; [unrolled: 1-line block ×3, first 2 shown]
	v_xor_b32_e32 v103, v5, v20
	v_add_nc_u32_e32 v129, 44, v0
	s_wait_alu 0xfffd
	v_cndmask_b32_e64 v1, -1, 0x80000000, vcc_lo
	v_cmp_lt_i64_e32 vcc_lo, -1, v[24:25]
	v_add_nc_u32_e32 v130, 48, v0
	v_add_nc_u32_e32 v131, 52, v0
	;; [unrolled: 1-line block ×4, first 2 shown]
	v_and_b32_e32 v0, 0x3e0, v21
	s_wait_alu 0xfffd
	v_cndmask_b32_e64 v5, -1, 0x80000000, vcc_lo
	v_cmp_lt_i64_e32 vcc_lo, -1, v[22:23]
	v_xor_b32_e32 v115, v1, v18
	v_xor_b32_e32 v84, v4, v22
	v_and_b32_e32 v4, 15, v54
	v_min_u32_e32 v0, 0xe0, v0
	v_xor_b32_e32 v117, v5, v25
	s_wait_alu 0xfffd
	v_cndmask_b32_e64 v1, -1, 0x80000000, vcc_lo
	v_and_b32_e32 v5, 16, v54
	v_cmp_eq_u32_e32 vcc_lo, 0, v4
	v_cmp_lt_u32_e64 s0, 1, v4
	v_cmp_lt_u32_e64 s1, 3, v4
	v_xor_b32_e32 v85, v1, v23
	v_lshlrev_b32_e32 v1, 3, v21
	v_cmp_lt_u32_e64 s3, 7, v4
	v_or_b32_e32 v0, 31, v0
	v_lshrrev_b32_e32 v4, 3, v21
	v_cmp_gt_i32_e64 s5, 0, v8
	v_cmp_eq_u32_e64 s4, 0, v5
	v_xor_b32_e32 v99, v26, v16
	v_cmp_eq_u32_e64 s10, 0, v21
	v_lshl_add_u32 v145, v21, 2, v12
	s_wait_alu 0xf1ff
	v_cndmask_b32_e64 v5, v8, v54, s5
	v_cmp_eq_u32_e64 s5, v21, v0
	v_and_b32_e32 v0, 0x7c, v4
	v_and_or_b32 v4, 0x1f00, v1, v54
	v_mov_b32_e32 v1, 0
	v_lshlrev_b32_e32 v135, 2, v5
	v_and_b32_e32 v5, 7, v54
	v_add_nc_u32_e32 v144, v12, v0
	v_lshl_add_u32 v146, v4, 3, v12
	v_sub_nc_u32_e32 v163, v11, v10
	s_mov_b32 s16, -1
	v_cmp_eq_u32_e64 s11, 0, v5
	v_cmp_lt_u32_e64 s12, 1, v5
	v_cmp_lt_u32_e64 s13, 3, v5
	v_add_nc_u32_e32 v147, -4, v144
	v_add_nc_u32_e32 v148, 0x100, v146
	v_add_nc_u32_e32 v149, 0x200, v146
	;; [unrolled: 1-line block ×7, first 2 shown]
	s_brev_b32 s17, -2
	s_mov_b32 s21, 0
	s_wait_storecnt 0x0
	s_barrier_signal -1
	s_barrier_wait -1
	global_inv scope:SCOPE_SE
	s_branch .LBB1226_172
.LBB1226_171:                           ;   in Loop: Header=BB1226_172 Depth=1
	s_wait_alu 0xfffe
	s_or_b32 exec_lo, exec_lo, s15
	s_delay_alu instid0(SALU_CYCLE_1)
	s_and_b32 s14, exec_lo, s22
	s_wait_alu 0xfffe
	s_or_b32 s21, s14, s21
	s_wait_alu 0xfffe
	s_and_not1_b32 exec_lo, exec_lo, s21
	s_cbranch_execz .LBB1226_226
.LBB1226_172:                           ; =>This Inner Loop Header: Depth=1
	v_dual_mov_b32 v22, v112 :: v_dual_mov_b32 v23, v113
	s_wait_kmcnt 0x0
	v_min_u32_e32 v0, s20, v163
	v_dual_mov_b32 v13, v64 :: v_dual_mov_b32 v14, v65
	v_mov_b32_e32 v34, v100
	s_wait_alu 0xfffe
	v_cmp_ne_u64_e64 s14, s[16:17], v[22:23]
	v_lshlrev_b32_e64 v0, v0, -1
	v_dual_mov_b32 v4, v38 :: v_dual_mov_b32 v5, v39
	v_dual_mov_b32 v19, v68 :: v_dual_mov_b32 v20, v69
	s_wait_alu 0xf1ff
	s_delay_alu instid0(VALU_DEP_4) | instskip(SKIP_4) | instid1(VALU_DEP_4)
	v_cndmask_b32_e64 v25, 0x80000000, v23, s14
	v_cndmask_b32_e64 v24, 0, v22, s14
	v_not_b32_e32 v65, v0
	v_dual_mov_b32 v8, v66 :: v_dual_mov_b32 v9, v67
	v_mov_b32_e32 v32, v102
	v_lshrrev_b64 v[28:29], v10, v[24:25]
	v_dual_mov_b32 v30, v114 :: v_dual_mov_b32 v17, v70
	v_dual_mov_b32 v18, v71 :: v_dual_mov_b32 v35, v101
	;; [unrolled: 1-line block ×3, first 2 shown]
	s_delay_alu instid0(VALU_DEP_4) | instskip(SKIP_3) | instid1(VALU_DEP_4)
	v_and_b32_e32 v0, v28, v65
	v_dual_mov_b32 v28, v116 :: v_dual_mov_b32 v53, v82
	v_dual_mov_b32 v54, v83 :: v_dual_mov_b32 v51, v86
	v_mov_b32_e32 v52, v87
	v_and_b32_e32 v36, 1, v0
	v_lshlrev_b32_e32 v37, 30, v0
	v_lshlrev_b32_e32 v38, 29, v0
	;; [unrolled: 1-line block ×4, first 2 shown]
	v_add_co_u32 v36, s14, v36, -1
	s_wait_alu 0xf1ff
	v_cndmask_b32_e64 v64, 0, 1, s14
	v_not_b32_e32 v69, v37
	v_cmp_gt_i32_e64 s15, 0, v37
	v_not_b32_e32 v37, v38
	v_lshlrev_b32_e32 v67, 26, v0
	v_cmp_ne_u32_e64 s14, 0, v64
	v_ashrrev_i32_e32 v69, 31, v69
	v_lshlrev_b32_e32 v68, 25, v0
	v_ashrrev_i32_e32 v37, 31, v37
	v_lshlrev_b32_e32 v64, 24, v0
	s_wait_alu 0xf1ff
	v_xor_b32_e32 v36, s14, v36
	v_cmp_gt_i32_e64 s14, 0, v38
	v_not_b32_e32 v38, v39
	v_xor_b32_e32 v69, s15, v69
	v_cmp_gt_i32_e64 s15, 0, v39
	v_and_b32_e32 v36, exec_lo, v36
	v_not_b32_e32 v39, v66
	v_ashrrev_i32_e32 v38, 31, v38
	s_wait_alu 0xf1ff
	v_xor_b32_e32 v37, s14, v37
	v_cmp_gt_i32_e64 s14, 0, v66
	v_and_b32_e32 v36, v36, v69
	v_not_b32_e32 v66, v67
	v_ashrrev_i32_e32 v39, 31, v39
	v_xor_b32_e32 v38, s15, v38
	v_cmp_gt_i32_e64 s15, 0, v67
	v_and_b32_e32 v36, v36, v37
	v_not_b32_e32 v37, v68
	v_ashrrev_i32_e32 v66, 31, v66
	s_wait_alu 0xf1ff
	v_xor_b32_e32 v39, s14, v39
	v_cmp_gt_i32_e64 s14, 0, v68
	v_and_b32_e32 v36, v36, v38
	v_not_b32_e32 v38, v64
	v_ashrrev_i32_e32 v67, 31, v37
	v_xor_b32_e32 v66, s15, v66
	v_cmp_gt_i32_e64 s15, 0, v64
	v_and_b32_e32 v39, v36, v39
	v_ashrrev_i32_e32 v38, 31, v38
	s_wait_alu 0xf1ff
	v_xor_b32_e32 v64, s14, v67
	v_lshl_add_u32 v0, v0, 3, v134
	v_dual_mov_b32 v36, v84 :: v_dual_and_b32 v39, v39, v66
	v_xor_b32_e32 v38, s15, v38
	v_dual_mov_b32 v26, v96 :: v_dual_mov_b32 v27, v97
	s_delay_alu instid0(VALU_DEP_4) | instskip(NEXT) | instid1(VALU_DEP_4)
	v_lshlrev_b64_e32 v[66:67], 2, v[0:1]
	v_dual_mov_b32 v24, v98 :: v_dual_and_b32 v39, v39, v64
	v_mov_b32_e32 v25, v99
	v_mov_b32_e32 v33, v103
	;; [unrolled: 1-line block ×3, first 2 shown]
	s_delay_alu instid0(VALU_DEP_4) | instskip(SKIP_3) | instid1(VALU_DEP_4)
	v_and_b32_e32 v39, v39, v38
	v_add_co_u32 v38, null, v12, v66
	v_mov_b32_e32 v29, v117
	v_mov_b32_e32 v37, v85
	v_mbcnt_lo_u32_b32 v0, v39, 0
	v_cmp_ne_u32_e64 s15, 0, v39
	v_add_co_u32 v38, null, v38, 32
	ds_store_b32 v55, v1
	ds_store_b32 v118, v1
	;; [unrolled: 1-line block ×3, first 2 shown]
	v_cmp_eq_u32_e64 s14, 0, v0
	ds_store_b32 v129, v1
	ds_store_b32 v130, v1
	;; [unrolled: 1-line block ×5, first 2 shown]
	s_and_b32 s15, s15, s14
	s_wait_loadcnt_dscnt 0x0
	s_barrier_signal -1
	s_barrier_wait -1
	global_inv scope:SCOPE_SE
	; wave barrier
	s_wait_alu 0xfffe
	s_and_saveexec_b32 s14, s15
; %bb.173:                              ;   in Loop: Header=BB1226_172 Depth=1
	v_bcnt_u32_b32 v39, v39, 0
	ds_store_b32 v38, v39
; %bb.174:                              ;   in Loop: Header=BB1226_172 Depth=1
	s_wait_alu 0xfffe
	s_or_b32 exec_lo, exec_lo, s14
	v_cmp_ne_u64_e64 s14, s[16:17], v[26:27]
	; wave barrier
	s_wait_alu 0xf1ff
	s_delay_alu instid0(VALU_DEP_1) | instskip(SKIP_1) | instid1(VALU_DEP_1)
	v_cndmask_b32_e64 v67, 0x80000000, v27, s14
	v_cndmask_b32_e64 v66, 0, v26, s14
	v_lshrrev_b64 v[66:67], v10, v[66:67]
	s_delay_alu instid0(VALU_DEP_1) | instskip(NEXT) | instid1(VALU_DEP_1)
	v_and_b32_e32 v39, v66, v65
	v_and_b32_e32 v64, 1, v39
	v_lshlrev_b32_e32 v66, 30, v39
	v_lshlrev_b32_e32 v67, 29, v39
	;; [unrolled: 1-line block ×4, first 2 shown]
	v_add_co_u32 v64, s14, v64, -1
	s_wait_alu 0xf1ff
	v_cndmask_b32_e64 v69, 0, 1, s14
	v_not_b32_e32 v81, v66
	v_cmp_gt_i32_e64 s15, 0, v66
	v_not_b32_e32 v66, v67
	v_lshlrev_b32_e32 v71, 26, v39
	v_cmp_ne_u32_e64 s14, 0, v69
	v_ashrrev_i32_e32 v81, 31, v81
	v_lshlrev_b32_e32 v80, 25, v39
	v_ashrrev_i32_e32 v66, 31, v66
	v_lshlrev_b32_e32 v69, 24, v39
	s_wait_alu 0xf1ff
	v_xor_b32_e32 v64, s14, v64
	v_cmp_gt_i32_e64 s14, 0, v67
	v_not_b32_e32 v67, v68
	v_xor_b32_e32 v81, s15, v81
	v_cmp_gt_i32_e64 s15, 0, v68
	v_and_b32_e32 v64, exec_lo, v64
	v_not_b32_e32 v68, v70
	v_ashrrev_i32_e32 v67, 31, v67
	s_wait_alu 0xf1ff
	v_xor_b32_e32 v66, s14, v66
	v_cmp_gt_i32_e64 s14, 0, v70
	v_and_b32_e32 v64, v64, v81
	v_not_b32_e32 v70, v71
	v_ashrrev_i32_e32 v68, 31, v68
	v_xor_b32_e32 v67, s15, v67
	v_cmp_gt_i32_e64 s15, 0, v71
	v_and_b32_e32 v64, v64, v66
	v_not_b32_e32 v66, v80
	v_ashrrev_i32_e32 v70, 31, v70
	s_wait_alu 0xf1ff
	v_xor_b32_e32 v68, s14, v68
	v_cmp_gt_i32_e64 s14, 0, v80
	v_and_b32_e32 v64, v64, v67
	v_not_b32_e32 v67, v69
	v_ashrrev_i32_e32 v66, 31, v66
	v_xor_b32_e32 v70, s15, v70
	v_lshl_add_u32 v39, v39, 3, v134
	v_and_b32_e32 v64, v64, v68
	v_cmp_gt_i32_e64 s15, 0, v69
	v_ashrrev_i32_e32 v67, 31, v67
	s_wait_alu 0xf1ff
	v_xor_b32_e32 v66, s14, v66
	v_lshl_add_u32 v68, v39, 2, v12
	v_and_b32_e32 v64, v64, v70
	v_xor_b32_e32 v67, s15, v67
	ds_load_b32 v39, v68 offset:32
	v_and_b32_e32 v64, v64, v66
	v_add_nc_u32_e32 v66, 32, v68
	; wave barrier
	s_delay_alu instid0(VALU_DEP_2) | instskip(NEXT) | instid1(VALU_DEP_1)
	v_and_b32_e32 v67, v64, v67
	v_mbcnt_lo_u32_b32 v64, v67, 0
	v_cmp_ne_u32_e64 s15, 0, v67
	s_delay_alu instid0(VALU_DEP_2)
	v_cmp_eq_u32_e64 s14, 0, v64
	s_and_b32 s15, s15, s14
	s_wait_alu 0xfffe
	s_and_saveexec_b32 s14, s15
	s_cbranch_execz .LBB1226_176
; %bb.175:                              ;   in Loop: Header=BB1226_172 Depth=1
	s_wait_dscnt 0x0
	v_bcnt_u32_b32 v67, v67, v39
	ds_store_b32 v66, v67
.LBB1226_176:                           ;   in Loop: Header=BB1226_172 Depth=1
	s_wait_alu 0xfffe
	s_or_b32 exec_lo, exec_lo, s14
	v_cmp_ne_u64_e64 s14, s[16:17], v[24:25]
	; wave barrier
	s_wait_alu 0xf1ff
	s_delay_alu instid0(VALU_DEP_1) | instskip(SKIP_1) | instid1(VALU_DEP_1)
	v_cndmask_b32_e64 v68, 0x80000000, v25, s14
	v_cndmask_b32_e64 v67, 0, v24, s14
	v_lshrrev_b64 v[67:68], v10, v[67:68]
	s_delay_alu instid0(VALU_DEP_1) | instskip(NEXT) | instid1(VALU_DEP_1)
	v_and_b32_e32 v67, v67, v65
	v_and_b32_e32 v68, 1, v67
	v_lshlrev_b32_e32 v69, 30, v67
	v_lshlrev_b32_e32 v70, 29, v67
	;; [unrolled: 1-line block ×4, first 2 shown]
	v_add_co_u32 v68, s14, v68, -1
	s_wait_alu 0xf1ff
	v_cndmask_b32_e64 v80, 0, 1, s14
	v_not_b32_e32 v84, v69
	v_cmp_gt_i32_e64 s15, 0, v69
	v_not_b32_e32 v69, v70
	v_lshlrev_b32_e32 v82, 26, v67
	v_cmp_ne_u32_e64 s14, 0, v80
	v_ashrrev_i32_e32 v84, 31, v84
	v_lshlrev_b32_e32 v83, 25, v67
	v_ashrrev_i32_e32 v69, 31, v69
	v_lshlrev_b32_e32 v80, 24, v67
	s_wait_alu 0xf1ff
	v_xor_b32_e32 v68, s14, v68
	v_cmp_gt_i32_e64 s14, 0, v70
	v_not_b32_e32 v70, v71
	v_xor_b32_e32 v84, s15, v84
	v_cmp_gt_i32_e64 s15, 0, v71
	v_and_b32_e32 v68, exec_lo, v68
	v_not_b32_e32 v71, v81
	v_ashrrev_i32_e32 v70, 31, v70
	s_wait_alu 0xf1ff
	v_xor_b32_e32 v69, s14, v69
	v_cmp_gt_i32_e64 s14, 0, v81
	v_and_b32_e32 v68, v68, v84
	v_not_b32_e32 v81, v82
	v_ashrrev_i32_e32 v71, 31, v71
	v_xor_b32_e32 v70, s15, v70
	v_cmp_gt_i32_e64 s15, 0, v82
	v_and_b32_e32 v68, v68, v69
	v_not_b32_e32 v69, v83
	v_ashrrev_i32_e32 v81, 31, v81
	s_wait_alu 0xf1ff
	v_xor_b32_e32 v71, s14, v71
	v_cmp_gt_i32_e64 s14, 0, v83
	v_and_b32_e32 v68, v68, v70
	v_not_b32_e32 v70, v80
	v_ashrrev_i32_e32 v69, 31, v69
	v_xor_b32_e32 v81, s15, v81
	v_lshl_add_u32 v67, v67, 3, v134
	v_and_b32_e32 v68, v68, v71
	v_cmp_gt_i32_e64 s15, 0, v80
	v_ashrrev_i32_e32 v70, 31, v70
	s_wait_alu 0xf1ff
	v_xor_b32_e32 v69, s14, v69
	v_lshl_add_u32 v71, v67, 2, v12
	v_and_b32_e32 v68, v68, v81
	v_xor_b32_e32 v70, s15, v70
	ds_load_b32 v67, v71 offset:32
	v_and_b32_e32 v68, v68, v69
	v_add_nc_u32_e32 v69, 32, v71
	; wave barrier
	s_delay_alu instid0(VALU_DEP_2) | instskip(NEXT) | instid1(VALU_DEP_1)
	v_and_b32_e32 v70, v68, v70
	v_mbcnt_lo_u32_b32 v68, v70, 0
	v_cmp_ne_u32_e64 s15, 0, v70
	s_delay_alu instid0(VALU_DEP_2)
	v_cmp_eq_u32_e64 s14, 0, v68
	s_and_b32 s15, s15, s14
	s_wait_alu 0xfffe
	s_and_saveexec_b32 s14, s15
	s_cbranch_execz .LBB1226_178
; %bb.177:                              ;   in Loop: Header=BB1226_172 Depth=1
	s_wait_dscnt 0x0
	v_bcnt_u32_b32 v70, v70, v67
	ds_store_b32 v69, v70
.LBB1226_178:                           ;   in Loop: Header=BB1226_172 Depth=1
	s_wait_alu 0xfffe
	s_or_b32 exec_lo, exec_lo, s14
	v_cmp_ne_u64_e64 s14, s[16:17], v[34:35]
	; wave barrier
	s_wait_alu 0xf1ff
	s_delay_alu instid0(VALU_DEP_1) | instskip(SKIP_1) | instid1(VALU_DEP_1)
	v_cndmask_b32_e64 v71, 0x80000000, v35, s14
	v_cndmask_b32_e64 v70, 0, v34, s14
	v_lshrrev_b64 v[70:71], v10, v[70:71]
	s_delay_alu instid0(VALU_DEP_1) | instskip(NEXT) | instid1(VALU_DEP_1)
	v_and_b32_e32 v70, v70, v65
	v_and_b32_e32 v71, 1, v70
	v_lshlrev_b32_e32 v80, 30, v70
	v_lshlrev_b32_e32 v81, 29, v70
	;; [unrolled: 1-line block ×4, first 2 shown]
	v_add_co_u32 v71, s14, v71, -1
	s_wait_alu 0xf1ff
	v_cndmask_b32_e64 v83, 0, 1, s14
	v_not_b32_e32 v87, v80
	v_cmp_gt_i32_e64 s15, 0, v80
	v_not_b32_e32 v80, v81
	v_lshlrev_b32_e32 v85, 26, v70
	v_cmp_ne_u32_e64 s14, 0, v83
	v_ashrrev_i32_e32 v87, 31, v87
	v_lshlrev_b32_e32 v86, 25, v70
	v_ashrrev_i32_e32 v80, 31, v80
	v_lshlrev_b32_e32 v83, 24, v70
	s_wait_alu 0xf1ff
	v_xor_b32_e32 v71, s14, v71
	v_cmp_gt_i32_e64 s14, 0, v81
	v_not_b32_e32 v81, v82
	v_xor_b32_e32 v87, s15, v87
	v_cmp_gt_i32_e64 s15, 0, v82
	v_and_b32_e32 v71, exec_lo, v71
	v_not_b32_e32 v82, v84
	v_ashrrev_i32_e32 v81, 31, v81
	s_wait_alu 0xf1ff
	v_xor_b32_e32 v80, s14, v80
	v_cmp_gt_i32_e64 s14, 0, v84
	v_and_b32_e32 v71, v71, v87
	v_not_b32_e32 v84, v85
	v_ashrrev_i32_e32 v82, 31, v82
	v_xor_b32_e32 v81, s15, v81
	v_cmp_gt_i32_e64 s15, 0, v85
	v_and_b32_e32 v71, v71, v80
	v_not_b32_e32 v80, v86
	v_ashrrev_i32_e32 v84, 31, v84
	s_wait_alu 0xf1ff
	v_xor_b32_e32 v82, s14, v82
	v_cmp_gt_i32_e64 s14, 0, v86
	v_and_b32_e32 v71, v71, v81
	v_not_b32_e32 v81, v83
	v_ashrrev_i32_e32 v80, 31, v80
	v_xor_b32_e32 v84, s15, v84
	v_lshl_add_u32 v70, v70, 3, v134
	v_and_b32_e32 v71, v71, v82
	v_cmp_gt_i32_e64 s15, 0, v83
	v_ashrrev_i32_e32 v81, 31, v81
	s_wait_alu 0xf1ff
	v_xor_b32_e32 v80, s14, v80
	v_lshl_add_u32 v82, v70, 2, v12
	v_and_b32_e32 v71, v71, v84
	v_xor_b32_e32 v81, s15, v81
	ds_load_b32 v70, v82 offset:32
	v_and_b32_e32 v71, v71, v80
	v_add_nc_u32_e32 v80, 32, v82
	; wave barrier
	s_delay_alu instid0(VALU_DEP_2) | instskip(NEXT) | instid1(VALU_DEP_1)
	v_and_b32_e32 v81, v71, v81
	v_mbcnt_lo_u32_b32 v71, v81, 0
	v_cmp_ne_u32_e64 s15, 0, v81
	s_delay_alu instid0(VALU_DEP_2)
	v_cmp_eq_u32_e64 s14, 0, v71
	s_and_b32 s15, s15, s14
	s_wait_alu 0xfffe
	s_and_saveexec_b32 s14, s15
	s_cbranch_execz .LBB1226_180
; %bb.179:                              ;   in Loop: Header=BB1226_172 Depth=1
	s_wait_dscnt 0x0
	v_bcnt_u32_b32 v81, v81, v70
	ds_store_b32 v80, v81
.LBB1226_180:                           ;   in Loop: Header=BB1226_172 Depth=1
	s_wait_alu 0xfffe
	s_or_b32 exec_lo, exec_lo, s14
	v_cmp_ne_u64_e64 s14, s[16:17], v[32:33]
	; wave barrier
	s_wait_alu 0xf1ff
	s_delay_alu instid0(VALU_DEP_1) | instskip(SKIP_1) | instid1(VALU_DEP_1)
	v_cndmask_b32_e64 v82, 0x80000000, v33, s14
	v_cndmask_b32_e64 v81, 0, v32, s14
	v_lshrrev_b64 v[81:82], v10, v[81:82]
	s_delay_alu instid0(VALU_DEP_1) | instskip(NEXT) | instid1(VALU_DEP_1)
	v_and_b32_e32 v81, v81, v65
	v_and_b32_e32 v82, 1, v81
	v_lshlrev_b32_e32 v83, 30, v81
	v_lshlrev_b32_e32 v84, 29, v81
	;; [unrolled: 1-line block ×4, first 2 shown]
	v_add_co_u32 v82, s14, v82, -1
	s_wait_alu 0xf1ff
	v_cndmask_b32_e64 v86, 0, 1, s14
	v_not_b32_e32 v98, v83
	v_cmp_gt_i32_e64 s15, 0, v83
	v_not_b32_e32 v83, v84
	v_lshlrev_b32_e32 v96, 26, v81
	v_cmp_ne_u32_e64 s14, 0, v86
	v_ashrrev_i32_e32 v98, 31, v98
	v_lshlrev_b32_e32 v97, 25, v81
	v_ashrrev_i32_e32 v83, 31, v83
	v_lshlrev_b32_e32 v86, 24, v81
	s_wait_alu 0xf1ff
	v_xor_b32_e32 v82, s14, v82
	v_cmp_gt_i32_e64 s14, 0, v84
	v_not_b32_e32 v84, v85
	v_xor_b32_e32 v98, s15, v98
	v_cmp_gt_i32_e64 s15, 0, v85
	v_and_b32_e32 v82, exec_lo, v82
	v_not_b32_e32 v85, v87
	v_ashrrev_i32_e32 v84, 31, v84
	s_wait_alu 0xf1ff
	v_xor_b32_e32 v83, s14, v83
	v_cmp_gt_i32_e64 s14, 0, v87
	v_and_b32_e32 v82, v82, v98
	v_not_b32_e32 v87, v96
	v_ashrrev_i32_e32 v85, 31, v85
	v_xor_b32_e32 v84, s15, v84
	v_cmp_gt_i32_e64 s15, 0, v96
	v_and_b32_e32 v82, v82, v83
	v_not_b32_e32 v83, v97
	v_ashrrev_i32_e32 v87, 31, v87
	s_wait_alu 0xf1ff
	v_xor_b32_e32 v85, s14, v85
	v_cmp_gt_i32_e64 s14, 0, v97
	v_and_b32_e32 v82, v82, v84
	v_not_b32_e32 v84, v86
	v_ashrrev_i32_e32 v83, 31, v83
	v_xor_b32_e32 v87, s15, v87
	v_lshl_add_u32 v81, v81, 3, v134
	v_and_b32_e32 v82, v82, v85
	v_cmp_gt_i32_e64 s15, 0, v86
	v_ashrrev_i32_e32 v84, 31, v84
	s_wait_alu 0xf1ff
	v_xor_b32_e32 v83, s14, v83
	v_lshl_add_u32 v85, v81, 2, v12
	v_and_b32_e32 v82, v82, v87
	v_xor_b32_e32 v84, s15, v84
	ds_load_b32 v81, v85 offset:32
	v_and_b32_e32 v82, v82, v83
	v_add_nc_u32_e32 v83, 32, v85
	; wave barrier
	s_delay_alu instid0(VALU_DEP_2) | instskip(NEXT) | instid1(VALU_DEP_1)
	v_and_b32_e32 v84, v82, v84
	v_mbcnt_lo_u32_b32 v82, v84, 0
	v_cmp_ne_u32_e64 s15, 0, v84
	s_delay_alu instid0(VALU_DEP_2)
	v_cmp_eq_u32_e64 s14, 0, v82
	s_and_b32 s15, s15, s14
	s_wait_alu 0xfffe
	s_and_saveexec_b32 s14, s15
	s_cbranch_execz .LBB1226_182
; %bb.181:                              ;   in Loop: Header=BB1226_172 Depth=1
	s_wait_dscnt 0x0
	v_bcnt_u32_b32 v84, v84, v81
	ds_store_b32 v83, v84
.LBB1226_182:                           ;   in Loop: Header=BB1226_172 Depth=1
	s_wait_alu 0xfffe
	s_or_b32 exec_lo, exec_lo, s14
	v_cmp_ne_u64_e64 s14, s[16:17], v[30:31]
	; wave barrier
	s_wait_alu 0xf1ff
	s_delay_alu instid0(VALU_DEP_1) | instskip(SKIP_1) | instid1(VALU_DEP_1)
	v_cndmask_b32_e64 v85, 0x80000000, v31, s14
	v_cndmask_b32_e64 v84, 0, v30, s14
	v_lshrrev_b64 v[84:85], v10, v[84:85]
	s_delay_alu instid0(VALU_DEP_1) | instskip(NEXT) | instid1(VALU_DEP_1)
	v_and_b32_e32 v84, v84, v65
	v_and_b32_e32 v85, 1, v84
	v_lshlrev_b32_e32 v86, 30, v84
	v_lshlrev_b32_e32 v87, 29, v84
	;; [unrolled: 1-line block ×4, first 2 shown]
	v_add_co_u32 v85, s14, v85, -1
	s_wait_alu 0xf1ff
	v_cndmask_b32_e64 v97, 0, 1, s14
	v_not_b32_e32 v101, v86
	v_cmp_gt_i32_e64 s15, 0, v86
	v_not_b32_e32 v86, v87
	v_lshlrev_b32_e32 v99, 26, v84
	v_cmp_ne_u32_e64 s14, 0, v97
	v_ashrrev_i32_e32 v101, 31, v101
	v_lshlrev_b32_e32 v100, 25, v84
	v_ashrrev_i32_e32 v86, 31, v86
	v_lshlrev_b32_e32 v97, 24, v84
	s_wait_alu 0xf1ff
	v_xor_b32_e32 v85, s14, v85
	v_cmp_gt_i32_e64 s14, 0, v87
	v_not_b32_e32 v87, v96
	v_xor_b32_e32 v101, s15, v101
	v_cmp_gt_i32_e64 s15, 0, v96
	v_and_b32_e32 v85, exec_lo, v85
	v_not_b32_e32 v96, v98
	v_ashrrev_i32_e32 v87, 31, v87
	s_wait_alu 0xf1ff
	v_xor_b32_e32 v86, s14, v86
	v_cmp_gt_i32_e64 s14, 0, v98
	v_and_b32_e32 v85, v85, v101
	v_not_b32_e32 v98, v99
	v_ashrrev_i32_e32 v96, 31, v96
	v_xor_b32_e32 v87, s15, v87
	v_cmp_gt_i32_e64 s15, 0, v99
	v_and_b32_e32 v85, v85, v86
	v_not_b32_e32 v86, v100
	v_ashrrev_i32_e32 v98, 31, v98
	s_wait_alu 0xf1ff
	v_xor_b32_e32 v96, s14, v96
	v_cmp_gt_i32_e64 s14, 0, v100
	v_and_b32_e32 v85, v85, v87
	v_not_b32_e32 v87, v97
	v_ashrrev_i32_e32 v86, 31, v86
	v_xor_b32_e32 v98, s15, v98
	v_lshl_add_u32 v84, v84, 3, v134
	v_and_b32_e32 v85, v85, v96
	v_cmp_gt_i32_e64 s15, 0, v97
	v_ashrrev_i32_e32 v87, 31, v87
	s_wait_alu 0xf1ff
	v_xor_b32_e32 v86, s14, v86
	v_lshl_add_u32 v96, v84, 2, v12
	v_and_b32_e32 v85, v85, v98
	v_xor_b32_e32 v87, s15, v87
	ds_load_b32 v84, v96 offset:32
	v_and_b32_e32 v85, v85, v86
	v_add_nc_u32_e32 v86, 32, v96
	; wave barrier
	s_delay_alu instid0(VALU_DEP_2) | instskip(NEXT) | instid1(VALU_DEP_1)
	v_and_b32_e32 v87, v85, v87
	v_mbcnt_lo_u32_b32 v85, v87, 0
	v_cmp_ne_u32_e64 s15, 0, v87
	s_delay_alu instid0(VALU_DEP_2)
	v_cmp_eq_u32_e64 s14, 0, v85
	s_and_b32 s15, s15, s14
	s_wait_alu 0xfffe
	s_and_saveexec_b32 s14, s15
	s_cbranch_execz .LBB1226_184
; %bb.183:                              ;   in Loop: Header=BB1226_172 Depth=1
	s_wait_dscnt 0x0
	v_bcnt_u32_b32 v87, v87, v84
	ds_store_b32 v86, v87
.LBB1226_184:                           ;   in Loop: Header=BB1226_172 Depth=1
	s_wait_alu 0xfffe
	s_or_b32 exec_lo, exec_lo, s14
	v_cmp_ne_u64_e64 s14, s[16:17], v[28:29]
	; wave barrier
	s_wait_alu 0xf1ff
	s_delay_alu instid0(VALU_DEP_1) | instskip(SKIP_1) | instid1(VALU_DEP_1)
	v_cndmask_b32_e64 v97, 0x80000000, v29, s14
	v_cndmask_b32_e64 v96, 0, v28, s14
	v_lshrrev_b64 v[96:97], v10, v[96:97]
	s_delay_alu instid0(VALU_DEP_1) | instskip(NEXT) | instid1(VALU_DEP_1)
	v_and_b32_e32 v87, v96, v65
	v_and_b32_e32 v96, 1, v87
	v_lshlrev_b32_e32 v97, 30, v87
	v_lshlrev_b32_e32 v98, 29, v87
	;; [unrolled: 1-line block ×4, first 2 shown]
	v_add_co_u32 v96, s14, v96, -1
	s_wait_alu 0xf1ff
	v_cndmask_b32_e64 v100, 0, 1, s14
	v_not_b32_e32 v112, v97
	v_cmp_gt_i32_e64 s15, 0, v97
	v_not_b32_e32 v97, v98
	v_lshlrev_b32_e32 v102, 26, v87
	v_cmp_ne_u32_e64 s14, 0, v100
	v_ashrrev_i32_e32 v112, 31, v112
	v_lshlrev_b32_e32 v103, 25, v87
	v_ashrrev_i32_e32 v97, 31, v97
	v_lshlrev_b32_e32 v100, 24, v87
	s_wait_alu 0xf1ff
	v_xor_b32_e32 v96, s14, v96
	v_cmp_gt_i32_e64 s14, 0, v98
	v_not_b32_e32 v98, v99
	v_xor_b32_e32 v112, s15, v112
	v_cmp_gt_i32_e64 s15, 0, v99
	v_and_b32_e32 v96, exec_lo, v96
	v_not_b32_e32 v99, v101
	v_ashrrev_i32_e32 v98, 31, v98
	s_wait_alu 0xf1ff
	v_xor_b32_e32 v97, s14, v97
	v_cmp_gt_i32_e64 s14, 0, v101
	v_and_b32_e32 v96, v96, v112
	v_not_b32_e32 v101, v102
	v_ashrrev_i32_e32 v99, 31, v99
	v_xor_b32_e32 v98, s15, v98
	v_cmp_gt_i32_e64 s15, 0, v102
	v_and_b32_e32 v96, v96, v97
	v_not_b32_e32 v97, v103
	v_ashrrev_i32_e32 v101, 31, v101
	s_wait_alu 0xf1ff
	v_xor_b32_e32 v99, s14, v99
	v_cmp_gt_i32_e64 s14, 0, v103
	v_and_b32_e32 v96, v96, v98
	v_not_b32_e32 v98, v100
	v_ashrrev_i32_e32 v97, 31, v97
	v_xor_b32_e32 v101, s15, v101
	v_lshl_add_u32 v87, v87, 3, v134
	v_and_b32_e32 v96, v96, v99
	v_cmp_gt_i32_e64 s15, 0, v100
	v_ashrrev_i32_e32 v98, 31, v98
	s_wait_alu 0xf1ff
	v_xor_b32_e32 v97, s14, v97
	v_lshl_add_u32 v99, v87, 2, v12
	v_and_b32_e32 v96, v96, v101
	v_xor_b32_e32 v98, s15, v98
	ds_load_b32 v87, v99 offset:32
	v_and_b32_e32 v96, v96, v97
	v_add_nc_u32_e32 v97, 32, v99
	; wave barrier
	s_delay_alu instid0(VALU_DEP_2) | instskip(NEXT) | instid1(VALU_DEP_1)
	v_and_b32_e32 v98, v96, v98
	v_mbcnt_lo_u32_b32 v96, v98, 0
	v_cmp_ne_u32_e64 s15, 0, v98
	s_delay_alu instid0(VALU_DEP_2)
	v_cmp_eq_u32_e64 s14, 0, v96
	s_and_b32 s15, s15, s14
	s_wait_alu 0xfffe
	s_and_saveexec_b32 s14, s15
	s_cbranch_execz .LBB1226_186
; %bb.185:                              ;   in Loop: Header=BB1226_172 Depth=1
	s_wait_dscnt 0x0
	v_bcnt_u32_b32 v98, v98, v87
	ds_store_b32 v97, v98
.LBB1226_186:                           ;   in Loop: Header=BB1226_172 Depth=1
	s_wait_alu 0xfffe
	s_or_b32 exec_lo, exec_lo, s14
	v_cmp_ne_u64_e64 s14, s[16:17], v[36:37]
	; wave barrier
	s_wait_alu 0xf1ff
	s_delay_alu instid0(VALU_DEP_1) | instskip(SKIP_1) | instid1(VALU_DEP_1)
	v_cndmask_b32_e64 v99, 0x80000000, v37, s14
	v_cndmask_b32_e64 v98, 0, v36, s14
	v_lshrrev_b64 v[98:99], v10, v[98:99]
	s_delay_alu instid0(VALU_DEP_1) | instskip(NEXT) | instid1(VALU_DEP_1)
	v_and_b32_e32 v65, v98, v65
	v_and_b32_e32 v98, 1, v65
	v_lshlrev_b32_e32 v99, 30, v65
	v_lshlrev_b32_e32 v100, 29, v65
	;; [unrolled: 1-line block ×4, first 2 shown]
	v_add_co_u32 v98, s14, v98, -1
	s_wait_alu 0xf1ff
	v_cndmask_b32_e64 v102, 0, 1, s14
	v_not_b32_e32 v114, v99
	v_cmp_gt_i32_e64 s15, 0, v99
	v_not_b32_e32 v99, v100
	v_lshlrev_b32_e32 v112, 26, v65
	v_cmp_ne_u32_e64 s14, 0, v102
	v_ashrrev_i32_e32 v114, 31, v114
	v_lshlrev_b32_e32 v113, 25, v65
	v_ashrrev_i32_e32 v99, 31, v99
	v_lshlrev_b32_e32 v102, 24, v65
	s_wait_alu 0xf1ff
	v_xor_b32_e32 v98, s14, v98
	v_cmp_gt_i32_e64 s14, 0, v100
	v_not_b32_e32 v100, v101
	v_xor_b32_e32 v114, s15, v114
	v_cmp_gt_i32_e64 s15, 0, v101
	v_and_b32_e32 v98, exec_lo, v98
	v_not_b32_e32 v101, v103
	v_ashrrev_i32_e32 v100, 31, v100
	s_wait_alu 0xf1ff
	v_xor_b32_e32 v99, s14, v99
	v_cmp_gt_i32_e64 s14, 0, v103
	v_and_b32_e32 v98, v98, v114
	v_not_b32_e32 v103, v112
	v_ashrrev_i32_e32 v101, 31, v101
	v_xor_b32_e32 v100, s15, v100
	v_cmp_gt_i32_e64 s15, 0, v112
	v_and_b32_e32 v98, v98, v99
	v_not_b32_e32 v99, v113
	v_ashrrev_i32_e32 v103, 31, v103
	s_wait_alu 0xf1ff
	v_xor_b32_e32 v101, s14, v101
	v_cmp_gt_i32_e64 s14, 0, v113
	v_and_b32_e32 v98, v98, v100
	v_not_b32_e32 v100, v102
	v_ashrrev_i32_e32 v99, 31, v99
	v_xor_b32_e32 v103, s15, v103
	v_lshl_add_u32 v65, v65, 3, v134
	v_and_b32_e32 v98, v98, v101
	v_cmp_gt_i32_e64 s15, 0, v102
	v_ashrrev_i32_e32 v100, 31, v100
	s_wait_alu 0xf1ff
	v_xor_b32_e32 v99, s14, v99
	v_lshl_add_u32 v101, v65, 2, v12
	v_and_b32_e32 v98, v98, v103
	v_xor_b32_e32 v100, s15, v100
	ds_load_b32 v65, v101 offset:32
	v_and_b32_e32 v98, v98, v99
	v_add_nc_u32_e32 v99, 32, v101
	; wave barrier
	s_delay_alu instid0(VALU_DEP_2) | instskip(NEXT) | instid1(VALU_DEP_1)
	v_and_b32_e32 v100, v98, v100
	v_mbcnt_lo_u32_b32 v98, v100, 0
	v_cmp_ne_u32_e64 s15, 0, v100
	s_delay_alu instid0(VALU_DEP_2)
	v_cmp_eq_u32_e64 s14, 0, v98
	s_and_b32 s15, s15, s14
	s_wait_alu 0xfffe
	s_and_saveexec_b32 s14, s15
	s_cbranch_execz .LBB1226_188
; %bb.187:                              ;   in Loop: Header=BB1226_172 Depth=1
	s_wait_dscnt 0x0
	v_bcnt_u32_b32 v100, v100, v65
	ds_store_b32 v99, v100
.LBB1226_188:                           ;   in Loop: Header=BB1226_172 Depth=1
	s_wait_alu 0xfffe
	s_or_b32 exec_lo, exec_lo, s14
	; wave barrier
	s_wait_loadcnt_dscnt 0x0
	s_barrier_signal -1
	s_barrier_wait -1
	global_inv scope:SCOPE_SE
	ds_load_b32 v101, v55
	ds_load_b32 v102, v118
	;; [unrolled: 1-line block ×8, first 2 shown]
	s_wait_dscnt 0x6
	v_add_nc_u32_e32 v116, v102, v101
	s_wait_dscnt 0x4
	s_delay_alu instid0(VALU_DEP_1) | instskip(SKIP_1) | instid1(VALU_DEP_1)
	v_add3_u32 v116, v116, v103, v112
	s_wait_dscnt 0x2
	v_add3_u32 v116, v116, v113, v114
	s_wait_dscnt 0x0
	s_delay_alu instid0(VALU_DEP_1) | instskip(NEXT) | instid1(VALU_DEP_1)
	v_add3_u32 v115, v116, v100, v115
	v_mov_b32_dpp v116, v115 row_shr:1 row_mask:0xf bank_mask:0xf
	s_wait_alu 0xfffd
	s_delay_alu instid0(VALU_DEP_1) | instskip(NEXT) | instid1(VALU_DEP_1)
	v_cndmask_b32_e64 v116, v116, 0, vcc_lo
	v_add_nc_u32_e32 v115, v116, v115
	s_delay_alu instid0(VALU_DEP_1) | instskip(NEXT) | instid1(VALU_DEP_1)
	v_mov_b32_dpp v116, v115 row_shr:2 row_mask:0xf bank_mask:0xf
	v_cndmask_b32_e64 v116, 0, v116, s0
	s_delay_alu instid0(VALU_DEP_1) | instskip(NEXT) | instid1(VALU_DEP_1)
	v_add_nc_u32_e32 v115, v115, v116
	v_mov_b32_dpp v116, v115 row_shr:4 row_mask:0xf bank_mask:0xf
	s_delay_alu instid0(VALU_DEP_1) | instskip(NEXT) | instid1(VALU_DEP_1)
	v_cndmask_b32_e64 v116, 0, v116, s1
	v_add_nc_u32_e32 v115, v115, v116
	s_delay_alu instid0(VALU_DEP_1) | instskip(NEXT) | instid1(VALU_DEP_1)
	v_mov_b32_dpp v116, v115 row_shr:8 row_mask:0xf bank_mask:0xf
	v_cndmask_b32_e64 v116, 0, v116, s3
	s_delay_alu instid0(VALU_DEP_1) | instskip(SKIP_3) | instid1(VALU_DEP_1)
	v_add_nc_u32_e32 v115, v115, v116
	ds_swizzle_b32 v116, v115 offset:swizzle(BROADCAST,32,15)
	s_wait_dscnt 0x0
	v_cndmask_b32_e64 v116, v116, 0, s4
	v_add_nc_u32_e32 v115, v115, v116
	s_and_saveexec_b32 s14, s5
; %bb.189:                              ;   in Loop: Header=BB1226_172 Depth=1
	ds_store_b32 v144, v115
; %bb.190:                              ;   in Loop: Header=BB1226_172 Depth=1
	s_wait_alu 0xfffe
	s_or_b32 exec_lo, exec_lo, s14
	s_wait_loadcnt_dscnt 0x0
	s_barrier_signal -1
	s_barrier_wait -1
	global_inv scope:SCOPE_SE
	s_and_saveexec_b32 s14, s6
	s_cbranch_execz .LBB1226_192
; %bb.191:                              ;   in Loop: Header=BB1226_172 Depth=1
	ds_load_b32 v116, v145
	s_wait_dscnt 0x0
	v_mov_b32_dpp v117, v116 row_shr:1 row_mask:0xf bank_mask:0xf
	s_delay_alu instid0(VALU_DEP_1) | instskip(NEXT) | instid1(VALU_DEP_1)
	v_cndmask_b32_e64 v117, v117, 0, s11
	v_add_nc_u32_e32 v116, v117, v116
	s_delay_alu instid0(VALU_DEP_1) | instskip(NEXT) | instid1(VALU_DEP_1)
	v_mov_b32_dpp v117, v116 row_shr:2 row_mask:0xf bank_mask:0xf
	v_cndmask_b32_e64 v117, 0, v117, s12
	s_delay_alu instid0(VALU_DEP_1) | instskip(NEXT) | instid1(VALU_DEP_1)
	v_add_nc_u32_e32 v116, v116, v117
	v_mov_b32_dpp v117, v116 row_shr:4 row_mask:0xf bank_mask:0xf
	s_delay_alu instid0(VALU_DEP_1) | instskip(NEXT) | instid1(VALU_DEP_1)
	v_cndmask_b32_e64 v117, 0, v117, s13
	v_add_nc_u32_e32 v116, v116, v117
	ds_store_b32 v145, v116
.LBB1226_192:                           ;   in Loop: Header=BB1226_172 Depth=1
	s_wait_alu 0xfffe
	s_or_b32 exec_lo, exec_lo, s14
	v_mov_b32_e32 v116, 0
	s_wait_loadcnt_dscnt 0x0
	s_barrier_signal -1
	s_barrier_wait -1
	global_inv scope:SCOPE_SE
	s_and_saveexec_b32 s14, s7
; %bb.193:                              ;   in Loop: Header=BB1226_172 Depth=1
	ds_load_b32 v116, v147
; %bb.194:                              ;   in Loop: Header=BB1226_172 Depth=1
	s_wait_alu 0xfffe
	s_or_b32 exec_lo, exec_lo, s14
	s_wait_dscnt 0x0
	v_add_nc_u32_e32 v115, v116, v115
	v_add_nc_u32_e32 v10, 8, v10
	s_mov_b32 s22, -1
	ds_bpermute_b32 v115, v135, v115
	s_wait_dscnt 0x0
	v_cndmask_b32_e64 v115, v115, v116, s2
                                        ; implicit-def: $vgpr116_vgpr117
	s_delay_alu instid0(VALU_DEP_1) | instskip(NEXT) | instid1(VALU_DEP_1)
	v_cndmask_b32_e64 v115, v115, 0, s10
	v_add_nc_u32_e32 v101, v115, v101
	s_delay_alu instid0(VALU_DEP_1) | instskip(SKIP_4) | instid1(VALU_DEP_1)
	v_add_nc_u32_e32 v102, v101, v102
	ds_store_b32 v55, v115
	ds_store_b32 v118, v101
	ds_store_b32 v128, v102
	v_dual_mov_b32 v102, v1 :: v_dual_add_nc_u32 v103, v102, v103
	v_add_nc_u32_e32 v112, v103, v112
	s_delay_alu instid0(VALU_DEP_1) | instskip(NEXT) | instid1(VALU_DEP_1)
	v_add_nc_u32_e32 v113, v112, v113
	v_add_nc_u32_e32 v114, v113, v114
	s_delay_alu instid0(VALU_DEP_1)
	v_add_nc_u32_e32 v100, v114, v100
	ds_store_b32 v129, v103
	ds_store_b32 v130, v112
	;; [unrolled: 1-line block ×5, first 2 shown]
	s_wait_loadcnt_dscnt 0x0
	s_barrier_signal -1
	s_barrier_wait -1
	global_inv scope:SCOPE_SE
	ds_load_b32 v38, v38
	ds_load_b32 v101, v66
	;; [unrolled: 1-line block ×8, first 2 shown]
	v_mov_b32_e32 v83, v1
	v_dual_mov_b32 v69, v1 :: v_dual_mov_b32 v86, v1
	v_dual_mov_b32 v100, v1 :: v_dual_mov_b32 v97, v1
	v_mov_b32_e32 v66, v1
	v_cmp_lt_u32_e64 s14, v10, v11
	s_wait_loadcnt_dscnt 0x0
	v_add_nc_u32_e32 v0, v38, v0
	v_add3_u32 v99, v64, v39, v101
	v_add3_u32 v68, v68, v67, v103
	v_add3_u32 v101, v71, v70, v80
	v_add3_u32 v82, v82, v81, v112
	v_add3_u32 v85, v85, v84, v113
	v_add3_u32 v96, v96, v87, v114
	v_add3_u32 v65, v98, v65, v115
	v_lshlrev_b64_e32 v[67:68], 3, v[68:69]
	v_lshlrev_b64_e32 v[80:81], 3, v[82:83]
	;; [unrolled: 1-line block ×8, first 2 shown]
	v_add_co_u32 v165, null, v12, v67
	v_add_co_u32 v0, null, v12, v38
	;; [unrolled: 1-line block ×8, first 2 shown]
                                        ; implicit-def: $vgpr38_vgpr39
                                        ; implicit-def: $vgpr64_vgpr65
                                        ; implicit-def: $vgpr66_vgpr67
                                        ; implicit-def: $vgpr68_vgpr69
                                        ; implicit-def: $vgpr70_vgpr71
                                        ; implicit-def: $vgpr80_vgpr81
                                        ; implicit-def: $vgpr82_vgpr83
                                        ; implicit-def: $vgpr86_vgpr87
                                        ; implicit-def: $vgpr112_vgpr113
                                        ; implicit-def: $vgpr96_vgpr97
                                        ; implicit-def: $vgpr98_vgpr99
                                        ; implicit-def: $vgpr100_vgpr101
                                        ; implicit-def: $vgpr102_vgpr103
                                        ; implicit-def: $vgpr114_vgpr115
                                        ; implicit-def: $vgpr84_vgpr85
	s_and_saveexec_b32 s15, s14
	s_cbranch_execz .LBB1226_171
; %bb.195:                              ;   in Loop: Header=BB1226_172 Depth=1
	s_barrier_signal -1
	s_barrier_wait -1
	global_inv scope:SCOPE_SE
	ds_store_b64 v0, v[22:23]
	ds_store_b64 v164, v[26:27]
	;; [unrolled: 1-line block ×8, first 2 shown]
	s_wait_loadcnt_dscnt 0x0
	s_barrier_signal -1
	s_barrier_wait -1
	global_inv scope:SCOPE_SE
	ds_load_b64 v[112:113], v146
	ds_load_b64 v[96:97], v148
	;; [unrolled: 1-line block ×8, first 2 shown]
	s_wait_loadcnt_dscnt 0x0
	s_barrier_signal -1
	s_barrier_wait -1
	global_inv scope:SCOPE_SE
	ds_store_b64 v0, v[4:5]
	ds_store_b64 v164, v[13:14]
	;; [unrolled: 1-line block ×8, first 2 shown]
	s_wait_loadcnt_dscnt 0x0
	s_barrier_signal -1
	s_barrier_wait -1
	global_inv scope:SCOPE_SE
	ds_load_b64 v[38:39], v146
	ds_load_b64 v[64:65], v148
	;; [unrolled: 1-line block ×8, first 2 shown]
	v_add_nc_u32_e32 v163, -8, v163
	s_xor_b32 s22, exec_lo, -1
	s_wait_loadcnt_dscnt 0x0
	s_barrier_signal -1
	s_barrier_wait -1
	global_inv scope:SCOPE_SE
	s_branch .LBB1226_171
.LBB1226_196:
	flat_load_b64 v[117:118], v[4:5]
	s_wait_alu 0xfffe
	s_or_b32 exec_lo, exec_lo, s17
                                        ; implicit-def: $vgpr130_vgpr131
	s_and_saveexec_b32 s17, s0
	s_cbranch_execz .LBB1226_36
.LBB1226_197:
	flat_load_b64 v[130:131], v[4:5] offset:256
	s_wait_alu 0xfffe
	s_or_b32 exec_lo, exec_lo, s17
                                        ; implicit-def: $vgpr134_vgpr135
	s_and_saveexec_b32 s0, s1
	s_cbranch_execz .LBB1226_37
.LBB1226_198:
	flat_load_b64 v[134:135], v[4:5] offset:512
	s_wait_alu 0xfffe
	s_or_b32 exec_lo, exec_lo, s0
                                        ; implicit-def: $vgpr128_vgpr129
	s_and_saveexec_b32 s0, s2
	s_cbranch_execz .LBB1226_38
.LBB1226_199:
	flat_load_b64 v[128:129], v[4:5] offset:768
	s_wait_alu 0xfffe
	s_or_b32 exec_lo, exec_lo, s0
                                        ; implicit-def: $vgpr132_vgpr133
	s_and_saveexec_b32 s0, s3
	s_cbranch_execz .LBB1226_39
.LBB1226_200:
	flat_load_b64 v[132:133], v[4:5] offset:1024
	s_wait_alu 0xfffe
	s_or_b32 exec_lo, exec_lo, s0
                                        ; implicit-def: $vgpr144_vgpr145
	s_and_saveexec_b32 s0, s4
	s_cbranch_execz .LBB1226_40
.LBB1226_201:
	flat_load_b64 v[144:145], v[4:5] offset:1280
	s_wait_alu 0xfffe
	s_or_b32 exec_lo, exec_lo, s0
                                        ; implicit-def: $vgpr146_vgpr147
	s_and_saveexec_b32 s0, s5
	s_cbranch_execz .LBB1226_41
.LBB1226_202:
	flat_load_b64 v[146:147], v[4:5] offset:1536
	s_wait_alu 0xfffe
	s_or_b32 exec_lo, exec_lo, s0
                                        ; implicit-def: $vgpr148_vgpr149
	s_and_saveexec_b32 s0, s6
	s_cbranch_execz .LBB1226_42
.LBB1226_203:
	flat_load_b64 v[148:149], v[4:5] offset:1792
	s_wait_alu 0xfffe
	s_or_b32 exec_lo, exec_lo, s0
                                        ; implicit-def: $vgpr150_vgpr151
	s_and_saveexec_b32 s0, s7
	s_cbranch_execz .LBB1226_43
.LBB1226_204:
	flat_load_b64 v[150:151], v[4:5] offset:2048
	s_wait_alu 0xfffe
	s_or_b32 exec_lo, exec_lo, s0
                                        ; implicit-def: $vgpr160_vgpr161
	s_and_saveexec_b32 s0, s10
	s_cbranch_execz .LBB1226_44
.LBB1226_205:
	flat_load_b64 v[160:161], v[4:5] offset:2304
	s_wait_alu 0xfffe
	s_or_b32 exec_lo, exec_lo, s0
                                        ; implicit-def: $vgpr162_vgpr163
	s_and_saveexec_b32 s0, s11
	s_cbranch_execz .LBB1226_45
.LBB1226_206:
	flat_load_b64 v[162:163], v[4:5] offset:2560
	s_wait_alu 0xfffe
	s_or_b32 exec_lo, exec_lo, s0
                                        ; implicit-def: $vgpr164_vgpr165
	s_and_saveexec_b32 s0, s12
	s_cbranch_execz .LBB1226_46
.LBB1226_207:
	flat_load_b64 v[164:165], v[4:5] offset:2816
	s_wait_alu 0xfffe
	s_or_b32 exec_lo, exec_lo, s0
                                        ; implicit-def: $vgpr166_vgpr167
	s_and_saveexec_b32 s0, s13
	s_cbranch_execz .LBB1226_47
.LBB1226_208:
	flat_load_b64 v[166:167], v[4:5] offset:3072
	s_wait_alu 0xfffe
	s_or_b32 exec_lo, exec_lo, s0
                                        ; implicit-def: $vgpr176_vgpr177
	s_and_saveexec_b32 s0, s14
	s_cbranch_execz .LBB1226_48
.LBB1226_209:
	flat_load_b64 v[176:177], v[4:5] offset:3328
	s_wait_alu 0xfffe
	s_or_b32 exec_lo, exec_lo, s0
                                        ; implicit-def: $vgpr182_vgpr183
	s_and_saveexec_b32 s0, s15
	s_cbranch_execz .LBB1226_49
.LBB1226_210:
	flat_load_b64 v[182:183], v[4:5] offset:3584
	s_wait_alu 0xfffe
	s_or_b32 exec_lo, exec_lo, s0
                                        ; implicit-def: $vgpr194_vgpr195
	s_and_saveexec_b32 s0, s16
	s_cbranch_execnz .LBB1226_50
	s_branch .LBB1226_51
.LBB1226_211:
	flat_store_b64 v[0:1], v[48:49]
	s_wait_alu 0xfffe
	s_or_b32 exec_lo, exec_lo, s17
	s_and_saveexec_b32 s17, s0
	s_cbranch_execz .LBB1226_127
.LBB1226_212:
	flat_store_b64 v[0:1], v[50:51] offset:2048
	s_wait_alu 0xfffe
	s_or_b32 exec_lo, exec_lo, s17
	s_and_saveexec_b32 s0, s1
	s_cbranch_execz .LBB1226_128
.LBB1226_213:
	flat_store_b64 v[0:1], v[32:33] offset:4096
	s_wait_alu 0xfffe
	s_or_b32 exec_lo, exec_lo, s0
	s_and_saveexec_b32 s0, s2
	s_cbranch_execz .LBB1226_129
.LBB1226_214:
	flat_store_b64 v[0:1], v[34:35] offset:6144
	s_wait_alu 0xfffe
	s_or_b32 exec_lo, exec_lo, s0
	s_and_saveexec_b32 s0, s3
	s_cbranch_execz .LBB1226_130
.LBB1226_215:
	flat_store_b64 v[0:1], v[28:29] offset:8192
	s_wait_alu 0xfffe
	s_or_b32 exec_lo, exec_lo, s0
	s_and_saveexec_b32 s0, s4
	s_cbranch_execz .LBB1226_131
.LBB1226_216:
	flat_store_b64 v[0:1], v[30:31] offset:10240
	s_wait_alu 0xfffe
	s_or_b32 exec_lo, exec_lo, s0
	s_and_saveexec_b32 s0, s5
	s_cbranch_execz .LBB1226_132
.LBB1226_217:
	flat_store_b64 v[0:1], v[24:25] offset:12288
	s_wait_alu 0xfffe
	s_or_b32 exec_lo, exec_lo, s0
	s_and_saveexec_b32 s0, s6
	s_cbranch_execz .LBB1226_133
.LBB1226_218:
	flat_store_b64 v[0:1], v[26:27] offset:14336
	s_wait_alu 0xfffe
	s_or_b32 exec_lo, exec_lo, s0
	s_and_saveexec_b32 s0, s7
	s_cbranch_execz .LBB1226_134
.LBB1226_219:
	flat_store_b64 v[0:1], v[20:21] offset:16384
	s_wait_alu 0xfffe
	s_or_b32 exec_lo, exec_lo, s0
	s_and_saveexec_b32 s0, s10
	s_cbranch_execz .LBB1226_135
.LBB1226_220:
	flat_store_b64 v[0:1], v[22:23] offset:18432
	s_wait_alu 0xfffe
	s_or_b32 exec_lo, exec_lo, s0
	s_and_saveexec_b32 s0, s11
	s_cbranch_execz .LBB1226_136
.LBB1226_221:
	flat_store_b64 v[0:1], v[16:17] offset:20480
	s_wait_alu 0xfffe
	s_or_b32 exec_lo, exec_lo, s0
	s_and_saveexec_b32 s0, s12
	s_cbranch_execz .LBB1226_137
.LBB1226_222:
	flat_store_b64 v[0:1], v[18:19] offset:22528
	s_wait_alu 0xfffe
	s_or_b32 exec_lo, exec_lo, s0
	s_and_saveexec_b32 s0, s13
	s_cbranch_execz .LBB1226_138
.LBB1226_223:
	flat_store_b64 v[0:1], v[12:13] offset:24576
	s_wait_alu 0xfffe
	s_or_b32 exec_lo, exec_lo, s0
	s_and_saveexec_b32 s0, s14
	s_cbranch_execz .LBB1226_139
.LBB1226_224:
	flat_store_b64 v[0:1], v[14:15] offset:26624
	s_wait_alu 0xfffe
	s_or_b32 exec_lo, exec_lo, s0
	s_and_saveexec_b32 s0, s15
	s_cbranch_execz .LBB1226_140
.LBB1226_225:
	flat_store_b64 v[0:1], v[8:9] offset:28672
	s_wait_alu 0xfffe
	s_or_b32 exec_lo, exec_lo, s0
	s_and_saveexec_b32 s0, s16
	s_cbranch_execnz .LBB1226_141
	s_branch .LBB1226_142
.LBB1226_226:
	s_or_b32 exec_lo, exec_lo, s21
	v_lshl_add_u32 v1, v21, 3, v12
	s_barrier_signal -1
	s_barrier_wait -1
	s_wait_loadcnt 0x0
	global_inv scope:SCOPE_SE
	ds_store_b64 v0, v[22:23]
	ds_store_b64 v164, v[26:27]
	;; [unrolled: 1-line block ×8, first 2 shown]
	s_wait_loadcnt_dscnt 0x0
	s_barrier_signal -1
	s_barrier_wait -1
	global_inv scope:SCOPE_SE
	ds_load_2addr_stride64_b64 v[36:39], v1 offset1:4
	ds_load_2addr_stride64_b64 v[32:35], v1 offset0:8 offset1:12
	ds_load_2addr_stride64_b64 v[28:31], v1 offset0:16 offset1:20
	ds_load_2addr_stride64_b64 v[24:27], v1 offset0:24 offset1:28
	s_wait_loadcnt_dscnt 0x0
	s_barrier_signal -1
	s_barrier_wait -1
	global_inv scope:SCOPE_SE
	ds_store_b64 v0, v[4:5]
	ds_store_b64 v164, v[13:14]
	;; [unrolled: 1-line block ×8, first 2 shown]
	s_wait_loadcnt_dscnt 0x0
	s_barrier_signal -1
	s_barrier_wait -1
	global_inv scope:SCOPE_SE
	ds_load_2addr_stride64_b64 v[20:23], v1 offset1:4
	ds_load_2addr_stride64_b64 v[16:19], v1 offset0:8 offset1:12
	ds_load_2addr_stride64_b64 v[12:15], v1 offset0:16 offset1:20
	;; [unrolled: 1-line block ×3, first 2 shown]
	v_mov_b32_e32 v51, 0
	v_add_co_u32 v2, vcc_lo, v2, v48
	s_wait_alu 0xfffd
	v_add_co_ci_u32_e64 v3, null, v3, v49, vcc_lo
	s_delay_alu instid0(VALU_DEP_3)
	v_lshlrev_b64_e32 v[0:1], 3, v[50:51]
	s_wait_loadcnt_dscnt 0x0
	s_barrier_signal -1
	s_barrier_wait -1
	global_inv scope:SCOPE_SE
	v_add_co_u32 v2, vcc_lo, v2, v0
	s_wait_alu 0xfffd
	v_add_co_ci_u32_e64 v3, null, v3, v1, vcc_lo
	v_cmp_lt_u32_e32 vcc_lo, v50, v119
	s_and_saveexec_b32 s1, vcc_lo
	s_cbranch_execz .LBB1226_228
; %bb.227:
	v_cmp_lt_i64_e64 s0, -1, v[36:37]
	v_ashrrev_i32_e32 v4, 31, v37
	s_delay_alu instid0(VALU_DEP_1) | instskip(SKIP_1) | instid1(VALU_DEP_3)
	v_not_b32_e32 v4, v4
	s_wait_alu 0xf1ff
	v_cndmask_b32_e64 v5, 0x80000000, -1, s0
	s_delay_alu instid0(VALU_DEP_2) | instskip(NEXT) | instid1(VALU_DEP_2)
	v_xor_b32_e32 v4, v4, v36
	v_xor_b32_e32 v5, v5, v37
	flat_store_b64 v[2:3], v[4:5]
.LBB1226_228:
	s_wait_alu 0xfffe
	s_or_b32 exec_lo, exec_lo, s1
	v_add_nc_u32_e32 v4, 0x100, v50
	s_delay_alu instid0(VALU_DEP_1)
	v_cmp_lt_u32_e64 s0, v4, v119
	s_and_saveexec_b32 s2, s0
	s_cbranch_execz .LBB1226_230
; %bb.229:
	v_cmp_lt_i64_e64 s1, -1, v[38:39]
	v_ashrrev_i32_e32 v4, 31, v39
	s_delay_alu instid0(VALU_DEP_1) | instskip(SKIP_1) | instid1(VALU_DEP_3)
	v_not_b32_e32 v4, v4
	s_wait_alu 0xf1ff
	v_cndmask_b32_e64 v5, 0x80000000, -1, s1
	s_delay_alu instid0(VALU_DEP_2) | instskip(NEXT) | instid1(VALU_DEP_2)
	v_xor_b32_e32 v4, v4, v38
	v_xor_b32_e32 v5, v5, v39
	flat_store_b64 v[2:3], v[4:5] offset:2048
.LBB1226_230:
	s_wait_alu 0xfffe
	s_or_b32 exec_lo, exec_lo, s2
	v_add_nc_u32_e32 v4, 0x200, v50
	s_delay_alu instid0(VALU_DEP_1)
	v_cmp_lt_u32_e64 s1, v4, v119
	s_and_saveexec_b32 s3, s1
	s_cbranch_execz .LBB1226_232
; %bb.231:
	v_cmp_lt_i64_e64 s2, -1, v[32:33]
	v_ashrrev_i32_e32 v4, 31, v33
	s_delay_alu instid0(VALU_DEP_1) | instskip(SKIP_1) | instid1(VALU_DEP_3)
	v_not_b32_e32 v4, v4
	s_wait_alu 0xf1ff
	v_cndmask_b32_e64 v5, 0x80000000, -1, s2
	s_delay_alu instid0(VALU_DEP_2) | instskip(NEXT) | instid1(VALU_DEP_2)
	v_xor_b32_e32 v4, v4, v32
	v_xor_b32_e32 v5, v5, v33
	flat_store_b64 v[2:3], v[4:5] offset:4096
.LBB1226_232:
	;; [unrolled: 19-line block ×7, first 2 shown]
	s_wait_alu 0xfffe
	s_or_b32 exec_lo, exec_lo, s10
	v_add_co_u32 v2, s7, v6, v48
	s_wait_alu 0xf1ff
	v_add_co_ci_u32_e64 v3, null, v7, v49, s7
	s_delay_alu instid0(VALU_DEP_2) | instskip(SKIP_1) | instid1(VALU_DEP_2)
	v_add_co_u32 v0, s7, v2, v0
	s_wait_alu 0xf1ff
	v_add_co_ci_u32_e64 v1, null, v3, v1, s7
	s_and_saveexec_b32 s7, vcc_lo
	s_cbranch_execnz .LBB1226_292
; %bb.243:
	s_wait_alu 0xfffe
	s_or_b32 exec_lo, exec_lo, s7
	s_and_saveexec_b32 s7, s0
	s_cbranch_execnz .LBB1226_293
.LBB1226_244:
	s_wait_alu 0xfffe
	s_or_b32 exec_lo, exec_lo, s7
	s_and_saveexec_b32 s0, s1
	s_cbranch_execnz .LBB1226_294
.LBB1226_245:
	s_wait_alu 0xfffe
	s_or_b32 exec_lo, exec_lo, s0
	s_and_saveexec_b32 s0, s2
	s_cbranch_execnz .LBB1226_295
.LBB1226_246:
	s_wait_alu 0xfffe
	s_or_b32 exec_lo, exec_lo, s0
	s_and_saveexec_b32 s0, s3
	s_cbranch_execnz .LBB1226_296
.LBB1226_247:
	s_wait_alu 0xfffe
	s_or_b32 exec_lo, exec_lo, s0
	s_and_saveexec_b32 s0, s4
	s_cbranch_execnz .LBB1226_297
.LBB1226_248:
	s_wait_alu 0xfffe
	s_or_b32 exec_lo, exec_lo, s0
	s_and_saveexec_b32 s0, s5
	s_cbranch_execnz .LBB1226_298
.LBB1226_249:
	s_wait_alu 0xfffe
	s_or_b32 exec_lo, exec_lo, s0
	s_and_saveexec_b32 s0, s6
	s_cbranch_execz .LBB1226_251
.LBB1226_250:
	flat_store_b64 v[0:1], v[10:11] offset:14336
.LBB1226_251:
	s_wait_alu 0xfffe
	s_or_b32 exec_lo, exec_lo, s0
                                        ; implicit-def: $vgpr119
                                        ; implicit-def: $vgpr0
                                        ; implicit-def: $vgpr1
                                        ; implicit-def: $vgpr2
                                        ; implicit-def: $vgpr3
                                        ; implicit-def: $vgpr4
                                        ; implicit-def: $vgpr5
                                        ; implicit-def: $vgpr6
                                        ; implicit-def: $vgpr7
                                        ; implicit-def: $vgpr8
                                        ; implicit-def: $vgpr10
                                        ; implicit-def: $vgpr11
                                        ; implicit-def: $vgpr12
                                        ; implicit-def: $vgpr9
                                        ; implicit-def: $vgpr13
                                        ; implicit-def: $vgpr21
                                        ; implicit-def: $vgpr54
.LBB1226_252:
	s_wait_alu 0xfffe
	s_and_not1_saveexec_b32 s0, s19
	s_cbranch_execz .LBB1226_372
; %bb.253:
	s_mov_b32 s0, exec_lo
	v_cmpx_lt_u32_e32 0x200, v119
	s_wait_alu 0xfffe
	s_xor_b32 s19, exec_lo, s0
	s_cbranch_execz .LBB1226_313
; %bb.254:
	s_load_b64 s[0:1], s[8:9], 0x0
	s_and_b32 s2, ttmp7, 0xffff
	s_mov_b32 s3, 0
	v_bfrev_b32_e32 v14, -2
	s_delay_alu instid0(VALU_DEP_1)
	v_mov_b32_e32 v16, v14
	v_mov_b32_e32 v18, v14
	s_wait_kmcnt 0x0
	s_wait_alu 0xfffe
	s_cmp_lt_u32 s2, s1
	s_cselect_b32 s2, 14, 20
	s_cmp_lt_u32 ttmp9, s0
	s_wait_alu 0xfffe
	s_add_nc_u64 s[4:5], s[8:9], s[2:3]
	s_cselect_b32 s2, 12, 18
	s_load_u16 s4, s[4:5], 0x0
	s_add_nc_u64 s[0:1], s[8:9], s[2:3]
	s_load_u16 s0, s[0:1], 0x0
	s_wait_kmcnt 0x0
	v_mad_u32_u24 v9, v13, s4, v9
	s_delay_alu instid0(VALU_DEP_1) | instskip(SKIP_2) | instid1(VALU_DEP_2)
	v_mad_co_u64_u32 v[24:25], null, v9, s0, v[21:22]
	v_dual_mov_b32 v9, 0 :: v_dual_lshlrev_b32 v22, 3, v54
	v_mov_b32_e32 v13, -1
	v_lshlrev_b64_e32 v[26:27], 3, v[8:9]
	s_delay_alu instid0(VALU_DEP_2) | instskip(SKIP_2) | instid1(VALU_DEP_4)
	v_dual_mov_b32 v19, v13 :: v_dual_lshlrev_b32 v8, 2, v24
	v_mov_b32_e32 v15, v13
	v_mov_b32_e32 v17, v13
	v_add_co_u32 v20, vcc_lo, v0, v26
	s_delay_alu instid0(VALU_DEP_4) | instskip(SKIP_2) | instid1(VALU_DEP_2)
	v_and_b32_e32 v8, 0xffffff80, v8
	s_wait_alu 0xfffd
	v_add_co_ci_u32_e64 v25, null, v1, v27, vcc_lo
	v_lshlrev_b64_e32 v[0:1], 3, v[8:9]
	v_or_b32_e32 v23, v8, v54
	v_add_co_u32 v8, vcc_lo, v20, v22
	s_wait_alu 0xfffd
	v_add_co_ci_u32_e64 v9, null, 0, v25, vcc_lo
	s_delay_alu instid0(VALU_DEP_3) | instskip(NEXT) | instid1(VALU_DEP_3)
	v_cmp_lt_u32_e32 vcc_lo, v23, v119
	v_add_co_u32 v8, s0, v8, v0
	s_wait_alu 0xf1ff
	s_delay_alu instid0(VALU_DEP_3)
	v_add_co_ci_u32_e64 v9, null, v9, v1, s0
	v_mov_b32_e32 v20, v14
	s_and_saveexec_b32 s0, vcc_lo
	s_cbranch_execz .LBB1226_256
; %bb.255:
	flat_load_b64 v[28:29], v[8:9]
	v_dual_mov_b32 v30, v13 :: v_dual_mov_b32 v31, v14
	v_dual_mov_b32 v32, v13 :: v_dual_mov_b32 v33, v14
	;; [unrolled: 1-line block ×3, first 2 shown]
	s_wait_loadcnt_dscnt 0x0
	v_dual_mov_b32 v13, v28 :: v_dual_mov_b32 v14, v29
	v_dual_mov_b32 v15, v30 :: v_dual_mov_b32 v16, v31
	;; [unrolled: 1-line block ×4, first 2 shown]
.LBB1226_256:
	s_wait_alu 0xfffe
	s_or_b32 exec_lo, exec_lo, s0
	v_or_b32_e32 v25, 32, v23
	s_delay_alu instid0(VALU_DEP_1)
	v_cmp_lt_u32_e64 s0, v25, v119
	s_and_saveexec_b32 s1, s0
	s_cbranch_execz .LBB1226_258
; %bb.257:
	flat_load_b64 v[15:16], v[8:9] offset:256
.LBB1226_258:
	s_wait_alu 0xfffe
	s_or_b32 exec_lo, exec_lo, s1
	v_or_b32_e32 v25, 64, v23
	s_delay_alu instid0(VALU_DEP_1)
	v_cmp_lt_u32_e64 s1, v25, v119
	s_and_saveexec_b32 s2, s1
	s_cbranch_execz .LBB1226_260
; %bb.259:
	flat_load_b64 v[17:18], v[8:9] offset:512
.LBB1226_260:
	;; [unrolled: 10-line block ×3, first 2 shown]
	s_wait_alu 0xfffe
	s_or_b32 exec_lo, exec_lo, s3
	v_add_co_u32 v4, s3, v4, v26
	s_wait_alu 0xf1ff
	v_add_co_ci_u32_e64 v5, null, v5, v27, s3
                                        ; implicit-def: $vgpr32_vgpr33
	s_delay_alu instid0(VALU_DEP_2) | instskip(SKIP_1) | instid1(VALU_DEP_2)
	v_add_co_u32 v4, s3, v4, v22
	s_wait_alu 0xf1ff
	v_add_co_ci_u32_e64 v5, null, 0, v5, s3
	s_delay_alu instid0(VALU_DEP_2) | instskip(SKIP_1) | instid1(VALU_DEP_2)
	v_add_co_u32 v0, s3, v4, v0
	s_wait_alu 0xf1ff
	v_add_co_ci_u32_e64 v1, null, v5, v1, s3
	s_and_saveexec_b32 s3, vcc_lo
	s_cbranch_execnz .LBB1226_337
; %bb.263:
	s_wait_alu 0xfffe
	s_or_b32 exec_lo, exec_lo, s3
                                        ; implicit-def: $vgpr34_vgpr35
	s_and_saveexec_b32 s3, s0
	s_cbranch_execnz .LBB1226_338
.LBB1226_264:
	s_wait_alu 0xfffe
	s_or_b32 exec_lo, exec_lo, s3
                                        ; implicit-def: $vgpr36_vgpr37
	s_and_saveexec_b32 s0, s1
	s_cbranch_execnz .LBB1226_339
.LBB1226_265:
	s_wait_alu 0xfffe
	s_or_b32 exec_lo, exec_lo, s0
                                        ; implicit-def: $vgpr22_vgpr23
	s_and_saveexec_b32 s0, s2
	s_cbranch_execz .LBB1226_267
.LBB1226_266:
	flat_load_b64 v[22:23], v[0:1] offset:768
.LBB1226_267:
	s_wait_alu 0xfffe
	s_or_b32 exec_lo, exec_lo, s0
	v_cmp_lt_i64_e32 vcc_lo, -1, v[13:14]
	s_wait_loadcnt_dscnt 0x0
	v_ashrrev_i32_e32 v4, 31, v16
	v_ashrrev_i32_e32 v1, 31, v14
	s_getpc_b64 s[0:1]
	s_wait_alu 0xfffe
	s_sext_i32_i16 s1, s1
	s_add_co_u32 s0, s0, _ZN7rocprim17ROCPRIM_400000_NS16block_radix_sortIdLj256ELj4ElLj1ELj1ELj8ELNS0_26block_radix_rank_algorithmE2ELNS0_18block_padding_hintE2ELNS0_4arch9wavefront6targetE0EE19radix_bits_per_passE@rel32@lo+12
	s_wait_alu 0xfffe
	s_add_co_ci_u32 s1, s1, _ZN7rocprim17ROCPRIM_400000_NS16block_radix_sortIdLj256ELj4ElLj1ELj1ELj8ELNS0_26block_radix_rank_algorithmE2ELNS0_18block_padding_hintE2ELNS0_4arch9wavefront6targetE0EE19radix_bits_per_passE@rel32@hi+24
	v_and_b32_e32 v8, 7, v54
	s_load_b32 s20, s[0:1], 0x0
	v_cndmask_b32_e64 v0, -1, 0x80000000, vcc_lo
	v_cmp_lt_i64_e32 vcc_lo, -1, v[15:16]
	v_xor_b32_e32 v38, v4, v15
	v_ashrrev_i32_e32 v4, 31, v20
	v_xor_b32_e32 v50, v1, v13
	v_xor_b32_e32 v51, v0, v14
	v_lshrrev_b32_e32 v70, 5, v24
	s_wait_alu 0xfffd
	v_cndmask_b32_e64 v0, -1, 0x80000000, vcc_lo
	v_cmp_lt_i64_e32 vcc_lo, -1, v[17:18]
	v_xor_b32_e32 v52, v4, v19
	v_and_b32_e32 v4, 16, v54
	v_cmp_lt_u32_e64 s7, 31, v21
	v_xor_b32_e32 v39, v0, v16
	v_ashrrev_i32_e32 v0, 31, v18
	s_wait_alu 0xfffd
	v_cndmask_b32_e64 v5, -1, 0x80000000, vcc_lo
	v_cmp_lt_i64_e32 vcc_lo, -1, v[19:20]
	v_cmp_eq_u32_e64 s4, 0, v4
	v_lshlrev_b32_e32 v4, 2, v21
	v_xor_b32_e32 v48, v0, v17
	v_and_b32_e32 v0, 0x3e0, v21
	v_xor_b32_e32 v49, v5, v18
	v_lshl_add_u32 v5, v21, 5, v12
	s_wait_alu 0xfffd
	v_cndmask_b32_e64 v1, -1, 0x80000000, vcc_lo
	v_cmp_eq_u32_e64 s10, 0, v21
	v_min_u32_e32 v0, 0xe0, v0
	v_add_nc_u32_e32 v80, v12, v4
	v_add_nc_u32_e32 v25, 32, v5
	;; [unrolled: 1-line block ×9, first 2 shown]
	v_or_b32_e32 v0, 31, v0
	v_sub_co_u32 v5, s2, v54, 1
	v_xor_b32_e32 v53, v1, v20
	v_and_b32_e32 v1, 15, v54
	s_delay_alu instid0(VALU_DEP_4)
	v_cmp_eq_u32_e64 s5, v21, v0
	v_lshrrev_b32_e32 v0, 3, v21
	v_cmp_gt_i32_e64 s6, 0, v5
	v_cmp_eq_u32_e64 s11, 0, v8
	v_cmp_eq_u32_e32 vcc_lo, 0, v1
	v_cmp_lt_u32_e64 s0, 1, v1
	v_cmp_lt_u32_e64 s1, 3, v1
	;; [unrolled: 1-line block ×3, first 2 shown]
	s_wait_alu 0xf1ff
	v_cndmask_b32_e64 v1, v5, v54, s6
	v_and_b32_e32 v0, 0x7c, v0
	v_and_or_b32 v5, 0xf80, v4, v54
	v_cmp_gt_u32_e64 s6, 8, v21
	v_cmp_lt_u32_e64 s12, 1, v8
	v_lshlrev_b32_e32 v71, 2, v1
	v_add_nc_u32_e32 v54, v12, v0
	v_lshl_add_u32 v81, v5, 3, v12
	v_mov_b32_e32 v1, 0
	v_cmp_lt_u32_e64 s13, 3, v8
	v_sub_nc_u32_e32 v86, v11, v10
	v_add_nc_u32_e32 v82, -4, v54
	v_add_nc_u32_e32 v83, 0x100, v81
	v_add_nc_u32_e32 v84, 0x200, v81
	;; [unrolled: 1-line block ×3, first 2 shown]
	s_mov_b32 s16, -1
	s_brev_b32 s17, -2
	s_mov_b32 s21, 0
	s_wait_storecnt 0x0
	s_barrier_signal -1
	s_barrier_wait -1
	global_inv scope:SCOPE_SE
	s_branch .LBB1226_269
.LBB1226_268:                           ;   in Loop: Header=BB1226_269 Depth=1
	s_wait_alu 0xfffe
	s_or_b32 exec_lo, exec_lo, s15
	s_delay_alu instid0(SALU_CYCLE_1)
	s_and_b32 s14, exec_lo, s22
	s_wait_alu 0xfffe
	s_or_b32 s21, s14, s21
	s_wait_alu 0xfffe
	s_and_not1_b32 exec_lo, exec_lo, s21
	s_cbranch_execz .LBB1226_299
.LBB1226_269:                           ; =>This Inner Loop Header: Depth=1
	v_dual_mov_b32 v4, v50 :: v_dual_mov_b32 v5, v51
	s_wait_kmcnt 0x0
	v_min_u32_e32 v0, s20, v86
	v_dual_mov_b32 v28, v32 :: v_dual_mov_b32 v13, v34
	v_mov_b32_e32 v14, v35
	s_wait_alu 0xfffe
	v_cmp_ne_u64_e64 s14, s[16:17], v[4:5]
	v_lshlrev_b32_e64 v0, v0, -1
	v_dual_mov_b32 v15, v52 :: v_dual_mov_b32 v16, v53
	v_dual_mov_b32 v17, v48 :: v_dual_mov_b32 v18, v49
	s_wait_alu 0xf1ff
	s_delay_alu instid0(VALU_DEP_4)
	v_cndmask_b32_e64 v9, 0x80000000, v5, s14
	v_cndmask_b32_e64 v8, 0, v4, s14
	v_not_b32_e32 v50, v0
	ds_store_b32 v25, v1
	ds_store_b32 v55, v1
	;; [unrolled: 1-line block ×6, first 2 shown]
	v_lshrrev_b64 v[8:9], v10, v[8:9]
	ds_store_b32 v68, v1
	ds_store_b32 v69, v1
	s_wait_loadcnt_dscnt 0x0
	v_dual_mov_b32 v19, v38 :: v_dual_mov_b32 v20, v39
	v_dual_mov_b32 v29, v33 :: v_dual_and_b32 v0, v8, v50
	v_dual_mov_b32 v8, v36 :: v_dual_mov_b32 v9, v37
	s_barrier_signal -1
	s_barrier_wait -1
	s_delay_alu instid0(VALU_DEP_2)
	v_and_b32_e32 v30, 1, v0
	v_lshlrev_b32_e32 v31, 30, v0
	v_lshlrev_b32_e32 v32, 29, v0
	v_lshlrev_b32_e32 v33, 28, v0
	v_lshlrev_b32_e32 v35, 27, v0
	v_add_co_u32 v30, s14, v30, -1
	s_wait_alu 0xf1ff
	v_cndmask_b32_e64 v34, 0, 1, s14
	v_not_b32_e32 v38, v31
	v_cmp_gt_i32_e64 s15, 0, v31
	v_not_b32_e32 v31, v32
	v_lshlrev_b32_e32 v36, 26, v0
	v_cmp_ne_u32_e64 s14, 0, v34
	v_ashrrev_i32_e32 v38, 31, v38
	v_lshlrev_b32_e32 v37, 25, v0
	v_ashrrev_i32_e32 v31, 31, v31
	v_lshlrev_b32_e32 v34, 24, v0
	s_wait_alu 0xf1ff
	v_xor_b32_e32 v30, s14, v30
	v_cmp_gt_i32_e64 s14, 0, v32
	v_not_b32_e32 v32, v33
	v_xor_b32_e32 v38, s15, v38
	v_cmp_gt_i32_e64 s15, 0, v33
	v_and_b32_e32 v30, exec_lo, v30
	v_not_b32_e32 v33, v35
	v_ashrrev_i32_e32 v32, 31, v32
	s_wait_alu 0xf1ff
	v_xor_b32_e32 v31, s14, v31
	v_cmp_gt_i32_e64 s14, 0, v35
	v_and_b32_e32 v30, v30, v38
	v_not_b32_e32 v35, v36
	v_ashrrev_i32_e32 v33, 31, v33
	v_xor_b32_e32 v32, s15, v32
	v_cmp_gt_i32_e64 s15, 0, v36
	v_and_b32_e32 v30, v30, v31
	v_not_b32_e32 v31, v37
	v_ashrrev_i32_e32 v35, 31, v35
	s_wait_alu 0xf1ff
	v_xor_b32_e32 v33, s14, v33
	v_cmp_gt_i32_e64 s14, 0, v37
	v_and_b32_e32 v30, v30, v32
	v_not_b32_e32 v32, v34
	v_ashrrev_i32_e32 v36, 31, v31
	v_xor_b32_e32 v35, s15, v35
	v_cmp_gt_i32_e64 s15, 0, v34
	v_and_b32_e32 v33, v30, v33
	v_dual_mov_b32 v31, v23 :: v_dual_mov_b32 v30, v22
	v_ashrrev_i32_e32 v22, 31, v32
	s_wait_alu 0xf1ff
	v_xor_b32_e32 v23, s14, v36
	v_and_b32_e32 v32, v33, v35
	v_lshl_add_u32 v0, v0, 3, v70
	global_inv scope:SCOPE_SE
	v_xor_b32_e32 v22, s15, v22
	v_and_b32_e32 v23, v32, v23
	v_lshlrev_b64_e32 v[32:33], 2, v[0:1]
	; wave barrier
	s_delay_alu instid0(VALU_DEP_2) | instskip(NEXT) | instid1(VALU_DEP_2)
	v_and_b32_e32 v23, v23, v22
	v_add_co_u32 v22, null, v12, v32
	s_delay_alu instid0(VALU_DEP_2) | instskip(SKIP_1) | instid1(VALU_DEP_3)
	v_mbcnt_lo_u32_b32 v0, v23, 0
	v_cmp_ne_u32_e64 s15, 0, v23
	v_add_co_u32 v22, null, v22, 32
	s_delay_alu instid0(VALU_DEP_3)
	v_cmp_eq_u32_e64 s14, 0, v0
	s_and_b32 s15, s15, s14
	s_wait_alu 0xfffe
	s_and_saveexec_b32 s14, s15
; %bb.270:                              ;   in Loop: Header=BB1226_269 Depth=1
	v_bcnt_u32_b32 v23, v23, 0
	ds_store_b32 v22, v23
; %bb.271:                              ;   in Loop: Header=BB1226_269 Depth=1
	s_wait_alu 0xfffe
	s_or_b32 exec_lo, exec_lo, s14
	v_cmp_ne_u64_e64 s14, s[16:17], v[19:20]
	; wave barrier
	s_wait_alu 0xf1ff
	s_delay_alu instid0(VALU_DEP_1) | instskip(SKIP_1) | instid1(VALU_DEP_1)
	v_cndmask_b32_e64 v33, 0x80000000, v20, s14
	v_cndmask_b32_e64 v32, 0, v19, s14
	v_lshrrev_b64 v[32:33], v10, v[32:33]
	s_delay_alu instid0(VALU_DEP_1) | instskip(NEXT) | instid1(VALU_DEP_1)
	v_and_b32_e32 v23, v32, v50
	v_and_b32_e32 v32, 1, v23
	v_lshlrev_b32_e32 v33, 30, v23
	v_lshlrev_b32_e32 v34, 29, v23
	;; [unrolled: 1-line block ×4, first 2 shown]
	v_add_co_u32 v32, s14, v32, -1
	s_wait_alu 0xf1ff
	v_cndmask_b32_e64 v36, 0, 1, s14
	v_not_b32_e32 v48, v33
	v_cmp_gt_i32_e64 s15, 0, v33
	v_not_b32_e32 v33, v34
	v_lshlrev_b32_e32 v38, 26, v23
	v_cmp_ne_u32_e64 s14, 0, v36
	v_ashrrev_i32_e32 v48, 31, v48
	v_lshlrev_b32_e32 v39, 25, v23
	v_ashrrev_i32_e32 v33, 31, v33
	v_lshlrev_b32_e32 v36, 24, v23
	s_wait_alu 0xf1ff
	v_xor_b32_e32 v32, s14, v32
	v_cmp_gt_i32_e64 s14, 0, v34
	v_not_b32_e32 v34, v35
	v_xor_b32_e32 v48, s15, v48
	v_cmp_gt_i32_e64 s15, 0, v35
	v_and_b32_e32 v32, exec_lo, v32
	v_not_b32_e32 v35, v37
	v_ashrrev_i32_e32 v34, 31, v34
	s_wait_alu 0xf1ff
	v_xor_b32_e32 v33, s14, v33
	v_cmp_gt_i32_e64 s14, 0, v37
	v_and_b32_e32 v32, v32, v48
	v_not_b32_e32 v37, v38
	v_ashrrev_i32_e32 v35, 31, v35
	v_xor_b32_e32 v34, s15, v34
	v_cmp_gt_i32_e64 s15, 0, v38
	v_and_b32_e32 v32, v32, v33
	v_not_b32_e32 v33, v39
	v_ashrrev_i32_e32 v37, 31, v37
	s_wait_alu 0xf1ff
	v_xor_b32_e32 v35, s14, v35
	v_cmp_gt_i32_e64 s14, 0, v39
	v_and_b32_e32 v32, v32, v34
	v_not_b32_e32 v34, v36
	v_ashrrev_i32_e32 v33, 31, v33
	v_xor_b32_e32 v37, s15, v37
	v_lshl_add_u32 v23, v23, 3, v70
	v_and_b32_e32 v32, v32, v35
	v_cmp_gt_i32_e64 s15, 0, v36
	v_ashrrev_i32_e32 v34, 31, v34
	s_wait_alu 0xf1ff
	v_xor_b32_e32 v33, s14, v33
	v_lshl_add_u32 v35, v23, 2, v12
	v_and_b32_e32 v32, v32, v37
	v_xor_b32_e32 v34, s15, v34
	ds_load_b32 v23, v35 offset:32
	v_and_b32_e32 v32, v32, v33
	v_add_nc_u32_e32 v33, 32, v35
	; wave barrier
	s_delay_alu instid0(VALU_DEP_2) | instskip(NEXT) | instid1(VALU_DEP_1)
	v_and_b32_e32 v34, v32, v34
	v_mbcnt_lo_u32_b32 v32, v34, 0
	v_cmp_ne_u32_e64 s15, 0, v34
	s_delay_alu instid0(VALU_DEP_2)
	v_cmp_eq_u32_e64 s14, 0, v32
	s_and_b32 s15, s15, s14
	s_wait_alu 0xfffe
	s_and_saveexec_b32 s14, s15
	s_cbranch_execz .LBB1226_273
; %bb.272:                              ;   in Loop: Header=BB1226_269 Depth=1
	s_wait_dscnt 0x0
	v_bcnt_u32_b32 v34, v34, v23
	ds_store_b32 v33, v34
.LBB1226_273:                           ;   in Loop: Header=BB1226_269 Depth=1
	s_wait_alu 0xfffe
	s_or_b32 exec_lo, exec_lo, s14
	v_cmp_ne_u64_e64 s14, s[16:17], v[17:18]
	; wave barrier
	s_wait_alu 0xf1ff
	s_delay_alu instid0(VALU_DEP_1) | instskip(SKIP_1) | instid1(VALU_DEP_1)
	v_cndmask_b32_e64 v35, 0x80000000, v18, s14
	v_cndmask_b32_e64 v34, 0, v17, s14
	v_lshrrev_b64 v[34:35], v10, v[34:35]
	s_delay_alu instid0(VALU_DEP_1) | instskip(NEXT) | instid1(VALU_DEP_1)
	v_and_b32_e32 v34, v34, v50
	v_and_b32_e32 v35, 1, v34
	v_lshlrev_b32_e32 v36, 30, v34
	v_lshlrev_b32_e32 v37, 29, v34
	;; [unrolled: 1-line block ×4, first 2 shown]
	v_add_co_u32 v35, s14, v35, -1
	s_wait_alu 0xf1ff
	v_cndmask_b32_e64 v39, 0, 1, s14
	v_not_b32_e32 v52, v36
	v_cmp_gt_i32_e64 s15, 0, v36
	v_not_b32_e32 v36, v37
	v_lshlrev_b32_e32 v49, 26, v34
	v_cmp_ne_u32_e64 s14, 0, v39
	v_ashrrev_i32_e32 v52, 31, v52
	v_lshlrev_b32_e32 v51, 25, v34
	v_ashrrev_i32_e32 v36, 31, v36
	v_lshlrev_b32_e32 v39, 24, v34
	s_wait_alu 0xf1ff
	v_xor_b32_e32 v35, s14, v35
	v_cmp_gt_i32_e64 s14, 0, v37
	v_not_b32_e32 v37, v38
	v_xor_b32_e32 v52, s15, v52
	v_cmp_gt_i32_e64 s15, 0, v38
	v_and_b32_e32 v35, exec_lo, v35
	v_not_b32_e32 v38, v48
	v_ashrrev_i32_e32 v37, 31, v37
	s_wait_alu 0xf1ff
	v_xor_b32_e32 v36, s14, v36
	v_cmp_gt_i32_e64 s14, 0, v48
	v_and_b32_e32 v35, v35, v52
	v_not_b32_e32 v48, v49
	v_ashrrev_i32_e32 v38, 31, v38
	v_xor_b32_e32 v37, s15, v37
	v_cmp_gt_i32_e64 s15, 0, v49
	v_and_b32_e32 v35, v35, v36
	v_not_b32_e32 v36, v51
	v_ashrrev_i32_e32 v48, 31, v48
	s_wait_alu 0xf1ff
	v_xor_b32_e32 v38, s14, v38
	v_cmp_gt_i32_e64 s14, 0, v51
	v_and_b32_e32 v35, v35, v37
	v_not_b32_e32 v37, v39
	v_ashrrev_i32_e32 v36, 31, v36
	v_xor_b32_e32 v48, s15, v48
	v_lshl_add_u32 v34, v34, 3, v70
	v_and_b32_e32 v35, v35, v38
	v_cmp_gt_i32_e64 s15, 0, v39
	v_ashrrev_i32_e32 v37, 31, v37
	s_wait_alu 0xf1ff
	v_xor_b32_e32 v36, s14, v36
	v_lshl_add_u32 v38, v34, 2, v12
	v_and_b32_e32 v35, v35, v48
	v_xor_b32_e32 v37, s15, v37
	ds_load_b32 v34, v38 offset:32
	v_and_b32_e32 v35, v35, v36
	v_add_nc_u32_e32 v36, 32, v38
	; wave barrier
	s_delay_alu instid0(VALU_DEP_2) | instskip(NEXT) | instid1(VALU_DEP_1)
	v_and_b32_e32 v37, v35, v37
	v_mbcnt_lo_u32_b32 v35, v37, 0
	v_cmp_ne_u32_e64 s15, 0, v37
	s_delay_alu instid0(VALU_DEP_2)
	v_cmp_eq_u32_e64 s14, 0, v35
	s_and_b32 s15, s15, s14
	s_wait_alu 0xfffe
	s_and_saveexec_b32 s14, s15
	s_cbranch_execz .LBB1226_275
; %bb.274:                              ;   in Loop: Header=BB1226_269 Depth=1
	s_wait_dscnt 0x0
	v_bcnt_u32_b32 v37, v37, v34
	ds_store_b32 v36, v37
.LBB1226_275:                           ;   in Loop: Header=BB1226_269 Depth=1
	s_wait_alu 0xfffe
	s_or_b32 exec_lo, exec_lo, s14
	v_cmp_ne_u64_e64 s14, s[16:17], v[15:16]
	; wave barrier
	s_wait_alu 0xf1ff
	s_delay_alu instid0(VALU_DEP_1) | instskip(SKIP_1) | instid1(VALU_DEP_1)
	v_cndmask_b32_e64 v38, 0x80000000, v16, s14
	v_cndmask_b32_e64 v37, 0, v15, s14
	v_lshrrev_b64 v[37:38], v10, v[37:38]
	s_delay_alu instid0(VALU_DEP_1) | instskip(NEXT) | instid1(VALU_DEP_1)
	v_and_b32_e32 v37, v37, v50
	v_and_b32_e32 v38, 1, v37
	v_lshlrev_b32_e32 v39, 30, v37
	v_lshlrev_b32_e32 v48, 29, v37
	;; [unrolled: 1-line block ×4, first 2 shown]
	v_add_co_u32 v38, s14, v38, -1
	s_wait_alu 0xf1ff
	v_cndmask_b32_e64 v50, 0, 1, s14
	v_not_b32_e32 v87, v39
	v_cmp_gt_i32_e64 s15, 0, v39
	v_not_b32_e32 v39, v48
	v_lshlrev_b32_e32 v52, 26, v37
	v_cmp_ne_u32_e64 s14, 0, v50
	v_ashrrev_i32_e32 v87, 31, v87
	v_lshlrev_b32_e32 v53, 25, v37
	v_ashrrev_i32_e32 v39, 31, v39
	v_lshlrev_b32_e32 v50, 24, v37
	s_wait_alu 0xf1ff
	v_xor_b32_e32 v38, s14, v38
	v_cmp_gt_i32_e64 s14, 0, v48
	v_not_b32_e32 v48, v49
	v_xor_b32_e32 v87, s15, v87
	v_cmp_gt_i32_e64 s15, 0, v49
	v_and_b32_e32 v38, exec_lo, v38
	v_not_b32_e32 v49, v51
	v_ashrrev_i32_e32 v48, 31, v48
	s_wait_alu 0xf1ff
	v_xor_b32_e32 v39, s14, v39
	v_cmp_gt_i32_e64 s14, 0, v51
	v_and_b32_e32 v38, v38, v87
	v_not_b32_e32 v51, v52
	v_ashrrev_i32_e32 v49, 31, v49
	v_xor_b32_e32 v48, s15, v48
	v_cmp_gt_i32_e64 s15, 0, v52
	v_and_b32_e32 v38, v38, v39
	v_not_b32_e32 v39, v53
	v_ashrrev_i32_e32 v51, 31, v51
	s_wait_alu 0xf1ff
	v_xor_b32_e32 v49, s14, v49
	v_cmp_gt_i32_e64 s14, 0, v53
	v_and_b32_e32 v38, v38, v48
	v_not_b32_e32 v48, v50
	v_ashrrev_i32_e32 v39, 31, v39
	v_xor_b32_e32 v51, s15, v51
	v_lshl_add_u32 v37, v37, 3, v70
	v_and_b32_e32 v38, v38, v49
	v_cmp_gt_i32_e64 s15, 0, v50
	v_ashrrev_i32_e32 v48, 31, v48
	s_wait_alu 0xf1ff
	v_xor_b32_e32 v39, s14, v39
	v_lshl_add_u32 v49, v37, 2, v12
	v_and_b32_e32 v38, v38, v51
	v_xor_b32_e32 v48, s15, v48
	ds_load_b32 v37, v49 offset:32
	v_and_b32_e32 v38, v38, v39
	v_add_nc_u32_e32 v39, 32, v49
	; wave barrier
	s_delay_alu instid0(VALU_DEP_2) | instskip(NEXT) | instid1(VALU_DEP_1)
	v_and_b32_e32 v48, v38, v48
	v_mbcnt_lo_u32_b32 v38, v48, 0
	v_cmp_ne_u32_e64 s15, 0, v48
	s_delay_alu instid0(VALU_DEP_2)
	v_cmp_eq_u32_e64 s14, 0, v38
	s_and_b32 s15, s15, s14
	s_wait_alu 0xfffe
	s_and_saveexec_b32 s14, s15
	s_cbranch_execz .LBB1226_277
; %bb.276:                              ;   in Loop: Header=BB1226_269 Depth=1
	s_wait_dscnt 0x0
	v_bcnt_u32_b32 v48, v48, v37
	ds_store_b32 v39, v48
.LBB1226_277:                           ;   in Loop: Header=BB1226_269 Depth=1
	s_wait_alu 0xfffe
	s_or_b32 exec_lo, exec_lo, s14
	; wave barrier
	s_wait_loadcnt_dscnt 0x0
	s_barrier_signal -1
	s_barrier_wait -1
	global_inv scope:SCOPE_SE
	ds_load_b32 v49, v25
	ds_load_b32 v50, v55
	;; [unrolled: 1-line block ×8, first 2 shown]
	s_wait_dscnt 0x6
	v_add_nc_u32_e32 v97, v50, v49
	s_wait_dscnt 0x4
	s_delay_alu instid0(VALU_DEP_1) | instskip(SKIP_1) | instid1(VALU_DEP_1)
	v_add3_u32 v97, v97, v51, v52
	s_wait_dscnt 0x2
	v_add3_u32 v97, v97, v53, v87
	s_wait_dscnt 0x0
	s_delay_alu instid0(VALU_DEP_1) | instskip(NEXT) | instid1(VALU_DEP_1)
	v_add3_u32 v96, v97, v48, v96
	v_mov_b32_dpp v97, v96 row_shr:1 row_mask:0xf bank_mask:0xf
	s_wait_alu 0xfffd
	s_delay_alu instid0(VALU_DEP_1) | instskip(NEXT) | instid1(VALU_DEP_1)
	v_cndmask_b32_e64 v97, v97, 0, vcc_lo
	v_add_nc_u32_e32 v96, v97, v96
	s_delay_alu instid0(VALU_DEP_1) | instskip(NEXT) | instid1(VALU_DEP_1)
	v_mov_b32_dpp v97, v96 row_shr:2 row_mask:0xf bank_mask:0xf
	v_cndmask_b32_e64 v97, 0, v97, s0
	s_delay_alu instid0(VALU_DEP_1) | instskip(NEXT) | instid1(VALU_DEP_1)
	v_add_nc_u32_e32 v96, v96, v97
	v_mov_b32_dpp v97, v96 row_shr:4 row_mask:0xf bank_mask:0xf
	s_delay_alu instid0(VALU_DEP_1) | instskip(NEXT) | instid1(VALU_DEP_1)
	v_cndmask_b32_e64 v97, 0, v97, s1
	v_add_nc_u32_e32 v96, v96, v97
	s_delay_alu instid0(VALU_DEP_1) | instskip(NEXT) | instid1(VALU_DEP_1)
	v_mov_b32_dpp v97, v96 row_shr:8 row_mask:0xf bank_mask:0xf
	v_cndmask_b32_e64 v97, 0, v97, s3
	s_delay_alu instid0(VALU_DEP_1) | instskip(SKIP_3) | instid1(VALU_DEP_1)
	v_add_nc_u32_e32 v96, v96, v97
	ds_swizzle_b32 v97, v96 offset:swizzle(BROADCAST,32,15)
	s_wait_dscnt 0x0
	v_cndmask_b32_e64 v97, v97, 0, s4
	v_add_nc_u32_e32 v96, v96, v97
	s_and_saveexec_b32 s14, s5
; %bb.278:                              ;   in Loop: Header=BB1226_269 Depth=1
	ds_store_b32 v54, v96
; %bb.279:                              ;   in Loop: Header=BB1226_269 Depth=1
	s_wait_alu 0xfffe
	s_or_b32 exec_lo, exec_lo, s14
	s_wait_loadcnt_dscnt 0x0
	s_barrier_signal -1
	s_barrier_wait -1
	global_inv scope:SCOPE_SE
	s_and_saveexec_b32 s14, s6
	s_cbranch_execz .LBB1226_281
; %bb.280:                              ;   in Loop: Header=BB1226_269 Depth=1
	ds_load_b32 v97, v80
	s_wait_dscnt 0x0
	v_mov_b32_dpp v98, v97 row_shr:1 row_mask:0xf bank_mask:0xf
	s_delay_alu instid0(VALU_DEP_1) | instskip(NEXT) | instid1(VALU_DEP_1)
	v_cndmask_b32_e64 v98, v98, 0, s11
	v_add_nc_u32_e32 v97, v98, v97
	s_delay_alu instid0(VALU_DEP_1) | instskip(NEXT) | instid1(VALU_DEP_1)
	v_mov_b32_dpp v98, v97 row_shr:2 row_mask:0xf bank_mask:0xf
	v_cndmask_b32_e64 v98, 0, v98, s12
	s_delay_alu instid0(VALU_DEP_1) | instskip(NEXT) | instid1(VALU_DEP_1)
	v_add_nc_u32_e32 v97, v97, v98
	v_mov_b32_dpp v98, v97 row_shr:4 row_mask:0xf bank_mask:0xf
	s_delay_alu instid0(VALU_DEP_1) | instskip(NEXT) | instid1(VALU_DEP_1)
	v_cndmask_b32_e64 v98, 0, v98, s13
	v_add_nc_u32_e32 v97, v97, v98
	ds_store_b32 v80, v97
.LBB1226_281:                           ;   in Loop: Header=BB1226_269 Depth=1
	s_wait_alu 0xfffe
	s_or_b32 exec_lo, exec_lo, s14
	v_mov_b32_e32 v97, 0
	s_wait_loadcnt_dscnt 0x0
	s_barrier_signal -1
	s_barrier_wait -1
	global_inv scope:SCOPE_SE
	s_and_saveexec_b32 s14, s7
; %bb.282:                              ;   in Loop: Header=BB1226_269 Depth=1
	ds_load_b32 v97, v82
; %bb.283:                              ;   in Loop: Header=BB1226_269 Depth=1
	s_wait_alu 0xfffe
	s_or_b32 exec_lo, exec_lo, s14
	s_wait_dscnt 0x0
	v_add_nc_u32_e32 v96, v97, v96
	v_add_nc_u32_e32 v10, 8, v10
	s_mov_b32 s22, -1
	s_mov_b32 s15, exec_lo
	ds_bpermute_b32 v96, v71, v96
	s_wait_dscnt 0x0
	v_cndmask_b32_e64 v96, v96, v97, s2
	s_delay_alu instid0(VALU_DEP_1) | instskip(NEXT) | instid1(VALU_DEP_1)
	v_cndmask_b32_e64 v96, v96, 0, s10
	v_add_nc_u32_e32 v49, v96, v49
	s_delay_alu instid0(VALU_DEP_1) | instskip(SKIP_4) | instid1(VALU_DEP_1)
	v_add_nc_u32_e32 v50, v49, v50
	ds_store_b32 v25, v96
	ds_store_b32 v55, v49
	;; [unrolled: 1-line block ×3, first 2 shown]
	v_add_nc_u32_e32 v51, v50, v51
	v_add_nc_u32_e32 v52, v51, v52
	s_delay_alu instid0(VALU_DEP_1) | instskip(NEXT) | instid1(VALU_DEP_1)
	v_add_nc_u32_e32 v53, v52, v53
	v_add_nc_u32_e32 v87, v53, v87
	s_delay_alu instid0(VALU_DEP_1)
	v_add_nc_u32_e32 v48, v87, v48
	ds_store_b32 v65, v51
	ds_store_b32 v66, v52
	;; [unrolled: 1-line block ×5, first 2 shown]
	s_wait_loadcnt_dscnt 0x0
	s_barrier_signal -1
	s_barrier_wait -1
	global_inv scope:SCOPE_SE
	ds_load_b32 v22, v22
	ds_load_b32 v48, v33
	;; [unrolled: 1-line block ×4, first 2 shown]
	v_dual_mov_b32 v33, v1 :: v_dual_mov_b32 v36, v1
	v_mov_b32_e32 v39, v1
                                        ; implicit-def: $vgpr52_vgpr53
	s_wait_loadcnt_dscnt 0x0
	v_add_nc_u32_e32 v0, v22, v0
	v_add3_u32 v32, v32, v23, v48
	v_add3_u32 v35, v35, v34, v49
	;; [unrolled: 1-line block ×3, first 2 shown]
                                        ; implicit-def: $vgpr48_vgpr49
                                        ; implicit-def: $vgpr50_vgpr51
	s_delay_alu instid0(VALU_DEP_4) | instskip(NEXT) | instid1(VALU_DEP_4)
	v_lshlrev_b64_e32 v[22:23], 3, v[0:1]
	v_lshlrev_b64_e32 v[32:33], 3, v[32:33]
	s_delay_alu instid0(VALU_DEP_4) | instskip(NEXT) | instid1(VALU_DEP_4)
	v_lshlrev_b64_e32 v[33:34], 3, v[35:36]
	v_lshlrev_b64_e32 v[34:35], 3, v[38:39]
                                        ; implicit-def: $vgpr38_vgpr39
                                        ; implicit-def: $vgpr36_vgpr37
	s_delay_alu instid0(VALU_DEP_4) | instskip(NEXT) | instid1(VALU_DEP_4)
	v_add_co_u32 v0, null, v12, v22
	v_add_co_u32 v87, null, v12, v32
	s_delay_alu instid0(VALU_DEP_4) | instskip(NEXT) | instid1(VALU_DEP_4)
	v_add_co_u32 v96, null, v12, v33
	v_add_co_u32 v97, null, v12, v34
                                        ; implicit-def: $vgpr32_vgpr33
                                        ; implicit-def: $vgpr34_vgpr35
                                        ; implicit-def: $vgpr22_vgpr23
	v_cmpx_lt_u32_e64 v10, v11
	s_cbranch_execz .LBB1226_268
; %bb.284:                              ;   in Loop: Header=BB1226_269 Depth=1
	s_barrier_signal -1
	s_barrier_wait -1
	global_inv scope:SCOPE_SE
	ds_store_b64 v0, v[4:5]
	ds_store_b64 v87, v[19:20]
	;; [unrolled: 1-line block ×4, first 2 shown]
	s_wait_loadcnt_dscnt 0x0
	s_barrier_signal -1
	s_barrier_wait -1
	global_inv scope:SCOPE_SE
	ds_load_b64 v[50:51], v81
	ds_load_b64 v[38:39], v83
	;; [unrolled: 1-line block ×4, first 2 shown]
	s_wait_loadcnt_dscnt 0x0
	s_barrier_signal -1
	s_barrier_wait -1
	global_inv scope:SCOPE_SE
	ds_store_b64 v0, v[28:29]
	ds_store_b64 v87, v[13:14]
	;; [unrolled: 1-line block ×4, first 2 shown]
	s_wait_loadcnt_dscnt 0x0
	s_barrier_signal -1
	s_barrier_wait -1
	global_inv scope:SCOPE_SE
	ds_load_b64 v[32:33], v81
	ds_load_b64 v[34:35], v83
	;; [unrolled: 1-line block ×4, first 2 shown]
	v_add_nc_u32_e32 v86, -8, v86
	s_xor_b32 s22, exec_lo, -1
	s_wait_loadcnt_dscnt 0x0
	s_barrier_signal -1
	s_barrier_wait -1
	global_inv scope:SCOPE_SE
	s_branch .LBB1226_268
.LBB1226_285:
	flat_load_b64 v[38:39], v[4:5]
	s_wait_alu 0xfffe
	s_or_b32 exec_lo, exec_lo, s7
                                        ; implicit-def: $vgpr64_vgpr65
	s_and_saveexec_b32 s7, s0
	s_cbranch_execz .LBB1226_163
.LBB1226_286:
	flat_load_b64 v[64:65], v[4:5] offset:256
	s_wait_alu 0xfffe
	s_or_b32 exec_lo, exec_lo, s7
                                        ; implicit-def: $vgpr66_vgpr67
	s_and_saveexec_b32 s0, s1
	s_cbranch_execz .LBB1226_164
.LBB1226_287:
	flat_load_b64 v[66:67], v[4:5] offset:512
	s_wait_alu 0xfffe
	s_or_b32 exec_lo, exec_lo, s0
                                        ; implicit-def: $vgpr68_vgpr69
	s_and_saveexec_b32 s0, s2
	s_cbranch_execz .LBB1226_165
.LBB1226_288:
	flat_load_b64 v[68:69], v[4:5] offset:768
	s_wait_alu 0xfffe
	s_or_b32 exec_lo, exec_lo, s0
                                        ; implicit-def: $vgpr70_vgpr71
	s_and_saveexec_b32 s0, s3
	s_cbranch_execz .LBB1226_166
.LBB1226_289:
	flat_load_b64 v[70:71], v[4:5] offset:1024
	s_wait_alu 0xfffe
	s_or_b32 exec_lo, exec_lo, s0
                                        ; implicit-def: $vgpr80_vgpr81
	s_and_saveexec_b32 s0, s4
	s_cbranch_execz .LBB1226_167
.LBB1226_290:
	flat_load_b64 v[80:81], v[4:5] offset:1280
	s_wait_alu 0xfffe
	s_or_b32 exec_lo, exec_lo, s0
                                        ; implicit-def: $vgpr82_vgpr83
	s_and_saveexec_b32 s0, s5
	s_cbranch_execz .LBB1226_168
.LBB1226_291:
	flat_load_b64 v[82:83], v[4:5] offset:1536
	s_wait_alu 0xfffe
	s_or_b32 exec_lo, exec_lo, s0
                                        ; implicit-def: $vgpr86_vgpr87
	s_and_saveexec_b32 s0, s6
	s_cbranch_execnz .LBB1226_169
	s_branch .LBB1226_170
.LBB1226_292:
	flat_store_b64 v[0:1], v[20:21]
	s_wait_alu 0xfffe
	s_or_b32 exec_lo, exec_lo, s7
	s_and_saveexec_b32 s7, s0
	s_cbranch_execz .LBB1226_244
.LBB1226_293:
	flat_store_b64 v[0:1], v[22:23] offset:2048
	s_wait_alu 0xfffe
	s_or_b32 exec_lo, exec_lo, s7
	s_and_saveexec_b32 s0, s1
	s_cbranch_execz .LBB1226_245
.LBB1226_294:
	flat_store_b64 v[0:1], v[16:17] offset:4096
	s_wait_alu 0xfffe
	s_or_b32 exec_lo, exec_lo, s0
	s_and_saveexec_b32 s0, s2
	s_cbranch_execz .LBB1226_246
.LBB1226_295:
	flat_store_b64 v[0:1], v[18:19] offset:6144
	s_wait_alu 0xfffe
	s_or_b32 exec_lo, exec_lo, s0
	s_and_saveexec_b32 s0, s3
	s_cbranch_execz .LBB1226_247
.LBB1226_296:
	flat_store_b64 v[0:1], v[12:13] offset:8192
	s_wait_alu 0xfffe
	s_or_b32 exec_lo, exec_lo, s0
	s_and_saveexec_b32 s0, s4
	s_cbranch_execz .LBB1226_248
.LBB1226_297:
	flat_store_b64 v[0:1], v[14:15] offset:10240
	s_wait_alu 0xfffe
	s_or_b32 exec_lo, exec_lo, s0
	s_and_saveexec_b32 s0, s5
	s_cbranch_execz .LBB1226_249
.LBB1226_298:
	flat_store_b64 v[0:1], v[8:9] offset:12288
	s_wait_alu 0xfffe
	s_or_b32 exec_lo, exec_lo, s0
	s_and_saveexec_b32 s0, s6
	s_cbranch_execnz .LBB1226_250
	s_branch .LBB1226_251
.LBB1226_299:
	s_or_b32 exec_lo, exec_lo, s21
	v_lshl_add_u32 v1, v21, 3, v12
	s_barrier_signal -1
	s_barrier_wait -1
	s_wait_loadcnt 0x0
	global_inv scope:SCOPE_SE
	ds_store_b64 v0, v[4:5]
	ds_store_b64 v87, v[19:20]
	;; [unrolled: 1-line block ×4, first 2 shown]
	s_wait_loadcnt_dscnt 0x0
	s_barrier_signal -1
	s_barrier_wait -1
	global_inv scope:SCOPE_SE
	ds_load_2addr_stride64_b64 v[20:23], v1 offset1:4
	ds_load_2addr_stride64_b64 v[16:19], v1 offset0:8 offset1:12
	s_wait_loadcnt_dscnt 0x0
	s_barrier_signal -1
	s_barrier_wait -1
	global_inv scope:SCOPE_SE
	ds_store_b64 v0, v[28:29]
	ds_store_b64 v87, v[13:14]
	;; [unrolled: 1-line block ×4, first 2 shown]
	s_wait_loadcnt_dscnt 0x0
	s_barrier_signal -1
	s_barrier_wait -1
	global_inv scope:SCOPE_SE
	ds_load_2addr_stride64_b64 v[12:15], v1 offset1:4
	ds_load_2addr_stride64_b64 v[8:11], v1 offset0:8 offset1:12
	v_mov_b32_e32 v25, 0
	v_add_co_u32 v2, vcc_lo, v2, v26
	s_wait_alu 0xfffd
	v_add_co_ci_u32_e64 v3, null, v3, v27, vcc_lo
	s_delay_alu instid0(VALU_DEP_3)
	v_lshlrev_b64_e32 v[0:1], 3, v[24:25]
	s_wait_loadcnt_dscnt 0x0
	s_barrier_signal -1
	s_barrier_wait -1
	global_inv scope:SCOPE_SE
	v_add_co_u32 v2, vcc_lo, v2, v0
	s_wait_alu 0xfffd
	v_add_co_ci_u32_e64 v3, null, v3, v1, vcc_lo
	v_cmp_lt_u32_e32 vcc_lo, v24, v119
	s_and_saveexec_b32 s1, vcc_lo
	s_cbranch_execz .LBB1226_301
; %bb.300:
	v_cmp_lt_i64_e64 s0, -1, v[20:21]
	v_ashrrev_i32_e32 v4, 31, v21
	s_delay_alu instid0(VALU_DEP_1) | instskip(SKIP_1) | instid1(VALU_DEP_3)
	v_not_b32_e32 v4, v4
	s_wait_alu 0xf1ff
	v_cndmask_b32_e64 v5, 0x80000000, -1, s0
	s_delay_alu instid0(VALU_DEP_2) | instskip(NEXT) | instid1(VALU_DEP_2)
	v_xor_b32_e32 v4, v4, v20
	v_xor_b32_e32 v5, v5, v21
	flat_store_b64 v[2:3], v[4:5]
.LBB1226_301:
	s_wait_alu 0xfffe
	s_or_b32 exec_lo, exec_lo, s1
	v_add_nc_u32_e32 v4, 0x100, v24
	s_delay_alu instid0(VALU_DEP_1)
	v_cmp_lt_u32_e64 s0, v4, v119
	s_and_saveexec_b32 s2, s0
	s_cbranch_execz .LBB1226_303
; %bb.302:
	v_cmp_lt_i64_e64 s1, -1, v[22:23]
	v_ashrrev_i32_e32 v4, 31, v23
	s_delay_alu instid0(VALU_DEP_1) | instskip(SKIP_1) | instid1(VALU_DEP_3)
	v_not_b32_e32 v4, v4
	s_wait_alu 0xf1ff
	v_cndmask_b32_e64 v5, 0x80000000, -1, s1
	s_delay_alu instid0(VALU_DEP_2) | instskip(NEXT) | instid1(VALU_DEP_2)
	v_xor_b32_e32 v4, v4, v22
	v_xor_b32_e32 v5, v5, v23
	flat_store_b64 v[2:3], v[4:5] offset:2048
.LBB1226_303:
	s_wait_alu 0xfffe
	s_or_b32 exec_lo, exec_lo, s2
	v_add_nc_u32_e32 v4, 0x200, v24
	s_delay_alu instid0(VALU_DEP_1)
	v_cmp_lt_u32_e64 s1, v4, v119
	s_and_saveexec_b32 s3, s1
	s_cbranch_execz .LBB1226_305
; %bb.304:
	v_cmp_lt_i64_e64 s2, -1, v[16:17]
	v_ashrrev_i32_e32 v4, 31, v17
	s_delay_alu instid0(VALU_DEP_1) | instskip(SKIP_1) | instid1(VALU_DEP_3)
	v_not_b32_e32 v4, v4
	s_wait_alu 0xf1ff
	v_cndmask_b32_e64 v5, 0x80000000, -1, s2
	s_delay_alu instid0(VALU_DEP_2) | instskip(NEXT) | instid1(VALU_DEP_2)
	v_xor_b32_e32 v4, v4, v16
	v_xor_b32_e32 v5, v5, v17
	flat_store_b64 v[2:3], v[4:5] offset:4096
.LBB1226_305:
	;; [unrolled: 19-line block ×3, first 2 shown]
	s_wait_alu 0xfffe
	s_or_b32 exec_lo, exec_lo, s4
	v_add_co_u32 v2, s3, v6, v26
	s_wait_alu 0xf1ff
	v_add_co_ci_u32_e64 v3, null, v7, v27, s3
	s_delay_alu instid0(VALU_DEP_2) | instskip(SKIP_1) | instid1(VALU_DEP_2)
	v_add_co_u32 v0, s3, v2, v0
	s_wait_alu 0xf1ff
	v_add_co_ci_u32_e64 v1, null, v3, v1, s3
	s_and_saveexec_b32 s3, vcc_lo
	s_cbranch_execnz .LBB1226_340
; %bb.308:
	s_wait_alu 0xfffe
	s_or_b32 exec_lo, exec_lo, s3
	s_and_saveexec_b32 s3, s0
	s_cbranch_execnz .LBB1226_341
.LBB1226_309:
	s_wait_alu 0xfffe
	s_or_b32 exec_lo, exec_lo, s3
	s_and_saveexec_b32 s0, s1
	s_cbranch_execnz .LBB1226_342
.LBB1226_310:
	s_wait_alu 0xfffe
	s_or_b32 exec_lo, exec_lo, s0
	s_and_saveexec_b32 s0, s2
	s_cbranch_execz .LBB1226_312
.LBB1226_311:
	flat_store_b64 v[0:1], v[10:11] offset:6144
.LBB1226_312:
	s_wait_alu 0xfffe
	s_or_b32 exec_lo, exec_lo, s0
                                        ; implicit-def: $vgpr119
                                        ; implicit-def: $vgpr0
                                        ; implicit-def: $vgpr1
                                        ; implicit-def: $vgpr2
                                        ; implicit-def: $vgpr3
                                        ; implicit-def: $vgpr4
                                        ; implicit-def: $vgpr5
                                        ; implicit-def: $vgpr6
                                        ; implicit-def: $vgpr7
                                        ; implicit-def: $vgpr8
                                        ; implicit-def: $vgpr10
                                        ; implicit-def: $vgpr11
                                        ; implicit-def: $vgpr12
                                        ; implicit-def: $vgpr9
                                        ; implicit-def: $vgpr13
                                        ; implicit-def: $vgpr21
                                        ; implicit-def: $vgpr54
.LBB1226_313:
	s_wait_alu 0xfffe
	s_and_not1_saveexec_b32 s0, s19
	s_cbranch_execz .LBB1226_372
; %bb.314:
	s_load_b64 s[0:1], s[8:9], 0x0
	s_and_b32 s2, ttmp7, 0xffff
	s_mov_b32 s3, 0
	s_wait_kmcnt 0x0
	s_wait_alu 0xfffe
	s_cmp_lt_u32 s2, s1
	s_cselect_b32 s2, 14, 20
	s_cmp_lt_u32 ttmp9, s0
	s_wait_alu 0xfffe
	s_add_nc_u64 s[4:5], s[8:9], s[2:3]
	s_cselect_b32 s2, 12, 18
	s_load_u16 s4, s[4:5], 0x0
	s_add_nc_u64 s[0:1], s[8:9], s[2:3]
	s_load_u16 s0, s[0:1], 0x0
	s_wait_kmcnt 0x0
	v_mad_u32_u24 v13, v13, s4, v9
	v_mov_b32_e32 v9, 0
	s_delay_alu instid0(VALU_DEP_2) | instskip(NEXT) | instid1(VALU_DEP_2)
	v_mad_co_u64_u32 v[19:20], null, v13, s0, v[21:22]
	v_lshlrev_b64_e32 v[17:18], 3, v[8:9]
	s_mov_b32 s0, exec_lo
	v_cmpx_lt_u32_e32 0x100, v119
	s_wait_alu 0xfffe
	s_xor_b32 s16, exec_lo, s0
	s_cbranch_execz .LBB1226_352
; %bb.315:
	s_delay_alu instid0(VALU_DEP_3) | instskip(SKIP_2) | instid1(VALU_DEP_3)
	v_dual_mov_b32 v13, -1 :: v_dual_lshlrev_b32 v8, 1, v19
	v_add_co_u32 v15, vcc_lo, v0, v17
	v_lshlrev_b32_e32 v20, 3, v54
	v_and_b32_e32 v8, 0xffffffc0, v8
	s_wait_alu 0xfffd
	v_add_co_ci_u32_e64 v16, null, v1, v18, vcc_lo
	v_bfrev_b32_e32 v14, -2
	s_delay_alu instid0(VALU_DEP_3) | instskip(SKIP_4) | instid1(VALU_DEP_3)
	v_lshlrev_b64_e32 v[0:1], 3, v[8:9]
	v_add_co_u32 v9, vcc_lo, v15, v20
	s_wait_alu 0xfffd
	v_add_co_ci_u32_e64 v15, null, 0, v16, vcc_lo
	v_or_b32_e32 v22, v54, v8
	v_add_co_u32 v8, vcc_lo, v9, v0
	s_wait_alu 0xfffd
	s_delay_alu instid0(VALU_DEP_3) | instskip(NEXT) | instid1(VALU_DEP_3)
	v_add_co_ci_u32_e64 v9, null, v15, v1, vcc_lo
	v_cmp_lt_u32_e32 vcc_lo, v22, v119
	v_dual_mov_b32 v15, v13 :: v_dual_mov_b32 v16, v14
	s_and_saveexec_b32 s0, vcc_lo
	s_cbranch_execz .LBB1226_317
; %bb.316:
	flat_load_b64 v[23:24], v[8:9]
	v_dual_mov_b32 v25, v13 :: v_dual_mov_b32 v26, v14
	s_wait_loadcnt_dscnt 0x0
	v_dual_mov_b32 v13, v23 :: v_dual_mov_b32 v14, v24
	s_delay_alu instid0(VALU_DEP_2)
	v_dual_mov_b32 v15, v25 :: v_dual_mov_b32 v16, v26
.LBB1226_317:
	s_wait_alu 0xfffe
	s_or_b32 exec_lo, exec_lo, s0
	v_or_b32_e32 v22, 32, v22
	s_delay_alu instid0(VALU_DEP_1)
	v_cmp_lt_u32_e64 s0, v22, v119
	s_and_saveexec_b32 s1, s0
	s_cbranch_execz .LBB1226_319
; %bb.318:
	flat_load_b64 v[15:16], v[8:9] offset:256
.LBB1226_319:
	s_wait_alu 0xfffe
	s_or_b32 exec_lo, exec_lo, s1
	v_add_co_u32 v4, s1, v4, v17
	s_wait_alu 0xf1ff
	v_add_co_ci_u32_e64 v5, null, v5, v18, s1
	v_mov_b32_e32 v26, 0
	s_delay_alu instid0(VALU_DEP_3) | instskip(SKIP_1) | instid1(VALU_DEP_3)
	v_add_co_u32 v4, s1, v4, v20
	s_wait_alu 0xf1ff
	v_add_co_ci_u32_e64 v5, null, 0, v5, s1
	v_dual_mov_b32 v27, 0 :: v_dual_mov_b32 v24, 0
	s_delay_alu instid0(VALU_DEP_3)
	v_add_co_u32 v0, s1, v4, v0
	v_mov_b32_e32 v25, 0
	s_wait_alu 0xf1ff
	v_add_co_ci_u32_e64 v1, null, v5, v1, s1
	s_and_saveexec_b32 s1, vcc_lo
	s_cbranch_execz .LBB1226_321
; %bb.320:
	flat_load_b64 v[24:25], v[0:1]
.LBB1226_321:
	s_wait_alu 0xfffe
	s_or_b32 exec_lo, exec_lo, s1
	s_and_saveexec_b32 s1, s0
	s_cbranch_execz .LBB1226_323
; %bb.322:
	flat_load_b64 v[26:27], v[0:1] offset:256
.LBB1226_323:
	s_wait_alu 0xfffe
	s_or_b32 exec_lo, exec_lo, s1
	v_cmp_lt_i64_e32 vcc_lo, -1, v[13:14]
	s_wait_loadcnt_dscnt 0x0
	v_ashrrev_i32_e32 v4, 31, v16
	v_lshl_add_u32 v5, v21, 5, v12
	s_getpc_b64 s[0:1]
	s_wait_alu 0xfffe
	s_sext_i32_i16 s1, s1
	s_add_co_u32 s0, s0, _ZN7rocprim17ROCPRIM_400000_NS16block_radix_sortIdLj256ELj2ElLj1ELj1ELj8ELNS0_26block_radix_rank_algorithmE2ELNS0_18block_padding_hintE2ELNS0_4arch9wavefront6targetE0EE19radix_bits_per_passE@rel32@lo+12
	s_wait_alu 0xfffe
	s_add_co_ci_u32 s1, s1, _ZN7rocprim17ROCPRIM_400000_NS16block_radix_sortIdLj256ELj2ElLj1ELj1ELj8ELNS0_26block_radix_rank_algorithmE2ELNS0_18block_padding_hintE2ELNS0_4arch9wavefront6targetE0EE19radix_bits_per_passE@rel32@hi+24
	v_ashrrev_i32_e32 v1, 31, v14
	s_load_b32 s17, s[0:1], 0x0
	v_cndmask_b32_e64 v0, -1, 0x80000000, vcc_lo
	v_cmp_lt_i64_e32 vcc_lo, -1, v[15:16]
	v_xor_b32_e32 v15, v4, v15
	v_and_b32_e32 v4, 16, v54
	v_add_nc_u32_e32 v20, 32, v5
	v_xor_b32_e32 v29, v0, v14
	v_add_nc_u32_e32 v30, 36, v5
	s_wait_alu 0xfffd
	v_cndmask_b32_e64 v0, -1, 0x80000000, vcc_lo
	v_add_nc_u32_e32 v31, 40, v5
	v_add_nc_u32_e32 v32, 44, v5
	;; [unrolled: 1-line block ×4, first 2 shown]
	v_xor_b32_e32 v16, v0, v16
	v_and_b32_e32 v0, 0x3e0, v21
	v_add_nc_u32_e32 v35, 56, v5
	v_add_nc_u32_e32 v36, 60, v5
	v_sub_co_u32 v5, s2, v54, 1
	s_delay_alu instid0(VALU_DEP_4)
	v_min_u32_e32 v0, 0xe0, v0
	v_cmp_eq_u32_e64 s4, 0, v4
	v_lshlrev_b32_e32 v4, 1, v21
	v_xor_b32_e32 v28, v1, v13
	v_and_b32_e32 v1, 15, v54
	v_or_b32_e32 v0, 31, v0
	v_cmp_gt_i32_e64 s6, 0, v5
	v_and_or_b32 v4, 0x7c0, v4, v54
	v_lshrrev_b32_e32 v37, 5, v19
	v_cmp_eq_u32_e32 vcc_lo, 0, v1
	v_cmp_eq_u32_e64 s5, v21, v0
	v_lshrrev_b32_e32 v0, 3, v21
	v_cmp_lt_u32_e64 s0, 1, v1
	v_cmp_lt_u32_e64 s1, 3, v1
	;; [unrolled: 1-line block ×3, first 2 shown]
	s_wait_alu 0xf1ff
	v_cndmask_b32_e64 v1, v5, v54, s6
	v_and_b32_e32 v0, 0x7c, v0
	v_and_b32_e32 v5, 7, v54
	v_lshl_add_u32 v49, v4, 3, v12
	v_cmp_gt_u32_e64 s6, 8, v21
	v_cmp_lt_u32_e64 s7, 31, v21
	v_add_nc_u32_e32 v39, v12, v0
	v_lshlrev_b32_e32 v38, 2, v1
	v_cmp_eq_u32_e64 s8, 0, v21
	v_mov_b32_e32 v1, 0
	v_lshl_add_u32 v48, v21, 2, v12
	v_cmp_eq_u32_e64 s9, 0, v5
	v_cmp_lt_u32_e64 s10, 1, v5
	v_cmp_lt_u32_e64 s11, 3, v5
	v_add_nc_u32_e32 v50, -4, v39
	v_add_nc_u32_e32 v51, 0x100, v49
	v_sub_nc_u32_e32 v52, v11, v10
	s_mov_b32 s14, -1
	s_brev_b32 s15, -2
	s_mov_b32 s19, 0
	s_wait_storecnt 0x0
	s_barrier_signal -1
	s_barrier_wait -1
	global_inv scope:SCOPE_SE
	s_branch .LBB1226_325
.LBB1226_324:                           ;   in Loop: Header=BB1226_325 Depth=1
	s_wait_alu 0xfffe
	s_or_b32 exec_lo, exec_lo, s13
	s_delay_alu instid0(SALU_CYCLE_1)
	s_and_b32 s12, exec_lo, s20
	s_wait_alu 0xfffe
	s_or_b32 s19, s12, s19
	s_wait_alu 0xfffe
	s_and_not1_b32 exec_lo, exec_lo, s19
	s_cbranch_execz .LBB1226_343
.LBB1226_325:                           ; =>This Inner Loop Header: Depth=1
	v_dual_mov_b32 v4, v28 :: v_dual_mov_b32 v5, v29
	s_wait_kmcnt 0x0
	v_min_u32_e32 v0, s17, v52
	ds_store_b32 v20, v1
	ds_store_b32 v30, v1
	;; [unrolled: 1-line block ×6, first 2 shown]
	s_wait_alu 0xfffe
	v_cmp_ne_u64_e64 s12, s[14:15], v[4:5]
	v_lshlrev_b32_e64 v0, v0, -1
	ds_store_b32 v35, v1
	ds_store_b32 v36, v1
	s_wait_loadcnt_dscnt 0x0
	s_barrier_signal -1
	s_wait_alu 0xf1ff
	v_cndmask_b32_e64 v9, 0x80000000, v5, s12
	v_cndmask_b32_e64 v8, 0, v4, s12
	v_not_b32_e32 v28, v0
	s_barrier_wait -1
	global_inv scope:SCOPE_SE
	v_lshrrev_b64 v[8:9], v10, v[8:9]
	; wave barrier
	v_dual_mov_b32 v13, v15 :: v_dual_mov_b32 v14, v16
	s_delay_alu instid0(VALU_DEP_2) | instskip(SKIP_1) | instid1(VALU_DEP_2)
	v_and_b32_e32 v0, v8, v28
	v_dual_mov_b32 v8, v26 :: v_dual_mov_b32 v9, v27
	v_and_b32_e32 v15, 1, v0
	v_lshlrev_b32_e32 v16, 30, v0
	v_lshlrev_b32_e32 v22, 29, v0
	;; [unrolled: 1-line block ×4, first 2 shown]
	v_add_co_u32 v15, s12, v15, -1
	s_wait_alu 0xf1ff
	v_cndmask_b32_e64 v26, 0, 1, s12
	v_not_b32_e32 v54, v16
	v_cmp_gt_i32_e64 s13, 0, v16
	v_not_b32_e32 v16, v22
	v_lshlrev_b32_e32 v29, 26, v0
	v_cmp_ne_u32_e64 s12, 0, v26
	v_ashrrev_i32_e32 v54, 31, v54
	v_lshlrev_b32_e32 v53, 25, v0
	v_ashrrev_i32_e32 v16, 31, v16
	v_lshlrev_b32_e32 v26, 24, v0
	s_wait_alu 0xf1ff
	v_xor_b32_e32 v15, s12, v15
	v_cmp_gt_i32_e64 s12, 0, v22
	v_not_b32_e32 v22, v23
	v_xor_b32_e32 v54, s13, v54
	v_cmp_gt_i32_e64 s13, 0, v23
	v_and_b32_e32 v15, exec_lo, v15
	v_not_b32_e32 v23, v27
	v_ashrrev_i32_e32 v22, 31, v22
	s_wait_alu 0xf1ff
	v_xor_b32_e32 v16, s12, v16
	v_cmp_gt_i32_e64 s12, 0, v27
	v_and_b32_e32 v15, v15, v54
	v_not_b32_e32 v27, v29
	v_ashrrev_i32_e32 v23, 31, v23
	v_xor_b32_e32 v22, s13, v22
	v_cmp_gt_i32_e64 s13, 0, v29
	v_and_b32_e32 v15, v15, v16
	v_not_b32_e32 v16, v53
	v_ashrrev_i32_e32 v27, 31, v27
	s_wait_alu 0xf1ff
	v_xor_b32_e32 v23, s12, v23
	v_cmp_gt_i32_e64 s12, 0, v53
	v_and_b32_e32 v15, v15, v22
	v_not_b32_e32 v29, v26
	v_ashrrev_i32_e32 v16, 31, v16
	v_xor_b32_e32 v27, s13, v27
	v_cmp_gt_i32_e64 s13, 0, v26
	v_dual_mov_b32 v22, v24 :: v_dual_and_b32 v15, v15, v23
	v_mov_b32_e32 v23, v25
	v_ashrrev_i32_e32 v24, 31, v29
	s_wait_alu 0xf1ff
	v_xor_b32_e32 v16, s12, v16
	v_and_b32_e32 v15, v15, v27
	v_lshl_add_u32 v0, v0, 3, v37
	v_xor_b32_e32 v24, s13, v24
	s_delay_alu instid0(VALU_DEP_3) | instskip(NEXT) | instid1(VALU_DEP_1)
	v_and_b32_e32 v15, v15, v16
	v_and_b32_e32 v16, v15, v24
	s_delay_alu instid0(VALU_DEP_4) | instskip(NEXT) | instid1(VALU_DEP_2)
	v_lshlrev_b64_e32 v[24:25], 2, v[0:1]
	v_mbcnt_lo_u32_b32 v0, v16, 0
	v_cmp_ne_u32_e64 s13, 0, v16
	s_delay_alu instid0(VALU_DEP_3) | instskip(NEXT) | instid1(VALU_DEP_3)
	v_add_co_u32 v15, null, v12, v24
	v_cmp_eq_u32_e64 s12, 0, v0
	s_delay_alu instid0(VALU_DEP_2)
	v_add_co_u32 v15, null, v15, 32
	s_and_b32 s13, s13, s12
	s_wait_alu 0xfffe
	s_and_saveexec_b32 s12, s13
; %bb.326:                              ;   in Loop: Header=BB1226_325 Depth=1
	v_bcnt_u32_b32 v16, v16, 0
	ds_store_b32 v15, v16
; %bb.327:                              ;   in Loop: Header=BB1226_325 Depth=1
	s_wait_alu 0xfffe
	s_or_b32 exec_lo, exec_lo, s12
	v_cmp_ne_u64_e64 s12, s[14:15], v[13:14]
	; wave barrier
	s_wait_alu 0xf1ff
	s_delay_alu instid0(VALU_DEP_1) | instskip(SKIP_1) | instid1(VALU_DEP_1)
	v_cndmask_b32_e64 v25, 0x80000000, v14, s12
	v_cndmask_b32_e64 v24, 0, v13, s12
	v_lshrrev_b64 v[24:25], v10, v[24:25]
	s_delay_alu instid0(VALU_DEP_1) | instskip(NEXT) | instid1(VALU_DEP_1)
	v_and_b32_e32 v16, v24, v28
	v_and_b32_e32 v24, 1, v16
	v_lshlrev_b32_e32 v25, 30, v16
	v_lshlrev_b32_e32 v26, 29, v16
	;; [unrolled: 1-line block ×4, first 2 shown]
	v_add_co_u32 v24, s12, v24, -1
	s_wait_alu 0xf1ff
	v_cndmask_b32_e64 v28, 0, 1, s12
	v_not_b32_e32 v55, v25
	v_cmp_gt_i32_e64 s13, 0, v25
	v_not_b32_e32 v25, v26
	v_lshlrev_b32_e32 v53, 26, v16
	v_cmp_ne_u32_e64 s12, 0, v28
	v_ashrrev_i32_e32 v55, 31, v55
	v_lshlrev_b32_e32 v54, 25, v16
	v_ashrrev_i32_e32 v25, 31, v25
	v_lshlrev_b32_e32 v28, 24, v16
	s_wait_alu 0xf1ff
	v_xor_b32_e32 v24, s12, v24
	v_cmp_gt_i32_e64 s12, 0, v26
	v_not_b32_e32 v26, v27
	v_xor_b32_e32 v55, s13, v55
	v_cmp_gt_i32_e64 s13, 0, v27
	v_and_b32_e32 v24, exec_lo, v24
	v_not_b32_e32 v27, v29
	v_ashrrev_i32_e32 v26, 31, v26
	s_wait_alu 0xf1ff
	v_xor_b32_e32 v25, s12, v25
	v_cmp_gt_i32_e64 s12, 0, v29
	v_and_b32_e32 v24, v24, v55
	v_not_b32_e32 v29, v53
	v_ashrrev_i32_e32 v27, 31, v27
	v_xor_b32_e32 v26, s13, v26
	v_cmp_gt_i32_e64 s13, 0, v53
	v_and_b32_e32 v24, v24, v25
	v_not_b32_e32 v25, v54
	v_ashrrev_i32_e32 v29, 31, v29
	s_wait_alu 0xf1ff
	v_xor_b32_e32 v27, s12, v27
	v_cmp_gt_i32_e64 s12, 0, v54
	v_and_b32_e32 v24, v24, v26
	v_not_b32_e32 v26, v28
	v_ashrrev_i32_e32 v25, 31, v25
	v_xor_b32_e32 v29, s13, v29
	v_lshl_add_u32 v16, v16, 3, v37
	v_and_b32_e32 v24, v24, v27
	v_cmp_gt_i32_e64 s13, 0, v28
	v_ashrrev_i32_e32 v26, 31, v26
	s_wait_alu 0xf1ff
	v_xor_b32_e32 v25, s12, v25
	v_lshl_add_u32 v27, v16, 2, v12
	v_and_b32_e32 v24, v24, v29
	v_xor_b32_e32 v26, s13, v26
	ds_load_b32 v16, v27 offset:32
	v_and_b32_e32 v24, v24, v25
	v_add_nc_u32_e32 v25, 32, v27
	; wave barrier
	s_delay_alu instid0(VALU_DEP_2) | instskip(NEXT) | instid1(VALU_DEP_1)
	v_and_b32_e32 v26, v24, v26
	v_mbcnt_lo_u32_b32 v24, v26, 0
	v_cmp_ne_u32_e64 s13, 0, v26
	s_delay_alu instid0(VALU_DEP_2)
	v_cmp_eq_u32_e64 s12, 0, v24
	s_and_b32 s13, s13, s12
	s_wait_alu 0xfffe
	s_and_saveexec_b32 s12, s13
	s_cbranch_execz .LBB1226_329
; %bb.328:                              ;   in Loop: Header=BB1226_325 Depth=1
	s_wait_dscnt 0x0
	v_bcnt_u32_b32 v26, v26, v16
	ds_store_b32 v25, v26
.LBB1226_329:                           ;   in Loop: Header=BB1226_325 Depth=1
	s_wait_alu 0xfffe
	s_or_b32 exec_lo, exec_lo, s12
	; wave barrier
	s_wait_loadcnt_dscnt 0x0
	s_barrier_signal -1
	s_barrier_wait -1
	global_inv scope:SCOPE_SE
	ds_load_b32 v27, v20
	ds_load_b32 v28, v30
	;; [unrolled: 1-line block ×8, first 2 shown]
	s_wait_dscnt 0x6
	v_add_nc_u32_e32 v65, v28, v27
	s_wait_dscnt 0x4
	s_delay_alu instid0(VALU_DEP_1) | instskip(SKIP_1) | instid1(VALU_DEP_1)
	v_add3_u32 v65, v65, v29, v53
	s_wait_dscnt 0x2
	v_add3_u32 v65, v65, v54, v55
	s_wait_dscnt 0x0
	s_delay_alu instid0(VALU_DEP_1) | instskip(NEXT) | instid1(VALU_DEP_1)
	v_add3_u32 v64, v65, v26, v64
	v_mov_b32_dpp v65, v64 row_shr:1 row_mask:0xf bank_mask:0xf
	s_wait_alu 0xfffd
	s_delay_alu instid0(VALU_DEP_1) | instskip(NEXT) | instid1(VALU_DEP_1)
	v_cndmask_b32_e64 v65, v65, 0, vcc_lo
	v_add_nc_u32_e32 v64, v65, v64
	s_delay_alu instid0(VALU_DEP_1) | instskip(NEXT) | instid1(VALU_DEP_1)
	v_mov_b32_dpp v65, v64 row_shr:2 row_mask:0xf bank_mask:0xf
	v_cndmask_b32_e64 v65, 0, v65, s0
	s_delay_alu instid0(VALU_DEP_1) | instskip(NEXT) | instid1(VALU_DEP_1)
	v_add_nc_u32_e32 v64, v64, v65
	v_mov_b32_dpp v65, v64 row_shr:4 row_mask:0xf bank_mask:0xf
	s_delay_alu instid0(VALU_DEP_1) | instskip(NEXT) | instid1(VALU_DEP_1)
	v_cndmask_b32_e64 v65, 0, v65, s1
	v_add_nc_u32_e32 v64, v64, v65
	s_delay_alu instid0(VALU_DEP_1) | instskip(NEXT) | instid1(VALU_DEP_1)
	v_mov_b32_dpp v65, v64 row_shr:8 row_mask:0xf bank_mask:0xf
	v_cndmask_b32_e64 v65, 0, v65, s3
	s_delay_alu instid0(VALU_DEP_1) | instskip(SKIP_3) | instid1(VALU_DEP_1)
	v_add_nc_u32_e32 v64, v64, v65
	ds_swizzle_b32 v65, v64 offset:swizzle(BROADCAST,32,15)
	s_wait_dscnt 0x0
	v_cndmask_b32_e64 v65, v65, 0, s4
	v_add_nc_u32_e32 v64, v64, v65
	s_and_saveexec_b32 s12, s5
; %bb.330:                              ;   in Loop: Header=BB1226_325 Depth=1
	ds_store_b32 v39, v64
; %bb.331:                              ;   in Loop: Header=BB1226_325 Depth=1
	s_wait_alu 0xfffe
	s_or_b32 exec_lo, exec_lo, s12
	s_wait_loadcnt_dscnt 0x0
	s_barrier_signal -1
	s_barrier_wait -1
	global_inv scope:SCOPE_SE
	s_and_saveexec_b32 s12, s6
	s_cbranch_execz .LBB1226_333
; %bb.332:                              ;   in Loop: Header=BB1226_325 Depth=1
	ds_load_b32 v65, v48
	s_wait_dscnt 0x0
	v_mov_b32_dpp v66, v65 row_shr:1 row_mask:0xf bank_mask:0xf
	s_delay_alu instid0(VALU_DEP_1) | instskip(NEXT) | instid1(VALU_DEP_1)
	v_cndmask_b32_e64 v66, v66, 0, s9
	v_add_nc_u32_e32 v65, v66, v65
	s_delay_alu instid0(VALU_DEP_1) | instskip(NEXT) | instid1(VALU_DEP_1)
	v_mov_b32_dpp v66, v65 row_shr:2 row_mask:0xf bank_mask:0xf
	v_cndmask_b32_e64 v66, 0, v66, s10
	s_delay_alu instid0(VALU_DEP_1) | instskip(NEXT) | instid1(VALU_DEP_1)
	v_add_nc_u32_e32 v65, v65, v66
	v_mov_b32_dpp v66, v65 row_shr:4 row_mask:0xf bank_mask:0xf
	s_delay_alu instid0(VALU_DEP_1) | instskip(NEXT) | instid1(VALU_DEP_1)
	v_cndmask_b32_e64 v66, 0, v66, s11
	v_add_nc_u32_e32 v65, v65, v66
	ds_store_b32 v48, v65
.LBB1226_333:                           ;   in Loop: Header=BB1226_325 Depth=1
	s_wait_alu 0xfffe
	s_or_b32 exec_lo, exec_lo, s12
	v_mov_b32_e32 v65, 0
	s_wait_loadcnt_dscnt 0x0
	s_barrier_signal -1
	s_barrier_wait -1
	global_inv scope:SCOPE_SE
	s_and_saveexec_b32 s12, s7
; %bb.334:                              ;   in Loop: Header=BB1226_325 Depth=1
	ds_load_b32 v65, v50
; %bb.335:                              ;   in Loop: Header=BB1226_325 Depth=1
	s_wait_alu 0xfffe
	s_or_b32 exec_lo, exec_lo, s12
	s_wait_dscnt 0x0
	v_add_nc_u32_e32 v64, v65, v64
	v_add_nc_u32_e32 v10, 8, v10
	s_mov_b32 s20, -1
	s_mov_b32 s13, exec_lo
	ds_bpermute_b32 v64, v38, v64
	s_wait_dscnt 0x0
	v_cndmask_b32_e64 v64, v64, v65, s2
	s_delay_alu instid0(VALU_DEP_1) | instskip(NEXT) | instid1(VALU_DEP_1)
	v_cndmask_b32_e64 v64, v64, 0, s8
	v_add_nc_u32_e32 v27, v64, v27
	s_delay_alu instid0(VALU_DEP_1) | instskip(SKIP_4) | instid1(VALU_DEP_1)
	v_add_nc_u32_e32 v28, v27, v28
	ds_store_b32 v20, v64
	ds_store_b32 v30, v27
	;; [unrolled: 1-line block ×3, first 2 shown]
	v_add_nc_u32_e32 v29, v28, v29
	v_add_nc_u32_e32 v53, v29, v53
	s_delay_alu instid0(VALU_DEP_1) | instskip(NEXT) | instid1(VALU_DEP_1)
	v_add_nc_u32_e32 v54, v53, v54
	v_add_nc_u32_e32 v55, v54, v55
	s_delay_alu instid0(VALU_DEP_1)
	v_add_nc_u32_e32 v26, v55, v26
	ds_store_b32 v32, v29
	ds_store_b32 v33, v53
	;; [unrolled: 1-line block ×5, first 2 shown]
	s_wait_loadcnt_dscnt 0x0
	s_barrier_signal -1
	s_barrier_wait -1
	global_inv scope:SCOPE_SE
	ds_load_b32 v15, v15
	ds_load_b32 v26, v25
	v_mov_b32_e32 v25, v1
                                        ; implicit-def: $vgpr28_vgpr29
	s_wait_loadcnt_dscnt 0x0
	v_add_nc_u32_e32 v0, v15, v0
	v_add3_u32 v24, v24, v16, v26
                                        ; implicit-def: $vgpr26_vgpr27
	s_delay_alu instid0(VALU_DEP_2) | instskip(NEXT) | instid1(VALU_DEP_2)
	v_lshlrev_b64_e32 v[15:16], 3, v[0:1]
	v_lshlrev_b64_e32 v[24:25], 3, v[24:25]
	s_delay_alu instid0(VALU_DEP_2) | instskip(NEXT) | instid1(VALU_DEP_2)
	v_add_co_u32 v0, null, v12, v15
	v_add_co_u32 v53, null, v12, v24
                                        ; implicit-def: $vgpr15_vgpr16
                                        ; implicit-def: $vgpr24_vgpr25
	v_cmpx_lt_u32_e64 v10, v11
	s_cbranch_execz .LBB1226_324
; %bb.336:                              ;   in Loop: Header=BB1226_325 Depth=1
	s_barrier_signal -1
	s_barrier_wait -1
	global_inv scope:SCOPE_SE
	ds_store_b64 v0, v[4:5]
	ds_store_b64 v53, v[13:14]
	s_wait_loadcnt_dscnt 0x0
	s_barrier_signal -1
	s_barrier_wait -1
	global_inv scope:SCOPE_SE
	ds_load_b64 v[28:29], v49
	ds_load_b64 v[15:16], v51
	s_wait_loadcnt_dscnt 0x0
	s_barrier_signal -1
	s_barrier_wait -1
	global_inv scope:SCOPE_SE
	ds_store_b64 v0, v[22:23]
	ds_store_b64 v53, v[8:9]
	s_wait_loadcnt_dscnt 0x0
	s_barrier_signal -1
	s_barrier_wait -1
	global_inv scope:SCOPE_SE
	ds_load_b64 v[24:25], v49
	ds_load_b64 v[26:27], v51
	v_add_nc_u32_e32 v52, -8, v52
	s_xor_b32 s20, exec_lo, -1
	s_wait_loadcnt_dscnt 0x0
	s_barrier_signal -1
	s_barrier_wait -1
	global_inv scope:SCOPE_SE
	s_branch .LBB1226_324
.LBB1226_337:
	flat_load_b64 v[32:33], v[0:1]
	s_wait_alu 0xfffe
	s_or_b32 exec_lo, exec_lo, s3
                                        ; implicit-def: $vgpr34_vgpr35
	s_and_saveexec_b32 s3, s0
	s_cbranch_execz .LBB1226_264
.LBB1226_338:
	flat_load_b64 v[34:35], v[0:1] offset:256
	s_wait_alu 0xfffe
	s_or_b32 exec_lo, exec_lo, s3
                                        ; implicit-def: $vgpr36_vgpr37
	s_and_saveexec_b32 s0, s1
	s_cbranch_execz .LBB1226_265
.LBB1226_339:
	flat_load_b64 v[36:37], v[0:1] offset:512
	s_wait_alu 0xfffe
	s_or_b32 exec_lo, exec_lo, s0
                                        ; implicit-def: $vgpr22_vgpr23
	s_and_saveexec_b32 s0, s2
	s_cbranch_execnz .LBB1226_266
	s_branch .LBB1226_267
.LBB1226_340:
	flat_store_b64 v[0:1], v[12:13]
	s_wait_alu 0xfffe
	s_or_b32 exec_lo, exec_lo, s3
	s_and_saveexec_b32 s3, s0
	s_cbranch_execz .LBB1226_309
.LBB1226_341:
	flat_store_b64 v[0:1], v[14:15] offset:2048
	s_wait_alu 0xfffe
	s_or_b32 exec_lo, exec_lo, s3
	s_and_saveexec_b32 s0, s1
	s_cbranch_execz .LBB1226_310
.LBB1226_342:
	flat_store_b64 v[0:1], v[8:9] offset:4096
	s_wait_alu 0xfffe
	s_or_b32 exec_lo, exec_lo, s0
	s_and_saveexec_b32 s0, s2
	s_cbranch_execnz .LBB1226_311
	s_branch .LBB1226_312
.LBB1226_343:
	s_or_b32 exec_lo, exec_lo, s19
	v_lshl_add_u32 v1, v21, 3, v12
	s_barrier_signal -1
	s_barrier_wait -1
	s_wait_loadcnt 0x0
	global_inv scope:SCOPE_SE
	ds_store_b64 v0, v[4:5]
	ds_store_b64 v53, v[13:14]
	s_wait_loadcnt_dscnt 0x0
	s_barrier_signal -1
	s_barrier_wait -1
	global_inv scope:SCOPE_SE
	ds_load_2addr_stride64_b64 v[12:15], v1 offset1:4
	s_wait_loadcnt_dscnt 0x0
	s_barrier_signal -1
	s_barrier_wait -1
	global_inv scope:SCOPE_SE
	ds_store_b64 v0, v[22:23]
	ds_store_b64 v53, v[8:9]
	s_wait_loadcnt_dscnt 0x0
	s_barrier_signal -1
	s_barrier_wait -1
	global_inv scope:SCOPE_SE
	ds_load_2addr_stride64_b64 v[8:11], v1 offset1:4
	v_mov_b32_e32 v20, 0
	v_add_co_u32 v2, vcc_lo, v2, v17
	s_wait_alu 0xfffd
	v_add_co_ci_u32_e64 v3, null, v3, v18, vcc_lo
	s_delay_alu instid0(VALU_DEP_3)
	v_lshlrev_b64_e32 v[0:1], 3, v[19:20]
	s_wait_loadcnt_dscnt 0x0
	s_barrier_signal -1
	s_barrier_wait -1
	global_inv scope:SCOPE_SE
	v_add_co_u32 v2, vcc_lo, v2, v0
	s_wait_alu 0xfffd
	v_add_co_ci_u32_e64 v3, null, v3, v1, vcc_lo
	v_cmp_lt_u32_e32 vcc_lo, v19, v119
	s_and_saveexec_b32 s1, vcc_lo
	s_cbranch_execz .LBB1226_345
; %bb.344:
	v_cmp_lt_i64_e64 s0, -1, v[12:13]
	v_ashrrev_i32_e32 v4, 31, v13
	s_delay_alu instid0(VALU_DEP_1) | instskip(SKIP_1) | instid1(VALU_DEP_3)
	v_not_b32_e32 v4, v4
	s_wait_alu 0xf1ff
	v_cndmask_b32_e64 v5, 0x80000000, -1, s0
	s_delay_alu instid0(VALU_DEP_2) | instskip(NEXT) | instid1(VALU_DEP_2)
	v_xor_b32_e32 v4, v4, v12
	v_xor_b32_e32 v5, v5, v13
	flat_store_b64 v[2:3], v[4:5]
.LBB1226_345:
	s_wait_alu 0xfffe
	s_or_b32 exec_lo, exec_lo, s1
	v_add_nc_u32_e32 v4, 0x100, v19
	s_delay_alu instid0(VALU_DEP_1)
	v_cmp_lt_u32_e64 s0, v4, v119
	s_and_saveexec_b32 s2, s0
	s_cbranch_execz .LBB1226_347
; %bb.346:
	v_cmp_lt_i64_e64 s1, -1, v[14:15]
	v_ashrrev_i32_e32 v4, 31, v15
	s_delay_alu instid0(VALU_DEP_1) | instskip(SKIP_1) | instid1(VALU_DEP_3)
	v_not_b32_e32 v4, v4
	s_wait_alu 0xf1ff
	v_cndmask_b32_e64 v5, 0x80000000, -1, s1
	s_delay_alu instid0(VALU_DEP_2) | instskip(NEXT) | instid1(VALU_DEP_2)
	v_xor_b32_e32 v4, v4, v14
	v_xor_b32_e32 v5, v5, v15
	flat_store_b64 v[2:3], v[4:5] offset:2048
.LBB1226_347:
	s_wait_alu 0xfffe
	s_or_b32 exec_lo, exec_lo, s2
	v_add_co_u32 v2, s1, v6, v17
	s_wait_alu 0xf1ff
	v_add_co_ci_u32_e64 v3, null, v7, v18, s1
	s_delay_alu instid0(VALU_DEP_2) | instskip(SKIP_1) | instid1(VALU_DEP_2)
	v_add_co_u32 v0, s1, v2, v0
	s_wait_alu 0xf1ff
	v_add_co_ci_u32_e64 v1, null, v3, v1, s1
	s_and_saveexec_b32 s1, vcc_lo
	s_cbranch_execz .LBB1226_349
; %bb.348:
	flat_store_b64 v[0:1], v[8:9]
.LBB1226_349:
	s_wait_alu 0xfffe
	s_or_b32 exec_lo, exec_lo, s1
	s_and_saveexec_b32 s1, s0
	s_cbranch_execz .LBB1226_351
; %bb.350:
	flat_store_b64 v[0:1], v[10:11] offset:2048
.LBB1226_351:
	s_wait_alu 0xfffe
	s_or_b32 exec_lo, exec_lo, s1
                                        ; implicit-def: $vgpr19_vgpr20
                                        ; implicit-def: $vgpr17_vgpr18
                                        ; implicit-def: $vgpr119
                                        ; implicit-def: $vgpr0
                                        ; implicit-def: $vgpr1
                                        ; implicit-def: $vgpr2
                                        ; implicit-def: $vgpr3
                                        ; implicit-def: $vgpr4
                                        ; implicit-def: $vgpr5
                                        ; implicit-def: $vgpr6
                                        ; implicit-def: $vgpr7
                                        ; implicit-def: $vgpr10
                                        ; implicit-def: $vgpr11
                                        ; implicit-def: $vgpr12
                                        ; implicit-def: $vgpr21
                                        ; implicit-def: $vgpr54
.LBB1226_352:
	s_wait_alu 0xfffe
	s_and_not1_saveexec_b32 s0, s16
	s_cbranch_execz .LBB1226_372
; %bb.353:
	v_and_b32_e32 v15, 0xffffffe0, v19
	v_dual_mov_b32 v13, -1 :: v_dual_lshlrev_b32 v20, 3, v54
	v_bfrev_b32_e32 v14, -2
	s_delay_alu instid0(VALU_DEP_3) | instskip(NEXT) | instid1(VALU_DEP_1)
	v_or_b32_e32 v8, v54, v15
	v_cmp_lt_u32_e32 vcc_lo, v8, v119
	s_and_saveexec_b32 s1, vcc_lo
	s_cbranch_execz .LBB1226_355
; %bb.354:
	v_mov_b32_e32 v16, 0
	v_add_co_u32 v8, s0, v0, v17
	s_wait_alu 0xf1fe
	v_add_co_ci_u32_e64 v9, null, v1, v18, s0
	s_delay_alu instid0(VALU_DEP_3) | instskip(NEXT) | instid1(VALU_DEP_3)
	v_lshlrev_b64_e32 v[0:1], 3, v[15:16]
	v_add_co_u32 v8, s0, v8, v20
	s_wait_alu 0xf1ff
	s_delay_alu instid0(VALU_DEP_3) | instskip(NEXT) | instid1(VALU_DEP_2)
	v_add_co_ci_u32_e64 v9, null, 0, v9, s0
	v_add_co_u32 v0, s0, v8, v0
	s_wait_alu 0xf1ff
	s_delay_alu instid0(VALU_DEP_2)
	v_add_co_ci_u32_e64 v1, null, v9, v1, s0
	flat_load_b64 v[13:14], v[0:1]
.LBB1226_355:
	s_wait_alu 0xfffe
	s_or_b32 exec_lo, exec_lo, s1
                                        ; implicit-def: $vgpr8_vgpr9
	s_and_saveexec_b32 s0, vcc_lo
	s_cbranch_execz .LBB1226_357
; %bb.356:
	v_mov_b32_e32 v16, 0
	v_add_co_u32 v4, vcc_lo, v4, v17
	s_wait_alu 0xfffd
	v_add_co_ci_u32_e64 v5, null, v5, v18, vcc_lo
	s_delay_alu instid0(VALU_DEP_3) | instskip(NEXT) | instid1(VALU_DEP_3)
	v_lshlrev_b64_e32 v[0:1], 3, v[15:16]
	v_add_co_u32 v4, vcc_lo, v4, v20
	s_wait_alu 0xfffd
	s_delay_alu instid0(VALU_DEP_3) | instskip(NEXT) | instid1(VALU_DEP_2)
	v_add_co_ci_u32_e64 v5, null, 0, v5, vcc_lo
	v_add_co_u32 v0, vcc_lo, v4, v0
	s_wait_alu 0xfffd
	s_delay_alu instid0(VALU_DEP_2)
	v_add_co_ci_u32_e64 v1, null, v5, v1, vcc_lo
	flat_load_b64 v[8:9], v[0:1]
.LBB1226_357:
	s_wait_alu 0xfffe
	s_or_b32 exec_lo, exec_lo, s0
	s_wait_loadcnt_dscnt 0x0
	v_cmp_lt_i64_e32 vcc_lo, -1, v[13:14]
	v_lshl_add_u32 v4, v21, 5, v12
	v_ashrrev_i32_e32 v1, 31, v14
	s_getpc_b64 s[0:1]
	s_wait_alu 0xfffe
	s_sext_i32_i16 s1, s1
	s_add_co_u32 s0, s0, _ZN7rocprim17ROCPRIM_400000_NS16block_radix_sortIdLj256ELj1ElLj1ELj1ELj8ELNS0_26block_radix_rank_algorithmE2ELNS0_18block_padding_hintE2ELNS0_4arch9wavefront6targetE0EE19radix_bits_per_passE@rel32@lo+12
	s_wait_alu 0xfffe
	s_add_co_ci_u32 s1, s1, _ZN7rocprim17ROCPRIM_400000_NS16block_radix_sortIdLj256ELj1ElLj1ELj1ELj8ELNS0_26block_radix_rank_algorithmE2ELNS0_18block_padding_hintE2ELNS0_4arch9wavefront6targetE0EE19radix_bits_per_passE@rel32@hi+24
	v_and_b32_e32 v5, 16, v54
	s_load_b32 s16, s[0:1], 0x0
	v_cndmask_b32_e64 v0, -1, 0x80000000, vcc_lo
	v_add_nc_u32_e32 v20, 32, v4
	v_add_nc_u32_e32 v22, 36, v4
	;; [unrolled: 1-line block ×8, first 2 shown]
	v_and_b32_e32 v4, 0x3e0, v21
	v_xor_b32_e32 v16, v0, v14
	v_xor_b32_e32 v15, v1, v13
	v_and_b32_e32 v0, 15, v54
	v_sub_co_u32 v13, s2, v54, 1
	v_min_u32_e32 v1, 0xe0, v4
	v_cmp_eq_u32_e64 s4, 0, v5
	s_delay_alu instid0(VALU_DEP_4)
	v_cmp_eq_u32_e32 vcc_lo, 0, v0
	v_cmp_lt_u32_e64 s0, 1, v0
	v_cmp_lt_u32_e64 s1, 3, v0
	;; [unrolled: 1-line block ×3, first 2 shown]
	v_or_b32_e32 v0, 31, v1
	v_lshrrev_b32_e32 v1, 3, v21
	v_cmp_gt_i32_e64 s5, 0, v13
	v_lshrrev_b32_e32 v29, 5, v19
	v_cmp_gt_u32_e64 s6, 8, v21
	v_cmp_lt_u32_e64 s7, 31, v21
	v_cmp_eq_u32_e64 s8, 0, v21
	s_wait_alu 0xf1ff
	v_cndmask_b32_e64 v5, v13, v54, s5
	v_cmp_eq_u32_e64 s5, v21, v0
	v_dual_mov_b32 v1, 0 :: v_dual_and_b32 v0, 0x7c, v1
	v_lshl_add_u32 v32, v21, 2, v12
	s_delay_alu instid0(VALU_DEP_4) | instskip(SKIP_1) | instid1(VALU_DEP_4)
	v_lshlrev_b32_e32 v30, 2, v5
	v_and_b32_e32 v5, 7, v54
	v_add_nc_u32_e32 v31, v12, v0
	v_or_b32_e32 v0, v54, v4
	v_sub_nc_u32_e32 v35, v11, v10
	s_mov_b32 s14, -1
	v_cmp_eq_u32_e64 s9, 0, v5
	v_cmp_lt_u32_e64 s10, 1, v5
	v_cmp_lt_u32_e64 s11, 3, v5
	v_add_nc_u32_e32 v33, -4, v31
	v_lshl_add_u32 v34, v0, 3, v12
	s_brev_b32 s15, -2
	s_mov_b32 s17, 0
	s_wait_storecnt 0x0
	s_barrier_signal -1
	s_barrier_wait -1
	global_inv scope:SCOPE_SE
	s_branch .LBB1226_359
.LBB1226_358:                           ;   in Loop: Header=BB1226_359 Depth=1
	s_wait_alu 0xfffe
	s_or_b32 exec_lo, exec_lo, s13
	s_delay_alu instid0(SALU_CYCLE_1)
	s_and_b32 s12, exec_lo, s19
	s_wait_alu 0xfffe
	s_or_b32 s17, s12, s17
	s_wait_alu 0xfffe
	s_and_not1_b32 exec_lo, exec_lo, s17
	s_cbranch_execz .LBB1226_369
.LBB1226_359:                           ; =>This Inner Loop Header: Depth=1
	v_dual_mov_b32 v4, v15 :: v_dual_mov_b32 v5, v16
	s_wait_kmcnt 0x0
	v_min_u32_e32 v0, s16, v35
	ds_store_b32 v20, v1
	ds_store_b32 v22, v1
	;; [unrolled: 1-line block ×6, first 2 shown]
	s_wait_alu 0xfffe
	v_cmp_ne_u64_e64 s12, s[14:15], v[4:5]
	ds_store_b32 v27, v1
	ds_store_b32 v28, v1
	s_wait_loadcnt_dscnt 0x0
	s_barrier_signal -1
	s_barrier_wait -1
	s_wait_alu 0xf1ff
	v_cndmask_b32_e64 v14, 0x80000000, v5, s12
	v_cndmask_b32_e64 v13, 0, v4, s12
	global_inv scope:SCOPE_SE
	; wave barrier
	v_lshrrev_b64 v[13:14], v10, v[13:14]
	s_delay_alu instid0(VALU_DEP_1) | instskip(NEXT) | instid1(VALU_DEP_1)
	v_bfe_u32 v0, v13, 0, v0
	v_and_b32_e32 v13, 1, v0
	v_lshlrev_b32_e32 v14, 30, v0
	v_lshlrev_b32_e32 v15, 29, v0
	;; [unrolled: 1-line block ×4, first 2 shown]
	v_add_co_u32 v13, s12, v13, -1
	s_wait_alu 0xf1ff
	v_cndmask_b32_e64 v36, 0, 1, s12
	v_not_b32_e32 v48, v14
	v_cmp_gt_i32_e64 s13, 0, v14
	v_not_b32_e32 v14, v15
	v_lshlrev_b32_e32 v38, 26, v0
	v_cmp_ne_u32_e64 s12, 0, v36
	v_ashrrev_i32_e32 v48, 31, v48
	v_lshlrev_b32_e32 v39, 25, v0
	v_ashrrev_i32_e32 v14, 31, v14
	v_lshlrev_b32_e32 v36, 24, v0
	s_wait_alu 0xf1ff
	v_xor_b32_e32 v13, s12, v13
	v_cmp_gt_i32_e64 s12, 0, v15
	v_not_b32_e32 v15, v16
	v_xor_b32_e32 v48, s13, v48
	v_cmp_gt_i32_e64 s13, 0, v16
	v_and_b32_e32 v13, exec_lo, v13
	v_not_b32_e32 v16, v37
	v_ashrrev_i32_e32 v15, 31, v15
	s_wait_alu 0xf1ff
	v_xor_b32_e32 v14, s12, v14
	v_cmp_gt_i32_e64 s12, 0, v37
	v_and_b32_e32 v13, v13, v48
	v_not_b32_e32 v37, v38
	v_ashrrev_i32_e32 v16, 31, v16
	v_xor_b32_e32 v15, s13, v15
	v_cmp_gt_i32_e64 s13, 0, v38
	v_and_b32_e32 v13, v13, v14
	v_not_b32_e32 v14, v39
	v_ashrrev_i32_e32 v37, 31, v37
	s_wait_alu 0xf1ff
	v_xor_b32_e32 v16, s12, v16
	v_cmp_gt_i32_e64 s12, 0, v39
	v_and_b32_e32 v13, v13, v15
	v_not_b32_e32 v15, v36
	v_ashrrev_i32_e32 v38, 31, v14
	v_xor_b32_e32 v37, s13, v37
	v_cmp_gt_i32_e64 s13, 0, v36
	v_and_b32_e32 v16, v13, v16
	v_dual_mov_b32 v14, v9 :: v_dual_mov_b32 v13, v8
	v_ashrrev_i32_e32 v8, 31, v15
	s_wait_alu 0xf1ff
	v_xor_b32_e32 v9, s12, v38
	v_and_b32_e32 v15, v16, v37
	v_lshl_add_u32 v0, v0, 3, v29
	v_xor_b32_e32 v8, s13, v8
	s_delay_alu instid0(VALU_DEP_3) | instskip(NEXT) | instid1(VALU_DEP_3)
	v_and_b32_e32 v9, v15, v9
	v_lshlrev_b64_e32 v[15:16], 2, v[0:1]
	s_delay_alu instid0(VALU_DEP_2) | instskip(NEXT) | instid1(VALU_DEP_2)
	v_and_b32_e32 v9, v9, v8
	v_add_co_u32 v8, null, v12, v15
	s_delay_alu instid0(VALU_DEP_2) | instskip(SKIP_1) | instid1(VALU_DEP_3)
	v_mbcnt_lo_u32_b32 v0, v9, 0
	v_cmp_ne_u32_e64 s13, 0, v9
	v_add_co_u32 v8, null, v8, 32
	s_delay_alu instid0(VALU_DEP_3)
	v_cmp_eq_u32_e64 s12, 0, v0
	s_and_b32 s13, s13, s12
	s_wait_alu 0xfffe
	s_and_saveexec_b32 s12, s13
; %bb.360:                              ;   in Loop: Header=BB1226_359 Depth=1
	v_bcnt_u32_b32 v9, v9, 0
	ds_store_b32 v8, v9
; %bb.361:                              ;   in Loop: Header=BB1226_359 Depth=1
	s_wait_alu 0xfffe
	s_or_b32 exec_lo, exec_lo, s12
	; wave barrier
	s_wait_loadcnt_dscnt 0x0
	s_barrier_signal -1
	s_barrier_wait -1
	global_inv scope:SCOPE_SE
	ds_load_b32 v15, v20
	ds_load_b32 v16, v22
	;; [unrolled: 1-line block ×8, first 2 shown]
	s_wait_dscnt 0x6
	v_add_nc_u32_e32 v49, v16, v15
	s_wait_dscnt 0x4
	s_delay_alu instid0(VALU_DEP_1) | instskip(SKIP_1) | instid1(VALU_DEP_1)
	v_add3_u32 v49, v49, v36, v37
	s_wait_dscnt 0x2
	v_add3_u32 v49, v49, v38, v39
	s_wait_dscnt 0x0
	s_delay_alu instid0(VALU_DEP_1) | instskip(NEXT) | instid1(VALU_DEP_1)
	v_add3_u32 v48, v49, v9, v48
	v_mov_b32_dpp v49, v48 row_shr:1 row_mask:0xf bank_mask:0xf
	s_wait_alu 0xfffd
	s_delay_alu instid0(VALU_DEP_1) | instskip(NEXT) | instid1(VALU_DEP_1)
	v_cndmask_b32_e64 v49, v49, 0, vcc_lo
	v_add_nc_u32_e32 v48, v49, v48
	s_delay_alu instid0(VALU_DEP_1) | instskip(NEXT) | instid1(VALU_DEP_1)
	v_mov_b32_dpp v49, v48 row_shr:2 row_mask:0xf bank_mask:0xf
	v_cndmask_b32_e64 v49, 0, v49, s0
	s_delay_alu instid0(VALU_DEP_1) | instskip(NEXT) | instid1(VALU_DEP_1)
	v_add_nc_u32_e32 v48, v48, v49
	v_mov_b32_dpp v49, v48 row_shr:4 row_mask:0xf bank_mask:0xf
	s_delay_alu instid0(VALU_DEP_1) | instskip(NEXT) | instid1(VALU_DEP_1)
	v_cndmask_b32_e64 v49, 0, v49, s1
	v_add_nc_u32_e32 v48, v48, v49
	s_delay_alu instid0(VALU_DEP_1) | instskip(NEXT) | instid1(VALU_DEP_1)
	v_mov_b32_dpp v49, v48 row_shr:8 row_mask:0xf bank_mask:0xf
	v_cndmask_b32_e64 v49, 0, v49, s3
	s_delay_alu instid0(VALU_DEP_1) | instskip(SKIP_3) | instid1(VALU_DEP_1)
	v_add_nc_u32_e32 v48, v48, v49
	ds_swizzle_b32 v49, v48 offset:swizzle(BROADCAST,32,15)
	s_wait_dscnt 0x0
	v_cndmask_b32_e64 v49, v49, 0, s4
	v_add_nc_u32_e32 v48, v48, v49
	s_and_saveexec_b32 s12, s5
; %bb.362:                              ;   in Loop: Header=BB1226_359 Depth=1
	ds_store_b32 v31, v48
; %bb.363:                              ;   in Loop: Header=BB1226_359 Depth=1
	s_wait_alu 0xfffe
	s_or_b32 exec_lo, exec_lo, s12
	s_wait_loadcnt_dscnt 0x0
	s_barrier_signal -1
	s_barrier_wait -1
	global_inv scope:SCOPE_SE
	s_and_saveexec_b32 s12, s6
	s_cbranch_execz .LBB1226_365
; %bb.364:                              ;   in Loop: Header=BB1226_359 Depth=1
	ds_load_b32 v49, v32
	s_wait_dscnt 0x0
	v_mov_b32_dpp v50, v49 row_shr:1 row_mask:0xf bank_mask:0xf
	s_delay_alu instid0(VALU_DEP_1) | instskip(NEXT) | instid1(VALU_DEP_1)
	v_cndmask_b32_e64 v50, v50, 0, s9
	v_add_nc_u32_e32 v49, v50, v49
	s_delay_alu instid0(VALU_DEP_1) | instskip(NEXT) | instid1(VALU_DEP_1)
	v_mov_b32_dpp v50, v49 row_shr:2 row_mask:0xf bank_mask:0xf
	v_cndmask_b32_e64 v50, 0, v50, s10
	s_delay_alu instid0(VALU_DEP_1) | instskip(NEXT) | instid1(VALU_DEP_1)
	v_add_nc_u32_e32 v49, v49, v50
	v_mov_b32_dpp v50, v49 row_shr:4 row_mask:0xf bank_mask:0xf
	s_delay_alu instid0(VALU_DEP_1) | instskip(NEXT) | instid1(VALU_DEP_1)
	v_cndmask_b32_e64 v50, 0, v50, s11
	v_add_nc_u32_e32 v49, v49, v50
	ds_store_b32 v32, v49
.LBB1226_365:                           ;   in Loop: Header=BB1226_359 Depth=1
	s_wait_alu 0xfffe
	s_or_b32 exec_lo, exec_lo, s12
	v_mov_b32_e32 v49, 0
	s_wait_loadcnt_dscnt 0x0
	s_barrier_signal -1
	s_barrier_wait -1
	global_inv scope:SCOPE_SE
	s_and_saveexec_b32 s12, s7
; %bb.366:                              ;   in Loop: Header=BB1226_359 Depth=1
	ds_load_b32 v49, v33
; %bb.367:                              ;   in Loop: Header=BB1226_359 Depth=1
	s_wait_alu 0xfffe
	s_or_b32 exec_lo, exec_lo, s12
	s_wait_dscnt 0x0
	v_add_nc_u32_e32 v48, v49, v48
	v_add_nc_u32_e32 v10, 8, v10
	s_mov_b32 s19, -1
	s_mov_b32 s13, exec_lo
	ds_bpermute_b32 v48, v30, v48
	s_wait_dscnt 0x0
	v_cndmask_b32_e64 v48, v48, v49, s2
	s_delay_alu instid0(VALU_DEP_1) | instskip(NEXT) | instid1(VALU_DEP_1)
	v_cndmask_b32_e64 v48, v48, 0, s8
	v_add_nc_u32_e32 v15, v48, v15
	s_delay_alu instid0(VALU_DEP_1) | instskip(SKIP_4) | instid1(VALU_DEP_1)
	v_add_nc_u32_e32 v16, v15, v16
	ds_store_b32 v20, v48
	ds_store_b32 v22, v15
	;; [unrolled: 1-line block ×3, first 2 shown]
	v_add_nc_u32_e32 v36, v16, v36
                                        ; implicit-def: $vgpr15_vgpr16
	v_add_nc_u32_e32 v37, v36, v37
	s_delay_alu instid0(VALU_DEP_1) | instskip(NEXT) | instid1(VALU_DEP_1)
	v_add_nc_u32_e32 v38, v37, v38
	v_add_nc_u32_e32 v39, v38, v39
	s_delay_alu instid0(VALU_DEP_1)
	v_add_nc_u32_e32 v9, v39, v9
	ds_store_b32 v24, v36
	ds_store_b32 v25, v37
	;; [unrolled: 1-line block ×5, first 2 shown]
	s_wait_loadcnt_dscnt 0x0
	s_barrier_signal -1
	s_barrier_wait -1
	global_inv scope:SCOPE_SE
	ds_load_b32 v8, v8
	s_wait_loadcnt_dscnt 0x0
	v_add_nc_u32_e32 v0, v8, v0
	s_delay_alu instid0(VALU_DEP_1) | instskip(NEXT) | instid1(VALU_DEP_1)
	v_lshlrev_b64_e32 v[8:9], 3, v[0:1]
	v_add_co_u32 v36, null, v12, v8
                                        ; implicit-def: $vgpr8_vgpr9
	v_cmpx_lt_u32_e64 v10, v11
	s_cbranch_execz .LBB1226_358
; %bb.368:                              ;   in Loop: Header=BB1226_359 Depth=1
	s_barrier_signal -1
	s_barrier_wait -1
	global_inv scope:SCOPE_SE
	ds_store_b64 v36, v[4:5]
	s_wait_loadcnt_dscnt 0x0
	s_barrier_signal -1
	s_barrier_wait -1
	global_inv scope:SCOPE_SE
	ds_load_b64 v[15:16], v34
	s_wait_loadcnt_dscnt 0x0
	s_barrier_signal -1
	s_barrier_wait -1
	global_inv scope:SCOPE_SE
	ds_store_b64 v36, v[13:14]
	s_wait_loadcnt_dscnt 0x0
	s_barrier_signal -1
	s_barrier_wait -1
	global_inv scope:SCOPE_SE
	ds_load_b64 v[8:9], v34
	v_add_nc_u32_e32 v35, -8, v35
	s_xor_b32 s19, exec_lo, -1
	s_wait_loadcnt_dscnt 0x0
	s_barrier_signal -1
	s_barrier_wait -1
	global_inv scope:SCOPE_SE
	s_branch .LBB1226_358
.LBB1226_369:
	s_or_b32 exec_lo, exec_lo, s17
	s_barrier_signal -1
	s_barrier_wait -1
	s_wait_loadcnt 0x0
	global_inv scope:SCOPE_SE
	ds_store_b64 v36, v[4:5]
	v_lshl_add_u32 v4, v21, 3, v12
	s_wait_loadcnt_dscnt 0x0
	s_barrier_signal -1
	s_barrier_wait -1
	global_inv scope:SCOPE_SE
	ds_load_b64 v[0:1], v4
	s_wait_loadcnt_dscnt 0x0
	s_barrier_signal -1
	s_barrier_wait -1
	global_inv scope:SCOPE_SE
	ds_store_b64 v36, v[13:14]
	s_wait_loadcnt_dscnt 0x0
	s_barrier_signal -1
	s_barrier_wait -1
	global_inv scope:SCOPE_SE
	ds_load_b64 v[4:5], v4
	s_mov_b32 s0, exec_lo
	s_wait_loadcnt_dscnt 0x0
	s_barrier_signal -1
	s_barrier_wait -1
	global_inv scope:SCOPE_SE
	v_cmpx_lt_u32_e64 v19, v119
	s_cbranch_execz .LBB1226_371
; %bb.370:
	v_mov_b32_e32 v20, 0
	v_add_co_u32 v2, vcc_lo, v2, v17
	s_wait_alu 0xfffd
	v_add_co_ci_u32_e64 v3, null, v3, v18, vcc_lo
	s_delay_alu instid0(VALU_DEP_3) | instskip(SKIP_4) | instid1(VALU_DEP_4)
	v_lshlrev_b64_e32 v[8:9], 3, v[19:20]
	v_cmp_lt_i64_e32 vcc_lo, -1, v[0:1]
	v_ashrrev_i32_e32 v11, 31, v1
	s_wait_alu 0xfffd
	v_cndmask_b32_e64 v10, 0x80000000, -1, vcc_lo
	v_add_co_u32 v2, vcc_lo, v2, v8
	s_wait_alu 0xfffd
	v_add_co_ci_u32_e64 v3, null, v3, v9, vcc_lo
	v_add_co_u32 v6, vcc_lo, v6, v17
	v_not_b32_e32 v11, v11
	s_wait_alu 0xfffd
	v_add_co_ci_u32_e64 v7, null, v7, v18, vcc_lo
	s_delay_alu instid0(VALU_DEP_3)
	v_add_co_u32 v6, vcc_lo, v6, v8
	v_xor_b32_e32 v1, v10, v1
	v_xor_b32_e32 v0, v11, v0
	s_wait_alu 0xfffd
	v_add_co_ci_u32_e64 v7, null, v7, v9, vcc_lo
	flat_store_b64 v[2:3], v[0:1]
	flat_store_b64 v[6:7], v[4:5]
.LBB1226_371:
	s_wait_alu 0xfffe
	s_or_b32 exec_lo, exec_lo, s0
.LBB1226_372:
	s_wait_alu 0xfffe
	s_or_b32 exec_lo, exec_lo, s18
	s_clause 0x1f
	scratch_load_b32 v122, off, s32
	scratch_load_b32 v121, off, s32 offset:4
	scratch_load_b32 v120, off, s32 offset:8
	;; [unrolled: 1-line block ×31, first 2 shown]
	s_clause 0xa
	scratch_load_b32 v58, off, s32 offset:128
	scratch_load_b32 v57, off, s32 offset:132
	;; [unrolled: 1-line block ×11, first 2 shown]
	s_wait_loadcnt_dscnt 0x0
	s_setpc_b64 s[30:31]
.Lfunc_end1226:
	.size	_ZN7rocprim17ROCPRIM_400000_NS6detail40segmented_radix_sort_single_block_helperIdlLj256ELj16ELb0EE4sortIPKdPdPKlPlEEbT_T0_T1_T2_jjjjRNS3_12storage_typeE, .Lfunc_end1226-_ZN7rocprim17ROCPRIM_400000_NS6detail40segmented_radix_sort_single_block_helperIdlLj256ELj16ELb0EE4sortIPKdPdPKlPlEEbT_T0_T1_T2_jjjjRNS3_12storage_typeE
                                        ; -- End function
	.set .L_ZN7rocprim17ROCPRIM_400000_NS6detail40segmented_radix_sort_single_block_helperIdlLj256ELj16ELb0EE4sortIPKdPdPKlPlEEbT_T0_T1_T2_jjjjRNS3_12storage_typeE.num_vgpr, 248
	.set .L_ZN7rocprim17ROCPRIM_400000_NS6detail40segmented_radix_sort_single_block_helperIdlLj256ELj16ELb0EE4sortIPKdPdPKlPlEEbT_T0_T1_T2_jjjjRNS3_12storage_typeE.num_agpr, 0
	.set .L_ZN7rocprim17ROCPRIM_400000_NS6detail40segmented_radix_sort_single_block_helperIdlLj256ELj16ELb0EE4sortIPKdPdPKlPlEEbT_T0_T1_T2_jjjjRNS3_12storage_typeE.numbered_sgpr, 33
	.set .L_ZN7rocprim17ROCPRIM_400000_NS6detail40segmented_radix_sort_single_block_helperIdlLj256ELj16ELb0EE4sortIPKdPdPKlPlEEbT_T0_T1_T2_jjjjRNS3_12storage_typeE.num_named_barrier, 0
	.set .L_ZN7rocprim17ROCPRIM_400000_NS6detail40segmented_radix_sort_single_block_helperIdlLj256ELj16ELb0EE4sortIPKdPdPKlPlEEbT_T0_T1_T2_jjjjRNS3_12storage_typeE.private_seg_size, 176
	.set .L_ZN7rocprim17ROCPRIM_400000_NS6detail40segmented_radix_sort_single_block_helperIdlLj256ELj16ELb0EE4sortIPKdPdPKlPlEEbT_T0_T1_T2_jjjjRNS3_12storage_typeE.uses_vcc, 1
	.set .L_ZN7rocprim17ROCPRIM_400000_NS6detail40segmented_radix_sort_single_block_helperIdlLj256ELj16ELb0EE4sortIPKdPdPKlPlEEbT_T0_T1_T2_jjjjRNS3_12storage_typeE.uses_flat_scratch, 1
	.set .L_ZN7rocprim17ROCPRIM_400000_NS6detail40segmented_radix_sort_single_block_helperIdlLj256ELj16ELb0EE4sortIPKdPdPKlPlEEbT_T0_T1_T2_jjjjRNS3_12storage_typeE.has_dyn_sized_stack, 0
	.set .L_ZN7rocprim17ROCPRIM_400000_NS6detail40segmented_radix_sort_single_block_helperIdlLj256ELj16ELb0EE4sortIPKdPdPKlPlEEbT_T0_T1_T2_jjjjRNS3_12storage_typeE.has_recursion, 0
	.set .L_ZN7rocprim17ROCPRIM_400000_NS6detail40segmented_radix_sort_single_block_helperIdlLj256ELj16ELb0EE4sortIPKdPdPKlPlEEbT_T0_T1_T2_jjjjRNS3_12storage_typeE.has_indirect_call, 0
	.section	.AMDGPU.csdata,"",@progbits
; Function info:
; codeLenInByte = 34368
; TotalNumSgprs: 35
; NumVgprs: 248
; ScratchSize: 176
; MemoryBound: 1
	.section	.text._ZN7rocprim17ROCPRIM_400000_NS6detail17trampoline_kernelINS0_14default_configENS1_36segmented_radix_sort_config_selectorIdlEEZNS1_25segmented_radix_sort_implIS3_Lb0EPKdPdPKlPlN2at6native12_GLOBAL__N_18offset_tEEE10hipError_tPvRmT1_PNSt15iterator_traitsISK_E10value_typeET2_T3_PNSL_ISQ_E10value_typeET4_jRbjT5_SW_jjP12ihipStream_tbEUlT_E_NS1_11comp_targetILNS1_3genE10ELNS1_11target_archE1201ELNS1_3gpuE5ELNS1_3repE0EEENS1_30default_config_static_selectorELNS0_4arch9wavefront6targetE0EEEvSK_,"axG",@progbits,_ZN7rocprim17ROCPRIM_400000_NS6detail17trampoline_kernelINS0_14default_configENS1_36segmented_radix_sort_config_selectorIdlEEZNS1_25segmented_radix_sort_implIS3_Lb0EPKdPdPKlPlN2at6native12_GLOBAL__N_18offset_tEEE10hipError_tPvRmT1_PNSt15iterator_traitsISK_E10value_typeET2_T3_PNSL_ISQ_E10value_typeET4_jRbjT5_SW_jjP12ihipStream_tbEUlT_E_NS1_11comp_targetILNS1_3genE10ELNS1_11target_archE1201ELNS1_3gpuE5ELNS1_3repE0EEENS1_30default_config_static_selectorELNS0_4arch9wavefront6targetE0EEEvSK_,comdat
	.globl	_ZN7rocprim17ROCPRIM_400000_NS6detail17trampoline_kernelINS0_14default_configENS1_36segmented_radix_sort_config_selectorIdlEEZNS1_25segmented_radix_sort_implIS3_Lb0EPKdPdPKlPlN2at6native12_GLOBAL__N_18offset_tEEE10hipError_tPvRmT1_PNSt15iterator_traitsISK_E10value_typeET2_T3_PNSL_ISQ_E10value_typeET4_jRbjT5_SW_jjP12ihipStream_tbEUlT_E_NS1_11comp_targetILNS1_3genE10ELNS1_11target_archE1201ELNS1_3gpuE5ELNS1_3repE0EEENS1_30default_config_static_selectorELNS0_4arch9wavefront6targetE0EEEvSK_ ; -- Begin function _ZN7rocprim17ROCPRIM_400000_NS6detail17trampoline_kernelINS0_14default_configENS1_36segmented_radix_sort_config_selectorIdlEEZNS1_25segmented_radix_sort_implIS3_Lb0EPKdPdPKlPlN2at6native12_GLOBAL__N_18offset_tEEE10hipError_tPvRmT1_PNSt15iterator_traitsISK_E10value_typeET2_T3_PNSL_ISQ_E10value_typeET4_jRbjT5_SW_jjP12ihipStream_tbEUlT_E_NS1_11comp_targetILNS1_3genE10ELNS1_11target_archE1201ELNS1_3gpuE5ELNS1_3repE0EEENS1_30default_config_static_selectorELNS0_4arch9wavefront6targetE0EEEvSK_
	.p2align	8
	.type	_ZN7rocprim17ROCPRIM_400000_NS6detail17trampoline_kernelINS0_14default_configENS1_36segmented_radix_sort_config_selectorIdlEEZNS1_25segmented_radix_sort_implIS3_Lb0EPKdPdPKlPlN2at6native12_GLOBAL__N_18offset_tEEE10hipError_tPvRmT1_PNSt15iterator_traitsISK_E10value_typeET2_T3_PNSL_ISQ_E10value_typeET4_jRbjT5_SW_jjP12ihipStream_tbEUlT_E_NS1_11comp_targetILNS1_3genE10ELNS1_11target_archE1201ELNS1_3gpuE5ELNS1_3repE0EEENS1_30default_config_static_selectorELNS0_4arch9wavefront6targetE0EEEvSK_,@function
_ZN7rocprim17ROCPRIM_400000_NS6detail17trampoline_kernelINS0_14default_configENS1_36segmented_radix_sort_config_selectorIdlEEZNS1_25segmented_radix_sort_implIS3_Lb0EPKdPdPKlPlN2at6native12_GLOBAL__N_18offset_tEEE10hipError_tPvRmT1_PNSt15iterator_traitsISK_E10value_typeET2_T3_PNSL_ISQ_E10value_typeET4_jRbjT5_SW_jjP12ihipStream_tbEUlT_E_NS1_11comp_targetILNS1_3genE10ELNS1_11target_archE1201ELNS1_3gpuE5ELNS1_3repE0EEENS1_30default_config_static_selectorELNS0_4arch9wavefront6targetE0EEEvSK_: ; @_ZN7rocprim17ROCPRIM_400000_NS6detail17trampoline_kernelINS0_14default_configENS1_36segmented_radix_sort_config_selectorIdlEEZNS1_25segmented_radix_sort_implIS3_Lb0EPKdPdPKlPlN2at6native12_GLOBAL__N_18offset_tEEE10hipError_tPvRmT1_PNSt15iterator_traitsISK_E10value_typeET2_T3_PNSL_ISQ_E10value_typeET4_jRbjT5_SW_jjP12ihipStream_tbEUlT_E_NS1_11comp_targetILNS1_3genE10ELNS1_11target_archE1201ELNS1_3gpuE5ELNS1_3repE0EEENS1_30default_config_static_selectorELNS0_4arch9wavefront6targetE0EEEvSK_
; %bb.0:
	s_clause 0x1
	s_load_b64 s[8:9], s[0:1], 0x38
	s_load_b128 s[4:7], s[0:1], 0x40
	s_mov_b32 s2, ttmp9
	s_mov_b32 s3, 0
	s_mov_b32 s32, 0
	s_lshl_b64 s[2:3], s[2:3], 2
	s_wait_kmcnt 0x0
	s_add_nc_u64 s[2:3], s[8:9], s[2:3]
	s_load_b32 s2, s[2:3], 0x0
	s_wait_kmcnt 0x0
	s_add_co_i32 s33, s2, s5
	s_add_co_i32 s51, s2, s7
	s_mul_i32 s33, s33, s4
	s_mul_i32 s51, s51, s6
	s_delay_alu instid0(SALU_CYCLE_1)
	s_cmp_le_u32 s51, s33
	s_cbranch_scc1 .LBB1227_1182
; %bb.1:
	s_clause 0x3
	s_load_b32 s2, s[0:1], 0x30
	s_load_b128 s[44:47], s[0:1], 0x20
	s_load_b96 s[48:50], s[0:1], 0x50
	s_load_b256 s[36:43], s[0:1], 0x0
	s_wait_kmcnt 0x0
	s_bitcmp1_b32 s2, 0
	s_mov_b32 s2, -1
	s_cselect_b32 s54, -1, 0
	s_sub_co_i32 s55, s51, s33
	s_delay_alu instid0(SALU_CYCLE_1)
	s_cmp_lt_u32 s55, 0x1001
	s_cbranch_scc0 .LBB1227_7
; %bb.2:
	v_cndmask_b32_e64 v1, 0, 1, s54
	s_and_b32 s2, s48, 1
	s_delay_alu instid0(VALU_DEP_1) | instid1(SALU_CYCLE_1)
	v_cmp_ne_u32_e32 vcc_lo, s2, v1
	s_mov_b32 s2, -1
	s_cbranch_vccnz .LBB1227_4
; %bb.3:
	s_mov_b64 s[2:3], src_shared_base
	v_dual_mov_b32 v31, v0 :: v_dual_mov_b32 v40, v0
	v_dual_mov_b32 v0, s36 :: v_dual_mov_b32 v1, s37
	;; [unrolled: 1-line block ×7, first 2 shown]
	s_wait_alu 0xfffe
	v_dual_mov_b32 v12, 0 :: v_dual_mov_b32 v13, s3
	s_add_nc_u64 s[8:9], s[0:1], 0x60
	s_getpc_b64 s[4:5]
	s_sext_i32_i16 s5, s5
	s_add_co_u32 s4, s4, _ZN7rocprim17ROCPRIM_400000_NS6detail40segmented_radix_sort_single_block_helperIdlLj256ELj16ELb0EE4sortIPKdPdPKlPlEEbT_T0_T1_T2_jjjjRNS3_12storage_typeE@rel32@lo+8
	s_add_co_ci_u32 s5, s5, _ZN7rocprim17ROCPRIM_400000_NS6detail40segmented_radix_sort_single_block_helperIdlLj256ELj16ELb0EE4sortIPKdPdPKlPlEEbT_T0_T1_T2_jjjjRNS3_12storage_typeE@rel32@hi+16
	s_mov_b64 s[24:25], s[0:1]
	s_swappc_b64 s[30:31], s[4:5]
	v_mov_b32_e32 v0, v40
	s_mov_b64 s[0:1], s[24:25]
	s_mov_b32 s2, 0
.LBB1227_4:
	s_wait_alu 0xfffe
	s_and_not1_b32 vcc_lo, exec_lo, s2
	s_wait_alu 0xfffe
	s_cbranch_vccnz .LBB1227_6
; %bb.5:
	s_mov_b64 s[2:3], src_shared_base
	v_dual_mov_b32 v31, v0 :: v_dual_mov_b32 v40, v0
	v_dual_mov_b32 v0, s36 :: v_dual_mov_b32 v1, s37
	v_dual_mov_b32 v2, s38 :: v_dual_mov_b32 v3, s39
	v_dual_mov_b32 v4, s42 :: v_dual_mov_b32 v5, s43
	v_dual_mov_b32 v6, s44 :: v_dual_mov_b32 v7, s45
	v_dual_mov_b32 v8, s33 :: v_dual_mov_b32 v9, s51
	v_dual_mov_b32 v10, s49 :: v_dual_mov_b32 v11, s50
	s_wait_alu 0xfffe
	v_dual_mov_b32 v12, 0 :: v_dual_mov_b32 v13, s3
	s_add_nc_u64 s[8:9], s[0:1], 0x60
	s_getpc_b64 s[4:5]
	s_wait_alu 0xfffe
	s_sext_i32_i16 s5, s5
	s_add_co_u32 s4, s4, _ZN7rocprim17ROCPRIM_400000_NS6detail40segmented_radix_sort_single_block_helperIdlLj256ELj16ELb0EE4sortIPKdPdPKlPlEEbT_T0_T1_T2_jjjjRNS3_12storage_typeE@rel32@lo+12
	s_wait_alu 0xfffe
	s_add_co_ci_u32 s5, s5, _ZN7rocprim17ROCPRIM_400000_NS6detail40segmented_radix_sort_single_block_helperIdlLj256ELj16ELb0EE4sortIPKdPdPKlPlEEbT_T0_T1_T2_jjjjRNS3_12storage_typeE@rel32@hi+24
	s_mov_b64 s[24:25], s[0:1]
	s_wait_alu 0xfffe
	s_swappc_b64 s[30:31], s[4:5]
	v_mov_b32_e32 v0, v40
	s_mov_b64 s[0:1], s[24:25]
.LBB1227_6:
	s_mov_b32 s2, 0
.LBB1227_7:
	s_wait_alu 0xfffe
	s_and_not1_b32 vcc_lo, exec_lo, s2
	s_wait_alu 0xfffe
	s_cbranch_vccnz .LBB1227_1182
; %bb.8:
	s_cmp_ge_u32 s49, s50
	s_cbranch_scc1 .LBB1227_1182
; %bb.9:
	v_and_b32_e32 v1, 0x3ff, v0
	v_lshrrev_b32_e32 v5, 3, v0
	v_dual_mov_b32 v3, 0 :: v_dual_and_b32 v2, 3, v0
	v_bfe_u32 v104, v0, 20, 10
	s_delay_alu instid0(VALU_DEP_4) | instskip(NEXT) | instid1(VALU_DEP_4)
	v_lshlrev_b32_e32 v4, 3, v1
	v_and_b32_e32 v97, 28, v5
	v_lshlrev_b32_e32 v5, 4, v1
	v_lshlrev_b32_e32 v96, 2, v2
	s_add_nc_u64 s[52:53], s[0:1], 0x60
	v_add_co_u32 v82, s2, s40, v4
	s_delay_alu instid0(VALU_DEP_3)
	v_and_b32_e32 v102, 0xe00, v5
	s_wait_alu 0xf1ff
	v_add_co_ci_u32_e64 v83, null, s41, 0, s2
	v_or_b32_e32 v99, 0x8400, v97
	v_add_nc_u32_e32 v101, 0x83fc, v97
	v_lshlrev_b32_e32 v5, 3, v102
	v_bfe_u32 v0, v0, 10, 10
	v_mbcnt_lo_u32_b32 v125, -1, 0
	s_mov_b32 s35, 0
	s_mov_b32 s31, s49
	v_add_co_u32 v106, s6, s46, v5
	s_wait_alu 0xf1ff
	v_add_co_ci_u32_e64 v107, null, s47, 0, s6
	v_add_co_u32 v108, s6, s40, v5
	s_wait_alu 0xf1ff
	v_add_co_ci_u32_e64 v109, null, s41, 0, s6
	;; [unrolled: 3-line block ×5, first 2 shown]
	v_add_co_u32 v117, s6, s36, v4
	v_mov_b32_e32 v4, -1
	v_dual_mov_b32 v123, 1 :: v_dual_lshlrev_b32 v78, 2, v1
	v_or_b32_e32 v2, 31, v1
	s_wait_alu 0xf1ff
	v_add_co_ci_u32_e64 v118, null, s37, 0, s6
	s_delay_alu instid0(VALU_DEP_3) | instskip(SKIP_3) | instid1(VALU_DEP_4)
	v_mad_u32_u24 v98, v1, 12, v78
	v_add_co_u32 v119, s6, s42, v5
	v_cmp_eq_u32_e64 s3, v1, v2
	v_lshlrev_b32_e32 v2, 5, v1
	v_mad_u32_u24 v103, v1, 20, v98
	s_wait_alu 0xf1ff
	v_add_co_ci_u32_e64 v120, null, s43, 0, s6
	v_add_co_u32 v121, s6, s36, v5
	s_delay_alu instid0(VALU_DEP_3)
	v_sub_nc_u32_e32 v105, v103, v2
	v_or_b32_e32 v79, 0x100, v1
	v_or_b32_e32 v80, 0x200, v1
	;; [unrolled: 1-line block ×15, first 2 shown]
	v_cmp_gt_u32_e64 s2, 0x100, v1
	v_cmp_gt_u32_e64 s4, 8, v1
	v_add_nc_u32_e32 v100, 0x8400, v78
	v_cmp_lt_u32_e64 s5, 31, v1
	v_cmp_eq_u32_e64 s0, 0, v1
	v_cmp_ne_u32_e64 s1, 0xff, v1
	v_add_nc_u32_e32 v110, v105, v78
	s_wait_alu 0xf1ff
	v_add_co_ci_u32_e64 v122, null, s37, 0, s6
	v_lshlrev_b32_e32 v124, 3, v1
	v_bfrev_b32_e32 v5, -2
	s_mov_b32 s42, -1
	s_brev_b32 s43, -2
	s_mov_b32 s48, s49
	s_branch .LBB1227_12
.LBB1227_10:                            ;   in Loop: Header=BB1227_12 Depth=1
	s_wait_loadcnt_dscnt 0x0
	s_barrier_signal -1
	s_barrier_wait -1
.LBB1227_11:                            ;   in Loop: Header=BB1227_12 Depth=1
	s_add_co_i32 s48, s48, 8
	global_inv scope:SCOPE_SE
	s_wait_alu 0xfffe
	s_cmp_ge_u32 s48, s50
	s_cbranch_scc1 .LBB1227_1182
.LBB1227_12:                            ; =>This Loop Header: Depth=1
                                        ;     Child Loop BB1227_16 Depth 2
                                        ;     Child Loop BB1227_96 Depth 2
	;; [unrolled: 1-line block ×8, first 2 shown]
	s_wait_alu 0xfffe
	s_sub_co_i32 s6, s50, s48
	s_xor_b32 s54, s54, -1
	s_wait_alu 0xfffe
	s_min_u32 s56, s6, 8
	s_cmp_lg_u32 s48, s49
	s_mov_b32 s6, s42
	ds_store_2addr_stride64_b32 v78, v3, v3 offset1:4
	ds_store_2addr_stride64_b32 v78, v3, v3 offset0:8 offset1:12
	s_wait_storecnt_dscnt 0x0
	s_cbranch_scc0 .LBB1227_598
; %bb.13:                               ;   in Loop: Header=BB1227_12 Depth=1
	s_wait_alu 0xfffe
	s_lshl_b32 s6, -1, s56
	s_and_b32 vcc_lo, exec_lo, s54
	s_wait_alu 0xfffe
	s_not_b32 s57, s6
	s_mov_b32 s6, -1
	s_cbranch_vccz .LBB1227_305
; %bb.14:                               ;   in Loop: Header=BB1227_12 Depth=1
	s_mov_b32 s8, s55
	s_mov_b32 s34, s33
	s_barrier_signal -1
	s_barrier_wait -1
	global_inv scope:SCOPE_SE
                                        ; implicit-def: $vgpr6_vgpr7
                                        ; implicit-def: $vgpr8_vgpr9
                                        ; implicit-def: $vgpr10_vgpr11
                                        ; implicit-def: $vgpr12_vgpr13
                                        ; implicit-def: $vgpr14_vgpr15
                                        ; implicit-def: $vgpr16_vgpr17
                                        ; implicit-def: $vgpr18_vgpr19
                                        ; implicit-def: $vgpr20_vgpr21
                                        ; implicit-def: $vgpr22_vgpr23
                                        ; implicit-def: $vgpr24_vgpr25
                                        ; implicit-def: $vgpr26_vgpr27
                                        ; implicit-def: $vgpr28_vgpr29
                                        ; implicit-def: $vgpr30_vgpr31
                                        ; implicit-def: $vgpr32_vgpr33
                                        ; implicit-def: $vgpr34_vgpr35
                                        ; implicit-def: $vgpr36_vgpr37
	s_branch .LBB1227_16
.LBB1227_15:                            ;   in Loop: Header=BB1227_16 Depth=2
	s_wait_alu 0xfffe
	s_or_b32 exec_lo, exec_lo, s6
	s_addk_co_i32 s8, 0xf000
	s_cmp_ge_u32 s9, s51
	s_mov_b32 s34, s9
	s_cbranch_scc1 .LBB1227_84
.LBB1227_16:                            ;   Parent Loop BB1227_12 Depth=1
                                        ; =>  This Inner Loop Header: Depth=2
	s_wait_alu 0xfffe
	s_add_co_i32 s9, s34, 0x1000
	s_mov_b32 s6, -1
	s_wait_alu 0xfffe
	s_cmp_gt_u32 s9, s51
                                        ; implicit-def: $vgpr38_vgpr39
                                        ; implicit-def: $vgpr40_vgpr41
                                        ; implicit-def: $vgpr42_vgpr43
                                        ; implicit-def: $vgpr44_vgpr45
                                        ; implicit-def: $vgpr46_vgpr47
                                        ; implicit-def: $vgpr48_vgpr49
                                        ; implicit-def: $vgpr50_vgpr51
                                        ; implicit-def: $vgpr52_vgpr53
                                        ; implicit-def: $vgpr54_vgpr55
                                        ; implicit-def: $vgpr56_vgpr57
                                        ; implicit-def: $vgpr58_vgpr59
                                        ; implicit-def: $vgpr60_vgpr61
                                        ; implicit-def: $vgpr62_vgpr63
                                        ; implicit-def: $vgpr64_vgpr65
                                        ; implicit-def: $vgpr66_vgpr67
                                        ; implicit-def: $vgpr68_vgpr69
	s_cbranch_scc1 .LBB1227_18
; %bb.17:                               ;   in Loop: Header=BB1227_16 Depth=2
	s_lshl_b64 s[6:7], s[34:35], 3
	s_wait_alu 0xfffe
	v_add_co_u32 v68, vcc_lo, v82, s6
	s_wait_alu 0xfffd
	v_add_co_ci_u32_e64 v69, null, s7, v83, vcc_lo
	s_mov_b32 s6, 0
	s_clause 0xf
	global_load_b64 v[38:39], v[68:69], off
	global_load_b64 v[40:41], v[68:69], off offset:2048
	global_load_b64 v[42:43], v[68:69], off offset:4096
	;; [unrolled: 1-line block ×15, first 2 shown]
.LBB1227_18:                            ;   in Loop: Header=BB1227_16 Depth=2
	s_wait_alu 0xfffe
	s_and_not1_b32 vcc_lo, exec_lo, s6
	s_movk_i32 s6, 0x1000
	s_wait_alu 0xfffe
	s_cbranch_vccnz .LBB1227_37
; %bb.19:                               ;   in Loop: Header=BB1227_16 Depth=2
	s_lshl_b64 s[6:7], s[34:35], 3
	s_mov_b32 s10, exec_lo
	s_wait_alu 0xfffe
	s_add_nc_u64 s[6:7], s[40:41], s[6:7]
	v_cmpx_gt_u32_e64 s8, v1
	s_cbranch_execnz .LBB1227_69
; %bb.20:                               ;   in Loop: Header=BB1227_16 Depth=2
	s_or_b32 exec_lo, exec_lo, s10
	s_delay_alu instid0(SALU_CYCLE_1)
	s_mov_b32 s10, exec_lo
	v_cmpx_gt_u32_e64 s8, v79
	s_cbranch_execnz .LBB1227_70
.LBB1227_21:                            ;   in Loop: Header=BB1227_16 Depth=2
	s_wait_alu 0xfffe
	s_or_b32 exec_lo, exec_lo, s10
	s_delay_alu instid0(SALU_CYCLE_1)
	s_mov_b32 s10, exec_lo
	v_cmpx_gt_u32_e64 s8, v80
	s_cbranch_execnz .LBB1227_71
.LBB1227_22:                            ;   in Loop: Header=BB1227_16 Depth=2
	s_wait_alu 0xfffe
	s_or_b32 exec_lo, exec_lo, s10
	s_delay_alu instid0(SALU_CYCLE_1)
	s_mov_b32 s10, exec_lo
	v_cmpx_gt_u32_e64 s8, v81
	s_cbranch_execnz .LBB1227_72
.LBB1227_23:                            ;   in Loop: Header=BB1227_16 Depth=2
	s_wait_alu 0xfffe
	s_or_b32 exec_lo, exec_lo, s10
	s_delay_alu instid0(SALU_CYCLE_1)
	s_mov_b32 s10, exec_lo
	v_cmpx_gt_u32_e64 s8, v84
	s_cbranch_execnz .LBB1227_73
.LBB1227_24:                            ;   in Loop: Header=BB1227_16 Depth=2
	s_wait_alu 0xfffe
	s_or_b32 exec_lo, exec_lo, s10
	s_delay_alu instid0(SALU_CYCLE_1)
	s_mov_b32 s10, exec_lo
	v_cmpx_gt_u32_e64 s8, v85
	s_cbranch_execnz .LBB1227_74
.LBB1227_25:                            ;   in Loop: Header=BB1227_16 Depth=2
	s_wait_alu 0xfffe
	s_or_b32 exec_lo, exec_lo, s10
	s_delay_alu instid0(SALU_CYCLE_1)
	s_mov_b32 s10, exec_lo
	v_cmpx_gt_u32_e64 s8, v86
	s_cbranch_execnz .LBB1227_75
.LBB1227_26:                            ;   in Loop: Header=BB1227_16 Depth=2
	s_wait_alu 0xfffe
	s_or_b32 exec_lo, exec_lo, s10
	s_delay_alu instid0(SALU_CYCLE_1)
	s_mov_b32 s10, exec_lo
	v_cmpx_gt_u32_e64 s8, v87
	s_cbranch_execnz .LBB1227_76
.LBB1227_27:                            ;   in Loop: Header=BB1227_16 Depth=2
	s_wait_alu 0xfffe
	s_or_b32 exec_lo, exec_lo, s10
	s_delay_alu instid0(SALU_CYCLE_1)
	s_mov_b32 s10, exec_lo
	v_cmpx_gt_u32_e64 s8, v88
	s_cbranch_execnz .LBB1227_77
.LBB1227_28:                            ;   in Loop: Header=BB1227_16 Depth=2
	s_wait_alu 0xfffe
	s_or_b32 exec_lo, exec_lo, s10
	s_delay_alu instid0(SALU_CYCLE_1)
	s_mov_b32 s10, exec_lo
	v_cmpx_gt_u32_e64 s8, v89
	s_cbranch_execnz .LBB1227_78
.LBB1227_29:                            ;   in Loop: Header=BB1227_16 Depth=2
	s_wait_alu 0xfffe
	s_or_b32 exec_lo, exec_lo, s10
	s_delay_alu instid0(SALU_CYCLE_1)
	s_mov_b32 s10, exec_lo
	v_cmpx_gt_u32_e64 s8, v90
	s_cbranch_execnz .LBB1227_79
.LBB1227_30:                            ;   in Loop: Header=BB1227_16 Depth=2
	s_wait_alu 0xfffe
	s_or_b32 exec_lo, exec_lo, s10
	s_delay_alu instid0(SALU_CYCLE_1)
	s_mov_b32 s10, exec_lo
	v_cmpx_gt_u32_e64 s8, v91
	s_cbranch_execnz .LBB1227_80
.LBB1227_31:                            ;   in Loop: Header=BB1227_16 Depth=2
	s_wait_alu 0xfffe
	s_or_b32 exec_lo, exec_lo, s10
	s_delay_alu instid0(SALU_CYCLE_1)
	s_mov_b32 s10, exec_lo
	v_cmpx_gt_u32_e64 s8, v92
	s_cbranch_execnz .LBB1227_81
.LBB1227_32:                            ;   in Loop: Header=BB1227_16 Depth=2
	s_wait_alu 0xfffe
	s_or_b32 exec_lo, exec_lo, s10
	s_delay_alu instid0(SALU_CYCLE_1)
	s_mov_b32 s10, exec_lo
	v_cmpx_gt_u32_e64 s8, v93
	s_cbranch_execnz .LBB1227_82
.LBB1227_33:                            ;   in Loop: Header=BB1227_16 Depth=2
	s_wait_alu 0xfffe
	s_or_b32 exec_lo, exec_lo, s10
	s_delay_alu instid0(SALU_CYCLE_1)
	s_mov_b32 s10, exec_lo
	v_cmpx_gt_u32_e64 s8, v94
	s_cbranch_execnz .LBB1227_83
.LBB1227_34:                            ;   in Loop: Header=BB1227_16 Depth=2
	s_wait_alu 0xfffe
	s_or_b32 exec_lo, exec_lo, s10
	s_delay_alu instid0(SALU_CYCLE_1)
	s_mov_b32 s10, exec_lo
	v_cmpx_gt_u32_e64 s8, v95
	s_cbranch_execz .LBB1227_36
.LBB1227_35:                            ;   in Loop: Header=BB1227_16 Depth=2
	global_load_b64 v[6:7], v124, s[6:7] offset:30720
.LBB1227_36:                            ;   in Loop: Header=BB1227_16 Depth=2
	s_wait_alu 0xfffe
	s_or_b32 exec_lo, exec_lo, s10
	s_wait_loadcnt 0x0
	v_dual_mov_b32 v39, v37 :: v_dual_mov_b32 v38, v36
	v_dual_mov_b32 v41, v35 :: v_dual_mov_b32 v40, v34
	v_dual_mov_b32 v43, v33 :: v_dual_mov_b32 v42, v32
	v_dual_mov_b32 v45, v31 :: v_dual_mov_b32 v44, v30
	v_dual_mov_b32 v47, v29 :: v_dual_mov_b32 v46, v28
	v_dual_mov_b32 v49, v27 :: v_dual_mov_b32 v48, v26
	v_dual_mov_b32 v51, v25 :: v_dual_mov_b32 v50, v24
	v_dual_mov_b32 v53, v23 :: v_dual_mov_b32 v52, v22
	v_dual_mov_b32 v55, v21 :: v_dual_mov_b32 v54, v20
	v_dual_mov_b32 v57, v19 :: v_dual_mov_b32 v56, v18
	v_dual_mov_b32 v59, v17 :: v_dual_mov_b32 v58, v16
	v_dual_mov_b32 v61, v15 :: v_dual_mov_b32 v60, v14
	v_dual_mov_b32 v63, v13 :: v_dual_mov_b32 v62, v12
	v_dual_mov_b32 v65, v11 :: v_dual_mov_b32 v64, v10
	v_dual_mov_b32 v67, v9 :: v_dual_mov_b32 v66, v8
	v_dual_mov_b32 v69, v7 :: v_dual_mov_b32 v68, v6
	s_mov_b32 s6, s8
.LBB1227_37:                            ;   in Loop: Header=BB1227_16 Depth=2
	s_wait_loadcnt 0x0
	s_delay_alu instid0(VALU_DEP_1)
	v_dual_mov_b32 v6, v68 :: v_dual_mov_b32 v7, v69
	v_dual_mov_b32 v8, v66 :: v_dual_mov_b32 v9, v67
	;; [unrolled: 1-line block ×16, first 2 shown]
	s_mov_b32 s7, exec_lo
	s_wait_alu 0xfffe
	v_cmpx_gt_u32_e64 s6, v1
	s_cbranch_execnz .LBB1227_53
; %bb.38:                               ;   in Loop: Header=BB1227_16 Depth=2
	s_or_b32 exec_lo, exec_lo, s7
	s_delay_alu instid0(SALU_CYCLE_1)
	s_mov_b32 s7, exec_lo
	v_cmpx_gt_u32_e64 s6, v79
	s_cbranch_execnz .LBB1227_54
.LBB1227_39:                            ;   in Loop: Header=BB1227_16 Depth=2
	s_wait_alu 0xfffe
	s_or_b32 exec_lo, exec_lo, s7
	s_delay_alu instid0(SALU_CYCLE_1)
	s_mov_b32 s7, exec_lo
	v_cmpx_gt_u32_e64 s6, v80
	s_cbranch_execnz .LBB1227_55
.LBB1227_40:                            ;   in Loop: Header=BB1227_16 Depth=2
	s_wait_alu 0xfffe
	s_or_b32 exec_lo, exec_lo, s7
	s_delay_alu instid0(SALU_CYCLE_1)
	s_mov_b32 s7, exec_lo
	v_cmpx_gt_u32_e64 s6, v81
	s_cbranch_execnz .LBB1227_56
.LBB1227_41:                            ;   in Loop: Header=BB1227_16 Depth=2
	s_wait_alu 0xfffe
	s_or_b32 exec_lo, exec_lo, s7
	s_delay_alu instid0(SALU_CYCLE_1)
	s_mov_b32 s7, exec_lo
	v_cmpx_gt_u32_e64 s6, v84
	s_cbranch_execnz .LBB1227_57
.LBB1227_42:                            ;   in Loop: Header=BB1227_16 Depth=2
	s_wait_alu 0xfffe
	s_or_b32 exec_lo, exec_lo, s7
	s_delay_alu instid0(SALU_CYCLE_1)
	s_mov_b32 s7, exec_lo
	v_cmpx_gt_u32_e64 s6, v85
	s_cbranch_execnz .LBB1227_58
.LBB1227_43:                            ;   in Loop: Header=BB1227_16 Depth=2
	s_wait_alu 0xfffe
	s_or_b32 exec_lo, exec_lo, s7
	s_delay_alu instid0(SALU_CYCLE_1)
	s_mov_b32 s7, exec_lo
	v_cmpx_gt_u32_e64 s6, v86
	s_cbranch_execnz .LBB1227_59
.LBB1227_44:                            ;   in Loop: Header=BB1227_16 Depth=2
	s_wait_alu 0xfffe
	s_or_b32 exec_lo, exec_lo, s7
	s_delay_alu instid0(SALU_CYCLE_1)
	s_mov_b32 s7, exec_lo
	v_cmpx_gt_u32_e64 s6, v87
	s_cbranch_execnz .LBB1227_60
.LBB1227_45:                            ;   in Loop: Header=BB1227_16 Depth=2
	s_wait_alu 0xfffe
	s_or_b32 exec_lo, exec_lo, s7
	s_delay_alu instid0(SALU_CYCLE_1)
	s_mov_b32 s7, exec_lo
	v_cmpx_gt_u32_e64 s6, v88
	s_cbranch_execnz .LBB1227_61
.LBB1227_46:                            ;   in Loop: Header=BB1227_16 Depth=2
	s_wait_alu 0xfffe
	s_or_b32 exec_lo, exec_lo, s7
	s_delay_alu instid0(SALU_CYCLE_1)
	s_mov_b32 s7, exec_lo
	v_cmpx_gt_u32_e64 s6, v89
	s_cbranch_execnz .LBB1227_62
.LBB1227_47:                            ;   in Loop: Header=BB1227_16 Depth=2
	s_wait_alu 0xfffe
	s_or_b32 exec_lo, exec_lo, s7
	s_delay_alu instid0(SALU_CYCLE_1)
	s_mov_b32 s7, exec_lo
	v_cmpx_gt_u32_e64 s6, v90
	s_cbranch_execnz .LBB1227_63
.LBB1227_48:                            ;   in Loop: Header=BB1227_16 Depth=2
	s_wait_alu 0xfffe
	s_or_b32 exec_lo, exec_lo, s7
	s_delay_alu instid0(SALU_CYCLE_1)
	s_mov_b32 s7, exec_lo
	v_cmpx_gt_u32_e64 s6, v91
	s_cbranch_execnz .LBB1227_64
.LBB1227_49:                            ;   in Loop: Header=BB1227_16 Depth=2
	s_wait_alu 0xfffe
	s_or_b32 exec_lo, exec_lo, s7
	s_delay_alu instid0(SALU_CYCLE_1)
	s_mov_b32 s7, exec_lo
	v_cmpx_gt_u32_e64 s6, v92
	s_cbranch_execnz .LBB1227_65
.LBB1227_50:                            ;   in Loop: Header=BB1227_16 Depth=2
	s_wait_alu 0xfffe
	s_or_b32 exec_lo, exec_lo, s7
	s_delay_alu instid0(SALU_CYCLE_1)
	s_mov_b32 s7, exec_lo
	v_cmpx_gt_u32_e64 s6, v93
	s_cbranch_execnz .LBB1227_66
.LBB1227_51:                            ;   in Loop: Header=BB1227_16 Depth=2
	s_wait_alu 0xfffe
	s_or_b32 exec_lo, exec_lo, s7
	s_delay_alu instid0(SALU_CYCLE_1)
	s_mov_b32 s7, exec_lo
	v_cmpx_gt_u32_e64 s6, v94
	s_cbranch_execnz .LBB1227_67
.LBB1227_52:                            ;   in Loop: Header=BB1227_16 Depth=2
	s_wait_alu 0xfffe
	s_or_b32 exec_lo, exec_lo, s7
	v_cmp_gt_u32_e32 vcc_lo, s6, v95
	s_and_saveexec_b32 s6, vcc_lo
	s_cbranch_execz .LBB1227_15
	s_branch .LBB1227_68
.LBB1227_53:                            ;   in Loop: Header=BB1227_16 Depth=2
	v_cmp_lt_i64_e32 vcc_lo, -1, v[36:37]
	v_ashrrev_i32_e32 v38, 31, v37
	s_delay_alu instid0(VALU_DEP_1) | instskip(SKIP_2) | instid1(VALU_DEP_1)
	v_xor_b32_e32 v38, v38, v36
	s_wait_alu 0xfffd
	v_cndmask_b32_e64 v2, -1, 0x80000000, vcc_lo
	v_xor_b32_e32 v39, v2, v37
	s_delay_alu instid0(VALU_DEP_1) | instskip(SKIP_3) | instid1(VALU_DEP_1)
	v_cmp_ne_u64_e32 vcc_lo, s[42:43], v[38:39]
	s_wait_alu 0xfffd
	v_cndmask_b32_e32 v39, 0x80000000, v39, vcc_lo
	v_cndmask_b32_e32 v38, 0, v38, vcc_lo
	v_lshrrev_b64 v[38:39], s48, v[38:39]
	s_delay_alu instid0(VALU_DEP_1) | instskip(NEXT) | instid1(VALU_DEP_1)
	v_and_b32_e32 v2, s57, v38
	v_lshl_or_b32 v2, v2, 4, v96
	ds_add_u32 v2, v123
	s_or_b32 exec_lo, exec_lo, s7
	s_delay_alu instid0(SALU_CYCLE_1)
	s_mov_b32 s7, exec_lo
	v_cmpx_gt_u32_e64 s6, v79
	s_cbranch_execz .LBB1227_39
.LBB1227_54:                            ;   in Loop: Header=BB1227_16 Depth=2
	v_cmp_lt_i64_e32 vcc_lo, -1, v[34:35]
	v_ashrrev_i32_e32 v38, 31, v35
	s_delay_alu instid0(VALU_DEP_1) | instskip(SKIP_2) | instid1(VALU_DEP_1)
	v_xor_b32_e32 v38, v38, v34
	s_wait_alu 0xfffd
	v_cndmask_b32_e64 v2, -1, 0x80000000, vcc_lo
	v_xor_b32_e32 v39, v2, v35
	s_delay_alu instid0(VALU_DEP_1) | instskip(SKIP_3) | instid1(VALU_DEP_1)
	v_cmp_ne_u64_e32 vcc_lo, s[42:43], v[38:39]
	s_wait_alu 0xfffd
	v_cndmask_b32_e32 v39, 0x80000000, v39, vcc_lo
	v_cndmask_b32_e32 v38, 0, v38, vcc_lo
	v_lshrrev_b64 v[38:39], s48, v[38:39]
	s_delay_alu instid0(VALU_DEP_1) | instskip(NEXT) | instid1(VALU_DEP_1)
	v_and_b32_e32 v2, s57, v38
	v_lshl_or_b32 v2, v2, 4, v96
	ds_add_u32 v2, v123
	s_wait_alu 0xfffe
	s_or_b32 exec_lo, exec_lo, s7
	s_delay_alu instid0(SALU_CYCLE_1)
	s_mov_b32 s7, exec_lo
	v_cmpx_gt_u32_e64 s6, v80
	s_cbranch_execz .LBB1227_40
.LBB1227_55:                            ;   in Loop: Header=BB1227_16 Depth=2
	v_cmp_lt_i64_e32 vcc_lo, -1, v[32:33]
	v_ashrrev_i32_e32 v38, 31, v33
	s_delay_alu instid0(VALU_DEP_1) | instskip(SKIP_2) | instid1(VALU_DEP_1)
	v_xor_b32_e32 v38, v38, v32
	s_wait_alu 0xfffd
	v_cndmask_b32_e64 v2, -1, 0x80000000, vcc_lo
	v_xor_b32_e32 v39, v2, v33
	s_delay_alu instid0(VALU_DEP_1) | instskip(SKIP_3) | instid1(VALU_DEP_1)
	v_cmp_ne_u64_e32 vcc_lo, s[42:43], v[38:39]
	s_wait_alu 0xfffd
	v_cndmask_b32_e32 v39, 0x80000000, v39, vcc_lo
	v_cndmask_b32_e32 v38, 0, v38, vcc_lo
	v_lshrrev_b64 v[38:39], s48, v[38:39]
	s_delay_alu instid0(VALU_DEP_1) | instskip(NEXT) | instid1(VALU_DEP_1)
	v_and_b32_e32 v2, s57, v38
	v_lshl_or_b32 v2, v2, 4, v96
	ds_add_u32 v2, v123
	s_wait_alu 0xfffe
	s_or_b32 exec_lo, exec_lo, s7
	s_delay_alu instid0(SALU_CYCLE_1)
	s_mov_b32 s7, exec_lo
	v_cmpx_gt_u32_e64 s6, v81
	s_cbranch_execz .LBB1227_41
.LBB1227_56:                            ;   in Loop: Header=BB1227_16 Depth=2
	v_cmp_lt_i64_e32 vcc_lo, -1, v[30:31]
	v_ashrrev_i32_e32 v38, 31, v31
	s_delay_alu instid0(VALU_DEP_1) | instskip(SKIP_2) | instid1(VALU_DEP_1)
	v_xor_b32_e32 v38, v38, v30
	s_wait_alu 0xfffd
	v_cndmask_b32_e64 v2, -1, 0x80000000, vcc_lo
	v_xor_b32_e32 v39, v2, v31
	s_delay_alu instid0(VALU_DEP_1) | instskip(SKIP_3) | instid1(VALU_DEP_1)
	v_cmp_ne_u64_e32 vcc_lo, s[42:43], v[38:39]
	s_wait_alu 0xfffd
	v_cndmask_b32_e32 v39, 0x80000000, v39, vcc_lo
	v_cndmask_b32_e32 v38, 0, v38, vcc_lo
	v_lshrrev_b64 v[38:39], s48, v[38:39]
	s_delay_alu instid0(VALU_DEP_1) | instskip(NEXT) | instid1(VALU_DEP_1)
	v_and_b32_e32 v2, s57, v38
	v_lshl_or_b32 v2, v2, 4, v96
	ds_add_u32 v2, v123
	s_wait_alu 0xfffe
	s_or_b32 exec_lo, exec_lo, s7
	s_delay_alu instid0(SALU_CYCLE_1)
	s_mov_b32 s7, exec_lo
	v_cmpx_gt_u32_e64 s6, v84
	s_cbranch_execz .LBB1227_42
.LBB1227_57:                            ;   in Loop: Header=BB1227_16 Depth=2
	v_cmp_lt_i64_e32 vcc_lo, -1, v[28:29]
	v_ashrrev_i32_e32 v38, 31, v29
	s_delay_alu instid0(VALU_DEP_1) | instskip(SKIP_2) | instid1(VALU_DEP_1)
	v_xor_b32_e32 v38, v38, v28
	s_wait_alu 0xfffd
	v_cndmask_b32_e64 v2, -1, 0x80000000, vcc_lo
	v_xor_b32_e32 v39, v2, v29
	s_delay_alu instid0(VALU_DEP_1) | instskip(SKIP_3) | instid1(VALU_DEP_1)
	v_cmp_ne_u64_e32 vcc_lo, s[42:43], v[38:39]
	s_wait_alu 0xfffd
	v_cndmask_b32_e32 v39, 0x80000000, v39, vcc_lo
	v_cndmask_b32_e32 v38, 0, v38, vcc_lo
	v_lshrrev_b64 v[38:39], s48, v[38:39]
	s_delay_alu instid0(VALU_DEP_1) | instskip(NEXT) | instid1(VALU_DEP_1)
	v_and_b32_e32 v2, s57, v38
	v_lshl_or_b32 v2, v2, 4, v96
	ds_add_u32 v2, v123
	s_wait_alu 0xfffe
	s_or_b32 exec_lo, exec_lo, s7
	s_delay_alu instid0(SALU_CYCLE_1)
	s_mov_b32 s7, exec_lo
	v_cmpx_gt_u32_e64 s6, v85
	s_cbranch_execz .LBB1227_43
.LBB1227_58:                            ;   in Loop: Header=BB1227_16 Depth=2
	v_cmp_lt_i64_e32 vcc_lo, -1, v[26:27]
	v_ashrrev_i32_e32 v38, 31, v27
	s_delay_alu instid0(VALU_DEP_1) | instskip(SKIP_2) | instid1(VALU_DEP_1)
	v_xor_b32_e32 v38, v38, v26
	s_wait_alu 0xfffd
	v_cndmask_b32_e64 v2, -1, 0x80000000, vcc_lo
	v_xor_b32_e32 v39, v2, v27
	s_delay_alu instid0(VALU_DEP_1) | instskip(SKIP_3) | instid1(VALU_DEP_1)
	v_cmp_ne_u64_e32 vcc_lo, s[42:43], v[38:39]
	s_wait_alu 0xfffd
	v_cndmask_b32_e32 v39, 0x80000000, v39, vcc_lo
	v_cndmask_b32_e32 v38, 0, v38, vcc_lo
	v_lshrrev_b64 v[38:39], s48, v[38:39]
	s_delay_alu instid0(VALU_DEP_1) | instskip(NEXT) | instid1(VALU_DEP_1)
	v_and_b32_e32 v2, s57, v38
	v_lshl_or_b32 v2, v2, 4, v96
	ds_add_u32 v2, v123
	s_wait_alu 0xfffe
	s_or_b32 exec_lo, exec_lo, s7
	s_delay_alu instid0(SALU_CYCLE_1)
	s_mov_b32 s7, exec_lo
	v_cmpx_gt_u32_e64 s6, v86
	s_cbranch_execz .LBB1227_44
.LBB1227_59:                            ;   in Loop: Header=BB1227_16 Depth=2
	v_cmp_lt_i64_e32 vcc_lo, -1, v[24:25]
	v_ashrrev_i32_e32 v38, 31, v25
	s_delay_alu instid0(VALU_DEP_1) | instskip(SKIP_2) | instid1(VALU_DEP_1)
	v_xor_b32_e32 v38, v38, v24
	s_wait_alu 0xfffd
	v_cndmask_b32_e64 v2, -1, 0x80000000, vcc_lo
	v_xor_b32_e32 v39, v2, v25
	s_delay_alu instid0(VALU_DEP_1) | instskip(SKIP_3) | instid1(VALU_DEP_1)
	v_cmp_ne_u64_e32 vcc_lo, s[42:43], v[38:39]
	s_wait_alu 0xfffd
	v_cndmask_b32_e32 v39, 0x80000000, v39, vcc_lo
	v_cndmask_b32_e32 v38, 0, v38, vcc_lo
	v_lshrrev_b64 v[38:39], s48, v[38:39]
	s_delay_alu instid0(VALU_DEP_1) | instskip(NEXT) | instid1(VALU_DEP_1)
	v_and_b32_e32 v2, s57, v38
	v_lshl_or_b32 v2, v2, 4, v96
	ds_add_u32 v2, v123
	s_wait_alu 0xfffe
	s_or_b32 exec_lo, exec_lo, s7
	s_delay_alu instid0(SALU_CYCLE_1)
	s_mov_b32 s7, exec_lo
	v_cmpx_gt_u32_e64 s6, v87
	s_cbranch_execz .LBB1227_45
.LBB1227_60:                            ;   in Loop: Header=BB1227_16 Depth=2
	v_cmp_lt_i64_e32 vcc_lo, -1, v[22:23]
	v_ashrrev_i32_e32 v38, 31, v23
	s_delay_alu instid0(VALU_DEP_1) | instskip(SKIP_2) | instid1(VALU_DEP_1)
	v_xor_b32_e32 v38, v38, v22
	s_wait_alu 0xfffd
	v_cndmask_b32_e64 v2, -1, 0x80000000, vcc_lo
	v_xor_b32_e32 v39, v2, v23
	s_delay_alu instid0(VALU_DEP_1) | instskip(SKIP_3) | instid1(VALU_DEP_1)
	v_cmp_ne_u64_e32 vcc_lo, s[42:43], v[38:39]
	s_wait_alu 0xfffd
	v_cndmask_b32_e32 v39, 0x80000000, v39, vcc_lo
	v_cndmask_b32_e32 v38, 0, v38, vcc_lo
	v_lshrrev_b64 v[38:39], s48, v[38:39]
	s_delay_alu instid0(VALU_DEP_1) | instskip(NEXT) | instid1(VALU_DEP_1)
	v_and_b32_e32 v2, s57, v38
	v_lshl_or_b32 v2, v2, 4, v96
	ds_add_u32 v2, v123
	s_wait_alu 0xfffe
	s_or_b32 exec_lo, exec_lo, s7
	s_delay_alu instid0(SALU_CYCLE_1)
	s_mov_b32 s7, exec_lo
	v_cmpx_gt_u32_e64 s6, v88
	s_cbranch_execz .LBB1227_46
.LBB1227_61:                            ;   in Loop: Header=BB1227_16 Depth=2
	v_cmp_lt_i64_e32 vcc_lo, -1, v[20:21]
	v_ashrrev_i32_e32 v38, 31, v21
	s_delay_alu instid0(VALU_DEP_1) | instskip(SKIP_2) | instid1(VALU_DEP_1)
	v_xor_b32_e32 v38, v38, v20
	s_wait_alu 0xfffd
	v_cndmask_b32_e64 v2, -1, 0x80000000, vcc_lo
	v_xor_b32_e32 v39, v2, v21
	s_delay_alu instid0(VALU_DEP_1) | instskip(SKIP_3) | instid1(VALU_DEP_1)
	v_cmp_ne_u64_e32 vcc_lo, s[42:43], v[38:39]
	s_wait_alu 0xfffd
	v_cndmask_b32_e32 v39, 0x80000000, v39, vcc_lo
	v_cndmask_b32_e32 v38, 0, v38, vcc_lo
	v_lshrrev_b64 v[38:39], s48, v[38:39]
	s_delay_alu instid0(VALU_DEP_1) | instskip(NEXT) | instid1(VALU_DEP_1)
	v_and_b32_e32 v2, s57, v38
	v_lshl_or_b32 v2, v2, 4, v96
	ds_add_u32 v2, v123
	s_wait_alu 0xfffe
	s_or_b32 exec_lo, exec_lo, s7
	s_delay_alu instid0(SALU_CYCLE_1)
	s_mov_b32 s7, exec_lo
	v_cmpx_gt_u32_e64 s6, v89
	s_cbranch_execz .LBB1227_47
.LBB1227_62:                            ;   in Loop: Header=BB1227_16 Depth=2
	v_cmp_lt_i64_e32 vcc_lo, -1, v[18:19]
	v_ashrrev_i32_e32 v38, 31, v19
	s_delay_alu instid0(VALU_DEP_1) | instskip(SKIP_2) | instid1(VALU_DEP_1)
	v_xor_b32_e32 v38, v38, v18
	s_wait_alu 0xfffd
	v_cndmask_b32_e64 v2, -1, 0x80000000, vcc_lo
	v_xor_b32_e32 v39, v2, v19
	s_delay_alu instid0(VALU_DEP_1) | instskip(SKIP_3) | instid1(VALU_DEP_1)
	v_cmp_ne_u64_e32 vcc_lo, s[42:43], v[38:39]
	s_wait_alu 0xfffd
	v_cndmask_b32_e32 v39, 0x80000000, v39, vcc_lo
	v_cndmask_b32_e32 v38, 0, v38, vcc_lo
	v_lshrrev_b64 v[38:39], s48, v[38:39]
	s_delay_alu instid0(VALU_DEP_1) | instskip(NEXT) | instid1(VALU_DEP_1)
	v_and_b32_e32 v2, s57, v38
	v_lshl_or_b32 v2, v2, 4, v96
	ds_add_u32 v2, v123
	s_wait_alu 0xfffe
	s_or_b32 exec_lo, exec_lo, s7
	s_delay_alu instid0(SALU_CYCLE_1)
	s_mov_b32 s7, exec_lo
	v_cmpx_gt_u32_e64 s6, v90
	s_cbranch_execz .LBB1227_48
.LBB1227_63:                            ;   in Loop: Header=BB1227_16 Depth=2
	v_cmp_lt_i64_e32 vcc_lo, -1, v[16:17]
	v_ashrrev_i32_e32 v38, 31, v17
	s_delay_alu instid0(VALU_DEP_1) | instskip(SKIP_2) | instid1(VALU_DEP_1)
	v_xor_b32_e32 v38, v38, v16
	s_wait_alu 0xfffd
	v_cndmask_b32_e64 v2, -1, 0x80000000, vcc_lo
	v_xor_b32_e32 v39, v2, v17
	s_delay_alu instid0(VALU_DEP_1) | instskip(SKIP_3) | instid1(VALU_DEP_1)
	v_cmp_ne_u64_e32 vcc_lo, s[42:43], v[38:39]
	s_wait_alu 0xfffd
	v_cndmask_b32_e32 v39, 0x80000000, v39, vcc_lo
	v_cndmask_b32_e32 v38, 0, v38, vcc_lo
	v_lshrrev_b64 v[38:39], s48, v[38:39]
	s_delay_alu instid0(VALU_DEP_1) | instskip(NEXT) | instid1(VALU_DEP_1)
	v_and_b32_e32 v2, s57, v38
	v_lshl_or_b32 v2, v2, 4, v96
	ds_add_u32 v2, v123
	s_wait_alu 0xfffe
	s_or_b32 exec_lo, exec_lo, s7
	s_delay_alu instid0(SALU_CYCLE_1)
	s_mov_b32 s7, exec_lo
	v_cmpx_gt_u32_e64 s6, v91
	s_cbranch_execz .LBB1227_49
.LBB1227_64:                            ;   in Loop: Header=BB1227_16 Depth=2
	v_cmp_lt_i64_e32 vcc_lo, -1, v[14:15]
	v_ashrrev_i32_e32 v38, 31, v15
	s_delay_alu instid0(VALU_DEP_1) | instskip(SKIP_2) | instid1(VALU_DEP_1)
	v_xor_b32_e32 v38, v38, v14
	s_wait_alu 0xfffd
	v_cndmask_b32_e64 v2, -1, 0x80000000, vcc_lo
	v_xor_b32_e32 v39, v2, v15
	s_delay_alu instid0(VALU_DEP_1) | instskip(SKIP_3) | instid1(VALU_DEP_1)
	v_cmp_ne_u64_e32 vcc_lo, s[42:43], v[38:39]
	s_wait_alu 0xfffd
	v_cndmask_b32_e32 v39, 0x80000000, v39, vcc_lo
	v_cndmask_b32_e32 v38, 0, v38, vcc_lo
	v_lshrrev_b64 v[38:39], s48, v[38:39]
	s_delay_alu instid0(VALU_DEP_1) | instskip(NEXT) | instid1(VALU_DEP_1)
	v_and_b32_e32 v2, s57, v38
	v_lshl_or_b32 v2, v2, 4, v96
	ds_add_u32 v2, v123
	s_wait_alu 0xfffe
	s_or_b32 exec_lo, exec_lo, s7
	s_delay_alu instid0(SALU_CYCLE_1)
	s_mov_b32 s7, exec_lo
	v_cmpx_gt_u32_e64 s6, v92
	s_cbranch_execz .LBB1227_50
.LBB1227_65:                            ;   in Loop: Header=BB1227_16 Depth=2
	v_cmp_lt_i64_e32 vcc_lo, -1, v[12:13]
	v_ashrrev_i32_e32 v38, 31, v13
	s_delay_alu instid0(VALU_DEP_1) | instskip(SKIP_2) | instid1(VALU_DEP_1)
	v_xor_b32_e32 v38, v38, v12
	s_wait_alu 0xfffd
	v_cndmask_b32_e64 v2, -1, 0x80000000, vcc_lo
	v_xor_b32_e32 v39, v2, v13
	s_delay_alu instid0(VALU_DEP_1) | instskip(SKIP_3) | instid1(VALU_DEP_1)
	v_cmp_ne_u64_e32 vcc_lo, s[42:43], v[38:39]
	s_wait_alu 0xfffd
	v_cndmask_b32_e32 v39, 0x80000000, v39, vcc_lo
	v_cndmask_b32_e32 v38, 0, v38, vcc_lo
	v_lshrrev_b64 v[38:39], s48, v[38:39]
	s_delay_alu instid0(VALU_DEP_1) | instskip(NEXT) | instid1(VALU_DEP_1)
	v_and_b32_e32 v2, s57, v38
	v_lshl_or_b32 v2, v2, 4, v96
	ds_add_u32 v2, v123
	s_wait_alu 0xfffe
	s_or_b32 exec_lo, exec_lo, s7
	s_delay_alu instid0(SALU_CYCLE_1)
	s_mov_b32 s7, exec_lo
	v_cmpx_gt_u32_e64 s6, v93
	s_cbranch_execz .LBB1227_51
.LBB1227_66:                            ;   in Loop: Header=BB1227_16 Depth=2
	v_cmp_lt_i64_e32 vcc_lo, -1, v[10:11]
	v_ashrrev_i32_e32 v38, 31, v11
	s_delay_alu instid0(VALU_DEP_1) | instskip(SKIP_2) | instid1(VALU_DEP_1)
	v_xor_b32_e32 v38, v38, v10
	s_wait_alu 0xfffd
	v_cndmask_b32_e64 v2, -1, 0x80000000, vcc_lo
	v_xor_b32_e32 v39, v2, v11
	s_delay_alu instid0(VALU_DEP_1) | instskip(SKIP_3) | instid1(VALU_DEP_1)
	v_cmp_ne_u64_e32 vcc_lo, s[42:43], v[38:39]
	s_wait_alu 0xfffd
	v_cndmask_b32_e32 v39, 0x80000000, v39, vcc_lo
	v_cndmask_b32_e32 v38, 0, v38, vcc_lo
	v_lshrrev_b64 v[38:39], s48, v[38:39]
	s_delay_alu instid0(VALU_DEP_1) | instskip(NEXT) | instid1(VALU_DEP_1)
	v_and_b32_e32 v2, s57, v38
	v_lshl_or_b32 v2, v2, 4, v96
	ds_add_u32 v2, v123
	s_wait_alu 0xfffe
	s_or_b32 exec_lo, exec_lo, s7
	s_delay_alu instid0(SALU_CYCLE_1)
	s_mov_b32 s7, exec_lo
	v_cmpx_gt_u32_e64 s6, v94
	s_cbranch_execz .LBB1227_52
.LBB1227_67:                            ;   in Loop: Header=BB1227_16 Depth=2
	v_cmp_lt_i64_e32 vcc_lo, -1, v[8:9]
	v_ashrrev_i32_e32 v38, 31, v9
	s_delay_alu instid0(VALU_DEP_1) | instskip(SKIP_2) | instid1(VALU_DEP_1)
	v_xor_b32_e32 v38, v38, v8
	s_wait_alu 0xfffd
	v_cndmask_b32_e64 v2, -1, 0x80000000, vcc_lo
	v_xor_b32_e32 v39, v2, v9
	s_delay_alu instid0(VALU_DEP_1) | instskip(SKIP_3) | instid1(VALU_DEP_1)
	v_cmp_ne_u64_e32 vcc_lo, s[42:43], v[38:39]
	s_wait_alu 0xfffd
	v_cndmask_b32_e32 v39, 0x80000000, v39, vcc_lo
	v_cndmask_b32_e32 v38, 0, v38, vcc_lo
	v_lshrrev_b64 v[38:39], s48, v[38:39]
	s_delay_alu instid0(VALU_DEP_1) | instskip(NEXT) | instid1(VALU_DEP_1)
	v_and_b32_e32 v2, s57, v38
	v_lshl_or_b32 v2, v2, 4, v96
	ds_add_u32 v2, v123
	s_wait_alu 0xfffe
	s_or_b32 exec_lo, exec_lo, s7
	v_cmp_gt_u32_e32 vcc_lo, s6, v95
	s_and_saveexec_b32 s6, vcc_lo
	s_cbranch_execz .LBB1227_15
.LBB1227_68:                            ;   in Loop: Header=BB1227_16 Depth=2
	v_cmp_lt_i64_e32 vcc_lo, -1, v[6:7]
	v_ashrrev_i32_e32 v38, 31, v7
	s_delay_alu instid0(VALU_DEP_1) | instskip(SKIP_2) | instid1(VALU_DEP_1)
	v_xor_b32_e32 v38, v38, v6
	s_wait_alu 0xfffd
	v_cndmask_b32_e64 v2, -1, 0x80000000, vcc_lo
	v_xor_b32_e32 v39, v2, v7
	s_delay_alu instid0(VALU_DEP_1) | instskip(SKIP_3) | instid1(VALU_DEP_1)
	v_cmp_ne_u64_e32 vcc_lo, s[42:43], v[38:39]
	s_wait_alu 0xfffd
	v_cndmask_b32_e32 v39, 0x80000000, v39, vcc_lo
	v_cndmask_b32_e32 v38, 0, v38, vcc_lo
	v_lshrrev_b64 v[38:39], s48, v[38:39]
	s_delay_alu instid0(VALU_DEP_1) | instskip(NEXT) | instid1(VALU_DEP_1)
	v_and_b32_e32 v2, s57, v38
	v_lshl_or_b32 v2, v2, 4, v96
	ds_add_u32 v2, v123
	s_branch .LBB1227_15
.LBB1227_69:                            ;   in Loop: Header=BB1227_16 Depth=2
	global_load_b64 v[36:37], v124, s[6:7]
	s_or_b32 exec_lo, exec_lo, s10
	s_delay_alu instid0(SALU_CYCLE_1)
	s_mov_b32 s10, exec_lo
	v_cmpx_gt_u32_e64 s8, v79
	s_cbranch_execz .LBB1227_21
.LBB1227_70:                            ;   in Loop: Header=BB1227_16 Depth=2
	global_load_b64 v[34:35], v124, s[6:7] offset:2048
	s_wait_alu 0xfffe
	s_or_b32 exec_lo, exec_lo, s10
	s_delay_alu instid0(SALU_CYCLE_1)
	s_mov_b32 s10, exec_lo
	v_cmpx_gt_u32_e64 s8, v80
	s_cbranch_execz .LBB1227_22
.LBB1227_71:                            ;   in Loop: Header=BB1227_16 Depth=2
	global_load_b64 v[32:33], v124, s[6:7] offset:4096
	s_wait_alu 0xfffe
	s_or_b32 exec_lo, exec_lo, s10
	s_delay_alu instid0(SALU_CYCLE_1)
	s_mov_b32 s10, exec_lo
	v_cmpx_gt_u32_e64 s8, v81
	s_cbranch_execz .LBB1227_23
.LBB1227_72:                            ;   in Loop: Header=BB1227_16 Depth=2
	global_load_b64 v[30:31], v124, s[6:7] offset:6144
	s_wait_alu 0xfffe
	s_or_b32 exec_lo, exec_lo, s10
	s_delay_alu instid0(SALU_CYCLE_1)
	s_mov_b32 s10, exec_lo
	v_cmpx_gt_u32_e64 s8, v84
	s_cbranch_execz .LBB1227_24
.LBB1227_73:                            ;   in Loop: Header=BB1227_16 Depth=2
	global_load_b64 v[28:29], v124, s[6:7] offset:8192
	s_wait_alu 0xfffe
	s_or_b32 exec_lo, exec_lo, s10
	s_delay_alu instid0(SALU_CYCLE_1)
	s_mov_b32 s10, exec_lo
	v_cmpx_gt_u32_e64 s8, v85
	s_cbranch_execz .LBB1227_25
.LBB1227_74:                            ;   in Loop: Header=BB1227_16 Depth=2
	global_load_b64 v[26:27], v124, s[6:7] offset:10240
	s_wait_alu 0xfffe
	s_or_b32 exec_lo, exec_lo, s10
	s_delay_alu instid0(SALU_CYCLE_1)
	s_mov_b32 s10, exec_lo
	v_cmpx_gt_u32_e64 s8, v86
	s_cbranch_execz .LBB1227_26
.LBB1227_75:                            ;   in Loop: Header=BB1227_16 Depth=2
	global_load_b64 v[24:25], v124, s[6:7] offset:12288
	s_wait_alu 0xfffe
	s_or_b32 exec_lo, exec_lo, s10
	s_delay_alu instid0(SALU_CYCLE_1)
	s_mov_b32 s10, exec_lo
	v_cmpx_gt_u32_e64 s8, v87
	s_cbranch_execz .LBB1227_27
.LBB1227_76:                            ;   in Loop: Header=BB1227_16 Depth=2
	global_load_b64 v[22:23], v124, s[6:7] offset:14336
	s_wait_alu 0xfffe
	s_or_b32 exec_lo, exec_lo, s10
	s_delay_alu instid0(SALU_CYCLE_1)
	s_mov_b32 s10, exec_lo
	v_cmpx_gt_u32_e64 s8, v88
	s_cbranch_execz .LBB1227_28
.LBB1227_77:                            ;   in Loop: Header=BB1227_16 Depth=2
	global_load_b64 v[20:21], v124, s[6:7] offset:16384
	s_wait_alu 0xfffe
	s_or_b32 exec_lo, exec_lo, s10
	s_delay_alu instid0(SALU_CYCLE_1)
	s_mov_b32 s10, exec_lo
	v_cmpx_gt_u32_e64 s8, v89
	s_cbranch_execz .LBB1227_29
.LBB1227_78:                            ;   in Loop: Header=BB1227_16 Depth=2
	global_load_b64 v[18:19], v124, s[6:7] offset:18432
	s_wait_alu 0xfffe
	s_or_b32 exec_lo, exec_lo, s10
	s_delay_alu instid0(SALU_CYCLE_1)
	s_mov_b32 s10, exec_lo
	v_cmpx_gt_u32_e64 s8, v90
	s_cbranch_execz .LBB1227_30
.LBB1227_79:                            ;   in Loop: Header=BB1227_16 Depth=2
	global_load_b64 v[16:17], v124, s[6:7] offset:20480
	s_wait_alu 0xfffe
	s_or_b32 exec_lo, exec_lo, s10
	s_delay_alu instid0(SALU_CYCLE_1)
	s_mov_b32 s10, exec_lo
	v_cmpx_gt_u32_e64 s8, v91
	s_cbranch_execz .LBB1227_31
.LBB1227_80:                            ;   in Loop: Header=BB1227_16 Depth=2
	global_load_b64 v[14:15], v124, s[6:7] offset:22528
	s_wait_alu 0xfffe
	s_or_b32 exec_lo, exec_lo, s10
	s_delay_alu instid0(SALU_CYCLE_1)
	s_mov_b32 s10, exec_lo
	v_cmpx_gt_u32_e64 s8, v92
	s_cbranch_execz .LBB1227_32
.LBB1227_81:                            ;   in Loop: Header=BB1227_16 Depth=2
	global_load_b64 v[12:13], v124, s[6:7] offset:24576
	s_wait_alu 0xfffe
	s_or_b32 exec_lo, exec_lo, s10
	s_delay_alu instid0(SALU_CYCLE_1)
	s_mov_b32 s10, exec_lo
	v_cmpx_gt_u32_e64 s8, v93
	s_cbranch_execz .LBB1227_33
.LBB1227_82:                            ;   in Loop: Header=BB1227_16 Depth=2
	global_load_b64 v[10:11], v124, s[6:7] offset:26624
	s_wait_alu 0xfffe
	s_or_b32 exec_lo, exec_lo, s10
	s_delay_alu instid0(SALU_CYCLE_1)
	s_mov_b32 s10, exec_lo
	v_cmpx_gt_u32_e64 s8, v94
	s_cbranch_execz .LBB1227_34
.LBB1227_83:                            ;   in Loop: Header=BB1227_16 Depth=2
	global_load_b64 v[8:9], v124, s[6:7] offset:28672
	s_wait_alu 0xfffe
	s_or_b32 exec_lo, exec_lo, s10
	s_delay_alu instid0(SALU_CYCLE_1)
	s_mov_b32 s10, exec_lo
	v_cmpx_gt_u32_e64 s8, v95
	s_cbranch_execnz .LBB1227_35
	s_branch .LBB1227_36
.LBB1227_84:                            ;   in Loop: Header=BB1227_12 Depth=1
	v_mov_b32_e32 v2, 0
	s_wait_dscnt 0x0
	s_barrier_signal -1
	s_barrier_wait -1
	global_inv scope:SCOPE_SE
	s_and_saveexec_b32 s6, s2
	s_cbranch_execz .LBB1227_86
; %bb.85:                               ;   in Loop: Header=BB1227_12 Depth=1
	ds_load_2addr_b64 v[6:9], v98 offset1:1
	s_wait_dscnt 0x0
	v_add_nc_u32_e32 v2, v7, v6
	s_delay_alu instid0(VALU_DEP_1)
	v_add3_u32 v2, v2, v8, v9
.LBB1227_86:                            ;   in Loop: Header=BB1227_12 Depth=1
	s_wait_alu 0xfffe
	s_or_b32 exec_lo, exec_lo, s6
	v_and_b32_e32 v6, 15, v125
	s_delay_alu instid0(VALU_DEP_2) | instskip(SKIP_1) | instid1(VALU_DEP_3)
	v_mov_b32_dpp v7, v2 row_shr:1 row_mask:0xf bank_mask:0xf
	v_and_b32_e32 v8, 16, v125
	v_cmp_eq_u32_e64 s6, 0, v6
	v_cmp_lt_u32_e64 s7, 1, v6
	v_cmp_lt_u32_e64 s8, 3, v6
	v_cmp_lt_u32_e64 s9, 7, v6
	v_cmp_eq_u32_e64 s10, 0, v8
	s_wait_alu 0xf1ff
	v_cndmask_b32_e64 v7, v7, 0, s6
	s_delay_alu instid0(VALU_DEP_1) | instskip(NEXT) | instid1(VALU_DEP_1)
	v_add_nc_u32_e32 v2, v7, v2
	v_mov_b32_dpp v7, v2 row_shr:2 row_mask:0xf bank_mask:0xf
	s_delay_alu instid0(VALU_DEP_1) | instskip(NEXT) | instid1(VALU_DEP_1)
	v_cndmask_b32_e64 v7, 0, v7, s7
	v_add_nc_u32_e32 v2, v2, v7
	s_delay_alu instid0(VALU_DEP_1) | instskip(NEXT) | instid1(VALU_DEP_1)
	v_mov_b32_dpp v7, v2 row_shr:4 row_mask:0xf bank_mask:0xf
	v_cndmask_b32_e64 v7, 0, v7, s8
	s_delay_alu instid0(VALU_DEP_1) | instskip(NEXT) | instid1(VALU_DEP_1)
	v_add_nc_u32_e32 v2, v2, v7
	v_mov_b32_dpp v7, v2 row_shr:8 row_mask:0xf bank_mask:0xf
	s_delay_alu instid0(VALU_DEP_1) | instskip(SKIP_1) | instid1(VALU_DEP_2)
	v_cndmask_b32_e64 v6, 0, v7, s9
	v_bfe_i32 v7, v125, 4, 1
	v_add_nc_u32_e32 v2, v2, v6
	ds_swizzle_b32 v6, v2 offset:swizzle(BROADCAST,32,15)
	s_wait_dscnt 0x0
	v_and_b32_e32 v6, v7, v6
	s_delay_alu instid0(VALU_DEP_1)
	v_add_nc_u32_e32 v6, v2, v6
	s_and_saveexec_b32 s11, s3
; %bb.87:                               ;   in Loop: Header=BB1227_12 Depth=1
	ds_store_b32 v99, v6
; %bb.88:                               ;   in Loop: Header=BB1227_12 Depth=1
	s_wait_alu 0xfffe
	s_or_b32 exec_lo, exec_lo, s11
	v_and_b32_e32 v2, 7, v125
	s_wait_loadcnt_dscnt 0x0
	s_barrier_signal -1
	s_barrier_wait -1
	global_inv scope:SCOPE_SE
	s_and_saveexec_b32 s11, s4
	s_cbranch_execz .LBB1227_90
; %bb.89:                               ;   in Loop: Header=BB1227_12 Depth=1
	ds_load_b32 v7, v100
	v_cmp_ne_u32_e32 vcc_lo, 0, v2
	s_wait_dscnt 0x0
	v_mov_b32_dpp v8, v7 row_shr:1 row_mask:0xf bank_mask:0xf
	s_wait_alu 0xfffd
	s_delay_alu instid0(VALU_DEP_1) | instskip(SKIP_1) | instid1(VALU_DEP_2)
	v_cndmask_b32_e32 v8, 0, v8, vcc_lo
	v_cmp_lt_u32_e32 vcc_lo, 1, v2
	v_add_nc_u32_e32 v7, v8, v7
	s_delay_alu instid0(VALU_DEP_1) | instskip(SKIP_1) | instid1(VALU_DEP_1)
	v_mov_b32_dpp v8, v7 row_shr:2 row_mask:0xf bank_mask:0xf
	s_wait_alu 0xfffd
	v_cndmask_b32_e32 v8, 0, v8, vcc_lo
	v_cmp_lt_u32_e32 vcc_lo, 3, v2
	s_delay_alu instid0(VALU_DEP_2) | instskip(NEXT) | instid1(VALU_DEP_1)
	v_add_nc_u32_e32 v7, v7, v8
	v_mov_b32_dpp v8, v7 row_shr:4 row_mask:0xf bank_mask:0xf
	s_wait_alu 0xfffd
	s_delay_alu instid0(VALU_DEP_1) | instskip(NEXT) | instid1(VALU_DEP_1)
	v_cndmask_b32_e32 v8, 0, v8, vcc_lo
	v_add_nc_u32_e32 v7, v7, v8
	ds_store_b32 v100, v7
.LBB1227_90:                            ;   in Loop: Header=BB1227_12 Depth=1
	s_wait_alu 0xfffe
	s_or_b32 exec_lo, exec_lo, s11
	v_mov_b32_e32 v7, 0
	s_wait_loadcnt_dscnt 0x0
	s_barrier_signal -1
	s_barrier_wait -1
	global_inv scope:SCOPE_SE
	s_and_saveexec_b32 s11, s5
; %bb.91:                               ;   in Loop: Header=BB1227_12 Depth=1
	ds_load_b32 v7, v101
; %bb.92:                               ;   in Loop: Header=BB1227_12 Depth=1
	s_wait_alu 0xfffe
	s_or_b32 exec_lo, exec_lo, s11
	v_sub_co_u32 v8, s11, v125, 1
	s_wait_dscnt 0x0
	v_add_nc_u32_e32 v6, v7, v6
	s_wait_loadcnt 0x0
	s_barrier_signal -1
	v_cmp_gt_i32_e32 vcc_lo, 0, v8
	s_barrier_wait -1
	global_inv scope:SCOPE_SE
	s_wait_alu 0xfffd
	v_cndmask_b32_e32 v8, v8, v125, vcc_lo
	s_delay_alu instid0(VALU_DEP_1)
	v_lshlrev_b32_e32 v126, 2, v8
	ds_bpermute_b32 v6, v126, v6
	s_and_saveexec_b32 s12, s2
	s_cbranch_execz .LBB1227_94
; %bb.93:                               ;   in Loop: Header=BB1227_12 Depth=1
	s_wait_dscnt 0x0
	v_cndmask_b32_e64 v6, v6, v7, s11
	s_delay_alu instid0(VALU_DEP_1)
	v_add_nc_u32_e32 v6, s33, v6
	ds_store_b32 v78, v6
.LBB1227_94:                            ;   in Loop: Header=BB1227_12 Depth=1
	s_wait_alu 0xfffe
	s_or_b32 exec_lo, exec_lo, s12
	s_clause 0x1
	s_load_b32 s12, s[52:53], 0x4
	s_load_b32 s15, s[52:53], 0xc
	v_cmp_lt_u32_e64 s14, 3, v2
	v_lshlrev_b32_e32 v8, 3, v125
	v_or_b32_e32 v127, v125, v102
	s_mov_b32 s58, s55
                                        ; implicit-def: $vgpr10_vgpr11
                                        ; implicit-def: $vgpr12_vgpr13
                                        ; implicit-def: $vgpr14_vgpr15
                                        ; implicit-def: $vgpr16_vgpr17
                                        ; implicit-def: $vgpr18_vgpr19
                                        ; implicit-def: $vgpr20_vgpr21
                                        ; implicit-def: $vgpr22_vgpr23
                                        ; implicit-def: $vgpr24_vgpr25
                                        ; implicit-def: $vgpr26_vgpr27
                                        ; implicit-def: $vgpr28_vgpr29
                                        ; implicit-def: $vgpr30_vgpr31
                                        ; implicit-def: $vgpr32_vgpr33
                                        ; implicit-def: $vgpr34_vgpr35
                                        ; implicit-def: $vgpr36_vgpr37
                                        ; implicit-def: $vgpr148
                                        ; implicit-def: $vgpr149
                                        ; implicit-def: $vgpr150
                                        ; implicit-def: $vgpr151
                                        ; implicit-def: $vgpr152
                                        ; implicit-def: $vgpr153
                                        ; implicit-def: $vgpr154
                                        ; implicit-def: $vgpr155
                                        ; implicit-def: $vgpr156
                                        ; implicit-def: $vgpr157
                                        ; implicit-def: $vgpr158
                                        ; implicit-def: $vgpr159
                                        ; implicit-def: $vgpr160
                                        ; implicit-def: $vgpr161
                                        ; implicit-def: $vgpr162
                                        ; implicit-def: $vgpr163
	s_delay_alu instid0(VALU_DEP_2)
	v_add_co_u32 v128, vcc_lo, v106, v8
	s_wait_alu 0xfffd
	v_add_co_ci_u32_e64 v129, null, 0, v107, vcc_lo
	v_add_co_u32 v145, vcc_lo, v108, v8
	v_or_b32_e32 v130, 32, v127
	v_or_b32_e32 v131, 64, v127
	;; [unrolled: 1-line block ×6, first 2 shown]
	s_wait_kmcnt 0x0
	s_cmp_lt_u32 ttmp7, s12
	v_or_b32_e32 v136, 0xe0, v127
	s_cselect_b32 s34, 14, 20
	s_and_b32 s15, s15, 0xffff
	s_wait_alu 0xfffe
	s_add_nc_u64 s[12:13], s[52:53], s[34:35]
	v_or_b32_e32 v137, 0x100, v127
	s_load_u16 s16, s[12:13], 0x0
	v_cmp_eq_u32_e64 s12, 0, v2
	v_cmp_lt_u32_e64 s13, 1, v2
	v_or_b32_e32 v138, 0x120, v127
	v_or_b32_e32 v139, 0x140, v127
	;; [unrolled: 1-line block ×7, first 2 shown]
	v_add_co_ci_u32_e64 v146, null, 0, v109, vcc_lo
	s_mov_b32 s34, s33
                                        ; implicit-def: $vgpr8_vgpr9
	s_wait_kmcnt 0x0
	v_mad_u32_u24 v2, v104, s16, v0
	s_wait_dscnt 0x0
	s_delay_alu instid0(VALU_DEP_1) | instskip(NEXT) | instid1(VALU_DEP_1)
	v_mad_co_u64_u32 v[6:7], null, v2, s15, v[1:2]
	v_lshrrev_b32_e32 v2, 3, v6
                                        ; implicit-def: $vgpr6_vgpr7
	s_delay_alu instid0(VALU_DEP_1)
	v_and_b32_e32 v147, 0x1ffffffc, v2
	s_branch .LBB1227_96
.LBB1227_95:                            ;   in Loop: Header=BB1227_96 Depth=2
	s_wait_alu 0xfffe
	s_or_b32 exec_lo, exec_lo, s15
	s_addk_co_i32 s58, 0xf000
	s_cmp_lt_u32 s59, s51
	s_mov_b32 s34, s59
	s_cbranch_scc0 .LBB1227_304
.LBB1227_96:                            ;   Parent Loop BB1227_12 Depth=1
                                        ; =>  This Inner Loop Header: Depth=2
	s_wait_alu 0xfffe
	s_add_co_i32 s59, s34, 0x1000
	s_wait_alu 0xfffe
	s_cmp_gt_u32 s59, s51
	s_cbranch_scc1 .LBB1227_98
; %bb.97:                               ;   in Loop: Header=BB1227_96 Depth=2
	s_lshl_b64 s[16:17], s[34:35], 3
	s_mov_b32 s15, -1
	s_wait_alu 0xfffe
	v_add_co_u32 v44, vcc_lo, v145, s16
	s_wait_alu 0xfffd
	v_add_co_ci_u32_e64 v45, null, s17, v146, vcc_lo
	s_clause 0xe
	global_load_b64 v[38:39], v[44:45], off
	global_load_b64 v[40:41], v[44:45], off offset:256
	global_load_b64 v[42:43], v[44:45], off offset:512
	;; [unrolled: 1-line block ×14, first 2 shown]
	s_movk_i32 s16, 0x1000
	s_cbranch_execz .LBB1227_99
	s_branch .LBB1227_130
.LBB1227_98:                            ;   in Loop: Header=BB1227_96 Depth=2
	s_mov_b32 s15, 0
                                        ; implicit-def: $vgpr38_vgpr39
                                        ; implicit-def: $vgpr40_vgpr41
                                        ; implicit-def: $vgpr42_vgpr43
                                        ; implicit-def: $vgpr48_vgpr49
                                        ; implicit-def: $vgpr54_vgpr55
                                        ; implicit-def: $vgpr58_vgpr59
                                        ; implicit-def: $vgpr62_vgpr63
                                        ; implicit-def: $vgpr66_vgpr67
                                        ; implicit-def: $vgpr68_vgpr69
                                        ; implicit-def: $vgpr64_vgpr65
                                        ; implicit-def: $vgpr60_vgpr61
                                        ; implicit-def: $vgpr56_vgpr57
                                        ; implicit-def: $vgpr52_vgpr53
                                        ; implicit-def: $vgpr50_vgpr51
                                        ; implicit-def: $vgpr46_vgpr47
	s_movk_i32 s16, 0x1000
.LBB1227_99:                            ;   in Loop: Header=BB1227_96 Depth=2
	s_wait_loadcnt 0xd
	v_dual_mov_b32 v40, v4 :: v_dual_mov_b32 v41, v5
	s_lshl_b64 s[16:17], s[34:35], 3
	s_mov_b32 s15, exec_lo
	s_wait_alu 0xfffe
	v_add_co_u32 v44, vcc_lo, v145, s16
	s_wait_alu 0xfffd
	v_add_co_ci_u32_e64 v45, null, s17, v146, vcc_lo
	v_dual_mov_b32 v38, v40 :: v_dual_mov_b32 v39, v41
	v_cmpx_gt_u32_e64 s58, v127
	s_cbranch_execz .LBB1227_101
; %bb.100:                              ;   in Loop: Header=BB1227_96 Depth=2
	global_load_b64 v[38:39], v[44:45], off
.LBB1227_101:                           ;   in Loop: Header=BB1227_96 Depth=2
	s_or_b32 exec_lo, exec_lo, s15
	s_delay_alu instid0(SALU_CYCLE_1)
	s_mov_b32 s15, exec_lo
	v_cmpx_gt_u32_e64 s58, v130
	s_cbranch_execz .LBB1227_103
; %bb.102:                              ;   in Loop: Header=BB1227_96 Depth=2
	global_load_b64 v[40:41], v[44:45], off offset:256
.LBB1227_103:                           ;   in Loop: Header=BB1227_96 Depth=2
	s_wait_alu 0xfffe
	s_or_b32 exec_lo, exec_lo, s15
	s_wait_loadcnt 0xc
	v_dual_mov_b32 v43, v5 :: v_dual_mov_b32 v42, v4
	s_mov_b32 s15, exec_lo
	v_cmpx_gt_u32_e64 s58, v131
	s_cbranch_execz .LBB1227_105
; %bb.104:                              ;   in Loop: Header=BB1227_96 Depth=2
	global_load_b64 v[42:43], v[44:45], off offset:512
.LBB1227_105:                           ;   in Loop: Header=BB1227_96 Depth=2
	s_wait_alu 0xfffe
	s_or_b32 exec_lo, exec_lo, s15
	s_wait_loadcnt 0xb
	v_dual_mov_b32 v49, v5 :: v_dual_mov_b32 v48, v4
	;; [unrolled: 10-line block ×13, first 2 shown]
	s_mov_b32 s15, exec_lo
	v_cmpx_gt_u32_e64 s58, v143
	s_cbranch_execz .LBB1227_129
; %bb.128:                              ;   in Loop: Header=BB1227_96 Depth=2
	global_load_b64 v[46:47], v[44:45], off offset:3584
.LBB1227_129:                           ;   in Loop: Header=BB1227_96 Depth=2
	s_wait_alu 0xfffe
	s_or_b32 exec_lo, exec_lo, s15
	v_cmp_gt_u32_e64 s15, s58, v144
	s_sub_co_i32 s16, s51, s34
.LBB1227_130:                           ;   in Loop: Header=BB1227_96 Depth=2
	v_dual_mov_b32 v164, s58 :: v_dual_mov_b32 v45, v5
	v_mov_b32_e32 v44, v4
	s_and_saveexec_b32 s17, s15
	s_cbranch_execz .LBB1227_132
; %bb.131:                              ;   in Loop: Header=BB1227_96 Depth=2
	s_lshl_b64 s[18:19], s[34:35], 3
	s_wait_alu 0xfffe
	v_mov_b32_e32 v164, s16
	v_add_co_u32 v44, vcc_lo, v145, s18
	s_wait_alu 0xfffd
	v_add_co_ci_u32_e64 v45, null, s19, v146, vcc_lo
	global_load_b64 v[44:45], v[44:45], off offset:3840
.LBB1227_132:                           ;   in Loop: Header=BB1227_96 Depth=2
	s_wait_alu 0xfffe
	s_or_b32 exec_lo, exec_lo, s17
	s_wait_loadcnt 0xe
	v_cmp_lt_i64_e32 vcc_lo, -1, v[38:39]
	v_ashrrev_i32_e32 v70, 31, v39
	v_add_nc_u32_e32 v166, 0x420, v103
	v_add_nc_u32_e32 v167, 0x428, v103
	;; [unrolled: 1-line block ×3, first 2 shown]
	s_delay_alu instid0(VALU_DEP_4) | instskip(SKIP_2) | instid1(VALU_DEP_1)
	v_xor_b32_e32 v38, v70, v38
	s_wait_alu 0xfffd
	v_cndmask_b32_e64 v2, -1, 0x80000000, vcc_lo
	v_xor_b32_e32 v39, v2, v39
	s_delay_alu instid0(VALU_DEP_1) | instskip(SKIP_3) | instid1(VALU_DEP_1)
	v_cmp_ne_u64_e32 vcc_lo, s[42:43], v[38:39]
	s_wait_alu 0xfffd
	v_cndmask_b32_e32 v71, 0x80000000, v39, vcc_lo
	v_cndmask_b32_e32 v70, 0, v38, vcc_lo
	v_lshrrev_b64 v[70:71], s48, v[70:71]
	s_delay_alu instid0(VALU_DEP_1) | instskip(NEXT) | instid1(VALU_DEP_1)
	v_and_b32_e32 v71, s57, v70
	v_and_b32_e32 v2, 1, v71
	v_lshlrev_b32_e32 v70, 30, v71
	v_lshlrev_b32_e32 v72, 29, v71
	;; [unrolled: 1-line block ×4, first 2 shown]
	v_add_co_u32 v2, s15, v2, -1
	s_wait_alu 0xf1ff
	v_cndmask_b32_e64 v74, 0, 1, s15
	v_not_b32_e32 v165, v70
	v_cmp_gt_i32_e64 s15, 0, v70
	v_not_b32_e32 v70, v72
	v_lshlrev_b32_e32 v76, 26, v71
	v_cmp_ne_u32_e32 vcc_lo, 0, v74
	v_ashrrev_i32_e32 v165, 31, v165
	v_lshlrev_b32_e32 v77, 25, v71
	v_ashrrev_i32_e32 v70, 31, v70
	v_lshlrev_b32_e32 v74, 24, v71
	s_wait_alu 0xfffd
	v_xor_b32_e32 v2, vcc_lo, v2
	v_cmp_gt_i32_e32 vcc_lo, 0, v72
	v_not_b32_e32 v72, v73
	s_wait_alu 0xf1ff
	v_xor_b32_e32 v165, s15, v165
	v_cmp_gt_i32_e64 s15, 0, v73
	v_and_b32_e32 v2, exec_lo, v2
	v_not_b32_e32 v73, v75
	v_ashrrev_i32_e32 v72, 31, v72
	s_wait_alu 0xfffd
	v_xor_b32_e32 v70, vcc_lo, v70
	v_cmp_gt_i32_e32 vcc_lo, 0, v75
	v_and_b32_e32 v2, v2, v165
	v_not_b32_e32 v75, v76
	v_ashrrev_i32_e32 v73, 31, v73
	s_wait_alu 0xf1ff
	v_xor_b32_e32 v72, s15, v72
	v_cmp_gt_i32_e64 s15, 0, v76
	v_and_b32_e32 v2, v2, v70
	v_not_b32_e32 v70, v77
	v_ashrrev_i32_e32 v75, 31, v75
	s_wait_alu 0xfffd
	v_xor_b32_e32 v73, vcc_lo, v73
	v_cmp_gt_i32_e32 vcc_lo, 0, v77
	v_and_b32_e32 v2, v2, v72
	v_not_b32_e32 v72, v74
	v_ashrrev_i32_e32 v70, 31, v70
	s_wait_alu 0xf1ff
	v_xor_b32_e32 v75, s15, v75
	v_cmp_gt_i32_e64 s15, 0, v74
	v_and_b32_e32 v2, v2, v73
	v_ashrrev_i32_e32 v72, 31, v72
	s_wait_alu 0xfffd
	v_xor_b32_e32 v70, vcc_lo, v70
	v_mul_u32_u24_e32 v71, 36, v71
	v_add_nc_u32_e32 v165, 0x438, v103
	v_and_b32_e32 v2, v2, v75
	s_wait_alu 0xf1ff
	v_xor_b32_e32 v72, s15, v72
	v_add_nc_u32_e32 v169, v147, v71
	ds_store_2addr_b32 v165, v3, v3 offset1:1
	v_and_b32_e32 v2, v2, v70
	ds_store_2addr_b32 v166, v3, v3 offset1:1
	ds_store_2addr_b32 v167, v3, v3 offset1:1
	;; [unrolled: 1-line block ×3, first 2 shown]
	ds_store_b32 v103, v3 offset:1088
	s_wait_loadcnt_dscnt 0x0
	s_barrier_signal -1
	s_barrier_wait -1
	v_and_b32_e32 v70, v2, v72
	global_inv scope:SCOPE_SE
	; wave barrier
	v_mbcnt_lo_u32_b32 v2, v70, 0
	v_cmp_ne_u32_e64 s15, 0, v70
	s_delay_alu instid0(VALU_DEP_2)
	v_cmp_eq_u32_e32 vcc_lo, 0, v2
	s_and_b32 s16, s15, vcc_lo
	s_wait_alu 0xfffe
	s_and_saveexec_b32 s15, s16
; %bb.133:                              ;   in Loop: Header=BB1227_96 Depth=2
	v_bcnt_u32_b32 v70, v70, 0
	ds_store_b32 v169, v70 offset:1056
; %bb.134:                              ;   in Loop: Header=BB1227_96 Depth=2
	s_wait_alu 0xfffe
	s_or_b32 exec_lo, exec_lo, s15
	v_cmp_lt_i64_e32 vcc_lo, -1, v[40:41]
	v_ashrrev_i32_e32 v71, 31, v41
	; wave barrier
	s_delay_alu instid0(VALU_DEP_1) | instskip(SKIP_2) | instid1(VALU_DEP_1)
	v_xor_b32_e32 v40, v71, v40
	s_wait_alu 0xfffd
	v_cndmask_b32_e64 v70, -1, 0x80000000, vcc_lo
	v_xor_b32_e32 v41, v70, v41
	s_delay_alu instid0(VALU_DEP_1) | instskip(SKIP_3) | instid1(VALU_DEP_1)
	v_cmp_ne_u64_e32 vcc_lo, s[42:43], v[40:41]
	s_wait_alu 0xfffd
	v_cndmask_b32_e32 v71, 0x80000000, v41, vcc_lo
	v_cndmask_b32_e32 v70, 0, v40, vcc_lo
	v_lshrrev_b64 v[70:71], s48, v[70:71]
	s_delay_alu instid0(VALU_DEP_1) | instskip(NEXT) | instid1(VALU_DEP_1)
	v_and_b32_e32 v71, s57, v70
	v_and_b32_e32 v70, 1, v71
	v_lshlrev_b32_e32 v72, 30, v71
	v_lshlrev_b32_e32 v73, 29, v71
	v_lshlrev_b32_e32 v74, 28, v71
	v_lshlrev_b32_e32 v76, 27, v71
	v_add_co_u32 v70, s15, v70, -1
	s_wait_alu 0xf1ff
	v_cndmask_b32_e64 v75, 0, 1, s15
	v_not_b32_e32 v171, v72
	v_cmp_gt_i32_e64 s15, 0, v72
	v_not_b32_e32 v72, v73
	v_lshlrev_b32_e32 v77, 26, v71
	v_cmp_ne_u32_e32 vcc_lo, 0, v75
	v_ashrrev_i32_e32 v171, 31, v171
	v_lshlrev_b32_e32 v170, 25, v71
	v_ashrrev_i32_e32 v72, 31, v72
	v_lshlrev_b32_e32 v75, 24, v71
	s_wait_alu 0xfffd
	v_xor_b32_e32 v70, vcc_lo, v70
	v_cmp_gt_i32_e32 vcc_lo, 0, v73
	v_not_b32_e32 v73, v74
	s_wait_alu 0xf1ff
	v_xor_b32_e32 v171, s15, v171
	v_cmp_gt_i32_e64 s15, 0, v74
	v_and_b32_e32 v70, exec_lo, v70
	v_not_b32_e32 v74, v76
	v_ashrrev_i32_e32 v73, 31, v73
	s_wait_alu 0xfffd
	v_xor_b32_e32 v72, vcc_lo, v72
	v_cmp_gt_i32_e32 vcc_lo, 0, v76
	v_and_b32_e32 v70, v70, v171
	v_not_b32_e32 v76, v77
	v_ashrrev_i32_e32 v74, 31, v74
	s_wait_alu 0xf1ff
	v_xor_b32_e32 v73, s15, v73
	v_cmp_gt_i32_e64 s15, 0, v77
	v_and_b32_e32 v70, v70, v72
	v_not_b32_e32 v72, v170
	v_ashrrev_i32_e32 v76, 31, v76
	s_wait_alu 0xfffd
	v_xor_b32_e32 v74, vcc_lo, v74
	v_cmp_gt_i32_e32 vcc_lo, 0, v170
	v_and_b32_e32 v70, v70, v73
	v_not_b32_e32 v73, v75
	v_ashrrev_i32_e32 v72, 31, v72
	s_wait_alu 0xf1ff
	v_xor_b32_e32 v76, s15, v76
	v_cmp_gt_i32_e64 s15, 0, v75
	v_and_b32_e32 v70, v70, v74
	v_ashrrev_i32_e32 v73, 31, v73
	s_wait_alu 0xfffd
	v_xor_b32_e32 v72, vcc_lo, v72
	v_mad_u32_u24 v74, v71, 36, v147
	v_mul_u32_u24_e32 v71, 36, v71
	v_and_b32_e32 v70, v70, v76
	s_wait_alu 0xf1ff
	v_xor_b32_e32 v73, s15, v73
	ds_load_b32 v170, v74 offset:1056
	v_add_nc_u32_e32 v172, v147, v71
	v_and_b32_e32 v70, v70, v72
	; wave barrier
	s_delay_alu instid0(VALU_DEP_1) | instskip(NEXT) | instid1(VALU_DEP_1)
	v_and_b32_e32 v70, v70, v73
	v_mbcnt_lo_u32_b32 v171, v70, 0
	v_cmp_ne_u32_e64 s15, 0, v70
	s_delay_alu instid0(VALU_DEP_2)
	v_cmp_eq_u32_e32 vcc_lo, 0, v171
	s_and_b32 s16, s15, vcc_lo
	s_wait_alu 0xfffe
	s_and_saveexec_b32 s15, s16
	s_cbranch_execz .LBB1227_136
; %bb.135:                              ;   in Loop: Header=BB1227_96 Depth=2
	s_wait_dscnt 0x0
	v_bcnt_u32_b32 v70, v70, v170
	ds_store_b32 v172, v70 offset:1056
.LBB1227_136:                           ;   in Loop: Header=BB1227_96 Depth=2
	s_wait_alu 0xfffe
	s_or_b32 exec_lo, exec_lo, s15
	v_cmp_lt_i64_e32 vcc_lo, -1, v[42:43]
	v_ashrrev_i32_e32 v71, 31, v43
	; wave barrier
	s_delay_alu instid0(VALU_DEP_1) | instskip(SKIP_2) | instid1(VALU_DEP_1)
	v_xor_b32_e32 v42, v71, v42
	s_wait_alu 0xfffd
	v_cndmask_b32_e64 v70, -1, 0x80000000, vcc_lo
	v_xor_b32_e32 v43, v70, v43
	s_delay_alu instid0(VALU_DEP_1) | instskip(SKIP_3) | instid1(VALU_DEP_1)
	v_cmp_ne_u64_e32 vcc_lo, s[42:43], v[42:43]
	s_wait_alu 0xfffd
	v_cndmask_b32_e32 v71, 0x80000000, v43, vcc_lo
	v_cndmask_b32_e32 v70, 0, v42, vcc_lo
	v_lshrrev_b64 v[70:71], s48, v[70:71]
	s_delay_alu instid0(VALU_DEP_1) | instskip(NEXT) | instid1(VALU_DEP_1)
	v_and_b32_e32 v71, s57, v70
	v_and_b32_e32 v70, 1, v71
	v_lshlrev_b32_e32 v72, 30, v71
	v_lshlrev_b32_e32 v73, 29, v71
	;; [unrolled: 1-line block ×4, first 2 shown]
	v_add_co_u32 v70, s15, v70, -1
	s_wait_alu 0xf1ff
	v_cndmask_b32_e64 v75, 0, 1, s15
	v_not_b32_e32 v174, v72
	v_cmp_gt_i32_e64 s15, 0, v72
	v_not_b32_e32 v72, v73
	v_lshlrev_b32_e32 v77, 26, v71
	v_cmp_ne_u32_e32 vcc_lo, 0, v75
	v_ashrrev_i32_e32 v174, 31, v174
	v_lshlrev_b32_e32 v173, 25, v71
	v_ashrrev_i32_e32 v72, 31, v72
	v_lshlrev_b32_e32 v75, 24, v71
	s_wait_alu 0xfffd
	v_xor_b32_e32 v70, vcc_lo, v70
	v_cmp_gt_i32_e32 vcc_lo, 0, v73
	v_not_b32_e32 v73, v74
	s_wait_alu 0xf1ff
	v_xor_b32_e32 v174, s15, v174
	v_cmp_gt_i32_e64 s15, 0, v74
	v_and_b32_e32 v70, exec_lo, v70
	v_not_b32_e32 v74, v76
	v_ashrrev_i32_e32 v73, 31, v73
	s_wait_alu 0xfffd
	v_xor_b32_e32 v72, vcc_lo, v72
	v_cmp_gt_i32_e32 vcc_lo, 0, v76
	v_and_b32_e32 v70, v70, v174
	v_not_b32_e32 v76, v77
	v_ashrrev_i32_e32 v74, 31, v74
	s_wait_alu 0xf1ff
	v_xor_b32_e32 v73, s15, v73
	v_cmp_gt_i32_e64 s15, 0, v77
	v_and_b32_e32 v70, v70, v72
	v_not_b32_e32 v72, v173
	v_ashrrev_i32_e32 v76, 31, v76
	s_wait_alu 0xfffd
	v_xor_b32_e32 v74, vcc_lo, v74
	v_cmp_gt_i32_e32 vcc_lo, 0, v173
	v_and_b32_e32 v70, v70, v73
	v_not_b32_e32 v73, v75
	v_ashrrev_i32_e32 v72, 31, v72
	s_wait_alu 0xf1ff
	v_xor_b32_e32 v76, s15, v76
	v_cmp_gt_i32_e64 s15, 0, v75
	v_and_b32_e32 v70, v70, v74
	v_ashrrev_i32_e32 v73, 31, v73
	s_wait_alu 0xfffd
	v_xor_b32_e32 v72, vcc_lo, v72
	v_mad_u32_u24 v74, v71, 36, v147
	v_mul_u32_u24_e32 v71, 36, v71
	v_and_b32_e32 v70, v70, v76
	s_wait_alu 0xf1ff
	v_xor_b32_e32 v73, s15, v73
	ds_load_b32 v173, v74 offset:1056
	v_add_nc_u32_e32 v175, v147, v71
	v_and_b32_e32 v70, v70, v72
	; wave barrier
	s_delay_alu instid0(VALU_DEP_1) | instskip(NEXT) | instid1(VALU_DEP_1)
	v_and_b32_e32 v70, v70, v73
	v_mbcnt_lo_u32_b32 v174, v70, 0
	v_cmp_ne_u32_e64 s15, 0, v70
	s_delay_alu instid0(VALU_DEP_2)
	v_cmp_eq_u32_e32 vcc_lo, 0, v174
	s_and_b32 s16, s15, vcc_lo
	s_wait_alu 0xfffe
	s_and_saveexec_b32 s15, s16
	s_cbranch_execz .LBB1227_138
; %bb.137:                              ;   in Loop: Header=BB1227_96 Depth=2
	s_wait_dscnt 0x0
	v_bcnt_u32_b32 v70, v70, v173
	ds_store_b32 v175, v70 offset:1056
.LBB1227_138:                           ;   in Loop: Header=BB1227_96 Depth=2
	s_wait_alu 0xfffe
	s_or_b32 exec_lo, exec_lo, s15
	v_cmp_lt_i64_e32 vcc_lo, -1, v[48:49]
	v_ashrrev_i32_e32 v71, 31, v49
	; wave barrier
	s_delay_alu instid0(VALU_DEP_1) | instskip(SKIP_2) | instid1(VALU_DEP_1)
	v_xor_b32_e32 v48, v71, v48
	s_wait_alu 0xfffd
	v_cndmask_b32_e64 v70, -1, 0x80000000, vcc_lo
	v_xor_b32_e32 v49, v70, v49
	s_delay_alu instid0(VALU_DEP_1) | instskip(SKIP_3) | instid1(VALU_DEP_1)
	v_cmp_ne_u64_e32 vcc_lo, s[42:43], v[48:49]
	s_wait_alu 0xfffd
	v_cndmask_b32_e32 v71, 0x80000000, v49, vcc_lo
	v_cndmask_b32_e32 v70, 0, v48, vcc_lo
	v_lshrrev_b64 v[70:71], s48, v[70:71]
	s_delay_alu instid0(VALU_DEP_1) | instskip(NEXT) | instid1(VALU_DEP_1)
	v_and_b32_e32 v71, s57, v70
	v_and_b32_e32 v70, 1, v71
	v_lshlrev_b32_e32 v72, 30, v71
	v_lshlrev_b32_e32 v73, 29, v71
	v_lshlrev_b32_e32 v74, 28, v71
	v_lshlrev_b32_e32 v76, 27, v71
	v_add_co_u32 v70, s15, v70, -1
	s_wait_alu 0xf1ff
	v_cndmask_b32_e64 v75, 0, 1, s15
	v_not_b32_e32 v177, v72
	v_cmp_gt_i32_e64 s15, 0, v72
	v_not_b32_e32 v72, v73
	v_lshlrev_b32_e32 v77, 26, v71
	v_cmp_ne_u32_e32 vcc_lo, 0, v75
	v_ashrrev_i32_e32 v177, 31, v177
	v_lshlrev_b32_e32 v176, 25, v71
	v_ashrrev_i32_e32 v72, 31, v72
	v_lshlrev_b32_e32 v75, 24, v71
	s_wait_alu 0xfffd
	v_xor_b32_e32 v70, vcc_lo, v70
	v_cmp_gt_i32_e32 vcc_lo, 0, v73
	v_not_b32_e32 v73, v74
	s_wait_alu 0xf1ff
	v_xor_b32_e32 v177, s15, v177
	v_cmp_gt_i32_e64 s15, 0, v74
	v_and_b32_e32 v70, exec_lo, v70
	v_not_b32_e32 v74, v76
	v_ashrrev_i32_e32 v73, 31, v73
	s_wait_alu 0xfffd
	v_xor_b32_e32 v72, vcc_lo, v72
	v_cmp_gt_i32_e32 vcc_lo, 0, v76
	v_and_b32_e32 v70, v70, v177
	v_not_b32_e32 v76, v77
	v_ashrrev_i32_e32 v74, 31, v74
	s_wait_alu 0xf1ff
	v_xor_b32_e32 v73, s15, v73
	v_cmp_gt_i32_e64 s15, 0, v77
	v_and_b32_e32 v70, v70, v72
	v_not_b32_e32 v72, v176
	v_ashrrev_i32_e32 v76, 31, v76
	s_wait_alu 0xfffd
	v_xor_b32_e32 v74, vcc_lo, v74
	v_cmp_gt_i32_e32 vcc_lo, 0, v176
	v_and_b32_e32 v70, v70, v73
	v_not_b32_e32 v73, v75
	v_ashrrev_i32_e32 v72, 31, v72
	s_wait_alu 0xf1ff
	v_xor_b32_e32 v76, s15, v76
	v_cmp_gt_i32_e64 s15, 0, v75
	v_and_b32_e32 v70, v70, v74
	v_ashrrev_i32_e32 v73, 31, v73
	s_wait_alu 0xfffd
	v_xor_b32_e32 v72, vcc_lo, v72
	v_mad_u32_u24 v74, v71, 36, v147
	v_mul_u32_u24_e32 v71, 36, v71
	v_and_b32_e32 v70, v70, v76
	s_wait_alu 0xf1ff
	v_xor_b32_e32 v73, s15, v73
	ds_load_b32 v176, v74 offset:1056
	v_add_nc_u32_e32 v178, v147, v71
	v_and_b32_e32 v70, v70, v72
	; wave barrier
	s_delay_alu instid0(VALU_DEP_1) | instskip(NEXT) | instid1(VALU_DEP_1)
	v_and_b32_e32 v70, v70, v73
	v_mbcnt_lo_u32_b32 v177, v70, 0
	v_cmp_ne_u32_e64 s15, 0, v70
	s_delay_alu instid0(VALU_DEP_2)
	v_cmp_eq_u32_e32 vcc_lo, 0, v177
	s_and_b32 s16, s15, vcc_lo
	s_wait_alu 0xfffe
	s_and_saveexec_b32 s15, s16
	s_cbranch_execz .LBB1227_140
; %bb.139:                              ;   in Loop: Header=BB1227_96 Depth=2
	s_wait_dscnt 0x0
	v_bcnt_u32_b32 v70, v70, v176
	ds_store_b32 v178, v70 offset:1056
.LBB1227_140:                           ;   in Loop: Header=BB1227_96 Depth=2
	s_wait_alu 0xfffe
	s_or_b32 exec_lo, exec_lo, s15
	v_cmp_lt_i64_e32 vcc_lo, -1, v[54:55]
	v_ashrrev_i32_e32 v71, 31, v55
	; wave barrier
	s_delay_alu instid0(VALU_DEP_1) | instskip(SKIP_2) | instid1(VALU_DEP_1)
	v_xor_b32_e32 v54, v71, v54
	s_wait_alu 0xfffd
	v_cndmask_b32_e64 v70, -1, 0x80000000, vcc_lo
	v_xor_b32_e32 v55, v70, v55
	s_delay_alu instid0(VALU_DEP_1) | instskip(SKIP_3) | instid1(VALU_DEP_1)
	v_cmp_ne_u64_e32 vcc_lo, s[42:43], v[54:55]
	s_wait_alu 0xfffd
	v_cndmask_b32_e32 v71, 0x80000000, v55, vcc_lo
	v_cndmask_b32_e32 v70, 0, v54, vcc_lo
	v_lshrrev_b64 v[70:71], s48, v[70:71]
	s_delay_alu instid0(VALU_DEP_1) | instskip(NEXT) | instid1(VALU_DEP_1)
	v_and_b32_e32 v71, s57, v70
	v_and_b32_e32 v70, 1, v71
	v_lshlrev_b32_e32 v72, 30, v71
	v_lshlrev_b32_e32 v73, 29, v71
	;; [unrolled: 1-line block ×4, first 2 shown]
	v_add_co_u32 v70, s15, v70, -1
	s_wait_alu 0xf1ff
	v_cndmask_b32_e64 v75, 0, 1, s15
	v_not_b32_e32 v180, v72
	v_cmp_gt_i32_e64 s15, 0, v72
	v_not_b32_e32 v72, v73
	v_lshlrev_b32_e32 v77, 26, v71
	v_cmp_ne_u32_e32 vcc_lo, 0, v75
	v_ashrrev_i32_e32 v180, 31, v180
	v_lshlrev_b32_e32 v179, 25, v71
	v_ashrrev_i32_e32 v72, 31, v72
	v_lshlrev_b32_e32 v75, 24, v71
	s_wait_alu 0xfffd
	v_xor_b32_e32 v70, vcc_lo, v70
	v_cmp_gt_i32_e32 vcc_lo, 0, v73
	v_not_b32_e32 v73, v74
	s_wait_alu 0xf1ff
	v_xor_b32_e32 v180, s15, v180
	v_cmp_gt_i32_e64 s15, 0, v74
	v_and_b32_e32 v70, exec_lo, v70
	v_not_b32_e32 v74, v76
	v_ashrrev_i32_e32 v73, 31, v73
	s_wait_alu 0xfffd
	v_xor_b32_e32 v72, vcc_lo, v72
	v_cmp_gt_i32_e32 vcc_lo, 0, v76
	v_and_b32_e32 v70, v70, v180
	v_not_b32_e32 v76, v77
	v_ashrrev_i32_e32 v74, 31, v74
	s_wait_alu 0xf1ff
	v_xor_b32_e32 v73, s15, v73
	v_cmp_gt_i32_e64 s15, 0, v77
	v_and_b32_e32 v70, v70, v72
	v_not_b32_e32 v72, v179
	v_ashrrev_i32_e32 v76, 31, v76
	s_wait_alu 0xfffd
	v_xor_b32_e32 v74, vcc_lo, v74
	v_cmp_gt_i32_e32 vcc_lo, 0, v179
	v_and_b32_e32 v70, v70, v73
	v_not_b32_e32 v73, v75
	v_ashrrev_i32_e32 v72, 31, v72
	s_wait_alu 0xf1ff
	v_xor_b32_e32 v76, s15, v76
	v_cmp_gt_i32_e64 s15, 0, v75
	v_and_b32_e32 v70, v70, v74
	v_ashrrev_i32_e32 v73, 31, v73
	s_wait_alu 0xfffd
	v_xor_b32_e32 v72, vcc_lo, v72
	v_mad_u32_u24 v74, v71, 36, v147
	v_mul_u32_u24_e32 v71, 36, v71
	v_and_b32_e32 v70, v70, v76
	s_wait_alu 0xf1ff
	v_xor_b32_e32 v73, s15, v73
	ds_load_b32 v179, v74 offset:1056
	v_add_nc_u32_e32 v181, v147, v71
	v_and_b32_e32 v70, v70, v72
	; wave barrier
	s_delay_alu instid0(VALU_DEP_1) | instskip(NEXT) | instid1(VALU_DEP_1)
	v_and_b32_e32 v70, v70, v73
	v_mbcnt_lo_u32_b32 v180, v70, 0
	v_cmp_ne_u32_e64 s15, 0, v70
	s_delay_alu instid0(VALU_DEP_2)
	v_cmp_eq_u32_e32 vcc_lo, 0, v180
	s_and_b32 s16, s15, vcc_lo
	s_wait_alu 0xfffe
	s_and_saveexec_b32 s15, s16
	s_cbranch_execz .LBB1227_142
; %bb.141:                              ;   in Loop: Header=BB1227_96 Depth=2
	s_wait_dscnt 0x0
	v_bcnt_u32_b32 v70, v70, v179
	ds_store_b32 v181, v70 offset:1056
.LBB1227_142:                           ;   in Loop: Header=BB1227_96 Depth=2
	s_wait_alu 0xfffe
	s_or_b32 exec_lo, exec_lo, s15
	v_cmp_lt_i64_e32 vcc_lo, -1, v[58:59]
	v_ashrrev_i32_e32 v71, 31, v59
	; wave barrier
	s_delay_alu instid0(VALU_DEP_1) | instskip(SKIP_2) | instid1(VALU_DEP_1)
	v_xor_b32_e32 v58, v71, v58
	s_wait_alu 0xfffd
	v_cndmask_b32_e64 v70, -1, 0x80000000, vcc_lo
	v_xor_b32_e32 v59, v70, v59
	s_delay_alu instid0(VALU_DEP_1) | instskip(SKIP_3) | instid1(VALU_DEP_1)
	v_cmp_ne_u64_e32 vcc_lo, s[42:43], v[58:59]
	s_wait_alu 0xfffd
	v_cndmask_b32_e32 v71, 0x80000000, v59, vcc_lo
	v_cndmask_b32_e32 v70, 0, v58, vcc_lo
	v_lshrrev_b64 v[70:71], s48, v[70:71]
	s_delay_alu instid0(VALU_DEP_1) | instskip(NEXT) | instid1(VALU_DEP_1)
	v_and_b32_e32 v71, s57, v70
	v_and_b32_e32 v70, 1, v71
	v_lshlrev_b32_e32 v72, 30, v71
	v_lshlrev_b32_e32 v73, 29, v71
	;; [unrolled: 1-line block ×4, first 2 shown]
	v_add_co_u32 v70, s15, v70, -1
	s_wait_alu 0xf1ff
	v_cndmask_b32_e64 v75, 0, 1, s15
	v_not_b32_e32 v183, v72
	v_cmp_gt_i32_e64 s15, 0, v72
	v_not_b32_e32 v72, v73
	v_lshlrev_b32_e32 v77, 26, v71
	v_cmp_ne_u32_e32 vcc_lo, 0, v75
	v_ashrrev_i32_e32 v183, 31, v183
	v_lshlrev_b32_e32 v182, 25, v71
	v_ashrrev_i32_e32 v72, 31, v72
	v_lshlrev_b32_e32 v75, 24, v71
	s_wait_alu 0xfffd
	v_xor_b32_e32 v70, vcc_lo, v70
	v_cmp_gt_i32_e32 vcc_lo, 0, v73
	v_not_b32_e32 v73, v74
	s_wait_alu 0xf1ff
	v_xor_b32_e32 v183, s15, v183
	v_cmp_gt_i32_e64 s15, 0, v74
	v_and_b32_e32 v70, exec_lo, v70
	v_not_b32_e32 v74, v76
	v_ashrrev_i32_e32 v73, 31, v73
	s_wait_alu 0xfffd
	v_xor_b32_e32 v72, vcc_lo, v72
	v_cmp_gt_i32_e32 vcc_lo, 0, v76
	v_and_b32_e32 v70, v70, v183
	v_not_b32_e32 v76, v77
	v_ashrrev_i32_e32 v74, 31, v74
	s_wait_alu 0xf1ff
	v_xor_b32_e32 v73, s15, v73
	v_cmp_gt_i32_e64 s15, 0, v77
	v_and_b32_e32 v70, v70, v72
	v_not_b32_e32 v72, v182
	v_ashrrev_i32_e32 v76, 31, v76
	s_wait_alu 0xfffd
	v_xor_b32_e32 v74, vcc_lo, v74
	v_cmp_gt_i32_e32 vcc_lo, 0, v182
	v_and_b32_e32 v70, v70, v73
	v_not_b32_e32 v73, v75
	v_ashrrev_i32_e32 v72, 31, v72
	s_wait_alu 0xf1ff
	v_xor_b32_e32 v76, s15, v76
	v_cmp_gt_i32_e64 s15, 0, v75
	v_and_b32_e32 v70, v70, v74
	v_ashrrev_i32_e32 v73, 31, v73
	s_wait_alu 0xfffd
	v_xor_b32_e32 v72, vcc_lo, v72
	v_mad_u32_u24 v74, v71, 36, v147
	v_mul_u32_u24_e32 v71, 36, v71
	v_and_b32_e32 v70, v70, v76
	s_wait_alu 0xf1ff
	v_xor_b32_e32 v73, s15, v73
	ds_load_b32 v182, v74 offset:1056
	v_add_nc_u32_e32 v184, v147, v71
	v_and_b32_e32 v70, v70, v72
	; wave barrier
	s_delay_alu instid0(VALU_DEP_1) | instskip(NEXT) | instid1(VALU_DEP_1)
	v_and_b32_e32 v70, v70, v73
	v_mbcnt_lo_u32_b32 v183, v70, 0
	v_cmp_ne_u32_e64 s15, 0, v70
	s_delay_alu instid0(VALU_DEP_2)
	v_cmp_eq_u32_e32 vcc_lo, 0, v183
	s_and_b32 s16, s15, vcc_lo
	s_wait_alu 0xfffe
	s_and_saveexec_b32 s15, s16
	s_cbranch_execz .LBB1227_144
; %bb.143:                              ;   in Loop: Header=BB1227_96 Depth=2
	s_wait_dscnt 0x0
	v_bcnt_u32_b32 v70, v70, v182
	ds_store_b32 v184, v70 offset:1056
.LBB1227_144:                           ;   in Loop: Header=BB1227_96 Depth=2
	s_wait_alu 0xfffe
	s_or_b32 exec_lo, exec_lo, s15
	v_cmp_lt_i64_e32 vcc_lo, -1, v[62:63]
	v_ashrrev_i32_e32 v71, 31, v63
	; wave barrier
	s_delay_alu instid0(VALU_DEP_1) | instskip(SKIP_2) | instid1(VALU_DEP_1)
	v_xor_b32_e32 v62, v71, v62
	s_wait_alu 0xfffd
	v_cndmask_b32_e64 v70, -1, 0x80000000, vcc_lo
	v_xor_b32_e32 v63, v70, v63
	s_delay_alu instid0(VALU_DEP_1) | instskip(SKIP_3) | instid1(VALU_DEP_1)
	v_cmp_ne_u64_e32 vcc_lo, s[42:43], v[62:63]
	s_wait_alu 0xfffd
	v_cndmask_b32_e32 v71, 0x80000000, v63, vcc_lo
	v_cndmask_b32_e32 v70, 0, v62, vcc_lo
	v_lshrrev_b64 v[70:71], s48, v[70:71]
	s_delay_alu instid0(VALU_DEP_1) | instskip(NEXT) | instid1(VALU_DEP_1)
	v_and_b32_e32 v71, s57, v70
	v_and_b32_e32 v70, 1, v71
	v_lshlrev_b32_e32 v72, 30, v71
	v_lshlrev_b32_e32 v73, 29, v71
	v_lshlrev_b32_e32 v74, 28, v71
	v_lshlrev_b32_e32 v76, 27, v71
	v_add_co_u32 v70, s15, v70, -1
	s_wait_alu 0xf1ff
	v_cndmask_b32_e64 v75, 0, 1, s15
	v_not_b32_e32 v186, v72
	v_cmp_gt_i32_e64 s15, 0, v72
	v_not_b32_e32 v72, v73
	v_lshlrev_b32_e32 v77, 26, v71
	v_cmp_ne_u32_e32 vcc_lo, 0, v75
	v_ashrrev_i32_e32 v186, 31, v186
	v_lshlrev_b32_e32 v185, 25, v71
	v_ashrrev_i32_e32 v72, 31, v72
	v_lshlrev_b32_e32 v75, 24, v71
	s_wait_alu 0xfffd
	v_xor_b32_e32 v70, vcc_lo, v70
	v_cmp_gt_i32_e32 vcc_lo, 0, v73
	v_not_b32_e32 v73, v74
	s_wait_alu 0xf1ff
	v_xor_b32_e32 v186, s15, v186
	v_cmp_gt_i32_e64 s15, 0, v74
	v_and_b32_e32 v70, exec_lo, v70
	v_not_b32_e32 v74, v76
	v_ashrrev_i32_e32 v73, 31, v73
	s_wait_alu 0xfffd
	v_xor_b32_e32 v72, vcc_lo, v72
	v_cmp_gt_i32_e32 vcc_lo, 0, v76
	v_and_b32_e32 v70, v70, v186
	v_not_b32_e32 v76, v77
	v_ashrrev_i32_e32 v74, 31, v74
	s_wait_alu 0xf1ff
	v_xor_b32_e32 v73, s15, v73
	v_cmp_gt_i32_e64 s15, 0, v77
	v_and_b32_e32 v70, v70, v72
	v_not_b32_e32 v72, v185
	v_ashrrev_i32_e32 v76, 31, v76
	s_wait_alu 0xfffd
	v_xor_b32_e32 v74, vcc_lo, v74
	v_cmp_gt_i32_e32 vcc_lo, 0, v185
	v_and_b32_e32 v70, v70, v73
	v_not_b32_e32 v73, v75
	v_ashrrev_i32_e32 v72, 31, v72
	s_wait_alu 0xf1ff
	v_xor_b32_e32 v76, s15, v76
	v_cmp_gt_i32_e64 s15, 0, v75
	v_and_b32_e32 v70, v70, v74
	v_ashrrev_i32_e32 v73, 31, v73
	s_wait_alu 0xfffd
	v_xor_b32_e32 v72, vcc_lo, v72
	v_mad_u32_u24 v74, v71, 36, v147
	v_mul_u32_u24_e32 v71, 36, v71
	v_and_b32_e32 v70, v70, v76
	s_wait_alu 0xf1ff
	v_xor_b32_e32 v73, s15, v73
	ds_load_b32 v185, v74 offset:1056
	v_add_nc_u32_e32 v187, v147, v71
	v_and_b32_e32 v70, v70, v72
	; wave barrier
	s_delay_alu instid0(VALU_DEP_1) | instskip(NEXT) | instid1(VALU_DEP_1)
	v_and_b32_e32 v70, v70, v73
	v_mbcnt_lo_u32_b32 v186, v70, 0
	v_cmp_ne_u32_e64 s15, 0, v70
	s_delay_alu instid0(VALU_DEP_2)
	v_cmp_eq_u32_e32 vcc_lo, 0, v186
	s_and_b32 s16, s15, vcc_lo
	s_wait_alu 0xfffe
	s_and_saveexec_b32 s15, s16
	s_cbranch_execz .LBB1227_146
; %bb.145:                              ;   in Loop: Header=BB1227_96 Depth=2
	s_wait_dscnt 0x0
	v_bcnt_u32_b32 v70, v70, v185
	ds_store_b32 v187, v70 offset:1056
.LBB1227_146:                           ;   in Loop: Header=BB1227_96 Depth=2
	s_wait_alu 0xfffe
	s_or_b32 exec_lo, exec_lo, s15
	v_cmp_lt_i64_e32 vcc_lo, -1, v[66:67]
	v_ashrrev_i32_e32 v71, 31, v67
	; wave barrier
	s_delay_alu instid0(VALU_DEP_1) | instskip(SKIP_2) | instid1(VALU_DEP_1)
	v_xor_b32_e32 v66, v71, v66
	s_wait_alu 0xfffd
	v_cndmask_b32_e64 v70, -1, 0x80000000, vcc_lo
	v_xor_b32_e32 v67, v70, v67
	s_delay_alu instid0(VALU_DEP_1) | instskip(SKIP_3) | instid1(VALU_DEP_1)
	v_cmp_ne_u64_e32 vcc_lo, s[42:43], v[66:67]
	s_wait_alu 0xfffd
	v_cndmask_b32_e32 v71, 0x80000000, v67, vcc_lo
	v_cndmask_b32_e32 v70, 0, v66, vcc_lo
	v_lshrrev_b64 v[70:71], s48, v[70:71]
	s_delay_alu instid0(VALU_DEP_1) | instskip(NEXT) | instid1(VALU_DEP_1)
	v_and_b32_e32 v71, s57, v70
	v_and_b32_e32 v70, 1, v71
	v_lshlrev_b32_e32 v72, 30, v71
	v_lshlrev_b32_e32 v73, 29, v71
	;; [unrolled: 1-line block ×4, first 2 shown]
	v_add_co_u32 v70, s15, v70, -1
	s_wait_alu 0xf1ff
	v_cndmask_b32_e64 v75, 0, 1, s15
	v_not_b32_e32 v189, v72
	v_cmp_gt_i32_e64 s15, 0, v72
	v_not_b32_e32 v72, v73
	v_lshlrev_b32_e32 v77, 26, v71
	v_cmp_ne_u32_e32 vcc_lo, 0, v75
	v_ashrrev_i32_e32 v189, 31, v189
	v_lshlrev_b32_e32 v188, 25, v71
	v_ashrrev_i32_e32 v72, 31, v72
	v_lshlrev_b32_e32 v75, 24, v71
	s_wait_alu 0xfffd
	v_xor_b32_e32 v70, vcc_lo, v70
	v_cmp_gt_i32_e32 vcc_lo, 0, v73
	v_not_b32_e32 v73, v74
	s_wait_alu 0xf1ff
	v_xor_b32_e32 v189, s15, v189
	v_cmp_gt_i32_e64 s15, 0, v74
	v_and_b32_e32 v70, exec_lo, v70
	v_not_b32_e32 v74, v76
	v_ashrrev_i32_e32 v73, 31, v73
	s_wait_alu 0xfffd
	v_xor_b32_e32 v72, vcc_lo, v72
	v_cmp_gt_i32_e32 vcc_lo, 0, v76
	v_and_b32_e32 v70, v70, v189
	v_not_b32_e32 v76, v77
	v_ashrrev_i32_e32 v74, 31, v74
	s_wait_alu 0xf1ff
	v_xor_b32_e32 v73, s15, v73
	v_cmp_gt_i32_e64 s15, 0, v77
	v_and_b32_e32 v70, v70, v72
	v_not_b32_e32 v72, v188
	v_ashrrev_i32_e32 v76, 31, v76
	s_wait_alu 0xfffd
	v_xor_b32_e32 v74, vcc_lo, v74
	v_cmp_gt_i32_e32 vcc_lo, 0, v188
	v_and_b32_e32 v70, v70, v73
	v_not_b32_e32 v73, v75
	v_ashrrev_i32_e32 v72, 31, v72
	s_wait_alu 0xf1ff
	v_xor_b32_e32 v76, s15, v76
	v_cmp_gt_i32_e64 s15, 0, v75
	v_and_b32_e32 v70, v70, v74
	v_ashrrev_i32_e32 v73, 31, v73
	s_wait_alu 0xfffd
	v_xor_b32_e32 v72, vcc_lo, v72
	v_mad_u32_u24 v74, v71, 36, v147
	v_mul_u32_u24_e32 v71, 36, v71
	v_and_b32_e32 v70, v70, v76
	s_wait_alu 0xf1ff
	v_xor_b32_e32 v73, s15, v73
	ds_load_b32 v188, v74 offset:1056
	v_add_nc_u32_e32 v190, v147, v71
	v_and_b32_e32 v70, v70, v72
	; wave barrier
	s_delay_alu instid0(VALU_DEP_1) | instskip(NEXT) | instid1(VALU_DEP_1)
	v_and_b32_e32 v70, v70, v73
	v_mbcnt_lo_u32_b32 v189, v70, 0
	v_cmp_ne_u32_e64 s15, 0, v70
	s_delay_alu instid0(VALU_DEP_2)
	v_cmp_eq_u32_e32 vcc_lo, 0, v189
	s_and_b32 s16, s15, vcc_lo
	s_wait_alu 0xfffe
	s_and_saveexec_b32 s15, s16
	s_cbranch_execz .LBB1227_148
; %bb.147:                              ;   in Loop: Header=BB1227_96 Depth=2
	s_wait_dscnt 0x0
	v_bcnt_u32_b32 v70, v70, v188
	ds_store_b32 v190, v70 offset:1056
.LBB1227_148:                           ;   in Loop: Header=BB1227_96 Depth=2
	s_wait_alu 0xfffe
	s_or_b32 exec_lo, exec_lo, s15
	v_cmp_lt_i64_e32 vcc_lo, -1, v[68:69]
	v_ashrrev_i32_e32 v71, 31, v69
	; wave barrier
	s_delay_alu instid0(VALU_DEP_1) | instskip(SKIP_2) | instid1(VALU_DEP_1)
	v_xor_b32_e32 v68, v71, v68
	s_wait_alu 0xfffd
	v_cndmask_b32_e64 v70, -1, 0x80000000, vcc_lo
	v_xor_b32_e32 v69, v70, v69
	s_delay_alu instid0(VALU_DEP_1) | instskip(SKIP_3) | instid1(VALU_DEP_1)
	v_cmp_ne_u64_e32 vcc_lo, s[42:43], v[68:69]
	s_wait_alu 0xfffd
	v_cndmask_b32_e32 v71, 0x80000000, v69, vcc_lo
	v_cndmask_b32_e32 v70, 0, v68, vcc_lo
	v_lshrrev_b64 v[70:71], s48, v[70:71]
	s_delay_alu instid0(VALU_DEP_1) | instskip(NEXT) | instid1(VALU_DEP_1)
	v_and_b32_e32 v71, s57, v70
	v_and_b32_e32 v70, 1, v71
	v_lshlrev_b32_e32 v72, 30, v71
	v_lshlrev_b32_e32 v73, 29, v71
	;; [unrolled: 1-line block ×4, first 2 shown]
	v_add_co_u32 v70, s15, v70, -1
	s_wait_alu 0xf1ff
	v_cndmask_b32_e64 v75, 0, 1, s15
	v_not_b32_e32 v192, v72
	v_cmp_gt_i32_e64 s15, 0, v72
	v_not_b32_e32 v72, v73
	v_lshlrev_b32_e32 v77, 26, v71
	v_cmp_ne_u32_e32 vcc_lo, 0, v75
	v_ashrrev_i32_e32 v192, 31, v192
	v_lshlrev_b32_e32 v191, 25, v71
	v_ashrrev_i32_e32 v72, 31, v72
	v_lshlrev_b32_e32 v75, 24, v71
	s_wait_alu 0xfffd
	v_xor_b32_e32 v70, vcc_lo, v70
	v_cmp_gt_i32_e32 vcc_lo, 0, v73
	v_not_b32_e32 v73, v74
	s_wait_alu 0xf1ff
	v_xor_b32_e32 v192, s15, v192
	v_cmp_gt_i32_e64 s15, 0, v74
	v_and_b32_e32 v70, exec_lo, v70
	v_not_b32_e32 v74, v76
	v_ashrrev_i32_e32 v73, 31, v73
	s_wait_alu 0xfffd
	v_xor_b32_e32 v72, vcc_lo, v72
	v_cmp_gt_i32_e32 vcc_lo, 0, v76
	v_and_b32_e32 v70, v70, v192
	v_not_b32_e32 v76, v77
	v_ashrrev_i32_e32 v74, 31, v74
	s_wait_alu 0xf1ff
	v_xor_b32_e32 v73, s15, v73
	v_cmp_gt_i32_e64 s15, 0, v77
	v_and_b32_e32 v70, v70, v72
	v_not_b32_e32 v72, v191
	v_ashrrev_i32_e32 v76, 31, v76
	s_wait_alu 0xfffd
	v_xor_b32_e32 v74, vcc_lo, v74
	v_cmp_gt_i32_e32 vcc_lo, 0, v191
	v_and_b32_e32 v70, v70, v73
	v_not_b32_e32 v73, v75
	v_ashrrev_i32_e32 v72, 31, v72
	s_wait_alu 0xf1ff
	v_xor_b32_e32 v76, s15, v76
	v_cmp_gt_i32_e64 s15, 0, v75
	v_and_b32_e32 v70, v70, v74
	v_ashrrev_i32_e32 v73, 31, v73
	s_wait_alu 0xfffd
	v_xor_b32_e32 v72, vcc_lo, v72
	v_mad_u32_u24 v74, v71, 36, v147
	v_mul_u32_u24_e32 v71, 36, v71
	v_and_b32_e32 v70, v70, v76
	s_wait_alu 0xf1ff
	v_xor_b32_e32 v73, s15, v73
	ds_load_b32 v191, v74 offset:1056
	v_add_nc_u32_e32 v193, v147, v71
	v_and_b32_e32 v70, v70, v72
	; wave barrier
	s_delay_alu instid0(VALU_DEP_1) | instskip(NEXT) | instid1(VALU_DEP_1)
	v_and_b32_e32 v70, v70, v73
	v_mbcnt_lo_u32_b32 v192, v70, 0
	v_cmp_ne_u32_e64 s15, 0, v70
	s_delay_alu instid0(VALU_DEP_2)
	v_cmp_eq_u32_e32 vcc_lo, 0, v192
	s_and_b32 s16, s15, vcc_lo
	s_wait_alu 0xfffe
	s_and_saveexec_b32 s15, s16
	s_cbranch_execz .LBB1227_150
; %bb.149:                              ;   in Loop: Header=BB1227_96 Depth=2
	s_wait_dscnt 0x0
	v_bcnt_u32_b32 v70, v70, v191
	ds_store_b32 v193, v70 offset:1056
.LBB1227_150:                           ;   in Loop: Header=BB1227_96 Depth=2
	s_wait_alu 0xfffe
	s_or_b32 exec_lo, exec_lo, s15
	v_cmp_lt_i64_e32 vcc_lo, -1, v[64:65]
	v_ashrrev_i32_e32 v71, 31, v65
	; wave barrier
	s_delay_alu instid0(VALU_DEP_1) | instskip(SKIP_2) | instid1(VALU_DEP_1)
	v_xor_b32_e32 v64, v71, v64
	s_wait_alu 0xfffd
	v_cndmask_b32_e64 v70, -1, 0x80000000, vcc_lo
	v_xor_b32_e32 v65, v70, v65
	s_delay_alu instid0(VALU_DEP_1) | instskip(SKIP_3) | instid1(VALU_DEP_1)
	v_cmp_ne_u64_e32 vcc_lo, s[42:43], v[64:65]
	s_wait_alu 0xfffd
	v_cndmask_b32_e32 v71, 0x80000000, v65, vcc_lo
	v_cndmask_b32_e32 v70, 0, v64, vcc_lo
	v_lshrrev_b64 v[70:71], s48, v[70:71]
	s_delay_alu instid0(VALU_DEP_1) | instskip(NEXT) | instid1(VALU_DEP_1)
	v_and_b32_e32 v71, s57, v70
	v_and_b32_e32 v70, 1, v71
	v_lshlrev_b32_e32 v72, 30, v71
	v_lshlrev_b32_e32 v73, 29, v71
	;; [unrolled: 1-line block ×4, first 2 shown]
	v_add_co_u32 v70, s15, v70, -1
	s_wait_alu 0xf1ff
	v_cndmask_b32_e64 v75, 0, 1, s15
	v_not_b32_e32 v195, v72
	v_cmp_gt_i32_e64 s15, 0, v72
	v_not_b32_e32 v72, v73
	v_lshlrev_b32_e32 v77, 26, v71
	v_cmp_ne_u32_e32 vcc_lo, 0, v75
	v_ashrrev_i32_e32 v195, 31, v195
	v_lshlrev_b32_e32 v194, 25, v71
	v_ashrrev_i32_e32 v72, 31, v72
	v_lshlrev_b32_e32 v75, 24, v71
	s_wait_alu 0xfffd
	v_xor_b32_e32 v70, vcc_lo, v70
	v_cmp_gt_i32_e32 vcc_lo, 0, v73
	v_not_b32_e32 v73, v74
	s_wait_alu 0xf1ff
	v_xor_b32_e32 v195, s15, v195
	v_cmp_gt_i32_e64 s15, 0, v74
	v_and_b32_e32 v70, exec_lo, v70
	v_not_b32_e32 v74, v76
	v_ashrrev_i32_e32 v73, 31, v73
	s_wait_alu 0xfffd
	v_xor_b32_e32 v72, vcc_lo, v72
	v_cmp_gt_i32_e32 vcc_lo, 0, v76
	v_and_b32_e32 v70, v70, v195
	v_not_b32_e32 v76, v77
	v_ashrrev_i32_e32 v74, 31, v74
	s_wait_alu 0xf1ff
	v_xor_b32_e32 v73, s15, v73
	v_cmp_gt_i32_e64 s15, 0, v77
	v_and_b32_e32 v70, v70, v72
	v_not_b32_e32 v72, v194
	v_ashrrev_i32_e32 v76, 31, v76
	s_wait_alu 0xfffd
	v_xor_b32_e32 v74, vcc_lo, v74
	v_cmp_gt_i32_e32 vcc_lo, 0, v194
	v_and_b32_e32 v70, v70, v73
	v_not_b32_e32 v73, v75
	v_ashrrev_i32_e32 v72, 31, v72
	s_wait_alu 0xf1ff
	v_xor_b32_e32 v76, s15, v76
	v_cmp_gt_i32_e64 s15, 0, v75
	v_and_b32_e32 v70, v70, v74
	v_ashrrev_i32_e32 v73, 31, v73
	s_wait_alu 0xfffd
	v_xor_b32_e32 v72, vcc_lo, v72
	v_mad_u32_u24 v74, v71, 36, v147
	v_mul_u32_u24_e32 v71, 36, v71
	v_and_b32_e32 v70, v70, v76
	s_wait_alu 0xf1ff
	v_xor_b32_e32 v73, s15, v73
	ds_load_b32 v194, v74 offset:1056
	v_add_nc_u32_e32 v196, v147, v71
	v_and_b32_e32 v70, v70, v72
	; wave barrier
	s_delay_alu instid0(VALU_DEP_1) | instskip(NEXT) | instid1(VALU_DEP_1)
	v_and_b32_e32 v70, v70, v73
	v_mbcnt_lo_u32_b32 v195, v70, 0
	v_cmp_ne_u32_e64 s15, 0, v70
	s_delay_alu instid0(VALU_DEP_2)
	v_cmp_eq_u32_e32 vcc_lo, 0, v195
	s_and_b32 s16, s15, vcc_lo
	s_wait_alu 0xfffe
	s_and_saveexec_b32 s15, s16
	s_cbranch_execz .LBB1227_152
; %bb.151:                              ;   in Loop: Header=BB1227_96 Depth=2
	s_wait_dscnt 0x0
	v_bcnt_u32_b32 v70, v70, v194
	ds_store_b32 v196, v70 offset:1056
.LBB1227_152:                           ;   in Loop: Header=BB1227_96 Depth=2
	s_wait_alu 0xfffe
	s_or_b32 exec_lo, exec_lo, s15
	v_cmp_lt_i64_e32 vcc_lo, -1, v[60:61]
	v_ashrrev_i32_e32 v71, 31, v61
	; wave barrier
	s_delay_alu instid0(VALU_DEP_1) | instskip(SKIP_2) | instid1(VALU_DEP_1)
	v_xor_b32_e32 v60, v71, v60
	s_wait_alu 0xfffd
	v_cndmask_b32_e64 v70, -1, 0x80000000, vcc_lo
	v_xor_b32_e32 v61, v70, v61
	s_delay_alu instid0(VALU_DEP_1) | instskip(SKIP_3) | instid1(VALU_DEP_1)
	v_cmp_ne_u64_e32 vcc_lo, s[42:43], v[60:61]
	s_wait_alu 0xfffd
	v_cndmask_b32_e32 v71, 0x80000000, v61, vcc_lo
	v_cndmask_b32_e32 v70, 0, v60, vcc_lo
	v_lshrrev_b64 v[70:71], s48, v[70:71]
	s_delay_alu instid0(VALU_DEP_1) | instskip(NEXT) | instid1(VALU_DEP_1)
	v_and_b32_e32 v71, s57, v70
	v_and_b32_e32 v70, 1, v71
	v_lshlrev_b32_e32 v72, 30, v71
	v_lshlrev_b32_e32 v73, 29, v71
	;; [unrolled: 1-line block ×4, first 2 shown]
	v_add_co_u32 v70, s15, v70, -1
	s_wait_alu 0xf1ff
	v_cndmask_b32_e64 v75, 0, 1, s15
	v_not_b32_e32 v198, v72
	v_cmp_gt_i32_e64 s15, 0, v72
	v_not_b32_e32 v72, v73
	v_lshlrev_b32_e32 v77, 26, v71
	v_cmp_ne_u32_e32 vcc_lo, 0, v75
	v_ashrrev_i32_e32 v198, 31, v198
	v_lshlrev_b32_e32 v197, 25, v71
	v_ashrrev_i32_e32 v72, 31, v72
	v_lshlrev_b32_e32 v75, 24, v71
	s_wait_alu 0xfffd
	v_xor_b32_e32 v70, vcc_lo, v70
	v_cmp_gt_i32_e32 vcc_lo, 0, v73
	v_not_b32_e32 v73, v74
	s_wait_alu 0xf1ff
	v_xor_b32_e32 v198, s15, v198
	v_cmp_gt_i32_e64 s15, 0, v74
	v_and_b32_e32 v70, exec_lo, v70
	v_not_b32_e32 v74, v76
	v_ashrrev_i32_e32 v73, 31, v73
	s_wait_alu 0xfffd
	v_xor_b32_e32 v72, vcc_lo, v72
	v_cmp_gt_i32_e32 vcc_lo, 0, v76
	v_and_b32_e32 v70, v70, v198
	v_not_b32_e32 v76, v77
	v_ashrrev_i32_e32 v74, 31, v74
	s_wait_alu 0xf1ff
	v_xor_b32_e32 v73, s15, v73
	v_cmp_gt_i32_e64 s15, 0, v77
	v_and_b32_e32 v70, v70, v72
	v_not_b32_e32 v72, v197
	v_ashrrev_i32_e32 v76, 31, v76
	s_wait_alu 0xfffd
	v_xor_b32_e32 v74, vcc_lo, v74
	v_cmp_gt_i32_e32 vcc_lo, 0, v197
	v_and_b32_e32 v70, v70, v73
	v_not_b32_e32 v73, v75
	v_ashrrev_i32_e32 v72, 31, v72
	s_wait_alu 0xf1ff
	v_xor_b32_e32 v76, s15, v76
	v_cmp_gt_i32_e64 s15, 0, v75
	v_and_b32_e32 v70, v70, v74
	v_ashrrev_i32_e32 v73, 31, v73
	s_wait_alu 0xfffd
	v_xor_b32_e32 v72, vcc_lo, v72
	v_mad_u32_u24 v74, v71, 36, v147
	v_mul_u32_u24_e32 v71, 36, v71
	v_and_b32_e32 v70, v70, v76
	s_wait_alu 0xf1ff
	v_xor_b32_e32 v73, s15, v73
	ds_load_b32 v197, v74 offset:1056
	v_add_nc_u32_e32 v199, v147, v71
	v_and_b32_e32 v70, v70, v72
	; wave barrier
	s_delay_alu instid0(VALU_DEP_1) | instskip(NEXT) | instid1(VALU_DEP_1)
	v_and_b32_e32 v70, v70, v73
	v_mbcnt_lo_u32_b32 v198, v70, 0
	v_cmp_ne_u32_e64 s15, 0, v70
	s_delay_alu instid0(VALU_DEP_2)
	v_cmp_eq_u32_e32 vcc_lo, 0, v198
	s_and_b32 s16, s15, vcc_lo
	s_wait_alu 0xfffe
	s_and_saveexec_b32 s15, s16
	s_cbranch_execz .LBB1227_154
; %bb.153:                              ;   in Loop: Header=BB1227_96 Depth=2
	s_wait_dscnt 0x0
	v_bcnt_u32_b32 v70, v70, v197
	ds_store_b32 v199, v70 offset:1056
.LBB1227_154:                           ;   in Loop: Header=BB1227_96 Depth=2
	s_wait_alu 0xfffe
	s_or_b32 exec_lo, exec_lo, s15
	v_cmp_lt_i64_e32 vcc_lo, -1, v[56:57]
	v_ashrrev_i32_e32 v71, 31, v57
	; wave barrier
	s_delay_alu instid0(VALU_DEP_1) | instskip(SKIP_2) | instid1(VALU_DEP_1)
	v_xor_b32_e32 v56, v71, v56
	s_wait_alu 0xfffd
	v_cndmask_b32_e64 v70, -1, 0x80000000, vcc_lo
	v_xor_b32_e32 v57, v70, v57
	s_delay_alu instid0(VALU_DEP_1) | instskip(SKIP_3) | instid1(VALU_DEP_1)
	v_cmp_ne_u64_e32 vcc_lo, s[42:43], v[56:57]
	s_wait_alu 0xfffd
	v_cndmask_b32_e32 v71, 0x80000000, v57, vcc_lo
	v_cndmask_b32_e32 v70, 0, v56, vcc_lo
	v_lshrrev_b64 v[70:71], s48, v[70:71]
	s_delay_alu instid0(VALU_DEP_1) | instskip(NEXT) | instid1(VALU_DEP_1)
	v_and_b32_e32 v71, s57, v70
	v_and_b32_e32 v70, 1, v71
	v_lshlrev_b32_e32 v72, 30, v71
	v_lshlrev_b32_e32 v73, 29, v71
	;; [unrolled: 1-line block ×4, first 2 shown]
	v_add_co_u32 v70, s15, v70, -1
	s_wait_alu 0xf1ff
	v_cndmask_b32_e64 v75, 0, 1, s15
	v_not_b32_e32 v201, v72
	v_cmp_gt_i32_e64 s15, 0, v72
	v_not_b32_e32 v72, v73
	v_lshlrev_b32_e32 v77, 26, v71
	v_cmp_ne_u32_e32 vcc_lo, 0, v75
	v_ashrrev_i32_e32 v201, 31, v201
	v_lshlrev_b32_e32 v200, 25, v71
	v_ashrrev_i32_e32 v72, 31, v72
	v_lshlrev_b32_e32 v75, 24, v71
	s_wait_alu 0xfffd
	v_xor_b32_e32 v70, vcc_lo, v70
	v_cmp_gt_i32_e32 vcc_lo, 0, v73
	v_not_b32_e32 v73, v74
	s_wait_alu 0xf1ff
	v_xor_b32_e32 v201, s15, v201
	v_cmp_gt_i32_e64 s15, 0, v74
	v_and_b32_e32 v70, exec_lo, v70
	v_not_b32_e32 v74, v76
	v_ashrrev_i32_e32 v73, 31, v73
	s_wait_alu 0xfffd
	v_xor_b32_e32 v72, vcc_lo, v72
	v_cmp_gt_i32_e32 vcc_lo, 0, v76
	v_and_b32_e32 v70, v70, v201
	v_not_b32_e32 v76, v77
	v_ashrrev_i32_e32 v74, 31, v74
	s_wait_alu 0xf1ff
	v_xor_b32_e32 v73, s15, v73
	v_cmp_gt_i32_e64 s15, 0, v77
	v_and_b32_e32 v70, v70, v72
	v_not_b32_e32 v72, v200
	v_ashrrev_i32_e32 v76, 31, v76
	s_wait_alu 0xfffd
	v_xor_b32_e32 v74, vcc_lo, v74
	v_cmp_gt_i32_e32 vcc_lo, 0, v200
	v_and_b32_e32 v70, v70, v73
	v_not_b32_e32 v73, v75
	v_ashrrev_i32_e32 v72, 31, v72
	s_wait_alu 0xf1ff
	v_xor_b32_e32 v76, s15, v76
	v_cmp_gt_i32_e64 s15, 0, v75
	v_and_b32_e32 v70, v70, v74
	v_ashrrev_i32_e32 v73, 31, v73
	s_wait_alu 0xfffd
	v_xor_b32_e32 v72, vcc_lo, v72
	v_mad_u32_u24 v74, v71, 36, v147
	v_mul_u32_u24_e32 v71, 36, v71
	v_and_b32_e32 v70, v70, v76
	s_wait_alu 0xf1ff
	v_xor_b32_e32 v73, s15, v73
	ds_load_b32 v200, v74 offset:1056
	v_add_nc_u32_e32 v202, v147, v71
	v_and_b32_e32 v70, v70, v72
	; wave barrier
	s_delay_alu instid0(VALU_DEP_1) | instskip(NEXT) | instid1(VALU_DEP_1)
	v_and_b32_e32 v70, v70, v73
	v_mbcnt_lo_u32_b32 v201, v70, 0
	v_cmp_ne_u32_e64 s15, 0, v70
	s_delay_alu instid0(VALU_DEP_2)
	v_cmp_eq_u32_e32 vcc_lo, 0, v201
	s_and_b32 s16, s15, vcc_lo
	s_wait_alu 0xfffe
	s_and_saveexec_b32 s15, s16
	s_cbranch_execz .LBB1227_156
; %bb.155:                              ;   in Loop: Header=BB1227_96 Depth=2
	s_wait_dscnt 0x0
	v_bcnt_u32_b32 v70, v70, v200
	ds_store_b32 v202, v70 offset:1056
.LBB1227_156:                           ;   in Loop: Header=BB1227_96 Depth=2
	s_wait_alu 0xfffe
	s_or_b32 exec_lo, exec_lo, s15
	v_cmp_lt_i64_e32 vcc_lo, -1, v[52:53]
	v_ashrrev_i32_e32 v71, 31, v53
	; wave barrier
	s_delay_alu instid0(VALU_DEP_1) | instskip(SKIP_2) | instid1(VALU_DEP_1)
	v_xor_b32_e32 v52, v71, v52
	s_wait_alu 0xfffd
	v_cndmask_b32_e64 v70, -1, 0x80000000, vcc_lo
	v_xor_b32_e32 v53, v70, v53
	s_delay_alu instid0(VALU_DEP_1) | instskip(SKIP_3) | instid1(VALU_DEP_1)
	v_cmp_ne_u64_e32 vcc_lo, s[42:43], v[52:53]
	s_wait_alu 0xfffd
	v_cndmask_b32_e32 v71, 0x80000000, v53, vcc_lo
	v_cndmask_b32_e32 v70, 0, v52, vcc_lo
	v_lshrrev_b64 v[70:71], s48, v[70:71]
	s_delay_alu instid0(VALU_DEP_1) | instskip(NEXT) | instid1(VALU_DEP_1)
	v_and_b32_e32 v71, s57, v70
	v_and_b32_e32 v70, 1, v71
	v_lshlrev_b32_e32 v72, 30, v71
	v_lshlrev_b32_e32 v73, 29, v71
	;; [unrolled: 1-line block ×4, first 2 shown]
	v_add_co_u32 v70, s15, v70, -1
	s_wait_alu 0xf1ff
	v_cndmask_b32_e64 v75, 0, 1, s15
	v_not_b32_e32 v204, v72
	v_cmp_gt_i32_e64 s15, 0, v72
	v_not_b32_e32 v72, v73
	v_lshlrev_b32_e32 v77, 26, v71
	v_cmp_ne_u32_e32 vcc_lo, 0, v75
	v_ashrrev_i32_e32 v204, 31, v204
	v_lshlrev_b32_e32 v203, 25, v71
	v_ashrrev_i32_e32 v72, 31, v72
	v_lshlrev_b32_e32 v75, 24, v71
	s_wait_alu 0xfffd
	v_xor_b32_e32 v70, vcc_lo, v70
	v_cmp_gt_i32_e32 vcc_lo, 0, v73
	v_not_b32_e32 v73, v74
	s_wait_alu 0xf1ff
	v_xor_b32_e32 v204, s15, v204
	v_cmp_gt_i32_e64 s15, 0, v74
	v_and_b32_e32 v70, exec_lo, v70
	v_not_b32_e32 v74, v76
	v_ashrrev_i32_e32 v73, 31, v73
	s_wait_alu 0xfffd
	v_xor_b32_e32 v72, vcc_lo, v72
	v_cmp_gt_i32_e32 vcc_lo, 0, v76
	v_and_b32_e32 v70, v70, v204
	v_not_b32_e32 v76, v77
	v_ashrrev_i32_e32 v74, 31, v74
	s_wait_alu 0xf1ff
	v_xor_b32_e32 v73, s15, v73
	v_cmp_gt_i32_e64 s15, 0, v77
	v_and_b32_e32 v70, v70, v72
	v_not_b32_e32 v72, v203
	v_ashrrev_i32_e32 v76, 31, v76
	s_wait_alu 0xfffd
	v_xor_b32_e32 v74, vcc_lo, v74
	v_cmp_gt_i32_e32 vcc_lo, 0, v203
	v_and_b32_e32 v70, v70, v73
	v_not_b32_e32 v73, v75
	v_ashrrev_i32_e32 v72, 31, v72
	s_wait_alu 0xf1ff
	v_xor_b32_e32 v76, s15, v76
	v_cmp_gt_i32_e64 s15, 0, v75
	v_and_b32_e32 v70, v70, v74
	v_ashrrev_i32_e32 v73, 31, v73
	s_wait_alu 0xfffd
	v_xor_b32_e32 v72, vcc_lo, v72
	v_mad_u32_u24 v74, v71, 36, v147
	v_mul_u32_u24_e32 v71, 36, v71
	v_and_b32_e32 v70, v70, v76
	s_wait_alu 0xf1ff
	v_xor_b32_e32 v73, s15, v73
	ds_load_b32 v203, v74 offset:1056
	v_add_nc_u32_e32 v205, v147, v71
	v_and_b32_e32 v70, v70, v72
	; wave barrier
	s_delay_alu instid0(VALU_DEP_1) | instskip(NEXT) | instid1(VALU_DEP_1)
	v_and_b32_e32 v70, v70, v73
	v_mbcnt_lo_u32_b32 v204, v70, 0
	v_cmp_ne_u32_e64 s15, 0, v70
	s_delay_alu instid0(VALU_DEP_2)
	v_cmp_eq_u32_e32 vcc_lo, 0, v204
	s_and_b32 s16, s15, vcc_lo
	s_wait_alu 0xfffe
	s_and_saveexec_b32 s15, s16
	s_cbranch_execz .LBB1227_158
; %bb.157:                              ;   in Loop: Header=BB1227_96 Depth=2
	s_wait_dscnt 0x0
	v_bcnt_u32_b32 v70, v70, v203
	ds_store_b32 v205, v70 offset:1056
.LBB1227_158:                           ;   in Loop: Header=BB1227_96 Depth=2
	s_wait_alu 0xfffe
	s_or_b32 exec_lo, exec_lo, s15
	v_cmp_lt_i64_e32 vcc_lo, -1, v[50:51]
	v_ashrrev_i32_e32 v71, 31, v51
	; wave barrier
	s_delay_alu instid0(VALU_DEP_1) | instskip(SKIP_2) | instid1(VALU_DEP_1)
	v_xor_b32_e32 v50, v71, v50
	s_wait_alu 0xfffd
	v_cndmask_b32_e64 v70, -1, 0x80000000, vcc_lo
	v_xor_b32_e32 v51, v70, v51
	s_delay_alu instid0(VALU_DEP_1) | instskip(SKIP_3) | instid1(VALU_DEP_1)
	v_cmp_ne_u64_e32 vcc_lo, s[42:43], v[50:51]
	s_wait_alu 0xfffd
	v_cndmask_b32_e32 v71, 0x80000000, v51, vcc_lo
	v_cndmask_b32_e32 v70, 0, v50, vcc_lo
	v_lshrrev_b64 v[70:71], s48, v[70:71]
	s_delay_alu instid0(VALU_DEP_1) | instskip(NEXT) | instid1(VALU_DEP_1)
	v_and_b32_e32 v71, s57, v70
	v_and_b32_e32 v70, 1, v71
	v_lshlrev_b32_e32 v72, 30, v71
	v_lshlrev_b32_e32 v73, 29, v71
	;; [unrolled: 1-line block ×4, first 2 shown]
	v_add_co_u32 v70, s15, v70, -1
	s_wait_alu 0xf1ff
	v_cndmask_b32_e64 v75, 0, 1, s15
	v_not_b32_e32 v207, v72
	v_cmp_gt_i32_e64 s15, 0, v72
	v_not_b32_e32 v72, v73
	v_lshlrev_b32_e32 v77, 26, v71
	v_cmp_ne_u32_e32 vcc_lo, 0, v75
	v_ashrrev_i32_e32 v207, 31, v207
	v_lshlrev_b32_e32 v206, 25, v71
	v_ashrrev_i32_e32 v72, 31, v72
	v_lshlrev_b32_e32 v75, 24, v71
	s_wait_alu 0xfffd
	v_xor_b32_e32 v70, vcc_lo, v70
	v_cmp_gt_i32_e32 vcc_lo, 0, v73
	v_not_b32_e32 v73, v74
	s_wait_alu 0xf1ff
	v_xor_b32_e32 v207, s15, v207
	v_cmp_gt_i32_e64 s15, 0, v74
	v_and_b32_e32 v70, exec_lo, v70
	v_not_b32_e32 v74, v76
	v_ashrrev_i32_e32 v73, 31, v73
	s_wait_alu 0xfffd
	v_xor_b32_e32 v72, vcc_lo, v72
	v_cmp_gt_i32_e32 vcc_lo, 0, v76
	v_and_b32_e32 v70, v70, v207
	v_not_b32_e32 v76, v77
	v_ashrrev_i32_e32 v74, 31, v74
	s_wait_alu 0xf1ff
	v_xor_b32_e32 v73, s15, v73
	v_cmp_gt_i32_e64 s15, 0, v77
	v_and_b32_e32 v70, v70, v72
	v_not_b32_e32 v72, v206
	v_ashrrev_i32_e32 v76, 31, v76
	s_wait_alu 0xfffd
	v_xor_b32_e32 v74, vcc_lo, v74
	v_cmp_gt_i32_e32 vcc_lo, 0, v206
	v_and_b32_e32 v70, v70, v73
	v_not_b32_e32 v73, v75
	v_ashrrev_i32_e32 v72, 31, v72
	s_wait_alu 0xf1ff
	v_xor_b32_e32 v76, s15, v76
	v_cmp_gt_i32_e64 s15, 0, v75
	v_and_b32_e32 v70, v70, v74
	v_ashrrev_i32_e32 v73, 31, v73
	s_wait_alu 0xfffd
	v_xor_b32_e32 v72, vcc_lo, v72
	v_mad_u32_u24 v74, v71, 36, v147
	v_mul_u32_u24_e32 v71, 36, v71
	v_and_b32_e32 v70, v70, v76
	s_wait_alu 0xf1ff
	v_xor_b32_e32 v73, s15, v73
	ds_load_b32 v206, v74 offset:1056
	v_add_nc_u32_e32 v208, v147, v71
	v_and_b32_e32 v70, v70, v72
	; wave barrier
	s_delay_alu instid0(VALU_DEP_1) | instskip(NEXT) | instid1(VALU_DEP_1)
	v_and_b32_e32 v70, v70, v73
	v_mbcnt_lo_u32_b32 v207, v70, 0
	v_cmp_ne_u32_e64 s15, 0, v70
	s_delay_alu instid0(VALU_DEP_2)
	v_cmp_eq_u32_e32 vcc_lo, 0, v207
	s_and_b32 s16, s15, vcc_lo
	s_wait_alu 0xfffe
	s_and_saveexec_b32 s15, s16
	s_cbranch_execz .LBB1227_160
; %bb.159:                              ;   in Loop: Header=BB1227_96 Depth=2
	s_wait_dscnt 0x0
	v_bcnt_u32_b32 v70, v70, v206
	ds_store_b32 v208, v70 offset:1056
.LBB1227_160:                           ;   in Loop: Header=BB1227_96 Depth=2
	s_wait_alu 0xfffe
	s_or_b32 exec_lo, exec_lo, s15
	v_cmp_lt_i64_e32 vcc_lo, -1, v[46:47]
	v_ashrrev_i32_e32 v71, 31, v47
	; wave barrier
	s_delay_alu instid0(VALU_DEP_1) | instskip(SKIP_2) | instid1(VALU_DEP_1)
	v_xor_b32_e32 v46, v71, v46
	s_wait_alu 0xfffd
	v_cndmask_b32_e64 v70, -1, 0x80000000, vcc_lo
	v_xor_b32_e32 v47, v70, v47
	s_delay_alu instid0(VALU_DEP_1) | instskip(SKIP_3) | instid1(VALU_DEP_1)
	v_cmp_ne_u64_e32 vcc_lo, s[42:43], v[46:47]
	s_wait_alu 0xfffd
	v_cndmask_b32_e32 v71, 0x80000000, v47, vcc_lo
	v_cndmask_b32_e32 v70, 0, v46, vcc_lo
	v_lshrrev_b64 v[70:71], s48, v[70:71]
	s_delay_alu instid0(VALU_DEP_1) | instskip(NEXT) | instid1(VALU_DEP_1)
	v_and_b32_e32 v71, s57, v70
	v_and_b32_e32 v70, 1, v71
	v_lshlrev_b32_e32 v72, 30, v71
	v_lshlrev_b32_e32 v73, 29, v71
	;; [unrolled: 1-line block ×4, first 2 shown]
	v_add_co_u32 v70, s15, v70, -1
	s_wait_alu 0xf1ff
	v_cndmask_b32_e64 v75, 0, 1, s15
	v_not_b32_e32 v210, v72
	v_cmp_gt_i32_e64 s15, 0, v72
	v_not_b32_e32 v72, v73
	v_lshlrev_b32_e32 v77, 26, v71
	v_cmp_ne_u32_e32 vcc_lo, 0, v75
	v_ashrrev_i32_e32 v210, 31, v210
	v_lshlrev_b32_e32 v209, 25, v71
	v_ashrrev_i32_e32 v72, 31, v72
	v_lshlrev_b32_e32 v75, 24, v71
	s_wait_alu 0xfffd
	v_xor_b32_e32 v70, vcc_lo, v70
	v_cmp_gt_i32_e32 vcc_lo, 0, v73
	v_not_b32_e32 v73, v74
	s_wait_alu 0xf1ff
	v_xor_b32_e32 v210, s15, v210
	v_cmp_gt_i32_e64 s15, 0, v74
	v_and_b32_e32 v70, exec_lo, v70
	v_not_b32_e32 v74, v76
	v_ashrrev_i32_e32 v73, 31, v73
	s_wait_alu 0xfffd
	v_xor_b32_e32 v72, vcc_lo, v72
	v_cmp_gt_i32_e32 vcc_lo, 0, v76
	v_and_b32_e32 v70, v70, v210
	v_not_b32_e32 v76, v77
	v_ashrrev_i32_e32 v74, 31, v74
	s_wait_alu 0xf1ff
	v_xor_b32_e32 v73, s15, v73
	v_cmp_gt_i32_e64 s15, 0, v77
	v_and_b32_e32 v70, v70, v72
	v_not_b32_e32 v72, v209
	v_ashrrev_i32_e32 v76, 31, v76
	s_wait_alu 0xfffd
	v_xor_b32_e32 v74, vcc_lo, v74
	v_cmp_gt_i32_e32 vcc_lo, 0, v209
	v_and_b32_e32 v70, v70, v73
	v_not_b32_e32 v73, v75
	v_ashrrev_i32_e32 v72, 31, v72
	s_wait_alu 0xf1ff
	v_xor_b32_e32 v76, s15, v76
	v_cmp_gt_i32_e64 s15, 0, v75
	v_and_b32_e32 v70, v70, v74
	v_ashrrev_i32_e32 v73, 31, v73
	s_wait_alu 0xfffd
	v_xor_b32_e32 v72, vcc_lo, v72
	v_mad_u32_u24 v74, v71, 36, v147
	v_mul_u32_u24_e32 v71, 36, v71
	v_and_b32_e32 v70, v70, v76
	s_wait_alu 0xf1ff
	v_xor_b32_e32 v73, s15, v73
	ds_load_b32 v209, v74 offset:1056
	v_add_nc_u32_e32 v212, v147, v71
	v_and_b32_e32 v70, v70, v72
	; wave barrier
	s_delay_alu instid0(VALU_DEP_1) | instskip(NEXT) | instid1(VALU_DEP_1)
	v_and_b32_e32 v70, v70, v73
	v_mbcnt_lo_u32_b32 v210, v70, 0
	v_cmp_ne_u32_e64 s15, 0, v70
	s_delay_alu instid0(VALU_DEP_2)
	v_cmp_eq_u32_e32 vcc_lo, 0, v210
	s_and_b32 s16, s15, vcc_lo
	s_wait_alu 0xfffe
	s_and_saveexec_b32 s15, s16
	s_cbranch_execz .LBB1227_162
; %bb.161:                              ;   in Loop: Header=BB1227_96 Depth=2
	s_wait_dscnt 0x0
	v_bcnt_u32_b32 v70, v70, v209
	ds_store_b32 v212, v70 offset:1056
.LBB1227_162:                           ;   in Loop: Header=BB1227_96 Depth=2
	s_wait_alu 0xfffe
	s_or_b32 exec_lo, exec_lo, s15
	v_cmp_lt_i64_e32 vcc_lo, -1, v[44:45]
	v_ashrrev_i32_e32 v71, 31, v45
	; wave barrier
	s_delay_alu instid0(VALU_DEP_1) | instskip(SKIP_2) | instid1(VALU_DEP_1)
	v_xor_b32_e32 v44, v71, v44
	s_wait_alu 0xfffd
	v_cndmask_b32_e64 v70, -1, 0x80000000, vcc_lo
	v_xor_b32_e32 v45, v70, v45
	s_delay_alu instid0(VALU_DEP_1) | instskip(SKIP_3) | instid1(VALU_DEP_1)
	v_cmp_ne_u64_e32 vcc_lo, s[42:43], v[44:45]
	s_wait_alu 0xfffd
	v_cndmask_b32_e32 v71, 0x80000000, v45, vcc_lo
	v_cndmask_b32_e32 v70, 0, v44, vcc_lo
	v_lshrrev_b64 v[70:71], s48, v[70:71]
	s_delay_alu instid0(VALU_DEP_1) | instskip(NEXT) | instid1(VALU_DEP_1)
	v_and_b32_e32 v71, s57, v70
	v_and_b32_e32 v70, 1, v71
	v_lshlrev_b32_e32 v72, 30, v71
	v_lshlrev_b32_e32 v73, 29, v71
	;; [unrolled: 1-line block ×4, first 2 shown]
	v_add_co_u32 v70, s15, v70, -1
	s_wait_alu 0xf1ff
	v_cndmask_b32_e64 v75, 0, 1, s15
	v_not_b32_e32 v213, v72
	v_cmp_gt_i32_e64 s15, 0, v72
	v_not_b32_e32 v72, v73
	v_lshlrev_b32_e32 v77, 26, v71
	v_cmp_ne_u32_e32 vcc_lo, 0, v75
	v_ashrrev_i32_e32 v213, 31, v213
	v_lshlrev_b32_e32 v211, 25, v71
	v_ashrrev_i32_e32 v72, 31, v72
	v_lshlrev_b32_e32 v75, 24, v71
	s_wait_alu 0xfffd
	v_xor_b32_e32 v70, vcc_lo, v70
	v_cmp_gt_i32_e32 vcc_lo, 0, v73
	v_not_b32_e32 v73, v74
	s_wait_alu 0xf1ff
	v_xor_b32_e32 v213, s15, v213
	v_cmp_gt_i32_e64 s15, 0, v74
	v_and_b32_e32 v70, exec_lo, v70
	v_not_b32_e32 v74, v76
	v_ashrrev_i32_e32 v73, 31, v73
	s_wait_alu 0xfffd
	v_xor_b32_e32 v72, vcc_lo, v72
	v_cmp_gt_i32_e32 vcc_lo, 0, v76
	v_and_b32_e32 v70, v70, v213
	v_not_b32_e32 v76, v77
	v_ashrrev_i32_e32 v74, 31, v74
	s_wait_alu 0xf1ff
	v_xor_b32_e32 v73, s15, v73
	v_cmp_gt_i32_e64 s15, 0, v77
	v_and_b32_e32 v70, v70, v72
	v_not_b32_e32 v72, v211
	v_ashrrev_i32_e32 v76, 31, v76
	s_wait_alu 0xfffd
	v_xor_b32_e32 v74, vcc_lo, v74
	v_cmp_gt_i32_e32 vcc_lo, 0, v211
	v_and_b32_e32 v70, v70, v73
	v_not_b32_e32 v73, v75
	v_ashrrev_i32_e32 v72, 31, v72
	s_wait_alu 0xf1ff
	v_xor_b32_e32 v76, s15, v76
	v_cmp_gt_i32_e64 s15, 0, v75
	v_and_b32_e32 v70, v70, v74
	v_ashrrev_i32_e32 v73, 31, v73
	s_wait_alu 0xfffd
	v_xor_b32_e32 v72, vcc_lo, v72
	v_mad_u32_u24 v74, v71, 36, v147
	v_mul_u32_u24_e32 v71, 36, v71
	v_and_b32_e32 v70, v70, v76
	s_wait_alu 0xf1ff
	v_xor_b32_e32 v73, s15, v73
	ds_load_b32 v211, v74 offset:1056
	v_add_nc_u32_e32 v214, v147, v71
	v_and_b32_e32 v70, v70, v72
	; wave barrier
	s_delay_alu instid0(VALU_DEP_1) | instskip(NEXT) | instid1(VALU_DEP_1)
	v_and_b32_e32 v70, v70, v73
	v_mbcnt_lo_u32_b32 v213, v70, 0
	v_cmp_ne_u32_e64 s15, 0, v70
	s_delay_alu instid0(VALU_DEP_2)
	v_cmp_eq_u32_e32 vcc_lo, 0, v213
	s_and_b32 s16, s15, vcc_lo
	s_wait_alu 0xfffe
	s_and_saveexec_b32 s15, s16
	s_cbranch_execz .LBB1227_164
; %bb.163:                              ;   in Loop: Header=BB1227_96 Depth=2
	s_wait_dscnt 0x0
	v_bcnt_u32_b32 v70, v70, v211
	ds_store_b32 v214, v70 offset:1056
.LBB1227_164:                           ;   in Loop: Header=BB1227_96 Depth=2
	s_wait_alu 0xfffe
	s_or_b32 exec_lo, exec_lo, s15
	; wave barrier
	s_wait_loadcnt_dscnt 0x0
	s_barrier_signal -1
	s_barrier_wait -1
	global_inv scope:SCOPE_SE
	ds_load_2addr_b32 v[76:77], v166 offset1:1
	ds_load_2addr_b32 v[74:75], v167 offset1:1
	;; [unrolled: 1-line block ×4, first 2 shown]
	ds_load_b32 v215, v103 offset:1088
	s_wait_dscnt 0x3
	v_add3_u32 v216, v77, v76, v74
	s_wait_dscnt 0x2
	s_delay_alu instid0(VALU_DEP_1) | instskip(SKIP_1) | instid1(VALU_DEP_1)
	v_add3_u32 v216, v216, v75, v72
	s_wait_dscnt 0x1
	v_add3_u32 v216, v216, v73, v70
	s_wait_dscnt 0x0
	s_delay_alu instid0(VALU_DEP_1) | instskip(NEXT) | instid1(VALU_DEP_1)
	v_add3_u32 v215, v216, v71, v215
	v_mov_b32_dpp v216, v215 row_shr:1 row_mask:0xf bank_mask:0xf
	s_delay_alu instid0(VALU_DEP_1) | instskip(NEXT) | instid1(VALU_DEP_1)
	v_cndmask_b32_e64 v216, v216, 0, s6
	v_add_nc_u32_e32 v215, v216, v215
	s_delay_alu instid0(VALU_DEP_1) | instskip(NEXT) | instid1(VALU_DEP_1)
	v_mov_b32_dpp v216, v215 row_shr:2 row_mask:0xf bank_mask:0xf
	v_cndmask_b32_e64 v216, 0, v216, s7
	s_delay_alu instid0(VALU_DEP_1) | instskip(NEXT) | instid1(VALU_DEP_1)
	v_add_nc_u32_e32 v215, v215, v216
	v_mov_b32_dpp v216, v215 row_shr:4 row_mask:0xf bank_mask:0xf
	s_delay_alu instid0(VALU_DEP_1) | instskip(NEXT) | instid1(VALU_DEP_1)
	v_cndmask_b32_e64 v216, 0, v216, s8
	v_add_nc_u32_e32 v215, v215, v216
	s_delay_alu instid0(VALU_DEP_1) | instskip(NEXT) | instid1(VALU_DEP_1)
	v_mov_b32_dpp v216, v215 row_shr:8 row_mask:0xf bank_mask:0xf
	v_cndmask_b32_e64 v216, 0, v216, s9
	s_delay_alu instid0(VALU_DEP_1) | instskip(SKIP_3) | instid1(VALU_DEP_1)
	v_add_nc_u32_e32 v215, v215, v216
	ds_swizzle_b32 v216, v215 offset:swizzle(BROADCAST,32,15)
	s_wait_dscnt 0x0
	v_cndmask_b32_e64 v216, v216, 0, s10
	v_add_nc_u32_e32 v215, v215, v216
	s_and_saveexec_b32 s15, s3
; %bb.165:                              ;   in Loop: Header=BB1227_96 Depth=2
	ds_store_b32 v97, v215 offset:1024
; %bb.166:                              ;   in Loop: Header=BB1227_96 Depth=2
	s_wait_alu 0xfffe
	s_or_b32 exec_lo, exec_lo, s15
	s_wait_loadcnt_dscnt 0x0
	s_barrier_signal -1
	s_barrier_wait -1
	global_inv scope:SCOPE_SE
	s_and_saveexec_b32 s15, s4
	s_cbranch_execz .LBB1227_168
; %bb.167:                              ;   in Loop: Header=BB1227_96 Depth=2
	ds_load_b32 v216, v105 offset:1024
	s_wait_dscnt 0x0
	v_mov_b32_dpp v217, v216 row_shr:1 row_mask:0xf bank_mask:0xf
	s_delay_alu instid0(VALU_DEP_1) | instskip(NEXT) | instid1(VALU_DEP_1)
	v_cndmask_b32_e64 v217, v217, 0, s12
	v_add_nc_u32_e32 v216, v217, v216
	s_delay_alu instid0(VALU_DEP_1) | instskip(NEXT) | instid1(VALU_DEP_1)
	v_mov_b32_dpp v217, v216 row_shr:2 row_mask:0xf bank_mask:0xf
	v_cndmask_b32_e64 v217, 0, v217, s13
	s_delay_alu instid0(VALU_DEP_1) | instskip(NEXT) | instid1(VALU_DEP_1)
	v_add_nc_u32_e32 v216, v216, v217
	v_mov_b32_dpp v217, v216 row_shr:4 row_mask:0xf bank_mask:0xf
	s_delay_alu instid0(VALU_DEP_1) | instskip(NEXT) | instid1(VALU_DEP_1)
	v_cndmask_b32_e64 v217, 0, v217, s14
	v_add_nc_u32_e32 v216, v216, v217
	ds_store_b32 v105, v216 offset:1024
.LBB1227_168:                           ;   in Loop: Header=BB1227_96 Depth=2
	s_wait_alu 0xfffe
	s_or_b32 exec_lo, exec_lo, s15
	v_mov_b32_e32 v216, 0
	s_wait_loadcnt_dscnt 0x0
	s_barrier_signal -1
	s_barrier_wait -1
	global_inv scope:SCOPE_SE
	s_and_saveexec_b32 s15, s5
; %bb.169:                              ;   in Loop: Header=BB1227_96 Depth=2
	ds_load_b32 v216, v97 offset:1020
; %bb.170:                              ;   in Loop: Header=BB1227_96 Depth=2
	s_wait_alu 0xfffe
	s_or_b32 exec_lo, exec_lo, s15
	s_wait_dscnt 0x0
	v_add_nc_u32_e32 v215, v216, v215
	ds_bpermute_b32 v215, v126, v215
	s_wait_dscnt 0x0
	v_cndmask_b32_e64 v215, v215, v216, s11
	s_delay_alu instid0(VALU_DEP_1) | instskip(NEXT) | instid1(VALU_DEP_1)
	v_cndmask_b32_e64 v215, v215, 0, s0
	v_add_nc_u32_e32 v76, v215, v76
	s_delay_alu instid0(VALU_DEP_1) | instskip(NEXT) | instid1(VALU_DEP_1)
	v_add_nc_u32_e32 v77, v76, v77
	v_add_nc_u32_e32 v74, v77, v74
	s_delay_alu instid0(VALU_DEP_1) | instskip(NEXT) | instid1(VALU_DEP_1)
	v_add_nc_u32_e32 v75, v74, v75
	;; [unrolled: 3-line block ×3, first 2 shown]
	v_add_nc_u32_e32 v70, v73, v70
	s_delay_alu instid0(VALU_DEP_1)
	v_add_nc_u32_e32 v71, v70, v71
	ds_store_2addr_b32 v165, v73, v70 offset1:1
	ds_store_2addr_b32 v166, v215, v76 offset1:1
	;; [unrolled: 1-line block ×4, first 2 shown]
	ds_store_b32 v103, v71 offset:1088
	s_wait_loadcnt_dscnt 0x0
	s_barrier_signal -1
	s_barrier_wait -1
	global_inv scope:SCOPE_SE
	ds_load_b32 v71, v169 offset:1056
	ds_load_b32 v76, v172 offset:1056
	;; [unrolled: 1-line block ×17, first 2 shown]
	v_mov_b32_e32 v70, 0x1000
	s_and_saveexec_b32 s15, s1
; %bb.171:                              ;   in Loop: Header=BB1227_96 Depth=2
	ds_load_b32 v70, v103 offset:1092
; %bb.172:                              ;   in Loop: Header=BB1227_96 Depth=2
	s_wait_alu 0xfffe
	s_or_b32 exec_lo, exec_lo, s15
	s_wait_loadcnt_dscnt 0x0
	s_barrier_signal -1
	s_barrier_wait -1
	global_inv scope:SCOPE_SE
	s_and_saveexec_b32 s15, s2
	s_cbranch_execz .LBB1227_174
; %bb.173:                              ;   in Loop: Header=BB1227_96 Depth=2
	ds_load_b32 v187, v78
	s_wait_dscnt 0x0
	v_sub_nc_u32_e32 v184, v187, v184
	ds_store_b32 v78, v184
.LBB1227_174:                           ;   in Loop: Header=BB1227_96 Depth=2
	s_wait_alu 0xfffe
	s_or_b32 exec_lo, exec_lo, s15
	v_lshlrev_b32_e32 v2, 3, v2
	v_lshlrev_b32_e32 v171, 3, v171
	;; [unrolled: 1-line block ×5, first 2 shown]
	v_lshl_add_u32 v71, v71, 3, v2
	v_lshlrev_b32_e32 v2, 3, v173
	v_lshlrev_b32_e32 v75, 3, v75
	;; [unrolled: 1-line block ×4, first 2 shown]
	ds_store_b64 v71, v[38:39] offset:1024
	v_lshlrev_b32_e32 v38, 3, v74
	v_lshlrev_b32_e32 v39, 3, v180
	;; [unrolled: 1-line block ×7, first 2 shown]
	v_add3_u32 v72, v171, v170, v76
	v_add3_u32 v73, v174, v2, v75
	;; [unrolled: 1-line block ×5, first 2 shown]
	v_lshlrev_b32_e32 v2, 3, v186
	v_lshlrev_b32_e32 v38, 3, v185
	;; [unrolled: 1-line block ×3, first 2 shown]
	ds_store_b64 v72, v[40:41] offset:1024
	ds_store_b64 v73, v[42:43] offset:1024
	;; [unrolled: 1-line block ×5, first 2 shown]
	v_lshlrev_b32_e32 v41, 3, v189
	v_lshlrev_b32_e32 v42, 3, v188
	;; [unrolled: 1-line block ×12, first 2 shown]
	v_add3_u32 v40, v2, v38, v39
	v_add3_u32 v41, v41, v42, v43
	;; [unrolled: 1-line block ×5, first 2 shown]
	ds_store_b64 v40, v[62:63] offset:1024
	ds_store_b64 v41, v[66:67] offset:1024
	;; [unrolled: 1-line block ×5, first 2 shown]
	v_lshlrev_b32_e32 v2, 3, v201
	v_lshlrev_b32_e32 v38, 3, v200
	;; [unrolled: 1-line block ×15, first 2 shown]
	v_add3_u32 v49, v2, v38, v39
	v_add3_u32 v54, v54, v55, v58
	;; [unrolled: 1-line block ×5, first 2 shown]
	v_cmp_lt_u32_e32 vcc_lo, v1, v164
	ds_store_b64 v49, v[56:57] offset:1024
	ds_store_b64 v54, v[52:53] offset:1024
	;; [unrolled: 1-line block ×5, first 2 shown]
	s_wait_loadcnt_dscnt 0x0
	s_barrier_signal -1
	s_barrier_wait -1
	global_inv scope:SCOPE_SE
	s_and_saveexec_b32 s16, vcc_lo
	s_cbranch_execnz .LBB1227_243
; %bb.175:                              ;   in Loop: Header=BB1227_96 Depth=2
	s_wait_alu 0xfffe
	s_or_b32 exec_lo, exec_lo, s16
	v_cmp_lt_u32_e64 s15, v79, v164
	s_and_saveexec_b32 s17, s15
	s_cbranch_execnz .LBB1227_244
.LBB1227_176:                           ;   in Loop: Header=BB1227_96 Depth=2
	s_wait_alu 0xfffe
	s_or_b32 exec_lo, exec_lo, s17
	v_cmp_lt_u32_e64 s16, v80, v164
	s_and_saveexec_b32 s18, s16
	s_cbranch_execnz .LBB1227_245
.LBB1227_177:                           ;   in Loop: Header=BB1227_96 Depth=2
	s_wait_alu 0xfffe
	s_or_b32 exec_lo, exec_lo, s18
	v_cmp_lt_u32_e64 s17, v81, v164
	s_and_saveexec_b32 s19, s17
	s_cbranch_execnz .LBB1227_246
.LBB1227_178:                           ;   in Loop: Header=BB1227_96 Depth=2
	s_wait_alu 0xfffe
	s_or_b32 exec_lo, exec_lo, s19
	v_cmp_lt_u32_e64 s18, v84, v164
	s_and_saveexec_b32 s20, s18
	s_cbranch_execnz .LBB1227_247
.LBB1227_179:                           ;   in Loop: Header=BB1227_96 Depth=2
	s_wait_alu 0xfffe
	s_or_b32 exec_lo, exec_lo, s20
	v_cmp_lt_u32_e64 s19, v85, v164
	s_and_saveexec_b32 s21, s19
	s_cbranch_execnz .LBB1227_248
.LBB1227_180:                           ;   in Loop: Header=BB1227_96 Depth=2
	s_wait_alu 0xfffe
	s_or_b32 exec_lo, exec_lo, s21
	v_cmp_lt_u32_e64 s20, v86, v164
	s_and_saveexec_b32 s22, s20
	s_cbranch_execnz .LBB1227_249
.LBB1227_181:                           ;   in Loop: Header=BB1227_96 Depth=2
	s_wait_alu 0xfffe
	s_or_b32 exec_lo, exec_lo, s22
	v_cmp_lt_u32_e64 s21, v87, v164
	s_and_saveexec_b32 s23, s21
	s_cbranch_execnz .LBB1227_250
.LBB1227_182:                           ;   in Loop: Header=BB1227_96 Depth=2
	s_wait_alu 0xfffe
	s_or_b32 exec_lo, exec_lo, s23
	v_cmp_lt_u32_e64 s22, v88, v164
	s_and_saveexec_b32 s24, s22
	s_cbranch_execnz .LBB1227_251
.LBB1227_183:                           ;   in Loop: Header=BB1227_96 Depth=2
	s_wait_alu 0xfffe
	s_or_b32 exec_lo, exec_lo, s24
	v_cmp_lt_u32_e64 s23, v89, v164
	s_and_saveexec_b32 s25, s23
	s_cbranch_execnz .LBB1227_252
.LBB1227_184:                           ;   in Loop: Header=BB1227_96 Depth=2
	s_wait_alu 0xfffe
	s_or_b32 exec_lo, exec_lo, s25
	v_cmp_lt_u32_e64 s24, v90, v164
	s_and_saveexec_b32 s26, s24
	s_cbranch_execnz .LBB1227_253
.LBB1227_185:                           ;   in Loop: Header=BB1227_96 Depth=2
	s_wait_alu 0xfffe
	s_or_b32 exec_lo, exec_lo, s26
	v_cmp_lt_u32_e64 s25, v91, v164
	s_and_saveexec_b32 s27, s25
	s_cbranch_execnz .LBB1227_254
.LBB1227_186:                           ;   in Loop: Header=BB1227_96 Depth=2
	s_wait_alu 0xfffe
	s_or_b32 exec_lo, exec_lo, s27
	v_cmp_lt_u32_e64 s26, v92, v164
	s_and_saveexec_b32 s28, s26
	s_cbranch_execnz .LBB1227_255
.LBB1227_187:                           ;   in Loop: Header=BB1227_96 Depth=2
	s_wait_alu 0xfffe
	s_or_b32 exec_lo, exec_lo, s28
	v_cmp_lt_u32_e64 s27, v93, v164
	s_and_saveexec_b32 s29, s27
	s_cbranch_execnz .LBB1227_256
.LBB1227_188:                           ;   in Loop: Header=BB1227_96 Depth=2
	s_wait_alu 0xfffe
	s_or_b32 exec_lo, exec_lo, s29
	v_cmp_lt_u32_e64 s28, v94, v164
	s_and_saveexec_b32 s30, s28
	s_cbranch_execnz .LBB1227_257
.LBB1227_189:                           ;   in Loop: Header=BB1227_96 Depth=2
	s_wait_alu 0xfffe
	s_or_b32 exec_lo, exec_lo, s30
	v_cmp_lt_u32_e64 s29, v95, v164
	s_and_saveexec_b32 s60, s29
	s_cbranch_execz .LBB1227_191
.LBB1227_190:                           ;   in Loop: Header=BB1227_96 Depth=2
	ds_load_b64 v[38:39], v110 offset:31744
	s_wait_dscnt 0x0
	v_cmp_ne_u64_e64 s30, s[42:43], v[38:39]
	s_wait_alu 0xf1ff
	s_delay_alu instid0(VALU_DEP_1) | instskip(SKIP_2) | instid1(VALU_DEP_2)
	v_cndmask_b32_e64 v45, 0x80000000, v39, s30
	v_cndmask_b32_e64 v44, 0, v38, s30
	v_cmp_lt_i64_e64 s30, -1, v[38:39]
	v_lshrrev_b64 v[44:45], s48, v[44:45]
	s_wait_alu 0xf1ff
	s_delay_alu instid0(VALU_DEP_2) | instskip(NEXT) | instid1(VALU_DEP_2)
	v_cndmask_b32_e64 v46, 0x80000000, -1, s30
	v_and_b32_e32 v2, s57, v44
	v_ashrrev_i32_e32 v44, 31, v39
	s_delay_alu instid0(VALU_DEP_3) | instskip(NEXT) | instid1(VALU_DEP_3)
	v_xor_b32_e32 v39, v46, v39
	v_lshlrev_b32_e32 v2, 2, v2
	s_delay_alu instid0(VALU_DEP_3) | instskip(SKIP_4) | instid1(VALU_DEP_1)
	v_not_b32_e32 v47, v44
	ds_load_b32 v2, v2
	v_xor_b32_e32 v38, v47, v38
	s_wait_dscnt 0x0
	v_add_nc_u32_e32 v2, v2, v95
	v_lshlrev_b64_e32 v[44:45], 3, v[2:3]
	s_delay_alu instid0(VALU_DEP_1) | instskip(SKIP_1) | instid1(VALU_DEP_2)
	v_add_co_u32 v44, s30, s38, v44
	s_wait_alu 0xf1ff
	v_add_co_ci_u32_e64 v45, null, s39, v45, s30
	global_store_b64 v[44:45], v[38:39], off
.LBB1227_191:                           ;   in Loop: Header=BB1227_96 Depth=2
	s_wait_alu 0xfffe
	s_or_b32 exec_lo, exec_lo, s60
	s_lshl_b64 s[60:61], s[34:35], 3
	s_wait_alu 0xfffe
	v_add_co_u32 v38, s30, v128, s60
	s_wait_alu 0xf1ff
	v_add_co_ci_u32_e64 v39, null, s61, v129, s30
	v_cmp_lt_u32_e64 s30, v127, v164
	s_and_saveexec_b32 s34, s30
	s_wait_alu 0xfffe
	s_xor_b32 s30, exec_lo, s34
	s_cbranch_execnz .LBB1227_258
; %bb.192:                              ;   in Loop: Header=BB1227_96 Depth=2
	s_wait_alu 0xfffe
	s_or_b32 exec_lo, exec_lo, s30
	s_delay_alu instid0(SALU_CYCLE_1)
	s_mov_b32 s34, exec_lo
	v_cmpx_lt_u32_e64 v130, v164
	s_cbranch_execnz .LBB1227_259
.LBB1227_193:                           ;   in Loop: Header=BB1227_96 Depth=2
	s_wait_alu 0xfffe
	s_or_b32 exec_lo, exec_lo, s34
	s_delay_alu instid0(SALU_CYCLE_1)
	s_mov_b32 s34, exec_lo
	v_cmpx_lt_u32_e64 v131, v164
	s_cbranch_execnz .LBB1227_260
.LBB1227_194:                           ;   in Loop: Header=BB1227_96 Depth=2
	s_wait_alu 0xfffe
	s_or_b32 exec_lo, exec_lo, s34
	s_delay_alu instid0(SALU_CYCLE_1)
	s_mov_b32 s34, exec_lo
	v_cmpx_lt_u32_e64 v132, v164
	s_cbranch_execnz .LBB1227_261
.LBB1227_195:                           ;   in Loop: Header=BB1227_96 Depth=2
	s_wait_alu 0xfffe
	s_or_b32 exec_lo, exec_lo, s34
	s_delay_alu instid0(SALU_CYCLE_1)
	s_mov_b32 s34, exec_lo
	v_cmpx_lt_u32_e64 v133, v164
	s_cbranch_execnz .LBB1227_262
.LBB1227_196:                           ;   in Loop: Header=BB1227_96 Depth=2
	s_wait_alu 0xfffe
	s_or_b32 exec_lo, exec_lo, s34
	s_delay_alu instid0(SALU_CYCLE_1)
	s_mov_b32 s34, exec_lo
	v_cmpx_lt_u32_e64 v134, v164
	s_cbranch_execnz .LBB1227_263
.LBB1227_197:                           ;   in Loop: Header=BB1227_96 Depth=2
	s_wait_alu 0xfffe
	s_or_b32 exec_lo, exec_lo, s34
	s_delay_alu instid0(SALU_CYCLE_1)
	s_mov_b32 s34, exec_lo
	v_cmpx_lt_u32_e64 v135, v164
	s_cbranch_execnz .LBB1227_264
.LBB1227_198:                           ;   in Loop: Header=BB1227_96 Depth=2
	s_wait_alu 0xfffe
	s_or_b32 exec_lo, exec_lo, s34
	s_delay_alu instid0(SALU_CYCLE_1)
	s_mov_b32 s34, exec_lo
	v_cmpx_lt_u32_e64 v136, v164
	s_cbranch_execnz .LBB1227_265
.LBB1227_199:                           ;   in Loop: Header=BB1227_96 Depth=2
	s_wait_alu 0xfffe
	s_or_b32 exec_lo, exec_lo, s34
	s_delay_alu instid0(SALU_CYCLE_1)
	s_mov_b32 s34, exec_lo
	v_cmpx_lt_u32_e64 v137, v164
	s_cbranch_execnz .LBB1227_266
.LBB1227_200:                           ;   in Loop: Header=BB1227_96 Depth=2
	s_wait_alu 0xfffe
	s_or_b32 exec_lo, exec_lo, s34
	s_delay_alu instid0(SALU_CYCLE_1)
	s_mov_b32 s34, exec_lo
	v_cmpx_lt_u32_e64 v138, v164
	s_cbranch_execnz .LBB1227_267
.LBB1227_201:                           ;   in Loop: Header=BB1227_96 Depth=2
	s_wait_alu 0xfffe
	s_or_b32 exec_lo, exec_lo, s34
	s_delay_alu instid0(SALU_CYCLE_1)
	s_mov_b32 s34, exec_lo
	v_cmpx_lt_u32_e64 v139, v164
	s_cbranch_execnz .LBB1227_268
.LBB1227_202:                           ;   in Loop: Header=BB1227_96 Depth=2
	s_wait_alu 0xfffe
	s_or_b32 exec_lo, exec_lo, s34
	s_delay_alu instid0(SALU_CYCLE_1)
	s_mov_b32 s34, exec_lo
	v_cmpx_lt_u32_e64 v140, v164
	s_cbranch_execnz .LBB1227_269
.LBB1227_203:                           ;   in Loop: Header=BB1227_96 Depth=2
	s_wait_alu 0xfffe
	s_or_b32 exec_lo, exec_lo, s34
	s_delay_alu instid0(SALU_CYCLE_1)
	s_mov_b32 s34, exec_lo
	v_cmpx_lt_u32_e64 v141, v164
	s_cbranch_execnz .LBB1227_270
.LBB1227_204:                           ;   in Loop: Header=BB1227_96 Depth=2
	s_wait_alu 0xfffe
	s_or_b32 exec_lo, exec_lo, s34
	s_delay_alu instid0(SALU_CYCLE_1)
	s_mov_b32 s34, exec_lo
	v_cmpx_lt_u32_e64 v142, v164
	s_cbranch_execnz .LBB1227_271
.LBB1227_205:                           ;   in Loop: Header=BB1227_96 Depth=2
	s_wait_alu 0xfffe
	s_or_b32 exec_lo, exec_lo, s34
	s_delay_alu instid0(SALU_CYCLE_1)
	s_mov_b32 s34, exec_lo
	v_cmpx_lt_u32_e64 v143, v164
	s_cbranch_execnz .LBB1227_272
.LBB1227_206:                           ;   in Loop: Header=BB1227_96 Depth=2
	s_wait_alu 0xfffe
	s_or_b32 exec_lo, exec_lo, s34
	s_delay_alu instid0(SALU_CYCLE_1)
	s_mov_b32 s34, exec_lo
	v_cmpx_lt_u32_e64 v144, v164
	s_cbranch_execnz .LBB1227_273
.LBB1227_207:                           ;   in Loop: Header=BB1227_96 Depth=2
	s_wait_alu 0xfffe
	s_or_b32 exec_lo, exec_lo, s34
	s_and_saveexec_b32 s34, vcc_lo
	s_cbranch_execnz .LBB1227_274
.LBB1227_208:                           ;   in Loop: Header=BB1227_96 Depth=2
	s_wait_alu 0xfffe
	s_or_b32 exec_lo, exec_lo, s34
	s_and_saveexec_b32 s34, s15
	s_cbranch_execnz .LBB1227_275
.LBB1227_209:                           ;   in Loop: Header=BB1227_96 Depth=2
	s_wait_alu 0xfffe
	s_or_b32 exec_lo, exec_lo, s34
	s_and_saveexec_b32 s34, s16
	s_cbranch_execnz .LBB1227_276
.LBB1227_210:                           ;   in Loop: Header=BB1227_96 Depth=2
	s_wait_alu 0xfffe
	s_or_b32 exec_lo, exec_lo, s34
	s_and_saveexec_b32 s34, s17
	s_cbranch_execnz .LBB1227_277
.LBB1227_211:                           ;   in Loop: Header=BB1227_96 Depth=2
	s_wait_alu 0xfffe
	s_or_b32 exec_lo, exec_lo, s34
	s_and_saveexec_b32 s34, s18
	s_cbranch_execnz .LBB1227_278
.LBB1227_212:                           ;   in Loop: Header=BB1227_96 Depth=2
	s_wait_alu 0xfffe
	s_or_b32 exec_lo, exec_lo, s34
	s_and_saveexec_b32 s34, s19
	s_cbranch_execnz .LBB1227_279
.LBB1227_213:                           ;   in Loop: Header=BB1227_96 Depth=2
	s_wait_alu 0xfffe
	s_or_b32 exec_lo, exec_lo, s34
	s_and_saveexec_b32 s34, s20
	s_cbranch_execnz .LBB1227_280
.LBB1227_214:                           ;   in Loop: Header=BB1227_96 Depth=2
	s_wait_alu 0xfffe
	s_or_b32 exec_lo, exec_lo, s34
	s_and_saveexec_b32 s34, s21
	s_cbranch_execnz .LBB1227_281
.LBB1227_215:                           ;   in Loop: Header=BB1227_96 Depth=2
	s_wait_alu 0xfffe
	s_or_b32 exec_lo, exec_lo, s34
	s_and_saveexec_b32 s34, s22
	s_cbranch_execnz .LBB1227_282
.LBB1227_216:                           ;   in Loop: Header=BB1227_96 Depth=2
	s_wait_alu 0xfffe
	s_or_b32 exec_lo, exec_lo, s34
	s_and_saveexec_b32 s34, s23
	s_cbranch_execnz .LBB1227_283
.LBB1227_217:                           ;   in Loop: Header=BB1227_96 Depth=2
	s_wait_alu 0xfffe
	s_or_b32 exec_lo, exec_lo, s34
	s_and_saveexec_b32 s34, s24
	s_cbranch_execnz .LBB1227_284
.LBB1227_218:                           ;   in Loop: Header=BB1227_96 Depth=2
	s_wait_alu 0xfffe
	s_or_b32 exec_lo, exec_lo, s34
	s_and_saveexec_b32 s34, s25
	s_cbranch_execnz .LBB1227_285
.LBB1227_219:                           ;   in Loop: Header=BB1227_96 Depth=2
	s_wait_alu 0xfffe
	s_or_b32 exec_lo, exec_lo, s34
	s_and_saveexec_b32 s34, s26
	s_cbranch_execnz .LBB1227_286
.LBB1227_220:                           ;   in Loop: Header=BB1227_96 Depth=2
	s_wait_alu 0xfffe
	s_or_b32 exec_lo, exec_lo, s34
	s_and_saveexec_b32 s34, s27
	s_cbranch_execnz .LBB1227_287
.LBB1227_221:                           ;   in Loop: Header=BB1227_96 Depth=2
	s_wait_alu 0xfffe
	s_or_b32 exec_lo, exec_lo, s34
	s_and_saveexec_b32 s34, s28
	s_cbranch_execnz .LBB1227_288
.LBB1227_222:                           ;   in Loop: Header=BB1227_96 Depth=2
	s_wait_alu 0xfffe
	s_or_b32 exec_lo, exec_lo, s34
	s_and_saveexec_b32 s34, s29
	s_cbranch_execz .LBB1227_224
.LBB1227_223:                           ;   in Loop: Header=BB1227_96 Depth=2
	ds_load_b64 v[38:39], v110 offset:31744
	s_wait_dscnt 0x0
	v_cmp_ne_u64_e64 s30, s[42:43], v[38:39]
	s_wait_alu 0xf1ff
	s_delay_alu instid0(VALU_DEP_1) | instskip(SKIP_1) | instid1(VALU_DEP_1)
	v_cndmask_b32_e64 v39, 0x80000000, v39, s30
	v_cndmask_b32_e64 v38, 0, v38, s30
	v_lshrrev_b64 v[38:39], s48, v[38:39]
	s_delay_alu instid0(VALU_DEP_1)
	v_and_b32_e32 v148, s57, v38
.LBB1227_224:                           ;   in Loop: Header=BB1227_96 Depth=2
	s_wait_alu 0xfffe
	s_or_b32 exec_lo, exec_lo, s34
	s_wait_loadcnt 0x0
	s_wait_storecnt 0x0
	s_barrier_signal -1
	s_barrier_wait -1
	global_inv scope:SCOPE_SE
	ds_store_b64 v71, v[36:37] offset:1024
	ds_store_b64 v72, v[34:35] offset:1024
	;; [unrolled: 1-line block ×16, first 2 shown]
	s_wait_loadcnt_dscnt 0x0
	s_barrier_signal -1
	s_barrier_wait -1
	global_inv scope:SCOPE_SE
	s_and_saveexec_b32 s30, vcc_lo
	s_cbranch_execnz .LBB1227_289
; %bb.225:                              ;   in Loop: Header=BB1227_96 Depth=2
	s_wait_alu 0xfffe
	s_or_b32 exec_lo, exec_lo, s30
	s_and_saveexec_b32 s30, s15
	s_cbranch_execnz .LBB1227_290
.LBB1227_226:                           ;   in Loop: Header=BB1227_96 Depth=2
	s_wait_alu 0xfffe
	s_or_b32 exec_lo, exec_lo, s30
	s_and_saveexec_b32 s15, s16
	s_cbranch_execnz .LBB1227_291
.LBB1227_227:                           ;   in Loop: Header=BB1227_96 Depth=2
	s_wait_alu 0xfffe
	s_or_b32 exec_lo, exec_lo, s15
	s_and_saveexec_b32 s15, s17
	s_cbranch_execnz .LBB1227_292
.LBB1227_228:                           ;   in Loop: Header=BB1227_96 Depth=2
	s_wait_alu 0xfffe
	s_or_b32 exec_lo, exec_lo, s15
	s_and_saveexec_b32 s15, s18
	s_cbranch_execnz .LBB1227_293
.LBB1227_229:                           ;   in Loop: Header=BB1227_96 Depth=2
	s_wait_alu 0xfffe
	s_or_b32 exec_lo, exec_lo, s15
	s_and_saveexec_b32 s15, s19
	s_cbranch_execnz .LBB1227_294
.LBB1227_230:                           ;   in Loop: Header=BB1227_96 Depth=2
	s_wait_alu 0xfffe
	s_or_b32 exec_lo, exec_lo, s15
	s_and_saveexec_b32 s15, s20
	s_cbranch_execnz .LBB1227_295
.LBB1227_231:                           ;   in Loop: Header=BB1227_96 Depth=2
	s_wait_alu 0xfffe
	s_or_b32 exec_lo, exec_lo, s15
	s_and_saveexec_b32 s15, s21
	s_cbranch_execnz .LBB1227_296
.LBB1227_232:                           ;   in Loop: Header=BB1227_96 Depth=2
	s_wait_alu 0xfffe
	s_or_b32 exec_lo, exec_lo, s15
	s_and_saveexec_b32 s15, s22
	s_cbranch_execnz .LBB1227_297
.LBB1227_233:                           ;   in Loop: Header=BB1227_96 Depth=2
	s_wait_alu 0xfffe
	s_or_b32 exec_lo, exec_lo, s15
	s_and_saveexec_b32 s15, s23
	s_cbranch_execnz .LBB1227_298
.LBB1227_234:                           ;   in Loop: Header=BB1227_96 Depth=2
	s_wait_alu 0xfffe
	s_or_b32 exec_lo, exec_lo, s15
	s_and_saveexec_b32 s15, s24
	s_cbranch_execnz .LBB1227_299
.LBB1227_235:                           ;   in Loop: Header=BB1227_96 Depth=2
	s_wait_alu 0xfffe
	s_or_b32 exec_lo, exec_lo, s15
	s_and_saveexec_b32 s15, s25
	s_cbranch_execnz .LBB1227_300
.LBB1227_236:                           ;   in Loop: Header=BB1227_96 Depth=2
	s_wait_alu 0xfffe
	s_or_b32 exec_lo, exec_lo, s15
	s_and_saveexec_b32 s15, s26
	s_cbranch_execnz .LBB1227_301
.LBB1227_237:                           ;   in Loop: Header=BB1227_96 Depth=2
	s_wait_alu 0xfffe
	s_or_b32 exec_lo, exec_lo, s15
	s_and_saveexec_b32 s15, s27
	s_cbranch_execnz .LBB1227_302
.LBB1227_238:                           ;   in Loop: Header=BB1227_96 Depth=2
	s_wait_alu 0xfffe
	s_or_b32 exec_lo, exec_lo, s15
	s_and_saveexec_b32 s15, s28
	s_cbranch_execnz .LBB1227_303
.LBB1227_239:                           ;   in Loop: Header=BB1227_96 Depth=2
	s_wait_alu 0xfffe
	s_or_b32 exec_lo, exec_lo, s15
	s_and_saveexec_b32 s15, s29
	s_cbranch_execz .LBB1227_241
.LBB1227_240:                           ;   in Loop: Header=BB1227_96 Depth=2
	v_lshlrev_b32_e32 v2, 2, v148
	ds_load_b32 v2, v2
	ds_load_b64 v[38:39], v110 offset:31744
	s_wait_dscnt 0x1
	v_add_nc_u32_e32 v2, v2, v95
	s_delay_alu instid0(VALU_DEP_1) | instskip(NEXT) | instid1(VALU_DEP_1)
	v_lshlrev_b64_e32 v[40:41], 3, v[2:3]
	v_add_co_u32 v40, vcc_lo, s44, v40
	s_wait_alu 0xfffd
	s_delay_alu instid0(VALU_DEP_2)
	v_add_co_ci_u32_e64 v41, null, s45, v41, vcc_lo
	s_wait_dscnt 0x0
	global_store_b64 v[40:41], v[38:39], off
.LBB1227_241:                           ;   in Loop: Header=BB1227_96 Depth=2
	s_wait_alu 0xfffe
	s_or_b32 exec_lo, exec_lo, s15
	s_wait_loadcnt 0x0
	s_wait_storecnt 0x0
	s_barrier_signal -1
	s_barrier_wait -1
	global_inv scope:SCOPE_SE
	s_and_saveexec_b32 s15, s2
	s_cbranch_execz .LBB1227_95
; %bb.242:                              ;   in Loop: Header=BB1227_96 Depth=2
	ds_load_b32 v2, v78
	s_wait_dscnt 0x0
	v_add_nc_u32_e32 v2, v2, v70
	ds_store_b32 v78, v2
	s_branch .LBB1227_95
.LBB1227_243:                           ;   in Loop: Header=BB1227_96 Depth=2
	ds_load_b64 v[38:39], v110 offset:1024
	s_wait_dscnt 0x0
	v_cmp_ne_u64_e64 s15, s[42:43], v[38:39]
	s_wait_alu 0xf1ff
	s_delay_alu instid0(VALU_DEP_1) | instskip(SKIP_2) | instid1(VALU_DEP_2)
	v_cndmask_b32_e64 v45, 0x80000000, v39, s15
	v_cndmask_b32_e64 v44, 0, v38, s15
	v_cmp_lt_i64_e64 s15, -1, v[38:39]
	v_lshrrev_b64 v[44:45], s48, v[44:45]
	s_wait_alu 0xf1ff
	s_delay_alu instid0(VALU_DEP_2) | instskip(NEXT) | instid1(VALU_DEP_2)
	v_cndmask_b32_e64 v46, 0x80000000, -1, s15
	v_and_b32_e32 v2, s57, v44
	v_ashrrev_i32_e32 v44, 31, v39
	s_delay_alu instid0(VALU_DEP_3) | instskip(NEXT) | instid1(VALU_DEP_3)
	v_xor_b32_e32 v39, v46, v39
	v_lshlrev_b32_e32 v2, 2, v2
	s_delay_alu instid0(VALU_DEP_3) | instskip(SKIP_4) | instid1(VALU_DEP_1)
	v_not_b32_e32 v47, v44
	ds_load_b32 v2, v2
	v_xor_b32_e32 v38, v47, v38
	s_wait_dscnt 0x0
	v_add_nc_u32_e32 v2, v2, v1
	v_lshlrev_b64_e32 v[44:45], 3, v[2:3]
	s_delay_alu instid0(VALU_DEP_1) | instskip(SKIP_1) | instid1(VALU_DEP_2)
	v_add_co_u32 v44, s15, s38, v44
	s_wait_alu 0xf1ff
	v_add_co_ci_u32_e64 v45, null, s39, v45, s15
	global_store_b64 v[44:45], v[38:39], off
	s_wait_alu 0xfffe
	s_or_b32 exec_lo, exec_lo, s16
	v_cmp_lt_u32_e64 s15, v79, v164
	s_and_saveexec_b32 s17, s15
	s_cbranch_execz .LBB1227_176
.LBB1227_244:                           ;   in Loop: Header=BB1227_96 Depth=2
	ds_load_b64 v[38:39], v110 offset:3072
	s_wait_dscnt 0x0
	v_cmp_ne_u64_e64 s16, s[42:43], v[38:39]
	s_wait_alu 0xf1ff
	s_delay_alu instid0(VALU_DEP_1) | instskip(SKIP_2) | instid1(VALU_DEP_2)
	v_cndmask_b32_e64 v45, 0x80000000, v39, s16
	v_cndmask_b32_e64 v44, 0, v38, s16
	v_cmp_lt_i64_e64 s16, -1, v[38:39]
	v_lshrrev_b64 v[44:45], s48, v[44:45]
	s_wait_alu 0xf1ff
	s_delay_alu instid0(VALU_DEP_2) | instskip(NEXT) | instid1(VALU_DEP_2)
	v_cndmask_b32_e64 v46, 0x80000000, -1, s16
	v_and_b32_e32 v2, s57, v44
	v_ashrrev_i32_e32 v44, 31, v39
	s_delay_alu instid0(VALU_DEP_3) | instskip(NEXT) | instid1(VALU_DEP_3)
	v_xor_b32_e32 v39, v46, v39
	v_lshlrev_b32_e32 v2, 2, v2
	s_delay_alu instid0(VALU_DEP_3) | instskip(SKIP_4) | instid1(VALU_DEP_1)
	v_not_b32_e32 v47, v44
	ds_load_b32 v2, v2
	v_xor_b32_e32 v38, v47, v38
	s_wait_dscnt 0x0
	v_add_nc_u32_e32 v2, v2, v79
	v_lshlrev_b64_e32 v[44:45], 3, v[2:3]
	s_delay_alu instid0(VALU_DEP_1) | instskip(SKIP_1) | instid1(VALU_DEP_2)
	v_add_co_u32 v44, s16, s38, v44
	s_wait_alu 0xf1ff
	v_add_co_ci_u32_e64 v45, null, s39, v45, s16
	global_store_b64 v[44:45], v[38:39], off
	s_wait_alu 0xfffe
	s_or_b32 exec_lo, exec_lo, s17
	v_cmp_lt_u32_e64 s16, v80, v164
	s_and_saveexec_b32 s18, s16
	s_cbranch_execz .LBB1227_177
.LBB1227_245:                           ;   in Loop: Header=BB1227_96 Depth=2
	ds_load_b64 v[38:39], v110 offset:5120
	s_wait_dscnt 0x0
	v_cmp_ne_u64_e64 s17, s[42:43], v[38:39]
	s_wait_alu 0xf1ff
	s_delay_alu instid0(VALU_DEP_1) | instskip(SKIP_2) | instid1(VALU_DEP_2)
	v_cndmask_b32_e64 v45, 0x80000000, v39, s17
	v_cndmask_b32_e64 v44, 0, v38, s17
	v_cmp_lt_i64_e64 s17, -1, v[38:39]
	v_lshrrev_b64 v[44:45], s48, v[44:45]
	s_wait_alu 0xf1ff
	s_delay_alu instid0(VALU_DEP_2) | instskip(NEXT) | instid1(VALU_DEP_2)
	v_cndmask_b32_e64 v46, 0x80000000, -1, s17
	v_and_b32_e32 v2, s57, v44
	v_ashrrev_i32_e32 v44, 31, v39
	s_delay_alu instid0(VALU_DEP_3) | instskip(NEXT) | instid1(VALU_DEP_3)
	v_xor_b32_e32 v39, v46, v39
	v_lshlrev_b32_e32 v2, 2, v2
	s_delay_alu instid0(VALU_DEP_3) | instskip(SKIP_4) | instid1(VALU_DEP_1)
	v_not_b32_e32 v47, v44
	ds_load_b32 v2, v2
	v_xor_b32_e32 v38, v47, v38
	s_wait_dscnt 0x0
	v_add_nc_u32_e32 v2, v2, v80
	v_lshlrev_b64_e32 v[44:45], 3, v[2:3]
	s_delay_alu instid0(VALU_DEP_1) | instskip(SKIP_1) | instid1(VALU_DEP_2)
	v_add_co_u32 v44, s17, s38, v44
	s_wait_alu 0xf1ff
	v_add_co_ci_u32_e64 v45, null, s39, v45, s17
	global_store_b64 v[44:45], v[38:39], off
	s_wait_alu 0xfffe
	s_or_b32 exec_lo, exec_lo, s18
	v_cmp_lt_u32_e64 s17, v81, v164
	s_and_saveexec_b32 s19, s17
	s_cbranch_execz .LBB1227_178
.LBB1227_246:                           ;   in Loop: Header=BB1227_96 Depth=2
	ds_load_b64 v[38:39], v110 offset:7168
	s_wait_dscnt 0x0
	v_cmp_ne_u64_e64 s18, s[42:43], v[38:39]
	s_wait_alu 0xf1ff
	s_delay_alu instid0(VALU_DEP_1) | instskip(SKIP_2) | instid1(VALU_DEP_2)
	v_cndmask_b32_e64 v45, 0x80000000, v39, s18
	v_cndmask_b32_e64 v44, 0, v38, s18
	v_cmp_lt_i64_e64 s18, -1, v[38:39]
	v_lshrrev_b64 v[44:45], s48, v[44:45]
	s_wait_alu 0xf1ff
	s_delay_alu instid0(VALU_DEP_2) | instskip(NEXT) | instid1(VALU_DEP_2)
	v_cndmask_b32_e64 v46, 0x80000000, -1, s18
	v_and_b32_e32 v2, s57, v44
	v_ashrrev_i32_e32 v44, 31, v39
	s_delay_alu instid0(VALU_DEP_3) | instskip(NEXT) | instid1(VALU_DEP_3)
	v_xor_b32_e32 v39, v46, v39
	v_lshlrev_b32_e32 v2, 2, v2
	s_delay_alu instid0(VALU_DEP_3) | instskip(SKIP_4) | instid1(VALU_DEP_1)
	v_not_b32_e32 v47, v44
	ds_load_b32 v2, v2
	v_xor_b32_e32 v38, v47, v38
	s_wait_dscnt 0x0
	v_add_nc_u32_e32 v2, v2, v81
	v_lshlrev_b64_e32 v[44:45], 3, v[2:3]
	s_delay_alu instid0(VALU_DEP_1) | instskip(SKIP_1) | instid1(VALU_DEP_2)
	v_add_co_u32 v44, s18, s38, v44
	s_wait_alu 0xf1ff
	v_add_co_ci_u32_e64 v45, null, s39, v45, s18
	global_store_b64 v[44:45], v[38:39], off
	s_wait_alu 0xfffe
	s_or_b32 exec_lo, exec_lo, s19
	v_cmp_lt_u32_e64 s18, v84, v164
	s_and_saveexec_b32 s20, s18
	s_cbranch_execz .LBB1227_179
.LBB1227_247:                           ;   in Loop: Header=BB1227_96 Depth=2
	ds_load_b64 v[38:39], v110 offset:9216
	s_wait_dscnt 0x0
	v_cmp_ne_u64_e64 s19, s[42:43], v[38:39]
	s_wait_alu 0xf1ff
	s_delay_alu instid0(VALU_DEP_1) | instskip(SKIP_2) | instid1(VALU_DEP_2)
	v_cndmask_b32_e64 v45, 0x80000000, v39, s19
	v_cndmask_b32_e64 v44, 0, v38, s19
	v_cmp_lt_i64_e64 s19, -1, v[38:39]
	v_lshrrev_b64 v[44:45], s48, v[44:45]
	s_wait_alu 0xf1ff
	s_delay_alu instid0(VALU_DEP_2) | instskip(NEXT) | instid1(VALU_DEP_2)
	v_cndmask_b32_e64 v46, 0x80000000, -1, s19
	v_and_b32_e32 v2, s57, v44
	v_ashrrev_i32_e32 v44, 31, v39
	s_delay_alu instid0(VALU_DEP_3) | instskip(NEXT) | instid1(VALU_DEP_3)
	v_xor_b32_e32 v39, v46, v39
	v_lshlrev_b32_e32 v2, 2, v2
	s_delay_alu instid0(VALU_DEP_3) | instskip(SKIP_4) | instid1(VALU_DEP_1)
	v_not_b32_e32 v47, v44
	ds_load_b32 v2, v2
	v_xor_b32_e32 v38, v47, v38
	s_wait_dscnt 0x0
	v_add_nc_u32_e32 v2, v2, v84
	v_lshlrev_b64_e32 v[44:45], 3, v[2:3]
	s_delay_alu instid0(VALU_DEP_1) | instskip(SKIP_1) | instid1(VALU_DEP_2)
	v_add_co_u32 v44, s19, s38, v44
	s_wait_alu 0xf1ff
	v_add_co_ci_u32_e64 v45, null, s39, v45, s19
	global_store_b64 v[44:45], v[38:39], off
	s_wait_alu 0xfffe
	s_or_b32 exec_lo, exec_lo, s20
	v_cmp_lt_u32_e64 s19, v85, v164
	s_and_saveexec_b32 s21, s19
	s_cbranch_execz .LBB1227_180
.LBB1227_248:                           ;   in Loop: Header=BB1227_96 Depth=2
	ds_load_b64 v[38:39], v110 offset:11264
	s_wait_dscnt 0x0
	v_cmp_ne_u64_e64 s20, s[42:43], v[38:39]
	s_wait_alu 0xf1ff
	s_delay_alu instid0(VALU_DEP_1) | instskip(SKIP_2) | instid1(VALU_DEP_2)
	v_cndmask_b32_e64 v45, 0x80000000, v39, s20
	v_cndmask_b32_e64 v44, 0, v38, s20
	v_cmp_lt_i64_e64 s20, -1, v[38:39]
	v_lshrrev_b64 v[44:45], s48, v[44:45]
	s_wait_alu 0xf1ff
	s_delay_alu instid0(VALU_DEP_2) | instskip(NEXT) | instid1(VALU_DEP_2)
	v_cndmask_b32_e64 v46, 0x80000000, -1, s20
	v_and_b32_e32 v2, s57, v44
	v_ashrrev_i32_e32 v44, 31, v39
	s_delay_alu instid0(VALU_DEP_3) | instskip(NEXT) | instid1(VALU_DEP_3)
	v_xor_b32_e32 v39, v46, v39
	v_lshlrev_b32_e32 v2, 2, v2
	s_delay_alu instid0(VALU_DEP_3) | instskip(SKIP_4) | instid1(VALU_DEP_1)
	v_not_b32_e32 v47, v44
	ds_load_b32 v2, v2
	v_xor_b32_e32 v38, v47, v38
	s_wait_dscnt 0x0
	v_add_nc_u32_e32 v2, v2, v85
	v_lshlrev_b64_e32 v[44:45], 3, v[2:3]
	s_delay_alu instid0(VALU_DEP_1) | instskip(SKIP_1) | instid1(VALU_DEP_2)
	v_add_co_u32 v44, s20, s38, v44
	s_wait_alu 0xf1ff
	v_add_co_ci_u32_e64 v45, null, s39, v45, s20
	global_store_b64 v[44:45], v[38:39], off
	s_wait_alu 0xfffe
	s_or_b32 exec_lo, exec_lo, s21
	v_cmp_lt_u32_e64 s20, v86, v164
	s_and_saveexec_b32 s22, s20
	s_cbranch_execz .LBB1227_181
.LBB1227_249:                           ;   in Loop: Header=BB1227_96 Depth=2
	ds_load_b64 v[38:39], v110 offset:13312
	s_wait_dscnt 0x0
	v_cmp_ne_u64_e64 s21, s[42:43], v[38:39]
	s_wait_alu 0xf1ff
	s_delay_alu instid0(VALU_DEP_1) | instskip(SKIP_2) | instid1(VALU_DEP_2)
	v_cndmask_b32_e64 v45, 0x80000000, v39, s21
	v_cndmask_b32_e64 v44, 0, v38, s21
	v_cmp_lt_i64_e64 s21, -1, v[38:39]
	v_lshrrev_b64 v[44:45], s48, v[44:45]
	s_wait_alu 0xf1ff
	s_delay_alu instid0(VALU_DEP_2) | instskip(NEXT) | instid1(VALU_DEP_2)
	v_cndmask_b32_e64 v46, 0x80000000, -1, s21
	v_and_b32_e32 v2, s57, v44
	v_ashrrev_i32_e32 v44, 31, v39
	s_delay_alu instid0(VALU_DEP_3) | instskip(NEXT) | instid1(VALU_DEP_3)
	v_xor_b32_e32 v39, v46, v39
	v_lshlrev_b32_e32 v2, 2, v2
	s_delay_alu instid0(VALU_DEP_3) | instskip(SKIP_4) | instid1(VALU_DEP_1)
	v_not_b32_e32 v47, v44
	ds_load_b32 v2, v2
	v_xor_b32_e32 v38, v47, v38
	s_wait_dscnt 0x0
	v_add_nc_u32_e32 v2, v2, v86
	v_lshlrev_b64_e32 v[44:45], 3, v[2:3]
	s_delay_alu instid0(VALU_DEP_1) | instskip(SKIP_1) | instid1(VALU_DEP_2)
	v_add_co_u32 v44, s21, s38, v44
	s_wait_alu 0xf1ff
	v_add_co_ci_u32_e64 v45, null, s39, v45, s21
	global_store_b64 v[44:45], v[38:39], off
	s_wait_alu 0xfffe
	s_or_b32 exec_lo, exec_lo, s22
	v_cmp_lt_u32_e64 s21, v87, v164
	s_and_saveexec_b32 s23, s21
	s_cbranch_execz .LBB1227_182
.LBB1227_250:                           ;   in Loop: Header=BB1227_96 Depth=2
	ds_load_b64 v[38:39], v110 offset:15360
	s_wait_dscnt 0x0
	v_cmp_ne_u64_e64 s22, s[42:43], v[38:39]
	s_wait_alu 0xf1ff
	s_delay_alu instid0(VALU_DEP_1) | instskip(SKIP_2) | instid1(VALU_DEP_2)
	v_cndmask_b32_e64 v45, 0x80000000, v39, s22
	v_cndmask_b32_e64 v44, 0, v38, s22
	v_cmp_lt_i64_e64 s22, -1, v[38:39]
	v_lshrrev_b64 v[44:45], s48, v[44:45]
	s_wait_alu 0xf1ff
	s_delay_alu instid0(VALU_DEP_2) | instskip(NEXT) | instid1(VALU_DEP_2)
	v_cndmask_b32_e64 v46, 0x80000000, -1, s22
	v_and_b32_e32 v2, s57, v44
	v_ashrrev_i32_e32 v44, 31, v39
	s_delay_alu instid0(VALU_DEP_3) | instskip(NEXT) | instid1(VALU_DEP_3)
	v_xor_b32_e32 v39, v46, v39
	v_lshlrev_b32_e32 v2, 2, v2
	s_delay_alu instid0(VALU_DEP_3) | instskip(SKIP_4) | instid1(VALU_DEP_1)
	v_not_b32_e32 v47, v44
	ds_load_b32 v2, v2
	v_xor_b32_e32 v38, v47, v38
	s_wait_dscnt 0x0
	v_add_nc_u32_e32 v2, v2, v87
	v_lshlrev_b64_e32 v[44:45], 3, v[2:3]
	s_delay_alu instid0(VALU_DEP_1) | instskip(SKIP_1) | instid1(VALU_DEP_2)
	v_add_co_u32 v44, s22, s38, v44
	s_wait_alu 0xf1ff
	v_add_co_ci_u32_e64 v45, null, s39, v45, s22
	global_store_b64 v[44:45], v[38:39], off
	s_wait_alu 0xfffe
	s_or_b32 exec_lo, exec_lo, s23
	v_cmp_lt_u32_e64 s22, v88, v164
	s_and_saveexec_b32 s24, s22
	s_cbranch_execz .LBB1227_183
.LBB1227_251:                           ;   in Loop: Header=BB1227_96 Depth=2
	ds_load_b64 v[38:39], v110 offset:17408
	s_wait_dscnt 0x0
	v_cmp_ne_u64_e64 s23, s[42:43], v[38:39]
	s_wait_alu 0xf1ff
	s_delay_alu instid0(VALU_DEP_1) | instskip(SKIP_2) | instid1(VALU_DEP_2)
	v_cndmask_b32_e64 v45, 0x80000000, v39, s23
	v_cndmask_b32_e64 v44, 0, v38, s23
	v_cmp_lt_i64_e64 s23, -1, v[38:39]
	v_lshrrev_b64 v[44:45], s48, v[44:45]
	s_wait_alu 0xf1ff
	s_delay_alu instid0(VALU_DEP_2) | instskip(NEXT) | instid1(VALU_DEP_2)
	v_cndmask_b32_e64 v46, 0x80000000, -1, s23
	v_and_b32_e32 v2, s57, v44
	v_ashrrev_i32_e32 v44, 31, v39
	s_delay_alu instid0(VALU_DEP_3) | instskip(NEXT) | instid1(VALU_DEP_3)
	v_xor_b32_e32 v39, v46, v39
	v_lshlrev_b32_e32 v2, 2, v2
	s_delay_alu instid0(VALU_DEP_3) | instskip(SKIP_4) | instid1(VALU_DEP_1)
	v_not_b32_e32 v47, v44
	ds_load_b32 v2, v2
	v_xor_b32_e32 v38, v47, v38
	s_wait_dscnt 0x0
	v_add_nc_u32_e32 v2, v2, v88
	v_lshlrev_b64_e32 v[44:45], 3, v[2:3]
	s_delay_alu instid0(VALU_DEP_1) | instskip(SKIP_1) | instid1(VALU_DEP_2)
	v_add_co_u32 v44, s23, s38, v44
	s_wait_alu 0xf1ff
	v_add_co_ci_u32_e64 v45, null, s39, v45, s23
	global_store_b64 v[44:45], v[38:39], off
	s_wait_alu 0xfffe
	s_or_b32 exec_lo, exec_lo, s24
	v_cmp_lt_u32_e64 s23, v89, v164
	s_and_saveexec_b32 s25, s23
	s_cbranch_execz .LBB1227_184
.LBB1227_252:                           ;   in Loop: Header=BB1227_96 Depth=2
	ds_load_b64 v[38:39], v110 offset:19456
	s_wait_dscnt 0x0
	v_cmp_ne_u64_e64 s24, s[42:43], v[38:39]
	s_wait_alu 0xf1ff
	s_delay_alu instid0(VALU_DEP_1) | instskip(SKIP_2) | instid1(VALU_DEP_2)
	v_cndmask_b32_e64 v45, 0x80000000, v39, s24
	v_cndmask_b32_e64 v44, 0, v38, s24
	v_cmp_lt_i64_e64 s24, -1, v[38:39]
	v_lshrrev_b64 v[44:45], s48, v[44:45]
	s_wait_alu 0xf1ff
	s_delay_alu instid0(VALU_DEP_2) | instskip(NEXT) | instid1(VALU_DEP_2)
	v_cndmask_b32_e64 v46, 0x80000000, -1, s24
	v_and_b32_e32 v2, s57, v44
	v_ashrrev_i32_e32 v44, 31, v39
	s_delay_alu instid0(VALU_DEP_3) | instskip(NEXT) | instid1(VALU_DEP_3)
	v_xor_b32_e32 v39, v46, v39
	v_lshlrev_b32_e32 v2, 2, v2
	s_delay_alu instid0(VALU_DEP_3) | instskip(SKIP_4) | instid1(VALU_DEP_1)
	v_not_b32_e32 v47, v44
	ds_load_b32 v2, v2
	v_xor_b32_e32 v38, v47, v38
	s_wait_dscnt 0x0
	v_add_nc_u32_e32 v2, v2, v89
	v_lshlrev_b64_e32 v[44:45], 3, v[2:3]
	s_delay_alu instid0(VALU_DEP_1) | instskip(SKIP_1) | instid1(VALU_DEP_2)
	v_add_co_u32 v44, s24, s38, v44
	s_wait_alu 0xf1ff
	v_add_co_ci_u32_e64 v45, null, s39, v45, s24
	global_store_b64 v[44:45], v[38:39], off
	s_wait_alu 0xfffe
	s_or_b32 exec_lo, exec_lo, s25
	v_cmp_lt_u32_e64 s24, v90, v164
	s_and_saveexec_b32 s26, s24
	s_cbranch_execz .LBB1227_185
.LBB1227_253:                           ;   in Loop: Header=BB1227_96 Depth=2
	ds_load_b64 v[38:39], v110 offset:21504
	s_wait_dscnt 0x0
	v_cmp_ne_u64_e64 s25, s[42:43], v[38:39]
	s_wait_alu 0xf1ff
	s_delay_alu instid0(VALU_DEP_1) | instskip(SKIP_2) | instid1(VALU_DEP_2)
	v_cndmask_b32_e64 v45, 0x80000000, v39, s25
	v_cndmask_b32_e64 v44, 0, v38, s25
	v_cmp_lt_i64_e64 s25, -1, v[38:39]
	v_lshrrev_b64 v[44:45], s48, v[44:45]
	s_wait_alu 0xf1ff
	s_delay_alu instid0(VALU_DEP_2) | instskip(NEXT) | instid1(VALU_DEP_2)
	v_cndmask_b32_e64 v46, 0x80000000, -1, s25
	v_and_b32_e32 v2, s57, v44
	v_ashrrev_i32_e32 v44, 31, v39
	s_delay_alu instid0(VALU_DEP_3) | instskip(NEXT) | instid1(VALU_DEP_3)
	v_xor_b32_e32 v39, v46, v39
	v_lshlrev_b32_e32 v2, 2, v2
	s_delay_alu instid0(VALU_DEP_3) | instskip(SKIP_4) | instid1(VALU_DEP_1)
	v_not_b32_e32 v47, v44
	ds_load_b32 v2, v2
	v_xor_b32_e32 v38, v47, v38
	s_wait_dscnt 0x0
	v_add_nc_u32_e32 v2, v2, v90
	v_lshlrev_b64_e32 v[44:45], 3, v[2:3]
	s_delay_alu instid0(VALU_DEP_1) | instskip(SKIP_1) | instid1(VALU_DEP_2)
	v_add_co_u32 v44, s25, s38, v44
	s_wait_alu 0xf1ff
	v_add_co_ci_u32_e64 v45, null, s39, v45, s25
	global_store_b64 v[44:45], v[38:39], off
	s_wait_alu 0xfffe
	s_or_b32 exec_lo, exec_lo, s26
	v_cmp_lt_u32_e64 s25, v91, v164
	s_and_saveexec_b32 s27, s25
	s_cbranch_execz .LBB1227_186
.LBB1227_254:                           ;   in Loop: Header=BB1227_96 Depth=2
	ds_load_b64 v[38:39], v110 offset:23552
	s_wait_dscnt 0x0
	v_cmp_ne_u64_e64 s26, s[42:43], v[38:39]
	s_wait_alu 0xf1ff
	s_delay_alu instid0(VALU_DEP_1) | instskip(SKIP_2) | instid1(VALU_DEP_2)
	v_cndmask_b32_e64 v45, 0x80000000, v39, s26
	v_cndmask_b32_e64 v44, 0, v38, s26
	v_cmp_lt_i64_e64 s26, -1, v[38:39]
	v_lshrrev_b64 v[44:45], s48, v[44:45]
	s_wait_alu 0xf1ff
	s_delay_alu instid0(VALU_DEP_2) | instskip(NEXT) | instid1(VALU_DEP_2)
	v_cndmask_b32_e64 v46, 0x80000000, -1, s26
	v_and_b32_e32 v2, s57, v44
	v_ashrrev_i32_e32 v44, 31, v39
	s_delay_alu instid0(VALU_DEP_3) | instskip(NEXT) | instid1(VALU_DEP_3)
	v_xor_b32_e32 v39, v46, v39
	v_lshlrev_b32_e32 v2, 2, v2
	s_delay_alu instid0(VALU_DEP_3) | instskip(SKIP_4) | instid1(VALU_DEP_1)
	v_not_b32_e32 v47, v44
	ds_load_b32 v2, v2
	v_xor_b32_e32 v38, v47, v38
	s_wait_dscnt 0x0
	v_add_nc_u32_e32 v2, v2, v91
	v_lshlrev_b64_e32 v[44:45], 3, v[2:3]
	s_delay_alu instid0(VALU_DEP_1) | instskip(SKIP_1) | instid1(VALU_DEP_2)
	v_add_co_u32 v44, s26, s38, v44
	s_wait_alu 0xf1ff
	v_add_co_ci_u32_e64 v45, null, s39, v45, s26
	global_store_b64 v[44:45], v[38:39], off
	s_wait_alu 0xfffe
	s_or_b32 exec_lo, exec_lo, s27
	v_cmp_lt_u32_e64 s26, v92, v164
	s_and_saveexec_b32 s28, s26
	s_cbranch_execz .LBB1227_187
.LBB1227_255:                           ;   in Loop: Header=BB1227_96 Depth=2
	ds_load_b64 v[38:39], v110 offset:25600
	s_wait_dscnt 0x0
	v_cmp_ne_u64_e64 s27, s[42:43], v[38:39]
	s_wait_alu 0xf1ff
	s_delay_alu instid0(VALU_DEP_1) | instskip(SKIP_2) | instid1(VALU_DEP_2)
	v_cndmask_b32_e64 v45, 0x80000000, v39, s27
	v_cndmask_b32_e64 v44, 0, v38, s27
	v_cmp_lt_i64_e64 s27, -1, v[38:39]
	v_lshrrev_b64 v[44:45], s48, v[44:45]
	s_wait_alu 0xf1ff
	s_delay_alu instid0(VALU_DEP_2) | instskip(NEXT) | instid1(VALU_DEP_2)
	v_cndmask_b32_e64 v46, 0x80000000, -1, s27
	v_and_b32_e32 v2, s57, v44
	v_ashrrev_i32_e32 v44, 31, v39
	s_delay_alu instid0(VALU_DEP_3) | instskip(NEXT) | instid1(VALU_DEP_3)
	v_xor_b32_e32 v39, v46, v39
	v_lshlrev_b32_e32 v2, 2, v2
	s_delay_alu instid0(VALU_DEP_3) | instskip(SKIP_4) | instid1(VALU_DEP_1)
	v_not_b32_e32 v47, v44
	ds_load_b32 v2, v2
	v_xor_b32_e32 v38, v47, v38
	s_wait_dscnt 0x0
	v_add_nc_u32_e32 v2, v2, v92
	v_lshlrev_b64_e32 v[44:45], 3, v[2:3]
	s_delay_alu instid0(VALU_DEP_1) | instskip(SKIP_1) | instid1(VALU_DEP_2)
	v_add_co_u32 v44, s27, s38, v44
	s_wait_alu 0xf1ff
	v_add_co_ci_u32_e64 v45, null, s39, v45, s27
	global_store_b64 v[44:45], v[38:39], off
	s_wait_alu 0xfffe
	s_or_b32 exec_lo, exec_lo, s28
	v_cmp_lt_u32_e64 s27, v93, v164
	s_and_saveexec_b32 s29, s27
	s_cbranch_execz .LBB1227_188
.LBB1227_256:                           ;   in Loop: Header=BB1227_96 Depth=2
	ds_load_b64 v[38:39], v110 offset:27648
	s_wait_dscnt 0x0
	v_cmp_ne_u64_e64 s28, s[42:43], v[38:39]
	s_wait_alu 0xf1ff
	s_delay_alu instid0(VALU_DEP_1) | instskip(SKIP_2) | instid1(VALU_DEP_2)
	v_cndmask_b32_e64 v45, 0x80000000, v39, s28
	v_cndmask_b32_e64 v44, 0, v38, s28
	v_cmp_lt_i64_e64 s28, -1, v[38:39]
	v_lshrrev_b64 v[44:45], s48, v[44:45]
	s_wait_alu 0xf1ff
	s_delay_alu instid0(VALU_DEP_2) | instskip(NEXT) | instid1(VALU_DEP_2)
	v_cndmask_b32_e64 v46, 0x80000000, -1, s28
	v_and_b32_e32 v2, s57, v44
	v_ashrrev_i32_e32 v44, 31, v39
	s_delay_alu instid0(VALU_DEP_3) | instskip(NEXT) | instid1(VALU_DEP_3)
	v_xor_b32_e32 v39, v46, v39
	v_lshlrev_b32_e32 v2, 2, v2
	s_delay_alu instid0(VALU_DEP_3) | instskip(SKIP_4) | instid1(VALU_DEP_1)
	v_not_b32_e32 v47, v44
	ds_load_b32 v2, v2
	v_xor_b32_e32 v38, v47, v38
	s_wait_dscnt 0x0
	v_add_nc_u32_e32 v2, v2, v93
	v_lshlrev_b64_e32 v[44:45], 3, v[2:3]
	s_delay_alu instid0(VALU_DEP_1) | instskip(SKIP_1) | instid1(VALU_DEP_2)
	v_add_co_u32 v44, s28, s38, v44
	s_wait_alu 0xf1ff
	v_add_co_ci_u32_e64 v45, null, s39, v45, s28
	global_store_b64 v[44:45], v[38:39], off
	s_wait_alu 0xfffe
	s_or_b32 exec_lo, exec_lo, s29
	v_cmp_lt_u32_e64 s28, v94, v164
	s_and_saveexec_b32 s30, s28
	s_cbranch_execz .LBB1227_189
.LBB1227_257:                           ;   in Loop: Header=BB1227_96 Depth=2
	ds_load_b64 v[38:39], v110 offset:29696
	s_wait_dscnt 0x0
	v_cmp_ne_u64_e64 s29, s[42:43], v[38:39]
	s_wait_alu 0xf1ff
	s_delay_alu instid0(VALU_DEP_1) | instskip(SKIP_2) | instid1(VALU_DEP_2)
	v_cndmask_b32_e64 v45, 0x80000000, v39, s29
	v_cndmask_b32_e64 v44, 0, v38, s29
	v_cmp_lt_i64_e64 s29, -1, v[38:39]
	v_lshrrev_b64 v[44:45], s48, v[44:45]
	s_wait_alu 0xf1ff
	s_delay_alu instid0(VALU_DEP_2) | instskip(NEXT) | instid1(VALU_DEP_2)
	v_cndmask_b32_e64 v46, 0x80000000, -1, s29
	v_and_b32_e32 v2, s57, v44
	v_ashrrev_i32_e32 v44, 31, v39
	s_delay_alu instid0(VALU_DEP_3) | instskip(NEXT) | instid1(VALU_DEP_3)
	v_xor_b32_e32 v39, v46, v39
	v_lshlrev_b32_e32 v2, 2, v2
	s_delay_alu instid0(VALU_DEP_3) | instskip(SKIP_4) | instid1(VALU_DEP_1)
	v_not_b32_e32 v47, v44
	ds_load_b32 v2, v2
	v_xor_b32_e32 v38, v47, v38
	s_wait_dscnt 0x0
	v_add_nc_u32_e32 v2, v2, v94
	v_lshlrev_b64_e32 v[44:45], 3, v[2:3]
	s_delay_alu instid0(VALU_DEP_1) | instskip(SKIP_1) | instid1(VALU_DEP_2)
	v_add_co_u32 v44, s29, s38, v44
	s_wait_alu 0xf1ff
	v_add_co_ci_u32_e64 v45, null, s39, v45, s29
	global_store_b64 v[44:45], v[38:39], off
	s_wait_alu 0xfffe
	s_or_b32 exec_lo, exec_lo, s30
	v_cmp_lt_u32_e64 s29, v95, v164
	s_and_saveexec_b32 s60, s29
	s_cbranch_execnz .LBB1227_190
	s_branch .LBB1227_191
.LBB1227_258:                           ;   in Loop: Header=BB1227_96 Depth=2
	global_load_b64 v[36:37], v[38:39], off
	s_wait_alu 0xfffe
	s_or_b32 exec_lo, exec_lo, s30
	s_delay_alu instid0(SALU_CYCLE_1)
	s_mov_b32 s34, exec_lo
	v_cmpx_lt_u32_e64 v130, v164
	s_cbranch_execz .LBB1227_193
.LBB1227_259:                           ;   in Loop: Header=BB1227_96 Depth=2
	global_load_b64 v[34:35], v[38:39], off offset:256
	s_wait_alu 0xfffe
	s_or_b32 exec_lo, exec_lo, s34
	s_delay_alu instid0(SALU_CYCLE_1)
	s_mov_b32 s34, exec_lo
	v_cmpx_lt_u32_e64 v131, v164
	s_cbranch_execz .LBB1227_194
.LBB1227_260:                           ;   in Loop: Header=BB1227_96 Depth=2
	global_load_b64 v[32:33], v[38:39], off offset:512
	s_wait_alu 0xfffe
	s_or_b32 exec_lo, exec_lo, s34
	s_delay_alu instid0(SALU_CYCLE_1)
	s_mov_b32 s34, exec_lo
	v_cmpx_lt_u32_e64 v132, v164
	s_cbranch_execz .LBB1227_195
.LBB1227_261:                           ;   in Loop: Header=BB1227_96 Depth=2
	global_load_b64 v[30:31], v[38:39], off offset:768
	s_wait_alu 0xfffe
	s_or_b32 exec_lo, exec_lo, s34
	s_delay_alu instid0(SALU_CYCLE_1)
	s_mov_b32 s34, exec_lo
	v_cmpx_lt_u32_e64 v133, v164
	s_cbranch_execz .LBB1227_196
.LBB1227_262:                           ;   in Loop: Header=BB1227_96 Depth=2
	global_load_b64 v[28:29], v[38:39], off offset:1024
	s_wait_alu 0xfffe
	s_or_b32 exec_lo, exec_lo, s34
	s_delay_alu instid0(SALU_CYCLE_1)
	s_mov_b32 s34, exec_lo
	v_cmpx_lt_u32_e64 v134, v164
	s_cbranch_execz .LBB1227_197
.LBB1227_263:                           ;   in Loop: Header=BB1227_96 Depth=2
	global_load_b64 v[26:27], v[38:39], off offset:1280
	s_wait_alu 0xfffe
	s_or_b32 exec_lo, exec_lo, s34
	s_delay_alu instid0(SALU_CYCLE_1)
	s_mov_b32 s34, exec_lo
	v_cmpx_lt_u32_e64 v135, v164
	s_cbranch_execz .LBB1227_198
.LBB1227_264:                           ;   in Loop: Header=BB1227_96 Depth=2
	global_load_b64 v[24:25], v[38:39], off offset:1536
	s_wait_alu 0xfffe
	s_or_b32 exec_lo, exec_lo, s34
	s_delay_alu instid0(SALU_CYCLE_1)
	s_mov_b32 s34, exec_lo
	v_cmpx_lt_u32_e64 v136, v164
	s_cbranch_execz .LBB1227_199
.LBB1227_265:                           ;   in Loop: Header=BB1227_96 Depth=2
	global_load_b64 v[22:23], v[38:39], off offset:1792
	s_wait_alu 0xfffe
	s_or_b32 exec_lo, exec_lo, s34
	s_delay_alu instid0(SALU_CYCLE_1)
	s_mov_b32 s34, exec_lo
	v_cmpx_lt_u32_e64 v137, v164
	s_cbranch_execz .LBB1227_200
.LBB1227_266:                           ;   in Loop: Header=BB1227_96 Depth=2
	global_load_b64 v[20:21], v[38:39], off offset:2048
	s_wait_alu 0xfffe
	s_or_b32 exec_lo, exec_lo, s34
	s_delay_alu instid0(SALU_CYCLE_1)
	s_mov_b32 s34, exec_lo
	v_cmpx_lt_u32_e64 v138, v164
	s_cbranch_execz .LBB1227_201
.LBB1227_267:                           ;   in Loop: Header=BB1227_96 Depth=2
	global_load_b64 v[18:19], v[38:39], off offset:2304
	s_wait_alu 0xfffe
	s_or_b32 exec_lo, exec_lo, s34
	s_delay_alu instid0(SALU_CYCLE_1)
	s_mov_b32 s34, exec_lo
	v_cmpx_lt_u32_e64 v139, v164
	s_cbranch_execz .LBB1227_202
.LBB1227_268:                           ;   in Loop: Header=BB1227_96 Depth=2
	global_load_b64 v[16:17], v[38:39], off offset:2560
	s_wait_alu 0xfffe
	s_or_b32 exec_lo, exec_lo, s34
	s_delay_alu instid0(SALU_CYCLE_1)
	s_mov_b32 s34, exec_lo
	v_cmpx_lt_u32_e64 v140, v164
	s_cbranch_execz .LBB1227_203
.LBB1227_269:                           ;   in Loop: Header=BB1227_96 Depth=2
	global_load_b64 v[14:15], v[38:39], off offset:2816
	s_wait_alu 0xfffe
	s_or_b32 exec_lo, exec_lo, s34
	s_delay_alu instid0(SALU_CYCLE_1)
	s_mov_b32 s34, exec_lo
	v_cmpx_lt_u32_e64 v141, v164
	s_cbranch_execz .LBB1227_204
.LBB1227_270:                           ;   in Loop: Header=BB1227_96 Depth=2
	global_load_b64 v[12:13], v[38:39], off offset:3072
	s_wait_alu 0xfffe
	s_or_b32 exec_lo, exec_lo, s34
	s_delay_alu instid0(SALU_CYCLE_1)
	s_mov_b32 s34, exec_lo
	v_cmpx_lt_u32_e64 v142, v164
	s_cbranch_execz .LBB1227_205
.LBB1227_271:                           ;   in Loop: Header=BB1227_96 Depth=2
	global_load_b64 v[10:11], v[38:39], off offset:3328
	s_wait_alu 0xfffe
	s_or_b32 exec_lo, exec_lo, s34
	s_delay_alu instid0(SALU_CYCLE_1)
	s_mov_b32 s34, exec_lo
	v_cmpx_lt_u32_e64 v143, v164
	s_cbranch_execz .LBB1227_206
.LBB1227_272:                           ;   in Loop: Header=BB1227_96 Depth=2
	global_load_b64 v[8:9], v[38:39], off offset:3584
	s_wait_alu 0xfffe
	s_or_b32 exec_lo, exec_lo, s34
	s_delay_alu instid0(SALU_CYCLE_1)
	s_mov_b32 s34, exec_lo
	v_cmpx_lt_u32_e64 v144, v164
	s_cbranch_execz .LBB1227_207
.LBB1227_273:                           ;   in Loop: Header=BB1227_96 Depth=2
	global_load_b64 v[6:7], v[38:39], off offset:3840
	s_wait_alu 0xfffe
	s_or_b32 exec_lo, exec_lo, s34
	s_and_saveexec_b32 s34, vcc_lo
	s_cbranch_execz .LBB1227_208
.LBB1227_274:                           ;   in Loop: Header=BB1227_96 Depth=2
	ds_load_b64 v[38:39], v110 offset:1024
	s_wait_dscnt 0x0
	v_cmp_ne_u64_e64 s30, s[42:43], v[38:39]
	s_wait_alu 0xf1ff
	s_delay_alu instid0(VALU_DEP_1) | instskip(SKIP_1) | instid1(VALU_DEP_1)
	v_cndmask_b32_e64 v39, 0x80000000, v39, s30
	v_cndmask_b32_e64 v38, 0, v38, s30
	v_lshrrev_b64 v[38:39], s48, v[38:39]
	s_delay_alu instid0(VALU_DEP_1)
	v_and_b32_e32 v163, s57, v38
	s_wait_alu 0xfffe
	s_or_b32 exec_lo, exec_lo, s34
	s_and_saveexec_b32 s34, s15
	s_cbranch_execz .LBB1227_209
.LBB1227_275:                           ;   in Loop: Header=BB1227_96 Depth=2
	ds_load_b64 v[38:39], v110 offset:3072
	s_wait_dscnt 0x0
	v_cmp_ne_u64_e64 s30, s[42:43], v[38:39]
	s_wait_alu 0xf1ff
	s_delay_alu instid0(VALU_DEP_1) | instskip(SKIP_1) | instid1(VALU_DEP_1)
	v_cndmask_b32_e64 v39, 0x80000000, v39, s30
	v_cndmask_b32_e64 v38, 0, v38, s30
	v_lshrrev_b64 v[38:39], s48, v[38:39]
	s_delay_alu instid0(VALU_DEP_1)
	v_and_b32_e32 v162, s57, v38
	s_wait_alu 0xfffe
	s_or_b32 exec_lo, exec_lo, s34
	s_and_saveexec_b32 s34, s16
	s_cbranch_execz .LBB1227_210
.LBB1227_276:                           ;   in Loop: Header=BB1227_96 Depth=2
	ds_load_b64 v[38:39], v110 offset:5120
	s_wait_dscnt 0x0
	v_cmp_ne_u64_e64 s30, s[42:43], v[38:39]
	s_wait_alu 0xf1ff
	s_delay_alu instid0(VALU_DEP_1) | instskip(SKIP_1) | instid1(VALU_DEP_1)
	v_cndmask_b32_e64 v39, 0x80000000, v39, s30
	v_cndmask_b32_e64 v38, 0, v38, s30
	v_lshrrev_b64 v[38:39], s48, v[38:39]
	s_delay_alu instid0(VALU_DEP_1)
	v_and_b32_e32 v161, s57, v38
	s_wait_alu 0xfffe
	s_or_b32 exec_lo, exec_lo, s34
	s_and_saveexec_b32 s34, s17
	s_cbranch_execz .LBB1227_211
.LBB1227_277:                           ;   in Loop: Header=BB1227_96 Depth=2
	ds_load_b64 v[38:39], v110 offset:7168
	s_wait_dscnt 0x0
	v_cmp_ne_u64_e64 s30, s[42:43], v[38:39]
	s_wait_alu 0xf1ff
	s_delay_alu instid0(VALU_DEP_1) | instskip(SKIP_1) | instid1(VALU_DEP_1)
	v_cndmask_b32_e64 v39, 0x80000000, v39, s30
	v_cndmask_b32_e64 v38, 0, v38, s30
	v_lshrrev_b64 v[38:39], s48, v[38:39]
	s_delay_alu instid0(VALU_DEP_1)
	v_and_b32_e32 v160, s57, v38
	s_wait_alu 0xfffe
	s_or_b32 exec_lo, exec_lo, s34
	s_and_saveexec_b32 s34, s18
	s_cbranch_execz .LBB1227_212
.LBB1227_278:                           ;   in Loop: Header=BB1227_96 Depth=2
	ds_load_b64 v[38:39], v110 offset:9216
	s_wait_dscnt 0x0
	v_cmp_ne_u64_e64 s30, s[42:43], v[38:39]
	s_wait_alu 0xf1ff
	s_delay_alu instid0(VALU_DEP_1) | instskip(SKIP_1) | instid1(VALU_DEP_1)
	v_cndmask_b32_e64 v39, 0x80000000, v39, s30
	v_cndmask_b32_e64 v38, 0, v38, s30
	v_lshrrev_b64 v[38:39], s48, v[38:39]
	s_delay_alu instid0(VALU_DEP_1)
	v_and_b32_e32 v159, s57, v38
	s_wait_alu 0xfffe
	s_or_b32 exec_lo, exec_lo, s34
	s_and_saveexec_b32 s34, s19
	s_cbranch_execz .LBB1227_213
.LBB1227_279:                           ;   in Loop: Header=BB1227_96 Depth=2
	ds_load_b64 v[38:39], v110 offset:11264
	s_wait_dscnt 0x0
	v_cmp_ne_u64_e64 s30, s[42:43], v[38:39]
	s_wait_alu 0xf1ff
	s_delay_alu instid0(VALU_DEP_1) | instskip(SKIP_1) | instid1(VALU_DEP_1)
	v_cndmask_b32_e64 v39, 0x80000000, v39, s30
	v_cndmask_b32_e64 v38, 0, v38, s30
	v_lshrrev_b64 v[38:39], s48, v[38:39]
	s_delay_alu instid0(VALU_DEP_1)
	v_and_b32_e32 v158, s57, v38
	s_wait_alu 0xfffe
	s_or_b32 exec_lo, exec_lo, s34
	s_and_saveexec_b32 s34, s20
	s_cbranch_execz .LBB1227_214
.LBB1227_280:                           ;   in Loop: Header=BB1227_96 Depth=2
	ds_load_b64 v[38:39], v110 offset:13312
	s_wait_dscnt 0x0
	v_cmp_ne_u64_e64 s30, s[42:43], v[38:39]
	s_wait_alu 0xf1ff
	s_delay_alu instid0(VALU_DEP_1) | instskip(SKIP_1) | instid1(VALU_DEP_1)
	v_cndmask_b32_e64 v39, 0x80000000, v39, s30
	v_cndmask_b32_e64 v38, 0, v38, s30
	v_lshrrev_b64 v[38:39], s48, v[38:39]
	s_delay_alu instid0(VALU_DEP_1)
	v_and_b32_e32 v157, s57, v38
	s_wait_alu 0xfffe
	s_or_b32 exec_lo, exec_lo, s34
	s_and_saveexec_b32 s34, s21
	s_cbranch_execz .LBB1227_215
.LBB1227_281:                           ;   in Loop: Header=BB1227_96 Depth=2
	ds_load_b64 v[38:39], v110 offset:15360
	s_wait_dscnt 0x0
	v_cmp_ne_u64_e64 s30, s[42:43], v[38:39]
	s_wait_alu 0xf1ff
	s_delay_alu instid0(VALU_DEP_1) | instskip(SKIP_1) | instid1(VALU_DEP_1)
	v_cndmask_b32_e64 v39, 0x80000000, v39, s30
	v_cndmask_b32_e64 v38, 0, v38, s30
	v_lshrrev_b64 v[38:39], s48, v[38:39]
	s_delay_alu instid0(VALU_DEP_1)
	v_and_b32_e32 v156, s57, v38
	s_wait_alu 0xfffe
	s_or_b32 exec_lo, exec_lo, s34
	s_and_saveexec_b32 s34, s22
	s_cbranch_execz .LBB1227_216
.LBB1227_282:                           ;   in Loop: Header=BB1227_96 Depth=2
	ds_load_b64 v[38:39], v110 offset:17408
	s_wait_dscnt 0x0
	v_cmp_ne_u64_e64 s30, s[42:43], v[38:39]
	s_wait_alu 0xf1ff
	s_delay_alu instid0(VALU_DEP_1) | instskip(SKIP_1) | instid1(VALU_DEP_1)
	v_cndmask_b32_e64 v39, 0x80000000, v39, s30
	v_cndmask_b32_e64 v38, 0, v38, s30
	v_lshrrev_b64 v[38:39], s48, v[38:39]
	s_delay_alu instid0(VALU_DEP_1)
	v_and_b32_e32 v155, s57, v38
	s_wait_alu 0xfffe
	s_or_b32 exec_lo, exec_lo, s34
	s_and_saveexec_b32 s34, s23
	s_cbranch_execz .LBB1227_217
.LBB1227_283:                           ;   in Loop: Header=BB1227_96 Depth=2
	ds_load_b64 v[38:39], v110 offset:19456
	s_wait_dscnt 0x0
	v_cmp_ne_u64_e64 s30, s[42:43], v[38:39]
	s_wait_alu 0xf1ff
	s_delay_alu instid0(VALU_DEP_1) | instskip(SKIP_1) | instid1(VALU_DEP_1)
	v_cndmask_b32_e64 v39, 0x80000000, v39, s30
	v_cndmask_b32_e64 v38, 0, v38, s30
	v_lshrrev_b64 v[38:39], s48, v[38:39]
	s_delay_alu instid0(VALU_DEP_1)
	v_and_b32_e32 v154, s57, v38
	s_wait_alu 0xfffe
	s_or_b32 exec_lo, exec_lo, s34
	s_and_saveexec_b32 s34, s24
	s_cbranch_execz .LBB1227_218
.LBB1227_284:                           ;   in Loop: Header=BB1227_96 Depth=2
	ds_load_b64 v[38:39], v110 offset:21504
	s_wait_dscnt 0x0
	v_cmp_ne_u64_e64 s30, s[42:43], v[38:39]
	s_wait_alu 0xf1ff
	s_delay_alu instid0(VALU_DEP_1) | instskip(SKIP_1) | instid1(VALU_DEP_1)
	v_cndmask_b32_e64 v39, 0x80000000, v39, s30
	v_cndmask_b32_e64 v38, 0, v38, s30
	v_lshrrev_b64 v[38:39], s48, v[38:39]
	s_delay_alu instid0(VALU_DEP_1)
	v_and_b32_e32 v153, s57, v38
	s_wait_alu 0xfffe
	s_or_b32 exec_lo, exec_lo, s34
	s_and_saveexec_b32 s34, s25
	s_cbranch_execz .LBB1227_219
.LBB1227_285:                           ;   in Loop: Header=BB1227_96 Depth=2
	ds_load_b64 v[38:39], v110 offset:23552
	s_wait_dscnt 0x0
	v_cmp_ne_u64_e64 s30, s[42:43], v[38:39]
	s_wait_alu 0xf1ff
	s_delay_alu instid0(VALU_DEP_1) | instskip(SKIP_1) | instid1(VALU_DEP_1)
	v_cndmask_b32_e64 v39, 0x80000000, v39, s30
	v_cndmask_b32_e64 v38, 0, v38, s30
	v_lshrrev_b64 v[38:39], s48, v[38:39]
	s_delay_alu instid0(VALU_DEP_1)
	v_and_b32_e32 v152, s57, v38
	s_wait_alu 0xfffe
	s_or_b32 exec_lo, exec_lo, s34
	s_and_saveexec_b32 s34, s26
	s_cbranch_execz .LBB1227_220
.LBB1227_286:                           ;   in Loop: Header=BB1227_96 Depth=2
	ds_load_b64 v[38:39], v110 offset:25600
	s_wait_dscnt 0x0
	v_cmp_ne_u64_e64 s30, s[42:43], v[38:39]
	s_wait_alu 0xf1ff
	s_delay_alu instid0(VALU_DEP_1) | instskip(SKIP_1) | instid1(VALU_DEP_1)
	v_cndmask_b32_e64 v39, 0x80000000, v39, s30
	v_cndmask_b32_e64 v38, 0, v38, s30
	v_lshrrev_b64 v[38:39], s48, v[38:39]
	s_delay_alu instid0(VALU_DEP_1)
	v_and_b32_e32 v151, s57, v38
	s_wait_alu 0xfffe
	s_or_b32 exec_lo, exec_lo, s34
	s_and_saveexec_b32 s34, s27
	s_cbranch_execz .LBB1227_221
.LBB1227_287:                           ;   in Loop: Header=BB1227_96 Depth=2
	ds_load_b64 v[38:39], v110 offset:27648
	s_wait_dscnt 0x0
	v_cmp_ne_u64_e64 s30, s[42:43], v[38:39]
	s_wait_alu 0xf1ff
	s_delay_alu instid0(VALU_DEP_1) | instskip(SKIP_1) | instid1(VALU_DEP_1)
	v_cndmask_b32_e64 v39, 0x80000000, v39, s30
	v_cndmask_b32_e64 v38, 0, v38, s30
	v_lshrrev_b64 v[38:39], s48, v[38:39]
	s_delay_alu instid0(VALU_DEP_1)
	v_and_b32_e32 v150, s57, v38
	s_wait_alu 0xfffe
	s_or_b32 exec_lo, exec_lo, s34
	s_and_saveexec_b32 s34, s28
	s_cbranch_execz .LBB1227_222
.LBB1227_288:                           ;   in Loop: Header=BB1227_96 Depth=2
	ds_load_b64 v[38:39], v110 offset:29696
	s_wait_dscnt 0x0
	v_cmp_ne_u64_e64 s30, s[42:43], v[38:39]
	s_wait_alu 0xf1ff
	s_delay_alu instid0(VALU_DEP_1) | instskip(SKIP_1) | instid1(VALU_DEP_1)
	v_cndmask_b32_e64 v39, 0x80000000, v39, s30
	v_cndmask_b32_e64 v38, 0, v38, s30
	v_lshrrev_b64 v[38:39], s48, v[38:39]
	s_delay_alu instid0(VALU_DEP_1)
	v_and_b32_e32 v149, s57, v38
	s_wait_alu 0xfffe
	s_or_b32 exec_lo, exec_lo, s34
	s_and_saveexec_b32 s34, s29
	s_cbranch_execnz .LBB1227_223
	s_branch .LBB1227_224
.LBB1227_289:                           ;   in Loop: Header=BB1227_96 Depth=2
	v_lshlrev_b32_e32 v2, 2, v163
	ds_load_b32 v2, v2
	ds_load_b64 v[38:39], v110 offset:1024
	s_wait_dscnt 0x1
	v_add_nc_u32_e32 v2, v2, v1
	s_delay_alu instid0(VALU_DEP_1) | instskip(NEXT) | instid1(VALU_DEP_1)
	v_lshlrev_b64_e32 v[40:41], 3, v[2:3]
	v_add_co_u32 v40, vcc_lo, s44, v40
	s_wait_alu 0xfffd
	s_delay_alu instid0(VALU_DEP_2)
	v_add_co_ci_u32_e64 v41, null, s45, v41, vcc_lo
	s_wait_dscnt 0x0
	global_store_b64 v[40:41], v[38:39], off
	s_wait_alu 0xfffe
	s_or_b32 exec_lo, exec_lo, s30
	s_and_saveexec_b32 s30, s15
	s_cbranch_execz .LBB1227_226
.LBB1227_290:                           ;   in Loop: Header=BB1227_96 Depth=2
	v_lshlrev_b32_e32 v2, 2, v162
	ds_load_b32 v2, v2
	ds_load_b64 v[38:39], v110 offset:3072
	s_wait_dscnt 0x1
	v_add_nc_u32_e32 v2, v2, v79
	s_delay_alu instid0(VALU_DEP_1) | instskip(NEXT) | instid1(VALU_DEP_1)
	v_lshlrev_b64_e32 v[40:41], 3, v[2:3]
	v_add_co_u32 v40, vcc_lo, s44, v40
	s_wait_alu 0xfffd
	s_delay_alu instid0(VALU_DEP_2)
	v_add_co_ci_u32_e64 v41, null, s45, v41, vcc_lo
	s_wait_dscnt 0x0
	global_store_b64 v[40:41], v[38:39], off
	s_wait_alu 0xfffe
	s_or_b32 exec_lo, exec_lo, s30
	s_and_saveexec_b32 s15, s16
	s_cbranch_execz .LBB1227_227
.LBB1227_291:                           ;   in Loop: Header=BB1227_96 Depth=2
	v_lshlrev_b32_e32 v2, 2, v161
	ds_load_b32 v2, v2
	ds_load_b64 v[38:39], v110 offset:5120
	s_wait_dscnt 0x1
	v_add_nc_u32_e32 v2, v2, v80
	s_delay_alu instid0(VALU_DEP_1) | instskip(NEXT) | instid1(VALU_DEP_1)
	v_lshlrev_b64_e32 v[40:41], 3, v[2:3]
	v_add_co_u32 v40, vcc_lo, s44, v40
	s_wait_alu 0xfffd
	s_delay_alu instid0(VALU_DEP_2)
	v_add_co_ci_u32_e64 v41, null, s45, v41, vcc_lo
	s_wait_dscnt 0x0
	global_store_b64 v[40:41], v[38:39], off
	s_wait_alu 0xfffe
	s_or_b32 exec_lo, exec_lo, s15
	s_and_saveexec_b32 s15, s17
	s_cbranch_execz .LBB1227_228
.LBB1227_292:                           ;   in Loop: Header=BB1227_96 Depth=2
	v_lshlrev_b32_e32 v2, 2, v160
	ds_load_b32 v2, v2
	ds_load_b64 v[38:39], v110 offset:7168
	s_wait_dscnt 0x1
	v_add_nc_u32_e32 v2, v2, v81
	s_delay_alu instid0(VALU_DEP_1) | instskip(NEXT) | instid1(VALU_DEP_1)
	v_lshlrev_b64_e32 v[40:41], 3, v[2:3]
	v_add_co_u32 v40, vcc_lo, s44, v40
	s_wait_alu 0xfffd
	s_delay_alu instid0(VALU_DEP_2)
	v_add_co_ci_u32_e64 v41, null, s45, v41, vcc_lo
	s_wait_dscnt 0x0
	global_store_b64 v[40:41], v[38:39], off
	s_wait_alu 0xfffe
	s_or_b32 exec_lo, exec_lo, s15
	s_and_saveexec_b32 s15, s18
	s_cbranch_execz .LBB1227_229
.LBB1227_293:                           ;   in Loop: Header=BB1227_96 Depth=2
	v_lshlrev_b32_e32 v2, 2, v159
	ds_load_b32 v2, v2
	ds_load_b64 v[38:39], v110 offset:9216
	s_wait_dscnt 0x1
	v_add_nc_u32_e32 v2, v2, v84
	s_delay_alu instid0(VALU_DEP_1) | instskip(NEXT) | instid1(VALU_DEP_1)
	v_lshlrev_b64_e32 v[40:41], 3, v[2:3]
	v_add_co_u32 v40, vcc_lo, s44, v40
	s_wait_alu 0xfffd
	s_delay_alu instid0(VALU_DEP_2)
	v_add_co_ci_u32_e64 v41, null, s45, v41, vcc_lo
	s_wait_dscnt 0x0
	global_store_b64 v[40:41], v[38:39], off
	s_wait_alu 0xfffe
	s_or_b32 exec_lo, exec_lo, s15
	s_and_saveexec_b32 s15, s19
	s_cbranch_execz .LBB1227_230
.LBB1227_294:                           ;   in Loop: Header=BB1227_96 Depth=2
	v_lshlrev_b32_e32 v2, 2, v158
	ds_load_b32 v2, v2
	ds_load_b64 v[38:39], v110 offset:11264
	s_wait_dscnt 0x1
	v_add_nc_u32_e32 v2, v2, v85
	s_delay_alu instid0(VALU_DEP_1) | instskip(NEXT) | instid1(VALU_DEP_1)
	v_lshlrev_b64_e32 v[40:41], 3, v[2:3]
	v_add_co_u32 v40, vcc_lo, s44, v40
	s_wait_alu 0xfffd
	s_delay_alu instid0(VALU_DEP_2)
	v_add_co_ci_u32_e64 v41, null, s45, v41, vcc_lo
	s_wait_dscnt 0x0
	global_store_b64 v[40:41], v[38:39], off
	s_wait_alu 0xfffe
	s_or_b32 exec_lo, exec_lo, s15
	s_and_saveexec_b32 s15, s20
	s_cbranch_execz .LBB1227_231
.LBB1227_295:                           ;   in Loop: Header=BB1227_96 Depth=2
	v_lshlrev_b32_e32 v2, 2, v157
	ds_load_b32 v2, v2
	ds_load_b64 v[38:39], v110 offset:13312
	s_wait_dscnt 0x1
	v_add_nc_u32_e32 v2, v2, v86
	s_delay_alu instid0(VALU_DEP_1) | instskip(NEXT) | instid1(VALU_DEP_1)
	v_lshlrev_b64_e32 v[40:41], 3, v[2:3]
	v_add_co_u32 v40, vcc_lo, s44, v40
	s_wait_alu 0xfffd
	s_delay_alu instid0(VALU_DEP_2)
	v_add_co_ci_u32_e64 v41, null, s45, v41, vcc_lo
	s_wait_dscnt 0x0
	global_store_b64 v[40:41], v[38:39], off
	s_wait_alu 0xfffe
	s_or_b32 exec_lo, exec_lo, s15
	s_and_saveexec_b32 s15, s21
	s_cbranch_execz .LBB1227_232
.LBB1227_296:                           ;   in Loop: Header=BB1227_96 Depth=2
	v_lshlrev_b32_e32 v2, 2, v156
	ds_load_b32 v2, v2
	ds_load_b64 v[38:39], v110 offset:15360
	s_wait_dscnt 0x1
	v_add_nc_u32_e32 v2, v2, v87
	s_delay_alu instid0(VALU_DEP_1) | instskip(NEXT) | instid1(VALU_DEP_1)
	v_lshlrev_b64_e32 v[40:41], 3, v[2:3]
	v_add_co_u32 v40, vcc_lo, s44, v40
	s_wait_alu 0xfffd
	s_delay_alu instid0(VALU_DEP_2)
	v_add_co_ci_u32_e64 v41, null, s45, v41, vcc_lo
	s_wait_dscnt 0x0
	global_store_b64 v[40:41], v[38:39], off
	s_wait_alu 0xfffe
	s_or_b32 exec_lo, exec_lo, s15
	s_and_saveexec_b32 s15, s22
	s_cbranch_execz .LBB1227_233
.LBB1227_297:                           ;   in Loop: Header=BB1227_96 Depth=2
	v_lshlrev_b32_e32 v2, 2, v155
	ds_load_b32 v2, v2
	ds_load_b64 v[38:39], v110 offset:17408
	s_wait_dscnt 0x1
	v_add_nc_u32_e32 v2, v2, v88
	s_delay_alu instid0(VALU_DEP_1) | instskip(NEXT) | instid1(VALU_DEP_1)
	v_lshlrev_b64_e32 v[40:41], 3, v[2:3]
	v_add_co_u32 v40, vcc_lo, s44, v40
	s_wait_alu 0xfffd
	s_delay_alu instid0(VALU_DEP_2)
	v_add_co_ci_u32_e64 v41, null, s45, v41, vcc_lo
	s_wait_dscnt 0x0
	global_store_b64 v[40:41], v[38:39], off
	s_wait_alu 0xfffe
	s_or_b32 exec_lo, exec_lo, s15
	s_and_saveexec_b32 s15, s23
	s_cbranch_execz .LBB1227_234
.LBB1227_298:                           ;   in Loop: Header=BB1227_96 Depth=2
	v_lshlrev_b32_e32 v2, 2, v154
	ds_load_b32 v2, v2
	ds_load_b64 v[38:39], v110 offset:19456
	s_wait_dscnt 0x1
	v_add_nc_u32_e32 v2, v2, v89
	s_delay_alu instid0(VALU_DEP_1) | instskip(NEXT) | instid1(VALU_DEP_1)
	v_lshlrev_b64_e32 v[40:41], 3, v[2:3]
	v_add_co_u32 v40, vcc_lo, s44, v40
	s_wait_alu 0xfffd
	s_delay_alu instid0(VALU_DEP_2)
	v_add_co_ci_u32_e64 v41, null, s45, v41, vcc_lo
	s_wait_dscnt 0x0
	global_store_b64 v[40:41], v[38:39], off
	s_wait_alu 0xfffe
	s_or_b32 exec_lo, exec_lo, s15
	s_and_saveexec_b32 s15, s24
	s_cbranch_execz .LBB1227_235
.LBB1227_299:                           ;   in Loop: Header=BB1227_96 Depth=2
	v_lshlrev_b32_e32 v2, 2, v153
	ds_load_b32 v2, v2
	ds_load_b64 v[38:39], v110 offset:21504
	s_wait_dscnt 0x1
	v_add_nc_u32_e32 v2, v2, v90
	s_delay_alu instid0(VALU_DEP_1) | instskip(NEXT) | instid1(VALU_DEP_1)
	v_lshlrev_b64_e32 v[40:41], 3, v[2:3]
	v_add_co_u32 v40, vcc_lo, s44, v40
	s_wait_alu 0xfffd
	s_delay_alu instid0(VALU_DEP_2)
	v_add_co_ci_u32_e64 v41, null, s45, v41, vcc_lo
	s_wait_dscnt 0x0
	global_store_b64 v[40:41], v[38:39], off
	s_wait_alu 0xfffe
	s_or_b32 exec_lo, exec_lo, s15
	s_and_saveexec_b32 s15, s25
	s_cbranch_execz .LBB1227_236
.LBB1227_300:                           ;   in Loop: Header=BB1227_96 Depth=2
	v_lshlrev_b32_e32 v2, 2, v152
	ds_load_b32 v2, v2
	ds_load_b64 v[38:39], v110 offset:23552
	s_wait_dscnt 0x1
	v_add_nc_u32_e32 v2, v2, v91
	s_delay_alu instid0(VALU_DEP_1) | instskip(NEXT) | instid1(VALU_DEP_1)
	v_lshlrev_b64_e32 v[40:41], 3, v[2:3]
	v_add_co_u32 v40, vcc_lo, s44, v40
	s_wait_alu 0xfffd
	s_delay_alu instid0(VALU_DEP_2)
	v_add_co_ci_u32_e64 v41, null, s45, v41, vcc_lo
	s_wait_dscnt 0x0
	global_store_b64 v[40:41], v[38:39], off
	s_wait_alu 0xfffe
	s_or_b32 exec_lo, exec_lo, s15
	s_and_saveexec_b32 s15, s26
	s_cbranch_execz .LBB1227_237
.LBB1227_301:                           ;   in Loop: Header=BB1227_96 Depth=2
	v_lshlrev_b32_e32 v2, 2, v151
	ds_load_b32 v2, v2
	ds_load_b64 v[38:39], v110 offset:25600
	s_wait_dscnt 0x1
	v_add_nc_u32_e32 v2, v2, v92
	s_delay_alu instid0(VALU_DEP_1) | instskip(NEXT) | instid1(VALU_DEP_1)
	v_lshlrev_b64_e32 v[40:41], 3, v[2:3]
	v_add_co_u32 v40, vcc_lo, s44, v40
	s_wait_alu 0xfffd
	s_delay_alu instid0(VALU_DEP_2)
	v_add_co_ci_u32_e64 v41, null, s45, v41, vcc_lo
	s_wait_dscnt 0x0
	global_store_b64 v[40:41], v[38:39], off
	s_wait_alu 0xfffe
	s_or_b32 exec_lo, exec_lo, s15
	s_and_saveexec_b32 s15, s27
	s_cbranch_execz .LBB1227_238
.LBB1227_302:                           ;   in Loop: Header=BB1227_96 Depth=2
	v_lshlrev_b32_e32 v2, 2, v150
	ds_load_b32 v2, v2
	ds_load_b64 v[38:39], v110 offset:27648
	s_wait_dscnt 0x1
	v_add_nc_u32_e32 v2, v2, v93
	s_delay_alu instid0(VALU_DEP_1) | instskip(NEXT) | instid1(VALU_DEP_1)
	v_lshlrev_b64_e32 v[40:41], 3, v[2:3]
	v_add_co_u32 v40, vcc_lo, s44, v40
	s_wait_alu 0xfffd
	s_delay_alu instid0(VALU_DEP_2)
	v_add_co_ci_u32_e64 v41, null, s45, v41, vcc_lo
	s_wait_dscnt 0x0
	global_store_b64 v[40:41], v[38:39], off
	s_wait_alu 0xfffe
	s_or_b32 exec_lo, exec_lo, s15
	s_and_saveexec_b32 s15, s28
	s_cbranch_execz .LBB1227_239
.LBB1227_303:                           ;   in Loop: Header=BB1227_96 Depth=2
	v_lshlrev_b32_e32 v2, 2, v149
	ds_load_b32 v2, v2
	ds_load_b64 v[38:39], v110 offset:29696
	s_wait_dscnt 0x1
	v_add_nc_u32_e32 v2, v2, v94
	s_delay_alu instid0(VALU_DEP_1) | instskip(NEXT) | instid1(VALU_DEP_1)
	v_lshlrev_b64_e32 v[40:41], 3, v[2:3]
	v_add_co_u32 v40, vcc_lo, s44, v40
	s_wait_alu 0xfffd
	s_delay_alu instid0(VALU_DEP_2)
	v_add_co_ci_u32_e64 v41, null, s45, v41, vcc_lo
	s_wait_dscnt 0x0
	global_store_b64 v[40:41], v[38:39], off
	s_wait_alu 0xfffe
	s_or_b32 exec_lo, exec_lo, s15
	s_and_saveexec_b32 s15, s29
	s_cbranch_execnz .LBB1227_240
	s_branch .LBB1227_241
.LBB1227_304:                           ;   in Loop: Header=BB1227_12 Depth=1
	s_wait_loadcnt_dscnt 0x0
	s_barrier_signal -1
	s_mov_b32 s6, 0
	s_barrier_wait -1
.LBB1227_305:                           ;   in Loop: Header=BB1227_12 Depth=1
	s_wait_alu 0xfffe
	s_and_b32 vcc_lo, exec_lo, s6
	s_wait_alu 0xfffe
	s_cbranch_vccz .LBB1227_597
; %bb.306:                              ;   in Loop: Header=BB1227_12 Depth=1
	s_mov_b32 s8, s55
	s_mov_b32 s34, s33
	s_barrier_signal -1
	s_barrier_wait -1
	global_inv scope:SCOPE_SE
                                        ; implicit-def: $vgpr6_vgpr7
                                        ; implicit-def: $vgpr8_vgpr9
                                        ; implicit-def: $vgpr10_vgpr11
                                        ; implicit-def: $vgpr12_vgpr13
                                        ; implicit-def: $vgpr14_vgpr15
                                        ; implicit-def: $vgpr16_vgpr17
                                        ; implicit-def: $vgpr18_vgpr19
                                        ; implicit-def: $vgpr20_vgpr21
                                        ; implicit-def: $vgpr22_vgpr23
                                        ; implicit-def: $vgpr24_vgpr25
                                        ; implicit-def: $vgpr26_vgpr27
                                        ; implicit-def: $vgpr28_vgpr29
                                        ; implicit-def: $vgpr30_vgpr31
                                        ; implicit-def: $vgpr32_vgpr33
                                        ; implicit-def: $vgpr34_vgpr35
                                        ; implicit-def: $vgpr36_vgpr37
	s_branch .LBB1227_308
.LBB1227_307:                           ;   in Loop: Header=BB1227_308 Depth=2
	s_wait_alu 0xfffe
	s_or_b32 exec_lo, exec_lo, s6
	s_addk_co_i32 s8, 0xf000
	s_cmp_ge_u32 s9, s51
	s_mov_b32 s34, s9
	s_cbranch_scc1 .LBB1227_376
.LBB1227_308:                           ;   Parent Loop BB1227_12 Depth=1
                                        ; =>  This Inner Loop Header: Depth=2
	s_wait_alu 0xfffe
	s_add_co_i32 s9, s34, 0x1000
	s_mov_b32 s6, -1
	s_wait_alu 0xfffe
	s_cmp_gt_u32 s9, s51
                                        ; implicit-def: $vgpr38_vgpr39
                                        ; implicit-def: $vgpr40_vgpr41
                                        ; implicit-def: $vgpr42_vgpr43
                                        ; implicit-def: $vgpr44_vgpr45
                                        ; implicit-def: $vgpr46_vgpr47
                                        ; implicit-def: $vgpr48_vgpr49
                                        ; implicit-def: $vgpr50_vgpr51
                                        ; implicit-def: $vgpr52_vgpr53
                                        ; implicit-def: $vgpr54_vgpr55
                                        ; implicit-def: $vgpr56_vgpr57
                                        ; implicit-def: $vgpr58_vgpr59
                                        ; implicit-def: $vgpr60_vgpr61
                                        ; implicit-def: $vgpr62_vgpr63
                                        ; implicit-def: $vgpr64_vgpr65
                                        ; implicit-def: $vgpr66_vgpr67
                                        ; implicit-def: $vgpr68_vgpr69
	s_cbranch_scc1 .LBB1227_310
; %bb.309:                              ;   in Loop: Header=BB1227_308 Depth=2
	s_lshl_b64 s[6:7], s[34:35], 3
	s_wait_alu 0xfffe
	v_add_co_u32 v68, vcc_lo, v111, s6
	s_wait_alu 0xfffd
	v_add_co_ci_u32_e64 v69, null, s7, v112, vcc_lo
	s_mov_b32 s6, 0
	s_clause 0xf
	global_load_b64 v[38:39], v[68:69], off
	global_load_b64 v[40:41], v[68:69], off offset:2048
	global_load_b64 v[42:43], v[68:69], off offset:4096
	;; [unrolled: 1-line block ×15, first 2 shown]
.LBB1227_310:                           ;   in Loop: Header=BB1227_308 Depth=2
	s_wait_alu 0xfffe
	s_and_not1_b32 vcc_lo, exec_lo, s6
	s_movk_i32 s6, 0x1000
	s_wait_alu 0xfffe
	s_cbranch_vccnz .LBB1227_329
; %bb.311:                              ;   in Loop: Header=BB1227_308 Depth=2
	s_lshl_b64 s[6:7], s[34:35], 3
	s_mov_b32 s10, exec_lo
	s_wait_alu 0xfffe
	s_add_nc_u64 s[6:7], s[38:39], s[6:7]
	v_cmpx_gt_u32_e64 s8, v1
	s_cbranch_execnz .LBB1227_361
; %bb.312:                              ;   in Loop: Header=BB1227_308 Depth=2
	s_or_b32 exec_lo, exec_lo, s10
	s_delay_alu instid0(SALU_CYCLE_1)
	s_mov_b32 s10, exec_lo
	v_cmpx_gt_u32_e64 s8, v79
	s_cbranch_execnz .LBB1227_362
.LBB1227_313:                           ;   in Loop: Header=BB1227_308 Depth=2
	s_wait_alu 0xfffe
	s_or_b32 exec_lo, exec_lo, s10
	s_delay_alu instid0(SALU_CYCLE_1)
	s_mov_b32 s10, exec_lo
	v_cmpx_gt_u32_e64 s8, v80
	s_cbranch_execnz .LBB1227_363
.LBB1227_314:                           ;   in Loop: Header=BB1227_308 Depth=2
	s_wait_alu 0xfffe
	s_or_b32 exec_lo, exec_lo, s10
	s_delay_alu instid0(SALU_CYCLE_1)
	s_mov_b32 s10, exec_lo
	v_cmpx_gt_u32_e64 s8, v81
	s_cbranch_execnz .LBB1227_364
.LBB1227_315:                           ;   in Loop: Header=BB1227_308 Depth=2
	s_wait_alu 0xfffe
	s_or_b32 exec_lo, exec_lo, s10
	s_delay_alu instid0(SALU_CYCLE_1)
	s_mov_b32 s10, exec_lo
	v_cmpx_gt_u32_e64 s8, v84
	s_cbranch_execnz .LBB1227_365
.LBB1227_316:                           ;   in Loop: Header=BB1227_308 Depth=2
	s_wait_alu 0xfffe
	s_or_b32 exec_lo, exec_lo, s10
	s_delay_alu instid0(SALU_CYCLE_1)
	s_mov_b32 s10, exec_lo
	v_cmpx_gt_u32_e64 s8, v85
	s_cbranch_execnz .LBB1227_366
.LBB1227_317:                           ;   in Loop: Header=BB1227_308 Depth=2
	s_wait_alu 0xfffe
	s_or_b32 exec_lo, exec_lo, s10
	s_delay_alu instid0(SALU_CYCLE_1)
	s_mov_b32 s10, exec_lo
	v_cmpx_gt_u32_e64 s8, v86
	s_cbranch_execnz .LBB1227_367
.LBB1227_318:                           ;   in Loop: Header=BB1227_308 Depth=2
	s_wait_alu 0xfffe
	s_or_b32 exec_lo, exec_lo, s10
	s_delay_alu instid0(SALU_CYCLE_1)
	s_mov_b32 s10, exec_lo
	v_cmpx_gt_u32_e64 s8, v87
	s_cbranch_execnz .LBB1227_368
.LBB1227_319:                           ;   in Loop: Header=BB1227_308 Depth=2
	s_wait_alu 0xfffe
	s_or_b32 exec_lo, exec_lo, s10
	s_delay_alu instid0(SALU_CYCLE_1)
	s_mov_b32 s10, exec_lo
	v_cmpx_gt_u32_e64 s8, v88
	s_cbranch_execnz .LBB1227_369
.LBB1227_320:                           ;   in Loop: Header=BB1227_308 Depth=2
	s_wait_alu 0xfffe
	s_or_b32 exec_lo, exec_lo, s10
	s_delay_alu instid0(SALU_CYCLE_1)
	s_mov_b32 s10, exec_lo
	v_cmpx_gt_u32_e64 s8, v89
	s_cbranch_execnz .LBB1227_370
.LBB1227_321:                           ;   in Loop: Header=BB1227_308 Depth=2
	s_wait_alu 0xfffe
	s_or_b32 exec_lo, exec_lo, s10
	s_delay_alu instid0(SALU_CYCLE_1)
	s_mov_b32 s10, exec_lo
	v_cmpx_gt_u32_e64 s8, v90
	s_cbranch_execnz .LBB1227_371
.LBB1227_322:                           ;   in Loop: Header=BB1227_308 Depth=2
	s_wait_alu 0xfffe
	s_or_b32 exec_lo, exec_lo, s10
	s_delay_alu instid0(SALU_CYCLE_1)
	s_mov_b32 s10, exec_lo
	v_cmpx_gt_u32_e64 s8, v91
	s_cbranch_execnz .LBB1227_372
.LBB1227_323:                           ;   in Loop: Header=BB1227_308 Depth=2
	s_wait_alu 0xfffe
	s_or_b32 exec_lo, exec_lo, s10
	s_delay_alu instid0(SALU_CYCLE_1)
	s_mov_b32 s10, exec_lo
	v_cmpx_gt_u32_e64 s8, v92
	s_cbranch_execnz .LBB1227_373
.LBB1227_324:                           ;   in Loop: Header=BB1227_308 Depth=2
	s_wait_alu 0xfffe
	s_or_b32 exec_lo, exec_lo, s10
	s_delay_alu instid0(SALU_CYCLE_1)
	s_mov_b32 s10, exec_lo
	v_cmpx_gt_u32_e64 s8, v93
	s_cbranch_execnz .LBB1227_374
.LBB1227_325:                           ;   in Loop: Header=BB1227_308 Depth=2
	s_wait_alu 0xfffe
	s_or_b32 exec_lo, exec_lo, s10
	s_delay_alu instid0(SALU_CYCLE_1)
	s_mov_b32 s10, exec_lo
	v_cmpx_gt_u32_e64 s8, v94
	s_cbranch_execnz .LBB1227_375
.LBB1227_326:                           ;   in Loop: Header=BB1227_308 Depth=2
	s_wait_alu 0xfffe
	s_or_b32 exec_lo, exec_lo, s10
	s_delay_alu instid0(SALU_CYCLE_1)
	s_mov_b32 s10, exec_lo
	v_cmpx_gt_u32_e64 s8, v95
	s_cbranch_execz .LBB1227_328
.LBB1227_327:                           ;   in Loop: Header=BB1227_308 Depth=2
	global_load_b64 v[6:7], v124, s[6:7] offset:30720
.LBB1227_328:                           ;   in Loop: Header=BB1227_308 Depth=2
	s_wait_alu 0xfffe
	s_or_b32 exec_lo, exec_lo, s10
	s_wait_loadcnt 0x0
	v_dual_mov_b32 v39, v37 :: v_dual_mov_b32 v38, v36
	v_dual_mov_b32 v41, v35 :: v_dual_mov_b32 v40, v34
	;; [unrolled: 1-line block ×16, first 2 shown]
	s_mov_b32 s6, s8
.LBB1227_329:                           ;   in Loop: Header=BB1227_308 Depth=2
	s_wait_loadcnt 0x0
	s_delay_alu instid0(VALU_DEP_1)
	v_dual_mov_b32 v6, v68 :: v_dual_mov_b32 v7, v69
	v_dual_mov_b32 v8, v66 :: v_dual_mov_b32 v9, v67
	;; [unrolled: 1-line block ×16, first 2 shown]
	s_mov_b32 s7, exec_lo
	s_wait_alu 0xfffe
	v_cmpx_gt_u32_e64 s6, v1
	s_cbranch_execnz .LBB1227_345
; %bb.330:                              ;   in Loop: Header=BB1227_308 Depth=2
	s_or_b32 exec_lo, exec_lo, s7
	s_delay_alu instid0(SALU_CYCLE_1)
	s_mov_b32 s7, exec_lo
	v_cmpx_gt_u32_e64 s6, v79
	s_cbranch_execnz .LBB1227_346
.LBB1227_331:                           ;   in Loop: Header=BB1227_308 Depth=2
	s_wait_alu 0xfffe
	s_or_b32 exec_lo, exec_lo, s7
	s_delay_alu instid0(SALU_CYCLE_1)
	s_mov_b32 s7, exec_lo
	v_cmpx_gt_u32_e64 s6, v80
	s_cbranch_execnz .LBB1227_347
.LBB1227_332:                           ;   in Loop: Header=BB1227_308 Depth=2
	s_wait_alu 0xfffe
	s_or_b32 exec_lo, exec_lo, s7
	s_delay_alu instid0(SALU_CYCLE_1)
	s_mov_b32 s7, exec_lo
	v_cmpx_gt_u32_e64 s6, v81
	s_cbranch_execnz .LBB1227_348
.LBB1227_333:                           ;   in Loop: Header=BB1227_308 Depth=2
	s_wait_alu 0xfffe
	s_or_b32 exec_lo, exec_lo, s7
	s_delay_alu instid0(SALU_CYCLE_1)
	s_mov_b32 s7, exec_lo
	v_cmpx_gt_u32_e64 s6, v84
	s_cbranch_execnz .LBB1227_349
.LBB1227_334:                           ;   in Loop: Header=BB1227_308 Depth=2
	s_wait_alu 0xfffe
	s_or_b32 exec_lo, exec_lo, s7
	s_delay_alu instid0(SALU_CYCLE_1)
	s_mov_b32 s7, exec_lo
	v_cmpx_gt_u32_e64 s6, v85
	s_cbranch_execnz .LBB1227_350
.LBB1227_335:                           ;   in Loop: Header=BB1227_308 Depth=2
	s_wait_alu 0xfffe
	s_or_b32 exec_lo, exec_lo, s7
	s_delay_alu instid0(SALU_CYCLE_1)
	s_mov_b32 s7, exec_lo
	v_cmpx_gt_u32_e64 s6, v86
	s_cbranch_execnz .LBB1227_351
.LBB1227_336:                           ;   in Loop: Header=BB1227_308 Depth=2
	s_wait_alu 0xfffe
	s_or_b32 exec_lo, exec_lo, s7
	s_delay_alu instid0(SALU_CYCLE_1)
	s_mov_b32 s7, exec_lo
	v_cmpx_gt_u32_e64 s6, v87
	s_cbranch_execnz .LBB1227_352
.LBB1227_337:                           ;   in Loop: Header=BB1227_308 Depth=2
	s_wait_alu 0xfffe
	s_or_b32 exec_lo, exec_lo, s7
	s_delay_alu instid0(SALU_CYCLE_1)
	s_mov_b32 s7, exec_lo
	v_cmpx_gt_u32_e64 s6, v88
	s_cbranch_execnz .LBB1227_353
.LBB1227_338:                           ;   in Loop: Header=BB1227_308 Depth=2
	s_wait_alu 0xfffe
	s_or_b32 exec_lo, exec_lo, s7
	s_delay_alu instid0(SALU_CYCLE_1)
	s_mov_b32 s7, exec_lo
	v_cmpx_gt_u32_e64 s6, v89
	s_cbranch_execnz .LBB1227_354
.LBB1227_339:                           ;   in Loop: Header=BB1227_308 Depth=2
	s_wait_alu 0xfffe
	s_or_b32 exec_lo, exec_lo, s7
	s_delay_alu instid0(SALU_CYCLE_1)
	s_mov_b32 s7, exec_lo
	v_cmpx_gt_u32_e64 s6, v90
	s_cbranch_execnz .LBB1227_355
.LBB1227_340:                           ;   in Loop: Header=BB1227_308 Depth=2
	s_wait_alu 0xfffe
	s_or_b32 exec_lo, exec_lo, s7
	s_delay_alu instid0(SALU_CYCLE_1)
	s_mov_b32 s7, exec_lo
	v_cmpx_gt_u32_e64 s6, v91
	s_cbranch_execnz .LBB1227_356
.LBB1227_341:                           ;   in Loop: Header=BB1227_308 Depth=2
	s_wait_alu 0xfffe
	s_or_b32 exec_lo, exec_lo, s7
	s_delay_alu instid0(SALU_CYCLE_1)
	s_mov_b32 s7, exec_lo
	v_cmpx_gt_u32_e64 s6, v92
	s_cbranch_execnz .LBB1227_357
.LBB1227_342:                           ;   in Loop: Header=BB1227_308 Depth=2
	s_wait_alu 0xfffe
	s_or_b32 exec_lo, exec_lo, s7
	s_delay_alu instid0(SALU_CYCLE_1)
	s_mov_b32 s7, exec_lo
	v_cmpx_gt_u32_e64 s6, v93
	s_cbranch_execnz .LBB1227_358
.LBB1227_343:                           ;   in Loop: Header=BB1227_308 Depth=2
	s_wait_alu 0xfffe
	s_or_b32 exec_lo, exec_lo, s7
	s_delay_alu instid0(SALU_CYCLE_1)
	s_mov_b32 s7, exec_lo
	v_cmpx_gt_u32_e64 s6, v94
	s_cbranch_execnz .LBB1227_359
.LBB1227_344:                           ;   in Loop: Header=BB1227_308 Depth=2
	s_wait_alu 0xfffe
	s_or_b32 exec_lo, exec_lo, s7
	v_cmp_gt_u32_e32 vcc_lo, s6, v95
	s_and_saveexec_b32 s6, vcc_lo
	s_cbranch_execz .LBB1227_307
	s_branch .LBB1227_360
.LBB1227_345:                           ;   in Loop: Header=BB1227_308 Depth=2
	v_cmp_lt_i64_e32 vcc_lo, -1, v[36:37]
	v_ashrrev_i32_e32 v38, 31, v37
	s_delay_alu instid0(VALU_DEP_1) | instskip(SKIP_2) | instid1(VALU_DEP_1)
	v_xor_b32_e32 v38, v38, v36
	s_wait_alu 0xfffd
	v_cndmask_b32_e64 v2, -1, 0x80000000, vcc_lo
	v_xor_b32_e32 v39, v2, v37
	s_delay_alu instid0(VALU_DEP_1) | instskip(SKIP_3) | instid1(VALU_DEP_1)
	v_cmp_ne_u64_e32 vcc_lo, s[42:43], v[38:39]
	s_wait_alu 0xfffd
	v_cndmask_b32_e32 v39, 0x80000000, v39, vcc_lo
	v_cndmask_b32_e32 v38, 0, v38, vcc_lo
	v_lshrrev_b64 v[38:39], s48, v[38:39]
	s_delay_alu instid0(VALU_DEP_1) | instskip(NEXT) | instid1(VALU_DEP_1)
	v_and_b32_e32 v2, s57, v38
	v_lshl_or_b32 v2, v2, 4, v96
	ds_add_u32 v2, v123
	s_or_b32 exec_lo, exec_lo, s7
	s_delay_alu instid0(SALU_CYCLE_1)
	s_mov_b32 s7, exec_lo
	v_cmpx_gt_u32_e64 s6, v79
	s_cbranch_execz .LBB1227_331
.LBB1227_346:                           ;   in Loop: Header=BB1227_308 Depth=2
	v_cmp_lt_i64_e32 vcc_lo, -1, v[34:35]
	v_ashrrev_i32_e32 v38, 31, v35
	s_delay_alu instid0(VALU_DEP_1) | instskip(SKIP_2) | instid1(VALU_DEP_1)
	v_xor_b32_e32 v38, v38, v34
	s_wait_alu 0xfffd
	v_cndmask_b32_e64 v2, -1, 0x80000000, vcc_lo
	v_xor_b32_e32 v39, v2, v35
	s_delay_alu instid0(VALU_DEP_1) | instskip(SKIP_3) | instid1(VALU_DEP_1)
	v_cmp_ne_u64_e32 vcc_lo, s[42:43], v[38:39]
	s_wait_alu 0xfffd
	v_cndmask_b32_e32 v39, 0x80000000, v39, vcc_lo
	v_cndmask_b32_e32 v38, 0, v38, vcc_lo
	v_lshrrev_b64 v[38:39], s48, v[38:39]
	s_delay_alu instid0(VALU_DEP_1) | instskip(NEXT) | instid1(VALU_DEP_1)
	v_and_b32_e32 v2, s57, v38
	v_lshl_or_b32 v2, v2, 4, v96
	ds_add_u32 v2, v123
	s_wait_alu 0xfffe
	s_or_b32 exec_lo, exec_lo, s7
	s_delay_alu instid0(SALU_CYCLE_1)
	s_mov_b32 s7, exec_lo
	v_cmpx_gt_u32_e64 s6, v80
	s_cbranch_execz .LBB1227_332
.LBB1227_347:                           ;   in Loop: Header=BB1227_308 Depth=2
	v_cmp_lt_i64_e32 vcc_lo, -1, v[32:33]
	v_ashrrev_i32_e32 v38, 31, v33
	s_delay_alu instid0(VALU_DEP_1) | instskip(SKIP_2) | instid1(VALU_DEP_1)
	v_xor_b32_e32 v38, v38, v32
	s_wait_alu 0xfffd
	v_cndmask_b32_e64 v2, -1, 0x80000000, vcc_lo
	v_xor_b32_e32 v39, v2, v33
	s_delay_alu instid0(VALU_DEP_1) | instskip(SKIP_3) | instid1(VALU_DEP_1)
	v_cmp_ne_u64_e32 vcc_lo, s[42:43], v[38:39]
	s_wait_alu 0xfffd
	v_cndmask_b32_e32 v39, 0x80000000, v39, vcc_lo
	v_cndmask_b32_e32 v38, 0, v38, vcc_lo
	v_lshrrev_b64 v[38:39], s48, v[38:39]
	s_delay_alu instid0(VALU_DEP_1) | instskip(NEXT) | instid1(VALU_DEP_1)
	v_and_b32_e32 v2, s57, v38
	v_lshl_or_b32 v2, v2, 4, v96
	ds_add_u32 v2, v123
	s_wait_alu 0xfffe
	s_or_b32 exec_lo, exec_lo, s7
	s_delay_alu instid0(SALU_CYCLE_1)
	s_mov_b32 s7, exec_lo
	v_cmpx_gt_u32_e64 s6, v81
	s_cbranch_execz .LBB1227_333
.LBB1227_348:                           ;   in Loop: Header=BB1227_308 Depth=2
	v_cmp_lt_i64_e32 vcc_lo, -1, v[30:31]
	v_ashrrev_i32_e32 v38, 31, v31
	s_delay_alu instid0(VALU_DEP_1) | instskip(SKIP_2) | instid1(VALU_DEP_1)
	v_xor_b32_e32 v38, v38, v30
	s_wait_alu 0xfffd
	v_cndmask_b32_e64 v2, -1, 0x80000000, vcc_lo
	v_xor_b32_e32 v39, v2, v31
	s_delay_alu instid0(VALU_DEP_1) | instskip(SKIP_3) | instid1(VALU_DEP_1)
	v_cmp_ne_u64_e32 vcc_lo, s[42:43], v[38:39]
	s_wait_alu 0xfffd
	v_cndmask_b32_e32 v39, 0x80000000, v39, vcc_lo
	v_cndmask_b32_e32 v38, 0, v38, vcc_lo
	v_lshrrev_b64 v[38:39], s48, v[38:39]
	s_delay_alu instid0(VALU_DEP_1) | instskip(NEXT) | instid1(VALU_DEP_1)
	v_and_b32_e32 v2, s57, v38
	v_lshl_or_b32 v2, v2, 4, v96
	ds_add_u32 v2, v123
	s_wait_alu 0xfffe
	s_or_b32 exec_lo, exec_lo, s7
	s_delay_alu instid0(SALU_CYCLE_1)
	s_mov_b32 s7, exec_lo
	v_cmpx_gt_u32_e64 s6, v84
	s_cbranch_execz .LBB1227_334
.LBB1227_349:                           ;   in Loop: Header=BB1227_308 Depth=2
	v_cmp_lt_i64_e32 vcc_lo, -1, v[28:29]
	v_ashrrev_i32_e32 v38, 31, v29
	s_delay_alu instid0(VALU_DEP_1) | instskip(SKIP_2) | instid1(VALU_DEP_1)
	v_xor_b32_e32 v38, v38, v28
	s_wait_alu 0xfffd
	v_cndmask_b32_e64 v2, -1, 0x80000000, vcc_lo
	v_xor_b32_e32 v39, v2, v29
	s_delay_alu instid0(VALU_DEP_1) | instskip(SKIP_3) | instid1(VALU_DEP_1)
	v_cmp_ne_u64_e32 vcc_lo, s[42:43], v[38:39]
	s_wait_alu 0xfffd
	v_cndmask_b32_e32 v39, 0x80000000, v39, vcc_lo
	v_cndmask_b32_e32 v38, 0, v38, vcc_lo
	v_lshrrev_b64 v[38:39], s48, v[38:39]
	s_delay_alu instid0(VALU_DEP_1) | instskip(NEXT) | instid1(VALU_DEP_1)
	v_and_b32_e32 v2, s57, v38
	v_lshl_or_b32 v2, v2, 4, v96
	ds_add_u32 v2, v123
	s_wait_alu 0xfffe
	s_or_b32 exec_lo, exec_lo, s7
	s_delay_alu instid0(SALU_CYCLE_1)
	s_mov_b32 s7, exec_lo
	v_cmpx_gt_u32_e64 s6, v85
	s_cbranch_execz .LBB1227_335
.LBB1227_350:                           ;   in Loop: Header=BB1227_308 Depth=2
	v_cmp_lt_i64_e32 vcc_lo, -1, v[26:27]
	v_ashrrev_i32_e32 v38, 31, v27
	s_delay_alu instid0(VALU_DEP_1) | instskip(SKIP_2) | instid1(VALU_DEP_1)
	v_xor_b32_e32 v38, v38, v26
	s_wait_alu 0xfffd
	v_cndmask_b32_e64 v2, -1, 0x80000000, vcc_lo
	v_xor_b32_e32 v39, v2, v27
	s_delay_alu instid0(VALU_DEP_1) | instskip(SKIP_3) | instid1(VALU_DEP_1)
	v_cmp_ne_u64_e32 vcc_lo, s[42:43], v[38:39]
	s_wait_alu 0xfffd
	v_cndmask_b32_e32 v39, 0x80000000, v39, vcc_lo
	v_cndmask_b32_e32 v38, 0, v38, vcc_lo
	v_lshrrev_b64 v[38:39], s48, v[38:39]
	s_delay_alu instid0(VALU_DEP_1) | instskip(NEXT) | instid1(VALU_DEP_1)
	v_and_b32_e32 v2, s57, v38
	v_lshl_or_b32 v2, v2, 4, v96
	ds_add_u32 v2, v123
	s_wait_alu 0xfffe
	s_or_b32 exec_lo, exec_lo, s7
	s_delay_alu instid0(SALU_CYCLE_1)
	s_mov_b32 s7, exec_lo
	v_cmpx_gt_u32_e64 s6, v86
	s_cbranch_execz .LBB1227_336
.LBB1227_351:                           ;   in Loop: Header=BB1227_308 Depth=2
	v_cmp_lt_i64_e32 vcc_lo, -1, v[24:25]
	v_ashrrev_i32_e32 v38, 31, v25
	s_delay_alu instid0(VALU_DEP_1) | instskip(SKIP_2) | instid1(VALU_DEP_1)
	v_xor_b32_e32 v38, v38, v24
	s_wait_alu 0xfffd
	v_cndmask_b32_e64 v2, -1, 0x80000000, vcc_lo
	v_xor_b32_e32 v39, v2, v25
	s_delay_alu instid0(VALU_DEP_1) | instskip(SKIP_3) | instid1(VALU_DEP_1)
	v_cmp_ne_u64_e32 vcc_lo, s[42:43], v[38:39]
	s_wait_alu 0xfffd
	v_cndmask_b32_e32 v39, 0x80000000, v39, vcc_lo
	v_cndmask_b32_e32 v38, 0, v38, vcc_lo
	v_lshrrev_b64 v[38:39], s48, v[38:39]
	s_delay_alu instid0(VALU_DEP_1) | instskip(NEXT) | instid1(VALU_DEP_1)
	v_and_b32_e32 v2, s57, v38
	v_lshl_or_b32 v2, v2, 4, v96
	ds_add_u32 v2, v123
	s_wait_alu 0xfffe
	s_or_b32 exec_lo, exec_lo, s7
	s_delay_alu instid0(SALU_CYCLE_1)
	s_mov_b32 s7, exec_lo
	v_cmpx_gt_u32_e64 s6, v87
	s_cbranch_execz .LBB1227_337
.LBB1227_352:                           ;   in Loop: Header=BB1227_308 Depth=2
	v_cmp_lt_i64_e32 vcc_lo, -1, v[22:23]
	v_ashrrev_i32_e32 v38, 31, v23
	s_delay_alu instid0(VALU_DEP_1) | instskip(SKIP_2) | instid1(VALU_DEP_1)
	v_xor_b32_e32 v38, v38, v22
	s_wait_alu 0xfffd
	v_cndmask_b32_e64 v2, -1, 0x80000000, vcc_lo
	v_xor_b32_e32 v39, v2, v23
	s_delay_alu instid0(VALU_DEP_1) | instskip(SKIP_3) | instid1(VALU_DEP_1)
	v_cmp_ne_u64_e32 vcc_lo, s[42:43], v[38:39]
	s_wait_alu 0xfffd
	v_cndmask_b32_e32 v39, 0x80000000, v39, vcc_lo
	v_cndmask_b32_e32 v38, 0, v38, vcc_lo
	v_lshrrev_b64 v[38:39], s48, v[38:39]
	s_delay_alu instid0(VALU_DEP_1) | instskip(NEXT) | instid1(VALU_DEP_1)
	v_and_b32_e32 v2, s57, v38
	v_lshl_or_b32 v2, v2, 4, v96
	ds_add_u32 v2, v123
	s_wait_alu 0xfffe
	s_or_b32 exec_lo, exec_lo, s7
	s_delay_alu instid0(SALU_CYCLE_1)
	s_mov_b32 s7, exec_lo
	v_cmpx_gt_u32_e64 s6, v88
	s_cbranch_execz .LBB1227_338
.LBB1227_353:                           ;   in Loop: Header=BB1227_308 Depth=2
	v_cmp_lt_i64_e32 vcc_lo, -1, v[20:21]
	v_ashrrev_i32_e32 v38, 31, v21
	s_delay_alu instid0(VALU_DEP_1) | instskip(SKIP_2) | instid1(VALU_DEP_1)
	v_xor_b32_e32 v38, v38, v20
	s_wait_alu 0xfffd
	v_cndmask_b32_e64 v2, -1, 0x80000000, vcc_lo
	v_xor_b32_e32 v39, v2, v21
	s_delay_alu instid0(VALU_DEP_1) | instskip(SKIP_3) | instid1(VALU_DEP_1)
	v_cmp_ne_u64_e32 vcc_lo, s[42:43], v[38:39]
	s_wait_alu 0xfffd
	v_cndmask_b32_e32 v39, 0x80000000, v39, vcc_lo
	v_cndmask_b32_e32 v38, 0, v38, vcc_lo
	v_lshrrev_b64 v[38:39], s48, v[38:39]
	s_delay_alu instid0(VALU_DEP_1) | instskip(NEXT) | instid1(VALU_DEP_1)
	v_and_b32_e32 v2, s57, v38
	v_lshl_or_b32 v2, v2, 4, v96
	ds_add_u32 v2, v123
	s_wait_alu 0xfffe
	s_or_b32 exec_lo, exec_lo, s7
	s_delay_alu instid0(SALU_CYCLE_1)
	s_mov_b32 s7, exec_lo
	v_cmpx_gt_u32_e64 s6, v89
	s_cbranch_execz .LBB1227_339
.LBB1227_354:                           ;   in Loop: Header=BB1227_308 Depth=2
	v_cmp_lt_i64_e32 vcc_lo, -1, v[18:19]
	v_ashrrev_i32_e32 v38, 31, v19
	s_delay_alu instid0(VALU_DEP_1) | instskip(SKIP_2) | instid1(VALU_DEP_1)
	v_xor_b32_e32 v38, v38, v18
	s_wait_alu 0xfffd
	v_cndmask_b32_e64 v2, -1, 0x80000000, vcc_lo
	v_xor_b32_e32 v39, v2, v19
	s_delay_alu instid0(VALU_DEP_1) | instskip(SKIP_3) | instid1(VALU_DEP_1)
	v_cmp_ne_u64_e32 vcc_lo, s[42:43], v[38:39]
	s_wait_alu 0xfffd
	v_cndmask_b32_e32 v39, 0x80000000, v39, vcc_lo
	v_cndmask_b32_e32 v38, 0, v38, vcc_lo
	v_lshrrev_b64 v[38:39], s48, v[38:39]
	s_delay_alu instid0(VALU_DEP_1) | instskip(NEXT) | instid1(VALU_DEP_1)
	v_and_b32_e32 v2, s57, v38
	v_lshl_or_b32 v2, v2, 4, v96
	ds_add_u32 v2, v123
	s_wait_alu 0xfffe
	s_or_b32 exec_lo, exec_lo, s7
	s_delay_alu instid0(SALU_CYCLE_1)
	s_mov_b32 s7, exec_lo
	v_cmpx_gt_u32_e64 s6, v90
	s_cbranch_execz .LBB1227_340
.LBB1227_355:                           ;   in Loop: Header=BB1227_308 Depth=2
	v_cmp_lt_i64_e32 vcc_lo, -1, v[16:17]
	v_ashrrev_i32_e32 v38, 31, v17
	s_delay_alu instid0(VALU_DEP_1) | instskip(SKIP_2) | instid1(VALU_DEP_1)
	v_xor_b32_e32 v38, v38, v16
	s_wait_alu 0xfffd
	v_cndmask_b32_e64 v2, -1, 0x80000000, vcc_lo
	v_xor_b32_e32 v39, v2, v17
	s_delay_alu instid0(VALU_DEP_1) | instskip(SKIP_3) | instid1(VALU_DEP_1)
	v_cmp_ne_u64_e32 vcc_lo, s[42:43], v[38:39]
	s_wait_alu 0xfffd
	v_cndmask_b32_e32 v39, 0x80000000, v39, vcc_lo
	v_cndmask_b32_e32 v38, 0, v38, vcc_lo
	v_lshrrev_b64 v[38:39], s48, v[38:39]
	s_delay_alu instid0(VALU_DEP_1) | instskip(NEXT) | instid1(VALU_DEP_1)
	v_and_b32_e32 v2, s57, v38
	v_lshl_or_b32 v2, v2, 4, v96
	ds_add_u32 v2, v123
	s_wait_alu 0xfffe
	s_or_b32 exec_lo, exec_lo, s7
	s_delay_alu instid0(SALU_CYCLE_1)
	s_mov_b32 s7, exec_lo
	v_cmpx_gt_u32_e64 s6, v91
	s_cbranch_execz .LBB1227_341
.LBB1227_356:                           ;   in Loop: Header=BB1227_308 Depth=2
	v_cmp_lt_i64_e32 vcc_lo, -1, v[14:15]
	v_ashrrev_i32_e32 v38, 31, v15
	s_delay_alu instid0(VALU_DEP_1) | instskip(SKIP_2) | instid1(VALU_DEP_1)
	v_xor_b32_e32 v38, v38, v14
	s_wait_alu 0xfffd
	v_cndmask_b32_e64 v2, -1, 0x80000000, vcc_lo
	v_xor_b32_e32 v39, v2, v15
	s_delay_alu instid0(VALU_DEP_1) | instskip(SKIP_3) | instid1(VALU_DEP_1)
	v_cmp_ne_u64_e32 vcc_lo, s[42:43], v[38:39]
	s_wait_alu 0xfffd
	v_cndmask_b32_e32 v39, 0x80000000, v39, vcc_lo
	v_cndmask_b32_e32 v38, 0, v38, vcc_lo
	v_lshrrev_b64 v[38:39], s48, v[38:39]
	s_delay_alu instid0(VALU_DEP_1) | instskip(NEXT) | instid1(VALU_DEP_1)
	v_and_b32_e32 v2, s57, v38
	v_lshl_or_b32 v2, v2, 4, v96
	ds_add_u32 v2, v123
	s_wait_alu 0xfffe
	s_or_b32 exec_lo, exec_lo, s7
	s_delay_alu instid0(SALU_CYCLE_1)
	s_mov_b32 s7, exec_lo
	v_cmpx_gt_u32_e64 s6, v92
	s_cbranch_execz .LBB1227_342
.LBB1227_357:                           ;   in Loop: Header=BB1227_308 Depth=2
	v_cmp_lt_i64_e32 vcc_lo, -1, v[12:13]
	v_ashrrev_i32_e32 v38, 31, v13
	s_delay_alu instid0(VALU_DEP_1) | instskip(SKIP_2) | instid1(VALU_DEP_1)
	v_xor_b32_e32 v38, v38, v12
	s_wait_alu 0xfffd
	v_cndmask_b32_e64 v2, -1, 0x80000000, vcc_lo
	v_xor_b32_e32 v39, v2, v13
	s_delay_alu instid0(VALU_DEP_1) | instskip(SKIP_3) | instid1(VALU_DEP_1)
	v_cmp_ne_u64_e32 vcc_lo, s[42:43], v[38:39]
	s_wait_alu 0xfffd
	v_cndmask_b32_e32 v39, 0x80000000, v39, vcc_lo
	v_cndmask_b32_e32 v38, 0, v38, vcc_lo
	v_lshrrev_b64 v[38:39], s48, v[38:39]
	s_delay_alu instid0(VALU_DEP_1) | instskip(NEXT) | instid1(VALU_DEP_1)
	v_and_b32_e32 v2, s57, v38
	v_lshl_or_b32 v2, v2, 4, v96
	ds_add_u32 v2, v123
	s_wait_alu 0xfffe
	s_or_b32 exec_lo, exec_lo, s7
	s_delay_alu instid0(SALU_CYCLE_1)
	s_mov_b32 s7, exec_lo
	v_cmpx_gt_u32_e64 s6, v93
	s_cbranch_execz .LBB1227_343
.LBB1227_358:                           ;   in Loop: Header=BB1227_308 Depth=2
	v_cmp_lt_i64_e32 vcc_lo, -1, v[10:11]
	v_ashrrev_i32_e32 v38, 31, v11
	s_delay_alu instid0(VALU_DEP_1) | instskip(SKIP_2) | instid1(VALU_DEP_1)
	v_xor_b32_e32 v38, v38, v10
	s_wait_alu 0xfffd
	v_cndmask_b32_e64 v2, -1, 0x80000000, vcc_lo
	v_xor_b32_e32 v39, v2, v11
	s_delay_alu instid0(VALU_DEP_1) | instskip(SKIP_3) | instid1(VALU_DEP_1)
	v_cmp_ne_u64_e32 vcc_lo, s[42:43], v[38:39]
	s_wait_alu 0xfffd
	v_cndmask_b32_e32 v39, 0x80000000, v39, vcc_lo
	v_cndmask_b32_e32 v38, 0, v38, vcc_lo
	v_lshrrev_b64 v[38:39], s48, v[38:39]
	s_delay_alu instid0(VALU_DEP_1) | instskip(NEXT) | instid1(VALU_DEP_1)
	v_and_b32_e32 v2, s57, v38
	v_lshl_or_b32 v2, v2, 4, v96
	ds_add_u32 v2, v123
	s_wait_alu 0xfffe
	s_or_b32 exec_lo, exec_lo, s7
	s_delay_alu instid0(SALU_CYCLE_1)
	s_mov_b32 s7, exec_lo
	v_cmpx_gt_u32_e64 s6, v94
	s_cbranch_execz .LBB1227_344
.LBB1227_359:                           ;   in Loop: Header=BB1227_308 Depth=2
	v_cmp_lt_i64_e32 vcc_lo, -1, v[8:9]
	v_ashrrev_i32_e32 v38, 31, v9
	s_delay_alu instid0(VALU_DEP_1) | instskip(SKIP_2) | instid1(VALU_DEP_1)
	v_xor_b32_e32 v38, v38, v8
	s_wait_alu 0xfffd
	v_cndmask_b32_e64 v2, -1, 0x80000000, vcc_lo
	v_xor_b32_e32 v39, v2, v9
	s_delay_alu instid0(VALU_DEP_1) | instskip(SKIP_3) | instid1(VALU_DEP_1)
	v_cmp_ne_u64_e32 vcc_lo, s[42:43], v[38:39]
	s_wait_alu 0xfffd
	v_cndmask_b32_e32 v39, 0x80000000, v39, vcc_lo
	v_cndmask_b32_e32 v38, 0, v38, vcc_lo
	v_lshrrev_b64 v[38:39], s48, v[38:39]
	s_delay_alu instid0(VALU_DEP_1) | instskip(NEXT) | instid1(VALU_DEP_1)
	v_and_b32_e32 v2, s57, v38
	v_lshl_or_b32 v2, v2, 4, v96
	ds_add_u32 v2, v123
	s_wait_alu 0xfffe
	s_or_b32 exec_lo, exec_lo, s7
	v_cmp_gt_u32_e32 vcc_lo, s6, v95
	s_and_saveexec_b32 s6, vcc_lo
	s_cbranch_execz .LBB1227_307
.LBB1227_360:                           ;   in Loop: Header=BB1227_308 Depth=2
	v_cmp_lt_i64_e32 vcc_lo, -1, v[6:7]
	v_ashrrev_i32_e32 v38, 31, v7
	s_delay_alu instid0(VALU_DEP_1) | instskip(SKIP_2) | instid1(VALU_DEP_1)
	v_xor_b32_e32 v38, v38, v6
	s_wait_alu 0xfffd
	v_cndmask_b32_e64 v2, -1, 0x80000000, vcc_lo
	v_xor_b32_e32 v39, v2, v7
	s_delay_alu instid0(VALU_DEP_1) | instskip(SKIP_3) | instid1(VALU_DEP_1)
	v_cmp_ne_u64_e32 vcc_lo, s[42:43], v[38:39]
	s_wait_alu 0xfffd
	v_cndmask_b32_e32 v39, 0x80000000, v39, vcc_lo
	v_cndmask_b32_e32 v38, 0, v38, vcc_lo
	v_lshrrev_b64 v[38:39], s48, v[38:39]
	s_delay_alu instid0(VALU_DEP_1) | instskip(NEXT) | instid1(VALU_DEP_1)
	v_and_b32_e32 v2, s57, v38
	v_lshl_or_b32 v2, v2, 4, v96
	ds_add_u32 v2, v123
	s_branch .LBB1227_307
.LBB1227_361:                           ;   in Loop: Header=BB1227_308 Depth=2
	global_load_b64 v[36:37], v124, s[6:7]
	s_or_b32 exec_lo, exec_lo, s10
	s_delay_alu instid0(SALU_CYCLE_1)
	s_mov_b32 s10, exec_lo
	v_cmpx_gt_u32_e64 s8, v79
	s_cbranch_execz .LBB1227_313
.LBB1227_362:                           ;   in Loop: Header=BB1227_308 Depth=2
	global_load_b64 v[34:35], v124, s[6:7] offset:2048
	s_wait_alu 0xfffe
	s_or_b32 exec_lo, exec_lo, s10
	s_delay_alu instid0(SALU_CYCLE_1)
	s_mov_b32 s10, exec_lo
	v_cmpx_gt_u32_e64 s8, v80
	s_cbranch_execz .LBB1227_314
.LBB1227_363:                           ;   in Loop: Header=BB1227_308 Depth=2
	global_load_b64 v[32:33], v124, s[6:7] offset:4096
	s_wait_alu 0xfffe
	s_or_b32 exec_lo, exec_lo, s10
	s_delay_alu instid0(SALU_CYCLE_1)
	s_mov_b32 s10, exec_lo
	v_cmpx_gt_u32_e64 s8, v81
	s_cbranch_execz .LBB1227_315
.LBB1227_364:                           ;   in Loop: Header=BB1227_308 Depth=2
	global_load_b64 v[30:31], v124, s[6:7] offset:6144
	s_wait_alu 0xfffe
	s_or_b32 exec_lo, exec_lo, s10
	s_delay_alu instid0(SALU_CYCLE_1)
	s_mov_b32 s10, exec_lo
	v_cmpx_gt_u32_e64 s8, v84
	s_cbranch_execz .LBB1227_316
.LBB1227_365:                           ;   in Loop: Header=BB1227_308 Depth=2
	global_load_b64 v[28:29], v124, s[6:7] offset:8192
	s_wait_alu 0xfffe
	s_or_b32 exec_lo, exec_lo, s10
	s_delay_alu instid0(SALU_CYCLE_1)
	s_mov_b32 s10, exec_lo
	v_cmpx_gt_u32_e64 s8, v85
	s_cbranch_execz .LBB1227_317
.LBB1227_366:                           ;   in Loop: Header=BB1227_308 Depth=2
	global_load_b64 v[26:27], v124, s[6:7] offset:10240
	s_wait_alu 0xfffe
	s_or_b32 exec_lo, exec_lo, s10
	s_delay_alu instid0(SALU_CYCLE_1)
	s_mov_b32 s10, exec_lo
	v_cmpx_gt_u32_e64 s8, v86
	s_cbranch_execz .LBB1227_318
.LBB1227_367:                           ;   in Loop: Header=BB1227_308 Depth=2
	global_load_b64 v[24:25], v124, s[6:7] offset:12288
	s_wait_alu 0xfffe
	s_or_b32 exec_lo, exec_lo, s10
	s_delay_alu instid0(SALU_CYCLE_1)
	s_mov_b32 s10, exec_lo
	v_cmpx_gt_u32_e64 s8, v87
	s_cbranch_execz .LBB1227_319
.LBB1227_368:                           ;   in Loop: Header=BB1227_308 Depth=2
	global_load_b64 v[22:23], v124, s[6:7] offset:14336
	s_wait_alu 0xfffe
	s_or_b32 exec_lo, exec_lo, s10
	s_delay_alu instid0(SALU_CYCLE_1)
	s_mov_b32 s10, exec_lo
	v_cmpx_gt_u32_e64 s8, v88
	s_cbranch_execz .LBB1227_320
.LBB1227_369:                           ;   in Loop: Header=BB1227_308 Depth=2
	global_load_b64 v[20:21], v124, s[6:7] offset:16384
	s_wait_alu 0xfffe
	s_or_b32 exec_lo, exec_lo, s10
	s_delay_alu instid0(SALU_CYCLE_1)
	s_mov_b32 s10, exec_lo
	v_cmpx_gt_u32_e64 s8, v89
	s_cbranch_execz .LBB1227_321
.LBB1227_370:                           ;   in Loop: Header=BB1227_308 Depth=2
	global_load_b64 v[18:19], v124, s[6:7] offset:18432
	s_wait_alu 0xfffe
	s_or_b32 exec_lo, exec_lo, s10
	s_delay_alu instid0(SALU_CYCLE_1)
	s_mov_b32 s10, exec_lo
	v_cmpx_gt_u32_e64 s8, v90
	s_cbranch_execz .LBB1227_322
.LBB1227_371:                           ;   in Loop: Header=BB1227_308 Depth=2
	global_load_b64 v[16:17], v124, s[6:7] offset:20480
	s_wait_alu 0xfffe
	s_or_b32 exec_lo, exec_lo, s10
	s_delay_alu instid0(SALU_CYCLE_1)
	s_mov_b32 s10, exec_lo
	v_cmpx_gt_u32_e64 s8, v91
	s_cbranch_execz .LBB1227_323
.LBB1227_372:                           ;   in Loop: Header=BB1227_308 Depth=2
	global_load_b64 v[14:15], v124, s[6:7] offset:22528
	s_wait_alu 0xfffe
	s_or_b32 exec_lo, exec_lo, s10
	s_delay_alu instid0(SALU_CYCLE_1)
	s_mov_b32 s10, exec_lo
	v_cmpx_gt_u32_e64 s8, v92
	s_cbranch_execz .LBB1227_324
.LBB1227_373:                           ;   in Loop: Header=BB1227_308 Depth=2
	global_load_b64 v[12:13], v124, s[6:7] offset:24576
	s_wait_alu 0xfffe
	s_or_b32 exec_lo, exec_lo, s10
	s_delay_alu instid0(SALU_CYCLE_1)
	s_mov_b32 s10, exec_lo
	v_cmpx_gt_u32_e64 s8, v93
	s_cbranch_execz .LBB1227_325
.LBB1227_374:                           ;   in Loop: Header=BB1227_308 Depth=2
	global_load_b64 v[10:11], v124, s[6:7] offset:26624
	s_wait_alu 0xfffe
	s_or_b32 exec_lo, exec_lo, s10
	s_delay_alu instid0(SALU_CYCLE_1)
	s_mov_b32 s10, exec_lo
	v_cmpx_gt_u32_e64 s8, v94
	s_cbranch_execz .LBB1227_326
.LBB1227_375:                           ;   in Loop: Header=BB1227_308 Depth=2
	global_load_b64 v[8:9], v124, s[6:7] offset:28672
	s_wait_alu 0xfffe
	s_or_b32 exec_lo, exec_lo, s10
	s_delay_alu instid0(SALU_CYCLE_1)
	s_mov_b32 s10, exec_lo
	v_cmpx_gt_u32_e64 s8, v95
	s_cbranch_execnz .LBB1227_327
	s_branch .LBB1227_328
.LBB1227_376:                           ;   in Loop: Header=BB1227_12 Depth=1
	v_mov_b32_e32 v2, 0
	s_wait_dscnt 0x0
	s_barrier_signal -1
	s_barrier_wait -1
	global_inv scope:SCOPE_SE
	s_and_saveexec_b32 s6, s2
	s_cbranch_execz .LBB1227_378
; %bb.377:                              ;   in Loop: Header=BB1227_12 Depth=1
	ds_load_2addr_b64 v[6:9], v98 offset1:1
	s_wait_dscnt 0x0
	v_add_nc_u32_e32 v2, v7, v6
	s_delay_alu instid0(VALU_DEP_1)
	v_add3_u32 v2, v2, v8, v9
.LBB1227_378:                           ;   in Loop: Header=BB1227_12 Depth=1
	s_wait_alu 0xfffe
	s_or_b32 exec_lo, exec_lo, s6
	v_and_b32_e32 v6, 15, v125
	s_delay_alu instid0(VALU_DEP_2) | instskip(SKIP_1) | instid1(VALU_DEP_3)
	v_mov_b32_dpp v7, v2 row_shr:1 row_mask:0xf bank_mask:0xf
	v_and_b32_e32 v8, 16, v125
	v_cmp_eq_u32_e64 s6, 0, v6
	v_cmp_lt_u32_e64 s7, 1, v6
	v_cmp_lt_u32_e64 s8, 3, v6
	;; [unrolled: 1-line block ×3, first 2 shown]
	v_cmp_eq_u32_e64 s10, 0, v8
	s_wait_alu 0xf1ff
	v_cndmask_b32_e64 v7, v7, 0, s6
	s_delay_alu instid0(VALU_DEP_1) | instskip(NEXT) | instid1(VALU_DEP_1)
	v_add_nc_u32_e32 v2, v7, v2
	v_mov_b32_dpp v7, v2 row_shr:2 row_mask:0xf bank_mask:0xf
	s_delay_alu instid0(VALU_DEP_1) | instskip(NEXT) | instid1(VALU_DEP_1)
	v_cndmask_b32_e64 v7, 0, v7, s7
	v_add_nc_u32_e32 v2, v2, v7
	s_delay_alu instid0(VALU_DEP_1) | instskip(NEXT) | instid1(VALU_DEP_1)
	v_mov_b32_dpp v7, v2 row_shr:4 row_mask:0xf bank_mask:0xf
	v_cndmask_b32_e64 v7, 0, v7, s8
	s_delay_alu instid0(VALU_DEP_1) | instskip(NEXT) | instid1(VALU_DEP_1)
	v_add_nc_u32_e32 v2, v2, v7
	v_mov_b32_dpp v7, v2 row_shr:8 row_mask:0xf bank_mask:0xf
	s_delay_alu instid0(VALU_DEP_1) | instskip(SKIP_1) | instid1(VALU_DEP_2)
	v_cndmask_b32_e64 v6, 0, v7, s9
	v_bfe_i32 v7, v125, 4, 1
	v_add_nc_u32_e32 v2, v2, v6
	ds_swizzle_b32 v6, v2 offset:swizzle(BROADCAST,32,15)
	s_wait_dscnt 0x0
	v_and_b32_e32 v6, v7, v6
	s_delay_alu instid0(VALU_DEP_1)
	v_add_nc_u32_e32 v6, v2, v6
	s_and_saveexec_b32 s11, s3
; %bb.379:                              ;   in Loop: Header=BB1227_12 Depth=1
	ds_store_b32 v99, v6
; %bb.380:                              ;   in Loop: Header=BB1227_12 Depth=1
	s_wait_alu 0xfffe
	s_or_b32 exec_lo, exec_lo, s11
	v_and_b32_e32 v2, 7, v125
	s_wait_loadcnt_dscnt 0x0
	s_barrier_signal -1
	s_barrier_wait -1
	global_inv scope:SCOPE_SE
	s_and_saveexec_b32 s11, s4
	s_cbranch_execz .LBB1227_382
; %bb.381:                              ;   in Loop: Header=BB1227_12 Depth=1
	ds_load_b32 v7, v100
	v_cmp_ne_u32_e32 vcc_lo, 0, v2
	s_wait_dscnt 0x0
	v_mov_b32_dpp v8, v7 row_shr:1 row_mask:0xf bank_mask:0xf
	s_wait_alu 0xfffd
	s_delay_alu instid0(VALU_DEP_1) | instskip(SKIP_1) | instid1(VALU_DEP_2)
	v_cndmask_b32_e32 v8, 0, v8, vcc_lo
	v_cmp_lt_u32_e32 vcc_lo, 1, v2
	v_add_nc_u32_e32 v7, v8, v7
	s_delay_alu instid0(VALU_DEP_1) | instskip(SKIP_1) | instid1(VALU_DEP_1)
	v_mov_b32_dpp v8, v7 row_shr:2 row_mask:0xf bank_mask:0xf
	s_wait_alu 0xfffd
	v_cndmask_b32_e32 v8, 0, v8, vcc_lo
	v_cmp_lt_u32_e32 vcc_lo, 3, v2
	s_delay_alu instid0(VALU_DEP_2) | instskip(NEXT) | instid1(VALU_DEP_1)
	v_add_nc_u32_e32 v7, v7, v8
	v_mov_b32_dpp v8, v7 row_shr:4 row_mask:0xf bank_mask:0xf
	s_wait_alu 0xfffd
	s_delay_alu instid0(VALU_DEP_1) | instskip(NEXT) | instid1(VALU_DEP_1)
	v_cndmask_b32_e32 v8, 0, v8, vcc_lo
	v_add_nc_u32_e32 v7, v7, v8
	ds_store_b32 v100, v7
.LBB1227_382:                           ;   in Loop: Header=BB1227_12 Depth=1
	s_wait_alu 0xfffe
	s_or_b32 exec_lo, exec_lo, s11
	v_mov_b32_e32 v7, 0
	s_wait_loadcnt_dscnt 0x0
	s_barrier_signal -1
	s_barrier_wait -1
	global_inv scope:SCOPE_SE
	s_and_saveexec_b32 s11, s5
; %bb.383:                              ;   in Loop: Header=BB1227_12 Depth=1
	ds_load_b32 v7, v101
; %bb.384:                              ;   in Loop: Header=BB1227_12 Depth=1
	s_wait_alu 0xfffe
	s_or_b32 exec_lo, exec_lo, s11
	v_sub_co_u32 v8, s11, v125, 1
	s_wait_dscnt 0x0
	v_add_nc_u32_e32 v6, v7, v6
	s_wait_loadcnt 0x0
	s_barrier_signal -1
	v_cmp_gt_i32_e32 vcc_lo, 0, v8
	s_barrier_wait -1
	global_inv scope:SCOPE_SE
	s_wait_alu 0xfffd
	v_cndmask_b32_e32 v8, v8, v125, vcc_lo
	s_delay_alu instid0(VALU_DEP_1)
	v_lshlrev_b32_e32 v126, 2, v8
	ds_bpermute_b32 v6, v126, v6
	s_and_saveexec_b32 s12, s2
	s_cbranch_execz .LBB1227_386
; %bb.385:                              ;   in Loop: Header=BB1227_12 Depth=1
	s_wait_dscnt 0x0
	v_cndmask_b32_e64 v6, v6, v7, s11
	s_delay_alu instid0(VALU_DEP_1)
	v_add_nc_u32_e32 v6, s33, v6
	ds_store_b32 v78, v6
.LBB1227_386:                           ;   in Loop: Header=BB1227_12 Depth=1
	s_wait_alu 0xfffe
	s_or_b32 exec_lo, exec_lo, s12
	s_load_b64 s[12:13], s[52:53], 0x0
	v_lshlrev_b32_e32 v8, 3, v125
	v_or_b32_e32 v127, v125, v102
	s_mov_b32 s58, s55
                                        ; implicit-def: $vgpr10_vgpr11
                                        ; implicit-def: $vgpr12_vgpr13
                                        ; implicit-def: $vgpr14_vgpr15
                                        ; implicit-def: $vgpr16_vgpr17
                                        ; implicit-def: $vgpr18_vgpr19
                                        ; implicit-def: $vgpr20_vgpr21
                                        ; implicit-def: $vgpr22_vgpr23
                                        ; implicit-def: $vgpr24_vgpr25
                                        ; implicit-def: $vgpr26_vgpr27
                                        ; implicit-def: $vgpr28_vgpr29
                                        ; implicit-def: $vgpr30_vgpr31
                                        ; implicit-def: $vgpr32_vgpr33
                                        ; implicit-def: $vgpr34_vgpr35
                                        ; implicit-def: $vgpr36_vgpr37
                                        ; implicit-def: $vgpr148
                                        ; implicit-def: $vgpr149
                                        ; implicit-def: $vgpr150
                                        ; implicit-def: $vgpr151
                                        ; implicit-def: $vgpr152
                                        ; implicit-def: $vgpr153
                                        ; implicit-def: $vgpr154
                                        ; implicit-def: $vgpr155
                                        ; implicit-def: $vgpr156
                                        ; implicit-def: $vgpr157
                                        ; implicit-def: $vgpr158
                                        ; implicit-def: $vgpr159
                                        ; implicit-def: $vgpr160
                                        ; implicit-def: $vgpr161
                                        ; implicit-def: $vgpr162
                                        ; implicit-def: $vgpr163
	s_delay_alu instid0(VALU_DEP_2)
	v_add_co_u32 v128, vcc_lo, v113, v8
	s_wait_alu 0xfffd
	v_add_co_ci_u32_e64 v129, null, 0, v114, vcc_lo
	v_add_co_u32 v145, vcc_lo, v115, v8
	v_or_b32_e32 v130, 32, v127
	v_or_b32_e32 v131, 64, v127
	;; [unrolled: 1-line block ×8, first 2 shown]
	s_wait_kmcnt 0x0
	s_cmp_lt_u32 ttmp7, s13
	v_or_b32_e32 v138, 0x120, v127
	s_cselect_b32 s34, 14, 20
	s_cmp_lt_u32 ttmp9, s12
	s_wait_alu 0xfffe
	s_add_nc_u64 s[14:15], s[52:53], s[34:35]
	s_cselect_b32 s34, 12, 18
	s_load_u16 s15, s[14:15], 0x0
	s_add_nc_u64 s[12:13], s[52:53], s[34:35]
	v_or_b32_e32 v139, 0x140, v127
	s_load_u16 s16, s[12:13], 0x0
	v_cmp_eq_u32_e64 s12, 0, v2
	v_cmp_lt_u32_e64 s13, 1, v2
	v_cmp_lt_u32_e64 s14, 3, v2
	v_or_b32_e32 v140, 0x160, v127
	v_or_b32_e32 v141, 0x180, v127
	;; [unrolled: 1-line block ×5, first 2 shown]
	v_add_co_ci_u32_e64 v146, null, 0, v116, vcc_lo
	s_mov_b32 s34, s33
                                        ; implicit-def: $vgpr8_vgpr9
	s_wait_kmcnt 0x0
	v_mad_u32_u24 v2, v104, s15, v0
	s_wait_dscnt 0x0
	s_delay_alu instid0(VALU_DEP_1) | instskip(NEXT) | instid1(VALU_DEP_1)
	v_mad_co_u64_u32 v[6:7], null, v2, s16, v[1:2]
	v_lshrrev_b32_e32 v2, 3, v6
                                        ; implicit-def: $vgpr6_vgpr7
	s_delay_alu instid0(VALU_DEP_1)
	v_and_b32_e32 v147, 0x1ffffffc, v2
	s_branch .LBB1227_388
.LBB1227_387:                           ;   in Loop: Header=BB1227_388 Depth=2
	s_wait_alu 0xfffe
	s_or_b32 exec_lo, exec_lo, s15
	s_addk_co_i32 s58, 0xf000
	s_cmp_lt_u32 s59, s51
	s_mov_b32 s34, s59
	s_cbranch_scc0 .LBB1227_596
.LBB1227_388:                           ;   Parent Loop BB1227_12 Depth=1
                                        ; =>  This Inner Loop Header: Depth=2
	s_wait_alu 0xfffe
	s_add_co_i32 s59, s34, 0x1000
	s_wait_alu 0xfffe
	s_cmp_gt_u32 s59, s51
	s_cbranch_scc1 .LBB1227_390
; %bb.389:                              ;   in Loop: Header=BB1227_388 Depth=2
	s_lshl_b64 s[16:17], s[34:35], 3
	s_mov_b32 s15, -1
	s_wait_alu 0xfffe
	v_add_co_u32 v44, vcc_lo, v145, s16
	s_wait_alu 0xfffd
	v_add_co_ci_u32_e64 v45, null, s17, v146, vcc_lo
	s_clause 0xe
	global_load_b64 v[38:39], v[44:45], off
	global_load_b64 v[40:41], v[44:45], off offset:256
	global_load_b64 v[42:43], v[44:45], off offset:512
	;; [unrolled: 1-line block ×14, first 2 shown]
	s_movk_i32 s16, 0x1000
	s_cbranch_execz .LBB1227_391
	s_branch .LBB1227_422
.LBB1227_390:                           ;   in Loop: Header=BB1227_388 Depth=2
	s_mov_b32 s15, 0
                                        ; implicit-def: $vgpr38_vgpr39
                                        ; implicit-def: $vgpr40_vgpr41
                                        ; implicit-def: $vgpr42_vgpr43
                                        ; implicit-def: $vgpr48_vgpr49
                                        ; implicit-def: $vgpr54_vgpr55
                                        ; implicit-def: $vgpr58_vgpr59
                                        ; implicit-def: $vgpr62_vgpr63
                                        ; implicit-def: $vgpr66_vgpr67
                                        ; implicit-def: $vgpr68_vgpr69
                                        ; implicit-def: $vgpr64_vgpr65
                                        ; implicit-def: $vgpr60_vgpr61
                                        ; implicit-def: $vgpr56_vgpr57
                                        ; implicit-def: $vgpr52_vgpr53
                                        ; implicit-def: $vgpr50_vgpr51
                                        ; implicit-def: $vgpr46_vgpr47
	s_movk_i32 s16, 0x1000
.LBB1227_391:                           ;   in Loop: Header=BB1227_388 Depth=2
	s_wait_loadcnt 0xd
	v_dual_mov_b32 v40, v4 :: v_dual_mov_b32 v41, v5
	s_lshl_b64 s[16:17], s[34:35], 3
	s_mov_b32 s15, exec_lo
	s_wait_alu 0xfffe
	v_add_co_u32 v44, vcc_lo, v145, s16
	s_wait_alu 0xfffd
	v_add_co_ci_u32_e64 v45, null, s17, v146, vcc_lo
	v_dual_mov_b32 v38, v40 :: v_dual_mov_b32 v39, v41
	v_cmpx_gt_u32_e64 s58, v127
	s_cbranch_execz .LBB1227_393
; %bb.392:                              ;   in Loop: Header=BB1227_388 Depth=2
	global_load_b64 v[38:39], v[44:45], off
.LBB1227_393:                           ;   in Loop: Header=BB1227_388 Depth=2
	s_or_b32 exec_lo, exec_lo, s15
	s_delay_alu instid0(SALU_CYCLE_1)
	s_mov_b32 s15, exec_lo
	v_cmpx_gt_u32_e64 s58, v130
	s_cbranch_execz .LBB1227_395
; %bb.394:                              ;   in Loop: Header=BB1227_388 Depth=2
	global_load_b64 v[40:41], v[44:45], off offset:256
.LBB1227_395:                           ;   in Loop: Header=BB1227_388 Depth=2
	s_wait_alu 0xfffe
	s_or_b32 exec_lo, exec_lo, s15
	s_wait_loadcnt 0xc
	v_dual_mov_b32 v43, v5 :: v_dual_mov_b32 v42, v4
	s_mov_b32 s15, exec_lo
	v_cmpx_gt_u32_e64 s58, v131
	s_cbranch_execz .LBB1227_397
; %bb.396:                              ;   in Loop: Header=BB1227_388 Depth=2
	global_load_b64 v[42:43], v[44:45], off offset:512
.LBB1227_397:                           ;   in Loop: Header=BB1227_388 Depth=2
	s_wait_alu 0xfffe
	s_or_b32 exec_lo, exec_lo, s15
	s_wait_loadcnt 0xb
	v_dual_mov_b32 v49, v5 :: v_dual_mov_b32 v48, v4
	;; [unrolled: 10-line block ×13, first 2 shown]
	s_mov_b32 s15, exec_lo
	v_cmpx_gt_u32_e64 s58, v143
	s_cbranch_execz .LBB1227_421
; %bb.420:                              ;   in Loop: Header=BB1227_388 Depth=2
	global_load_b64 v[46:47], v[44:45], off offset:3584
.LBB1227_421:                           ;   in Loop: Header=BB1227_388 Depth=2
	s_wait_alu 0xfffe
	s_or_b32 exec_lo, exec_lo, s15
	v_cmp_gt_u32_e64 s15, s58, v144
	s_sub_co_i32 s16, s51, s34
.LBB1227_422:                           ;   in Loop: Header=BB1227_388 Depth=2
	v_dual_mov_b32 v164, s58 :: v_dual_mov_b32 v45, v5
	v_mov_b32_e32 v44, v4
	s_and_saveexec_b32 s17, s15
	s_cbranch_execz .LBB1227_424
; %bb.423:                              ;   in Loop: Header=BB1227_388 Depth=2
	s_lshl_b64 s[18:19], s[34:35], 3
	s_wait_alu 0xfffe
	v_mov_b32_e32 v164, s16
	v_add_co_u32 v44, vcc_lo, v145, s18
	s_wait_alu 0xfffd
	v_add_co_ci_u32_e64 v45, null, s19, v146, vcc_lo
	global_load_b64 v[44:45], v[44:45], off offset:3840
.LBB1227_424:                           ;   in Loop: Header=BB1227_388 Depth=2
	s_wait_alu 0xfffe
	s_or_b32 exec_lo, exec_lo, s17
	s_wait_loadcnt 0xe
	v_cmp_lt_i64_e32 vcc_lo, -1, v[38:39]
	v_ashrrev_i32_e32 v70, 31, v39
	v_add_nc_u32_e32 v166, 0x420, v103
	v_add_nc_u32_e32 v167, 0x428, v103
	;; [unrolled: 1-line block ×3, first 2 shown]
	s_delay_alu instid0(VALU_DEP_4) | instskip(SKIP_2) | instid1(VALU_DEP_1)
	v_xor_b32_e32 v38, v70, v38
	s_wait_alu 0xfffd
	v_cndmask_b32_e64 v2, -1, 0x80000000, vcc_lo
	v_xor_b32_e32 v39, v2, v39
	s_delay_alu instid0(VALU_DEP_1) | instskip(SKIP_3) | instid1(VALU_DEP_1)
	v_cmp_ne_u64_e32 vcc_lo, s[42:43], v[38:39]
	s_wait_alu 0xfffd
	v_cndmask_b32_e32 v71, 0x80000000, v39, vcc_lo
	v_cndmask_b32_e32 v70, 0, v38, vcc_lo
	v_lshrrev_b64 v[70:71], s48, v[70:71]
	s_delay_alu instid0(VALU_DEP_1) | instskip(NEXT) | instid1(VALU_DEP_1)
	v_and_b32_e32 v71, s57, v70
	v_and_b32_e32 v2, 1, v71
	v_lshlrev_b32_e32 v70, 30, v71
	v_lshlrev_b32_e32 v72, 29, v71
	;; [unrolled: 1-line block ×4, first 2 shown]
	v_add_co_u32 v2, s15, v2, -1
	s_wait_alu 0xf1ff
	v_cndmask_b32_e64 v74, 0, 1, s15
	v_not_b32_e32 v165, v70
	v_cmp_gt_i32_e64 s15, 0, v70
	v_not_b32_e32 v70, v72
	v_lshlrev_b32_e32 v76, 26, v71
	v_cmp_ne_u32_e32 vcc_lo, 0, v74
	v_ashrrev_i32_e32 v165, 31, v165
	v_lshlrev_b32_e32 v77, 25, v71
	v_ashrrev_i32_e32 v70, 31, v70
	v_lshlrev_b32_e32 v74, 24, v71
	s_wait_alu 0xfffd
	v_xor_b32_e32 v2, vcc_lo, v2
	v_cmp_gt_i32_e32 vcc_lo, 0, v72
	v_not_b32_e32 v72, v73
	s_wait_alu 0xf1ff
	v_xor_b32_e32 v165, s15, v165
	v_cmp_gt_i32_e64 s15, 0, v73
	v_and_b32_e32 v2, exec_lo, v2
	v_not_b32_e32 v73, v75
	v_ashrrev_i32_e32 v72, 31, v72
	s_wait_alu 0xfffd
	v_xor_b32_e32 v70, vcc_lo, v70
	v_cmp_gt_i32_e32 vcc_lo, 0, v75
	v_and_b32_e32 v2, v2, v165
	v_not_b32_e32 v75, v76
	v_ashrrev_i32_e32 v73, 31, v73
	s_wait_alu 0xf1ff
	v_xor_b32_e32 v72, s15, v72
	v_cmp_gt_i32_e64 s15, 0, v76
	v_and_b32_e32 v2, v2, v70
	v_not_b32_e32 v70, v77
	v_ashrrev_i32_e32 v75, 31, v75
	s_wait_alu 0xfffd
	v_xor_b32_e32 v73, vcc_lo, v73
	v_cmp_gt_i32_e32 vcc_lo, 0, v77
	v_and_b32_e32 v2, v2, v72
	v_not_b32_e32 v72, v74
	v_ashrrev_i32_e32 v70, 31, v70
	s_wait_alu 0xf1ff
	v_xor_b32_e32 v75, s15, v75
	v_cmp_gt_i32_e64 s15, 0, v74
	v_and_b32_e32 v2, v2, v73
	v_ashrrev_i32_e32 v72, 31, v72
	s_wait_alu 0xfffd
	v_xor_b32_e32 v70, vcc_lo, v70
	v_mul_u32_u24_e32 v71, 36, v71
	v_add_nc_u32_e32 v165, 0x438, v103
	v_and_b32_e32 v2, v2, v75
	s_wait_alu 0xf1ff
	v_xor_b32_e32 v72, s15, v72
	v_add_nc_u32_e32 v169, v147, v71
	ds_store_2addr_b32 v165, v3, v3 offset1:1
	v_and_b32_e32 v2, v2, v70
	ds_store_2addr_b32 v166, v3, v3 offset1:1
	ds_store_2addr_b32 v167, v3, v3 offset1:1
	;; [unrolled: 1-line block ×3, first 2 shown]
	ds_store_b32 v103, v3 offset:1088
	s_wait_loadcnt_dscnt 0x0
	s_barrier_signal -1
	s_barrier_wait -1
	v_and_b32_e32 v70, v2, v72
	global_inv scope:SCOPE_SE
	; wave barrier
	v_mbcnt_lo_u32_b32 v2, v70, 0
	v_cmp_ne_u32_e64 s15, 0, v70
	s_delay_alu instid0(VALU_DEP_2)
	v_cmp_eq_u32_e32 vcc_lo, 0, v2
	s_and_b32 s16, s15, vcc_lo
	s_wait_alu 0xfffe
	s_and_saveexec_b32 s15, s16
; %bb.425:                              ;   in Loop: Header=BB1227_388 Depth=2
	v_bcnt_u32_b32 v70, v70, 0
	ds_store_b32 v169, v70 offset:1056
; %bb.426:                              ;   in Loop: Header=BB1227_388 Depth=2
	s_wait_alu 0xfffe
	s_or_b32 exec_lo, exec_lo, s15
	v_cmp_lt_i64_e32 vcc_lo, -1, v[40:41]
	v_ashrrev_i32_e32 v71, 31, v41
	; wave barrier
	s_delay_alu instid0(VALU_DEP_1) | instskip(SKIP_2) | instid1(VALU_DEP_1)
	v_xor_b32_e32 v40, v71, v40
	s_wait_alu 0xfffd
	v_cndmask_b32_e64 v70, -1, 0x80000000, vcc_lo
	v_xor_b32_e32 v41, v70, v41
	s_delay_alu instid0(VALU_DEP_1) | instskip(SKIP_3) | instid1(VALU_DEP_1)
	v_cmp_ne_u64_e32 vcc_lo, s[42:43], v[40:41]
	s_wait_alu 0xfffd
	v_cndmask_b32_e32 v71, 0x80000000, v41, vcc_lo
	v_cndmask_b32_e32 v70, 0, v40, vcc_lo
	v_lshrrev_b64 v[70:71], s48, v[70:71]
	s_delay_alu instid0(VALU_DEP_1) | instskip(NEXT) | instid1(VALU_DEP_1)
	v_and_b32_e32 v71, s57, v70
	v_and_b32_e32 v70, 1, v71
	v_lshlrev_b32_e32 v72, 30, v71
	v_lshlrev_b32_e32 v73, 29, v71
	;; [unrolled: 1-line block ×4, first 2 shown]
	v_add_co_u32 v70, s15, v70, -1
	s_wait_alu 0xf1ff
	v_cndmask_b32_e64 v75, 0, 1, s15
	v_not_b32_e32 v171, v72
	v_cmp_gt_i32_e64 s15, 0, v72
	v_not_b32_e32 v72, v73
	v_lshlrev_b32_e32 v77, 26, v71
	v_cmp_ne_u32_e32 vcc_lo, 0, v75
	v_ashrrev_i32_e32 v171, 31, v171
	v_lshlrev_b32_e32 v170, 25, v71
	v_ashrrev_i32_e32 v72, 31, v72
	v_lshlrev_b32_e32 v75, 24, v71
	s_wait_alu 0xfffd
	v_xor_b32_e32 v70, vcc_lo, v70
	v_cmp_gt_i32_e32 vcc_lo, 0, v73
	v_not_b32_e32 v73, v74
	s_wait_alu 0xf1ff
	v_xor_b32_e32 v171, s15, v171
	v_cmp_gt_i32_e64 s15, 0, v74
	v_and_b32_e32 v70, exec_lo, v70
	v_not_b32_e32 v74, v76
	v_ashrrev_i32_e32 v73, 31, v73
	s_wait_alu 0xfffd
	v_xor_b32_e32 v72, vcc_lo, v72
	v_cmp_gt_i32_e32 vcc_lo, 0, v76
	v_and_b32_e32 v70, v70, v171
	v_not_b32_e32 v76, v77
	v_ashrrev_i32_e32 v74, 31, v74
	s_wait_alu 0xf1ff
	v_xor_b32_e32 v73, s15, v73
	v_cmp_gt_i32_e64 s15, 0, v77
	v_and_b32_e32 v70, v70, v72
	v_not_b32_e32 v72, v170
	v_ashrrev_i32_e32 v76, 31, v76
	s_wait_alu 0xfffd
	v_xor_b32_e32 v74, vcc_lo, v74
	v_cmp_gt_i32_e32 vcc_lo, 0, v170
	v_and_b32_e32 v70, v70, v73
	v_not_b32_e32 v73, v75
	v_ashrrev_i32_e32 v72, 31, v72
	s_wait_alu 0xf1ff
	v_xor_b32_e32 v76, s15, v76
	v_cmp_gt_i32_e64 s15, 0, v75
	v_and_b32_e32 v70, v70, v74
	v_ashrrev_i32_e32 v73, 31, v73
	s_wait_alu 0xfffd
	v_xor_b32_e32 v72, vcc_lo, v72
	v_mad_u32_u24 v74, v71, 36, v147
	v_mul_u32_u24_e32 v71, 36, v71
	v_and_b32_e32 v70, v70, v76
	s_wait_alu 0xf1ff
	v_xor_b32_e32 v73, s15, v73
	ds_load_b32 v170, v74 offset:1056
	v_add_nc_u32_e32 v172, v147, v71
	v_and_b32_e32 v70, v70, v72
	; wave barrier
	s_delay_alu instid0(VALU_DEP_1) | instskip(NEXT) | instid1(VALU_DEP_1)
	v_and_b32_e32 v70, v70, v73
	v_mbcnt_lo_u32_b32 v171, v70, 0
	v_cmp_ne_u32_e64 s15, 0, v70
	s_delay_alu instid0(VALU_DEP_2)
	v_cmp_eq_u32_e32 vcc_lo, 0, v171
	s_and_b32 s16, s15, vcc_lo
	s_wait_alu 0xfffe
	s_and_saveexec_b32 s15, s16
	s_cbranch_execz .LBB1227_428
; %bb.427:                              ;   in Loop: Header=BB1227_388 Depth=2
	s_wait_dscnt 0x0
	v_bcnt_u32_b32 v70, v70, v170
	ds_store_b32 v172, v70 offset:1056
.LBB1227_428:                           ;   in Loop: Header=BB1227_388 Depth=2
	s_wait_alu 0xfffe
	s_or_b32 exec_lo, exec_lo, s15
	v_cmp_lt_i64_e32 vcc_lo, -1, v[42:43]
	v_ashrrev_i32_e32 v71, 31, v43
	; wave barrier
	s_delay_alu instid0(VALU_DEP_1) | instskip(SKIP_2) | instid1(VALU_DEP_1)
	v_xor_b32_e32 v42, v71, v42
	s_wait_alu 0xfffd
	v_cndmask_b32_e64 v70, -1, 0x80000000, vcc_lo
	v_xor_b32_e32 v43, v70, v43
	s_delay_alu instid0(VALU_DEP_1) | instskip(SKIP_3) | instid1(VALU_DEP_1)
	v_cmp_ne_u64_e32 vcc_lo, s[42:43], v[42:43]
	s_wait_alu 0xfffd
	v_cndmask_b32_e32 v71, 0x80000000, v43, vcc_lo
	v_cndmask_b32_e32 v70, 0, v42, vcc_lo
	v_lshrrev_b64 v[70:71], s48, v[70:71]
	s_delay_alu instid0(VALU_DEP_1) | instskip(NEXT) | instid1(VALU_DEP_1)
	v_and_b32_e32 v71, s57, v70
	v_and_b32_e32 v70, 1, v71
	v_lshlrev_b32_e32 v72, 30, v71
	v_lshlrev_b32_e32 v73, 29, v71
	;; [unrolled: 1-line block ×4, first 2 shown]
	v_add_co_u32 v70, s15, v70, -1
	s_wait_alu 0xf1ff
	v_cndmask_b32_e64 v75, 0, 1, s15
	v_not_b32_e32 v174, v72
	v_cmp_gt_i32_e64 s15, 0, v72
	v_not_b32_e32 v72, v73
	v_lshlrev_b32_e32 v77, 26, v71
	v_cmp_ne_u32_e32 vcc_lo, 0, v75
	v_ashrrev_i32_e32 v174, 31, v174
	v_lshlrev_b32_e32 v173, 25, v71
	v_ashrrev_i32_e32 v72, 31, v72
	v_lshlrev_b32_e32 v75, 24, v71
	s_wait_alu 0xfffd
	v_xor_b32_e32 v70, vcc_lo, v70
	v_cmp_gt_i32_e32 vcc_lo, 0, v73
	v_not_b32_e32 v73, v74
	s_wait_alu 0xf1ff
	v_xor_b32_e32 v174, s15, v174
	v_cmp_gt_i32_e64 s15, 0, v74
	v_and_b32_e32 v70, exec_lo, v70
	v_not_b32_e32 v74, v76
	v_ashrrev_i32_e32 v73, 31, v73
	s_wait_alu 0xfffd
	v_xor_b32_e32 v72, vcc_lo, v72
	v_cmp_gt_i32_e32 vcc_lo, 0, v76
	v_and_b32_e32 v70, v70, v174
	v_not_b32_e32 v76, v77
	v_ashrrev_i32_e32 v74, 31, v74
	s_wait_alu 0xf1ff
	v_xor_b32_e32 v73, s15, v73
	v_cmp_gt_i32_e64 s15, 0, v77
	v_and_b32_e32 v70, v70, v72
	v_not_b32_e32 v72, v173
	v_ashrrev_i32_e32 v76, 31, v76
	s_wait_alu 0xfffd
	v_xor_b32_e32 v74, vcc_lo, v74
	v_cmp_gt_i32_e32 vcc_lo, 0, v173
	v_and_b32_e32 v70, v70, v73
	v_not_b32_e32 v73, v75
	v_ashrrev_i32_e32 v72, 31, v72
	s_wait_alu 0xf1ff
	v_xor_b32_e32 v76, s15, v76
	v_cmp_gt_i32_e64 s15, 0, v75
	v_and_b32_e32 v70, v70, v74
	v_ashrrev_i32_e32 v73, 31, v73
	s_wait_alu 0xfffd
	v_xor_b32_e32 v72, vcc_lo, v72
	v_mad_u32_u24 v74, v71, 36, v147
	v_mul_u32_u24_e32 v71, 36, v71
	v_and_b32_e32 v70, v70, v76
	s_wait_alu 0xf1ff
	v_xor_b32_e32 v73, s15, v73
	ds_load_b32 v173, v74 offset:1056
	v_add_nc_u32_e32 v175, v147, v71
	v_and_b32_e32 v70, v70, v72
	; wave barrier
	s_delay_alu instid0(VALU_DEP_1) | instskip(NEXT) | instid1(VALU_DEP_1)
	v_and_b32_e32 v70, v70, v73
	v_mbcnt_lo_u32_b32 v174, v70, 0
	v_cmp_ne_u32_e64 s15, 0, v70
	s_delay_alu instid0(VALU_DEP_2)
	v_cmp_eq_u32_e32 vcc_lo, 0, v174
	s_and_b32 s16, s15, vcc_lo
	s_wait_alu 0xfffe
	s_and_saveexec_b32 s15, s16
	s_cbranch_execz .LBB1227_430
; %bb.429:                              ;   in Loop: Header=BB1227_388 Depth=2
	s_wait_dscnt 0x0
	v_bcnt_u32_b32 v70, v70, v173
	ds_store_b32 v175, v70 offset:1056
.LBB1227_430:                           ;   in Loop: Header=BB1227_388 Depth=2
	s_wait_alu 0xfffe
	s_or_b32 exec_lo, exec_lo, s15
	v_cmp_lt_i64_e32 vcc_lo, -1, v[48:49]
	v_ashrrev_i32_e32 v71, 31, v49
	; wave barrier
	s_delay_alu instid0(VALU_DEP_1) | instskip(SKIP_2) | instid1(VALU_DEP_1)
	v_xor_b32_e32 v48, v71, v48
	s_wait_alu 0xfffd
	v_cndmask_b32_e64 v70, -1, 0x80000000, vcc_lo
	v_xor_b32_e32 v49, v70, v49
	s_delay_alu instid0(VALU_DEP_1) | instskip(SKIP_3) | instid1(VALU_DEP_1)
	v_cmp_ne_u64_e32 vcc_lo, s[42:43], v[48:49]
	s_wait_alu 0xfffd
	v_cndmask_b32_e32 v71, 0x80000000, v49, vcc_lo
	v_cndmask_b32_e32 v70, 0, v48, vcc_lo
	v_lshrrev_b64 v[70:71], s48, v[70:71]
	s_delay_alu instid0(VALU_DEP_1) | instskip(NEXT) | instid1(VALU_DEP_1)
	v_and_b32_e32 v71, s57, v70
	v_and_b32_e32 v70, 1, v71
	v_lshlrev_b32_e32 v72, 30, v71
	v_lshlrev_b32_e32 v73, 29, v71
	;; [unrolled: 1-line block ×4, first 2 shown]
	v_add_co_u32 v70, s15, v70, -1
	s_wait_alu 0xf1ff
	v_cndmask_b32_e64 v75, 0, 1, s15
	v_not_b32_e32 v177, v72
	v_cmp_gt_i32_e64 s15, 0, v72
	v_not_b32_e32 v72, v73
	v_lshlrev_b32_e32 v77, 26, v71
	v_cmp_ne_u32_e32 vcc_lo, 0, v75
	v_ashrrev_i32_e32 v177, 31, v177
	v_lshlrev_b32_e32 v176, 25, v71
	v_ashrrev_i32_e32 v72, 31, v72
	v_lshlrev_b32_e32 v75, 24, v71
	s_wait_alu 0xfffd
	v_xor_b32_e32 v70, vcc_lo, v70
	v_cmp_gt_i32_e32 vcc_lo, 0, v73
	v_not_b32_e32 v73, v74
	s_wait_alu 0xf1ff
	v_xor_b32_e32 v177, s15, v177
	v_cmp_gt_i32_e64 s15, 0, v74
	v_and_b32_e32 v70, exec_lo, v70
	v_not_b32_e32 v74, v76
	v_ashrrev_i32_e32 v73, 31, v73
	s_wait_alu 0xfffd
	v_xor_b32_e32 v72, vcc_lo, v72
	v_cmp_gt_i32_e32 vcc_lo, 0, v76
	v_and_b32_e32 v70, v70, v177
	v_not_b32_e32 v76, v77
	v_ashrrev_i32_e32 v74, 31, v74
	s_wait_alu 0xf1ff
	v_xor_b32_e32 v73, s15, v73
	v_cmp_gt_i32_e64 s15, 0, v77
	v_and_b32_e32 v70, v70, v72
	v_not_b32_e32 v72, v176
	v_ashrrev_i32_e32 v76, 31, v76
	s_wait_alu 0xfffd
	v_xor_b32_e32 v74, vcc_lo, v74
	v_cmp_gt_i32_e32 vcc_lo, 0, v176
	v_and_b32_e32 v70, v70, v73
	v_not_b32_e32 v73, v75
	v_ashrrev_i32_e32 v72, 31, v72
	s_wait_alu 0xf1ff
	v_xor_b32_e32 v76, s15, v76
	v_cmp_gt_i32_e64 s15, 0, v75
	v_and_b32_e32 v70, v70, v74
	v_ashrrev_i32_e32 v73, 31, v73
	s_wait_alu 0xfffd
	v_xor_b32_e32 v72, vcc_lo, v72
	v_mad_u32_u24 v74, v71, 36, v147
	v_mul_u32_u24_e32 v71, 36, v71
	v_and_b32_e32 v70, v70, v76
	s_wait_alu 0xf1ff
	v_xor_b32_e32 v73, s15, v73
	ds_load_b32 v176, v74 offset:1056
	v_add_nc_u32_e32 v178, v147, v71
	v_and_b32_e32 v70, v70, v72
	; wave barrier
	s_delay_alu instid0(VALU_DEP_1) | instskip(NEXT) | instid1(VALU_DEP_1)
	v_and_b32_e32 v70, v70, v73
	v_mbcnt_lo_u32_b32 v177, v70, 0
	v_cmp_ne_u32_e64 s15, 0, v70
	s_delay_alu instid0(VALU_DEP_2)
	v_cmp_eq_u32_e32 vcc_lo, 0, v177
	s_and_b32 s16, s15, vcc_lo
	s_wait_alu 0xfffe
	s_and_saveexec_b32 s15, s16
	s_cbranch_execz .LBB1227_432
; %bb.431:                              ;   in Loop: Header=BB1227_388 Depth=2
	s_wait_dscnt 0x0
	v_bcnt_u32_b32 v70, v70, v176
	ds_store_b32 v178, v70 offset:1056
.LBB1227_432:                           ;   in Loop: Header=BB1227_388 Depth=2
	s_wait_alu 0xfffe
	s_or_b32 exec_lo, exec_lo, s15
	v_cmp_lt_i64_e32 vcc_lo, -1, v[54:55]
	v_ashrrev_i32_e32 v71, 31, v55
	; wave barrier
	s_delay_alu instid0(VALU_DEP_1) | instskip(SKIP_2) | instid1(VALU_DEP_1)
	v_xor_b32_e32 v54, v71, v54
	s_wait_alu 0xfffd
	v_cndmask_b32_e64 v70, -1, 0x80000000, vcc_lo
	v_xor_b32_e32 v55, v70, v55
	s_delay_alu instid0(VALU_DEP_1) | instskip(SKIP_3) | instid1(VALU_DEP_1)
	v_cmp_ne_u64_e32 vcc_lo, s[42:43], v[54:55]
	s_wait_alu 0xfffd
	v_cndmask_b32_e32 v71, 0x80000000, v55, vcc_lo
	v_cndmask_b32_e32 v70, 0, v54, vcc_lo
	v_lshrrev_b64 v[70:71], s48, v[70:71]
	s_delay_alu instid0(VALU_DEP_1) | instskip(NEXT) | instid1(VALU_DEP_1)
	v_and_b32_e32 v71, s57, v70
	v_and_b32_e32 v70, 1, v71
	v_lshlrev_b32_e32 v72, 30, v71
	v_lshlrev_b32_e32 v73, 29, v71
	;; [unrolled: 1-line block ×4, first 2 shown]
	v_add_co_u32 v70, s15, v70, -1
	s_wait_alu 0xf1ff
	v_cndmask_b32_e64 v75, 0, 1, s15
	v_not_b32_e32 v180, v72
	v_cmp_gt_i32_e64 s15, 0, v72
	v_not_b32_e32 v72, v73
	v_lshlrev_b32_e32 v77, 26, v71
	v_cmp_ne_u32_e32 vcc_lo, 0, v75
	v_ashrrev_i32_e32 v180, 31, v180
	v_lshlrev_b32_e32 v179, 25, v71
	v_ashrrev_i32_e32 v72, 31, v72
	v_lshlrev_b32_e32 v75, 24, v71
	s_wait_alu 0xfffd
	v_xor_b32_e32 v70, vcc_lo, v70
	v_cmp_gt_i32_e32 vcc_lo, 0, v73
	v_not_b32_e32 v73, v74
	s_wait_alu 0xf1ff
	v_xor_b32_e32 v180, s15, v180
	v_cmp_gt_i32_e64 s15, 0, v74
	v_and_b32_e32 v70, exec_lo, v70
	v_not_b32_e32 v74, v76
	v_ashrrev_i32_e32 v73, 31, v73
	s_wait_alu 0xfffd
	v_xor_b32_e32 v72, vcc_lo, v72
	v_cmp_gt_i32_e32 vcc_lo, 0, v76
	v_and_b32_e32 v70, v70, v180
	v_not_b32_e32 v76, v77
	v_ashrrev_i32_e32 v74, 31, v74
	s_wait_alu 0xf1ff
	v_xor_b32_e32 v73, s15, v73
	v_cmp_gt_i32_e64 s15, 0, v77
	v_and_b32_e32 v70, v70, v72
	v_not_b32_e32 v72, v179
	v_ashrrev_i32_e32 v76, 31, v76
	s_wait_alu 0xfffd
	v_xor_b32_e32 v74, vcc_lo, v74
	v_cmp_gt_i32_e32 vcc_lo, 0, v179
	v_and_b32_e32 v70, v70, v73
	v_not_b32_e32 v73, v75
	v_ashrrev_i32_e32 v72, 31, v72
	s_wait_alu 0xf1ff
	v_xor_b32_e32 v76, s15, v76
	v_cmp_gt_i32_e64 s15, 0, v75
	v_and_b32_e32 v70, v70, v74
	v_ashrrev_i32_e32 v73, 31, v73
	s_wait_alu 0xfffd
	v_xor_b32_e32 v72, vcc_lo, v72
	v_mad_u32_u24 v74, v71, 36, v147
	v_mul_u32_u24_e32 v71, 36, v71
	v_and_b32_e32 v70, v70, v76
	s_wait_alu 0xf1ff
	v_xor_b32_e32 v73, s15, v73
	ds_load_b32 v179, v74 offset:1056
	v_add_nc_u32_e32 v181, v147, v71
	v_and_b32_e32 v70, v70, v72
	; wave barrier
	s_delay_alu instid0(VALU_DEP_1) | instskip(NEXT) | instid1(VALU_DEP_1)
	v_and_b32_e32 v70, v70, v73
	v_mbcnt_lo_u32_b32 v180, v70, 0
	v_cmp_ne_u32_e64 s15, 0, v70
	s_delay_alu instid0(VALU_DEP_2)
	v_cmp_eq_u32_e32 vcc_lo, 0, v180
	s_and_b32 s16, s15, vcc_lo
	s_wait_alu 0xfffe
	s_and_saveexec_b32 s15, s16
	s_cbranch_execz .LBB1227_434
; %bb.433:                              ;   in Loop: Header=BB1227_388 Depth=2
	s_wait_dscnt 0x0
	v_bcnt_u32_b32 v70, v70, v179
	ds_store_b32 v181, v70 offset:1056
.LBB1227_434:                           ;   in Loop: Header=BB1227_388 Depth=2
	s_wait_alu 0xfffe
	s_or_b32 exec_lo, exec_lo, s15
	v_cmp_lt_i64_e32 vcc_lo, -1, v[58:59]
	v_ashrrev_i32_e32 v71, 31, v59
	; wave barrier
	s_delay_alu instid0(VALU_DEP_1) | instskip(SKIP_2) | instid1(VALU_DEP_1)
	v_xor_b32_e32 v58, v71, v58
	s_wait_alu 0xfffd
	v_cndmask_b32_e64 v70, -1, 0x80000000, vcc_lo
	v_xor_b32_e32 v59, v70, v59
	s_delay_alu instid0(VALU_DEP_1) | instskip(SKIP_3) | instid1(VALU_DEP_1)
	v_cmp_ne_u64_e32 vcc_lo, s[42:43], v[58:59]
	s_wait_alu 0xfffd
	v_cndmask_b32_e32 v71, 0x80000000, v59, vcc_lo
	v_cndmask_b32_e32 v70, 0, v58, vcc_lo
	v_lshrrev_b64 v[70:71], s48, v[70:71]
	s_delay_alu instid0(VALU_DEP_1) | instskip(NEXT) | instid1(VALU_DEP_1)
	v_and_b32_e32 v71, s57, v70
	v_and_b32_e32 v70, 1, v71
	v_lshlrev_b32_e32 v72, 30, v71
	v_lshlrev_b32_e32 v73, 29, v71
	;; [unrolled: 1-line block ×4, first 2 shown]
	v_add_co_u32 v70, s15, v70, -1
	s_wait_alu 0xf1ff
	v_cndmask_b32_e64 v75, 0, 1, s15
	v_not_b32_e32 v183, v72
	v_cmp_gt_i32_e64 s15, 0, v72
	v_not_b32_e32 v72, v73
	v_lshlrev_b32_e32 v77, 26, v71
	v_cmp_ne_u32_e32 vcc_lo, 0, v75
	v_ashrrev_i32_e32 v183, 31, v183
	v_lshlrev_b32_e32 v182, 25, v71
	v_ashrrev_i32_e32 v72, 31, v72
	v_lshlrev_b32_e32 v75, 24, v71
	s_wait_alu 0xfffd
	v_xor_b32_e32 v70, vcc_lo, v70
	v_cmp_gt_i32_e32 vcc_lo, 0, v73
	v_not_b32_e32 v73, v74
	s_wait_alu 0xf1ff
	v_xor_b32_e32 v183, s15, v183
	v_cmp_gt_i32_e64 s15, 0, v74
	v_and_b32_e32 v70, exec_lo, v70
	v_not_b32_e32 v74, v76
	v_ashrrev_i32_e32 v73, 31, v73
	s_wait_alu 0xfffd
	v_xor_b32_e32 v72, vcc_lo, v72
	v_cmp_gt_i32_e32 vcc_lo, 0, v76
	v_and_b32_e32 v70, v70, v183
	v_not_b32_e32 v76, v77
	v_ashrrev_i32_e32 v74, 31, v74
	s_wait_alu 0xf1ff
	v_xor_b32_e32 v73, s15, v73
	v_cmp_gt_i32_e64 s15, 0, v77
	v_and_b32_e32 v70, v70, v72
	v_not_b32_e32 v72, v182
	v_ashrrev_i32_e32 v76, 31, v76
	s_wait_alu 0xfffd
	v_xor_b32_e32 v74, vcc_lo, v74
	v_cmp_gt_i32_e32 vcc_lo, 0, v182
	v_and_b32_e32 v70, v70, v73
	v_not_b32_e32 v73, v75
	v_ashrrev_i32_e32 v72, 31, v72
	s_wait_alu 0xf1ff
	v_xor_b32_e32 v76, s15, v76
	v_cmp_gt_i32_e64 s15, 0, v75
	v_and_b32_e32 v70, v70, v74
	v_ashrrev_i32_e32 v73, 31, v73
	s_wait_alu 0xfffd
	v_xor_b32_e32 v72, vcc_lo, v72
	v_mad_u32_u24 v74, v71, 36, v147
	v_mul_u32_u24_e32 v71, 36, v71
	v_and_b32_e32 v70, v70, v76
	s_wait_alu 0xf1ff
	v_xor_b32_e32 v73, s15, v73
	ds_load_b32 v182, v74 offset:1056
	v_add_nc_u32_e32 v184, v147, v71
	v_and_b32_e32 v70, v70, v72
	; wave barrier
	s_delay_alu instid0(VALU_DEP_1) | instskip(NEXT) | instid1(VALU_DEP_1)
	v_and_b32_e32 v70, v70, v73
	v_mbcnt_lo_u32_b32 v183, v70, 0
	v_cmp_ne_u32_e64 s15, 0, v70
	s_delay_alu instid0(VALU_DEP_2)
	v_cmp_eq_u32_e32 vcc_lo, 0, v183
	s_and_b32 s16, s15, vcc_lo
	s_wait_alu 0xfffe
	s_and_saveexec_b32 s15, s16
	s_cbranch_execz .LBB1227_436
; %bb.435:                              ;   in Loop: Header=BB1227_388 Depth=2
	s_wait_dscnt 0x0
	v_bcnt_u32_b32 v70, v70, v182
	ds_store_b32 v184, v70 offset:1056
.LBB1227_436:                           ;   in Loop: Header=BB1227_388 Depth=2
	s_wait_alu 0xfffe
	s_or_b32 exec_lo, exec_lo, s15
	v_cmp_lt_i64_e32 vcc_lo, -1, v[62:63]
	v_ashrrev_i32_e32 v71, 31, v63
	; wave barrier
	s_delay_alu instid0(VALU_DEP_1) | instskip(SKIP_2) | instid1(VALU_DEP_1)
	v_xor_b32_e32 v62, v71, v62
	s_wait_alu 0xfffd
	v_cndmask_b32_e64 v70, -1, 0x80000000, vcc_lo
	v_xor_b32_e32 v63, v70, v63
	s_delay_alu instid0(VALU_DEP_1) | instskip(SKIP_3) | instid1(VALU_DEP_1)
	v_cmp_ne_u64_e32 vcc_lo, s[42:43], v[62:63]
	s_wait_alu 0xfffd
	v_cndmask_b32_e32 v71, 0x80000000, v63, vcc_lo
	v_cndmask_b32_e32 v70, 0, v62, vcc_lo
	v_lshrrev_b64 v[70:71], s48, v[70:71]
	s_delay_alu instid0(VALU_DEP_1) | instskip(NEXT) | instid1(VALU_DEP_1)
	v_and_b32_e32 v71, s57, v70
	v_and_b32_e32 v70, 1, v71
	v_lshlrev_b32_e32 v72, 30, v71
	v_lshlrev_b32_e32 v73, 29, v71
	;; [unrolled: 1-line block ×4, first 2 shown]
	v_add_co_u32 v70, s15, v70, -1
	s_wait_alu 0xf1ff
	v_cndmask_b32_e64 v75, 0, 1, s15
	v_not_b32_e32 v186, v72
	v_cmp_gt_i32_e64 s15, 0, v72
	v_not_b32_e32 v72, v73
	v_lshlrev_b32_e32 v77, 26, v71
	v_cmp_ne_u32_e32 vcc_lo, 0, v75
	v_ashrrev_i32_e32 v186, 31, v186
	v_lshlrev_b32_e32 v185, 25, v71
	v_ashrrev_i32_e32 v72, 31, v72
	v_lshlrev_b32_e32 v75, 24, v71
	s_wait_alu 0xfffd
	v_xor_b32_e32 v70, vcc_lo, v70
	v_cmp_gt_i32_e32 vcc_lo, 0, v73
	v_not_b32_e32 v73, v74
	s_wait_alu 0xf1ff
	v_xor_b32_e32 v186, s15, v186
	v_cmp_gt_i32_e64 s15, 0, v74
	v_and_b32_e32 v70, exec_lo, v70
	v_not_b32_e32 v74, v76
	v_ashrrev_i32_e32 v73, 31, v73
	s_wait_alu 0xfffd
	v_xor_b32_e32 v72, vcc_lo, v72
	v_cmp_gt_i32_e32 vcc_lo, 0, v76
	v_and_b32_e32 v70, v70, v186
	v_not_b32_e32 v76, v77
	v_ashrrev_i32_e32 v74, 31, v74
	s_wait_alu 0xf1ff
	v_xor_b32_e32 v73, s15, v73
	v_cmp_gt_i32_e64 s15, 0, v77
	v_and_b32_e32 v70, v70, v72
	v_not_b32_e32 v72, v185
	v_ashrrev_i32_e32 v76, 31, v76
	s_wait_alu 0xfffd
	v_xor_b32_e32 v74, vcc_lo, v74
	v_cmp_gt_i32_e32 vcc_lo, 0, v185
	v_and_b32_e32 v70, v70, v73
	v_not_b32_e32 v73, v75
	v_ashrrev_i32_e32 v72, 31, v72
	s_wait_alu 0xf1ff
	v_xor_b32_e32 v76, s15, v76
	v_cmp_gt_i32_e64 s15, 0, v75
	v_and_b32_e32 v70, v70, v74
	v_ashrrev_i32_e32 v73, 31, v73
	s_wait_alu 0xfffd
	v_xor_b32_e32 v72, vcc_lo, v72
	v_mad_u32_u24 v74, v71, 36, v147
	v_mul_u32_u24_e32 v71, 36, v71
	v_and_b32_e32 v70, v70, v76
	s_wait_alu 0xf1ff
	v_xor_b32_e32 v73, s15, v73
	ds_load_b32 v185, v74 offset:1056
	v_add_nc_u32_e32 v187, v147, v71
	v_and_b32_e32 v70, v70, v72
	; wave barrier
	s_delay_alu instid0(VALU_DEP_1) | instskip(NEXT) | instid1(VALU_DEP_1)
	v_and_b32_e32 v70, v70, v73
	v_mbcnt_lo_u32_b32 v186, v70, 0
	v_cmp_ne_u32_e64 s15, 0, v70
	s_delay_alu instid0(VALU_DEP_2)
	v_cmp_eq_u32_e32 vcc_lo, 0, v186
	s_and_b32 s16, s15, vcc_lo
	s_wait_alu 0xfffe
	s_and_saveexec_b32 s15, s16
	s_cbranch_execz .LBB1227_438
; %bb.437:                              ;   in Loop: Header=BB1227_388 Depth=2
	s_wait_dscnt 0x0
	v_bcnt_u32_b32 v70, v70, v185
	ds_store_b32 v187, v70 offset:1056
.LBB1227_438:                           ;   in Loop: Header=BB1227_388 Depth=2
	s_wait_alu 0xfffe
	s_or_b32 exec_lo, exec_lo, s15
	v_cmp_lt_i64_e32 vcc_lo, -1, v[66:67]
	v_ashrrev_i32_e32 v71, 31, v67
	; wave barrier
	s_delay_alu instid0(VALU_DEP_1) | instskip(SKIP_2) | instid1(VALU_DEP_1)
	v_xor_b32_e32 v66, v71, v66
	s_wait_alu 0xfffd
	v_cndmask_b32_e64 v70, -1, 0x80000000, vcc_lo
	v_xor_b32_e32 v67, v70, v67
	s_delay_alu instid0(VALU_DEP_1) | instskip(SKIP_3) | instid1(VALU_DEP_1)
	v_cmp_ne_u64_e32 vcc_lo, s[42:43], v[66:67]
	s_wait_alu 0xfffd
	v_cndmask_b32_e32 v71, 0x80000000, v67, vcc_lo
	v_cndmask_b32_e32 v70, 0, v66, vcc_lo
	v_lshrrev_b64 v[70:71], s48, v[70:71]
	s_delay_alu instid0(VALU_DEP_1) | instskip(NEXT) | instid1(VALU_DEP_1)
	v_and_b32_e32 v71, s57, v70
	v_and_b32_e32 v70, 1, v71
	v_lshlrev_b32_e32 v72, 30, v71
	v_lshlrev_b32_e32 v73, 29, v71
	;; [unrolled: 1-line block ×4, first 2 shown]
	v_add_co_u32 v70, s15, v70, -1
	s_wait_alu 0xf1ff
	v_cndmask_b32_e64 v75, 0, 1, s15
	v_not_b32_e32 v189, v72
	v_cmp_gt_i32_e64 s15, 0, v72
	v_not_b32_e32 v72, v73
	v_lshlrev_b32_e32 v77, 26, v71
	v_cmp_ne_u32_e32 vcc_lo, 0, v75
	v_ashrrev_i32_e32 v189, 31, v189
	v_lshlrev_b32_e32 v188, 25, v71
	v_ashrrev_i32_e32 v72, 31, v72
	v_lshlrev_b32_e32 v75, 24, v71
	s_wait_alu 0xfffd
	v_xor_b32_e32 v70, vcc_lo, v70
	v_cmp_gt_i32_e32 vcc_lo, 0, v73
	v_not_b32_e32 v73, v74
	s_wait_alu 0xf1ff
	v_xor_b32_e32 v189, s15, v189
	v_cmp_gt_i32_e64 s15, 0, v74
	v_and_b32_e32 v70, exec_lo, v70
	v_not_b32_e32 v74, v76
	v_ashrrev_i32_e32 v73, 31, v73
	s_wait_alu 0xfffd
	v_xor_b32_e32 v72, vcc_lo, v72
	v_cmp_gt_i32_e32 vcc_lo, 0, v76
	v_and_b32_e32 v70, v70, v189
	v_not_b32_e32 v76, v77
	v_ashrrev_i32_e32 v74, 31, v74
	s_wait_alu 0xf1ff
	v_xor_b32_e32 v73, s15, v73
	v_cmp_gt_i32_e64 s15, 0, v77
	v_and_b32_e32 v70, v70, v72
	v_not_b32_e32 v72, v188
	v_ashrrev_i32_e32 v76, 31, v76
	s_wait_alu 0xfffd
	v_xor_b32_e32 v74, vcc_lo, v74
	v_cmp_gt_i32_e32 vcc_lo, 0, v188
	v_and_b32_e32 v70, v70, v73
	v_not_b32_e32 v73, v75
	v_ashrrev_i32_e32 v72, 31, v72
	s_wait_alu 0xf1ff
	v_xor_b32_e32 v76, s15, v76
	v_cmp_gt_i32_e64 s15, 0, v75
	v_and_b32_e32 v70, v70, v74
	v_ashrrev_i32_e32 v73, 31, v73
	s_wait_alu 0xfffd
	v_xor_b32_e32 v72, vcc_lo, v72
	v_mad_u32_u24 v74, v71, 36, v147
	v_mul_u32_u24_e32 v71, 36, v71
	v_and_b32_e32 v70, v70, v76
	s_wait_alu 0xf1ff
	v_xor_b32_e32 v73, s15, v73
	ds_load_b32 v188, v74 offset:1056
	v_add_nc_u32_e32 v190, v147, v71
	v_and_b32_e32 v70, v70, v72
	; wave barrier
	s_delay_alu instid0(VALU_DEP_1) | instskip(NEXT) | instid1(VALU_DEP_1)
	v_and_b32_e32 v70, v70, v73
	v_mbcnt_lo_u32_b32 v189, v70, 0
	v_cmp_ne_u32_e64 s15, 0, v70
	s_delay_alu instid0(VALU_DEP_2)
	v_cmp_eq_u32_e32 vcc_lo, 0, v189
	s_and_b32 s16, s15, vcc_lo
	s_wait_alu 0xfffe
	s_and_saveexec_b32 s15, s16
	s_cbranch_execz .LBB1227_440
; %bb.439:                              ;   in Loop: Header=BB1227_388 Depth=2
	s_wait_dscnt 0x0
	v_bcnt_u32_b32 v70, v70, v188
	ds_store_b32 v190, v70 offset:1056
.LBB1227_440:                           ;   in Loop: Header=BB1227_388 Depth=2
	s_wait_alu 0xfffe
	s_or_b32 exec_lo, exec_lo, s15
	v_cmp_lt_i64_e32 vcc_lo, -1, v[68:69]
	v_ashrrev_i32_e32 v71, 31, v69
	; wave barrier
	s_delay_alu instid0(VALU_DEP_1) | instskip(SKIP_2) | instid1(VALU_DEP_1)
	v_xor_b32_e32 v68, v71, v68
	s_wait_alu 0xfffd
	v_cndmask_b32_e64 v70, -1, 0x80000000, vcc_lo
	v_xor_b32_e32 v69, v70, v69
	s_delay_alu instid0(VALU_DEP_1) | instskip(SKIP_3) | instid1(VALU_DEP_1)
	v_cmp_ne_u64_e32 vcc_lo, s[42:43], v[68:69]
	s_wait_alu 0xfffd
	v_cndmask_b32_e32 v71, 0x80000000, v69, vcc_lo
	v_cndmask_b32_e32 v70, 0, v68, vcc_lo
	v_lshrrev_b64 v[70:71], s48, v[70:71]
	s_delay_alu instid0(VALU_DEP_1) | instskip(NEXT) | instid1(VALU_DEP_1)
	v_and_b32_e32 v71, s57, v70
	v_and_b32_e32 v70, 1, v71
	v_lshlrev_b32_e32 v72, 30, v71
	v_lshlrev_b32_e32 v73, 29, v71
	;; [unrolled: 1-line block ×4, first 2 shown]
	v_add_co_u32 v70, s15, v70, -1
	s_wait_alu 0xf1ff
	v_cndmask_b32_e64 v75, 0, 1, s15
	v_not_b32_e32 v192, v72
	v_cmp_gt_i32_e64 s15, 0, v72
	v_not_b32_e32 v72, v73
	v_lshlrev_b32_e32 v77, 26, v71
	v_cmp_ne_u32_e32 vcc_lo, 0, v75
	v_ashrrev_i32_e32 v192, 31, v192
	v_lshlrev_b32_e32 v191, 25, v71
	v_ashrrev_i32_e32 v72, 31, v72
	v_lshlrev_b32_e32 v75, 24, v71
	s_wait_alu 0xfffd
	v_xor_b32_e32 v70, vcc_lo, v70
	v_cmp_gt_i32_e32 vcc_lo, 0, v73
	v_not_b32_e32 v73, v74
	s_wait_alu 0xf1ff
	v_xor_b32_e32 v192, s15, v192
	v_cmp_gt_i32_e64 s15, 0, v74
	v_and_b32_e32 v70, exec_lo, v70
	v_not_b32_e32 v74, v76
	v_ashrrev_i32_e32 v73, 31, v73
	s_wait_alu 0xfffd
	v_xor_b32_e32 v72, vcc_lo, v72
	v_cmp_gt_i32_e32 vcc_lo, 0, v76
	v_and_b32_e32 v70, v70, v192
	v_not_b32_e32 v76, v77
	v_ashrrev_i32_e32 v74, 31, v74
	s_wait_alu 0xf1ff
	v_xor_b32_e32 v73, s15, v73
	v_cmp_gt_i32_e64 s15, 0, v77
	v_and_b32_e32 v70, v70, v72
	v_not_b32_e32 v72, v191
	v_ashrrev_i32_e32 v76, 31, v76
	s_wait_alu 0xfffd
	v_xor_b32_e32 v74, vcc_lo, v74
	v_cmp_gt_i32_e32 vcc_lo, 0, v191
	v_and_b32_e32 v70, v70, v73
	v_not_b32_e32 v73, v75
	v_ashrrev_i32_e32 v72, 31, v72
	s_wait_alu 0xf1ff
	v_xor_b32_e32 v76, s15, v76
	v_cmp_gt_i32_e64 s15, 0, v75
	v_and_b32_e32 v70, v70, v74
	v_ashrrev_i32_e32 v73, 31, v73
	s_wait_alu 0xfffd
	v_xor_b32_e32 v72, vcc_lo, v72
	v_mad_u32_u24 v74, v71, 36, v147
	v_mul_u32_u24_e32 v71, 36, v71
	v_and_b32_e32 v70, v70, v76
	s_wait_alu 0xf1ff
	v_xor_b32_e32 v73, s15, v73
	ds_load_b32 v191, v74 offset:1056
	v_add_nc_u32_e32 v193, v147, v71
	v_and_b32_e32 v70, v70, v72
	; wave barrier
	s_delay_alu instid0(VALU_DEP_1) | instskip(NEXT) | instid1(VALU_DEP_1)
	v_and_b32_e32 v70, v70, v73
	v_mbcnt_lo_u32_b32 v192, v70, 0
	v_cmp_ne_u32_e64 s15, 0, v70
	s_delay_alu instid0(VALU_DEP_2)
	v_cmp_eq_u32_e32 vcc_lo, 0, v192
	s_and_b32 s16, s15, vcc_lo
	s_wait_alu 0xfffe
	s_and_saveexec_b32 s15, s16
	s_cbranch_execz .LBB1227_442
; %bb.441:                              ;   in Loop: Header=BB1227_388 Depth=2
	s_wait_dscnt 0x0
	v_bcnt_u32_b32 v70, v70, v191
	ds_store_b32 v193, v70 offset:1056
.LBB1227_442:                           ;   in Loop: Header=BB1227_388 Depth=2
	s_wait_alu 0xfffe
	s_or_b32 exec_lo, exec_lo, s15
	v_cmp_lt_i64_e32 vcc_lo, -1, v[64:65]
	v_ashrrev_i32_e32 v71, 31, v65
	; wave barrier
	s_delay_alu instid0(VALU_DEP_1) | instskip(SKIP_2) | instid1(VALU_DEP_1)
	v_xor_b32_e32 v64, v71, v64
	s_wait_alu 0xfffd
	v_cndmask_b32_e64 v70, -1, 0x80000000, vcc_lo
	v_xor_b32_e32 v65, v70, v65
	s_delay_alu instid0(VALU_DEP_1) | instskip(SKIP_3) | instid1(VALU_DEP_1)
	v_cmp_ne_u64_e32 vcc_lo, s[42:43], v[64:65]
	s_wait_alu 0xfffd
	v_cndmask_b32_e32 v71, 0x80000000, v65, vcc_lo
	v_cndmask_b32_e32 v70, 0, v64, vcc_lo
	v_lshrrev_b64 v[70:71], s48, v[70:71]
	s_delay_alu instid0(VALU_DEP_1) | instskip(NEXT) | instid1(VALU_DEP_1)
	v_and_b32_e32 v71, s57, v70
	v_and_b32_e32 v70, 1, v71
	v_lshlrev_b32_e32 v72, 30, v71
	v_lshlrev_b32_e32 v73, 29, v71
	;; [unrolled: 1-line block ×4, first 2 shown]
	v_add_co_u32 v70, s15, v70, -1
	s_wait_alu 0xf1ff
	v_cndmask_b32_e64 v75, 0, 1, s15
	v_not_b32_e32 v195, v72
	v_cmp_gt_i32_e64 s15, 0, v72
	v_not_b32_e32 v72, v73
	v_lshlrev_b32_e32 v77, 26, v71
	v_cmp_ne_u32_e32 vcc_lo, 0, v75
	v_ashrrev_i32_e32 v195, 31, v195
	v_lshlrev_b32_e32 v194, 25, v71
	v_ashrrev_i32_e32 v72, 31, v72
	v_lshlrev_b32_e32 v75, 24, v71
	s_wait_alu 0xfffd
	v_xor_b32_e32 v70, vcc_lo, v70
	v_cmp_gt_i32_e32 vcc_lo, 0, v73
	v_not_b32_e32 v73, v74
	s_wait_alu 0xf1ff
	v_xor_b32_e32 v195, s15, v195
	v_cmp_gt_i32_e64 s15, 0, v74
	v_and_b32_e32 v70, exec_lo, v70
	v_not_b32_e32 v74, v76
	v_ashrrev_i32_e32 v73, 31, v73
	s_wait_alu 0xfffd
	v_xor_b32_e32 v72, vcc_lo, v72
	v_cmp_gt_i32_e32 vcc_lo, 0, v76
	v_and_b32_e32 v70, v70, v195
	v_not_b32_e32 v76, v77
	v_ashrrev_i32_e32 v74, 31, v74
	s_wait_alu 0xf1ff
	v_xor_b32_e32 v73, s15, v73
	v_cmp_gt_i32_e64 s15, 0, v77
	v_and_b32_e32 v70, v70, v72
	v_not_b32_e32 v72, v194
	v_ashrrev_i32_e32 v76, 31, v76
	s_wait_alu 0xfffd
	v_xor_b32_e32 v74, vcc_lo, v74
	v_cmp_gt_i32_e32 vcc_lo, 0, v194
	v_and_b32_e32 v70, v70, v73
	v_not_b32_e32 v73, v75
	v_ashrrev_i32_e32 v72, 31, v72
	s_wait_alu 0xf1ff
	v_xor_b32_e32 v76, s15, v76
	v_cmp_gt_i32_e64 s15, 0, v75
	v_and_b32_e32 v70, v70, v74
	v_ashrrev_i32_e32 v73, 31, v73
	s_wait_alu 0xfffd
	v_xor_b32_e32 v72, vcc_lo, v72
	v_mad_u32_u24 v74, v71, 36, v147
	v_mul_u32_u24_e32 v71, 36, v71
	v_and_b32_e32 v70, v70, v76
	s_wait_alu 0xf1ff
	v_xor_b32_e32 v73, s15, v73
	ds_load_b32 v194, v74 offset:1056
	v_add_nc_u32_e32 v196, v147, v71
	v_and_b32_e32 v70, v70, v72
	; wave barrier
	s_delay_alu instid0(VALU_DEP_1) | instskip(NEXT) | instid1(VALU_DEP_1)
	v_and_b32_e32 v70, v70, v73
	v_mbcnt_lo_u32_b32 v195, v70, 0
	v_cmp_ne_u32_e64 s15, 0, v70
	s_delay_alu instid0(VALU_DEP_2)
	v_cmp_eq_u32_e32 vcc_lo, 0, v195
	s_and_b32 s16, s15, vcc_lo
	s_wait_alu 0xfffe
	s_and_saveexec_b32 s15, s16
	s_cbranch_execz .LBB1227_444
; %bb.443:                              ;   in Loop: Header=BB1227_388 Depth=2
	s_wait_dscnt 0x0
	v_bcnt_u32_b32 v70, v70, v194
	ds_store_b32 v196, v70 offset:1056
.LBB1227_444:                           ;   in Loop: Header=BB1227_388 Depth=2
	s_wait_alu 0xfffe
	s_or_b32 exec_lo, exec_lo, s15
	v_cmp_lt_i64_e32 vcc_lo, -1, v[60:61]
	v_ashrrev_i32_e32 v71, 31, v61
	; wave barrier
	s_delay_alu instid0(VALU_DEP_1) | instskip(SKIP_2) | instid1(VALU_DEP_1)
	v_xor_b32_e32 v60, v71, v60
	s_wait_alu 0xfffd
	v_cndmask_b32_e64 v70, -1, 0x80000000, vcc_lo
	v_xor_b32_e32 v61, v70, v61
	s_delay_alu instid0(VALU_DEP_1) | instskip(SKIP_3) | instid1(VALU_DEP_1)
	v_cmp_ne_u64_e32 vcc_lo, s[42:43], v[60:61]
	s_wait_alu 0xfffd
	v_cndmask_b32_e32 v71, 0x80000000, v61, vcc_lo
	v_cndmask_b32_e32 v70, 0, v60, vcc_lo
	v_lshrrev_b64 v[70:71], s48, v[70:71]
	s_delay_alu instid0(VALU_DEP_1) | instskip(NEXT) | instid1(VALU_DEP_1)
	v_and_b32_e32 v71, s57, v70
	v_and_b32_e32 v70, 1, v71
	v_lshlrev_b32_e32 v72, 30, v71
	v_lshlrev_b32_e32 v73, 29, v71
	;; [unrolled: 1-line block ×4, first 2 shown]
	v_add_co_u32 v70, s15, v70, -1
	s_wait_alu 0xf1ff
	v_cndmask_b32_e64 v75, 0, 1, s15
	v_not_b32_e32 v198, v72
	v_cmp_gt_i32_e64 s15, 0, v72
	v_not_b32_e32 v72, v73
	v_lshlrev_b32_e32 v77, 26, v71
	v_cmp_ne_u32_e32 vcc_lo, 0, v75
	v_ashrrev_i32_e32 v198, 31, v198
	v_lshlrev_b32_e32 v197, 25, v71
	v_ashrrev_i32_e32 v72, 31, v72
	v_lshlrev_b32_e32 v75, 24, v71
	s_wait_alu 0xfffd
	v_xor_b32_e32 v70, vcc_lo, v70
	v_cmp_gt_i32_e32 vcc_lo, 0, v73
	v_not_b32_e32 v73, v74
	s_wait_alu 0xf1ff
	v_xor_b32_e32 v198, s15, v198
	v_cmp_gt_i32_e64 s15, 0, v74
	v_and_b32_e32 v70, exec_lo, v70
	v_not_b32_e32 v74, v76
	v_ashrrev_i32_e32 v73, 31, v73
	s_wait_alu 0xfffd
	v_xor_b32_e32 v72, vcc_lo, v72
	v_cmp_gt_i32_e32 vcc_lo, 0, v76
	v_and_b32_e32 v70, v70, v198
	v_not_b32_e32 v76, v77
	v_ashrrev_i32_e32 v74, 31, v74
	s_wait_alu 0xf1ff
	v_xor_b32_e32 v73, s15, v73
	v_cmp_gt_i32_e64 s15, 0, v77
	v_and_b32_e32 v70, v70, v72
	v_not_b32_e32 v72, v197
	v_ashrrev_i32_e32 v76, 31, v76
	s_wait_alu 0xfffd
	v_xor_b32_e32 v74, vcc_lo, v74
	v_cmp_gt_i32_e32 vcc_lo, 0, v197
	v_and_b32_e32 v70, v70, v73
	v_not_b32_e32 v73, v75
	v_ashrrev_i32_e32 v72, 31, v72
	s_wait_alu 0xf1ff
	v_xor_b32_e32 v76, s15, v76
	v_cmp_gt_i32_e64 s15, 0, v75
	v_and_b32_e32 v70, v70, v74
	v_ashrrev_i32_e32 v73, 31, v73
	s_wait_alu 0xfffd
	v_xor_b32_e32 v72, vcc_lo, v72
	v_mad_u32_u24 v74, v71, 36, v147
	v_mul_u32_u24_e32 v71, 36, v71
	v_and_b32_e32 v70, v70, v76
	s_wait_alu 0xf1ff
	v_xor_b32_e32 v73, s15, v73
	ds_load_b32 v197, v74 offset:1056
	v_add_nc_u32_e32 v199, v147, v71
	v_and_b32_e32 v70, v70, v72
	; wave barrier
	s_delay_alu instid0(VALU_DEP_1) | instskip(NEXT) | instid1(VALU_DEP_1)
	v_and_b32_e32 v70, v70, v73
	v_mbcnt_lo_u32_b32 v198, v70, 0
	v_cmp_ne_u32_e64 s15, 0, v70
	s_delay_alu instid0(VALU_DEP_2)
	v_cmp_eq_u32_e32 vcc_lo, 0, v198
	s_and_b32 s16, s15, vcc_lo
	s_wait_alu 0xfffe
	s_and_saveexec_b32 s15, s16
	s_cbranch_execz .LBB1227_446
; %bb.445:                              ;   in Loop: Header=BB1227_388 Depth=2
	s_wait_dscnt 0x0
	v_bcnt_u32_b32 v70, v70, v197
	ds_store_b32 v199, v70 offset:1056
.LBB1227_446:                           ;   in Loop: Header=BB1227_388 Depth=2
	s_wait_alu 0xfffe
	s_or_b32 exec_lo, exec_lo, s15
	v_cmp_lt_i64_e32 vcc_lo, -1, v[56:57]
	v_ashrrev_i32_e32 v71, 31, v57
	; wave barrier
	s_delay_alu instid0(VALU_DEP_1) | instskip(SKIP_2) | instid1(VALU_DEP_1)
	v_xor_b32_e32 v56, v71, v56
	s_wait_alu 0xfffd
	v_cndmask_b32_e64 v70, -1, 0x80000000, vcc_lo
	v_xor_b32_e32 v57, v70, v57
	s_delay_alu instid0(VALU_DEP_1) | instskip(SKIP_3) | instid1(VALU_DEP_1)
	v_cmp_ne_u64_e32 vcc_lo, s[42:43], v[56:57]
	s_wait_alu 0xfffd
	v_cndmask_b32_e32 v71, 0x80000000, v57, vcc_lo
	v_cndmask_b32_e32 v70, 0, v56, vcc_lo
	v_lshrrev_b64 v[70:71], s48, v[70:71]
	s_delay_alu instid0(VALU_DEP_1) | instskip(NEXT) | instid1(VALU_DEP_1)
	v_and_b32_e32 v71, s57, v70
	v_and_b32_e32 v70, 1, v71
	v_lshlrev_b32_e32 v72, 30, v71
	v_lshlrev_b32_e32 v73, 29, v71
	;; [unrolled: 1-line block ×4, first 2 shown]
	v_add_co_u32 v70, s15, v70, -1
	s_wait_alu 0xf1ff
	v_cndmask_b32_e64 v75, 0, 1, s15
	v_not_b32_e32 v201, v72
	v_cmp_gt_i32_e64 s15, 0, v72
	v_not_b32_e32 v72, v73
	v_lshlrev_b32_e32 v77, 26, v71
	v_cmp_ne_u32_e32 vcc_lo, 0, v75
	v_ashrrev_i32_e32 v201, 31, v201
	v_lshlrev_b32_e32 v200, 25, v71
	v_ashrrev_i32_e32 v72, 31, v72
	v_lshlrev_b32_e32 v75, 24, v71
	s_wait_alu 0xfffd
	v_xor_b32_e32 v70, vcc_lo, v70
	v_cmp_gt_i32_e32 vcc_lo, 0, v73
	v_not_b32_e32 v73, v74
	s_wait_alu 0xf1ff
	v_xor_b32_e32 v201, s15, v201
	v_cmp_gt_i32_e64 s15, 0, v74
	v_and_b32_e32 v70, exec_lo, v70
	v_not_b32_e32 v74, v76
	v_ashrrev_i32_e32 v73, 31, v73
	s_wait_alu 0xfffd
	v_xor_b32_e32 v72, vcc_lo, v72
	v_cmp_gt_i32_e32 vcc_lo, 0, v76
	v_and_b32_e32 v70, v70, v201
	v_not_b32_e32 v76, v77
	v_ashrrev_i32_e32 v74, 31, v74
	s_wait_alu 0xf1ff
	v_xor_b32_e32 v73, s15, v73
	v_cmp_gt_i32_e64 s15, 0, v77
	v_and_b32_e32 v70, v70, v72
	v_not_b32_e32 v72, v200
	v_ashrrev_i32_e32 v76, 31, v76
	s_wait_alu 0xfffd
	v_xor_b32_e32 v74, vcc_lo, v74
	v_cmp_gt_i32_e32 vcc_lo, 0, v200
	v_and_b32_e32 v70, v70, v73
	v_not_b32_e32 v73, v75
	v_ashrrev_i32_e32 v72, 31, v72
	s_wait_alu 0xf1ff
	v_xor_b32_e32 v76, s15, v76
	v_cmp_gt_i32_e64 s15, 0, v75
	v_and_b32_e32 v70, v70, v74
	v_ashrrev_i32_e32 v73, 31, v73
	s_wait_alu 0xfffd
	v_xor_b32_e32 v72, vcc_lo, v72
	v_mad_u32_u24 v74, v71, 36, v147
	v_mul_u32_u24_e32 v71, 36, v71
	v_and_b32_e32 v70, v70, v76
	s_wait_alu 0xf1ff
	v_xor_b32_e32 v73, s15, v73
	ds_load_b32 v200, v74 offset:1056
	v_add_nc_u32_e32 v202, v147, v71
	v_and_b32_e32 v70, v70, v72
	; wave barrier
	s_delay_alu instid0(VALU_DEP_1) | instskip(NEXT) | instid1(VALU_DEP_1)
	v_and_b32_e32 v70, v70, v73
	v_mbcnt_lo_u32_b32 v201, v70, 0
	v_cmp_ne_u32_e64 s15, 0, v70
	s_delay_alu instid0(VALU_DEP_2)
	v_cmp_eq_u32_e32 vcc_lo, 0, v201
	s_and_b32 s16, s15, vcc_lo
	s_wait_alu 0xfffe
	s_and_saveexec_b32 s15, s16
	s_cbranch_execz .LBB1227_448
; %bb.447:                              ;   in Loop: Header=BB1227_388 Depth=2
	s_wait_dscnt 0x0
	v_bcnt_u32_b32 v70, v70, v200
	ds_store_b32 v202, v70 offset:1056
.LBB1227_448:                           ;   in Loop: Header=BB1227_388 Depth=2
	s_wait_alu 0xfffe
	s_or_b32 exec_lo, exec_lo, s15
	v_cmp_lt_i64_e32 vcc_lo, -1, v[52:53]
	v_ashrrev_i32_e32 v71, 31, v53
	; wave barrier
	s_delay_alu instid0(VALU_DEP_1) | instskip(SKIP_2) | instid1(VALU_DEP_1)
	v_xor_b32_e32 v52, v71, v52
	s_wait_alu 0xfffd
	v_cndmask_b32_e64 v70, -1, 0x80000000, vcc_lo
	v_xor_b32_e32 v53, v70, v53
	s_delay_alu instid0(VALU_DEP_1) | instskip(SKIP_3) | instid1(VALU_DEP_1)
	v_cmp_ne_u64_e32 vcc_lo, s[42:43], v[52:53]
	s_wait_alu 0xfffd
	v_cndmask_b32_e32 v71, 0x80000000, v53, vcc_lo
	v_cndmask_b32_e32 v70, 0, v52, vcc_lo
	v_lshrrev_b64 v[70:71], s48, v[70:71]
	s_delay_alu instid0(VALU_DEP_1) | instskip(NEXT) | instid1(VALU_DEP_1)
	v_and_b32_e32 v71, s57, v70
	v_and_b32_e32 v70, 1, v71
	v_lshlrev_b32_e32 v72, 30, v71
	v_lshlrev_b32_e32 v73, 29, v71
	;; [unrolled: 1-line block ×4, first 2 shown]
	v_add_co_u32 v70, s15, v70, -1
	s_wait_alu 0xf1ff
	v_cndmask_b32_e64 v75, 0, 1, s15
	v_not_b32_e32 v204, v72
	v_cmp_gt_i32_e64 s15, 0, v72
	v_not_b32_e32 v72, v73
	v_lshlrev_b32_e32 v77, 26, v71
	v_cmp_ne_u32_e32 vcc_lo, 0, v75
	v_ashrrev_i32_e32 v204, 31, v204
	v_lshlrev_b32_e32 v203, 25, v71
	v_ashrrev_i32_e32 v72, 31, v72
	v_lshlrev_b32_e32 v75, 24, v71
	s_wait_alu 0xfffd
	v_xor_b32_e32 v70, vcc_lo, v70
	v_cmp_gt_i32_e32 vcc_lo, 0, v73
	v_not_b32_e32 v73, v74
	s_wait_alu 0xf1ff
	v_xor_b32_e32 v204, s15, v204
	v_cmp_gt_i32_e64 s15, 0, v74
	v_and_b32_e32 v70, exec_lo, v70
	v_not_b32_e32 v74, v76
	v_ashrrev_i32_e32 v73, 31, v73
	s_wait_alu 0xfffd
	v_xor_b32_e32 v72, vcc_lo, v72
	v_cmp_gt_i32_e32 vcc_lo, 0, v76
	v_and_b32_e32 v70, v70, v204
	v_not_b32_e32 v76, v77
	v_ashrrev_i32_e32 v74, 31, v74
	s_wait_alu 0xf1ff
	v_xor_b32_e32 v73, s15, v73
	v_cmp_gt_i32_e64 s15, 0, v77
	v_and_b32_e32 v70, v70, v72
	v_not_b32_e32 v72, v203
	v_ashrrev_i32_e32 v76, 31, v76
	s_wait_alu 0xfffd
	v_xor_b32_e32 v74, vcc_lo, v74
	v_cmp_gt_i32_e32 vcc_lo, 0, v203
	v_and_b32_e32 v70, v70, v73
	v_not_b32_e32 v73, v75
	v_ashrrev_i32_e32 v72, 31, v72
	s_wait_alu 0xf1ff
	v_xor_b32_e32 v76, s15, v76
	v_cmp_gt_i32_e64 s15, 0, v75
	v_and_b32_e32 v70, v70, v74
	v_ashrrev_i32_e32 v73, 31, v73
	s_wait_alu 0xfffd
	v_xor_b32_e32 v72, vcc_lo, v72
	v_mad_u32_u24 v74, v71, 36, v147
	v_mul_u32_u24_e32 v71, 36, v71
	v_and_b32_e32 v70, v70, v76
	s_wait_alu 0xf1ff
	v_xor_b32_e32 v73, s15, v73
	ds_load_b32 v203, v74 offset:1056
	v_add_nc_u32_e32 v205, v147, v71
	v_and_b32_e32 v70, v70, v72
	; wave barrier
	s_delay_alu instid0(VALU_DEP_1) | instskip(NEXT) | instid1(VALU_DEP_1)
	v_and_b32_e32 v70, v70, v73
	v_mbcnt_lo_u32_b32 v204, v70, 0
	v_cmp_ne_u32_e64 s15, 0, v70
	s_delay_alu instid0(VALU_DEP_2)
	v_cmp_eq_u32_e32 vcc_lo, 0, v204
	s_and_b32 s16, s15, vcc_lo
	s_wait_alu 0xfffe
	s_and_saveexec_b32 s15, s16
	s_cbranch_execz .LBB1227_450
; %bb.449:                              ;   in Loop: Header=BB1227_388 Depth=2
	s_wait_dscnt 0x0
	v_bcnt_u32_b32 v70, v70, v203
	ds_store_b32 v205, v70 offset:1056
.LBB1227_450:                           ;   in Loop: Header=BB1227_388 Depth=2
	s_wait_alu 0xfffe
	s_or_b32 exec_lo, exec_lo, s15
	v_cmp_lt_i64_e32 vcc_lo, -1, v[50:51]
	v_ashrrev_i32_e32 v71, 31, v51
	; wave barrier
	s_delay_alu instid0(VALU_DEP_1) | instskip(SKIP_2) | instid1(VALU_DEP_1)
	v_xor_b32_e32 v50, v71, v50
	s_wait_alu 0xfffd
	v_cndmask_b32_e64 v70, -1, 0x80000000, vcc_lo
	v_xor_b32_e32 v51, v70, v51
	s_delay_alu instid0(VALU_DEP_1) | instskip(SKIP_3) | instid1(VALU_DEP_1)
	v_cmp_ne_u64_e32 vcc_lo, s[42:43], v[50:51]
	s_wait_alu 0xfffd
	v_cndmask_b32_e32 v71, 0x80000000, v51, vcc_lo
	v_cndmask_b32_e32 v70, 0, v50, vcc_lo
	v_lshrrev_b64 v[70:71], s48, v[70:71]
	s_delay_alu instid0(VALU_DEP_1) | instskip(NEXT) | instid1(VALU_DEP_1)
	v_and_b32_e32 v71, s57, v70
	v_and_b32_e32 v70, 1, v71
	v_lshlrev_b32_e32 v72, 30, v71
	v_lshlrev_b32_e32 v73, 29, v71
	;; [unrolled: 1-line block ×4, first 2 shown]
	v_add_co_u32 v70, s15, v70, -1
	s_wait_alu 0xf1ff
	v_cndmask_b32_e64 v75, 0, 1, s15
	v_not_b32_e32 v207, v72
	v_cmp_gt_i32_e64 s15, 0, v72
	v_not_b32_e32 v72, v73
	v_lshlrev_b32_e32 v77, 26, v71
	v_cmp_ne_u32_e32 vcc_lo, 0, v75
	v_ashrrev_i32_e32 v207, 31, v207
	v_lshlrev_b32_e32 v206, 25, v71
	v_ashrrev_i32_e32 v72, 31, v72
	v_lshlrev_b32_e32 v75, 24, v71
	s_wait_alu 0xfffd
	v_xor_b32_e32 v70, vcc_lo, v70
	v_cmp_gt_i32_e32 vcc_lo, 0, v73
	v_not_b32_e32 v73, v74
	s_wait_alu 0xf1ff
	v_xor_b32_e32 v207, s15, v207
	v_cmp_gt_i32_e64 s15, 0, v74
	v_and_b32_e32 v70, exec_lo, v70
	v_not_b32_e32 v74, v76
	v_ashrrev_i32_e32 v73, 31, v73
	s_wait_alu 0xfffd
	v_xor_b32_e32 v72, vcc_lo, v72
	v_cmp_gt_i32_e32 vcc_lo, 0, v76
	v_and_b32_e32 v70, v70, v207
	v_not_b32_e32 v76, v77
	v_ashrrev_i32_e32 v74, 31, v74
	s_wait_alu 0xf1ff
	v_xor_b32_e32 v73, s15, v73
	v_cmp_gt_i32_e64 s15, 0, v77
	v_and_b32_e32 v70, v70, v72
	v_not_b32_e32 v72, v206
	v_ashrrev_i32_e32 v76, 31, v76
	s_wait_alu 0xfffd
	v_xor_b32_e32 v74, vcc_lo, v74
	v_cmp_gt_i32_e32 vcc_lo, 0, v206
	v_and_b32_e32 v70, v70, v73
	v_not_b32_e32 v73, v75
	v_ashrrev_i32_e32 v72, 31, v72
	s_wait_alu 0xf1ff
	v_xor_b32_e32 v76, s15, v76
	v_cmp_gt_i32_e64 s15, 0, v75
	v_and_b32_e32 v70, v70, v74
	v_ashrrev_i32_e32 v73, 31, v73
	s_wait_alu 0xfffd
	v_xor_b32_e32 v72, vcc_lo, v72
	v_mad_u32_u24 v74, v71, 36, v147
	v_mul_u32_u24_e32 v71, 36, v71
	v_and_b32_e32 v70, v70, v76
	s_wait_alu 0xf1ff
	v_xor_b32_e32 v73, s15, v73
	ds_load_b32 v206, v74 offset:1056
	v_add_nc_u32_e32 v208, v147, v71
	v_and_b32_e32 v70, v70, v72
	; wave barrier
	s_delay_alu instid0(VALU_DEP_1) | instskip(NEXT) | instid1(VALU_DEP_1)
	v_and_b32_e32 v70, v70, v73
	v_mbcnt_lo_u32_b32 v207, v70, 0
	v_cmp_ne_u32_e64 s15, 0, v70
	s_delay_alu instid0(VALU_DEP_2)
	v_cmp_eq_u32_e32 vcc_lo, 0, v207
	s_and_b32 s16, s15, vcc_lo
	s_wait_alu 0xfffe
	s_and_saveexec_b32 s15, s16
	s_cbranch_execz .LBB1227_452
; %bb.451:                              ;   in Loop: Header=BB1227_388 Depth=2
	s_wait_dscnt 0x0
	v_bcnt_u32_b32 v70, v70, v206
	ds_store_b32 v208, v70 offset:1056
.LBB1227_452:                           ;   in Loop: Header=BB1227_388 Depth=2
	s_wait_alu 0xfffe
	s_or_b32 exec_lo, exec_lo, s15
	v_cmp_lt_i64_e32 vcc_lo, -1, v[46:47]
	v_ashrrev_i32_e32 v71, 31, v47
	; wave barrier
	s_delay_alu instid0(VALU_DEP_1) | instskip(SKIP_2) | instid1(VALU_DEP_1)
	v_xor_b32_e32 v46, v71, v46
	s_wait_alu 0xfffd
	v_cndmask_b32_e64 v70, -1, 0x80000000, vcc_lo
	v_xor_b32_e32 v47, v70, v47
	s_delay_alu instid0(VALU_DEP_1) | instskip(SKIP_3) | instid1(VALU_DEP_1)
	v_cmp_ne_u64_e32 vcc_lo, s[42:43], v[46:47]
	s_wait_alu 0xfffd
	v_cndmask_b32_e32 v71, 0x80000000, v47, vcc_lo
	v_cndmask_b32_e32 v70, 0, v46, vcc_lo
	v_lshrrev_b64 v[70:71], s48, v[70:71]
	s_delay_alu instid0(VALU_DEP_1) | instskip(NEXT) | instid1(VALU_DEP_1)
	v_and_b32_e32 v71, s57, v70
	v_and_b32_e32 v70, 1, v71
	v_lshlrev_b32_e32 v72, 30, v71
	v_lshlrev_b32_e32 v73, 29, v71
	;; [unrolled: 1-line block ×4, first 2 shown]
	v_add_co_u32 v70, s15, v70, -1
	s_wait_alu 0xf1ff
	v_cndmask_b32_e64 v75, 0, 1, s15
	v_not_b32_e32 v210, v72
	v_cmp_gt_i32_e64 s15, 0, v72
	v_not_b32_e32 v72, v73
	v_lshlrev_b32_e32 v77, 26, v71
	v_cmp_ne_u32_e32 vcc_lo, 0, v75
	v_ashrrev_i32_e32 v210, 31, v210
	v_lshlrev_b32_e32 v209, 25, v71
	v_ashrrev_i32_e32 v72, 31, v72
	v_lshlrev_b32_e32 v75, 24, v71
	s_wait_alu 0xfffd
	v_xor_b32_e32 v70, vcc_lo, v70
	v_cmp_gt_i32_e32 vcc_lo, 0, v73
	v_not_b32_e32 v73, v74
	s_wait_alu 0xf1ff
	v_xor_b32_e32 v210, s15, v210
	v_cmp_gt_i32_e64 s15, 0, v74
	v_and_b32_e32 v70, exec_lo, v70
	v_not_b32_e32 v74, v76
	v_ashrrev_i32_e32 v73, 31, v73
	s_wait_alu 0xfffd
	v_xor_b32_e32 v72, vcc_lo, v72
	v_cmp_gt_i32_e32 vcc_lo, 0, v76
	v_and_b32_e32 v70, v70, v210
	v_not_b32_e32 v76, v77
	v_ashrrev_i32_e32 v74, 31, v74
	s_wait_alu 0xf1ff
	v_xor_b32_e32 v73, s15, v73
	v_cmp_gt_i32_e64 s15, 0, v77
	v_and_b32_e32 v70, v70, v72
	v_not_b32_e32 v72, v209
	v_ashrrev_i32_e32 v76, 31, v76
	s_wait_alu 0xfffd
	v_xor_b32_e32 v74, vcc_lo, v74
	v_cmp_gt_i32_e32 vcc_lo, 0, v209
	v_and_b32_e32 v70, v70, v73
	v_not_b32_e32 v73, v75
	v_ashrrev_i32_e32 v72, 31, v72
	s_wait_alu 0xf1ff
	v_xor_b32_e32 v76, s15, v76
	v_cmp_gt_i32_e64 s15, 0, v75
	v_and_b32_e32 v70, v70, v74
	v_ashrrev_i32_e32 v73, 31, v73
	s_wait_alu 0xfffd
	v_xor_b32_e32 v72, vcc_lo, v72
	v_mad_u32_u24 v74, v71, 36, v147
	v_mul_u32_u24_e32 v71, 36, v71
	v_and_b32_e32 v70, v70, v76
	s_wait_alu 0xf1ff
	v_xor_b32_e32 v73, s15, v73
	ds_load_b32 v209, v74 offset:1056
	v_add_nc_u32_e32 v212, v147, v71
	v_and_b32_e32 v70, v70, v72
	; wave barrier
	s_delay_alu instid0(VALU_DEP_1) | instskip(NEXT) | instid1(VALU_DEP_1)
	v_and_b32_e32 v70, v70, v73
	v_mbcnt_lo_u32_b32 v210, v70, 0
	v_cmp_ne_u32_e64 s15, 0, v70
	s_delay_alu instid0(VALU_DEP_2)
	v_cmp_eq_u32_e32 vcc_lo, 0, v210
	s_and_b32 s16, s15, vcc_lo
	s_wait_alu 0xfffe
	s_and_saveexec_b32 s15, s16
	s_cbranch_execz .LBB1227_454
; %bb.453:                              ;   in Loop: Header=BB1227_388 Depth=2
	s_wait_dscnt 0x0
	v_bcnt_u32_b32 v70, v70, v209
	ds_store_b32 v212, v70 offset:1056
.LBB1227_454:                           ;   in Loop: Header=BB1227_388 Depth=2
	s_wait_alu 0xfffe
	s_or_b32 exec_lo, exec_lo, s15
	v_cmp_lt_i64_e32 vcc_lo, -1, v[44:45]
	v_ashrrev_i32_e32 v71, 31, v45
	; wave barrier
	s_delay_alu instid0(VALU_DEP_1) | instskip(SKIP_2) | instid1(VALU_DEP_1)
	v_xor_b32_e32 v44, v71, v44
	s_wait_alu 0xfffd
	v_cndmask_b32_e64 v70, -1, 0x80000000, vcc_lo
	v_xor_b32_e32 v45, v70, v45
	s_delay_alu instid0(VALU_DEP_1) | instskip(SKIP_3) | instid1(VALU_DEP_1)
	v_cmp_ne_u64_e32 vcc_lo, s[42:43], v[44:45]
	s_wait_alu 0xfffd
	v_cndmask_b32_e32 v71, 0x80000000, v45, vcc_lo
	v_cndmask_b32_e32 v70, 0, v44, vcc_lo
	v_lshrrev_b64 v[70:71], s48, v[70:71]
	s_delay_alu instid0(VALU_DEP_1) | instskip(NEXT) | instid1(VALU_DEP_1)
	v_and_b32_e32 v71, s57, v70
	v_and_b32_e32 v70, 1, v71
	v_lshlrev_b32_e32 v72, 30, v71
	v_lshlrev_b32_e32 v73, 29, v71
	v_lshlrev_b32_e32 v74, 28, v71
	v_lshlrev_b32_e32 v76, 27, v71
	v_add_co_u32 v70, s15, v70, -1
	s_wait_alu 0xf1ff
	v_cndmask_b32_e64 v75, 0, 1, s15
	v_not_b32_e32 v213, v72
	v_cmp_gt_i32_e64 s15, 0, v72
	v_not_b32_e32 v72, v73
	v_lshlrev_b32_e32 v77, 26, v71
	v_cmp_ne_u32_e32 vcc_lo, 0, v75
	v_ashrrev_i32_e32 v213, 31, v213
	v_lshlrev_b32_e32 v211, 25, v71
	v_ashrrev_i32_e32 v72, 31, v72
	v_lshlrev_b32_e32 v75, 24, v71
	s_wait_alu 0xfffd
	v_xor_b32_e32 v70, vcc_lo, v70
	v_cmp_gt_i32_e32 vcc_lo, 0, v73
	v_not_b32_e32 v73, v74
	s_wait_alu 0xf1ff
	v_xor_b32_e32 v213, s15, v213
	v_cmp_gt_i32_e64 s15, 0, v74
	v_and_b32_e32 v70, exec_lo, v70
	v_not_b32_e32 v74, v76
	v_ashrrev_i32_e32 v73, 31, v73
	s_wait_alu 0xfffd
	v_xor_b32_e32 v72, vcc_lo, v72
	v_cmp_gt_i32_e32 vcc_lo, 0, v76
	v_and_b32_e32 v70, v70, v213
	v_not_b32_e32 v76, v77
	v_ashrrev_i32_e32 v74, 31, v74
	s_wait_alu 0xf1ff
	v_xor_b32_e32 v73, s15, v73
	v_cmp_gt_i32_e64 s15, 0, v77
	v_and_b32_e32 v70, v70, v72
	v_not_b32_e32 v72, v211
	v_ashrrev_i32_e32 v76, 31, v76
	s_wait_alu 0xfffd
	v_xor_b32_e32 v74, vcc_lo, v74
	v_cmp_gt_i32_e32 vcc_lo, 0, v211
	v_and_b32_e32 v70, v70, v73
	v_not_b32_e32 v73, v75
	v_ashrrev_i32_e32 v72, 31, v72
	s_wait_alu 0xf1ff
	v_xor_b32_e32 v76, s15, v76
	v_cmp_gt_i32_e64 s15, 0, v75
	v_and_b32_e32 v70, v70, v74
	v_ashrrev_i32_e32 v73, 31, v73
	s_wait_alu 0xfffd
	v_xor_b32_e32 v72, vcc_lo, v72
	v_mad_u32_u24 v74, v71, 36, v147
	v_mul_u32_u24_e32 v71, 36, v71
	v_and_b32_e32 v70, v70, v76
	s_wait_alu 0xf1ff
	v_xor_b32_e32 v73, s15, v73
	ds_load_b32 v211, v74 offset:1056
	v_add_nc_u32_e32 v214, v147, v71
	v_and_b32_e32 v70, v70, v72
	; wave barrier
	s_delay_alu instid0(VALU_DEP_1) | instskip(NEXT) | instid1(VALU_DEP_1)
	v_and_b32_e32 v70, v70, v73
	v_mbcnt_lo_u32_b32 v213, v70, 0
	v_cmp_ne_u32_e64 s15, 0, v70
	s_delay_alu instid0(VALU_DEP_2)
	v_cmp_eq_u32_e32 vcc_lo, 0, v213
	s_and_b32 s16, s15, vcc_lo
	s_wait_alu 0xfffe
	s_and_saveexec_b32 s15, s16
	s_cbranch_execz .LBB1227_456
; %bb.455:                              ;   in Loop: Header=BB1227_388 Depth=2
	s_wait_dscnt 0x0
	v_bcnt_u32_b32 v70, v70, v211
	ds_store_b32 v214, v70 offset:1056
.LBB1227_456:                           ;   in Loop: Header=BB1227_388 Depth=2
	s_wait_alu 0xfffe
	s_or_b32 exec_lo, exec_lo, s15
	; wave barrier
	s_wait_loadcnt_dscnt 0x0
	s_barrier_signal -1
	s_barrier_wait -1
	global_inv scope:SCOPE_SE
	ds_load_2addr_b32 v[76:77], v166 offset1:1
	ds_load_2addr_b32 v[74:75], v167 offset1:1
	;; [unrolled: 1-line block ×4, first 2 shown]
	ds_load_b32 v215, v103 offset:1088
	s_wait_dscnt 0x3
	v_add3_u32 v216, v77, v76, v74
	s_wait_dscnt 0x2
	s_delay_alu instid0(VALU_DEP_1) | instskip(SKIP_1) | instid1(VALU_DEP_1)
	v_add3_u32 v216, v216, v75, v72
	s_wait_dscnt 0x1
	v_add3_u32 v216, v216, v73, v70
	s_wait_dscnt 0x0
	s_delay_alu instid0(VALU_DEP_1) | instskip(NEXT) | instid1(VALU_DEP_1)
	v_add3_u32 v215, v216, v71, v215
	v_mov_b32_dpp v216, v215 row_shr:1 row_mask:0xf bank_mask:0xf
	s_delay_alu instid0(VALU_DEP_1) | instskip(NEXT) | instid1(VALU_DEP_1)
	v_cndmask_b32_e64 v216, v216, 0, s6
	v_add_nc_u32_e32 v215, v216, v215
	s_delay_alu instid0(VALU_DEP_1) | instskip(NEXT) | instid1(VALU_DEP_1)
	v_mov_b32_dpp v216, v215 row_shr:2 row_mask:0xf bank_mask:0xf
	v_cndmask_b32_e64 v216, 0, v216, s7
	s_delay_alu instid0(VALU_DEP_1) | instskip(NEXT) | instid1(VALU_DEP_1)
	v_add_nc_u32_e32 v215, v215, v216
	v_mov_b32_dpp v216, v215 row_shr:4 row_mask:0xf bank_mask:0xf
	s_delay_alu instid0(VALU_DEP_1) | instskip(NEXT) | instid1(VALU_DEP_1)
	v_cndmask_b32_e64 v216, 0, v216, s8
	v_add_nc_u32_e32 v215, v215, v216
	s_delay_alu instid0(VALU_DEP_1) | instskip(NEXT) | instid1(VALU_DEP_1)
	v_mov_b32_dpp v216, v215 row_shr:8 row_mask:0xf bank_mask:0xf
	v_cndmask_b32_e64 v216, 0, v216, s9
	s_delay_alu instid0(VALU_DEP_1) | instskip(SKIP_3) | instid1(VALU_DEP_1)
	v_add_nc_u32_e32 v215, v215, v216
	ds_swizzle_b32 v216, v215 offset:swizzle(BROADCAST,32,15)
	s_wait_dscnt 0x0
	v_cndmask_b32_e64 v216, v216, 0, s10
	v_add_nc_u32_e32 v215, v215, v216
	s_and_saveexec_b32 s15, s3
; %bb.457:                              ;   in Loop: Header=BB1227_388 Depth=2
	ds_store_b32 v97, v215 offset:1024
; %bb.458:                              ;   in Loop: Header=BB1227_388 Depth=2
	s_wait_alu 0xfffe
	s_or_b32 exec_lo, exec_lo, s15
	s_wait_loadcnt_dscnt 0x0
	s_barrier_signal -1
	s_barrier_wait -1
	global_inv scope:SCOPE_SE
	s_and_saveexec_b32 s15, s4
	s_cbranch_execz .LBB1227_460
; %bb.459:                              ;   in Loop: Header=BB1227_388 Depth=2
	ds_load_b32 v216, v105 offset:1024
	s_wait_dscnt 0x0
	v_mov_b32_dpp v217, v216 row_shr:1 row_mask:0xf bank_mask:0xf
	s_delay_alu instid0(VALU_DEP_1) | instskip(NEXT) | instid1(VALU_DEP_1)
	v_cndmask_b32_e64 v217, v217, 0, s12
	v_add_nc_u32_e32 v216, v217, v216
	s_delay_alu instid0(VALU_DEP_1) | instskip(NEXT) | instid1(VALU_DEP_1)
	v_mov_b32_dpp v217, v216 row_shr:2 row_mask:0xf bank_mask:0xf
	v_cndmask_b32_e64 v217, 0, v217, s13
	s_delay_alu instid0(VALU_DEP_1) | instskip(NEXT) | instid1(VALU_DEP_1)
	v_add_nc_u32_e32 v216, v216, v217
	v_mov_b32_dpp v217, v216 row_shr:4 row_mask:0xf bank_mask:0xf
	s_delay_alu instid0(VALU_DEP_1) | instskip(NEXT) | instid1(VALU_DEP_1)
	v_cndmask_b32_e64 v217, 0, v217, s14
	v_add_nc_u32_e32 v216, v216, v217
	ds_store_b32 v105, v216 offset:1024
.LBB1227_460:                           ;   in Loop: Header=BB1227_388 Depth=2
	s_wait_alu 0xfffe
	s_or_b32 exec_lo, exec_lo, s15
	v_mov_b32_e32 v216, 0
	s_wait_loadcnt_dscnt 0x0
	s_barrier_signal -1
	s_barrier_wait -1
	global_inv scope:SCOPE_SE
	s_and_saveexec_b32 s15, s5
; %bb.461:                              ;   in Loop: Header=BB1227_388 Depth=2
	ds_load_b32 v216, v97 offset:1020
; %bb.462:                              ;   in Loop: Header=BB1227_388 Depth=2
	s_wait_alu 0xfffe
	s_or_b32 exec_lo, exec_lo, s15
	s_wait_dscnt 0x0
	v_add_nc_u32_e32 v215, v216, v215
	ds_bpermute_b32 v215, v126, v215
	s_wait_dscnt 0x0
	v_cndmask_b32_e64 v215, v215, v216, s11
	s_delay_alu instid0(VALU_DEP_1) | instskip(NEXT) | instid1(VALU_DEP_1)
	v_cndmask_b32_e64 v215, v215, 0, s0
	v_add_nc_u32_e32 v76, v215, v76
	s_delay_alu instid0(VALU_DEP_1) | instskip(NEXT) | instid1(VALU_DEP_1)
	v_add_nc_u32_e32 v77, v76, v77
	v_add_nc_u32_e32 v74, v77, v74
	s_delay_alu instid0(VALU_DEP_1) | instskip(NEXT) | instid1(VALU_DEP_1)
	v_add_nc_u32_e32 v75, v74, v75
	;; [unrolled: 3-line block ×3, first 2 shown]
	v_add_nc_u32_e32 v70, v73, v70
	s_delay_alu instid0(VALU_DEP_1)
	v_add_nc_u32_e32 v71, v70, v71
	ds_store_2addr_b32 v165, v73, v70 offset1:1
	ds_store_2addr_b32 v166, v215, v76 offset1:1
	;; [unrolled: 1-line block ×4, first 2 shown]
	ds_store_b32 v103, v71 offset:1088
	s_wait_loadcnt_dscnt 0x0
	s_barrier_signal -1
	s_barrier_wait -1
	global_inv scope:SCOPE_SE
	ds_load_b32 v71, v169 offset:1056
	ds_load_b32 v76, v172 offset:1056
	;; [unrolled: 1-line block ×17, first 2 shown]
	v_mov_b32_e32 v70, 0x1000
	s_and_saveexec_b32 s15, s1
; %bb.463:                              ;   in Loop: Header=BB1227_388 Depth=2
	ds_load_b32 v70, v103 offset:1092
; %bb.464:                              ;   in Loop: Header=BB1227_388 Depth=2
	s_wait_alu 0xfffe
	s_or_b32 exec_lo, exec_lo, s15
	s_wait_loadcnt_dscnt 0x0
	s_barrier_signal -1
	s_barrier_wait -1
	global_inv scope:SCOPE_SE
	s_and_saveexec_b32 s15, s2
	s_cbranch_execz .LBB1227_466
; %bb.465:                              ;   in Loop: Header=BB1227_388 Depth=2
	ds_load_b32 v187, v78
	s_wait_dscnt 0x0
	v_sub_nc_u32_e32 v184, v187, v184
	ds_store_b32 v78, v184
.LBB1227_466:                           ;   in Loop: Header=BB1227_388 Depth=2
	s_wait_alu 0xfffe
	s_or_b32 exec_lo, exec_lo, s15
	v_lshlrev_b32_e32 v2, 3, v2
	v_lshlrev_b32_e32 v171, 3, v171
	;; [unrolled: 1-line block ×5, first 2 shown]
	v_lshl_add_u32 v71, v71, 3, v2
	v_lshlrev_b32_e32 v2, 3, v173
	v_lshlrev_b32_e32 v75, 3, v75
	;; [unrolled: 1-line block ×4, first 2 shown]
	ds_store_b64 v71, v[38:39] offset:1024
	v_lshlrev_b32_e32 v38, 3, v74
	v_lshlrev_b32_e32 v39, 3, v180
	v_lshlrev_b32_e32 v177, 3, v179
	v_lshlrev_b32_e32 v179, 3, v73
	v_lshlrev_b32_e32 v180, 3, v183
	v_lshlrev_b32_e32 v182, 3, v182
	v_lshlrev_b32_e32 v183, 3, v72
	v_add3_u32 v72, v171, v170, v76
	v_add3_u32 v73, v174, v2, v75
	;; [unrolled: 1-line block ×5, first 2 shown]
	v_lshlrev_b32_e32 v2, 3, v186
	v_lshlrev_b32_e32 v38, 3, v185
	;; [unrolled: 1-line block ×3, first 2 shown]
	ds_store_b64 v72, v[40:41] offset:1024
	ds_store_b64 v73, v[42:43] offset:1024
	;; [unrolled: 1-line block ×5, first 2 shown]
	v_lshlrev_b32_e32 v41, 3, v189
	v_lshlrev_b32_e32 v42, 3, v188
	;; [unrolled: 1-line block ×12, first 2 shown]
	v_add3_u32 v40, v2, v38, v39
	v_add3_u32 v41, v41, v42, v43
	;; [unrolled: 1-line block ×5, first 2 shown]
	ds_store_b64 v40, v[62:63] offset:1024
	ds_store_b64 v41, v[66:67] offset:1024
	;; [unrolled: 1-line block ×5, first 2 shown]
	v_lshlrev_b32_e32 v2, 3, v201
	v_lshlrev_b32_e32 v38, 3, v200
	;; [unrolled: 1-line block ×15, first 2 shown]
	v_add3_u32 v49, v2, v38, v39
	v_add3_u32 v54, v54, v55, v58
	;; [unrolled: 1-line block ×5, first 2 shown]
	v_cmp_lt_u32_e32 vcc_lo, v1, v164
	ds_store_b64 v49, v[56:57] offset:1024
	ds_store_b64 v54, v[52:53] offset:1024
	;; [unrolled: 1-line block ×5, first 2 shown]
	s_wait_loadcnt_dscnt 0x0
	s_barrier_signal -1
	s_barrier_wait -1
	global_inv scope:SCOPE_SE
	s_and_saveexec_b32 s16, vcc_lo
	s_cbranch_execnz .LBB1227_535
; %bb.467:                              ;   in Loop: Header=BB1227_388 Depth=2
	s_wait_alu 0xfffe
	s_or_b32 exec_lo, exec_lo, s16
	v_cmp_lt_u32_e64 s15, v79, v164
	s_and_saveexec_b32 s17, s15
	s_cbranch_execnz .LBB1227_536
.LBB1227_468:                           ;   in Loop: Header=BB1227_388 Depth=2
	s_wait_alu 0xfffe
	s_or_b32 exec_lo, exec_lo, s17
	v_cmp_lt_u32_e64 s16, v80, v164
	s_and_saveexec_b32 s18, s16
	s_cbranch_execnz .LBB1227_537
.LBB1227_469:                           ;   in Loop: Header=BB1227_388 Depth=2
	s_wait_alu 0xfffe
	s_or_b32 exec_lo, exec_lo, s18
	v_cmp_lt_u32_e64 s17, v81, v164
	s_and_saveexec_b32 s19, s17
	s_cbranch_execnz .LBB1227_538
.LBB1227_470:                           ;   in Loop: Header=BB1227_388 Depth=2
	s_wait_alu 0xfffe
	s_or_b32 exec_lo, exec_lo, s19
	v_cmp_lt_u32_e64 s18, v84, v164
	s_and_saveexec_b32 s20, s18
	s_cbranch_execnz .LBB1227_539
.LBB1227_471:                           ;   in Loop: Header=BB1227_388 Depth=2
	s_wait_alu 0xfffe
	s_or_b32 exec_lo, exec_lo, s20
	v_cmp_lt_u32_e64 s19, v85, v164
	s_and_saveexec_b32 s21, s19
	s_cbranch_execnz .LBB1227_540
.LBB1227_472:                           ;   in Loop: Header=BB1227_388 Depth=2
	s_wait_alu 0xfffe
	s_or_b32 exec_lo, exec_lo, s21
	v_cmp_lt_u32_e64 s20, v86, v164
	s_and_saveexec_b32 s22, s20
	s_cbranch_execnz .LBB1227_541
.LBB1227_473:                           ;   in Loop: Header=BB1227_388 Depth=2
	s_wait_alu 0xfffe
	s_or_b32 exec_lo, exec_lo, s22
	v_cmp_lt_u32_e64 s21, v87, v164
	s_and_saveexec_b32 s23, s21
	s_cbranch_execnz .LBB1227_542
.LBB1227_474:                           ;   in Loop: Header=BB1227_388 Depth=2
	s_wait_alu 0xfffe
	s_or_b32 exec_lo, exec_lo, s23
	v_cmp_lt_u32_e64 s22, v88, v164
	s_and_saveexec_b32 s24, s22
	s_cbranch_execnz .LBB1227_543
.LBB1227_475:                           ;   in Loop: Header=BB1227_388 Depth=2
	s_wait_alu 0xfffe
	s_or_b32 exec_lo, exec_lo, s24
	v_cmp_lt_u32_e64 s23, v89, v164
	s_and_saveexec_b32 s25, s23
	s_cbranch_execnz .LBB1227_544
.LBB1227_476:                           ;   in Loop: Header=BB1227_388 Depth=2
	s_wait_alu 0xfffe
	s_or_b32 exec_lo, exec_lo, s25
	v_cmp_lt_u32_e64 s24, v90, v164
	s_and_saveexec_b32 s26, s24
	s_cbranch_execnz .LBB1227_545
.LBB1227_477:                           ;   in Loop: Header=BB1227_388 Depth=2
	s_wait_alu 0xfffe
	s_or_b32 exec_lo, exec_lo, s26
	v_cmp_lt_u32_e64 s25, v91, v164
	s_and_saveexec_b32 s27, s25
	s_cbranch_execnz .LBB1227_546
.LBB1227_478:                           ;   in Loop: Header=BB1227_388 Depth=2
	s_wait_alu 0xfffe
	s_or_b32 exec_lo, exec_lo, s27
	v_cmp_lt_u32_e64 s26, v92, v164
	s_and_saveexec_b32 s28, s26
	s_cbranch_execnz .LBB1227_547
.LBB1227_479:                           ;   in Loop: Header=BB1227_388 Depth=2
	s_wait_alu 0xfffe
	s_or_b32 exec_lo, exec_lo, s28
	v_cmp_lt_u32_e64 s27, v93, v164
	s_and_saveexec_b32 s29, s27
	s_cbranch_execnz .LBB1227_548
.LBB1227_480:                           ;   in Loop: Header=BB1227_388 Depth=2
	s_wait_alu 0xfffe
	s_or_b32 exec_lo, exec_lo, s29
	v_cmp_lt_u32_e64 s28, v94, v164
	s_and_saveexec_b32 s30, s28
	s_cbranch_execnz .LBB1227_549
.LBB1227_481:                           ;   in Loop: Header=BB1227_388 Depth=2
	s_wait_alu 0xfffe
	s_or_b32 exec_lo, exec_lo, s30
	v_cmp_lt_u32_e64 s29, v95, v164
	s_and_saveexec_b32 s60, s29
	s_cbranch_execz .LBB1227_483
.LBB1227_482:                           ;   in Loop: Header=BB1227_388 Depth=2
	ds_load_b64 v[38:39], v110 offset:31744
	s_wait_dscnt 0x0
	v_cmp_ne_u64_e64 s30, s[42:43], v[38:39]
	s_wait_alu 0xf1ff
	s_delay_alu instid0(VALU_DEP_1) | instskip(SKIP_2) | instid1(VALU_DEP_2)
	v_cndmask_b32_e64 v45, 0x80000000, v39, s30
	v_cndmask_b32_e64 v44, 0, v38, s30
	v_cmp_lt_i64_e64 s30, -1, v[38:39]
	v_lshrrev_b64 v[44:45], s48, v[44:45]
	s_wait_alu 0xf1ff
	s_delay_alu instid0(VALU_DEP_2) | instskip(NEXT) | instid1(VALU_DEP_2)
	v_cndmask_b32_e64 v46, 0x80000000, -1, s30
	v_and_b32_e32 v2, s57, v44
	v_ashrrev_i32_e32 v44, 31, v39
	s_delay_alu instid0(VALU_DEP_3) | instskip(NEXT) | instid1(VALU_DEP_3)
	v_xor_b32_e32 v39, v46, v39
	v_lshlrev_b32_e32 v2, 2, v2
	s_delay_alu instid0(VALU_DEP_3) | instskip(SKIP_4) | instid1(VALU_DEP_1)
	v_not_b32_e32 v47, v44
	ds_load_b32 v2, v2
	v_xor_b32_e32 v38, v47, v38
	s_wait_dscnt 0x0
	v_add_nc_u32_e32 v2, v2, v95
	v_lshlrev_b64_e32 v[44:45], 3, v[2:3]
	s_delay_alu instid0(VALU_DEP_1) | instskip(SKIP_1) | instid1(VALU_DEP_2)
	v_add_co_u32 v44, s30, s40, v44
	s_wait_alu 0xf1ff
	v_add_co_ci_u32_e64 v45, null, s41, v45, s30
	global_store_b64 v[44:45], v[38:39], off
.LBB1227_483:                           ;   in Loop: Header=BB1227_388 Depth=2
	s_wait_alu 0xfffe
	s_or_b32 exec_lo, exec_lo, s60
	s_lshl_b64 s[60:61], s[34:35], 3
	s_wait_alu 0xfffe
	v_add_co_u32 v38, s30, v128, s60
	s_wait_alu 0xf1ff
	v_add_co_ci_u32_e64 v39, null, s61, v129, s30
	v_cmp_lt_u32_e64 s30, v127, v164
	s_and_saveexec_b32 s34, s30
	s_wait_alu 0xfffe
	s_xor_b32 s30, exec_lo, s34
	s_cbranch_execnz .LBB1227_550
; %bb.484:                              ;   in Loop: Header=BB1227_388 Depth=2
	s_wait_alu 0xfffe
	s_or_b32 exec_lo, exec_lo, s30
	s_delay_alu instid0(SALU_CYCLE_1)
	s_mov_b32 s34, exec_lo
	v_cmpx_lt_u32_e64 v130, v164
	s_cbranch_execnz .LBB1227_551
.LBB1227_485:                           ;   in Loop: Header=BB1227_388 Depth=2
	s_wait_alu 0xfffe
	s_or_b32 exec_lo, exec_lo, s34
	s_delay_alu instid0(SALU_CYCLE_1)
	s_mov_b32 s34, exec_lo
	v_cmpx_lt_u32_e64 v131, v164
	s_cbranch_execnz .LBB1227_552
.LBB1227_486:                           ;   in Loop: Header=BB1227_388 Depth=2
	s_wait_alu 0xfffe
	s_or_b32 exec_lo, exec_lo, s34
	s_delay_alu instid0(SALU_CYCLE_1)
	s_mov_b32 s34, exec_lo
	v_cmpx_lt_u32_e64 v132, v164
	s_cbranch_execnz .LBB1227_553
.LBB1227_487:                           ;   in Loop: Header=BB1227_388 Depth=2
	s_wait_alu 0xfffe
	s_or_b32 exec_lo, exec_lo, s34
	s_delay_alu instid0(SALU_CYCLE_1)
	s_mov_b32 s34, exec_lo
	v_cmpx_lt_u32_e64 v133, v164
	s_cbranch_execnz .LBB1227_554
.LBB1227_488:                           ;   in Loop: Header=BB1227_388 Depth=2
	s_wait_alu 0xfffe
	s_or_b32 exec_lo, exec_lo, s34
	s_delay_alu instid0(SALU_CYCLE_1)
	s_mov_b32 s34, exec_lo
	v_cmpx_lt_u32_e64 v134, v164
	s_cbranch_execnz .LBB1227_555
.LBB1227_489:                           ;   in Loop: Header=BB1227_388 Depth=2
	s_wait_alu 0xfffe
	s_or_b32 exec_lo, exec_lo, s34
	s_delay_alu instid0(SALU_CYCLE_1)
	s_mov_b32 s34, exec_lo
	v_cmpx_lt_u32_e64 v135, v164
	s_cbranch_execnz .LBB1227_556
.LBB1227_490:                           ;   in Loop: Header=BB1227_388 Depth=2
	s_wait_alu 0xfffe
	s_or_b32 exec_lo, exec_lo, s34
	s_delay_alu instid0(SALU_CYCLE_1)
	s_mov_b32 s34, exec_lo
	v_cmpx_lt_u32_e64 v136, v164
	s_cbranch_execnz .LBB1227_557
.LBB1227_491:                           ;   in Loop: Header=BB1227_388 Depth=2
	s_wait_alu 0xfffe
	s_or_b32 exec_lo, exec_lo, s34
	s_delay_alu instid0(SALU_CYCLE_1)
	s_mov_b32 s34, exec_lo
	v_cmpx_lt_u32_e64 v137, v164
	s_cbranch_execnz .LBB1227_558
.LBB1227_492:                           ;   in Loop: Header=BB1227_388 Depth=2
	s_wait_alu 0xfffe
	s_or_b32 exec_lo, exec_lo, s34
	s_delay_alu instid0(SALU_CYCLE_1)
	s_mov_b32 s34, exec_lo
	v_cmpx_lt_u32_e64 v138, v164
	s_cbranch_execnz .LBB1227_559
.LBB1227_493:                           ;   in Loop: Header=BB1227_388 Depth=2
	s_wait_alu 0xfffe
	s_or_b32 exec_lo, exec_lo, s34
	s_delay_alu instid0(SALU_CYCLE_1)
	s_mov_b32 s34, exec_lo
	v_cmpx_lt_u32_e64 v139, v164
	s_cbranch_execnz .LBB1227_560
.LBB1227_494:                           ;   in Loop: Header=BB1227_388 Depth=2
	s_wait_alu 0xfffe
	s_or_b32 exec_lo, exec_lo, s34
	s_delay_alu instid0(SALU_CYCLE_1)
	s_mov_b32 s34, exec_lo
	v_cmpx_lt_u32_e64 v140, v164
	s_cbranch_execnz .LBB1227_561
.LBB1227_495:                           ;   in Loop: Header=BB1227_388 Depth=2
	s_wait_alu 0xfffe
	s_or_b32 exec_lo, exec_lo, s34
	s_delay_alu instid0(SALU_CYCLE_1)
	s_mov_b32 s34, exec_lo
	v_cmpx_lt_u32_e64 v141, v164
	s_cbranch_execnz .LBB1227_562
.LBB1227_496:                           ;   in Loop: Header=BB1227_388 Depth=2
	s_wait_alu 0xfffe
	s_or_b32 exec_lo, exec_lo, s34
	s_delay_alu instid0(SALU_CYCLE_1)
	s_mov_b32 s34, exec_lo
	v_cmpx_lt_u32_e64 v142, v164
	s_cbranch_execnz .LBB1227_563
.LBB1227_497:                           ;   in Loop: Header=BB1227_388 Depth=2
	s_wait_alu 0xfffe
	s_or_b32 exec_lo, exec_lo, s34
	s_delay_alu instid0(SALU_CYCLE_1)
	s_mov_b32 s34, exec_lo
	v_cmpx_lt_u32_e64 v143, v164
	s_cbranch_execnz .LBB1227_564
.LBB1227_498:                           ;   in Loop: Header=BB1227_388 Depth=2
	s_wait_alu 0xfffe
	s_or_b32 exec_lo, exec_lo, s34
	s_delay_alu instid0(SALU_CYCLE_1)
	s_mov_b32 s34, exec_lo
	v_cmpx_lt_u32_e64 v144, v164
	s_cbranch_execnz .LBB1227_565
.LBB1227_499:                           ;   in Loop: Header=BB1227_388 Depth=2
	s_wait_alu 0xfffe
	s_or_b32 exec_lo, exec_lo, s34
	s_and_saveexec_b32 s34, vcc_lo
	s_cbranch_execnz .LBB1227_566
.LBB1227_500:                           ;   in Loop: Header=BB1227_388 Depth=2
	s_wait_alu 0xfffe
	s_or_b32 exec_lo, exec_lo, s34
	s_and_saveexec_b32 s34, s15
	s_cbranch_execnz .LBB1227_567
.LBB1227_501:                           ;   in Loop: Header=BB1227_388 Depth=2
	s_wait_alu 0xfffe
	s_or_b32 exec_lo, exec_lo, s34
	s_and_saveexec_b32 s34, s16
	s_cbranch_execnz .LBB1227_568
.LBB1227_502:                           ;   in Loop: Header=BB1227_388 Depth=2
	s_wait_alu 0xfffe
	s_or_b32 exec_lo, exec_lo, s34
	s_and_saveexec_b32 s34, s17
	s_cbranch_execnz .LBB1227_569
.LBB1227_503:                           ;   in Loop: Header=BB1227_388 Depth=2
	s_wait_alu 0xfffe
	s_or_b32 exec_lo, exec_lo, s34
	s_and_saveexec_b32 s34, s18
	s_cbranch_execnz .LBB1227_570
.LBB1227_504:                           ;   in Loop: Header=BB1227_388 Depth=2
	s_wait_alu 0xfffe
	s_or_b32 exec_lo, exec_lo, s34
	s_and_saveexec_b32 s34, s19
	s_cbranch_execnz .LBB1227_571
.LBB1227_505:                           ;   in Loop: Header=BB1227_388 Depth=2
	s_wait_alu 0xfffe
	s_or_b32 exec_lo, exec_lo, s34
	s_and_saveexec_b32 s34, s20
	s_cbranch_execnz .LBB1227_572
.LBB1227_506:                           ;   in Loop: Header=BB1227_388 Depth=2
	s_wait_alu 0xfffe
	s_or_b32 exec_lo, exec_lo, s34
	s_and_saveexec_b32 s34, s21
	s_cbranch_execnz .LBB1227_573
.LBB1227_507:                           ;   in Loop: Header=BB1227_388 Depth=2
	s_wait_alu 0xfffe
	s_or_b32 exec_lo, exec_lo, s34
	s_and_saveexec_b32 s34, s22
	s_cbranch_execnz .LBB1227_574
.LBB1227_508:                           ;   in Loop: Header=BB1227_388 Depth=2
	s_wait_alu 0xfffe
	s_or_b32 exec_lo, exec_lo, s34
	s_and_saveexec_b32 s34, s23
	s_cbranch_execnz .LBB1227_575
.LBB1227_509:                           ;   in Loop: Header=BB1227_388 Depth=2
	s_wait_alu 0xfffe
	s_or_b32 exec_lo, exec_lo, s34
	s_and_saveexec_b32 s34, s24
	s_cbranch_execnz .LBB1227_576
.LBB1227_510:                           ;   in Loop: Header=BB1227_388 Depth=2
	s_wait_alu 0xfffe
	s_or_b32 exec_lo, exec_lo, s34
	s_and_saveexec_b32 s34, s25
	s_cbranch_execnz .LBB1227_577
.LBB1227_511:                           ;   in Loop: Header=BB1227_388 Depth=2
	s_wait_alu 0xfffe
	s_or_b32 exec_lo, exec_lo, s34
	s_and_saveexec_b32 s34, s26
	s_cbranch_execnz .LBB1227_578
.LBB1227_512:                           ;   in Loop: Header=BB1227_388 Depth=2
	s_wait_alu 0xfffe
	s_or_b32 exec_lo, exec_lo, s34
	s_and_saveexec_b32 s34, s27
	s_cbranch_execnz .LBB1227_579
.LBB1227_513:                           ;   in Loop: Header=BB1227_388 Depth=2
	s_wait_alu 0xfffe
	s_or_b32 exec_lo, exec_lo, s34
	s_and_saveexec_b32 s34, s28
	s_cbranch_execnz .LBB1227_580
.LBB1227_514:                           ;   in Loop: Header=BB1227_388 Depth=2
	s_wait_alu 0xfffe
	s_or_b32 exec_lo, exec_lo, s34
	s_and_saveexec_b32 s34, s29
	s_cbranch_execz .LBB1227_516
.LBB1227_515:                           ;   in Loop: Header=BB1227_388 Depth=2
	ds_load_b64 v[38:39], v110 offset:31744
	s_wait_dscnt 0x0
	v_cmp_ne_u64_e64 s30, s[42:43], v[38:39]
	s_wait_alu 0xf1ff
	s_delay_alu instid0(VALU_DEP_1) | instskip(SKIP_1) | instid1(VALU_DEP_1)
	v_cndmask_b32_e64 v39, 0x80000000, v39, s30
	v_cndmask_b32_e64 v38, 0, v38, s30
	v_lshrrev_b64 v[38:39], s48, v[38:39]
	s_delay_alu instid0(VALU_DEP_1)
	v_and_b32_e32 v148, s57, v38
.LBB1227_516:                           ;   in Loop: Header=BB1227_388 Depth=2
	s_wait_alu 0xfffe
	s_or_b32 exec_lo, exec_lo, s34
	s_wait_loadcnt 0x0
	s_wait_storecnt 0x0
	s_barrier_signal -1
	s_barrier_wait -1
	global_inv scope:SCOPE_SE
	ds_store_b64 v71, v[36:37] offset:1024
	ds_store_b64 v72, v[34:35] offset:1024
	;; [unrolled: 1-line block ×16, first 2 shown]
	s_wait_loadcnt_dscnt 0x0
	s_barrier_signal -1
	s_barrier_wait -1
	global_inv scope:SCOPE_SE
	s_and_saveexec_b32 s30, vcc_lo
	s_cbranch_execnz .LBB1227_581
; %bb.517:                              ;   in Loop: Header=BB1227_388 Depth=2
	s_wait_alu 0xfffe
	s_or_b32 exec_lo, exec_lo, s30
	s_and_saveexec_b32 s30, s15
	s_cbranch_execnz .LBB1227_582
.LBB1227_518:                           ;   in Loop: Header=BB1227_388 Depth=2
	s_wait_alu 0xfffe
	s_or_b32 exec_lo, exec_lo, s30
	s_and_saveexec_b32 s15, s16
	s_cbranch_execnz .LBB1227_583
.LBB1227_519:                           ;   in Loop: Header=BB1227_388 Depth=2
	s_wait_alu 0xfffe
	s_or_b32 exec_lo, exec_lo, s15
	s_and_saveexec_b32 s15, s17
	s_cbranch_execnz .LBB1227_584
.LBB1227_520:                           ;   in Loop: Header=BB1227_388 Depth=2
	s_wait_alu 0xfffe
	s_or_b32 exec_lo, exec_lo, s15
	s_and_saveexec_b32 s15, s18
	s_cbranch_execnz .LBB1227_585
.LBB1227_521:                           ;   in Loop: Header=BB1227_388 Depth=2
	s_wait_alu 0xfffe
	s_or_b32 exec_lo, exec_lo, s15
	s_and_saveexec_b32 s15, s19
	s_cbranch_execnz .LBB1227_586
.LBB1227_522:                           ;   in Loop: Header=BB1227_388 Depth=2
	s_wait_alu 0xfffe
	s_or_b32 exec_lo, exec_lo, s15
	s_and_saveexec_b32 s15, s20
	s_cbranch_execnz .LBB1227_587
.LBB1227_523:                           ;   in Loop: Header=BB1227_388 Depth=2
	s_wait_alu 0xfffe
	s_or_b32 exec_lo, exec_lo, s15
	s_and_saveexec_b32 s15, s21
	s_cbranch_execnz .LBB1227_588
.LBB1227_524:                           ;   in Loop: Header=BB1227_388 Depth=2
	s_wait_alu 0xfffe
	s_or_b32 exec_lo, exec_lo, s15
	s_and_saveexec_b32 s15, s22
	s_cbranch_execnz .LBB1227_589
.LBB1227_525:                           ;   in Loop: Header=BB1227_388 Depth=2
	s_wait_alu 0xfffe
	s_or_b32 exec_lo, exec_lo, s15
	s_and_saveexec_b32 s15, s23
	s_cbranch_execnz .LBB1227_590
.LBB1227_526:                           ;   in Loop: Header=BB1227_388 Depth=2
	s_wait_alu 0xfffe
	s_or_b32 exec_lo, exec_lo, s15
	s_and_saveexec_b32 s15, s24
	s_cbranch_execnz .LBB1227_591
.LBB1227_527:                           ;   in Loop: Header=BB1227_388 Depth=2
	s_wait_alu 0xfffe
	s_or_b32 exec_lo, exec_lo, s15
	s_and_saveexec_b32 s15, s25
	s_cbranch_execnz .LBB1227_592
.LBB1227_528:                           ;   in Loop: Header=BB1227_388 Depth=2
	s_wait_alu 0xfffe
	s_or_b32 exec_lo, exec_lo, s15
	s_and_saveexec_b32 s15, s26
	s_cbranch_execnz .LBB1227_593
.LBB1227_529:                           ;   in Loop: Header=BB1227_388 Depth=2
	s_wait_alu 0xfffe
	s_or_b32 exec_lo, exec_lo, s15
	s_and_saveexec_b32 s15, s27
	s_cbranch_execnz .LBB1227_594
.LBB1227_530:                           ;   in Loop: Header=BB1227_388 Depth=2
	s_wait_alu 0xfffe
	s_or_b32 exec_lo, exec_lo, s15
	s_and_saveexec_b32 s15, s28
	s_cbranch_execnz .LBB1227_595
.LBB1227_531:                           ;   in Loop: Header=BB1227_388 Depth=2
	s_wait_alu 0xfffe
	s_or_b32 exec_lo, exec_lo, s15
	s_and_saveexec_b32 s15, s29
	s_cbranch_execz .LBB1227_533
.LBB1227_532:                           ;   in Loop: Header=BB1227_388 Depth=2
	v_lshlrev_b32_e32 v2, 2, v148
	ds_load_b32 v2, v2
	ds_load_b64 v[38:39], v110 offset:31744
	s_wait_dscnt 0x1
	v_add_nc_u32_e32 v2, v2, v95
	s_delay_alu instid0(VALU_DEP_1) | instskip(NEXT) | instid1(VALU_DEP_1)
	v_lshlrev_b64_e32 v[40:41], 3, v[2:3]
	v_add_co_u32 v40, vcc_lo, s46, v40
	s_wait_alu 0xfffd
	s_delay_alu instid0(VALU_DEP_2)
	v_add_co_ci_u32_e64 v41, null, s47, v41, vcc_lo
	s_wait_dscnt 0x0
	global_store_b64 v[40:41], v[38:39], off
.LBB1227_533:                           ;   in Loop: Header=BB1227_388 Depth=2
	s_wait_alu 0xfffe
	s_or_b32 exec_lo, exec_lo, s15
	s_wait_loadcnt 0x0
	s_wait_storecnt 0x0
	s_barrier_signal -1
	s_barrier_wait -1
	global_inv scope:SCOPE_SE
	s_and_saveexec_b32 s15, s2
	s_cbranch_execz .LBB1227_387
; %bb.534:                              ;   in Loop: Header=BB1227_388 Depth=2
	ds_load_b32 v2, v78
	s_wait_dscnt 0x0
	v_add_nc_u32_e32 v2, v2, v70
	ds_store_b32 v78, v2
	s_branch .LBB1227_387
.LBB1227_535:                           ;   in Loop: Header=BB1227_388 Depth=2
	ds_load_b64 v[38:39], v110 offset:1024
	s_wait_dscnt 0x0
	v_cmp_ne_u64_e64 s15, s[42:43], v[38:39]
	s_wait_alu 0xf1ff
	s_delay_alu instid0(VALU_DEP_1) | instskip(SKIP_2) | instid1(VALU_DEP_2)
	v_cndmask_b32_e64 v45, 0x80000000, v39, s15
	v_cndmask_b32_e64 v44, 0, v38, s15
	v_cmp_lt_i64_e64 s15, -1, v[38:39]
	v_lshrrev_b64 v[44:45], s48, v[44:45]
	s_wait_alu 0xf1ff
	s_delay_alu instid0(VALU_DEP_2) | instskip(NEXT) | instid1(VALU_DEP_2)
	v_cndmask_b32_e64 v46, 0x80000000, -1, s15
	v_and_b32_e32 v2, s57, v44
	v_ashrrev_i32_e32 v44, 31, v39
	s_delay_alu instid0(VALU_DEP_3) | instskip(NEXT) | instid1(VALU_DEP_3)
	v_xor_b32_e32 v39, v46, v39
	v_lshlrev_b32_e32 v2, 2, v2
	s_delay_alu instid0(VALU_DEP_3) | instskip(SKIP_4) | instid1(VALU_DEP_1)
	v_not_b32_e32 v47, v44
	ds_load_b32 v2, v2
	v_xor_b32_e32 v38, v47, v38
	s_wait_dscnt 0x0
	v_add_nc_u32_e32 v2, v2, v1
	v_lshlrev_b64_e32 v[44:45], 3, v[2:3]
	s_delay_alu instid0(VALU_DEP_1) | instskip(SKIP_1) | instid1(VALU_DEP_2)
	v_add_co_u32 v44, s15, s40, v44
	s_wait_alu 0xf1ff
	v_add_co_ci_u32_e64 v45, null, s41, v45, s15
	global_store_b64 v[44:45], v[38:39], off
	s_wait_alu 0xfffe
	s_or_b32 exec_lo, exec_lo, s16
	v_cmp_lt_u32_e64 s15, v79, v164
	s_and_saveexec_b32 s17, s15
	s_cbranch_execz .LBB1227_468
.LBB1227_536:                           ;   in Loop: Header=BB1227_388 Depth=2
	ds_load_b64 v[38:39], v110 offset:3072
	s_wait_dscnt 0x0
	v_cmp_ne_u64_e64 s16, s[42:43], v[38:39]
	s_wait_alu 0xf1ff
	s_delay_alu instid0(VALU_DEP_1) | instskip(SKIP_2) | instid1(VALU_DEP_2)
	v_cndmask_b32_e64 v45, 0x80000000, v39, s16
	v_cndmask_b32_e64 v44, 0, v38, s16
	v_cmp_lt_i64_e64 s16, -1, v[38:39]
	v_lshrrev_b64 v[44:45], s48, v[44:45]
	s_wait_alu 0xf1ff
	s_delay_alu instid0(VALU_DEP_2) | instskip(NEXT) | instid1(VALU_DEP_2)
	v_cndmask_b32_e64 v46, 0x80000000, -1, s16
	v_and_b32_e32 v2, s57, v44
	v_ashrrev_i32_e32 v44, 31, v39
	s_delay_alu instid0(VALU_DEP_3) | instskip(NEXT) | instid1(VALU_DEP_3)
	v_xor_b32_e32 v39, v46, v39
	v_lshlrev_b32_e32 v2, 2, v2
	s_delay_alu instid0(VALU_DEP_3) | instskip(SKIP_4) | instid1(VALU_DEP_1)
	v_not_b32_e32 v47, v44
	ds_load_b32 v2, v2
	v_xor_b32_e32 v38, v47, v38
	s_wait_dscnt 0x0
	v_add_nc_u32_e32 v2, v2, v79
	v_lshlrev_b64_e32 v[44:45], 3, v[2:3]
	s_delay_alu instid0(VALU_DEP_1) | instskip(SKIP_1) | instid1(VALU_DEP_2)
	v_add_co_u32 v44, s16, s40, v44
	s_wait_alu 0xf1ff
	v_add_co_ci_u32_e64 v45, null, s41, v45, s16
	global_store_b64 v[44:45], v[38:39], off
	s_wait_alu 0xfffe
	s_or_b32 exec_lo, exec_lo, s17
	v_cmp_lt_u32_e64 s16, v80, v164
	s_and_saveexec_b32 s18, s16
	s_cbranch_execz .LBB1227_469
.LBB1227_537:                           ;   in Loop: Header=BB1227_388 Depth=2
	ds_load_b64 v[38:39], v110 offset:5120
	s_wait_dscnt 0x0
	v_cmp_ne_u64_e64 s17, s[42:43], v[38:39]
	s_wait_alu 0xf1ff
	s_delay_alu instid0(VALU_DEP_1) | instskip(SKIP_2) | instid1(VALU_DEP_2)
	v_cndmask_b32_e64 v45, 0x80000000, v39, s17
	v_cndmask_b32_e64 v44, 0, v38, s17
	v_cmp_lt_i64_e64 s17, -1, v[38:39]
	v_lshrrev_b64 v[44:45], s48, v[44:45]
	s_wait_alu 0xf1ff
	s_delay_alu instid0(VALU_DEP_2) | instskip(NEXT) | instid1(VALU_DEP_2)
	v_cndmask_b32_e64 v46, 0x80000000, -1, s17
	v_and_b32_e32 v2, s57, v44
	v_ashrrev_i32_e32 v44, 31, v39
	s_delay_alu instid0(VALU_DEP_3) | instskip(NEXT) | instid1(VALU_DEP_3)
	v_xor_b32_e32 v39, v46, v39
	v_lshlrev_b32_e32 v2, 2, v2
	s_delay_alu instid0(VALU_DEP_3) | instskip(SKIP_4) | instid1(VALU_DEP_1)
	v_not_b32_e32 v47, v44
	ds_load_b32 v2, v2
	v_xor_b32_e32 v38, v47, v38
	s_wait_dscnt 0x0
	v_add_nc_u32_e32 v2, v2, v80
	v_lshlrev_b64_e32 v[44:45], 3, v[2:3]
	s_delay_alu instid0(VALU_DEP_1) | instskip(SKIP_1) | instid1(VALU_DEP_2)
	v_add_co_u32 v44, s17, s40, v44
	s_wait_alu 0xf1ff
	v_add_co_ci_u32_e64 v45, null, s41, v45, s17
	global_store_b64 v[44:45], v[38:39], off
	s_wait_alu 0xfffe
	s_or_b32 exec_lo, exec_lo, s18
	v_cmp_lt_u32_e64 s17, v81, v164
	s_and_saveexec_b32 s19, s17
	s_cbranch_execz .LBB1227_470
.LBB1227_538:                           ;   in Loop: Header=BB1227_388 Depth=2
	ds_load_b64 v[38:39], v110 offset:7168
	s_wait_dscnt 0x0
	v_cmp_ne_u64_e64 s18, s[42:43], v[38:39]
	s_wait_alu 0xf1ff
	s_delay_alu instid0(VALU_DEP_1) | instskip(SKIP_2) | instid1(VALU_DEP_2)
	v_cndmask_b32_e64 v45, 0x80000000, v39, s18
	v_cndmask_b32_e64 v44, 0, v38, s18
	v_cmp_lt_i64_e64 s18, -1, v[38:39]
	v_lshrrev_b64 v[44:45], s48, v[44:45]
	s_wait_alu 0xf1ff
	s_delay_alu instid0(VALU_DEP_2) | instskip(NEXT) | instid1(VALU_DEP_2)
	v_cndmask_b32_e64 v46, 0x80000000, -1, s18
	v_and_b32_e32 v2, s57, v44
	v_ashrrev_i32_e32 v44, 31, v39
	s_delay_alu instid0(VALU_DEP_3) | instskip(NEXT) | instid1(VALU_DEP_3)
	v_xor_b32_e32 v39, v46, v39
	v_lshlrev_b32_e32 v2, 2, v2
	s_delay_alu instid0(VALU_DEP_3) | instskip(SKIP_4) | instid1(VALU_DEP_1)
	v_not_b32_e32 v47, v44
	ds_load_b32 v2, v2
	v_xor_b32_e32 v38, v47, v38
	s_wait_dscnt 0x0
	v_add_nc_u32_e32 v2, v2, v81
	v_lshlrev_b64_e32 v[44:45], 3, v[2:3]
	s_delay_alu instid0(VALU_DEP_1) | instskip(SKIP_1) | instid1(VALU_DEP_2)
	v_add_co_u32 v44, s18, s40, v44
	s_wait_alu 0xf1ff
	v_add_co_ci_u32_e64 v45, null, s41, v45, s18
	global_store_b64 v[44:45], v[38:39], off
	s_wait_alu 0xfffe
	s_or_b32 exec_lo, exec_lo, s19
	v_cmp_lt_u32_e64 s18, v84, v164
	s_and_saveexec_b32 s20, s18
	s_cbranch_execz .LBB1227_471
.LBB1227_539:                           ;   in Loop: Header=BB1227_388 Depth=2
	ds_load_b64 v[38:39], v110 offset:9216
	s_wait_dscnt 0x0
	v_cmp_ne_u64_e64 s19, s[42:43], v[38:39]
	s_wait_alu 0xf1ff
	s_delay_alu instid0(VALU_DEP_1) | instskip(SKIP_2) | instid1(VALU_DEP_2)
	v_cndmask_b32_e64 v45, 0x80000000, v39, s19
	v_cndmask_b32_e64 v44, 0, v38, s19
	v_cmp_lt_i64_e64 s19, -1, v[38:39]
	v_lshrrev_b64 v[44:45], s48, v[44:45]
	s_wait_alu 0xf1ff
	s_delay_alu instid0(VALU_DEP_2) | instskip(NEXT) | instid1(VALU_DEP_2)
	v_cndmask_b32_e64 v46, 0x80000000, -1, s19
	v_and_b32_e32 v2, s57, v44
	v_ashrrev_i32_e32 v44, 31, v39
	s_delay_alu instid0(VALU_DEP_3) | instskip(NEXT) | instid1(VALU_DEP_3)
	v_xor_b32_e32 v39, v46, v39
	v_lshlrev_b32_e32 v2, 2, v2
	s_delay_alu instid0(VALU_DEP_3) | instskip(SKIP_4) | instid1(VALU_DEP_1)
	v_not_b32_e32 v47, v44
	ds_load_b32 v2, v2
	v_xor_b32_e32 v38, v47, v38
	s_wait_dscnt 0x0
	v_add_nc_u32_e32 v2, v2, v84
	v_lshlrev_b64_e32 v[44:45], 3, v[2:3]
	s_delay_alu instid0(VALU_DEP_1) | instskip(SKIP_1) | instid1(VALU_DEP_2)
	v_add_co_u32 v44, s19, s40, v44
	s_wait_alu 0xf1ff
	v_add_co_ci_u32_e64 v45, null, s41, v45, s19
	global_store_b64 v[44:45], v[38:39], off
	s_wait_alu 0xfffe
	s_or_b32 exec_lo, exec_lo, s20
	v_cmp_lt_u32_e64 s19, v85, v164
	s_and_saveexec_b32 s21, s19
	s_cbranch_execz .LBB1227_472
.LBB1227_540:                           ;   in Loop: Header=BB1227_388 Depth=2
	ds_load_b64 v[38:39], v110 offset:11264
	s_wait_dscnt 0x0
	v_cmp_ne_u64_e64 s20, s[42:43], v[38:39]
	s_wait_alu 0xf1ff
	s_delay_alu instid0(VALU_DEP_1) | instskip(SKIP_2) | instid1(VALU_DEP_2)
	v_cndmask_b32_e64 v45, 0x80000000, v39, s20
	v_cndmask_b32_e64 v44, 0, v38, s20
	v_cmp_lt_i64_e64 s20, -1, v[38:39]
	v_lshrrev_b64 v[44:45], s48, v[44:45]
	s_wait_alu 0xf1ff
	s_delay_alu instid0(VALU_DEP_2) | instskip(NEXT) | instid1(VALU_DEP_2)
	v_cndmask_b32_e64 v46, 0x80000000, -1, s20
	v_and_b32_e32 v2, s57, v44
	v_ashrrev_i32_e32 v44, 31, v39
	s_delay_alu instid0(VALU_DEP_3) | instskip(NEXT) | instid1(VALU_DEP_3)
	v_xor_b32_e32 v39, v46, v39
	v_lshlrev_b32_e32 v2, 2, v2
	s_delay_alu instid0(VALU_DEP_3) | instskip(SKIP_4) | instid1(VALU_DEP_1)
	v_not_b32_e32 v47, v44
	ds_load_b32 v2, v2
	v_xor_b32_e32 v38, v47, v38
	s_wait_dscnt 0x0
	v_add_nc_u32_e32 v2, v2, v85
	v_lshlrev_b64_e32 v[44:45], 3, v[2:3]
	s_delay_alu instid0(VALU_DEP_1) | instskip(SKIP_1) | instid1(VALU_DEP_2)
	v_add_co_u32 v44, s20, s40, v44
	s_wait_alu 0xf1ff
	v_add_co_ci_u32_e64 v45, null, s41, v45, s20
	global_store_b64 v[44:45], v[38:39], off
	s_wait_alu 0xfffe
	s_or_b32 exec_lo, exec_lo, s21
	v_cmp_lt_u32_e64 s20, v86, v164
	s_and_saveexec_b32 s22, s20
	s_cbranch_execz .LBB1227_473
.LBB1227_541:                           ;   in Loop: Header=BB1227_388 Depth=2
	ds_load_b64 v[38:39], v110 offset:13312
	s_wait_dscnt 0x0
	v_cmp_ne_u64_e64 s21, s[42:43], v[38:39]
	s_wait_alu 0xf1ff
	s_delay_alu instid0(VALU_DEP_1) | instskip(SKIP_2) | instid1(VALU_DEP_2)
	v_cndmask_b32_e64 v45, 0x80000000, v39, s21
	v_cndmask_b32_e64 v44, 0, v38, s21
	v_cmp_lt_i64_e64 s21, -1, v[38:39]
	v_lshrrev_b64 v[44:45], s48, v[44:45]
	s_wait_alu 0xf1ff
	s_delay_alu instid0(VALU_DEP_2) | instskip(NEXT) | instid1(VALU_DEP_2)
	v_cndmask_b32_e64 v46, 0x80000000, -1, s21
	v_and_b32_e32 v2, s57, v44
	v_ashrrev_i32_e32 v44, 31, v39
	s_delay_alu instid0(VALU_DEP_3) | instskip(NEXT) | instid1(VALU_DEP_3)
	v_xor_b32_e32 v39, v46, v39
	v_lshlrev_b32_e32 v2, 2, v2
	s_delay_alu instid0(VALU_DEP_3) | instskip(SKIP_4) | instid1(VALU_DEP_1)
	v_not_b32_e32 v47, v44
	ds_load_b32 v2, v2
	v_xor_b32_e32 v38, v47, v38
	s_wait_dscnt 0x0
	v_add_nc_u32_e32 v2, v2, v86
	v_lshlrev_b64_e32 v[44:45], 3, v[2:3]
	s_delay_alu instid0(VALU_DEP_1) | instskip(SKIP_1) | instid1(VALU_DEP_2)
	v_add_co_u32 v44, s21, s40, v44
	s_wait_alu 0xf1ff
	v_add_co_ci_u32_e64 v45, null, s41, v45, s21
	global_store_b64 v[44:45], v[38:39], off
	s_wait_alu 0xfffe
	s_or_b32 exec_lo, exec_lo, s22
	v_cmp_lt_u32_e64 s21, v87, v164
	s_and_saveexec_b32 s23, s21
	s_cbranch_execz .LBB1227_474
.LBB1227_542:                           ;   in Loop: Header=BB1227_388 Depth=2
	ds_load_b64 v[38:39], v110 offset:15360
	s_wait_dscnt 0x0
	v_cmp_ne_u64_e64 s22, s[42:43], v[38:39]
	s_wait_alu 0xf1ff
	s_delay_alu instid0(VALU_DEP_1) | instskip(SKIP_2) | instid1(VALU_DEP_2)
	v_cndmask_b32_e64 v45, 0x80000000, v39, s22
	v_cndmask_b32_e64 v44, 0, v38, s22
	v_cmp_lt_i64_e64 s22, -1, v[38:39]
	v_lshrrev_b64 v[44:45], s48, v[44:45]
	s_wait_alu 0xf1ff
	s_delay_alu instid0(VALU_DEP_2) | instskip(NEXT) | instid1(VALU_DEP_2)
	v_cndmask_b32_e64 v46, 0x80000000, -1, s22
	v_and_b32_e32 v2, s57, v44
	v_ashrrev_i32_e32 v44, 31, v39
	s_delay_alu instid0(VALU_DEP_3) | instskip(NEXT) | instid1(VALU_DEP_3)
	v_xor_b32_e32 v39, v46, v39
	v_lshlrev_b32_e32 v2, 2, v2
	s_delay_alu instid0(VALU_DEP_3) | instskip(SKIP_4) | instid1(VALU_DEP_1)
	v_not_b32_e32 v47, v44
	ds_load_b32 v2, v2
	v_xor_b32_e32 v38, v47, v38
	s_wait_dscnt 0x0
	v_add_nc_u32_e32 v2, v2, v87
	v_lshlrev_b64_e32 v[44:45], 3, v[2:3]
	s_delay_alu instid0(VALU_DEP_1) | instskip(SKIP_1) | instid1(VALU_DEP_2)
	v_add_co_u32 v44, s22, s40, v44
	s_wait_alu 0xf1ff
	v_add_co_ci_u32_e64 v45, null, s41, v45, s22
	global_store_b64 v[44:45], v[38:39], off
	s_wait_alu 0xfffe
	s_or_b32 exec_lo, exec_lo, s23
	v_cmp_lt_u32_e64 s22, v88, v164
	s_and_saveexec_b32 s24, s22
	s_cbranch_execz .LBB1227_475
.LBB1227_543:                           ;   in Loop: Header=BB1227_388 Depth=2
	ds_load_b64 v[38:39], v110 offset:17408
	s_wait_dscnt 0x0
	v_cmp_ne_u64_e64 s23, s[42:43], v[38:39]
	s_wait_alu 0xf1ff
	s_delay_alu instid0(VALU_DEP_1) | instskip(SKIP_2) | instid1(VALU_DEP_2)
	v_cndmask_b32_e64 v45, 0x80000000, v39, s23
	v_cndmask_b32_e64 v44, 0, v38, s23
	v_cmp_lt_i64_e64 s23, -1, v[38:39]
	v_lshrrev_b64 v[44:45], s48, v[44:45]
	s_wait_alu 0xf1ff
	s_delay_alu instid0(VALU_DEP_2) | instskip(NEXT) | instid1(VALU_DEP_2)
	v_cndmask_b32_e64 v46, 0x80000000, -1, s23
	v_and_b32_e32 v2, s57, v44
	v_ashrrev_i32_e32 v44, 31, v39
	s_delay_alu instid0(VALU_DEP_3) | instskip(NEXT) | instid1(VALU_DEP_3)
	v_xor_b32_e32 v39, v46, v39
	v_lshlrev_b32_e32 v2, 2, v2
	s_delay_alu instid0(VALU_DEP_3) | instskip(SKIP_4) | instid1(VALU_DEP_1)
	v_not_b32_e32 v47, v44
	ds_load_b32 v2, v2
	v_xor_b32_e32 v38, v47, v38
	s_wait_dscnt 0x0
	v_add_nc_u32_e32 v2, v2, v88
	v_lshlrev_b64_e32 v[44:45], 3, v[2:3]
	s_delay_alu instid0(VALU_DEP_1) | instskip(SKIP_1) | instid1(VALU_DEP_2)
	v_add_co_u32 v44, s23, s40, v44
	s_wait_alu 0xf1ff
	v_add_co_ci_u32_e64 v45, null, s41, v45, s23
	global_store_b64 v[44:45], v[38:39], off
	s_wait_alu 0xfffe
	s_or_b32 exec_lo, exec_lo, s24
	v_cmp_lt_u32_e64 s23, v89, v164
	s_and_saveexec_b32 s25, s23
	s_cbranch_execz .LBB1227_476
.LBB1227_544:                           ;   in Loop: Header=BB1227_388 Depth=2
	ds_load_b64 v[38:39], v110 offset:19456
	s_wait_dscnt 0x0
	v_cmp_ne_u64_e64 s24, s[42:43], v[38:39]
	s_wait_alu 0xf1ff
	s_delay_alu instid0(VALU_DEP_1) | instskip(SKIP_2) | instid1(VALU_DEP_2)
	v_cndmask_b32_e64 v45, 0x80000000, v39, s24
	v_cndmask_b32_e64 v44, 0, v38, s24
	v_cmp_lt_i64_e64 s24, -1, v[38:39]
	v_lshrrev_b64 v[44:45], s48, v[44:45]
	s_wait_alu 0xf1ff
	s_delay_alu instid0(VALU_DEP_2) | instskip(NEXT) | instid1(VALU_DEP_2)
	v_cndmask_b32_e64 v46, 0x80000000, -1, s24
	v_and_b32_e32 v2, s57, v44
	v_ashrrev_i32_e32 v44, 31, v39
	s_delay_alu instid0(VALU_DEP_3) | instskip(NEXT) | instid1(VALU_DEP_3)
	v_xor_b32_e32 v39, v46, v39
	v_lshlrev_b32_e32 v2, 2, v2
	s_delay_alu instid0(VALU_DEP_3) | instskip(SKIP_4) | instid1(VALU_DEP_1)
	v_not_b32_e32 v47, v44
	ds_load_b32 v2, v2
	v_xor_b32_e32 v38, v47, v38
	s_wait_dscnt 0x0
	v_add_nc_u32_e32 v2, v2, v89
	v_lshlrev_b64_e32 v[44:45], 3, v[2:3]
	s_delay_alu instid0(VALU_DEP_1) | instskip(SKIP_1) | instid1(VALU_DEP_2)
	v_add_co_u32 v44, s24, s40, v44
	s_wait_alu 0xf1ff
	v_add_co_ci_u32_e64 v45, null, s41, v45, s24
	global_store_b64 v[44:45], v[38:39], off
	s_wait_alu 0xfffe
	s_or_b32 exec_lo, exec_lo, s25
	v_cmp_lt_u32_e64 s24, v90, v164
	s_and_saveexec_b32 s26, s24
	s_cbranch_execz .LBB1227_477
.LBB1227_545:                           ;   in Loop: Header=BB1227_388 Depth=2
	ds_load_b64 v[38:39], v110 offset:21504
	s_wait_dscnt 0x0
	v_cmp_ne_u64_e64 s25, s[42:43], v[38:39]
	s_wait_alu 0xf1ff
	s_delay_alu instid0(VALU_DEP_1) | instskip(SKIP_2) | instid1(VALU_DEP_2)
	v_cndmask_b32_e64 v45, 0x80000000, v39, s25
	v_cndmask_b32_e64 v44, 0, v38, s25
	v_cmp_lt_i64_e64 s25, -1, v[38:39]
	v_lshrrev_b64 v[44:45], s48, v[44:45]
	s_wait_alu 0xf1ff
	s_delay_alu instid0(VALU_DEP_2) | instskip(NEXT) | instid1(VALU_DEP_2)
	v_cndmask_b32_e64 v46, 0x80000000, -1, s25
	v_and_b32_e32 v2, s57, v44
	v_ashrrev_i32_e32 v44, 31, v39
	s_delay_alu instid0(VALU_DEP_3) | instskip(NEXT) | instid1(VALU_DEP_3)
	v_xor_b32_e32 v39, v46, v39
	v_lshlrev_b32_e32 v2, 2, v2
	s_delay_alu instid0(VALU_DEP_3) | instskip(SKIP_4) | instid1(VALU_DEP_1)
	v_not_b32_e32 v47, v44
	ds_load_b32 v2, v2
	v_xor_b32_e32 v38, v47, v38
	s_wait_dscnt 0x0
	v_add_nc_u32_e32 v2, v2, v90
	v_lshlrev_b64_e32 v[44:45], 3, v[2:3]
	s_delay_alu instid0(VALU_DEP_1) | instskip(SKIP_1) | instid1(VALU_DEP_2)
	v_add_co_u32 v44, s25, s40, v44
	s_wait_alu 0xf1ff
	v_add_co_ci_u32_e64 v45, null, s41, v45, s25
	global_store_b64 v[44:45], v[38:39], off
	s_wait_alu 0xfffe
	s_or_b32 exec_lo, exec_lo, s26
	v_cmp_lt_u32_e64 s25, v91, v164
	s_and_saveexec_b32 s27, s25
	s_cbranch_execz .LBB1227_478
.LBB1227_546:                           ;   in Loop: Header=BB1227_388 Depth=2
	ds_load_b64 v[38:39], v110 offset:23552
	s_wait_dscnt 0x0
	v_cmp_ne_u64_e64 s26, s[42:43], v[38:39]
	s_wait_alu 0xf1ff
	s_delay_alu instid0(VALU_DEP_1) | instskip(SKIP_2) | instid1(VALU_DEP_2)
	v_cndmask_b32_e64 v45, 0x80000000, v39, s26
	v_cndmask_b32_e64 v44, 0, v38, s26
	v_cmp_lt_i64_e64 s26, -1, v[38:39]
	v_lshrrev_b64 v[44:45], s48, v[44:45]
	s_wait_alu 0xf1ff
	s_delay_alu instid0(VALU_DEP_2) | instskip(NEXT) | instid1(VALU_DEP_2)
	v_cndmask_b32_e64 v46, 0x80000000, -1, s26
	v_and_b32_e32 v2, s57, v44
	v_ashrrev_i32_e32 v44, 31, v39
	s_delay_alu instid0(VALU_DEP_3) | instskip(NEXT) | instid1(VALU_DEP_3)
	v_xor_b32_e32 v39, v46, v39
	v_lshlrev_b32_e32 v2, 2, v2
	s_delay_alu instid0(VALU_DEP_3) | instskip(SKIP_4) | instid1(VALU_DEP_1)
	v_not_b32_e32 v47, v44
	ds_load_b32 v2, v2
	v_xor_b32_e32 v38, v47, v38
	s_wait_dscnt 0x0
	v_add_nc_u32_e32 v2, v2, v91
	v_lshlrev_b64_e32 v[44:45], 3, v[2:3]
	s_delay_alu instid0(VALU_DEP_1) | instskip(SKIP_1) | instid1(VALU_DEP_2)
	v_add_co_u32 v44, s26, s40, v44
	s_wait_alu 0xf1ff
	v_add_co_ci_u32_e64 v45, null, s41, v45, s26
	global_store_b64 v[44:45], v[38:39], off
	s_wait_alu 0xfffe
	s_or_b32 exec_lo, exec_lo, s27
	v_cmp_lt_u32_e64 s26, v92, v164
	s_and_saveexec_b32 s28, s26
	s_cbranch_execz .LBB1227_479
.LBB1227_547:                           ;   in Loop: Header=BB1227_388 Depth=2
	ds_load_b64 v[38:39], v110 offset:25600
	s_wait_dscnt 0x0
	v_cmp_ne_u64_e64 s27, s[42:43], v[38:39]
	s_wait_alu 0xf1ff
	s_delay_alu instid0(VALU_DEP_1) | instskip(SKIP_2) | instid1(VALU_DEP_2)
	v_cndmask_b32_e64 v45, 0x80000000, v39, s27
	v_cndmask_b32_e64 v44, 0, v38, s27
	v_cmp_lt_i64_e64 s27, -1, v[38:39]
	v_lshrrev_b64 v[44:45], s48, v[44:45]
	s_wait_alu 0xf1ff
	s_delay_alu instid0(VALU_DEP_2) | instskip(NEXT) | instid1(VALU_DEP_2)
	v_cndmask_b32_e64 v46, 0x80000000, -1, s27
	v_and_b32_e32 v2, s57, v44
	v_ashrrev_i32_e32 v44, 31, v39
	s_delay_alu instid0(VALU_DEP_3) | instskip(NEXT) | instid1(VALU_DEP_3)
	v_xor_b32_e32 v39, v46, v39
	v_lshlrev_b32_e32 v2, 2, v2
	s_delay_alu instid0(VALU_DEP_3) | instskip(SKIP_4) | instid1(VALU_DEP_1)
	v_not_b32_e32 v47, v44
	ds_load_b32 v2, v2
	v_xor_b32_e32 v38, v47, v38
	s_wait_dscnt 0x0
	v_add_nc_u32_e32 v2, v2, v92
	v_lshlrev_b64_e32 v[44:45], 3, v[2:3]
	s_delay_alu instid0(VALU_DEP_1) | instskip(SKIP_1) | instid1(VALU_DEP_2)
	v_add_co_u32 v44, s27, s40, v44
	s_wait_alu 0xf1ff
	v_add_co_ci_u32_e64 v45, null, s41, v45, s27
	global_store_b64 v[44:45], v[38:39], off
	s_wait_alu 0xfffe
	s_or_b32 exec_lo, exec_lo, s28
	v_cmp_lt_u32_e64 s27, v93, v164
	s_and_saveexec_b32 s29, s27
	s_cbranch_execz .LBB1227_480
.LBB1227_548:                           ;   in Loop: Header=BB1227_388 Depth=2
	ds_load_b64 v[38:39], v110 offset:27648
	s_wait_dscnt 0x0
	v_cmp_ne_u64_e64 s28, s[42:43], v[38:39]
	s_wait_alu 0xf1ff
	s_delay_alu instid0(VALU_DEP_1) | instskip(SKIP_2) | instid1(VALU_DEP_2)
	v_cndmask_b32_e64 v45, 0x80000000, v39, s28
	v_cndmask_b32_e64 v44, 0, v38, s28
	v_cmp_lt_i64_e64 s28, -1, v[38:39]
	v_lshrrev_b64 v[44:45], s48, v[44:45]
	s_wait_alu 0xf1ff
	s_delay_alu instid0(VALU_DEP_2) | instskip(NEXT) | instid1(VALU_DEP_2)
	v_cndmask_b32_e64 v46, 0x80000000, -1, s28
	v_and_b32_e32 v2, s57, v44
	v_ashrrev_i32_e32 v44, 31, v39
	s_delay_alu instid0(VALU_DEP_3) | instskip(NEXT) | instid1(VALU_DEP_3)
	v_xor_b32_e32 v39, v46, v39
	v_lshlrev_b32_e32 v2, 2, v2
	s_delay_alu instid0(VALU_DEP_3) | instskip(SKIP_4) | instid1(VALU_DEP_1)
	v_not_b32_e32 v47, v44
	ds_load_b32 v2, v2
	v_xor_b32_e32 v38, v47, v38
	s_wait_dscnt 0x0
	v_add_nc_u32_e32 v2, v2, v93
	v_lshlrev_b64_e32 v[44:45], 3, v[2:3]
	s_delay_alu instid0(VALU_DEP_1) | instskip(SKIP_1) | instid1(VALU_DEP_2)
	v_add_co_u32 v44, s28, s40, v44
	s_wait_alu 0xf1ff
	v_add_co_ci_u32_e64 v45, null, s41, v45, s28
	global_store_b64 v[44:45], v[38:39], off
	s_wait_alu 0xfffe
	s_or_b32 exec_lo, exec_lo, s29
	v_cmp_lt_u32_e64 s28, v94, v164
	s_and_saveexec_b32 s30, s28
	s_cbranch_execz .LBB1227_481
.LBB1227_549:                           ;   in Loop: Header=BB1227_388 Depth=2
	ds_load_b64 v[38:39], v110 offset:29696
	s_wait_dscnt 0x0
	v_cmp_ne_u64_e64 s29, s[42:43], v[38:39]
	s_wait_alu 0xf1ff
	s_delay_alu instid0(VALU_DEP_1) | instskip(SKIP_2) | instid1(VALU_DEP_2)
	v_cndmask_b32_e64 v45, 0x80000000, v39, s29
	v_cndmask_b32_e64 v44, 0, v38, s29
	v_cmp_lt_i64_e64 s29, -1, v[38:39]
	v_lshrrev_b64 v[44:45], s48, v[44:45]
	s_wait_alu 0xf1ff
	s_delay_alu instid0(VALU_DEP_2) | instskip(NEXT) | instid1(VALU_DEP_2)
	v_cndmask_b32_e64 v46, 0x80000000, -1, s29
	v_and_b32_e32 v2, s57, v44
	v_ashrrev_i32_e32 v44, 31, v39
	s_delay_alu instid0(VALU_DEP_3) | instskip(NEXT) | instid1(VALU_DEP_3)
	v_xor_b32_e32 v39, v46, v39
	v_lshlrev_b32_e32 v2, 2, v2
	s_delay_alu instid0(VALU_DEP_3) | instskip(SKIP_4) | instid1(VALU_DEP_1)
	v_not_b32_e32 v47, v44
	ds_load_b32 v2, v2
	v_xor_b32_e32 v38, v47, v38
	s_wait_dscnt 0x0
	v_add_nc_u32_e32 v2, v2, v94
	v_lshlrev_b64_e32 v[44:45], 3, v[2:3]
	s_delay_alu instid0(VALU_DEP_1) | instskip(SKIP_1) | instid1(VALU_DEP_2)
	v_add_co_u32 v44, s29, s40, v44
	s_wait_alu 0xf1ff
	v_add_co_ci_u32_e64 v45, null, s41, v45, s29
	global_store_b64 v[44:45], v[38:39], off
	s_wait_alu 0xfffe
	s_or_b32 exec_lo, exec_lo, s30
	v_cmp_lt_u32_e64 s29, v95, v164
	s_and_saveexec_b32 s60, s29
	s_cbranch_execnz .LBB1227_482
	s_branch .LBB1227_483
.LBB1227_550:                           ;   in Loop: Header=BB1227_388 Depth=2
	global_load_b64 v[36:37], v[38:39], off
	s_wait_alu 0xfffe
	s_or_b32 exec_lo, exec_lo, s30
	s_delay_alu instid0(SALU_CYCLE_1)
	s_mov_b32 s34, exec_lo
	v_cmpx_lt_u32_e64 v130, v164
	s_cbranch_execz .LBB1227_485
.LBB1227_551:                           ;   in Loop: Header=BB1227_388 Depth=2
	global_load_b64 v[34:35], v[38:39], off offset:256
	s_wait_alu 0xfffe
	s_or_b32 exec_lo, exec_lo, s34
	s_delay_alu instid0(SALU_CYCLE_1)
	s_mov_b32 s34, exec_lo
	v_cmpx_lt_u32_e64 v131, v164
	s_cbranch_execz .LBB1227_486
.LBB1227_552:                           ;   in Loop: Header=BB1227_388 Depth=2
	global_load_b64 v[32:33], v[38:39], off offset:512
	s_wait_alu 0xfffe
	s_or_b32 exec_lo, exec_lo, s34
	s_delay_alu instid0(SALU_CYCLE_1)
	s_mov_b32 s34, exec_lo
	v_cmpx_lt_u32_e64 v132, v164
	s_cbranch_execz .LBB1227_487
.LBB1227_553:                           ;   in Loop: Header=BB1227_388 Depth=2
	global_load_b64 v[30:31], v[38:39], off offset:768
	s_wait_alu 0xfffe
	s_or_b32 exec_lo, exec_lo, s34
	s_delay_alu instid0(SALU_CYCLE_1)
	s_mov_b32 s34, exec_lo
	v_cmpx_lt_u32_e64 v133, v164
	s_cbranch_execz .LBB1227_488
.LBB1227_554:                           ;   in Loop: Header=BB1227_388 Depth=2
	global_load_b64 v[28:29], v[38:39], off offset:1024
	s_wait_alu 0xfffe
	s_or_b32 exec_lo, exec_lo, s34
	s_delay_alu instid0(SALU_CYCLE_1)
	s_mov_b32 s34, exec_lo
	v_cmpx_lt_u32_e64 v134, v164
	s_cbranch_execz .LBB1227_489
.LBB1227_555:                           ;   in Loop: Header=BB1227_388 Depth=2
	global_load_b64 v[26:27], v[38:39], off offset:1280
	s_wait_alu 0xfffe
	s_or_b32 exec_lo, exec_lo, s34
	s_delay_alu instid0(SALU_CYCLE_1)
	s_mov_b32 s34, exec_lo
	v_cmpx_lt_u32_e64 v135, v164
	s_cbranch_execz .LBB1227_490
.LBB1227_556:                           ;   in Loop: Header=BB1227_388 Depth=2
	global_load_b64 v[24:25], v[38:39], off offset:1536
	s_wait_alu 0xfffe
	s_or_b32 exec_lo, exec_lo, s34
	s_delay_alu instid0(SALU_CYCLE_1)
	s_mov_b32 s34, exec_lo
	v_cmpx_lt_u32_e64 v136, v164
	s_cbranch_execz .LBB1227_491
.LBB1227_557:                           ;   in Loop: Header=BB1227_388 Depth=2
	global_load_b64 v[22:23], v[38:39], off offset:1792
	s_wait_alu 0xfffe
	s_or_b32 exec_lo, exec_lo, s34
	s_delay_alu instid0(SALU_CYCLE_1)
	s_mov_b32 s34, exec_lo
	v_cmpx_lt_u32_e64 v137, v164
	s_cbranch_execz .LBB1227_492
.LBB1227_558:                           ;   in Loop: Header=BB1227_388 Depth=2
	global_load_b64 v[20:21], v[38:39], off offset:2048
	s_wait_alu 0xfffe
	s_or_b32 exec_lo, exec_lo, s34
	s_delay_alu instid0(SALU_CYCLE_1)
	s_mov_b32 s34, exec_lo
	v_cmpx_lt_u32_e64 v138, v164
	s_cbranch_execz .LBB1227_493
.LBB1227_559:                           ;   in Loop: Header=BB1227_388 Depth=2
	global_load_b64 v[18:19], v[38:39], off offset:2304
	s_wait_alu 0xfffe
	s_or_b32 exec_lo, exec_lo, s34
	s_delay_alu instid0(SALU_CYCLE_1)
	s_mov_b32 s34, exec_lo
	v_cmpx_lt_u32_e64 v139, v164
	s_cbranch_execz .LBB1227_494
.LBB1227_560:                           ;   in Loop: Header=BB1227_388 Depth=2
	global_load_b64 v[16:17], v[38:39], off offset:2560
	s_wait_alu 0xfffe
	s_or_b32 exec_lo, exec_lo, s34
	s_delay_alu instid0(SALU_CYCLE_1)
	s_mov_b32 s34, exec_lo
	v_cmpx_lt_u32_e64 v140, v164
	s_cbranch_execz .LBB1227_495
.LBB1227_561:                           ;   in Loop: Header=BB1227_388 Depth=2
	global_load_b64 v[14:15], v[38:39], off offset:2816
	s_wait_alu 0xfffe
	s_or_b32 exec_lo, exec_lo, s34
	s_delay_alu instid0(SALU_CYCLE_1)
	s_mov_b32 s34, exec_lo
	v_cmpx_lt_u32_e64 v141, v164
	s_cbranch_execz .LBB1227_496
.LBB1227_562:                           ;   in Loop: Header=BB1227_388 Depth=2
	global_load_b64 v[12:13], v[38:39], off offset:3072
	s_wait_alu 0xfffe
	s_or_b32 exec_lo, exec_lo, s34
	s_delay_alu instid0(SALU_CYCLE_1)
	s_mov_b32 s34, exec_lo
	v_cmpx_lt_u32_e64 v142, v164
	s_cbranch_execz .LBB1227_497
.LBB1227_563:                           ;   in Loop: Header=BB1227_388 Depth=2
	global_load_b64 v[10:11], v[38:39], off offset:3328
	s_wait_alu 0xfffe
	s_or_b32 exec_lo, exec_lo, s34
	s_delay_alu instid0(SALU_CYCLE_1)
	s_mov_b32 s34, exec_lo
	v_cmpx_lt_u32_e64 v143, v164
	s_cbranch_execz .LBB1227_498
.LBB1227_564:                           ;   in Loop: Header=BB1227_388 Depth=2
	global_load_b64 v[8:9], v[38:39], off offset:3584
	s_wait_alu 0xfffe
	s_or_b32 exec_lo, exec_lo, s34
	s_delay_alu instid0(SALU_CYCLE_1)
	s_mov_b32 s34, exec_lo
	v_cmpx_lt_u32_e64 v144, v164
	s_cbranch_execz .LBB1227_499
.LBB1227_565:                           ;   in Loop: Header=BB1227_388 Depth=2
	global_load_b64 v[6:7], v[38:39], off offset:3840
	s_wait_alu 0xfffe
	s_or_b32 exec_lo, exec_lo, s34
	s_and_saveexec_b32 s34, vcc_lo
	s_cbranch_execz .LBB1227_500
.LBB1227_566:                           ;   in Loop: Header=BB1227_388 Depth=2
	ds_load_b64 v[38:39], v110 offset:1024
	s_wait_dscnt 0x0
	v_cmp_ne_u64_e64 s30, s[42:43], v[38:39]
	s_wait_alu 0xf1ff
	s_delay_alu instid0(VALU_DEP_1) | instskip(SKIP_1) | instid1(VALU_DEP_1)
	v_cndmask_b32_e64 v39, 0x80000000, v39, s30
	v_cndmask_b32_e64 v38, 0, v38, s30
	v_lshrrev_b64 v[38:39], s48, v[38:39]
	s_delay_alu instid0(VALU_DEP_1)
	v_and_b32_e32 v163, s57, v38
	s_wait_alu 0xfffe
	s_or_b32 exec_lo, exec_lo, s34
	s_and_saveexec_b32 s34, s15
	s_cbranch_execz .LBB1227_501
.LBB1227_567:                           ;   in Loop: Header=BB1227_388 Depth=2
	ds_load_b64 v[38:39], v110 offset:3072
	s_wait_dscnt 0x0
	v_cmp_ne_u64_e64 s30, s[42:43], v[38:39]
	s_wait_alu 0xf1ff
	s_delay_alu instid0(VALU_DEP_1) | instskip(SKIP_1) | instid1(VALU_DEP_1)
	v_cndmask_b32_e64 v39, 0x80000000, v39, s30
	v_cndmask_b32_e64 v38, 0, v38, s30
	v_lshrrev_b64 v[38:39], s48, v[38:39]
	s_delay_alu instid0(VALU_DEP_1)
	v_and_b32_e32 v162, s57, v38
	s_wait_alu 0xfffe
	s_or_b32 exec_lo, exec_lo, s34
	s_and_saveexec_b32 s34, s16
	s_cbranch_execz .LBB1227_502
.LBB1227_568:                           ;   in Loop: Header=BB1227_388 Depth=2
	ds_load_b64 v[38:39], v110 offset:5120
	s_wait_dscnt 0x0
	v_cmp_ne_u64_e64 s30, s[42:43], v[38:39]
	s_wait_alu 0xf1ff
	s_delay_alu instid0(VALU_DEP_1) | instskip(SKIP_1) | instid1(VALU_DEP_1)
	v_cndmask_b32_e64 v39, 0x80000000, v39, s30
	v_cndmask_b32_e64 v38, 0, v38, s30
	v_lshrrev_b64 v[38:39], s48, v[38:39]
	s_delay_alu instid0(VALU_DEP_1)
	v_and_b32_e32 v161, s57, v38
	s_wait_alu 0xfffe
	s_or_b32 exec_lo, exec_lo, s34
	s_and_saveexec_b32 s34, s17
	s_cbranch_execz .LBB1227_503
.LBB1227_569:                           ;   in Loop: Header=BB1227_388 Depth=2
	ds_load_b64 v[38:39], v110 offset:7168
	s_wait_dscnt 0x0
	v_cmp_ne_u64_e64 s30, s[42:43], v[38:39]
	s_wait_alu 0xf1ff
	s_delay_alu instid0(VALU_DEP_1) | instskip(SKIP_1) | instid1(VALU_DEP_1)
	v_cndmask_b32_e64 v39, 0x80000000, v39, s30
	v_cndmask_b32_e64 v38, 0, v38, s30
	v_lshrrev_b64 v[38:39], s48, v[38:39]
	s_delay_alu instid0(VALU_DEP_1)
	v_and_b32_e32 v160, s57, v38
	s_wait_alu 0xfffe
	s_or_b32 exec_lo, exec_lo, s34
	s_and_saveexec_b32 s34, s18
	s_cbranch_execz .LBB1227_504
.LBB1227_570:                           ;   in Loop: Header=BB1227_388 Depth=2
	ds_load_b64 v[38:39], v110 offset:9216
	s_wait_dscnt 0x0
	v_cmp_ne_u64_e64 s30, s[42:43], v[38:39]
	s_wait_alu 0xf1ff
	s_delay_alu instid0(VALU_DEP_1) | instskip(SKIP_1) | instid1(VALU_DEP_1)
	v_cndmask_b32_e64 v39, 0x80000000, v39, s30
	v_cndmask_b32_e64 v38, 0, v38, s30
	v_lshrrev_b64 v[38:39], s48, v[38:39]
	s_delay_alu instid0(VALU_DEP_1)
	v_and_b32_e32 v159, s57, v38
	s_wait_alu 0xfffe
	s_or_b32 exec_lo, exec_lo, s34
	s_and_saveexec_b32 s34, s19
	s_cbranch_execz .LBB1227_505
.LBB1227_571:                           ;   in Loop: Header=BB1227_388 Depth=2
	ds_load_b64 v[38:39], v110 offset:11264
	s_wait_dscnt 0x0
	v_cmp_ne_u64_e64 s30, s[42:43], v[38:39]
	s_wait_alu 0xf1ff
	s_delay_alu instid0(VALU_DEP_1) | instskip(SKIP_1) | instid1(VALU_DEP_1)
	v_cndmask_b32_e64 v39, 0x80000000, v39, s30
	v_cndmask_b32_e64 v38, 0, v38, s30
	v_lshrrev_b64 v[38:39], s48, v[38:39]
	s_delay_alu instid0(VALU_DEP_1)
	v_and_b32_e32 v158, s57, v38
	s_wait_alu 0xfffe
	s_or_b32 exec_lo, exec_lo, s34
	s_and_saveexec_b32 s34, s20
	s_cbranch_execz .LBB1227_506
.LBB1227_572:                           ;   in Loop: Header=BB1227_388 Depth=2
	ds_load_b64 v[38:39], v110 offset:13312
	s_wait_dscnt 0x0
	v_cmp_ne_u64_e64 s30, s[42:43], v[38:39]
	s_wait_alu 0xf1ff
	s_delay_alu instid0(VALU_DEP_1) | instskip(SKIP_1) | instid1(VALU_DEP_1)
	v_cndmask_b32_e64 v39, 0x80000000, v39, s30
	v_cndmask_b32_e64 v38, 0, v38, s30
	v_lshrrev_b64 v[38:39], s48, v[38:39]
	s_delay_alu instid0(VALU_DEP_1)
	v_and_b32_e32 v157, s57, v38
	s_wait_alu 0xfffe
	s_or_b32 exec_lo, exec_lo, s34
	s_and_saveexec_b32 s34, s21
	s_cbranch_execz .LBB1227_507
.LBB1227_573:                           ;   in Loop: Header=BB1227_388 Depth=2
	ds_load_b64 v[38:39], v110 offset:15360
	s_wait_dscnt 0x0
	v_cmp_ne_u64_e64 s30, s[42:43], v[38:39]
	s_wait_alu 0xf1ff
	s_delay_alu instid0(VALU_DEP_1) | instskip(SKIP_1) | instid1(VALU_DEP_1)
	v_cndmask_b32_e64 v39, 0x80000000, v39, s30
	v_cndmask_b32_e64 v38, 0, v38, s30
	v_lshrrev_b64 v[38:39], s48, v[38:39]
	s_delay_alu instid0(VALU_DEP_1)
	v_and_b32_e32 v156, s57, v38
	s_wait_alu 0xfffe
	s_or_b32 exec_lo, exec_lo, s34
	s_and_saveexec_b32 s34, s22
	s_cbranch_execz .LBB1227_508
.LBB1227_574:                           ;   in Loop: Header=BB1227_388 Depth=2
	ds_load_b64 v[38:39], v110 offset:17408
	s_wait_dscnt 0x0
	v_cmp_ne_u64_e64 s30, s[42:43], v[38:39]
	s_wait_alu 0xf1ff
	s_delay_alu instid0(VALU_DEP_1) | instskip(SKIP_1) | instid1(VALU_DEP_1)
	v_cndmask_b32_e64 v39, 0x80000000, v39, s30
	v_cndmask_b32_e64 v38, 0, v38, s30
	v_lshrrev_b64 v[38:39], s48, v[38:39]
	s_delay_alu instid0(VALU_DEP_1)
	v_and_b32_e32 v155, s57, v38
	s_wait_alu 0xfffe
	s_or_b32 exec_lo, exec_lo, s34
	s_and_saveexec_b32 s34, s23
	s_cbranch_execz .LBB1227_509
.LBB1227_575:                           ;   in Loop: Header=BB1227_388 Depth=2
	ds_load_b64 v[38:39], v110 offset:19456
	s_wait_dscnt 0x0
	v_cmp_ne_u64_e64 s30, s[42:43], v[38:39]
	s_wait_alu 0xf1ff
	s_delay_alu instid0(VALU_DEP_1) | instskip(SKIP_1) | instid1(VALU_DEP_1)
	v_cndmask_b32_e64 v39, 0x80000000, v39, s30
	v_cndmask_b32_e64 v38, 0, v38, s30
	v_lshrrev_b64 v[38:39], s48, v[38:39]
	s_delay_alu instid0(VALU_DEP_1)
	v_and_b32_e32 v154, s57, v38
	s_wait_alu 0xfffe
	s_or_b32 exec_lo, exec_lo, s34
	s_and_saveexec_b32 s34, s24
	s_cbranch_execz .LBB1227_510
.LBB1227_576:                           ;   in Loop: Header=BB1227_388 Depth=2
	ds_load_b64 v[38:39], v110 offset:21504
	s_wait_dscnt 0x0
	v_cmp_ne_u64_e64 s30, s[42:43], v[38:39]
	s_wait_alu 0xf1ff
	s_delay_alu instid0(VALU_DEP_1) | instskip(SKIP_1) | instid1(VALU_DEP_1)
	v_cndmask_b32_e64 v39, 0x80000000, v39, s30
	v_cndmask_b32_e64 v38, 0, v38, s30
	v_lshrrev_b64 v[38:39], s48, v[38:39]
	s_delay_alu instid0(VALU_DEP_1)
	v_and_b32_e32 v153, s57, v38
	s_wait_alu 0xfffe
	s_or_b32 exec_lo, exec_lo, s34
	s_and_saveexec_b32 s34, s25
	s_cbranch_execz .LBB1227_511
.LBB1227_577:                           ;   in Loop: Header=BB1227_388 Depth=2
	ds_load_b64 v[38:39], v110 offset:23552
	s_wait_dscnt 0x0
	v_cmp_ne_u64_e64 s30, s[42:43], v[38:39]
	s_wait_alu 0xf1ff
	s_delay_alu instid0(VALU_DEP_1) | instskip(SKIP_1) | instid1(VALU_DEP_1)
	v_cndmask_b32_e64 v39, 0x80000000, v39, s30
	v_cndmask_b32_e64 v38, 0, v38, s30
	v_lshrrev_b64 v[38:39], s48, v[38:39]
	s_delay_alu instid0(VALU_DEP_1)
	v_and_b32_e32 v152, s57, v38
	s_wait_alu 0xfffe
	s_or_b32 exec_lo, exec_lo, s34
	s_and_saveexec_b32 s34, s26
	s_cbranch_execz .LBB1227_512
.LBB1227_578:                           ;   in Loop: Header=BB1227_388 Depth=2
	ds_load_b64 v[38:39], v110 offset:25600
	s_wait_dscnt 0x0
	v_cmp_ne_u64_e64 s30, s[42:43], v[38:39]
	s_wait_alu 0xf1ff
	s_delay_alu instid0(VALU_DEP_1) | instskip(SKIP_1) | instid1(VALU_DEP_1)
	v_cndmask_b32_e64 v39, 0x80000000, v39, s30
	v_cndmask_b32_e64 v38, 0, v38, s30
	v_lshrrev_b64 v[38:39], s48, v[38:39]
	s_delay_alu instid0(VALU_DEP_1)
	v_and_b32_e32 v151, s57, v38
	s_wait_alu 0xfffe
	s_or_b32 exec_lo, exec_lo, s34
	s_and_saveexec_b32 s34, s27
	s_cbranch_execz .LBB1227_513
.LBB1227_579:                           ;   in Loop: Header=BB1227_388 Depth=2
	ds_load_b64 v[38:39], v110 offset:27648
	s_wait_dscnt 0x0
	v_cmp_ne_u64_e64 s30, s[42:43], v[38:39]
	s_wait_alu 0xf1ff
	s_delay_alu instid0(VALU_DEP_1) | instskip(SKIP_1) | instid1(VALU_DEP_1)
	v_cndmask_b32_e64 v39, 0x80000000, v39, s30
	v_cndmask_b32_e64 v38, 0, v38, s30
	v_lshrrev_b64 v[38:39], s48, v[38:39]
	s_delay_alu instid0(VALU_DEP_1)
	v_and_b32_e32 v150, s57, v38
	s_wait_alu 0xfffe
	s_or_b32 exec_lo, exec_lo, s34
	s_and_saveexec_b32 s34, s28
	s_cbranch_execz .LBB1227_514
.LBB1227_580:                           ;   in Loop: Header=BB1227_388 Depth=2
	ds_load_b64 v[38:39], v110 offset:29696
	s_wait_dscnt 0x0
	v_cmp_ne_u64_e64 s30, s[42:43], v[38:39]
	s_wait_alu 0xf1ff
	s_delay_alu instid0(VALU_DEP_1) | instskip(SKIP_1) | instid1(VALU_DEP_1)
	v_cndmask_b32_e64 v39, 0x80000000, v39, s30
	v_cndmask_b32_e64 v38, 0, v38, s30
	v_lshrrev_b64 v[38:39], s48, v[38:39]
	s_delay_alu instid0(VALU_DEP_1)
	v_and_b32_e32 v149, s57, v38
	s_wait_alu 0xfffe
	s_or_b32 exec_lo, exec_lo, s34
	s_and_saveexec_b32 s34, s29
	s_cbranch_execnz .LBB1227_515
	s_branch .LBB1227_516
.LBB1227_581:                           ;   in Loop: Header=BB1227_388 Depth=2
	v_lshlrev_b32_e32 v2, 2, v163
	ds_load_b32 v2, v2
	ds_load_b64 v[38:39], v110 offset:1024
	s_wait_dscnt 0x1
	v_add_nc_u32_e32 v2, v2, v1
	s_delay_alu instid0(VALU_DEP_1) | instskip(NEXT) | instid1(VALU_DEP_1)
	v_lshlrev_b64_e32 v[40:41], 3, v[2:3]
	v_add_co_u32 v40, vcc_lo, s46, v40
	s_wait_alu 0xfffd
	s_delay_alu instid0(VALU_DEP_2)
	v_add_co_ci_u32_e64 v41, null, s47, v41, vcc_lo
	s_wait_dscnt 0x0
	global_store_b64 v[40:41], v[38:39], off
	s_wait_alu 0xfffe
	s_or_b32 exec_lo, exec_lo, s30
	s_and_saveexec_b32 s30, s15
	s_cbranch_execz .LBB1227_518
.LBB1227_582:                           ;   in Loop: Header=BB1227_388 Depth=2
	v_lshlrev_b32_e32 v2, 2, v162
	ds_load_b32 v2, v2
	ds_load_b64 v[38:39], v110 offset:3072
	s_wait_dscnt 0x1
	v_add_nc_u32_e32 v2, v2, v79
	s_delay_alu instid0(VALU_DEP_1) | instskip(NEXT) | instid1(VALU_DEP_1)
	v_lshlrev_b64_e32 v[40:41], 3, v[2:3]
	v_add_co_u32 v40, vcc_lo, s46, v40
	s_wait_alu 0xfffd
	s_delay_alu instid0(VALU_DEP_2)
	v_add_co_ci_u32_e64 v41, null, s47, v41, vcc_lo
	s_wait_dscnt 0x0
	global_store_b64 v[40:41], v[38:39], off
	s_wait_alu 0xfffe
	s_or_b32 exec_lo, exec_lo, s30
	s_and_saveexec_b32 s15, s16
	s_cbranch_execz .LBB1227_519
.LBB1227_583:                           ;   in Loop: Header=BB1227_388 Depth=2
	v_lshlrev_b32_e32 v2, 2, v161
	ds_load_b32 v2, v2
	ds_load_b64 v[38:39], v110 offset:5120
	s_wait_dscnt 0x1
	v_add_nc_u32_e32 v2, v2, v80
	s_delay_alu instid0(VALU_DEP_1) | instskip(NEXT) | instid1(VALU_DEP_1)
	v_lshlrev_b64_e32 v[40:41], 3, v[2:3]
	v_add_co_u32 v40, vcc_lo, s46, v40
	s_wait_alu 0xfffd
	s_delay_alu instid0(VALU_DEP_2)
	v_add_co_ci_u32_e64 v41, null, s47, v41, vcc_lo
	s_wait_dscnt 0x0
	global_store_b64 v[40:41], v[38:39], off
	s_wait_alu 0xfffe
	s_or_b32 exec_lo, exec_lo, s15
	s_and_saveexec_b32 s15, s17
	s_cbranch_execz .LBB1227_520
.LBB1227_584:                           ;   in Loop: Header=BB1227_388 Depth=2
	v_lshlrev_b32_e32 v2, 2, v160
	ds_load_b32 v2, v2
	ds_load_b64 v[38:39], v110 offset:7168
	s_wait_dscnt 0x1
	v_add_nc_u32_e32 v2, v2, v81
	s_delay_alu instid0(VALU_DEP_1) | instskip(NEXT) | instid1(VALU_DEP_1)
	v_lshlrev_b64_e32 v[40:41], 3, v[2:3]
	v_add_co_u32 v40, vcc_lo, s46, v40
	s_wait_alu 0xfffd
	s_delay_alu instid0(VALU_DEP_2)
	v_add_co_ci_u32_e64 v41, null, s47, v41, vcc_lo
	s_wait_dscnt 0x0
	global_store_b64 v[40:41], v[38:39], off
	s_wait_alu 0xfffe
	s_or_b32 exec_lo, exec_lo, s15
	s_and_saveexec_b32 s15, s18
	s_cbranch_execz .LBB1227_521
.LBB1227_585:                           ;   in Loop: Header=BB1227_388 Depth=2
	v_lshlrev_b32_e32 v2, 2, v159
	ds_load_b32 v2, v2
	ds_load_b64 v[38:39], v110 offset:9216
	s_wait_dscnt 0x1
	v_add_nc_u32_e32 v2, v2, v84
	s_delay_alu instid0(VALU_DEP_1) | instskip(NEXT) | instid1(VALU_DEP_1)
	v_lshlrev_b64_e32 v[40:41], 3, v[2:3]
	v_add_co_u32 v40, vcc_lo, s46, v40
	s_wait_alu 0xfffd
	s_delay_alu instid0(VALU_DEP_2)
	v_add_co_ci_u32_e64 v41, null, s47, v41, vcc_lo
	s_wait_dscnt 0x0
	global_store_b64 v[40:41], v[38:39], off
	s_wait_alu 0xfffe
	s_or_b32 exec_lo, exec_lo, s15
	s_and_saveexec_b32 s15, s19
	s_cbranch_execz .LBB1227_522
.LBB1227_586:                           ;   in Loop: Header=BB1227_388 Depth=2
	v_lshlrev_b32_e32 v2, 2, v158
	ds_load_b32 v2, v2
	ds_load_b64 v[38:39], v110 offset:11264
	s_wait_dscnt 0x1
	v_add_nc_u32_e32 v2, v2, v85
	s_delay_alu instid0(VALU_DEP_1) | instskip(NEXT) | instid1(VALU_DEP_1)
	v_lshlrev_b64_e32 v[40:41], 3, v[2:3]
	v_add_co_u32 v40, vcc_lo, s46, v40
	s_wait_alu 0xfffd
	s_delay_alu instid0(VALU_DEP_2)
	v_add_co_ci_u32_e64 v41, null, s47, v41, vcc_lo
	s_wait_dscnt 0x0
	global_store_b64 v[40:41], v[38:39], off
	s_wait_alu 0xfffe
	s_or_b32 exec_lo, exec_lo, s15
	s_and_saveexec_b32 s15, s20
	s_cbranch_execz .LBB1227_523
.LBB1227_587:                           ;   in Loop: Header=BB1227_388 Depth=2
	v_lshlrev_b32_e32 v2, 2, v157
	ds_load_b32 v2, v2
	ds_load_b64 v[38:39], v110 offset:13312
	s_wait_dscnt 0x1
	v_add_nc_u32_e32 v2, v2, v86
	s_delay_alu instid0(VALU_DEP_1) | instskip(NEXT) | instid1(VALU_DEP_1)
	v_lshlrev_b64_e32 v[40:41], 3, v[2:3]
	v_add_co_u32 v40, vcc_lo, s46, v40
	s_wait_alu 0xfffd
	s_delay_alu instid0(VALU_DEP_2)
	v_add_co_ci_u32_e64 v41, null, s47, v41, vcc_lo
	s_wait_dscnt 0x0
	global_store_b64 v[40:41], v[38:39], off
	s_wait_alu 0xfffe
	s_or_b32 exec_lo, exec_lo, s15
	s_and_saveexec_b32 s15, s21
	s_cbranch_execz .LBB1227_524
.LBB1227_588:                           ;   in Loop: Header=BB1227_388 Depth=2
	v_lshlrev_b32_e32 v2, 2, v156
	ds_load_b32 v2, v2
	ds_load_b64 v[38:39], v110 offset:15360
	s_wait_dscnt 0x1
	v_add_nc_u32_e32 v2, v2, v87
	s_delay_alu instid0(VALU_DEP_1) | instskip(NEXT) | instid1(VALU_DEP_1)
	v_lshlrev_b64_e32 v[40:41], 3, v[2:3]
	v_add_co_u32 v40, vcc_lo, s46, v40
	s_wait_alu 0xfffd
	s_delay_alu instid0(VALU_DEP_2)
	v_add_co_ci_u32_e64 v41, null, s47, v41, vcc_lo
	s_wait_dscnt 0x0
	global_store_b64 v[40:41], v[38:39], off
	s_wait_alu 0xfffe
	s_or_b32 exec_lo, exec_lo, s15
	s_and_saveexec_b32 s15, s22
	s_cbranch_execz .LBB1227_525
.LBB1227_589:                           ;   in Loop: Header=BB1227_388 Depth=2
	v_lshlrev_b32_e32 v2, 2, v155
	ds_load_b32 v2, v2
	ds_load_b64 v[38:39], v110 offset:17408
	s_wait_dscnt 0x1
	v_add_nc_u32_e32 v2, v2, v88
	s_delay_alu instid0(VALU_DEP_1) | instskip(NEXT) | instid1(VALU_DEP_1)
	v_lshlrev_b64_e32 v[40:41], 3, v[2:3]
	v_add_co_u32 v40, vcc_lo, s46, v40
	s_wait_alu 0xfffd
	s_delay_alu instid0(VALU_DEP_2)
	v_add_co_ci_u32_e64 v41, null, s47, v41, vcc_lo
	s_wait_dscnt 0x0
	global_store_b64 v[40:41], v[38:39], off
	s_wait_alu 0xfffe
	s_or_b32 exec_lo, exec_lo, s15
	s_and_saveexec_b32 s15, s23
	s_cbranch_execz .LBB1227_526
.LBB1227_590:                           ;   in Loop: Header=BB1227_388 Depth=2
	v_lshlrev_b32_e32 v2, 2, v154
	ds_load_b32 v2, v2
	ds_load_b64 v[38:39], v110 offset:19456
	s_wait_dscnt 0x1
	v_add_nc_u32_e32 v2, v2, v89
	s_delay_alu instid0(VALU_DEP_1) | instskip(NEXT) | instid1(VALU_DEP_1)
	v_lshlrev_b64_e32 v[40:41], 3, v[2:3]
	v_add_co_u32 v40, vcc_lo, s46, v40
	s_wait_alu 0xfffd
	s_delay_alu instid0(VALU_DEP_2)
	v_add_co_ci_u32_e64 v41, null, s47, v41, vcc_lo
	s_wait_dscnt 0x0
	global_store_b64 v[40:41], v[38:39], off
	s_wait_alu 0xfffe
	s_or_b32 exec_lo, exec_lo, s15
	s_and_saveexec_b32 s15, s24
	s_cbranch_execz .LBB1227_527
.LBB1227_591:                           ;   in Loop: Header=BB1227_388 Depth=2
	v_lshlrev_b32_e32 v2, 2, v153
	ds_load_b32 v2, v2
	ds_load_b64 v[38:39], v110 offset:21504
	s_wait_dscnt 0x1
	v_add_nc_u32_e32 v2, v2, v90
	s_delay_alu instid0(VALU_DEP_1) | instskip(NEXT) | instid1(VALU_DEP_1)
	v_lshlrev_b64_e32 v[40:41], 3, v[2:3]
	v_add_co_u32 v40, vcc_lo, s46, v40
	s_wait_alu 0xfffd
	s_delay_alu instid0(VALU_DEP_2)
	v_add_co_ci_u32_e64 v41, null, s47, v41, vcc_lo
	s_wait_dscnt 0x0
	global_store_b64 v[40:41], v[38:39], off
	s_wait_alu 0xfffe
	s_or_b32 exec_lo, exec_lo, s15
	s_and_saveexec_b32 s15, s25
	s_cbranch_execz .LBB1227_528
.LBB1227_592:                           ;   in Loop: Header=BB1227_388 Depth=2
	v_lshlrev_b32_e32 v2, 2, v152
	ds_load_b32 v2, v2
	ds_load_b64 v[38:39], v110 offset:23552
	s_wait_dscnt 0x1
	v_add_nc_u32_e32 v2, v2, v91
	s_delay_alu instid0(VALU_DEP_1) | instskip(NEXT) | instid1(VALU_DEP_1)
	v_lshlrev_b64_e32 v[40:41], 3, v[2:3]
	v_add_co_u32 v40, vcc_lo, s46, v40
	s_wait_alu 0xfffd
	s_delay_alu instid0(VALU_DEP_2)
	v_add_co_ci_u32_e64 v41, null, s47, v41, vcc_lo
	s_wait_dscnt 0x0
	global_store_b64 v[40:41], v[38:39], off
	s_wait_alu 0xfffe
	s_or_b32 exec_lo, exec_lo, s15
	s_and_saveexec_b32 s15, s26
	s_cbranch_execz .LBB1227_529
.LBB1227_593:                           ;   in Loop: Header=BB1227_388 Depth=2
	v_lshlrev_b32_e32 v2, 2, v151
	ds_load_b32 v2, v2
	ds_load_b64 v[38:39], v110 offset:25600
	s_wait_dscnt 0x1
	v_add_nc_u32_e32 v2, v2, v92
	s_delay_alu instid0(VALU_DEP_1) | instskip(NEXT) | instid1(VALU_DEP_1)
	v_lshlrev_b64_e32 v[40:41], 3, v[2:3]
	v_add_co_u32 v40, vcc_lo, s46, v40
	s_wait_alu 0xfffd
	s_delay_alu instid0(VALU_DEP_2)
	v_add_co_ci_u32_e64 v41, null, s47, v41, vcc_lo
	s_wait_dscnt 0x0
	global_store_b64 v[40:41], v[38:39], off
	s_wait_alu 0xfffe
	s_or_b32 exec_lo, exec_lo, s15
	s_and_saveexec_b32 s15, s27
	s_cbranch_execz .LBB1227_530
.LBB1227_594:                           ;   in Loop: Header=BB1227_388 Depth=2
	v_lshlrev_b32_e32 v2, 2, v150
	ds_load_b32 v2, v2
	ds_load_b64 v[38:39], v110 offset:27648
	s_wait_dscnt 0x1
	v_add_nc_u32_e32 v2, v2, v93
	s_delay_alu instid0(VALU_DEP_1) | instskip(NEXT) | instid1(VALU_DEP_1)
	v_lshlrev_b64_e32 v[40:41], 3, v[2:3]
	v_add_co_u32 v40, vcc_lo, s46, v40
	s_wait_alu 0xfffd
	s_delay_alu instid0(VALU_DEP_2)
	v_add_co_ci_u32_e64 v41, null, s47, v41, vcc_lo
	s_wait_dscnt 0x0
	global_store_b64 v[40:41], v[38:39], off
	s_wait_alu 0xfffe
	s_or_b32 exec_lo, exec_lo, s15
	s_and_saveexec_b32 s15, s28
	s_cbranch_execz .LBB1227_531
.LBB1227_595:                           ;   in Loop: Header=BB1227_388 Depth=2
	v_lshlrev_b32_e32 v2, 2, v149
	ds_load_b32 v2, v2
	ds_load_b64 v[38:39], v110 offset:29696
	s_wait_dscnt 0x1
	v_add_nc_u32_e32 v2, v2, v94
	s_delay_alu instid0(VALU_DEP_1) | instskip(NEXT) | instid1(VALU_DEP_1)
	v_lshlrev_b64_e32 v[40:41], 3, v[2:3]
	v_add_co_u32 v40, vcc_lo, s46, v40
	s_wait_alu 0xfffd
	s_delay_alu instid0(VALU_DEP_2)
	v_add_co_ci_u32_e64 v41, null, s47, v41, vcc_lo
	s_wait_dscnt 0x0
	global_store_b64 v[40:41], v[38:39], off
	s_wait_alu 0xfffe
	s_or_b32 exec_lo, exec_lo, s15
	s_and_saveexec_b32 s15, s29
	s_cbranch_execnz .LBB1227_532
	s_branch .LBB1227_533
.LBB1227_596:                           ;   in Loop: Header=BB1227_12 Depth=1
	s_wait_loadcnt_dscnt 0x0
	s_barrier_signal -1
	s_barrier_wait -1
.LBB1227_597:                           ;   in Loop: Header=BB1227_12 Depth=1
	s_mov_b32 s6, 0
.LBB1227_598:                           ;   in Loop: Header=BB1227_12 Depth=1
	s_wait_alu 0xfffe
	s_and_not1_b32 vcc_lo, exec_lo, s6
	s_wait_alu 0xfffe
	s_cbranch_vccnz .LBB1227_11
; %bb.599:                              ;   in Loop: Header=BB1227_12 Depth=1
	s_lshl_b32 s6, -1, s56
	s_and_b32 vcc_lo, exec_lo, s54
	s_wait_alu 0xfffe
	s_not_b32 s56, s6
	s_mov_b32 s6, -1
	s_cbranch_vccz .LBB1227_891
; %bb.600:                              ;   in Loop: Header=BB1227_12 Depth=1
	s_mov_b32 s8, s55
	s_mov_b32 s34, s33
	s_barrier_signal -1
	s_barrier_wait -1
	global_inv scope:SCOPE_SE
                                        ; implicit-def: $vgpr6_vgpr7
                                        ; implicit-def: $vgpr8_vgpr9
                                        ; implicit-def: $vgpr10_vgpr11
                                        ; implicit-def: $vgpr12_vgpr13
                                        ; implicit-def: $vgpr14_vgpr15
                                        ; implicit-def: $vgpr16_vgpr17
                                        ; implicit-def: $vgpr18_vgpr19
                                        ; implicit-def: $vgpr20_vgpr21
                                        ; implicit-def: $vgpr22_vgpr23
                                        ; implicit-def: $vgpr24_vgpr25
                                        ; implicit-def: $vgpr26_vgpr27
                                        ; implicit-def: $vgpr28_vgpr29
                                        ; implicit-def: $vgpr30_vgpr31
                                        ; implicit-def: $vgpr32_vgpr33
                                        ; implicit-def: $vgpr34_vgpr35
                                        ; implicit-def: $vgpr36_vgpr37
	s_branch .LBB1227_602
.LBB1227_601:                           ;   in Loop: Header=BB1227_602 Depth=2
	s_wait_alu 0xfffe
	s_or_b32 exec_lo, exec_lo, s6
	s_addk_co_i32 s8, 0xf000
	s_cmp_ge_u32 s9, s51
	s_mov_b32 s34, s9
	s_cbranch_scc1 .LBB1227_670
.LBB1227_602:                           ;   Parent Loop BB1227_12 Depth=1
                                        ; =>  This Inner Loop Header: Depth=2
	s_wait_alu 0xfffe
	s_add_co_i32 s9, s34, 0x1000
	s_mov_b32 s6, -1
	s_wait_alu 0xfffe
	s_cmp_gt_u32 s9, s51
                                        ; implicit-def: $vgpr38_vgpr39
                                        ; implicit-def: $vgpr40_vgpr41
                                        ; implicit-def: $vgpr42_vgpr43
                                        ; implicit-def: $vgpr44_vgpr45
                                        ; implicit-def: $vgpr46_vgpr47
                                        ; implicit-def: $vgpr48_vgpr49
                                        ; implicit-def: $vgpr50_vgpr51
                                        ; implicit-def: $vgpr52_vgpr53
                                        ; implicit-def: $vgpr54_vgpr55
                                        ; implicit-def: $vgpr56_vgpr57
                                        ; implicit-def: $vgpr58_vgpr59
                                        ; implicit-def: $vgpr60_vgpr61
                                        ; implicit-def: $vgpr62_vgpr63
                                        ; implicit-def: $vgpr64_vgpr65
                                        ; implicit-def: $vgpr66_vgpr67
                                        ; implicit-def: $vgpr68_vgpr69
	s_cbranch_scc1 .LBB1227_604
; %bb.603:                              ;   in Loop: Header=BB1227_602 Depth=2
	s_lshl_b64 s[6:7], s[34:35], 3
	s_wait_alu 0xfffe
	v_add_co_u32 v68, vcc_lo, v117, s6
	s_wait_alu 0xfffd
	v_add_co_ci_u32_e64 v69, null, s7, v118, vcc_lo
	s_mov_b32 s6, 0
	s_clause 0xf
	global_load_b64 v[38:39], v[68:69], off
	global_load_b64 v[40:41], v[68:69], off offset:2048
	global_load_b64 v[42:43], v[68:69], off offset:4096
	;; [unrolled: 1-line block ×15, first 2 shown]
.LBB1227_604:                           ;   in Loop: Header=BB1227_602 Depth=2
	s_wait_alu 0xfffe
	s_and_not1_b32 vcc_lo, exec_lo, s6
	s_movk_i32 s6, 0x1000
	s_wait_alu 0xfffe
	s_cbranch_vccnz .LBB1227_623
; %bb.605:                              ;   in Loop: Header=BB1227_602 Depth=2
	s_lshl_b64 s[6:7], s[34:35], 3
	s_mov_b32 s10, exec_lo
	s_wait_alu 0xfffe
	s_add_nc_u64 s[6:7], s[36:37], s[6:7]
	v_cmpx_gt_u32_e64 s8, v1
	s_cbranch_execnz .LBB1227_655
; %bb.606:                              ;   in Loop: Header=BB1227_602 Depth=2
	s_or_b32 exec_lo, exec_lo, s10
	s_delay_alu instid0(SALU_CYCLE_1)
	s_mov_b32 s10, exec_lo
	v_cmpx_gt_u32_e64 s8, v79
	s_cbranch_execnz .LBB1227_656
.LBB1227_607:                           ;   in Loop: Header=BB1227_602 Depth=2
	s_wait_alu 0xfffe
	s_or_b32 exec_lo, exec_lo, s10
	s_delay_alu instid0(SALU_CYCLE_1)
	s_mov_b32 s10, exec_lo
	v_cmpx_gt_u32_e64 s8, v80
	s_cbranch_execnz .LBB1227_657
.LBB1227_608:                           ;   in Loop: Header=BB1227_602 Depth=2
	s_wait_alu 0xfffe
	s_or_b32 exec_lo, exec_lo, s10
	s_delay_alu instid0(SALU_CYCLE_1)
	s_mov_b32 s10, exec_lo
	v_cmpx_gt_u32_e64 s8, v81
	s_cbranch_execnz .LBB1227_658
.LBB1227_609:                           ;   in Loop: Header=BB1227_602 Depth=2
	s_wait_alu 0xfffe
	s_or_b32 exec_lo, exec_lo, s10
	s_delay_alu instid0(SALU_CYCLE_1)
	s_mov_b32 s10, exec_lo
	v_cmpx_gt_u32_e64 s8, v84
	s_cbranch_execnz .LBB1227_659
.LBB1227_610:                           ;   in Loop: Header=BB1227_602 Depth=2
	s_wait_alu 0xfffe
	s_or_b32 exec_lo, exec_lo, s10
	s_delay_alu instid0(SALU_CYCLE_1)
	s_mov_b32 s10, exec_lo
	v_cmpx_gt_u32_e64 s8, v85
	s_cbranch_execnz .LBB1227_660
.LBB1227_611:                           ;   in Loop: Header=BB1227_602 Depth=2
	s_wait_alu 0xfffe
	s_or_b32 exec_lo, exec_lo, s10
	s_delay_alu instid0(SALU_CYCLE_1)
	s_mov_b32 s10, exec_lo
	v_cmpx_gt_u32_e64 s8, v86
	s_cbranch_execnz .LBB1227_661
.LBB1227_612:                           ;   in Loop: Header=BB1227_602 Depth=2
	s_wait_alu 0xfffe
	s_or_b32 exec_lo, exec_lo, s10
	s_delay_alu instid0(SALU_CYCLE_1)
	s_mov_b32 s10, exec_lo
	v_cmpx_gt_u32_e64 s8, v87
	s_cbranch_execnz .LBB1227_662
.LBB1227_613:                           ;   in Loop: Header=BB1227_602 Depth=2
	s_wait_alu 0xfffe
	s_or_b32 exec_lo, exec_lo, s10
	s_delay_alu instid0(SALU_CYCLE_1)
	s_mov_b32 s10, exec_lo
	v_cmpx_gt_u32_e64 s8, v88
	s_cbranch_execnz .LBB1227_663
.LBB1227_614:                           ;   in Loop: Header=BB1227_602 Depth=2
	s_wait_alu 0xfffe
	s_or_b32 exec_lo, exec_lo, s10
	s_delay_alu instid0(SALU_CYCLE_1)
	s_mov_b32 s10, exec_lo
	v_cmpx_gt_u32_e64 s8, v89
	s_cbranch_execnz .LBB1227_664
.LBB1227_615:                           ;   in Loop: Header=BB1227_602 Depth=2
	s_wait_alu 0xfffe
	s_or_b32 exec_lo, exec_lo, s10
	s_delay_alu instid0(SALU_CYCLE_1)
	s_mov_b32 s10, exec_lo
	v_cmpx_gt_u32_e64 s8, v90
	s_cbranch_execnz .LBB1227_665
.LBB1227_616:                           ;   in Loop: Header=BB1227_602 Depth=2
	s_wait_alu 0xfffe
	s_or_b32 exec_lo, exec_lo, s10
	s_delay_alu instid0(SALU_CYCLE_1)
	s_mov_b32 s10, exec_lo
	v_cmpx_gt_u32_e64 s8, v91
	s_cbranch_execnz .LBB1227_666
.LBB1227_617:                           ;   in Loop: Header=BB1227_602 Depth=2
	s_wait_alu 0xfffe
	s_or_b32 exec_lo, exec_lo, s10
	s_delay_alu instid0(SALU_CYCLE_1)
	s_mov_b32 s10, exec_lo
	v_cmpx_gt_u32_e64 s8, v92
	s_cbranch_execnz .LBB1227_667
.LBB1227_618:                           ;   in Loop: Header=BB1227_602 Depth=2
	s_wait_alu 0xfffe
	s_or_b32 exec_lo, exec_lo, s10
	s_delay_alu instid0(SALU_CYCLE_1)
	s_mov_b32 s10, exec_lo
	v_cmpx_gt_u32_e64 s8, v93
	s_cbranch_execnz .LBB1227_668
.LBB1227_619:                           ;   in Loop: Header=BB1227_602 Depth=2
	s_wait_alu 0xfffe
	s_or_b32 exec_lo, exec_lo, s10
	s_delay_alu instid0(SALU_CYCLE_1)
	s_mov_b32 s10, exec_lo
	v_cmpx_gt_u32_e64 s8, v94
	s_cbranch_execnz .LBB1227_669
.LBB1227_620:                           ;   in Loop: Header=BB1227_602 Depth=2
	s_wait_alu 0xfffe
	s_or_b32 exec_lo, exec_lo, s10
	s_delay_alu instid0(SALU_CYCLE_1)
	s_mov_b32 s10, exec_lo
	v_cmpx_gt_u32_e64 s8, v95
	s_cbranch_execz .LBB1227_622
.LBB1227_621:                           ;   in Loop: Header=BB1227_602 Depth=2
	global_load_b64 v[6:7], v124, s[6:7] offset:30720
.LBB1227_622:                           ;   in Loop: Header=BB1227_602 Depth=2
	s_wait_alu 0xfffe
	s_or_b32 exec_lo, exec_lo, s10
	s_wait_loadcnt 0x0
	v_dual_mov_b32 v39, v37 :: v_dual_mov_b32 v38, v36
	v_dual_mov_b32 v41, v35 :: v_dual_mov_b32 v40, v34
	;; [unrolled: 1-line block ×16, first 2 shown]
	s_mov_b32 s6, s8
.LBB1227_623:                           ;   in Loop: Header=BB1227_602 Depth=2
	s_wait_loadcnt 0x0
	s_delay_alu instid0(VALU_DEP_1)
	v_dual_mov_b32 v6, v68 :: v_dual_mov_b32 v7, v69
	v_dual_mov_b32 v8, v66 :: v_dual_mov_b32 v9, v67
	;; [unrolled: 1-line block ×16, first 2 shown]
	s_mov_b32 s7, exec_lo
	s_wait_alu 0xfffe
	v_cmpx_gt_u32_e64 s6, v1
	s_cbranch_execnz .LBB1227_639
; %bb.624:                              ;   in Loop: Header=BB1227_602 Depth=2
	s_or_b32 exec_lo, exec_lo, s7
	s_delay_alu instid0(SALU_CYCLE_1)
	s_mov_b32 s7, exec_lo
	v_cmpx_gt_u32_e64 s6, v79
	s_cbranch_execnz .LBB1227_640
.LBB1227_625:                           ;   in Loop: Header=BB1227_602 Depth=2
	s_wait_alu 0xfffe
	s_or_b32 exec_lo, exec_lo, s7
	s_delay_alu instid0(SALU_CYCLE_1)
	s_mov_b32 s7, exec_lo
	v_cmpx_gt_u32_e64 s6, v80
	s_cbranch_execnz .LBB1227_641
.LBB1227_626:                           ;   in Loop: Header=BB1227_602 Depth=2
	s_wait_alu 0xfffe
	s_or_b32 exec_lo, exec_lo, s7
	s_delay_alu instid0(SALU_CYCLE_1)
	s_mov_b32 s7, exec_lo
	v_cmpx_gt_u32_e64 s6, v81
	s_cbranch_execnz .LBB1227_642
.LBB1227_627:                           ;   in Loop: Header=BB1227_602 Depth=2
	s_wait_alu 0xfffe
	s_or_b32 exec_lo, exec_lo, s7
	s_delay_alu instid0(SALU_CYCLE_1)
	s_mov_b32 s7, exec_lo
	v_cmpx_gt_u32_e64 s6, v84
	s_cbranch_execnz .LBB1227_643
.LBB1227_628:                           ;   in Loop: Header=BB1227_602 Depth=2
	s_wait_alu 0xfffe
	s_or_b32 exec_lo, exec_lo, s7
	s_delay_alu instid0(SALU_CYCLE_1)
	s_mov_b32 s7, exec_lo
	v_cmpx_gt_u32_e64 s6, v85
	s_cbranch_execnz .LBB1227_644
.LBB1227_629:                           ;   in Loop: Header=BB1227_602 Depth=2
	s_wait_alu 0xfffe
	s_or_b32 exec_lo, exec_lo, s7
	s_delay_alu instid0(SALU_CYCLE_1)
	s_mov_b32 s7, exec_lo
	v_cmpx_gt_u32_e64 s6, v86
	s_cbranch_execnz .LBB1227_645
.LBB1227_630:                           ;   in Loop: Header=BB1227_602 Depth=2
	s_wait_alu 0xfffe
	s_or_b32 exec_lo, exec_lo, s7
	s_delay_alu instid0(SALU_CYCLE_1)
	s_mov_b32 s7, exec_lo
	v_cmpx_gt_u32_e64 s6, v87
	s_cbranch_execnz .LBB1227_646
.LBB1227_631:                           ;   in Loop: Header=BB1227_602 Depth=2
	s_wait_alu 0xfffe
	s_or_b32 exec_lo, exec_lo, s7
	s_delay_alu instid0(SALU_CYCLE_1)
	s_mov_b32 s7, exec_lo
	v_cmpx_gt_u32_e64 s6, v88
	s_cbranch_execnz .LBB1227_647
.LBB1227_632:                           ;   in Loop: Header=BB1227_602 Depth=2
	s_wait_alu 0xfffe
	s_or_b32 exec_lo, exec_lo, s7
	s_delay_alu instid0(SALU_CYCLE_1)
	s_mov_b32 s7, exec_lo
	v_cmpx_gt_u32_e64 s6, v89
	s_cbranch_execnz .LBB1227_648
.LBB1227_633:                           ;   in Loop: Header=BB1227_602 Depth=2
	s_wait_alu 0xfffe
	s_or_b32 exec_lo, exec_lo, s7
	s_delay_alu instid0(SALU_CYCLE_1)
	s_mov_b32 s7, exec_lo
	v_cmpx_gt_u32_e64 s6, v90
	s_cbranch_execnz .LBB1227_649
.LBB1227_634:                           ;   in Loop: Header=BB1227_602 Depth=2
	s_wait_alu 0xfffe
	s_or_b32 exec_lo, exec_lo, s7
	s_delay_alu instid0(SALU_CYCLE_1)
	s_mov_b32 s7, exec_lo
	v_cmpx_gt_u32_e64 s6, v91
	s_cbranch_execnz .LBB1227_650
.LBB1227_635:                           ;   in Loop: Header=BB1227_602 Depth=2
	s_wait_alu 0xfffe
	s_or_b32 exec_lo, exec_lo, s7
	s_delay_alu instid0(SALU_CYCLE_1)
	s_mov_b32 s7, exec_lo
	v_cmpx_gt_u32_e64 s6, v92
	s_cbranch_execnz .LBB1227_651
.LBB1227_636:                           ;   in Loop: Header=BB1227_602 Depth=2
	s_wait_alu 0xfffe
	s_or_b32 exec_lo, exec_lo, s7
	s_delay_alu instid0(SALU_CYCLE_1)
	s_mov_b32 s7, exec_lo
	v_cmpx_gt_u32_e64 s6, v93
	s_cbranch_execnz .LBB1227_652
.LBB1227_637:                           ;   in Loop: Header=BB1227_602 Depth=2
	s_wait_alu 0xfffe
	s_or_b32 exec_lo, exec_lo, s7
	s_delay_alu instid0(SALU_CYCLE_1)
	s_mov_b32 s7, exec_lo
	v_cmpx_gt_u32_e64 s6, v94
	s_cbranch_execnz .LBB1227_653
.LBB1227_638:                           ;   in Loop: Header=BB1227_602 Depth=2
	s_wait_alu 0xfffe
	s_or_b32 exec_lo, exec_lo, s7
	v_cmp_gt_u32_e32 vcc_lo, s6, v95
	s_and_saveexec_b32 s6, vcc_lo
	s_cbranch_execz .LBB1227_601
	s_branch .LBB1227_654
.LBB1227_639:                           ;   in Loop: Header=BB1227_602 Depth=2
	v_cmp_lt_i64_e32 vcc_lo, -1, v[36:37]
	v_ashrrev_i32_e32 v38, 31, v37
	s_delay_alu instid0(VALU_DEP_1) | instskip(SKIP_2) | instid1(VALU_DEP_1)
	v_xor_b32_e32 v38, v38, v36
	s_wait_alu 0xfffd
	v_cndmask_b32_e64 v2, -1, 0x80000000, vcc_lo
	v_xor_b32_e32 v39, v2, v37
	s_delay_alu instid0(VALU_DEP_1) | instskip(SKIP_3) | instid1(VALU_DEP_1)
	v_cmp_ne_u64_e32 vcc_lo, s[42:43], v[38:39]
	s_wait_alu 0xfffd
	v_cndmask_b32_e32 v39, 0x80000000, v39, vcc_lo
	v_cndmask_b32_e32 v38, 0, v38, vcc_lo
	v_lshrrev_b64 v[38:39], s31, v[38:39]
	s_delay_alu instid0(VALU_DEP_1) | instskip(NEXT) | instid1(VALU_DEP_1)
	v_and_b32_e32 v2, s56, v38
	v_lshl_or_b32 v2, v2, 4, v96
	ds_add_u32 v2, v123
	s_or_b32 exec_lo, exec_lo, s7
	s_delay_alu instid0(SALU_CYCLE_1)
	s_mov_b32 s7, exec_lo
	v_cmpx_gt_u32_e64 s6, v79
	s_cbranch_execz .LBB1227_625
.LBB1227_640:                           ;   in Loop: Header=BB1227_602 Depth=2
	v_cmp_lt_i64_e32 vcc_lo, -1, v[34:35]
	v_ashrrev_i32_e32 v38, 31, v35
	s_delay_alu instid0(VALU_DEP_1) | instskip(SKIP_2) | instid1(VALU_DEP_1)
	v_xor_b32_e32 v38, v38, v34
	s_wait_alu 0xfffd
	v_cndmask_b32_e64 v2, -1, 0x80000000, vcc_lo
	v_xor_b32_e32 v39, v2, v35
	s_delay_alu instid0(VALU_DEP_1) | instskip(SKIP_3) | instid1(VALU_DEP_1)
	v_cmp_ne_u64_e32 vcc_lo, s[42:43], v[38:39]
	s_wait_alu 0xfffd
	v_cndmask_b32_e32 v39, 0x80000000, v39, vcc_lo
	v_cndmask_b32_e32 v38, 0, v38, vcc_lo
	v_lshrrev_b64 v[38:39], s31, v[38:39]
	s_delay_alu instid0(VALU_DEP_1) | instskip(NEXT) | instid1(VALU_DEP_1)
	v_and_b32_e32 v2, s56, v38
	v_lshl_or_b32 v2, v2, 4, v96
	ds_add_u32 v2, v123
	s_wait_alu 0xfffe
	s_or_b32 exec_lo, exec_lo, s7
	s_delay_alu instid0(SALU_CYCLE_1)
	s_mov_b32 s7, exec_lo
	v_cmpx_gt_u32_e64 s6, v80
	s_cbranch_execz .LBB1227_626
.LBB1227_641:                           ;   in Loop: Header=BB1227_602 Depth=2
	v_cmp_lt_i64_e32 vcc_lo, -1, v[32:33]
	v_ashrrev_i32_e32 v38, 31, v33
	s_delay_alu instid0(VALU_DEP_1) | instskip(SKIP_2) | instid1(VALU_DEP_1)
	v_xor_b32_e32 v38, v38, v32
	s_wait_alu 0xfffd
	v_cndmask_b32_e64 v2, -1, 0x80000000, vcc_lo
	v_xor_b32_e32 v39, v2, v33
	s_delay_alu instid0(VALU_DEP_1) | instskip(SKIP_3) | instid1(VALU_DEP_1)
	v_cmp_ne_u64_e32 vcc_lo, s[42:43], v[38:39]
	s_wait_alu 0xfffd
	v_cndmask_b32_e32 v39, 0x80000000, v39, vcc_lo
	v_cndmask_b32_e32 v38, 0, v38, vcc_lo
	v_lshrrev_b64 v[38:39], s31, v[38:39]
	s_delay_alu instid0(VALU_DEP_1) | instskip(NEXT) | instid1(VALU_DEP_1)
	v_and_b32_e32 v2, s56, v38
	v_lshl_or_b32 v2, v2, 4, v96
	ds_add_u32 v2, v123
	s_wait_alu 0xfffe
	s_or_b32 exec_lo, exec_lo, s7
	s_delay_alu instid0(SALU_CYCLE_1)
	s_mov_b32 s7, exec_lo
	v_cmpx_gt_u32_e64 s6, v81
	s_cbranch_execz .LBB1227_627
.LBB1227_642:                           ;   in Loop: Header=BB1227_602 Depth=2
	v_cmp_lt_i64_e32 vcc_lo, -1, v[30:31]
	v_ashrrev_i32_e32 v38, 31, v31
	s_delay_alu instid0(VALU_DEP_1) | instskip(SKIP_2) | instid1(VALU_DEP_1)
	v_xor_b32_e32 v38, v38, v30
	s_wait_alu 0xfffd
	v_cndmask_b32_e64 v2, -1, 0x80000000, vcc_lo
	v_xor_b32_e32 v39, v2, v31
	s_delay_alu instid0(VALU_DEP_1) | instskip(SKIP_3) | instid1(VALU_DEP_1)
	v_cmp_ne_u64_e32 vcc_lo, s[42:43], v[38:39]
	s_wait_alu 0xfffd
	v_cndmask_b32_e32 v39, 0x80000000, v39, vcc_lo
	v_cndmask_b32_e32 v38, 0, v38, vcc_lo
	v_lshrrev_b64 v[38:39], s31, v[38:39]
	s_delay_alu instid0(VALU_DEP_1) | instskip(NEXT) | instid1(VALU_DEP_1)
	v_and_b32_e32 v2, s56, v38
	v_lshl_or_b32 v2, v2, 4, v96
	ds_add_u32 v2, v123
	s_wait_alu 0xfffe
	s_or_b32 exec_lo, exec_lo, s7
	s_delay_alu instid0(SALU_CYCLE_1)
	s_mov_b32 s7, exec_lo
	v_cmpx_gt_u32_e64 s6, v84
	s_cbranch_execz .LBB1227_628
.LBB1227_643:                           ;   in Loop: Header=BB1227_602 Depth=2
	v_cmp_lt_i64_e32 vcc_lo, -1, v[28:29]
	v_ashrrev_i32_e32 v38, 31, v29
	s_delay_alu instid0(VALU_DEP_1) | instskip(SKIP_2) | instid1(VALU_DEP_1)
	v_xor_b32_e32 v38, v38, v28
	s_wait_alu 0xfffd
	v_cndmask_b32_e64 v2, -1, 0x80000000, vcc_lo
	v_xor_b32_e32 v39, v2, v29
	s_delay_alu instid0(VALU_DEP_1) | instskip(SKIP_3) | instid1(VALU_DEP_1)
	v_cmp_ne_u64_e32 vcc_lo, s[42:43], v[38:39]
	s_wait_alu 0xfffd
	v_cndmask_b32_e32 v39, 0x80000000, v39, vcc_lo
	v_cndmask_b32_e32 v38, 0, v38, vcc_lo
	v_lshrrev_b64 v[38:39], s31, v[38:39]
	s_delay_alu instid0(VALU_DEP_1) | instskip(NEXT) | instid1(VALU_DEP_1)
	v_and_b32_e32 v2, s56, v38
	v_lshl_or_b32 v2, v2, 4, v96
	ds_add_u32 v2, v123
	s_wait_alu 0xfffe
	s_or_b32 exec_lo, exec_lo, s7
	s_delay_alu instid0(SALU_CYCLE_1)
	s_mov_b32 s7, exec_lo
	v_cmpx_gt_u32_e64 s6, v85
	s_cbranch_execz .LBB1227_629
.LBB1227_644:                           ;   in Loop: Header=BB1227_602 Depth=2
	v_cmp_lt_i64_e32 vcc_lo, -1, v[26:27]
	v_ashrrev_i32_e32 v38, 31, v27
	s_delay_alu instid0(VALU_DEP_1) | instskip(SKIP_2) | instid1(VALU_DEP_1)
	v_xor_b32_e32 v38, v38, v26
	s_wait_alu 0xfffd
	v_cndmask_b32_e64 v2, -1, 0x80000000, vcc_lo
	v_xor_b32_e32 v39, v2, v27
	s_delay_alu instid0(VALU_DEP_1) | instskip(SKIP_3) | instid1(VALU_DEP_1)
	v_cmp_ne_u64_e32 vcc_lo, s[42:43], v[38:39]
	s_wait_alu 0xfffd
	v_cndmask_b32_e32 v39, 0x80000000, v39, vcc_lo
	v_cndmask_b32_e32 v38, 0, v38, vcc_lo
	v_lshrrev_b64 v[38:39], s31, v[38:39]
	s_delay_alu instid0(VALU_DEP_1) | instskip(NEXT) | instid1(VALU_DEP_1)
	v_and_b32_e32 v2, s56, v38
	v_lshl_or_b32 v2, v2, 4, v96
	ds_add_u32 v2, v123
	s_wait_alu 0xfffe
	s_or_b32 exec_lo, exec_lo, s7
	s_delay_alu instid0(SALU_CYCLE_1)
	s_mov_b32 s7, exec_lo
	v_cmpx_gt_u32_e64 s6, v86
	s_cbranch_execz .LBB1227_630
.LBB1227_645:                           ;   in Loop: Header=BB1227_602 Depth=2
	v_cmp_lt_i64_e32 vcc_lo, -1, v[24:25]
	v_ashrrev_i32_e32 v38, 31, v25
	s_delay_alu instid0(VALU_DEP_1) | instskip(SKIP_2) | instid1(VALU_DEP_1)
	v_xor_b32_e32 v38, v38, v24
	s_wait_alu 0xfffd
	v_cndmask_b32_e64 v2, -1, 0x80000000, vcc_lo
	v_xor_b32_e32 v39, v2, v25
	s_delay_alu instid0(VALU_DEP_1) | instskip(SKIP_3) | instid1(VALU_DEP_1)
	v_cmp_ne_u64_e32 vcc_lo, s[42:43], v[38:39]
	s_wait_alu 0xfffd
	v_cndmask_b32_e32 v39, 0x80000000, v39, vcc_lo
	v_cndmask_b32_e32 v38, 0, v38, vcc_lo
	v_lshrrev_b64 v[38:39], s31, v[38:39]
	s_delay_alu instid0(VALU_DEP_1) | instskip(NEXT) | instid1(VALU_DEP_1)
	v_and_b32_e32 v2, s56, v38
	v_lshl_or_b32 v2, v2, 4, v96
	ds_add_u32 v2, v123
	s_wait_alu 0xfffe
	s_or_b32 exec_lo, exec_lo, s7
	s_delay_alu instid0(SALU_CYCLE_1)
	s_mov_b32 s7, exec_lo
	v_cmpx_gt_u32_e64 s6, v87
	s_cbranch_execz .LBB1227_631
.LBB1227_646:                           ;   in Loop: Header=BB1227_602 Depth=2
	v_cmp_lt_i64_e32 vcc_lo, -1, v[22:23]
	v_ashrrev_i32_e32 v38, 31, v23
	s_delay_alu instid0(VALU_DEP_1) | instskip(SKIP_2) | instid1(VALU_DEP_1)
	v_xor_b32_e32 v38, v38, v22
	s_wait_alu 0xfffd
	v_cndmask_b32_e64 v2, -1, 0x80000000, vcc_lo
	v_xor_b32_e32 v39, v2, v23
	s_delay_alu instid0(VALU_DEP_1) | instskip(SKIP_3) | instid1(VALU_DEP_1)
	v_cmp_ne_u64_e32 vcc_lo, s[42:43], v[38:39]
	s_wait_alu 0xfffd
	v_cndmask_b32_e32 v39, 0x80000000, v39, vcc_lo
	v_cndmask_b32_e32 v38, 0, v38, vcc_lo
	v_lshrrev_b64 v[38:39], s31, v[38:39]
	s_delay_alu instid0(VALU_DEP_1) | instskip(NEXT) | instid1(VALU_DEP_1)
	v_and_b32_e32 v2, s56, v38
	v_lshl_or_b32 v2, v2, 4, v96
	ds_add_u32 v2, v123
	s_wait_alu 0xfffe
	s_or_b32 exec_lo, exec_lo, s7
	s_delay_alu instid0(SALU_CYCLE_1)
	s_mov_b32 s7, exec_lo
	v_cmpx_gt_u32_e64 s6, v88
	s_cbranch_execz .LBB1227_632
.LBB1227_647:                           ;   in Loop: Header=BB1227_602 Depth=2
	v_cmp_lt_i64_e32 vcc_lo, -1, v[20:21]
	v_ashrrev_i32_e32 v38, 31, v21
	s_delay_alu instid0(VALU_DEP_1) | instskip(SKIP_2) | instid1(VALU_DEP_1)
	v_xor_b32_e32 v38, v38, v20
	s_wait_alu 0xfffd
	v_cndmask_b32_e64 v2, -1, 0x80000000, vcc_lo
	v_xor_b32_e32 v39, v2, v21
	s_delay_alu instid0(VALU_DEP_1) | instskip(SKIP_3) | instid1(VALU_DEP_1)
	v_cmp_ne_u64_e32 vcc_lo, s[42:43], v[38:39]
	s_wait_alu 0xfffd
	v_cndmask_b32_e32 v39, 0x80000000, v39, vcc_lo
	v_cndmask_b32_e32 v38, 0, v38, vcc_lo
	v_lshrrev_b64 v[38:39], s31, v[38:39]
	s_delay_alu instid0(VALU_DEP_1) | instskip(NEXT) | instid1(VALU_DEP_1)
	v_and_b32_e32 v2, s56, v38
	v_lshl_or_b32 v2, v2, 4, v96
	ds_add_u32 v2, v123
	s_wait_alu 0xfffe
	s_or_b32 exec_lo, exec_lo, s7
	s_delay_alu instid0(SALU_CYCLE_1)
	s_mov_b32 s7, exec_lo
	v_cmpx_gt_u32_e64 s6, v89
	s_cbranch_execz .LBB1227_633
.LBB1227_648:                           ;   in Loop: Header=BB1227_602 Depth=2
	v_cmp_lt_i64_e32 vcc_lo, -1, v[18:19]
	v_ashrrev_i32_e32 v38, 31, v19
	s_delay_alu instid0(VALU_DEP_1) | instskip(SKIP_2) | instid1(VALU_DEP_1)
	v_xor_b32_e32 v38, v38, v18
	s_wait_alu 0xfffd
	v_cndmask_b32_e64 v2, -1, 0x80000000, vcc_lo
	v_xor_b32_e32 v39, v2, v19
	s_delay_alu instid0(VALU_DEP_1) | instskip(SKIP_3) | instid1(VALU_DEP_1)
	v_cmp_ne_u64_e32 vcc_lo, s[42:43], v[38:39]
	s_wait_alu 0xfffd
	v_cndmask_b32_e32 v39, 0x80000000, v39, vcc_lo
	v_cndmask_b32_e32 v38, 0, v38, vcc_lo
	v_lshrrev_b64 v[38:39], s31, v[38:39]
	s_delay_alu instid0(VALU_DEP_1) | instskip(NEXT) | instid1(VALU_DEP_1)
	v_and_b32_e32 v2, s56, v38
	v_lshl_or_b32 v2, v2, 4, v96
	ds_add_u32 v2, v123
	s_wait_alu 0xfffe
	s_or_b32 exec_lo, exec_lo, s7
	s_delay_alu instid0(SALU_CYCLE_1)
	s_mov_b32 s7, exec_lo
	v_cmpx_gt_u32_e64 s6, v90
	s_cbranch_execz .LBB1227_634
.LBB1227_649:                           ;   in Loop: Header=BB1227_602 Depth=2
	v_cmp_lt_i64_e32 vcc_lo, -1, v[16:17]
	v_ashrrev_i32_e32 v38, 31, v17
	s_delay_alu instid0(VALU_DEP_1) | instskip(SKIP_2) | instid1(VALU_DEP_1)
	v_xor_b32_e32 v38, v38, v16
	s_wait_alu 0xfffd
	v_cndmask_b32_e64 v2, -1, 0x80000000, vcc_lo
	v_xor_b32_e32 v39, v2, v17
	s_delay_alu instid0(VALU_DEP_1) | instskip(SKIP_3) | instid1(VALU_DEP_1)
	v_cmp_ne_u64_e32 vcc_lo, s[42:43], v[38:39]
	s_wait_alu 0xfffd
	v_cndmask_b32_e32 v39, 0x80000000, v39, vcc_lo
	v_cndmask_b32_e32 v38, 0, v38, vcc_lo
	v_lshrrev_b64 v[38:39], s31, v[38:39]
	s_delay_alu instid0(VALU_DEP_1) | instskip(NEXT) | instid1(VALU_DEP_1)
	v_and_b32_e32 v2, s56, v38
	v_lshl_or_b32 v2, v2, 4, v96
	ds_add_u32 v2, v123
	s_wait_alu 0xfffe
	s_or_b32 exec_lo, exec_lo, s7
	s_delay_alu instid0(SALU_CYCLE_1)
	s_mov_b32 s7, exec_lo
	v_cmpx_gt_u32_e64 s6, v91
	s_cbranch_execz .LBB1227_635
.LBB1227_650:                           ;   in Loop: Header=BB1227_602 Depth=2
	v_cmp_lt_i64_e32 vcc_lo, -1, v[14:15]
	v_ashrrev_i32_e32 v38, 31, v15
	s_delay_alu instid0(VALU_DEP_1) | instskip(SKIP_2) | instid1(VALU_DEP_1)
	v_xor_b32_e32 v38, v38, v14
	s_wait_alu 0xfffd
	v_cndmask_b32_e64 v2, -1, 0x80000000, vcc_lo
	v_xor_b32_e32 v39, v2, v15
	s_delay_alu instid0(VALU_DEP_1) | instskip(SKIP_3) | instid1(VALU_DEP_1)
	v_cmp_ne_u64_e32 vcc_lo, s[42:43], v[38:39]
	s_wait_alu 0xfffd
	v_cndmask_b32_e32 v39, 0x80000000, v39, vcc_lo
	v_cndmask_b32_e32 v38, 0, v38, vcc_lo
	v_lshrrev_b64 v[38:39], s31, v[38:39]
	s_delay_alu instid0(VALU_DEP_1) | instskip(NEXT) | instid1(VALU_DEP_1)
	v_and_b32_e32 v2, s56, v38
	v_lshl_or_b32 v2, v2, 4, v96
	ds_add_u32 v2, v123
	s_wait_alu 0xfffe
	s_or_b32 exec_lo, exec_lo, s7
	s_delay_alu instid0(SALU_CYCLE_1)
	s_mov_b32 s7, exec_lo
	v_cmpx_gt_u32_e64 s6, v92
	s_cbranch_execz .LBB1227_636
.LBB1227_651:                           ;   in Loop: Header=BB1227_602 Depth=2
	v_cmp_lt_i64_e32 vcc_lo, -1, v[12:13]
	v_ashrrev_i32_e32 v38, 31, v13
	s_delay_alu instid0(VALU_DEP_1) | instskip(SKIP_2) | instid1(VALU_DEP_1)
	v_xor_b32_e32 v38, v38, v12
	s_wait_alu 0xfffd
	v_cndmask_b32_e64 v2, -1, 0x80000000, vcc_lo
	v_xor_b32_e32 v39, v2, v13
	s_delay_alu instid0(VALU_DEP_1) | instskip(SKIP_3) | instid1(VALU_DEP_1)
	v_cmp_ne_u64_e32 vcc_lo, s[42:43], v[38:39]
	s_wait_alu 0xfffd
	v_cndmask_b32_e32 v39, 0x80000000, v39, vcc_lo
	v_cndmask_b32_e32 v38, 0, v38, vcc_lo
	v_lshrrev_b64 v[38:39], s31, v[38:39]
	s_delay_alu instid0(VALU_DEP_1) | instskip(NEXT) | instid1(VALU_DEP_1)
	v_and_b32_e32 v2, s56, v38
	v_lshl_or_b32 v2, v2, 4, v96
	ds_add_u32 v2, v123
	s_wait_alu 0xfffe
	s_or_b32 exec_lo, exec_lo, s7
	s_delay_alu instid0(SALU_CYCLE_1)
	s_mov_b32 s7, exec_lo
	v_cmpx_gt_u32_e64 s6, v93
	s_cbranch_execz .LBB1227_637
.LBB1227_652:                           ;   in Loop: Header=BB1227_602 Depth=2
	v_cmp_lt_i64_e32 vcc_lo, -1, v[10:11]
	v_ashrrev_i32_e32 v38, 31, v11
	s_delay_alu instid0(VALU_DEP_1) | instskip(SKIP_2) | instid1(VALU_DEP_1)
	v_xor_b32_e32 v38, v38, v10
	s_wait_alu 0xfffd
	v_cndmask_b32_e64 v2, -1, 0x80000000, vcc_lo
	v_xor_b32_e32 v39, v2, v11
	s_delay_alu instid0(VALU_DEP_1) | instskip(SKIP_3) | instid1(VALU_DEP_1)
	v_cmp_ne_u64_e32 vcc_lo, s[42:43], v[38:39]
	s_wait_alu 0xfffd
	v_cndmask_b32_e32 v39, 0x80000000, v39, vcc_lo
	v_cndmask_b32_e32 v38, 0, v38, vcc_lo
	v_lshrrev_b64 v[38:39], s31, v[38:39]
	s_delay_alu instid0(VALU_DEP_1) | instskip(NEXT) | instid1(VALU_DEP_1)
	v_and_b32_e32 v2, s56, v38
	v_lshl_or_b32 v2, v2, 4, v96
	ds_add_u32 v2, v123
	s_wait_alu 0xfffe
	s_or_b32 exec_lo, exec_lo, s7
	s_delay_alu instid0(SALU_CYCLE_1)
	s_mov_b32 s7, exec_lo
	v_cmpx_gt_u32_e64 s6, v94
	s_cbranch_execz .LBB1227_638
.LBB1227_653:                           ;   in Loop: Header=BB1227_602 Depth=2
	v_cmp_lt_i64_e32 vcc_lo, -1, v[8:9]
	v_ashrrev_i32_e32 v38, 31, v9
	s_delay_alu instid0(VALU_DEP_1) | instskip(SKIP_2) | instid1(VALU_DEP_1)
	v_xor_b32_e32 v38, v38, v8
	s_wait_alu 0xfffd
	v_cndmask_b32_e64 v2, -1, 0x80000000, vcc_lo
	v_xor_b32_e32 v39, v2, v9
	s_delay_alu instid0(VALU_DEP_1) | instskip(SKIP_3) | instid1(VALU_DEP_1)
	v_cmp_ne_u64_e32 vcc_lo, s[42:43], v[38:39]
	s_wait_alu 0xfffd
	v_cndmask_b32_e32 v39, 0x80000000, v39, vcc_lo
	v_cndmask_b32_e32 v38, 0, v38, vcc_lo
	v_lshrrev_b64 v[38:39], s31, v[38:39]
	s_delay_alu instid0(VALU_DEP_1) | instskip(NEXT) | instid1(VALU_DEP_1)
	v_and_b32_e32 v2, s56, v38
	v_lshl_or_b32 v2, v2, 4, v96
	ds_add_u32 v2, v123
	s_wait_alu 0xfffe
	s_or_b32 exec_lo, exec_lo, s7
	v_cmp_gt_u32_e32 vcc_lo, s6, v95
	s_and_saveexec_b32 s6, vcc_lo
	s_cbranch_execz .LBB1227_601
.LBB1227_654:                           ;   in Loop: Header=BB1227_602 Depth=2
	v_cmp_lt_i64_e32 vcc_lo, -1, v[6:7]
	v_ashrrev_i32_e32 v38, 31, v7
	s_delay_alu instid0(VALU_DEP_1) | instskip(SKIP_2) | instid1(VALU_DEP_1)
	v_xor_b32_e32 v38, v38, v6
	s_wait_alu 0xfffd
	v_cndmask_b32_e64 v2, -1, 0x80000000, vcc_lo
	v_xor_b32_e32 v39, v2, v7
	s_delay_alu instid0(VALU_DEP_1) | instskip(SKIP_3) | instid1(VALU_DEP_1)
	v_cmp_ne_u64_e32 vcc_lo, s[42:43], v[38:39]
	s_wait_alu 0xfffd
	v_cndmask_b32_e32 v39, 0x80000000, v39, vcc_lo
	v_cndmask_b32_e32 v38, 0, v38, vcc_lo
	v_lshrrev_b64 v[38:39], s31, v[38:39]
	s_delay_alu instid0(VALU_DEP_1) | instskip(NEXT) | instid1(VALU_DEP_1)
	v_and_b32_e32 v2, s56, v38
	v_lshl_or_b32 v2, v2, 4, v96
	ds_add_u32 v2, v123
	s_branch .LBB1227_601
.LBB1227_655:                           ;   in Loop: Header=BB1227_602 Depth=2
	global_load_b64 v[36:37], v124, s[6:7]
	s_or_b32 exec_lo, exec_lo, s10
	s_delay_alu instid0(SALU_CYCLE_1)
	s_mov_b32 s10, exec_lo
	v_cmpx_gt_u32_e64 s8, v79
	s_cbranch_execz .LBB1227_607
.LBB1227_656:                           ;   in Loop: Header=BB1227_602 Depth=2
	global_load_b64 v[34:35], v124, s[6:7] offset:2048
	s_wait_alu 0xfffe
	s_or_b32 exec_lo, exec_lo, s10
	s_delay_alu instid0(SALU_CYCLE_1)
	s_mov_b32 s10, exec_lo
	v_cmpx_gt_u32_e64 s8, v80
	s_cbranch_execz .LBB1227_608
.LBB1227_657:                           ;   in Loop: Header=BB1227_602 Depth=2
	global_load_b64 v[32:33], v124, s[6:7] offset:4096
	s_wait_alu 0xfffe
	s_or_b32 exec_lo, exec_lo, s10
	s_delay_alu instid0(SALU_CYCLE_1)
	s_mov_b32 s10, exec_lo
	v_cmpx_gt_u32_e64 s8, v81
	s_cbranch_execz .LBB1227_609
.LBB1227_658:                           ;   in Loop: Header=BB1227_602 Depth=2
	global_load_b64 v[30:31], v124, s[6:7] offset:6144
	s_wait_alu 0xfffe
	s_or_b32 exec_lo, exec_lo, s10
	s_delay_alu instid0(SALU_CYCLE_1)
	s_mov_b32 s10, exec_lo
	v_cmpx_gt_u32_e64 s8, v84
	s_cbranch_execz .LBB1227_610
.LBB1227_659:                           ;   in Loop: Header=BB1227_602 Depth=2
	global_load_b64 v[28:29], v124, s[6:7] offset:8192
	s_wait_alu 0xfffe
	s_or_b32 exec_lo, exec_lo, s10
	s_delay_alu instid0(SALU_CYCLE_1)
	s_mov_b32 s10, exec_lo
	v_cmpx_gt_u32_e64 s8, v85
	s_cbranch_execz .LBB1227_611
.LBB1227_660:                           ;   in Loop: Header=BB1227_602 Depth=2
	global_load_b64 v[26:27], v124, s[6:7] offset:10240
	s_wait_alu 0xfffe
	s_or_b32 exec_lo, exec_lo, s10
	s_delay_alu instid0(SALU_CYCLE_1)
	s_mov_b32 s10, exec_lo
	v_cmpx_gt_u32_e64 s8, v86
	s_cbranch_execz .LBB1227_612
.LBB1227_661:                           ;   in Loop: Header=BB1227_602 Depth=2
	global_load_b64 v[24:25], v124, s[6:7] offset:12288
	s_wait_alu 0xfffe
	s_or_b32 exec_lo, exec_lo, s10
	s_delay_alu instid0(SALU_CYCLE_1)
	s_mov_b32 s10, exec_lo
	v_cmpx_gt_u32_e64 s8, v87
	s_cbranch_execz .LBB1227_613
.LBB1227_662:                           ;   in Loop: Header=BB1227_602 Depth=2
	global_load_b64 v[22:23], v124, s[6:7] offset:14336
	s_wait_alu 0xfffe
	s_or_b32 exec_lo, exec_lo, s10
	s_delay_alu instid0(SALU_CYCLE_1)
	s_mov_b32 s10, exec_lo
	v_cmpx_gt_u32_e64 s8, v88
	s_cbranch_execz .LBB1227_614
.LBB1227_663:                           ;   in Loop: Header=BB1227_602 Depth=2
	global_load_b64 v[20:21], v124, s[6:7] offset:16384
	s_wait_alu 0xfffe
	s_or_b32 exec_lo, exec_lo, s10
	s_delay_alu instid0(SALU_CYCLE_1)
	s_mov_b32 s10, exec_lo
	v_cmpx_gt_u32_e64 s8, v89
	s_cbranch_execz .LBB1227_615
.LBB1227_664:                           ;   in Loop: Header=BB1227_602 Depth=2
	global_load_b64 v[18:19], v124, s[6:7] offset:18432
	s_wait_alu 0xfffe
	s_or_b32 exec_lo, exec_lo, s10
	s_delay_alu instid0(SALU_CYCLE_1)
	s_mov_b32 s10, exec_lo
	v_cmpx_gt_u32_e64 s8, v90
	s_cbranch_execz .LBB1227_616
.LBB1227_665:                           ;   in Loop: Header=BB1227_602 Depth=2
	global_load_b64 v[16:17], v124, s[6:7] offset:20480
	s_wait_alu 0xfffe
	s_or_b32 exec_lo, exec_lo, s10
	s_delay_alu instid0(SALU_CYCLE_1)
	s_mov_b32 s10, exec_lo
	v_cmpx_gt_u32_e64 s8, v91
	s_cbranch_execz .LBB1227_617
.LBB1227_666:                           ;   in Loop: Header=BB1227_602 Depth=2
	global_load_b64 v[14:15], v124, s[6:7] offset:22528
	s_wait_alu 0xfffe
	s_or_b32 exec_lo, exec_lo, s10
	s_delay_alu instid0(SALU_CYCLE_1)
	s_mov_b32 s10, exec_lo
	v_cmpx_gt_u32_e64 s8, v92
	s_cbranch_execz .LBB1227_618
.LBB1227_667:                           ;   in Loop: Header=BB1227_602 Depth=2
	global_load_b64 v[12:13], v124, s[6:7] offset:24576
	s_wait_alu 0xfffe
	s_or_b32 exec_lo, exec_lo, s10
	s_delay_alu instid0(SALU_CYCLE_1)
	s_mov_b32 s10, exec_lo
	v_cmpx_gt_u32_e64 s8, v93
	s_cbranch_execz .LBB1227_619
.LBB1227_668:                           ;   in Loop: Header=BB1227_602 Depth=2
	global_load_b64 v[10:11], v124, s[6:7] offset:26624
	s_wait_alu 0xfffe
	s_or_b32 exec_lo, exec_lo, s10
	s_delay_alu instid0(SALU_CYCLE_1)
	s_mov_b32 s10, exec_lo
	v_cmpx_gt_u32_e64 s8, v94
	s_cbranch_execz .LBB1227_620
.LBB1227_669:                           ;   in Loop: Header=BB1227_602 Depth=2
	global_load_b64 v[8:9], v124, s[6:7] offset:28672
	s_wait_alu 0xfffe
	s_or_b32 exec_lo, exec_lo, s10
	s_delay_alu instid0(SALU_CYCLE_1)
	s_mov_b32 s10, exec_lo
	v_cmpx_gt_u32_e64 s8, v95
	s_cbranch_execnz .LBB1227_621
	s_branch .LBB1227_622
.LBB1227_670:                           ;   in Loop: Header=BB1227_12 Depth=1
	v_mov_b32_e32 v2, 0
	s_wait_dscnt 0x0
	s_barrier_signal -1
	s_barrier_wait -1
	global_inv scope:SCOPE_SE
	s_and_saveexec_b32 s6, s2
	s_cbranch_execz .LBB1227_672
; %bb.671:                              ;   in Loop: Header=BB1227_12 Depth=1
	ds_load_2addr_b64 v[6:9], v98 offset1:1
	s_wait_dscnt 0x0
	v_add_nc_u32_e32 v2, v7, v6
	s_delay_alu instid0(VALU_DEP_1)
	v_add3_u32 v2, v2, v8, v9
.LBB1227_672:                           ;   in Loop: Header=BB1227_12 Depth=1
	s_wait_alu 0xfffe
	s_or_b32 exec_lo, exec_lo, s6
	v_and_b32_e32 v6, 15, v125
	s_delay_alu instid0(VALU_DEP_2) | instskip(SKIP_1) | instid1(VALU_DEP_3)
	v_mov_b32_dpp v7, v2 row_shr:1 row_mask:0xf bank_mask:0xf
	v_and_b32_e32 v8, 16, v125
	v_cmp_eq_u32_e64 s6, 0, v6
	v_cmp_lt_u32_e64 s7, 1, v6
	v_cmp_lt_u32_e64 s8, 3, v6
	;; [unrolled: 1-line block ×3, first 2 shown]
	v_cmp_eq_u32_e64 s10, 0, v8
	s_wait_alu 0xf1ff
	v_cndmask_b32_e64 v7, v7, 0, s6
	s_delay_alu instid0(VALU_DEP_1) | instskip(NEXT) | instid1(VALU_DEP_1)
	v_add_nc_u32_e32 v2, v7, v2
	v_mov_b32_dpp v7, v2 row_shr:2 row_mask:0xf bank_mask:0xf
	s_delay_alu instid0(VALU_DEP_1) | instskip(NEXT) | instid1(VALU_DEP_1)
	v_cndmask_b32_e64 v7, 0, v7, s7
	v_add_nc_u32_e32 v2, v2, v7
	s_delay_alu instid0(VALU_DEP_1) | instskip(NEXT) | instid1(VALU_DEP_1)
	v_mov_b32_dpp v7, v2 row_shr:4 row_mask:0xf bank_mask:0xf
	v_cndmask_b32_e64 v7, 0, v7, s8
	s_delay_alu instid0(VALU_DEP_1) | instskip(NEXT) | instid1(VALU_DEP_1)
	v_add_nc_u32_e32 v2, v2, v7
	v_mov_b32_dpp v7, v2 row_shr:8 row_mask:0xf bank_mask:0xf
	s_delay_alu instid0(VALU_DEP_1) | instskip(SKIP_1) | instid1(VALU_DEP_2)
	v_cndmask_b32_e64 v6, 0, v7, s9
	v_bfe_i32 v7, v125, 4, 1
	v_add_nc_u32_e32 v2, v2, v6
	ds_swizzle_b32 v6, v2 offset:swizzle(BROADCAST,32,15)
	s_wait_dscnt 0x0
	v_and_b32_e32 v6, v7, v6
	s_delay_alu instid0(VALU_DEP_1)
	v_add_nc_u32_e32 v6, v2, v6
	s_and_saveexec_b32 s11, s3
; %bb.673:                              ;   in Loop: Header=BB1227_12 Depth=1
	ds_store_b32 v99, v6
; %bb.674:                              ;   in Loop: Header=BB1227_12 Depth=1
	s_wait_alu 0xfffe
	s_or_b32 exec_lo, exec_lo, s11
	v_and_b32_e32 v2, 7, v125
	s_wait_loadcnt_dscnt 0x0
	s_barrier_signal -1
	s_barrier_wait -1
	global_inv scope:SCOPE_SE
	s_and_saveexec_b32 s11, s4
	s_cbranch_execz .LBB1227_676
; %bb.675:                              ;   in Loop: Header=BB1227_12 Depth=1
	ds_load_b32 v7, v100
	v_cmp_ne_u32_e32 vcc_lo, 0, v2
	s_wait_dscnt 0x0
	v_mov_b32_dpp v8, v7 row_shr:1 row_mask:0xf bank_mask:0xf
	s_wait_alu 0xfffd
	s_delay_alu instid0(VALU_DEP_1) | instskip(SKIP_1) | instid1(VALU_DEP_2)
	v_cndmask_b32_e32 v8, 0, v8, vcc_lo
	v_cmp_lt_u32_e32 vcc_lo, 1, v2
	v_add_nc_u32_e32 v7, v8, v7
	s_delay_alu instid0(VALU_DEP_1) | instskip(SKIP_1) | instid1(VALU_DEP_1)
	v_mov_b32_dpp v8, v7 row_shr:2 row_mask:0xf bank_mask:0xf
	s_wait_alu 0xfffd
	v_cndmask_b32_e32 v8, 0, v8, vcc_lo
	v_cmp_lt_u32_e32 vcc_lo, 3, v2
	s_delay_alu instid0(VALU_DEP_2) | instskip(NEXT) | instid1(VALU_DEP_1)
	v_add_nc_u32_e32 v7, v7, v8
	v_mov_b32_dpp v8, v7 row_shr:4 row_mask:0xf bank_mask:0xf
	s_wait_alu 0xfffd
	s_delay_alu instid0(VALU_DEP_1) | instskip(NEXT) | instid1(VALU_DEP_1)
	v_cndmask_b32_e32 v8, 0, v8, vcc_lo
	v_add_nc_u32_e32 v7, v7, v8
	ds_store_b32 v100, v7
.LBB1227_676:                           ;   in Loop: Header=BB1227_12 Depth=1
	s_wait_alu 0xfffe
	s_or_b32 exec_lo, exec_lo, s11
	v_mov_b32_e32 v7, 0
	s_wait_loadcnt_dscnt 0x0
	s_barrier_signal -1
	s_barrier_wait -1
	global_inv scope:SCOPE_SE
	s_and_saveexec_b32 s11, s5
; %bb.677:                              ;   in Loop: Header=BB1227_12 Depth=1
	ds_load_b32 v7, v101
; %bb.678:                              ;   in Loop: Header=BB1227_12 Depth=1
	s_wait_alu 0xfffe
	s_or_b32 exec_lo, exec_lo, s11
	v_sub_co_u32 v8, s11, v125, 1
	s_wait_dscnt 0x0
	v_add_nc_u32_e32 v6, v7, v6
	s_wait_loadcnt 0x0
	s_barrier_signal -1
	v_cmp_gt_i32_e32 vcc_lo, 0, v8
	s_barrier_wait -1
	global_inv scope:SCOPE_SE
	s_wait_alu 0xfffd
	v_cndmask_b32_e32 v8, v8, v125, vcc_lo
	s_delay_alu instid0(VALU_DEP_1)
	v_lshlrev_b32_e32 v126, 2, v8
	ds_bpermute_b32 v6, v126, v6
	s_and_saveexec_b32 s12, s2
	s_cbranch_execz .LBB1227_680
; %bb.679:                              ;   in Loop: Header=BB1227_12 Depth=1
	s_wait_dscnt 0x0
	v_cndmask_b32_e64 v6, v6, v7, s11
	s_delay_alu instid0(VALU_DEP_1)
	v_add_nc_u32_e32 v6, s33, v6
	ds_store_b32 v78, v6
.LBB1227_680:                           ;   in Loop: Header=BB1227_12 Depth=1
	s_wait_alu 0xfffe
	s_or_b32 exec_lo, exec_lo, s12
	s_load_b64 s[12:13], s[52:53], 0x0
	v_lshlrev_b32_e32 v8, 3, v125
	v_or_b32_e32 v127, v125, v102
	s_mov_b32 s57, s55
                                        ; implicit-def: $vgpr10_vgpr11
                                        ; implicit-def: $vgpr12_vgpr13
                                        ; implicit-def: $vgpr14_vgpr15
                                        ; implicit-def: $vgpr16_vgpr17
                                        ; implicit-def: $vgpr18_vgpr19
                                        ; implicit-def: $vgpr20_vgpr21
                                        ; implicit-def: $vgpr22_vgpr23
                                        ; implicit-def: $vgpr24_vgpr25
                                        ; implicit-def: $vgpr26_vgpr27
                                        ; implicit-def: $vgpr28_vgpr29
                                        ; implicit-def: $vgpr30_vgpr31
                                        ; implicit-def: $vgpr32_vgpr33
                                        ; implicit-def: $vgpr34_vgpr35
                                        ; implicit-def: $vgpr36_vgpr37
                                        ; implicit-def: $vgpr148
                                        ; implicit-def: $vgpr149
                                        ; implicit-def: $vgpr150
                                        ; implicit-def: $vgpr151
                                        ; implicit-def: $vgpr152
                                        ; implicit-def: $vgpr153
                                        ; implicit-def: $vgpr154
                                        ; implicit-def: $vgpr155
                                        ; implicit-def: $vgpr156
                                        ; implicit-def: $vgpr157
                                        ; implicit-def: $vgpr158
                                        ; implicit-def: $vgpr159
                                        ; implicit-def: $vgpr160
                                        ; implicit-def: $vgpr161
                                        ; implicit-def: $vgpr162
                                        ; implicit-def: $vgpr163
	s_delay_alu instid0(VALU_DEP_2)
	v_add_co_u32 v128, vcc_lo, v119, v8
	s_wait_alu 0xfffd
	v_add_co_ci_u32_e64 v129, null, 0, v120, vcc_lo
	v_add_co_u32 v145, vcc_lo, v121, v8
	v_or_b32_e32 v130, 32, v127
	v_or_b32_e32 v131, 64, v127
	v_or_b32_e32 v132, 0x60, v127
	v_or_b32_e32 v133, 0x80, v127
	v_or_b32_e32 v134, 0xa0, v127
	v_or_b32_e32 v135, 0xc0, v127
	v_or_b32_e32 v136, 0xe0, v127
	v_or_b32_e32 v137, 0x100, v127
	s_wait_kmcnt 0x0
	s_cmp_lt_u32 ttmp7, s13
	v_or_b32_e32 v138, 0x120, v127
	s_cselect_b32 s34, 14, 20
	s_cmp_lt_u32 ttmp9, s12
	s_wait_alu 0xfffe
	s_add_nc_u64 s[14:15], s[52:53], s[34:35]
	s_cselect_b32 s34, 12, 18
	s_load_u16 s15, s[14:15], 0x0
	s_add_nc_u64 s[12:13], s[52:53], s[34:35]
	v_or_b32_e32 v139, 0x140, v127
	s_load_u16 s16, s[12:13], 0x0
	v_cmp_eq_u32_e64 s12, 0, v2
	v_cmp_lt_u32_e64 s13, 1, v2
	v_cmp_lt_u32_e64 s14, 3, v2
	v_or_b32_e32 v140, 0x160, v127
	v_or_b32_e32 v141, 0x180, v127
	;; [unrolled: 1-line block ×5, first 2 shown]
	v_add_co_ci_u32_e64 v146, null, 0, v122, vcc_lo
	s_mov_b32 s34, s33
                                        ; implicit-def: $vgpr8_vgpr9
	s_wait_kmcnt 0x0
	v_mad_u32_u24 v2, v104, s15, v0
	s_wait_dscnt 0x0
	s_delay_alu instid0(VALU_DEP_1) | instskip(NEXT) | instid1(VALU_DEP_1)
	v_mad_co_u64_u32 v[6:7], null, v2, s16, v[1:2]
	v_lshrrev_b32_e32 v2, 3, v6
                                        ; implicit-def: $vgpr6_vgpr7
	s_delay_alu instid0(VALU_DEP_1)
	v_and_b32_e32 v147, 0x1ffffffc, v2
	s_branch .LBB1227_682
.LBB1227_681:                           ;   in Loop: Header=BB1227_682 Depth=2
	s_wait_alu 0xfffe
	s_or_b32 exec_lo, exec_lo, s15
	s_addk_co_i32 s57, 0xf000
	s_cmp_lt_u32 s58, s51
	s_mov_b32 s34, s58
	s_cbranch_scc0 .LBB1227_890
.LBB1227_682:                           ;   Parent Loop BB1227_12 Depth=1
                                        ; =>  This Inner Loop Header: Depth=2
	s_wait_alu 0xfffe
	s_add_co_i32 s58, s34, 0x1000
	s_wait_alu 0xfffe
	s_cmp_gt_u32 s58, s51
	s_cbranch_scc1 .LBB1227_684
; %bb.683:                              ;   in Loop: Header=BB1227_682 Depth=2
	s_lshl_b64 s[16:17], s[34:35], 3
	s_mov_b32 s15, -1
	s_wait_alu 0xfffe
	v_add_co_u32 v44, vcc_lo, v145, s16
	s_wait_alu 0xfffd
	v_add_co_ci_u32_e64 v45, null, s17, v146, vcc_lo
	s_clause 0xe
	global_load_b64 v[38:39], v[44:45], off
	global_load_b64 v[40:41], v[44:45], off offset:256
	global_load_b64 v[42:43], v[44:45], off offset:512
	;; [unrolled: 1-line block ×14, first 2 shown]
	s_movk_i32 s16, 0x1000
	s_cbranch_execz .LBB1227_685
	s_branch .LBB1227_716
.LBB1227_684:                           ;   in Loop: Header=BB1227_682 Depth=2
	s_mov_b32 s15, 0
                                        ; implicit-def: $vgpr38_vgpr39
                                        ; implicit-def: $vgpr40_vgpr41
                                        ; implicit-def: $vgpr42_vgpr43
                                        ; implicit-def: $vgpr48_vgpr49
                                        ; implicit-def: $vgpr54_vgpr55
                                        ; implicit-def: $vgpr58_vgpr59
                                        ; implicit-def: $vgpr62_vgpr63
                                        ; implicit-def: $vgpr66_vgpr67
                                        ; implicit-def: $vgpr68_vgpr69
                                        ; implicit-def: $vgpr64_vgpr65
                                        ; implicit-def: $vgpr60_vgpr61
                                        ; implicit-def: $vgpr56_vgpr57
                                        ; implicit-def: $vgpr52_vgpr53
                                        ; implicit-def: $vgpr50_vgpr51
                                        ; implicit-def: $vgpr46_vgpr47
	s_movk_i32 s16, 0x1000
.LBB1227_685:                           ;   in Loop: Header=BB1227_682 Depth=2
	s_wait_loadcnt 0xd
	v_dual_mov_b32 v40, v4 :: v_dual_mov_b32 v41, v5
	s_lshl_b64 s[16:17], s[34:35], 3
	s_mov_b32 s15, exec_lo
	s_wait_alu 0xfffe
	v_add_co_u32 v44, vcc_lo, v145, s16
	s_wait_alu 0xfffd
	v_add_co_ci_u32_e64 v45, null, s17, v146, vcc_lo
	v_dual_mov_b32 v38, v40 :: v_dual_mov_b32 v39, v41
	v_cmpx_gt_u32_e64 s57, v127
	s_cbranch_execz .LBB1227_687
; %bb.686:                              ;   in Loop: Header=BB1227_682 Depth=2
	global_load_b64 v[38:39], v[44:45], off
.LBB1227_687:                           ;   in Loop: Header=BB1227_682 Depth=2
	s_or_b32 exec_lo, exec_lo, s15
	s_delay_alu instid0(SALU_CYCLE_1)
	s_mov_b32 s15, exec_lo
	v_cmpx_gt_u32_e64 s57, v130
	s_cbranch_execz .LBB1227_689
; %bb.688:                              ;   in Loop: Header=BB1227_682 Depth=2
	global_load_b64 v[40:41], v[44:45], off offset:256
.LBB1227_689:                           ;   in Loop: Header=BB1227_682 Depth=2
	s_wait_alu 0xfffe
	s_or_b32 exec_lo, exec_lo, s15
	s_wait_loadcnt 0xc
	v_dual_mov_b32 v43, v5 :: v_dual_mov_b32 v42, v4
	s_mov_b32 s15, exec_lo
	v_cmpx_gt_u32_e64 s57, v131
	s_cbranch_execz .LBB1227_691
; %bb.690:                              ;   in Loop: Header=BB1227_682 Depth=2
	global_load_b64 v[42:43], v[44:45], off offset:512
.LBB1227_691:                           ;   in Loop: Header=BB1227_682 Depth=2
	s_wait_alu 0xfffe
	s_or_b32 exec_lo, exec_lo, s15
	s_wait_loadcnt 0xb
	v_dual_mov_b32 v49, v5 :: v_dual_mov_b32 v48, v4
	s_mov_b32 s15, exec_lo
	v_cmpx_gt_u32_e64 s57, v132
	s_cbranch_execz .LBB1227_693
; %bb.692:                              ;   in Loop: Header=BB1227_682 Depth=2
	global_load_b64 v[48:49], v[44:45], off offset:768
.LBB1227_693:                           ;   in Loop: Header=BB1227_682 Depth=2
	s_wait_alu 0xfffe
	s_or_b32 exec_lo, exec_lo, s15
	s_wait_loadcnt 0xa
	v_dual_mov_b32 v55, v5 :: v_dual_mov_b32 v54, v4
	s_mov_b32 s15, exec_lo
	v_cmpx_gt_u32_e64 s57, v133
	s_cbranch_execz .LBB1227_695
; %bb.694:                              ;   in Loop: Header=BB1227_682 Depth=2
	global_load_b64 v[54:55], v[44:45], off offset:1024
.LBB1227_695:                           ;   in Loop: Header=BB1227_682 Depth=2
	s_wait_alu 0xfffe
	s_or_b32 exec_lo, exec_lo, s15
	s_wait_loadcnt 0x9
	v_dual_mov_b32 v59, v5 :: v_dual_mov_b32 v58, v4
	s_mov_b32 s15, exec_lo
	v_cmpx_gt_u32_e64 s57, v134
	s_cbranch_execz .LBB1227_697
; %bb.696:                              ;   in Loop: Header=BB1227_682 Depth=2
	global_load_b64 v[58:59], v[44:45], off offset:1280
.LBB1227_697:                           ;   in Loop: Header=BB1227_682 Depth=2
	s_wait_alu 0xfffe
	s_or_b32 exec_lo, exec_lo, s15
	s_wait_loadcnt 0x8
	v_dual_mov_b32 v63, v5 :: v_dual_mov_b32 v62, v4
	s_mov_b32 s15, exec_lo
	v_cmpx_gt_u32_e64 s57, v135
	s_cbranch_execz .LBB1227_699
; %bb.698:                              ;   in Loop: Header=BB1227_682 Depth=2
	global_load_b64 v[62:63], v[44:45], off offset:1536
.LBB1227_699:                           ;   in Loop: Header=BB1227_682 Depth=2
	s_wait_alu 0xfffe
	s_or_b32 exec_lo, exec_lo, s15
	s_wait_loadcnt 0x7
	v_dual_mov_b32 v67, v5 :: v_dual_mov_b32 v66, v4
	s_mov_b32 s15, exec_lo
	v_cmpx_gt_u32_e64 s57, v136
	s_cbranch_execz .LBB1227_701
; %bb.700:                              ;   in Loop: Header=BB1227_682 Depth=2
	global_load_b64 v[66:67], v[44:45], off offset:1792
.LBB1227_701:                           ;   in Loop: Header=BB1227_682 Depth=2
	s_wait_alu 0xfffe
	s_or_b32 exec_lo, exec_lo, s15
	s_wait_loadcnt 0x6
	v_dual_mov_b32 v69, v5 :: v_dual_mov_b32 v68, v4
	s_mov_b32 s15, exec_lo
	v_cmpx_gt_u32_e64 s57, v137
	s_cbranch_execz .LBB1227_703
; %bb.702:                              ;   in Loop: Header=BB1227_682 Depth=2
	global_load_b64 v[68:69], v[44:45], off offset:2048
.LBB1227_703:                           ;   in Loop: Header=BB1227_682 Depth=2
	s_wait_alu 0xfffe
	s_or_b32 exec_lo, exec_lo, s15
	s_wait_loadcnt 0x5
	v_dual_mov_b32 v65, v5 :: v_dual_mov_b32 v64, v4
	s_mov_b32 s15, exec_lo
	v_cmpx_gt_u32_e64 s57, v138
	s_cbranch_execz .LBB1227_705
; %bb.704:                              ;   in Loop: Header=BB1227_682 Depth=2
	global_load_b64 v[64:65], v[44:45], off offset:2304
.LBB1227_705:                           ;   in Loop: Header=BB1227_682 Depth=2
	s_wait_alu 0xfffe
	s_or_b32 exec_lo, exec_lo, s15
	s_wait_loadcnt 0x4
	v_dual_mov_b32 v61, v5 :: v_dual_mov_b32 v60, v4
	s_mov_b32 s15, exec_lo
	v_cmpx_gt_u32_e64 s57, v139
	s_cbranch_execz .LBB1227_707
; %bb.706:                              ;   in Loop: Header=BB1227_682 Depth=2
	global_load_b64 v[60:61], v[44:45], off offset:2560
.LBB1227_707:                           ;   in Loop: Header=BB1227_682 Depth=2
	s_wait_alu 0xfffe
	s_or_b32 exec_lo, exec_lo, s15
	s_wait_loadcnt 0x3
	v_dual_mov_b32 v57, v5 :: v_dual_mov_b32 v56, v4
	s_mov_b32 s15, exec_lo
	v_cmpx_gt_u32_e64 s57, v140
	s_cbranch_execz .LBB1227_709
; %bb.708:                              ;   in Loop: Header=BB1227_682 Depth=2
	global_load_b64 v[56:57], v[44:45], off offset:2816
.LBB1227_709:                           ;   in Loop: Header=BB1227_682 Depth=2
	s_wait_alu 0xfffe
	s_or_b32 exec_lo, exec_lo, s15
	s_wait_loadcnt 0x2
	v_dual_mov_b32 v53, v5 :: v_dual_mov_b32 v52, v4
	s_mov_b32 s15, exec_lo
	v_cmpx_gt_u32_e64 s57, v141
	s_cbranch_execz .LBB1227_711
; %bb.710:                              ;   in Loop: Header=BB1227_682 Depth=2
	global_load_b64 v[52:53], v[44:45], off offset:3072
.LBB1227_711:                           ;   in Loop: Header=BB1227_682 Depth=2
	s_wait_alu 0xfffe
	s_or_b32 exec_lo, exec_lo, s15
	s_wait_loadcnt 0x1
	v_dual_mov_b32 v51, v5 :: v_dual_mov_b32 v50, v4
	s_mov_b32 s15, exec_lo
	v_cmpx_gt_u32_e64 s57, v142
	s_cbranch_execz .LBB1227_713
; %bb.712:                              ;   in Loop: Header=BB1227_682 Depth=2
	global_load_b64 v[50:51], v[44:45], off offset:3328
.LBB1227_713:                           ;   in Loop: Header=BB1227_682 Depth=2
	s_wait_alu 0xfffe
	s_or_b32 exec_lo, exec_lo, s15
	s_wait_loadcnt 0x0
	v_dual_mov_b32 v47, v5 :: v_dual_mov_b32 v46, v4
	s_mov_b32 s15, exec_lo
	v_cmpx_gt_u32_e64 s57, v143
	s_cbranch_execz .LBB1227_715
; %bb.714:                              ;   in Loop: Header=BB1227_682 Depth=2
	global_load_b64 v[46:47], v[44:45], off offset:3584
.LBB1227_715:                           ;   in Loop: Header=BB1227_682 Depth=2
	s_wait_alu 0xfffe
	s_or_b32 exec_lo, exec_lo, s15
	v_cmp_gt_u32_e64 s15, s57, v144
	s_sub_co_i32 s16, s51, s34
.LBB1227_716:                           ;   in Loop: Header=BB1227_682 Depth=2
	v_dual_mov_b32 v164, s57 :: v_dual_mov_b32 v45, v5
	v_mov_b32_e32 v44, v4
	s_and_saveexec_b32 s17, s15
	s_cbranch_execz .LBB1227_718
; %bb.717:                              ;   in Loop: Header=BB1227_682 Depth=2
	s_lshl_b64 s[18:19], s[34:35], 3
	s_wait_alu 0xfffe
	v_mov_b32_e32 v164, s16
	v_add_co_u32 v44, vcc_lo, v145, s18
	s_wait_alu 0xfffd
	v_add_co_ci_u32_e64 v45, null, s19, v146, vcc_lo
	global_load_b64 v[44:45], v[44:45], off offset:3840
.LBB1227_718:                           ;   in Loop: Header=BB1227_682 Depth=2
	s_wait_alu 0xfffe
	s_or_b32 exec_lo, exec_lo, s17
	s_wait_loadcnt 0xe
	v_cmp_lt_i64_e32 vcc_lo, -1, v[38:39]
	v_ashrrev_i32_e32 v70, 31, v39
	v_add_nc_u32_e32 v166, 0x420, v103
	v_add_nc_u32_e32 v167, 0x428, v103
	;; [unrolled: 1-line block ×3, first 2 shown]
	s_delay_alu instid0(VALU_DEP_4) | instskip(SKIP_2) | instid1(VALU_DEP_1)
	v_xor_b32_e32 v38, v70, v38
	s_wait_alu 0xfffd
	v_cndmask_b32_e64 v2, -1, 0x80000000, vcc_lo
	v_xor_b32_e32 v39, v2, v39
	s_delay_alu instid0(VALU_DEP_1) | instskip(SKIP_3) | instid1(VALU_DEP_1)
	v_cmp_ne_u64_e32 vcc_lo, s[42:43], v[38:39]
	s_wait_alu 0xfffd
	v_cndmask_b32_e32 v71, 0x80000000, v39, vcc_lo
	v_cndmask_b32_e32 v70, 0, v38, vcc_lo
	v_lshrrev_b64 v[70:71], s31, v[70:71]
	s_delay_alu instid0(VALU_DEP_1) | instskip(NEXT) | instid1(VALU_DEP_1)
	v_and_b32_e32 v71, s56, v70
	v_and_b32_e32 v2, 1, v71
	v_lshlrev_b32_e32 v70, 30, v71
	v_lshlrev_b32_e32 v72, 29, v71
	;; [unrolled: 1-line block ×4, first 2 shown]
	v_add_co_u32 v2, s15, v2, -1
	s_wait_alu 0xf1ff
	v_cndmask_b32_e64 v74, 0, 1, s15
	v_not_b32_e32 v165, v70
	v_cmp_gt_i32_e64 s15, 0, v70
	v_not_b32_e32 v70, v72
	v_lshlrev_b32_e32 v76, 26, v71
	v_cmp_ne_u32_e32 vcc_lo, 0, v74
	v_ashrrev_i32_e32 v165, 31, v165
	v_lshlrev_b32_e32 v77, 25, v71
	v_ashrrev_i32_e32 v70, 31, v70
	v_lshlrev_b32_e32 v74, 24, v71
	s_wait_alu 0xfffd
	v_xor_b32_e32 v2, vcc_lo, v2
	v_cmp_gt_i32_e32 vcc_lo, 0, v72
	v_not_b32_e32 v72, v73
	s_wait_alu 0xf1ff
	v_xor_b32_e32 v165, s15, v165
	v_cmp_gt_i32_e64 s15, 0, v73
	v_and_b32_e32 v2, exec_lo, v2
	v_not_b32_e32 v73, v75
	v_ashrrev_i32_e32 v72, 31, v72
	s_wait_alu 0xfffd
	v_xor_b32_e32 v70, vcc_lo, v70
	v_cmp_gt_i32_e32 vcc_lo, 0, v75
	v_and_b32_e32 v2, v2, v165
	v_not_b32_e32 v75, v76
	v_ashrrev_i32_e32 v73, 31, v73
	s_wait_alu 0xf1ff
	v_xor_b32_e32 v72, s15, v72
	v_cmp_gt_i32_e64 s15, 0, v76
	v_and_b32_e32 v2, v2, v70
	v_not_b32_e32 v70, v77
	v_ashrrev_i32_e32 v75, 31, v75
	s_wait_alu 0xfffd
	v_xor_b32_e32 v73, vcc_lo, v73
	v_cmp_gt_i32_e32 vcc_lo, 0, v77
	v_and_b32_e32 v2, v2, v72
	v_not_b32_e32 v72, v74
	v_ashrrev_i32_e32 v70, 31, v70
	s_wait_alu 0xf1ff
	v_xor_b32_e32 v75, s15, v75
	v_cmp_gt_i32_e64 s15, 0, v74
	v_and_b32_e32 v2, v2, v73
	v_ashrrev_i32_e32 v72, 31, v72
	s_wait_alu 0xfffd
	v_xor_b32_e32 v70, vcc_lo, v70
	v_mul_u32_u24_e32 v71, 36, v71
	v_add_nc_u32_e32 v165, 0x438, v103
	v_and_b32_e32 v2, v2, v75
	s_wait_alu 0xf1ff
	v_xor_b32_e32 v72, s15, v72
	v_add_nc_u32_e32 v169, v147, v71
	ds_store_2addr_b32 v165, v3, v3 offset1:1
	v_and_b32_e32 v2, v2, v70
	ds_store_2addr_b32 v166, v3, v3 offset1:1
	ds_store_2addr_b32 v167, v3, v3 offset1:1
	;; [unrolled: 1-line block ×3, first 2 shown]
	ds_store_b32 v103, v3 offset:1088
	s_wait_loadcnt_dscnt 0x0
	s_barrier_signal -1
	s_barrier_wait -1
	v_and_b32_e32 v70, v2, v72
	global_inv scope:SCOPE_SE
	; wave barrier
	v_mbcnt_lo_u32_b32 v2, v70, 0
	v_cmp_ne_u32_e64 s15, 0, v70
	s_delay_alu instid0(VALU_DEP_2)
	v_cmp_eq_u32_e32 vcc_lo, 0, v2
	s_and_b32 s16, s15, vcc_lo
	s_wait_alu 0xfffe
	s_and_saveexec_b32 s15, s16
; %bb.719:                              ;   in Loop: Header=BB1227_682 Depth=2
	v_bcnt_u32_b32 v70, v70, 0
	ds_store_b32 v169, v70 offset:1056
; %bb.720:                              ;   in Loop: Header=BB1227_682 Depth=2
	s_wait_alu 0xfffe
	s_or_b32 exec_lo, exec_lo, s15
	v_cmp_lt_i64_e32 vcc_lo, -1, v[40:41]
	v_ashrrev_i32_e32 v71, 31, v41
	; wave barrier
	s_delay_alu instid0(VALU_DEP_1) | instskip(SKIP_2) | instid1(VALU_DEP_1)
	v_xor_b32_e32 v40, v71, v40
	s_wait_alu 0xfffd
	v_cndmask_b32_e64 v70, -1, 0x80000000, vcc_lo
	v_xor_b32_e32 v41, v70, v41
	s_delay_alu instid0(VALU_DEP_1) | instskip(SKIP_3) | instid1(VALU_DEP_1)
	v_cmp_ne_u64_e32 vcc_lo, s[42:43], v[40:41]
	s_wait_alu 0xfffd
	v_cndmask_b32_e32 v71, 0x80000000, v41, vcc_lo
	v_cndmask_b32_e32 v70, 0, v40, vcc_lo
	v_lshrrev_b64 v[70:71], s31, v[70:71]
	s_delay_alu instid0(VALU_DEP_1) | instskip(NEXT) | instid1(VALU_DEP_1)
	v_and_b32_e32 v71, s56, v70
	v_and_b32_e32 v70, 1, v71
	v_lshlrev_b32_e32 v72, 30, v71
	v_lshlrev_b32_e32 v73, 29, v71
	;; [unrolled: 1-line block ×4, first 2 shown]
	v_add_co_u32 v70, s15, v70, -1
	s_wait_alu 0xf1ff
	v_cndmask_b32_e64 v75, 0, 1, s15
	v_not_b32_e32 v171, v72
	v_cmp_gt_i32_e64 s15, 0, v72
	v_not_b32_e32 v72, v73
	v_lshlrev_b32_e32 v77, 26, v71
	v_cmp_ne_u32_e32 vcc_lo, 0, v75
	v_ashrrev_i32_e32 v171, 31, v171
	v_lshlrev_b32_e32 v170, 25, v71
	v_ashrrev_i32_e32 v72, 31, v72
	v_lshlrev_b32_e32 v75, 24, v71
	s_wait_alu 0xfffd
	v_xor_b32_e32 v70, vcc_lo, v70
	v_cmp_gt_i32_e32 vcc_lo, 0, v73
	v_not_b32_e32 v73, v74
	s_wait_alu 0xf1ff
	v_xor_b32_e32 v171, s15, v171
	v_cmp_gt_i32_e64 s15, 0, v74
	v_and_b32_e32 v70, exec_lo, v70
	v_not_b32_e32 v74, v76
	v_ashrrev_i32_e32 v73, 31, v73
	s_wait_alu 0xfffd
	v_xor_b32_e32 v72, vcc_lo, v72
	v_cmp_gt_i32_e32 vcc_lo, 0, v76
	v_and_b32_e32 v70, v70, v171
	v_not_b32_e32 v76, v77
	v_ashrrev_i32_e32 v74, 31, v74
	s_wait_alu 0xf1ff
	v_xor_b32_e32 v73, s15, v73
	v_cmp_gt_i32_e64 s15, 0, v77
	v_and_b32_e32 v70, v70, v72
	v_not_b32_e32 v72, v170
	v_ashrrev_i32_e32 v76, 31, v76
	s_wait_alu 0xfffd
	v_xor_b32_e32 v74, vcc_lo, v74
	v_cmp_gt_i32_e32 vcc_lo, 0, v170
	v_and_b32_e32 v70, v70, v73
	v_not_b32_e32 v73, v75
	v_ashrrev_i32_e32 v72, 31, v72
	s_wait_alu 0xf1ff
	v_xor_b32_e32 v76, s15, v76
	v_cmp_gt_i32_e64 s15, 0, v75
	v_and_b32_e32 v70, v70, v74
	v_ashrrev_i32_e32 v73, 31, v73
	s_wait_alu 0xfffd
	v_xor_b32_e32 v72, vcc_lo, v72
	v_mad_u32_u24 v74, v71, 36, v147
	v_mul_u32_u24_e32 v71, 36, v71
	v_and_b32_e32 v70, v70, v76
	s_wait_alu 0xf1ff
	v_xor_b32_e32 v73, s15, v73
	ds_load_b32 v170, v74 offset:1056
	v_add_nc_u32_e32 v172, v147, v71
	v_and_b32_e32 v70, v70, v72
	; wave barrier
	s_delay_alu instid0(VALU_DEP_1) | instskip(NEXT) | instid1(VALU_DEP_1)
	v_and_b32_e32 v70, v70, v73
	v_mbcnt_lo_u32_b32 v171, v70, 0
	v_cmp_ne_u32_e64 s15, 0, v70
	s_delay_alu instid0(VALU_DEP_2)
	v_cmp_eq_u32_e32 vcc_lo, 0, v171
	s_and_b32 s16, s15, vcc_lo
	s_wait_alu 0xfffe
	s_and_saveexec_b32 s15, s16
	s_cbranch_execz .LBB1227_722
; %bb.721:                              ;   in Loop: Header=BB1227_682 Depth=2
	s_wait_dscnt 0x0
	v_bcnt_u32_b32 v70, v70, v170
	ds_store_b32 v172, v70 offset:1056
.LBB1227_722:                           ;   in Loop: Header=BB1227_682 Depth=2
	s_wait_alu 0xfffe
	s_or_b32 exec_lo, exec_lo, s15
	v_cmp_lt_i64_e32 vcc_lo, -1, v[42:43]
	v_ashrrev_i32_e32 v71, 31, v43
	; wave barrier
	s_delay_alu instid0(VALU_DEP_1) | instskip(SKIP_2) | instid1(VALU_DEP_1)
	v_xor_b32_e32 v42, v71, v42
	s_wait_alu 0xfffd
	v_cndmask_b32_e64 v70, -1, 0x80000000, vcc_lo
	v_xor_b32_e32 v43, v70, v43
	s_delay_alu instid0(VALU_DEP_1) | instskip(SKIP_3) | instid1(VALU_DEP_1)
	v_cmp_ne_u64_e32 vcc_lo, s[42:43], v[42:43]
	s_wait_alu 0xfffd
	v_cndmask_b32_e32 v71, 0x80000000, v43, vcc_lo
	v_cndmask_b32_e32 v70, 0, v42, vcc_lo
	v_lshrrev_b64 v[70:71], s31, v[70:71]
	s_delay_alu instid0(VALU_DEP_1) | instskip(NEXT) | instid1(VALU_DEP_1)
	v_and_b32_e32 v71, s56, v70
	v_and_b32_e32 v70, 1, v71
	v_lshlrev_b32_e32 v72, 30, v71
	v_lshlrev_b32_e32 v73, 29, v71
	;; [unrolled: 1-line block ×4, first 2 shown]
	v_add_co_u32 v70, s15, v70, -1
	s_wait_alu 0xf1ff
	v_cndmask_b32_e64 v75, 0, 1, s15
	v_not_b32_e32 v174, v72
	v_cmp_gt_i32_e64 s15, 0, v72
	v_not_b32_e32 v72, v73
	v_lshlrev_b32_e32 v77, 26, v71
	v_cmp_ne_u32_e32 vcc_lo, 0, v75
	v_ashrrev_i32_e32 v174, 31, v174
	v_lshlrev_b32_e32 v173, 25, v71
	v_ashrrev_i32_e32 v72, 31, v72
	v_lshlrev_b32_e32 v75, 24, v71
	s_wait_alu 0xfffd
	v_xor_b32_e32 v70, vcc_lo, v70
	v_cmp_gt_i32_e32 vcc_lo, 0, v73
	v_not_b32_e32 v73, v74
	s_wait_alu 0xf1ff
	v_xor_b32_e32 v174, s15, v174
	v_cmp_gt_i32_e64 s15, 0, v74
	v_and_b32_e32 v70, exec_lo, v70
	v_not_b32_e32 v74, v76
	v_ashrrev_i32_e32 v73, 31, v73
	s_wait_alu 0xfffd
	v_xor_b32_e32 v72, vcc_lo, v72
	v_cmp_gt_i32_e32 vcc_lo, 0, v76
	v_and_b32_e32 v70, v70, v174
	v_not_b32_e32 v76, v77
	v_ashrrev_i32_e32 v74, 31, v74
	s_wait_alu 0xf1ff
	v_xor_b32_e32 v73, s15, v73
	v_cmp_gt_i32_e64 s15, 0, v77
	v_and_b32_e32 v70, v70, v72
	v_not_b32_e32 v72, v173
	v_ashrrev_i32_e32 v76, 31, v76
	s_wait_alu 0xfffd
	v_xor_b32_e32 v74, vcc_lo, v74
	v_cmp_gt_i32_e32 vcc_lo, 0, v173
	v_and_b32_e32 v70, v70, v73
	v_not_b32_e32 v73, v75
	v_ashrrev_i32_e32 v72, 31, v72
	s_wait_alu 0xf1ff
	v_xor_b32_e32 v76, s15, v76
	v_cmp_gt_i32_e64 s15, 0, v75
	v_and_b32_e32 v70, v70, v74
	v_ashrrev_i32_e32 v73, 31, v73
	s_wait_alu 0xfffd
	v_xor_b32_e32 v72, vcc_lo, v72
	v_mad_u32_u24 v74, v71, 36, v147
	v_mul_u32_u24_e32 v71, 36, v71
	v_and_b32_e32 v70, v70, v76
	s_wait_alu 0xf1ff
	v_xor_b32_e32 v73, s15, v73
	ds_load_b32 v173, v74 offset:1056
	v_add_nc_u32_e32 v175, v147, v71
	v_and_b32_e32 v70, v70, v72
	; wave barrier
	s_delay_alu instid0(VALU_DEP_1) | instskip(NEXT) | instid1(VALU_DEP_1)
	v_and_b32_e32 v70, v70, v73
	v_mbcnt_lo_u32_b32 v174, v70, 0
	v_cmp_ne_u32_e64 s15, 0, v70
	s_delay_alu instid0(VALU_DEP_2)
	v_cmp_eq_u32_e32 vcc_lo, 0, v174
	s_and_b32 s16, s15, vcc_lo
	s_wait_alu 0xfffe
	s_and_saveexec_b32 s15, s16
	s_cbranch_execz .LBB1227_724
; %bb.723:                              ;   in Loop: Header=BB1227_682 Depth=2
	s_wait_dscnt 0x0
	v_bcnt_u32_b32 v70, v70, v173
	ds_store_b32 v175, v70 offset:1056
.LBB1227_724:                           ;   in Loop: Header=BB1227_682 Depth=2
	s_wait_alu 0xfffe
	s_or_b32 exec_lo, exec_lo, s15
	v_cmp_lt_i64_e32 vcc_lo, -1, v[48:49]
	v_ashrrev_i32_e32 v71, 31, v49
	; wave barrier
	s_delay_alu instid0(VALU_DEP_1) | instskip(SKIP_2) | instid1(VALU_DEP_1)
	v_xor_b32_e32 v48, v71, v48
	s_wait_alu 0xfffd
	v_cndmask_b32_e64 v70, -1, 0x80000000, vcc_lo
	v_xor_b32_e32 v49, v70, v49
	s_delay_alu instid0(VALU_DEP_1) | instskip(SKIP_3) | instid1(VALU_DEP_1)
	v_cmp_ne_u64_e32 vcc_lo, s[42:43], v[48:49]
	s_wait_alu 0xfffd
	v_cndmask_b32_e32 v71, 0x80000000, v49, vcc_lo
	v_cndmask_b32_e32 v70, 0, v48, vcc_lo
	v_lshrrev_b64 v[70:71], s31, v[70:71]
	s_delay_alu instid0(VALU_DEP_1) | instskip(NEXT) | instid1(VALU_DEP_1)
	v_and_b32_e32 v71, s56, v70
	v_and_b32_e32 v70, 1, v71
	v_lshlrev_b32_e32 v72, 30, v71
	v_lshlrev_b32_e32 v73, 29, v71
	v_lshlrev_b32_e32 v74, 28, v71
	v_lshlrev_b32_e32 v76, 27, v71
	v_add_co_u32 v70, s15, v70, -1
	s_wait_alu 0xf1ff
	v_cndmask_b32_e64 v75, 0, 1, s15
	v_not_b32_e32 v177, v72
	v_cmp_gt_i32_e64 s15, 0, v72
	v_not_b32_e32 v72, v73
	v_lshlrev_b32_e32 v77, 26, v71
	v_cmp_ne_u32_e32 vcc_lo, 0, v75
	v_ashrrev_i32_e32 v177, 31, v177
	v_lshlrev_b32_e32 v176, 25, v71
	v_ashrrev_i32_e32 v72, 31, v72
	v_lshlrev_b32_e32 v75, 24, v71
	s_wait_alu 0xfffd
	v_xor_b32_e32 v70, vcc_lo, v70
	v_cmp_gt_i32_e32 vcc_lo, 0, v73
	v_not_b32_e32 v73, v74
	s_wait_alu 0xf1ff
	v_xor_b32_e32 v177, s15, v177
	v_cmp_gt_i32_e64 s15, 0, v74
	v_and_b32_e32 v70, exec_lo, v70
	v_not_b32_e32 v74, v76
	v_ashrrev_i32_e32 v73, 31, v73
	s_wait_alu 0xfffd
	v_xor_b32_e32 v72, vcc_lo, v72
	v_cmp_gt_i32_e32 vcc_lo, 0, v76
	v_and_b32_e32 v70, v70, v177
	v_not_b32_e32 v76, v77
	v_ashrrev_i32_e32 v74, 31, v74
	s_wait_alu 0xf1ff
	v_xor_b32_e32 v73, s15, v73
	v_cmp_gt_i32_e64 s15, 0, v77
	v_and_b32_e32 v70, v70, v72
	v_not_b32_e32 v72, v176
	v_ashrrev_i32_e32 v76, 31, v76
	s_wait_alu 0xfffd
	v_xor_b32_e32 v74, vcc_lo, v74
	v_cmp_gt_i32_e32 vcc_lo, 0, v176
	v_and_b32_e32 v70, v70, v73
	v_not_b32_e32 v73, v75
	v_ashrrev_i32_e32 v72, 31, v72
	s_wait_alu 0xf1ff
	v_xor_b32_e32 v76, s15, v76
	v_cmp_gt_i32_e64 s15, 0, v75
	v_and_b32_e32 v70, v70, v74
	v_ashrrev_i32_e32 v73, 31, v73
	s_wait_alu 0xfffd
	v_xor_b32_e32 v72, vcc_lo, v72
	v_mad_u32_u24 v74, v71, 36, v147
	v_mul_u32_u24_e32 v71, 36, v71
	v_and_b32_e32 v70, v70, v76
	s_wait_alu 0xf1ff
	v_xor_b32_e32 v73, s15, v73
	ds_load_b32 v176, v74 offset:1056
	v_add_nc_u32_e32 v178, v147, v71
	v_and_b32_e32 v70, v70, v72
	; wave barrier
	s_delay_alu instid0(VALU_DEP_1) | instskip(NEXT) | instid1(VALU_DEP_1)
	v_and_b32_e32 v70, v70, v73
	v_mbcnt_lo_u32_b32 v177, v70, 0
	v_cmp_ne_u32_e64 s15, 0, v70
	s_delay_alu instid0(VALU_DEP_2)
	v_cmp_eq_u32_e32 vcc_lo, 0, v177
	s_and_b32 s16, s15, vcc_lo
	s_wait_alu 0xfffe
	s_and_saveexec_b32 s15, s16
	s_cbranch_execz .LBB1227_726
; %bb.725:                              ;   in Loop: Header=BB1227_682 Depth=2
	s_wait_dscnt 0x0
	v_bcnt_u32_b32 v70, v70, v176
	ds_store_b32 v178, v70 offset:1056
.LBB1227_726:                           ;   in Loop: Header=BB1227_682 Depth=2
	s_wait_alu 0xfffe
	s_or_b32 exec_lo, exec_lo, s15
	v_cmp_lt_i64_e32 vcc_lo, -1, v[54:55]
	v_ashrrev_i32_e32 v71, 31, v55
	; wave barrier
	s_delay_alu instid0(VALU_DEP_1) | instskip(SKIP_2) | instid1(VALU_DEP_1)
	v_xor_b32_e32 v54, v71, v54
	s_wait_alu 0xfffd
	v_cndmask_b32_e64 v70, -1, 0x80000000, vcc_lo
	v_xor_b32_e32 v55, v70, v55
	s_delay_alu instid0(VALU_DEP_1) | instskip(SKIP_3) | instid1(VALU_DEP_1)
	v_cmp_ne_u64_e32 vcc_lo, s[42:43], v[54:55]
	s_wait_alu 0xfffd
	v_cndmask_b32_e32 v71, 0x80000000, v55, vcc_lo
	v_cndmask_b32_e32 v70, 0, v54, vcc_lo
	v_lshrrev_b64 v[70:71], s31, v[70:71]
	s_delay_alu instid0(VALU_DEP_1) | instskip(NEXT) | instid1(VALU_DEP_1)
	v_and_b32_e32 v71, s56, v70
	v_and_b32_e32 v70, 1, v71
	v_lshlrev_b32_e32 v72, 30, v71
	v_lshlrev_b32_e32 v73, 29, v71
	;; [unrolled: 1-line block ×4, first 2 shown]
	v_add_co_u32 v70, s15, v70, -1
	s_wait_alu 0xf1ff
	v_cndmask_b32_e64 v75, 0, 1, s15
	v_not_b32_e32 v180, v72
	v_cmp_gt_i32_e64 s15, 0, v72
	v_not_b32_e32 v72, v73
	v_lshlrev_b32_e32 v77, 26, v71
	v_cmp_ne_u32_e32 vcc_lo, 0, v75
	v_ashrrev_i32_e32 v180, 31, v180
	v_lshlrev_b32_e32 v179, 25, v71
	v_ashrrev_i32_e32 v72, 31, v72
	v_lshlrev_b32_e32 v75, 24, v71
	s_wait_alu 0xfffd
	v_xor_b32_e32 v70, vcc_lo, v70
	v_cmp_gt_i32_e32 vcc_lo, 0, v73
	v_not_b32_e32 v73, v74
	s_wait_alu 0xf1ff
	v_xor_b32_e32 v180, s15, v180
	v_cmp_gt_i32_e64 s15, 0, v74
	v_and_b32_e32 v70, exec_lo, v70
	v_not_b32_e32 v74, v76
	v_ashrrev_i32_e32 v73, 31, v73
	s_wait_alu 0xfffd
	v_xor_b32_e32 v72, vcc_lo, v72
	v_cmp_gt_i32_e32 vcc_lo, 0, v76
	v_and_b32_e32 v70, v70, v180
	v_not_b32_e32 v76, v77
	v_ashrrev_i32_e32 v74, 31, v74
	s_wait_alu 0xf1ff
	v_xor_b32_e32 v73, s15, v73
	v_cmp_gt_i32_e64 s15, 0, v77
	v_and_b32_e32 v70, v70, v72
	v_not_b32_e32 v72, v179
	v_ashrrev_i32_e32 v76, 31, v76
	s_wait_alu 0xfffd
	v_xor_b32_e32 v74, vcc_lo, v74
	v_cmp_gt_i32_e32 vcc_lo, 0, v179
	v_and_b32_e32 v70, v70, v73
	v_not_b32_e32 v73, v75
	v_ashrrev_i32_e32 v72, 31, v72
	s_wait_alu 0xf1ff
	v_xor_b32_e32 v76, s15, v76
	v_cmp_gt_i32_e64 s15, 0, v75
	v_and_b32_e32 v70, v70, v74
	v_ashrrev_i32_e32 v73, 31, v73
	s_wait_alu 0xfffd
	v_xor_b32_e32 v72, vcc_lo, v72
	v_mad_u32_u24 v74, v71, 36, v147
	v_mul_u32_u24_e32 v71, 36, v71
	v_and_b32_e32 v70, v70, v76
	s_wait_alu 0xf1ff
	v_xor_b32_e32 v73, s15, v73
	ds_load_b32 v179, v74 offset:1056
	v_add_nc_u32_e32 v181, v147, v71
	v_and_b32_e32 v70, v70, v72
	; wave barrier
	s_delay_alu instid0(VALU_DEP_1) | instskip(NEXT) | instid1(VALU_DEP_1)
	v_and_b32_e32 v70, v70, v73
	v_mbcnt_lo_u32_b32 v180, v70, 0
	v_cmp_ne_u32_e64 s15, 0, v70
	s_delay_alu instid0(VALU_DEP_2)
	v_cmp_eq_u32_e32 vcc_lo, 0, v180
	s_and_b32 s16, s15, vcc_lo
	s_wait_alu 0xfffe
	s_and_saveexec_b32 s15, s16
	s_cbranch_execz .LBB1227_728
; %bb.727:                              ;   in Loop: Header=BB1227_682 Depth=2
	s_wait_dscnt 0x0
	v_bcnt_u32_b32 v70, v70, v179
	ds_store_b32 v181, v70 offset:1056
.LBB1227_728:                           ;   in Loop: Header=BB1227_682 Depth=2
	s_wait_alu 0xfffe
	s_or_b32 exec_lo, exec_lo, s15
	v_cmp_lt_i64_e32 vcc_lo, -1, v[58:59]
	v_ashrrev_i32_e32 v71, 31, v59
	; wave barrier
	s_delay_alu instid0(VALU_DEP_1) | instskip(SKIP_2) | instid1(VALU_DEP_1)
	v_xor_b32_e32 v58, v71, v58
	s_wait_alu 0xfffd
	v_cndmask_b32_e64 v70, -1, 0x80000000, vcc_lo
	v_xor_b32_e32 v59, v70, v59
	s_delay_alu instid0(VALU_DEP_1) | instskip(SKIP_3) | instid1(VALU_DEP_1)
	v_cmp_ne_u64_e32 vcc_lo, s[42:43], v[58:59]
	s_wait_alu 0xfffd
	v_cndmask_b32_e32 v71, 0x80000000, v59, vcc_lo
	v_cndmask_b32_e32 v70, 0, v58, vcc_lo
	v_lshrrev_b64 v[70:71], s31, v[70:71]
	s_delay_alu instid0(VALU_DEP_1) | instskip(NEXT) | instid1(VALU_DEP_1)
	v_and_b32_e32 v71, s56, v70
	v_and_b32_e32 v70, 1, v71
	v_lshlrev_b32_e32 v72, 30, v71
	v_lshlrev_b32_e32 v73, 29, v71
	;; [unrolled: 1-line block ×4, first 2 shown]
	v_add_co_u32 v70, s15, v70, -1
	s_wait_alu 0xf1ff
	v_cndmask_b32_e64 v75, 0, 1, s15
	v_not_b32_e32 v183, v72
	v_cmp_gt_i32_e64 s15, 0, v72
	v_not_b32_e32 v72, v73
	v_lshlrev_b32_e32 v77, 26, v71
	v_cmp_ne_u32_e32 vcc_lo, 0, v75
	v_ashrrev_i32_e32 v183, 31, v183
	v_lshlrev_b32_e32 v182, 25, v71
	v_ashrrev_i32_e32 v72, 31, v72
	v_lshlrev_b32_e32 v75, 24, v71
	s_wait_alu 0xfffd
	v_xor_b32_e32 v70, vcc_lo, v70
	v_cmp_gt_i32_e32 vcc_lo, 0, v73
	v_not_b32_e32 v73, v74
	s_wait_alu 0xf1ff
	v_xor_b32_e32 v183, s15, v183
	v_cmp_gt_i32_e64 s15, 0, v74
	v_and_b32_e32 v70, exec_lo, v70
	v_not_b32_e32 v74, v76
	v_ashrrev_i32_e32 v73, 31, v73
	s_wait_alu 0xfffd
	v_xor_b32_e32 v72, vcc_lo, v72
	v_cmp_gt_i32_e32 vcc_lo, 0, v76
	v_and_b32_e32 v70, v70, v183
	v_not_b32_e32 v76, v77
	v_ashrrev_i32_e32 v74, 31, v74
	s_wait_alu 0xf1ff
	v_xor_b32_e32 v73, s15, v73
	v_cmp_gt_i32_e64 s15, 0, v77
	v_and_b32_e32 v70, v70, v72
	v_not_b32_e32 v72, v182
	v_ashrrev_i32_e32 v76, 31, v76
	s_wait_alu 0xfffd
	v_xor_b32_e32 v74, vcc_lo, v74
	v_cmp_gt_i32_e32 vcc_lo, 0, v182
	v_and_b32_e32 v70, v70, v73
	v_not_b32_e32 v73, v75
	v_ashrrev_i32_e32 v72, 31, v72
	s_wait_alu 0xf1ff
	v_xor_b32_e32 v76, s15, v76
	v_cmp_gt_i32_e64 s15, 0, v75
	v_and_b32_e32 v70, v70, v74
	v_ashrrev_i32_e32 v73, 31, v73
	s_wait_alu 0xfffd
	v_xor_b32_e32 v72, vcc_lo, v72
	v_mad_u32_u24 v74, v71, 36, v147
	v_mul_u32_u24_e32 v71, 36, v71
	v_and_b32_e32 v70, v70, v76
	s_wait_alu 0xf1ff
	v_xor_b32_e32 v73, s15, v73
	ds_load_b32 v182, v74 offset:1056
	v_add_nc_u32_e32 v184, v147, v71
	v_and_b32_e32 v70, v70, v72
	; wave barrier
	s_delay_alu instid0(VALU_DEP_1) | instskip(NEXT) | instid1(VALU_DEP_1)
	v_and_b32_e32 v70, v70, v73
	v_mbcnt_lo_u32_b32 v183, v70, 0
	v_cmp_ne_u32_e64 s15, 0, v70
	s_delay_alu instid0(VALU_DEP_2)
	v_cmp_eq_u32_e32 vcc_lo, 0, v183
	s_and_b32 s16, s15, vcc_lo
	s_wait_alu 0xfffe
	s_and_saveexec_b32 s15, s16
	s_cbranch_execz .LBB1227_730
; %bb.729:                              ;   in Loop: Header=BB1227_682 Depth=2
	s_wait_dscnt 0x0
	v_bcnt_u32_b32 v70, v70, v182
	ds_store_b32 v184, v70 offset:1056
.LBB1227_730:                           ;   in Loop: Header=BB1227_682 Depth=2
	s_wait_alu 0xfffe
	s_or_b32 exec_lo, exec_lo, s15
	v_cmp_lt_i64_e32 vcc_lo, -1, v[62:63]
	v_ashrrev_i32_e32 v71, 31, v63
	; wave barrier
	s_delay_alu instid0(VALU_DEP_1) | instskip(SKIP_2) | instid1(VALU_DEP_1)
	v_xor_b32_e32 v62, v71, v62
	s_wait_alu 0xfffd
	v_cndmask_b32_e64 v70, -1, 0x80000000, vcc_lo
	v_xor_b32_e32 v63, v70, v63
	s_delay_alu instid0(VALU_DEP_1) | instskip(SKIP_3) | instid1(VALU_DEP_1)
	v_cmp_ne_u64_e32 vcc_lo, s[42:43], v[62:63]
	s_wait_alu 0xfffd
	v_cndmask_b32_e32 v71, 0x80000000, v63, vcc_lo
	v_cndmask_b32_e32 v70, 0, v62, vcc_lo
	v_lshrrev_b64 v[70:71], s31, v[70:71]
	s_delay_alu instid0(VALU_DEP_1) | instskip(NEXT) | instid1(VALU_DEP_1)
	v_and_b32_e32 v71, s56, v70
	v_and_b32_e32 v70, 1, v71
	v_lshlrev_b32_e32 v72, 30, v71
	v_lshlrev_b32_e32 v73, 29, v71
	;; [unrolled: 1-line block ×4, first 2 shown]
	v_add_co_u32 v70, s15, v70, -1
	s_wait_alu 0xf1ff
	v_cndmask_b32_e64 v75, 0, 1, s15
	v_not_b32_e32 v186, v72
	v_cmp_gt_i32_e64 s15, 0, v72
	v_not_b32_e32 v72, v73
	v_lshlrev_b32_e32 v77, 26, v71
	v_cmp_ne_u32_e32 vcc_lo, 0, v75
	v_ashrrev_i32_e32 v186, 31, v186
	v_lshlrev_b32_e32 v185, 25, v71
	v_ashrrev_i32_e32 v72, 31, v72
	v_lshlrev_b32_e32 v75, 24, v71
	s_wait_alu 0xfffd
	v_xor_b32_e32 v70, vcc_lo, v70
	v_cmp_gt_i32_e32 vcc_lo, 0, v73
	v_not_b32_e32 v73, v74
	s_wait_alu 0xf1ff
	v_xor_b32_e32 v186, s15, v186
	v_cmp_gt_i32_e64 s15, 0, v74
	v_and_b32_e32 v70, exec_lo, v70
	v_not_b32_e32 v74, v76
	v_ashrrev_i32_e32 v73, 31, v73
	s_wait_alu 0xfffd
	v_xor_b32_e32 v72, vcc_lo, v72
	v_cmp_gt_i32_e32 vcc_lo, 0, v76
	v_and_b32_e32 v70, v70, v186
	v_not_b32_e32 v76, v77
	v_ashrrev_i32_e32 v74, 31, v74
	s_wait_alu 0xf1ff
	v_xor_b32_e32 v73, s15, v73
	v_cmp_gt_i32_e64 s15, 0, v77
	v_and_b32_e32 v70, v70, v72
	v_not_b32_e32 v72, v185
	v_ashrrev_i32_e32 v76, 31, v76
	s_wait_alu 0xfffd
	v_xor_b32_e32 v74, vcc_lo, v74
	v_cmp_gt_i32_e32 vcc_lo, 0, v185
	v_and_b32_e32 v70, v70, v73
	v_not_b32_e32 v73, v75
	v_ashrrev_i32_e32 v72, 31, v72
	s_wait_alu 0xf1ff
	v_xor_b32_e32 v76, s15, v76
	v_cmp_gt_i32_e64 s15, 0, v75
	v_and_b32_e32 v70, v70, v74
	v_ashrrev_i32_e32 v73, 31, v73
	s_wait_alu 0xfffd
	v_xor_b32_e32 v72, vcc_lo, v72
	v_mad_u32_u24 v74, v71, 36, v147
	v_mul_u32_u24_e32 v71, 36, v71
	v_and_b32_e32 v70, v70, v76
	s_wait_alu 0xf1ff
	v_xor_b32_e32 v73, s15, v73
	ds_load_b32 v185, v74 offset:1056
	v_add_nc_u32_e32 v187, v147, v71
	v_and_b32_e32 v70, v70, v72
	; wave barrier
	s_delay_alu instid0(VALU_DEP_1) | instskip(NEXT) | instid1(VALU_DEP_1)
	v_and_b32_e32 v70, v70, v73
	v_mbcnt_lo_u32_b32 v186, v70, 0
	v_cmp_ne_u32_e64 s15, 0, v70
	s_delay_alu instid0(VALU_DEP_2)
	v_cmp_eq_u32_e32 vcc_lo, 0, v186
	s_and_b32 s16, s15, vcc_lo
	s_wait_alu 0xfffe
	s_and_saveexec_b32 s15, s16
	s_cbranch_execz .LBB1227_732
; %bb.731:                              ;   in Loop: Header=BB1227_682 Depth=2
	s_wait_dscnt 0x0
	v_bcnt_u32_b32 v70, v70, v185
	ds_store_b32 v187, v70 offset:1056
.LBB1227_732:                           ;   in Loop: Header=BB1227_682 Depth=2
	s_wait_alu 0xfffe
	s_or_b32 exec_lo, exec_lo, s15
	v_cmp_lt_i64_e32 vcc_lo, -1, v[66:67]
	v_ashrrev_i32_e32 v71, 31, v67
	; wave barrier
	s_delay_alu instid0(VALU_DEP_1) | instskip(SKIP_2) | instid1(VALU_DEP_1)
	v_xor_b32_e32 v66, v71, v66
	s_wait_alu 0xfffd
	v_cndmask_b32_e64 v70, -1, 0x80000000, vcc_lo
	v_xor_b32_e32 v67, v70, v67
	s_delay_alu instid0(VALU_DEP_1) | instskip(SKIP_3) | instid1(VALU_DEP_1)
	v_cmp_ne_u64_e32 vcc_lo, s[42:43], v[66:67]
	s_wait_alu 0xfffd
	v_cndmask_b32_e32 v71, 0x80000000, v67, vcc_lo
	v_cndmask_b32_e32 v70, 0, v66, vcc_lo
	v_lshrrev_b64 v[70:71], s31, v[70:71]
	s_delay_alu instid0(VALU_DEP_1) | instskip(NEXT) | instid1(VALU_DEP_1)
	v_and_b32_e32 v71, s56, v70
	v_and_b32_e32 v70, 1, v71
	v_lshlrev_b32_e32 v72, 30, v71
	v_lshlrev_b32_e32 v73, 29, v71
	;; [unrolled: 1-line block ×4, first 2 shown]
	v_add_co_u32 v70, s15, v70, -1
	s_wait_alu 0xf1ff
	v_cndmask_b32_e64 v75, 0, 1, s15
	v_not_b32_e32 v189, v72
	v_cmp_gt_i32_e64 s15, 0, v72
	v_not_b32_e32 v72, v73
	v_lshlrev_b32_e32 v77, 26, v71
	v_cmp_ne_u32_e32 vcc_lo, 0, v75
	v_ashrrev_i32_e32 v189, 31, v189
	v_lshlrev_b32_e32 v188, 25, v71
	v_ashrrev_i32_e32 v72, 31, v72
	v_lshlrev_b32_e32 v75, 24, v71
	s_wait_alu 0xfffd
	v_xor_b32_e32 v70, vcc_lo, v70
	v_cmp_gt_i32_e32 vcc_lo, 0, v73
	v_not_b32_e32 v73, v74
	s_wait_alu 0xf1ff
	v_xor_b32_e32 v189, s15, v189
	v_cmp_gt_i32_e64 s15, 0, v74
	v_and_b32_e32 v70, exec_lo, v70
	v_not_b32_e32 v74, v76
	v_ashrrev_i32_e32 v73, 31, v73
	s_wait_alu 0xfffd
	v_xor_b32_e32 v72, vcc_lo, v72
	v_cmp_gt_i32_e32 vcc_lo, 0, v76
	v_and_b32_e32 v70, v70, v189
	v_not_b32_e32 v76, v77
	v_ashrrev_i32_e32 v74, 31, v74
	s_wait_alu 0xf1ff
	v_xor_b32_e32 v73, s15, v73
	v_cmp_gt_i32_e64 s15, 0, v77
	v_and_b32_e32 v70, v70, v72
	v_not_b32_e32 v72, v188
	v_ashrrev_i32_e32 v76, 31, v76
	s_wait_alu 0xfffd
	v_xor_b32_e32 v74, vcc_lo, v74
	v_cmp_gt_i32_e32 vcc_lo, 0, v188
	v_and_b32_e32 v70, v70, v73
	v_not_b32_e32 v73, v75
	v_ashrrev_i32_e32 v72, 31, v72
	s_wait_alu 0xf1ff
	v_xor_b32_e32 v76, s15, v76
	v_cmp_gt_i32_e64 s15, 0, v75
	v_and_b32_e32 v70, v70, v74
	v_ashrrev_i32_e32 v73, 31, v73
	s_wait_alu 0xfffd
	v_xor_b32_e32 v72, vcc_lo, v72
	v_mad_u32_u24 v74, v71, 36, v147
	v_mul_u32_u24_e32 v71, 36, v71
	v_and_b32_e32 v70, v70, v76
	s_wait_alu 0xf1ff
	v_xor_b32_e32 v73, s15, v73
	ds_load_b32 v188, v74 offset:1056
	v_add_nc_u32_e32 v190, v147, v71
	v_and_b32_e32 v70, v70, v72
	; wave barrier
	s_delay_alu instid0(VALU_DEP_1) | instskip(NEXT) | instid1(VALU_DEP_1)
	v_and_b32_e32 v70, v70, v73
	v_mbcnt_lo_u32_b32 v189, v70, 0
	v_cmp_ne_u32_e64 s15, 0, v70
	s_delay_alu instid0(VALU_DEP_2)
	v_cmp_eq_u32_e32 vcc_lo, 0, v189
	s_and_b32 s16, s15, vcc_lo
	s_wait_alu 0xfffe
	s_and_saveexec_b32 s15, s16
	s_cbranch_execz .LBB1227_734
; %bb.733:                              ;   in Loop: Header=BB1227_682 Depth=2
	s_wait_dscnt 0x0
	v_bcnt_u32_b32 v70, v70, v188
	ds_store_b32 v190, v70 offset:1056
.LBB1227_734:                           ;   in Loop: Header=BB1227_682 Depth=2
	s_wait_alu 0xfffe
	s_or_b32 exec_lo, exec_lo, s15
	v_cmp_lt_i64_e32 vcc_lo, -1, v[68:69]
	v_ashrrev_i32_e32 v71, 31, v69
	; wave barrier
	s_delay_alu instid0(VALU_DEP_1) | instskip(SKIP_2) | instid1(VALU_DEP_1)
	v_xor_b32_e32 v68, v71, v68
	s_wait_alu 0xfffd
	v_cndmask_b32_e64 v70, -1, 0x80000000, vcc_lo
	v_xor_b32_e32 v69, v70, v69
	s_delay_alu instid0(VALU_DEP_1) | instskip(SKIP_3) | instid1(VALU_DEP_1)
	v_cmp_ne_u64_e32 vcc_lo, s[42:43], v[68:69]
	s_wait_alu 0xfffd
	v_cndmask_b32_e32 v71, 0x80000000, v69, vcc_lo
	v_cndmask_b32_e32 v70, 0, v68, vcc_lo
	v_lshrrev_b64 v[70:71], s31, v[70:71]
	s_delay_alu instid0(VALU_DEP_1) | instskip(NEXT) | instid1(VALU_DEP_1)
	v_and_b32_e32 v71, s56, v70
	v_and_b32_e32 v70, 1, v71
	v_lshlrev_b32_e32 v72, 30, v71
	v_lshlrev_b32_e32 v73, 29, v71
	;; [unrolled: 1-line block ×4, first 2 shown]
	v_add_co_u32 v70, s15, v70, -1
	s_wait_alu 0xf1ff
	v_cndmask_b32_e64 v75, 0, 1, s15
	v_not_b32_e32 v192, v72
	v_cmp_gt_i32_e64 s15, 0, v72
	v_not_b32_e32 v72, v73
	v_lshlrev_b32_e32 v77, 26, v71
	v_cmp_ne_u32_e32 vcc_lo, 0, v75
	v_ashrrev_i32_e32 v192, 31, v192
	v_lshlrev_b32_e32 v191, 25, v71
	v_ashrrev_i32_e32 v72, 31, v72
	v_lshlrev_b32_e32 v75, 24, v71
	s_wait_alu 0xfffd
	v_xor_b32_e32 v70, vcc_lo, v70
	v_cmp_gt_i32_e32 vcc_lo, 0, v73
	v_not_b32_e32 v73, v74
	s_wait_alu 0xf1ff
	v_xor_b32_e32 v192, s15, v192
	v_cmp_gt_i32_e64 s15, 0, v74
	v_and_b32_e32 v70, exec_lo, v70
	v_not_b32_e32 v74, v76
	v_ashrrev_i32_e32 v73, 31, v73
	s_wait_alu 0xfffd
	v_xor_b32_e32 v72, vcc_lo, v72
	v_cmp_gt_i32_e32 vcc_lo, 0, v76
	v_and_b32_e32 v70, v70, v192
	v_not_b32_e32 v76, v77
	v_ashrrev_i32_e32 v74, 31, v74
	s_wait_alu 0xf1ff
	v_xor_b32_e32 v73, s15, v73
	v_cmp_gt_i32_e64 s15, 0, v77
	v_and_b32_e32 v70, v70, v72
	v_not_b32_e32 v72, v191
	v_ashrrev_i32_e32 v76, 31, v76
	s_wait_alu 0xfffd
	v_xor_b32_e32 v74, vcc_lo, v74
	v_cmp_gt_i32_e32 vcc_lo, 0, v191
	v_and_b32_e32 v70, v70, v73
	v_not_b32_e32 v73, v75
	v_ashrrev_i32_e32 v72, 31, v72
	s_wait_alu 0xf1ff
	v_xor_b32_e32 v76, s15, v76
	v_cmp_gt_i32_e64 s15, 0, v75
	v_and_b32_e32 v70, v70, v74
	v_ashrrev_i32_e32 v73, 31, v73
	s_wait_alu 0xfffd
	v_xor_b32_e32 v72, vcc_lo, v72
	v_mad_u32_u24 v74, v71, 36, v147
	v_mul_u32_u24_e32 v71, 36, v71
	v_and_b32_e32 v70, v70, v76
	s_wait_alu 0xf1ff
	v_xor_b32_e32 v73, s15, v73
	ds_load_b32 v191, v74 offset:1056
	v_add_nc_u32_e32 v193, v147, v71
	v_and_b32_e32 v70, v70, v72
	; wave barrier
	s_delay_alu instid0(VALU_DEP_1) | instskip(NEXT) | instid1(VALU_DEP_1)
	v_and_b32_e32 v70, v70, v73
	v_mbcnt_lo_u32_b32 v192, v70, 0
	v_cmp_ne_u32_e64 s15, 0, v70
	s_delay_alu instid0(VALU_DEP_2)
	v_cmp_eq_u32_e32 vcc_lo, 0, v192
	s_and_b32 s16, s15, vcc_lo
	s_wait_alu 0xfffe
	s_and_saveexec_b32 s15, s16
	s_cbranch_execz .LBB1227_736
; %bb.735:                              ;   in Loop: Header=BB1227_682 Depth=2
	s_wait_dscnt 0x0
	v_bcnt_u32_b32 v70, v70, v191
	ds_store_b32 v193, v70 offset:1056
.LBB1227_736:                           ;   in Loop: Header=BB1227_682 Depth=2
	s_wait_alu 0xfffe
	s_or_b32 exec_lo, exec_lo, s15
	v_cmp_lt_i64_e32 vcc_lo, -1, v[64:65]
	v_ashrrev_i32_e32 v71, 31, v65
	; wave barrier
	s_delay_alu instid0(VALU_DEP_1) | instskip(SKIP_2) | instid1(VALU_DEP_1)
	v_xor_b32_e32 v64, v71, v64
	s_wait_alu 0xfffd
	v_cndmask_b32_e64 v70, -1, 0x80000000, vcc_lo
	v_xor_b32_e32 v65, v70, v65
	s_delay_alu instid0(VALU_DEP_1) | instskip(SKIP_3) | instid1(VALU_DEP_1)
	v_cmp_ne_u64_e32 vcc_lo, s[42:43], v[64:65]
	s_wait_alu 0xfffd
	v_cndmask_b32_e32 v71, 0x80000000, v65, vcc_lo
	v_cndmask_b32_e32 v70, 0, v64, vcc_lo
	v_lshrrev_b64 v[70:71], s31, v[70:71]
	s_delay_alu instid0(VALU_DEP_1) | instskip(NEXT) | instid1(VALU_DEP_1)
	v_and_b32_e32 v71, s56, v70
	v_and_b32_e32 v70, 1, v71
	v_lshlrev_b32_e32 v72, 30, v71
	v_lshlrev_b32_e32 v73, 29, v71
	;; [unrolled: 1-line block ×4, first 2 shown]
	v_add_co_u32 v70, s15, v70, -1
	s_wait_alu 0xf1ff
	v_cndmask_b32_e64 v75, 0, 1, s15
	v_not_b32_e32 v195, v72
	v_cmp_gt_i32_e64 s15, 0, v72
	v_not_b32_e32 v72, v73
	v_lshlrev_b32_e32 v77, 26, v71
	v_cmp_ne_u32_e32 vcc_lo, 0, v75
	v_ashrrev_i32_e32 v195, 31, v195
	v_lshlrev_b32_e32 v194, 25, v71
	v_ashrrev_i32_e32 v72, 31, v72
	v_lshlrev_b32_e32 v75, 24, v71
	s_wait_alu 0xfffd
	v_xor_b32_e32 v70, vcc_lo, v70
	v_cmp_gt_i32_e32 vcc_lo, 0, v73
	v_not_b32_e32 v73, v74
	s_wait_alu 0xf1ff
	v_xor_b32_e32 v195, s15, v195
	v_cmp_gt_i32_e64 s15, 0, v74
	v_and_b32_e32 v70, exec_lo, v70
	v_not_b32_e32 v74, v76
	v_ashrrev_i32_e32 v73, 31, v73
	s_wait_alu 0xfffd
	v_xor_b32_e32 v72, vcc_lo, v72
	v_cmp_gt_i32_e32 vcc_lo, 0, v76
	v_and_b32_e32 v70, v70, v195
	v_not_b32_e32 v76, v77
	v_ashrrev_i32_e32 v74, 31, v74
	s_wait_alu 0xf1ff
	v_xor_b32_e32 v73, s15, v73
	v_cmp_gt_i32_e64 s15, 0, v77
	v_and_b32_e32 v70, v70, v72
	v_not_b32_e32 v72, v194
	v_ashrrev_i32_e32 v76, 31, v76
	s_wait_alu 0xfffd
	v_xor_b32_e32 v74, vcc_lo, v74
	v_cmp_gt_i32_e32 vcc_lo, 0, v194
	v_and_b32_e32 v70, v70, v73
	v_not_b32_e32 v73, v75
	v_ashrrev_i32_e32 v72, 31, v72
	s_wait_alu 0xf1ff
	v_xor_b32_e32 v76, s15, v76
	v_cmp_gt_i32_e64 s15, 0, v75
	v_and_b32_e32 v70, v70, v74
	v_ashrrev_i32_e32 v73, 31, v73
	s_wait_alu 0xfffd
	v_xor_b32_e32 v72, vcc_lo, v72
	v_mad_u32_u24 v74, v71, 36, v147
	v_mul_u32_u24_e32 v71, 36, v71
	v_and_b32_e32 v70, v70, v76
	s_wait_alu 0xf1ff
	v_xor_b32_e32 v73, s15, v73
	ds_load_b32 v194, v74 offset:1056
	v_add_nc_u32_e32 v196, v147, v71
	v_and_b32_e32 v70, v70, v72
	; wave barrier
	s_delay_alu instid0(VALU_DEP_1) | instskip(NEXT) | instid1(VALU_DEP_1)
	v_and_b32_e32 v70, v70, v73
	v_mbcnt_lo_u32_b32 v195, v70, 0
	v_cmp_ne_u32_e64 s15, 0, v70
	s_delay_alu instid0(VALU_DEP_2)
	v_cmp_eq_u32_e32 vcc_lo, 0, v195
	s_and_b32 s16, s15, vcc_lo
	s_wait_alu 0xfffe
	s_and_saveexec_b32 s15, s16
	s_cbranch_execz .LBB1227_738
; %bb.737:                              ;   in Loop: Header=BB1227_682 Depth=2
	s_wait_dscnt 0x0
	v_bcnt_u32_b32 v70, v70, v194
	ds_store_b32 v196, v70 offset:1056
.LBB1227_738:                           ;   in Loop: Header=BB1227_682 Depth=2
	s_wait_alu 0xfffe
	s_or_b32 exec_lo, exec_lo, s15
	v_cmp_lt_i64_e32 vcc_lo, -1, v[60:61]
	v_ashrrev_i32_e32 v71, 31, v61
	; wave barrier
	s_delay_alu instid0(VALU_DEP_1) | instskip(SKIP_2) | instid1(VALU_DEP_1)
	v_xor_b32_e32 v60, v71, v60
	s_wait_alu 0xfffd
	v_cndmask_b32_e64 v70, -1, 0x80000000, vcc_lo
	v_xor_b32_e32 v61, v70, v61
	s_delay_alu instid0(VALU_DEP_1) | instskip(SKIP_3) | instid1(VALU_DEP_1)
	v_cmp_ne_u64_e32 vcc_lo, s[42:43], v[60:61]
	s_wait_alu 0xfffd
	v_cndmask_b32_e32 v71, 0x80000000, v61, vcc_lo
	v_cndmask_b32_e32 v70, 0, v60, vcc_lo
	v_lshrrev_b64 v[70:71], s31, v[70:71]
	s_delay_alu instid0(VALU_DEP_1) | instskip(NEXT) | instid1(VALU_DEP_1)
	v_and_b32_e32 v71, s56, v70
	v_and_b32_e32 v70, 1, v71
	v_lshlrev_b32_e32 v72, 30, v71
	v_lshlrev_b32_e32 v73, 29, v71
	;; [unrolled: 1-line block ×4, first 2 shown]
	v_add_co_u32 v70, s15, v70, -1
	s_wait_alu 0xf1ff
	v_cndmask_b32_e64 v75, 0, 1, s15
	v_not_b32_e32 v198, v72
	v_cmp_gt_i32_e64 s15, 0, v72
	v_not_b32_e32 v72, v73
	v_lshlrev_b32_e32 v77, 26, v71
	v_cmp_ne_u32_e32 vcc_lo, 0, v75
	v_ashrrev_i32_e32 v198, 31, v198
	v_lshlrev_b32_e32 v197, 25, v71
	v_ashrrev_i32_e32 v72, 31, v72
	v_lshlrev_b32_e32 v75, 24, v71
	s_wait_alu 0xfffd
	v_xor_b32_e32 v70, vcc_lo, v70
	v_cmp_gt_i32_e32 vcc_lo, 0, v73
	v_not_b32_e32 v73, v74
	s_wait_alu 0xf1ff
	v_xor_b32_e32 v198, s15, v198
	v_cmp_gt_i32_e64 s15, 0, v74
	v_and_b32_e32 v70, exec_lo, v70
	v_not_b32_e32 v74, v76
	v_ashrrev_i32_e32 v73, 31, v73
	s_wait_alu 0xfffd
	v_xor_b32_e32 v72, vcc_lo, v72
	v_cmp_gt_i32_e32 vcc_lo, 0, v76
	v_and_b32_e32 v70, v70, v198
	v_not_b32_e32 v76, v77
	v_ashrrev_i32_e32 v74, 31, v74
	s_wait_alu 0xf1ff
	v_xor_b32_e32 v73, s15, v73
	v_cmp_gt_i32_e64 s15, 0, v77
	v_and_b32_e32 v70, v70, v72
	v_not_b32_e32 v72, v197
	v_ashrrev_i32_e32 v76, 31, v76
	s_wait_alu 0xfffd
	v_xor_b32_e32 v74, vcc_lo, v74
	v_cmp_gt_i32_e32 vcc_lo, 0, v197
	v_and_b32_e32 v70, v70, v73
	v_not_b32_e32 v73, v75
	v_ashrrev_i32_e32 v72, 31, v72
	s_wait_alu 0xf1ff
	v_xor_b32_e32 v76, s15, v76
	v_cmp_gt_i32_e64 s15, 0, v75
	v_and_b32_e32 v70, v70, v74
	v_ashrrev_i32_e32 v73, 31, v73
	s_wait_alu 0xfffd
	v_xor_b32_e32 v72, vcc_lo, v72
	v_mad_u32_u24 v74, v71, 36, v147
	v_mul_u32_u24_e32 v71, 36, v71
	v_and_b32_e32 v70, v70, v76
	s_wait_alu 0xf1ff
	v_xor_b32_e32 v73, s15, v73
	ds_load_b32 v197, v74 offset:1056
	v_add_nc_u32_e32 v199, v147, v71
	v_and_b32_e32 v70, v70, v72
	; wave barrier
	s_delay_alu instid0(VALU_DEP_1) | instskip(NEXT) | instid1(VALU_DEP_1)
	v_and_b32_e32 v70, v70, v73
	v_mbcnt_lo_u32_b32 v198, v70, 0
	v_cmp_ne_u32_e64 s15, 0, v70
	s_delay_alu instid0(VALU_DEP_2)
	v_cmp_eq_u32_e32 vcc_lo, 0, v198
	s_and_b32 s16, s15, vcc_lo
	s_wait_alu 0xfffe
	s_and_saveexec_b32 s15, s16
	s_cbranch_execz .LBB1227_740
; %bb.739:                              ;   in Loop: Header=BB1227_682 Depth=2
	s_wait_dscnt 0x0
	v_bcnt_u32_b32 v70, v70, v197
	ds_store_b32 v199, v70 offset:1056
.LBB1227_740:                           ;   in Loop: Header=BB1227_682 Depth=2
	s_wait_alu 0xfffe
	s_or_b32 exec_lo, exec_lo, s15
	v_cmp_lt_i64_e32 vcc_lo, -1, v[56:57]
	v_ashrrev_i32_e32 v71, 31, v57
	; wave barrier
	s_delay_alu instid0(VALU_DEP_1) | instskip(SKIP_2) | instid1(VALU_DEP_1)
	v_xor_b32_e32 v56, v71, v56
	s_wait_alu 0xfffd
	v_cndmask_b32_e64 v70, -1, 0x80000000, vcc_lo
	v_xor_b32_e32 v57, v70, v57
	s_delay_alu instid0(VALU_DEP_1) | instskip(SKIP_3) | instid1(VALU_DEP_1)
	v_cmp_ne_u64_e32 vcc_lo, s[42:43], v[56:57]
	s_wait_alu 0xfffd
	v_cndmask_b32_e32 v71, 0x80000000, v57, vcc_lo
	v_cndmask_b32_e32 v70, 0, v56, vcc_lo
	v_lshrrev_b64 v[70:71], s31, v[70:71]
	s_delay_alu instid0(VALU_DEP_1) | instskip(NEXT) | instid1(VALU_DEP_1)
	v_and_b32_e32 v71, s56, v70
	v_and_b32_e32 v70, 1, v71
	v_lshlrev_b32_e32 v72, 30, v71
	v_lshlrev_b32_e32 v73, 29, v71
	;; [unrolled: 1-line block ×4, first 2 shown]
	v_add_co_u32 v70, s15, v70, -1
	s_wait_alu 0xf1ff
	v_cndmask_b32_e64 v75, 0, 1, s15
	v_not_b32_e32 v201, v72
	v_cmp_gt_i32_e64 s15, 0, v72
	v_not_b32_e32 v72, v73
	v_lshlrev_b32_e32 v77, 26, v71
	v_cmp_ne_u32_e32 vcc_lo, 0, v75
	v_ashrrev_i32_e32 v201, 31, v201
	v_lshlrev_b32_e32 v200, 25, v71
	v_ashrrev_i32_e32 v72, 31, v72
	v_lshlrev_b32_e32 v75, 24, v71
	s_wait_alu 0xfffd
	v_xor_b32_e32 v70, vcc_lo, v70
	v_cmp_gt_i32_e32 vcc_lo, 0, v73
	v_not_b32_e32 v73, v74
	s_wait_alu 0xf1ff
	v_xor_b32_e32 v201, s15, v201
	v_cmp_gt_i32_e64 s15, 0, v74
	v_and_b32_e32 v70, exec_lo, v70
	v_not_b32_e32 v74, v76
	v_ashrrev_i32_e32 v73, 31, v73
	s_wait_alu 0xfffd
	v_xor_b32_e32 v72, vcc_lo, v72
	v_cmp_gt_i32_e32 vcc_lo, 0, v76
	v_and_b32_e32 v70, v70, v201
	v_not_b32_e32 v76, v77
	v_ashrrev_i32_e32 v74, 31, v74
	s_wait_alu 0xf1ff
	v_xor_b32_e32 v73, s15, v73
	v_cmp_gt_i32_e64 s15, 0, v77
	v_and_b32_e32 v70, v70, v72
	v_not_b32_e32 v72, v200
	v_ashrrev_i32_e32 v76, 31, v76
	s_wait_alu 0xfffd
	v_xor_b32_e32 v74, vcc_lo, v74
	v_cmp_gt_i32_e32 vcc_lo, 0, v200
	v_and_b32_e32 v70, v70, v73
	v_not_b32_e32 v73, v75
	v_ashrrev_i32_e32 v72, 31, v72
	s_wait_alu 0xf1ff
	v_xor_b32_e32 v76, s15, v76
	v_cmp_gt_i32_e64 s15, 0, v75
	v_and_b32_e32 v70, v70, v74
	v_ashrrev_i32_e32 v73, 31, v73
	s_wait_alu 0xfffd
	v_xor_b32_e32 v72, vcc_lo, v72
	v_mad_u32_u24 v74, v71, 36, v147
	v_mul_u32_u24_e32 v71, 36, v71
	v_and_b32_e32 v70, v70, v76
	s_wait_alu 0xf1ff
	v_xor_b32_e32 v73, s15, v73
	ds_load_b32 v200, v74 offset:1056
	v_add_nc_u32_e32 v202, v147, v71
	v_and_b32_e32 v70, v70, v72
	; wave barrier
	s_delay_alu instid0(VALU_DEP_1) | instskip(NEXT) | instid1(VALU_DEP_1)
	v_and_b32_e32 v70, v70, v73
	v_mbcnt_lo_u32_b32 v201, v70, 0
	v_cmp_ne_u32_e64 s15, 0, v70
	s_delay_alu instid0(VALU_DEP_2)
	v_cmp_eq_u32_e32 vcc_lo, 0, v201
	s_and_b32 s16, s15, vcc_lo
	s_wait_alu 0xfffe
	s_and_saveexec_b32 s15, s16
	s_cbranch_execz .LBB1227_742
; %bb.741:                              ;   in Loop: Header=BB1227_682 Depth=2
	s_wait_dscnt 0x0
	v_bcnt_u32_b32 v70, v70, v200
	ds_store_b32 v202, v70 offset:1056
.LBB1227_742:                           ;   in Loop: Header=BB1227_682 Depth=2
	s_wait_alu 0xfffe
	s_or_b32 exec_lo, exec_lo, s15
	v_cmp_lt_i64_e32 vcc_lo, -1, v[52:53]
	v_ashrrev_i32_e32 v71, 31, v53
	; wave barrier
	s_delay_alu instid0(VALU_DEP_1) | instskip(SKIP_2) | instid1(VALU_DEP_1)
	v_xor_b32_e32 v52, v71, v52
	s_wait_alu 0xfffd
	v_cndmask_b32_e64 v70, -1, 0x80000000, vcc_lo
	v_xor_b32_e32 v53, v70, v53
	s_delay_alu instid0(VALU_DEP_1) | instskip(SKIP_3) | instid1(VALU_DEP_1)
	v_cmp_ne_u64_e32 vcc_lo, s[42:43], v[52:53]
	s_wait_alu 0xfffd
	v_cndmask_b32_e32 v71, 0x80000000, v53, vcc_lo
	v_cndmask_b32_e32 v70, 0, v52, vcc_lo
	v_lshrrev_b64 v[70:71], s31, v[70:71]
	s_delay_alu instid0(VALU_DEP_1) | instskip(NEXT) | instid1(VALU_DEP_1)
	v_and_b32_e32 v71, s56, v70
	v_and_b32_e32 v70, 1, v71
	v_lshlrev_b32_e32 v72, 30, v71
	v_lshlrev_b32_e32 v73, 29, v71
	v_lshlrev_b32_e32 v74, 28, v71
	v_lshlrev_b32_e32 v76, 27, v71
	v_add_co_u32 v70, s15, v70, -1
	s_wait_alu 0xf1ff
	v_cndmask_b32_e64 v75, 0, 1, s15
	v_not_b32_e32 v204, v72
	v_cmp_gt_i32_e64 s15, 0, v72
	v_not_b32_e32 v72, v73
	v_lshlrev_b32_e32 v77, 26, v71
	v_cmp_ne_u32_e32 vcc_lo, 0, v75
	v_ashrrev_i32_e32 v204, 31, v204
	v_lshlrev_b32_e32 v203, 25, v71
	v_ashrrev_i32_e32 v72, 31, v72
	v_lshlrev_b32_e32 v75, 24, v71
	s_wait_alu 0xfffd
	v_xor_b32_e32 v70, vcc_lo, v70
	v_cmp_gt_i32_e32 vcc_lo, 0, v73
	v_not_b32_e32 v73, v74
	s_wait_alu 0xf1ff
	v_xor_b32_e32 v204, s15, v204
	v_cmp_gt_i32_e64 s15, 0, v74
	v_and_b32_e32 v70, exec_lo, v70
	v_not_b32_e32 v74, v76
	v_ashrrev_i32_e32 v73, 31, v73
	s_wait_alu 0xfffd
	v_xor_b32_e32 v72, vcc_lo, v72
	v_cmp_gt_i32_e32 vcc_lo, 0, v76
	v_and_b32_e32 v70, v70, v204
	v_not_b32_e32 v76, v77
	v_ashrrev_i32_e32 v74, 31, v74
	s_wait_alu 0xf1ff
	v_xor_b32_e32 v73, s15, v73
	v_cmp_gt_i32_e64 s15, 0, v77
	v_and_b32_e32 v70, v70, v72
	v_not_b32_e32 v72, v203
	v_ashrrev_i32_e32 v76, 31, v76
	s_wait_alu 0xfffd
	v_xor_b32_e32 v74, vcc_lo, v74
	v_cmp_gt_i32_e32 vcc_lo, 0, v203
	v_and_b32_e32 v70, v70, v73
	v_not_b32_e32 v73, v75
	v_ashrrev_i32_e32 v72, 31, v72
	s_wait_alu 0xf1ff
	v_xor_b32_e32 v76, s15, v76
	v_cmp_gt_i32_e64 s15, 0, v75
	v_and_b32_e32 v70, v70, v74
	v_ashrrev_i32_e32 v73, 31, v73
	s_wait_alu 0xfffd
	v_xor_b32_e32 v72, vcc_lo, v72
	v_mad_u32_u24 v74, v71, 36, v147
	v_mul_u32_u24_e32 v71, 36, v71
	v_and_b32_e32 v70, v70, v76
	s_wait_alu 0xf1ff
	v_xor_b32_e32 v73, s15, v73
	ds_load_b32 v203, v74 offset:1056
	v_add_nc_u32_e32 v205, v147, v71
	v_and_b32_e32 v70, v70, v72
	; wave barrier
	s_delay_alu instid0(VALU_DEP_1) | instskip(NEXT) | instid1(VALU_DEP_1)
	v_and_b32_e32 v70, v70, v73
	v_mbcnt_lo_u32_b32 v204, v70, 0
	v_cmp_ne_u32_e64 s15, 0, v70
	s_delay_alu instid0(VALU_DEP_2)
	v_cmp_eq_u32_e32 vcc_lo, 0, v204
	s_and_b32 s16, s15, vcc_lo
	s_wait_alu 0xfffe
	s_and_saveexec_b32 s15, s16
	s_cbranch_execz .LBB1227_744
; %bb.743:                              ;   in Loop: Header=BB1227_682 Depth=2
	s_wait_dscnt 0x0
	v_bcnt_u32_b32 v70, v70, v203
	ds_store_b32 v205, v70 offset:1056
.LBB1227_744:                           ;   in Loop: Header=BB1227_682 Depth=2
	s_wait_alu 0xfffe
	s_or_b32 exec_lo, exec_lo, s15
	v_cmp_lt_i64_e32 vcc_lo, -1, v[50:51]
	v_ashrrev_i32_e32 v71, 31, v51
	; wave barrier
	s_delay_alu instid0(VALU_DEP_1) | instskip(SKIP_2) | instid1(VALU_DEP_1)
	v_xor_b32_e32 v50, v71, v50
	s_wait_alu 0xfffd
	v_cndmask_b32_e64 v70, -1, 0x80000000, vcc_lo
	v_xor_b32_e32 v51, v70, v51
	s_delay_alu instid0(VALU_DEP_1) | instskip(SKIP_3) | instid1(VALU_DEP_1)
	v_cmp_ne_u64_e32 vcc_lo, s[42:43], v[50:51]
	s_wait_alu 0xfffd
	v_cndmask_b32_e32 v71, 0x80000000, v51, vcc_lo
	v_cndmask_b32_e32 v70, 0, v50, vcc_lo
	v_lshrrev_b64 v[70:71], s31, v[70:71]
	s_delay_alu instid0(VALU_DEP_1) | instskip(NEXT) | instid1(VALU_DEP_1)
	v_and_b32_e32 v71, s56, v70
	v_and_b32_e32 v70, 1, v71
	v_lshlrev_b32_e32 v72, 30, v71
	v_lshlrev_b32_e32 v73, 29, v71
	;; [unrolled: 1-line block ×4, first 2 shown]
	v_add_co_u32 v70, s15, v70, -1
	s_wait_alu 0xf1ff
	v_cndmask_b32_e64 v75, 0, 1, s15
	v_not_b32_e32 v207, v72
	v_cmp_gt_i32_e64 s15, 0, v72
	v_not_b32_e32 v72, v73
	v_lshlrev_b32_e32 v77, 26, v71
	v_cmp_ne_u32_e32 vcc_lo, 0, v75
	v_ashrrev_i32_e32 v207, 31, v207
	v_lshlrev_b32_e32 v206, 25, v71
	v_ashrrev_i32_e32 v72, 31, v72
	v_lshlrev_b32_e32 v75, 24, v71
	s_wait_alu 0xfffd
	v_xor_b32_e32 v70, vcc_lo, v70
	v_cmp_gt_i32_e32 vcc_lo, 0, v73
	v_not_b32_e32 v73, v74
	s_wait_alu 0xf1ff
	v_xor_b32_e32 v207, s15, v207
	v_cmp_gt_i32_e64 s15, 0, v74
	v_and_b32_e32 v70, exec_lo, v70
	v_not_b32_e32 v74, v76
	v_ashrrev_i32_e32 v73, 31, v73
	s_wait_alu 0xfffd
	v_xor_b32_e32 v72, vcc_lo, v72
	v_cmp_gt_i32_e32 vcc_lo, 0, v76
	v_and_b32_e32 v70, v70, v207
	v_not_b32_e32 v76, v77
	v_ashrrev_i32_e32 v74, 31, v74
	s_wait_alu 0xf1ff
	v_xor_b32_e32 v73, s15, v73
	v_cmp_gt_i32_e64 s15, 0, v77
	v_and_b32_e32 v70, v70, v72
	v_not_b32_e32 v72, v206
	v_ashrrev_i32_e32 v76, 31, v76
	s_wait_alu 0xfffd
	v_xor_b32_e32 v74, vcc_lo, v74
	v_cmp_gt_i32_e32 vcc_lo, 0, v206
	v_and_b32_e32 v70, v70, v73
	v_not_b32_e32 v73, v75
	v_ashrrev_i32_e32 v72, 31, v72
	s_wait_alu 0xf1ff
	v_xor_b32_e32 v76, s15, v76
	v_cmp_gt_i32_e64 s15, 0, v75
	v_and_b32_e32 v70, v70, v74
	v_ashrrev_i32_e32 v73, 31, v73
	s_wait_alu 0xfffd
	v_xor_b32_e32 v72, vcc_lo, v72
	v_mad_u32_u24 v74, v71, 36, v147
	v_mul_u32_u24_e32 v71, 36, v71
	v_and_b32_e32 v70, v70, v76
	s_wait_alu 0xf1ff
	v_xor_b32_e32 v73, s15, v73
	ds_load_b32 v206, v74 offset:1056
	v_add_nc_u32_e32 v208, v147, v71
	v_and_b32_e32 v70, v70, v72
	; wave barrier
	s_delay_alu instid0(VALU_DEP_1) | instskip(NEXT) | instid1(VALU_DEP_1)
	v_and_b32_e32 v70, v70, v73
	v_mbcnt_lo_u32_b32 v207, v70, 0
	v_cmp_ne_u32_e64 s15, 0, v70
	s_delay_alu instid0(VALU_DEP_2)
	v_cmp_eq_u32_e32 vcc_lo, 0, v207
	s_and_b32 s16, s15, vcc_lo
	s_wait_alu 0xfffe
	s_and_saveexec_b32 s15, s16
	s_cbranch_execz .LBB1227_746
; %bb.745:                              ;   in Loop: Header=BB1227_682 Depth=2
	s_wait_dscnt 0x0
	v_bcnt_u32_b32 v70, v70, v206
	ds_store_b32 v208, v70 offset:1056
.LBB1227_746:                           ;   in Loop: Header=BB1227_682 Depth=2
	s_wait_alu 0xfffe
	s_or_b32 exec_lo, exec_lo, s15
	v_cmp_lt_i64_e32 vcc_lo, -1, v[46:47]
	v_ashrrev_i32_e32 v71, 31, v47
	; wave barrier
	s_delay_alu instid0(VALU_DEP_1) | instskip(SKIP_2) | instid1(VALU_DEP_1)
	v_xor_b32_e32 v46, v71, v46
	s_wait_alu 0xfffd
	v_cndmask_b32_e64 v70, -1, 0x80000000, vcc_lo
	v_xor_b32_e32 v47, v70, v47
	s_delay_alu instid0(VALU_DEP_1) | instskip(SKIP_3) | instid1(VALU_DEP_1)
	v_cmp_ne_u64_e32 vcc_lo, s[42:43], v[46:47]
	s_wait_alu 0xfffd
	v_cndmask_b32_e32 v71, 0x80000000, v47, vcc_lo
	v_cndmask_b32_e32 v70, 0, v46, vcc_lo
	v_lshrrev_b64 v[70:71], s31, v[70:71]
	s_delay_alu instid0(VALU_DEP_1) | instskip(NEXT) | instid1(VALU_DEP_1)
	v_and_b32_e32 v71, s56, v70
	v_and_b32_e32 v70, 1, v71
	v_lshlrev_b32_e32 v72, 30, v71
	v_lshlrev_b32_e32 v73, 29, v71
	;; [unrolled: 1-line block ×4, first 2 shown]
	v_add_co_u32 v70, s15, v70, -1
	s_wait_alu 0xf1ff
	v_cndmask_b32_e64 v75, 0, 1, s15
	v_not_b32_e32 v210, v72
	v_cmp_gt_i32_e64 s15, 0, v72
	v_not_b32_e32 v72, v73
	v_lshlrev_b32_e32 v77, 26, v71
	v_cmp_ne_u32_e32 vcc_lo, 0, v75
	v_ashrrev_i32_e32 v210, 31, v210
	v_lshlrev_b32_e32 v209, 25, v71
	v_ashrrev_i32_e32 v72, 31, v72
	v_lshlrev_b32_e32 v75, 24, v71
	s_wait_alu 0xfffd
	v_xor_b32_e32 v70, vcc_lo, v70
	v_cmp_gt_i32_e32 vcc_lo, 0, v73
	v_not_b32_e32 v73, v74
	s_wait_alu 0xf1ff
	v_xor_b32_e32 v210, s15, v210
	v_cmp_gt_i32_e64 s15, 0, v74
	v_and_b32_e32 v70, exec_lo, v70
	v_not_b32_e32 v74, v76
	v_ashrrev_i32_e32 v73, 31, v73
	s_wait_alu 0xfffd
	v_xor_b32_e32 v72, vcc_lo, v72
	v_cmp_gt_i32_e32 vcc_lo, 0, v76
	v_and_b32_e32 v70, v70, v210
	v_not_b32_e32 v76, v77
	v_ashrrev_i32_e32 v74, 31, v74
	s_wait_alu 0xf1ff
	v_xor_b32_e32 v73, s15, v73
	v_cmp_gt_i32_e64 s15, 0, v77
	v_and_b32_e32 v70, v70, v72
	v_not_b32_e32 v72, v209
	v_ashrrev_i32_e32 v76, 31, v76
	s_wait_alu 0xfffd
	v_xor_b32_e32 v74, vcc_lo, v74
	v_cmp_gt_i32_e32 vcc_lo, 0, v209
	v_and_b32_e32 v70, v70, v73
	v_not_b32_e32 v73, v75
	v_ashrrev_i32_e32 v72, 31, v72
	s_wait_alu 0xf1ff
	v_xor_b32_e32 v76, s15, v76
	v_cmp_gt_i32_e64 s15, 0, v75
	v_and_b32_e32 v70, v70, v74
	v_ashrrev_i32_e32 v73, 31, v73
	s_wait_alu 0xfffd
	v_xor_b32_e32 v72, vcc_lo, v72
	v_mad_u32_u24 v74, v71, 36, v147
	v_mul_u32_u24_e32 v71, 36, v71
	v_and_b32_e32 v70, v70, v76
	s_wait_alu 0xf1ff
	v_xor_b32_e32 v73, s15, v73
	ds_load_b32 v209, v74 offset:1056
	v_add_nc_u32_e32 v212, v147, v71
	v_and_b32_e32 v70, v70, v72
	; wave barrier
	s_delay_alu instid0(VALU_DEP_1) | instskip(NEXT) | instid1(VALU_DEP_1)
	v_and_b32_e32 v70, v70, v73
	v_mbcnt_lo_u32_b32 v210, v70, 0
	v_cmp_ne_u32_e64 s15, 0, v70
	s_delay_alu instid0(VALU_DEP_2)
	v_cmp_eq_u32_e32 vcc_lo, 0, v210
	s_and_b32 s16, s15, vcc_lo
	s_wait_alu 0xfffe
	s_and_saveexec_b32 s15, s16
	s_cbranch_execz .LBB1227_748
; %bb.747:                              ;   in Loop: Header=BB1227_682 Depth=2
	s_wait_dscnt 0x0
	v_bcnt_u32_b32 v70, v70, v209
	ds_store_b32 v212, v70 offset:1056
.LBB1227_748:                           ;   in Loop: Header=BB1227_682 Depth=2
	s_wait_alu 0xfffe
	s_or_b32 exec_lo, exec_lo, s15
	v_cmp_lt_i64_e32 vcc_lo, -1, v[44:45]
	v_ashrrev_i32_e32 v71, 31, v45
	; wave barrier
	s_delay_alu instid0(VALU_DEP_1) | instskip(SKIP_2) | instid1(VALU_DEP_1)
	v_xor_b32_e32 v44, v71, v44
	s_wait_alu 0xfffd
	v_cndmask_b32_e64 v70, -1, 0x80000000, vcc_lo
	v_xor_b32_e32 v45, v70, v45
	s_delay_alu instid0(VALU_DEP_1) | instskip(SKIP_3) | instid1(VALU_DEP_1)
	v_cmp_ne_u64_e32 vcc_lo, s[42:43], v[44:45]
	s_wait_alu 0xfffd
	v_cndmask_b32_e32 v71, 0x80000000, v45, vcc_lo
	v_cndmask_b32_e32 v70, 0, v44, vcc_lo
	v_lshrrev_b64 v[70:71], s31, v[70:71]
	s_delay_alu instid0(VALU_DEP_1) | instskip(NEXT) | instid1(VALU_DEP_1)
	v_and_b32_e32 v71, s56, v70
	v_and_b32_e32 v70, 1, v71
	v_lshlrev_b32_e32 v72, 30, v71
	v_lshlrev_b32_e32 v73, 29, v71
	;; [unrolled: 1-line block ×4, first 2 shown]
	v_add_co_u32 v70, s15, v70, -1
	s_wait_alu 0xf1ff
	v_cndmask_b32_e64 v75, 0, 1, s15
	v_not_b32_e32 v213, v72
	v_cmp_gt_i32_e64 s15, 0, v72
	v_not_b32_e32 v72, v73
	v_lshlrev_b32_e32 v77, 26, v71
	v_cmp_ne_u32_e32 vcc_lo, 0, v75
	v_ashrrev_i32_e32 v213, 31, v213
	v_lshlrev_b32_e32 v211, 25, v71
	v_ashrrev_i32_e32 v72, 31, v72
	v_lshlrev_b32_e32 v75, 24, v71
	s_wait_alu 0xfffd
	v_xor_b32_e32 v70, vcc_lo, v70
	v_cmp_gt_i32_e32 vcc_lo, 0, v73
	v_not_b32_e32 v73, v74
	s_wait_alu 0xf1ff
	v_xor_b32_e32 v213, s15, v213
	v_cmp_gt_i32_e64 s15, 0, v74
	v_and_b32_e32 v70, exec_lo, v70
	v_not_b32_e32 v74, v76
	v_ashrrev_i32_e32 v73, 31, v73
	s_wait_alu 0xfffd
	v_xor_b32_e32 v72, vcc_lo, v72
	v_cmp_gt_i32_e32 vcc_lo, 0, v76
	v_and_b32_e32 v70, v70, v213
	v_not_b32_e32 v76, v77
	v_ashrrev_i32_e32 v74, 31, v74
	s_wait_alu 0xf1ff
	v_xor_b32_e32 v73, s15, v73
	v_cmp_gt_i32_e64 s15, 0, v77
	v_and_b32_e32 v70, v70, v72
	v_not_b32_e32 v72, v211
	v_ashrrev_i32_e32 v76, 31, v76
	s_wait_alu 0xfffd
	v_xor_b32_e32 v74, vcc_lo, v74
	v_cmp_gt_i32_e32 vcc_lo, 0, v211
	v_and_b32_e32 v70, v70, v73
	v_not_b32_e32 v73, v75
	v_ashrrev_i32_e32 v72, 31, v72
	s_wait_alu 0xf1ff
	v_xor_b32_e32 v76, s15, v76
	v_cmp_gt_i32_e64 s15, 0, v75
	v_and_b32_e32 v70, v70, v74
	v_ashrrev_i32_e32 v73, 31, v73
	s_wait_alu 0xfffd
	v_xor_b32_e32 v72, vcc_lo, v72
	v_mad_u32_u24 v74, v71, 36, v147
	v_mul_u32_u24_e32 v71, 36, v71
	v_and_b32_e32 v70, v70, v76
	s_wait_alu 0xf1ff
	v_xor_b32_e32 v73, s15, v73
	ds_load_b32 v211, v74 offset:1056
	v_add_nc_u32_e32 v214, v147, v71
	v_and_b32_e32 v70, v70, v72
	; wave barrier
	s_delay_alu instid0(VALU_DEP_1) | instskip(NEXT) | instid1(VALU_DEP_1)
	v_and_b32_e32 v70, v70, v73
	v_mbcnt_lo_u32_b32 v213, v70, 0
	v_cmp_ne_u32_e64 s15, 0, v70
	s_delay_alu instid0(VALU_DEP_2)
	v_cmp_eq_u32_e32 vcc_lo, 0, v213
	s_and_b32 s16, s15, vcc_lo
	s_wait_alu 0xfffe
	s_and_saveexec_b32 s15, s16
	s_cbranch_execz .LBB1227_750
; %bb.749:                              ;   in Loop: Header=BB1227_682 Depth=2
	s_wait_dscnt 0x0
	v_bcnt_u32_b32 v70, v70, v211
	ds_store_b32 v214, v70 offset:1056
.LBB1227_750:                           ;   in Loop: Header=BB1227_682 Depth=2
	s_wait_alu 0xfffe
	s_or_b32 exec_lo, exec_lo, s15
	; wave barrier
	s_wait_loadcnt_dscnt 0x0
	s_barrier_signal -1
	s_barrier_wait -1
	global_inv scope:SCOPE_SE
	ds_load_2addr_b32 v[76:77], v166 offset1:1
	ds_load_2addr_b32 v[74:75], v167 offset1:1
	;; [unrolled: 1-line block ×4, first 2 shown]
	ds_load_b32 v215, v103 offset:1088
	s_wait_dscnt 0x3
	v_add3_u32 v216, v77, v76, v74
	s_wait_dscnt 0x2
	s_delay_alu instid0(VALU_DEP_1) | instskip(SKIP_1) | instid1(VALU_DEP_1)
	v_add3_u32 v216, v216, v75, v72
	s_wait_dscnt 0x1
	v_add3_u32 v216, v216, v73, v70
	s_wait_dscnt 0x0
	s_delay_alu instid0(VALU_DEP_1) | instskip(NEXT) | instid1(VALU_DEP_1)
	v_add3_u32 v215, v216, v71, v215
	v_mov_b32_dpp v216, v215 row_shr:1 row_mask:0xf bank_mask:0xf
	s_delay_alu instid0(VALU_DEP_1) | instskip(NEXT) | instid1(VALU_DEP_1)
	v_cndmask_b32_e64 v216, v216, 0, s6
	v_add_nc_u32_e32 v215, v216, v215
	s_delay_alu instid0(VALU_DEP_1) | instskip(NEXT) | instid1(VALU_DEP_1)
	v_mov_b32_dpp v216, v215 row_shr:2 row_mask:0xf bank_mask:0xf
	v_cndmask_b32_e64 v216, 0, v216, s7
	s_delay_alu instid0(VALU_DEP_1) | instskip(NEXT) | instid1(VALU_DEP_1)
	v_add_nc_u32_e32 v215, v215, v216
	v_mov_b32_dpp v216, v215 row_shr:4 row_mask:0xf bank_mask:0xf
	s_delay_alu instid0(VALU_DEP_1) | instskip(NEXT) | instid1(VALU_DEP_1)
	v_cndmask_b32_e64 v216, 0, v216, s8
	v_add_nc_u32_e32 v215, v215, v216
	s_delay_alu instid0(VALU_DEP_1) | instskip(NEXT) | instid1(VALU_DEP_1)
	v_mov_b32_dpp v216, v215 row_shr:8 row_mask:0xf bank_mask:0xf
	v_cndmask_b32_e64 v216, 0, v216, s9
	s_delay_alu instid0(VALU_DEP_1) | instskip(SKIP_3) | instid1(VALU_DEP_1)
	v_add_nc_u32_e32 v215, v215, v216
	ds_swizzle_b32 v216, v215 offset:swizzle(BROADCAST,32,15)
	s_wait_dscnt 0x0
	v_cndmask_b32_e64 v216, v216, 0, s10
	v_add_nc_u32_e32 v215, v215, v216
	s_and_saveexec_b32 s15, s3
; %bb.751:                              ;   in Loop: Header=BB1227_682 Depth=2
	ds_store_b32 v97, v215 offset:1024
; %bb.752:                              ;   in Loop: Header=BB1227_682 Depth=2
	s_wait_alu 0xfffe
	s_or_b32 exec_lo, exec_lo, s15
	s_wait_loadcnt_dscnt 0x0
	s_barrier_signal -1
	s_barrier_wait -1
	global_inv scope:SCOPE_SE
	s_and_saveexec_b32 s15, s4
	s_cbranch_execz .LBB1227_754
; %bb.753:                              ;   in Loop: Header=BB1227_682 Depth=2
	ds_load_b32 v216, v105 offset:1024
	s_wait_dscnt 0x0
	v_mov_b32_dpp v217, v216 row_shr:1 row_mask:0xf bank_mask:0xf
	s_delay_alu instid0(VALU_DEP_1) | instskip(NEXT) | instid1(VALU_DEP_1)
	v_cndmask_b32_e64 v217, v217, 0, s12
	v_add_nc_u32_e32 v216, v217, v216
	s_delay_alu instid0(VALU_DEP_1) | instskip(NEXT) | instid1(VALU_DEP_1)
	v_mov_b32_dpp v217, v216 row_shr:2 row_mask:0xf bank_mask:0xf
	v_cndmask_b32_e64 v217, 0, v217, s13
	s_delay_alu instid0(VALU_DEP_1) | instskip(NEXT) | instid1(VALU_DEP_1)
	v_add_nc_u32_e32 v216, v216, v217
	v_mov_b32_dpp v217, v216 row_shr:4 row_mask:0xf bank_mask:0xf
	s_delay_alu instid0(VALU_DEP_1) | instskip(NEXT) | instid1(VALU_DEP_1)
	v_cndmask_b32_e64 v217, 0, v217, s14
	v_add_nc_u32_e32 v216, v216, v217
	ds_store_b32 v105, v216 offset:1024
.LBB1227_754:                           ;   in Loop: Header=BB1227_682 Depth=2
	s_wait_alu 0xfffe
	s_or_b32 exec_lo, exec_lo, s15
	v_mov_b32_e32 v216, 0
	s_wait_loadcnt_dscnt 0x0
	s_barrier_signal -1
	s_barrier_wait -1
	global_inv scope:SCOPE_SE
	s_and_saveexec_b32 s15, s5
; %bb.755:                              ;   in Loop: Header=BB1227_682 Depth=2
	ds_load_b32 v216, v97 offset:1020
; %bb.756:                              ;   in Loop: Header=BB1227_682 Depth=2
	s_wait_alu 0xfffe
	s_or_b32 exec_lo, exec_lo, s15
	s_wait_dscnt 0x0
	v_add_nc_u32_e32 v215, v216, v215
	ds_bpermute_b32 v215, v126, v215
	s_wait_dscnt 0x0
	v_cndmask_b32_e64 v215, v215, v216, s11
	s_delay_alu instid0(VALU_DEP_1) | instskip(NEXT) | instid1(VALU_DEP_1)
	v_cndmask_b32_e64 v215, v215, 0, s0
	v_add_nc_u32_e32 v76, v215, v76
	s_delay_alu instid0(VALU_DEP_1) | instskip(NEXT) | instid1(VALU_DEP_1)
	v_add_nc_u32_e32 v77, v76, v77
	v_add_nc_u32_e32 v74, v77, v74
	s_delay_alu instid0(VALU_DEP_1) | instskip(NEXT) | instid1(VALU_DEP_1)
	v_add_nc_u32_e32 v75, v74, v75
	;; [unrolled: 3-line block ×3, first 2 shown]
	v_add_nc_u32_e32 v70, v73, v70
	s_delay_alu instid0(VALU_DEP_1)
	v_add_nc_u32_e32 v71, v70, v71
	ds_store_2addr_b32 v165, v73, v70 offset1:1
	ds_store_2addr_b32 v166, v215, v76 offset1:1
	;; [unrolled: 1-line block ×4, first 2 shown]
	ds_store_b32 v103, v71 offset:1088
	s_wait_loadcnt_dscnt 0x0
	s_barrier_signal -1
	s_barrier_wait -1
	global_inv scope:SCOPE_SE
	ds_load_b32 v71, v169 offset:1056
	ds_load_b32 v76, v172 offset:1056
	;; [unrolled: 1-line block ×17, first 2 shown]
	v_mov_b32_e32 v70, 0x1000
	s_and_saveexec_b32 s15, s1
; %bb.757:                              ;   in Loop: Header=BB1227_682 Depth=2
	ds_load_b32 v70, v103 offset:1092
; %bb.758:                              ;   in Loop: Header=BB1227_682 Depth=2
	s_wait_alu 0xfffe
	s_or_b32 exec_lo, exec_lo, s15
	s_wait_loadcnt_dscnt 0x0
	s_barrier_signal -1
	s_barrier_wait -1
	global_inv scope:SCOPE_SE
	s_and_saveexec_b32 s15, s2
	s_cbranch_execz .LBB1227_760
; %bb.759:                              ;   in Loop: Header=BB1227_682 Depth=2
	ds_load_b32 v187, v78
	s_wait_dscnt 0x0
	v_sub_nc_u32_e32 v184, v187, v184
	ds_store_b32 v78, v184
.LBB1227_760:                           ;   in Loop: Header=BB1227_682 Depth=2
	s_wait_alu 0xfffe
	s_or_b32 exec_lo, exec_lo, s15
	v_lshlrev_b32_e32 v2, 3, v2
	v_lshlrev_b32_e32 v171, 3, v171
	;; [unrolled: 1-line block ×5, first 2 shown]
	v_lshl_add_u32 v71, v71, 3, v2
	v_lshlrev_b32_e32 v2, 3, v173
	v_lshlrev_b32_e32 v75, 3, v75
	;; [unrolled: 1-line block ×4, first 2 shown]
	ds_store_b64 v71, v[38:39] offset:1024
	v_lshlrev_b32_e32 v38, 3, v74
	v_lshlrev_b32_e32 v39, 3, v180
	;; [unrolled: 1-line block ×7, first 2 shown]
	v_add3_u32 v72, v171, v170, v76
	v_add3_u32 v73, v174, v2, v75
	;; [unrolled: 1-line block ×5, first 2 shown]
	v_lshlrev_b32_e32 v2, 3, v186
	v_lshlrev_b32_e32 v38, 3, v185
	;; [unrolled: 1-line block ×3, first 2 shown]
	ds_store_b64 v72, v[40:41] offset:1024
	ds_store_b64 v73, v[42:43] offset:1024
	;; [unrolled: 1-line block ×5, first 2 shown]
	v_lshlrev_b32_e32 v41, 3, v189
	v_lshlrev_b32_e32 v42, 3, v188
	;; [unrolled: 1-line block ×12, first 2 shown]
	v_add3_u32 v40, v2, v38, v39
	v_add3_u32 v41, v41, v42, v43
	;; [unrolled: 1-line block ×5, first 2 shown]
	ds_store_b64 v40, v[62:63] offset:1024
	ds_store_b64 v41, v[66:67] offset:1024
	;; [unrolled: 1-line block ×5, first 2 shown]
	v_lshlrev_b32_e32 v2, 3, v201
	v_lshlrev_b32_e32 v38, 3, v200
	;; [unrolled: 1-line block ×15, first 2 shown]
	v_add3_u32 v49, v2, v38, v39
	v_add3_u32 v54, v54, v55, v58
	;; [unrolled: 1-line block ×5, first 2 shown]
	v_cmp_lt_u32_e32 vcc_lo, v1, v164
	ds_store_b64 v49, v[56:57] offset:1024
	ds_store_b64 v54, v[52:53] offset:1024
	;; [unrolled: 1-line block ×5, first 2 shown]
	s_wait_loadcnt_dscnt 0x0
	s_barrier_signal -1
	s_barrier_wait -1
	global_inv scope:SCOPE_SE
	s_and_saveexec_b32 s16, vcc_lo
	s_cbranch_execnz .LBB1227_829
; %bb.761:                              ;   in Loop: Header=BB1227_682 Depth=2
	s_wait_alu 0xfffe
	s_or_b32 exec_lo, exec_lo, s16
	v_cmp_lt_u32_e64 s15, v79, v164
	s_and_saveexec_b32 s17, s15
	s_cbranch_execnz .LBB1227_830
.LBB1227_762:                           ;   in Loop: Header=BB1227_682 Depth=2
	s_wait_alu 0xfffe
	s_or_b32 exec_lo, exec_lo, s17
	v_cmp_lt_u32_e64 s16, v80, v164
	s_and_saveexec_b32 s18, s16
	s_cbranch_execnz .LBB1227_831
.LBB1227_763:                           ;   in Loop: Header=BB1227_682 Depth=2
	s_wait_alu 0xfffe
	s_or_b32 exec_lo, exec_lo, s18
	v_cmp_lt_u32_e64 s17, v81, v164
	s_and_saveexec_b32 s19, s17
	s_cbranch_execnz .LBB1227_832
.LBB1227_764:                           ;   in Loop: Header=BB1227_682 Depth=2
	s_wait_alu 0xfffe
	s_or_b32 exec_lo, exec_lo, s19
	v_cmp_lt_u32_e64 s18, v84, v164
	s_and_saveexec_b32 s20, s18
	s_cbranch_execnz .LBB1227_833
.LBB1227_765:                           ;   in Loop: Header=BB1227_682 Depth=2
	s_wait_alu 0xfffe
	s_or_b32 exec_lo, exec_lo, s20
	v_cmp_lt_u32_e64 s19, v85, v164
	s_and_saveexec_b32 s21, s19
	s_cbranch_execnz .LBB1227_834
.LBB1227_766:                           ;   in Loop: Header=BB1227_682 Depth=2
	s_wait_alu 0xfffe
	s_or_b32 exec_lo, exec_lo, s21
	v_cmp_lt_u32_e64 s20, v86, v164
	s_and_saveexec_b32 s22, s20
	s_cbranch_execnz .LBB1227_835
.LBB1227_767:                           ;   in Loop: Header=BB1227_682 Depth=2
	s_wait_alu 0xfffe
	s_or_b32 exec_lo, exec_lo, s22
	v_cmp_lt_u32_e64 s21, v87, v164
	s_and_saveexec_b32 s23, s21
	s_cbranch_execnz .LBB1227_836
.LBB1227_768:                           ;   in Loop: Header=BB1227_682 Depth=2
	s_wait_alu 0xfffe
	s_or_b32 exec_lo, exec_lo, s23
	v_cmp_lt_u32_e64 s22, v88, v164
	s_and_saveexec_b32 s24, s22
	s_cbranch_execnz .LBB1227_837
.LBB1227_769:                           ;   in Loop: Header=BB1227_682 Depth=2
	s_wait_alu 0xfffe
	s_or_b32 exec_lo, exec_lo, s24
	v_cmp_lt_u32_e64 s23, v89, v164
	s_and_saveexec_b32 s25, s23
	s_cbranch_execnz .LBB1227_838
.LBB1227_770:                           ;   in Loop: Header=BB1227_682 Depth=2
	s_wait_alu 0xfffe
	s_or_b32 exec_lo, exec_lo, s25
	v_cmp_lt_u32_e64 s24, v90, v164
	s_and_saveexec_b32 s26, s24
	s_cbranch_execnz .LBB1227_839
.LBB1227_771:                           ;   in Loop: Header=BB1227_682 Depth=2
	s_wait_alu 0xfffe
	s_or_b32 exec_lo, exec_lo, s26
	v_cmp_lt_u32_e64 s25, v91, v164
	s_and_saveexec_b32 s27, s25
	s_cbranch_execnz .LBB1227_840
.LBB1227_772:                           ;   in Loop: Header=BB1227_682 Depth=2
	s_wait_alu 0xfffe
	s_or_b32 exec_lo, exec_lo, s27
	v_cmp_lt_u32_e64 s26, v92, v164
	s_and_saveexec_b32 s28, s26
	s_cbranch_execnz .LBB1227_841
.LBB1227_773:                           ;   in Loop: Header=BB1227_682 Depth=2
	s_wait_alu 0xfffe
	s_or_b32 exec_lo, exec_lo, s28
	v_cmp_lt_u32_e64 s27, v93, v164
	s_and_saveexec_b32 s29, s27
	s_cbranch_execnz .LBB1227_842
.LBB1227_774:                           ;   in Loop: Header=BB1227_682 Depth=2
	s_wait_alu 0xfffe
	s_or_b32 exec_lo, exec_lo, s29
	v_cmp_lt_u32_e64 s28, v94, v164
	s_and_saveexec_b32 s30, s28
	s_cbranch_execnz .LBB1227_843
.LBB1227_775:                           ;   in Loop: Header=BB1227_682 Depth=2
	s_wait_alu 0xfffe
	s_or_b32 exec_lo, exec_lo, s30
	v_cmp_lt_u32_e64 s29, v95, v164
	s_and_saveexec_b32 s59, s29
	s_cbranch_execz .LBB1227_777
.LBB1227_776:                           ;   in Loop: Header=BB1227_682 Depth=2
	ds_load_b64 v[38:39], v110 offset:31744
	s_wait_dscnt 0x0
	v_cmp_ne_u64_e64 s30, s[42:43], v[38:39]
	s_wait_alu 0xf1ff
	s_delay_alu instid0(VALU_DEP_1) | instskip(SKIP_2) | instid1(VALU_DEP_2)
	v_cndmask_b32_e64 v45, 0x80000000, v39, s30
	v_cndmask_b32_e64 v44, 0, v38, s30
	v_cmp_lt_i64_e64 s30, -1, v[38:39]
	v_lshrrev_b64 v[44:45], s31, v[44:45]
	s_wait_alu 0xf1ff
	s_delay_alu instid0(VALU_DEP_2) | instskip(NEXT) | instid1(VALU_DEP_2)
	v_cndmask_b32_e64 v46, 0x80000000, -1, s30
	v_and_b32_e32 v2, s56, v44
	v_ashrrev_i32_e32 v44, 31, v39
	s_delay_alu instid0(VALU_DEP_3) | instskip(NEXT) | instid1(VALU_DEP_3)
	v_xor_b32_e32 v39, v46, v39
	v_lshlrev_b32_e32 v2, 2, v2
	s_delay_alu instid0(VALU_DEP_3) | instskip(SKIP_4) | instid1(VALU_DEP_1)
	v_not_b32_e32 v47, v44
	ds_load_b32 v2, v2
	v_xor_b32_e32 v38, v47, v38
	s_wait_dscnt 0x0
	v_add_nc_u32_e32 v2, v2, v95
	v_lshlrev_b64_e32 v[44:45], 3, v[2:3]
	s_delay_alu instid0(VALU_DEP_1) | instskip(SKIP_1) | instid1(VALU_DEP_2)
	v_add_co_u32 v44, s30, s38, v44
	s_wait_alu 0xf1ff
	v_add_co_ci_u32_e64 v45, null, s39, v45, s30
	global_store_b64 v[44:45], v[38:39], off
.LBB1227_777:                           ;   in Loop: Header=BB1227_682 Depth=2
	s_wait_alu 0xfffe
	s_or_b32 exec_lo, exec_lo, s59
	s_lshl_b64 s[60:61], s[34:35], 3
	s_wait_alu 0xfffe
	v_add_co_u32 v38, s30, v128, s60
	s_wait_alu 0xf1ff
	v_add_co_ci_u32_e64 v39, null, s61, v129, s30
	v_cmp_lt_u32_e64 s30, v127, v164
	s_and_saveexec_b32 s34, s30
	s_wait_alu 0xfffe
	s_xor_b32 s30, exec_lo, s34
	s_cbranch_execnz .LBB1227_844
; %bb.778:                              ;   in Loop: Header=BB1227_682 Depth=2
	s_wait_alu 0xfffe
	s_or_b32 exec_lo, exec_lo, s30
	s_delay_alu instid0(SALU_CYCLE_1)
	s_mov_b32 s34, exec_lo
	v_cmpx_lt_u32_e64 v130, v164
	s_cbranch_execnz .LBB1227_845
.LBB1227_779:                           ;   in Loop: Header=BB1227_682 Depth=2
	s_wait_alu 0xfffe
	s_or_b32 exec_lo, exec_lo, s34
	s_delay_alu instid0(SALU_CYCLE_1)
	s_mov_b32 s34, exec_lo
	v_cmpx_lt_u32_e64 v131, v164
	s_cbranch_execnz .LBB1227_846
.LBB1227_780:                           ;   in Loop: Header=BB1227_682 Depth=2
	s_wait_alu 0xfffe
	s_or_b32 exec_lo, exec_lo, s34
	s_delay_alu instid0(SALU_CYCLE_1)
	s_mov_b32 s34, exec_lo
	v_cmpx_lt_u32_e64 v132, v164
	s_cbranch_execnz .LBB1227_847
.LBB1227_781:                           ;   in Loop: Header=BB1227_682 Depth=2
	s_wait_alu 0xfffe
	s_or_b32 exec_lo, exec_lo, s34
	s_delay_alu instid0(SALU_CYCLE_1)
	s_mov_b32 s34, exec_lo
	v_cmpx_lt_u32_e64 v133, v164
	s_cbranch_execnz .LBB1227_848
.LBB1227_782:                           ;   in Loop: Header=BB1227_682 Depth=2
	s_wait_alu 0xfffe
	s_or_b32 exec_lo, exec_lo, s34
	s_delay_alu instid0(SALU_CYCLE_1)
	s_mov_b32 s34, exec_lo
	v_cmpx_lt_u32_e64 v134, v164
	s_cbranch_execnz .LBB1227_849
.LBB1227_783:                           ;   in Loop: Header=BB1227_682 Depth=2
	s_wait_alu 0xfffe
	s_or_b32 exec_lo, exec_lo, s34
	s_delay_alu instid0(SALU_CYCLE_1)
	s_mov_b32 s34, exec_lo
	v_cmpx_lt_u32_e64 v135, v164
	s_cbranch_execnz .LBB1227_850
.LBB1227_784:                           ;   in Loop: Header=BB1227_682 Depth=2
	s_wait_alu 0xfffe
	s_or_b32 exec_lo, exec_lo, s34
	s_delay_alu instid0(SALU_CYCLE_1)
	s_mov_b32 s34, exec_lo
	v_cmpx_lt_u32_e64 v136, v164
	s_cbranch_execnz .LBB1227_851
.LBB1227_785:                           ;   in Loop: Header=BB1227_682 Depth=2
	s_wait_alu 0xfffe
	s_or_b32 exec_lo, exec_lo, s34
	s_delay_alu instid0(SALU_CYCLE_1)
	s_mov_b32 s34, exec_lo
	v_cmpx_lt_u32_e64 v137, v164
	s_cbranch_execnz .LBB1227_852
.LBB1227_786:                           ;   in Loop: Header=BB1227_682 Depth=2
	s_wait_alu 0xfffe
	s_or_b32 exec_lo, exec_lo, s34
	s_delay_alu instid0(SALU_CYCLE_1)
	s_mov_b32 s34, exec_lo
	v_cmpx_lt_u32_e64 v138, v164
	s_cbranch_execnz .LBB1227_853
.LBB1227_787:                           ;   in Loop: Header=BB1227_682 Depth=2
	s_wait_alu 0xfffe
	s_or_b32 exec_lo, exec_lo, s34
	s_delay_alu instid0(SALU_CYCLE_1)
	s_mov_b32 s34, exec_lo
	v_cmpx_lt_u32_e64 v139, v164
	s_cbranch_execnz .LBB1227_854
.LBB1227_788:                           ;   in Loop: Header=BB1227_682 Depth=2
	s_wait_alu 0xfffe
	s_or_b32 exec_lo, exec_lo, s34
	s_delay_alu instid0(SALU_CYCLE_1)
	s_mov_b32 s34, exec_lo
	v_cmpx_lt_u32_e64 v140, v164
	s_cbranch_execnz .LBB1227_855
.LBB1227_789:                           ;   in Loop: Header=BB1227_682 Depth=2
	s_wait_alu 0xfffe
	s_or_b32 exec_lo, exec_lo, s34
	s_delay_alu instid0(SALU_CYCLE_1)
	s_mov_b32 s34, exec_lo
	v_cmpx_lt_u32_e64 v141, v164
	s_cbranch_execnz .LBB1227_856
.LBB1227_790:                           ;   in Loop: Header=BB1227_682 Depth=2
	s_wait_alu 0xfffe
	s_or_b32 exec_lo, exec_lo, s34
	s_delay_alu instid0(SALU_CYCLE_1)
	s_mov_b32 s34, exec_lo
	v_cmpx_lt_u32_e64 v142, v164
	s_cbranch_execnz .LBB1227_857
.LBB1227_791:                           ;   in Loop: Header=BB1227_682 Depth=2
	s_wait_alu 0xfffe
	s_or_b32 exec_lo, exec_lo, s34
	s_delay_alu instid0(SALU_CYCLE_1)
	s_mov_b32 s34, exec_lo
	v_cmpx_lt_u32_e64 v143, v164
	s_cbranch_execnz .LBB1227_858
.LBB1227_792:                           ;   in Loop: Header=BB1227_682 Depth=2
	s_wait_alu 0xfffe
	s_or_b32 exec_lo, exec_lo, s34
	s_delay_alu instid0(SALU_CYCLE_1)
	s_mov_b32 s34, exec_lo
	v_cmpx_lt_u32_e64 v144, v164
	s_cbranch_execnz .LBB1227_859
.LBB1227_793:                           ;   in Loop: Header=BB1227_682 Depth=2
	s_wait_alu 0xfffe
	s_or_b32 exec_lo, exec_lo, s34
	s_and_saveexec_b32 s34, vcc_lo
	s_cbranch_execnz .LBB1227_860
.LBB1227_794:                           ;   in Loop: Header=BB1227_682 Depth=2
	s_wait_alu 0xfffe
	s_or_b32 exec_lo, exec_lo, s34
	s_and_saveexec_b32 s34, s15
	s_cbranch_execnz .LBB1227_861
.LBB1227_795:                           ;   in Loop: Header=BB1227_682 Depth=2
	s_wait_alu 0xfffe
	s_or_b32 exec_lo, exec_lo, s34
	s_and_saveexec_b32 s34, s16
	s_cbranch_execnz .LBB1227_862
.LBB1227_796:                           ;   in Loop: Header=BB1227_682 Depth=2
	s_wait_alu 0xfffe
	s_or_b32 exec_lo, exec_lo, s34
	s_and_saveexec_b32 s34, s17
	s_cbranch_execnz .LBB1227_863
.LBB1227_797:                           ;   in Loop: Header=BB1227_682 Depth=2
	s_wait_alu 0xfffe
	s_or_b32 exec_lo, exec_lo, s34
	s_and_saveexec_b32 s34, s18
	s_cbranch_execnz .LBB1227_864
.LBB1227_798:                           ;   in Loop: Header=BB1227_682 Depth=2
	s_wait_alu 0xfffe
	s_or_b32 exec_lo, exec_lo, s34
	s_and_saveexec_b32 s34, s19
	s_cbranch_execnz .LBB1227_865
.LBB1227_799:                           ;   in Loop: Header=BB1227_682 Depth=2
	s_wait_alu 0xfffe
	s_or_b32 exec_lo, exec_lo, s34
	s_and_saveexec_b32 s34, s20
	s_cbranch_execnz .LBB1227_866
.LBB1227_800:                           ;   in Loop: Header=BB1227_682 Depth=2
	s_wait_alu 0xfffe
	s_or_b32 exec_lo, exec_lo, s34
	s_and_saveexec_b32 s34, s21
	s_cbranch_execnz .LBB1227_867
.LBB1227_801:                           ;   in Loop: Header=BB1227_682 Depth=2
	s_wait_alu 0xfffe
	s_or_b32 exec_lo, exec_lo, s34
	s_and_saveexec_b32 s34, s22
	s_cbranch_execnz .LBB1227_868
.LBB1227_802:                           ;   in Loop: Header=BB1227_682 Depth=2
	s_wait_alu 0xfffe
	s_or_b32 exec_lo, exec_lo, s34
	s_and_saveexec_b32 s34, s23
	s_cbranch_execnz .LBB1227_869
.LBB1227_803:                           ;   in Loop: Header=BB1227_682 Depth=2
	s_wait_alu 0xfffe
	s_or_b32 exec_lo, exec_lo, s34
	s_and_saveexec_b32 s34, s24
	s_cbranch_execnz .LBB1227_870
.LBB1227_804:                           ;   in Loop: Header=BB1227_682 Depth=2
	s_wait_alu 0xfffe
	s_or_b32 exec_lo, exec_lo, s34
	s_and_saveexec_b32 s34, s25
	s_cbranch_execnz .LBB1227_871
.LBB1227_805:                           ;   in Loop: Header=BB1227_682 Depth=2
	s_wait_alu 0xfffe
	s_or_b32 exec_lo, exec_lo, s34
	s_and_saveexec_b32 s34, s26
	s_cbranch_execnz .LBB1227_872
.LBB1227_806:                           ;   in Loop: Header=BB1227_682 Depth=2
	s_wait_alu 0xfffe
	s_or_b32 exec_lo, exec_lo, s34
	s_and_saveexec_b32 s34, s27
	s_cbranch_execnz .LBB1227_873
.LBB1227_807:                           ;   in Loop: Header=BB1227_682 Depth=2
	s_wait_alu 0xfffe
	s_or_b32 exec_lo, exec_lo, s34
	s_and_saveexec_b32 s34, s28
	s_cbranch_execnz .LBB1227_874
.LBB1227_808:                           ;   in Loop: Header=BB1227_682 Depth=2
	s_wait_alu 0xfffe
	s_or_b32 exec_lo, exec_lo, s34
	s_and_saveexec_b32 s34, s29
	s_cbranch_execz .LBB1227_810
.LBB1227_809:                           ;   in Loop: Header=BB1227_682 Depth=2
	ds_load_b64 v[38:39], v110 offset:31744
	s_wait_dscnt 0x0
	v_cmp_ne_u64_e64 s30, s[42:43], v[38:39]
	s_wait_alu 0xf1ff
	s_delay_alu instid0(VALU_DEP_1) | instskip(SKIP_1) | instid1(VALU_DEP_1)
	v_cndmask_b32_e64 v39, 0x80000000, v39, s30
	v_cndmask_b32_e64 v38, 0, v38, s30
	v_lshrrev_b64 v[38:39], s31, v[38:39]
	s_delay_alu instid0(VALU_DEP_1)
	v_and_b32_e32 v148, s56, v38
.LBB1227_810:                           ;   in Loop: Header=BB1227_682 Depth=2
	s_wait_alu 0xfffe
	s_or_b32 exec_lo, exec_lo, s34
	s_wait_loadcnt 0x0
	s_wait_storecnt 0x0
	s_barrier_signal -1
	s_barrier_wait -1
	global_inv scope:SCOPE_SE
	ds_store_b64 v71, v[36:37] offset:1024
	ds_store_b64 v72, v[34:35] offset:1024
	;; [unrolled: 1-line block ×16, first 2 shown]
	s_wait_loadcnt_dscnt 0x0
	s_barrier_signal -1
	s_barrier_wait -1
	global_inv scope:SCOPE_SE
	s_and_saveexec_b32 s30, vcc_lo
	s_cbranch_execnz .LBB1227_875
; %bb.811:                              ;   in Loop: Header=BB1227_682 Depth=2
	s_wait_alu 0xfffe
	s_or_b32 exec_lo, exec_lo, s30
	s_and_saveexec_b32 s30, s15
	s_cbranch_execnz .LBB1227_876
.LBB1227_812:                           ;   in Loop: Header=BB1227_682 Depth=2
	s_wait_alu 0xfffe
	s_or_b32 exec_lo, exec_lo, s30
	s_and_saveexec_b32 s15, s16
	s_cbranch_execnz .LBB1227_877
.LBB1227_813:                           ;   in Loop: Header=BB1227_682 Depth=2
	s_wait_alu 0xfffe
	s_or_b32 exec_lo, exec_lo, s15
	s_and_saveexec_b32 s15, s17
	s_cbranch_execnz .LBB1227_878
.LBB1227_814:                           ;   in Loop: Header=BB1227_682 Depth=2
	s_wait_alu 0xfffe
	s_or_b32 exec_lo, exec_lo, s15
	s_and_saveexec_b32 s15, s18
	s_cbranch_execnz .LBB1227_879
.LBB1227_815:                           ;   in Loop: Header=BB1227_682 Depth=2
	s_wait_alu 0xfffe
	s_or_b32 exec_lo, exec_lo, s15
	s_and_saveexec_b32 s15, s19
	s_cbranch_execnz .LBB1227_880
.LBB1227_816:                           ;   in Loop: Header=BB1227_682 Depth=2
	s_wait_alu 0xfffe
	s_or_b32 exec_lo, exec_lo, s15
	s_and_saveexec_b32 s15, s20
	s_cbranch_execnz .LBB1227_881
.LBB1227_817:                           ;   in Loop: Header=BB1227_682 Depth=2
	s_wait_alu 0xfffe
	s_or_b32 exec_lo, exec_lo, s15
	s_and_saveexec_b32 s15, s21
	s_cbranch_execnz .LBB1227_882
.LBB1227_818:                           ;   in Loop: Header=BB1227_682 Depth=2
	s_wait_alu 0xfffe
	s_or_b32 exec_lo, exec_lo, s15
	s_and_saveexec_b32 s15, s22
	s_cbranch_execnz .LBB1227_883
.LBB1227_819:                           ;   in Loop: Header=BB1227_682 Depth=2
	s_wait_alu 0xfffe
	s_or_b32 exec_lo, exec_lo, s15
	s_and_saveexec_b32 s15, s23
	s_cbranch_execnz .LBB1227_884
.LBB1227_820:                           ;   in Loop: Header=BB1227_682 Depth=2
	s_wait_alu 0xfffe
	s_or_b32 exec_lo, exec_lo, s15
	s_and_saveexec_b32 s15, s24
	s_cbranch_execnz .LBB1227_885
.LBB1227_821:                           ;   in Loop: Header=BB1227_682 Depth=2
	s_wait_alu 0xfffe
	s_or_b32 exec_lo, exec_lo, s15
	s_and_saveexec_b32 s15, s25
	s_cbranch_execnz .LBB1227_886
.LBB1227_822:                           ;   in Loop: Header=BB1227_682 Depth=2
	s_wait_alu 0xfffe
	s_or_b32 exec_lo, exec_lo, s15
	s_and_saveexec_b32 s15, s26
	s_cbranch_execnz .LBB1227_887
.LBB1227_823:                           ;   in Loop: Header=BB1227_682 Depth=2
	s_wait_alu 0xfffe
	s_or_b32 exec_lo, exec_lo, s15
	s_and_saveexec_b32 s15, s27
	s_cbranch_execnz .LBB1227_888
.LBB1227_824:                           ;   in Loop: Header=BB1227_682 Depth=2
	s_wait_alu 0xfffe
	s_or_b32 exec_lo, exec_lo, s15
	s_and_saveexec_b32 s15, s28
	s_cbranch_execnz .LBB1227_889
.LBB1227_825:                           ;   in Loop: Header=BB1227_682 Depth=2
	s_wait_alu 0xfffe
	s_or_b32 exec_lo, exec_lo, s15
	s_and_saveexec_b32 s15, s29
	s_cbranch_execz .LBB1227_827
.LBB1227_826:                           ;   in Loop: Header=BB1227_682 Depth=2
	v_lshlrev_b32_e32 v2, 2, v148
	ds_load_b32 v2, v2
	ds_load_b64 v[38:39], v110 offset:31744
	s_wait_dscnt 0x1
	v_add_nc_u32_e32 v2, v2, v95
	s_delay_alu instid0(VALU_DEP_1) | instskip(NEXT) | instid1(VALU_DEP_1)
	v_lshlrev_b64_e32 v[40:41], 3, v[2:3]
	v_add_co_u32 v40, vcc_lo, s44, v40
	s_wait_alu 0xfffd
	s_delay_alu instid0(VALU_DEP_2)
	v_add_co_ci_u32_e64 v41, null, s45, v41, vcc_lo
	s_wait_dscnt 0x0
	global_store_b64 v[40:41], v[38:39], off
.LBB1227_827:                           ;   in Loop: Header=BB1227_682 Depth=2
	s_wait_alu 0xfffe
	s_or_b32 exec_lo, exec_lo, s15
	s_wait_loadcnt 0x0
	s_wait_storecnt 0x0
	s_barrier_signal -1
	s_barrier_wait -1
	global_inv scope:SCOPE_SE
	s_and_saveexec_b32 s15, s2
	s_cbranch_execz .LBB1227_681
; %bb.828:                              ;   in Loop: Header=BB1227_682 Depth=2
	ds_load_b32 v2, v78
	s_wait_dscnt 0x0
	v_add_nc_u32_e32 v2, v2, v70
	ds_store_b32 v78, v2
	s_branch .LBB1227_681
.LBB1227_829:                           ;   in Loop: Header=BB1227_682 Depth=2
	ds_load_b64 v[38:39], v110 offset:1024
	s_wait_dscnt 0x0
	v_cmp_ne_u64_e64 s15, s[42:43], v[38:39]
	s_wait_alu 0xf1ff
	s_delay_alu instid0(VALU_DEP_1) | instskip(SKIP_2) | instid1(VALU_DEP_2)
	v_cndmask_b32_e64 v45, 0x80000000, v39, s15
	v_cndmask_b32_e64 v44, 0, v38, s15
	v_cmp_lt_i64_e64 s15, -1, v[38:39]
	v_lshrrev_b64 v[44:45], s31, v[44:45]
	s_wait_alu 0xf1ff
	s_delay_alu instid0(VALU_DEP_2) | instskip(NEXT) | instid1(VALU_DEP_2)
	v_cndmask_b32_e64 v46, 0x80000000, -1, s15
	v_and_b32_e32 v2, s56, v44
	v_ashrrev_i32_e32 v44, 31, v39
	s_delay_alu instid0(VALU_DEP_3) | instskip(NEXT) | instid1(VALU_DEP_3)
	v_xor_b32_e32 v39, v46, v39
	v_lshlrev_b32_e32 v2, 2, v2
	s_delay_alu instid0(VALU_DEP_3) | instskip(SKIP_4) | instid1(VALU_DEP_1)
	v_not_b32_e32 v47, v44
	ds_load_b32 v2, v2
	v_xor_b32_e32 v38, v47, v38
	s_wait_dscnt 0x0
	v_add_nc_u32_e32 v2, v2, v1
	v_lshlrev_b64_e32 v[44:45], 3, v[2:3]
	s_delay_alu instid0(VALU_DEP_1) | instskip(SKIP_1) | instid1(VALU_DEP_2)
	v_add_co_u32 v44, s15, s38, v44
	s_wait_alu 0xf1ff
	v_add_co_ci_u32_e64 v45, null, s39, v45, s15
	global_store_b64 v[44:45], v[38:39], off
	s_wait_alu 0xfffe
	s_or_b32 exec_lo, exec_lo, s16
	v_cmp_lt_u32_e64 s15, v79, v164
	s_and_saveexec_b32 s17, s15
	s_cbranch_execz .LBB1227_762
.LBB1227_830:                           ;   in Loop: Header=BB1227_682 Depth=2
	ds_load_b64 v[38:39], v110 offset:3072
	s_wait_dscnt 0x0
	v_cmp_ne_u64_e64 s16, s[42:43], v[38:39]
	s_wait_alu 0xf1ff
	s_delay_alu instid0(VALU_DEP_1) | instskip(SKIP_2) | instid1(VALU_DEP_2)
	v_cndmask_b32_e64 v45, 0x80000000, v39, s16
	v_cndmask_b32_e64 v44, 0, v38, s16
	v_cmp_lt_i64_e64 s16, -1, v[38:39]
	v_lshrrev_b64 v[44:45], s31, v[44:45]
	s_wait_alu 0xf1ff
	s_delay_alu instid0(VALU_DEP_2) | instskip(NEXT) | instid1(VALU_DEP_2)
	v_cndmask_b32_e64 v46, 0x80000000, -1, s16
	v_and_b32_e32 v2, s56, v44
	v_ashrrev_i32_e32 v44, 31, v39
	s_delay_alu instid0(VALU_DEP_3) | instskip(NEXT) | instid1(VALU_DEP_3)
	v_xor_b32_e32 v39, v46, v39
	v_lshlrev_b32_e32 v2, 2, v2
	s_delay_alu instid0(VALU_DEP_3) | instskip(SKIP_4) | instid1(VALU_DEP_1)
	v_not_b32_e32 v47, v44
	ds_load_b32 v2, v2
	v_xor_b32_e32 v38, v47, v38
	s_wait_dscnt 0x0
	v_add_nc_u32_e32 v2, v2, v79
	v_lshlrev_b64_e32 v[44:45], 3, v[2:3]
	s_delay_alu instid0(VALU_DEP_1) | instskip(SKIP_1) | instid1(VALU_DEP_2)
	v_add_co_u32 v44, s16, s38, v44
	s_wait_alu 0xf1ff
	v_add_co_ci_u32_e64 v45, null, s39, v45, s16
	global_store_b64 v[44:45], v[38:39], off
	s_wait_alu 0xfffe
	s_or_b32 exec_lo, exec_lo, s17
	v_cmp_lt_u32_e64 s16, v80, v164
	s_and_saveexec_b32 s18, s16
	s_cbranch_execz .LBB1227_763
.LBB1227_831:                           ;   in Loop: Header=BB1227_682 Depth=2
	ds_load_b64 v[38:39], v110 offset:5120
	s_wait_dscnt 0x0
	v_cmp_ne_u64_e64 s17, s[42:43], v[38:39]
	s_wait_alu 0xf1ff
	s_delay_alu instid0(VALU_DEP_1) | instskip(SKIP_2) | instid1(VALU_DEP_2)
	v_cndmask_b32_e64 v45, 0x80000000, v39, s17
	v_cndmask_b32_e64 v44, 0, v38, s17
	v_cmp_lt_i64_e64 s17, -1, v[38:39]
	v_lshrrev_b64 v[44:45], s31, v[44:45]
	s_wait_alu 0xf1ff
	s_delay_alu instid0(VALU_DEP_2) | instskip(NEXT) | instid1(VALU_DEP_2)
	v_cndmask_b32_e64 v46, 0x80000000, -1, s17
	v_and_b32_e32 v2, s56, v44
	v_ashrrev_i32_e32 v44, 31, v39
	s_delay_alu instid0(VALU_DEP_3) | instskip(NEXT) | instid1(VALU_DEP_3)
	v_xor_b32_e32 v39, v46, v39
	v_lshlrev_b32_e32 v2, 2, v2
	s_delay_alu instid0(VALU_DEP_3) | instskip(SKIP_4) | instid1(VALU_DEP_1)
	v_not_b32_e32 v47, v44
	ds_load_b32 v2, v2
	v_xor_b32_e32 v38, v47, v38
	s_wait_dscnt 0x0
	v_add_nc_u32_e32 v2, v2, v80
	v_lshlrev_b64_e32 v[44:45], 3, v[2:3]
	s_delay_alu instid0(VALU_DEP_1) | instskip(SKIP_1) | instid1(VALU_DEP_2)
	v_add_co_u32 v44, s17, s38, v44
	s_wait_alu 0xf1ff
	v_add_co_ci_u32_e64 v45, null, s39, v45, s17
	global_store_b64 v[44:45], v[38:39], off
	s_wait_alu 0xfffe
	s_or_b32 exec_lo, exec_lo, s18
	v_cmp_lt_u32_e64 s17, v81, v164
	s_and_saveexec_b32 s19, s17
	s_cbranch_execz .LBB1227_764
.LBB1227_832:                           ;   in Loop: Header=BB1227_682 Depth=2
	ds_load_b64 v[38:39], v110 offset:7168
	s_wait_dscnt 0x0
	v_cmp_ne_u64_e64 s18, s[42:43], v[38:39]
	s_wait_alu 0xf1ff
	s_delay_alu instid0(VALU_DEP_1) | instskip(SKIP_2) | instid1(VALU_DEP_2)
	v_cndmask_b32_e64 v45, 0x80000000, v39, s18
	v_cndmask_b32_e64 v44, 0, v38, s18
	v_cmp_lt_i64_e64 s18, -1, v[38:39]
	v_lshrrev_b64 v[44:45], s31, v[44:45]
	s_wait_alu 0xf1ff
	s_delay_alu instid0(VALU_DEP_2) | instskip(NEXT) | instid1(VALU_DEP_2)
	v_cndmask_b32_e64 v46, 0x80000000, -1, s18
	v_and_b32_e32 v2, s56, v44
	v_ashrrev_i32_e32 v44, 31, v39
	s_delay_alu instid0(VALU_DEP_3) | instskip(NEXT) | instid1(VALU_DEP_3)
	v_xor_b32_e32 v39, v46, v39
	v_lshlrev_b32_e32 v2, 2, v2
	s_delay_alu instid0(VALU_DEP_3) | instskip(SKIP_4) | instid1(VALU_DEP_1)
	v_not_b32_e32 v47, v44
	ds_load_b32 v2, v2
	v_xor_b32_e32 v38, v47, v38
	s_wait_dscnt 0x0
	v_add_nc_u32_e32 v2, v2, v81
	v_lshlrev_b64_e32 v[44:45], 3, v[2:3]
	s_delay_alu instid0(VALU_DEP_1) | instskip(SKIP_1) | instid1(VALU_DEP_2)
	v_add_co_u32 v44, s18, s38, v44
	s_wait_alu 0xf1ff
	v_add_co_ci_u32_e64 v45, null, s39, v45, s18
	global_store_b64 v[44:45], v[38:39], off
	s_wait_alu 0xfffe
	s_or_b32 exec_lo, exec_lo, s19
	v_cmp_lt_u32_e64 s18, v84, v164
	s_and_saveexec_b32 s20, s18
	s_cbranch_execz .LBB1227_765
.LBB1227_833:                           ;   in Loop: Header=BB1227_682 Depth=2
	ds_load_b64 v[38:39], v110 offset:9216
	s_wait_dscnt 0x0
	v_cmp_ne_u64_e64 s19, s[42:43], v[38:39]
	s_wait_alu 0xf1ff
	s_delay_alu instid0(VALU_DEP_1) | instskip(SKIP_2) | instid1(VALU_DEP_2)
	v_cndmask_b32_e64 v45, 0x80000000, v39, s19
	v_cndmask_b32_e64 v44, 0, v38, s19
	v_cmp_lt_i64_e64 s19, -1, v[38:39]
	v_lshrrev_b64 v[44:45], s31, v[44:45]
	s_wait_alu 0xf1ff
	s_delay_alu instid0(VALU_DEP_2) | instskip(NEXT) | instid1(VALU_DEP_2)
	v_cndmask_b32_e64 v46, 0x80000000, -1, s19
	v_and_b32_e32 v2, s56, v44
	v_ashrrev_i32_e32 v44, 31, v39
	s_delay_alu instid0(VALU_DEP_3) | instskip(NEXT) | instid1(VALU_DEP_3)
	v_xor_b32_e32 v39, v46, v39
	v_lshlrev_b32_e32 v2, 2, v2
	s_delay_alu instid0(VALU_DEP_3) | instskip(SKIP_4) | instid1(VALU_DEP_1)
	v_not_b32_e32 v47, v44
	ds_load_b32 v2, v2
	v_xor_b32_e32 v38, v47, v38
	s_wait_dscnt 0x0
	v_add_nc_u32_e32 v2, v2, v84
	v_lshlrev_b64_e32 v[44:45], 3, v[2:3]
	s_delay_alu instid0(VALU_DEP_1) | instskip(SKIP_1) | instid1(VALU_DEP_2)
	v_add_co_u32 v44, s19, s38, v44
	s_wait_alu 0xf1ff
	v_add_co_ci_u32_e64 v45, null, s39, v45, s19
	global_store_b64 v[44:45], v[38:39], off
	s_wait_alu 0xfffe
	s_or_b32 exec_lo, exec_lo, s20
	v_cmp_lt_u32_e64 s19, v85, v164
	s_and_saveexec_b32 s21, s19
	s_cbranch_execz .LBB1227_766
.LBB1227_834:                           ;   in Loop: Header=BB1227_682 Depth=2
	ds_load_b64 v[38:39], v110 offset:11264
	s_wait_dscnt 0x0
	v_cmp_ne_u64_e64 s20, s[42:43], v[38:39]
	s_wait_alu 0xf1ff
	s_delay_alu instid0(VALU_DEP_1) | instskip(SKIP_2) | instid1(VALU_DEP_2)
	v_cndmask_b32_e64 v45, 0x80000000, v39, s20
	v_cndmask_b32_e64 v44, 0, v38, s20
	v_cmp_lt_i64_e64 s20, -1, v[38:39]
	v_lshrrev_b64 v[44:45], s31, v[44:45]
	s_wait_alu 0xf1ff
	s_delay_alu instid0(VALU_DEP_2) | instskip(NEXT) | instid1(VALU_DEP_2)
	v_cndmask_b32_e64 v46, 0x80000000, -1, s20
	v_and_b32_e32 v2, s56, v44
	v_ashrrev_i32_e32 v44, 31, v39
	s_delay_alu instid0(VALU_DEP_3) | instskip(NEXT) | instid1(VALU_DEP_3)
	v_xor_b32_e32 v39, v46, v39
	v_lshlrev_b32_e32 v2, 2, v2
	s_delay_alu instid0(VALU_DEP_3) | instskip(SKIP_4) | instid1(VALU_DEP_1)
	v_not_b32_e32 v47, v44
	ds_load_b32 v2, v2
	v_xor_b32_e32 v38, v47, v38
	s_wait_dscnt 0x0
	v_add_nc_u32_e32 v2, v2, v85
	v_lshlrev_b64_e32 v[44:45], 3, v[2:3]
	s_delay_alu instid0(VALU_DEP_1) | instskip(SKIP_1) | instid1(VALU_DEP_2)
	v_add_co_u32 v44, s20, s38, v44
	s_wait_alu 0xf1ff
	v_add_co_ci_u32_e64 v45, null, s39, v45, s20
	global_store_b64 v[44:45], v[38:39], off
	s_wait_alu 0xfffe
	s_or_b32 exec_lo, exec_lo, s21
	v_cmp_lt_u32_e64 s20, v86, v164
	s_and_saveexec_b32 s22, s20
	s_cbranch_execz .LBB1227_767
.LBB1227_835:                           ;   in Loop: Header=BB1227_682 Depth=2
	ds_load_b64 v[38:39], v110 offset:13312
	s_wait_dscnt 0x0
	v_cmp_ne_u64_e64 s21, s[42:43], v[38:39]
	s_wait_alu 0xf1ff
	s_delay_alu instid0(VALU_DEP_1) | instskip(SKIP_2) | instid1(VALU_DEP_2)
	v_cndmask_b32_e64 v45, 0x80000000, v39, s21
	v_cndmask_b32_e64 v44, 0, v38, s21
	v_cmp_lt_i64_e64 s21, -1, v[38:39]
	v_lshrrev_b64 v[44:45], s31, v[44:45]
	s_wait_alu 0xf1ff
	s_delay_alu instid0(VALU_DEP_2) | instskip(NEXT) | instid1(VALU_DEP_2)
	v_cndmask_b32_e64 v46, 0x80000000, -1, s21
	v_and_b32_e32 v2, s56, v44
	v_ashrrev_i32_e32 v44, 31, v39
	s_delay_alu instid0(VALU_DEP_3) | instskip(NEXT) | instid1(VALU_DEP_3)
	v_xor_b32_e32 v39, v46, v39
	v_lshlrev_b32_e32 v2, 2, v2
	s_delay_alu instid0(VALU_DEP_3) | instskip(SKIP_4) | instid1(VALU_DEP_1)
	v_not_b32_e32 v47, v44
	ds_load_b32 v2, v2
	v_xor_b32_e32 v38, v47, v38
	s_wait_dscnt 0x0
	v_add_nc_u32_e32 v2, v2, v86
	v_lshlrev_b64_e32 v[44:45], 3, v[2:3]
	s_delay_alu instid0(VALU_DEP_1) | instskip(SKIP_1) | instid1(VALU_DEP_2)
	v_add_co_u32 v44, s21, s38, v44
	s_wait_alu 0xf1ff
	v_add_co_ci_u32_e64 v45, null, s39, v45, s21
	global_store_b64 v[44:45], v[38:39], off
	s_wait_alu 0xfffe
	s_or_b32 exec_lo, exec_lo, s22
	v_cmp_lt_u32_e64 s21, v87, v164
	s_and_saveexec_b32 s23, s21
	s_cbranch_execz .LBB1227_768
.LBB1227_836:                           ;   in Loop: Header=BB1227_682 Depth=2
	ds_load_b64 v[38:39], v110 offset:15360
	s_wait_dscnt 0x0
	v_cmp_ne_u64_e64 s22, s[42:43], v[38:39]
	s_wait_alu 0xf1ff
	s_delay_alu instid0(VALU_DEP_1) | instskip(SKIP_2) | instid1(VALU_DEP_2)
	v_cndmask_b32_e64 v45, 0x80000000, v39, s22
	v_cndmask_b32_e64 v44, 0, v38, s22
	v_cmp_lt_i64_e64 s22, -1, v[38:39]
	v_lshrrev_b64 v[44:45], s31, v[44:45]
	s_wait_alu 0xf1ff
	s_delay_alu instid0(VALU_DEP_2) | instskip(NEXT) | instid1(VALU_DEP_2)
	v_cndmask_b32_e64 v46, 0x80000000, -1, s22
	v_and_b32_e32 v2, s56, v44
	v_ashrrev_i32_e32 v44, 31, v39
	s_delay_alu instid0(VALU_DEP_3) | instskip(NEXT) | instid1(VALU_DEP_3)
	v_xor_b32_e32 v39, v46, v39
	v_lshlrev_b32_e32 v2, 2, v2
	s_delay_alu instid0(VALU_DEP_3) | instskip(SKIP_4) | instid1(VALU_DEP_1)
	v_not_b32_e32 v47, v44
	ds_load_b32 v2, v2
	v_xor_b32_e32 v38, v47, v38
	s_wait_dscnt 0x0
	v_add_nc_u32_e32 v2, v2, v87
	v_lshlrev_b64_e32 v[44:45], 3, v[2:3]
	s_delay_alu instid0(VALU_DEP_1) | instskip(SKIP_1) | instid1(VALU_DEP_2)
	v_add_co_u32 v44, s22, s38, v44
	s_wait_alu 0xf1ff
	v_add_co_ci_u32_e64 v45, null, s39, v45, s22
	global_store_b64 v[44:45], v[38:39], off
	s_wait_alu 0xfffe
	s_or_b32 exec_lo, exec_lo, s23
	v_cmp_lt_u32_e64 s22, v88, v164
	s_and_saveexec_b32 s24, s22
	s_cbranch_execz .LBB1227_769
.LBB1227_837:                           ;   in Loop: Header=BB1227_682 Depth=2
	ds_load_b64 v[38:39], v110 offset:17408
	s_wait_dscnt 0x0
	v_cmp_ne_u64_e64 s23, s[42:43], v[38:39]
	s_wait_alu 0xf1ff
	s_delay_alu instid0(VALU_DEP_1) | instskip(SKIP_2) | instid1(VALU_DEP_2)
	v_cndmask_b32_e64 v45, 0x80000000, v39, s23
	v_cndmask_b32_e64 v44, 0, v38, s23
	v_cmp_lt_i64_e64 s23, -1, v[38:39]
	v_lshrrev_b64 v[44:45], s31, v[44:45]
	s_wait_alu 0xf1ff
	s_delay_alu instid0(VALU_DEP_2) | instskip(NEXT) | instid1(VALU_DEP_2)
	v_cndmask_b32_e64 v46, 0x80000000, -1, s23
	v_and_b32_e32 v2, s56, v44
	v_ashrrev_i32_e32 v44, 31, v39
	s_delay_alu instid0(VALU_DEP_3) | instskip(NEXT) | instid1(VALU_DEP_3)
	v_xor_b32_e32 v39, v46, v39
	v_lshlrev_b32_e32 v2, 2, v2
	s_delay_alu instid0(VALU_DEP_3) | instskip(SKIP_4) | instid1(VALU_DEP_1)
	v_not_b32_e32 v47, v44
	ds_load_b32 v2, v2
	v_xor_b32_e32 v38, v47, v38
	s_wait_dscnt 0x0
	v_add_nc_u32_e32 v2, v2, v88
	v_lshlrev_b64_e32 v[44:45], 3, v[2:3]
	s_delay_alu instid0(VALU_DEP_1) | instskip(SKIP_1) | instid1(VALU_DEP_2)
	v_add_co_u32 v44, s23, s38, v44
	s_wait_alu 0xf1ff
	v_add_co_ci_u32_e64 v45, null, s39, v45, s23
	global_store_b64 v[44:45], v[38:39], off
	s_wait_alu 0xfffe
	s_or_b32 exec_lo, exec_lo, s24
	v_cmp_lt_u32_e64 s23, v89, v164
	s_and_saveexec_b32 s25, s23
	s_cbranch_execz .LBB1227_770
.LBB1227_838:                           ;   in Loop: Header=BB1227_682 Depth=2
	ds_load_b64 v[38:39], v110 offset:19456
	s_wait_dscnt 0x0
	v_cmp_ne_u64_e64 s24, s[42:43], v[38:39]
	s_wait_alu 0xf1ff
	s_delay_alu instid0(VALU_DEP_1) | instskip(SKIP_2) | instid1(VALU_DEP_2)
	v_cndmask_b32_e64 v45, 0x80000000, v39, s24
	v_cndmask_b32_e64 v44, 0, v38, s24
	v_cmp_lt_i64_e64 s24, -1, v[38:39]
	v_lshrrev_b64 v[44:45], s31, v[44:45]
	s_wait_alu 0xf1ff
	s_delay_alu instid0(VALU_DEP_2) | instskip(NEXT) | instid1(VALU_DEP_2)
	v_cndmask_b32_e64 v46, 0x80000000, -1, s24
	v_and_b32_e32 v2, s56, v44
	v_ashrrev_i32_e32 v44, 31, v39
	s_delay_alu instid0(VALU_DEP_3) | instskip(NEXT) | instid1(VALU_DEP_3)
	v_xor_b32_e32 v39, v46, v39
	v_lshlrev_b32_e32 v2, 2, v2
	s_delay_alu instid0(VALU_DEP_3) | instskip(SKIP_4) | instid1(VALU_DEP_1)
	v_not_b32_e32 v47, v44
	ds_load_b32 v2, v2
	v_xor_b32_e32 v38, v47, v38
	s_wait_dscnt 0x0
	v_add_nc_u32_e32 v2, v2, v89
	v_lshlrev_b64_e32 v[44:45], 3, v[2:3]
	s_delay_alu instid0(VALU_DEP_1) | instskip(SKIP_1) | instid1(VALU_DEP_2)
	v_add_co_u32 v44, s24, s38, v44
	s_wait_alu 0xf1ff
	v_add_co_ci_u32_e64 v45, null, s39, v45, s24
	global_store_b64 v[44:45], v[38:39], off
	s_wait_alu 0xfffe
	s_or_b32 exec_lo, exec_lo, s25
	v_cmp_lt_u32_e64 s24, v90, v164
	s_and_saveexec_b32 s26, s24
	s_cbranch_execz .LBB1227_771
.LBB1227_839:                           ;   in Loop: Header=BB1227_682 Depth=2
	ds_load_b64 v[38:39], v110 offset:21504
	s_wait_dscnt 0x0
	v_cmp_ne_u64_e64 s25, s[42:43], v[38:39]
	s_wait_alu 0xf1ff
	s_delay_alu instid0(VALU_DEP_1) | instskip(SKIP_2) | instid1(VALU_DEP_2)
	v_cndmask_b32_e64 v45, 0x80000000, v39, s25
	v_cndmask_b32_e64 v44, 0, v38, s25
	v_cmp_lt_i64_e64 s25, -1, v[38:39]
	v_lshrrev_b64 v[44:45], s31, v[44:45]
	s_wait_alu 0xf1ff
	s_delay_alu instid0(VALU_DEP_2) | instskip(NEXT) | instid1(VALU_DEP_2)
	v_cndmask_b32_e64 v46, 0x80000000, -1, s25
	v_and_b32_e32 v2, s56, v44
	v_ashrrev_i32_e32 v44, 31, v39
	s_delay_alu instid0(VALU_DEP_3) | instskip(NEXT) | instid1(VALU_DEP_3)
	v_xor_b32_e32 v39, v46, v39
	v_lshlrev_b32_e32 v2, 2, v2
	s_delay_alu instid0(VALU_DEP_3) | instskip(SKIP_4) | instid1(VALU_DEP_1)
	v_not_b32_e32 v47, v44
	ds_load_b32 v2, v2
	v_xor_b32_e32 v38, v47, v38
	s_wait_dscnt 0x0
	v_add_nc_u32_e32 v2, v2, v90
	v_lshlrev_b64_e32 v[44:45], 3, v[2:3]
	s_delay_alu instid0(VALU_DEP_1) | instskip(SKIP_1) | instid1(VALU_DEP_2)
	v_add_co_u32 v44, s25, s38, v44
	s_wait_alu 0xf1ff
	v_add_co_ci_u32_e64 v45, null, s39, v45, s25
	global_store_b64 v[44:45], v[38:39], off
	s_wait_alu 0xfffe
	s_or_b32 exec_lo, exec_lo, s26
	v_cmp_lt_u32_e64 s25, v91, v164
	s_and_saveexec_b32 s27, s25
	s_cbranch_execz .LBB1227_772
.LBB1227_840:                           ;   in Loop: Header=BB1227_682 Depth=2
	ds_load_b64 v[38:39], v110 offset:23552
	s_wait_dscnt 0x0
	v_cmp_ne_u64_e64 s26, s[42:43], v[38:39]
	s_wait_alu 0xf1ff
	s_delay_alu instid0(VALU_DEP_1) | instskip(SKIP_2) | instid1(VALU_DEP_2)
	v_cndmask_b32_e64 v45, 0x80000000, v39, s26
	v_cndmask_b32_e64 v44, 0, v38, s26
	v_cmp_lt_i64_e64 s26, -1, v[38:39]
	v_lshrrev_b64 v[44:45], s31, v[44:45]
	s_wait_alu 0xf1ff
	s_delay_alu instid0(VALU_DEP_2) | instskip(NEXT) | instid1(VALU_DEP_2)
	v_cndmask_b32_e64 v46, 0x80000000, -1, s26
	v_and_b32_e32 v2, s56, v44
	v_ashrrev_i32_e32 v44, 31, v39
	s_delay_alu instid0(VALU_DEP_3) | instskip(NEXT) | instid1(VALU_DEP_3)
	v_xor_b32_e32 v39, v46, v39
	v_lshlrev_b32_e32 v2, 2, v2
	s_delay_alu instid0(VALU_DEP_3) | instskip(SKIP_4) | instid1(VALU_DEP_1)
	v_not_b32_e32 v47, v44
	ds_load_b32 v2, v2
	v_xor_b32_e32 v38, v47, v38
	s_wait_dscnt 0x0
	v_add_nc_u32_e32 v2, v2, v91
	v_lshlrev_b64_e32 v[44:45], 3, v[2:3]
	s_delay_alu instid0(VALU_DEP_1) | instskip(SKIP_1) | instid1(VALU_DEP_2)
	v_add_co_u32 v44, s26, s38, v44
	s_wait_alu 0xf1ff
	v_add_co_ci_u32_e64 v45, null, s39, v45, s26
	global_store_b64 v[44:45], v[38:39], off
	s_wait_alu 0xfffe
	s_or_b32 exec_lo, exec_lo, s27
	v_cmp_lt_u32_e64 s26, v92, v164
	s_and_saveexec_b32 s28, s26
	s_cbranch_execz .LBB1227_773
.LBB1227_841:                           ;   in Loop: Header=BB1227_682 Depth=2
	ds_load_b64 v[38:39], v110 offset:25600
	s_wait_dscnt 0x0
	v_cmp_ne_u64_e64 s27, s[42:43], v[38:39]
	s_wait_alu 0xf1ff
	s_delay_alu instid0(VALU_DEP_1) | instskip(SKIP_2) | instid1(VALU_DEP_2)
	v_cndmask_b32_e64 v45, 0x80000000, v39, s27
	v_cndmask_b32_e64 v44, 0, v38, s27
	v_cmp_lt_i64_e64 s27, -1, v[38:39]
	v_lshrrev_b64 v[44:45], s31, v[44:45]
	s_wait_alu 0xf1ff
	s_delay_alu instid0(VALU_DEP_2) | instskip(NEXT) | instid1(VALU_DEP_2)
	v_cndmask_b32_e64 v46, 0x80000000, -1, s27
	v_and_b32_e32 v2, s56, v44
	v_ashrrev_i32_e32 v44, 31, v39
	s_delay_alu instid0(VALU_DEP_3) | instskip(NEXT) | instid1(VALU_DEP_3)
	v_xor_b32_e32 v39, v46, v39
	v_lshlrev_b32_e32 v2, 2, v2
	s_delay_alu instid0(VALU_DEP_3) | instskip(SKIP_4) | instid1(VALU_DEP_1)
	v_not_b32_e32 v47, v44
	ds_load_b32 v2, v2
	v_xor_b32_e32 v38, v47, v38
	s_wait_dscnt 0x0
	v_add_nc_u32_e32 v2, v2, v92
	v_lshlrev_b64_e32 v[44:45], 3, v[2:3]
	s_delay_alu instid0(VALU_DEP_1) | instskip(SKIP_1) | instid1(VALU_DEP_2)
	v_add_co_u32 v44, s27, s38, v44
	s_wait_alu 0xf1ff
	v_add_co_ci_u32_e64 v45, null, s39, v45, s27
	global_store_b64 v[44:45], v[38:39], off
	s_wait_alu 0xfffe
	s_or_b32 exec_lo, exec_lo, s28
	v_cmp_lt_u32_e64 s27, v93, v164
	s_and_saveexec_b32 s29, s27
	s_cbranch_execz .LBB1227_774
.LBB1227_842:                           ;   in Loop: Header=BB1227_682 Depth=2
	ds_load_b64 v[38:39], v110 offset:27648
	s_wait_dscnt 0x0
	v_cmp_ne_u64_e64 s28, s[42:43], v[38:39]
	s_wait_alu 0xf1ff
	s_delay_alu instid0(VALU_DEP_1) | instskip(SKIP_2) | instid1(VALU_DEP_2)
	v_cndmask_b32_e64 v45, 0x80000000, v39, s28
	v_cndmask_b32_e64 v44, 0, v38, s28
	v_cmp_lt_i64_e64 s28, -1, v[38:39]
	v_lshrrev_b64 v[44:45], s31, v[44:45]
	s_wait_alu 0xf1ff
	s_delay_alu instid0(VALU_DEP_2) | instskip(NEXT) | instid1(VALU_DEP_2)
	v_cndmask_b32_e64 v46, 0x80000000, -1, s28
	v_and_b32_e32 v2, s56, v44
	v_ashrrev_i32_e32 v44, 31, v39
	s_delay_alu instid0(VALU_DEP_3) | instskip(NEXT) | instid1(VALU_DEP_3)
	v_xor_b32_e32 v39, v46, v39
	v_lshlrev_b32_e32 v2, 2, v2
	s_delay_alu instid0(VALU_DEP_3) | instskip(SKIP_4) | instid1(VALU_DEP_1)
	v_not_b32_e32 v47, v44
	ds_load_b32 v2, v2
	v_xor_b32_e32 v38, v47, v38
	s_wait_dscnt 0x0
	v_add_nc_u32_e32 v2, v2, v93
	v_lshlrev_b64_e32 v[44:45], 3, v[2:3]
	s_delay_alu instid0(VALU_DEP_1) | instskip(SKIP_1) | instid1(VALU_DEP_2)
	v_add_co_u32 v44, s28, s38, v44
	s_wait_alu 0xf1ff
	v_add_co_ci_u32_e64 v45, null, s39, v45, s28
	global_store_b64 v[44:45], v[38:39], off
	s_wait_alu 0xfffe
	s_or_b32 exec_lo, exec_lo, s29
	v_cmp_lt_u32_e64 s28, v94, v164
	s_and_saveexec_b32 s30, s28
	s_cbranch_execz .LBB1227_775
.LBB1227_843:                           ;   in Loop: Header=BB1227_682 Depth=2
	ds_load_b64 v[38:39], v110 offset:29696
	s_wait_dscnt 0x0
	v_cmp_ne_u64_e64 s29, s[42:43], v[38:39]
	s_wait_alu 0xf1ff
	s_delay_alu instid0(VALU_DEP_1) | instskip(SKIP_2) | instid1(VALU_DEP_2)
	v_cndmask_b32_e64 v45, 0x80000000, v39, s29
	v_cndmask_b32_e64 v44, 0, v38, s29
	v_cmp_lt_i64_e64 s29, -1, v[38:39]
	v_lshrrev_b64 v[44:45], s31, v[44:45]
	s_wait_alu 0xf1ff
	s_delay_alu instid0(VALU_DEP_2) | instskip(NEXT) | instid1(VALU_DEP_2)
	v_cndmask_b32_e64 v46, 0x80000000, -1, s29
	v_and_b32_e32 v2, s56, v44
	v_ashrrev_i32_e32 v44, 31, v39
	s_delay_alu instid0(VALU_DEP_3) | instskip(NEXT) | instid1(VALU_DEP_3)
	v_xor_b32_e32 v39, v46, v39
	v_lshlrev_b32_e32 v2, 2, v2
	s_delay_alu instid0(VALU_DEP_3) | instskip(SKIP_4) | instid1(VALU_DEP_1)
	v_not_b32_e32 v47, v44
	ds_load_b32 v2, v2
	v_xor_b32_e32 v38, v47, v38
	s_wait_dscnt 0x0
	v_add_nc_u32_e32 v2, v2, v94
	v_lshlrev_b64_e32 v[44:45], 3, v[2:3]
	s_delay_alu instid0(VALU_DEP_1) | instskip(SKIP_1) | instid1(VALU_DEP_2)
	v_add_co_u32 v44, s29, s38, v44
	s_wait_alu 0xf1ff
	v_add_co_ci_u32_e64 v45, null, s39, v45, s29
	global_store_b64 v[44:45], v[38:39], off
	s_wait_alu 0xfffe
	s_or_b32 exec_lo, exec_lo, s30
	v_cmp_lt_u32_e64 s29, v95, v164
	s_and_saveexec_b32 s59, s29
	s_cbranch_execnz .LBB1227_776
	s_branch .LBB1227_777
.LBB1227_844:                           ;   in Loop: Header=BB1227_682 Depth=2
	global_load_b64 v[36:37], v[38:39], off
	s_wait_alu 0xfffe
	s_or_b32 exec_lo, exec_lo, s30
	s_delay_alu instid0(SALU_CYCLE_1)
	s_mov_b32 s34, exec_lo
	v_cmpx_lt_u32_e64 v130, v164
	s_cbranch_execz .LBB1227_779
.LBB1227_845:                           ;   in Loop: Header=BB1227_682 Depth=2
	global_load_b64 v[34:35], v[38:39], off offset:256
	s_wait_alu 0xfffe
	s_or_b32 exec_lo, exec_lo, s34
	s_delay_alu instid0(SALU_CYCLE_1)
	s_mov_b32 s34, exec_lo
	v_cmpx_lt_u32_e64 v131, v164
	s_cbranch_execz .LBB1227_780
.LBB1227_846:                           ;   in Loop: Header=BB1227_682 Depth=2
	global_load_b64 v[32:33], v[38:39], off offset:512
	s_wait_alu 0xfffe
	s_or_b32 exec_lo, exec_lo, s34
	s_delay_alu instid0(SALU_CYCLE_1)
	s_mov_b32 s34, exec_lo
	v_cmpx_lt_u32_e64 v132, v164
	s_cbranch_execz .LBB1227_781
.LBB1227_847:                           ;   in Loop: Header=BB1227_682 Depth=2
	global_load_b64 v[30:31], v[38:39], off offset:768
	s_wait_alu 0xfffe
	s_or_b32 exec_lo, exec_lo, s34
	s_delay_alu instid0(SALU_CYCLE_1)
	s_mov_b32 s34, exec_lo
	v_cmpx_lt_u32_e64 v133, v164
	s_cbranch_execz .LBB1227_782
.LBB1227_848:                           ;   in Loop: Header=BB1227_682 Depth=2
	global_load_b64 v[28:29], v[38:39], off offset:1024
	s_wait_alu 0xfffe
	s_or_b32 exec_lo, exec_lo, s34
	s_delay_alu instid0(SALU_CYCLE_1)
	s_mov_b32 s34, exec_lo
	v_cmpx_lt_u32_e64 v134, v164
	s_cbranch_execz .LBB1227_783
.LBB1227_849:                           ;   in Loop: Header=BB1227_682 Depth=2
	global_load_b64 v[26:27], v[38:39], off offset:1280
	s_wait_alu 0xfffe
	s_or_b32 exec_lo, exec_lo, s34
	s_delay_alu instid0(SALU_CYCLE_1)
	s_mov_b32 s34, exec_lo
	v_cmpx_lt_u32_e64 v135, v164
	s_cbranch_execz .LBB1227_784
.LBB1227_850:                           ;   in Loop: Header=BB1227_682 Depth=2
	global_load_b64 v[24:25], v[38:39], off offset:1536
	s_wait_alu 0xfffe
	s_or_b32 exec_lo, exec_lo, s34
	s_delay_alu instid0(SALU_CYCLE_1)
	s_mov_b32 s34, exec_lo
	v_cmpx_lt_u32_e64 v136, v164
	s_cbranch_execz .LBB1227_785
.LBB1227_851:                           ;   in Loop: Header=BB1227_682 Depth=2
	global_load_b64 v[22:23], v[38:39], off offset:1792
	s_wait_alu 0xfffe
	s_or_b32 exec_lo, exec_lo, s34
	s_delay_alu instid0(SALU_CYCLE_1)
	s_mov_b32 s34, exec_lo
	v_cmpx_lt_u32_e64 v137, v164
	s_cbranch_execz .LBB1227_786
.LBB1227_852:                           ;   in Loop: Header=BB1227_682 Depth=2
	global_load_b64 v[20:21], v[38:39], off offset:2048
	s_wait_alu 0xfffe
	s_or_b32 exec_lo, exec_lo, s34
	s_delay_alu instid0(SALU_CYCLE_1)
	s_mov_b32 s34, exec_lo
	v_cmpx_lt_u32_e64 v138, v164
	s_cbranch_execz .LBB1227_787
.LBB1227_853:                           ;   in Loop: Header=BB1227_682 Depth=2
	global_load_b64 v[18:19], v[38:39], off offset:2304
	s_wait_alu 0xfffe
	s_or_b32 exec_lo, exec_lo, s34
	s_delay_alu instid0(SALU_CYCLE_1)
	s_mov_b32 s34, exec_lo
	v_cmpx_lt_u32_e64 v139, v164
	s_cbranch_execz .LBB1227_788
.LBB1227_854:                           ;   in Loop: Header=BB1227_682 Depth=2
	global_load_b64 v[16:17], v[38:39], off offset:2560
	s_wait_alu 0xfffe
	s_or_b32 exec_lo, exec_lo, s34
	s_delay_alu instid0(SALU_CYCLE_1)
	s_mov_b32 s34, exec_lo
	v_cmpx_lt_u32_e64 v140, v164
	s_cbranch_execz .LBB1227_789
.LBB1227_855:                           ;   in Loop: Header=BB1227_682 Depth=2
	global_load_b64 v[14:15], v[38:39], off offset:2816
	s_wait_alu 0xfffe
	s_or_b32 exec_lo, exec_lo, s34
	s_delay_alu instid0(SALU_CYCLE_1)
	s_mov_b32 s34, exec_lo
	v_cmpx_lt_u32_e64 v141, v164
	s_cbranch_execz .LBB1227_790
.LBB1227_856:                           ;   in Loop: Header=BB1227_682 Depth=2
	global_load_b64 v[12:13], v[38:39], off offset:3072
	s_wait_alu 0xfffe
	s_or_b32 exec_lo, exec_lo, s34
	s_delay_alu instid0(SALU_CYCLE_1)
	s_mov_b32 s34, exec_lo
	v_cmpx_lt_u32_e64 v142, v164
	s_cbranch_execz .LBB1227_791
.LBB1227_857:                           ;   in Loop: Header=BB1227_682 Depth=2
	global_load_b64 v[10:11], v[38:39], off offset:3328
	s_wait_alu 0xfffe
	s_or_b32 exec_lo, exec_lo, s34
	s_delay_alu instid0(SALU_CYCLE_1)
	s_mov_b32 s34, exec_lo
	v_cmpx_lt_u32_e64 v143, v164
	s_cbranch_execz .LBB1227_792
.LBB1227_858:                           ;   in Loop: Header=BB1227_682 Depth=2
	global_load_b64 v[8:9], v[38:39], off offset:3584
	s_wait_alu 0xfffe
	s_or_b32 exec_lo, exec_lo, s34
	s_delay_alu instid0(SALU_CYCLE_1)
	s_mov_b32 s34, exec_lo
	v_cmpx_lt_u32_e64 v144, v164
	s_cbranch_execz .LBB1227_793
.LBB1227_859:                           ;   in Loop: Header=BB1227_682 Depth=2
	global_load_b64 v[6:7], v[38:39], off offset:3840
	s_wait_alu 0xfffe
	s_or_b32 exec_lo, exec_lo, s34
	s_and_saveexec_b32 s34, vcc_lo
	s_cbranch_execz .LBB1227_794
.LBB1227_860:                           ;   in Loop: Header=BB1227_682 Depth=2
	ds_load_b64 v[38:39], v110 offset:1024
	s_wait_dscnt 0x0
	v_cmp_ne_u64_e64 s30, s[42:43], v[38:39]
	s_wait_alu 0xf1ff
	s_delay_alu instid0(VALU_DEP_1) | instskip(SKIP_1) | instid1(VALU_DEP_1)
	v_cndmask_b32_e64 v39, 0x80000000, v39, s30
	v_cndmask_b32_e64 v38, 0, v38, s30
	v_lshrrev_b64 v[38:39], s31, v[38:39]
	s_delay_alu instid0(VALU_DEP_1)
	v_and_b32_e32 v163, s56, v38
	s_wait_alu 0xfffe
	s_or_b32 exec_lo, exec_lo, s34
	s_and_saveexec_b32 s34, s15
	s_cbranch_execz .LBB1227_795
.LBB1227_861:                           ;   in Loop: Header=BB1227_682 Depth=2
	ds_load_b64 v[38:39], v110 offset:3072
	s_wait_dscnt 0x0
	v_cmp_ne_u64_e64 s30, s[42:43], v[38:39]
	s_wait_alu 0xf1ff
	s_delay_alu instid0(VALU_DEP_1) | instskip(SKIP_1) | instid1(VALU_DEP_1)
	v_cndmask_b32_e64 v39, 0x80000000, v39, s30
	v_cndmask_b32_e64 v38, 0, v38, s30
	v_lshrrev_b64 v[38:39], s31, v[38:39]
	s_delay_alu instid0(VALU_DEP_1)
	v_and_b32_e32 v162, s56, v38
	s_wait_alu 0xfffe
	s_or_b32 exec_lo, exec_lo, s34
	s_and_saveexec_b32 s34, s16
	s_cbranch_execz .LBB1227_796
.LBB1227_862:                           ;   in Loop: Header=BB1227_682 Depth=2
	ds_load_b64 v[38:39], v110 offset:5120
	s_wait_dscnt 0x0
	v_cmp_ne_u64_e64 s30, s[42:43], v[38:39]
	s_wait_alu 0xf1ff
	s_delay_alu instid0(VALU_DEP_1) | instskip(SKIP_1) | instid1(VALU_DEP_1)
	v_cndmask_b32_e64 v39, 0x80000000, v39, s30
	v_cndmask_b32_e64 v38, 0, v38, s30
	v_lshrrev_b64 v[38:39], s31, v[38:39]
	s_delay_alu instid0(VALU_DEP_1)
	v_and_b32_e32 v161, s56, v38
	s_wait_alu 0xfffe
	s_or_b32 exec_lo, exec_lo, s34
	s_and_saveexec_b32 s34, s17
	s_cbranch_execz .LBB1227_797
.LBB1227_863:                           ;   in Loop: Header=BB1227_682 Depth=2
	ds_load_b64 v[38:39], v110 offset:7168
	s_wait_dscnt 0x0
	v_cmp_ne_u64_e64 s30, s[42:43], v[38:39]
	s_wait_alu 0xf1ff
	s_delay_alu instid0(VALU_DEP_1) | instskip(SKIP_1) | instid1(VALU_DEP_1)
	v_cndmask_b32_e64 v39, 0x80000000, v39, s30
	v_cndmask_b32_e64 v38, 0, v38, s30
	v_lshrrev_b64 v[38:39], s31, v[38:39]
	s_delay_alu instid0(VALU_DEP_1)
	v_and_b32_e32 v160, s56, v38
	s_wait_alu 0xfffe
	s_or_b32 exec_lo, exec_lo, s34
	s_and_saveexec_b32 s34, s18
	s_cbranch_execz .LBB1227_798
.LBB1227_864:                           ;   in Loop: Header=BB1227_682 Depth=2
	ds_load_b64 v[38:39], v110 offset:9216
	s_wait_dscnt 0x0
	v_cmp_ne_u64_e64 s30, s[42:43], v[38:39]
	s_wait_alu 0xf1ff
	s_delay_alu instid0(VALU_DEP_1) | instskip(SKIP_1) | instid1(VALU_DEP_1)
	v_cndmask_b32_e64 v39, 0x80000000, v39, s30
	v_cndmask_b32_e64 v38, 0, v38, s30
	v_lshrrev_b64 v[38:39], s31, v[38:39]
	s_delay_alu instid0(VALU_DEP_1)
	v_and_b32_e32 v159, s56, v38
	s_wait_alu 0xfffe
	s_or_b32 exec_lo, exec_lo, s34
	s_and_saveexec_b32 s34, s19
	s_cbranch_execz .LBB1227_799
.LBB1227_865:                           ;   in Loop: Header=BB1227_682 Depth=2
	ds_load_b64 v[38:39], v110 offset:11264
	s_wait_dscnt 0x0
	v_cmp_ne_u64_e64 s30, s[42:43], v[38:39]
	s_wait_alu 0xf1ff
	s_delay_alu instid0(VALU_DEP_1) | instskip(SKIP_1) | instid1(VALU_DEP_1)
	v_cndmask_b32_e64 v39, 0x80000000, v39, s30
	v_cndmask_b32_e64 v38, 0, v38, s30
	v_lshrrev_b64 v[38:39], s31, v[38:39]
	s_delay_alu instid0(VALU_DEP_1)
	v_and_b32_e32 v158, s56, v38
	s_wait_alu 0xfffe
	s_or_b32 exec_lo, exec_lo, s34
	s_and_saveexec_b32 s34, s20
	s_cbranch_execz .LBB1227_800
.LBB1227_866:                           ;   in Loop: Header=BB1227_682 Depth=2
	ds_load_b64 v[38:39], v110 offset:13312
	s_wait_dscnt 0x0
	v_cmp_ne_u64_e64 s30, s[42:43], v[38:39]
	s_wait_alu 0xf1ff
	s_delay_alu instid0(VALU_DEP_1) | instskip(SKIP_1) | instid1(VALU_DEP_1)
	v_cndmask_b32_e64 v39, 0x80000000, v39, s30
	v_cndmask_b32_e64 v38, 0, v38, s30
	v_lshrrev_b64 v[38:39], s31, v[38:39]
	s_delay_alu instid0(VALU_DEP_1)
	v_and_b32_e32 v157, s56, v38
	s_wait_alu 0xfffe
	s_or_b32 exec_lo, exec_lo, s34
	s_and_saveexec_b32 s34, s21
	s_cbranch_execz .LBB1227_801
.LBB1227_867:                           ;   in Loop: Header=BB1227_682 Depth=2
	ds_load_b64 v[38:39], v110 offset:15360
	s_wait_dscnt 0x0
	v_cmp_ne_u64_e64 s30, s[42:43], v[38:39]
	s_wait_alu 0xf1ff
	s_delay_alu instid0(VALU_DEP_1) | instskip(SKIP_1) | instid1(VALU_DEP_1)
	v_cndmask_b32_e64 v39, 0x80000000, v39, s30
	v_cndmask_b32_e64 v38, 0, v38, s30
	v_lshrrev_b64 v[38:39], s31, v[38:39]
	s_delay_alu instid0(VALU_DEP_1)
	v_and_b32_e32 v156, s56, v38
	s_wait_alu 0xfffe
	s_or_b32 exec_lo, exec_lo, s34
	s_and_saveexec_b32 s34, s22
	s_cbranch_execz .LBB1227_802
.LBB1227_868:                           ;   in Loop: Header=BB1227_682 Depth=2
	ds_load_b64 v[38:39], v110 offset:17408
	s_wait_dscnt 0x0
	v_cmp_ne_u64_e64 s30, s[42:43], v[38:39]
	s_wait_alu 0xf1ff
	s_delay_alu instid0(VALU_DEP_1) | instskip(SKIP_1) | instid1(VALU_DEP_1)
	v_cndmask_b32_e64 v39, 0x80000000, v39, s30
	v_cndmask_b32_e64 v38, 0, v38, s30
	v_lshrrev_b64 v[38:39], s31, v[38:39]
	s_delay_alu instid0(VALU_DEP_1)
	v_and_b32_e32 v155, s56, v38
	s_wait_alu 0xfffe
	s_or_b32 exec_lo, exec_lo, s34
	s_and_saveexec_b32 s34, s23
	s_cbranch_execz .LBB1227_803
.LBB1227_869:                           ;   in Loop: Header=BB1227_682 Depth=2
	ds_load_b64 v[38:39], v110 offset:19456
	s_wait_dscnt 0x0
	v_cmp_ne_u64_e64 s30, s[42:43], v[38:39]
	s_wait_alu 0xf1ff
	s_delay_alu instid0(VALU_DEP_1) | instskip(SKIP_1) | instid1(VALU_DEP_1)
	v_cndmask_b32_e64 v39, 0x80000000, v39, s30
	v_cndmask_b32_e64 v38, 0, v38, s30
	v_lshrrev_b64 v[38:39], s31, v[38:39]
	s_delay_alu instid0(VALU_DEP_1)
	v_and_b32_e32 v154, s56, v38
	s_wait_alu 0xfffe
	s_or_b32 exec_lo, exec_lo, s34
	s_and_saveexec_b32 s34, s24
	s_cbranch_execz .LBB1227_804
.LBB1227_870:                           ;   in Loop: Header=BB1227_682 Depth=2
	ds_load_b64 v[38:39], v110 offset:21504
	s_wait_dscnt 0x0
	v_cmp_ne_u64_e64 s30, s[42:43], v[38:39]
	s_wait_alu 0xf1ff
	s_delay_alu instid0(VALU_DEP_1) | instskip(SKIP_1) | instid1(VALU_DEP_1)
	v_cndmask_b32_e64 v39, 0x80000000, v39, s30
	v_cndmask_b32_e64 v38, 0, v38, s30
	v_lshrrev_b64 v[38:39], s31, v[38:39]
	s_delay_alu instid0(VALU_DEP_1)
	v_and_b32_e32 v153, s56, v38
	s_wait_alu 0xfffe
	s_or_b32 exec_lo, exec_lo, s34
	s_and_saveexec_b32 s34, s25
	s_cbranch_execz .LBB1227_805
.LBB1227_871:                           ;   in Loop: Header=BB1227_682 Depth=2
	ds_load_b64 v[38:39], v110 offset:23552
	s_wait_dscnt 0x0
	v_cmp_ne_u64_e64 s30, s[42:43], v[38:39]
	s_wait_alu 0xf1ff
	s_delay_alu instid0(VALU_DEP_1) | instskip(SKIP_1) | instid1(VALU_DEP_1)
	v_cndmask_b32_e64 v39, 0x80000000, v39, s30
	v_cndmask_b32_e64 v38, 0, v38, s30
	v_lshrrev_b64 v[38:39], s31, v[38:39]
	s_delay_alu instid0(VALU_DEP_1)
	v_and_b32_e32 v152, s56, v38
	s_wait_alu 0xfffe
	s_or_b32 exec_lo, exec_lo, s34
	s_and_saveexec_b32 s34, s26
	s_cbranch_execz .LBB1227_806
.LBB1227_872:                           ;   in Loop: Header=BB1227_682 Depth=2
	ds_load_b64 v[38:39], v110 offset:25600
	s_wait_dscnt 0x0
	v_cmp_ne_u64_e64 s30, s[42:43], v[38:39]
	s_wait_alu 0xf1ff
	s_delay_alu instid0(VALU_DEP_1) | instskip(SKIP_1) | instid1(VALU_DEP_1)
	v_cndmask_b32_e64 v39, 0x80000000, v39, s30
	v_cndmask_b32_e64 v38, 0, v38, s30
	v_lshrrev_b64 v[38:39], s31, v[38:39]
	s_delay_alu instid0(VALU_DEP_1)
	v_and_b32_e32 v151, s56, v38
	s_wait_alu 0xfffe
	s_or_b32 exec_lo, exec_lo, s34
	s_and_saveexec_b32 s34, s27
	s_cbranch_execz .LBB1227_807
.LBB1227_873:                           ;   in Loop: Header=BB1227_682 Depth=2
	ds_load_b64 v[38:39], v110 offset:27648
	s_wait_dscnt 0x0
	v_cmp_ne_u64_e64 s30, s[42:43], v[38:39]
	s_wait_alu 0xf1ff
	s_delay_alu instid0(VALU_DEP_1) | instskip(SKIP_1) | instid1(VALU_DEP_1)
	v_cndmask_b32_e64 v39, 0x80000000, v39, s30
	v_cndmask_b32_e64 v38, 0, v38, s30
	v_lshrrev_b64 v[38:39], s31, v[38:39]
	s_delay_alu instid0(VALU_DEP_1)
	v_and_b32_e32 v150, s56, v38
	s_wait_alu 0xfffe
	s_or_b32 exec_lo, exec_lo, s34
	s_and_saveexec_b32 s34, s28
	s_cbranch_execz .LBB1227_808
.LBB1227_874:                           ;   in Loop: Header=BB1227_682 Depth=2
	ds_load_b64 v[38:39], v110 offset:29696
	s_wait_dscnt 0x0
	v_cmp_ne_u64_e64 s30, s[42:43], v[38:39]
	s_wait_alu 0xf1ff
	s_delay_alu instid0(VALU_DEP_1) | instskip(SKIP_1) | instid1(VALU_DEP_1)
	v_cndmask_b32_e64 v39, 0x80000000, v39, s30
	v_cndmask_b32_e64 v38, 0, v38, s30
	v_lshrrev_b64 v[38:39], s31, v[38:39]
	s_delay_alu instid0(VALU_DEP_1)
	v_and_b32_e32 v149, s56, v38
	s_wait_alu 0xfffe
	s_or_b32 exec_lo, exec_lo, s34
	s_and_saveexec_b32 s34, s29
	s_cbranch_execnz .LBB1227_809
	s_branch .LBB1227_810
.LBB1227_875:                           ;   in Loop: Header=BB1227_682 Depth=2
	v_lshlrev_b32_e32 v2, 2, v163
	ds_load_b32 v2, v2
	ds_load_b64 v[38:39], v110 offset:1024
	s_wait_dscnt 0x1
	v_add_nc_u32_e32 v2, v2, v1
	s_delay_alu instid0(VALU_DEP_1) | instskip(NEXT) | instid1(VALU_DEP_1)
	v_lshlrev_b64_e32 v[40:41], 3, v[2:3]
	v_add_co_u32 v40, vcc_lo, s44, v40
	s_wait_alu 0xfffd
	s_delay_alu instid0(VALU_DEP_2)
	v_add_co_ci_u32_e64 v41, null, s45, v41, vcc_lo
	s_wait_dscnt 0x0
	global_store_b64 v[40:41], v[38:39], off
	s_wait_alu 0xfffe
	s_or_b32 exec_lo, exec_lo, s30
	s_and_saveexec_b32 s30, s15
	s_cbranch_execz .LBB1227_812
.LBB1227_876:                           ;   in Loop: Header=BB1227_682 Depth=2
	v_lshlrev_b32_e32 v2, 2, v162
	ds_load_b32 v2, v2
	ds_load_b64 v[38:39], v110 offset:3072
	s_wait_dscnt 0x1
	v_add_nc_u32_e32 v2, v2, v79
	s_delay_alu instid0(VALU_DEP_1) | instskip(NEXT) | instid1(VALU_DEP_1)
	v_lshlrev_b64_e32 v[40:41], 3, v[2:3]
	v_add_co_u32 v40, vcc_lo, s44, v40
	s_wait_alu 0xfffd
	s_delay_alu instid0(VALU_DEP_2)
	v_add_co_ci_u32_e64 v41, null, s45, v41, vcc_lo
	s_wait_dscnt 0x0
	global_store_b64 v[40:41], v[38:39], off
	s_wait_alu 0xfffe
	s_or_b32 exec_lo, exec_lo, s30
	s_and_saveexec_b32 s15, s16
	s_cbranch_execz .LBB1227_813
.LBB1227_877:                           ;   in Loop: Header=BB1227_682 Depth=2
	v_lshlrev_b32_e32 v2, 2, v161
	ds_load_b32 v2, v2
	ds_load_b64 v[38:39], v110 offset:5120
	s_wait_dscnt 0x1
	v_add_nc_u32_e32 v2, v2, v80
	s_delay_alu instid0(VALU_DEP_1) | instskip(NEXT) | instid1(VALU_DEP_1)
	v_lshlrev_b64_e32 v[40:41], 3, v[2:3]
	v_add_co_u32 v40, vcc_lo, s44, v40
	s_wait_alu 0xfffd
	s_delay_alu instid0(VALU_DEP_2)
	v_add_co_ci_u32_e64 v41, null, s45, v41, vcc_lo
	s_wait_dscnt 0x0
	global_store_b64 v[40:41], v[38:39], off
	s_wait_alu 0xfffe
	s_or_b32 exec_lo, exec_lo, s15
	s_and_saveexec_b32 s15, s17
	s_cbranch_execz .LBB1227_814
.LBB1227_878:                           ;   in Loop: Header=BB1227_682 Depth=2
	v_lshlrev_b32_e32 v2, 2, v160
	ds_load_b32 v2, v2
	ds_load_b64 v[38:39], v110 offset:7168
	s_wait_dscnt 0x1
	v_add_nc_u32_e32 v2, v2, v81
	s_delay_alu instid0(VALU_DEP_1) | instskip(NEXT) | instid1(VALU_DEP_1)
	v_lshlrev_b64_e32 v[40:41], 3, v[2:3]
	v_add_co_u32 v40, vcc_lo, s44, v40
	s_wait_alu 0xfffd
	s_delay_alu instid0(VALU_DEP_2)
	v_add_co_ci_u32_e64 v41, null, s45, v41, vcc_lo
	s_wait_dscnt 0x0
	global_store_b64 v[40:41], v[38:39], off
	s_wait_alu 0xfffe
	s_or_b32 exec_lo, exec_lo, s15
	s_and_saveexec_b32 s15, s18
	s_cbranch_execz .LBB1227_815
.LBB1227_879:                           ;   in Loop: Header=BB1227_682 Depth=2
	v_lshlrev_b32_e32 v2, 2, v159
	ds_load_b32 v2, v2
	ds_load_b64 v[38:39], v110 offset:9216
	s_wait_dscnt 0x1
	v_add_nc_u32_e32 v2, v2, v84
	s_delay_alu instid0(VALU_DEP_1) | instskip(NEXT) | instid1(VALU_DEP_1)
	v_lshlrev_b64_e32 v[40:41], 3, v[2:3]
	v_add_co_u32 v40, vcc_lo, s44, v40
	s_wait_alu 0xfffd
	s_delay_alu instid0(VALU_DEP_2)
	v_add_co_ci_u32_e64 v41, null, s45, v41, vcc_lo
	s_wait_dscnt 0x0
	global_store_b64 v[40:41], v[38:39], off
	s_wait_alu 0xfffe
	s_or_b32 exec_lo, exec_lo, s15
	s_and_saveexec_b32 s15, s19
	s_cbranch_execz .LBB1227_816
.LBB1227_880:                           ;   in Loop: Header=BB1227_682 Depth=2
	v_lshlrev_b32_e32 v2, 2, v158
	ds_load_b32 v2, v2
	ds_load_b64 v[38:39], v110 offset:11264
	s_wait_dscnt 0x1
	v_add_nc_u32_e32 v2, v2, v85
	s_delay_alu instid0(VALU_DEP_1) | instskip(NEXT) | instid1(VALU_DEP_1)
	v_lshlrev_b64_e32 v[40:41], 3, v[2:3]
	v_add_co_u32 v40, vcc_lo, s44, v40
	s_wait_alu 0xfffd
	s_delay_alu instid0(VALU_DEP_2)
	v_add_co_ci_u32_e64 v41, null, s45, v41, vcc_lo
	s_wait_dscnt 0x0
	global_store_b64 v[40:41], v[38:39], off
	s_wait_alu 0xfffe
	s_or_b32 exec_lo, exec_lo, s15
	s_and_saveexec_b32 s15, s20
	s_cbranch_execz .LBB1227_817
.LBB1227_881:                           ;   in Loop: Header=BB1227_682 Depth=2
	v_lshlrev_b32_e32 v2, 2, v157
	ds_load_b32 v2, v2
	ds_load_b64 v[38:39], v110 offset:13312
	s_wait_dscnt 0x1
	v_add_nc_u32_e32 v2, v2, v86
	s_delay_alu instid0(VALU_DEP_1) | instskip(NEXT) | instid1(VALU_DEP_1)
	v_lshlrev_b64_e32 v[40:41], 3, v[2:3]
	v_add_co_u32 v40, vcc_lo, s44, v40
	s_wait_alu 0xfffd
	s_delay_alu instid0(VALU_DEP_2)
	v_add_co_ci_u32_e64 v41, null, s45, v41, vcc_lo
	s_wait_dscnt 0x0
	global_store_b64 v[40:41], v[38:39], off
	s_wait_alu 0xfffe
	s_or_b32 exec_lo, exec_lo, s15
	s_and_saveexec_b32 s15, s21
	s_cbranch_execz .LBB1227_818
.LBB1227_882:                           ;   in Loop: Header=BB1227_682 Depth=2
	v_lshlrev_b32_e32 v2, 2, v156
	ds_load_b32 v2, v2
	ds_load_b64 v[38:39], v110 offset:15360
	s_wait_dscnt 0x1
	v_add_nc_u32_e32 v2, v2, v87
	s_delay_alu instid0(VALU_DEP_1) | instskip(NEXT) | instid1(VALU_DEP_1)
	v_lshlrev_b64_e32 v[40:41], 3, v[2:3]
	v_add_co_u32 v40, vcc_lo, s44, v40
	s_wait_alu 0xfffd
	s_delay_alu instid0(VALU_DEP_2)
	v_add_co_ci_u32_e64 v41, null, s45, v41, vcc_lo
	s_wait_dscnt 0x0
	global_store_b64 v[40:41], v[38:39], off
	s_wait_alu 0xfffe
	s_or_b32 exec_lo, exec_lo, s15
	s_and_saveexec_b32 s15, s22
	s_cbranch_execz .LBB1227_819
.LBB1227_883:                           ;   in Loop: Header=BB1227_682 Depth=2
	v_lshlrev_b32_e32 v2, 2, v155
	ds_load_b32 v2, v2
	ds_load_b64 v[38:39], v110 offset:17408
	s_wait_dscnt 0x1
	v_add_nc_u32_e32 v2, v2, v88
	s_delay_alu instid0(VALU_DEP_1) | instskip(NEXT) | instid1(VALU_DEP_1)
	v_lshlrev_b64_e32 v[40:41], 3, v[2:3]
	v_add_co_u32 v40, vcc_lo, s44, v40
	s_wait_alu 0xfffd
	s_delay_alu instid0(VALU_DEP_2)
	v_add_co_ci_u32_e64 v41, null, s45, v41, vcc_lo
	s_wait_dscnt 0x0
	global_store_b64 v[40:41], v[38:39], off
	s_wait_alu 0xfffe
	s_or_b32 exec_lo, exec_lo, s15
	s_and_saveexec_b32 s15, s23
	s_cbranch_execz .LBB1227_820
.LBB1227_884:                           ;   in Loop: Header=BB1227_682 Depth=2
	v_lshlrev_b32_e32 v2, 2, v154
	ds_load_b32 v2, v2
	ds_load_b64 v[38:39], v110 offset:19456
	s_wait_dscnt 0x1
	v_add_nc_u32_e32 v2, v2, v89
	s_delay_alu instid0(VALU_DEP_1) | instskip(NEXT) | instid1(VALU_DEP_1)
	v_lshlrev_b64_e32 v[40:41], 3, v[2:3]
	v_add_co_u32 v40, vcc_lo, s44, v40
	s_wait_alu 0xfffd
	s_delay_alu instid0(VALU_DEP_2)
	v_add_co_ci_u32_e64 v41, null, s45, v41, vcc_lo
	s_wait_dscnt 0x0
	global_store_b64 v[40:41], v[38:39], off
	s_wait_alu 0xfffe
	s_or_b32 exec_lo, exec_lo, s15
	s_and_saveexec_b32 s15, s24
	s_cbranch_execz .LBB1227_821
.LBB1227_885:                           ;   in Loop: Header=BB1227_682 Depth=2
	v_lshlrev_b32_e32 v2, 2, v153
	ds_load_b32 v2, v2
	ds_load_b64 v[38:39], v110 offset:21504
	s_wait_dscnt 0x1
	v_add_nc_u32_e32 v2, v2, v90
	s_delay_alu instid0(VALU_DEP_1) | instskip(NEXT) | instid1(VALU_DEP_1)
	v_lshlrev_b64_e32 v[40:41], 3, v[2:3]
	v_add_co_u32 v40, vcc_lo, s44, v40
	s_wait_alu 0xfffd
	s_delay_alu instid0(VALU_DEP_2)
	v_add_co_ci_u32_e64 v41, null, s45, v41, vcc_lo
	s_wait_dscnt 0x0
	global_store_b64 v[40:41], v[38:39], off
	s_wait_alu 0xfffe
	s_or_b32 exec_lo, exec_lo, s15
	s_and_saveexec_b32 s15, s25
	s_cbranch_execz .LBB1227_822
.LBB1227_886:                           ;   in Loop: Header=BB1227_682 Depth=2
	v_lshlrev_b32_e32 v2, 2, v152
	ds_load_b32 v2, v2
	ds_load_b64 v[38:39], v110 offset:23552
	s_wait_dscnt 0x1
	v_add_nc_u32_e32 v2, v2, v91
	s_delay_alu instid0(VALU_DEP_1) | instskip(NEXT) | instid1(VALU_DEP_1)
	v_lshlrev_b64_e32 v[40:41], 3, v[2:3]
	v_add_co_u32 v40, vcc_lo, s44, v40
	s_wait_alu 0xfffd
	s_delay_alu instid0(VALU_DEP_2)
	v_add_co_ci_u32_e64 v41, null, s45, v41, vcc_lo
	s_wait_dscnt 0x0
	global_store_b64 v[40:41], v[38:39], off
	s_wait_alu 0xfffe
	s_or_b32 exec_lo, exec_lo, s15
	s_and_saveexec_b32 s15, s26
	s_cbranch_execz .LBB1227_823
.LBB1227_887:                           ;   in Loop: Header=BB1227_682 Depth=2
	v_lshlrev_b32_e32 v2, 2, v151
	ds_load_b32 v2, v2
	ds_load_b64 v[38:39], v110 offset:25600
	s_wait_dscnt 0x1
	v_add_nc_u32_e32 v2, v2, v92
	s_delay_alu instid0(VALU_DEP_1) | instskip(NEXT) | instid1(VALU_DEP_1)
	v_lshlrev_b64_e32 v[40:41], 3, v[2:3]
	v_add_co_u32 v40, vcc_lo, s44, v40
	s_wait_alu 0xfffd
	s_delay_alu instid0(VALU_DEP_2)
	v_add_co_ci_u32_e64 v41, null, s45, v41, vcc_lo
	s_wait_dscnt 0x0
	global_store_b64 v[40:41], v[38:39], off
	s_wait_alu 0xfffe
	s_or_b32 exec_lo, exec_lo, s15
	s_and_saveexec_b32 s15, s27
	s_cbranch_execz .LBB1227_824
.LBB1227_888:                           ;   in Loop: Header=BB1227_682 Depth=2
	v_lshlrev_b32_e32 v2, 2, v150
	ds_load_b32 v2, v2
	ds_load_b64 v[38:39], v110 offset:27648
	s_wait_dscnt 0x1
	v_add_nc_u32_e32 v2, v2, v93
	s_delay_alu instid0(VALU_DEP_1) | instskip(NEXT) | instid1(VALU_DEP_1)
	v_lshlrev_b64_e32 v[40:41], 3, v[2:3]
	v_add_co_u32 v40, vcc_lo, s44, v40
	s_wait_alu 0xfffd
	s_delay_alu instid0(VALU_DEP_2)
	v_add_co_ci_u32_e64 v41, null, s45, v41, vcc_lo
	s_wait_dscnt 0x0
	global_store_b64 v[40:41], v[38:39], off
	s_wait_alu 0xfffe
	s_or_b32 exec_lo, exec_lo, s15
	s_and_saveexec_b32 s15, s28
	s_cbranch_execz .LBB1227_825
.LBB1227_889:                           ;   in Loop: Header=BB1227_682 Depth=2
	v_lshlrev_b32_e32 v2, 2, v149
	ds_load_b32 v2, v2
	ds_load_b64 v[38:39], v110 offset:29696
	s_wait_dscnt 0x1
	v_add_nc_u32_e32 v2, v2, v94
	s_delay_alu instid0(VALU_DEP_1) | instskip(NEXT) | instid1(VALU_DEP_1)
	v_lshlrev_b64_e32 v[40:41], 3, v[2:3]
	v_add_co_u32 v40, vcc_lo, s44, v40
	s_wait_alu 0xfffd
	s_delay_alu instid0(VALU_DEP_2)
	v_add_co_ci_u32_e64 v41, null, s45, v41, vcc_lo
	s_wait_dscnt 0x0
	global_store_b64 v[40:41], v[38:39], off
	s_wait_alu 0xfffe
	s_or_b32 exec_lo, exec_lo, s15
	s_and_saveexec_b32 s15, s29
	s_cbranch_execnz .LBB1227_826
	s_branch .LBB1227_827
.LBB1227_890:                           ;   in Loop: Header=BB1227_12 Depth=1
	s_wait_loadcnt_dscnt 0x0
	s_barrier_signal -1
	s_mov_b32 s6, 0
	s_barrier_wait -1
.LBB1227_891:                           ;   in Loop: Header=BB1227_12 Depth=1
	s_wait_alu 0xfffe
	s_and_b32 vcc_lo, exec_lo, s6
	s_wait_alu 0xfffe
	s_cbranch_vccz .LBB1227_11
; %bb.892:                              ;   in Loop: Header=BB1227_12 Depth=1
	s_mov_b32 s8, s55
	s_mov_b32 s34, s33
	s_barrier_signal -1
	s_barrier_wait -1
	global_inv scope:SCOPE_SE
                                        ; implicit-def: $vgpr6_vgpr7
                                        ; implicit-def: $vgpr8_vgpr9
                                        ; implicit-def: $vgpr10_vgpr11
                                        ; implicit-def: $vgpr12_vgpr13
                                        ; implicit-def: $vgpr14_vgpr15
                                        ; implicit-def: $vgpr16_vgpr17
                                        ; implicit-def: $vgpr18_vgpr19
                                        ; implicit-def: $vgpr20_vgpr21
                                        ; implicit-def: $vgpr22_vgpr23
                                        ; implicit-def: $vgpr24_vgpr25
                                        ; implicit-def: $vgpr26_vgpr27
                                        ; implicit-def: $vgpr28_vgpr29
                                        ; implicit-def: $vgpr30_vgpr31
                                        ; implicit-def: $vgpr32_vgpr33
                                        ; implicit-def: $vgpr34_vgpr35
                                        ; implicit-def: $vgpr36_vgpr37
	s_branch .LBB1227_894
.LBB1227_893:                           ;   in Loop: Header=BB1227_894 Depth=2
	s_wait_alu 0xfffe
	s_or_b32 exec_lo, exec_lo, s6
	s_addk_co_i32 s8, 0xf000
	s_cmp_ge_u32 s9, s51
	s_mov_b32 s34, s9
	s_cbranch_scc1 .LBB1227_962
.LBB1227_894:                           ;   Parent Loop BB1227_12 Depth=1
                                        ; =>  This Inner Loop Header: Depth=2
	s_wait_alu 0xfffe
	s_add_co_i32 s9, s34, 0x1000
	s_mov_b32 s6, -1
	s_wait_alu 0xfffe
	s_cmp_gt_u32 s9, s51
                                        ; implicit-def: $vgpr38_vgpr39
                                        ; implicit-def: $vgpr40_vgpr41
                                        ; implicit-def: $vgpr42_vgpr43
                                        ; implicit-def: $vgpr44_vgpr45
                                        ; implicit-def: $vgpr46_vgpr47
                                        ; implicit-def: $vgpr48_vgpr49
                                        ; implicit-def: $vgpr50_vgpr51
                                        ; implicit-def: $vgpr52_vgpr53
                                        ; implicit-def: $vgpr54_vgpr55
                                        ; implicit-def: $vgpr56_vgpr57
                                        ; implicit-def: $vgpr58_vgpr59
                                        ; implicit-def: $vgpr60_vgpr61
                                        ; implicit-def: $vgpr62_vgpr63
                                        ; implicit-def: $vgpr64_vgpr65
                                        ; implicit-def: $vgpr66_vgpr67
                                        ; implicit-def: $vgpr68_vgpr69
	s_cbranch_scc1 .LBB1227_896
; %bb.895:                              ;   in Loop: Header=BB1227_894 Depth=2
	s_lshl_b64 s[6:7], s[34:35], 3
	s_wait_alu 0xfffe
	v_add_co_u32 v68, vcc_lo, v117, s6
	s_wait_alu 0xfffd
	v_add_co_ci_u32_e64 v69, null, s7, v118, vcc_lo
	s_mov_b32 s6, 0
	s_clause 0xf
	global_load_b64 v[38:39], v[68:69], off
	global_load_b64 v[40:41], v[68:69], off offset:2048
	global_load_b64 v[42:43], v[68:69], off offset:4096
	;; [unrolled: 1-line block ×15, first 2 shown]
.LBB1227_896:                           ;   in Loop: Header=BB1227_894 Depth=2
	s_wait_alu 0xfffe
	s_and_not1_b32 vcc_lo, exec_lo, s6
	s_movk_i32 s6, 0x1000
	s_wait_alu 0xfffe
	s_cbranch_vccnz .LBB1227_915
; %bb.897:                              ;   in Loop: Header=BB1227_894 Depth=2
	s_lshl_b64 s[6:7], s[34:35], 3
	s_mov_b32 s10, exec_lo
	s_wait_alu 0xfffe
	s_add_nc_u64 s[6:7], s[36:37], s[6:7]
	v_cmpx_gt_u32_e64 s8, v1
	s_cbranch_execnz .LBB1227_947
; %bb.898:                              ;   in Loop: Header=BB1227_894 Depth=2
	s_or_b32 exec_lo, exec_lo, s10
	s_delay_alu instid0(SALU_CYCLE_1)
	s_mov_b32 s10, exec_lo
	v_cmpx_gt_u32_e64 s8, v79
	s_cbranch_execnz .LBB1227_948
.LBB1227_899:                           ;   in Loop: Header=BB1227_894 Depth=2
	s_wait_alu 0xfffe
	s_or_b32 exec_lo, exec_lo, s10
	s_delay_alu instid0(SALU_CYCLE_1)
	s_mov_b32 s10, exec_lo
	v_cmpx_gt_u32_e64 s8, v80
	s_cbranch_execnz .LBB1227_949
.LBB1227_900:                           ;   in Loop: Header=BB1227_894 Depth=2
	s_wait_alu 0xfffe
	s_or_b32 exec_lo, exec_lo, s10
	s_delay_alu instid0(SALU_CYCLE_1)
	s_mov_b32 s10, exec_lo
	v_cmpx_gt_u32_e64 s8, v81
	s_cbranch_execnz .LBB1227_950
.LBB1227_901:                           ;   in Loop: Header=BB1227_894 Depth=2
	s_wait_alu 0xfffe
	s_or_b32 exec_lo, exec_lo, s10
	s_delay_alu instid0(SALU_CYCLE_1)
	s_mov_b32 s10, exec_lo
	v_cmpx_gt_u32_e64 s8, v84
	s_cbranch_execnz .LBB1227_951
.LBB1227_902:                           ;   in Loop: Header=BB1227_894 Depth=2
	s_wait_alu 0xfffe
	s_or_b32 exec_lo, exec_lo, s10
	s_delay_alu instid0(SALU_CYCLE_1)
	s_mov_b32 s10, exec_lo
	v_cmpx_gt_u32_e64 s8, v85
	s_cbranch_execnz .LBB1227_952
.LBB1227_903:                           ;   in Loop: Header=BB1227_894 Depth=2
	s_wait_alu 0xfffe
	s_or_b32 exec_lo, exec_lo, s10
	s_delay_alu instid0(SALU_CYCLE_1)
	s_mov_b32 s10, exec_lo
	v_cmpx_gt_u32_e64 s8, v86
	s_cbranch_execnz .LBB1227_953
.LBB1227_904:                           ;   in Loop: Header=BB1227_894 Depth=2
	s_wait_alu 0xfffe
	s_or_b32 exec_lo, exec_lo, s10
	s_delay_alu instid0(SALU_CYCLE_1)
	s_mov_b32 s10, exec_lo
	v_cmpx_gt_u32_e64 s8, v87
	s_cbranch_execnz .LBB1227_954
.LBB1227_905:                           ;   in Loop: Header=BB1227_894 Depth=2
	s_wait_alu 0xfffe
	s_or_b32 exec_lo, exec_lo, s10
	s_delay_alu instid0(SALU_CYCLE_1)
	s_mov_b32 s10, exec_lo
	v_cmpx_gt_u32_e64 s8, v88
	s_cbranch_execnz .LBB1227_955
.LBB1227_906:                           ;   in Loop: Header=BB1227_894 Depth=2
	s_wait_alu 0xfffe
	s_or_b32 exec_lo, exec_lo, s10
	s_delay_alu instid0(SALU_CYCLE_1)
	s_mov_b32 s10, exec_lo
	v_cmpx_gt_u32_e64 s8, v89
	s_cbranch_execnz .LBB1227_956
.LBB1227_907:                           ;   in Loop: Header=BB1227_894 Depth=2
	s_wait_alu 0xfffe
	s_or_b32 exec_lo, exec_lo, s10
	s_delay_alu instid0(SALU_CYCLE_1)
	s_mov_b32 s10, exec_lo
	v_cmpx_gt_u32_e64 s8, v90
	s_cbranch_execnz .LBB1227_957
.LBB1227_908:                           ;   in Loop: Header=BB1227_894 Depth=2
	s_wait_alu 0xfffe
	s_or_b32 exec_lo, exec_lo, s10
	s_delay_alu instid0(SALU_CYCLE_1)
	s_mov_b32 s10, exec_lo
	v_cmpx_gt_u32_e64 s8, v91
	s_cbranch_execnz .LBB1227_958
.LBB1227_909:                           ;   in Loop: Header=BB1227_894 Depth=2
	s_wait_alu 0xfffe
	s_or_b32 exec_lo, exec_lo, s10
	s_delay_alu instid0(SALU_CYCLE_1)
	s_mov_b32 s10, exec_lo
	v_cmpx_gt_u32_e64 s8, v92
	s_cbranch_execnz .LBB1227_959
.LBB1227_910:                           ;   in Loop: Header=BB1227_894 Depth=2
	s_wait_alu 0xfffe
	s_or_b32 exec_lo, exec_lo, s10
	s_delay_alu instid0(SALU_CYCLE_1)
	s_mov_b32 s10, exec_lo
	v_cmpx_gt_u32_e64 s8, v93
	s_cbranch_execnz .LBB1227_960
.LBB1227_911:                           ;   in Loop: Header=BB1227_894 Depth=2
	s_wait_alu 0xfffe
	s_or_b32 exec_lo, exec_lo, s10
	s_delay_alu instid0(SALU_CYCLE_1)
	s_mov_b32 s10, exec_lo
	v_cmpx_gt_u32_e64 s8, v94
	s_cbranch_execnz .LBB1227_961
.LBB1227_912:                           ;   in Loop: Header=BB1227_894 Depth=2
	s_wait_alu 0xfffe
	s_or_b32 exec_lo, exec_lo, s10
	s_delay_alu instid0(SALU_CYCLE_1)
	s_mov_b32 s10, exec_lo
	v_cmpx_gt_u32_e64 s8, v95
	s_cbranch_execz .LBB1227_914
.LBB1227_913:                           ;   in Loop: Header=BB1227_894 Depth=2
	global_load_b64 v[6:7], v124, s[6:7] offset:30720
.LBB1227_914:                           ;   in Loop: Header=BB1227_894 Depth=2
	s_wait_alu 0xfffe
	s_or_b32 exec_lo, exec_lo, s10
	s_wait_loadcnt 0x0
	v_dual_mov_b32 v39, v37 :: v_dual_mov_b32 v38, v36
	v_dual_mov_b32 v41, v35 :: v_dual_mov_b32 v40, v34
	;; [unrolled: 1-line block ×16, first 2 shown]
	s_mov_b32 s6, s8
.LBB1227_915:                           ;   in Loop: Header=BB1227_894 Depth=2
	s_wait_loadcnt 0x0
	s_delay_alu instid0(VALU_DEP_1)
	v_dual_mov_b32 v6, v68 :: v_dual_mov_b32 v7, v69
	v_dual_mov_b32 v8, v66 :: v_dual_mov_b32 v9, v67
	;; [unrolled: 1-line block ×16, first 2 shown]
	s_mov_b32 s7, exec_lo
	s_wait_alu 0xfffe
	v_cmpx_gt_u32_e64 s6, v1
	s_cbranch_execnz .LBB1227_931
; %bb.916:                              ;   in Loop: Header=BB1227_894 Depth=2
	s_or_b32 exec_lo, exec_lo, s7
	s_delay_alu instid0(SALU_CYCLE_1)
	s_mov_b32 s7, exec_lo
	v_cmpx_gt_u32_e64 s6, v79
	s_cbranch_execnz .LBB1227_932
.LBB1227_917:                           ;   in Loop: Header=BB1227_894 Depth=2
	s_wait_alu 0xfffe
	s_or_b32 exec_lo, exec_lo, s7
	s_delay_alu instid0(SALU_CYCLE_1)
	s_mov_b32 s7, exec_lo
	v_cmpx_gt_u32_e64 s6, v80
	s_cbranch_execnz .LBB1227_933
.LBB1227_918:                           ;   in Loop: Header=BB1227_894 Depth=2
	s_wait_alu 0xfffe
	s_or_b32 exec_lo, exec_lo, s7
	s_delay_alu instid0(SALU_CYCLE_1)
	s_mov_b32 s7, exec_lo
	v_cmpx_gt_u32_e64 s6, v81
	s_cbranch_execnz .LBB1227_934
.LBB1227_919:                           ;   in Loop: Header=BB1227_894 Depth=2
	s_wait_alu 0xfffe
	s_or_b32 exec_lo, exec_lo, s7
	s_delay_alu instid0(SALU_CYCLE_1)
	s_mov_b32 s7, exec_lo
	v_cmpx_gt_u32_e64 s6, v84
	s_cbranch_execnz .LBB1227_935
.LBB1227_920:                           ;   in Loop: Header=BB1227_894 Depth=2
	s_wait_alu 0xfffe
	s_or_b32 exec_lo, exec_lo, s7
	s_delay_alu instid0(SALU_CYCLE_1)
	s_mov_b32 s7, exec_lo
	v_cmpx_gt_u32_e64 s6, v85
	s_cbranch_execnz .LBB1227_936
.LBB1227_921:                           ;   in Loop: Header=BB1227_894 Depth=2
	s_wait_alu 0xfffe
	s_or_b32 exec_lo, exec_lo, s7
	s_delay_alu instid0(SALU_CYCLE_1)
	s_mov_b32 s7, exec_lo
	v_cmpx_gt_u32_e64 s6, v86
	s_cbranch_execnz .LBB1227_937
.LBB1227_922:                           ;   in Loop: Header=BB1227_894 Depth=2
	s_wait_alu 0xfffe
	s_or_b32 exec_lo, exec_lo, s7
	s_delay_alu instid0(SALU_CYCLE_1)
	s_mov_b32 s7, exec_lo
	v_cmpx_gt_u32_e64 s6, v87
	s_cbranch_execnz .LBB1227_938
.LBB1227_923:                           ;   in Loop: Header=BB1227_894 Depth=2
	s_wait_alu 0xfffe
	s_or_b32 exec_lo, exec_lo, s7
	s_delay_alu instid0(SALU_CYCLE_1)
	s_mov_b32 s7, exec_lo
	v_cmpx_gt_u32_e64 s6, v88
	s_cbranch_execnz .LBB1227_939
.LBB1227_924:                           ;   in Loop: Header=BB1227_894 Depth=2
	s_wait_alu 0xfffe
	s_or_b32 exec_lo, exec_lo, s7
	s_delay_alu instid0(SALU_CYCLE_1)
	s_mov_b32 s7, exec_lo
	v_cmpx_gt_u32_e64 s6, v89
	s_cbranch_execnz .LBB1227_940
.LBB1227_925:                           ;   in Loop: Header=BB1227_894 Depth=2
	s_wait_alu 0xfffe
	s_or_b32 exec_lo, exec_lo, s7
	s_delay_alu instid0(SALU_CYCLE_1)
	s_mov_b32 s7, exec_lo
	v_cmpx_gt_u32_e64 s6, v90
	s_cbranch_execnz .LBB1227_941
.LBB1227_926:                           ;   in Loop: Header=BB1227_894 Depth=2
	s_wait_alu 0xfffe
	s_or_b32 exec_lo, exec_lo, s7
	s_delay_alu instid0(SALU_CYCLE_1)
	s_mov_b32 s7, exec_lo
	v_cmpx_gt_u32_e64 s6, v91
	s_cbranch_execnz .LBB1227_942
.LBB1227_927:                           ;   in Loop: Header=BB1227_894 Depth=2
	s_wait_alu 0xfffe
	s_or_b32 exec_lo, exec_lo, s7
	s_delay_alu instid0(SALU_CYCLE_1)
	s_mov_b32 s7, exec_lo
	v_cmpx_gt_u32_e64 s6, v92
	s_cbranch_execnz .LBB1227_943
.LBB1227_928:                           ;   in Loop: Header=BB1227_894 Depth=2
	s_wait_alu 0xfffe
	s_or_b32 exec_lo, exec_lo, s7
	s_delay_alu instid0(SALU_CYCLE_1)
	s_mov_b32 s7, exec_lo
	v_cmpx_gt_u32_e64 s6, v93
	s_cbranch_execnz .LBB1227_944
.LBB1227_929:                           ;   in Loop: Header=BB1227_894 Depth=2
	s_wait_alu 0xfffe
	s_or_b32 exec_lo, exec_lo, s7
	s_delay_alu instid0(SALU_CYCLE_1)
	s_mov_b32 s7, exec_lo
	v_cmpx_gt_u32_e64 s6, v94
	s_cbranch_execnz .LBB1227_945
.LBB1227_930:                           ;   in Loop: Header=BB1227_894 Depth=2
	s_wait_alu 0xfffe
	s_or_b32 exec_lo, exec_lo, s7
	v_cmp_gt_u32_e32 vcc_lo, s6, v95
	s_and_saveexec_b32 s6, vcc_lo
	s_cbranch_execz .LBB1227_893
	s_branch .LBB1227_946
.LBB1227_931:                           ;   in Loop: Header=BB1227_894 Depth=2
	v_cmp_lt_i64_e32 vcc_lo, -1, v[36:37]
	v_ashrrev_i32_e32 v38, 31, v37
	s_delay_alu instid0(VALU_DEP_1) | instskip(SKIP_2) | instid1(VALU_DEP_1)
	v_xor_b32_e32 v38, v38, v36
	s_wait_alu 0xfffd
	v_cndmask_b32_e64 v2, -1, 0x80000000, vcc_lo
	v_xor_b32_e32 v39, v2, v37
	s_delay_alu instid0(VALU_DEP_1) | instskip(SKIP_3) | instid1(VALU_DEP_1)
	v_cmp_ne_u64_e32 vcc_lo, s[42:43], v[38:39]
	s_wait_alu 0xfffd
	v_cndmask_b32_e32 v39, 0x80000000, v39, vcc_lo
	v_cndmask_b32_e32 v38, 0, v38, vcc_lo
	v_lshrrev_b64 v[38:39], s31, v[38:39]
	s_delay_alu instid0(VALU_DEP_1) | instskip(NEXT) | instid1(VALU_DEP_1)
	v_and_b32_e32 v2, s56, v38
	v_lshl_or_b32 v2, v2, 4, v96
	ds_add_u32 v2, v123
	s_or_b32 exec_lo, exec_lo, s7
	s_delay_alu instid0(SALU_CYCLE_1)
	s_mov_b32 s7, exec_lo
	v_cmpx_gt_u32_e64 s6, v79
	s_cbranch_execz .LBB1227_917
.LBB1227_932:                           ;   in Loop: Header=BB1227_894 Depth=2
	v_cmp_lt_i64_e32 vcc_lo, -1, v[34:35]
	v_ashrrev_i32_e32 v38, 31, v35
	s_delay_alu instid0(VALU_DEP_1) | instskip(SKIP_2) | instid1(VALU_DEP_1)
	v_xor_b32_e32 v38, v38, v34
	s_wait_alu 0xfffd
	v_cndmask_b32_e64 v2, -1, 0x80000000, vcc_lo
	v_xor_b32_e32 v39, v2, v35
	s_delay_alu instid0(VALU_DEP_1) | instskip(SKIP_3) | instid1(VALU_DEP_1)
	v_cmp_ne_u64_e32 vcc_lo, s[42:43], v[38:39]
	s_wait_alu 0xfffd
	v_cndmask_b32_e32 v39, 0x80000000, v39, vcc_lo
	v_cndmask_b32_e32 v38, 0, v38, vcc_lo
	v_lshrrev_b64 v[38:39], s31, v[38:39]
	s_delay_alu instid0(VALU_DEP_1) | instskip(NEXT) | instid1(VALU_DEP_1)
	v_and_b32_e32 v2, s56, v38
	v_lshl_or_b32 v2, v2, 4, v96
	ds_add_u32 v2, v123
	s_wait_alu 0xfffe
	s_or_b32 exec_lo, exec_lo, s7
	s_delay_alu instid0(SALU_CYCLE_1)
	s_mov_b32 s7, exec_lo
	v_cmpx_gt_u32_e64 s6, v80
	s_cbranch_execz .LBB1227_918
.LBB1227_933:                           ;   in Loop: Header=BB1227_894 Depth=2
	v_cmp_lt_i64_e32 vcc_lo, -1, v[32:33]
	v_ashrrev_i32_e32 v38, 31, v33
	s_delay_alu instid0(VALU_DEP_1) | instskip(SKIP_2) | instid1(VALU_DEP_1)
	v_xor_b32_e32 v38, v38, v32
	s_wait_alu 0xfffd
	v_cndmask_b32_e64 v2, -1, 0x80000000, vcc_lo
	v_xor_b32_e32 v39, v2, v33
	s_delay_alu instid0(VALU_DEP_1) | instskip(SKIP_3) | instid1(VALU_DEP_1)
	v_cmp_ne_u64_e32 vcc_lo, s[42:43], v[38:39]
	s_wait_alu 0xfffd
	v_cndmask_b32_e32 v39, 0x80000000, v39, vcc_lo
	v_cndmask_b32_e32 v38, 0, v38, vcc_lo
	v_lshrrev_b64 v[38:39], s31, v[38:39]
	s_delay_alu instid0(VALU_DEP_1) | instskip(NEXT) | instid1(VALU_DEP_1)
	v_and_b32_e32 v2, s56, v38
	v_lshl_or_b32 v2, v2, 4, v96
	ds_add_u32 v2, v123
	s_wait_alu 0xfffe
	s_or_b32 exec_lo, exec_lo, s7
	s_delay_alu instid0(SALU_CYCLE_1)
	s_mov_b32 s7, exec_lo
	v_cmpx_gt_u32_e64 s6, v81
	s_cbranch_execz .LBB1227_919
.LBB1227_934:                           ;   in Loop: Header=BB1227_894 Depth=2
	v_cmp_lt_i64_e32 vcc_lo, -1, v[30:31]
	v_ashrrev_i32_e32 v38, 31, v31
	s_delay_alu instid0(VALU_DEP_1) | instskip(SKIP_2) | instid1(VALU_DEP_1)
	v_xor_b32_e32 v38, v38, v30
	s_wait_alu 0xfffd
	v_cndmask_b32_e64 v2, -1, 0x80000000, vcc_lo
	v_xor_b32_e32 v39, v2, v31
	s_delay_alu instid0(VALU_DEP_1) | instskip(SKIP_3) | instid1(VALU_DEP_1)
	v_cmp_ne_u64_e32 vcc_lo, s[42:43], v[38:39]
	s_wait_alu 0xfffd
	v_cndmask_b32_e32 v39, 0x80000000, v39, vcc_lo
	v_cndmask_b32_e32 v38, 0, v38, vcc_lo
	v_lshrrev_b64 v[38:39], s31, v[38:39]
	s_delay_alu instid0(VALU_DEP_1) | instskip(NEXT) | instid1(VALU_DEP_1)
	v_and_b32_e32 v2, s56, v38
	v_lshl_or_b32 v2, v2, 4, v96
	ds_add_u32 v2, v123
	s_wait_alu 0xfffe
	s_or_b32 exec_lo, exec_lo, s7
	s_delay_alu instid0(SALU_CYCLE_1)
	s_mov_b32 s7, exec_lo
	v_cmpx_gt_u32_e64 s6, v84
	s_cbranch_execz .LBB1227_920
.LBB1227_935:                           ;   in Loop: Header=BB1227_894 Depth=2
	v_cmp_lt_i64_e32 vcc_lo, -1, v[28:29]
	v_ashrrev_i32_e32 v38, 31, v29
	s_delay_alu instid0(VALU_DEP_1) | instskip(SKIP_2) | instid1(VALU_DEP_1)
	v_xor_b32_e32 v38, v38, v28
	s_wait_alu 0xfffd
	v_cndmask_b32_e64 v2, -1, 0x80000000, vcc_lo
	v_xor_b32_e32 v39, v2, v29
	s_delay_alu instid0(VALU_DEP_1) | instskip(SKIP_3) | instid1(VALU_DEP_1)
	v_cmp_ne_u64_e32 vcc_lo, s[42:43], v[38:39]
	s_wait_alu 0xfffd
	v_cndmask_b32_e32 v39, 0x80000000, v39, vcc_lo
	v_cndmask_b32_e32 v38, 0, v38, vcc_lo
	v_lshrrev_b64 v[38:39], s31, v[38:39]
	s_delay_alu instid0(VALU_DEP_1) | instskip(NEXT) | instid1(VALU_DEP_1)
	v_and_b32_e32 v2, s56, v38
	v_lshl_or_b32 v2, v2, 4, v96
	ds_add_u32 v2, v123
	s_wait_alu 0xfffe
	s_or_b32 exec_lo, exec_lo, s7
	s_delay_alu instid0(SALU_CYCLE_1)
	s_mov_b32 s7, exec_lo
	v_cmpx_gt_u32_e64 s6, v85
	s_cbranch_execz .LBB1227_921
.LBB1227_936:                           ;   in Loop: Header=BB1227_894 Depth=2
	v_cmp_lt_i64_e32 vcc_lo, -1, v[26:27]
	v_ashrrev_i32_e32 v38, 31, v27
	s_delay_alu instid0(VALU_DEP_1) | instskip(SKIP_2) | instid1(VALU_DEP_1)
	v_xor_b32_e32 v38, v38, v26
	s_wait_alu 0xfffd
	v_cndmask_b32_e64 v2, -1, 0x80000000, vcc_lo
	v_xor_b32_e32 v39, v2, v27
	s_delay_alu instid0(VALU_DEP_1) | instskip(SKIP_3) | instid1(VALU_DEP_1)
	v_cmp_ne_u64_e32 vcc_lo, s[42:43], v[38:39]
	s_wait_alu 0xfffd
	v_cndmask_b32_e32 v39, 0x80000000, v39, vcc_lo
	v_cndmask_b32_e32 v38, 0, v38, vcc_lo
	v_lshrrev_b64 v[38:39], s31, v[38:39]
	s_delay_alu instid0(VALU_DEP_1) | instskip(NEXT) | instid1(VALU_DEP_1)
	v_and_b32_e32 v2, s56, v38
	v_lshl_or_b32 v2, v2, 4, v96
	ds_add_u32 v2, v123
	s_wait_alu 0xfffe
	s_or_b32 exec_lo, exec_lo, s7
	s_delay_alu instid0(SALU_CYCLE_1)
	s_mov_b32 s7, exec_lo
	v_cmpx_gt_u32_e64 s6, v86
	s_cbranch_execz .LBB1227_922
.LBB1227_937:                           ;   in Loop: Header=BB1227_894 Depth=2
	v_cmp_lt_i64_e32 vcc_lo, -1, v[24:25]
	v_ashrrev_i32_e32 v38, 31, v25
	s_delay_alu instid0(VALU_DEP_1) | instskip(SKIP_2) | instid1(VALU_DEP_1)
	v_xor_b32_e32 v38, v38, v24
	s_wait_alu 0xfffd
	v_cndmask_b32_e64 v2, -1, 0x80000000, vcc_lo
	v_xor_b32_e32 v39, v2, v25
	s_delay_alu instid0(VALU_DEP_1) | instskip(SKIP_3) | instid1(VALU_DEP_1)
	v_cmp_ne_u64_e32 vcc_lo, s[42:43], v[38:39]
	s_wait_alu 0xfffd
	v_cndmask_b32_e32 v39, 0x80000000, v39, vcc_lo
	v_cndmask_b32_e32 v38, 0, v38, vcc_lo
	v_lshrrev_b64 v[38:39], s31, v[38:39]
	s_delay_alu instid0(VALU_DEP_1) | instskip(NEXT) | instid1(VALU_DEP_1)
	v_and_b32_e32 v2, s56, v38
	v_lshl_or_b32 v2, v2, 4, v96
	ds_add_u32 v2, v123
	s_wait_alu 0xfffe
	s_or_b32 exec_lo, exec_lo, s7
	s_delay_alu instid0(SALU_CYCLE_1)
	s_mov_b32 s7, exec_lo
	v_cmpx_gt_u32_e64 s6, v87
	s_cbranch_execz .LBB1227_923
.LBB1227_938:                           ;   in Loop: Header=BB1227_894 Depth=2
	v_cmp_lt_i64_e32 vcc_lo, -1, v[22:23]
	v_ashrrev_i32_e32 v38, 31, v23
	s_delay_alu instid0(VALU_DEP_1) | instskip(SKIP_2) | instid1(VALU_DEP_1)
	v_xor_b32_e32 v38, v38, v22
	s_wait_alu 0xfffd
	v_cndmask_b32_e64 v2, -1, 0x80000000, vcc_lo
	v_xor_b32_e32 v39, v2, v23
	s_delay_alu instid0(VALU_DEP_1) | instskip(SKIP_3) | instid1(VALU_DEP_1)
	v_cmp_ne_u64_e32 vcc_lo, s[42:43], v[38:39]
	s_wait_alu 0xfffd
	v_cndmask_b32_e32 v39, 0x80000000, v39, vcc_lo
	v_cndmask_b32_e32 v38, 0, v38, vcc_lo
	v_lshrrev_b64 v[38:39], s31, v[38:39]
	s_delay_alu instid0(VALU_DEP_1) | instskip(NEXT) | instid1(VALU_DEP_1)
	v_and_b32_e32 v2, s56, v38
	v_lshl_or_b32 v2, v2, 4, v96
	ds_add_u32 v2, v123
	s_wait_alu 0xfffe
	s_or_b32 exec_lo, exec_lo, s7
	s_delay_alu instid0(SALU_CYCLE_1)
	s_mov_b32 s7, exec_lo
	v_cmpx_gt_u32_e64 s6, v88
	s_cbranch_execz .LBB1227_924
.LBB1227_939:                           ;   in Loop: Header=BB1227_894 Depth=2
	v_cmp_lt_i64_e32 vcc_lo, -1, v[20:21]
	v_ashrrev_i32_e32 v38, 31, v21
	s_delay_alu instid0(VALU_DEP_1) | instskip(SKIP_2) | instid1(VALU_DEP_1)
	v_xor_b32_e32 v38, v38, v20
	s_wait_alu 0xfffd
	v_cndmask_b32_e64 v2, -1, 0x80000000, vcc_lo
	v_xor_b32_e32 v39, v2, v21
	s_delay_alu instid0(VALU_DEP_1) | instskip(SKIP_3) | instid1(VALU_DEP_1)
	v_cmp_ne_u64_e32 vcc_lo, s[42:43], v[38:39]
	s_wait_alu 0xfffd
	v_cndmask_b32_e32 v39, 0x80000000, v39, vcc_lo
	v_cndmask_b32_e32 v38, 0, v38, vcc_lo
	v_lshrrev_b64 v[38:39], s31, v[38:39]
	s_delay_alu instid0(VALU_DEP_1) | instskip(NEXT) | instid1(VALU_DEP_1)
	v_and_b32_e32 v2, s56, v38
	v_lshl_or_b32 v2, v2, 4, v96
	ds_add_u32 v2, v123
	s_wait_alu 0xfffe
	s_or_b32 exec_lo, exec_lo, s7
	s_delay_alu instid0(SALU_CYCLE_1)
	s_mov_b32 s7, exec_lo
	v_cmpx_gt_u32_e64 s6, v89
	s_cbranch_execz .LBB1227_925
.LBB1227_940:                           ;   in Loop: Header=BB1227_894 Depth=2
	v_cmp_lt_i64_e32 vcc_lo, -1, v[18:19]
	v_ashrrev_i32_e32 v38, 31, v19
	s_delay_alu instid0(VALU_DEP_1) | instskip(SKIP_2) | instid1(VALU_DEP_1)
	v_xor_b32_e32 v38, v38, v18
	s_wait_alu 0xfffd
	v_cndmask_b32_e64 v2, -1, 0x80000000, vcc_lo
	v_xor_b32_e32 v39, v2, v19
	s_delay_alu instid0(VALU_DEP_1) | instskip(SKIP_3) | instid1(VALU_DEP_1)
	v_cmp_ne_u64_e32 vcc_lo, s[42:43], v[38:39]
	s_wait_alu 0xfffd
	v_cndmask_b32_e32 v39, 0x80000000, v39, vcc_lo
	v_cndmask_b32_e32 v38, 0, v38, vcc_lo
	v_lshrrev_b64 v[38:39], s31, v[38:39]
	s_delay_alu instid0(VALU_DEP_1) | instskip(NEXT) | instid1(VALU_DEP_1)
	v_and_b32_e32 v2, s56, v38
	v_lshl_or_b32 v2, v2, 4, v96
	ds_add_u32 v2, v123
	s_wait_alu 0xfffe
	s_or_b32 exec_lo, exec_lo, s7
	s_delay_alu instid0(SALU_CYCLE_1)
	s_mov_b32 s7, exec_lo
	v_cmpx_gt_u32_e64 s6, v90
	s_cbranch_execz .LBB1227_926
.LBB1227_941:                           ;   in Loop: Header=BB1227_894 Depth=2
	v_cmp_lt_i64_e32 vcc_lo, -1, v[16:17]
	v_ashrrev_i32_e32 v38, 31, v17
	s_delay_alu instid0(VALU_DEP_1) | instskip(SKIP_2) | instid1(VALU_DEP_1)
	v_xor_b32_e32 v38, v38, v16
	s_wait_alu 0xfffd
	v_cndmask_b32_e64 v2, -1, 0x80000000, vcc_lo
	v_xor_b32_e32 v39, v2, v17
	s_delay_alu instid0(VALU_DEP_1) | instskip(SKIP_3) | instid1(VALU_DEP_1)
	v_cmp_ne_u64_e32 vcc_lo, s[42:43], v[38:39]
	s_wait_alu 0xfffd
	v_cndmask_b32_e32 v39, 0x80000000, v39, vcc_lo
	v_cndmask_b32_e32 v38, 0, v38, vcc_lo
	v_lshrrev_b64 v[38:39], s31, v[38:39]
	s_delay_alu instid0(VALU_DEP_1) | instskip(NEXT) | instid1(VALU_DEP_1)
	v_and_b32_e32 v2, s56, v38
	v_lshl_or_b32 v2, v2, 4, v96
	ds_add_u32 v2, v123
	s_wait_alu 0xfffe
	s_or_b32 exec_lo, exec_lo, s7
	s_delay_alu instid0(SALU_CYCLE_1)
	s_mov_b32 s7, exec_lo
	v_cmpx_gt_u32_e64 s6, v91
	s_cbranch_execz .LBB1227_927
.LBB1227_942:                           ;   in Loop: Header=BB1227_894 Depth=2
	v_cmp_lt_i64_e32 vcc_lo, -1, v[14:15]
	v_ashrrev_i32_e32 v38, 31, v15
	s_delay_alu instid0(VALU_DEP_1) | instskip(SKIP_2) | instid1(VALU_DEP_1)
	v_xor_b32_e32 v38, v38, v14
	s_wait_alu 0xfffd
	v_cndmask_b32_e64 v2, -1, 0x80000000, vcc_lo
	v_xor_b32_e32 v39, v2, v15
	s_delay_alu instid0(VALU_DEP_1) | instskip(SKIP_3) | instid1(VALU_DEP_1)
	v_cmp_ne_u64_e32 vcc_lo, s[42:43], v[38:39]
	s_wait_alu 0xfffd
	v_cndmask_b32_e32 v39, 0x80000000, v39, vcc_lo
	v_cndmask_b32_e32 v38, 0, v38, vcc_lo
	v_lshrrev_b64 v[38:39], s31, v[38:39]
	s_delay_alu instid0(VALU_DEP_1) | instskip(NEXT) | instid1(VALU_DEP_1)
	v_and_b32_e32 v2, s56, v38
	v_lshl_or_b32 v2, v2, 4, v96
	ds_add_u32 v2, v123
	s_wait_alu 0xfffe
	s_or_b32 exec_lo, exec_lo, s7
	s_delay_alu instid0(SALU_CYCLE_1)
	s_mov_b32 s7, exec_lo
	v_cmpx_gt_u32_e64 s6, v92
	s_cbranch_execz .LBB1227_928
.LBB1227_943:                           ;   in Loop: Header=BB1227_894 Depth=2
	v_cmp_lt_i64_e32 vcc_lo, -1, v[12:13]
	v_ashrrev_i32_e32 v38, 31, v13
	s_delay_alu instid0(VALU_DEP_1) | instskip(SKIP_2) | instid1(VALU_DEP_1)
	v_xor_b32_e32 v38, v38, v12
	s_wait_alu 0xfffd
	v_cndmask_b32_e64 v2, -1, 0x80000000, vcc_lo
	v_xor_b32_e32 v39, v2, v13
	s_delay_alu instid0(VALU_DEP_1) | instskip(SKIP_3) | instid1(VALU_DEP_1)
	v_cmp_ne_u64_e32 vcc_lo, s[42:43], v[38:39]
	s_wait_alu 0xfffd
	v_cndmask_b32_e32 v39, 0x80000000, v39, vcc_lo
	v_cndmask_b32_e32 v38, 0, v38, vcc_lo
	v_lshrrev_b64 v[38:39], s31, v[38:39]
	s_delay_alu instid0(VALU_DEP_1) | instskip(NEXT) | instid1(VALU_DEP_1)
	v_and_b32_e32 v2, s56, v38
	v_lshl_or_b32 v2, v2, 4, v96
	ds_add_u32 v2, v123
	s_wait_alu 0xfffe
	s_or_b32 exec_lo, exec_lo, s7
	s_delay_alu instid0(SALU_CYCLE_1)
	s_mov_b32 s7, exec_lo
	v_cmpx_gt_u32_e64 s6, v93
	s_cbranch_execz .LBB1227_929
.LBB1227_944:                           ;   in Loop: Header=BB1227_894 Depth=2
	v_cmp_lt_i64_e32 vcc_lo, -1, v[10:11]
	v_ashrrev_i32_e32 v38, 31, v11
	s_delay_alu instid0(VALU_DEP_1) | instskip(SKIP_2) | instid1(VALU_DEP_1)
	v_xor_b32_e32 v38, v38, v10
	s_wait_alu 0xfffd
	v_cndmask_b32_e64 v2, -1, 0x80000000, vcc_lo
	v_xor_b32_e32 v39, v2, v11
	s_delay_alu instid0(VALU_DEP_1) | instskip(SKIP_3) | instid1(VALU_DEP_1)
	v_cmp_ne_u64_e32 vcc_lo, s[42:43], v[38:39]
	s_wait_alu 0xfffd
	v_cndmask_b32_e32 v39, 0x80000000, v39, vcc_lo
	v_cndmask_b32_e32 v38, 0, v38, vcc_lo
	v_lshrrev_b64 v[38:39], s31, v[38:39]
	s_delay_alu instid0(VALU_DEP_1) | instskip(NEXT) | instid1(VALU_DEP_1)
	v_and_b32_e32 v2, s56, v38
	v_lshl_or_b32 v2, v2, 4, v96
	ds_add_u32 v2, v123
	s_wait_alu 0xfffe
	s_or_b32 exec_lo, exec_lo, s7
	s_delay_alu instid0(SALU_CYCLE_1)
	s_mov_b32 s7, exec_lo
	v_cmpx_gt_u32_e64 s6, v94
	s_cbranch_execz .LBB1227_930
.LBB1227_945:                           ;   in Loop: Header=BB1227_894 Depth=2
	v_cmp_lt_i64_e32 vcc_lo, -1, v[8:9]
	v_ashrrev_i32_e32 v38, 31, v9
	s_delay_alu instid0(VALU_DEP_1) | instskip(SKIP_2) | instid1(VALU_DEP_1)
	v_xor_b32_e32 v38, v38, v8
	s_wait_alu 0xfffd
	v_cndmask_b32_e64 v2, -1, 0x80000000, vcc_lo
	v_xor_b32_e32 v39, v2, v9
	s_delay_alu instid0(VALU_DEP_1) | instskip(SKIP_3) | instid1(VALU_DEP_1)
	v_cmp_ne_u64_e32 vcc_lo, s[42:43], v[38:39]
	s_wait_alu 0xfffd
	v_cndmask_b32_e32 v39, 0x80000000, v39, vcc_lo
	v_cndmask_b32_e32 v38, 0, v38, vcc_lo
	v_lshrrev_b64 v[38:39], s31, v[38:39]
	s_delay_alu instid0(VALU_DEP_1) | instskip(NEXT) | instid1(VALU_DEP_1)
	v_and_b32_e32 v2, s56, v38
	v_lshl_or_b32 v2, v2, 4, v96
	ds_add_u32 v2, v123
	s_wait_alu 0xfffe
	s_or_b32 exec_lo, exec_lo, s7
	v_cmp_gt_u32_e32 vcc_lo, s6, v95
	s_and_saveexec_b32 s6, vcc_lo
	s_cbranch_execz .LBB1227_893
.LBB1227_946:                           ;   in Loop: Header=BB1227_894 Depth=2
	v_cmp_lt_i64_e32 vcc_lo, -1, v[6:7]
	v_ashrrev_i32_e32 v38, 31, v7
	s_delay_alu instid0(VALU_DEP_1) | instskip(SKIP_2) | instid1(VALU_DEP_1)
	v_xor_b32_e32 v38, v38, v6
	s_wait_alu 0xfffd
	v_cndmask_b32_e64 v2, -1, 0x80000000, vcc_lo
	v_xor_b32_e32 v39, v2, v7
	s_delay_alu instid0(VALU_DEP_1) | instskip(SKIP_3) | instid1(VALU_DEP_1)
	v_cmp_ne_u64_e32 vcc_lo, s[42:43], v[38:39]
	s_wait_alu 0xfffd
	v_cndmask_b32_e32 v39, 0x80000000, v39, vcc_lo
	v_cndmask_b32_e32 v38, 0, v38, vcc_lo
	v_lshrrev_b64 v[38:39], s31, v[38:39]
	s_delay_alu instid0(VALU_DEP_1) | instskip(NEXT) | instid1(VALU_DEP_1)
	v_and_b32_e32 v2, s56, v38
	v_lshl_or_b32 v2, v2, 4, v96
	ds_add_u32 v2, v123
	s_branch .LBB1227_893
.LBB1227_947:                           ;   in Loop: Header=BB1227_894 Depth=2
	global_load_b64 v[36:37], v124, s[6:7]
	s_or_b32 exec_lo, exec_lo, s10
	s_delay_alu instid0(SALU_CYCLE_1)
	s_mov_b32 s10, exec_lo
	v_cmpx_gt_u32_e64 s8, v79
	s_cbranch_execz .LBB1227_899
.LBB1227_948:                           ;   in Loop: Header=BB1227_894 Depth=2
	global_load_b64 v[34:35], v124, s[6:7] offset:2048
	s_wait_alu 0xfffe
	s_or_b32 exec_lo, exec_lo, s10
	s_delay_alu instid0(SALU_CYCLE_1)
	s_mov_b32 s10, exec_lo
	v_cmpx_gt_u32_e64 s8, v80
	s_cbranch_execz .LBB1227_900
.LBB1227_949:                           ;   in Loop: Header=BB1227_894 Depth=2
	global_load_b64 v[32:33], v124, s[6:7] offset:4096
	s_wait_alu 0xfffe
	s_or_b32 exec_lo, exec_lo, s10
	s_delay_alu instid0(SALU_CYCLE_1)
	s_mov_b32 s10, exec_lo
	v_cmpx_gt_u32_e64 s8, v81
	s_cbranch_execz .LBB1227_901
.LBB1227_950:                           ;   in Loop: Header=BB1227_894 Depth=2
	global_load_b64 v[30:31], v124, s[6:7] offset:6144
	s_wait_alu 0xfffe
	s_or_b32 exec_lo, exec_lo, s10
	s_delay_alu instid0(SALU_CYCLE_1)
	s_mov_b32 s10, exec_lo
	v_cmpx_gt_u32_e64 s8, v84
	s_cbranch_execz .LBB1227_902
.LBB1227_951:                           ;   in Loop: Header=BB1227_894 Depth=2
	global_load_b64 v[28:29], v124, s[6:7] offset:8192
	s_wait_alu 0xfffe
	s_or_b32 exec_lo, exec_lo, s10
	s_delay_alu instid0(SALU_CYCLE_1)
	s_mov_b32 s10, exec_lo
	v_cmpx_gt_u32_e64 s8, v85
	s_cbranch_execz .LBB1227_903
.LBB1227_952:                           ;   in Loop: Header=BB1227_894 Depth=2
	global_load_b64 v[26:27], v124, s[6:7] offset:10240
	s_wait_alu 0xfffe
	s_or_b32 exec_lo, exec_lo, s10
	s_delay_alu instid0(SALU_CYCLE_1)
	s_mov_b32 s10, exec_lo
	v_cmpx_gt_u32_e64 s8, v86
	s_cbranch_execz .LBB1227_904
.LBB1227_953:                           ;   in Loop: Header=BB1227_894 Depth=2
	global_load_b64 v[24:25], v124, s[6:7] offset:12288
	s_wait_alu 0xfffe
	s_or_b32 exec_lo, exec_lo, s10
	s_delay_alu instid0(SALU_CYCLE_1)
	s_mov_b32 s10, exec_lo
	v_cmpx_gt_u32_e64 s8, v87
	s_cbranch_execz .LBB1227_905
.LBB1227_954:                           ;   in Loop: Header=BB1227_894 Depth=2
	global_load_b64 v[22:23], v124, s[6:7] offset:14336
	s_wait_alu 0xfffe
	s_or_b32 exec_lo, exec_lo, s10
	s_delay_alu instid0(SALU_CYCLE_1)
	s_mov_b32 s10, exec_lo
	v_cmpx_gt_u32_e64 s8, v88
	s_cbranch_execz .LBB1227_906
.LBB1227_955:                           ;   in Loop: Header=BB1227_894 Depth=2
	global_load_b64 v[20:21], v124, s[6:7] offset:16384
	s_wait_alu 0xfffe
	s_or_b32 exec_lo, exec_lo, s10
	s_delay_alu instid0(SALU_CYCLE_1)
	s_mov_b32 s10, exec_lo
	v_cmpx_gt_u32_e64 s8, v89
	s_cbranch_execz .LBB1227_907
.LBB1227_956:                           ;   in Loop: Header=BB1227_894 Depth=2
	global_load_b64 v[18:19], v124, s[6:7] offset:18432
	s_wait_alu 0xfffe
	s_or_b32 exec_lo, exec_lo, s10
	s_delay_alu instid0(SALU_CYCLE_1)
	s_mov_b32 s10, exec_lo
	v_cmpx_gt_u32_e64 s8, v90
	s_cbranch_execz .LBB1227_908
.LBB1227_957:                           ;   in Loop: Header=BB1227_894 Depth=2
	global_load_b64 v[16:17], v124, s[6:7] offset:20480
	s_wait_alu 0xfffe
	s_or_b32 exec_lo, exec_lo, s10
	s_delay_alu instid0(SALU_CYCLE_1)
	s_mov_b32 s10, exec_lo
	v_cmpx_gt_u32_e64 s8, v91
	s_cbranch_execz .LBB1227_909
.LBB1227_958:                           ;   in Loop: Header=BB1227_894 Depth=2
	global_load_b64 v[14:15], v124, s[6:7] offset:22528
	s_wait_alu 0xfffe
	s_or_b32 exec_lo, exec_lo, s10
	s_delay_alu instid0(SALU_CYCLE_1)
	s_mov_b32 s10, exec_lo
	v_cmpx_gt_u32_e64 s8, v92
	s_cbranch_execz .LBB1227_910
.LBB1227_959:                           ;   in Loop: Header=BB1227_894 Depth=2
	global_load_b64 v[12:13], v124, s[6:7] offset:24576
	s_wait_alu 0xfffe
	s_or_b32 exec_lo, exec_lo, s10
	s_delay_alu instid0(SALU_CYCLE_1)
	s_mov_b32 s10, exec_lo
	v_cmpx_gt_u32_e64 s8, v93
	s_cbranch_execz .LBB1227_911
.LBB1227_960:                           ;   in Loop: Header=BB1227_894 Depth=2
	global_load_b64 v[10:11], v124, s[6:7] offset:26624
	s_wait_alu 0xfffe
	s_or_b32 exec_lo, exec_lo, s10
	s_delay_alu instid0(SALU_CYCLE_1)
	s_mov_b32 s10, exec_lo
	v_cmpx_gt_u32_e64 s8, v94
	s_cbranch_execz .LBB1227_912
.LBB1227_961:                           ;   in Loop: Header=BB1227_894 Depth=2
	global_load_b64 v[8:9], v124, s[6:7] offset:28672
	s_wait_alu 0xfffe
	s_or_b32 exec_lo, exec_lo, s10
	s_delay_alu instid0(SALU_CYCLE_1)
	s_mov_b32 s10, exec_lo
	v_cmpx_gt_u32_e64 s8, v95
	s_cbranch_execnz .LBB1227_913
	s_branch .LBB1227_914
.LBB1227_962:                           ;   in Loop: Header=BB1227_12 Depth=1
	v_mov_b32_e32 v2, 0
	s_wait_dscnt 0x0
	s_barrier_signal -1
	s_barrier_wait -1
	global_inv scope:SCOPE_SE
	s_and_saveexec_b32 s6, s2
	s_cbranch_execz .LBB1227_964
; %bb.963:                              ;   in Loop: Header=BB1227_12 Depth=1
	ds_load_2addr_b64 v[6:9], v98 offset1:1
	s_wait_dscnt 0x0
	v_add_nc_u32_e32 v2, v7, v6
	s_delay_alu instid0(VALU_DEP_1)
	v_add3_u32 v2, v2, v8, v9
.LBB1227_964:                           ;   in Loop: Header=BB1227_12 Depth=1
	s_wait_alu 0xfffe
	s_or_b32 exec_lo, exec_lo, s6
	v_and_b32_e32 v6, 15, v125
	s_delay_alu instid0(VALU_DEP_2) | instskip(SKIP_1) | instid1(VALU_DEP_3)
	v_mov_b32_dpp v7, v2 row_shr:1 row_mask:0xf bank_mask:0xf
	v_and_b32_e32 v8, 16, v125
	v_cmp_eq_u32_e64 s6, 0, v6
	v_cmp_lt_u32_e64 s7, 1, v6
	v_cmp_lt_u32_e64 s8, 3, v6
	;; [unrolled: 1-line block ×3, first 2 shown]
	v_cmp_eq_u32_e64 s10, 0, v8
	s_wait_alu 0xf1ff
	v_cndmask_b32_e64 v7, v7, 0, s6
	s_delay_alu instid0(VALU_DEP_1) | instskip(NEXT) | instid1(VALU_DEP_1)
	v_add_nc_u32_e32 v2, v7, v2
	v_mov_b32_dpp v7, v2 row_shr:2 row_mask:0xf bank_mask:0xf
	s_delay_alu instid0(VALU_DEP_1) | instskip(NEXT) | instid1(VALU_DEP_1)
	v_cndmask_b32_e64 v7, 0, v7, s7
	v_add_nc_u32_e32 v2, v2, v7
	s_delay_alu instid0(VALU_DEP_1) | instskip(NEXT) | instid1(VALU_DEP_1)
	v_mov_b32_dpp v7, v2 row_shr:4 row_mask:0xf bank_mask:0xf
	v_cndmask_b32_e64 v7, 0, v7, s8
	s_delay_alu instid0(VALU_DEP_1) | instskip(NEXT) | instid1(VALU_DEP_1)
	v_add_nc_u32_e32 v2, v2, v7
	v_mov_b32_dpp v7, v2 row_shr:8 row_mask:0xf bank_mask:0xf
	s_delay_alu instid0(VALU_DEP_1) | instskip(SKIP_1) | instid1(VALU_DEP_2)
	v_cndmask_b32_e64 v6, 0, v7, s9
	v_bfe_i32 v7, v125, 4, 1
	v_add_nc_u32_e32 v2, v2, v6
	ds_swizzle_b32 v6, v2 offset:swizzle(BROADCAST,32,15)
	s_wait_dscnt 0x0
	v_and_b32_e32 v6, v7, v6
	s_delay_alu instid0(VALU_DEP_1)
	v_add_nc_u32_e32 v6, v2, v6
	s_and_saveexec_b32 s11, s3
; %bb.965:                              ;   in Loop: Header=BB1227_12 Depth=1
	ds_store_b32 v99, v6
; %bb.966:                              ;   in Loop: Header=BB1227_12 Depth=1
	s_wait_alu 0xfffe
	s_or_b32 exec_lo, exec_lo, s11
	v_and_b32_e32 v2, 7, v125
	s_wait_loadcnt_dscnt 0x0
	s_barrier_signal -1
	s_barrier_wait -1
	global_inv scope:SCOPE_SE
	s_and_saveexec_b32 s11, s4
	s_cbranch_execz .LBB1227_968
; %bb.967:                              ;   in Loop: Header=BB1227_12 Depth=1
	ds_load_b32 v7, v100
	v_cmp_ne_u32_e32 vcc_lo, 0, v2
	s_wait_dscnt 0x0
	v_mov_b32_dpp v8, v7 row_shr:1 row_mask:0xf bank_mask:0xf
	s_wait_alu 0xfffd
	s_delay_alu instid0(VALU_DEP_1) | instskip(SKIP_1) | instid1(VALU_DEP_2)
	v_cndmask_b32_e32 v8, 0, v8, vcc_lo
	v_cmp_lt_u32_e32 vcc_lo, 1, v2
	v_add_nc_u32_e32 v7, v8, v7
	s_delay_alu instid0(VALU_DEP_1) | instskip(SKIP_1) | instid1(VALU_DEP_1)
	v_mov_b32_dpp v8, v7 row_shr:2 row_mask:0xf bank_mask:0xf
	s_wait_alu 0xfffd
	v_cndmask_b32_e32 v8, 0, v8, vcc_lo
	v_cmp_lt_u32_e32 vcc_lo, 3, v2
	s_delay_alu instid0(VALU_DEP_2) | instskip(NEXT) | instid1(VALU_DEP_1)
	v_add_nc_u32_e32 v7, v7, v8
	v_mov_b32_dpp v8, v7 row_shr:4 row_mask:0xf bank_mask:0xf
	s_wait_alu 0xfffd
	s_delay_alu instid0(VALU_DEP_1) | instskip(NEXT) | instid1(VALU_DEP_1)
	v_cndmask_b32_e32 v8, 0, v8, vcc_lo
	v_add_nc_u32_e32 v7, v7, v8
	ds_store_b32 v100, v7
.LBB1227_968:                           ;   in Loop: Header=BB1227_12 Depth=1
	s_wait_alu 0xfffe
	s_or_b32 exec_lo, exec_lo, s11
	v_mov_b32_e32 v7, 0
	s_wait_loadcnt_dscnt 0x0
	s_barrier_signal -1
	s_barrier_wait -1
	global_inv scope:SCOPE_SE
	s_and_saveexec_b32 s11, s5
; %bb.969:                              ;   in Loop: Header=BB1227_12 Depth=1
	ds_load_b32 v7, v101
; %bb.970:                              ;   in Loop: Header=BB1227_12 Depth=1
	s_wait_alu 0xfffe
	s_or_b32 exec_lo, exec_lo, s11
	v_sub_co_u32 v8, s11, v125, 1
	s_wait_dscnt 0x0
	v_add_nc_u32_e32 v6, v7, v6
	s_wait_loadcnt 0x0
	s_barrier_signal -1
	v_cmp_gt_i32_e32 vcc_lo, 0, v8
	s_barrier_wait -1
	global_inv scope:SCOPE_SE
	s_wait_alu 0xfffd
	v_cndmask_b32_e32 v8, v8, v125, vcc_lo
	s_delay_alu instid0(VALU_DEP_1)
	v_lshlrev_b32_e32 v126, 2, v8
	ds_bpermute_b32 v6, v126, v6
	s_and_saveexec_b32 s12, s2
	s_cbranch_execz .LBB1227_972
; %bb.971:                              ;   in Loop: Header=BB1227_12 Depth=1
	s_wait_dscnt 0x0
	v_cndmask_b32_e64 v6, v6, v7, s11
	s_delay_alu instid0(VALU_DEP_1)
	v_add_nc_u32_e32 v6, s33, v6
	ds_store_b32 v78, v6
.LBB1227_972:                           ;   in Loop: Header=BB1227_12 Depth=1
	s_wait_alu 0xfffe
	s_or_b32 exec_lo, exec_lo, s12
	s_load_b64 s[12:13], s[52:53], 0x0
	v_lshlrev_b32_e32 v8, 3, v125
	v_or_b32_e32 v127, v125, v102
	s_mov_b32 s57, s55
                                        ; implicit-def: $vgpr10_vgpr11
                                        ; implicit-def: $vgpr12_vgpr13
                                        ; implicit-def: $vgpr14_vgpr15
                                        ; implicit-def: $vgpr16_vgpr17
                                        ; implicit-def: $vgpr18_vgpr19
                                        ; implicit-def: $vgpr20_vgpr21
                                        ; implicit-def: $vgpr22_vgpr23
                                        ; implicit-def: $vgpr24_vgpr25
                                        ; implicit-def: $vgpr26_vgpr27
                                        ; implicit-def: $vgpr28_vgpr29
                                        ; implicit-def: $vgpr30_vgpr31
                                        ; implicit-def: $vgpr32_vgpr33
                                        ; implicit-def: $vgpr34_vgpr35
                                        ; implicit-def: $vgpr36_vgpr37
                                        ; implicit-def: $vgpr148
                                        ; implicit-def: $vgpr149
                                        ; implicit-def: $vgpr150
                                        ; implicit-def: $vgpr151
                                        ; implicit-def: $vgpr152
                                        ; implicit-def: $vgpr153
                                        ; implicit-def: $vgpr154
                                        ; implicit-def: $vgpr155
                                        ; implicit-def: $vgpr156
                                        ; implicit-def: $vgpr157
                                        ; implicit-def: $vgpr158
                                        ; implicit-def: $vgpr159
                                        ; implicit-def: $vgpr160
                                        ; implicit-def: $vgpr161
                                        ; implicit-def: $vgpr162
                                        ; implicit-def: $vgpr163
	s_delay_alu instid0(VALU_DEP_2)
	v_add_co_u32 v128, vcc_lo, v119, v8
	s_wait_alu 0xfffd
	v_add_co_ci_u32_e64 v129, null, 0, v120, vcc_lo
	v_add_co_u32 v145, vcc_lo, v121, v8
	v_or_b32_e32 v130, 32, v127
	v_or_b32_e32 v131, 64, v127
	;; [unrolled: 1-line block ×8, first 2 shown]
	s_wait_kmcnt 0x0
	s_cmp_lt_u32 ttmp7, s13
	v_or_b32_e32 v138, 0x120, v127
	s_cselect_b32 s34, 14, 20
	s_cmp_lt_u32 ttmp9, s12
	s_wait_alu 0xfffe
	s_add_nc_u64 s[14:15], s[52:53], s[34:35]
	s_cselect_b32 s34, 12, 18
	s_load_u16 s15, s[14:15], 0x0
	s_add_nc_u64 s[12:13], s[52:53], s[34:35]
	v_or_b32_e32 v139, 0x140, v127
	s_load_u16 s16, s[12:13], 0x0
	v_cmp_eq_u32_e64 s12, 0, v2
	v_cmp_lt_u32_e64 s13, 1, v2
	v_cmp_lt_u32_e64 s14, 3, v2
	v_or_b32_e32 v140, 0x160, v127
	v_or_b32_e32 v141, 0x180, v127
	;; [unrolled: 1-line block ×5, first 2 shown]
	v_add_co_ci_u32_e64 v146, null, 0, v122, vcc_lo
	s_mov_b32 s34, s33
                                        ; implicit-def: $vgpr8_vgpr9
	s_wait_kmcnt 0x0
	v_mad_u32_u24 v2, v104, s15, v0
	s_wait_dscnt 0x0
	s_delay_alu instid0(VALU_DEP_1) | instskip(NEXT) | instid1(VALU_DEP_1)
	v_mad_co_u64_u32 v[6:7], null, v2, s16, v[1:2]
	v_lshrrev_b32_e32 v2, 3, v6
                                        ; implicit-def: $vgpr6_vgpr7
	s_delay_alu instid0(VALU_DEP_1)
	v_and_b32_e32 v147, 0x1ffffffc, v2
	s_branch .LBB1227_974
.LBB1227_973:                           ;   in Loop: Header=BB1227_974 Depth=2
	s_wait_alu 0xfffe
	s_or_b32 exec_lo, exec_lo, s15
	s_addk_co_i32 s57, 0xf000
	s_cmp_lt_u32 s58, s51
	s_mov_b32 s34, s58
	s_cbranch_scc0 .LBB1227_10
.LBB1227_974:                           ;   Parent Loop BB1227_12 Depth=1
                                        ; =>  This Inner Loop Header: Depth=2
	s_wait_alu 0xfffe
	s_add_co_i32 s58, s34, 0x1000
	s_wait_alu 0xfffe
	s_cmp_gt_u32 s58, s51
	s_cbranch_scc1 .LBB1227_976
; %bb.975:                              ;   in Loop: Header=BB1227_974 Depth=2
	s_lshl_b64 s[16:17], s[34:35], 3
	s_mov_b32 s15, -1
	s_wait_alu 0xfffe
	v_add_co_u32 v44, vcc_lo, v145, s16
	s_wait_alu 0xfffd
	v_add_co_ci_u32_e64 v45, null, s17, v146, vcc_lo
	s_clause 0xe
	global_load_b64 v[38:39], v[44:45], off
	global_load_b64 v[40:41], v[44:45], off offset:256
	global_load_b64 v[42:43], v[44:45], off offset:512
	;; [unrolled: 1-line block ×14, first 2 shown]
	s_movk_i32 s16, 0x1000
	s_cbranch_execz .LBB1227_977
	s_branch .LBB1227_1008
.LBB1227_976:                           ;   in Loop: Header=BB1227_974 Depth=2
	s_mov_b32 s15, 0
                                        ; implicit-def: $vgpr38_vgpr39
                                        ; implicit-def: $vgpr40_vgpr41
                                        ; implicit-def: $vgpr42_vgpr43
                                        ; implicit-def: $vgpr48_vgpr49
                                        ; implicit-def: $vgpr54_vgpr55
                                        ; implicit-def: $vgpr58_vgpr59
                                        ; implicit-def: $vgpr62_vgpr63
                                        ; implicit-def: $vgpr66_vgpr67
                                        ; implicit-def: $vgpr68_vgpr69
                                        ; implicit-def: $vgpr64_vgpr65
                                        ; implicit-def: $vgpr60_vgpr61
                                        ; implicit-def: $vgpr56_vgpr57
                                        ; implicit-def: $vgpr52_vgpr53
                                        ; implicit-def: $vgpr50_vgpr51
                                        ; implicit-def: $vgpr46_vgpr47
	s_movk_i32 s16, 0x1000
.LBB1227_977:                           ;   in Loop: Header=BB1227_974 Depth=2
	s_wait_loadcnt 0xd
	v_dual_mov_b32 v40, v4 :: v_dual_mov_b32 v41, v5
	s_lshl_b64 s[16:17], s[34:35], 3
	s_mov_b32 s15, exec_lo
	s_wait_alu 0xfffe
	v_add_co_u32 v44, vcc_lo, v145, s16
	s_wait_alu 0xfffd
	v_add_co_ci_u32_e64 v45, null, s17, v146, vcc_lo
	v_dual_mov_b32 v38, v40 :: v_dual_mov_b32 v39, v41
	v_cmpx_gt_u32_e64 s57, v127
	s_cbranch_execz .LBB1227_979
; %bb.978:                              ;   in Loop: Header=BB1227_974 Depth=2
	global_load_b64 v[38:39], v[44:45], off
.LBB1227_979:                           ;   in Loop: Header=BB1227_974 Depth=2
	s_or_b32 exec_lo, exec_lo, s15
	s_delay_alu instid0(SALU_CYCLE_1)
	s_mov_b32 s15, exec_lo
	v_cmpx_gt_u32_e64 s57, v130
	s_cbranch_execz .LBB1227_981
; %bb.980:                              ;   in Loop: Header=BB1227_974 Depth=2
	global_load_b64 v[40:41], v[44:45], off offset:256
.LBB1227_981:                           ;   in Loop: Header=BB1227_974 Depth=2
	s_wait_alu 0xfffe
	s_or_b32 exec_lo, exec_lo, s15
	s_wait_loadcnt 0xc
	v_dual_mov_b32 v43, v5 :: v_dual_mov_b32 v42, v4
	s_mov_b32 s15, exec_lo
	v_cmpx_gt_u32_e64 s57, v131
	s_cbranch_execz .LBB1227_983
; %bb.982:                              ;   in Loop: Header=BB1227_974 Depth=2
	global_load_b64 v[42:43], v[44:45], off offset:512
.LBB1227_983:                           ;   in Loop: Header=BB1227_974 Depth=2
	s_wait_alu 0xfffe
	s_or_b32 exec_lo, exec_lo, s15
	s_wait_loadcnt 0xb
	v_dual_mov_b32 v49, v5 :: v_dual_mov_b32 v48, v4
	;; [unrolled: 10-line block ×10, first 2 shown]
	s_mov_b32 s15, exec_lo
	v_cmpx_gt_u32_e64 s57, v140
	s_cbranch_execz .LBB1227_1001
; %bb.1000:                             ;   in Loop: Header=BB1227_974 Depth=2
	global_load_b64 v[56:57], v[44:45], off offset:2816
.LBB1227_1001:                          ;   in Loop: Header=BB1227_974 Depth=2
	s_wait_alu 0xfffe
	s_or_b32 exec_lo, exec_lo, s15
	s_wait_loadcnt 0x2
	v_dual_mov_b32 v53, v5 :: v_dual_mov_b32 v52, v4
	s_mov_b32 s15, exec_lo
	v_cmpx_gt_u32_e64 s57, v141
	s_cbranch_execz .LBB1227_1003
; %bb.1002:                             ;   in Loop: Header=BB1227_974 Depth=2
	global_load_b64 v[52:53], v[44:45], off offset:3072
.LBB1227_1003:                          ;   in Loop: Header=BB1227_974 Depth=2
	s_wait_alu 0xfffe
	s_or_b32 exec_lo, exec_lo, s15
	s_wait_loadcnt 0x1
	v_dual_mov_b32 v51, v5 :: v_dual_mov_b32 v50, v4
	;; [unrolled: 10-line block ×3, first 2 shown]
	s_mov_b32 s15, exec_lo
	v_cmpx_gt_u32_e64 s57, v143
	s_cbranch_execz .LBB1227_1007
; %bb.1006:                             ;   in Loop: Header=BB1227_974 Depth=2
	global_load_b64 v[46:47], v[44:45], off offset:3584
.LBB1227_1007:                          ;   in Loop: Header=BB1227_974 Depth=2
	s_wait_alu 0xfffe
	s_or_b32 exec_lo, exec_lo, s15
	v_cmp_gt_u32_e64 s15, s57, v144
	s_sub_co_i32 s16, s51, s34
.LBB1227_1008:                          ;   in Loop: Header=BB1227_974 Depth=2
	v_dual_mov_b32 v164, s57 :: v_dual_mov_b32 v45, v5
	v_mov_b32_e32 v44, v4
	s_and_saveexec_b32 s17, s15
	s_cbranch_execz .LBB1227_1010
; %bb.1009:                             ;   in Loop: Header=BB1227_974 Depth=2
	s_lshl_b64 s[18:19], s[34:35], 3
	s_wait_alu 0xfffe
	v_mov_b32_e32 v164, s16
	v_add_co_u32 v44, vcc_lo, v145, s18
	s_wait_alu 0xfffd
	v_add_co_ci_u32_e64 v45, null, s19, v146, vcc_lo
	global_load_b64 v[44:45], v[44:45], off offset:3840
.LBB1227_1010:                          ;   in Loop: Header=BB1227_974 Depth=2
	s_wait_alu 0xfffe
	s_or_b32 exec_lo, exec_lo, s17
	s_wait_loadcnt 0xe
	v_cmp_lt_i64_e32 vcc_lo, -1, v[38:39]
	v_ashrrev_i32_e32 v70, 31, v39
	v_add_nc_u32_e32 v166, 0x420, v103
	v_add_nc_u32_e32 v167, 0x428, v103
	v_add_nc_u32_e32 v168, 0x430, v103
	s_delay_alu instid0(VALU_DEP_4) | instskip(SKIP_2) | instid1(VALU_DEP_1)
	v_xor_b32_e32 v38, v70, v38
	s_wait_alu 0xfffd
	v_cndmask_b32_e64 v2, -1, 0x80000000, vcc_lo
	v_xor_b32_e32 v39, v2, v39
	s_delay_alu instid0(VALU_DEP_1) | instskip(SKIP_3) | instid1(VALU_DEP_1)
	v_cmp_ne_u64_e32 vcc_lo, s[42:43], v[38:39]
	s_wait_alu 0xfffd
	v_cndmask_b32_e32 v71, 0x80000000, v39, vcc_lo
	v_cndmask_b32_e32 v70, 0, v38, vcc_lo
	v_lshrrev_b64 v[70:71], s31, v[70:71]
	s_delay_alu instid0(VALU_DEP_1) | instskip(NEXT) | instid1(VALU_DEP_1)
	v_and_b32_e32 v71, s56, v70
	v_and_b32_e32 v2, 1, v71
	v_lshlrev_b32_e32 v70, 30, v71
	v_lshlrev_b32_e32 v72, 29, v71
	;; [unrolled: 1-line block ×4, first 2 shown]
	v_add_co_u32 v2, s15, v2, -1
	s_wait_alu 0xf1ff
	v_cndmask_b32_e64 v74, 0, 1, s15
	v_not_b32_e32 v165, v70
	v_cmp_gt_i32_e64 s15, 0, v70
	v_not_b32_e32 v70, v72
	v_lshlrev_b32_e32 v76, 26, v71
	v_cmp_ne_u32_e32 vcc_lo, 0, v74
	v_ashrrev_i32_e32 v165, 31, v165
	v_lshlrev_b32_e32 v77, 25, v71
	v_ashrrev_i32_e32 v70, 31, v70
	v_lshlrev_b32_e32 v74, 24, v71
	s_wait_alu 0xfffd
	v_xor_b32_e32 v2, vcc_lo, v2
	v_cmp_gt_i32_e32 vcc_lo, 0, v72
	v_not_b32_e32 v72, v73
	s_wait_alu 0xf1ff
	v_xor_b32_e32 v165, s15, v165
	v_cmp_gt_i32_e64 s15, 0, v73
	v_and_b32_e32 v2, exec_lo, v2
	v_not_b32_e32 v73, v75
	v_ashrrev_i32_e32 v72, 31, v72
	s_wait_alu 0xfffd
	v_xor_b32_e32 v70, vcc_lo, v70
	v_cmp_gt_i32_e32 vcc_lo, 0, v75
	v_and_b32_e32 v2, v2, v165
	v_not_b32_e32 v75, v76
	v_ashrrev_i32_e32 v73, 31, v73
	s_wait_alu 0xf1ff
	v_xor_b32_e32 v72, s15, v72
	v_cmp_gt_i32_e64 s15, 0, v76
	v_and_b32_e32 v2, v2, v70
	v_not_b32_e32 v70, v77
	v_ashrrev_i32_e32 v75, 31, v75
	s_wait_alu 0xfffd
	v_xor_b32_e32 v73, vcc_lo, v73
	v_cmp_gt_i32_e32 vcc_lo, 0, v77
	v_and_b32_e32 v2, v2, v72
	v_not_b32_e32 v72, v74
	v_ashrrev_i32_e32 v70, 31, v70
	s_wait_alu 0xf1ff
	v_xor_b32_e32 v75, s15, v75
	v_cmp_gt_i32_e64 s15, 0, v74
	v_and_b32_e32 v2, v2, v73
	v_ashrrev_i32_e32 v72, 31, v72
	s_wait_alu 0xfffd
	v_xor_b32_e32 v70, vcc_lo, v70
	v_mul_u32_u24_e32 v71, 36, v71
	v_add_nc_u32_e32 v165, 0x438, v103
	v_and_b32_e32 v2, v2, v75
	s_wait_alu 0xf1ff
	v_xor_b32_e32 v72, s15, v72
	v_add_nc_u32_e32 v169, v147, v71
	ds_store_2addr_b32 v165, v3, v3 offset1:1
	v_and_b32_e32 v2, v2, v70
	ds_store_2addr_b32 v166, v3, v3 offset1:1
	ds_store_2addr_b32 v167, v3, v3 offset1:1
	;; [unrolled: 1-line block ×3, first 2 shown]
	ds_store_b32 v103, v3 offset:1088
	s_wait_loadcnt_dscnt 0x0
	s_barrier_signal -1
	s_barrier_wait -1
	v_and_b32_e32 v70, v2, v72
	global_inv scope:SCOPE_SE
	; wave barrier
	v_mbcnt_lo_u32_b32 v2, v70, 0
	v_cmp_ne_u32_e64 s15, 0, v70
	s_delay_alu instid0(VALU_DEP_2)
	v_cmp_eq_u32_e32 vcc_lo, 0, v2
	s_and_b32 s16, s15, vcc_lo
	s_wait_alu 0xfffe
	s_and_saveexec_b32 s15, s16
; %bb.1011:                             ;   in Loop: Header=BB1227_974 Depth=2
	v_bcnt_u32_b32 v70, v70, 0
	ds_store_b32 v169, v70 offset:1056
; %bb.1012:                             ;   in Loop: Header=BB1227_974 Depth=2
	s_wait_alu 0xfffe
	s_or_b32 exec_lo, exec_lo, s15
	v_cmp_lt_i64_e32 vcc_lo, -1, v[40:41]
	v_ashrrev_i32_e32 v71, 31, v41
	; wave barrier
	s_delay_alu instid0(VALU_DEP_1) | instskip(SKIP_2) | instid1(VALU_DEP_1)
	v_xor_b32_e32 v40, v71, v40
	s_wait_alu 0xfffd
	v_cndmask_b32_e64 v70, -1, 0x80000000, vcc_lo
	v_xor_b32_e32 v41, v70, v41
	s_delay_alu instid0(VALU_DEP_1) | instskip(SKIP_3) | instid1(VALU_DEP_1)
	v_cmp_ne_u64_e32 vcc_lo, s[42:43], v[40:41]
	s_wait_alu 0xfffd
	v_cndmask_b32_e32 v71, 0x80000000, v41, vcc_lo
	v_cndmask_b32_e32 v70, 0, v40, vcc_lo
	v_lshrrev_b64 v[70:71], s31, v[70:71]
	s_delay_alu instid0(VALU_DEP_1) | instskip(NEXT) | instid1(VALU_DEP_1)
	v_and_b32_e32 v71, s56, v70
	v_and_b32_e32 v70, 1, v71
	v_lshlrev_b32_e32 v72, 30, v71
	v_lshlrev_b32_e32 v73, 29, v71
	;; [unrolled: 1-line block ×4, first 2 shown]
	v_add_co_u32 v70, s15, v70, -1
	s_wait_alu 0xf1ff
	v_cndmask_b32_e64 v75, 0, 1, s15
	v_not_b32_e32 v171, v72
	v_cmp_gt_i32_e64 s15, 0, v72
	v_not_b32_e32 v72, v73
	v_lshlrev_b32_e32 v77, 26, v71
	v_cmp_ne_u32_e32 vcc_lo, 0, v75
	v_ashrrev_i32_e32 v171, 31, v171
	v_lshlrev_b32_e32 v170, 25, v71
	v_ashrrev_i32_e32 v72, 31, v72
	v_lshlrev_b32_e32 v75, 24, v71
	s_wait_alu 0xfffd
	v_xor_b32_e32 v70, vcc_lo, v70
	v_cmp_gt_i32_e32 vcc_lo, 0, v73
	v_not_b32_e32 v73, v74
	s_wait_alu 0xf1ff
	v_xor_b32_e32 v171, s15, v171
	v_cmp_gt_i32_e64 s15, 0, v74
	v_and_b32_e32 v70, exec_lo, v70
	v_not_b32_e32 v74, v76
	v_ashrrev_i32_e32 v73, 31, v73
	s_wait_alu 0xfffd
	v_xor_b32_e32 v72, vcc_lo, v72
	v_cmp_gt_i32_e32 vcc_lo, 0, v76
	v_and_b32_e32 v70, v70, v171
	v_not_b32_e32 v76, v77
	v_ashrrev_i32_e32 v74, 31, v74
	s_wait_alu 0xf1ff
	v_xor_b32_e32 v73, s15, v73
	v_cmp_gt_i32_e64 s15, 0, v77
	v_and_b32_e32 v70, v70, v72
	v_not_b32_e32 v72, v170
	v_ashrrev_i32_e32 v76, 31, v76
	s_wait_alu 0xfffd
	v_xor_b32_e32 v74, vcc_lo, v74
	v_cmp_gt_i32_e32 vcc_lo, 0, v170
	v_and_b32_e32 v70, v70, v73
	v_not_b32_e32 v73, v75
	v_ashrrev_i32_e32 v72, 31, v72
	s_wait_alu 0xf1ff
	v_xor_b32_e32 v76, s15, v76
	v_cmp_gt_i32_e64 s15, 0, v75
	v_and_b32_e32 v70, v70, v74
	v_ashrrev_i32_e32 v73, 31, v73
	s_wait_alu 0xfffd
	v_xor_b32_e32 v72, vcc_lo, v72
	v_mad_u32_u24 v74, v71, 36, v147
	v_mul_u32_u24_e32 v71, 36, v71
	v_and_b32_e32 v70, v70, v76
	s_wait_alu 0xf1ff
	v_xor_b32_e32 v73, s15, v73
	ds_load_b32 v170, v74 offset:1056
	v_add_nc_u32_e32 v172, v147, v71
	v_and_b32_e32 v70, v70, v72
	; wave barrier
	s_delay_alu instid0(VALU_DEP_1) | instskip(NEXT) | instid1(VALU_DEP_1)
	v_and_b32_e32 v70, v70, v73
	v_mbcnt_lo_u32_b32 v171, v70, 0
	v_cmp_ne_u32_e64 s15, 0, v70
	s_delay_alu instid0(VALU_DEP_2)
	v_cmp_eq_u32_e32 vcc_lo, 0, v171
	s_and_b32 s16, s15, vcc_lo
	s_wait_alu 0xfffe
	s_and_saveexec_b32 s15, s16
	s_cbranch_execz .LBB1227_1014
; %bb.1013:                             ;   in Loop: Header=BB1227_974 Depth=2
	s_wait_dscnt 0x0
	v_bcnt_u32_b32 v70, v70, v170
	ds_store_b32 v172, v70 offset:1056
.LBB1227_1014:                          ;   in Loop: Header=BB1227_974 Depth=2
	s_wait_alu 0xfffe
	s_or_b32 exec_lo, exec_lo, s15
	v_cmp_lt_i64_e32 vcc_lo, -1, v[42:43]
	v_ashrrev_i32_e32 v71, 31, v43
	; wave barrier
	s_delay_alu instid0(VALU_DEP_1) | instskip(SKIP_2) | instid1(VALU_DEP_1)
	v_xor_b32_e32 v42, v71, v42
	s_wait_alu 0xfffd
	v_cndmask_b32_e64 v70, -1, 0x80000000, vcc_lo
	v_xor_b32_e32 v43, v70, v43
	s_delay_alu instid0(VALU_DEP_1) | instskip(SKIP_3) | instid1(VALU_DEP_1)
	v_cmp_ne_u64_e32 vcc_lo, s[42:43], v[42:43]
	s_wait_alu 0xfffd
	v_cndmask_b32_e32 v71, 0x80000000, v43, vcc_lo
	v_cndmask_b32_e32 v70, 0, v42, vcc_lo
	v_lshrrev_b64 v[70:71], s31, v[70:71]
	s_delay_alu instid0(VALU_DEP_1) | instskip(NEXT) | instid1(VALU_DEP_1)
	v_and_b32_e32 v71, s56, v70
	v_and_b32_e32 v70, 1, v71
	v_lshlrev_b32_e32 v72, 30, v71
	v_lshlrev_b32_e32 v73, 29, v71
	;; [unrolled: 1-line block ×4, first 2 shown]
	v_add_co_u32 v70, s15, v70, -1
	s_wait_alu 0xf1ff
	v_cndmask_b32_e64 v75, 0, 1, s15
	v_not_b32_e32 v174, v72
	v_cmp_gt_i32_e64 s15, 0, v72
	v_not_b32_e32 v72, v73
	v_lshlrev_b32_e32 v77, 26, v71
	v_cmp_ne_u32_e32 vcc_lo, 0, v75
	v_ashrrev_i32_e32 v174, 31, v174
	v_lshlrev_b32_e32 v173, 25, v71
	v_ashrrev_i32_e32 v72, 31, v72
	v_lshlrev_b32_e32 v75, 24, v71
	s_wait_alu 0xfffd
	v_xor_b32_e32 v70, vcc_lo, v70
	v_cmp_gt_i32_e32 vcc_lo, 0, v73
	v_not_b32_e32 v73, v74
	s_wait_alu 0xf1ff
	v_xor_b32_e32 v174, s15, v174
	v_cmp_gt_i32_e64 s15, 0, v74
	v_and_b32_e32 v70, exec_lo, v70
	v_not_b32_e32 v74, v76
	v_ashrrev_i32_e32 v73, 31, v73
	s_wait_alu 0xfffd
	v_xor_b32_e32 v72, vcc_lo, v72
	v_cmp_gt_i32_e32 vcc_lo, 0, v76
	v_and_b32_e32 v70, v70, v174
	v_not_b32_e32 v76, v77
	v_ashrrev_i32_e32 v74, 31, v74
	s_wait_alu 0xf1ff
	v_xor_b32_e32 v73, s15, v73
	v_cmp_gt_i32_e64 s15, 0, v77
	v_and_b32_e32 v70, v70, v72
	v_not_b32_e32 v72, v173
	v_ashrrev_i32_e32 v76, 31, v76
	s_wait_alu 0xfffd
	v_xor_b32_e32 v74, vcc_lo, v74
	v_cmp_gt_i32_e32 vcc_lo, 0, v173
	v_and_b32_e32 v70, v70, v73
	v_not_b32_e32 v73, v75
	v_ashrrev_i32_e32 v72, 31, v72
	s_wait_alu 0xf1ff
	v_xor_b32_e32 v76, s15, v76
	v_cmp_gt_i32_e64 s15, 0, v75
	v_and_b32_e32 v70, v70, v74
	v_ashrrev_i32_e32 v73, 31, v73
	s_wait_alu 0xfffd
	v_xor_b32_e32 v72, vcc_lo, v72
	v_mad_u32_u24 v74, v71, 36, v147
	v_mul_u32_u24_e32 v71, 36, v71
	v_and_b32_e32 v70, v70, v76
	s_wait_alu 0xf1ff
	v_xor_b32_e32 v73, s15, v73
	ds_load_b32 v173, v74 offset:1056
	v_add_nc_u32_e32 v175, v147, v71
	v_and_b32_e32 v70, v70, v72
	; wave barrier
	s_delay_alu instid0(VALU_DEP_1) | instskip(NEXT) | instid1(VALU_DEP_1)
	v_and_b32_e32 v70, v70, v73
	v_mbcnt_lo_u32_b32 v174, v70, 0
	v_cmp_ne_u32_e64 s15, 0, v70
	s_delay_alu instid0(VALU_DEP_2)
	v_cmp_eq_u32_e32 vcc_lo, 0, v174
	s_and_b32 s16, s15, vcc_lo
	s_wait_alu 0xfffe
	s_and_saveexec_b32 s15, s16
	s_cbranch_execz .LBB1227_1016
; %bb.1015:                             ;   in Loop: Header=BB1227_974 Depth=2
	s_wait_dscnt 0x0
	v_bcnt_u32_b32 v70, v70, v173
	ds_store_b32 v175, v70 offset:1056
.LBB1227_1016:                          ;   in Loop: Header=BB1227_974 Depth=2
	s_wait_alu 0xfffe
	s_or_b32 exec_lo, exec_lo, s15
	v_cmp_lt_i64_e32 vcc_lo, -1, v[48:49]
	v_ashrrev_i32_e32 v71, 31, v49
	; wave barrier
	s_delay_alu instid0(VALU_DEP_1) | instskip(SKIP_2) | instid1(VALU_DEP_1)
	v_xor_b32_e32 v48, v71, v48
	s_wait_alu 0xfffd
	v_cndmask_b32_e64 v70, -1, 0x80000000, vcc_lo
	v_xor_b32_e32 v49, v70, v49
	s_delay_alu instid0(VALU_DEP_1) | instskip(SKIP_3) | instid1(VALU_DEP_1)
	v_cmp_ne_u64_e32 vcc_lo, s[42:43], v[48:49]
	s_wait_alu 0xfffd
	v_cndmask_b32_e32 v71, 0x80000000, v49, vcc_lo
	v_cndmask_b32_e32 v70, 0, v48, vcc_lo
	v_lshrrev_b64 v[70:71], s31, v[70:71]
	s_delay_alu instid0(VALU_DEP_1) | instskip(NEXT) | instid1(VALU_DEP_1)
	v_and_b32_e32 v71, s56, v70
	v_and_b32_e32 v70, 1, v71
	v_lshlrev_b32_e32 v72, 30, v71
	v_lshlrev_b32_e32 v73, 29, v71
	;; [unrolled: 1-line block ×4, first 2 shown]
	v_add_co_u32 v70, s15, v70, -1
	s_wait_alu 0xf1ff
	v_cndmask_b32_e64 v75, 0, 1, s15
	v_not_b32_e32 v177, v72
	v_cmp_gt_i32_e64 s15, 0, v72
	v_not_b32_e32 v72, v73
	v_lshlrev_b32_e32 v77, 26, v71
	v_cmp_ne_u32_e32 vcc_lo, 0, v75
	v_ashrrev_i32_e32 v177, 31, v177
	v_lshlrev_b32_e32 v176, 25, v71
	v_ashrrev_i32_e32 v72, 31, v72
	v_lshlrev_b32_e32 v75, 24, v71
	s_wait_alu 0xfffd
	v_xor_b32_e32 v70, vcc_lo, v70
	v_cmp_gt_i32_e32 vcc_lo, 0, v73
	v_not_b32_e32 v73, v74
	s_wait_alu 0xf1ff
	v_xor_b32_e32 v177, s15, v177
	v_cmp_gt_i32_e64 s15, 0, v74
	v_and_b32_e32 v70, exec_lo, v70
	v_not_b32_e32 v74, v76
	v_ashrrev_i32_e32 v73, 31, v73
	s_wait_alu 0xfffd
	v_xor_b32_e32 v72, vcc_lo, v72
	v_cmp_gt_i32_e32 vcc_lo, 0, v76
	v_and_b32_e32 v70, v70, v177
	v_not_b32_e32 v76, v77
	v_ashrrev_i32_e32 v74, 31, v74
	s_wait_alu 0xf1ff
	v_xor_b32_e32 v73, s15, v73
	v_cmp_gt_i32_e64 s15, 0, v77
	v_and_b32_e32 v70, v70, v72
	v_not_b32_e32 v72, v176
	v_ashrrev_i32_e32 v76, 31, v76
	s_wait_alu 0xfffd
	v_xor_b32_e32 v74, vcc_lo, v74
	v_cmp_gt_i32_e32 vcc_lo, 0, v176
	v_and_b32_e32 v70, v70, v73
	v_not_b32_e32 v73, v75
	v_ashrrev_i32_e32 v72, 31, v72
	s_wait_alu 0xf1ff
	v_xor_b32_e32 v76, s15, v76
	v_cmp_gt_i32_e64 s15, 0, v75
	v_and_b32_e32 v70, v70, v74
	v_ashrrev_i32_e32 v73, 31, v73
	s_wait_alu 0xfffd
	v_xor_b32_e32 v72, vcc_lo, v72
	v_mad_u32_u24 v74, v71, 36, v147
	v_mul_u32_u24_e32 v71, 36, v71
	v_and_b32_e32 v70, v70, v76
	s_wait_alu 0xf1ff
	v_xor_b32_e32 v73, s15, v73
	ds_load_b32 v176, v74 offset:1056
	v_add_nc_u32_e32 v178, v147, v71
	v_and_b32_e32 v70, v70, v72
	; wave barrier
	s_delay_alu instid0(VALU_DEP_1) | instskip(NEXT) | instid1(VALU_DEP_1)
	v_and_b32_e32 v70, v70, v73
	v_mbcnt_lo_u32_b32 v177, v70, 0
	v_cmp_ne_u32_e64 s15, 0, v70
	s_delay_alu instid0(VALU_DEP_2)
	v_cmp_eq_u32_e32 vcc_lo, 0, v177
	s_and_b32 s16, s15, vcc_lo
	s_wait_alu 0xfffe
	s_and_saveexec_b32 s15, s16
	s_cbranch_execz .LBB1227_1018
; %bb.1017:                             ;   in Loop: Header=BB1227_974 Depth=2
	s_wait_dscnt 0x0
	v_bcnt_u32_b32 v70, v70, v176
	ds_store_b32 v178, v70 offset:1056
.LBB1227_1018:                          ;   in Loop: Header=BB1227_974 Depth=2
	s_wait_alu 0xfffe
	s_or_b32 exec_lo, exec_lo, s15
	v_cmp_lt_i64_e32 vcc_lo, -1, v[54:55]
	v_ashrrev_i32_e32 v71, 31, v55
	; wave barrier
	s_delay_alu instid0(VALU_DEP_1) | instskip(SKIP_2) | instid1(VALU_DEP_1)
	v_xor_b32_e32 v54, v71, v54
	s_wait_alu 0xfffd
	v_cndmask_b32_e64 v70, -1, 0x80000000, vcc_lo
	v_xor_b32_e32 v55, v70, v55
	s_delay_alu instid0(VALU_DEP_1) | instskip(SKIP_3) | instid1(VALU_DEP_1)
	v_cmp_ne_u64_e32 vcc_lo, s[42:43], v[54:55]
	s_wait_alu 0xfffd
	v_cndmask_b32_e32 v71, 0x80000000, v55, vcc_lo
	v_cndmask_b32_e32 v70, 0, v54, vcc_lo
	v_lshrrev_b64 v[70:71], s31, v[70:71]
	s_delay_alu instid0(VALU_DEP_1) | instskip(NEXT) | instid1(VALU_DEP_1)
	v_and_b32_e32 v71, s56, v70
	v_and_b32_e32 v70, 1, v71
	v_lshlrev_b32_e32 v72, 30, v71
	v_lshlrev_b32_e32 v73, 29, v71
	;; [unrolled: 1-line block ×4, first 2 shown]
	v_add_co_u32 v70, s15, v70, -1
	s_wait_alu 0xf1ff
	v_cndmask_b32_e64 v75, 0, 1, s15
	v_not_b32_e32 v180, v72
	v_cmp_gt_i32_e64 s15, 0, v72
	v_not_b32_e32 v72, v73
	v_lshlrev_b32_e32 v77, 26, v71
	v_cmp_ne_u32_e32 vcc_lo, 0, v75
	v_ashrrev_i32_e32 v180, 31, v180
	v_lshlrev_b32_e32 v179, 25, v71
	v_ashrrev_i32_e32 v72, 31, v72
	v_lshlrev_b32_e32 v75, 24, v71
	s_wait_alu 0xfffd
	v_xor_b32_e32 v70, vcc_lo, v70
	v_cmp_gt_i32_e32 vcc_lo, 0, v73
	v_not_b32_e32 v73, v74
	s_wait_alu 0xf1ff
	v_xor_b32_e32 v180, s15, v180
	v_cmp_gt_i32_e64 s15, 0, v74
	v_and_b32_e32 v70, exec_lo, v70
	v_not_b32_e32 v74, v76
	v_ashrrev_i32_e32 v73, 31, v73
	s_wait_alu 0xfffd
	v_xor_b32_e32 v72, vcc_lo, v72
	v_cmp_gt_i32_e32 vcc_lo, 0, v76
	v_and_b32_e32 v70, v70, v180
	v_not_b32_e32 v76, v77
	v_ashrrev_i32_e32 v74, 31, v74
	s_wait_alu 0xf1ff
	v_xor_b32_e32 v73, s15, v73
	v_cmp_gt_i32_e64 s15, 0, v77
	v_and_b32_e32 v70, v70, v72
	v_not_b32_e32 v72, v179
	v_ashrrev_i32_e32 v76, 31, v76
	s_wait_alu 0xfffd
	v_xor_b32_e32 v74, vcc_lo, v74
	v_cmp_gt_i32_e32 vcc_lo, 0, v179
	v_and_b32_e32 v70, v70, v73
	v_not_b32_e32 v73, v75
	v_ashrrev_i32_e32 v72, 31, v72
	s_wait_alu 0xf1ff
	v_xor_b32_e32 v76, s15, v76
	v_cmp_gt_i32_e64 s15, 0, v75
	v_and_b32_e32 v70, v70, v74
	v_ashrrev_i32_e32 v73, 31, v73
	s_wait_alu 0xfffd
	v_xor_b32_e32 v72, vcc_lo, v72
	v_mad_u32_u24 v74, v71, 36, v147
	v_mul_u32_u24_e32 v71, 36, v71
	v_and_b32_e32 v70, v70, v76
	s_wait_alu 0xf1ff
	v_xor_b32_e32 v73, s15, v73
	ds_load_b32 v179, v74 offset:1056
	v_add_nc_u32_e32 v181, v147, v71
	v_and_b32_e32 v70, v70, v72
	; wave barrier
	s_delay_alu instid0(VALU_DEP_1) | instskip(NEXT) | instid1(VALU_DEP_1)
	v_and_b32_e32 v70, v70, v73
	v_mbcnt_lo_u32_b32 v180, v70, 0
	v_cmp_ne_u32_e64 s15, 0, v70
	s_delay_alu instid0(VALU_DEP_2)
	v_cmp_eq_u32_e32 vcc_lo, 0, v180
	s_and_b32 s16, s15, vcc_lo
	s_wait_alu 0xfffe
	s_and_saveexec_b32 s15, s16
	s_cbranch_execz .LBB1227_1020
; %bb.1019:                             ;   in Loop: Header=BB1227_974 Depth=2
	s_wait_dscnt 0x0
	v_bcnt_u32_b32 v70, v70, v179
	ds_store_b32 v181, v70 offset:1056
.LBB1227_1020:                          ;   in Loop: Header=BB1227_974 Depth=2
	s_wait_alu 0xfffe
	s_or_b32 exec_lo, exec_lo, s15
	v_cmp_lt_i64_e32 vcc_lo, -1, v[58:59]
	v_ashrrev_i32_e32 v71, 31, v59
	; wave barrier
	s_delay_alu instid0(VALU_DEP_1) | instskip(SKIP_2) | instid1(VALU_DEP_1)
	v_xor_b32_e32 v58, v71, v58
	s_wait_alu 0xfffd
	v_cndmask_b32_e64 v70, -1, 0x80000000, vcc_lo
	v_xor_b32_e32 v59, v70, v59
	s_delay_alu instid0(VALU_DEP_1) | instskip(SKIP_3) | instid1(VALU_DEP_1)
	v_cmp_ne_u64_e32 vcc_lo, s[42:43], v[58:59]
	s_wait_alu 0xfffd
	v_cndmask_b32_e32 v71, 0x80000000, v59, vcc_lo
	v_cndmask_b32_e32 v70, 0, v58, vcc_lo
	v_lshrrev_b64 v[70:71], s31, v[70:71]
	s_delay_alu instid0(VALU_DEP_1) | instskip(NEXT) | instid1(VALU_DEP_1)
	v_and_b32_e32 v71, s56, v70
	v_and_b32_e32 v70, 1, v71
	v_lshlrev_b32_e32 v72, 30, v71
	v_lshlrev_b32_e32 v73, 29, v71
	;; [unrolled: 1-line block ×4, first 2 shown]
	v_add_co_u32 v70, s15, v70, -1
	s_wait_alu 0xf1ff
	v_cndmask_b32_e64 v75, 0, 1, s15
	v_not_b32_e32 v183, v72
	v_cmp_gt_i32_e64 s15, 0, v72
	v_not_b32_e32 v72, v73
	v_lshlrev_b32_e32 v77, 26, v71
	v_cmp_ne_u32_e32 vcc_lo, 0, v75
	v_ashrrev_i32_e32 v183, 31, v183
	v_lshlrev_b32_e32 v182, 25, v71
	v_ashrrev_i32_e32 v72, 31, v72
	v_lshlrev_b32_e32 v75, 24, v71
	s_wait_alu 0xfffd
	v_xor_b32_e32 v70, vcc_lo, v70
	v_cmp_gt_i32_e32 vcc_lo, 0, v73
	v_not_b32_e32 v73, v74
	s_wait_alu 0xf1ff
	v_xor_b32_e32 v183, s15, v183
	v_cmp_gt_i32_e64 s15, 0, v74
	v_and_b32_e32 v70, exec_lo, v70
	v_not_b32_e32 v74, v76
	v_ashrrev_i32_e32 v73, 31, v73
	s_wait_alu 0xfffd
	v_xor_b32_e32 v72, vcc_lo, v72
	v_cmp_gt_i32_e32 vcc_lo, 0, v76
	v_and_b32_e32 v70, v70, v183
	v_not_b32_e32 v76, v77
	v_ashrrev_i32_e32 v74, 31, v74
	s_wait_alu 0xf1ff
	v_xor_b32_e32 v73, s15, v73
	v_cmp_gt_i32_e64 s15, 0, v77
	v_and_b32_e32 v70, v70, v72
	v_not_b32_e32 v72, v182
	v_ashrrev_i32_e32 v76, 31, v76
	s_wait_alu 0xfffd
	v_xor_b32_e32 v74, vcc_lo, v74
	v_cmp_gt_i32_e32 vcc_lo, 0, v182
	v_and_b32_e32 v70, v70, v73
	v_not_b32_e32 v73, v75
	v_ashrrev_i32_e32 v72, 31, v72
	s_wait_alu 0xf1ff
	v_xor_b32_e32 v76, s15, v76
	v_cmp_gt_i32_e64 s15, 0, v75
	v_and_b32_e32 v70, v70, v74
	v_ashrrev_i32_e32 v73, 31, v73
	s_wait_alu 0xfffd
	v_xor_b32_e32 v72, vcc_lo, v72
	v_mad_u32_u24 v74, v71, 36, v147
	v_mul_u32_u24_e32 v71, 36, v71
	v_and_b32_e32 v70, v70, v76
	s_wait_alu 0xf1ff
	v_xor_b32_e32 v73, s15, v73
	ds_load_b32 v182, v74 offset:1056
	v_add_nc_u32_e32 v184, v147, v71
	v_and_b32_e32 v70, v70, v72
	; wave barrier
	s_delay_alu instid0(VALU_DEP_1) | instskip(NEXT) | instid1(VALU_DEP_1)
	v_and_b32_e32 v70, v70, v73
	v_mbcnt_lo_u32_b32 v183, v70, 0
	v_cmp_ne_u32_e64 s15, 0, v70
	s_delay_alu instid0(VALU_DEP_2)
	v_cmp_eq_u32_e32 vcc_lo, 0, v183
	s_and_b32 s16, s15, vcc_lo
	s_wait_alu 0xfffe
	s_and_saveexec_b32 s15, s16
	s_cbranch_execz .LBB1227_1022
; %bb.1021:                             ;   in Loop: Header=BB1227_974 Depth=2
	s_wait_dscnt 0x0
	v_bcnt_u32_b32 v70, v70, v182
	ds_store_b32 v184, v70 offset:1056
.LBB1227_1022:                          ;   in Loop: Header=BB1227_974 Depth=2
	s_wait_alu 0xfffe
	s_or_b32 exec_lo, exec_lo, s15
	v_cmp_lt_i64_e32 vcc_lo, -1, v[62:63]
	v_ashrrev_i32_e32 v71, 31, v63
	; wave barrier
	s_delay_alu instid0(VALU_DEP_1) | instskip(SKIP_2) | instid1(VALU_DEP_1)
	v_xor_b32_e32 v62, v71, v62
	s_wait_alu 0xfffd
	v_cndmask_b32_e64 v70, -1, 0x80000000, vcc_lo
	v_xor_b32_e32 v63, v70, v63
	s_delay_alu instid0(VALU_DEP_1) | instskip(SKIP_3) | instid1(VALU_DEP_1)
	v_cmp_ne_u64_e32 vcc_lo, s[42:43], v[62:63]
	s_wait_alu 0xfffd
	v_cndmask_b32_e32 v71, 0x80000000, v63, vcc_lo
	v_cndmask_b32_e32 v70, 0, v62, vcc_lo
	v_lshrrev_b64 v[70:71], s31, v[70:71]
	s_delay_alu instid0(VALU_DEP_1) | instskip(NEXT) | instid1(VALU_DEP_1)
	v_and_b32_e32 v71, s56, v70
	v_and_b32_e32 v70, 1, v71
	v_lshlrev_b32_e32 v72, 30, v71
	v_lshlrev_b32_e32 v73, 29, v71
	;; [unrolled: 1-line block ×4, first 2 shown]
	v_add_co_u32 v70, s15, v70, -1
	s_wait_alu 0xf1ff
	v_cndmask_b32_e64 v75, 0, 1, s15
	v_not_b32_e32 v186, v72
	v_cmp_gt_i32_e64 s15, 0, v72
	v_not_b32_e32 v72, v73
	v_lshlrev_b32_e32 v77, 26, v71
	v_cmp_ne_u32_e32 vcc_lo, 0, v75
	v_ashrrev_i32_e32 v186, 31, v186
	v_lshlrev_b32_e32 v185, 25, v71
	v_ashrrev_i32_e32 v72, 31, v72
	v_lshlrev_b32_e32 v75, 24, v71
	s_wait_alu 0xfffd
	v_xor_b32_e32 v70, vcc_lo, v70
	v_cmp_gt_i32_e32 vcc_lo, 0, v73
	v_not_b32_e32 v73, v74
	s_wait_alu 0xf1ff
	v_xor_b32_e32 v186, s15, v186
	v_cmp_gt_i32_e64 s15, 0, v74
	v_and_b32_e32 v70, exec_lo, v70
	v_not_b32_e32 v74, v76
	v_ashrrev_i32_e32 v73, 31, v73
	s_wait_alu 0xfffd
	v_xor_b32_e32 v72, vcc_lo, v72
	v_cmp_gt_i32_e32 vcc_lo, 0, v76
	v_and_b32_e32 v70, v70, v186
	v_not_b32_e32 v76, v77
	v_ashrrev_i32_e32 v74, 31, v74
	s_wait_alu 0xf1ff
	v_xor_b32_e32 v73, s15, v73
	v_cmp_gt_i32_e64 s15, 0, v77
	v_and_b32_e32 v70, v70, v72
	v_not_b32_e32 v72, v185
	v_ashrrev_i32_e32 v76, 31, v76
	s_wait_alu 0xfffd
	v_xor_b32_e32 v74, vcc_lo, v74
	v_cmp_gt_i32_e32 vcc_lo, 0, v185
	v_and_b32_e32 v70, v70, v73
	v_not_b32_e32 v73, v75
	v_ashrrev_i32_e32 v72, 31, v72
	s_wait_alu 0xf1ff
	v_xor_b32_e32 v76, s15, v76
	v_cmp_gt_i32_e64 s15, 0, v75
	v_and_b32_e32 v70, v70, v74
	v_ashrrev_i32_e32 v73, 31, v73
	s_wait_alu 0xfffd
	v_xor_b32_e32 v72, vcc_lo, v72
	v_mad_u32_u24 v74, v71, 36, v147
	v_mul_u32_u24_e32 v71, 36, v71
	v_and_b32_e32 v70, v70, v76
	s_wait_alu 0xf1ff
	v_xor_b32_e32 v73, s15, v73
	ds_load_b32 v185, v74 offset:1056
	v_add_nc_u32_e32 v187, v147, v71
	v_and_b32_e32 v70, v70, v72
	; wave barrier
	s_delay_alu instid0(VALU_DEP_1) | instskip(NEXT) | instid1(VALU_DEP_1)
	v_and_b32_e32 v70, v70, v73
	v_mbcnt_lo_u32_b32 v186, v70, 0
	v_cmp_ne_u32_e64 s15, 0, v70
	s_delay_alu instid0(VALU_DEP_2)
	v_cmp_eq_u32_e32 vcc_lo, 0, v186
	s_and_b32 s16, s15, vcc_lo
	s_wait_alu 0xfffe
	s_and_saveexec_b32 s15, s16
	s_cbranch_execz .LBB1227_1024
; %bb.1023:                             ;   in Loop: Header=BB1227_974 Depth=2
	s_wait_dscnt 0x0
	v_bcnt_u32_b32 v70, v70, v185
	ds_store_b32 v187, v70 offset:1056
.LBB1227_1024:                          ;   in Loop: Header=BB1227_974 Depth=2
	s_wait_alu 0xfffe
	s_or_b32 exec_lo, exec_lo, s15
	v_cmp_lt_i64_e32 vcc_lo, -1, v[66:67]
	v_ashrrev_i32_e32 v71, 31, v67
	; wave barrier
	s_delay_alu instid0(VALU_DEP_1) | instskip(SKIP_2) | instid1(VALU_DEP_1)
	v_xor_b32_e32 v66, v71, v66
	s_wait_alu 0xfffd
	v_cndmask_b32_e64 v70, -1, 0x80000000, vcc_lo
	v_xor_b32_e32 v67, v70, v67
	s_delay_alu instid0(VALU_DEP_1) | instskip(SKIP_3) | instid1(VALU_DEP_1)
	v_cmp_ne_u64_e32 vcc_lo, s[42:43], v[66:67]
	s_wait_alu 0xfffd
	v_cndmask_b32_e32 v71, 0x80000000, v67, vcc_lo
	v_cndmask_b32_e32 v70, 0, v66, vcc_lo
	v_lshrrev_b64 v[70:71], s31, v[70:71]
	s_delay_alu instid0(VALU_DEP_1) | instskip(NEXT) | instid1(VALU_DEP_1)
	v_and_b32_e32 v71, s56, v70
	v_and_b32_e32 v70, 1, v71
	v_lshlrev_b32_e32 v72, 30, v71
	v_lshlrev_b32_e32 v73, 29, v71
	;; [unrolled: 1-line block ×4, first 2 shown]
	v_add_co_u32 v70, s15, v70, -1
	s_wait_alu 0xf1ff
	v_cndmask_b32_e64 v75, 0, 1, s15
	v_not_b32_e32 v189, v72
	v_cmp_gt_i32_e64 s15, 0, v72
	v_not_b32_e32 v72, v73
	v_lshlrev_b32_e32 v77, 26, v71
	v_cmp_ne_u32_e32 vcc_lo, 0, v75
	v_ashrrev_i32_e32 v189, 31, v189
	v_lshlrev_b32_e32 v188, 25, v71
	v_ashrrev_i32_e32 v72, 31, v72
	v_lshlrev_b32_e32 v75, 24, v71
	s_wait_alu 0xfffd
	v_xor_b32_e32 v70, vcc_lo, v70
	v_cmp_gt_i32_e32 vcc_lo, 0, v73
	v_not_b32_e32 v73, v74
	s_wait_alu 0xf1ff
	v_xor_b32_e32 v189, s15, v189
	v_cmp_gt_i32_e64 s15, 0, v74
	v_and_b32_e32 v70, exec_lo, v70
	v_not_b32_e32 v74, v76
	v_ashrrev_i32_e32 v73, 31, v73
	s_wait_alu 0xfffd
	v_xor_b32_e32 v72, vcc_lo, v72
	v_cmp_gt_i32_e32 vcc_lo, 0, v76
	v_and_b32_e32 v70, v70, v189
	v_not_b32_e32 v76, v77
	v_ashrrev_i32_e32 v74, 31, v74
	s_wait_alu 0xf1ff
	v_xor_b32_e32 v73, s15, v73
	v_cmp_gt_i32_e64 s15, 0, v77
	v_and_b32_e32 v70, v70, v72
	v_not_b32_e32 v72, v188
	v_ashrrev_i32_e32 v76, 31, v76
	s_wait_alu 0xfffd
	v_xor_b32_e32 v74, vcc_lo, v74
	v_cmp_gt_i32_e32 vcc_lo, 0, v188
	v_and_b32_e32 v70, v70, v73
	v_not_b32_e32 v73, v75
	v_ashrrev_i32_e32 v72, 31, v72
	s_wait_alu 0xf1ff
	v_xor_b32_e32 v76, s15, v76
	v_cmp_gt_i32_e64 s15, 0, v75
	v_and_b32_e32 v70, v70, v74
	v_ashrrev_i32_e32 v73, 31, v73
	s_wait_alu 0xfffd
	v_xor_b32_e32 v72, vcc_lo, v72
	v_mad_u32_u24 v74, v71, 36, v147
	v_mul_u32_u24_e32 v71, 36, v71
	v_and_b32_e32 v70, v70, v76
	s_wait_alu 0xf1ff
	v_xor_b32_e32 v73, s15, v73
	ds_load_b32 v188, v74 offset:1056
	v_add_nc_u32_e32 v190, v147, v71
	v_and_b32_e32 v70, v70, v72
	; wave barrier
	s_delay_alu instid0(VALU_DEP_1) | instskip(NEXT) | instid1(VALU_DEP_1)
	v_and_b32_e32 v70, v70, v73
	v_mbcnt_lo_u32_b32 v189, v70, 0
	v_cmp_ne_u32_e64 s15, 0, v70
	s_delay_alu instid0(VALU_DEP_2)
	v_cmp_eq_u32_e32 vcc_lo, 0, v189
	s_and_b32 s16, s15, vcc_lo
	s_wait_alu 0xfffe
	s_and_saveexec_b32 s15, s16
	s_cbranch_execz .LBB1227_1026
; %bb.1025:                             ;   in Loop: Header=BB1227_974 Depth=2
	s_wait_dscnt 0x0
	v_bcnt_u32_b32 v70, v70, v188
	ds_store_b32 v190, v70 offset:1056
.LBB1227_1026:                          ;   in Loop: Header=BB1227_974 Depth=2
	s_wait_alu 0xfffe
	s_or_b32 exec_lo, exec_lo, s15
	v_cmp_lt_i64_e32 vcc_lo, -1, v[68:69]
	v_ashrrev_i32_e32 v71, 31, v69
	; wave barrier
	s_delay_alu instid0(VALU_DEP_1) | instskip(SKIP_2) | instid1(VALU_DEP_1)
	v_xor_b32_e32 v68, v71, v68
	s_wait_alu 0xfffd
	v_cndmask_b32_e64 v70, -1, 0x80000000, vcc_lo
	v_xor_b32_e32 v69, v70, v69
	s_delay_alu instid0(VALU_DEP_1) | instskip(SKIP_3) | instid1(VALU_DEP_1)
	v_cmp_ne_u64_e32 vcc_lo, s[42:43], v[68:69]
	s_wait_alu 0xfffd
	v_cndmask_b32_e32 v71, 0x80000000, v69, vcc_lo
	v_cndmask_b32_e32 v70, 0, v68, vcc_lo
	v_lshrrev_b64 v[70:71], s31, v[70:71]
	s_delay_alu instid0(VALU_DEP_1) | instskip(NEXT) | instid1(VALU_DEP_1)
	v_and_b32_e32 v71, s56, v70
	v_and_b32_e32 v70, 1, v71
	v_lshlrev_b32_e32 v72, 30, v71
	v_lshlrev_b32_e32 v73, 29, v71
	;; [unrolled: 1-line block ×4, first 2 shown]
	v_add_co_u32 v70, s15, v70, -1
	s_wait_alu 0xf1ff
	v_cndmask_b32_e64 v75, 0, 1, s15
	v_not_b32_e32 v192, v72
	v_cmp_gt_i32_e64 s15, 0, v72
	v_not_b32_e32 v72, v73
	v_lshlrev_b32_e32 v77, 26, v71
	v_cmp_ne_u32_e32 vcc_lo, 0, v75
	v_ashrrev_i32_e32 v192, 31, v192
	v_lshlrev_b32_e32 v191, 25, v71
	v_ashrrev_i32_e32 v72, 31, v72
	v_lshlrev_b32_e32 v75, 24, v71
	s_wait_alu 0xfffd
	v_xor_b32_e32 v70, vcc_lo, v70
	v_cmp_gt_i32_e32 vcc_lo, 0, v73
	v_not_b32_e32 v73, v74
	s_wait_alu 0xf1ff
	v_xor_b32_e32 v192, s15, v192
	v_cmp_gt_i32_e64 s15, 0, v74
	v_and_b32_e32 v70, exec_lo, v70
	v_not_b32_e32 v74, v76
	v_ashrrev_i32_e32 v73, 31, v73
	s_wait_alu 0xfffd
	v_xor_b32_e32 v72, vcc_lo, v72
	v_cmp_gt_i32_e32 vcc_lo, 0, v76
	v_and_b32_e32 v70, v70, v192
	v_not_b32_e32 v76, v77
	v_ashrrev_i32_e32 v74, 31, v74
	s_wait_alu 0xf1ff
	v_xor_b32_e32 v73, s15, v73
	v_cmp_gt_i32_e64 s15, 0, v77
	v_and_b32_e32 v70, v70, v72
	v_not_b32_e32 v72, v191
	v_ashrrev_i32_e32 v76, 31, v76
	s_wait_alu 0xfffd
	v_xor_b32_e32 v74, vcc_lo, v74
	v_cmp_gt_i32_e32 vcc_lo, 0, v191
	v_and_b32_e32 v70, v70, v73
	v_not_b32_e32 v73, v75
	v_ashrrev_i32_e32 v72, 31, v72
	s_wait_alu 0xf1ff
	v_xor_b32_e32 v76, s15, v76
	v_cmp_gt_i32_e64 s15, 0, v75
	v_and_b32_e32 v70, v70, v74
	v_ashrrev_i32_e32 v73, 31, v73
	s_wait_alu 0xfffd
	v_xor_b32_e32 v72, vcc_lo, v72
	v_mad_u32_u24 v74, v71, 36, v147
	v_mul_u32_u24_e32 v71, 36, v71
	v_and_b32_e32 v70, v70, v76
	s_wait_alu 0xf1ff
	v_xor_b32_e32 v73, s15, v73
	ds_load_b32 v191, v74 offset:1056
	v_add_nc_u32_e32 v193, v147, v71
	v_and_b32_e32 v70, v70, v72
	; wave barrier
	s_delay_alu instid0(VALU_DEP_1) | instskip(NEXT) | instid1(VALU_DEP_1)
	v_and_b32_e32 v70, v70, v73
	v_mbcnt_lo_u32_b32 v192, v70, 0
	v_cmp_ne_u32_e64 s15, 0, v70
	s_delay_alu instid0(VALU_DEP_2)
	v_cmp_eq_u32_e32 vcc_lo, 0, v192
	s_and_b32 s16, s15, vcc_lo
	s_wait_alu 0xfffe
	s_and_saveexec_b32 s15, s16
	s_cbranch_execz .LBB1227_1028
; %bb.1027:                             ;   in Loop: Header=BB1227_974 Depth=2
	s_wait_dscnt 0x0
	v_bcnt_u32_b32 v70, v70, v191
	ds_store_b32 v193, v70 offset:1056
.LBB1227_1028:                          ;   in Loop: Header=BB1227_974 Depth=2
	s_wait_alu 0xfffe
	s_or_b32 exec_lo, exec_lo, s15
	v_cmp_lt_i64_e32 vcc_lo, -1, v[64:65]
	v_ashrrev_i32_e32 v71, 31, v65
	; wave barrier
	s_delay_alu instid0(VALU_DEP_1) | instskip(SKIP_2) | instid1(VALU_DEP_1)
	v_xor_b32_e32 v64, v71, v64
	s_wait_alu 0xfffd
	v_cndmask_b32_e64 v70, -1, 0x80000000, vcc_lo
	v_xor_b32_e32 v65, v70, v65
	s_delay_alu instid0(VALU_DEP_1) | instskip(SKIP_3) | instid1(VALU_DEP_1)
	v_cmp_ne_u64_e32 vcc_lo, s[42:43], v[64:65]
	s_wait_alu 0xfffd
	v_cndmask_b32_e32 v71, 0x80000000, v65, vcc_lo
	v_cndmask_b32_e32 v70, 0, v64, vcc_lo
	v_lshrrev_b64 v[70:71], s31, v[70:71]
	s_delay_alu instid0(VALU_DEP_1) | instskip(NEXT) | instid1(VALU_DEP_1)
	v_and_b32_e32 v71, s56, v70
	v_and_b32_e32 v70, 1, v71
	v_lshlrev_b32_e32 v72, 30, v71
	v_lshlrev_b32_e32 v73, 29, v71
	;; [unrolled: 1-line block ×4, first 2 shown]
	v_add_co_u32 v70, s15, v70, -1
	s_wait_alu 0xf1ff
	v_cndmask_b32_e64 v75, 0, 1, s15
	v_not_b32_e32 v195, v72
	v_cmp_gt_i32_e64 s15, 0, v72
	v_not_b32_e32 v72, v73
	v_lshlrev_b32_e32 v77, 26, v71
	v_cmp_ne_u32_e32 vcc_lo, 0, v75
	v_ashrrev_i32_e32 v195, 31, v195
	v_lshlrev_b32_e32 v194, 25, v71
	v_ashrrev_i32_e32 v72, 31, v72
	v_lshlrev_b32_e32 v75, 24, v71
	s_wait_alu 0xfffd
	v_xor_b32_e32 v70, vcc_lo, v70
	v_cmp_gt_i32_e32 vcc_lo, 0, v73
	v_not_b32_e32 v73, v74
	s_wait_alu 0xf1ff
	v_xor_b32_e32 v195, s15, v195
	v_cmp_gt_i32_e64 s15, 0, v74
	v_and_b32_e32 v70, exec_lo, v70
	v_not_b32_e32 v74, v76
	v_ashrrev_i32_e32 v73, 31, v73
	s_wait_alu 0xfffd
	v_xor_b32_e32 v72, vcc_lo, v72
	v_cmp_gt_i32_e32 vcc_lo, 0, v76
	v_and_b32_e32 v70, v70, v195
	v_not_b32_e32 v76, v77
	v_ashrrev_i32_e32 v74, 31, v74
	s_wait_alu 0xf1ff
	v_xor_b32_e32 v73, s15, v73
	v_cmp_gt_i32_e64 s15, 0, v77
	v_and_b32_e32 v70, v70, v72
	v_not_b32_e32 v72, v194
	v_ashrrev_i32_e32 v76, 31, v76
	s_wait_alu 0xfffd
	v_xor_b32_e32 v74, vcc_lo, v74
	v_cmp_gt_i32_e32 vcc_lo, 0, v194
	v_and_b32_e32 v70, v70, v73
	v_not_b32_e32 v73, v75
	v_ashrrev_i32_e32 v72, 31, v72
	s_wait_alu 0xf1ff
	v_xor_b32_e32 v76, s15, v76
	v_cmp_gt_i32_e64 s15, 0, v75
	v_and_b32_e32 v70, v70, v74
	v_ashrrev_i32_e32 v73, 31, v73
	s_wait_alu 0xfffd
	v_xor_b32_e32 v72, vcc_lo, v72
	v_mad_u32_u24 v74, v71, 36, v147
	v_mul_u32_u24_e32 v71, 36, v71
	v_and_b32_e32 v70, v70, v76
	s_wait_alu 0xf1ff
	v_xor_b32_e32 v73, s15, v73
	ds_load_b32 v194, v74 offset:1056
	v_add_nc_u32_e32 v196, v147, v71
	v_and_b32_e32 v70, v70, v72
	; wave barrier
	s_delay_alu instid0(VALU_DEP_1) | instskip(NEXT) | instid1(VALU_DEP_1)
	v_and_b32_e32 v70, v70, v73
	v_mbcnt_lo_u32_b32 v195, v70, 0
	v_cmp_ne_u32_e64 s15, 0, v70
	s_delay_alu instid0(VALU_DEP_2)
	v_cmp_eq_u32_e32 vcc_lo, 0, v195
	s_and_b32 s16, s15, vcc_lo
	s_wait_alu 0xfffe
	s_and_saveexec_b32 s15, s16
	s_cbranch_execz .LBB1227_1030
; %bb.1029:                             ;   in Loop: Header=BB1227_974 Depth=2
	s_wait_dscnt 0x0
	v_bcnt_u32_b32 v70, v70, v194
	ds_store_b32 v196, v70 offset:1056
.LBB1227_1030:                          ;   in Loop: Header=BB1227_974 Depth=2
	s_wait_alu 0xfffe
	s_or_b32 exec_lo, exec_lo, s15
	v_cmp_lt_i64_e32 vcc_lo, -1, v[60:61]
	v_ashrrev_i32_e32 v71, 31, v61
	; wave barrier
	s_delay_alu instid0(VALU_DEP_1) | instskip(SKIP_2) | instid1(VALU_DEP_1)
	v_xor_b32_e32 v60, v71, v60
	s_wait_alu 0xfffd
	v_cndmask_b32_e64 v70, -1, 0x80000000, vcc_lo
	v_xor_b32_e32 v61, v70, v61
	s_delay_alu instid0(VALU_DEP_1) | instskip(SKIP_3) | instid1(VALU_DEP_1)
	v_cmp_ne_u64_e32 vcc_lo, s[42:43], v[60:61]
	s_wait_alu 0xfffd
	v_cndmask_b32_e32 v71, 0x80000000, v61, vcc_lo
	v_cndmask_b32_e32 v70, 0, v60, vcc_lo
	v_lshrrev_b64 v[70:71], s31, v[70:71]
	s_delay_alu instid0(VALU_DEP_1) | instskip(NEXT) | instid1(VALU_DEP_1)
	v_and_b32_e32 v71, s56, v70
	v_and_b32_e32 v70, 1, v71
	v_lshlrev_b32_e32 v72, 30, v71
	v_lshlrev_b32_e32 v73, 29, v71
	v_lshlrev_b32_e32 v74, 28, v71
	v_lshlrev_b32_e32 v76, 27, v71
	v_add_co_u32 v70, s15, v70, -1
	s_wait_alu 0xf1ff
	v_cndmask_b32_e64 v75, 0, 1, s15
	v_not_b32_e32 v198, v72
	v_cmp_gt_i32_e64 s15, 0, v72
	v_not_b32_e32 v72, v73
	v_lshlrev_b32_e32 v77, 26, v71
	v_cmp_ne_u32_e32 vcc_lo, 0, v75
	v_ashrrev_i32_e32 v198, 31, v198
	v_lshlrev_b32_e32 v197, 25, v71
	v_ashrrev_i32_e32 v72, 31, v72
	v_lshlrev_b32_e32 v75, 24, v71
	s_wait_alu 0xfffd
	v_xor_b32_e32 v70, vcc_lo, v70
	v_cmp_gt_i32_e32 vcc_lo, 0, v73
	v_not_b32_e32 v73, v74
	s_wait_alu 0xf1ff
	v_xor_b32_e32 v198, s15, v198
	v_cmp_gt_i32_e64 s15, 0, v74
	v_and_b32_e32 v70, exec_lo, v70
	v_not_b32_e32 v74, v76
	v_ashrrev_i32_e32 v73, 31, v73
	s_wait_alu 0xfffd
	v_xor_b32_e32 v72, vcc_lo, v72
	v_cmp_gt_i32_e32 vcc_lo, 0, v76
	v_and_b32_e32 v70, v70, v198
	v_not_b32_e32 v76, v77
	v_ashrrev_i32_e32 v74, 31, v74
	s_wait_alu 0xf1ff
	v_xor_b32_e32 v73, s15, v73
	v_cmp_gt_i32_e64 s15, 0, v77
	v_and_b32_e32 v70, v70, v72
	v_not_b32_e32 v72, v197
	v_ashrrev_i32_e32 v76, 31, v76
	s_wait_alu 0xfffd
	v_xor_b32_e32 v74, vcc_lo, v74
	v_cmp_gt_i32_e32 vcc_lo, 0, v197
	v_and_b32_e32 v70, v70, v73
	v_not_b32_e32 v73, v75
	v_ashrrev_i32_e32 v72, 31, v72
	s_wait_alu 0xf1ff
	v_xor_b32_e32 v76, s15, v76
	v_cmp_gt_i32_e64 s15, 0, v75
	v_and_b32_e32 v70, v70, v74
	v_ashrrev_i32_e32 v73, 31, v73
	s_wait_alu 0xfffd
	v_xor_b32_e32 v72, vcc_lo, v72
	v_mad_u32_u24 v74, v71, 36, v147
	v_mul_u32_u24_e32 v71, 36, v71
	v_and_b32_e32 v70, v70, v76
	s_wait_alu 0xf1ff
	v_xor_b32_e32 v73, s15, v73
	ds_load_b32 v197, v74 offset:1056
	v_add_nc_u32_e32 v199, v147, v71
	v_and_b32_e32 v70, v70, v72
	; wave barrier
	s_delay_alu instid0(VALU_DEP_1) | instskip(NEXT) | instid1(VALU_DEP_1)
	v_and_b32_e32 v70, v70, v73
	v_mbcnt_lo_u32_b32 v198, v70, 0
	v_cmp_ne_u32_e64 s15, 0, v70
	s_delay_alu instid0(VALU_DEP_2)
	v_cmp_eq_u32_e32 vcc_lo, 0, v198
	s_and_b32 s16, s15, vcc_lo
	s_wait_alu 0xfffe
	s_and_saveexec_b32 s15, s16
	s_cbranch_execz .LBB1227_1032
; %bb.1031:                             ;   in Loop: Header=BB1227_974 Depth=2
	s_wait_dscnt 0x0
	v_bcnt_u32_b32 v70, v70, v197
	ds_store_b32 v199, v70 offset:1056
.LBB1227_1032:                          ;   in Loop: Header=BB1227_974 Depth=2
	s_wait_alu 0xfffe
	s_or_b32 exec_lo, exec_lo, s15
	v_cmp_lt_i64_e32 vcc_lo, -1, v[56:57]
	v_ashrrev_i32_e32 v71, 31, v57
	; wave barrier
	s_delay_alu instid0(VALU_DEP_1) | instskip(SKIP_2) | instid1(VALU_DEP_1)
	v_xor_b32_e32 v56, v71, v56
	s_wait_alu 0xfffd
	v_cndmask_b32_e64 v70, -1, 0x80000000, vcc_lo
	v_xor_b32_e32 v57, v70, v57
	s_delay_alu instid0(VALU_DEP_1) | instskip(SKIP_3) | instid1(VALU_DEP_1)
	v_cmp_ne_u64_e32 vcc_lo, s[42:43], v[56:57]
	s_wait_alu 0xfffd
	v_cndmask_b32_e32 v71, 0x80000000, v57, vcc_lo
	v_cndmask_b32_e32 v70, 0, v56, vcc_lo
	v_lshrrev_b64 v[70:71], s31, v[70:71]
	s_delay_alu instid0(VALU_DEP_1) | instskip(NEXT) | instid1(VALU_DEP_1)
	v_and_b32_e32 v71, s56, v70
	v_and_b32_e32 v70, 1, v71
	v_lshlrev_b32_e32 v72, 30, v71
	v_lshlrev_b32_e32 v73, 29, v71
	;; [unrolled: 1-line block ×4, first 2 shown]
	v_add_co_u32 v70, s15, v70, -1
	s_wait_alu 0xf1ff
	v_cndmask_b32_e64 v75, 0, 1, s15
	v_not_b32_e32 v201, v72
	v_cmp_gt_i32_e64 s15, 0, v72
	v_not_b32_e32 v72, v73
	v_lshlrev_b32_e32 v77, 26, v71
	v_cmp_ne_u32_e32 vcc_lo, 0, v75
	v_ashrrev_i32_e32 v201, 31, v201
	v_lshlrev_b32_e32 v200, 25, v71
	v_ashrrev_i32_e32 v72, 31, v72
	v_lshlrev_b32_e32 v75, 24, v71
	s_wait_alu 0xfffd
	v_xor_b32_e32 v70, vcc_lo, v70
	v_cmp_gt_i32_e32 vcc_lo, 0, v73
	v_not_b32_e32 v73, v74
	s_wait_alu 0xf1ff
	v_xor_b32_e32 v201, s15, v201
	v_cmp_gt_i32_e64 s15, 0, v74
	v_and_b32_e32 v70, exec_lo, v70
	v_not_b32_e32 v74, v76
	v_ashrrev_i32_e32 v73, 31, v73
	s_wait_alu 0xfffd
	v_xor_b32_e32 v72, vcc_lo, v72
	v_cmp_gt_i32_e32 vcc_lo, 0, v76
	v_and_b32_e32 v70, v70, v201
	v_not_b32_e32 v76, v77
	v_ashrrev_i32_e32 v74, 31, v74
	s_wait_alu 0xf1ff
	v_xor_b32_e32 v73, s15, v73
	v_cmp_gt_i32_e64 s15, 0, v77
	v_and_b32_e32 v70, v70, v72
	v_not_b32_e32 v72, v200
	v_ashrrev_i32_e32 v76, 31, v76
	s_wait_alu 0xfffd
	v_xor_b32_e32 v74, vcc_lo, v74
	v_cmp_gt_i32_e32 vcc_lo, 0, v200
	v_and_b32_e32 v70, v70, v73
	v_not_b32_e32 v73, v75
	v_ashrrev_i32_e32 v72, 31, v72
	s_wait_alu 0xf1ff
	v_xor_b32_e32 v76, s15, v76
	v_cmp_gt_i32_e64 s15, 0, v75
	v_and_b32_e32 v70, v70, v74
	v_ashrrev_i32_e32 v73, 31, v73
	s_wait_alu 0xfffd
	v_xor_b32_e32 v72, vcc_lo, v72
	v_mad_u32_u24 v74, v71, 36, v147
	v_mul_u32_u24_e32 v71, 36, v71
	v_and_b32_e32 v70, v70, v76
	s_wait_alu 0xf1ff
	v_xor_b32_e32 v73, s15, v73
	ds_load_b32 v200, v74 offset:1056
	v_add_nc_u32_e32 v202, v147, v71
	v_and_b32_e32 v70, v70, v72
	; wave barrier
	s_delay_alu instid0(VALU_DEP_1) | instskip(NEXT) | instid1(VALU_DEP_1)
	v_and_b32_e32 v70, v70, v73
	v_mbcnt_lo_u32_b32 v201, v70, 0
	v_cmp_ne_u32_e64 s15, 0, v70
	s_delay_alu instid0(VALU_DEP_2)
	v_cmp_eq_u32_e32 vcc_lo, 0, v201
	s_and_b32 s16, s15, vcc_lo
	s_wait_alu 0xfffe
	s_and_saveexec_b32 s15, s16
	s_cbranch_execz .LBB1227_1034
; %bb.1033:                             ;   in Loop: Header=BB1227_974 Depth=2
	s_wait_dscnt 0x0
	v_bcnt_u32_b32 v70, v70, v200
	ds_store_b32 v202, v70 offset:1056
.LBB1227_1034:                          ;   in Loop: Header=BB1227_974 Depth=2
	s_wait_alu 0xfffe
	s_or_b32 exec_lo, exec_lo, s15
	v_cmp_lt_i64_e32 vcc_lo, -1, v[52:53]
	v_ashrrev_i32_e32 v71, 31, v53
	; wave barrier
	s_delay_alu instid0(VALU_DEP_1) | instskip(SKIP_2) | instid1(VALU_DEP_1)
	v_xor_b32_e32 v52, v71, v52
	s_wait_alu 0xfffd
	v_cndmask_b32_e64 v70, -1, 0x80000000, vcc_lo
	v_xor_b32_e32 v53, v70, v53
	s_delay_alu instid0(VALU_DEP_1) | instskip(SKIP_3) | instid1(VALU_DEP_1)
	v_cmp_ne_u64_e32 vcc_lo, s[42:43], v[52:53]
	s_wait_alu 0xfffd
	v_cndmask_b32_e32 v71, 0x80000000, v53, vcc_lo
	v_cndmask_b32_e32 v70, 0, v52, vcc_lo
	v_lshrrev_b64 v[70:71], s31, v[70:71]
	s_delay_alu instid0(VALU_DEP_1) | instskip(NEXT) | instid1(VALU_DEP_1)
	v_and_b32_e32 v71, s56, v70
	v_and_b32_e32 v70, 1, v71
	v_lshlrev_b32_e32 v72, 30, v71
	v_lshlrev_b32_e32 v73, 29, v71
	;; [unrolled: 1-line block ×4, first 2 shown]
	v_add_co_u32 v70, s15, v70, -1
	s_wait_alu 0xf1ff
	v_cndmask_b32_e64 v75, 0, 1, s15
	v_not_b32_e32 v204, v72
	v_cmp_gt_i32_e64 s15, 0, v72
	v_not_b32_e32 v72, v73
	v_lshlrev_b32_e32 v77, 26, v71
	v_cmp_ne_u32_e32 vcc_lo, 0, v75
	v_ashrrev_i32_e32 v204, 31, v204
	v_lshlrev_b32_e32 v203, 25, v71
	v_ashrrev_i32_e32 v72, 31, v72
	v_lshlrev_b32_e32 v75, 24, v71
	s_wait_alu 0xfffd
	v_xor_b32_e32 v70, vcc_lo, v70
	v_cmp_gt_i32_e32 vcc_lo, 0, v73
	v_not_b32_e32 v73, v74
	s_wait_alu 0xf1ff
	v_xor_b32_e32 v204, s15, v204
	v_cmp_gt_i32_e64 s15, 0, v74
	v_and_b32_e32 v70, exec_lo, v70
	v_not_b32_e32 v74, v76
	v_ashrrev_i32_e32 v73, 31, v73
	s_wait_alu 0xfffd
	v_xor_b32_e32 v72, vcc_lo, v72
	v_cmp_gt_i32_e32 vcc_lo, 0, v76
	v_and_b32_e32 v70, v70, v204
	v_not_b32_e32 v76, v77
	v_ashrrev_i32_e32 v74, 31, v74
	s_wait_alu 0xf1ff
	v_xor_b32_e32 v73, s15, v73
	v_cmp_gt_i32_e64 s15, 0, v77
	v_and_b32_e32 v70, v70, v72
	v_not_b32_e32 v72, v203
	v_ashrrev_i32_e32 v76, 31, v76
	s_wait_alu 0xfffd
	v_xor_b32_e32 v74, vcc_lo, v74
	v_cmp_gt_i32_e32 vcc_lo, 0, v203
	v_and_b32_e32 v70, v70, v73
	v_not_b32_e32 v73, v75
	v_ashrrev_i32_e32 v72, 31, v72
	s_wait_alu 0xf1ff
	v_xor_b32_e32 v76, s15, v76
	v_cmp_gt_i32_e64 s15, 0, v75
	v_and_b32_e32 v70, v70, v74
	v_ashrrev_i32_e32 v73, 31, v73
	s_wait_alu 0xfffd
	v_xor_b32_e32 v72, vcc_lo, v72
	v_mad_u32_u24 v74, v71, 36, v147
	v_mul_u32_u24_e32 v71, 36, v71
	v_and_b32_e32 v70, v70, v76
	s_wait_alu 0xf1ff
	v_xor_b32_e32 v73, s15, v73
	ds_load_b32 v203, v74 offset:1056
	v_add_nc_u32_e32 v205, v147, v71
	v_and_b32_e32 v70, v70, v72
	; wave barrier
	s_delay_alu instid0(VALU_DEP_1) | instskip(NEXT) | instid1(VALU_DEP_1)
	v_and_b32_e32 v70, v70, v73
	v_mbcnt_lo_u32_b32 v204, v70, 0
	v_cmp_ne_u32_e64 s15, 0, v70
	s_delay_alu instid0(VALU_DEP_2)
	v_cmp_eq_u32_e32 vcc_lo, 0, v204
	s_and_b32 s16, s15, vcc_lo
	s_wait_alu 0xfffe
	s_and_saveexec_b32 s15, s16
	s_cbranch_execz .LBB1227_1036
; %bb.1035:                             ;   in Loop: Header=BB1227_974 Depth=2
	s_wait_dscnt 0x0
	v_bcnt_u32_b32 v70, v70, v203
	ds_store_b32 v205, v70 offset:1056
.LBB1227_1036:                          ;   in Loop: Header=BB1227_974 Depth=2
	s_wait_alu 0xfffe
	s_or_b32 exec_lo, exec_lo, s15
	v_cmp_lt_i64_e32 vcc_lo, -1, v[50:51]
	v_ashrrev_i32_e32 v71, 31, v51
	; wave barrier
	s_delay_alu instid0(VALU_DEP_1) | instskip(SKIP_2) | instid1(VALU_DEP_1)
	v_xor_b32_e32 v50, v71, v50
	s_wait_alu 0xfffd
	v_cndmask_b32_e64 v70, -1, 0x80000000, vcc_lo
	v_xor_b32_e32 v51, v70, v51
	s_delay_alu instid0(VALU_DEP_1) | instskip(SKIP_3) | instid1(VALU_DEP_1)
	v_cmp_ne_u64_e32 vcc_lo, s[42:43], v[50:51]
	s_wait_alu 0xfffd
	v_cndmask_b32_e32 v71, 0x80000000, v51, vcc_lo
	v_cndmask_b32_e32 v70, 0, v50, vcc_lo
	v_lshrrev_b64 v[70:71], s31, v[70:71]
	s_delay_alu instid0(VALU_DEP_1) | instskip(NEXT) | instid1(VALU_DEP_1)
	v_and_b32_e32 v71, s56, v70
	v_and_b32_e32 v70, 1, v71
	v_lshlrev_b32_e32 v72, 30, v71
	v_lshlrev_b32_e32 v73, 29, v71
	;; [unrolled: 1-line block ×4, first 2 shown]
	v_add_co_u32 v70, s15, v70, -1
	s_wait_alu 0xf1ff
	v_cndmask_b32_e64 v75, 0, 1, s15
	v_not_b32_e32 v207, v72
	v_cmp_gt_i32_e64 s15, 0, v72
	v_not_b32_e32 v72, v73
	v_lshlrev_b32_e32 v77, 26, v71
	v_cmp_ne_u32_e32 vcc_lo, 0, v75
	v_ashrrev_i32_e32 v207, 31, v207
	v_lshlrev_b32_e32 v206, 25, v71
	v_ashrrev_i32_e32 v72, 31, v72
	v_lshlrev_b32_e32 v75, 24, v71
	s_wait_alu 0xfffd
	v_xor_b32_e32 v70, vcc_lo, v70
	v_cmp_gt_i32_e32 vcc_lo, 0, v73
	v_not_b32_e32 v73, v74
	s_wait_alu 0xf1ff
	v_xor_b32_e32 v207, s15, v207
	v_cmp_gt_i32_e64 s15, 0, v74
	v_and_b32_e32 v70, exec_lo, v70
	v_not_b32_e32 v74, v76
	v_ashrrev_i32_e32 v73, 31, v73
	s_wait_alu 0xfffd
	v_xor_b32_e32 v72, vcc_lo, v72
	v_cmp_gt_i32_e32 vcc_lo, 0, v76
	v_and_b32_e32 v70, v70, v207
	v_not_b32_e32 v76, v77
	v_ashrrev_i32_e32 v74, 31, v74
	s_wait_alu 0xf1ff
	v_xor_b32_e32 v73, s15, v73
	v_cmp_gt_i32_e64 s15, 0, v77
	v_and_b32_e32 v70, v70, v72
	v_not_b32_e32 v72, v206
	v_ashrrev_i32_e32 v76, 31, v76
	s_wait_alu 0xfffd
	v_xor_b32_e32 v74, vcc_lo, v74
	v_cmp_gt_i32_e32 vcc_lo, 0, v206
	v_and_b32_e32 v70, v70, v73
	v_not_b32_e32 v73, v75
	v_ashrrev_i32_e32 v72, 31, v72
	s_wait_alu 0xf1ff
	v_xor_b32_e32 v76, s15, v76
	v_cmp_gt_i32_e64 s15, 0, v75
	v_and_b32_e32 v70, v70, v74
	v_ashrrev_i32_e32 v73, 31, v73
	s_wait_alu 0xfffd
	v_xor_b32_e32 v72, vcc_lo, v72
	v_mad_u32_u24 v74, v71, 36, v147
	v_mul_u32_u24_e32 v71, 36, v71
	v_and_b32_e32 v70, v70, v76
	s_wait_alu 0xf1ff
	v_xor_b32_e32 v73, s15, v73
	ds_load_b32 v206, v74 offset:1056
	v_add_nc_u32_e32 v208, v147, v71
	v_and_b32_e32 v70, v70, v72
	; wave barrier
	s_delay_alu instid0(VALU_DEP_1) | instskip(NEXT) | instid1(VALU_DEP_1)
	v_and_b32_e32 v70, v70, v73
	v_mbcnt_lo_u32_b32 v207, v70, 0
	v_cmp_ne_u32_e64 s15, 0, v70
	s_delay_alu instid0(VALU_DEP_2)
	v_cmp_eq_u32_e32 vcc_lo, 0, v207
	s_and_b32 s16, s15, vcc_lo
	s_wait_alu 0xfffe
	s_and_saveexec_b32 s15, s16
	s_cbranch_execz .LBB1227_1038
; %bb.1037:                             ;   in Loop: Header=BB1227_974 Depth=2
	s_wait_dscnt 0x0
	v_bcnt_u32_b32 v70, v70, v206
	ds_store_b32 v208, v70 offset:1056
.LBB1227_1038:                          ;   in Loop: Header=BB1227_974 Depth=2
	s_wait_alu 0xfffe
	s_or_b32 exec_lo, exec_lo, s15
	v_cmp_lt_i64_e32 vcc_lo, -1, v[46:47]
	v_ashrrev_i32_e32 v71, 31, v47
	; wave barrier
	s_delay_alu instid0(VALU_DEP_1) | instskip(SKIP_2) | instid1(VALU_DEP_1)
	v_xor_b32_e32 v46, v71, v46
	s_wait_alu 0xfffd
	v_cndmask_b32_e64 v70, -1, 0x80000000, vcc_lo
	v_xor_b32_e32 v47, v70, v47
	s_delay_alu instid0(VALU_DEP_1) | instskip(SKIP_3) | instid1(VALU_DEP_1)
	v_cmp_ne_u64_e32 vcc_lo, s[42:43], v[46:47]
	s_wait_alu 0xfffd
	v_cndmask_b32_e32 v71, 0x80000000, v47, vcc_lo
	v_cndmask_b32_e32 v70, 0, v46, vcc_lo
	v_lshrrev_b64 v[70:71], s31, v[70:71]
	s_delay_alu instid0(VALU_DEP_1) | instskip(NEXT) | instid1(VALU_DEP_1)
	v_and_b32_e32 v71, s56, v70
	v_and_b32_e32 v70, 1, v71
	v_lshlrev_b32_e32 v72, 30, v71
	v_lshlrev_b32_e32 v73, 29, v71
	;; [unrolled: 1-line block ×4, first 2 shown]
	v_add_co_u32 v70, s15, v70, -1
	s_wait_alu 0xf1ff
	v_cndmask_b32_e64 v75, 0, 1, s15
	v_not_b32_e32 v210, v72
	v_cmp_gt_i32_e64 s15, 0, v72
	v_not_b32_e32 v72, v73
	v_lshlrev_b32_e32 v77, 26, v71
	v_cmp_ne_u32_e32 vcc_lo, 0, v75
	v_ashrrev_i32_e32 v210, 31, v210
	v_lshlrev_b32_e32 v209, 25, v71
	v_ashrrev_i32_e32 v72, 31, v72
	v_lshlrev_b32_e32 v75, 24, v71
	s_wait_alu 0xfffd
	v_xor_b32_e32 v70, vcc_lo, v70
	v_cmp_gt_i32_e32 vcc_lo, 0, v73
	v_not_b32_e32 v73, v74
	s_wait_alu 0xf1ff
	v_xor_b32_e32 v210, s15, v210
	v_cmp_gt_i32_e64 s15, 0, v74
	v_and_b32_e32 v70, exec_lo, v70
	v_not_b32_e32 v74, v76
	v_ashrrev_i32_e32 v73, 31, v73
	s_wait_alu 0xfffd
	v_xor_b32_e32 v72, vcc_lo, v72
	v_cmp_gt_i32_e32 vcc_lo, 0, v76
	v_and_b32_e32 v70, v70, v210
	v_not_b32_e32 v76, v77
	v_ashrrev_i32_e32 v74, 31, v74
	s_wait_alu 0xf1ff
	v_xor_b32_e32 v73, s15, v73
	v_cmp_gt_i32_e64 s15, 0, v77
	v_and_b32_e32 v70, v70, v72
	v_not_b32_e32 v72, v209
	v_ashrrev_i32_e32 v76, 31, v76
	s_wait_alu 0xfffd
	v_xor_b32_e32 v74, vcc_lo, v74
	v_cmp_gt_i32_e32 vcc_lo, 0, v209
	v_and_b32_e32 v70, v70, v73
	v_not_b32_e32 v73, v75
	v_ashrrev_i32_e32 v72, 31, v72
	s_wait_alu 0xf1ff
	v_xor_b32_e32 v76, s15, v76
	v_cmp_gt_i32_e64 s15, 0, v75
	v_and_b32_e32 v70, v70, v74
	v_ashrrev_i32_e32 v73, 31, v73
	s_wait_alu 0xfffd
	v_xor_b32_e32 v72, vcc_lo, v72
	v_mad_u32_u24 v74, v71, 36, v147
	v_mul_u32_u24_e32 v71, 36, v71
	v_and_b32_e32 v70, v70, v76
	s_wait_alu 0xf1ff
	v_xor_b32_e32 v73, s15, v73
	ds_load_b32 v209, v74 offset:1056
	v_add_nc_u32_e32 v212, v147, v71
	v_and_b32_e32 v70, v70, v72
	; wave barrier
	s_delay_alu instid0(VALU_DEP_1) | instskip(NEXT) | instid1(VALU_DEP_1)
	v_and_b32_e32 v70, v70, v73
	v_mbcnt_lo_u32_b32 v210, v70, 0
	v_cmp_ne_u32_e64 s15, 0, v70
	s_delay_alu instid0(VALU_DEP_2)
	v_cmp_eq_u32_e32 vcc_lo, 0, v210
	s_and_b32 s16, s15, vcc_lo
	s_wait_alu 0xfffe
	s_and_saveexec_b32 s15, s16
	s_cbranch_execz .LBB1227_1040
; %bb.1039:                             ;   in Loop: Header=BB1227_974 Depth=2
	s_wait_dscnt 0x0
	v_bcnt_u32_b32 v70, v70, v209
	ds_store_b32 v212, v70 offset:1056
.LBB1227_1040:                          ;   in Loop: Header=BB1227_974 Depth=2
	s_wait_alu 0xfffe
	s_or_b32 exec_lo, exec_lo, s15
	v_cmp_lt_i64_e32 vcc_lo, -1, v[44:45]
	v_ashrrev_i32_e32 v71, 31, v45
	; wave barrier
	s_delay_alu instid0(VALU_DEP_1) | instskip(SKIP_2) | instid1(VALU_DEP_1)
	v_xor_b32_e32 v44, v71, v44
	s_wait_alu 0xfffd
	v_cndmask_b32_e64 v70, -1, 0x80000000, vcc_lo
	v_xor_b32_e32 v45, v70, v45
	s_delay_alu instid0(VALU_DEP_1) | instskip(SKIP_3) | instid1(VALU_DEP_1)
	v_cmp_ne_u64_e32 vcc_lo, s[42:43], v[44:45]
	s_wait_alu 0xfffd
	v_cndmask_b32_e32 v71, 0x80000000, v45, vcc_lo
	v_cndmask_b32_e32 v70, 0, v44, vcc_lo
	v_lshrrev_b64 v[70:71], s31, v[70:71]
	s_delay_alu instid0(VALU_DEP_1) | instskip(NEXT) | instid1(VALU_DEP_1)
	v_and_b32_e32 v71, s56, v70
	v_and_b32_e32 v70, 1, v71
	v_lshlrev_b32_e32 v72, 30, v71
	v_lshlrev_b32_e32 v73, 29, v71
	;; [unrolled: 1-line block ×4, first 2 shown]
	v_add_co_u32 v70, s15, v70, -1
	s_wait_alu 0xf1ff
	v_cndmask_b32_e64 v75, 0, 1, s15
	v_not_b32_e32 v213, v72
	v_cmp_gt_i32_e64 s15, 0, v72
	v_not_b32_e32 v72, v73
	v_lshlrev_b32_e32 v77, 26, v71
	v_cmp_ne_u32_e32 vcc_lo, 0, v75
	v_ashrrev_i32_e32 v213, 31, v213
	v_lshlrev_b32_e32 v211, 25, v71
	v_ashrrev_i32_e32 v72, 31, v72
	v_lshlrev_b32_e32 v75, 24, v71
	s_wait_alu 0xfffd
	v_xor_b32_e32 v70, vcc_lo, v70
	v_cmp_gt_i32_e32 vcc_lo, 0, v73
	v_not_b32_e32 v73, v74
	s_wait_alu 0xf1ff
	v_xor_b32_e32 v213, s15, v213
	v_cmp_gt_i32_e64 s15, 0, v74
	v_and_b32_e32 v70, exec_lo, v70
	v_not_b32_e32 v74, v76
	v_ashrrev_i32_e32 v73, 31, v73
	s_wait_alu 0xfffd
	v_xor_b32_e32 v72, vcc_lo, v72
	v_cmp_gt_i32_e32 vcc_lo, 0, v76
	v_and_b32_e32 v70, v70, v213
	v_not_b32_e32 v76, v77
	v_ashrrev_i32_e32 v74, 31, v74
	s_wait_alu 0xf1ff
	v_xor_b32_e32 v73, s15, v73
	v_cmp_gt_i32_e64 s15, 0, v77
	v_and_b32_e32 v70, v70, v72
	v_not_b32_e32 v72, v211
	v_ashrrev_i32_e32 v76, 31, v76
	s_wait_alu 0xfffd
	v_xor_b32_e32 v74, vcc_lo, v74
	v_cmp_gt_i32_e32 vcc_lo, 0, v211
	v_and_b32_e32 v70, v70, v73
	v_not_b32_e32 v73, v75
	v_ashrrev_i32_e32 v72, 31, v72
	s_wait_alu 0xf1ff
	v_xor_b32_e32 v76, s15, v76
	v_cmp_gt_i32_e64 s15, 0, v75
	v_and_b32_e32 v70, v70, v74
	v_ashrrev_i32_e32 v73, 31, v73
	s_wait_alu 0xfffd
	v_xor_b32_e32 v72, vcc_lo, v72
	v_mad_u32_u24 v74, v71, 36, v147
	v_mul_u32_u24_e32 v71, 36, v71
	v_and_b32_e32 v70, v70, v76
	s_wait_alu 0xf1ff
	v_xor_b32_e32 v73, s15, v73
	ds_load_b32 v211, v74 offset:1056
	v_add_nc_u32_e32 v214, v147, v71
	v_and_b32_e32 v70, v70, v72
	; wave barrier
	s_delay_alu instid0(VALU_DEP_1) | instskip(NEXT) | instid1(VALU_DEP_1)
	v_and_b32_e32 v70, v70, v73
	v_mbcnt_lo_u32_b32 v213, v70, 0
	v_cmp_ne_u32_e64 s15, 0, v70
	s_delay_alu instid0(VALU_DEP_2)
	v_cmp_eq_u32_e32 vcc_lo, 0, v213
	s_and_b32 s16, s15, vcc_lo
	s_wait_alu 0xfffe
	s_and_saveexec_b32 s15, s16
	s_cbranch_execz .LBB1227_1042
; %bb.1041:                             ;   in Loop: Header=BB1227_974 Depth=2
	s_wait_dscnt 0x0
	v_bcnt_u32_b32 v70, v70, v211
	ds_store_b32 v214, v70 offset:1056
.LBB1227_1042:                          ;   in Loop: Header=BB1227_974 Depth=2
	s_wait_alu 0xfffe
	s_or_b32 exec_lo, exec_lo, s15
	; wave barrier
	s_wait_loadcnt_dscnt 0x0
	s_barrier_signal -1
	s_barrier_wait -1
	global_inv scope:SCOPE_SE
	ds_load_2addr_b32 v[76:77], v166 offset1:1
	ds_load_2addr_b32 v[74:75], v167 offset1:1
	;; [unrolled: 1-line block ×4, first 2 shown]
	ds_load_b32 v215, v103 offset:1088
	s_wait_dscnt 0x3
	v_add3_u32 v216, v77, v76, v74
	s_wait_dscnt 0x2
	s_delay_alu instid0(VALU_DEP_1) | instskip(SKIP_1) | instid1(VALU_DEP_1)
	v_add3_u32 v216, v216, v75, v72
	s_wait_dscnt 0x1
	v_add3_u32 v216, v216, v73, v70
	s_wait_dscnt 0x0
	s_delay_alu instid0(VALU_DEP_1) | instskip(NEXT) | instid1(VALU_DEP_1)
	v_add3_u32 v215, v216, v71, v215
	v_mov_b32_dpp v216, v215 row_shr:1 row_mask:0xf bank_mask:0xf
	s_delay_alu instid0(VALU_DEP_1) | instskip(NEXT) | instid1(VALU_DEP_1)
	v_cndmask_b32_e64 v216, v216, 0, s6
	v_add_nc_u32_e32 v215, v216, v215
	s_delay_alu instid0(VALU_DEP_1) | instskip(NEXT) | instid1(VALU_DEP_1)
	v_mov_b32_dpp v216, v215 row_shr:2 row_mask:0xf bank_mask:0xf
	v_cndmask_b32_e64 v216, 0, v216, s7
	s_delay_alu instid0(VALU_DEP_1) | instskip(NEXT) | instid1(VALU_DEP_1)
	v_add_nc_u32_e32 v215, v215, v216
	v_mov_b32_dpp v216, v215 row_shr:4 row_mask:0xf bank_mask:0xf
	s_delay_alu instid0(VALU_DEP_1) | instskip(NEXT) | instid1(VALU_DEP_1)
	v_cndmask_b32_e64 v216, 0, v216, s8
	v_add_nc_u32_e32 v215, v215, v216
	s_delay_alu instid0(VALU_DEP_1) | instskip(NEXT) | instid1(VALU_DEP_1)
	v_mov_b32_dpp v216, v215 row_shr:8 row_mask:0xf bank_mask:0xf
	v_cndmask_b32_e64 v216, 0, v216, s9
	s_delay_alu instid0(VALU_DEP_1) | instskip(SKIP_3) | instid1(VALU_DEP_1)
	v_add_nc_u32_e32 v215, v215, v216
	ds_swizzle_b32 v216, v215 offset:swizzle(BROADCAST,32,15)
	s_wait_dscnt 0x0
	v_cndmask_b32_e64 v216, v216, 0, s10
	v_add_nc_u32_e32 v215, v215, v216
	s_and_saveexec_b32 s15, s3
; %bb.1043:                             ;   in Loop: Header=BB1227_974 Depth=2
	ds_store_b32 v97, v215 offset:1024
; %bb.1044:                             ;   in Loop: Header=BB1227_974 Depth=2
	s_wait_alu 0xfffe
	s_or_b32 exec_lo, exec_lo, s15
	s_wait_loadcnt_dscnt 0x0
	s_barrier_signal -1
	s_barrier_wait -1
	global_inv scope:SCOPE_SE
	s_and_saveexec_b32 s15, s4
	s_cbranch_execz .LBB1227_1046
; %bb.1045:                             ;   in Loop: Header=BB1227_974 Depth=2
	ds_load_b32 v216, v105 offset:1024
	s_wait_dscnt 0x0
	v_mov_b32_dpp v217, v216 row_shr:1 row_mask:0xf bank_mask:0xf
	s_delay_alu instid0(VALU_DEP_1) | instskip(NEXT) | instid1(VALU_DEP_1)
	v_cndmask_b32_e64 v217, v217, 0, s12
	v_add_nc_u32_e32 v216, v217, v216
	s_delay_alu instid0(VALU_DEP_1) | instskip(NEXT) | instid1(VALU_DEP_1)
	v_mov_b32_dpp v217, v216 row_shr:2 row_mask:0xf bank_mask:0xf
	v_cndmask_b32_e64 v217, 0, v217, s13
	s_delay_alu instid0(VALU_DEP_1) | instskip(NEXT) | instid1(VALU_DEP_1)
	v_add_nc_u32_e32 v216, v216, v217
	v_mov_b32_dpp v217, v216 row_shr:4 row_mask:0xf bank_mask:0xf
	s_delay_alu instid0(VALU_DEP_1) | instskip(NEXT) | instid1(VALU_DEP_1)
	v_cndmask_b32_e64 v217, 0, v217, s14
	v_add_nc_u32_e32 v216, v216, v217
	ds_store_b32 v105, v216 offset:1024
.LBB1227_1046:                          ;   in Loop: Header=BB1227_974 Depth=2
	s_wait_alu 0xfffe
	s_or_b32 exec_lo, exec_lo, s15
	v_mov_b32_e32 v216, 0
	s_wait_loadcnt_dscnt 0x0
	s_barrier_signal -1
	s_barrier_wait -1
	global_inv scope:SCOPE_SE
	s_and_saveexec_b32 s15, s5
; %bb.1047:                             ;   in Loop: Header=BB1227_974 Depth=2
	ds_load_b32 v216, v97 offset:1020
; %bb.1048:                             ;   in Loop: Header=BB1227_974 Depth=2
	s_wait_alu 0xfffe
	s_or_b32 exec_lo, exec_lo, s15
	s_wait_dscnt 0x0
	v_add_nc_u32_e32 v215, v216, v215
	ds_bpermute_b32 v215, v126, v215
	s_wait_dscnt 0x0
	v_cndmask_b32_e64 v215, v215, v216, s11
	s_delay_alu instid0(VALU_DEP_1) | instskip(NEXT) | instid1(VALU_DEP_1)
	v_cndmask_b32_e64 v215, v215, 0, s0
	v_add_nc_u32_e32 v76, v215, v76
	s_delay_alu instid0(VALU_DEP_1) | instskip(NEXT) | instid1(VALU_DEP_1)
	v_add_nc_u32_e32 v77, v76, v77
	v_add_nc_u32_e32 v74, v77, v74
	s_delay_alu instid0(VALU_DEP_1) | instskip(NEXT) | instid1(VALU_DEP_1)
	v_add_nc_u32_e32 v75, v74, v75
	;; [unrolled: 3-line block ×3, first 2 shown]
	v_add_nc_u32_e32 v70, v73, v70
	s_delay_alu instid0(VALU_DEP_1)
	v_add_nc_u32_e32 v71, v70, v71
	ds_store_2addr_b32 v165, v73, v70 offset1:1
	ds_store_2addr_b32 v166, v215, v76 offset1:1
	;; [unrolled: 1-line block ×4, first 2 shown]
	ds_store_b32 v103, v71 offset:1088
	s_wait_loadcnt_dscnt 0x0
	s_barrier_signal -1
	s_barrier_wait -1
	global_inv scope:SCOPE_SE
	ds_load_b32 v71, v169 offset:1056
	ds_load_b32 v76, v172 offset:1056
	;; [unrolled: 1-line block ×17, first 2 shown]
	v_mov_b32_e32 v70, 0x1000
	s_and_saveexec_b32 s15, s1
; %bb.1049:                             ;   in Loop: Header=BB1227_974 Depth=2
	ds_load_b32 v70, v103 offset:1092
; %bb.1050:                             ;   in Loop: Header=BB1227_974 Depth=2
	s_wait_alu 0xfffe
	s_or_b32 exec_lo, exec_lo, s15
	s_wait_loadcnt_dscnt 0x0
	s_barrier_signal -1
	s_barrier_wait -1
	global_inv scope:SCOPE_SE
	s_and_saveexec_b32 s15, s2
	s_cbranch_execz .LBB1227_1052
; %bb.1051:                             ;   in Loop: Header=BB1227_974 Depth=2
	ds_load_b32 v187, v78
	s_wait_dscnt 0x0
	v_sub_nc_u32_e32 v184, v187, v184
	ds_store_b32 v78, v184
.LBB1227_1052:                          ;   in Loop: Header=BB1227_974 Depth=2
	s_wait_alu 0xfffe
	s_or_b32 exec_lo, exec_lo, s15
	v_lshlrev_b32_e32 v2, 3, v2
	v_lshlrev_b32_e32 v171, 3, v171
	;; [unrolled: 1-line block ×5, first 2 shown]
	v_lshl_add_u32 v71, v71, 3, v2
	v_lshlrev_b32_e32 v2, 3, v173
	v_lshlrev_b32_e32 v75, 3, v75
	;; [unrolled: 1-line block ×4, first 2 shown]
	ds_store_b64 v71, v[38:39] offset:1024
	v_lshlrev_b32_e32 v38, 3, v74
	v_lshlrev_b32_e32 v39, 3, v180
	v_lshlrev_b32_e32 v177, 3, v179
	v_lshlrev_b32_e32 v179, 3, v73
	v_lshlrev_b32_e32 v180, 3, v183
	v_lshlrev_b32_e32 v182, 3, v182
	v_lshlrev_b32_e32 v183, 3, v72
	v_add3_u32 v72, v171, v170, v76
	v_add3_u32 v73, v174, v2, v75
	;; [unrolled: 1-line block ×5, first 2 shown]
	v_lshlrev_b32_e32 v2, 3, v186
	v_lshlrev_b32_e32 v38, 3, v185
	;; [unrolled: 1-line block ×3, first 2 shown]
	ds_store_b64 v72, v[40:41] offset:1024
	ds_store_b64 v73, v[42:43] offset:1024
	;; [unrolled: 1-line block ×5, first 2 shown]
	v_lshlrev_b32_e32 v41, 3, v189
	v_lshlrev_b32_e32 v42, 3, v188
	;; [unrolled: 1-line block ×12, first 2 shown]
	v_add3_u32 v40, v2, v38, v39
	v_add3_u32 v41, v41, v42, v43
	;; [unrolled: 1-line block ×5, first 2 shown]
	ds_store_b64 v40, v[62:63] offset:1024
	ds_store_b64 v41, v[66:67] offset:1024
	;; [unrolled: 1-line block ×5, first 2 shown]
	v_lshlrev_b32_e32 v2, 3, v201
	v_lshlrev_b32_e32 v38, 3, v200
	;; [unrolled: 1-line block ×15, first 2 shown]
	v_add3_u32 v49, v2, v38, v39
	v_add3_u32 v54, v54, v55, v58
	;; [unrolled: 1-line block ×5, first 2 shown]
	v_cmp_lt_u32_e32 vcc_lo, v1, v164
	ds_store_b64 v49, v[56:57] offset:1024
	ds_store_b64 v54, v[52:53] offset:1024
	;; [unrolled: 1-line block ×5, first 2 shown]
	s_wait_loadcnt_dscnt 0x0
	s_barrier_signal -1
	s_barrier_wait -1
	global_inv scope:SCOPE_SE
	s_and_saveexec_b32 s16, vcc_lo
	s_cbranch_execnz .LBB1227_1121
; %bb.1053:                             ;   in Loop: Header=BB1227_974 Depth=2
	s_wait_alu 0xfffe
	s_or_b32 exec_lo, exec_lo, s16
	v_cmp_lt_u32_e64 s15, v79, v164
	s_and_saveexec_b32 s17, s15
	s_cbranch_execnz .LBB1227_1122
.LBB1227_1054:                          ;   in Loop: Header=BB1227_974 Depth=2
	s_wait_alu 0xfffe
	s_or_b32 exec_lo, exec_lo, s17
	v_cmp_lt_u32_e64 s16, v80, v164
	s_and_saveexec_b32 s18, s16
	s_cbranch_execnz .LBB1227_1123
.LBB1227_1055:                          ;   in Loop: Header=BB1227_974 Depth=2
	s_wait_alu 0xfffe
	s_or_b32 exec_lo, exec_lo, s18
	v_cmp_lt_u32_e64 s17, v81, v164
	s_and_saveexec_b32 s19, s17
	s_cbranch_execnz .LBB1227_1124
.LBB1227_1056:                          ;   in Loop: Header=BB1227_974 Depth=2
	s_wait_alu 0xfffe
	s_or_b32 exec_lo, exec_lo, s19
	v_cmp_lt_u32_e64 s18, v84, v164
	s_and_saveexec_b32 s20, s18
	s_cbranch_execnz .LBB1227_1125
.LBB1227_1057:                          ;   in Loop: Header=BB1227_974 Depth=2
	s_wait_alu 0xfffe
	s_or_b32 exec_lo, exec_lo, s20
	v_cmp_lt_u32_e64 s19, v85, v164
	s_and_saveexec_b32 s21, s19
	s_cbranch_execnz .LBB1227_1126
.LBB1227_1058:                          ;   in Loop: Header=BB1227_974 Depth=2
	s_wait_alu 0xfffe
	s_or_b32 exec_lo, exec_lo, s21
	v_cmp_lt_u32_e64 s20, v86, v164
	s_and_saveexec_b32 s22, s20
	s_cbranch_execnz .LBB1227_1127
.LBB1227_1059:                          ;   in Loop: Header=BB1227_974 Depth=2
	s_wait_alu 0xfffe
	s_or_b32 exec_lo, exec_lo, s22
	v_cmp_lt_u32_e64 s21, v87, v164
	s_and_saveexec_b32 s23, s21
	s_cbranch_execnz .LBB1227_1128
.LBB1227_1060:                          ;   in Loop: Header=BB1227_974 Depth=2
	s_wait_alu 0xfffe
	s_or_b32 exec_lo, exec_lo, s23
	v_cmp_lt_u32_e64 s22, v88, v164
	s_and_saveexec_b32 s24, s22
	s_cbranch_execnz .LBB1227_1129
.LBB1227_1061:                          ;   in Loop: Header=BB1227_974 Depth=2
	s_wait_alu 0xfffe
	s_or_b32 exec_lo, exec_lo, s24
	v_cmp_lt_u32_e64 s23, v89, v164
	s_and_saveexec_b32 s25, s23
	s_cbranch_execnz .LBB1227_1130
.LBB1227_1062:                          ;   in Loop: Header=BB1227_974 Depth=2
	s_wait_alu 0xfffe
	s_or_b32 exec_lo, exec_lo, s25
	v_cmp_lt_u32_e64 s24, v90, v164
	s_and_saveexec_b32 s26, s24
	s_cbranch_execnz .LBB1227_1131
.LBB1227_1063:                          ;   in Loop: Header=BB1227_974 Depth=2
	s_wait_alu 0xfffe
	s_or_b32 exec_lo, exec_lo, s26
	v_cmp_lt_u32_e64 s25, v91, v164
	s_and_saveexec_b32 s27, s25
	s_cbranch_execnz .LBB1227_1132
.LBB1227_1064:                          ;   in Loop: Header=BB1227_974 Depth=2
	s_wait_alu 0xfffe
	s_or_b32 exec_lo, exec_lo, s27
	v_cmp_lt_u32_e64 s26, v92, v164
	s_and_saveexec_b32 s28, s26
	s_cbranch_execnz .LBB1227_1133
.LBB1227_1065:                          ;   in Loop: Header=BB1227_974 Depth=2
	s_wait_alu 0xfffe
	s_or_b32 exec_lo, exec_lo, s28
	v_cmp_lt_u32_e64 s27, v93, v164
	s_and_saveexec_b32 s29, s27
	s_cbranch_execnz .LBB1227_1134
.LBB1227_1066:                          ;   in Loop: Header=BB1227_974 Depth=2
	s_wait_alu 0xfffe
	s_or_b32 exec_lo, exec_lo, s29
	v_cmp_lt_u32_e64 s28, v94, v164
	s_and_saveexec_b32 s30, s28
	s_cbranch_execnz .LBB1227_1135
.LBB1227_1067:                          ;   in Loop: Header=BB1227_974 Depth=2
	s_wait_alu 0xfffe
	s_or_b32 exec_lo, exec_lo, s30
	v_cmp_lt_u32_e64 s29, v95, v164
	s_and_saveexec_b32 s59, s29
	s_cbranch_execz .LBB1227_1069
.LBB1227_1068:                          ;   in Loop: Header=BB1227_974 Depth=2
	ds_load_b64 v[38:39], v110 offset:31744
	s_wait_dscnt 0x0
	v_cmp_ne_u64_e64 s30, s[42:43], v[38:39]
	s_wait_alu 0xf1ff
	s_delay_alu instid0(VALU_DEP_1) | instskip(SKIP_2) | instid1(VALU_DEP_2)
	v_cndmask_b32_e64 v45, 0x80000000, v39, s30
	v_cndmask_b32_e64 v44, 0, v38, s30
	v_cmp_lt_i64_e64 s30, -1, v[38:39]
	v_lshrrev_b64 v[44:45], s31, v[44:45]
	s_wait_alu 0xf1ff
	s_delay_alu instid0(VALU_DEP_2) | instskip(NEXT) | instid1(VALU_DEP_2)
	v_cndmask_b32_e64 v46, 0x80000000, -1, s30
	v_and_b32_e32 v2, s56, v44
	v_ashrrev_i32_e32 v44, 31, v39
	s_delay_alu instid0(VALU_DEP_3) | instskip(NEXT) | instid1(VALU_DEP_3)
	v_xor_b32_e32 v39, v46, v39
	v_lshlrev_b32_e32 v2, 2, v2
	s_delay_alu instid0(VALU_DEP_3) | instskip(SKIP_4) | instid1(VALU_DEP_1)
	v_not_b32_e32 v47, v44
	ds_load_b32 v2, v2
	v_xor_b32_e32 v38, v47, v38
	s_wait_dscnt 0x0
	v_add_nc_u32_e32 v2, v2, v95
	v_lshlrev_b64_e32 v[44:45], 3, v[2:3]
	s_delay_alu instid0(VALU_DEP_1) | instskip(SKIP_1) | instid1(VALU_DEP_2)
	v_add_co_u32 v44, s30, s40, v44
	s_wait_alu 0xf1ff
	v_add_co_ci_u32_e64 v45, null, s41, v45, s30
	global_store_b64 v[44:45], v[38:39], off
.LBB1227_1069:                          ;   in Loop: Header=BB1227_974 Depth=2
	s_wait_alu 0xfffe
	s_or_b32 exec_lo, exec_lo, s59
	s_lshl_b64 s[60:61], s[34:35], 3
	s_wait_alu 0xfffe
	v_add_co_u32 v38, s30, v128, s60
	s_wait_alu 0xf1ff
	v_add_co_ci_u32_e64 v39, null, s61, v129, s30
	v_cmp_lt_u32_e64 s30, v127, v164
	s_and_saveexec_b32 s34, s30
	s_wait_alu 0xfffe
	s_xor_b32 s30, exec_lo, s34
	s_cbranch_execnz .LBB1227_1136
; %bb.1070:                             ;   in Loop: Header=BB1227_974 Depth=2
	s_wait_alu 0xfffe
	s_or_b32 exec_lo, exec_lo, s30
	s_delay_alu instid0(SALU_CYCLE_1)
	s_mov_b32 s34, exec_lo
	v_cmpx_lt_u32_e64 v130, v164
	s_cbranch_execnz .LBB1227_1137
.LBB1227_1071:                          ;   in Loop: Header=BB1227_974 Depth=2
	s_wait_alu 0xfffe
	s_or_b32 exec_lo, exec_lo, s34
	s_delay_alu instid0(SALU_CYCLE_1)
	s_mov_b32 s34, exec_lo
	v_cmpx_lt_u32_e64 v131, v164
	s_cbranch_execnz .LBB1227_1138
.LBB1227_1072:                          ;   in Loop: Header=BB1227_974 Depth=2
	s_wait_alu 0xfffe
	s_or_b32 exec_lo, exec_lo, s34
	s_delay_alu instid0(SALU_CYCLE_1)
	s_mov_b32 s34, exec_lo
	v_cmpx_lt_u32_e64 v132, v164
	s_cbranch_execnz .LBB1227_1139
.LBB1227_1073:                          ;   in Loop: Header=BB1227_974 Depth=2
	s_wait_alu 0xfffe
	s_or_b32 exec_lo, exec_lo, s34
	s_delay_alu instid0(SALU_CYCLE_1)
	s_mov_b32 s34, exec_lo
	v_cmpx_lt_u32_e64 v133, v164
	s_cbranch_execnz .LBB1227_1140
.LBB1227_1074:                          ;   in Loop: Header=BB1227_974 Depth=2
	s_wait_alu 0xfffe
	s_or_b32 exec_lo, exec_lo, s34
	s_delay_alu instid0(SALU_CYCLE_1)
	s_mov_b32 s34, exec_lo
	v_cmpx_lt_u32_e64 v134, v164
	s_cbranch_execnz .LBB1227_1141
.LBB1227_1075:                          ;   in Loop: Header=BB1227_974 Depth=2
	s_wait_alu 0xfffe
	s_or_b32 exec_lo, exec_lo, s34
	s_delay_alu instid0(SALU_CYCLE_1)
	s_mov_b32 s34, exec_lo
	v_cmpx_lt_u32_e64 v135, v164
	s_cbranch_execnz .LBB1227_1142
.LBB1227_1076:                          ;   in Loop: Header=BB1227_974 Depth=2
	s_wait_alu 0xfffe
	s_or_b32 exec_lo, exec_lo, s34
	s_delay_alu instid0(SALU_CYCLE_1)
	s_mov_b32 s34, exec_lo
	v_cmpx_lt_u32_e64 v136, v164
	s_cbranch_execnz .LBB1227_1143
.LBB1227_1077:                          ;   in Loop: Header=BB1227_974 Depth=2
	s_wait_alu 0xfffe
	s_or_b32 exec_lo, exec_lo, s34
	s_delay_alu instid0(SALU_CYCLE_1)
	s_mov_b32 s34, exec_lo
	v_cmpx_lt_u32_e64 v137, v164
	s_cbranch_execnz .LBB1227_1144
.LBB1227_1078:                          ;   in Loop: Header=BB1227_974 Depth=2
	s_wait_alu 0xfffe
	s_or_b32 exec_lo, exec_lo, s34
	s_delay_alu instid0(SALU_CYCLE_1)
	s_mov_b32 s34, exec_lo
	v_cmpx_lt_u32_e64 v138, v164
	s_cbranch_execnz .LBB1227_1145
.LBB1227_1079:                          ;   in Loop: Header=BB1227_974 Depth=2
	s_wait_alu 0xfffe
	s_or_b32 exec_lo, exec_lo, s34
	s_delay_alu instid0(SALU_CYCLE_1)
	s_mov_b32 s34, exec_lo
	v_cmpx_lt_u32_e64 v139, v164
	s_cbranch_execnz .LBB1227_1146
.LBB1227_1080:                          ;   in Loop: Header=BB1227_974 Depth=2
	s_wait_alu 0xfffe
	s_or_b32 exec_lo, exec_lo, s34
	s_delay_alu instid0(SALU_CYCLE_1)
	s_mov_b32 s34, exec_lo
	v_cmpx_lt_u32_e64 v140, v164
	s_cbranch_execnz .LBB1227_1147
.LBB1227_1081:                          ;   in Loop: Header=BB1227_974 Depth=2
	s_wait_alu 0xfffe
	s_or_b32 exec_lo, exec_lo, s34
	s_delay_alu instid0(SALU_CYCLE_1)
	s_mov_b32 s34, exec_lo
	v_cmpx_lt_u32_e64 v141, v164
	s_cbranch_execnz .LBB1227_1148
.LBB1227_1082:                          ;   in Loop: Header=BB1227_974 Depth=2
	s_wait_alu 0xfffe
	s_or_b32 exec_lo, exec_lo, s34
	s_delay_alu instid0(SALU_CYCLE_1)
	s_mov_b32 s34, exec_lo
	v_cmpx_lt_u32_e64 v142, v164
	s_cbranch_execnz .LBB1227_1149
.LBB1227_1083:                          ;   in Loop: Header=BB1227_974 Depth=2
	s_wait_alu 0xfffe
	s_or_b32 exec_lo, exec_lo, s34
	s_delay_alu instid0(SALU_CYCLE_1)
	s_mov_b32 s34, exec_lo
	v_cmpx_lt_u32_e64 v143, v164
	s_cbranch_execnz .LBB1227_1150
.LBB1227_1084:                          ;   in Loop: Header=BB1227_974 Depth=2
	s_wait_alu 0xfffe
	s_or_b32 exec_lo, exec_lo, s34
	s_delay_alu instid0(SALU_CYCLE_1)
	s_mov_b32 s34, exec_lo
	v_cmpx_lt_u32_e64 v144, v164
	s_cbranch_execnz .LBB1227_1151
.LBB1227_1085:                          ;   in Loop: Header=BB1227_974 Depth=2
	s_wait_alu 0xfffe
	s_or_b32 exec_lo, exec_lo, s34
	s_and_saveexec_b32 s34, vcc_lo
	s_cbranch_execnz .LBB1227_1152
.LBB1227_1086:                          ;   in Loop: Header=BB1227_974 Depth=2
	s_wait_alu 0xfffe
	s_or_b32 exec_lo, exec_lo, s34
	s_and_saveexec_b32 s34, s15
	s_cbranch_execnz .LBB1227_1153
.LBB1227_1087:                          ;   in Loop: Header=BB1227_974 Depth=2
	s_wait_alu 0xfffe
	s_or_b32 exec_lo, exec_lo, s34
	s_and_saveexec_b32 s34, s16
	s_cbranch_execnz .LBB1227_1154
.LBB1227_1088:                          ;   in Loop: Header=BB1227_974 Depth=2
	s_wait_alu 0xfffe
	s_or_b32 exec_lo, exec_lo, s34
	s_and_saveexec_b32 s34, s17
	s_cbranch_execnz .LBB1227_1155
.LBB1227_1089:                          ;   in Loop: Header=BB1227_974 Depth=2
	s_wait_alu 0xfffe
	s_or_b32 exec_lo, exec_lo, s34
	s_and_saveexec_b32 s34, s18
	s_cbranch_execnz .LBB1227_1156
.LBB1227_1090:                          ;   in Loop: Header=BB1227_974 Depth=2
	s_wait_alu 0xfffe
	s_or_b32 exec_lo, exec_lo, s34
	s_and_saveexec_b32 s34, s19
	s_cbranch_execnz .LBB1227_1157
.LBB1227_1091:                          ;   in Loop: Header=BB1227_974 Depth=2
	s_wait_alu 0xfffe
	s_or_b32 exec_lo, exec_lo, s34
	s_and_saveexec_b32 s34, s20
	s_cbranch_execnz .LBB1227_1158
.LBB1227_1092:                          ;   in Loop: Header=BB1227_974 Depth=2
	s_wait_alu 0xfffe
	s_or_b32 exec_lo, exec_lo, s34
	s_and_saveexec_b32 s34, s21
	s_cbranch_execnz .LBB1227_1159
.LBB1227_1093:                          ;   in Loop: Header=BB1227_974 Depth=2
	s_wait_alu 0xfffe
	s_or_b32 exec_lo, exec_lo, s34
	s_and_saveexec_b32 s34, s22
	s_cbranch_execnz .LBB1227_1160
.LBB1227_1094:                          ;   in Loop: Header=BB1227_974 Depth=2
	s_wait_alu 0xfffe
	s_or_b32 exec_lo, exec_lo, s34
	s_and_saveexec_b32 s34, s23
	s_cbranch_execnz .LBB1227_1161
.LBB1227_1095:                          ;   in Loop: Header=BB1227_974 Depth=2
	s_wait_alu 0xfffe
	s_or_b32 exec_lo, exec_lo, s34
	s_and_saveexec_b32 s34, s24
	s_cbranch_execnz .LBB1227_1162
.LBB1227_1096:                          ;   in Loop: Header=BB1227_974 Depth=2
	s_wait_alu 0xfffe
	s_or_b32 exec_lo, exec_lo, s34
	s_and_saveexec_b32 s34, s25
	s_cbranch_execnz .LBB1227_1163
.LBB1227_1097:                          ;   in Loop: Header=BB1227_974 Depth=2
	s_wait_alu 0xfffe
	s_or_b32 exec_lo, exec_lo, s34
	s_and_saveexec_b32 s34, s26
	s_cbranch_execnz .LBB1227_1164
.LBB1227_1098:                          ;   in Loop: Header=BB1227_974 Depth=2
	s_wait_alu 0xfffe
	s_or_b32 exec_lo, exec_lo, s34
	s_and_saveexec_b32 s34, s27
	s_cbranch_execnz .LBB1227_1165
.LBB1227_1099:                          ;   in Loop: Header=BB1227_974 Depth=2
	s_wait_alu 0xfffe
	s_or_b32 exec_lo, exec_lo, s34
	s_and_saveexec_b32 s34, s28
	s_cbranch_execnz .LBB1227_1166
.LBB1227_1100:                          ;   in Loop: Header=BB1227_974 Depth=2
	s_wait_alu 0xfffe
	s_or_b32 exec_lo, exec_lo, s34
	s_and_saveexec_b32 s34, s29
	s_cbranch_execz .LBB1227_1102
.LBB1227_1101:                          ;   in Loop: Header=BB1227_974 Depth=2
	ds_load_b64 v[38:39], v110 offset:31744
	s_wait_dscnt 0x0
	v_cmp_ne_u64_e64 s30, s[42:43], v[38:39]
	s_wait_alu 0xf1ff
	s_delay_alu instid0(VALU_DEP_1) | instskip(SKIP_1) | instid1(VALU_DEP_1)
	v_cndmask_b32_e64 v39, 0x80000000, v39, s30
	v_cndmask_b32_e64 v38, 0, v38, s30
	v_lshrrev_b64 v[38:39], s31, v[38:39]
	s_delay_alu instid0(VALU_DEP_1)
	v_and_b32_e32 v148, s56, v38
.LBB1227_1102:                          ;   in Loop: Header=BB1227_974 Depth=2
	s_wait_alu 0xfffe
	s_or_b32 exec_lo, exec_lo, s34
	s_wait_loadcnt 0x0
	s_wait_storecnt 0x0
	s_barrier_signal -1
	s_barrier_wait -1
	global_inv scope:SCOPE_SE
	ds_store_b64 v71, v[36:37] offset:1024
	ds_store_b64 v72, v[34:35] offset:1024
	;; [unrolled: 1-line block ×16, first 2 shown]
	s_wait_loadcnt_dscnt 0x0
	s_barrier_signal -1
	s_barrier_wait -1
	global_inv scope:SCOPE_SE
	s_and_saveexec_b32 s30, vcc_lo
	s_cbranch_execnz .LBB1227_1167
; %bb.1103:                             ;   in Loop: Header=BB1227_974 Depth=2
	s_wait_alu 0xfffe
	s_or_b32 exec_lo, exec_lo, s30
	s_and_saveexec_b32 s30, s15
	s_cbranch_execnz .LBB1227_1168
.LBB1227_1104:                          ;   in Loop: Header=BB1227_974 Depth=2
	s_wait_alu 0xfffe
	s_or_b32 exec_lo, exec_lo, s30
	s_and_saveexec_b32 s15, s16
	s_cbranch_execnz .LBB1227_1169
.LBB1227_1105:                          ;   in Loop: Header=BB1227_974 Depth=2
	s_wait_alu 0xfffe
	s_or_b32 exec_lo, exec_lo, s15
	s_and_saveexec_b32 s15, s17
	s_cbranch_execnz .LBB1227_1170
.LBB1227_1106:                          ;   in Loop: Header=BB1227_974 Depth=2
	s_wait_alu 0xfffe
	s_or_b32 exec_lo, exec_lo, s15
	s_and_saveexec_b32 s15, s18
	s_cbranch_execnz .LBB1227_1171
.LBB1227_1107:                          ;   in Loop: Header=BB1227_974 Depth=2
	s_wait_alu 0xfffe
	s_or_b32 exec_lo, exec_lo, s15
	s_and_saveexec_b32 s15, s19
	s_cbranch_execnz .LBB1227_1172
.LBB1227_1108:                          ;   in Loop: Header=BB1227_974 Depth=2
	s_wait_alu 0xfffe
	s_or_b32 exec_lo, exec_lo, s15
	s_and_saveexec_b32 s15, s20
	s_cbranch_execnz .LBB1227_1173
.LBB1227_1109:                          ;   in Loop: Header=BB1227_974 Depth=2
	s_wait_alu 0xfffe
	s_or_b32 exec_lo, exec_lo, s15
	s_and_saveexec_b32 s15, s21
	s_cbranch_execnz .LBB1227_1174
.LBB1227_1110:                          ;   in Loop: Header=BB1227_974 Depth=2
	s_wait_alu 0xfffe
	s_or_b32 exec_lo, exec_lo, s15
	s_and_saveexec_b32 s15, s22
	s_cbranch_execnz .LBB1227_1175
.LBB1227_1111:                          ;   in Loop: Header=BB1227_974 Depth=2
	s_wait_alu 0xfffe
	s_or_b32 exec_lo, exec_lo, s15
	s_and_saveexec_b32 s15, s23
	s_cbranch_execnz .LBB1227_1176
.LBB1227_1112:                          ;   in Loop: Header=BB1227_974 Depth=2
	s_wait_alu 0xfffe
	s_or_b32 exec_lo, exec_lo, s15
	s_and_saveexec_b32 s15, s24
	s_cbranch_execnz .LBB1227_1177
.LBB1227_1113:                          ;   in Loop: Header=BB1227_974 Depth=2
	s_wait_alu 0xfffe
	s_or_b32 exec_lo, exec_lo, s15
	s_and_saveexec_b32 s15, s25
	s_cbranch_execnz .LBB1227_1178
.LBB1227_1114:                          ;   in Loop: Header=BB1227_974 Depth=2
	s_wait_alu 0xfffe
	s_or_b32 exec_lo, exec_lo, s15
	s_and_saveexec_b32 s15, s26
	s_cbranch_execnz .LBB1227_1179
.LBB1227_1115:                          ;   in Loop: Header=BB1227_974 Depth=2
	s_wait_alu 0xfffe
	s_or_b32 exec_lo, exec_lo, s15
	s_and_saveexec_b32 s15, s27
	s_cbranch_execnz .LBB1227_1180
.LBB1227_1116:                          ;   in Loop: Header=BB1227_974 Depth=2
	s_wait_alu 0xfffe
	s_or_b32 exec_lo, exec_lo, s15
	s_and_saveexec_b32 s15, s28
	s_cbranch_execnz .LBB1227_1181
.LBB1227_1117:                          ;   in Loop: Header=BB1227_974 Depth=2
	s_wait_alu 0xfffe
	s_or_b32 exec_lo, exec_lo, s15
	s_and_saveexec_b32 s15, s29
	s_cbranch_execz .LBB1227_1119
.LBB1227_1118:                          ;   in Loop: Header=BB1227_974 Depth=2
	v_lshlrev_b32_e32 v2, 2, v148
	ds_load_b32 v2, v2
	ds_load_b64 v[38:39], v110 offset:31744
	s_wait_dscnt 0x1
	v_add_nc_u32_e32 v2, v2, v95
	s_delay_alu instid0(VALU_DEP_1) | instskip(NEXT) | instid1(VALU_DEP_1)
	v_lshlrev_b64_e32 v[40:41], 3, v[2:3]
	v_add_co_u32 v40, vcc_lo, s46, v40
	s_wait_alu 0xfffd
	s_delay_alu instid0(VALU_DEP_2)
	v_add_co_ci_u32_e64 v41, null, s47, v41, vcc_lo
	s_wait_dscnt 0x0
	global_store_b64 v[40:41], v[38:39], off
.LBB1227_1119:                          ;   in Loop: Header=BB1227_974 Depth=2
	s_wait_alu 0xfffe
	s_or_b32 exec_lo, exec_lo, s15
	s_wait_loadcnt 0x0
	s_wait_storecnt 0x0
	s_barrier_signal -1
	s_barrier_wait -1
	global_inv scope:SCOPE_SE
	s_and_saveexec_b32 s15, s2
	s_cbranch_execz .LBB1227_973
; %bb.1120:                             ;   in Loop: Header=BB1227_974 Depth=2
	ds_load_b32 v2, v78
	s_wait_dscnt 0x0
	v_add_nc_u32_e32 v2, v2, v70
	ds_store_b32 v78, v2
	s_branch .LBB1227_973
.LBB1227_1121:                          ;   in Loop: Header=BB1227_974 Depth=2
	ds_load_b64 v[38:39], v110 offset:1024
	s_wait_dscnt 0x0
	v_cmp_ne_u64_e64 s15, s[42:43], v[38:39]
	s_wait_alu 0xf1ff
	s_delay_alu instid0(VALU_DEP_1) | instskip(SKIP_2) | instid1(VALU_DEP_2)
	v_cndmask_b32_e64 v45, 0x80000000, v39, s15
	v_cndmask_b32_e64 v44, 0, v38, s15
	v_cmp_lt_i64_e64 s15, -1, v[38:39]
	v_lshrrev_b64 v[44:45], s31, v[44:45]
	s_wait_alu 0xf1ff
	s_delay_alu instid0(VALU_DEP_2) | instskip(NEXT) | instid1(VALU_DEP_2)
	v_cndmask_b32_e64 v46, 0x80000000, -1, s15
	v_and_b32_e32 v2, s56, v44
	v_ashrrev_i32_e32 v44, 31, v39
	s_delay_alu instid0(VALU_DEP_3) | instskip(NEXT) | instid1(VALU_DEP_3)
	v_xor_b32_e32 v39, v46, v39
	v_lshlrev_b32_e32 v2, 2, v2
	s_delay_alu instid0(VALU_DEP_3) | instskip(SKIP_4) | instid1(VALU_DEP_1)
	v_not_b32_e32 v47, v44
	ds_load_b32 v2, v2
	v_xor_b32_e32 v38, v47, v38
	s_wait_dscnt 0x0
	v_add_nc_u32_e32 v2, v2, v1
	v_lshlrev_b64_e32 v[44:45], 3, v[2:3]
	s_delay_alu instid0(VALU_DEP_1) | instskip(SKIP_1) | instid1(VALU_DEP_2)
	v_add_co_u32 v44, s15, s40, v44
	s_wait_alu 0xf1ff
	v_add_co_ci_u32_e64 v45, null, s41, v45, s15
	global_store_b64 v[44:45], v[38:39], off
	s_wait_alu 0xfffe
	s_or_b32 exec_lo, exec_lo, s16
	v_cmp_lt_u32_e64 s15, v79, v164
	s_and_saveexec_b32 s17, s15
	s_cbranch_execz .LBB1227_1054
.LBB1227_1122:                          ;   in Loop: Header=BB1227_974 Depth=2
	ds_load_b64 v[38:39], v110 offset:3072
	s_wait_dscnt 0x0
	v_cmp_ne_u64_e64 s16, s[42:43], v[38:39]
	s_wait_alu 0xf1ff
	s_delay_alu instid0(VALU_DEP_1) | instskip(SKIP_2) | instid1(VALU_DEP_2)
	v_cndmask_b32_e64 v45, 0x80000000, v39, s16
	v_cndmask_b32_e64 v44, 0, v38, s16
	v_cmp_lt_i64_e64 s16, -1, v[38:39]
	v_lshrrev_b64 v[44:45], s31, v[44:45]
	s_wait_alu 0xf1ff
	s_delay_alu instid0(VALU_DEP_2) | instskip(NEXT) | instid1(VALU_DEP_2)
	v_cndmask_b32_e64 v46, 0x80000000, -1, s16
	v_and_b32_e32 v2, s56, v44
	v_ashrrev_i32_e32 v44, 31, v39
	s_delay_alu instid0(VALU_DEP_3) | instskip(NEXT) | instid1(VALU_DEP_3)
	v_xor_b32_e32 v39, v46, v39
	v_lshlrev_b32_e32 v2, 2, v2
	s_delay_alu instid0(VALU_DEP_3) | instskip(SKIP_4) | instid1(VALU_DEP_1)
	v_not_b32_e32 v47, v44
	ds_load_b32 v2, v2
	v_xor_b32_e32 v38, v47, v38
	s_wait_dscnt 0x0
	v_add_nc_u32_e32 v2, v2, v79
	v_lshlrev_b64_e32 v[44:45], 3, v[2:3]
	s_delay_alu instid0(VALU_DEP_1) | instskip(SKIP_1) | instid1(VALU_DEP_2)
	v_add_co_u32 v44, s16, s40, v44
	s_wait_alu 0xf1ff
	v_add_co_ci_u32_e64 v45, null, s41, v45, s16
	global_store_b64 v[44:45], v[38:39], off
	s_wait_alu 0xfffe
	s_or_b32 exec_lo, exec_lo, s17
	v_cmp_lt_u32_e64 s16, v80, v164
	s_and_saveexec_b32 s18, s16
	s_cbranch_execz .LBB1227_1055
.LBB1227_1123:                          ;   in Loop: Header=BB1227_974 Depth=2
	ds_load_b64 v[38:39], v110 offset:5120
	s_wait_dscnt 0x0
	v_cmp_ne_u64_e64 s17, s[42:43], v[38:39]
	s_wait_alu 0xf1ff
	s_delay_alu instid0(VALU_DEP_1) | instskip(SKIP_2) | instid1(VALU_DEP_2)
	v_cndmask_b32_e64 v45, 0x80000000, v39, s17
	v_cndmask_b32_e64 v44, 0, v38, s17
	v_cmp_lt_i64_e64 s17, -1, v[38:39]
	v_lshrrev_b64 v[44:45], s31, v[44:45]
	s_wait_alu 0xf1ff
	s_delay_alu instid0(VALU_DEP_2) | instskip(NEXT) | instid1(VALU_DEP_2)
	v_cndmask_b32_e64 v46, 0x80000000, -1, s17
	v_and_b32_e32 v2, s56, v44
	v_ashrrev_i32_e32 v44, 31, v39
	s_delay_alu instid0(VALU_DEP_3) | instskip(NEXT) | instid1(VALU_DEP_3)
	v_xor_b32_e32 v39, v46, v39
	v_lshlrev_b32_e32 v2, 2, v2
	s_delay_alu instid0(VALU_DEP_3) | instskip(SKIP_4) | instid1(VALU_DEP_1)
	v_not_b32_e32 v47, v44
	ds_load_b32 v2, v2
	v_xor_b32_e32 v38, v47, v38
	s_wait_dscnt 0x0
	v_add_nc_u32_e32 v2, v2, v80
	v_lshlrev_b64_e32 v[44:45], 3, v[2:3]
	s_delay_alu instid0(VALU_DEP_1) | instskip(SKIP_1) | instid1(VALU_DEP_2)
	v_add_co_u32 v44, s17, s40, v44
	s_wait_alu 0xf1ff
	v_add_co_ci_u32_e64 v45, null, s41, v45, s17
	global_store_b64 v[44:45], v[38:39], off
	s_wait_alu 0xfffe
	s_or_b32 exec_lo, exec_lo, s18
	v_cmp_lt_u32_e64 s17, v81, v164
	s_and_saveexec_b32 s19, s17
	s_cbranch_execz .LBB1227_1056
.LBB1227_1124:                          ;   in Loop: Header=BB1227_974 Depth=2
	ds_load_b64 v[38:39], v110 offset:7168
	s_wait_dscnt 0x0
	v_cmp_ne_u64_e64 s18, s[42:43], v[38:39]
	s_wait_alu 0xf1ff
	s_delay_alu instid0(VALU_DEP_1) | instskip(SKIP_2) | instid1(VALU_DEP_2)
	v_cndmask_b32_e64 v45, 0x80000000, v39, s18
	v_cndmask_b32_e64 v44, 0, v38, s18
	v_cmp_lt_i64_e64 s18, -1, v[38:39]
	v_lshrrev_b64 v[44:45], s31, v[44:45]
	s_wait_alu 0xf1ff
	s_delay_alu instid0(VALU_DEP_2) | instskip(NEXT) | instid1(VALU_DEP_2)
	v_cndmask_b32_e64 v46, 0x80000000, -1, s18
	v_and_b32_e32 v2, s56, v44
	v_ashrrev_i32_e32 v44, 31, v39
	s_delay_alu instid0(VALU_DEP_3) | instskip(NEXT) | instid1(VALU_DEP_3)
	v_xor_b32_e32 v39, v46, v39
	v_lshlrev_b32_e32 v2, 2, v2
	s_delay_alu instid0(VALU_DEP_3) | instskip(SKIP_4) | instid1(VALU_DEP_1)
	v_not_b32_e32 v47, v44
	ds_load_b32 v2, v2
	v_xor_b32_e32 v38, v47, v38
	s_wait_dscnt 0x0
	v_add_nc_u32_e32 v2, v2, v81
	v_lshlrev_b64_e32 v[44:45], 3, v[2:3]
	s_delay_alu instid0(VALU_DEP_1) | instskip(SKIP_1) | instid1(VALU_DEP_2)
	v_add_co_u32 v44, s18, s40, v44
	s_wait_alu 0xf1ff
	v_add_co_ci_u32_e64 v45, null, s41, v45, s18
	global_store_b64 v[44:45], v[38:39], off
	s_wait_alu 0xfffe
	s_or_b32 exec_lo, exec_lo, s19
	v_cmp_lt_u32_e64 s18, v84, v164
	s_and_saveexec_b32 s20, s18
	s_cbranch_execz .LBB1227_1057
.LBB1227_1125:                          ;   in Loop: Header=BB1227_974 Depth=2
	ds_load_b64 v[38:39], v110 offset:9216
	s_wait_dscnt 0x0
	v_cmp_ne_u64_e64 s19, s[42:43], v[38:39]
	s_wait_alu 0xf1ff
	s_delay_alu instid0(VALU_DEP_1) | instskip(SKIP_2) | instid1(VALU_DEP_2)
	v_cndmask_b32_e64 v45, 0x80000000, v39, s19
	v_cndmask_b32_e64 v44, 0, v38, s19
	v_cmp_lt_i64_e64 s19, -1, v[38:39]
	v_lshrrev_b64 v[44:45], s31, v[44:45]
	s_wait_alu 0xf1ff
	s_delay_alu instid0(VALU_DEP_2) | instskip(NEXT) | instid1(VALU_DEP_2)
	v_cndmask_b32_e64 v46, 0x80000000, -1, s19
	v_and_b32_e32 v2, s56, v44
	v_ashrrev_i32_e32 v44, 31, v39
	s_delay_alu instid0(VALU_DEP_3) | instskip(NEXT) | instid1(VALU_DEP_3)
	v_xor_b32_e32 v39, v46, v39
	v_lshlrev_b32_e32 v2, 2, v2
	s_delay_alu instid0(VALU_DEP_3) | instskip(SKIP_4) | instid1(VALU_DEP_1)
	v_not_b32_e32 v47, v44
	ds_load_b32 v2, v2
	v_xor_b32_e32 v38, v47, v38
	s_wait_dscnt 0x0
	v_add_nc_u32_e32 v2, v2, v84
	v_lshlrev_b64_e32 v[44:45], 3, v[2:3]
	s_delay_alu instid0(VALU_DEP_1) | instskip(SKIP_1) | instid1(VALU_DEP_2)
	v_add_co_u32 v44, s19, s40, v44
	s_wait_alu 0xf1ff
	v_add_co_ci_u32_e64 v45, null, s41, v45, s19
	global_store_b64 v[44:45], v[38:39], off
	s_wait_alu 0xfffe
	s_or_b32 exec_lo, exec_lo, s20
	v_cmp_lt_u32_e64 s19, v85, v164
	s_and_saveexec_b32 s21, s19
	s_cbranch_execz .LBB1227_1058
.LBB1227_1126:                          ;   in Loop: Header=BB1227_974 Depth=2
	ds_load_b64 v[38:39], v110 offset:11264
	s_wait_dscnt 0x0
	v_cmp_ne_u64_e64 s20, s[42:43], v[38:39]
	s_wait_alu 0xf1ff
	s_delay_alu instid0(VALU_DEP_1) | instskip(SKIP_2) | instid1(VALU_DEP_2)
	v_cndmask_b32_e64 v45, 0x80000000, v39, s20
	v_cndmask_b32_e64 v44, 0, v38, s20
	v_cmp_lt_i64_e64 s20, -1, v[38:39]
	v_lshrrev_b64 v[44:45], s31, v[44:45]
	s_wait_alu 0xf1ff
	s_delay_alu instid0(VALU_DEP_2) | instskip(NEXT) | instid1(VALU_DEP_2)
	v_cndmask_b32_e64 v46, 0x80000000, -1, s20
	v_and_b32_e32 v2, s56, v44
	v_ashrrev_i32_e32 v44, 31, v39
	s_delay_alu instid0(VALU_DEP_3) | instskip(NEXT) | instid1(VALU_DEP_3)
	v_xor_b32_e32 v39, v46, v39
	v_lshlrev_b32_e32 v2, 2, v2
	s_delay_alu instid0(VALU_DEP_3) | instskip(SKIP_4) | instid1(VALU_DEP_1)
	v_not_b32_e32 v47, v44
	ds_load_b32 v2, v2
	v_xor_b32_e32 v38, v47, v38
	s_wait_dscnt 0x0
	v_add_nc_u32_e32 v2, v2, v85
	v_lshlrev_b64_e32 v[44:45], 3, v[2:3]
	s_delay_alu instid0(VALU_DEP_1) | instskip(SKIP_1) | instid1(VALU_DEP_2)
	v_add_co_u32 v44, s20, s40, v44
	s_wait_alu 0xf1ff
	v_add_co_ci_u32_e64 v45, null, s41, v45, s20
	global_store_b64 v[44:45], v[38:39], off
	s_wait_alu 0xfffe
	s_or_b32 exec_lo, exec_lo, s21
	v_cmp_lt_u32_e64 s20, v86, v164
	s_and_saveexec_b32 s22, s20
	s_cbranch_execz .LBB1227_1059
.LBB1227_1127:                          ;   in Loop: Header=BB1227_974 Depth=2
	ds_load_b64 v[38:39], v110 offset:13312
	s_wait_dscnt 0x0
	v_cmp_ne_u64_e64 s21, s[42:43], v[38:39]
	s_wait_alu 0xf1ff
	s_delay_alu instid0(VALU_DEP_1) | instskip(SKIP_2) | instid1(VALU_DEP_2)
	v_cndmask_b32_e64 v45, 0x80000000, v39, s21
	v_cndmask_b32_e64 v44, 0, v38, s21
	v_cmp_lt_i64_e64 s21, -1, v[38:39]
	v_lshrrev_b64 v[44:45], s31, v[44:45]
	s_wait_alu 0xf1ff
	s_delay_alu instid0(VALU_DEP_2) | instskip(NEXT) | instid1(VALU_DEP_2)
	v_cndmask_b32_e64 v46, 0x80000000, -1, s21
	v_and_b32_e32 v2, s56, v44
	v_ashrrev_i32_e32 v44, 31, v39
	s_delay_alu instid0(VALU_DEP_3) | instskip(NEXT) | instid1(VALU_DEP_3)
	v_xor_b32_e32 v39, v46, v39
	v_lshlrev_b32_e32 v2, 2, v2
	s_delay_alu instid0(VALU_DEP_3) | instskip(SKIP_4) | instid1(VALU_DEP_1)
	v_not_b32_e32 v47, v44
	ds_load_b32 v2, v2
	v_xor_b32_e32 v38, v47, v38
	s_wait_dscnt 0x0
	v_add_nc_u32_e32 v2, v2, v86
	v_lshlrev_b64_e32 v[44:45], 3, v[2:3]
	s_delay_alu instid0(VALU_DEP_1) | instskip(SKIP_1) | instid1(VALU_DEP_2)
	v_add_co_u32 v44, s21, s40, v44
	s_wait_alu 0xf1ff
	v_add_co_ci_u32_e64 v45, null, s41, v45, s21
	global_store_b64 v[44:45], v[38:39], off
	s_wait_alu 0xfffe
	s_or_b32 exec_lo, exec_lo, s22
	v_cmp_lt_u32_e64 s21, v87, v164
	s_and_saveexec_b32 s23, s21
	s_cbranch_execz .LBB1227_1060
.LBB1227_1128:                          ;   in Loop: Header=BB1227_974 Depth=2
	ds_load_b64 v[38:39], v110 offset:15360
	s_wait_dscnt 0x0
	v_cmp_ne_u64_e64 s22, s[42:43], v[38:39]
	s_wait_alu 0xf1ff
	s_delay_alu instid0(VALU_DEP_1) | instskip(SKIP_2) | instid1(VALU_DEP_2)
	v_cndmask_b32_e64 v45, 0x80000000, v39, s22
	v_cndmask_b32_e64 v44, 0, v38, s22
	v_cmp_lt_i64_e64 s22, -1, v[38:39]
	v_lshrrev_b64 v[44:45], s31, v[44:45]
	s_wait_alu 0xf1ff
	s_delay_alu instid0(VALU_DEP_2) | instskip(NEXT) | instid1(VALU_DEP_2)
	v_cndmask_b32_e64 v46, 0x80000000, -1, s22
	v_and_b32_e32 v2, s56, v44
	v_ashrrev_i32_e32 v44, 31, v39
	s_delay_alu instid0(VALU_DEP_3) | instskip(NEXT) | instid1(VALU_DEP_3)
	v_xor_b32_e32 v39, v46, v39
	v_lshlrev_b32_e32 v2, 2, v2
	s_delay_alu instid0(VALU_DEP_3) | instskip(SKIP_4) | instid1(VALU_DEP_1)
	v_not_b32_e32 v47, v44
	ds_load_b32 v2, v2
	v_xor_b32_e32 v38, v47, v38
	s_wait_dscnt 0x0
	v_add_nc_u32_e32 v2, v2, v87
	v_lshlrev_b64_e32 v[44:45], 3, v[2:3]
	s_delay_alu instid0(VALU_DEP_1) | instskip(SKIP_1) | instid1(VALU_DEP_2)
	v_add_co_u32 v44, s22, s40, v44
	s_wait_alu 0xf1ff
	v_add_co_ci_u32_e64 v45, null, s41, v45, s22
	global_store_b64 v[44:45], v[38:39], off
	s_wait_alu 0xfffe
	s_or_b32 exec_lo, exec_lo, s23
	v_cmp_lt_u32_e64 s22, v88, v164
	s_and_saveexec_b32 s24, s22
	s_cbranch_execz .LBB1227_1061
.LBB1227_1129:                          ;   in Loop: Header=BB1227_974 Depth=2
	ds_load_b64 v[38:39], v110 offset:17408
	s_wait_dscnt 0x0
	v_cmp_ne_u64_e64 s23, s[42:43], v[38:39]
	s_wait_alu 0xf1ff
	s_delay_alu instid0(VALU_DEP_1) | instskip(SKIP_2) | instid1(VALU_DEP_2)
	v_cndmask_b32_e64 v45, 0x80000000, v39, s23
	v_cndmask_b32_e64 v44, 0, v38, s23
	v_cmp_lt_i64_e64 s23, -1, v[38:39]
	v_lshrrev_b64 v[44:45], s31, v[44:45]
	s_wait_alu 0xf1ff
	s_delay_alu instid0(VALU_DEP_2) | instskip(NEXT) | instid1(VALU_DEP_2)
	v_cndmask_b32_e64 v46, 0x80000000, -1, s23
	v_and_b32_e32 v2, s56, v44
	v_ashrrev_i32_e32 v44, 31, v39
	s_delay_alu instid0(VALU_DEP_3) | instskip(NEXT) | instid1(VALU_DEP_3)
	v_xor_b32_e32 v39, v46, v39
	v_lshlrev_b32_e32 v2, 2, v2
	s_delay_alu instid0(VALU_DEP_3) | instskip(SKIP_4) | instid1(VALU_DEP_1)
	v_not_b32_e32 v47, v44
	ds_load_b32 v2, v2
	v_xor_b32_e32 v38, v47, v38
	s_wait_dscnt 0x0
	v_add_nc_u32_e32 v2, v2, v88
	v_lshlrev_b64_e32 v[44:45], 3, v[2:3]
	s_delay_alu instid0(VALU_DEP_1) | instskip(SKIP_1) | instid1(VALU_DEP_2)
	v_add_co_u32 v44, s23, s40, v44
	s_wait_alu 0xf1ff
	v_add_co_ci_u32_e64 v45, null, s41, v45, s23
	global_store_b64 v[44:45], v[38:39], off
	s_wait_alu 0xfffe
	s_or_b32 exec_lo, exec_lo, s24
	v_cmp_lt_u32_e64 s23, v89, v164
	s_and_saveexec_b32 s25, s23
	s_cbranch_execz .LBB1227_1062
.LBB1227_1130:                          ;   in Loop: Header=BB1227_974 Depth=2
	ds_load_b64 v[38:39], v110 offset:19456
	s_wait_dscnt 0x0
	v_cmp_ne_u64_e64 s24, s[42:43], v[38:39]
	s_wait_alu 0xf1ff
	s_delay_alu instid0(VALU_DEP_1) | instskip(SKIP_2) | instid1(VALU_DEP_2)
	v_cndmask_b32_e64 v45, 0x80000000, v39, s24
	v_cndmask_b32_e64 v44, 0, v38, s24
	v_cmp_lt_i64_e64 s24, -1, v[38:39]
	v_lshrrev_b64 v[44:45], s31, v[44:45]
	s_wait_alu 0xf1ff
	s_delay_alu instid0(VALU_DEP_2) | instskip(NEXT) | instid1(VALU_DEP_2)
	v_cndmask_b32_e64 v46, 0x80000000, -1, s24
	v_and_b32_e32 v2, s56, v44
	v_ashrrev_i32_e32 v44, 31, v39
	s_delay_alu instid0(VALU_DEP_3) | instskip(NEXT) | instid1(VALU_DEP_3)
	v_xor_b32_e32 v39, v46, v39
	v_lshlrev_b32_e32 v2, 2, v2
	s_delay_alu instid0(VALU_DEP_3) | instskip(SKIP_4) | instid1(VALU_DEP_1)
	v_not_b32_e32 v47, v44
	ds_load_b32 v2, v2
	v_xor_b32_e32 v38, v47, v38
	s_wait_dscnt 0x0
	v_add_nc_u32_e32 v2, v2, v89
	v_lshlrev_b64_e32 v[44:45], 3, v[2:3]
	s_delay_alu instid0(VALU_DEP_1) | instskip(SKIP_1) | instid1(VALU_DEP_2)
	v_add_co_u32 v44, s24, s40, v44
	s_wait_alu 0xf1ff
	v_add_co_ci_u32_e64 v45, null, s41, v45, s24
	global_store_b64 v[44:45], v[38:39], off
	s_wait_alu 0xfffe
	s_or_b32 exec_lo, exec_lo, s25
	v_cmp_lt_u32_e64 s24, v90, v164
	s_and_saveexec_b32 s26, s24
	s_cbranch_execz .LBB1227_1063
.LBB1227_1131:                          ;   in Loop: Header=BB1227_974 Depth=2
	ds_load_b64 v[38:39], v110 offset:21504
	s_wait_dscnt 0x0
	v_cmp_ne_u64_e64 s25, s[42:43], v[38:39]
	s_wait_alu 0xf1ff
	s_delay_alu instid0(VALU_DEP_1) | instskip(SKIP_2) | instid1(VALU_DEP_2)
	v_cndmask_b32_e64 v45, 0x80000000, v39, s25
	v_cndmask_b32_e64 v44, 0, v38, s25
	v_cmp_lt_i64_e64 s25, -1, v[38:39]
	v_lshrrev_b64 v[44:45], s31, v[44:45]
	s_wait_alu 0xf1ff
	s_delay_alu instid0(VALU_DEP_2) | instskip(NEXT) | instid1(VALU_DEP_2)
	v_cndmask_b32_e64 v46, 0x80000000, -1, s25
	v_and_b32_e32 v2, s56, v44
	v_ashrrev_i32_e32 v44, 31, v39
	s_delay_alu instid0(VALU_DEP_3) | instskip(NEXT) | instid1(VALU_DEP_3)
	v_xor_b32_e32 v39, v46, v39
	v_lshlrev_b32_e32 v2, 2, v2
	s_delay_alu instid0(VALU_DEP_3) | instskip(SKIP_4) | instid1(VALU_DEP_1)
	v_not_b32_e32 v47, v44
	ds_load_b32 v2, v2
	v_xor_b32_e32 v38, v47, v38
	s_wait_dscnt 0x0
	v_add_nc_u32_e32 v2, v2, v90
	v_lshlrev_b64_e32 v[44:45], 3, v[2:3]
	s_delay_alu instid0(VALU_DEP_1) | instskip(SKIP_1) | instid1(VALU_DEP_2)
	v_add_co_u32 v44, s25, s40, v44
	s_wait_alu 0xf1ff
	v_add_co_ci_u32_e64 v45, null, s41, v45, s25
	global_store_b64 v[44:45], v[38:39], off
	s_wait_alu 0xfffe
	s_or_b32 exec_lo, exec_lo, s26
	v_cmp_lt_u32_e64 s25, v91, v164
	s_and_saveexec_b32 s27, s25
	s_cbranch_execz .LBB1227_1064
.LBB1227_1132:                          ;   in Loop: Header=BB1227_974 Depth=2
	ds_load_b64 v[38:39], v110 offset:23552
	s_wait_dscnt 0x0
	v_cmp_ne_u64_e64 s26, s[42:43], v[38:39]
	s_wait_alu 0xf1ff
	s_delay_alu instid0(VALU_DEP_1) | instskip(SKIP_2) | instid1(VALU_DEP_2)
	v_cndmask_b32_e64 v45, 0x80000000, v39, s26
	v_cndmask_b32_e64 v44, 0, v38, s26
	v_cmp_lt_i64_e64 s26, -1, v[38:39]
	v_lshrrev_b64 v[44:45], s31, v[44:45]
	s_wait_alu 0xf1ff
	s_delay_alu instid0(VALU_DEP_2) | instskip(NEXT) | instid1(VALU_DEP_2)
	v_cndmask_b32_e64 v46, 0x80000000, -1, s26
	v_and_b32_e32 v2, s56, v44
	v_ashrrev_i32_e32 v44, 31, v39
	s_delay_alu instid0(VALU_DEP_3) | instskip(NEXT) | instid1(VALU_DEP_3)
	v_xor_b32_e32 v39, v46, v39
	v_lshlrev_b32_e32 v2, 2, v2
	s_delay_alu instid0(VALU_DEP_3) | instskip(SKIP_4) | instid1(VALU_DEP_1)
	v_not_b32_e32 v47, v44
	ds_load_b32 v2, v2
	v_xor_b32_e32 v38, v47, v38
	s_wait_dscnt 0x0
	v_add_nc_u32_e32 v2, v2, v91
	v_lshlrev_b64_e32 v[44:45], 3, v[2:3]
	s_delay_alu instid0(VALU_DEP_1) | instskip(SKIP_1) | instid1(VALU_DEP_2)
	v_add_co_u32 v44, s26, s40, v44
	s_wait_alu 0xf1ff
	v_add_co_ci_u32_e64 v45, null, s41, v45, s26
	global_store_b64 v[44:45], v[38:39], off
	s_wait_alu 0xfffe
	s_or_b32 exec_lo, exec_lo, s27
	v_cmp_lt_u32_e64 s26, v92, v164
	s_and_saveexec_b32 s28, s26
	s_cbranch_execz .LBB1227_1065
.LBB1227_1133:                          ;   in Loop: Header=BB1227_974 Depth=2
	ds_load_b64 v[38:39], v110 offset:25600
	s_wait_dscnt 0x0
	v_cmp_ne_u64_e64 s27, s[42:43], v[38:39]
	s_wait_alu 0xf1ff
	s_delay_alu instid0(VALU_DEP_1) | instskip(SKIP_2) | instid1(VALU_DEP_2)
	v_cndmask_b32_e64 v45, 0x80000000, v39, s27
	v_cndmask_b32_e64 v44, 0, v38, s27
	v_cmp_lt_i64_e64 s27, -1, v[38:39]
	v_lshrrev_b64 v[44:45], s31, v[44:45]
	s_wait_alu 0xf1ff
	s_delay_alu instid0(VALU_DEP_2) | instskip(NEXT) | instid1(VALU_DEP_2)
	v_cndmask_b32_e64 v46, 0x80000000, -1, s27
	v_and_b32_e32 v2, s56, v44
	v_ashrrev_i32_e32 v44, 31, v39
	s_delay_alu instid0(VALU_DEP_3) | instskip(NEXT) | instid1(VALU_DEP_3)
	v_xor_b32_e32 v39, v46, v39
	v_lshlrev_b32_e32 v2, 2, v2
	s_delay_alu instid0(VALU_DEP_3) | instskip(SKIP_4) | instid1(VALU_DEP_1)
	v_not_b32_e32 v47, v44
	ds_load_b32 v2, v2
	v_xor_b32_e32 v38, v47, v38
	s_wait_dscnt 0x0
	v_add_nc_u32_e32 v2, v2, v92
	v_lshlrev_b64_e32 v[44:45], 3, v[2:3]
	s_delay_alu instid0(VALU_DEP_1) | instskip(SKIP_1) | instid1(VALU_DEP_2)
	v_add_co_u32 v44, s27, s40, v44
	s_wait_alu 0xf1ff
	v_add_co_ci_u32_e64 v45, null, s41, v45, s27
	global_store_b64 v[44:45], v[38:39], off
	s_wait_alu 0xfffe
	s_or_b32 exec_lo, exec_lo, s28
	v_cmp_lt_u32_e64 s27, v93, v164
	s_and_saveexec_b32 s29, s27
	s_cbranch_execz .LBB1227_1066
.LBB1227_1134:                          ;   in Loop: Header=BB1227_974 Depth=2
	ds_load_b64 v[38:39], v110 offset:27648
	s_wait_dscnt 0x0
	v_cmp_ne_u64_e64 s28, s[42:43], v[38:39]
	s_wait_alu 0xf1ff
	s_delay_alu instid0(VALU_DEP_1) | instskip(SKIP_2) | instid1(VALU_DEP_2)
	v_cndmask_b32_e64 v45, 0x80000000, v39, s28
	v_cndmask_b32_e64 v44, 0, v38, s28
	v_cmp_lt_i64_e64 s28, -1, v[38:39]
	v_lshrrev_b64 v[44:45], s31, v[44:45]
	s_wait_alu 0xf1ff
	s_delay_alu instid0(VALU_DEP_2) | instskip(NEXT) | instid1(VALU_DEP_2)
	v_cndmask_b32_e64 v46, 0x80000000, -1, s28
	v_and_b32_e32 v2, s56, v44
	v_ashrrev_i32_e32 v44, 31, v39
	s_delay_alu instid0(VALU_DEP_3) | instskip(NEXT) | instid1(VALU_DEP_3)
	v_xor_b32_e32 v39, v46, v39
	v_lshlrev_b32_e32 v2, 2, v2
	s_delay_alu instid0(VALU_DEP_3) | instskip(SKIP_4) | instid1(VALU_DEP_1)
	v_not_b32_e32 v47, v44
	ds_load_b32 v2, v2
	v_xor_b32_e32 v38, v47, v38
	s_wait_dscnt 0x0
	v_add_nc_u32_e32 v2, v2, v93
	v_lshlrev_b64_e32 v[44:45], 3, v[2:3]
	s_delay_alu instid0(VALU_DEP_1) | instskip(SKIP_1) | instid1(VALU_DEP_2)
	v_add_co_u32 v44, s28, s40, v44
	s_wait_alu 0xf1ff
	v_add_co_ci_u32_e64 v45, null, s41, v45, s28
	global_store_b64 v[44:45], v[38:39], off
	s_wait_alu 0xfffe
	s_or_b32 exec_lo, exec_lo, s29
	v_cmp_lt_u32_e64 s28, v94, v164
	s_and_saveexec_b32 s30, s28
	s_cbranch_execz .LBB1227_1067
.LBB1227_1135:                          ;   in Loop: Header=BB1227_974 Depth=2
	ds_load_b64 v[38:39], v110 offset:29696
	s_wait_dscnt 0x0
	v_cmp_ne_u64_e64 s29, s[42:43], v[38:39]
	s_wait_alu 0xf1ff
	s_delay_alu instid0(VALU_DEP_1) | instskip(SKIP_2) | instid1(VALU_DEP_2)
	v_cndmask_b32_e64 v45, 0x80000000, v39, s29
	v_cndmask_b32_e64 v44, 0, v38, s29
	v_cmp_lt_i64_e64 s29, -1, v[38:39]
	v_lshrrev_b64 v[44:45], s31, v[44:45]
	s_wait_alu 0xf1ff
	s_delay_alu instid0(VALU_DEP_2) | instskip(NEXT) | instid1(VALU_DEP_2)
	v_cndmask_b32_e64 v46, 0x80000000, -1, s29
	v_and_b32_e32 v2, s56, v44
	v_ashrrev_i32_e32 v44, 31, v39
	s_delay_alu instid0(VALU_DEP_3) | instskip(NEXT) | instid1(VALU_DEP_3)
	v_xor_b32_e32 v39, v46, v39
	v_lshlrev_b32_e32 v2, 2, v2
	s_delay_alu instid0(VALU_DEP_3) | instskip(SKIP_4) | instid1(VALU_DEP_1)
	v_not_b32_e32 v47, v44
	ds_load_b32 v2, v2
	v_xor_b32_e32 v38, v47, v38
	s_wait_dscnt 0x0
	v_add_nc_u32_e32 v2, v2, v94
	v_lshlrev_b64_e32 v[44:45], 3, v[2:3]
	s_delay_alu instid0(VALU_DEP_1) | instskip(SKIP_1) | instid1(VALU_DEP_2)
	v_add_co_u32 v44, s29, s40, v44
	s_wait_alu 0xf1ff
	v_add_co_ci_u32_e64 v45, null, s41, v45, s29
	global_store_b64 v[44:45], v[38:39], off
	s_wait_alu 0xfffe
	s_or_b32 exec_lo, exec_lo, s30
	v_cmp_lt_u32_e64 s29, v95, v164
	s_and_saveexec_b32 s59, s29
	s_cbranch_execnz .LBB1227_1068
	s_branch .LBB1227_1069
.LBB1227_1136:                          ;   in Loop: Header=BB1227_974 Depth=2
	global_load_b64 v[36:37], v[38:39], off
	s_wait_alu 0xfffe
	s_or_b32 exec_lo, exec_lo, s30
	s_delay_alu instid0(SALU_CYCLE_1)
	s_mov_b32 s34, exec_lo
	v_cmpx_lt_u32_e64 v130, v164
	s_cbranch_execz .LBB1227_1071
.LBB1227_1137:                          ;   in Loop: Header=BB1227_974 Depth=2
	global_load_b64 v[34:35], v[38:39], off offset:256
	s_wait_alu 0xfffe
	s_or_b32 exec_lo, exec_lo, s34
	s_delay_alu instid0(SALU_CYCLE_1)
	s_mov_b32 s34, exec_lo
	v_cmpx_lt_u32_e64 v131, v164
	s_cbranch_execz .LBB1227_1072
.LBB1227_1138:                          ;   in Loop: Header=BB1227_974 Depth=2
	global_load_b64 v[32:33], v[38:39], off offset:512
	s_wait_alu 0xfffe
	s_or_b32 exec_lo, exec_lo, s34
	s_delay_alu instid0(SALU_CYCLE_1)
	s_mov_b32 s34, exec_lo
	v_cmpx_lt_u32_e64 v132, v164
	s_cbranch_execz .LBB1227_1073
.LBB1227_1139:                          ;   in Loop: Header=BB1227_974 Depth=2
	global_load_b64 v[30:31], v[38:39], off offset:768
	s_wait_alu 0xfffe
	s_or_b32 exec_lo, exec_lo, s34
	s_delay_alu instid0(SALU_CYCLE_1)
	s_mov_b32 s34, exec_lo
	v_cmpx_lt_u32_e64 v133, v164
	s_cbranch_execz .LBB1227_1074
.LBB1227_1140:                          ;   in Loop: Header=BB1227_974 Depth=2
	global_load_b64 v[28:29], v[38:39], off offset:1024
	s_wait_alu 0xfffe
	s_or_b32 exec_lo, exec_lo, s34
	s_delay_alu instid0(SALU_CYCLE_1)
	s_mov_b32 s34, exec_lo
	v_cmpx_lt_u32_e64 v134, v164
	s_cbranch_execz .LBB1227_1075
.LBB1227_1141:                          ;   in Loop: Header=BB1227_974 Depth=2
	global_load_b64 v[26:27], v[38:39], off offset:1280
	s_wait_alu 0xfffe
	s_or_b32 exec_lo, exec_lo, s34
	s_delay_alu instid0(SALU_CYCLE_1)
	s_mov_b32 s34, exec_lo
	v_cmpx_lt_u32_e64 v135, v164
	s_cbranch_execz .LBB1227_1076
.LBB1227_1142:                          ;   in Loop: Header=BB1227_974 Depth=2
	global_load_b64 v[24:25], v[38:39], off offset:1536
	s_wait_alu 0xfffe
	s_or_b32 exec_lo, exec_lo, s34
	s_delay_alu instid0(SALU_CYCLE_1)
	s_mov_b32 s34, exec_lo
	v_cmpx_lt_u32_e64 v136, v164
	s_cbranch_execz .LBB1227_1077
.LBB1227_1143:                          ;   in Loop: Header=BB1227_974 Depth=2
	global_load_b64 v[22:23], v[38:39], off offset:1792
	s_wait_alu 0xfffe
	s_or_b32 exec_lo, exec_lo, s34
	s_delay_alu instid0(SALU_CYCLE_1)
	s_mov_b32 s34, exec_lo
	v_cmpx_lt_u32_e64 v137, v164
	s_cbranch_execz .LBB1227_1078
.LBB1227_1144:                          ;   in Loop: Header=BB1227_974 Depth=2
	global_load_b64 v[20:21], v[38:39], off offset:2048
	s_wait_alu 0xfffe
	s_or_b32 exec_lo, exec_lo, s34
	s_delay_alu instid0(SALU_CYCLE_1)
	s_mov_b32 s34, exec_lo
	v_cmpx_lt_u32_e64 v138, v164
	s_cbranch_execz .LBB1227_1079
.LBB1227_1145:                          ;   in Loop: Header=BB1227_974 Depth=2
	global_load_b64 v[18:19], v[38:39], off offset:2304
	s_wait_alu 0xfffe
	s_or_b32 exec_lo, exec_lo, s34
	s_delay_alu instid0(SALU_CYCLE_1)
	s_mov_b32 s34, exec_lo
	v_cmpx_lt_u32_e64 v139, v164
	s_cbranch_execz .LBB1227_1080
.LBB1227_1146:                          ;   in Loop: Header=BB1227_974 Depth=2
	global_load_b64 v[16:17], v[38:39], off offset:2560
	s_wait_alu 0xfffe
	s_or_b32 exec_lo, exec_lo, s34
	s_delay_alu instid0(SALU_CYCLE_1)
	s_mov_b32 s34, exec_lo
	v_cmpx_lt_u32_e64 v140, v164
	s_cbranch_execz .LBB1227_1081
.LBB1227_1147:                          ;   in Loop: Header=BB1227_974 Depth=2
	global_load_b64 v[14:15], v[38:39], off offset:2816
	s_wait_alu 0xfffe
	s_or_b32 exec_lo, exec_lo, s34
	s_delay_alu instid0(SALU_CYCLE_1)
	s_mov_b32 s34, exec_lo
	v_cmpx_lt_u32_e64 v141, v164
	s_cbranch_execz .LBB1227_1082
.LBB1227_1148:                          ;   in Loop: Header=BB1227_974 Depth=2
	global_load_b64 v[12:13], v[38:39], off offset:3072
	s_wait_alu 0xfffe
	s_or_b32 exec_lo, exec_lo, s34
	s_delay_alu instid0(SALU_CYCLE_1)
	s_mov_b32 s34, exec_lo
	v_cmpx_lt_u32_e64 v142, v164
	s_cbranch_execz .LBB1227_1083
.LBB1227_1149:                          ;   in Loop: Header=BB1227_974 Depth=2
	global_load_b64 v[10:11], v[38:39], off offset:3328
	s_wait_alu 0xfffe
	s_or_b32 exec_lo, exec_lo, s34
	s_delay_alu instid0(SALU_CYCLE_1)
	s_mov_b32 s34, exec_lo
	v_cmpx_lt_u32_e64 v143, v164
	s_cbranch_execz .LBB1227_1084
.LBB1227_1150:                          ;   in Loop: Header=BB1227_974 Depth=2
	global_load_b64 v[8:9], v[38:39], off offset:3584
	s_wait_alu 0xfffe
	s_or_b32 exec_lo, exec_lo, s34
	s_delay_alu instid0(SALU_CYCLE_1)
	s_mov_b32 s34, exec_lo
	v_cmpx_lt_u32_e64 v144, v164
	s_cbranch_execz .LBB1227_1085
.LBB1227_1151:                          ;   in Loop: Header=BB1227_974 Depth=2
	global_load_b64 v[6:7], v[38:39], off offset:3840
	s_wait_alu 0xfffe
	s_or_b32 exec_lo, exec_lo, s34
	s_and_saveexec_b32 s34, vcc_lo
	s_cbranch_execz .LBB1227_1086
.LBB1227_1152:                          ;   in Loop: Header=BB1227_974 Depth=2
	ds_load_b64 v[38:39], v110 offset:1024
	s_wait_dscnt 0x0
	v_cmp_ne_u64_e64 s30, s[42:43], v[38:39]
	s_wait_alu 0xf1ff
	s_delay_alu instid0(VALU_DEP_1) | instskip(SKIP_1) | instid1(VALU_DEP_1)
	v_cndmask_b32_e64 v39, 0x80000000, v39, s30
	v_cndmask_b32_e64 v38, 0, v38, s30
	v_lshrrev_b64 v[38:39], s31, v[38:39]
	s_delay_alu instid0(VALU_DEP_1)
	v_and_b32_e32 v163, s56, v38
	s_wait_alu 0xfffe
	s_or_b32 exec_lo, exec_lo, s34
	s_and_saveexec_b32 s34, s15
	s_cbranch_execz .LBB1227_1087
.LBB1227_1153:                          ;   in Loop: Header=BB1227_974 Depth=2
	ds_load_b64 v[38:39], v110 offset:3072
	s_wait_dscnt 0x0
	v_cmp_ne_u64_e64 s30, s[42:43], v[38:39]
	s_wait_alu 0xf1ff
	s_delay_alu instid0(VALU_DEP_1) | instskip(SKIP_1) | instid1(VALU_DEP_1)
	v_cndmask_b32_e64 v39, 0x80000000, v39, s30
	v_cndmask_b32_e64 v38, 0, v38, s30
	v_lshrrev_b64 v[38:39], s31, v[38:39]
	s_delay_alu instid0(VALU_DEP_1)
	v_and_b32_e32 v162, s56, v38
	s_wait_alu 0xfffe
	s_or_b32 exec_lo, exec_lo, s34
	s_and_saveexec_b32 s34, s16
	s_cbranch_execz .LBB1227_1088
.LBB1227_1154:                          ;   in Loop: Header=BB1227_974 Depth=2
	ds_load_b64 v[38:39], v110 offset:5120
	s_wait_dscnt 0x0
	v_cmp_ne_u64_e64 s30, s[42:43], v[38:39]
	s_wait_alu 0xf1ff
	s_delay_alu instid0(VALU_DEP_1) | instskip(SKIP_1) | instid1(VALU_DEP_1)
	v_cndmask_b32_e64 v39, 0x80000000, v39, s30
	v_cndmask_b32_e64 v38, 0, v38, s30
	v_lshrrev_b64 v[38:39], s31, v[38:39]
	s_delay_alu instid0(VALU_DEP_1)
	v_and_b32_e32 v161, s56, v38
	s_wait_alu 0xfffe
	s_or_b32 exec_lo, exec_lo, s34
	s_and_saveexec_b32 s34, s17
	s_cbranch_execz .LBB1227_1089
.LBB1227_1155:                          ;   in Loop: Header=BB1227_974 Depth=2
	ds_load_b64 v[38:39], v110 offset:7168
	s_wait_dscnt 0x0
	v_cmp_ne_u64_e64 s30, s[42:43], v[38:39]
	s_wait_alu 0xf1ff
	s_delay_alu instid0(VALU_DEP_1) | instskip(SKIP_1) | instid1(VALU_DEP_1)
	v_cndmask_b32_e64 v39, 0x80000000, v39, s30
	v_cndmask_b32_e64 v38, 0, v38, s30
	v_lshrrev_b64 v[38:39], s31, v[38:39]
	s_delay_alu instid0(VALU_DEP_1)
	v_and_b32_e32 v160, s56, v38
	s_wait_alu 0xfffe
	s_or_b32 exec_lo, exec_lo, s34
	s_and_saveexec_b32 s34, s18
	s_cbranch_execz .LBB1227_1090
.LBB1227_1156:                          ;   in Loop: Header=BB1227_974 Depth=2
	ds_load_b64 v[38:39], v110 offset:9216
	s_wait_dscnt 0x0
	v_cmp_ne_u64_e64 s30, s[42:43], v[38:39]
	s_wait_alu 0xf1ff
	s_delay_alu instid0(VALU_DEP_1) | instskip(SKIP_1) | instid1(VALU_DEP_1)
	v_cndmask_b32_e64 v39, 0x80000000, v39, s30
	v_cndmask_b32_e64 v38, 0, v38, s30
	v_lshrrev_b64 v[38:39], s31, v[38:39]
	s_delay_alu instid0(VALU_DEP_1)
	v_and_b32_e32 v159, s56, v38
	s_wait_alu 0xfffe
	s_or_b32 exec_lo, exec_lo, s34
	s_and_saveexec_b32 s34, s19
	s_cbranch_execz .LBB1227_1091
.LBB1227_1157:                          ;   in Loop: Header=BB1227_974 Depth=2
	ds_load_b64 v[38:39], v110 offset:11264
	s_wait_dscnt 0x0
	v_cmp_ne_u64_e64 s30, s[42:43], v[38:39]
	s_wait_alu 0xf1ff
	s_delay_alu instid0(VALU_DEP_1) | instskip(SKIP_1) | instid1(VALU_DEP_1)
	v_cndmask_b32_e64 v39, 0x80000000, v39, s30
	v_cndmask_b32_e64 v38, 0, v38, s30
	v_lshrrev_b64 v[38:39], s31, v[38:39]
	s_delay_alu instid0(VALU_DEP_1)
	v_and_b32_e32 v158, s56, v38
	s_wait_alu 0xfffe
	s_or_b32 exec_lo, exec_lo, s34
	s_and_saveexec_b32 s34, s20
	s_cbranch_execz .LBB1227_1092
.LBB1227_1158:                          ;   in Loop: Header=BB1227_974 Depth=2
	ds_load_b64 v[38:39], v110 offset:13312
	s_wait_dscnt 0x0
	v_cmp_ne_u64_e64 s30, s[42:43], v[38:39]
	s_wait_alu 0xf1ff
	s_delay_alu instid0(VALU_DEP_1) | instskip(SKIP_1) | instid1(VALU_DEP_1)
	v_cndmask_b32_e64 v39, 0x80000000, v39, s30
	v_cndmask_b32_e64 v38, 0, v38, s30
	v_lshrrev_b64 v[38:39], s31, v[38:39]
	s_delay_alu instid0(VALU_DEP_1)
	v_and_b32_e32 v157, s56, v38
	s_wait_alu 0xfffe
	s_or_b32 exec_lo, exec_lo, s34
	s_and_saveexec_b32 s34, s21
	s_cbranch_execz .LBB1227_1093
.LBB1227_1159:                          ;   in Loop: Header=BB1227_974 Depth=2
	ds_load_b64 v[38:39], v110 offset:15360
	s_wait_dscnt 0x0
	v_cmp_ne_u64_e64 s30, s[42:43], v[38:39]
	s_wait_alu 0xf1ff
	s_delay_alu instid0(VALU_DEP_1) | instskip(SKIP_1) | instid1(VALU_DEP_1)
	v_cndmask_b32_e64 v39, 0x80000000, v39, s30
	v_cndmask_b32_e64 v38, 0, v38, s30
	v_lshrrev_b64 v[38:39], s31, v[38:39]
	s_delay_alu instid0(VALU_DEP_1)
	v_and_b32_e32 v156, s56, v38
	s_wait_alu 0xfffe
	s_or_b32 exec_lo, exec_lo, s34
	s_and_saveexec_b32 s34, s22
	s_cbranch_execz .LBB1227_1094
.LBB1227_1160:                          ;   in Loop: Header=BB1227_974 Depth=2
	ds_load_b64 v[38:39], v110 offset:17408
	s_wait_dscnt 0x0
	v_cmp_ne_u64_e64 s30, s[42:43], v[38:39]
	s_wait_alu 0xf1ff
	s_delay_alu instid0(VALU_DEP_1) | instskip(SKIP_1) | instid1(VALU_DEP_1)
	v_cndmask_b32_e64 v39, 0x80000000, v39, s30
	v_cndmask_b32_e64 v38, 0, v38, s30
	v_lshrrev_b64 v[38:39], s31, v[38:39]
	s_delay_alu instid0(VALU_DEP_1)
	v_and_b32_e32 v155, s56, v38
	s_wait_alu 0xfffe
	s_or_b32 exec_lo, exec_lo, s34
	s_and_saveexec_b32 s34, s23
	s_cbranch_execz .LBB1227_1095
.LBB1227_1161:                          ;   in Loop: Header=BB1227_974 Depth=2
	ds_load_b64 v[38:39], v110 offset:19456
	s_wait_dscnt 0x0
	v_cmp_ne_u64_e64 s30, s[42:43], v[38:39]
	s_wait_alu 0xf1ff
	s_delay_alu instid0(VALU_DEP_1) | instskip(SKIP_1) | instid1(VALU_DEP_1)
	v_cndmask_b32_e64 v39, 0x80000000, v39, s30
	v_cndmask_b32_e64 v38, 0, v38, s30
	v_lshrrev_b64 v[38:39], s31, v[38:39]
	s_delay_alu instid0(VALU_DEP_1)
	v_and_b32_e32 v154, s56, v38
	s_wait_alu 0xfffe
	s_or_b32 exec_lo, exec_lo, s34
	s_and_saveexec_b32 s34, s24
	s_cbranch_execz .LBB1227_1096
.LBB1227_1162:                          ;   in Loop: Header=BB1227_974 Depth=2
	ds_load_b64 v[38:39], v110 offset:21504
	s_wait_dscnt 0x0
	v_cmp_ne_u64_e64 s30, s[42:43], v[38:39]
	s_wait_alu 0xf1ff
	s_delay_alu instid0(VALU_DEP_1) | instskip(SKIP_1) | instid1(VALU_DEP_1)
	v_cndmask_b32_e64 v39, 0x80000000, v39, s30
	v_cndmask_b32_e64 v38, 0, v38, s30
	v_lshrrev_b64 v[38:39], s31, v[38:39]
	s_delay_alu instid0(VALU_DEP_1)
	v_and_b32_e32 v153, s56, v38
	s_wait_alu 0xfffe
	s_or_b32 exec_lo, exec_lo, s34
	s_and_saveexec_b32 s34, s25
	s_cbranch_execz .LBB1227_1097
.LBB1227_1163:                          ;   in Loop: Header=BB1227_974 Depth=2
	ds_load_b64 v[38:39], v110 offset:23552
	s_wait_dscnt 0x0
	v_cmp_ne_u64_e64 s30, s[42:43], v[38:39]
	s_wait_alu 0xf1ff
	s_delay_alu instid0(VALU_DEP_1) | instskip(SKIP_1) | instid1(VALU_DEP_1)
	v_cndmask_b32_e64 v39, 0x80000000, v39, s30
	v_cndmask_b32_e64 v38, 0, v38, s30
	v_lshrrev_b64 v[38:39], s31, v[38:39]
	s_delay_alu instid0(VALU_DEP_1)
	v_and_b32_e32 v152, s56, v38
	s_wait_alu 0xfffe
	s_or_b32 exec_lo, exec_lo, s34
	s_and_saveexec_b32 s34, s26
	s_cbranch_execz .LBB1227_1098
.LBB1227_1164:                          ;   in Loop: Header=BB1227_974 Depth=2
	ds_load_b64 v[38:39], v110 offset:25600
	s_wait_dscnt 0x0
	v_cmp_ne_u64_e64 s30, s[42:43], v[38:39]
	s_wait_alu 0xf1ff
	s_delay_alu instid0(VALU_DEP_1) | instskip(SKIP_1) | instid1(VALU_DEP_1)
	v_cndmask_b32_e64 v39, 0x80000000, v39, s30
	v_cndmask_b32_e64 v38, 0, v38, s30
	v_lshrrev_b64 v[38:39], s31, v[38:39]
	s_delay_alu instid0(VALU_DEP_1)
	v_and_b32_e32 v151, s56, v38
	s_wait_alu 0xfffe
	s_or_b32 exec_lo, exec_lo, s34
	s_and_saveexec_b32 s34, s27
	s_cbranch_execz .LBB1227_1099
.LBB1227_1165:                          ;   in Loop: Header=BB1227_974 Depth=2
	ds_load_b64 v[38:39], v110 offset:27648
	s_wait_dscnt 0x0
	v_cmp_ne_u64_e64 s30, s[42:43], v[38:39]
	s_wait_alu 0xf1ff
	s_delay_alu instid0(VALU_DEP_1) | instskip(SKIP_1) | instid1(VALU_DEP_1)
	v_cndmask_b32_e64 v39, 0x80000000, v39, s30
	v_cndmask_b32_e64 v38, 0, v38, s30
	v_lshrrev_b64 v[38:39], s31, v[38:39]
	s_delay_alu instid0(VALU_DEP_1)
	v_and_b32_e32 v150, s56, v38
	s_wait_alu 0xfffe
	s_or_b32 exec_lo, exec_lo, s34
	s_and_saveexec_b32 s34, s28
	s_cbranch_execz .LBB1227_1100
.LBB1227_1166:                          ;   in Loop: Header=BB1227_974 Depth=2
	ds_load_b64 v[38:39], v110 offset:29696
	s_wait_dscnt 0x0
	v_cmp_ne_u64_e64 s30, s[42:43], v[38:39]
	s_wait_alu 0xf1ff
	s_delay_alu instid0(VALU_DEP_1) | instskip(SKIP_1) | instid1(VALU_DEP_1)
	v_cndmask_b32_e64 v39, 0x80000000, v39, s30
	v_cndmask_b32_e64 v38, 0, v38, s30
	v_lshrrev_b64 v[38:39], s31, v[38:39]
	s_delay_alu instid0(VALU_DEP_1)
	v_and_b32_e32 v149, s56, v38
	s_wait_alu 0xfffe
	s_or_b32 exec_lo, exec_lo, s34
	s_and_saveexec_b32 s34, s29
	s_cbranch_execnz .LBB1227_1101
	s_branch .LBB1227_1102
.LBB1227_1167:                          ;   in Loop: Header=BB1227_974 Depth=2
	v_lshlrev_b32_e32 v2, 2, v163
	ds_load_b32 v2, v2
	ds_load_b64 v[38:39], v110 offset:1024
	s_wait_dscnt 0x1
	v_add_nc_u32_e32 v2, v2, v1
	s_delay_alu instid0(VALU_DEP_1) | instskip(NEXT) | instid1(VALU_DEP_1)
	v_lshlrev_b64_e32 v[40:41], 3, v[2:3]
	v_add_co_u32 v40, vcc_lo, s46, v40
	s_wait_alu 0xfffd
	s_delay_alu instid0(VALU_DEP_2)
	v_add_co_ci_u32_e64 v41, null, s47, v41, vcc_lo
	s_wait_dscnt 0x0
	global_store_b64 v[40:41], v[38:39], off
	s_wait_alu 0xfffe
	s_or_b32 exec_lo, exec_lo, s30
	s_and_saveexec_b32 s30, s15
	s_cbranch_execz .LBB1227_1104
.LBB1227_1168:                          ;   in Loop: Header=BB1227_974 Depth=2
	v_lshlrev_b32_e32 v2, 2, v162
	ds_load_b32 v2, v2
	ds_load_b64 v[38:39], v110 offset:3072
	s_wait_dscnt 0x1
	v_add_nc_u32_e32 v2, v2, v79
	s_delay_alu instid0(VALU_DEP_1) | instskip(NEXT) | instid1(VALU_DEP_1)
	v_lshlrev_b64_e32 v[40:41], 3, v[2:3]
	v_add_co_u32 v40, vcc_lo, s46, v40
	s_wait_alu 0xfffd
	s_delay_alu instid0(VALU_DEP_2)
	v_add_co_ci_u32_e64 v41, null, s47, v41, vcc_lo
	s_wait_dscnt 0x0
	global_store_b64 v[40:41], v[38:39], off
	s_wait_alu 0xfffe
	s_or_b32 exec_lo, exec_lo, s30
	s_and_saveexec_b32 s15, s16
	s_cbranch_execz .LBB1227_1105
.LBB1227_1169:                          ;   in Loop: Header=BB1227_974 Depth=2
	v_lshlrev_b32_e32 v2, 2, v161
	ds_load_b32 v2, v2
	ds_load_b64 v[38:39], v110 offset:5120
	s_wait_dscnt 0x1
	v_add_nc_u32_e32 v2, v2, v80
	s_delay_alu instid0(VALU_DEP_1) | instskip(NEXT) | instid1(VALU_DEP_1)
	v_lshlrev_b64_e32 v[40:41], 3, v[2:3]
	v_add_co_u32 v40, vcc_lo, s46, v40
	s_wait_alu 0xfffd
	s_delay_alu instid0(VALU_DEP_2)
	v_add_co_ci_u32_e64 v41, null, s47, v41, vcc_lo
	s_wait_dscnt 0x0
	global_store_b64 v[40:41], v[38:39], off
	s_wait_alu 0xfffe
	s_or_b32 exec_lo, exec_lo, s15
	s_and_saveexec_b32 s15, s17
	s_cbranch_execz .LBB1227_1106
.LBB1227_1170:                          ;   in Loop: Header=BB1227_974 Depth=2
	v_lshlrev_b32_e32 v2, 2, v160
	ds_load_b32 v2, v2
	ds_load_b64 v[38:39], v110 offset:7168
	s_wait_dscnt 0x1
	v_add_nc_u32_e32 v2, v2, v81
	s_delay_alu instid0(VALU_DEP_1) | instskip(NEXT) | instid1(VALU_DEP_1)
	v_lshlrev_b64_e32 v[40:41], 3, v[2:3]
	v_add_co_u32 v40, vcc_lo, s46, v40
	s_wait_alu 0xfffd
	s_delay_alu instid0(VALU_DEP_2)
	v_add_co_ci_u32_e64 v41, null, s47, v41, vcc_lo
	s_wait_dscnt 0x0
	global_store_b64 v[40:41], v[38:39], off
	s_wait_alu 0xfffe
	s_or_b32 exec_lo, exec_lo, s15
	s_and_saveexec_b32 s15, s18
	s_cbranch_execz .LBB1227_1107
.LBB1227_1171:                          ;   in Loop: Header=BB1227_974 Depth=2
	v_lshlrev_b32_e32 v2, 2, v159
	ds_load_b32 v2, v2
	ds_load_b64 v[38:39], v110 offset:9216
	s_wait_dscnt 0x1
	v_add_nc_u32_e32 v2, v2, v84
	s_delay_alu instid0(VALU_DEP_1) | instskip(NEXT) | instid1(VALU_DEP_1)
	v_lshlrev_b64_e32 v[40:41], 3, v[2:3]
	v_add_co_u32 v40, vcc_lo, s46, v40
	s_wait_alu 0xfffd
	s_delay_alu instid0(VALU_DEP_2)
	v_add_co_ci_u32_e64 v41, null, s47, v41, vcc_lo
	s_wait_dscnt 0x0
	global_store_b64 v[40:41], v[38:39], off
	s_wait_alu 0xfffe
	s_or_b32 exec_lo, exec_lo, s15
	s_and_saveexec_b32 s15, s19
	s_cbranch_execz .LBB1227_1108
.LBB1227_1172:                          ;   in Loop: Header=BB1227_974 Depth=2
	v_lshlrev_b32_e32 v2, 2, v158
	ds_load_b32 v2, v2
	ds_load_b64 v[38:39], v110 offset:11264
	s_wait_dscnt 0x1
	v_add_nc_u32_e32 v2, v2, v85
	s_delay_alu instid0(VALU_DEP_1) | instskip(NEXT) | instid1(VALU_DEP_1)
	v_lshlrev_b64_e32 v[40:41], 3, v[2:3]
	v_add_co_u32 v40, vcc_lo, s46, v40
	s_wait_alu 0xfffd
	s_delay_alu instid0(VALU_DEP_2)
	v_add_co_ci_u32_e64 v41, null, s47, v41, vcc_lo
	s_wait_dscnt 0x0
	global_store_b64 v[40:41], v[38:39], off
	s_wait_alu 0xfffe
	s_or_b32 exec_lo, exec_lo, s15
	s_and_saveexec_b32 s15, s20
	s_cbranch_execz .LBB1227_1109
.LBB1227_1173:                          ;   in Loop: Header=BB1227_974 Depth=2
	v_lshlrev_b32_e32 v2, 2, v157
	ds_load_b32 v2, v2
	ds_load_b64 v[38:39], v110 offset:13312
	s_wait_dscnt 0x1
	v_add_nc_u32_e32 v2, v2, v86
	s_delay_alu instid0(VALU_DEP_1) | instskip(NEXT) | instid1(VALU_DEP_1)
	v_lshlrev_b64_e32 v[40:41], 3, v[2:3]
	v_add_co_u32 v40, vcc_lo, s46, v40
	s_wait_alu 0xfffd
	s_delay_alu instid0(VALU_DEP_2)
	v_add_co_ci_u32_e64 v41, null, s47, v41, vcc_lo
	s_wait_dscnt 0x0
	global_store_b64 v[40:41], v[38:39], off
	s_wait_alu 0xfffe
	s_or_b32 exec_lo, exec_lo, s15
	s_and_saveexec_b32 s15, s21
	s_cbranch_execz .LBB1227_1110
.LBB1227_1174:                          ;   in Loop: Header=BB1227_974 Depth=2
	v_lshlrev_b32_e32 v2, 2, v156
	ds_load_b32 v2, v2
	ds_load_b64 v[38:39], v110 offset:15360
	s_wait_dscnt 0x1
	v_add_nc_u32_e32 v2, v2, v87
	s_delay_alu instid0(VALU_DEP_1) | instskip(NEXT) | instid1(VALU_DEP_1)
	v_lshlrev_b64_e32 v[40:41], 3, v[2:3]
	v_add_co_u32 v40, vcc_lo, s46, v40
	s_wait_alu 0xfffd
	s_delay_alu instid0(VALU_DEP_2)
	v_add_co_ci_u32_e64 v41, null, s47, v41, vcc_lo
	s_wait_dscnt 0x0
	global_store_b64 v[40:41], v[38:39], off
	s_wait_alu 0xfffe
	s_or_b32 exec_lo, exec_lo, s15
	s_and_saveexec_b32 s15, s22
	s_cbranch_execz .LBB1227_1111
.LBB1227_1175:                          ;   in Loop: Header=BB1227_974 Depth=2
	v_lshlrev_b32_e32 v2, 2, v155
	ds_load_b32 v2, v2
	ds_load_b64 v[38:39], v110 offset:17408
	s_wait_dscnt 0x1
	v_add_nc_u32_e32 v2, v2, v88
	s_delay_alu instid0(VALU_DEP_1) | instskip(NEXT) | instid1(VALU_DEP_1)
	v_lshlrev_b64_e32 v[40:41], 3, v[2:3]
	v_add_co_u32 v40, vcc_lo, s46, v40
	s_wait_alu 0xfffd
	s_delay_alu instid0(VALU_DEP_2)
	v_add_co_ci_u32_e64 v41, null, s47, v41, vcc_lo
	s_wait_dscnt 0x0
	global_store_b64 v[40:41], v[38:39], off
	s_wait_alu 0xfffe
	s_or_b32 exec_lo, exec_lo, s15
	s_and_saveexec_b32 s15, s23
	s_cbranch_execz .LBB1227_1112
.LBB1227_1176:                          ;   in Loop: Header=BB1227_974 Depth=2
	v_lshlrev_b32_e32 v2, 2, v154
	ds_load_b32 v2, v2
	ds_load_b64 v[38:39], v110 offset:19456
	s_wait_dscnt 0x1
	v_add_nc_u32_e32 v2, v2, v89
	s_delay_alu instid0(VALU_DEP_1) | instskip(NEXT) | instid1(VALU_DEP_1)
	v_lshlrev_b64_e32 v[40:41], 3, v[2:3]
	v_add_co_u32 v40, vcc_lo, s46, v40
	s_wait_alu 0xfffd
	s_delay_alu instid0(VALU_DEP_2)
	v_add_co_ci_u32_e64 v41, null, s47, v41, vcc_lo
	s_wait_dscnt 0x0
	global_store_b64 v[40:41], v[38:39], off
	s_wait_alu 0xfffe
	s_or_b32 exec_lo, exec_lo, s15
	s_and_saveexec_b32 s15, s24
	s_cbranch_execz .LBB1227_1113
.LBB1227_1177:                          ;   in Loop: Header=BB1227_974 Depth=2
	v_lshlrev_b32_e32 v2, 2, v153
	ds_load_b32 v2, v2
	ds_load_b64 v[38:39], v110 offset:21504
	s_wait_dscnt 0x1
	v_add_nc_u32_e32 v2, v2, v90
	s_delay_alu instid0(VALU_DEP_1) | instskip(NEXT) | instid1(VALU_DEP_1)
	v_lshlrev_b64_e32 v[40:41], 3, v[2:3]
	v_add_co_u32 v40, vcc_lo, s46, v40
	s_wait_alu 0xfffd
	s_delay_alu instid0(VALU_DEP_2)
	v_add_co_ci_u32_e64 v41, null, s47, v41, vcc_lo
	s_wait_dscnt 0x0
	global_store_b64 v[40:41], v[38:39], off
	s_wait_alu 0xfffe
	s_or_b32 exec_lo, exec_lo, s15
	s_and_saveexec_b32 s15, s25
	s_cbranch_execz .LBB1227_1114
.LBB1227_1178:                          ;   in Loop: Header=BB1227_974 Depth=2
	v_lshlrev_b32_e32 v2, 2, v152
	ds_load_b32 v2, v2
	ds_load_b64 v[38:39], v110 offset:23552
	s_wait_dscnt 0x1
	v_add_nc_u32_e32 v2, v2, v91
	s_delay_alu instid0(VALU_DEP_1) | instskip(NEXT) | instid1(VALU_DEP_1)
	v_lshlrev_b64_e32 v[40:41], 3, v[2:3]
	v_add_co_u32 v40, vcc_lo, s46, v40
	s_wait_alu 0xfffd
	s_delay_alu instid0(VALU_DEP_2)
	v_add_co_ci_u32_e64 v41, null, s47, v41, vcc_lo
	s_wait_dscnt 0x0
	global_store_b64 v[40:41], v[38:39], off
	s_wait_alu 0xfffe
	s_or_b32 exec_lo, exec_lo, s15
	s_and_saveexec_b32 s15, s26
	s_cbranch_execz .LBB1227_1115
.LBB1227_1179:                          ;   in Loop: Header=BB1227_974 Depth=2
	v_lshlrev_b32_e32 v2, 2, v151
	ds_load_b32 v2, v2
	ds_load_b64 v[38:39], v110 offset:25600
	s_wait_dscnt 0x1
	v_add_nc_u32_e32 v2, v2, v92
	s_delay_alu instid0(VALU_DEP_1) | instskip(NEXT) | instid1(VALU_DEP_1)
	v_lshlrev_b64_e32 v[40:41], 3, v[2:3]
	v_add_co_u32 v40, vcc_lo, s46, v40
	s_wait_alu 0xfffd
	s_delay_alu instid0(VALU_DEP_2)
	v_add_co_ci_u32_e64 v41, null, s47, v41, vcc_lo
	s_wait_dscnt 0x0
	global_store_b64 v[40:41], v[38:39], off
	s_wait_alu 0xfffe
	s_or_b32 exec_lo, exec_lo, s15
	s_and_saveexec_b32 s15, s27
	s_cbranch_execz .LBB1227_1116
.LBB1227_1180:                          ;   in Loop: Header=BB1227_974 Depth=2
	v_lshlrev_b32_e32 v2, 2, v150
	ds_load_b32 v2, v2
	ds_load_b64 v[38:39], v110 offset:27648
	s_wait_dscnt 0x1
	v_add_nc_u32_e32 v2, v2, v93
	s_delay_alu instid0(VALU_DEP_1) | instskip(NEXT) | instid1(VALU_DEP_1)
	v_lshlrev_b64_e32 v[40:41], 3, v[2:3]
	v_add_co_u32 v40, vcc_lo, s46, v40
	s_wait_alu 0xfffd
	s_delay_alu instid0(VALU_DEP_2)
	v_add_co_ci_u32_e64 v41, null, s47, v41, vcc_lo
	s_wait_dscnt 0x0
	global_store_b64 v[40:41], v[38:39], off
	s_wait_alu 0xfffe
	s_or_b32 exec_lo, exec_lo, s15
	s_and_saveexec_b32 s15, s28
	s_cbranch_execz .LBB1227_1117
.LBB1227_1181:                          ;   in Loop: Header=BB1227_974 Depth=2
	v_lshlrev_b32_e32 v2, 2, v149
	ds_load_b32 v2, v2
	ds_load_b64 v[38:39], v110 offset:29696
	s_wait_dscnt 0x1
	v_add_nc_u32_e32 v2, v2, v94
	s_delay_alu instid0(VALU_DEP_1) | instskip(NEXT) | instid1(VALU_DEP_1)
	v_lshlrev_b64_e32 v[40:41], 3, v[2:3]
	v_add_co_u32 v40, vcc_lo, s46, v40
	s_wait_alu 0xfffd
	s_delay_alu instid0(VALU_DEP_2)
	v_add_co_ci_u32_e64 v41, null, s47, v41, vcc_lo
	s_wait_dscnt 0x0
	global_store_b64 v[40:41], v[38:39], off
	s_wait_alu 0xfffe
	s_or_b32 exec_lo, exec_lo, s15
	s_and_saveexec_b32 s15, s29
	s_cbranch_execnz .LBB1227_1118
	s_branch .LBB1227_1119
.LBB1227_1182:
	s_endpgm
	.section	.rodata,"a",@progbits
	.p2align	6, 0x0
	.amdhsa_kernel _ZN7rocprim17ROCPRIM_400000_NS6detail17trampoline_kernelINS0_14default_configENS1_36segmented_radix_sort_config_selectorIdlEEZNS1_25segmented_radix_sort_implIS3_Lb0EPKdPdPKlPlN2at6native12_GLOBAL__N_18offset_tEEE10hipError_tPvRmT1_PNSt15iterator_traitsISK_E10value_typeET2_T3_PNSL_ISQ_E10value_typeET4_jRbjT5_SW_jjP12ihipStream_tbEUlT_E_NS1_11comp_targetILNS1_3genE10ELNS1_11target_archE1201ELNS1_3gpuE5ELNS1_3repE0EEENS1_30default_config_static_selectorELNS0_4arch9wavefront6targetE0EEEvSK_
		.amdhsa_group_segment_fixed_size 33824
		.amdhsa_private_segment_fixed_size 176
		.amdhsa_kernarg_size 352
		.amdhsa_user_sgpr_count 2
		.amdhsa_user_sgpr_dispatch_ptr 0
		.amdhsa_user_sgpr_queue_ptr 0
		.amdhsa_user_sgpr_kernarg_segment_ptr 1
		.amdhsa_user_sgpr_dispatch_id 0
		.amdhsa_user_sgpr_private_segment_size 0
		.amdhsa_wavefront_size32 1
		.amdhsa_uses_dynamic_stack 0
		.amdhsa_enable_private_segment 1
		.amdhsa_system_sgpr_workgroup_id_x 1
		.amdhsa_system_sgpr_workgroup_id_y 1
		.amdhsa_system_sgpr_workgroup_id_z 0
		.amdhsa_system_sgpr_workgroup_info 0
		.amdhsa_system_vgpr_workitem_id 2
		.amdhsa_next_free_vgpr 248
		.amdhsa_next_free_sgpr 62
		.amdhsa_reserve_vcc 1
		.amdhsa_float_round_mode_32 0
		.amdhsa_float_round_mode_16_64 0
		.amdhsa_float_denorm_mode_32 3
		.amdhsa_float_denorm_mode_16_64 3
		.amdhsa_fp16_overflow 0
		.amdhsa_workgroup_processor_mode 1
		.amdhsa_memory_ordered 1
		.amdhsa_forward_progress 1
		.amdhsa_inst_pref_size 255
		.amdhsa_round_robin_scheduling 0
		.amdhsa_exception_fp_ieee_invalid_op 0
		.amdhsa_exception_fp_denorm_src 0
		.amdhsa_exception_fp_ieee_div_zero 0
		.amdhsa_exception_fp_ieee_overflow 0
		.amdhsa_exception_fp_ieee_underflow 0
		.amdhsa_exception_fp_ieee_inexact 0
		.amdhsa_exception_int_div_zero 0
	.end_amdhsa_kernel
	.section	.text._ZN7rocprim17ROCPRIM_400000_NS6detail17trampoline_kernelINS0_14default_configENS1_36segmented_radix_sort_config_selectorIdlEEZNS1_25segmented_radix_sort_implIS3_Lb0EPKdPdPKlPlN2at6native12_GLOBAL__N_18offset_tEEE10hipError_tPvRmT1_PNSt15iterator_traitsISK_E10value_typeET2_T3_PNSL_ISQ_E10value_typeET4_jRbjT5_SW_jjP12ihipStream_tbEUlT_E_NS1_11comp_targetILNS1_3genE10ELNS1_11target_archE1201ELNS1_3gpuE5ELNS1_3repE0EEENS1_30default_config_static_selectorELNS0_4arch9wavefront6targetE0EEEvSK_,"axG",@progbits,_ZN7rocprim17ROCPRIM_400000_NS6detail17trampoline_kernelINS0_14default_configENS1_36segmented_radix_sort_config_selectorIdlEEZNS1_25segmented_radix_sort_implIS3_Lb0EPKdPdPKlPlN2at6native12_GLOBAL__N_18offset_tEEE10hipError_tPvRmT1_PNSt15iterator_traitsISK_E10value_typeET2_T3_PNSL_ISQ_E10value_typeET4_jRbjT5_SW_jjP12ihipStream_tbEUlT_E_NS1_11comp_targetILNS1_3genE10ELNS1_11target_archE1201ELNS1_3gpuE5ELNS1_3repE0EEENS1_30default_config_static_selectorELNS0_4arch9wavefront6targetE0EEEvSK_,comdat
.Lfunc_end1227:
	.size	_ZN7rocprim17ROCPRIM_400000_NS6detail17trampoline_kernelINS0_14default_configENS1_36segmented_radix_sort_config_selectorIdlEEZNS1_25segmented_radix_sort_implIS3_Lb0EPKdPdPKlPlN2at6native12_GLOBAL__N_18offset_tEEE10hipError_tPvRmT1_PNSt15iterator_traitsISK_E10value_typeET2_T3_PNSL_ISQ_E10value_typeET4_jRbjT5_SW_jjP12ihipStream_tbEUlT_E_NS1_11comp_targetILNS1_3genE10ELNS1_11target_archE1201ELNS1_3gpuE5ELNS1_3repE0EEENS1_30default_config_static_selectorELNS0_4arch9wavefront6targetE0EEEvSK_, .Lfunc_end1227-_ZN7rocprim17ROCPRIM_400000_NS6detail17trampoline_kernelINS0_14default_configENS1_36segmented_radix_sort_config_selectorIdlEEZNS1_25segmented_radix_sort_implIS3_Lb0EPKdPdPKlPlN2at6native12_GLOBAL__N_18offset_tEEE10hipError_tPvRmT1_PNSt15iterator_traitsISK_E10value_typeET2_T3_PNSL_ISQ_E10value_typeET4_jRbjT5_SW_jjP12ihipStream_tbEUlT_E_NS1_11comp_targetILNS1_3genE10ELNS1_11target_archE1201ELNS1_3gpuE5ELNS1_3repE0EEENS1_30default_config_static_selectorELNS0_4arch9wavefront6targetE0EEEvSK_
                                        ; -- End function
	.set _ZN7rocprim17ROCPRIM_400000_NS6detail17trampoline_kernelINS0_14default_configENS1_36segmented_radix_sort_config_selectorIdlEEZNS1_25segmented_radix_sort_implIS3_Lb0EPKdPdPKlPlN2at6native12_GLOBAL__N_18offset_tEEE10hipError_tPvRmT1_PNSt15iterator_traitsISK_E10value_typeET2_T3_PNSL_ISQ_E10value_typeET4_jRbjT5_SW_jjP12ihipStream_tbEUlT_E_NS1_11comp_targetILNS1_3genE10ELNS1_11target_archE1201ELNS1_3gpuE5ELNS1_3repE0EEENS1_30default_config_static_selectorELNS0_4arch9wavefront6targetE0EEEvSK_.num_vgpr, max(218, .L_ZN7rocprim17ROCPRIM_400000_NS6detail40segmented_radix_sort_single_block_helperIdlLj256ELj16ELb0EE4sortIPKdPdPKlPlEEbT_T0_T1_T2_jjjjRNS3_12storage_typeE.num_vgpr)
	.set _ZN7rocprim17ROCPRIM_400000_NS6detail17trampoline_kernelINS0_14default_configENS1_36segmented_radix_sort_config_selectorIdlEEZNS1_25segmented_radix_sort_implIS3_Lb0EPKdPdPKlPlN2at6native12_GLOBAL__N_18offset_tEEE10hipError_tPvRmT1_PNSt15iterator_traitsISK_E10value_typeET2_T3_PNSL_ISQ_E10value_typeET4_jRbjT5_SW_jjP12ihipStream_tbEUlT_E_NS1_11comp_targetILNS1_3genE10ELNS1_11target_archE1201ELNS1_3gpuE5ELNS1_3repE0EEENS1_30default_config_static_selectorELNS0_4arch9wavefront6targetE0EEEvSK_.num_agpr, max(0, .L_ZN7rocprim17ROCPRIM_400000_NS6detail40segmented_radix_sort_single_block_helperIdlLj256ELj16ELb0EE4sortIPKdPdPKlPlEEbT_T0_T1_T2_jjjjRNS3_12storage_typeE.num_agpr)
	.set _ZN7rocprim17ROCPRIM_400000_NS6detail17trampoline_kernelINS0_14default_configENS1_36segmented_radix_sort_config_selectorIdlEEZNS1_25segmented_radix_sort_implIS3_Lb0EPKdPdPKlPlN2at6native12_GLOBAL__N_18offset_tEEE10hipError_tPvRmT1_PNSt15iterator_traitsISK_E10value_typeET2_T3_PNSL_ISQ_E10value_typeET4_jRbjT5_SW_jjP12ihipStream_tbEUlT_E_NS1_11comp_targetILNS1_3genE10ELNS1_11target_archE1201ELNS1_3gpuE5ELNS1_3repE0EEENS1_30default_config_static_selectorELNS0_4arch9wavefront6targetE0EEEvSK_.numbered_sgpr, max(62, .L_ZN7rocprim17ROCPRIM_400000_NS6detail40segmented_radix_sort_single_block_helperIdlLj256ELj16ELb0EE4sortIPKdPdPKlPlEEbT_T0_T1_T2_jjjjRNS3_12storage_typeE.numbered_sgpr)
	.set _ZN7rocprim17ROCPRIM_400000_NS6detail17trampoline_kernelINS0_14default_configENS1_36segmented_radix_sort_config_selectorIdlEEZNS1_25segmented_radix_sort_implIS3_Lb0EPKdPdPKlPlN2at6native12_GLOBAL__N_18offset_tEEE10hipError_tPvRmT1_PNSt15iterator_traitsISK_E10value_typeET2_T3_PNSL_ISQ_E10value_typeET4_jRbjT5_SW_jjP12ihipStream_tbEUlT_E_NS1_11comp_targetILNS1_3genE10ELNS1_11target_archE1201ELNS1_3gpuE5ELNS1_3repE0EEENS1_30default_config_static_selectorELNS0_4arch9wavefront6targetE0EEEvSK_.num_named_barrier, max(0, .L_ZN7rocprim17ROCPRIM_400000_NS6detail40segmented_radix_sort_single_block_helperIdlLj256ELj16ELb0EE4sortIPKdPdPKlPlEEbT_T0_T1_T2_jjjjRNS3_12storage_typeE.num_named_barrier)
	.set _ZN7rocprim17ROCPRIM_400000_NS6detail17trampoline_kernelINS0_14default_configENS1_36segmented_radix_sort_config_selectorIdlEEZNS1_25segmented_radix_sort_implIS3_Lb0EPKdPdPKlPlN2at6native12_GLOBAL__N_18offset_tEEE10hipError_tPvRmT1_PNSt15iterator_traitsISK_E10value_typeET2_T3_PNSL_ISQ_E10value_typeET4_jRbjT5_SW_jjP12ihipStream_tbEUlT_E_NS1_11comp_targetILNS1_3genE10ELNS1_11target_archE1201ELNS1_3gpuE5ELNS1_3repE0EEENS1_30default_config_static_selectorELNS0_4arch9wavefront6targetE0EEEvSK_.private_seg_size, 0+max(.L_ZN7rocprim17ROCPRIM_400000_NS6detail40segmented_radix_sort_single_block_helperIdlLj256ELj16ELb0EE4sortIPKdPdPKlPlEEbT_T0_T1_T2_jjjjRNS3_12storage_typeE.private_seg_size)
	.set _ZN7rocprim17ROCPRIM_400000_NS6detail17trampoline_kernelINS0_14default_configENS1_36segmented_radix_sort_config_selectorIdlEEZNS1_25segmented_radix_sort_implIS3_Lb0EPKdPdPKlPlN2at6native12_GLOBAL__N_18offset_tEEE10hipError_tPvRmT1_PNSt15iterator_traitsISK_E10value_typeET2_T3_PNSL_ISQ_E10value_typeET4_jRbjT5_SW_jjP12ihipStream_tbEUlT_E_NS1_11comp_targetILNS1_3genE10ELNS1_11target_archE1201ELNS1_3gpuE5ELNS1_3repE0EEENS1_30default_config_static_selectorELNS0_4arch9wavefront6targetE0EEEvSK_.uses_vcc, or(1, .L_ZN7rocprim17ROCPRIM_400000_NS6detail40segmented_radix_sort_single_block_helperIdlLj256ELj16ELb0EE4sortIPKdPdPKlPlEEbT_T0_T1_T2_jjjjRNS3_12storage_typeE.uses_vcc)
	.set _ZN7rocprim17ROCPRIM_400000_NS6detail17trampoline_kernelINS0_14default_configENS1_36segmented_radix_sort_config_selectorIdlEEZNS1_25segmented_radix_sort_implIS3_Lb0EPKdPdPKlPlN2at6native12_GLOBAL__N_18offset_tEEE10hipError_tPvRmT1_PNSt15iterator_traitsISK_E10value_typeET2_T3_PNSL_ISQ_E10value_typeET4_jRbjT5_SW_jjP12ihipStream_tbEUlT_E_NS1_11comp_targetILNS1_3genE10ELNS1_11target_archE1201ELNS1_3gpuE5ELNS1_3repE0EEENS1_30default_config_static_selectorELNS0_4arch9wavefront6targetE0EEEvSK_.uses_flat_scratch, or(0, .L_ZN7rocprim17ROCPRIM_400000_NS6detail40segmented_radix_sort_single_block_helperIdlLj256ELj16ELb0EE4sortIPKdPdPKlPlEEbT_T0_T1_T2_jjjjRNS3_12storage_typeE.uses_flat_scratch)
	.set _ZN7rocprim17ROCPRIM_400000_NS6detail17trampoline_kernelINS0_14default_configENS1_36segmented_radix_sort_config_selectorIdlEEZNS1_25segmented_radix_sort_implIS3_Lb0EPKdPdPKlPlN2at6native12_GLOBAL__N_18offset_tEEE10hipError_tPvRmT1_PNSt15iterator_traitsISK_E10value_typeET2_T3_PNSL_ISQ_E10value_typeET4_jRbjT5_SW_jjP12ihipStream_tbEUlT_E_NS1_11comp_targetILNS1_3genE10ELNS1_11target_archE1201ELNS1_3gpuE5ELNS1_3repE0EEENS1_30default_config_static_selectorELNS0_4arch9wavefront6targetE0EEEvSK_.has_dyn_sized_stack, or(0, .L_ZN7rocprim17ROCPRIM_400000_NS6detail40segmented_radix_sort_single_block_helperIdlLj256ELj16ELb0EE4sortIPKdPdPKlPlEEbT_T0_T1_T2_jjjjRNS3_12storage_typeE.has_dyn_sized_stack)
	.set _ZN7rocprim17ROCPRIM_400000_NS6detail17trampoline_kernelINS0_14default_configENS1_36segmented_radix_sort_config_selectorIdlEEZNS1_25segmented_radix_sort_implIS3_Lb0EPKdPdPKlPlN2at6native12_GLOBAL__N_18offset_tEEE10hipError_tPvRmT1_PNSt15iterator_traitsISK_E10value_typeET2_T3_PNSL_ISQ_E10value_typeET4_jRbjT5_SW_jjP12ihipStream_tbEUlT_E_NS1_11comp_targetILNS1_3genE10ELNS1_11target_archE1201ELNS1_3gpuE5ELNS1_3repE0EEENS1_30default_config_static_selectorELNS0_4arch9wavefront6targetE0EEEvSK_.has_recursion, or(0, .L_ZN7rocprim17ROCPRIM_400000_NS6detail40segmented_radix_sort_single_block_helperIdlLj256ELj16ELb0EE4sortIPKdPdPKlPlEEbT_T0_T1_T2_jjjjRNS3_12storage_typeE.has_recursion)
	.set _ZN7rocprim17ROCPRIM_400000_NS6detail17trampoline_kernelINS0_14default_configENS1_36segmented_radix_sort_config_selectorIdlEEZNS1_25segmented_radix_sort_implIS3_Lb0EPKdPdPKlPlN2at6native12_GLOBAL__N_18offset_tEEE10hipError_tPvRmT1_PNSt15iterator_traitsISK_E10value_typeET2_T3_PNSL_ISQ_E10value_typeET4_jRbjT5_SW_jjP12ihipStream_tbEUlT_E_NS1_11comp_targetILNS1_3genE10ELNS1_11target_archE1201ELNS1_3gpuE5ELNS1_3repE0EEENS1_30default_config_static_selectorELNS0_4arch9wavefront6targetE0EEEvSK_.has_indirect_call, or(0, .L_ZN7rocprim17ROCPRIM_400000_NS6detail40segmented_radix_sort_single_block_helperIdlLj256ELj16ELb0EE4sortIPKdPdPKlPlEEbT_T0_T1_T2_jjjjRNS3_12storage_typeE.has_indirect_call)
	.section	.AMDGPU.csdata,"",@progbits
; Kernel info:
; codeLenInByte = 90176
; TotalNumSgprs: 64
; NumVgprs: 248
; ScratchSize: 176
; MemoryBound: 0
; FloatMode: 240
; IeeeMode: 1
; LDSByteSize: 33824 bytes/workgroup (compile time only)
; SGPRBlocks: 0
; VGPRBlocks: 30
; NumSGPRsForWavesPerEU: 64
; NumVGPRsForWavesPerEU: 248
; Occupancy: 5
; WaveLimiterHint : 1
; COMPUTE_PGM_RSRC2:SCRATCH_EN: 1
; COMPUTE_PGM_RSRC2:USER_SGPR: 2
; COMPUTE_PGM_RSRC2:TRAP_HANDLER: 0
; COMPUTE_PGM_RSRC2:TGID_X_EN: 1
; COMPUTE_PGM_RSRC2:TGID_Y_EN: 1
; COMPUTE_PGM_RSRC2:TGID_Z_EN: 0
; COMPUTE_PGM_RSRC2:TIDIG_COMP_CNT: 2
	.section	.text._ZN7rocprim17ROCPRIM_400000_NS6detail17trampoline_kernelINS0_14default_configENS1_36segmented_radix_sort_config_selectorIdlEEZNS1_25segmented_radix_sort_implIS3_Lb0EPKdPdPKlPlN2at6native12_GLOBAL__N_18offset_tEEE10hipError_tPvRmT1_PNSt15iterator_traitsISK_E10value_typeET2_T3_PNSL_ISQ_E10value_typeET4_jRbjT5_SW_jjP12ihipStream_tbEUlT_E_NS1_11comp_targetILNS1_3genE10ELNS1_11target_archE1200ELNS1_3gpuE4ELNS1_3repE0EEENS1_30default_config_static_selectorELNS0_4arch9wavefront6targetE0EEEvSK_,"axG",@progbits,_ZN7rocprim17ROCPRIM_400000_NS6detail17trampoline_kernelINS0_14default_configENS1_36segmented_radix_sort_config_selectorIdlEEZNS1_25segmented_radix_sort_implIS3_Lb0EPKdPdPKlPlN2at6native12_GLOBAL__N_18offset_tEEE10hipError_tPvRmT1_PNSt15iterator_traitsISK_E10value_typeET2_T3_PNSL_ISQ_E10value_typeET4_jRbjT5_SW_jjP12ihipStream_tbEUlT_E_NS1_11comp_targetILNS1_3genE10ELNS1_11target_archE1200ELNS1_3gpuE4ELNS1_3repE0EEENS1_30default_config_static_selectorELNS0_4arch9wavefront6targetE0EEEvSK_,comdat
	.globl	_ZN7rocprim17ROCPRIM_400000_NS6detail17trampoline_kernelINS0_14default_configENS1_36segmented_radix_sort_config_selectorIdlEEZNS1_25segmented_radix_sort_implIS3_Lb0EPKdPdPKlPlN2at6native12_GLOBAL__N_18offset_tEEE10hipError_tPvRmT1_PNSt15iterator_traitsISK_E10value_typeET2_T3_PNSL_ISQ_E10value_typeET4_jRbjT5_SW_jjP12ihipStream_tbEUlT_E_NS1_11comp_targetILNS1_3genE10ELNS1_11target_archE1200ELNS1_3gpuE4ELNS1_3repE0EEENS1_30default_config_static_selectorELNS0_4arch9wavefront6targetE0EEEvSK_ ; -- Begin function _ZN7rocprim17ROCPRIM_400000_NS6detail17trampoline_kernelINS0_14default_configENS1_36segmented_radix_sort_config_selectorIdlEEZNS1_25segmented_radix_sort_implIS3_Lb0EPKdPdPKlPlN2at6native12_GLOBAL__N_18offset_tEEE10hipError_tPvRmT1_PNSt15iterator_traitsISK_E10value_typeET2_T3_PNSL_ISQ_E10value_typeET4_jRbjT5_SW_jjP12ihipStream_tbEUlT_E_NS1_11comp_targetILNS1_3genE10ELNS1_11target_archE1200ELNS1_3gpuE4ELNS1_3repE0EEENS1_30default_config_static_selectorELNS0_4arch9wavefront6targetE0EEEvSK_
	.p2align	8
	.type	_ZN7rocprim17ROCPRIM_400000_NS6detail17trampoline_kernelINS0_14default_configENS1_36segmented_radix_sort_config_selectorIdlEEZNS1_25segmented_radix_sort_implIS3_Lb0EPKdPdPKlPlN2at6native12_GLOBAL__N_18offset_tEEE10hipError_tPvRmT1_PNSt15iterator_traitsISK_E10value_typeET2_T3_PNSL_ISQ_E10value_typeET4_jRbjT5_SW_jjP12ihipStream_tbEUlT_E_NS1_11comp_targetILNS1_3genE10ELNS1_11target_archE1200ELNS1_3gpuE4ELNS1_3repE0EEENS1_30default_config_static_selectorELNS0_4arch9wavefront6targetE0EEEvSK_,@function
_ZN7rocprim17ROCPRIM_400000_NS6detail17trampoline_kernelINS0_14default_configENS1_36segmented_radix_sort_config_selectorIdlEEZNS1_25segmented_radix_sort_implIS3_Lb0EPKdPdPKlPlN2at6native12_GLOBAL__N_18offset_tEEE10hipError_tPvRmT1_PNSt15iterator_traitsISK_E10value_typeET2_T3_PNSL_ISQ_E10value_typeET4_jRbjT5_SW_jjP12ihipStream_tbEUlT_E_NS1_11comp_targetILNS1_3genE10ELNS1_11target_archE1200ELNS1_3gpuE4ELNS1_3repE0EEENS1_30default_config_static_selectorELNS0_4arch9wavefront6targetE0EEEvSK_: ; @_ZN7rocprim17ROCPRIM_400000_NS6detail17trampoline_kernelINS0_14default_configENS1_36segmented_radix_sort_config_selectorIdlEEZNS1_25segmented_radix_sort_implIS3_Lb0EPKdPdPKlPlN2at6native12_GLOBAL__N_18offset_tEEE10hipError_tPvRmT1_PNSt15iterator_traitsISK_E10value_typeET2_T3_PNSL_ISQ_E10value_typeET4_jRbjT5_SW_jjP12ihipStream_tbEUlT_E_NS1_11comp_targetILNS1_3genE10ELNS1_11target_archE1200ELNS1_3gpuE4ELNS1_3repE0EEENS1_30default_config_static_selectorELNS0_4arch9wavefront6targetE0EEEvSK_
; %bb.0:
	.section	.rodata,"a",@progbits
	.p2align	6, 0x0
	.amdhsa_kernel _ZN7rocprim17ROCPRIM_400000_NS6detail17trampoline_kernelINS0_14default_configENS1_36segmented_radix_sort_config_selectorIdlEEZNS1_25segmented_radix_sort_implIS3_Lb0EPKdPdPKlPlN2at6native12_GLOBAL__N_18offset_tEEE10hipError_tPvRmT1_PNSt15iterator_traitsISK_E10value_typeET2_T3_PNSL_ISQ_E10value_typeET4_jRbjT5_SW_jjP12ihipStream_tbEUlT_E_NS1_11comp_targetILNS1_3genE10ELNS1_11target_archE1200ELNS1_3gpuE4ELNS1_3repE0EEENS1_30default_config_static_selectorELNS0_4arch9wavefront6targetE0EEEvSK_
		.amdhsa_group_segment_fixed_size 0
		.amdhsa_private_segment_fixed_size 0
		.amdhsa_kernarg_size 96
		.amdhsa_user_sgpr_count 2
		.amdhsa_user_sgpr_dispatch_ptr 0
		.amdhsa_user_sgpr_queue_ptr 0
		.amdhsa_user_sgpr_kernarg_segment_ptr 1
		.amdhsa_user_sgpr_dispatch_id 0
		.amdhsa_user_sgpr_private_segment_size 0
		.amdhsa_wavefront_size32 1
		.amdhsa_uses_dynamic_stack 0
		.amdhsa_enable_private_segment 0
		.amdhsa_system_sgpr_workgroup_id_x 1
		.amdhsa_system_sgpr_workgroup_id_y 0
		.amdhsa_system_sgpr_workgroup_id_z 0
		.amdhsa_system_sgpr_workgroup_info 0
		.amdhsa_system_vgpr_workitem_id 0
		.amdhsa_next_free_vgpr 1
		.amdhsa_next_free_sgpr 1
		.amdhsa_reserve_vcc 0
		.amdhsa_float_round_mode_32 0
		.amdhsa_float_round_mode_16_64 0
		.amdhsa_float_denorm_mode_32 3
		.amdhsa_float_denorm_mode_16_64 3
		.amdhsa_fp16_overflow 0
		.amdhsa_workgroup_processor_mode 1
		.amdhsa_memory_ordered 1
		.amdhsa_forward_progress 1
		.amdhsa_inst_pref_size 0
		.amdhsa_round_robin_scheduling 0
		.amdhsa_exception_fp_ieee_invalid_op 0
		.amdhsa_exception_fp_denorm_src 0
		.amdhsa_exception_fp_ieee_div_zero 0
		.amdhsa_exception_fp_ieee_overflow 0
		.amdhsa_exception_fp_ieee_underflow 0
		.amdhsa_exception_fp_ieee_inexact 0
		.amdhsa_exception_int_div_zero 0
	.end_amdhsa_kernel
	.section	.text._ZN7rocprim17ROCPRIM_400000_NS6detail17trampoline_kernelINS0_14default_configENS1_36segmented_radix_sort_config_selectorIdlEEZNS1_25segmented_radix_sort_implIS3_Lb0EPKdPdPKlPlN2at6native12_GLOBAL__N_18offset_tEEE10hipError_tPvRmT1_PNSt15iterator_traitsISK_E10value_typeET2_T3_PNSL_ISQ_E10value_typeET4_jRbjT5_SW_jjP12ihipStream_tbEUlT_E_NS1_11comp_targetILNS1_3genE10ELNS1_11target_archE1200ELNS1_3gpuE4ELNS1_3repE0EEENS1_30default_config_static_selectorELNS0_4arch9wavefront6targetE0EEEvSK_,"axG",@progbits,_ZN7rocprim17ROCPRIM_400000_NS6detail17trampoline_kernelINS0_14default_configENS1_36segmented_radix_sort_config_selectorIdlEEZNS1_25segmented_radix_sort_implIS3_Lb0EPKdPdPKlPlN2at6native12_GLOBAL__N_18offset_tEEE10hipError_tPvRmT1_PNSt15iterator_traitsISK_E10value_typeET2_T3_PNSL_ISQ_E10value_typeET4_jRbjT5_SW_jjP12ihipStream_tbEUlT_E_NS1_11comp_targetILNS1_3genE10ELNS1_11target_archE1200ELNS1_3gpuE4ELNS1_3repE0EEENS1_30default_config_static_selectorELNS0_4arch9wavefront6targetE0EEEvSK_,comdat
.Lfunc_end1228:
	.size	_ZN7rocprim17ROCPRIM_400000_NS6detail17trampoline_kernelINS0_14default_configENS1_36segmented_radix_sort_config_selectorIdlEEZNS1_25segmented_radix_sort_implIS3_Lb0EPKdPdPKlPlN2at6native12_GLOBAL__N_18offset_tEEE10hipError_tPvRmT1_PNSt15iterator_traitsISK_E10value_typeET2_T3_PNSL_ISQ_E10value_typeET4_jRbjT5_SW_jjP12ihipStream_tbEUlT_E_NS1_11comp_targetILNS1_3genE10ELNS1_11target_archE1200ELNS1_3gpuE4ELNS1_3repE0EEENS1_30default_config_static_selectorELNS0_4arch9wavefront6targetE0EEEvSK_, .Lfunc_end1228-_ZN7rocprim17ROCPRIM_400000_NS6detail17trampoline_kernelINS0_14default_configENS1_36segmented_radix_sort_config_selectorIdlEEZNS1_25segmented_radix_sort_implIS3_Lb0EPKdPdPKlPlN2at6native12_GLOBAL__N_18offset_tEEE10hipError_tPvRmT1_PNSt15iterator_traitsISK_E10value_typeET2_T3_PNSL_ISQ_E10value_typeET4_jRbjT5_SW_jjP12ihipStream_tbEUlT_E_NS1_11comp_targetILNS1_3genE10ELNS1_11target_archE1200ELNS1_3gpuE4ELNS1_3repE0EEENS1_30default_config_static_selectorELNS0_4arch9wavefront6targetE0EEEvSK_
                                        ; -- End function
	.set _ZN7rocprim17ROCPRIM_400000_NS6detail17trampoline_kernelINS0_14default_configENS1_36segmented_radix_sort_config_selectorIdlEEZNS1_25segmented_radix_sort_implIS3_Lb0EPKdPdPKlPlN2at6native12_GLOBAL__N_18offset_tEEE10hipError_tPvRmT1_PNSt15iterator_traitsISK_E10value_typeET2_T3_PNSL_ISQ_E10value_typeET4_jRbjT5_SW_jjP12ihipStream_tbEUlT_E_NS1_11comp_targetILNS1_3genE10ELNS1_11target_archE1200ELNS1_3gpuE4ELNS1_3repE0EEENS1_30default_config_static_selectorELNS0_4arch9wavefront6targetE0EEEvSK_.num_vgpr, 0
	.set _ZN7rocprim17ROCPRIM_400000_NS6detail17trampoline_kernelINS0_14default_configENS1_36segmented_radix_sort_config_selectorIdlEEZNS1_25segmented_radix_sort_implIS3_Lb0EPKdPdPKlPlN2at6native12_GLOBAL__N_18offset_tEEE10hipError_tPvRmT1_PNSt15iterator_traitsISK_E10value_typeET2_T3_PNSL_ISQ_E10value_typeET4_jRbjT5_SW_jjP12ihipStream_tbEUlT_E_NS1_11comp_targetILNS1_3genE10ELNS1_11target_archE1200ELNS1_3gpuE4ELNS1_3repE0EEENS1_30default_config_static_selectorELNS0_4arch9wavefront6targetE0EEEvSK_.num_agpr, 0
	.set _ZN7rocprim17ROCPRIM_400000_NS6detail17trampoline_kernelINS0_14default_configENS1_36segmented_radix_sort_config_selectorIdlEEZNS1_25segmented_radix_sort_implIS3_Lb0EPKdPdPKlPlN2at6native12_GLOBAL__N_18offset_tEEE10hipError_tPvRmT1_PNSt15iterator_traitsISK_E10value_typeET2_T3_PNSL_ISQ_E10value_typeET4_jRbjT5_SW_jjP12ihipStream_tbEUlT_E_NS1_11comp_targetILNS1_3genE10ELNS1_11target_archE1200ELNS1_3gpuE4ELNS1_3repE0EEENS1_30default_config_static_selectorELNS0_4arch9wavefront6targetE0EEEvSK_.numbered_sgpr, 0
	.set _ZN7rocprim17ROCPRIM_400000_NS6detail17trampoline_kernelINS0_14default_configENS1_36segmented_radix_sort_config_selectorIdlEEZNS1_25segmented_radix_sort_implIS3_Lb0EPKdPdPKlPlN2at6native12_GLOBAL__N_18offset_tEEE10hipError_tPvRmT1_PNSt15iterator_traitsISK_E10value_typeET2_T3_PNSL_ISQ_E10value_typeET4_jRbjT5_SW_jjP12ihipStream_tbEUlT_E_NS1_11comp_targetILNS1_3genE10ELNS1_11target_archE1200ELNS1_3gpuE4ELNS1_3repE0EEENS1_30default_config_static_selectorELNS0_4arch9wavefront6targetE0EEEvSK_.num_named_barrier, 0
	.set _ZN7rocprim17ROCPRIM_400000_NS6detail17trampoline_kernelINS0_14default_configENS1_36segmented_radix_sort_config_selectorIdlEEZNS1_25segmented_radix_sort_implIS3_Lb0EPKdPdPKlPlN2at6native12_GLOBAL__N_18offset_tEEE10hipError_tPvRmT1_PNSt15iterator_traitsISK_E10value_typeET2_T3_PNSL_ISQ_E10value_typeET4_jRbjT5_SW_jjP12ihipStream_tbEUlT_E_NS1_11comp_targetILNS1_3genE10ELNS1_11target_archE1200ELNS1_3gpuE4ELNS1_3repE0EEENS1_30default_config_static_selectorELNS0_4arch9wavefront6targetE0EEEvSK_.private_seg_size, 0
	.set _ZN7rocprim17ROCPRIM_400000_NS6detail17trampoline_kernelINS0_14default_configENS1_36segmented_radix_sort_config_selectorIdlEEZNS1_25segmented_radix_sort_implIS3_Lb0EPKdPdPKlPlN2at6native12_GLOBAL__N_18offset_tEEE10hipError_tPvRmT1_PNSt15iterator_traitsISK_E10value_typeET2_T3_PNSL_ISQ_E10value_typeET4_jRbjT5_SW_jjP12ihipStream_tbEUlT_E_NS1_11comp_targetILNS1_3genE10ELNS1_11target_archE1200ELNS1_3gpuE4ELNS1_3repE0EEENS1_30default_config_static_selectorELNS0_4arch9wavefront6targetE0EEEvSK_.uses_vcc, 0
	.set _ZN7rocprim17ROCPRIM_400000_NS6detail17trampoline_kernelINS0_14default_configENS1_36segmented_radix_sort_config_selectorIdlEEZNS1_25segmented_radix_sort_implIS3_Lb0EPKdPdPKlPlN2at6native12_GLOBAL__N_18offset_tEEE10hipError_tPvRmT1_PNSt15iterator_traitsISK_E10value_typeET2_T3_PNSL_ISQ_E10value_typeET4_jRbjT5_SW_jjP12ihipStream_tbEUlT_E_NS1_11comp_targetILNS1_3genE10ELNS1_11target_archE1200ELNS1_3gpuE4ELNS1_3repE0EEENS1_30default_config_static_selectorELNS0_4arch9wavefront6targetE0EEEvSK_.uses_flat_scratch, 0
	.set _ZN7rocprim17ROCPRIM_400000_NS6detail17trampoline_kernelINS0_14default_configENS1_36segmented_radix_sort_config_selectorIdlEEZNS1_25segmented_radix_sort_implIS3_Lb0EPKdPdPKlPlN2at6native12_GLOBAL__N_18offset_tEEE10hipError_tPvRmT1_PNSt15iterator_traitsISK_E10value_typeET2_T3_PNSL_ISQ_E10value_typeET4_jRbjT5_SW_jjP12ihipStream_tbEUlT_E_NS1_11comp_targetILNS1_3genE10ELNS1_11target_archE1200ELNS1_3gpuE4ELNS1_3repE0EEENS1_30default_config_static_selectorELNS0_4arch9wavefront6targetE0EEEvSK_.has_dyn_sized_stack, 0
	.set _ZN7rocprim17ROCPRIM_400000_NS6detail17trampoline_kernelINS0_14default_configENS1_36segmented_radix_sort_config_selectorIdlEEZNS1_25segmented_radix_sort_implIS3_Lb0EPKdPdPKlPlN2at6native12_GLOBAL__N_18offset_tEEE10hipError_tPvRmT1_PNSt15iterator_traitsISK_E10value_typeET2_T3_PNSL_ISQ_E10value_typeET4_jRbjT5_SW_jjP12ihipStream_tbEUlT_E_NS1_11comp_targetILNS1_3genE10ELNS1_11target_archE1200ELNS1_3gpuE4ELNS1_3repE0EEENS1_30default_config_static_selectorELNS0_4arch9wavefront6targetE0EEEvSK_.has_recursion, 0
	.set _ZN7rocprim17ROCPRIM_400000_NS6detail17trampoline_kernelINS0_14default_configENS1_36segmented_radix_sort_config_selectorIdlEEZNS1_25segmented_radix_sort_implIS3_Lb0EPKdPdPKlPlN2at6native12_GLOBAL__N_18offset_tEEE10hipError_tPvRmT1_PNSt15iterator_traitsISK_E10value_typeET2_T3_PNSL_ISQ_E10value_typeET4_jRbjT5_SW_jjP12ihipStream_tbEUlT_E_NS1_11comp_targetILNS1_3genE10ELNS1_11target_archE1200ELNS1_3gpuE4ELNS1_3repE0EEENS1_30default_config_static_selectorELNS0_4arch9wavefront6targetE0EEEvSK_.has_indirect_call, 0
	.section	.AMDGPU.csdata,"",@progbits
; Kernel info:
; codeLenInByte = 0
; TotalNumSgprs: 0
; NumVgprs: 0
; ScratchSize: 0
; MemoryBound: 0
; FloatMode: 240
; IeeeMode: 1
; LDSByteSize: 0 bytes/workgroup (compile time only)
; SGPRBlocks: 0
; VGPRBlocks: 0
; NumSGPRsForWavesPerEU: 1
; NumVGPRsForWavesPerEU: 1
; Occupancy: 16
; WaveLimiterHint : 0
; COMPUTE_PGM_RSRC2:SCRATCH_EN: 0
; COMPUTE_PGM_RSRC2:USER_SGPR: 2
; COMPUTE_PGM_RSRC2:TRAP_HANDLER: 0
; COMPUTE_PGM_RSRC2:TGID_X_EN: 1
; COMPUTE_PGM_RSRC2:TGID_Y_EN: 0
; COMPUTE_PGM_RSRC2:TGID_Z_EN: 0
; COMPUTE_PGM_RSRC2:TIDIG_COMP_CNT: 0
	.section	.text._ZN7rocprim17ROCPRIM_400000_NS6detail17trampoline_kernelINS0_14default_configENS1_36segmented_radix_sort_config_selectorIdlEEZNS1_25segmented_radix_sort_implIS3_Lb0EPKdPdPKlPlN2at6native12_GLOBAL__N_18offset_tEEE10hipError_tPvRmT1_PNSt15iterator_traitsISK_E10value_typeET2_T3_PNSL_ISQ_E10value_typeET4_jRbjT5_SW_jjP12ihipStream_tbEUlT_E_NS1_11comp_targetILNS1_3genE9ELNS1_11target_archE1100ELNS1_3gpuE3ELNS1_3repE0EEENS1_30default_config_static_selectorELNS0_4arch9wavefront6targetE0EEEvSK_,"axG",@progbits,_ZN7rocprim17ROCPRIM_400000_NS6detail17trampoline_kernelINS0_14default_configENS1_36segmented_radix_sort_config_selectorIdlEEZNS1_25segmented_radix_sort_implIS3_Lb0EPKdPdPKlPlN2at6native12_GLOBAL__N_18offset_tEEE10hipError_tPvRmT1_PNSt15iterator_traitsISK_E10value_typeET2_T3_PNSL_ISQ_E10value_typeET4_jRbjT5_SW_jjP12ihipStream_tbEUlT_E_NS1_11comp_targetILNS1_3genE9ELNS1_11target_archE1100ELNS1_3gpuE3ELNS1_3repE0EEENS1_30default_config_static_selectorELNS0_4arch9wavefront6targetE0EEEvSK_,comdat
	.globl	_ZN7rocprim17ROCPRIM_400000_NS6detail17trampoline_kernelINS0_14default_configENS1_36segmented_radix_sort_config_selectorIdlEEZNS1_25segmented_radix_sort_implIS3_Lb0EPKdPdPKlPlN2at6native12_GLOBAL__N_18offset_tEEE10hipError_tPvRmT1_PNSt15iterator_traitsISK_E10value_typeET2_T3_PNSL_ISQ_E10value_typeET4_jRbjT5_SW_jjP12ihipStream_tbEUlT_E_NS1_11comp_targetILNS1_3genE9ELNS1_11target_archE1100ELNS1_3gpuE3ELNS1_3repE0EEENS1_30default_config_static_selectorELNS0_4arch9wavefront6targetE0EEEvSK_ ; -- Begin function _ZN7rocprim17ROCPRIM_400000_NS6detail17trampoline_kernelINS0_14default_configENS1_36segmented_radix_sort_config_selectorIdlEEZNS1_25segmented_radix_sort_implIS3_Lb0EPKdPdPKlPlN2at6native12_GLOBAL__N_18offset_tEEE10hipError_tPvRmT1_PNSt15iterator_traitsISK_E10value_typeET2_T3_PNSL_ISQ_E10value_typeET4_jRbjT5_SW_jjP12ihipStream_tbEUlT_E_NS1_11comp_targetILNS1_3genE9ELNS1_11target_archE1100ELNS1_3gpuE3ELNS1_3repE0EEENS1_30default_config_static_selectorELNS0_4arch9wavefront6targetE0EEEvSK_
	.p2align	8
	.type	_ZN7rocprim17ROCPRIM_400000_NS6detail17trampoline_kernelINS0_14default_configENS1_36segmented_radix_sort_config_selectorIdlEEZNS1_25segmented_radix_sort_implIS3_Lb0EPKdPdPKlPlN2at6native12_GLOBAL__N_18offset_tEEE10hipError_tPvRmT1_PNSt15iterator_traitsISK_E10value_typeET2_T3_PNSL_ISQ_E10value_typeET4_jRbjT5_SW_jjP12ihipStream_tbEUlT_E_NS1_11comp_targetILNS1_3genE9ELNS1_11target_archE1100ELNS1_3gpuE3ELNS1_3repE0EEENS1_30default_config_static_selectorELNS0_4arch9wavefront6targetE0EEEvSK_,@function
_ZN7rocprim17ROCPRIM_400000_NS6detail17trampoline_kernelINS0_14default_configENS1_36segmented_radix_sort_config_selectorIdlEEZNS1_25segmented_radix_sort_implIS3_Lb0EPKdPdPKlPlN2at6native12_GLOBAL__N_18offset_tEEE10hipError_tPvRmT1_PNSt15iterator_traitsISK_E10value_typeET2_T3_PNSL_ISQ_E10value_typeET4_jRbjT5_SW_jjP12ihipStream_tbEUlT_E_NS1_11comp_targetILNS1_3genE9ELNS1_11target_archE1100ELNS1_3gpuE3ELNS1_3repE0EEENS1_30default_config_static_selectorELNS0_4arch9wavefront6targetE0EEEvSK_: ; @_ZN7rocprim17ROCPRIM_400000_NS6detail17trampoline_kernelINS0_14default_configENS1_36segmented_radix_sort_config_selectorIdlEEZNS1_25segmented_radix_sort_implIS3_Lb0EPKdPdPKlPlN2at6native12_GLOBAL__N_18offset_tEEE10hipError_tPvRmT1_PNSt15iterator_traitsISK_E10value_typeET2_T3_PNSL_ISQ_E10value_typeET4_jRbjT5_SW_jjP12ihipStream_tbEUlT_E_NS1_11comp_targetILNS1_3genE9ELNS1_11target_archE1100ELNS1_3gpuE3ELNS1_3repE0EEENS1_30default_config_static_selectorELNS0_4arch9wavefront6targetE0EEEvSK_
; %bb.0:
	.section	.rodata,"a",@progbits
	.p2align	6, 0x0
	.amdhsa_kernel _ZN7rocprim17ROCPRIM_400000_NS6detail17trampoline_kernelINS0_14default_configENS1_36segmented_radix_sort_config_selectorIdlEEZNS1_25segmented_radix_sort_implIS3_Lb0EPKdPdPKlPlN2at6native12_GLOBAL__N_18offset_tEEE10hipError_tPvRmT1_PNSt15iterator_traitsISK_E10value_typeET2_T3_PNSL_ISQ_E10value_typeET4_jRbjT5_SW_jjP12ihipStream_tbEUlT_E_NS1_11comp_targetILNS1_3genE9ELNS1_11target_archE1100ELNS1_3gpuE3ELNS1_3repE0EEENS1_30default_config_static_selectorELNS0_4arch9wavefront6targetE0EEEvSK_
		.amdhsa_group_segment_fixed_size 0
		.amdhsa_private_segment_fixed_size 0
		.amdhsa_kernarg_size 96
		.amdhsa_user_sgpr_count 2
		.amdhsa_user_sgpr_dispatch_ptr 0
		.amdhsa_user_sgpr_queue_ptr 0
		.amdhsa_user_sgpr_kernarg_segment_ptr 1
		.amdhsa_user_sgpr_dispatch_id 0
		.amdhsa_user_sgpr_private_segment_size 0
		.amdhsa_wavefront_size32 1
		.amdhsa_uses_dynamic_stack 0
		.amdhsa_enable_private_segment 0
		.amdhsa_system_sgpr_workgroup_id_x 1
		.amdhsa_system_sgpr_workgroup_id_y 0
		.amdhsa_system_sgpr_workgroup_id_z 0
		.amdhsa_system_sgpr_workgroup_info 0
		.amdhsa_system_vgpr_workitem_id 0
		.amdhsa_next_free_vgpr 1
		.amdhsa_next_free_sgpr 1
		.amdhsa_reserve_vcc 0
		.amdhsa_float_round_mode_32 0
		.amdhsa_float_round_mode_16_64 0
		.amdhsa_float_denorm_mode_32 3
		.amdhsa_float_denorm_mode_16_64 3
		.amdhsa_fp16_overflow 0
		.amdhsa_workgroup_processor_mode 1
		.amdhsa_memory_ordered 1
		.amdhsa_forward_progress 1
		.amdhsa_inst_pref_size 0
		.amdhsa_round_robin_scheduling 0
		.amdhsa_exception_fp_ieee_invalid_op 0
		.amdhsa_exception_fp_denorm_src 0
		.amdhsa_exception_fp_ieee_div_zero 0
		.amdhsa_exception_fp_ieee_overflow 0
		.amdhsa_exception_fp_ieee_underflow 0
		.amdhsa_exception_fp_ieee_inexact 0
		.amdhsa_exception_int_div_zero 0
	.end_amdhsa_kernel
	.section	.text._ZN7rocprim17ROCPRIM_400000_NS6detail17trampoline_kernelINS0_14default_configENS1_36segmented_radix_sort_config_selectorIdlEEZNS1_25segmented_radix_sort_implIS3_Lb0EPKdPdPKlPlN2at6native12_GLOBAL__N_18offset_tEEE10hipError_tPvRmT1_PNSt15iterator_traitsISK_E10value_typeET2_T3_PNSL_ISQ_E10value_typeET4_jRbjT5_SW_jjP12ihipStream_tbEUlT_E_NS1_11comp_targetILNS1_3genE9ELNS1_11target_archE1100ELNS1_3gpuE3ELNS1_3repE0EEENS1_30default_config_static_selectorELNS0_4arch9wavefront6targetE0EEEvSK_,"axG",@progbits,_ZN7rocprim17ROCPRIM_400000_NS6detail17trampoline_kernelINS0_14default_configENS1_36segmented_radix_sort_config_selectorIdlEEZNS1_25segmented_radix_sort_implIS3_Lb0EPKdPdPKlPlN2at6native12_GLOBAL__N_18offset_tEEE10hipError_tPvRmT1_PNSt15iterator_traitsISK_E10value_typeET2_T3_PNSL_ISQ_E10value_typeET4_jRbjT5_SW_jjP12ihipStream_tbEUlT_E_NS1_11comp_targetILNS1_3genE9ELNS1_11target_archE1100ELNS1_3gpuE3ELNS1_3repE0EEENS1_30default_config_static_selectorELNS0_4arch9wavefront6targetE0EEEvSK_,comdat
.Lfunc_end1229:
	.size	_ZN7rocprim17ROCPRIM_400000_NS6detail17trampoline_kernelINS0_14default_configENS1_36segmented_radix_sort_config_selectorIdlEEZNS1_25segmented_radix_sort_implIS3_Lb0EPKdPdPKlPlN2at6native12_GLOBAL__N_18offset_tEEE10hipError_tPvRmT1_PNSt15iterator_traitsISK_E10value_typeET2_T3_PNSL_ISQ_E10value_typeET4_jRbjT5_SW_jjP12ihipStream_tbEUlT_E_NS1_11comp_targetILNS1_3genE9ELNS1_11target_archE1100ELNS1_3gpuE3ELNS1_3repE0EEENS1_30default_config_static_selectorELNS0_4arch9wavefront6targetE0EEEvSK_, .Lfunc_end1229-_ZN7rocprim17ROCPRIM_400000_NS6detail17trampoline_kernelINS0_14default_configENS1_36segmented_radix_sort_config_selectorIdlEEZNS1_25segmented_radix_sort_implIS3_Lb0EPKdPdPKlPlN2at6native12_GLOBAL__N_18offset_tEEE10hipError_tPvRmT1_PNSt15iterator_traitsISK_E10value_typeET2_T3_PNSL_ISQ_E10value_typeET4_jRbjT5_SW_jjP12ihipStream_tbEUlT_E_NS1_11comp_targetILNS1_3genE9ELNS1_11target_archE1100ELNS1_3gpuE3ELNS1_3repE0EEENS1_30default_config_static_selectorELNS0_4arch9wavefront6targetE0EEEvSK_
                                        ; -- End function
	.set _ZN7rocprim17ROCPRIM_400000_NS6detail17trampoline_kernelINS0_14default_configENS1_36segmented_radix_sort_config_selectorIdlEEZNS1_25segmented_radix_sort_implIS3_Lb0EPKdPdPKlPlN2at6native12_GLOBAL__N_18offset_tEEE10hipError_tPvRmT1_PNSt15iterator_traitsISK_E10value_typeET2_T3_PNSL_ISQ_E10value_typeET4_jRbjT5_SW_jjP12ihipStream_tbEUlT_E_NS1_11comp_targetILNS1_3genE9ELNS1_11target_archE1100ELNS1_3gpuE3ELNS1_3repE0EEENS1_30default_config_static_selectorELNS0_4arch9wavefront6targetE0EEEvSK_.num_vgpr, 0
	.set _ZN7rocprim17ROCPRIM_400000_NS6detail17trampoline_kernelINS0_14default_configENS1_36segmented_radix_sort_config_selectorIdlEEZNS1_25segmented_radix_sort_implIS3_Lb0EPKdPdPKlPlN2at6native12_GLOBAL__N_18offset_tEEE10hipError_tPvRmT1_PNSt15iterator_traitsISK_E10value_typeET2_T3_PNSL_ISQ_E10value_typeET4_jRbjT5_SW_jjP12ihipStream_tbEUlT_E_NS1_11comp_targetILNS1_3genE9ELNS1_11target_archE1100ELNS1_3gpuE3ELNS1_3repE0EEENS1_30default_config_static_selectorELNS0_4arch9wavefront6targetE0EEEvSK_.num_agpr, 0
	.set _ZN7rocprim17ROCPRIM_400000_NS6detail17trampoline_kernelINS0_14default_configENS1_36segmented_radix_sort_config_selectorIdlEEZNS1_25segmented_radix_sort_implIS3_Lb0EPKdPdPKlPlN2at6native12_GLOBAL__N_18offset_tEEE10hipError_tPvRmT1_PNSt15iterator_traitsISK_E10value_typeET2_T3_PNSL_ISQ_E10value_typeET4_jRbjT5_SW_jjP12ihipStream_tbEUlT_E_NS1_11comp_targetILNS1_3genE9ELNS1_11target_archE1100ELNS1_3gpuE3ELNS1_3repE0EEENS1_30default_config_static_selectorELNS0_4arch9wavefront6targetE0EEEvSK_.numbered_sgpr, 0
	.set _ZN7rocprim17ROCPRIM_400000_NS6detail17trampoline_kernelINS0_14default_configENS1_36segmented_radix_sort_config_selectorIdlEEZNS1_25segmented_radix_sort_implIS3_Lb0EPKdPdPKlPlN2at6native12_GLOBAL__N_18offset_tEEE10hipError_tPvRmT1_PNSt15iterator_traitsISK_E10value_typeET2_T3_PNSL_ISQ_E10value_typeET4_jRbjT5_SW_jjP12ihipStream_tbEUlT_E_NS1_11comp_targetILNS1_3genE9ELNS1_11target_archE1100ELNS1_3gpuE3ELNS1_3repE0EEENS1_30default_config_static_selectorELNS0_4arch9wavefront6targetE0EEEvSK_.num_named_barrier, 0
	.set _ZN7rocprim17ROCPRIM_400000_NS6detail17trampoline_kernelINS0_14default_configENS1_36segmented_radix_sort_config_selectorIdlEEZNS1_25segmented_radix_sort_implIS3_Lb0EPKdPdPKlPlN2at6native12_GLOBAL__N_18offset_tEEE10hipError_tPvRmT1_PNSt15iterator_traitsISK_E10value_typeET2_T3_PNSL_ISQ_E10value_typeET4_jRbjT5_SW_jjP12ihipStream_tbEUlT_E_NS1_11comp_targetILNS1_3genE9ELNS1_11target_archE1100ELNS1_3gpuE3ELNS1_3repE0EEENS1_30default_config_static_selectorELNS0_4arch9wavefront6targetE0EEEvSK_.private_seg_size, 0
	.set _ZN7rocprim17ROCPRIM_400000_NS6detail17trampoline_kernelINS0_14default_configENS1_36segmented_radix_sort_config_selectorIdlEEZNS1_25segmented_radix_sort_implIS3_Lb0EPKdPdPKlPlN2at6native12_GLOBAL__N_18offset_tEEE10hipError_tPvRmT1_PNSt15iterator_traitsISK_E10value_typeET2_T3_PNSL_ISQ_E10value_typeET4_jRbjT5_SW_jjP12ihipStream_tbEUlT_E_NS1_11comp_targetILNS1_3genE9ELNS1_11target_archE1100ELNS1_3gpuE3ELNS1_3repE0EEENS1_30default_config_static_selectorELNS0_4arch9wavefront6targetE0EEEvSK_.uses_vcc, 0
	.set _ZN7rocprim17ROCPRIM_400000_NS6detail17trampoline_kernelINS0_14default_configENS1_36segmented_radix_sort_config_selectorIdlEEZNS1_25segmented_radix_sort_implIS3_Lb0EPKdPdPKlPlN2at6native12_GLOBAL__N_18offset_tEEE10hipError_tPvRmT1_PNSt15iterator_traitsISK_E10value_typeET2_T3_PNSL_ISQ_E10value_typeET4_jRbjT5_SW_jjP12ihipStream_tbEUlT_E_NS1_11comp_targetILNS1_3genE9ELNS1_11target_archE1100ELNS1_3gpuE3ELNS1_3repE0EEENS1_30default_config_static_selectorELNS0_4arch9wavefront6targetE0EEEvSK_.uses_flat_scratch, 0
	.set _ZN7rocprim17ROCPRIM_400000_NS6detail17trampoline_kernelINS0_14default_configENS1_36segmented_radix_sort_config_selectorIdlEEZNS1_25segmented_radix_sort_implIS3_Lb0EPKdPdPKlPlN2at6native12_GLOBAL__N_18offset_tEEE10hipError_tPvRmT1_PNSt15iterator_traitsISK_E10value_typeET2_T3_PNSL_ISQ_E10value_typeET4_jRbjT5_SW_jjP12ihipStream_tbEUlT_E_NS1_11comp_targetILNS1_3genE9ELNS1_11target_archE1100ELNS1_3gpuE3ELNS1_3repE0EEENS1_30default_config_static_selectorELNS0_4arch9wavefront6targetE0EEEvSK_.has_dyn_sized_stack, 0
	.set _ZN7rocprim17ROCPRIM_400000_NS6detail17trampoline_kernelINS0_14default_configENS1_36segmented_radix_sort_config_selectorIdlEEZNS1_25segmented_radix_sort_implIS3_Lb0EPKdPdPKlPlN2at6native12_GLOBAL__N_18offset_tEEE10hipError_tPvRmT1_PNSt15iterator_traitsISK_E10value_typeET2_T3_PNSL_ISQ_E10value_typeET4_jRbjT5_SW_jjP12ihipStream_tbEUlT_E_NS1_11comp_targetILNS1_3genE9ELNS1_11target_archE1100ELNS1_3gpuE3ELNS1_3repE0EEENS1_30default_config_static_selectorELNS0_4arch9wavefront6targetE0EEEvSK_.has_recursion, 0
	.set _ZN7rocprim17ROCPRIM_400000_NS6detail17trampoline_kernelINS0_14default_configENS1_36segmented_radix_sort_config_selectorIdlEEZNS1_25segmented_radix_sort_implIS3_Lb0EPKdPdPKlPlN2at6native12_GLOBAL__N_18offset_tEEE10hipError_tPvRmT1_PNSt15iterator_traitsISK_E10value_typeET2_T3_PNSL_ISQ_E10value_typeET4_jRbjT5_SW_jjP12ihipStream_tbEUlT_E_NS1_11comp_targetILNS1_3genE9ELNS1_11target_archE1100ELNS1_3gpuE3ELNS1_3repE0EEENS1_30default_config_static_selectorELNS0_4arch9wavefront6targetE0EEEvSK_.has_indirect_call, 0
	.section	.AMDGPU.csdata,"",@progbits
; Kernel info:
; codeLenInByte = 0
; TotalNumSgprs: 0
; NumVgprs: 0
; ScratchSize: 0
; MemoryBound: 0
; FloatMode: 240
; IeeeMode: 1
; LDSByteSize: 0 bytes/workgroup (compile time only)
; SGPRBlocks: 0
; VGPRBlocks: 0
; NumSGPRsForWavesPerEU: 1
; NumVGPRsForWavesPerEU: 1
; Occupancy: 16
; WaveLimiterHint : 0
; COMPUTE_PGM_RSRC2:SCRATCH_EN: 0
; COMPUTE_PGM_RSRC2:USER_SGPR: 2
; COMPUTE_PGM_RSRC2:TRAP_HANDLER: 0
; COMPUTE_PGM_RSRC2:TGID_X_EN: 1
; COMPUTE_PGM_RSRC2:TGID_Y_EN: 0
; COMPUTE_PGM_RSRC2:TGID_Z_EN: 0
; COMPUTE_PGM_RSRC2:TIDIG_COMP_CNT: 0
	.section	.text._ZN7rocprim17ROCPRIM_400000_NS6detail17trampoline_kernelINS0_14default_configENS1_36segmented_radix_sort_config_selectorIdlEEZNS1_25segmented_radix_sort_implIS3_Lb0EPKdPdPKlPlN2at6native12_GLOBAL__N_18offset_tEEE10hipError_tPvRmT1_PNSt15iterator_traitsISK_E10value_typeET2_T3_PNSL_ISQ_E10value_typeET4_jRbjT5_SW_jjP12ihipStream_tbEUlT_E_NS1_11comp_targetILNS1_3genE8ELNS1_11target_archE1030ELNS1_3gpuE2ELNS1_3repE0EEENS1_30default_config_static_selectorELNS0_4arch9wavefront6targetE0EEEvSK_,"axG",@progbits,_ZN7rocprim17ROCPRIM_400000_NS6detail17trampoline_kernelINS0_14default_configENS1_36segmented_radix_sort_config_selectorIdlEEZNS1_25segmented_radix_sort_implIS3_Lb0EPKdPdPKlPlN2at6native12_GLOBAL__N_18offset_tEEE10hipError_tPvRmT1_PNSt15iterator_traitsISK_E10value_typeET2_T3_PNSL_ISQ_E10value_typeET4_jRbjT5_SW_jjP12ihipStream_tbEUlT_E_NS1_11comp_targetILNS1_3genE8ELNS1_11target_archE1030ELNS1_3gpuE2ELNS1_3repE0EEENS1_30default_config_static_selectorELNS0_4arch9wavefront6targetE0EEEvSK_,comdat
	.globl	_ZN7rocprim17ROCPRIM_400000_NS6detail17trampoline_kernelINS0_14default_configENS1_36segmented_radix_sort_config_selectorIdlEEZNS1_25segmented_radix_sort_implIS3_Lb0EPKdPdPKlPlN2at6native12_GLOBAL__N_18offset_tEEE10hipError_tPvRmT1_PNSt15iterator_traitsISK_E10value_typeET2_T3_PNSL_ISQ_E10value_typeET4_jRbjT5_SW_jjP12ihipStream_tbEUlT_E_NS1_11comp_targetILNS1_3genE8ELNS1_11target_archE1030ELNS1_3gpuE2ELNS1_3repE0EEENS1_30default_config_static_selectorELNS0_4arch9wavefront6targetE0EEEvSK_ ; -- Begin function _ZN7rocprim17ROCPRIM_400000_NS6detail17trampoline_kernelINS0_14default_configENS1_36segmented_radix_sort_config_selectorIdlEEZNS1_25segmented_radix_sort_implIS3_Lb0EPKdPdPKlPlN2at6native12_GLOBAL__N_18offset_tEEE10hipError_tPvRmT1_PNSt15iterator_traitsISK_E10value_typeET2_T3_PNSL_ISQ_E10value_typeET4_jRbjT5_SW_jjP12ihipStream_tbEUlT_E_NS1_11comp_targetILNS1_3genE8ELNS1_11target_archE1030ELNS1_3gpuE2ELNS1_3repE0EEENS1_30default_config_static_selectorELNS0_4arch9wavefront6targetE0EEEvSK_
	.p2align	8
	.type	_ZN7rocprim17ROCPRIM_400000_NS6detail17trampoline_kernelINS0_14default_configENS1_36segmented_radix_sort_config_selectorIdlEEZNS1_25segmented_radix_sort_implIS3_Lb0EPKdPdPKlPlN2at6native12_GLOBAL__N_18offset_tEEE10hipError_tPvRmT1_PNSt15iterator_traitsISK_E10value_typeET2_T3_PNSL_ISQ_E10value_typeET4_jRbjT5_SW_jjP12ihipStream_tbEUlT_E_NS1_11comp_targetILNS1_3genE8ELNS1_11target_archE1030ELNS1_3gpuE2ELNS1_3repE0EEENS1_30default_config_static_selectorELNS0_4arch9wavefront6targetE0EEEvSK_,@function
_ZN7rocprim17ROCPRIM_400000_NS6detail17trampoline_kernelINS0_14default_configENS1_36segmented_radix_sort_config_selectorIdlEEZNS1_25segmented_radix_sort_implIS3_Lb0EPKdPdPKlPlN2at6native12_GLOBAL__N_18offset_tEEE10hipError_tPvRmT1_PNSt15iterator_traitsISK_E10value_typeET2_T3_PNSL_ISQ_E10value_typeET4_jRbjT5_SW_jjP12ihipStream_tbEUlT_E_NS1_11comp_targetILNS1_3genE8ELNS1_11target_archE1030ELNS1_3gpuE2ELNS1_3repE0EEENS1_30default_config_static_selectorELNS0_4arch9wavefront6targetE0EEEvSK_: ; @_ZN7rocprim17ROCPRIM_400000_NS6detail17trampoline_kernelINS0_14default_configENS1_36segmented_radix_sort_config_selectorIdlEEZNS1_25segmented_radix_sort_implIS3_Lb0EPKdPdPKlPlN2at6native12_GLOBAL__N_18offset_tEEE10hipError_tPvRmT1_PNSt15iterator_traitsISK_E10value_typeET2_T3_PNSL_ISQ_E10value_typeET4_jRbjT5_SW_jjP12ihipStream_tbEUlT_E_NS1_11comp_targetILNS1_3genE8ELNS1_11target_archE1030ELNS1_3gpuE2ELNS1_3repE0EEENS1_30default_config_static_selectorELNS0_4arch9wavefront6targetE0EEEvSK_
; %bb.0:
	.section	.rodata,"a",@progbits
	.p2align	6, 0x0
	.amdhsa_kernel _ZN7rocprim17ROCPRIM_400000_NS6detail17trampoline_kernelINS0_14default_configENS1_36segmented_radix_sort_config_selectorIdlEEZNS1_25segmented_radix_sort_implIS3_Lb0EPKdPdPKlPlN2at6native12_GLOBAL__N_18offset_tEEE10hipError_tPvRmT1_PNSt15iterator_traitsISK_E10value_typeET2_T3_PNSL_ISQ_E10value_typeET4_jRbjT5_SW_jjP12ihipStream_tbEUlT_E_NS1_11comp_targetILNS1_3genE8ELNS1_11target_archE1030ELNS1_3gpuE2ELNS1_3repE0EEENS1_30default_config_static_selectorELNS0_4arch9wavefront6targetE0EEEvSK_
		.amdhsa_group_segment_fixed_size 0
		.amdhsa_private_segment_fixed_size 0
		.amdhsa_kernarg_size 96
		.amdhsa_user_sgpr_count 2
		.amdhsa_user_sgpr_dispatch_ptr 0
		.amdhsa_user_sgpr_queue_ptr 0
		.amdhsa_user_sgpr_kernarg_segment_ptr 1
		.amdhsa_user_sgpr_dispatch_id 0
		.amdhsa_user_sgpr_private_segment_size 0
		.amdhsa_wavefront_size32 1
		.amdhsa_uses_dynamic_stack 0
		.amdhsa_enable_private_segment 0
		.amdhsa_system_sgpr_workgroup_id_x 1
		.amdhsa_system_sgpr_workgroup_id_y 0
		.amdhsa_system_sgpr_workgroup_id_z 0
		.amdhsa_system_sgpr_workgroup_info 0
		.amdhsa_system_vgpr_workitem_id 0
		.amdhsa_next_free_vgpr 1
		.amdhsa_next_free_sgpr 1
		.amdhsa_reserve_vcc 0
		.amdhsa_float_round_mode_32 0
		.amdhsa_float_round_mode_16_64 0
		.amdhsa_float_denorm_mode_32 3
		.amdhsa_float_denorm_mode_16_64 3
		.amdhsa_fp16_overflow 0
		.amdhsa_workgroup_processor_mode 1
		.amdhsa_memory_ordered 1
		.amdhsa_forward_progress 1
		.amdhsa_inst_pref_size 0
		.amdhsa_round_robin_scheduling 0
		.amdhsa_exception_fp_ieee_invalid_op 0
		.amdhsa_exception_fp_denorm_src 0
		.amdhsa_exception_fp_ieee_div_zero 0
		.amdhsa_exception_fp_ieee_overflow 0
		.amdhsa_exception_fp_ieee_underflow 0
		.amdhsa_exception_fp_ieee_inexact 0
		.amdhsa_exception_int_div_zero 0
	.end_amdhsa_kernel
	.section	.text._ZN7rocprim17ROCPRIM_400000_NS6detail17trampoline_kernelINS0_14default_configENS1_36segmented_radix_sort_config_selectorIdlEEZNS1_25segmented_radix_sort_implIS3_Lb0EPKdPdPKlPlN2at6native12_GLOBAL__N_18offset_tEEE10hipError_tPvRmT1_PNSt15iterator_traitsISK_E10value_typeET2_T3_PNSL_ISQ_E10value_typeET4_jRbjT5_SW_jjP12ihipStream_tbEUlT_E_NS1_11comp_targetILNS1_3genE8ELNS1_11target_archE1030ELNS1_3gpuE2ELNS1_3repE0EEENS1_30default_config_static_selectorELNS0_4arch9wavefront6targetE0EEEvSK_,"axG",@progbits,_ZN7rocprim17ROCPRIM_400000_NS6detail17trampoline_kernelINS0_14default_configENS1_36segmented_radix_sort_config_selectorIdlEEZNS1_25segmented_radix_sort_implIS3_Lb0EPKdPdPKlPlN2at6native12_GLOBAL__N_18offset_tEEE10hipError_tPvRmT1_PNSt15iterator_traitsISK_E10value_typeET2_T3_PNSL_ISQ_E10value_typeET4_jRbjT5_SW_jjP12ihipStream_tbEUlT_E_NS1_11comp_targetILNS1_3genE8ELNS1_11target_archE1030ELNS1_3gpuE2ELNS1_3repE0EEENS1_30default_config_static_selectorELNS0_4arch9wavefront6targetE0EEEvSK_,comdat
.Lfunc_end1230:
	.size	_ZN7rocprim17ROCPRIM_400000_NS6detail17trampoline_kernelINS0_14default_configENS1_36segmented_radix_sort_config_selectorIdlEEZNS1_25segmented_radix_sort_implIS3_Lb0EPKdPdPKlPlN2at6native12_GLOBAL__N_18offset_tEEE10hipError_tPvRmT1_PNSt15iterator_traitsISK_E10value_typeET2_T3_PNSL_ISQ_E10value_typeET4_jRbjT5_SW_jjP12ihipStream_tbEUlT_E_NS1_11comp_targetILNS1_3genE8ELNS1_11target_archE1030ELNS1_3gpuE2ELNS1_3repE0EEENS1_30default_config_static_selectorELNS0_4arch9wavefront6targetE0EEEvSK_, .Lfunc_end1230-_ZN7rocprim17ROCPRIM_400000_NS6detail17trampoline_kernelINS0_14default_configENS1_36segmented_radix_sort_config_selectorIdlEEZNS1_25segmented_radix_sort_implIS3_Lb0EPKdPdPKlPlN2at6native12_GLOBAL__N_18offset_tEEE10hipError_tPvRmT1_PNSt15iterator_traitsISK_E10value_typeET2_T3_PNSL_ISQ_E10value_typeET4_jRbjT5_SW_jjP12ihipStream_tbEUlT_E_NS1_11comp_targetILNS1_3genE8ELNS1_11target_archE1030ELNS1_3gpuE2ELNS1_3repE0EEENS1_30default_config_static_selectorELNS0_4arch9wavefront6targetE0EEEvSK_
                                        ; -- End function
	.set _ZN7rocprim17ROCPRIM_400000_NS6detail17trampoline_kernelINS0_14default_configENS1_36segmented_radix_sort_config_selectorIdlEEZNS1_25segmented_radix_sort_implIS3_Lb0EPKdPdPKlPlN2at6native12_GLOBAL__N_18offset_tEEE10hipError_tPvRmT1_PNSt15iterator_traitsISK_E10value_typeET2_T3_PNSL_ISQ_E10value_typeET4_jRbjT5_SW_jjP12ihipStream_tbEUlT_E_NS1_11comp_targetILNS1_3genE8ELNS1_11target_archE1030ELNS1_3gpuE2ELNS1_3repE0EEENS1_30default_config_static_selectorELNS0_4arch9wavefront6targetE0EEEvSK_.num_vgpr, 0
	.set _ZN7rocprim17ROCPRIM_400000_NS6detail17trampoline_kernelINS0_14default_configENS1_36segmented_radix_sort_config_selectorIdlEEZNS1_25segmented_radix_sort_implIS3_Lb0EPKdPdPKlPlN2at6native12_GLOBAL__N_18offset_tEEE10hipError_tPvRmT1_PNSt15iterator_traitsISK_E10value_typeET2_T3_PNSL_ISQ_E10value_typeET4_jRbjT5_SW_jjP12ihipStream_tbEUlT_E_NS1_11comp_targetILNS1_3genE8ELNS1_11target_archE1030ELNS1_3gpuE2ELNS1_3repE0EEENS1_30default_config_static_selectorELNS0_4arch9wavefront6targetE0EEEvSK_.num_agpr, 0
	.set _ZN7rocprim17ROCPRIM_400000_NS6detail17trampoline_kernelINS0_14default_configENS1_36segmented_radix_sort_config_selectorIdlEEZNS1_25segmented_radix_sort_implIS3_Lb0EPKdPdPKlPlN2at6native12_GLOBAL__N_18offset_tEEE10hipError_tPvRmT1_PNSt15iterator_traitsISK_E10value_typeET2_T3_PNSL_ISQ_E10value_typeET4_jRbjT5_SW_jjP12ihipStream_tbEUlT_E_NS1_11comp_targetILNS1_3genE8ELNS1_11target_archE1030ELNS1_3gpuE2ELNS1_3repE0EEENS1_30default_config_static_selectorELNS0_4arch9wavefront6targetE0EEEvSK_.numbered_sgpr, 0
	.set _ZN7rocprim17ROCPRIM_400000_NS6detail17trampoline_kernelINS0_14default_configENS1_36segmented_radix_sort_config_selectorIdlEEZNS1_25segmented_radix_sort_implIS3_Lb0EPKdPdPKlPlN2at6native12_GLOBAL__N_18offset_tEEE10hipError_tPvRmT1_PNSt15iterator_traitsISK_E10value_typeET2_T3_PNSL_ISQ_E10value_typeET4_jRbjT5_SW_jjP12ihipStream_tbEUlT_E_NS1_11comp_targetILNS1_3genE8ELNS1_11target_archE1030ELNS1_3gpuE2ELNS1_3repE0EEENS1_30default_config_static_selectorELNS0_4arch9wavefront6targetE0EEEvSK_.num_named_barrier, 0
	.set _ZN7rocprim17ROCPRIM_400000_NS6detail17trampoline_kernelINS0_14default_configENS1_36segmented_radix_sort_config_selectorIdlEEZNS1_25segmented_radix_sort_implIS3_Lb0EPKdPdPKlPlN2at6native12_GLOBAL__N_18offset_tEEE10hipError_tPvRmT1_PNSt15iterator_traitsISK_E10value_typeET2_T3_PNSL_ISQ_E10value_typeET4_jRbjT5_SW_jjP12ihipStream_tbEUlT_E_NS1_11comp_targetILNS1_3genE8ELNS1_11target_archE1030ELNS1_3gpuE2ELNS1_3repE0EEENS1_30default_config_static_selectorELNS0_4arch9wavefront6targetE0EEEvSK_.private_seg_size, 0
	.set _ZN7rocprim17ROCPRIM_400000_NS6detail17trampoline_kernelINS0_14default_configENS1_36segmented_radix_sort_config_selectorIdlEEZNS1_25segmented_radix_sort_implIS3_Lb0EPKdPdPKlPlN2at6native12_GLOBAL__N_18offset_tEEE10hipError_tPvRmT1_PNSt15iterator_traitsISK_E10value_typeET2_T3_PNSL_ISQ_E10value_typeET4_jRbjT5_SW_jjP12ihipStream_tbEUlT_E_NS1_11comp_targetILNS1_3genE8ELNS1_11target_archE1030ELNS1_3gpuE2ELNS1_3repE0EEENS1_30default_config_static_selectorELNS0_4arch9wavefront6targetE0EEEvSK_.uses_vcc, 0
	.set _ZN7rocprim17ROCPRIM_400000_NS6detail17trampoline_kernelINS0_14default_configENS1_36segmented_radix_sort_config_selectorIdlEEZNS1_25segmented_radix_sort_implIS3_Lb0EPKdPdPKlPlN2at6native12_GLOBAL__N_18offset_tEEE10hipError_tPvRmT1_PNSt15iterator_traitsISK_E10value_typeET2_T3_PNSL_ISQ_E10value_typeET4_jRbjT5_SW_jjP12ihipStream_tbEUlT_E_NS1_11comp_targetILNS1_3genE8ELNS1_11target_archE1030ELNS1_3gpuE2ELNS1_3repE0EEENS1_30default_config_static_selectorELNS0_4arch9wavefront6targetE0EEEvSK_.uses_flat_scratch, 0
	.set _ZN7rocprim17ROCPRIM_400000_NS6detail17trampoline_kernelINS0_14default_configENS1_36segmented_radix_sort_config_selectorIdlEEZNS1_25segmented_radix_sort_implIS3_Lb0EPKdPdPKlPlN2at6native12_GLOBAL__N_18offset_tEEE10hipError_tPvRmT1_PNSt15iterator_traitsISK_E10value_typeET2_T3_PNSL_ISQ_E10value_typeET4_jRbjT5_SW_jjP12ihipStream_tbEUlT_E_NS1_11comp_targetILNS1_3genE8ELNS1_11target_archE1030ELNS1_3gpuE2ELNS1_3repE0EEENS1_30default_config_static_selectorELNS0_4arch9wavefront6targetE0EEEvSK_.has_dyn_sized_stack, 0
	.set _ZN7rocprim17ROCPRIM_400000_NS6detail17trampoline_kernelINS0_14default_configENS1_36segmented_radix_sort_config_selectorIdlEEZNS1_25segmented_radix_sort_implIS3_Lb0EPKdPdPKlPlN2at6native12_GLOBAL__N_18offset_tEEE10hipError_tPvRmT1_PNSt15iterator_traitsISK_E10value_typeET2_T3_PNSL_ISQ_E10value_typeET4_jRbjT5_SW_jjP12ihipStream_tbEUlT_E_NS1_11comp_targetILNS1_3genE8ELNS1_11target_archE1030ELNS1_3gpuE2ELNS1_3repE0EEENS1_30default_config_static_selectorELNS0_4arch9wavefront6targetE0EEEvSK_.has_recursion, 0
	.set _ZN7rocprim17ROCPRIM_400000_NS6detail17trampoline_kernelINS0_14default_configENS1_36segmented_radix_sort_config_selectorIdlEEZNS1_25segmented_radix_sort_implIS3_Lb0EPKdPdPKlPlN2at6native12_GLOBAL__N_18offset_tEEE10hipError_tPvRmT1_PNSt15iterator_traitsISK_E10value_typeET2_T3_PNSL_ISQ_E10value_typeET4_jRbjT5_SW_jjP12ihipStream_tbEUlT_E_NS1_11comp_targetILNS1_3genE8ELNS1_11target_archE1030ELNS1_3gpuE2ELNS1_3repE0EEENS1_30default_config_static_selectorELNS0_4arch9wavefront6targetE0EEEvSK_.has_indirect_call, 0
	.section	.AMDGPU.csdata,"",@progbits
; Kernel info:
; codeLenInByte = 0
; TotalNumSgprs: 0
; NumVgprs: 0
; ScratchSize: 0
; MemoryBound: 0
; FloatMode: 240
; IeeeMode: 1
; LDSByteSize: 0 bytes/workgroup (compile time only)
; SGPRBlocks: 0
; VGPRBlocks: 0
; NumSGPRsForWavesPerEU: 1
; NumVGPRsForWavesPerEU: 1
; Occupancy: 16
; WaveLimiterHint : 0
; COMPUTE_PGM_RSRC2:SCRATCH_EN: 0
; COMPUTE_PGM_RSRC2:USER_SGPR: 2
; COMPUTE_PGM_RSRC2:TRAP_HANDLER: 0
; COMPUTE_PGM_RSRC2:TGID_X_EN: 1
; COMPUTE_PGM_RSRC2:TGID_Y_EN: 0
; COMPUTE_PGM_RSRC2:TGID_Z_EN: 0
; COMPUTE_PGM_RSRC2:TIDIG_COMP_CNT: 0
	.section	.text._ZN7rocprim17ROCPRIM_400000_NS6detail17trampoline_kernelINS0_14default_configENS1_36segmented_radix_sort_config_selectorIdlEEZNS1_25segmented_radix_sort_implIS3_Lb0EPKdPdPKlPlN2at6native12_GLOBAL__N_18offset_tEEE10hipError_tPvRmT1_PNSt15iterator_traitsISK_E10value_typeET2_T3_PNSL_ISQ_E10value_typeET4_jRbjT5_SW_jjP12ihipStream_tbEUlT_E0_NS1_11comp_targetILNS1_3genE0ELNS1_11target_archE4294967295ELNS1_3gpuE0ELNS1_3repE0EEENS1_60segmented_radix_sort_warp_sort_medium_config_static_selectorELNS0_4arch9wavefront6targetE0EEEvSK_,"axG",@progbits,_ZN7rocprim17ROCPRIM_400000_NS6detail17trampoline_kernelINS0_14default_configENS1_36segmented_radix_sort_config_selectorIdlEEZNS1_25segmented_radix_sort_implIS3_Lb0EPKdPdPKlPlN2at6native12_GLOBAL__N_18offset_tEEE10hipError_tPvRmT1_PNSt15iterator_traitsISK_E10value_typeET2_T3_PNSL_ISQ_E10value_typeET4_jRbjT5_SW_jjP12ihipStream_tbEUlT_E0_NS1_11comp_targetILNS1_3genE0ELNS1_11target_archE4294967295ELNS1_3gpuE0ELNS1_3repE0EEENS1_60segmented_radix_sort_warp_sort_medium_config_static_selectorELNS0_4arch9wavefront6targetE0EEEvSK_,comdat
	.globl	_ZN7rocprim17ROCPRIM_400000_NS6detail17trampoline_kernelINS0_14default_configENS1_36segmented_radix_sort_config_selectorIdlEEZNS1_25segmented_radix_sort_implIS3_Lb0EPKdPdPKlPlN2at6native12_GLOBAL__N_18offset_tEEE10hipError_tPvRmT1_PNSt15iterator_traitsISK_E10value_typeET2_T3_PNSL_ISQ_E10value_typeET4_jRbjT5_SW_jjP12ihipStream_tbEUlT_E0_NS1_11comp_targetILNS1_3genE0ELNS1_11target_archE4294967295ELNS1_3gpuE0ELNS1_3repE0EEENS1_60segmented_radix_sort_warp_sort_medium_config_static_selectorELNS0_4arch9wavefront6targetE0EEEvSK_ ; -- Begin function _ZN7rocprim17ROCPRIM_400000_NS6detail17trampoline_kernelINS0_14default_configENS1_36segmented_radix_sort_config_selectorIdlEEZNS1_25segmented_radix_sort_implIS3_Lb0EPKdPdPKlPlN2at6native12_GLOBAL__N_18offset_tEEE10hipError_tPvRmT1_PNSt15iterator_traitsISK_E10value_typeET2_T3_PNSL_ISQ_E10value_typeET4_jRbjT5_SW_jjP12ihipStream_tbEUlT_E0_NS1_11comp_targetILNS1_3genE0ELNS1_11target_archE4294967295ELNS1_3gpuE0ELNS1_3repE0EEENS1_60segmented_radix_sort_warp_sort_medium_config_static_selectorELNS0_4arch9wavefront6targetE0EEEvSK_
	.p2align	8
	.type	_ZN7rocprim17ROCPRIM_400000_NS6detail17trampoline_kernelINS0_14default_configENS1_36segmented_radix_sort_config_selectorIdlEEZNS1_25segmented_radix_sort_implIS3_Lb0EPKdPdPKlPlN2at6native12_GLOBAL__N_18offset_tEEE10hipError_tPvRmT1_PNSt15iterator_traitsISK_E10value_typeET2_T3_PNSL_ISQ_E10value_typeET4_jRbjT5_SW_jjP12ihipStream_tbEUlT_E0_NS1_11comp_targetILNS1_3genE0ELNS1_11target_archE4294967295ELNS1_3gpuE0ELNS1_3repE0EEENS1_60segmented_radix_sort_warp_sort_medium_config_static_selectorELNS0_4arch9wavefront6targetE0EEEvSK_,@function
_ZN7rocprim17ROCPRIM_400000_NS6detail17trampoline_kernelINS0_14default_configENS1_36segmented_radix_sort_config_selectorIdlEEZNS1_25segmented_radix_sort_implIS3_Lb0EPKdPdPKlPlN2at6native12_GLOBAL__N_18offset_tEEE10hipError_tPvRmT1_PNSt15iterator_traitsISK_E10value_typeET2_T3_PNSL_ISQ_E10value_typeET4_jRbjT5_SW_jjP12ihipStream_tbEUlT_E0_NS1_11comp_targetILNS1_3genE0ELNS1_11target_archE4294967295ELNS1_3gpuE0ELNS1_3repE0EEENS1_60segmented_radix_sort_warp_sort_medium_config_static_selectorELNS0_4arch9wavefront6targetE0EEEvSK_: ; @_ZN7rocprim17ROCPRIM_400000_NS6detail17trampoline_kernelINS0_14default_configENS1_36segmented_radix_sort_config_selectorIdlEEZNS1_25segmented_radix_sort_implIS3_Lb0EPKdPdPKlPlN2at6native12_GLOBAL__N_18offset_tEEE10hipError_tPvRmT1_PNSt15iterator_traitsISK_E10value_typeET2_T3_PNSL_ISQ_E10value_typeET4_jRbjT5_SW_jjP12ihipStream_tbEUlT_E0_NS1_11comp_targetILNS1_3genE0ELNS1_11target_archE4294967295ELNS1_3gpuE0ELNS1_3repE0EEENS1_60segmented_radix_sort_warp_sort_medium_config_static_selectorELNS0_4arch9wavefront6targetE0EEEvSK_
; %bb.0:
	.section	.rodata,"a",@progbits
	.p2align	6, 0x0
	.amdhsa_kernel _ZN7rocprim17ROCPRIM_400000_NS6detail17trampoline_kernelINS0_14default_configENS1_36segmented_radix_sort_config_selectorIdlEEZNS1_25segmented_radix_sort_implIS3_Lb0EPKdPdPKlPlN2at6native12_GLOBAL__N_18offset_tEEE10hipError_tPvRmT1_PNSt15iterator_traitsISK_E10value_typeET2_T3_PNSL_ISQ_E10value_typeET4_jRbjT5_SW_jjP12ihipStream_tbEUlT_E0_NS1_11comp_targetILNS1_3genE0ELNS1_11target_archE4294967295ELNS1_3gpuE0ELNS1_3repE0EEENS1_60segmented_radix_sort_warp_sort_medium_config_static_selectorELNS0_4arch9wavefront6targetE0EEEvSK_
		.amdhsa_group_segment_fixed_size 0
		.amdhsa_private_segment_fixed_size 0
		.amdhsa_kernarg_size 88
		.amdhsa_user_sgpr_count 2
		.amdhsa_user_sgpr_dispatch_ptr 0
		.amdhsa_user_sgpr_queue_ptr 0
		.amdhsa_user_sgpr_kernarg_segment_ptr 1
		.amdhsa_user_sgpr_dispatch_id 0
		.amdhsa_user_sgpr_private_segment_size 0
		.amdhsa_wavefront_size32 1
		.amdhsa_uses_dynamic_stack 0
		.amdhsa_enable_private_segment 0
		.amdhsa_system_sgpr_workgroup_id_x 1
		.amdhsa_system_sgpr_workgroup_id_y 0
		.amdhsa_system_sgpr_workgroup_id_z 0
		.amdhsa_system_sgpr_workgroup_info 0
		.amdhsa_system_vgpr_workitem_id 0
		.amdhsa_next_free_vgpr 1
		.amdhsa_next_free_sgpr 1
		.amdhsa_reserve_vcc 0
		.amdhsa_float_round_mode_32 0
		.amdhsa_float_round_mode_16_64 0
		.amdhsa_float_denorm_mode_32 3
		.amdhsa_float_denorm_mode_16_64 3
		.amdhsa_fp16_overflow 0
		.amdhsa_workgroup_processor_mode 1
		.amdhsa_memory_ordered 1
		.amdhsa_forward_progress 1
		.amdhsa_inst_pref_size 0
		.amdhsa_round_robin_scheduling 0
		.amdhsa_exception_fp_ieee_invalid_op 0
		.amdhsa_exception_fp_denorm_src 0
		.amdhsa_exception_fp_ieee_div_zero 0
		.amdhsa_exception_fp_ieee_overflow 0
		.amdhsa_exception_fp_ieee_underflow 0
		.amdhsa_exception_fp_ieee_inexact 0
		.amdhsa_exception_int_div_zero 0
	.end_amdhsa_kernel
	.section	.text._ZN7rocprim17ROCPRIM_400000_NS6detail17trampoline_kernelINS0_14default_configENS1_36segmented_radix_sort_config_selectorIdlEEZNS1_25segmented_radix_sort_implIS3_Lb0EPKdPdPKlPlN2at6native12_GLOBAL__N_18offset_tEEE10hipError_tPvRmT1_PNSt15iterator_traitsISK_E10value_typeET2_T3_PNSL_ISQ_E10value_typeET4_jRbjT5_SW_jjP12ihipStream_tbEUlT_E0_NS1_11comp_targetILNS1_3genE0ELNS1_11target_archE4294967295ELNS1_3gpuE0ELNS1_3repE0EEENS1_60segmented_radix_sort_warp_sort_medium_config_static_selectorELNS0_4arch9wavefront6targetE0EEEvSK_,"axG",@progbits,_ZN7rocprim17ROCPRIM_400000_NS6detail17trampoline_kernelINS0_14default_configENS1_36segmented_radix_sort_config_selectorIdlEEZNS1_25segmented_radix_sort_implIS3_Lb0EPKdPdPKlPlN2at6native12_GLOBAL__N_18offset_tEEE10hipError_tPvRmT1_PNSt15iterator_traitsISK_E10value_typeET2_T3_PNSL_ISQ_E10value_typeET4_jRbjT5_SW_jjP12ihipStream_tbEUlT_E0_NS1_11comp_targetILNS1_3genE0ELNS1_11target_archE4294967295ELNS1_3gpuE0ELNS1_3repE0EEENS1_60segmented_radix_sort_warp_sort_medium_config_static_selectorELNS0_4arch9wavefront6targetE0EEEvSK_,comdat
.Lfunc_end1231:
	.size	_ZN7rocprim17ROCPRIM_400000_NS6detail17trampoline_kernelINS0_14default_configENS1_36segmented_radix_sort_config_selectorIdlEEZNS1_25segmented_radix_sort_implIS3_Lb0EPKdPdPKlPlN2at6native12_GLOBAL__N_18offset_tEEE10hipError_tPvRmT1_PNSt15iterator_traitsISK_E10value_typeET2_T3_PNSL_ISQ_E10value_typeET4_jRbjT5_SW_jjP12ihipStream_tbEUlT_E0_NS1_11comp_targetILNS1_3genE0ELNS1_11target_archE4294967295ELNS1_3gpuE0ELNS1_3repE0EEENS1_60segmented_radix_sort_warp_sort_medium_config_static_selectorELNS0_4arch9wavefront6targetE0EEEvSK_, .Lfunc_end1231-_ZN7rocprim17ROCPRIM_400000_NS6detail17trampoline_kernelINS0_14default_configENS1_36segmented_radix_sort_config_selectorIdlEEZNS1_25segmented_radix_sort_implIS3_Lb0EPKdPdPKlPlN2at6native12_GLOBAL__N_18offset_tEEE10hipError_tPvRmT1_PNSt15iterator_traitsISK_E10value_typeET2_T3_PNSL_ISQ_E10value_typeET4_jRbjT5_SW_jjP12ihipStream_tbEUlT_E0_NS1_11comp_targetILNS1_3genE0ELNS1_11target_archE4294967295ELNS1_3gpuE0ELNS1_3repE0EEENS1_60segmented_radix_sort_warp_sort_medium_config_static_selectorELNS0_4arch9wavefront6targetE0EEEvSK_
                                        ; -- End function
	.set _ZN7rocprim17ROCPRIM_400000_NS6detail17trampoline_kernelINS0_14default_configENS1_36segmented_radix_sort_config_selectorIdlEEZNS1_25segmented_radix_sort_implIS3_Lb0EPKdPdPKlPlN2at6native12_GLOBAL__N_18offset_tEEE10hipError_tPvRmT1_PNSt15iterator_traitsISK_E10value_typeET2_T3_PNSL_ISQ_E10value_typeET4_jRbjT5_SW_jjP12ihipStream_tbEUlT_E0_NS1_11comp_targetILNS1_3genE0ELNS1_11target_archE4294967295ELNS1_3gpuE0ELNS1_3repE0EEENS1_60segmented_radix_sort_warp_sort_medium_config_static_selectorELNS0_4arch9wavefront6targetE0EEEvSK_.num_vgpr, 0
	.set _ZN7rocprim17ROCPRIM_400000_NS6detail17trampoline_kernelINS0_14default_configENS1_36segmented_radix_sort_config_selectorIdlEEZNS1_25segmented_radix_sort_implIS3_Lb0EPKdPdPKlPlN2at6native12_GLOBAL__N_18offset_tEEE10hipError_tPvRmT1_PNSt15iterator_traitsISK_E10value_typeET2_T3_PNSL_ISQ_E10value_typeET4_jRbjT5_SW_jjP12ihipStream_tbEUlT_E0_NS1_11comp_targetILNS1_3genE0ELNS1_11target_archE4294967295ELNS1_3gpuE0ELNS1_3repE0EEENS1_60segmented_radix_sort_warp_sort_medium_config_static_selectorELNS0_4arch9wavefront6targetE0EEEvSK_.num_agpr, 0
	.set _ZN7rocprim17ROCPRIM_400000_NS6detail17trampoline_kernelINS0_14default_configENS1_36segmented_radix_sort_config_selectorIdlEEZNS1_25segmented_radix_sort_implIS3_Lb0EPKdPdPKlPlN2at6native12_GLOBAL__N_18offset_tEEE10hipError_tPvRmT1_PNSt15iterator_traitsISK_E10value_typeET2_T3_PNSL_ISQ_E10value_typeET4_jRbjT5_SW_jjP12ihipStream_tbEUlT_E0_NS1_11comp_targetILNS1_3genE0ELNS1_11target_archE4294967295ELNS1_3gpuE0ELNS1_3repE0EEENS1_60segmented_radix_sort_warp_sort_medium_config_static_selectorELNS0_4arch9wavefront6targetE0EEEvSK_.numbered_sgpr, 0
	.set _ZN7rocprim17ROCPRIM_400000_NS6detail17trampoline_kernelINS0_14default_configENS1_36segmented_radix_sort_config_selectorIdlEEZNS1_25segmented_radix_sort_implIS3_Lb0EPKdPdPKlPlN2at6native12_GLOBAL__N_18offset_tEEE10hipError_tPvRmT1_PNSt15iterator_traitsISK_E10value_typeET2_T3_PNSL_ISQ_E10value_typeET4_jRbjT5_SW_jjP12ihipStream_tbEUlT_E0_NS1_11comp_targetILNS1_3genE0ELNS1_11target_archE4294967295ELNS1_3gpuE0ELNS1_3repE0EEENS1_60segmented_radix_sort_warp_sort_medium_config_static_selectorELNS0_4arch9wavefront6targetE0EEEvSK_.num_named_barrier, 0
	.set _ZN7rocprim17ROCPRIM_400000_NS6detail17trampoline_kernelINS0_14default_configENS1_36segmented_radix_sort_config_selectorIdlEEZNS1_25segmented_radix_sort_implIS3_Lb0EPKdPdPKlPlN2at6native12_GLOBAL__N_18offset_tEEE10hipError_tPvRmT1_PNSt15iterator_traitsISK_E10value_typeET2_T3_PNSL_ISQ_E10value_typeET4_jRbjT5_SW_jjP12ihipStream_tbEUlT_E0_NS1_11comp_targetILNS1_3genE0ELNS1_11target_archE4294967295ELNS1_3gpuE0ELNS1_3repE0EEENS1_60segmented_radix_sort_warp_sort_medium_config_static_selectorELNS0_4arch9wavefront6targetE0EEEvSK_.private_seg_size, 0
	.set _ZN7rocprim17ROCPRIM_400000_NS6detail17trampoline_kernelINS0_14default_configENS1_36segmented_radix_sort_config_selectorIdlEEZNS1_25segmented_radix_sort_implIS3_Lb0EPKdPdPKlPlN2at6native12_GLOBAL__N_18offset_tEEE10hipError_tPvRmT1_PNSt15iterator_traitsISK_E10value_typeET2_T3_PNSL_ISQ_E10value_typeET4_jRbjT5_SW_jjP12ihipStream_tbEUlT_E0_NS1_11comp_targetILNS1_3genE0ELNS1_11target_archE4294967295ELNS1_3gpuE0ELNS1_3repE0EEENS1_60segmented_radix_sort_warp_sort_medium_config_static_selectorELNS0_4arch9wavefront6targetE0EEEvSK_.uses_vcc, 0
	.set _ZN7rocprim17ROCPRIM_400000_NS6detail17trampoline_kernelINS0_14default_configENS1_36segmented_radix_sort_config_selectorIdlEEZNS1_25segmented_radix_sort_implIS3_Lb0EPKdPdPKlPlN2at6native12_GLOBAL__N_18offset_tEEE10hipError_tPvRmT1_PNSt15iterator_traitsISK_E10value_typeET2_T3_PNSL_ISQ_E10value_typeET4_jRbjT5_SW_jjP12ihipStream_tbEUlT_E0_NS1_11comp_targetILNS1_3genE0ELNS1_11target_archE4294967295ELNS1_3gpuE0ELNS1_3repE0EEENS1_60segmented_radix_sort_warp_sort_medium_config_static_selectorELNS0_4arch9wavefront6targetE0EEEvSK_.uses_flat_scratch, 0
	.set _ZN7rocprim17ROCPRIM_400000_NS6detail17trampoline_kernelINS0_14default_configENS1_36segmented_radix_sort_config_selectorIdlEEZNS1_25segmented_radix_sort_implIS3_Lb0EPKdPdPKlPlN2at6native12_GLOBAL__N_18offset_tEEE10hipError_tPvRmT1_PNSt15iterator_traitsISK_E10value_typeET2_T3_PNSL_ISQ_E10value_typeET4_jRbjT5_SW_jjP12ihipStream_tbEUlT_E0_NS1_11comp_targetILNS1_3genE0ELNS1_11target_archE4294967295ELNS1_3gpuE0ELNS1_3repE0EEENS1_60segmented_radix_sort_warp_sort_medium_config_static_selectorELNS0_4arch9wavefront6targetE0EEEvSK_.has_dyn_sized_stack, 0
	.set _ZN7rocprim17ROCPRIM_400000_NS6detail17trampoline_kernelINS0_14default_configENS1_36segmented_radix_sort_config_selectorIdlEEZNS1_25segmented_radix_sort_implIS3_Lb0EPKdPdPKlPlN2at6native12_GLOBAL__N_18offset_tEEE10hipError_tPvRmT1_PNSt15iterator_traitsISK_E10value_typeET2_T3_PNSL_ISQ_E10value_typeET4_jRbjT5_SW_jjP12ihipStream_tbEUlT_E0_NS1_11comp_targetILNS1_3genE0ELNS1_11target_archE4294967295ELNS1_3gpuE0ELNS1_3repE0EEENS1_60segmented_radix_sort_warp_sort_medium_config_static_selectorELNS0_4arch9wavefront6targetE0EEEvSK_.has_recursion, 0
	.set _ZN7rocprim17ROCPRIM_400000_NS6detail17trampoline_kernelINS0_14default_configENS1_36segmented_radix_sort_config_selectorIdlEEZNS1_25segmented_radix_sort_implIS3_Lb0EPKdPdPKlPlN2at6native12_GLOBAL__N_18offset_tEEE10hipError_tPvRmT1_PNSt15iterator_traitsISK_E10value_typeET2_T3_PNSL_ISQ_E10value_typeET4_jRbjT5_SW_jjP12ihipStream_tbEUlT_E0_NS1_11comp_targetILNS1_3genE0ELNS1_11target_archE4294967295ELNS1_3gpuE0ELNS1_3repE0EEENS1_60segmented_radix_sort_warp_sort_medium_config_static_selectorELNS0_4arch9wavefront6targetE0EEEvSK_.has_indirect_call, 0
	.section	.AMDGPU.csdata,"",@progbits
; Kernel info:
; codeLenInByte = 0
; TotalNumSgprs: 0
; NumVgprs: 0
; ScratchSize: 0
; MemoryBound: 0
; FloatMode: 240
; IeeeMode: 1
; LDSByteSize: 0 bytes/workgroup (compile time only)
; SGPRBlocks: 0
; VGPRBlocks: 0
; NumSGPRsForWavesPerEU: 1
; NumVGPRsForWavesPerEU: 1
; Occupancy: 16
; WaveLimiterHint : 0
; COMPUTE_PGM_RSRC2:SCRATCH_EN: 0
; COMPUTE_PGM_RSRC2:USER_SGPR: 2
; COMPUTE_PGM_RSRC2:TRAP_HANDLER: 0
; COMPUTE_PGM_RSRC2:TGID_X_EN: 1
; COMPUTE_PGM_RSRC2:TGID_Y_EN: 0
; COMPUTE_PGM_RSRC2:TGID_Z_EN: 0
; COMPUTE_PGM_RSRC2:TIDIG_COMP_CNT: 0
	.section	.text._ZN7rocprim17ROCPRIM_400000_NS6detail17trampoline_kernelINS0_14default_configENS1_36segmented_radix_sort_config_selectorIdlEEZNS1_25segmented_radix_sort_implIS3_Lb0EPKdPdPKlPlN2at6native12_GLOBAL__N_18offset_tEEE10hipError_tPvRmT1_PNSt15iterator_traitsISK_E10value_typeET2_T3_PNSL_ISQ_E10value_typeET4_jRbjT5_SW_jjP12ihipStream_tbEUlT_E0_NS1_11comp_targetILNS1_3genE5ELNS1_11target_archE942ELNS1_3gpuE9ELNS1_3repE0EEENS1_60segmented_radix_sort_warp_sort_medium_config_static_selectorELNS0_4arch9wavefront6targetE0EEEvSK_,"axG",@progbits,_ZN7rocprim17ROCPRIM_400000_NS6detail17trampoline_kernelINS0_14default_configENS1_36segmented_radix_sort_config_selectorIdlEEZNS1_25segmented_radix_sort_implIS3_Lb0EPKdPdPKlPlN2at6native12_GLOBAL__N_18offset_tEEE10hipError_tPvRmT1_PNSt15iterator_traitsISK_E10value_typeET2_T3_PNSL_ISQ_E10value_typeET4_jRbjT5_SW_jjP12ihipStream_tbEUlT_E0_NS1_11comp_targetILNS1_3genE5ELNS1_11target_archE942ELNS1_3gpuE9ELNS1_3repE0EEENS1_60segmented_radix_sort_warp_sort_medium_config_static_selectorELNS0_4arch9wavefront6targetE0EEEvSK_,comdat
	.globl	_ZN7rocprim17ROCPRIM_400000_NS6detail17trampoline_kernelINS0_14default_configENS1_36segmented_radix_sort_config_selectorIdlEEZNS1_25segmented_radix_sort_implIS3_Lb0EPKdPdPKlPlN2at6native12_GLOBAL__N_18offset_tEEE10hipError_tPvRmT1_PNSt15iterator_traitsISK_E10value_typeET2_T3_PNSL_ISQ_E10value_typeET4_jRbjT5_SW_jjP12ihipStream_tbEUlT_E0_NS1_11comp_targetILNS1_3genE5ELNS1_11target_archE942ELNS1_3gpuE9ELNS1_3repE0EEENS1_60segmented_radix_sort_warp_sort_medium_config_static_selectorELNS0_4arch9wavefront6targetE0EEEvSK_ ; -- Begin function _ZN7rocprim17ROCPRIM_400000_NS6detail17trampoline_kernelINS0_14default_configENS1_36segmented_radix_sort_config_selectorIdlEEZNS1_25segmented_radix_sort_implIS3_Lb0EPKdPdPKlPlN2at6native12_GLOBAL__N_18offset_tEEE10hipError_tPvRmT1_PNSt15iterator_traitsISK_E10value_typeET2_T3_PNSL_ISQ_E10value_typeET4_jRbjT5_SW_jjP12ihipStream_tbEUlT_E0_NS1_11comp_targetILNS1_3genE5ELNS1_11target_archE942ELNS1_3gpuE9ELNS1_3repE0EEENS1_60segmented_radix_sort_warp_sort_medium_config_static_selectorELNS0_4arch9wavefront6targetE0EEEvSK_
	.p2align	8
	.type	_ZN7rocprim17ROCPRIM_400000_NS6detail17trampoline_kernelINS0_14default_configENS1_36segmented_radix_sort_config_selectorIdlEEZNS1_25segmented_radix_sort_implIS3_Lb0EPKdPdPKlPlN2at6native12_GLOBAL__N_18offset_tEEE10hipError_tPvRmT1_PNSt15iterator_traitsISK_E10value_typeET2_T3_PNSL_ISQ_E10value_typeET4_jRbjT5_SW_jjP12ihipStream_tbEUlT_E0_NS1_11comp_targetILNS1_3genE5ELNS1_11target_archE942ELNS1_3gpuE9ELNS1_3repE0EEENS1_60segmented_radix_sort_warp_sort_medium_config_static_selectorELNS0_4arch9wavefront6targetE0EEEvSK_,@function
_ZN7rocprim17ROCPRIM_400000_NS6detail17trampoline_kernelINS0_14default_configENS1_36segmented_radix_sort_config_selectorIdlEEZNS1_25segmented_radix_sort_implIS3_Lb0EPKdPdPKlPlN2at6native12_GLOBAL__N_18offset_tEEE10hipError_tPvRmT1_PNSt15iterator_traitsISK_E10value_typeET2_T3_PNSL_ISQ_E10value_typeET4_jRbjT5_SW_jjP12ihipStream_tbEUlT_E0_NS1_11comp_targetILNS1_3genE5ELNS1_11target_archE942ELNS1_3gpuE9ELNS1_3repE0EEENS1_60segmented_radix_sort_warp_sort_medium_config_static_selectorELNS0_4arch9wavefront6targetE0EEEvSK_: ; @_ZN7rocprim17ROCPRIM_400000_NS6detail17trampoline_kernelINS0_14default_configENS1_36segmented_radix_sort_config_selectorIdlEEZNS1_25segmented_radix_sort_implIS3_Lb0EPKdPdPKlPlN2at6native12_GLOBAL__N_18offset_tEEE10hipError_tPvRmT1_PNSt15iterator_traitsISK_E10value_typeET2_T3_PNSL_ISQ_E10value_typeET4_jRbjT5_SW_jjP12ihipStream_tbEUlT_E0_NS1_11comp_targetILNS1_3genE5ELNS1_11target_archE942ELNS1_3gpuE9ELNS1_3repE0EEENS1_60segmented_radix_sort_warp_sort_medium_config_static_selectorELNS0_4arch9wavefront6targetE0EEEvSK_
; %bb.0:
	.section	.rodata,"a",@progbits
	.p2align	6, 0x0
	.amdhsa_kernel _ZN7rocprim17ROCPRIM_400000_NS6detail17trampoline_kernelINS0_14default_configENS1_36segmented_radix_sort_config_selectorIdlEEZNS1_25segmented_radix_sort_implIS3_Lb0EPKdPdPKlPlN2at6native12_GLOBAL__N_18offset_tEEE10hipError_tPvRmT1_PNSt15iterator_traitsISK_E10value_typeET2_T3_PNSL_ISQ_E10value_typeET4_jRbjT5_SW_jjP12ihipStream_tbEUlT_E0_NS1_11comp_targetILNS1_3genE5ELNS1_11target_archE942ELNS1_3gpuE9ELNS1_3repE0EEENS1_60segmented_radix_sort_warp_sort_medium_config_static_selectorELNS0_4arch9wavefront6targetE0EEEvSK_
		.amdhsa_group_segment_fixed_size 0
		.amdhsa_private_segment_fixed_size 0
		.amdhsa_kernarg_size 88
		.amdhsa_user_sgpr_count 2
		.amdhsa_user_sgpr_dispatch_ptr 0
		.amdhsa_user_sgpr_queue_ptr 0
		.amdhsa_user_sgpr_kernarg_segment_ptr 1
		.amdhsa_user_sgpr_dispatch_id 0
		.amdhsa_user_sgpr_private_segment_size 0
		.amdhsa_wavefront_size32 1
		.amdhsa_uses_dynamic_stack 0
		.amdhsa_enable_private_segment 0
		.amdhsa_system_sgpr_workgroup_id_x 1
		.amdhsa_system_sgpr_workgroup_id_y 0
		.amdhsa_system_sgpr_workgroup_id_z 0
		.amdhsa_system_sgpr_workgroup_info 0
		.amdhsa_system_vgpr_workitem_id 0
		.amdhsa_next_free_vgpr 1
		.amdhsa_next_free_sgpr 1
		.amdhsa_reserve_vcc 0
		.amdhsa_float_round_mode_32 0
		.amdhsa_float_round_mode_16_64 0
		.amdhsa_float_denorm_mode_32 3
		.amdhsa_float_denorm_mode_16_64 3
		.amdhsa_fp16_overflow 0
		.amdhsa_workgroup_processor_mode 1
		.amdhsa_memory_ordered 1
		.amdhsa_forward_progress 1
		.amdhsa_inst_pref_size 0
		.amdhsa_round_robin_scheduling 0
		.amdhsa_exception_fp_ieee_invalid_op 0
		.amdhsa_exception_fp_denorm_src 0
		.amdhsa_exception_fp_ieee_div_zero 0
		.amdhsa_exception_fp_ieee_overflow 0
		.amdhsa_exception_fp_ieee_underflow 0
		.amdhsa_exception_fp_ieee_inexact 0
		.amdhsa_exception_int_div_zero 0
	.end_amdhsa_kernel
	.section	.text._ZN7rocprim17ROCPRIM_400000_NS6detail17trampoline_kernelINS0_14default_configENS1_36segmented_radix_sort_config_selectorIdlEEZNS1_25segmented_radix_sort_implIS3_Lb0EPKdPdPKlPlN2at6native12_GLOBAL__N_18offset_tEEE10hipError_tPvRmT1_PNSt15iterator_traitsISK_E10value_typeET2_T3_PNSL_ISQ_E10value_typeET4_jRbjT5_SW_jjP12ihipStream_tbEUlT_E0_NS1_11comp_targetILNS1_3genE5ELNS1_11target_archE942ELNS1_3gpuE9ELNS1_3repE0EEENS1_60segmented_radix_sort_warp_sort_medium_config_static_selectorELNS0_4arch9wavefront6targetE0EEEvSK_,"axG",@progbits,_ZN7rocprim17ROCPRIM_400000_NS6detail17trampoline_kernelINS0_14default_configENS1_36segmented_radix_sort_config_selectorIdlEEZNS1_25segmented_radix_sort_implIS3_Lb0EPKdPdPKlPlN2at6native12_GLOBAL__N_18offset_tEEE10hipError_tPvRmT1_PNSt15iterator_traitsISK_E10value_typeET2_T3_PNSL_ISQ_E10value_typeET4_jRbjT5_SW_jjP12ihipStream_tbEUlT_E0_NS1_11comp_targetILNS1_3genE5ELNS1_11target_archE942ELNS1_3gpuE9ELNS1_3repE0EEENS1_60segmented_radix_sort_warp_sort_medium_config_static_selectorELNS0_4arch9wavefront6targetE0EEEvSK_,comdat
.Lfunc_end1232:
	.size	_ZN7rocprim17ROCPRIM_400000_NS6detail17trampoline_kernelINS0_14default_configENS1_36segmented_radix_sort_config_selectorIdlEEZNS1_25segmented_radix_sort_implIS3_Lb0EPKdPdPKlPlN2at6native12_GLOBAL__N_18offset_tEEE10hipError_tPvRmT1_PNSt15iterator_traitsISK_E10value_typeET2_T3_PNSL_ISQ_E10value_typeET4_jRbjT5_SW_jjP12ihipStream_tbEUlT_E0_NS1_11comp_targetILNS1_3genE5ELNS1_11target_archE942ELNS1_3gpuE9ELNS1_3repE0EEENS1_60segmented_radix_sort_warp_sort_medium_config_static_selectorELNS0_4arch9wavefront6targetE0EEEvSK_, .Lfunc_end1232-_ZN7rocprim17ROCPRIM_400000_NS6detail17trampoline_kernelINS0_14default_configENS1_36segmented_radix_sort_config_selectorIdlEEZNS1_25segmented_radix_sort_implIS3_Lb0EPKdPdPKlPlN2at6native12_GLOBAL__N_18offset_tEEE10hipError_tPvRmT1_PNSt15iterator_traitsISK_E10value_typeET2_T3_PNSL_ISQ_E10value_typeET4_jRbjT5_SW_jjP12ihipStream_tbEUlT_E0_NS1_11comp_targetILNS1_3genE5ELNS1_11target_archE942ELNS1_3gpuE9ELNS1_3repE0EEENS1_60segmented_radix_sort_warp_sort_medium_config_static_selectorELNS0_4arch9wavefront6targetE0EEEvSK_
                                        ; -- End function
	.set _ZN7rocprim17ROCPRIM_400000_NS6detail17trampoline_kernelINS0_14default_configENS1_36segmented_radix_sort_config_selectorIdlEEZNS1_25segmented_radix_sort_implIS3_Lb0EPKdPdPKlPlN2at6native12_GLOBAL__N_18offset_tEEE10hipError_tPvRmT1_PNSt15iterator_traitsISK_E10value_typeET2_T3_PNSL_ISQ_E10value_typeET4_jRbjT5_SW_jjP12ihipStream_tbEUlT_E0_NS1_11comp_targetILNS1_3genE5ELNS1_11target_archE942ELNS1_3gpuE9ELNS1_3repE0EEENS1_60segmented_radix_sort_warp_sort_medium_config_static_selectorELNS0_4arch9wavefront6targetE0EEEvSK_.num_vgpr, 0
	.set _ZN7rocprim17ROCPRIM_400000_NS6detail17trampoline_kernelINS0_14default_configENS1_36segmented_radix_sort_config_selectorIdlEEZNS1_25segmented_radix_sort_implIS3_Lb0EPKdPdPKlPlN2at6native12_GLOBAL__N_18offset_tEEE10hipError_tPvRmT1_PNSt15iterator_traitsISK_E10value_typeET2_T3_PNSL_ISQ_E10value_typeET4_jRbjT5_SW_jjP12ihipStream_tbEUlT_E0_NS1_11comp_targetILNS1_3genE5ELNS1_11target_archE942ELNS1_3gpuE9ELNS1_3repE0EEENS1_60segmented_radix_sort_warp_sort_medium_config_static_selectorELNS0_4arch9wavefront6targetE0EEEvSK_.num_agpr, 0
	.set _ZN7rocprim17ROCPRIM_400000_NS6detail17trampoline_kernelINS0_14default_configENS1_36segmented_radix_sort_config_selectorIdlEEZNS1_25segmented_radix_sort_implIS3_Lb0EPKdPdPKlPlN2at6native12_GLOBAL__N_18offset_tEEE10hipError_tPvRmT1_PNSt15iterator_traitsISK_E10value_typeET2_T3_PNSL_ISQ_E10value_typeET4_jRbjT5_SW_jjP12ihipStream_tbEUlT_E0_NS1_11comp_targetILNS1_3genE5ELNS1_11target_archE942ELNS1_3gpuE9ELNS1_3repE0EEENS1_60segmented_radix_sort_warp_sort_medium_config_static_selectorELNS0_4arch9wavefront6targetE0EEEvSK_.numbered_sgpr, 0
	.set _ZN7rocprim17ROCPRIM_400000_NS6detail17trampoline_kernelINS0_14default_configENS1_36segmented_radix_sort_config_selectorIdlEEZNS1_25segmented_radix_sort_implIS3_Lb0EPKdPdPKlPlN2at6native12_GLOBAL__N_18offset_tEEE10hipError_tPvRmT1_PNSt15iterator_traitsISK_E10value_typeET2_T3_PNSL_ISQ_E10value_typeET4_jRbjT5_SW_jjP12ihipStream_tbEUlT_E0_NS1_11comp_targetILNS1_3genE5ELNS1_11target_archE942ELNS1_3gpuE9ELNS1_3repE0EEENS1_60segmented_radix_sort_warp_sort_medium_config_static_selectorELNS0_4arch9wavefront6targetE0EEEvSK_.num_named_barrier, 0
	.set _ZN7rocprim17ROCPRIM_400000_NS6detail17trampoline_kernelINS0_14default_configENS1_36segmented_radix_sort_config_selectorIdlEEZNS1_25segmented_radix_sort_implIS3_Lb0EPKdPdPKlPlN2at6native12_GLOBAL__N_18offset_tEEE10hipError_tPvRmT1_PNSt15iterator_traitsISK_E10value_typeET2_T3_PNSL_ISQ_E10value_typeET4_jRbjT5_SW_jjP12ihipStream_tbEUlT_E0_NS1_11comp_targetILNS1_3genE5ELNS1_11target_archE942ELNS1_3gpuE9ELNS1_3repE0EEENS1_60segmented_radix_sort_warp_sort_medium_config_static_selectorELNS0_4arch9wavefront6targetE0EEEvSK_.private_seg_size, 0
	.set _ZN7rocprim17ROCPRIM_400000_NS6detail17trampoline_kernelINS0_14default_configENS1_36segmented_radix_sort_config_selectorIdlEEZNS1_25segmented_radix_sort_implIS3_Lb0EPKdPdPKlPlN2at6native12_GLOBAL__N_18offset_tEEE10hipError_tPvRmT1_PNSt15iterator_traitsISK_E10value_typeET2_T3_PNSL_ISQ_E10value_typeET4_jRbjT5_SW_jjP12ihipStream_tbEUlT_E0_NS1_11comp_targetILNS1_3genE5ELNS1_11target_archE942ELNS1_3gpuE9ELNS1_3repE0EEENS1_60segmented_radix_sort_warp_sort_medium_config_static_selectorELNS0_4arch9wavefront6targetE0EEEvSK_.uses_vcc, 0
	.set _ZN7rocprim17ROCPRIM_400000_NS6detail17trampoline_kernelINS0_14default_configENS1_36segmented_radix_sort_config_selectorIdlEEZNS1_25segmented_radix_sort_implIS3_Lb0EPKdPdPKlPlN2at6native12_GLOBAL__N_18offset_tEEE10hipError_tPvRmT1_PNSt15iterator_traitsISK_E10value_typeET2_T3_PNSL_ISQ_E10value_typeET4_jRbjT5_SW_jjP12ihipStream_tbEUlT_E0_NS1_11comp_targetILNS1_3genE5ELNS1_11target_archE942ELNS1_3gpuE9ELNS1_3repE0EEENS1_60segmented_radix_sort_warp_sort_medium_config_static_selectorELNS0_4arch9wavefront6targetE0EEEvSK_.uses_flat_scratch, 0
	.set _ZN7rocprim17ROCPRIM_400000_NS6detail17trampoline_kernelINS0_14default_configENS1_36segmented_radix_sort_config_selectorIdlEEZNS1_25segmented_radix_sort_implIS3_Lb0EPKdPdPKlPlN2at6native12_GLOBAL__N_18offset_tEEE10hipError_tPvRmT1_PNSt15iterator_traitsISK_E10value_typeET2_T3_PNSL_ISQ_E10value_typeET4_jRbjT5_SW_jjP12ihipStream_tbEUlT_E0_NS1_11comp_targetILNS1_3genE5ELNS1_11target_archE942ELNS1_3gpuE9ELNS1_3repE0EEENS1_60segmented_radix_sort_warp_sort_medium_config_static_selectorELNS0_4arch9wavefront6targetE0EEEvSK_.has_dyn_sized_stack, 0
	.set _ZN7rocprim17ROCPRIM_400000_NS6detail17trampoline_kernelINS0_14default_configENS1_36segmented_radix_sort_config_selectorIdlEEZNS1_25segmented_radix_sort_implIS3_Lb0EPKdPdPKlPlN2at6native12_GLOBAL__N_18offset_tEEE10hipError_tPvRmT1_PNSt15iterator_traitsISK_E10value_typeET2_T3_PNSL_ISQ_E10value_typeET4_jRbjT5_SW_jjP12ihipStream_tbEUlT_E0_NS1_11comp_targetILNS1_3genE5ELNS1_11target_archE942ELNS1_3gpuE9ELNS1_3repE0EEENS1_60segmented_radix_sort_warp_sort_medium_config_static_selectorELNS0_4arch9wavefront6targetE0EEEvSK_.has_recursion, 0
	.set _ZN7rocprim17ROCPRIM_400000_NS6detail17trampoline_kernelINS0_14default_configENS1_36segmented_radix_sort_config_selectorIdlEEZNS1_25segmented_radix_sort_implIS3_Lb0EPKdPdPKlPlN2at6native12_GLOBAL__N_18offset_tEEE10hipError_tPvRmT1_PNSt15iterator_traitsISK_E10value_typeET2_T3_PNSL_ISQ_E10value_typeET4_jRbjT5_SW_jjP12ihipStream_tbEUlT_E0_NS1_11comp_targetILNS1_3genE5ELNS1_11target_archE942ELNS1_3gpuE9ELNS1_3repE0EEENS1_60segmented_radix_sort_warp_sort_medium_config_static_selectorELNS0_4arch9wavefront6targetE0EEEvSK_.has_indirect_call, 0
	.section	.AMDGPU.csdata,"",@progbits
; Kernel info:
; codeLenInByte = 0
; TotalNumSgprs: 0
; NumVgprs: 0
; ScratchSize: 0
; MemoryBound: 0
; FloatMode: 240
; IeeeMode: 1
; LDSByteSize: 0 bytes/workgroup (compile time only)
; SGPRBlocks: 0
; VGPRBlocks: 0
; NumSGPRsForWavesPerEU: 1
; NumVGPRsForWavesPerEU: 1
; Occupancy: 16
; WaveLimiterHint : 0
; COMPUTE_PGM_RSRC2:SCRATCH_EN: 0
; COMPUTE_PGM_RSRC2:USER_SGPR: 2
; COMPUTE_PGM_RSRC2:TRAP_HANDLER: 0
; COMPUTE_PGM_RSRC2:TGID_X_EN: 1
; COMPUTE_PGM_RSRC2:TGID_Y_EN: 0
; COMPUTE_PGM_RSRC2:TGID_Z_EN: 0
; COMPUTE_PGM_RSRC2:TIDIG_COMP_CNT: 0
	.section	.text._ZN7rocprim17ROCPRIM_400000_NS6detail17trampoline_kernelINS0_14default_configENS1_36segmented_radix_sort_config_selectorIdlEEZNS1_25segmented_radix_sort_implIS3_Lb0EPKdPdPKlPlN2at6native12_GLOBAL__N_18offset_tEEE10hipError_tPvRmT1_PNSt15iterator_traitsISK_E10value_typeET2_T3_PNSL_ISQ_E10value_typeET4_jRbjT5_SW_jjP12ihipStream_tbEUlT_E0_NS1_11comp_targetILNS1_3genE4ELNS1_11target_archE910ELNS1_3gpuE8ELNS1_3repE0EEENS1_60segmented_radix_sort_warp_sort_medium_config_static_selectorELNS0_4arch9wavefront6targetE0EEEvSK_,"axG",@progbits,_ZN7rocprim17ROCPRIM_400000_NS6detail17trampoline_kernelINS0_14default_configENS1_36segmented_radix_sort_config_selectorIdlEEZNS1_25segmented_radix_sort_implIS3_Lb0EPKdPdPKlPlN2at6native12_GLOBAL__N_18offset_tEEE10hipError_tPvRmT1_PNSt15iterator_traitsISK_E10value_typeET2_T3_PNSL_ISQ_E10value_typeET4_jRbjT5_SW_jjP12ihipStream_tbEUlT_E0_NS1_11comp_targetILNS1_3genE4ELNS1_11target_archE910ELNS1_3gpuE8ELNS1_3repE0EEENS1_60segmented_radix_sort_warp_sort_medium_config_static_selectorELNS0_4arch9wavefront6targetE0EEEvSK_,comdat
	.globl	_ZN7rocprim17ROCPRIM_400000_NS6detail17trampoline_kernelINS0_14default_configENS1_36segmented_radix_sort_config_selectorIdlEEZNS1_25segmented_radix_sort_implIS3_Lb0EPKdPdPKlPlN2at6native12_GLOBAL__N_18offset_tEEE10hipError_tPvRmT1_PNSt15iterator_traitsISK_E10value_typeET2_T3_PNSL_ISQ_E10value_typeET4_jRbjT5_SW_jjP12ihipStream_tbEUlT_E0_NS1_11comp_targetILNS1_3genE4ELNS1_11target_archE910ELNS1_3gpuE8ELNS1_3repE0EEENS1_60segmented_radix_sort_warp_sort_medium_config_static_selectorELNS0_4arch9wavefront6targetE0EEEvSK_ ; -- Begin function _ZN7rocprim17ROCPRIM_400000_NS6detail17trampoline_kernelINS0_14default_configENS1_36segmented_radix_sort_config_selectorIdlEEZNS1_25segmented_radix_sort_implIS3_Lb0EPKdPdPKlPlN2at6native12_GLOBAL__N_18offset_tEEE10hipError_tPvRmT1_PNSt15iterator_traitsISK_E10value_typeET2_T3_PNSL_ISQ_E10value_typeET4_jRbjT5_SW_jjP12ihipStream_tbEUlT_E0_NS1_11comp_targetILNS1_3genE4ELNS1_11target_archE910ELNS1_3gpuE8ELNS1_3repE0EEENS1_60segmented_radix_sort_warp_sort_medium_config_static_selectorELNS0_4arch9wavefront6targetE0EEEvSK_
	.p2align	8
	.type	_ZN7rocprim17ROCPRIM_400000_NS6detail17trampoline_kernelINS0_14default_configENS1_36segmented_radix_sort_config_selectorIdlEEZNS1_25segmented_radix_sort_implIS3_Lb0EPKdPdPKlPlN2at6native12_GLOBAL__N_18offset_tEEE10hipError_tPvRmT1_PNSt15iterator_traitsISK_E10value_typeET2_T3_PNSL_ISQ_E10value_typeET4_jRbjT5_SW_jjP12ihipStream_tbEUlT_E0_NS1_11comp_targetILNS1_3genE4ELNS1_11target_archE910ELNS1_3gpuE8ELNS1_3repE0EEENS1_60segmented_radix_sort_warp_sort_medium_config_static_selectorELNS0_4arch9wavefront6targetE0EEEvSK_,@function
_ZN7rocprim17ROCPRIM_400000_NS6detail17trampoline_kernelINS0_14default_configENS1_36segmented_radix_sort_config_selectorIdlEEZNS1_25segmented_radix_sort_implIS3_Lb0EPKdPdPKlPlN2at6native12_GLOBAL__N_18offset_tEEE10hipError_tPvRmT1_PNSt15iterator_traitsISK_E10value_typeET2_T3_PNSL_ISQ_E10value_typeET4_jRbjT5_SW_jjP12ihipStream_tbEUlT_E0_NS1_11comp_targetILNS1_3genE4ELNS1_11target_archE910ELNS1_3gpuE8ELNS1_3repE0EEENS1_60segmented_radix_sort_warp_sort_medium_config_static_selectorELNS0_4arch9wavefront6targetE0EEEvSK_: ; @_ZN7rocprim17ROCPRIM_400000_NS6detail17trampoline_kernelINS0_14default_configENS1_36segmented_radix_sort_config_selectorIdlEEZNS1_25segmented_radix_sort_implIS3_Lb0EPKdPdPKlPlN2at6native12_GLOBAL__N_18offset_tEEE10hipError_tPvRmT1_PNSt15iterator_traitsISK_E10value_typeET2_T3_PNSL_ISQ_E10value_typeET4_jRbjT5_SW_jjP12ihipStream_tbEUlT_E0_NS1_11comp_targetILNS1_3genE4ELNS1_11target_archE910ELNS1_3gpuE8ELNS1_3repE0EEENS1_60segmented_radix_sort_warp_sort_medium_config_static_selectorELNS0_4arch9wavefront6targetE0EEEvSK_
; %bb.0:
	.section	.rodata,"a",@progbits
	.p2align	6, 0x0
	.amdhsa_kernel _ZN7rocprim17ROCPRIM_400000_NS6detail17trampoline_kernelINS0_14default_configENS1_36segmented_radix_sort_config_selectorIdlEEZNS1_25segmented_radix_sort_implIS3_Lb0EPKdPdPKlPlN2at6native12_GLOBAL__N_18offset_tEEE10hipError_tPvRmT1_PNSt15iterator_traitsISK_E10value_typeET2_T3_PNSL_ISQ_E10value_typeET4_jRbjT5_SW_jjP12ihipStream_tbEUlT_E0_NS1_11comp_targetILNS1_3genE4ELNS1_11target_archE910ELNS1_3gpuE8ELNS1_3repE0EEENS1_60segmented_radix_sort_warp_sort_medium_config_static_selectorELNS0_4arch9wavefront6targetE0EEEvSK_
		.amdhsa_group_segment_fixed_size 0
		.amdhsa_private_segment_fixed_size 0
		.amdhsa_kernarg_size 88
		.amdhsa_user_sgpr_count 2
		.amdhsa_user_sgpr_dispatch_ptr 0
		.amdhsa_user_sgpr_queue_ptr 0
		.amdhsa_user_sgpr_kernarg_segment_ptr 1
		.amdhsa_user_sgpr_dispatch_id 0
		.amdhsa_user_sgpr_private_segment_size 0
		.amdhsa_wavefront_size32 1
		.amdhsa_uses_dynamic_stack 0
		.amdhsa_enable_private_segment 0
		.amdhsa_system_sgpr_workgroup_id_x 1
		.amdhsa_system_sgpr_workgroup_id_y 0
		.amdhsa_system_sgpr_workgroup_id_z 0
		.amdhsa_system_sgpr_workgroup_info 0
		.amdhsa_system_vgpr_workitem_id 0
		.amdhsa_next_free_vgpr 1
		.amdhsa_next_free_sgpr 1
		.amdhsa_reserve_vcc 0
		.amdhsa_float_round_mode_32 0
		.amdhsa_float_round_mode_16_64 0
		.amdhsa_float_denorm_mode_32 3
		.amdhsa_float_denorm_mode_16_64 3
		.amdhsa_fp16_overflow 0
		.amdhsa_workgroup_processor_mode 1
		.amdhsa_memory_ordered 1
		.amdhsa_forward_progress 1
		.amdhsa_inst_pref_size 0
		.amdhsa_round_robin_scheduling 0
		.amdhsa_exception_fp_ieee_invalid_op 0
		.amdhsa_exception_fp_denorm_src 0
		.amdhsa_exception_fp_ieee_div_zero 0
		.amdhsa_exception_fp_ieee_overflow 0
		.amdhsa_exception_fp_ieee_underflow 0
		.amdhsa_exception_fp_ieee_inexact 0
		.amdhsa_exception_int_div_zero 0
	.end_amdhsa_kernel
	.section	.text._ZN7rocprim17ROCPRIM_400000_NS6detail17trampoline_kernelINS0_14default_configENS1_36segmented_radix_sort_config_selectorIdlEEZNS1_25segmented_radix_sort_implIS3_Lb0EPKdPdPKlPlN2at6native12_GLOBAL__N_18offset_tEEE10hipError_tPvRmT1_PNSt15iterator_traitsISK_E10value_typeET2_T3_PNSL_ISQ_E10value_typeET4_jRbjT5_SW_jjP12ihipStream_tbEUlT_E0_NS1_11comp_targetILNS1_3genE4ELNS1_11target_archE910ELNS1_3gpuE8ELNS1_3repE0EEENS1_60segmented_radix_sort_warp_sort_medium_config_static_selectorELNS0_4arch9wavefront6targetE0EEEvSK_,"axG",@progbits,_ZN7rocprim17ROCPRIM_400000_NS6detail17trampoline_kernelINS0_14default_configENS1_36segmented_radix_sort_config_selectorIdlEEZNS1_25segmented_radix_sort_implIS3_Lb0EPKdPdPKlPlN2at6native12_GLOBAL__N_18offset_tEEE10hipError_tPvRmT1_PNSt15iterator_traitsISK_E10value_typeET2_T3_PNSL_ISQ_E10value_typeET4_jRbjT5_SW_jjP12ihipStream_tbEUlT_E0_NS1_11comp_targetILNS1_3genE4ELNS1_11target_archE910ELNS1_3gpuE8ELNS1_3repE0EEENS1_60segmented_radix_sort_warp_sort_medium_config_static_selectorELNS0_4arch9wavefront6targetE0EEEvSK_,comdat
.Lfunc_end1233:
	.size	_ZN7rocprim17ROCPRIM_400000_NS6detail17trampoline_kernelINS0_14default_configENS1_36segmented_radix_sort_config_selectorIdlEEZNS1_25segmented_radix_sort_implIS3_Lb0EPKdPdPKlPlN2at6native12_GLOBAL__N_18offset_tEEE10hipError_tPvRmT1_PNSt15iterator_traitsISK_E10value_typeET2_T3_PNSL_ISQ_E10value_typeET4_jRbjT5_SW_jjP12ihipStream_tbEUlT_E0_NS1_11comp_targetILNS1_3genE4ELNS1_11target_archE910ELNS1_3gpuE8ELNS1_3repE0EEENS1_60segmented_radix_sort_warp_sort_medium_config_static_selectorELNS0_4arch9wavefront6targetE0EEEvSK_, .Lfunc_end1233-_ZN7rocprim17ROCPRIM_400000_NS6detail17trampoline_kernelINS0_14default_configENS1_36segmented_radix_sort_config_selectorIdlEEZNS1_25segmented_radix_sort_implIS3_Lb0EPKdPdPKlPlN2at6native12_GLOBAL__N_18offset_tEEE10hipError_tPvRmT1_PNSt15iterator_traitsISK_E10value_typeET2_T3_PNSL_ISQ_E10value_typeET4_jRbjT5_SW_jjP12ihipStream_tbEUlT_E0_NS1_11comp_targetILNS1_3genE4ELNS1_11target_archE910ELNS1_3gpuE8ELNS1_3repE0EEENS1_60segmented_radix_sort_warp_sort_medium_config_static_selectorELNS0_4arch9wavefront6targetE0EEEvSK_
                                        ; -- End function
	.set _ZN7rocprim17ROCPRIM_400000_NS6detail17trampoline_kernelINS0_14default_configENS1_36segmented_radix_sort_config_selectorIdlEEZNS1_25segmented_radix_sort_implIS3_Lb0EPKdPdPKlPlN2at6native12_GLOBAL__N_18offset_tEEE10hipError_tPvRmT1_PNSt15iterator_traitsISK_E10value_typeET2_T3_PNSL_ISQ_E10value_typeET4_jRbjT5_SW_jjP12ihipStream_tbEUlT_E0_NS1_11comp_targetILNS1_3genE4ELNS1_11target_archE910ELNS1_3gpuE8ELNS1_3repE0EEENS1_60segmented_radix_sort_warp_sort_medium_config_static_selectorELNS0_4arch9wavefront6targetE0EEEvSK_.num_vgpr, 0
	.set _ZN7rocprim17ROCPRIM_400000_NS6detail17trampoline_kernelINS0_14default_configENS1_36segmented_radix_sort_config_selectorIdlEEZNS1_25segmented_radix_sort_implIS3_Lb0EPKdPdPKlPlN2at6native12_GLOBAL__N_18offset_tEEE10hipError_tPvRmT1_PNSt15iterator_traitsISK_E10value_typeET2_T3_PNSL_ISQ_E10value_typeET4_jRbjT5_SW_jjP12ihipStream_tbEUlT_E0_NS1_11comp_targetILNS1_3genE4ELNS1_11target_archE910ELNS1_3gpuE8ELNS1_3repE0EEENS1_60segmented_radix_sort_warp_sort_medium_config_static_selectorELNS0_4arch9wavefront6targetE0EEEvSK_.num_agpr, 0
	.set _ZN7rocprim17ROCPRIM_400000_NS6detail17trampoline_kernelINS0_14default_configENS1_36segmented_radix_sort_config_selectorIdlEEZNS1_25segmented_radix_sort_implIS3_Lb0EPKdPdPKlPlN2at6native12_GLOBAL__N_18offset_tEEE10hipError_tPvRmT1_PNSt15iterator_traitsISK_E10value_typeET2_T3_PNSL_ISQ_E10value_typeET4_jRbjT5_SW_jjP12ihipStream_tbEUlT_E0_NS1_11comp_targetILNS1_3genE4ELNS1_11target_archE910ELNS1_3gpuE8ELNS1_3repE0EEENS1_60segmented_radix_sort_warp_sort_medium_config_static_selectorELNS0_4arch9wavefront6targetE0EEEvSK_.numbered_sgpr, 0
	.set _ZN7rocprim17ROCPRIM_400000_NS6detail17trampoline_kernelINS0_14default_configENS1_36segmented_radix_sort_config_selectorIdlEEZNS1_25segmented_radix_sort_implIS3_Lb0EPKdPdPKlPlN2at6native12_GLOBAL__N_18offset_tEEE10hipError_tPvRmT1_PNSt15iterator_traitsISK_E10value_typeET2_T3_PNSL_ISQ_E10value_typeET4_jRbjT5_SW_jjP12ihipStream_tbEUlT_E0_NS1_11comp_targetILNS1_3genE4ELNS1_11target_archE910ELNS1_3gpuE8ELNS1_3repE0EEENS1_60segmented_radix_sort_warp_sort_medium_config_static_selectorELNS0_4arch9wavefront6targetE0EEEvSK_.num_named_barrier, 0
	.set _ZN7rocprim17ROCPRIM_400000_NS6detail17trampoline_kernelINS0_14default_configENS1_36segmented_radix_sort_config_selectorIdlEEZNS1_25segmented_radix_sort_implIS3_Lb0EPKdPdPKlPlN2at6native12_GLOBAL__N_18offset_tEEE10hipError_tPvRmT1_PNSt15iterator_traitsISK_E10value_typeET2_T3_PNSL_ISQ_E10value_typeET4_jRbjT5_SW_jjP12ihipStream_tbEUlT_E0_NS1_11comp_targetILNS1_3genE4ELNS1_11target_archE910ELNS1_3gpuE8ELNS1_3repE0EEENS1_60segmented_radix_sort_warp_sort_medium_config_static_selectorELNS0_4arch9wavefront6targetE0EEEvSK_.private_seg_size, 0
	.set _ZN7rocprim17ROCPRIM_400000_NS6detail17trampoline_kernelINS0_14default_configENS1_36segmented_radix_sort_config_selectorIdlEEZNS1_25segmented_radix_sort_implIS3_Lb0EPKdPdPKlPlN2at6native12_GLOBAL__N_18offset_tEEE10hipError_tPvRmT1_PNSt15iterator_traitsISK_E10value_typeET2_T3_PNSL_ISQ_E10value_typeET4_jRbjT5_SW_jjP12ihipStream_tbEUlT_E0_NS1_11comp_targetILNS1_3genE4ELNS1_11target_archE910ELNS1_3gpuE8ELNS1_3repE0EEENS1_60segmented_radix_sort_warp_sort_medium_config_static_selectorELNS0_4arch9wavefront6targetE0EEEvSK_.uses_vcc, 0
	.set _ZN7rocprim17ROCPRIM_400000_NS6detail17trampoline_kernelINS0_14default_configENS1_36segmented_radix_sort_config_selectorIdlEEZNS1_25segmented_radix_sort_implIS3_Lb0EPKdPdPKlPlN2at6native12_GLOBAL__N_18offset_tEEE10hipError_tPvRmT1_PNSt15iterator_traitsISK_E10value_typeET2_T3_PNSL_ISQ_E10value_typeET4_jRbjT5_SW_jjP12ihipStream_tbEUlT_E0_NS1_11comp_targetILNS1_3genE4ELNS1_11target_archE910ELNS1_3gpuE8ELNS1_3repE0EEENS1_60segmented_radix_sort_warp_sort_medium_config_static_selectorELNS0_4arch9wavefront6targetE0EEEvSK_.uses_flat_scratch, 0
	.set _ZN7rocprim17ROCPRIM_400000_NS6detail17trampoline_kernelINS0_14default_configENS1_36segmented_radix_sort_config_selectorIdlEEZNS1_25segmented_radix_sort_implIS3_Lb0EPKdPdPKlPlN2at6native12_GLOBAL__N_18offset_tEEE10hipError_tPvRmT1_PNSt15iterator_traitsISK_E10value_typeET2_T3_PNSL_ISQ_E10value_typeET4_jRbjT5_SW_jjP12ihipStream_tbEUlT_E0_NS1_11comp_targetILNS1_3genE4ELNS1_11target_archE910ELNS1_3gpuE8ELNS1_3repE0EEENS1_60segmented_radix_sort_warp_sort_medium_config_static_selectorELNS0_4arch9wavefront6targetE0EEEvSK_.has_dyn_sized_stack, 0
	.set _ZN7rocprim17ROCPRIM_400000_NS6detail17trampoline_kernelINS0_14default_configENS1_36segmented_radix_sort_config_selectorIdlEEZNS1_25segmented_radix_sort_implIS3_Lb0EPKdPdPKlPlN2at6native12_GLOBAL__N_18offset_tEEE10hipError_tPvRmT1_PNSt15iterator_traitsISK_E10value_typeET2_T3_PNSL_ISQ_E10value_typeET4_jRbjT5_SW_jjP12ihipStream_tbEUlT_E0_NS1_11comp_targetILNS1_3genE4ELNS1_11target_archE910ELNS1_3gpuE8ELNS1_3repE0EEENS1_60segmented_radix_sort_warp_sort_medium_config_static_selectorELNS0_4arch9wavefront6targetE0EEEvSK_.has_recursion, 0
	.set _ZN7rocprim17ROCPRIM_400000_NS6detail17trampoline_kernelINS0_14default_configENS1_36segmented_radix_sort_config_selectorIdlEEZNS1_25segmented_radix_sort_implIS3_Lb0EPKdPdPKlPlN2at6native12_GLOBAL__N_18offset_tEEE10hipError_tPvRmT1_PNSt15iterator_traitsISK_E10value_typeET2_T3_PNSL_ISQ_E10value_typeET4_jRbjT5_SW_jjP12ihipStream_tbEUlT_E0_NS1_11comp_targetILNS1_3genE4ELNS1_11target_archE910ELNS1_3gpuE8ELNS1_3repE0EEENS1_60segmented_radix_sort_warp_sort_medium_config_static_selectorELNS0_4arch9wavefront6targetE0EEEvSK_.has_indirect_call, 0
	.section	.AMDGPU.csdata,"",@progbits
; Kernel info:
; codeLenInByte = 0
; TotalNumSgprs: 0
; NumVgprs: 0
; ScratchSize: 0
; MemoryBound: 0
; FloatMode: 240
; IeeeMode: 1
; LDSByteSize: 0 bytes/workgroup (compile time only)
; SGPRBlocks: 0
; VGPRBlocks: 0
; NumSGPRsForWavesPerEU: 1
; NumVGPRsForWavesPerEU: 1
; Occupancy: 16
; WaveLimiterHint : 0
; COMPUTE_PGM_RSRC2:SCRATCH_EN: 0
; COMPUTE_PGM_RSRC2:USER_SGPR: 2
; COMPUTE_PGM_RSRC2:TRAP_HANDLER: 0
; COMPUTE_PGM_RSRC2:TGID_X_EN: 1
; COMPUTE_PGM_RSRC2:TGID_Y_EN: 0
; COMPUTE_PGM_RSRC2:TGID_Z_EN: 0
; COMPUTE_PGM_RSRC2:TIDIG_COMP_CNT: 0
	.section	.text._ZN7rocprim17ROCPRIM_400000_NS6detail17trampoline_kernelINS0_14default_configENS1_36segmented_radix_sort_config_selectorIdlEEZNS1_25segmented_radix_sort_implIS3_Lb0EPKdPdPKlPlN2at6native12_GLOBAL__N_18offset_tEEE10hipError_tPvRmT1_PNSt15iterator_traitsISK_E10value_typeET2_T3_PNSL_ISQ_E10value_typeET4_jRbjT5_SW_jjP12ihipStream_tbEUlT_E0_NS1_11comp_targetILNS1_3genE3ELNS1_11target_archE908ELNS1_3gpuE7ELNS1_3repE0EEENS1_60segmented_radix_sort_warp_sort_medium_config_static_selectorELNS0_4arch9wavefront6targetE0EEEvSK_,"axG",@progbits,_ZN7rocprim17ROCPRIM_400000_NS6detail17trampoline_kernelINS0_14default_configENS1_36segmented_radix_sort_config_selectorIdlEEZNS1_25segmented_radix_sort_implIS3_Lb0EPKdPdPKlPlN2at6native12_GLOBAL__N_18offset_tEEE10hipError_tPvRmT1_PNSt15iterator_traitsISK_E10value_typeET2_T3_PNSL_ISQ_E10value_typeET4_jRbjT5_SW_jjP12ihipStream_tbEUlT_E0_NS1_11comp_targetILNS1_3genE3ELNS1_11target_archE908ELNS1_3gpuE7ELNS1_3repE0EEENS1_60segmented_radix_sort_warp_sort_medium_config_static_selectorELNS0_4arch9wavefront6targetE0EEEvSK_,comdat
	.globl	_ZN7rocprim17ROCPRIM_400000_NS6detail17trampoline_kernelINS0_14default_configENS1_36segmented_radix_sort_config_selectorIdlEEZNS1_25segmented_radix_sort_implIS3_Lb0EPKdPdPKlPlN2at6native12_GLOBAL__N_18offset_tEEE10hipError_tPvRmT1_PNSt15iterator_traitsISK_E10value_typeET2_T3_PNSL_ISQ_E10value_typeET4_jRbjT5_SW_jjP12ihipStream_tbEUlT_E0_NS1_11comp_targetILNS1_3genE3ELNS1_11target_archE908ELNS1_3gpuE7ELNS1_3repE0EEENS1_60segmented_radix_sort_warp_sort_medium_config_static_selectorELNS0_4arch9wavefront6targetE0EEEvSK_ ; -- Begin function _ZN7rocprim17ROCPRIM_400000_NS6detail17trampoline_kernelINS0_14default_configENS1_36segmented_radix_sort_config_selectorIdlEEZNS1_25segmented_radix_sort_implIS3_Lb0EPKdPdPKlPlN2at6native12_GLOBAL__N_18offset_tEEE10hipError_tPvRmT1_PNSt15iterator_traitsISK_E10value_typeET2_T3_PNSL_ISQ_E10value_typeET4_jRbjT5_SW_jjP12ihipStream_tbEUlT_E0_NS1_11comp_targetILNS1_3genE3ELNS1_11target_archE908ELNS1_3gpuE7ELNS1_3repE0EEENS1_60segmented_radix_sort_warp_sort_medium_config_static_selectorELNS0_4arch9wavefront6targetE0EEEvSK_
	.p2align	8
	.type	_ZN7rocprim17ROCPRIM_400000_NS6detail17trampoline_kernelINS0_14default_configENS1_36segmented_radix_sort_config_selectorIdlEEZNS1_25segmented_radix_sort_implIS3_Lb0EPKdPdPKlPlN2at6native12_GLOBAL__N_18offset_tEEE10hipError_tPvRmT1_PNSt15iterator_traitsISK_E10value_typeET2_T3_PNSL_ISQ_E10value_typeET4_jRbjT5_SW_jjP12ihipStream_tbEUlT_E0_NS1_11comp_targetILNS1_3genE3ELNS1_11target_archE908ELNS1_3gpuE7ELNS1_3repE0EEENS1_60segmented_radix_sort_warp_sort_medium_config_static_selectorELNS0_4arch9wavefront6targetE0EEEvSK_,@function
_ZN7rocprim17ROCPRIM_400000_NS6detail17trampoline_kernelINS0_14default_configENS1_36segmented_radix_sort_config_selectorIdlEEZNS1_25segmented_radix_sort_implIS3_Lb0EPKdPdPKlPlN2at6native12_GLOBAL__N_18offset_tEEE10hipError_tPvRmT1_PNSt15iterator_traitsISK_E10value_typeET2_T3_PNSL_ISQ_E10value_typeET4_jRbjT5_SW_jjP12ihipStream_tbEUlT_E0_NS1_11comp_targetILNS1_3genE3ELNS1_11target_archE908ELNS1_3gpuE7ELNS1_3repE0EEENS1_60segmented_radix_sort_warp_sort_medium_config_static_selectorELNS0_4arch9wavefront6targetE0EEEvSK_: ; @_ZN7rocprim17ROCPRIM_400000_NS6detail17trampoline_kernelINS0_14default_configENS1_36segmented_radix_sort_config_selectorIdlEEZNS1_25segmented_radix_sort_implIS3_Lb0EPKdPdPKlPlN2at6native12_GLOBAL__N_18offset_tEEE10hipError_tPvRmT1_PNSt15iterator_traitsISK_E10value_typeET2_T3_PNSL_ISQ_E10value_typeET4_jRbjT5_SW_jjP12ihipStream_tbEUlT_E0_NS1_11comp_targetILNS1_3genE3ELNS1_11target_archE908ELNS1_3gpuE7ELNS1_3repE0EEENS1_60segmented_radix_sort_warp_sort_medium_config_static_selectorELNS0_4arch9wavefront6targetE0EEEvSK_
; %bb.0:
	.section	.rodata,"a",@progbits
	.p2align	6, 0x0
	.amdhsa_kernel _ZN7rocprim17ROCPRIM_400000_NS6detail17trampoline_kernelINS0_14default_configENS1_36segmented_radix_sort_config_selectorIdlEEZNS1_25segmented_radix_sort_implIS3_Lb0EPKdPdPKlPlN2at6native12_GLOBAL__N_18offset_tEEE10hipError_tPvRmT1_PNSt15iterator_traitsISK_E10value_typeET2_T3_PNSL_ISQ_E10value_typeET4_jRbjT5_SW_jjP12ihipStream_tbEUlT_E0_NS1_11comp_targetILNS1_3genE3ELNS1_11target_archE908ELNS1_3gpuE7ELNS1_3repE0EEENS1_60segmented_radix_sort_warp_sort_medium_config_static_selectorELNS0_4arch9wavefront6targetE0EEEvSK_
		.amdhsa_group_segment_fixed_size 0
		.amdhsa_private_segment_fixed_size 0
		.amdhsa_kernarg_size 88
		.amdhsa_user_sgpr_count 2
		.amdhsa_user_sgpr_dispatch_ptr 0
		.amdhsa_user_sgpr_queue_ptr 0
		.amdhsa_user_sgpr_kernarg_segment_ptr 1
		.amdhsa_user_sgpr_dispatch_id 0
		.amdhsa_user_sgpr_private_segment_size 0
		.amdhsa_wavefront_size32 1
		.amdhsa_uses_dynamic_stack 0
		.amdhsa_enable_private_segment 0
		.amdhsa_system_sgpr_workgroup_id_x 1
		.amdhsa_system_sgpr_workgroup_id_y 0
		.amdhsa_system_sgpr_workgroup_id_z 0
		.amdhsa_system_sgpr_workgroup_info 0
		.amdhsa_system_vgpr_workitem_id 0
		.amdhsa_next_free_vgpr 1
		.amdhsa_next_free_sgpr 1
		.amdhsa_reserve_vcc 0
		.amdhsa_float_round_mode_32 0
		.amdhsa_float_round_mode_16_64 0
		.amdhsa_float_denorm_mode_32 3
		.amdhsa_float_denorm_mode_16_64 3
		.amdhsa_fp16_overflow 0
		.amdhsa_workgroup_processor_mode 1
		.amdhsa_memory_ordered 1
		.amdhsa_forward_progress 1
		.amdhsa_inst_pref_size 0
		.amdhsa_round_robin_scheduling 0
		.amdhsa_exception_fp_ieee_invalid_op 0
		.amdhsa_exception_fp_denorm_src 0
		.amdhsa_exception_fp_ieee_div_zero 0
		.amdhsa_exception_fp_ieee_overflow 0
		.amdhsa_exception_fp_ieee_underflow 0
		.amdhsa_exception_fp_ieee_inexact 0
		.amdhsa_exception_int_div_zero 0
	.end_amdhsa_kernel
	.section	.text._ZN7rocprim17ROCPRIM_400000_NS6detail17trampoline_kernelINS0_14default_configENS1_36segmented_radix_sort_config_selectorIdlEEZNS1_25segmented_radix_sort_implIS3_Lb0EPKdPdPKlPlN2at6native12_GLOBAL__N_18offset_tEEE10hipError_tPvRmT1_PNSt15iterator_traitsISK_E10value_typeET2_T3_PNSL_ISQ_E10value_typeET4_jRbjT5_SW_jjP12ihipStream_tbEUlT_E0_NS1_11comp_targetILNS1_3genE3ELNS1_11target_archE908ELNS1_3gpuE7ELNS1_3repE0EEENS1_60segmented_radix_sort_warp_sort_medium_config_static_selectorELNS0_4arch9wavefront6targetE0EEEvSK_,"axG",@progbits,_ZN7rocprim17ROCPRIM_400000_NS6detail17trampoline_kernelINS0_14default_configENS1_36segmented_radix_sort_config_selectorIdlEEZNS1_25segmented_radix_sort_implIS3_Lb0EPKdPdPKlPlN2at6native12_GLOBAL__N_18offset_tEEE10hipError_tPvRmT1_PNSt15iterator_traitsISK_E10value_typeET2_T3_PNSL_ISQ_E10value_typeET4_jRbjT5_SW_jjP12ihipStream_tbEUlT_E0_NS1_11comp_targetILNS1_3genE3ELNS1_11target_archE908ELNS1_3gpuE7ELNS1_3repE0EEENS1_60segmented_radix_sort_warp_sort_medium_config_static_selectorELNS0_4arch9wavefront6targetE0EEEvSK_,comdat
.Lfunc_end1234:
	.size	_ZN7rocprim17ROCPRIM_400000_NS6detail17trampoline_kernelINS0_14default_configENS1_36segmented_radix_sort_config_selectorIdlEEZNS1_25segmented_radix_sort_implIS3_Lb0EPKdPdPKlPlN2at6native12_GLOBAL__N_18offset_tEEE10hipError_tPvRmT1_PNSt15iterator_traitsISK_E10value_typeET2_T3_PNSL_ISQ_E10value_typeET4_jRbjT5_SW_jjP12ihipStream_tbEUlT_E0_NS1_11comp_targetILNS1_3genE3ELNS1_11target_archE908ELNS1_3gpuE7ELNS1_3repE0EEENS1_60segmented_radix_sort_warp_sort_medium_config_static_selectorELNS0_4arch9wavefront6targetE0EEEvSK_, .Lfunc_end1234-_ZN7rocprim17ROCPRIM_400000_NS6detail17trampoline_kernelINS0_14default_configENS1_36segmented_radix_sort_config_selectorIdlEEZNS1_25segmented_radix_sort_implIS3_Lb0EPKdPdPKlPlN2at6native12_GLOBAL__N_18offset_tEEE10hipError_tPvRmT1_PNSt15iterator_traitsISK_E10value_typeET2_T3_PNSL_ISQ_E10value_typeET4_jRbjT5_SW_jjP12ihipStream_tbEUlT_E0_NS1_11comp_targetILNS1_3genE3ELNS1_11target_archE908ELNS1_3gpuE7ELNS1_3repE0EEENS1_60segmented_radix_sort_warp_sort_medium_config_static_selectorELNS0_4arch9wavefront6targetE0EEEvSK_
                                        ; -- End function
	.set _ZN7rocprim17ROCPRIM_400000_NS6detail17trampoline_kernelINS0_14default_configENS1_36segmented_radix_sort_config_selectorIdlEEZNS1_25segmented_radix_sort_implIS3_Lb0EPKdPdPKlPlN2at6native12_GLOBAL__N_18offset_tEEE10hipError_tPvRmT1_PNSt15iterator_traitsISK_E10value_typeET2_T3_PNSL_ISQ_E10value_typeET4_jRbjT5_SW_jjP12ihipStream_tbEUlT_E0_NS1_11comp_targetILNS1_3genE3ELNS1_11target_archE908ELNS1_3gpuE7ELNS1_3repE0EEENS1_60segmented_radix_sort_warp_sort_medium_config_static_selectorELNS0_4arch9wavefront6targetE0EEEvSK_.num_vgpr, 0
	.set _ZN7rocprim17ROCPRIM_400000_NS6detail17trampoline_kernelINS0_14default_configENS1_36segmented_radix_sort_config_selectorIdlEEZNS1_25segmented_radix_sort_implIS3_Lb0EPKdPdPKlPlN2at6native12_GLOBAL__N_18offset_tEEE10hipError_tPvRmT1_PNSt15iterator_traitsISK_E10value_typeET2_T3_PNSL_ISQ_E10value_typeET4_jRbjT5_SW_jjP12ihipStream_tbEUlT_E0_NS1_11comp_targetILNS1_3genE3ELNS1_11target_archE908ELNS1_3gpuE7ELNS1_3repE0EEENS1_60segmented_radix_sort_warp_sort_medium_config_static_selectorELNS0_4arch9wavefront6targetE0EEEvSK_.num_agpr, 0
	.set _ZN7rocprim17ROCPRIM_400000_NS6detail17trampoline_kernelINS0_14default_configENS1_36segmented_radix_sort_config_selectorIdlEEZNS1_25segmented_radix_sort_implIS3_Lb0EPKdPdPKlPlN2at6native12_GLOBAL__N_18offset_tEEE10hipError_tPvRmT1_PNSt15iterator_traitsISK_E10value_typeET2_T3_PNSL_ISQ_E10value_typeET4_jRbjT5_SW_jjP12ihipStream_tbEUlT_E0_NS1_11comp_targetILNS1_3genE3ELNS1_11target_archE908ELNS1_3gpuE7ELNS1_3repE0EEENS1_60segmented_radix_sort_warp_sort_medium_config_static_selectorELNS0_4arch9wavefront6targetE0EEEvSK_.numbered_sgpr, 0
	.set _ZN7rocprim17ROCPRIM_400000_NS6detail17trampoline_kernelINS0_14default_configENS1_36segmented_radix_sort_config_selectorIdlEEZNS1_25segmented_radix_sort_implIS3_Lb0EPKdPdPKlPlN2at6native12_GLOBAL__N_18offset_tEEE10hipError_tPvRmT1_PNSt15iterator_traitsISK_E10value_typeET2_T3_PNSL_ISQ_E10value_typeET4_jRbjT5_SW_jjP12ihipStream_tbEUlT_E0_NS1_11comp_targetILNS1_3genE3ELNS1_11target_archE908ELNS1_3gpuE7ELNS1_3repE0EEENS1_60segmented_radix_sort_warp_sort_medium_config_static_selectorELNS0_4arch9wavefront6targetE0EEEvSK_.num_named_barrier, 0
	.set _ZN7rocprim17ROCPRIM_400000_NS6detail17trampoline_kernelINS0_14default_configENS1_36segmented_radix_sort_config_selectorIdlEEZNS1_25segmented_radix_sort_implIS3_Lb0EPKdPdPKlPlN2at6native12_GLOBAL__N_18offset_tEEE10hipError_tPvRmT1_PNSt15iterator_traitsISK_E10value_typeET2_T3_PNSL_ISQ_E10value_typeET4_jRbjT5_SW_jjP12ihipStream_tbEUlT_E0_NS1_11comp_targetILNS1_3genE3ELNS1_11target_archE908ELNS1_3gpuE7ELNS1_3repE0EEENS1_60segmented_radix_sort_warp_sort_medium_config_static_selectorELNS0_4arch9wavefront6targetE0EEEvSK_.private_seg_size, 0
	.set _ZN7rocprim17ROCPRIM_400000_NS6detail17trampoline_kernelINS0_14default_configENS1_36segmented_radix_sort_config_selectorIdlEEZNS1_25segmented_radix_sort_implIS3_Lb0EPKdPdPKlPlN2at6native12_GLOBAL__N_18offset_tEEE10hipError_tPvRmT1_PNSt15iterator_traitsISK_E10value_typeET2_T3_PNSL_ISQ_E10value_typeET4_jRbjT5_SW_jjP12ihipStream_tbEUlT_E0_NS1_11comp_targetILNS1_3genE3ELNS1_11target_archE908ELNS1_3gpuE7ELNS1_3repE0EEENS1_60segmented_radix_sort_warp_sort_medium_config_static_selectorELNS0_4arch9wavefront6targetE0EEEvSK_.uses_vcc, 0
	.set _ZN7rocprim17ROCPRIM_400000_NS6detail17trampoline_kernelINS0_14default_configENS1_36segmented_radix_sort_config_selectorIdlEEZNS1_25segmented_radix_sort_implIS3_Lb0EPKdPdPKlPlN2at6native12_GLOBAL__N_18offset_tEEE10hipError_tPvRmT1_PNSt15iterator_traitsISK_E10value_typeET2_T3_PNSL_ISQ_E10value_typeET4_jRbjT5_SW_jjP12ihipStream_tbEUlT_E0_NS1_11comp_targetILNS1_3genE3ELNS1_11target_archE908ELNS1_3gpuE7ELNS1_3repE0EEENS1_60segmented_radix_sort_warp_sort_medium_config_static_selectorELNS0_4arch9wavefront6targetE0EEEvSK_.uses_flat_scratch, 0
	.set _ZN7rocprim17ROCPRIM_400000_NS6detail17trampoline_kernelINS0_14default_configENS1_36segmented_radix_sort_config_selectorIdlEEZNS1_25segmented_radix_sort_implIS3_Lb0EPKdPdPKlPlN2at6native12_GLOBAL__N_18offset_tEEE10hipError_tPvRmT1_PNSt15iterator_traitsISK_E10value_typeET2_T3_PNSL_ISQ_E10value_typeET4_jRbjT5_SW_jjP12ihipStream_tbEUlT_E0_NS1_11comp_targetILNS1_3genE3ELNS1_11target_archE908ELNS1_3gpuE7ELNS1_3repE0EEENS1_60segmented_radix_sort_warp_sort_medium_config_static_selectorELNS0_4arch9wavefront6targetE0EEEvSK_.has_dyn_sized_stack, 0
	.set _ZN7rocprim17ROCPRIM_400000_NS6detail17trampoline_kernelINS0_14default_configENS1_36segmented_radix_sort_config_selectorIdlEEZNS1_25segmented_radix_sort_implIS3_Lb0EPKdPdPKlPlN2at6native12_GLOBAL__N_18offset_tEEE10hipError_tPvRmT1_PNSt15iterator_traitsISK_E10value_typeET2_T3_PNSL_ISQ_E10value_typeET4_jRbjT5_SW_jjP12ihipStream_tbEUlT_E0_NS1_11comp_targetILNS1_3genE3ELNS1_11target_archE908ELNS1_3gpuE7ELNS1_3repE0EEENS1_60segmented_radix_sort_warp_sort_medium_config_static_selectorELNS0_4arch9wavefront6targetE0EEEvSK_.has_recursion, 0
	.set _ZN7rocprim17ROCPRIM_400000_NS6detail17trampoline_kernelINS0_14default_configENS1_36segmented_radix_sort_config_selectorIdlEEZNS1_25segmented_radix_sort_implIS3_Lb0EPKdPdPKlPlN2at6native12_GLOBAL__N_18offset_tEEE10hipError_tPvRmT1_PNSt15iterator_traitsISK_E10value_typeET2_T3_PNSL_ISQ_E10value_typeET4_jRbjT5_SW_jjP12ihipStream_tbEUlT_E0_NS1_11comp_targetILNS1_3genE3ELNS1_11target_archE908ELNS1_3gpuE7ELNS1_3repE0EEENS1_60segmented_radix_sort_warp_sort_medium_config_static_selectorELNS0_4arch9wavefront6targetE0EEEvSK_.has_indirect_call, 0
	.section	.AMDGPU.csdata,"",@progbits
; Kernel info:
; codeLenInByte = 0
; TotalNumSgprs: 0
; NumVgprs: 0
; ScratchSize: 0
; MemoryBound: 0
; FloatMode: 240
; IeeeMode: 1
; LDSByteSize: 0 bytes/workgroup (compile time only)
; SGPRBlocks: 0
; VGPRBlocks: 0
; NumSGPRsForWavesPerEU: 1
; NumVGPRsForWavesPerEU: 1
; Occupancy: 16
; WaveLimiterHint : 0
; COMPUTE_PGM_RSRC2:SCRATCH_EN: 0
; COMPUTE_PGM_RSRC2:USER_SGPR: 2
; COMPUTE_PGM_RSRC2:TRAP_HANDLER: 0
; COMPUTE_PGM_RSRC2:TGID_X_EN: 1
; COMPUTE_PGM_RSRC2:TGID_Y_EN: 0
; COMPUTE_PGM_RSRC2:TGID_Z_EN: 0
; COMPUTE_PGM_RSRC2:TIDIG_COMP_CNT: 0
	.section	.text._ZN7rocprim17ROCPRIM_400000_NS6detail17trampoline_kernelINS0_14default_configENS1_36segmented_radix_sort_config_selectorIdlEEZNS1_25segmented_radix_sort_implIS3_Lb0EPKdPdPKlPlN2at6native12_GLOBAL__N_18offset_tEEE10hipError_tPvRmT1_PNSt15iterator_traitsISK_E10value_typeET2_T3_PNSL_ISQ_E10value_typeET4_jRbjT5_SW_jjP12ihipStream_tbEUlT_E0_NS1_11comp_targetILNS1_3genE2ELNS1_11target_archE906ELNS1_3gpuE6ELNS1_3repE0EEENS1_60segmented_radix_sort_warp_sort_medium_config_static_selectorELNS0_4arch9wavefront6targetE0EEEvSK_,"axG",@progbits,_ZN7rocprim17ROCPRIM_400000_NS6detail17trampoline_kernelINS0_14default_configENS1_36segmented_radix_sort_config_selectorIdlEEZNS1_25segmented_radix_sort_implIS3_Lb0EPKdPdPKlPlN2at6native12_GLOBAL__N_18offset_tEEE10hipError_tPvRmT1_PNSt15iterator_traitsISK_E10value_typeET2_T3_PNSL_ISQ_E10value_typeET4_jRbjT5_SW_jjP12ihipStream_tbEUlT_E0_NS1_11comp_targetILNS1_3genE2ELNS1_11target_archE906ELNS1_3gpuE6ELNS1_3repE0EEENS1_60segmented_radix_sort_warp_sort_medium_config_static_selectorELNS0_4arch9wavefront6targetE0EEEvSK_,comdat
	.globl	_ZN7rocprim17ROCPRIM_400000_NS6detail17trampoline_kernelINS0_14default_configENS1_36segmented_radix_sort_config_selectorIdlEEZNS1_25segmented_radix_sort_implIS3_Lb0EPKdPdPKlPlN2at6native12_GLOBAL__N_18offset_tEEE10hipError_tPvRmT1_PNSt15iterator_traitsISK_E10value_typeET2_T3_PNSL_ISQ_E10value_typeET4_jRbjT5_SW_jjP12ihipStream_tbEUlT_E0_NS1_11comp_targetILNS1_3genE2ELNS1_11target_archE906ELNS1_3gpuE6ELNS1_3repE0EEENS1_60segmented_radix_sort_warp_sort_medium_config_static_selectorELNS0_4arch9wavefront6targetE0EEEvSK_ ; -- Begin function _ZN7rocprim17ROCPRIM_400000_NS6detail17trampoline_kernelINS0_14default_configENS1_36segmented_radix_sort_config_selectorIdlEEZNS1_25segmented_radix_sort_implIS3_Lb0EPKdPdPKlPlN2at6native12_GLOBAL__N_18offset_tEEE10hipError_tPvRmT1_PNSt15iterator_traitsISK_E10value_typeET2_T3_PNSL_ISQ_E10value_typeET4_jRbjT5_SW_jjP12ihipStream_tbEUlT_E0_NS1_11comp_targetILNS1_3genE2ELNS1_11target_archE906ELNS1_3gpuE6ELNS1_3repE0EEENS1_60segmented_radix_sort_warp_sort_medium_config_static_selectorELNS0_4arch9wavefront6targetE0EEEvSK_
	.p2align	8
	.type	_ZN7rocprim17ROCPRIM_400000_NS6detail17trampoline_kernelINS0_14default_configENS1_36segmented_radix_sort_config_selectorIdlEEZNS1_25segmented_radix_sort_implIS3_Lb0EPKdPdPKlPlN2at6native12_GLOBAL__N_18offset_tEEE10hipError_tPvRmT1_PNSt15iterator_traitsISK_E10value_typeET2_T3_PNSL_ISQ_E10value_typeET4_jRbjT5_SW_jjP12ihipStream_tbEUlT_E0_NS1_11comp_targetILNS1_3genE2ELNS1_11target_archE906ELNS1_3gpuE6ELNS1_3repE0EEENS1_60segmented_radix_sort_warp_sort_medium_config_static_selectorELNS0_4arch9wavefront6targetE0EEEvSK_,@function
_ZN7rocprim17ROCPRIM_400000_NS6detail17trampoline_kernelINS0_14default_configENS1_36segmented_radix_sort_config_selectorIdlEEZNS1_25segmented_radix_sort_implIS3_Lb0EPKdPdPKlPlN2at6native12_GLOBAL__N_18offset_tEEE10hipError_tPvRmT1_PNSt15iterator_traitsISK_E10value_typeET2_T3_PNSL_ISQ_E10value_typeET4_jRbjT5_SW_jjP12ihipStream_tbEUlT_E0_NS1_11comp_targetILNS1_3genE2ELNS1_11target_archE906ELNS1_3gpuE6ELNS1_3repE0EEENS1_60segmented_radix_sort_warp_sort_medium_config_static_selectorELNS0_4arch9wavefront6targetE0EEEvSK_: ; @_ZN7rocprim17ROCPRIM_400000_NS6detail17trampoline_kernelINS0_14default_configENS1_36segmented_radix_sort_config_selectorIdlEEZNS1_25segmented_radix_sort_implIS3_Lb0EPKdPdPKlPlN2at6native12_GLOBAL__N_18offset_tEEE10hipError_tPvRmT1_PNSt15iterator_traitsISK_E10value_typeET2_T3_PNSL_ISQ_E10value_typeET4_jRbjT5_SW_jjP12ihipStream_tbEUlT_E0_NS1_11comp_targetILNS1_3genE2ELNS1_11target_archE906ELNS1_3gpuE6ELNS1_3repE0EEENS1_60segmented_radix_sort_warp_sort_medium_config_static_selectorELNS0_4arch9wavefront6targetE0EEEvSK_
; %bb.0:
	.section	.rodata,"a",@progbits
	.p2align	6, 0x0
	.amdhsa_kernel _ZN7rocprim17ROCPRIM_400000_NS6detail17trampoline_kernelINS0_14default_configENS1_36segmented_radix_sort_config_selectorIdlEEZNS1_25segmented_radix_sort_implIS3_Lb0EPKdPdPKlPlN2at6native12_GLOBAL__N_18offset_tEEE10hipError_tPvRmT1_PNSt15iterator_traitsISK_E10value_typeET2_T3_PNSL_ISQ_E10value_typeET4_jRbjT5_SW_jjP12ihipStream_tbEUlT_E0_NS1_11comp_targetILNS1_3genE2ELNS1_11target_archE906ELNS1_3gpuE6ELNS1_3repE0EEENS1_60segmented_radix_sort_warp_sort_medium_config_static_selectorELNS0_4arch9wavefront6targetE0EEEvSK_
		.amdhsa_group_segment_fixed_size 0
		.amdhsa_private_segment_fixed_size 0
		.amdhsa_kernarg_size 88
		.amdhsa_user_sgpr_count 2
		.amdhsa_user_sgpr_dispatch_ptr 0
		.amdhsa_user_sgpr_queue_ptr 0
		.amdhsa_user_sgpr_kernarg_segment_ptr 1
		.amdhsa_user_sgpr_dispatch_id 0
		.amdhsa_user_sgpr_private_segment_size 0
		.amdhsa_wavefront_size32 1
		.amdhsa_uses_dynamic_stack 0
		.amdhsa_enable_private_segment 0
		.amdhsa_system_sgpr_workgroup_id_x 1
		.amdhsa_system_sgpr_workgroup_id_y 0
		.amdhsa_system_sgpr_workgroup_id_z 0
		.amdhsa_system_sgpr_workgroup_info 0
		.amdhsa_system_vgpr_workitem_id 0
		.amdhsa_next_free_vgpr 1
		.amdhsa_next_free_sgpr 1
		.amdhsa_reserve_vcc 0
		.amdhsa_float_round_mode_32 0
		.amdhsa_float_round_mode_16_64 0
		.amdhsa_float_denorm_mode_32 3
		.amdhsa_float_denorm_mode_16_64 3
		.amdhsa_fp16_overflow 0
		.amdhsa_workgroup_processor_mode 1
		.amdhsa_memory_ordered 1
		.amdhsa_forward_progress 1
		.amdhsa_inst_pref_size 0
		.amdhsa_round_robin_scheduling 0
		.amdhsa_exception_fp_ieee_invalid_op 0
		.amdhsa_exception_fp_denorm_src 0
		.amdhsa_exception_fp_ieee_div_zero 0
		.amdhsa_exception_fp_ieee_overflow 0
		.amdhsa_exception_fp_ieee_underflow 0
		.amdhsa_exception_fp_ieee_inexact 0
		.amdhsa_exception_int_div_zero 0
	.end_amdhsa_kernel
	.section	.text._ZN7rocprim17ROCPRIM_400000_NS6detail17trampoline_kernelINS0_14default_configENS1_36segmented_radix_sort_config_selectorIdlEEZNS1_25segmented_radix_sort_implIS3_Lb0EPKdPdPKlPlN2at6native12_GLOBAL__N_18offset_tEEE10hipError_tPvRmT1_PNSt15iterator_traitsISK_E10value_typeET2_T3_PNSL_ISQ_E10value_typeET4_jRbjT5_SW_jjP12ihipStream_tbEUlT_E0_NS1_11comp_targetILNS1_3genE2ELNS1_11target_archE906ELNS1_3gpuE6ELNS1_3repE0EEENS1_60segmented_radix_sort_warp_sort_medium_config_static_selectorELNS0_4arch9wavefront6targetE0EEEvSK_,"axG",@progbits,_ZN7rocprim17ROCPRIM_400000_NS6detail17trampoline_kernelINS0_14default_configENS1_36segmented_radix_sort_config_selectorIdlEEZNS1_25segmented_radix_sort_implIS3_Lb0EPKdPdPKlPlN2at6native12_GLOBAL__N_18offset_tEEE10hipError_tPvRmT1_PNSt15iterator_traitsISK_E10value_typeET2_T3_PNSL_ISQ_E10value_typeET4_jRbjT5_SW_jjP12ihipStream_tbEUlT_E0_NS1_11comp_targetILNS1_3genE2ELNS1_11target_archE906ELNS1_3gpuE6ELNS1_3repE0EEENS1_60segmented_radix_sort_warp_sort_medium_config_static_selectorELNS0_4arch9wavefront6targetE0EEEvSK_,comdat
.Lfunc_end1235:
	.size	_ZN7rocprim17ROCPRIM_400000_NS6detail17trampoline_kernelINS0_14default_configENS1_36segmented_radix_sort_config_selectorIdlEEZNS1_25segmented_radix_sort_implIS3_Lb0EPKdPdPKlPlN2at6native12_GLOBAL__N_18offset_tEEE10hipError_tPvRmT1_PNSt15iterator_traitsISK_E10value_typeET2_T3_PNSL_ISQ_E10value_typeET4_jRbjT5_SW_jjP12ihipStream_tbEUlT_E0_NS1_11comp_targetILNS1_3genE2ELNS1_11target_archE906ELNS1_3gpuE6ELNS1_3repE0EEENS1_60segmented_radix_sort_warp_sort_medium_config_static_selectorELNS0_4arch9wavefront6targetE0EEEvSK_, .Lfunc_end1235-_ZN7rocprim17ROCPRIM_400000_NS6detail17trampoline_kernelINS0_14default_configENS1_36segmented_radix_sort_config_selectorIdlEEZNS1_25segmented_radix_sort_implIS3_Lb0EPKdPdPKlPlN2at6native12_GLOBAL__N_18offset_tEEE10hipError_tPvRmT1_PNSt15iterator_traitsISK_E10value_typeET2_T3_PNSL_ISQ_E10value_typeET4_jRbjT5_SW_jjP12ihipStream_tbEUlT_E0_NS1_11comp_targetILNS1_3genE2ELNS1_11target_archE906ELNS1_3gpuE6ELNS1_3repE0EEENS1_60segmented_radix_sort_warp_sort_medium_config_static_selectorELNS0_4arch9wavefront6targetE0EEEvSK_
                                        ; -- End function
	.set _ZN7rocprim17ROCPRIM_400000_NS6detail17trampoline_kernelINS0_14default_configENS1_36segmented_radix_sort_config_selectorIdlEEZNS1_25segmented_radix_sort_implIS3_Lb0EPKdPdPKlPlN2at6native12_GLOBAL__N_18offset_tEEE10hipError_tPvRmT1_PNSt15iterator_traitsISK_E10value_typeET2_T3_PNSL_ISQ_E10value_typeET4_jRbjT5_SW_jjP12ihipStream_tbEUlT_E0_NS1_11comp_targetILNS1_3genE2ELNS1_11target_archE906ELNS1_3gpuE6ELNS1_3repE0EEENS1_60segmented_radix_sort_warp_sort_medium_config_static_selectorELNS0_4arch9wavefront6targetE0EEEvSK_.num_vgpr, 0
	.set _ZN7rocprim17ROCPRIM_400000_NS6detail17trampoline_kernelINS0_14default_configENS1_36segmented_radix_sort_config_selectorIdlEEZNS1_25segmented_radix_sort_implIS3_Lb0EPKdPdPKlPlN2at6native12_GLOBAL__N_18offset_tEEE10hipError_tPvRmT1_PNSt15iterator_traitsISK_E10value_typeET2_T3_PNSL_ISQ_E10value_typeET4_jRbjT5_SW_jjP12ihipStream_tbEUlT_E0_NS1_11comp_targetILNS1_3genE2ELNS1_11target_archE906ELNS1_3gpuE6ELNS1_3repE0EEENS1_60segmented_radix_sort_warp_sort_medium_config_static_selectorELNS0_4arch9wavefront6targetE0EEEvSK_.num_agpr, 0
	.set _ZN7rocprim17ROCPRIM_400000_NS6detail17trampoline_kernelINS0_14default_configENS1_36segmented_radix_sort_config_selectorIdlEEZNS1_25segmented_radix_sort_implIS3_Lb0EPKdPdPKlPlN2at6native12_GLOBAL__N_18offset_tEEE10hipError_tPvRmT1_PNSt15iterator_traitsISK_E10value_typeET2_T3_PNSL_ISQ_E10value_typeET4_jRbjT5_SW_jjP12ihipStream_tbEUlT_E0_NS1_11comp_targetILNS1_3genE2ELNS1_11target_archE906ELNS1_3gpuE6ELNS1_3repE0EEENS1_60segmented_radix_sort_warp_sort_medium_config_static_selectorELNS0_4arch9wavefront6targetE0EEEvSK_.numbered_sgpr, 0
	.set _ZN7rocprim17ROCPRIM_400000_NS6detail17trampoline_kernelINS0_14default_configENS1_36segmented_radix_sort_config_selectorIdlEEZNS1_25segmented_radix_sort_implIS3_Lb0EPKdPdPKlPlN2at6native12_GLOBAL__N_18offset_tEEE10hipError_tPvRmT1_PNSt15iterator_traitsISK_E10value_typeET2_T3_PNSL_ISQ_E10value_typeET4_jRbjT5_SW_jjP12ihipStream_tbEUlT_E0_NS1_11comp_targetILNS1_3genE2ELNS1_11target_archE906ELNS1_3gpuE6ELNS1_3repE0EEENS1_60segmented_radix_sort_warp_sort_medium_config_static_selectorELNS0_4arch9wavefront6targetE0EEEvSK_.num_named_barrier, 0
	.set _ZN7rocprim17ROCPRIM_400000_NS6detail17trampoline_kernelINS0_14default_configENS1_36segmented_radix_sort_config_selectorIdlEEZNS1_25segmented_radix_sort_implIS3_Lb0EPKdPdPKlPlN2at6native12_GLOBAL__N_18offset_tEEE10hipError_tPvRmT1_PNSt15iterator_traitsISK_E10value_typeET2_T3_PNSL_ISQ_E10value_typeET4_jRbjT5_SW_jjP12ihipStream_tbEUlT_E0_NS1_11comp_targetILNS1_3genE2ELNS1_11target_archE906ELNS1_3gpuE6ELNS1_3repE0EEENS1_60segmented_radix_sort_warp_sort_medium_config_static_selectorELNS0_4arch9wavefront6targetE0EEEvSK_.private_seg_size, 0
	.set _ZN7rocprim17ROCPRIM_400000_NS6detail17trampoline_kernelINS0_14default_configENS1_36segmented_radix_sort_config_selectorIdlEEZNS1_25segmented_radix_sort_implIS3_Lb0EPKdPdPKlPlN2at6native12_GLOBAL__N_18offset_tEEE10hipError_tPvRmT1_PNSt15iterator_traitsISK_E10value_typeET2_T3_PNSL_ISQ_E10value_typeET4_jRbjT5_SW_jjP12ihipStream_tbEUlT_E0_NS1_11comp_targetILNS1_3genE2ELNS1_11target_archE906ELNS1_3gpuE6ELNS1_3repE0EEENS1_60segmented_radix_sort_warp_sort_medium_config_static_selectorELNS0_4arch9wavefront6targetE0EEEvSK_.uses_vcc, 0
	.set _ZN7rocprim17ROCPRIM_400000_NS6detail17trampoline_kernelINS0_14default_configENS1_36segmented_radix_sort_config_selectorIdlEEZNS1_25segmented_radix_sort_implIS3_Lb0EPKdPdPKlPlN2at6native12_GLOBAL__N_18offset_tEEE10hipError_tPvRmT1_PNSt15iterator_traitsISK_E10value_typeET2_T3_PNSL_ISQ_E10value_typeET4_jRbjT5_SW_jjP12ihipStream_tbEUlT_E0_NS1_11comp_targetILNS1_3genE2ELNS1_11target_archE906ELNS1_3gpuE6ELNS1_3repE0EEENS1_60segmented_radix_sort_warp_sort_medium_config_static_selectorELNS0_4arch9wavefront6targetE0EEEvSK_.uses_flat_scratch, 0
	.set _ZN7rocprim17ROCPRIM_400000_NS6detail17trampoline_kernelINS0_14default_configENS1_36segmented_radix_sort_config_selectorIdlEEZNS1_25segmented_radix_sort_implIS3_Lb0EPKdPdPKlPlN2at6native12_GLOBAL__N_18offset_tEEE10hipError_tPvRmT1_PNSt15iterator_traitsISK_E10value_typeET2_T3_PNSL_ISQ_E10value_typeET4_jRbjT5_SW_jjP12ihipStream_tbEUlT_E0_NS1_11comp_targetILNS1_3genE2ELNS1_11target_archE906ELNS1_3gpuE6ELNS1_3repE0EEENS1_60segmented_radix_sort_warp_sort_medium_config_static_selectorELNS0_4arch9wavefront6targetE0EEEvSK_.has_dyn_sized_stack, 0
	.set _ZN7rocprim17ROCPRIM_400000_NS6detail17trampoline_kernelINS0_14default_configENS1_36segmented_radix_sort_config_selectorIdlEEZNS1_25segmented_radix_sort_implIS3_Lb0EPKdPdPKlPlN2at6native12_GLOBAL__N_18offset_tEEE10hipError_tPvRmT1_PNSt15iterator_traitsISK_E10value_typeET2_T3_PNSL_ISQ_E10value_typeET4_jRbjT5_SW_jjP12ihipStream_tbEUlT_E0_NS1_11comp_targetILNS1_3genE2ELNS1_11target_archE906ELNS1_3gpuE6ELNS1_3repE0EEENS1_60segmented_radix_sort_warp_sort_medium_config_static_selectorELNS0_4arch9wavefront6targetE0EEEvSK_.has_recursion, 0
	.set _ZN7rocprim17ROCPRIM_400000_NS6detail17trampoline_kernelINS0_14default_configENS1_36segmented_radix_sort_config_selectorIdlEEZNS1_25segmented_radix_sort_implIS3_Lb0EPKdPdPKlPlN2at6native12_GLOBAL__N_18offset_tEEE10hipError_tPvRmT1_PNSt15iterator_traitsISK_E10value_typeET2_T3_PNSL_ISQ_E10value_typeET4_jRbjT5_SW_jjP12ihipStream_tbEUlT_E0_NS1_11comp_targetILNS1_3genE2ELNS1_11target_archE906ELNS1_3gpuE6ELNS1_3repE0EEENS1_60segmented_radix_sort_warp_sort_medium_config_static_selectorELNS0_4arch9wavefront6targetE0EEEvSK_.has_indirect_call, 0
	.section	.AMDGPU.csdata,"",@progbits
; Kernel info:
; codeLenInByte = 0
; TotalNumSgprs: 0
; NumVgprs: 0
; ScratchSize: 0
; MemoryBound: 0
; FloatMode: 240
; IeeeMode: 1
; LDSByteSize: 0 bytes/workgroup (compile time only)
; SGPRBlocks: 0
; VGPRBlocks: 0
; NumSGPRsForWavesPerEU: 1
; NumVGPRsForWavesPerEU: 1
; Occupancy: 16
; WaveLimiterHint : 0
; COMPUTE_PGM_RSRC2:SCRATCH_EN: 0
; COMPUTE_PGM_RSRC2:USER_SGPR: 2
; COMPUTE_PGM_RSRC2:TRAP_HANDLER: 0
; COMPUTE_PGM_RSRC2:TGID_X_EN: 1
; COMPUTE_PGM_RSRC2:TGID_Y_EN: 0
; COMPUTE_PGM_RSRC2:TGID_Z_EN: 0
; COMPUTE_PGM_RSRC2:TIDIG_COMP_CNT: 0
	.text
	.p2align	2                               ; -- Begin function _ZN7rocprim17ROCPRIM_400000_NS6detail26segmented_warp_sort_helperINS1_20WarpSortHelperConfigILj16ELj8ELj256EEEdlLi256ELb0EvE4sortIPKdPdPKlPlEEvT_T0_T1_T2_jjjjRNS5_12storage_typeE
	.type	_ZN7rocprim17ROCPRIM_400000_NS6detail26segmented_warp_sort_helperINS1_20WarpSortHelperConfigILj16ELj8ELj256EEEdlLi256ELb0EvE4sortIPKdPdPKlPlEEvT_T0_T1_T2_jjjjRNS5_12storage_typeE,@function
_ZN7rocprim17ROCPRIM_400000_NS6detail26segmented_warp_sort_helperINS1_20WarpSortHelperConfigILj16ELj8ELj256EEEdlLi256ELb0EvE4sortIPKdPdPKlPlEEvT_T0_T1_T2_jjjjRNS5_12storage_typeE: ; @_ZN7rocprim17ROCPRIM_400000_NS6detail26segmented_warp_sort_helperINS1_20WarpSortHelperConfigILj16ELj8ELj256EEEdlLi256ELb0EvE4sortIPKdPdPKlPlEEvT_T0_T1_T2_jjjjRNS5_12storage_typeE
; %bb.0:
	s_wait_loadcnt_dscnt 0x0
	s_wait_expcnt 0x0
	s_wait_samplecnt 0x0
	s_wait_bvhcnt 0x0
	s_wait_kmcnt 0x0
	v_mov_b32_e32 v10, v9
	v_mbcnt_lo_u32_b32 v9, -1, 0
	v_bfrev_b32_e32 v28, -2
	v_mov_b32_e32 v27, -1
	s_delay_alu instid0(VALU_DEP_3) | instskip(SKIP_1) | instid1(VALU_DEP_3)
	v_lshlrev_b32_e32 v71, 3, v9
	v_mov_b32_e32 v9, 0
	v_dual_mov_b32 v17, v27 :: v_dual_mov_b32 v18, v28
	s_delay_alu instid0(VALU_DEP_3) | instskip(NEXT) | instid1(VALU_DEP_3)
	v_and_b32_e32 v70, 0x78, v71
	v_lshlrev_b64_e32 v[11:12], 3, v[8:9]
	v_sub_nc_u32_e32 v8, v10, v8
	s_delay_alu instid0(VALU_DEP_3) | instskip(NEXT) | instid1(VALU_DEP_3)
	v_lshlrev_b32_e32 v10, 3, v70
	v_add_co_u32 v0, vcc_lo, v0, v11
	s_wait_alu 0xfffd
	s_delay_alu instid0(VALU_DEP_4) | instskip(NEXT) | instid1(VALU_DEP_2)
	v_add_co_ci_u32_e64 v1, null, v1, v12, vcc_lo
	v_add_co_u32 v0, vcc_lo, v0, v10
	s_wait_alu 0xfffd
	s_delay_alu instid0(VALU_DEP_2)
	v_add_co_ci_u32_e64 v1, null, 0, v1, vcc_lo
	v_cmp_lt_u32_e32 vcc_lo, v70, v8
	s_and_saveexec_b32 s0, vcc_lo
	s_cbranch_execz .LBB1236_2
; %bb.1:
	flat_load_b64 v[17:18], v[0:1]
.LBB1236_2:
	s_wait_alu 0xfffe
	s_or_b32 exec_lo, exec_lo, s0
	v_or_b32_e32 v9, 1, v70
	s_delay_alu instid0(VALU_DEP_1)
	v_cmp_lt_u32_e64 s0, v9, v8
	s_and_saveexec_b32 s1, s0
	s_cbranch_execz .LBB1236_4
; %bb.3:
	flat_load_b64 v[27:28], v[0:1] offset:8
.LBB1236_4:
	s_wait_alu 0xfffe
	s_or_b32 exec_lo, exec_lo, s1
	v_or_b32_e32 v9, 2, v70
	v_mov_b32_e32 v38, -1
	v_bfrev_b32_e32 v39, -2
	s_delay_alu instid0(VALU_DEP_3) | instskip(NEXT) | instid1(VALU_DEP_2)
	v_cmp_lt_u32_e64 s1, v9, v8
	v_dual_mov_b32 v29, v38 :: v_dual_mov_b32 v30, v39
	s_and_saveexec_b32 s2, s1
	s_cbranch_execz .LBB1236_6
; %bb.5:
	flat_load_b64 v[29:30], v[0:1] offset:16
.LBB1236_6:
	s_wait_alu 0xfffe
	s_or_b32 exec_lo, exec_lo, s2
	v_or_b32_e32 v9, 3, v70
	s_delay_alu instid0(VALU_DEP_1)
	v_cmp_lt_u32_e64 s2, v9, v8
	s_and_saveexec_b32 s3, s2
	s_cbranch_execz .LBB1236_8
; %bb.7:
	flat_load_b64 v[38:39], v[0:1] offset:24
.LBB1236_8:
	s_wait_alu 0xfffe
	s_or_b32 exec_lo, exec_lo, s3
	v_or_b32_e32 v9, 4, v70
	v_mov_b32_e32 v25, -1
	v_bfrev_b32_e32 v26, -2
	s_delay_alu instid0(VALU_DEP_3) | instskip(NEXT) | instid1(VALU_DEP_2)
	v_cmp_lt_u32_e64 s3, v9, v8
	v_dual_mov_b32 v33, v26 :: v_dual_mov_b32 v32, v25
	s_and_saveexec_b32 s4, s3
	s_cbranch_execz .LBB1236_10
; %bb.9:
	flat_load_b64 v[32:33], v[0:1] offset:32
.LBB1236_10:
	;; [unrolled: 23-line block ×3, first 2 shown]
	s_wait_alu 0xfffe
	s_or_b32 exec_lo, exec_lo, s6
	v_or_b32_e32 v9, 7, v70
	s_delay_alu instid0(VALU_DEP_1)
	v_cmp_lt_u32_e64 s6, v9, v8
	s_and_saveexec_b32 s7, s6
	s_cbranch_execz .LBB1236_16
; %bb.15:
	flat_load_b64 v[19:20], v[0:1] offset:56
.LBB1236_16:
	s_wait_alu 0xfffe
	s_or_b32 exec_lo, exec_lo, s7
	v_add_co_u32 v0, s7, v4, v11
	s_wait_alu 0xf1ff
	v_add_co_ci_u32_e64 v1, null, v5, v12, s7
	s_delay_alu instid0(VALU_DEP_2) | instskip(SKIP_1) | instid1(VALU_DEP_2)
	v_add_co_u32 v48, s7, v0, v10
	s_wait_alu 0xf1ff
	v_add_co_ci_u32_e64 v49, null, 0, v1, s7
	; wave barrier
                                        ; implicit-def: $vgpr0_vgpr1
	s_and_saveexec_b32 s7, vcc_lo
	s_cbranch_execnz .LBB1236_261
; %bb.17:
	s_wait_alu 0xfffe
	s_or_b32 exec_lo, exec_lo, s7
	s_and_saveexec_b32 s7, s0
                                        ; implicit-def: $vgpr4_vgpr5
	s_cbranch_execnz .LBB1236_262
.LBB1236_18:
	s_wait_alu 0xfffe
	s_or_b32 exec_lo, exec_lo, s7
                                        ; implicit-def: $vgpr8_vgpr9
	s_and_saveexec_b32 s7, s1
	s_cbranch_execnz .LBB1236_263
.LBB1236_19:
	s_wait_alu 0xfffe
	s_or_b32 exec_lo, exec_lo, s7
	s_and_saveexec_b32 s7, s2
                                        ; implicit-def: $vgpr13_vgpr14
	s_cbranch_execnz .LBB1236_264
.LBB1236_20:
	s_wait_alu 0xfffe
	s_or_b32 exec_lo, exec_lo, s7
                                        ; implicit-def: $vgpr15_vgpr16
	s_and_saveexec_b32 s7, s3
	s_cbranch_execnz .LBB1236_265
.LBB1236_21:
	s_wait_alu 0xfffe
	s_or_b32 exec_lo, exec_lo, s7
	s_and_saveexec_b32 s7, s4
                                        ; implicit-def: $vgpr23_vgpr24
	s_cbranch_execnz .LBB1236_266
.LBB1236_22:
	s_wait_alu 0xfffe
	s_or_b32 exec_lo, exec_lo, s7
                                        ; implicit-def: $vgpr21_vgpr22
	s_and_saveexec_b32 s7, s5
	s_cbranch_execnz .LBB1236_267
.LBB1236_23:
	s_wait_alu 0xfffe
	s_or_b32 exec_lo, exec_lo, s7
	s_and_saveexec_b32 s7, s6
                                        ; implicit-def: $vgpr34_vgpr35
	s_cbranch_execz .LBB1236_25
.LBB1236_24:
	flat_load_b64 v[34:35], v[48:49] offset:56
.LBB1236_25:
	s_wait_alu 0xfffe
	s_or_b32 exec_lo, exec_lo, s7
	; wave barrier
	s_load_b64 s[10:11], s[8:9], 0x0
	s_and_b32 s7, ttmp7, 0xffff
	s_mov_b32 s13, 0
	v_bfe_u32 v48, v31, 10, 10
	v_bfe_u32 v49, v31, 20, 10
	v_and_b32_e32 v31, 0x3ff, v31
	s_wait_kmcnt 0x0
	s_wait_alu 0xfffe
	s_cmp_lt_u32 s7, s11
	s_cselect_b32 s12, 14, 20
	s_cmp_lt_u32 ttmp9, s10
	s_wait_alu 0xfffe
	s_add_nc_u64 s[14:15], s[8:9], s[12:13]
	s_cselect_b32 s12, 12, 18
	s_load_u16 s7, s[14:15], 0x0
	s_add_nc_u64 s[8:9], s[8:9], s[12:13]
	s_load_u16 s8, s[8:9], 0x0
	s_wait_kmcnt 0x0
	v_mad_u32_u24 v48, v49, s7, v48
	s_delay_alu instid0(VALU_DEP_1) | instskip(SKIP_1) | instid1(VALU_DEP_1)
	v_mul_lo_u32 v48, v48, s8
	s_mov_b32 s8, exec_lo
	v_add_lshl_u32 v68, v48, v31, 3
	s_delay_alu instid0(VALU_DEP_1)
	v_cmpx_gt_u32_e32 0x800, v68
	s_cbranch_execz .LBB1236_83
; %bb.26:
	s_wait_loadcnt_dscnt 0x0
	v_add_f64_e32 v[48:49], 0, v[17:18]
	v_add_f64_e32 v[50:51], 0, v[27:28]
	s_delay_alu instid0(VALU_DEP_2) | instskip(NEXT) | instid1(VALU_DEP_2)
	v_ashrrev_i32_e32 v31, 31, v49
	v_ashrrev_i32_e32 v52, 31, v51
	s_delay_alu instid0(VALU_DEP_2) | instskip(NEXT) | instid1(VALU_DEP_2)
	v_or_b32_e32 v53, 0x80000000, v31
	v_or_b32_e32 v54, 0x80000000, v52
	v_xor_b32_e32 v48, v31, v48
	v_xor_b32_e32 v50, v52, v50
	s_delay_alu instid0(VALU_DEP_4) | instskip(NEXT) | instid1(VALU_DEP_4)
	v_xor_b32_e32 v49, v53, v49
	v_xor_b32_e32 v51, v54, v51
	s_delay_alu instid0(VALU_DEP_1)
	v_cmp_gt_u64_e64 s7, v[48:49], v[50:51]
	v_dual_mov_b32 v49, v28 :: v_dual_mov_b32 v48, v27
	v_dual_mov_b32 v51, v5 :: v_dual_mov_b32 v50, v4
	s_and_saveexec_b32 s9, s7
; %bb.27:
	v_dual_mov_b32 v49, v18 :: v_dual_mov_b32 v48, v17
	v_dual_mov_b32 v17, v27 :: v_dual_mov_b32 v18, v28
	;; [unrolled: 1-line block ×4, first 2 shown]
; %bb.28:
	s_wait_alu 0xfffe
	s_or_b32 exec_lo, exec_lo, s9
	v_add_f64_e32 v[4:5], 0, v[29:30]
	v_add_f64_e32 v[27:28], 0, v[38:39]
	s_delay_alu instid0(VALU_DEP_2) | instskip(NEXT) | instid1(VALU_DEP_2)
	v_ashrrev_i32_e32 v31, 31, v5
	v_ashrrev_i32_e32 v52, 31, v28
	s_delay_alu instid0(VALU_DEP_2) | instskip(NEXT) | instid1(VALU_DEP_2)
	v_or_b32_e32 v53, 0x80000000, v31
	v_or_b32_e32 v54, 0x80000000, v52
	v_xor_b32_e32 v4, v31, v4
	v_xor_b32_e32 v27, v52, v27
	s_delay_alu instid0(VALU_DEP_4) | instskip(NEXT) | instid1(VALU_DEP_4)
	v_xor_b32_e32 v5, v53, v5
	v_xor_b32_e32 v28, v54, v28
	v_dual_mov_b32 v55, v39 :: v_dual_mov_b32 v54, v38
	s_delay_alu instid0(VALU_DEP_2)
	v_cmp_gt_u64_e64 s7, v[4:5], v[27:28]
	v_dual_mov_b32 v28, v14 :: v_dual_mov_b32 v27, v13
	s_and_saveexec_b32 s9, s7
; %bb.29:
	v_dual_mov_b32 v55, v30 :: v_dual_mov_b32 v54, v29
	v_dual_mov_b32 v29, v38 :: v_dual_mov_b32 v30, v39
	;; [unrolled: 1-line block ×4, first 2 shown]
; %bb.30:
	s_wait_alu 0xfffe
	s_or_b32 exec_lo, exec_lo, s9
	v_add_f64_e32 v[4:5], 0, v[32:33]
	v_add_f64_e32 v[13:14], 0, v[25:26]
	s_delay_alu instid0(VALU_DEP_2) | instskip(NEXT) | instid1(VALU_DEP_2)
	v_ashrrev_i32_e32 v31, 31, v5
	v_ashrrev_i32_e32 v38, 31, v14
	s_delay_alu instid0(VALU_DEP_2) | instskip(NEXT) | instid1(VALU_DEP_2)
	v_or_b32_e32 v39, 0x80000000, v31
	v_or_b32_e32 v52, 0x80000000, v38
	v_xor_b32_e32 v4, v31, v4
	v_xor_b32_e32 v13, v38, v13
	s_delay_alu instid0(VALU_DEP_4) | instskip(NEXT) | instid1(VALU_DEP_4)
	v_xor_b32_e32 v5, v39, v5
	v_xor_b32_e32 v14, v52, v14
	v_dual_mov_b32 v53, v33 :: v_dual_mov_b32 v52, v32
	s_delay_alu instid0(VALU_DEP_2)
	v_cmp_gt_u64_e64 s7, v[4:5], v[13:14]
	v_dual_mov_b32 v13, v23 :: v_dual_mov_b32 v14, v24
	s_and_saveexec_b32 s9, s7
; %bb.31:
	v_dual_mov_b32 v13, v15 :: v_dual_mov_b32 v14, v16
	v_dual_mov_b32 v15, v23 :: v_dual_mov_b32 v16, v24
	;; [unrolled: 1-line block ×4, first 2 shown]
; %bb.32:
	s_wait_alu 0xfffe
	s_or_b32 exec_lo, exec_lo, s9
	v_add_f64_e32 v[4:5], 0, v[36:37]
	v_add_f64_e32 v[23:24], 0, v[19:20]
	s_delay_alu instid0(VALU_DEP_2) | instskip(NEXT) | instid1(VALU_DEP_2)
	v_ashrrev_i32_e32 v31, 31, v5
	v_ashrrev_i32_e32 v32, 31, v24
	s_delay_alu instid0(VALU_DEP_2) | instskip(NEXT) | instid1(VALU_DEP_2)
	v_or_b32_e32 v33, 0x80000000, v31
	v_or_b32_e32 v38, 0x80000000, v32
	v_xor_b32_e32 v4, v31, v4
	v_xor_b32_e32 v23, v32, v23
	v_dual_mov_b32 v31, v36 :: v_dual_mov_b32 v32, v37
	v_xor_b32_e32 v5, v33, v5
	v_xor_b32_e32 v24, v38, v24
	s_delay_alu instid0(VALU_DEP_1)
	v_cmp_gt_u64_e64 s7, v[4:5], v[23:24]
	v_dual_mov_b32 v4, v34 :: v_dual_mov_b32 v5, v35
	s_and_saveexec_b32 s9, s7
; %bb.33:
	v_dual_mov_b32 v4, v21 :: v_dual_mov_b32 v5, v22
	v_dual_mov_b32 v21, v34 :: v_dual_mov_b32 v22, v35
	v_dual_mov_b32 v32, v20 :: v_dual_mov_b32 v31, v19
	v_dual_mov_b32 v19, v36 :: v_dual_mov_b32 v20, v37
; %bb.34:
	s_wait_alu 0xfffe
	s_or_b32 exec_lo, exec_lo, s9
	v_add_f64_e32 v[23:24], 0, v[48:49]
	v_add_f64_e32 v[33:34], 0, v[29:30]
	s_delay_alu instid0(VALU_DEP_2) | instskip(NEXT) | instid1(VALU_DEP_2)
	v_ashrrev_i32_e32 v35, 31, v24
	v_ashrrev_i32_e32 v36, 31, v34
	s_delay_alu instid0(VALU_DEP_2) | instskip(NEXT) | instid1(VALU_DEP_2)
	v_or_b32_e32 v37, 0x80000000, v35
	v_or_b32_e32 v38, 0x80000000, v36
	v_xor_b32_e32 v23, v35, v23
	v_xor_b32_e32 v33, v36, v33
	s_delay_alu instid0(VALU_DEP_4) | instskip(NEXT) | instid1(VALU_DEP_4)
	v_xor_b32_e32 v24, v37, v24
	v_xor_b32_e32 v34, v38, v34
	s_delay_alu instid0(VALU_DEP_1)
	v_cmp_gt_u64_e64 s7, v[23:24], v[33:34]
	v_dual_mov_b32 v23, v29 :: v_dual_mov_b32 v24, v30
	v_dual_mov_b32 v34, v9 :: v_dual_mov_b32 v33, v8
	s_and_saveexec_b32 s9, s7
	s_wait_alu 0xfffe
	s_xor_b32 s7, exec_lo, s9
; %bb.35:
	v_dual_mov_b32 v23, v48 :: v_dual_mov_b32 v24, v49
	v_dual_mov_b32 v49, v30 :: v_dual_mov_b32 v48, v29
	;; [unrolled: 1-line block ×4, first 2 shown]
; %bb.36:
	s_wait_alu 0xfffe
	s_or_b32 exec_lo, exec_lo, s7
	v_add_f64_e32 v[8:9], 0, v[54:55]
	v_add_f64_e32 v[29:30], 0, v[52:53]
	s_delay_alu instid0(VALU_DEP_2) | instskip(NEXT) | instid1(VALU_DEP_2)
	v_ashrrev_i32_e32 v35, 31, v9
	v_ashrrev_i32_e32 v36, 31, v30
	s_delay_alu instid0(VALU_DEP_2) | instskip(NEXT) | instid1(VALU_DEP_2)
	v_or_b32_e32 v37, 0x80000000, v35
	v_or_b32_e32 v38, 0x80000000, v36
	v_xor_b32_e32 v8, v35, v8
	v_xor_b32_e32 v29, v36, v29
	s_delay_alu instid0(VALU_DEP_4) | instskip(NEXT) | instid1(VALU_DEP_4)
	v_xor_b32_e32 v9, v37, v9
	v_xor_b32_e32 v30, v38, v30
	s_delay_alu instid0(VALU_DEP_1)
	v_cmp_gt_u64_e64 s7, v[8:9], v[29:30]
	v_dual_mov_b32 v8, v54 :: v_dual_mov_b32 v9, v55
	v_dual_mov_b32 v30, v16 :: v_dual_mov_b32 v29, v15
	s_and_saveexec_b32 s9, s7
; %bb.37:
	v_dual_mov_b32 v8, v52 :: v_dual_mov_b32 v9, v53
	v_dual_mov_b32 v30, v28 :: v_dual_mov_b32 v29, v27
	;; [unrolled: 1-line block ×4, first 2 shown]
; %bb.38:
	s_wait_alu 0xfffe
	s_or_b32 exec_lo, exec_lo, s9
	v_add_f64_e32 v[15:16], 0, v[25:26]
	v_add_f64_e32 v[35:36], 0, v[31:32]
	s_delay_alu instid0(VALU_DEP_2) | instskip(NEXT) | instid1(VALU_DEP_2)
	v_ashrrev_i32_e32 v37, 31, v16
	v_ashrrev_i32_e32 v38, 31, v36
	s_delay_alu instid0(VALU_DEP_2) | instskip(NEXT) | instid1(VALU_DEP_2)
	v_or_b32_e32 v39, 0x80000000, v37
	v_or_b32_e32 v54, 0x80000000, v38
	v_xor_b32_e32 v15, v37, v15
	v_xor_b32_e32 v35, v38, v35
	s_delay_alu instid0(VALU_DEP_4) | instskip(NEXT) | instid1(VALU_DEP_4)
	v_xor_b32_e32 v16, v39, v16
	v_xor_b32_e32 v36, v54, v36
	s_delay_alu instid0(VALU_DEP_1)
	v_cmp_gt_u64_e64 s7, v[15:16], v[35:36]
	v_dual_mov_b32 v15, v21 :: v_dual_mov_b32 v16, v22
	v_dual_mov_b32 v36, v26 :: v_dual_mov_b32 v35, v25
	s_and_saveexec_b32 s9, s7
; %bb.39:
	v_dual_mov_b32 v16, v14 :: v_dual_mov_b32 v15, v13
	v_dual_mov_b32 v13, v21 :: v_dual_mov_b32 v14, v22
	;; [unrolled: 1-line block ×4, first 2 shown]
; %bb.40:
	s_wait_alu 0xfffe
	s_or_b32 exec_lo, exec_lo, s9
	v_add_f64_e32 v[21:22], 0, v[17:18]
	v_add_f64_e32 v[25:26], 0, v[48:49]
	s_delay_alu instid0(VALU_DEP_2) | instskip(NEXT) | instid1(VALU_DEP_2)
	v_ashrrev_i32_e32 v37, 31, v22
	v_ashrrev_i32_e32 v38, 31, v26
	s_delay_alu instid0(VALU_DEP_2) | instskip(NEXT) | instid1(VALU_DEP_2)
	v_or_b32_e32 v39, 0x80000000, v37
	v_or_b32_e32 v54, 0x80000000, v38
	v_xor_b32_e32 v21, v37, v21
	v_xor_b32_e32 v25, v38, v25
	v_dual_mov_b32 v37, v50 :: v_dual_mov_b32 v38, v51
	v_xor_b32_e32 v22, v39, v22
	v_xor_b32_e32 v26, v54, v26
	s_delay_alu instid0(VALU_DEP_1)
	v_cmp_gt_u64_e64 s7, v[21:22], v[25:26]
	v_dual_mov_b32 v21, v48 :: v_dual_mov_b32 v22, v49
	s_and_saveexec_b32 s9, s7
; %bb.41:
	v_dual_mov_b32 v22, v18 :: v_dual_mov_b32 v21, v17
	v_dual_mov_b32 v17, v48 :: v_dual_mov_b32 v18, v49
	v_dual_mov_b32 v38, v1 :: v_dual_mov_b32 v37, v0
	v_dual_mov_b32 v0, v50 :: v_dual_mov_b32 v1, v51
; %bb.42:
	s_wait_alu 0xfffe
	s_or_b32 exec_lo, exec_lo, s9
	v_add_f64_e32 v[25:26], 0, v[23:24]
	v_add_f64_e32 v[48:49], 0, v[8:9]
	v_dual_mov_b32 v65, v9 :: v_dual_mov_b32 v64, v8
	s_delay_alu instid0(VALU_DEP_3) | instskip(NEXT) | instid1(VALU_DEP_3)
	v_ashrrev_i32_e32 v39, 31, v26
	v_ashrrev_i32_e32 v50, 31, v49
	s_delay_alu instid0(VALU_DEP_2) | instskip(NEXT) | instid1(VALU_DEP_2)
	v_or_b32_e32 v51, 0x80000000, v39
	v_or_b32_e32 v54, 0x80000000, v50
	v_xor_b32_e32 v25, v39, v25
	v_xor_b32_e32 v48, v50, v48
	s_delay_alu instid0(VALU_DEP_4) | instskip(NEXT) | instid1(VALU_DEP_4)
	v_xor_b32_e32 v26, v51, v26
	v_xor_b32_e32 v49, v54, v49
	s_delay_alu instid0(VALU_DEP_1)
	v_cmp_gt_u64_e64 s7, v[25:26], v[48:49]
	v_dual_mov_b32 v49, v28 :: v_dual_mov_b32 v48, v27
	s_and_saveexec_b32 s9, s7
; %bb.43:
	v_dual_mov_b32 v65, v24 :: v_dual_mov_b32 v64, v23
	v_dual_mov_b32 v24, v9 :: v_dual_mov_b32 v23, v8
	;; [unrolled: 1-line block ×4, first 2 shown]
; %bb.44:
	s_wait_alu 0xfffe
	s_or_b32 exec_lo, exec_lo, s9
	v_add_f64_e32 v[8:9], 0, v[52:53]
	v_add_f64_e32 v[25:26], 0, v[35:36]
	v_dual_mov_b32 v55, v53 :: v_dual_mov_b32 v54, v52
	s_delay_alu instid0(VALU_DEP_3) | instskip(NEXT) | instid1(VALU_DEP_3)
	v_ashrrev_i32_e32 v27, 31, v9
	v_ashrrev_i32_e32 v28, 31, v26
	s_delay_alu instid0(VALU_DEP_2) | instskip(NEXT) | instid1(VALU_DEP_2)
	v_or_b32_e32 v39, 0x80000000, v27
	v_or_b32_e32 v50, 0x80000000, v28
	v_xor_b32_e32 v8, v27, v8
	v_xor_b32_e32 v25, v28, v25
	s_delay_alu instid0(VALU_DEP_4) | instskip(NEXT) | instid1(VALU_DEP_4)
	v_xor_b32_e32 v9, v39, v9
	v_xor_b32_e32 v26, v50, v26
	s_delay_alu instid0(VALU_DEP_1)
	v_cmp_gt_u64_e64 s7, v[8:9], v[25:26]
	v_dual_mov_b32 v26, v14 :: v_dual_mov_b32 v25, v13
	s_and_saveexec_b32 s9, s7
; %bb.45:
	v_dual_mov_b32 v25, v29 :: v_dual_mov_b32 v26, v30
	v_dual_mov_b32 v30, v14 :: v_dual_mov_b32 v29, v13
	;; [unrolled: 1-line block ×4, first 2 shown]
; %bb.46:
	s_wait_alu 0xfffe
	s_or_b32 exec_lo, exec_lo, s9
	v_add_f64_e32 v[8:9], 0, v[31:32]
	v_add_f64_e32 v[13:14], 0, v[19:20]
	s_delay_alu instid0(VALU_DEP_2) | instskip(NEXT) | instid1(VALU_DEP_2)
	v_ashrrev_i32_e32 v27, 31, v9
	v_ashrrev_i32_e32 v28, 31, v14
	s_delay_alu instid0(VALU_DEP_2) | instskip(NEXT) | instid1(VALU_DEP_2)
	v_or_b32_e32 v39, 0x80000000, v27
	v_or_b32_e32 v50, 0x80000000, v28
	v_xor_b32_e32 v8, v27, v8
	v_xor_b32_e32 v13, v28, v13
	s_delay_alu instid0(VALU_DEP_4) | instskip(NEXT) | instid1(VALU_DEP_4)
	v_xor_b32_e32 v9, v39, v9
	v_xor_b32_e32 v14, v50, v14
	v_dual_mov_b32 v51, v32 :: v_dual_mov_b32 v50, v31
	s_delay_alu instid0(VALU_DEP_2)
	v_cmp_gt_u64_e64 s7, v[8:9], v[13:14]
	v_dual_mov_b32 v9, v5 :: v_dual_mov_b32 v8, v4
	s_and_saveexec_b32 s9, s7
; %bb.47:
	v_dual_mov_b32 v8, v15 :: v_dual_mov_b32 v9, v16
	v_dual_mov_b32 v16, v5 :: v_dual_mov_b32 v15, v4
	;; [unrolled: 1-line block ×4, first 2 shown]
; %bb.48:
	s_wait_alu 0xfffe
	s_or_b32 exec_lo, exec_lo, s9
	v_add_f64_e32 v[4:5], 0, v[21:22]
	v_add_f64_e32 v[13:14], 0, v[23:24]
	s_delay_alu instid0(VALU_DEP_2) | instskip(NEXT) | instid1(VALU_DEP_2)
	v_ashrrev_i32_e32 v27, 31, v5
	v_ashrrev_i32_e32 v28, 31, v14
	s_delay_alu instid0(VALU_DEP_2) | instskip(NEXT) | instid1(VALU_DEP_2)
	v_or_b32_e32 v31, 0x80000000, v27
	v_or_b32_e32 v32, 0x80000000, v28
	v_xor_b32_e32 v4, v27, v4
	v_xor_b32_e32 v13, v28, v13
	s_delay_alu instid0(VALU_DEP_4) | instskip(NEXT) | instid1(VALU_DEP_4)
	v_xor_b32_e32 v5, v31, v5
	v_xor_b32_e32 v14, v32, v14
	v_dual_mov_b32 v31, v33 :: v_dual_mov_b32 v32, v34
	s_delay_alu instid0(VALU_DEP_2)
	v_cmp_gt_u64_e64 s7, v[4:5], v[13:14]
	v_dual_mov_b32 v4, v23 :: v_dual_mov_b32 v5, v24
	s_and_saveexec_b32 s9, s7
; %bb.49:
	v_dual_mov_b32 v4, v21 :: v_dual_mov_b32 v5, v22
	v_dual_mov_b32 v21, v23 :: v_dual_mov_b32 v22, v24
	;; [unrolled: 1-line block ×4, first 2 shown]
; %bb.50:
	s_wait_alu 0xfffe
	s_or_b32 exec_lo, exec_lo, s9
	v_add_f64_e32 v[13:14], 0, v[64:65]
	v_add_f64_e32 v[23:24], 0, v[54:55]
	v_dual_mov_b32 v67, v65 :: v_dual_mov_b32 v66, v64
	s_mov_b32 s9, exec_lo
	s_delay_alu instid0(VALU_DEP_3) | instskip(NEXT) | instid1(VALU_DEP_3)
	v_ashrrev_i32_e32 v27, 31, v14
	v_ashrrev_i32_e32 v28, 31, v24
	s_delay_alu instid0(VALU_DEP_2) | instskip(NEXT) | instid1(VALU_DEP_2)
	v_or_b32_e32 v33, 0x80000000, v27
	v_or_b32_e32 v34, 0x80000000, v28
	v_xor_b32_e32 v13, v27, v13
	v_xor_b32_e32 v23, v28, v23
	v_dual_mov_b32 v27, v29 :: v_dual_mov_b32 v28, v30
	v_xor_b32_e32 v14, v33, v14
	v_xor_b32_e32 v24, v34, v24
	s_delay_alu instid0(VALU_DEP_1)
	v_cmpx_gt_u64_e64 v[13:14], v[23:24]
; %bb.51:
	v_dual_mov_b32 v67, v55 :: v_dual_mov_b32 v66, v54
	v_dual_mov_b32 v27, v48 :: v_dual_mov_b32 v28, v49
	;; [unrolled: 1-line block ×4, first 2 shown]
; %bb.52:
	s_wait_alu 0xfffe
	s_or_b32 exec_lo, exec_lo, s9
	v_add_f64_e32 v[13:14], 0, v[35:36]
	v_add_f64_e32 v[23:24], 0, v[50:51]
	s_delay_alu instid0(VALU_DEP_2) | instskip(NEXT) | instid1(VALU_DEP_2)
	v_ashrrev_i32_e32 v29, 31, v14
	v_ashrrev_i32_e32 v30, 31, v24
	s_delay_alu instid0(VALU_DEP_2) | instskip(NEXT) | instid1(VALU_DEP_2)
	v_or_b32_e32 v33, 0x80000000, v29
	v_or_b32_e32 v34, 0x80000000, v30
	v_xor_b32_e32 v13, v29, v13
	v_xor_b32_e32 v23, v30, v23
	s_delay_alu instid0(VALU_DEP_4) | instskip(NEXT) | instid1(VALU_DEP_4)
	v_xor_b32_e32 v14, v33, v14
	v_xor_b32_e32 v24, v34, v24
	v_dual_mov_b32 v33, v35 :: v_dual_mov_b32 v34, v36
	s_delay_alu instid0(VALU_DEP_2)
	v_cmp_gt_u64_e64 s7, v[13:14], v[23:24]
	v_dual_mov_b32 v13, v15 :: v_dual_mov_b32 v14, v16
	s_and_saveexec_b32 s9, s7
; %bb.53:
	v_dual_mov_b32 v13, v25 :: v_dual_mov_b32 v14, v26
	v_dual_mov_b32 v26, v16 :: v_dual_mov_b32 v25, v15
	v_dual_mov_b32 v33, v50 :: v_dual_mov_b32 v34, v51
	v_dual_mov_b32 v51, v36 :: v_dual_mov_b32 v50, v35
; %bb.54:
	s_wait_alu 0xfffe
	s_or_b32 exec_lo, exec_lo, s9
	v_add_f64_e32 v[15:16], 0, v[17:18]
	v_add_f64_e32 v[23:24], 0, v[21:22]
	v_dual_mov_b32 v53, v38 :: v_dual_mov_b32 v52, v37
	s_delay_alu instid0(VALU_DEP_3) | instskip(NEXT) | instid1(VALU_DEP_3)
	v_ashrrev_i32_e32 v29, 31, v16
	v_ashrrev_i32_e32 v30, 31, v24
	s_delay_alu instid0(VALU_DEP_2) | instskip(NEXT) | instid1(VALU_DEP_2)
	v_or_b32_e32 v35, 0x80000000, v29
	v_or_b32_e32 v36, 0x80000000, v30
	v_xor_b32_e32 v15, v29, v15
	v_xor_b32_e32 v23, v30, v23
	s_delay_alu instid0(VALU_DEP_4) | instskip(NEXT) | instid1(VALU_DEP_4)
	v_xor_b32_e32 v16, v35, v16
	v_xor_b32_e32 v24, v36, v24
	s_delay_alu instid0(VALU_DEP_1)
	v_cmp_gt_u64_e64 s7, v[15:16], v[23:24]
	v_dual_mov_b32 v24, v22 :: v_dual_mov_b32 v23, v21
	s_and_saveexec_b32 s9, s7
; %bb.55:
	v_dual_mov_b32 v24, v18 :: v_dual_mov_b32 v23, v17
	v_dual_mov_b32 v17, v21 :: v_dual_mov_b32 v18, v22
	v_dual_mov_b32 v53, v1 :: v_dual_mov_b32 v52, v0
	v_dual_mov_b32 v0, v37 :: v_dual_mov_b32 v1, v38
; %bb.56:
	s_wait_alu 0xfffe
	s_or_b32 exec_lo, exec_lo, s9
	v_add_f64_e32 v[15:16], 0, v[4:5]
	v_add_f64_e32 v[21:22], 0, v[66:67]
	v_dual_mov_b32 v38, v48 :: v_dual_mov_b32 v39, v49
	s_delay_alu instid0(VALU_DEP_3) | instskip(NEXT) | instid1(VALU_DEP_3)
	v_ashrrev_i32_e32 v29, 31, v16
	v_ashrrev_i32_e32 v30, 31, v22
	s_delay_alu instid0(VALU_DEP_2) | instskip(NEXT) | instid1(VALU_DEP_2)
	v_or_b32_e32 v35, 0x80000000, v29
	v_or_b32_e32 v36, 0x80000000, v30
	v_xor_b32_e32 v15, v29, v15
	v_xor_b32_e32 v21, v30, v21
	s_delay_alu instid0(VALU_DEP_4) | instskip(NEXT) | instid1(VALU_DEP_4)
	v_xor_b32_e32 v16, v35, v16
	v_xor_b32_e32 v22, v36, v22
	s_delay_alu instid0(VALU_DEP_1)
	;; [unrolled: 26-line block ×4, first 2 shown]
	v_cmp_gt_u64_e64 s7, v[15:16], v[25:26]
	v_dual_mov_b32 v16, v9 :: v_dual_mov_b32 v15, v8
	s_and_saveexec_b32 s9, s7
; %bb.61:
	v_dual_mov_b32 v16, v14 :: v_dual_mov_b32 v15, v13
	v_dual_mov_b32 v14, v9 :: v_dual_mov_b32 v13, v8
	;; [unrolled: 1-line block ×4, first 2 shown]
; %bb.62:
	s_wait_alu 0xfffe
	s_or_b32 exec_lo, exec_lo, s9
	v_add_f64_e32 v[8:9], 0, v[23:24]
	v_add_f64_e32 v[25:26], 0, v[4:5]
	v_dual_mov_b32 v51, v32 :: v_dual_mov_b32 v50, v31
	s_mov_b32 s9, exec_lo
	s_delay_alu instid0(VALU_DEP_3) | instskip(NEXT) | instid1(VALU_DEP_3)
	v_ashrrev_i32_e32 v35, 31, v9
	v_ashrrev_i32_e32 v36, 31, v26
	s_delay_alu instid0(VALU_DEP_2) | instskip(NEXT) | instid1(VALU_DEP_2)
	v_or_b32_e32 v37, 0x80000000, v35
	v_or_b32_e32 v48, 0x80000000, v36
	v_xor_b32_e32 v8, v35, v8
	v_xor_b32_e32 v25, v36, v25
	s_delay_alu instid0(VALU_DEP_4) | instskip(NEXT) | instid1(VALU_DEP_4)
	v_xor_b32_e32 v9, v37, v9
	v_xor_b32_e32 v26, v48, v26
	v_dual_mov_b32 v37, v5 :: v_dual_mov_b32 v36, v4
	s_delay_alu instid0(VALU_DEP_2)
	v_cmpx_gt_u64_e64 v[8:9], v[25:26]
; %bb.63:
	v_dual_mov_b32 v37, v24 :: v_dual_mov_b32 v36, v23
	v_dual_mov_b32 v24, v5 :: v_dual_mov_b32 v23, v4
	;; [unrolled: 1-line block ×4, first 2 shown]
; %bb.64:
	s_wait_alu 0xfffe
	s_or_b32 exec_lo, exec_lo, s9
	v_add_f64_e32 v[4:5], 0, v[21:22]
	v_add_f64_e32 v[8:9], 0, v[64:65]
	v_dual_mov_b32 v49, v28 :: v_dual_mov_b32 v48, v27
	s_delay_alu instid0(VALU_DEP_3) | instskip(NEXT) | instid1(VALU_DEP_3)
	v_ashrrev_i32_e32 v25, 31, v5
	v_ashrrev_i32_e32 v26, 31, v9
	s_delay_alu instid0(VALU_DEP_2) | instskip(NEXT) | instid1(VALU_DEP_2)
	v_or_b32_e32 v31, 0x80000000, v25
	v_or_b32_e32 v32, 0x80000000, v26
	v_xor_b32_e32 v4, v25, v4
	v_xor_b32_e32 v8, v26, v8
	s_delay_alu instid0(VALU_DEP_4) | instskip(NEXT) | instid1(VALU_DEP_4)
	v_xor_b32_e32 v5, v31, v5
	v_xor_b32_e32 v9, v32, v9
	s_delay_alu instid0(VALU_DEP_1)
	v_cmp_gt_u64_e64 s7, v[4:5], v[8:9]
	v_dual_mov_b32 v8, v21 :: v_dual_mov_b32 v9, v22
	s_and_saveexec_b32 s9, s7
; %bb.65:
	v_dual_mov_b32 v8, v64 :: v_dual_mov_b32 v9, v65
	v_dual_mov_b32 v49, v39 :: v_dual_mov_b32 v48, v38
	;; [unrolled: 1-line block ×4, first 2 shown]
; %bb.66:
	s_wait_alu 0xfffe
	s_or_b32 exec_lo, exec_lo, s9
	v_add_f64_e32 v[4:5], 0, v[33:34]
	v_add_f64_e32 v[21:22], 0, v[54:55]
	s_delay_alu instid0(VALU_DEP_2) | instskip(NEXT) | instid1(VALU_DEP_2)
	v_ashrrev_i32_e32 v25, 31, v5
	v_ashrrev_i32_e32 v26, 31, v22
	s_delay_alu instid0(VALU_DEP_2) | instskip(NEXT) | instid1(VALU_DEP_2)
	v_or_b32_e32 v27, 0x80000000, v25
	v_or_b32_e32 v28, 0x80000000, v26
	v_xor_b32_e32 v4, v25, v4
	v_xor_b32_e32 v21, v26, v21
	v_dual_mov_b32 v25, v33 :: v_dual_mov_b32 v26, v34
	v_xor_b32_e32 v5, v27, v5
	v_xor_b32_e32 v22, v28, v22
	s_delay_alu instid0(VALU_DEP_1)
	v_cmp_gt_u64_e64 s7, v[4:5], v[21:22]
	v_dual_mov_b32 v22, v14 :: v_dual_mov_b32 v21, v13
	s_and_saveexec_b32 s9, s7
; %bb.67:
	v_dual_mov_b32 v21, v29 :: v_dual_mov_b32 v22, v30
	v_dual_mov_b32 v30, v14 :: v_dual_mov_b32 v29, v13
	;; [unrolled: 1-line block ×4, first 2 shown]
; %bb.68:
	s_wait_alu 0xfffe
	s_or_b32 exec_lo, exec_lo, s9
	v_add_f64_e32 v[4:5], 0, v[17:18]
	v_add_f64_e32 v[13:14], 0, v[23:24]
	s_delay_alu instid0(VALU_DEP_2) | instskip(NEXT) | instid1(VALU_DEP_2)
	v_ashrrev_i32_e32 v27, 31, v5
	v_ashrrev_i32_e32 v28, 31, v14
	s_delay_alu instid0(VALU_DEP_2) | instskip(NEXT) | instid1(VALU_DEP_2)
	v_or_b32_e32 v31, 0x80000000, v27
	v_or_b32_e32 v32, 0x80000000, v28
	v_xor_b32_e32 v4, v27, v4
	v_xor_b32_e32 v13, v28, v13
	v_dual_mov_b32 v28, v24 :: v_dual_mov_b32 v27, v23
	v_xor_b32_e32 v5, v31, v5
	v_xor_b32_e32 v14, v32, v14
	s_delay_alu instid0(VALU_DEP_1)
	v_cmp_gt_u64_e64 s7, v[4:5], v[13:14]
	v_dual_mov_b32 v4, v52 :: v_dual_mov_b32 v5, v53
	s_and_saveexec_b32 s9, s7
; %bb.69:
	v_dual_mov_b32 v28, v18 :: v_dual_mov_b32 v27, v17
	v_dual_mov_b32 v17, v23 :: v_dual_mov_b32 v18, v24
	;; [unrolled: 1-line block ×4, first 2 shown]
; %bb.70:
	s_wait_alu 0xfffe
	s_or_b32 exec_lo, exec_lo, s9
	v_add_f64_e32 v[13:14], 0, v[36:37]
	v_add_f64_e32 v[23:24], 0, v[8:9]
	s_delay_alu instid0(VALU_DEP_2) | instskip(NEXT) | instid1(VALU_DEP_2)
	v_ashrrev_i32_e32 v31, 31, v14
	v_ashrrev_i32_e32 v32, 31, v24
	s_delay_alu instid0(VALU_DEP_2) | instskip(NEXT) | instid1(VALU_DEP_2)
	v_or_b32_e32 v33, 0x80000000, v31
	v_or_b32_e32 v34, 0x80000000, v32
	v_xor_b32_e32 v13, v31, v13
	v_xor_b32_e32 v23, v32, v23
	s_delay_alu instid0(VALU_DEP_4) | instskip(NEXT) | instid1(VALU_DEP_4)
	v_xor_b32_e32 v14, v33, v14
	v_xor_b32_e32 v24, v34, v24
	s_delay_alu instid0(VALU_DEP_1)
	v_cmp_gt_u64_e64 s7, v[13:14], v[23:24]
	v_dual_mov_b32 v24, v9 :: v_dual_mov_b32 v23, v8
	v_dual_mov_b32 v13, v38 :: v_dual_mov_b32 v14, v39
	s_and_saveexec_b32 s9, s7
; %bb.71:
	v_dual_mov_b32 v23, v36 :: v_dual_mov_b32 v24, v37
	v_dual_mov_b32 v37, v9 :: v_dual_mov_b32 v36, v8
	v_dual_mov_b32 v13, v50 :: v_dual_mov_b32 v14, v51
	v_dual_mov_b32 v51, v39 :: v_dual_mov_b32 v50, v38
; %bb.72:
	s_wait_alu 0xfffe
	s_or_b32 exec_lo, exec_lo, s9
	v_add_f64_e32 v[8:9], 0, v[64:65]
	v_add_f64_e32 v[31:32], 0, v[25:26]
	v_dual_mov_b32 v53, v30 :: v_dual_mov_b32 v52, v29
	s_delay_alu instid0(VALU_DEP_3) | instskip(NEXT) | instid1(VALU_DEP_3)
	v_ashrrev_i32_e32 v33, 31, v9
	v_ashrrev_i32_e32 v34, 31, v32
	s_delay_alu instid0(VALU_DEP_2) | instskip(NEXT) | instid1(VALU_DEP_2)
	v_or_b32_e32 v35, 0x80000000, v33
	v_or_b32_e32 v38, 0x80000000, v34
	v_xor_b32_e32 v8, v33, v8
	v_xor_b32_e32 v31, v34, v31
	s_delay_alu instid0(VALU_DEP_4) | instskip(NEXT) | instid1(VALU_DEP_4)
	v_xor_b32_e32 v9, v35, v9
	v_xor_b32_e32 v32, v38, v32
	s_delay_alu instid0(VALU_DEP_1)
	v_cmp_gt_u64_e64 s7, v[8:9], v[31:32]
	v_dual_mov_b32 v32, v64 :: v_dual_mov_b32 v33, v65
	s_and_saveexec_b32 s9, s7
; %bb.73:
	v_dual_mov_b32 v53, v49 :: v_dual_mov_b32 v52, v48
	v_dual_mov_b32 v49, v30 :: v_dual_mov_b32 v48, v29
	;; [unrolled: 1-line block ×4, first 2 shown]
; %bb.74:
	s_wait_alu 0xfffe
	s_or_b32 exec_lo, exec_lo, s9
	v_add_f64_e32 v[8:9], 0, v[54:55]
	v_add_f64_e32 v[29:30], 0, v[19:20]
	v_dual_mov_b32 v65, v55 :: v_dual_mov_b32 v64, v54
	s_mov_b32 s9, exec_lo
	s_delay_alu instid0(VALU_DEP_3) | instskip(NEXT) | instid1(VALU_DEP_3)
	v_ashrrev_i32_e32 v31, 31, v9
	v_ashrrev_i32_e32 v34, 31, v30
	s_delay_alu instid0(VALU_DEP_2) | instskip(NEXT) | instid1(VALU_DEP_2)
	v_or_b32_e32 v35, 0x80000000, v31
	v_or_b32_e32 v38, 0x80000000, v34
	v_xor_b32_e32 v8, v31, v8
	v_xor_b32_e32 v29, v34, v29
	s_delay_alu instid0(VALU_DEP_4) | instskip(NEXT) | instid1(VALU_DEP_4)
	v_xor_b32_e32 v9, v35, v9
	v_xor_b32_e32 v30, v38, v30
	v_dual_mov_b32 v35, v16 :: v_dual_mov_b32 v34, v15
	s_delay_alu instid0(VALU_DEP_2)
	v_cmpx_gt_u64_e64 v[8:9], v[29:30]
; %bb.75:
	v_dual_mov_b32 v35, v22 :: v_dual_mov_b32 v34, v21
	v_dual_mov_b32 v22, v16 :: v_dual_mov_b32 v21, v15
	;; [unrolled: 1-line block ×4, first 2 shown]
; %bb.76:
	s_wait_alu 0xfffe
	s_or_b32 exec_lo, exec_lo, s9
	v_add_f64_e32 v[8:9], 0, v[27:28]
	v_add_f64_e32 v[15:16], 0, v[36:37]
	s_delay_alu instid0(VALU_DEP_2) | instskip(NEXT) | instid1(VALU_DEP_2)
	v_ashrrev_i32_e32 v29, 31, v9
	v_ashrrev_i32_e32 v30, 31, v16
	s_delay_alu instid0(VALU_DEP_2) | instskip(NEXT) | instid1(VALU_DEP_2)
	v_or_b32_e32 v31, 0x80000000, v29
	v_or_b32_e32 v38, 0x80000000, v30
	v_xor_b32_e32 v8, v29, v8
	v_xor_b32_e32 v15, v30, v15
	v_dual_mov_b32 v29, v36 :: v_dual_mov_b32 v30, v37
	v_xor_b32_e32 v9, v31, v9
	v_xor_b32_e32 v16, v38, v16
	s_delay_alu instid0(VALU_DEP_1)
	v_cmp_gt_u64_e64 s7, v[8:9], v[15:16]
	v_dual_mov_b32 v8, v50 :: v_dual_mov_b32 v9, v51
	s_and_saveexec_b32 s9, s7
; %bb.77:
	v_dual_mov_b32 v30, v28 :: v_dual_mov_b32 v29, v27
	v_dual_mov_b32 v27, v36 :: v_dual_mov_b32 v28, v37
	;; [unrolled: 1-line block ×4, first 2 shown]
; %bb.78:
	s_wait_alu 0xfffe
	s_or_b32 exec_lo, exec_lo, s9
	v_add_f64_e32 v[15:16], 0, v[23:24]
	v_add_f64_e32 v[36:37], 0, v[32:33]
	s_delay_alu instid0(VALU_DEP_2) | instskip(NEXT) | instid1(VALU_DEP_2)
	v_ashrrev_i32_e32 v31, 31, v16
	v_ashrrev_i32_e32 v38, 31, v37
	s_delay_alu instid0(VALU_DEP_2) | instskip(NEXT) | instid1(VALU_DEP_2)
	v_or_b32_e32 v39, 0x80000000, v31
	v_or_b32_e32 v50, 0x80000000, v38
	v_xor_b32_e32 v15, v31, v15
	v_xor_b32_e32 v36, v38, v36
	s_delay_alu instid0(VALU_DEP_4) | instskip(NEXT) | instid1(VALU_DEP_4)
	v_xor_b32_e32 v16, v39, v16
	v_xor_b32_e32 v37, v50, v37
	v_dual_mov_b32 v39, v24 :: v_dual_mov_b32 v38, v23
	s_delay_alu instid0(VALU_DEP_2)
	v_cmp_gt_u64_e64 s7, v[15:16], v[36:37]
	v_dual_mov_b32 v15, v48 :: v_dual_mov_b32 v16, v49
	s_and_saveexec_b32 s9, s7
; %bb.79:
	v_dual_mov_b32 v39, v33 :: v_dual_mov_b32 v38, v32
	v_dual_mov_b32 v16, v14 :: v_dual_mov_b32 v15, v13
	;; [unrolled: 1-line block ×4, first 2 shown]
; %bb.80:
	s_wait_alu 0xfffe
	s_or_b32 exec_lo, exec_lo, s9
	v_add_f64_e32 v[23:24], 0, v[25:26]
	v_add_f64_e32 v[36:37], 0, v[64:65]
	s_delay_alu instid0(VALU_DEP_2) | instskip(NEXT) | instid1(VALU_DEP_2)
	v_ashrrev_i32_e32 v31, 31, v24
	v_ashrrev_i32_e32 v48, 31, v37
	s_delay_alu instid0(VALU_DEP_2) | instskip(NEXT) | instid1(VALU_DEP_2)
	v_or_b32_e32 v49, 0x80000000, v31
	v_or_b32_e32 v50, 0x80000000, v48
	v_xor_b32_e32 v23, v31, v23
	v_xor_b32_e32 v36, v48, v36
	s_delay_alu instid0(VALU_DEP_4) | instskip(NEXT) | instid1(VALU_DEP_4)
	v_xor_b32_e32 v24, v49, v24
	v_xor_b32_e32 v37, v50, v37
	s_delay_alu instid0(VALU_DEP_1)
	v_cmp_gt_u64_e64 s7, v[23:24], v[36:37]
	v_dual_mov_b32 v36, v64 :: v_dual_mov_b32 v37, v65
	v_dual_mov_b32 v23, v52 :: v_dual_mov_b32 v24, v53
	s_and_saveexec_b32 s9, s7
; %bb.81:
	v_dual_mov_b32 v37, v26 :: v_dual_mov_b32 v36, v25
	v_dual_mov_b32 v25, v64 :: v_dual_mov_b32 v26, v65
	;; [unrolled: 1-line block ×4, first 2 shown]
; %bb.82:
	s_wait_alu 0xfffe
	s_or_b32 exec_lo, exec_lo, s9
.LBB1236_83:
	s_wait_alu 0xfffe
	s_or_b32 exec_lo, exec_lo, s8
	v_and_b32_e32 v31, 0xffffff00, v68
	v_or_b32_e32 v48, 8, v71
	s_mov_b32 s8, exec_lo
	s_delay_alu instid0(VALU_DEP_2) | instskip(SKIP_2) | instid1(VALU_DEP_3)
	v_sub_nc_u32_e64 v82, 0x800, v31 clamp
	v_lshlrev_b32_e32 v80, 3, v31
	v_and_b32_e32 v31, 8, v71
	v_min_u32_e32 v87, v82, v48
	v_and_b32_e32 v48, 0xf0, v71
	s_delay_alu instid0(VALU_DEP_4) | instskip(NEXT) | instid1(VALU_DEP_4)
	v_lshl_or_b32 v81, v71, 3, v80
	v_min_u32_e32 v50, v82, v31
	s_wait_loadcnt_dscnt 0x0
	ds_store_2addr_b64 v81, v[17:18], v[27:28] offset1:1
	ds_store_2addr_b64 v81, v[29:30], v[38:39] offset0:2 offset1:3
	v_add_nc_u32_e32 v49, 8, v87
	v_add_nc_u32_e32 v83, 0x4000, v81
	;; [unrolled: 1-line block ×5, first 2 shown]
	v_min_u32_e32 v96, v82, v49
	v_sub_nc_u32_e32 v49, v87, v48
	ds_store_2addr_b64 v83, v[0:1], v[4:5] offset1:1
	ds_store_2addr_b64 v84, v[8:9], v[13:14] offset1:1
	ds_store_2addr_b64 v81, v[32:33], v[25:26] offset0:4 offset1:5
	ds_store_2addr_b64 v81, v[36:37], v[19:20] offset0:6 offset1:7
	ds_store_2addr_b64 v85, v[15:16], v[23:24] offset1:1
	ds_store_2addr_b64 v86, v[21:22], v[34:35] offset1:1
	v_sub_nc_u32_e32 v31, v96, v87
	v_min_u32_e32 v51, v50, v49
	v_lshl_or_b32 v49, v48, 3, v80
	; wave barrier
	s_delay_alu instid0(VALU_DEP_3) | instskip(NEXT) | instid1(VALU_DEP_1)
	v_sub_nc_u32_e64 v31, v50, v31 clamp
	v_cmpx_lt_u32_e64 v31, v51
	s_cbranch_execz .LBB1236_87
; %bb.84:
	v_lshlrev_b32_e32 v52, 3, v87
	v_lshlrev_b32_e32 v53, 3, v50
	s_mov_b32 s9, 0
	s_delay_alu instid0(VALU_DEP_1)
	v_add3_u32 v52, v80, v52, v53
.LBB1236_85:                            ; =>This Inner Loop Header: Depth=1
	v_add_nc_u32_e32 v53, v51, v31
	s_delay_alu instid0(VALU_DEP_1) | instskip(NEXT) | instid1(VALU_DEP_1)
	v_lshrrev_b32_e32 v55, 1, v53
	v_not_b32_e32 v53, v55
	v_lshl_add_u32 v54, v55, 3, v49
	s_delay_alu instid0(VALU_DEP_2)
	v_lshl_add_u32 v64, v53, 3, v52
	ds_load_b64 v[53:54], v54
	ds_load_b64 v[64:65], v64
	s_wait_dscnt 0x1
	v_add_f64_e32 v[53:54], 0, v[53:54]
	s_wait_dscnt 0x0
	v_add_f64_e32 v[64:65], 0, v[64:65]
	s_delay_alu instid0(VALU_DEP_2) | instskip(NEXT) | instid1(VALU_DEP_2)
	v_ashrrev_i32_e32 v66, 31, v54
	v_ashrrev_i32_e32 v67, 31, v65
	s_delay_alu instid0(VALU_DEP_2) | instskip(NEXT) | instid1(VALU_DEP_2)
	v_or_b32_e32 v68, 0x80000000, v66
	v_or_b32_e32 v69, 0x80000000, v67
	v_xor_b32_e32 v53, v66, v53
	v_xor_b32_e32 v64, v67, v64
	s_delay_alu instid0(VALU_DEP_4) | instskip(NEXT) | instid1(VALU_DEP_4)
	v_xor_b32_e32 v54, v68, v54
	v_xor_b32_e32 v65, v69, v65
	s_delay_alu instid0(VALU_DEP_1) | instskip(SKIP_2) | instid1(VALU_DEP_2)
	v_cmp_gt_u64_e64 s7, v[53:54], v[64:65]
	v_add_nc_u32_e32 v53, 1, v55
	s_wait_alu 0xf1ff
	v_cndmask_b32_e64 v51, v51, v55, s7
	s_delay_alu instid0(VALU_DEP_2) | instskip(NEXT) | instid1(VALU_DEP_1)
	v_cndmask_b32_e64 v31, v53, v31, s7
	v_cmp_ge_u32_e64 s7, v31, v51
	s_wait_alu 0xfffe
	s_or_b32 s9, s7, s9
	s_wait_alu 0xfffe
	s_and_not1_b32 exec_lo, exec_lo, s9
	s_cbranch_execnz .LBB1236_85
; %bb.86:
	s_or_b32 exec_lo, exec_lo, s9
.LBB1236_87:
	s_wait_alu 0xfffe
	s_or_b32 exec_lo, exec_lo, s8
	v_add_nc_u32_e32 v50, v87, v50
	v_add_nc_u32_e32 v48, v31, v48
	s_delay_alu instid0(VALU_DEP_2) | instskip(NEXT) | instid1(VALU_DEP_2)
	v_sub_nc_u32_e32 v50, v50, v31
	v_cmp_le_u32_e64 s7, v48, v87
	s_delay_alu instid0(VALU_DEP_2)
	v_cmp_le_u32_e64 s8, v50, v96
	s_or_b32 s7, s7, s8
	s_wait_alu 0xfffe
	s_and_saveexec_b32 s9, s7
	s_cbranch_execz .LBB1236_123
; %bb.88:
	v_cmp_ge_u32_e64 s7, v48, v87
	s_mov_b32 s10, exec_lo
                                        ; implicit-def: $vgpr17_vgpr18
	v_cmpx_lt_u32_e64 v48, v87
; %bb.89:
	v_lshl_add_u32 v0, v31, 3, v49
	ds_load_b64 v[17:18], v0
; %bb.90:
	s_wait_alu 0xfffe
	s_or_b32 exec_lo, exec_lo, s10
	v_cmp_ge_u32_e64 s10, v50, v96
	s_mov_b32 s11, exec_lo
                                        ; implicit-def: $vgpr19_vgpr20
	v_cmpx_lt_u32_e64 v50, v96
; %bb.91:
	v_lshl_add_u32 v0, v50, 3, v80
	ds_load_b64 v[19:20], v0
; %bb.92:
	s_wait_alu 0xfffe
	s_or_b32 exec_lo, exec_lo, s11
	s_nor_b32 s7, s7, s10
	s_wait_alu 0xfffe
	s_and_saveexec_b32 s8, s7
	s_cbranch_execz .LBB1236_94
; %bb.93:
	s_wait_dscnt 0x0
	v_add_f64_e32 v[0:1], 0, v[17:18]
	v_add_f64_e32 v[4:5], 0, v[19:20]
	s_and_not1_b32 s10, s10, exec_lo
	s_delay_alu instid0(VALU_DEP_2) | instskip(NEXT) | instid1(VALU_DEP_2)
	v_ashrrev_i32_e32 v8, 31, v1
	v_ashrrev_i32_e32 v9, 31, v5
	s_delay_alu instid0(VALU_DEP_2) | instskip(NEXT) | instid1(VALU_DEP_2)
	v_or_b32_e32 v13, 0x80000000, v8
	v_or_b32_e32 v14, 0x80000000, v9
	v_xor_b32_e32 v0, v8, v0
	v_xor_b32_e32 v4, v9, v4
	s_delay_alu instid0(VALU_DEP_4) | instskip(NEXT) | instid1(VALU_DEP_4)
	v_xor_b32_e32 v1, v13, v1
	v_xor_b32_e32 v5, v14, v5
	s_delay_alu instid0(VALU_DEP_1)
	v_cmp_le_u64_e64 s7, v[0:1], v[4:5]
	s_and_b32 s7, s7, exec_lo
	s_wait_alu 0xfffe
	s_or_b32 s10, s10, s7
.LBB1236_94:
	s_wait_alu 0xfffe
	s_or_b32 exec_lo, exec_lo, s8
	v_cndmask_b32_e64 v0, v50, v48, s10
	v_cndmask_b32_e64 v1, v96, v87, s10
	s_mov_b32 s11, -1
	s_mov_b32 s8, -1
	s_mov_b32 s12, exec_lo
	v_add_nc_u32_e32 v9, 1, v0
	v_add_nc_u32_e32 v1, -1, v1
	v_lshl_add_u32 v0, v0, 3, v80
	s_delay_alu instid0(VALU_DEP_3) | instskip(NEXT) | instid1(VALU_DEP_3)
	v_cndmask_b32_e64 v8, v9, v50, s10
	v_min_u32_e32 v1, v9, v1
	v_cndmask_b32_e64 v9, v48, v9, s10
	s_delay_alu instid0(VALU_DEP_2)
	v_lshl_add_u32 v1, v1, 3, v80
	ds_load_b64 v[4:5], v1
	ds_load_b64 v[0:1], v0 offset:16384
	s_wait_dscnt 0x1
	v_cndmask_b32_e64 v28, v5, v20, s10
	v_cndmask_b32_e64 v27, v4, v19, s10
	;; [unrolled: 1-line block ×4, first 2 shown]
	v_cmpx_lt_u32_e64 v8, v96
	s_cbranch_execz .LBB1236_98
; %bb.95:
	s_mov_b32 s13, 0
	s_mov_b32 s8, exec_lo
	v_cmpx_lt_u32_e64 v9, v87
	s_cbranch_execz .LBB1236_97
; %bb.96:
	v_add_f64_e32 v[4:5], 0, v[48:49]
	v_add_f64_e32 v[13:14], 0, v[27:28]
	s_delay_alu instid0(VALU_DEP_2) | instskip(NEXT) | instid1(VALU_DEP_2)
	v_ashrrev_i32_e32 v15, 31, v5
	v_ashrrev_i32_e32 v16, 31, v14
	s_delay_alu instid0(VALU_DEP_2) | instskip(NEXT) | instid1(VALU_DEP_2)
	v_or_b32_e32 v21, 0x80000000, v15
	v_or_b32_e32 v22, 0x80000000, v16
	v_xor_b32_e32 v4, v15, v4
	v_xor_b32_e32 v13, v16, v13
	s_delay_alu instid0(VALU_DEP_4) | instskip(NEXT) | instid1(VALU_DEP_4)
	v_xor_b32_e32 v5, v21, v5
	v_xor_b32_e32 v14, v22, v14
	s_delay_alu instid0(VALU_DEP_1)
	v_cmp_le_u64_e64 s7, v[4:5], v[13:14]
	s_and_b32 s13, s7, exec_lo
.LBB1236_97:
	s_wait_alu 0xfffe
	s_or_b32 exec_lo, exec_lo, s8
	s_delay_alu instid0(SALU_CYCLE_1)
	s_or_not1_b32 s8, s13, exec_lo
.LBB1236_98:
	s_wait_alu 0xfffe
	s_or_b32 exec_lo, exec_lo, s12
	v_cndmask_b32_e64 v4, v8, v9, s8
	v_cndmask_b32_e64 v5, v96, v87, s8
	s_mov_b32 s12, exec_lo
	s_delay_alu instid0(VALU_DEP_2) | instskip(NEXT) | instid1(VALU_DEP_2)
	v_add_nc_u32_e32 v14, 1, v4
	v_add_nc_u32_e32 v5, -1, v5
	v_lshl_add_u32 v4, v4, 3, v80
	s_delay_alu instid0(VALU_DEP_3) | instskip(NEXT) | instid1(VALU_DEP_3)
	v_cndmask_b32_e64 v13, v14, v8, s8
	v_min_u32_e32 v5, v14, v5
	v_cndmask_b32_e64 v14, v9, v14, s8
	s_delay_alu instid0(VALU_DEP_2)
	v_lshl_add_u32 v5, v5, 3, v80
	ds_load_b64 v[15:16], v5
	ds_load_b64 v[4:5], v4 offset:16384
	s_wait_dscnt 0x1
	v_cndmask_b32_e64 v30, v16, v28, s8
	v_cndmask_b32_e64 v29, v15, v27, s8
	;; [unrolled: 1-line block ×4, first 2 shown]
	v_cmpx_lt_u32_e64 v13, v96
	s_cbranch_execz .LBB1236_102
; %bb.99:
	s_mov_b32 s13, 0
	s_mov_b32 s11, exec_lo
	v_cmpx_lt_u32_e64 v14, v87
	s_cbranch_execz .LBB1236_101
; %bb.100:
	v_add_f64_e32 v[8:9], 0, v[50:51]
	v_add_f64_e32 v[15:16], 0, v[29:30]
	s_delay_alu instid0(VALU_DEP_2) | instskip(NEXT) | instid1(VALU_DEP_2)
	v_ashrrev_i32_e32 v21, 31, v9
	v_ashrrev_i32_e32 v22, 31, v16
	s_delay_alu instid0(VALU_DEP_2) | instskip(NEXT) | instid1(VALU_DEP_2)
	v_or_b32_e32 v23, 0x80000000, v21
	v_or_b32_e32 v24, 0x80000000, v22
	v_xor_b32_e32 v8, v21, v8
	v_xor_b32_e32 v15, v22, v15
	s_delay_alu instid0(VALU_DEP_4) | instskip(NEXT) | instid1(VALU_DEP_4)
	v_xor_b32_e32 v9, v23, v9
	v_xor_b32_e32 v16, v24, v16
	s_delay_alu instid0(VALU_DEP_1)
	v_cmp_le_u64_e64 s7, v[8:9], v[15:16]
	s_and_b32 s13, s7, exec_lo
.LBB1236_101:
	s_wait_alu 0xfffe
	s_or_b32 exec_lo, exec_lo, s11
	s_delay_alu instid0(SALU_CYCLE_1)
	s_or_not1_b32 s11, s13, exec_lo
.LBB1236_102:
	s_wait_alu 0xfffe
	s_or_b32 exec_lo, exec_lo, s12
	v_cndmask_b32_e64 v8, v13, v14, s11
	v_cndmask_b32_e64 v9, v96, v87, s11
	s_mov_b32 s13, -1
	s_mov_b32 s12, -1
	s_mov_b32 s14, exec_lo
	v_add_nc_u32_e32 v16, 1, v8
	v_add_nc_u32_e32 v9, -1, v9
	v_lshl_add_u32 v8, v8, 3, v80
	s_delay_alu instid0(VALU_DEP_3) | instskip(NEXT) | instid1(VALU_DEP_3)
	v_cndmask_b32_e64 v15, v16, v13, s11
	v_min_u32_e32 v9, v16, v9
	v_cndmask_b32_e64 v16, v14, v16, s11
	s_delay_alu instid0(VALU_DEP_2)
	v_lshl_add_u32 v9, v9, 3, v80
	ds_load_b64 v[21:22], v9
	ds_load_b64 v[8:9], v8 offset:16384
	s_wait_dscnt 0x1
	v_cndmask_b32_e64 v39, v22, v30, s11
	v_cndmask_b32_e64 v38, v21, v29, s11
	;; [unrolled: 1-line block ×4, first 2 shown]
	v_cmpx_lt_u32_e64 v15, v96
	s_cbranch_execz .LBB1236_106
; %bb.103:
	s_mov_b32 s15, 0
	s_mov_b32 s12, exec_lo
	v_cmpx_lt_u32_e64 v16, v87
	s_cbranch_execz .LBB1236_105
; %bb.104:
	v_add_f64_e32 v[13:14], 0, v[52:53]
	v_add_f64_e32 v[21:22], 0, v[38:39]
	s_delay_alu instid0(VALU_DEP_2) | instskip(NEXT) | instid1(VALU_DEP_2)
	v_ashrrev_i32_e32 v23, 31, v14
	v_ashrrev_i32_e32 v24, 31, v22
	s_delay_alu instid0(VALU_DEP_2) | instskip(NEXT) | instid1(VALU_DEP_2)
	v_or_b32_e32 v25, 0x80000000, v23
	v_or_b32_e32 v26, 0x80000000, v24
	v_xor_b32_e32 v13, v23, v13
	v_xor_b32_e32 v21, v24, v21
	s_delay_alu instid0(VALU_DEP_4) | instskip(NEXT) | instid1(VALU_DEP_4)
	v_xor_b32_e32 v14, v25, v14
	v_xor_b32_e32 v22, v26, v22
	s_delay_alu instid0(VALU_DEP_1)
	v_cmp_le_u64_e64 s7, v[13:14], v[21:22]
	s_and_b32 s15, s7, exec_lo
.LBB1236_105:
	s_wait_alu 0xfffe
	s_or_b32 exec_lo, exec_lo, s12
	s_delay_alu instid0(SALU_CYCLE_1)
	s_or_not1_b32 s12, s15, exec_lo
.LBB1236_106:
	s_wait_alu 0xfffe
	s_or_b32 exec_lo, exec_lo, s14
	v_cndmask_b32_e64 v13, v15, v16, s12
	v_cndmask_b32_e64 v14, v96, v87, s12
	s_mov_b32 s14, exec_lo
	s_delay_alu instid0(VALU_DEP_2) | instskip(NEXT) | instid1(VALU_DEP_2)
	v_add_nc_u32_e32 v22, 1, v13
	v_add_nc_u32_e32 v14, -1, v14
	v_lshl_add_u32 v13, v13, 3, v80
	s_delay_alu instid0(VALU_DEP_3) | instskip(NEXT) | instid1(VALU_DEP_3)
	v_cndmask_b32_e64 v21, v22, v15, s12
	v_min_u32_e32 v14, v22, v14
	v_cndmask_b32_e64 v22, v16, v22, s12
	s_delay_alu instid0(VALU_DEP_2)
	v_lshl_add_u32 v14, v14, 3, v80
	ds_load_b64 v[23:24], v14
	ds_load_b64 v[13:14], v13 offset:16384
	s_wait_dscnt 0x1
	v_cndmask_b32_e64 v32, v24, v39, s12
	v_cndmask_b32_e64 v31, v23, v38, s12
	;; [unrolled: 1-line block ×4, first 2 shown]
	v_cmpx_lt_u32_e64 v21, v96
	s_cbranch_execz .LBB1236_110
; %bb.107:
	s_mov_b32 s15, 0
	s_mov_b32 s13, exec_lo
	v_cmpx_lt_u32_e64 v22, v87
	s_cbranch_execz .LBB1236_109
; %bb.108:
	v_add_f64_e32 v[15:16], 0, v[54:55]
	v_add_f64_e32 v[23:24], 0, v[31:32]
	s_delay_alu instid0(VALU_DEP_2) | instskip(NEXT) | instid1(VALU_DEP_2)
	v_ashrrev_i32_e32 v25, 31, v16
	v_ashrrev_i32_e32 v26, 31, v24
	s_delay_alu instid0(VALU_DEP_2) | instskip(NEXT) | instid1(VALU_DEP_2)
	v_or_b32_e32 v33, 0x80000000, v25
	v_or_b32_e32 v34, 0x80000000, v26
	v_xor_b32_e32 v15, v25, v15
	v_xor_b32_e32 v23, v26, v23
	s_delay_alu instid0(VALU_DEP_4) | instskip(NEXT) | instid1(VALU_DEP_4)
	v_xor_b32_e32 v16, v33, v16
	v_xor_b32_e32 v24, v34, v24
	s_delay_alu instid0(VALU_DEP_1)
	v_cmp_le_u64_e64 s7, v[15:16], v[23:24]
	s_and_b32 s15, s7, exec_lo
.LBB1236_109:
	s_wait_alu 0xfffe
	s_or_b32 exec_lo, exec_lo, s13
	s_delay_alu instid0(SALU_CYCLE_1)
	s_or_not1_b32 s13, s15, exec_lo
.LBB1236_110:
	s_wait_alu 0xfffe
	s_or_b32 exec_lo, exec_lo, s14
	v_cndmask_b32_e64 v15, v21, v22, s13
	v_cndmask_b32_e64 v16, v96, v87, s13
	s_mov_b32 s15, -1
	s_mov_b32 s14, -1
	s_mov_b32 s16, exec_lo
	v_add_nc_u32_e32 v25, 1, v15
	v_add_nc_u32_e32 v16, -1, v16
	v_lshl_add_u32 v15, v15, 3, v80
	s_delay_alu instid0(VALU_DEP_3) | instskip(NEXT) | instid1(VALU_DEP_3)
	v_cndmask_b32_e64 v21, v25, v21, s13
	v_min_u32_e32 v16, v25, v16
	v_cndmask_b32_e64 v22, v22, v25, s13
	s_delay_alu instid0(VALU_DEP_2)
	v_lshl_add_u32 v16, v16, 3, v80
	ds_load_b64 v[23:24], v16
	ds_load_b64 v[15:16], v15 offset:16384
	s_wait_dscnt 0x1
	v_cndmask_b32_e64 v26, v24, v32, s13
	v_cndmask_b32_e64 v25, v23, v31, s13
	;; [unrolled: 1-line block ×4, first 2 shown]
	v_cmpx_lt_u32_e64 v21, v96
	s_cbranch_execz .LBB1236_114
; %bb.111:
	s_mov_b32 s17, 0
	s_mov_b32 s14, exec_lo
	v_cmpx_lt_u32_e64 v22, v87
	s_cbranch_execz .LBB1236_113
; %bb.112:
	v_add_f64_e32 v[23:24], 0, v[64:65]
	v_add_f64_e32 v[33:34], 0, v[25:26]
	s_delay_alu instid0(VALU_DEP_2) | instskip(NEXT) | instid1(VALU_DEP_2)
	v_ashrrev_i32_e32 v35, 31, v24
	v_ashrrev_i32_e32 v36, 31, v34
	s_delay_alu instid0(VALU_DEP_2) | instskip(NEXT) | instid1(VALU_DEP_2)
	v_or_b32_e32 v37, 0x80000000, v35
	v_or_b32_e32 v66, 0x80000000, v36
	v_xor_b32_e32 v23, v35, v23
	v_xor_b32_e32 v33, v36, v33
	s_delay_alu instid0(VALU_DEP_4) | instskip(NEXT) | instid1(VALU_DEP_4)
	v_xor_b32_e32 v24, v37, v24
	v_xor_b32_e32 v34, v66, v34
	s_delay_alu instid0(VALU_DEP_1)
	v_cmp_le_u64_e64 s7, v[23:24], v[33:34]
	s_and_b32 s17, s7, exec_lo
.LBB1236_113:
	s_wait_alu 0xfffe
	s_or_b32 exec_lo, exec_lo, s14
	s_delay_alu instid0(SALU_CYCLE_1)
	s_or_not1_b32 s14, s17, exec_lo
.LBB1236_114:
	s_wait_alu 0xfffe
	s_or_b32 exec_lo, exec_lo, s16
	v_cndmask_b32_e64 v23, v21, v22, s14
	v_cndmask_b32_e64 v24, v96, v87, s14
	s_mov_b32 s16, exec_lo
	s_delay_alu instid0(VALU_DEP_2) | instskip(NEXT) | instid1(VALU_DEP_2)
	v_add_nc_u32_e32 v33, 1, v23
	v_add_nc_u32_e32 v24, -1, v24
	v_lshl_add_u32 v23, v23, 3, v80
	s_delay_alu instid0(VALU_DEP_3) | instskip(NEXT) | instid1(VALU_DEP_3)
	v_cndmask_b32_e64 v35, v33, v21, s14
	v_min_u32_e32 v24, v33, v24
	v_cndmask_b32_e64 v66, v22, v33, s14
	s_delay_alu instid0(VALU_DEP_2)
	v_lshl_add_u32 v24, v24, 3, v80
	ds_load_b64 v[36:37], v24
	ds_load_b64 v[23:24], v23 offset:16384
	s_wait_dscnt 0x1
	v_cndmask_b32_e64 v34, v37, v26, s14
	v_cndmask_b32_e64 v33, v36, v25, s14
	;; [unrolled: 1-line block ×4, first 2 shown]
	v_cmpx_lt_u32_e64 v35, v96
	s_cbranch_execz .LBB1236_118
; %bb.115:
	s_mov_b32 s17, 0
	s_mov_b32 s15, exec_lo
	v_cmpx_lt_u32_e64 v66, v87
	s_cbranch_execz .LBB1236_117
; %bb.116:
	v_add_f64_e32 v[21:22], 0, v[36:37]
	v_add_f64_e32 v[67:68], 0, v[33:34]
	s_delay_alu instid0(VALU_DEP_2) | instskip(NEXT) | instid1(VALU_DEP_2)
	v_ashrrev_i32_e32 v69, 31, v22
	v_ashrrev_i32_e32 v97, 31, v68
	s_delay_alu instid0(VALU_DEP_2) | instskip(NEXT) | instid1(VALU_DEP_2)
	v_or_b32_e32 v98, 0x80000000, v69
	v_or_b32_e32 v99, 0x80000000, v97
	v_xor_b32_e32 v21, v69, v21
	v_xor_b32_e32 v67, v97, v67
	s_delay_alu instid0(VALU_DEP_4) | instskip(NEXT) | instid1(VALU_DEP_4)
	v_xor_b32_e32 v22, v98, v22
	v_xor_b32_e32 v68, v99, v68
	s_delay_alu instid0(VALU_DEP_1)
	v_cmp_le_u64_e64 s7, v[21:22], v[67:68]
	s_and_b32 s17, s7, exec_lo
.LBB1236_117:
	s_wait_alu 0xfffe
	s_or_b32 exec_lo, exec_lo, s15
	s_delay_alu instid0(SALU_CYCLE_1)
	s_or_not1_b32 s15, s17, exec_lo
.LBB1236_118:
	s_wait_alu 0xfffe
	s_or_b32 exec_lo, exec_lo, s16
	v_cndmask_b32_e64 v21, v35, v66, s15
	v_cndmask_b32_e64 v22, v96, v87, s15
	s_mov_b32 s16, -1
	s_mov_b32 s17, exec_lo
	s_delay_alu instid0(VALU_DEP_2) | instskip(NEXT) | instid1(VALU_DEP_2)
	v_add_nc_u32_e32 v67, 1, v21
	v_add_nc_u32_e32 v22, -1, v22
	v_lshl_add_u32 v21, v21, 3, v80
	s_delay_alu instid0(VALU_DEP_3) | instskip(NEXT) | instid1(VALU_DEP_3)
	v_cndmask_b32_e64 v35, v67, v35, s15
	v_min_u32_e32 v22, v67, v22
	v_cndmask_b32_e64 v97, v66, v67, s15
	s_delay_alu instid0(VALU_DEP_2)
	v_lshl_add_u32 v22, v22, 3, v80
	ds_load_b64 v[68:69], v22
	ds_load_b64 v[21:22], v21 offset:16384
	s_wait_dscnt 0x1
	v_cndmask_b32_e64 v67, v69, v34, s15
	v_cndmask_b32_e64 v66, v68, v33, s15
	;; [unrolled: 1-line block ×4, first 2 shown]
	v_cmpx_lt_u32_e64 v35, v96
	s_cbranch_execz .LBB1236_122
; %bb.119:
	s_mov_b32 s18, 0
	s_mov_b32 s16, exec_lo
	v_cmpx_lt_u32_e64 v97, v87
	s_cbranch_execz .LBB1236_121
; %bb.120:
	v_add_f64_e32 v[98:99], 0, v[68:69]
	v_add_f64_e32 v[100:101], 0, v[66:67]
	s_delay_alu instid0(VALU_DEP_2) | instskip(NEXT) | instid1(VALU_DEP_2)
	v_ashrrev_i32_e32 v87, 31, v99
	v_ashrrev_i32_e32 v96, 31, v101
	s_delay_alu instid0(VALU_DEP_2) | instskip(NEXT) | instid1(VALU_DEP_2)
	v_or_b32_e32 v102, 0x80000000, v87
	v_or_b32_e32 v103, 0x80000000, v96
	v_xor_b32_e32 v98, v87, v98
	v_xor_b32_e32 v100, v96, v100
	s_delay_alu instid0(VALU_DEP_4) | instskip(NEXT) | instid1(VALU_DEP_4)
	v_xor_b32_e32 v99, v102, v99
	v_xor_b32_e32 v101, v103, v101
	s_delay_alu instid0(VALU_DEP_1)
	v_cmp_le_u64_e64 s7, v[98:99], v[100:101]
	s_and_b32 s18, s7, exec_lo
.LBB1236_121:
	s_wait_alu 0xfffe
	s_or_b32 exec_lo, exec_lo, s16
	s_delay_alu instid0(SALU_CYCLE_1)
	s_or_not1_b32 s16, s18, exec_lo
.LBB1236_122:
	s_wait_alu 0xfffe
	s_or_b32 exec_lo, exec_lo, s17
	v_cndmask_b32_e64 v35, v35, v97, s16
	v_cndmask_b32_e64 v37, v34, v37, s15
	;; [unrolled: 1-line block ×5, first 2 shown]
	v_lshl_add_u32 v35, v35, 3, v80
	v_cndmask_b32_e64 v33, v32, v55, s13
	v_cndmask_b32_e64 v32, v31, v54, s13
	;; [unrolled: 1-line block ×4, first 2 shown]
	ds_load_b64 v[34:35], v35 offset:16384
	v_cndmask_b32_e64 v30, v30, v51, s11
	v_cndmask_b32_e64 v29, v29, v50, s11
	;; [unrolled: 1-line block ×8, first 2 shown]
.LBB1236_123:
	s_wait_alu 0xfffe
	s_or_b32 exec_lo, exec_lo, s9
	v_and_b32_e32 v48, 0xe0, v71
	v_and_b32_e32 v49, 24, v71
	s_mov_b32 s8, exec_lo
	; wave barrier
	s_delay_alu instid0(VALU_DEP_2) | instskip(NEXT) | instid1(VALU_DEP_2)
	v_or_b32_e32 v31, 16, v48
	v_min_u32_e32 v50, v82, v49
	ds_store_2addr_b64 v81, v[17:18], v[27:28] offset1:1
	ds_store_2addr_b64 v81, v[29:30], v[38:39] offset0:2 offset1:3
	ds_store_2addr_b64 v83, v[0:1], v[4:5] offset1:1
	ds_store_2addr_b64 v84, v[8:9], v[13:14] offset1:1
	ds_store_2addr_b64 v81, v[32:33], v[25:26] offset0:4 offset1:5
	ds_store_2addr_b64 v81, v[36:37], v[19:20] offset0:6 offset1:7
	ds_store_2addr_b64 v85, v[15:16], v[23:24] offset1:1
	s_wait_dscnt 0x7
	ds_store_2addr_b64 v86, v[21:22], v[34:35] offset1:1
	v_min_u32_e32 v87, v82, v31
	; wave barrier
	s_delay_alu instid0(VALU_DEP_1) | instskip(NEXT) | instid1(VALU_DEP_1)
	v_add_nc_u32_e32 v31, 16, v87
	v_min_u32_e32 v96, v82, v31
	v_sub_nc_u32_e32 v31, v87, v48
	s_delay_alu instid0(VALU_DEP_2) | instskip(NEXT) | instid1(VALU_DEP_2)
	v_sub_nc_u32_e32 v49, v96, v87
	v_min_u32_e32 v51, v50, v31
	s_delay_alu instid0(VALU_DEP_2) | instskip(SKIP_1) | instid1(VALU_DEP_2)
	v_sub_nc_u32_e64 v31, v50, v49 clamp
	v_lshl_add_u32 v49, v48, 3, v80
	v_cmpx_lt_u32_e64 v31, v51
	s_cbranch_execz .LBB1236_127
; %bb.124:
	v_lshlrev_b32_e32 v52, 3, v87
	v_lshlrev_b32_e32 v53, 3, v50
	s_mov_b32 s9, 0
	s_delay_alu instid0(VALU_DEP_1)
	v_add3_u32 v52, v80, v52, v53
.LBB1236_125:                           ; =>This Inner Loop Header: Depth=1
	v_add_nc_u32_e32 v53, v51, v31
	s_delay_alu instid0(VALU_DEP_1) | instskip(NEXT) | instid1(VALU_DEP_1)
	v_lshrrev_b32_e32 v55, 1, v53
	v_not_b32_e32 v53, v55
	v_lshl_add_u32 v54, v55, 3, v49
	s_delay_alu instid0(VALU_DEP_2)
	v_lshl_add_u32 v64, v53, 3, v52
	ds_load_b64 v[53:54], v54
	ds_load_b64 v[64:65], v64
	s_wait_dscnt 0x1
	v_add_f64_e32 v[53:54], 0, v[53:54]
	s_wait_dscnt 0x0
	v_add_f64_e32 v[64:65], 0, v[64:65]
	s_delay_alu instid0(VALU_DEP_2) | instskip(NEXT) | instid1(VALU_DEP_2)
	v_ashrrev_i32_e32 v66, 31, v54
	v_ashrrev_i32_e32 v67, 31, v65
	s_delay_alu instid0(VALU_DEP_2) | instskip(NEXT) | instid1(VALU_DEP_2)
	v_or_b32_e32 v68, 0x80000000, v66
	v_or_b32_e32 v69, 0x80000000, v67
	v_xor_b32_e32 v53, v66, v53
	v_xor_b32_e32 v64, v67, v64
	s_delay_alu instid0(VALU_DEP_4) | instskip(NEXT) | instid1(VALU_DEP_4)
	v_xor_b32_e32 v54, v68, v54
	v_xor_b32_e32 v65, v69, v65
	s_delay_alu instid0(VALU_DEP_1) | instskip(SKIP_2) | instid1(VALU_DEP_2)
	v_cmp_gt_u64_e64 s7, v[53:54], v[64:65]
	v_add_nc_u32_e32 v53, 1, v55
	s_wait_alu 0xf1ff
	v_cndmask_b32_e64 v51, v51, v55, s7
	s_delay_alu instid0(VALU_DEP_2) | instskip(NEXT) | instid1(VALU_DEP_1)
	v_cndmask_b32_e64 v31, v53, v31, s7
	v_cmp_ge_u32_e64 s7, v31, v51
	s_wait_alu 0xfffe
	s_or_b32 s9, s7, s9
	s_wait_alu 0xfffe
	s_and_not1_b32 exec_lo, exec_lo, s9
	s_cbranch_execnz .LBB1236_125
; %bb.126:
	s_or_b32 exec_lo, exec_lo, s9
.LBB1236_127:
	s_wait_alu 0xfffe
	s_or_b32 exec_lo, exec_lo, s8
	v_add_nc_u32_e32 v50, v87, v50
	v_add_nc_u32_e32 v48, v31, v48
	s_delay_alu instid0(VALU_DEP_2) | instskip(NEXT) | instid1(VALU_DEP_2)
	v_sub_nc_u32_e32 v50, v50, v31
	v_cmp_le_u32_e64 s7, v48, v87
	s_delay_alu instid0(VALU_DEP_2)
	v_cmp_le_u32_e64 s8, v50, v96
	s_or_b32 s7, s7, s8
	s_wait_alu 0xfffe
	s_and_saveexec_b32 s9, s7
	s_cbranch_execz .LBB1236_163
; %bb.128:
	v_cmp_ge_u32_e64 s7, v48, v87
	s_mov_b32 s10, exec_lo
                                        ; implicit-def: $vgpr17_vgpr18
	v_cmpx_lt_u32_e64 v48, v87
; %bb.129:
	v_lshl_add_u32 v0, v31, 3, v49
	ds_load_b64 v[17:18], v0
; %bb.130:
	s_wait_alu 0xfffe
	s_or_b32 exec_lo, exec_lo, s10
	v_cmp_ge_u32_e64 s10, v50, v96
	s_mov_b32 s11, exec_lo
                                        ; implicit-def: $vgpr19_vgpr20
	v_cmpx_lt_u32_e64 v50, v96
; %bb.131:
	v_lshl_add_u32 v0, v50, 3, v80
	ds_load_b64 v[19:20], v0
; %bb.132:
	s_wait_alu 0xfffe
	s_or_b32 exec_lo, exec_lo, s11
	s_nor_b32 s7, s7, s10
	s_wait_alu 0xfffe
	s_and_saveexec_b32 s8, s7
	s_cbranch_execz .LBB1236_134
; %bb.133:
	s_wait_dscnt 0x0
	v_add_f64_e32 v[0:1], 0, v[17:18]
	v_add_f64_e32 v[4:5], 0, v[19:20]
	s_and_not1_b32 s10, s10, exec_lo
	s_delay_alu instid0(VALU_DEP_2) | instskip(NEXT) | instid1(VALU_DEP_2)
	v_ashrrev_i32_e32 v8, 31, v1
	v_ashrrev_i32_e32 v9, 31, v5
	s_delay_alu instid0(VALU_DEP_2) | instskip(NEXT) | instid1(VALU_DEP_2)
	v_or_b32_e32 v13, 0x80000000, v8
	v_or_b32_e32 v14, 0x80000000, v9
	v_xor_b32_e32 v0, v8, v0
	v_xor_b32_e32 v4, v9, v4
	s_delay_alu instid0(VALU_DEP_4) | instskip(NEXT) | instid1(VALU_DEP_4)
	v_xor_b32_e32 v1, v13, v1
	v_xor_b32_e32 v5, v14, v5
	s_delay_alu instid0(VALU_DEP_1)
	v_cmp_le_u64_e64 s7, v[0:1], v[4:5]
	s_and_b32 s7, s7, exec_lo
	s_wait_alu 0xfffe
	s_or_b32 s10, s10, s7
.LBB1236_134:
	s_wait_alu 0xfffe
	s_or_b32 exec_lo, exec_lo, s8
	v_cndmask_b32_e64 v0, v50, v48, s10
	v_cndmask_b32_e64 v1, v96, v87, s10
	s_mov_b32 s11, -1
	s_mov_b32 s8, -1
	s_mov_b32 s12, exec_lo
	v_add_nc_u32_e32 v9, 1, v0
	v_add_nc_u32_e32 v1, -1, v1
	v_lshl_add_u32 v0, v0, 3, v80
	s_delay_alu instid0(VALU_DEP_3) | instskip(NEXT) | instid1(VALU_DEP_3)
	v_cndmask_b32_e64 v8, v9, v50, s10
	v_min_u32_e32 v1, v9, v1
	v_cndmask_b32_e64 v9, v48, v9, s10
	s_delay_alu instid0(VALU_DEP_2)
	v_lshl_add_u32 v1, v1, 3, v80
	ds_load_b64 v[4:5], v1
	ds_load_b64 v[0:1], v0 offset:16384
	s_wait_dscnt 0x1
	v_cndmask_b32_e64 v28, v5, v20, s10
	v_cndmask_b32_e64 v27, v4, v19, s10
	;; [unrolled: 1-line block ×4, first 2 shown]
	v_cmpx_lt_u32_e64 v8, v96
	s_cbranch_execz .LBB1236_138
; %bb.135:
	s_mov_b32 s13, 0
	s_mov_b32 s8, exec_lo
	v_cmpx_lt_u32_e64 v9, v87
	s_cbranch_execz .LBB1236_137
; %bb.136:
	v_add_f64_e32 v[4:5], 0, v[48:49]
	v_add_f64_e32 v[13:14], 0, v[27:28]
	s_delay_alu instid0(VALU_DEP_2) | instskip(NEXT) | instid1(VALU_DEP_2)
	v_ashrrev_i32_e32 v15, 31, v5
	v_ashrrev_i32_e32 v16, 31, v14
	s_delay_alu instid0(VALU_DEP_2) | instskip(NEXT) | instid1(VALU_DEP_2)
	v_or_b32_e32 v21, 0x80000000, v15
	v_or_b32_e32 v22, 0x80000000, v16
	v_xor_b32_e32 v4, v15, v4
	v_xor_b32_e32 v13, v16, v13
	s_delay_alu instid0(VALU_DEP_4) | instskip(NEXT) | instid1(VALU_DEP_4)
	v_xor_b32_e32 v5, v21, v5
	v_xor_b32_e32 v14, v22, v14
	s_delay_alu instid0(VALU_DEP_1)
	v_cmp_le_u64_e64 s7, v[4:5], v[13:14]
	s_and_b32 s13, s7, exec_lo
.LBB1236_137:
	s_wait_alu 0xfffe
	s_or_b32 exec_lo, exec_lo, s8
	s_delay_alu instid0(SALU_CYCLE_1)
	s_or_not1_b32 s8, s13, exec_lo
.LBB1236_138:
	s_wait_alu 0xfffe
	s_or_b32 exec_lo, exec_lo, s12
	v_cndmask_b32_e64 v4, v8, v9, s8
	v_cndmask_b32_e64 v5, v96, v87, s8
	s_mov_b32 s12, exec_lo
	s_delay_alu instid0(VALU_DEP_2) | instskip(NEXT) | instid1(VALU_DEP_2)
	v_add_nc_u32_e32 v14, 1, v4
	v_add_nc_u32_e32 v5, -1, v5
	v_lshl_add_u32 v4, v4, 3, v80
	s_delay_alu instid0(VALU_DEP_3) | instskip(NEXT) | instid1(VALU_DEP_3)
	v_cndmask_b32_e64 v13, v14, v8, s8
	v_min_u32_e32 v5, v14, v5
	v_cndmask_b32_e64 v14, v9, v14, s8
	s_delay_alu instid0(VALU_DEP_2)
	v_lshl_add_u32 v5, v5, 3, v80
	ds_load_b64 v[15:16], v5
	ds_load_b64 v[4:5], v4 offset:16384
	s_wait_dscnt 0x1
	v_cndmask_b32_e64 v30, v16, v28, s8
	v_cndmask_b32_e64 v29, v15, v27, s8
	;; [unrolled: 1-line block ×4, first 2 shown]
	v_cmpx_lt_u32_e64 v13, v96
	s_cbranch_execz .LBB1236_142
; %bb.139:
	s_mov_b32 s13, 0
	s_mov_b32 s11, exec_lo
	v_cmpx_lt_u32_e64 v14, v87
	s_cbranch_execz .LBB1236_141
; %bb.140:
	v_add_f64_e32 v[8:9], 0, v[50:51]
	v_add_f64_e32 v[15:16], 0, v[29:30]
	s_delay_alu instid0(VALU_DEP_2) | instskip(NEXT) | instid1(VALU_DEP_2)
	v_ashrrev_i32_e32 v21, 31, v9
	v_ashrrev_i32_e32 v22, 31, v16
	s_delay_alu instid0(VALU_DEP_2) | instskip(NEXT) | instid1(VALU_DEP_2)
	v_or_b32_e32 v23, 0x80000000, v21
	v_or_b32_e32 v24, 0x80000000, v22
	v_xor_b32_e32 v8, v21, v8
	v_xor_b32_e32 v15, v22, v15
	s_delay_alu instid0(VALU_DEP_4) | instskip(NEXT) | instid1(VALU_DEP_4)
	v_xor_b32_e32 v9, v23, v9
	v_xor_b32_e32 v16, v24, v16
	s_delay_alu instid0(VALU_DEP_1)
	v_cmp_le_u64_e64 s7, v[8:9], v[15:16]
	s_and_b32 s13, s7, exec_lo
.LBB1236_141:
	s_wait_alu 0xfffe
	s_or_b32 exec_lo, exec_lo, s11
	s_delay_alu instid0(SALU_CYCLE_1)
	s_or_not1_b32 s11, s13, exec_lo
.LBB1236_142:
	s_wait_alu 0xfffe
	s_or_b32 exec_lo, exec_lo, s12
	v_cndmask_b32_e64 v8, v13, v14, s11
	v_cndmask_b32_e64 v9, v96, v87, s11
	s_mov_b32 s13, -1
	s_mov_b32 s12, -1
	s_mov_b32 s14, exec_lo
	v_add_nc_u32_e32 v16, 1, v8
	v_add_nc_u32_e32 v9, -1, v9
	v_lshl_add_u32 v8, v8, 3, v80
	s_delay_alu instid0(VALU_DEP_3) | instskip(NEXT) | instid1(VALU_DEP_3)
	v_cndmask_b32_e64 v15, v16, v13, s11
	v_min_u32_e32 v9, v16, v9
	v_cndmask_b32_e64 v16, v14, v16, s11
	s_delay_alu instid0(VALU_DEP_2)
	v_lshl_add_u32 v9, v9, 3, v80
	ds_load_b64 v[21:22], v9
	ds_load_b64 v[8:9], v8 offset:16384
	s_wait_dscnt 0x1
	v_cndmask_b32_e64 v39, v22, v30, s11
	v_cndmask_b32_e64 v38, v21, v29, s11
	;; [unrolled: 1-line block ×4, first 2 shown]
	v_cmpx_lt_u32_e64 v15, v96
	s_cbranch_execz .LBB1236_146
; %bb.143:
	s_mov_b32 s15, 0
	s_mov_b32 s12, exec_lo
	v_cmpx_lt_u32_e64 v16, v87
	s_cbranch_execz .LBB1236_145
; %bb.144:
	v_add_f64_e32 v[13:14], 0, v[52:53]
	v_add_f64_e32 v[21:22], 0, v[38:39]
	s_delay_alu instid0(VALU_DEP_2) | instskip(NEXT) | instid1(VALU_DEP_2)
	v_ashrrev_i32_e32 v23, 31, v14
	v_ashrrev_i32_e32 v24, 31, v22
	s_delay_alu instid0(VALU_DEP_2) | instskip(NEXT) | instid1(VALU_DEP_2)
	v_or_b32_e32 v25, 0x80000000, v23
	v_or_b32_e32 v26, 0x80000000, v24
	v_xor_b32_e32 v13, v23, v13
	v_xor_b32_e32 v21, v24, v21
	s_delay_alu instid0(VALU_DEP_4) | instskip(NEXT) | instid1(VALU_DEP_4)
	v_xor_b32_e32 v14, v25, v14
	v_xor_b32_e32 v22, v26, v22
	s_delay_alu instid0(VALU_DEP_1)
	v_cmp_le_u64_e64 s7, v[13:14], v[21:22]
	s_and_b32 s15, s7, exec_lo
.LBB1236_145:
	s_wait_alu 0xfffe
	s_or_b32 exec_lo, exec_lo, s12
	s_delay_alu instid0(SALU_CYCLE_1)
	s_or_not1_b32 s12, s15, exec_lo
.LBB1236_146:
	s_wait_alu 0xfffe
	s_or_b32 exec_lo, exec_lo, s14
	v_cndmask_b32_e64 v13, v15, v16, s12
	v_cndmask_b32_e64 v14, v96, v87, s12
	s_mov_b32 s14, exec_lo
	s_delay_alu instid0(VALU_DEP_2) | instskip(NEXT) | instid1(VALU_DEP_2)
	v_add_nc_u32_e32 v22, 1, v13
	v_add_nc_u32_e32 v14, -1, v14
	v_lshl_add_u32 v13, v13, 3, v80
	s_delay_alu instid0(VALU_DEP_3) | instskip(NEXT) | instid1(VALU_DEP_3)
	v_cndmask_b32_e64 v21, v22, v15, s12
	v_min_u32_e32 v14, v22, v14
	v_cndmask_b32_e64 v22, v16, v22, s12
	s_delay_alu instid0(VALU_DEP_2)
	v_lshl_add_u32 v14, v14, 3, v80
	ds_load_b64 v[23:24], v14
	ds_load_b64 v[13:14], v13 offset:16384
	s_wait_dscnt 0x1
	v_cndmask_b32_e64 v32, v24, v39, s12
	v_cndmask_b32_e64 v31, v23, v38, s12
	;; [unrolled: 1-line block ×4, first 2 shown]
	v_cmpx_lt_u32_e64 v21, v96
	s_cbranch_execz .LBB1236_150
; %bb.147:
	s_mov_b32 s15, 0
	s_mov_b32 s13, exec_lo
	v_cmpx_lt_u32_e64 v22, v87
	s_cbranch_execz .LBB1236_149
; %bb.148:
	v_add_f64_e32 v[15:16], 0, v[54:55]
	v_add_f64_e32 v[23:24], 0, v[31:32]
	s_delay_alu instid0(VALU_DEP_2) | instskip(NEXT) | instid1(VALU_DEP_2)
	v_ashrrev_i32_e32 v25, 31, v16
	v_ashrrev_i32_e32 v26, 31, v24
	s_delay_alu instid0(VALU_DEP_2) | instskip(NEXT) | instid1(VALU_DEP_2)
	v_or_b32_e32 v33, 0x80000000, v25
	v_or_b32_e32 v34, 0x80000000, v26
	v_xor_b32_e32 v15, v25, v15
	v_xor_b32_e32 v23, v26, v23
	s_delay_alu instid0(VALU_DEP_4) | instskip(NEXT) | instid1(VALU_DEP_4)
	v_xor_b32_e32 v16, v33, v16
	v_xor_b32_e32 v24, v34, v24
	s_delay_alu instid0(VALU_DEP_1)
	v_cmp_le_u64_e64 s7, v[15:16], v[23:24]
	s_and_b32 s15, s7, exec_lo
.LBB1236_149:
	s_wait_alu 0xfffe
	s_or_b32 exec_lo, exec_lo, s13
	s_delay_alu instid0(SALU_CYCLE_1)
	s_or_not1_b32 s13, s15, exec_lo
.LBB1236_150:
	s_wait_alu 0xfffe
	s_or_b32 exec_lo, exec_lo, s14
	v_cndmask_b32_e64 v15, v21, v22, s13
	v_cndmask_b32_e64 v16, v96, v87, s13
	s_mov_b32 s15, -1
	s_mov_b32 s14, -1
	s_mov_b32 s16, exec_lo
	v_add_nc_u32_e32 v25, 1, v15
	v_add_nc_u32_e32 v16, -1, v16
	v_lshl_add_u32 v15, v15, 3, v80
	s_delay_alu instid0(VALU_DEP_3) | instskip(NEXT) | instid1(VALU_DEP_3)
	v_cndmask_b32_e64 v21, v25, v21, s13
	v_min_u32_e32 v16, v25, v16
	v_cndmask_b32_e64 v22, v22, v25, s13
	s_delay_alu instid0(VALU_DEP_2)
	v_lshl_add_u32 v16, v16, 3, v80
	ds_load_b64 v[23:24], v16
	ds_load_b64 v[15:16], v15 offset:16384
	s_wait_dscnt 0x1
	v_cndmask_b32_e64 v26, v24, v32, s13
	v_cndmask_b32_e64 v25, v23, v31, s13
	;; [unrolled: 1-line block ×4, first 2 shown]
	v_cmpx_lt_u32_e64 v21, v96
	s_cbranch_execz .LBB1236_154
; %bb.151:
	s_mov_b32 s17, 0
	s_mov_b32 s14, exec_lo
	v_cmpx_lt_u32_e64 v22, v87
	s_cbranch_execz .LBB1236_153
; %bb.152:
	v_add_f64_e32 v[23:24], 0, v[64:65]
	v_add_f64_e32 v[33:34], 0, v[25:26]
	s_delay_alu instid0(VALU_DEP_2) | instskip(NEXT) | instid1(VALU_DEP_2)
	v_ashrrev_i32_e32 v35, 31, v24
	v_ashrrev_i32_e32 v36, 31, v34
	s_delay_alu instid0(VALU_DEP_2) | instskip(NEXT) | instid1(VALU_DEP_2)
	v_or_b32_e32 v37, 0x80000000, v35
	v_or_b32_e32 v66, 0x80000000, v36
	v_xor_b32_e32 v23, v35, v23
	v_xor_b32_e32 v33, v36, v33
	s_delay_alu instid0(VALU_DEP_4) | instskip(NEXT) | instid1(VALU_DEP_4)
	v_xor_b32_e32 v24, v37, v24
	v_xor_b32_e32 v34, v66, v34
	s_delay_alu instid0(VALU_DEP_1)
	v_cmp_le_u64_e64 s7, v[23:24], v[33:34]
	s_and_b32 s17, s7, exec_lo
.LBB1236_153:
	s_wait_alu 0xfffe
	s_or_b32 exec_lo, exec_lo, s14
	s_delay_alu instid0(SALU_CYCLE_1)
	s_or_not1_b32 s14, s17, exec_lo
.LBB1236_154:
	s_wait_alu 0xfffe
	s_or_b32 exec_lo, exec_lo, s16
	v_cndmask_b32_e64 v23, v21, v22, s14
	v_cndmask_b32_e64 v24, v96, v87, s14
	s_mov_b32 s16, exec_lo
	s_delay_alu instid0(VALU_DEP_2) | instskip(NEXT) | instid1(VALU_DEP_2)
	v_add_nc_u32_e32 v33, 1, v23
	v_add_nc_u32_e32 v24, -1, v24
	v_lshl_add_u32 v23, v23, 3, v80
	s_delay_alu instid0(VALU_DEP_3) | instskip(NEXT) | instid1(VALU_DEP_3)
	v_cndmask_b32_e64 v35, v33, v21, s14
	v_min_u32_e32 v24, v33, v24
	v_cndmask_b32_e64 v66, v22, v33, s14
	s_delay_alu instid0(VALU_DEP_2)
	v_lshl_add_u32 v24, v24, 3, v80
	ds_load_b64 v[36:37], v24
	ds_load_b64 v[23:24], v23 offset:16384
	s_wait_dscnt 0x1
	v_cndmask_b32_e64 v34, v37, v26, s14
	v_cndmask_b32_e64 v33, v36, v25, s14
	;; [unrolled: 1-line block ×4, first 2 shown]
	v_cmpx_lt_u32_e64 v35, v96
	s_cbranch_execz .LBB1236_158
; %bb.155:
	s_mov_b32 s17, 0
	s_mov_b32 s15, exec_lo
	v_cmpx_lt_u32_e64 v66, v87
	s_cbranch_execz .LBB1236_157
; %bb.156:
	v_add_f64_e32 v[21:22], 0, v[36:37]
	v_add_f64_e32 v[67:68], 0, v[33:34]
	s_delay_alu instid0(VALU_DEP_2) | instskip(NEXT) | instid1(VALU_DEP_2)
	v_ashrrev_i32_e32 v69, 31, v22
	v_ashrrev_i32_e32 v97, 31, v68
	s_delay_alu instid0(VALU_DEP_2) | instskip(NEXT) | instid1(VALU_DEP_2)
	v_or_b32_e32 v98, 0x80000000, v69
	v_or_b32_e32 v99, 0x80000000, v97
	v_xor_b32_e32 v21, v69, v21
	v_xor_b32_e32 v67, v97, v67
	s_delay_alu instid0(VALU_DEP_4) | instskip(NEXT) | instid1(VALU_DEP_4)
	v_xor_b32_e32 v22, v98, v22
	v_xor_b32_e32 v68, v99, v68
	s_delay_alu instid0(VALU_DEP_1)
	v_cmp_le_u64_e64 s7, v[21:22], v[67:68]
	s_and_b32 s17, s7, exec_lo
.LBB1236_157:
	s_wait_alu 0xfffe
	s_or_b32 exec_lo, exec_lo, s15
	s_delay_alu instid0(SALU_CYCLE_1)
	s_or_not1_b32 s15, s17, exec_lo
.LBB1236_158:
	s_wait_alu 0xfffe
	s_or_b32 exec_lo, exec_lo, s16
	v_cndmask_b32_e64 v21, v35, v66, s15
	v_cndmask_b32_e64 v22, v96, v87, s15
	s_mov_b32 s16, -1
	s_mov_b32 s17, exec_lo
	s_delay_alu instid0(VALU_DEP_2) | instskip(NEXT) | instid1(VALU_DEP_2)
	v_add_nc_u32_e32 v67, 1, v21
	v_add_nc_u32_e32 v22, -1, v22
	v_lshl_add_u32 v21, v21, 3, v80
	s_delay_alu instid0(VALU_DEP_3) | instskip(NEXT) | instid1(VALU_DEP_3)
	v_cndmask_b32_e64 v35, v67, v35, s15
	v_min_u32_e32 v22, v67, v22
	v_cndmask_b32_e64 v97, v66, v67, s15
	s_delay_alu instid0(VALU_DEP_2)
	v_lshl_add_u32 v22, v22, 3, v80
	ds_load_b64 v[68:69], v22
	ds_load_b64 v[21:22], v21 offset:16384
	s_wait_dscnt 0x1
	v_cndmask_b32_e64 v67, v69, v34, s15
	v_cndmask_b32_e64 v66, v68, v33, s15
	;; [unrolled: 1-line block ×4, first 2 shown]
	v_cmpx_lt_u32_e64 v35, v96
	s_cbranch_execz .LBB1236_162
; %bb.159:
	s_mov_b32 s18, 0
	s_mov_b32 s16, exec_lo
	v_cmpx_lt_u32_e64 v97, v87
	s_cbranch_execz .LBB1236_161
; %bb.160:
	v_add_f64_e32 v[98:99], 0, v[68:69]
	v_add_f64_e32 v[100:101], 0, v[66:67]
	s_delay_alu instid0(VALU_DEP_2) | instskip(NEXT) | instid1(VALU_DEP_2)
	v_ashrrev_i32_e32 v87, 31, v99
	v_ashrrev_i32_e32 v96, 31, v101
	s_delay_alu instid0(VALU_DEP_2) | instskip(NEXT) | instid1(VALU_DEP_2)
	v_or_b32_e32 v102, 0x80000000, v87
	v_or_b32_e32 v103, 0x80000000, v96
	v_xor_b32_e32 v98, v87, v98
	v_xor_b32_e32 v100, v96, v100
	s_delay_alu instid0(VALU_DEP_4) | instskip(NEXT) | instid1(VALU_DEP_4)
	v_xor_b32_e32 v99, v102, v99
	v_xor_b32_e32 v101, v103, v101
	s_delay_alu instid0(VALU_DEP_1)
	v_cmp_le_u64_e64 s7, v[98:99], v[100:101]
	s_and_b32 s18, s7, exec_lo
.LBB1236_161:
	s_wait_alu 0xfffe
	s_or_b32 exec_lo, exec_lo, s16
	s_delay_alu instid0(SALU_CYCLE_1)
	s_or_not1_b32 s16, s18, exec_lo
.LBB1236_162:
	s_wait_alu 0xfffe
	s_or_b32 exec_lo, exec_lo, s17
	v_cndmask_b32_e64 v35, v35, v97, s16
	v_cndmask_b32_e64 v37, v34, v37, s15
	;; [unrolled: 1-line block ×5, first 2 shown]
	v_lshl_add_u32 v35, v35, 3, v80
	v_cndmask_b32_e64 v33, v32, v55, s13
	v_cndmask_b32_e64 v32, v31, v54, s13
	;; [unrolled: 1-line block ×4, first 2 shown]
	ds_load_b64 v[34:35], v35 offset:16384
	v_cndmask_b32_e64 v30, v30, v51, s11
	v_cndmask_b32_e64 v29, v29, v50, s11
	;; [unrolled: 1-line block ×8, first 2 shown]
.LBB1236_163:
	s_wait_alu 0xfffe
	s_or_b32 exec_lo, exec_lo, s9
	v_and_b32_e32 v48, 0xc0, v71
	v_and_b32_e32 v49, 56, v71
	s_mov_b32 s8, exec_lo
	; wave barrier
	s_delay_alu instid0(VALU_DEP_2) | instskip(NEXT) | instid1(VALU_DEP_2)
	v_or_b32_e32 v31, 32, v48
	v_min_u32_e32 v50, v82, v49
	ds_store_2addr_b64 v81, v[17:18], v[27:28] offset1:1
	ds_store_2addr_b64 v81, v[29:30], v[38:39] offset0:2 offset1:3
	ds_store_2addr_b64 v83, v[0:1], v[4:5] offset1:1
	ds_store_2addr_b64 v84, v[8:9], v[13:14] offset1:1
	ds_store_2addr_b64 v81, v[32:33], v[25:26] offset0:4 offset1:5
	ds_store_2addr_b64 v81, v[36:37], v[19:20] offset0:6 offset1:7
	ds_store_2addr_b64 v85, v[15:16], v[23:24] offset1:1
	s_wait_dscnt 0x7
	ds_store_2addr_b64 v86, v[21:22], v[34:35] offset1:1
	v_min_u32_e32 v87, v82, v31
	; wave barrier
	s_delay_alu instid0(VALU_DEP_1) | instskip(NEXT) | instid1(VALU_DEP_1)
	v_add_nc_u32_e32 v31, 32, v87
	v_min_u32_e32 v96, v82, v31
	v_sub_nc_u32_e32 v31, v87, v48
	s_delay_alu instid0(VALU_DEP_2) | instskip(NEXT) | instid1(VALU_DEP_2)
	v_sub_nc_u32_e32 v49, v96, v87
	v_min_u32_e32 v51, v50, v31
	s_delay_alu instid0(VALU_DEP_2) | instskip(SKIP_1) | instid1(VALU_DEP_2)
	v_sub_nc_u32_e64 v31, v50, v49 clamp
	v_lshl_add_u32 v49, v48, 3, v80
	v_cmpx_lt_u32_e64 v31, v51
	s_cbranch_execz .LBB1236_167
; %bb.164:
	v_lshlrev_b32_e32 v52, 3, v87
	v_lshlrev_b32_e32 v53, 3, v50
	s_mov_b32 s9, 0
	s_delay_alu instid0(VALU_DEP_1)
	v_add3_u32 v52, v80, v52, v53
.LBB1236_165:                           ; =>This Inner Loop Header: Depth=1
	v_add_nc_u32_e32 v53, v51, v31
	s_delay_alu instid0(VALU_DEP_1) | instskip(NEXT) | instid1(VALU_DEP_1)
	v_lshrrev_b32_e32 v55, 1, v53
	v_not_b32_e32 v53, v55
	v_lshl_add_u32 v54, v55, 3, v49
	s_delay_alu instid0(VALU_DEP_2)
	v_lshl_add_u32 v64, v53, 3, v52
	ds_load_b64 v[53:54], v54
	ds_load_b64 v[64:65], v64
	s_wait_dscnt 0x1
	v_add_f64_e32 v[53:54], 0, v[53:54]
	s_wait_dscnt 0x0
	v_add_f64_e32 v[64:65], 0, v[64:65]
	s_delay_alu instid0(VALU_DEP_2) | instskip(NEXT) | instid1(VALU_DEP_2)
	v_ashrrev_i32_e32 v66, 31, v54
	v_ashrrev_i32_e32 v67, 31, v65
	s_delay_alu instid0(VALU_DEP_2) | instskip(NEXT) | instid1(VALU_DEP_2)
	v_or_b32_e32 v68, 0x80000000, v66
	v_or_b32_e32 v69, 0x80000000, v67
	v_xor_b32_e32 v53, v66, v53
	v_xor_b32_e32 v64, v67, v64
	s_delay_alu instid0(VALU_DEP_4) | instskip(NEXT) | instid1(VALU_DEP_4)
	v_xor_b32_e32 v54, v68, v54
	v_xor_b32_e32 v65, v69, v65
	s_delay_alu instid0(VALU_DEP_1) | instskip(SKIP_2) | instid1(VALU_DEP_2)
	v_cmp_gt_u64_e64 s7, v[53:54], v[64:65]
	v_add_nc_u32_e32 v53, 1, v55
	s_wait_alu 0xf1ff
	v_cndmask_b32_e64 v51, v51, v55, s7
	s_delay_alu instid0(VALU_DEP_2) | instskip(NEXT) | instid1(VALU_DEP_1)
	v_cndmask_b32_e64 v31, v53, v31, s7
	v_cmp_ge_u32_e64 s7, v31, v51
	s_wait_alu 0xfffe
	s_or_b32 s9, s7, s9
	s_wait_alu 0xfffe
	s_and_not1_b32 exec_lo, exec_lo, s9
	s_cbranch_execnz .LBB1236_165
; %bb.166:
	s_or_b32 exec_lo, exec_lo, s9
.LBB1236_167:
	s_wait_alu 0xfffe
	s_or_b32 exec_lo, exec_lo, s8
	v_add_nc_u32_e32 v50, v87, v50
	v_add_nc_u32_e32 v48, v31, v48
	s_delay_alu instid0(VALU_DEP_2) | instskip(NEXT) | instid1(VALU_DEP_2)
	v_sub_nc_u32_e32 v50, v50, v31
	v_cmp_le_u32_e64 s7, v48, v87
	s_delay_alu instid0(VALU_DEP_2)
	v_cmp_le_u32_e64 s8, v50, v96
	s_or_b32 s7, s7, s8
	s_wait_alu 0xfffe
	s_and_saveexec_b32 s9, s7
	s_cbranch_execz .LBB1236_203
; %bb.168:
	v_cmp_ge_u32_e64 s7, v48, v87
	s_mov_b32 s10, exec_lo
                                        ; implicit-def: $vgpr17_vgpr18
	v_cmpx_lt_u32_e64 v48, v87
; %bb.169:
	v_lshl_add_u32 v0, v31, 3, v49
	ds_load_b64 v[17:18], v0
; %bb.170:
	s_wait_alu 0xfffe
	s_or_b32 exec_lo, exec_lo, s10
	v_cmp_ge_u32_e64 s10, v50, v96
	s_mov_b32 s11, exec_lo
                                        ; implicit-def: $vgpr19_vgpr20
	v_cmpx_lt_u32_e64 v50, v96
; %bb.171:
	v_lshl_add_u32 v0, v50, 3, v80
	ds_load_b64 v[19:20], v0
; %bb.172:
	s_wait_alu 0xfffe
	s_or_b32 exec_lo, exec_lo, s11
	s_nor_b32 s7, s7, s10
	s_wait_alu 0xfffe
	s_and_saveexec_b32 s8, s7
	s_cbranch_execz .LBB1236_174
; %bb.173:
	s_wait_dscnt 0x0
	v_add_f64_e32 v[0:1], 0, v[17:18]
	v_add_f64_e32 v[4:5], 0, v[19:20]
	s_and_not1_b32 s10, s10, exec_lo
	s_delay_alu instid0(VALU_DEP_2) | instskip(NEXT) | instid1(VALU_DEP_2)
	v_ashrrev_i32_e32 v8, 31, v1
	v_ashrrev_i32_e32 v9, 31, v5
	s_delay_alu instid0(VALU_DEP_2) | instskip(NEXT) | instid1(VALU_DEP_2)
	v_or_b32_e32 v13, 0x80000000, v8
	v_or_b32_e32 v14, 0x80000000, v9
	v_xor_b32_e32 v0, v8, v0
	v_xor_b32_e32 v4, v9, v4
	s_delay_alu instid0(VALU_DEP_4) | instskip(NEXT) | instid1(VALU_DEP_4)
	v_xor_b32_e32 v1, v13, v1
	v_xor_b32_e32 v5, v14, v5
	s_delay_alu instid0(VALU_DEP_1)
	v_cmp_le_u64_e64 s7, v[0:1], v[4:5]
	s_and_b32 s7, s7, exec_lo
	s_wait_alu 0xfffe
	s_or_b32 s10, s10, s7
.LBB1236_174:
	s_wait_alu 0xfffe
	s_or_b32 exec_lo, exec_lo, s8
	v_cndmask_b32_e64 v0, v50, v48, s10
	v_cndmask_b32_e64 v1, v96, v87, s10
	s_mov_b32 s11, -1
	s_mov_b32 s8, -1
	s_mov_b32 s12, exec_lo
	v_add_nc_u32_e32 v9, 1, v0
	v_add_nc_u32_e32 v1, -1, v1
	v_lshl_add_u32 v0, v0, 3, v80
	s_delay_alu instid0(VALU_DEP_3) | instskip(NEXT) | instid1(VALU_DEP_3)
	v_cndmask_b32_e64 v8, v9, v50, s10
	v_min_u32_e32 v1, v9, v1
	v_cndmask_b32_e64 v9, v48, v9, s10
	s_delay_alu instid0(VALU_DEP_2)
	v_lshl_add_u32 v1, v1, 3, v80
	ds_load_b64 v[4:5], v1
	ds_load_b64 v[0:1], v0 offset:16384
	s_wait_dscnt 0x1
	v_cndmask_b32_e64 v28, v5, v20, s10
	v_cndmask_b32_e64 v27, v4, v19, s10
	;; [unrolled: 1-line block ×4, first 2 shown]
	v_cmpx_lt_u32_e64 v8, v96
	s_cbranch_execz .LBB1236_178
; %bb.175:
	s_mov_b32 s13, 0
	s_mov_b32 s8, exec_lo
	v_cmpx_lt_u32_e64 v9, v87
	s_cbranch_execz .LBB1236_177
; %bb.176:
	v_add_f64_e32 v[4:5], 0, v[48:49]
	v_add_f64_e32 v[13:14], 0, v[27:28]
	s_delay_alu instid0(VALU_DEP_2) | instskip(NEXT) | instid1(VALU_DEP_2)
	v_ashrrev_i32_e32 v15, 31, v5
	v_ashrrev_i32_e32 v16, 31, v14
	s_delay_alu instid0(VALU_DEP_2) | instskip(NEXT) | instid1(VALU_DEP_2)
	v_or_b32_e32 v21, 0x80000000, v15
	v_or_b32_e32 v22, 0x80000000, v16
	v_xor_b32_e32 v4, v15, v4
	v_xor_b32_e32 v13, v16, v13
	s_delay_alu instid0(VALU_DEP_4) | instskip(NEXT) | instid1(VALU_DEP_4)
	v_xor_b32_e32 v5, v21, v5
	v_xor_b32_e32 v14, v22, v14
	s_delay_alu instid0(VALU_DEP_1)
	v_cmp_le_u64_e64 s7, v[4:5], v[13:14]
	s_and_b32 s13, s7, exec_lo
.LBB1236_177:
	s_wait_alu 0xfffe
	s_or_b32 exec_lo, exec_lo, s8
	s_delay_alu instid0(SALU_CYCLE_1)
	s_or_not1_b32 s8, s13, exec_lo
.LBB1236_178:
	s_wait_alu 0xfffe
	s_or_b32 exec_lo, exec_lo, s12
	v_cndmask_b32_e64 v4, v8, v9, s8
	v_cndmask_b32_e64 v5, v96, v87, s8
	s_mov_b32 s12, exec_lo
	s_delay_alu instid0(VALU_DEP_2) | instskip(NEXT) | instid1(VALU_DEP_2)
	v_add_nc_u32_e32 v14, 1, v4
	v_add_nc_u32_e32 v5, -1, v5
	v_lshl_add_u32 v4, v4, 3, v80
	s_delay_alu instid0(VALU_DEP_3) | instskip(NEXT) | instid1(VALU_DEP_3)
	v_cndmask_b32_e64 v13, v14, v8, s8
	v_min_u32_e32 v5, v14, v5
	v_cndmask_b32_e64 v14, v9, v14, s8
	s_delay_alu instid0(VALU_DEP_2)
	v_lshl_add_u32 v5, v5, 3, v80
	ds_load_b64 v[15:16], v5
	ds_load_b64 v[4:5], v4 offset:16384
	s_wait_dscnt 0x1
	v_cndmask_b32_e64 v30, v16, v28, s8
	v_cndmask_b32_e64 v29, v15, v27, s8
	;; [unrolled: 1-line block ×4, first 2 shown]
	v_cmpx_lt_u32_e64 v13, v96
	s_cbranch_execz .LBB1236_182
; %bb.179:
	s_mov_b32 s13, 0
	s_mov_b32 s11, exec_lo
	v_cmpx_lt_u32_e64 v14, v87
	s_cbranch_execz .LBB1236_181
; %bb.180:
	v_add_f64_e32 v[8:9], 0, v[50:51]
	v_add_f64_e32 v[15:16], 0, v[29:30]
	s_delay_alu instid0(VALU_DEP_2) | instskip(NEXT) | instid1(VALU_DEP_2)
	v_ashrrev_i32_e32 v21, 31, v9
	v_ashrrev_i32_e32 v22, 31, v16
	s_delay_alu instid0(VALU_DEP_2) | instskip(NEXT) | instid1(VALU_DEP_2)
	v_or_b32_e32 v23, 0x80000000, v21
	v_or_b32_e32 v24, 0x80000000, v22
	v_xor_b32_e32 v8, v21, v8
	v_xor_b32_e32 v15, v22, v15
	s_delay_alu instid0(VALU_DEP_4) | instskip(NEXT) | instid1(VALU_DEP_4)
	v_xor_b32_e32 v9, v23, v9
	v_xor_b32_e32 v16, v24, v16
	s_delay_alu instid0(VALU_DEP_1)
	v_cmp_le_u64_e64 s7, v[8:9], v[15:16]
	s_and_b32 s13, s7, exec_lo
.LBB1236_181:
	s_wait_alu 0xfffe
	s_or_b32 exec_lo, exec_lo, s11
	s_delay_alu instid0(SALU_CYCLE_1)
	s_or_not1_b32 s11, s13, exec_lo
.LBB1236_182:
	s_wait_alu 0xfffe
	s_or_b32 exec_lo, exec_lo, s12
	v_cndmask_b32_e64 v8, v13, v14, s11
	v_cndmask_b32_e64 v9, v96, v87, s11
	s_mov_b32 s13, -1
	s_mov_b32 s12, -1
	s_mov_b32 s14, exec_lo
	v_add_nc_u32_e32 v16, 1, v8
	v_add_nc_u32_e32 v9, -1, v9
	v_lshl_add_u32 v8, v8, 3, v80
	s_delay_alu instid0(VALU_DEP_3) | instskip(NEXT) | instid1(VALU_DEP_3)
	v_cndmask_b32_e64 v15, v16, v13, s11
	v_min_u32_e32 v9, v16, v9
	v_cndmask_b32_e64 v16, v14, v16, s11
	s_delay_alu instid0(VALU_DEP_2)
	v_lshl_add_u32 v9, v9, 3, v80
	ds_load_b64 v[21:22], v9
	ds_load_b64 v[8:9], v8 offset:16384
	s_wait_dscnt 0x1
	v_cndmask_b32_e64 v39, v22, v30, s11
	v_cndmask_b32_e64 v38, v21, v29, s11
	;; [unrolled: 1-line block ×4, first 2 shown]
	v_cmpx_lt_u32_e64 v15, v96
	s_cbranch_execz .LBB1236_186
; %bb.183:
	s_mov_b32 s15, 0
	s_mov_b32 s12, exec_lo
	v_cmpx_lt_u32_e64 v16, v87
	s_cbranch_execz .LBB1236_185
; %bb.184:
	v_add_f64_e32 v[13:14], 0, v[52:53]
	v_add_f64_e32 v[21:22], 0, v[38:39]
	s_delay_alu instid0(VALU_DEP_2) | instskip(NEXT) | instid1(VALU_DEP_2)
	v_ashrrev_i32_e32 v23, 31, v14
	v_ashrrev_i32_e32 v24, 31, v22
	s_delay_alu instid0(VALU_DEP_2) | instskip(NEXT) | instid1(VALU_DEP_2)
	v_or_b32_e32 v25, 0x80000000, v23
	v_or_b32_e32 v26, 0x80000000, v24
	v_xor_b32_e32 v13, v23, v13
	v_xor_b32_e32 v21, v24, v21
	s_delay_alu instid0(VALU_DEP_4) | instskip(NEXT) | instid1(VALU_DEP_4)
	v_xor_b32_e32 v14, v25, v14
	v_xor_b32_e32 v22, v26, v22
	s_delay_alu instid0(VALU_DEP_1)
	v_cmp_le_u64_e64 s7, v[13:14], v[21:22]
	s_and_b32 s15, s7, exec_lo
.LBB1236_185:
	s_wait_alu 0xfffe
	s_or_b32 exec_lo, exec_lo, s12
	s_delay_alu instid0(SALU_CYCLE_1)
	s_or_not1_b32 s12, s15, exec_lo
.LBB1236_186:
	s_wait_alu 0xfffe
	s_or_b32 exec_lo, exec_lo, s14
	v_cndmask_b32_e64 v13, v15, v16, s12
	v_cndmask_b32_e64 v14, v96, v87, s12
	s_mov_b32 s14, exec_lo
	s_delay_alu instid0(VALU_DEP_2) | instskip(NEXT) | instid1(VALU_DEP_2)
	v_add_nc_u32_e32 v22, 1, v13
	v_add_nc_u32_e32 v14, -1, v14
	v_lshl_add_u32 v13, v13, 3, v80
	s_delay_alu instid0(VALU_DEP_3) | instskip(NEXT) | instid1(VALU_DEP_3)
	v_cndmask_b32_e64 v21, v22, v15, s12
	v_min_u32_e32 v14, v22, v14
	v_cndmask_b32_e64 v22, v16, v22, s12
	s_delay_alu instid0(VALU_DEP_2)
	v_lshl_add_u32 v14, v14, 3, v80
	ds_load_b64 v[23:24], v14
	ds_load_b64 v[13:14], v13 offset:16384
	s_wait_dscnt 0x1
	v_cndmask_b32_e64 v32, v24, v39, s12
	v_cndmask_b32_e64 v31, v23, v38, s12
	;; [unrolled: 1-line block ×4, first 2 shown]
	v_cmpx_lt_u32_e64 v21, v96
	s_cbranch_execz .LBB1236_190
; %bb.187:
	s_mov_b32 s15, 0
	s_mov_b32 s13, exec_lo
	v_cmpx_lt_u32_e64 v22, v87
	s_cbranch_execz .LBB1236_189
; %bb.188:
	v_add_f64_e32 v[15:16], 0, v[54:55]
	v_add_f64_e32 v[23:24], 0, v[31:32]
	s_delay_alu instid0(VALU_DEP_2) | instskip(NEXT) | instid1(VALU_DEP_2)
	v_ashrrev_i32_e32 v25, 31, v16
	v_ashrrev_i32_e32 v26, 31, v24
	s_delay_alu instid0(VALU_DEP_2) | instskip(NEXT) | instid1(VALU_DEP_2)
	v_or_b32_e32 v33, 0x80000000, v25
	v_or_b32_e32 v34, 0x80000000, v26
	v_xor_b32_e32 v15, v25, v15
	v_xor_b32_e32 v23, v26, v23
	s_delay_alu instid0(VALU_DEP_4) | instskip(NEXT) | instid1(VALU_DEP_4)
	v_xor_b32_e32 v16, v33, v16
	v_xor_b32_e32 v24, v34, v24
	s_delay_alu instid0(VALU_DEP_1)
	v_cmp_le_u64_e64 s7, v[15:16], v[23:24]
	s_and_b32 s15, s7, exec_lo
.LBB1236_189:
	s_wait_alu 0xfffe
	s_or_b32 exec_lo, exec_lo, s13
	s_delay_alu instid0(SALU_CYCLE_1)
	s_or_not1_b32 s13, s15, exec_lo
.LBB1236_190:
	s_wait_alu 0xfffe
	s_or_b32 exec_lo, exec_lo, s14
	v_cndmask_b32_e64 v15, v21, v22, s13
	v_cndmask_b32_e64 v16, v96, v87, s13
	s_mov_b32 s15, -1
	s_mov_b32 s14, -1
	s_mov_b32 s16, exec_lo
	v_add_nc_u32_e32 v25, 1, v15
	v_add_nc_u32_e32 v16, -1, v16
	v_lshl_add_u32 v15, v15, 3, v80
	s_delay_alu instid0(VALU_DEP_3) | instskip(NEXT) | instid1(VALU_DEP_3)
	v_cndmask_b32_e64 v21, v25, v21, s13
	v_min_u32_e32 v16, v25, v16
	v_cndmask_b32_e64 v22, v22, v25, s13
	s_delay_alu instid0(VALU_DEP_2)
	v_lshl_add_u32 v16, v16, 3, v80
	ds_load_b64 v[23:24], v16
	ds_load_b64 v[15:16], v15 offset:16384
	s_wait_dscnt 0x1
	v_cndmask_b32_e64 v26, v24, v32, s13
	v_cndmask_b32_e64 v25, v23, v31, s13
	;; [unrolled: 1-line block ×4, first 2 shown]
	v_cmpx_lt_u32_e64 v21, v96
	s_cbranch_execz .LBB1236_194
; %bb.191:
	s_mov_b32 s17, 0
	s_mov_b32 s14, exec_lo
	v_cmpx_lt_u32_e64 v22, v87
	s_cbranch_execz .LBB1236_193
; %bb.192:
	v_add_f64_e32 v[23:24], 0, v[64:65]
	v_add_f64_e32 v[33:34], 0, v[25:26]
	s_delay_alu instid0(VALU_DEP_2) | instskip(NEXT) | instid1(VALU_DEP_2)
	v_ashrrev_i32_e32 v35, 31, v24
	v_ashrrev_i32_e32 v36, 31, v34
	s_delay_alu instid0(VALU_DEP_2) | instskip(NEXT) | instid1(VALU_DEP_2)
	v_or_b32_e32 v37, 0x80000000, v35
	v_or_b32_e32 v66, 0x80000000, v36
	v_xor_b32_e32 v23, v35, v23
	v_xor_b32_e32 v33, v36, v33
	s_delay_alu instid0(VALU_DEP_4) | instskip(NEXT) | instid1(VALU_DEP_4)
	v_xor_b32_e32 v24, v37, v24
	v_xor_b32_e32 v34, v66, v34
	s_delay_alu instid0(VALU_DEP_1)
	v_cmp_le_u64_e64 s7, v[23:24], v[33:34]
	s_and_b32 s17, s7, exec_lo
.LBB1236_193:
	s_wait_alu 0xfffe
	s_or_b32 exec_lo, exec_lo, s14
	s_delay_alu instid0(SALU_CYCLE_1)
	s_or_not1_b32 s14, s17, exec_lo
.LBB1236_194:
	s_wait_alu 0xfffe
	s_or_b32 exec_lo, exec_lo, s16
	v_cndmask_b32_e64 v23, v21, v22, s14
	v_cndmask_b32_e64 v24, v96, v87, s14
	s_mov_b32 s16, exec_lo
	s_delay_alu instid0(VALU_DEP_2) | instskip(NEXT) | instid1(VALU_DEP_2)
	v_add_nc_u32_e32 v33, 1, v23
	v_add_nc_u32_e32 v24, -1, v24
	v_lshl_add_u32 v23, v23, 3, v80
	s_delay_alu instid0(VALU_DEP_3) | instskip(NEXT) | instid1(VALU_DEP_3)
	v_cndmask_b32_e64 v35, v33, v21, s14
	v_min_u32_e32 v24, v33, v24
	v_cndmask_b32_e64 v66, v22, v33, s14
	s_delay_alu instid0(VALU_DEP_2)
	v_lshl_add_u32 v24, v24, 3, v80
	ds_load_b64 v[36:37], v24
	ds_load_b64 v[23:24], v23 offset:16384
	s_wait_dscnt 0x1
	v_cndmask_b32_e64 v34, v37, v26, s14
	v_cndmask_b32_e64 v33, v36, v25, s14
	;; [unrolled: 1-line block ×4, first 2 shown]
	v_cmpx_lt_u32_e64 v35, v96
	s_cbranch_execz .LBB1236_198
; %bb.195:
	s_mov_b32 s17, 0
	s_mov_b32 s15, exec_lo
	v_cmpx_lt_u32_e64 v66, v87
	s_cbranch_execz .LBB1236_197
; %bb.196:
	v_add_f64_e32 v[21:22], 0, v[36:37]
	v_add_f64_e32 v[67:68], 0, v[33:34]
	s_delay_alu instid0(VALU_DEP_2) | instskip(NEXT) | instid1(VALU_DEP_2)
	v_ashrrev_i32_e32 v69, 31, v22
	v_ashrrev_i32_e32 v97, 31, v68
	s_delay_alu instid0(VALU_DEP_2) | instskip(NEXT) | instid1(VALU_DEP_2)
	v_or_b32_e32 v98, 0x80000000, v69
	v_or_b32_e32 v99, 0x80000000, v97
	v_xor_b32_e32 v21, v69, v21
	v_xor_b32_e32 v67, v97, v67
	s_delay_alu instid0(VALU_DEP_4) | instskip(NEXT) | instid1(VALU_DEP_4)
	v_xor_b32_e32 v22, v98, v22
	v_xor_b32_e32 v68, v99, v68
	s_delay_alu instid0(VALU_DEP_1)
	v_cmp_le_u64_e64 s7, v[21:22], v[67:68]
	s_and_b32 s17, s7, exec_lo
.LBB1236_197:
	s_wait_alu 0xfffe
	s_or_b32 exec_lo, exec_lo, s15
	s_delay_alu instid0(SALU_CYCLE_1)
	s_or_not1_b32 s15, s17, exec_lo
.LBB1236_198:
	s_wait_alu 0xfffe
	s_or_b32 exec_lo, exec_lo, s16
	v_cndmask_b32_e64 v21, v35, v66, s15
	v_cndmask_b32_e64 v22, v96, v87, s15
	s_mov_b32 s16, -1
	s_mov_b32 s17, exec_lo
	s_delay_alu instid0(VALU_DEP_2) | instskip(NEXT) | instid1(VALU_DEP_2)
	v_add_nc_u32_e32 v67, 1, v21
	v_add_nc_u32_e32 v22, -1, v22
	v_lshl_add_u32 v21, v21, 3, v80
	s_delay_alu instid0(VALU_DEP_3) | instskip(NEXT) | instid1(VALU_DEP_3)
	v_cndmask_b32_e64 v35, v67, v35, s15
	v_min_u32_e32 v22, v67, v22
	v_cndmask_b32_e64 v97, v66, v67, s15
	s_delay_alu instid0(VALU_DEP_2)
	v_lshl_add_u32 v22, v22, 3, v80
	ds_load_b64 v[68:69], v22
	ds_load_b64 v[21:22], v21 offset:16384
	s_wait_dscnt 0x1
	v_cndmask_b32_e64 v67, v69, v34, s15
	v_cndmask_b32_e64 v66, v68, v33, s15
	v_cndmask_b32_e64 v69, v37, v69, s15
	v_cndmask_b32_e64 v68, v36, v68, s15
	v_cmpx_lt_u32_e64 v35, v96
	s_cbranch_execz .LBB1236_202
; %bb.199:
	s_mov_b32 s18, 0
	s_mov_b32 s16, exec_lo
	v_cmpx_lt_u32_e64 v97, v87
	s_cbranch_execz .LBB1236_201
; %bb.200:
	v_add_f64_e32 v[98:99], 0, v[68:69]
	v_add_f64_e32 v[100:101], 0, v[66:67]
	s_delay_alu instid0(VALU_DEP_2) | instskip(NEXT) | instid1(VALU_DEP_2)
	v_ashrrev_i32_e32 v87, 31, v99
	v_ashrrev_i32_e32 v96, 31, v101
	s_delay_alu instid0(VALU_DEP_2) | instskip(NEXT) | instid1(VALU_DEP_2)
	v_or_b32_e32 v102, 0x80000000, v87
	v_or_b32_e32 v103, 0x80000000, v96
	v_xor_b32_e32 v98, v87, v98
	v_xor_b32_e32 v100, v96, v100
	s_delay_alu instid0(VALU_DEP_4) | instskip(NEXT) | instid1(VALU_DEP_4)
	v_xor_b32_e32 v99, v102, v99
	v_xor_b32_e32 v101, v103, v101
	s_delay_alu instid0(VALU_DEP_1)
	v_cmp_le_u64_e64 s7, v[98:99], v[100:101]
	s_and_b32 s18, s7, exec_lo
.LBB1236_201:
	s_wait_alu 0xfffe
	s_or_b32 exec_lo, exec_lo, s16
	s_delay_alu instid0(SALU_CYCLE_1)
	s_or_not1_b32 s16, s18, exec_lo
.LBB1236_202:
	s_wait_alu 0xfffe
	s_or_b32 exec_lo, exec_lo, s17
	v_cndmask_b32_e64 v35, v35, v97, s16
	v_cndmask_b32_e64 v37, v34, v37, s15
	;; [unrolled: 1-line block ×5, first 2 shown]
	v_lshl_add_u32 v35, v35, 3, v80
	v_cndmask_b32_e64 v33, v32, v55, s13
	v_cndmask_b32_e64 v32, v31, v54, s13
	;; [unrolled: 1-line block ×4, first 2 shown]
	ds_load_b64 v[34:35], v35 offset:16384
	v_cndmask_b32_e64 v30, v30, v51, s11
	v_cndmask_b32_e64 v29, v29, v50, s11
	v_cndmask_b32_e64 v28, v28, v49, s8
	v_cndmask_b32_e64 v27, v27, v48, s8
	v_cndmask_b32_e64 v18, v20, v18, s10
	v_cndmask_b32_e64 v17, v19, v17, s10
	v_cndmask_b32_e64 v20, v67, v69, s16
	v_cndmask_b32_e64 v19, v66, v68, s16
.LBB1236_203:
	s_wait_alu 0xfffe
	s_or_b32 exec_lo, exec_lo, s9
	v_and_b32_e32 v48, 0x80, v71
	v_min_u32_e32 v50, v82, v70
	s_mov_b32 s8, exec_lo
	; wave barrier
	s_delay_alu instid0(VALU_DEP_2)
	v_or_b32_e32 v31, 64, v48
	ds_store_2addr_b64 v81, v[17:18], v[27:28] offset1:1
	ds_store_2addr_b64 v81, v[29:30], v[38:39] offset0:2 offset1:3
	ds_store_2addr_b64 v83, v[0:1], v[4:5] offset1:1
	ds_store_2addr_b64 v84, v[8:9], v[13:14] offset1:1
	ds_store_2addr_b64 v81, v[32:33], v[25:26] offset0:4 offset1:5
	ds_store_2addr_b64 v81, v[36:37], v[19:20] offset0:6 offset1:7
	ds_store_2addr_b64 v85, v[15:16], v[23:24] offset1:1
	s_wait_dscnt 0x7
	ds_store_2addr_b64 v86, v[21:22], v[34:35] offset1:1
	v_min_u32_e32 v71, v82, v31
	; wave barrier
	s_delay_alu instid0(VALU_DEP_1) | instskip(NEXT) | instid1(VALU_DEP_1)
	v_add_nc_u32_e32 v31, 64, v71
	v_min_u32_e32 v87, v82, v31
	v_sub_nc_u32_e32 v31, v71, v48
	s_delay_alu instid0(VALU_DEP_2) | instskip(NEXT) | instid1(VALU_DEP_2)
	v_sub_nc_u32_e32 v49, v87, v71
	v_min_u32_e32 v51, v50, v31
	s_delay_alu instid0(VALU_DEP_2) | instskip(SKIP_1) | instid1(VALU_DEP_2)
	v_sub_nc_u32_e64 v31, v50, v49 clamp
	v_lshl_add_u32 v49, v48, 3, v80
	v_cmpx_lt_u32_e64 v31, v51
	s_cbranch_execz .LBB1236_207
; %bb.204:
	v_lshlrev_b32_e32 v52, 3, v71
	v_lshlrev_b32_e32 v53, 3, v50
	s_mov_b32 s9, 0
	s_delay_alu instid0(VALU_DEP_1)
	v_add3_u32 v52, v80, v52, v53
.LBB1236_205:                           ; =>This Inner Loop Header: Depth=1
	v_add_nc_u32_e32 v53, v51, v31
	s_delay_alu instid0(VALU_DEP_1) | instskip(NEXT) | instid1(VALU_DEP_1)
	v_lshrrev_b32_e32 v55, 1, v53
	v_not_b32_e32 v53, v55
	v_lshl_add_u32 v54, v55, 3, v49
	s_delay_alu instid0(VALU_DEP_2)
	v_lshl_add_u32 v64, v53, 3, v52
	ds_load_b64 v[53:54], v54
	ds_load_b64 v[64:65], v64
	s_wait_dscnt 0x1
	v_add_f64_e32 v[53:54], 0, v[53:54]
	s_wait_dscnt 0x0
	v_add_f64_e32 v[64:65], 0, v[64:65]
	s_delay_alu instid0(VALU_DEP_2) | instskip(NEXT) | instid1(VALU_DEP_2)
	v_ashrrev_i32_e32 v66, 31, v54
	v_ashrrev_i32_e32 v67, 31, v65
	s_delay_alu instid0(VALU_DEP_2) | instskip(NEXT) | instid1(VALU_DEP_2)
	v_or_b32_e32 v68, 0x80000000, v66
	v_or_b32_e32 v69, 0x80000000, v67
	v_xor_b32_e32 v53, v66, v53
	v_xor_b32_e32 v64, v67, v64
	s_delay_alu instid0(VALU_DEP_4) | instskip(NEXT) | instid1(VALU_DEP_4)
	v_xor_b32_e32 v54, v68, v54
	v_xor_b32_e32 v65, v69, v65
	s_delay_alu instid0(VALU_DEP_1) | instskip(SKIP_2) | instid1(VALU_DEP_2)
	v_cmp_gt_u64_e64 s7, v[53:54], v[64:65]
	v_add_nc_u32_e32 v53, 1, v55
	s_wait_alu 0xf1ff
	v_cndmask_b32_e64 v51, v51, v55, s7
	s_delay_alu instid0(VALU_DEP_2) | instskip(NEXT) | instid1(VALU_DEP_1)
	v_cndmask_b32_e64 v31, v53, v31, s7
	v_cmp_ge_u32_e64 s7, v31, v51
	s_wait_alu 0xfffe
	s_or_b32 s9, s7, s9
	s_wait_alu 0xfffe
	s_and_not1_b32 exec_lo, exec_lo, s9
	s_cbranch_execnz .LBB1236_205
; %bb.206:
	s_or_b32 exec_lo, exec_lo, s9
.LBB1236_207:
	s_wait_alu 0xfffe
	s_or_b32 exec_lo, exec_lo, s8
	v_add_nc_u32_e32 v50, v71, v50
	v_add_nc_u32_e32 v48, v31, v48
	s_delay_alu instid0(VALU_DEP_2) | instskip(NEXT) | instid1(VALU_DEP_2)
	v_sub_nc_u32_e32 v50, v50, v31
	v_cmp_le_u32_e64 s7, v48, v71
	s_delay_alu instid0(VALU_DEP_2)
	v_cmp_le_u32_e64 s8, v50, v87
	s_or_b32 s7, s7, s8
	s_wait_alu 0xfffe
	s_and_saveexec_b32 s9, s7
	s_cbranch_execz .LBB1236_243
; %bb.208:
	v_cmp_ge_u32_e64 s7, v48, v71
	s_mov_b32 s10, exec_lo
                                        ; implicit-def: $vgpr17_vgpr18
	v_cmpx_lt_u32_e64 v48, v71
; %bb.209:
	v_lshl_add_u32 v0, v31, 3, v49
	ds_load_b64 v[17:18], v0
; %bb.210:
	s_wait_alu 0xfffe
	s_or_b32 exec_lo, exec_lo, s10
	v_cmp_ge_u32_e64 s10, v50, v87
	s_mov_b32 s11, exec_lo
                                        ; implicit-def: $vgpr19_vgpr20
	v_cmpx_lt_u32_e64 v50, v87
; %bb.211:
	v_lshl_add_u32 v0, v50, 3, v80
	ds_load_b64 v[19:20], v0
; %bb.212:
	s_wait_alu 0xfffe
	s_or_b32 exec_lo, exec_lo, s11
	s_nor_b32 s7, s7, s10
	s_wait_alu 0xfffe
	s_and_saveexec_b32 s8, s7
	s_cbranch_execz .LBB1236_214
; %bb.213:
	s_wait_dscnt 0x0
	v_add_f64_e32 v[0:1], 0, v[17:18]
	v_add_f64_e32 v[4:5], 0, v[19:20]
	s_and_not1_b32 s10, s10, exec_lo
	s_delay_alu instid0(VALU_DEP_2) | instskip(NEXT) | instid1(VALU_DEP_2)
	v_ashrrev_i32_e32 v8, 31, v1
	v_ashrrev_i32_e32 v9, 31, v5
	s_delay_alu instid0(VALU_DEP_2) | instskip(NEXT) | instid1(VALU_DEP_2)
	v_or_b32_e32 v13, 0x80000000, v8
	v_or_b32_e32 v14, 0x80000000, v9
	v_xor_b32_e32 v0, v8, v0
	v_xor_b32_e32 v4, v9, v4
	s_delay_alu instid0(VALU_DEP_4) | instskip(NEXT) | instid1(VALU_DEP_4)
	v_xor_b32_e32 v1, v13, v1
	v_xor_b32_e32 v5, v14, v5
	s_delay_alu instid0(VALU_DEP_1)
	v_cmp_le_u64_e64 s7, v[0:1], v[4:5]
	s_and_b32 s7, s7, exec_lo
	s_wait_alu 0xfffe
	s_or_b32 s10, s10, s7
.LBB1236_214:
	s_wait_alu 0xfffe
	s_or_b32 exec_lo, exec_lo, s8
	v_cndmask_b32_e64 v0, v50, v48, s10
	v_cndmask_b32_e64 v1, v87, v71, s10
	s_mov_b32 s11, -1
	s_mov_b32 s8, -1
	s_mov_b32 s12, exec_lo
	v_add_nc_u32_e32 v9, 1, v0
	v_add_nc_u32_e32 v1, -1, v1
	v_lshl_add_u32 v0, v0, 3, v80
	s_delay_alu instid0(VALU_DEP_3) | instskip(NEXT) | instid1(VALU_DEP_3)
	v_cndmask_b32_e64 v8, v9, v50, s10
	v_min_u32_e32 v1, v9, v1
	v_cndmask_b32_e64 v9, v48, v9, s10
	s_delay_alu instid0(VALU_DEP_2)
	v_lshl_add_u32 v1, v1, 3, v80
	ds_load_b64 v[4:5], v1
	ds_load_b64 v[0:1], v0 offset:16384
	s_wait_dscnt 0x1
	v_cndmask_b32_e64 v28, v5, v20, s10
	v_cndmask_b32_e64 v27, v4, v19, s10
	;; [unrolled: 1-line block ×4, first 2 shown]
	v_cmpx_lt_u32_e64 v8, v87
	s_cbranch_execz .LBB1236_218
; %bb.215:
	s_mov_b32 s13, 0
	s_mov_b32 s8, exec_lo
	v_cmpx_lt_u32_e64 v9, v71
	s_cbranch_execz .LBB1236_217
; %bb.216:
	v_add_f64_e32 v[4:5], 0, v[48:49]
	v_add_f64_e32 v[13:14], 0, v[27:28]
	s_delay_alu instid0(VALU_DEP_2) | instskip(NEXT) | instid1(VALU_DEP_2)
	v_ashrrev_i32_e32 v15, 31, v5
	v_ashrrev_i32_e32 v16, 31, v14
	s_delay_alu instid0(VALU_DEP_2) | instskip(NEXT) | instid1(VALU_DEP_2)
	v_or_b32_e32 v21, 0x80000000, v15
	v_or_b32_e32 v22, 0x80000000, v16
	v_xor_b32_e32 v4, v15, v4
	v_xor_b32_e32 v13, v16, v13
	s_delay_alu instid0(VALU_DEP_4) | instskip(NEXT) | instid1(VALU_DEP_4)
	v_xor_b32_e32 v5, v21, v5
	v_xor_b32_e32 v14, v22, v14
	s_delay_alu instid0(VALU_DEP_1)
	v_cmp_le_u64_e64 s7, v[4:5], v[13:14]
	s_and_b32 s13, s7, exec_lo
.LBB1236_217:
	s_wait_alu 0xfffe
	s_or_b32 exec_lo, exec_lo, s8
	s_delay_alu instid0(SALU_CYCLE_1)
	s_or_not1_b32 s8, s13, exec_lo
.LBB1236_218:
	s_wait_alu 0xfffe
	s_or_b32 exec_lo, exec_lo, s12
	v_cndmask_b32_e64 v4, v8, v9, s8
	v_cndmask_b32_e64 v5, v87, v71, s8
	s_mov_b32 s12, exec_lo
	s_delay_alu instid0(VALU_DEP_2) | instskip(NEXT) | instid1(VALU_DEP_2)
	v_add_nc_u32_e32 v14, 1, v4
	v_add_nc_u32_e32 v5, -1, v5
	v_lshl_add_u32 v4, v4, 3, v80
	s_delay_alu instid0(VALU_DEP_3) | instskip(NEXT) | instid1(VALU_DEP_3)
	v_cndmask_b32_e64 v13, v14, v8, s8
	v_min_u32_e32 v5, v14, v5
	v_cndmask_b32_e64 v14, v9, v14, s8
	s_delay_alu instid0(VALU_DEP_2)
	v_lshl_add_u32 v5, v5, 3, v80
	ds_load_b64 v[15:16], v5
	ds_load_b64 v[4:5], v4 offset:16384
	s_wait_dscnt 0x1
	v_cndmask_b32_e64 v30, v16, v28, s8
	v_cndmask_b32_e64 v29, v15, v27, s8
	;; [unrolled: 1-line block ×4, first 2 shown]
	v_cmpx_lt_u32_e64 v13, v87
	s_cbranch_execz .LBB1236_222
; %bb.219:
	s_mov_b32 s13, 0
	s_mov_b32 s11, exec_lo
	v_cmpx_lt_u32_e64 v14, v71
	s_cbranch_execz .LBB1236_221
; %bb.220:
	v_add_f64_e32 v[8:9], 0, v[50:51]
	v_add_f64_e32 v[15:16], 0, v[29:30]
	s_delay_alu instid0(VALU_DEP_2) | instskip(NEXT) | instid1(VALU_DEP_2)
	v_ashrrev_i32_e32 v21, 31, v9
	v_ashrrev_i32_e32 v22, 31, v16
	s_delay_alu instid0(VALU_DEP_2) | instskip(NEXT) | instid1(VALU_DEP_2)
	v_or_b32_e32 v23, 0x80000000, v21
	v_or_b32_e32 v24, 0x80000000, v22
	v_xor_b32_e32 v8, v21, v8
	v_xor_b32_e32 v15, v22, v15
	s_delay_alu instid0(VALU_DEP_4) | instskip(NEXT) | instid1(VALU_DEP_4)
	v_xor_b32_e32 v9, v23, v9
	v_xor_b32_e32 v16, v24, v16
	s_delay_alu instid0(VALU_DEP_1)
	v_cmp_le_u64_e64 s7, v[8:9], v[15:16]
	s_and_b32 s13, s7, exec_lo
.LBB1236_221:
	s_wait_alu 0xfffe
	s_or_b32 exec_lo, exec_lo, s11
	s_delay_alu instid0(SALU_CYCLE_1)
	s_or_not1_b32 s11, s13, exec_lo
.LBB1236_222:
	s_wait_alu 0xfffe
	s_or_b32 exec_lo, exec_lo, s12
	v_cndmask_b32_e64 v8, v13, v14, s11
	v_cndmask_b32_e64 v9, v87, v71, s11
	s_mov_b32 s13, -1
	s_mov_b32 s12, -1
	s_mov_b32 s14, exec_lo
	v_add_nc_u32_e32 v16, 1, v8
	v_add_nc_u32_e32 v9, -1, v9
	v_lshl_add_u32 v8, v8, 3, v80
	s_delay_alu instid0(VALU_DEP_3) | instskip(NEXT) | instid1(VALU_DEP_3)
	v_cndmask_b32_e64 v15, v16, v13, s11
	v_min_u32_e32 v9, v16, v9
	v_cndmask_b32_e64 v16, v14, v16, s11
	s_delay_alu instid0(VALU_DEP_2)
	v_lshl_add_u32 v9, v9, 3, v80
	ds_load_b64 v[21:22], v9
	ds_load_b64 v[8:9], v8 offset:16384
	s_wait_dscnt 0x1
	v_cndmask_b32_e64 v39, v22, v30, s11
	v_cndmask_b32_e64 v38, v21, v29, s11
	;; [unrolled: 1-line block ×4, first 2 shown]
	v_cmpx_lt_u32_e64 v15, v87
	s_cbranch_execz .LBB1236_226
; %bb.223:
	s_mov_b32 s15, 0
	s_mov_b32 s12, exec_lo
	v_cmpx_lt_u32_e64 v16, v71
	s_cbranch_execz .LBB1236_225
; %bb.224:
	v_add_f64_e32 v[13:14], 0, v[52:53]
	v_add_f64_e32 v[21:22], 0, v[38:39]
	s_delay_alu instid0(VALU_DEP_2) | instskip(NEXT) | instid1(VALU_DEP_2)
	v_ashrrev_i32_e32 v23, 31, v14
	v_ashrrev_i32_e32 v24, 31, v22
	s_delay_alu instid0(VALU_DEP_2) | instskip(NEXT) | instid1(VALU_DEP_2)
	v_or_b32_e32 v25, 0x80000000, v23
	v_or_b32_e32 v26, 0x80000000, v24
	v_xor_b32_e32 v13, v23, v13
	v_xor_b32_e32 v21, v24, v21
	s_delay_alu instid0(VALU_DEP_4) | instskip(NEXT) | instid1(VALU_DEP_4)
	v_xor_b32_e32 v14, v25, v14
	v_xor_b32_e32 v22, v26, v22
	s_delay_alu instid0(VALU_DEP_1)
	v_cmp_le_u64_e64 s7, v[13:14], v[21:22]
	s_and_b32 s15, s7, exec_lo
.LBB1236_225:
	s_wait_alu 0xfffe
	s_or_b32 exec_lo, exec_lo, s12
	s_delay_alu instid0(SALU_CYCLE_1)
	s_or_not1_b32 s12, s15, exec_lo
.LBB1236_226:
	s_wait_alu 0xfffe
	s_or_b32 exec_lo, exec_lo, s14
	v_cndmask_b32_e64 v13, v15, v16, s12
	v_cndmask_b32_e64 v14, v87, v71, s12
	s_mov_b32 s14, exec_lo
	s_delay_alu instid0(VALU_DEP_2) | instskip(NEXT) | instid1(VALU_DEP_2)
	v_add_nc_u32_e32 v22, 1, v13
	v_add_nc_u32_e32 v14, -1, v14
	v_lshl_add_u32 v13, v13, 3, v80
	s_delay_alu instid0(VALU_DEP_3) | instskip(NEXT) | instid1(VALU_DEP_3)
	v_cndmask_b32_e64 v21, v22, v15, s12
	v_min_u32_e32 v14, v22, v14
	v_cndmask_b32_e64 v22, v16, v22, s12
	s_delay_alu instid0(VALU_DEP_2)
	v_lshl_add_u32 v14, v14, 3, v80
	ds_load_b64 v[23:24], v14
	ds_load_b64 v[13:14], v13 offset:16384
	s_wait_dscnt 0x1
	v_cndmask_b32_e64 v32, v24, v39, s12
	v_cndmask_b32_e64 v31, v23, v38, s12
	;; [unrolled: 1-line block ×4, first 2 shown]
	v_cmpx_lt_u32_e64 v21, v87
	s_cbranch_execz .LBB1236_230
; %bb.227:
	s_mov_b32 s15, 0
	s_mov_b32 s13, exec_lo
	v_cmpx_lt_u32_e64 v22, v71
	s_cbranch_execz .LBB1236_229
; %bb.228:
	v_add_f64_e32 v[15:16], 0, v[54:55]
	v_add_f64_e32 v[23:24], 0, v[31:32]
	s_delay_alu instid0(VALU_DEP_2) | instskip(NEXT) | instid1(VALU_DEP_2)
	v_ashrrev_i32_e32 v25, 31, v16
	v_ashrrev_i32_e32 v26, 31, v24
	s_delay_alu instid0(VALU_DEP_2) | instskip(NEXT) | instid1(VALU_DEP_2)
	v_or_b32_e32 v33, 0x80000000, v25
	v_or_b32_e32 v34, 0x80000000, v26
	v_xor_b32_e32 v15, v25, v15
	v_xor_b32_e32 v23, v26, v23
	s_delay_alu instid0(VALU_DEP_4) | instskip(NEXT) | instid1(VALU_DEP_4)
	v_xor_b32_e32 v16, v33, v16
	v_xor_b32_e32 v24, v34, v24
	s_delay_alu instid0(VALU_DEP_1)
	v_cmp_le_u64_e64 s7, v[15:16], v[23:24]
	s_and_b32 s15, s7, exec_lo
.LBB1236_229:
	s_wait_alu 0xfffe
	s_or_b32 exec_lo, exec_lo, s13
	s_delay_alu instid0(SALU_CYCLE_1)
	s_or_not1_b32 s13, s15, exec_lo
.LBB1236_230:
	s_wait_alu 0xfffe
	s_or_b32 exec_lo, exec_lo, s14
	v_cndmask_b32_e64 v15, v21, v22, s13
	v_cndmask_b32_e64 v16, v87, v71, s13
	s_mov_b32 s15, -1
	s_mov_b32 s14, -1
	s_mov_b32 s16, exec_lo
	v_add_nc_u32_e32 v25, 1, v15
	v_add_nc_u32_e32 v16, -1, v16
	v_lshl_add_u32 v15, v15, 3, v80
	s_delay_alu instid0(VALU_DEP_3) | instskip(NEXT) | instid1(VALU_DEP_3)
	v_cndmask_b32_e64 v21, v25, v21, s13
	v_min_u32_e32 v16, v25, v16
	v_cndmask_b32_e64 v22, v22, v25, s13
	s_delay_alu instid0(VALU_DEP_2)
	v_lshl_add_u32 v16, v16, 3, v80
	ds_load_b64 v[23:24], v16
	ds_load_b64 v[15:16], v15 offset:16384
	s_wait_dscnt 0x1
	v_cndmask_b32_e64 v26, v24, v32, s13
	v_cndmask_b32_e64 v25, v23, v31, s13
	;; [unrolled: 1-line block ×4, first 2 shown]
	v_cmpx_lt_u32_e64 v21, v87
	s_cbranch_execz .LBB1236_234
; %bb.231:
	s_mov_b32 s17, 0
	s_mov_b32 s14, exec_lo
	v_cmpx_lt_u32_e64 v22, v71
	s_cbranch_execz .LBB1236_233
; %bb.232:
	v_add_f64_e32 v[23:24], 0, v[64:65]
	v_add_f64_e32 v[33:34], 0, v[25:26]
	s_delay_alu instid0(VALU_DEP_2) | instskip(NEXT) | instid1(VALU_DEP_2)
	v_ashrrev_i32_e32 v35, 31, v24
	v_ashrrev_i32_e32 v36, 31, v34
	s_delay_alu instid0(VALU_DEP_2) | instskip(NEXT) | instid1(VALU_DEP_2)
	v_or_b32_e32 v37, 0x80000000, v35
	v_or_b32_e32 v66, 0x80000000, v36
	v_xor_b32_e32 v23, v35, v23
	v_xor_b32_e32 v33, v36, v33
	s_delay_alu instid0(VALU_DEP_4) | instskip(NEXT) | instid1(VALU_DEP_4)
	v_xor_b32_e32 v24, v37, v24
	v_xor_b32_e32 v34, v66, v34
	s_delay_alu instid0(VALU_DEP_1)
	v_cmp_le_u64_e64 s7, v[23:24], v[33:34]
	s_and_b32 s17, s7, exec_lo
.LBB1236_233:
	s_wait_alu 0xfffe
	s_or_b32 exec_lo, exec_lo, s14
	s_delay_alu instid0(SALU_CYCLE_1)
	s_or_not1_b32 s14, s17, exec_lo
.LBB1236_234:
	s_wait_alu 0xfffe
	s_or_b32 exec_lo, exec_lo, s16
	v_cndmask_b32_e64 v23, v21, v22, s14
	v_cndmask_b32_e64 v24, v87, v71, s14
	s_mov_b32 s16, exec_lo
	s_delay_alu instid0(VALU_DEP_2) | instskip(NEXT) | instid1(VALU_DEP_2)
	v_add_nc_u32_e32 v33, 1, v23
	v_add_nc_u32_e32 v24, -1, v24
	v_lshl_add_u32 v23, v23, 3, v80
	s_delay_alu instid0(VALU_DEP_3) | instskip(NEXT) | instid1(VALU_DEP_3)
	v_cndmask_b32_e64 v35, v33, v21, s14
	v_min_u32_e32 v24, v33, v24
	v_cndmask_b32_e64 v66, v22, v33, s14
	s_delay_alu instid0(VALU_DEP_2)
	v_lshl_add_u32 v24, v24, 3, v80
	ds_load_b64 v[36:37], v24
	ds_load_b64 v[23:24], v23 offset:16384
	s_wait_dscnt 0x1
	v_cndmask_b32_e64 v34, v37, v26, s14
	v_cndmask_b32_e64 v33, v36, v25, s14
	;; [unrolled: 1-line block ×4, first 2 shown]
	v_cmpx_lt_u32_e64 v35, v87
	s_cbranch_execz .LBB1236_238
; %bb.235:
	s_mov_b32 s17, 0
	s_mov_b32 s15, exec_lo
	v_cmpx_lt_u32_e64 v66, v71
	s_cbranch_execz .LBB1236_237
; %bb.236:
	v_add_f64_e32 v[21:22], 0, v[36:37]
	v_add_f64_e32 v[67:68], 0, v[33:34]
	s_delay_alu instid0(VALU_DEP_2) | instskip(NEXT) | instid1(VALU_DEP_2)
	v_ashrrev_i32_e32 v69, 31, v22
	v_ashrrev_i32_e32 v70, 31, v68
	s_delay_alu instid0(VALU_DEP_2) | instskip(NEXT) | instid1(VALU_DEP_2)
	v_or_b32_e32 v81, 0x80000000, v69
	v_or_b32_e32 v82, 0x80000000, v70
	v_xor_b32_e32 v21, v69, v21
	v_xor_b32_e32 v67, v70, v67
	s_delay_alu instid0(VALU_DEP_4) | instskip(NEXT) | instid1(VALU_DEP_4)
	v_xor_b32_e32 v22, v81, v22
	v_xor_b32_e32 v68, v82, v68
	s_delay_alu instid0(VALU_DEP_1)
	v_cmp_le_u64_e64 s7, v[21:22], v[67:68]
	s_and_b32 s17, s7, exec_lo
.LBB1236_237:
	s_wait_alu 0xfffe
	s_or_b32 exec_lo, exec_lo, s15
	s_delay_alu instid0(SALU_CYCLE_1)
	s_or_not1_b32 s15, s17, exec_lo
.LBB1236_238:
	s_wait_alu 0xfffe
	s_or_b32 exec_lo, exec_lo, s16
	v_cndmask_b32_e64 v21, v35, v66, s15
	v_cndmask_b32_e64 v22, v87, v71, s15
	s_mov_b32 s16, -1
	s_mov_b32 s17, exec_lo
	s_delay_alu instid0(VALU_DEP_2) | instskip(NEXT) | instid1(VALU_DEP_2)
	v_add_nc_u32_e32 v67, 1, v21
	v_add_nc_u32_e32 v22, -1, v22
	v_lshl_add_u32 v21, v21, 3, v80
	s_delay_alu instid0(VALU_DEP_3) | instskip(NEXT) | instid1(VALU_DEP_3)
	v_cndmask_b32_e64 v35, v67, v35, s15
	v_min_u32_e32 v22, v67, v22
	v_cndmask_b32_e64 v70, v66, v67, s15
	s_delay_alu instid0(VALU_DEP_2)
	v_lshl_add_u32 v22, v22, 3, v80
	ds_load_b64 v[68:69], v22
	ds_load_b64 v[21:22], v21 offset:16384
	s_wait_dscnt 0x1
	v_cndmask_b32_e64 v67, v69, v34, s15
	v_cndmask_b32_e64 v66, v68, v33, s15
	;; [unrolled: 1-line block ×4, first 2 shown]
	v_cmpx_lt_u32_e64 v35, v87
	s_cbranch_execz .LBB1236_242
; %bb.239:
	s_mov_b32 s18, 0
	s_mov_b32 s16, exec_lo
	v_cmpx_lt_u32_e64 v70, v71
	s_cbranch_execz .LBB1236_241
; %bb.240:
	v_add_f64_e32 v[81:82], 0, v[68:69]
	v_add_f64_e32 v[83:84], 0, v[66:67]
	s_delay_alu instid0(VALU_DEP_2) | instskip(NEXT) | instid1(VALU_DEP_2)
	v_ashrrev_i32_e32 v71, 31, v82
	v_ashrrev_i32_e32 v85, 31, v84
	s_delay_alu instid0(VALU_DEP_2) | instskip(NEXT) | instid1(VALU_DEP_2)
	v_or_b32_e32 v86, 0x80000000, v71
	v_or_b32_e32 v87, 0x80000000, v85
	v_xor_b32_e32 v81, v71, v81
	v_xor_b32_e32 v83, v85, v83
	s_delay_alu instid0(VALU_DEP_4) | instskip(NEXT) | instid1(VALU_DEP_4)
	v_xor_b32_e32 v82, v86, v82
	v_xor_b32_e32 v84, v87, v84
	s_delay_alu instid0(VALU_DEP_1)
	v_cmp_le_u64_e64 s7, v[81:82], v[83:84]
	s_and_b32 s18, s7, exec_lo
.LBB1236_241:
	s_wait_alu 0xfffe
	s_or_b32 exec_lo, exec_lo, s16
	s_delay_alu instid0(SALU_CYCLE_1)
	s_or_not1_b32 s16, s18, exec_lo
.LBB1236_242:
	s_wait_alu 0xfffe
	s_or_b32 exec_lo, exec_lo, s17
	v_cndmask_b32_e64 v35, v35, v70, s16
	v_cndmask_b32_e64 v37, v34, v37, s15
	;; [unrolled: 1-line block ×5, first 2 shown]
	v_lshl_add_u32 v35, v35, 3, v80
	v_cndmask_b32_e64 v33, v32, v55, s13
	v_cndmask_b32_e64 v32, v31, v54, s13
	;; [unrolled: 1-line block ×4, first 2 shown]
	ds_load_b64 v[34:35], v35 offset:16384
	v_cndmask_b32_e64 v30, v30, v51, s11
	v_cndmask_b32_e64 v29, v29, v50, s11
	;; [unrolled: 1-line block ×8, first 2 shown]
.LBB1236_243:
	s_wait_alu 0xfffe
	s_or_b32 exec_lo, exec_lo, s9
	v_add_co_u32 v2, s7, v2, v11
	s_wait_alu 0xf1ff
	v_add_co_ci_u32_e64 v3, null, v3, v12, s7
	s_delay_alu instid0(VALU_DEP_2) | instskip(SKIP_1) | instid1(VALU_DEP_2)
	v_add_co_u32 v2, s7, v2, v10
	s_wait_alu 0xf1ff
	v_add_co_ci_u32_e64 v3, null, 0, v3, s7
	; wave barrier
	s_wait_storecnt_dscnt 0x0
	s_barrier_signal -1
	s_barrier_wait -1
	global_inv scope:SCOPE_SE
	; wave barrier
	s_and_saveexec_b32 s7, vcc_lo
	s_cbranch_execnz .LBB1236_268
; %bb.244:
	s_wait_alu 0xfffe
	s_or_b32 exec_lo, exec_lo, s7
	s_and_saveexec_b32 s7, s0
	s_cbranch_execnz .LBB1236_269
.LBB1236_245:
	s_wait_alu 0xfffe
	s_or_b32 exec_lo, exec_lo, s7
	s_and_saveexec_b32 s7, s1
	s_cbranch_execnz .LBB1236_270
.LBB1236_246:
	s_wait_alu 0xfffe
	s_or_b32 exec_lo, exec_lo, s7
	s_and_saveexec_b32 s7, s2
	s_cbranch_execnz .LBB1236_271
.LBB1236_247:
	s_wait_alu 0xfffe
	s_or_b32 exec_lo, exec_lo, s7
	s_and_saveexec_b32 s7, s3
	s_cbranch_execnz .LBB1236_272
.LBB1236_248:
	s_wait_alu 0xfffe
	s_or_b32 exec_lo, exec_lo, s7
	s_and_saveexec_b32 s7, s4
	s_cbranch_execnz .LBB1236_273
.LBB1236_249:
	s_wait_alu 0xfffe
	s_or_b32 exec_lo, exec_lo, s7
	s_and_saveexec_b32 s7, s5
	s_cbranch_execnz .LBB1236_274
.LBB1236_250:
	s_wait_alu 0xfffe
	s_or_b32 exec_lo, exec_lo, s7
	s_and_saveexec_b32 s7, s6
	s_cbranch_execz .LBB1236_252
.LBB1236_251:
	flat_store_b64 v[2:3], v[19:20] offset:56
.LBB1236_252:
	s_wait_alu 0xfffe
	s_or_b32 exec_lo, exec_lo, s7
	v_add_co_u32 v2, s7, v6, v11
	s_wait_alu 0xf1ff
	v_add_co_ci_u32_e64 v3, null, v7, v12, s7
	s_delay_alu instid0(VALU_DEP_2) | instskip(SKIP_1) | instid1(VALU_DEP_2)
	v_add_co_u32 v2, s7, v2, v10
	s_wait_alu 0xf1ff
	v_add_co_ci_u32_e64 v3, null, 0, v3, s7
	; wave barrier
	s_and_saveexec_b32 s7, vcc_lo
	s_cbranch_execnz .LBB1236_275
; %bb.253:
	s_wait_alu 0xfffe
	s_or_b32 exec_lo, exec_lo, s7
	s_and_saveexec_b32 s7, s0
	s_cbranch_execnz .LBB1236_276
.LBB1236_254:
	s_wait_alu 0xfffe
	s_or_b32 exec_lo, exec_lo, s7
	s_and_saveexec_b32 s0, s1
	s_cbranch_execnz .LBB1236_277
.LBB1236_255:
	s_wait_alu 0xfffe
	s_or_b32 exec_lo, exec_lo, s0
	s_and_saveexec_b32 s0, s2
	s_cbranch_execnz .LBB1236_278
.LBB1236_256:
	s_wait_alu 0xfffe
	s_or_b32 exec_lo, exec_lo, s0
	s_and_saveexec_b32 s0, s3
	s_cbranch_execnz .LBB1236_279
.LBB1236_257:
	s_wait_alu 0xfffe
	s_or_b32 exec_lo, exec_lo, s0
	s_and_saveexec_b32 s0, s4
	s_cbranch_execnz .LBB1236_280
.LBB1236_258:
	s_wait_alu 0xfffe
	s_or_b32 exec_lo, exec_lo, s0
	s_and_saveexec_b32 s0, s5
	s_cbranch_execnz .LBB1236_281
.LBB1236_259:
	s_wait_alu 0xfffe
	s_or_b32 exec_lo, exec_lo, s0
	s_and_saveexec_b32 s0, s6
	s_cbranch_execnz .LBB1236_282
.LBB1236_260:
	s_wait_alu 0xfffe
	s_or_b32 exec_lo, exec_lo, s0
	s_wait_loadcnt_dscnt 0x0
	s_setpc_b64 s[30:31]
.LBB1236_261:
	flat_load_b64 v[0:1], v[48:49]
	s_wait_alu 0xfffe
	s_or_b32 exec_lo, exec_lo, s7
	s_and_saveexec_b32 s7, s0
                                        ; implicit-def: $vgpr4_vgpr5
	s_cbranch_execz .LBB1236_18
.LBB1236_262:
	flat_load_b64 v[4:5], v[48:49] offset:8
	s_wait_alu 0xfffe
	s_or_b32 exec_lo, exec_lo, s7
                                        ; implicit-def: $vgpr8_vgpr9
	s_and_saveexec_b32 s7, s1
	s_cbranch_execz .LBB1236_19
.LBB1236_263:
	flat_load_b64 v[8:9], v[48:49] offset:16
	s_wait_alu 0xfffe
	s_or_b32 exec_lo, exec_lo, s7
	s_and_saveexec_b32 s7, s2
                                        ; implicit-def: $vgpr13_vgpr14
	s_cbranch_execz .LBB1236_20
.LBB1236_264:
	flat_load_b64 v[13:14], v[48:49] offset:24
	s_wait_alu 0xfffe
	s_or_b32 exec_lo, exec_lo, s7
                                        ; implicit-def: $vgpr15_vgpr16
	s_and_saveexec_b32 s7, s3
	s_cbranch_execz .LBB1236_21
.LBB1236_265:
	flat_load_b64 v[15:16], v[48:49] offset:32
	s_wait_alu 0xfffe
	s_or_b32 exec_lo, exec_lo, s7
	s_and_saveexec_b32 s7, s4
                                        ; implicit-def: $vgpr23_vgpr24
	s_cbranch_execz .LBB1236_22
.LBB1236_266:
	flat_load_b64 v[23:24], v[48:49] offset:40
	s_wait_alu 0xfffe
	s_or_b32 exec_lo, exec_lo, s7
                                        ; implicit-def: $vgpr21_vgpr22
	s_and_saveexec_b32 s7, s5
	s_cbranch_execz .LBB1236_23
.LBB1236_267:
	flat_load_b64 v[21:22], v[48:49] offset:48
	s_wait_alu 0xfffe
	s_or_b32 exec_lo, exec_lo, s7
	s_and_saveexec_b32 s7, s6
                                        ; implicit-def: $vgpr34_vgpr35
	s_cbranch_execnz .LBB1236_24
	s_branch .LBB1236_25
.LBB1236_268:
	flat_store_b64 v[2:3], v[17:18]
	s_wait_alu 0xfffe
	s_or_b32 exec_lo, exec_lo, s7
	s_and_saveexec_b32 s7, s0
	s_cbranch_execz .LBB1236_245
.LBB1236_269:
	flat_store_b64 v[2:3], v[27:28] offset:8
	s_wait_alu 0xfffe
	s_or_b32 exec_lo, exec_lo, s7
	s_and_saveexec_b32 s7, s1
	s_cbranch_execz .LBB1236_246
.LBB1236_270:
	flat_store_b64 v[2:3], v[29:30] offset:16
	s_wait_alu 0xfffe
	s_or_b32 exec_lo, exec_lo, s7
	s_and_saveexec_b32 s7, s2
	s_cbranch_execz .LBB1236_247
.LBB1236_271:
	flat_store_b64 v[2:3], v[38:39] offset:24
	s_wait_alu 0xfffe
	s_or_b32 exec_lo, exec_lo, s7
	s_and_saveexec_b32 s7, s3
	s_cbranch_execz .LBB1236_248
.LBB1236_272:
	flat_store_b64 v[2:3], v[32:33] offset:32
	s_wait_alu 0xfffe
	s_or_b32 exec_lo, exec_lo, s7
	s_and_saveexec_b32 s7, s4
	s_cbranch_execz .LBB1236_249
.LBB1236_273:
	flat_store_b64 v[2:3], v[25:26] offset:40
	s_wait_alu 0xfffe
	s_or_b32 exec_lo, exec_lo, s7
	s_and_saveexec_b32 s7, s5
	s_cbranch_execz .LBB1236_250
.LBB1236_274:
	flat_store_b64 v[2:3], v[36:37] offset:48
	s_wait_alu 0xfffe
	s_or_b32 exec_lo, exec_lo, s7
	s_and_saveexec_b32 s7, s6
	s_cbranch_execnz .LBB1236_251
	s_branch .LBB1236_252
.LBB1236_275:
	flat_store_b64 v[2:3], v[0:1]
	s_wait_alu 0xfffe
	s_or_b32 exec_lo, exec_lo, s7
	s_and_saveexec_b32 s7, s0
	s_cbranch_execz .LBB1236_254
.LBB1236_276:
	flat_store_b64 v[2:3], v[4:5] offset:8
	s_wait_alu 0xfffe
	s_or_b32 exec_lo, exec_lo, s7
	s_and_saveexec_b32 s0, s1
	s_cbranch_execz .LBB1236_255
.LBB1236_277:
	flat_store_b64 v[2:3], v[8:9] offset:16
	s_wait_alu 0xfffe
	s_or_b32 exec_lo, exec_lo, s0
	s_and_saveexec_b32 s0, s2
	s_cbranch_execz .LBB1236_256
.LBB1236_278:
	flat_store_b64 v[2:3], v[13:14] offset:24
	s_wait_alu 0xfffe
	s_or_b32 exec_lo, exec_lo, s0
	s_and_saveexec_b32 s0, s3
	s_cbranch_execz .LBB1236_257
.LBB1236_279:
	flat_store_b64 v[2:3], v[15:16] offset:32
	s_wait_alu 0xfffe
	s_or_b32 exec_lo, exec_lo, s0
	s_and_saveexec_b32 s0, s4
	s_cbranch_execz .LBB1236_258
.LBB1236_280:
	flat_store_b64 v[2:3], v[23:24] offset:40
	s_wait_alu 0xfffe
	s_or_b32 exec_lo, exec_lo, s0
	s_and_saveexec_b32 s0, s5
	s_cbranch_execz .LBB1236_259
.LBB1236_281:
	flat_store_b64 v[2:3], v[21:22] offset:48
	s_wait_alu 0xfffe
	s_or_b32 exec_lo, exec_lo, s0
	s_and_saveexec_b32 s0, s6
	s_cbranch_execz .LBB1236_260
.LBB1236_282:
	flat_store_b64 v[2:3], v[34:35] offset:56
	s_wait_alu 0xfffe
	s_or_b32 exec_lo, exec_lo, s0
	s_wait_loadcnt_dscnt 0x0
	s_setpc_b64 s[30:31]
.Lfunc_end1236:
	.size	_ZN7rocprim17ROCPRIM_400000_NS6detail26segmented_warp_sort_helperINS1_20WarpSortHelperConfigILj16ELj8ELj256EEEdlLi256ELb0EvE4sortIPKdPdPKlPlEEvT_T0_T1_T2_jjjjRNS5_12storage_typeE, .Lfunc_end1236-_ZN7rocprim17ROCPRIM_400000_NS6detail26segmented_warp_sort_helperINS1_20WarpSortHelperConfigILj16ELj8ELj256EEEdlLi256ELb0EvE4sortIPKdPdPKlPlEEvT_T0_T1_T2_jjjjRNS5_12storage_typeE
                                        ; -- End function
	.set .L_ZN7rocprim17ROCPRIM_400000_NS6detail26segmented_warp_sort_helperINS1_20WarpSortHelperConfigILj16ELj8ELj256EEEdlLi256ELb0EvE4sortIPKdPdPKlPlEEvT_T0_T1_T2_jjjjRNS5_12storage_typeE.num_vgpr, 104
	.set .L_ZN7rocprim17ROCPRIM_400000_NS6detail26segmented_warp_sort_helperINS1_20WarpSortHelperConfigILj16ELj8ELj256EEEdlLi256ELb0EvE4sortIPKdPdPKlPlEEvT_T0_T1_T2_jjjjRNS5_12storage_typeE.num_agpr, 0
	.set .L_ZN7rocprim17ROCPRIM_400000_NS6detail26segmented_warp_sort_helperINS1_20WarpSortHelperConfigILj16ELj8ELj256EEEdlLi256ELb0EvE4sortIPKdPdPKlPlEEvT_T0_T1_T2_jjjjRNS5_12storage_typeE.numbered_sgpr, 32
	.set .L_ZN7rocprim17ROCPRIM_400000_NS6detail26segmented_warp_sort_helperINS1_20WarpSortHelperConfigILj16ELj8ELj256EEEdlLi256ELb0EvE4sortIPKdPdPKlPlEEvT_T0_T1_T2_jjjjRNS5_12storage_typeE.num_named_barrier, 0
	.set .L_ZN7rocprim17ROCPRIM_400000_NS6detail26segmented_warp_sort_helperINS1_20WarpSortHelperConfigILj16ELj8ELj256EEEdlLi256ELb0EvE4sortIPKdPdPKlPlEEvT_T0_T1_T2_jjjjRNS5_12storage_typeE.private_seg_size, 0
	.set .L_ZN7rocprim17ROCPRIM_400000_NS6detail26segmented_warp_sort_helperINS1_20WarpSortHelperConfigILj16ELj8ELj256EEEdlLi256ELb0EvE4sortIPKdPdPKlPlEEvT_T0_T1_T2_jjjjRNS5_12storage_typeE.uses_vcc, 1
	.set .L_ZN7rocprim17ROCPRIM_400000_NS6detail26segmented_warp_sort_helperINS1_20WarpSortHelperConfigILj16ELj8ELj256EEEdlLi256ELb0EvE4sortIPKdPdPKlPlEEvT_T0_T1_T2_jjjjRNS5_12storage_typeE.uses_flat_scratch, 0
	.set .L_ZN7rocprim17ROCPRIM_400000_NS6detail26segmented_warp_sort_helperINS1_20WarpSortHelperConfigILj16ELj8ELj256EEEdlLi256ELb0EvE4sortIPKdPdPKlPlEEvT_T0_T1_T2_jjjjRNS5_12storage_typeE.has_dyn_sized_stack, 0
	.set .L_ZN7rocprim17ROCPRIM_400000_NS6detail26segmented_warp_sort_helperINS1_20WarpSortHelperConfigILj16ELj8ELj256EEEdlLi256ELb0EvE4sortIPKdPdPKlPlEEvT_T0_T1_T2_jjjjRNS5_12storage_typeE.has_recursion, 0
	.set .L_ZN7rocprim17ROCPRIM_400000_NS6detail26segmented_warp_sort_helperINS1_20WarpSortHelperConfigILj16ELj8ELj256EEEdlLi256ELb0EvE4sortIPKdPdPKlPlEEvT_T0_T1_T2_jjjjRNS5_12storage_typeE.has_indirect_call, 0
	.section	.AMDGPU.csdata,"",@progbits
; Function info:
; codeLenInByte = 16160
; TotalNumSgprs: 34
; NumVgprs: 104
; ScratchSize: 0
; MemoryBound: 0
	.section	.text._ZN7rocprim17ROCPRIM_400000_NS6detail17trampoline_kernelINS0_14default_configENS1_36segmented_radix_sort_config_selectorIdlEEZNS1_25segmented_radix_sort_implIS3_Lb0EPKdPdPKlPlN2at6native12_GLOBAL__N_18offset_tEEE10hipError_tPvRmT1_PNSt15iterator_traitsISK_E10value_typeET2_T3_PNSL_ISQ_E10value_typeET4_jRbjT5_SW_jjP12ihipStream_tbEUlT_E0_NS1_11comp_targetILNS1_3genE10ELNS1_11target_archE1201ELNS1_3gpuE5ELNS1_3repE0EEENS1_60segmented_radix_sort_warp_sort_medium_config_static_selectorELNS0_4arch9wavefront6targetE0EEEvSK_,"axG",@progbits,_ZN7rocprim17ROCPRIM_400000_NS6detail17trampoline_kernelINS0_14default_configENS1_36segmented_radix_sort_config_selectorIdlEEZNS1_25segmented_radix_sort_implIS3_Lb0EPKdPdPKlPlN2at6native12_GLOBAL__N_18offset_tEEE10hipError_tPvRmT1_PNSt15iterator_traitsISK_E10value_typeET2_T3_PNSL_ISQ_E10value_typeET4_jRbjT5_SW_jjP12ihipStream_tbEUlT_E0_NS1_11comp_targetILNS1_3genE10ELNS1_11target_archE1201ELNS1_3gpuE5ELNS1_3repE0EEENS1_60segmented_radix_sort_warp_sort_medium_config_static_selectorELNS0_4arch9wavefront6targetE0EEEvSK_,comdat
	.globl	_ZN7rocprim17ROCPRIM_400000_NS6detail17trampoline_kernelINS0_14default_configENS1_36segmented_radix_sort_config_selectorIdlEEZNS1_25segmented_radix_sort_implIS3_Lb0EPKdPdPKlPlN2at6native12_GLOBAL__N_18offset_tEEE10hipError_tPvRmT1_PNSt15iterator_traitsISK_E10value_typeET2_T3_PNSL_ISQ_E10value_typeET4_jRbjT5_SW_jjP12ihipStream_tbEUlT_E0_NS1_11comp_targetILNS1_3genE10ELNS1_11target_archE1201ELNS1_3gpuE5ELNS1_3repE0EEENS1_60segmented_radix_sort_warp_sort_medium_config_static_selectorELNS0_4arch9wavefront6targetE0EEEvSK_ ; -- Begin function _ZN7rocprim17ROCPRIM_400000_NS6detail17trampoline_kernelINS0_14default_configENS1_36segmented_radix_sort_config_selectorIdlEEZNS1_25segmented_radix_sort_implIS3_Lb0EPKdPdPKlPlN2at6native12_GLOBAL__N_18offset_tEEE10hipError_tPvRmT1_PNSt15iterator_traitsISK_E10value_typeET2_T3_PNSL_ISQ_E10value_typeET4_jRbjT5_SW_jjP12ihipStream_tbEUlT_E0_NS1_11comp_targetILNS1_3genE10ELNS1_11target_archE1201ELNS1_3gpuE5ELNS1_3repE0EEENS1_60segmented_radix_sort_warp_sort_medium_config_static_selectorELNS0_4arch9wavefront6targetE0EEEvSK_
	.p2align	8
	.type	_ZN7rocprim17ROCPRIM_400000_NS6detail17trampoline_kernelINS0_14default_configENS1_36segmented_radix_sort_config_selectorIdlEEZNS1_25segmented_radix_sort_implIS3_Lb0EPKdPdPKlPlN2at6native12_GLOBAL__N_18offset_tEEE10hipError_tPvRmT1_PNSt15iterator_traitsISK_E10value_typeET2_T3_PNSL_ISQ_E10value_typeET4_jRbjT5_SW_jjP12ihipStream_tbEUlT_E0_NS1_11comp_targetILNS1_3genE10ELNS1_11target_archE1201ELNS1_3gpuE5ELNS1_3repE0EEENS1_60segmented_radix_sort_warp_sort_medium_config_static_selectorELNS0_4arch9wavefront6targetE0EEEvSK_,@function
_ZN7rocprim17ROCPRIM_400000_NS6detail17trampoline_kernelINS0_14default_configENS1_36segmented_radix_sort_config_selectorIdlEEZNS1_25segmented_radix_sort_implIS3_Lb0EPKdPdPKlPlN2at6native12_GLOBAL__N_18offset_tEEE10hipError_tPvRmT1_PNSt15iterator_traitsISK_E10value_typeET2_T3_PNSL_ISQ_E10value_typeET4_jRbjT5_SW_jjP12ihipStream_tbEUlT_E0_NS1_11comp_targetILNS1_3genE10ELNS1_11target_archE1201ELNS1_3gpuE5ELNS1_3repE0EEENS1_60segmented_radix_sort_warp_sort_medium_config_static_selectorELNS0_4arch9wavefront6targetE0EEEvSK_: ; @_ZN7rocprim17ROCPRIM_400000_NS6detail17trampoline_kernelINS0_14default_configENS1_36segmented_radix_sort_config_selectorIdlEEZNS1_25segmented_radix_sort_implIS3_Lb0EPKdPdPKlPlN2at6native12_GLOBAL__N_18offset_tEEE10hipError_tPvRmT1_PNSt15iterator_traitsISK_E10value_typeET2_T3_PNSL_ISQ_E10value_typeET4_jRbjT5_SW_jjP12ihipStream_tbEUlT_E0_NS1_11comp_targetILNS1_3genE10ELNS1_11target_archE1201ELNS1_3gpuE5ELNS1_3repE0EEENS1_60segmented_radix_sort_warp_sort_medium_config_static_selectorELNS0_4arch9wavefront6targetE0EEEvSK_
; %bb.0:
	s_load_b32 s2, s[0:1], 0x64
	v_bfe_u32 v1, v0, 10, 10
	v_bfe_u32 v2, v0, 20, 10
	s_mov_b32 s32, 0
	s_wait_kmcnt 0x0
	s_lshr_b32 s3, s2, 16
	s_and_b32 s2, s2, 0xffff
	v_mad_u32_u24 v2, v2, s3, v1
	v_and_b32_e32 v1, 0x3ff, v0
	s_load_b32 s3, s[0:1], 0x34
	s_delay_alu instid0(VALU_DEP_1) | instskip(SKIP_2) | instid1(VALU_DEP_1)
	v_mad_co_u64_u32 v[1:2], null, v2, s2, v[1:2]
	s_mov_b32 s2, exec_lo
	v_lshrrev_b32_e32 v1, 4, v1
	v_lshl_add_u32 v1, ttmp9, 4, v1
	s_wait_kmcnt 0x0
	s_delay_alu instid0(VALU_DEP_1)
	v_cmpx_gt_u32_e64 s3, v1
	s_cbranch_execz .LBB1237_6
; %bb.1:
	s_clause 0x1
	s_load_b64 s[2:3], s[0:1], 0x38
	s_load_b128 s[4:7], s[0:1], 0x40
	v_mov_b32_e32 v2, 0
	s_delay_alu instid0(VALU_DEP_1) | instskip(SKIP_1) | instid1(VALU_DEP_1)
	v_lshlrev_b64_e32 v[1:2], 2, v[1:2]
	s_wait_kmcnt 0x0
	v_add_co_u32 v1, vcc_lo, s2, v1
	s_delay_alu instid0(VALU_DEP_1) | instskip(SKIP_4) | instid1(VALU_DEP_2)
	v_add_co_ci_u32_e64 v2, null, s3, v2, vcc_lo
	global_load_b32 v1, v[1:2], off
	s_wait_loadcnt 0x0
	v_add_nc_u32_e32 v2, s5, v1
	v_add_nc_u32_e32 v1, s7, v1
	v_mul_lo_u32 v40, v2, s4
	s_delay_alu instid0(VALU_DEP_2) | instskip(NEXT) | instid1(VALU_DEP_1)
	v_mul_lo_u32 v41, v1, s6
	v_cmp_gt_u32_e32 vcc_lo, v41, v40
	s_and_b32 exec_lo, exec_lo, vcc_lo
	s_cbranch_execz .LBB1237_6
; %bb.2:
	s_clause 0x2
	s_load_b32 s2, s[0:1], 0x30
	s_load_b128 s[24:27], s[0:1], 0x20
	s_load_b256 s[36:43], s[0:1], 0x0
	s_add_nc_u64 s[20:21], s[0:1], 0x58
	s_wait_kmcnt 0x0
	s_bitcmp0_b32 s2, 0
	s_mov_b32 s2, -1
	s_cbranch_scc0 .LBB1237_4
; %bb.3:
	v_dual_mov_b32 v31, v0 :: v_dual_mov_b32 v42, v0
	v_dual_mov_b32 v0, s36 :: v_dual_mov_b32 v1, s37
	;; [unrolled: 1-line block ×6, first 2 shown]
	s_getpc_b64 s[0:1]
	s_wait_alu 0xfffe
	s_sext_i32_i16 s1, s1
	s_add_co_u32 s0, s0, _ZN7rocprim17ROCPRIM_400000_NS6detail26segmented_warp_sort_helperINS1_20WarpSortHelperConfigILj16ELj8ELj256EEEdlLi256ELb0EvE4sortIPKdPdPKlPlEEvT_T0_T1_T2_jjjjRNS5_12storage_typeE@rel32@lo+12
	s_wait_alu 0xfffe
	s_add_co_ci_u32 s1, s1, _ZN7rocprim17ROCPRIM_400000_NS6detail26segmented_warp_sort_helperINS1_20WarpSortHelperConfigILj16ELj8ELj256EEEdlLi256ELb0EvE4sortIPKdPdPKlPlEEvT_T0_T1_T2_jjjjRNS5_12storage_typeE@rel32@hi+24
	s_mov_b64 s[8:9], s[20:21]
	s_wait_alu 0xfffe
	s_swappc_b64 s[30:31], s[0:1]
	v_mov_b32_e32 v0, v42
	s_mov_b32 s2, 0
.LBB1237_4:
	s_wait_alu 0xfffe
	s_and_not1_b32 vcc_lo, exec_lo, s2
	s_wait_alu 0xfffe
	s_cbranch_vccnz .LBB1237_6
; %bb.5:
	v_dual_mov_b32 v31, v0 :: v_dual_mov_b32 v0, s36
	v_dual_mov_b32 v1, s37 :: v_dual_mov_b32 v2, s40
	;; [unrolled: 1-line block ×5, first 2 shown]
	v_mov_b32_e32 v9, v41
	s_getpc_b64 s[0:1]
	s_wait_alu 0xfffe
	s_sext_i32_i16 s1, s1
	s_add_co_u32 s0, s0, _ZN7rocprim17ROCPRIM_400000_NS6detail26segmented_warp_sort_helperINS1_20WarpSortHelperConfigILj16ELj8ELj256EEEdlLi256ELb0EvE4sortIPKdPdPKlPlEEvT_T0_T1_T2_jjjjRNS5_12storage_typeE@rel32@lo+12
	s_wait_alu 0xfffe
	s_add_co_ci_u32 s1, s1, _ZN7rocprim17ROCPRIM_400000_NS6detail26segmented_warp_sort_helperINS1_20WarpSortHelperConfigILj16ELj8ELj256EEEdlLi256ELb0EvE4sortIPKdPdPKlPlEEvT_T0_T1_T2_jjjjRNS5_12storage_typeE@rel32@hi+24
	s_mov_b64 s[8:9], s[20:21]
	s_wait_alu 0xfffe
	s_swappc_b64 s[30:31], s[0:1]
.LBB1237_6:
	s_endpgm
	.section	.rodata,"a",@progbits
	.p2align	6, 0x0
	.amdhsa_kernel _ZN7rocprim17ROCPRIM_400000_NS6detail17trampoline_kernelINS0_14default_configENS1_36segmented_radix_sort_config_selectorIdlEEZNS1_25segmented_radix_sort_implIS3_Lb0EPKdPdPKlPlN2at6native12_GLOBAL__N_18offset_tEEE10hipError_tPvRmT1_PNSt15iterator_traitsISK_E10value_typeET2_T3_PNSL_ISQ_E10value_typeET4_jRbjT5_SW_jjP12ihipStream_tbEUlT_E0_NS1_11comp_targetILNS1_3genE10ELNS1_11target_archE1201ELNS1_3gpuE5ELNS1_3repE0EEENS1_60segmented_radix_sort_warp_sort_medium_config_static_selectorELNS0_4arch9wavefront6targetE0EEEvSK_
		.amdhsa_group_segment_fixed_size 32768
		.amdhsa_private_segment_fixed_size 0
		.amdhsa_kernarg_size 344
		.amdhsa_user_sgpr_count 2
		.amdhsa_user_sgpr_dispatch_ptr 0
		.amdhsa_user_sgpr_queue_ptr 0
		.amdhsa_user_sgpr_kernarg_segment_ptr 1
		.amdhsa_user_sgpr_dispatch_id 0
		.amdhsa_user_sgpr_private_segment_size 0
		.amdhsa_wavefront_size32 1
		.amdhsa_uses_dynamic_stack 0
		.amdhsa_enable_private_segment 0
		.amdhsa_system_sgpr_workgroup_id_x 1
		.amdhsa_system_sgpr_workgroup_id_y 1
		.amdhsa_system_sgpr_workgroup_id_z 0
		.amdhsa_system_sgpr_workgroup_info 0
		.amdhsa_system_vgpr_workitem_id 2
		.amdhsa_next_free_vgpr 169
		.amdhsa_next_free_sgpr 44
		.amdhsa_reserve_vcc 1
		.amdhsa_float_round_mode_32 0
		.amdhsa_float_round_mode_16_64 0
		.amdhsa_float_denorm_mode_32 3
		.amdhsa_float_denorm_mode_16_64 3
		.amdhsa_fp16_overflow 0
		.amdhsa_workgroup_processor_mode 1
		.amdhsa_memory_ordered 1
		.amdhsa_forward_progress 1
		.amdhsa_inst_pref_size 4
		.amdhsa_round_robin_scheduling 0
		.amdhsa_exception_fp_ieee_invalid_op 0
		.amdhsa_exception_fp_denorm_src 0
		.amdhsa_exception_fp_ieee_div_zero 0
		.amdhsa_exception_fp_ieee_overflow 0
		.amdhsa_exception_fp_ieee_underflow 0
		.amdhsa_exception_fp_ieee_inexact 0
		.amdhsa_exception_int_div_zero 0
	.end_amdhsa_kernel
	.section	.text._ZN7rocprim17ROCPRIM_400000_NS6detail17trampoline_kernelINS0_14default_configENS1_36segmented_radix_sort_config_selectorIdlEEZNS1_25segmented_radix_sort_implIS3_Lb0EPKdPdPKlPlN2at6native12_GLOBAL__N_18offset_tEEE10hipError_tPvRmT1_PNSt15iterator_traitsISK_E10value_typeET2_T3_PNSL_ISQ_E10value_typeET4_jRbjT5_SW_jjP12ihipStream_tbEUlT_E0_NS1_11comp_targetILNS1_3genE10ELNS1_11target_archE1201ELNS1_3gpuE5ELNS1_3repE0EEENS1_60segmented_radix_sort_warp_sort_medium_config_static_selectorELNS0_4arch9wavefront6targetE0EEEvSK_,"axG",@progbits,_ZN7rocprim17ROCPRIM_400000_NS6detail17trampoline_kernelINS0_14default_configENS1_36segmented_radix_sort_config_selectorIdlEEZNS1_25segmented_radix_sort_implIS3_Lb0EPKdPdPKlPlN2at6native12_GLOBAL__N_18offset_tEEE10hipError_tPvRmT1_PNSt15iterator_traitsISK_E10value_typeET2_T3_PNSL_ISQ_E10value_typeET4_jRbjT5_SW_jjP12ihipStream_tbEUlT_E0_NS1_11comp_targetILNS1_3genE10ELNS1_11target_archE1201ELNS1_3gpuE5ELNS1_3repE0EEENS1_60segmented_radix_sort_warp_sort_medium_config_static_selectorELNS0_4arch9wavefront6targetE0EEEvSK_,comdat
.Lfunc_end1237:
	.size	_ZN7rocprim17ROCPRIM_400000_NS6detail17trampoline_kernelINS0_14default_configENS1_36segmented_radix_sort_config_selectorIdlEEZNS1_25segmented_radix_sort_implIS3_Lb0EPKdPdPKlPlN2at6native12_GLOBAL__N_18offset_tEEE10hipError_tPvRmT1_PNSt15iterator_traitsISK_E10value_typeET2_T3_PNSL_ISQ_E10value_typeET4_jRbjT5_SW_jjP12ihipStream_tbEUlT_E0_NS1_11comp_targetILNS1_3genE10ELNS1_11target_archE1201ELNS1_3gpuE5ELNS1_3repE0EEENS1_60segmented_radix_sort_warp_sort_medium_config_static_selectorELNS0_4arch9wavefront6targetE0EEEvSK_, .Lfunc_end1237-_ZN7rocprim17ROCPRIM_400000_NS6detail17trampoline_kernelINS0_14default_configENS1_36segmented_radix_sort_config_selectorIdlEEZNS1_25segmented_radix_sort_implIS3_Lb0EPKdPdPKlPlN2at6native12_GLOBAL__N_18offset_tEEE10hipError_tPvRmT1_PNSt15iterator_traitsISK_E10value_typeET2_T3_PNSL_ISQ_E10value_typeET4_jRbjT5_SW_jjP12ihipStream_tbEUlT_E0_NS1_11comp_targetILNS1_3genE10ELNS1_11target_archE1201ELNS1_3gpuE5ELNS1_3repE0EEENS1_60segmented_radix_sort_warp_sort_medium_config_static_selectorELNS0_4arch9wavefront6targetE0EEEvSK_
                                        ; -- End function
	.set _ZN7rocprim17ROCPRIM_400000_NS6detail17trampoline_kernelINS0_14default_configENS1_36segmented_radix_sort_config_selectorIdlEEZNS1_25segmented_radix_sort_implIS3_Lb0EPKdPdPKlPlN2at6native12_GLOBAL__N_18offset_tEEE10hipError_tPvRmT1_PNSt15iterator_traitsISK_E10value_typeET2_T3_PNSL_ISQ_E10value_typeET4_jRbjT5_SW_jjP12ihipStream_tbEUlT_E0_NS1_11comp_targetILNS1_3genE10ELNS1_11target_archE1201ELNS1_3gpuE5ELNS1_3repE0EEENS1_60segmented_radix_sort_warp_sort_medium_config_static_selectorELNS0_4arch9wavefront6targetE0EEEvSK_.num_vgpr, max(43, .L_ZN7rocprim17ROCPRIM_400000_NS6detail26segmented_warp_sort_helperINS1_20WarpSortHelperConfigILj16ELj8ELj256EEEdlLi256ELb0EvE4sortIPKdPdPKlPlEEvT_T0_T1_T2_jjjjRNS5_12storage_typeE.num_vgpr)
	.set _ZN7rocprim17ROCPRIM_400000_NS6detail17trampoline_kernelINS0_14default_configENS1_36segmented_radix_sort_config_selectorIdlEEZNS1_25segmented_radix_sort_implIS3_Lb0EPKdPdPKlPlN2at6native12_GLOBAL__N_18offset_tEEE10hipError_tPvRmT1_PNSt15iterator_traitsISK_E10value_typeET2_T3_PNSL_ISQ_E10value_typeET4_jRbjT5_SW_jjP12ihipStream_tbEUlT_E0_NS1_11comp_targetILNS1_3genE10ELNS1_11target_archE1201ELNS1_3gpuE5ELNS1_3repE0EEENS1_60segmented_radix_sort_warp_sort_medium_config_static_selectorELNS0_4arch9wavefront6targetE0EEEvSK_.num_agpr, max(0, .L_ZN7rocprim17ROCPRIM_400000_NS6detail26segmented_warp_sort_helperINS1_20WarpSortHelperConfigILj16ELj8ELj256EEEdlLi256ELb0EvE4sortIPKdPdPKlPlEEvT_T0_T1_T2_jjjjRNS5_12storage_typeE.num_agpr)
	.set _ZN7rocprim17ROCPRIM_400000_NS6detail17trampoline_kernelINS0_14default_configENS1_36segmented_radix_sort_config_selectorIdlEEZNS1_25segmented_radix_sort_implIS3_Lb0EPKdPdPKlPlN2at6native12_GLOBAL__N_18offset_tEEE10hipError_tPvRmT1_PNSt15iterator_traitsISK_E10value_typeET2_T3_PNSL_ISQ_E10value_typeET4_jRbjT5_SW_jjP12ihipStream_tbEUlT_E0_NS1_11comp_targetILNS1_3genE10ELNS1_11target_archE1201ELNS1_3gpuE5ELNS1_3repE0EEENS1_60segmented_radix_sort_warp_sort_medium_config_static_selectorELNS0_4arch9wavefront6targetE0EEEvSK_.numbered_sgpr, max(44, .L_ZN7rocprim17ROCPRIM_400000_NS6detail26segmented_warp_sort_helperINS1_20WarpSortHelperConfigILj16ELj8ELj256EEEdlLi256ELb0EvE4sortIPKdPdPKlPlEEvT_T0_T1_T2_jjjjRNS5_12storage_typeE.numbered_sgpr)
	.set _ZN7rocprim17ROCPRIM_400000_NS6detail17trampoline_kernelINS0_14default_configENS1_36segmented_radix_sort_config_selectorIdlEEZNS1_25segmented_radix_sort_implIS3_Lb0EPKdPdPKlPlN2at6native12_GLOBAL__N_18offset_tEEE10hipError_tPvRmT1_PNSt15iterator_traitsISK_E10value_typeET2_T3_PNSL_ISQ_E10value_typeET4_jRbjT5_SW_jjP12ihipStream_tbEUlT_E0_NS1_11comp_targetILNS1_3genE10ELNS1_11target_archE1201ELNS1_3gpuE5ELNS1_3repE0EEENS1_60segmented_radix_sort_warp_sort_medium_config_static_selectorELNS0_4arch9wavefront6targetE0EEEvSK_.num_named_barrier, max(0, .L_ZN7rocprim17ROCPRIM_400000_NS6detail26segmented_warp_sort_helperINS1_20WarpSortHelperConfigILj16ELj8ELj256EEEdlLi256ELb0EvE4sortIPKdPdPKlPlEEvT_T0_T1_T2_jjjjRNS5_12storage_typeE.num_named_barrier)
	.set _ZN7rocprim17ROCPRIM_400000_NS6detail17trampoline_kernelINS0_14default_configENS1_36segmented_radix_sort_config_selectorIdlEEZNS1_25segmented_radix_sort_implIS3_Lb0EPKdPdPKlPlN2at6native12_GLOBAL__N_18offset_tEEE10hipError_tPvRmT1_PNSt15iterator_traitsISK_E10value_typeET2_T3_PNSL_ISQ_E10value_typeET4_jRbjT5_SW_jjP12ihipStream_tbEUlT_E0_NS1_11comp_targetILNS1_3genE10ELNS1_11target_archE1201ELNS1_3gpuE5ELNS1_3repE0EEENS1_60segmented_radix_sort_warp_sort_medium_config_static_selectorELNS0_4arch9wavefront6targetE0EEEvSK_.private_seg_size, 0+max(.L_ZN7rocprim17ROCPRIM_400000_NS6detail26segmented_warp_sort_helperINS1_20WarpSortHelperConfigILj16ELj8ELj256EEEdlLi256ELb0EvE4sortIPKdPdPKlPlEEvT_T0_T1_T2_jjjjRNS5_12storage_typeE.private_seg_size)
	.set _ZN7rocprim17ROCPRIM_400000_NS6detail17trampoline_kernelINS0_14default_configENS1_36segmented_radix_sort_config_selectorIdlEEZNS1_25segmented_radix_sort_implIS3_Lb0EPKdPdPKlPlN2at6native12_GLOBAL__N_18offset_tEEE10hipError_tPvRmT1_PNSt15iterator_traitsISK_E10value_typeET2_T3_PNSL_ISQ_E10value_typeET4_jRbjT5_SW_jjP12ihipStream_tbEUlT_E0_NS1_11comp_targetILNS1_3genE10ELNS1_11target_archE1201ELNS1_3gpuE5ELNS1_3repE0EEENS1_60segmented_radix_sort_warp_sort_medium_config_static_selectorELNS0_4arch9wavefront6targetE0EEEvSK_.uses_vcc, or(1, .L_ZN7rocprim17ROCPRIM_400000_NS6detail26segmented_warp_sort_helperINS1_20WarpSortHelperConfigILj16ELj8ELj256EEEdlLi256ELb0EvE4sortIPKdPdPKlPlEEvT_T0_T1_T2_jjjjRNS5_12storage_typeE.uses_vcc)
	.set _ZN7rocprim17ROCPRIM_400000_NS6detail17trampoline_kernelINS0_14default_configENS1_36segmented_radix_sort_config_selectorIdlEEZNS1_25segmented_radix_sort_implIS3_Lb0EPKdPdPKlPlN2at6native12_GLOBAL__N_18offset_tEEE10hipError_tPvRmT1_PNSt15iterator_traitsISK_E10value_typeET2_T3_PNSL_ISQ_E10value_typeET4_jRbjT5_SW_jjP12ihipStream_tbEUlT_E0_NS1_11comp_targetILNS1_3genE10ELNS1_11target_archE1201ELNS1_3gpuE5ELNS1_3repE0EEENS1_60segmented_radix_sort_warp_sort_medium_config_static_selectorELNS0_4arch9wavefront6targetE0EEEvSK_.uses_flat_scratch, or(0, .L_ZN7rocprim17ROCPRIM_400000_NS6detail26segmented_warp_sort_helperINS1_20WarpSortHelperConfigILj16ELj8ELj256EEEdlLi256ELb0EvE4sortIPKdPdPKlPlEEvT_T0_T1_T2_jjjjRNS5_12storage_typeE.uses_flat_scratch)
	.set _ZN7rocprim17ROCPRIM_400000_NS6detail17trampoline_kernelINS0_14default_configENS1_36segmented_radix_sort_config_selectorIdlEEZNS1_25segmented_radix_sort_implIS3_Lb0EPKdPdPKlPlN2at6native12_GLOBAL__N_18offset_tEEE10hipError_tPvRmT1_PNSt15iterator_traitsISK_E10value_typeET2_T3_PNSL_ISQ_E10value_typeET4_jRbjT5_SW_jjP12ihipStream_tbEUlT_E0_NS1_11comp_targetILNS1_3genE10ELNS1_11target_archE1201ELNS1_3gpuE5ELNS1_3repE0EEENS1_60segmented_radix_sort_warp_sort_medium_config_static_selectorELNS0_4arch9wavefront6targetE0EEEvSK_.has_dyn_sized_stack, or(0, .L_ZN7rocprim17ROCPRIM_400000_NS6detail26segmented_warp_sort_helperINS1_20WarpSortHelperConfigILj16ELj8ELj256EEEdlLi256ELb0EvE4sortIPKdPdPKlPlEEvT_T0_T1_T2_jjjjRNS5_12storage_typeE.has_dyn_sized_stack)
	.set _ZN7rocprim17ROCPRIM_400000_NS6detail17trampoline_kernelINS0_14default_configENS1_36segmented_radix_sort_config_selectorIdlEEZNS1_25segmented_radix_sort_implIS3_Lb0EPKdPdPKlPlN2at6native12_GLOBAL__N_18offset_tEEE10hipError_tPvRmT1_PNSt15iterator_traitsISK_E10value_typeET2_T3_PNSL_ISQ_E10value_typeET4_jRbjT5_SW_jjP12ihipStream_tbEUlT_E0_NS1_11comp_targetILNS1_3genE10ELNS1_11target_archE1201ELNS1_3gpuE5ELNS1_3repE0EEENS1_60segmented_radix_sort_warp_sort_medium_config_static_selectorELNS0_4arch9wavefront6targetE0EEEvSK_.has_recursion, or(0, .L_ZN7rocprim17ROCPRIM_400000_NS6detail26segmented_warp_sort_helperINS1_20WarpSortHelperConfigILj16ELj8ELj256EEEdlLi256ELb0EvE4sortIPKdPdPKlPlEEvT_T0_T1_T2_jjjjRNS5_12storage_typeE.has_recursion)
	.set _ZN7rocprim17ROCPRIM_400000_NS6detail17trampoline_kernelINS0_14default_configENS1_36segmented_radix_sort_config_selectorIdlEEZNS1_25segmented_radix_sort_implIS3_Lb0EPKdPdPKlPlN2at6native12_GLOBAL__N_18offset_tEEE10hipError_tPvRmT1_PNSt15iterator_traitsISK_E10value_typeET2_T3_PNSL_ISQ_E10value_typeET4_jRbjT5_SW_jjP12ihipStream_tbEUlT_E0_NS1_11comp_targetILNS1_3genE10ELNS1_11target_archE1201ELNS1_3gpuE5ELNS1_3repE0EEENS1_60segmented_radix_sort_warp_sort_medium_config_static_selectorELNS0_4arch9wavefront6targetE0EEEvSK_.has_indirect_call, or(0, .L_ZN7rocprim17ROCPRIM_400000_NS6detail26segmented_warp_sort_helperINS1_20WarpSortHelperConfigILj16ELj8ELj256EEEdlLi256ELb0EvE4sortIPKdPdPKlPlEEvT_T0_T1_T2_jjjjRNS5_12storage_typeE.has_indirect_call)
	.section	.AMDGPU.csdata,"",@progbits
; Kernel info:
; codeLenInByte = 488
; TotalNumSgprs: 46
; NumVgprs: 104
; ScratchSize: 0
; MemoryBound: 0
; FloatMode: 240
; IeeeMode: 1
; LDSByteSize: 32768 bytes/workgroup (compile time only)
; SGPRBlocks: 0
; VGPRBlocks: 21
; NumSGPRsForWavesPerEU: 46
; NumVGPRsForWavesPerEU: 169
; Occupancy: 8
; WaveLimiterHint : 0
; COMPUTE_PGM_RSRC2:SCRATCH_EN: 0
; COMPUTE_PGM_RSRC2:USER_SGPR: 2
; COMPUTE_PGM_RSRC2:TRAP_HANDLER: 0
; COMPUTE_PGM_RSRC2:TGID_X_EN: 1
; COMPUTE_PGM_RSRC2:TGID_Y_EN: 1
; COMPUTE_PGM_RSRC2:TGID_Z_EN: 0
; COMPUTE_PGM_RSRC2:TIDIG_COMP_CNT: 2
	.section	.text._ZN7rocprim17ROCPRIM_400000_NS6detail17trampoline_kernelINS0_14default_configENS1_36segmented_radix_sort_config_selectorIdlEEZNS1_25segmented_radix_sort_implIS3_Lb0EPKdPdPKlPlN2at6native12_GLOBAL__N_18offset_tEEE10hipError_tPvRmT1_PNSt15iterator_traitsISK_E10value_typeET2_T3_PNSL_ISQ_E10value_typeET4_jRbjT5_SW_jjP12ihipStream_tbEUlT_E0_NS1_11comp_targetILNS1_3genE10ELNS1_11target_archE1200ELNS1_3gpuE4ELNS1_3repE0EEENS1_60segmented_radix_sort_warp_sort_medium_config_static_selectorELNS0_4arch9wavefront6targetE0EEEvSK_,"axG",@progbits,_ZN7rocprim17ROCPRIM_400000_NS6detail17trampoline_kernelINS0_14default_configENS1_36segmented_radix_sort_config_selectorIdlEEZNS1_25segmented_radix_sort_implIS3_Lb0EPKdPdPKlPlN2at6native12_GLOBAL__N_18offset_tEEE10hipError_tPvRmT1_PNSt15iterator_traitsISK_E10value_typeET2_T3_PNSL_ISQ_E10value_typeET4_jRbjT5_SW_jjP12ihipStream_tbEUlT_E0_NS1_11comp_targetILNS1_3genE10ELNS1_11target_archE1200ELNS1_3gpuE4ELNS1_3repE0EEENS1_60segmented_radix_sort_warp_sort_medium_config_static_selectorELNS0_4arch9wavefront6targetE0EEEvSK_,comdat
	.globl	_ZN7rocprim17ROCPRIM_400000_NS6detail17trampoline_kernelINS0_14default_configENS1_36segmented_radix_sort_config_selectorIdlEEZNS1_25segmented_radix_sort_implIS3_Lb0EPKdPdPKlPlN2at6native12_GLOBAL__N_18offset_tEEE10hipError_tPvRmT1_PNSt15iterator_traitsISK_E10value_typeET2_T3_PNSL_ISQ_E10value_typeET4_jRbjT5_SW_jjP12ihipStream_tbEUlT_E0_NS1_11comp_targetILNS1_3genE10ELNS1_11target_archE1200ELNS1_3gpuE4ELNS1_3repE0EEENS1_60segmented_radix_sort_warp_sort_medium_config_static_selectorELNS0_4arch9wavefront6targetE0EEEvSK_ ; -- Begin function _ZN7rocprim17ROCPRIM_400000_NS6detail17trampoline_kernelINS0_14default_configENS1_36segmented_radix_sort_config_selectorIdlEEZNS1_25segmented_radix_sort_implIS3_Lb0EPKdPdPKlPlN2at6native12_GLOBAL__N_18offset_tEEE10hipError_tPvRmT1_PNSt15iterator_traitsISK_E10value_typeET2_T3_PNSL_ISQ_E10value_typeET4_jRbjT5_SW_jjP12ihipStream_tbEUlT_E0_NS1_11comp_targetILNS1_3genE10ELNS1_11target_archE1200ELNS1_3gpuE4ELNS1_3repE0EEENS1_60segmented_radix_sort_warp_sort_medium_config_static_selectorELNS0_4arch9wavefront6targetE0EEEvSK_
	.p2align	8
	.type	_ZN7rocprim17ROCPRIM_400000_NS6detail17trampoline_kernelINS0_14default_configENS1_36segmented_radix_sort_config_selectorIdlEEZNS1_25segmented_radix_sort_implIS3_Lb0EPKdPdPKlPlN2at6native12_GLOBAL__N_18offset_tEEE10hipError_tPvRmT1_PNSt15iterator_traitsISK_E10value_typeET2_T3_PNSL_ISQ_E10value_typeET4_jRbjT5_SW_jjP12ihipStream_tbEUlT_E0_NS1_11comp_targetILNS1_3genE10ELNS1_11target_archE1200ELNS1_3gpuE4ELNS1_3repE0EEENS1_60segmented_radix_sort_warp_sort_medium_config_static_selectorELNS0_4arch9wavefront6targetE0EEEvSK_,@function
_ZN7rocprim17ROCPRIM_400000_NS6detail17trampoline_kernelINS0_14default_configENS1_36segmented_radix_sort_config_selectorIdlEEZNS1_25segmented_radix_sort_implIS3_Lb0EPKdPdPKlPlN2at6native12_GLOBAL__N_18offset_tEEE10hipError_tPvRmT1_PNSt15iterator_traitsISK_E10value_typeET2_T3_PNSL_ISQ_E10value_typeET4_jRbjT5_SW_jjP12ihipStream_tbEUlT_E0_NS1_11comp_targetILNS1_3genE10ELNS1_11target_archE1200ELNS1_3gpuE4ELNS1_3repE0EEENS1_60segmented_radix_sort_warp_sort_medium_config_static_selectorELNS0_4arch9wavefront6targetE0EEEvSK_: ; @_ZN7rocprim17ROCPRIM_400000_NS6detail17trampoline_kernelINS0_14default_configENS1_36segmented_radix_sort_config_selectorIdlEEZNS1_25segmented_radix_sort_implIS3_Lb0EPKdPdPKlPlN2at6native12_GLOBAL__N_18offset_tEEE10hipError_tPvRmT1_PNSt15iterator_traitsISK_E10value_typeET2_T3_PNSL_ISQ_E10value_typeET4_jRbjT5_SW_jjP12ihipStream_tbEUlT_E0_NS1_11comp_targetILNS1_3genE10ELNS1_11target_archE1200ELNS1_3gpuE4ELNS1_3repE0EEENS1_60segmented_radix_sort_warp_sort_medium_config_static_selectorELNS0_4arch9wavefront6targetE0EEEvSK_
; %bb.0:
	.section	.rodata,"a",@progbits
	.p2align	6, 0x0
	.amdhsa_kernel _ZN7rocprim17ROCPRIM_400000_NS6detail17trampoline_kernelINS0_14default_configENS1_36segmented_radix_sort_config_selectorIdlEEZNS1_25segmented_radix_sort_implIS3_Lb0EPKdPdPKlPlN2at6native12_GLOBAL__N_18offset_tEEE10hipError_tPvRmT1_PNSt15iterator_traitsISK_E10value_typeET2_T3_PNSL_ISQ_E10value_typeET4_jRbjT5_SW_jjP12ihipStream_tbEUlT_E0_NS1_11comp_targetILNS1_3genE10ELNS1_11target_archE1200ELNS1_3gpuE4ELNS1_3repE0EEENS1_60segmented_radix_sort_warp_sort_medium_config_static_selectorELNS0_4arch9wavefront6targetE0EEEvSK_
		.amdhsa_group_segment_fixed_size 0
		.amdhsa_private_segment_fixed_size 0
		.amdhsa_kernarg_size 88
		.amdhsa_user_sgpr_count 2
		.amdhsa_user_sgpr_dispatch_ptr 0
		.amdhsa_user_sgpr_queue_ptr 0
		.amdhsa_user_sgpr_kernarg_segment_ptr 1
		.amdhsa_user_sgpr_dispatch_id 0
		.amdhsa_user_sgpr_private_segment_size 0
		.amdhsa_wavefront_size32 1
		.amdhsa_uses_dynamic_stack 0
		.amdhsa_enable_private_segment 0
		.amdhsa_system_sgpr_workgroup_id_x 1
		.amdhsa_system_sgpr_workgroup_id_y 0
		.amdhsa_system_sgpr_workgroup_id_z 0
		.amdhsa_system_sgpr_workgroup_info 0
		.amdhsa_system_vgpr_workitem_id 0
		.amdhsa_next_free_vgpr 1
		.amdhsa_next_free_sgpr 1
		.amdhsa_reserve_vcc 0
		.amdhsa_float_round_mode_32 0
		.amdhsa_float_round_mode_16_64 0
		.amdhsa_float_denorm_mode_32 3
		.amdhsa_float_denorm_mode_16_64 3
		.amdhsa_fp16_overflow 0
		.amdhsa_workgroup_processor_mode 1
		.amdhsa_memory_ordered 1
		.amdhsa_forward_progress 1
		.amdhsa_inst_pref_size 0
		.amdhsa_round_robin_scheduling 0
		.amdhsa_exception_fp_ieee_invalid_op 0
		.amdhsa_exception_fp_denorm_src 0
		.amdhsa_exception_fp_ieee_div_zero 0
		.amdhsa_exception_fp_ieee_overflow 0
		.amdhsa_exception_fp_ieee_underflow 0
		.amdhsa_exception_fp_ieee_inexact 0
		.amdhsa_exception_int_div_zero 0
	.end_amdhsa_kernel
	.section	.text._ZN7rocprim17ROCPRIM_400000_NS6detail17trampoline_kernelINS0_14default_configENS1_36segmented_radix_sort_config_selectorIdlEEZNS1_25segmented_radix_sort_implIS3_Lb0EPKdPdPKlPlN2at6native12_GLOBAL__N_18offset_tEEE10hipError_tPvRmT1_PNSt15iterator_traitsISK_E10value_typeET2_T3_PNSL_ISQ_E10value_typeET4_jRbjT5_SW_jjP12ihipStream_tbEUlT_E0_NS1_11comp_targetILNS1_3genE10ELNS1_11target_archE1200ELNS1_3gpuE4ELNS1_3repE0EEENS1_60segmented_radix_sort_warp_sort_medium_config_static_selectorELNS0_4arch9wavefront6targetE0EEEvSK_,"axG",@progbits,_ZN7rocprim17ROCPRIM_400000_NS6detail17trampoline_kernelINS0_14default_configENS1_36segmented_radix_sort_config_selectorIdlEEZNS1_25segmented_radix_sort_implIS3_Lb0EPKdPdPKlPlN2at6native12_GLOBAL__N_18offset_tEEE10hipError_tPvRmT1_PNSt15iterator_traitsISK_E10value_typeET2_T3_PNSL_ISQ_E10value_typeET4_jRbjT5_SW_jjP12ihipStream_tbEUlT_E0_NS1_11comp_targetILNS1_3genE10ELNS1_11target_archE1200ELNS1_3gpuE4ELNS1_3repE0EEENS1_60segmented_radix_sort_warp_sort_medium_config_static_selectorELNS0_4arch9wavefront6targetE0EEEvSK_,comdat
.Lfunc_end1238:
	.size	_ZN7rocprim17ROCPRIM_400000_NS6detail17trampoline_kernelINS0_14default_configENS1_36segmented_radix_sort_config_selectorIdlEEZNS1_25segmented_radix_sort_implIS3_Lb0EPKdPdPKlPlN2at6native12_GLOBAL__N_18offset_tEEE10hipError_tPvRmT1_PNSt15iterator_traitsISK_E10value_typeET2_T3_PNSL_ISQ_E10value_typeET4_jRbjT5_SW_jjP12ihipStream_tbEUlT_E0_NS1_11comp_targetILNS1_3genE10ELNS1_11target_archE1200ELNS1_3gpuE4ELNS1_3repE0EEENS1_60segmented_radix_sort_warp_sort_medium_config_static_selectorELNS0_4arch9wavefront6targetE0EEEvSK_, .Lfunc_end1238-_ZN7rocprim17ROCPRIM_400000_NS6detail17trampoline_kernelINS0_14default_configENS1_36segmented_radix_sort_config_selectorIdlEEZNS1_25segmented_radix_sort_implIS3_Lb0EPKdPdPKlPlN2at6native12_GLOBAL__N_18offset_tEEE10hipError_tPvRmT1_PNSt15iterator_traitsISK_E10value_typeET2_T3_PNSL_ISQ_E10value_typeET4_jRbjT5_SW_jjP12ihipStream_tbEUlT_E0_NS1_11comp_targetILNS1_3genE10ELNS1_11target_archE1200ELNS1_3gpuE4ELNS1_3repE0EEENS1_60segmented_radix_sort_warp_sort_medium_config_static_selectorELNS0_4arch9wavefront6targetE0EEEvSK_
                                        ; -- End function
	.set _ZN7rocprim17ROCPRIM_400000_NS6detail17trampoline_kernelINS0_14default_configENS1_36segmented_radix_sort_config_selectorIdlEEZNS1_25segmented_radix_sort_implIS3_Lb0EPKdPdPKlPlN2at6native12_GLOBAL__N_18offset_tEEE10hipError_tPvRmT1_PNSt15iterator_traitsISK_E10value_typeET2_T3_PNSL_ISQ_E10value_typeET4_jRbjT5_SW_jjP12ihipStream_tbEUlT_E0_NS1_11comp_targetILNS1_3genE10ELNS1_11target_archE1200ELNS1_3gpuE4ELNS1_3repE0EEENS1_60segmented_radix_sort_warp_sort_medium_config_static_selectorELNS0_4arch9wavefront6targetE0EEEvSK_.num_vgpr, 0
	.set _ZN7rocprim17ROCPRIM_400000_NS6detail17trampoline_kernelINS0_14default_configENS1_36segmented_radix_sort_config_selectorIdlEEZNS1_25segmented_radix_sort_implIS3_Lb0EPKdPdPKlPlN2at6native12_GLOBAL__N_18offset_tEEE10hipError_tPvRmT1_PNSt15iterator_traitsISK_E10value_typeET2_T3_PNSL_ISQ_E10value_typeET4_jRbjT5_SW_jjP12ihipStream_tbEUlT_E0_NS1_11comp_targetILNS1_3genE10ELNS1_11target_archE1200ELNS1_3gpuE4ELNS1_3repE0EEENS1_60segmented_radix_sort_warp_sort_medium_config_static_selectorELNS0_4arch9wavefront6targetE0EEEvSK_.num_agpr, 0
	.set _ZN7rocprim17ROCPRIM_400000_NS6detail17trampoline_kernelINS0_14default_configENS1_36segmented_radix_sort_config_selectorIdlEEZNS1_25segmented_radix_sort_implIS3_Lb0EPKdPdPKlPlN2at6native12_GLOBAL__N_18offset_tEEE10hipError_tPvRmT1_PNSt15iterator_traitsISK_E10value_typeET2_T3_PNSL_ISQ_E10value_typeET4_jRbjT5_SW_jjP12ihipStream_tbEUlT_E0_NS1_11comp_targetILNS1_3genE10ELNS1_11target_archE1200ELNS1_3gpuE4ELNS1_3repE0EEENS1_60segmented_radix_sort_warp_sort_medium_config_static_selectorELNS0_4arch9wavefront6targetE0EEEvSK_.numbered_sgpr, 0
	.set _ZN7rocprim17ROCPRIM_400000_NS6detail17trampoline_kernelINS0_14default_configENS1_36segmented_radix_sort_config_selectorIdlEEZNS1_25segmented_radix_sort_implIS3_Lb0EPKdPdPKlPlN2at6native12_GLOBAL__N_18offset_tEEE10hipError_tPvRmT1_PNSt15iterator_traitsISK_E10value_typeET2_T3_PNSL_ISQ_E10value_typeET4_jRbjT5_SW_jjP12ihipStream_tbEUlT_E0_NS1_11comp_targetILNS1_3genE10ELNS1_11target_archE1200ELNS1_3gpuE4ELNS1_3repE0EEENS1_60segmented_radix_sort_warp_sort_medium_config_static_selectorELNS0_4arch9wavefront6targetE0EEEvSK_.num_named_barrier, 0
	.set _ZN7rocprim17ROCPRIM_400000_NS6detail17trampoline_kernelINS0_14default_configENS1_36segmented_radix_sort_config_selectorIdlEEZNS1_25segmented_radix_sort_implIS3_Lb0EPKdPdPKlPlN2at6native12_GLOBAL__N_18offset_tEEE10hipError_tPvRmT1_PNSt15iterator_traitsISK_E10value_typeET2_T3_PNSL_ISQ_E10value_typeET4_jRbjT5_SW_jjP12ihipStream_tbEUlT_E0_NS1_11comp_targetILNS1_3genE10ELNS1_11target_archE1200ELNS1_3gpuE4ELNS1_3repE0EEENS1_60segmented_radix_sort_warp_sort_medium_config_static_selectorELNS0_4arch9wavefront6targetE0EEEvSK_.private_seg_size, 0
	.set _ZN7rocprim17ROCPRIM_400000_NS6detail17trampoline_kernelINS0_14default_configENS1_36segmented_radix_sort_config_selectorIdlEEZNS1_25segmented_radix_sort_implIS3_Lb0EPKdPdPKlPlN2at6native12_GLOBAL__N_18offset_tEEE10hipError_tPvRmT1_PNSt15iterator_traitsISK_E10value_typeET2_T3_PNSL_ISQ_E10value_typeET4_jRbjT5_SW_jjP12ihipStream_tbEUlT_E0_NS1_11comp_targetILNS1_3genE10ELNS1_11target_archE1200ELNS1_3gpuE4ELNS1_3repE0EEENS1_60segmented_radix_sort_warp_sort_medium_config_static_selectorELNS0_4arch9wavefront6targetE0EEEvSK_.uses_vcc, 0
	.set _ZN7rocprim17ROCPRIM_400000_NS6detail17trampoline_kernelINS0_14default_configENS1_36segmented_radix_sort_config_selectorIdlEEZNS1_25segmented_radix_sort_implIS3_Lb0EPKdPdPKlPlN2at6native12_GLOBAL__N_18offset_tEEE10hipError_tPvRmT1_PNSt15iterator_traitsISK_E10value_typeET2_T3_PNSL_ISQ_E10value_typeET4_jRbjT5_SW_jjP12ihipStream_tbEUlT_E0_NS1_11comp_targetILNS1_3genE10ELNS1_11target_archE1200ELNS1_3gpuE4ELNS1_3repE0EEENS1_60segmented_radix_sort_warp_sort_medium_config_static_selectorELNS0_4arch9wavefront6targetE0EEEvSK_.uses_flat_scratch, 0
	.set _ZN7rocprim17ROCPRIM_400000_NS6detail17trampoline_kernelINS0_14default_configENS1_36segmented_radix_sort_config_selectorIdlEEZNS1_25segmented_radix_sort_implIS3_Lb0EPKdPdPKlPlN2at6native12_GLOBAL__N_18offset_tEEE10hipError_tPvRmT1_PNSt15iterator_traitsISK_E10value_typeET2_T3_PNSL_ISQ_E10value_typeET4_jRbjT5_SW_jjP12ihipStream_tbEUlT_E0_NS1_11comp_targetILNS1_3genE10ELNS1_11target_archE1200ELNS1_3gpuE4ELNS1_3repE0EEENS1_60segmented_radix_sort_warp_sort_medium_config_static_selectorELNS0_4arch9wavefront6targetE0EEEvSK_.has_dyn_sized_stack, 0
	.set _ZN7rocprim17ROCPRIM_400000_NS6detail17trampoline_kernelINS0_14default_configENS1_36segmented_radix_sort_config_selectorIdlEEZNS1_25segmented_radix_sort_implIS3_Lb0EPKdPdPKlPlN2at6native12_GLOBAL__N_18offset_tEEE10hipError_tPvRmT1_PNSt15iterator_traitsISK_E10value_typeET2_T3_PNSL_ISQ_E10value_typeET4_jRbjT5_SW_jjP12ihipStream_tbEUlT_E0_NS1_11comp_targetILNS1_3genE10ELNS1_11target_archE1200ELNS1_3gpuE4ELNS1_3repE0EEENS1_60segmented_radix_sort_warp_sort_medium_config_static_selectorELNS0_4arch9wavefront6targetE0EEEvSK_.has_recursion, 0
	.set _ZN7rocprim17ROCPRIM_400000_NS6detail17trampoline_kernelINS0_14default_configENS1_36segmented_radix_sort_config_selectorIdlEEZNS1_25segmented_radix_sort_implIS3_Lb0EPKdPdPKlPlN2at6native12_GLOBAL__N_18offset_tEEE10hipError_tPvRmT1_PNSt15iterator_traitsISK_E10value_typeET2_T3_PNSL_ISQ_E10value_typeET4_jRbjT5_SW_jjP12ihipStream_tbEUlT_E0_NS1_11comp_targetILNS1_3genE10ELNS1_11target_archE1200ELNS1_3gpuE4ELNS1_3repE0EEENS1_60segmented_radix_sort_warp_sort_medium_config_static_selectorELNS0_4arch9wavefront6targetE0EEEvSK_.has_indirect_call, 0
	.section	.AMDGPU.csdata,"",@progbits
; Kernel info:
; codeLenInByte = 0
; TotalNumSgprs: 0
; NumVgprs: 0
; ScratchSize: 0
; MemoryBound: 0
; FloatMode: 240
; IeeeMode: 1
; LDSByteSize: 0 bytes/workgroup (compile time only)
; SGPRBlocks: 0
; VGPRBlocks: 0
; NumSGPRsForWavesPerEU: 1
; NumVGPRsForWavesPerEU: 1
; Occupancy: 16
; WaveLimiterHint : 0
; COMPUTE_PGM_RSRC2:SCRATCH_EN: 0
; COMPUTE_PGM_RSRC2:USER_SGPR: 2
; COMPUTE_PGM_RSRC2:TRAP_HANDLER: 0
; COMPUTE_PGM_RSRC2:TGID_X_EN: 1
; COMPUTE_PGM_RSRC2:TGID_Y_EN: 0
; COMPUTE_PGM_RSRC2:TGID_Z_EN: 0
; COMPUTE_PGM_RSRC2:TIDIG_COMP_CNT: 0
	.section	.text._ZN7rocprim17ROCPRIM_400000_NS6detail17trampoline_kernelINS0_14default_configENS1_36segmented_radix_sort_config_selectorIdlEEZNS1_25segmented_radix_sort_implIS3_Lb0EPKdPdPKlPlN2at6native12_GLOBAL__N_18offset_tEEE10hipError_tPvRmT1_PNSt15iterator_traitsISK_E10value_typeET2_T3_PNSL_ISQ_E10value_typeET4_jRbjT5_SW_jjP12ihipStream_tbEUlT_E0_NS1_11comp_targetILNS1_3genE9ELNS1_11target_archE1100ELNS1_3gpuE3ELNS1_3repE0EEENS1_60segmented_radix_sort_warp_sort_medium_config_static_selectorELNS0_4arch9wavefront6targetE0EEEvSK_,"axG",@progbits,_ZN7rocprim17ROCPRIM_400000_NS6detail17trampoline_kernelINS0_14default_configENS1_36segmented_radix_sort_config_selectorIdlEEZNS1_25segmented_radix_sort_implIS3_Lb0EPKdPdPKlPlN2at6native12_GLOBAL__N_18offset_tEEE10hipError_tPvRmT1_PNSt15iterator_traitsISK_E10value_typeET2_T3_PNSL_ISQ_E10value_typeET4_jRbjT5_SW_jjP12ihipStream_tbEUlT_E0_NS1_11comp_targetILNS1_3genE9ELNS1_11target_archE1100ELNS1_3gpuE3ELNS1_3repE0EEENS1_60segmented_radix_sort_warp_sort_medium_config_static_selectorELNS0_4arch9wavefront6targetE0EEEvSK_,comdat
	.globl	_ZN7rocprim17ROCPRIM_400000_NS6detail17trampoline_kernelINS0_14default_configENS1_36segmented_radix_sort_config_selectorIdlEEZNS1_25segmented_radix_sort_implIS3_Lb0EPKdPdPKlPlN2at6native12_GLOBAL__N_18offset_tEEE10hipError_tPvRmT1_PNSt15iterator_traitsISK_E10value_typeET2_T3_PNSL_ISQ_E10value_typeET4_jRbjT5_SW_jjP12ihipStream_tbEUlT_E0_NS1_11comp_targetILNS1_3genE9ELNS1_11target_archE1100ELNS1_3gpuE3ELNS1_3repE0EEENS1_60segmented_radix_sort_warp_sort_medium_config_static_selectorELNS0_4arch9wavefront6targetE0EEEvSK_ ; -- Begin function _ZN7rocprim17ROCPRIM_400000_NS6detail17trampoline_kernelINS0_14default_configENS1_36segmented_radix_sort_config_selectorIdlEEZNS1_25segmented_radix_sort_implIS3_Lb0EPKdPdPKlPlN2at6native12_GLOBAL__N_18offset_tEEE10hipError_tPvRmT1_PNSt15iterator_traitsISK_E10value_typeET2_T3_PNSL_ISQ_E10value_typeET4_jRbjT5_SW_jjP12ihipStream_tbEUlT_E0_NS1_11comp_targetILNS1_3genE9ELNS1_11target_archE1100ELNS1_3gpuE3ELNS1_3repE0EEENS1_60segmented_radix_sort_warp_sort_medium_config_static_selectorELNS0_4arch9wavefront6targetE0EEEvSK_
	.p2align	8
	.type	_ZN7rocprim17ROCPRIM_400000_NS6detail17trampoline_kernelINS0_14default_configENS1_36segmented_radix_sort_config_selectorIdlEEZNS1_25segmented_radix_sort_implIS3_Lb0EPKdPdPKlPlN2at6native12_GLOBAL__N_18offset_tEEE10hipError_tPvRmT1_PNSt15iterator_traitsISK_E10value_typeET2_T3_PNSL_ISQ_E10value_typeET4_jRbjT5_SW_jjP12ihipStream_tbEUlT_E0_NS1_11comp_targetILNS1_3genE9ELNS1_11target_archE1100ELNS1_3gpuE3ELNS1_3repE0EEENS1_60segmented_radix_sort_warp_sort_medium_config_static_selectorELNS0_4arch9wavefront6targetE0EEEvSK_,@function
_ZN7rocprim17ROCPRIM_400000_NS6detail17trampoline_kernelINS0_14default_configENS1_36segmented_radix_sort_config_selectorIdlEEZNS1_25segmented_radix_sort_implIS3_Lb0EPKdPdPKlPlN2at6native12_GLOBAL__N_18offset_tEEE10hipError_tPvRmT1_PNSt15iterator_traitsISK_E10value_typeET2_T3_PNSL_ISQ_E10value_typeET4_jRbjT5_SW_jjP12ihipStream_tbEUlT_E0_NS1_11comp_targetILNS1_3genE9ELNS1_11target_archE1100ELNS1_3gpuE3ELNS1_3repE0EEENS1_60segmented_radix_sort_warp_sort_medium_config_static_selectorELNS0_4arch9wavefront6targetE0EEEvSK_: ; @_ZN7rocprim17ROCPRIM_400000_NS6detail17trampoline_kernelINS0_14default_configENS1_36segmented_radix_sort_config_selectorIdlEEZNS1_25segmented_radix_sort_implIS3_Lb0EPKdPdPKlPlN2at6native12_GLOBAL__N_18offset_tEEE10hipError_tPvRmT1_PNSt15iterator_traitsISK_E10value_typeET2_T3_PNSL_ISQ_E10value_typeET4_jRbjT5_SW_jjP12ihipStream_tbEUlT_E0_NS1_11comp_targetILNS1_3genE9ELNS1_11target_archE1100ELNS1_3gpuE3ELNS1_3repE0EEENS1_60segmented_radix_sort_warp_sort_medium_config_static_selectorELNS0_4arch9wavefront6targetE0EEEvSK_
; %bb.0:
	.section	.rodata,"a",@progbits
	.p2align	6, 0x0
	.amdhsa_kernel _ZN7rocprim17ROCPRIM_400000_NS6detail17trampoline_kernelINS0_14default_configENS1_36segmented_radix_sort_config_selectorIdlEEZNS1_25segmented_radix_sort_implIS3_Lb0EPKdPdPKlPlN2at6native12_GLOBAL__N_18offset_tEEE10hipError_tPvRmT1_PNSt15iterator_traitsISK_E10value_typeET2_T3_PNSL_ISQ_E10value_typeET4_jRbjT5_SW_jjP12ihipStream_tbEUlT_E0_NS1_11comp_targetILNS1_3genE9ELNS1_11target_archE1100ELNS1_3gpuE3ELNS1_3repE0EEENS1_60segmented_radix_sort_warp_sort_medium_config_static_selectorELNS0_4arch9wavefront6targetE0EEEvSK_
		.amdhsa_group_segment_fixed_size 0
		.amdhsa_private_segment_fixed_size 0
		.amdhsa_kernarg_size 88
		.amdhsa_user_sgpr_count 2
		.amdhsa_user_sgpr_dispatch_ptr 0
		.amdhsa_user_sgpr_queue_ptr 0
		.amdhsa_user_sgpr_kernarg_segment_ptr 1
		.amdhsa_user_sgpr_dispatch_id 0
		.amdhsa_user_sgpr_private_segment_size 0
		.amdhsa_wavefront_size32 1
		.amdhsa_uses_dynamic_stack 0
		.amdhsa_enable_private_segment 0
		.amdhsa_system_sgpr_workgroup_id_x 1
		.amdhsa_system_sgpr_workgroup_id_y 0
		.amdhsa_system_sgpr_workgroup_id_z 0
		.amdhsa_system_sgpr_workgroup_info 0
		.amdhsa_system_vgpr_workitem_id 0
		.amdhsa_next_free_vgpr 1
		.amdhsa_next_free_sgpr 1
		.amdhsa_reserve_vcc 0
		.amdhsa_float_round_mode_32 0
		.amdhsa_float_round_mode_16_64 0
		.amdhsa_float_denorm_mode_32 3
		.amdhsa_float_denorm_mode_16_64 3
		.amdhsa_fp16_overflow 0
		.amdhsa_workgroup_processor_mode 1
		.amdhsa_memory_ordered 1
		.amdhsa_forward_progress 1
		.amdhsa_inst_pref_size 0
		.amdhsa_round_robin_scheduling 0
		.amdhsa_exception_fp_ieee_invalid_op 0
		.amdhsa_exception_fp_denorm_src 0
		.amdhsa_exception_fp_ieee_div_zero 0
		.amdhsa_exception_fp_ieee_overflow 0
		.amdhsa_exception_fp_ieee_underflow 0
		.amdhsa_exception_fp_ieee_inexact 0
		.amdhsa_exception_int_div_zero 0
	.end_amdhsa_kernel
	.section	.text._ZN7rocprim17ROCPRIM_400000_NS6detail17trampoline_kernelINS0_14default_configENS1_36segmented_radix_sort_config_selectorIdlEEZNS1_25segmented_radix_sort_implIS3_Lb0EPKdPdPKlPlN2at6native12_GLOBAL__N_18offset_tEEE10hipError_tPvRmT1_PNSt15iterator_traitsISK_E10value_typeET2_T3_PNSL_ISQ_E10value_typeET4_jRbjT5_SW_jjP12ihipStream_tbEUlT_E0_NS1_11comp_targetILNS1_3genE9ELNS1_11target_archE1100ELNS1_3gpuE3ELNS1_3repE0EEENS1_60segmented_radix_sort_warp_sort_medium_config_static_selectorELNS0_4arch9wavefront6targetE0EEEvSK_,"axG",@progbits,_ZN7rocprim17ROCPRIM_400000_NS6detail17trampoline_kernelINS0_14default_configENS1_36segmented_radix_sort_config_selectorIdlEEZNS1_25segmented_radix_sort_implIS3_Lb0EPKdPdPKlPlN2at6native12_GLOBAL__N_18offset_tEEE10hipError_tPvRmT1_PNSt15iterator_traitsISK_E10value_typeET2_T3_PNSL_ISQ_E10value_typeET4_jRbjT5_SW_jjP12ihipStream_tbEUlT_E0_NS1_11comp_targetILNS1_3genE9ELNS1_11target_archE1100ELNS1_3gpuE3ELNS1_3repE0EEENS1_60segmented_radix_sort_warp_sort_medium_config_static_selectorELNS0_4arch9wavefront6targetE0EEEvSK_,comdat
.Lfunc_end1239:
	.size	_ZN7rocprim17ROCPRIM_400000_NS6detail17trampoline_kernelINS0_14default_configENS1_36segmented_radix_sort_config_selectorIdlEEZNS1_25segmented_radix_sort_implIS3_Lb0EPKdPdPKlPlN2at6native12_GLOBAL__N_18offset_tEEE10hipError_tPvRmT1_PNSt15iterator_traitsISK_E10value_typeET2_T3_PNSL_ISQ_E10value_typeET4_jRbjT5_SW_jjP12ihipStream_tbEUlT_E0_NS1_11comp_targetILNS1_3genE9ELNS1_11target_archE1100ELNS1_3gpuE3ELNS1_3repE0EEENS1_60segmented_radix_sort_warp_sort_medium_config_static_selectorELNS0_4arch9wavefront6targetE0EEEvSK_, .Lfunc_end1239-_ZN7rocprim17ROCPRIM_400000_NS6detail17trampoline_kernelINS0_14default_configENS1_36segmented_radix_sort_config_selectorIdlEEZNS1_25segmented_radix_sort_implIS3_Lb0EPKdPdPKlPlN2at6native12_GLOBAL__N_18offset_tEEE10hipError_tPvRmT1_PNSt15iterator_traitsISK_E10value_typeET2_T3_PNSL_ISQ_E10value_typeET4_jRbjT5_SW_jjP12ihipStream_tbEUlT_E0_NS1_11comp_targetILNS1_3genE9ELNS1_11target_archE1100ELNS1_3gpuE3ELNS1_3repE0EEENS1_60segmented_radix_sort_warp_sort_medium_config_static_selectorELNS0_4arch9wavefront6targetE0EEEvSK_
                                        ; -- End function
	.set _ZN7rocprim17ROCPRIM_400000_NS6detail17trampoline_kernelINS0_14default_configENS1_36segmented_radix_sort_config_selectorIdlEEZNS1_25segmented_radix_sort_implIS3_Lb0EPKdPdPKlPlN2at6native12_GLOBAL__N_18offset_tEEE10hipError_tPvRmT1_PNSt15iterator_traitsISK_E10value_typeET2_T3_PNSL_ISQ_E10value_typeET4_jRbjT5_SW_jjP12ihipStream_tbEUlT_E0_NS1_11comp_targetILNS1_3genE9ELNS1_11target_archE1100ELNS1_3gpuE3ELNS1_3repE0EEENS1_60segmented_radix_sort_warp_sort_medium_config_static_selectorELNS0_4arch9wavefront6targetE0EEEvSK_.num_vgpr, 0
	.set _ZN7rocprim17ROCPRIM_400000_NS6detail17trampoline_kernelINS0_14default_configENS1_36segmented_radix_sort_config_selectorIdlEEZNS1_25segmented_radix_sort_implIS3_Lb0EPKdPdPKlPlN2at6native12_GLOBAL__N_18offset_tEEE10hipError_tPvRmT1_PNSt15iterator_traitsISK_E10value_typeET2_T3_PNSL_ISQ_E10value_typeET4_jRbjT5_SW_jjP12ihipStream_tbEUlT_E0_NS1_11comp_targetILNS1_3genE9ELNS1_11target_archE1100ELNS1_3gpuE3ELNS1_3repE0EEENS1_60segmented_radix_sort_warp_sort_medium_config_static_selectorELNS0_4arch9wavefront6targetE0EEEvSK_.num_agpr, 0
	.set _ZN7rocprim17ROCPRIM_400000_NS6detail17trampoline_kernelINS0_14default_configENS1_36segmented_radix_sort_config_selectorIdlEEZNS1_25segmented_radix_sort_implIS3_Lb0EPKdPdPKlPlN2at6native12_GLOBAL__N_18offset_tEEE10hipError_tPvRmT1_PNSt15iterator_traitsISK_E10value_typeET2_T3_PNSL_ISQ_E10value_typeET4_jRbjT5_SW_jjP12ihipStream_tbEUlT_E0_NS1_11comp_targetILNS1_3genE9ELNS1_11target_archE1100ELNS1_3gpuE3ELNS1_3repE0EEENS1_60segmented_radix_sort_warp_sort_medium_config_static_selectorELNS0_4arch9wavefront6targetE0EEEvSK_.numbered_sgpr, 0
	.set _ZN7rocprim17ROCPRIM_400000_NS6detail17trampoline_kernelINS0_14default_configENS1_36segmented_radix_sort_config_selectorIdlEEZNS1_25segmented_radix_sort_implIS3_Lb0EPKdPdPKlPlN2at6native12_GLOBAL__N_18offset_tEEE10hipError_tPvRmT1_PNSt15iterator_traitsISK_E10value_typeET2_T3_PNSL_ISQ_E10value_typeET4_jRbjT5_SW_jjP12ihipStream_tbEUlT_E0_NS1_11comp_targetILNS1_3genE9ELNS1_11target_archE1100ELNS1_3gpuE3ELNS1_3repE0EEENS1_60segmented_radix_sort_warp_sort_medium_config_static_selectorELNS0_4arch9wavefront6targetE0EEEvSK_.num_named_barrier, 0
	.set _ZN7rocprim17ROCPRIM_400000_NS6detail17trampoline_kernelINS0_14default_configENS1_36segmented_radix_sort_config_selectorIdlEEZNS1_25segmented_radix_sort_implIS3_Lb0EPKdPdPKlPlN2at6native12_GLOBAL__N_18offset_tEEE10hipError_tPvRmT1_PNSt15iterator_traitsISK_E10value_typeET2_T3_PNSL_ISQ_E10value_typeET4_jRbjT5_SW_jjP12ihipStream_tbEUlT_E0_NS1_11comp_targetILNS1_3genE9ELNS1_11target_archE1100ELNS1_3gpuE3ELNS1_3repE0EEENS1_60segmented_radix_sort_warp_sort_medium_config_static_selectorELNS0_4arch9wavefront6targetE0EEEvSK_.private_seg_size, 0
	.set _ZN7rocprim17ROCPRIM_400000_NS6detail17trampoline_kernelINS0_14default_configENS1_36segmented_radix_sort_config_selectorIdlEEZNS1_25segmented_radix_sort_implIS3_Lb0EPKdPdPKlPlN2at6native12_GLOBAL__N_18offset_tEEE10hipError_tPvRmT1_PNSt15iterator_traitsISK_E10value_typeET2_T3_PNSL_ISQ_E10value_typeET4_jRbjT5_SW_jjP12ihipStream_tbEUlT_E0_NS1_11comp_targetILNS1_3genE9ELNS1_11target_archE1100ELNS1_3gpuE3ELNS1_3repE0EEENS1_60segmented_radix_sort_warp_sort_medium_config_static_selectorELNS0_4arch9wavefront6targetE0EEEvSK_.uses_vcc, 0
	.set _ZN7rocprim17ROCPRIM_400000_NS6detail17trampoline_kernelINS0_14default_configENS1_36segmented_radix_sort_config_selectorIdlEEZNS1_25segmented_radix_sort_implIS3_Lb0EPKdPdPKlPlN2at6native12_GLOBAL__N_18offset_tEEE10hipError_tPvRmT1_PNSt15iterator_traitsISK_E10value_typeET2_T3_PNSL_ISQ_E10value_typeET4_jRbjT5_SW_jjP12ihipStream_tbEUlT_E0_NS1_11comp_targetILNS1_3genE9ELNS1_11target_archE1100ELNS1_3gpuE3ELNS1_3repE0EEENS1_60segmented_radix_sort_warp_sort_medium_config_static_selectorELNS0_4arch9wavefront6targetE0EEEvSK_.uses_flat_scratch, 0
	.set _ZN7rocprim17ROCPRIM_400000_NS6detail17trampoline_kernelINS0_14default_configENS1_36segmented_radix_sort_config_selectorIdlEEZNS1_25segmented_radix_sort_implIS3_Lb0EPKdPdPKlPlN2at6native12_GLOBAL__N_18offset_tEEE10hipError_tPvRmT1_PNSt15iterator_traitsISK_E10value_typeET2_T3_PNSL_ISQ_E10value_typeET4_jRbjT5_SW_jjP12ihipStream_tbEUlT_E0_NS1_11comp_targetILNS1_3genE9ELNS1_11target_archE1100ELNS1_3gpuE3ELNS1_3repE0EEENS1_60segmented_radix_sort_warp_sort_medium_config_static_selectorELNS0_4arch9wavefront6targetE0EEEvSK_.has_dyn_sized_stack, 0
	.set _ZN7rocprim17ROCPRIM_400000_NS6detail17trampoline_kernelINS0_14default_configENS1_36segmented_radix_sort_config_selectorIdlEEZNS1_25segmented_radix_sort_implIS3_Lb0EPKdPdPKlPlN2at6native12_GLOBAL__N_18offset_tEEE10hipError_tPvRmT1_PNSt15iterator_traitsISK_E10value_typeET2_T3_PNSL_ISQ_E10value_typeET4_jRbjT5_SW_jjP12ihipStream_tbEUlT_E0_NS1_11comp_targetILNS1_3genE9ELNS1_11target_archE1100ELNS1_3gpuE3ELNS1_3repE0EEENS1_60segmented_radix_sort_warp_sort_medium_config_static_selectorELNS0_4arch9wavefront6targetE0EEEvSK_.has_recursion, 0
	.set _ZN7rocprim17ROCPRIM_400000_NS6detail17trampoline_kernelINS0_14default_configENS1_36segmented_radix_sort_config_selectorIdlEEZNS1_25segmented_radix_sort_implIS3_Lb0EPKdPdPKlPlN2at6native12_GLOBAL__N_18offset_tEEE10hipError_tPvRmT1_PNSt15iterator_traitsISK_E10value_typeET2_T3_PNSL_ISQ_E10value_typeET4_jRbjT5_SW_jjP12ihipStream_tbEUlT_E0_NS1_11comp_targetILNS1_3genE9ELNS1_11target_archE1100ELNS1_3gpuE3ELNS1_3repE0EEENS1_60segmented_radix_sort_warp_sort_medium_config_static_selectorELNS0_4arch9wavefront6targetE0EEEvSK_.has_indirect_call, 0
	.section	.AMDGPU.csdata,"",@progbits
; Kernel info:
; codeLenInByte = 0
; TotalNumSgprs: 0
; NumVgprs: 0
; ScratchSize: 0
; MemoryBound: 0
; FloatMode: 240
; IeeeMode: 1
; LDSByteSize: 0 bytes/workgroup (compile time only)
; SGPRBlocks: 0
; VGPRBlocks: 0
; NumSGPRsForWavesPerEU: 1
; NumVGPRsForWavesPerEU: 1
; Occupancy: 16
; WaveLimiterHint : 0
; COMPUTE_PGM_RSRC2:SCRATCH_EN: 0
; COMPUTE_PGM_RSRC2:USER_SGPR: 2
; COMPUTE_PGM_RSRC2:TRAP_HANDLER: 0
; COMPUTE_PGM_RSRC2:TGID_X_EN: 1
; COMPUTE_PGM_RSRC2:TGID_Y_EN: 0
; COMPUTE_PGM_RSRC2:TGID_Z_EN: 0
; COMPUTE_PGM_RSRC2:TIDIG_COMP_CNT: 0
	.section	.text._ZN7rocprim17ROCPRIM_400000_NS6detail17trampoline_kernelINS0_14default_configENS1_36segmented_radix_sort_config_selectorIdlEEZNS1_25segmented_radix_sort_implIS3_Lb0EPKdPdPKlPlN2at6native12_GLOBAL__N_18offset_tEEE10hipError_tPvRmT1_PNSt15iterator_traitsISK_E10value_typeET2_T3_PNSL_ISQ_E10value_typeET4_jRbjT5_SW_jjP12ihipStream_tbEUlT_E0_NS1_11comp_targetILNS1_3genE8ELNS1_11target_archE1030ELNS1_3gpuE2ELNS1_3repE0EEENS1_60segmented_radix_sort_warp_sort_medium_config_static_selectorELNS0_4arch9wavefront6targetE0EEEvSK_,"axG",@progbits,_ZN7rocprim17ROCPRIM_400000_NS6detail17trampoline_kernelINS0_14default_configENS1_36segmented_radix_sort_config_selectorIdlEEZNS1_25segmented_radix_sort_implIS3_Lb0EPKdPdPKlPlN2at6native12_GLOBAL__N_18offset_tEEE10hipError_tPvRmT1_PNSt15iterator_traitsISK_E10value_typeET2_T3_PNSL_ISQ_E10value_typeET4_jRbjT5_SW_jjP12ihipStream_tbEUlT_E0_NS1_11comp_targetILNS1_3genE8ELNS1_11target_archE1030ELNS1_3gpuE2ELNS1_3repE0EEENS1_60segmented_radix_sort_warp_sort_medium_config_static_selectorELNS0_4arch9wavefront6targetE0EEEvSK_,comdat
	.globl	_ZN7rocprim17ROCPRIM_400000_NS6detail17trampoline_kernelINS0_14default_configENS1_36segmented_radix_sort_config_selectorIdlEEZNS1_25segmented_radix_sort_implIS3_Lb0EPKdPdPKlPlN2at6native12_GLOBAL__N_18offset_tEEE10hipError_tPvRmT1_PNSt15iterator_traitsISK_E10value_typeET2_T3_PNSL_ISQ_E10value_typeET4_jRbjT5_SW_jjP12ihipStream_tbEUlT_E0_NS1_11comp_targetILNS1_3genE8ELNS1_11target_archE1030ELNS1_3gpuE2ELNS1_3repE0EEENS1_60segmented_radix_sort_warp_sort_medium_config_static_selectorELNS0_4arch9wavefront6targetE0EEEvSK_ ; -- Begin function _ZN7rocprim17ROCPRIM_400000_NS6detail17trampoline_kernelINS0_14default_configENS1_36segmented_radix_sort_config_selectorIdlEEZNS1_25segmented_radix_sort_implIS3_Lb0EPKdPdPKlPlN2at6native12_GLOBAL__N_18offset_tEEE10hipError_tPvRmT1_PNSt15iterator_traitsISK_E10value_typeET2_T3_PNSL_ISQ_E10value_typeET4_jRbjT5_SW_jjP12ihipStream_tbEUlT_E0_NS1_11comp_targetILNS1_3genE8ELNS1_11target_archE1030ELNS1_3gpuE2ELNS1_3repE0EEENS1_60segmented_radix_sort_warp_sort_medium_config_static_selectorELNS0_4arch9wavefront6targetE0EEEvSK_
	.p2align	8
	.type	_ZN7rocprim17ROCPRIM_400000_NS6detail17trampoline_kernelINS0_14default_configENS1_36segmented_radix_sort_config_selectorIdlEEZNS1_25segmented_radix_sort_implIS3_Lb0EPKdPdPKlPlN2at6native12_GLOBAL__N_18offset_tEEE10hipError_tPvRmT1_PNSt15iterator_traitsISK_E10value_typeET2_T3_PNSL_ISQ_E10value_typeET4_jRbjT5_SW_jjP12ihipStream_tbEUlT_E0_NS1_11comp_targetILNS1_3genE8ELNS1_11target_archE1030ELNS1_3gpuE2ELNS1_3repE0EEENS1_60segmented_radix_sort_warp_sort_medium_config_static_selectorELNS0_4arch9wavefront6targetE0EEEvSK_,@function
_ZN7rocprim17ROCPRIM_400000_NS6detail17trampoline_kernelINS0_14default_configENS1_36segmented_radix_sort_config_selectorIdlEEZNS1_25segmented_radix_sort_implIS3_Lb0EPKdPdPKlPlN2at6native12_GLOBAL__N_18offset_tEEE10hipError_tPvRmT1_PNSt15iterator_traitsISK_E10value_typeET2_T3_PNSL_ISQ_E10value_typeET4_jRbjT5_SW_jjP12ihipStream_tbEUlT_E0_NS1_11comp_targetILNS1_3genE8ELNS1_11target_archE1030ELNS1_3gpuE2ELNS1_3repE0EEENS1_60segmented_radix_sort_warp_sort_medium_config_static_selectorELNS0_4arch9wavefront6targetE0EEEvSK_: ; @_ZN7rocprim17ROCPRIM_400000_NS6detail17trampoline_kernelINS0_14default_configENS1_36segmented_radix_sort_config_selectorIdlEEZNS1_25segmented_radix_sort_implIS3_Lb0EPKdPdPKlPlN2at6native12_GLOBAL__N_18offset_tEEE10hipError_tPvRmT1_PNSt15iterator_traitsISK_E10value_typeET2_T3_PNSL_ISQ_E10value_typeET4_jRbjT5_SW_jjP12ihipStream_tbEUlT_E0_NS1_11comp_targetILNS1_3genE8ELNS1_11target_archE1030ELNS1_3gpuE2ELNS1_3repE0EEENS1_60segmented_radix_sort_warp_sort_medium_config_static_selectorELNS0_4arch9wavefront6targetE0EEEvSK_
; %bb.0:
	.section	.rodata,"a",@progbits
	.p2align	6, 0x0
	.amdhsa_kernel _ZN7rocprim17ROCPRIM_400000_NS6detail17trampoline_kernelINS0_14default_configENS1_36segmented_radix_sort_config_selectorIdlEEZNS1_25segmented_radix_sort_implIS3_Lb0EPKdPdPKlPlN2at6native12_GLOBAL__N_18offset_tEEE10hipError_tPvRmT1_PNSt15iterator_traitsISK_E10value_typeET2_T3_PNSL_ISQ_E10value_typeET4_jRbjT5_SW_jjP12ihipStream_tbEUlT_E0_NS1_11comp_targetILNS1_3genE8ELNS1_11target_archE1030ELNS1_3gpuE2ELNS1_3repE0EEENS1_60segmented_radix_sort_warp_sort_medium_config_static_selectorELNS0_4arch9wavefront6targetE0EEEvSK_
		.amdhsa_group_segment_fixed_size 0
		.amdhsa_private_segment_fixed_size 0
		.amdhsa_kernarg_size 88
		.amdhsa_user_sgpr_count 2
		.amdhsa_user_sgpr_dispatch_ptr 0
		.amdhsa_user_sgpr_queue_ptr 0
		.amdhsa_user_sgpr_kernarg_segment_ptr 1
		.amdhsa_user_sgpr_dispatch_id 0
		.amdhsa_user_sgpr_private_segment_size 0
		.amdhsa_wavefront_size32 1
		.amdhsa_uses_dynamic_stack 0
		.amdhsa_enable_private_segment 0
		.amdhsa_system_sgpr_workgroup_id_x 1
		.amdhsa_system_sgpr_workgroup_id_y 0
		.amdhsa_system_sgpr_workgroup_id_z 0
		.amdhsa_system_sgpr_workgroup_info 0
		.amdhsa_system_vgpr_workitem_id 0
		.amdhsa_next_free_vgpr 1
		.amdhsa_next_free_sgpr 1
		.amdhsa_reserve_vcc 0
		.amdhsa_float_round_mode_32 0
		.amdhsa_float_round_mode_16_64 0
		.amdhsa_float_denorm_mode_32 3
		.amdhsa_float_denorm_mode_16_64 3
		.amdhsa_fp16_overflow 0
		.amdhsa_workgroup_processor_mode 1
		.amdhsa_memory_ordered 1
		.amdhsa_forward_progress 1
		.amdhsa_inst_pref_size 0
		.amdhsa_round_robin_scheduling 0
		.amdhsa_exception_fp_ieee_invalid_op 0
		.amdhsa_exception_fp_denorm_src 0
		.amdhsa_exception_fp_ieee_div_zero 0
		.amdhsa_exception_fp_ieee_overflow 0
		.amdhsa_exception_fp_ieee_underflow 0
		.amdhsa_exception_fp_ieee_inexact 0
		.amdhsa_exception_int_div_zero 0
	.end_amdhsa_kernel
	.section	.text._ZN7rocprim17ROCPRIM_400000_NS6detail17trampoline_kernelINS0_14default_configENS1_36segmented_radix_sort_config_selectorIdlEEZNS1_25segmented_radix_sort_implIS3_Lb0EPKdPdPKlPlN2at6native12_GLOBAL__N_18offset_tEEE10hipError_tPvRmT1_PNSt15iterator_traitsISK_E10value_typeET2_T3_PNSL_ISQ_E10value_typeET4_jRbjT5_SW_jjP12ihipStream_tbEUlT_E0_NS1_11comp_targetILNS1_3genE8ELNS1_11target_archE1030ELNS1_3gpuE2ELNS1_3repE0EEENS1_60segmented_radix_sort_warp_sort_medium_config_static_selectorELNS0_4arch9wavefront6targetE0EEEvSK_,"axG",@progbits,_ZN7rocprim17ROCPRIM_400000_NS6detail17trampoline_kernelINS0_14default_configENS1_36segmented_radix_sort_config_selectorIdlEEZNS1_25segmented_radix_sort_implIS3_Lb0EPKdPdPKlPlN2at6native12_GLOBAL__N_18offset_tEEE10hipError_tPvRmT1_PNSt15iterator_traitsISK_E10value_typeET2_T3_PNSL_ISQ_E10value_typeET4_jRbjT5_SW_jjP12ihipStream_tbEUlT_E0_NS1_11comp_targetILNS1_3genE8ELNS1_11target_archE1030ELNS1_3gpuE2ELNS1_3repE0EEENS1_60segmented_radix_sort_warp_sort_medium_config_static_selectorELNS0_4arch9wavefront6targetE0EEEvSK_,comdat
.Lfunc_end1240:
	.size	_ZN7rocprim17ROCPRIM_400000_NS6detail17trampoline_kernelINS0_14default_configENS1_36segmented_radix_sort_config_selectorIdlEEZNS1_25segmented_radix_sort_implIS3_Lb0EPKdPdPKlPlN2at6native12_GLOBAL__N_18offset_tEEE10hipError_tPvRmT1_PNSt15iterator_traitsISK_E10value_typeET2_T3_PNSL_ISQ_E10value_typeET4_jRbjT5_SW_jjP12ihipStream_tbEUlT_E0_NS1_11comp_targetILNS1_3genE8ELNS1_11target_archE1030ELNS1_3gpuE2ELNS1_3repE0EEENS1_60segmented_radix_sort_warp_sort_medium_config_static_selectorELNS0_4arch9wavefront6targetE0EEEvSK_, .Lfunc_end1240-_ZN7rocprim17ROCPRIM_400000_NS6detail17trampoline_kernelINS0_14default_configENS1_36segmented_radix_sort_config_selectorIdlEEZNS1_25segmented_radix_sort_implIS3_Lb0EPKdPdPKlPlN2at6native12_GLOBAL__N_18offset_tEEE10hipError_tPvRmT1_PNSt15iterator_traitsISK_E10value_typeET2_T3_PNSL_ISQ_E10value_typeET4_jRbjT5_SW_jjP12ihipStream_tbEUlT_E0_NS1_11comp_targetILNS1_3genE8ELNS1_11target_archE1030ELNS1_3gpuE2ELNS1_3repE0EEENS1_60segmented_radix_sort_warp_sort_medium_config_static_selectorELNS0_4arch9wavefront6targetE0EEEvSK_
                                        ; -- End function
	.set _ZN7rocprim17ROCPRIM_400000_NS6detail17trampoline_kernelINS0_14default_configENS1_36segmented_radix_sort_config_selectorIdlEEZNS1_25segmented_radix_sort_implIS3_Lb0EPKdPdPKlPlN2at6native12_GLOBAL__N_18offset_tEEE10hipError_tPvRmT1_PNSt15iterator_traitsISK_E10value_typeET2_T3_PNSL_ISQ_E10value_typeET4_jRbjT5_SW_jjP12ihipStream_tbEUlT_E0_NS1_11comp_targetILNS1_3genE8ELNS1_11target_archE1030ELNS1_3gpuE2ELNS1_3repE0EEENS1_60segmented_radix_sort_warp_sort_medium_config_static_selectorELNS0_4arch9wavefront6targetE0EEEvSK_.num_vgpr, 0
	.set _ZN7rocprim17ROCPRIM_400000_NS6detail17trampoline_kernelINS0_14default_configENS1_36segmented_radix_sort_config_selectorIdlEEZNS1_25segmented_radix_sort_implIS3_Lb0EPKdPdPKlPlN2at6native12_GLOBAL__N_18offset_tEEE10hipError_tPvRmT1_PNSt15iterator_traitsISK_E10value_typeET2_T3_PNSL_ISQ_E10value_typeET4_jRbjT5_SW_jjP12ihipStream_tbEUlT_E0_NS1_11comp_targetILNS1_3genE8ELNS1_11target_archE1030ELNS1_3gpuE2ELNS1_3repE0EEENS1_60segmented_radix_sort_warp_sort_medium_config_static_selectorELNS0_4arch9wavefront6targetE0EEEvSK_.num_agpr, 0
	.set _ZN7rocprim17ROCPRIM_400000_NS6detail17trampoline_kernelINS0_14default_configENS1_36segmented_radix_sort_config_selectorIdlEEZNS1_25segmented_radix_sort_implIS3_Lb0EPKdPdPKlPlN2at6native12_GLOBAL__N_18offset_tEEE10hipError_tPvRmT1_PNSt15iterator_traitsISK_E10value_typeET2_T3_PNSL_ISQ_E10value_typeET4_jRbjT5_SW_jjP12ihipStream_tbEUlT_E0_NS1_11comp_targetILNS1_3genE8ELNS1_11target_archE1030ELNS1_3gpuE2ELNS1_3repE0EEENS1_60segmented_radix_sort_warp_sort_medium_config_static_selectorELNS0_4arch9wavefront6targetE0EEEvSK_.numbered_sgpr, 0
	.set _ZN7rocprim17ROCPRIM_400000_NS6detail17trampoline_kernelINS0_14default_configENS1_36segmented_radix_sort_config_selectorIdlEEZNS1_25segmented_radix_sort_implIS3_Lb0EPKdPdPKlPlN2at6native12_GLOBAL__N_18offset_tEEE10hipError_tPvRmT1_PNSt15iterator_traitsISK_E10value_typeET2_T3_PNSL_ISQ_E10value_typeET4_jRbjT5_SW_jjP12ihipStream_tbEUlT_E0_NS1_11comp_targetILNS1_3genE8ELNS1_11target_archE1030ELNS1_3gpuE2ELNS1_3repE0EEENS1_60segmented_radix_sort_warp_sort_medium_config_static_selectorELNS0_4arch9wavefront6targetE0EEEvSK_.num_named_barrier, 0
	.set _ZN7rocprim17ROCPRIM_400000_NS6detail17trampoline_kernelINS0_14default_configENS1_36segmented_radix_sort_config_selectorIdlEEZNS1_25segmented_radix_sort_implIS3_Lb0EPKdPdPKlPlN2at6native12_GLOBAL__N_18offset_tEEE10hipError_tPvRmT1_PNSt15iterator_traitsISK_E10value_typeET2_T3_PNSL_ISQ_E10value_typeET4_jRbjT5_SW_jjP12ihipStream_tbEUlT_E0_NS1_11comp_targetILNS1_3genE8ELNS1_11target_archE1030ELNS1_3gpuE2ELNS1_3repE0EEENS1_60segmented_radix_sort_warp_sort_medium_config_static_selectorELNS0_4arch9wavefront6targetE0EEEvSK_.private_seg_size, 0
	.set _ZN7rocprim17ROCPRIM_400000_NS6detail17trampoline_kernelINS0_14default_configENS1_36segmented_radix_sort_config_selectorIdlEEZNS1_25segmented_radix_sort_implIS3_Lb0EPKdPdPKlPlN2at6native12_GLOBAL__N_18offset_tEEE10hipError_tPvRmT1_PNSt15iterator_traitsISK_E10value_typeET2_T3_PNSL_ISQ_E10value_typeET4_jRbjT5_SW_jjP12ihipStream_tbEUlT_E0_NS1_11comp_targetILNS1_3genE8ELNS1_11target_archE1030ELNS1_3gpuE2ELNS1_3repE0EEENS1_60segmented_radix_sort_warp_sort_medium_config_static_selectorELNS0_4arch9wavefront6targetE0EEEvSK_.uses_vcc, 0
	.set _ZN7rocprim17ROCPRIM_400000_NS6detail17trampoline_kernelINS0_14default_configENS1_36segmented_radix_sort_config_selectorIdlEEZNS1_25segmented_radix_sort_implIS3_Lb0EPKdPdPKlPlN2at6native12_GLOBAL__N_18offset_tEEE10hipError_tPvRmT1_PNSt15iterator_traitsISK_E10value_typeET2_T3_PNSL_ISQ_E10value_typeET4_jRbjT5_SW_jjP12ihipStream_tbEUlT_E0_NS1_11comp_targetILNS1_3genE8ELNS1_11target_archE1030ELNS1_3gpuE2ELNS1_3repE0EEENS1_60segmented_radix_sort_warp_sort_medium_config_static_selectorELNS0_4arch9wavefront6targetE0EEEvSK_.uses_flat_scratch, 0
	.set _ZN7rocprim17ROCPRIM_400000_NS6detail17trampoline_kernelINS0_14default_configENS1_36segmented_radix_sort_config_selectorIdlEEZNS1_25segmented_radix_sort_implIS3_Lb0EPKdPdPKlPlN2at6native12_GLOBAL__N_18offset_tEEE10hipError_tPvRmT1_PNSt15iterator_traitsISK_E10value_typeET2_T3_PNSL_ISQ_E10value_typeET4_jRbjT5_SW_jjP12ihipStream_tbEUlT_E0_NS1_11comp_targetILNS1_3genE8ELNS1_11target_archE1030ELNS1_3gpuE2ELNS1_3repE0EEENS1_60segmented_radix_sort_warp_sort_medium_config_static_selectorELNS0_4arch9wavefront6targetE0EEEvSK_.has_dyn_sized_stack, 0
	.set _ZN7rocprim17ROCPRIM_400000_NS6detail17trampoline_kernelINS0_14default_configENS1_36segmented_radix_sort_config_selectorIdlEEZNS1_25segmented_radix_sort_implIS3_Lb0EPKdPdPKlPlN2at6native12_GLOBAL__N_18offset_tEEE10hipError_tPvRmT1_PNSt15iterator_traitsISK_E10value_typeET2_T3_PNSL_ISQ_E10value_typeET4_jRbjT5_SW_jjP12ihipStream_tbEUlT_E0_NS1_11comp_targetILNS1_3genE8ELNS1_11target_archE1030ELNS1_3gpuE2ELNS1_3repE0EEENS1_60segmented_radix_sort_warp_sort_medium_config_static_selectorELNS0_4arch9wavefront6targetE0EEEvSK_.has_recursion, 0
	.set _ZN7rocprim17ROCPRIM_400000_NS6detail17trampoline_kernelINS0_14default_configENS1_36segmented_radix_sort_config_selectorIdlEEZNS1_25segmented_radix_sort_implIS3_Lb0EPKdPdPKlPlN2at6native12_GLOBAL__N_18offset_tEEE10hipError_tPvRmT1_PNSt15iterator_traitsISK_E10value_typeET2_T3_PNSL_ISQ_E10value_typeET4_jRbjT5_SW_jjP12ihipStream_tbEUlT_E0_NS1_11comp_targetILNS1_3genE8ELNS1_11target_archE1030ELNS1_3gpuE2ELNS1_3repE0EEENS1_60segmented_radix_sort_warp_sort_medium_config_static_selectorELNS0_4arch9wavefront6targetE0EEEvSK_.has_indirect_call, 0
	.section	.AMDGPU.csdata,"",@progbits
; Kernel info:
; codeLenInByte = 0
; TotalNumSgprs: 0
; NumVgprs: 0
; ScratchSize: 0
; MemoryBound: 0
; FloatMode: 240
; IeeeMode: 1
; LDSByteSize: 0 bytes/workgroup (compile time only)
; SGPRBlocks: 0
; VGPRBlocks: 0
; NumSGPRsForWavesPerEU: 1
; NumVGPRsForWavesPerEU: 1
; Occupancy: 16
; WaveLimiterHint : 0
; COMPUTE_PGM_RSRC2:SCRATCH_EN: 0
; COMPUTE_PGM_RSRC2:USER_SGPR: 2
; COMPUTE_PGM_RSRC2:TRAP_HANDLER: 0
; COMPUTE_PGM_RSRC2:TGID_X_EN: 1
; COMPUTE_PGM_RSRC2:TGID_Y_EN: 0
; COMPUTE_PGM_RSRC2:TGID_Z_EN: 0
; COMPUTE_PGM_RSRC2:TIDIG_COMP_CNT: 0
	.section	.text._ZN7rocprim17ROCPRIM_400000_NS6detail17trampoline_kernelINS0_14default_configENS1_36segmented_radix_sort_config_selectorIdlEEZNS1_25segmented_radix_sort_implIS3_Lb0EPKdPdPKlPlN2at6native12_GLOBAL__N_18offset_tEEE10hipError_tPvRmT1_PNSt15iterator_traitsISK_E10value_typeET2_T3_PNSL_ISQ_E10value_typeET4_jRbjT5_SW_jjP12ihipStream_tbEUlT_E1_NS1_11comp_targetILNS1_3genE0ELNS1_11target_archE4294967295ELNS1_3gpuE0ELNS1_3repE0EEENS1_59segmented_radix_sort_warp_sort_small_config_static_selectorELNS0_4arch9wavefront6targetE0EEEvSK_,"axG",@progbits,_ZN7rocprim17ROCPRIM_400000_NS6detail17trampoline_kernelINS0_14default_configENS1_36segmented_radix_sort_config_selectorIdlEEZNS1_25segmented_radix_sort_implIS3_Lb0EPKdPdPKlPlN2at6native12_GLOBAL__N_18offset_tEEE10hipError_tPvRmT1_PNSt15iterator_traitsISK_E10value_typeET2_T3_PNSL_ISQ_E10value_typeET4_jRbjT5_SW_jjP12ihipStream_tbEUlT_E1_NS1_11comp_targetILNS1_3genE0ELNS1_11target_archE4294967295ELNS1_3gpuE0ELNS1_3repE0EEENS1_59segmented_radix_sort_warp_sort_small_config_static_selectorELNS0_4arch9wavefront6targetE0EEEvSK_,comdat
	.globl	_ZN7rocprim17ROCPRIM_400000_NS6detail17trampoline_kernelINS0_14default_configENS1_36segmented_radix_sort_config_selectorIdlEEZNS1_25segmented_radix_sort_implIS3_Lb0EPKdPdPKlPlN2at6native12_GLOBAL__N_18offset_tEEE10hipError_tPvRmT1_PNSt15iterator_traitsISK_E10value_typeET2_T3_PNSL_ISQ_E10value_typeET4_jRbjT5_SW_jjP12ihipStream_tbEUlT_E1_NS1_11comp_targetILNS1_3genE0ELNS1_11target_archE4294967295ELNS1_3gpuE0ELNS1_3repE0EEENS1_59segmented_radix_sort_warp_sort_small_config_static_selectorELNS0_4arch9wavefront6targetE0EEEvSK_ ; -- Begin function _ZN7rocprim17ROCPRIM_400000_NS6detail17trampoline_kernelINS0_14default_configENS1_36segmented_radix_sort_config_selectorIdlEEZNS1_25segmented_radix_sort_implIS3_Lb0EPKdPdPKlPlN2at6native12_GLOBAL__N_18offset_tEEE10hipError_tPvRmT1_PNSt15iterator_traitsISK_E10value_typeET2_T3_PNSL_ISQ_E10value_typeET4_jRbjT5_SW_jjP12ihipStream_tbEUlT_E1_NS1_11comp_targetILNS1_3genE0ELNS1_11target_archE4294967295ELNS1_3gpuE0ELNS1_3repE0EEENS1_59segmented_radix_sort_warp_sort_small_config_static_selectorELNS0_4arch9wavefront6targetE0EEEvSK_
	.p2align	8
	.type	_ZN7rocprim17ROCPRIM_400000_NS6detail17trampoline_kernelINS0_14default_configENS1_36segmented_radix_sort_config_selectorIdlEEZNS1_25segmented_radix_sort_implIS3_Lb0EPKdPdPKlPlN2at6native12_GLOBAL__N_18offset_tEEE10hipError_tPvRmT1_PNSt15iterator_traitsISK_E10value_typeET2_T3_PNSL_ISQ_E10value_typeET4_jRbjT5_SW_jjP12ihipStream_tbEUlT_E1_NS1_11comp_targetILNS1_3genE0ELNS1_11target_archE4294967295ELNS1_3gpuE0ELNS1_3repE0EEENS1_59segmented_radix_sort_warp_sort_small_config_static_selectorELNS0_4arch9wavefront6targetE0EEEvSK_,@function
_ZN7rocprim17ROCPRIM_400000_NS6detail17trampoline_kernelINS0_14default_configENS1_36segmented_radix_sort_config_selectorIdlEEZNS1_25segmented_radix_sort_implIS3_Lb0EPKdPdPKlPlN2at6native12_GLOBAL__N_18offset_tEEE10hipError_tPvRmT1_PNSt15iterator_traitsISK_E10value_typeET2_T3_PNSL_ISQ_E10value_typeET4_jRbjT5_SW_jjP12ihipStream_tbEUlT_E1_NS1_11comp_targetILNS1_3genE0ELNS1_11target_archE4294967295ELNS1_3gpuE0ELNS1_3repE0EEENS1_59segmented_radix_sort_warp_sort_small_config_static_selectorELNS0_4arch9wavefront6targetE0EEEvSK_: ; @_ZN7rocprim17ROCPRIM_400000_NS6detail17trampoline_kernelINS0_14default_configENS1_36segmented_radix_sort_config_selectorIdlEEZNS1_25segmented_radix_sort_implIS3_Lb0EPKdPdPKlPlN2at6native12_GLOBAL__N_18offset_tEEE10hipError_tPvRmT1_PNSt15iterator_traitsISK_E10value_typeET2_T3_PNSL_ISQ_E10value_typeET4_jRbjT5_SW_jjP12ihipStream_tbEUlT_E1_NS1_11comp_targetILNS1_3genE0ELNS1_11target_archE4294967295ELNS1_3gpuE0ELNS1_3repE0EEENS1_59segmented_radix_sort_warp_sort_small_config_static_selectorELNS0_4arch9wavefront6targetE0EEEvSK_
; %bb.0:
	.section	.rodata,"a",@progbits
	.p2align	6, 0x0
	.amdhsa_kernel _ZN7rocprim17ROCPRIM_400000_NS6detail17trampoline_kernelINS0_14default_configENS1_36segmented_radix_sort_config_selectorIdlEEZNS1_25segmented_radix_sort_implIS3_Lb0EPKdPdPKlPlN2at6native12_GLOBAL__N_18offset_tEEE10hipError_tPvRmT1_PNSt15iterator_traitsISK_E10value_typeET2_T3_PNSL_ISQ_E10value_typeET4_jRbjT5_SW_jjP12ihipStream_tbEUlT_E1_NS1_11comp_targetILNS1_3genE0ELNS1_11target_archE4294967295ELNS1_3gpuE0ELNS1_3repE0EEENS1_59segmented_radix_sort_warp_sort_small_config_static_selectorELNS0_4arch9wavefront6targetE0EEEvSK_
		.amdhsa_group_segment_fixed_size 0
		.amdhsa_private_segment_fixed_size 0
		.amdhsa_kernarg_size 88
		.amdhsa_user_sgpr_count 2
		.amdhsa_user_sgpr_dispatch_ptr 0
		.amdhsa_user_sgpr_queue_ptr 0
		.amdhsa_user_sgpr_kernarg_segment_ptr 1
		.amdhsa_user_sgpr_dispatch_id 0
		.amdhsa_user_sgpr_private_segment_size 0
		.amdhsa_wavefront_size32 1
		.amdhsa_uses_dynamic_stack 0
		.amdhsa_enable_private_segment 0
		.amdhsa_system_sgpr_workgroup_id_x 1
		.amdhsa_system_sgpr_workgroup_id_y 0
		.amdhsa_system_sgpr_workgroup_id_z 0
		.amdhsa_system_sgpr_workgroup_info 0
		.amdhsa_system_vgpr_workitem_id 0
		.amdhsa_next_free_vgpr 1
		.amdhsa_next_free_sgpr 1
		.amdhsa_reserve_vcc 0
		.amdhsa_float_round_mode_32 0
		.amdhsa_float_round_mode_16_64 0
		.amdhsa_float_denorm_mode_32 3
		.amdhsa_float_denorm_mode_16_64 3
		.amdhsa_fp16_overflow 0
		.amdhsa_workgroup_processor_mode 1
		.amdhsa_memory_ordered 1
		.amdhsa_forward_progress 1
		.amdhsa_inst_pref_size 0
		.amdhsa_round_robin_scheduling 0
		.amdhsa_exception_fp_ieee_invalid_op 0
		.amdhsa_exception_fp_denorm_src 0
		.amdhsa_exception_fp_ieee_div_zero 0
		.amdhsa_exception_fp_ieee_overflow 0
		.amdhsa_exception_fp_ieee_underflow 0
		.amdhsa_exception_fp_ieee_inexact 0
		.amdhsa_exception_int_div_zero 0
	.end_amdhsa_kernel
	.section	.text._ZN7rocprim17ROCPRIM_400000_NS6detail17trampoline_kernelINS0_14default_configENS1_36segmented_radix_sort_config_selectorIdlEEZNS1_25segmented_radix_sort_implIS3_Lb0EPKdPdPKlPlN2at6native12_GLOBAL__N_18offset_tEEE10hipError_tPvRmT1_PNSt15iterator_traitsISK_E10value_typeET2_T3_PNSL_ISQ_E10value_typeET4_jRbjT5_SW_jjP12ihipStream_tbEUlT_E1_NS1_11comp_targetILNS1_3genE0ELNS1_11target_archE4294967295ELNS1_3gpuE0ELNS1_3repE0EEENS1_59segmented_radix_sort_warp_sort_small_config_static_selectorELNS0_4arch9wavefront6targetE0EEEvSK_,"axG",@progbits,_ZN7rocprim17ROCPRIM_400000_NS6detail17trampoline_kernelINS0_14default_configENS1_36segmented_radix_sort_config_selectorIdlEEZNS1_25segmented_radix_sort_implIS3_Lb0EPKdPdPKlPlN2at6native12_GLOBAL__N_18offset_tEEE10hipError_tPvRmT1_PNSt15iterator_traitsISK_E10value_typeET2_T3_PNSL_ISQ_E10value_typeET4_jRbjT5_SW_jjP12ihipStream_tbEUlT_E1_NS1_11comp_targetILNS1_3genE0ELNS1_11target_archE4294967295ELNS1_3gpuE0ELNS1_3repE0EEENS1_59segmented_radix_sort_warp_sort_small_config_static_selectorELNS0_4arch9wavefront6targetE0EEEvSK_,comdat
.Lfunc_end1241:
	.size	_ZN7rocprim17ROCPRIM_400000_NS6detail17trampoline_kernelINS0_14default_configENS1_36segmented_radix_sort_config_selectorIdlEEZNS1_25segmented_radix_sort_implIS3_Lb0EPKdPdPKlPlN2at6native12_GLOBAL__N_18offset_tEEE10hipError_tPvRmT1_PNSt15iterator_traitsISK_E10value_typeET2_T3_PNSL_ISQ_E10value_typeET4_jRbjT5_SW_jjP12ihipStream_tbEUlT_E1_NS1_11comp_targetILNS1_3genE0ELNS1_11target_archE4294967295ELNS1_3gpuE0ELNS1_3repE0EEENS1_59segmented_radix_sort_warp_sort_small_config_static_selectorELNS0_4arch9wavefront6targetE0EEEvSK_, .Lfunc_end1241-_ZN7rocprim17ROCPRIM_400000_NS6detail17trampoline_kernelINS0_14default_configENS1_36segmented_radix_sort_config_selectorIdlEEZNS1_25segmented_radix_sort_implIS3_Lb0EPKdPdPKlPlN2at6native12_GLOBAL__N_18offset_tEEE10hipError_tPvRmT1_PNSt15iterator_traitsISK_E10value_typeET2_T3_PNSL_ISQ_E10value_typeET4_jRbjT5_SW_jjP12ihipStream_tbEUlT_E1_NS1_11comp_targetILNS1_3genE0ELNS1_11target_archE4294967295ELNS1_3gpuE0ELNS1_3repE0EEENS1_59segmented_radix_sort_warp_sort_small_config_static_selectorELNS0_4arch9wavefront6targetE0EEEvSK_
                                        ; -- End function
	.set _ZN7rocprim17ROCPRIM_400000_NS6detail17trampoline_kernelINS0_14default_configENS1_36segmented_radix_sort_config_selectorIdlEEZNS1_25segmented_radix_sort_implIS3_Lb0EPKdPdPKlPlN2at6native12_GLOBAL__N_18offset_tEEE10hipError_tPvRmT1_PNSt15iterator_traitsISK_E10value_typeET2_T3_PNSL_ISQ_E10value_typeET4_jRbjT5_SW_jjP12ihipStream_tbEUlT_E1_NS1_11comp_targetILNS1_3genE0ELNS1_11target_archE4294967295ELNS1_3gpuE0ELNS1_3repE0EEENS1_59segmented_radix_sort_warp_sort_small_config_static_selectorELNS0_4arch9wavefront6targetE0EEEvSK_.num_vgpr, 0
	.set _ZN7rocprim17ROCPRIM_400000_NS6detail17trampoline_kernelINS0_14default_configENS1_36segmented_radix_sort_config_selectorIdlEEZNS1_25segmented_radix_sort_implIS3_Lb0EPKdPdPKlPlN2at6native12_GLOBAL__N_18offset_tEEE10hipError_tPvRmT1_PNSt15iterator_traitsISK_E10value_typeET2_T3_PNSL_ISQ_E10value_typeET4_jRbjT5_SW_jjP12ihipStream_tbEUlT_E1_NS1_11comp_targetILNS1_3genE0ELNS1_11target_archE4294967295ELNS1_3gpuE0ELNS1_3repE0EEENS1_59segmented_radix_sort_warp_sort_small_config_static_selectorELNS0_4arch9wavefront6targetE0EEEvSK_.num_agpr, 0
	.set _ZN7rocprim17ROCPRIM_400000_NS6detail17trampoline_kernelINS0_14default_configENS1_36segmented_radix_sort_config_selectorIdlEEZNS1_25segmented_radix_sort_implIS3_Lb0EPKdPdPKlPlN2at6native12_GLOBAL__N_18offset_tEEE10hipError_tPvRmT1_PNSt15iterator_traitsISK_E10value_typeET2_T3_PNSL_ISQ_E10value_typeET4_jRbjT5_SW_jjP12ihipStream_tbEUlT_E1_NS1_11comp_targetILNS1_3genE0ELNS1_11target_archE4294967295ELNS1_3gpuE0ELNS1_3repE0EEENS1_59segmented_radix_sort_warp_sort_small_config_static_selectorELNS0_4arch9wavefront6targetE0EEEvSK_.numbered_sgpr, 0
	.set _ZN7rocprim17ROCPRIM_400000_NS6detail17trampoline_kernelINS0_14default_configENS1_36segmented_radix_sort_config_selectorIdlEEZNS1_25segmented_radix_sort_implIS3_Lb0EPKdPdPKlPlN2at6native12_GLOBAL__N_18offset_tEEE10hipError_tPvRmT1_PNSt15iterator_traitsISK_E10value_typeET2_T3_PNSL_ISQ_E10value_typeET4_jRbjT5_SW_jjP12ihipStream_tbEUlT_E1_NS1_11comp_targetILNS1_3genE0ELNS1_11target_archE4294967295ELNS1_3gpuE0ELNS1_3repE0EEENS1_59segmented_radix_sort_warp_sort_small_config_static_selectorELNS0_4arch9wavefront6targetE0EEEvSK_.num_named_barrier, 0
	.set _ZN7rocprim17ROCPRIM_400000_NS6detail17trampoline_kernelINS0_14default_configENS1_36segmented_radix_sort_config_selectorIdlEEZNS1_25segmented_radix_sort_implIS3_Lb0EPKdPdPKlPlN2at6native12_GLOBAL__N_18offset_tEEE10hipError_tPvRmT1_PNSt15iterator_traitsISK_E10value_typeET2_T3_PNSL_ISQ_E10value_typeET4_jRbjT5_SW_jjP12ihipStream_tbEUlT_E1_NS1_11comp_targetILNS1_3genE0ELNS1_11target_archE4294967295ELNS1_3gpuE0ELNS1_3repE0EEENS1_59segmented_radix_sort_warp_sort_small_config_static_selectorELNS0_4arch9wavefront6targetE0EEEvSK_.private_seg_size, 0
	.set _ZN7rocprim17ROCPRIM_400000_NS6detail17trampoline_kernelINS0_14default_configENS1_36segmented_radix_sort_config_selectorIdlEEZNS1_25segmented_radix_sort_implIS3_Lb0EPKdPdPKlPlN2at6native12_GLOBAL__N_18offset_tEEE10hipError_tPvRmT1_PNSt15iterator_traitsISK_E10value_typeET2_T3_PNSL_ISQ_E10value_typeET4_jRbjT5_SW_jjP12ihipStream_tbEUlT_E1_NS1_11comp_targetILNS1_3genE0ELNS1_11target_archE4294967295ELNS1_3gpuE0ELNS1_3repE0EEENS1_59segmented_radix_sort_warp_sort_small_config_static_selectorELNS0_4arch9wavefront6targetE0EEEvSK_.uses_vcc, 0
	.set _ZN7rocprim17ROCPRIM_400000_NS6detail17trampoline_kernelINS0_14default_configENS1_36segmented_radix_sort_config_selectorIdlEEZNS1_25segmented_radix_sort_implIS3_Lb0EPKdPdPKlPlN2at6native12_GLOBAL__N_18offset_tEEE10hipError_tPvRmT1_PNSt15iterator_traitsISK_E10value_typeET2_T3_PNSL_ISQ_E10value_typeET4_jRbjT5_SW_jjP12ihipStream_tbEUlT_E1_NS1_11comp_targetILNS1_3genE0ELNS1_11target_archE4294967295ELNS1_3gpuE0ELNS1_3repE0EEENS1_59segmented_radix_sort_warp_sort_small_config_static_selectorELNS0_4arch9wavefront6targetE0EEEvSK_.uses_flat_scratch, 0
	.set _ZN7rocprim17ROCPRIM_400000_NS6detail17trampoline_kernelINS0_14default_configENS1_36segmented_radix_sort_config_selectorIdlEEZNS1_25segmented_radix_sort_implIS3_Lb0EPKdPdPKlPlN2at6native12_GLOBAL__N_18offset_tEEE10hipError_tPvRmT1_PNSt15iterator_traitsISK_E10value_typeET2_T3_PNSL_ISQ_E10value_typeET4_jRbjT5_SW_jjP12ihipStream_tbEUlT_E1_NS1_11comp_targetILNS1_3genE0ELNS1_11target_archE4294967295ELNS1_3gpuE0ELNS1_3repE0EEENS1_59segmented_radix_sort_warp_sort_small_config_static_selectorELNS0_4arch9wavefront6targetE0EEEvSK_.has_dyn_sized_stack, 0
	.set _ZN7rocprim17ROCPRIM_400000_NS6detail17trampoline_kernelINS0_14default_configENS1_36segmented_radix_sort_config_selectorIdlEEZNS1_25segmented_radix_sort_implIS3_Lb0EPKdPdPKlPlN2at6native12_GLOBAL__N_18offset_tEEE10hipError_tPvRmT1_PNSt15iterator_traitsISK_E10value_typeET2_T3_PNSL_ISQ_E10value_typeET4_jRbjT5_SW_jjP12ihipStream_tbEUlT_E1_NS1_11comp_targetILNS1_3genE0ELNS1_11target_archE4294967295ELNS1_3gpuE0ELNS1_3repE0EEENS1_59segmented_radix_sort_warp_sort_small_config_static_selectorELNS0_4arch9wavefront6targetE0EEEvSK_.has_recursion, 0
	.set _ZN7rocprim17ROCPRIM_400000_NS6detail17trampoline_kernelINS0_14default_configENS1_36segmented_radix_sort_config_selectorIdlEEZNS1_25segmented_radix_sort_implIS3_Lb0EPKdPdPKlPlN2at6native12_GLOBAL__N_18offset_tEEE10hipError_tPvRmT1_PNSt15iterator_traitsISK_E10value_typeET2_T3_PNSL_ISQ_E10value_typeET4_jRbjT5_SW_jjP12ihipStream_tbEUlT_E1_NS1_11comp_targetILNS1_3genE0ELNS1_11target_archE4294967295ELNS1_3gpuE0ELNS1_3repE0EEENS1_59segmented_radix_sort_warp_sort_small_config_static_selectorELNS0_4arch9wavefront6targetE0EEEvSK_.has_indirect_call, 0
	.section	.AMDGPU.csdata,"",@progbits
; Kernel info:
; codeLenInByte = 0
; TotalNumSgprs: 0
; NumVgprs: 0
; ScratchSize: 0
; MemoryBound: 0
; FloatMode: 240
; IeeeMode: 1
; LDSByteSize: 0 bytes/workgroup (compile time only)
; SGPRBlocks: 0
; VGPRBlocks: 0
; NumSGPRsForWavesPerEU: 1
; NumVGPRsForWavesPerEU: 1
; Occupancy: 16
; WaveLimiterHint : 0
; COMPUTE_PGM_RSRC2:SCRATCH_EN: 0
; COMPUTE_PGM_RSRC2:USER_SGPR: 2
; COMPUTE_PGM_RSRC2:TRAP_HANDLER: 0
; COMPUTE_PGM_RSRC2:TGID_X_EN: 1
; COMPUTE_PGM_RSRC2:TGID_Y_EN: 0
; COMPUTE_PGM_RSRC2:TGID_Z_EN: 0
; COMPUTE_PGM_RSRC2:TIDIG_COMP_CNT: 0
	.section	.text._ZN7rocprim17ROCPRIM_400000_NS6detail17trampoline_kernelINS0_14default_configENS1_36segmented_radix_sort_config_selectorIdlEEZNS1_25segmented_radix_sort_implIS3_Lb0EPKdPdPKlPlN2at6native12_GLOBAL__N_18offset_tEEE10hipError_tPvRmT1_PNSt15iterator_traitsISK_E10value_typeET2_T3_PNSL_ISQ_E10value_typeET4_jRbjT5_SW_jjP12ihipStream_tbEUlT_E1_NS1_11comp_targetILNS1_3genE5ELNS1_11target_archE942ELNS1_3gpuE9ELNS1_3repE0EEENS1_59segmented_radix_sort_warp_sort_small_config_static_selectorELNS0_4arch9wavefront6targetE0EEEvSK_,"axG",@progbits,_ZN7rocprim17ROCPRIM_400000_NS6detail17trampoline_kernelINS0_14default_configENS1_36segmented_radix_sort_config_selectorIdlEEZNS1_25segmented_radix_sort_implIS3_Lb0EPKdPdPKlPlN2at6native12_GLOBAL__N_18offset_tEEE10hipError_tPvRmT1_PNSt15iterator_traitsISK_E10value_typeET2_T3_PNSL_ISQ_E10value_typeET4_jRbjT5_SW_jjP12ihipStream_tbEUlT_E1_NS1_11comp_targetILNS1_3genE5ELNS1_11target_archE942ELNS1_3gpuE9ELNS1_3repE0EEENS1_59segmented_radix_sort_warp_sort_small_config_static_selectorELNS0_4arch9wavefront6targetE0EEEvSK_,comdat
	.globl	_ZN7rocprim17ROCPRIM_400000_NS6detail17trampoline_kernelINS0_14default_configENS1_36segmented_radix_sort_config_selectorIdlEEZNS1_25segmented_radix_sort_implIS3_Lb0EPKdPdPKlPlN2at6native12_GLOBAL__N_18offset_tEEE10hipError_tPvRmT1_PNSt15iterator_traitsISK_E10value_typeET2_T3_PNSL_ISQ_E10value_typeET4_jRbjT5_SW_jjP12ihipStream_tbEUlT_E1_NS1_11comp_targetILNS1_3genE5ELNS1_11target_archE942ELNS1_3gpuE9ELNS1_3repE0EEENS1_59segmented_radix_sort_warp_sort_small_config_static_selectorELNS0_4arch9wavefront6targetE0EEEvSK_ ; -- Begin function _ZN7rocprim17ROCPRIM_400000_NS6detail17trampoline_kernelINS0_14default_configENS1_36segmented_radix_sort_config_selectorIdlEEZNS1_25segmented_radix_sort_implIS3_Lb0EPKdPdPKlPlN2at6native12_GLOBAL__N_18offset_tEEE10hipError_tPvRmT1_PNSt15iterator_traitsISK_E10value_typeET2_T3_PNSL_ISQ_E10value_typeET4_jRbjT5_SW_jjP12ihipStream_tbEUlT_E1_NS1_11comp_targetILNS1_3genE5ELNS1_11target_archE942ELNS1_3gpuE9ELNS1_3repE0EEENS1_59segmented_radix_sort_warp_sort_small_config_static_selectorELNS0_4arch9wavefront6targetE0EEEvSK_
	.p2align	8
	.type	_ZN7rocprim17ROCPRIM_400000_NS6detail17trampoline_kernelINS0_14default_configENS1_36segmented_radix_sort_config_selectorIdlEEZNS1_25segmented_radix_sort_implIS3_Lb0EPKdPdPKlPlN2at6native12_GLOBAL__N_18offset_tEEE10hipError_tPvRmT1_PNSt15iterator_traitsISK_E10value_typeET2_T3_PNSL_ISQ_E10value_typeET4_jRbjT5_SW_jjP12ihipStream_tbEUlT_E1_NS1_11comp_targetILNS1_3genE5ELNS1_11target_archE942ELNS1_3gpuE9ELNS1_3repE0EEENS1_59segmented_radix_sort_warp_sort_small_config_static_selectorELNS0_4arch9wavefront6targetE0EEEvSK_,@function
_ZN7rocprim17ROCPRIM_400000_NS6detail17trampoline_kernelINS0_14default_configENS1_36segmented_radix_sort_config_selectorIdlEEZNS1_25segmented_radix_sort_implIS3_Lb0EPKdPdPKlPlN2at6native12_GLOBAL__N_18offset_tEEE10hipError_tPvRmT1_PNSt15iterator_traitsISK_E10value_typeET2_T3_PNSL_ISQ_E10value_typeET4_jRbjT5_SW_jjP12ihipStream_tbEUlT_E1_NS1_11comp_targetILNS1_3genE5ELNS1_11target_archE942ELNS1_3gpuE9ELNS1_3repE0EEENS1_59segmented_radix_sort_warp_sort_small_config_static_selectorELNS0_4arch9wavefront6targetE0EEEvSK_: ; @_ZN7rocprim17ROCPRIM_400000_NS6detail17trampoline_kernelINS0_14default_configENS1_36segmented_radix_sort_config_selectorIdlEEZNS1_25segmented_radix_sort_implIS3_Lb0EPKdPdPKlPlN2at6native12_GLOBAL__N_18offset_tEEE10hipError_tPvRmT1_PNSt15iterator_traitsISK_E10value_typeET2_T3_PNSL_ISQ_E10value_typeET4_jRbjT5_SW_jjP12ihipStream_tbEUlT_E1_NS1_11comp_targetILNS1_3genE5ELNS1_11target_archE942ELNS1_3gpuE9ELNS1_3repE0EEENS1_59segmented_radix_sort_warp_sort_small_config_static_selectorELNS0_4arch9wavefront6targetE0EEEvSK_
; %bb.0:
	.section	.rodata,"a",@progbits
	.p2align	6, 0x0
	.amdhsa_kernel _ZN7rocprim17ROCPRIM_400000_NS6detail17trampoline_kernelINS0_14default_configENS1_36segmented_radix_sort_config_selectorIdlEEZNS1_25segmented_radix_sort_implIS3_Lb0EPKdPdPKlPlN2at6native12_GLOBAL__N_18offset_tEEE10hipError_tPvRmT1_PNSt15iterator_traitsISK_E10value_typeET2_T3_PNSL_ISQ_E10value_typeET4_jRbjT5_SW_jjP12ihipStream_tbEUlT_E1_NS1_11comp_targetILNS1_3genE5ELNS1_11target_archE942ELNS1_3gpuE9ELNS1_3repE0EEENS1_59segmented_radix_sort_warp_sort_small_config_static_selectorELNS0_4arch9wavefront6targetE0EEEvSK_
		.amdhsa_group_segment_fixed_size 0
		.amdhsa_private_segment_fixed_size 0
		.amdhsa_kernarg_size 88
		.amdhsa_user_sgpr_count 2
		.amdhsa_user_sgpr_dispatch_ptr 0
		.amdhsa_user_sgpr_queue_ptr 0
		.amdhsa_user_sgpr_kernarg_segment_ptr 1
		.amdhsa_user_sgpr_dispatch_id 0
		.amdhsa_user_sgpr_private_segment_size 0
		.amdhsa_wavefront_size32 1
		.amdhsa_uses_dynamic_stack 0
		.amdhsa_enable_private_segment 0
		.amdhsa_system_sgpr_workgroup_id_x 1
		.amdhsa_system_sgpr_workgroup_id_y 0
		.amdhsa_system_sgpr_workgroup_id_z 0
		.amdhsa_system_sgpr_workgroup_info 0
		.amdhsa_system_vgpr_workitem_id 0
		.amdhsa_next_free_vgpr 1
		.amdhsa_next_free_sgpr 1
		.amdhsa_reserve_vcc 0
		.amdhsa_float_round_mode_32 0
		.amdhsa_float_round_mode_16_64 0
		.amdhsa_float_denorm_mode_32 3
		.amdhsa_float_denorm_mode_16_64 3
		.amdhsa_fp16_overflow 0
		.amdhsa_workgroup_processor_mode 1
		.amdhsa_memory_ordered 1
		.amdhsa_forward_progress 1
		.amdhsa_inst_pref_size 0
		.amdhsa_round_robin_scheduling 0
		.amdhsa_exception_fp_ieee_invalid_op 0
		.amdhsa_exception_fp_denorm_src 0
		.amdhsa_exception_fp_ieee_div_zero 0
		.amdhsa_exception_fp_ieee_overflow 0
		.amdhsa_exception_fp_ieee_underflow 0
		.amdhsa_exception_fp_ieee_inexact 0
		.amdhsa_exception_int_div_zero 0
	.end_amdhsa_kernel
	.section	.text._ZN7rocprim17ROCPRIM_400000_NS6detail17trampoline_kernelINS0_14default_configENS1_36segmented_radix_sort_config_selectorIdlEEZNS1_25segmented_radix_sort_implIS3_Lb0EPKdPdPKlPlN2at6native12_GLOBAL__N_18offset_tEEE10hipError_tPvRmT1_PNSt15iterator_traitsISK_E10value_typeET2_T3_PNSL_ISQ_E10value_typeET4_jRbjT5_SW_jjP12ihipStream_tbEUlT_E1_NS1_11comp_targetILNS1_3genE5ELNS1_11target_archE942ELNS1_3gpuE9ELNS1_3repE0EEENS1_59segmented_radix_sort_warp_sort_small_config_static_selectorELNS0_4arch9wavefront6targetE0EEEvSK_,"axG",@progbits,_ZN7rocprim17ROCPRIM_400000_NS6detail17trampoline_kernelINS0_14default_configENS1_36segmented_radix_sort_config_selectorIdlEEZNS1_25segmented_radix_sort_implIS3_Lb0EPKdPdPKlPlN2at6native12_GLOBAL__N_18offset_tEEE10hipError_tPvRmT1_PNSt15iterator_traitsISK_E10value_typeET2_T3_PNSL_ISQ_E10value_typeET4_jRbjT5_SW_jjP12ihipStream_tbEUlT_E1_NS1_11comp_targetILNS1_3genE5ELNS1_11target_archE942ELNS1_3gpuE9ELNS1_3repE0EEENS1_59segmented_radix_sort_warp_sort_small_config_static_selectorELNS0_4arch9wavefront6targetE0EEEvSK_,comdat
.Lfunc_end1242:
	.size	_ZN7rocprim17ROCPRIM_400000_NS6detail17trampoline_kernelINS0_14default_configENS1_36segmented_radix_sort_config_selectorIdlEEZNS1_25segmented_radix_sort_implIS3_Lb0EPKdPdPKlPlN2at6native12_GLOBAL__N_18offset_tEEE10hipError_tPvRmT1_PNSt15iterator_traitsISK_E10value_typeET2_T3_PNSL_ISQ_E10value_typeET4_jRbjT5_SW_jjP12ihipStream_tbEUlT_E1_NS1_11comp_targetILNS1_3genE5ELNS1_11target_archE942ELNS1_3gpuE9ELNS1_3repE0EEENS1_59segmented_radix_sort_warp_sort_small_config_static_selectorELNS0_4arch9wavefront6targetE0EEEvSK_, .Lfunc_end1242-_ZN7rocprim17ROCPRIM_400000_NS6detail17trampoline_kernelINS0_14default_configENS1_36segmented_radix_sort_config_selectorIdlEEZNS1_25segmented_radix_sort_implIS3_Lb0EPKdPdPKlPlN2at6native12_GLOBAL__N_18offset_tEEE10hipError_tPvRmT1_PNSt15iterator_traitsISK_E10value_typeET2_T3_PNSL_ISQ_E10value_typeET4_jRbjT5_SW_jjP12ihipStream_tbEUlT_E1_NS1_11comp_targetILNS1_3genE5ELNS1_11target_archE942ELNS1_3gpuE9ELNS1_3repE0EEENS1_59segmented_radix_sort_warp_sort_small_config_static_selectorELNS0_4arch9wavefront6targetE0EEEvSK_
                                        ; -- End function
	.set _ZN7rocprim17ROCPRIM_400000_NS6detail17trampoline_kernelINS0_14default_configENS1_36segmented_radix_sort_config_selectorIdlEEZNS1_25segmented_radix_sort_implIS3_Lb0EPKdPdPKlPlN2at6native12_GLOBAL__N_18offset_tEEE10hipError_tPvRmT1_PNSt15iterator_traitsISK_E10value_typeET2_T3_PNSL_ISQ_E10value_typeET4_jRbjT5_SW_jjP12ihipStream_tbEUlT_E1_NS1_11comp_targetILNS1_3genE5ELNS1_11target_archE942ELNS1_3gpuE9ELNS1_3repE0EEENS1_59segmented_radix_sort_warp_sort_small_config_static_selectorELNS0_4arch9wavefront6targetE0EEEvSK_.num_vgpr, 0
	.set _ZN7rocprim17ROCPRIM_400000_NS6detail17trampoline_kernelINS0_14default_configENS1_36segmented_radix_sort_config_selectorIdlEEZNS1_25segmented_radix_sort_implIS3_Lb0EPKdPdPKlPlN2at6native12_GLOBAL__N_18offset_tEEE10hipError_tPvRmT1_PNSt15iterator_traitsISK_E10value_typeET2_T3_PNSL_ISQ_E10value_typeET4_jRbjT5_SW_jjP12ihipStream_tbEUlT_E1_NS1_11comp_targetILNS1_3genE5ELNS1_11target_archE942ELNS1_3gpuE9ELNS1_3repE0EEENS1_59segmented_radix_sort_warp_sort_small_config_static_selectorELNS0_4arch9wavefront6targetE0EEEvSK_.num_agpr, 0
	.set _ZN7rocprim17ROCPRIM_400000_NS6detail17trampoline_kernelINS0_14default_configENS1_36segmented_radix_sort_config_selectorIdlEEZNS1_25segmented_radix_sort_implIS3_Lb0EPKdPdPKlPlN2at6native12_GLOBAL__N_18offset_tEEE10hipError_tPvRmT1_PNSt15iterator_traitsISK_E10value_typeET2_T3_PNSL_ISQ_E10value_typeET4_jRbjT5_SW_jjP12ihipStream_tbEUlT_E1_NS1_11comp_targetILNS1_3genE5ELNS1_11target_archE942ELNS1_3gpuE9ELNS1_3repE0EEENS1_59segmented_radix_sort_warp_sort_small_config_static_selectorELNS0_4arch9wavefront6targetE0EEEvSK_.numbered_sgpr, 0
	.set _ZN7rocprim17ROCPRIM_400000_NS6detail17trampoline_kernelINS0_14default_configENS1_36segmented_radix_sort_config_selectorIdlEEZNS1_25segmented_radix_sort_implIS3_Lb0EPKdPdPKlPlN2at6native12_GLOBAL__N_18offset_tEEE10hipError_tPvRmT1_PNSt15iterator_traitsISK_E10value_typeET2_T3_PNSL_ISQ_E10value_typeET4_jRbjT5_SW_jjP12ihipStream_tbEUlT_E1_NS1_11comp_targetILNS1_3genE5ELNS1_11target_archE942ELNS1_3gpuE9ELNS1_3repE0EEENS1_59segmented_radix_sort_warp_sort_small_config_static_selectorELNS0_4arch9wavefront6targetE0EEEvSK_.num_named_barrier, 0
	.set _ZN7rocprim17ROCPRIM_400000_NS6detail17trampoline_kernelINS0_14default_configENS1_36segmented_radix_sort_config_selectorIdlEEZNS1_25segmented_radix_sort_implIS3_Lb0EPKdPdPKlPlN2at6native12_GLOBAL__N_18offset_tEEE10hipError_tPvRmT1_PNSt15iterator_traitsISK_E10value_typeET2_T3_PNSL_ISQ_E10value_typeET4_jRbjT5_SW_jjP12ihipStream_tbEUlT_E1_NS1_11comp_targetILNS1_3genE5ELNS1_11target_archE942ELNS1_3gpuE9ELNS1_3repE0EEENS1_59segmented_radix_sort_warp_sort_small_config_static_selectorELNS0_4arch9wavefront6targetE0EEEvSK_.private_seg_size, 0
	.set _ZN7rocprim17ROCPRIM_400000_NS6detail17trampoline_kernelINS0_14default_configENS1_36segmented_radix_sort_config_selectorIdlEEZNS1_25segmented_radix_sort_implIS3_Lb0EPKdPdPKlPlN2at6native12_GLOBAL__N_18offset_tEEE10hipError_tPvRmT1_PNSt15iterator_traitsISK_E10value_typeET2_T3_PNSL_ISQ_E10value_typeET4_jRbjT5_SW_jjP12ihipStream_tbEUlT_E1_NS1_11comp_targetILNS1_3genE5ELNS1_11target_archE942ELNS1_3gpuE9ELNS1_3repE0EEENS1_59segmented_radix_sort_warp_sort_small_config_static_selectorELNS0_4arch9wavefront6targetE0EEEvSK_.uses_vcc, 0
	.set _ZN7rocprim17ROCPRIM_400000_NS6detail17trampoline_kernelINS0_14default_configENS1_36segmented_radix_sort_config_selectorIdlEEZNS1_25segmented_radix_sort_implIS3_Lb0EPKdPdPKlPlN2at6native12_GLOBAL__N_18offset_tEEE10hipError_tPvRmT1_PNSt15iterator_traitsISK_E10value_typeET2_T3_PNSL_ISQ_E10value_typeET4_jRbjT5_SW_jjP12ihipStream_tbEUlT_E1_NS1_11comp_targetILNS1_3genE5ELNS1_11target_archE942ELNS1_3gpuE9ELNS1_3repE0EEENS1_59segmented_radix_sort_warp_sort_small_config_static_selectorELNS0_4arch9wavefront6targetE0EEEvSK_.uses_flat_scratch, 0
	.set _ZN7rocprim17ROCPRIM_400000_NS6detail17trampoline_kernelINS0_14default_configENS1_36segmented_radix_sort_config_selectorIdlEEZNS1_25segmented_radix_sort_implIS3_Lb0EPKdPdPKlPlN2at6native12_GLOBAL__N_18offset_tEEE10hipError_tPvRmT1_PNSt15iterator_traitsISK_E10value_typeET2_T3_PNSL_ISQ_E10value_typeET4_jRbjT5_SW_jjP12ihipStream_tbEUlT_E1_NS1_11comp_targetILNS1_3genE5ELNS1_11target_archE942ELNS1_3gpuE9ELNS1_3repE0EEENS1_59segmented_radix_sort_warp_sort_small_config_static_selectorELNS0_4arch9wavefront6targetE0EEEvSK_.has_dyn_sized_stack, 0
	.set _ZN7rocprim17ROCPRIM_400000_NS6detail17trampoline_kernelINS0_14default_configENS1_36segmented_radix_sort_config_selectorIdlEEZNS1_25segmented_radix_sort_implIS3_Lb0EPKdPdPKlPlN2at6native12_GLOBAL__N_18offset_tEEE10hipError_tPvRmT1_PNSt15iterator_traitsISK_E10value_typeET2_T3_PNSL_ISQ_E10value_typeET4_jRbjT5_SW_jjP12ihipStream_tbEUlT_E1_NS1_11comp_targetILNS1_3genE5ELNS1_11target_archE942ELNS1_3gpuE9ELNS1_3repE0EEENS1_59segmented_radix_sort_warp_sort_small_config_static_selectorELNS0_4arch9wavefront6targetE0EEEvSK_.has_recursion, 0
	.set _ZN7rocprim17ROCPRIM_400000_NS6detail17trampoline_kernelINS0_14default_configENS1_36segmented_radix_sort_config_selectorIdlEEZNS1_25segmented_radix_sort_implIS3_Lb0EPKdPdPKlPlN2at6native12_GLOBAL__N_18offset_tEEE10hipError_tPvRmT1_PNSt15iterator_traitsISK_E10value_typeET2_T3_PNSL_ISQ_E10value_typeET4_jRbjT5_SW_jjP12ihipStream_tbEUlT_E1_NS1_11comp_targetILNS1_3genE5ELNS1_11target_archE942ELNS1_3gpuE9ELNS1_3repE0EEENS1_59segmented_radix_sort_warp_sort_small_config_static_selectorELNS0_4arch9wavefront6targetE0EEEvSK_.has_indirect_call, 0
	.section	.AMDGPU.csdata,"",@progbits
; Kernel info:
; codeLenInByte = 0
; TotalNumSgprs: 0
; NumVgprs: 0
; ScratchSize: 0
; MemoryBound: 0
; FloatMode: 240
; IeeeMode: 1
; LDSByteSize: 0 bytes/workgroup (compile time only)
; SGPRBlocks: 0
; VGPRBlocks: 0
; NumSGPRsForWavesPerEU: 1
; NumVGPRsForWavesPerEU: 1
; Occupancy: 16
; WaveLimiterHint : 0
; COMPUTE_PGM_RSRC2:SCRATCH_EN: 0
; COMPUTE_PGM_RSRC2:USER_SGPR: 2
; COMPUTE_PGM_RSRC2:TRAP_HANDLER: 0
; COMPUTE_PGM_RSRC2:TGID_X_EN: 1
; COMPUTE_PGM_RSRC2:TGID_Y_EN: 0
; COMPUTE_PGM_RSRC2:TGID_Z_EN: 0
; COMPUTE_PGM_RSRC2:TIDIG_COMP_CNT: 0
	.section	.text._ZN7rocprim17ROCPRIM_400000_NS6detail17trampoline_kernelINS0_14default_configENS1_36segmented_radix_sort_config_selectorIdlEEZNS1_25segmented_radix_sort_implIS3_Lb0EPKdPdPKlPlN2at6native12_GLOBAL__N_18offset_tEEE10hipError_tPvRmT1_PNSt15iterator_traitsISK_E10value_typeET2_T3_PNSL_ISQ_E10value_typeET4_jRbjT5_SW_jjP12ihipStream_tbEUlT_E1_NS1_11comp_targetILNS1_3genE4ELNS1_11target_archE910ELNS1_3gpuE8ELNS1_3repE0EEENS1_59segmented_radix_sort_warp_sort_small_config_static_selectorELNS0_4arch9wavefront6targetE0EEEvSK_,"axG",@progbits,_ZN7rocprim17ROCPRIM_400000_NS6detail17trampoline_kernelINS0_14default_configENS1_36segmented_radix_sort_config_selectorIdlEEZNS1_25segmented_radix_sort_implIS3_Lb0EPKdPdPKlPlN2at6native12_GLOBAL__N_18offset_tEEE10hipError_tPvRmT1_PNSt15iterator_traitsISK_E10value_typeET2_T3_PNSL_ISQ_E10value_typeET4_jRbjT5_SW_jjP12ihipStream_tbEUlT_E1_NS1_11comp_targetILNS1_3genE4ELNS1_11target_archE910ELNS1_3gpuE8ELNS1_3repE0EEENS1_59segmented_radix_sort_warp_sort_small_config_static_selectorELNS0_4arch9wavefront6targetE0EEEvSK_,comdat
	.globl	_ZN7rocprim17ROCPRIM_400000_NS6detail17trampoline_kernelINS0_14default_configENS1_36segmented_radix_sort_config_selectorIdlEEZNS1_25segmented_radix_sort_implIS3_Lb0EPKdPdPKlPlN2at6native12_GLOBAL__N_18offset_tEEE10hipError_tPvRmT1_PNSt15iterator_traitsISK_E10value_typeET2_T3_PNSL_ISQ_E10value_typeET4_jRbjT5_SW_jjP12ihipStream_tbEUlT_E1_NS1_11comp_targetILNS1_3genE4ELNS1_11target_archE910ELNS1_3gpuE8ELNS1_3repE0EEENS1_59segmented_radix_sort_warp_sort_small_config_static_selectorELNS0_4arch9wavefront6targetE0EEEvSK_ ; -- Begin function _ZN7rocprim17ROCPRIM_400000_NS6detail17trampoline_kernelINS0_14default_configENS1_36segmented_radix_sort_config_selectorIdlEEZNS1_25segmented_radix_sort_implIS3_Lb0EPKdPdPKlPlN2at6native12_GLOBAL__N_18offset_tEEE10hipError_tPvRmT1_PNSt15iterator_traitsISK_E10value_typeET2_T3_PNSL_ISQ_E10value_typeET4_jRbjT5_SW_jjP12ihipStream_tbEUlT_E1_NS1_11comp_targetILNS1_3genE4ELNS1_11target_archE910ELNS1_3gpuE8ELNS1_3repE0EEENS1_59segmented_radix_sort_warp_sort_small_config_static_selectorELNS0_4arch9wavefront6targetE0EEEvSK_
	.p2align	8
	.type	_ZN7rocprim17ROCPRIM_400000_NS6detail17trampoline_kernelINS0_14default_configENS1_36segmented_radix_sort_config_selectorIdlEEZNS1_25segmented_radix_sort_implIS3_Lb0EPKdPdPKlPlN2at6native12_GLOBAL__N_18offset_tEEE10hipError_tPvRmT1_PNSt15iterator_traitsISK_E10value_typeET2_T3_PNSL_ISQ_E10value_typeET4_jRbjT5_SW_jjP12ihipStream_tbEUlT_E1_NS1_11comp_targetILNS1_3genE4ELNS1_11target_archE910ELNS1_3gpuE8ELNS1_3repE0EEENS1_59segmented_radix_sort_warp_sort_small_config_static_selectorELNS0_4arch9wavefront6targetE0EEEvSK_,@function
_ZN7rocprim17ROCPRIM_400000_NS6detail17trampoline_kernelINS0_14default_configENS1_36segmented_radix_sort_config_selectorIdlEEZNS1_25segmented_radix_sort_implIS3_Lb0EPKdPdPKlPlN2at6native12_GLOBAL__N_18offset_tEEE10hipError_tPvRmT1_PNSt15iterator_traitsISK_E10value_typeET2_T3_PNSL_ISQ_E10value_typeET4_jRbjT5_SW_jjP12ihipStream_tbEUlT_E1_NS1_11comp_targetILNS1_3genE4ELNS1_11target_archE910ELNS1_3gpuE8ELNS1_3repE0EEENS1_59segmented_radix_sort_warp_sort_small_config_static_selectorELNS0_4arch9wavefront6targetE0EEEvSK_: ; @_ZN7rocprim17ROCPRIM_400000_NS6detail17trampoline_kernelINS0_14default_configENS1_36segmented_radix_sort_config_selectorIdlEEZNS1_25segmented_radix_sort_implIS3_Lb0EPKdPdPKlPlN2at6native12_GLOBAL__N_18offset_tEEE10hipError_tPvRmT1_PNSt15iterator_traitsISK_E10value_typeET2_T3_PNSL_ISQ_E10value_typeET4_jRbjT5_SW_jjP12ihipStream_tbEUlT_E1_NS1_11comp_targetILNS1_3genE4ELNS1_11target_archE910ELNS1_3gpuE8ELNS1_3repE0EEENS1_59segmented_radix_sort_warp_sort_small_config_static_selectorELNS0_4arch9wavefront6targetE0EEEvSK_
; %bb.0:
	.section	.rodata,"a",@progbits
	.p2align	6, 0x0
	.amdhsa_kernel _ZN7rocprim17ROCPRIM_400000_NS6detail17trampoline_kernelINS0_14default_configENS1_36segmented_radix_sort_config_selectorIdlEEZNS1_25segmented_radix_sort_implIS3_Lb0EPKdPdPKlPlN2at6native12_GLOBAL__N_18offset_tEEE10hipError_tPvRmT1_PNSt15iterator_traitsISK_E10value_typeET2_T3_PNSL_ISQ_E10value_typeET4_jRbjT5_SW_jjP12ihipStream_tbEUlT_E1_NS1_11comp_targetILNS1_3genE4ELNS1_11target_archE910ELNS1_3gpuE8ELNS1_3repE0EEENS1_59segmented_radix_sort_warp_sort_small_config_static_selectorELNS0_4arch9wavefront6targetE0EEEvSK_
		.amdhsa_group_segment_fixed_size 0
		.amdhsa_private_segment_fixed_size 0
		.amdhsa_kernarg_size 88
		.amdhsa_user_sgpr_count 2
		.amdhsa_user_sgpr_dispatch_ptr 0
		.amdhsa_user_sgpr_queue_ptr 0
		.amdhsa_user_sgpr_kernarg_segment_ptr 1
		.amdhsa_user_sgpr_dispatch_id 0
		.amdhsa_user_sgpr_private_segment_size 0
		.amdhsa_wavefront_size32 1
		.amdhsa_uses_dynamic_stack 0
		.amdhsa_enable_private_segment 0
		.amdhsa_system_sgpr_workgroup_id_x 1
		.amdhsa_system_sgpr_workgroup_id_y 0
		.amdhsa_system_sgpr_workgroup_id_z 0
		.amdhsa_system_sgpr_workgroup_info 0
		.amdhsa_system_vgpr_workitem_id 0
		.amdhsa_next_free_vgpr 1
		.amdhsa_next_free_sgpr 1
		.amdhsa_reserve_vcc 0
		.amdhsa_float_round_mode_32 0
		.amdhsa_float_round_mode_16_64 0
		.amdhsa_float_denorm_mode_32 3
		.amdhsa_float_denorm_mode_16_64 3
		.amdhsa_fp16_overflow 0
		.amdhsa_workgroup_processor_mode 1
		.amdhsa_memory_ordered 1
		.amdhsa_forward_progress 1
		.amdhsa_inst_pref_size 0
		.amdhsa_round_robin_scheduling 0
		.amdhsa_exception_fp_ieee_invalid_op 0
		.amdhsa_exception_fp_denorm_src 0
		.amdhsa_exception_fp_ieee_div_zero 0
		.amdhsa_exception_fp_ieee_overflow 0
		.amdhsa_exception_fp_ieee_underflow 0
		.amdhsa_exception_fp_ieee_inexact 0
		.amdhsa_exception_int_div_zero 0
	.end_amdhsa_kernel
	.section	.text._ZN7rocprim17ROCPRIM_400000_NS6detail17trampoline_kernelINS0_14default_configENS1_36segmented_radix_sort_config_selectorIdlEEZNS1_25segmented_radix_sort_implIS3_Lb0EPKdPdPKlPlN2at6native12_GLOBAL__N_18offset_tEEE10hipError_tPvRmT1_PNSt15iterator_traitsISK_E10value_typeET2_T3_PNSL_ISQ_E10value_typeET4_jRbjT5_SW_jjP12ihipStream_tbEUlT_E1_NS1_11comp_targetILNS1_3genE4ELNS1_11target_archE910ELNS1_3gpuE8ELNS1_3repE0EEENS1_59segmented_radix_sort_warp_sort_small_config_static_selectorELNS0_4arch9wavefront6targetE0EEEvSK_,"axG",@progbits,_ZN7rocprim17ROCPRIM_400000_NS6detail17trampoline_kernelINS0_14default_configENS1_36segmented_radix_sort_config_selectorIdlEEZNS1_25segmented_radix_sort_implIS3_Lb0EPKdPdPKlPlN2at6native12_GLOBAL__N_18offset_tEEE10hipError_tPvRmT1_PNSt15iterator_traitsISK_E10value_typeET2_T3_PNSL_ISQ_E10value_typeET4_jRbjT5_SW_jjP12ihipStream_tbEUlT_E1_NS1_11comp_targetILNS1_3genE4ELNS1_11target_archE910ELNS1_3gpuE8ELNS1_3repE0EEENS1_59segmented_radix_sort_warp_sort_small_config_static_selectorELNS0_4arch9wavefront6targetE0EEEvSK_,comdat
.Lfunc_end1243:
	.size	_ZN7rocprim17ROCPRIM_400000_NS6detail17trampoline_kernelINS0_14default_configENS1_36segmented_radix_sort_config_selectorIdlEEZNS1_25segmented_radix_sort_implIS3_Lb0EPKdPdPKlPlN2at6native12_GLOBAL__N_18offset_tEEE10hipError_tPvRmT1_PNSt15iterator_traitsISK_E10value_typeET2_T3_PNSL_ISQ_E10value_typeET4_jRbjT5_SW_jjP12ihipStream_tbEUlT_E1_NS1_11comp_targetILNS1_3genE4ELNS1_11target_archE910ELNS1_3gpuE8ELNS1_3repE0EEENS1_59segmented_radix_sort_warp_sort_small_config_static_selectorELNS0_4arch9wavefront6targetE0EEEvSK_, .Lfunc_end1243-_ZN7rocprim17ROCPRIM_400000_NS6detail17trampoline_kernelINS0_14default_configENS1_36segmented_radix_sort_config_selectorIdlEEZNS1_25segmented_radix_sort_implIS3_Lb0EPKdPdPKlPlN2at6native12_GLOBAL__N_18offset_tEEE10hipError_tPvRmT1_PNSt15iterator_traitsISK_E10value_typeET2_T3_PNSL_ISQ_E10value_typeET4_jRbjT5_SW_jjP12ihipStream_tbEUlT_E1_NS1_11comp_targetILNS1_3genE4ELNS1_11target_archE910ELNS1_3gpuE8ELNS1_3repE0EEENS1_59segmented_radix_sort_warp_sort_small_config_static_selectorELNS0_4arch9wavefront6targetE0EEEvSK_
                                        ; -- End function
	.set _ZN7rocprim17ROCPRIM_400000_NS6detail17trampoline_kernelINS0_14default_configENS1_36segmented_radix_sort_config_selectorIdlEEZNS1_25segmented_radix_sort_implIS3_Lb0EPKdPdPKlPlN2at6native12_GLOBAL__N_18offset_tEEE10hipError_tPvRmT1_PNSt15iterator_traitsISK_E10value_typeET2_T3_PNSL_ISQ_E10value_typeET4_jRbjT5_SW_jjP12ihipStream_tbEUlT_E1_NS1_11comp_targetILNS1_3genE4ELNS1_11target_archE910ELNS1_3gpuE8ELNS1_3repE0EEENS1_59segmented_radix_sort_warp_sort_small_config_static_selectorELNS0_4arch9wavefront6targetE0EEEvSK_.num_vgpr, 0
	.set _ZN7rocprim17ROCPRIM_400000_NS6detail17trampoline_kernelINS0_14default_configENS1_36segmented_radix_sort_config_selectorIdlEEZNS1_25segmented_radix_sort_implIS3_Lb0EPKdPdPKlPlN2at6native12_GLOBAL__N_18offset_tEEE10hipError_tPvRmT1_PNSt15iterator_traitsISK_E10value_typeET2_T3_PNSL_ISQ_E10value_typeET4_jRbjT5_SW_jjP12ihipStream_tbEUlT_E1_NS1_11comp_targetILNS1_3genE4ELNS1_11target_archE910ELNS1_3gpuE8ELNS1_3repE0EEENS1_59segmented_radix_sort_warp_sort_small_config_static_selectorELNS0_4arch9wavefront6targetE0EEEvSK_.num_agpr, 0
	.set _ZN7rocprim17ROCPRIM_400000_NS6detail17trampoline_kernelINS0_14default_configENS1_36segmented_radix_sort_config_selectorIdlEEZNS1_25segmented_radix_sort_implIS3_Lb0EPKdPdPKlPlN2at6native12_GLOBAL__N_18offset_tEEE10hipError_tPvRmT1_PNSt15iterator_traitsISK_E10value_typeET2_T3_PNSL_ISQ_E10value_typeET4_jRbjT5_SW_jjP12ihipStream_tbEUlT_E1_NS1_11comp_targetILNS1_3genE4ELNS1_11target_archE910ELNS1_3gpuE8ELNS1_3repE0EEENS1_59segmented_radix_sort_warp_sort_small_config_static_selectorELNS0_4arch9wavefront6targetE0EEEvSK_.numbered_sgpr, 0
	.set _ZN7rocprim17ROCPRIM_400000_NS6detail17trampoline_kernelINS0_14default_configENS1_36segmented_radix_sort_config_selectorIdlEEZNS1_25segmented_radix_sort_implIS3_Lb0EPKdPdPKlPlN2at6native12_GLOBAL__N_18offset_tEEE10hipError_tPvRmT1_PNSt15iterator_traitsISK_E10value_typeET2_T3_PNSL_ISQ_E10value_typeET4_jRbjT5_SW_jjP12ihipStream_tbEUlT_E1_NS1_11comp_targetILNS1_3genE4ELNS1_11target_archE910ELNS1_3gpuE8ELNS1_3repE0EEENS1_59segmented_radix_sort_warp_sort_small_config_static_selectorELNS0_4arch9wavefront6targetE0EEEvSK_.num_named_barrier, 0
	.set _ZN7rocprim17ROCPRIM_400000_NS6detail17trampoline_kernelINS0_14default_configENS1_36segmented_radix_sort_config_selectorIdlEEZNS1_25segmented_radix_sort_implIS3_Lb0EPKdPdPKlPlN2at6native12_GLOBAL__N_18offset_tEEE10hipError_tPvRmT1_PNSt15iterator_traitsISK_E10value_typeET2_T3_PNSL_ISQ_E10value_typeET4_jRbjT5_SW_jjP12ihipStream_tbEUlT_E1_NS1_11comp_targetILNS1_3genE4ELNS1_11target_archE910ELNS1_3gpuE8ELNS1_3repE0EEENS1_59segmented_radix_sort_warp_sort_small_config_static_selectorELNS0_4arch9wavefront6targetE0EEEvSK_.private_seg_size, 0
	.set _ZN7rocprim17ROCPRIM_400000_NS6detail17trampoline_kernelINS0_14default_configENS1_36segmented_radix_sort_config_selectorIdlEEZNS1_25segmented_radix_sort_implIS3_Lb0EPKdPdPKlPlN2at6native12_GLOBAL__N_18offset_tEEE10hipError_tPvRmT1_PNSt15iterator_traitsISK_E10value_typeET2_T3_PNSL_ISQ_E10value_typeET4_jRbjT5_SW_jjP12ihipStream_tbEUlT_E1_NS1_11comp_targetILNS1_3genE4ELNS1_11target_archE910ELNS1_3gpuE8ELNS1_3repE0EEENS1_59segmented_radix_sort_warp_sort_small_config_static_selectorELNS0_4arch9wavefront6targetE0EEEvSK_.uses_vcc, 0
	.set _ZN7rocprim17ROCPRIM_400000_NS6detail17trampoline_kernelINS0_14default_configENS1_36segmented_radix_sort_config_selectorIdlEEZNS1_25segmented_radix_sort_implIS3_Lb0EPKdPdPKlPlN2at6native12_GLOBAL__N_18offset_tEEE10hipError_tPvRmT1_PNSt15iterator_traitsISK_E10value_typeET2_T3_PNSL_ISQ_E10value_typeET4_jRbjT5_SW_jjP12ihipStream_tbEUlT_E1_NS1_11comp_targetILNS1_3genE4ELNS1_11target_archE910ELNS1_3gpuE8ELNS1_3repE0EEENS1_59segmented_radix_sort_warp_sort_small_config_static_selectorELNS0_4arch9wavefront6targetE0EEEvSK_.uses_flat_scratch, 0
	.set _ZN7rocprim17ROCPRIM_400000_NS6detail17trampoline_kernelINS0_14default_configENS1_36segmented_radix_sort_config_selectorIdlEEZNS1_25segmented_radix_sort_implIS3_Lb0EPKdPdPKlPlN2at6native12_GLOBAL__N_18offset_tEEE10hipError_tPvRmT1_PNSt15iterator_traitsISK_E10value_typeET2_T3_PNSL_ISQ_E10value_typeET4_jRbjT5_SW_jjP12ihipStream_tbEUlT_E1_NS1_11comp_targetILNS1_3genE4ELNS1_11target_archE910ELNS1_3gpuE8ELNS1_3repE0EEENS1_59segmented_radix_sort_warp_sort_small_config_static_selectorELNS0_4arch9wavefront6targetE0EEEvSK_.has_dyn_sized_stack, 0
	.set _ZN7rocprim17ROCPRIM_400000_NS6detail17trampoline_kernelINS0_14default_configENS1_36segmented_radix_sort_config_selectorIdlEEZNS1_25segmented_radix_sort_implIS3_Lb0EPKdPdPKlPlN2at6native12_GLOBAL__N_18offset_tEEE10hipError_tPvRmT1_PNSt15iterator_traitsISK_E10value_typeET2_T3_PNSL_ISQ_E10value_typeET4_jRbjT5_SW_jjP12ihipStream_tbEUlT_E1_NS1_11comp_targetILNS1_3genE4ELNS1_11target_archE910ELNS1_3gpuE8ELNS1_3repE0EEENS1_59segmented_radix_sort_warp_sort_small_config_static_selectorELNS0_4arch9wavefront6targetE0EEEvSK_.has_recursion, 0
	.set _ZN7rocprim17ROCPRIM_400000_NS6detail17trampoline_kernelINS0_14default_configENS1_36segmented_radix_sort_config_selectorIdlEEZNS1_25segmented_radix_sort_implIS3_Lb0EPKdPdPKlPlN2at6native12_GLOBAL__N_18offset_tEEE10hipError_tPvRmT1_PNSt15iterator_traitsISK_E10value_typeET2_T3_PNSL_ISQ_E10value_typeET4_jRbjT5_SW_jjP12ihipStream_tbEUlT_E1_NS1_11comp_targetILNS1_3genE4ELNS1_11target_archE910ELNS1_3gpuE8ELNS1_3repE0EEENS1_59segmented_radix_sort_warp_sort_small_config_static_selectorELNS0_4arch9wavefront6targetE0EEEvSK_.has_indirect_call, 0
	.section	.AMDGPU.csdata,"",@progbits
; Kernel info:
; codeLenInByte = 0
; TotalNumSgprs: 0
; NumVgprs: 0
; ScratchSize: 0
; MemoryBound: 0
; FloatMode: 240
; IeeeMode: 1
; LDSByteSize: 0 bytes/workgroup (compile time only)
; SGPRBlocks: 0
; VGPRBlocks: 0
; NumSGPRsForWavesPerEU: 1
; NumVGPRsForWavesPerEU: 1
; Occupancy: 16
; WaveLimiterHint : 0
; COMPUTE_PGM_RSRC2:SCRATCH_EN: 0
; COMPUTE_PGM_RSRC2:USER_SGPR: 2
; COMPUTE_PGM_RSRC2:TRAP_HANDLER: 0
; COMPUTE_PGM_RSRC2:TGID_X_EN: 1
; COMPUTE_PGM_RSRC2:TGID_Y_EN: 0
; COMPUTE_PGM_RSRC2:TGID_Z_EN: 0
; COMPUTE_PGM_RSRC2:TIDIG_COMP_CNT: 0
	.section	.text._ZN7rocprim17ROCPRIM_400000_NS6detail17trampoline_kernelINS0_14default_configENS1_36segmented_radix_sort_config_selectorIdlEEZNS1_25segmented_radix_sort_implIS3_Lb0EPKdPdPKlPlN2at6native12_GLOBAL__N_18offset_tEEE10hipError_tPvRmT1_PNSt15iterator_traitsISK_E10value_typeET2_T3_PNSL_ISQ_E10value_typeET4_jRbjT5_SW_jjP12ihipStream_tbEUlT_E1_NS1_11comp_targetILNS1_3genE3ELNS1_11target_archE908ELNS1_3gpuE7ELNS1_3repE0EEENS1_59segmented_radix_sort_warp_sort_small_config_static_selectorELNS0_4arch9wavefront6targetE0EEEvSK_,"axG",@progbits,_ZN7rocprim17ROCPRIM_400000_NS6detail17trampoline_kernelINS0_14default_configENS1_36segmented_radix_sort_config_selectorIdlEEZNS1_25segmented_radix_sort_implIS3_Lb0EPKdPdPKlPlN2at6native12_GLOBAL__N_18offset_tEEE10hipError_tPvRmT1_PNSt15iterator_traitsISK_E10value_typeET2_T3_PNSL_ISQ_E10value_typeET4_jRbjT5_SW_jjP12ihipStream_tbEUlT_E1_NS1_11comp_targetILNS1_3genE3ELNS1_11target_archE908ELNS1_3gpuE7ELNS1_3repE0EEENS1_59segmented_radix_sort_warp_sort_small_config_static_selectorELNS0_4arch9wavefront6targetE0EEEvSK_,comdat
	.globl	_ZN7rocprim17ROCPRIM_400000_NS6detail17trampoline_kernelINS0_14default_configENS1_36segmented_radix_sort_config_selectorIdlEEZNS1_25segmented_radix_sort_implIS3_Lb0EPKdPdPKlPlN2at6native12_GLOBAL__N_18offset_tEEE10hipError_tPvRmT1_PNSt15iterator_traitsISK_E10value_typeET2_T3_PNSL_ISQ_E10value_typeET4_jRbjT5_SW_jjP12ihipStream_tbEUlT_E1_NS1_11comp_targetILNS1_3genE3ELNS1_11target_archE908ELNS1_3gpuE7ELNS1_3repE0EEENS1_59segmented_radix_sort_warp_sort_small_config_static_selectorELNS0_4arch9wavefront6targetE0EEEvSK_ ; -- Begin function _ZN7rocprim17ROCPRIM_400000_NS6detail17trampoline_kernelINS0_14default_configENS1_36segmented_radix_sort_config_selectorIdlEEZNS1_25segmented_radix_sort_implIS3_Lb0EPKdPdPKlPlN2at6native12_GLOBAL__N_18offset_tEEE10hipError_tPvRmT1_PNSt15iterator_traitsISK_E10value_typeET2_T3_PNSL_ISQ_E10value_typeET4_jRbjT5_SW_jjP12ihipStream_tbEUlT_E1_NS1_11comp_targetILNS1_3genE3ELNS1_11target_archE908ELNS1_3gpuE7ELNS1_3repE0EEENS1_59segmented_radix_sort_warp_sort_small_config_static_selectorELNS0_4arch9wavefront6targetE0EEEvSK_
	.p2align	8
	.type	_ZN7rocprim17ROCPRIM_400000_NS6detail17trampoline_kernelINS0_14default_configENS1_36segmented_radix_sort_config_selectorIdlEEZNS1_25segmented_radix_sort_implIS3_Lb0EPKdPdPKlPlN2at6native12_GLOBAL__N_18offset_tEEE10hipError_tPvRmT1_PNSt15iterator_traitsISK_E10value_typeET2_T3_PNSL_ISQ_E10value_typeET4_jRbjT5_SW_jjP12ihipStream_tbEUlT_E1_NS1_11comp_targetILNS1_3genE3ELNS1_11target_archE908ELNS1_3gpuE7ELNS1_3repE0EEENS1_59segmented_radix_sort_warp_sort_small_config_static_selectorELNS0_4arch9wavefront6targetE0EEEvSK_,@function
_ZN7rocprim17ROCPRIM_400000_NS6detail17trampoline_kernelINS0_14default_configENS1_36segmented_radix_sort_config_selectorIdlEEZNS1_25segmented_radix_sort_implIS3_Lb0EPKdPdPKlPlN2at6native12_GLOBAL__N_18offset_tEEE10hipError_tPvRmT1_PNSt15iterator_traitsISK_E10value_typeET2_T3_PNSL_ISQ_E10value_typeET4_jRbjT5_SW_jjP12ihipStream_tbEUlT_E1_NS1_11comp_targetILNS1_3genE3ELNS1_11target_archE908ELNS1_3gpuE7ELNS1_3repE0EEENS1_59segmented_radix_sort_warp_sort_small_config_static_selectorELNS0_4arch9wavefront6targetE0EEEvSK_: ; @_ZN7rocprim17ROCPRIM_400000_NS6detail17trampoline_kernelINS0_14default_configENS1_36segmented_radix_sort_config_selectorIdlEEZNS1_25segmented_radix_sort_implIS3_Lb0EPKdPdPKlPlN2at6native12_GLOBAL__N_18offset_tEEE10hipError_tPvRmT1_PNSt15iterator_traitsISK_E10value_typeET2_T3_PNSL_ISQ_E10value_typeET4_jRbjT5_SW_jjP12ihipStream_tbEUlT_E1_NS1_11comp_targetILNS1_3genE3ELNS1_11target_archE908ELNS1_3gpuE7ELNS1_3repE0EEENS1_59segmented_radix_sort_warp_sort_small_config_static_selectorELNS0_4arch9wavefront6targetE0EEEvSK_
; %bb.0:
	.section	.rodata,"a",@progbits
	.p2align	6, 0x0
	.amdhsa_kernel _ZN7rocprim17ROCPRIM_400000_NS6detail17trampoline_kernelINS0_14default_configENS1_36segmented_radix_sort_config_selectorIdlEEZNS1_25segmented_radix_sort_implIS3_Lb0EPKdPdPKlPlN2at6native12_GLOBAL__N_18offset_tEEE10hipError_tPvRmT1_PNSt15iterator_traitsISK_E10value_typeET2_T3_PNSL_ISQ_E10value_typeET4_jRbjT5_SW_jjP12ihipStream_tbEUlT_E1_NS1_11comp_targetILNS1_3genE3ELNS1_11target_archE908ELNS1_3gpuE7ELNS1_3repE0EEENS1_59segmented_radix_sort_warp_sort_small_config_static_selectorELNS0_4arch9wavefront6targetE0EEEvSK_
		.amdhsa_group_segment_fixed_size 0
		.amdhsa_private_segment_fixed_size 0
		.amdhsa_kernarg_size 88
		.amdhsa_user_sgpr_count 2
		.amdhsa_user_sgpr_dispatch_ptr 0
		.amdhsa_user_sgpr_queue_ptr 0
		.amdhsa_user_sgpr_kernarg_segment_ptr 1
		.amdhsa_user_sgpr_dispatch_id 0
		.amdhsa_user_sgpr_private_segment_size 0
		.amdhsa_wavefront_size32 1
		.amdhsa_uses_dynamic_stack 0
		.amdhsa_enable_private_segment 0
		.amdhsa_system_sgpr_workgroup_id_x 1
		.amdhsa_system_sgpr_workgroup_id_y 0
		.amdhsa_system_sgpr_workgroup_id_z 0
		.amdhsa_system_sgpr_workgroup_info 0
		.amdhsa_system_vgpr_workitem_id 0
		.amdhsa_next_free_vgpr 1
		.amdhsa_next_free_sgpr 1
		.amdhsa_reserve_vcc 0
		.amdhsa_float_round_mode_32 0
		.amdhsa_float_round_mode_16_64 0
		.amdhsa_float_denorm_mode_32 3
		.amdhsa_float_denorm_mode_16_64 3
		.amdhsa_fp16_overflow 0
		.amdhsa_workgroup_processor_mode 1
		.amdhsa_memory_ordered 1
		.amdhsa_forward_progress 1
		.amdhsa_inst_pref_size 0
		.amdhsa_round_robin_scheduling 0
		.amdhsa_exception_fp_ieee_invalid_op 0
		.amdhsa_exception_fp_denorm_src 0
		.amdhsa_exception_fp_ieee_div_zero 0
		.amdhsa_exception_fp_ieee_overflow 0
		.amdhsa_exception_fp_ieee_underflow 0
		.amdhsa_exception_fp_ieee_inexact 0
		.amdhsa_exception_int_div_zero 0
	.end_amdhsa_kernel
	.section	.text._ZN7rocprim17ROCPRIM_400000_NS6detail17trampoline_kernelINS0_14default_configENS1_36segmented_radix_sort_config_selectorIdlEEZNS1_25segmented_radix_sort_implIS3_Lb0EPKdPdPKlPlN2at6native12_GLOBAL__N_18offset_tEEE10hipError_tPvRmT1_PNSt15iterator_traitsISK_E10value_typeET2_T3_PNSL_ISQ_E10value_typeET4_jRbjT5_SW_jjP12ihipStream_tbEUlT_E1_NS1_11comp_targetILNS1_3genE3ELNS1_11target_archE908ELNS1_3gpuE7ELNS1_3repE0EEENS1_59segmented_radix_sort_warp_sort_small_config_static_selectorELNS0_4arch9wavefront6targetE0EEEvSK_,"axG",@progbits,_ZN7rocprim17ROCPRIM_400000_NS6detail17trampoline_kernelINS0_14default_configENS1_36segmented_radix_sort_config_selectorIdlEEZNS1_25segmented_radix_sort_implIS3_Lb0EPKdPdPKlPlN2at6native12_GLOBAL__N_18offset_tEEE10hipError_tPvRmT1_PNSt15iterator_traitsISK_E10value_typeET2_T3_PNSL_ISQ_E10value_typeET4_jRbjT5_SW_jjP12ihipStream_tbEUlT_E1_NS1_11comp_targetILNS1_3genE3ELNS1_11target_archE908ELNS1_3gpuE7ELNS1_3repE0EEENS1_59segmented_radix_sort_warp_sort_small_config_static_selectorELNS0_4arch9wavefront6targetE0EEEvSK_,comdat
.Lfunc_end1244:
	.size	_ZN7rocprim17ROCPRIM_400000_NS6detail17trampoline_kernelINS0_14default_configENS1_36segmented_radix_sort_config_selectorIdlEEZNS1_25segmented_radix_sort_implIS3_Lb0EPKdPdPKlPlN2at6native12_GLOBAL__N_18offset_tEEE10hipError_tPvRmT1_PNSt15iterator_traitsISK_E10value_typeET2_T3_PNSL_ISQ_E10value_typeET4_jRbjT5_SW_jjP12ihipStream_tbEUlT_E1_NS1_11comp_targetILNS1_3genE3ELNS1_11target_archE908ELNS1_3gpuE7ELNS1_3repE0EEENS1_59segmented_radix_sort_warp_sort_small_config_static_selectorELNS0_4arch9wavefront6targetE0EEEvSK_, .Lfunc_end1244-_ZN7rocprim17ROCPRIM_400000_NS6detail17trampoline_kernelINS0_14default_configENS1_36segmented_radix_sort_config_selectorIdlEEZNS1_25segmented_radix_sort_implIS3_Lb0EPKdPdPKlPlN2at6native12_GLOBAL__N_18offset_tEEE10hipError_tPvRmT1_PNSt15iterator_traitsISK_E10value_typeET2_T3_PNSL_ISQ_E10value_typeET4_jRbjT5_SW_jjP12ihipStream_tbEUlT_E1_NS1_11comp_targetILNS1_3genE3ELNS1_11target_archE908ELNS1_3gpuE7ELNS1_3repE0EEENS1_59segmented_radix_sort_warp_sort_small_config_static_selectorELNS0_4arch9wavefront6targetE0EEEvSK_
                                        ; -- End function
	.set _ZN7rocprim17ROCPRIM_400000_NS6detail17trampoline_kernelINS0_14default_configENS1_36segmented_radix_sort_config_selectorIdlEEZNS1_25segmented_radix_sort_implIS3_Lb0EPKdPdPKlPlN2at6native12_GLOBAL__N_18offset_tEEE10hipError_tPvRmT1_PNSt15iterator_traitsISK_E10value_typeET2_T3_PNSL_ISQ_E10value_typeET4_jRbjT5_SW_jjP12ihipStream_tbEUlT_E1_NS1_11comp_targetILNS1_3genE3ELNS1_11target_archE908ELNS1_3gpuE7ELNS1_3repE0EEENS1_59segmented_radix_sort_warp_sort_small_config_static_selectorELNS0_4arch9wavefront6targetE0EEEvSK_.num_vgpr, 0
	.set _ZN7rocprim17ROCPRIM_400000_NS6detail17trampoline_kernelINS0_14default_configENS1_36segmented_radix_sort_config_selectorIdlEEZNS1_25segmented_radix_sort_implIS3_Lb0EPKdPdPKlPlN2at6native12_GLOBAL__N_18offset_tEEE10hipError_tPvRmT1_PNSt15iterator_traitsISK_E10value_typeET2_T3_PNSL_ISQ_E10value_typeET4_jRbjT5_SW_jjP12ihipStream_tbEUlT_E1_NS1_11comp_targetILNS1_3genE3ELNS1_11target_archE908ELNS1_3gpuE7ELNS1_3repE0EEENS1_59segmented_radix_sort_warp_sort_small_config_static_selectorELNS0_4arch9wavefront6targetE0EEEvSK_.num_agpr, 0
	.set _ZN7rocprim17ROCPRIM_400000_NS6detail17trampoline_kernelINS0_14default_configENS1_36segmented_radix_sort_config_selectorIdlEEZNS1_25segmented_radix_sort_implIS3_Lb0EPKdPdPKlPlN2at6native12_GLOBAL__N_18offset_tEEE10hipError_tPvRmT1_PNSt15iterator_traitsISK_E10value_typeET2_T3_PNSL_ISQ_E10value_typeET4_jRbjT5_SW_jjP12ihipStream_tbEUlT_E1_NS1_11comp_targetILNS1_3genE3ELNS1_11target_archE908ELNS1_3gpuE7ELNS1_3repE0EEENS1_59segmented_radix_sort_warp_sort_small_config_static_selectorELNS0_4arch9wavefront6targetE0EEEvSK_.numbered_sgpr, 0
	.set _ZN7rocprim17ROCPRIM_400000_NS6detail17trampoline_kernelINS0_14default_configENS1_36segmented_radix_sort_config_selectorIdlEEZNS1_25segmented_radix_sort_implIS3_Lb0EPKdPdPKlPlN2at6native12_GLOBAL__N_18offset_tEEE10hipError_tPvRmT1_PNSt15iterator_traitsISK_E10value_typeET2_T3_PNSL_ISQ_E10value_typeET4_jRbjT5_SW_jjP12ihipStream_tbEUlT_E1_NS1_11comp_targetILNS1_3genE3ELNS1_11target_archE908ELNS1_3gpuE7ELNS1_3repE0EEENS1_59segmented_radix_sort_warp_sort_small_config_static_selectorELNS0_4arch9wavefront6targetE0EEEvSK_.num_named_barrier, 0
	.set _ZN7rocprim17ROCPRIM_400000_NS6detail17trampoline_kernelINS0_14default_configENS1_36segmented_radix_sort_config_selectorIdlEEZNS1_25segmented_radix_sort_implIS3_Lb0EPKdPdPKlPlN2at6native12_GLOBAL__N_18offset_tEEE10hipError_tPvRmT1_PNSt15iterator_traitsISK_E10value_typeET2_T3_PNSL_ISQ_E10value_typeET4_jRbjT5_SW_jjP12ihipStream_tbEUlT_E1_NS1_11comp_targetILNS1_3genE3ELNS1_11target_archE908ELNS1_3gpuE7ELNS1_3repE0EEENS1_59segmented_radix_sort_warp_sort_small_config_static_selectorELNS0_4arch9wavefront6targetE0EEEvSK_.private_seg_size, 0
	.set _ZN7rocprim17ROCPRIM_400000_NS6detail17trampoline_kernelINS0_14default_configENS1_36segmented_radix_sort_config_selectorIdlEEZNS1_25segmented_radix_sort_implIS3_Lb0EPKdPdPKlPlN2at6native12_GLOBAL__N_18offset_tEEE10hipError_tPvRmT1_PNSt15iterator_traitsISK_E10value_typeET2_T3_PNSL_ISQ_E10value_typeET4_jRbjT5_SW_jjP12ihipStream_tbEUlT_E1_NS1_11comp_targetILNS1_3genE3ELNS1_11target_archE908ELNS1_3gpuE7ELNS1_3repE0EEENS1_59segmented_radix_sort_warp_sort_small_config_static_selectorELNS0_4arch9wavefront6targetE0EEEvSK_.uses_vcc, 0
	.set _ZN7rocprim17ROCPRIM_400000_NS6detail17trampoline_kernelINS0_14default_configENS1_36segmented_radix_sort_config_selectorIdlEEZNS1_25segmented_radix_sort_implIS3_Lb0EPKdPdPKlPlN2at6native12_GLOBAL__N_18offset_tEEE10hipError_tPvRmT1_PNSt15iterator_traitsISK_E10value_typeET2_T3_PNSL_ISQ_E10value_typeET4_jRbjT5_SW_jjP12ihipStream_tbEUlT_E1_NS1_11comp_targetILNS1_3genE3ELNS1_11target_archE908ELNS1_3gpuE7ELNS1_3repE0EEENS1_59segmented_radix_sort_warp_sort_small_config_static_selectorELNS0_4arch9wavefront6targetE0EEEvSK_.uses_flat_scratch, 0
	.set _ZN7rocprim17ROCPRIM_400000_NS6detail17trampoline_kernelINS0_14default_configENS1_36segmented_radix_sort_config_selectorIdlEEZNS1_25segmented_radix_sort_implIS3_Lb0EPKdPdPKlPlN2at6native12_GLOBAL__N_18offset_tEEE10hipError_tPvRmT1_PNSt15iterator_traitsISK_E10value_typeET2_T3_PNSL_ISQ_E10value_typeET4_jRbjT5_SW_jjP12ihipStream_tbEUlT_E1_NS1_11comp_targetILNS1_3genE3ELNS1_11target_archE908ELNS1_3gpuE7ELNS1_3repE0EEENS1_59segmented_radix_sort_warp_sort_small_config_static_selectorELNS0_4arch9wavefront6targetE0EEEvSK_.has_dyn_sized_stack, 0
	.set _ZN7rocprim17ROCPRIM_400000_NS6detail17trampoline_kernelINS0_14default_configENS1_36segmented_radix_sort_config_selectorIdlEEZNS1_25segmented_radix_sort_implIS3_Lb0EPKdPdPKlPlN2at6native12_GLOBAL__N_18offset_tEEE10hipError_tPvRmT1_PNSt15iterator_traitsISK_E10value_typeET2_T3_PNSL_ISQ_E10value_typeET4_jRbjT5_SW_jjP12ihipStream_tbEUlT_E1_NS1_11comp_targetILNS1_3genE3ELNS1_11target_archE908ELNS1_3gpuE7ELNS1_3repE0EEENS1_59segmented_radix_sort_warp_sort_small_config_static_selectorELNS0_4arch9wavefront6targetE0EEEvSK_.has_recursion, 0
	.set _ZN7rocprim17ROCPRIM_400000_NS6detail17trampoline_kernelINS0_14default_configENS1_36segmented_radix_sort_config_selectorIdlEEZNS1_25segmented_radix_sort_implIS3_Lb0EPKdPdPKlPlN2at6native12_GLOBAL__N_18offset_tEEE10hipError_tPvRmT1_PNSt15iterator_traitsISK_E10value_typeET2_T3_PNSL_ISQ_E10value_typeET4_jRbjT5_SW_jjP12ihipStream_tbEUlT_E1_NS1_11comp_targetILNS1_3genE3ELNS1_11target_archE908ELNS1_3gpuE7ELNS1_3repE0EEENS1_59segmented_radix_sort_warp_sort_small_config_static_selectorELNS0_4arch9wavefront6targetE0EEEvSK_.has_indirect_call, 0
	.section	.AMDGPU.csdata,"",@progbits
; Kernel info:
; codeLenInByte = 0
; TotalNumSgprs: 0
; NumVgprs: 0
; ScratchSize: 0
; MemoryBound: 0
; FloatMode: 240
; IeeeMode: 1
; LDSByteSize: 0 bytes/workgroup (compile time only)
; SGPRBlocks: 0
; VGPRBlocks: 0
; NumSGPRsForWavesPerEU: 1
; NumVGPRsForWavesPerEU: 1
; Occupancy: 16
; WaveLimiterHint : 0
; COMPUTE_PGM_RSRC2:SCRATCH_EN: 0
; COMPUTE_PGM_RSRC2:USER_SGPR: 2
; COMPUTE_PGM_RSRC2:TRAP_HANDLER: 0
; COMPUTE_PGM_RSRC2:TGID_X_EN: 1
; COMPUTE_PGM_RSRC2:TGID_Y_EN: 0
; COMPUTE_PGM_RSRC2:TGID_Z_EN: 0
; COMPUTE_PGM_RSRC2:TIDIG_COMP_CNT: 0
	.section	.text._ZN7rocprim17ROCPRIM_400000_NS6detail17trampoline_kernelINS0_14default_configENS1_36segmented_radix_sort_config_selectorIdlEEZNS1_25segmented_radix_sort_implIS3_Lb0EPKdPdPKlPlN2at6native12_GLOBAL__N_18offset_tEEE10hipError_tPvRmT1_PNSt15iterator_traitsISK_E10value_typeET2_T3_PNSL_ISQ_E10value_typeET4_jRbjT5_SW_jjP12ihipStream_tbEUlT_E1_NS1_11comp_targetILNS1_3genE2ELNS1_11target_archE906ELNS1_3gpuE6ELNS1_3repE0EEENS1_59segmented_radix_sort_warp_sort_small_config_static_selectorELNS0_4arch9wavefront6targetE0EEEvSK_,"axG",@progbits,_ZN7rocprim17ROCPRIM_400000_NS6detail17trampoline_kernelINS0_14default_configENS1_36segmented_radix_sort_config_selectorIdlEEZNS1_25segmented_radix_sort_implIS3_Lb0EPKdPdPKlPlN2at6native12_GLOBAL__N_18offset_tEEE10hipError_tPvRmT1_PNSt15iterator_traitsISK_E10value_typeET2_T3_PNSL_ISQ_E10value_typeET4_jRbjT5_SW_jjP12ihipStream_tbEUlT_E1_NS1_11comp_targetILNS1_3genE2ELNS1_11target_archE906ELNS1_3gpuE6ELNS1_3repE0EEENS1_59segmented_radix_sort_warp_sort_small_config_static_selectorELNS0_4arch9wavefront6targetE0EEEvSK_,comdat
	.globl	_ZN7rocprim17ROCPRIM_400000_NS6detail17trampoline_kernelINS0_14default_configENS1_36segmented_radix_sort_config_selectorIdlEEZNS1_25segmented_radix_sort_implIS3_Lb0EPKdPdPKlPlN2at6native12_GLOBAL__N_18offset_tEEE10hipError_tPvRmT1_PNSt15iterator_traitsISK_E10value_typeET2_T3_PNSL_ISQ_E10value_typeET4_jRbjT5_SW_jjP12ihipStream_tbEUlT_E1_NS1_11comp_targetILNS1_3genE2ELNS1_11target_archE906ELNS1_3gpuE6ELNS1_3repE0EEENS1_59segmented_radix_sort_warp_sort_small_config_static_selectorELNS0_4arch9wavefront6targetE0EEEvSK_ ; -- Begin function _ZN7rocprim17ROCPRIM_400000_NS6detail17trampoline_kernelINS0_14default_configENS1_36segmented_radix_sort_config_selectorIdlEEZNS1_25segmented_radix_sort_implIS3_Lb0EPKdPdPKlPlN2at6native12_GLOBAL__N_18offset_tEEE10hipError_tPvRmT1_PNSt15iterator_traitsISK_E10value_typeET2_T3_PNSL_ISQ_E10value_typeET4_jRbjT5_SW_jjP12ihipStream_tbEUlT_E1_NS1_11comp_targetILNS1_3genE2ELNS1_11target_archE906ELNS1_3gpuE6ELNS1_3repE0EEENS1_59segmented_radix_sort_warp_sort_small_config_static_selectorELNS0_4arch9wavefront6targetE0EEEvSK_
	.p2align	8
	.type	_ZN7rocprim17ROCPRIM_400000_NS6detail17trampoline_kernelINS0_14default_configENS1_36segmented_radix_sort_config_selectorIdlEEZNS1_25segmented_radix_sort_implIS3_Lb0EPKdPdPKlPlN2at6native12_GLOBAL__N_18offset_tEEE10hipError_tPvRmT1_PNSt15iterator_traitsISK_E10value_typeET2_T3_PNSL_ISQ_E10value_typeET4_jRbjT5_SW_jjP12ihipStream_tbEUlT_E1_NS1_11comp_targetILNS1_3genE2ELNS1_11target_archE906ELNS1_3gpuE6ELNS1_3repE0EEENS1_59segmented_radix_sort_warp_sort_small_config_static_selectorELNS0_4arch9wavefront6targetE0EEEvSK_,@function
_ZN7rocprim17ROCPRIM_400000_NS6detail17trampoline_kernelINS0_14default_configENS1_36segmented_radix_sort_config_selectorIdlEEZNS1_25segmented_radix_sort_implIS3_Lb0EPKdPdPKlPlN2at6native12_GLOBAL__N_18offset_tEEE10hipError_tPvRmT1_PNSt15iterator_traitsISK_E10value_typeET2_T3_PNSL_ISQ_E10value_typeET4_jRbjT5_SW_jjP12ihipStream_tbEUlT_E1_NS1_11comp_targetILNS1_3genE2ELNS1_11target_archE906ELNS1_3gpuE6ELNS1_3repE0EEENS1_59segmented_radix_sort_warp_sort_small_config_static_selectorELNS0_4arch9wavefront6targetE0EEEvSK_: ; @_ZN7rocprim17ROCPRIM_400000_NS6detail17trampoline_kernelINS0_14default_configENS1_36segmented_radix_sort_config_selectorIdlEEZNS1_25segmented_radix_sort_implIS3_Lb0EPKdPdPKlPlN2at6native12_GLOBAL__N_18offset_tEEE10hipError_tPvRmT1_PNSt15iterator_traitsISK_E10value_typeET2_T3_PNSL_ISQ_E10value_typeET4_jRbjT5_SW_jjP12ihipStream_tbEUlT_E1_NS1_11comp_targetILNS1_3genE2ELNS1_11target_archE906ELNS1_3gpuE6ELNS1_3repE0EEENS1_59segmented_radix_sort_warp_sort_small_config_static_selectorELNS0_4arch9wavefront6targetE0EEEvSK_
; %bb.0:
	.section	.rodata,"a",@progbits
	.p2align	6, 0x0
	.amdhsa_kernel _ZN7rocprim17ROCPRIM_400000_NS6detail17trampoline_kernelINS0_14default_configENS1_36segmented_radix_sort_config_selectorIdlEEZNS1_25segmented_radix_sort_implIS3_Lb0EPKdPdPKlPlN2at6native12_GLOBAL__N_18offset_tEEE10hipError_tPvRmT1_PNSt15iterator_traitsISK_E10value_typeET2_T3_PNSL_ISQ_E10value_typeET4_jRbjT5_SW_jjP12ihipStream_tbEUlT_E1_NS1_11comp_targetILNS1_3genE2ELNS1_11target_archE906ELNS1_3gpuE6ELNS1_3repE0EEENS1_59segmented_radix_sort_warp_sort_small_config_static_selectorELNS0_4arch9wavefront6targetE0EEEvSK_
		.amdhsa_group_segment_fixed_size 0
		.amdhsa_private_segment_fixed_size 0
		.amdhsa_kernarg_size 88
		.amdhsa_user_sgpr_count 2
		.amdhsa_user_sgpr_dispatch_ptr 0
		.amdhsa_user_sgpr_queue_ptr 0
		.amdhsa_user_sgpr_kernarg_segment_ptr 1
		.amdhsa_user_sgpr_dispatch_id 0
		.amdhsa_user_sgpr_private_segment_size 0
		.amdhsa_wavefront_size32 1
		.amdhsa_uses_dynamic_stack 0
		.amdhsa_enable_private_segment 0
		.amdhsa_system_sgpr_workgroup_id_x 1
		.amdhsa_system_sgpr_workgroup_id_y 0
		.amdhsa_system_sgpr_workgroup_id_z 0
		.amdhsa_system_sgpr_workgroup_info 0
		.amdhsa_system_vgpr_workitem_id 0
		.amdhsa_next_free_vgpr 1
		.amdhsa_next_free_sgpr 1
		.amdhsa_reserve_vcc 0
		.amdhsa_float_round_mode_32 0
		.amdhsa_float_round_mode_16_64 0
		.amdhsa_float_denorm_mode_32 3
		.amdhsa_float_denorm_mode_16_64 3
		.amdhsa_fp16_overflow 0
		.amdhsa_workgroup_processor_mode 1
		.amdhsa_memory_ordered 1
		.amdhsa_forward_progress 1
		.amdhsa_inst_pref_size 0
		.amdhsa_round_robin_scheduling 0
		.amdhsa_exception_fp_ieee_invalid_op 0
		.amdhsa_exception_fp_denorm_src 0
		.amdhsa_exception_fp_ieee_div_zero 0
		.amdhsa_exception_fp_ieee_overflow 0
		.amdhsa_exception_fp_ieee_underflow 0
		.amdhsa_exception_fp_ieee_inexact 0
		.amdhsa_exception_int_div_zero 0
	.end_amdhsa_kernel
	.section	.text._ZN7rocprim17ROCPRIM_400000_NS6detail17trampoline_kernelINS0_14default_configENS1_36segmented_radix_sort_config_selectorIdlEEZNS1_25segmented_radix_sort_implIS3_Lb0EPKdPdPKlPlN2at6native12_GLOBAL__N_18offset_tEEE10hipError_tPvRmT1_PNSt15iterator_traitsISK_E10value_typeET2_T3_PNSL_ISQ_E10value_typeET4_jRbjT5_SW_jjP12ihipStream_tbEUlT_E1_NS1_11comp_targetILNS1_3genE2ELNS1_11target_archE906ELNS1_3gpuE6ELNS1_3repE0EEENS1_59segmented_radix_sort_warp_sort_small_config_static_selectorELNS0_4arch9wavefront6targetE0EEEvSK_,"axG",@progbits,_ZN7rocprim17ROCPRIM_400000_NS6detail17trampoline_kernelINS0_14default_configENS1_36segmented_radix_sort_config_selectorIdlEEZNS1_25segmented_radix_sort_implIS3_Lb0EPKdPdPKlPlN2at6native12_GLOBAL__N_18offset_tEEE10hipError_tPvRmT1_PNSt15iterator_traitsISK_E10value_typeET2_T3_PNSL_ISQ_E10value_typeET4_jRbjT5_SW_jjP12ihipStream_tbEUlT_E1_NS1_11comp_targetILNS1_3genE2ELNS1_11target_archE906ELNS1_3gpuE6ELNS1_3repE0EEENS1_59segmented_radix_sort_warp_sort_small_config_static_selectorELNS0_4arch9wavefront6targetE0EEEvSK_,comdat
.Lfunc_end1245:
	.size	_ZN7rocprim17ROCPRIM_400000_NS6detail17trampoline_kernelINS0_14default_configENS1_36segmented_radix_sort_config_selectorIdlEEZNS1_25segmented_radix_sort_implIS3_Lb0EPKdPdPKlPlN2at6native12_GLOBAL__N_18offset_tEEE10hipError_tPvRmT1_PNSt15iterator_traitsISK_E10value_typeET2_T3_PNSL_ISQ_E10value_typeET4_jRbjT5_SW_jjP12ihipStream_tbEUlT_E1_NS1_11comp_targetILNS1_3genE2ELNS1_11target_archE906ELNS1_3gpuE6ELNS1_3repE0EEENS1_59segmented_radix_sort_warp_sort_small_config_static_selectorELNS0_4arch9wavefront6targetE0EEEvSK_, .Lfunc_end1245-_ZN7rocprim17ROCPRIM_400000_NS6detail17trampoline_kernelINS0_14default_configENS1_36segmented_radix_sort_config_selectorIdlEEZNS1_25segmented_radix_sort_implIS3_Lb0EPKdPdPKlPlN2at6native12_GLOBAL__N_18offset_tEEE10hipError_tPvRmT1_PNSt15iterator_traitsISK_E10value_typeET2_T3_PNSL_ISQ_E10value_typeET4_jRbjT5_SW_jjP12ihipStream_tbEUlT_E1_NS1_11comp_targetILNS1_3genE2ELNS1_11target_archE906ELNS1_3gpuE6ELNS1_3repE0EEENS1_59segmented_radix_sort_warp_sort_small_config_static_selectorELNS0_4arch9wavefront6targetE0EEEvSK_
                                        ; -- End function
	.set _ZN7rocprim17ROCPRIM_400000_NS6detail17trampoline_kernelINS0_14default_configENS1_36segmented_radix_sort_config_selectorIdlEEZNS1_25segmented_radix_sort_implIS3_Lb0EPKdPdPKlPlN2at6native12_GLOBAL__N_18offset_tEEE10hipError_tPvRmT1_PNSt15iterator_traitsISK_E10value_typeET2_T3_PNSL_ISQ_E10value_typeET4_jRbjT5_SW_jjP12ihipStream_tbEUlT_E1_NS1_11comp_targetILNS1_3genE2ELNS1_11target_archE906ELNS1_3gpuE6ELNS1_3repE0EEENS1_59segmented_radix_sort_warp_sort_small_config_static_selectorELNS0_4arch9wavefront6targetE0EEEvSK_.num_vgpr, 0
	.set _ZN7rocprim17ROCPRIM_400000_NS6detail17trampoline_kernelINS0_14default_configENS1_36segmented_radix_sort_config_selectorIdlEEZNS1_25segmented_radix_sort_implIS3_Lb0EPKdPdPKlPlN2at6native12_GLOBAL__N_18offset_tEEE10hipError_tPvRmT1_PNSt15iterator_traitsISK_E10value_typeET2_T3_PNSL_ISQ_E10value_typeET4_jRbjT5_SW_jjP12ihipStream_tbEUlT_E1_NS1_11comp_targetILNS1_3genE2ELNS1_11target_archE906ELNS1_3gpuE6ELNS1_3repE0EEENS1_59segmented_radix_sort_warp_sort_small_config_static_selectorELNS0_4arch9wavefront6targetE0EEEvSK_.num_agpr, 0
	.set _ZN7rocprim17ROCPRIM_400000_NS6detail17trampoline_kernelINS0_14default_configENS1_36segmented_radix_sort_config_selectorIdlEEZNS1_25segmented_radix_sort_implIS3_Lb0EPKdPdPKlPlN2at6native12_GLOBAL__N_18offset_tEEE10hipError_tPvRmT1_PNSt15iterator_traitsISK_E10value_typeET2_T3_PNSL_ISQ_E10value_typeET4_jRbjT5_SW_jjP12ihipStream_tbEUlT_E1_NS1_11comp_targetILNS1_3genE2ELNS1_11target_archE906ELNS1_3gpuE6ELNS1_3repE0EEENS1_59segmented_radix_sort_warp_sort_small_config_static_selectorELNS0_4arch9wavefront6targetE0EEEvSK_.numbered_sgpr, 0
	.set _ZN7rocprim17ROCPRIM_400000_NS6detail17trampoline_kernelINS0_14default_configENS1_36segmented_radix_sort_config_selectorIdlEEZNS1_25segmented_radix_sort_implIS3_Lb0EPKdPdPKlPlN2at6native12_GLOBAL__N_18offset_tEEE10hipError_tPvRmT1_PNSt15iterator_traitsISK_E10value_typeET2_T3_PNSL_ISQ_E10value_typeET4_jRbjT5_SW_jjP12ihipStream_tbEUlT_E1_NS1_11comp_targetILNS1_3genE2ELNS1_11target_archE906ELNS1_3gpuE6ELNS1_3repE0EEENS1_59segmented_radix_sort_warp_sort_small_config_static_selectorELNS0_4arch9wavefront6targetE0EEEvSK_.num_named_barrier, 0
	.set _ZN7rocprim17ROCPRIM_400000_NS6detail17trampoline_kernelINS0_14default_configENS1_36segmented_radix_sort_config_selectorIdlEEZNS1_25segmented_radix_sort_implIS3_Lb0EPKdPdPKlPlN2at6native12_GLOBAL__N_18offset_tEEE10hipError_tPvRmT1_PNSt15iterator_traitsISK_E10value_typeET2_T3_PNSL_ISQ_E10value_typeET4_jRbjT5_SW_jjP12ihipStream_tbEUlT_E1_NS1_11comp_targetILNS1_3genE2ELNS1_11target_archE906ELNS1_3gpuE6ELNS1_3repE0EEENS1_59segmented_radix_sort_warp_sort_small_config_static_selectorELNS0_4arch9wavefront6targetE0EEEvSK_.private_seg_size, 0
	.set _ZN7rocprim17ROCPRIM_400000_NS6detail17trampoline_kernelINS0_14default_configENS1_36segmented_radix_sort_config_selectorIdlEEZNS1_25segmented_radix_sort_implIS3_Lb0EPKdPdPKlPlN2at6native12_GLOBAL__N_18offset_tEEE10hipError_tPvRmT1_PNSt15iterator_traitsISK_E10value_typeET2_T3_PNSL_ISQ_E10value_typeET4_jRbjT5_SW_jjP12ihipStream_tbEUlT_E1_NS1_11comp_targetILNS1_3genE2ELNS1_11target_archE906ELNS1_3gpuE6ELNS1_3repE0EEENS1_59segmented_radix_sort_warp_sort_small_config_static_selectorELNS0_4arch9wavefront6targetE0EEEvSK_.uses_vcc, 0
	.set _ZN7rocprim17ROCPRIM_400000_NS6detail17trampoline_kernelINS0_14default_configENS1_36segmented_radix_sort_config_selectorIdlEEZNS1_25segmented_radix_sort_implIS3_Lb0EPKdPdPKlPlN2at6native12_GLOBAL__N_18offset_tEEE10hipError_tPvRmT1_PNSt15iterator_traitsISK_E10value_typeET2_T3_PNSL_ISQ_E10value_typeET4_jRbjT5_SW_jjP12ihipStream_tbEUlT_E1_NS1_11comp_targetILNS1_3genE2ELNS1_11target_archE906ELNS1_3gpuE6ELNS1_3repE0EEENS1_59segmented_radix_sort_warp_sort_small_config_static_selectorELNS0_4arch9wavefront6targetE0EEEvSK_.uses_flat_scratch, 0
	.set _ZN7rocprim17ROCPRIM_400000_NS6detail17trampoline_kernelINS0_14default_configENS1_36segmented_radix_sort_config_selectorIdlEEZNS1_25segmented_radix_sort_implIS3_Lb0EPKdPdPKlPlN2at6native12_GLOBAL__N_18offset_tEEE10hipError_tPvRmT1_PNSt15iterator_traitsISK_E10value_typeET2_T3_PNSL_ISQ_E10value_typeET4_jRbjT5_SW_jjP12ihipStream_tbEUlT_E1_NS1_11comp_targetILNS1_3genE2ELNS1_11target_archE906ELNS1_3gpuE6ELNS1_3repE0EEENS1_59segmented_radix_sort_warp_sort_small_config_static_selectorELNS0_4arch9wavefront6targetE0EEEvSK_.has_dyn_sized_stack, 0
	.set _ZN7rocprim17ROCPRIM_400000_NS6detail17trampoline_kernelINS0_14default_configENS1_36segmented_radix_sort_config_selectorIdlEEZNS1_25segmented_radix_sort_implIS3_Lb0EPKdPdPKlPlN2at6native12_GLOBAL__N_18offset_tEEE10hipError_tPvRmT1_PNSt15iterator_traitsISK_E10value_typeET2_T3_PNSL_ISQ_E10value_typeET4_jRbjT5_SW_jjP12ihipStream_tbEUlT_E1_NS1_11comp_targetILNS1_3genE2ELNS1_11target_archE906ELNS1_3gpuE6ELNS1_3repE0EEENS1_59segmented_radix_sort_warp_sort_small_config_static_selectorELNS0_4arch9wavefront6targetE0EEEvSK_.has_recursion, 0
	.set _ZN7rocprim17ROCPRIM_400000_NS6detail17trampoline_kernelINS0_14default_configENS1_36segmented_radix_sort_config_selectorIdlEEZNS1_25segmented_radix_sort_implIS3_Lb0EPKdPdPKlPlN2at6native12_GLOBAL__N_18offset_tEEE10hipError_tPvRmT1_PNSt15iterator_traitsISK_E10value_typeET2_T3_PNSL_ISQ_E10value_typeET4_jRbjT5_SW_jjP12ihipStream_tbEUlT_E1_NS1_11comp_targetILNS1_3genE2ELNS1_11target_archE906ELNS1_3gpuE6ELNS1_3repE0EEENS1_59segmented_radix_sort_warp_sort_small_config_static_selectorELNS0_4arch9wavefront6targetE0EEEvSK_.has_indirect_call, 0
	.section	.AMDGPU.csdata,"",@progbits
; Kernel info:
; codeLenInByte = 0
; TotalNumSgprs: 0
; NumVgprs: 0
; ScratchSize: 0
; MemoryBound: 0
; FloatMode: 240
; IeeeMode: 1
; LDSByteSize: 0 bytes/workgroup (compile time only)
; SGPRBlocks: 0
; VGPRBlocks: 0
; NumSGPRsForWavesPerEU: 1
; NumVGPRsForWavesPerEU: 1
; Occupancy: 16
; WaveLimiterHint : 0
; COMPUTE_PGM_RSRC2:SCRATCH_EN: 0
; COMPUTE_PGM_RSRC2:USER_SGPR: 2
; COMPUTE_PGM_RSRC2:TRAP_HANDLER: 0
; COMPUTE_PGM_RSRC2:TGID_X_EN: 1
; COMPUTE_PGM_RSRC2:TGID_Y_EN: 0
; COMPUTE_PGM_RSRC2:TGID_Z_EN: 0
; COMPUTE_PGM_RSRC2:TIDIG_COMP_CNT: 0
	.text
	.p2align	2                               ; -- Begin function _ZN7rocprim17ROCPRIM_400000_NS6detail26segmented_warp_sort_helperINS1_20WarpSortHelperConfigILj8ELj4ELj256EEEdlLi256ELb0EvE4sortIPKdPdPKlPlEEvT_S9_T0_T1_SC_T2_bjjjjRNS5_12storage_typeE
	.type	_ZN7rocprim17ROCPRIM_400000_NS6detail26segmented_warp_sort_helperINS1_20WarpSortHelperConfigILj8ELj4ELj256EEEdlLi256ELb0EvE4sortIPKdPdPKlPlEEvT_S9_T0_T1_SC_T2_bjjjjRNS5_12storage_typeE,@function
_ZN7rocprim17ROCPRIM_400000_NS6detail26segmented_warp_sort_helperINS1_20WarpSortHelperConfigILj8ELj4ELj256EEEdlLi256ELb0EvE4sortIPKdPdPKlPlEEvT_S9_T0_T1_SC_T2_bjjjjRNS5_12storage_typeE: ; @_ZN7rocprim17ROCPRIM_400000_NS6detail26segmented_warp_sort_helperINS1_20WarpSortHelperConfigILj8ELj4ELj256EEEdlLi256ELb0EvE4sortIPKdPdPKlPlEEvT_S9_T0_T1_SC_T2_bjjjjRNS5_12storage_typeE
; %bb.0:
	s_wait_loadcnt_dscnt 0x0
	s_wait_expcnt 0x0
	s_wait_samplecnt 0x0
	s_wait_bvhcnt 0x0
	s_wait_kmcnt 0x0
	v_mov_b32_e32 v16, v14
	v_mbcnt_lo_u32_b32 v14, -1, 0
	v_and_b32_e32 v12, 1, v12
	s_mov_b32 s5, 0
	s_mov_b32 s1, exec_lo
	s_delay_alu instid0(VALU_DEP_2) | instskip(NEXT) | instid1(VALU_DEP_1)
	v_lshlrev_b32_e32 v54, 2, v14
	v_dual_mov_b32 v14, 0 :: v_dual_and_b32 v53, 28, v54
	s_delay_alu instid0(VALU_DEP_1) | instskip(SKIP_1) | instid1(VALU_DEP_3)
	v_lshlrev_b64_e32 v[48:49], 3, v[13:14]
	v_sub_nc_u32_e32 v14, v16, v13
                                        ; implicit-def: $vgpr16_vgpr17_vgpr18_vgpr19_vgpr20_vgpr21_vgpr22_vgpr23
	v_lshlrev_b32_e32 v52, 3, v53
	s_delay_alu instid0(VALU_DEP_3) | instskip(SKIP_1) | instid1(VALU_DEP_4)
	v_add_co_u32 v0, vcc_lo, v0, v48
	s_wait_alu 0xfffd
	v_add_co_ci_u32_e64 v1, null, v1, v49, vcc_lo
	s_delay_alu instid0(VALU_DEP_2) | instskip(SKIP_1) | instid1(VALU_DEP_2)
	v_add_co_u32 v24, vcc_lo, v0, v52
	s_wait_alu 0xfffd
	v_add_co_ci_u32_e64 v25, null, 0, v1, vcc_lo
	v_cmp_lt_u32_e32 vcc_lo, v53, v14
	v_cmpx_ne_u32_e32 1, v12
	s_wait_alu 0xfffe
	s_xor_b32 s6, exec_lo, s1
	s_cbranch_execnz .LBB1246_4
; %bb.1:
	s_wait_alu 0xfffe
	s_and_not1_saveexec_b32 s6, s6
	s_cbranch_execnz .LBB1246_111
.LBB1246_2:
	s_wait_alu 0xfffe
	s_or_b32 exec_lo, exec_lo, s6
	s_and_saveexec_b32 s0, s5
	s_cbranch_execnz .LBB1246_218
.LBB1246_3:
	s_wait_alu 0xfffe
	s_or_b32 exec_lo, exec_lo, s0
	s_wait_loadcnt_dscnt 0x0
	s_wait_alu 0xfffd
	s_setpc_b64 s[30:31]
.LBB1246_4:
	v_mov_b32_e32 v4, -1
	v_bfrev_b32_e32 v5, -2
	s_delay_alu instid0(VALU_DEP_1)
	v_dual_mov_b32 v11, v5 :: v_dual_mov_b32 v10, v4
	s_and_saveexec_b32 s0, vcc_lo
	s_cbranch_execz .LBB1246_6
; %bb.5:
	flat_load_b64 v[10:11], v[24:25]
.LBB1246_6:
	s_wait_alu 0xfffe
	s_or_b32 exec_lo, exec_lo, s0
	v_or_b32_e32 v0, 1, v53
	s_delay_alu instid0(VALU_DEP_1)
	v_cmp_lt_u32_e64 s0, v0, v14
	s_and_saveexec_b32 s1, s0
	s_cbranch_execz .LBB1246_8
; %bb.7:
	flat_load_b64 v[4:5], v[24:25] offset:8
.LBB1246_8:
	s_wait_alu 0xfffe
	s_or_b32 exec_lo, exec_lo, s1
	v_or_b32_e32 v12, 2, v53
	v_mov_b32_e32 v0, -1
	v_bfrev_b32_e32 v1, -2
	s_delay_alu instid0(VALU_DEP_3) | instskip(NEXT) | instid1(VALU_DEP_2)
	v_cmp_lt_u32_e64 s1, v12, v14
	v_dual_mov_b32 v13, v1 :: v_dual_mov_b32 v12, v0
	s_and_saveexec_b32 s2, s1
	s_cbranch_execz .LBB1246_10
; %bb.9:
	flat_load_b64 v[12:13], v[24:25] offset:16
.LBB1246_10:
	s_wait_alu 0xfffe
	s_or_b32 exec_lo, exec_lo, s2
	v_or_b32_e32 v16, 3, v53
	s_delay_alu instid0(VALU_DEP_1)
	v_cmp_lt_u32_e64 s2, v16, v14
	s_and_saveexec_b32 s3, s2
	s_cbranch_execz .LBB1246_12
; %bb.11:
	flat_load_b64 v[0:1], v[24:25] offset:24
.LBB1246_12:
	s_wait_alu 0xfffe
	s_or_b32 exec_lo, exec_lo, s3
	v_add_co_u32 v6, s3, v6, v48
	s_wait_alu 0xf1ff
	v_add_co_ci_u32_e64 v7, null, v7, v49, s3
	v_mov_b32_e32 v16, 0
	s_delay_alu instid0(VALU_DEP_3) | instskip(SKIP_1) | instid1(VALU_DEP_3)
	v_add_co_u32 v6, s3, v6, v52
	s_wait_alu 0xf1ff
	v_add_co_ci_u32_e64 v7, null, 0, v7, s3
	s_delay_alu instid0(VALU_DEP_3)
	v_dual_mov_b32 v17, v16 :: v_dual_mov_b32 v18, v16
	v_dual_mov_b32 v19, v16 :: v_dual_mov_b32 v20, v16
	;; [unrolled: 1-line block ×3, first 2 shown]
	v_mov_b32_e32 v23, v16
	; wave barrier
	s_and_saveexec_b32 s3, vcc_lo
	s_cbranch_execnz .LBB1246_219
; %bb.13:
	s_wait_alu 0xfffe
	s_or_b32 exec_lo, exec_lo, s3
	s_and_saveexec_b32 s3, s0
	s_cbranch_execnz .LBB1246_220
.LBB1246_14:
	s_wait_alu 0xfffe
	s_or_b32 exec_lo, exec_lo, s3
	s_and_saveexec_b32 s3, s1
	s_cbranch_execnz .LBB1246_221
.LBB1246_15:
	s_wait_alu 0xfffe
	s_or_b32 exec_lo, exec_lo, s3
	s_and_saveexec_b32 s3, s2
	s_cbranch_execz .LBB1246_17
.LBB1246_16:
	flat_load_b64 v[22:23], v[6:7] offset:24
.LBB1246_17:
	s_wait_alu 0xfffe
	s_or_b32 exec_lo, exec_lo, s3
	; wave barrier
	s_load_b64 s[4:5], s[8:9], 0x0
	s_and_b32 s3, ttmp7, 0xffff
	s_mov_b32 s11, 0
	v_bfe_u32 v6, v31, 10, 10
	v_bfe_u32 v7, v31, 20, 10
	s_wait_kmcnt 0x0
	s_wait_alu 0xfffe
	s_cmp_lt_u32 s3, s5
	s_cselect_b32 s10, 14, 20
	s_cmp_lt_u32 ttmp9, s4
	s_wait_alu 0xfffe
	s_add_nc_u64 s[12:13], s[8:9], s[10:11]
	s_cselect_b32 s10, 12, 18
	s_load_u16 s3, s[12:13], 0x0
	s_add_nc_u64 s[4:5], s[8:9], s[10:11]
	s_load_u16 s4, s[4:5], 0x0
	s_mov_b32 s5, exec_lo
	s_wait_kmcnt 0x0
	v_mad_u32_u24 v6, v7, s3, v6
	v_and_b32_e32 v7, 0x3ff, v31
	s_delay_alu instid0(VALU_DEP_2) | instskip(NEXT) | instid1(VALU_DEP_1)
	v_mul_lo_u32 v6, v6, s4
	v_add_lshl_u32 v14, v6, v7, 2
	s_delay_alu instid0(VALU_DEP_1)
	v_cmpx_gt_u32_e32 0x400, v14
	s_cbranch_execz .LBB1246_29
; %bb.18:
	s_wait_loadcnt_dscnt 0x0
	v_add_f64_e32 v[6:7], 0, v[10:11]
	v_add_f64_e32 v[24:25], 0, v[4:5]
	;; [unrolled: 1-line block ×4, first 2 shown]
	s_mov_b32 s7, exec_lo
	s_delay_alu instid0(VALU_DEP_4) | instskip(NEXT) | instid1(VALU_DEP_4)
	v_ashrrev_i32_e32 v30, 31, v7
	v_ashrrev_i32_e32 v31, 31, v25
	s_delay_alu instid0(VALU_DEP_4) | instskip(NEXT) | instid1(VALU_DEP_4)
	v_ashrrev_i32_e32 v32, 31, v27
	v_ashrrev_i32_e32 v33, 31, v29
	s_delay_alu instid0(VALU_DEP_4)
	v_or_b32_e32 v34, 0x80000000, v30
	v_xor_b32_e32 v6, v30, v6
	v_or_b32_e32 v30, 0x80000000, v31
	v_xor_b32_e32 v24, v31, v24
	;; [unrolled: 2-line block ×4, first 2 shown]
	v_xor_b32_e32 v50, v32, v26
	v_xor_b32_e32 v30, v33, v28
	;; [unrolled: 1-line block ×4, first 2 shown]
	v_cmp_gt_u64_e64 s3, v[6:7], v[24:25]
	v_dual_mov_b32 v6, v12 :: v_dual_mov_b32 v7, v13
	v_dual_mov_b32 v29, v21 :: v_dual_mov_b32 v28, v20
	s_wait_alu 0xf1ff
	s_delay_alu instid0(VALU_DEP_3)
	v_cndmask_b32_e64 v27, v19, v17, s3
	v_cndmask_b32_e64 v26, v18, v16, s3
	;; [unrolled: 1-line block ×4, first 2 shown]
	v_cmpx_gt_u64_e64 v[50:51], v[30:31]
; %bb.19:
	v_dual_mov_b32 v7, v1 :: v_dual_mov_b32 v6, v0
	v_dual_mov_b32 v0, v12 :: v_dual_mov_b32 v1, v13
	;; [unrolled: 1-line block ×5, first 2 shown]
; %bb.20:
	s_wait_alu 0xfffe
	s_or_b32 exec_lo, exec_lo, s7
	v_cndmask_b32_e64 v19, v5, v11, s3
	v_cndmask_b32_e64 v18, v4, v10, s3
	v_mov_b32_e32 v30, v22
	v_mov_b32_e32 v39, v31
	v_dual_mov_b32 v33, v25 :: v_dual_mov_b32 v32, v24
	s_delay_alu instid0(VALU_DEP_4) | instskip(NEXT) | instid1(VALU_DEP_4)
	v_add_f64_e32 v[12:13], 0, v[18:19]
	v_dual_mov_b32 v38, v30 :: v_dual_mov_b32 v37, v29
	v_dual_mov_b32 v36, v28 :: v_dual_mov_b32 v35, v27
	v_mov_b32_e32 v34, v26
	s_delay_alu instid0(VALU_DEP_4) | instskip(NEXT) | instid1(VALU_DEP_1)
	v_ashrrev_i32_e32 v16, 31, v13
	v_or_b32_e32 v17, 0x80000000, v16
	v_xor_b32_e32 v16, v16, v12
	s_delay_alu instid0(VALU_DEP_2) | instskip(NEXT) | instid1(VALU_DEP_1)
	v_xor_b32_e32 v17, v17, v13
                                        ; implicit-def: $vgpr12_vgpr13
	v_cmp_le_u64_e64 s4, v[16:17], v[50:51]
	s_and_saveexec_b32 s7, s4
	s_wait_alu 0xfffe
	s_xor_b32 s4, exec_lo, s7
	s_cbranch_execz .LBB1246_22
; %bb.21:
	v_add_f64_e32 v[12:13], 0, v[6:7]
                                        ; implicit-def: $vgpr32_vgpr33_vgpr34_vgpr35_vgpr36_vgpr37_vgpr38_vgpr39
                                        ; implicit-def: $vgpr50_vgpr51
	s_delay_alu instid0(VALU_DEP_1) | instskip(NEXT) | instid1(VALU_DEP_1)
	v_ashrrev_i32_e32 v20, 31, v13
	v_or_b32_e32 v21, 0x80000000, v20
	s_delay_alu instid0(VALU_DEP_3) | instskip(NEXT) | instid1(VALU_DEP_2)
	v_xor_b32_e32 v12, v20, v12
	v_xor_b32_e32 v13, v21, v13
.LBB1246_22:
	s_wait_alu 0xfffe
	s_or_saveexec_b32 s4, s4
	v_mov_b32_e32 v35, v19
	v_dual_mov_b32 v31, v23 :: v_dual_mov_b32 v34, v18
	s_wait_alu 0xfffe
	s_xor_b32 exec_lo, exec_lo, s4
	s_cbranch_execz .LBB1246_24
; %bb.23:
	v_dual_mov_b32 v34, v28 :: v_dual_mov_b32 v35, v29
	v_dual_mov_b32 v36, v26 :: v_dual_mov_b32 v37, v27
	;; [unrolled: 1-line block ×4, first 2 shown]
	s_delay_alu instid0(VALU_DEP_4) | instskip(NEXT) | instid1(VALU_DEP_4)
	v_dual_mov_b32 v26, v34 :: v_dual_mov_b32 v27, v35
	v_dual_mov_b32 v28, v36 :: v_dual_mov_b32 v29, v37
	s_delay_alu instid0(VALU_DEP_4)
	v_dual_mov_b32 v30, v38 :: v_dual_mov_b32 v31, v39
	v_dual_mov_b32 v12, v16 :: v_dual_mov_b32 v13, v17
	;; [unrolled: 1-line block ×5, first 2 shown]
.LBB1246_24:
	s_or_b32 exec_lo, exec_lo, s4
	v_cndmask_b32_e64 v11, v11, v5, s3
	v_cndmask_b32_e64 v10, v10, v4, s3
	v_add_f64_e32 v[18:19], 0, v[0:1]
	s_mov_b32 s7, exec_lo
	s_delay_alu instid0(VALU_DEP_2) | instskip(NEXT) | instid1(VALU_DEP_2)
	v_add_f64_e32 v[4:5], 0, v[10:11]
	v_ashrrev_i32_e32 v23, 31, v19
	s_delay_alu instid0(VALU_DEP_2) | instskip(NEXT) | instid1(VALU_DEP_2)
	v_ashrrev_i32_e32 v20, 31, v5
	v_or_b32_e32 v32, 0x80000000, v23
	s_delay_alu instid0(VALU_DEP_2)
	v_or_b32_e32 v22, 0x80000000, v20
	v_xor_b32_e32 v21, v20, v4
	v_mov_b32_e32 v20, v28
	v_xor_b32_e32 v4, v23, v18
	v_mov_b32_e32 v23, v31
	v_xor_b32_e32 v22, v22, v5
	v_xor_b32_e32 v5, v32, v19
	s_delay_alu instid0(VALU_DEP_2) | instskip(SKIP_2) | instid1(VALU_DEP_2)
	v_cmp_gt_u64_e64 s3, v[21:22], v[16:17]
	v_dual_mov_b32 v21, v29 :: v_dual_mov_b32 v22, v30
	s_wait_alu 0xf1ff
	v_cndmask_b32_e64 v19, v27, v25, s3
	v_cndmask_b32_e64 v18, v26, v24, s3
	;; [unrolled: 1-line block ×4, first 2 shown]
	v_dual_mov_b32 v25, v7 :: v_dual_mov_b32 v24, v6
	v_cmpx_gt_u64_e64 v[12:13], v[4:5]
; %bb.25:
	v_dual_mov_b32 v20, v30 :: v_dual_mov_b32 v21, v31
	v_dual_mov_b32 v22, v28 :: v_dual_mov_b32 v23, v29
	;; [unrolled: 1-line block ×5, first 2 shown]
; %bb.26:
	s_wait_alu 0xfffe
	s_or_b32 exec_lo, exec_lo, s7
	v_cndmask_b32_e64 v5, v35, v11, s3
	v_cndmask_b32_e64 v4, v34, v10, s3
	v_cndmask_b32_e64 v11, v11, v35, s3
	v_cndmask_b32_e64 v10, v10, v34, s3
	s_delay_alu instid0(VALU_DEP_3) | instskip(NEXT) | instid1(VALU_DEP_1)
	v_add_f64_e32 v[6:7], 0, v[4:5]
	v_ashrrev_i32_e32 v26, 31, v7
	s_delay_alu instid0(VALU_DEP_1) | instskip(NEXT) | instid1(VALU_DEP_3)
	v_or_b32_e32 v27, 0x80000000, v26
	v_xor_b32_e32 v6, v26, v6
	s_delay_alu instid0(VALU_DEP_2) | instskip(NEXT) | instid1(VALU_DEP_1)
	v_xor_b32_e32 v7, v27, v7
	v_cmp_gt_u64_e64 s3, v[6:7], v[12:13]
	v_dual_mov_b32 v12, v24 :: v_dual_mov_b32 v13, v25
	s_and_saveexec_b32 s4, s3
	s_cbranch_execz .LBB1246_28
; %bb.27:
	v_dual_mov_b32 v26, v16 :: v_dual_mov_b32 v27, v17
	v_dual_mov_b32 v28, v20 :: v_dual_mov_b32 v29, v21
	;; [unrolled: 1-line block ×4, first 2 shown]
	s_delay_alu instid0(VALU_DEP_4) | instskip(NEXT) | instid1(VALU_DEP_4)
	v_dual_mov_b32 v16, v26 :: v_dual_mov_b32 v17, v27
	v_dual_mov_b32 v18, v28 :: v_dual_mov_b32 v19, v29
	s_delay_alu instid0(VALU_DEP_4) | instskip(NEXT) | instid1(VALU_DEP_4)
	v_dual_mov_b32 v20, v30 :: v_dual_mov_b32 v21, v31
	v_dual_mov_b32 v22, v32 :: v_dual_mov_b32 v23, v33
	;; [unrolled: 1-line block ×4, first 2 shown]
.LBB1246_28:
	s_wait_alu 0xfffe
	s_or_b32 exec_lo, exec_lo, s4
.LBB1246_29:
	s_wait_alu 0xfffe
	s_or_b32 exec_lo, exec_lo, s5
	v_dual_mov_b32 v7, 0 :: v_dual_and_b32 v6, 0xffffff80, v14
	v_or_b32_e32 v14, 4, v54
	s_mov_b32 s4, exec_lo
	s_delay_alu instid0(VALU_DEP_2) | instskip(NEXT) | instid1(VALU_DEP_3)
	v_sub_nc_u32_e64 v29, 0x400, v6 clamp
	v_lshlrev_b64_e32 v[6:7], 3, v[6:7]
	s_delay_alu instid0(VALU_DEP_2) | instskip(SKIP_1) | instid1(VALU_DEP_3)
	v_min_u32_e32 v38, v29, v14
	v_and_b32_e32 v14, 4, v54
	v_add_co_u32 v28, null, v15, v6
	v_and_b32_e32 v6, 0x78, v54
	s_delay_alu instid0(VALU_DEP_4) | instskip(NEXT) | instid1(VALU_DEP_3)
	v_add_nc_u32_e32 v7, 4, v38
	v_lshl_add_u32 v30, v54, 3, v28
	s_delay_alu instid0(VALU_DEP_3) | instskip(NEXT) | instid1(VALU_DEP_3)
	v_sub_nc_u32_e32 v24, v38, v6
	v_min_u32_e32 v39, v29, v7
	v_min_u32_e32 v7, v29, v14
	s_delay_alu instid0(VALU_DEP_4)
	v_add_nc_u32_e32 v25, 0x2000, v30
	s_wait_loadcnt_dscnt 0x0
	ds_store_2addr_b64 v30, v[10:11], v[4:5] offset1:1
	ds_store_2addr_b64 v25, v[16:17], v[18:19] offset1:1
	ds_store_2addr_b64 v30, v[12:13], v[0:1] offset0:2 offset1:3
	ds_store_2addr_b64 v25, v[20:21], v[22:23] offset0:2 offset1:3
	v_sub_nc_u32_e32 v14, v39, v38
	; wave barrier
	s_delay_alu instid0(VALU_DEP_1) | instskip(SKIP_1) | instid1(VALU_DEP_1)
	v_sub_nc_u32_e64 v15, v7, v14 clamp
	v_min_u32_e32 v14, v7, v24
	v_cmpx_lt_u32_e64 v15, v14
	s_cbranch_execz .LBB1246_33
; %bb.30:
	v_lshlrev_b32_e32 v24, 3, v6
	v_lshlrev_b32_e32 v25, 3, v38
	s_mov_b32 s5, 0
	s_delay_alu instid0(VALU_DEP_2) | instskip(NEXT) | instid1(VALU_DEP_2)
	v_add_co_u32 v24, null, v28, v24
	v_add_co_u32 v25, null, v28, v25
.LBB1246_31:                            ; =>This Inner Loop Header: Depth=1
	v_add_nc_u32_e32 v26, v14, v15
	s_delay_alu instid0(VALU_DEP_1) | instskip(NEXT) | instid1(VALU_DEP_1)
	v_lshrrev_b32_e32 v33, 1, v26
	v_xad_u32 v26, v33, -1, v7
	v_lshl_add_u32 v27, v33, 3, v24
	s_delay_alu instid0(VALU_DEP_2)
	v_lshl_add_u32 v31, v26, 3, v25
	ds_load_b64 v[26:27], v27
	ds_load_b64 v[31:32], v31
	s_wait_dscnt 0x1
	v_add_f64_e32 v[26:27], 0, v[26:27]
	s_wait_dscnt 0x0
	v_add_f64_e32 v[31:32], 0, v[31:32]
	s_delay_alu instid0(VALU_DEP_2) | instskip(NEXT) | instid1(VALU_DEP_2)
	v_ashrrev_i32_e32 v34, 31, v27
	v_ashrrev_i32_e32 v35, 31, v32
	s_delay_alu instid0(VALU_DEP_2) | instskip(NEXT) | instid1(VALU_DEP_2)
	v_or_b32_e32 v36, 0x80000000, v34
	v_or_b32_e32 v37, 0x80000000, v35
	v_xor_b32_e32 v26, v34, v26
	v_xor_b32_e32 v31, v35, v31
	s_delay_alu instid0(VALU_DEP_4) | instskip(NEXT) | instid1(VALU_DEP_4)
	v_xor_b32_e32 v27, v36, v27
	v_xor_b32_e32 v32, v37, v32
	s_delay_alu instid0(VALU_DEP_1) | instskip(SKIP_2) | instid1(VALU_DEP_2)
	v_cmp_gt_u64_e64 s3, v[26:27], v[31:32]
	v_add_nc_u32_e32 v26, 1, v33
	s_wait_alu 0xf1ff
	v_cndmask_b32_e64 v14, v14, v33, s3
	s_delay_alu instid0(VALU_DEP_2) | instskip(NEXT) | instid1(VALU_DEP_1)
	v_cndmask_b32_e64 v15, v26, v15, s3
	v_cmp_ge_u32_e64 s3, v15, v14
	s_wait_alu 0xfffe
	s_or_b32 s5, s3, s5
	s_wait_alu 0xfffe
	s_and_not1_b32 exec_lo, exec_lo, s5
	s_cbranch_execnz .LBB1246_31
; %bb.32:
	s_or_b32 exec_lo, exec_lo, s5
.LBB1246_33:
	s_wait_alu 0xfffe
	s_or_b32 exec_lo, exec_lo, s4
	v_add_nc_u32_e32 v7, v38, v7
	v_add_nc_u32_e32 v14, v15, v6
	v_add_nc_u32_e32 v35, 0x2000, v30
	v_add_nc_u32_e32 v31, 8, v30
	v_add_nc_u32_e32 v32, 0x2008, v30
	v_sub_nc_u32_e32 v15, v7, v15
	v_cmp_le_u32_e64 s3, v14, v38
	v_add_nc_u32_e32 v33, 16, v30
	v_add_nc_u32_e32 v36, 0x2010, v30
	;; [unrolled: 1-line block ×3, first 2 shown]
	v_cmp_le_u32_e64 s4, v15, v39
	v_add_nc_u32_e32 v37, 0x2018, v30
	s_or_b32 s3, s3, s4
	s_wait_alu 0xfffe
	s_and_saveexec_b32 s5, s3
	s_cbranch_execz .LBB1246_53
; %bb.34:
	v_cmp_ge_u32_e64 s3, v14, v38
	s_mov_b32 s7, exec_lo
                                        ; implicit-def: $vgpr0_vgpr1
	v_cmpx_lt_u32_e64 v14, v38
; %bb.35:
	v_lshl_add_u32 v0, v14, 3, v28
	ds_load_b64 v[0:1], v0
; %bb.36:
	s_wait_alu 0xfffe
	s_or_b32 exec_lo, exec_lo, s7
	v_cmp_ge_u32_e64 s7, v15, v39
	s_mov_b32 s10, exec_lo
                                        ; implicit-def: $vgpr6_vgpr7
	v_cmpx_lt_u32_e64 v15, v39
; %bb.37:
	v_lshl_add_u32 v4, v15, 3, v28
	ds_load_b64 v[6:7], v4
; %bb.38:
	s_wait_alu 0xfffe
	s_or_b32 exec_lo, exec_lo, s10
	s_nor_b32 s3, s3, s7
	s_wait_alu 0xfffe
	s_and_saveexec_b32 s4, s3
	s_cbranch_execz .LBB1246_40
; %bb.39:
	s_wait_dscnt 0x0
	v_add_f64_e32 v[4:5], 0, v[0:1]
	v_add_f64_e32 v[10:11], 0, v[6:7]
	s_and_not1_b32 s7, s7, exec_lo
	s_delay_alu instid0(VALU_DEP_2) | instskip(NEXT) | instid1(VALU_DEP_2)
	v_ashrrev_i32_e32 v12, 31, v5
	v_ashrrev_i32_e32 v13, 31, v11
	s_delay_alu instid0(VALU_DEP_2) | instskip(NEXT) | instid1(VALU_DEP_2)
	v_or_b32_e32 v16, 0x80000000, v12
	v_or_b32_e32 v17, 0x80000000, v13
	v_xor_b32_e32 v4, v12, v4
	v_xor_b32_e32 v10, v13, v10
	s_delay_alu instid0(VALU_DEP_4) | instskip(NEXT) | instid1(VALU_DEP_4)
	v_xor_b32_e32 v5, v16, v5
	v_xor_b32_e32 v11, v17, v11
	s_delay_alu instid0(VALU_DEP_1)
	v_cmp_le_u64_e64 s3, v[4:5], v[10:11]
	s_and_b32 s3, s3, exec_lo
	s_wait_alu 0xfffe
	s_or_b32 s7, s7, s3
.LBB1246_40:
	s_wait_alu 0xfffe
	s_or_b32 exec_lo, exec_lo, s4
	v_cndmask_b32_e64 v4, v15, v14, s7
	v_cndmask_b32_e64 v5, v39, v38, s7
	s_mov_b32 s10, -1
	s_mov_b32 s4, -1
	s_mov_b32 s11, exec_lo
	v_add_nc_u32_e32 v13, 1, v4
	v_add_nc_u32_e32 v5, -1, v5
	v_lshl_add_u32 v4, v4, 3, v28
	s_delay_alu instid0(VALU_DEP_3) | instskip(NEXT) | instid1(VALU_DEP_3)
	v_cndmask_b32_e64 v12, v13, v15, s7
	v_min_u32_e32 v5, v13, v5
	ds_load_b64 v[16:17], v4 offset:8192
	v_cndmask_b32_e64 v13, v14, v13, s7
	v_lshl_add_u32 v5, v5, 3, v28
	ds_load_b64 v[10:11], v5
	s_wait_dscnt 0x0
	v_cndmask_b32_e64 v5, v11, v7, s7
	v_cndmask_b32_e64 v4, v10, v6, s7
	;; [unrolled: 1-line block ×4, first 2 shown]
	v_cmpx_lt_u32_e64 v12, v39
	s_cbranch_execz .LBB1246_44
; %bb.41:
	s_mov_b32 s12, 0
	s_mov_b32 s4, exec_lo
	v_cmpx_lt_u32_e64 v13, v38
	s_cbranch_execz .LBB1246_43
; %bb.42:
	v_add_f64_e32 v[14:15], 0, v[10:11]
	v_add_f64_e32 v[18:19], 0, v[4:5]
	s_delay_alu instid0(VALU_DEP_2) | instskip(NEXT) | instid1(VALU_DEP_2)
	v_ashrrev_i32_e32 v20, 31, v15
	v_ashrrev_i32_e32 v21, 31, v19
	s_delay_alu instid0(VALU_DEP_2) | instskip(NEXT) | instid1(VALU_DEP_2)
	v_or_b32_e32 v22, 0x80000000, v20
	v_or_b32_e32 v23, 0x80000000, v21
	v_xor_b32_e32 v14, v20, v14
	v_xor_b32_e32 v18, v21, v18
	s_delay_alu instid0(VALU_DEP_4) | instskip(NEXT) | instid1(VALU_DEP_4)
	v_xor_b32_e32 v15, v22, v15
	v_xor_b32_e32 v19, v23, v19
	s_delay_alu instid0(VALU_DEP_1)
	v_cmp_le_u64_e64 s3, v[14:15], v[18:19]
	s_and_b32 s12, s3, exec_lo
.LBB1246_43:
	s_wait_alu 0xfffe
	s_or_b32 exec_lo, exec_lo, s4
	s_delay_alu instid0(SALU_CYCLE_1)
	s_or_not1_b32 s4, s12, exec_lo
.LBB1246_44:
	s_wait_alu 0xfffe
	s_or_b32 exec_lo, exec_lo, s11
	v_cndmask_b32_e64 v18, v12, v13, s4
	v_cndmask_b32_e64 v14, v39, v38, s4
	s_mov_b32 s11, exec_lo
	s_delay_alu instid0(VALU_DEP_2) | instskip(NEXT) | instid1(VALU_DEP_2)
	v_add_nc_u32_e32 v20, 1, v18
	v_add_nc_u32_e32 v14, -1, v14
	v_lshl_add_u32 v18, v18, 3, v28
	s_delay_alu instid0(VALU_DEP_3) | instskip(NEXT) | instid1(VALU_DEP_3)
	v_cndmask_b32_e64 v22, v20, v12, s4
	v_min_u32_e32 v14, v20, v14
	ds_load_b64 v[18:19], v18 offset:8192
	v_cndmask_b32_e64 v23, v13, v20, s4
	v_lshl_add_u32 v14, v14, 3, v28
	ds_load_b64 v[14:15], v14
	s_wait_dscnt 0x0
	v_cndmask_b32_e64 v13, v15, v5, s4
	v_cndmask_b32_e64 v12, v14, v4, s4
	;; [unrolled: 1-line block ×4, first 2 shown]
	v_cmpx_lt_u32_e64 v22, v39
	s_cbranch_execz .LBB1246_48
; %bb.45:
	s_mov_b32 s12, 0
	s_mov_b32 s10, exec_lo
	v_cmpx_lt_u32_e64 v23, v38
	s_cbranch_execz .LBB1246_47
; %bb.46:
	v_add_f64_e32 v[20:21], 0, v[14:15]
	v_add_f64_e32 v[24:25], 0, v[12:13]
	s_delay_alu instid0(VALU_DEP_2) | instskip(NEXT) | instid1(VALU_DEP_2)
	v_ashrrev_i32_e32 v26, 31, v21
	v_ashrrev_i32_e32 v27, 31, v25
	s_delay_alu instid0(VALU_DEP_2) | instskip(NEXT) | instid1(VALU_DEP_2)
	v_or_b32_e32 v50, 0x80000000, v26
	v_or_b32_e32 v51, 0x80000000, v27
	v_xor_b32_e32 v20, v26, v20
	v_xor_b32_e32 v24, v27, v24
	s_delay_alu instid0(VALU_DEP_4) | instskip(NEXT) | instid1(VALU_DEP_4)
	v_xor_b32_e32 v21, v50, v21
	v_xor_b32_e32 v25, v51, v25
	s_delay_alu instid0(VALU_DEP_1)
	v_cmp_le_u64_e64 s3, v[20:21], v[24:25]
	s_and_b32 s12, s3, exec_lo
.LBB1246_47:
	s_wait_alu 0xfffe
	s_or_b32 exec_lo, exec_lo, s10
	s_delay_alu instid0(SALU_CYCLE_1)
	s_or_not1_b32 s10, s12, exec_lo
.LBB1246_48:
	s_wait_alu 0xfffe
	s_or_b32 exec_lo, exec_lo, s11
	v_cndmask_b32_e64 v20, v22, v23, s10
	v_cndmask_b32_e64 v21, v39, v38, s10
	s_mov_b32 s12, -1
	s_mov_b32 s11, exec_lo
	s_delay_alu instid0(VALU_DEP_2) | instskip(NEXT) | instid1(VALU_DEP_2)
	v_add_nc_u32_e32 v24, 1, v20
	v_add_nc_u32_e32 v21, -1, v21
	v_lshl_add_u32 v20, v20, 3, v28
	s_delay_alu instid0(VALU_DEP_3) | instskip(NEXT) | instid1(VALU_DEP_3)
	v_cndmask_b32_e64 v22, v24, v22, s10
	v_min_u32_e32 v21, v24, v21
	v_cndmask_b32_e64 v23, v23, v24, s10
	s_delay_alu instid0(VALU_DEP_2)
	v_lshl_add_u32 v21, v21, 3, v28
	ds_load_b64 v[26:27], v21
	ds_load_b64 v[20:21], v20 offset:8192
	s_wait_dscnt 0x1
	v_cndmask_b32_e64 v25, v27, v13, s10
	v_cndmask_b32_e64 v24, v26, v12, s10
	;; [unrolled: 1-line block ×4, first 2 shown]
	v_cmpx_lt_u32_e64 v22, v39
	s_cbranch_execz .LBB1246_52
; %bb.49:
	s_mov_b32 s13, 0
	s_mov_b32 s12, exec_lo
	v_cmpx_lt_u32_e64 v23, v38
	s_cbranch_execz .LBB1246_51
; %bb.50:
	v_add_f64_e32 v[38:39], 0, v[26:27]
	v_add_f64_e32 v[50:51], 0, v[24:25]
	s_delay_alu instid0(VALU_DEP_2) | instskip(NEXT) | instid1(VALU_DEP_2)
	v_ashrrev_i32_e32 v55, 31, v39
	v_ashrrev_i32_e32 v64, 31, v51
	s_delay_alu instid0(VALU_DEP_2) | instskip(NEXT) | instid1(VALU_DEP_2)
	v_or_b32_e32 v65, 0x80000000, v55
	v_or_b32_e32 v66, 0x80000000, v64
	v_xor_b32_e32 v38, v55, v38
	v_xor_b32_e32 v50, v64, v50
	s_delay_alu instid0(VALU_DEP_4) | instskip(NEXT) | instid1(VALU_DEP_4)
	v_xor_b32_e32 v39, v65, v39
	v_xor_b32_e32 v51, v66, v51
	s_delay_alu instid0(VALU_DEP_1)
	v_cmp_le_u64_e64 s3, v[38:39], v[50:51]
	s_and_b32 s13, s3, exec_lo
.LBB1246_51:
	s_wait_alu 0xfffe
	s_or_b32 exec_lo, exec_lo, s12
	s_delay_alu instid0(SALU_CYCLE_1)
	s_or_not1_b32 s12, s13, exec_lo
.LBB1246_52:
	s_wait_alu 0xfffe
	s_or_b32 exec_lo, exec_lo, s11
	v_cndmask_b32_e64 v22, v22, v23, s12
	v_cndmask_b32_e64 v13, v13, v15, s10
	;; [unrolled: 1-line block ×5, first 2 shown]
	v_lshl_add_u32 v22, v22, 3, v28
	v_cndmask_b32_e64 v11, v7, v1, s7
	v_cndmask_b32_e64 v10, v6, v0, s7
	;; [unrolled: 1-line block ×4, first 2 shown]
	ds_load_b64 v[22:23], v22 offset:8192
.LBB1246_53:
	s_wait_alu 0xfffe
	s_or_b32 exec_lo, exec_lo, s5
	v_and_b32_e32 v6, 0x70, v54
	v_and_b32_e32 v14, 12, v54
	s_mov_b32 s4, exec_lo
	; wave barrier
	s_delay_alu instid0(VALU_DEP_2)
	v_or_b32_e32 v7, 8, v6
	ds_store_b64 v30, v[10:11]
	ds_store_b64 v35, v[16:17]
	;; [unrolled: 1-line block ×5, first 2 shown]
	s_wait_dscnt 0x6
	ds_store_b64 v36, v[20:21]
	ds_store_b64 v34, v[0:1]
	s_wait_dscnt 0x7
	ds_store_b64 v37, v[22:23]
	; wave barrier
	v_min_u32_e32 v38, v29, v7
	s_delay_alu instid0(VALU_DEP_1) | instskip(SKIP_1) | instid1(VALU_DEP_2)
	v_add_nc_u32_e32 v7, 8, v38
	v_sub_nc_u32_e32 v24, v38, v6
	v_min_u32_e32 v39, v29, v7
	v_min_u32_e32 v7, v29, v14
	s_delay_alu instid0(VALU_DEP_2) | instskip(NEXT) | instid1(VALU_DEP_1)
	v_sub_nc_u32_e32 v14, v39, v38
	v_sub_nc_u32_e64 v15, v7, v14 clamp
	v_min_u32_e32 v14, v7, v24
	s_delay_alu instid0(VALU_DEP_1)
	v_cmpx_lt_u32_e64 v15, v14
	s_cbranch_execz .LBB1246_57
; %bb.54:
	v_lshlrev_b32_e32 v24, 3, v6
	v_lshlrev_b32_e32 v25, 3, v38
	s_mov_b32 s5, 0
	s_delay_alu instid0(VALU_DEP_2) | instskip(NEXT) | instid1(VALU_DEP_2)
	v_add_co_u32 v24, null, v28, v24
	v_add_co_u32 v25, null, v28, v25
.LBB1246_55:                            ; =>This Inner Loop Header: Depth=1
	v_add_nc_u32_e32 v26, v14, v15
	s_delay_alu instid0(VALU_DEP_1) | instskip(NEXT) | instid1(VALU_DEP_1)
	v_lshrrev_b32_e32 v55, 1, v26
	v_xad_u32 v26, v55, -1, v7
	v_lshl_add_u32 v27, v55, 3, v24
	s_delay_alu instid0(VALU_DEP_2)
	v_lshl_add_u32 v50, v26, 3, v25
	ds_load_b64 v[26:27], v27
	ds_load_b64 v[50:51], v50
	s_wait_dscnt 0x1
	v_add_f64_e32 v[26:27], 0, v[26:27]
	s_wait_dscnt 0x0
	v_add_f64_e32 v[50:51], 0, v[50:51]
	s_delay_alu instid0(VALU_DEP_2) | instskip(NEXT) | instid1(VALU_DEP_2)
	v_ashrrev_i32_e32 v64, 31, v27
	v_ashrrev_i32_e32 v65, 31, v51
	s_delay_alu instid0(VALU_DEP_2) | instskip(NEXT) | instid1(VALU_DEP_2)
	v_or_b32_e32 v66, 0x80000000, v64
	v_or_b32_e32 v67, 0x80000000, v65
	v_xor_b32_e32 v26, v64, v26
	v_xor_b32_e32 v50, v65, v50
	s_delay_alu instid0(VALU_DEP_4) | instskip(NEXT) | instid1(VALU_DEP_4)
	v_xor_b32_e32 v27, v66, v27
	v_xor_b32_e32 v51, v67, v51
	s_delay_alu instid0(VALU_DEP_1) | instskip(SKIP_2) | instid1(VALU_DEP_2)
	v_cmp_gt_u64_e64 s3, v[26:27], v[50:51]
	v_add_nc_u32_e32 v26, 1, v55
	s_wait_alu 0xf1ff
	v_cndmask_b32_e64 v14, v14, v55, s3
	s_delay_alu instid0(VALU_DEP_2) | instskip(NEXT) | instid1(VALU_DEP_1)
	v_cndmask_b32_e64 v15, v26, v15, s3
	v_cmp_ge_u32_e64 s3, v15, v14
	s_wait_alu 0xfffe
	s_or_b32 s5, s3, s5
	s_wait_alu 0xfffe
	s_and_not1_b32 exec_lo, exec_lo, s5
	s_cbranch_execnz .LBB1246_55
; %bb.56:
	s_or_b32 exec_lo, exec_lo, s5
.LBB1246_57:
	s_wait_alu 0xfffe
	s_or_b32 exec_lo, exec_lo, s4
	v_add_nc_u32_e32 v7, v38, v7
	v_add_nc_u32_e32 v14, v15, v6
	s_delay_alu instid0(VALU_DEP_2) | instskip(NEXT) | instid1(VALU_DEP_2)
	v_sub_nc_u32_e32 v15, v7, v15
	v_cmp_le_u32_e64 s3, v14, v38
	s_delay_alu instid0(VALU_DEP_2)
	v_cmp_le_u32_e64 s4, v15, v39
	s_or_b32 s3, s3, s4
	s_wait_alu 0xfffe
	s_and_saveexec_b32 s5, s3
	s_cbranch_execz .LBB1246_77
; %bb.58:
	v_cmp_ge_u32_e64 s3, v14, v38
	s_mov_b32 s7, exec_lo
                                        ; implicit-def: $vgpr0_vgpr1
	v_cmpx_lt_u32_e64 v14, v38
; %bb.59:
	v_lshl_add_u32 v0, v14, 3, v28
	ds_load_b64 v[0:1], v0
; %bb.60:
	s_wait_alu 0xfffe
	s_or_b32 exec_lo, exec_lo, s7
	v_cmp_ge_u32_e64 s7, v15, v39
	s_mov_b32 s10, exec_lo
                                        ; implicit-def: $vgpr6_vgpr7
	v_cmpx_lt_u32_e64 v15, v39
; %bb.61:
	v_lshl_add_u32 v4, v15, 3, v28
	ds_load_b64 v[6:7], v4
; %bb.62:
	s_wait_alu 0xfffe
	s_or_b32 exec_lo, exec_lo, s10
	s_nor_b32 s3, s3, s7
	s_wait_alu 0xfffe
	s_and_saveexec_b32 s4, s3
	s_cbranch_execz .LBB1246_64
; %bb.63:
	s_wait_dscnt 0x0
	v_add_f64_e32 v[4:5], 0, v[0:1]
	v_add_f64_e32 v[10:11], 0, v[6:7]
	s_and_not1_b32 s7, s7, exec_lo
	s_delay_alu instid0(VALU_DEP_2) | instskip(NEXT) | instid1(VALU_DEP_2)
	v_ashrrev_i32_e32 v12, 31, v5
	v_ashrrev_i32_e32 v13, 31, v11
	s_delay_alu instid0(VALU_DEP_2) | instskip(NEXT) | instid1(VALU_DEP_2)
	v_or_b32_e32 v16, 0x80000000, v12
	v_or_b32_e32 v17, 0x80000000, v13
	v_xor_b32_e32 v4, v12, v4
	v_xor_b32_e32 v10, v13, v10
	s_delay_alu instid0(VALU_DEP_4) | instskip(NEXT) | instid1(VALU_DEP_4)
	v_xor_b32_e32 v5, v16, v5
	v_xor_b32_e32 v11, v17, v11
	s_delay_alu instid0(VALU_DEP_1)
	v_cmp_le_u64_e64 s3, v[4:5], v[10:11]
	s_and_b32 s3, s3, exec_lo
	s_wait_alu 0xfffe
	s_or_b32 s7, s7, s3
.LBB1246_64:
	s_wait_alu 0xfffe
	s_or_b32 exec_lo, exec_lo, s4
	v_cndmask_b32_e64 v4, v15, v14, s7
	v_cndmask_b32_e64 v5, v39, v38, s7
	s_mov_b32 s10, -1
	s_mov_b32 s4, -1
	s_mov_b32 s11, exec_lo
	v_add_nc_u32_e32 v13, 1, v4
	v_add_nc_u32_e32 v5, -1, v5
	v_lshl_add_u32 v4, v4, 3, v28
	s_delay_alu instid0(VALU_DEP_3) | instskip(NEXT) | instid1(VALU_DEP_3)
	v_cndmask_b32_e64 v12, v13, v15, s7
	v_min_u32_e32 v5, v13, v5
	ds_load_b64 v[16:17], v4 offset:8192
	v_cndmask_b32_e64 v13, v14, v13, s7
	v_lshl_add_u32 v5, v5, 3, v28
	ds_load_b64 v[10:11], v5
	s_wait_dscnt 0x0
	v_cndmask_b32_e64 v5, v11, v7, s7
	v_cndmask_b32_e64 v4, v10, v6, s7
	v_cndmask_b32_e64 v11, v1, v11, s7
	v_cndmask_b32_e64 v10, v0, v10, s7
	v_cmpx_lt_u32_e64 v12, v39
	s_cbranch_execz .LBB1246_68
; %bb.65:
	s_mov_b32 s12, 0
	s_mov_b32 s4, exec_lo
	v_cmpx_lt_u32_e64 v13, v38
	s_cbranch_execz .LBB1246_67
; %bb.66:
	v_add_f64_e32 v[14:15], 0, v[10:11]
	v_add_f64_e32 v[18:19], 0, v[4:5]
	s_delay_alu instid0(VALU_DEP_2) | instskip(NEXT) | instid1(VALU_DEP_2)
	v_ashrrev_i32_e32 v20, 31, v15
	v_ashrrev_i32_e32 v21, 31, v19
	s_delay_alu instid0(VALU_DEP_2) | instskip(NEXT) | instid1(VALU_DEP_2)
	v_or_b32_e32 v22, 0x80000000, v20
	v_or_b32_e32 v23, 0x80000000, v21
	v_xor_b32_e32 v14, v20, v14
	v_xor_b32_e32 v18, v21, v18
	s_delay_alu instid0(VALU_DEP_4) | instskip(NEXT) | instid1(VALU_DEP_4)
	v_xor_b32_e32 v15, v22, v15
	v_xor_b32_e32 v19, v23, v19
	s_delay_alu instid0(VALU_DEP_1)
	v_cmp_le_u64_e64 s3, v[14:15], v[18:19]
	s_and_b32 s12, s3, exec_lo
.LBB1246_67:
	s_wait_alu 0xfffe
	s_or_b32 exec_lo, exec_lo, s4
	s_delay_alu instid0(SALU_CYCLE_1)
	s_or_not1_b32 s4, s12, exec_lo
.LBB1246_68:
	s_wait_alu 0xfffe
	s_or_b32 exec_lo, exec_lo, s11
	v_cndmask_b32_e64 v18, v12, v13, s4
	v_cndmask_b32_e64 v14, v39, v38, s4
	s_mov_b32 s11, exec_lo
	s_delay_alu instid0(VALU_DEP_2) | instskip(NEXT) | instid1(VALU_DEP_2)
	v_add_nc_u32_e32 v20, 1, v18
	v_add_nc_u32_e32 v14, -1, v14
	v_lshl_add_u32 v18, v18, 3, v28
	s_delay_alu instid0(VALU_DEP_3) | instskip(NEXT) | instid1(VALU_DEP_3)
	v_cndmask_b32_e64 v22, v20, v12, s4
	v_min_u32_e32 v14, v20, v14
	ds_load_b64 v[18:19], v18 offset:8192
	v_cndmask_b32_e64 v23, v13, v20, s4
	v_lshl_add_u32 v14, v14, 3, v28
	ds_load_b64 v[14:15], v14
	s_wait_dscnt 0x0
	v_cndmask_b32_e64 v13, v15, v5, s4
	v_cndmask_b32_e64 v12, v14, v4, s4
	;; [unrolled: 1-line block ×4, first 2 shown]
	v_cmpx_lt_u32_e64 v22, v39
	s_cbranch_execz .LBB1246_72
; %bb.69:
	s_mov_b32 s12, 0
	s_mov_b32 s10, exec_lo
	v_cmpx_lt_u32_e64 v23, v38
	s_cbranch_execz .LBB1246_71
; %bb.70:
	v_add_f64_e32 v[20:21], 0, v[14:15]
	v_add_f64_e32 v[24:25], 0, v[12:13]
	s_delay_alu instid0(VALU_DEP_2) | instskip(NEXT) | instid1(VALU_DEP_2)
	v_ashrrev_i32_e32 v26, 31, v21
	v_ashrrev_i32_e32 v27, 31, v25
	s_delay_alu instid0(VALU_DEP_2) | instskip(NEXT) | instid1(VALU_DEP_2)
	v_or_b32_e32 v50, 0x80000000, v26
	v_or_b32_e32 v51, 0x80000000, v27
	v_xor_b32_e32 v20, v26, v20
	v_xor_b32_e32 v24, v27, v24
	s_delay_alu instid0(VALU_DEP_4) | instskip(NEXT) | instid1(VALU_DEP_4)
	v_xor_b32_e32 v21, v50, v21
	v_xor_b32_e32 v25, v51, v25
	s_delay_alu instid0(VALU_DEP_1)
	v_cmp_le_u64_e64 s3, v[20:21], v[24:25]
	s_and_b32 s12, s3, exec_lo
.LBB1246_71:
	s_wait_alu 0xfffe
	s_or_b32 exec_lo, exec_lo, s10
	s_delay_alu instid0(SALU_CYCLE_1)
	s_or_not1_b32 s10, s12, exec_lo
.LBB1246_72:
	s_wait_alu 0xfffe
	s_or_b32 exec_lo, exec_lo, s11
	v_cndmask_b32_e64 v20, v22, v23, s10
	v_cndmask_b32_e64 v21, v39, v38, s10
	s_mov_b32 s12, -1
	s_mov_b32 s11, exec_lo
	s_delay_alu instid0(VALU_DEP_2) | instskip(NEXT) | instid1(VALU_DEP_2)
	v_add_nc_u32_e32 v24, 1, v20
	v_add_nc_u32_e32 v21, -1, v21
	v_lshl_add_u32 v20, v20, 3, v28
	s_delay_alu instid0(VALU_DEP_3) | instskip(NEXT) | instid1(VALU_DEP_3)
	v_cndmask_b32_e64 v22, v24, v22, s10
	v_min_u32_e32 v21, v24, v21
	v_cndmask_b32_e64 v23, v23, v24, s10
	s_delay_alu instid0(VALU_DEP_2)
	v_lshl_add_u32 v21, v21, 3, v28
	ds_load_b64 v[26:27], v21
	ds_load_b64 v[20:21], v20 offset:8192
	s_wait_dscnt 0x1
	v_cndmask_b32_e64 v25, v27, v13, s10
	v_cndmask_b32_e64 v24, v26, v12, s10
	v_cndmask_b32_e64 v27, v15, v27, s10
	v_cndmask_b32_e64 v26, v14, v26, s10
	v_cmpx_lt_u32_e64 v22, v39
	s_cbranch_execz .LBB1246_76
; %bb.73:
	s_mov_b32 s13, 0
	s_mov_b32 s12, exec_lo
	v_cmpx_lt_u32_e64 v23, v38
	s_cbranch_execz .LBB1246_75
; %bb.74:
	v_add_f64_e32 v[38:39], 0, v[26:27]
	v_add_f64_e32 v[50:51], 0, v[24:25]
	s_delay_alu instid0(VALU_DEP_2) | instskip(NEXT) | instid1(VALU_DEP_2)
	v_ashrrev_i32_e32 v55, 31, v39
	v_ashrrev_i32_e32 v64, 31, v51
	s_delay_alu instid0(VALU_DEP_2) | instskip(NEXT) | instid1(VALU_DEP_2)
	v_or_b32_e32 v65, 0x80000000, v55
	v_or_b32_e32 v66, 0x80000000, v64
	v_xor_b32_e32 v38, v55, v38
	v_xor_b32_e32 v50, v64, v50
	s_delay_alu instid0(VALU_DEP_4) | instskip(NEXT) | instid1(VALU_DEP_4)
	v_xor_b32_e32 v39, v65, v39
	v_xor_b32_e32 v51, v66, v51
	s_delay_alu instid0(VALU_DEP_1)
	v_cmp_le_u64_e64 s3, v[38:39], v[50:51]
	s_and_b32 s13, s3, exec_lo
.LBB1246_75:
	s_wait_alu 0xfffe
	s_or_b32 exec_lo, exec_lo, s12
	s_delay_alu instid0(SALU_CYCLE_1)
	s_or_not1_b32 s12, s13, exec_lo
.LBB1246_76:
	s_wait_alu 0xfffe
	s_or_b32 exec_lo, exec_lo, s11
	v_cndmask_b32_e64 v22, v22, v23, s12
	v_cndmask_b32_e64 v13, v13, v15, s10
	;; [unrolled: 1-line block ×5, first 2 shown]
	v_lshl_add_u32 v22, v22, 3, v28
	v_cndmask_b32_e64 v11, v7, v1, s7
	v_cndmask_b32_e64 v10, v6, v0, s7
	;; [unrolled: 1-line block ×4, first 2 shown]
	ds_load_b64 v[22:23], v22 offset:8192
.LBB1246_77:
	s_wait_alu 0xfffe
	s_or_b32 exec_lo, exec_lo, s5
	v_and_b32_e32 v6, 0x60, v54
	s_mov_b32 s4, exec_lo
	; wave barrier
	ds_store_b64 v30, v[10:11]
	ds_store_b64 v35, v[16:17]
	v_or_b32_e32 v7, 16, v6
	ds_store_b64 v31, v[4:5]
	ds_store_b64 v32, v[18:19]
	;; [unrolled: 1-line block ×3, first 2 shown]
	s_wait_dscnt 0x6
	ds_store_b64 v36, v[20:21]
	ds_store_b64 v34, v[0:1]
	s_wait_dscnt 0x7
	ds_store_b64 v37, v[22:23]
	; wave barrier
	v_min_u32_e32 v38, v29, v7
	s_delay_alu instid0(VALU_DEP_1) | instskip(SKIP_1) | instid1(VALU_DEP_2)
	v_add_nc_u32_e32 v7, 16, v38
	v_sub_nc_u32_e32 v24, v38, v6
	v_min_u32_e32 v39, v29, v7
	v_min_u32_e32 v7, v29, v53
	s_delay_alu instid0(VALU_DEP_2) | instskip(NEXT) | instid1(VALU_DEP_1)
	v_sub_nc_u32_e32 v14, v39, v38
	v_sub_nc_u32_e64 v15, v7, v14 clamp
	v_min_u32_e32 v14, v7, v24
	s_delay_alu instid0(VALU_DEP_1)
	v_cmpx_lt_u32_e64 v15, v14
	s_cbranch_execz .LBB1246_81
; %bb.78:
	v_lshlrev_b32_e32 v24, 3, v6
	v_lshlrev_b32_e32 v25, 3, v38
	s_mov_b32 s5, 0
	s_delay_alu instid0(VALU_DEP_2) | instskip(NEXT) | instid1(VALU_DEP_2)
	v_add_co_u32 v24, null, v28, v24
	v_add_co_u32 v25, null, v28, v25
.LBB1246_79:                            ; =>This Inner Loop Header: Depth=1
	v_add_nc_u32_e32 v26, v14, v15
	s_delay_alu instid0(VALU_DEP_1) | instskip(NEXT) | instid1(VALU_DEP_1)
	v_lshrrev_b32_e32 v31, 1, v26
	v_xad_u32 v26, v31, -1, v7
	v_lshl_add_u32 v27, v31, 3, v24
	s_delay_alu instid0(VALU_DEP_2)
	v_lshl_add_u32 v29, v26, 3, v25
	ds_load_b64 v[26:27], v27
	ds_load_b64 v[29:30], v29
	s_wait_dscnt 0x1
	v_add_f64_e32 v[26:27], 0, v[26:27]
	s_wait_dscnt 0x0
	v_add_f64_e32 v[29:30], 0, v[29:30]
	s_delay_alu instid0(VALU_DEP_2) | instskip(NEXT) | instid1(VALU_DEP_2)
	v_ashrrev_i32_e32 v32, 31, v27
	v_ashrrev_i32_e32 v33, 31, v30
	s_delay_alu instid0(VALU_DEP_2) | instskip(NEXT) | instid1(VALU_DEP_2)
	v_or_b32_e32 v34, 0x80000000, v32
	v_or_b32_e32 v35, 0x80000000, v33
	v_xor_b32_e32 v26, v32, v26
	v_xor_b32_e32 v29, v33, v29
	s_delay_alu instid0(VALU_DEP_4) | instskip(NEXT) | instid1(VALU_DEP_4)
	v_xor_b32_e32 v27, v34, v27
	v_xor_b32_e32 v30, v35, v30
	s_delay_alu instid0(VALU_DEP_1) | instskip(SKIP_2) | instid1(VALU_DEP_2)
	v_cmp_gt_u64_e64 s3, v[26:27], v[29:30]
	v_add_nc_u32_e32 v26, 1, v31
	s_wait_alu 0xf1ff
	v_cndmask_b32_e64 v14, v14, v31, s3
	s_delay_alu instid0(VALU_DEP_2) | instskip(NEXT) | instid1(VALU_DEP_1)
	v_cndmask_b32_e64 v15, v26, v15, s3
	v_cmp_ge_u32_e64 s3, v15, v14
	s_wait_alu 0xfffe
	s_or_b32 s5, s3, s5
	s_wait_alu 0xfffe
	s_and_not1_b32 exec_lo, exec_lo, s5
	s_cbranch_execnz .LBB1246_79
; %bb.80:
	s_or_b32 exec_lo, exec_lo, s5
.LBB1246_81:
	s_wait_alu 0xfffe
	s_or_b32 exec_lo, exec_lo, s4
	v_add_nc_u32_e32 v7, v38, v7
	v_add_nc_u32_e32 v14, v15, v6
	s_delay_alu instid0(VALU_DEP_2) | instskip(NEXT) | instid1(VALU_DEP_2)
	v_sub_nc_u32_e32 v15, v7, v15
	v_cmp_le_u32_e64 s3, v14, v38
	s_delay_alu instid0(VALU_DEP_2)
	v_cmp_le_u32_e64 s4, v15, v39
	s_or_b32 s3, s3, s4
	s_wait_alu 0xfffe
	s_and_saveexec_b32 s5, s3
	s_cbranch_execz .LBB1246_101
; %bb.82:
	v_cmp_ge_u32_e64 s3, v14, v38
	s_mov_b32 s7, exec_lo
                                        ; implicit-def: $vgpr0_vgpr1
	v_cmpx_lt_u32_e64 v14, v38
; %bb.83:
	v_lshl_add_u32 v0, v14, 3, v28
	ds_load_b64 v[0:1], v0
; %bb.84:
	s_wait_alu 0xfffe
	s_or_b32 exec_lo, exec_lo, s7
	v_cmp_ge_u32_e64 s7, v15, v39
	s_mov_b32 s10, exec_lo
                                        ; implicit-def: $vgpr6_vgpr7
	v_cmpx_lt_u32_e64 v15, v39
; %bb.85:
	v_lshl_add_u32 v4, v15, 3, v28
	ds_load_b64 v[6:7], v4
; %bb.86:
	s_wait_alu 0xfffe
	s_or_b32 exec_lo, exec_lo, s10
	s_nor_b32 s3, s3, s7
	s_wait_alu 0xfffe
	s_and_saveexec_b32 s4, s3
	s_cbranch_execz .LBB1246_88
; %bb.87:
	s_wait_dscnt 0x0
	v_add_f64_e32 v[4:5], 0, v[0:1]
	v_add_f64_e32 v[10:11], 0, v[6:7]
	s_and_not1_b32 s7, s7, exec_lo
	s_delay_alu instid0(VALU_DEP_2) | instskip(NEXT) | instid1(VALU_DEP_2)
	v_ashrrev_i32_e32 v12, 31, v5
	v_ashrrev_i32_e32 v13, 31, v11
	s_delay_alu instid0(VALU_DEP_2) | instskip(NEXT) | instid1(VALU_DEP_2)
	v_or_b32_e32 v16, 0x80000000, v12
	v_or_b32_e32 v17, 0x80000000, v13
	v_xor_b32_e32 v4, v12, v4
	v_xor_b32_e32 v10, v13, v10
	s_delay_alu instid0(VALU_DEP_4) | instskip(NEXT) | instid1(VALU_DEP_4)
	v_xor_b32_e32 v5, v16, v5
	v_xor_b32_e32 v11, v17, v11
	s_delay_alu instid0(VALU_DEP_1)
	v_cmp_le_u64_e64 s3, v[4:5], v[10:11]
	s_and_b32 s3, s3, exec_lo
	s_wait_alu 0xfffe
	s_or_b32 s7, s7, s3
.LBB1246_88:
	s_wait_alu 0xfffe
	s_or_b32 exec_lo, exec_lo, s4
	v_cndmask_b32_e64 v4, v15, v14, s7
	v_cndmask_b32_e64 v5, v39, v38, s7
	s_mov_b32 s10, -1
	s_mov_b32 s4, -1
	s_mov_b32 s11, exec_lo
	v_add_nc_u32_e32 v13, 1, v4
	v_add_nc_u32_e32 v5, -1, v5
	v_lshl_add_u32 v4, v4, 3, v28
	s_delay_alu instid0(VALU_DEP_3) | instskip(NEXT) | instid1(VALU_DEP_3)
	v_cndmask_b32_e64 v12, v13, v15, s7
	v_min_u32_e32 v5, v13, v5
	ds_load_b64 v[16:17], v4 offset:8192
	v_cndmask_b32_e64 v13, v14, v13, s7
	v_lshl_add_u32 v5, v5, 3, v28
	ds_load_b64 v[10:11], v5
	s_wait_dscnt 0x0
	v_cndmask_b32_e64 v5, v11, v7, s7
	v_cndmask_b32_e64 v4, v10, v6, s7
	;; [unrolled: 1-line block ×4, first 2 shown]
	v_cmpx_lt_u32_e64 v12, v39
	s_cbranch_execz .LBB1246_92
; %bb.89:
	s_mov_b32 s12, 0
	s_mov_b32 s4, exec_lo
	v_cmpx_lt_u32_e64 v13, v38
	s_cbranch_execz .LBB1246_91
; %bb.90:
	v_add_f64_e32 v[14:15], 0, v[10:11]
	v_add_f64_e32 v[18:19], 0, v[4:5]
	s_delay_alu instid0(VALU_DEP_2) | instskip(NEXT) | instid1(VALU_DEP_2)
	v_ashrrev_i32_e32 v20, 31, v15
	v_ashrrev_i32_e32 v21, 31, v19
	s_delay_alu instid0(VALU_DEP_2) | instskip(NEXT) | instid1(VALU_DEP_2)
	v_or_b32_e32 v22, 0x80000000, v20
	v_or_b32_e32 v23, 0x80000000, v21
	v_xor_b32_e32 v14, v20, v14
	v_xor_b32_e32 v18, v21, v18
	s_delay_alu instid0(VALU_DEP_4) | instskip(NEXT) | instid1(VALU_DEP_4)
	v_xor_b32_e32 v15, v22, v15
	v_xor_b32_e32 v19, v23, v19
	s_delay_alu instid0(VALU_DEP_1)
	v_cmp_le_u64_e64 s3, v[14:15], v[18:19]
	s_and_b32 s12, s3, exec_lo
.LBB1246_91:
	s_wait_alu 0xfffe
	s_or_b32 exec_lo, exec_lo, s4
	s_delay_alu instid0(SALU_CYCLE_1)
	s_or_not1_b32 s4, s12, exec_lo
.LBB1246_92:
	s_wait_alu 0xfffe
	s_or_b32 exec_lo, exec_lo, s11
	v_cndmask_b32_e64 v18, v12, v13, s4
	v_cndmask_b32_e64 v14, v39, v38, s4
	s_mov_b32 s11, exec_lo
	s_delay_alu instid0(VALU_DEP_2) | instskip(NEXT) | instid1(VALU_DEP_2)
	v_add_nc_u32_e32 v20, 1, v18
	v_add_nc_u32_e32 v14, -1, v14
	v_lshl_add_u32 v18, v18, 3, v28
	s_delay_alu instid0(VALU_DEP_3) | instskip(NEXT) | instid1(VALU_DEP_3)
	v_cndmask_b32_e64 v22, v20, v12, s4
	v_min_u32_e32 v14, v20, v14
	ds_load_b64 v[18:19], v18 offset:8192
	v_cndmask_b32_e64 v23, v13, v20, s4
	v_lshl_add_u32 v14, v14, 3, v28
	ds_load_b64 v[14:15], v14
	s_wait_dscnt 0x0
	v_cndmask_b32_e64 v13, v15, v5, s4
	v_cndmask_b32_e64 v12, v14, v4, s4
	v_cndmask_b32_e64 v15, v11, v15, s4
	v_cndmask_b32_e64 v14, v10, v14, s4
	v_cmpx_lt_u32_e64 v22, v39
	s_cbranch_execz .LBB1246_96
; %bb.93:
	s_mov_b32 s12, 0
	s_mov_b32 s10, exec_lo
	v_cmpx_lt_u32_e64 v23, v38
	s_cbranch_execz .LBB1246_95
; %bb.94:
	v_add_f64_e32 v[20:21], 0, v[14:15]
	v_add_f64_e32 v[24:25], 0, v[12:13]
	s_delay_alu instid0(VALU_DEP_2) | instskip(NEXT) | instid1(VALU_DEP_2)
	v_ashrrev_i32_e32 v26, 31, v21
	v_ashrrev_i32_e32 v27, 31, v25
	s_delay_alu instid0(VALU_DEP_2) | instskip(NEXT) | instid1(VALU_DEP_2)
	v_or_b32_e32 v29, 0x80000000, v26
	v_or_b32_e32 v30, 0x80000000, v27
	v_xor_b32_e32 v20, v26, v20
	v_xor_b32_e32 v24, v27, v24
	s_delay_alu instid0(VALU_DEP_4) | instskip(NEXT) | instid1(VALU_DEP_4)
	v_xor_b32_e32 v21, v29, v21
	v_xor_b32_e32 v25, v30, v25
	s_delay_alu instid0(VALU_DEP_1)
	v_cmp_le_u64_e64 s3, v[20:21], v[24:25]
	s_and_b32 s12, s3, exec_lo
.LBB1246_95:
	s_wait_alu 0xfffe
	s_or_b32 exec_lo, exec_lo, s10
	s_delay_alu instid0(SALU_CYCLE_1)
	s_or_not1_b32 s10, s12, exec_lo
.LBB1246_96:
	s_wait_alu 0xfffe
	s_or_b32 exec_lo, exec_lo, s11
	v_cndmask_b32_e64 v20, v22, v23, s10
	v_cndmask_b32_e64 v21, v39, v38, s10
	s_mov_b32 s12, -1
	s_mov_b32 s11, exec_lo
	s_delay_alu instid0(VALU_DEP_2) | instskip(NEXT) | instid1(VALU_DEP_2)
	v_add_nc_u32_e32 v24, 1, v20
	v_add_nc_u32_e32 v21, -1, v21
	v_lshl_add_u32 v20, v20, 3, v28
	s_delay_alu instid0(VALU_DEP_3) | instskip(NEXT) | instid1(VALU_DEP_3)
	v_cndmask_b32_e64 v22, v24, v22, s10
	v_min_u32_e32 v21, v24, v21
	v_cndmask_b32_e64 v23, v23, v24, s10
	s_delay_alu instid0(VALU_DEP_2)
	v_lshl_add_u32 v21, v21, 3, v28
	ds_load_b64 v[26:27], v21
	ds_load_b64 v[20:21], v20 offset:8192
	s_wait_dscnt 0x1
	v_cndmask_b32_e64 v25, v27, v13, s10
	v_cndmask_b32_e64 v24, v26, v12, s10
	;; [unrolled: 1-line block ×4, first 2 shown]
	v_cmpx_lt_u32_e64 v22, v39
	s_cbranch_execz .LBB1246_100
; %bb.97:
	s_mov_b32 s13, 0
	s_mov_b32 s12, exec_lo
	v_cmpx_lt_u32_e64 v23, v38
	s_cbranch_execz .LBB1246_99
; %bb.98:
	v_add_f64_e32 v[29:30], 0, v[26:27]
	v_add_f64_e32 v[31:32], 0, v[24:25]
	s_delay_alu instid0(VALU_DEP_2) | instskip(NEXT) | instid1(VALU_DEP_2)
	v_ashrrev_i32_e32 v33, 31, v30
	v_ashrrev_i32_e32 v34, 31, v32
	s_delay_alu instid0(VALU_DEP_2) | instskip(NEXT) | instid1(VALU_DEP_2)
	v_or_b32_e32 v35, 0x80000000, v33
	v_or_b32_e32 v36, 0x80000000, v34
	v_xor_b32_e32 v29, v33, v29
	v_xor_b32_e32 v31, v34, v31
	s_delay_alu instid0(VALU_DEP_4) | instskip(NEXT) | instid1(VALU_DEP_4)
	v_xor_b32_e32 v30, v35, v30
	v_xor_b32_e32 v32, v36, v32
	s_delay_alu instid0(VALU_DEP_1)
	v_cmp_le_u64_e64 s3, v[29:30], v[31:32]
	s_and_b32 s13, s3, exec_lo
.LBB1246_99:
	s_wait_alu 0xfffe
	s_or_b32 exec_lo, exec_lo, s12
	s_delay_alu instid0(SALU_CYCLE_1)
	s_or_not1_b32 s12, s13, exec_lo
.LBB1246_100:
	s_wait_alu 0xfffe
	s_or_b32 exec_lo, exec_lo, s11
	v_cndmask_b32_e64 v22, v22, v23, s12
	v_cndmask_b32_e64 v13, v13, v15, s10
	;; [unrolled: 1-line block ×5, first 2 shown]
	v_lshl_add_u32 v22, v22, 3, v28
	v_cndmask_b32_e64 v11, v7, v1, s7
	v_cndmask_b32_e64 v10, v6, v0, s7
	;; [unrolled: 1-line block ×4, first 2 shown]
	ds_load_b64 v[22:23], v22 offset:8192
.LBB1246_101:
	s_wait_alu 0xfffe
	s_or_b32 exec_lo, exec_lo, s5
	v_add_co_u32 v2, s3, v2, v48
	s_wait_alu 0xf1ff
	v_add_co_ci_u32_e64 v3, null, v3, v49, s3
	s_delay_alu instid0(VALU_DEP_2) | instskip(SKIP_1) | instid1(VALU_DEP_2)
	v_add_co_u32 v2, s3, v2, v52
	s_wait_alu 0xf1ff
	v_add_co_ci_u32_e64 v3, null, 0, v3, s3
	; wave barrier
	s_wait_storecnt_dscnt 0x0
	s_barrier_signal -1
	s_barrier_wait -1
	global_inv scope:SCOPE_SE
	; wave barrier
	s_and_saveexec_b32 s3, vcc_lo
	s_cbranch_execnz .LBB1246_222
; %bb.102:
	s_wait_alu 0xfffe
	s_or_b32 exec_lo, exec_lo, s3
	s_and_saveexec_b32 s3, s0
	s_cbranch_execnz .LBB1246_223
.LBB1246_103:
	s_wait_alu 0xfffe
	s_or_b32 exec_lo, exec_lo, s3
	s_and_saveexec_b32 s3, s1
	s_cbranch_execnz .LBB1246_224
.LBB1246_104:
	s_wait_alu 0xfffe
	s_or_b32 exec_lo, exec_lo, s3
	s_and_saveexec_b32 s3, s2
	s_cbranch_execz .LBB1246_106
.LBB1246_105:
	flat_store_b64 v[2:3], v[0:1] offset:24
.LBB1246_106:
	s_wait_alu 0xfffe
	s_or_b32 exec_lo, exec_lo, s3
	v_add_co_u32 v0, s3, v8, v48
	s_wait_alu 0xf1ff
	v_add_co_ci_u32_e64 v1, null, v9, v49, s3
	s_delay_alu instid0(VALU_DEP_2) | instskip(SKIP_1) | instid1(VALU_DEP_2)
	v_add_co_u32 v0, s3, v0, v52
	s_wait_alu 0xf1ff
	v_add_co_ci_u32_e64 v1, null, 0, v1, s3
	; wave barrier
	s_and_saveexec_b32 s3, vcc_lo
	s_cbranch_execnz .LBB1246_225
; %bb.107:
	s_wait_alu 0xfffe
	s_or_b32 exec_lo, exec_lo, s3
	s_and_saveexec_b32 s3, s0
	s_cbranch_execnz .LBB1246_226
.LBB1246_108:
	s_wait_alu 0xfffe
	s_or_b32 exec_lo, exec_lo, s3
	s_and_saveexec_b32 s0, s1
	s_cbranch_execz .LBB1246_110
.LBB1246_109:
	flat_store_b64 v[0:1], v[20:21] offset:16
.LBB1246_110:
	s_wait_alu 0xfffe
	s_or_b32 exec_lo, exec_lo, s0
	s_delay_alu instid0(SALU_CYCLE_1)
	s_and_b32 s5, s2, exec_lo
                                        ; implicit-def: $vgpr14
                                        ; implicit-def: $vgpr54
                                        ; implicit-def: $vgpr24_vgpr25
                                        ; implicit-def: $vgpr4
                                        ; implicit-def: $vgpr5
                                        ; implicit-def: $vgpr6
                                        ; implicit-def: $vgpr7
                                        ; implicit-def: $vgpr10
                                        ; implicit-def: $vgpr15
                                        ; implicit-def: $vgpr53
                                        ; implicit-def: $vgpr31
	s_and_not1_saveexec_b32 s6, s6
	s_cbranch_execz .LBB1246_2
.LBB1246_111:
	v_mov_b32_e32 v2, -1
	v_bfrev_b32_e32 v3, -2
	s_delay_alu instid0(VALU_DEP_1)
	v_dual_mov_b32 v9, v3 :: v_dual_mov_b32 v8, v2
	s_and_saveexec_b32 s0, vcc_lo
	s_cbranch_execz .LBB1246_113
; %bb.112:
	flat_load_b64 v[8:9], v[24:25]
.LBB1246_113:
	s_wait_alu 0xfffe
	s_or_b32 exec_lo, exec_lo, s0
	v_or_b32_e32 v0, 1, v53
	s_delay_alu instid0(VALU_DEP_1)
	v_cmp_lt_u32_e64 s0, v0, v14
	s_and_saveexec_b32 s1, s0
	s_cbranch_execz .LBB1246_115
; %bb.114:
	flat_load_b64 v[2:3], v[24:25] offset:8
.LBB1246_115:
	s_wait_alu 0xfffe
	s_or_b32 exec_lo, exec_lo, s1
	v_or_b32_e32 v12, 2, v53
	v_mov_b32_e32 v0, -1
	v_bfrev_b32_e32 v1, -2
	s_delay_alu instid0(VALU_DEP_3) | instskip(NEXT) | instid1(VALU_DEP_2)
	v_cmp_lt_u32_e64 s1, v12, v14
	v_dual_mov_b32 v13, v1 :: v_dual_mov_b32 v12, v0
	s_and_saveexec_b32 s2, s1
	s_cbranch_execz .LBB1246_117
; %bb.116:
	flat_load_b64 v[12:13], v[24:25] offset:16
.LBB1246_117:
	s_wait_alu 0xfffe
	s_or_b32 exec_lo, exec_lo, s2
	v_or_b32_e32 v16, 3, v53
	s_delay_alu instid0(VALU_DEP_1)
	v_cmp_lt_u32_e64 s2, v16, v14
	s_and_saveexec_b32 s3, s2
	s_cbranch_execz .LBB1246_119
; %bb.118:
	flat_load_b64 v[0:1], v[24:25] offset:24
.LBB1246_119:
	s_wait_alu 0xfffe
	s_or_b32 exec_lo, exec_lo, s3
	v_add_co_u32 v6, s3, v6, v48
	s_wait_alu 0xf1ff
	v_add_co_ci_u32_e64 v7, null, v7, v49, s3
	v_mov_b32_e32 v16, 0
	s_delay_alu instid0(VALU_DEP_3) | instskip(SKIP_1) | instid1(VALU_DEP_3)
	v_add_co_u32 v6, s3, v6, v52
	s_wait_alu 0xf1ff
	v_add_co_ci_u32_e64 v7, null, 0, v7, s3
	s_delay_alu instid0(VALU_DEP_3)
	v_dual_mov_b32 v17, v16 :: v_dual_mov_b32 v18, v16
	v_dual_mov_b32 v19, v16 :: v_dual_mov_b32 v20, v16
	;; [unrolled: 1-line block ×3, first 2 shown]
	v_mov_b32_e32 v23, v16
	; wave barrier
	s_and_saveexec_b32 s3, vcc_lo
	s_cbranch_execnz .LBB1246_227
; %bb.120:
	s_wait_alu 0xfffe
	s_or_b32 exec_lo, exec_lo, s3
	s_and_saveexec_b32 s3, s0
	s_cbranch_execnz .LBB1246_228
.LBB1246_121:
	s_wait_alu 0xfffe
	s_or_b32 exec_lo, exec_lo, s3
	s_and_saveexec_b32 s3, s1
	s_cbranch_execnz .LBB1246_229
.LBB1246_122:
	s_wait_alu 0xfffe
	s_or_b32 exec_lo, exec_lo, s3
	s_and_saveexec_b32 s3, s2
	s_cbranch_execz .LBB1246_124
.LBB1246_123:
	flat_load_b64 v[22:23], v[6:7] offset:24
.LBB1246_124:
	s_wait_alu 0xfffe
	s_or_b32 exec_lo, exec_lo, s3
	; wave barrier
	s_load_b64 s[10:11], s[8:9], 0x0
	s_and_b32 s3, ttmp7, 0xffff
	s_mov_b32 s13, 0
	v_bfe_u32 v6, v31, 10, 10
	v_bfe_u32 v7, v31, 20, 10
	s_mov_b32 s7, exec_lo
	s_wait_kmcnt 0x0
	s_wait_alu 0xfffe
	s_cmp_lt_u32 s3, s11
	s_cselect_b32 s12, 14, 20
	s_cmp_lt_u32 ttmp9, s10
	s_wait_alu 0xfffe
	s_add_nc_u64 s[14:15], s[8:9], s[12:13]
	s_cselect_b32 s12, 12, 18
	s_load_u16 s3, s[14:15], 0x0
	s_add_nc_u64 s[8:9], s[8:9], s[12:13]
	s_load_u16 s4, s[8:9], 0x0
	s_wait_kmcnt 0x0
	v_mad_u32_u24 v6, v7, s3, v6
	v_and_b32_e32 v7, 0x3ff, v31
	s_delay_alu instid0(VALU_DEP_2) | instskip(NEXT) | instid1(VALU_DEP_1)
	v_mul_lo_u32 v6, v6, s4
	v_add_lshl_u32 v14, v6, v7, 2
	s_delay_alu instid0(VALU_DEP_1)
	v_cmpx_gt_u32_e32 0x400, v14
	s_cbranch_execz .LBB1246_136
; %bb.125:
	s_wait_loadcnt_dscnt 0x0
	v_add_f64_e32 v[6:7], 0, v[8:9]
	v_add_f64_e32 v[24:25], 0, v[2:3]
	;; [unrolled: 1-line block ×4, first 2 shown]
	s_mov_b32 s8, exec_lo
	s_delay_alu instid0(VALU_DEP_4) | instskip(NEXT) | instid1(VALU_DEP_4)
	v_ashrrev_i32_e32 v30, 31, v7
	v_ashrrev_i32_e32 v31, 31, v25
	s_delay_alu instid0(VALU_DEP_4) | instskip(NEXT) | instid1(VALU_DEP_4)
	v_ashrrev_i32_e32 v32, 31, v27
	v_ashrrev_i32_e32 v33, 31, v29
	s_delay_alu instid0(VALU_DEP_4)
	v_or_b32_e32 v34, 0x80000000, v30
	v_xor_b32_e32 v6, v30, v6
	v_or_b32_e32 v30, 0x80000000, v31
	v_xor_b32_e32 v24, v31, v24
	;; [unrolled: 2-line block ×4, first 2 shown]
	v_xor_b32_e32 v50, v32, v26
	v_xor_b32_e32 v30, v33, v28
	;; [unrolled: 1-line block ×4, first 2 shown]
	v_cmp_gt_u64_e64 s3, v[6:7], v[24:25]
	v_dual_mov_b32 v6, v12 :: v_dual_mov_b32 v7, v13
	v_dual_mov_b32 v29, v21 :: v_dual_mov_b32 v28, v20
	s_wait_alu 0xf1ff
	s_delay_alu instid0(VALU_DEP_3)
	v_cndmask_b32_e64 v27, v19, v17, s3
	v_cndmask_b32_e64 v26, v18, v16, s3
	;; [unrolled: 1-line block ×4, first 2 shown]
	v_cmpx_gt_u64_e64 v[50:51], v[30:31]
; %bb.126:
	v_dual_mov_b32 v7, v1 :: v_dual_mov_b32 v6, v0
	v_dual_mov_b32 v0, v12 :: v_dual_mov_b32 v1, v13
	v_dual_mov_b32 v51, v31 :: v_dual_mov_b32 v50, v30
	v_dual_mov_b32 v29, v23 :: v_dual_mov_b32 v28, v22
	v_dual_mov_b32 v23, v21 :: v_dual_mov_b32 v22, v20
; %bb.127:
	s_wait_alu 0xfffe
	s_or_b32 exec_lo, exec_lo, s8
	v_cndmask_b32_e64 v19, v3, v9, s3
	v_cndmask_b32_e64 v18, v2, v8, s3
	v_mov_b32_e32 v30, v22
	v_mov_b32_e32 v39, v31
	v_dual_mov_b32 v33, v25 :: v_dual_mov_b32 v32, v24
	s_delay_alu instid0(VALU_DEP_4) | instskip(NEXT) | instid1(VALU_DEP_4)
	v_add_f64_e32 v[12:13], 0, v[18:19]
	v_dual_mov_b32 v38, v30 :: v_dual_mov_b32 v37, v29
	v_dual_mov_b32 v36, v28 :: v_dual_mov_b32 v35, v27
	v_mov_b32_e32 v34, v26
	s_delay_alu instid0(VALU_DEP_4) | instskip(NEXT) | instid1(VALU_DEP_1)
	v_ashrrev_i32_e32 v16, 31, v13
	v_or_b32_e32 v17, 0x80000000, v16
	v_xor_b32_e32 v16, v16, v12
	s_delay_alu instid0(VALU_DEP_2) | instskip(NEXT) | instid1(VALU_DEP_1)
	v_xor_b32_e32 v17, v17, v13
                                        ; implicit-def: $vgpr12_vgpr13
	v_cmp_le_u64_e64 s4, v[16:17], v[50:51]
	s_and_saveexec_b32 s8, s4
	s_wait_alu 0xfffe
	s_xor_b32 s4, exec_lo, s8
	s_cbranch_execz .LBB1246_129
; %bb.128:
	v_add_f64_e32 v[12:13], 0, v[6:7]
                                        ; implicit-def: $vgpr32_vgpr33_vgpr34_vgpr35_vgpr36_vgpr37_vgpr38_vgpr39
                                        ; implicit-def: $vgpr50_vgpr51
	s_delay_alu instid0(VALU_DEP_1) | instskip(NEXT) | instid1(VALU_DEP_1)
	v_ashrrev_i32_e32 v20, 31, v13
	v_or_b32_e32 v21, 0x80000000, v20
	s_delay_alu instid0(VALU_DEP_3) | instskip(NEXT) | instid1(VALU_DEP_2)
	v_xor_b32_e32 v12, v20, v12
	v_xor_b32_e32 v13, v21, v13
.LBB1246_129:
	s_wait_alu 0xfffe
	s_or_saveexec_b32 s4, s4
	v_mov_b32_e32 v35, v19
	v_dual_mov_b32 v31, v23 :: v_dual_mov_b32 v34, v18
	s_wait_alu 0xfffe
	s_xor_b32 exec_lo, exec_lo, s4
	s_cbranch_execz .LBB1246_131
; %bb.130:
	v_dual_mov_b32 v34, v28 :: v_dual_mov_b32 v35, v29
	v_dual_mov_b32 v36, v26 :: v_dual_mov_b32 v37, v27
	;; [unrolled: 1-line block ×4, first 2 shown]
	s_delay_alu instid0(VALU_DEP_4) | instskip(NEXT) | instid1(VALU_DEP_4)
	v_dual_mov_b32 v26, v34 :: v_dual_mov_b32 v27, v35
	v_dual_mov_b32 v28, v36 :: v_dual_mov_b32 v29, v37
	s_delay_alu instid0(VALU_DEP_4)
	v_dual_mov_b32 v30, v38 :: v_dual_mov_b32 v31, v39
	v_dual_mov_b32 v12, v16 :: v_dual_mov_b32 v13, v17
	;; [unrolled: 1-line block ×5, first 2 shown]
.LBB1246_131:
	s_or_b32 exec_lo, exec_lo, s4
	v_cndmask_b32_e64 v9, v9, v3, s3
	v_cndmask_b32_e64 v8, v8, v2, s3
	v_add_f64_e32 v[18:19], 0, v[0:1]
	s_mov_b32 s8, exec_lo
	s_delay_alu instid0(VALU_DEP_2) | instskip(NEXT) | instid1(VALU_DEP_2)
	v_add_f64_e32 v[2:3], 0, v[8:9]
	v_ashrrev_i32_e32 v23, 31, v19
	s_delay_alu instid0(VALU_DEP_2) | instskip(NEXT) | instid1(VALU_DEP_2)
	v_ashrrev_i32_e32 v20, 31, v3
	v_or_b32_e32 v32, 0x80000000, v23
	s_delay_alu instid0(VALU_DEP_2)
	v_or_b32_e32 v22, 0x80000000, v20
	v_xor_b32_e32 v21, v20, v2
	v_mov_b32_e32 v20, v28
	v_xor_b32_e32 v2, v23, v18
	v_mov_b32_e32 v23, v31
	v_xor_b32_e32 v22, v22, v3
	v_xor_b32_e32 v3, v32, v19
	s_delay_alu instid0(VALU_DEP_2) | instskip(SKIP_2) | instid1(VALU_DEP_2)
	v_cmp_gt_u64_e64 s3, v[21:22], v[16:17]
	v_dual_mov_b32 v21, v29 :: v_dual_mov_b32 v22, v30
	s_wait_alu 0xf1ff
	v_cndmask_b32_e64 v19, v27, v25, s3
	v_cndmask_b32_e64 v18, v26, v24, s3
	;; [unrolled: 1-line block ×4, first 2 shown]
	v_dual_mov_b32 v25, v7 :: v_dual_mov_b32 v24, v6
	v_cmpx_gt_u64_e64 v[12:13], v[2:3]
; %bb.132:
	v_dual_mov_b32 v20, v30 :: v_dual_mov_b32 v21, v31
	v_dual_mov_b32 v22, v28 :: v_dual_mov_b32 v23, v29
	;; [unrolled: 1-line block ×5, first 2 shown]
; %bb.133:
	s_wait_alu 0xfffe
	s_or_b32 exec_lo, exec_lo, s8
	v_cndmask_b32_e64 v3, v35, v9, s3
	v_cndmask_b32_e64 v2, v34, v8, s3
	;; [unrolled: 1-line block ×4, first 2 shown]
	s_delay_alu instid0(VALU_DEP_3) | instskip(NEXT) | instid1(VALU_DEP_1)
	v_add_f64_e32 v[6:7], 0, v[2:3]
	v_ashrrev_i32_e32 v26, 31, v7
	s_delay_alu instid0(VALU_DEP_1) | instskip(NEXT) | instid1(VALU_DEP_3)
	v_or_b32_e32 v27, 0x80000000, v26
	v_xor_b32_e32 v6, v26, v6
	s_delay_alu instid0(VALU_DEP_2) | instskip(NEXT) | instid1(VALU_DEP_1)
	v_xor_b32_e32 v7, v27, v7
	v_cmp_gt_u64_e64 s3, v[6:7], v[12:13]
	v_dual_mov_b32 v12, v24 :: v_dual_mov_b32 v13, v25
	s_and_saveexec_b32 s4, s3
	s_cbranch_execz .LBB1246_135
; %bb.134:
	v_dual_mov_b32 v26, v16 :: v_dual_mov_b32 v27, v17
	v_dual_mov_b32 v28, v20 :: v_dual_mov_b32 v29, v21
	;; [unrolled: 1-line block ×4, first 2 shown]
	s_delay_alu instid0(VALU_DEP_4) | instskip(NEXT) | instid1(VALU_DEP_4)
	v_dual_mov_b32 v16, v26 :: v_dual_mov_b32 v17, v27
	v_dual_mov_b32 v18, v28 :: v_dual_mov_b32 v19, v29
	s_delay_alu instid0(VALU_DEP_4) | instskip(NEXT) | instid1(VALU_DEP_4)
	v_dual_mov_b32 v20, v30 :: v_dual_mov_b32 v21, v31
	v_dual_mov_b32 v22, v32 :: v_dual_mov_b32 v23, v33
	;; [unrolled: 1-line block ×4, first 2 shown]
.LBB1246_135:
	s_wait_alu 0xfffe
	s_or_b32 exec_lo, exec_lo, s4
.LBB1246_136:
	s_delay_alu instid0(SALU_CYCLE_1) | instskip(SKIP_3) | instid1(VALU_DEP_2)
	s_or_b32 exec_lo, exec_lo, s7
	v_dual_mov_b32 v7, 0 :: v_dual_and_b32 v6, 0xffffff80, v14
	v_or_b32_e32 v14, 4, v54
	s_mov_b32 s4, exec_lo
	v_sub_nc_u32_e64 v29, 0x400, v6 clamp
	s_delay_alu instid0(VALU_DEP_3) | instskip(NEXT) | instid1(VALU_DEP_2)
	v_lshlrev_b64_e32 v[6:7], 3, v[6:7]
	v_min_u32_e32 v38, v29, v14
	v_and_b32_e32 v14, 4, v54
	s_delay_alu instid0(VALU_DEP_3) | instskip(SKIP_1) | instid1(VALU_DEP_4)
	v_add_co_u32 v28, null, v15, v6
	v_and_b32_e32 v6, 0x78, v54
	v_add_nc_u32_e32 v7, 4, v38
	s_delay_alu instid0(VALU_DEP_3) | instskip(NEXT) | instid1(VALU_DEP_3)
	v_lshl_add_u32 v30, v54, 3, v28
	v_sub_nc_u32_e32 v24, v38, v6
	s_delay_alu instid0(VALU_DEP_3) | instskip(SKIP_1) | instid1(VALU_DEP_4)
	v_min_u32_e32 v39, v29, v7
	v_min_u32_e32 v7, v29, v14
	v_add_nc_u32_e32 v25, 0x2000, v30
	s_wait_loadcnt_dscnt 0x0
	ds_store_2addr_b64 v30, v[8:9], v[2:3] offset1:1
	ds_store_2addr_b64 v25, v[16:17], v[18:19] offset1:1
	ds_store_2addr_b64 v30, v[12:13], v[0:1] offset0:2 offset1:3
	ds_store_2addr_b64 v25, v[20:21], v[22:23] offset0:2 offset1:3
	v_sub_nc_u32_e32 v14, v39, v38
	; wave barrier
	s_delay_alu instid0(VALU_DEP_1) | instskip(SKIP_1) | instid1(VALU_DEP_1)
	v_sub_nc_u32_e64 v15, v7, v14 clamp
	v_min_u32_e32 v14, v7, v24
	v_cmpx_lt_u32_e64 v15, v14
	s_cbranch_execz .LBB1246_140
; %bb.137:
	v_lshlrev_b32_e32 v24, 3, v6
	v_lshlrev_b32_e32 v25, 3, v38
	s_mov_b32 s7, 0
	s_delay_alu instid0(VALU_DEP_2) | instskip(NEXT) | instid1(VALU_DEP_2)
	v_add_co_u32 v24, null, v28, v24
	v_add_co_u32 v25, null, v28, v25
.LBB1246_138:                           ; =>This Inner Loop Header: Depth=1
	v_add_nc_u32_e32 v26, v14, v15
	s_delay_alu instid0(VALU_DEP_1) | instskip(NEXT) | instid1(VALU_DEP_1)
	v_lshrrev_b32_e32 v33, 1, v26
	v_xad_u32 v26, v33, -1, v7
	v_lshl_add_u32 v27, v33, 3, v24
	s_delay_alu instid0(VALU_DEP_2)
	v_lshl_add_u32 v31, v26, 3, v25
	ds_load_b64 v[26:27], v27
	ds_load_b64 v[31:32], v31
	s_wait_dscnt 0x1
	v_add_f64_e32 v[26:27], 0, v[26:27]
	s_wait_dscnt 0x0
	v_add_f64_e32 v[31:32], 0, v[31:32]
	s_delay_alu instid0(VALU_DEP_2) | instskip(NEXT) | instid1(VALU_DEP_2)
	v_ashrrev_i32_e32 v34, 31, v27
	v_ashrrev_i32_e32 v35, 31, v32
	s_delay_alu instid0(VALU_DEP_2) | instskip(NEXT) | instid1(VALU_DEP_2)
	v_or_b32_e32 v36, 0x80000000, v34
	v_or_b32_e32 v37, 0x80000000, v35
	v_xor_b32_e32 v26, v34, v26
	v_xor_b32_e32 v31, v35, v31
	s_delay_alu instid0(VALU_DEP_4) | instskip(NEXT) | instid1(VALU_DEP_4)
	v_xor_b32_e32 v27, v36, v27
	v_xor_b32_e32 v32, v37, v32
	s_delay_alu instid0(VALU_DEP_1) | instskip(SKIP_2) | instid1(VALU_DEP_2)
	v_cmp_gt_u64_e64 s3, v[26:27], v[31:32]
	v_add_nc_u32_e32 v26, 1, v33
	s_wait_alu 0xf1ff
	v_cndmask_b32_e64 v14, v14, v33, s3
	s_delay_alu instid0(VALU_DEP_2) | instskip(NEXT) | instid1(VALU_DEP_1)
	v_cndmask_b32_e64 v15, v26, v15, s3
	v_cmp_ge_u32_e64 s3, v15, v14
	s_wait_alu 0xfffe
	s_or_b32 s7, s3, s7
	s_wait_alu 0xfffe
	s_and_not1_b32 exec_lo, exec_lo, s7
	s_cbranch_execnz .LBB1246_138
; %bb.139:
	s_or_b32 exec_lo, exec_lo, s7
.LBB1246_140:
	s_wait_alu 0xfffe
	s_or_b32 exec_lo, exec_lo, s4
	v_add_nc_u32_e32 v7, v38, v7
	v_add_nc_u32_e32 v14, v15, v6
	;; [unrolled: 1-line block ×5, first 2 shown]
	v_sub_nc_u32_e32 v15, v7, v15
	v_cmp_le_u32_e64 s3, v14, v38
	v_add_nc_u32_e32 v33, 16, v30
	v_add_nc_u32_e32 v36, 0x2010, v30
	;; [unrolled: 1-line block ×3, first 2 shown]
	v_cmp_le_u32_e64 s4, v15, v39
	v_add_nc_u32_e32 v37, 0x2018, v30
	s_or_b32 s3, s3, s4
	s_wait_alu 0xfffe
	s_and_saveexec_b32 s7, s3
	s_cbranch_execz .LBB1246_160
; %bb.141:
	v_cmp_ge_u32_e64 s3, v14, v38
	s_mov_b32 s8, exec_lo
                                        ; implicit-def: $vgpr0_vgpr1
	v_cmpx_lt_u32_e64 v14, v38
; %bb.142:
	v_lshl_add_u32 v0, v14, 3, v28
	ds_load_b64 v[0:1], v0
; %bb.143:
	s_wait_alu 0xfffe
	s_or_b32 exec_lo, exec_lo, s8
	v_cmp_ge_u32_e64 s8, v15, v39
	s_mov_b32 s9, exec_lo
                                        ; implicit-def: $vgpr6_vgpr7
	v_cmpx_lt_u32_e64 v15, v39
; %bb.144:
	v_lshl_add_u32 v2, v15, 3, v28
	ds_load_b64 v[6:7], v2
; %bb.145:
	s_wait_alu 0xfffe
	s_or_b32 exec_lo, exec_lo, s9
	s_nor_b32 s3, s3, s8
	s_wait_alu 0xfffe
	s_and_saveexec_b32 s4, s3
	s_cbranch_execz .LBB1246_147
; %bb.146:
	s_wait_dscnt 0x0
	v_add_f64_e32 v[2:3], 0, v[0:1]
	v_add_f64_e32 v[8:9], 0, v[6:7]
	s_and_not1_b32 s8, s8, exec_lo
	s_delay_alu instid0(VALU_DEP_2) | instskip(NEXT) | instid1(VALU_DEP_2)
	v_ashrrev_i32_e32 v12, 31, v3
	v_ashrrev_i32_e32 v13, 31, v9
	s_delay_alu instid0(VALU_DEP_2) | instskip(NEXT) | instid1(VALU_DEP_2)
	v_or_b32_e32 v16, 0x80000000, v12
	v_or_b32_e32 v17, 0x80000000, v13
	v_xor_b32_e32 v2, v12, v2
	v_xor_b32_e32 v8, v13, v8
	s_delay_alu instid0(VALU_DEP_4) | instskip(NEXT) | instid1(VALU_DEP_4)
	v_xor_b32_e32 v3, v16, v3
	v_xor_b32_e32 v9, v17, v9
	s_delay_alu instid0(VALU_DEP_1)
	v_cmp_le_u64_e64 s3, v[2:3], v[8:9]
	s_and_b32 s3, s3, exec_lo
	s_wait_alu 0xfffe
	s_or_b32 s8, s8, s3
.LBB1246_147:
	s_wait_alu 0xfffe
	s_or_b32 exec_lo, exec_lo, s4
	v_cndmask_b32_e64 v2, v15, v14, s8
	v_cndmask_b32_e64 v3, v39, v38, s8
	s_mov_b32 s9, -1
	s_mov_b32 s4, -1
	s_mov_b32 s10, exec_lo
	v_add_nc_u32_e32 v13, 1, v2
	v_add_nc_u32_e32 v3, -1, v3
	v_lshl_add_u32 v2, v2, 3, v28
	s_delay_alu instid0(VALU_DEP_3) | instskip(NEXT) | instid1(VALU_DEP_3)
	v_cndmask_b32_e64 v12, v13, v15, s8
	v_min_u32_e32 v3, v13, v3
	ds_load_b64 v[16:17], v2 offset:8192
	v_cndmask_b32_e64 v13, v14, v13, s8
	v_lshl_add_u32 v3, v3, 3, v28
	ds_load_b64 v[8:9], v3
	s_wait_dscnt 0x0
	v_cndmask_b32_e64 v3, v9, v7, s8
	v_cndmask_b32_e64 v2, v8, v6, s8
	;; [unrolled: 1-line block ×4, first 2 shown]
	v_cmpx_lt_u32_e64 v12, v39
	s_cbranch_execz .LBB1246_151
; %bb.148:
	s_mov_b32 s11, 0
	s_mov_b32 s4, exec_lo
	v_cmpx_lt_u32_e64 v13, v38
	s_cbranch_execz .LBB1246_150
; %bb.149:
	v_add_f64_e32 v[14:15], 0, v[8:9]
	v_add_f64_e32 v[18:19], 0, v[2:3]
	s_delay_alu instid0(VALU_DEP_2) | instskip(NEXT) | instid1(VALU_DEP_2)
	v_ashrrev_i32_e32 v20, 31, v15
	v_ashrrev_i32_e32 v21, 31, v19
	s_delay_alu instid0(VALU_DEP_2) | instskip(NEXT) | instid1(VALU_DEP_2)
	v_or_b32_e32 v22, 0x80000000, v20
	v_or_b32_e32 v23, 0x80000000, v21
	v_xor_b32_e32 v14, v20, v14
	v_xor_b32_e32 v18, v21, v18
	s_delay_alu instid0(VALU_DEP_4) | instskip(NEXT) | instid1(VALU_DEP_4)
	v_xor_b32_e32 v15, v22, v15
	v_xor_b32_e32 v19, v23, v19
	s_delay_alu instid0(VALU_DEP_1)
	v_cmp_le_u64_e64 s3, v[14:15], v[18:19]
	s_and_b32 s11, s3, exec_lo
.LBB1246_150:
	s_wait_alu 0xfffe
	s_or_b32 exec_lo, exec_lo, s4
	s_delay_alu instid0(SALU_CYCLE_1)
	s_or_not1_b32 s4, s11, exec_lo
.LBB1246_151:
	s_wait_alu 0xfffe
	s_or_b32 exec_lo, exec_lo, s10
	v_cndmask_b32_e64 v18, v12, v13, s4
	v_cndmask_b32_e64 v14, v39, v38, s4
	s_mov_b32 s10, exec_lo
	s_delay_alu instid0(VALU_DEP_2) | instskip(NEXT) | instid1(VALU_DEP_2)
	v_add_nc_u32_e32 v20, 1, v18
	v_add_nc_u32_e32 v14, -1, v14
	v_lshl_add_u32 v18, v18, 3, v28
	s_delay_alu instid0(VALU_DEP_3) | instskip(NEXT) | instid1(VALU_DEP_3)
	v_cndmask_b32_e64 v22, v20, v12, s4
	v_min_u32_e32 v14, v20, v14
	ds_load_b64 v[18:19], v18 offset:8192
	v_cndmask_b32_e64 v23, v13, v20, s4
	v_lshl_add_u32 v14, v14, 3, v28
	ds_load_b64 v[14:15], v14
	s_wait_dscnt 0x0
	v_cndmask_b32_e64 v13, v15, v3, s4
	v_cndmask_b32_e64 v12, v14, v2, s4
	;; [unrolled: 1-line block ×4, first 2 shown]
	v_cmpx_lt_u32_e64 v22, v39
	s_cbranch_execz .LBB1246_155
; %bb.152:
	s_mov_b32 s11, 0
	s_mov_b32 s9, exec_lo
	v_cmpx_lt_u32_e64 v23, v38
	s_cbranch_execz .LBB1246_154
; %bb.153:
	v_add_f64_e32 v[20:21], 0, v[14:15]
	v_add_f64_e32 v[24:25], 0, v[12:13]
	s_delay_alu instid0(VALU_DEP_2) | instskip(NEXT) | instid1(VALU_DEP_2)
	v_ashrrev_i32_e32 v26, 31, v21
	v_ashrrev_i32_e32 v27, 31, v25
	s_delay_alu instid0(VALU_DEP_2) | instskip(NEXT) | instid1(VALU_DEP_2)
	v_or_b32_e32 v50, 0x80000000, v26
	v_or_b32_e32 v51, 0x80000000, v27
	v_xor_b32_e32 v20, v26, v20
	v_xor_b32_e32 v24, v27, v24
	s_delay_alu instid0(VALU_DEP_4) | instskip(NEXT) | instid1(VALU_DEP_4)
	v_xor_b32_e32 v21, v50, v21
	v_xor_b32_e32 v25, v51, v25
	s_delay_alu instid0(VALU_DEP_1)
	v_cmp_le_u64_e64 s3, v[20:21], v[24:25]
	s_and_b32 s11, s3, exec_lo
.LBB1246_154:
	s_wait_alu 0xfffe
	s_or_b32 exec_lo, exec_lo, s9
	s_delay_alu instid0(SALU_CYCLE_1)
	s_or_not1_b32 s9, s11, exec_lo
.LBB1246_155:
	s_wait_alu 0xfffe
	s_or_b32 exec_lo, exec_lo, s10
	v_cndmask_b32_e64 v20, v22, v23, s9
	v_cndmask_b32_e64 v21, v39, v38, s9
	s_mov_b32 s11, -1
	s_mov_b32 s10, exec_lo
	s_delay_alu instid0(VALU_DEP_2) | instskip(NEXT) | instid1(VALU_DEP_2)
	v_add_nc_u32_e32 v24, 1, v20
	v_add_nc_u32_e32 v21, -1, v21
	v_lshl_add_u32 v20, v20, 3, v28
	s_delay_alu instid0(VALU_DEP_3) | instskip(NEXT) | instid1(VALU_DEP_3)
	v_cndmask_b32_e64 v22, v24, v22, s9
	v_min_u32_e32 v21, v24, v21
	v_cndmask_b32_e64 v23, v23, v24, s9
	s_delay_alu instid0(VALU_DEP_2)
	v_lshl_add_u32 v21, v21, 3, v28
	ds_load_b64 v[26:27], v21
	ds_load_b64 v[20:21], v20 offset:8192
	s_wait_dscnt 0x1
	v_cndmask_b32_e64 v25, v27, v13, s9
	v_cndmask_b32_e64 v24, v26, v12, s9
	;; [unrolled: 1-line block ×4, first 2 shown]
	v_cmpx_lt_u32_e64 v22, v39
	s_cbranch_execz .LBB1246_159
; %bb.156:
	s_mov_b32 s12, 0
	s_mov_b32 s11, exec_lo
	v_cmpx_lt_u32_e64 v23, v38
	s_cbranch_execz .LBB1246_158
; %bb.157:
	v_add_f64_e32 v[38:39], 0, v[26:27]
	v_add_f64_e32 v[50:51], 0, v[24:25]
	s_delay_alu instid0(VALU_DEP_2) | instskip(NEXT) | instid1(VALU_DEP_2)
	v_ashrrev_i32_e32 v55, 31, v39
	v_ashrrev_i32_e32 v64, 31, v51
	s_delay_alu instid0(VALU_DEP_2) | instskip(NEXT) | instid1(VALU_DEP_2)
	v_or_b32_e32 v65, 0x80000000, v55
	v_or_b32_e32 v66, 0x80000000, v64
	v_xor_b32_e32 v38, v55, v38
	v_xor_b32_e32 v50, v64, v50
	s_delay_alu instid0(VALU_DEP_4) | instskip(NEXT) | instid1(VALU_DEP_4)
	v_xor_b32_e32 v39, v65, v39
	v_xor_b32_e32 v51, v66, v51
	s_delay_alu instid0(VALU_DEP_1)
	v_cmp_le_u64_e64 s3, v[38:39], v[50:51]
	s_and_b32 s12, s3, exec_lo
.LBB1246_158:
	s_wait_alu 0xfffe
	s_or_b32 exec_lo, exec_lo, s11
	s_delay_alu instid0(SALU_CYCLE_1)
	s_or_not1_b32 s11, s12, exec_lo
.LBB1246_159:
	s_wait_alu 0xfffe
	s_or_b32 exec_lo, exec_lo, s10
	v_cndmask_b32_e64 v22, v22, v23, s11
	v_cndmask_b32_e64 v13, v13, v15, s9
	;; [unrolled: 1-line block ×5, first 2 shown]
	v_lshl_add_u32 v22, v22, 3, v28
	v_cndmask_b32_e64 v9, v7, v1, s8
	v_cndmask_b32_e64 v8, v6, v0, s8
	;; [unrolled: 1-line block ×4, first 2 shown]
	ds_load_b64 v[22:23], v22 offset:8192
.LBB1246_160:
	s_wait_alu 0xfffe
	s_or_b32 exec_lo, exec_lo, s7
	v_and_b32_e32 v6, 0x70, v54
	v_and_b32_e32 v14, 12, v54
	s_mov_b32 s4, exec_lo
	; wave barrier
	s_delay_alu instid0(VALU_DEP_2)
	v_or_b32_e32 v7, 8, v6
	ds_store_b64 v30, v[8:9]
	ds_store_b64 v35, v[16:17]
	;; [unrolled: 1-line block ×5, first 2 shown]
	s_wait_dscnt 0x6
	ds_store_b64 v36, v[20:21]
	ds_store_b64 v34, v[0:1]
	s_wait_dscnt 0x7
	ds_store_b64 v37, v[22:23]
	; wave barrier
	v_min_u32_e32 v38, v29, v7
	s_delay_alu instid0(VALU_DEP_1) | instskip(SKIP_1) | instid1(VALU_DEP_2)
	v_add_nc_u32_e32 v7, 8, v38
	v_sub_nc_u32_e32 v24, v38, v6
	v_min_u32_e32 v39, v29, v7
	v_min_u32_e32 v7, v29, v14
	s_delay_alu instid0(VALU_DEP_2) | instskip(NEXT) | instid1(VALU_DEP_1)
	v_sub_nc_u32_e32 v14, v39, v38
	v_sub_nc_u32_e64 v15, v7, v14 clamp
	v_min_u32_e32 v14, v7, v24
	s_delay_alu instid0(VALU_DEP_1)
	v_cmpx_lt_u32_e64 v15, v14
	s_cbranch_execz .LBB1246_164
; %bb.161:
	v_lshlrev_b32_e32 v24, 3, v6
	v_lshlrev_b32_e32 v25, 3, v38
	s_mov_b32 s7, 0
	s_delay_alu instid0(VALU_DEP_2) | instskip(NEXT) | instid1(VALU_DEP_2)
	v_add_co_u32 v24, null, v28, v24
	v_add_co_u32 v25, null, v28, v25
.LBB1246_162:                           ; =>This Inner Loop Header: Depth=1
	v_add_nc_u32_e32 v26, v14, v15
	s_delay_alu instid0(VALU_DEP_1) | instskip(NEXT) | instid1(VALU_DEP_1)
	v_lshrrev_b32_e32 v55, 1, v26
	v_xad_u32 v26, v55, -1, v7
	v_lshl_add_u32 v27, v55, 3, v24
	s_delay_alu instid0(VALU_DEP_2)
	v_lshl_add_u32 v50, v26, 3, v25
	ds_load_b64 v[26:27], v27
	ds_load_b64 v[50:51], v50
	s_wait_dscnt 0x1
	v_add_f64_e32 v[26:27], 0, v[26:27]
	s_wait_dscnt 0x0
	v_add_f64_e32 v[50:51], 0, v[50:51]
	s_delay_alu instid0(VALU_DEP_2) | instskip(NEXT) | instid1(VALU_DEP_2)
	v_ashrrev_i32_e32 v64, 31, v27
	v_ashrrev_i32_e32 v65, 31, v51
	s_delay_alu instid0(VALU_DEP_2) | instskip(NEXT) | instid1(VALU_DEP_2)
	v_or_b32_e32 v66, 0x80000000, v64
	v_or_b32_e32 v67, 0x80000000, v65
	v_xor_b32_e32 v26, v64, v26
	v_xor_b32_e32 v50, v65, v50
	s_delay_alu instid0(VALU_DEP_4) | instskip(NEXT) | instid1(VALU_DEP_4)
	v_xor_b32_e32 v27, v66, v27
	v_xor_b32_e32 v51, v67, v51
	s_delay_alu instid0(VALU_DEP_1) | instskip(SKIP_2) | instid1(VALU_DEP_2)
	v_cmp_gt_u64_e64 s3, v[26:27], v[50:51]
	v_add_nc_u32_e32 v26, 1, v55
	s_wait_alu 0xf1ff
	v_cndmask_b32_e64 v14, v14, v55, s3
	s_delay_alu instid0(VALU_DEP_2) | instskip(NEXT) | instid1(VALU_DEP_1)
	v_cndmask_b32_e64 v15, v26, v15, s3
	v_cmp_ge_u32_e64 s3, v15, v14
	s_wait_alu 0xfffe
	s_or_b32 s7, s3, s7
	s_wait_alu 0xfffe
	s_and_not1_b32 exec_lo, exec_lo, s7
	s_cbranch_execnz .LBB1246_162
; %bb.163:
	s_or_b32 exec_lo, exec_lo, s7
.LBB1246_164:
	s_wait_alu 0xfffe
	s_or_b32 exec_lo, exec_lo, s4
	v_add_nc_u32_e32 v7, v38, v7
	v_add_nc_u32_e32 v14, v15, v6
	s_delay_alu instid0(VALU_DEP_2) | instskip(NEXT) | instid1(VALU_DEP_2)
	v_sub_nc_u32_e32 v15, v7, v15
	v_cmp_le_u32_e64 s3, v14, v38
	s_delay_alu instid0(VALU_DEP_2)
	v_cmp_le_u32_e64 s4, v15, v39
	s_or_b32 s3, s3, s4
	s_wait_alu 0xfffe
	s_and_saveexec_b32 s7, s3
	s_cbranch_execz .LBB1246_184
; %bb.165:
	v_cmp_ge_u32_e64 s3, v14, v38
	s_mov_b32 s8, exec_lo
                                        ; implicit-def: $vgpr0_vgpr1
	v_cmpx_lt_u32_e64 v14, v38
; %bb.166:
	v_lshl_add_u32 v0, v14, 3, v28
	ds_load_b64 v[0:1], v0
; %bb.167:
	s_wait_alu 0xfffe
	s_or_b32 exec_lo, exec_lo, s8
	v_cmp_ge_u32_e64 s8, v15, v39
	s_mov_b32 s9, exec_lo
                                        ; implicit-def: $vgpr6_vgpr7
	v_cmpx_lt_u32_e64 v15, v39
; %bb.168:
	v_lshl_add_u32 v2, v15, 3, v28
	ds_load_b64 v[6:7], v2
; %bb.169:
	s_wait_alu 0xfffe
	s_or_b32 exec_lo, exec_lo, s9
	s_nor_b32 s3, s3, s8
	s_wait_alu 0xfffe
	s_and_saveexec_b32 s4, s3
	s_cbranch_execz .LBB1246_171
; %bb.170:
	s_wait_dscnt 0x0
	v_add_f64_e32 v[2:3], 0, v[0:1]
	v_add_f64_e32 v[8:9], 0, v[6:7]
	s_and_not1_b32 s8, s8, exec_lo
	s_delay_alu instid0(VALU_DEP_2) | instskip(NEXT) | instid1(VALU_DEP_2)
	v_ashrrev_i32_e32 v12, 31, v3
	v_ashrrev_i32_e32 v13, 31, v9
	s_delay_alu instid0(VALU_DEP_2) | instskip(NEXT) | instid1(VALU_DEP_2)
	v_or_b32_e32 v16, 0x80000000, v12
	v_or_b32_e32 v17, 0x80000000, v13
	v_xor_b32_e32 v2, v12, v2
	v_xor_b32_e32 v8, v13, v8
	s_delay_alu instid0(VALU_DEP_4) | instskip(NEXT) | instid1(VALU_DEP_4)
	v_xor_b32_e32 v3, v16, v3
	v_xor_b32_e32 v9, v17, v9
	s_delay_alu instid0(VALU_DEP_1)
	v_cmp_le_u64_e64 s3, v[2:3], v[8:9]
	s_and_b32 s3, s3, exec_lo
	s_wait_alu 0xfffe
	s_or_b32 s8, s8, s3
.LBB1246_171:
	s_wait_alu 0xfffe
	s_or_b32 exec_lo, exec_lo, s4
	v_cndmask_b32_e64 v2, v15, v14, s8
	v_cndmask_b32_e64 v3, v39, v38, s8
	s_mov_b32 s9, -1
	s_mov_b32 s4, -1
	s_mov_b32 s10, exec_lo
	v_add_nc_u32_e32 v13, 1, v2
	v_add_nc_u32_e32 v3, -1, v3
	v_lshl_add_u32 v2, v2, 3, v28
	s_delay_alu instid0(VALU_DEP_3) | instskip(NEXT) | instid1(VALU_DEP_3)
	v_cndmask_b32_e64 v12, v13, v15, s8
	v_min_u32_e32 v3, v13, v3
	ds_load_b64 v[16:17], v2 offset:8192
	v_cndmask_b32_e64 v13, v14, v13, s8
	v_lshl_add_u32 v3, v3, 3, v28
	ds_load_b64 v[8:9], v3
	s_wait_dscnt 0x0
	v_cndmask_b32_e64 v3, v9, v7, s8
	v_cndmask_b32_e64 v2, v8, v6, s8
	;; [unrolled: 1-line block ×4, first 2 shown]
	v_cmpx_lt_u32_e64 v12, v39
	s_cbranch_execz .LBB1246_175
; %bb.172:
	s_mov_b32 s11, 0
	s_mov_b32 s4, exec_lo
	v_cmpx_lt_u32_e64 v13, v38
	s_cbranch_execz .LBB1246_174
; %bb.173:
	v_add_f64_e32 v[14:15], 0, v[8:9]
	v_add_f64_e32 v[18:19], 0, v[2:3]
	s_delay_alu instid0(VALU_DEP_2) | instskip(NEXT) | instid1(VALU_DEP_2)
	v_ashrrev_i32_e32 v20, 31, v15
	v_ashrrev_i32_e32 v21, 31, v19
	s_delay_alu instid0(VALU_DEP_2) | instskip(NEXT) | instid1(VALU_DEP_2)
	v_or_b32_e32 v22, 0x80000000, v20
	v_or_b32_e32 v23, 0x80000000, v21
	v_xor_b32_e32 v14, v20, v14
	v_xor_b32_e32 v18, v21, v18
	s_delay_alu instid0(VALU_DEP_4) | instskip(NEXT) | instid1(VALU_DEP_4)
	v_xor_b32_e32 v15, v22, v15
	v_xor_b32_e32 v19, v23, v19
	s_delay_alu instid0(VALU_DEP_1)
	v_cmp_le_u64_e64 s3, v[14:15], v[18:19]
	s_and_b32 s11, s3, exec_lo
.LBB1246_174:
	s_wait_alu 0xfffe
	s_or_b32 exec_lo, exec_lo, s4
	s_delay_alu instid0(SALU_CYCLE_1)
	s_or_not1_b32 s4, s11, exec_lo
.LBB1246_175:
	s_wait_alu 0xfffe
	s_or_b32 exec_lo, exec_lo, s10
	v_cndmask_b32_e64 v18, v12, v13, s4
	v_cndmask_b32_e64 v14, v39, v38, s4
	s_mov_b32 s10, exec_lo
	s_delay_alu instid0(VALU_DEP_2) | instskip(NEXT) | instid1(VALU_DEP_2)
	v_add_nc_u32_e32 v20, 1, v18
	v_add_nc_u32_e32 v14, -1, v14
	v_lshl_add_u32 v18, v18, 3, v28
	s_delay_alu instid0(VALU_DEP_3) | instskip(NEXT) | instid1(VALU_DEP_3)
	v_cndmask_b32_e64 v22, v20, v12, s4
	v_min_u32_e32 v14, v20, v14
	ds_load_b64 v[18:19], v18 offset:8192
	v_cndmask_b32_e64 v23, v13, v20, s4
	v_lshl_add_u32 v14, v14, 3, v28
	ds_load_b64 v[14:15], v14
	s_wait_dscnt 0x0
	v_cndmask_b32_e64 v13, v15, v3, s4
	v_cndmask_b32_e64 v12, v14, v2, s4
	;; [unrolled: 1-line block ×4, first 2 shown]
	v_cmpx_lt_u32_e64 v22, v39
	s_cbranch_execz .LBB1246_179
; %bb.176:
	s_mov_b32 s11, 0
	s_mov_b32 s9, exec_lo
	v_cmpx_lt_u32_e64 v23, v38
	s_cbranch_execz .LBB1246_178
; %bb.177:
	v_add_f64_e32 v[20:21], 0, v[14:15]
	v_add_f64_e32 v[24:25], 0, v[12:13]
	s_delay_alu instid0(VALU_DEP_2) | instskip(NEXT) | instid1(VALU_DEP_2)
	v_ashrrev_i32_e32 v26, 31, v21
	v_ashrrev_i32_e32 v27, 31, v25
	s_delay_alu instid0(VALU_DEP_2) | instskip(NEXT) | instid1(VALU_DEP_2)
	v_or_b32_e32 v50, 0x80000000, v26
	v_or_b32_e32 v51, 0x80000000, v27
	v_xor_b32_e32 v20, v26, v20
	v_xor_b32_e32 v24, v27, v24
	s_delay_alu instid0(VALU_DEP_4) | instskip(NEXT) | instid1(VALU_DEP_4)
	v_xor_b32_e32 v21, v50, v21
	v_xor_b32_e32 v25, v51, v25
	s_delay_alu instid0(VALU_DEP_1)
	v_cmp_le_u64_e64 s3, v[20:21], v[24:25]
	s_and_b32 s11, s3, exec_lo
.LBB1246_178:
	s_wait_alu 0xfffe
	s_or_b32 exec_lo, exec_lo, s9
	s_delay_alu instid0(SALU_CYCLE_1)
	s_or_not1_b32 s9, s11, exec_lo
.LBB1246_179:
	s_wait_alu 0xfffe
	s_or_b32 exec_lo, exec_lo, s10
	v_cndmask_b32_e64 v20, v22, v23, s9
	v_cndmask_b32_e64 v21, v39, v38, s9
	s_mov_b32 s11, -1
	s_mov_b32 s10, exec_lo
	s_delay_alu instid0(VALU_DEP_2) | instskip(NEXT) | instid1(VALU_DEP_2)
	v_add_nc_u32_e32 v24, 1, v20
	v_add_nc_u32_e32 v21, -1, v21
	v_lshl_add_u32 v20, v20, 3, v28
	s_delay_alu instid0(VALU_DEP_3) | instskip(NEXT) | instid1(VALU_DEP_3)
	v_cndmask_b32_e64 v22, v24, v22, s9
	v_min_u32_e32 v21, v24, v21
	v_cndmask_b32_e64 v23, v23, v24, s9
	s_delay_alu instid0(VALU_DEP_2)
	v_lshl_add_u32 v21, v21, 3, v28
	ds_load_b64 v[26:27], v21
	ds_load_b64 v[20:21], v20 offset:8192
	s_wait_dscnt 0x1
	v_cndmask_b32_e64 v25, v27, v13, s9
	v_cndmask_b32_e64 v24, v26, v12, s9
	;; [unrolled: 1-line block ×4, first 2 shown]
	v_cmpx_lt_u32_e64 v22, v39
	s_cbranch_execz .LBB1246_183
; %bb.180:
	s_mov_b32 s12, 0
	s_mov_b32 s11, exec_lo
	v_cmpx_lt_u32_e64 v23, v38
	s_cbranch_execz .LBB1246_182
; %bb.181:
	v_add_f64_e32 v[38:39], 0, v[26:27]
	v_add_f64_e32 v[50:51], 0, v[24:25]
	s_delay_alu instid0(VALU_DEP_2) | instskip(NEXT) | instid1(VALU_DEP_2)
	v_ashrrev_i32_e32 v55, 31, v39
	v_ashrrev_i32_e32 v64, 31, v51
	s_delay_alu instid0(VALU_DEP_2) | instskip(NEXT) | instid1(VALU_DEP_2)
	v_or_b32_e32 v65, 0x80000000, v55
	v_or_b32_e32 v66, 0x80000000, v64
	v_xor_b32_e32 v38, v55, v38
	v_xor_b32_e32 v50, v64, v50
	s_delay_alu instid0(VALU_DEP_4) | instskip(NEXT) | instid1(VALU_DEP_4)
	v_xor_b32_e32 v39, v65, v39
	v_xor_b32_e32 v51, v66, v51
	s_delay_alu instid0(VALU_DEP_1)
	v_cmp_le_u64_e64 s3, v[38:39], v[50:51]
	s_and_b32 s12, s3, exec_lo
.LBB1246_182:
	s_wait_alu 0xfffe
	s_or_b32 exec_lo, exec_lo, s11
	s_delay_alu instid0(SALU_CYCLE_1)
	s_or_not1_b32 s11, s12, exec_lo
.LBB1246_183:
	s_wait_alu 0xfffe
	s_or_b32 exec_lo, exec_lo, s10
	v_cndmask_b32_e64 v22, v22, v23, s11
	v_cndmask_b32_e64 v13, v13, v15, s9
	;; [unrolled: 1-line block ×5, first 2 shown]
	v_lshl_add_u32 v22, v22, 3, v28
	v_cndmask_b32_e64 v9, v7, v1, s8
	v_cndmask_b32_e64 v8, v6, v0, s8
	;; [unrolled: 1-line block ×4, first 2 shown]
	ds_load_b64 v[22:23], v22 offset:8192
.LBB1246_184:
	s_wait_alu 0xfffe
	s_or_b32 exec_lo, exec_lo, s7
	v_and_b32_e32 v6, 0x60, v54
	s_mov_b32 s4, exec_lo
	; wave barrier
	ds_store_b64 v30, v[8:9]
	ds_store_b64 v35, v[16:17]
	v_or_b32_e32 v7, 16, v6
	ds_store_b64 v31, v[2:3]
	ds_store_b64 v32, v[18:19]
	;; [unrolled: 1-line block ×3, first 2 shown]
	s_wait_dscnt 0x6
	ds_store_b64 v36, v[20:21]
	ds_store_b64 v34, v[0:1]
	s_wait_dscnt 0x7
	ds_store_b64 v37, v[22:23]
	; wave barrier
	v_min_u32_e32 v38, v29, v7
	s_delay_alu instid0(VALU_DEP_1) | instskip(SKIP_1) | instid1(VALU_DEP_2)
	v_add_nc_u32_e32 v7, 16, v38
	v_sub_nc_u32_e32 v24, v38, v6
	v_min_u32_e32 v39, v29, v7
	v_min_u32_e32 v7, v29, v53
	s_delay_alu instid0(VALU_DEP_2) | instskip(NEXT) | instid1(VALU_DEP_1)
	v_sub_nc_u32_e32 v14, v39, v38
	v_sub_nc_u32_e64 v15, v7, v14 clamp
	v_min_u32_e32 v14, v7, v24
	s_delay_alu instid0(VALU_DEP_1)
	v_cmpx_lt_u32_e64 v15, v14
	s_cbranch_execz .LBB1246_188
; %bb.185:
	v_lshlrev_b32_e32 v24, 3, v6
	v_lshlrev_b32_e32 v25, 3, v38
	s_mov_b32 s7, 0
	s_delay_alu instid0(VALU_DEP_2) | instskip(NEXT) | instid1(VALU_DEP_2)
	v_add_co_u32 v24, null, v28, v24
	v_add_co_u32 v25, null, v28, v25
.LBB1246_186:                           ; =>This Inner Loop Header: Depth=1
	v_add_nc_u32_e32 v26, v14, v15
	s_delay_alu instid0(VALU_DEP_1) | instskip(NEXT) | instid1(VALU_DEP_1)
	v_lshrrev_b32_e32 v31, 1, v26
	v_xad_u32 v26, v31, -1, v7
	v_lshl_add_u32 v27, v31, 3, v24
	s_delay_alu instid0(VALU_DEP_2)
	v_lshl_add_u32 v29, v26, 3, v25
	ds_load_b64 v[26:27], v27
	ds_load_b64 v[29:30], v29
	s_wait_dscnt 0x1
	v_add_f64_e32 v[26:27], 0, v[26:27]
	s_wait_dscnt 0x0
	v_add_f64_e32 v[29:30], 0, v[29:30]
	s_delay_alu instid0(VALU_DEP_2) | instskip(NEXT) | instid1(VALU_DEP_2)
	v_ashrrev_i32_e32 v32, 31, v27
	v_ashrrev_i32_e32 v33, 31, v30
	s_delay_alu instid0(VALU_DEP_2) | instskip(NEXT) | instid1(VALU_DEP_2)
	v_or_b32_e32 v34, 0x80000000, v32
	v_or_b32_e32 v35, 0x80000000, v33
	v_xor_b32_e32 v26, v32, v26
	v_xor_b32_e32 v29, v33, v29
	s_delay_alu instid0(VALU_DEP_4) | instskip(NEXT) | instid1(VALU_DEP_4)
	v_xor_b32_e32 v27, v34, v27
	v_xor_b32_e32 v30, v35, v30
	s_delay_alu instid0(VALU_DEP_1) | instskip(SKIP_2) | instid1(VALU_DEP_2)
	v_cmp_gt_u64_e64 s3, v[26:27], v[29:30]
	v_add_nc_u32_e32 v26, 1, v31
	s_wait_alu 0xf1ff
	v_cndmask_b32_e64 v14, v14, v31, s3
	s_delay_alu instid0(VALU_DEP_2) | instskip(NEXT) | instid1(VALU_DEP_1)
	v_cndmask_b32_e64 v15, v26, v15, s3
	v_cmp_ge_u32_e64 s3, v15, v14
	s_wait_alu 0xfffe
	s_or_b32 s7, s3, s7
	s_wait_alu 0xfffe
	s_and_not1_b32 exec_lo, exec_lo, s7
	s_cbranch_execnz .LBB1246_186
; %bb.187:
	s_or_b32 exec_lo, exec_lo, s7
.LBB1246_188:
	s_wait_alu 0xfffe
	s_or_b32 exec_lo, exec_lo, s4
	v_add_nc_u32_e32 v7, v38, v7
	v_add_nc_u32_e32 v14, v15, v6
	s_delay_alu instid0(VALU_DEP_2) | instskip(NEXT) | instid1(VALU_DEP_2)
	v_sub_nc_u32_e32 v15, v7, v15
	v_cmp_le_u32_e64 s3, v14, v38
	s_delay_alu instid0(VALU_DEP_2)
	v_cmp_le_u32_e64 s4, v15, v39
	s_or_b32 s3, s3, s4
	s_wait_alu 0xfffe
	s_and_saveexec_b32 s7, s3
	s_cbranch_execz .LBB1246_208
; %bb.189:
	v_cmp_ge_u32_e64 s3, v14, v38
	s_mov_b32 s8, exec_lo
                                        ; implicit-def: $vgpr0_vgpr1
	v_cmpx_lt_u32_e64 v14, v38
; %bb.190:
	v_lshl_add_u32 v0, v14, 3, v28
	ds_load_b64 v[0:1], v0
; %bb.191:
	s_wait_alu 0xfffe
	s_or_b32 exec_lo, exec_lo, s8
	v_cmp_ge_u32_e64 s8, v15, v39
	s_mov_b32 s9, exec_lo
                                        ; implicit-def: $vgpr6_vgpr7
	v_cmpx_lt_u32_e64 v15, v39
; %bb.192:
	v_lshl_add_u32 v2, v15, 3, v28
	ds_load_b64 v[6:7], v2
; %bb.193:
	s_wait_alu 0xfffe
	s_or_b32 exec_lo, exec_lo, s9
	s_nor_b32 s3, s3, s8
	s_wait_alu 0xfffe
	s_and_saveexec_b32 s4, s3
	s_cbranch_execz .LBB1246_195
; %bb.194:
	s_wait_dscnt 0x0
	v_add_f64_e32 v[2:3], 0, v[0:1]
	v_add_f64_e32 v[8:9], 0, v[6:7]
	s_and_not1_b32 s8, s8, exec_lo
	s_delay_alu instid0(VALU_DEP_2) | instskip(NEXT) | instid1(VALU_DEP_2)
	v_ashrrev_i32_e32 v12, 31, v3
	v_ashrrev_i32_e32 v13, 31, v9
	s_delay_alu instid0(VALU_DEP_2) | instskip(NEXT) | instid1(VALU_DEP_2)
	v_or_b32_e32 v16, 0x80000000, v12
	v_or_b32_e32 v17, 0x80000000, v13
	v_xor_b32_e32 v2, v12, v2
	v_xor_b32_e32 v8, v13, v8
	s_delay_alu instid0(VALU_DEP_4) | instskip(NEXT) | instid1(VALU_DEP_4)
	v_xor_b32_e32 v3, v16, v3
	v_xor_b32_e32 v9, v17, v9
	s_delay_alu instid0(VALU_DEP_1)
	v_cmp_le_u64_e64 s3, v[2:3], v[8:9]
	s_and_b32 s3, s3, exec_lo
	s_wait_alu 0xfffe
	s_or_b32 s8, s8, s3
.LBB1246_195:
	s_wait_alu 0xfffe
	s_or_b32 exec_lo, exec_lo, s4
	v_cndmask_b32_e64 v2, v15, v14, s8
	v_cndmask_b32_e64 v3, v39, v38, s8
	s_mov_b32 s9, -1
	s_mov_b32 s4, -1
	s_mov_b32 s10, exec_lo
	v_add_nc_u32_e32 v13, 1, v2
	v_add_nc_u32_e32 v3, -1, v3
	v_lshl_add_u32 v2, v2, 3, v28
	s_delay_alu instid0(VALU_DEP_3) | instskip(NEXT) | instid1(VALU_DEP_3)
	v_cndmask_b32_e64 v12, v13, v15, s8
	v_min_u32_e32 v3, v13, v3
	ds_load_b64 v[16:17], v2 offset:8192
	v_cndmask_b32_e64 v13, v14, v13, s8
	v_lshl_add_u32 v3, v3, 3, v28
	ds_load_b64 v[8:9], v3
	s_wait_dscnt 0x0
	v_cndmask_b32_e64 v3, v9, v7, s8
	v_cndmask_b32_e64 v2, v8, v6, s8
	;; [unrolled: 1-line block ×4, first 2 shown]
	v_cmpx_lt_u32_e64 v12, v39
	s_cbranch_execz .LBB1246_199
; %bb.196:
	s_mov_b32 s11, 0
	s_mov_b32 s4, exec_lo
	v_cmpx_lt_u32_e64 v13, v38
	s_cbranch_execz .LBB1246_198
; %bb.197:
	v_add_f64_e32 v[14:15], 0, v[8:9]
	v_add_f64_e32 v[18:19], 0, v[2:3]
	s_delay_alu instid0(VALU_DEP_2) | instskip(NEXT) | instid1(VALU_DEP_2)
	v_ashrrev_i32_e32 v20, 31, v15
	v_ashrrev_i32_e32 v21, 31, v19
	s_delay_alu instid0(VALU_DEP_2) | instskip(NEXT) | instid1(VALU_DEP_2)
	v_or_b32_e32 v22, 0x80000000, v20
	v_or_b32_e32 v23, 0x80000000, v21
	v_xor_b32_e32 v14, v20, v14
	v_xor_b32_e32 v18, v21, v18
	s_delay_alu instid0(VALU_DEP_4) | instskip(NEXT) | instid1(VALU_DEP_4)
	v_xor_b32_e32 v15, v22, v15
	v_xor_b32_e32 v19, v23, v19
	s_delay_alu instid0(VALU_DEP_1)
	v_cmp_le_u64_e64 s3, v[14:15], v[18:19]
	s_and_b32 s11, s3, exec_lo
.LBB1246_198:
	s_wait_alu 0xfffe
	s_or_b32 exec_lo, exec_lo, s4
	s_delay_alu instid0(SALU_CYCLE_1)
	s_or_not1_b32 s4, s11, exec_lo
.LBB1246_199:
	s_wait_alu 0xfffe
	s_or_b32 exec_lo, exec_lo, s10
	v_cndmask_b32_e64 v18, v12, v13, s4
	v_cndmask_b32_e64 v14, v39, v38, s4
	s_mov_b32 s10, exec_lo
	s_delay_alu instid0(VALU_DEP_2) | instskip(NEXT) | instid1(VALU_DEP_2)
	v_add_nc_u32_e32 v20, 1, v18
	v_add_nc_u32_e32 v14, -1, v14
	v_lshl_add_u32 v18, v18, 3, v28
	s_delay_alu instid0(VALU_DEP_3) | instskip(NEXT) | instid1(VALU_DEP_3)
	v_cndmask_b32_e64 v22, v20, v12, s4
	v_min_u32_e32 v14, v20, v14
	ds_load_b64 v[18:19], v18 offset:8192
	v_cndmask_b32_e64 v23, v13, v20, s4
	v_lshl_add_u32 v14, v14, 3, v28
	ds_load_b64 v[14:15], v14
	s_wait_dscnt 0x0
	v_cndmask_b32_e64 v13, v15, v3, s4
	v_cndmask_b32_e64 v12, v14, v2, s4
	;; [unrolled: 1-line block ×4, first 2 shown]
	v_cmpx_lt_u32_e64 v22, v39
	s_cbranch_execz .LBB1246_203
; %bb.200:
	s_mov_b32 s11, 0
	s_mov_b32 s9, exec_lo
	v_cmpx_lt_u32_e64 v23, v38
	s_cbranch_execz .LBB1246_202
; %bb.201:
	v_add_f64_e32 v[20:21], 0, v[14:15]
	v_add_f64_e32 v[24:25], 0, v[12:13]
	s_delay_alu instid0(VALU_DEP_2) | instskip(NEXT) | instid1(VALU_DEP_2)
	v_ashrrev_i32_e32 v26, 31, v21
	v_ashrrev_i32_e32 v27, 31, v25
	s_delay_alu instid0(VALU_DEP_2) | instskip(NEXT) | instid1(VALU_DEP_2)
	v_or_b32_e32 v29, 0x80000000, v26
	v_or_b32_e32 v30, 0x80000000, v27
	v_xor_b32_e32 v20, v26, v20
	v_xor_b32_e32 v24, v27, v24
	s_delay_alu instid0(VALU_DEP_4) | instskip(NEXT) | instid1(VALU_DEP_4)
	v_xor_b32_e32 v21, v29, v21
	v_xor_b32_e32 v25, v30, v25
	s_delay_alu instid0(VALU_DEP_1)
	v_cmp_le_u64_e64 s3, v[20:21], v[24:25]
	s_and_b32 s11, s3, exec_lo
.LBB1246_202:
	s_wait_alu 0xfffe
	s_or_b32 exec_lo, exec_lo, s9
	s_delay_alu instid0(SALU_CYCLE_1)
	s_or_not1_b32 s9, s11, exec_lo
.LBB1246_203:
	s_wait_alu 0xfffe
	s_or_b32 exec_lo, exec_lo, s10
	v_cndmask_b32_e64 v20, v22, v23, s9
	v_cndmask_b32_e64 v21, v39, v38, s9
	s_mov_b32 s11, -1
	s_mov_b32 s10, exec_lo
	s_delay_alu instid0(VALU_DEP_2) | instskip(NEXT) | instid1(VALU_DEP_2)
	v_add_nc_u32_e32 v24, 1, v20
	v_add_nc_u32_e32 v21, -1, v21
	v_lshl_add_u32 v20, v20, 3, v28
	s_delay_alu instid0(VALU_DEP_3) | instskip(NEXT) | instid1(VALU_DEP_3)
	v_cndmask_b32_e64 v22, v24, v22, s9
	v_min_u32_e32 v21, v24, v21
	v_cndmask_b32_e64 v23, v23, v24, s9
	s_delay_alu instid0(VALU_DEP_2)
	v_lshl_add_u32 v21, v21, 3, v28
	ds_load_b64 v[26:27], v21
	ds_load_b64 v[20:21], v20 offset:8192
	s_wait_dscnt 0x1
	v_cndmask_b32_e64 v25, v27, v13, s9
	v_cndmask_b32_e64 v24, v26, v12, s9
	;; [unrolled: 1-line block ×4, first 2 shown]
	v_cmpx_lt_u32_e64 v22, v39
	s_cbranch_execz .LBB1246_207
; %bb.204:
	s_mov_b32 s12, 0
	s_mov_b32 s11, exec_lo
	v_cmpx_lt_u32_e64 v23, v38
	s_cbranch_execz .LBB1246_206
; %bb.205:
	v_add_f64_e32 v[29:30], 0, v[26:27]
	v_add_f64_e32 v[31:32], 0, v[24:25]
	s_delay_alu instid0(VALU_DEP_2) | instskip(NEXT) | instid1(VALU_DEP_2)
	v_ashrrev_i32_e32 v33, 31, v30
	v_ashrrev_i32_e32 v34, 31, v32
	s_delay_alu instid0(VALU_DEP_2) | instskip(NEXT) | instid1(VALU_DEP_2)
	v_or_b32_e32 v35, 0x80000000, v33
	v_or_b32_e32 v36, 0x80000000, v34
	v_xor_b32_e32 v29, v33, v29
	v_xor_b32_e32 v31, v34, v31
	s_delay_alu instid0(VALU_DEP_4) | instskip(NEXT) | instid1(VALU_DEP_4)
	v_xor_b32_e32 v30, v35, v30
	v_xor_b32_e32 v32, v36, v32
	s_delay_alu instid0(VALU_DEP_1)
	v_cmp_le_u64_e64 s3, v[29:30], v[31:32]
	s_and_b32 s12, s3, exec_lo
.LBB1246_206:
	s_wait_alu 0xfffe
	s_or_b32 exec_lo, exec_lo, s11
	s_delay_alu instid0(SALU_CYCLE_1)
	s_or_not1_b32 s11, s12, exec_lo
.LBB1246_207:
	s_wait_alu 0xfffe
	s_or_b32 exec_lo, exec_lo, s10
	v_cndmask_b32_e64 v22, v22, v23, s11
	v_cndmask_b32_e64 v13, v13, v15, s9
	;; [unrolled: 1-line block ×5, first 2 shown]
	v_lshl_add_u32 v22, v22, 3, v28
	v_cndmask_b32_e64 v9, v7, v1, s8
	v_cndmask_b32_e64 v8, v6, v0, s8
	;; [unrolled: 1-line block ×4, first 2 shown]
	ds_load_b64 v[22:23], v22 offset:8192
.LBB1246_208:
	s_wait_alu 0xfffe
	s_or_b32 exec_lo, exec_lo, s7
	v_add_co_u32 v4, s3, v4, v48
	s_wait_alu 0xf1ff
	v_add_co_ci_u32_e64 v5, null, v5, v49, s3
	s_delay_alu instid0(VALU_DEP_2) | instskip(SKIP_1) | instid1(VALU_DEP_2)
	v_add_co_u32 v4, s3, v4, v52
	s_wait_alu 0xf1ff
	v_add_co_ci_u32_e64 v5, null, 0, v5, s3
	; wave barrier
	s_wait_storecnt_dscnt 0x0
	s_barrier_signal -1
	s_barrier_wait -1
	global_inv scope:SCOPE_SE
	; wave barrier
	s_and_saveexec_b32 s3, vcc_lo
	s_cbranch_execnz .LBB1246_230
; %bb.209:
	s_wait_alu 0xfffe
	s_or_b32 exec_lo, exec_lo, s3
	s_and_saveexec_b32 s3, s0
	s_cbranch_execnz .LBB1246_231
.LBB1246_210:
	s_wait_alu 0xfffe
	s_or_b32 exec_lo, exec_lo, s3
	s_and_saveexec_b32 s3, s1
	s_cbranch_execnz .LBB1246_232
.LBB1246_211:
	s_wait_alu 0xfffe
	s_or_b32 exec_lo, exec_lo, s3
	s_and_saveexec_b32 s3, s2
	s_cbranch_execz .LBB1246_213
.LBB1246_212:
	flat_store_b64 v[4:5], v[0:1] offset:24
.LBB1246_213:
	s_wait_alu 0xfffe
	s_or_b32 exec_lo, exec_lo, s3
	v_add_co_u32 v0, s3, v10, v48
	s_wait_alu 0xf1ff
	v_add_co_ci_u32_e64 v1, null, v11, v49, s3
	s_delay_alu instid0(VALU_DEP_2) | instskip(SKIP_1) | instid1(VALU_DEP_2)
	v_add_co_u32 v0, s3, v0, v52
	s_wait_alu 0xf1ff
	v_add_co_ci_u32_e64 v1, null, 0, v1, s3
	; wave barrier
	s_and_saveexec_b32 s3, vcc_lo
	s_cbranch_execnz .LBB1246_233
; %bb.214:
	s_wait_alu 0xfffe
	s_or_b32 exec_lo, exec_lo, s3
	s_and_saveexec_b32 s3, s0
	s_cbranch_execnz .LBB1246_234
.LBB1246_215:
	s_wait_alu 0xfffe
	s_or_b32 exec_lo, exec_lo, s3
	s_and_saveexec_b32 s0, s1
	s_cbranch_execz .LBB1246_217
.LBB1246_216:
	flat_store_b64 v[0:1], v[20:21] offset:16
.LBB1246_217:
	s_wait_alu 0xfffe
	s_or_b32 exec_lo, exec_lo, s0
	v_dual_mov_b32 v8, v10 :: v_dual_mov_b32 v9, v11
	s_and_not1_b32 s0, s5, exec_lo
	s_and_b32 s1, s2, exec_lo
	s_wait_alu 0xfffe
	s_or_b32 s5, s0, s1
	s_or_b32 exec_lo, exec_lo, s6
	s_wait_alu 0xfffe
	s_and_saveexec_b32 s0, s5
	s_cbranch_execz .LBB1246_3
.LBB1246_218:
	v_add_co_u32 v0, vcc_lo, v8, v48
	s_wait_alu 0xfffd
	v_add_co_ci_u32_e64 v1, null, v9, v49, vcc_lo
	s_delay_alu instid0(VALU_DEP_2) | instskip(SKIP_1) | instid1(VALU_DEP_2)
	v_add_co_u32 v0, vcc_lo, v0, v52
	s_wait_alu 0xfffd
	v_add_co_ci_u32_e64 v1, null, 0, v1, vcc_lo
	flat_store_b64 v[0:1], v[22:23] offset:24
	s_wait_alu 0xfffe
	s_or_b32 exec_lo, exec_lo, s0
	s_wait_loadcnt_dscnt 0x0
	s_setpc_b64 s[30:31]
.LBB1246_219:
	flat_load_b64 v[17:18], v[6:7]
	v_dual_mov_b32 v23, v16 :: v_dual_mov_b32 v24, v16
	v_dual_mov_b32 v19, v16 :: v_dual_mov_b32 v20, v16
	;; [unrolled: 1-line block ×3, first 2 shown]
	s_wait_loadcnt_dscnt 0x0
	v_mov_b32_e32 v16, v17
	v_mov_b32_e32 v17, v18
	;; [unrolled: 1-line block ×8, first 2 shown]
	s_wait_alu 0xfffe
	s_or_b32 exec_lo, exec_lo, s3
	s_and_saveexec_b32 s3, s0
	s_cbranch_execz .LBB1246_14
.LBB1246_220:
	flat_load_b64 v[18:19], v[6:7] offset:8
	s_wait_alu 0xfffe
	s_or_b32 exec_lo, exec_lo, s3
	s_and_saveexec_b32 s3, s1
	s_cbranch_execz .LBB1246_15
.LBB1246_221:
	flat_load_b64 v[20:21], v[6:7] offset:16
	s_wait_alu 0xfffe
	s_or_b32 exec_lo, exec_lo, s3
	s_and_saveexec_b32 s3, s2
	s_cbranch_execnz .LBB1246_16
	s_branch .LBB1246_17
.LBB1246_222:
	flat_store_b64 v[2:3], v[10:11]
	s_wait_alu 0xfffe
	s_or_b32 exec_lo, exec_lo, s3
	s_and_saveexec_b32 s3, s0
	s_cbranch_execz .LBB1246_103
.LBB1246_223:
	flat_store_b64 v[2:3], v[4:5] offset:8
	s_wait_alu 0xfffe
	s_or_b32 exec_lo, exec_lo, s3
	s_and_saveexec_b32 s3, s1
	s_cbranch_execz .LBB1246_104
.LBB1246_224:
	flat_store_b64 v[2:3], v[12:13] offset:16
	s_wait_alu 0xfffe
	s_or_b32 exec_lo, exec_lo, s3
	s_and_saveexec_b32 s3, s2
	s_cbranch_execnz .LBB1246_105
	s_branch .LBB1246_106
.LBB1246_225:
	flat_store_b64 v[0:1], v[16:17]
	s_wait_alu 0xfffe
	s_or_b32 exec_lo, exec_lo, s3
	s_and_saveexec_b32 s3, s0
	s_cbranch_execz .LBB1246_108
.LBB1246_226:
	flat_store_b64 v[0:1], v[18:19] offset:8
	s_wait_alu 0xfffe
	s_or_b32 exec_lo, exec_lo, s3
	s_and_saveexec_b32 s0, s1
	s_cbranch_execnz .LBB1246_109
	s_branch .LBB1246_110
.LBB1246_227:
	flat_load_b64 v[17:18], v[6:7]
	v_dual_mov_b32 v23, v16 :: v_dual_mov_b32 v24, v16
	v_dual_mov_b32 v19, v16 :: v_dual_mov_b32 v20, v16
	;; [unrolled: 1-line block ×3, first 2 shown]
	s_wait_loadcnt_dscnt 0x0
	v_mov_b32_e32 v16, v17
	v_mov_b32_e32 v17, v18
	;; [unrolled: 1-line block ×8, first 2 shown]
	s_wait_alu 0xfffe
	s_or_b32 exec_lo, exec_lo, s3
	s_and_saveexec_b32 s3, s0
	s_cbranch_execz .LBB1246_121
.LBB1246_228:
	flat_load_b64 v[18:19], v[6:7] offset:8
	s_wait_alu 0xfffe
	s_or_b32 exec_lo, exec_lo, s3
	s_and_saveexec_b32 s3, s1
	s_cbranch_execz .LBB1246_122
.LBB1246_229:
	flat_load_b64 v[20:21], v[6:7] offset:16
	s_wait_alu 0xfffe
	s_or_b32 exec_lo, exec_lo, s3
	s_and_saveexec_b32 s3, s2
	s_cbranch_execnz .LBB1246_123
	s_branch .LBB1246_124
.LBB1246_230:
	flat_store_b64 v[4:5], v[8:9]
	s_wait_alu 0xfffe
	s_or_b32 exec_lo, exec_lo, s3
	s_and_saveexec_b32 s3, s0
	s_cbranch_execz .LBB1246_210
.LBB1246_231:
	flat_store_b64 v[4:5], v[2:3] offset:8
	s_wait_alu 0xfffe
	s_or_b32 exec_lo, exec_lo, s3
	s_and_saveexec_b32 s3, s1
	s_cbranch_execz .LBB1246_211
.LBB1246_232:
	flat_store_b64 v[4:5], v[12:13] offset:16
	s_wait_alu 0xfffe
	s_or_b32 exec_lo, exec_lo, s3
	s_and_saveexec_b32 s3, s2
	s_cbranch_execnz .LBB1246_212
	s_branch .LBB1246_213
.LBB1246_233:
	flat_store_b64 v[0:1], v[16:17]
	s_wait_alu 0xfffe
	s_or_b32 exec_lo, exec_lo, s3
	s_and_saveexec_b32 s3, s0
	s_cbranch_execz .LBB1246_215
.LBB1246_234:
	flat_store_b64 v[0:1], v[18:19] offset:8
	s_wait_alu 0xfffe
	s_or_b32 exec_lo, exec_lo, s3
	s_and_saveexec_b32 s0, s1
	s_cbranch_execnz .LBB1246_216
	s_branch .LBB1246_217
.Lfunc_end1246:
	.size	_ZN7rocprim17ROCPRIM_400000_NS6detail26segmented_warp_sort_helperINS1_20WarpSortHelperConfigILj8ELj4ELj256EEEdlLi256ELb0EvE4sortIPKdPdPKlPlEEvT_S9_T0_T1_SC_T2_bjjjjRNS5_12storage_typeE, .Lfunc_end1246-_ZN7rocprim17ROCPRIM_400000_NS6detail26segmented_warp_sort_helperINS1_20WarpSortHelperConfigILj8ELj4ELj256EEEdlLi256ELb0EvE4sortIPKdPdPKlPlEEvT_S9_T0_T1_SC_T2_bjjjjRNS5_12storage_typeE
                                        ; -- End function
	.set .L_ZN7rocprim17ROCPRIM_400000_NS6detail26segmented_warp_sort_helperINS1_20WarpSortHelperConfigILj8ELj4ELj256EEEdlLi256ELb0EvE4sortIPKdPdPKlPlEEvT_S9_T0_T1_SC_T2_bjjjjRNS5_12storage_typeE.num_vgpr, 68
	.set .L_ZN7rocprim17ROCPRIM_400000_NS6detail26segmented_warp_sort_helperINS1_20WarpSortHelperConfigILj8ELj4ELj256EEEdlLi256ELb0EvE4sortIPKdPdPKlPlEEvT_S9_T0_T1_SC_T2_bjjjjRNS5_12storage_typeE.num_agpr, 0
	.set .L_ZN7rocprim17ROCPRIM_400000_NS6detail26segmented_warp_sort_helperINS1_20WarpSortHelperConfigILj8ELj4ELj256EEEdlLi256ELb0EvE4sortIPKdPdPKlPlEEvT_S9_T0_T1_SC_T2_bjjjjRNS5_12storage_typeE.numbered_sgpr, 32
	.set .L_ZN7rocprim17ROCPRIM_400000_NS6detail26segmented_warp_sort_helperINS1_20WarpSortHelperConfigILj8ELj4ELj256EEEdlLi256ELb0EvE4sortIPKdPdPKlPlEEvT_S9_T0_T1_SC_T2_bjjjjRNS5_12storage_typeE.num_named_barrier, 0
	.set .L_ZN7rocprim17ROCPRIM_400000_NS6detail26segmented_warp_sort_helperINS1_20WarpSortHelperConfigILj8ELj4ELj256EEEdlLi256ELb0EvE4sortIPKdPdPKlPlEEvT_S9_T0_T1_SC_T2_bjjjjRNS5_12storage_typeE.private_seg_size, 0
	.set .L_ZN7rocprim17ROCPRIM_400000_NS6detail26segmented_warp_sort_helperINS1_20WarpSortHelperConfigILj8ELj4ELj256EEEdlLi256ELb0EvE4sortIPKdPdPKlPlEEvT_S9_T0_T1_SC_T2_bjjjjRNS5_12storage_typeE.uses_vcc, 1
	.set .L_ZN7rocprim17ROCPRIM_400000_NS6detail26segmented_warp_sort_helperINS1_20WarpSortHelperConfigILj8ELj4ELj256EEEdlLi256ELb0EvE4sortIPKdPdPKlPlEEvT_S9_T0_T1_SC_T2_bjjjjRNS5_12storage_typeE.uses_flat_scratch, 0
	.set .L_ZN7rocprim17ROCPRIM_400000_NS6detail26segmented_warp_sort_helperINS1_20WarpSortHelperConfigILj8ELj4ELj256EEEdlLi256ELb0EvE4sortIPKdPdPKlPlEEvT_S9_T0_T1_SC_T2_bjjjjRNS5_12storage_typeE.has_dyn_sized_stack, 0
	.set .L_ZN7rocprim17ROCPRIM_400000_NS6detail26segmented_warp_sort_helperINS1_20WarpSortHelperConfigILj8ELj4ELj256EEEdlLi256ELb0EvE4sortIPKdPdPKlPlEEvT_S9_T0_T1_SC_T2_bjjjjRNS5_12storage_typeE.has_recursion, 0
	.set .L_ZN7rocprim17ROCPRIM_400000_NS6detail26segmented_warp_sort_helperINS1_20WarpSortHelperConfigILj8ELj4ELj256EEEdlLi256ELb0EvE4sortIPKdPdPKlPlEEvT_S9_T0_T1_SC_T2_bjjjjRNS5_12storage_typeE.has_indirect_call, 0
	.section	.AMDGPU.csdata,"",@progbits
; Function info:
; codeLenInByte = 13484
; TotalNumSgprs: 34
; NumVgprs: 68
; ScratchSize: 0
; MemoryBound: 1
	.section	.text._ZN7rocprim17ROCPRIM_400000_NS6detail17trampoline_kernelINS0_14default_configENS1_36segmented_radix_sort_config_selectorIdlEEZNS1_25segmented_radix_sort_implIS3_Lb0EPKdPdPKlPlN2at6native12_GLOBAL__N_18offset_tEEE10hipError_tPvRmT1_PNSt15iterator_traitsISK_E10value_typeET2_T3_PNSL_ISQ_E10value_typeET4_jRbjT5_SW_jjP12ihipStream_tbEUlT_E1_NS1_11comp_targetILNS1_3genE10ELNS1_11target_archE1201ELNS1_3gpuE5ELNS1_3repE0EEENS1_59segmented_radix_sort_warp_sort_small_config_static_selectorELNS0_4arch9wavefront6targetE0EEEvSK_,"axG",@progbits,_ZN7rocprim17ROCPRIM_400000_NS6detail17trampoline_kernelINS0_14default_configENS1_36segmented_radix_sort_config_selectorIdlEEZNS1_25segmented_radix_sort_implIS3_Lb0EPKdPdPKlPlN2at6native12_GLOBAL__N_18offset_tEEE10hipError_tPvRmT1_PNSt15iterator_traitsISK_E10value_typeET2_T3_PNSL_ISQ_E10value_typeET4_jRbjT5_SW_jjP12ihipStream_tbEUlT_E1_NS1_11comp_targetILNS1_3genE10ELNS1_11target_archE1201ELNS1_3gpuE5ELNS1_3repE0EEENS1_59segmented_radix_sort_warp_sort_small_config_static_selectorELNS0_4arch9wavefront6targetE0EEEvSK_,comdat
	.globl	_ZN7rocprim17ROCPRIM_400000_NS6detail17trampoline_kernelINS0_14default_configENS1_36segmented_radix_sort_config_selectorIdlEEZNS1_25segmented_radix_sort_implIS3_Lb0EPKdPdPKlPlN2at6native12_GLOBAL__N_18offset_tEEE10hipError_tPvRmT1_PNSt15iterator_traitsISK_E10value_typeET2_T3_PNSL_ISQ_E10value_typeET4_jRbjT5_SW_jjP12ihipStream_tbEUlT_E1_NS1_11comp_targetILNS1_3genE10ELNS1_11target_archE1201ELNS1_3gpuE5ELNS1_3repE0EEENS1_59segmented_radix_sort_warp_sort_small_config_static_selectorELNS0_4arch9wavefront6targetE0EEEvSK_ ; -- Begin function _ZN7rocprim17ROCPRIM_400000_NS6detail17trampoline_kernelINS0_14default_configENS1_36segmented_radix_sort_config_selectorIdlEEZNS1_25segmented_radix_sort_implIS3_Lb0EPKdPdPKlPlN2at6native12_GLOBAL__N_18offset_tEEE10hipError_tPvRmT1_PNSt15iterator_traitsISK_E10value_typeET2_T3_PNSL_ISQ_E10value_typeET4_jRbjT5_SW_jjP12ihipStream_tbEUlT_E1_NS1_11comp_targetILNS1_3genE10ELNS1_11target_archE1201ELNS1_3gpuE5ELNS1_3repE0EEENS1_59segmented_radix_sort_warp_sort_small_config_static_selectorELNS0_4arch9wavefront6targetE0EEEvSK_
	.p2align	8
	.type	_ZN7rocprim17ROCPRIM_400000_NS6detail17trampoline_kernelINS0_14default_configENS1_36segmented_radix_sort_config_selectorIdlEEZNS1_25segmented_radix_sort_implIS3_Lb0EPKdPdPKlPlN2at6native12_GLOBAL__N_18offset_tEEE10hipError_tPvRmT1_PNSt15iterator_traitsISK_E10value_typeET2_T3_PNSL_ISQ_E10value_typeET4_jRbjT5_SW_jjP12ihipStream_tbEUlT_E1_NS1_11comp_targetILNS1_3genE10ELNS1_11target_archE1201ELNS1_3gpuE5ELNS1_3repE0EEENS1_59segmented_radix_sort_warp_sort_small_config_static_selectorELNS0_4arch9wavefront6targetE0EEEvSK_,@function
_ZN7rocprim17ROCPRIM_400000_NS6detail17trampoline_kernelINS0_14default_configENS1_36segmented_radix_sort_config_selectorIdlEEZNS1_25segmented_radix_sort_implIS3_Lb0EPKdPdPKlPlN2at6native12_GLOBAL__N_18offset_tEEE10hipError_tPvRmT1_PNSt15iterator_traitsISK_E10value_typeET2_T3_PNSL_ISQ_E10value_typeET4_jRbjT5_SW_jjP12ihipStream_tbEUlT_E1_NS1_11comp_targetILNS1_3genE10ELNS1_11target_archE1201ELNS1_3gpuE5ELNS1_3repE0EEENS1_59segmented_radix_sort_warp_sort_small_config_static_selectorELNS0_4arch9wavefront6targetE0EEEvSK_: ; @_ZN7rocprim17ROCPRIM_400000_NS6detail17trampoline_kernelINS0_14default_configENS1_36segmented_radix_sort_config_selectorIdlEEZNS1_25segmented_radix_sort_implIS3_Lb0EPKdPdPKlPlN2at6native12_GLOBAL__N_18offset_tEEE10hipError_tPvRmT1_PNSt15iterator_traitsISK_E10value_typeET2_T3_PNSL_ISQ_E10value_typeET4_jRbjT5_SW_jjP12ihipStream_tbEUlT_E1_NS1_11comp_targetILNS1_3genE10ELNS1_11target_archE1201ELNS1_3gpuE5ELNS1_3repE0EEENS1_59segmented_radix_sort_warp_sort_small_config_static_selectorELNS0_4arch9wavefront6targetE0EEEvSK_
; %bb.0:
	s_load_b32 s2, s[0:1], 0x64
	v_bfe_u32 v1, v0, 10, 10
	v_bfe_u32 v2, v0, 20, 10
	s_mov_b32 s32, 0
	s_wait_kmcnt 0x0
	s_lshr_b32 s3, s2, 16
	s_and_b32 s2, s2, 0xffff
	v_mad_u32_u24 v2, v2, s3, v1
	v_and_b32_e32 v1, 0x3ff, v0
	s_load_b32 s3, s[0:1], 0x34
	s_delay_alu instid0(VALU_DEP_1) | instskip(SKIP_2) | instid1(VALU_DEP_1)
	v_mad_co_u64_u32 v[1:2], null, v2, s2, v[1:2]
	s_mov_b32 s2, exec_lo
	v_lshrrev_b32_e32 v1, 3, v1
	v_lshl_add_u32 v1, ttmp9, 5, v1
	s_wait_kmcnt 0x0
	s_delay_alu instid0(VALU_DEP_1)
	v_cmpx_gt_u32_e64 s3, v1
	s_cbranch_execz .LBB1247_3
; %bb.1:
	s_clause 0x1
	s_load_b64 s[2:3], s[0:1], 0x38
	s_load_b128 s[4:7], s[0:1], 0x40
	v_mov_b32_e32 v2, 0
	s_delay_alu instid0(VALU_DEP_1) | instskip(SKIP_1) | instid1(VALU_DEP_1)
	v_lshlrev_b64_e32 v[1:2], 2, v[1:2]
	s_wait_kmcnt 0x0
	v_sub_co_u32 v1, vcc_lo, s2, v1
	s_delay_alu instid0(VALU_DEP_1) | instskip(SKIP_4) | instid1(VALU_DEP_2)
	v_sub_co_ci_u32_e64 v2, null, s3, v2, vcc_lo
	global_load_b32 v1, v[1:2], off offset:-4
	s_wait_loadcnt 0x0
	v_add_nc_u32_e32 v2, s5, v1
	v_add_nc_u32_e32 v1, s7, v1
	v_mul_lo_u32 v13, v2, s4
	s_delay_alu instid0(VALU_DEP_2) | instskip(NEXT) | instid1(VALU_DEP_1)
	v_mul_lo_u32 v14, v1, s6
	v_cmp_gt_u32_e32 vcc_lo, v14, v13
	s_and_b32 exec_lo, exec_lo, vcc_lo
	s_cbranch_execz .LBB1247_3
; %bb.2:
	s_mov_b64 s[2:3], src_shared_base
	s_clause 0x2
	s_load_b32 s2, s[0:1], 0x30
	s_load_b256 s[12:19], s[0:1], 0x0
	s_load_b128 s[4:7], s[0:1], 0x20
	s_add_nc_u64 s[8:9], s[0:1], 0x58
	s_getpc_b64 s[0:1]
	s_wait_alu 0xfffe
	s_sext_i32_i16 s1, s1
	s_add_co_u32 s0, s0, _ZN7rocprim17ROCPRIM_400000_NS6detail26segmented_warp_sort_helperINS1_20WarpSortHelperConfigILj8ELj4ELj256EEEdlLi256ELb0EvE4sortIPKdPdPKlPlEEvT_S9_T0_T1_SC_T2_bjjjjRNS5_12storage_typeE@rel32@lo+12
	s_wait_alu 0xfffe
	s_add_co_ci_u32 s1, s1, _ZN7rocprim17ROCPRIM_400000_NS6detail26segmented_warp_sort_helperINS1_20WarpSortHelperConfigILj8ELj4ELj256EEEdlLi256ELb0EvE4sortIPKdPdPKlPlEEvT_S9_T0_T1_SC_T2_bjjjjRNS5_12storage_typeE@rel32@hi+24
	v_mov_b32_e32 v31, v0
	v_dual_mov_b32 v15, 0 :: v_dual_mov_b32 v16, s3
	s_wait_kmcnt 0x0
	s_and_b32 s2, s2, 0xff
	v_dual_mov_b32 v0, s12 :: v_dual_mov_b32 v1, s13
	v_dual_mov_b32 v2, s14 :: v_dual_mov_b32 v3, s15
	;; [unrolled: 1-line block ×6, first 2 shown]
	s_wait_alu 0xfffe
	v_mov_b32_e32 v12, s2
	s_swappc_b64 s[30:31], s[0:1]
.LBB1247_3:
	s_endpgm
	.section	.rodata,"a",@progbits
	.p2align	6, 0x0
	.amdhsa_kernel _ZN7rocprim17ROCPRIM_400000_NS6detail17trampoline_kernelINS0_14default_configENS1_36segmented_radix_sort_config_selectorIdlEEZNS1_25segmented_radix_sort_implIS3_Lb0EPKdPdPKlPlN2at6native12_GLOBAL__N_18offset_tEEE10hipError_tPvRmT1_PNSt15iterator_traitsISK_E10value_typeET2_T3_PNSL_ISQ_E10value_typeET4_jRbjT5_SW_jjP12ihipStream_tbEUlT_E1_NS1_11comp_targetILNS1_3genE10ELNS1_11target_archE1201ELNS1_3gpuE5ELNS1_3repE0EEENS1_59segmented_radix_sort_warp_sort_small_config_static_selectorELNS0_4arch9wavefront6targetE0EEEvSK_
		.amdhsa_group_segment_fixed_size 16384
		.amdhsa_private_segment_fixed_size 0
		.amdhsa_kernarg_size 344
		.amdhsa_user_sgpr_count 2
		.amdhsa_user_sgpr_dispatch_ptr 0
		.amdhsa_user_sgpr_queue_ptr 0
		.amdhsa_user_sgpr_kernarg_segment_ptr 1
		.amdhsa_user_sgpr_dispatch_id 0
		.amdhsa_user_sgpr_private_segment_size 0
		.amdhsa_wavefront_size32 1
		.amdhsa_uses_dynamic_stack 0
		.amdhsa_enable_private_segment 0
		.amdhsa_system_sgpr_workgroup_id_x 1
		.amdhsa_system_sgpr_workgroup_id_y 1
		.amdhsa_system_sgpr_workgroup_id_z 0
		.amdhsa_system_sgpr_workgroup_info 0
		.amdhsa_system_vgpr_workitem_id 2
		.amdhsa_next_free_vgpr 68
		.amdhsa_next_free_sgpr 33
		.amdhsa_reserve_vcc 1
		.amdhsa_float_round_mode_32 0
		.amdhsa_float_round_mode_16_64 0
		.amdhsa_float_denorm_mode_32 3
		.amdhsa_float_denorm_mode_16_64 3
		.amdhsa_fp16_overflow 0
		.amdhsa_workgroup_processor_mode 1
		.amdhsa_memory_ordered 1
		.amdhsa_forward_progress 1
		.amdhsa_inst_pref_size 4
		.amdhsa_round_robin_scheduling 0
		.amdhsa_exception_fp_ieee_invalid_op 0
		.amdhsa_exception_fp_denorm_src 0
		.amdhsa_exception_fp_ieee_div_zero 0
		.amdhsa_exception_fp_ieee_overflow 0
		.amdhsa_exception_fp_ieee_underflow 0
		.amdhsa_exception_fp_ieee_inexact 0
		.amdhsa_exception_int_div_zero 0
	.end_amdhsa_kernel
	.section	.text._ZN7rocprim17ROCPRIM_400000_NS6detail17trampoline_kernelINS0_14default_configENS1_36segmented_radix_sort_config_selectorIdlEEZNS1_25segmented_radix_sort_implIS3_Lb0EPKdPdPKlPlN2at6native12_GLOBAL__N_18offset_tEEE10hipError_tPvRmT1_PNSt15iterator_traitsISK_E10value_typeET2_T3_PNSL_ISQ_E10value_typeET4_jRbjT5_SW_jjP12ihipStream_tbEUlT_E1_NS1_11comp_targetILNS1_3genE10ELNS1_11target_archE1201ELNS1_3gpuE5ELNS1_3repE0EEENS1_59segmented_radix_sort_warp_sort_small_config_static_selectorELNS0_4arch9wavefront6targetE0EEEvSK_,"axG",@progbits,_ZN7rocprim17ROCPRIM_400000_NS6detail17trampoline_kernelINS0_14default_configENS1_36segmented_radix_sort_config_selectorIdlEEZNS1_25segmented_radix_sort_implIS3_Lb0EPKdPdPKlPlN2at6native12_GLOBAL__N_18offset_tEEE10hipError_tPvRmT1_PNSt15iterator_traitsISK_E10value_typeET2_T3_PNSL_ISQ_E10value_typeET4_jRbjT5_SW_jjP12ihipStream_tbEUlT_E1_NS1_11comp_targetILNS1_3genE10ELNS1_11target_archE1201ELNS1_3gpuE5ELNS1_3repE0EEENS1_59segmented_radix_sort_warp_sort_small_config_static_selectorELNS0_4arch9wavefront6targetE0EEEvSK_,comdat
.Lfunc_end1247:
	.size	_ZN7rocprim17ROCPRIM_400000_NS6detail17trampoline_kernelINS0_14default_configENS1_36segmented_radix_sort_config_selectorIdlEEZNS1_25segmented_radix_sort_implIS3_Lb0EPKdPdPKlPlN2at6native12_GLOBAL__N_18offset_tEEE10hipError_tPvRmT1_PNSt15iterator_traitsISK_E10value_typeET2_T3_PNSL_ISQ_E10value_typeET4_jRbjT5_SW_jjP12ihipStream_tbEUlT_E1_NS1_11comp_targetILNS1_3genE10ELNS1_11target_archE1201ELNS1_3gpuE5ELNS1_3repE0EEENS1_59segmented_radix_sort_warp_sort_small_config_static_selectorELNS0_4arch9wavefront6targetE0EEEvSK_, .Lfunc_end1247-_ZN7rocprim17ROCPRIM_400000_NS6detail17trampoline_kernelINS0_14default_configENS1_36segmented_radix_sort_config_selectorIdlEEZNS1_25segmented_radix_sort_implIS3_Lb0EPKdPdPKlPlN2at6native12_GLOBAL__N_18offset_tEEE10hipError_tPvRmT1_PNSt15iterator_traitsISK_E10value_typeET2_T3_PNSL_ISQ_E10value_typeET4_jRbjT5_SW_jjP12ihipStream_tbEUlT_E1_NS1_11comp_targetILNS1_3genE10ELNS1_11target_archE1201ELNS1_3gpuE5ELNS1_3repE0EEENS1_59segmented_radix_sort_warp_sort_small_config_static_selectorELNS0_4arch9wavefront6targetE0EEEvSK_
                                        ; -- End function
	.set _ZN7rocprim17ROCPRIM_400000_NS6detail17trampoline_kernelINS0_14default_configENS1_36segmented_radix_sort_config_selectorIdlEEZNS1_25segmented_radix_sort_implIS3_Lb0EPKdPdPKlPlN2at6native12_GLOBAL__N_18offset_tEEE10hipError_tPvRmT1_PNSt15iterator_traitsISK_E10value_typeET2_T3_PNSL_ISQ_E10value_typeET4_jRbjT5_SW_jjP12ihipStream_tbEUlT_E1_NS1_11comp_targetILNS1_3genE10ELNS1_11target_archE1201ELNS1_3gpuE5ELNS1_3repE0EEENS1_59segmented_radix_sort_warp_sort_small_config_static_selectorELNS0_4arch9wavefront6targetE0EEEvSK_.num_vgpr, max(32, .L_ZN7rocprim17ROCPRIM_400000_NS6detail26segmented_warp_sort_helperINS1_20WarpSortHelperConfigILj8ELj4ELj256EEEdlLi256ELb0EvE4sortIPKdPdPKlPlEEvT_S9_T0_T1_SC_T2_bjjjjRNS5_12storage_typeE.num_vgpr)
	.set _ZN7rocprim17ROCPRIM_400000_NS6detail17trampoline_kernelINS0_14default_configENS1_36segmented_radix_sort_config_selectorIdlEEZNS1_25segmented_radix_sort_implIS3_Lb0EPKdPdPKlPlN2at6native12_GLOBAL__N_18offset_tEEE10hipError_tPvRmT1_PNSt15iterator_traitsISK_E10value_typeET2_T3_PNSL_ISQ_E10value_typeET4_jRbjT5_SW_jjP12ihipStream_tbEUlT_E1_NS1_11comp_targetILNS1_3genE10ELNS1_11target_archE1201ELNS1_3gpuE5ELNS1_3repE0EEENS1_59segmented_radix_sort_warp_sort_small_config_static_selectorELNS0_4arch9wavefront6targetE0EEEvSK_.num_agpr, max(0, .L_ZN7rocprim17ROCPRIM_400000_NS6detail26segmented_warp_sort_helperINS1_20WarpSortHelperConfigILj8ELj4ELj256EEEdlLi256ELb0EvE4sortIPKdPdPKlPlEEvT_S9_T0_T1_SC_T2_bjjjjRNS5_12storage_typeE.num_agpr)
	.set _ZN7rocprim17ROCPRIM_400000_NS6detail17trampoline_kernelINS0_14default_configENS1_36segmented_radix_sort_config_selectorIdlEEZNS1_25segmented_radix_sort_implIS3_Lb0EPKdPdPKlPlN2at6native12_GLOBAL__N_18offset_tEEE10hipError_tPvRmT1_PNSt15iterator_traitsISK_E10value_typeET2_T3_PNSL_ISQ_E10value_typeET4_jRbjT5_SW_jjP12ihipStream_tbEUlT_E1_NS1_11comp_targetILNS1_3genE10ELNS1_11target_archE1201ELNS1_3gpuE5ELNS1_3repE0EEENS1_59segmented_radix_sort_warp_sort_small_config_static_selectorELNS0_4arch9wavefront6targetE0EEEvSK_.numbered_sgpr, max(33, .L_ZN7rocprim17ROCPRIM_400000_NS6detail26segmented_warp_sort_helperINS1_20WarpSortHelperConfigILj8ELj4ELj256EEEdlLi256ELb0EvE4sortIPKdPdPKlPlEEvT_S9_T0_T1_SC_T2_bjjjjRNS5_12storage_typeE.numbered_sgpr)
	.set _ZN7rocprim17ROCPRIM_400000_NS6detail17trampoline_kernelINS0_14default_configENS1_36segmented_radix_sort_config_selectorIdlEEZNS1_25segmented_radix_sort_implIS3_Lb0EPKdPdPKlPlN2at6native12_GLOBAL__N_18offset_tEEE10hipError_tPvRmT1_PNSt15iterator_traitsISK_E10value_typeET2_T3_PNSL_ISQ_E10value_typeET4_jRbjT5_SW_jjP12ihipStream_tbEUlT_E1_NS1_11comp_targetILNS1_3genE10ELNS1_11target_archE1201ELNS1_3gpuE5ELNS1_3repE0EEENS1_59segmented_radix_sort_warp_sort_small_config_static_selectorELNS0_4arch9wavefront6targetE0EEEvSK_.num_named_barrier, max(0, .L_ZN7rocprim17ROCPRIM_400000_NS6detail26segmented_warp_sort_helperINS1_20WarpSortHelperConfigILj8ELj4ELj256EEEdlLi256ELb0EvE4sortIPKdPdPKlPlEEvT_S9_T0_T1_SC_T2_bjjjjRNS5_12storage_typeE.num_named_barrier)
	.set _ZN7rocprim17ROCPRIM_400000_NS6detail17trampoline_kernelINS0_14default_configENS1_36segmented_radix_sort_config_selectorIdlEEZNS1_25segmented_radix_sort_implIS3_Lb0EPKdPdPKlPlN2at6native12_GLOBAL__N_18offset_tEEE10hipError_tPvRmT1_PNSt15iterator_traitsISK_E10value_typeET2_T3_PNSL_ISQ_E10value_typeET4_jRbjT5_SW_jjP12ihipStream_tbEUlT_E1_NS1_11comp_targetILNS1_3genE10ELNS1_11target_archE1201ELNS1_3gpuE5ELNS1_3repE0EEENS1_59segmented_radix_sort_warp_sort_small_config_static_selectorELNS0_4arch9wavefront6targetE0EEEvSK_.private_seg_size, 0+max(.L_ZN7rocprim17ROCPRIM_400000_NS6detail26segmented_warp_sort_helperINS1_20WarpSortHelperConfigILj8ELj4ELj256EEEdlLi256ELb0EvE4sortIPKdPdPKlPlEEvT_S9_T0_T1_SC_T2_bjjjjRNS5_12storage_typeE.private_seg_size)
	.set _ZN7rocprim17ROCPRIM_400000_NS6detail17trampoline_kernelINS0_14default_configENS1_36segmented_radix_sort_config_selectorIdlEEZNS1_25segmented_radix_sort_implIS3_Lb0EPKdPdPKlPlN2at6native12_GLOBAL__N_18offset_tEEE10hipError_tPvRmT1_PNSt15iterator_traitsISK_E10value_typeET2_T3_PNSL_ISQ_E10value_typeET4_jRbjT5_SW_jjP12ihipStream_tbEUlT_E1_NS1_11comp_targetILNS1_3genE10ELNS1_11target_archE1201ELNS1_3gpuE5ELNS1_3repE0EEENS1_59segmented_radix_sort_warp_sort_small_config_static_selectorELNS0_4arch9wavefront6targetE0EEEvSK_.uses_vcc, or(1, .L_ZN7rocprim17ROCPRIM_400000_NS6detail26segmented_warp_sort_helperINS1_20WarpSortHelperConfigILj8ELj4ELj256EEEdlLi256ELb0EvE4sortIPKdPdPKlPlEEvT_S9_T0_T1_SC_T2_bjjjjRNS5_12storage_typeE.uses_vcc)
	.set _ZN7rocprim17ROCPRIM_400000_NS6detail17trampoline_kernelINS0_14default_configENS1_36segmented_radix_sort_config_selectorIdlEEZNS1_25segmented_radix_sort_implIS3_Lb0EPKdPdPKlPlN2at6native12_GLOBAL__N_18offset_tEEE10hipError_tPvRmT1_PNSt15iterator_traitsISK_E10value_typeET2_T3_PNSL_ISQ_E10value_typeET4_jRbjT5_SW_jjP12ihipStream_tbEUlT_E1_NS1_11comp_targetILNS1_3genE10ELNS1_11target_archE1201ELNS1_3gpuE5ELNS1_3repE0EEENS1_59segmented_radix_sort_warp_sort_small_config_static_selectorELNS0_4arch9wavefront6targetE0EEEvSK_.uses_flat_scratch, or(0, .L_ZN7rocprim17ROCPRIM_400000_NS6detail26segmented_warp_sort_helperINS1_20WarpSortHelperConfigILj8ELj4ELj256EEEdlLi256ELb0EvE4sortIPKdPdPKlPlEEvT_S9_T0_T1_SC_T2_bjjjjRNS5_12storage_typeE.uses_flat_scratch)
	.set _ZN7rocprim17ROCPRIM_400000_NS6detail17trampoline_kernelINS0_14default_configENS1_36segmented_radix_sort_config_selectorIdlEEZNS1_25segmented_radix_sort_implIS3_Lb0EPKdPdPKlPlN2at6native12_GLOBAL__N_18offset_tEEE10hipError_tPvRmT1_PNSt15iterator_traitsISK_E10value_typeET2_T3_PNSL_ISQ_E10value_typeET4_jRbjT5_SW_jjP12ihipStream_tbEUlT_E1_NS1_11comp_targetILNS1_3genE10ELNS1_11target_archE1201ELNS1_3gpuE5ELNS1_3repE0EEENS1_59segmented_radix_sort_warp_sort_small_config_static_selectorELNS0_4arch9wavefront6targetE0EEEvSK_.has_dyn_sized_stack, or(0, .L_ZN7rocprim17ROCPRIM_400000_NS6detail26segmented_warp_sort_helperINS1_20WarpSortHelperConfigILj8ELj4ELj256EEEdlLi256ELb0EvE4sortIPKdPdPKlPlEEvT_S9_T0_T1_SC_T2_bjjjjRNS5_12storage_typeE.has_dyn_sized_stack)
	.set _ZN7rocprim17ROCPRIM_400000_NS6detail17trampoline_kernelINS0_14default_configENS1_36segmented_radix_sort_config_selectorIdlEEZNS1_25segmented_radix_sort_implIS3_Lb0EPKdPdPKlPlN2at6native12_GLOBAL__N_18offset_tEEE10hipError_tPvRmT1_PNSt15iterator_traitsISK_E10value_typeET2_T3_PNSL_ISQ_E10value_typeET4_jRbjT5_SW_jjP12ihipStream_tbEUlT_E1_NS1_11comp_targetILNS1_3genE10ELNS1_11target_archE1201ELNS1_3gpuE5ELNS1_3repE0EEENS1_59segmented_radix_sort_warp_sort_small_config_static_selectorELNS0_4arch9wavefront6targetE0EEEvSK_.has_recursion, or(0, .L_ZN7rocprim17ROCPRIM_400000_NS6detail26segmented_warp_sort_helperINS1_20WarpSortHelperConfigILj8ELj4ELj256EEEdlLi256ELb0EvE4sortIPKdPdPKlPlEEvT_S9_T0_T1_SC_T2_bjjjjRNS5_12storage_typeE.has_recursion)
	.set _ZN7rocprim17ROCPRIM_400000_NS6detail17trampoline_kernelINS0_14default_configENS1_36segmented_radix_sort_config_selectorIdlEEZNS1_25segmented_radix_sort_implIS3_Lb0EPKdPdPKlPlN2at6native12_GLOBAL__N_18offset_tEEE10hipError_tPvRmT1_PNSt15iterator_traitsISK_E10value_typeET2_T3_PNSL_ISQ_E10value_typeET4_jRbjT5_SW_jjP12ihipStream_tbEUlT_E1_NS1_11comp_targetILNS1_3genE10ELNS1_11target_archE1201ELNS1_3gpuE5ELNS1_3repE0EEENS1_59segmented_radix_sort_warp_sort_small_config_static_selectorELNS0_4arch9wavefront6targetE0EEEvSK_.has_indirect_call, or(0, .L_ZN7rocprim17ROCPRIM_400000_NS6detail26segmented_warp_sort_helperINS1_20WarpSortHelperConfigILj8ELj4ELj256EEEdlLi256ELb0EvE4sortIPKdPdPKlPlEEvT_S9_T0_T1_SC_T2_bjjjjRNS5_12storage_typeE.has_indirect_call)
	.section	.AMDGPU.csdata,"",@progbits
; Kernel info:
; codeLenInByte = 388
; TotalNumSgprs: 35
; NumVgprs: 68
; ScratchSize: 0
; MemoryBound: 0
; FloatMode: 240
; IeeeMode: 1
; LDSByteSize: 16384 bytes/workgroup (compile time only)
; SGPRBlocks: 0
; VGPRBlocks: 8
; NumSGPRsForWavesPerEU: 35
; NumVGPRsForWavesPerEU: 68
; Occupancy: 16
; WaveLimiterHint : 0
; COMPUTE_PGM_RSRC2:SCRATCH_EN: 0
; COMPUTE_PGM_RSRC2:USER_SGPR: 2
; COMPUTE_PGM_RSRC2:TRAP_HANDLER: 0
; COMPUTE_PGM_RSRC2:TGID_X_EN: 1
; COMPUTE_PGM_RSRC2:TGID_Y_EN: 1
; COMPUTE_PGM_RSRC2:TGID_Z_EN: 0
; COMPUTE_PGM_RSRC2:TIDIG_COMP_CNT: 2
	.section	.text._ZN7rocprim17ROCPRIM_400000_NS6detail17trampoline_kernelINS0_14default_configENS1_36segmented_radix_sort_config_selectorIdlEEZNS1_25segmented_radix_sort_implIS3_Lb0EPKdPdPKlPlN2at6native12_GLOBAL__N_18offset_tEEE10hipError_tPvRmT1_PNSt15iterator_traitsISK_E10value_typeET2_T3_PNSL_ISQ_E10value_typeET4_jRbjT5_SW_jjP12ihipStream_tbEUlT_E1_NS1_11comp_targetILNS1_3genE10ELNS1_11target_archE1200ELNS1_3gpuE4ELNS1_3repE0EEENS1_59segmented_radix_sort_warp_sort_small_config_static_selectorELNS0_4arch9wavefront6targetE0EEEvSK_,"axG",@progbits,_ZN7rocprim17ROCPRIM_400000_NS6detail17trampoline_kernelINS0_14default_configENS1_36segmented_radix_sort_config_selectorIdlEEZNS1_25segmented_radix_sort_implIS3_Lb0EPKdPdPKlPlN2at6native12_GLOBAL__N_18offset_tEEE10hipError_tPvRmT1_PNSt15iterator_traitsISK_E10value_typeET2_T3_PNSL_ISQ_E10value_typeET4_jRbjT5_SW_jjP12ihipStream_tbEUlT_E1_NS1_11comp_targetILNS1_3genE10ELNS1_11target_archE1200ELNS1_3gpuE4ELNS1_3repE0EEENS1_59segmented_radix_sort_warp_sort_small_config_static_selectorELNS0_4arch9wavefront6targetE0EEEvSK_,comdat
	.globl	_ZN7rocprim17ROCPRIM_400000_NS6detail17trampoline_kernelINS0_14default_configENS1_36segmented_radix_sort_config_selectorIdlEEZNS1_25segmented_radix_sort_implIS3_Lb0EPKdPdPKlPlN2at6native12_GLOBAL__N_18offset_tEEE10hipError_tPvRmT1_PNSt15iterator_traitsISK_E10value_typeET2_T3_PNSL_ISQ_E10value_typeET4_jRbjT5_SW_jjP12ihipStream_tbEUlT_E1_NS1_11comp_targetILNS1_3genE10ELNS1_11target_archE1200ELNS1_3gpuE4ELNS1_3repE0EEENS1_59segmented_radix_sort_warp_sort_small_config_static_selectorELNS0_4arch9wavefront6targetE0EEEvSK_ ; -- Begin function _ZN7rocprim17ROCPRIM_400000_NS6detail17trampoline_kernelINS0_14default_configENS1_36segmented_radix_sort_config_selectorIdlEEZNS1_25segmented_radix_sort_implIS3_Lb0EPKdPdPKlPlN2at6native12_GLOBAL__N_18offset_tEEE10hipError_tPvRmT1_PNSt15iterator_traitsISK_E10value_typeET2_T3_PNSL_ISQ_E10value_typeET4_jRbjT5_SW_jjP12ihipStream_tbEUlT_E1_NS1_11comp_targetILNS1_3genE10ELNS1_11target_archE1200ELNS1_3gpuE4ELNS1_3repE0EEENS1_59segmented_radix_sort_warp_sort_small_config_static_selectorELNS0_4arch9wavefront6targetE0EEEvSK_
	.p2align	8
	.type	_ZN7rocprim17ROCPRIM_400000_NS6detail17trampoline_kernelINS0_14default_configENS1_36segmented_radix_sort_config_selectorIdlEEZNS1_25segmented_radix_sort_implIS3_Lb0EPKdPdPKlPlN2at6native12_GLOBAL__N_18offset_tEEE10hipError_tPvRmT1_PNSt15iterator_traitsISK_E10value_typeET2_T3_PNSL_ISQ_E10value_typeET4_jRbjT5_SW_jjP12ihipStream_tbEUlT_E1_NS1_11comp_targetILNS1_3genE10ELNS1_11target_archE1200ELNS1_3gpuE4ELNS1_3repE0EEENS1_59segmented_radix_sort_warp_sort_small_config_static_selectorELNS0_4arch9wavefront6targetE0EEEvSK_,@function
_ZN7rocprim17ROCPRIM_400000_NS6detail17trampoline_kernelINS0_14default_configENS1_36segmented_radix_sort_config_selectorIdlEEZNS1_25segmented_radix_sort_implIS3_Lb0EPKdPdPKlPlN2at6native12_GLOBAL__N_18offset_tEEE10hipError_tPvRmT1_PNSt15iterator_traitsISK_E10value_typeET2_T3_PNSL_ISQ_E10value_typeET4_jRbjT5_SW_jjP12ihipStream_tbEUlT_E1_NS1_11comp_targetILNS1_3genE10ELNS1_11target_archE1200ELNS1_3gpuE4ELNS1_3repE0EEENS1_59segmented_radix_sort_warp_sort_small_config_static_selectorELNS0_4arch9wavefront6targetE0EEEvSK_: ; @_ZN7rocprim17ROCPRIM_400000_NS6detail17trampoline_kernelINS0_14default_configENS1_36segmented_radix_sort_config_selectorIdlEEZNS1_25segmented_radix_sort_implIS3_Lb0EPKdPdPKlPlN2at6native12_GLOBAL__N_18offset_tEEE10hipError_tPvRmT1_PNSt15iterator_traitsISK_E10value_typeET2_T3_PNSL_ISQ_E10value_typeET4_jRbjT5_SW_jjP12ihipStream_tbEUlT_E1_NS1_11comp_targetILNS1_3genE10ELNS1_11target_archE1200ELNS1_3gpuE4ELNS1_3repE0EEENS1_59segmented_radix_sort_warp_sort_small_config_static_selectorELNS0_4arch9wavefront6targetE0EEEvSK_
; %bb.0:
	.section	.rodata,"a",@progbits
	.p2align	6, 0x0
	.amdhsa_kernel _ZN7rocprim17ROCPRIM_400000_NS6detail17trampoline_kernelINS0_14default_configENS1_36segmented_radix_sort_config_selectorIdlEEZNS1_25segmented_radix_sort_implIS3_Lb0EPKdPdPKlPlN2at6native12_GLOBAL__N_18offset_tEEE10hipError_tPvRmT1_PNSt15iterator_traitsISK_E10value_typeET2_T3_PNSL_ISQ_E10value_typeET4_jRbjT5_SW_jjP12ihipStream_tbEUlT_E1_NS1_11comp_targetILNS1_3genE10ELNS1_11target_archE1200ELNS1_3gpuE4ELNS1_3repE0EEENS1_59segmented_radix_sort_warp_sort_small_config_static_selectorELNS0_4arch9wavefront6targetE0EEEvSK_
		.amdhsa_group_segment_fixed_size 0
		.amdhsa_private_segment_fixed_size 0
		.amdhsa_kernarg_size 88
		.amdhsa_user_sgpr_count 2
		.amdhsa_user_sgpr_dispatch_ptr 0
		.amdhsa_user_sgpr_queue_ptr 0
		.amdhsa_user_sgpr_kernarg_segment_ptr 1
		.amdhsa_user_sgpr_dispatch_id 0
		.amdhsa_user_sgpr_private_segment_size 0
		.amdhsa_wavefront_size32 1
		.amdhsa_uses_dynamic_stack 0
		.amdhsa_enable_private_segment 0
		.amdhsa_system_sgpr_workgroup_id_x 1
		.amdhsa_system_sgpr_workgroup_id_y 0
		.amdhsa_system_sgpr_workgroup_id_z 0
		.amdhsa_system_sgpr_workgroup_info 0
		.amdhsa_system_vgpr_workitem_id 0
		.amdhsa_next_free_vgpr 1
		.amdhsa_next_free_sgpr 1
		.amdhsa_reserve_vcc 0
		.amdhsa_float_round_mode_32 0
		.amdhsa_float_round_mode_16_64 0
		.amdhsa_float_denorm_mode_32 3
		.amdhsa_float_denorm_mode_16_64 3
		.amdhsa_fp16_overflow 0
		.amdhsa_workgroup_processor_mode 1
		.amdhsa_memory_ordered 1
		.amdhsa_forward_progress 1
		.amdhsa_inst_pref_size 0
		.amdhsa_round_robin_scheduling 0
		.amdhsa_exception_fp_ieee_invalid_op 0
		.amdhsa_exception_fp_denorm_src 0
		.amdhsa_exception_fp_ieee_div_zero 0
		.amdhsa_exception_fp_ieee_overflow 0
		.amdhsa_exception_fp_ieee_underflow 0
		.amdhsa_exception_fp_ieee_inexact 0
		.amdhsa_exception_int_div_zero 0
	.end_amdhsa_kernel
	.section	.text._ZN7rocprim17ROCPRIM_400000_NS6detail17trampoline_kernelINS0_14default_configENS1_36segmented_radix_sort_config_selectorIdlEEZNS1_25segmented_radix_sort_implIS3_Lb0EPKdPdPKlPlN2at6native12_GLOBAL__N_18offset_tEEE10hipError_tPvRmT1_PNSt15iterator_traitsISK_E10value_typeET2_T3_PNSL_ISQ_E10value_typeET4_jRbjT5_SW_jjP12ihipStream_tbEUlT_E1_NS1_11comp_targetILNS1_3genE10ELNS1_11target_archE1200ELNS1_3gpuE4ELNS1_3repE0EEENS1_59segmented_radix_sort_warp_sort_small_config_static_selectorELNS0_4arch9wavefront6targetE0EEEvSK_,"axG",@progbits,_ZN7rocprim17ROCPRIM_400000_NS6detail17trampoline_kernelINS0_14default_configENS1_36segmented_radix_sort_config_selectorIdlEEZNS1_25segmented_radix_sort_implIS3_Lb0EPKdPdPKlPlN2at6native12_GLOBAL__N_18offset_tEEE10hipError_tPvRmT1_PNSt15iterator_traitsISK_E10value_typeET2_T3_PNSL_ISQ_E10value_typeET4_jRbjT5_SW_jjP12ihipStream_tbEUlT_E1_NS1_11comp_targetILNS1_3genE10ELNS1_11target_archE1200ELNS1_3gpuE4ELNS1_3repE0EEENS1_59segmented_radix_sort_warp_sort_small_config_static_selectorELNS0_4arch9wavefront6targetE0EEEvSK_,comdat
.Lfunc_end1248:
	.size	_ZN7rocprim17ROCPRIM_400000_NS6detail17trampoline_kernelINS0_14default_configENS1_36segmented_radix_sort_config_selectorIdlEEZNS1_25segmented_radix_sort_implIS3_Lb0EPKdPdPKlPlN2at6native12_GLOBAL__N_18offset_tEEE10hipError_tPvRmT1_PNSt15iterator_traitsISK_E10value_typeET2_T3_PNSL_ISQ_E10value_typeET4_jRbjT5_SW_jjP12ihipStream_tbEUlT_E1_NS1_11comp_targetILNS1_3genE10ELNS1_11target_archE1200ELNS1_3gpuE4ELNS1_3repE0EEENS1_59segmented_radix_sort_warp_sort_small_config_static_selectorELNS0_4arch9wavefront6targetE0EEEvSK_, .Lfunc_end1248-_ZN7rocprim17ROCPRIM_400000_NS6detail17trampoline_kernelINS0_14default_configENS1_36segmented_radix_sort_config_selectorIdlEEZNS1_25segmented_radix_sort_implIS3_Lb0EPKdPdPKlPlN2at6native12_GLOBAL__N_18offset_tEEE10hipError_tPvRmT1_PNSt15iterator_traitsISK_E10value_typeET2_T3_PNSL_ISQ_E10value_typeET4_jRbjT5_SW_jjP12ihipStream_tbEUlT_E1_NS1_11comp_targetILNS1_3genE10ELNS1_11target_archE1200ELNS1_3gpuE4ELNS1_3repE0EEENS1_59segmented_radix_sort_warp_sort_small_config_static_selectorELNS0_4arch9wavefront6targetE0EEEvSK_
                                        ; -- End function
	.set _ZN7rocprim17ROCPRIM_400000_NS6detail17trampoline_kernelINS0_14default_configENS1_36segmented_radix_sort_config_selectorIdlEEZNS1_25segmented_radix_sort_implIS3_Lb0EPKdPdPKlPlN2at6native12_GLOBAL__N_18offset_tEEE10hipError_tPvRmT1_PNSt15iterator_traitsISK_E10value_typeET2_T3_PNSL_ISQ_E10value_typeET4_jRbjT5_SW_jjP12ihipStream_tbEUlT_E1_NS1_11comp_targetILNS1_3genE10ELNS1_11target_archE1200ELNS1_3gpuE4ELNS1_3repE0EEENS1_59segmented_radix_sort_warp_sort_small_config_static_selectorELNS0_4arch9wavefront6targetE0EEEvSK_.num_vgpr, 0
	.set _ZN7rocprim17ROCPRIM_400000_NS6detail17trampoline_kernelINS0_14default_configENS1_36segmented_radix_sort_config_selectorIdlEEZNS1_25segmented_radix_sort_implIS3_Lb0EPKdPdPKlPlN2at6native12_GLOBAL__N_18offset_tEEE10hipError_tPvRmT1_PNSt15iterator_traitsISK_E10value_typeET2_T3_PNSL_ISQ_E10value_typeET4_jRbjT5_SW_jjP12ihipStream_tbEUlT_E1_NS1_11comp_targetILNS1_3genE10ELNS1_11target_archE1200ELNS1_3gpuE4ELNS1_3repE0EEENS1_59segmented_radix_sort_warp_sort_small_config_static_selectorELNS0_4arch9wavefront6targetE0EEEvSK_.num_agpr, 0
	.set _ZN7rocprim17ROCPRIM_400000_NS6detail17trampoline_kernelINS0_14default_configENS1_36segmented_radix_sort_config_selectorIdlEEZNS1_25segmented_radix_sort_implIS3_Lb0EPKdPdPKlPlN2at6native12_GLOBAL__N_18offset_tEEE10hipError_tPvRmT1_PNSt15iterator_traitsISK_E10value_typeET2_T3_PNSL_ISQ_E10value_typeET4_jRbjT5_SW_jjP12ihipStream_tbEUlT_E1_NS1_11comp_targetILNS1_3genE10ELNS1_11target_archE1200ELNS1_3gpuE4ELNS1_3repE0EEENS1_59segmented_radix_sort_warp_sort_small_config_static_selectorELNS0_4arch9wavefront6targetE0EEEvSK_.numbered_sgpr, 0
	.set _ZN7rocprim17ROCPRIM_400000_NS6detail17trampoline_kernelINS0_14default_configENS1_36segmented_radix_sort_config_selectorIdlEEZNS1_25segmented_radix_sort_implIS3_Lb0EPKdPdPKlPlN2at6native12_GLOBAL__N_18offset_tEEE10hipError_tPvRmT1_PNSt15iterator_traitsISK_E10value_typeET2_T3_PNSL_ISQ_E10value_typeET4_jRbjT5_SW_jjP12ihipStream_tbEUlT_E1_NS1_11comp_targetILNS1_3genE10ELNS1_11target_archE1200ELNS1_3gpuE4ELNS1_3repE0EEENS1_59segmented_radix_sort_warp_sort_small_config_static_selectorELNS0_4arch9wavefront6targetE0EEEvSK_.num_named_barrier, 0
	.set _ZN7rocprim17ROCPRIM_400000_NS6detail17trampoline_kernelINS0_14default_configENS1_36segmented_radix_sort_config_selectorIdlEEZNS1_25segmented_radix_sort_implIS3_Lb0EPKdPdPKlPlN2at6native12_GLOBAL__N_18offset_tEEE10hipError_tPvRmT1_PNSt15iterator_traitsISK_E10value_typeET2_T3_PNSL_ISQ_E10value_typeET4_jRbjT5_SW_jjP12ihipStream_tbEUlT_E1_NS1_11comp_targetILNS1_3genE10ELNS1_11target_archE1200ELNS1_3gpuE4ELNS1_3repE0EEENS1_59segmented_radix_sort_warp_sort_small_config_static_selectorELNS0_4arch9wavefront6targetE0EEEvSK_.private_seg_size, 0
	.set _ZN7rocprim17ROCPRIM_400000_NS6detail17trampoline_kernelINS0_14default_configENS1_36segmented_radix_sort_config_selectorIdlEEZNS1_25segmented_radix_sort_implIS3_Lb0EPKdPdPKlPlN2at6native12_GLOBAL__N_18offset_tEEE10hipError_tPvRmT1_PNSt15iterator_traitsISK_E10value_typeET2_T3_PNSL_ISQ_E10value_typeET4_jRbjT5_SW_jjP12ihipStream_tbEUlT_E1_NS1_11comp_targetILNS1_3genE10ELNS1_11target_archE1200ELNS1_3gpuE4ELNS1_3repE0EEENS1_59segmented_radix_sort_warp_sort_small_config_static_selectorELNS0_4arch9wavefront6targetE0EEEvSK_.uses_vcc, 0
	.set _ZN7rocprim17ROCPRIM_400000_NS6detail17trampoline_kernelINS0_14default_configENS1_36segmented_radix_sort_config_selectorIdlEEZNS1_25segmented_radix_sort_implIS3_Lb0EPKdPdPKlPlN2at6native12_GLOBAL__N_18offset_tEEE10hipError_tPvRmT1_PNSt15iterator_traitsISK_E10value_typeET2_T3_PNSL_ISQ_E10value_typeET4_jRbjT5_SW_jjP12ihipStream_tbEUlT_E1_NS1_11comp_targetILNS1_3genE10ELNS1_11target_archE1200ELNS1_3gpuE4ELNS1_3repE0EEENS1_59segmented_radix_sort_warp_sort_small_config_static_selectorELNS0_4arch9wavefront6targetE0EEEvSK_.uses_flat_scratch, 0
	.set _ZN7rocprim17ROCPRIM_400000_NS6detail17trampoline_kernelINS0_14default_configENS1_36segmented_radix_sort_config_selectorIdlEEZNS1_25segmented_radix_sort_implIS3_Lb0EPKdPdPKlPlN2at6native12_GLOBAL__N_18offset_tEEE10hipError_tPvRmT1_PNSt15iterator_traitsISK_E10value_typeET2_T3_PNSL_ISQ_E10value_typeET4_jRbjT5_SW_jjP12ihipStream_tbEUlT_E1_NS1_11comp_targetILNS1_3genE10ELNS1_11target_archE1200ELNS1_3gpuE4ELNS1_3repE0EEENS1_59segmented_radix_sort_warp_sort_small_config_static_selectorELNS0_4arch9wavefront6targetE0EEEvSK_.has_dyn_sized_stack, 0
	.set _ZN7rocprim17ROCPRIM_400000_NS6detail17trampoline_kernelINS0_14default_configENS1_36segmented_radix_sort_config_selectorIdlEEZNS1_25segmented_radix_sort_implIS3_Lb0EPKdPdPKlPlN2at6native12_GLOBAL__N_18offset_tEEE10hipError_tPvRmT1_PNSt15iterator_traitsISK_E10value_typeET2_T3_PNSL_ISQ_E10value_typeET4_jRbjT5_SW_jjP12ihipStream_tbEUlT_E1_NS1_11comp_targetILNS1_3genE10ELNS1_11target_archE1200ELNS1_3gpuE4ELNS1_3repE0EEENS1_59segmented_radix_sort_warp_sort_small_config_static_selectorELNS0_4arch9wavefront6targetE0EEEvSK_.has_recursion, 0
	.set _ZN7rocprim17ROCPRIM_400000_NS6detail17trampoline_kernelINS0_14default_configENS1_36segmented_radix_sort_config_selectorIdlEEZNS1_25segmented_radix_sort_implIS3_Lb0EPKdPdPKlPlN2at6native12_GLOBAL__N_18offset_tEEE10hipError_tPvRmT1_PNSt15iterator_traitsISK_E10value_typeET2_T3_PNSL_ISQ_E10value_typeET4_jRbjT5_SW_jjP12ihipStream_tbEUlT_E1_NS1_11comp_targetILNS1_3genE10ELNS1_11target_archE1200ELNS1_3gpuE4ELNS1_3repE0EEENS1_59segmented_radix_sort_warp_sort_small_config_static_selectorELNS0_4arch9wavefront6targetE0EEEvSK_.has_indirect_call, 0
	.section	.AMDGPU.csdata,"",@progbits
; Kernel info:
; codeLenInByte = 0
; TotalNumSgprs: 0
; NumVgprs: 0
; ScratchSize: 0
; MemoryBound: 0
; FloatMode: 240
; IeeeMode: 1
; LDSByteSize: 0 bytes/workgroup (compile time only)
; SGPRBlocks: 0
; VGPRBlocks: 0
; NumSGPRsForWavesPerEU: 1
; NumVGPRsForWavesPerEU: 1
; Occupancy: 16
; WaveLimiterHint : 0
; COMPUTE_PGM_RSRC2:SCRATCH_EN: 0
; COMPUTE_PGM_RSRC2:USER_SGPR: 2
; COMPUTE_PGM_RSRC2:TRAP_HANDLER: 0
; COMPUTE_PGM_RSRC2:TGID_X_EN: 1
; COMPUTE_PGM_RSRC2:TGID_Y_EN: 0
; COMPUTE_PGM_RSRC2:TGID_Z_EN: 0
; COMPUTE_PGM_RSRC2:TIDIG_COMP_CNT: 0
	.section	.text._ZN7rocprim17ROCPRIM_400000_NS6detail17trampoline_kernelINS0_14default_configENS1_36segmented_radix_sort_config_selectorIdlEEZNS1_25segmented_radix_sort_implIS3_Lb0EPKdPdPKlPlN2at6native12_GLOBAL__N_18offset_tEEE10hipError_tPvRmT1_PNSt15iterator_traitsISK_E10value_typeET2_T3_PNSL_ISQ_E10value_typeET4_jRbjT5_SW_jjP12ihipStream_tbEUlT_E1_NS1_11comp_targetILNS1_3genE9ELNS1_11target_archE1100ELNS1_3gpuE3ELNS1_3repE0EEENS1_59segmented_radix_sort_warp_sort_small_config_static_selectorELNS0_4arch9wavefront6targetE0EEEvSK_,"axG",@progbits,_ZN7rocprim17ROCPRIM_400000_NS6detail17trampoline_kernelINS0_14default_configENS1_36segmented_radix_sort_config_selectorIdlEEZNS1_25segmented_radix_sort_implIS3_Lb0EPKdPdPKlPlN2at6native12_GLOBAL__N_18offset_tEEE10hipError_tPvRmT1_PNSt15iterator_traitsISK_E10value_typeET2_T3_PNSL_ISQ_E10value_typeET4_jRbjT5_SW_jjP12ihipStream_tbEUlT_E1_NS1_11comp_targetILNS1_3genE9ELNS1_11target_archE1100ELNS1_3gpuE3ELNS1_3repE0EEENS1_59segmented_radix_sort_warp_sort_small_config_static_selectorELNS0_4arch9wavefront6targetE0EEEvSK_,comdat
	.globl	_ZN7rocprim17ROCPRIM_400000_NS6detail17trampoline_kernelINS0_14default_configENS1_36segmented_radix_sort_config_selectorIdlEEZNS1_25segmented_radix_sort_implIS3_Lb0EPKdPdPKlPlN2at6native12_GLOBAL__N_18offset_tEEE10hipError_tPvRmT1_PNSt15iterator_traitsISK_E10value_typeET2_T3_PNSL_ISQ_E10value_typeET4_jRbjT5_SW_jjP12ihipStream_tbEUlT_E1_NS1_11comp_targetILNS1_3genE9ELNS1_11target_archE1100ELNS1_3gpuE3ELNS1_3repE0EEENS1_59segmented_radix_sort_warp_sort_small_config_static_selectorELNS0_4arch9wavefront6targetE0EEEvSK_ ; -- Begin function _ZN7rocprim17ROCPRIM_400000_NS6detail17trampoline_kernelINS0_14default_configENS1_36segmented_radix_sort_config_selectorIdlEEZNS1_25segmented_radix_sort_implIS3_Lb0EPKdPdPKlPlN2at6native12_GLOBAL__N_18offset_tEEE10hipError_tPvRmT1_PNSt15iterator_traitsISK_E10value_typeET2_T3_PNSL_ISQ_E10value_typeET4_jRbjT5_SW_jjP12ihipStream_tbEUlT_E1_NS1_11comp_targetILNS1_3genE9ELNS1_11target_archE1100ELNS1_3gpuE3ELNS1_3repE0EEENS1_59segmented_radix_sort_warp_sort_small_config_static_selectorELNS0_4arch9wavefront6targetE0EEEvSK_
	.p2align	8
	.type	_ZN7rocprim17ROCPRIM_400000_NS6detail17trampoline_kernelINS0_14default_configENS1_36segmented_radix_sort_config_selectorIdlEEZNS1_25segmented_radix_sort_implIS3_Lb0EPKdPdPKlPlN2at6native12_GLOBAL__N_18offset_tEEE10hipError_tPvRmT1_PNSt15iterator_traitsISK_E10value_typeET2_T3_PNSL_ISQ_E10value_typeET4_jRbjT5_SW_jjP12ihipStream_tbEUlT_E1_NS1_11comp_targetILNS1_3genE9ELNS1_11target_archE1100ELNS1_3gpuE3ELNS1_3repE0EEENS1_59segmented_radix_sort_warp_sort_small_config_static_selectorELNS0_4arch9wavefront6targetE0EEEvSK_,@function
_ZN7rocprim17ROCPRIM_400000_NS6detail17trampoline_kernelINS0_14default_configENS1_36segmented_radix_sort_config_selectorIdlEEZNS1_25segmented_radix_sort_implIS3_Lb0EPKdPdPKlPlN2at6native12_GLOBAL__N_18offset_tEEE10hipError_tPvRmT1_PNSt15iterator_traitsISK_E10value_typeET2_T3_PNSL_ISQ_E10value_typeET4_jRbjT5_SW_jjP12ihipStream_tbEUlT_E1_NS1_11comp_targetILNS1_3genE9ELNS1_11target_archE1100ELNS1_3gpuE3ELNS1_3repE0EEENS1_59segmented_radix_sort_warp_sort_small_config_static_selectorELNS0_4arch9wavefront6targetE0EEEvSK_: ; @_ZN7rocprim17ROCPRIM_400000_NS6detail17trampoline_kernelINS0_14default_configENS1_36segmented_radix_sort_config_selectorIdlEEZNS1_25segmented_radix_sort_implIS3_Lb0EPKdPdPKlPlN2at6native12_GLOBAL__N_18offset_tEEE10hipError_tPvRmT1_PNSt15iterator_traitsISK_E10value_typeET2_T3_PNSL_ISQ_E10value_typeET4_jRbjT5_SW_jjP12ihipStream_tbEUlT_E1_NS1_11comp_targetILNS1_3genE9ELNS1_11target_archE1100ELNS1_3gpuE3ELNS1_3repE0EEENS1_59segmented_radix_sort_warp_sort_small_config_static_selectorELNS0_4arch9wavefront6targetE0EEEvSK_
; %bb.0:
	.section	.rodata,"a",@progbits
	.p2align	6, 0x0
	.amdhsa_kernel _ZN7rocprim17ROCPRIM_400000_NS6detail17trampoline_kernelINS0_14default_configENS1_36segmented_radix_sort_config_selectorIdlEEZNS1_25segmented_radix_sort_implIS3_Lb0EPKdPdPKlPlN2at6native12_GLOBAL__N_18offset_tEEE10hipError_tPvRmT1_PNSt15iterator_traitsISK_E10value_typeET2_T3_PNSL_ISQ_E10value_typeET4_jRbjT5_SW_jjP12ihipStream_tbEUlT_E1_NS1_11comp_targetILNS1_3genE9ELNS1_11target_archE1100ELNS1_3gpuE3ELNS1_3repE0EEENS1_59segmented_radix_sort_warp_sort_small_config_static_selectorELNS0_4arch9wavefront6targetE0EEEvSK_
		.amdhsa_group_segment_fixed_size 0
		.amdhsa_private_segment_fixed_size 0
		.amdhsa_kernarg_size 88
		.amdhsa_user_sgpr_count 2
		.amdhsa_user_sgpr_dispatch_ptr 0
		.amdhsa_user_sgpr_queue_ptr 0
		.amdhsa_user_sgpr_kernarg_segment_ptr 1
		.amdhsa_user_sgpr_dispatch_id 0
		.amdhsa_user_sgpr_private_segment_size 0
		.amdhsa_wavefront_size32 1
		.amdhsa_uses_dynamic_stack 0
		.amdhsa_enable_private_segment 0
		.amdhsa_system_sgpr_workgroup_id_x 1
		.amdhsa_system_sgpr_workgroup_id_y 0
		.amdhsa_system_sgpr_workgroup_id_z 0
		.amdhsa_system_sgpr_workgroup_info 0
		.amdhsa_system_vgpr_workitem_id 0
		.amdhsa_next_free_vgpr 1
		.amdhsa_next_free_sgpr 1
		.amdhsa_reserve_vcc 0
		.amdhsa_float_round_mode_32 0
		.amdhsa_float_round_mode_16_64 0
		.amdhsa_float_denorm_mode_32 3
		.amdhsa_float_denorm_mode_16_64 3
		.amdhsa_fp16_overflow 0
		.amdhsa_workgroup_processor_mode 1
		.amdhsa_memory_ordered 1
		.amdhsa_forward_progress 1
		.amdhsa_inst_pref_size 0
		.amdhsa_round_robin_scheduling 0
		.amdhsa_exception_fp_ieee_invalid_op 0
		.amdhsa_exception_fp_denorm_src 0
		.amdhsa_exception_fp_ieee_div_zero 0
		.amdhsa_exception_fp_ieee_overflow 0
		.amdhsa_exception_fp_ieee_underflow 0
		.amdhsa_exception_fp_ieee_inexact 0
		.amdhsa_exception_int_div_zero 0
	.end_amdhsa_kernel
	.section	.text._ZN7rocprim17ROCPRIM_400000_NS6detail17trampoline_kernelINS0_14default_configENS1_36segmented_radix_sort_config_selectorIdlEEZNS1_25segmented_radix_sort_implIS3_Lb0EPKdPdPKlPlN2at6native12_GLOBAL__N_18offset_tEEE10hipError_tPvRmT1_PNSt15iterator_traitsISK_E10value_typeET2_T3_PNSL_ISQ_E10value_typeET4_jRbjT5_SW_jjP12ihipStream_tbEUlT_E1_NS1_11comp_targetILNS1_3genE9ELNS1_11target_archE1100ELNS1_3gpuE3ELNS1_3repE0EEENS1_59segmented_radix_sort_warp_sort_small_config_static_selectorELNS0_4arch9wavefront6targetE0EEEvSK_,"axG",@progbits,_ZN7rocprim17ROCPRIM_400000_NS6detail17trampoline_kernelINS0_14default_configENS1_36segmented_radix_sort_config_selectorIdlEEZNS1_25segmented_radix_sort_implIS3_Lb0EPKdPdPKlPlN2at6native12_GLOBAL__N_18offset_tEEE10hipError_tPvRmT1_PNSt15iterator_traitsISK_E10value_typeET2_T3_PNSL_ISQ_E10value_typeET4_jRbjT5_SW_jjP12ihipStream_tbEUlT_E1_NS1_11comp_targetILNS1_3genE9ELNS1_11target_archE1100ELNS1_3gpuE3ELNS1_3repE0EEENS1_59segmented_radix_sort_warp_sort_small_config_static_selectorELNS0_4arch9wavefront6targetE0EEEvSK_,comdat
.Lfunc_end1249:
	.size	_ZN7rocprim17ROCPRIM_400000_NS6detail17trampoline_kernelINS0_14default_configENS1_36segmented_radix_sort_config_selectorIdlEEZNS1_25segmented_radix_sort_implIS3_Lb0EPKdPdPKlPlN2at6native12_GLOBAL__N_18offset_tEEE10hipError_tPvRmT1_PNSt15iterator_traitsISK_E10value_typeET2_T3_PNSL_ISQ_E10value_typeET4_jRbjT5_SW_jjP12ihipStream_tbEUlT_E1_NS1_11comp_targetILNS1_3genE9ELNS1_11target_archE1100ELNS1_3gpuE3ELNS1_3repE0EEENS1_59segmented_radix_sort_warp_sort_small_config_static_selectorELNS0_4arch9wavefront6targetE0EEEvSK_, .Lfunc_end1249-_ZN7rocprim17ROCPRIM_400000_NS6detail17trampoline_kernelINS0_14default_configENS1_36segmented_radix_sort_config_selectorIdlEEZNS1_25segmented_radix_sort_implIS3_Lb0EPKdPdPKlPlN2at6native12_GLOBAL__N_18offset_tEEE10hipError_tPvRmT1_PNSt15iterator_traitsISK_E10value_typeET2_T3_PNSL_ISQ_E10value_typeET4_jRbjT5_SW_jjP12ihipStream_tbEUlT_E1_NS1_11comp_targetILNS1_3genE9ELNS1_11target_archE1100ELNS1_3gpuE3ELNS1_3repE0EEENS1_59segmented_radix_sort_warp_sort_small_config_static_selectorELNS0_4arch9wavefront6targetE0EEEvSK_
                                        ; -- End function
	.set _ZN7rocprim17ROCPRIM_400000_NS6detail17trampoline_kernelINS0_14default_configENS1_36segmented_radix_sort_config_selectorIdlEEZNS1_25segmented_radix_sort_implIS3_Lb0EPKdPdPKlPlN2at6native12_GLOBAL__N_18offset_tEEE10hipError_tPvRmT1_PNSt15iterator_traitsISK_E10value_typeET2_T3_PNSL_ISQ_E10value_typeET4_jRbjT5_SW_jjP12ihipStream_tbEUlT_E1_NS1_11comp_targetILNS1_3genE9ELNS1_11target_archE1100ELNS1_3gpuE3ELNS1_3repE0EEENS1_59segmented_radix_sort_warp_sort_small_config_static_selectorELNS0_4arch9wavefront6targetE0EEEvSK_.num_vgpr, 0
	.set _ZN7rocprim17ROCPRIM_400000_NS6detail17trampoline_kernelINS0_14default_configENS1_36segmented_radix_sort_config_selectorIdlEEZNS1_25segmented_radix_sort_implIS3_Lb0EPKdPdPKlPlN2at6native12_GLOBAL__N_18offset_tEEE10hipError_tPvRmT1_PNSt15iterator_traitsISK_E10value_typeET2_T3_PNSL_ISQ_E10value_typeET4_jRbjT5_SW_jjP12ihipStream_tbEUlT_E1_NS1_11comp_targetILNS1_3genE9ELNS1_11target_archE1100ELNS1_3gpuE3ELNS1_3repE0EEENS1_59segmented_radix_sort_warp_sort_small_config_static_selectorELNS0_4arch9wavefront6targetE0EEEvSK_.num_agpr, 0
	.set _ZN7rocprim17ROCPRIM_400000_NS6detail17trampoline_kernelINS0_14default_configENS1_36segmented_radix_sort_config_selectorIdlEEZNS1_25segmented_radix_sort_implIS3_Lb0EPKdPdPKlPlN2at6native12_GLOBAL__N_18offset_tEEE10hipError_tPvRmT1_PNSt15iterator_traitsISK_E10value_typeET2_T3_PNSL_ISQ_E10value_typeET4_jRbjT5_SW_jjP12ihipStream_tbEUlT_E1_NS1_11comp_targetILNS1_3genE9ELNS1_11target_archE1100ELNS1_3gpuE3ELNS1_3repE0EEENS1_59segmented_radix_sort_warp_sort_small_config_static_selectorELNS0_4arch9wavefront6targetE0EEEvSK_.numbered_sgpr, 0
	.set _ZN7rocprim17ROCPRIM_400000_NS6detail17trampoline_kernelINS0_14default_configENS1_36segmented_radix_sort_config_selectorIdlEEZNS1_25segmented_radix_sort_implIS3_Lb0EPKdPdPKlPlN2at6native12_GLOBAL__N_18offset_tEEE10hipError_tPvRmT1_PNSt15iterator_traitsISK_E10value_typeET2_T3_PNSL_ISQ_E10value_typeET4_jRbjT5_SW_jjP12ihipStream_tbEUlT_E1_NS1_11comp_targetILNS1_3genE9ELNS1_11target_archE1100ELNS1_3gpuE3ELNS1_3repE0EEENS1_59segmented_radix_sort_warp_sort_small_config_static_selectorELNS0_4arch9wavefront6targetE0EEEvSK_.num_named_barrier, 0
	.set _ZN7rocprim17ROCPRIM_400000_NS6detail17trampoline_kernelINS0_14default_configENS1_36segmented_radix_sort_config_selectorIdlEEZNS1_25segmented_radix_sort_implIS3_Lb0EPKdPdPKlPlN2at6native12_GLOBAL__N_18offset_tEEE10hipError_tPvRmT1_PNSt15iterator_traitsISK_E10value_typeET2_T3_PNSL_ISQ_E10value_typeET4_jRbjT5_SW_jjP12ihipStream_tbEUlT_E1_NS1_11comp_targetILNS1_3genE9ELNS1_11target_archE1100ELNS1_3gpuE3ELNS1_3repE0EEENS1_59segmented_radix_sort_warp_sort_small_config_static_selectorELNS0_4arch9wavefront6targetE0EEEvSK_.private_seg_size, 0
	.set _ZN7rocprim17ROCPRIM_400000_NS6detail17trampoline_kernelINS0_14default_configENS1_36segmented_radix_sort_config_selectorIdlEEZNS1_25segmented_radix_sort_implIS3_Lb0EPKdPdPKlPlN2at6native12_GLOBAL__N_18offset_tEEE10hipError_tPvRmT1_PNSt15iterator_traitsISK_E10value_typeET2_T3_PNSL_ISQ_E10value_typeET4_jRbjT5_SW_jjP12ihipStream_tbEUlT_E1_NS1_11comp_targetILNS1_3genE9ELNS1_11target_archE1100ELNS1_3gpuE3ELNS1_3repE0EEENS1_59segmented_radix_sort_warp_sort_small_config_static_selectorELNS0_4arch9wavefront6targetE0EEEvSK_.uses_vcc, 0
	.set _ZN7rocprim17ROCPRIM_400000_NS6detail17trampoline_kernelINS0_14default_configENS1_36segmented_radix_sort_config_selectorIdlEEZNS1_25segmented_radix_sort_implIS3_Lb0EPKdPdPKlPlN2at6native12_GLOBAL__N_18offset_tEEE10hipError_tPvRmT1_PNSt15iterator_traitsISK_E10value_typeET2_T3_PNSL_ISQ_E10value_typeET4_jRbjT5_SW_jjP12ihipStream_tbEUlT_E1_NS1_11comp_targetILNS1_3genE9ELNS1_11target_archE1100ELNS1_3gpuE3ELNS1_3repE0EEENS1_59segmented_radix_sort_warp_sort_small_config_static_selectorELNS0_4arch9wavefront6targetE0EEEvSK_.uses_flat_scratch, 0
	.set _ZN7rocprim17ROCPRIM_400000_NS6detail17trampoline_kernelINS0_14default_configENS1_36segmented_radix_sort_config_selectorIdlEEZNS1_25segmented_radix_sort_implIS3_Lb0EPKdPdPKlPlN2at6native12_GLOBAL__N_18offset_tEEE10hipError_tPvRmT1_PNSt15iterator_traitsISK_E10value_typeET2_T3_PNSL_ISQ_E10value_typeET4_jRbjT5_SW_jjP12ihipStream_tbEUlT_E1_NS1_11comp_targetILNS1_3genE9ELNS1_11target_archE1100ELNS1_3gpuE3ELNS1_3repE0EEENS1_59segmented_radix_sort_warp_sort_small_config_static_selectorELNS0_4arch9wavefront6targetE0EEEvSK_.has_dyn_sized_stack, 0
	.set _ZN7rocprim17ROCPRIM_400000_NS6detail17trampoline_kernelINS0_14default_configENS1_36segmented_radix_sort_config_selectorIdlEEZNS1_25segmented_radix_sort_implIS3_Lb0EPKdPdPKlPlN2at6native12_GLOBAL__N_18offset_tEEE10hipError_tPvRmT1_PNSt15iterator_traitsISK_E10value_typeET2_T3_PNSL_ISQ_E10value_typeET4_jRbjT5_SW_jjP12ihipStream_tbEUlT_E1_NS1_11comp_targetILNS1_3genE9ELNS1_11target_archE1100ELNS1_3gpuE3ELNS1_3repE0EEENS1_59segmented_radix_sort_warp_sort_small_config_static_selectorELNS0_4arch9wavefront6targetE0EEEvSK_.has_recursion, 0
	.set _ZN7rocprim17ROCPRIM_400000_NS6detail17trampoline_kernelINS0_14default_configENS1_36segmented_radix_sort_config_selectorIdlEEZNS1_25segmented_radix_sort_implIS3_Lb0EPKdPdPKlPlN2at6native12_GLOBAL__N_18offset_tEEE10hipError_tPvRmT1_PNSt15iterator_traitsISK_E10value_typeET2_T3_PNSL_ISQ_E10value_typeET4_jRbjT5_SW_jjP12ihipStream_tbEUlT_E1_NS1_11comp_targetILNS1_3genE9ELNS1_11target_archE1100ELNS1_3gpuE3ELNS1_3repE0EEENS1_59segmented_radix_sort_warp_sort_small_config_static_selectorELNS0_4arch9wavefront6targetE0EEEvSK_.has_indirect_call, 0
	.section	.AMDGPU.csdata,"",@progbits
; Kernel info:
; codeLenInByte = 0
; TotalNumSgprs: 0
; NumVgprs: 0
; ScratchSize: 0
; MemoryBound: 0
; FloatMode: 240
; IeeeMode: 1
; LDSByteSize: 0 bytes/workgroup (compile time only)
; SGPRBlocks: 0
; VGPRBlocks: 0
; NumSGPRsForWavesPerEU: 1
; NumVGPRsForWavesPerEU: 1
; Occupancy: 16
; WaveLimiterHint : 0
; COMPUTE_PGM_RSRC2:SCRATCH_EN: 0
; COMPUTE_PGM_RSRC2:USER_SGPR: 2
; COMPUTE_PGM_RSRC2:TRAP_HANDLER: 0
; COMPUTE_PGM_RSRC2:TGID_X_EN: 1
; COMPUTE_PGM_RSRC2:TGID_Y_EN: 0
; COMPUTE_PGM_RSRC2:TGID_Z_EN: 0
; COMPUTE_PGM_RSRC2:TIDIG_COMP_CNT: 0
	.section	.text._ZN7rocprim17ROCPRIM_400000_NS6detail17trampoline_kernelINS0_14default_configENS1_36segmented_radix_sort_config_selectorIdlEEZNS1_25segmented_radix_sort_implIS3_Lb0EPKdPdPKlPlN2at6native12_GLOBAL__N_18offset_tEEE10hipError_tPvRmT1_PNSt15iterator_traitsISK_E10value_typeET2_T3_PNSL_ISQ_E10value_typeET4_jRbjT5_SW_jjP12ihipStream_tbEUlT_E1_NS1_11comp_targetILNS1_3genE8ELNS1_11target_archE1030ELNS1_3gpuE2ELNS1_3repE0EEENS1_59segmented_radix_sort_warp_sort_small_config_static_selectorELNS0_4arch9wavefront6targetE0EEEvSK_,"axG",@progbits,_ZN7rocprim17ROCPRIM_400000_NS6detail17trampoline_kernelINS0_14default_configENS1_36segmented_radix_sort_config_selectorIdlEEZNS1_25segmented_radix_sort_implIS3_Lb0EPKdPdPKlPlN2at6native12_GLOBAL__N_18offset_tEEE10hipError_tPvRmT1_PNSt15iterator_traitsISK_E10value_typeET2_T3_PNSL_ISQ_E10value_typeET4_jRbjT5_SW_jjP12ihipStream_tbEUlT_E1_NS1_11comp_targetILNS1_3genE8ELNS1_11target_archE1030ELNS1_3gpuE2ELNS1_3repE0EEENS1_59segmented_radix_sort_warp_sort_small_config_static_selectorELNS0_4arch9wavefront6targetE0EEEvSK_,comdat
	.globl	_ZN7rocprim17ROCPRIM_400000_NS6detail17trampoline_kernelINS0_14default_configENS1_36segmented_radix_sort_config_selectorIdlEEZNS1_25segmented_radix_sort_implIS3_Lb0EPKdPdPKlPlN2at6native12_GLOBAL__N_18offset_tEEE10hipError_tPvRmT1_PNSt15iterator_traitsISK_E10value_typeET2_T3_PNSL_ISQ_E10value_typeET4_jRbjT5_SW_jjP12ihipStream_tbEUlT_E1_NS1_11comp_targetILNS1_3genE8ELNS1_11target_archE1030ELNS1_3gpuE2ELNS1_3repE0EEENS1_59segmented_radix_sort_warp_sort_small_config_static_selectorELNS0_4arch9wavefront6targetE0EEEvSK_ ; -- Begin function _ZN7rocprim17ROCPRIM_400000_NS6detail17trampoline_kernelINS0_14default_configENS1_36segmented_radix_sort_config_selectorIdlEEZNS1_25segmented_radix_sort_implIS3_Lb0EPKdPdPKlPlN2at6native12_GLOBAL__N_18offset_tEEE10hipError_tPvRmT1_PNSt15iterator_traitsISK_E10value_typeET2_T3_PNSL_ISQ_E10value_typeET4_jRbjT5_SW_jjP12ihipStream_tbEUlT_E1_NS1_11comp_targetILNS1_3genE8ELNS1_11target_archE1030ELNS1_3gpuE2ELNS1_3repE0EEENS1_59segmented_radix_sort_warp_sort_small_config_static_selectorELNS0_4arch9wavefront6targetE0EEEvSK_
	.p2align	8
	.type	_ZN7rocprim17ROCPRIM_400000_NS6detail17trampoline_kernelINS0_14default_configENS1_36segmented_radix_sort_config_selectorIdlEEZNS1_25segmented_radix_sort_implIS3_Lb0EPKdPdPKlPlN2at6native12_GLOBAL__N_18offset_tEEE10hipError_tPvRmT1_PNSt15iterator_traitsISK_E10value_typeET2_T3_PNSL_ISQ_E10value_typeET4_jRbjT5_SW_jjP12ihipStream_tbEUlT_E1_NS1_11comp_targetILNS1_3genE8ELNS1_11target_archE1030ELNS1_3gpuE2ELNS1_3repE0EEENS1_59segmented_radix_sort_warp_sort_small_config_static_selectorELNS0_4arch9wavefront6targetE0EEEvSK_,@function
_ZN7rocprim17ROCPRIM_400000_NS6detail17trampoline_kernelINS0_14default_configENS1_36segmented_radix_sort_config_selectorIdlEEZNS1_25segmented_radix_sort_implIS3_Lb0EPKdPdPKlPlN2at6native12_GLOBAL__N_18offset_tEEE10hipError_tPvRmT1_PNSt15iterator_traitsISK_E10value_typeET2_T3_PNSL_ISQ_E10value_typeET4_jRbjT5_SW_jjP12ihipStream_tbEUlT_E1_NS1_11comp_targetILNS1_3genE8ELNS1_11target_archE1030ELNS1_3gpuE2ELNS1_3repE0EEENS1_59segmented_radix_sort_warp_sort_small_config_static_selectorELNS0_4arch9wavefront6targetE0EEEvSK_: ; @_ZN7rocprim17ROCPRIM_400000_NS6detail17trampoline_kernelINS0_14default_configENS1_36segmented_radix_sort_config_selectorIdlEEZNS1_25segmented_radix_sort_implIS3_Lb0EPKdPdPKlPlN2at6native12_GLOBAL__N_18offset_tEEE10hipError_tPvRmT1_PNSt15iterator_traitsISK_E10value_typeET2_T3_PNSL_ISQ_E10value_typeET4_jRbjT5_SW_jjP12ihipStream_tbEUlT_E1_NS1_11comp_targetILNS1_3genE8ELNS1_11target_archE1030ELNS1_3gpuE2ELNS1_3repE0EEENS1_59segmented_radix_sort_warp_sort_small_config_static_selectorELNS0_4arch9wavefront6targetE0EEEvSK_
; %bb.0:
	.section	.rodata,"a",@progbits
	.p2align	6, 0x0
	.amdhsa_kernel _ZN7rocprim17ROCPRIM_400000_NS6detail17trampoline_kernelINS0_14default_configENS1_36segmented_radix_sort_config_selectorIdlEEZNS1_25segmented_radix_sort_implIS3_Lb0EPKdPdPKlPlN2at6native12_GLOBAL__N_18offset_tEEE10hipError_tPvRmT1_PNSt15iterator_traitsISK_E10value_typeET2_T3_PNSL_ISQ_E10value_typeET4_jRbjT5_SW_jjP12ihipStream_tbEUlT_E1_NS1_11comp_targetILNS1_3genE8ELNS1_11target_archE1030ELNS1_3gpuE2ELNS1_3repE0EEENS1_59segmented_radix_sort_warp_sort_small_config_static_selectorELNS0_4arch9wavefront6targetE0EEEvSK_
		.amdhsa_group_segment_fixed_size 0
		.amdhsa_private_segment_fixed_size 0
		.amdhsa_kernarg_size 88
		.amdhsa_user_sgpr_count 2
		.amdhsa_user_sgpr_dispatch_ptr 0
		.amdhsa_user_sgpr_queue_ptr 0
		.amdhsa_user_sgpr_kernarg_segment_ptr 1
		.amdhsa_user_sgpr_dispatch_id 0
		.amdhsa_user_sgpr_private_segment_size 0
		.amdhsa_wavefront_size32 1
		.amdhsa_uses_dynamic_stack 0
		.amdhsa_enable_private_segment 0
		.amdhsa_system_sgpr_workgroup_id_x 1
		.amdhsa_system_sgpr_workgroup_id_y 0
		.amdhsa_system_sgpr_workgroup_id_z 0
		.amdhsa_system_sgpr_workgroup_info 0
		.amdhsa_system_vgpr_workitem_id 0
		.amdhsa_next_free_vgpr 1
		.amdhsa_next_free_sgpr 1
		.amdhsa_reserve_vcc 0
		.amdhsa_float_round_mode_32 0
		.amdhsa_float_round_mode_16_64 0
		.amdhsa_float_denorm_mode_32 3
		.amdhsa_float_denorm_mode_16_64 3
		.amdhsa_fp16_overflow 0
		.amdhsa_workgroup_processor_mode 1
		.amdhsa_memory_ordered 1
		.amdhsa_forward_progress 1
		.amdhsa_inst_pref_size 0
		.amdhsa_round_robin_scheduling 0
		.amdhsa_exception_fp_ieee_invalid_op 0
		.amdhsa_exception_fp_denorm_src 0
		.amdhsa_exception_fp_ieee_div_zero 0
		.amdhsa_exception_fp_ieee_overflow 0
		.amdhsa_exception_fp_ieee_underflow 0
		.amdhsa_exception_fp_ieee_inexact 0
		.amdhsa_exception_int_div_zero 0
	.end_amdhsa_kernel
	.section	.text._ZN7rocprim17ROCPRIM_400000_NS6detail17trampoline_kernelINS0_14default_configENS1_36segmented_radix_sort_config_selectorIdlEEZNS1_25segmented_radix_sort_implIS3_Lb0EPKdPdPKlPlN2at6native12_GLOBAL__N_18offset_tEEE10hipError_tPvRmT1_PNSt15iterator_traitsISK_E10value_typeET2_T3_PNSL_ISQ_E10value_typeET4_jRbjT5_SW_jjP12ihipStream_tbEUlT_E1_NS1_11comp_targetILNS1_3genE8ELNS1_11target_archE1030ELNS1_3gpuE2ELNS1_3repE0EEENS1_59segmented_radix_sort_warp_sort_small_config_static_selectorELNS0_4arch9wavefront6targetE0EEEvSK_,"axG",@progbits,_ZN7rocprim17ROCPRIM_400000_NS6detail17trampoline_kernelINS0_14default_configENS1_36segmented_radix_sort_config_selectorIdlEEZNS1_25segmented_radix_sort_implIS3_Lb0EPKdPdPKlPlN2at6native12_GLOBAL__N_18offset_tEEE10hipError_tPvRmT1_PNSt15iterator_traitsISK_E10value_typeET2_T3_PNSL_ISQ_E10value_typeET4_jRbjT5_SW_jjP12ihipStream_tbEUlT_E1_NS1_11comp_targetILNS1_3genE8ELNS1_11target_archE1030ELNS1_3gpuE2ELNS1_3repE0EEENS1_59segmented_radix_sort_warp_sort_small_config_static_selectorELNS0_4arch9wavefront6targetE0EEEvSK_,comdat
.Lfunc_end1250:
	.size	_ZN7rocprim17ROCPRIM_400000_NS6detail17trampoline_kernelINS0_14default_configENS1_36segmented_radix_sort_config_selectorIdlEEZNS1_25segmented_radix_sort_implIS3_Lb0EPKdPdPKlPlN2at6native12_GLOBAL__N_18offset_tEEE10hipError_tPvRmT1_PNSt15iterator_traitsISK_E10value_typeET2_T3_PNSL_ISQ_E10value_typeET4_jRbjT5_SW_jjP12ihipStream_tbEUlT_E1_NS1_11comp_targetILNS1_3genE8ELNS1_11target_archE1030ELNS1_3gpuE2ELNS1_3repE0EEENS1_59segmented_radix_sort_warp_sort_small_config_static_selectorELNS0_4arch9wavefront6targetE0EEEvSK_, .Lfunc_end1250-_ZN7rocprim17ROCPRIM_400000_NS6detail17trampoline_kernelINS0_14default_configENS1_36segmented_radix_sort_config_selectorIdlEEZNS1_25segmented_radix_sort_implIS3_Lb0EPKdPdPKlPlN2at6native12_GLOBAL__N_18offset_tEEE10hipError_tPvRmT1_PNSt15iterator_traitsISK_E10value_typeET2_T3_PNSL_ISQ_E10value_typeET4_jRbjT5_SW_jjP12ihipStream_tbEUlT_E1_NS1_11comp_targetILNS1_3genE8ELNS1_11target_archE1030ELNS1_3gpuE2ELNS1_3repE0EEENS1_59segmented_radix_sort_warp_sort_small_config_static_selectorELNS0_4arch9wavefront6targetE0EEEvSK_
                                        ; -- End function
	.set _ZN7rocprim17ROCPRIM_400000_NS6detail17trampoline_kernelINS0_14default_configENS1_36segmented_radix_sort_config_selectorIdlEEZNS1_25segmented_radix_sort_implIS3_Lb0EPKdPdPKlPlN2at6native12_GLOBAL__N_18offset_tEEE10hipError_tPvRmT1_PNSt15iterator_traitsISK_E10value_typeET2_T3_PNSL_ISQ_E10value_typeET4_jRbjT5_SW_jjP12ihipStream_tbEUlT_E1_NS1_11comp_targetILNS1_3genE8ELNS1_11target_archE1030ELNS1_3gpuE2ELNS1_3repE0EEENS1_59segmented_radix_sort_warp_sort_small_config_static_selectorELNS0_4arch9wavefront6targetE0EEEvSK_.num_vgpr, 0
	.set _ZN7rocprim17ROCPRIM_400000_NS6detail17trampoline_kernelINS0_14default_configENS1_36segmented_radix_sort_config_selectorIdlEEZNS1_25segmented_radix_sort_implIS3_Lb0EPKdPdPKlPlN2at6native12_GLOBAL__N_18offset_tEEE10hipError_tPvRmT1_PNSt15iterator_traitsISK_E10value_typeET2_T3_PNSL_ISQ_E10value_typeET4_jRbjT5_SW_jjP12ihipStream_tbEUlT_E1_NS1_11comp_targetILNS1_3genE8ELNS1_11target_archE1030ELNS1_3gpuE2ELNS1_3repE0EEENS1_59segmented_radix_sort_warp_sort_small_config_static_selectorELNS0_4arch9wavefront6targetE0EEEvSK_.num_agpr, 0
	.set _ZN7rocprim17ROCPRIM_400000_NS6detail17trampoline_kernelINS0_14default_configENS1_36segmented_radix_sort_config_selectorIdlEEZNS1_25segmented_radix_sort_implIS3_Lb0EPKdPdPKlPlN2at6native12_GLOBAL__N_18offset_tEEE10hipError_tPvRmT1_PNSt15iterator_traitsISK_E10value_typeET2_T3_PNSL_ISQ_E10value_typeET4_jRbjT5_SW_jjP12ihipStream_tbEUlT_E1_NS1_11comp_targetILNS1_3genE8ELNS1_11target_archE1030ELNS1_3gpuE2ELNS1_3repE0EEENS1_59segmented_radix_sort_warp_sort_small_config_static_selectorELNS0_4arch9wavefront6targetE0EEEvSK_.numbered_sgpr, 0
	.set _ZN7rocprim17ROCPRIM_400000_NS6detail17trampoline_kernelINS0_14default_configENS1_36segmented_radix_sort_config_selectorIdlEEZNS1_25segmented_radix_sort_implIS3_Lb0EPKdPdPKlPlN2at6native12_GLOBAL__N_18offset_tEEE10hipError_tPvRmT1_PNSt15iterator_traitsISK_E10value_typeET2_T3_PNSL_ISQ_E10value_typeET4_jRbjT5_SW_jjP12ihipStream_tbEUlT_E1_NS1_11comp_targetILNS1_3genE8ELNS1_11target_archE1030ELNS1_3gpuE2ELNS1_3repE0EEENS1_59segmented_radix_sort_warp_sort_small_config_static_selectorELNS0_4arch9wavefront6targetE0EEEvSK_.num_named_barrier, 0
	.set _ZN7rocprim17ROCPRIM_400000_NS6detail17trampoline_kernelINS0_14default_configENS1_36segmented_radix_sort_config_selectorIdlEEZNS1_25segmented_radix_sort_implIS3_Lb0EPKdPdPKlPlN2at6native12_GLOBAL__N_18offset_tEEE10hipError_tPvRmT1_PNSt15iterator_traitsISK_E10value_typeET2_T3_PNSL_ISQ_E10value_typeET4_jRbjT5_SW_jjP12ihipStream_tbEUlT_E1_NS1_11comp_targetILNS1_3genE8ELNS1_11target_archE1030ELNS1_3gpuE2ELNS1_3repE0EEENS1_59segmented_radix_sort_warp_sort_small_config_static_selectorELNS0_4arch9wavefront6targetE0EEEvSK_.private_seg_size, 0
	.set _ZN7rocprim17ROCPRIM_400000_NS6detail17trampoline_kernelINS0_14default_configENS1_36segmented_radix_sort_config_selectorIdlEEZNS1_25segmented_radix_sort_implIS3_Lb0EPKdPdPKlPlN2at6native12_GLOBAL__N_18offset_tEEE10hipError_tPvRmT1_PNSt15iterator_traitsISK_E10value_typeET2_T3_PNSL_ISQ_E10value_typeET4_jRbjT5_SW_jjP12ihipStream_tbEUlT_E1_NS1_11comp_targetILNS1_3genE8ELNS1_11target_archE1030ELNS1_3gpuE2ELNS1_3repE0EEENS1_59segmented_radix_sort_warp_sort_small_config_static_selectorELNS0_4arch9wavefront6targetE0EEEvSK_.uses_vcc, 0
	.set _ZN7rocprim17ROCPRIM_400000_NS6detail17trampoline_kernelINS0_14default_configENS1_36segmented_radix_sort_config_selectorIdlEEZNS1_25segmented_radix_sort_implIS3_Lb0EPKdPdPKlPlN2at6native12_GLOBAL__N_18offset_tEEE10hipError_tPvRmT1_PNSt15iterator_traitsISK_E10value_typeET2_T3_PNSL_ISQ_E10value_typeET4_jRbjT5_SW_jjP12ihipStream_tbEUlT_E1_NS1_11comp_targetILNS1_3genE8ELNS1_11target_archE1030ELNS1_3gpuE2ELNS1_3repE0EEENS1_59segmented_radix_sort_warp_sort_small_config_static_selectorELNS0_4arch9wavefront6targetE0EEEvSK_.uses_flat_scratch, 0
	.set _ZN7rocprim17ROCPRIM_400000_NS6detail17trampoline_kernelINS0_14default_configENS1_36segmented_radix_sort_config_selectorIdlEEZNS1_25segmented_radix_sort_implIS3_Lb0EPKdPdPKlPlN2at6native12_GLOBAL__N_18offset_tEEE10hipError_tPvRmT1_PNSt15iterator_traitsISK_E10value_typeET2_T3_PNSL_ISQ_E10value_typeET4_jRbjT5_SW_jjP12ihipStream_tbEUlT_E1_NS1_11comp_targetILNS1_3genE8ELNS1_11target_archE1030ELNS1_3gpuE2ELNS1_3repE0EEENS1_59segmented_radix_sort_warp_sort_small_config_static_selectorELNS0_4arch9wavefront6targetE0EEEvSK_.has_dyn_sized_stack, 0
	.set _ZN7rocprim17ROCPRIM_400000_NS6detail17trampoline_kernelINS0_14default_configENS1_36segmented_radix_sort_config_selectorIdlEEZNS1_25segmented_radix_sort_implIS3_Lb0EPKdPdPKlPlN2at6native12_GLOBAL__N_18offset_tEEE10hipError_tPvRmT1_PNSt15iterator_traitsISK_E10value_typeET2_T3_PNSL_ISQ_E10value_typeET4_jRbjT5_SW_jjP12ihipStream_tbEUlT_E1_NS1_11comp_targetILNS1_3genE8ELNS1_11target_archE1030ELNS1_3gpuE2ELNS1_3repE0EEENS1_59segmented_radix_sort_warp_sort_small_config_static_selectorELNS0_4arch9wavefront6targetE0EEEvSK_.has_recursion, 0
	.set _ZN7rocprim17ROCPRIM_400000_NS6detail17trampoline_kernelINS0_14default_configENS1_36segmented_radix_sort_config_selectorIdlEEZNS1_25segmented_radix_sort_implIS3_Lb0EPKdPdPKlPlN2at6native12_GLOBAL__N_18offset_tEEE10hipError_tPvRmT1_PNSt15iterator_traitsISK_E10value_typeET2_T3_PNSL_ISQ_E10value_typeET4_jRbjT5_SW_jjP12ihipStream_tbEUlT_E1_NS1_11comp_targetILNS1_3genE8ELNS1_11target_archE1030ELNS1_3gpuE2ELNS1_3repE0EEENS1_59segmented_radix_sort_warp_sort_small_config_static_selectorELNS0_4arch9wavefront6targetE0EEEvSK_.has_indirect_call, 0
	.section	.AMDGPU.csdata,"",@progbits
; Kernel info:
; codeLenInByte = 0
; TotalNumSgprs: 0
; NumVgprs: 0
; ScratchSize: 0
; MemoryBound: 0
; FloatMode: 240
; IeeeMode: 1
; LDSByteSize: 0 bytes/workgroup (compile time only)
; SGPRBlocks: 0
; VGPRBlocks: 0
; NumSGPRsForWavesPerEU: 1
; NumVGPRsForWavesPerEU: 1
; Occupancy: 16
; WaveLimiterHint : 0
; COMPUTE_PGM_RSRC2:SCRATCH_EN: 0
; COMPUTE_PGM_RSRC2:USER_SGPR: 2
; COMPUTE_PGM_RSRC2:TRAP_HANDLER: 0
; COMPUTE_PGM_RSRC2:TGID_X_EN: 1
; COMPUTE_PGM_RSRC2:TGID_Y_EN: 0
; COMPUTE_PGM_RSRC2:TGID_Z_EN: 0
; COMPUTE_PGM_RSRC2:TIDIG_COMP_CNT: 0
	.section	.text._ZN7rocprim17ROCPRIM_400000_NS6detail17trampoline_kernelINS0_14default_configENS1_36segmented_radix_sort_config_selectorIdlEEZNS1_25segmented_radix_sort_implIS3_Lb0EPKdPdPKlPlN2at6native12_GLOBAL__N_18offset_tEEE10hipError_tPvRmT1_PNSt15iterator_traitsISK_E10value_typeET2_T3_PNSL_ISQ_E10value_typeET4_jRbjT5_SW_jjP12ihipStream_tbEUlT_E2_NS1_11comp_targetILNS1_3genE0ELNS1_11target_archE4294967295ELNS1_3gpuE0ELNS1_3repE0EEENS1_30default_config_static_selectorELNS0_4arch9wavefront6targetE0EEEvSK_,"axG",@progbits,_ZN7rocprim17ROCPRIM_400000_NS6detail17trampoline_kernelINS0_14default_configENS1_36segmented_radix_sort_config_selectorIdlEEZNS1_25segmented_radix_sort_implIS3_Lb0EPKdPdPKlPlN2at6native12_GLOBAL__N_18offset_tEEE10hipError_tPvRmT1_PNSt15iterator_traitsISK_E10value_typeET2_T3_PNSL_ISQ_E10value_typeET4_jRbjT5_SW_jjP12ihipStream_tbEUlT_E2_NS1_11comp_targetILNS1_3genE0ELNS1_11target_archE4294967295ELNS1_3gpuE0ELNS1_3repE0EEENS1_30default_config_static_selectorELNS0_4arch9wavefront6targetE0EEEvSK_,comdat
	.globl	_ZN7rocprim17ROCPRIM_400000_NS6detail17trampoline_kernelINS0_14default_configENS1_36segmented_radix_sort_config_selectorIdlEEZNS1_25segmented_radix_sort_implIS3_Lb0EPKdPdPKlPlN2at6native12_GLOBAL__N_18offset_tEEE10hipError_tPvRmT1_PNSt15iterator_traitsISK_E10value_typeET2_T3_PNSL_ISQ_E10value_typeET4_jRbjT5_SW_jjP12ihipStream_tbEUlT_E2_NS1_11comp_targetILNS1_3genE0ELNS1_11target_archE4294967295ELNS1_3gpuE0ELNS1_3repE0EEENS1_30default_config_static_selectorELNS0_4arch9wavefront6targetE0EEEvSK_ ; -- Begin function _ZN7rocprim17ROCPRIM_400000_NS6detail17trampoline_kernelINS0_14default_configENS1_36segmented_radix_sort_config_selectorIdlEEZNS1_25segmented_radix_sort_implIS3_Lb0EPKdPdPKlPlN2at6native12_GLOBAL__N_18offset_tEEE10hipError_tPvRmT1_PNSt15iterator_traitsISK_E10value_typeET2_T3_PNSL_ISQ_E10value_typeET4_jRbjT5_SW_jjP12ihipStream_tbEUlT_E2_NS1_11comp_targetILNS1_3genE0ELNS1_11target_archE4294967295ELNS1_3gpuE0ELNS1_3repE0EEENS1_30default_config_static_selectorELNS0_4arch9wavefront6targetE0EEEvSK_
	.p2align	8
	.type	_ZN7rocprim17ROCPRIM_400000_NS6detail17trampoline_kernelINS0_14default_configENS1_36segmented_radix_sort_config_selectorIdlEEZNS1_25segmented_radix_sort_implIS3_Lb0EPKdPdPKlPlN2at6native12_GLOBAL__N_18offset_tEEE10hipError_tPvRmT1_PNSt15iterator_traitsISK_E10value_typeET2_T3_PNSL_ISQ_E10value_typeET4_jRbjT5_SW_jjP12ihipStream_tbEUlT_E2_NS1_11comp_targetILNS1_3genE0ELNS1_11target_archE4294967295ELNS1_3gpuE0ELNS1_3repE0EEENS1_30default_config_static_selectorELNS0_4arch9wavefront6targetE0EEEvSK_,@function
_ZN7rocprim17ROCPRIM_400000_NS6detail17trampoline_kernelINS0_14default_configENS1_36segmented_radix_sort_config_selectorIdlEEZNS1_25segmented_radix_sort_implIS3_Lb0EPKdPdPKlPlN2at6native12_GLOBAL__N_18offset_tEEE10hipError_tPvRmT1_PNSt15iterator_traitsISK_E10value_typeET2_T3_PNSL_ISQ_E10value_typeET4_jRbjT5_SW_jjP12ihipStream_tbEUlT_E2_NS1_11comp_targetILNS1_3genE0ELNS1_11target_archE4294967295ELNS1_3gpuE0ELNS1_3repE0EEENS1_30default_config_static_selectorELNS0_4arch9wavefront6targetE0EEEvSK_: ; @_ZN7rocprim17ROCPRIM_400000_NS6detail17trampoline_kernelINS0_14default_configENS1_36segmented_radix_sort_config_selectorIdlEEZNS1_25segmented_radix_sort_implIS3_Lb0EPKdPdPKlPlN2at6native12_GLOBAL__N_18offset_tEEE10hipError_tPvRmT1_PNSt15iterator_traitsISK_E10value_typeET2_T3_PNSL_ISQ_E10value_typeET4_jRbjT5_SW_jjP12ihipStream_tbEUlT_E2_NS1_11comp_targetILNS1_3genE0ELNS1_11target_archE4294967295ELNS1_3gpuE0ELNS1_3repE0EEENS1_30default_config_static_selectorELNS0_4arch9wavefront6targetE0EEEvSK_
; %bb.0:
	.section	.rodata,"a",@progbits
	.p2align	6, 0x0
	.amdhsa_kernel _ZN7rocprim17ROCPRIM_400000_NS6detail17trampoline_kernelINS0_14default_configENS1_36segmented_radix_sort_config_selectorIdlEEZNS1_25segmented_radix_sort_implIS3_Lb0EPKdPdPKlPlN2at6native12_GLOBAL__N_18offset_tEEE10hipError_tPvRmT1_PNSt15iterator_traitsISK_E10value_typeET2_T3_PNSL_ISQ_E10value_typeET4_jRbjT5_SW_jjP12ihipStream_tbEUlT_E2_NS1_11comp_targetILNS1_3genE0ELNS1_11target_archE4294967295ELNS1_3gpuE0ELNS1_3repE0EEENS1_30default_config_static_selectorELNS0_4arch9wavefront6targetE0EEEvSK_
		.amdhsa_group_segment_fixed_size 0
		.amdhsa_private_segment_fixed_size 0
		.amdhsa_kernarg_size 80
		.amdhsa_user_sgpr_count 2
		.amdhsa_user_sgpr_dispatch_ptr 0
		.amdhsa_user_sgpr_queue_ptr 0
		.amdhsa_user_sgpr_kernarg_segment_ptr 1
		.amdhsa_user_sgpr_dispatch_id 0
		.amdhsa_user_sgpr_private_segment_size 0
		.amdhsa_wavefront_size32 1
		.amdhsa_uses_dynamic_stack 0
		.amdhsa_enable_private_segment 0
		.amdhsa_system_sgpr_workgroup_id_x 1
		.amdhsa_system_sgpr_workgroup_id_y 0
		.amdhsa_system_sgpr_workgroup_id_z 0
		.amdhsa_system_sgpr_workgroup_info 0
		.amdhsa_system_vgpr_workitem_id 0
		.amdhsa_next_free_vgpr 1
		.amdhsa_next_free_sgpr 1
		.amdhsa_reserve_vcc 0
		.amdhsa_float_round_mode_32 0
		.amdhsa_float_round_mode_16_64 0
		.amdhsa_float_denorm_mode_32 3
		.amdhsa_float_denorm_mode_16_64 3
		.amdhsa_fp16_overflow 0
		.amdhsa_workgroup_processor_mode 1
		.amdhsa_memory_ordered 1
		.amdhsa_forward_progress 1
		.amdhsa_inst_pref_size 0
		.amdhsa_round_robin_scheduling 0
		.amdhsa_exception_fp_ieee_invalid_op 0
		.amdhsa_exception_fp_denorm_src 0
		.amdhsa_exception_fp_ieee_div_zero 0
		.amdhsa_exception_fp_ieee_overflow 0
		.amdhsa_exception_fp_ieee_underflow 0
		.amdhsa_exception_fp_ieee_inexact 0
		.amdhsa_exception_int_div_zero 0
	.end_amdhsa_kernel
	.section	.text._ZN7rocprim17ROCPRIM_400000_NS6detail17trampoline_kernelINS0_14default_configENS1_36segmented_radix_sort_config_selectorIdlEEZNS1_25segmented_radix_sort_implIS3_Lb0EPKdPdPKlPlN2at6native12_GLOBAL__N_18offset_tEEE10hipError_tPvRmT1_PNSt15iterator_traitsISK_E10value_typeET2_T3_PNSL_ISQ_E10value_typeET4_jRbjT5_SW_jjP12ihipStream_tbEUlT_E2_NS1_11comp_targetILNS1_3genE0ELNS1_11target_archE4294967295ELNS1_3gpuE0ELNS1_3repE0EEENS1_30default_config_static_selectorELNS0_4arch9wavefront6targetE0EEEvSK_,"axG",@progbits,_ZN7rocprim17ROCPRIM_400000_NS6detail17trampoline_kernelINS0_14default_configENS1_36segmented_radix_sort_config_selectorIdlEEZNS1_25segmented_radix_sort_implIS3_Lb0EPKdPdPKlPlN2at6native12_GLOBAL__N_18offset_tEEE10hipError_tPvRmT1_PNSt15iterator_traitsISK_E10value_typeET2_T3_PNSL_ISQ_E10value_typeET4_jRbjT5_SW_jjP12ihipStream_tbEUlT_E2_NS1_11comp_targetILNS1_3genE0ELNS1_11target_archE4294967295ELNS1_3gpuE0ELNS1_3repE0EEENS1_30default_config_static_selectorELNS0_4arch9wavefront6targetE0EEEvSK_,comdat
.Lfunc_end1251:
	.size	_ZN7rocprim17ROCPRIM_400000_NS6detail17trampoline_kernelINS0_14default_configENS1_36segmented_radix_sort_config_selectorIdlEEZNS1_25segmented_radix_sort_implIS3_Lb0EPKdPdPKlPlN2at6native12_GLOBAL__N_18offset_tEEE10hipError_tPvRmT1_PNSt15iterator_traitsISK_E10value_typeET2_T3_PNSL_ISQ_E10value_typeET4_jRbjT5_SW_jjP12ihipStream_tbEUlT_E2_NS1_11comp_targetILNS1_3genE0ELNS1_11target_archE4294967295ELNS1_3gpuE0ELNS1_3repE0EEENS1_30default_config_static_selectorELNS0_4arch9wavefront6targetE0EEEvSK_, .Lfunc_end1251-_ZN7rocprim17ROCPRIM_400000_NS6detail17trampoline_kernelINS0_14default_configENS1_36segmented_radix_sort_config_selectorIdlEEZNS1_25segmented_radix_sort_implIS3_Lb0EPKdPdPKlPlN2at6native12_GLOBAL__N_18offset_tEEE10hipError_tPvRmT1_PNSt15iterator_traitsISK_E10value_typeET2_T3_PNSL_ISQ_E10value_typeET4_jRbjT5_SW_jjP12ihipStream_tbEUlT_E2_NS1_11comp_targetILNS1_3genE0ELNS1_11target_archE4294967295ELNS1_3gpuE0ELNS1_3repE0EEENS1_30default_config_static_selectorELNS0_4arch9wavefront6targetE0EEEvSK_
                                        ; -- End function
	.set _ZN7rocprim17ROCPRIM_400000_NS6detail17trampoline_kernelINS0_14default_configENS1_36segmented_radix_sort_config_selectorIdlEEZNS1_25segmented_radix_sort_implIS3_Lb0EPKdPdPKlPlN2at6native12_GLOBAL__N_18offset_tEEE10hipError_tPvRmT1_PNSt15iterator_traitsISK_E10value_typeET2_T3_PNSL_ISQ_E10value_typeET4_jRbjT5_SW_jjP12ihipStream_tbEUlT_E2_NS1_11comp_targetILNS1_3genE0ELNS1_11target_archE4294967295ELNS1_3gpuE0ELNS1_3repE0EEENS1_30default_config_static_selectorELNS0_4arch9wavefront6targetE0EEEvSK_.num_vgpr, 0
	.set _ZN7rocprim17ROCPRIM_400000_NS6detail17trampoline_kernelINS0_14default_configENS1_36segmented_radix_sort_config_selectorIdlEEZNS1_25segmented_radix_sort_implIS3_Lb0EPKdPdPKlPlN2at6native12_GLOBAL__N_18offset_tEEE10hipError_tPvRmT1_PNSt15iterator_traitsISK_E10value_typeET2_T3_PNSL_ISQ_E10value_typeET4_jRbjT5_SW_jjP12ihipStream_tbEUlT_E2_NS1_11comp_targetILNS1_3genE0ELNS1_11target_archE4294967295ELNS1_3gpuE0ELNS1_3repE0EEENS1_30default_config_static_selectorELNS0_4arch9wavefront6targetE0EEEvSK_.num_agpr, 0
	.set _ZN7rocprim17ROCPRIM_400000_NS6detail17trampoline_kernelINS0_14default_configENS1_36segmented_radix_sort_config_selectorIdlEEZNS1_25segmented_radix_sort_implIS3_Lb0EPKdPdPKlPlN2at6native12_GLOBAL__N_18offset_tEEE10hipError_tPvRmT1_PNSt15iterator_traitsISK_E10value_typeET2_T3_PNSL_ISQ_E10value_typeET4_jRbjT5_SW_jjP12ihipStream_tbEUlT_E2_NS1_11comp_targetILNS1_3genE0ELNS1_11target_archE4294967295ELNS1_3gpuE0ELNS1_3repE0EEENS1_30default_config_static_selectorELNS0_4arch9wavefront6targetE0EEEvSK_.numbered_sgpr, 0
	.set _ZN7rocprim17ROCPRIM_400000_NS6detail17trampoline_kernelINS0_14default_configENS1_36segmented_radix_sort_config_selectorIdlEEZNS1_25segmented_radix_sort_implIS3_Lb0EPKdPdPKlPlN2at6native12_GLOBAL__N_18offset_tEEE10hipError_tPvRmT1_PNSt15iterator_traitsISK_E10value_typeET2_T3_PNSL_ISQ_E10value_typeET4_jRbjT5_SW_jjP12ihipStream_tbEUlT_E2_NS1_11comp_targetILNS1_3genE0ELNS1_11target_archE4294967295ELNS1_3gpuE0ELNS1_3repE0EEENS1_30default_config_static_selectorELNS0_4arch9wavefront6targetE0EEEvSK_.num_named_barrier, 0
	.set _ZN7rocprim17ROCPRIM_400000_NS6detail17trampoline_kernelINS0_14default_configENS1_36segmented_radix_sort_config_selectorIdlEEZNS1_25segmented_radix_sort_implIS3_Lb0EPKdPdPKlPlN2at6native12_GLOBAL__N_18offset_tEEE10hipError_tPvRmT1_PNSt15iterator_traitsISK_E10value_typeET2_T3_PNSL_ISQ_E10value_typeET4_jRbjT5_SW_jjP12ihipStream_tbEUlT_E2_NS1_11comp_targetILNS1_3genE0ELNS1_11target_archE4294967295ELNS1_3gpuE0ELNS1_3repE0EEENS1_30default_config_static_selectorELNS0_4arch9wavefront6targetE0EEEvSK_.private_seg_size, 0
	.set _ZN7rocprim17ROCPRIM_400000_NS6detail17trampoline_kernelINS0_14default_configENS1_36segmented_radix_sort_config_selectorIdlEEZNS1_25segmented_radix_sort_implIS3_Lb0EPKdPdPKlPlN2at6native12_GLOBAL__N_18offset_tEEE10hipError_tPvRmT1_PNSt15iterator_traitsISK_E10value_typeET2_T3_PNSL_ISQ_E10value_typeET4_jRbjT5_SW_jjP12ihipStream_tbEUlT_E2_NS1_11comp_targetILNS1_3genE0ELNS1_11target_archE4294967295ELNS1_3gpuE0ELNS1_3repE0EEENS1_30default_config_static_selectorELNS0_4arch9wavefront6targetE0EEEvSK_.uses_vcc, 0
	.set _ZN7rocprim17ROCPRIM_400000_NS6detail17trampoline_kernelINS0_14default_configENS1_36segmented_radix_sort_config_selectorIdlEEZNS1_25segmented_radix_sort_implIS3_Lb0EPKdPdPKlPlN2at6native12_GLOBAL__N_18offset_tEEE10hipError_tPvRmT1_PNSt15iterator_traitsISK_E10value_typeET2_T3_PNSL_ISQ_E10value_typeET4_jRbjT5_SW_jjP12ihipStream_tbEUlT_E2_NS1_11comp_targetILNS1_3genE0ELNS1_11target_archE4294967295ELNS1_3gpuE0ELNS1_3repE0EEENS1_30default_config_static_selectorELNS0_4arch9wavefront6targetE0EEEvSK_.uses_flat_scratch, 0
	.set _ZN7rocprim17ROCPRIM_400000_NS6detail17trampoline_kernelINS0_14default_configENS1_36segmented_radix_sort_config_selectorIdlEEZNS1_25segmented_radix_sort_implIS3_Lb0EPKdPdPKlPlN2at6native12_GLOBAL__N_18offset_tEEE10hipError_tPvRmT1_PNSt15iterator_traitsISK_E10value_typeET2_T3_PNSL_ISQ_E10value_typeET4_jRbjT5_SW_jjP12ihipStream_tbEUlT_E2_NS1_11comp_targetILNS1_3genE0ELNS1_11target_archE4294967295ELNS1_3gpuE0ELNS1_3repE0EEENS1_30default_config_static_selectorELNS0_4arch9wavefront6targetE0EEEvSK_.has_dyn_sized_stack, 0
	.set _ZN7rocprim17ROCPRIM_400000_NS6detail17trampoline_kernelINS0_14default_configENS1_36segmented_radix_sort_config_selectorIdlEEZNS1_25segmented_radix_sort_implIS3_Lb0EPKdPdPKlPlN2at6native12_GLOBAL__N_18offset_tEEE10hipError_tPvRmT1_PNSt15iterator_traitsISK_E10value_typeET2_T3_PNSL_ISQ_E10value_typeET4_jRbjT5_SW_jjP12ihipStream_tbEUlT_E2_NS1_11comp_targetILNS1_3genE0ELNS1_11target_archE4294967295ELNS1_3gpuE0ELNS1_3repE0EEENS1_30default_config_static_selectorELNS0_4arch9wavefront6targetE0EEEvSK_.has_recursion, 0
	.set _ZN7rocprim17ROCPRIM_400000_NS6detail17trampoline_kernelINS0_14default_configENS1_36segmented_radix_sort_config_selectorIdlEEZNS1_25segmented_radix_sort_implIS3_Lb0EPKdPdPKlPlN2at6native12_GLOBAL__N_18offset_tEEE10hipError_tPvRmT1_PNSt15iterator_traitsISK_E10value_typeET2_T3_PNSL_ISQ_E10value_typeET4_jRbjT5_SW_jjP12ihipStream_tbEUlT_E2_NS1_11comp_targetILNS1_3genE0ELNS1_11target_archE4294967295ELNS1_3gpuE0ELNS1_3repE0EEENS1_30default_config_static_selectorELNS0_4arch9wavefront6targetE0EEEvSK_.has_indirect_call, 0
	.section	.AMDGPU.csdata,"",@progbits
; Kernel info:
; codeLenInByte = 0
; TotalNumSgprs: 0
; NumVgprs: 0
; ScratchSize: 0
; MemoryBound: 0
; FloatMode: 240
; IeeeMode: 1
; LDSByteSize: 0 bytes/workgroup (compile time only)
; SGPRBlocks: 0
; VGPRBlocks: 0
; NumSGPRsForWavesPerEU: 1
; NumVGPRsForWavesPerEU: 1
; Occupancy: 16
; WaveLimiterHint : 0
; COMPUTE_PGM_RSRC2:SCRATCH_EN: 0
; COMPUTE_PGM_RSRC2:USER_SGPR: 2
; COMPUTE_PGM_RSRC2:TRAP_HANDLER: 0
; COMPUTE_PGM_RSRC2:TGID_X_EN: 1
; COMPUTE_PGM_RSRC2:TGID_Y_EN: 0
; COMPUTE_PGM_RSRC2:TGID_Z_EN: 0
; COMPUTE_PGM_RSRC2:TIDIG_COMP_CNT: 0
	.section	.text._ZN7rocprim17ROCPRIM_400000_NS6detail17trampoline_kernelINS0_14default_configENS1_36segmented_radix_sort_config_selectorIdlEEZNS1_25segmented_radix_sort_implIS3_Lb0EPKdPdPKlPlN2at6native12_GLOBAL__N_18offset_tEEE10hipError_tPvRmT1_PNSt15iterator_traitsISK_E10value_typeET2_T3_PNSL_ISQ_E10value_typeET4_jRbjT5_SW_jjP12ihipStream_tbEUlT_E2_NS1_11comp_targetILNS1_3genE5ELNS1_11target_archE942ELNS1_3gpuE9ELNS1_3repE0EEENS1_30default_config_static_selectorELNS0_4arch9wavefront6targetE0EEEvSK_,"axG",@progbits,_ZN7rocprim17ROCPRIM_400000_NS6detail17trampoline_kernelINS0_14default_configENS1_36segmented_radix_sort_config_selectorIdlEEZNS1_25segmented_radix_sort_implIS3_Lb0EPKdPdPKlPlN2at6native12_GLOBAL__N_18offset_tEEE10hipError_tPvRmT1_PNSt15iterator_traitsISK_E10value_typeET2_T3_PNSL_ISQ_E10value_typeET4_jRbjT5_SW_jjP12ihipStream_tbEUlT_E2_NS1_11comp_targetILNS1_3genE5ELNS1_11target_archE942ELNS1_3gpuE9ELNS1_3repE0EEENS1_30default_config_static_selectorELNS0_4arch9wavefront6targetE0EEEvSK_,comdat
	.globl	_ZN7rocprim17ROCPRIM_400000_NS6detail17trampoline_kernelINS0_14default_configENS1_36segmented_radix_sort_config_selectorIdlEEZNS1_25segmented_radix_sort_implIS3_Lb0EPKdPdPKlPlN2at6native12_GLOBAL__N_18offset_tEEE10hipError_tPvRmT1_PNSt15iterator_traitsISK_E10value_typeET2_T3_PNSL_ISQ_E10value_typeET4_jRbjT5_SW_jjP12ihipStream_tbEUlT_E2_NS1_11comp_targetILNS1_3genE5ELNS1_11target_archE942ELNS1_3gpuE9ELNS1_3repE0EEENS1_30default_config_static_selectorELNS0_4arch9wavefront6targetE0EEEvSK_ ; -- Begin function _ZN7rocprim17ROCPRIM_400000_NS6detail17trampoline_kernelINS0_14default_configENS1_36segmented_radix_sort_config_selectorIdlEEZNS1_25segmented_radix_sort_implIS3_Lb0EPKdPdPKlPlN2at6native12_GLOBAL__N_18offset_tEEE10hipError_tPvRmT1_PNSt15iterator_traitsISK_E10value_typeET2_T3_PNSL_ISQ_E10value_typeET4_jRbjT5_SW_jjP12ihipStream_tbEUlT_E2_NS1_11comp_targetILNS1_3genE5ELNS1_11target_archE942ELNS1_3gpuE9ELNS1_3repE0EEENS1_30default_config_static_selectorELNS0_4arch9wavefront6targetE0EEEvSK_
	.p2align	8
	.type	_ZN7rocprim17ROCPRIM_400000_NS6detail17trampoline_kernelINS0_14default_configENS1_36segmented_radix_sort_config_selectorIdlEEZNS1_25segmented_radix_sort_implIS3_Lb0EPKdPdPKlPlN2at6native12_GLOBAL__N_18offset_tEEE10hipError_tPvRmT1_PNSt15iterator_traitsISK_E10value_typeET2_T3_PNSL_ISQ_E10value_typeET4_jRbjT5_SW_jjP12ihipStream_tbEUlT_E2_NS1_11comp_targetILNS1_3genE5ELNS1_11target_archE942ELNS1_3gpuE9ELNS1_3repE0EEENS1_30default_config_static_selectorELNS0_4arch9wavefront6targetE0EEEvSK_,@function
_ZN7rocprim17ROCPRIM_400000_NS6detail17trampoline_kernelINS0_14default_configENS1_36segmented_radix_sort_config_selectorIdlEEZNS1_25segmented_radix_sort_implIS3_Lb0EPKdPdPKlPlN2at6native12_GLOBAL__N_18offset_tEEE10hipError_tPvRmT1_PNSt15iterator_traitsISK_E10value_typeET2_T3_PNSL_ISQ_E10value_typeET4_jRbjT5_SW_jjP12ihipStream_tbEUlT_E2_NS1_11comp_targetILNS1_3genE5ELNS1_11target_archE942ELNS1_3gpuE9ELNS1_3repE0EEENS1_30default_config_static_selectorELNS0_4arch9wavefront6targetE0EEEvSK_: ; @_ZN7rocprim17ROCPRIM_400000_NS6detail17trampoline_kernelINS0_14default_configENS1_36segmented_radix_sort_config_selectorIdlEEZNS1_25segmented_radix_sort_implIS3_Lb0EPKdPdPKlPlN2at6native12_GLOBAL__N_18offset_tEEE10hipError_tPvRmT1_PNSt15iterator_traitsISK_E10value_typeET2_T3_PNSL_ISQ_E10value_typeET4_jRbjT5_SW_jjP12ihipStream_tbEUlT_E2_NS1_11comp_targetILNS1_3genE5ELNS1_11target_archE942ELNS1_3gpuE9ELNS1_3repE0EEENS1_30default_config_static_selectorELNS0_4arch9wavefront6targetE0EEEvSK_
; %bb.0:
	.section	.rodata,"a",@progbits
	.p2align	6, 0x0
	.amdhsa_kernel _ZN7rocprim17ROCPRIM_400000_NS6detail17trampoline_kernelINS0_14default_configENS1_36segmented_radix_sort_config_selectorIdlEEZNS1_25segmented_radix_sort_implIS3_Lb0EPKdPdPKlPlN2at6native12_GLOBAL__N_18offset_tEEE10hipError_tPvRmT1_PNSt15iterator_traitsISK_E10value_typeET2_T3_PNSL_ISQ_E10value_typeET4_jRbjT5_SW_jjP12ihipStream_tbEUlT_E2_NS1_11comp_targetILNS1_3genE5ELNS1_11target_archE942ELNS1_3gpuE9ELNS1_3repE0EEENS1_30default_config_static_selectorELNS0_4arch9wavefront6targetE0EEEvSK_
		.amdhsa_group_segment_fixed_size 0
		.amdhsa_private_segment_fixed_size 0
		.amdhsa_kernarg_size 80
		.amdhsa_user_sgpr_count 2
		.amdhsa_user_sgpr_dispatch_ptr 0
		.amdhsa_user_sgpr_queue_ptr 0
		.amdhsa_user_sgpr_kernarg_segment_ptr 1
		.amdhsa_user_sgpr_dispatch_id 0
		.amdhsa_user_sgpr_private_segment_size 0
		.amdhsa_wavefront_size32 1
		.amdhsa_uses_dynamic_stack 0
		.amdhsa_enable_private_segment 0
		.amdhsa_system_sgpr_workgroup_id_x 1
		.amdhsa_system_sgpr_workgroup_id_y 0
		.amdhsa_system_sgpr_workgroup_id_z 0
		.amdhsa_system_sgpr_workgroup_info 0
		.amdhsa_system_vgpr_workitem_id 0
		.amdhsa_next_free_vgpr 1
		.amdhsa_next_free_sgpr 1
		.amdhsa_reserve_vcc 0
		.amdhsa_float_round_mode_32 0
		.amdhsa_float_round_mode_16_64 0
		.amdhsa_float_denorm_mode_32 3
		.amdhsa_float_denorm_mode_16_64 3
		.amdhsa_fp16_overflow 0
		.amdhsa_workgroup_processor_mode 1
		.amdhsa_memory_ordered 1
		.amdhsa_forward_progress 1
		.amdhsa_inst_pref_size 0
		.amdhsa_round_robin_scheduling 0
		.amdhsa_exception_fp_ieee_invalid_op 0
		.amdhsa_exception_fp_denorm_src 0
		.amdhsa_exception_fp_ieee_div_zero 0
		.amdhsa_exception_fp_ieee_overflow 0
		.amdhsa_exception_fp_ieee_underflow 0
		.amdhsa_exception_fp_ieee_inexact 0
		.amdhsa_exception_int_div_zero 0
	.end_amdhsa_kernel
	.section	.text._ZN7rocprim17ROCPRIM_400000_NS6detail17trampoline_kernelINS0_14default_configENS1_36segmented_radix_sort_config_selectorIdlEEZNS1_25segmented_radix_sort_implIS3_Lb0EPKdPdPKlPlN2at6native12_GLOBAL__N_18offset_tEEE10hipError_tPvRmT1_PNSt15iterator_traitsISK_E10value_typeET2_T3_PNSL_ISQ_E10value_typeET4_jRbjT5_SW_jjP12ihipStream_tbEUlT_E2_NS1_11comp_targetILNS1_3genE5ELNS1_11target_archE942ELNS1_3gpuE9ELNS1_3repE0EEENS1_30default_config_static_selectorELNS0_4arch9wavefront6targetE0EEEvSK_,"axG",@progbits,_ZN7rocprim17ROCPRIM_400000_NS6detail17trampoline_kernelINS0_14default_configENS1_36segmented_radix_sort_config_selectorIdlEEZNS1_25segmented_radix_sort_implIS3_Lb0EPKdPdPKlPlN2at6native12_GLOBAL__N_18offset_tEEE10hipError_tPvRmT1_PNSt15iterator_traitsISK_E10value_typeET2_T3_PNSL_ISQ_E10value_typeET4_jRbjT5_SW_jjP12ihipStream_tbEUlT_E2_NS1_11comp_targetILNS1_3genE5ELNS1_11target_archE942ELNS1_3gpuE9ELNS1_3repE0EEENS1_30default_config_static_selectorELNS0_4arch9wavefront6targetE0EEEvSK_,comdat
.Lfunc_end1252:
	.size	_ZN7rocprim17ROCPRIM_400000_NS6detail17trampoline_kernelINS0_14default_configENS1_36segmented_radix_sort_config_selectorIdlEEZNS1_25segmented_radix_sort_implIS3_Lb0EPKdPdPKlPlN2at6native12_GLOBAL__N_18offset_tEEE10hipError_tPvRmT1_PNSt15iterator_traitsISK_E10value_typeET2_T3_PNSL_ISQ_E10value_typeET4_jRbjT5_SW_jjP12ihipStream_tbEUlT_E2_NS1_11comp_targetILNS1_3genE5ELNS1_11target_archE942ELNS1_3gpuE9ELNS1_3repE0EEENS1_30default_config_static_selectorELNS0_4arch9wavefront6targetE0EEEvSK_, .Lfunc_end1252-_ZN7rocprim17ROCPRIM_400000_NS6detail17trampoline_kernelINS0_14default_configENS1_36segmented_radix_sort_config_selectorIdlEEZNS1_25segmented_radix_sort_implIS3_Lb0EPKdPdPKlPlN2at6native12_GLOBAL__N_18offset_tEEE10hipError_tPvRmT1_PNSt15iterator_traitsISK_E10value_typeET2_T3_PNSL_ISQ_E10value_typeET4_jRbjT5_SW_jjP12ihipStream_tbEUlT_E2_NS1_11comp_targetILNS1_3genE5ELNS1_11target_archE942ELNS1_3gpuE9ELNS1_3repE0EEENS1_30default_config_static_selectorELNS0_4arch9wavefront6targetE0EEEvSK_
                                        ; -- End function
	.set _ZN7rocprim17ROCPRIM_400000_NS6detail17trampoline_kernelINS0_14default_configENS1_36segmented_radix_sort_config_selectorIdlEEZNS1_25segmented_radix_sort_implIS3_Lb0EPKdPdPKlPlN2at6native12_GLOBAL__N_18offset_tEEE10hipError_tPvRmT1_PNSt15iterator_traitsISK_E10value_typeET2_T3_PNSL_ISQ_E10value_typeET4_jRbjT5_SW_jjP12ihipStream_tbEUlT_E2_NS1_11comp_targetILNS1_3genE5ELNS1_11target_archE942ELNS1_3gpuE9ELNS1_3repE0EEENS1_30default_config_static_selectorELNS0_4arch9wavefront6targetE0EEEvSK_.num_vgpr, 0
	.set _ZN7rocprim17ROCPRIM_400000_NS6detail17trampoline_kernelINS0_14default_configENS1_36segmented_radix_sort_config_selectorIdlEEZNS1_25segmented_radix_sort_implIS3_Lb0EPKdPdPKlPlN2at6native12_GLOBAL__N_18offset_tEEE10hipError_tPvRmT1_PNSt15iterator_traitsISK_E10value_typeET2_T3_PNSL_ISQ_E10value_typeET4_jRbjT5_SW_jjP12ihipStream_tbEUlT_E2_NS1_11comp_targetILNS1_3genE5ELNS1_11target_archE942ELNS1_3gpuE9ELNS1_3repE0EEENS1_30default_config_static_selectorELNS0_4arch9wavefront6targetE0EEEvSK_.num_agpr, 0
	.set _ZN7rocprim17ROCPRIM_400000_NS6detail17trampoline_kernelINS0_14default_configENS1_36segmented_radix_sort_config_selectorIdlEEZNS1_25segmented_radix_sort_implIS3_Lb0EPKdPdPKlPlN2at6native12_GLOBAL__N_18offset_tEEE10hipError_tPvRmT1_PNSt15iterator_traitsISK_E10value_typeET2_T3_PNSL_ISQ_E10value_typeET4_jRbjT5_SW_jjP12ihipStream_tbEUlT_E2_NS1_11comp_targetILNS1_3genE5ELNS1_11target_archE942ELNS1_3gpuE9ELNS1_3repE0EEENS1_30default_config_static_selectorELNS0_4arch9wavefront6targetE0EEEvSK_.numbered_sgpr, 0
	.set _ZN7rocprim17ROCPRIM_400000_NS6detail17trampoline_kernelINS0_14default_configENS1_36segmented_radix_sort_config_selectorIdlEEZNS1_25segmented_radix_sort_implIS3_Lb0EPKdPdPKlPlN2at6native12_GLOBAL__N_18offset_tEEE10hipError_tPvRmT1_PNSt15iterator_traitsISK_E10value_typeET2_T3_PNSL_ISQ_E10value_typeET4_jRbjT5_SW_jjP12ihipStream_tbEUlT_E2_NS1_11comp_targetILNS1_3genE5ELNS1_11target_archE942ELNS1_3gpuE9ELNS1_3repE0EEENS1_30default_config_static_selectorELNS0_4arch9wavefront6targetE0EEEvSK_.num_named_barrier, 0
	.set _ZN7rocprim17ROCPRIM_400000_NS6detail17trampoline_kernelINS0_14default_configENS1_36segmented_radix_sort_config_selectorIdlEEZNS1_25segmented_radix_sort_implIS3_Lb0EPKdPdPKlPlN2at6native12_GLOBAL__N_18offset_tEEE10hipError_tPvRmT1_PNSt15iterator_traitsISK_E10value_typeET2_T3_PNSL_ISQ_E10value_typeET4_jRbjT5_SW_jjP12ihipStream_tbEUlT_E2_NS1_11comp_targetILNS1_3genE5ELNS1_11target_archE942ELNS1_3gpuE9ELNS1_3repE0EEENS1_30default_config_static_selectorELNS0_4arch9wavefront6targetE0EEEvSK_.private_seg_size, 0
	.set _ZN7rocprim17ROCPRIM_400000_NS6detail17trampoline_kernelINS0_14default_configENS1_36segmented_radix_sort_config_selectorIdlEEZNS1_25segmented_radix_sort_implIS3_Lb0EPKdPdPKlPlN2at6native12_GLOBAL__N_18offset_tEEE10hipError_tPvRmT1_PNSt15iterator_traitsISK_E10value_typeET2_T3_PNSL_ISQ_E10value_typeET4_jRbjT5_SW_jjP12ihipStream_tbEUlT_E2_NS1_11comp_targetILNS1_3genE5ELNS1_11target_archE942ELNS1_3gpuE9ELNS1_3repE0EEENS1_30default_config_static_selectorELNS0_4arch9wavefront6targetE0EEEvSK_.uses_vcc, 0
	.set _ZN7rocprim17ROCPRIM_400000_NS6detail17trampoline_kernelINS0_14default_configENS1_36segmented_radix_sort_config_selectorIdlEEZNS1_25segmented_radix_sort_implIS3_Lb0EPKdPdPKlPlN2at6native12_GLOBAL__N_18offset_tEEE10hipError_tPvRmT1_PNSt15iterator_traitsISK_E10value_typeET2_T3_PNSL_ISQ_E10value_typeET4_jRbjT5_SW_jjP12ihipStream_tbEUlT_E2_NS1_11comp_targetILNS1_3genE5ELNS1_11target_archE942ELNS1_3gpuE9ELNS1_3repE0EEENS1_30default_config_static_selectorELNS0_4arch9wavefront6targetE0EEEvSK_.uses_flat_scratch, 0
	.set _ZN7rocprim17ROCPRIM_400000_NS6detail17trampoline_kernelINS0_14default_configENS1_36segmented_radix_sort_config_selectorIdlEEZNS1_25segmented_radix_sort_implIS3_Lb0EPKdPdPKlPlN2at6native12_GLOBAL__N_18offset_tEEE10hipError_tPvRmT1_PNSt15iterator_traitsISK_E10value_typeET2_T3_PNSL_ISQ_E10value_typeET4_jRbjT5_SW_jjP12ihipStream_tbEUlT_E2_NS1_11comp_targetILNS1_3genE5ELNS1_11target_archE942ELNS1_3gpuE9ELNS1_3repE0EEENS1_30default_config_static_selectorELNS0_4arch9wavefront6targetE0EEEvSK_.has_dyn_sized_stack, 0
	.set _ZN7rocprim17ROCPRIM_400000_NS6detail17trampoline_kernelINS0_14default_configENS1_36segmented_radix_sort_config_selectorIdlEEZNS1_25segmented_radix_sort_implIS3_Lb0EPKdPdPKlPlN2at6native12_GLOBAL__N_18offset_tEEE10hipError_tPvRmT1_PNSt15iterator_traitsISK_E10value_typeET2_T3_PNSL_ISQ_E10value_typeET4_jRbjT5_SW_jjP12ihipStream_tbEUlT_E2_NS1_11comp_targetILNS1_3genE5ELNS1_11target_archE942ELNS1_3gpuE9ELNS1_3repE0EEENS1_30default_config_static_selectorELNS0_4arch9wavefront6targetE0EEEvSK_.has_recursion, 0
	.set _ZN7rocprim17ROCPRIM_400000_NS6detail17trampoline_kernelINS0_14default_configENS1_36segmented_radix_sort_config_selectorIdlEEZNS1_25segmented_radix_sort_implIS3_Lb0EPKdPdPKlPlN2at6native12_GLOBAL__N_18offset_tEEE10hipError_tPvRmT1_PNSt15iterator_traitsISK_E10value_typeET2_T3_PNSL_ISQ_E10value_typeET4_jRbjT5_SW_jjP12ihipStream_tbEUlT_E2_NS1_11comp_targetILNS1_3genE5ELNS1_11target_archE942ELNS1_3gpuE9ELNS1_3repE0EEENS1_30default_config_static_selectorELNS0_4arch9wavefront6targetE0EEEvSK_.has_indirect_call, 0
	.section	.AMDGPU.csdata,"",@progbits
; Kernel info:
; codeLenInByte = 0
; TotalNumSgprs: 0
; NumVgprs: 0
; ScratchSize: 0
; MemoryBound: 0
; FloatMode: 240
; IeeeMode: 1
; LDSByteSize: 0 bytes/workgroup (compile time only)
; SGPRBlocks: 0
; VGPRBlocks: 0
; NumSGPRsForWavesPerEU: 1
; NumVGPRsForWavesPerEU: 1
; Occupancy: 16
; WaveLimiterHint : 0
; COMPUTE_PGM_RSRC2:SCRATCH_EN: 0
; COMPUTE_PGM_RSRC2:USER_SGPR: 2
; COMPUTE_PGM_RSRC2:TRAP_HANDLER: 0
; COMPUTE_PGM_RSRC2:TGID_X_EN: 1
; COMPUTE_PGM_RSRC2:TGID_Y_EN: 0
; COMPUTE_PGM_RSRC2:TGID_Z_EN: 0
; COMPUTE_PGM_RSRC2:TIDIG_COMP_CNT: 0
	.section	.text._ZN7rocprim17ROCPRIM_400000_NS6detail17trampoline_kernelINS0_14default_configENS1_36segmented_radix_sort_config_selectorIdlEEZNS1_25segmented_radix_sort_implIS3_Lb0EPKdPdPKlPlN2at6native12_GLOBAL__N_18offset_tEEE10hipError_tPvRmT1_PNSt15iterator_traitsISK_E10value_typeET2_T3_PNSL_ISQ_E10value_typeET4_jRbjT5_SW_jjP12ihipStream_tbEUlT_E2_NS1_11comp_targetILNS1_3genE4ELNS1_11target_archE910ELNS1_3gpuE8ELNS1_3repE0EEENS1_30default_config_static_selectorELNS0_4arch9wavefront6targetE0EEEvSK_,"axG",@progbits,_ZN7rocprim17ROCPRIM_400000_NS6detail17trampoline_kernelINS0_14default_configENS1_36segmented_radix_sort_config_selectorIdlEEZNS1_25segmented_radix_sort_implIS3_Lb0EPKdPdPKlPlN2at6native12_GLOBAL__N_18offset_tEEE10hipError_tPvRmT1_PNSt15iterator_traitsISK_E10value_typeET2_T3_PNSL_ISQ_E10value_typeET4_jRbjT5_SW_jjP12ihipStream_tbEUlT_E2_NS1_11comp_targetILNS1_3genE4ELNS1_11target_archE910ELNS1_3gpuE8ELNS1_3repE0EEENS1_30default_config_static_selectorELNS0_4arch9wavefront6targetE0EEEvSK_,comdat
	.globl	_ZN7rocprim17ROCPRIM_400000_NS6detail17trampoline_kernelINS0_14default_configENS1_36segmented_radix_sort_config_selectorIdlEEZNS1_25segmented_radix_sort_implIS3_Lb0EPKdPdPKlPlN2at6native12_GLOBAL__N_18offset_tEEE10hipError_tPvRmT1_PNSt15iterator_traitsISK_E10value_typeET2_T3_PNSL_ISQ_E10value_typeET4_jRbjT5_SW_jjP12ihipStream_tbEUlT_E2_NS1_11comp_targetILNS1_3genE4ELNS1_11target_archE910ELNS1_3gpuE8ELNS1_3repE0EEENS1_30default_config_static_selectorELNS0_4arch9wavefront6targetE0EEEvSK_ ; -- Begin function _ZN7rocprim17ROCPRIM_400000_NS6detail17trampoline_kernelINS0_14default_configENS1_36segmented_radix_sort_config_selectorIdlEEZNS1_25segmented_radix_sort_implIS3_Lb0EPKdPdPKlPlN2at6native12_GLOBAL__N_18offset_tEEE10hipError_tPvRmT1_PNSt15iterator_traitsISK_E10value_typeET2_T3_PNSL_ISQ_E10value_typeET4_jRbjT5_SW_jjP12ihipStream_tbEUlT_E2_NS1_11comp_targetILNS1_3genE4ELNS1_11target_archE910ELNS1_3gpuE8ELNS1_3repE0EEENS1_30default_config_static_selectorELNS0_4arch9wavefront6targetE0EEEvSK_
	.p2align	8
	.type	_ZN7rocprim17ROCPRIM_400000_NS6detail17trampoline_kernelINS0_14default_configENS1_36segmented_radix_sort_config_selectorIdlEEZNS1_25segmented_radix_sort_implIS3_Lb0EPKdPdPKlPlN2at6native12_GLOBAL__N_18offset_tEEE10hipError_tPvRmT1_PNSt15iterator_traitsISK_E10value_typeET2_T3_PNSL_ISQ_E10value_typeET4_jRbjT5_SW_jjP12ihipStream_tbEUlT_E2_NS1_11comp_targetILNS1_3genE4ELNS1_11target_archE910ELNS1_3gpuE8ELNS1_3repE0EEENS1_30default_config_static_selectorELNS0_4arch9wavefront6targetE0EEEvSK_,@function
_ZN7rocprim17ROCPRIM_400000_NS6detail17trampoline_kernelINS0_14default_configENS1_36segmented_radix_sort_config_selectorIdlEEZNS1_25segmented_radix_sort_implIS3_Lb0EPKdPdPKlPlN2at6native12_GLOBAL__N_18offset_tEEE10hipError_tPvRmT1_PNSt15iterator_traitsISK_E10value_typeET2_T3_PNSL_ISQ_E10value_typeET4_jRbjT5_SW_jjP12ihipStream_tbEUlT_E2_NS1_11comp_targetILNS1_3genE4ELNS1_11target_archE910ELNS1_3gpuE8ELNS1_3repE0EEENS1_30default_config_static_selectorELNS0_4arch9wavefront6targetE0EEEvSK_: ; @_ZN7rocprim17ROCPRIM_400000_NS6detail17trampoline_kernelINS0_14default_configENS1_36segmented_radix_sort_config_selectorIdlEEZNS1_25segmented_radix_sort_implIS3_Lb0EPKdPdPKlPlN2at6native12_GLOBAL__N_18offset_tEEE10hipError_tPvRmT1_PNSt15iterator_traitsISK_E10value_typeET2_T3_PNSL_ISQ_E10value_typeET4_jRbjT5_SW_jjP12ihipStream_tbEUlT_E2_NS1_11comp_targetILNS1_3genE4ELNS1_11target_archE910ELNS1_3gpuE8ELNS1_3repE0EEENS1_30default_config_static_selectorELNS0_4arch9wavefront6targetE0EEEvSK_
; %bb.0:
	.section	.rodata,"a",@progbits
	.p2align	6, 0x0
	.amdhsa_kernel _ZN7rocprim17ROCPRIM_400000_NS6detail17trampoline_kernelINS0_14default_configENS1_36segmented_radix_sort_config_selectorIdlEEZNS1_25segmented_radix_sort_implIS3_Lb0EPKdPdPKlPlN2at6native12_GLOBAL__N_18offset_tEEE10hipError_tPvRmT1_PNSt15iterator_traitsISK_E10value_typeET2_T3_PNSL_ISQ_E10value_typeET4_jRbjT5_SW_jjP12ihipStream_tbEUlT_E2_NS1_11comp_targetILNS1_3genE4ELNS1_11target_archE910ELNS1_3gpuE8ELNS1_3repE0EEENS1_30default_config_static_selectorELNS0_4arch9wavefront6targetE0EEEvSK_
		.amdhsa_group_segment_fixed_size 0
		.amdhsa_private_segment_fixed_size 0
		.amdhsa_kernarg_size 80
		.amdhsa_user_sgpr_count 2
		.amdhsa_user_sgpr_dispatch_ptr 0
		.amdhsa_user_sgpr_queue_ptr 0
		.amdhsa_user_sgpr_kernarg_segment_ptr 1
		.amdhsa_user_sgpr_dispatch_id 0
		.amdhsa_user_sgpr_private_segment_size 0
		.amdhsa_wavefront_size32 1
		.amdhsa_uses_dynamic_stack 0
		.amdhsa_enable_private_segment 0
		.amdhsa_system_sgpr_workgroup_id_x 1
		.amdhsa_system_sgpr_workgroup_id_y 0
		.amdhsa_system_sgpr_workgroup_id_z 0
		.amdhsa_system_sgpr_workgroup_info 0
		.amdhsa_system_vgpr_workitem_id 0
		.amdhsa_next_free_vgpr 1
		.amdhsa_next_free_sgpr 1
		.amdhsa_reserve_vcc 0
		.amdhsa_float_round_mode_32 0
		.amdhsa_float_round_mode_16_64 0
		.amdhsa_float_denorm_mode_32 3
		.amdhsa_float_denorm_mode_16_64 3
		.amdhsa_fp16_overflow 0
		.amdhsa_workgroup_processor_mode 1
		.amdhsa_memory_ordered 1
		.amdhsa_forward_progress 1
		.amdhsa_inst_pref_size 0
		.amdhsa_round_robin_scheduling 0
		.amdhsa_exception_fp_ieee_invalid_op 0
		.amdhsa_exception_fp_denorm_src 0
		.amdhsa_exception_fp_ieee_div_zero 0
		.amdhsa_exception_fp_ieee_overflow 0
		.amdhsa_exception_fp_ieee_underflow 0
		.amdhsa_exception_fp_ieee_inexact 0
		.amdhsa_exception_int_div_zero 0
	.end_amdhsa_kernel
	.section	.text._ZN7rocprim17ROCPRIM_400000_NS6detail17trampoline_kernelINS0_14default_configENS1_36segmented_radix_sort_config_selectorIdlEEZNS1_25segmented_radix_sort_implIS3_Lb0EPKdPdPKlPlN2at6native12_GLOBAL__N_18offset_tEEE10hipError_tPvRmT1_PNSt15iterator_traitsISK_E10value_typeET2_T3_PNSL_ISQ_E10value_typeET4_jRbjT5_SW_jjP12ihipStream_tbEUlT_E2_NS1_11comp_targetILNS1_3genE4ELNS1_11target_archE910ELNS1_3gpuE8ELNS1_3repE0EEENS1_30default_config_static_selectorELNS0_4arch9wavefront6targetE0EEEvSK_,"axG",@progbits,_ZN7rocprim17ROCPRIM_400000_NS6detail17trampoline_kernelINS0_14default_configENS1_36segmented_radix_sort_config_selectorIdlEEZNS1_25segmented_radix_sort_implIS3_Lb0EPKdPdPKlPlN2at6native12_GLOBAL__N_18offset_tEEE10hipError_tPvRmT1_PNSt15iterator_traitsISK_E10value_typeET2_T3_PNSL_ISQ_E10value_typeET4_jRbjT5_SW_jjP12ihipStream_tbEUlT_E2_NS1_11comp_targetILNS1_3genE4ELNS1_11target_archE910ELNS1_3gpuE8ELNS1_3repE0EEENS1_30default_config_static_selectorELNS0_4arch9wavefront6targetE0EEEvSK_,comdat
.Lfunc_end1253:
	.size	_ZN7rocprim17ROCPRIM_400000_NS6detail17trampoline_kernelINS0_14default_configENS1_36segmented_radix_sort_config_selectorIdlEEZNS1_25segmented_radix_sort_implIS3_Lb0EPKdPdPKlPlN2at6native12_GLOBAL__N_18offset_tEEE10hipError_tPvRmT1_PNSt15iterator_traitsISK_E10value_typeET2_T3_PNSL_ISQ_E10value_typeET4_jRbjT5_SW_jjP12ihipStream_tbEUlT_E2_NS1_11comp_targetILNS1_3genE4ELNS1_11target_archE910ELNS1_3gpuE8ELNS1_3repE0EEENS1_30default_config_static_selectorELNS0_4arch9wavefront6targetE0EEEvSK_, .Lfunc_end1253-_ZN7rocprim17ROCPRIM_400000_NS6detail17trampoline_kernelINS0_14default_configENS1_36segmented_radix_sort_config_selectorIdlEEZNS1_25segmented_radix_sort_implIS3_Lb0EPKdPdPKlPlN2at6native12_GLOBAL__N_18offset_tEEE10hipError_tPvRmT1_PNSt15iterator_traitsISK_E10value_typeET2_T3_PNSL_ISQ_E10value_typeET4_jRbjT5_SW_jjP12ihipStream_tbEUlT_E2_NS1_11comp_targetILNS1_3genE4ELNS1_11target_archE910ELNS1_3gpuE8ELNS1_3repE0EEENS1_30default_config_static_selectorELNS0_4arch9wavefront6targetE0EEEvSK_
                                        ; -- End function
	.set _ZN7rocprim17ROCPRIM_400000_NS6detail17trampoline_kernelINS0_14default_configENS1_36segmented_radix_sort_config_selectorIdlEEZNS1_25segmented_radix_sort_implIS3_Lb0EPKdPdPKlPlN2at6native12_GLOBAL__N_18offset_tEEE10hipError_tPvRmT1_PNSt15iterator_traitsISK_E10value_typeET2_T3_PNSL_ISQ_E10value_typeET4_jRbjT5_SW_jjP12ihipStream_tbEUlT_E2_NS1_11comp_targetILNS1_3genE4ELNS1_11target_archE910ELNS1_3gpuE8ELNS1_3repE0EEENS1_30default_config_static_selectorELNS0_4arch9wavefront6targetE0EEEvSK_.num_vgpr, 0
	.set _ZN7rocprim17ROCPRIM_400000_NS6detail17trampoline_kernelINS0_14default_configENS1_36segmented_radix_sort_config_selectorIdlEEZNS1_25segmented_radix_sort_implIS3_Lb0EPKdPdPKlPlN2at6native12_GLOBAL__N_18offset_tEEE10hipError_tPvRmT1_PNSt15iterator_traitsISK_E10value_typeET2_T3_PNSL_ISQ_E10value_typeET4_jRbjT5_SW_jjP12ihipStream_tbEUlT_E2_NS1_11comp_targetILNS1_3genE4ELNS1_11target_archE910ELNS1_3gpuE8ELNS1_3repE0EEENS1_30default_config_static_selectorELNS0_4arch9wavefront6targetE0EEEvSK_.num_agpr, 0
	.set _ZN7rocprim17ROCPRIM_400000_NS6detail17trampoline_kernelINS0_14default_configENS1_36segmented_radix_sort_config_selectorIdlEEZNS1_25segmented_radix_sort_implIS3_Lb0EPKdPdPKlPlN2at6native12_GLOBAL__N_18offset_tEEE10hipError_tPvRmT1_PNSt15iterator_traitsISK_E10value_typeET2_T3_PNSL_ISQ_E10value_typeET4_jRbjT5_SW_jjP12ihipStream_tbEUlT_E2_NS1_11comp_targetILNS1_3genE4ELNS1_11target_archE910ELNS1_3gpuE8ELNS1_3repE0EEENS1_30default_config_static_selectorELNS0_4arch9wavefront6targetE0EEEvSK_.numbered_sgpr, 0
	.set _ZN7rocprim17ROCPRIM_400000_NS6detail17trampoline_kernelINS0_14default_configENS1_36segmented_radix_sort_config_selectorIdlEEZNS1_25segmented_radix_sort_implIS3_Lb0EPKdPdPKlPlN2at6native12_GLOBAL__N_18offset_tEEE10hipError_tPvRmT1_PNSt15iterator_traitsISK_E10value_typeET2_T3_PNSL_ISQ_E10value_typeET4_jRbjT5_SW_jjP12ihipStream_tbEUlT_E2_NS1_11comp_targetILNS1_3genE4ELNS1_11target_archE910ELNS1_3gpuE8ELNS1_3repE0EEENS1_30default_config_static_selectorELNS0_4arch9wavefront6targetE0EEEvSK_.num_named_barrier, 0
	.set _ZN7rocprim17ROCPRIM_400000_NS6detail17trampoline_kernelINS0_14default_configENS1_36segmented_radix_sort_config_selectorIdlEEZNS1_25segmented_radix_sort_implIS3_Lb0EPKdPdPKlPlN2at6native12_GLOBAL__N_18offset_tEEE10hipError_tPvRmT1_PNSt15iterator_traitsISK_E10value_typeET2_T3_PNSL_ISQ_E10value_typeET4_jRbjT5_SW_jjP12ihipStream_tbEUlT_E2_NS1_11comp_targetILNS1_3genE4ELNS1_11target_archE910ELNS1_3gpuE8ELNS1_3repE0EEENS1_30default_config_static_selectorELNS0_4arch9wavefront6targetE0EEEvSK_.private_seg_size, 0
	.set _ZN7rocprim17ROCPRIM_400000_NS6detail17trampoline_kernelINS0_14default_configENS1_36segmented_radix_sort_config_selectorIdlEEZNS1_25segmented_radix_sort_implIS3_Lb0EPKdPdPKlPlN2at6native12_GLOBAL__N_18offset_tEEE10hipError_tPvRmT1_PNSt15iterator_traitsISK_E10value_typeET2_T3_PNSL_ISQ_E10value_typeET4_jRbjT5_SW_jjP12ihipStream_tbEUlT_E2_NS1_11comp_targetILNS1_3genE4ELNS1_11target_archE910ELNS1_3gpuE8ELNS1_3repE0EEENS1_30default_config_static_selectorELNS0_4arch9wavefront6targetE0EEEvSK_.uses_vcc, 0
	.set _ZN7rocprim17ROCPRIM_400000_NS6detail17trampoline_kernelINS0_14default_configENS1_36segmented_radix_sort_config_selectorIdlEEZNS1_25segmented_radix_sort_implIS3_Lb0EPKdPdPKlPlN2at6native12_GLOBAL__N_18offset_tEEE10hipError_tPvRmT1_PNSt15iterator_traitsISK_E10value_typeET2_T3_PNSL_ISQ_E10value_typeET4_jRbjT5_SW_jjP12ihipStream_tbEUlT_E2_NS1_11comp_targetILNS1_3genE4ELNS1_11target_archE910ELNS1_3gpuE8ELNS1_3repE0EEENS1_30default_config_static_selectorELNS0_4arch9wavefront6targetE0EEEvSK_.uses_flat_scratch, 0
	.set _ZN7rocprim17ROCPRIM_400000_NS6detail17trampoline_kernelINS0_14default_configENS1_36segmented_radix_sort_config_selectorIdlEEZNS1_25segmented_radix_sort_implIS3_Lb0EPKdPdPKlPlN2at6native12_GLOBAL__N_18offset_tEEE10hipError_tPvRmT1_PNSt15iterator_traitsISK_E10value_typeET2_T3_PNSL_ISQ_E10value_typeET4_jRbjT5_SW_jjP12ihipStream_tbEUlT_E2_NS1_11comp_targetILNS1_3genE4ELNS1_11target_archE910ELNS1_3gpuE8ELNS1_3repE0EEENS1_30default_config_static_selectorELNS0_4arch9wavefront6targetE0EEEvSK_.has_dyn_sized_stack, 0
	.set _ZN7rocprim17ROCPRIM_400000_NS6detail17trampoline_kernelINS0_14default_configENS1_36segmented_radix_sort_config_selectorIdlEEZNS1_25segmented_radix_sort_implIS3_Lb0EPKdPdPKlPlN2at6native12_GLOBAL__N_18offset_tEEE10hipError_tPvRmT1_PNSt15iterator_traitsISK_E10value_typeET2_T3_PNSL_ISQ_E10value_typeET4_jRbjT5_SW_jjP12ihipStream_tbEUlT_E2_NS1_11comp_targetILNS1_3genE4ELNS1_11target_archE910ELNS1_3gpuE8ELNS1_3repE0EEENS1_30default_config_static_selectorELNS0_4arch9wavefront6targetE0EEEvSK_.has_recursion, 0
	.set _ZN7rocprim17ROCPRIM_400000_NS6detail17trampoline_kernelINS0_14default_configENS1_36segmented_radix_sort_config_selectorIdlEEZNS1_25segmented_radix_sort_implIS3_Lb0EPKdPdPKlPlN2at6native12_GLOBAL__N_18offset_tEEE10hipError_tPvRmT1_PNSt15iterator_traitsISK_E10value_typeET2_T3_PNSL_ISQ_E10value_typeET4_jRbjT5_SW_jjP12ihipStream_tbEUlT_E2_NS1_11comp_targetILNS1_3genE4ELNS1_11target_archE910ELNS1_3gpuE8ELNS1_3repE0EEENS1_30default_config_static_selectorELNS0_4arch9wavefront6targetE0EEEvSK_.has_indirect_call, 0
	.section	.AMDGPU.csdata,"",@progbits
; Kernel info:
; codeLenInByte = 0
; TotalNumSgprs: 0
; NumVgprs: 0
; ScratchSize: 0
; MemoryBound: 0
; FloatMode: 240
; IeeeMode: 1
; LDSByteSize: 0 bytes/workgroup (compile time only)
; SGPRBlocks: 0
; VGPRBlocks: 0
; NumSGPRsForWavesPerEU: 1
; NumVGPRsForWavesPerEU: 1
; Occupancy: 16
; WaveLimiterHint : 0
; COMPUTE_PGM_RSRC2:SCRATCH_EN: 0
; COMPUTE_PGM_RSRC2:USER_SGPR: 2
; COMPUTE_PGM_RSRC2:TRAP_HANDLER: 0
; COMPUTE_PGM_RSRC2:TGID_X_EN: 1
; COMPUTE_PGM_RSRC2:TGID_Y_EN: 0
; COMPUTE_PGM_RSRC2:TGID_Z_EN: 0
; COMPUTE_PGM_RSRC2:TIDIG_COMP_CNT: 0
	.section	.text._ZN7rocprim17ROCPRIM_400000_NS6detail17trampoline_kernelINS0_14default_configENS1_36segmented_radix_sort_config_selectorIdlEEZNS1_25segmented_radix_sort_implIS3_Lb0EPKdPdPKlPlN2at6native12_GLOBAL__N_18offset_tEEE10hipError_tPvRmT1_PNSt15iterator_traitsISK_E10value_typeET2_T3_PNSL_ISQ_E10value_typeET4_jRbjT5_SW_jjP12ihipStream_tbEUlT_E2_NS1_11comp_targetILNS1_3genE3ELNS1_11target_archE908ELNS1_3gpuE7ELNS1_3repE0EEENS1_30default_config_static_selectorELNS0_4arch9wavefront6targetE0EEEvSK_,"axG",@progbits,_ZN7rocprim17ROCPRIM_400000_NS6detail17trampoline_kernelINS0_14default_configENS1_36segmented_radix_sort_config_selectorIdlEEZNS1_25segmented_radix_sort_implIS3_Lb0EPKdPdPKlPlN2at6native12_GLOBAL__N_18offset_tEEE10hipError_tPvRmT1_PNSt15iterator_traitsISK_E10value_typeET2_T3_PNSL_ISQ_E10value_typeET4_jRbjT5_SW_jjP12ihipStream_tbEUlT_E2_NS1_11comp_targetILNS1_3genE3ELNS1_11target_archE908ELNS1_3gpuE7ELNS1_3repE0EEENS1_30default_config_static_selectorELNS0_4arch9wavefront6targetE0EEEvSK_,comdat
	.globl	_ZN7rocprim17ROCPRIM_400000_NS6detail17trampoline_kernelINS0_14default_configENS1_36segmented_radix_sort_config_selectorIdlEEZNS1_25segmented_radix_sort_implIS3_Lb0EPKdPdPKlPlN2at6native12_GLOBAL__N_18offset_tEEE10hipError_tPvRmT1_PNSt15iterator_traitsISK_E10value_typeET2_T3_PNSL_ISQ_E10value_typeET4_jRbjT5_SW_jjP12ihipStream_tbEUlT_E2_NS1_11comp_targetILNS1_3genE3ELNS1_11target_archE908ELNS1_3gpuE7ELNS1_3repE0EEENS1_30default_config_static_selectorELNS0_4arch9wavefront6targetE0EEEvSK_ ; -- Begin function _ZN7rocprim17ROCPRIM_400000_NS6detail17trampoline_kernelINS0_14default_configENS1_36segmented_radix_sort_config_selectorIdlEEZNS1_25segmented_radix_sort_implIS3_Lb0EPKdPdPKlPlN2at6native12_GLOBAL__N_18offset_tEEE10hipError_tPvRmT1_PNSt15iterator_traitsISK_E10value_typeET2_T3_PNSL_ISQ_E10value_typeET4_jRbjT5_SW_jjP12ihipStream_tbEUlT_E2_NS1_11comp_targetILNS1_3genE3ELNS1_11target_archE908ELNS1_3gpuE7ELNS1_3repE0EEENS1_30default_config_static_selectorELNS0_4arch9wavefront6targetE0EEEvSK_
	.p2align	8
	.type	_ZN7rocprim17ROCPRIM_400000_NS6detail17trampoline_kernelINS0_14default_configENS1_36segmented_radix_sort_config_selectorIdlEEZNS1_25segmented_radix_sort_implIS3_Lb0EPKdPdPKlPlN2at6native12_GLOBAL__N_18offset_tEEE10hipError_tPvRmT1_PNSt15iterator_traitsISK_E10value_typeET2_T3_PNSL_ISQ_E10value_typeET4_jRbjT5_SW_jjP12ihipStream_tbEUlT_E2_NS1_11comp_targetILNS1_3genE3ELNS1_11target_archE908ELNS1_3gpuE7ELNS1_3repE0EEENS1_30default_config_static_selectorELNS0_4arch9wavefront6targetE0EEEvSK_,@function
_ZN7rocprim17ROCPRIM_400000_NS6detail17trampoline_kernelINS0_14default_configENS1_36segmented_radix_sort_config_selectorIdlEEZNS1_25segmented_radix_sort_implIS3_Lb0EPKdPdPKlPlN2at6native12_GLOBAL__N_18offset_tEEE10hipError_tPvRmT1_PNSt15iterator_traitsISK_E10value_typeET2_T3_PNSL_ISQ_E10value_typeET4_jRbjT5_SW_jjP12ihipStream_tbEUlT_E2_NS1_11comp_targetILNS1_3genE3ELNS1_11target_archE908ELNS1_3gpuE7ELNS1_3repE0EEENS1_30default_config_static_selectorELNS0_4arch9wavefront6targetE0EEEvSK_: ; @_ZN7rocprim17ROCPRIM_400000_NS6detail17trampoline_kernelINS0_14default_configENS1_36segmented_radix_sort_config_selectorIdlEEZNS1_25segmented_radix_sort_implIS3_Lb0EPKdPdPKlPlN2at6native12_GLOBAL__N_18offset_tEEE10hipError_tPvRmT1_PNSt15iterator_traitsISK_E10value_typeET2_T3_PNSL_ISQ_E10value_typeET4_jRbjT5_SW_jjP12ihipStream_tbEUlT_E2_NS1_11comp_targetILNS1_3genE3ELNS1_11target_archE908ELNS1_3gpuE7ELNS1_3repE0EEENS1_30default_config_static_selectorELNS0_4arch9wavefront6targetE0EEEvSK_
; %bb.0:
	.section	.rodata,"a",@progbits
	.p2align	6, 0x0
	.amdhsa_kernel _ZN7rocprim17ROCPRIM_400000_NS6detail17trampoline_kernelINS0_14default_configENS1_36segmented_radix_sort_config_selectorIdlEEZNS1_25segmented_radix_sort_implIS3_Lb0EPKdPdPKlPlN2at6native12_GLOBAL__N_18offset_tEEE10hipError_tPvRmT1_PNSt15iterator_traitsISK_E10value_typeET2_T3_PNSL_ISQ_E10value_typeET4_jRbjT5_SW_jjP12ihipStream_tbEUlT_E2_NS1_11comp_targetILNS1_3genE3ELNS1_11target_archE908ELNS1_3gpuE7ELNS1_3repE0EEENS1_30default_config_static_selectorELNS0_4arch9wavefront6targetE0EEEvSK_
		.amdhsa_group_segment_fixed_size 0
		.amdhsa_private_segment_fixed_size 0
		.amdhsa_kernarg_size 80
		.amdhsa_user_sgpr_count 2
		.amdhsa_user_sgpr_dispatch_ptr 0
		.amdhsa_user_sgpr_queue_ptr 0
		.amdhsa_user_sgpr_kernarg_segment_ptr 1
		.amdhsa_user_sgpr_dispatch_id 0
		.amdhsa_user_sgpr_private_segment_size 0
		.amdhsa_wavefront_size32 1
		.amdhsa_uses_dynamic_stack 0
		.amdhsa_enable_private_segment 0
		.amdhsa_system_sgpr_workgroup_id_x 1
		.amdhsa_system_sgpr_workgroup_id_y 0
		.amdhsa_system_sgpr_workgroup_id_z 0
		.amdhsa_system_sgpr_workgroup_info 0
		.amdhsa_system_vgpr_workitem_id 0
		.amdhsa_next_free_vgpr 1
		.amdhsa_next_free_sgpr 1
		.amdhsa_reserve_vcc 0
		.amdhsa_float_round_mode_32 0
		.amdhsa_float_round_mode_16_64 0
		.amdhsa_float_denorm_mode_32 3
		.amdhsa_float_denorm_mode_16_64 3
		.amdhsa_fp16_overflow 0
		.amdhsa_workgroup_processor_mode 1
		.amdhsa_memory_ordered 1
		.amdhsa_forward_progress 1
		.amdhsa_inst_pref_size 0
		.amdhsa_round_robin_scheduling 0
		.amdhsa_exception_fp_ieee_invalid_op 0
		.amdhsa_exception_fp_denorm_src 0
		.amdhsa_exception_fp_ieee_div_zero 0
		.amdhsa_exception_fp_ieee_overflow 0
		.amdhsa_exception_fp_ieee_underflow 0
		.amdhsa_exception_fp_ieee_inexact 0
		.amdhsa_exception_int_div_zero 0
	.end_amdhsa_kernel
	.section	.text._ZN7rocprim17ROCPRIM_400000_NS6detail17trampoline_kernelINS0_14default_configENS1_36segmented_radix_sort_config_selectorIdlEEZNS1_25segmented_radix_sort_implIS3_Lb0EPKdPdPKlPlN2at6native12_GLOBAL__N_18offset_tEEE10hipError_tPvRmT1_PNSt15iterator_traitsISK_E10value_typeET2_T3_PNSL_ISQ_E10value_typeET4_jRbjT5_SW_jjP12ihipStream_tbEUlT_E2_NS1_11comp_targetILNS1_3genE3ELNS1_11target_archE908ELNS1_3gpuE7ELNS1_3repE0EEENS1_30default_config_static_selectorELNS0_4arch9wavefront6targetE0EEEvSK_,"axG",@progbits,_ZN7rocprim17ROCPRIM_400000_NS6detail17trampoline_kernelINS0_14default_configENS1_36segmented_radix_sort_config_selectorIdlEEZNS1_25segmented_radix_sort_implIS3_Lb0EPKdPdPKlPlN2at6native12_GLOBAL__N_18offset_tEEE10hipError_tPvRmT1_PNSt15iterator_traitsISK_E10value_typeET2_T3_PNSL_ISQ_E10value_typeET4_jRbjT5_SW_jjP12ihipStream_tbEUlT_E2_NS1_11comp_targetILNS1_3genE3ELNS1_11target_archE908ELNS1_3gpuE7ELNS1_3repE0EEENS1_30default_config_static_selectorELNS0_4arch9wavefront6targetE0EEEvSK_,comdat
.Lfunc_end1254:
	.size	_ZN7rocprim17ROCPRIM_400000_NS6detail17trampoline_kernelINS0_14default_configENS1_36segmented_radix_sort_config_selectorIdlEEZNS1_25segmented_radix_sort_implIS3_Lb0EPKdPdPKlPlN2at6native12_GLOBAL__N_18offset_tEEE10hipError_tPvRmT1_PNSt15iterator_traitsISK_E10value_typeET2_T3_PNSL_ISQ_E10value_typeET4_jRbjT5_SW_jjP12ihipStream_tbEUlT_E2_NS1_11comp_targetILNS1_3genE3ELNS1_11target_archE908ELNS1_3gpuE7ELNS1_3repE0EEENS1_30default_config_static_selectorELNS0_4arch9wavefront6targetE0EEEvSK_, .Lfunc_end1254-_ZN7rocprim17ROCPRIM_400000_NS6detail17trampoline_kernelINS0_14default_configENS1_36segmented_radix_sort_config_selectorIdlEEZNS1_25segmented_radix_sort_implIS3_Lb0EPKdPdPKlPlN2at6native12_GLOBAL__N_18offset_tEEE10hipError_tPvRmT1_PNSt15iterator_traitsISK_E10value_typeET2_T3_PNSL_ISQ_E10value_typeET4_jRbjT5_SW_jjP12ihipStream_tbEUlT_E2_NS1_11comp_targetILNS1_3genE3ELNS1_11target_archE908ELNS1_3gpuE7ELNS1_3repE0EEENS1_30default_config_static_selectorELNS0_4arch9wavefront6targetE0EEEvSK_
                                        ; -- End function
	.set _ZN7rocprim17ROCPRIM_400000_NS6detail17trampoline_kernelINS0_14default_configENS1_36segmented_radix_sort_config_selectorIdlEEZNS1_25segmented_radix_sort_implIS3_Lb0EPKdPdPKlPlN2at6native12_GLOBAL__N_18offset_tEEE10hipError_tPvRmT1_PNSt15iterator_traitsISK_E10value_typeET2_T3_PNSL_ISQ_E10value_typeET4_jRbjT5_SW_jjP12ihipStream_tbEUlT_E2_NS1_11comp_targetILNS1_3genE3ELNS1_11target_archE908ELNS1_3gpuE7ELNS1_3repE0EEENS1_30default_config_static_selectorELNS0_4arch9wavefront6targetE0EEEvSK_.num_vgpr, 0
	.set _ZN7rocprim17ROCPRIM_400000_NS6detail17trampoline_kernelINS0_14default_configENS1_36segmented_radix_sort_config_selectorIdlEEZNS1_25segmented_radix_sort_implIS3_Lb0EPKdPdPKlPlN2at6native12_GLOBAL__N_18offset_tEEE10hipError_tPvRmT1_PNSt15iterator_traitsISK_E10value_typeET2_T3_PNSL_ISQ_E10value_typeET4_jRbjT5_SW_jjP12ihipStream_tbEUlT_E2_NS1_11comp_targetILNS1_3genE3ELNS1_11target_archE908ELNS1_3gpuE7ELNS1_3repE0EEENS1_30default_config_static_selectorELNS0_4arch9wavefront6targetE0EEEvSK_.num_agpr, 0
	.set _ZN7rocprim17ROCPRIM_400000_NS6detail17trampoline_kernelINS0_14default_configENS1_36segmented_radix_sort_config_selectorIdlEEZNS1_25segmented_radix_sort_implIS3_Lb0EPKdPdPKlPlN2at6native12_GLOBAL__N_18offset_tEEE10hipError_tPvRmT1_PNSt15iterator_traitsISK_E10value_typeET2_T3_PNSL_ISQ_E10value_typeET4_jRbjT5_SW_jjP12ihipStream_tbEUlT_E2_NS1_11comp_targetILNS1_3genE3ELNS1_11target_archE908ELNS1_3gpuE7ELNS1_3repE0EEENS1_30default_config_static_selectorELNS0_4arch9wavefront6targetE0EEEvSK_.numbered_sgpr, 0
	.set _ZN7rocprim17ROCPRIM_400000_NS6detail17trampoline_kernelINS0_14default_configENS1_36segmented_radix_sort_config_selectorIdlEEZNS1_25segmented_radix_sort_implIS3_Lb0EPKdPdPKlPlN2at6native12_GLOBAL__N_18offset_tEEE10hipError_tPvRmT1_PNSt15iterator_traitsISK_E10value_typeET2_T3_PNSL_ISQ_E10value_typeET4_jRbjT5_SW_jjP12ihipStream_tbEUlT_E2_NS1_11comp_targetILNS1_3genE3ELNS1_11target_archE908ELNS1_3gpuE7ELNS1_3repE0EEENS1_30default_config_static_selectorELNS0_4arch9wavefront6targetE0EEEvSK_.num_named_barrier, 0
	.set _ZN7rocprim17ROCPRIM_400000_NS6detail17trampoline_kernelINS0_14default_configENS1_36segmented_radix_sort_config_selectorIdlEEZNS1_25segmented_radix_sort_implIS3_Lb0EPKdPdPKlPlN2at6native12_GLOBAL__N_18offset_tEEE10hipError_tPvRmT1_PNSt15iterator_traitsISK_E10value_typeET2_T3_PNSL_ISQ_E10value_typeET4_jRbjT5_SW_jjP12ihipStream_tbEUlT_E2_NS1_11comp_targetILNS1_3genE3ELNS1_11target_archE908ELNS1_3gpuE7ELNS1_3repE0EEENS1_30default_config_static_selectorELNS0_4arch9wavefront6targetE0EEEvSK_.private_seg_size, 0
	.set _ZN7rocprim17ROCPRIM_400000_NS6detail17trampoline_kernelINS0_14default_configENS1_36segmented_radix_sort_config_selectorIdlEEZNS1_25segmented_radix_sort_implIS3_Lb0EPKdPdPKlPlN2at6native12_GLOBAL__N_18offset_tEEE10hipError_tPvRmT1_PNSt15iterator_traitsISK_E10value_typeET2_T3_PNSL_ISQ_E10value_typeET4_jRbjT5_SW_jjP12ihipStream_tbEUlT_E2_NS1_11comp_targetILNS1_3genE3ELNS1_11target_archE908ELNS1_3gpuE7ELNS1_3repE0EEENS1_30default_config_static_selectorELNS0_4arch9wavefront6targetE0EEEvSK_.uses_vcc, 0
	.set _ZN7rocprim17ROCPRIM_400000_NS6detail17trampoline_kernelINS0_14default_configENS1_36segmented_radix_sort_config_selectorIdlEEZNS1_25segmented_radix_sort_implIS3_Lb0EPKdPdPKlPlN2at6native12_GLOBAL__N_18offset_tEEE10hipError_tPvRmT1_PNSt15iterator_traitsISK_E10value_typeET2_T3_PNSL_ISQ_E10value_typeET4_jRbjT5_SW_jjP12ihipStream_tbEUlT_E2_NS1_11comp_targetILNS1_3genE3ELNS1_11target_archE908ELNS1_3gpuE7ELNS1_3repE0EEENS1_30default_config_static_selectorELNS0_4arch9wavefront6targetE0EEEvSK_.uses_flat_scratch, 0
	.set _ZN7rocprim17ROCPRIM_400000_NS6detail17trampoline_kernelINS0_14default_configENS1_36segmented_radix_sort_config_selectorIdlEEZNS1_25segmented_radix_sort_implIS3_Lb0EPKdPdPKlPlN2at6native12_GLOBAL__N_18offset_tEEE10hipError_tPvRmT1_PNSt15iterator_traitsISK_E10value_typeET2_T3_PNSL_ISQ_E10value_typeET4_jRbjT5_SW_jjP12ihipStream_tbEUlT_E2_NS1_11comp_targetILNS1_3genE3ELNS1_11target_archE908ELNS1_3gpuE7ELNS1_3repE0EEENS1_30default_config_static_selectorELNS0_4arch9wavefront6targetE0EEEvSK_.has_dyn_sized_stack, 0
	.set _ZN7rocprim17ROCPRIM_400000_NS6detail17trampoline_kernelINS0_14default_configENS1_36segmented_radix_sort_config_selectorIdlEEZNS1_25segmented_radix_sort_implIS3_Lb0EPKdPdPKlPlN2at6native12_GLOBAL__N_18offset_tEEE10hipError_tPvRmT1_PNSt15iterator_traitsISK_E10value_typeET2_T3_PNSL_ISQ_E10value_typeET4_jRbjT5_SW_jjP12ihipStream_tbEUlT_E2_NS1_11comp_targetILNS1_3genE3ELNS1_11target_archE908ELNS1_3gpuE7ELNS1_3repE0EEENS1_30default_config_static_selectorELNS0_4arch9wavefront6targetE0EEEvSK_.has_recursion, 0
	.set _ZN7rocprim17ROCPRIM_400000_NS6detail17trampoline_kernelINS0_14default_configENS1_36segmented_radix_sort_config_selectorIdlEEZNS1_25segmented_radix_sort_implIS3_Lb0EPKdPdPKlPlN2at6native12_GLOBAL__N_18offset_tEEE10hipError_tPvRmT1_PNSt15iterator_traitsISK_E10value_typeET2_T3_PNSL_ISQ_E10value_typeET4_jRbjT5_SW_jjP12ihipStream_tbEUlT_E2_NS1_11comp_targetILNS1_3genE3ELNS1_11target_archE908ELNS1_3gpuE7ELNS1_3repE0EEENS1_30default_config_static_selectorELNS0_4arch9wavefront6targetE0EEEvSK_.has_indirect_call, 0
	.section	.AMDGPU.csdata,"",@progbits
; Kernel info:
; codeLenInByte = 0
; TotalNumSgprs: 0
; NumVgprs: 0
; ScratchSize: 0
; MemoryBound: 0
; FloatMode: 240
; IeeeMode: 1
; LDSByteSize: 0 bytes/workgroup (compile time only)
; SGPRBlocks: 0
; VGPRBlocks: 0
; NumSGPRsForWavesPerEU: 1
; NumVGPRsForWavesPerEU: 1
; Occupancy: 16
; WaveLimiterHint : 0
; COMPUTE_PGM_RSRC2:SCRATCH_EN: 0
; COMPUTE_PGM_RSRC2:USER_SGPR: 2
; COMPUTE_PGM_RSRC2:TRAP_HANDLER: 0
; COMPUTE_PGM_RSRC2:TGID_X_EN: 1
; COMPUTE_PGM_RSRC2:TGID_Y_EN: 0
; COMPUTE_PGM_RSRC2:TGID_Z_EN: 0
; COMPUTE_PGM_RSRC2:TIDIG_COMP_CNT: 0
	.section	.text._ZN7rocprim17ROCPRIM_400000_NS6detail17trampoline_kernelINS0_14default_configENS1_36segmented_radix_sort_config_selectorIdlEEZNS1_25segmented_radix_sort_implIS3_Lb0EPKdPdPKlPlN2at6native12_GLOBAL__N_18offset_tEEE10hipError_tPvRmT1_PNSt15iterator_traitsISK_E10value_typeET2_T3_PNSL_ISQ_E10value_typeET4_jRbjT5_SW_jjP12ihipStream_tbEUlT_E2_NS1_11comp_targetILNS1_3genE2ELNS1_11target_archE906ELNS1_3gpuE6ELNS1_3repE0EEENS1_30default_config_static_selectorELNS0_4arch9wavefront6targetE0EEEvSK_,"axG",@progbits,_ZN7rocprim17ROCPRIM_400000_NS6detail17trampoline_kernelINS0_14default_configENS1_36segmented_radix_sort_config_selectorIdlEEZNS1_25segmented_radix_sort_implIS3_Lb0EPKdPdPKlPlN2at6native12_GLOBAL__N_18offset_tEEE10hipError_tPvRmT1_PNSt15iterator_traitsISK_E10value_typeET2_T3_PNSL_ISQ_E10value_typeET4_jRbjT5_SW_jjP12ihipStream_tbEUlT_E2_NS1_11comp_targetILNS1_3genE2ELNS1_11target_archE906ELNS1_3gpuE6ELNS1_3repE0EEENS1_30default_config_static_selectorELNS0_4arch9wavefront6targetE0EEEvSK_,comdat
	.globl	_ZN7rocprim17ROCPRIM_400000_NS6detail17trampoline_kernelINS0_14default_configENS1_36segmented_radix_sort_config_selectorIdlEEZNS1_25segmented_radix_sort_implIS3_Lb0EPKdPdPKlPlN2at6native12_GLOBAL__N_18offset_tEEE10hipError_tPvRmT1_PNSt15iterator_traitsISK_E10value_typeET2_T3_PNSL_ISQ_E10value_typeET4_jRbjT5_SW_jjP12ihipStream_tbEUlT_E2_NS1_11comp_targetILNS1_3genE2ELNS1_11target_archE906ELNS1_3gpuE6ELNS1_3repE0EEENS1_30default_config_static_selectorELNS0_4arch9wavefront6targetE0EEEvSK_ ; -- Begin function _ZN7rocprim17ROCPRIM_400000_NS6detail17trampoline_kernelINS0_14default_configENS1_36segmented_radix_sort_config_selectorIdlEEZNS1_25segmented_radix_sort_implIS3_Lb0EPKdPdPKlPlN2at6native12_GLOBAL__N_18offset_tEEE10hipError_tPvRmT1_PNSt15iterator_traitsISK_E10value_typeET2_T3_PNSL_ISQ_E10value_typeET4_jRbjT5_SW_jjP12ihipStream_tbEUlT_E2_NS1_11comp_targetILNS1_3genE2ELNS1_11target_archE906ELNS1_3gpuE6ELNS1_3repE0EEENS1_30default_config_static_selectorELNS0_4arch9wavefront6targetE0EEEvSK_
	.p2align	8
	.type	_ZN7rocprim17ROCPRIM_400000_NS6detail17trampoline_kernelINS0_14default_configENS1_36segmented_radix_sort_config_selectorIdlEEZNS1_25segmented_radix_sort_implIS3_Lb0EPKdPdPKlPlN2at6native12_GLOBAL__N_18offset_tEEE10hipError_tPvRmT1_PNSt15iterator_traitsISK_E10value_typeET2_T3_PNSL_ISQ_E10value_typeET4_jRbjT5_SW_jjP12ihipStream_tbEUlT_E2_NS1_11comp_targetILNS1_3genE2ELNS1_11target_archE906ELNS1_3gpuE6ELNS1_3repE0EEENS1_30default_config_static_selectorELNS0_4arch9wavefront6targetE0EEEvSK_,@function
_ZN7rocprim17ROCPRIM_400000_NS6detail17trampoline_kernelINS0_14default_configENS1_36segmented_radix_sort_config_selectorIdlEEZNS1_25segmented_radix_sort_implIS3_Lb0EPKdPdPKlPlN2at6native12_GLOBAL__N_18offset_tEEE10hipError_tPvRmT1_PNSt15iterator_traitsISK_E10value_typeET2_T3_PNSL_ISQ_E10value_typeET4_jRbjT5_SW_jjP12ihipStream_tbEUlT_E2_NS1_11comp_targetILNS1_3genE2ELNS1_11target_archE906ELNS1_3gpuE6ELNS1_3repE0EEENS1_30default_config_static_selectorELNS0_4arch9wavefront6targetE0EEEvSK_: ; @_ZN7rocprim17ROCPRIM_400000_NS6detail17trampoline_kernelINS0_14default_configENS1_36segmented_radix_sort_config_selectorIdlEEZNS1_25segmented_radix_sort_implIS3_Lb0EPKdPdPKlPlN2at6native12_GLOBAL__N_18offset_tEEE10hipError_tPvRmT1_PNSt15iterator_traitsISK_E10value_typeET2_T3_PNSL_ISQ_E10value_typeET4_jRbjT5_SW_jjP12ihipStream_tbEUlT_E2_NS1_11comp_targetILNS1_3genE2ELNS1_11target_archE906ELNS1_3gpuE6ELNS1_3repE0EEENS1_30default_config_static_selectorELNS0_4arch9wavefront6targetE0EEEvSK_
; %bb.0:
	.section	.rodata,"a",@progbits
	.p2align	6, 0x0
	.amdhsa_kernel _ZN7rocprim17ROCPRIM_400000_NS6detail17trampoline_kernelINS0_14default_configENS1_36segmented_radix_sort_config_selectorIdlEEZNS1_25segmented_radix_sort_implIS3_Lb0EPKdPdPKlPlN2at6native12_GLOBAL__N_18offset_tEEE10hipError_tPvRmT1_PNSt15iterator_traitsISK_E10value_typeET2_T3_PNSL_ISQ_E10value_typeET4_jRbjT5_SW_jjP12ihipStream_tbEUlT_E2_NS1_11comp_targetILNS1_3genE2ELNS1_11target_archE906ELNS1_3gpuE6ELNS1_3repE0EEENS1_30default_config_static_selectorELNS0_4arch9wavefront6targetE0EEEvSK_
		.amdhsa_group_segment_fixed_size 0
		.amdhsa_private_segment_fixed_size 0
		.amdhsa_kernarg_size 80
		.amdhsa_user_sgpr_count 2
		.amdhsa_user_sgpr_dispatch_ptr 0
		.amdhsa_user_sgpr_queue_ptr 0
		.amdhsa_user_sgpr_kernarg_segment_ptr 1
		.amdhsa_user_sgpr_dispatch_id 0
		.amdhsa_user_sgpr_private_segment_size 0
		.amdhsa_wavefront_size32 1
		.amdhsa_uses_dynamic_stack 0
		.amdhsa_enable_private_segment 0
		.amdhsa_system_sgpr_workgroup_id_x 1
		.amdhsa_system_sgpr_workgroup_id_y 0
		.amdhsa_system_sgpr_workgroup_id_z 0
		.amdhsa_system_sgpr_workgroup_info 0
		.amdhsa_system_vgpr_workitem_id 0
		.amdhsa_next_free_vgpr 1
		.amdhsa_next_free_sgpr 1
		.amdhsa_reserve_vcc 0
		.amdhsa_float_round_mode_32 0
		.amdhsa_float_round_mode_16_64 0
		.amdhsa_float_denorm_mode_32 3
		.amdhsa_float_denorm_mode_16_64 3
		.amdhsa_fp16_overflow 0
		.amdhsa_workgroup_processor_mode 1
		.amdhsa_memory_ordered 1
		.amdhsa_forward_progress 1
		.amdhsa_inst_pref_size 0
		.amdhsa_round_robin_scheduling 0
		.amdhsa_exception_fp_ieee_invalid_op 0
		.amdhsa_exception_fp_denorm_src 0
		.amdhsa_exception_fp_ieee_div_zero 0
		.amdhsa_exception_fp_ieee_overflow 0
		.amdhsa_exception_fp_ieee_underflow 0
		.amdhsa_exception_fp_ieee_inexact 0
		.amdhsa_exception_int_div_zero 0
	.end_amdhsa_kernel
	.section	.text._ZN7rocprim17ROCPRIM_400000_NS6detail17trampoline_kernelINS0_14default_configENS1_36segmented_radix_sort_config_selectorIdlEEZNS1_25segmented_radix_sort_implIS3_Lb0EPKdPdPKlPlN2at6native12_GLOBAL__N_18offset_tEEE10hipError_tPvRmT1_PNSt15iterator_traitsISK_E10value_typeET2_T3_PNSL_ISQ_E10value_typeET4_jRbjT5_SW_jjP12ihipStream_tbEUlT_E2_NS1_11comp_targetILNS1_3genE2ELNS1_11target_archE906ELNS1_3gpuE6ELNS1_3repE0EEENS1_30default_config_static_selectorELNS0_4arch9wavefront6targetE0EEEvSK_,"axG",@progbits,_ZN7rocprim17ROCPRIM_400000_NS6detail17trampoline_kernelINS0_14default_configENS1_36segmented_radix_sort_config_selectorIdlEEZNS1_25segmented_radix_sort_implIS3_Lb0EPKdPdPKlPlN2at6native12_GLOBAL__N_18offset_tEEE10hipError_tPvRmT1_PNSt15iterator_traitsISK_E10value_typeET2_T3_PNSL_ISQ_E10value_typeET4_jRbjT5_SW_jjP12ihipStream_tbEUlT_E2_NS1_11comp_targetILNS1_3genE2ELNS1_11target_archE906ELNS1_3gpuE6ELNS1_3repE0EEENS1_30default_config_static_selectorELNS0_4arch9wavefront6targetE0EEEvSK_,comdat
.Lfunc_end1255:
	.size	_ZN7rocprim17ROCPRIM_400000_NS6detail17trampoline_kernelINS0_14default_configENS1_36segmented_radix_sort_config_selectorIdlEEZNS1_25segmented_radix_sort_implIS3_Lb0EPKdPdPKlPlN2at6native12_GLOBAL__N_18offset_tEEE10hipError_tPvRmT1_PNSt15iterator_traitsISK_E10value_typeET2_T3_PNSL_ISQ_E10value_typeET4_jRbjT5_SW_jjP12ihipStream_tbEUlT_E2_NS1_11comp_targetILNS1_3genE2ELNS1_11target_archE906ELNS1_3gpuE6ELNS1_3repE0EEENS1_30default_config_static_selectorELNS0_4arch9wavefront6targetE0EEEvSK_, .Lfunc_end1255-_ZN7rocprim17ROCPRIM_400000_NS6detail17trampoline_kernelINS0_14default_configENS1_36segmented_radix_sort_config_selectorIdlEEZNS1_25segmented_radix_sort_implIS3_Lb0EPKdPdPKlPlN2at6native12_GLOBAL__N_18offset_tEEE10hipError_tPvRmT1_PNSt15iterator_traitsISK_E10value_typeET2_T3_PNSL_ISQ_E10value_typeET4_jRbjT5_SW_jjP12ihipStream_tbEUlT_E2_NS1_11comp_targetILNS1_3genE2ELNS1_11target_archE906ELNS1_3gpuE6ELNS1_3repE0EEENS1_30default_config_static_selectorELNS0_4arch9wavefront6targetE0EEEvSK_
                                        ; -- End function
	.set _ZN7rocprim17ROCPRIM_400000_NS6detail17trampoline_kernelINS0_14default_configENS1_36segmented_radix_sort_config_selectorIdlEEZNS1_25segmented_radix_sort_implIS3_Lb0EPKdPdPKlPlN2at6native12_GLOBAL__N_18offset_tEEE10hipError_tPvRmT1_PNSt15iterator_traitsISK_E10value_typeET2_T3_PNSL_ISQ_E10value_typeET4_jRbjT5_SW_jjP12ihipStream_tbEUlT_E2_NS1_11comp_targetILNS1_3genE2ELNS1_11target_archE906ELNS1_3gpuE6ELNS1_3repE0EEENS1_30default_config_static_selectorELNS0_4arch9wavefront6targetE0EEEvSK_.num_vgpr, 0
	.set _ZN7rocprim17ROCPRIM_400000_NS6detail17trampoline_kernelINS0_14default_configENS1_36segmented_radix_sort_config_selectorIdlEEZNS1_25segmented_radix_sort_implIS3_Lb0EPKdPdPKlPlN2at6native12_GLOBAL__N_18offset_tEEE10hipError_tPvRmT1_PNSt15iterator_traitsISK_E10value_typeET2_T3_PNSL_ISQ_E10value_typeET4_jRbjT5_SW_jjP12ihipStream_tbEUlT_E2_NS1_11comp_targetILNS1_3genE2ELNS1_11target_archE906ELNS1_3gpuE6ELNS1_3repE0EEENS1_30default_config_static_selectorELNS0_4arch9wavefront6targetE0EEEvSK_.num_agpr, 0
	.set _ZN7rocprim17ROCPRIM_400000_NS6detail17trampoline_kernelINS0_14default_configENS1_36segmented_radix_sort_config_selectorIdlEEZNS1_25segmented_radix_sort_implIS3_Lb0EPKdPdPKlPlN2at6native12_GLOBAL__N_18offset_tEEE10hipError_tPvRmT1_PNSt15iterator_traitsISK_E10value_typeET2_T3_PNSL_ISQ_E10value_typeET4_jRbjT5_SW_jjP12ihipStream_tbEUlT_E2_NS1_11comp_targetILNS1_3genE2ELNS1_11target_archE906ELNS1_3gpuE6ELNS1_3repE0EEENS1_30default_config_static_selectorELNS0_4arch9wavefront6targetE0EEEvSK_.numbered_sgpr, 0
	.set _ZN7rocprim17ROCPRIM_400000_NS6detail17trampoline_kernelINS0_14default_configENS1_36segmented_radix_sort_config_selectorIdlEEZNS1_25segmented_radix_sort_implIS3_Lb0EPKdPdPKlPlN2at6native12_GLOBAL__N_18offset_tEEE10hipError_tPvRmT1_PNSt15iterator_traitsISK_E10value_typeET2_T3_PNSL_ISQ_E10value_typeET4_jRbjT5_SW_jjP12ihipStream_tbEUlT_E2_NS1_11comp_targetILNS1_3genE2ELNS1_11target_archE906ELNS1_3gpuE6ELNS1_3repE0EEENS1_30default_config_static_selectorELNS0_4arch9wavefront6targetE0EEEvSK_.num_named_barrier, 0
	.set _ZN7rocprim17ROCPRIM_400000_NS6detail17trampoline_kernelINS0_14default_configENS1_36segmented_radix_sort_config_selectorIdlEEZNS1_25segmented_radix_sort_implIS3_Lb0EPKdPdPKlPlN2at6native12_GLOBAL__N_18offset_tEEE10hipError_tPvRmT1_PNSt15iterator_traitsISK_E10value_typeET2_T3_PNSL_ISQ_E10value_typeET4_jRbjT5_SW_jjP12ihipStream_tbEUlT_E2_NS1_11comp_targetILNS1_3genE2ELNS1_11target_archE906ELNS1_3gpuE6ELNS1_3repE0EEENS1_30default_config_static_selectorELNS0_4arch9wavefront6targetE0EEEvSK_.private_seg_size, 0
	.set _ZN7rocprim17ROCPRIM_400000_NS6detail17trampoline_kernelINS0_14default_configENS1_36segmented_radix_sort_config_selectorIdlEEZNS1_25segmented_radix_sort_implIS3_Lb0EPKdPdPKlPlN2at6native12_GLOBAL__N_18offset_tEEE10hipError_tPvRmT1_PNSt15iterator_traitsISK_E10value_typeET2_T3_PNSL_ISQ_E10value_typeET4_jRbjT5_SW_jjP12ihipStream_tbEUlT_E2_NS1_11comp_targetILNS1_3genE2ELNS1_11target_archE906ELNS1_3gpuE6ELNS1_3repE0EEENS1_30default_config_static_selectorELNS0_4arch9wavefront6targetE0EEEvSK_.uses_vcc, 0
	.set _ZN7rocprim17ROCPRIM_400000_NS6detail17trampoline_kernelINS0_14default_configENS1_36segmented_radix_sort_config_selectorIdlEEZNS1_25segmented_radix_sort_implIS3_Lb0EPKdPdPKlPlN2at6native12_GLOBAL__N_18offset_tEEE10hipError_tPvRmT1_PNSt15iterator_traitsISK_E10value_typeET2_T3_PNSL_ISQ_E10value_typeET4_jRbjT5_SW_jjP12ihipStream_tbEUlT_E2_NS1_11comp_targetILNS1_3genE2ELNS1_11target_archE906ELNS1_3gpuE6ELNS1_3repE0EEENS1_30default_config_static_selectorELNS0_4arch9wavefront6targetE0EEEvSK_.uses_flat_scratch, 0
	.set _ZN7rocprim17ROCPRIM_400000_NS6detail17trampoline_kernelINS0_14default_configENS1_36segmented_radix_sort_config_selectorIdlEEZNS1_25segmented_radix_sort_implIS3_Lb0EPKdPdPKlPlN2at6native12_GLOBAL__N_18offset_tEEE10hipError_tPvRmT1_PNSt15iterator_traitsISK_E10value_typeET2_T3_PNSL_ISQ_E10value_typeET4_jRbjT5_SW_jjP12ihipStream_tbEUlT_E2_NS1_11comp_targetILNS1_3genE2ELNS1_11target_archE906ELNS1_3gpuE6ELNS1_3repE0EEENS1_30default_config_static_selectorELNS0_4arch9wavefront6targetE0EEEvSK_.has_dyn_sized_stack, 0
	.set _ZN7rocprim17ROCPRIM_400000_NS6detail17trampoline_kernelINS0_14default_configENS1_36segmented_radix_sort_config_selectorIdlEEZNS1_25segmented_radix_sort_implIS3_Lb0EPKdPdPKlPlN2at6native12_GLOBAL__N_18offset_tEEE10hipError_tPvRmT1_PNSt15iterator_traitsISK_E10value_typeET2_T3_PNSL_ISQ_E10value_typeET4_jRbjT5_SW_jjP12ihipStream_tbEUlT_E2_NS1_11comp_targetILNS1_3genE2ELNS1_11target_archE906ELNS1_3gpuE6ELNS1_3repE0EEENS1_30default_config_static_selectorELNS0_4arch9wavefront6targetE0EEEvSK_.has_recursion, 0
	.set _ZN7rocprim17ROCPRIM_400000_NS6detail17trampoline_kernelINS0_14default_configENS1_36segmented_radix_sort_config_selectorIdlEEZNS1_25segmented_radix_sort_implIS3_Lb0EPKdPdPKlPlN2at6native12_GLOBAL__N_18offset_tEEE10hipError_tPvRmT1_PNSt15iterator_traitsISK_E10value_typeET2_T3_PNSL_ISQ_E10value_typeET4_jRbjT5_SW_jjP12ihipStream_tbEUlT_E2_NS1_11comp_targetILNS1_3genE2ELNS1_11target_archE906ELNS1_3gpuE6ELNS1_3repE0EEENS1_30default_config_static_selectorELNS0_4arch9wavefront6targetE0EEEvSK_.has_indirect_call, 0
	.section	.AMDGPU.csdata,"",@progbits
; Kernel info:
; codeLenInByte = 0
; TotalNumSgprs: 0
; NumVgprs: 0
; ScratchSize: 0
; MemoryBound: 0
; FloatMode: 240
; IeeeMode: 1
; LDSByteSize: 0 bytes/workgroup (compile time only)
; SGPRBlocks: 0
; VGPRBlocks: 0
; NumSGPRsForWavesPerEU: 1
; NumVGPRsForWavesPerEU: 1
; Occupancy: 16
; WaveLimiterHint : 0
; COMPUTE_PGM_RSRC2:SCRATCH_EN: 0
; COMPUTE_PGM_RSRC2:USER_SGPR: 2
; COMPUTE_PGM_RSRC2:TRAP_HANDLER: 0
; COMPUTE_PGM_RSRC2:TGID_X_EN: 1
; COMPUTE_PGM_RSRC2:TGID_Y_EN: 0
; COMPUTE_PGM_RSRC2:TGID_Z_EN: 0
; COMPUTE_PGM_RSRC2:TIDIG_COMP_CNT: 0
	.section	.text._ZN7rocprim17ROCPRIM_400000_NS6detail17trampoline_kernelINS0_14default_configENS1_36segmented_radix_sort_config_selectorIdlEEZNS1_25segmented_radix_sort_implIS3_Lb0EPKdPdPKlPlN2at6native12_GLOBAL__N_18offset_tEEE10hipError_tPvRmT1_PNSt15iterator_traitsISK_E10value_typeET2_T3_PNSL_ISQ_E10value_typeET4_jRbjT5_SW_jjP12ihipStream_tbEUlT_E2_NS1_11comp_targetILNS1_3genE10ELNS1_11target_archE1201ELNS1_3gpuE5ELNS1_3repE0EEENS1_30default_config_static_selectorELNS0_4arch9wavefront6targetE0EEEvSK_,"axG",@progbits,_ZN7rocprim17ROCPRIM_400000_NS6detail17trampoline_kernelINS0_14default_configENS1_36segmented_radix_sort_config_selectorIdlEEZNS1_25segmented_radix_sort_implIS3_Lb0EPKdPdPKlPlN2at6native12_GLOBAL__N_18offset_tEEE10hipError_tPvRmT1_PNSt15iterator_traitsISK_E10value_typeET2_T3_PNSL_ISQ_E10value_typeET4_jRbjT5_SW_jjP12ihipStream_tbEUlT_E2_NS1_11comp_targetILNS1_3genE10ELNS1_11target_archE1201ELNS1_3gpuE5ELNS1_3repE0EEENS1_30default_config_static_selectorELNS0_4arch9wavefront6targetE0EEEvSK_,comdat
	.globl	_ZN7rocprim17ROCPRIM_400000_NS6detail17trampoline_kernelINS0_14default_configENS1_36segmented_radix_sort_config_selectorIdlEEZNS1_25segmented_radix_sort_implIS3_Lb0EPKdPdPKlPlN2at6native12_GLOBAL__N_18offset_tEEE10hipError_tPvRmT1_PNSt15iterator_traitsISK_E10value_typeET2_T3_PNSL_ISQ_E10value_typeET4_jRbjT5_SW_jjP12ihipStream_tbEUlT_E2_NS1_11comp_targetILNS1_3genE10ELNS1_11target_archE1201ELNS1_3gpuE5ELNS1_3repE0EEENS1_30default_config_static_selectorELNS0_4arch9wavefront6targetE0EEEvSK_ ; -- Begin function _ZN7rocprim17ROCPRIM_400000_NS6detail17trampoline_kernelINS0_14default_configENS1_36segmented_radix_sort_config_selectorIdlEEZNS1_25segmented_radix_sort_implIS3_Lb0EPKdPdPKlPlN2at6native12_GLOBAL__N_18offset_tEEE10hipError_tPvRmT1_PNSt15iterator_traitsISK_E10value_typeET2_T3_PNSL_ISQ_E10value_typeET4_jRbjT5_SW_jjP12ihipStream_tbEUlT_E2_NS1_11comp_targetILNS1_3genE10ELNS1_11target_archE1201ELNS1_3gpuE5ELNS1_3repE0EEENS1_30default_config_static_selectorELNS0_4arch9wavefront6targetE0EEEvSK_
	.p2align	8
	.type	_ZN7rocprim17ROCPRIM_400000_NS6detail17trampoline_kernelINS0_14default_configENS1_36segmented_radix_sort_config_selectorIdlEEZNS1_25segmented_radix_sort_implIS3_Lb0EPKdPdPKlPlN2at6native12_GLOBAL__N_18offset_tEEE10hipError_tPvRmT1_PNSt15iterator_traitsISK_E10value_typeET2_T3_PNSL_ISQ_E10value_typeET4_jRbjT5_SW_jjP12ihipStream_tbEUlT_E2_NS1_11comp_targetILNS1_3genE10ELNS1_11target_archE1201ELNS1_3gpuE5ELNS1_3repE0EEENS1_30default_config_static_selectorELNS0_4arch9wavefront6targetE0EEEvSK_,@function
_ZN7rocprim17ROCPRIM_400000_NS6detail17trampoline_kernelINS0_14default_configENS1_36segmented_radix_sort_config_selectorIdlEEZNS1_25segmented_radix_sort_implIS3_Lb0EPKdPdPKlPlN2at6native12_GLOBAL__N_18offset_tEEE10hipError_tPvRmT1_PNSt15iterator_traitsISK_E10value_typeET2_T3_PNSL_ISQ_E10value_typeET4_jRbjT5_SW_jjP12ihipStream_tbEUlT_E2_NS1_11comp_targetILNS1_3genE10ELNS1_11target_archE1201ELNS1_3gpuE5ELNS1_3repE0EEENS1_30default_config_static_selectorELNS0_4arch9wavefront6targetE0EEEvSK_: ; @_ZN7rocprim17ROCPRIM_400000_NS6detail17trampoline_kernelINS0_14default_configENS1_36segmented_radix_sort_config_selectorIdlEEZNS1_25segmented_radix_sort_implIS3_Lb0EPKdPdPKlPlN2at6native12_GLOBAL__N_18offset_tEEE10hipError_tPvRmT1_PNSt15iterator_traitsISK_E10value_typeET2_T3_PNSL_ISQ_E10value_typeET4_jRbjT5_SW_jjP12ihipStream_tbEUlT_E2_NS1_11comp_targetILNS1_3genE10ELNS1_11target_archE1201ELNS1_3gpuE5ELNS1_3repE0EEENS1_30default_config_static_selectorELNS0_4arch9wavefront6targetE0EEEvSK_
; %bb.0:
	s_load_b128 s[4:7], s[0:1], 0x34
	s_mov_b32 s32, 0
	s_wait_kmcnt 0x0
	s_add_co_i32 s33, s5, ttmp9
	s_add_co_i32 s51, s7, ttmp9
	s_mul_i32 s33, s33, s4
	s_mul_i32 s51, s51, s6
	s_delay_alu instid0(SALU_CYCLE_1)
	s_cmp_le_u32 s51, s33
	s_cbranch_scc1 .LBB1256_1187
; %bb.1:
	s_clause 0x3
	s_load_b32 s2, s[0:1], 0x30
	s_load_b128 s[44:47], s[0:1], 0x20
	s_load_b96 s[48:50], s[0:1], 0x44
	s_load_b256 s[36:43], s[0:1], 0x0
	s_wait_kmcnt 0x0
	s_bitcmp1_b32 s2, 0
	s_mov_b32 s2, -1
	s_cselect_b32 s54, -1, 0
	s_sub_co_i32 s55, s51, s33
	s_delay_alu instid0(SALU_CYCLE_1)
	s_cmp_lt_u32 s55, 0x1001
	s_cbranch_scc0 .LBB1256_12
; %bb.2:
	s_cmp_lt_u32 s55, 33
	s_cbranch_scc0 .LBB1256_6
; %bb.3:
	s_load_b32 s2, s[0:1], 0x5c
	v_bfe_u32 v1, v0, 10, 10
	v_bfe_u32 v2, v0, 20, 10
	s_mov_b32 s18, exec_lo
	s_wait_kmcnt 0x0
	s_lshr_b32 s3, s2, 16
	s_and_b32 s2, s2, 0xffff
	v_mad_u32_u24 v2, v2, s3, v1
	v_and_b32_e32 v1, 0x3ff, v0
	s_delay_alu instid0(VALU_DEP_1) | instskip(NEXT) | instid1(VALU_DEP_1)
	v_mad_co_u64_u32 v[1:2], null, v2, s2, v[1:2]
	v_cmpx_gt_u32_e32 8, v1
	s_cbranch_execz .LBB1256_5
; %bb.4:
	s_bitcmp1_b32 s48, 0
	s_mov_b64 s[2:3], src_shared_base
	s_cselect_b32 s2, -1, 0
	v_dual_mov_b32 v31, v0 :: v_dual_mov_b32 v40, v0
	s_wait_alu 0xfffe
	s_xor_b32 s2, s54, s2
	v_dual_mov_b32 v0, s36 :: v_dual_mov_b32 v1, s37
	s_wait_alu 0xfffe
	s_xor_b32 s2, s2, -1
	v_dual_mov_b32 v2, s38 :: v_dual_mov_b32 v3, s39
	s_wait_alu 0xfffe
	v_cndmask_b32_e64 v12, 0, 1, s2
	v_dual_mov_b32 v4, s40 :: v_dual_mov_b32 v5, s41
	v_dual_mov_b32 v6, s42 :: v_dual_mov_b32 v7, s43
	;; [unrolled: 1-line block ×6, first 2 shown]
	s_add_nc_u64 s[8:9], s[0:1], 0x50
	s_getpc_b64 s[4:5]
	s_sext_i32_i16 s5, s5
	s_add_co_u32 s4, s4, _ZN7rocprim17ROCPRIM_400000_NS6detail26segmented_warp_sort_helperINS1_20WarpSortHelperConfigILj8ELj4ELj256EEEdlLi256ELb0EvE4sortIPKdPdPKlPlEEvT_S9_T0_T1_SC_T2_bjjjjRNS5_12storage_typeE@rel32@lo+8
	s_add_co_ci_u32 s5, s5, _ZN7rocprim17ROCPRIM_400000_NS6detail26segmented_warp_sort_helperINS1_20WarpSortHelperConfigILj8ELj4ELj256EEEdlLi256ELb0EvE4sortIPKdPdPKlPlEEvT_S9_T0_T1_SC_T2_bjjjjRNS5_12storage_typeE@rel32@hi+16
	s_mov_b64 s[16:17], s[0:1]
	s_swappc_b64 s[30:31], s[4:5]
	v_mov_b32_e32 v0, v40
	s_mov_b64 s[0:1], s[16:17]
.LBB1256_5:
	s_or_b32 exec_lo, exec_lo, s18
	s_mov_b32 s2, 0
.LBB1256_6:
	s_wait_alu 0xfffe
	s_and_not1_b32 vcc_lo, exec_lo, s2
	s_wait_alu 0xfffe
	s_cbranch_vccnz .LBB1256_11
; %bb.7:
	v_cndmask_b32_e64 v1, 0, 1, s54
	s_and_b32 s2, s48, 1
	s_wait_alu 0xfffe
	s_delay_alu instid0(VALU_DEP_1)
	v_cmp_ne_u32_e32 vcc_lo, s2, v1
	s_mov_b32 s2, -1
	s_cbranch_vccnz .LBB1256_9
; %bb.8:
	s_mov_b64 s[2:3], src_shared_base
	v_dual_mov_b32 v31, v0 :: v_dual_mov_b32 v40, v0
	v_dual_mov_b32 v0, s36 :: v_dual_mov_b32 v1, s37
	;; [unrolled: 1-line block ×7, first 2 shown]
	s_wait_alu 0xfffe
	v_dual_mov_b32 v12, 0 :: v_dual_mov_b32 v13, s3
	s_add_nc_u64 s[8:9], s[0:1], 0x50
	s_getpc_b64 s[4:5]
	s_wait_alu 0xfffe
	s_sext_i32_i16 s5, s5
	s_add_co_u32 s4, s4, _ZN7rocprim17ROCPRIM_400000_NS6detail40segmented_radix_sort_single_block_helperIdlLj256ELj16ELb0EE4sortIPKdPdPKlPlEEbT_T0_T1_T2_jjjjRNS3_12storage_typeE@rel32@lo+12
	s_wait_alu 0xfffe
	s_add_co_ci_u32 s5, s5, _ZN7rocprim17ROCPRIM_400000_NS6detail40segmented_radix_sort_single_block_helperIdlLj256ELj16ELb0EE4sortIPKdPdPKlPlEEbT_T0_T1_T2_jjjjRNS3_12storage_typeE@rel32@hi+24
	s_mov_b64 s[24:25], s[0:1]
	s_wait_alu 0xfffe
	s_swappc_b64 s[30:31], s[4:5]
	v_mov_b32_e32 v0, v40
	s_mov_b64 s[0:1], s[24:25]
	s_mov_b32 s2, 0
.LBB1256_9:
	s_wait_alu 0xfffe
	s_and_not1_b32 vcc_lo, exec_lo, s2
	s_wait_alu 0xfffe
	s_cbranch_vccnz .LBB1256_11
; %bb.10:
	s_mov_b64 s[2:3], src_shared_base
	v_dual_mov_b32 v31, v0 :: v_dual_mov_b32 v40, v0
	v_dual_mov_b32 v0, s36 :: v_dual_mov_b32 v1, s37
	;; [unrolled: 1-line block ×7, first 2 shown]
	s_wait_alu 0xfffe
	v_dual_mov_b32 v12, 0 :: v_dual_mov_b32 v13, s3
	s_add_nc_u64 s[8:9], s[0:1], 0x50
	s_getpc_b64 s[4:5]
	s_wait_alu 0xfffe
	s_sext_i32_i16 s5, s5
	s_add_co_u32 s4, s4, _ZN7rocprim17ROCPRIM_400000_NS6detail40segmented_radix_sort_single_block_helperIdlLj256ELj16ELb0EE4sortIPKdPdPKlPlEEbT_T0_T1_T2_jjjjRNS3_12storage_typeE@rel32@lo+12
	s_wait_alu 0xfffe
	s_add_co_ci_u32 s5, s5, _ZN7rocprim17ROCPRIM_400000_NS6detail40segmented_radix_sort_single_block_helperIdlLj256ELj16ELb0EE4sortIPKdPdPKlPlEEbT_T0_T1_T2_jjjjRNS3_12storage_typeE@rel32@hi+24
	s_mov_b64 s[24:25], s[0:1]
	s_wait_alu 0xfffe
	s_swappc_b64 s[30:31], s[4:5]
	v_mov_b32_e32 v0, v40
	s_mov_b64 s[0:1], s[24:25]
.LBB1256_11:
	s_mov_b32 s2, 0
.LBB1256_12:
	s_wait_alu 0xfffe
	s_and_not1_b32 vcc_lo, exec_lo, s2
	s_wait_alu 0xfffe
	s_cbranch_vccnz .LBB1256_1187
; %bb.13:
	s_cmp_ge_u32 s49, s50
	s_cbranch_scc1 .LBB1256_1187
; %bb.14:
	v_and_b32_e32 v1, 0x3ff, v0
	v_lshrrev_b32_e32 v5, 3, v0
	v_dual_mov_b32 v3, 0 :: v_dual_and_b32 v2, 3, v0
	v_bfe_u32 v104, v0, 20, 10
	s_delay_alu instid0(VALU_DEP_4) | instskip(NEXT) | instid1(VALU_DEP_4)
	v_lshlrev_b32_e32 v4, 3, v1
	v_and_b32_e32 v97, 28, v5
	v_lshlrev_b32_e32 v5, 4, v1
	v_lshlrev_b32_e32 v96, 2, v2
	s_add_nc_u64 s[52:53], s[0:1], 0x50
	v_add_co_u32 v82, s2, s40, v4
	s_delay_alu instid0(VALU_DEP_3)
	v_and_b32_e32 v102, 0xe00, v5
	s_wait_alu 0xf1ff
	v_add_co_ci_u32_e64 v83, null, s41, 0, s2
	v_or_b32_e32 v99, 0x8400, v97
	v_add_nc_u32_e32 v101, 0x83fc, v97
	v_lshlrev_b32_e32 v5, 3, v102
	v_bfe_u32 v0, v0, 10, 10
	v_mbcnt_lo_u32_b32 v125, -1, 0
	s_mov_b32 s35, 0
	s_mov_b32 s31, s49
	v_add_co_u32 v106, s6, s46, v5
	s_wait_alu 0xf1ff
	v_add_co_ci_u32_e64 v107, null, s47, 0, s6
	v_add_co_u32 v108, s6, s40, v5
	s_wait_alu 0xf1ff
	v_add_co_ci_u32_e64 v109, null, s41, 0, s6
	;; [unrolled: 3-line block ×5, first 2 shown]
	v_add_co_u32 v117, s6, s36, v4
	v_mov_b32_e32 v4, -1
	v_dual_mov_b32 v123, 1 :: v_dual_lshlrev_b32 v78, 2, v1
	v_or_b32_e32 v2, 31, v1
	s_wait_alu 0xf1ff
	v_add_co_ci_u32_e64 v118, null, s37, 0, s6
	s_delay_alu instid0(VALU_DEP_3) | instskip(SKIP_3) | instid1(VALU_DEP_4)
	v_mad_u32_u24 v98, v1, 12, v78
	v_add_co_u32 v119, s6, s42, v5
	v_cmp_eq_u32_e64 s3, v1, v2
	v_lshlrev_b32_e32 v2, 5, v1
	v_mad_u32_u24 v103, v1, 20, v98
	s_wait_alu 0xf1ff
	v_add_co_ci_u32_e64 v120, null, s43, 0, s6
	v_add_co_u32 v121, s6, s36, v5
	s_delay_alu instid0(VALU_DEP_3)
	v_sub_nc_u32_e32 v105, v103, v2
	v_or_b32_e32 v79, 0x100, v1
	v_or_b32_e32 v80, 0x200, v1
	;; [unrolled: 1-line block ×15, first 2 shown]
	v_cmp_gt_u32_e64 s2, 0x100, v1
	v_cmp_gt_u32_e64 s4, 8, v1
	v_add_nc_u32_e32 v100, 0x8400, v78
	v_cmp_lt_u32_e64 s5, 31, v1
	v_cmp_eq_u32_e64 s0, 0, v1
	v_cmp_ne_u32_e64 s1, 0xff, v1
	v_add_nc_u32_e32 v110, v105, v78
	s_wait_alu 0xf1ff
	v_add_co_ci_u32_e64 v122, null, s37, 0, s6
	v_lshlrev_b32_e32 v124, 3, v1
	v_bfrev_b32_e32 v5, -2
	s_mov_b32 s42, -1
	s_brev_b32 s43, -2
	s_mov_b32 s48, s49
	s_branch .LBB1256_17
.LBB1256_15:                            ;   in Loop: Header=BB1256_17 Depth=1
	s_wait_loadcnt_dscnt 0x0
	s_barrier_signal -1
	s_barrier_wait -1
.LBB1256_16:                            ;   in Loop: Header=BB1256_17 Depth=1
	s_add_co_i32 s48, s48, 8
	global_inv scope:SCOPE_SE
	s_wait_alu 0xfffe
	s_cmp_ge_u32 s48, s50
	s_cbranch_scc1 .LBB1256_1187
.LBB1256_17:                            ; =>This Loop Header: Depth=1
                                        ;     Child Loop BB1256_21 Depth 2
                                        ;     Child Loop BB1256_101 Depth 2
	;; [unrolled: 1-line block ×8, first 2 shown]
	s_wait_alu 0xfffe
	s_sub_co_i32 s6, s50, s48
	s_xor_b32 s54, s54, -1
	s_wait_alu 0xfffe
	s_min_u32 s56, s6, 8
	s_cmp_lg_u32 s48, s49
	s_mov_b32 s6, s42
	ds_store_2addr_stride64_b32 v78, v3, v3 offset1:4
	ds_store_2addr_stride64_b32 v78, v3, v3 offset0:8 offset1:12
	s_wait_storecnt_dscnt 0x0
	s_cbranch_scc0 .LBB1256_603
; %bb.18:                               ;   in Loop: Header=BB1256_17 Depth=1
	s_wait_alu 0xfffe
	s_lshl_b32 s6, -1, s56
	s_and_b32 vcc_lo, exec_lo, s54
	s_wait_alu 0xfffe
	s_not_b32 s57, s6
	s_mov_b32 s6, -1
	s_cbranch_vccz .LBB1256_310
; %bb.19:                               ;   in Loop: Header=BB1256_17 Depth=1
	s_mov_b32 s8, s55
	s_mov_b32 s34, s33
	s_barrier_signal -1
	s_barrier_wait -1
	global_inv scope:SCOPE_SE
                                        ; implicit-def: $vgpr6_vgpr7
                                        ; implicit-def: $vgpr8_vgpr9
                                        ; implicit-def: $vgpr10_vgpr11
                                        ; implicit-def: $vgpr12_vgpr13
                                        ; implicit-def: $vgpr14_vgpr15
                                        ; implicit-def: $vgpr16_vgpr17
                                        ; implicit-def: $vgpr18_vgpr19
                                        ; implicit-def: $vgpr20_vgpr21
                                        ; implicit-def: $vgpr22_vgpr23
                                        ; implicit-def: $vgpr24_vgpr25
                                        ; implicit-def: $vgpr26_vgpr27
                                        ; implicit-def: $vgpr28_vgpr29
                                        ; implicit-def: $vgpr30_vgpr31
                                        ; implicit-def: $vgpr32_vgpr33
                                        ; implicit-def: $vgpr34_vgpr35
                                        ; implicit-def: $vgpr36_vgpr37
	s_branch .LBB1256_21
.LBB1256_20:                            ;   in Loop: Header=BB1256_21 Depth=2
	s_wait_alu 0xfffe
	s_or_b32 exec_lo, exec_lo, s6
	s_addk_co_i32 s8, 0xf000
	s_cmp_ge_u32 s9, s51
	s_mov_b32 s34, s9
	s_cbranch_scc1 .LBB1256_89
.LBB1256_21:                            ;   Parent Loop BB1256_17 Depth=1
                                        ; =>  This Inner Loop Header: Depth=2
	s_wait_alu 0xfffe
	s_add_co_i32 s9, s34, 0x1000
	s_mov_b32 s6, -1
	s_wait_alu 0xfffe
	s_cmp_gt_u32 s9, s51
                                        ; implicit-def: $vgpr38_vgpr39
                                        ; implicit-def: $vgpr40_vgpr41
                                        ; implicit-def: $vgpr42_vgpr43
                                        ; implicit-def: $vgpr44_vgpr45
                                        ; implicit-def: $vgpr46_vgpr47
                                        ; implicit-def: $vgpr48_vgpr49
                                        ; implicit-def: $vgpr50_vgpr51
                                        ; implicit-def: $vgpr52_vgpr53
                                        ; implicit-def: $vgpr54_vgpr55
                                        ; implicit-def: $vgpr56_vgpr57
                                        ; implicit-def: $vgpr58_vgpr59
                                        ; implicit-def: $vgpr60_vgpr61
                                        ; implicit-def: $vgpr62_vgpr63
                                        ; implicit-def: $vgpr64_vgpr65
                                        ; implicit-def: $vgpr66_vgpr67
                                        ; implicit-def: $vgpr68_vgpr69
	s_cbranch_scc1 .LBB1256_23
; %bb.22:                               ;   in Loop: Header=BB1256_21 Depth=2
	s_lshl_b64 s[6:7], s[34:35], 3
	s_wait_alu 0xfffe
	v_add_co_u32 v68, vcc_lo, v82, s6
	s_wait_alu 0xfffd
	v_add_co_ci_u32_e64 v69, null, s7, v83, vcc_lo
	s_mov_b32 s6, 0
	s_clause 0xf
	global_load_b64 v[38:39], v[68:69], off
	global_load_b64 v[40:41], v[68:69], off offset:2048
	global_load_b64 v[42:43], v[68:69], off offset:4096
	;; [unrolled: 1-line block ×15, first 2 shown]
.LBB1256_23:                            ;   in Loop: Header=BB1256_21 Depth=2
	s_wait_alu 0xfffe
	s_and_not1_b32 vcc_lo, exec_lo, s6
	s_movk_i32 s6, 0x1000
	s_wait_alu 0xfffe
	s_cbranch_vccnz .LBB1256_42
; %bb.24:                               ;   in Loop: Header=BB1256_21 Depth=2
	s_lshl_b64 s[6:7], s[34:35], 3
	s_mov_b32 s10, exec_lo
	s_wait_alu 0xfffe
	s_add_nc_u64 s[6:7], s[40:41], s[6:7]
	v_cmpx_gt_u32_e64 s8, v1
	s_cbranch_execnz .LBB1256_74
; %bb.25:                               ;   in Loop: Header=BB1256_21 Depth=2
	s_or_b32 exec_lo, exec_lo, s10
	s_delay_alu instid0(SALU_CYCLE_1)
	s_mov_b32 s10, exec_lo
	v_cmpx_gt_u32_e64 s8, v79
	s_cbranch_execnz .LBB1256_75
.LBB1256_26:                            ;   in Loop: Header=BB1256_21 Depth=2
	s_wait_alu 0xfffe
	s_or_b32 exec_lo, exec_lo, s10
	s_delay_alu instid0(SALU_CYCLE_1)
	s_mov_b32 s10, exec_lo
	v_cmpx_gt_u32_e64 s8, v80
	s_cbranch_execnz .LBB1256_76
.LBB1256_27:                            ;   in Loop: Header=BB1256_21 Depth=2
	s_wait_alu 0xfffe
	s_or_b32 exec_lo, exec_lo, s10
	s_delay_alu instid0(SALU_CYCLE_1)
	s_mov_b32 s10, exec_lo
	v_cmpx_gt_u32_e64 s8, v81
	s_cbranch_execnz .LBB1256_77
.LBB1256_28:                            ;   in Loop: Header=BB1256_21 Depth=2
	s_wait_alu 0xfffe
	s_or_b32 exec_lo, exec_lo, s10
	s_delay_alu instid0(SALU_CYCLE_1)
	s_mov_b32 s10, exec_lo
	v_cmpx_gt_u32_e64 s8, v84
	s_cbranch_execnz .LBB1256_78
.LBB1256_29:                            ;   in Loop: Header=BB1256_21 Depth=2
	s_wait_alu 0xfffe
	s_or_b32 exec_lo, exec_lo, s10
	s_delay_alu instid0(SALU_CYCLE_1)
	s_mov_b32 s10, exec_lo
	v_cmpx_gt_u32_e64 s8, v85
	s_cbranch_execnz .LBB1256_79
.LBB1256_30:                            ;   in Loop: Header=BB1256_21 Depth=2
	s_wait_alu 0xfffe
	s_or_b32 exec_lo, exec_lo, s10
	s_delay_alu instid0(SALU_CYCLE_1)
	s_mov_b32 s10, exec_lo
	v_cmpx_gt_u32_e64 s8, v86
	s_cbranch_execnz .LBB1256_80
.LBB1256_31:                            ;   in Loop: Header=BB1256_21 Depth=2
	s_wait_alu 0xfffe
	s_or_b32 exec_lo, exec_lo, s10
	s_delay_alu instid0(SALU_CYCLE_1)
	s_mov_b32 s10, exec_lo
	v_cmpx_gt_u32_e64 s8, v87
	s_cbranch_execnz .LBB1256_81
.LBB1256_32:                            ;   in Loop: Header=BB1256_21 Depth=2
	s_wait_alu 0xfffe
	s_or_b32 exec_lo, exec_lo, s10
	s_delay_alu instid0(SALU_CYCLE_1)
	s_mov_b32 s10, exec_lo
	v_cmpx_gt_u32_e64 s8, v88
	s_cbranch_execnz .LBB1256_82
.LBB1256_33:                            ;   in Loop: Header=BB1256_21 Depth=2
	s_wait_alu 0xfffe
	s_or_b32 exec_lo, exec_lo, s10
	s_delay_alu instid0(SALU_CYCLE_1)
	s_mov_b32 s10, exec_lo
	v_cmpx_gt_u32_e64 s8, v89
	s_cbranch_execnz .LBB1256_83
.LBB1256_34:                            ;   in Loop: Header=BB1256_21 Depth=2
	s_wait_alu 0xfffe
	s_or_b32 exec_lo, exec_lo, s10
	s_delay_alu instid0(SALU_CYCLE_1)
	s_mov_b32 s10, exec_lo
	v_cmpx_gt_u32_e64 s8, v90
	s_cbranch_execnz .LBB1256_84
.LBB1256_35:                            ;   in Loop: Header=BB1256_21 Depth=2
	s_wait_alu 0xfffe
	s_or_b32 exec_lo, exec_lo, s10
	s_delay_alu instid0(SALU_CYCLE_1)
	s_mov_b32 s10, exec_lo
	v_cmpx_gt_u32_e64 s8, v91
	s_cbranch_execnz .LBB1256_85
.LBB1256_36:                            ;   in Loop: Header=BB1256_21 Depth=2
	s_wait_alu 0xfffe
	s_or_b32 exec_lo, exec_lo, s10
	s_delay_alu instid0(SALU_CYCLE_1)
	s_mov_b32 s10, exec_lo
	v_cmpx_gt_u32_e64 s8, v92
	s_cbranch_execnz .LBB1256_86
.LBB1256_37:                            ;   in Loop: Header=BB1256_21 Depth=2
	s_wait_alu 0xfffe
	s_or_b32 exec_lo, exec_lo, s10
	s_delay_alu instid0(SALU_CYCLE_1)
	s_mov_b32 s10, exec_lo
	v_cmpx_gt_u32_e64 s8, v93
	s_cbranch_execnz .LBB1256_87
.LBB1256_38:                            ;   in Loop: Header=BB1256_21 Depth=2
	s_wait_alu 0xfffe
	s_or_b32 exec_lo, exec_lo, s10
	s_delay_alu instid0(SALU_CYCLE_1)
	s_mov_b32 s10, exec_lo
	v_cmpx_gt_u32_e64 s8, v94
	s_cbranch_execnz .LBB1256_88
.LBB1256_39:                            ;   in Loop: Header=BB1256_21 Depth=2
	s_wait_alu 0xfffe
	s_or_b32 exec_lo, exec_lo, s10
	s_delay_alu instid0(SALU_CYCLE_1)
	s_mov_b32 s10, exec_lo
	v_cmpx_gt_u32_e64 s8, v95
	s_cbranch_execz .LBB1256_41
.LBB1256_40:                            ;   in Loop: Header=BB1256_21 Depth=2
	global_load_b64 v[6:7], v124, s[6:7] offset:30720
.LBB1256_41:                            ;   in Loop: Header=BB1256_21 Depth=2
	s_wait_alu 0xfffe
	s_or_b32 exec_lo, exec_lo, s10
	s_wait_loadcnt 0x0
	v_dual_mov_b32 v39, v37 :: v_dual_mov_b32 v38, v36
	v_dual_mov_b32 v41, v35 :: v_dual_mov_b32 v40, v34
	;; [unrolled: 1-line block ×16, first 2 shown]
	s_mov_b32 s6, s8
.LBB1256_42:                            ;   in Loop: Header=BB1256_21 Depth=2
	s_wait_loadcnt 0x0
	s_delay_alu instid0(VALU_DEP_1)
	v_dual_mov_b32 v6, v68 :: v_dual_mov_b32 v7, v69
	v_dual_mov_b32 v8, v66 :: v_dual_mov_b32 v9, v67
	;; [unrolled: 1-line block ×16, first 2 shown]
	s_mov_b32 s7, exec_lo
	s_wait_alu 0xfffe
	v_cmpx_gt_u32_e64 s6, v1
	s_cbranch_execnz .LBB1256_58
; %bb.43:                               ;   in Loop: Header=BB1256_21 Depth=2
	s_or_b32 exec_lo, exec_lo, s7
	s_delay_alu instid0(SALU_CYCLE_1)
	s_mov_b32 s7, exec_lo
	v_cmpx_gt_u32_e64 s6, v79
	s_cbranch_execnz .LBB1256_59
.LBB1256_44:                            ;   in Loop: Header=BB1256_21 Depth=2
	s_wait_alu 0xfffe
	s_or_b32 exec_lo, exec_lo, s7
	s_delay_alu instid0(SALU_CYCLE_1)
	s_mov_b32 s7, exec_lo
	v_cmpx_gt_u32_e64 s6, v80
	s_cbranch_execnz .LBB1256_60
.LBB1256_45:                            ;   in Loop: Header=BB1256_21 Depth=2
	s_wait_alu 0xfffe
	s_or_b32 exec_lo, exec_lo, s7
	s_delay_alu instid0(SALU_CYCLE_1)
	s_mov_b32 s7, exec_lo
	v_cmpx_gt_u32_e64 s6, v81
	s_cbranch_execnz .LBB1256_61
.LBB1256_46:                            ;   in Loop: Header=BB1256_21 Depth=2
	s_wait_alu 0xfffe
	s_or_b32 exec_lo, exec_lo, s7
	s_delay_alu instid0(SALU_CYCLE_1)
	s_mov_b32 s7, exec_lo
	v_cmpx_gt_u32_e64 s6, v84
	s_cbranch_execnz .LBB1256_62
.LBB1256_47:                            ;   in Loop: Header=BB1256_21 Depth=2
	s_wait_alu 0xfffe
	s_or_b32 exec_lo, exec_lo, s7
	s_delay_alu instid0(SALU_CYCLE_1)
	s_mov_b32 s7, exec_lo
	v_cmpx_gt_u32_e64 s6, v85
	s_cbranch_execnz .LBB1256_63
.LBB1256_48:                            ;   in Loop: Header=BB1256_21 Depth=2
	s_wait_alu 0xfffe
	s_or_b32 exec_lo, exec_lo, s7
	s_delay_alu instid0(SALU_CYCLE_1)
	s_mov_b32 s7, exec_lo
	v_cmpx_gt_u32_e64 s6, v86
	s_cbranch_execnz .LBB1256_64
.LBB1256_49:                            ;   in Loop: Header=BB1256_21 Depth=2
	s_wait_alu 0xfffe
	s_or_b32 exec_lo, exec_lo, s7
	s_delay_alu instid0(SALU_CYCLE_1)
	s_mov_b32 s7, exec_lo
	v_cmpx_gt_u32_e64 s6, v87
	s_cbranch_execnz .LBB1256_65
.LBB1256_50:                            ;   in Loop: Header=BB1256_21 Depth=2
	s_wait_alu 0xfffe
	s_or_b32 exec_lo, exec_lo, s7
	s_delay_alu instid0(SALU_CYCLE_1)
	s_mov_b32 s7, exec_lo
	v_cmpx_gt_u32_e64 s6, v88
	s_cbranch_execnz .LBB1256_66
.LBB1256_51:                            ;   in Loop: Header=BB1256_21 Depth=2
	s_wait_alu 0xfffe
	s_or_b32 exec_lo, exec_lo, s7
	s_delay_alu instid0(SALU_CYCLE_1)
	s_mov_b32 s7, exec_lo
	v_cmpx_gt_u32_e64 s6, v89
	s_cbranch_execnz .LBB1256_67
.LBB1256_52:                            ;   in Loop: Header=BB1256_21 Depth=2
	s_wait_alu 0xfffe
	s_or_b32 exec_lo, exec_lo, s7
	s_delay_alu instid0(SALU_CYCLE_1)
	s_mov_b32 s7, exec_lo
	v_cmpx_gt_u32_e64 s6, v90
	s_cbranch_execnz .LBB1256_68
.LBB1256_53:                            ;   in Loop: Header=BB1256_21 Depth=2
	s_wait_alu 0xfffe
	s_or_b32 exec_lo, exec_lo, s7
	s_delay_alu instid0(SALU_CYCLE_1)
	s_mov_b32 s7, exec_lo
	v_cmpx_gt_u32_e64 s6, v91
	s_cbranch_execnz .LBB1256_69
.LBB1256_54:                            ;   in Loop: Header=BB1256_21 Depth=2
	s_wait_alu 0xfffe
	s_or_b32 exec_lo, exec_lo, s7
	s_delay_alu instid0(SALU_CYCLE_1)
	s_mov_b32 s7, exec_lo
	v_cmpx_gt_u32_e64 s6, v92
	s_cbranch_execnz .LBB1256_70
.LBB1256_55:                            ;   in Loop: Header=BB1256_21 Depth=2
	s_wait_alu 0xfffe
	s_or_b32 exec_lo, exec_lo, s7
	s_delay_alu instid0(SALU_CYCLE_1)
	s_mov_b32 s7, exec_lo
	v_cmpx_gt_u32_e64 s6, v93
	s_cbranch_execnz .LBB1256_71
.LBB1256_56:                            ;   in Loop: Header=BB1256_21 Depth=2
	s_wait_alu 0xfffe
	s_or_b32 exec_lo, exec_lo, s7
	s_delay_alu instid0(SALU_CYCLE_1)
	s_mov_b32 s7, exec_lo
	v_cmpx_gt_u32_e64 s6, v94
	s_cbranch_execnz .LBB1256_72
.LBB1256_57:                            ;   in Loop: Header=BB1256_21 Depth=2
	s_wait_alu 0xfffe
	s_or_b32 exec_lo, exec_lo, s7
	v_cmp_gt_u32_e32 vcc_lo, s6, v95
	s_and_saveexec_b32 s6, vcc_lo
	s_cbranch_execz .LBB1256_20
	s_branch .LBB1256_73
.LBB1256_58:                            ;   in Loop: Header=BB1256_21 Depth=2
	v_cmp_lt_i64_e32 vcc_lo, -1, v[36:37]
	v_ashrrev_i32_e32 v38, 31, v37
	s_delay_alu instid0(VALU_DEP_1) | instskip(SKIP_2) | instid1(VALU_DEP_1)
	v_xor_b32_e32 v38, v38, v36
	s_wait_alu 0xfffd
	v_cndmask_b32_e64 v2, -1, 0x80000000, vcc_lo
	v_xor_b32_e32 v39, v2, v37
	s_delay_alu instid0(VALU_DEP_1) | instskip(SKIP_3) | instid1(VALU_DEP_1)
	v_cmp_ne_u64_e32 vcc_lo, s[42:43], v[38:39]
	s_wait_alu 0xfffd
	v_cndmask_b32_e32 v39, 0x80000000, v39, vcc_lo
	v_cndmask_b32_e32 v38, 0, v38, vcc_lo
	v_lshrrev_b64 v[38:39], s48, v[38:39]
	s_delay_alu instid0(VALU_DEP_1) | instskip(NEXT) | instid1(VALU_DEP_1)
	v_and_b32_e32 v2, s57, v38
	v_lshl_or_b32 v2, v2, 4, v96
	ds_add_u32 v2, v123
	s_or_b32 exec_lo, exec_lo, s7
	s_delay_alu instid0(SALU_CYCLE_1)
	s_mov_b32 s7, exec_lo
	v_cmpx_gt_u32_e64 s6, v79
	s_cbranch_execz .LBB1256_44
.LBB1256_59:                            ;   in Loop: Header=BB1256_21 Depth=2
	v_cmp_lt_i64_e32 vcc_lo, -1, v[34:35]
	v_ashrrev_i32_e32 v38, 31, v35
	s_delay_alu instid0(VALU_DEP_1) | instskip(SKIP_2) | instid1(VALU_DEP_1)
	v_xor_b32_e32 v38, v38, v34
	s_wait_alu 0xfffd
	v_cndmask_b32_e64 v2, -1, 0x80000000, vcc_lo
	v_xor_b32_e32 v39, v2, v35
	s_delay_alu instid0(VALU_DEP_1) | instskip(SKIP_3) | instid1(VALU_DEP_1)
	v_cmp_ne_u64_e32 vcc_lo, s[42:43], v[38:39]
	s_wait_alu 0xfffd
	v_cndmask_b32_e32 v39, 0x80000000, v39, vcc_lo
	v_cndmask_b32_e32 v38, 0, v38, vcc_lo
	v_lshrrev_b64 v[38:39], s48, v[38:39]
	s_delay_alu instid0(VALU_DEP_1) | instskip(NEXT) | instid1(VALU_DEP_1)
	v_and_b32_e32 v2, s57, v38
	v_lshl_or_b32 v2, v2, 4, v96
	ds_add_u32 v2, v123
	s_wait_alu 0xfffe
	s_or_b32 exec_lo, exec_lo, s7
	s_delay_alu instid0(SALU_CYCLE_1)
	s_mov_b32 s7, exec_lo
	v_cmpx_gt_u32_e64 s6, v80
	s_cbranch_execz .LBB1256_45
.LBB1256_60:                            ;   in Loop: Header=BB1256_21 Depth=2
	v_cmp_lt_i64_e32 vcc_lo, -1, v[32:33]
	v_ashrrev_i32_e32 v38, 31, v33
	s_delay_alu instid0(VALU_DEP_1) | instskip(SKIP_2) | instid1(VALU_DEP_1)
	v_xor_b32_e32 v38, v38, v32
	s_wait_alu 0xfffd
	v_cndmask_b32_e64 v2, -1, 0x80000000, vcc_lo
	v_xor_b32_e32 v39, v2, v33
	s_delay_alu instid0(VALU_DEP_1) | instskip(SKIP_3) | instid1(VALU_DEP_1)
	v_cmp_ne_u64_e32 vcc_lo, s[42:43], v[38:39]
	s_wait_alu 0xfffd
	v_cndmask_b32_e32 v39, 0x80000000, v39, vcc_lo
	v_cndmask_b32_e32 v38, 0, v38, vcc_lo
	v_lshrrev_b64 v[38:39], s48, v[38:39]
	s_delay_alu instid0(VALU_DEP_1) | instskip(NEXT) | instid1(VALU_DEP_1)
	v_and_b32_e32 v2, s57, v38
	v_lshl_or_b32 v2, v2, 4, v96
	ds_add_u32 v2, v123
	s_wait_alu 0xfffe
	s_or_b32 exec_lo, exec_lo, s7
	s_delay_alu instid0(SALU_CYCLE_1)
	s_mov_b32 s7, exec_lo
	v_cmpx_gt_u32_e64 s6, v81
	s_cbranch_execz .LBB1256_46
.LBB1256_61:                            ;   in Loop: Header=BB1256_21 Depth=2
	v_cmp_lt_i64_e32 vcc_lo, -1, v[30:31]
	v_ashrrev_i32_e32 v38, 31, v31
	s_delay_alu instid0(VALU_DEP_1) | instskip(SKIP_2) | instid1(VALU_DEP_1)
	v_xor_b32_e32 v38, v38, v30
	s_wait_alu 0xfffd
	v_cndmask_b32_e64 v2, -1, 0x80000000, vcc_lo
	v_xor_b32_e32 v39, v2, v31
	s_delay_alu instid0(VALU_DEP_1) | instskip(SKIP_3) | instid1(VALU_DEP_1)
	v_cmp_ne_u64_e32 vcc_lo, s[42:43], v[38:39]
	s_wait_alu 0xfffd
	v_cndmask_b32_e32 v39, 0x80000000, v39, vcc_lo
	v_cndmask_b32_e32 v38, 0, v38, vcc_lo
	v_lshrrev_b64 v[38:39], s48, v[38:39]
	s_delay_alu instid0(VALU_DEP_1) | instskip(NEXT) | instid1(VALU_DEP_1)
	v_and_b32_e32 v2, s57, v38
	v_lshl_or_b32 v2, v2, 4, v96
	ds_add_u32 v2, v123
	s_wait_alu 0xfffe
	s_or_b32 exec_lo, exec_lo, s7
	s_delay_alu instid0(SALU_CYCLE_1)
	s_mov_b32 s7, exec_lo
	v_cmpx_gt_u32_e64 s6, v84
	s_cbranch_execz .LBB1256_47
.LBB1256_62:                            ;   in Loop: Header=BB1256_21 Depth=2
	v_cmp_lt_i64_e32 vcc_lo, -1, v[28:29]
	v_ashrrev_i32_e32 v38, 31, v29
	s_delay_alu instid0(VALU_DEP_1) | instskip(SKIP_2) | instid1(VALU_DEP_1)
	v_xor_b32_e32 v38, v38, v28
	s_wait_alu 0xfffd
	v_cndmask_b32_e64 v2, -1, 0x80000000, vcc_lo
	v_xor_b32_e32 v39, v2, v29
	s_delay_alu instid0(VALU_DEP_1) | instskip(SKIP_3) | instid1(VALU_DEP_1)
	v_cmp_ne_u64_e32 vcc_lo, s[42:43], v[38:39]
	s_wait_alu 0xfffd
	v_cndmask_b32_e32 v39, 0x80000000, v39, vcc_lo
	v_cndmask_b32_e32 v38, 0, v38, vcc_lo
	v_lshrrev_b64 v[38:39], s48, v[38:39]
	s_delay_alu instid0(VALU_DEP_1) | instskip(NEXT) | instid1(VALU_DEP_1)
	v_and_b32_e32 v2, s57, v38
	v_lshl_or_b32 v2, v2, 4, v96
	ds_add_u32 v2, v123
	s_wait_alu 0xfffe
	s_or_b32 exec_lo, exec_lo, s7
	s_delay_alu instid0(SALU_CYCLE_1)
	s_mov_b32 s7, exec_lo
	v_cmpx_gt_u32_e64 s6, v85
	s_cbranch_execz .LBB1256_48
.LBB1256_63:                            ;   in Loop: Header=BB1256_21 Depth=2
	v_cmp_lt_i64_e32 vcc_lo, -1, v[26:27]
	v_ashrrev_i32_e32 v38, 31, v27
	s_delay_alu instid0(VALU_DEP_1) | instskip(SKIP_2) | instid1(VALU_DEP_1)
	v_xor_b32_e32 v38, v38, v26
	s_wait_alu 0xfffd
	v_cndmask_b32_e64 v2, -1, 0x80000000, vcc_lo
	v_xor_b32_e32 v39, v2, v27
	s_delay_alu instid0(VALU_DEP_1) | instskip(SKIP_3) | instid1(VALU_DEP_1)
	v_cmp_ne_u64_e32 vcc_lo, s[42:43], v[38:39]
	s_wait_alu 0xfffd
	v_cndmask_b32_e32 v39, 0x80000000, v39, vcc_lo
	v_cndmask_b32_e32 v38, 0, v38, vcc_lo
	v_lshrrev_b64 v[38:39], s48, v[38:39]
	s_delay_alu instid0(VALU_DEP_1) | instskip(NEXT) | instid1(VALU_DEP_1)
	v_and_b32_e32 v2, s57, v38
	v_lshl_or_b32 v2, v2, 4, v96
	ds_add_u32 v2, v123
	s_wait_alu 0xfffe
	s_or_b32 exec_lo, exec_lo, s7
	s_delay_alu instid0(SALU_CYCLE_1)
	s_mov_b32 s7, exec_lo
	v_cmpx_gt_u32_e64 s6, v86
	s_cbranch_execz .LBB1256_49
.LBB1256_64:                            ;   in Loop: Header=BB1256_21 Depth=2
	v_cmp_lt_i64_e32 vcc_lo, -1, v[24:25]
	v_ashrrev_i32_e32 v38, 31, v25
	s_delay_alu instid0(VALU_DEP_1) | instskip(SKIP_2) | instid1(VALU_DEP_1)
	v_xor_b32_e32 v38, v38, v24
	s_wait_alu 0xfffd
	v_cndmask_b32_e64 v2, -1, 0x80000000, vcc_lo
	v_xor_b32_e32 v39, v2, v25
	s_delay_alu instid0(VALU_DEP_1) | instskip(SKIP_3) | instid1(VALU_DEP_1)
	v_cmp_ne_u64_e32 vcc_lo, s[42:43], v[38:39]
	s_wait_alu 0xfffd
	v_cndmask_b32_e32 v39, 0x80000000, v39, vcc_lo
	v_cndmask_b32_e32 v38, 0, v38, vcc_lo
	v_lshrrev_b64 v[38:39], s48, v[38:39]
	s_delay_alu instid0(VALU_DEP_1) | instskip(NEXT) | instid1(VALU_DEP_1)
	v_and_b32_e32 v2, s57, v38
	v_lshl_or_b32 v2, v2, 4, v96
	ds_add_u32 v2, v123
	s_wait_alu 0xfffe
	s_or_b32 exec_lo, exec_lo, s7
	s_delay_alu instid0(SALU_CYCLE_1)
	s_mov_b32 s7, exec_lo
	v_cmpx_gt_u32_e64 s6, v87
	s_cbranch_execz .LBB1256_50
.LBB1256_65:                            ;   in Loop: Header=BB1256_21 Depth=2
	v_cmp_lt_i64_e32 vcc_lo, -1, v[22:23]
	v_ashrrev_i32_e32 v38, 31, v23
	s_delay_alu instid0(VALU_DEP_1) | instskip(SKIP_2) | instid1(VALU_DEP_1)
	v_xor_b32_e32 v38, v38, v22
	s_wait_alu 0xfffd
	v_cndmask_b32_e64 v2, -1, 0x80000000, vcc_lo
	v_xor_b32_e32 v39, v2, v23
	s_delay_alu instid0(VALU_DEP_1) | instskip(SKIP_3) | instid1(VALU_DEP_1)
	v_cmp_ne_u64_e32 vcc_lo, s[42:43], v[38:39]
	s_wait_alu 0xfffd
	v_cndmask_b32_e32 v39, 0x80000000, v39, vcc_lo
	v_cndmask_b32_e32 v38, 0, v38, vcc_lo
	v_lshrrev_b64 v[38:39], s48, v[38:39]
	s_delay_alu instid0(VALU_DEP_1) | instskip(NEXT) | instid1(VALU_DEP_1)
	v_and_b32_e32 v2, s57, v38
	v_lshl_or_b32 v2, v2, 4, v96
	ds_add_u32 v2, v123
	s_wait_alu 0xfffe
	s_or_b32 exec_lo, exec_lo, s7
	s_delay_alu instid0(SALU_CYCLE_1)
	s_mov_b32 s7, exec_lo
	v_cmpx_gt_u32_e64 s6, v88
	s_cbranch_execz .LBB1256_51
.LBB1256_66:                            ;   in Loop: Header=BB1256_21 Depth=2
	v_cmp_lt_i64_e32 vcc_lo, -1, v[20:21]
	v_ashrrev_i32_e32 v38, 31, v21
	s_delay_alu instid0(VALU_DEP_1) | instskip(SKIP_2) | instid1(VALU_DEP_1)
	v_xor_b32_e32 v38, v38, v20
	s_wait_alu 0xfffd
	v_cndmask_b32_e64 v2, -1, 0x80000000, vcc_lo
	v_xor_b32_e32 v39, v2, v21
	s_delay_alu instid0(VALU_DEP_1) | instskip(SKIP_3) | instid1(VALU_DEP_1)
	v_cmp_ne_u64_e32 vcc_lo, s[42:43], v[38:39]
	s_wait_alu 0xfffd
	v_cndmask_b32_e32 v39, 0x80000000, v39, vcc_lo
	v_cndmask_b32_e32 v38, 0, v38, vcc_lo
	v_lshrrev_b64 v[38:39], s48, v[38:39]
	s_delay_alu instid0(VALU_DEP_1) | instskip(NEXT) | instid1(VALU_DEP_1)
	v_and_b32_e32 v2, s57, v38
	v_lshl_or_b32 v2, v2, 4, v96
	ds_add_u32 v2, v123
	s_wait_alu 0xfffe
	s_or_b32 exec_lo, exec_lo, s7
	s_delay_alu instid0(SALU_CYCLE_1)
	s_mov_b32 s7, exec_lo
	v_cmpx_gt_u32_e64 s6, v89
	s_cbranch_execz .LBB1256_52
.LBB1256_67:                            ;   in Loop: Header=BB1256_21 Depth=2
	v_cmp_lt_i64_e32 vcc_lo, -1, v[18:19]
	v_ashrrev_i32_e32 v38, 31, v19
	s_delay_alu instid0(VALU_DEP_1) | instskip(SKIP_2) | instid1(VALU_DEP_1)
	v_xor_b32_e32 v38, v38, v18
	s_wait_alu 0xfffd
	v_cndmask_b32_e64 v2, -1, 0x80000000, vcc_lo
	v_xor_b32_e32 v39, v2, v19
	s_delay_alu instid0(VALU_DEP_1) | instskip(SKIP_3) | instid1(VALU_DEP_1)
	v_cmp_ne_u64_e32 vcc_lo, s[42:43], v[38:39]
	s_wait_alu 0xfffd
	v_cndmask_b32_e32 v39, 0x80000000, v39, vcc_lo
	v_cndmask_b32_e32 v38, 0, v38, vcc_lo
	v_lshrrev_b64 v[38:39], s48, v[38:39]
	s_delay_alu instid0(VALU_DEP_1) | instskip(NEXT) | instid1(VALU_DEP_1)
	v_and_b32_e32 v2, s57, v38
	v_lshl_or_b32 v2, v2, 4, v96
	ds_add_u32 v2, v123
	s_wait_alu 0xfffe
	s_or_b32 exec_lo, exec_lo, s7
	s_delay_alu instid0(SALU_CYCLE_1)
	s_mov_b32 s7, exec_lo
	v_cmpx_gt_u32_e64 s6, v90
	s_cbranch_execz .LBB1256_53
.LBB1256_68:                            ;   in Loop: Header=BB1256_21 Depth=2
	v_cmp_lt_i64_e32 vcc_lo, -1, v[16:17]
	v_ashrrev_i32_e32 v38, 31, v17
	s_delay_alu instid0(VALU_DEP_1) | instskip(SKIP_2) | instid1(VALU_DEP_1)
	v_xor_b32_e32 v38, v38, v16
	s_wait_alu 0xfffd
	v_cndmask_b32_e64 v2, -1, 0x80000000, vcc_lo
	v_xor_b32_e32 v39, v2, v17
	s_delay_alu instid0(VALU_DEP_1) | instskip(SKIP_3) | instid1(VALU_DEP_1)
	v_cmp_ne_u64_e32 vcc_lo, s[42:43], v[38:39]
	s_wait_alu 0xfffd
	v_cndmask_b32_e32 v39, 0x80000000, v39, vcc_lo
	v_cndmask_b32_e32 v38, 0, v38, vcc_lo
	v_lshrrev_b64 v[38:39], s48, v[38:39]
	s_delay_alu instid0(VALU_DEP_1) | instskip(NEXT) | instid1(VALU_DEP_1)
	v_and_b32_e32 v2, s57, v38
	v_lshl_or_b32 v2, v2, 4, v96
	ds_add_u32 v2, v123
	s_wait_alu 0xfffe
	s_or_b32 exec_lo, exec_lo, s7
	s_delay_alu instid0(SALU_CYCLE_1)
	s_mov_b32 s7, exec_lo
	v_cmpx_gt_u32_e64 s6, v91
	s_cbranch_execz .LBB1256_54
.LBB1256_69:                            ;   in Loop: Header=BB1256_21 Depth=2
	v_cmp_lt_i64_e32 vcc_lo, -1, v[14:15]
	v_ashrrev_i32_e32 v38, 31, v15
	s_delay_alu instid0(VALU_DEP_1) | instskip(SKIP_2) | instid1(VALU_DEP_1)
	v_xor_b32_e32 v38, v38, v14
	s_wait_alu 0xfffd
	v_cndmask_b32_e64 v2, -1, 0x80000000, vcc_lo
	v_xor_b32_e32 v39, v2, v15
	s_delay_alu instid0(VALU_DEP_1) | instskip(SKIP_3) | instid1(VALU_DEP_1)
	v_cmp_ne_u64_e32 vcc_lo, s[42:43], v[38:39]
	s_wait_alu 0xfffd
	v_cndmask_b32_e32 v39, 0x80000000, v39, vcc_lo
	v_cndmask_b32_e32 v38, 0, v38, vcc_lo
	v_lshrrev_b64 v[38:39], s48, v[38:39]
	s_delay_alu instid0(VALU_DEP_1) | instskip(NEXT) | instid1(VALU_DEP_1)
	v_and_b32_e32 v2, s57, v38
	v_lshl_or_b32 v2, v2, 4, v96
	ds_add_u32 v2, v123
	s_wait_alu 0xfffe
	s_or_b32 exec_lo, exec_lo, s7
	s_delay_alu instid0(SALU_CYCLE_1)
	s_mov_b32 s7, exec_lo
	v_cmpx_gt_u32_e64 s6, v92
	s_cbranch_execz .LBB1256_55
.LBB1256_70:                            ;   in Loop: Header=BB1256_21 Depth=2
	v_cmp_lt_i64_e32 vcc_lo, -1, v[12:13]
	v_ashrrev_i32_e32 v38, 31, v13
	s_delay_alu instid0(VALU_DEP_1) | instskip(SKIP_2) | instid1(VALU_DEP_1)
	v_xor_b32_e32 v38, v38, v12
	s_wait_alu 0xfffd
	v_cndmask_b32_e64 v2, -1, 0x80000000, vcc_lo
	v_xor_b32_e32 v39, v2, v13
	s_delay_alu instid0(VALU_DEP_1) | instskip(SKIP_3) | instid1(VALU_DEP_1)
	v_cmp_ne_u64_e32 vcc_lo, s[42:43], v[38:39]
	s_wait_alu 0xfffd
	v_cndmask_b32_e32 v39, 0x80000000, v39, vcc_lo
	v_cndmask_b32_e32 v38, 0, v38, vcc_lo
	v_lshrrev_b64 v[38:39], s48, v[38:39]
	s_delay_alu instid0(VALU_DEP_1) | instskip(NEXT) | instid1(VALU_DEP_1)
	v_and_b32_e32 v2, s57, v38
	v_lshl_or_b32 v2, v2, 4, v96
	ds_add_u32 v2, v123
	s_wait_alu 0xfffe
	s_or_b32 exec_lo, exec_lo, s7
	s_delay_alu instid0(SALU_CYCLE_1)
	s_mov_b32 s7, exec_lo
	v_cmpx_gt_u32_e64 s6, v93
	s_cbranch_execz .LBB1256_56
.LBB1256_71:                            ;   in Loop: Header=BB1256_21 Depth=2
	v_cmp_lt_i64_e32 vcc_lo, -1, v[10:11]
	v_ashrrev_i32_e32 v38, 31, v11
	s_delay_alu instid0(VALU_DEP_1) | instskip(SKIP_2) | instid1(VALU_DEP_1)
	v_xor_b32_e32 v38, v38, v10
	s_wait_alu 0xfffd
	v_cndmask_b32_e64 v2, -1, 0x80000000, vcc_lo
	v_xor_b32_e32 v39, v2, v11
	s_delay_alu instid0(VALU_DEP_1) | instskip(SKIP_3) | instid1(VALU_DEP_1)
	v_cmp_ne_u64_e32 vcc_lo, s[42:43], v[38:39]
	s_wait_alu 0xfffd
	v_cndmask_b32_e32 v39, 0x80000000, v39, vcc_lo
	v_cndmask_b32_e32 v38, 0, v38, vcc_lo
	v_lshrrev_b64 v[38:39], s48, v[38:39]
	s_delay_alu instid0(VALU_DEP_1) | instskip(NEXT) | instid1(VALU_DEP_1)
	v_and_b32_e32 v2, s57, v38
	v_lshl_or_b32 v2, v2, 4, v96
	ds_add_u32 v2, v123
	s_wait_alu 0xfffe
	s_or_b32 exec_lo, exec_lo, s7
	s_delay_alu instid0(SALU_CYCLE_1)
	s_mov_b32 s7, exec_lo
	v_cmpx_gt_u32_e64 s6, v94
	s_cbranch_execz .LBB1256_57
.LBB1256_72:                            ;   in Loop: Header=BB1256_21 Depth=2
	v_cmp_lt_i64_e32 vcc_lo, -1, v[8:9]
	v_ashrrev_i32_e32 v38, 31, v9
	s_delay_alu instid0(VALU_DEP_1) | instskip(SKIP_2) | instid1(VALU_DEP_1)
	v_xor_b32_e32 v38, v38, v8
	s_wait_alu 0xfffd
	v_cndmask_b32_e64 v2, -1, 0x80000000, vcc_lo
	v_xor_b32_e32 v39, v2, v9
	s_delay_alu instid0(VALU_DEP_1) | instskip(SKIP_3) | instid1(VALU_DEP_1)
	v_cmp_ne_u64_e32 vcc_lo, s[42:43], v[38:39]
	s_wait_alu 0xfffd
	v_cndmask_b32_e32 v39, 0x80000000, v39, vcc_lo
	v_cndmask_b32_e32 v38, 0, v38, vcc_lo
	v_lshrrev_b64 v[38:39], s48, v[38:39]
	s_delay_alu instid0(VALU_DEP_1) | instskip(NEXT) | instid1(VALU_DEP_1)
	v_and_b32_e32 v2, s57, v38
	v_lshl_or_b32 v2, v2, 4, v96
	ds_add_u32 v2, v123
	s_wait_alu 0xfffe
	s_or_b32 exec_lo, exec_lo, s7
	v_cmp_gt_u32_e32 vcc_lo, s6, v95
	s_and_saveexec_b32 s6, vcc_lo
	s_cbranch_execz .LBB1256_20
.LBB1256_73:                            ;   in Loop: Header=BB1256_21 Depth=2
	v_cmp_lt_i64_e32 vcc_lo, -1, v[6:7]
	v_ashrrev_i32_e32 v38, 31, v7
	s_delay_alu instid0(VALU_DEP_1) | instskip(SKIP_2) | instid1(VALU_DEP_1)
	v_xor_b32_e32 v38, v38, v6
	s_wait_alu 0xfffd
	v_cndmask_b32_e64 v2, -1, 0x80000000, vcc_lo
	v_xor_b32_e32 v39, v2, v7
	s_delay_alu instid0(VALU_DEP_1) | instskip(SKIP_3) | instid1(VALU_DEP_1)
	v_cmp_ne_u64_e32 vcc_lo, s[42:43], v[38:39]
	s_wait_alu 0xfffd
	v_cndmask_b32_e32 v39, 0x80000000, v39, vcc_lo
	v_cndmask_b32_e32 v38, 0, v38, vcc_lo
	v_lshrrev_b64 v[38:39], s48, v[38:39]
	s_delay_alu instid0(VALU_DEP_1) | instskip(NEXT) | instid1(VALU_DEP_1)
	v_and_b32_e32 v2, s57, v38
	v_lshl_or_b32 v2, v2, 4, v96
	ds_add_u32 v2, v123
	s_branch .LBB1256_20
.LBB1256_74:                            ;   in Loop: Header=BB1256_21 Depth=2
	global_load_b64 v[36:37], v124, s[6:7]
	s_or_b32 exec_lo, exec_lo, s10
	s_delay_alu instid0(SALU_CYCLE_1)
	s_mov_b32 s10, exec_lo
	v_cmpx_gt_u32_e64 s8, v79
	s_cbranch_execz .LBB1256_26
.LBB1256_75:                            ;   in Loop: Header=BB1256_21 Depth=2
	global_load_b64 v[34:35], v124, s[6:7] offset:2048
	s_wait_alu 0xfffe
	s_or_b32 exec_lo, exec_lo, s10
	s_delay_alu instid0(SALU_CYCLE_1)
	s_mov_b32 s10, exec_lo
	v_cmpx_gt_u32_e64 s8, v80
	s_cbranch_execz .LBB1256_27
.LBB1256_76:                            ;   in Loop: Header=BB1256_21 Depth=2
	global_load_b64 v[32:33], v124, s[6:7] offset:4096
	s_wait_alu 0xfffe
	s_or_b32 exec_lo, exec_lo, s10
	s_delay_alu instid0(SALU_CYCLE_1)
	s_mov_b32 s10, exec_lo
	v_cmpx_gt_u32_e64 s8, v81
	s_cbranch_execz .LBB1256_28
.LBB1256_77:                            ;   in Loop: Header=BB1256_21 Depth=2
	global_load_b64 v[30:31], v124, s[6:7] offset:6144
	s_wait_alu 0xfffe
	s_or_b32 exec_lo, exec_lo, s10
	s_delay_alu instid0(SALU_CYCLE_1)
	s_mov_b32 s10, exec_lo
	v_cmpx_gt_u32_e64 s8, v84
	s_cbranch_execz .LBB1256_29
.LBB1256_78:                            ;   in Loop: Header=BB1256_21 Depth=2
	global_load_b64 v[28:29], v124, s[6:7] offset:8192
	s_wait_alu 0xfffe
	s_or_b32 exec_lo, exec_lo, s10
	s_delay_alu instid0(SALU_CYCLE_1)
	s_mov_b32 s10, exec_lo
	v_cmpx_gt_u32_e64 s8, v85
	s_cbranch_execz .LBB1256_30
.LBB1256_79:                            ;   in Loop: Header=BB1256_21 Depth=2
	global_load_b64 v[26:27], v124, s[6:7] offset:10240
	s_wait_alu 0xfffe
	s_or_b32 exec_lo, exec_lo, s10
	s_delay_alu instid0(SALU_CYCLE_1)
	s_mov_b32 s10, exec_lo
	v_cmpx_gt_u32_e64 s8, v86
	s_cbranch_execz .LBB1256_31
.LBB1256_80:                            ;   in Loop: Header=BB1256_21 Depth=2
	global_load_b64 v[24:25], v124, s[6:7] offset:12288
	s_wait_alu 0xfffe
	s_or_b32 exec_lo, exec_lo, s10
	s_delay_alu instid0(SALU_CYCLE_1)
	s_mov_b32 s10, exec_lo
	v_cmpx_gt_u32_e64 s8, v87
	s_cbranch_execz .LBB1256_32
.LBB1256_81:                            ;   in Loop: Header=BB1256_21 Depth=2
	global_load_b64 v[22:23], v124, s[6:7] offset:14336
	s_wait_alu 0xfffe
	s_or_b32 exec_lo, exec_lo, s10
	s_delay_alu instid0(SALU_CYCLE_1)
	s_mov_b32 s10, exec_lo
	v_cmpx_gt_u32_e64 s8, v88
	s_cbranch_execz .LBB1256_33
.LBB1256_82:                            ;   in Loop: Header=BB1256_21 Depth=2
	global_load_b64 v[20:21], v124, s[6:7] offset:16384
	s_wait_alu 0xfffe
	s_or_b32 exec_lo, exec_lo, s10
	s_delay_alu instid0(SALU_CYCLE_1)
	s_mov_b32 s10, exec_lo
	v_cmpx_gt_u32_e64 s8, v89
	s_cbranch_execz .LBB1256_34
.LBB1256_83:                            ;   in Loop: Header=BB1256_21 Depth=2
	global_load_b64 v[18:19], v124, s[6:7] offset:18432
	s_wait_alu 0xfffe
	s_or_b32 exec_lo, exec_lo, s10
	s_delay_alu instid0(SALU_CYCLE_1)
	s_mov_b32 s10, exec_lo
	v_cmpx_gt_u32_e64 s8, v90
	s_cbranch_execz .LBB1256_35
.LBB1256_84:                            ;   in Loop: Header=BB1256_21 Depth=2
	global_load_b64 v[16:17], v124, s[6:7] offset:20480
	s_wait_alu 0xfffe
	s_or_b32 exec_lo, exec_lo, s10
	s_delay_alu instid0(SALU_CYCLE_1)
	s_mov_b32 s10, exec_lo
	v_cmpx_gt_u32_e64 s8, v91
	s_cbranch_execz .LBB1256_36
.LBB1256_85:                            ;   in Loop: Header=BB1256_21 Depth=2
	global_load_b64 v[14:15], v124, s[6:7] offset:22528
	s_wait_alu 0xfffe
	s_or_b32 exec_lo, exec_lo, s10
	s_delay_alu instid0(SALU_CYCLE_1)
	s_mov_b32 s10, exec_lo
	v_cmpx_gt_u32_e64 s8, v92
	s_cbranch_execz .LBB1256_37
.LBB1256_86:                            ;   in Loop: Header=BB1256_21 Depth=2
	global_load_b64 v[12:13], v124, s[6:7] offset:24576
	s_wait_alu 0xfffe
	s_or_b32 exec_lo, exec_lo, s10
	s_delay_alu instid0(SALU_CYCLE_1)
	s_mov_b32 s10, exec_lo
	v_cmpx_gt_u32_e64 s8, v93
	s_cbranch_execz .LBB1256_38
.LBB1256_87:                            ;   in Loop: Header=BB1256_21 Depth=2
	global_load_b64 v[10:11], v124, s[6:7] offset:26624
	s_wait_alu 0xfffe
	s_or_b32 exec_lo, exec_lo, s10
	s_delay_alu instid0(SALU_CYCLE_1)
	s_mov_b32 s10, exec_lo
	v_cmpx_gt_u32_e64 s8, v94
	s_cbranch_execz .LBB1256_39
.LBB1256_88:                            ;   in Loop: Header=BB1256_21 Depth=2
	global_load_b64 v[8:9], v124, s[6:7] offset:28672
	s_wait_alu 0xfffe
	s_or_b32 exec_lo, exec_lo, s10
	s_delay_alu instid0(SALU_CYCLE_1)
	s_mov_b32 s10, exec_lo
	v_cmpx_gt_u32_e64 s8, v95
	s_cbranch_execnz .LBB1256_40
	s_branch .LBB1256_41
.LBB1256_89:                            ;   in Loop: Header=BB1256_17 Depth=1
	v_mov_b32_e32 v2, 0
	s_wait_dscnt 0x0
	s_barrier_signal -1
	s_barrier_wait -1
	global_inv scope:SCOPE_SE
	s_and_saveexec_b32 s6, s2
	s_cbranch_execz .LBB1256_91
; %bb.90:                               ;   in Loop: Header=BB1256_17 Depth=1
	ds_load_2addr_b64 v[6:9], v98 offset1:1
	s_wait_dscnt 0x0
	v_add_nc_u32_e32 v2, v7, v6
	s_delay_alu instid0(VALU_DEP_1)
	v_add3_u32 v2, v2, v8, v9
.LBB1256_91:                            ;   in Loop: Header=BB1256_17 Depth=1
	s_wait_alu 0xfffe
	s_or_b32 exec_lo, exec_lo, s6
	v_and_b32_e32 v6, 15, v125
	s_delay_alu instid0(VALU_DEP_2) | instskip(SKIP_1) | instid1(VALU_DEP_3)
	v_mov_b32_dpp v7, v2 row_shr:1 row_mask:0xf bank_mask:0xf
	v_and_b32_e32 v8, 16, v125
	v_cmp_eq_u32_e64 s6, 0, v6
	v_cmp_lt_u32_e64 s7, 1, v6
	v_cmp_lt_u32_e64 s8, 3, v6
	;; [unrolled: 1-line block ×3, first 2 shown]
	v_cmp_eq_u32_e64 s10, 0, v8
	s_wait_alu 0xf1ff
	v_cndmask_b32_e64 v7, v7, 0, s6
	s_delay_alu instid0(VALU_DEP_1) | instskip(NEXT) | instid1(VALU_DEP_1)
	v_add_nc_u32_e32 v2, v7, v2
	v_mov_b32_dpp v7, v2 row_shr:2 row_mask:0xf bank_mask:0xf
	s_delay_alu instid0(VALU_DEP_1) | instskip(NEXT) | instid1(VALU_DEP_1)
	v_cndmask_b32_e64 v7, 0, v7, s7
	v_add_nc_u32_e32 v2, v2, v7
	s_delay_alu instid0(VALU_DEP_1) | instskip(NEXT) | instid1(VALU_DEP_1)
	v_mov_b32_dpp v7, v2 row_shr:4 row_mask:0xf bank_mask:0xf
	v_cndmask_b32_e64 v7, 0, v7, s8
	s_delay_alu instid0(VALU_DEP_1) | instskip(NEXT) | instid1(VALU_DEP_1)
	v_add_nc_u32_e32 v2, v2, v7
	v_mov_b32_dpp v7, v2 row_shr:8 row_mask:0xf bank_mask:0xf
	s_delay_alu instid0(VALU_DEP_1) | instskip(SKIP_1) | instid1(VALU_DEP_2)
	v_cndmask_b32_e64 v6, 0, v7, s9
	v_bfe_i32 v7, v125, 4, 1
	v_add_nc_u32_e32 v2, v2, v6
	ds_swizzle_b32 v6, v2 offset:swizzle(BROADCAST,32,15)
	s_wait_dscnt 0x0
	v_and_b32_e32 v6, v7, v6
	s_delay_alu instid0(VALU_DEP_1)
	v_add_nc_u32_e32 v6, v2, v6
	s_and_saveexec_b32 s11, s3
; %bb.92:                               ;   in Loop: Header=BB1256_17 Depth=1
	ds_store_b32 v99, v6
; %bb.93:                               ;   in Loop: Header=BB1256_17 Depth=1
	s_wait_alu 0xfffe
	s_or_b32 exec_lo, exec_lo, s11
	v_and_b32_e32 v2, 7, v125
	s_wait_loadcnt_dscnt 0x0
	s_barrier_signal -1
	s_barrier_wait -1
	global_inv scope:SCOPE_SE
	s_and_saveexec_b32 s11, s4
	s_cbranch_execz .LBB1256_95
; %bb.94:                               ;   in Loop: Header=BB1256_17 Depth=1
	ds_load_b32 v7, v100
	v_cmp_ne_u32_e32 vcc_lo, 0, v2
	s_wait_dscnt 0x0
	v_mov_b32_dpp v8, v7 row_shr:1 row_mask:0xf bank_mask:0xf
	s_wait_alu 0xfffd
	s_delay_alu instid0(VALU_DEP_1) | instskip(SKIP_1) | instid1(VALU_DEP_2)
	v_cndmask_b32_e32 v8, 0, v8, vcc_lo
	v_cmp_lt_u32_e32 vcc_lo, 1, v2
	v_add_nc_u32_e32 v7, v8, v7
	s_delay_alu instid0(VALU_DEP_1) | instskip(SKIP_1) | instid1(VALU_DEP_1)
	v_mov_b32_dpp v8, v7 row_shr:2 row_mask:0xf bank_mask:0xf
	s_wait_alu 0xfffd
	v_cndmask_b32_e32 v8, 0, v8, vcc_lo
	v_cmp_lt_u32_e32 vcc_lo, 3, v2
	s_delay_alu instid0(VALU_DEP_2) | instskip(NEXT) | instid1(VALU_DEP_1)
	v_add_nc_u32_e32 v7, v7, v8
	v_mov_b32_dpp v8, v7 row_shr:4 row_mask:0xf bank_mask:0xf
	s_wait_alu 0xfffd
	s_delay_alu instid0(VALU_DEP_1) | instskip(NEXT) | instid1(VALU_DEP_1)
	v_cndmask_b32_e32 v8, 0, v8, vcc_lo
	v_add_nc_u32_e32 v7, v7, v8
	ds_store_b32 v100, v7
.LBB1256_95:                            ;   in Loop: Header=BB1256_17 Depth=1
	s_wait_alu 0xfffe
	s_or_b32 exec_lo, exec_lo, s11
	v_mov_b32_e32 v7, 0
	s_wait_loadcnt_dscnt 0x0
	s_barrier_signal -1
	s_barrier_wait -1
	global_inv scope:SCOPE_SE
	s_and_saveexec_b32 s11, s5
; %bb.96:                               ;   in Loop: Header=BB1256_17 Depth=1
	ds_load_b32 v7, v101
; %bb.97:                               ;   in Loop: Header=BB1256_17 Depth=1
	s_wait_alu 0xfffe
	s_or_b32 exec_lo, exec_lo, s11
	v_sub_co_u32 v8, s11, v125, 1
	s_wait_dscnt 0x0
	v_add_nc_u32_e32 v6, v7, v6
	s_wait_loadcnt 0x0
	s_barrier_signal -1
	v_cmp_gt_i32_e32 vcc_lo, 0, v8
	s_barrier_wait -1
	global_inv scope:SCOPE_SE
	s_wait_alu 0xfffd
	v_cndmask_b32_e32 v8, v8, v125, vcc_lo
	s_delay_alu instid0(VALU_DEP_1)
	v_lshlrev_b32_e32 v126, 2, v8
	ds_bpermute_b32 v6, v126, v6
	s_and_saveexec_b32 s12, s2
	s_cbranch_execz .LBB1256_99
; %bb.98:                               ;   in Loop: Header=BB1256_17 Depth=1
	s_wait_dscnt 0x0
	v_cndmask_b32_e64 v6, v6, v7, s11
	s_delay_alu instid0(VALU_DEP_1)
	v_add_nc_u32_e32 v6, s33, v6
	ds_store_b32 v78, v6
.LBB1256_99:                            ;   in Loop: Header=BB1256_17 Depth=1
	s_wait_alu 0xfffe
	s_or_b32 exec_lo, exec_lo, s12
	s_clause 0x1
	s_load_b32 s12, s[52:53], 0x4
	s_load_b32 s15, s[52:53], 0xc
	v_cmp_lt_u32_e64 s14, 3, v2
	v_lshlrev_b32_e32 v8, 3, v125
	v_or_b32_e32 v127, v125, v102
	s_mov_b32 s58, s55
                                        ; implicit-def: $vgpr10_vgpr11
                                        ; implicit-def: $vgpr12_vgpr13
                                        ; implicit-def: $vgpr14_vgpr15
                                        ; implicit-def: $vgpr16_vgpr17
                                        ; implicit-def: $vgpr18_vgpr19
                                        ; implicit-def: $vgpr20_vgpr21
                                        ; implicit-def: $vgpr22_vgpr23
                                        ; implicit-def: $vgpr24_vgpr25
                                        ; implicit-def: $vgpr26_vgpr27
                                        ; implicit-def: $vgpr28_vgpr29
                                        ; implicit-def: $vgpr30_vgpr31
                                        ; implicit-def: $vgpr32_vgpr33
                                        ; implicit-def: $vgpr34_vgpr35
                                        ; implicit-def: $vgpr36_vgpr37
                                        ; implicit-def: $vgpr148
                                        ; implicit-def: $vgpr149
                                        ; implicit-def: $vgpr150
                                        ; implicit-def: $vgpr151
                                        ; implicit-def: $vgpr152
                                        ; implicit-def: $vgpr153
                                        ; implicit-def: $vgpr154
                                        ; implicit-def: $vgpr155
                                        ; implicit-def: $vgpr156
                                        ; implicit-def: $vgpr157
                                        ; implicit-def: $vgpr158
                                        ; implicit-def: $vgpr159
                                        ; implicit-def: $vgpr160
                                        ; implicit-def: $vgpr161
                                        ; implicit-def: $vgpr162
                                        ; implicit-def: $vgpr163
	s_delay_alu instid0(VALU_DEP_2)
	v_add_co_u32 v128, vcc_lo, v106, v8
	s_wait_alu 0xfffd
	v_add_co_ci_u32_e64 v129, null, 0, v107, vcc_lo
	v_add_co_u32 v145, vcc_lo, v108, v8
	v_or_b32_e32 v130, 32, v127
	v_or_b32_e32 v131, 64, v127
	v_or_b32_e32 v132, 0x60, v127
	v_or_b32_e32 v133, 0x80, v127
	v_or_b32_e32 v134, 0xa0, v127
	v_or_b32_e32 v135, 0xc0, v127
	s_wait_kmcnt 0x0
	s_cmp_lt_u32 ttmp7, s12
	v_or_b32_e32 v136, 0xe0, v127
	s_cselect_b32 s34, 14, 20
	s_and_b32 s15, s15, 0xffff
	s_wait_alu 0xfffe
	s_add_nc_u64 s[12:13], s[52:53], s[34:35]
	v_or_b32_e32 v137, 0x100, v127
	s_load_u16 s16, s[12:13], 0x0
	v_cmp_eq_u32_e64 s12, 0, v2
	v_cmp_lt_u32_e64 s13, 1, v2
	v_or_b32_e32 v138, 0x120, v127
	v_or_b32_e32 v139, 0x140, v127
	;; [unrolled: 1-line block ×7, first 2 shown]
	v_add_co_ci_u32_e64 v146, null, 0, v109, vcc_lo
	s_mov_b32 s34, s33
                                        ; implicit-def: $vgpr8_vgpr9
	s_wait_kmcnt 0x0
	v_mad_u32_u24 v2, v104, s16, v0
	s_wait_dscnt 0x0
	s_delay_alu instid0(VALU_DEP_1) | instskip(NEXT) | instid1(VALU_DEP_1)
	v_mad_co_u64_u32 v[6:7], null, v2, s15, v[1:2]
	v_lshrrev_b32_e32 v2, 3, v6
                                        ; implicit-def: $vgpr6_vgpr7
	s_delay_alu instid0(VALU_DEP_1)
	v_and_b32_e32 v147, 0x1ffffffc, v2
	s_branch .LBB1256_101
.LBB1256_100:                           ;   in Loop: Header=BB1256_101 Depth=2
	s_wait_alu 0xfffe
	s_or_b32 exec_lo, exec_lo, s15
	s_addk_co_i32 s58, 0xf000
	s_cmp_lt_u32 s59, s51
	s_mov_b32 s34, s59
	s_cbranch_scc0 .LBB1256_309
.LBB1256_101:                           ;   Parent Loop BB1256_17 Depth=1
                                        ; =>  This Inner Loop Header: Depth=2
	s_wait_alu 0xfffe
	s_add_co_i32 s59, s34, 0x1000
	s_wait_alu 0xfffe
	s_cmp_gt_u32 s59, s51
	s_cbranch_scc1 .LBB1256_103
; %bb.102:                              ;   in Loop: Header=BB1256_101 Depth=2
	s_lshl_b64 s[16:17], s[34:35], 3
	s_mov_b32 s15, -1
	s_wait_alu 0xfffe
	v_add_co_u32 v44, vcc_lo, v145, s16
	s_wait_alu 0xfffd
	v_add_co_ci_u32_e64 v45, null, s17, v146, vcc_lo
	s_clause 0xe
	global_load_b64 v[38:39], v[44:45], off
	global_load_b64 v[40:41], v[44:45], off offset:256
	global_load_b64 v[42:43], v[44:45], off offset:512
	global_load_b64 v[48:49], v[44:45], off offset:768
	global_load_b64 v[54:55], v[44:45], off offset:1024
	global_load_b64 v[58:59], v[44:45], off offset:1280
	global_load_b64 v[62:63], v[44:45], off offset:1536
	global_load_b64 v[66:67], v[44:45], off offset:1792
	global_load_b64 v[68:69], v[44:45], off offset:2048
	global_load_b64 v[64:65], v[44:45], off offset:2304
	global_load_b64 v[60:61], v[44:45], off offset:2560
	global_load_b64 v[56:57], v[44:45], off offset:2816
	global_load_b64 v[52:53], v[44:45], off offset:3072
	global_load_b64 v[50:51], v[44:45], off offset:3328
	global_load_b64 v[46:47], v[44:45], off offset:3584
	s_movk_i32 s16, 0x1000
	s_cbranch_execz .LBB1256_104
	s_branch .LBB1256_135
.LBB1256_103:                           ;   in Loop: Header=BB1256_101 Depth=2
	s_mov_b32 s15, 0
                                        ; implicit-def: $vgpr38_vgpr39
                                        ; implicit-def: $vgpr40_vgpr41
                                        ; implicit-def: $vgpr42_vgpr43
                                        ; implicit-def: $vgpr48_vgpr49
                                        ; implicit-def: $vgpr54_vgpr55
                                        ; implicit-def: $vgpr58_vgpr59
                                        ; implicit-def: $vgpr62_vgpr63
                                        ; implicit-def: $vgpr66_vgpr67
                                        ; implicit-def: $vgpr68_vgpr69
                                        ; implicit-def: $vgpr64_vgpr65
                                        ; implicit-def: $vgpr60_vgpr61
                                        ; implicit-def: $vgpr56_vgpr57
                                        ; implicit-def: $vgpr52_vgpr53
                                        ; implicit-def: $vgpr50_vgpr51
                                        ; implicit-def: $vgpr46_vgpr47
	s_movk_i32 s16, 0x1000
.LBB1256_104:                           ;   in Loop: Header=BB1256_101 Depth=2
	s_wait_loadcnt 0xd
	v_dual_mov_b32 v40, v4 :: v_dual_mov_b32 v41, v5
	s_lshl_b64 s[16:17], s[34:35], 3
	s_mov_b32 s15, exec_lo
	s_wait_alu 0xfffe
	v_add_co_u32 v44, vcc_lo, v145, s16
	s_wait_alu 0xfffd
	v_add_co_ci_u32_e64 v45, null, s17, v146, vcc_lo
	v_dual_mov_b32 v38, v40 :: v_dual_mov_b32 v39, v41
	v_cmpx_gt_u32_e64 s58, v127
	s_cbranch_execz .LBB1256_106
; %bb.105:                              ;   in Loop: Header=BB1256_101 Depth=2
	global_load_b64 v[38:39], v[44:45], off
.LBB1256_106:                           ;   in Loop: Header=BB1256_101 Depth=2
	s_or_b32 exec_lo, exec_lo, s15
	s_delay_alu instid0(SALU_CYCLE_1)
	s_mov_b32 s15, exec_lo
	v_cmpx_gt_u32_e64 s58, v130
	s_cbranch_execz .LBB1256_108
; %bb.107:                              ;   in Loop: Header=BB1256_101 Depth=2
	global_load_b64 v[40:41], v[44:45], off offset:256
.LBB1256_108:                           ;   in Loop: Header=BB1256_101 Depth=2
	s_wait_alu 0xfffe
	s_or_b32 exec_lo, exec_lo, s15
	s_wait_loadcnt 0xc
	v_dual_mov_b32 v43, v5 :: v_dual_mov_b32 v42, v4
	s_mov_b32 s15, exec_lo
	v_cmpx_gt_u32_e64 s58, v131
	s_cbranch_execz .LBB1256_110
; %bb.109:                              ;   in Loop: Header=BB1256_101 Depth=2
	global_load_b64 v[42:43], v[44:45], off offset:512
.LBB1256_110:                           ;   in Loop: Header=BB1256_101 Depth=2
	s_wait_alu 0xfffe
	s_or_b32 exec_lo, exec_lo, s15
	s_wait_loadcnt 0xb
	v_dual_mov_b32 v49, v5 :: v_dual_mov_b32 v48, v4
	;; [unrolled: 10-line block ×13, first 2 shown]
	s_mov_b32 s15, exec_lo
	v_cmpx_gt_u32_e64 s58, v143
	s_cbranch_execz .LBB1256_134
; %bb.133:                              ;   in Loop: Header=BB1256_101 Depth=2
	global_load_b64 v[46:47], v[44:45], off offset:3584
.LBB1256_134:                           ;   in Loop: Header=BB1256_101 Depth=2
	s_wait_alu 0xfffe
	s_or_b32 exec_lo, exec_lo, s15
	v_cmp_gt_u32_e64 s15, s58, v144
	s_sub_co_i32 s16, s51, s34
.LBB1256_135:                           ;   in Loop: Header=BB1256_101 Depth=2
	v_dual_mov_b32 v164, s58 :: v_dual_mov_b32 v45, v5
	v_mov_b32_e32 v44, v4
	s_and_saveexec_b32 s17, s15
	s_cbranch_execz .LBB1256_137
; %bb.136:                              ;   in Loop: Header=BB1256_101 Depth=2
	s_lshl_b64 s[18:19], s[34:35], 3
	s_wait_alu 0xfffe
	v_mov_b32_e32 v164, s16
	v_add_co_u32 v44, vcc_lo, v145, s18
	s_wait_alu 0xfffd
	v_add_co_ci_u32_e64 v45, null, s19, v146, vcc_lo
	global_load_b64 v[44:45], v[44:45], off offset:3840
.LBB1256_137:                           ;   in Loop: Header=BB1256_101 Depth=2
	s_wait_alu 0xfffe
	s_or_b32 exec_lo, exec_lo, s17
	s_wait_loadcnt 0xe
	v_cmp_lt_i64_e32 vcc_lo, -1, v[38:39]
	v_ashrrev_i32_e32 v70, 31, v39
	v_add_nc_u32_e32 v166, 0x420, v103
	v_add_nc_u32_e32 v167, 0x428, v103
	;; [unrolled: 1-line block ×3, first 2 shown]
	s_delay_alu instid0(VALU_DEP_4) | instskip(SKIP_2) | instid1(VALU_DEP_1)
	v_xor_b32_e32 v38, v70, v38
	s_wait_alu 0xfffd
	v_cndmask_b32_e64 v2, -1, 0x80000000, vcc_lo
	v_xor_b32_e32 v39, v2, v39
	s_delay_alu instid0(VALU_DEP_1) | instskip(SKIP_3) | instid1(VALU_DEP_1)
	v_cmp_ne_u64_e32 vcc_lo, s[42:43], v[38:39]
	s_wait_alu 0xfffd
	v_cndmask_b32_e32 v71, 0x80000000, v39, vcc_lo
	v_cndmask_b32_e32 v70, 0, v38, vcc_lo
	v_lshrrev_b64 v[70:71], s48, v[70:71]
	s_delay_alu instid0(VALU_DEP_1) | instskip(NEXT) | instid1(VALU_DEP_1)
	v_and_b32_e32 v71, s57, v70
	v_and_b32_e32 v2, 1, v71
	v_lshlrev_b32_e32 v70, 30, v71
	v_lshlrev_b32_e32 v72, 29, v71
	;; [unrolled: 1-line block ×4, first 2 shown]
	v_add_co_u32 v2, s15, v2, -1
	s_wait_alu 0xf1ff
	v_cndmask_b32_e64 v74, 0, 1, s15
	v_not_b32_e32 v165, v70
	v_cmp_gt_i32_e64 s15, 0, v70
	v_not_b32_e32 v70, v72
	v_lshlrev_b32_e32 v76, 26, v71
	v_cmp_ne_u32_e32 vcc_lo, 0, v74
	v_ashrrev_i32_e32 v165, 31, v165
	v_lshlrev_b32_e32 v77, 25, v71
	v_ashrrev_i32_e32 v70, 31, v70
	v_lshlrev_b32_e32 v74, 24, v71
	s_wait_alu 0xfffd
	v_xor_b32_e32 v2, vcc_lo, v2
	v_cmp_gt_i32_e32 vcc_lo, 0, v72
	v_not_b32_e32 v72, v73
	s_wait_alu 0xf1ff
	v_xor_b32_e32 v165, s15, v165
	v_cmp_gt_i32_e64 s15, 0, v73
	v_and_b32_e32 v2, exec_lo, v2
	v_not_b32_e32 v73, v75
	v_ashrrev_i32_e32 v72, 31, v72
	s_wait_alu 0xfffd
	v_xor_b32_e32 v70, vcc_lo, v70
	v_cmp_gt_i32_e32 vcc_lo, 0, v75
	v_and_b32_e32 v2, v2, v165
	v_not_b32_e32 v75, v76
	v_ashrrev_i32_e32 v73, 31, v73
	s_wait_alu 0xf1ff
	v_xor_b32_e32 v72, s15, v72
	v_cmp_gt_i32_e64 s15, 0, v76
	v_and_b32_e32 v2, v2, v70
	v_not_b32_e32 v70, v77
	v_ashrrev_i32_e32 v75, 31, v75
	s_wait_alu 0xfffd
	v_xor_b32_e32 v73, vcc_lo, v73
	v_cmp_gt_i32_e32 vcc_lo, 0, v77
	v_and_b32_e32 v2, v2, v72
	v_not_b32_e32 v72, v74
	v_ashrrev_i32_e32 v70, 31, v70
	s_wait_alu 0xf1ff
	v_xor_b32_e32 v75, s15, v75
	v_cmp_gt_i32_e64 s15, 0, v74
	v_and_b32_e32 v2, v2, v73
	v_ashrrev_i32_e32 v72, 31, v72
	s_wait_alu 0xfffd
	v_xor_b32_e32 v70, vcc_lo, v70
	v_mul_u32_u24_e32 v71, 36, v71
	v_add_nc_u32_e32 v165, 0x438, v103
	v_and_b32_e32 v2, v2, v75
	s_wait_alu 0xf1ff
	v_xor_b32_e32 v72, s15, v72
	v_add_nc_u32_e32 v169, v147, v71
	ds_store_2addr_b32 v165, v3, v3 offset1:1
	v_and_b32_e32 v2, v2, v70
	ds_store_2addr_b32 v166, v3, v3 offset1:1
	ds_store_2addr_b32 v167, v3, v3 offset1:1
	;; [unrolled: 1-line block ×3, first 2 shown]
	ds_store_b32 v103, v3 offset:1088
	s_wait_loadcnt_dscnt 0x0
	s_barrier_signal -1
	s_barrier_wait -1
	v_and_b32_e32 v70, v2, v72
	global_inv scope:SCOPE_SE
	; wave barrier
	v_mbcnt_lo_u32_b32 v2, v70, 0
	v_cmp_ne_u32_e64 s15, 0, v70
	s_delay_alu instid0(VALU_DEP_2)
	v_cmp_eq_u32_e32 vcc_lo, 0, v2
	s_and_b32 s16, s15, vcc_lo
	s_wait_alu 0xfffe
	s_and_saveexec_b32 s15, s16
; %bb.138:                              ;   in Loop: Header=BB1256_101 Depth=2
	v_bcnt_u32_b32 v70, v70, 0
	ds_store_b32 v169, v70 offset:1056
; %bb.139:                              ;   in Loop: Header=BB1256_101 Depth=2
	s_wait_alu 0xfffe
	s_or_b32 exec_lo, exec_lo, s15
	v_cmp_lt_i64_e32 vcc_lo, -1, v[40:41]
	v_ashrrev_i32_e32 v71, 31, v41
	; wave barrier
	s_delay_alu instid0(VALU_DEP_1) | instskip(SKIP_2) | instid1(VALU_DEP_1)
	v_xor_b32_e32 v40, v71, v40
	s_wait_alu 0xfffd
	v_cndmask_b32_e64 v70, -1, 0x80000000, vcc_lo
	v_xor_b32_e32 v41, v70, v41
	s_delay_alu instid0(VALU_DEP_1) | instskip(SKIP_3) | instid1(VALU_DEP_1)
	v_cmp_ne_u64_e32 vcc_lo, s[42:43], v[40:41]
	s_wait_alu 0xfffd
	v_cndmask_b32_e32 v71, 0x80000000, v41, vcc_lo
	v_cndmask_b32_e32 v70, 0, v40, vcc_lo
	v_lshrrev_b64 v[70:71], s48, v[70:71]
	s_delay_alu instid0(VALU_DEP_1) | instskip(NEXT) | instid1(VALU_DEP_1)
	v_and_b32_e32 v71, s57, v70
	v_and_b32_e32 v70, 1, v71
	v_lshlrev_b32_e32 v72, 30, v71
	v_lshlrev_b32_e32 v73, 29, v71
	;; [unrolled: 1-line block ×4, first 2 shown]
	v_add_co_u32 v70, s15, v70, -1
	s_wait_alu 0xf1ff
	v_cndmask_b32_e64 v75, 0, 1, s15
	v_not_b32_e32 v171, v72
	v_cmp_gt_i32_e64 s15, 0, v72
	v_not_b32_e32 v72, v73
	v_lshlrev_b32_e32 v77, 26, v71
	v_cmp_ne_u32_e32 vcc_lo, 0, v75
	v_ashrrev_i32_e32 v171, 31, v171
	v_lshlrev_b32_e32 v170, 25, v71
	v_ashrrev_i32_e32 v72, 31, v72
	v_lshlrev_b32_e32 v75, 24, v71
	s_wait_alu 0xfffd
	v_xor_b32_e32 v70, vcc_lo, v70
	v_cmp_gt_i32_e32 vcc_lo, 0, v73
	v_not_b32_e32 v73, v74
	s_wait_alu 0xf1ff
	v_xor_b32_e32 v171, s15, v171
	v_cmp_gt_i32_e64 s15, 0, v74
	v_and_b32_e32 v70, exec_lo, v70
	v_not_b32_e32 v74, v76
	v_ashrrev_i32_e32 v73, 31, v73
	s_wait_alu 0xfffd
	v_xor_b32_e32 v72, vcc_lo, v72
	v_cmp_gt_i32_e32 vcc_lo, 0, v76
	v_and_b32_e32 v70, v70, v171
	v_not_b32_e32 v76, v77
	v_ashrrev_i32_e32 v74, 31, v74
	s_wait_alu 0xf1ff
	v_xor_b32_e32 v73, s15, v73
	v_cmp_gt_i32_e64 s15, 0, v77
	v_and_b32_e32 v70, v70, v72
	v_not_b32_e32 v72, v170
	v_ashrrev_i32_e32 v76, 31, v76
	s_wait_alu 0xfffd
	v_xor_b32_e32 v74, vcc_lo, v74
	v_cmp_gt_i32_e32 vcc_lo, 0, v170
	v_and_b32_e32 v70, v70, v73
	v_not_b32_e32 v73, v75
	v_ashrrev_i32_e32 v72, 31, v72
	s_wait_alu 0xf1ff
	v_xor_b32_e32 v76, s15, v76
	v_cmp_gt_i32_e64 s15, 0, v75
	v_and_b32_e32 v70, v70, v74
	v_ashrrev_i32_e32 v73, 31, v73
	s_wait_alu 0xfffd
	v_xor_b32_e32 v72, vcc_lo, v72
	v_mad_u32_u24 v74, v71, 36, v147
	v_mul_u32_u24_e32 v71, 36, v71
	v_and_b32_e32 v70, v70, v76
	s_wait_alu 0xf1ff
	v_xor_b32_e32 v73, s15, v73
	ds_load_b32 v170, v74 offset:1056
	v_add_nc_u32_e32 v172, v147, v71
	v_and_b32_e32 v70, v70, v72
	; wave barrier
	s_delay_alu instid0(VALU_DEP_1) | instskip(NEXT) | instid1(VALU_DEP_1)
	v_and_b32_e32 v70, v70, v73
	v_mbcnt_lo_u32_b32 v171, v70, 0
	v_cmp_ne_u32_e64 s15, 0, v70
	s_delay_alu instid0(VALU_DEP_2)
	v_cmp_eq_u32_e32 vcc_lo, 0, v171
	s_and_b32 s16, s15, vcc_lo
	s_wait_alu 0xfffe
	s_and_saveexec_b32 s15, s16
	s_cbranch_execz .LBB1256_141
; %bb.140:                              ;   in Loop: Header=BB1256_101 Depth=2
	s_wait_dscnt 0x0
	v_bcnt_u32_b32 v70, v70, v170
	ds_store_b32 v172, v70 offset:1056
.LBB1256_141:                           ;   in Loop: Header=BB1256_101 Depth=2
	s_wait_alu 0xfffe
	s_or_b32 exec_lo, exec_lo, s15
	v_cmp_lt_i64_e32 vcc_lo, -1, v[42:43]
	v_ashrrev_i32_e32 v71, 31, v43
	; wave barrier
	s_delay_alu instid0(VALU_DEP_1) | instskip(SKIP_2) | instid1(VALU_DEP_1)
	v_xor_b32_e32 v42, v71, v42
	s_wait_alu 0xfffd
	v_cndmask_b32_e64 v70, -1, 0x80000000, vcc_lo
	v_xor_b32_e32 v43, v70, v43
	s_delay_alu instid0(VALU_DEP_1) | instskip(SKIP_3) | instid1(VALU_DEP_1)
	v_cmp_ne_u64_e32 vcc_lo, s[42:43], v[42:43]
	s_wait_alu 0xfffd
	v_cndmask_b32_e32 v71, 0x80000000, v43, vcc_lo
	v_cndmask_b32_e32 v70, 0, v42, vcc_lo
	v_lshrrev_b64 v[70:71], s48, v[70:71]
	s_delay_alu instid0(VALU_DEP_1) | instskip(NEXT) | instid1(VALU_DEP_1)
	v_and_b32_e32 v71, s57, v70
	v_and_b32_e32 v70, 1, v71
	v_lshlrev_b32_e32 v72, 30, v71
	v_lshlrev_b32_e32 v73, 29, v71
	v_lshlrev_b32_e32 v74, 28, v71
	v_lshlrev_b32_e32 v76, 27, v71
	v_add_co_u32 v70, s15, v70, -1
	s_wait_alu 0xf1ff
	v_cndmask_b32_e64 v75, 0, 1, s15
	v_not_b32_e32 v174, v72
	v_cmp_gt_i32_e64 s15, 0, v72
	v_not_b32_e32 v72, v73
	v_lshlrev_b32_e32 v77, 26, v71
	v_cmp_ne_u32_e32 vcc_lo, 0, v75
	v_ashrrev_i32_e32 v174, 31, v174
	v_lshlrev_b32_e32 v173, 25, v71
	v_ashrrev_i32_e32 v72, 31, v72
	v_lshlrev_b32_e32 v75, 24, v71
	s_wait_alu 0xfffd
	v_xor_b32_e32 v70, vcc_lo, v70
	v_cmp_gt_i32_e32 vcc_lo, 0, v73
	v_not_b32_e32 v73, v74
	s_wait_alu 0xf1ff
	v_xor_b32_e32 v174, s15, v174
	v_cmp_gt_i32_e64 s15, 0, v74
	v_and_b32_e32 v70, exec_lo, v70
	v_not_b32_e32 v74, v76
	v_ashrrev_i32_e32 v73, 31, v73
	s_wait_alu 0xfffd
	v_xor_b32_e32 v72, vcc_lo, v72
	v_cmp_gt_i32_e32 vcc_lo, 0, v76
	v_and_b32_e32 v70, v70, v174
	v_not_b32_e32 v76, v77
	v_ashrrev_i32_e32 v74, 31, v74
	s_wait_alu 0xf1ff
	v_xor_b32_e32 v73, s15, v73
	v_cmp_gt_i32_e64 s15, 0, v77
	v_and_b32_e32 v70, v70, v72
	v_not_b32_e32 v72, v173
	v_ashrrev_i32_e32 v76, 31, v76
	s_wait_alu 0xfffd
	v_xor_b32_e32 v74, vcc_lo, v74
	v_cmp_gt_i32_e32 vcc_lo, 0, v173
	v_and_b32_e32 v70, v70, v73
	v_not_b32_e32 v73, v75
	v_ashrrev_i32_e32 v72, 31, v72
	s_wait_alu 0xf1ff
	v_xor_b32_e32 v76, s15, v76
	v_cmp_gt_i32_e64 s15, 0, v75
	v_and_b32_e32 v70, v70, v74
	v_ashrrev_i32_e32 v73, 31, v73
	s_wait_alu 0xfffd
	v_xor_b32_e32 v72, vcc_lo, v72
	v_mad_u32_u24 v74, v71, 36, v147
	v_mul_u32_u24_e32 v71, 36, v71
	v_and_b32_e32 v70, v70, v76
	s_wait_alu 0xf1ff
	v_xor_b32_e32 v73, s15, v73
	ds_load_b32 v173, v74 offset:1056
	v_add_nc_u32_e32 v175, v147, v71
	v_and_b32_e32 v70, v70, v72
	; wave barrier
	s_delay_alu instid0(VALU_DEP_1) | instskip(NEXT) | instid1(VALU_DEP_1)
	v_and_b32_e32 v70, v70, v73
	v_mbcnt_lo_u32_b32 v174, v70, 0
	v_cmp_ne_u32_e64 s15, 0, v70
	s_delay_alu instid0(VALU_DEP_2)
	v_cmp_eq_u32_e32 vcc_lo, 0, v174
	s_and_b32 s16, s15, vcc_lo
	s_wait_alu 0xfffe
	s_and_saveexec_b32 s15, s16
	s_cbranch_execz .LBB1256_143
; %bb.142:                              ;   in Loop: Header=BB1256_101 Depth=2
	s_wait_dscnt 0x0
	v_bcnt_u32_b32 v70, v70, v173
	ds_store_b32 v175, v70 offset:1056
.LBB1256_143:                           ;   in Loop: Header=BB1256_101 Depth=2
	s_wait_alu 0xfffe
	s_or_b32 exec_lo, exec_lo, s15
	v_cmp_lt_i64_e32 vcc_lo, -1, v[48:49]
	v_ashrrev_i32_e32 v71, 31, v49
	; wave barrier
	s_delay_alu instid0(VALU_DEP_1) | instskip(SKIP_2) | instid1(VALU_DEP_1)
	v_xor_b32_e32 v48, v71, v48
	s_wait_alu 0xfffd
	v_cndmask_b32_e64 v70, -1, 0x80000000, vcc_lo
	v_xor_b32_e32 v49, v70, v49
	s_delay_alu instid0(VALU_DEP_1) | instskip(SKIP_3) | instid1(VALU_DEP_1)
	v_cmp_ne_u64_e32 vcc_lo, s[42:43], v[48:49]
	s_wait_alu 0xfffd
	v_cndmask_b32_e32 v71, 0x80000000, v49, vcc_lo
	v_cndmask_b32_e32 v70, 0, v48, vcc_lo
	v_lshrrev_b64 v[70:71], s48, v[70:71]
	s_delay_alu instid0(VALU_DEP_1) | instskip(NEXT) | instid1(VALU_DEP_1)
	v_and_b32_e32 v71, s57, v70
	v_and_b32_e32 v70, 1, v71
	v_lshlrev_b32_e32 v72, 30, v71
	v_lshlrev_b32_e32 v73, 29, v71
	;; [unrolled: 1-line block ×4, first 2 shown]
	v_add_co_u32 v70, s15, v70, -1
	s_wait_alu 0xf1ff
	v_cndmask_b32_e64 v75, 0, 1, s15
	v_not_b32_e32 v177, v72
	v_cmp_gt_i32_e64 s15, 0, v72
	v_not_b32_e32 v72, v73
	v_lshlrev_b32_e32 v77, 26, v71
	v_cmp_ne_u32_e32 vcc_lo, 0, v75
	v_ashrrev_i32_e32 v177, 31, v177
	v_lshlrev_b32_e32 v176, 25, v71
	v_ashrrev_i32_e32 v72, 31, v72
	v_lshlrev_b32_e32 v75, 24, v71
	s_wait_alu 0xfffd
	v_xor_b32_e32 v70, vcc_lo, v70
	v_cmp_gt_i32_e32 vcc_lo, 0, v73
	v_not_b32_e32 v73, v74
	s_wait_alu 0xf1ff
	v_xor_b32_e32 v177, s15, v177
	v_cmp_gt_i32_e64 s15, 0, v74
	v_and_b32_e32 v70, exec_lo, v70
	v_not_b32_e32 v74, v76
	v_ashrrev_i32_e32 v73, 31, v73
	s_wait_alu 0xfffd
	v_xor_b32_e32 v72, vcc_lo, v72
	v_cmp_gt_i32_e32 vcc_lo, 0, v76
	v_and_b32_e32 v70, v70, v177
	v_not_b32_e32 v76, v77
	v_ashrrev_i32_e32 v74, 31, v74
	s_wait_alu 0xf1ff
	v_xor_b32_e32 v73, s15, v73
	v_cmp_gt_i32_e64 s15, 0, v77
	v_and_b32_e32 v70, v70, v72
	v_not_b32_e32 v72, v176
	v_ashrrev_i32_e32 v76, 31, v76
	s_wait_alu 0xfffd
	v_xor_b32_e32 v74, vcc_lo, v74
	v_cmp_gt_i32_e32 vcc_lo, 0, v176
	v_and_b32_e32 v70, v70, v73
	v_not_b32_e32 v73, v75
	v_ashrrev_i32_e32 v72, 31, v72
	s_wait_alu 0xf1ff
	v_xor_b32_e32 v76, s15, v76
	v_cmp_gt_i32_e64 s15, 0, v75
	v_and_b32_e32 v70, v70, v74
	v_ashrrev_i32_e32 v73, 31, v73
	s_wait_alu 0xfffd
	v_xor_b32_e32 v72, vcc_lo, v72
	v_mad_u32_u24 v74, v71, 36, v147
	v_mul_u32_u24_e32 v71, 36, v71
	v_and_b32_e32 v70, v70, v76
	s_wait_alu 0xf1ff
	v_xor_b32_e32 v73, s15, v73
	ds_load_b32 v176, v74 offset:1056
	v_add_nc_u32_e32 v178, v147, v71
	v_and_b32_e32 v70, v70, v72
	; wave barrier
	s_delay_alu instid0(VALU_DEP_1) | instskip(NEXT) | instid1(VALU_DEP_1)
	v_and_b32_e32 v70, v70, v73
	v_mbcnt_lo_u32_b32 v177, v70, 0
	v_cmp_ne_u32_e64 s15, 0, v70
	s_delay_alu instid0(VALU_DEP_2)
	v_cmp_eq_u32_e32 vcc_lo, 0, v177
	s_and_b32 s16, s15, vcc_lo
	s_wait_alu 0xfffe
	s_and_saveexec_b32 s15, s16
	s_cbranch_execz .LBB1256_145
; %bb.144:                              ;   in Loop: Header=BB1256_101 Depth=2
	s_wait_dscnt 0x0
	v_bcnt_u32_b32 v70, v70, v176
	ds_store_b32 v178, v70 offset:1056
.LBB1256_145:                           ;   in Loop: Header=BB1256_101 Depth=2
	s_wait_alu 0xfffe
	s_or_b32 exec_lo, exec_lo, s15
	v_cmp_lt_i64_e32 vcc_lo, -1, v[54:55]
	v_ashrrev_i32_e32 v71, 31, v55
	; wave barrier
	s_delay_alu instid0(VALU_DEP_1) | instskip(SKIP_2) | instid1(VALU_DEP_1)
	v_xor_b32_e32 v54, v71, v54
	s_wait_alu 0xfffd
	v_cndmask_b32_e64 v70, -1, 0x80000000, vcc_lo
	v_xor_b32_e32 v55, v70, v55
	s_delay_alu instid0(VALU_DEP_1) | instskip(SKIP_3) | instid1(VALU_DEP_1)
	v_cmp_ne_u64_e32 vcc_lo, s[42:43], v[54:55]
	s_wait_alu 0xfffd
	v_cndmask_b32_e32 v71, 0x80000000, v55, vcc_lo
	v_cndmask_b32_e32 v70, 0, v54, vcc_lo
	v_lshrrev_b64 v[70:71], s48, v[70:71]
	s_delay_alu instid0(VALU_DEP_1) | instskip(NEXT) | instid1(VALU_DEP_1)
	v_and_b32_e32 v71, s57, v70
	v_and_b32_e32 v70, 1, v71
	v_lshlrev_b32_e32 v72, 30, v71
	v_lshlrev_b32_e32 v73, 29, v71
	;; [unrolled: 1-line block ×4, first 2 shown]
	v_add_co_u32 v70, s15, v70, -1
	s_wait_alu 0xf1ff
	v_cndmask_b32_e64 v75, 0, 1, s15
	v_not_b32_e32 v180, v72
	v_cmp_gt_i32_e64 s15, 0, v72
	v_not_b32_e32 v72, v73
	v_lshlrev_b32_e32 v77, 26, v71
	v_cmp_ne_u32_e32 vcc_lo, 0, v75
	v_ashrrev_i32_e32 v180, 31, v180
	v_lshlrev_b32_e32 v179, 25, v71
	v_ashrrev_i32_e32 v72, 31, v72
	v_lshlrev_b32_e32 v75, 24, v71
	s_wait_alu 0xfffd
	v_xor_b32_e32 v70, vcc_lo, v70
	v_cmp_gt_i32_e32 vcc_lo, 0, v73
	v_not_b32_e32 v73, v74
	s_wait_alu 0xf1ff
	v_xor_b32_e32 v180, s15, v180
	v_cmp_gt_i32_e64 s15, 0, v74
	v_and_b32_e32 v70, exec_lo, v70
	v_not_b32_e32 v74, v76
	v_ashrrev_i32_e32 v73, 31, v73
	s_wait_alu 0xfffd
	v_xor_b32_e32 v72, vcc_lo, v72
	v_cmp_gt_i32_e32 vcc_lo, 0, v76
	v_and_b32_e32 v70, v70, v180
	v_not_b32_e32 v76, v77
	v_ashrrev_i32_e32 v74, 31, v74
	s_wait_alu 0xf1ff
	v_xor_b32_e32 v73, s15, v73
	v_cmp_gt_i32_e64 s15, 0, v77
	v_and_b32_e32 v70, v70, v72
	v_not_b32_e32 v72, v179
	v_ashrrev_i32_e32 v76, 31, v76
	s_wait_alu 0xfffd
	v_xor_b32_e32 v74, vcc_lo, v74
	v_cmp_gt_i32_e32 vcc_lo, 0, v179
	v_and_b32_e32 v70, v70, v73
	v_not_b32_e32 v73, v75
	v_ashrrev_i32_e32 v72, 31, v72
	s_wait_alu 0xf1ff
	v_xor_b32_e32 v76, s15, v76
	v_cmp_gt_i32_e64 s15, 0, v75
	v_and_b32_e32 v70, v70, v74
	v_ashrrev_i32_e32 v73, 31, v73
	s_wait_alu 0xfffd
	v_xor_b32_e32 v72, vcc_lo, v72
	v_mad_u32_u24 v74, v71, 36, v147
	v_mul_u32_u24_e32 v71, 36, v71
	v_and_b32_e32 v70, v70, v76
	s_wait_alu 0xf1ff
	v_xor_b32_e32 v73, s15, v73
	ds_load_b32 v179, v74 offset:1056
	v_add_nc_u32_e32 v181, v147, v71
	v_and_b32_e32 v70, v70, v72
	; wave barrier
	s_delay_alu instid0(VALU_DEP_1) | instskip(NEXT) | instid1(VALU_DEP_1)
	v_and_b32_e32 v70, v70, v73
	v_mbcnt_lo_u32_b32 v180, v70, 0
	v_cmp_ne_u32_e64 s15, 0, v70
	s_delay_alu instid0(VALU_DEP_2)
	v_cmp_eq_u32_e32 vcc_lo, 0, v180
	s_and_b32 s16, s15, vcc_lo
	s_wait_alu 0xfffe
	s_and_saveexec_b32 s15, s16
	s_cbranch_execz .LBB1256_147
; %bb.146:                              ;   in Loop: Header=BB1256_101 Depth=2
	s_wait_dscnt 0x0
	v_bcnt_u32_b32 v70, v70, v179
	ds_store_b32 v181, v70 offset:1056
.LBB1256_147:                           ;   in Loop: Header=BB1256_101 Depth=2
	s_wait_alu 0xfffe
	s_or_b32 exec_lo, exec_lo, s15
	v_cmp_lt_i64_e32 vcc_lo, -1, v[58:59]
	v_ashrrev_i32_e32 v71, 31, v59
	; wave barrier
	s_delay_alu instid0(VALU_DEP_1) | instskip(SKIP_2) | instid1(VALU_DEP_1)
	v_xor_b32_e32 v58, v71, v58
	s_wait_alu 0xfffd
	v_cndmask_b32_e64 v70, -1, 0x80000000, vcc_lo
	v_xor_b32_e32 v59, v70, v59
	s_delay_alu instid0(VALU_DEP_1) | instskip(SKIP_3) | instid1(VALU_DEP_1)
	v_cmp_ne_u64_e32 vcc_lo, s[42:43], v[58:59]
	s_wait_alu 0xfffd
	v_cndmask_b32_e32 v71, 0x80000000, v59, vcc_lo
	v_cndmask_b32_e32 v70, 0, v58, vcc_lo
	v_lshrrev_b64 v[70:71], s48, v[70:71]
	s_delay_alu instid0(VALU_DEP_1) | instskip(NEXT) | instid1(VALU_DEP_1)
	v_and_b32_e32 v71, s57, v70
	v_and_b32_e32 v70, 1, v71
	v_lshlrev_b32_e32 v72, 30, v71
	v_lshlrev_b32_e32 v73, 29, v71
	;; [unrolled: 1-line block ×4, first 2 shown]
	v_add_co_u32 v70, s15, v70, -1
	s_wait_alu 0xf1ff
	v_cndmask_b32_e64 v75, 0, 1, s15
	v_not_b32_e32 v183, v72
	v_cmp_gt_i32_e64 s15, 0, v72
	v_not_b32_e32 v72, v73
	v_lshlrev_b32_e32 v77, 26, v71
	v_cmp_ne_u32_e32 vcc_lo, 0, v75
	v_ashrrev_i32_e32 v183, 31, v183
	v_lshlrev_b32_e32 v182, 25, v71
	v_ashrrev_i32_e32 v72, 31, v72
	v_lshlrev_b32_e32 v75, 24, v71
	s_wait_alu 0xfffd
	v_xor_b32_e32 v70, vcc_lo, v70
	v_cmp_gt_i32_e32 vcc_lo, 0, v73
	v_not_b32_e32 v73, v74
	s_wait_alu 0xf1ff
	v_xor_b32_e32 v183, s15, v183
	v_cmp_gt_i32_e64 s15, 0, v74
	v_and_b32_e32 v70, exec_lo, v70
	v_not_b32_e32 v74, v76
	v_ashrrev_i32_e32 v73, 31, v73
	s_wait_alu 0xfffd
	v_xor_b32_e32 v72, vcc_lo, v72
	v_cmp_gt_i32_e32 vcc_lo, 0, v76
	v_and_b32_e32 v70, v70, v183
	v_not_b32_e32 v76, v77
	v_ashrrev_i32_e32 v74, 31, v74
	s_wait_alu 0xf1ff
	v_xor_b32_e32 v73, s15, v73
	v_cmp_gt_i32_e64 s15, 0, v77
	v_and_b32_e32 v70, v70, v72
	v_not_b32_e32 v72, v182
	v_ashrrev_i32_e32 v76, 31, v76
	s_wait_alu 0xfffd
	v_xor_b32_e32 v74, vcc_lo, v74
	v_cmp_gt_i32_e32 vcc_lo, 0, v182
	v_and_b32_e32 v70, v70, v73
	v_not_b32_e32 v73, v75
	v_ashrrev_i32_e32 v72, 31, v72
	s_wait_alu 0xf1ff
	v_xor_b32_e32 v76, s15, v76
	v_cmp_gt_i32_e64 s15, 0, v75
	v_and_b32_e32 v70, v70, v74
	v_ashrrev_i32_e32 v73, 31, v73
	s_wait_alu 0xfffd
	v_xor_b32_e32 v72, vcc_lo, v72
	v_mad_u32_u24 v74, v71, 36, v147
	v_mul_u32_u24_e32 v71, 36, v71
	v_and_b32_e32 v70, v70, v76
	s_wait_alu 0xf1ff
	v_xor_b32_e32 v73, s15, v73
	ds_load_b32 v182, v74 offset:1056
	v_add_nc_u32_e32 v184, v147, v71
	v_and_b32_e32 v70, v70, v72
	; wave barrier
	s_delay_alu instid0(VALU_DEP_1) | instskip(NEXT) | instid1(VALU_DEP_1)
	v_and_b32_e32 v70, v70, v73
	v_mbcnt_lo_u32_b32 v183, v70, 0
	v_cmp_ne_u32_e64 s15, 0, v70
	s_delay_alu instid0(VALU_DEP_2)
	v_cmp_eq_u32_e32 vcc_lo, 0, v183
	s_and_b32 s16, s15, vcc_lo
	s_wait_alu 0xfffe
	s_and_saveexec_b32 s15, s16
	s_cbranch_execz .LBB1256_149
; %bb.148:                              ;   in Loop: Header=BB1256_101 Depth=2
	s_wait_dscnt 0x0
	v_bcnt_u32_b32 v70, v70, v182
	ds_store_b32 v184, v70 offset:1056
.LBB1256_149:                           ;   in Loop: Header=BB1256_101 Depth=2
	s_wait_alu 0xfffe
	s_or_b32 exec_lo, exec_lo, s15
	v_cmp_lt_i64_e32 vcc_lo, -1, v[62:63]
	v_ashrrev_i32_e32 v71, 31, v63
	; wave barrier
	s_delay_alu instid0(VALU_DEP_1) | instskip(SKIP_2) | instid1(VALU_DEP_1)
	v_xor_b32_e32 v62, v71, v62
	s_wait_alu 0xfffd
	v_cndmask_b32_e64 v70, -1, 0x80000000, vcc_lo
	v_xor_b32_e32 v63, v70, v63
	s_delay_alu instid0(VALU_DEP_1) | instskip(SKIP_3) | instid1(VALU_DEP_1)
	v_cmp_ne_u64_e32 vcc_lo, s[42:43], v[62:63]
	s_wait_alu 0xfffd
	v_cndmask_b32_e32 v71, 0x80000000, v63, vcc_lo
	v_cndmask_b32_e32 v70, 0, v62, vcc_lo
	v_lshrrev_b64 v[70:71], s48, v[70:71]
	s_delay_alu instid0(VALU_DEP_1) | instskip(NEXT) | instid1(VALU_DEP_1)
	v_and_b32_e32 v71, s57, v70
	v_and_b32_e32 v70, 1, v71
	v_lshlrev_b32_e32 v72, 30, v71
	v_lshlrev_b32_e32 v73, 29, v71
	;; [unrolled: 1-line block ×4, first 2 shown]
	v_add_co_u32 v70, s15, v70, -1
	s_wait_alu 0xf1ff
	v_cndmask_b32_e64 v75, 0, 1, s15
	v_not_b32_e32 v186, v72
	v_cmp_gt_i32_e64 s15, 0, v72
	v_not_b32_e32 v72, v73
	v_lshlrev_b32_e32 v77, 26, v71
	v_cmp_ne_u32_e32 vcc_lo, 0, v75
	v_ashrrev_i32_e32 v186, 31, v186
	v_lshlrev_b32_e32 v185, 25, v71
	v_ashrrev_i32_e32 v72, 31, v72
	v_lshlrev_b32_e32 v75, 24, v71
	s_wait_alu 0xfffd
	v_xor_b32_e32 v70, vcc_lo, v70
	v_cmp_gt_i32_e32 vcc_lo, 0, v73
	v_not_b32_e32 v73, v74
	s_wait_alu 0xf1ff
	v_xor_b32_e32 v186, s15, v186
	v_cmp_gt_i32_e64 s15, 0, v74
	v_and_b32_e32 v70, exec_lo, v70
	v_not_b32_e32 v74, v76
	v_ashrrev_i32_e32 v73, 31, v73
	s_wait_alu 0xfffd
	v_xor_b32_e32 v72, vcc_lo, v72
	v_cmp_gt_i32_e32 vcc_lo, 0, v76
	v_and_b32_e32 v70, v70, v186
	v_not_b32_e32 v76, v77
	v_ashrrev_i32_e32 v74, 31, v74
	s_wait_alu 0xf1ff
	v_xor_b32_e32 v73, s15, v73
	v_cmp_gt_i32_e64 s15, 0, v77
	v_and_b32_e32 v70, v70, v72
	v_not_b32_e32 v72, v185
	v_ashrrev_i32_e32 v76, 31, v76
	s_wait_alu 0xfffd
	v_xor_b32_e32 v74, vcc_lo, v74
	v_cmp_gt_i32_e32 vcc_lo, 0, v185
	v_and_b32_e32 v70, v70, v73
	v_not_b32_e32 v73, v75
	v_ashrrev_i32_e32 v72, 31, v72
	s_wait_alu 0xf1ff
	v_xor_b32_e32 v76, s15, v76
	v_cmp_gt_i32_e64 s15, 0, v75
	v_and_b32_e32 v70, v70, v74
	v_ashrrev_i32_e32 v73, 31, v73
	s_wait_alu 0xfffd
	v_xor_b32_e32 v72, vcc_lo, v72
	v_mad_u32_u24 v74, v71, 36, v147
	v_mul_u32_u24_e32 v71, 36, v71
	v_and_b32_e32 v70, v70, v76
	s_wait_alu 0xf1ff
	v_xor_b32_e32 v73, s15, v73
	ds_load_b32 v185, v74 offset:1056
	v_add_nc_u32_e32 v187, v147, v71
	v_and_b32_e32 v70, v70, v72
	; wave barrier
	s_delay_alu instid0(VALU_DEP_1) | instskip(NEXT) | instid1(VALU_DEP_1)
	v_and_b32_e32 v70, v70, v73
	v_mbcnt_lo_u32_b32 v186, v70, 0
	v_cmp_ne_u32_e64 s15, 0, v70
	s_delay_alu instid0(VALU_DEP_2)
	v_cmp_eq_u32_e32 vcc_lo, 0, v186
	s_and_b32 s16, s15, vcc_lo
	s_wait_alu 0xfffe
	s_and_saveexec_b32 s15, s16
	s_cbranch_execz .LBB1256_151
; %bb.150:                              ;   in Loop: Header=BB1256_101 Depth=2
	s_wait_dscnt 0x0
	v_bcnt_u32_b32 v70, v70, v185
	ds_store_b32 v187, v70 offset:1056
.LBB1256_151:                           ;   in Loop: Header=BB1256_101 Depth=2
	s_wait_alu 0xfffe
	s_or_b32 exec_lo, exec_lo, s15
	v_cmp_lt_i64_e32 vcc_lo, -1, v[66:67]
	v_ashrrev_i32_e32 v71, 31, v67
	; wave barrier
	s_delay_alu instid0(VALU_DEP_1) | instskip(SKIP_2) | instid1(VALU_DEP_1)
	v_xor_b32_e32 v66, v71, v66
	s_wait_alu 0xfffd
	v_cndmask_b32_e64 v70, -1, 0x80000000, vcc_lo
	v_xor_b32_e32 v67, v70, v67
	s_delay_alu instid0(VALU_DEP_1) | instskip(SKIP_3) | instid1(VALU_DEP_1)
	v_cmp_ne_u64_e32 vcc_lo, s[42:43], v[66:67]
	s_wait_alu 0xfffd
	v_cndmask_b32_e32 v71, 0x80000000, v67, vcc_lo
	v_cndmask_b32_e32 v70, 0, v66, vcc_lo
	v_lshrrev_b64 v[70:71], s48, v[70:71]
	s_delay_alu instid0(VALU_DEP_1) | instskip(NEXT) | instid1(VALU_DEP_1)
	v_and_b32_e32 v71, s57, v70
	v_and_b32_e32 v70, 1, v71
	v_lshlrev_b32_e32 v72, 30, v71
	v_lshlrev_b32_e32 v73, 29, v71
	;; [unrolled: 1-line block ×4, first 2 shown]
	v_add_co_u32 v70, s15, v70, -1
	s_wait_alu 0xf1ff
	v_cndmask_b32_e64 v75, 0, 1, s15
	v_not_b32_e32 v189, v72
	v_cmp_gt_i32_e64 s15, 0, v72
	v_not_b32_e32 v72, v73
	v_lshlrev_b32_e32 v77, 26, v71
	v_cmp_ne_u32_e32 vcc_lo, 0, v75
	v_ashrrev_i32_e32 v189, 31, v189
	v_lshlrev_b32_e32 v188, 25, v71
	v_ashrrev_i32_e32 v72, 31, v72
	v_lshlrev_b32_e32 v75, 24, v71
	s_wait_alu 0xfffd
	v_xor_b32_e32 v70, vcc_lo, v70
	v_cmp_gt_i32_e32 vcc_lo, 0, v73
	v_not_b32_e32 v73, v74
	s_wait_alu 0xf1ff
	v_xor_b32_e32 v189, s15, v189
	v_cmp_gt_i32_e64 s15, 0, v74
	v_and_b32_e32 v70, exec_lo, v70
	v_not_b32_e32 v74, v76
	v_ashrrev_i32_e32 v73, 31, v73
	s_wait_alu 0xfffd
	v_xor_b32_e32 v72, vcc_lo, v72
	v_cmp_gt_i32_e32 vcc_lo, 0, v76
	v_and_b32_e32 v70, v70, v189
	v_not_b32_e32 v76, v77
	v_ashrrev_i32_e32 v74, 31, v74
	s_wait_alu 0xf1ff
	v_xor_b32_e32 v73, s15, v73
	v_cmp_gt_i32_e64 s15, 0, v77
	v_and_b32_e32 v70, v70, v72
	v_not_b32_e32 v72, v188
	v_ashrrev_i32_e32 v76, 31, v76
	s_wait_alu 0xfffd
	v_xor_b32_e32 v74, vcc_lo, v74
	v_cmp_gt_i32_e32 vcc_lo, 0, v188
	v_and_b32_e32 v70, v70, v73
	v_not_b32_e32 v73, v75
	v_ashrrev_i32_e32 v72, 31, v72
	s_wait_alu 0xf1ff
	v_xor_b32_e32 v76, s15, v76
	v_cmp_gt_i32_e64 s15, 0, v75
	v_and_b32_e32 v70, v70, v74
	v_ashrrev_i32_e32 v73, 31, v73
	s_wait_alu 0xfffd
	v_xor_b32_e32 v72, vcc_lo, v72
	v_mad_u32_u24 v74, v71, 36, v147
	v_mul_u32_u24_e32 v71, 36, v71
	v_and_b32_e32 v70, v70, v76
	s_wait_alu 0xf1ff
	v_xor_b32_e32 v73, s15, v73
	ds_load_b32 v188, v74 offset:1056
	v_add_nc_u32_e32 v190, v147, v71
	v_and_b32_e32 v70, v70, v72
	; wave barrier
	s_delay_alu instid0(VALU_DEP_1) | instskip(NEXT) | instid1(VALU_DEP_1)
	v_and_b32_e32 v70, v70, v73
	v_mbcnt_lo_u32_b32 v189, v70, 0
	v_cmp_ne_u32_e64 s15, 0, v70
	s_delay_alu instid0(VALU_DEP_2)
	v_cmp_eq_u32_e32 vcc_lo, 0, v189
	s_and_b32 s16, s15, vcc_lo
	s_wait_alu 0xfffe
	s_and_saveexec_b32 s15, s16
	s_cbranch_execz .LBB1256_153
; %bb.152:                              ;   in Loop: Header=BB1256_101 Depth=2
	s_wait_dscnt 0x0
	v_bcnt_u32_b32 v70, v70, v188
	ds_store_b32 v190, v70 offset:1056
.LBB1256_153:                           ;   in Loop: Header=BB1256_101 Depth=2
	s_wait_alu 0xfffe
	s_or_b32 exec_lo, exec_lo, s15
	v_cmp_lt_i64_e32 vcc_lo, -1, v[68:69]
	v_ashrrev_i32_e32 v71, 31, v69
	; wave barrier
	s_delay_alu instid0(VALU_DEP_1) | instskip(SKIP_2) | instid1(VALU_DEP_1)
	v_xor_b32_e32 v68, v71, v68
	s_wait_alu 0xfffd
	v_cndmask_b32_e64 v70, -1, 0x80000000, vcc_lo
	v_xor_b32_e32 v69, v70, v69
	s_delay_alu instid0(VALU_DEP_1) | instskip(SKIP_3) | instid1(VALU_DEP_1)
	v_cmp_ne_u64_e32 vcc_lo, s[42:43], v[68:69]
	s_wait_alu 0xfffd
	v_cndmask_b32_e32 v71, 0x80000000, v69, vcc_lo
	v_cndmask_b32_e32 v70, 0, v68, vcc_lo
	v_lshrrev_b64 v[70:71], s48, v[70:71]
	s_delay_alu instid0(VALU_DEP_1) | instskip(NEXT) | instid1(VALU_DEP_1)
	v_and_b32_e32 v71, s57, v70
	v_and_b32_e32 v70, 1, v71
	v_lshlrev_b32_e32 v72, 30, v71
	v_lshlrev_b32_e32 v73, 29, v71
	;; [unrolled: 1-line block ×4, first 2 shown]
	v_add_co_u32 v70, s15, v70, -1
	s_wait_alu 0xf1ff
	v_cndmask_b32_e64 v75, 0, 1, s15
	v_not_b32_e32 v192, v72
	v_cmp_gt_i32_e64 s15, 0, v72
	v_not_b32_e32 v72, v73
	v_lshlrev_b32_e32 v77, 26, v71
	v_cmp_ne_u32_e32 vcc_lo, 0, v75
	v_ashrrev_i32_e32 v192, 31, v192
	v_lshlrev_b32_e32 v191, 25, v71
	v_ashrrev_i32_e32 v72, 31, v72
	v_lshlrev_b32_e32 v75, 24, v71
	s_wait_alu 0xfffd
	v_xor_b32_e32 v70, vcc_lo, v70
	v_cmp_gt_i32_e32 vcc_lo, 0, v73
	v_not_b32_e32 v73, v74
	s_wait_alu 0xf1ff
	v_xor_b32_e32 v192, s15, v192
	v_cmp_gt_i32_e64 s15, 0, v74
	v_and_b32_e32 v70, exec_lo, v70
	v_not_b32_e32 v74, v76
	v_ashrrev_i32_e32 v73, 31, v73
	s_wait_alu 0xfffd
	v_xor_b32_e32 v72, vcc_lo, v72
	v_cmp_gt_i32_e32 vcc_lo, 0, v76
	v_and_b32_e32 v70, v70, v192
	v_not_b32_e32 v76, v77
	v_ashrrev_i32_e32 v74, 31, v74
	s_wait_alu 0xf1ff
	v_xor_b32_e32 v73, s15, v73
	v_cmp_gt_i32_e64 s15, 0, v77
	v_and_b32_e32 v70, v70, v72
	v_not_b32_e32 v72, v191
	v_ashrrev_i32_e32 v76, 31, v76
	s_wait_alu 0xfffd
	v_xor_b32_e32 v74, vcc_lo, v74
	v_cmp_gt_i32_e32 vcc_lo, 0, v191
	v_and_b32_e32 v70, v70, v73
	v_not_b32_e32 v73, v75
	v_ashrrev_i32_e32 v72, 31, v72
	s_wait_alu 0xf1ff
	v_xor_b32_e32 v76, s15, v76
	v_cmp_gt_i32_e64 s15, 0, v75
	v_and_b32_e32 v70, v70, v74
	v_ashrrev_i32_e32 v73, 31, v73
	s_wait_alu 0xfffd
	v_xor_b32_e32 v72, vcc_lo, v72
	v_mad_u32_u24 v74, v71, 36, v147
	v_mul_u32_u24_e32 v71, 36, v71
	v_and_b32_e32 v70, v70, v76
	s_wait_alu 0xf1ff
	v_xor_b32_e32 v73, s15, v73
	ds_load_b32 v191, v74 offset:1056
	v_add_nc_u32_e32 v193, v147, v71
	v_and_b32_e32 v70, v70, v72
	; wave barrier
	s_delay_alu instid0(VALU_DEP_1) | instskip(NEXT) | instid1(VALU_DEP_1)
	v_and_b32_e32 v70, v70, v73
	v_mbcnt_lo_u32_b32 v192, v70, 0
	v_cmp_ne_u32_e64 s15, 0, v70
	s_delay_alu instid0(VALU_DEP_2)
	v_cmp_eq_u32_e32 vcc_lo, 0, v192
	s_and_b32 s16, s15, vcc_lo
	s_wait_alu 0xfffe
	s_and_saveexec_b32 s15, s16
	s_cbranch_execz .LBB1256_155
; %bb.154:                              ;   in Loop: Header=BB1256_101 Depth=2
	s_wait_dscnt 0x0
	v_bcnt_u32_b32 v70, v70, v191
	ds_store_b32 v193, v70 offset:1056
.LBB1256_155:                           ;   in Loop: Header=BB1256_101 Depth=2
	s_wait_alu 0xfffe
	s_or_b32 exec_lo, exec_lo, s15
	v_cmp_lt_i64_e32 vcc_lo, -1, v[64:65]
	v_ashrrev_i32_e32 v71, 31, v65
	; wave barrier
	s_delay_alu instid0(VALU_DEP_1) | instskip(SKIP_2) | instid1(VALU_DEP_1)
	v_xor_b32_e32 v64, v71, v64
	s_wait_alu 0xfffd
	v_cndmask_b32_e64 v70, -1, 0x80000000, vcc_lo
	v_xor_b32_e32 v65, v70, v65
	s_delay_alu instid0(VALU_DEP_1) | instskip(SKIP_3) | instid1(VALU_DEP_1)
	v_cmp_ne_u64_e32 vcc_lo, s[42:43], v[64:65]
	s_wait_alu 0xfffd
	v_cndmask_b32_e32 v71, 0x80000000, v65, vcc_lo
	v_cndmask_b32_e32 v70, 0, v64, vcc_lo
	v_lshrrev_b64 v[70:71], s48, v[70:71]
	s_delay_alu instid0(VALU_DEP_1) | instskip(NEXT) | instid1(VALU_DEP_1)
	v_and_b32_e32 v71, s57, v70
	v_and_b32_e32 v70, 1, v71
	v_lshlrev_b32_e32 v72, 30, v71
	v_lshlrev_b32_e32 v73, 29, v71
	;; [unrolled: 1-line block ×4, first 2 shown]
	v_add_co_u32 v70, s15, v70, -1
	s_wait_alu 0xf1ff
	v_cndmask_b32_e64 v75, 0, 1, s15
	v_not_b32_e32 v195, v72
	v_cmp_gt_i32_e64 s15, 0, v72
	v_not_b32_e32 v72, v73
	v_lshlrev_b32_e32 v77, 26, v71
	v_cmp_ne_u32_e32 vcc_lo, 0, v75
	v_ashrrev_i32_e32 v195, 31, v195
	v_lshlrev_b32_e32 v194, 25, v71
	v_ashrrev_i32_e32 v72, 31, v72
	v_lshlrev_b32_e32 v75, 24, v71
	s_wait_alu 0xfffd
	v_xor_b32_e32 v70, vcc_lo, v70
	v_cmp_gt_i32_e32 vcc_lo, 0, v73
	v_not_b32_e32 v73, v74
	s_wait_alu 0xf1ff
	v_xor_b32_e32 v195, s15, v195
	v_cmp_gt_i32_e64 s15, 0, v74
	v_and_b32_e32 v70, exec_lo, v70
	v_not_b32_e32 v74, v76
	v_ashrrev_i32_e32 v73, 31, v73
	s_wait_alu 0xfffd
	v_xor_b32_e32 v72, vcc_lo, v72
	v_cmp_gt_i32_e32 vcc_lo, 0, v76
	v_and_b32_e32 v70, v70, v195
	v_not_b32_e32 v76, v77
	v_ashrrev_i32_e32 v74, 31, v74
	s_wait_alu 0xf1ff
	v_xor_b32_e32 v73, s15, v73
	v_cmp_gt_i32_e64 s15, 0, v77
	v_and_b32_e32 v70, v70, v72
	v_not_b32_e32 v72, v194
	v_ashrrev_i32_e32 v76, 31, v76
	s_wait_alu 0xfffd
	v_xor_b32_e32 v74, vcc_lo, v74
	v_cmp_gt_i32_e32 vcc_lo, 0, v194
	v_and_b32_e32 v70, v70, v73
	v_not_b32_e32 v73, v75
	v_ashrrev_i32_e32 v72, 31, v72
	s_wait_alu 0xf1ff
	v_xor_b32_e32 v76, s15, v76
	v_cmp_gt_i32_e64 s15, 0, v75
	v_and_b32_e32 v70, v70, v74
	v_ashrrev_i32_e32 v73, 31, v73
	s_wait_alu 0xfffd
	v_xor_b32_e32 v72, vcc_lo, v72
	v_mad_u32_u24 v74, v71, 36, v147
	v_mul_u32_u24_e32 v71, 36, v71
	v_and_b32_e32 v70, v70, v76
	s_wait_alu 0xf1ff
	v_xor_b32_e32 v73, s15, v73
	ds_load_b32 v194, v74 offset:1056
	v_add_nc_u32_e32 v196, v147, v71
	v_and_b32_e32 v70, v70, v72
	; wave barrier
	s_delay_alu instid0(VALU_DEP_1) | instskip(NEXT) | instid1(VALU_DEP_1)
	v_and_b32_e32 v70, v70, v73
	v_mbcnt_lo_u32_b32 v195, v70, 0
	v_cmp_ne_u32_e64 s15, 0, v70
	s_delay_alu instid0(VALU_DEP_2)
	v_cmp_eq_u32_e32 vcc_lo, 0, v195
	s_and_b32 s16, s15, vcc_lo
	s_wait_alu 0xfffe
	s_and_saveexec_b32 s15, s16
	s_cbranch_execz .LBB1256_157
; %bb.156:                              ;   in Loop: Header=BB1256_101 Depth=2
	s_wait_dscnt 0x0
	v_bcnt_u32_b32 v70, v70, v194
	ds_store_b32 v196, v70 offset:1056
.LBB1256_157:                           ;   in Loop: Header=BB1256_101 Depth=2
	s_wait_alu 0xfffe
	s_or_b32 exec_lo, exec_lo, s15
	v_cmp_lt_i64_e32 vcc_lo, -1, v[60:61]
	v_ashrrev_i32_e32 v71, 31, v61
	; wave barrier
	s_delay_alu instid0(VALU_DEP_1) | instskip(SKIP_2) | instid1(VALU_DEP_1)
	v_xor_b32_e32 v60, v71, v60
	s_wait_alu 0xfffd
	v_cndmask_b32_e64 v70, -1, 0x80000000, vcc_lo
	v_xor_b32_e32 v61, v70, v61
	s_delay_alu instid0(VALU_DEP_1) | instskip(SKIP_3) | instid1(VALU_DEP_1)
	v_cmp_ne_u64_e32 vcc_lo, s[42:43], v[60:61]
	s_wait_alu 0xfffd
	v_cndmask_b32_e32 v71, 0x80000000, v61, vcc_lo
	v_cndmask_b32_e32 v70, 0, v60, vcc_lo
	v_lshrrev_b64 v[70:71], s48, v[70:71]
	s_delay_alu instid0(VALU_DEP_1) | instskip(NEXT) | instid1(VALU_DEP_1)
	v_and_b32_e32 v71, s57, v70
	v_and_b32_e32 v70, 1, v71
	v_lshlrev_b32_e32 v72, 30, v71
	v_lshlrev_b32_e32 v73, 29, v71
	;; [unrolled: 1-line block ×4, first 2 shown]
	v_add_co_u32 v70, s15, v70, -1
	s_wait_alu 0xf1ff
	v_cndmask_b32_e64 v75, 0, 1, s15
	v_not_b32_e32 v198, v72
	v_cmp_gt_i32_e64 s15, 0, v72
	v_not_b32_e32 v72, v73
	v_lshlrev_b32_e32 v77, 26, v71
	v_cmp_ne_u32_e32 vcc_lo, 0, v75
	v_ashrrev_i32_e32 v198, 31, v198
	v_lshlrev_b32_e32 v197, 25, v71
	v_ashrrev_i32_e32 v72, 31, v72
	v_lshlrev_b32_e32 v75, 24, v71
	s_wait_alu 0xfffd
	v_xor_b32_e32 v70, vcc_lo, v70
	v_cmp_gt_i32_e32 vcc_lo, 0, v73
	v_not_b32_e32 v73, v74
	s_wait_alu 0xf1ff
	v_xor_b32_e32 v198, s15, v198
	v_cmp_gt_i32_e64 s15, 0, v74
	v_and_b32_e32 v70, exec_lo, v70
	v_not_b32_e32 v74, v76
	v_ashrrev_i32_e32 v73, 31, v73
	s_wait_alu 0xfffd
	v_xor_b32_e32 v72, vcc_lo, v72
	v_cmp_gt_i32_e32 vcc_lo, 0, v76
	v_and_b32_e32 v70, v70, v198
	v_not_b32_e32 v76, v77
	v_ashrrev_i32_e32 v74, 31, v74
	s_wait_alu 0xf1ff
	v_xor_b32_e32 v73, s15, v73
	v_cmp_gt_i32_e64 s15, 0, v77
	v_and_b32_e32 v70, v70, v72
	v_not_b32_e32 v72, v197
	v_ashrrev_i32_e32 v76, 31, v76
	s_wait_alu 0xfffd
	v_xor_b32_e32 v74, vcc_lo, v74
	v_cmp_gt_i32_e32 vcc_lo, 0, v197
	v_and_b32_e32 v70, v70, v73
	v_not_b32_e32 v73, v75
	v_ashrrev_i32_e32 v72, 31, v72
	s_wait_alu 0xf1ff
	v_xor_b32_e32 v76, s15, v76
	v_cmp_gt_i32_e64 s15, 0, v75
	v_and_b32_e32 v70, v70, v74
	v_ashrrev_i32_e32 v73, 31, v73
	s_wait_alu 0xfffd
	v_xor_b32_e32 v72, vcc_lo, v72
	v_mad_u32_u24 v74, v71, 36, v147
	v_mul_u32_u24_e32 v71, 36, v71
	v_and_b32_e32 v70, v70, v76
	s_wait_alu 0xf1ff
	v_xor_b32_e32 v73, s15, v73
	ds_load_b32 v197, v74 offset:1056
	v_add_nc_u32_e32 v199, v147, v71
	v_and_b32_e32 v70, v70, v72
	; wave barrier
	s_delay_alu instid0(VALU_DEP_1) | instskip(NEXT) | instid1(VALU_DEP_1)
	v_and_b32_e32 v70, v70, v73
	v_mbcnt_lo_u32_b32 v198, v70, 0
	v_cmp_ne_u32_e64 s15, 0, v70
	s_delay_alu instid0(VALU_DEP_2)
	v_cmp_eq_u32_e32 vcc_lo, 0, v198
	s_and_b32 s16, s15, vcc_lo
	s_wait_alu 0xfffe
	s_and_saveexec_b32 s15, s16
	s_cbranch_execz .LBB1256_159
; %bb.158:                              ;   in Loop: Header=BB1256_101 Depth=2
	s_wait_dscnt 0x0
	v_bcnt_u32_b32 v70, v70, v197
	ds_store_b32 v199, v70 offset:1056
.LBB1256_159:                           ;   in Loop: Header=BB1256_101 Depth=2
	s_wait_alu 0xfffe
	s_or_b32 exec_lo, exec_lo, s15
	v_cmp_lt_i64_e32 vcc_lo, -1, v[56:57]
	v_ashrrev_i32_e32 v71, 31, v57
	; wave barrier
	s_delay_alu instid0(VALU_DEP_1) | instskip(SKIP_2) | instid1(VALU_DEP_1)
	v_xor_b32_e32 v56, v71, v56
	s_wait_alu 0xfffd
	v_cndmask_b32_e64 v70, -1, 0x80000000, vcc_lo
	v_xor_b32_e32 v57, v70, v57
	s_delay_alu instid0(VALU_DEP_1) | instskip(SKIP_3) | instid1(VALU_DEP_1)
	v_cmp_ne_u64_e32 vcc_lo, s[42:43], v[56:57]
	s_wait_alu 0xfffd
	v_cndmask_b32_e32 v71, 0x80000000, v57, vcc_lo
	v_cndmask_b32_e32 v70, 0, v56, vcc_lo
	v_lshrrev_b64 v[70:71], s48, v[70:71]
	s_delay_alu instid0(VALU_DEP_1) | instskip(NEXT) | instid1(VALU_DEP_1)
	v_and_b32_e32 v71, s57, v70
	v_and_b32_e32 v70, 1, v71
	v_lshlrev_b32_e32 v72, 30, v71
	v_lshlrev_b32_e32 v73, 29, v71
	;; [unrolled: 1-line block ×4, first 2 shown]
	v_add_co_u32 v70, s15, v70, -1
	s_wait_alu 0xf1ff
	v_cndmask_b32_e64 v75, 0, 1, s15
	v_not_b32_e32 v201, v72
	v_cmp_gt_i32_e64 s15, 0, v72
	v_not_b32_e32 v72, v73
	v_lshlrev_b32_e32 v77, 26, v71
	v_cmp_ne_u32_e32 vcc_lo, 0, v75
	v_ashrrev_i32_e32 v201, 31, v201
	v_lshlrev_b32_e32 v200, 25, v71
	v_ashrrev_i32_e32 v72, 31, v72
	v_lshlrev_b32_e32 v75, 24, v71
	s_wait_alu 0xfffd
	v_xor_b32_e32 v70, vcc_lo, v70
	v_cmp_gt_i32_e32 vcc_lo, 0, v73
	v_not_b32_e32 v73, v74
	s_wait_alu 0xf1ff
	v_xor_b32_e32 v201, s15, v201
	v_cmp_gt_i32_e64 s15, 0, v74
	v_and_b32_e32 v70, exec_lo, v70
	v_not_b32_e32 v74, v76
	v_ashrrev_i32_e32 v73, 31, v73
	s_wait_alu 0xfffd
	v_xor_b32_e32 v72, vcc_lo, v72
	v_cmp_gt_i32_e32 vcc_lo, 0, v76
	v_and_b32_e32 v70, v70, v201
	v_not_b32_e32 v76, v77
	v_ashrrev_i32_e32 v74, 31, v74
	s_wait_alu 0xf1ff
	v_xor_b32_e32 v73, s15, v73
	v_cmp_gt_i32_e64 s15, 0, v77
	v_and_b32_e32 v70, v70, v72
	v_not_b32_e32 v72, v200
	v_ashrrev_i32_e32 v76, 31, v76
	s_wait_alu 0xfffd
	v_xor_b32_e32 v74, vcc_lo, v74
	v_cmp_gt_i32_e32 vcc_lo, 0, v200
	v_and_b32_e32 v70, v70, v73
	v_not_b32_e32 v73, v75
	v_ashrrev_i32_e32 v72, 31, v72
	s_wait_alu 0xf1ff
	v_xor_b32_e32 v76, s15, v76
	v_cmp_gt_i32_e64 s15, 0, v75
	v_and_b32_e32 v70, v70, v74
	v_ashrrev_i32_e32 v73, 31, v73
	s_wait_alu 0xfffd
	v_xor_b32_e32 v72, vcc_lo, v72
	v_mad_u32_u24 v74, v71, 36, v147
	v_mul_u32_u24_e32 v71, 36, v71
	v_and_b32_e32 v70, v70, v76
	s_wait_alu 0xf1ff
	v_xor_b32_e32 v73, s15, v73
	ds_load_b32 v200, v74 offset:1056
	v_add_nc_u32_e32 v202, v147, v71
	v_and_b32_e32 v70, v70, v72
	; wave barrier
	s_delay_alu instid0(VALU_DEP_1) | instskip(NEXT) | instid1(VALU_DEP_1)
	v_and_b32_e32 v70, v70, v73
	v_mbcnt_lo_u32_b32 v201, v70, 0
	v_cmp_ne_u32_e64 s15, 0, v70
	s_delay_alu instid0(VALU_DEP_2)
	v_cmp_eq_u32_e32 vcc_lo, 0, v201
	s_and_b32 s16, s15, vcc_lo
	s_wait_alu 0xfffe
	s_and_saveexec_b32 s15, s16
	s_cbranch_execz .LBB1256_161
; %bb.160:                              ;   in Loop: Header=BB1256_101 Depth=2
	s_wait_dscnt 0x0
	v_bcnt_u32_b32 v70, v70, v200
	ds_store_b32 v202, v70 offset:1056
.LBB1256_161:                           ;   in Loop: Header=BB1256_101 Depth=2
	s_wait_alu 0xfffe
	s_or_b32 exec_lo, exec_lo, s15
	v_cmp_lt_i64_e32 vcc_lo, -1, v[52:53]
	v_ashrrev_i32_e32 v71, 31, v53
	; wave barrier
	s_delay_alu instid0(VALU_DEP_1) | instskip(SKIP_2) | instid1(VALU_DEP_1)
	v_xor_b32_e32 v52, v71, v52
	s_wait_alu 0xfffd
	v_cndmask_b32_e64 v70, -1, 0x80000000, vcc_lo
	v_xor_b32_e32 v53, v70, v53
	s_delay_alu instid0(VALU_DEP_1) | instskip(SKIP_3) | instid1(VALU_DEP_1)
	v_cmp_ne_u64_e32 vcc_lo, s[42:43], v[52:53]
	s_wait_alu 0xfffd
	v_cndmask_b32_e32 v71, 0x80000000, v53, vcc_lo
	v_cndmask_b32_e32 v70, 0, v52, vcc_lo
	v_lshrrev_b64 v[70:71], s48, v[70:71]
	s_delay_alu instid0(VALU_DEP_1) | instskip(NEXT) | instid1(VALU_DEP_1)
	v_and_b32_e32 v71, s57, v70
	v_and_b32_e32 v70, 1, v71
	v_lshlrev_b32_e32 v72, 30, v71
	v_lshlrev_b32_e32 v73, 29, v71
	;; [unrolled: 1-line block ×4, first 2 shown]
	v_add_co_u32 v70, s15, v70, -1
	s_wait_alu 0xf1ff
	v_cndmask_b32_e64 v75, 0, 1, s15
	v_not_b32_e32 v204, v72
	v_cmp_gt_i32_e64 s15, 0, v72
	v_not_b32_e32 v72, v73
	v_lshlrev_b32_e32 v77, 26, v71
	v_cmp_ne_u32_e32 vcc_lo, 0, v75
	v_ashrrev_i32_e32 v204, 31, v204
	v_lshlrev_b32_e32 v203, 25, v71
	v_ashrrev_i32_e32 v72, 31, v72
	v_lshlrev_b32_e32 v75, 24, v71
	s_wait_alu 0xfffd
	v_xor_b32_e32 v70, vcc_lo, v70
	v_cmp_gt_i32_e32 vcc_lo, 0, v73
	v_not_b32_e32 v73, v74
	s_wait_alu 0xf1ff
	v_xor_b32_e32 v204, s15, v204
	v_cmp_gt_i32_e64 s15, 0, v74
	v_and_b32_e32 v70, exec_lo, v70
	v_not_b32_e32 v74, v76
	v_ashrrev_i32_e32 v73, 31, v73
	s_wait_alu 0xfffd
	v_xor_b32_e32 v72, vcc_lo, v72
	v_cmp_gt_i32_e32 vcc_lo, 0, v76
	v_and_b32_e32 v70, v70, v204
	v_not_b32_e32 v76, v77
	v_ashrrev_i32_e32 v74, 31, v74
	s_wait_alu 0xf1ff
	v_xor_b32_e32 v73, s15, v73
	v_cmp_gt_i32_e64 s15, 0, v77
	v_and_b32_e32 v70, v70, v72
	v_not_b32_e32 v72, v203
	v_ashrrev_i32_e32 v76, 31, v76
	s_wait_alu 0xfffd
	v_xor_b32_e32 v74, vcc_lo, v74
	v_cmp_gt_i32_e32 vcc_lo, 0, v203
	v_and_b32_e32 v70, v70, v73
	v_not_b32_e32 v73, v75
	v_ashrrev_i32_e32 v72, 31, v72
	s_wait_alu 0xf1ff
	v_xor_b32_e32 v76, s15, v76
	v_cmp_gt_i32_e64 s15, 0, v75
	v_and_b32_e32 v70, v70, v74
	v_ashrrev_i32_e32 v73, 31, v73
	s_wait_alu 0xfffd
	v_xor_b32_e32 v72, vcc_lo, v72
	v_mad_u32_u24 v74, v71, 36, v147
	v_mul_u32_u24_e32 v71, 36, v71
	v_and_b32_e32 v70, v70, v76
	s_wait_alu 0xf1ff
	v_xor_b32_e32 v73, s15, v73
	ds_load_b32 v203, v74 offset:1056
	v_add_nc_u32_e32 v205, v147, v71
	v_and_b32_e32 v70, v70, v72
	; wave barrier
	s_delay_alu instid0(VALU_DEP_1) | instskip(NEXT) | instid1(VALU_DEP_1)
	v_and_b32_e32 v70, v70, v73
	v_mbcnt_lo_u32_b32 v204, v70, 0
	v_cmp_ne_u32_e64 s15, 0, v70
	s_delay_alu instid0(VALU_DEP_2)
	v_cmp_eq_u32_e32 vcc_lo, 0, v204
	s_and_b32 s16, s15, vcc_lo
	s_wait_alu 0xfffe
	s_and_saveexec_b32 s15, s16
	s_cbranch_execz .LBB1256_163
; %bb.162:                              ;   in Loop: Header=BB1256_101 Depth=2
	s_wait_dscnt 0x0
	v_bcnt_u32_b32 v70, v70, v203
	ds_store_b32 v205, v70 offset:1056
.LBB1256_163:                           ;   in Loop: Header=BB1256_101 Depth=2
	s_wait_alu 0xfffe
	s_or_b32 exec_lo, exec_lo, s15
	v_cmp_lt_i64_e32 vcc_lo, -1, v[50:51]
	v_ashrrev_i32_e32 v71, 31, v51
	; wave barrier
	s_delay_alu instid0(VALU_DEP_1) | instskip(SKIP_2) | instid1(VALU_DEP_1)
	v_xor_b32_e32 v50, v71, v50
	s_wait_alu 0xfffd
	v_cndmask_b32_e64 v70, -1, 0x80000000, vcc_lo
	v_xor_b32_e32 v51, v70, v51
	s_delay_alu instid0(VALU_DEP_1) | instskip(SKIP_3) | instid1(VALU_DEP_1)
	v_cmp_ne_u64_e32 vcc_lo, s[42:43], v[50:51]
	s_wait_alu 0xfffd
	v_cndmask_b32_e32 v71, 0x80000000, v51, vcc_lo
	v_cndmask_b32_e32 v70, 0, v50, vcc_lo
	v_lshrrev_b64 v[70:71], s48, v[70:71]
	s_delay_alu instid0(VALU_DEP_1) | instskip(NEXT) | instid1(VALU_DEP_1)
	v_and_b32_e32 v71, s57, v70
	v_and_b32_e32 v70, 1, v71
	v_lshlrev_b32_e32 v72, 30, v71
	v_lshlrev_b32_e32 v73, 29, v71
	;; [unrolled: 1-line block ×4, first 2 shown]
	v_add_co_u32 v70, s15, v70, -1
	s_wait_alu 0xf1ff
	v_cndmask_b32_e64 v75, 0, 1, s15
	v_not_b32_e32 v207, v72
	v_cmp_gt_i32_e64 s15, 0, v72
	v_not_b32_e32 v72, v73
	v_lshlrev_b32_e32 v77, 26, v71
	v_cmp_ne_u32_e32 vcc_lo, 0, v75
	v_ashrrev_i32_e32 v207, 31, v207
	v_lshlrev_b32_e32 v206, 25, v71
	v_ashrrev_i32_e32 v72, 31, v72
	v_lshlrev_b32_e32 v75, 24, v71
	s_wait_alu 0xfffd
	v_xor_b32_e32 v70, vcc_lo, v70
	v_cmp_gt_i32_e32 vcc_lo, 0, v73
	v_not_b32_e32 v73, v74
	s_wait_alu 0xf1ff
	v_xor_b32_e32 v207, s15, v207
	v_cmp_gt_i32_e64 s15, 0, v74
	v_and_b32_e32 v70, exec_lo, v70
	v_not_b32_e32 v74, v76
	v_ashrrev_i32_e32 v73, 31, v73
	s_wait_alu 0xfffd
	v_xor_b32_e32 v72, vcc_lo, v72
	v_cmp_gt_i32_e32 vcc_lo, 0, v76
	v_and_b32_e32 v70, v70, v207
	v_not_b32_e32 v76, v77
	v_ashrrev_i32_e32 v74, 31, v74
	s_wait_alu 0xf1ff
	v_xor_b32_e32 v73, s15, v73
	v_cmp_gt_i32_e64 s15, 0, v77
	v_and_b32_e32 v70, v70, v72
	v_not_b32_e32 v72, v206
	v_ashrrev_i32_e32 v76, 31, v76
	s_wait_alu 0xfffd
	v_xor_b32_e32 v74, vcc_lo, v74
	v_cmp_gt_i32_e32 vcc_lo, 0, v206
	v_and_b32_e32 v70, v70, v73
	v_not_b32_e32 v73, v75
	v_ashrrev_i32_e32 v72, 31, v72
	s_wait_alu 0xf1ff
	v_xor_b32_e32 v76, s15, v76
	v_cmp_gt_i32_e64 s15, 0, v75
	v_and_b32_e32 v70, v70, v74
	v_ashrrev_i32_e32 v73, 31, v73
	s_wait_alu 0xfffd
	v_xor_b32_e32 v72, vcc_lo, v72
	v_mad_u32_u24 v74, v71, 36, v147
	v_mul_u32_u24_e32 v71, 36, v71
	v_and_b32_e32 v70, v70, v76
	s_wait_alu 0xf1ff
	v_xor_b32_e32 v73, s15, v73
	ds_load_b32 v206, v74 offset:1056
	v_add_nc_u32_e32 v208, v147, v71
	v_and_b32_e32 v70, v70, v72
	; wave barrier
	s_delay_alu instid0(VALU_DEP_1) | instskip(NEXT) | instid1(VALU_DEP_1)
	v_and_b32_e32 v70, v70, v73
	v_mbcnt_lo_u32_b32 v207, v70, 0
	v_cmp_ne_u32_e64 s15, 0, v70
	s_delay_alu instid0(VALU_DEP_2)
	v_cmp_eq_u32_e32 vcc_lo, 0, v207
	s_and_b32 s16, s15, vcc_lo
	s_wait_alu 0xfffe
	s_and_saveexec_b32 s15, s16
	s_cbranch_execz .LBB1256_165
; %bb.164:                              ;   in Loop: Header=BB1256_101 Depth=2
	s_wait_dscnt 0x0
	v_bcnt_u32_b32 v70, v70, v206
	ds_store_b32 v208, v70 offset:1056
.LBB1256_165:                           ;   in Loop: Header=BB1256_101 Depth=2
	s_wait_alu 0xfffe
	s_or_b32 exec_lo, exec_lo, s15
	v_cmp_lt_i64_e32 vcc_lo, -1, v[46:47]
	v_ashrrev_i32_e32 v71, 31, v47
	; wave barrier
	s_delay_alu instid0(VALU_DEP_1) | instskip(SKIP_2) | instid1(VALU_DEP_1)
	v_xor_b32_e32 v46, v71, v46
	s_wait_alu 0xfffd
	v_cndmask_b32_e64 v70, -1, 0x80000000, vcc_lo
	v_xor_b32_e32 v47, v70, v47
	s_delay_alu instid0(VALU_DEP_1) | instskip(SKIP_3) | instid1(VALU_DEP_1)
	v_cmp_ne_u64_e32 vcc_lo, s[42:43], v[46:47]
	s_wait_alu 0xfffd
	v_cndmask_b32_e32 v71, 0x80000000, v47, vcc_lo
	v_cndmask_b32_e32 v70, 0, v46, vcc_lo
	v_lshrrev_b64 v[70:71], s48, v[70:71]
	s_delay_alu instid0(VALU_DEP_1) | instskip(NEXT) | instid1(VALU_DEP_1)
	v_and_b32_e32 v71, s57, v70
	v_and_b32_e32 v70, 1, v71
	v_lshlrev_b32_e32 v72, 30, v71
	v_lshlrev_b32_e32 v73, 29, v71
	;; [unrolled: 1-line block ×4, first 2 shown]
	v_add_co_u32 v70, s15, v70, -1
	s_wait_alu 0xf1ff
	v_cndmask_b32_e64 v75, 0, 1, s15
	v_not_b32_e32 v210, v72
	v_cmp_gt_i32_e64 s15, 0, v72
	v_not_b32_e32 v72, v73
	v_lshlrev_b32_e32 v77, 26, v71
	v_cmp_ne_u32_e32 vcc_lo, 0, v75
	v_ashrrev_i32_e32 v210, 31, v210
	v_lshlrev_b32_e32 v209, 25, v71
	v_ashrrev_i32_e32 v72, 31, v72
	v_lshlrev_b32_e32 v75, 24, v71
	s_wait_alu 0xfffd
	v_xor_b32_e32 v70, vcc_lo, v70
	v_cmp_gt_i32_e32 vcc_lo, 0, v73
	v_not_b32_e32 v73, v74
	s_wait_alu 0xf1ff
	v_xor_b32_e32 v210, s15, v210
	v_cmp_gt_i32_e64 s15, 0, v74
	v_and_b32_e32 v70, exec_lo, v70
	v_not_b32_e32 v74, v76
	v_ashrrev_i32_e32 v73, 31, v73
	s_wait_alu 0xfffd
	v_xor_b32_e32 v72, vcc_lo, v72
	v_cmp_gt_i32_e32 vcc_lo, 0, v76
	v_and_b32_e32 v70, v70, v210
	v_not_b32_e32 v76, v77
	v_ashrrev_i32_e32 v74, 31, v74
	s_wait_alu 0xf1ff
	v_xor_b32_e32 v73, s15, v73
	v_cmp_gt_i32_e64 s15, 0, v77
	v_and_b32_e32 v70, v70, v72
	v_not_b32_e32 v72, v209
	v_ashrrev_i32_e32 v76, 31, v76
	s_wait_alu 0xfffd
	v_xor_b32_e32 v74, vcc_lo, v74
	v_cmp_gt_i32_e32 vcc_lo, 0, v209
	v_and_b32_e32 v70, v70, v73
	v_not_b32_e32 v73, v75
	v_ashrrev_i32_e32 v72, 31, v72
	s_wait_alu 0xf1ff
	v_xor_b32_e32 v76, s15, v76
	v_cmp_gt_i32_e64 s15, 0, v75
	v_and_b32_e32 v70, v70, v74
	v_ashrrev_i32_e32 v73, 31, v73
	s_wait_alu 0xfffd
	v_xor_b32_e32 v72, vcc_lo, v72
	v_mad_u32_u24 v74, v71, 36, v147
	v_mul_u32_u24_e32 v71, 36, v71
	v_and_b32_e32 v70, v70, v76
	s_wait_alu 0xf1ff
	v_xor_b32_e32 v73, s15, v73
	ds_load_b32 v209, v74 offset:1056
	v_add_nc_u32_e32 v212, v147, v71
	v_and_b32_e32 v70, v70, v72
	; wave barrier
	s_delay_alu instid0(VALU_DEP_1) | instskip(NEXT) | instid1(VALU_DEP_1)
	v_and_b32_e32 v70, v70, v73
	v_mbcnt_lo_u32_b32 v210, v70, 0
	v_cmp_ne_u32_e64 s15, 0, v70
	s_delay_alu instid0(VALU_DEP_2)
	v_cmp_eq_u32_e32 vcc_lo, 0, v210
	s_and_b32 s16, s15, vcc_lo
	s_wait_alu 0xfffe
	s_and_saveexec_b32 s15, s16
	s_cbranch_execz .LBB1256_167
; %bb.166:                              ;   in Loop: Header=BB1256_101 Depth=2
	s_wait_dscnt 0x0
	v_bcnt_u32_b32 v70, v70, v209
	ds_store_b32 v212, v70 offset:1056
.LBB1256_167:                           ;   in Loop: Header=BB1256_101 Depth=2
	s_wait_alu 0xfffe
	s_or_b32 exec_lo, exec_lo, s15
	v_cmp_lt_i64_e32 vcc_lo, -1, v[44:45]
	v_ashrrev_i32_e32 v71, 31, v45
	; wave barrier
	s_delay_alu instid0(VALU_DEP_1) | instskip(SKIP_2) | instid1(VALU_DEP_1)
	v_xor_b32_e32 v44, v71, v44
	s_wait_alu 0xfffd
	v_cndmask_b32_e64 v70, -1, 0x80000000, vcc_lo
	v_xor_b32_e32 v45, v70, v45
	s_delay_alu instid0(VALU_DEP_1) | instskip(SKIP_3) | instid1(VALU_DEP_1)
	v_cmp_ne_u64_e32 vcc_lo, s[42:43], v[44:45]
	s_wait_alu 0xfffd
	v_cndmask_b32_e32 v71, 0x80000000, v45, vcc_lo
	v_cndmask_b32_e32 v70, 0, v44, vcc_lo
	v_lshrrev_b64 v[70:71], s48, v[70:71]
	s_delay_alu instid0(VALU_DEP_1) | instskip(NEXT) | instid1(VALU_DEP_1)
	v_and_b32_e32 v71, s57, v70
	v_and_b32_e32 v70, 1, v71
	v_lshlrev_b32_e32 v72, 30, v71
	v_lshlrev_b32_e32 v73, 29, v71
	;; [unrolled: 1-line block ×4, first 2 shown]
	v_add_co_u32 v70, s15, v70, -1
	s_wait_alu 0xf1ff
	v_cndmask_b32_e64 v75, 0, 1, s15
	v_not_b32_e32 v213, v72
	v_cmp_gt_i32_e64 s15, 0, v72
	v_not_b32_e32 v72, v73
	v_lshlrev_b32_e32 v77, 26, v71
	v_cmp_ne_u32_e32 vcc_lo, 0, v75
	v_ashrrev_i32_e32 v213, 31, v213
	v_lshlrev_b32_e32 v211, 25, v71
	v_ashrrev_i32_e32 v72, 31, v72
	v_lshlrev_b32_e32 v75, 24, v71
	s_wait_alu 0xfffd
	v_xor_b32_e32 v70, vcc_lo, v70
	v_cmp_gt_i32_e32 vcc_lo, 0, v73
	v_not_b32_e32 v73, v74
	s_wait_alu 0xf1ff
	v_xor_b32_e32 v213, s15, v213
	v_cmp_gt_i32_e64 s15, 0, v74
	v_and_b32_e32 v70, exec_lo, v70
	v_not_b32_e32 v74, v76
	v_ashrrev_i32_e32 v73, 31, v73
	s_wait_alu 0xfffd
	v_xor_b32_e32 v72, vcc_lo, v72
	v_cmp_gt_i32_e32 vcc_lo, 0, v76
	v_and_b32_e32 v70, v70, v213
	v_not_b32_e32 v76, v77
	v_ashrrev_i32_e32 v74, 31, v74
	s_wait_alu 0xf1ff
	v_xor_b32_e32 v73, s15, v73
	v_cmp_gt_i32_e64 s15, 0, v77
	v_and_b32_e32 v70, v70, v72
	v_not_b32_e32 v72, v211
	v_ashrrev_i32_e32 v76, 31, v76
	s_wait_alu 0xfffd
	v_xor_b32_e32 v74, vcc_lo, v74
	v_cmp_gt_i32_e32 vcc_lo, 0, v211
	v_and_b32_e32 v70, v70, v73
	v_not_b32_e32 v73, v75
	v_ashrrev_i32_e32 v72, 31, v72
	s_wait_alu 0xf1ff
	v_xor_b32_e32 v76, s15, v76
	v_cmp_gt_i32_e64 s15, 0, v75
	v_and_b32_e32 v70, v70, v74
	v_ashrrev_i32_e32 v73, 31, v73
	s_wait_alu 0xfffd
	v_xor_b32_e32 v72, vcc_lo, v72
	v_mad_u32_u24 v74, v71, 36, v147
	v_mul_u32_u24_e32 v71, 36, v71
	v_and_b32_e32 v70, v70, v76
	s_wait_alu 0xf1ff
	v_xor_b32_e32 v73, s15, v73
	ds_load_b32 v211, v74 offset:1056
	v_add_nc_u32_e32 v214, v147, v71
	v_and_b32_e32 v70, v70, v72
	; wave barrier
	s_delay_alu instid0(VALU_DEP_1) | instskip(NEXT) | instid1(VALU_DEP_1)
	v_and_b32_e32 v70, v70, v73
	v_mbcnt_lo_u32_b32 v213, v70, 0
	v_cmp_ne_u32_e64 s15, 0, v70
	s_delay_alu instid0(VALU_DEP_2)
	v_cmp_eq_u32_e32 vcc_lo, 0, v213
	s_and_b32 s16, s15, vcc_lo
	s_wait_alu 0xfffe
	s_and_saveexec_b32 s15, s16
	s_cbranch_execz .LBB1256_169
; %bb.168:                              ;   in Loop: Header=BB1256_101 Depth=2
	s_wait_dscnt 0x0
	v_bcnt_u32_b32 v70, v70, v211
	ds_store_b32 v214, v70 offset:1056
.LBB1256_169:                           ;   in Loop: Header=BB1256_101 Depth=2
	s_wait_alu 0xfffe
	s_or_b32 exec_lo, exec_lo, s15
	; wave barrier
	s_wait_loadcnt_dscnt 0x0
	s_barrier_signal -1
	s_barrier_wait -1
	global_inv scope:SCOPE_SE
	ds_load_2addr_b32 v[76:77], v166 offset1:1
	ds_load_2addr_b32 v[74:75], v167 offset1:1
	;; [unrolled: 1-line block ×4, first 2 shown]
	ds_load_b32 v215, v103 offset:1088
	s_wait_dscnt 0x3
	v_add3_u32 v216, v77, v76, v74
	s_wait_dscnt 0x2
	s_delay_alu instid0(VALU_DEP_1) | instskip(SKIP_1) | instid1(VALU_DEP_1)
	v_add3_u32 v216, v216, v75, v72
	s_wait_dscnt 0x1
	v_add3_u32 v216, v216, v73, v70
	s_wait_dscnt 0x0
	s_delay_alu instid0(VALU_DEP_1) | instskip(NEXT) | instid1(VALU_DEP_1)
	v_add3_u32 v215, v216, v71, v215
	v_mov_b32_dpp v216, v215 row_shr:1 row_mask:0xf bank_mask:0xf
	s_delay_alu instid0(VALU_DEP_1) | instskip(NEXT) | instid1(VALU_DEP_1)
	v_cndmask_b32_e64 v216, v216, 0, s6
	v_add_nc_u32_e32 v215, v216, v215
	s_delay_alu instid0(VALU_DEP_1) | instskip(NEXT) | instid1(VALU_DEP_1)
	v_mov_b32_dpp v216, v215 row_shr:2 row_mask:0xf bank_mask:0xf
	v_cndmask_b32_e64 v216, 0, v216, s7
	s_delay_alu instid0(VALU_DEP_1) | instskip(NEXT) | instid1(VALU_DEP_1)
	v_add_nc_u32_e32 v215, v215, v216
	v_mov_b32_dpp v216, v215 row_shr:4 row_mask:0xf bank_mask:0xf
	s_delay_alu instid0(VALU_DEP_1) | instskip(NEXT) | instid1(VALU_DEP_1)
	v_cndmask_b32_e64 v216, 0, v216, s8
	v_add_nc_u32_e32 v215, v215, v216
	s_delay_alu instid0(VALU_DEP_1) | instskip(NEXT) | instid1(VALU_DEP_1)
	v_mov_b32_dpp v216, v215 row_shr:8 row_mask:0xf bank_mask:0xf
	v_cndmask_b32_e64 v216, 0, v216, s9
	s_delay_alu instid0(VALU_DEP_1) | instskip(SKIP_3) | instid1(VALU_DEP_1)
	v_add_nc_u32_e32 v215, v215, v216
	ds_swizzle_b32 v216, v215 offset:swizzle(BROADCAST,32,15)
	s_wait_dscnt 0x0
	v_cndmask_b32_e64 v216, v216, 0, s10
	v_add_nc_u32_e32 v215, v215, v216
	s_and_saveexec_b32 s15, s3
; %bb.170:                              ;   in Loop: Header=BB1256_101 Depth=2
	ds_store_b32 v97, v215 offset:1024
; %bb.171:                              ;   in Loop: Header=BB1256_101 Depth=2
	s_wait_alu 0xfffe
	s_or_b32 exec_lo, exec_lo, s15
	s_wait_loadcnt_dscnt 0x0
	s_barrier_signal -1
	s_barrier_wait -1
	global_inv scope:SCOPE_SE
	s_and_saveexec_b32 s15, s4
	s_cbranch_execz .LBB1256_173
; %bb.172:                              ;   in Loop: Header=BB1256_101 Depth=2
	ds_load_b32 v216, v105 offset:1024
	s_wait_dscnt 0x0
	v_mov_b32_dpp v217, v216 row_shr:1 row_mask:0xf bank_mask:0xf
	s_delay_alu instid0(VALU_DEP_1) | instskip(NEXT) | instid1(VALU_DEP_1)
	v_cndmask_b32_e64 v217, v217, 0, s12
	v_add_nc_u32_e32 v216, v217, v216
	s_delay_alu instid0(VALU_DEP_1) | instskip(NEXT) | instid1(VALU_DEP_1)
	v_mov_b32_dpp v217, v216 row_shr:2 row_mask:0xf bank_mask:0xf
	v_cndmask_b32_e64 v217, 0, v217, s13
	s_delay_alu instid0(VALU_DEP_1) | instskip(NEXT) | instid1(VALU_DEP_1)
	v_add_nc_u32_e32 v216, v216, v217
	v_mov_b32_dpp v217, v216 row_shr:4 row_mask:0xf bank_mask:0xf
	s_delay_alu instid0(VALU_DEP_1) | instskip(NEXT) | instid1(VALU_DEP_1)
	v_cndmask_b32_e64 v217, 0, v217, s14
	v_add_nc_u32_e32 v216, v216, v217
	ds_store_b32 v105, v216 offset:1024
.LBB1256_173:                           ;   in Loop: Header=BB1256_101 Depth=2
	s_wait_alu 0xfffe
	s_or_b32 exec_lo, exec_lo, s15
	v_mov_b32_e32 v216, 0
	s_wait_loadcnt_dscnt 0x0
	s_barrier_signal -1
	s_barrier_wait -1
	global_inv scope:SCOPE_SE
	s_and_saveexec_b32 s15, s5
; %bb.174:                              ;   in Loop: Header=BB1256_101 Depth=2
	ds_load_b32 v216, v97 offset:1020
; %bb.175:                              ;   in Loop: Header=BB1256_101 Depth=2
	s_wait_alu 0xfffe
	s_or_b32 exec_lo, exec_lo, s15
	s_wait_dscnt 0x0
	v_add_nc_u32_e32 v215, v216, v215
	ds_bpermute_b32 v215, v126, v215
	s_wait_dscnt 0x0
	v_cndmask_b32_e64 v215, v215, v216, s11
	s_delay_alu instid0(VALU_DEP_1) | instskip(NEXT) | instid1(VALU_DEP_1)
	v_cndmask_b32_e64 v215, v215, 0, s0
	v_add_nc_u32_e32 v76, v215, v76
	s_delay_alu instid0(VALU_DEP_1) | instskip(NEXT) | instid1(VALU_DEP_1)
	v_add_nc_u32_e32 v77, v76, v77
	v_add_nc_u32_e32 v74, v77, v74
	s_delay_alu instid0(VALU_DEP_1) | instskip(NEXT) | instid1(VALU_DEP_1)
	v_add_nc_u32_e32 v75, v74, v75
	;; [unrolled: 3-line block ×3, first 2 shown]
	v_add_nc_u32_e32 v70, v73, v70
	s_delay_alu instid0(VALU_DEP_1)
	v_add_nc_u32_e32 v71, v70, v71
	ds_store_2addr_b32 v165, v73, v70 offset1:1
	ds_store_2addr_b32 v166, v215, v76 offset1:1
	ds_store_2addr_b32 v167, v77, v74 offset1:1
	ds_store_2addr_b32 v168, v75, v72 offset1:1
	ds_store_b32 v103, v71 offset:1088
	s_wait_loadcnt_dscnt 0x0
	s_barrier_signal -1
	s_barrier_wait -1
	global_inv scope:SCOPE_SE
	ds_load_b32 v71, v169 offset:1056
	ds_load_b32 v76, v172 offset:1056
	ds_load_b32 v75, v175 offset:1056
	ds_load_b32 v74, v178 offset:1056
	ds_load_b32 v73, v181 offset:1056
	ds_load_b32 v72, v184 offset:1056
	ds_load_b32 v181, v187 offset:1056
	ds_load_b32 v178, v190 offset:1056
	ds_load_b32 v175, v193 offset:1056
	ds_load_b32 v172, v196 offset:1056
	ds_load_b32 v169, v199 offset:1056
	ds_load_b32 v168, v202 offset:1056
	ds_load_b32 v167, v205 offset:1056
	ds_load_b32 v166, v208 offset:1056
	ds_load_b32 v165, v212 offset:1056
	ds_load_b32 v77, v214 offset:1056
	ds_load_b32 v184, v103 offset:1056
	v_mov_b32_e32 v70, 0x1000
	s_and_saveexec_b32 s15, s1
; %bb.176:                              ;   in Loop: Header=BB1256_101 Depth=2
	ds_load_b32 v70, v103 offset:1092
; %bb.177:                              ;   in Loop: Header=BB1256_101 Depth=2
	s_wait_alu 0xfffe
	s_or_b32 exec_lo, exec_lo, s15
	s_wait_loadcnt_dscnt 0x0
	s_barrier_signal -1
	s_barrier_wait -1
	global_inv scope:SCOPE_SE
	s_and_saveexec_b32 s15, s2
	s_cbranch_execz .LBB1256_179
; %bb.178:                              ;   in Loop: Header=BB1256_101 Depth=2
	ds_load_b32 v187, v78
	s_wait_dscnt 0x0
	v_sub_nc_u32_e32 v184, v187, v184
	ds_store_b32 v78, v184
.LBB1256_179:                           ;   in Loop: Header=BB1256_101 Depth=2
	s_wait_alu 0xfffe
	s_or_b32 exec_lo, exec_lo, s15
	v_lshlrev_b32_e32 v2, 3, v2
	v_lshlrev_b32_e32 v171, 3, v171
	;; [unrolled: 1-line block ×5, first 2 shown]
	v_lshl_add_u32 v71, v71, 3, v2
	v_lshlrev_b32_e32 v2, 3, v173
	v_lshlrev_b32_e32 v75, 3, v75
	;; [unrolled: 1-line block ×4, first 2 shown]
	ds_store_b64 v71, v[38:39] offset:1024
	v_lshlrev_b32_e32 v38, 3, v74
	v_lshlrev_b32_e32 v39, 3, v180
	;; [unrolled: 1-line block ×7, first 2 shown]
	v_add3_u32 v72, v171, v170, v76
	v_add3_u32 v73, v174, v2, v75
	;; [unrolled: 1-line block ×5, first 2 shown]
	v_lshlrev_b32_e32 v2, 3, v186
	v_lshlrev_b32_e32 v38, 3, v185
	v_lshlrev_b32_e32 v39, 3, v181
	ds_store_b64 v72, v[40:41] offset:1024
	ds_store_b64 v73, v[42:43] offset:1024
	;; [unrolled: 1-line block ×5, first 2 shown]
	v_lshlrev_b32_e32 v41, 3, v189
	v_lshlrev_b32_e32 v42, 3, v188
	;; [unrolled: 1-line block ×12, first 2 shown]
	v_add3_u32 v40, v2, v38, v39
	v_add3_u32 v41, v41, v42, v43
	;; [unrolled: 1-line block ×5, first 2 shown]
	ds_store_b64 v40, v[62:63] offset:1024
	ds_store_b64 v41, v[66:67] offset:1024
	;; [unrolled: 1-line block ×5, first 2 shown]
	v_lshlrev_b32_e32 v2, 3, v201
	v_lshlrev_b32_e32 v38, 3, v200
	;; [unrolled: 1-line block ×15, first 2 shown]
	v_add3_u32 v49, v2, v38, v39
	v_add3_u32 v54, v54, v55, v58
	;; [unrolled: 1-line block ×5, first 2 shown]
	v_cmp_lt_u32_e32 vcc_lo, v1, v164
	ds_store_b64 v49, v[56:57] offset:1024
	ds_store_b64 v54, v[52:53] offset:1024
	;; [unrolled: 1-line block ×5, first 2 shown]
	s_wait_loadcnt_dscnt 0x0
	s_barrier_signal -1
	s_barrier_wait -1
	global_inv scope:SCOPE_SE
	s_and_saveexec_b32 s16, vcc_lo
	s_cbranch_execnz .LBB1256_248
; %bb.180:                              ;   in Loop: Header=BB1256_101 Depth=2
	s_wait_alu 0xfffe
	s_or_b32 exec_lo, exec_lo, s16
	v_cmp_lt_u32_e64 s15, v79, v164
	s_and_saveexec_b32 s17, s15
	s_cbranch_execnz .LBB1256_249
.LBB1256_181:                           ;   in Loop: Header=BB1256_101 Depth=2
	s_wait_alu 0xfffe
	s_or_b32 exec_lo, exec_lo, s17
	v_cmp_lt_u32_e64 s16, v80, v164
	s_and_saveexec_b32 s18, s16
	s_cbranch_execnz .LBB1256_250
.LBB1256_182:                           ;   in Loop: Header=BB1256_101 Depth=2
	s_wait_alu 0xfffe
	s_or_b32 exec_lo, exec_lo, s18
	v_cmp_lt_u32_e64 s17, v81, v164
	s_and_saveexec_b32 s19, s17
	s_cbranch_execnz .LBB1256_251
.LBB1256_183:                           ;   in Loop: Header=BB1256_101 Depth=2
	s_wait_alu 0xfffe
	s_or_b32 exec_lo, exec_lo, s19
	v_cmp_lt_u32_e64 s18, v84, v164
	s_and_saveexec_b32 s20, s18
	s_cbranch_execnz .LBB1256_252
.LBB1256_184:                           ;   in Loop: Header=BB1256_101 Depth=2
	s_wait_alu 0xfffe
	s_or_b32 exec_lo, exec_lo, s20
	v_cmp_lt_u32_e64 s19, v85, v164
	s_and_saveexec_b32 s21, s19
	s_cbranch_execnz .LBB1256_253
.LBB1256_185:                           ;   in Loop: Header=BB1256_101 Depth=2
	s_wait_alu 0xfffe
	s_or_b32 exec_lo, exec_lo, s21
	v_cmp_lt_u32_e64 s20, v86, v164
	s_and_saveexec_b32 s22, s20
	s_cbranch_execnz .LBB1256_254
.LBB1256_186:                           ;   in Loop: Header=BB1256_101 Depth=2
	s_wait_alu 0xfffe
	s_or_b32 exec_lo, exec_lo, s22
	v_cmp_lt_u32_e64 s21, v87, v164
	s_and_saveexec_b32 s23, s21
	s_cbranch_execnz .LBB1256_255
.LBB1256_187:                           ;   in Loop: Header=BB1256_101 Depth=2
	s_wait_alu 0xfffe
	s_or_b32 exec_lo, exec_lo, s23
	v_cmp_lt_u32_e64 s22, v88, v164
	s_and_saveexec_b32 s24, s22
	s_cbranch_execnz .LBB1256_256
.LBB1256_188:                           ;   in Loop: Header=BB1256_101 Depth=2
	s_wait_alu 0xfffe
	s_or_b32 exec_lo, exec_lo, s24
	v_cmp_lt_u32_e64 s23, v89, v164
	s_and_saveexec_b32 s25, s23
	s_cbranch_execnz .LBB1256_257
.LBB1256_189:                           ;   in Loop: Header=BB1256_101 Depth=2
	s_wait_alu 0xfffe
	s_or_b32 exec_lo, exec_lo, s25
	v_cmp_lt_u32_e64 s24, v90, v164
	s_and_saveexec_b32 s26, s24
	s_cbranch_execnz .LBB1256_258
.LBB1256_190:                           ;   in Loop: Header=BB1256_101 Depth=2
	s_wait_alu 0xfffe
	s_or_b32 exec_lo, exec_lo, s26
	v_cmp_lt_u32_e64 s25, v91, v164
	s_and_saveexec_b32 s27, s25
	s_cbranch_execnz .LBB1256_259
.LBB1256_191:                           ;   in Loop: Header=BB1256_101 Depth=2
	s_wait_alu 0xfffe
	s_or_b32 exec_lo, exec_lo, s27
	v_cmp_lt_u32_e64 s26, v92, v164
	s_and_saveexec_b32 s28, s26
	s_cbranch_execnz .LBB1256_260
.LBB1256_192:                           ;   in Loop: Header=BB1256_101 Depth=2
	s_wait_alu 0xfffe
	s_or_b32 exec_lo, exec_lo, s28
	v_cmp_lt_u32_e64 s27, v93, v164
	s_and_saveexec_b32 s29, s27
	s_cbranch_execnz .LBB1256_261
.LBB1256_193:                           ;   in Loop: Header=BB1256_101 Depth=2
	s_wait_alu 0xfffe
	s_or_b32 exec_lo, exec_lo, s29
	v_cmp_lt_u32_e64 s28, v94, v164
	s_and_saveexec_b32 s30, s28
	s_cbranch_execnz .LBB1256_262
.LBB1256_194:                           ;   in Loop: Header=BB1256_101 Depth=2
	s_wait_alu 0xfffe
	s_or_b32 exec_lo, exec_lo, s30
	v_cmp_lt_u32_e64 s29, v95, v164
	s_and_saveexec_b32 s60, s29
	s_cbranch_execz .LBB1256_196
.LBB1256_195:                           ;   in Loop: Header=BB1256_101 Depth=2
	ds_load_b64 v[38:39], v110 offset:31744
	s_wait_dscnt 0x0
	v_cmp_ne_u64_e64 s30, s[42:43], v[38:39]
	s_wait_alu 0xf1ff
	s_delay_alu instid0(VALU_DEP_1) | instskip(SKIP_2) | instid1(VALU_DEP_2)
	v_cndmask_b32_e64 v45, 0x80000000, v39, s30
	v_cndmask_b32_e64 v44, 0, v38, s30
	v_cmp_lt_i64_e64 s30, -1, v[38:39]
	v_lshrrev_b64 v[44:45], s48, v[44:45]
	s_wait_alu 0xf1ff
	s_delay_alu instid0(VALU_DEP_2) | instskip(NEXT) | instid1(VALU_DEP_2)
	v_cndmask_b32_e64 v46, 0x80000000, -1, s30
	v_and_b32_e32 v2, s57, v44
	v_ashrrev_i32_e32 v44, 31, v39
	s_delay_alu instid0(VALU_DEP_3) | instskip(NEXT) | instid1(VALU_DEP_3)
	v_xor_b32_e32 v39, v46, v39
	v_lshlrev_b32_e32 v2, 2, v2
	s_delay_alu instid0(VALU_DEP_3) | instskip(SKIP_4) | instid1(VALU_DEP_1)
	v_not_b32_e32 v47, v44
	ds_load_b32 v2, v2
	v_xor_b32_e32 v38, v47, v38
	s_wait_dscnt 0x0
	v_add_nc_u32_e32 v2, v2, v95
	v_lshlrev_b64_e32 v[44:45], 3, v[2:3]
	s_delay_alu instid0(VALU_DEP_1) | instskip(SKIP_1) | instid1(VALU_DEP_2)
	v_add_co_u32 v44, s30, s38, v44
	s_wait_alu 0xf1ff
	v_add_co_ci_u32_e64 v45, null, s39, v45, s30
	global_store_b64 v[44:45], v[38:39], off
.LBB1256_196:                           ;   in Loop: Header=BB1256_101 Depth=2
	s_wait_alu 0xfffe
	s_or_b32 exec_lo, exec_lo, s60
	s_lshl_b64 s[60:61], s[34:35], 3
	s_wait_alu 0xfffe
	v_add_co_u32 v38, s30, v128, s60
	s_wait_alu 0xf1ff
	v_add_co_ci_u32_e64 v39, null, s61, v129, s30
	v_cmp_lt_u32_e64 s30, v127, v164
	s_and_saveexec_b32 s34, s30
	s_wait_alu 0xfffe
	s_xor_b32 s30, exec_lo, s34
	s_cbranch_execnz .LBB1256_263
; %bb.197:                              ;   in Loop: Header=BB1256_101 Depth=2
	s_wait_alu 0xfffe
	s_or_b32 exec_lo, exec_lo, s30
	s_delay_alu instid0(SALU_CYCLE_1)
	s_mov_b32 s34, exec_lo
	v_cmpx_lt_u32_e64 v130, v164
	s_cbranch_execnz .LBB1256_264
.LBB1256_198:                           ;   in Loop: Header=BB1256_101 Depth=2
	s_wait_alu 0xfffe
	s_or_b32 exec_lo, exec_lo, s34
	s_delay_alu instid0(SALU_CYCLE_1)
	s_mov_b32 s34, exec_lo
	v_cmpx_lt_u32_e64 v131, v164
	s_cbranch_execnz .LBB1256_265
.LBB1256_199:                           ;   in Loop: Header=BB1256_101 Depth=2
	s_wait_alu 0xfffe
	s_or_b32 exec_lo, exec_lo, s34
	s_delay_alu instid0(SALU_CYCLE_1)
	s_mov_b32 s34, exec_lo
	v_cmpx_lt_u32_e64 v132, v164
	s_cbranch_execnz .LBB1256_266
.LBB1256_200:                           ;   in Loop: Header=BB1256_101 Depth=2
	s_wait_alu 0xfffe
	s_or_b32 exec_lo, exec_lo, s34
	s_delay_alu instid0(SALU_CYCLE_1)
	s_mov_b32 s34, exec_lo
	v_cmpx_lt_u32_e64 v133, v164
	s_cbranch_execnz .LBB1256_267
.LBB1256_201:                           ;   in Loop: Header=BB1256_101 Depth=2
	s_wait_alu 0xfffe
	s_or_b32 exec_lo, exec_lo, s34
	s_delay_alu instid0(SALU_CYCLE_1)
	s_mov_b32 s34, exec_lo
	v_cmpx_lt_u32_e64 v134, v164
	s_cbranch_execnz .LBB1256_268
.LBB1256_202:                           ;   in Loop: Header=BB1256_101 Depth=2
	s_wait_alu 0xfffe
	s_or_b32 exec_lo, exec_lo, s34
	s_delay_alu instid0(SALU_CYCLE_1)
	s_mov_b32 s34, exec_lo
	v_cmpx_lt_u32_e64 v135, v164
	s_cbranch_execnz .LBB1256_269
.LBB1256_203:                           ;   in Loop: Header=BB1256_101 Depth=2
	s_wait_alu 0xfffe
	s_or_b32 exec_lo, exec_lo, s34
	s_delay_alu instid0(SALU_CYCLE_1)
	s_mov_b32 s34, exec_lo
	v_cmpx_lt_u32_e64 v136, v164
	s_cbranch_execnz .LBB1256_270
.LBB1256_204:                           ;   in Loop: Header=BB1256_101 Depth=2
	s_wait_alu 0xfffe
	s_or_b32 exec_lo, exec_lo, s34
	s_delay_alu instid0(SALU_CYCLE_1)
	s_mov_b32 s34, exec_lo
	v_cmpx_lt_u32_e64 v137, v164
	s_cbranch_execnz .LBB1256_271
.LBB1256_205:                           ;   in Loop: Header=BB1256_101 Depth=2
	s_wait_alu 0xfffe
	s_or_b32 exec_lo, exec_lo, s34
	s_delay_alu instid0(SALU_CYCLE_1)
	s_mov_b32 s34, exec_lo
	v_cmpx_lt_u32_e64 v138, v164
	s_cbranch_execnz .LBB1256_272
.LBB1256_206:                           ;   in Loop: Header=BB1256_101 Depth=2
	s_wait_alu 0xfffe
	s_or_b32 exec_lo, exec_lo, s34
	s_delay_alu instid0(SALU_CYCLE_1)
	s_mov_b32 s34, exec_lo
	v_cmpx_lt_u32_e64 v139, v164
	s_cbranch_execnz .LBB1256_273
.LBB1256_207:                           ;   in Loop: Header=BB1256_101 Depth=2
	s_wait_alu 0xfffe
	s_or_b32 exec_lo, exec_lo, s34
	s_delay_alu instid0(SALU_CYCLE_1)
	s_mov_b32 s34, exec_lo
	v_cmpx_lt_u32_e64 v140, v164
	s_cbranch_execnz .LBB1256_274
.LBB1256_208:                           ;   in Loop: Header=BB1256_101 Depth=2
	s_wait_alu 0xfffe
	s_or_b32 exec_lo, exec_lo, s34
	s_delay_alu instid0(SALU_CYCLE_1)
	s_mov_b32 s34, exec_lo
	v_cmpx_lt_u32_e64 v141, v164
	s_cbranch_execnz .LBB1256_275
.LBB1256_209:                           ;   in Loop: Header=BB1256_101 Depth=2
	s_wait_alu 0xfffe
	s_or_b32 exec_lo, exec_lo, s34
	s_delay_alu instid0(SALU_CYCLE_1)
	s_mov_b32 s34, exec_lo
	v_cmpx_lt_u32_e64 v142, v164
	s_cbranch_execnz .LBB1256_276
.LBB1256_210:                           ;   in Loop: Header=BB1256_101 Depth=2
	s_wait_alu 0xfffe
	s_or_b32 exec_lo, exec_lo, s34
	s_delay_alu instid0(SALU_CYCLE_1)
	s_mov_b32 s34, exec_lo
	v_cmpx_lt_u32_e64 v143, v164
	s_cbranch_execnz .LBB1256_277
.LBB1256_211:                           ;   in Loop: Header=BB1256_101 Depth=2
	s_wait_alu 0xfffe
	s_or_b32 exec_lo, exec_lo, s34
	s_delay_alu instid0(SALU_CYCLE_1)
	s_mov_b32 s34, exec_lo
	v_cmpx_lt_u32_e64 v144, v164
	s_cbranch_execnz .LBB1256_278
.LBB1256_212:                           ;   in Loop: Header=BB1256_101 Depth=2
	s_wait_alu 0xfffe
	s_or_b32 exec_lo, exec_lo, s34
	s_and_saveexec_b32 s34, vcc_lo
	s_cbranch_execnz .LBB1256_279
.LBB1256_213:                           ;   in Loop: Header=BB1256_101 Depth=2
	s_wait_alu 0xfffe
	s_or_b32 exec_lo, exec_lo, s34
	s_and_saveexec_b32 s34, s15
	s_cbranch_execnz .LBB1256_280
.LBB1256_214:                           ;   in Loop: Header=BB1256_101 Depth=2
	s_wait_alu 0xfffe
	s_or_b32 exec_lo, exec_lo, s34
	s_and_saveexec_b32 s34, s16
	s_cbranch_execnz .LBB1256_281
.LBB1256_215:                           ;   in Loop: Header=BB1256_101 Depth=2
	s_wait_alu 0xfffe
	s_or_b32 exec_lo, exec_lo, s34
	s_and_saveexec_b32 s34, s17
	s_cbranch_execnz .LBB1256_282
.LBB1256_216:                           ;   in Loop: Header=BB1256_101 Depth=2
	s_wait_alu 0xfffe
	s_or_b32 exec_lo, exec_lo, s34
	s_and_saveexec_b32 s34, s18
	s_cbranch_execnz .LBB1256_283
.LBB1256_217:                           ;   in Loop: Header=BB1256_101 Depth=2
	s_wait_alu 0xfffe
	s_or_b32 exec_lo, exec_lo, s34
	s_and_saveexec_b32 s34, s19
	s_cbranch_execnz .LBB1256_284
.LBB1256_218:                           ;   in Loop: Header=BB1256_101 Depth=2
	s_wait_alu 0xfffe
	s_or_b32 exec_lo, exec_lo, s34
	s_and_saveexec_b32 s34, s20
	s_cbranch_execnz .LBB1256_285
.LBB1256_219:                           ;   in Loop: Header=BB1256_101 Depth=2
	s_wait_alu 0xfffe
	s_or_b32 exec_lo, exec_lo, s34
	s_and_saveexec_b32 s34, s21
	s_cbranch_execnz .LBB1256_286
.LBB1256_220:                           ;   in Loop: Header=BB1256_101 Depth=2
	s_wait_alu 0xfffe
	s_or_b32 exec_lo, exec_lo, s34
	s_and_saveexec_b32 s34, s22
	s_cbranch_execnz .LBB1256_287
.LBB1256_221:                           ;   in Loop: Header=BB1256_101 Depth=2
	s_wait_alu 0xfffe
	s_or_b32 exec_lo, exec_lo, s34
	s_and_saveexec_b32 s34, s23
	s_cbranch_execnz .LBB1256_288
.LBB1256_222:                           ;   in Loop: Header=BB1256_101 Depth=2
	s_wait_alu 0xfffe
	s_or_b32 exec_lo, exec_lo, s34
	s_and_saveexec_b32 s34, s24
	s_cbranch_execnz .LBB1256_289
.LBB1256_223:                           ;   in Loop: Header=BB1256_101 Depth=2
	s_wait_alu 0xfffe
	s_or_b32 exec_lo, exec_lo, s34
	s_and_saveexec_b32 s34, s25
	s_cbranch_execnz .LBB1256_290
.LBB1256_224:                           ;   in Loop: Header=BB1256_101 Depth=2
	s_wait_alu 0xfffe
	s_or_b32 exec_lo, exec_lo, s34
	s_and_saveexec_b32 s34, s26
	s_cbranch_execnz .LBB1256_291
.LBB1256_225:                           ;   in Loop: Header=BB1256_101 Depth=2
	s_wait_alu 0xfffe
	s_or_b32 exec_lo, exec_lo, s34
	s_and_saveexec_b32 s34, s27
	s_cbranch_execnz .LBB1256_292
.LBB1256_226:                           ;   in Loop: Header=BB1256_101 Depth=2
	s_wait_alu 0xfffe
	s_or_b32 exec_lo, exec_lo, s34
	s_and_saveexec_b32 s34, s28
	s_cbranch_execnz .LBB1256_293
.LBB1256_227:                           ;   in Loop: Header=BB1256_101 Depth=2
	s_wait_alu 0xfffe
	s_or_b32 exec_lo, exec_lo, s34
	s_and_saveexec_b32 s34, s29
	s_cbranch_execz .LBB1256_229
.LBB1256_228:                           ;   in Loop: Header=BB1256_101 Depth=2
	ds_load_b64 v[38:39], v110 offset:31744
	s_wait_dscnt 0x0
	v_cmp_ne_u64_e64 s30, s[42:43], v[38:39]
	s_wait_alu 0xf1ff
	s_delay_alu instid0(VALU_DEP_1) | instskip(SKIP_1) | instid1(VALU_DEP_1)
	v_cndmask_b32_e64 v39, 0x80000000, v39, s30
	v_cndmask_b32_e64 v38, 0, v38, s30
	v_lshrrev_b64 v[38:39], s48, v[38:39]
	s_delay_alu instid0(VALU_DEP_1)
	v_and_b32_e32 v148, s57, v38
.LBB1256_229:                           ;   in Loop: Header=BB1256_101 Depth=2
	s_wait_alu 0xfffe
	s_or_b32 exec_lo, exec_lo, s34
	s_wait_loadcnt 0x0
	s_wait_storecnt 0x0
	s_barrier_signal -1
	s_barrier_wait -1
	global_inv scope:SCOPE_SE
	ds_store_b64 v71, v[36:37] offset:1024
	ds_store_b64 v72, v[34:35] offset:1024
	;; [unrolled: 1-line block ×16, first 2 shown]
	s_wait_loadcnt_dscnt 0x0
	s_barrier_signal -1
	s_barrier_wait -1
	global_inv scope:SCOPE_SE
	s_and_saveexec_b32 s30, vcc_lo
	s_cbranch_execnz .LBB1256_294
; %bb.230:                              ;   in Loop: Header=BB1256_101 Depth=2
	s_wait_alu 0xfffe
	s_or_b32 exec_lo, exec_lo, s30
	s_and_saveexec_b32 s30, s15
	s_cbranch_execnz .LBB1256_295
.LBB1256_231:                           ;   in Loop: Header=BB1256_101 Depth=2
	s_wait_alu 0xfffe
	s_or_b32 exec_lo, exec_lo, s30
	s_and_saveexec_b32 s15, s16
	s_cbranch_execnz .LBB1256_296
.LBB1256_232:                           ;   in Loop: Header=BB1256_101 Depth=2
	s_wait_alu 0xfffe
	s_or_b32 exec_lo, exec_lo, s15
	s_and_saveexec_b32 s15, s17
	s_cbranch_execnz .LBB1256_297
.LBB1256_233:                           ;   in Loop: Header=BB1256_101 Depth=2
	s_wait_alu 0xfffe
	s_or_b32 exec_lo, exec_lo, s15
	s_and_saveexec_b32 s15, s18
	s_cbranch_execnz .LBB1256_298
.LBB1256_234:                           ;   in Loop: Header=BB1256_101 Depth=2
	s_wait_alu 0xfffe
	s_or_b32 exec_lo, exec_lo, s15
	s_and_saveexec_b32 s15, s19
	s_cbranch_execnz .LBB1256_299
.LBB1256_235:                           ;   in Loop: Header=BB1256_101 Depth=2
	s_wait_alu 0xfffe
	s_or_b32 exec_lo, exec_lo, s15
	s_and_saveexec_b32 s15, s20
	s_cbranch_execnz .LBB1256_300
.LBB1256_236:                           ;   in Loop: Header=BB1256_101 Depth=2
	s_wait_alu 0xfffe
	s_or_b32 exec_lo, exec_lo, s15
	s_and_saveexec_b32 s15, s21
	s_cbranch_execnz .LBB1256_301
.LBB1256_237:                           ;   in Loop: Header=BB1256_101 Depth=2
	s_wait_alu 0xfffe
	s_or_b32 exec_lo, exec_lo, s15
	s_and_saveexec_b32 s15, s22
	s_cbranch_execnz .LBB1256_302
.LBB1256_238:                           ;   in Loop: Header=BB1256_101 Depth=2
	s_wait_alu 0xfffe
	s_or_b32 exec_lo, exec_lo, s15
	s_and_saveexec_b32 s15, s23
	s_cbranch_execnz .LBB1256_303
.LBB1256_239:                           ;   in Loop: Header=BB1256_101 Depth=2
	s_wait_alu 0xfffe
	s_or_b32 exec_lo, exec_lo, s15
	s_and_saveexec_b32 s15, s24
	s_cbranch_execnz .LBB1256_304
.LBB1256_240:                           ;   in Loop: Header=BB1256_101 Depth=2
	s_wait_alu 0xfffe
	s_or_b32 exec_lo, exec_lo, s15
	s_and_saveexec_b32 s15, s25
	s_cbranch_execnz .LBB1256_305
.LBB1256_241:                           ;   in Loop: Header=BB1256_101 Depth=2
	s_wait_alu 0xfffe
	s_or_b32 exec_lo, exec_lo, s15
	s_and_saveexec_b32 s15, s26
	s_cbranch_execnz .LBB1256_306
.LBB1256_242:                           ;   in Loop: Header=BB1256_101 Depth=2
	s_wait_alu 0xfffe
	s_or_b32 exec_lo, exec_lo, s15
	s_and_saveexec_b32 s15, s27
	s_cbranch_execnz .LBB1256_307
.LBB1256_243:                           ;   in Loop: Header=BB1256_101 Depth=2
	s_wait_alu 0xfffe
	s_or_b32 exec_lo, exec_lo, s15
	s_and_saveexec_b32 s15, s28
	s_cbranch_execnz .LBB1256_308
.LBB1256_244:                           ;   in Loop: Header=BB1256_101 Depth=2
	s_wait_alu 0xfffe
	s_or_b32 exec_lo, exec_lo, s15
	s_and_saveexec_b32 s15, s29
	s_cbranch_execz .LBB1256_246
.LBB1256_245:                           ;   in Loop: Header=BB1256_101 Depth=2
	v_lshlrev_b32_e32 v2, 2, v148
	ds_load_b32 v2, v2
	ds_load_b64 v[38:39], v110 offset:31744
	s_wait_dscnt 0x1
	v_add_nc_u32_e32 v2, v2, v95
	s_delay_alu instid0(VALU_DEP_1) | instskip(NEXT) | instid1(VALU_DEP_1)
	v_lshlrev_b64_e32 v[40:41], 3, v[2:3]
	v_add_co_u32 v40, vcc_lo, s44, v40
	s_wait_alu 0xfffd
	s_delay_alu instid0(VALU_DEP_2)
	v_add_co_ci_u32_e64 v41, null, s45, v41, vcc_lo
	s_wait_dscnt 0x0
	global_store_b64 v[40:41], v[38:39], off
.LBB1256_246:                           ;   in Loop: Header=BB1256_101 Depth=2
	s_wait_alu 0xfffe
	s_or_b32 exec_lo, exec_lo, s15
	s_wait_loadcnt 0x0
	s_wait_storecnt 0x0
	s_barrier_signal -1
	s_barrier_wait -1
	global_inv scope:SCOPE_SE
	s_and_saveexec_b32 s15, s2
	s_cbranch_execz .LBB1256_100
; %bb.247:                              ;   in Loop: Header=BB1256_101 Depth=2
	ds_load_b32 v2, v78
	s_wait_dscnt 0x0
	v_add_nc_u32_e32 v2, v2, v70
	ds_store_b32 v78, v2
	s_branch .LBB1256_100
.LBB1256_248:                           ;   in Loop: Header=BB1256_101 Depth=2
	ds_load_b64 v[38:39], v110 offset:1024
	s_wait_dscnt 0x0
	v_cmp_ne_u64_e64 s15, s[42:43], v[38:39]
	s_wait_alu 0xf1ff
	s_delay_alu instid0(VALU_DEP_1) | instskip(SKIP_2) | instid1(VALU_DEP_2)
	v_cndmask_b32_e64 v45, 0x80000000, v39, s15
	v_cndmask_b32_e64 v44, 0, v38, s15
	v_cmp_lt_i64_e64 s15, -1, v[38:39]
	v_lshrrev_b64 v[44:45], s48, v[44:45]
	s_wait_alu 0xf1ff
	s_delay_alu instid0(VALU_DEP_2) | instskip(NEXT) | instid1(VALU_DEP_2)
	v_cndmask_b32_e64 v46, 0x80000000, -1, s15
	v_and_b32_e32 v2, s57, v44
	v_ashrrev_i32_e32 v44, 31, v39
	s_delay_alu instid0(VALU_DEP_3) | instskip(NEXT) | instid1(VALU_DEP_3)
	v_xor_b32_e32 v39, v46, v39
	v_lshlrev_b32_e32 v2, 2, v2
	s_delay_alu instid0(VALU_DEP_3) | instskip(SKIP_4) | instid1(VALU_DEP_1)
	v_not_b32_e32 v47, v44
	ds_load_b32 v2, v2
	v_xor_b32_e32 v38, v47, v38
	s_wait_dscnt 0x0
	v_add_nc_u32_e32 v2, v2, v1
	v_lshlrev_b64_e32 v[44:45], 3, v[2:3]
	s_delay_alu instid0(VALU_DEP_1) | instskip(SKIP_1) | instid1(VALU_DEP_2)
	v_add_co_u32 v44, s15, s38, v44
	s_wait_alu 0xf1ff
	v_add_co_ci_u32_e64 v45, null, s39, v45, s15
	global_store_b64 v[44:45], v[38:39], off
	s_wait_alu 0xfffe
	s_or_b32 exec_lo, exec_lo, s16
	v_cmp_lt_u32_e64 s15, v79, v164
	s_and_saveexec_b32 s17, s15
	s_cbranch_execz .LBB1256_181
.LBB1256_249:                           ;   in Loop: Header=BB1256_101 Depth=2
	ds_load_b64 v[38:39], v110 offset:3072
	s_wait_dscnt 0x0
	v_cmp_ne_u64_e64 s16, s[42:43], v[38:39]
	s_wait_alu 0xf1ff
	s_delay_alu instid0(VALU_DEP_1) | instskip(SKIP_2) | instid1(VALU_DEP_2)
	v_cndmask_b32_e64 v45, 0x80000000, v39, s16
	v_cndmask_b32_e64 v44, 0, v38, s16
	v_cmp_lt_i64_e64 s16, -1, v[38:39]
	v_lshrrev_b64 v[44:45], s48, v[44:45]
	s_wait_alu 0xf1ff
	s_delay_alu instid0(VALU_DEP_2) | instskip(NEXT) | instid1(VALU_DEP_2)
	v_cndmask_b32_e64 v46, 0x80000000, -1, s16
	v_and_b32_e32 v2, s57, v44
	v_ashrrev_i32_e32 v44, 31, v39
	s_delay_alu instid0(VALU_DEP_3) | instskip(NEXT) | instid1(VALU_DEP_3)
	v_xor_b32_e32 v39, v46, v39
	v_lshlrev_b32_e32 v2, 2, v2
	s_delay_alu instid0(VALU_DEP_3) | instskip(SKIP_4) | instid1(VALU_DEP_1)
	v_not_b32_e32 v47, v44
	ds_load_b32 v2, v2
	v_xor_b32_e32 v38, v47, v38
	s_wait_dscnt 0x0
	v_add_nc_u32_e32 v2, v2, v79
	v_lshlrev_b64_e32 v[44:45], 3, v[2:3]
	s_delay_alu instid0(VALU_DEP_1) | instskip(SKIP_1) | instid1(VALU_DEP_2)
	v_add_co_u32 v44, s16, s38, v44
	s_wait_alu 0xf1ff
	v_add_co_ci_u32_e64 v45, null, s39, v45, s16
	global_store_b64 v[44:45], v[38:39], off
	s_wait_alu 0xfffe
	s_or_b32 exec_lo, exec_lo, s17
	v_cmp_lt_u32_e64 s16, v80, v164
	s_and_saveexec_b32 s18, s16
	s_cbranch_execz .LBB1256_182
.LBB1256_250:                           ;   in Loop: Header=BB1256_101 Depth=2
	ds_load_b64 v[38:39], v110 offset:5120
	s_wait_dscnt 0x0
	v_cmp_ne_u64_e64 s17, s[42:43], v[38:39]
	s_wait_alu 0xf1ff
	s_delay_alu instid0(VALU_DEP_1) | instskip(SKIP_2) | instid1(VALU_DEP_2)
	v_cndmask_b32_e64 v45, 0x80000000, v39, s17
	v_cndmask_b32_e64 v44, 0, v38, s17
	v_cmp_lt_i64_e64 s17, -1, v[38:39]
	v_lshrrev_b64 v[44:45], s48, v[44:45]
	s_wait_alu 0xf1ff
	s_delay_alu instid0(VALU_DEP_2) | instskip(NEXT) | instid1(VALU_DEP_2)
	v_cndmask_b32_e64 v46, 0x80000000, -1, s17
	v_and_b32_e32 v2, s57, v44
	v_ashrrev_i32_e32 v44, 31, v39
	s_delay_alu instid0(VALU_DEP_3) | instskip(NEXT) | instid1(VALU_DEP_3)
	v_xor_b32_e32 v39, v46, v39
	v_lshlrev_b32_e32 v2, 2, v2
	s_delay_alu instid0(VALU_DEP_3) | instskip(SKIP_4) | instid1(VALU_DEP_1)
	v_not_b32_e32 v47, v44
	ds_load_b32 v2, v2
	v_xor_b32_e32 v38, v47, v38
	s_wait_dscnt 0x0
	v_add_nc_u32_e32 v2, v2, v80
	v_lshlrev_b64_e32 v[44:45], 3, v[2:3]
	s_delay_alu instid0(VALU_DEP_1) | instskip(SKIP_1) | instid1(VALU_DEP_2)
	v_add_co_u32 v44, s17, s38, v44
	s_wait_alu 0xf1ff
	v_add_co_ci_u32_e64 v45, null, s39, v45, s17
	global_store_b64 v[44:45], v[38:39], off
	s_wait_alu 0xfffe
	s_or_b32 exec_lo, exec_lo, s18
	v_cmp_lt_u32_e64 s17, v81, v164
	s_and_saveexec_b32 s19, s17
	s_cbranch_execz .LBB1256_183
.LBB1256_251:                           ;   in Loop: Header=BB1256_101 Depth=2
	ds_load_b64 v[38:39], v110 offset:7168
	s_wait_dscnt 0x0
	v_cmp_ne_u64_e64 s18, s[42:43], v[38:39]
	s_wait_alu 0xf1ff
	s_delay_alu instid0(VALU_DEP_1) | instskip(SKIP_2) | instid1(VALU_DEP_2)
	v_cndmask_b32_e64 v45, 0x80000000, v39, s18
	v_cndmask_b32_e64 v44, 0, v38, s18
	v_cmp_lt_i64_e64 s18, -1, v[38:39]
	v_lshrrev_b64 v[44:45], s48, v[44:45]
	s_wait_alu 0xf1ff
	s_delay_alu instid0(VALU_DEP_2) | instskip(NEXT) | instid1(VALU_DEP_2)
	v_cndmask_b32_e64 v46, 0x80000000, -1, s18
	v_and_b32_e32 v2, s57, v44
	v_ashrrev_i32_e32 v44, 31, v39
	s_delay_alu instid0(VALU_DEP_3) | instskip(NEXT) | instid1(VALU_DEP_3)
	v_xor_b32_e32 v39, v46, v39
	v_lshlrev_b32_e32 v2, 2, v2
	s_delay_alu instid0(VALU_DEP_3) | instskip(SKIP_4) | instid1(VALU_DEP_1)
	v_not_b32_e32 v47, v44
	ds_load_b32 v2, v2
	v_xor_b32_e32 v38, v47, v38
	s_wait_dscnt 0x0
	v_add_nc_u32_e32 v2, v2, v81
	v_lshlrev_b64_e32 v[44:45], 3, v[2:3]
	s_delay_alu instid0(VALU_DEP_1) | instskip(SKIP_1) | instid1(VALU_DEP_2)
	v_add_co_u32 v44, s18, s38, v44
	s_wait_alu 0xf1ff
	v_add_co_ci_u32_e64 v45, null, s39, v45, s18
	global_store_b64 v[44:45], v[38:39], off
	s_wait_alu 0xfffe
	s_or_b32 exec_lo, exec_lo, s19
	v_cmp_lt_u32_e64 s18, v84, v164
	s_and_saveexec_b32 s20, s18
	s_cbranch_execz .LBB1256_184
.LBB1256_252:                           ;   in Loop: Header=BB1256_101 Depth=2
	ds_load_b64 v[38:39], v110 offset:9216
	s_wait_dscnt 0x0
	v_cmp_ne_u64_e64 s19, s[42:43], v[38:39]
	s_wait_alu 0xf1ff
	s_delay_alu instid0(VALU_DEP_1) | instskip(SKIP_2) | instid1(VALU_DEP_2)
	v_cndmask_b32_e64 v45, 0x80000000, v39, s19
	v_cndmask_b32_e64 v44, 0, v38, s19
	v_cmp_lt_i64_e64 s19, -1, v[38:39]
	v_lshrrev_b64 v[44:45], s48, v[44:45]
	s_wait_alu 0xf1ff
	s_delay_alu instid0(VALU_DEP_2) | instskip(NEXT) | instid1(VALU_DEP_2)
	v_cndmask_b32_e64 v46, 0x80000000, -1, s19
	v_and_b32_e32 v2, s57, v44
	v_ashrrev_i32_e32 v44, 31, v39
	s_delay_alu instid0(VALU_DEP_3) | instskip(NEXT) | instid1(VALU_DEP_3)
	v_xor_b32_e32 v39, v46, v39
	v_lshlrev_b32_e32 v2, 2, v2
	s_delay_alu instid0(VALU_DEP_3) | instskip(SKIP_4) | instid1(VALU_DEP_1)
	v_not_b32_e32 v47, v44
	ds_load_b32 v2, v2
	v_xor_b32_e32 v38, v47, v38
	s_wait_dscnt 0x0
	v_add_nc_u32_e32 v2, v2, v84
	v_lshlrev_b64_e32 v[44:45], 3, v[2:3]
	s_delay_alu instid0(VALU_DEP_1) | instskip(SKIP_1) | instid1(VALU_DEP_2)
	v_add_co_u32 v44, s19, s38, v44
	s_wait_alu 0xf1ff
	v_add_co_ci_u32_e64 v45, null, s39, v45, s19
	global_store_b64 v[44:45], v[38:39], off
	s_wait_alu 0xfffe
	s_or_b32 exec_lo, exec_lo, s20
	v_cmp_lt_u32_e64 s19, v85, v164
	s_and_saveexec_b32 s21, s19
	s_cbranch_execz .LBB1256_185
.LBB1256_253:                           ;   in Loop: Header=BB1256_101 Depth=2
	ds_load_b64 v[38:39], v110 offset:11264
	s_wait_dscnt 0x0
	v_cmp_ne_u64_e64 s20, s[42:43], v[38:39]
	s_wait_alu 0xf1ff
	s_delay_alu instid0(VALU_DEP_1) | instskip(SKIP_2) | instid1(VALU_DEP_2)
	v_cndmask_b32_e64 v45, 0x80000000, v39, s20
	v_cndmask_b32_e64 v44, 0, v38, s20
	v_cmp_lt_i64_e64 s20, -1, v[38:39]
	v_lshrrev_b64 v[44:45], s48, v[44:45]
	s_wait_alu 0xf1ff
	s_delay_alu instid0(VALU_DEP_2) | instskip(NEXT) | instid1(VALU_DEP_2)
	v_cndmask_b32_e64 v46, 0x80000000, -1, s20
	v_and_b32_e32 v2, s57, v44
	v_ashrrev_i32_e32 v44, 31, v39
	s_delay_alu instid0(VALU_DEP_3) | instskip(NEXT) | instid1(VALU_DEP_3)
	v_xor_b32_e32 v39, v46, v39
	v_lshlrev_b32_e32 v2, 2, v2
	s_delay_alu instid0(VALU_DEP_3) | instskip(SKIP_4) | instid1(VALU_DEP_1)
	v_not_b32_e32 v47, v44
	ds_load_b32 v2, v2
	v_xor_b32_e32 v38, v47, v38
	s_wait_dscnt 0x0
	v_add_nc_u32_e32 v2, v2, v85
	v_lshlrev_b64_e32 v[44:45], 3, v[2:3]
	s_delay_alu instid0(VALU_DEP_1) | instskip(SKIP_1) | instid1(VALU_DEP_2)
	v_add_co_u32 v44, s20, s38, v44
	s_wait_alu 0xf1ff
	v_add_co_ci_u32_e64 v45, null, s39, v45, s20
	global_store_b64 v[44:45], v[38:39], off
	s_wait_alu 0xfffe
	s_or_b32 exec_lo, exec_lo, s21
	v_cmp_lt_u32_e64 s20, v86, v164
	s_and_saveexec_b32 s22, s20
	s_cbranch_execz .LBB1256_186
.LBB1256_254:                           ;   in Loop: Header=BB1256_101 Depth=2
	ds_load_b64 v[38:39], v110 offset:13312
	s_wait_dscnt 0x0
	v_cmp_ne_u64_e64 s21, s[42:43], v[38:39]
	s_wait_alu 0xf1ff
	s_delay_alu instid0(VALU_DEP_1) | instskip(SKIP_2) | instid1(VALU_DEP_2)
	v_cndmask_b32_e64 v45, 0x80000000, v39, s21
	v_cndmask_b32_e64 v44, 0, v38, s21
	v_cmp_lt_i64_e64 s21, -1, v[38:39]
	v_lshrrev_b64 v[44:45], s48, v[44:45]
	s_wait_alu 0xf1ff
	s_delay_alu instid0(VALU_DEP_2) | instskip(NEXT) | instid1(VALU_DEP_2)
	v_cndmask_b32_e64 v46, 0x80000000, -1, s21
	v_and_b32_e32 v2, s57, v44
	v_ashrrev_i32_e32 v44, 31, v39
	s_delay_alu instid0(VALU_DEP_3) | instskip(NEXT) | instid1(VALU_DEP_3)
	v_xor_b32_e32 v39, v46, v39
	v_lshlrev_b32_e32 v2, 2, v2
	s_delay_alu instid0(VALU_DEP_3) | instskip(SKIP_4) | instid1(VALU_DEP_1)
	v_not_b32_e32 v47, v44
	ds_load_b32 v2, v2
	v_xor_b32_e32 v38, v47, v38
	s_wait_dscnt 0x0
	v_add_nc_u32_e32 v2, v2, v86
	v_lshlrev_b64_e32 v[44:45], 3, v[2:3]
	s_delay_alu instid0(VALU_DEP_1) | instskip(SKIP_1) | instid1(VALU_DEP_2)
	v_add_co_u32 v44, s21, s38, v44
	s_wait_alu 0xf1ff
	v_add_co_ci_u32_e64 v45, null, s39, v45, s21
	global_store_b64 v[44:45], v[38:39], off
	s_wait_alu 0xfffe
	s_or_b32 exec_lo, exec_lo, s22
	v_cmp_lt_u32_e64 s21, v87, v164
	s_and_saveexec_b32 s23, s21
	s_cbranch_execz .LBB1256_187
.LBB1256_255:                           ;   in Loop: Header=BB1256_101 Depth=2
	ds_load_b64 v[38:39], v110 offset:15360
	s_wait_dscnt 0x0
	v_cmp_ne_u64_e64 s22, s[42:43], v[38:39]
	s_wait_alu 0xf1ff
	s_delay_alu instid0(VALU_DEP_1) | instskip(SKIP_2) | instid1(VALU_DEP_2)
	v_cndmask_b32_e64 v45, 0x80000000, v39, s22
	v_cndmask_b32_e64 v44, 0, v38, s22
	v_cmp_lt_i64_e64 s22, -1, v[38:39]
	v_lshrrev_b64 v[44:45], s48, v[44:45]
	s_wait_alu 0xf1ff
	s_delay_alu instid0(VALU_DEP_2) | instskip(NEXT) | instid1(VALU_DEP_2)
	v_cndmask_b32_e64 v46, 0x80000000, -1, s22
	v_and_b32_e32 v2, s57, v44
	v_ashrrev_i32_e32 v44, 31, v39
	s_delay_alu instid0(VALU_DEP_3) | instskip(NEXT) | instid1(VALU_DEP_3)
	v_xor_b32_e32 v39, v46, v39
	v_lshlrev_b32_e32 v2, 2, v2
	s_delay_alu instid0(VALU_DEP_3) | instskip(SKIP_4) | instid1(VALU_DEP_1)
	v_not_b32_e32 v47, v44
	ds_load_b32 v2, v2
	v_xor_b32_e32 v38, v47, v38
	s_wait_dscnt 0x0
	v_add_nc_u32_e32 v2, v2, v87
	v_lshlrev_b64_e32 v[44:45], 3, v[2:3]
	s_delay_alu instid0(VALU_DEP_1) | instskip(SKIP_1) | instid1(VALU_DEP_2)
	v_add_co_u32 v44, s22, s38, v44
	s_wait_alu 0xf1ff
	v_add_co_ci_u32_e64 v45, null, s39, v45, s22
	global_store_b64 v[44:45], v[38:39], off
	s_wait_alu 0xfffe
	s_or_b32 exec_lo, exec_lo, s23
	v_cmp_lt_u32_e64 s22, v88, v164
	s_and_saveexec_b32 s24, s22
	s_cbranch_execz .LBB1256_188
.LBB1256_256:                           ;   in Loop: Header=BB1256_101 Depth=2
	ds_load_b64 v[38:39], v110 offset:17408
	s_wait_dscnt 0x0
	v_cmp_ne_u64_e64 s23, s[42:43], v[38:39]
	s_wait_alu 0xf1ff
	s_delay_alu instid0(VALU_DEP_1) | instskip(SKIP_2) | instid1(VALU_DEP_2)
	v_cndmask_b32_e64 v45, 0x80000000, v39, s23
	v_cndmask_b32_e64 v44, 0, v38, s23
	v_cmp_lt_i64_e64 s23, -1, v[38:39]
	v_lshrrev_b64 v[44:45], s48, v[44:45]
	s_wait_alu 0xf1ff
	s_delay_alu instid0(VALU_DEP_2) | instskip(NEXT) | instid1(VALU_DEP_2)
	v_cndmask_b32_e64 v46, 0x80000000, -1, s23
	v_and_b32_e32 v2, s57, v44
	v_ashrrev_i32_e32 v44, 31, v39
	s_delay_alu instid0(VALU_DEP_3) | instskip(NEXT) | instid1(VALU_DEP_3)
	v_xor_b32_e32 v39, v46, v39
	v_lshlrev_b32_e32 v2, 2, v2
	s_delay_alu instid0(VALU_DEP_3) | instskip(SKIP_4) | instid1(VALU_DEP_1)
	v_not_b32_e32 v47, v44
	ds_load_b32 v2, v2
	v_xor_b32_e32 v38, v47, v38
	s_wait_dscnt 0x0
	v_add_nc_u32_e32 v2, v2, v88
	v_lshlrev_b64_e32 v[44:45], 3, v[2:3]
	s_delay_alu instid0(VALU_DEP_1) | instskip(SKIP_1) | instid1(VALU_DEP_2)
	v_add_co_u32 v44, s23, s38, v44
	s_wait_alu 0xf1ff
	v_add_co_ci_u32_e64 v45, null, s39, v45, s23
	global_store_b64 v[44:45], v[38:39], off
	s_wait_alu 0xfffe
	s_or_b32 exec_lo, exec_lo, s24
	v_cmp_lt_u32_e64 s23, v89, v164
	s_and_saveexec_b32 s25, s23
	s_cbranch_execz .LBB1256_189
.LBB1256_257:                           ;   in Loop: Header=BB1256_101 Depth=2
	ds_load_b64 v[38:39], v110 offset:19456
	s_wait_dscnt 0x0
	v_cmp_ne_u64_e64 s24, s[42:43], v[38:39]
	s_wait_alu 0xf1ff
	s_delay_alu instid0(VALU_DEP_1) | instskip(SKIP_2) | instid1(VALU_DEP_2)
	v_cndmask_b32_e64 v45, 0x80000000, v39, s24
	v_cndmask_b32_e64 v44, 0, v38, s24
	v_cmp_lt_i64_e64 s24, -1, v[38:39]
	v_lshrrev_b64 v[44:45], s48, v[44:45]
	s_wait_alu 0xf1ff
	s_delay_alu instid0(VALU_DEP_2) | instskip(NEXT) | instid1(VALU_DEP_2)
	v_cndmask_b32_e64 v46, 0x80000000, -1, s24
	v_and_b32_e32 v2, s57, v44
	v_ashrrev_i32_e32 v44, 31, v39
	s_delay_alu instid0(VALU_DEP_3) | instskip(NEXT) | instid1(VALU_DEP_3)
	v_xor_b32_e32 v39, v46, v39
	v_lshlrev_b32_e32 v2, 2, v2
	s_delay_alu instid0(VALU_DEP_3) | instskip(SKIP_4) | instid1(VALU_DEP_1)
	v_not_b32_e32 v47, v44
	ds_load_b32 v2, v2
	v_xor_b32_e32 v38, v47, v38
	s_wait_dscnt 0x0
	v_add_nc_u32_e32 v2, v2, v89
	v_lshlrev_b64_e32 v[44:45], 3, v[2:3]
	s_delay_alu instid0(VALU_DEP_1) | instskip(SKIP_1) | instid1(VALU_DEP_2)
	v_add_co_u32 v44, s24, s38, v44
	s_wait_alu 0xf1ff
	v_add_co_ci_u32_e64 v45, null, s39, v45, s24
	global_store_b64 v[44:45], v[38:39], off
	s_wait_alu 0xfffe
	s_or_b32 exec_lo, exec_lo, s25
	v_cmp_lt_u32_e64 s24, v90, v164
	s_and_saveexec_b32 s26, s24
	s_cbranch_execz .LBB1256_190
.LBB1256_258:                           ;   in Loop: Header=BB1256_101 Depth=2
	ds_load_b64 v[38:39], v110 offset:21504
	s_wait_dscnt 0x0
	v_cmp_ne_u64_e64 s25, s[42:43], v[38:39]
	s_wait_alu 0xf1ff
	s_delay_alu instid0(VALU_DEP_1) | instskip(SKIP_2) | instid1(VALU_DEP_2)
	v_cndmask_b32_e64 v45, 0x80000000, v39, s25
	v_cndmask_b32_e64 v44, 0, v38, s25
	v_cmp_lt_i64_e64 s25, -1, v[38:39]
	v_lshrrev_b64 v[44:45], s48, v[44:45]
	s_wait_alu 0xf1ff
	s_delay_alu instid0(VALU_DEP_2) | instskip(NEXT) | instid1(VALU_DEP_2)
	v_cndmask_b32_e64 v46, 0x80000000, -1, s25
	v_and_b32_e32 v2, s57, v44
	v_ashrrev_i32_e32 v44, 31, v39
	s_delay_alu instid0(VALU_DEP_3) | instskip(NEXT) | instid1(VALU_DEP_3)
	v_xor_b32_e32 v39, v46, v39
	v_lshlrev_b32_e32 v2, 2, v2
	s_delay_alu instid0(VALU_DEP_3) | instskip(SKIP_4) | instid1(VALU_DEP_1)
	v_not_b32_e32 v47, v44
	ds_load_b32 v2, v2
	v_xor_b32_e32 v38, v47, v38
	s_wait_dscnt 0x0
	v_add_nc_u32_e32 v2, v2, v90
	v_lshlrev_b64_e32 v[44:45], 3, v[2:3]
	s_delay_alu instid0(VALU_DEP_1) | instskip(SKIP_1) | instid1(VALU_DEP_2)
	v_add_co_u32 v44, s25, s38, v44
	s_wait_alu 0xf1ff
	v_add_co_ci_u32_e64 v45, null, s39, v45, s25
	global_store_b64 v[44:45], v[38:39], off
	s_wait_alu 0xfffe
	s_or_b32 exec_lo, exec_lo, s26
	v_cmp_lt_u32_e64 s25, v91, v164
	s_and_saveexec_b32 s27, s25
	s_cbranch_execz .LBB1256_191
.LBB1256_259:                           ;   in Loop: Header=BB1256_101 Depth=2
	ds_load_b64 v[38:39], v110 offset:23552
	s_wait_dscnt 0x0
	v_cmp_ne_u64_e64 s26, s[42:43], v[38:39]
	s_wait_alu 0xf1ff
	s_delay_alu instid0(VALU_DEP_1) | instskip(SKIP_2) | instid1(VALU_DEP_2)
	v_cndmask_b32_e64 v45, 0x80000000, v39, s26
	v_cndmask_b32_e64 v44, 0, v38, s26
	v_cmp_lt_i64_e64 s26, -1, v[38:39]
	v_lshrrev_b64 v[44:45], s48, v[44:45]
	s_wait_alu 0xf1ff
	s_delay_alu instid0(VALU_DEP_2) | instskip(NEXT) | instid1(VALU_DEP_2)
	v_cndmask_b32_e64 v46, 0x80000000, -1, s26
	v_and_b32_e32 v2, s57, v44
	v_ashrrev_i32_e32 v44, 31, v39
	s_delay_alu instid0(VALU_DEP_3) | instskip(NEXT) | instid1(VALU_DEP_3)
	v_xor_b32_e32 v39, v46, v39
	v_lshlrev_b32_e32 v2, 2, v2
	s_delay_alu instid0(VALU_DEP_3) | instskip(SKIP_4) | instid1(VALU_DEP_1)
	v_not_b32_e32 v47, v44
	ds_load_b32 v2, v2
	v_xor_b32_e32 v38, v47, v38
	s_wait_dscnt 0x0
	v_add_nc_u32_e32 v2, v2, v91
	v_lshlrev_b64_e32 v[44:45], 3, v[2:3]
	s_delay_alu instid0(VALU_DEP_1) | instskip(SKIP_1) | instid1(VALU_DEP_2)
	v_add_co_u32 v44, s26, s38, v44
	s_wait_alu 0xf1ff
	v_add_co_ci_u32_e64 v45, null, s39, v45, s26
	global_store_b64 v[44:45], v[38:39], off
	s_wait_alu 0xfffe
	s_or_b32 exec_lo, exec_lo, s27
	v_cmp_lt_u32_e64 s26, v92, v164
	s_and_saveexec_b32 s28, s26
	s_cbranch_execz .LBB1256_192
.LBB1256_260:                           ;   in Loop: Header=BB1256_101 Depth=2
	ds_load_b64 v[38:39], v110 offset:25600
	s_wait_dscnt 0x0
	v_cmp_ne_u64_e64 s27, s[42:43], v[38:39]
	s_wait_alu 0xf1ff
	s_delay_alu instid0(VALU_DEP_1) | instskip(SKIP_2) | instid1(VALU_DEP_2)
	v_cndmask_b32_e64 v45, 0x80000000, v39, s27
	v_cndmask_b32_e64 v44, 0, v38, s27
	v_cmp_lt_i64_e64 s27, -1, v[38:39]
	v_lshrrev_b64 v[44:45], s48, v[44:45]
	s_wait_alu 0xf1ff
	s_delay_alu instid0(VALU_DEP_2) | instskip(NEXT) | instid1(VALU_DEP_2)
	v_cndmask_b32_e64 v46, 0x80000000, -1, s27
	v_and_b32_e32 v2, s57, v44
	v_ashrrev_i32_e32 v44, 31, v39
	s_delay_alu instid0(VALU_DEP_3) | instskip(NEXT) | instid1(VALU_DEP_3)
	v_xor_b32_e32 v39, v46, v39
	v_lshlrev_b32_e32 v2, 2, v2
	s_delay_alu instid0(VALU_DEP_3) | instskip(SKIP_4) | instid1(VALU_DEP_1)
	v_not_b32_e32 v47, v44
	ds_load_b32 v2, v2
	v_xor_b32_e32 v38, v47, v38
	s_wait_dscnt 0x0
	v_add_nc_u32_e32 v2, v2, v92
	v_lshlrev_b64_e32 v[44:45], 3, v[2:3]
	s_delay_alu instid0(VALU_DEP_1) | instskip(SKIP_1) | instid1(VALU_DEP_2)
	v_add_co_u32 v44, s27, s38, v44
	s_wait_alu 0xf1ff
	v_add_co_ci_u32_e64 v45, null, s39, v45, s27
	global_store_b64 v[44:45], v[38:39], off
	s_wait_alu 0xfffe
	s_or_b32 exec_lo, exec_lo, s28
	v_cmp_lt_u32_e64 s27, v93, v164
	s_and_saveexec_b32 s29, s27
	s_cbranch_execz .LBB1256_193
.LBB1256_261:                           ;   in Loop: Header=BB1256_101 Depth=2
	ds_load_b64 v[38:39], v110 offset:27648
	s_wait_dscnt 0x0
	v_cmp_ne_u64_e64 s28, s[42:43], v[38:39]
	s_wait_alu 0xf1ff
	s_delay_alu instid0(VALU_DEP_1) | instskip(SKIP_2) | instid1(VALU_DEP_2)
	v_cndmask_b32_e64 v45, 0x80000000, v39, s28
	v_cndmask_b32_e64 v44, 0, v38, s28
	v_cmp_lt_i64_e64 s28, -1, v[38:39]
	v_lshrrev_b64 v[44:45], s48, v[44:45]
	s_wait_alu 0xf1ff
	s_delay_alu instid0(VALU_DEP_2) | instskip(NEXT) | instid1(VALU_DEP_2)
	v_cndmask_b32_e64 v46, 0x80000000, -1, s28
	v_and_b32_e32 v2, s57, v44
	v_ashrrev_i32_e32 v44, 31, v39
	s_delay_alu instid0(VALU_DEP_3) | instskip(NEXT) | instid1(VALU_DEP_3)
	v_xor_b32_e32 v39, v46, v39
	v_lshlrev_b32_e32 v2, 2, v2
	s_delay_alu instid0(VALU_DEP_3) | instskip(SKIP_4) | instid1(VALU_DEP_1)
	v_not_b32_e32 v47, v44
	ds_load_b32 v2, v2
	v_xor_b32_e32 v38, v47, v38
	s_wait_dscnt 0x0
	v_add_nc_u32_e32 v2, v2, v93
	v_lshlrev_b64_e32 v[44:45], 3, v[2:3]
	s_delay_alu instid0(VALU_DEP_1) | instskip(SKIP_1) | instid1(VALU_DEP_2)
	v_add_co_u32 v44, s28, s38, v44
	s_wait_alu 0xf1ff
	v_add_co_ci_u32_e64 v45, null, s39, v45, s28
	global_store_b64 v[44:45], v[38:39], off
	s_wait_alu 0xfffe
	s_or_b32 exec_lo, exec_lo, s29
	v_cmp_lt_u32_e64 s28, v94, v164
	s_and_saveexec_b32 s30, s28
	s_cbranch_execz .LBB1256_194
.LBB1256_262:                           ;   in Loop: Header=BB1256_101 Depth=2
	ds_load_b64 v[38:39], v110 offset:29696
	s_wait_dscnt 0x0
	v_cmp_ne_u64_e64 s29, s[42:43], v[38:39]
	s_wait_alu 0xf1ff
	s_delay_alu instid0(VALU_DEP_1) | instskip(SKIP_2) | instid1(VALU_DEP_2)
	v_cndmask_b32_e64 v45, 0x80000000, v39, s29
	v_cndmask_b32_e64 v44, 0, v38, s29
	v_cmp_lt_i64_e64 s29, -1, v[38:39]
	v_lshrrev_b64 v[44:45], s48, v[44:45]
	s_wait_alu 0xf1ff
	s_delay_alu instid0(VALU_DEP_2) | instskip(NEXT) | instid1(VALU_DEP_2)
	v_cndmask_b32_e64 v46, 0x80000000, -1, s29
	v_and_b32_e32 v2, s57, v44
	v_ashrrev_i32_e32 v44, 31, v39
	s_delay_alu instid0(VALU_DEP_3) | instskip(NEXT) | instid1(VALU_DEP_3)
	v_xor_b32_e32 v39, v46, v39
	v_lshlrev_b32_e32 v2, 2, v2
	s_delay_alu instid0(VALU_DEP_3) | instskip(SKIP_4) | instid1(VALU_DEP_1)
	v_not_b32_e32 v47, v44
	ds_load_b32 v2, v2
	v_xor_b32_e32 v38, v47, v38
	s_wait_dscnt 0x0
	v_add_nc_u32_e32 v2, v2, v94
	v_lshlrev_b64_e32 v[44:45], 3, v[2:3]
	s_delay_alu instid0(VALU_DEP_1) | instskip(SKIP_1) | instid1(VALU_DEP_2)
	v_add_co_u32 v44, s29, s38, v44
	s_wait_alu 0xf1ff
	v_add_co_ci_u32_e64 v45, null, s39, v45, s29
	global_store_b64 v[44:45], v[38:39], off
	s_wait_alu 0xfffe
	s_or_b32 exec_lo, exec_lo, s30
	v_cmp_lt_u32_e64 s29, v95, v164
	s_and_saveexec_b32 s60, s29
	s_cbranch_execnz .LBB1256_195
	s_branch .LBB1256_196
.LBB1256_263:                           ;   in Loop: Header=BB1256_101 Depth=2
	global_load_b64 v[36:37], v[38:39], off
	s_wait_alu 0xfffe
	s_or_b32 exec_lo, exec_lo, s30
	s_delay_alu instid0(SALU_CYCLE_1)
	s_mov_b32 s34, exec_lo
	v_cmpx_lt_u32_e64 v130, v164
	s_cbranch_execz .LBB1256_198
.LBB1256_264:                           ;   in Loop: Header=BB1256_101 Depth=2
	global_load_b64 v[34:35], v[38:39], off offset:256
	s_wait_alu 0xfffe
	s_or_b32 exec_lo, exec_lo, s34
	s_delay_alu instid0(SALU_CYCLE_1)
	s_mov_b32 s34, exec_lo
	v_cmpx_lt_u32_e64 v131, v164
	s_cbranch_execz .LBB1256_199
.LBB1256_265:                           ;   in Loop: Header=BB1256_101 Depth=2
	global_load_b64 v[32:33], v[38:39], off offset:512
	s_wait_alu 0xfffe
	s_or_b32 exec_lo, exec_lo, s34
	s_delay_alu instid0(SALU_CYCLE_1)
	s_mov_b32 s34, exec_lo
	v_cmpx_lt_u32_e64 v132, v164
	s_cbranch_execz .LBB1256_200
.LBB1256_266:                           ;   in Loop: Header=BB1256_101 Depth=2
	global_load_b64 v[30:31], v[38:39], off offset:768
	s_wait_alu 0xfffe
	s_or_b32 exec_lo, exec_lo, s34
	s_delay_alu instid0(SALU_CYCLE_1)
	s_mov_b32 s34, exec_lo
	v_cmpx_lt_u32_e64 v133, v164
	s_cbranch_execz .LBB1256_201
.LBB1256_267:                           ;   in Loop: Header=BB1256_101 Depth=2
	global_load_b64 v[28:29], v[38:39], off offset:1024
	s_wait_alu 0xfffe
	s_or_b32 exec_lo, exec_lo, s34
	s_delay_alu instid0(SALU_CYCLE_1)
	s_mov_b32 s34, exec_lo
	v_cmpx_lt_u32_e64 v134, v164
	s_cbranch_execz .LBB1256_202
.LBB1256_268:                           ;   in Loop: Header=BB1256_101 Depth=2
	global_load_b64 v[26:27], v[38:39], off offset:1280
	s_wait_alu 0xfffe
	s_or_b32 exec_lo, exec_lo, s34
	s_delay_alu instid0(SALU_CYCLE_1)
	s_mov_b32 s34, exec_lo
	v_cmpx_lt_u32_e64 v135, v164
	s_cbranch_execz .LBB1256_203
.LBB1256_269:                           ;   in Loop: Header=BB1256_101 Depth=2
	global_load_b64 v[24:25], v[38:39], off offset:1536
	s_wait_alu 0xfffe
	s_or_b32 exec_lo, exec_lo, s34
	s_delay_alu instid0(SALU_CYCLE_1)
	s_mov_b32 s34, exec_lo
	v_cmpx_lt_u32_e64 v136, v164
	s_cbranch_execz .LBB1256_204
.LBB1256_270:                           ;   in Loop: Header=BB1256_101 Depth=2
	global_load_b64 v[22:23], v[38:39], off offset:1792
	s_wait_alu 0xfffe
	s_or_b32 exec_lo, exec_lo, s34
	s_delay_alu instid0(SALU_CYCLE_1)
	s_mov_b32 s34, exec_lo
	v_cmpx_lt_u32_e64 v137, v164
	s_cbranch_execz .LBB1256_205
.LBB1256_271:                           ;   in Loop: Header=BB1256_101 Depth=2
	global_load_b64 v[20:21], v[38:39], off offset:2048
	s_wait_alu 0xfffe
	s_or_b32 exec_lo, exec_lo, s34
	s_delay_alu instid0(SALU_CYCLE_1)
	s_mov_b32 s34, exec_lo
	v_cmpx_lt_u32_e64 v138, v164
	s_cbranch_execz .LBB1256_206
.LBB1256_272:                           ;   in Loop: Header=BB1256_101 Depth=2
	global_load_b64 v[18:19], v[38:39], off offset:2304
	s_wait_alu 0xfffe
	s_or_b32 exec_lo, exec_lo, s34
	s_delay_alu instid0(SALU_CYCLE_1)
	s_mov_b32 s34, exec_lo
	v_cmpx_lt_u32_e64 v139, v164
	s_cbranch_execz .LBB1256_207
.LBB1256_273:                           ;   in Loop: Header=BB1256_101 Depth=2
	global_load_b64 v[16:17], v[38:39], off offset:2560
	s_wait_alu 0xfffe
	s_or_b32 exec_lo, exec_lo, s34
	s_delay_alu instid0(SALU_CYCLE_1)
	s_mov_b32 s34, exec_lo
	v_cmpx_lt_u32_e64 v140, v164
	s_cbranch_execz .LBB1256_208
.LBB1256_274:                           ;   in Loop: Header=BB1256_101 Depth=2
	global_load_b64 v[14:15], v[38:39], off offset:2816
	s_wait_alu 0xfffe
	s_or_b32 exec_lo, exec_lo, s34
	s_delay_alu instid0(SALU_CYCLE_1)
	s_mov_b32 s34, exec_lo
	v_cmpx_lt_u32_e64 v141, v164
	s_cbranch_execz .LBB1256_209
.LBB1256_275:                           ;   in Loop: Header=BB1256_101 Depth=2
	global_load_b64 v[12:13], v[38:39], off offset:3072
	s_wait_alu 0xfffe
	s_or_b32 exec_lo, exec_lo, s34
	s_delay_alu instid0(SALU_CYCLE_1)
	s_mov_b32 s34, exec_lo
	v_cmpx_lt_u32_e64 v142, v164
	s_cbranch_execz .LBB1256_210
.LBB1256_276:                           ;   in Loop: Header=BB1256_101 Depth=2
	global_load_b64 v[10:11], v[38:39], off offset:3328
	s_wait_alu 0xfffe
	s_or_b32 exec_lo, exec_lo, s34
	s_delay_alu instid0(SALU_CYCLE_1)
	s_mov_b32 s34, exec_lo
	v_cmpx_lt_u32_e64 v143, v164
	s_cbranch_execz .LBB1256_211
.LBB1256_277:                           ;   in Loop: Header=BB1256_101 Depth=2
	global_load_b64 v[8:9], v[38:39], off offset:3584
	s_wait_alu 0xfffe
	s_or_b32 exec_lo, exec_lo, s34
	s_delay_alu instid0(SALU_CYCLE_1)
	s_mov_b32 s34, exec_lo
	v_cmpx_lt_u32_e64 v144, v164
	s_cbranch_execz .LBB1256_212
.LBB1256_278:                           ;   in Loop: Header=BB1256_101 Depth=2
	global_load_b64 v[6:7], v[38:39], off offset:3840
	s_wait_alu 0xfffe
	s_or_b32 exec_lo, exec_lo, s34
	s_and_saveexec_b32 s34, vcc_lo
	s_cbranch_execz .LBB1256_213
.LBB1256_279:                           ;   in Loop: Header=BB1256_101 Depth=2
	ds_load_b64 v[38:39], v110 offset:1024
	s_wait_dscnt 0x0
	v_cmp_ne_u64_e64 s30, s[42:43], v[38:39]
	s_wait_alu 0xf1ff
	s_delay_alu instid0(VALU_DEP_1) | instskip(SKIP_1) | instid1(VALU_DEP_1)
	v_cndmask_b32_e64 v39, 0x80000000, v39, s30
	v_cndmask_b32_e64 v38, 0, v38, s30
	v_lshrrev_b64 v[38:39], s48, v[38:39]
	s_delay_alu instid0(VALU_DEP_1)
	v_and_b32_e32 v163, s57, v38
	s_wait_alu 0xfffe
	s_or_b32 exec_lo, exec_lo, s34
	s_and_saveexec_b32 s34, s15
	s_cbranch_execz .LBB1256_214
.LBB1256_280:                           ;   in Loop: Header=BB1256_101 Depth=2
	ds_load_b64 v[38:39], v110 offset:3072
	s_wait_dscnt 0x0
	v_cmp_ne_u64_e64 s30, s[42:43], v[38:39]
	s_wait_alu 0xf1ff
	s_delay_alu instid0(VALU_DEP_1) | instskip(SKIP_1) | instid1(VALU_DEP_1)
	v_cndmask_b32_e64 v39, 0x80000000, v39, s30
	v_cndmask_b32_e64 v38, 0, v38, s30
	v_lshrrev_b64 v[38:39], s48, v[38:39]
	s_delay_alu instid0(VALU_DEP_1)
	v_and_b32_e32 v162, s57, v38
	s_wait_alu 0xfffe
	s_or_b32 exec_lo, exec_lo, s34
	s_and_saveexec_b32 s34, s16
	s_cbranch_execz .LBB1256_215
.LBB1256_281:                           ;   in Loop: Header=BB1256_101 Depth=2
	ds_load_b64 v[38:39], v110 offset:5120
	s_wait_dscnt 0x0
	v_cmp_ne_u64_e64 s30, s[42:43], v[38:39]
	s_wait_alu 0xf1ff
	s_delay_alu instid0(VALU_DEP_1) | instskip(SKIP_1) | instid1(VALU_DEP_1)
	v_cndmask_b32_e64 v39, 0x80000000, v39, s30
	v_cndmask_b32_e64 v38, 0, v38, s30
	v_lshrrev_b64 v[38:39], s48, v[38:39]
	s_delay_alu instid0(VALU_DEP_1)
	v_and_b32_e32 v161, s57, v38
	s_wait_alu 0xfffe
	s_or_b32 exec_lo, exec_lo, s34
	s_and_saveexec_b32 s34, s17
	s_cbranch_execz .LBB1256_216
.LBB1256_282:                           ;   in Loop: Header=BB1256_101 Depth=2
	ds_load_b64 v[38:39], v110 offset:7168
	s_wait_dscnt 0x0
	v_cmp_ne_u64_e64 s30, s[42:43], v[38:39]
	s_wait_alu 0xf1ff
	s_delay_alu instid0(VALU_DEP_1) | instskip(SKIP_1) | instid1(VALU_DEP_1)
	v_cndmask_b32_e64 v39, 0x80000000, v39, s30
	v_cndmask_b32_e64 v38, 0, v38, s30
	v_lshrrev_b64 v[38:39], s48, v[38:39]
	s_delay_alu instid0(VALU_DEP_1)
	v_and_b32_e32 v160, s57, v38
	s_wait_alu 0xfffe
	s_or_b32 exec_lo, exec_lo, s34
	s_and_saveexec_b32 s34, s18
	s_cbranch_execz .LBB1256_217
.LBB1256_283:                           ;   in Loop: Header=BB1256_101 Depth=2
	ds_load_b64 v[38:39], v110 offset:9216
	s_wait_dscnt 0x0
	v_cmp_ne_u64_e64 s30, s[42:43], v[38:39]
	s_wait_alu 0xf1ff
	s_delay_alu instid0(VALU_DEP_1) | instskip(SKIP_1) | instid1(VALU_DEP_1)
	v_cndmask_b32_e64 v39, 0x80000000, v39, s30
	v_cndmask_b32_e64 v38, 0, v38, s30
	v_lshrrev_b64 v[38:39], s48, v[38:39]
	s_delay_alu instid0(VALU_DEP_1)
	v_and_b32_e32 v159, s57, v38
	s_wait_alu 0xfffe
	s_or_b32 exec_lo, exec_lo, s34
	s_and_saveexec_b32 s34, s19
	s_cbranch_execz .LBB1256_218
.LBB1256_284:                           ;   in Loop: Header=BB1256_101 Depth=2
	ds_load_b64 v[38:39], v110 offset:11264
	s_wait_dscnt 0x0
	v_cmp_ne_u64_e64 s30, s[42:43], v[38:39]
	s_wait_alu 0xf1ff
	s_delay_alu instid0(VALU_DEP_1) | instskip(SKIP_1) | instid1(VALU_DEP_1)
	v_cndmask_b32_e64 v39, 0x80000000, v39, s30
	v_cndmask_b32_e64 v38, 0, v38, s30
	v_lshrrev_b64 v[38:39], s48, v[38:39]
	s_delay_alu instid0(VALU_DEP_1)
	v_and_b32_e32 v158, s57, v38
	s_wait_alu 0xfffe
	s_or_b32 exec_lo, exec_lo, s34
	s_and_saveexec_b32 s34, s20
	s_cbranch_execz .LBB1256_219
.LBB1256_285:                           ;   in Loop: Header=BB1256_101 Depth=2
	ds_load_b64 v[38:39], v110 offset:13312
	s_wait_dscnt 0x0
	v_cmp_ne_u64_e64 s30, s[42:43], v[38:39]
	s_wait_alu 0xf1ff
	s_delay_alu instid0(VALU_DEP_1) | instskip(SKIP_1) | instid1(VALU_DEP_1)
	v_cndmask_b32_e64 v39, 0x80000000, v39, s30
	v_cndmask_b32_e64 v38, 0, v38, s30
	v_lshrrev_b64 v[38:39], s48, v[38:39]
	s_delay_alu instid0(VALU_DEP_1)
	v_and_b32_e32 v157, s57, v38
	s_wait_alu 0xfffe
	s_or_b32 exec_lo, exec_lo, s34
	s_and_saveexec_b32 s34, s21
	s_cbranch_execz .LBB1256_220
.LBB1256_286:                           ;   in Loop: Header=BB1256_101 Depth=2
	ds_load_b64 v[38:39], v110 offset:15360
	s_wait_dscnt 0x0
	v_cmp_ne_u64_e64 s30, s[42:43], v[38:39]
	s_wait_alu 0xf1ff
	s_delay_alu instid0(VALU_DEP_1) | instskip(SKIP_1) | instid1(VALU_DEP_1)
	v_cndmask_b32_e64 v39, 0x80000000, v39, s30
	v_cndmask_b32_e64 v38, 0, v38, s30
	v_lshrrev_b64 v[38:39], s48, v[38:39]
	s_delay_alu instid0(VALU_DEP_1)
	v_and_b32_e32 v156, s57, v38
	s_wait_alu 0xfffe
	s_or_b32 exec_lo, exec_lo, s34
	s_and_saveexec_b32 s34, s22
	s_cbranch_execz .LBB1256_221
.LBB1256_287:                           ;   in Loop: Header=BB1256_101 Depth=2
	ds_load_b64 v[38:39], v110 offset:17408
	s_wait_dscnt 0x0
	v_cmp_ne_u64_e64 s30, s[42:43], v[38:39]
	s_wait_alu 0xf1ff
	s_delay_alu instid0(VALU_DEP_1) | instskip(SKIP_1) | instid1(VALU_DEP_1)
	v_cndmask_b32_e64 v39, 0x80000000, v39, s30
	v_cndmask_b32_e64 v38, 0, v38, s30
	v_lshrrev_b64 v[38:39], s48, v[38:39]
	s_delay_alu instid0(VALU_DEP_1)
	v_and_b32_e32 v155, s57, v38
	s_wait_alu 0xfffe
	s_or_b32 exec_lo, exec_lo, s34
	s_and_saveexec_b32 s34, s23
	s_cbranch_execz .LBB1256_222
.LBB1256_288:                           ;   in Loop: Header=BB1256_101 Depth=2
	ds_load_b64 v[38:39], v110 offset:19456
	s_wait_dscnt 0x0
	v_cmp_ne_u64_e64 s30, s[42:43], v[38:39]
	s_wait_alu 0xf1ff
	s_delay_alu instid0(VALU_DEP_1) | instskip(SKIP_1) | instid1(VALU_DEP_1)
	v_cndmask_b32_e64 v39, 0x80000000, v39, s30
	v_cndmask_b32_e64 v38, 0, v38, s30
	v_lshrrev_b64 v[38:39], s48, v[38:39]
	s_delay_alu instid0(VALU_DEP_1)
	v_and_b32_e32 v154, s57, v38
	s_wait_alu 0xfffe
	s_or_b32 exec_lo, exec_lo, s34
	s_and_saveexec_b32 s34, s24
	s_cbranch_execz .LBB1256_223
.LBB1256_289:                           ;   in Loop: Header=BB1256_101 Depth=2
	ds_load_b64 v[38:39], v110 offset:21504
	s_wait_dscnt 0x0
	v_cmp_ne_u64_e64 s30, s[42:43], v[38:39]
	s_wait_alu 0xf1ff
	s_delay_alu instid0(VALU_DEP_1) | instskip(SKIP_1) | instid1(VALU_DEP_1)
	v_cndmask_b32_e64 v39, 0x80000000, v39, s30
	v_cndmask_b32_e64 v38, 0, v38, s30
	v_lshrrev_b64 v[38:39], s48, v[38:39]
	s_delay_alu instid0(VALU_DEP_1)
	v_and_b32_e32 v153, s57, v38
	s_wait_alu 0xfffe
	s_or_b32 exec_lo, exec_lo, s34
	s_and_saveexec_b32 s34, s25
	s_cbranch_execz .LBB1256_224
.LBB1256_290:                           ;   in Loop: Header=BB1256_101 Depth=2
	ds_load_b64 v[38:39], v110 offset:23552
	s_wait_dscnt 0x0
	v_cmp_ne_u64_e64 s30, s[42:43], v[38:39]
	s_wait_alu 0xf1ff
	s_delay_alu instid0(VALU_DEP_1) | instskip(SKIP_1) | instid1(VALU_DEP_1)
	v_cndmask_b32_e64 v39, 0x80000000, v39, s30
	v_cndmask_b32_e64 v38, 0, v38, s30
	v_lshrrev_b64 v[38:39], s48, v[38:39]
	s_delay_alu instid0(VALU_DEP_1)
	v_and_b32_e32 v152, s57, v38
	s_wait_alu 0xfffe
	s_or_b32 exec_lo, exec_lo, s34
	s_and_saveexec_b32 s34, s26
	s_cbranch_execz .LBB1256_225
.LBB1256_291:                           ;   in Loop: Header=BB1256_101 Depth=2
	ds_load_b64 v[38:39], v110 offset:25600
	s_wait_dscnt 0x0
	v_cmp_ne_u64_e64 s30, s[42:43], v[38:39]
	s_wait_alu 0xf1ff
	s_delay_alu instid0(VALU_DEP_1) | instskip(SKIP_1) | instid1(VALU_DEP_1)
	v_cndmask_b32_e64 v39, 0x80000000, v39, s30
	v_cndmask_b32_e64 v38, 0, v38, s30
	v_lshrrev_b64 v[38:39], s48, v[38:39]
	s_delay_alu instid0(VALU_DEP_1)
	v_and_b32_e32 v151, s57, v38
	s_wait_alu 0xfffe
	s_or_b32 exec_lo, exec_lo, s34
	s_and_saveexec_b32 s34, s27
	s_cbranch_execz .LBB1256_226
.LBB1256_292:                           ;   in Loop: Header=BB1256_101 Depth=2
	ds_load_b64 v[38:39], v110 offset:27648
	s_wait_dscnt 0x0
	v_cmp_ne_u64_e64 s30, s[42:43], v[38:39]
	s_wait_alu 0xf1ff
	s_delay_alu instid0(VALU_DEP_1) | instskip(SKIP_1) | instid1(VALU_DEP_1)
	v_cndmask_b32_e64 v39, 0x80000000, v39, s30
	v_cndmask_b32_e64 v38, 0, v38, s30
	v_lshrrev_b64 v[38:39], s48, v[38:39]
	s_delay_alu instid0(VALU_DEP_1)
	v_and_b32_e32 v150, s57, v38
	s_wait_alu 0xfffe
	s_or_b32 exec_lo, exec_lo, s34
	s_and_saveexec_b32 s34, s28
	s_cbranch_execz .LBB1256_227
.LBB1256_293:                           ;   in Loop: Header=BB1256_101 Depth=2
	ds_load_b64 v[38:39], v110 offset:29696
	s_wait_dscnt 0x0
	v_cmp_ne_u64_e64 s30, s[42:43], v[38:39]
	s_wait_alu 0xf1ff
	s_delay_alu instid0(VALU_DEP_1) | instskip(SKIP_1) | instid1(VALU_DEP_1)
	v_cndmask_b32_e64 v39, 0x80000000, v39, s30
	v_cndmask_b32_e64 v38, 0, v38, s30
	v_lshrrev_b64 v[38:39], s48, v[38:39]
	s_delay_alu instid0(VALU_DEP_1)
	v_and_b32_e32 v149, s57, v38
	s_wait_alu 0xfffe
	s_or_b32 exec_lo, exec_lo, s34
	s_and_saveexec_b32 s34, s29
	s_cbranch_execnz .LBB1256_228
	s_branch .LBB1256_229
.LBB1256_294:                           ;   in Loop: Header=BB1256_101 Depth=2
	v_lshlrev_b32_e32 v2, 2, v163
	ds_load_b32 v2, v2
	ds_load_b64 v[38:39], v110 offset:1024
	s_wait_dscnt 0x1
	v_add_nc_u32_e32 v2, v2, v1
	s_delay_alu instid0(VALU_DEP_1) | instskip(NEXT) | instid1(VALU_DEP_1)
	v_lshlrev_b64_e32 v[40:41], 3, v[2:3]
	v_add_co_u32 v40, vcc_lo, s44, v40
	s_wait_alu 0xfffd
	s_delay_alu instid0(VALU_DEP_2)
	v_add_co_ci_u32_e64 v41, null, s45, v41, vcc_lo
	s_wait_dscnt 0x0
	global_store_b64 v[40:41], v[38:39], off
	s_wait_alu 0xfffe
	s_or_b32 exec_lo, exec_lo, s30
	s_and_saveexec_b32 s30, s15
	s_cbranch_execz .LBB1256_231
.LBB1256_295:                           ;   in Loop: Header=BB1256_101 Depth=2
	v_lshlrev_b32_e32 v2, 2, v162
	ds_load_b32 v2, v2
	ds_load_b64 v[38:39], v110 offset:3072
	s_wait_dscnt 0x1
	v_add_nc_u32_e32 v2, v2, v79
	s_delay_alu instid0(VALU_DEP_1) | instskip(NEXT) | instid1(VALU_DEP_1)
	v_lshlrev_b64_e32 v[40:41], 3, v[2:3]
	v_add_co_u32 v40, vcc_lo, s44, v40
	s_wait_alu 0xfffd
	s_delay_alu instid0(VALU_DEP_2)
	v_add_co_ci_u32_e64 v41, null, s45, v41, vcc_lo
	s_wait_dscnt 0x0
	global_store_b64 v[40:41], v[38:39], off
	s_wait_alu 0xfffe
	s_or_b32 exec_lo, exec_lo, s30
	s_and_saveexec_b32 s15, s16
	s_cbranch_execz .LBB1256_232
.LBB1256_296:                           ;   in Loop: Header=BB1256_101 Depth=2
	v_lshlrev_b32_e32 v2, 2, v161
	ds_load_b32 v2, v2
	ds_load_b64 v[38:39], v110 offset:5120
	s_wait_dscnt 0x1
	v_add_nc_u32_e32 v2, v2, v80
	s_delay_alu instid0(VALU_DEP_1) | instskip(NEXT) | instid1(VALU_DEP_1)
	v_lshlrev_b64_e32 v[40:41], 3, v[2:3]
	v_add_co_u32 v40, vcc_lo, s44, v40
	s_wait_alu 0xfffd
	s_delay_alu instid0(VALU_DEP_2)
	v_add_co_ci_u32_e64 v41, null, s45, v41, vcc_lo
	s_wait_dscnt 0x0
	global_store_b64 v[40:41], v[38:39], off
	s_wait_alu 0xfffe
	s_or_b32 exec_lo, exec_lo, s15
	s_and_saveexec_b32 s15, s17
	s_cbranch_execz .LBB1256_233
.LBB1256_297:                           ;   in Loop: Header=BB1256_101 Depth=2
	v_lshlrev_b32_e32 v2, 2, v160
	ds_load_b32 v2, v2
	ds_load_b64 v[38:39], v110 offset:7168
	s_wait_dscnt 0x1
	v_add_nc_u32_e32 v2, v2, v81
	s_delay_alu instid0(VALU_DEP_1) | instskip(NEXT) | instid1(VALU_DEP_1)
	v_lshlrev_b64_e32 v[40:41], 3, v[2:3]
	v_add_co_u32 v40, vcc_lo, s44, v40
	s_wait_alu 0xfffd
	s_delay_alu instid0(VALU_DEP_2)
	v_add_co_ci_u32_e64 v41, null, s45, v41, vcc_lo
	s_wait_dscnt 0x0
	global_store_b64 v[40:41], v[38:39], off
	s_wait_alu 0xfffe
	s_or_b32 exec_lo, exec_lo, s15
	s_and_saveexec_b32 s15, s18
	s_cbranch_execz .LBB1256_234
.LBB1256_298:                           ;   in Loop: Header=BB1256_101 Depth=2
	v_lshlrev_b32_e32 v2, 2, v159
	ds_load_b32 v2, v2
	ds_load_b64 v[38:39], v110 offset:9216
	s_wait_dscnt 0x1
	v_add_nc_u32_e32 v2, v2, v84
	s_delay_alu instid0(VALU_DEP_1) | instskip(NEXT) | instid1(VALU_DEP_1)
	v_lshlrev_b64_e32 v[40:41], 3, v[2:3]
	v_add_co_u32 v40, vcc_lo, s44, v40
	s_wait_alu 0xfffd
	s_delay_alu instid0(VALU_DEP_2)
	v_add_co_ci_u32_e64 v41, null, s45, v41, vcc_lo
	s_wait_dscnt 0x0
	global_store_b64 v[40:41], v[38:39], off
	s_wait_alu 0xfffe
	s_or_b32 exec_lo, exec_lo, s15
	s_and_saveexec_b32 s15, s19
	s_cbranch_execz .LBB1256_235
.LBB1256_299:                           ;   in Loop: Header=BB1256_101 Depth=2
	v_lshlrev_b32_e32 v2, 2, v158
	ds_load_b32 v2, v2
	ds_load_b64 v[38:39], v110 offset:11264
	s_wait_dscnt 0x1
	v_add_nc_u32_e32 v2, v2, v85
	s_delay_alu instid0(VALU_DEP_1) | instskip(NEXT) | instid1(VALU_DEP_1)
	v_lshlrev_b64_e32 v[40:41], 3, v[2:3]
	v_add_co_u32 v40, vcc_lo, s44, v40
	s_wait_alu 0xfffd
	s_delay_alu instid0(VALU_DEP_2)
	v_add_co_ci_u32_e64 v41, null, s45, v41, vcc_lo
	s_wait_dscnt 0x0
	global_store_b64 v[40:41], v[38:39], off
	s_wait_alu 0xfffe
	s_or_b32 exec_lo, exec_lo, s15
	s_and_saveexec_b32 s15, s20
	s_cbranch_execz .LBB1256_236
.LBB1256_300:                           ;   in Loop: Header=BB1256_101 Depth=2
	v_lshlrev_b32_e32 v2, 2, v157
	ds_load_b32 v2, v2
	ds_load_b64 v[38:39], v110 offset:13312
	s_wait_dscnt 0x1
	v_add_nc_u32_e32 v2, v2, v86
	s_delay_alu instid0(VALU_DEP_1) | instskip(NEXT) | instid1(VALU_DEP_1)
	v_lshlrev_b64_e32 v[40:41], 3, v[2:3]
	v_add_co_u32 v40, vcc_lo, s44, v40
	s_wait_alu 0xfffd
	s_delay_alu instid0(VALU_DEP_2)
	v_add_co_ci_u32_e64 v41, null, s45, v41, vcc_lo
	s_wait_dscnt 0x0
	global_store_b64 v[40:41], v[38:39], off
	s_wait_alu 0xfffe
	s_or_b32 exec_lo, exec_lo, s15
	s_and_saveexec_b32 s15, s21
	s_cbranch_execz .LBB1256_237
.LBB1256_301:                           ;   in Loop: Header=BB1256_101 Depth=2
	v_lshlrev_b32_e32 v2, 2, v156
	ds_load_b32 v2, v2
	ds_load_b64 v[38:39], v110 offset:15360
	s_wait_dscnt 0x1
	v_add_nc_u32_e32 v2, v2, v87
	s_delay_alu instid0(VALU_DEP_1) | instskip(NEXT) | instid1(VALU_DEP_1)
	v_lshlrev_b64_e32 v[40:41], 3, v[2:3]
	v_add_co_u32 v40, vcc_lo, s44, v40
	s_wait_alu 0xfffd
	s_delay_alu instid0(VALU_DEP_2)
	v_add_co_ci_u32_e64 v41, null, s45, v41, vcc_lo
	s_wait_dscnt 0x0
	global_store_b64 v[40:41], v[38:39], off
	s_wait_alu 0xfffe
	s_or_b32 exec_lo, exec_lo, s15
	s_and_saveexec_b32 s15, s22
	s_cbranch_execz .LBB1256_238
.LBB1256_302:                           ;   in Loop: Header=BB1256_101 Depth=2
	v_lshlrev_b32_e32 v2, 2, v155
	ds_load_b32 v2, v2
	ds_load_b64 v[38:39], v110 offset:17408
	s_wait_dscnt 0x1
	v_add_nc_u32_e32 v2, v2, v88
	s_delay_alu instid0(VALU_DEP_1) | instskip(NEXT) | instid1(VALU_DEP_1)
	v_lshlrev_b64_e32 v[40:41], 3, v[2:3]
	v_add_co_u32 v40, vcc_lo, s44, v40
	s_wait_alu 0xfffd
	s_delay_alu instid0(VALU_DEP_2)
	v_add_co_ci_u32_e64 v41, null, s45, v41, vcc_lo
	s_wait_dscnt 0x0
	global_store_b64 v[40:41], v[38:39], off
	s_wait_alu 0xfffe
	s_or_b32 exec_lo, exec_lo, s15
	s_and_saveexec_b32 s15, s23
	s_cbranch_execz .LBB1256_239
.LBB1256_303:                           ;   in Loop: Header=BB1256_101 Depth=2
	v_lshlrev_b32_e32 v2, 2, v154
	ds_load_b32 v2, v2
	ds_load_b64 v[38:39], v110 offset:19456
	s_wait_dscnt 0x1
	v_add_nc_u32_e32 v2, v2, v89
	s_delay_alu instid0(VALU_DEP_1) | instskip(NEXT) | instid1(VALU_DEP_1)
	v_lshlrev_b64_e32 v[40:41], 3, v[2:3]
	v_add_co_u32 v40, vcc_lo, s44, v40
	s_wait_alu 0xfffd
	s_delay_alu instid0(VALU_DEP_2)
	v_add_co_ci_u32_e64 v41, null, s45, v41, vcc_lo
	s_wait_dscnt 0x0
	global_store_b64 v[40:41], v[38:39], off
	s_wait_alu 0xfffe
	s_or_b32 exec_lo, exec_lo, s15
	s_and_saveexec_b32 s15, s24
	s_cbranch_execz .LBB1256_240
.LBB1256_304:                           ;   in Loop: Header=BB1256_101 Depth=2
	v_lshlrev_b32_e32 v2, 2, v153
	ds_load_b32 v2, v2
	ds_load_b64 v[38:39], v110 offset:21504
	s_wait_dscnt 0x1
	v_add_nc_u32_e32 v2, v2, v90
	s_delay_alu instid0(VALU_DEP_1) | instskip(NEXT) | instid1(VALU_DEP_1)
	v_lshlrev_b64_e32 v[40:41], 3, v[2:3]
	v_add_co_u32 v40, vcc_lo, s44, v40
	s_wait_alu 0xfffd
	s_delay_alu instid0(VALU_DEP_2)
	v_add_co_ci_u32_e64 v41, null, s45, v41, vcc_lo
	s_wait_dscnt 0x0
	global_store_b64 v[40:41], v[38:39], off
	s_wait_alu 0xfffe
	s_or_b32 exec_lo, exec_lo, s15
	s_and_saveexec_b32 s15, s25
	s_cbranch_execz .LBB1256_241
.LBB1256_305:                           ;   in Loop: Header=BB1256_101 Depth=2
	v_lshlrev_b32_e32 v2, 2, v152
	ds_load_b32 v2, v2
	ds_load_b64 v[38:39], v110 offset:23552
	s_wait_dscnt 0x1
	v_add_nc_u32_e32 v2, v2, v91
	s_delay_alu instid0(VALU_DEP_1) | instskip(NEXT) | instid1(VALU_DEP_1)
	v_lshlrev_b64_e32 v[40:41], 3, v[2:3]
	v_add_co_u32 v40, vcc_lo, s44, v40
	s_wait_alu 0xfffd
	s_delay_alu instid0(VALU_DEP_2)
	v_add_co_ci_u32_e64 v41, null, s45, v41, vcc_lo
	s_wait_dscnt 0x0
	global_store_b64 v[40:41], v[38:39], off
	s_wait_alu 0xfffe
	s_or_b32 exec_lo, exec_lo, s15
	s_and_saveexec_b32 s15, s26
	s_cbranch_execz .LBB1256_242
.LBB1256_306:                           ;   in Loop: Header=BB1256_101 Depth=2
	v_lshlrev_b32_e32 v2, 2, v151
	ds_load_b32 v2, v2
	ds_load_b64 v[38:39], v110 offset:25600
	s_wait_dscnt 0x1
	v_add_nc_u32_e32 v2, v2, v92
	s_delay_alu instid0(VALU_DEP_1) | instskip(NEXT) | instid1(VALU_DEP_1)
	v_lshlrev_b64_e32 v[40:41], 3, v[2:3]
	v_add_co_u32 v40, vcc_lo, s44, v40
	s_wait_alu 0xfffd
	s_delay_alu instid0(VALU_DEP_2)
	v_add_co_ci_u32_e64 v41, null, s45, v41, vcc_lo
	s_wait_dscnt 0x0
	global_store_b64 v[40:41], v[38:39], off
	s_wait_alu 0xfffe
	s_or_b32 exec_lo, exec_lo, s15
	s_and_saveexec_b32 s15, s27
	s_cbranch_execz .LBB1256_243
.LBB1256_307:                           ;   in Loop: Header=BB1256_101 Depth=2
	v_lshlrev_b32_e32 v2, 2, v150
	ds_load_b32 v2, v2
	ds_load_b64 v[38:39], v110 offset:27648
	s_wait_dscnt 0x1
	v_add_nc_u32_e32 v2, v2, v93
	s_delay_alu instid0(VALU_DEP_1) | instskip(NEXT) | instid1(VALU_DEP_1)
	v_lshlrev_b64_e32 v[40:41], 3, v[2:3]
	v_add_co_u32 v40, vcc_lo, s44, v40
	s_wait_alu 0xfffd
	s_delay_alu instid0(VALU_DEP_2)
	v_add_co_ci_u32_e64 v41, null, s45, v41, vcc_lo
	s_wait_dscnt 0x0
	global_store_b64 v[40:41], v[38:39], off
	s_wait_alu 0xfffe
	s_or_b32 exec_lo, exec_lo, s15
	s_and_saveexec_b32 s15, s28
	s_cbranch_execz .LBB1256_244
.LBB1256_308:                           ;   in Loop: Header=BB1256_101 Depth=2
	v_lshlrev_b32_e32 v2, 2, v149
	ds_load_b32 v2, v2
	ds_load_b64 v[38:39], v110 offset:29696
	s_wait_dscnt 0x1
	v_add_nc_u32_e32 v2, v2, v94
	s_delay_alu instid0(VALU_DEP_1) | instskip(NEXT) | instid1(VALU_DEP_1)
	v_lshlrev_b64_e32 v[40:41], 3, v[2:3]
	v_add_co_u32 v40, vcc_lo, s44, v40
	s_wait_alu 0xfffd
	s_delay_alu instid0(VALU_DEP_2)
	v_add_co_ci_u32_e64 v41, null, s45, v41, vcc_lo
	s_wait_dscnt 0x0
	global_store_b64 v[40:41], v[38:39], off
	s_wait_alu 0xfffe
	s_or_b32 exec_lo, exec_lo, s15
	s_and_saveexec_b32 s15, s29
	s_cbranch_execnz .LBB1256_245
	s_branch .LBB1256_246
.LBB1256_309:                           ;   in Loop: Header=BB1256_17 Depth=1
	s_wait_loadcnt_dscnt 0x0
	s_barrier_signal -1
	s_mov_b32 s6, 0
	s_barrier_wait -1
.LBB1256_310:                           ;   in Loop: Header=BB1256_17 Depth=1
	s_wait_alu 0xfffe
	s_and_b32 vcc_lo, exec_lo, s6
	s_wait_alu 0xfffe
	s_cbranch_vccz .LBB1256_602
; %bb.311:                              ;   in Loop: Header=BB1256_17 Depth=1
	s_mov_b32 s8, s55
	s_mov_b32 s34, s33
	s_barrier_signal -1
	s_barrier_wait -1
	global_inv scope:SCOPE_SE
                                        ; implicit-def: $vgpr6_vgpr7
                                        ; implicit-def: $vgpr8_vgpr9
                                        ; implicit-def: $vgpr10_vgpr11
                                        ; implicit-def: $vgpr12_vgpr13
                                        ; implicit-def: $vgpr14_vgpr15
                                        ; implicit-def: $vgpr16_vgpr17
                                        ; implicit-def: $vgpr18_vgpr19
                                        ; implicit-def: $vgpr20_vgpr21
                                        ; implicit-def: $vgpr22_vgpr23
                                        ; implicit-def: $vgpr24_vgpr25
                                        ; implicit-def: $vgpr26_vgpr27
                                        ; implicit-def: $vgpr28_vgpr29
                                        ; implicit-def: $vgpr30_vgpr31
                                        ; implicit-def: $vgpr32_vgpr33
                                        ; implicit-def: $vgpr34_vgpr35
                                        ; implicit-def: $vgpr36_vgpr37
	s_branch .LBB1256_313
.LBB1256_312:                           ;   in Loop: Header=BB1256_313 Depth=2
	s_wait_alu 0xfffe
	s_or_b32 exec_lo, exec_lo, s6
	s_addk_co_i32 s8, 0xf000
	s_cmp_ge_u32 s9, s51
	s_mov_b32 s34, s9
	s_cbranch_scc1 .LBB1256_381
.LBB1256_313:                           ;   Parent Loop BB1256_17 Depth=1
                                        ; =>  This Inner Loop Header: Depth=2
	s_wait_alu 0xfffe
	s_add_co_i32 s9, s34, 0x1000
	s_mov_b32 s6, -1
	s_wait_alu 0xfffe
	s_cmp_gt_u32 s9, s51
                                        ; implicit-def: $vgpr38_vgpr39
                                        ; implicit-def: $vgpr40_vgpr41
                                        ; implicit-def: $vgpr42_vgpr43
                                        ; implicit-def: $vgpr44_vgpr45
                                        ; implicit-def: $vgpr46_vgpr47
                                        ; implicit-def: $vgpr48_vgpr49
                                        ; implicit-def: $vgpr50_vgpr51
                                        ; implicit-def: $vgpr52_vgpr53
                                        ; implicit-def: $vgpr54_vgpr55
                                        ; implicit-def: $vgpr56_vgpr57
                                        ; implicit-def: $vgpr58_vgpr59
                                        ; implicit-def: $vgpr60_vgpr61
                                        ; implicit-def: $vgpr62_vgpr63
                                        ; implicit-def: $vgpr64_vgpr65
                                        ; implicit-def: $vgpr66_vgpr67
                                        ; implicit-def: $vgpr68_vgpr69
	s_cbranch_scc1 .LBB1256_315
; %bb.314:                              ;   in Loop: Header=BB1256_313 Depth=2
	s_lshl_b64 s[6:7], s[34:35], 3
	s_wait_alu 0xfffe
	v_add_co_u32 v68, vcc_lo, v111, s6
	s_wait_alu 0xfffd
	v_add_co_ci_u32_e64 v69, null, s7, v112, vcc_lo
	s_mov_b32 s6, 0
	s_clause 0xf
	global_load_b64 v[38:39], v[68:69], off
	global_load_b64 v[40:41], v[68:69], off offset:2048
	global_load_b64 v[42:43], v[68:69], off offset:4096
	;; [unrolled: 1-line block ×15, first 2 shown]
.LBB1256_315:                           ;   in Loop: Header=BB1256_313 Depth=2
	s_wait_alu 0xfffe
	s_and_not1_b32 vcc_lo, exec_lo, s6
	s_movk_i32 s6, 0x1000
	s_wait_alu 0xfffe
	s_cbranch_vccnz .LBB1256_334
; %bb.316:                              ;   in Loop: Header=BB1256_313 Depth=2
	s_lshl_b64 s[6:7], s[34:35], 3
	s_mov_b32 s10, exec_lo
	s_wait_alu 0xfffe
	s_add_nc_u64 s[6:7], s[38:39], s[6:7]
	v_cmpx_gt_u32_e64 s8, v1
	s_cbranch_execnz .LBB1256_366
; %bb.317:                              ;   in Loop: Header=BB1256_313 Depth=2
	s_or_b32 exec_lo, exec_lo, s10
	s_delay_alu instid0(SALU_CYCLE_1)
	s_mov_b32 s10, exec_lo
	v_cmpx_gt_u32_e64 s8, v79
	s_cbranch_execnz .LBB1256_367
.LBB1256_318:                           ;   in Loop: Header=BB1256_313 Depth=2
	s_wait_alu 0xfffe
	s_or_b32 exec_lo, exec_lo, s10
	s_delay_alu instid0(SALU_CYCLE_1)
	s_mov_b32 s10, exec_lo
	v_cmpx_gt_u32_e64 s8, v80
	s_cbranch_execnz .LBB1256_368
.LBB1256_319:                           ;   in Loop: Header=BB1256_313 Depth=2
	s_wait_alu 0xfffe
	s_or_b32 exec_lo, exec_lo, s10
	s_delay_alu instid0(SALU_CYCLE_1)
	s_mov_b32 s10, exec_lo
	v_cmpx_gt_u32_e64 s8, v81
	s_cbranch_execnz .LBB1256_369
.LBB1256_320:                           ;   in Loop: Header=BB1256_313 Depth=2
	s_wait_alu 0xfffe
	s_or_b32 exec_lo, exec_lo, s10
	s_delay_alu instid0(SALU_CYCLE_1)
	s_mov_b32 s10, exec_lo
	v_cmpx_gt_u32_e64 s8, v84
	s_cbranch_execnz .LBB1256_370
.LBB1256_321:                           ;   in Loop: Header=BB1256_313 Depth=2
	s_wait_alu 0xfffe
	s_or_b32 exec_lo, exec_lo, s10
	s_delay_alu instid0(SALU_CYCLE_1)
	s_mov_b32 s10, exec_lo
	v_cmpx_gt_u32_e64 s8, v85
	s_cbranch_execnz .LBB1256_371
.LBB1256_322:                           ;   in Loop: Header=BB1256_313 Depth=2
	s_wait_alu 0xfffe
	s_or_b32 exec_lo, exec_lo, s10
	s_delay_alu instid0(SALU_CYCLE_1)
	s_mov_b32 s10, exec_lo
	v_cmpx_gt_u32_e64 s8, v86
	s_cbranch_execnz .LBB1256_372
.LBB1256_323:                           ;   in Loop: Header=BB1256_313 Depth=2
	s_wait_alu 0xfffe
	s_or_b32 exec_lo, exec_lo, s10
	s_delay_alu instid0(SALU_CYCLE_1)
	s_mov_b32 s10, exec_lo
	v_cmpx_gt_u32_e64 s8, v87
	s_cbranch_execnz .LBB1256_373
.LBB1256_324:                           ;   in Loop: Header=BB1256_313 Depth=2
	s_wait_alu 0xfffe
	s_or_b32 exec_lo, exec_lo, s10
	s_delay_alu instid0(SALU_CYCLE_1)
	s_mov_b32 s10, exec_lo
	v_cmpx_gt_u32_e64 s8, v88
	s_cbranch_execnz .LBB1256_374
.LBB1256_325:                           ;   in Loop: Header=BB1256_313 Depth=2
	s_wait_alu 0xfffe
	s_or_b32 exec_lo, exec_lo, s10
	s_delay_alu instid0(SALU_CYCLE_1)
	s_mov_b32 s10, exec_lo
	v_cmpx_gt_u32_e64 s8, v89
	s_cbranch_execnz .LBB1256_375
.LBB1256_326:                           ;   in Loop: Header=BB1256_313 Depth=2
	s_wait_alu 0xfffe
	s_or_b32 exec_lo, exec_lo, s10
	s_delay_alu instid0(SALU_CYCLE_1)
	s_mov_b32 s10, exec_lo
	v_cmpx_gt_u32_e64 s8, v90
	s_cbranch_execnz .LBB1256_376
.LBB1256_327:                           ;   in Loop: Header=BB1256_313 Depth=2
	s_wait_alu 0xfffe
	s_or_b32 exec_lo, exec_lo, s10
	s_delay_alu instid0(SALU_CYCLE_1)
	s_mov_b32 s10, exec_lo
	v_cmpx_gt_u32_e64 s8, v91
	s_cbranch_execnz .LBB1256_377
.LBB1256_328:                           ;   in Loop: Header=BB1256_313 Depth=2
	s_wait_alu 0xfffe
	s_or_b32 exec_lo, exec_lo, s10
	s_delay_alu instid0(SALU_CYCLE_1)
	s_mov_b32 s10, exec_lo
	v_cmpx_gt_u32_e64 s8, v92
	s_cbranch_execnz .LBB1256_378
.LBB1256_329:                           ;   in Loop: Header=BB1256_313 Depth=2
	s_wait_alu 0xfffe
	s_or_b32 exec_lo, exec_lo, s10
	s_delay_alu instid0(SALU_CYCLE_1)
	s_mov_b32 s10, exec_lo
	v_cmpx_gt_u32_e64 s8, v93
	s_cbranch_execnz .LBB1256_379
.LBB1256_330:                           ;   in Loop: Header=BB1256_313 Depth=2
	s_wait_alu 0xfffe
	s_or_b32 exec_lo, exec_lo, s10
	s_delay_alu instid0(SALU_CYCLE_1)
	s_mov_b32 s10, exec_lo
	v_cmpx_gt_u32_e64 s8, v94
	s_cbranch_execnz .LBB1256_380
.LBB1256_331:                           ;   in Loop: Header=BB1256_313 Depth=2
	s_wait_alu 0xfffe
	s_or_b32 exec_lo, exec_lo, s10
	s_delay_alu instid0(SALU_CYCLE_1)
	s_mov_b32 s10, exec_lo
	v_cmpx_gt_u32_e64 s8, v95
	s_cbranch_execz .LBB1256_333
.LBB1256_332:                           ;   in Loop: Header=BB1256_313 Depth=2
	global_load_b64 v[6:7], v124, s[6:7] offset:30720
.LBB1256_333:                           ;   in Loop: Header=BB1256_313 Depth=2
	s_wait_alu 0xfffe
	s_or_b32 exec_lo, exec_lo, s10
	s_wait_loadcnt 0x0
	v_dual_mov_b32 v39, v37 :: v_dual_mov_b32 v38, v36
	v_dual_mov_b32 v41, v35 :: v_dual_mov_b32 v40, v34
	;; [unrolled: 1-line block ×16, first 2 shown]
	s_mov_b32 s6, s8
.LBB1256_334:                           ;   in Loop: Header=BB1256_313 Depth=2
	s_wait_loadcnt 0x0
	s_delay_alu instid0(VALU_DEP_1)
	v_dual_mov_b32 v6, v68 :: v_dual_mov_b32 v7, v69
	v_dual_mov_b32 v8, v66 :: v_dual_mov_b32 v9, v67
	;; [unrolled: 1-line block ×16, first 2 shown]
	s_mov_b32 s7, exec_lo
	s_wait_alu 0xfffe
	v_cmpx_gt_u32_e64 s6, v1
	s_cbranch_execnz .LBB1256_350
; %bb.335:                              ;   in Loop: Header=BB1256_313 Depth=2
	s_or_b32 exec_lo, exec_lo, s7
	s_delay_alu instid0(SALU_CYCLE_1)
	s_mov_b32 s7, exec_lo
	v_cmpx_gt_u32_e64 s6, v79
	s_cbranch_execnz .LBB1256_351
.LBB1256_336:                           ;   in Loop: Header=BB1256_313 Depth=2
	s_wait_alu 0xfffe
	s_or_b32 exec_lo, exec_lo, s7
	s_delay_alu instid0(SALU_CYCLE_1)
	s_mov_b32 s7, exec_lo
	v_cmpx_gt_u32_e64 s6, v80
	s_cbranch_execnz .LBB1256_352
.LBB1256_337:                           ;   in Loop: Header=BB1256_313 Depth=2
	s_wait_alu 0xfffe
	s_or_b32 exec_lo, exec_lo, s7
	s_delay_alu instid0(SALU_CYCLE_1)
	s_mov_b32 s7, exec_lo
	v_cmpx_gt_u32_e64 s6, v81
	s_cbranch_execnz .LBB1256_353
.LBB1256_338:                           ;   in Loop: Header=BB1256_313 Depth=2
	s_wait_alu 0xfffe
	s_or_b32 exec_lo, exec_lo, s7
	s_delay_alu instid0(SALU_CYCLE_1)
	s_mov_b32 s7, exec_lo
	v_cmpx_gt_u32_e64 s6, v84
	s_cbranch_execnz .LBB1256_354
.LBB1256_339:                           ;   in Loop: Header=BB1256_313 Depth=2
	s_wait_alu 0xfffe
	s_or_b32 exec_lo, exec_lo, s7
	s_delay_alu instid0(SALU_CYCLE_1)
	s_mov_b32 s7, exec_lo
	v_cmpx_gt_u32_e64 s6, v85
	s_cbranch_execnz .LBB1256_355
.LBB1256_340:                           ;   in Loop: Header=BB1256_313 Depth=2
	s_wait_alu 0xfffe
	s_or_b32 exec_lo, exec_lo, s7
	s_delay_alu instid0(SALU_CYCLE_1)
	s_mov_b32 s7, exec_lo
	v_cmpx_gt_u32_e64 s6, v86
	s_cbranch_execnz .LBB1256_356
.LBB1256_341:                           ;   in Loop: Header=BB1256_313 Depth=2
	s_wait_alu 0xfffe
	s_or_b32 exec_lo, exec_lo, s7
	s_delay_alu instid0(SALU_CYCLE_1)
	s_mov_b32 s7, exec_lo
	v_cmpx_gt_u32_e64 s6, v87
	s_cbranch_execnz .LBB1256_357
.LBB1256_342:                           ;   in Loop: Header=BB1256_313 Depth=2
	s_wait_alu 0xfffe
	s_or_b32 exec_lo, exec_lo, s7
	s_delay_alu instid0(SALU_CYCLE_1)
	s_mov_b32 s7, exec_lo
	v_cmpx_gt_u32_e64 s6, v88
	s_cbranch_execnz .LBB1256_358
.LBB1256_343:                           ;   in Loop: Header=BB1256_313 Depth=2
	s_wait_alu 0xfffe
	s_or_b32 exec_lo, exec_lo, s7
	s_delay_alu instid0(SALU_CYCLE_1)
	s_mov_b32 s7, exec_lo
	v_cmpx_gt_u32_e64 s6, v89
	s_cbranch_execnz .LBB1256_359
.LBB1256_344:                           ;   in Loop: Header=BB1256_313 Depth=2
	s_wait_alu 0xfffe
	s_or_b32 exec_lo, exec_lo, s7
	s_delay_alu instid0(SALU_CYCLE_1)
	s_mov_b32 s7, exec_lo
	v_cmpx_gt_u32_e64 s6, v90
	s_cbranch_execnz .LBB1256_360
.LBB1256_345:                           ;   in Loop: Header=BB1256_313 Depth=2
	s_wait_alu 0xfffe
	s_or_b32 exec_lo, exec_lo, s7
	s_delay_alu instid0(SALU_CYCLE_1)
	s_mov_b32 s7, exec_lo
	v_cmpx_gt_u32_e64 s6, v91
	s_cbranch_execnz .LBB1256_361
.LBB1256_346:                           ;   in Loop: Header=BB1256_313 Depth=2
	s_wait_alu 0xfffe
	s_or_b32 exec_lo, exec_lo, s7
	s_delay_alu instid0(SALU_CYCLE_1)
	s_mov_b32 s7, exec_lo
	v_cmpx_gt_u32_e64 s6, v92
	s_cbranch_execnz .LBB1256_362
.LBB1256_347:                           ;   in Loop: Header=BB1256_313 Depth=2
	s_wait_alu 0xfffe
	s_or_b32 exec_lo, exec_lo, s7
	s_delay_alu instid0(SALU_CYCLE_1)
	s_mov_b32 s7, exec_lo
	v_cmpx_gt_u32_e64 s6, v93
	s_cbranch_execnz .LBB1256_363
.LBB1256_348:                           ;   in Loop: Header=BB1256_313 Depth=2
	s_wait_alu 0xfffe
	s_or_b32 exec_lo, exec_lo, s7
	s_delay_alu instid0(SALU_CYCLE_1)
	s_mov_b32 s7, exec_lo
	v_cmpx_gt_u32_e64 s6, v94
	s_cbranch_execnz .LBB1256_364
.LBB1256_349:                           ;   in Loop: Header=BB1256_313 Depth=2
	s_wait_alu 0xfffe
	s_or_b32 exec_lo, exec_lo, s7
	v_cmp_gt_u32_e32 vcc_lo, s6, v95
	s_and_saveexec_b32 s6, vcc_lo
	s_cbranch_execz .LBB1256_312
	s_branch .LBB1256_365
.LBB1256_350:                           ;   in Loop: Header=BB1256_313 Depth=2
	v_cmp_lt_i64_e32 vcc_lo, -1, v[36:37]
	v_ashrrev_i32_e32 v38, 31, v37
	s_delay_alu instid0(VALU_DEP_1) | instskip(SKIP_2) | instid1(VALU_DEP_1)
	v_xor_b32_e32 v38, v38, v36
	s_wait_alu 0xfffd
	v_cndmask_b32_e64 v2, -1, 0x80000000, vcc_lo
	v_xor_b32_e32 v39, v2, v37
	s_delay_alu instid0(VALU_DEP_1) | instskip(SKIP_3) | instid1(VALU_DEP_1)
	v_cmp_ne_u64_e32 vcc_lo, s[42:43], v[38:39]
	s_wait_alu 0xfffd
	v_cndmask_b32_e32 v39, 0x80000000, v39, vcc_lo
	v_cndmask_b32_e32 v38, 0, v38, vcc_lo
	v_lshrrev_b64 v[38:39], s48, v[38:39]
	s_delay_alu instid0(VALU_DEP_1) | instskip(NEXT) | instid1(VALU_DEP_1)
	v_and_b32_e32 v2, s57, v38
	v_lshl_or_b32 v2, v2, 4, v96
	ds_add_u32 v2, v123
	s_or_b32 exec_lo, exec_lo, s7
	s_delay_alu instid0(SALU_CYCLE_1)
	s_mov_b32 s7, exec_lo
	v_cmpx_gt_u32_e64 s6, v79
	s_cbranch_execz .LBB1256_336
.LBB1256_351:                           ;   in Loop: Header=BB1256_313 Depth=2
	v_cmp_lt_i64_e32 vcc_lo, -1, v[34:35]
	v_ashrrev_i32_e32 v38, 31, v35
	s_delay_alu instid0(VALU_DEP_1) | instskip(SKIP_2) | instid1(VALU_DEP_1)
	v_xor_b32_e32 v38, v38, v34
	s_wait_alu 0xfffd
	v_cndmask_b32_e64 v2, -1, 0x80000000, vcc_lo
	v_xor_b32_e32 v39, v2, v35
	s_delay_alu instid0(VALU_DEP_1) | instskip(SKIP_3) | instid1(VALU_DEP_1)
	v_cmp_ne_u64_e32 vcc_lo, s[42:43], v[38:39]
	s_wait_alu 0xfffd
	v_cndmask_b32_e32 v39, 0x80000000, v39, vcc_lo
	v_cndmask_b32_e32 v38, 0, v38, vcc_lo
	v_lshrrev_b64 v[38:39], s48, v[38:39]
	s_delay_alu instid0(VALU_DEP_1) | instskip(NEXT) | instid1(VALU_DEP_1)
	v_and_b32_e32 v2, s57, v38
	v_lshl_or_b32 v2, v2, 4, v96
	ds_add_u32 v2, v123
	s_wait_alu 0xfffe
	s_or_b32 exec_lo, exec_lo, s7
	s_delay_alu instid0(SALU_CYCLE_1)
	s_mov_b32 s7, exec_lo
	v_cmpx_gt_u32_e64 s6, v80
	s_cbranch_execz .LBB1256_337
.LBB1256_352:                           ;   in Loop: Header=BB1256_313 Depth=2
	v_cmp_lt_i64_e32 vcc_lo, -1, v[32:33]
	v_ashrrev_i32_e32 v38, 31, v33
	s_delay_alu instid0(VALU_DEP_1) | instskip(SKIP_2) | instid1(VALU_DEP_1)
	v_xor_b32_e32 v38, v38, v32
	s_wait_alu 0xfffd
	v_cndmask_b32_e64 v2, -1, 0x80000000, vcc_lo
	v_xor_b32_e32 v39, v2, v33
	s_delay_alu instid0(VALU_DEP_1) | instskip(SKIP_3) | instid1(VALU_DEP_1)
	v_cmp_ne_u64_e32 vcc_lo, s[42:43], v[38:39]
	s_wait_alu 0xfffd
	v_cndmask_b32_e32 v39, 0x80000000, v39, vcc_lo
	v_cndmask_b32_e32 v38, 0, v38, vcc_lo
	v_lshrrev_b64 v[38:39], s48, v[38:39]
	s_delay_alu instid0(VALU_DEP_1) | instskip(NEXT) | instid1(VALU_DEP_1)
	v_and_b32_e32 v2, s57, v38
	v_lshl_or_b32 v2, v2, 4, v96
	ds_add_u32 v2, v123
	s_wait_alu 0xfffe
	s_or_b32 exec_lo, exec_lo, s7
	s_delay_alu instid0(SALU_CYCLE_1)
	s_mov_b32 s7, exec_lo
	v_cmpx_gt_u32_e64 s6, v81
	s_cbranch_execz .LBB1256_338
.LBB1256_353:                           ;   in Loop: Header=BB1256_313 Depth=2
	v_cmp_lt_i64_e32 vcc_lo, -1, v[30:31]
	v_ashrrev_i32_e32 v38, 31, v31
	s_delay_alu instid0(VALU_DEP_1) | instskip(SKIP_2) | instid1(VALU_DEP_1)
	v_xor_b32_e32 v38, v38, v30
	s_wait_alu 0xfffd
	v_cndmask_b32_e64 v2, -1, 0x80000000, vcc_lo
	v_xor_b32_e32 v39, v2, v31
	s_delay_alu instid0(VALU_DEP_1) | instskip(SKIP_3) | instid1(VALU_DEP_1)
	v_cmp_ne_u64_e32 vcc_lo, s[42:43], v[38:39]
	s_wait_alu 0xfffd
	v_cndmask_b32_e32 v39, 0x80000000, v39, vcc_lo
	v_cndmask_b32_e32 v38, 0, v38, vcc_lo
	v_lshrrev_b64 v[38:39], s48, v[38:39]
	s_delay_alu instid0(VALU_DEP_1) | instskip(NEXT) | instid1(VALU_DEP_1)
	v_and_b32_e32 v2, s57, v38
	v_lshl_or_b32 v2, v2, 4, v96
	ds_add_u32 v2, v123
	s_wait_alu 0xfffe
	s_or_b32 exec_lo, exec_lo, s7
	s_delay_alu instid0(SALU_CYCLE_1)
	s_mov_b32 s7, exec_lo
	v_cmpx_gt_u32_e64 s6, v84
	s_cbranch_execz .LBB1256_339
.LBB1256_354:                           ;   in Loop: Header=BB1256_313 Depth=2
	v_cmp_lt_i64_e32 vcc_lo, -1, v[28:29]
	v_ashrrev_i32_e32 v38, 31, v29
	s_delay_alu instid0(VALU_DEP_1) | instskip(SKIP_2) | instid1(VALU_DEP_1)
	v_xor_b32_e32 v38, v38, v28
	s_wait_alu 0xfffd
	v_cndmask_b32_e64 v2, -1, 0x80000000, vcc_lo
	v_xor_b32_e32 v39, v2, v29
	s_delay_alu instid0(VALU_DEP_1) | instskip(SKIP_3) | instid1(VALU_DEP_1)
	v_cmp_ne_u64_e32 vcc_lo, s[42:43], v[38:39]
	s_wait_alu 0xfffd
	v_cndmask_b32_e32 v39, 0x80000000, v39, vcc_lo
	v_cndmask_b32_e32 v38, 0, v38, vcc_lo
	v_lshrrev_b64 v[38:39], s48, v[38:39]
	s_delay_alu instid0(VALU_DEP_1) | instskip(NEXT) | instid1(VALU_DEP_1)
	v_and_b32_e32 v2, s57, v38
	v_lshl_or_b32 v2, v2, 4, v96
	ds_add_u32 v2, v123
	s_wait_alu 0xfffe
	s_or_b32 exec_lo, exec_lo, s7
	s_delay_alu instid0(SALU_CYCLE_1)
	s_mov_b32 s7, exec_lo
	v_cmpx_gt_u32_e64 s6, v85
	s_cbranch_execz .LBB1256_340
.LBB1256_355:                           ;   in Loop: Header=BB1256_313 Depth=2
	v_cmp_lt_i64_e32 vcc_lo, -1, v[26:27]
	v_ashrrev_i32_e32 v38, 31, v27
	s_delay_alu instid0(VALU_DEP_1) | instskip(SKIP_2) | instid1(VALU_DEP_1)
	v_xor_b32_e32 v38, v38, v26
	s_wait_alu 0xfffd
	v_cndmask_b32_e64 v2, -1, 0x80000000, vcc_lo
	v_xor_b32_e32 v39, v2, v27
	s_delay_alu instid0(VALU_DEP_1) | instskip(SKIP_3) | instid1(VALU_DEP_1)
	v_cmp_ne_u64_e32 vcc_lo, s[42:43], v[38:39]
	s_wait_alu 0xfffd
	v_cndmask_b32_e32 v39, 0x80000000, v39, vcc_lo
	v_cndmask_b32_e32 v38, 0, v38, vcc_lo
	v_lshrrev_b64 v[38:39], s48, v[38:39]
	s_delay_alu instid0(VALU_DEP_1) | instskip(NEXT) | instid1(VALU_DEP_1)
	v_and_b32_e32 v2, s57, v38
	v_lshl_or_b32 v2, v2, 4, v96
	ds_add_u32 v2, v123
	s_wait_alu 0xfffe
	s_or_b32 exec_lo, exec_lo, s7
	s_delay_alu instid0(SALU_CYCLE_1)
	s_mov_b32 s7, exec_lo
	v_cmpx_gt_u32_e64 s6, v86
	s_cbranch_execz .LBB1256_341
.LBB1256_356:                           ;   in Loop: Header=BB1256_313 Depth=2
	v_cmp_lt_i64_e32 vcc_lo, -1, v[24:25]
	v_ashrrev_i32_e32 v38, 31, v25
	s_delay_alu instid0(VALU_DEP_1) | instskip(SKIP_2) | instid1(VALU_DEP_1)
	v_xor_b32_e32 v38, v38, v24
	s_wait_alu 0xfffd
	v_cndmask_b32_e64 v2, -1, 0x80000000, vcc_lo
	v_xor_b32_e32 v39, v2, v25
	s_delay_alu instid0(VALU_DEP_1) | instskip(SKIP_3) | instid1(VALU_DEP_1)
	v_cmp_ne_u64_e32 vcc_lo, s[42:43], v[38:39]
	s_wait_alu 0xfffd
	v_cndmask_b32_e32 v39, 0x80000000, v39, vcc_lo
	v_cndmask_b32_e32 v38, 0, v38, vcc_lo
	v_lshrrev_b64 v[38:39], s48, v[38:39]
	s_delay_alu instid0(VALU_DEP_1) | instskip(NEXT) | instid1(VALU_DEP_1)
	v_and_b32_e32 v2, s57, v38
	v_lshl_or_b32 v2, v2, 4, v96
	ds_add_u32 v2, v123
	s_wait_alu 0xfffe
	s_or_b32 exec_lo, exec_lo, s7
	s_delay_alu instid0(SALU_CYCLE_1)
	s_mov_b32 s7, exec_lo
	v_cmpx_gt_u32_e64 s6, v87
	s_cbranch_execz .LBB1256_342
.LBB1256_357:                           ;   in Loop: Header=BB1256_313 Depth=2
	v_cmp_lt_i64_e32 vcc_lo, -1, v[22:23]
	v_ashrrev_i32_e32 v38, 31, v23
	s_delay_alu instid0(VALU_DEP_1) | instskip(SKIP_2) | instid1(VALU_DEP_1)
	v_xor_b32_e32 v38, v38, v22
	s_wait_alu 0xfffd
	v_cndmask_b32_e64 v2, -1, 0x80000000, vcc_lo
	v_xor_b32_e32 v39, v2, v23
	s_delay_alu instid0(VALU_DEP_1) | instskip(SKIP_3) | instid1(VALU_DEP_1)
	v_cmp_ne_u64_e32 vcc_lo, s[42:43], v[38:39]
	s_wait_alu 0xfffd
	v_cndmask_b32_e32 v39, 0x80000000, v39, vcc_lo
	v_cndmask_b32_e32 v38, 0, v38, vcc_lo
	v_lshrrev_b64 v[38:39], s48, v[38:39]
	s_delay_alu instid0(VALU_DEP_1) | instskip(NEXT) | instid1(VALU_DEP_1)
	v_and_b32_e32 v2, s57, v38
	v_lshl_or_b32 v2, v2, 4, v96
	ds_add_u32 v2, v123
	s_wait_alu 0xfffe
	s_or_b32 exec_lo, exec_lo, s7
	s_delay_alu instid0(SALU_CYCLE_1)
	s_mov_b32 s7, exec_lo
	v_cmpx_gt_u32_e64 s6, v88
	s_cbranch_execz .LBB1256_343
.LBB1256_358:                           ;   in Loop: Header=BB1256_313 Depth=2
	v_cmp_lt_i64_e32 vcc_lo, -1, v[20:21]
	v_ashrrev_i32_e32 v38, 31, v21
	s_delay_alu instid0(VALU_DEP_1) | instskip(SKIP_2) | instid1(VALU_DEP_1)
	v_xor_b32_e32 v38, v38, v20
	s_wait_alu 0xfffd
	v_cndmask_b32_e64 v2, -1, 0x80000000, vcc_lo
	v_xor_b32_e32 v39, v2, v21
	s_delay_alu instid0(VALU_DEP_1) | instskip(SKIP_3) | instid1(VALU_DEP_1)
	v_cmp_ne_u64_e32 vcc_lo, s[42:43], v[38:39]
	s_wait_alu 0xfffd
	v_cndmask_b32_e32 v39, 0x80000000, v39, vcc_lo
	v_cndmask_b32_e32 v38, 0, v38, vcc_lo
	v_lshrrev_b64 v[38:39], s48, v[38:39]
	s_delay_alu instid0(VALU_DEP_1) | instskip(NEXT) | instid1(VALU_DEP_1)
	v_and_b32_e32 v2, s57, v38
	v_lshl_or_b32 v2, v2, 4, v96
	ds_add_u32 v2, v123
	s_wait_alu 0xfffe
	s_or_b32 exec_lo, exec_lo, s7
	s_delay_alu instid0(SALU_CYCLE_1)
	s_mov_b32 s7, exec_lo
	v_cmpx_gt_u32_e64 s6, v89
	s_cbranch_execz .LBB1256_344
.LBB1256_359:                           ;   in Loop: Header=BB1256_313 Depth=2
	v_cmp_lt_i64_e32 vcc_lo, -1, v[18:19]
	v_ashrrev_i32_e32 v38, 31, v19
	s_delay_alu instid0(VALU_DEP_1) | instskip(SKIP_2) | instid1(VALU_DEP_1)
	v_xor_b32_e32 v38, v38, v18
	s_wait_alu 0xfffd
	v_cndmask_b32_e64 v2, -1, 0x80000000, vcc_lo
	v_xor_b32_e32 v39, v2, v19
	s_delay_alu instid0(VALU_DEP_1) | instskip(SKIP_3) | instid1(VALU_DEP_1)
	v_cmp_ne_u64_e32 vcc_lo, s[42:43], v[38:39]
	s_wait_alu 0xfffd
	v_cndmask_b32_e32 v39, 0x80000000, v39, vcc_lo
	v_cndmask_b32_e32 v38, 0, v38, vcc_lo
	v_lshrrev_b64 v[38:39], s48, v[38:39]
	s_delay_alu instid0(VALU_DEP_1) | instskip(NEXT) | instid1(VALU_DEP_1)
	v_and_b32_e32 v2, s57, v38
	v_lshl_or_b32 v2, v2, 4, v96
	ds_add_u32 v2, v123
	s_wait_alu 0xfffe
	s_or_b32 exec_lo, exec_lo, s7
	s_delay_alu instid0(SALU_CYCLE_1)
	s_mov_b32 s7, exec_lo
	v_cmpx_gt_u32_e64 s6, v90
	s_cbranch_execz .LBB1256_345
.LBB1256_360:                           ;   in Loop: Header=BB1256_313 Depth=2
	v_cmp_lt_i64_e32 vcc_lo, -1, v[16:17]
	v_ashrrev_i32_e32 v38, 31, v17
	s_delay_alu instid0(VALU_DEP_1) | instskip(SKIP_2) | instid1(VALU_DEP_1)
	v_xor_b32_e32 v38, v38, v16
	s_wait_alu 0xfffd
	v_cndmask_b32_e64 v2, -1, 0x80000000, vcc_lo
	v_xor_b32_e32 v39, v2, v17
	s_delay_alu instid0(VALU_DEP_1) | instskip(SKIP_3) | instid1(VALU_DEP_1)
	v_cmp_ne_u64_e32 vcc_lo, s[42:43], v[38:39]
	s_wait_alu 0xfffd
	v_cndmask_b32_e32 v39, 0x80000000, v39, vcc_lo
	v_cndmask_b32_e32 v38, 0, v38, vcc_lo
	v_lshrrev_b64 v[38:39], s48, v[38:39]
	s_delay_alu instid0(VALU_DEP_1) | instskip(NEXT) | instid1(VALU_DEP_1)
	v_and_b32_e32 v2, s57, v38
	v_lshl_or_b32 v2, v2, 4, v96
	ds_add_u32 v2, v123
	s_wait_alu 0xfffe
	s_or_b32 exec_lo, exec_lo, s7
	s_delay_alu instid0(SALU_CYCLE_1)
	s_mov_b32 s7, exec_lo
	v_cmpx_gt_u32_e64 s6, v91
	s_cbranch_execz .LBB1256_346
.LBB1256_361:                           ;   in Loop: Header=BB1256_313 Depth=2
	v_cmp_lt_i64_e32 vcc_lo, -1, v[14:15]
	v_ashrrev_i32_e32 v38, 31, v15
	s_delay_alu instid0(VALU_DEP_1) | instskip(SKIP_2) | instid1(VALU_DEP_1)
	v_xor_b32_e32 v38, v38, v14
	s_wait_alu 0xfffd
	v_cndmask_b32_e64 v2, -1, 0x80000000, vcc_lo
	v_xor_b32_e32 v39, v2, v15
	s_delay_alu instid0(VALU_DEP_1) | instskip(SKIP_3) | instid1(VALU_DEP_1)
	v_cmp_ne_u64_e32 vcc_lo, s[42:43], v[38:39]
	s_wait_alu 0xfffd
	v_cndmask_b32_e32 v39, 0x80000000, v39, vcc_lo
	v_cndmask_b32_e32 v38, 0, v38, vcc_lo
	v_lshrrev_b64 v[38:39], s48, v[38:39]
	s_delay_alu instid0(VALU_DEP_1) | instskip(NEXT) | instid1(VALU_DEP_1)
	v_and_b32_e32 v2, s57, v38
	v_lshl_or_b32 v2, v2, 4, v96
	ds_add_u32 v2, v123
	s_wait_alu 0xfffe
	s_or_b32 exec_lo, exec_lo, s7
	s_delay_alu instid0(SALU_CYCLE_1)
	s_mov_b32 s7, exec_lo
	v_cmpx_gt_u32_e64 s6, v92
	s_cbranch_execz .LBB1256_347
.LBB1256_362:                           ;   in Loop: Header=BB1256_313 Depth=2
	v_cmp_lt_i64_e32 vcc_lo, -1, v[12:13]
	v_ashrrev_i32_e32 v38, 31, v13
	s_delay_alu instid0(VALU_DEP_1) | instskip(SKIP_2) | instid1(VALU_DEP_1)
	v_xor_b32_e32 v38, v38, v12
	s_wait_alu 0xfffd
	v_cndmask_b32_e64 v2, -1, 0x80000000, vcc_lo
	v_xor_b32_e32 v39, v2, v13
	s_delay_alu instid0(VALU_DEP_1) | instskip(SKIP_3) | instid1(VALU_DEP_1)
	v_cmp_ne_u64_e32 vcc_lo, s[42:43], v[38:39]
	s_wait_alu 0xfffd
	v_cndmask_b32_e32 v39, 0x80000000, v39, vcc_lo
	v_cndmask_b32_e32 v38, 0, v38, vcc_lo
	v_lshrrev_b64 v[38:39], s48, v[38:39]
	s_delay_alu instid0(VALU_DEP_1) | instskip(NEXT) | instid1(VALU_DEP_1)
	v_and_b32_e32 v2, s57, v38
	v_lshl_or_b32 v2, v2, 4, v96
	ds_add_u32 v2, v123
	s_wait_alu 0xfffe
	s_or_b32 exec_lo, exec_lo, s7
	s_delay_alu instid0(SALU_CYCLE_1)
	s_mov_b32 s7, exec_lo
	v_cmpx_gt_u32_e64 s6, v93
	s_cbranch_execz .LBB1256_348
.LBB1256_363:                           ;   in Loop: Header=BB1256_313 Depth=2
	v_cmp_lt_i64_e32 vcc_lo, -1, v[10:11]
	v_ashrrev_i32_e32 v38, 31, v11
	s_delay_alu instid0(VALU_DEP_1) | instskip(SKIP_2) | instid1(VALU_DEP_1)
	v_xor_b32_e32 v38, v38, v10
	s_wait_alu 0xfffd
	v_cndmask_b32_e64 v2, -1, 0x80000000, vcc_lo
	v_xor_b32_e32 v39, v2, v11
	s_delay_alu instid0(VALU_DEP_1) | instskip(SKIP_3) | instid1(VALU_DEP_1)
	v_cmp_ne_u64_e32 vcc_lo, s[42:43], v[38:39]
	s_wait_alu 0xfffd
	v_cndmask_b32_e32 v39, 0x80000000, v39, vcc_lo
	v_cndmask_b32_e32 v38, 0, v38, vcc_lo
	v_lshrrev_b64 v[38:39], s48, v[38:39]
	s_delay_alu instid0(VALU_DEP_1) | instskip(NEXT) | instid1(VALU_DEP_1)
	v_and_b32_e32 v2, s57, v38
	v_lshl_or_b32 v2, v2, 4, v96
	ds_add_u32 v2, v123
	s_wait_alu 0xfffe
	s_or_b32 exec_lo, exec_lo, s7
	s_delay_alu instid0(SALU_CYCLE_1)
	s_mov_b32 s7, exec_lo
	v_cmpx_gt_u32_e64 s6, v94
	s_cbranch_execz .LBB1256_349
.LBB1256_364:                           ;   in Loop: Header=BB1256_313 Depth=2
	v_cmp_lt_i64_e32 vcc_lo, -1, v[8:9]
	v_ashrrev_i32_e32 v38, 31, v9
	s_delay_alu instid0(VALU_DEP_1) | instskip(SKIP_2) | instid1(VALU_DEP_1)
	v_xor_b32_e32 v38, v38, v8
	s_wait_alu 0xfffd
	v_cndmask_b32_e64 v2, -1, 0x80000000, vcc_lo
	v_xor_b32_e32 v39, v2, v9
	s_delay_alu instid0(VALU_DEP_1) | instskip(SKIP_3) | instid1(VALU_DEP_1)
	v_cmp_ne_u64_e32 vcc_lo, s[42:43], v[38:39]
	s_wait_alu 0xfffd
	v_cndmask_b32_e32 v39, 0x80000000, v39, vcc_lo
	v_cndmask_b32_e32 v38, 0, v38, vcc_lo
	v_lshrrev_b64 v[38:39], s48, v[38:39]
	s_delay_alu instid0(VALU_DEP_1) | instskip(NEXT) | instid1(VALU_DEP_1)
	v_and_b32_e32 v2, s57, v38
	v_lshl_or_b32 v2, v2, 4, v96
	ds_add_u32 v2, v123
	s_wait_alu 0xfffe
	s_or_b32 exec_lo, exec_lo, s7
	v_cmp_gt_u32_e32 vcc_lo, s6, v95
	s_and_saveexec_b32 s6, vcc_lo
	s_cbranch_execz .LBB1256_312
.LBB1256_365:                           ;   in Loop: Header=BB1256_313 Depth=2
	v_cmp_lt_i64_e32 vcc_lo, -1, v[6:7]
	v_ashrrev_i32_e32 v38, 31, v7
	s_delay_alu instid0(VALU_DEP_1) | instskip(SKIP_2) | instid1(VALU_DEP_1)
	v_xor_b32_e32 v38, v38, v6
	s_wait_alu 0xfffd
	v_cndmask_b32_e64 v2, -1, 0x80000000, vcc_lo
	v_xor_b32_e32 v39, v2, v7
	s_delay_alu instid0(VALU_DEP_1) | instskip(SKIP_3) | instid1(VALU_DEP_1)
	v_cmp_ne_u64_e32 vcc_lo, s[42:43], v[38:39]
	s_wait_alu 0xfffd
	v_cndmask_b32_e32 v39, 0x80000000, v39, vcc_lo
	v_cndmask_b32_e32 v38, 0, v38, vcc_lo
	v_lshrrev_b64 v[38:39], s48, v[38:39]
	s_delay_alu instid0(VALU_DEP_1) | instskip(NEXT) | instid1(VALU_DEP_1)
	v_and_b32_e32 v2, s57, v38
	v_lshl_or_b32 v2, v2, 4, v96
	ds_add_u32 v2, v123
	s_branch .LBB1256_312
.LBB1256_366:                           ;   in Loop: Header=BB1256_313 Depth=2
	global_load_b64 v[36:37], v124, s[6:7]
	s_or_b32 exec_lo, exec_lo, s10
	s_delay_alu instid0(SALU_CYCLE_1)
	s_mov_b32 s10, exec_lo
	v_cmpx_gt_u32_e64 s8, v79
	s_cbranch_execz .LBB1256_318
.LBB1256_367:                           ;   in Loop: Header=BB1256_313 Depth=2
	global_load_b64 v[34:35], v124, s[6:7] offset:2048
	s_wait_alu 0xfffe
	s_or_b32 exec_lo, exec_lo, s10
	s_delay_alu instid0(SALU_CYCLE_1)
	s_mov_b32 s10, exec_lo
	v_cmpx_gt_u32_e64 s8, v80
	s_cbranch_execz .LBB1256_319
.LBB1256_368:                           ;   in Loop: Header=BB1256_313 Depth=2
	global_load_b64 v[32:33], v124, s[6:7] offset:4096
	s_wait_alu 0xfffe
	s_or_b32 exec_lo, exec_lo, s10
	s_delay_alu instid0(SALU_CYCLE_1)
	s_mov_b32 s10, exec_lo
	v_cmpx_gt_u32_e64 s8, v81
	s_cbranch_execz .LBB1256_320
.LBB1256_369:                           ;   in Loop: Header=BB1256_313 Depth=2
	global_load_b64 v[30:31], v124, s[6:7] offset:6144
	s_wait_alu 0xfffe
	s_or_b32 exec_lo, exec_lo, s10
	s_delay_alu instid0(SALU_CYCLE_1)
	s_mov_b32 s10, exec_lo
	v_cmpx_gt_u32_e64 s8, v84
	s_cbranch_execz .LBB1256_321
.LBB1256_370:                           ;   in Loop: Header=BB1256_313 Depth=2
	global_load_b64 v[28:29], v124, s[6:7] offset:8192
	s_wait_alu 0xfffe
	s_or_b32 exec_lo, exec_lo, s10
	s_delay_alu instid0(SALU_CYCLE_1)
	s_mov_b32 s10, exec_lo
	v_cmpx_gt_u32_e64 s8, v85
	s_cbranch_execz .LBB1256_322
.LBB1256_371:                           ;   in Loop: Header=BB1256_313 Depth=2
	global_load_b64 v[26:27], v124, s[6:7] offset:10240
	s_wait_alu 0xfffe
	s_or_b32 exec_lo, exec_lo, s10
	s_delay_alu instid0(SALU_CYCLE_1)
	s_mov_b32 s10, exec_lo
	v_cmpx_gt_u32_e64 s8, v86
	s_cbranch_execz .LBB1256_323
.LBB1256_372:                           ;   in Loop: Header=BB1256_313 Depth=2
	global_load_b64 v[24:25], v124, s[6:7] offset:12288
	s_wait_alu 0xfffe
	s_or_b32 exec_lo, exec_lo, s10
	s_delay_alu instid0(SALU_CYCLE_1)
	s_mov_b32 s10, exec_lo
	v_cmpx_gt_u32_e64 s8, v87
	s_cbranch_execz .LBB1256_324
.LBB1256_373:                           ;   in Loop: Header=BB1256_313 Depth=2
	global_load_b64 v[22:23], v124, s[6:7] offset:14336
	s_wait_alu 0xfffe
	s_or_b32 exec_lo, exec_lo, s10
	s_delay_alu instid0(SALU_CYCLE_1)
	s_mov_b32 s10, exec_lo
	v_cmpx_gt_u32_e64 s8, v88
	s_cbranch_execz .LBB1256_325
.LBB1256_374:                           ;   in Loop: Header=BB1256_313 Depth=2
	global_load_b64 v[20:21], v124, s[6:7] offset:16384
	s_wait_alu 0xfffe
	s_or_b32 exec_lo, exec_lo, s10
	s_delay_alu instid0(SALU_CYCLE_1)
	s_mov_b32 s10, exec_lo
	v_cmpx_gt_u32_e64 s8, v89
	s_cbranch_execz .LBB1256_326
.LBB1256_375:                           ;   in Loop: Header=BB1256_313 Depth=2
	global_load_b64 v[18:19], v124, s[6:7] offset:18432
	s_wait_alu 0xfffe
	s_or_b32 exec_lo, exec_lo, s10
	s_delay_alu instid0(SALU_CYCLE_1)
	s_mov_b32 s10, exec_lo
	v_cmpx_gt_u32_e64 s8, v90
	s_cbranch_execz .LBB1256_327
.LBB1256_376:                           ;   in Loop: Header=BB1256_313 Depth=2
	global_load_b64 v[16:17], v124, s[6:7] offset:20480
	s_wait_alu 0xfffe
	s_or_b32 exec_lo, exec_lo, s10
	s_delay_alu instid0(SALU_CYCLE_1)
	s_mov_b32 s10, exec_lo
	v_cmpx_gt_u32_e64 s8, v91
	s_cbranch_execz .LBB1256_328
.LBB1256_377:                           ;   in Loop: Header=BB1256_313 Depth=2
	global_load_b64 v[14:15], v124, s[6:7] offset:22528
	s_wait_alu 0xfffe
	s_or_b32 exec_lo, exec_lo, s10
	s_delay_alu instid0(SALU_CYCLE_1)
	s_mov_b32 s10, exec_lo
	v_cmpx_gt_u32_e64 s8, v92
	s_cbranch_execz .LBB1256_329
.LBB1256_378:                           ;   in Loop: Header=BB1256_313 Depth=2
	global_load_b64 v[12:13], v124, s[6:7] offset:24576
	s_wait_alu 0xfffe
	s_or_b32 exec_lo, exec_lo, s10
	s_delay_alu instid0(SALU_CYCLE_1)
	s_mov_b32 s10, exec_lo
	v_cmpx_gt_u32_e64 s8, v93
	s_cbranch_execz .LBB1256_330
.LBB1256_379:                           ;   in Loop: Header=BB1256_313 Depth=2
	global_load_b64 v[10:11], v124, s[6:7] offset:26624
	s_wait_alu 0xfffe
	s_or_b32 exec_lo, exec_lo, s10
	s_delay_alu instid0(SALU_CYCLE_1)
	s_mov_b32 s10, exec_lo
	v_cmpx_gt_u32_e64 s8, v94
	s_cbranch_execz .LBB1256_331
.LBB1256_380:                           ;   in Loop: Header=BB1256_313 Depth=2
	global_load_b64 v[8:9], v124, s[6:7] offset:28672
	s_wait_alu 0xfffe
	s_or_b32 exec_lo, exec_lo, s10
	s_delay_alu instid0(SALU_CYCLE_1)
	s_mov_b32 s10, exec_lo
	v_cmpx_gt_u32_e64 s8, v95
	s_cbranch_execnz .LBB1256_332
	s_branch .LBB1256_333
.LBB1256_381:                           ;   in Loop: Header=BB1256_17 Depth=1
	v_mov_b32_e32 v2, 0
	s_wait_dscnt 0x0
	s_barrier_signal -1
	s_barrier_wait -1
	global_inv scope:SCOPE_SE
	s_and_saveexec_b32 s6, s2
	s_cbranch_execz .LBB1256_383
; %bb.382:                              ;   in Loop: Header=BB1256_17 Depth=1
	ds_load_2addr_b64 v[6:9], v98 offset1:1
	s_wait_dscnt 0x0
	v_add_nc_u32_e32 v2, v7, v6
	s_delay_alu instid0(VALU_DEP_1)
	v_add3_u32 v2, v2, v8, v9
.LBB1256_383:                           ;   in Loop: Header=BB1256_17 Depth=1
	s_wait_alu 0xfffe
	s_or_b32 exec_lo, exec_lo, s6
	v_and_b32_e32 v6, 15, v125
	s_delay_alu instid0(VALU_DEP_2) | instskip(SKIP_1) | instid1(VALU_DEP_3)
	v_mov_b32_dpp v7, v2 row_shr:1 row_mask:0xf bank_mask:0xf
	v_and_b32_e32 v8, 16, v125
	v_cmp_eq_u32_e64 s6, 0, v6
	v_cmp_lt_u32_e64 s7, 1, v6
	v_cmp_lt_u32_e64 s8, 3, v6
	;; [unrolled: 1-line block ×3, first 2 shown]
	v_cmp_eq_u32_e64 s10, 0, v8
	s_wait_alu 0xf1ff
	v_cndmask_b32_e64 v7, v7, 0, s6
	s_delay_alu instid0(VALU_DEP_1) | instskip(NEXT) | instid1(VALU_DEP_1)
	v_add_nc_u32_e32 v2, v7, v2
	v_mov_b32_dpp v7, v2 row_shr:2 row_mask:0xf bank_mask:0xf
	s_delay_alu instid0(VALU_DEP_1) | instskip(NEXT) | instid1(VALU_DEP_1)
	v_cndmask_b32_e64 v7, 0, v7, s7
	v_add_nc_u32_e32 v2, v2, v7
	s_delay_alu instid0(VALU_DEP_1) | instskip(NEXT) | instid1(VALU_DEP_1)
	v_mov_b32_dpp v7, v2 row_shr:4 row_mask:0xf bank_mask:0xf
	v_cndmask_b32_e64 v7, 0, v7, s8
	s_delay_alu instid0(VALU_DEP_1) | instskip(NEXT) | instid1(VALU_DEP_1)
	v_add_nc_u32_e32 v2, v2, v7
	v_mov_b32_dpp v7, v2 row_shr:8 row_mask:0xf bank_mask:0xf
	s_delay_alu instid0(VALU_DEP_1) | instskip(SKIP_1) | instid1(VALU_DEP_2)
	v_cndmask_b32_e64 v6, 0, v7, s9
	v_bfe_i32 v7, v125, 4, 1
	v_add_nc_u32_e32 v2, v2, v6
	ds_swizzle_b32 v6, v2 offset:swizzle(BROADCAST,32,15)
	s_wait_dscnt 0x0
	v_and_b32_e32 v6, v7, v6
	s_delay_alu instid0(VALU_DEP_1)
	v_add_nc_u32_e32 v6, v2, v6
	s_and_saveexec_b32 s11, s3
; %bb.384:                              ;   in Loop: Header=BB1256_17 Depth=1
	ds_store_b32 v99, v6
; %bb.385:                              ;   in Loop: Header=BB1256_17 Depth=1
	s_wait_alu 0xfffe
	s_or_b32 exec_lo, exec_lo, s11
	v_and_b32_e32 v2, 7, v125
	s_wait_loadcnt_dscnt 0x0
	s_barrier_signal -1
	s_barrier_wait -1
	global_inv scope:SCOPE_SE
	s_and_saveexec_b32 s11, s4
	s_cbranch_execz .LBB1256_387
; %bb.386:                              ;   in Loop: Header=BB1256_17 Depth=1
	ds_load_b32 v7, v100
	v_cmp_ne_u32_e32 vcc_lo, 0, v2
	s_wait_dscnt 0x0
	v_mov_b32_dpp v8, v7 row_shr:1 row_mask:0xf bank_mask:0xf
	s_wait_alu 0xfffd
	s_delay_alu instid0(VALU_DEP_1) | instskip(SKIP_1) | instid1(VALU_DEP_2)
	v_cndmask_b32_e32 v8, 0, v8, vcc_lo
	v_cmp_lt_u32_e32 vcc_lo, 1, v2
	v_add_nc_u32_e32 v7, v8, v7
	s_delay_alu instid0(VALU_DEP_1) | instskip(SKIP_1) | instid1(VALU_DEP_1)
	v_mov_b32_dpp v8, v7 row_shr:2 row_mask:0xf bank_mask:0xf
	s_wait_alu 0xfffd
	v_cndmask_b32_e32 v8, 0, v8, vcc_lo
	v_cmp_lt_u32_e32 vcc_lo, 3, v2
	s_delay_alu instid0(VALU_DEP_2) | instskip(NEXT) | instid1(VALU_DEP_1)
	v_add_nc_u32_e32 v7, v7, v8
	v_mov_b32_dpp v8, v7 row_shr:4 row_mask:0xf bank_mask:0xf
	s_wait_alu 0xfffd
	s_delay_alu instid0(VALU_DEP_1) | instskip(NEXT) | instid1(VALU_DEP_1)
	v_cndmask_b32_e32 v8, 0, v8, vcc_lo
	v_add_nc_u32_e32 v7, v7, v8
	ds_store_b32 v100, v7
.LBB1256_387:                           ;   in Loop: Header=BB1256_17 Depth=1
	s_wait_alu 0xfffe
	s_or_b32 exec_lo, exec_lo, s11
	v_mov_b32_e32 v7, 0
	s_wait_loadcnt_dscnt 0x0
	s_barrier_signal -1
	s_barrier_wait -1
	global_inv scope:SCOPE_SE
	s_and_saveexec_b32 s11, s5
; %bb.388:                              ;   in Loop: Header=BB1256_17 Depth=1
	ds_load_b32 v7, v101
; %bb.389:                              ;   in Loop: Header=BB1256_17 Depth=1
	s_wait_alu 0xfffe
	s_or_b32 exec_lo, exec_lo, s11
	v_sub_co_u32 v8, s11, v125, 1
	s_wait_dscnt 0x0
	v_add_nc_u32_e32 v6, v7, v6
	s_wait_loadcnt 0x0
	s_barrier_signal -1
	v_cmp_gt_i32_e32 vcc_lo, 0, v8
	s_barrier_wait -1
	global_inv scope:SCOPE_SE
	s_wait_alu 0xfffd
	v_cndmask_b32_e32 v8, v8, v125, vcc_lo
	s_delay_alu instid0(VALU_DEP_1)
	v_lshlrev_b32_e32 v126, 2, v8
	ds_bpermute_b32 v6, v126, v6
	s_and_saveexec_b32 s12, s2
	s_cbranch_execz .LBB1256_391
; %bb.390:                              ;   in Loop: Header=BB1256_17 Depth=1
	s_wait_dscnt 0x0
	v_cndmask_b32_e64 v6, v6, v7, s11
	s_delay_alu instid0(VALU_DEP_1)
	v_add_nc_u32_e32 v6, s33, v6
	ds_store_b32 v78, v6
.LBB1256_391:                           ;   in Loop: Header=BB1256_17 Depth=1
	s_wait_alu 0xfffe
	s_or_b32 exec_lo, exec_lo, s12
	s_load_b64 s[12:13], s[52:53], 0x0
	v_lshlrev_b32_e32 v8, 3, v125
	v_or_b32_e32 v127, v125, v102
	s_mov_b32 s58, s55
                                        ; implicit-def: $vgpr10_vgpr11
                                        ; implicit-def: $vgpr12_vgpr13
                                        ; implicit-def: $vgpr14_vgpr15
                                        ; implicit-def: $vgpr16_vgpr17
                                        ; implicit-def: $vgpr18_vgpr19
                                        ; implicit-def: $vgpr20_vgpr21
                                        ; implicit-def: $vgpr22_vgpr23
                                        ; implicit-def: $vgpr24_vgpr25
                                        ; implicit-def: $vgpr26_vgpr27
                                        ; implicit-def: $vgpr28_vgpr29
                                        ; implicit-def: $vgpr30_vgpr31
                                        ; implicit-def: $vgpr32_vgpr33
                                        ; implicit-def: $vgpr34_vgpr35
                                        ; implicit-def: $vgpr36_vgpr37
                                        ; implicit-def: $vgpr148
                                        ; implicit-def: $vgpr149
                                        ; implicit-def: $vgpr150
                                        ; implicit-def: $vgpr151
                                        ; implicit-def: $vgpr152
                                        ; implicit-def: $vgpr153
                                        ; implicit-def: $vgpr154
                                        ; implicit-def: $vgpr155
                                        ; implicit-def: $vgpr156
                                        ; implicit-def: $vgpr157
                                        ; implicit-def: $vgpr158
                                        ; implicit-def: $vgpr159
                                        ; implicit-def: $vgpr160
                                        ; implicit-def: $vgpr161
                                        ; implicit-def: $vgpr162
                                        ; implicit-def: $vgpr163
	s_delay_alu instid0(VALU_DEP_2)
	v_add_co_u32 v128, vcc_lo, v113, v8
	s_wait_alu 0xfffd
	v_add_co_ci_u32_e64 v129, null, 0, v114, vcc_lo
	v_add_co_u32 v145, vcc_lo, v115, v8
	v_or_b32_e32 v130, 32, v127
	v_or_b32_e32 v131, 64, v127
	;; [unrolled: 1-line block ×8, first 2 shown]
	s_wait_kmcnt 0x0
	s_cmp_lt_u32 ttmp7, s13
	v_or_b32_e32 v138, 0x120, v127
	s_cselect_b32 s34, 14, 20
	s_cmp_lt_u32 ttmp9, s12
	s_wait_alu 0xfffe
	s_add_nc_u64 s[14:15], s[52:53], s[34:35]
	s_cselect_b32 s34, 12, 18
	s_load_u16 s15, s[14:15], 0x0
	s_add_nc_u64 s[12:13], s[52:53], s[34:35]
	v_or_b32_e32 v139, 0x140, v127
	s_load_u16 s16, s[12:13], 0x0
	v_cmp_eq_u32_e64 s12, 0, v2
	v_cmp_lt_u32_e64 s13, 1, v2
	v_cmp_lt_u32_e64 s14, 3, v2
	v_or_b32_e32 v140, 0x160, v127
	v_or_b32_e32 v141, 0x180, v127
	;; [unrolled: 1-line block ×5, first 2 shown]
	v_add_co_ci_u32_e64 v146, null, 0, v116, vcc_lo
	s_mov_b32 s34, s33
                                        ; implicit-def: $vgpr8_vgpr9
	s_wait_kmcnt 0x0
	v_mad_u32_u24 v2, v104, s15, v0
	s_wait_dscnt 0x0
	s_delay_alu instid0(VALU_DEP_1) | instskip(NEXT) | instid1(VALU_DEP_1)
	v_mad_co_u64_u32 v[6:7], null, v2, s16, v[1:2]
	v_lshrrev_b32_e32 v2, 3, v6
                                        ; implicit-def: $vgpr6_vgpr7
	s_delay_alu instid0(VALU_DEP_1)
	v_and_b32_e32 v147, 0x1ffffffc, v2
	s_branch .LBB1256_393
.LBB1256_392:                           ;   in Loop: Header=BB1256_393 Depth=2
	s_wait_alu 0xfffe
	s_or_b32 exec_lo, exec_lo, s15
	s_addk_co_i32 s58, 0xf000
	s_cmp_lt_u32 s59, s51
	s_mov_b32 s34, s59
	s_cbranch_scc0 .LBB1256_601
.LBB1256_393:                           ;   Parent Loop BB1256_17 Depth=1
                                        ; =>  This Inner Loop Header: Depth=2
	s_wait_alu 0xfffe
	s_add_co_i32 s59, s34, 0x1000
	s_wait_alu 0xfffe
	s_cmp_gt_u32 s59, s51
	s_cbranch_scc1 .LBB1256_395
; %bb.394:                              ;   in Loop: Header=BB1256_393 Depth=2
	s_lshl_b64 s[16:17], s[34:35], 3
	s_mov_b32 s15, -1
	s_wait_alu 0xfffe
	v_add_co_u32 v44, vcc_lo, v145, s16
	s_wait_alu 0xfffd
	v_add_co_ci_u32_e64 v45, null, s17, v146, vcc_lo
	s_clause 0xe
	global_load_b64 v[38:39], v[44:45], off
	global_load_b64 v[40:41], v[44:45], off offset:256
	global_load_b64 v[42:43], v[44:45], off offset:512
	;; [unrolled: 1-line block ×14, first 2 shown]
	s_movk_i32 s16, 0x1000
	s_cbranch_execz .LBB1256_396
	s_branch .LBB1256_427
.LBB1256_395:                           ;   in Loop: Header=BB1256_393 Depth=2
	s_mov_b32 s15, 0
                                        ; implicit-def: $vgpr38_vgpr39
                                        ; implicit-def: $vgpr40_vgpr41
                                        ; implicit-def: $vgpr42_vgpr43
                                        ; implicit-def: $vgpr48_vgpr49
                                        ; implicit-def: $vgpr54_vgpr55
                                        ; implicit-def: $vgpr58_vgpr59
                                        ; implicit-def: $vgpr62_vgpr63
                                        ; implicit-def: $vgpr66_vgpr67
                                        ; implicit-def: $vgpr68_vgpr69
                                        ; implicit-def: $vgpr64_vgpr65
                                        ; implicit-def: $vgpr60_vgpr61
                                        ; implicit-def: $vgpr56_vgpr57
                                        ; implicit-def: $vgpr52_vgpr53
                                        ; implicit-def: $vgpr50_vgpr51
                                        ; implicit-def: $vgpr46_vgpr47
	s_movk_i32 s16, 0x1000
.LBB1256_396:                           ;   in Loop: Header=BB1256_393 Depth=2
	s_wait_loadcnt 0xd
	v_dual_mov_b32 v40, v4 :: v_dual_mov_b32 v41, v5
	s_lshl_b64 s[16:17], s[34:35], 3
	s_mov_b32 s15, exec_lo
	s_wait_alu 0xfffe
	v_add_co_u32 v44, vcc_lo, v145, s16
	s_wait_alu 0xfffd
	v_add_co_ci_u32_e64 v45, null, s17, v146, vcc_lo
	v_dual_mov_b32 v38, v40 :: v_dual_mov_b32 v39, v41
	v_cmpx_gt_u32_e64 s58, v127
	s_cbranch_execz .LBB1256_398
; %bb.397:                              ;   in Loop: Header=BB1256_393 Depth=2
	global_load_b64 v[38:39], v[44:45], off
.LBB1256_398:                           ;   in Loop: Header=BB1256_393 Depth=2
	s_or_b32 exec_lo, exec_lo, s15
	s_delay_alu instid0(SALU_CYCLE_1)
	s_mov_b32 s15, exec_lo
	v_cmpx_gt_u32_e64 s58, v130
	s_cbranch_execz .LBB1256_400
; %bb.399:                              ;   in Loop: Header=BB1256_393 Depth=2
	global_load_b64 v[40:41], v[44:45], off offset:256
.LBB1256_400:                           ;   in Loop: Header=BB1256_393 Depth=2
	s_wait_alu 0xfffe
	s_or_b32 exec_lo, exec_lo, s15
	s_wait_loadcnt 0xc
	v_dual_mov_b32 v43, v5 :: v_dual_mov_b32 v42, v4
	s_mov_b32 s15, exec_lo
	v_cmpx_gt_u32_e64 s58, v131
	s_cbranch_execz .LBB1256_402
; %bb.401:                              ;   in Loop: Header=BB1256_393 Depth=2
	global_load_b64 v[42:43], v[44:45], off offset:512
.LBB1256_402:                           ;   in Loop: Header=BB1256_393 Depth=2
	s_wait_alu 0xfffe
	s_or_b32 exec_lo, exec_lo, s15
	s_wait_loadcnt 0xb
	v_dual_mov_b32 v49, v5 :: v_dual_mov_b32 v48, v4
	;; [unrolled: 10-line block ×13, first 2 shown]
	s_mov_b32 s15, exec_lo
	v_cmpx_gt_u32_e64 s58, v143
	s_cbranch_execz .LBB1256_426
; %bb.425:                              ;   in Loop: Header=BB1256_393 Depth=2
	global_load_b64 v[46:47], v[44:45], off offset:3584
.LBB1256_426:                           ;   in Loop: Header=BB1256_393 Depth=2
	s_wait_alu 0xfffe
	s_or_b32 exec_lo, exec_lo, s15
	v_cmp_gt_u32_e64 s15, s58, v144
	s_sub_co_i32 s16, s51, s34
.LBB1256_427:                           ;   in Loop: Header=BB1256_393 Depth=2
	v_dual_mov_b32 v164, s58 :: v_dual_mov_b32 v45, v5
	v_mov_b32_e32 v44, v4
	s_and_saveexec_b32 s17, s15
	s_cbranch_execz .LBB1256_429
; %bb.428:                              ;   in Loop: Header=BB1256_393 Depth=2
	s_lshl_b64 s[18:19], s[34:35], 3
	s_wait_alu 0xfffe
	v_mov_b32_e32 v164, s16
	v_add_co_u32 v44, vcc_lo, v145, s18
	s_wait_alu 0xfffd
	v_add_co_ci_u32_e64 v45, null, s19, v146, vcc_lo
	global_load_b64 v[44:45], v[44:45], off offset:3840
.LBB1256_429:                           ;   in Loop: Header=BB1256_393 Depth=2
	s_wait_alu 0xfffe
	s_or_b32 exec_lo, exec_lo, s17
	s_wait_loadcnt 0xe
	v_cmp_lt_i64_e32 vcc_lo, -1, v[38:39]
	v_ashrrev_i32_e32 v70, 31, v39
	v_add_nc_u32_e32 v166, 0x420, v103
	v_add_nc_u32_e32 v167, 0x428, v103
	;; [unrolled: 1-line block ×3, first 2 shown]
	s_delay_alu instid0(VALU_DEP_4) | instskip(SKIP_2) | instid1(VALU_DEP_1)
	v_xor_b32_e32 v38, v70, v38
	s_wait_alu 0xfffd
	v_cndmask_b32_e64 v2, -1, 0x80000000, vcc_lo
	v_xor_b32_e32 v39, v2, v39
	s_delay_alu instid0(VALU_DEP_1) | instskip(SKIP_3) | instid1(VALU_DEP_1)
	v_cmp_ne_u64_e32 vcc_lo, s[42:43], v[38:39]
	s_wait_alu 0xfffd
	v_cndmask_b32_e32 v71, 0x80000000, v39, vcc_lo
	v_cndmask_b32_e32 v70, 0, v38, vcc_lo
	v_lshrrev_b64 v[70:71], s48, v[70:71]
	s_delay_alu instid0(VALU_DEP_1) | instskip(NEXT) | instid1(VALU_DEP_1)
	v_and_b32_e32 v71, s57, v70
	v_and_b32_e32 v2, 1, v71
	v_lshlrev_b32_e32 v70, 30, v71
	v_lshlrev_b32_e32 v72, 29, v71
	;; [unrolled: 1-line block ×4, first 2 shown]
	v_add_co_u32 v2, s15, v2, -1
	s_wait_alu 0xf1ff
	v_cndmask_b32_e64 v74, 0, 1, s15
	v_not_b32_e32 v165, v70
	v_cmp_gt_i32_e64 s15, 0, v70
	v_not_b32_e32 v70, v72
	v_lshlrev_b32_e32 v76, 26, v71
	v_cmp_ne_u32_e32 vcc_lo, 0, v74
	v_ashrrev_i32_e32 v165, 31, v165
	v_lshlrev_b32_e32 v77, 25, v71
	v_ashrrev_i32_e32 v70, 31, v70
	v_lshlrev_b32_e32 v74, 24, v71
	s_wait_alu 0xfffd
	v_xor_b32_e32 v2, vcc_lo, v2
	v_cmp_gt_i32_e32 vcc_lo, 0, v72
	v_not_b32_e32 v72, v73
	s_wait_alu 0xf1ff
	v_xor_b32_e32 v165, s15, v165
	v_cmp_gt_i32_e64 s15, 0, v73
	v_and_b32_e32 v2, exec_lo, v2
	v_not_b32_e32 v73, v75
	v_ashrrev_i32_e32 v72, 31, v72
	s_wait_alu 0xfffd
	v_xor_b32_e32 v70, vcc_lo, v70
	v_cmp_gt_i32_e32 vcc_lo, 0, v75
	v_and_b32_e32 v2, v2, v165
	v_not_b32_e32 v75, v76
	v_ashrrev_i32_e32 v73, 31, v73
	s_wait_alu 0xf1ff
	v_xor_b32_e32 v72, s15, v72
	v_cmp_gt_i32_e64 s15, 0, v76
	v_and_b32_e32 v2, v2, v70
	v_not_b32_e32 v70, v77
	v_ashrrev_i32_e32 v75, 31, v75
	s_wait_alu 0xfffd
	v_xor_b32_e32 v73, vcc_lo, v73
	v_cmp_gt_i32_e32 vcc_lo, 0, v77
	v_and_b32_e32 v2, v2, v72
	v_not_b32_e32 v72, v74
	v_ashrrev_i32_e32 v70, 31, v70
	s_wait_alu 0xf1ff
	v_xor_b32_e32 v75, s15, v75
	v_cmp_gt_i32_e64 s15, 0, v74
	v_and_b32_e32 v2, v2, v73
	v_ashrrev_i32_e32 v72, 31, v72
	s_wait_alu 0xfffd
	v_xor_b32_e32 v70, vcc_lo, v70
	v_mul_u32_u24_e32 v71, 36, v71
	v_add_nc_u32_e32 v165, 0x438, v103
	v_and_b32_e32 v2, v2, v75
	s_wait_alu 0xf1ff
	v_xor_b32_e32 v72, s15, v72
	v_add_nc_u32_e32 v169, v147, v71
	ds_store_2addr_b32 v165, v3, v3 offset1:1
	v_and_b32_e32 v2, v2, v70
	ds_store_2addr_b32 v166, v3, v3 offset1:1
	ds_store_2addr_b32 v167, v3, v3 offset1:1
	;; [unrolled: 1-line block ×3, first 2 shown]
	ds_store_b32 v103, v3 offset:1088
	s_wait_loadcnt_dscnt 0x0
	s_barrier_signal -1
	s_barrier_wait -1
	v_and_b32_e32 v70, v2, v72
	global_inv scope:SCOPE_SE
	; wave barrier
	v_mbcnt_lo_u32_b32 v2, v70, 0
	v_cmp_ne_u32_e64 s15, 0, v70
	s_delay_alu instid0(VALU_DEP_2)
	v_cmp_eq_u32_e32 vcc_lo, 0, v2
	s_and_b32 s16, s15, vcc_lo
	s_wait_alu 0xfffe
	s_and_saveexec_b32 s15, s16
; %bb.430:                              ;   in Loop: Header=BB1256_393 Depth=2
	v_bcnt_u32_b32 v70, v70, 0
	ds_store_b32 v169, v70 offset:1056
; %bb.431:                              ;   in Loop: Header=BB1256_393 Depth=2
	s_wait_alu 0xfffe
	s_or_b32 exec_lo, exec_lo, s15
	v_cmp_lt_i64_e32 vcc_lo, -1, v[40:41]
	v_ashrrev_i32_e32 v71, 31, v41
	; wave barrier
	s_delay_alu instid0(VALU_DEP_1) | instskip(SKIP_2) | instid1(VALU_DEP_1)
	v_xor_b32_e32 v40, v71, v40
	s_wait_alu 0xfffd
	v_cndmask_b32_e64 v70, -1, 0x80000000, vcc_lo
	v_xor_b32_e32 v41, v70, v41
	s_delay_alu instid0(VALU_DEP_1) | instskip(SKIP_3) | instid1(VALU_DEP_1)
	v_cmp_ne_u64_e32 vcc_lo, s[42:43], v[40:41]
	s_wait_alu 0xfffd
	v_cndmask_b32_e32 v71, 0x80000000, v41, vcc_lo
	v_cndmask_b32_e32 v70, 0, v40, vcc_lo
	v_lshrrev_b64 v[70:71], s48, v[70:71]
	s_delay_alu instid0(VALU_DEP_1) | instskip(NEXT) | instid1(VALU_DEP_1)
	v_and_b32_e32 v71, s57, v70
	v_and_b32_e32 v70, 1, v71
	v_lshlrev_b32_e32 v72, 30, v71
	v_lshlrev_b32_e32 v73, 29, v71
	;; [unrolled: 1-line block ×4, first 2 shown]
	v_add_co_u32 v70, s15, v70, -1
	s_wait_alu 0xf1ff
	v_cndmask_b32_e64 v75, 0, 1, s15
	v_not_b32_e32 v171, v72
	v_cmp_gt_i32_e64 s15, 0, v72
	v_not_b32_e32 v72, v73
	v_lshlrev_b32_e32 v77, 26, v71
	v_cmp_ne_u32_e32 vcc_lo, 0, v75
	v_ashrrev_i32_e32 v171, 31, v171
	v_lshlrev_b32_e32 v170, 25, v71
	v_ashrrev_i32_e32 v72, 31, v72
	v_lshlrev_b32_e32 v75, 24, v71
	s_wait_alu 0xfffd
	v_xor_b32_e32 v70, vcc_lo, v70
	v_cmp_gt_i32_e32 vcc_lo, 0, v73
	v_not_b32_e32 v73, v74
	s_wait_alu 0xf1ff
	v_xor_b32_e32 v171, s15, v171
	v_cmp_gt_i32_e64 s15, 0, v74
	v_and_b32_e32 v70, exec_lo, v70
	v_not_b32_e32 v74, v76
	v_ashrrev_i32_e32 v73, 31, v73
	s_wait_alu 0xfffd
	v_xor_b32_e32 v72, vcc_lo, v72
	v_cmp_gt_i32_e32 vcc_lo, 0, v76
	v_and_b32_e32 v70, v70, v171
	v_not_b32_e32 v76, v77
	v_ashrrev_i32_e32 v74, 31, v74
	s_wait_alu 0xf1ff
	v_xor_b32_e32 v73, s15, v73
	v_cmp_gt_i32_e64 s15, 0, v77
	v_and_b32_e32 v70, v70, v72
	v_not_b32_e32 v72, v170
	v_ashrrev_i32_e32 v76, 31, v76
	s_wait_alu 0xfffd
	v_xor_b32_e32 v74, vcc_lo, v74
	v_cmp_gt_i32_e32 vcc_lo, 0, v170
	v_and_b32_e32 v70, v70, v73
	v_not_b32_e32 v73, v75
	v_ashrrev_i32_e32 v72, 31, v72
	s_wait_alu 0xf1ff
	v_xor_b32_e32 v76, s15, v76
	v_cmp_gt_i32_e64 s15, 0, v75
	v_and_b32_e32 v70, v70, v74
	v_ashrrev_i32_e32 v73, 31, v73
	s_wait_alu 0xfffd
	v_xor_b32_e32 v72, vcc_lo, v72
	v_mad_u32_u24 v74, v71, 36, v147
	v_mul_u32_u24_e32 v71, 36, v71
	v_and_b32_e32 v70, v70, v76
	s_wait_alu 0xf1ff
	v_xor_b32_e32 v73, s15, v73
	ds_load_b32 v170, v74 offset:1056
	v_add_nc_u32_e32 v172, v147, v71
	v_and_b32_e32 v70, v70, v72
	; wave barrier
	s_delay_alu instid0(VALU_DEP_1) | instskip(NEXT) | instid1(VALU_DEP_1)
	v_and_b32_e32 v70, v70, v73
	v_mbcnt_lo_u32_b32 v171, v70, 0
	v_cmp_ne_u32_e64 s15, 0, v70
	s_delay_alu instid0(VALU_DEP_2)
	v_cmp_eq_u32_e32 vcc_lo, 0, v171
	s_and_b32 s16, s15, vcc_lo
	s_wait_alu 0xfffe
	s_and_saveexec_b32 s15, s16
	s_cbranch_execz .LBB1256_433
; %bb.432:                              ;   in Loop: Header=BB1256_393 Depth=2
	s_wait_dscnt 0x0
	v_bcnt_u32_b32 v70, v70, v170
	ds_store_b32 v172, v70 offset:1056
.LBB1256_433:                           ;   in Loop: Header=BB1256_393 Depth=2
	s_wait_alu 0xfffe
	s_or_b32 exec_lo, exec_lo, s15
	v_cmp_lt_i64_e32 vcc_lo, -1, v[42:43]
	v_ashrrev_i32_e32 v71, 31, v43
	; wave barrier
	s_delay_alu instid0(VALU_DEP_1) | instskip(SKIP_2) | instid1(VALU_DEP_1)
	v_xor_b32_e32 v42, v71, v42
	s_wait_alu 0xfffd
	v_cndmask_b32_e64 v70, -1, 0x80000000, vcc_lo
	v_xor_b32_e32 v43, v70, v43
	s_delay_alu instid0(VALU_DEP_1) | instskip(SKIP_3) | instid1(VALU_DEP_1)
	v_cmp_ne_u64_e32 vcc_lo, s[42:43], v[42:43]
	s_wait_alu 0xfffd
	v_cndmask_b32_e32 v71, 0x80000000, v43, vcc_lo
	v_cndmask_b32_e32 v70, 0, v42, vcc_lo
	v_lshrrev_b64 v[70:71], s48, v[70:71]
	s_delay_alu instid0(VALU_DEP_1) | instskip(NEXT) | instid1(VALU_DEP_1)
	v_and_b32_e32 v71, s57, v70
	v_and_b32_e32 v70, 1, v71
	v_lshlrev_b32_e32 v72, 30, v71
	v_lshlrev_b32_e32 v73, 29, v71
	;; [unrolled: 1-line block ×4, first 2 shown]
	v_add_co_u32 v70, s15, v70, -1
	s_wait_alu 0xf1ff
	v_cndmask_b32_e64 v75, 0, 1, s15
	v_not_b32_e32 v174, v72
	v_cmp_gt_i32_e64 s15, 0, v72
	v_not_b32_e32 v72, v73
	v_lshlrev_b32_e32 v77, 26, v71
	v_cmp_ne_u32_e32 vcc_lo, 0, v75
	v_ashrrev_i32_e32 v174, 31, v174
	v_lshlrev_b32_e32 v173, 25, v71
	v_ashrrev_i32_e32 v72, 31, v72
	v_lshlrev_b32_e32 v75, 24, v71
	s_wait_alu 0xfffd
	v_xor_b32_e32 v70, vcc_lo, v70
	v_cmp_gt_i32_e32 vcc_lo, 0, v73
	v_not_b32_e32 v73, v74
	s_wait_alu 0xf1ff
	v_xor_b32_e32 v174, s15, v174
	v_cmp_gt_i32_e64 s15, 0, v74
	v_and_b32_e32 v70, exec_lo, v70
	v_not_b32_e32 v74, v76
	v_ashrrev_i32_e32 v73, 31, v73
	s_wait_alu 0xfffd
	v_xor_b32_e32 v72, vcc_lo, v72
	v_cmp_gt_i32_e32 vcc_lo, 0, v76
	v_and_b32_e32 v70, v70, v174
	v_not_b32_e32 v76, v77
	v_ashrrev_i32_e32 v74, 31, v74
	s_wait_alu 0xf1ff
	v_xor_b32_e32 v73, s15, v73
	v_cmp_gt_i32_e64 s15, 0, v77
	v_and_b32_e32 v70, v70, v72
	v_not_b32_e32 v72, v173
	v_ashrrev_i32_e32 v76, 31, v76
	s_wait_alu 0xfffd
	v_xor_b32_e32 v74, vcc_lo, v74
	v_cmp_gt_i32_e32 vcc_lo, 0, v173
	v_and_b32_e32 v70, v70, v73
	v_not_b32_e32 v73, v75
	v_ashrrev_i32_e32 v72, 31, v72
	s_wait_alu 0xf1ff
	v_xor_b32_e32 v76, s15, v76
	v_cmp_gt_i32_e64 s15, 0, v75
	v_and_b32_e32 v70, v70, v74
	v_ashrrev_i32_e32 v73, 31, v73
	s_wait_alu 0xfffd
	v_xor_b32_e32 v72, vcc_lo, v72
	v_mad_u32_u24 v74, v71, 36, v147
	v_mul_u32_u24_e32 v71, 36, v71
	v_and_b32_e32 v70, v70, v76
	s_wait_alu 0xf1ff
	v_xor_b32_e32 v73, s15, v73
	ds_load_b32 v173, v74 offset:1056
	v_add_nc_u32_e32 v175, v147, v71
	v_and_b32_e32 v70, v70, v72
	; wave barrier
	s_delay_alu instid0(VALU_DEP_1) | instskip(NEXT) | instid1(VALU_DEP_1)
	v_and_b32_e32 v70, v70, v73
	v_mbcnt_lo_u32_b32 v174, v70, 0
	v_cmp_ne_u32_e64 s15, 0, v70
	s_delay_alu instid0(VALU_DEP_2)
	v_cmp_eq_u32_e32 vcc_lo, 0, v174
	s_and_b32 s16, s15, vcc_lo
	s_wait_alu 0xfffe
	s_and_saveexec_b32 s15, s16
	s_cbranch_execz .LBB1256_435
; %bb.434:                              ;   in Loop: Header=BB1256_393 Depth=2
	s_wait_dscnt 0x0
	v_bcnt_u32_b32 v70, v70, v173
	ds_store_b32 v175, v70 offset:1056
.LBB1256_435:                           ;   in Loop: Header=BB1256_393 Depth=2
	s_wait_alu 0xfffe
	s_or_b32 exec_lo, exec_lo, s15
	v_cmp_lt_i64_e32 vcc_lo, -1, v[48:49]
	v_ashrrev_i32_e32 v71, 31, v49
	; wave barrier
	s_delay_alu instid0(VALU_DEP_1) | instskip(SKIP_2) | instid1(VALU_DEP_1)
	v_xor_b32_e32 v48, v71, v48
	s_wait_alu 0xfffd
	v_cndmask_b32_e64 v70, -1, 0x80000000, vcc_lo
	v_xor_b32_e32 v49, v70, v49
	s_delay_alu instid0(VALU_DEP_1) | instskip(SKIP_3) | instid1(VALU_DEP_1)
	v_cmp_ne_u64_e32 vcc_lo, s[42:43], v[48:49]
	s_wait_alu 0xfffd
	v_cndmask_b32_e32 v71, 0x80000000, v49, vcc_lo
	v_cndmask_b32_e32 v70, 0, v48, vcc_lo
	v_lshrrev_b64 v[70:71], s48, v[70:71]
	s_delay_alu instid0(VALU_DEP_1) | instskip(NEXT) | instid1(VALU_DEP_1)
	v_and_b32_e32 v71, s57, v70
	v_and_b32_e32 v70, 1, v71
	v_lshlrev_b32_e32 v72, 30, v71
	v_lshlrev_b32_e32 v73, 29, v71
	;; [unrolled: 1-line block ×4, first 2 shown]
	v_add_co_u32 v70, s15, v70, -1
	s_wait_alu 0xf1ff
	v_cndmask_b32_e64 v75, 0, 1, s15
	v_not_b32_e32 v177, v72
	v_cmp_gt_i32_e64 s15, 0, v72
	v_not_b32_e32 v72, v73
	v_lshlrev_b32_e32 v77, 26, v71
	v_cmp_ne_u32_e32 vcc_lo, 0, v75
	v_ashrrev_i32_e32 v177, 31, v177
	v_lshlrev_b32_e32 v176, 25, v71
	v_ashrrev_i32_e32 v72, 31, v72
	v_lshlrev_b32_e32 v75, 24, v71
	s_wait_alu 0xfffd
	v_xor_b32_e32 v70, vcc_lo, v70
	v_cmp_gt_i32_e32 vcc_lo, 0, v73
	v_not_b32_e32 v73, v74
	s_wait_alu 0xf1ff
	v_xor_b32_e32 v177, s15, v177
	v_cmp_gt_i32_e64 s15, 0, v74
	v_and_b32_e32 v70, exec_lo, v70
	v_not_b32_e32 v74, v76
	v_ashrrev_i32_e32 v73, 31, v73
	s_wait_alu 0xfffd
	v_xor_b32_e32 v72, vcc_lo, v72
	v_cmp_gt_i32_e32 vcc_lo, 0, v76
	v_and_b32_e32 v70, v70, v177
	v_not_b32_e32 v76, v77
	v_ashrrev_i32_e32 v74, 31, v74
	s_wait_alu 0xf1ff
	v_xor_b32_e32 v73, s15, v73
	v_cmp_gt_i32_e64 s15, 0, v77
	v_and_b32_e32 v70, v70, v72
	v_not_b32_e32 v72, v176
	v_ashrrev_i32_e32 v76, 31, v76
	s_wait_alu 0xfffd
	v_xor_b32_e32 v74, vcc_lo, v74
	v_cmp_gt_i32_e32 vcc_lo, 0, v176
	v_and_b32_e32 v70, v70, v73
	v_not_b32_e32 v73, v75
	v_ashrrev_i32_e32 v72, 31, v72
	s_wait_alu 0xf1ff
	v_xor_b32_e32 v76, s15, v76
	v_cmp_gt_i32_e64 s15, 0, v75
	v_and_b32_e32 v70, v70, v74
	v_ashrrev_i32_e32 v73, 31, v73
	s_wait_alu 0xfffd
	v_xor_b32_e32 v72, vcc_lo, v72
	v_mad_u32_u24 v74, v71, 36, v147
	v_mul_u32_u24_e32 v71, 36, v71
	v_and_b32_e32 v70, v70, v76
	s_wait_alu 0xf1ff
	v_xor_b32_e32 v73, s15, v73
	ds_load_b32 v176, v74 offset:1056
	v_add_nc_u32_e32 v178, v147, v71
	v_and_b32_e32 v70, v70, v72
	; wave barrier
	s_delay_alu instid0(VALU_DEP_1) | instskip(NEXT) | instid1(VALU_DEP_1)
	v_and_b32_e32 v70, v70, v73
	v_mbcnt_lo_u32_b32 v177, v70, 0
	v_cmp_ne_u32_e64 s15, 0, v70
	s_delay_alu instid0(VALU_DEP_2)
	v_cmp_eq_u32_e32 vcc_lo, 0, v177
	s_and_b32 s16, s15, vcc_lo
	s_wait_alu 0xfffe
	s_and_saveexec_b32 s15, s16
	s_cbranch_execz .LBB1256_437
; %bb.436:                              ;   in Loop: Header=BB1256_393 Depth=2
	s_wait_dscnt 0x0
	v_bcnt_u32_b32 v70, v70, v176
	ds_store_b32 v178, v70 offset:1056
.LBB1256_437:                           ;   in Loop: Header=BB1256_393 Depth=2
	s_wait_alu 0xfffe
	s_or_b32 exec_lo, exec_lo, s15
	v_cmp_lt_i64_e32 vcc_lo, -1, v[54:55]
	v_ashrrev_i32_e32 v71, 31, v55
	; wave barrier
	s_delay_alu instid0(VALU_DEP_1) | instskip(SKIP_2) | instid1(VALU_DEP_1)
	v_xor_b32_e32 v54, v71, v54
	s_wait_alu 0xfffd
	v_cndmask_b32_e64 v70, -1, 0x80000000, vcc_lo
	v_xor_b32_e32 v55, v70, v55
	s_delay_alu instid0(VALU_DEP_1) | instskip(SKIP_3) | instid1(VALU_DEP_1)
	v_cmp_ne_u64_e32 vcc_lo, s[42:43], v[54:55]
	s_wait_alu 0xfffd
	v_cndmask_b32_e32 v71, 0x80000000, v55, vcc_lo
	v_cndmask_b32_e32 v70, 0, v54, vcc_lo
	v_lshrrev_b64 v[70:71], s48, v[70:71]
	s_delay_alu instid0(VALU_DEP_1) | instskip(NEXT) | instid1(VALU_DEP_1)
	v_and_b32_e32 v71, s57, v70
	v_and_b32_e32 v70, 1, v71
	v_lshlrev_b32_e32 v72, 30, v71
	v_lshlrev_b32_e32 v73, 29, v71
	;; [unrolled: 1-line block ×4, first 2 shown]
	v_add_co_u32 v70, s15, v70, -1
	s_wait_alu 0xf1ff
	v_cndmask_b32_e64 v75, 0, 1, s15
	v_not_b32_e32 v180, v72
	v_cmp_gt_i32_e64 s15, 0, v72
	v_not_b32_e32 v72, v73
	v_lshlrev_b32_e32 v77, 26, v71
	v_cmp_ne_u32_e32 vcc_lo, 0, v75
	v_ashrrev_i32_e32 v180, 31, v180
	v_lshlrev_b32_e32 v179, 25, v71
	v_ashrrev_i32_e32 v72, 31, v72
	v_lshlrev_b32_e32 v75, 24, v71
	s_wait_alu 0xfffd
	v_xor_b32_e32 v70, vcc_lo, v70
	v_cmp_gt_i32_e32 vcc_lo, 0, v73
	v_not_b32_e32 v73, v74
	s_wait_alu 0xf1ff
	v_xor_b32_e32 v180, s15, v180
	v_cmp_gt_i32_e64 s15, 0, v74
	v_and_b32_e32 v70, exec_lo, v70
	v_not_b32_e32 v74, v76
	v_ashrrev_i32_e32 v73, 31, v73
	s_wait_alu 0xfffd
	v_xor_b32_e32 v72, vcc_lo, v72
	v_cmp_gt_i32_e32 vcc_lo, 0, v76
	v_and_b32_e32 v70, v70, v180
	v_not_b32_e32 v76, v77
	v_ashrrev_i32_e32 v74, 31, v74
	s_wait_alu 0xf1ff
	v_xor_b32_e32 v73, s15, v73
	v_cmp_gt_i32_e64 s15, 0, v77
	v_and_b32_e32 v70, v70, v72
	v_not_b32_e32 v72, v179
	v_ashrrev_i32_e32 v76, 31, v76
	s_wait_alu 0xfffd
	v_xor_b32_e32 v74, vcc_lo, v74
	v_cmp_gt_i32_e32 vcc_lo, 0, v179
	v_and_b32_e32 v70, v70, v73
	v_not_b32_e32 v73, v75
	v_ashrrev_i32_e32 v72, 31, v72
	s_wait_alu 0xf1ff
	v_xor_b32_e32 v76, s15, v76
	v_cmp_gt_i32_e64 s15, 0, v75
	v_and_b32_e32 v70, v70, v74
	v_ashrrev_i32_e32 v73, 31, v73
	s_wait_alu 0xfffd
	v_xor_b32_e32 v72, vcc_lo, v72
	v_mad_u32_u24 v74, v71, 36, v147
	v_mul_u32_u24_e32 v71, 36, v71
	v_and_b32_e32 v70, v70, v76
	s_wait_alu 0xf1ff
	v_xor_b32_e32 v73, s15, v73
	ds_load_b32 v179, v74 offset:1056
	v_add_nc_u32_e32 v181, v147, v71
	v_and_b32_e32 v70, v70, v72
	; wave barrier
	s_delay_alu instid0(VALU_DEP_1) | instskip(NEXT) | instid1(VALU_DEP_1)
	v_and_b32_e32 v70, v70, v73
	v_mbcnt_lo_u32_b32 v180, v70, 0
	v_cmp_ne_u32_e64 s15, 0, v70
	s_delay_alu instid0(VALU_DEP_2)
	v_cmp_eq_u32_e32 vcc_lo, 0, v180
	s_and_b32 s16, s15, vcc_lo
	s_wait_alu 0xfffe
	s_and_saveexec_b32 s15, s16
	s_cbranch_execz .LBB1256_439
; %bb.438:                              ;   in Loop: Header=BB1256_393 Depth=2
	s_wait_dscnt 0x0
	v_bcnt_u32_b32 v70, v70, v179
	ds_store_b32 v181, v70 offset:1056
.LBB1256_439:                           ;   in Loop: Header=BB1256_393 Depth=2
	s_wait_alu 0xfffe
	s_or_b32 exec_lo, exec_lo, s15
	v_cmp_lt_i64_e32 vcc_lo, -1, v[58:59]
	v_ashrrev_i32_e32 v71, 31, v59
	; wave barrier
	s_delay_alu instid0(VALU_DEP_1) | instskip(SKIP_2) | instid1(VALU_DEP_1)
	v_xor_b32_e32 v58, v71, v58
	s_wait_alu 0xfffd
	v_cndmask_b32_e64 v70, -1, 0x80000000, vcc_lo
	v_xor_b32_e32 v59, v70, v59
	s_delay_alu instid0(VALU_DEP_1) | instskip(SKIP_3) | instid1(VALU_DEP_1)
	v_cmp_ne_u64_e32 vcc_lo, s[42:43], v[58:59]
	s_wait_alu 0xfffd
	v_cndmask_b32_e32 v71, 0x80000000, v59, vcc_lo
	v_cndmask_b32_e32 v70, 0, v58, vcc_lo
	v_lshrrev_b64 v[70:71], s48, v[70:71]
	s_delay_alu instid0(VALU_DEP_1) | instskip(NEXT) | instid1(VALU_DEP_1)
	v_and_b32_e32 v71, s57, v70
	v_and_b32_e32 v70, 1, v71
	v_lshlrev_b32_e32 v72, 30, v71
	v_lshlrev_b32_e32 v73, 29, v71
	;; [unrolled: 1-line block ×4, first 2 shown]
	v_add_co_u32 v70, s15, v70, -1
	s_wait_alu 0xf1ff
	v_cndmask_b32_e64 v75, 0, 1, s15
	v_not_b32_e32 v183, v72
	v_cmp_gt_i32_e64 s15, 0, v72
	v_not_b32_e32 v72, v73
	v_lshlrev_b32_e32 v77, 26, v71
	v_cmp_ne_u32_e32 vcc_lo, 0, v75
	v_ashrrev_i32_e32 v183, 31, v183
	v_lshlrev_b32_e32 v182, 25, v71
	v_ashrrev_i32_e32 v72, 31, v72
	v_lshlrev_b32_e32 v75, 24, v71
	s_wait_alu 0xfffd
	v_xor_b32_e32 v70, vcc_lo, v70
	v_cmp_gt_i32_e32 vcc_lo, 0, v73
	v_not_b32_e32 v73, v74
	s_wait_alu 0xf1ff
	v_xor_b32_e32 v183, s15, v183
	v_cmp_gt_i32_e64 s15, 0, v74
	v_and_b32_e32 v70, exec_lo, v70
	v_not_b32_e32 v74, v76
	v_ashrrev_i32_e32 v73, 31, v73
	s_wait_alu 0xfffd
	v_xor_b32_e32 v72, vcc_lo, v72
	v_cmp_gt_i32_e32 vcc_lo, 0, v76
	v_and_b32_e32 v70, v70, v183
	v_not_b32_e32 v76, v77
	v_ashrrev_i32_e32 v74, 31, v74
	s_wait_alu 0xf1ff
	v_xor_b32_e32 v73, s15, v73
	v_cmp_gt_i32_e64 s15, 0, v77
	v_and_b32_e32 v70, v70, v72
	v_not_b32_e32 v72, v182
	v_ashrrev_i32_e32 v76, 31, v76
	s_wait_alu 0xfffd
	v_xor_b32_e32 v74, vcc_lo, v74
	v_cmp_gt_i32_e32 vcc_lo, 0, v182
	v_and_b32_e32 v70, v70, v73
	v_not_b32_e32 v73, v75
	v_ashrrev_i32_e32 v72, 31, v72
	s_wait_alu 0xf1ff
	v_xor_b32_e32 v76, s15, v76
	v_cmp_gt_i32_e64 s15, 0, v75
	v_and_b32_e32 v70, v70, v74
	v_ashrrev_i32_e32 v73, 31, v73
	s_wait_alu 0xfffd
	v_xor_b32_e32 v72, vcc_lo, v72
	v_mad_u32_u24 v74, v71, 36, v147
	v_mul_u32_u24_e32 v71, 36, v71
	v_and_b32_e32 v70, v70, v76
	s_wait_alu 0xf1ff
	v_xor_b32_e32 v73, s15, v73
	ds_load_b32 v182, v74 offset:1056
	v_add_nc_u32_e32 v184, v147, v71
	v_and_b32_e32 v70, v70, v72
	; wave barrier
	s_delay_alu instid0(VALU_DEP_1) | instskip(NEXT) | instid1(VALU_DEP_1)
	v_and_b32_e32 v70, v70, v73
	v_mbcnt_lo_u32_b32 v183, v70, 0
	v_cmp_ne_u32_e64 s15, 0, v70
	s_delay_alu instid0(VALU_DEP_2)
	v_cmp_eq_u32_e32 vcc_lo, 0, v183
	s_and_b32 s16, s15, vcc_lo
	s_wait_alu 0xfffe
	s_and_saveexec_b32 s15, s16
	s_cbranch_execz .LBB1256_441
; %bb.440:                              ;   in Loop: Header=BB1256_393 Depth=2
	s_wait_dscnt 0x0
	v_bcnt_u32_b32 v70, v70, v182
	ds_store_b32 v184, v70 offset:1056
.LBB1256_441:                           ;   in Loop: Header=BB1256_393 Depth=2
	s_wait_alu 0xfffe
	s_or_b32 exec_lo, exec_lo, s15
	v_cmp_lt_i64_e32 vcc_lo, -1, v[62:63]
	v_ashrrev_i32_e32 v71, 31, v63
	; wave barrier
	s_delay_alu instid0(VALU_DEP_1) | instskip(SKIP_2) | instid1(VALU_DEP_1)
	v_xor_b32_e32 v62, v71, v62
	s_wait_alu 0xfffd
	v_cndmask_b32_e64 v70, -1, 0x80000000, vcc_lo
	v_xor_b32_e32 v63, v70, v63
	s_delay_alu instid0(VALU_DEP_1) | instskip(SKIP_3) | instid1(VALU_DEP_1)
	v_cmp_ne_u64_e32 vcc_lo, s[42:43], v[62:63]
	s_wait_alu 0xfffd
	v_cndmask_b32_e32 v71, 0x80000000, v63, vcc_lo
	v_cndmask_b32_e32 v70, 0, v62, vcc_lo
	v_lshrrev_b64 v[70:71], s48, v[70:71]
	s_delay_alu instid0(VALU_DEP_1) | instskip(NEXT) | instid1(VALU_DEP_1)
	v_and_b32_e32 v71, s57, v70
	v_and_b32_e32 v70, 1, v71
	v_lshlrev_b32_e32 v72, 30, v71
	v_lshlrev_b32_e32 v73, 29, v71
	;; [unrolled: 1-line block ×4, first 2 shown]
	v_add_co_u32 v70, s15, v70, -1
	s_wait_alu 0xf1ff
	v_cndmask_b32_e64 v75, 0, 1, s15
	v_not_b32_e32 v186, v72
	v_cmp_gt_i32_e64 s15, 0, v72
	v_not_b32_e32 v72, v73
	v_lshlrev_b32_e32 v77, 26, v71
	v_cmp_ne_u32_e32 vcc_lo, 0, v75
	v_ashrrev_i32_e32 v186, 31, v186
	v_lshlrev_b32_e32 v185, 25, v71
	v_ashrrev_i32_e32 v72, 31, v72
	v_lshlrev_b32_e32 v75, 24, v71
	s_wait_alu 0xfffd
	v_xor_b32_e32 v70, vcc_lo, v70
	v_cmp_gt_i32_e32 vcc_lo, 0, v73
	v_not_b32_e32 v73, v74
	s_wait_alu 0xf1ff
	v_xor_b32_e32 v186, s15, v186
	v_cmp_gt_i32_e64 s15, 0, v74
	v_and_b32_e32 v70, exec_lo, v70
	v_not_b32_e32 v74, v76
	v_ashrrev_i32_e32 v73, 31, v73
	s_wait_alu 0xfffd
	v_xor_b32_e32 v72, vcc_lo, v72
	v_cmp_gt_i32_e32 vcc_lo, 0, v76
	v_and_b32_e32 v70, v70, v186
	v_not_b32_e32 v76, v77
	v_ashrrev_i32_e32 v74, 31, v74
	s_wait_alu 0xf1ff
	v_xor_b32_e32 v73, s15, v73
	v_cmp_gt_i32_e64 s15, 0, v77
	v_and_b32_e32 v70, v70, v72
	v_not_b32_e32 v72, v185
	v_ashrrev_i32_e32 v76, 31, v76
	s_wait_alu 0xfffd
	v_xor_b32_e32 v74, vcc_lo, v74
	v_cmp_gt_i32_e32 vcc_lo, 0, v185
	v_and_b32_e32 v70, v70, v73
	v_not_b32_e32 v73, v75
	v_ashrrev_i32_e32 v72, 31, v72
	s_wait_alu 0xf1ff
	v_xor_b32_e32 v76, s15, v76
	v_cmp_gt_i32_e64 s15, 0, v75
	v_and_b32_e32 v70, v70, v74
	v_ashrrev_i32_e32 v73, 31, v73
	s_wait_alu 0xfffd
	v_xor_b32_e32 v72, vcc_lo, v72
	v_mad_u32_u24 v74, v71, 36, v147
	v_mul_u32_u24_e32 v71, 36, v71
	v_and_b32_e32 v70, v70, v76
	s_wait_alu 0xf1ff
	v_xor_b32_e32 v73, s15, v73
	ds_load_b32 v185, v74 offset:1056
	v_add_nc_u32_e32 v187, v147, v71
	v_and_b32_e32 v70, v70, v72
	; wave barrier
	s_delay_alu instid0(VALU_DEP_1) | instskip(NEXT) | instid1(VALU_DEP_1)
	v_and_b32_e32 v70, v70, v73
	v_mbcnt_lo_u32_b32 v186, v70, 0
	v_cmp_ne_u32_e64 s15, 0, v70
	s_delay_alu instid0(VALU_DEP_2)
	v_cmp_eq_u32_e32 vcc_lo, 0, v186
	s_and_b32 s16, s15, vcc_lo
	s_wait_alu 0xfffe
	s_and_saveexec_b32 s15, s16
	s_cbranch_execz .LBB1256_443
; %bb.442:                              ;   in Loop: Header=BB1256_393 Depth=2
	s_wait_dscnt 0x0
	v_bcnt_u32_b32 v70, v70, v185
	ds_store_b32 v187, v70 offset:1056
.LBB1256_443:                           ;   in Loop: Header=BB1256_393 Depth=2
	s_wait_alu 0xfffe
	s_or_b32 exec_lo, exec_lo, s15
	v_cmp_lt_i64_e32 vcc_lo, -1, v[66:67]
	v_ashrrev_i32_e32 v71, 31, v67
	; wave barrier
	s_delay_alu instid0(VALU_DEP_1) | instskip(SKIP_2) | instid1(VALU_DEP_1)
	v_xor_b32_e32 v66, v71, v66
	s_wait_alu 0xfffd
	v_cndmask_b32_e64 v70, -1, 0x80000000, vcc_lo
	v_xor_b32_e32 v67, v70, v67
	s_delay_alu instid0(VALU_DEP_1) | instskip(SKIP_3) | instid1(VALU_DEP_1)
	v_cmp_ne_u64_e32 vcc_lo, s[42:43], v[66:67]
	s_wait_alu 0xfffd
	v_cndmask_b32_e32 v71, 0x80000000, v67, vcc_lo
	v_cndmask_b32_e32 v70, 0, v66, vcc_lo
	v_lshrrev_b64 v[70:71], s48, v[70:71]
	s_delay_alu instid0(VALU_DEP_1) | instskip(NEXT) | instid1(VALU_DEP_1)
	v_and_b32_e32 v71, s57, v70
	v_and_b32_e32 v70, 1, v71
	v_lshlrev_b32_e32 v72, 30, v71
	v_lshlrev_b32_e32 v73, 29, v71
	;; [unrolled: 1-line block ×4, first 2 shown]
	v_add_co_u32 v70, s15, v70, -1
	s_wait_alu 0xf1ff
	v_cndmask_b32_e64 v75, 0, 1, s15
	v_not_b32_e32 v189, v72
	v_cmp_gt_i32_e64 s15, 0, v72
	v_not_b32_e32 v72, v73
	v_lshlrev_b32_e32 v77, 26, v71
	v_cmp_ne_u32_e32 vcc_lo, 0, v75
	v_ashrrev_i32_e32 v189, 31, v189
	v_lshlrev_b32_e32 v188, 25, v71
	v_ashrrev_i32_e32 v72, 31, v72
	v_lshlrev_b32_e32 v75, 24, v71
	s_wait_alu 0xfffd
	v_xor_b32_e32 v70, vcc_lo, v70
	v_cmp_gt_i32_e32 vcc_lo, 0, v73
	v_not_b32_e32 v73, v74
	s_wait_alu 0xf1ff
	v_xor_b32_e32 v189, s15, v189
	v_cmp_gt_i32_e64 s15, 0, v74
	v_and_b32_e32 v70, exec_lo, v70
	v_not_b32_e32 v74, v76
	v_ashrrev_i32_e32 v73, 31, v73
	s_wait_alu 0xfffd
	v_xor_b32_e32 v72, vcc_lo, v72
	v_cmp_gt_i32_e32 vcc_lo, 0, v76
	v_and_b32_e32 v70, v70, v189
	v_not_b32_e32 v76, v77
	v_ashrrev_i32_e32 v74, 31, v74
	s_wait_alu 0xf1ff
	v_xor_b32_e32 v73, s15, v73
	v_cmp_gt_i32_e64 s15, 0, v77
	v_and_b32_e32 v70, v70, v72
	v_not_b32_e32 v72, v188
	v_ashrrev_i32_e32 v76, 31, v76
	s_wait_alu 0xfffd
	v_xor_b32_e32 v74, vcc_lo, v74
	v_cmp_gt_i32_e32 vcc_lo, 0, v188
	v_and_b32_e32 v70, v70, v73
	v_not_b32_e32 v73, v75
	v_ashrrev_i32_e32 v72, 31, v72
	s_wait_alu 0xf1ff
	v_xor_b32_e32 v76, s15, v76
	v_cmp_gt_i32_e64 s15, 0, v75
	v_and_b32_e32 v70, v70, v74
	v_ashrrev_i32_e32 v73, 31, v73
	s_wait_alu 0xfffd
	v_xor_b32_e32 v72, vcc_lo, v72
	v_mad_u32_u24 v74, v71, 36, v147
	v_mul_u32_u24_e32 v71, 36, v71
	v_and_b32_e32 v70, v70, v76
	s_wait_alu 0xf1ff
	v_xor_b32_e32 v73, s15, v73
	ds_load_b32 v188, v74 offset:1056
	v_add_nc_u32_e32 v190, v147, v71
	v_and_b32_e32 v70, v70, v72
	; wave barrier
	s_delay_alu instid0(VALU_DEP_1) | instskip(NEXT) | instid1(VALU_DEP_1)
	v_and_b32_e32 v70, v70, v73
	v_mbcnt_lo_u32_b32 v189, v70, 0
	v_cmp_ne_u32_e64 s15, 0, v70
	s_delay_alu instid0(VALU_DEP_2)
	v_cmp_eq_u32_e32 vcc_lo, 0, v189
	s_and_b32 s16, s15, vcc_lo
	s_wait_alu 0xfffe
	s_and_saveexec_b32 s15, s16
	s_cbranch_execz .LBB1256_445
; %bb.444:                              ;   in Loop: Header=BB1256_393 Depth=2
	s_wait_dscnt 0x0
	v_bcnt_u32_b32 v70, v70, v188
	ds_store_b32 v190, v70 offset:1056
.LBB1256_445:                           ;   in Loop: Header=BB1256_393 Depth=2
	s_wait_alu 0xfffe
	s_or_b32 exec_lo, exec_lo, s15
	v_cmp_lt_i64_e32 vcc_lo, -1, v[68:69]
	v_ashrrev_i32_e32 v71, 31, v69
	; wave barrier
	s_delay_alu instid0(VALU_DEP_1) | instskip(SKIP_2) | instid1(VALU_DEP_1)
	v_xor_b32_e32 v68, v71, v68
	s_wait_alu 0xfffd
	v_cndmask_b32_e64 v70, -1, 0x80000000, vcc_lo
	v_xor_b32_e32 v69, v70, v69
	s_delay_alu instid0(VALU_DEP_1) | instskip(SKIP_3) | instid1(VALU_DEP_1)
	v_cmp_ne_u64_e32 vcc_lo, s[42:43], v[68:69]
	s_wait_alu 0xfffd
	v_cndmask_b32_e32 v71, 0x80000000, v69, vcc_lo
	v_cndmask_b32_e32 v70, 0, v68, vcc_lo
	v_lshrrev_b64 v[70:71], s48, v[70:71]
	s_delay_alu instid0(VALU_DEP_1) | instskip(NEXT) | instid1(VALU_DEP_1)
	v_and_b32_e32 v71, s57, v70
	v_and_b32_e32 v70, 1, v71
	v_lshlrev_b32_e32 v72, 30, v71
	v_lshlrev_b32_e32 v73, 29, v71
	;; [unrolled: 1-line block ×4, first 2 shown]
	v_add_co_u32 v70, s15, v70, -1
	s_wait_alu 0xf1ff
	v_cndmask_b32_e64 v75, 0, 1, s15
	v_not_b32_e32 v192, v72
	v_cmp_gt_i32_e64 s15, 0, v72
	v_not_b32_e32 v72, v73
	v_lshlrev_b32_e32 v77, 26, v71
	v_cmp_ne_u32_e32 vcc_lo, 0, v75
	v_ashrrev_i32_e32 v192, 31, v192
	v_lshlrev_b32_e32 v191, 25, v71
	v_ashrrev_i32_e32 v72, 31, v72
	v_lshlrev_b32_e32 v75, 24, v71
	s_wait_alu 0xfffd
	v_xor_b32_e32 v70, vcc_lo, v70
	v_cmp_gt_i32_e32 vcc_lo, 0, v73
	v_not_b32_e32 v73, v74
	s_wait_alu 0xf1ff
	v_xor_b32_e32 v192, s15, v192
	v_cmp_gt_i32_e64 s15, 0, v74
	v_and_b32_e32 v70, exec_lo, v70
	v_not_b32_e32 v74, v76
	v_ashrrev_i32_e32 v73, 31, v73
	s_wait_alu 0xfffd
	v_xor_b32_e32 v72, vcc_lo, v72
	v_cmp_gt_i32_e32 vcc_lo, 0, v76
	v_and_b32_e32 v70, v70, v192
	v_not_b32_e32 v76, v77
	v_ashrrev_i32_e32 v74, 31, v74
	s_wait_alu 0xf1ff
	v_xor_b32_e32 v73, s15, v73
	v_cmp_gt_i32_e64 s15, 0, v77
	v_and_b32_e32 v70, v70, v72
	v_not_b32_e32 v72, v191
	v_ashrrev_i32_e32 v76, 31, v76
	s_wait_alu 0xfffd
	v_xor_b32_e32 v74, vcc_lo, v74
	v_cmp_gt_i32_e32 vcc_lo, 0, v191
	v_and_b32_e32 v70, v70, v73
	v_not_b32_e32 v73, v75
	v_ashrrev_i32_e32 v72, 31, v72
	s_wait_alu 0xf1ff
	v_xor_b32_e32 v76, s15, v76
	v_cmp_gt_i32_e64 s15, 0, v75
	v_and_b32_e32 v70, v70, v74
	v_ashrrev_i32_e32 v73, 31, v73
	s_wait_alu 0xfffd
	v_xor_b32_e32 v72, vcc_lo, v72
	v_mad_u32_u24 v74, v71, 36, v147
	v_mul_u32_u24_e32 v71, 36, v71
	v_and_b32_e32 v70, v70, v76
	s_wait_alu 0xf1ff
	v_xor_b32_e32 v73, s15, v73
	ds_load_b32 v191, v74 offset:1056
	v_add_nc_u32_e32 v193, v147, v71
	v_and_b32_e32 v70, v70, v72
	; wave barrier
	s_delay_alu instid0(VALU_DEP_1) | instskip(NEXT) | instid1(VALU_DEP_1)
	v_and_b32_e32 v70, v70, v73
	v_mbcnt_lo_u32_b32 v192, v70, 0
	v_cmp_ne_u32_e64 s15, 0, v70
	s_delay_alu instid0(VALU_DEP_2)
	v_cmp_eq_u32_e32 vcc_lo, 0, v192
	s_and_b32 s16, s15, vcc_lo
	s_wait_alu 0xfffe
	s_and_saveexec_b32 s15, s16
	s_cbranch_execz .LBB1256_447
; %bb.446:                              ;   in Loop: Header=BB1256_393 Depth=2
	s_wait_dscnt 0x0
	v_bcnt_u32_b32 v70, v70, v191
	ds_store_b32 v193, v70 offset:1056
.LBB1256_447:                           ;   in Loop: Header=BB1256_393 Depth=2
	s_wait_alu 0xfffe
	s_or_b32 exec_lo, exec_lo, s15
	v_cmp_lt_i64_e32 vcc_lo, -1, v[64:65]
	v_ashrrev_i32_e32 v71, 31, v65
	; wave barrier
	s_delay_alu instid0(VALU_DEP_1) | instskip(SKIP_2) | instid1(VALU_DEP_1)
	v_xor_b32_e32 v64, v71, v64
	s_wait_alu 0xfffd
	v_cndmask_b32_e64 v70, -1, 0x80000000, vcc_lo
	v_xor_b32_e32 v65, v70, v65
	s_delay_alu instid0(VALU_DEP_1) | instskip(SKIP_3) | instid1(VALU_DEP_1)
	v_cmp_ne_u64_e32 vcc_lo, s[42:43], v[64:65]
	s_wait_alu 0xfffd
	v_cndmask_b32_e32 v71, 0x80000000, v65, vcc_lo
	v_cndmask_b32_e32 v70, 0, v64, vcc_lo
	v_lshrrev_b64 v[70:71], s48, v[70:71]
	s_delay_alu instid0(VALU_DEP_1) | instskip(NEXT) | instid1(VALU_DEP_1)
	v_and_b32_e32 v71, s57, v70
	v_and_b32_e32 v70, 1, v71
	v_lshlrev_b32_e32 v72, 30, v71
	v_lshlrev_b32_e32 v73, 29, v71
	;; [unrolled: 1-line block ×4, first 2 shown]
	v_add_co_u32 v70, s15, v70, -1
	s_wait_alu 0xf1ff
	v_cndmask_b32_e64 v75, 0, 1, s15
	v_not_b32_e32 v195, v72
	v_cmp_gt_i32_e64 s15, 0, v72
	v_not_b32_e32 v72, v73
	v_lshlrev_b32_e32 v77, 26, v71
	v_cmp_ne_u32_e32 vcc_lo, 0, v75
	v_ashrrev_i32_e32 v195, 31, v195
	v_lshlrev_b32_e32 v194, 25, v71
	v_ashrrev_i32_e32 v72, 31, v72
	v_lshlrev_b32_e32 v75, 24, v71
	s_wait_alu 0xfffd
	v_xor_b32_e32 v70, vcc_lo, v70
	v_cmp_gt_i32_e32 vcc_lo, 0, v73
	v_not_b32_e32 v73, v74
	s_wait_alu 0xf1ff
	v_xor_b32_e32 v195, s15, v195
	v_cmp_gt_i32_e64 s15, 0, v74
	v_and_b32_e32 v70, exec_lo, v70
	v_not_b32_e32 v74, v76
	v_ashrrev_i32_e32 v73, 31, v73
	s_wait_alu 0xfffd
	v_xor_b32_e32 v72, vcc_lo, v72
	v_cmp_gt_i32_e32 vcc_lo, 0, v76
	v_and_b32_e32 v70, v70, v195
	v_not_b32_e32 v76, v77
	v_ashrrev_i32_e32 v74, 31, v74
	s_wait_alu 0xf1ff
	v_xor_b32_e32 v73, s15, v73
	v_cmp_gt_i32_e64 s15, 0, v77
	v_and_b32_e32 v70, v70, v72
	v_not_b32_e32 v72, v194
	v_ashrrev_i32_e32 v76, 31, v76
	s_wait_alu 0xfffd
	v_xor_b32_e32 v74, vcc_lo, v74
	v_cmp_gt_i32_e32 vcc_lo, 0, v194
	v_and_b32_e32 v70, v70, v73
	v_not_b32_e32 v73, v75
	v_ashrrev_i32_e32 v72, 31, v72
	s_wait_alu 0xf1ff
	v_xor_b32_e32 v76, s15, v76
	v_cmp_gt_i32_e64 s15, 0, v75
	v_and_b32_e32 v70, v70, v74
	v_ashrrev_i32_e32 v73, 31, v73
	s_wait_alu 0xfffd
	v_xor_b32_e32 v72, vcc_lo, v72
	v_mad_u32_u24 v74, v71, 36, v147
	v_mul_u32_u24_e32 v71, 36, v71
	v_and_b32_e32 v70, v70, v76
	s_wait_alu 0xf1ff
	v_xor_b32_e32 v73, s15, v73
	ds_load_b32 v194, v74 offset:1056
	v_add_nc_u32_e32 v196, v147, v71
	v_and_b32_e32 v70, v70, v72
	; wave barrier
	s_delay_alu instid0(VALU_DEP_1) | instskip(NEXT) | instid1(VALU_DEP_1)
	v_and_b32_e32 v70, v70, v73
	v_mbcnt_lo_u32_b32 v195, v70, 0
	v_cmp_ne_u32_e64 s15, 0, v70
	s_delay_alu instid0(VALU_DEP_2)
	v_cmp_eq_u32_e32 vcc_lo, 0, v195
	s_and_b32 s16, s15, vcc_lo
	s_wait_alu 0xfffe
	s_and_saveexec_b32 s15, s16
	s_cbranch_execz .LBB1256_449
; %bb.448:                              ;   in Loop: Header=BB1256_393 Depth=2
	s_wait_dscnt 0x0
	v_bcnt_u32_b32 v70, v70, v194
	ds_store_b32 v196, v70 offset:1056
.LBB1256_449:                           ;   in Loop: Header=BB1256_393 Depth=2
	s_wait_alu 0xfffe
	s_or_b32 exec_lo, exec_lo, s15
	v_cmp_lt_i64_e32 vcc_lo, -1, v[60:61]
	v_ashrrev_i32_e32 v71, 31, v61
	; wave barrier
	s_delay_alu instid0(VALU_DEP_1) | instskip(SKIP_2) | instid1(VALU_DEP_1)
	v_xor_b32_e32 v60, v71, v60
	s_wait_alu 0xfffd
	v_cndmask_b32_e64 v70, -1, 0x80000000, vcc_lo
	v_xor_b32_e32 v61, v70, v61
	s_delay_alu instid0(VALU_DEP_1) | instskip(SKIP_3) | instid1(VALU_DEP_1)
	v_cmp_ne_u64_e32 vcc_lo, s[42:43], v[60:61]
	s_wait_alu 0xfffd
	v_cndmask_b32_e32 v71, 0x80000000, v61, vcc_lo
	v_cndmask_b32_e32 v70, 0, v60, vcc_lo
	v_lshrrev_b64 v[70:71], s48, v[70:71]
	s_delay_alu instid0(VALU_DEP_1) | instskip(NEXT) | instid1(VALU_DEP_1)
	v_and_b32_e32 v71, s57, v70
	v_and_b32_e32 v70, 1, v71
	v_lshlrev_b32_e32 v72, 30, v71
	v_lshlrev_b32_e32 v73, 29, v71
	;; [unrolled: 1-line block ×4, first 2 shown]
	v_add_co_u32 v70, s15, v70, -1
	s_wait_alu 0xf1ff
	v_cndmask_b32_e64 v75, 0, 1, s15
	v_not_b32_e32 v198, v72
	v_cmp_gt_i32_e64 s15, 0, v72
	v_not_b32_e32 v72, v73
	v_lshlrev_b32_e32 v77, 26, v71
	v_cmp_ne_u32_e32 vcc_lo, 0, v75
	v_ashrrev_i32_e32 v198, 31, v198
	v_lshlrev_b32_e32 v197, 25, v71
	v_ashrrev_i32_e32 v72, 31, v72
	v_lshlrev_b32_e32 v75, 24, v71
	s_wait_alu 0xfffd
	v_xor_b32_e32 v70, vcc_lo, v70
	v_cmp_gt_i32_e32 vcc_lo, 0, v73
	v_not_b32_e32 v73, v74
	s_wait_alu 0xf1ff
	v_xor_b32_e32 v198, s15, v198
	v_cmp_gt_i32_e64 s15, 0, v74
	v_and_b32_e32 v70, exec_lo, v70
	v_not_b32_e32 v74, v76
	v_ashrrev_i32_e32 v73, 31, v73
	s_wait_alu 0xfffd
	v_xor_b32_e32 v72, vcc_lo, v72
	v_cmp_gt_i32_e32 vcc_lo, 0, v76
	v_and_b32_e32 v70, v70, v198
	v_not_b32_e32 v76, v77
	v_ashrrev_i32_e32 v74, 31, v74
	s_wait_alu 0xf1ff
	v_xor_b32_e32 v73, s15, v73
	v_cmp_gt_i32_e64 s15, 0, v77
	v_and_b32_e32 v70, v70, v72
	v_not_b32_e32 v72, v197
	v_ashrrev_i32_e32 v76, 31, v76
	s_wait_alu 0xfffd
	v_xor_b32_e32 v74, vcc_lo, v74
	v_cmp_gt_i32_e32 vcc_lo, 0, v197
	v_and_b32_e32 v70, v70, v73
	v_not_b32_e32 v73, v75
	v_ashrrev_i32_e32 v72, 31, v72
	s_wait_alu 0xf1ff
	v_xor_b32_e32 v76, s15, v76
	v_cmp_gt_i32_e64 s15, 0, v75
	v_and_b32_e32 v70, v70, v74
	v_ashrrev_i32_e32 v73, 31, v73
	s_wait_alu 0xfffd
	v_xor_b32_e32 v72, vcc_lo, v72
	v_mad_u32_u24 v74, v71, 36, v147
	v_mul_u32_u24_e32 v71, 36, v71
	v_and_b32_e32 v70, v70, v76
	s_wait_alu 0xf1ff
	v_xor_b32_e32 v73, s15, v73
	ds_load_b32 v197, v74 offset:1056
	v_add_nc_u32_e32 v199, v147, v71
	v_and_b32_e32 v70, v70, v72
	; wave barrier
	s_delay_alu instid0(VALU_DEP_1) | instskip(NEXT) | instid1(VALU_DEP_1)
	v_and_b32_e32 v70, v70, v73
	v_mbcnt_lo_u32_b32 v198, v70, 0
	v_cmp_ne_u32_e64 s15, 0, v70
	s_delay_alu instid0(VALU_DEP_2)
	v_cmp_eq_u32_e32 vcc_lo, 0, v198
	s_and_b32 s16, s15, vcc_lo
	s_wait_alu 0xfffe
	s_and_saveexec_b32 s15, s16
	s_cbranch_execz .LBB1256_451
; %bb.450:                              ;   in Loop: Header=BB1256_393 Depth=2
	s_wait_dscnt 0x0
	v_bcnt_u32_b32 v70, v70, v197
	ds_store_b32 v199, v70 offset:1056
.LBB1256_451:                           ;   in Loop: Header=BB1256_393 Depth=2
	s_wait_alu 0xfffe
	s_or_b32 exec_lo, exec_lo, s15
	v_cmp_lt_i64_e32 vcc_lo, -1, v[56:57]
	v_ashrrev_i32_e32 v71, 31, v57
	; wave barrier
	s_delay_alu instid0(VALU_DEP_1) | instskip(SKIP_2) | instid1(VALU_DEP_1)
	v_xor_b32_e32 v56, v71, v56
	s_wait_alu 0xfffd
	v_cndmask_b32_e64 v70, -1, 0x80000000, vcc_lo
	v_xor_b32_e32 v57, v70, v57
	s_delay_alu instid0(VALU_DEP_1) | instskip(SKIP_3) | instid1(VALU_DEP_1)
	v_cmp_ne_u64_e32 vcc_lo, s[42:43], v[56:57]
	s_wait_alu 0xfffd
	v_cndmask_b32_e32 v71, 0x80000000, v57, vcc_lo
	v_cndmask_b32_e32 v70, 0, v56, vcc_lo
	v_lshrrev_b64 v[70:71], s48, v[70:71]
	s_delay_alu instid0(VALU_DEP_1) | instskip(NEXT) | instid1(VALU_DEP_1)
	v_and_b32_e32 v71, s57, v70
	v_and_b32_e32 v70, 1, v71
	v_lshlrev_b32_e32 v72, 30, v71
	v_lshlrev_b32_e32 v73, 29, v71
	;; [unrolled: 1-line block ×4, first 2 shown]
	v_add_co_u32 v70, s15, v70, -1
	s_wait_alu 0xf1ff
	v_cndmask_b32_e64 v75, 0, 1, s15
	v_not_b32_e32 v201, v72
	v_cmp_gt_i32_e64 s15, 0, v72
	v_not_b32_e32 v72, v73
	v_lshlrev_b32_e32 v77, 26, v71
	v_cmp_ne_u32_e32 vcc_lo, 0, v75
	v_ashrrev_i32_e32 v201, 31, v201
	v_lshlrev_b32_e32 v200, 25, v71
	v_ashrrev_i32_e32 v72, 31, v72
	v_lshlrev_b32_e32 v75, 24, v71
	s_wait_alu 0xfffd
	v_xor_b32_e32 v70, vcc_lo, v70
	v_cmp_gt_i32_e32 vcc_lo, 0, v73
	v_not_b32_e32 v73, v74
	s_wait_alu 0xf1ff
	v_xor_b32_e32 v201, s15, v201
	v_cmp_gt_i32_e64 s15, 0, v74
	v_and_b32_e32 v70, exec_lo, v70
	v_not_b32_e32 v74, v76
	v_ashrrev_i32_e32 v73, 31, v73
	s_wait_alu 0xfffd
	v_xor_b32_e32 v72, vcc_lo, v72
	v_cmp_gt_i32_e32 vcc_lo, 0, v76
	v_and_b32_e32 v70, v70, v201
	v_not_b32_e32 v76, v77
	v_ashrrev_i32_e32 v74, 31, v74
	s_wait_alu 0xf1ff
	v_xor_b32_e32 v73, s15, v73
	v_cmp_gt_i32_e64 s15, 0, v77
	v_and_b32_e32 v70, v70, v72
	v_not_b32_e32 v72, v200
	v_ashrrev_i32_e32 v76, 31, v76
	s_wait_alu 0xfffd
	v_xor_b32_e32 v74, vcc_lo, v74
	v_cmp_gt_i32_e32 vcc_lo, 0, v200
	v_and_b32_e32 v70, v70, v73
	v_not_b32_e32 v73, v75
	v_ashrrev_i32_e32 v72, 31, v72
	s_wait_alu 0xf1ff
	v_xor_b32_e32 v76, s15, v76
	v_cmp_gt_i32_e64 s15, 0, v75
	v_and_b32_e32 v70, v70, v74
	v_ashrrev_i32_e32 v73, 31, v73
	s_wait_alu 0xfffd
	v_xor_b32_e32 v72, vcc_lo, v72
	v_mad_u32_u24 v74, v71, 36, v147
	v_mul_u32_u24_e32 v71, 36, v71
	v_and_b32_e32 v70, v70, v76
	s_wait_alu 0xf1ff
	v_xor_b32_e32 v73, s15, v73
	ds_load_b32 v200, v74 offset:1056
	v_add_nc_u32_e32 v202, v147, v71
	v_and_b32_e32 v70, v70, v72
	; wave barrier
	s_delay_alu instid0(VALU_DEP_1) | instskip(NEXT) | instid1(VALU_DEP_1)
	v_and_b32_e32 v70, v70, v73
	v_mbcnt_lo_u32_b32 v201, v70, 0
	v_cmp_ne_u32_e64 s15, 0, v70
	s_delay_alu instid0(VALU_DEP_2)
	v_cmp_eq_u32_e32 vcc_lo, 0, v201
	s_and_b32 s16, s15, vcc_lo
	s_wait_alu 0xfffe
	s_and_saveexec_b32 s15, s16
	s_cbranch_execz .LBB1256_453
; %bb.452:                              ;   in Loop: Header=BB1256_393 Depth=2
	s_wait_dscnt 0x0
	v_bcnt_u32_b32 v70, v70, v200
	ds_store_b32 v202, v70 offset:1056
.LBB1256_453:                           ;   in Loop: Header=BB1256_393 Depth=2
	s_wait_alu 0xfffe
	s_or_b32 exec_lo, exec_lo, s15
	v_cmp_lt_i64_e32 vcc_lo, -1, v[52:53]
	v_ashrrev_i32_e32 v71, 31, v53
	; wave barrier
	s_delay_alu instid0(VALU_DEP_1) | instskip(SKIP_2) | instid1(VALU_DEP_1)
	v_xor_b32_e32 v52, v71, v52
	s_wait_alu 0xfffd
	v_cndmask_b32_e64 v70, -1, 0x80000000, vcc_lo
	v_xor_b32_e32 v53, v70, v53
	s_delay_alu instid0(VALU_DEP_1) | instskip(SKIP_3) | instid1(VALU_DEP_1)
	v_cmp_ne_u64_e32 vcc_lo, s[42:43], v[52:53]
	s_wait_alu 0xfffd
	v_cndmask_b32_e32 v71, 0x80000000, v53, vcc_lo
	v_cndmask_b32_e32 v70, 0, v52, vcc_lo
	v_lshrrev_b64 v[70:71], s48, v[70:71]
	s_delay_alu instid0(VALU_DEP_1) | instskip(NEXT) | instid1(VALU_DEP_1)
	v_and_b32_e32 v71, s57, v70
	v_and_b32_e32 v70, 1, v71
	v_lshlrev_b32_e32 v72, 30, v71
	v_lshlrev_b32_e32 v73, 29, v71
	;; [unrolled: 1-line block ×4, first 2 shown]
	v_add_co_u32 v70, s15, v70, -1
	s_wait_alu 0xf1ff
	v_cndmask_b32_e64 v75, 0, 1, s15
	v_not_b32_e32 v204, v72
	v_cmp_gt_i32_e64 s15, 0, v72
	v_not_b32_e32 v72, v73
	v_lshlrev_b32_e32 v77, 26, v71
	v_cmp_ne_u32_e32 vcc_lo, 0, v75
	v_ashrrev_i32_e32 v204, 31, v204
	v_lshlrev_b32_e32 v203, 25, v71
	v_ashrrev_i32_e32 v72, 31, v72
	v_lshlrev_b32_e32 v75, 24, v71
	s_wait_alu 0xfffd
	v_xor_b32_e32 v70, vcc_lo, v70
	v_cmp_gt_i32_e32 vcc_lo, 0, v73
	v_not_b32_e32 v73, v74
	s_wait_alu 0xf1ff
	v_xor_b32_e32 v204, s15, v204
	v_cmp_gt_i32_e64 s15, 0, v74
	v_and_b32_e32 v70, exec_lo, v70
	v_not_b32_e32 v74, v76
	v_ashrrev_i32_e32 v73, 31, v73
	s_wait_alu 0xfffd
	v_xor_b32_e32 v72, vcc_lo, v72
	v_cmp_gt_i32_e32 vcc_lo, 0, v76
	v_and_b32_e32 v70, v70, v204
	v_not_b32_e32 v76, v77
	v_ashrrev_i32_e32 v74, 31, v74
	s_wait_alu 0xf1ff
	v_xor_b32_e32 v73, s15, v73
	v_cmp_gt_i32_e64 s15, 0, v77
	v_and_b32_e32 v70, v70, v72
	v_not_b32_e32 v72, v203
	v_ashrrev_i32_e32 v76, 31, v76
	s_wait_alu 0xfffd
	v_xor_b32_e32 v74, vcc_lo, v74
	v_cmp_gt_i32_e32 vcc_lo, 0, v203
	v_and_b32_e32 v70, v70, v73
	v_not_b32_e32 v73, v75
	v_ashrrev_i32_e32 v72, 31, v72
	s_wait_alu 0xf1ff
	v_xor_b32_e32 v76, s15, v76
	v_cmp_gt_i32_e64 s15, 0, v75
	v_and_b32_e32 v70, v70, v74
	v_ashrrev_i32_e32 v73, 31, v73
	s_wait_alu 0xfffd
	v_xor_b32_e32 v72, vcc_lo, v72
	v_mad_u32_u24 v74, v71, 36, v147
	v_mul_u32_u24_e32 v71, 36, v71
	v_and_b32_e32 v70, v70, v76
	s_wait_alu 0xf1ff
	v_xor_b32_e32 v73, s15, v73
	ds_load_b32 v203, v74 offset:1056
	v_add_nc_u32_e32 v205, v147, v71
	v_and_b32_e32 v70, v70, v72
	; wave barrier
	s_delay_alu instid0(VALU_DEP_1) | instskip(NEXT) | instid1(VALU_DEP_1)
	v_and_b32_e32 v70, v70, v73
	v_mbcnt_lo_u32_b32 v204, v70, 0
	v_cmp_ne_u32_e64 s15, 0, v70
	s_delay_alu instid0(VALU_DEP_2)
	v_cmp_eq_u32_e32 vcc_lo, 0, v204
	s_and_b32 s16, s15, vcc_lo
	s_wait_alu 0xfffe
	s_and_saveexec_b32 s15, s16
	s_cbranch_execz .LBB1256_455
; %bb.454:                              ;   in Loop: Header=BB1256_393 Depth=2
	s_wait_dscnt 0x0
	v_bcnt_u32_b32 v70, v70, v203
	ds_store_b32 v205, v70 offset:1056
.LBB1256_455:                           ;   in Loop: Header=BB1256_393 Depth=2
	s_wait_alu 0xfffe
	s_or_b32 exec_lo, exec_lo, s15
	v_cmp_lt_i64_e32 vcc_lo, -1, v[50:51]
	v_ashrrev_i32_e32 v71, 31, v51
	; wave barrier
	s_delay_alu instid0(VALU_DEP_1) | instskip(SKIP_2) | instid1(VALU_DEP_1)
	v_xor_b32_e32 v50, v71, v50
	s_wait_alu 0xfffd
	v_cndmask_b32_e64 v70, -1, 0x80000000, vcc_lo
	v_xor_b32_e32 v51, v70, v51
	s_delay_alu instid0(VALU_DEP_1) | instskip(SKIP_3) | instid1(VALU_DEP_1)
	v_cmp_ne_u64_e32 vcc_lo, s[42:43], v[50:51]
	s_wait_alu 0xfffd
	v_cndmask_b32_e32 v71, 0x80000000, v51, vcc_lo
	v_cndmask_b32_e32 v70, 0, v50, vcc_lo
	v_lshrrev_b64 v[70:71], s48, v[70:71]
	s_delay_alu instid0(VALU_DEP_1) | instskip(NEXT) | instid1(VALU_DEP_1)
	v_and_b32_e32 v71, s57, v70
	v_and_b32_e32 v70, 1, v71
	v_lshlrev_b32_e32 v72, 30, v71
	v_lshlrev_b32_e32 v73, 29, v71
	;; [unrolled: 1-line block ×4, first 2 shown]
	v_add_co_u32 v70, s15, v70, -1
	s_wait_alu 0xf1ff
	v_cndmask_b32_e64 v75, 0, 1, s15
	v_not_b32_e32 v207, v72
	v_cmp_gt_i32_e64 s15, 0, v72
	v_not_b32_e32 v72, v73
	v_lshlrev_b32_e32 v77, 26, v71
	v_cmp_ne_u32_e32 vcc_lo, 0, v75
	v_ashrrev_i32_e32 v207, 31, v207
	v_lshlrev_b32_e32 v206, 25, v71
	v_ashrrev_i32_e32 v72, 31, v72
	v_lshlrev_b32_e32 v75, 24, v71
	s_wait_alu 0xfffd
	v_xor_b32_e32 v70, vcc_lo, v70
	v_cmp_gt_i32_e32 vcc_lo, 0, v73
	v_not_b32_e32 v73, v74
	s_wait_alu 0xf1ff
	v_xor_b32_e32 v207, s15, v207
	v_cmp_gt_i32_e64 s15, 0, v74
	v_and_b32_e32 v70, exec_lo, v70
	v_not_b32_e32 v74, v76
	v_ashrrev_i32_e32 v73, 31, v73
	s_wait_alu 0xfffd
	v_xor_b32_e32 v72, vcc_lo, v72
	v_cmp_gt_i32_e32 vcc_lo, 0, v76
	v_and_b32_e32 v70, v70, v207
	v_not_b32_e32 v76, v77
	v_ashrrev_i32_e32 v74, 31, v74
	s_wait_alu 0xf1ff
	v_xor_b32_e32 v73, s15, v73
	v_cmp_gt_i32_e64 s15, 0, v77
	v_and_b32_e32 v70, v70, v72
	v_not_b32_e32 v72, v206
	v_ashrrev_i32_e32 v76, 31, v76
	s_wait_alu 0xfffd
	v_xor_b32_e32 v74, vcc_lo, v74
	v_cmp_gt_i32_e32 vcc_lo, 0, v206
	v_and_b32_e32 v70, v70, v73
	v_not_b32_e32 v73, v75
	v_ashrrev_i32_e32 v72, 31, v72
	s_wait_alu 0xf1ff
	v_xor_b32_e32 v76, s15, v76
	v_cmp_gt_i32_e64 s15, 0, v75
	v_and_b32_e32 v70, v70, v74
	v_ashrrev_i32_e32 v73, 31, v73
	s_wait_alu 0xfffd
	v_xor_b32_e32 v72, vcc_lo, v72
	v_mad_u32_u24 v74, v71, 36, v147
	v_mul_u32_u24_e32 v71, 36, v71
	v_and_b32_e32 v70, v70, v76
	s_wait_alu 0xf1ff
	v_xor_b32_e32 v73, s15, v73
	ds_load_b32 v206, v74 offset:1056
	v_add_nc_u32_e32 v208, v147, v71
	v_and_b32_e32 v70, v70, v72
	; wave barrier
	s_delay_alu instid0(VALU_DEP_1) | instskip(NEXT) | instid1(VALU_DEP_1)
	v_and_b32_e32 v70, v70, v73
	v_mbcnt_lo_u32_b32 v207, v70, 0
	v_cmp_ne_u32_e64 s15, 0, v70
	s_delay_alu instid0(VALU_DEP_2)
	v_cmp_eq_u32_e32 vcc_lo, 0, v207
	s_and_b32 s16, s15, vcc_lo
	s_wait_alu 0xfffe
	s_and_saveexec_b32 s15, s16
	s_cbranch_execz .LBB1256_457
; %bb.456:                              ;   in Loop: Header=BB1256_393 Depth=2
	s_wait_dscnt 0x0
	v_bcnt_u32_b32 v70, v70, v206
	ds_store_b32 v208, v70 offset:1056
.LBB1256_457:                           ;   in Loop: Header=BB1256_393 Depth=2
	s_wait_alu 0xfffe
	s_or_b32 exec_lo, exec_lo, s15
	v_cmp_lt_i64_e32 vcc_lo, -1, v[46:47]
	v_ashrrev_i32_e32 v71, 31, v47
	; wave barrier
	s_delay_alu instid0(VALU_DEP_1) | instskip(SKIP_2) | instid1(VALU_DEP_1)
	v_xor_b32_e32 v46, v71, v46
	s_wait_alu 0xfffd
	v_cndmask_b32_e64 v70, -1, 0x80000000, vcc_lo
	v_xor_b32_e32 v47, v70, v47
	s_delay_alu instid0(VALU_DEP_1) | instskip(SKIP_3) | instid1(VALU_DEP_1)
	v_cmp_ne_u64_e32 vcc_lo, s[42:43], v[46:47]
	s_wait_alu 0xfffd
	v_cndmask_b32_e32 v71, 0x80000000, v47, vcc_lo
	v_cndmask_b32_e32 v70, 0, v46, vcc_lo
	v_lshrrev_b64 v[70:71], s48, v[70:71]
	s_delay_alu instid0(VALU_DEP_1) | instskip(NEXT) | instid1(VALU_DEP_1)
	v_and_b32_e32 v71, s57, v70
	v_and_b32_e32 v70, 1, v71
	v_lshlrev_b32_e32 v72, 30, v71
	v_lshlrev_b32_e32 v73, 29, v71
	;; [unrolled: 1-line block ×4, first 2 shown]
	v_add_co_u32 v70, s15, v70, -1
	s_wait_alu 0xf1ff
	v_cndmask_b32_e64 v75, 0, 1, s15
	v_not_b32_e32 v210, v72
	v_cmp_gt_i32_e64 s15, 0, v72
	v_not_b32_e32 v72, v73
	v_lshlrev_b32_e32 v77, 26, v71
	v_cmp_ne_u32_e32 vcc_lo, 0, v75
	v_ashrrev_i32_e32 v210, 31, v210
	v_lshlrev_b32_e32 v209, 25, v71
	v_ashrrev_i32_e32 v72, 31, v72
	v_lshlrev_b32_e32 v75, 24, v71
	s_wait_alu 0xfffd
	v_xor_b32_e32 v70, vcc_lo, v70
	v_cmp_gt_i32_e32 vcc_lo, 0, v73
	v_not_b32_e32 v73, v74
	s_wait_alu 0xf1ff
	v_xor_b32_e32 v210, s15, v210
	v_cmp_gt_i32_e64 s15, 0, v74
	v_and_b32_e32 v70, exec_lo, v70
	v_not_b32_e32 v74, v76
	v_ashrrev_i32_e32 v73, 31, v73
	s_wait_alu 0xfffd
	v_xor_b32_e32 v72, vcc_lo, v72
	v_cmp_gt_i32_e32 vcc_lo, 0, v76
	v_and_b32_e32 v70, v70, v210
	v_not_b32_e32 v76, v77
	v_ashrrev_i32_e32 v74, 31, v74
	s_wait_alu 0xf1ff
	v_xor_b32_e32 v73, s15, v73
	v_cmp_gt_i32_e64 s15, 0, v77
	v_and_b32_e32 v70, v70, v72
	v_not_b32_e32 v72, v209
	v_ashrrev_i32_e32 v76, 31, v76
	s_wait_alu 0xfffd
	v_xor_b32_e32 v74, vcc_lo, v74
	v_cmp_gt_i32_e32 vcc_lo, 0, v209
	v_and_b32_e32 v70, v70, v73
	v_not_b32_e32 v73, v75
	v_ashrrev_i32_e32 v72, 31, v72
	s_wait_alu 0xf1ff
	v_xor_b32_e32 v76, s15, v76
	v_cmp_gt_i32_e64 s15, 0, v75
	v_and_b32_e32 v70, v70, v74
	v_ashrrev_i32_e32 v73, 31, v73
	s_wait_alu 0xfffd
	v_xor_b32_e32 v72, vcc_lo, v72
	v_mad_u32_u24 v74, v71, 36, v147
	v_mul_u32_u24_e32 v71, 36, v71
	v_and_b32_e32 v70, v70, v76
	s_wait_alu 0xf1ff
	v_xor_b32_e32 v73, s15, v73
	ds_load_b32 v209, v74 offset:1056
	v_add_nc_u32_e32 v212, v147, v71
	v_and_b32_e32 v70, v70, v72
	; wave barrier
	s_delay_alu instid0(VALU_DEP_1) | instskip(NEXT) | instid1(VALU_DEP_1)
	v_and_b32_e32 v70, v70, v73
	v_mbcnt_lo_u32_b32 v210, v70, 0
	v_cmp_ne_u32_e64 s15, 0, v70
	s_delay_alu instid0(VALU_DEP_2)
	v_cmp_eq_u32_e32 vcc_lo, 0, v210
	s_and_b32 s16, s15, vcc_lo
	s_wait_alu 0xfffe
	s_and_saveexec_b32 s15, s16
	s_cbranch_execz .LBB1256_459
; %bb.458:                              ;   in Loop: Header=BB1256_393 Depth=2
	s_wait_dscnt 0x0
	v_bcnt_u32_b32 v70, v70, v209
	ds_store_b32 v212, v70 offset:1056
.LBB1256_459:                           ;   in Loop: Header=BB1256_393 Depth=2
	s_wait_alu 0xfffe
	s_or_b32 exec_lo, exec_lo, s15
	v_cmp_lt_i64_e32 vcc_lo, -1, v[44:45]
	v_ashrrev_i32_e32 v71, 31, v45
	; wave barrier
	s_delay_alu instid0(VALU_DEP_1) | instskip(SKIP_2) | instid1(VALU_DEP_1)
	v_xor_b32_e32 v44, v71, v44
	s_wait_alu 0xfffd
	v_cndmask_b32_e64 v70, -1, 0x80000000, vcc_lo
	v_xor_b32_e32 v45, v70, v45
	s_delay_alu instid0(VALU_DEP_1) | instskip(SKIP_3) | instid1(VALU_DEP_1)
	v_cmp_ne_u64_e32 vcc_lo, s[42:43], v[44:45]
	s_wait_alu 0xfffd
	v_cndmask_b32_e32 v71, 0x80000000, v45, vcc_lo
	v_cndmask_b32_e32 v70, 0, v44, vcc_lo
	v_lshrrev_b64 v[70:71], s48, v[70:71]
	s_delay_alu instid0(VALU_DEP_1) | instskip(NEXT) | instid1(VALU_DEP_1)
	v_and_b32_e32 v71, s57, v70
	v_and_b32_e32 v70, 1, v71
	v_lshlrev_b32_e32 v72, 30, v71
	v_lshlrev_b32_e32 v73, 29, v71
	;; [unrolled: 1-line block ×4, first 2 shown]
	v_add_co_u32 v70, s15, v70, -1
	s_wait_alu 0xf1ff
	v_cndmask_b32_e64 v75, 0, 1, s15
	v_not_b32_e32 v213, v72
	v_cmp_gt_i32_e64 s15, 0, v72
	v_not_b32_e32 v72, v73
	v_lshlrev_b32_e32 v77, 26, v71
	v_cmp_ne_u32_e32 vcc_lo, 0, v75
	v_ashrrev_i32_e32 v213, 31, v213
	v_lshlrev_b32_e32 v211, 25, v71
	v_ashrrev_i32_e32 v72, 31, v72
	v_lshlrev_b32_e32 v75, 24, v71
	s_wait_alu 0xfffd
	v_xor_b32_e32 v70, vcc_lo, v70
	v_cmp_gt_i32_e32 vcc_lo, 0, v73
	v_not_b32_e32 v73, v74
	s_wait_alu 0xf1ff
	v_xor_b32_e32 v213, s15, v213
	v_cmp_gt_i32_e64 s15, 0, v74
	v_and_b32_e32 v70, exec_lo, v70
	v_not_b32_e32 v74, v76
	v_ashrrev_i32_e32 v73, 31, v73
	s_wait_alu 0xfffd
	v_xor_b32_e32 v72, vcc_lo, v72
	v_cmp_gt_i32_e32 vcc_lo, 0, v76
	v_and_b32_e32 v70, v70, v213
	v_not_b32_e32 v76, v77
	v_ashrrev_i32_e32 v74, 31, v74
	s_wait_alu 0xf1ff
	v_xor_b32_e32 v73, s15, v73
	v_cmp_gt_i32_e64 s15, 0, v77
	v_and_b32_e32 v70, v70, v72
	v_not_b32_e32 v72, v211
	v_ashrrev_i32_e32 v76, 31, v76
	s_wait_alu 0xfffd
	v_xor_b32_e32 v74, vcc_lo, v74
	v_cmp_gt_i32_e32 vcc_lo, 0, v211
	v_and_b32_e32 v70, v70, v73
	v_not_b32_e32 v73, v75
	v_ashrrev_i32_e32 v72, 31, v72
	s_wait_alu 0xf1ff
	v_xor_b32_e32 v76, s15, v76
	v_cmp_gt_i32_e64 s15, 0, v75
	v_and_b32_e32 v70, v70, v74
	v_ashrrev_i32_e32 v73, 31, v73
	s_wait_alu 0xfffd
	v_xor_b32_e32 v72, vcc_lo, v72
	v_mad_u32_u24 v74, v71, 36, v147
	v_mul_u32_u24_e32 v71, 36, v71
	v_and_b32_e32 v70, v70, v76
	s_wait_alu 0xf1ff
	v_xor_b32_e32 v73, s15, v73
	ds_load_b32 v211, v74 offset:1056
	v_add_nc_u32_e32 v214, v147, v71
	v_and_b32_e32 v70, v70, v72
	; wave barrier
	s_delay_alu instid0(VALU_DEP_1) | instskip(NEXT) | instid1(VALU_DEP_1)
	v_and_b32_e32 v70, v70, v73
	v_mbcnt_lo_u32_b32 v213, v70, 0
	v_cmp_ne_u32_e64 s15, 0, v70
	s_delay_alu instid0(VALU_DEP_2)
	v_cmp_eq_u32_e32 vcc_lo, 0, v213
	s_and_b32 s16, s15, vcc_lo
	s_wait_alu 0xfffe
	s_and_saveexec_b32 s15, s16
	s_cbranch_execz .LBB1256_461
; %bb.460:                              ;   in Loop: Header=BB1256_393 Depth=2
	s_wait_dscnt 0x0
	v_bcnt_u32_b32 v70, v70, v211
	ds_store_b32 v214, v70 offset:1056
.LBB1256_461:                           ;   in Loop: Header=BB1256_393 Depth=2
	s_wait_alu 0xfffe
	s_or_b32 exec_lo, exec_lo, s15
	; wave barrier
	s_wait_loadcnt_dscnt 0x0
	s_barrier_signal -1
	s_barrier_wait -1
	global_inv scope:SCOPE_SE
	ds_load_2addr_b32 v[76:77], v166 offset1:1
	ds_load_2addr_b32 v[74:75], v167 offset1:1
	;; [unrolled: 1-line block ×4, first 2 shown]
	ds_load_b32 v215, v103 offset:1088
	s_wait_dscnt 0x3
	v_add3_u32 v216, v77, v76, v74
	s_wait_dscnt 0x2
	s_delay_alu instid0(VALU_DEP_1) | instskip(SKIP_1) | instid1(VALU_DEP_1)
	v_add3_u32 v216, v216, v75, v72
	s_wait_dscnt 0x1
	v_add3_u32 v216, v216, v73, v70
	s_wait_dscnt 0x0
	s_delay_alu instid0(VALU_DEP_1) | instskip(NEXT) | instid1(VALU_DEP_1)
	v_add3_u32 v215, v216, v71, v215
	v_mov_b32_dpp v216, v215 row_shr:1 row_mask:0xf bank_mask:0xf
	s_delay_alu instid0(VALU_DEP_1) | instskip(NEXT) | instid1(VALU_DEP_1)
	v_cndmask_b32_e64 v216, v216, 0, s6
	v_add_nc_u32_e32 v215, v216, v215
	s_delay_alu instid0(VALU_DEP_1) | instskip(NEXT) | instid1(VALU_DEP_1)
	v_mov_b32_dpp v216, v215 row_shr:2 row_mask:0xf bank_mask:0xf
	v_cndmask_b32_e64 v216, 0, v216, s7
	s_delay_alu instid0(VALU_DEP_1) | instskip(NEXT) | instid1(VALU_DEP_1)
	v_add_nc_u32_e32 v215, v215, v216
	v_mov_b32_dpp v216, v215 row_shr:4 row_mask:0xf bank_mask:0xf
	s_delay_alu instid0(VALU_DEP_1) | instskip(NEXT) | instid1(VALU_DEP_1)
	v_cndmask_b32_e64 v216, 0, v216, s8
	v_add_nc_u32_e32 v215, v215, v216
	s_delay_alu instid0(VALU_DEP_1) | instskip(NEXT) | instid1(VALU_DEP_1)
	v_mov_b32_dpp v216, v215 row_shr:8 row_mask:0xf bank_mask:0xf
	v_cndmask_b32_e64 v216, 0, v216, s9
	s_delay_alu instid0(VALU_DEP_1) | instskip(SKIP_3) | instid1(VALU_DEP_1)
	v_add_nc_u32_e32 v215, v215, v216
	ds_swizzle_b32 v216, v215 offset:swizzle(BROADCAST,32,15)
	s_wait_dscnt 0x0
	v_cndmask_b32_e64 v216, v216, 0, s10
	v_add_nc_u32_e32 v215, v215, v216
	s_and_saveexec_b32 s15, s3
; %bb.462:                              ;   in Loop: Header=BB1256_393 Depth=2
	ds_store_b32 v97, v215 offset:1024
; %bb.463:                              ;   in Loop: Header=BB1256_393 Depth=2
	s_wait_alu 0xfffe
	s_or_b32 exec_lo, exec_lo, s15
	s_wait_loadcnt_dscnt 0x0
	s_barrier_signal -1
	s_barrier_wait -1
	global_inv scope:SCOPE_SE
	s_and_saveexec_b32 s15, s4
	s_cbranch_execz .LBB1256_465
; %bb.464:                              ;   in Loop: Header=BB1256_393 Depth=2
	ds_load_b32 v216, v105 offset:1024
	s_wait_dscnt 0x0
	v_mov_b32_dpp v217, v216 row_shr:1 row_mask:0xf bank_mask:0xf
	s_delay_alu instid0(VALU_DEP_1) | instskip(NEXT) | instid1(VALU_DEP_1)
	v_cndmask_b32_e64 v217, v217, 0, s12
	v_add_nc_u32_e32 v216, v217, v216
	s_delay_alu instid0(VALU_DEP_1) | instskip(NEXT) | instid1(VALU_DEP_1)
	v_mov_b32_dpp v217, v216 row_shr:2 row_mask:0xf bank_mask:0xf
	v_cndmask_b32_e64 v217, 0, v217, s13
	s_delay_alu instid0(VALU_DEP_1) | instskip(NEXT) | instid1(VALU_DEP_1)
	v_add_nc_u32_e32 v216, v216, v217
	v_mov_b32_dpp v217, v216 row_shr:4 row_mask:0xf bank_mask:0xf
	s_delay_alu instid0(VALU_DEP_1) | instskip(NEXT) | instid1(VALU_DEP_1)
	v_cndmask_b32_e64 v217, 0, v217, s14
	v_add_nc_u32_e32 v216, v216, v217
	ds_store_b32 v105, v216 offset:1024
.LBB1256_465:                           ;   in Loop: Header=BB1256_393 Depth=2
	s_wait_alu 0xfffe
	s_or_b32 exec_lo, exec_lo, s15
	v_mov_b32_e32 v216, 0
	s_wait_loadcnt_dscnt 0x0
	s_barrier_signal -1
	s_barrier_wait -1
	global_inv scope:SCOPE_SE
	s_and_saveexec_b32 s15, s5
; %bb.466:                              ;   in Loop: Header=BB1256_393 Depth=2
	ds_load_b32 v216, v97 offset:1020
; %bb.467:                              ;   in Loop: Header=BB1256_393 Depth=2
	s_wait_alu 0xfffe
	s_or_b32 exec_lo, exec_lo, s15
	s_wait_dscnt 0x0
	v_add_nc_u32_e32 v215, v216, v215
	ds_bpermute_b32 v215, v126, v215
	s_wait_dscnt 0x0
	v_cndmask_b32_e64 v215, v215, v216, s11
	s_delay_alu instid0(VALU_DEP_1) | instskip(NEXT) | instid1(VALU_DEP_1)
	v_cndmask_b32_e64 v215, v215, 0, s0
	v_add_nc_u32_e32 v76, v215, v76
	s_delay_alu instid0(VALU_DEP_1) | instskip(NEXT) | instid1(VALU_DEP_1)
	v_add_nc_u32_e32 v77, v76, v77
	v_add_nc_u32_e32 v74, v77, v74
	s_delay_alu instid0(VALU_DEP_1) | instskip(NEXT) | instid1(VALU_DEP_1)
	v_add_nc_u32_e32 v75, v74, v75
	;; [unrolled: 3-line block ×3, first 2 shown]
	v_add_nc_u32_e32 v70, v73, v70
	s_delay_alu instid0(VALU_DEP_1)
	v_add_nc_u32_e32 v71, v70, v71
	ds_store_2addr_b32 v165, v73, v70 offset1:1
	ds_store_2addr_b32 v166, v215, v76 offset1:1
	;; [unrolled: 1-line block ×4, first 2 shown]
	ds_store_b32 v103, v71 offset:1088
	s_wait_loadcnt_dscnt 0x0
	s_barrier_signal -1
	s_barrier_wait -1
	global_inv scope:SCOPE_SE
	ds_load_b32 v71, v169 offset:1056
	ds_load_b32 v76, v172 offset:1056
	;; [unrolled: 1-line block ×17, first 2 shown]
	v_mov_b32_e32 v70, 0x1000
	s_and_saveexec_b32 s15, s1
; %bb.468:                              ;   in Loop: Header=BB1256_393 Depth=2
	ds_load_b32 v70, v103 offset:1092
; %bb.469:                              ;   in Loop: Header=BB1256_393 Depth=2
	s_wait_alu 0xfffe
	s_or_b32 exec_lo, exec_lo, s15
	s_wait_loadcnt_dscnt 0x0
	s_barrier_signal -1
	s_barrier_wait -1
	global_inv scope:SCOPE_SE
	s_and_saveexec_b32 s15, s2
	s_cbranch_execz .LBB1256_471
; %bb.470:                              ;   in Loop: Header=BB1256_393 Depth=2
	ds_load_b32 v187, v78
	s_wait_dscnt 0x0
	v_sub_nc_u32_e32 v184, v187, v184
	ds_store_b32 v78, v184
.LBB1256_471:                           ;   in Loop: Header=BB1256_393 Depth=2
	s_wait_alu 0xfffe
	s_or_b32 exec_lo, exec_lo, s15
	v_lshlrev_b32_e32 v2, 3, v2
	v_lshlrev_b32_e32 v171, 3, v171
	;; [unrolled: 1-line block ×5, first 2 shown]
	v_lshl_add_u32 v71, v71, 3, v2
	v_lshlrev_b32_e32 v2, 3, v173
	v_lshlrev_b32_e32 v75, 3, v75
	;; [unrolled: 1-line block ×4, first 2 shown]
	ds_store_b64 v71, v[38:39] offset:1024
	v_lshlrev_b32_e32 v38, 3, v74
	v_lshlrev_b32_e32 v39, 3, v180
	;; [unrolled: 1-line block ×7, first 2 shown]
	v_add3_u32 v72, v171, v170, v76
	v_add3_u32 v73, v174, v2, v75
	;; [unrolled: 1-line block ×5, first 2 shown]
	v_lshlrev_b32_e32 v2, 3, v186
	v_lshlrev_b32_e32 v38, 3, v185
	v_lshlrev_b32_e32 v39, 3, v181
	ds_store_b64 v72, v[40:41] offset:1024
	ds_store_b64 v73, v[42:43] offset:1024
	;; [unrolled: 1-line block ×5, first 2 shown]
	v_lshlrev_b32_e32 v41, 3, v189
	v_lshlrev_b32_e32 v42, 3, v188
	;; [unrolled: 1-line block ×12, first 2 shown]
	v_add3_u32 v40, v2, v38, v39
	v_add3_u32 v41, v41, v42, v43
	;; [unrolled: 1-line block ×5, first 2 shown]
	ds_store_b64 v40, v[62:63] offset:1024
	ds_store_b64 v41, v[66:67] offset:1024
	;; [unrolled: 1-line block ×5, first 2 shown]
	v_lshlrev_b32_e32 v2, 3, v201
	v_lshlrev_b32_e32 v38, 3, v200
	;; [unrolled: 1-line block ×15, first 2 shown]
	v_add3_u32 v49, v2, v38, v39
	v_add3_u32 v54, v54, v55, v58
	;; [unrolled: 1-line block ×5, first 2 shown]
	v_cmp_lt_u32_e32 vcc_lo, v1, v164
	ds_store_b64 v49, v[56:57] offset:1024
	ds_store_b64 v54, v[52:53] offset:1024
	;; [unrolled: 1-line block ×5, first 2 shown]
	s_wait_loadcnt_dscnt 0x0
	s_barrier_signal -1
	s_barrier_wait -1
	global_inv scope:SCOPE_SE
	s_and_saveexec_b32 s16, vcc_lo
	s_cbranch_execnz .LBB1256_540
; %bb.472:                              ;   in Loop: Header=BB1256_393 Depth=2
	s_wait_alu 0xfffe
	s_or_b32 exec_lo, exec_lo, s16
	v_cmp_lt_u32_e64 s15, v79, v164
	s_and_saveexec_b32 s17, s15
	s_cbranch_execnz .LBB1256_541
.LBB1256_473:                           ;   in Loop: Header=BB1256_393 Depth=2
	s_wait_alu 0xfffe
	s_or_b32 exec_lo, exec_lo, s17
	v_cmp_lt_u32_e64 s16, v80, v164
	s_and_saveexec_b32 s18, s16
	s_cbranch_execnz .LBB1256_542
.LBB1256_474:                           ;   in Loop: Header=BB1256_393 Depth=2
	s_wait_alu 0xfffe
	s_or_b32 exec_lo, exec_lo, s18
	v_cmp_lt_u32_e64 s17, v81, v164
	s_and_saveexec_b32 s19, s17
	s_cbranch_execnz .LBB1256_543
.LBB1256_475:                           ;   in Loop: Header=BB1256_393 Depth=2
	s_wait_alu 0xfffe
	s_or_b32 exec_lo, exec_lo, s19
	v_cmp_lt_u32_e64 s18, v84, v164
	s_and_saveexec_b32 s20, s18
	s_cbranch_execnz .LBB1256_544
.LBB1256_476:                           ;   in Loop: Header=BB1256_393 Depth=2
	s_wait_alu 0xfffe
	s_or_b32 exec_lo, exec_lo, s20
	v_cmp_lt_u32_e64 s19, v85, v164
	s_and_saveexec_b32 s21, s19
	s_cbranch_execnz .LBB1256_545
.LBB1256_477:                           ;   in Loop: Header=BB1256_393 Depth=2
	s_wait_alu 0xfffe
	s_or_b32 exec_lo, exec_lo, s21
	v_cmp_lt_u32_e64 s20, v86, v164
	s_and_saveexec_b32 s22, s20
	s_cbranch_execnz .LBB1256_546
.LBB1256_478:                           ;   in Loop: Header=BB1256_393 Depth=2
	s_wait_alu 0xfffe
	s_or_b32 exec_lo, exec_lo, s22
	v_cmp_lt_u32_e64 s21, v87, v164
	s_and_saveexec_b32 s23, s21
	s_cbranch_execnz .LBB1256_547
.LBB1256_479:                           ;   in Loop: Header=BB1256_393 Depth=2
	s_wait_alu 0xfffe
	s_or_b32 exec_lo, exec_lo, s23
	v_cmp_lt_u32_e64 s22, v88, v164
	s_and_saveexec_b32 s24, s22
	s_cbranch_execnz .LBB1256_548
.LBB1256_480:                           ;   in Loop: Header=BB1256_393 Depth=2
	s_wait_alu 0xfffe
	s_or_b32 exec_lo, exec_lo, s24
	v_cmp_lt_u32_e64 s23, v89, v164
	s_and_saveexec_b32 s25, s23
	s_cbranch_execnz .LBB1256_549
.LBB1256_481:                           ;   in Loop: Header=BB1256_393 Depth=2
	s_wait_alu 0xfffe
	s_or_b32 exec_lo, exec_lo, s25
	v_cmp_lt_u32_e64 s24, v90, v164
	s_and_saveexec_b32 s26, s24
	s_cbranch_execnz .LBB1256_550
.LBB1256_482:                           ;   in Loop: Header=BB1256_393 Depth=2
	s_wait_alu 0xfffe
	s_or_b32 exec_lo, exec_lo, s26
	v_cmp_lt_u32_e64 s25, v91, v164
	s_and_saveexec_b32 s27, s25
	s_cbranch_execnz .LBB1256_551
.LBB1256_483:                           ;   in Loop: Header=BB1256_393 Depth=2
	s_wait_alu 0xfffe
	s_or_b32 exec_lo, exec_lo, s27
	v_cmp_lt_u32_e64 s26, v92, v164
	s_and_saveexec_b32 s28, s26
	s_cbranch_execnz .LBB1256_552
.LBB1256_484:                           ;   in Loop: Header=BB1256_393 Depth=2
	s_wait_alu 0xfffe
	s_or_b32 exec_lo, exec_lo, s28
	v_cmp_lt_u32_e64 s27, v93, v164
	s_and_saveexec_b32 s29, s27
	s_cbranch_execnz .LBB1256_553
.LBB1256_485:                           ;   in Loop: Header=BB1256_393 Depth=2
	s_wait_alu 0xfffe
	s_or_b32 exec_lo, exec_lo, s29
	v_cmp_lt_u32_e64 s28, v94, v164
	s_and_saveexec_b32 s30, s28
	s_cbranch_execnz .LBB1256_554
.LBB1256_486:                           ;   in Loop: Header=BB1256_393 Depth=2
	s_wait_alu 0xfffe
	s_or_b32 exec_lo, exec_lo, s30
	v_cmp_lt_u32_e64 s29, v95, v164
	s_and_saveexec_b32 s60, s29
	s_cbranch_execz .LBB1256_488
.LBB1256_487:                           ;   in Loop: Header=BB1256_393 Depth=2
	ds_load_b64 v[38:39], v110 offset:31744
	s_wait_dscnt 0x0
	v_cmp_ne_u64_e64 s30, s[42:43], v[38:39]
	s_wait_alu 0xf1ff
	s_delay_alu instid0(VALU_DEP_1) | instskip(SKIP_2) | instid1(VALU_DEP_2)
	v_cndmask_b32_e64 v45, 0x80000000, v39, s30
	v_cndmask_b32_e64 v44, 0, v38, s30
	v_cmp_lt_i64_e64 s30, -1, v[38:39]
	v_lshrrev_b64 v[44:45], s48, v[44:45]
	s_wait_alu 0xf1ff
	s_delay_alu instid0(VALU_DEP_2) | instskip(NEXT) | instid1(VALU_DEP_2)
	v_cndmask_b32_e64 v46, 0x80000000, -1, s30
	v_and_b32_e32 v2, s57, v44
	v_ashrrev_i32_e32 v44, 31, v39
	s_delay_alu instid0(VALU_DEP_3) | instskip(NEXT) | instid1(VALU_DEP_3)
	v_xor_b32_e32 v39, v46, v39
	v_lshlrev_b32_e32 v2, 2, v2
	s_delay_alu instid0(VALU_DEP_3) | instskip(SKIP_4) | instid1(VALU_DEP_1)
	v_not_b32_e32 v47, v44
	ds_load_b32 v2, v2
	v_xor_b32_e32 v38, v47, v38
	s_wait_dscnt 0x0
	v_add_nc_u32_e32 v2, v2, v95
	v_lshlrev_b64_e32 v[44:45], 3, v[2:3]
	s_delay_alu instid0(VALU_DEP_1) | instskip(SKIP_1) | instid1(VALU_DEP_2)
	v_add_co_u32 v44, s30, s40, v44
	s_wait_alu 0xf1ff
	v_add_co_ci_u32_e64 v45, null, s41, v45, s30
	global_store_b64 v[44:45], v[38:39], off
.LBB1256_488:                           ;   in Loop: Header=BB1256_393 Depth=2
	s_wait_alu 0xfffe
	s_or_b32 exec_lo, exec_lo, s60
	s_lshl_b64 s[60:61], s[34:35], 3
	s_wait_alu 0xfffe
	v_add_co_u32 v38, s30, v128, s60
	s_wait_alu 0xf1ff
	v_add_co_ci_u32_e64 v39, null, s61, v129, s30
	v_cmp_lt_u32_e64 s30, v127, v164
	s_and_saveexec_b32 s34, s30
	s_wait_alu 0xfffe
	s_xor_b32 s30, exec_lo, s34
	s_cbranch_execnz .LBB1256_555
; %bb.489:                              ;   in Loop: Header=BB1256_393 Depth=2
	s_wait_alu 0xfffe
	s_or_b32 exec_lo, exec_lo, s30
	s_delay_alu instid0(SALU_CYCLE_1)
	s_mov_b32 s34, exec_lo
	v_cmpx_lt_u32_e64 v130, v164
	s_cbranch_execnz .LBB1256_556
.LBB1256_490:                           ;   in Loop: Header=BB1256_393 Depth=2
	s_wait_alu 0xfffe
	s_or_b32 exec_lo, exec_lo, s34
	s_delay_alu instid0(SALU_CYCLE_1)
	s_mov_b32 s34, exec_lo
	v_cmpx_lt_u32_e64 v131, v164
	s_cbranch_execnz .LBB1256_557
.LBB1256_491:                           ;   in Loop: Header=BB1256_393 Depth=2
	s_wait_alu 0xfffe
	s_or_b32 exec_lo, exec_lo, s34
	s_delay_alu instid0(SALU_CYCLE_1)
	s_mov_b32 s34, exec_lo
	v_cmpx_lt_u32_e64 v132, v164
	s_cbranch_execnz .LBB1256_558
.LBB1256_492:                           ;   in Loop: Header=BB1256_393 Depth=2
	s_wait_alu 0xfffe
	s_or_b32 exec_lo, exec_lo, s34
	s_delay_alu instid0(SALU_CYCLE_1)
	s_mov_b32 s34, exec_lo
	v_cmpx_lt_u32_e64 v133, v164
	s_cbranch_execnz .LBB1256_559
.LBB1256_493:                           ;   in Loop: Header=BB1256_393 Depth=2
	s_wait_alu 0xfffe
	s_or_b32 exec_lo, exec_lo, s34
	s_delay_alu instid0(SALU_CYCLE_1)
	s_mov_b32 s34, exec_lo
	v_cmpx_lt_u32_e64 v134, v164
	s_cbranch_execnz .LBB1256_560
.LBB1256_494:                           ;   in Loop: Header=BB1256_393 Depth=2
	s_wait_alu 0xfffe
	s_or_b32 exec_lo, exec_lo, s34
	s_delay_alu instid0(SALU_CYCLE_1)
	s_mov_b32 s34, exec_lo
	v_cmpx_lt_u32_e64 v135, v164
	s_cbranch_execnz .LBB1256_561
.LBB1256_495:                           ;   in Loop: Header=BB1256_393 Depth=2
	s_wait_alu 0xfffe
	s_or_b32 exec_lo, exec_lo, s34
	s_delay_alu instid0(SALU_CYCLE_1)
	s_mov_b32 s34, exec_lo
	v_cmpx_lt_u32_e64 v136, v164
	s_cbranch_execnz .LBB1256_562
.LBB1256_496:                           ;   in Loop: Header=BB1256_393 Depth=2
	s_wait_alu 0xfffe
	s_or_b32 exec_lo, exec_lo, s34
	s_delay_alu instid0(SALU_CYCLE_1)
	s_mov_b32 s34, exec_lo
	v_cmpx_lt_u32_e64 v137, v164
	s_cbranch_execnz .LBB1256_563
.LBB1256_497:                           ;   in Loop: Header=BB1256_393 Depth=2
	s_wait_alu 0xfffe
	s_or_b32 exec_lo, exec_lo, s34
	s_delay_alu instid0(SALU_CYCLE_1)
	s_mov_b32 s34, exec_lo
	v_cmpx_lt_u32_e64 v138, v164
	s_cbranch_execnz .LBB1256_564
.LBB1256_498:                           ;   in Loop: Header=BB1256_393 Depth=2
	s_wait_alu 0xfffe
	s_or_b32 exec_lo, exec_lo, s34
	s_delay_alu instid0(SALU_CYCLE_1)
	s_mov_b32 s34, exec_lo
	v_cmpx_lt_u32_e64 v139, v164
	s_cbranch_execnz .LBB1256_565
.LBB1256_499:                           ;   in Loop: Header=BB1256_393 Depth=2
	s_wait_alu 0xfffe
	s_or_b32 exec_lo, exec_lo, s34
	s_delay_alu instid0(SALU_CYCLE_1)
	s_mov_b32 s34, exec_lo
	v_cmpx_lt_u32_e64 v140, v164
	s_cbranch_execnz .LBB1256_566
.LBB1256_500:                           ;   in Loop: Header=BB1256_393 Depth=2
	s_wait_alu 0xfffe
	s_or_b32 exec_lo, exec_lo, s34
	s_delay_alu instid0(SALU_CYCLE_1)
	s_mov_b32 s34, exec_lo
	v_cmpx_lt_u32_e64 v141, v164
	s_cbranch_execnz .LBB1256_567
.LBB1256_501:                           ;   in Loop: Header=BB1256_393 Depth=2
	s_wait_alu 0xfffe
	s_or_b32 exec_lo, exec_lo, s34
	s_delay_alu instid0(SALU_CYCLE_1)
	s_mov_b32 s34, exec_lo
	v_cmpx_lt_u32_e64 v142, v164
	s_cbranch_execnz .LBB1256_568
.LBB1256_502:                           ;   in Loop: Header=BB1256_393 Depth=2
	s_wait_alu 0xfffe
	s_or_b32 exec_lo, exec_lo, s34
	s_delay_alu instid0(SALU_CYCLE_1)
	s_mov_b32 s34, exec_lo
	v_cmpx_lt_u32_e64 v143, v164
	s_cbranch_execnz .LBB1256_569
.LBB1256_503:                           ;   in Loop: Header=BB1256_393 Depth=2
	s_wait_alu 0xfffe
	s_or_b32 exec_lo, exec_lo, s34
	s_delay_alu instid0(SALU_CYCLE_1)
	s_mov_b32 s34, exec_lo
	v_cmpx_lt_u32_e64 v144, v164
	s_cbranch_execnz .LBB1256_570
.LBB1256_504:                           ;   in Loop: Header=BB1256_393 Depth=2
	s_wait_alu 0xfffe
	s_or_b32 exec_lo, exec_lo, s34
	s_and_saveexec_b32 s34, vcc_lo
	s_cbranch_execnz .LBB1256_571
.LBB1256_505:                           ;   in Loop: Header=BB1256_393 Depth=2
	s_wait_alu 0xfffe
	s_or_b32 exec_lo, exec_lo, s34
	s_and_saveexec_b32 s34, s15
	s_cbranch_execnz .LBB1256_572
.LBB1256_506:                           ;   in Loop: Header=BB1256_393 Depth=2
	s_wait_alu 0xfffe
	s_or_b32 exec_lo, exec_lo, s34
	s_and_saveexec_b32 s34, s16
	s_cbranch_execnz .LBB1256_573
.LBB1256_507:                           ;   in Loop: Header=BB1256_393 Depth=2
	s_wait_alu 0xfffe
	s_or_b32 exec_lo, exec_lo, s34
	s_and_saveexec_b32 s34, s17
	s_cbranch_execnz .LBB1256_574
.LBB1256_508:                           ;   in Loop: Header=BB1256_393 Depth=2
	s_wait_alu 0xfffe
	s_or_b32 exec_lo, exec_lo, s34
	s_and_saveexec_b32 s34, s18
	s_cbranch_execnz .LBB1256_575
.LBB1256_509:                           ;   in Loop: Header=BB1256_393 Depth=2
	s_wait_alu 0xfffe
	s_or_b32 exec_lo, exec_lo, s34
	s_and_saveexec_b32 s34, s19
	s_cbranch_execnz .LBB1256_576
.LBB1256_510:                           ;   in Loop: Header=BB1256_393 Depth=2
	s_wait_alu 0xfffe
	s_or_b32 exec_lo, exec_lo, s34
	s_and_saveexec_b32 s34, s20
	s_cbranch_execnz .LBB1256_577
.LBB1256_511:                           ;   in Loop: Header=BB1256_393 Depth=2
	s_wait_alu 0xfffe
	s_or_b32 exec_lo, exec_lo, s34
	s_and_saveexec_b32 s34, s21
	s_cbranch_execnz .LBB1256_578
.LBB1256_512:                           ;   in Loop: Header=BB1256_393 Depth=2
	s_wait_alu 0xfffe
	s_or_b32 exec_lo, exec_lo, s34
	s_and_saveexec_b32 s34, s22
	s_cbranch_execnz .LBB1256_579
.LBB1256_513:                           ;   in Loop: Header=BB1256_393 Depth=2
	s_wait_alu 0xfffe
	s_or_b32 exec_lo, exec_lo, s34
	s_and_saveexec_b32 s34, s23
	s_cbranch_execnz .LBB1256_580
.LBB1256_514:                           ;   in Loop: Header=BB1256_393 Depth=2
	s_wait_alu 0xfffe
	s_or_b32 exec_lo, exec_lo, s34
	s_and_saveexec_b32 s34, s24
	s_cbranch_execnz .LBB1256_581
.LBB1256_515:                           ;   in Loop: Header=BB1256_393 Depth=2
	s_wait_alu 0xfffe
	s_or_b32 exec_lo, exec_lo, s34
	s_and_saveexec_b32 s34, s25
	s_cbranch_execnz .LBB1256_582
.LBB1256_516:                           ;   in Loop: Header=BB1256_393 Depth=2
	s_wait_alu 0xfffe
	s_or_b32 exec_lo, exec_lo, s34
	s_and_saveexec_b32 s34, s26
	s_cbranch_execnz .LBB1256_583
.LBB1256_517:                           ;   in Loop: Header=BB1256_393 Depth=2
	s_wait_alu 0xfffe
	s_or_b32 exec_lo, exec_lo, s34
	s_and_saveexec_b32 s34, s27
	s_cbranch_execnz .LBB1256_584
.LBB1256_518:                           ;   in Loop: Header=BB1256_393 Depth=2
	s_wait_alu 0xfffe
	s_or_b32 exec_lo, exec_lo, s34
	s_and_saveexec_b32 s34, s28
	s_cbranch_execnz .LBB1256_585
.LBB1256_519:                           ;   in Loop: Header=BB1256_393 Depth=2
	s_wait_alu 0xfffe
	s_or_b32 exec_lo, exec_lo, s34
	s_and_saveexec_b32 s34, s29
	s_cbranch_execz .LBB1256_521
.LBB1256_520:                           ;   in Loop: Header=BB1256_393 Depth=2
	ds_load_b64 v[38:39], v110 offset:31744
	s_wait_dscnt 0x0
	v_cmp_ne_u64_e64 s30, s[42:43], v[38:39]
	s_wait_alu 0xf1ff
	s_delay_alu instid0(VALU_DEP_1) | instskip(SKIP_1) | instid1(VALU_DEP_1)
	v_cndmask_b32_e64 v39, 0x80000000, v39, s30
	v_cndmask_b32_e64 v38, 0, v38, s30
	v_lshrrev_b64 v[38:39], s48, v[38:39]
	s_delay_alu instid0(VALU_DEP_1)
	v_and_b32_e32 v148, s57, v38
.LBB1256_521:                           ;   in Loop: Header=BB1256_393 Depth=2
	s_wait_alu 0xfffe
	s_or_b32 exec_lo, exec_lo, s34
	s_wait_loadcnt 0x0
	s_wait_storecnt 0x0
	s_barrier_signal -1
	s_barrier_wait -1
	global_inv scope:SCOPE_SE
	ds_store_b64 v71, v[36:37] offset:1024
	ds_store_b64 v72, v[34:35] offset:1024
	;; [unrolled: 1-line block ×16, first 2 shown]
	s_wait_loadcnt_dscnt 0x0
	s_barrier_signal -1
	s_barrier_wait -1
	global_inv scope:SCOPE_SE
	s_and_saveexec_b32 s30, vcc_lo
	s_cbranch_execnz .LBB1256_586
; %bb.522:                              ;   in Loop: Header=BB1256_393 Depth=2
	s_wait_alu 0xfffe
	s_or_b32 exec_lo, exec_lo, s30
	s_and_saveexec_b32 s30, s15
	s_cbranch_execnz .LBB1256_587
.LBB1256_523:                           ;   in Loop: Header=BB1256_393 Depth=2
	s_wait_alu 0xfffe
	s_or_b32 exec_lo, exec_lo, s30
	s_and_saveexec_b32 s15, s16
	s_cbranch_execnz .LBB1256_588
.LBB1256_524:                           ;   in Loop: Header=BB1256_393 Depth=2
	s_wait_alu 0xfffe
	s_or_b32 exec_lo, exec_lo, s15
	s_and_saveexec_b32 s15, s17
	s_cbranch_execnz .LBB1256_589
.LBB1256_525:                           ;   in Loop: Header=BB1256_393 Depth=2
	s_wait_alu 0xfffe
	s_or_b32 exec_lo, exec_lo, s15
	s_and_saveexec_b32 s15, s18
	s_cbranch_execnz .LBB1256_590
.LBB1256_526:                           ;   in Loop: Header=BB1256_393 Depth=2
	s_wait_alu 0xfffe
	s_or_b32 exec_lo, exec_lo, s15
	s_and_saveexec_b32 s15, s19
	s_cbranch_execnz .LBB1256_591
.LBB1256_527:                           ;   in Loop: Header=BB1256_393 Depth=2
	s_wait_alu 0xfffe
	s_or_b32 exec_lo, exec_lo, s15
	s_and_saveexec_b32 s15, s20
	s_cbranch_execnz .LBB1256_592
.LBB1256_528:                           ;   in Loop: Header=BB1256_393 Depth=2
	s_wait_alu 0xfffe
	s_or_b32 exec_lo, exec_lo, s15
	s_and_saveexec_b32 s15, s21
	s_cbranch_execnz .LBB1256_593
.LBB1256_529:                           ;   in Loop: Header=BB1256_393 Depth=2
	s_wait_alu 0xfffe
	s_or_b32 exec_lo, exec_lo, s15
	s_and_saveexec_b32 s15, s22
	s_cbranch_execnz .LBB1256_594
.LBB1256_530:                           ;   in Loop: Header=BB1256_393 Depth=2
	s_wait_alu 0xfffe
	s_or_b32 exec_lo, exec_lo, s15
	s_and_saveexec_b32 s15, s23
	s_cbranch_execnz .LBB1256_595
.LBB1256_531:                           ;   in Loop: Header=BB1256_393 Depth=2
	s_wait_alu 0xfffe
	s_or_b32 exec_lo, exec_lo, s15
	s_and_saveexec_b32 s15, s24
	s_cbranch_execnz .LBB1256_596
.LBB1256_532:                           ;   in Loop: Header=BB1256_393 Depth=2
	s_wait_alu 0xfffe
	s_or_b32 exec_lo, exec_lo, s15
	s_and_saveexec_b32 s15, s25
	s_cbranch_execnz .LBB1256_597
.LBB1256_533:                           ;   in Loop: Header=BB1256_393 Depth=2
	s_wait_alu 0xfffe
	s_or_b32 exec_lo, exec_lo, s15
	s_and_saveexec_b32 s15, s26
	s_cbranch_execnz .LBB1256_598
.LBB1256_534:                           ;   in Loop: Header=BB1256_393 Depth=2
	s_wait_alu 0xfffe
	s_or_b32 exec_lo, exec_lo, s15
	s_and_saveexec_b32 s15, s27
	s_cbranch_execnz .LBB1256_599
.LBB1256_535:                           ;   in Loop: Header=BB1256_393 Depth=2
	s_wait_alu 0xfffe
	s_or_b32 exec_lo, exec_lo, s15
	s_and_saveexec_b32 s15, s28
	s_cbranch_execnz .LBB1256_600
.LBB1256_536:                           ;   in Loop: Header=BB1256_393 Depth=2
	s_wait_alu 0xfffe
	s_or_b32 exec_lo, exec_lo, s15
	s_and_saveexec_b32 s15, s29
	s_cbranch_execz .LBB1256_538
.LBB1256_537:                           ;   in Loop: Header=BB1256_393 Depth=2
	v_lshlrev_b32_e32 v2, 2, v148
	ds_load_b32 v2, v2
	ds_load_b64 v[38:39], v110 offset:31744
	s_wait_dscnt 0x1
	v_add_nc_u32_e32 v2, v2, v95
	s_delay_alu instid0(VALU_DEP_1) | instskip(NEXT) | instid1(VALU_DEP_1)
	v_lshlrev_b64_e32 v[40:41], 3, v[2:3]
	v_add_co_u32 v40, vcc_lo, s46, v40
	s_wait_alu 0xfffd
	s_delay_alu instid0(VALU_DEP_2)
	v_add_co_ci_u32_e64 v41, null, s47, v41, vcc_lo
	s_wait_dscnt 0x0
	global_store_b64 v[40:41], v[38:39], off
.LBB1256_538:                           ;   in Loop: Header=BB1256_393 Depth=2
	s_wait_alu 0xfffe
	s_or_b32 exec_lo, exec_lo, s15
	s_wait_loadcnt 0x0
	s_wait_storecnt 0x0
	s_barrier_signal -1
	s_barrier_wait -1
	global_inv scope:SCOPE_SE
	s_and_saveexec_b32 s15, s2
	s_cbranch_execz .LBB1256_392
; %bb.539:                              ;   in Loop: Header=BB1256_393 Depth=2
	ds_load_b32 v2, v78
	s_wait_dscnt 0x0
	v_add_nc_u32_e32 v2, v2, v70
	ds_store_b32 v78, v2
	s_branch .LBB1256_392
.LBB1256_540:                           ;   in Loop: Header=BB1256_393 Depth=2
	ds_load_b64 v[38:39], v110 offset:1024
	s_wait_dscnt 0x0
	v_cmp_ne_u64_e64 s15, s[42:43], v[38:39]
	s_wait_alu 0xf1ff
	s_delay_alu instid0(VALU_DEP_1) | instskip(SKIP_2) | instid1(VALU_DEP_2)
	v_cndmask_b32_e64 v45, 0x80000000, v39, s15
	v_cndmask_b32_e64 v44, 0, v38, s15
	v_cmp_lt_i64_e64 s15, -1, v[38:39]
	v_lshrrev_b64 v[44:45], s48, v[44:45]
	s_wait_alu 0xf1ff
	s_delay_alu instid0(VALU_DEP_2) | instskip(NEXT) | instid1(VALU_DEP_2)
	v_cndmask_b32_e64 v46, 0x80000000, -1, s15
	v_and_b32_e32 v2, s57, v44
	v_ashrrev_i32_e32 v44, 31, v39
	s_delay_alu instid0(VALU_DEP_3) | instskip(NEXT) | instid1(VALU_DEP_3)
	v_xor_b32_e32 v39, v46, v39
	v_lshlrev_b32_e32 v2, 2, v2
	s_delay_alu instid0(VALU_DEP_3) | instskip(SKIP_4) | instid1(VALU_DEP_1)
	v_not_b32_e32 v47, v44
	ds_load_b32 v2, v2
	v_xor_b32_e32 v38, v47, v38
	s_wait_dscnt 0x0
	v_add_nc_u32_e32 v2, v2, v1
	v_lshlrev_b64_e32 v[44:45], 3, v[2:3]
	s_delay_alu instid0(VALU_DEP_1) | instskip(SKIP_1) | instid1(VALU_DEP_2)
	v_add_co_u32 v44, s15, s40, v44
	s_wait_alu 0xf1ff
	v_add_co_ci_u32_e64 v45, null, s41, v45, s15
	global_store_b64 v[44:45], v[38:39], off
	s_wait_alu 0xfffe
	s_or_b32 exec_lo, exec_lo, s16
	v_cmp_lt_u32_e64 s15, v79, v164
	s_and_saveexec_b32 s17, s15
	s_cbranch_execz .LBB1256_473
.LBB1256_541:                           ;   in Loop: Header=BB1256_393 Depth=2
	ds_load_b64 v[38:39], v110 offset:3072
	s_wait_dscnt 0x0
	v_cmp_ne_u64_e64 s16, s[42:43], v[38:39]
	s_wait_alu 0xf1ff
	s_delay_alu instid0(VALU_DEP_1) | instskip(SKIP_2) | instid1(VALU_DEP_2)
	v_cndmask_b32_e64 v45, 0x80000000, v39, s16
	v_cndmask_b32_e64 v44, 0, v38, s16
	v_cmp_lt_i64_e64 s16, -1, v[38:39]
	v_lshrrev_b64 v[44:45], s48, v[44:45]
	s_wait_alu 0xf1ff
	s_delay_alu instid0(VALU_DEP_2) | instskip(NEXT) | instid1(VALU_DEP_2)
	v_cndmask_b32_e64 v46, 0x80000000, -1, s16
	v_and_b32_e32 v2, s57, v44
	v_ashrrev_i32_e32 v44, 31, v39
	s_delay_alu instid0(VALU_DEP_3) | instskip(NEXT) | instid1(VALU_DEP_3)
	v_xor_b32_e32 v39, v46, v39
	v_lshlrev_b32_e32 v2, 2, v2
	s_delay_alu instid0(VALU_DEP_3) | instskip(SKIP_4) | instid1(VALU_DEP_1)
	v_not_b32_e32 v47, v44
	ds_load_b32 v2, v2
	v_xor_b32_e32 v38, v47, v38
	s_wait_dscnt 0x0
	v_add_nc_u32_e32 v2, v2, v79
	v_lshlrev_b64_e32 v[44:45], 3, v[2:3]
	s_delay_alu instid0(VALU_DEP_1) | instskip(SKIP_1) | instid1(VALU_DEP_2)
	v_add_co_u32 v44, s16, s40, v44
	s_wait_alu 0xf1ff
	v_add_co_ci_u32_e64 v45, null, s41, v45, s16
	global_store_b64 v[44:45], v[38:39], off
	s_wait_alu 0xfffe
	s_or_b32 exec_lo, exec_lo, s17
	v_cmp_lt_u32_e64 s16, v80, v164
	s_and_saveexec_b32 s18, s16
	s_cbranch_execz .LBB1256_474
.LBB1256_542:                           ;   in Loop: Header=BB1256_393 Depth=2
	ds_load_b64 v[38:39], v110 offset:5120
	s_wait_dscnt 0x0
	v_cmp_ne_u64_e64 s17, s[42:43], v[38:39]
	s_wait_alu 0xf1ff
	s_delay_alu instid0(VALU_DEP_1) | instskip(SKIP_2) | instid1(VALU_DEP_2)
	v_cndmask_b32_e64 v45, 0x80000000, v39, s17
	v_cndmask_b32_e64 v44, 0, v38, s17
	v_cmp_lt_i64_e64 s17, -1, v[38:39]
	v_lshrrev_b64 v[44:45], s48, v[44:45]
	s_wait_alu 0xf1ff
	s_delay_alu instid0(VALU_DEP_2) | instskip(NEXT) | instid1(VALU_DEP_2)
	v_cndmask_b32_e64 v46, 0x80000000, -1, s17
	v_and_b32_e32 v2, s57, v44
	v_ashrrev_i32_e32 v44, 31, v39
	s_delay_alu instid0(VALU_DEP_3) | instskip(NEXT) | instid1(VALU_DEP_3)
	v_xor_b32_e32 v39, v46, v39
	v_lshlrev_b32_e32 v2, 2, v2
	s_delay_alu instid0(VALU_DEP_3) | instskip(SKIP_4) | instid1(VALU_DEP_1)
	v_not_b32_e32 v47, v44
	ds_load_b32 v2, v2
	v_xor_b32_e32 v38, v47, v38
	s_wait_dscnt 0x0
	v_add_nc_u32_e32 v2, v2, v80
	v_lshlrev_b64_e32 v[44:45], 3, v[2:3]
	s_delay_alu instid0(VALU_DEP_1) | instskip(SKIP_1) | instid1(VALU_DEP_2)
	v_add_co_u32 v44, s17, s40, v44
	s_wait_alu 0xf1ff
	v_add_co_ci_u32_e64 v45, null, s41, v45, s17
	global_store_b64 v[44:45], v[38:39], off
	s_wait_alu 0xfffe
	s_or_b32 exec_lo, exec_lo, s18
	v_cmp_lt_u32_e64 s17, v81, v164
	s_and_saveexec_b32 s19, s17
	s_cbranch_execz .LBB1256_475
.LBB1256_543:                           ;   in Loop: Header=BB1256_393 Depth=2
	ds_load_b64 v[38:39], v110 offset:7168
	s_wait_dscnt 0x0
	v_cmp_ne_u64_e64 s18, s[42:43], v[38:39]
	s_wait_alu 0xf1ff
	s_delay_alu instid0(VALU_DEP_1) | instskip(SKIP_2) | instid1(VALU_DEP_2)
	v_cndmask_b32_e64 v45, 0x80000000, v39, s18
	v_cndmask_b32_e64 v44, 0, v38, s18
	v_cmp_lt_i64_e64 s18, -1, v[38:39]
	v_lshrrev_b64 v[44:45], s48, v[44:45]
	s_wait_alu 0xf1ff
	s_delay_alu instid0(VALU_DEP_2) | instskip(NEXT) | instid1(VALU_DEP_2)
	v_cndmask_b32_e64 v46, 0x80000000, -1, s18
	v_and_b32_e32 v2, s57, v44
	v_ashrrev_i32_e32 v44, 31, v39
	s_delay_alu instid0(VALU_DEP_3) | instskip(NEXT) | instid1(VALU_DEP_3)
	v_xor_b32_e32 v39, v46, v39
	v_lshlrev_b32_e32 v2, 2, v2
	s_delay_alu instid0(VALU_DEP_3) | instskip(SKIP_4) | instid1(VALU_DEP_1)
	v_not_b32_e32 v47, v44
	ds_load_b32 v2, v2
	v_xor_b32_e32 v38, v47, v38
	s_wait_dscnt 0x0
	v_add_nc_u32_e32 v2, v2, v81
	v_lshlrev_b64_e32 v[44:45], 3, v[2:3]
	s_delay_alu instid0(VALU_DEP_1) | instskip(SKIP_1) | instid1(VALU_DEP_2)
	v_add_co_u32 v44, s18, s40, v44
	s_wait_alu 0xf1ff
	v_add_co_ci_u32_e64 v45, null, s41, v45, s18
	global_store_b64 v[44:45], v[38:39], off
	s_wait_alu 0xfffe
	s_or_b32 exec_lo, exec_lo, s19
	v_cmp_lt_u32_e64 s18, v84, v164
	s_and_saveexec_b32 s20, s18
	s_cbranch_execz .LBB1256_476
.LBB1256_544:                           ;   in Loop: Header=BB1256_393 Depth=2
	ds_load_b64 v[38:39], v110 offset:9216
	s_wait_dscnt 0x0
	v_cmp_ne_u64_e64 s19, s[42:43], v[38:39]
	s_wait_alu 0xf1ff
	s_delay_alu instid0(VALU_DEP_1) | instskip(SKIP_2) | instid1(VALU_DEP_2)
	v_cndmask_b32_e64 v45, 0x80000000, v39, s19
	v_cndmask_b32_e64 v44, 0, v38, s19
	v_cmp_lt_i64_e64 s19, -1, v[38:39]
	v_lshrrev_b64 v[44:45], s48, v[44:45]
	s_wait_alu 0xf1ff
	s_delay_alu instid0(VALU_DEP_2) | instskip(NEXT) | instid1(VALU_DEP_2)
	v_cndmask_b32_e64 v46, 0x80000000, -1, s19
	v_and_b32_e32 v2, s57, v44
	v_ashrrev_i32_e32 v44, 31, v39
	s_delay_alu instid0(VALU_DEP_3) | instskip(NEXT) | instid1(VALU_DEP_3)
	v_xor_b32_e32 v39, v46, v39
	v_lshlrev_b32_e32 v2, 2, v2
	s_delay_alu instid0(VALU_DEP_3) | instskip(SKIP_4) | instid1(VALU_DEP_1)
	v_not_b32_e32 v47, v44
	ds_load_b32 v2, v2
	v_xor_b32_e32 v38, v47, v38
	s_wait_dscnt 0x0
	v_add_nc_u32_e32 v2, v2, v84
	v_lshlrev_b64_e32 v[44:45], 3, v[2:3]
	s_delay_alu instid0(VALU_DEP_1) | instskip(SKIP_1) | instid1(VALU_DEP_2)
	v_add_co_u32 v44, s19, s40, v44
	s_wait_alu 0xf1ff
	v_add_co_ci_u32_e64 v45, null, s41, v45, s19
	global_store_b64 v[44:45], v[38:39], off
	s_wait_alu 0xfffe
	s_or_b32 exec_lo, exec_lo, s20
	v_cmp_lt_u32_e64 s19, v85, v164
	s_and_saveexec_b32 s21, s19
	s_cbranch_execz .LBB1256_477
.LBB1256_545:                           ;   in Loop: Header=BB1256_393 Depth=2
	ds_load_b64 v[38:39], v110 offset:11264
	s_wait_dscnt 0x0
	v_cmp_ne_u64_e64 s20, s[42:43], v[38:39]
	s_wait_alu 0xf1ff
	s_delay_alu instid0(VALU_DEP_1) | instskip(SKIP_2) | instid1(VALU_DEP_2)
	v_cndmask_b32_e64 v45, 0x80000000, v39, s20
	v_cndmask_b32_e64 v44, 0, v38, s20
	v_cmp_lt_i64_e64 s20, -1, v[38:39]
	v_lshrrev_b64 v[44:45], s48, v[44:45]
	s_wait_alu 0xf1ff
	s_delay_alu instid0(VALU_DEP_2) | instskip(NEXT) | instid1(VALU_DEP_2)
	v_cndmask_b32_e64 v46, 0x80000000, -1, s20
	v_and_b32_e32 v2, s57, v44
	v_ashrrev_i32_e32 v44, 31, v39
	s_delay_alu instid0(VALU_DEP_3) | instskip(NEXT) | instid1(VALU_DEP_3)
	v_xor_b32_e32 v39, v46, v39
	v_lshlrev_b32_e32 v2, 2, v2
	s_delay_alu instid0(VALU_DEP_3) | instskip(SKIP_4) | instid1(VALU_DEP_1)
	v_not_b32_e32 v47, v44
	ds_load_b32 v2, v2
	v_xor_b32_e32 v38, v47, v38
	s_wait_dscnt 0x0
	v_add_nc_u32_e32 v2, v2, v85
	v_lshlrev_b64_e32 v[44:45], 3, v[2:3]
	s_delay_alu instid0(VALU_DEP_1) | instskip(SKIP_1) | instid1(VALU_DEP_2)
	v_add_co_u32 v44, s20, s40, v44
	s_wait_alu 0xf1ff
	v_add_co_ci_u32_e64 v45, null, s41, v45, s20
	global_store_b64 v[44:45], v[38:39], off
	s_wait_alu 0xfffe
	s_or_b32 exec_lo, exec_lo, s21
	v_cmp_lt_u32_e64 s20, v86, v164
	s_and_saveexec_b32 s22, s20
	s_cbranch_execz .LBB1256_478
.LBB1256_546:                           ;   in Loop: Header=BB1256_393 Depth=2
	ds_load_b64 v[38:39], v110 offset:13312
	s_wait_dscnt 0x0
	v_cmp_ne_u64_e64 s21, s[42:43], v[38:39]
	s_wait_alu 0xf1ff
	s_delay_alu instid0(VALU_DEP_1) | instskip(SKIP_2) | instid1(VALU_DEP_2)
	v_cndmask_b32_e64 v45, 0x80000000, v39, s21
	v_cndmask_b32_e64 v44, 0, v38, s21
	v_cmp_lt_i64_e64 s21, -1, v[38:39]
	v_lshrrev_b64 v[44:45], s48, v[44:45]
	s_wait_alu 0xf1ff
	s_delay_alu instid0(VALU_DEP_2) | instskip(NEXT) | instid1(VALU_DEP_2)
	v_cndmask_b32_e64 v46, 0x80000000, -1, s21
	v_and_b32_e32 v2, s57, v44
	v_ashrrev_i32_e32 v44, 31, v39
	s_delay_alu instid0(VALU_DEP_3) | instskip(NEXT) | instid1(VALU_DEP_3)
	v_xor_b32_e32 v39, v46, v39
	v_lshlrev_b32_e32 v2, 2, v2
	s_delay_alu instid0(VALU_DEP_3) | instskip(SKIP_4) | instid1(VALU_DEP_1)
	v_not_b32_e32 v47, v44
	ds_load_b32 v2, v2
	v_xor_b32_e32 v38, v47, v38
	s_wait_dscnt 0x0
	v_add_nc_u32_e32 v2, v2, v86
	v_lshlrev_b64_e32 v[44:45], 3, v[2:3]
	s_delay_alu instid0(VALU_DEP_1) | instskip(SKIP_1) | instid1(VALU_DEP_2)
	v_add_co_u32 v44, s21, s40, v44
	s_wait_alu 0xf1ff
	v_add_co_ci_u32_e64 v45, null, s41, v45, s21
	global_store_b64 v[44:45], v[38:39], off
	s_wait_alu 0xfffe
	s_or_b32 exec_lo, exec_lo, s22
	v_cmp_lt_u32_e64 s21, v87, v164
	s_and_saveexec_b32 s23, s21
	s_cbranch_execz .LBB1256_479
.LBB1256_547:                           ;   in Loop: Header=BB1256_393 Depth=2
	ds_load_b64 v[38:39], v110 offset:15360
	s_wait_dscnt 0x0
	v_cmp_ne_u64_e64 s22, s[42:43], v[38:39]
	s_wait_alu 0xf1ff
	s_delay_alu instid0(VALU_DEP_1) | instskip(SKIP_2) | instid1(VALU_DEP_2)
	v_cndmask_b32_e64 v45, 0x80000000, v39, s22
	v_cndmask_b32_e64 v44, 0, v38, s22
	v_cmp_lt_i64_e64 s22, -1, v[38:39]
	v_lshrrev_b64 v[44:45], s48, v[44:45]
	s_wait_alu 0xf1ff
	s_delay_alu instid0(VALU_DEP_2) | instskip(NEXT) | instid1(VALU_DEP_2)
	v_cndmask_b32_e64 v46, 0x80000000, -1, s22
	v_and_b32_e32 v2, s57, v44
	v_ashrrev_i32_e32 v44, 31, v39
	s_delay_alu instid0(VALU_DEP_3) | instskip(NEXT) | instid1(VALU_DEP_3)
	v_xor_b32_e32 v39, v46, v39
	v_lshlrev_b32_e32 v2, 2, v2
	s_delay_alu instid0(VALU_DEP_3) | instskip(SKIP_4) | instid1(VALU_DEP_1)
	v_not_b32_e32 v47, v44
	ds_load_b32 v2, v2
	v_xor_b32_e32 v38, v47, v38
	s_wait_dscnt 0x0
	v_add_nc_u32_e32 v2, v2, v87
	v_lshlrev_b64_e32 v[44:45], 3, v[2:3]
	s_delay_alu instid0(VALU_DEP_1) | instskip(SKIP_1) | instid1(VALU_DEP_2)
	v_add_co_u32 v44, s22, s40, v44
	s_wait_alu 0xf1ff
	v_add_co_ci_u32_e64 v45, null, s41, v45, s22
	global_store_b64 v[44:45], v[38:39], off
	s_wait_alu 0xfffe
	s_or_b32 exec_lo, exec_lo, s23
	v_cmp_lt_u32_e64 s22, v88, v164
	s_and_saveexec_b32 s24, s22
	s_cbranch_execz .LBB1256_480
.LBB1256_548:                           ;   in Loop: Header=BB1256_393 Depth=2
	ds_load_b64 v[38:39], v110 offset:17408
	s_wait_dscnt 0x0
	v_cmp_ne_u64_e64 s23, s[42:43], v[38:39]
	s_wait_alu 0xf1ff
	s_delay_alu instid0(VALU_DEP_1) | instskip(SKIP_2) | instid1(VALU_DEP_2)
	v_cndmask_b32_e64 v45, 0x80000000, v39, s23
	v_cndmask_b32_e64 v44, 0, v38, s23
	v_cmp_lt_i64_e64 s23, -1, v[38:39]
	v_lshrrev_b64 v[44:45], s48, v[44:45]
	s_wait_alu 0xf1ff
	s_delay_alu instid0(VALU_DEP_2) | instskip(NEXT) | instid1(VALU_DEP_2)
	v_cndmask_b32_e64 v46, 0x80000000, -1, s23
	v_and_b32_e32 v2, s57, v44
	v_ashrrev_i32_e32 v44, 31, v39
	s_delay_alu instid0(VALU_DEP_3) | instskip(NEXT) | instid1(VALU_DEP_3)
	v_xor_b32_e32 v39, v46, v39
	v_lshlrev_b32_e32 v2, 2, v2
	s_delay_alu instid0(VALU_DEP_3) | instskip(SKIP_4) | instid1(VALU_DEP_1)
	v_not_b32_e32 v47, v44
	ds_load_b32 v2, v2
	v_xor_b32_e32 v38, v47, v38
	s_wait_dscnt 0x0
	v_add_nc_u32_e32 v2, v2, v88
	v_lshlrev_b64_e32 v[44:45], 3, v[2:3]
	s_delay_alu instid0(VALU_DEP_1) | instskip(SKIP_1) | instid1(VALU_DEP_2)
	v_add_co_u32 v44, s23, s40, v44
	s_wait_alu 0xf1ff
	v_add_co_ci_u32_e64 v45, null, s41, v45, s23
	global_store_b64 v[44:45], v[38:39], off
	s_wait_alu 0xfffe
	s_or_b32 exec_lo, exec_lo, s24
	v_cmp_lt_u32_e64 s23, v89, v164
	s_and_saveexec_b32 s25, s23
	s_cbranch_execz .LBB1256_481
.LBB1256_549:                           ;   in Loop: Header=BB1256_393 Depth=2
	ds_load_b64 v[38:39], v110 offset:19456
	s_wait_dscnt 0x0
	v_cmp_ne_u64_e64 s24, s[42:43], v[38:39]
	s_wait_alu 0xf1ff
	s_delay_alu instid0(VALU_DEP_1) | instskip(SKIP_2) | instid1(VALU_DEP_2)
	v_cndmask_b32_e64 v45, 0x80000000, v39, s24
	v_cndmask_b32_e64 v44, 0, v38, s24
	v_cmp_lt_i64_e64 s24, -1, v[38:39]
	v_lshrrev_b64 v[44:45], s48, v[44:45]
	s_wait_alu 0xf1ff
	s_delay_alu instid0(VALU_DEP_2) | instskip(NEXT) | instid1(VALU_DEP_2)
	v_cndmask_b32_e64 v46, 0x80000000, -1, s24
	v_and_b32_e32 v2, s57, v44
	v_ashrrev_i32_e32 v44, 31, v39
	s_delay_alu instid0(VALU_DEP_3) | instskip(NEXT) | instid1(VALU_DEP_3)
	v_xor_b32_e32 v39, v46, v39
	v_lshlrev_b32_e32 v2, 2, v2
	s_delay_alu instid0(VALU_DEP_3) | instskip(SKIP_4) | instid1(VALU_DEP_1)
	v_not_b32_e32 v47, v44
	ds_load_b32 v2, v2
	v_xor_b32_e32 v38, v47, v38
	s_wait_dscnt 0x0
	v_add_nc_u32_e32 v2, v2, v89
	v_lshlrev_b64_e32 v[44:45], 3, v[2:3]
	s_delay_alu instid0(VALU_DEP_1) | instskip(SKIP_1) | instid1(VALU_DEP_2)
	v_add_co_u32 v44, s24, s40, v44
	s_wait_alu 0xf1ff
	v_add_co_ci_u32_e64 v45, null, s41, v45, s24
	global_store_b64 v[44:45], v[38:39], off
	s_wait_alu 0xfffe
	s_or_b32 exec_lo, exec_lo, s25
	v_cmp_lt_u32_e64 s24, v90, v164
	s_and_saveexec_b32 s26, s24
	s_cbranch_execz .LBB1256_482
.LBB1256_550:                           ;   in Loop: Header=BB1256_393 Depth=2
	ds_load_b64 v[38:39], v110 offset:21504
	s_wait_dscnt 0x0
	v_cmp_ne_u64_e64 s25, s[42:43], v[38:39]
	s_wait_alu 0xf1ff
	s_delay_alu instid0(VALU_DEP_1) | instskip(SKIP_2) | instid1(VALU_DEP_2)
	v_cndmask_b32_e64 v45, 0x80000000, v39, s25
	v_cndmask_b32_e64 v44, 0, v38, s25
	v_cmp_lt_i64_e64 s25, -1, v[38:39]
	v_lshrrev_b64 v[44:45], s48, v[44:45]
	s_wait_alu 0xf1ff
	s_delay_alu instid0(VALU_DEP_2) | instskip(NEXT) | instid1(VALU_DEP_2)
	v_cndmask_b32_e64 v46, 0x80000000, -1, s25
	v_and_b32_e32 v2, s57, v44
	v_ashrrev_i32_e32 v44, 31, v39
	s_delay_alu instid0(VALU_DEP_3) | instskip(NEXT) | instid1(VALU_DEP_3)
	v_xor_b32_e32 v39, v46, v39
	v_lshlrev_b32_e32 v2, 2, v2
	s_delay_alu instid0(VALU_DEP_3) | instskip(SKIP_4) | instid1(VALU_DEP_1)
	v_not_b32_e32 v47, v44
	ds_load_b32 v2, v2
	v_xor_b32_e32 v38, v47, v38
	s_wait_dscnt 0x0
	v_add_nc_u32_e32 v2, v2, v90
	v_lshlrev_b64_e32 v[44:45], 3, v[2:3]
	s_delay_alu instid0(VALU_DEP_1) | instskip(SKIP_1) | instid1(VALU_DEP_2)
	v_add_co_u32 v44, s25, s40, v44
	s_wait_alu 0xf1ff
	v_add_co_ci_u32_e64 v45, null, s41, v45, s25
	global_store_b64 v[44:45], v[38:39], off
	s_wait_alu 0xfffe
	s_or_b32 exec_lo, exec_lo, s26
	v_cmp_lt_u32_e64 s25, v91, v164
	s_and_saveexec_b32 s27, s25
	s_cbranch_execz .LBB1256_483
.LBB1256_551:                           ;   in Loop: Header=BB1256_393 Depth=2
	ds_load_b64 v[38:39], v110 offset:23552
	s_wait_dscnt 0x0
	v_cmp_ne_u64_e64 s26, s[42:43], v[38:39]
	s_wait_alu 0xf1ff
	s_delay_alu instid0(VALU_DEP_1) | instskip(SKIP_2) | instid1(VALU_DEP_2)
	v_cndmask_b32_e64 v45, 0x80000000, v39, s26
	v_cndmask_b32_e64 v44, 0, v38, s26
	v_cmp_lt_i64_e64 s26, -1, v[38:39]
	v_lshrrev_b64 v[44:45], s48, v[44:45]
	s_wait_alu 0xf1ff
	s_delay_alu instid0(VALU_DEP_2) | instskip(NEXT) | instid1(VALU_DEP_2)
	v_cndmask_b32_e64 v46, 0x80000000, -1, s26
	v_and_b32_e32 v2, s57, v44
	v_ashrrev_i32_e32 v44, 31, v39
	s_delay_alu instid0(VALU_DEP_3) | instskip(NEXT) | instid1(VALU_DEP_3)
	v_xor_b32_e32 v39, v46, v39
	v_lshlrev_b32_e32 v2, 2, v2
	s_delay_alu instid0(VALU_DEP_3) | instskip(SKIP_4) | instid1(VALU_DEP_1)
	v_not_b32_e32 v47, v44
	ds_load_b32 v2, v2
	v_xor_b32_e32 v38, v47, v38
	s_wait_dscnt 0x0
	v_add_nc_u32_e32 v2, v2, v91
	v_lshlrev_b64_e32 v[44:45], 3, v[2:3]
	s_delay_alu instid0(VALU_DEP_1) | instskip(SKIP_1) | instid1(VALU_DEP_2)
	v_add_co_u32 v44, s26, s40, v44
	s_wait_alu 0xf1ff
	v_add_co_ci_u32_e64 v45, null, s41, v45, s26
	global_store_b64 v[44:45], v[38:39], off
	s_wait_alu 0xfffe
	s_or_b32 exec_lo, exec_lo, s27
	v_cmp_lt_u32_e64 s26, v92, v164
	s_and_saveexec_b32 s28, s26
	s_cbranch_execz .LBB1256_484
.LBB1256_552:                           ;   in Loop: Header=BB1256_393 Depth=2
	ds_load_b64 v[38:39], v110 offset:25600
	s_wait_dscnt 0x0
	v_cmp_ne_u64_e64 s27, s[42:43], v[38:39]
	s_wait_alu 0xf1ff
	s_delay_alu instid0(VALU_DEP_1) | instskip(SKIP_2) | instid1(VALU_DEP_2)
	v_cndmask_b32_e64 v45, 0x80000000, v39, s27
	v_cndmask_b32_e64 v44, 0, v38, s27
	v_cmp_lt_i64_e64 s27, -1, v[38:39]
	v_lshrrev_b64 v[44:45], s48, v[44:45]
	s_wait_alu 0xf1ff
	s_delay_alu instid0(VALU_DEP_2) | instskip(NEXT) | instid1(VALU_DEP_2)
	v_cndmask_b32_e64 v46, 0x80000000, -1, s27
	v_and_b32_e32 v2, s57, v44
	v_ashrrev_i32_e32 v44, 31, v39
	s_delay_alu instid0(VALU_DEP_3) | instskip(NEXT) | instid1(VALU_DEP_3)
	v_xor_b32_e32 v39, v46, v39
	v_lshlrev_b32_e32 v2, 2, v2
	s_delay_alu instid0(VALU_DEP_3) | instskip(SKIP_4) | instid1(VALU_DEP_1)
	v_not_b32_e32 v47, v44
	ds_load_b32 v2, v2
	v_xor_b32_e32 v38, v47, v38
	s_wait_dscnt 0x0
	v_add_nc_u32_e32 v2, v2, v92
	v_lshlrev_b64_e32 v[44:45], 3, v[2:3]
	s_delay_alu instid0(VALU_DEP_1) | instskip(SKIP_1) | instid1(VALU_DEP_2)
	v_add_co_u32 v44, s27, s40, v44
	s_wait_alu 0xf1ff
	v_add_co_ci_u32_e64 v45, null, s41, v45, s27
	global_store_b64 v[44:45], v[38:39], off
	s_wait_alu 0xfffe
	s_or_b32 exec_lo, exec_lo, s28
	v_cmp_lt_u32_e64 s27, v93, v164
	s_and_saveexec_b32 s29, s27
	s_cbranch_execz .LBB1256_485
.LBB1256_553:                           ;   in Loop: Header=BB1256_393 Depth=2
	ds_load_b64 v[38:39], v110 offset:27648
	s_wait_dscnt 0x0
	v_cmp_ne_u64_e64 s28, s[42:43], v[38:39]
	s_wait_alu 0xf1ff
	s_delay_alu instid0(VALU_DEP_1) | instskip(SKIP_2) | instid1(VALU_DEP_2)
	v_cndmask_b32_e64 v45, 0x80000000, v39, s28
	v_cndmask_b32_e64 v44, 0, v38, s28
	v_cmp_lt_i64_e64 s28, -1, v[38:39]
	v_lshrrev_b64 v[44:45], s48, v[44:45]
	s_wait_alu 0xf1ff
	s_delay_alu instid0(VALU_DEP_2) | instskip(NEXT) | instid1(VALU_DEP_2)
	v_cndmask_b32_e64 v46, 0x80000000, -1, s28
	v_and_b32_e32 v2, s57, v44
	v_ashrrev_i32_e32 v44, 31, v39
	s_delay_alu instid0(VALU_DEP_3) | instskip(NEXT) | instid1(VALU_DEP_3)
	v_xor_b32_e32 v39, v46, v39
	v_lshlrev_b32_e32 v2, 2, v2
	s_delay_alu instid0(VALU_DEP_3) | instskip(SKIP_4) | instid1(VALU_DEP_1)
	v_not_b32_e32 v47, v44
	ds_load_b32 v2, v2
	v_xor_b32_e32 v38, v47, v38
	s_wait_dscnt 0x0
	v_add_nc_u32_e32 v2, v2, v93
	v_lshlrev_b64_e32 v[44:45], 3, v[2:3]
	s_delay_alu instid0(VALU_DEP_1) | instskip(SKIP_1) | instid1(VALU_DEP_2)
	v_add_co_u32 v44, s28, s40, v44
	s_wait_alu 0xf1ff
	v_add_co_ci_u32_e64 v45, null, s41, v45, s28
	global_store_b64 v[44:45], v[38:39], off
	s_wait_alu 0xfffe
	s_or_b32 exec_lo, exec_lo, s29
	v_cmp_lt_u32_e64 s28, v94, v164
	s_and_saveexec_b32 s30, s28
	s_cbranch_execz .LBB1256_486
.LBB1256_554:                           ;   in Loop: Header=BB1256_393 Depth=2
	ds_load_b64 v[38:39], v110 offset:29696
	s_wait_dscnt 0x0
	v_cmp_ne_u64_e64 s29, s[42:43], v[38:39]
	s_wait_alu 0xf1ff
	s_delay_alu instid0(VALU_DEP_1) | instskip(SKIP_2) | instid1(VALU_DEP_2)
	v_cndmask_b32_e64 v45, 0x80000000, v39, s29
	v_cndmask_b32_e64 v44, 0, v38, s29
	v_cmp_lt_i64_e64 s29, -1, v[38:39]
	v_lshrrev_b64 v[44:45], s48, v[44:45]
	s_wait_alu 0xf1ff
	s_delay_alu instid0(VALU_DEP_2) | instskip(NEXT) | instid1(VALU_DEP_2)
	v_cndmask_b32_e64 v46, 0x80000000, -1, s29
	v_and_b32_e32 v2, s57, v44
	v_ashrrev_i32_e32 v44, 31, v39
	s_delay_alu instid0(VALU_DEP_3) | instskip(NEXT) | instid1(VALU_DEP_3)
	v_xor_b32_e32 v39, v46, v39
	v_lshlrev_b32_e32 v2, 2, v2
	s_delay_alu instid0(VALU_DEP_3) | instskip(SKIP_4) | instid1(VALU_DEP_1)
	v_not_b32_e32 v47, v44
	ds_load_b32 v2, v2
	v_xor_b32_e32 v38, v47, v38
	s_wait_dscnt 0x0
	v_add_nc_u32_e32 v2, v2, v94
	v_lshlrev_b64_e32 v[44:45], 3, v[2:3]
	s_delay_alu instid0(VALU_DEP_1) | instskip(SKIP_1) | instid1(VALU_DEP_2)
	v_add_co_u32 v44, s29, s40, v44
	s_wait_alu 0xf1ff
	v_add_co_ci_u32_e64 v45, null, s41, v45, s29
	global_store_b64 v[44:45], v[38:39], off
	s_wait_alu 0xfffe
	s_or_b32 exec_lo, exec_lo, s30
	v_cmp_lt_u32_e64 s29, v95, v164
	s_and_saveexec_b32 s60, s29
	s_cbranch_execnz .LBB1256_487
	s_branch .LBB1256_488
.LBB1256_555:                           ;   in Loop: Header=BB1256_393 Depth=2
	global_load_b64 v[36:37], v[38:39], off
	s_wait_alu 0xfffe
	s_or_b32 exec_lo, exec_lo, s30
	s_delay_alu instid0(SALU_CYCLE_1)
	s_mov_b32 s34, exec_lo
	v_cmpx_lt_u32_e64 v130, v164
	s_cbranch_execz .LBB1256_490
.LBB1256_556:                           ;   in Loop: Header=BB1256_393 Depth=2
	global_load_b64 v[34:35], v[38:39], off offset:256
	s_wait_alu 0xfffe
	s_or_b32 exec_lo, exec_lo, s34
	s_delay_alu instid0(SALU_CYCLE_1)
	s_mov_b32 s34, exec_lo
	v_cmpx_lt_u32_e64 v131, v164
	s_cbranch_execz .LBB1256_491
.LBB1256_557:                           ;   in Loop: Header=BB1256_393 Depth=2
	global_load_b64 v[32:33], v[38:39], off offset:512
	s_wait_alu 0xfffe
	s_or_b32 exec_lo, exec_lo, s34
	s_delay_alu instid0(SALU_CYCLE_1)
	s_mov_b32 s34, exec_lo
	v_cmpx_lt_u32_e64 v132, v164
	s_cbranch_execz .LBB1256_492
.LBB1256_558:                           ;   in Loop: Header=BB1256_393 Depth=2
	global_load_b64 v[30:31], v[38:39], off offset:768
	s_wait_alu 0xfffe
	s_or_b32 exec_lo, exec_lo, s34
	s_delay_alu instid0(SALU_CYCLE_1)
	s_mov_b32 s34, exec_lo
	v_cmpx_lt_u32_e64 v133, v164
	s_cbranch_execz .LBB1256_493
.LBB1256_559:                           ;   in Loop: Header=BB1256_393 Depth=2
	global_load_b64 v[28:29], v[38:39], off offset:1024
	s_wait_alu 0xfffe
	s_or_b32 exec_lo, exec_lo, s34
	s_delay_alu instid0(SALU_CYCLE_1)
	s_mov_b32 s34, exec_lo
	v_cmpx_lt_u32_e64 v134, v164
	s_cbranch_execz .LBB1256_494
.LBB1256_560:                           ;   in Loop: Header=BB1256_393 Depth=2
	global_load_b64 v[26:27], v[38:39], off offset:1280
	s_wait_alu 0xfffe
	s_or_b32 exec_lo, exec_lo, s34
	s_delay_alu instid0(SALU_CYCLE_1)
	s_mov_b32 s34, exec_lo
	v_cmpx_lt_u32_e64 v135, v164
	s_cbranch_execz .LBB1256_495
.LBB1256_561:                           ;   in Loop: Header=BB1256_393 Depth=2
	global_load_b64 v[24:25], v[38:39], off offset:1536
	s_wait_alu 0xfffe
	s_or_b32 exec_lo, exec_lo, s34
	s_delay_alu instid0(SALU_CYCLE_1)
	s_mov_b32 s34, exec_lo
	v_cmpx_lt_u32_e64 v136, v164
	s_cbranch_execz .LBB1256_496
.LBB1256_562:                           ;   in Loop: Header=BB1256_393 Depth=2
	global_load_b64 v[22:23], v[38:39], off offset:1792
	s_wait_alu 0xfffe
	s_or_b32 exec_lo, exec_lo, s34
	s_delay_alu instid0(SALU_CYCLE_1)
	s_mov_b32 s34, exec_lo
	v_cmpx_lt_u32_e64 v137, v164
	s_cbranch_execz .LBB1256_497
.LBB1256_563:                           ;   in Loop: Header=BB1256_393 Depth=2
	global_load_b64 v[20:21], v[38:39], off offset:2048
	s_wait_alu 0xfffe
	s_or_b32 exec_lo, exec_lo, s34
	s_delay_alu instid0(SALU_CYCLE_1)
	s_mov_b32 s34, exec_lo
	v_cmpx_lt_u32_e64 v138, v164
	s_cbranch_execz .LBB1256_498
.LBB1256_564:                           ;   in Loop: Header=BB1256_393 Depth=2
	global_load_b64 v[18:19], v[38:39], off offset:2304
	s_wait_alu 0xfffe
	s_or_b32 exec_lo, exec_lo, s34
	s_delay_alu instid0(SALU_CYCLE_1)
	s_mov_b32 s34, exec_lo
	v_cmpx_lt_u32_e64 v139, v164
	s_cbranch_execz .LBB1256_499
.LBB1256_565:                           ;   in Loop: Header=BB1256_393 Depth=2
	global_load_b64 v[16:17], v[38:39], off offset:2560
	s_wait_alu 0xfffe
	s_or_b32 exec_lo, exec_lo, s34
	s_delay_alu instid0(SALU_CYCLE_1)
	s_mov_b32 s34, exec_lo
	v_cmpx_lt_u32_e64 v140, v164
	s_cbranch_execz .LBB1256_500
.LBB1256_566:                           ;   in Loop: Header=BB1256_393 Depth=2
	global_load_b64 v[14:15], v[38:39], off offset:2816
	s_wait_alu 0xfffe
	s_or_b32 exec_lo, exec_lo, s34
	s_delay_alu instid0(SALU_CYCLE_1)
	s_mov_b32 s34, exec_lo
	v_cmpx_lt_u32_e64 v141, v164
	s_cbranch_execz .LBB1256_501
.LBB1256_567:                           ;   in Loop: Header=BB1256_393 Depth=2
	global_load_b64 v[12:13], v[38:39], off offset:3072
	s_wait_alu 0xfffe
	s_or_b32 exec_lo, exec_lo, s34
	s_delay_alu instid0(SALU_CYCLE_1)
	s_mov_b32 s34, exec_lo
	v_cmpx_lt_u32_e64 v142, v164
	s_cbranch_execz .LBB1256_502
.LBB1256_568:                           ;   in Loop: Header=BB1256_393 Depth=2
	global_load_b64 v[10:11], v[38:39], off offset:3328
	s_wait_alu 0xfffe
	s_or_b32 exec_lo, exec_lo, s34
	s_delay_alu instid0(SALU_CYCLE_1)
	s_mov_b32 s34, exec_lo
	v_cmpx_lt_u32_e64 v143, v164
	s_cbranch_execz .LBB1256_503
.LBB1256_569:                           ;   in Loop: Header=BB1256_393 Depth=2
	global_load_b64 v[8:9], v[38:39], off offset:3584
	s_wait_alu 0xfffe
	s_or_b32 exec_lo, exec_lo, s34
	s_delay_alu instid0(SALU_CYCLE_1)
	s_mov_b32 s34, exec_lo
	v_cmpx_lt_u32_e64 v144, v164
	s_cbranch_execz .LBB1256_504
.LBB1256_570:                           ;   in Loop: Header=BB1256_393 Depth=2
	global_load_b64 v[6:7], v[38:39], off offset:3840
	s_wait_alu 0xfffe
	s_or_b32 exec_lo, exec_lo, s34
	s_and_saveexec_b32 s34, vcc_lo
	s_cbranch_execz .LBB1256_505
.LBB1256_571:                           ;   in Loop: Header=BB1256_393 Depth=2
	ds_load_b64 v[38:39], v110 offset:1024
	s_wait_dscnt 0x0
	v_cmp_ne_u64_e64 s30, s[42:43], v[38:39]
	s_wait_alu 0xf1ff
	s_delay_alu instid0(VALU_DEP_1) | instskip(SKIP_1) | instid1(VALU_DEP_1)
	v_cndmask_b32_e64 v39, 0x80000000, v39, s30
	v_cndmask_b32_e64 v38, 0, v38, s30
	v_lshrrev_b64 v[38:39], s48, v[38:39]
	s_delay_alu instid0(VALU_DEP_1)
	v_and_b32_e32 v163, s57, v38
	s_wait_alu 0xfffe
	s_or_b32 exec_lo, exec_lo, s34
	s_and_saveexec_b32 s34, s15
	s_cbranch_execz .LBB1256_506
.LBB1256_572:                           ;   in Loop: Header=BB1256_393 Depth=2
	ds_load_b64 v[38:39], v110 offset:3072
	s_wait_dscnt 0x0
	v_cmp_ne_u64_e64 s30, s[42:43], v[38:39]
	s_wait_alu 0xf1ff
	s_delay_alu instid0(VALU_DEP_1) | instskip(SKIP_1) | instid1(VALU_DEP_1)
	v_cndmask_b32_e64 v39, 0x80000000, v39, s30
	v_cndmask_b32_e64 v38, 0, v38, s30
	v_lshrrev_b64 v[38:39], s48, v[38:39]
	s_delay_alu instid0(VALU_DEP_1)
	v_and_b32_e32 v162, s57, v38
	s_wait_alu 0xfffe
	s_or_b32 exec_lo, exec_lo, s34
	s_and_saveexec_b32 s34, s16
	s_cbranch_execz .LBB1256_507
.LBB1256_573:                           ;   in Loop: Header=BB1256_393 Depth=2
	ds_load_b64 v[38:39], v110 offset:5120
	s_wait_dscnt 0x0
	v_cmp_ne_u64_e64 s30, s[42:43], v[38:39]
	s_wait_alu 0xf1ff
	s_delay_alu instid0(VALU_DEP_1) | instskip(SKIP_1) | instid1(VALU_DEP_1)
	v_cndmask_b32_e64 v39, 0x80000000, v39, s30
	v_cndmask_b32_e64 v38, 0, v38, s30
	v_lshrrev_b64 v[38:39], s48, v[38:39]
	s_delay_alu instid0(VALU_DEP_1)
	v_and_b32_e32 v161, s57, v38
	s_wait_alu 0xfffe
	s_or_b32 exec_lo, exec_lo, s34
	s_and_saveexec_b32 s34, s17
	s_cbranch_execz .LBB1256_508
.LBB1256_574:                           ;   in Loop: Header=BB1256_393 Depth=2
	ds_load_b64 v[38:39], v110 offset:7168
	s_wait_dscnt 0x0
	v_cmp_ne_u64_e64 s30, s[42:43], v[38:39]
	s_wait_alu 0xf1ff
	s_delay_alu instid0(VALU_DEP_1) | instskip(SKIP_1) | instid1(VALU_DEP_1)
	v_cndmask_b32_e64 v39, 0x80000000, v39, s30
	v_cndmask_b32_e64 v38, 0, v38, s30
	v_lshrrev_b64 v[38:39], s48, v[38:39]
	s_delay_alu instid0(VALU_DEP_1)
	v_and_b32_e32 v160, s57, v38
	s_wait_alu 0xfffe
	s_or_b32 exec_lo, exec_lo, s34
	s_and_saveexec_b32 s34, s18
	s_cbranch_execz .LBB1256_509
.LBB1256_575:                           ;   in Loop: Header=BB1256_393 Depth=2
	ds_load_b64 v[38:39], v110 offset:9216
	s_wait_dscnt 0x0
	v_cmp_ne_u64_e64 s30, s[42:43], v[38:39]
	s_wait_alu 0xf1ff
	s_delay_alu instid0(VALU_DEP_1) | instskip(SKIP_1) | instid1(VALU_DEP_1)
	v_cndmask_b32_e64 v39, 0x80000000, v39, s30
	v_cndmask_b32_e64 v38, 0, v38, s30
	v_lshrrev_b64 v[38:39], s48, v[38:39]
	s_delay_alu instid0(VALU_DEP_1)
	v_and_b32_e32 v159, s57, v38
	s_wait_alu 0xfffe
	s_or_b32 exec_lo, exec_lo, s34
	s_and_saveexec_b32 s34, s19
	s_cbranch_execz .LBB1256_510
.LBB1256_576:                           ;   in Loop: Header=BB1256_393 Depth=2
	ds_load_b64 v[38:39], v110 offset:11264
	s_wait_dscnt 0x0
	v_cmp_ne_u64_e64 s30, s[42:43], v[38:39]
	s_wait_alu 0xf1ff
	s_delay_alu instid0(VALU_DEP_1) | instskip(SKIP_1) | instid1(VALU_DEP_1)
	v_cndmask_b32_e64 v39, 0x80000000, v39, s30
	v_cndmask_b32_e64 v38, 0, v38, s30
	v_lshrrev_b64 v[38:39], s48, v[38:39]
	s_delay_alu instid0(VALU_DEP_1)
	v_and_b32_e32 v158, s57, v38
	s_wait_alu 0xfffe
	s_or_b32 exec_lo, exec_lo, s34
	s_and_saveexec_b32 s34, s20
	s_cbranch_execz .LBB1256_511
.LBB1256_577:                           ;   in Loop: Header=BB1256_393 Depth=2
	ds_load_b64 v[38:39], v110 offset:13312
	s_wait_dscnt 0x0
	v_cmp_ne_u64_e64 s30, s[42:43], v[38:39]
	s_wait_alu 0xf1ff
	s_delay_alu instid0(VALU_DEP_1) | instskip(SKIP_1) | instid1(VALU_DEP_1)
	v_cndmask_b32_e64 v39, 0x80000000, v39, s30
	v_cndmask_b32_e64 v38, 0, v38, s30
	v_lshrrev_b64 v[38:39], s48, v[38:39]
	s_delay_alu instid0(VALU_DEP_1)
	v_and_b32_e32 v157, s57, v38
	s_wait_alu 0xfffe
	s_or_b32 exec_lo, exec_lo, s34
	s_and_saveexec_b32 s34, s21
	s_cbranch_execz .LBB1256_512
.LBB1256_578:                           ;   in Loop: Header=BB1256_393 Depth=2
	ds_load_b64 v[38:39], v110 offset:15360
	s_wait_dscnt 0x0
	v_cmp_ne_u64_e64 s30, s[42:43], v[38:39]
	s_wait_alu 0xf1ff
	s_delay_alu instid0(VALU_DEP_1) | instskip(SKIP_1) | instid1(VALU_DEP_1)
	v_cndmask_b32_e64 v39, 0x80000000, v39, s30
	v_cndmask_b32_e64 v38, 0, v38, s30
	v_lshrrev_b64 v[38:39], s48, v[38:39]
	s_delay_alu instid0(VALU_DEP_1)
	v_and_b32_e32 v156, s57, v38
	s_wait_alu 0xfffe
	s_or_b32 exec_lo, exec_lo, s34
	s_and_saveexec_b32 s34, s22
	s_cbranch_execz .LBB1256_513
.LBB1256_579:                           ;   in Loop: Header=BB1256_393 Depth=2
	ds_load_b64 v[38:39], v110 offset:17408
	s_wait_dscnt 0x0
	v_cmp_ne_u64_e64 s30, s[42:43], v[38:39]
	s_wait_alu 0xf1ff
	s_delay_alu instid0(VALU_DEP_1) | instskip(SKIP_1) | instid1(VALU_DEP_1)
	v_cndmask_b32_e64 v39, 0x80000000, v39, s30
	v_cndmask_b32_e64 v38, 0, v38, s30
	v_lshrrev_b64 v[38:39], s48, v[38:39]
	s_delay_alu instid0(VALU_DEP_1)
	v_and_b32_e32 v155, s57, v38
	s_wait_alu 0xfffe
	s_or_b32 exec_lo, exec_lo, s34
	s_and_saveexec_b32 s34, s23
	s_cbranch_execz .LBB1256_514
.LBB1256_580:                           ;   in Loop: Header=BB1256_393 Depth=2
	ds_load_b64 v[38:39], v110 offset:19456
	s_wait_dscnt 0x0
	v_cmp_ne_u64_e64 s30, s[42:43], v[38:39]
	s_wait_alu 0xf1ff
	s_delay_alu instid0(VALU_DEP_1) | instskip(SKIP_1) | instid1(VALU_DEP_1)
	v_cndmask_b32_e64 v39, 0x80000000, v39, s30
	v_cndmask_b32_e64 v38, 0, v38, s30
	v_lshrrev_b64 v[38:39], s48, v[38:39]
	s_delay_alu instid0(VALU_DEP_1)
	v_and_b32_e32 v154, s57, v38
	s_wait_alu 0xfffe
	s_or_b32 exec_lo, exec_lo, s34
	s_and_saveexec_b32 s34, s24
	s_cbranch_execz .LBB1256_515
.LBB1256_581:                           ;   in Loop: Header=BB1256_393 Depth=2
	ds_load_b64 v[38:39], v110 offset:21504
	s_wait_dscnt 0x0
	v_cmp_ne_u64_e64 s30, s[42:43], v[38:39]
	s_wait_alu 0xf1ff
	s_delay_alu instid0(VALU_DEP_1) | instskip(SKIP_1) | instid1(VALU_DEP_1)
	v_cndmask_b32_e64 v39, 0x80000000, v39, s30
	v_cndmask_b32_e64 v38, 0, v38, s30
	v_lshrrev_b64 v[38:39], s48, v[38:39]
	s_delay_alu instid0(VALU_DEP_1)
	v_and_b32_e32 v153, s57, v38
	s_wait_alu 0xfffe
	s_or_b32 exec_lo, exec_lo, s34
	s_and_saveexec_b32 s34, s25
	s_cbranch_execz .LBB1256_516
.LBB1256_582:                           ;   in Loop: Header=BB1256_393 Depth=2
	ds_load_b64 v[38:39], v110 offset:23552
	s_wait_dscnt 0x0
	v_cmp_ne_u64_e64 s30, s[42:43], v[38:39]
	s_wait_alu 0xf1ff
	s_delay_alu instid0(VALU_DEP_1) | instskip(SKIP_1) | instid1(VALU_DEP_1)
	v_cndmask_b32_e64 v39, 0x80000000, v39, s30
	v_cndmask_b32_e64 v38, 0, v38, s30
	v_lshrrev_b64 v[38:39], s48, v[38:39]
	s_delay_alu instid0(VALU_DEP_1)
	v_and_b32_e32 v152, s57, v38
	s_wait_alu 0xfffe
	s_or_b32 exec_lo, exec_lo, s34
	s_and_saveexec_b32 s34, s26
	s_cbranch_execz .LBB1256_517
.LBB1256_583:                           ;   in Loop: Header=BB1256_393 Depth=2
	ds_load_b64 v[38:39], v110 offset:25600
	s_wait_dscnt 0x0
	v_cmp_ne_u64_e64 s30, s[42:43], v[38:39]
	s_wait_alu 0xf1ff
	s_delay_alu instid0(VALU_DEP_1) | instskip(SKIP_1) | instid1(VALU_DEP_1)
	v_cndmask_b32_e64 v39, 0x80000000, v39, s30
	v_cndmask_b32_e64 v38, 0, v38, s30
	v_lshrrev_b64 v[38:39], s48, v[38:39]
	s_delay_alu instid0(VALU_DEP_1)
	v_and_b32_e32 v151, s57, v38
	s_wait_alu 0xfffe
	s_or_b32 exec_lo, exec_lo, s34
	s_and_saveexec_b32 s34, s27
	s_cbranch_execz .LBB1256_518
.LBB1256_584:                           ;   in Loop: Header=BB1256_393 Depth=2
	ds_load_b64 v[38:39], v110 offset:27648
	s_wait_dscnt 0x0
	v_cmp_ne_u64_e64 s30, s[42:43], v[38:39]
	s_wait_alu 0xf1ff
	s_delay_alu instid0(VALU_DEP_1) | instskip(SKIP_1) | instid1(VALU_DEP_1)
	v_cndmask_b32_e64 v39, 0x80000000, v39, s30
	v_cndmask_b32_e64 v38, 0, v38, s30
	v_lshrrev_b64 v[38:39], s48, v[38:39]
	s_delay_alu instid0(VALU_DEP_1)
	v_and_b32_e32 v150, s57, v38
	s_wait_alu 0xfffe
	s_or_b32 exec_lo, exec_lo, s34
	s_and_saveexec_b32 s34, s28
	s_cbranch_execz .LBB1256_519
.LBB1256_585:                           ;   in Loop: Header=BB1256_393 Depth=2
	ds_load_b64 v[38:39], v110 offset:29696
	s_wait_dscnt 0x0
	v_cmp_ne_u64_e64 s30, s[42:43], v[38:39]
	s_wait_alu 0xf1ff
	s_delay_alu instid0(VALU_DEP_1) | instskip(SKIP_1) | instid1(VALU_DEP_1)
	v_cndmask_b32_e64 v39, 0x80000000, v39, s30
	v_cndmask_b32_e64 v38, 0, v38, s30
	v_lshrrev_b64 v[38:39], s48, v[38:39]
	s_delay_alu instid0(VALU_DEP_1)
	v_and_b32_e32 v149, s57, v38
	s_wait_alu 0xfffe
	s_or_b32 exec_lo, exec_lo, s34
	s_and_saveexec_b32 s34, s29
	s_cbranch_execnz .LBB1256_520
	s_branch .LBB1256_521
.LBB1256_586:                           ;   in Loop: Header=BB1256_393 Depth=2
	v_lshlrev_b32_e32 v2, 2, v163
	ds_load_b32 v2, v2
	ds_load_b64 v[38:39], v110 offset:1024
	s_wait_dscnt 0x1
	v_add_nc_u32_e32 v2, v2, v1
	s_delay_alu instid0(VALU_DEP_1) | instskip(NEXT) | instid1(VALU_DEP_1)
	v_lshlrev_b64_e32 v[40:41], 3, v[2:3]
	v_add_co_u32 v40, vcc_lo, s46, v40
	s_wait_alu 0xfffd
	s_delay_alu instid0(VALU_DEP_2)
	v_add_co_ci_u32_e64 v41, null, s47, v41, vcc_lo
	s_wait_dscnt 0x0
	global_store_b64 v[40:41], v[38:39], off
	s_wait_alu 0xfffe
	s_or_b32 exec_lo, exec_lo, s30
	s_and_saveexec_b32 s30, s15
	s_cbranch_execz .LBB1256_523
.LBB1256_587:                           ;   in Loop: Header=BB1256_393 Depth=2
	v_lshlrev_b32_e32 v2, 2, v162
	ds_load_b32 v2, v2
	ds_load_b64 v[38:39], v110 offset:3072
	s_wait_dscnt 0x1
	v_add_nc_u32_e32 v2, v2, v79
	s_delay_alu instid0(VALU_DEP_1) | instskip(NEXT) | instid1(VALU_DEP_1)
	v_lshlrev_b64_e32 v[40:41], 3, v[2:3]
	v_add_co_u32 v40, vcc_lo, s46, v40
	s_wait_alu 0xfffd
	s_delay_alu instid0(VALU_DEP_2)
	v_add_co_ci_u32_e64 v41, null, s47, v41, vcc_lo
	s_wait_dscnt 0x0
	global_store_b64 v[40:41], v[38:39], off
	s_wait_alu 0xfffe
	s_or_b32 exec_lo, exec_lo, s30
	s_and_saveexec_b32 s15, s16
	s_cbranch_execz .LBB1256_524
.LBB1256_588:                           ;   in Loop: Header=BB1256_393 Depth=2
	v_lshlrev_b32_e32 v2, 2, v161
	ds_load_b32 v2, v2
	ds_load_b64 v[38:39], v110 offset:5120
	s_wait_dscnt 0x1
	v_add_nc_u32_e32 v2, v2, v80
	s_delay_alu instid0(VALU_DEP_1) | instskip(NEXT) | instid1(VALU_DEP_1)
	v_lshlrev_b64_e32 v[40:41], 3, v[2:3]
	v_add_co_u32 v40, vcc_lo, s46, v40
	s_wait_alu 0xfffd
	s_delay_alu instid0(VALU_DEP_2)
	v_add_co_ci_u32_e64 v41, null, s47, v41, vcc_lo
	s_wait_dscnt 0x0
	global_store_b64 v[40:41], v[38:39], off
	s_wait_alu 0xfffe
	s_or_b32 exec_lo, exec_lo, s15
	s_and_saveexec_b32 s15, s17
	s_cbranch_execz .LBB1256_525
.LBB1256_589:                           ;   in Loop: Header=BB1256_393 Depth=2
	v_lshlrev_b32_e32 v2, 2, v160
	ds_load_b32 v2, v2
	ds_load_b64 v[38:39], v110 offset:7168
	s_wait_dscnt 0x1
	v_add_nc_u32_e32 v2, v2, v81
	s_delay_alu instid0(VALU_DEP_1) | instskip(NEXT) | instid1(VALU_DEP_1)
	v_lshlrev_b64_e32 v[40:41], 3, v[2:3]
	v_add_co_u32 v40, vcc_lo, s46, v40
	s_wait_alu 0xfffd
	s_delay_alu instid0(VALU_DEP_2)
	v_add_co_ci_u32_e64 v41, null, s47, v41, vcc_lo
	s_wait_dscnt 0x0
	global_store_b64 v[40:41], v[38:39], off
	s_wait_alu 0xfffe
	s_or_b32 exec_lo, exec_lo, s15
	s_and_saveexec_b32 s15, s18
	s_cbranch_execz .LBB1256_526
.LBB1256_590:                           ;   in Loop: Header=BB1256_393 Depth=2
	v_lshlrev_b32_e32 v2, 2, v159
	ds_load_b32 v2, v2
	ds_load_b64 v[38:39], v110 offset:9216
	s_wait_dscnt 0x1
	v_add_nc_u32_e32 v2, v2, v84
	s_delay_alu instid0(VALU_DEP_1) | instskip(NEXT) | instid1(VALU_DEP_1)
	v_lshlrev_b64_e32 v[40:41], 3, v[2:3]
	v_add_co_u32 v40, vcc_lo, s46, v40
	s_wait_alu 0xfffd
	s_delay_alu instid0(VALU_DEP_2)
	v_add_co_ci_u32_e64 v41, null, s47, v41, vcc_lo
	s_wait_dscnt 0x0
	global_store_b64 v[40:41], v[38:39], off
	s_wait_alu 0xfffe
	s_or_b32 exec_lo, exec_lo, s15
	s_and_saveexec_b32 s15, s19
	s_cbranch_execz .LBB1256_527
.LBB1256_591:                           ;   in Loop: Header=BB1256_393 Depth=2
	v_lshlrev_b32_e32 v2, 2, v158
	ds_load_b32 v2, v2
	ds_load_b64 v[38:39], v110 offset:11264
	s_wait_dscnt 0x1
	v_add_nc_u32_e32 v2, v2, v85
	s_delay_alu instid0(VALU_DEP_1) | instskip(NEXT) | instid1(VALU_DEP_1)
	v_lshlrev_b64_e32 v[40:41], 3, v[2:3]
	v_add_co_u32 v40, vcc_lo, s46, v40
	s_wait_alu 0xfffd
	s_delay_alu instid0(VALU_DEP_2)
	v_add_co_ci_u32_e64 v41, null, s47, v41, vcc_lo
	s_wait_dscnt 0x0
	global_store_b64 v[40:41], v[38:39], off
	s_wait_alu 0xfffe
	s_or_b32 exec_lo, exec_lo, s15
	s_and_saveexec_b32 s15, s20
	s_cbranch_execz .LBB1256_528
.LBB1256_592:                           ;   in Loop: Header=BB1256_393 Depth=2
	v_lshlrev_b32_e32 v2, 2, v157
	ds_load_b32 v2, v2
	ds_load_b64 v[38:39], v110 offset:13312
	s_wait_dscnt 0x1
	v_add_nc_u32_e32 v2, v2, v86
	s_delay_alu instid0(VALU_DEP_1) | instskip(NEXT) | instid1(VALU_DEP_1)
	v_lshlrev_b64_e32 v[40:41], 3, v[2:3]
	v_add_co_u32 v40, vcc_lo, s46, v40
	s_wait_alu 0xfffd
	s_delay_alu instid0(VALU_DEP_2)
	v_add_co_ci_u32_e64 v41, null, s47, v41, vcc_lo
	s_wait_dscnt 0x0
	global_store_b64 v[40:41], v[38:39], off
	s_wait_alu 0xfffe
	s_or_b32 exec_lo, exec_lo, s15
	s_and_saveexec_b32 s15, s21
	s_cbranch_execz .LBB1256_529
.LBB1256_593:                           ;   in Loop: Header=BB1256_393 Depth=2
	v_lshlrev_b32_e32 v2, 2, v156
	ds_load_b32 v2, v2
	ds_load_b64 v[38:39], v110 offset:15360
	s_wait_dscnt 0x1
	v_add_nc_u32_e32 v2, v2, v87
	s_delay_alu instid0(VALU_DEP_1) | instskip(NEXT) | instid1(VALU_DEP_1)
	v_lshlrev_b64_e32 v[40:41], 3, v[2:3]
	v_add_co_u32 v40, vcc_lo, s46, v40
	s_wait_alu 0xfffd
	s_delay_alu instid0(VALU_DEP_2)
	v_add_co_ci_u32_e64 v41, null, s47, v41, vcc_lo
	s_wait_dscnt 0x0
	global_store_b64 v[40:41], v[38:39], off
	s_wait_alu 0xfffe
	s_or_b32 exec_lo, exec_lo, s15
	s_and_saveexec_b32 s15, s22
	s_cbranch_execz .LBB1256_530
.LBB1256_594:                           ;   in Loop: Header=BB1256_393 Depth=2
	v_lshlrev_b32_e32 v2, 2, v155
	ds_load_b32 v2, v2
	ds_load_b64 v[38:39], v110 offset:17408
	s_wait_dscnt 0x1
	v_add_nc_u32_e32 v2, v2, v88
	s_delay_alu instid0(VALU_DEP_1) | instskip(NEXT) | instid1(VALU_DEP_1)
	v_lshlrev_b64_e32 v[40:41], 3, v[2:3]
	v_add_co_u32 v40, vcc_lo, s46, v40
	s_wait_alu 0xfffd
	s_delay_alu instid0(VALU_DEP_2)
	v_add_co_ci_u32_e64 v41, null, s47, v41, vcc_lo
	s_wait_dscnt 0x0
	global_store_b64 v[40:41], v[38:39], off
	s_wait_alu 0xfffe
	s_or_b32 exec_lo, exec_lo, s15
	s_and_saveexec_b32 s15, s23
	s_cbranch_execz .LBB1256_531
.LBB1256_595:                           ;   in Loop: Header=BB1256_393 Depth=2
	v_lshlrev_b32_e32 v2, 2, v154
	ds_load_b32 v2, v2
	ds_load_b64 v[38:39], v110 offset:19456
	s_wait_dscnt 0x1
	v_add_nc_u32_e32 v2, v2, v89
	s_delay_alu instid0(VALU_DEP_1) | instskip(NEXT) | instid1(VALU_DEP_1)
	v_lshlrev_b64_e32 v[40:41], 3, v[2:3]
	v_add_co_u32 v40, vcc_lo, s46, v40
	s_wait_alu 0xfffd
	s_delay_alu instid0(VALU_DEP_2)
	v_add_co_ci_u32_e64 v41, null, s47, v41, vcc_lo
	s_wait_dscnt 0x0
	global_store_b64 v[40:41], v[38:39], off
	s_wait_alu 0xfffe
	s_or_b32 exec_lo, exec_lo, s15
	s_and_saveexec_b32 s15, s24
	s_cbranch_execz .LBB1256_532
.LBB1256_596:                           ;   in Loop: Header=BB1256_393 Depth=2
	v_lshlrev_b32_e32 v2, 2, v153
	ds_load_b32 v2, v2
	ds_load_b64 v[38:39], v110 offset:21504
	s_wait_dscnt 0x1
	v_add_nc_u32_e32 v2, v2, v90
	s_delay_alu instid0(VALU_DEP_1) | instskip(NEXT) | instid1(VALU_DEP_1)
	v_lshlrev_b64_e32 v[40:41], 3, v[2:3]
	v_add_co_u32 v40, vcc_lo, s46, v40
	s_wait_alu 0xfffd
	s_delay_alu instid0(VALU_DEP_2)
	v_add_co_ci_u32_e64 v41, null, s47, v41, vcc_lo
	s_wait_dscnt 0x0
	global_store_b64 v[40:41], v[38:39], off
	s_wait_alu 0xfffe
	s_or_b32 exec_lo, exec_lo, s15
	s_and_saveexec_b32 s15, s25
	s_cbranch_execz .LBB1256_533
.LBB1256_597:                           ;   in Loop: Header=BB1256_393 Depth=2
	v_lshlrev_b32_e32 v2, 2, v152
	ds_load_b32 v2, v2
	ds_load_b64 v[38:39], v110 offset:23552
	s_wait_dscnt 0x1
	v_add_nc_u32_e32 v2, v2, v91
	s_delay_alu instid0(VALU_DEP_1) | instskip(NEXT) | instid1(VALU_DEP_1)
	v_lshlrev_b64_e32 v[40:41], 3, v[2:3]
	v_add_co_u32 v40, vcc_lo, s46, v40
	s_wait_alu 0xfffd
	s_delay_alu instid0(VALU_DEP_2)
	v_add_co_ci_u32_e64 v41, null, s47, v41, vcc_lo
	s_wait_dscnt 0x0
	global_store_b64 v[40:41], v[38:39], off
	s_wait_alu 0xfffe
	s_or_b32 exec_lo, exec_lo, s15
	s_and_saveexec_b32 s15, s26
	s_cbranch_execz .LBB1256_534
.LBB1256_598:                           ;   in Loop: Header=BB1256_393 Depth=2
	v_lshlrev_b32_e32 v2, 2, v151
	ds_load_b32 v2, v2
	ds_load_b64 v[38:39], v110 offset:25600
	s_wait_dscnt 0x1
	v_add_nc_u32_e32 v2, v2, v92
	s_delay_alu instid0(VALU_DEP_1) | instskip(NEXT) | instid1(VALU_DEP_1)
	v_lshlrev_b64_e32 v[40:41], 3, v[2:3]
	v_add_co_u32 v40, vcc_lo, s46, v40
	s_wait_alu 0xfffd
	s_delay_alu instid0(VALU_DEP_2)
	v_add_co_ci_u32_e64 v41, null, s47, v41, vcc_lo
	s_wait_dscnt 0x0
	global_store_b64 v[40:41], v[38:39], off
	s_wait_alu 0xfffe
	s_or_b32 exec_lo, exec_lo, s15
	s_and_saveexec_b32 s15, s27
	s_cbranch_execz .LBB1256_535
.LBB1256_599:                           ;   in Loop: Header=BB1256_393 Depth=2
	v_lshlrev_b32_e32 v2, 2, v150
	ds_load_b32 v2, v2
	ds_load_b64 v[38:39], v110 offset:27648
	s_wait_dscnt 0x1
	v_add_nc_u32_e32 v2, v2, v93
	s_delay_alu instid0(VALU_DEP_1) | instskip(NEXT) | instid1(VALU_DEP_1)
	v_lshlrev_b64_e32 v[40:41], 3, v[2:3]
	v_add_co_u32 v40, vcc_lo, s46, v40
	s_wait_alu 0xfffd
	s_delay_alu instid0(VALU_DEP_2)
	v_add_co_ci_u32_e64 v41, null, s47, v41, vcc_lo
	s_wait_dscnt 0x0
	global_store_b64 v[40:41], v[38:39], off
	s_wait_alu 0xfffe
	s_or_b32 exec_lo, exec_lo, s15
	s_and_saveexec_b32 s15, s28
	s_cbranch_execz .LBB1256_536
.LBB1256_600:                           ;   in Loop: Header=BB1256_393 Depth=2
	v_lshlrev_b32_e32 v2, 2, v149
	ds_load_b32 v2, v2
	ds_load_b64 v[38:39], v110 offset:29696
	s_wait_dscnt 0x1
	v_add_nc_u32_e32 v2, v2, v94
	s_delay_alu instid0(VALU_DEP_1) | instskip(NEXT) | instid1(VALU_DEP_1)
	v_lshlrev_b64_e32 v[40:41], 3, v[2:3]
	v_add_co_u32 v40, vcc_lo, s46, v40
	s_wait_alu 0xfffd
	s_delay_alu instid0(VALU_DEP_2)
	v_add_co_ci_u32_e64 v41, null, s47, v41, vcc_lo
	s_wait_dscnt 0x0
	global_store_b64 v[40:41], v[38:39], off
	s_wait_alu 0xfffe
	s_or_b32 exec_lo, exec_lo, s15
	s_and_saveexec_b32 s15, s29
	s_cbranch_execnz .LBB1256_537
	s_branch .LBB1256_538
.LBB1256_601:                           ;   in Loop: Header=BB1256_17 Depth=1
	s_wait_loadcnt_dscnt 0x0
	s_barrier_signal -1
	s_barrier_wait -1
.LBB1256_602:                           ;   in Loop: Header=BB1256_17 Depth=1
	s_mov_b32 s6, 0
.LBB1256_603:                           ;   in Loop: Header=BB1256_17 Depth=1
	s_wait_alu 0xfffe
	s_and_not1_b32 vcc_lo, exec_lo, s6
	s_wait_alu 0xfffe
	s_cbranch_vccnz .LBB1256_16
; %bb.604:                              ;   in Loop: Header=BB1256_17 Depth=1
	s_lshl_b32 s6, -1, s56
	s_and_b32 vcc_lo, exec_lo, s54
	s_wait_alu 0xfffe
	s_not_b32 s56, s6
	s_mov_b32 s6, -1
	s_cbranch_vccz .LBB1256_896
; %bb.605:                              ;   in Loop: Header=BB1256_17 Depth=1
	s_mov_b32 s8, s55
	s_mov_b32 s34, s33
	s_barrier_signal -1
	s_barrier_wait -1
	global_inv scope:SCOPE_SE
                                        ; implicit-def: $vgpr6_vgpr7
                                        ; implicit-def: $vgpr8_vgpr9
                                        ; implicit-def: $vgpr10_vgpr11
                                        ; implicit-def: $vgpr12_vgpr13
                                        ; implicit-def: $vgpr14_vgpr15
                                        ; implicit-def: $vgpr16_vgpr17
                                        ; implicit-def: $vgpr18_vgpr19
                                        ; implicit-def: $vgpr20_vgpr21
                                        ; implicit-def: $vgpr22_vgpr23
                                        ; implicit-def: $vgpr24_vgpr25
                                        ; implicit-def: $vgpr26_vgpr27
                                        ; implicit-def: $vgpr28_vgpr29
                                        ; implicit-def: $vgpr30_vgpr31
                                        ; implicit-def: $vgpr32_vgpr33
                                        ; implicit-def: $vgpr34_vgpr35
                                        ; implicit-def: $vgpr36_vgpr37
	s_branch .LBB1256_607
.LBB1256_606:                           ;   in Loop: Header=BB1256_607 Depth=2
	s_wait_alu 0xfffe
	s_or_b32 exec_lo, exec_lo, s6
	s_addk_co_i32 s8, 0xf000
	s_cmp_ge_u32 s9, s51
	s_mov_b32 s34, s9
	s_cbranch_scc1 .LBB1256_675
.LBB1256_607:                           ;   Parent Loop BB1256_17 Depth=1
                                        ; =>  This Inner Loop Header: Depth=2
	s_wait_alu 0xfffe
	s_add_co_i32 s9, s34, 0x1000
	s_mov_b32 s6, -1
	s_wait_alu 0xfffe
	s_cmp_gt_u32 s9, s51
                                        ; implicit-def: $vgpr38_vgpr39
                                        ; implicit-def: $vgpr40_vgpr41
                                        ; implicit-def: $vgpr42_vgpr43
                                        ; implicit-def: $vgpr44_vgpr45
                                        ; implicit-def: $vgpr46_vgpr47
                                        ; implicit-def: $vgpr48_vgpr49
                                        ; implicit-def: $vgpr50_vgpr51
                                        ; implicit-def: $vgpr52_vgpr53
                                        ; implicit-def: $vgpr54_vgpr55
                                        ; implicit-def: $vgpr56_vgpr57
                                        ; implicit-def: $vgpr58_vgpr59
                                        ; implicit-def: $vgpr60_vgpr61
                                        ; implicit-def: $vgpr62_vgpr63
                                        ; implicit-def: $vgpr64_vgpr65
                                        ; implicit-def: $vgpr66_vgpr67
                                        ; implicit-def: $vgpr68_vgpr69
	s_cbranch_scc1 .LBB1256_609
; %bb.608:                              ;   in Loop: Header=BB1256_607 Depth=2
	s_lshl_b64 s[6:7], s[34:35], 3
	s_wait_alu 0xfffe
	v_add_co_u32 v68, vcc_lo, v117, s6
	s_wait_alu 0xfffd
	v_add_co_ci_u32_e64 v69, null, s7, v118, vcc_lo
	s_mov_b32 s6, 0
	s_clause 0xf
	global_load_b64 v[38:39], v[68:69], off
	global_load_b64 v[40:41], v[68:69], off offset:2048
	global_load_b64 v[42:43], v[68:69], off offset:4096
	global_load_b64 v[44:45], v[68:69], off offset:6144
	global_load_b64 v[46:47], v[68:69], off offset:8192
	global_load_b64 v[48:49], v[68:69], off offset:10240
	global_load_b64 v[50:51], v[68:69], off offset:12288
	global_load_b64 v[52:53], v[68:69], off offset:14336
	global_load_b64 v[54:55], v[68:69], off offset:16384
	global_load_b64 v[56:57], v[68:69], off offset:18432
	global_load_b64 v[58:59], v[68:69], off offset:20480
	global_load_b64 v[60:61], v[68:69], off offset:22528
	global_load_b64 v[62:63], v[68:69], off offset:24576
	global_load_b64 v[64:65], v[68:69], off offset:26624
	global_load_b64 v[66:67], v[68:69], off offset:28672
	global_load_b64 v[68:69], v[68:69], off offset:30720
.LBB1256_609:                           ;   in Loop: Header=BB1256_607 Depth=2
	s_wait_alu 0xfffe
	s_and_not1_b32 vcc_lo, exec_lo, s6
	s_movk_i32 s6, 0x1000
	s_wait_alu 0xfffe
	s_cbranch_vccnz .LBB1256_628
; %bb.610:                              ;   in Loop: Header=BB1256_607 Depth=2
	s_lshl_b64 s[6:7], s[34:35], 3
	s_mov_b32 s10, exec_lo
	s_wait_alu 0xfffe
	s_add_nc_u64 s[6:7], s[36:37], s[6:7]
	v_cmpx_gt_u32_e64 s8, v1
	s_cbranch_execnz .LBB1256_660
; %bb.611:                              ;   in Loop: Header=BB1256_607 Depth=2
	s_or_b32 exec_lo, exec_lo, s10
	s_delay_alu instid0(SALU_CYCLE_1)
	s_mov_b32 s10, exec_lo
	v_cmpx_gt_u32_e64 s8, v79
	s_cbranch_execnz .LBB1256_661
.LBB1256_612:                           ;   in Loop: Header=BB1256_607 Depth=2
	s_wait_alu 0xfffe
	s_or_b32 exec_lo, exec_lo, s10
	s_delay_alu instid0(SALU_CYCLE_1)
	s_mov_b32 s10, exec_lo
	v_cmpx_gt_u32_e64 s8, v80
	s_cbranch_execnz .LBB1256_662
.LBB1256_613:                           ;   in Loop: Header=BB1256_607 Depth=2
	s_wait_alu 0xfffe
	s_or_b32 exec_lo, exec_lo, s10
	s_delay_alu instid0(SALU_CYCLE_1)
	s_mov_b32 s10, exec_lo
	v_cmpx_gt_u32_e64 s8, v81
	s_cbranch_execnz .LBB1256_663
.LBB1256_614:                           ;   in Loop: Header=BB1256_607 Depth=2
	s_wait_alu 0xfffe
	s_or_b32 exec_lo, exec_lo, s10
	s_delay_alu instid0(SALU_CYCLE_1)
	s_mov_b32 s10, exec_lo
	v_cmpx_gt_u32_e64 s8, v84
	s_cbranch_execnz .LBB1256_664
.LBB1256_615:                           ;   in Loop: Header=BB1256_607 Depth=2
	s_wait_alu 0xfffe
	s_or_b32 exec_lo, exec_lo, s10
	s_delay_alu instid0(SALU_CYCLE_1)
	s_mov_b32 s10, exec_lo
	v_cmpx_gt_u32_e64 s8, v85
	s_cbranch_execnz .LBB1256_665
.LBB1256_616:                           ;   in Loop: Header=BB1256_607 Depth=2
	s_wait_alu 0xfffe
	s_or_b32 exec_lo, exec_lo, s10
	s_delay_alu instid0(SALU_CYCLE_1)
	s_mov_b32 s10, exec_lo
	v_cmpx_gt_u32_e64 s8, v86
	s_cbranch_execnz .LBB1256_666
.LBB1256_617:                           ;   in Loop: Header=BB1256_607 Depth=2
	s_wait_alu 0xfffe
	s_or_b32 exec_lo, exec_lo, s10
	s_delay_alu instid0(SALU_CYCLE_1)
	s_mov_b32 s10, exec_lo
	v_cmpx_gt_u32_e64 s8, v87
	s_cbranch_execnz .LBB1256_667
.LBB1256_618:                           ;   in Loop: Header=BB1256_607 Depth=2
	s_wait_alu 0xfffe
	s_or_b32 exec_lo, exec_lo, s10
	s_delay_alu instid0(SALU_CYCLE_1)
	s_mov_b32 s10, exec_lo
	v_cmpx_gt_u32_e64 s8, v88
	s_cbranch_execnz .LBB1256_668
.LBB1256_619:                           ;   in Loop: Header=BB1256_607 Depth=2
	s_wait_alu 0xfffe
	s_or_b32 exec_lo, exec_lo, s10
	s_delay_alu instid0(SALU_CYCLE_1)
	s_mov_b32 s10, exec_lo
	v_cmpx_gt_u32_e64 s8, v89
	s_cbranch_execnz .LBB1256_669
.LBB1256_620:                           ;   in Loop: Header=BB1256_607 Depth=2
	s_wait_alu 0xfffe
	s_or_b32 exec_lo, exec_lo, s10
	s_delay_alu instid0(SALU_CYCLE_1)
	s_mov_b32 s10, exec_lo
	v_cmpx_gt_u32_e64 s8, v90
	s_cbranch_execnz .LBB1256_670
.LBB1256_621:                           ;   in Loop: Header=BB1256_607 Depth=2
	s_wait_alu 0xfffe
	s_or_b32 exec_lo, exec_lo, s10
	s_delay_alu instid0(SALU_CYCLE_1)
	s_mov_b32 s10, exec_lo
	v_cmpx_gt_u32_e64 s8, v91
	s_cbranch_execnz .LBB1256_671
.LBB1256_622:                           ;   in Loop: Header=BB1256_607 Depth=2
	s_wait_alu 0xfffe
	s_or_b32 exec_lo, exec_lo, s10
	s_delay_alu instid0(SALU_CYCLE_1)
	s_mov_b32 s10, exec_lo
	v_cmpx_gt_u32_e64 s8, v92
	s_cbranch_execnz .LBB1256_672
.LBB1256_623:                           ;   in Loop: Header=BB1256_607 Depth=2
	s_wait_alu 0xfffe
	s_or_b32 exec_lo, exec_lo, s10
	s_delay_alu instid0(SALU_CYCLE_1)
	s_mov_b32 s10, exec_lo
	v_cmpx_gt_u32_e64 s8, v93
	s_cbranch_execnz .LBB1256_673
.LBB1256_624:                           ;   in Loop: Header=BB1256_607 Depth=2
	s_wait_alu 0xfffe
	s_or_b32 exec_lo, exec_lo, s10
	s_delay_alu instid0(SALU_CYCLE_1)
	s_mov_b32 s10, exec_lo
	v_cmpx_gt_u32_e64 s8, v94
	s_cbranch_execnz .LBB1256_674
.LBB1256_625:                           ;   in Loop: Header=BB1256_607 Depth=2
	s_wait_alu 0xfffe
	s_or_b32 exec_lo, exec_lo, s10
	s_delay_alu instid0(SALU_CYCLE_1)
	s_mov_b32 s10, exec_lo
	v_cmpx_gt_u32_e64 s8, v95
	s_cbranch_execz .LBB1256_627
.LBB1256_626:                           ;   in Loop: Header=BB1256_607 Depth=2
	global_load_b64 v[6:7], v124, s[6:7] offset:30720
.LBB1256_627:                           ;   in Loop: Header=BB1256_607 Depth=2
	s_wait_alu 0xfffe
	s_or_b32 exec_lo, exec_lo, s10
	s_wait_loadcnt 0x0
	v_dual_mov_b32 v39, v37 :: v_dual_mov_b32 v38, v36
	v_dual_mov_b32 v41, v35 :: v_dual_mov_b32 v40, v34
	;; [unrolled: 1-line block ×16, first 2 shown]
	s_mov_b32 s6, s8
.LBB1256_628:                           ;   in Loop: Header=BB1256_607 Depth=2
	s_wait_loadcnt 0x0
	s_delay_alu instid0(VALU_DEP_1)
	v_dual_mov_b32 v6, v68 :: v_dual_mov_b32 v7, v69
	v_dual_mov_b32 v8, v66 :: v_dual_mov_b32 v9, v67
	;; [unrolled: 1-line block ×16, first 2 shown]
	s_mov_b32 s7, exec_lo
	s_wait_alu 0xfffe
	v_cmpx_gt_u32_e64 s6, v1
	s_cbranch_execnz .LBB1256_644
; %bb.629:                              ;   in Loop: Header=BB1256_607 Depth=2
	s_or_b32 exec_lo, exec_lo, s7
	s_delay_alu instid0(SALU_CYCLE_1)
	s_mov_b32 s7, exec_lo
	v_cmpx_gt_u32_e64 s6, v79
	s_cbranch_execnz .LBB1256_645
.LBB1256_630:                           ;   in Loop: Header=BB1256_607 Depth=2
	s_wait_alu 0xfffe
	s_or_b32 exec_lo, exec_lo, s7
	s_delay_alu instid0(SALU_CYCLE_1)
	s_mov_b32 s7, exec_lo
	v_cmpx_gt_u32_e64 s6, v80
	s_cbranch_execnz .LBB1256_646
.LBB1256_631:                           ;   in Loop: Header=BB1256_607 Depth=2
	s_wait_alu 0xfffe
	s_or_b32 exec_lo, exec_lo, s7
	s_delay_alu instid0(SALU_CYCLE_1)
	s_mov_b32 s7, exec_lo
	v_cmpx_gt_u32_e64 s6, v81
	s_cbranch_execnz .LBB1256_647
.LBB1256_632:                           ;   in Loop: Header=BB1256_607 Depth=2
	s_wait_alu 0xfffe
	s_or_b32 exec_lo, exec_lo, s7
	s_delay_alu instid0(SALU_CYCLE_1)
	s_mov_b32 s7, exec_lo
	v_cmpx_gt_u32_e64 s6, v84
	s_cbranch_execnz .LBB1256_648
.LBB1256_633:                           ;   in Loop: Header=BB1256_607 Depth=2
	s_wait_alu 0xfffe
	s_or_b32 exec_lo, exec_lo, s7
	s_delay_alu instid0(SALU_CYCLE_1)
	s_mov_b32 s7, exec_lo
	v_cmpx_gt_u32_e64 s6, v85
	s_cbranch_execnz .LBB1256_649
.LBB1256_634:                           ;   in Loop: Header=BB1256_607 Depth=2
	s_wait_alu 0xfffe
	s_or_b32 exec_lo, exec_lo, s7
	s_delay_alu instid0(SALU_CYCLE_1)
	s_mov_b32 s7, exec_lo
	v_cmpx_gt_u32_e64 s6, v86
	s_cbranch_execnz .LBB1256_650
.LBB1256_635:                           ;   in Loop: Header=BB1256_607 Depth=2
	s_wait_alu 0xfffe
	s_or_b32 exec_lo, exec_lo, s7
	s_delay_alu instid0(SALU_CYCLE_1)
	s_mov_b32 s7, exec_lo
	v_cmpx_gt_u32_e64 s6, v87
	s_cbranch_execnz .LBB1256_651
.LBB1256_636:                           ;   in Loop: Header=BB1256_607 Depth=2
	s_wait_alu 0xfffe
	s_or_b32 exec_lo, exec_lo, s7
	s_delay_alu instid0(SALU_CYCLE_1)
	s_mov_b32 s7, exec_lo
	v_cmpx_gt_u32_e64 s6, v88
	s_cbranch_execnz .LBB1256_652
.LBB1256_637:                           ;   in Loop: Header=BB1256_607 Depth=2
	s_wait_alu 0xfffe
	s_or_b32 exec_lo, exec_lo, s7
	s_delay_alu instid0(SALU_CYCLE_1)
	s_mov_b32 s7, exec_lo
	v_cmpx_gt_u32_e64 s6, v89
	s_cbranch_execnz .LBB1256_653
.LBB1256_638:                           ;   in Loop: Header=BB1256_607 Depth=2
	s_wait_alu 0xfffe
	s_or_b32 exec_lo, exec_lo, s7
	s_delay_alu instid0(SALU_CYCLE_1)
	s_mov_b32 s7, exec_lo
	v_cmpx_gt_u32_e64 s6, v90
	s_cbranch_execnz .LBB1256_654
.LBB1256_639:                           ;   in Loop: Header=BB1256_607 Depth=2
	s_wait_alu 0xfffe
	s_or_b32 exec_lo, exec_lo, s7
	s_delay_alu instid0(SALU_CYCLE_1)
	s_mov_b32 s7, exec_lo
	v_cmpx_gt_u32_e64 s6, v91
	s_cbranch_execnz .LBB1256_655
.LBB1256_640:                           ;   in Loop: Header=BB1256_607 Depth=2
	s_wait_alu 0xfffe
	s_or_b32 exec_lo, exec_lo, s7
	s_delay_alu instid0(SALU_CYCLE_1)
	s_mov_b32 s7, exec_lo
	v_cmpx_gt_u32_e64 s6, v92
	s_cbranch_execnz .LBB1256_656
.LBB1256_641:                           ;   in Loop: Header=BB1256_607 Depth=2
	s_wait_alu 0xfffe
	s_or_b32 exec_lo, exec_lo, s7
	s_delay_alu instid0(SALU_CYCLE_1)
	s_mov_b32 s7, exec_lo
	v_cmpx_gt_u32_e64 s6, v93
	s_cbranch_execnz .LBB1256_657
.LBB1256_642:                           ;   in Loop: Header=BB1256_607 Depth=2
	s_wait_alu 0xfffe
	s_or_b32 exec_lo, exec_lo, s7
	s_delay_alu instid0(SALU_CYCLE_1)
	s_mov_b32 s7, exec_lo
	v_cmpx_gt_u32_e64 s6, v94
	s_cbranch_execnz .LBB1256_658
.LBB1256_643:                           ;   in Loop: Header=BB1256_607 Depth=2
	s_wait_alu 0xfffe
	s_or_b32 exec_lo, exec_lo, s7
	v_cmp_gt_u32_e32 vcc_lo, s6, v95
	s_and_saveexec_b32 s6, vcc_lo
	s_cbranch_execz .LBB1256_606
	s_branch .LBB1256_659
.LBB1256_644:                           ;   in Loop: Header=BB1256_607 Depth=2
	v_cmp_lt_i64_e32 vcc_lo, -1, v[36:37]
	v_ashrrev_i32_e32 v38, 31, v37
	s_delay_alu instid0(VALU_DEP_1) | instskip(SKIP_2) | instid1(VALU_DEP_1)
	v_xor_b32_e32 v38, v38, v36
	s_wait_alu 0xfffd
	v_cndmask_b32_e64 v2, -1, 0x80000000, vcc_lo
	v_xor_b32_e32 v39, v2, v37
	s_delay_alu instid0(VALU_DEP_1) | instskip(SKIP_3) | instid1(VALU_DEP_1)
	v_cmp_ne_u64_e32 vcc_lo, s[42:43], v[38:39]
	s_wait_alu 0xfffd
	v_cndmask_b32_e32 v39, 0x80000000, v39, vcc_lo
	v_cndmask_b32_e32 v38, 0, v38, vcc_lo
	v_lshrrev_b64 v[38:39], s31, v[38:39]
	s_delay_alu instid0(VALU_DEP_1) | instskip(NEXT) | instid1(VALU_DEP_1)
	v_and_b32_e32 v2, s56, v38
	v_lshl_or_b32 v2, v2, 4, v96
	ds_add_u32 v2, v123
	s_or_b32 exec_lo, exec_lo, s7
	s_delay_alu instid0(SALU_CYCLE_1)
	s_mov_b32 s7, exec_lo
	v_cmpx_gt_u32_e64 s6, v79
	s_cbranch_execz .LBB1256_630
.LBB1256_645:                           ;   in Loop: Header=BB1256_607 Depth=2
	v_cmp_lt_i64_e32 vcc_lo, -1, v[34:35]
	v_ashrrev_i32_e32 v38, 31, v35
	s_delay_alu instid0(VALU_DEP_1) | instskip(SKIP_2) | instid1(VALU_DEP_1)
	v_xor_b32_e32 v38, v38, v34
	s_wait_alu 0xfffd
	v_cndmask_b32_e64 v2, -1, 0x80000000, vcc_lo
	v_xor_b32_e32 v39, v2, v35
	s_delay_alu instid0(VALU_DEP_1) | instskip(SKIP_3) | instid1(VALU_DEP_1)
	v_cmp_ne_u64_e32 vcc_lo, s[42:43], v[38:39]
	s_wait_alu 0xfffd
	v_cndmask_b32_e32 v39, 0x80000000, v39, vcc_lo
	v_cndmask_b32_e32 v38, 0, v38, vcc_lo
	v_lshrrev_b64 v[38:39], s31, v[38:39]
	s_delay_alu instid0(VALU_DEP_1) | instskip(NEXT) | instid1(VALU_DEP_1)
	v_and_b32_e32 v2, s56, v38
	v_lshl_or_b32 v2, v2, 4, v96
	ds_add_u32 v2, v123
	s_wait_alu 0xfffe
	s_or_b32 exec_lo, exec_lo, s7
	s_delay_alu instid0(SALU_CYCLE_1)
	s_mov_b32 s7, exec_lo
	v_cmpx_gt_u32_e64 s6, v80
	s_cbranch_execz .LBB1256_631
.LBB1256_646:                           ;   in Loop: Header=BB1256_607 Depth=2
	v_cmp_lt_i64_e32 vcc_lo, -1, v[32:33]
	v_ashrrev_i32_e32 v38, 31, v33
	s_delay_alu instid0(VALU_DEP_1) | instskip(SKIP_2) | instid1(VALU_DEP_1)
	v_xor_b32_e32 v38, v38, v32
	s_wait_alu 0xfffd
	v_cndmask_b32_e64 v2, -1, 0x80000000, vcc_lo
	v_xor_b32_e32 v39, v2, v33
	s_delay_alu instid0(VALU_DEP_1) | instskip(SKIP_3) | instid1(VALU_DEP_1)
	v_cmp_ne_u64_e32 vcc_lo, s[42:43], v[38:39]
	s_wait_alu 0xfffd
	v_cndmask_b32_e32 v39, 0x80000000, v39, vcc_lo
	v_cndmask_b32_e32 v38, 0, v38, vcc_lo
	v_lshrrev_b64 v[38:39], s31, v[38:39]
	s_delay_alu instid0(VALU_DEP_1) | instskip(NEXT) | instid1(VALU_DEP_1)
	v_and_b32_e32 v2, s56, v38
	v_lshl_or_b32 v2, v2, 4, v96
	ds_add_u32 v2, v123
	s_wait_alu 0xfffe
	s_or_b32 exec_lo, exec_lo, s7
	s_delay_alu instid0(SALU_CYCLE_1)
	s_mov_b32 s7, exec_lo
	v_cmpx_gt_u32_e64 s6, v81
	s_cbranch_execz .LBB1256_632
.LBB1256_647:                           ;   in Loop: Header=BB1256_607 Depth=2
	v_cmp_lt_i64_e32 vcc_lo, -1, v[30:31]
	v_ashrrev_i32_e32 v38, 31, v31
	s_delay_alu instid0(VALU_DEP_1) | instskip(SKIP_2) | instid1(VALU_DEP_1)
	v_xor_b32_e32 v38, v38, v30
	s_wait_alu 0xfffd
	v_cndmask_b32_e64 v2, -1, 0x80000000, vcc_lo
	v_xor_b32_e32 v39, v2, v31
	s_delay_alu instid0(VALU_DEP_1) | instskip(SKIP_3) | instid1(VALU_DEP_1)
	v_cmp_ne_u64_e32 vcc_lo, s[42:43], v[38:39]
	s_wait_alu 0xfffd
	v_cndmask_b32_e32 v39, 0x80000000, v39, vcc_lo
	v_cndmask_b32_e32 v38, 0, v38, vcc_lo
	v_lshrrev_b64 v[38:39], s31, v[38:39]
	s_delay_alu instid0(VALU_DEP_1) | instskip(NEXT) | instid1(VALU_DEP_1)
	v_and_b32_e32 v2, s56, v38
	v_lshl_or_b32 v2, v2, 4, v96
	ds_add_u32 v2, v123
	s_wait_alu 0xfffe
	s_or_b32 exec_lo, exec_lo, s7
	s_delay_alu instid0(SALU_CYCLE_1)
	s_mov_b32 s7, exec_lo
	v_cmpx_gt_u32_e64 s6, v84
	s_cbranch_execz .LBB1256_633
.LBB1256_648:                           ;   in Loop: Header=BB1256_607 Depth=2
	v_cmp_lt_i64_e32 vcc_lo, -1, v[28:29]
	v_ashrrev_i32_e32 v38, 31, v29
	s_delay_alu instid0(VALU_DEP_1) | instskip(SKIP_2) | instid1(VALU_DEP_1)
	v_xor_b32_e32 v38, v38, v28
	s_wait_alu 0xfffd
	v_cndmask_b32_e64 v2, -1, 0x80000000, vcc_lo
	v_xor_b32_e32 v39, v2, v29
	s_delay_alu instid0(VALU_DEP_1) | instskip(SKIP_3) | instid1(VALU_DEP_1)
	v_cmp_ne_u64_e32 vcc_lo, s[42:43], v[38:39]
	s_wait_alu 0xfffd
	v_cndmask_b32_e32 v39, 0x80000000, v39, vcc_lo
	v_cndmask_b32_e32 v38, 0, v38, vcc_lo
	v_lshrrev_b64 v[38:39], s31, v[38:39]
	s_delay_alu instid0(VALU_DEP_1) | instskip(NEXT) | instid1(VALU_DEP_1)
	v_and_b32_e32 v2, s56, v38
	v_lshl_or_b32 v2, v2, 4, v96
	ds_add_u32 v2, v123
	s_wait_alu 0xfffe
	s_or_b32 exec_lo, exec_lo, s7
	s_delay_alu instid0(SALU_CYCLE_1)
	s_mov_b32 s7, exec_lo
	v_cmpx_gt_u32_e64 s6, v85
	s_cbranch_execz .LBB1256_634
.LBB1256_649:                           ;   in Loop: Header=BB1256_607 Depth=2
	v_cmp_lt_i64_e32 vcc_lo, -1, v[26:27]
	v_ashrrev_i32_e32 v38, 31, v27
	s_delay_alu instid0(VALU_DEP_1) | instskip(SKIP_2) | instid1(VALU_DEP_1)
	v_xor_b32_e32 v38, v38, v26
	s_wait_alu 0xfffd
	v_cndmask_b32_e64 v2, -1, 0x80000000, vcc_lo
	v_xor_b32_e32 v39, v2, v27
	s_delay_alu instid0(VALU_DEP_1) | instskip(SKIP_3) | instid1(VALU_DEP_1)
	v_cmp_ne_u64_e32 vcc_lo, s[42:43], v[38:39]
	s_wait_alu 0xfffd
	v_cndmask_b32_e32 v39, 0x80000000, v39, vcc_lo
	v_cndmask_b32_e32 v38, 0, v38, vcc_lo
	v_lshrrev_b64 v[38:39], s31, v[38:39]
	s_delay_alu instid0(VALU_DEP_1) | instskip(NEXT) | instid1(VALU_DEP_1)
	v_and_b32_e32 v2, s56, v38
	v_lshl_or_b32 v2, v2, 4, v96
	ds_add_u32 v2, v123
	s_wait_alu 0xfffe
	s_or_b32 exec_lo, exec_lo, s7
	s_delay_alu instid0(SALU_CYCLE_1)
	s_mov_b32 s7, exec_lo
	v_cmpx_gt_u32_e64 s6, v86
	s_cbranch_execz .LBB1256_635
.LBB1256_650:                           ;   in Loop: Header=BB1256_607 Depth=2
	v_cmp_lt_i64_e32 vcc_lo, -1, v[24:25]
	v_ashrrev_i32_e32 v38, 31, v25
	s_delay_alu instid0(VALU_DEP_1) | instskip(SKIP_2) | instid1(VALU_DEP_1)
	v_xor_b32_e32 v38, v38, v24
	s_wait_alu 0xfffd
	v_cndmask_b32_e64 v2, -1, 0x80000000, vcc_lo
	v_xor_b32_e32 v39, v2, v25
	s_delay_alu instid0(VALU_DEP_1) | instskip(SKIP_3) | instid1(VALU_DEP_1)
	v_cmp_ne_u64_e32 vcc_lo, s[42:43], v[38:39]
	s_wait_alu 0xfffd
	v_cndmask_b32_e32 v39, 0x80000000, v39, vcc_lo
	v_cndmask_b32_e32 v38, 0, v38, vcc_lo
	v_lshrrev_b64 v[38:39], s31, v[38:39]
	s_delay_alu instid0(VALU_DEP_1) | instskip(NEXT) | instid1(VALU_DEP_1)
	v_and_b32_e32 v2, s56, v38
	v_lshl_or_b32 v2, v2, 4, v96
	ds_add_u32 v2, v123
	s_wait_alu 0xfffe
	s_or_b32 exec_lo, exec_lo, s7
	s_delay_alu instid0(SALU_CYCLE_1)
	s_mov_b32 s7, exec_lo
	v_cmpx_gt_u32_e64 s6, v87
	s_cbranch_execz .LBB1256_636
.LBB1256_651:                           ;   in Loop: Header=BB1256_607 Depth=2
	v_cmp_lt_i64_e32 vcc_lo, -1, v[22:23]
	v_ashrrev_i32_e32 v38, 31, v23
	s_delay_alu instid0(VALU_DEP_1) | instskip(SKIP_2) | instid1(VALU_DEP_1)
	v_xor_b32_e32 v38, v38, v22
	s_wait_alu 0xfffd
	v_cndmask_b32_e64 v2, -1, 0x80000000, vcc_lo
	v_xor_b32_e32 v39, v2, v23
	s_delay_alu instid0(VALU_DEP_1) | instskip(SKIP_3) | instid1(VALU_DEP_1)
	v_cmp_ne_u64_e32 vcc_lo, s[42:43], v[38:39]
	s_wait_alu 0xfffd
	v_cndmask_b32_e32 v39, 0x80000000, v39, vcc_lo
	v_cndmask_b32_e32 v38, 0, v38, vcc_lo
	v_lshrrev_b64 v[38:39], s31, v[38:39]
	s_delay_alu instid0(VALU_DEP_1) | instskip(NEXT) | instid1(VALU_DEP_1)
	v_and_b32_e32 v2, s56, v38
	v_lshl_or_b32 v2, v2, 4, v96
	ds_add_u32 v2, v123
	s_wait_alu 0xfffe
	s_or_b32 exec_lo, exec_lo, s7
	s_delay_alu instid0(SALU_CYCLE_1)
	s_mov_b32 s7, exec_lo
	v_cmpx_gt_u32_e64 s6, v88
	s_cbranch_execz .LBB1256_637
.LBB1256_652:                           ;   in Loop: Header=BB1256_607 Depth=2
	v_cmp_lt_i64_e32 vcc_lo, -1, v[20:21]
	v_ashrrev_i32_e32 v38, 31, v21
	s_delay_alu instid0(VALU_DEP_1) | instskip(SKIP_2) | instid1(VALU_DEP_1)
	v_xor_b32_e32 v38, v38, v20
	s_wait_alu 0xfffd
	v_cndmask_b32_e64 v2, -1, 0x80000000, vcc_lo
	v_xor_b32_e32 v39, v2, v21
	s_delay_alu instid0(VALU_DEP_1) | instskip(SKIP_3) | instid1(VALU_DEP_1)
	v_cmp_ne_u64_e32 vcc_lo, s[42:43], v[38:39]
	s_wait_alu 0xfffd
	v_cndmask_b32_e32 v39, 0x80000000, v39, vcc_lo
	v_cndmask_b32_e32 v38, 0, v38, vcc_lo
	v_lshrrev_b64 v[38:39], s31, v[38:39]
	s_delay_alu instid0(VALU_DEP_1) | instskip(NEXT) | instid1(VALU_DEP_1)
	v_and_b32_e32 v2, s56, v38
	v_lshl_or_b32 v2, v2, 4, v96
	ds_add_u32 v2, v123
	s_wait_alu 0xfffe
	s_or_b32 exec_lo, exec_lo, s7
	s_delay_alu instid0(SALU_CYCLE_1)
	s_mov_b32 s7, exec_lo
	v_cmpx_gt_u32_e64 s6, v89
	s_cbranch_execz .LBB1256_638
.LBB1256_653:                           ;   in Loop: Header=BB1256_607 Depth=2
	v_cmp_lt_i64_e32 vcc_lo, -1, v[18:19]
	v_ashrrev_i32_e32 v38, 31, v19
	s_delay_alu instid0(VALU_DEP_1) | instskip(SKIP_2) | instid1(VALU_DEP_1)
	v_xor_b32_e32 v38, v38, v18
	s_wait_alu 0xfffd
	v_cndmask_b32_e64 v2, -1, 0x80000000, vcc_lo
	v_xor_b32_e32 v39, v2, v19
	s_delay_alu instid0(VALU_DEP_1) | instskip(SKIP_3) | instid1(VALU_DEP_1)
	v_cmp_ne_u64_e32 vcc_lo, s[42:43], v[38:39]
	s_wait_alu 0xfffd
	v_cndmask_b32_e32 v39, 0x80000000, v39, vcc_lo
	v_cndmask_b32_e32 v38, 0, v38, vcc_lo
	v_lshrrev_b64 v[38:39], s31, v[38:39]
	s_delay_alu instid0(VALU_DEP_1) | instskip(NEXT) | instid1(VALU_DEP_1)
	v_and_b32_e32 v2, s56, v38
	v_lshl_or_b32 v2, v2, 4, v96
	ds_add_u32 v2, v123
	s_wait_alu 0xfffe
	s_or_b32 exec_lo, exec_lo, s7
	s_delay_alu instid0(SALU_CYCLE_1)
	s_mov_b32 s7, exec_lo
	v_cmpx_gt_u32_e64 s6, v90
	s_cbranch_execz .LBB1256_639
.LBB1256_654:                           ;   in Loop: Header=BB1256_607 Depth=2
	v_cmp_lt_i64_e32 vcc_lo, -1, v[16:17]
	v_ashrrev_i32_e32 v38, 31, v17
	s_delay_alu instid0(VALU_DEP_1) | instskip(SKIP_2) | instid1(VALU_DEP_1)
	v_xor_b32_e32 v38, v38, v16
	s_wait_alu 0xfffd
	v_cndmask_b32_e64 v2, -1, 0x80000000, vcc_lo
	v_xor_b32_e32 v39, v2, v17
	s_delay_alu instid0(VALU_DEP_1) | instskip(SKIP_3) | instid1(VALU_DEP_1)
	v_cmp_ne_u64_e32 vcc_lo, s[42:43], v[38:39]
	s_wait_alu 0xfffd
	v_cndmask_b32_e32 v39, 0x80000000, v39, vcc_lo
	v_cndmask_b32_e32 v38, 0, v38, vcc_lo
	v_lshrrev_b64 v[38:39], s31, v[38:39]
	s_delay_alu instid0(VALU_DEP_1) | instskip(NEXT) | instid1(VALU_DEP_1)
	v_and_b32_e32 v2, s56, v38
	v_lshl_or_b32 v2, v2, 4, v96
	ds_add_u32 v2, v123
	s_wait_alu 0xfffe
	s_or_b32 exec_lo, exec_lo, s7
	s_delay_alu instid0(SALU_CYCLE_1)
	s_mov_b32 s7, exec_lo
	v_cmpx_gt_u32_e64 s6, v91
	s_cbranch_execz .LBB1256_640
.LBB1256_655:                           ;   in Loop: Header=BB1256_607 Depth=2
	v_cmp_lt_i64_e32 vcc_lo, -1, v[14:15]
	v_ashrrev_i32_e32 v38, 31, v15
	s_delay_alu instid0(VALU_DEP_1) | instskip(SKIP_2) | instid1(VALU_DEP_1)
	v_xor_b32_e32 v38, v38, v14
	s_wait_alu 0xfffd
	v_cndmask_b32_e64 v2, -1, 0x80000000, vcc_lo
	v_xor_b32_e32 v39, v2, v15
	s_delay_alu instid0(VALU_DEP_1) | instskip(SKIP_3) | instid1(VALU_DEP_1)
	v_cmp_ne_u64_e32 vcc_lo, s[42:43], v[38:39]
	s_wait_alu 0xfffd
	v_cndmask_b32_e32 v39, 0x80000000, v39, vcc_lo
	v_cndmask_b32_e32 v38, 0, v38, vcc_lo
	v_lshrrev_b64 v[38:39], s31, v[38:39]
	s_delay_alu instid0(VALU_DEP_1) | instskip(NEXT) | instid1(VALU_DEP_1)
	v_and_b32_e32 v2, s56, v38
	v_lshl_or_b32 v2, v2, 4, v96
	ds_add_u32 v2, v123
	s_wait_alu 0xfffe
	s_or_b32 exec_lo, exec_lo, s7
	s_delay_alu instid0(SALU_CYCLE_1)
	s_mov_b32 s7, exec_lo
	v_cmpx_gt_u32_e64 s6, v92
	s_cbranch_execz .LBB1256_641
.LBB1256_656:                           ;   in Loop: Header=BB1256_607 Depth=2
	v_cmp_lt_i64_e32 vcc_lo, -1, v[12:13]
	v_ashrrev_i32_e32 v38, 31, v13
	s_delay_alu instid0(VALU_DEP_1) | instskip(SKIP_2) | instid1(VALU_DEP_1)
	v_xor_b32_e32 v38, v38, v12
	s_wait_alu 0xfffd
	v_cndmask_b32_e64 v2, -1, 0x80000000, vcc_lo
	v_xor_b32_e32 v39, v2, v13
	s_delay_alu instid0(VALU_DEP_1) | instskip(SKIP_3) | instid1(VALU_DEP_1)
	v_cmp_ne_u64_e32 vcc_lo, s[42:43], v[38:39]
	s_wait_alu 0xfffd
	v_cndmask_b32_e32 v39, 0x80000000, v39, vcc_lo
	v_cndmask_b32_e32 v38, 0, v38, vcc_lo
	v_lshrrev_b64 v[38:39], s31, v[38:39]
	s_delay_alu instid0(VALU_DEP_1) | instskip(NEXT) | instid1(VALU_DEP_1)
	v_and_b32_e32 v2, s56, v38
	v_lshl_or_b32 v2, v2, 4, v96
	ds_add_u32 v2, v123
	s_wait_alu 0xfffe
	s_or_b32 exec_lo, exec_lo, s7
	s_delay_alu instid0(SALU_CYCLE_1)
	s_mov_b32 s7, exec_lo
	v_cmpx_gt_u32_e64 s6, v93
	s_cbranch_execz .LBB1256_642
.LBB1256_657:                           ;   in Loop: Header=BB1256_607 Depth=2
	v_cmp_lt_i64_e32 vcc_lo, -1, v[10:11]
	v_ashrrev_i32_e32 v38, 31, v11
	s_delay_alu instid0(VALU_DEP_1) | instskip(SKIP_2) | instid1(VALU_DEP_1)
	v_xor_b32_e32 v38, v38, v10
	s_wait_alu 0xfffd
	v_cndmask_b32_e64 v2, -1, 0x80000000, vcc_lo
	v_xor_b32_e32 v39, v2, v11
	s_delay_alu instid0(VALU_DEP_1) | instskip(SKIP_3) | instid1(VALU_DEP_1)
	v_cmp_ne_u64_e32 vcc_lo, s[42:43], v[38:39]
	s_wait_alu 0xfffd
	v_cndmask_b32_e32 v39, 0x80000000, v39, vcc_lo
	v_cndmask_b32_e32 v38, 0, v38, vcc_lo
	v_lshrrev_b64 v[38:39], s31, v[38:39]
	s_delay_alu instid0(VALU_DEP_1) | instskip(NEXT) | instid1(VALU_DEP_1)
	v_and_b32_e32 v2, s56, v38
	v_lshl_or_b32 v2, v2, 4, v96
	ds_add_u32 v2, v123
	s_wait_alu 0xfffe
	s_or_b32 exec_lo, exec_lo, s7
	s_delay_alu instid0(SALU_CYCLE_1)
	s_mov_b32 s7, exec_lo
	v_cmpx_gt_u32_e64 s6, v94
	s_cbranch_execz .LBB1256_643
.LBB1256_658:                           ;   in Loop: Header=BB1256_607 Depth=2
	v_cmp_lt_i64_e32 vcc_lo, -1, v[8:9]
	v_ashrrev_i32_e32 v38, 31, v9
	s_delay_alu instid0(VALU_DEP_1) | instskip(SKIP_2) | instid1(VALU_DEP_1)
	v_xor_b32_e32 v38, v38, v8
	s_wait_alu 0xfffd
	v_cndmask_b32_e64 v2, -1, 0x80000000, vcc_lo
	v_xor_b32_e32 v39, v2, v9
	s_delay_alu instid0(VALU_DEP_1) | instskip(SKIP_3) | instid1(VALU_DEP_1)
	v_cmp_ne_u64_e32 vcc_lo, s[42:43], v[38:39]
	s_wait_alu 0xfffd
	v_cndmask_b32_e32 v39, 0x80000000, v39, vcc_lo
	v_cndmask_b32_e32 v38, 0, v38, vcc_lo
	v_lshrrev_b64 v[38:39], s31, v[38:39]
	s_delay_alu instid0(VALU_DEP_1) | instskip(NEXT) | instid1(VALU_DEP_1)
	v_and_b32_e32 v2, s56, v38
	v_lshl_or_b32 v2, v2, 4, v96
	ds_add_u32 v2, v123
	s_wait_alu 0xfffe
	s_or_b32 exec_lo, exec_lo, s7
	v_cmp_gt_u32_e32 vcc_lo, s6, v95
	s_and_saveexec_b32 s6, vcc_lo
	s_cbranch_execz .LBB1256_606
.LBB1256_659:                           ;   in Loop: Header=BB1256_607 Depth=2
	v_cmp_lt_i64_e32 vcc_lo, -1, v[6:7]
	v_ashrrev_i32_e32 v38, 31, v7
	s_delay_alu instid0(VALU_DEP_1) | instskip(SKIP_2) | instid1(VALU_DEP_1)
	v_xor_b32_e32 v38, v38, v6
	s_wait_alu 0xfffd
	v_cndmask_b32_e64 v2, -1, 0x80000000, vcc_lo
	v_xor_b32_e32 v39, v2, v7
	s_delay_alu instid0(VALU_DEP_1) | instskip(SKIP_3) | instid1(VALU_DEP_1)
	v_cmp_ne_u64_e32 vcc_lo, s[42:43], v[38:39]
	s_wait_alu 0xfffd
	v_cndmask_b32_e32 v39, 0x80000000, v39, vcc_lo
	v_cndmask_b32_e32 v38, 0, v38, vcc_lo
	v_lshrrev_b64 v[38:39], s31, v[38:39]
	s_delay_alu instid0(VALU_DEP_1) | instskip(NEXT) | instid1(VALU_DEP_1)
	v_and_b32_e32 v2, s56, v38
	v_lshl_or_b32 v2, v2, 4, v96
	ds_add_u32 v2, v123
	s_branch .LBB1256_606
.LBB1256_660:                           ;   in Loop: Header=BB1256_607 Depth=2
	global_load_b64 v[36:37], v124, s[6:7]
	s_or_b32 exec_lo, exec_lo, s10
	s_delay_alu instid0(SALU_CYCLE_1)
	s_mov_b32 s10, exec_lo
	v_cmpx_gt_u32_e64 s8, v79
	s_cbranch_execz .LBB1256_612
.LBB1256_661:                           ;   in Loop: Header=BB1256_607 Depth=2
	global_load_b64 v[34:35], v124, s[6:7] offset:2048
	s_wait_alu 0xfffe
	s_or_b32 exec_lo, exec_lo, s10
	s_delay_alu instid0(SALU_CYCLE_1)
	s_mov_b32 s10, exec_lo
	v_cmpx_gt_u32_e64 s8, v80
	s_cbranch_execz .LBB1256_613
.LBB1256_662:                           ;   in Loop: Header=BB1256_607 Depth=2
	global_load_b64 v[32:33], v124, s[6:7] offset:4096
	s_wait_alu 0xfffe
	s_or_b32 exec_lo, exec_lo, s10
	s_delay_alu instid0(SALU_CYCLE_1)
	s_mov_b32 s10, exec_lo
	v_cmpx_gt_u32_e64 s8, v81
	s_cbranch_execz .LBB1256_614
.LBB1256_663:                           ;   in Loop: Header=BB1256_607 Depth=2
	global_load_b64 v[30:31], v124, s[6:7] offset:6144
	s_wait_alu 0xfffe
	s_or_b32 exec_lo, exec_lo, s10
	s_delay_alu instid0(SALU_CYCLE_1)
	s_mov_b32 s10, exec_lo
	v_cmpx_gt_u32_e64 s8, v84
	s_cbranch_execz .LBB1256_615
.LBB1256_664:                           ;   in Loop: Header=BB1256_607 Depth=2
	global_load_b64 v[28:29], v124, s[6:7] offset:8192
	s_wait_alu 0xfffe
	s_or_b32 exec_lo, exec_lo, s10
	s_delay_alu instid0(SALU_CYCLE_1)
	s_mov_b32 s10, exec_lo
	v_cmpx_gt_u32_e64 s8, v85
	s_cbranch_execz .LBB1256_616
.LBB1256_665:                           ;   in Loop: Header=BB1256_607 Depth=2
	global_load_b64 v[26:27], v124, s[6:7] offset:10240
	s_wait_alu 0xfffe
	s_or_b32 exec_lo, exec_lo, s10
	s_delay_alu instid0(SALU_CYCLE_1)
	s_mov_b32 s10, exec_lo
	v_cmpx_gt_u32_e64 s8, v86
	s_cbranch_execz .LBB1256_617
.LBB1256_666:                           ;   in Loop: Header=BB1256_607 Depth=2
	global_load_b64 v[24:25], v124, s[6:7] offset:12288
	s_wait_alu 0xfffe
	s_or_b32 exec_lo, exec_lo, s10
	s_delay_alu instid0(SALU_CYCLE_1)
	s_mov_b32 s10, exec_lo
	v_cmpx_gt_u32_e64 s8, v87
	s_cbranch_execz .LBB1256_618
.LBB1256_667:                           ;   in Loop: Header=BB1256_607 Depth=2
	global_load_b64 v[22:23], v124, s[6:7] offset:14336
	s_wait_alu 0xfffe
	s_or_b32 exec_lo, exec_lo, s10
	s_delay_alu instid0(SALU_CYCLE_1)
	s_mov_b32 s10, exec_lo
	v_cmpx_gt_u32_e64 s8, v88
	s_cbranch_execz .LBB1256_619
.LBB1256_668:                           ;   in Loop: Header=BB1256_607 Depth=2
	global_load_b64 v[20:21], v124, s[6:7] offset:16384
	s_wait_alu 0xfffe
	s_or_b32 exec_lo, exec_lo, s10
	s_delay_alu instid0(SALU_CYCLE_1)
	s_mov_b32 s10, exec_lo
	v_cmpx_gt_u32_e64 s8, v89
	s_cbranch_execz .LBB1256_620
.LBB1256_669:                           ;   in Loop: Header=BB1256_607 Depth=2
	global_load_b64 v[18:19], v124, s[6:7] offset:18432
	s_wait_alu 0xfffe
	s_or_b32 exec_lo, exec_lo, s10
	s_delay_alu instid0(SALU_CYCLE_1)
	s_mov_b32 s10, exec_lo
	v_cmpx_gt_u32_e64 s8, v90
	s_cbranch_execz .LBB1256_621
.LBB1256_670:                           ;   in Loop: Header=BB1256_607 Depth=2
	global_load_b64 v[16:17], v124, s[6:7] offset:20480
	s_wait_alu 0xfffe
	s_or_b32 exec_lo, exec_lo, s10
	s_delay_alu instid0(SALU_CYCLE_1)
	s_mov_b32 s10, exec_lo
	v_cmpx_gt_u32_e64 s8, v91
	s_cbranch_execz .LBB1256_622
.LBB1256_671:                           ;   in Loop: Header=BB1256_607 Depth=2
	global_load_b64 v[14:15], v124, s[6:7] offset:22528
	s_wait_alu 0xfffe
	s_or_b32 exec_lo, exec_lo, s10
	s_delay_alu instid0(SALU_CYCLE_1)
	s_mov_b32 s10, exec_lo
	v_cmpx_gt_u32_e64 s8, v92
	s_cbranch_execz .LBB1256_623
.LBB1256_672:                           ;   in Loop: Header=BB1256_607 Depth=2
	global_load_b64 v[12:13], v124, s[6:7] offset:24576
	s_wait_alu 0xfffe
	s_or_b32 exec_lo, exec_lo, s10
	s_delay_alu instid0(SALU_CYCLE_1)
	s_mov_b32 s10, exec_lo
	v_cmpx_gt_u32_e64 s8, v93
	s_cbranch_execz .LBB1256_624
.LBB1256_673:                           ;   in Loop: Header=BB1256_607 Depth=2
	global_load_b64 v[10:11], v124, s[6:7] offset:26624
	s_wait_alu 0xfffe
	s_or_b32 exec_lo, exec_lo, s10
	s_delay_alu instid0(SALU_CYCLE_1)
	s_mov_b32 s10, exec_lo
	v_cmpx_gt_u32_e64 s8, v94
	s_cbranch_execz .LBB1256_625
.LBB1256_674:                           ;   in Loop: Header=BB1256_607 Depth=2
	global_load_b64 v[8:9], v124, s[6:7] offset:28672
	s_wait_alu 0xfffe
	s_or_b32 exec_lo, exec_lo, s10
	s_delay_alu instid0(SALU_CYCLE_1)
	s_mov_b32 s10, exec_lo
	v_cmpx_gt_u32_e64 s8, v95
	s_cbranch_execnz .LBB1256_626
	s_branch .LBB1256_627
.LBB1256_675:                           ;   in Loop: Header=BB1256_17 Depth=1
	v_mov_b32_e32 v2, 0
	s_wait_dscnt 0x0
	s_barrier_signal -1
	s_barrier_wait -1
	global_inv scope:SCOPE_SE
	s_and_saveexec_b32 s6, s2
	s_cbranch_execz .LBB1256_677
; %bb.676:                              ;   in Loop: Header=BB1256_17 Depth=1
	ds_load_2addr_b64 v[6:9], v98 offset1:1
	s_wait_dscnt 0x0
	v_add_nc_u32_e32 v2, v7, v6
	s_delay_alu instid0(VALU_DEP_1)
	v_add3_u32 v2, v2, v8, v9
.LBB1256_677:                           ;   in Loop: Header=BB1256_17 Depth=1
	s_wait_alu 0xfffe
	s_or_b32 exec_lo, exec_lo, s6
	v_and_b32_e32 v6, 15, v125
	s_delay_alu instid0(VALU_DEP_2) | instskip(SKIP_1) | instid1(VALU_DEP_3)
	v_mov_b32_dpp v7, v2 row_shr:1 row_mask:0xf bank_mask:0xf
	v_and_b32_e32 v8, 16, v125
	v_cmp_eq_u32_e64 s6, 0, v6
	v_cmp_lt_u32_e64 s7, 1, v6
	v_cmp_lt_u32_e64 s8, 3, v6
	;; [unrolled: 1-line block ×3, first 2 shown]
	v_cmp_eq_u32_e64 s10, 0, v8
	s_wait_alu 0xf1ff
	v_cndmask_b32_e64 v7, v7, 0, s6
	s_delay_alu instid0(VALU_DEP_1) | instskip(NEXT) | instid1(VALU_DEP_1)
	v_add_nc_u32_e32 v2, v7, v2
	v_mov_b32_dpp v7, v2 row_shr:2 row_mask:0xf bank_mask:0xf
	s_delay_alu instid0(VALU_DEP_1) | instskip(NEXT) | instid1(VALU_DEP_1)
	v_cndmask_b32_e64 v7, 0, v7, s7
	v_add_nc_u32_e32 v2, v2, v7
	s_delay_alu instid0(VALU_DEP_1) | instskip(NEXT) | instid1(VALU_DEP_1)
	v_mov_b32_dpp v7, v2 row_shr:4 row_mask:0xf bank_mask:0xf
	v_cndmask_b32_e64 v7, 0, v7, s8
	s_delay_alu instid0(VALU_DEP_1) | instskip(NEXT) | instid1(VALU_DEP_1)
	v_add_nc_u32_e32 v2, v2, v7
	v_mov_b32_dpp v7, v2 row_shr:8 row_mask:0xf bank_mask:0xf
	s_delay_alu instid0(VALU_DEP_1) | instskip(SKIP_1) | instid1(VALU_DEP_2)
	v_cndmask_b32_e64 v6, 0, v7, s9
	v_bfe_i32 v7, v125, 4, 1
	v_add_nc_u32_e32 v2, v2, v6
	ds_swizzle_b32 v6, v2 offset:swizzle(BROADCAST,32,15)
	s_wait_dscnt 0x0
	v_and_b32_e32 v6, v7, v6
	s_delay_alu instid0(VALU_DEP_1)
	v_add_nc_u32_e32 v6, v2, v6
	s_and_saveexec_b32 s11, s3
; %bb.678:                              ;   in Loop: Header=BB1256_17 Depth=1
	ds_store_b32 v99, v6
; %bb.679:                              ;   in Loop: Header=BB1256_17 Depth=1
	s_wait_alu 0xfffe
	s_or_b32 exec_lo, exec_lo, s11
	v_and_b32_e32 v2, 7, v125
	s_wait_loadcnt_dscnt 0x0
	s_barrier_signal -1
	s_barrier_wait -1
	global_inv scope:SCOPE_SE
	s_and_saveexec_b32 s11, s4
	s_cbranch_execz .LBB1256_681
; %bb.680:                              ;   in Loop: Header=BB1256_17 Depth=1
	ds_load_b32 v7, v100
	v_cmp_ne_u32_e32 vcc_lo, 0, v2
	s_wait_dscnt 0x0
	v_mov_b32_dpp v8, v7 row_shr:1 row_mask:0xf bank_mask:0xf
	s_wait_alu 0xfffd
	s_delay_alu instid0(VALU_DEP_1) | instskip(SKIP_1) | instid1(VALU_DEP_2)
	v_cndmask_b32_e32 v8, 0, v8, vcc_lo
	v_cmp_lt_u32_e32 vcc_lo, 1, v2
	v_add_nc_u32_e32 v7, v8, v7
	s_delay_alu instid0(VALU_DEP_1) | instskip(SKIP_1) | instid1(VALU_DEP_1)
	v_mov_b32_dpp v8, v7 row_shr:2 row_mask:0xf bank_mask:0xf
	s_wait_alu 0xfffd
	v_cndmask_b32_e32 v8, 0, v8, vcc_lo
	v_cmp_lt_u32_e32 vcc_lo, 3, v2
	s_delay_alu instid0(VALU_DEP_2) | instskip(NEXT) | instid1(VALU_DEP_1)
	v_add_nc_u32_e32 v7, v7, v8
	v_mov_b32_dpp v8, v7 row_shr:4 row_mask:0xf bank_mask:0xf
	s_wait_alu 0xfffd
	s_delay_alu instid0(VALU_DEP_1) | instskip(NEXT) | instid1(VALU_DEP_1)
	v_cndmask_b32_e32 v8, 0, v8, vcc_lo
	v_add_nc_u32_e32 v7, v7, v8
	ds_store_b32 v100, v7
.LBB1256_681:                           ;   in Loop: Header=BB1256_17 Depth=1
	s_wait_alu 0xfffe
	s_or_b32 exec_lo, exec_lo, s11
	v_mov_b32_e32 v7, 0
	s_wait_loadcnt_dscnt 0x0
	s_barrier_signal -1
	s_barrier_wait -1
	global_inv scope:SCOPE_SE
	s_and_saveexec_b32 s11, s5
; %bb.682:                              ;   in Loop: Header=BB1256_17 Depth=1
	ds_load_b32 v7, v101
; %bb.683:                              ;   in Loop: Header=BB1256_17 Depth=1
	s_wait_alu 0xfffe
	s_or_b32 exec_lo, exec_lo, s11
	v_sub_co_u32 v8, s11, v125, 1
	s_wait_dscnt 0x0
	v_add_nc_u32_e32 v6, v7, v6
	s_wait_loadcnt 0x0
	s_barrier_signal -1
	v_cmp_gt_i32_e32 vcc_lo, 0, v8
	s_barrier_wait -1
	global_inv scope:SCOPE_SE
	s_wait_alu 0xfffd
	v_cndmask_b32_e32 v8, v8, v125, vcc_lo
	s_delay_alu instid0(VALU_DEP_1)
	v_lshlrev_b32_e32 v126, 2, v8
	ds_bpermute_b32 v6, v126, v6
	s_and_saveexec_b32 s12, s2
	s_cbranch_execz .LBB1256_685
; %bb.684:                              ;   in Loop: Header=BB1256_17 Depth=1
	s_wait_dscnt 0x0
	v_cndmask_b32_e64 v6, v6, v7, s11
	s_delay_alu instid0(VALU_DEP_1)
	v_add_nc_u32_e32 v6, s33, v6
	ds_store_b32 v78, v6
.LBB1256_685:                           ;   in Loop: Header=BB1256_17 Depth=1
	s_wait_alu 0xfffe
	s_or_b32 exec_lo, exec_lo, s12
	s_load_b64 s[12:13], s[52:53], 0x0
	v_lshlrev_b32_e32 v8, 3, v125
	v_or_b32_e32 v127, v125, v102
	s_mov_b32 s57, s55
                                        ; implicit-def: $vgpr10_vgpr11
                                        ; implicit-def: $vgpr12_vgpr13
                                        ; implicit-def: $vgpr14_vgpr15
                                        ; implicit-def: $vgpr16_vgpr17
                                        ; implicit-def: $vgpr18_vgpr19
                                        ; implicit-def: $vgpr20_vgpr21
                                        ; implicit-def: $vgpr22_vgpr23
                                        ; implicit-def: $vgpr24_vgpr25
                                        ; implicit-def: $vgpr26_vgpr27
                                        ; implicit-def: $vgpr28_vgpr29
                                        ; implicit-def: $vgpr30_vgpr31
                                        ; implicit-def: $vgpr32_vgpr33
                                        ; implicit-def: $vgpr34_vgpr35
                                        ; implicit-def: $vgpr36_vgpr37
                                        ; implicit-def: $vgpr148
                                        ; implicit-def: $vgpr149
                                        ; implicit-def: $vgpr150
                                        ; implicit-def: $vgpr151
                                        ; implicit-def: $vgpr152
                                        ; implicit-def: $vgpr153
                                        ; implicit-def: $vgpr154
                                        ; implicit-def: $vgpr155
                                        ; implicit-def: $vgpr156
                                        ; implicit-def: $vgpr157
                                        ; implicit-def: $vgpr158
                                        ; implicit-def: $vgpr159
                                        ; implicit-def: $vgpr160
                                        ; implicit-def: $vgpr161
                                        ; implicit-def: $vgpr162
                                        ; implicit-def: $vgpr163
	s_delay_alu instid0(VALU_DEP_2)
	v_add_co_u32 v128, vcc_lo, v119, v8
	s_wait_alu 0xfffd
	v_add_co_ci_u32_e64 v129, null, 0, v120, vcc_lo
	v_add_co_u32 v145, vcc_lo, v121, v8
	v_or_b32_e32 v130, 32, v127
	v_or_b32_e32 v131, 64, v127
	;; [unrolled: 1-line block ×8, first 2 shown]
	s_wait_kmcnt 0x0
	s_cmp_lt_u32 ttmp7, s13
	v_or_b32_e32 v138, 0x120, v127
	s_cselect_b32 s34, 14, 20
	s_cmp_lt_u32 ttmp9, s12
	s_wait_alu 0xfffe
	s_add_nc_u64 s[14:15], s[52:53], s[34:35]
	s_cselect_b32 s34, 12, 18
	s_load_u16 s15, s[14:15], 0x0
	s_add_nc_u64 s[12:13], s[52:53], s[34:35]
	v_or_b32_e32 v139, 0x140, v127
	s_load_u16 s16, s[12:13], 0x0
	v_cmp_eq_u32_e64 s12, 0, v2
	v_cmp_lt_u32_e64 s13, 1, v2
	v_cmp_lt_u32_e64 s14, 3, v2
	v_or_b32_e32 v140, 0x160, v127
	v_or_b32_e32 v141, 0x180, v127
	;; [unrolled: 1-line block ×5, first 2 shown]
	v_add_co_ci_u32_e64 v146, null, 0, v122, vcc_lo
	s_mov_b32 s34, s33
                                        ; implicit-def: $vgpr8_vgpr9
	s_wait_kmcnt 0x0
	v_mad_u32_u24 v2, v104, s15, v0
	s_wait_dscnt 0x0
	s_delay_alu instid0(VALU_DEP_1) | instskip(NEXT) | instid1(VALU_DEP_1)
	v_mad_co_u64_u32 v[6:7], null, v2, s16, v[1:2]
	v_lshrrev_b32_e32 v2, 3, v6
                                        ; implicit-def: $vgpr6_vgpr7
	s_delay_alu instid0(VALU_DEP_1)
	v_and_b32_e32 v147, 0x1ffffffc, v2
	s_branch .LBB1256_687
.LBB1256_686:                           ;   in Loop: Header=BB1256_687 Depth=2
	s_wait_alu 0xfffe
	s_or_b32 exec_lo, exec_lo, s15
	s_addk_co_i32 s57, 0xf000
	s_cmp_lt_u32 s58, s51
	s_mov_b32 s34, s58
	s_cbranch_scc0 .LBB1256_895
.LBB1256_687:                           ;   Parent Loop BB1256_17 Depth=1
                                        ; =>  This Inner Loop Header: Depth=2
	s_wait_alu 0xfffe
	s_add_co_i32 s58, s34, 0x1000
	s_wait_alu 0xfffe
	s_cmp_gt_u32 s58, s51
	s_cbranch_scc1 .LBB1256_689
; %bb.688:                              ;   in Loop: Header=BB1256_687 Depth=2
	s_lshl_b64 s[16:17], s[34:35], 3
	s_mov_b32 s15, -1
	s_wait_alu 0xfffe
	v_add_co_u32 v44, vcc_lo, v145, s16
	s_wait_alu 0xfffd
	v_add_co_ci_u32_e64 v45, null, s17, v146, vcc_lo
	s_clause 0xe
	global_load_b64 v[38:39], v[44:45], off
	global_load_b64 v[40:41], v[44:45], off offset:256
	global_load_b64 v[42:43], v[44:45], off offset:512
	;; [unrolled: 1-line block ×14, first 2 shown]
	s_movk_i32 s16, 0x1000
	s_cbranch_execz .LBB1256_690
	s_branch .LBB1256_721
.LBB1256_689:                           ;   in Loop: Header=BB1256_687 Depth=2
	s_mov_b32 s15, 0
                                        ; implicit-def: $vgpr38_vgpr39
                                        ; implicit-def: $vgpr40_vgpr41
                                        ; implicit-def: $vgpr42_vgpr43
                                        ; implicit-def: $vgpr48_vgpr49
                                        ; implicit-def: $vgpr54_vgpr55
                                        ; implicit-def: $vgpr58_vgpr59
                                        ; implicit-def: $vgpr62_vgpr63
                                        ; implicit-def: $vgpr66_vgpr67
                                        ; implicit-def: $vgpr68_vgpr69
                                        ; implicit-def: $vgpr64_vgpr65
                                        ; implicit-def: $vgpr60_vgpr61
                                        ; implicit-def: $vgpr56_vgpr57
                                        ; implicit-def: $vgpr52_vgpr53
                                        ; implicit-def: $vgpr50_vgpr51
                                        ; implicit-def: $vgpr46_vgpr47
	s_movk_i32 s16, 0x1000
.LBB1256_690:                           ;   in Loop: Header=BB1256_687 Depth=2
	s_wait_loadcnt 0xd
	v_dual_mov_b32 v40, v4 :: v_dual_mov_b32 v41, v5
	s_lshl_b64 s[16:17], s[34:35], 3
	s_mov_b32 s15, exec_lo
	s_wait_alu 0xfffe
	v_add_co_u32 v44, vcc_lo, v145, s16
	s_wait_alu 0xfffd
	v_add_co_ci_u32_e64 v45, null, s17, v146, vcc_lo
	v_dual_mov_b32 v38, v40 :: v_dual_mov_b32 v39, v41
	v_cmpx_gt_u32_e64 s57, v127
	s_cbranch_execz .LBB1256_692
; %bb.691:                              ;   in Loop: Header=BB1256_687 Depth=2
	global_load_b64 v[38:39], v[44:45], off
.LBB1256_692:                           ;   in Loop: Header=BB1256_687 Depth=2
	s_or_b32 exec_lo, exec_lo, s15
	s_delay_alu instid0(SALU_CYCLE_1)
	s_mov_b32 s15, exec_lo
	v_cmpx_gt_u32_e64 s57, v130
	s_cbranch_execz .LBB1256_694
; %bb.693:                              ;   in Loop: Header=BB1256_687 Depth=2
	global_load_b64 v[40:41], v[44:45], off offset:256
.LBB1256_694:                           ;   in Loop: Header=BB1256_687 Depth=2
	s_wait_alu 0xfffe
	s_or_b32 exec_lo, exec_lo, s15
	s_wait_loadcnt 0xc
	v_dual_mov_b32 v43, v5 :: v_dual_mov_b32 v42, v4
	s_mov_b32 s15, exec_lo
	v_cmpx_gt_u32_e64 s57, v131
	s_cbranch_execz .LBB1256_696
; %bb.695:                              ;   in Loop: Header=BB1256_687 Depth=2
	global_load_b64 v[42:43], v[44:45], off offset:512
.LBB1256_696:                           ;   in Loop: Header=BB1256_687 Depth=2
	s_wait_alu 0xfffe
	s_or_b32 exec_lo, exec_lo, s15
	s_wait_loadcnt 0xb
	v_dual_mov_b32 v49, v5 :: v_dual_mov_b32 v48, v4
	;; [unrolled: 10-line block ×13, first 2 shown]
	s_mov_b32 s15, exec_lo
	v_cmpx_gt_u32_e64 s57, v143
	s_cbranch_execz .LBB1256_720
; %bb.719:                              ;   in Loop: Header=BB1256_687 Depth=2
	global_load_b64 v[46:47], v[44:45], off offset:3584
.LBB1256_720:                           ;   in Loop: Header=BB1256_687 Depth=2
	s_wait_alu 0xfffe
	s_or_b32 exec_lo, exec_lo, s15
	v_cmp_gt_u32_e64 s15, s57, v144
	s_sub_co_i32 s16, s51, s34
.LBB1256_721:                           ;   in Loop: Header=BB1256_687 Depth=2
	v_dual_mov_b32 v164, s57 :: v_dual_mov_b32 v45, v5
	v_mov_b32_e32 v44, v4
	s_and_saveexec_b32 s17, s15
	s_cbranch_execz .LBB1256_723
; %bb.722:                              ;   in Loop: Header=BB1256_687 Depth=2
	s_lshl_b64 s[18:19], s[34:35], 3
	s_wait_alu 0xfffe
	v_mov_b32_e32 v164, s16
	v_add_co_u32 v44, vcc_lo, v145, s18
	s_wait_alu 0xfffd
	v_add_co_ci_u32_e64 v45, null, s19, v146, vcc_lo
	global_load_b64 v[44:45], v[44:45], off offset:3840
.LBB1256_723:                           ;   in Loop: Header=BB1256_687 Depth=2
	s_wait_alu 0xfffe
	s_or_b32 exec_lo, exec_lo, s17
	s_wait_loadcnt 0xe
	v_cmp_lt_i64_e32 vcc_lo, -1, v[38:39]
	v_ashrrev_i32_e32 v70, 31, v39
	v_add_nc_u32_e32 v166, 0x420, v103
	v_add_nc_u32_e32 v167, 0x428, v103
	;; [unrolled: 1-line block ×3, first 2 shown]
	s_delay_alu instid0(VALU_DEP_4) | instskip(SKIP_2) | instid1(VALU_DEP_1)
	v_xor_b32_e32 v38, v70, v38
	s_wait_alu 0xfffd
	v_cndmask_b32_e64 v2, -1, 0x80000000, vcc_lo
	v_xor_b32_e32 v39, v2, v39
	s_delay_alu instid0(VALU_DEP_1) | instskip(SKIP_3) | instid1(VALU_DEP_1)
	v_cmp_ne_u64_e32 vcc_lo, s[42:43], v[38:39]
	s_wait_alu 0xfffd
	v_cndmask_b32_e32 v71, 0x80000000, v39, vcc_lo
	v_cndmask_b32_e32 v70, 0, v38, vcc_lo
	v_lshrrev_b64 v[70:71], s31, v[70:71]
	s_delay_alu instid0(VALU_DEP_1) | instskip(NEXT) | instid1(VALU_DEP_1)
	v_and_b32_e32 v71, s56, v70
	v_and_b32_e32 v2, 1, v71
	v_lshlrev_b32_e32 v70, 30, v71
	v_lshlrev_b32_e32 v72, 29, v71
	;; [unrolled: 1-line block ×4, first 2 shown]
	v_add_co_u32 v2, s15, v2, -1
	s_wait_alu 0xf1ff
	v_cndmask_b32_e64 v74, 0, 1, s15
	v_not_b32_e32 v165, v70
	v_cmp_gt_i32_e64 s15, 0, v70
	v_not_b32_e32 v70, v72
	v_lshlrev_b32_e32 v76, 26, v71
	v_cmp_ne_u32_e32 vcc_lo, 0, v74
	v_ashrrev_i32_e32 v165, 31, v165
	v_lshlrev_b32_e32 v77, 25, v71
	v_ashrrev_i32_e32 v70, 31, v70
	v_lshlrev_b32_e32 v74, 24, v71
	s_wait_alu 0xfffd
	v_xor_b32_e32 v2, vcc_lo, v2
	v_cmp_gt_i32_e32 vcc_lo, 0, v72
	v_not_b32_e32 v72, v73
	s_wait_alu 0xf1ff
	v_xor_b32_e32 v165, s15, v165
	v_cmp_gt_i32_e64 s15, 0, v73
	v_and_b32_e32 v2, exec_lo, v2
	v_not_b32_e32 v73, v75
	v_ashrrev_i32_e32 v72, 31, v72
	s_wait_alu 0xfffd
	v_xor_b32_e32 v70, vcc_lo, v70
	v_cmp_gt_i32_e32 vcc_lo, 0, v75
	v_and_b32_e32 v2, v2, v165
	v_not_b32_e32 v75, v76
	v_ashrrev_i32_e32 v73, 31, v73
	s_wait_alu 0xf1ff
	v_xor_b32_e32 v72, s15, v72
	v_cmp_gt_i32_e64 s15, 0, v76
	v_and_b32_e32 v2, v2, v70
	v_not_b32_e32 v70, v77
	v_ashrrev_i32_e32 v75, 31, v75
	s_wait_alu 0xfffd
	v_xor_b32_e32 v73, vcc_lo, v73
	v_cmp_gt_i32_e32 vcc_lo, 0, v77
	v_and_b32_e32 v2, v2, v72
	v_not_b32_e32 v72, v74
	v_ashrrev_i32_e32 v70, 31, v70
	s_wait_alu 0xf1ff
	v_xor_b32_e32 v75, s15, v75
	v_cmp_gt_i32_e64 s15, 0, v74
	v_and_b32_e32 v2, v2, v73
	v_ashrrev_i32_e32 v72, 31, v72
	s_wait_alu 0xfffd
	v_xor_b32_e32 v70, vcc_lo, v70
	v_mul_u32_u24_e32 v71, 36, v71
	v_add_nc_u32_e32 v165, 0x438, v103
	v_and_b32_e32 v2, v2, v75
	s_wait_alu 0xf1ff
	v_xor_b32_e32 v72, s15, v72
	v_add_nc_u32_e32 v169, v147, v71
	ds_store_2addr_b32 v165, v3, v3 offset1:1
	v_and_b32_e32 v2, v2, v70
	ds_store_2addr_b32 v166, v3, v3 offset1:1
	ds_store_2addr_b32 v167, v3, v3 offset1:1
	;; [unrolled: 1-line block ×3, first 2 shown]
	ds_store_b32 v103, v3 offset:1088
	s_wait_loadcnt_dscnt 0x0
	s_barrier_signal -1
	s_barrier_wait -1
	v_and_b32_e32 v70, v2, v72
	global_inv scope:SCOPE_SE
	; wave barrier
	v_mbcnt_lo_u32_b32 v2, v70, 0
	v_cmp_ne_u32_e64 s15, 0, v70
	s_delay_alu instid0(VALU_DEP_2)
	v_cmp_eq_u32_e32 vcc_lo, 0, v2
	s_and_b32 s16, s15, vcc_lo
	s_wait_alu 0xfffe
	s_and_saveexec_b32 s15, s16
; %bb.724:                              ;   in Loop: Header=BB1256_687 Depth=2
	v_bcnt_u32_b32 v70, v70, 0
	ds_store_b32 v169, v70 offset:1056
; %bb.725:                              ;   in Loop: Header=BB1256_687 Depth=2
	s_wait_alu 0xfffe
	s_or_b32 exec_lo, exec_lo, s15
	v_cmp_lt_i64_e32 vcc_lo, -1, v[40:41]
	v_ashrrev_i32_e32 v71, 31, v41
	; wave barrier
	s_delay_alu instid0(VALU_DEP_1) | instskip(SKIP_2) | instid1(VALU_DEP_1)
	v_xor_b32_e32 v40, v71, v40
	s_wait_alu 0xfffd
	v_cndmask_b32_e64 v70, -1, 0x80000000, vcc_lo
	v_xor_b32_e32 v41, v70, v41
	s_delay_alu instid0(VALU_DEP_1) | instskip(SKIP_3) | instid1(VALU_DEP_1)
	v_cmp_ne_u64_e32 vcc_lo, s[42:43], v[40:41]
	s_wait_alu 0xfffd
	v_cndmask_b32_e32 v71, 0x80000000, v41, vcc_lo
	v_cndmask_b32_e32 v70, 0, v40, vcc_lo
	v_lshrrev_b64 v[70:71], s31, v[70:71]
	s_delay_alu instid0(VALU_DEP_1) | instskip(NEXT) | instid1(VALU_DEP_1)
	v_and_b32_e32 v71, s56, v70
	v_and_b32_e32 v70, 1, v71
	v_lshlrev_b32_e32 v72, 30, v71
	v_lshlrev_b32_e32 v73, 29, v71
	;; [unrolled: 1-line block ×4, first 2 shown]
	v_add_co_u32 v70, s15, v70, -1
	s_wait_alu 0xf1ff
	v_cndmask_b32_e64 v75, 0, 1, s15
	v_not_b32_e32 v171, v72
	v_cmp_gt_i32_e64 s15, 0, v72
	v_not_b32_e32 v72, v73
	v_lshlrev_b32_e32 v77, 26, v71
	v_cmp_ne_u32_e32 vcc_lo, 0, v75
	v_ashrrev_i32_e32 v171, 31, v171
	v_lshlrev_b32_e32 v170, 25, v71
	v_ashrrev_i32_e32 v72, 31, v72
	v_lshlrev_b32_e32 v75, 24, v71
	s_wait_alu 0xfffd
	v_xor_b32_e32 v70, vcc_lo, v70
	v_cmp_gt_i32_e32 vcc_lo, 0, v73
	v_not_b32_e32 v73, v74
	s_wait_alu 0xf1ff
	v_xor_b32_e32 v171, s15, v171
	v_cmp_gt_i32_e64 s15, 0, v74
	v_and_b32_e32 v70, exec_lo, v70
	v_not_b32_e32 v74, v76
	v_ashrrev_i32_e32 v73, 31, v73
	s_wait_alu 0xfffd
	v_xor_b32_e32 v72, vcc_lo, v72
	v_cmp_gt_i32_e32 vcc_lo, 0, v76
	v_and_b32_e32 v70, v70, v171
	v_not_b32_e32 v76, v77
	v_ashrrev_i32_e32 v74, 31, v74
	s_wait_alu 0xf1ff
	v_xor_b32_e32 v73, s15, v73
	v_cmp_gt_i32_e64 s15, 0, v77
	v_and_b32_e32 v70, v70, v72
	v_not_b32_e32 v72, v170
	v_ashrrev_i32_e32 v76, 31, v76
	s_wait_alu 0xfffd
	v_xor_b32_e32 v74, vcc_lo, v74
	v_cmp_gt_i32_e32 vcc_lo, 0, v170
	v_and_b32_e32 v70, v70, v73
	v_not_b32_e32 v73, v75
	v_ashrrev_i32_e32 v72, 31, v72
	s_wait_alu 0xf1ff
	v_xor_b32_e32 v76, s15, v76
	v_cmp_gt_i32_e64 s15, 0, v75
	v_and_b32_e32 v70, v70, v74
	v_ashrrev_i32_e32 v73, 31, v73
	s_wait_alu 0xfffd
	v_xor_b32_e32 v72, vcc_lo, v72
	v_mad_u32_u24 v74, v71, 36, v147
	v_mul_u32_u24_e32 v71, 36, v71
	v_and_b32_e32 v70, v70, v76
	s_wait_alu 0xf1ff
	v_xor_b32_e32 v73, s15, v73
	ds_load_b32 v170, v74 offset:1056
	v_add_nc_u32_e32 v172, v147, v71
	v_and_b32_e32 v70, v70, v72
	; wave barrier
	s_delay_alu instid0(VALU_DEP_1) | instskip(NEXT) | instid1(VALU_DEP_1)
	v_and_b32_e32 v70, v70, v73
	v_mbcnt_lo_u32_b32 v171, v70, 0
	v_cmp_ne_u32_e64 s15, 0, v70
	s_delay_alu instid0(VALU_DEP_2)
	v_cmp_eq_u32_e32 vcc_lo, 0, v171
	s_and_b32 s16, s15, vcc_lo
	s_wait_alu 0xfffe
	s_and_saveexec_b32 s15, s16
	s_cbranch_execz .LBB1256_727
; %bb.726:                              ;   in Loop: Header=BB1256_687 Depth=2
	s_wait_dscnt 0x0
	v_bcnt_u32_b32 v70, v70, v170
	ds_store_b32 v172, v70 offset:1056
.LBB1256_727:                           ;   in Loop: Header=BB1256_687 Depth=2
	s_wait_alu 0xfffe
	s_or_b32 exec_lo, exec_lo, s15
	v_cmp_lt_i64_e32 vcc_lo, -1, v[42:43]
	v_ashrrev_i32_e32 v71, 31, v43
	; wave barrier
	s_delay_alu instid0(VALU_DEP_1) | instskip(SKIP_2) | instid1(VALU_DEP_1)
	v_xor_b32_e32 v42, v71, v42
	s_wait_alu 0xfffd
	v_cndmask_b32_e64 v70, -1, 0x80000000, vcc_lo
	v_xor_b32_e32 v43, v70, v43
	s_delay_alu instid0(VALU_DEP_1) | instskip(SKIP_3) | instid1(VALU_DEP_1)
	v_cmp_ne_u64_e32 vcc_lo, s[42:43], v[42:43]
	s_wait_alu 0xfffd
	v_cndmask_b32_e32 v71, 0x80000000, v43, vcc_lo
	v_cndmask_b32_e32 v70, 0, v42, vcc_lo
	v_lshrrev_b64 v[70:71], s31, v[70:71]
	s_delay_alu instid0(VALU_DEP_1) | instskip(NEXT) | instid1(VALU_DEP_1)
	v_and_b32_e32 v71, s56, v70
	v_and_b32_e32 v70, 1, v71
	v_lshlrev_b32_e32 v72, 30, v71
	v_lshlrev_b32_e32 v73, 29, v71
	;; [unrolled: 1-line block ×4, first 2 shown]
	v_add_co_u32 v70, s15, v70, -1
	s_wait_alu 0xf1ff
	v_cndmask_b32_e64 v75, 0, 1, s15
	v_not_b32_e32 v174, v72
	v_cmp_gt_i32_e64 s15, 0, v72
	v_not_b32_e32 v72, v73
	v_lshlrev_b32_e32 v77, 26, v71
	v_cmp_ne_u32_e32 vcc_lo, 0, v75
	v_ashrrev_i32_e32 v174, 31, v174
	v_lshlrev_b32_e32 v173, 25, v71
	v_ashrrev_i32_e32 v72, 31, v72
	v_lshlrev_b32_e32 v75, 24, v71
	s_wait_alu 0xfffd
	v_xor_b32_e32 v70, vcc_lo, v70
	v_cmp_gt_i32_e32 vcc_lo, 0, v73
	v_not_b32_e32 v73, v74
	s_wait_alu 0xf1ff
	v_xor_b32_e32 v174, s15, v174
	v_cmp_gt_i32_e64 s15, 0, v74
	v_and_b32_e32 v70, exec_lo, v70
	v_not_b32_e32 v74, v76
	v_ashrrev_i32_e32 v73, 31, v73
	s_wait_alu 0xfffd
	v_xor_b32_e32 v72, vcc_lo, v72
	v_cmp_gt_i32_e32 vcc_lo, 0, v76
	v_and_b32_e32 v70, v70, v174
	v_not_b32_e32 v76, v77
	v_ashrrev_i32_e32 v74, 31, v74
	s_wait_alu 0xf1ff
	v_xor_b32_e32 v73, s15, v73
	v_cmp_gt_i32_e64 s15, 0, v77
	v_and_b32_e32 v70, v70, v72
	v_not_b32_e32 v72, v173
	v_ashrrev_i32_e32 v76, 31, v76
	s_wait_alu 0xfffd
	v_xor_b32_e32 v74, vcc_lo, v74
	v_cmp_gt_i32_e32 vcc_lo, 0, v173
	v_and_b32_e32 v70, v70, v73
	v_not_b32_e32 v73, v75
	v_ashrrev_i32_e32 v72, 31, v72
	s_wait_alu 0xf1ff
	v_xor_b32_e32 v76, s15, v76
	v_cmp_gt_i32_e64 s15, 0, v75
	v_and_b32_e32 v70, v70, v74
	v_ashrrev_i32_e32 v73, 31, v73
	s_wait_alu 0xfffd
	v_xor_b32_e32 v72, vcc_lo, v72
	v_mad_u32_u24 v74, v71, 36, v147
	v_mul_u32_u24_e32 v71, 36, v71
	v_and_b32_e32 v70, v70, v76
	s_wait_alu 0xf1ff
	v_xor_b32_e32 v73, s15, v73
	ds_load_b32 v173, v74 offset:1056
	v_add_nc_u32_e32 v175, v147, v71
	v_and_b32_e32 v70, v70, v72
	; wave barrier
	s_delay_alu instid0(VALU_DEP_1) | instskip(NEXT) | instid1(VALU_DEP_1)
	v_and_b32_e32 v70, v70, v73
	v_mbcnt_lo_u32_b32 v174, v70, 0
	v_cmp_ne_u32_e64 s15, 0, v70
	s_delay_alu instid0(VALU_DEP_2)
	v_cmp_eq_u32_e32 vcc_lo, 0, v174
	s_and_b32 s16, s15, vcc_lo
	s_wait_alu 0xfffe
	s_and_saveexec_b32 s15, s16
	s_cbranch_execz .LBB1256_729
; %bb.728:                              ;   in Loop: Header=BB1256_687 Depth=2
	s_wait_dscnt 0x0
	v_bcnt_u32_b32 v70, v70, v173
	ds_store_b32 v175, v70 offset:1056
.LBB1256_729:                           ;   in Loop: Header=BB1256_687 Depth=2
	s_wait_alu 0xfffe
	s_or_b32 exec_lo, exec_lo, s15
	v_cmp_lt_i64_e32 vcc_lo, -1, v[48:49]
	v_ashrrev_i32_e32 v71, 31, v49
	; wave barrier
	s_delay_alu instid0(VALU_DEP_1) | instskip(SKIP_2) | instid1(VALU_DEP_1)
	v_xor_b32_e32 v48, v71, v48
	s_wait_alu 0xfffd
	v_cndmask_b32_e64 v70, -1, 0x80000000, vcc_lo
	v_xor_b32_e32 v49, v70, v49
	s_delay_alu instid0(VALU_DEP_1) | instskip(SKIP_3) | instid1(VALU_DEP_1)
	v_cmp_ne_u64_e32 vcc_lo, s[42:43], v[48:49]
	s_wait_alu 0xfffd
	v_cndmask_b32_e32 v71, 0x80000000, v49, vcc_lo
	v_cndmask_b32_e32 v70, 0, v48, vcc_lo
	v_lshrrev_b64 v[70:71], s31, v[70:71]
	s_delay_alu instid0(VALU_DEP_1) | instskip(NEXT) | instid1(VALU_DEP_1)
	v_and_b32_e32 v71, s56, v70
	v_and_b32_e32 v70, 1, v71
	v_lshlrev_b32_e32 v72, 30, v71
	v_lshlrev_b32_e32 v73, 29, v71
	;; [unrolled: 1-line block ×4, first 2 shown]
	v_add_co_u32 v70, s15, v70, -1
	s_wait_alu 0xf1ff
	v_cndmask_b32_e64 v75, 0, 1, s15
	v_not_b32_e32 v177, v72
	v_cmp_gt_i32_e64 s15, 0, v72
	v_not_b32_e32 v72, v73
	v_lshlrev_b32_e32 v77, 26, v71
	v_cmp_ne_u32_e32 vcc_lo, 0, v75
	v_ashrrev_i32_e32 v177, 31, v177
	v_lshlrev_b32_e32 v176, 25, v71
	v_ashrrev_i32_e32 v72, 31, v72
	v_lshlrev_b32_e32 v75, 24, v71
	s_wait_alu 0xfffd
	v_xor_b32_e32 v70, vcc_lo, v70
	v_cmp_gt_i32_e32 vcc_lo, 0, v73
	v_not_b32_e32 v73, v74
	s_wait_alu 0xf1ff
	v_xor_b32_e32 v177, s15, v177
	v_cmp_gt_i32_e64 s15, 0, v74
	v_and_b32_e32 v70, exec_lo, v70
	v_not_b32_e32 v74, v76
	v_ashrrev_i32_e32 v73, 31, v73
	s_wait_alu 0xfffd
	v_xor_b32_e32 v72, vcc_lo, v72
	v_cmp_gt_i32_e32 vcc_lo, 0, v76
	v_and_b32_e32 v70, v70, v177
	v_not_b32_e32 v76, v77
	v_ashrrev_i32_e32 v74, 31, v74
	s_wait_alu 0xf1ff
	v_xor_b32_e32 v73, s15, v73
	v_cmp_gt_i32_e64 s15, 0, v77
	v_and_b32_e32 v70, v70, v72
	v_not_b32_e32 v72, v176
	v_ashrrev_i32_e32 v76, 31, v76
	s_wait_alu 0xfffd
	v_xor_b32_e32 v74, vcc_lo, v74
	v_cmp_gt_i32_e32 vcc_lo, 0, v176
	v_and_b32_e32 v70, v70, v73
	v_not_b32_e32 v73, v75
	v_ashrrev_i32_e32 v72, 31, v72
	s_wait_alu 0xf1ff
	v_xor_b32_e32 v76, s15, v76
	v_cmp_gt_i32_e64 s15, 0, v75
	v_and_b32_e32 v70, v70, v74
	v_ashrrev_i32_e32 v73, 31, v73
	s_wait_alu 0xfffd
	v_xor_b32_e32 v72, vcc_lo, v72
	v_mad_u32_u24 v74, v71, 36, v147
	v_mul_u32_u24_e32 v71, 36, v71
	v_and_b32_e32 v70, v70, v76
	s_wait_alu 0xf1ff
	v_xor_b32_e32 v73, s15, v73
	ds_load_b32 v176, v74 offset:1056
	v_add_nc_u32_e32 v178, v147, v71
	v_and_b32_e32 v70, v70, v72
	; wave barrier
	s_delay_alu instid0(VALU_DEP_1) | instskip(NEXT) | instid1(VALU_DEP_1)
	v_and_b32_e32 v70, v70, v73
	v_mbcnt_lo_u32_b32 v177, v70, 0
	v_cmp_ne_u32_e64 s15, 0, v70
	s_delay_alu instid0(VALU_DEP_2)
	v_cmp_eq_u32_e32 vcc_lo, 0, v177
	s_and_b32 s16, s15, vcc_lo
	s_wait_alu 0xfffe
	s_and_saveexec_b32 s15, s16
	s_cbranch_execz .LBB1256_731
; %bb.730:                              ;   in Loop: Header=BB1256_687 Depth=2
	s_wait_dscnt 0x0
	v_bcnt_u32_b32 v70, v70, v176
	ds_store_b32 v178, v70 offset:1056
.LBB1256_731:                           ;   in Loop: Header=BB1256_687 Depth=2
	s_wait_alu 0xfffe
	s_or_b32 exec_lo, exec_lo, s15
	v_cmp_lt_i64_e32 vcc_lo, -1, v[54:55]
	v_ashrrev_i32_e32 v71, 31, v55
	; wave barrier
	s_delay_alu instid0(VALU_DEP_1) | instskip(SKIP_2) | instid1(VALU_DEP_1)
	v_xor_b32_e32 v54, v71, v54
	s_wait_alu 0xfffd
	v_cndmask_b32_e64 v70, -1, 0x80000000, vcc_lo
	v_xor_b32_e32 v55, v70, v55
	s_delay_alu instid0(VALU_DEP_1) | instskip(SKIP_3) | instid1(VALU_DEP_1)
	v_cmp_ne_u64_e32 vcc_lo, s[42:43], v[54:55]
	s_wait_alu 0xfffd
	v_cndmask_b32_e32 v71, 0x80000000, v55, vcc_lo
	v_cndmask_b32_e32 v70, 0, v54, vcc_lo
	v_lshrrev_b64 v[70:71], s31, v[70:71]
	s_delay_alu instid0(VALU_DEP_1) | instskip(NEXT) | instid1(VALU_DEP_1)
	v_and_b32_e32 v71, s56, v70
	v_and_b32_e32 v70, 1, v71
	v_lshlrev_b32_e32 v72, 30, v71
	v_lshlrev_b32_e32 v73, 29, v71
	v_lshlrev_b32_e32 v74, 28, v71
	v_lshlrev_b32_e32 v76, 27, v71
	v_add_co_u32 v70, s15, v70, -1
	s_wait_alu 0xf1ff
	v_cndmask_b32_e64 v75, 0, 1, s15
	v_not_b32_e32 v180, v72
	v_cmp_gt_i32_e64 s15, 0, v72
	v_not_b32_e32 v72, v73
	v_lshlrev_b32_e32 v77, 26, v71
	v_cmp_ne_u32_e32 vcc_lo, 0, v75
	v_ashrrev_i32_e32 v180, 31, v180
	v_lshlrev_b32_e32 v179, 25, v71
	v_ashrrev_i32_e32 v72, 31, v72
	v_lshlrev_b32_e32 v75, 24, v71
	s_wait_alu 0xfffd
	v_xor_b32_e32 v70, vcc_lo, v70
	v_cmp_gt_i32_e32 vcc_lo, 0, v73
	v_not_b32_e32 v73, v74
	s_wait_alu 0xf1ff
	v_xor_b32_e32 v180, s15, v180
	v_cmp_gt_i32_e64 s15, 0, v74
	v_and_b32_e32 v70, exec_lo, v70
	v_not_b32_e32 v74, v76
	v_ashrrev_i32_e32 v73, 31, v73
	s_wait_alu 0xfffd
	v_xor_b32_e32 v72, vcc_lo, v72
	v_cmp_gt_i32_e32 vcc_lo, 0, v76
	v_and_b32_e32 v70, v70, v180
	v_not_b32_e32 v76, v77
	v_ashrrev_i32_e32 v74, 31, v74
	s_wait_alu 0xf1ff
	v_xor_b32_e32 v73, s15, v73
	v_cmp_gt_i32_e64 s15, 0, v77
	v_and_b32_e32 v70, v70, v72
	v_not_b32_e32 v72, v179
	v_ashrrev_i32_e32 v76, 31, v76
	s_wait_alu 0xfffd
	v_xor_b32_e32 v74, vcc_lo, v74
	v_cmp_gt_i32_e32 vcc_lo, 0, v179
	v_and_b32_e32 v70, v70, v73
	v_not_b32_e32 v73, v75
	v_ashrrev_i32_e32 v72, 31, v72
	s_wait_alu 0xf1ff
	v_xor_b32_e32 v76, s15, v76
	v_cmp_gt_i32_e64 s15, 0, v75
	v_and_b32_e32 v70, v70, v74
	v_ashrrev_i32_e32 v73, 31, v73
	s_wait_alu 0xfffd
	v_xor_b32_e32 v72, vcc_lo, v72
	v_mad_u32_u24 v74, v71, 36, v147
	v_mul_u32_u24_e32 v71, 36, v71
	v_and_b32_e32 v70, v70, v76
	s_wait_alu 0xf1ff
	v_xor_b32_e32 v73, s15, v73
	ds_load_b32 v179, v74 offset:1056
	v_add_nc_u32_e32 v181, v147, v71
	v_and_b32_e32 v70, v70, v72
	; wave barrier
	s_delay_alu instid0(VALU_DEP_1) | instskip(NEXT) | instid1(VALU_DEP_1)
	v_and_b32_e32 v70, v70, v73
	v_mbcnt_lo_u32_b32 v180, v70, 0
	v_cmp_ne_u32_e64 s15, 0, v70
	s_delay_alu instid0(VALU_DEP_2)
	v_cmp_eq_u32_e32 vcc_lo, 0, v180
	s_and_b32 s16, s15, vcc_lo
	s_wait_alu 0xfffe
	s_and_saveexec_b32 s15, s16
	s_cbranch_execz .LBB1256_733
; %bb.732:                              ;   in Loop: Header=BB1256_687 Depth=2
	s_wait_dscnt 0x0
	v_bcnt_u32_b32 v70, v70, v179
	ds_store_b32 v181, v70 offset:1056
.LBB1256_733:                           ;   in Loop: Header=BB1256_687 Depth=2
	s_wait_alu 0xfffe
	s_or_b32 exec_lo, exec_lo, s15
	v_cmp_lt_i64_e32 vcc_lo, -1, v[58:59]
	v_ashrrev_i32_e32 v71, 31, v59
	; wave barrier
	s_delay_alu instid0(VALU_DEP_1) | instskip(SKIP_2) | instid1(VALU_DEP_1)
	v_xor_b32_e32 v58, v71, v58
	s_wait_alu 0xfffd
	v_cndmask_b32_e64 v70, -1, 0x80000000, vcc_lo
	v_xor_b32_e32 v59, v70, v59
	s_delay_alu instid0(VALU_DEP_1) | instskip(SKIP_3) | instid1(VALU_DEP_1)
	v_cmp_ne_u64_e32 vcc_lo, s[42:43], v[58:59]
	s_wait_alu 0xfffd
	v_cndmask_b32_e32 v71, 0x80000000, v59, vcc_lo
	v_cndmask_b32_e32 v70, 0, v58, vcc_lo
	v_lshrrev_b64 v[70:71], s31, v[70:71]
	s_delay_alu instid0(VALU_DEP_1) | instskip(NEXT) | instid1(VALU_DEP_1)
	v_and_b32_e32 v71, s56, v70
	v_and_b32_e32 v70, 1, v71
	v_lshlrev_b32_e32 v72, 30, v71
	v_lshlrev_b32_e32 v73, 29, v71
	;; [unrolled: 1-line block ×4, first 2 shown]
	v_add_co_u32 v70, s15, v70, -1
	s_wait_alu 0xf1ff
	v_cndmask_b32_e64 v75, 0, 1, s15
	v_not_b32_e32 v183, v72
	v_cmp_gt_i32_e64 s15, 0, v72
	v_not_b32_e32 v72, v73
	v_lshlrev_b32_e32 v77, 26, v71
	v_cmp_ne_u32_e32 vcc_lo, 0, v75
	v_ashrrev_i32_e32 v183, 31, v183
	v_lshlrev_b32_e32 v182, 25, v71
	v_ashrrev_i32_e32 v72, 31, v72
	v_lshlrev_b32_e32 v75, 24, v71
	s_wait_alu 0xfffd
	v_xor_b32_e32 v70, vcc_lo, v70
	v_cmp_gt_i32_e32 vcc_lo, 0, v73
	v_not_b32_e32 v73, v74
	s_wait_alu 0xf1ff
	v_xor_b32_e32 v183, s15, v183
	v_cmp_gt_i32_e64 s15, 0, v74
	v_and_b32_e32 v70, exec_lo, v70
	v_not_b32_e32 v74, v76
	v_ashrrev_i32_e32 v73, 31, v73
	s_wait_alu 0xfffd
	v_xor_b32_e32 v72, vcc_lo, v72
	v_cmp_gt_i32_e32 vcc_lo, 0, v76
	v_and_b32_e32 v70, v70, v183
	v_not_b32_e32 v76, v77
	v_ashrrev_i32_e32 v74, 31, v74
	s_wait_alu 0xf1ff
	v_xor_b32_e32 v73, s15, v73
	v_cmp_gt_i32_e64 s15, 0, v77
	v_and_b32_e32 v70, v70, v72
	v_not_b32_e32 v72, v182
	v_ashrrev_i32_e32 v76, 31, v76
	s_wait_alu 0xfffd
	v_xor_b32_e32 v74, vcc_lo, v74
	v_cmp_gt_i32_e32 vcc_lo, 0, v182
	v_and_b32_e32 v70, v70, v73
	v_not_b32_e32 v73, v75
	v_ashrrev_i32_e32 v72, 31, v72
	s_wait_alu 0xf1ff
	v_xor_b32_e32 v76, s15, v76
	v_cmp_gt_i32_e64 s15, 0, v75
	v_and_b32_e32 v70, v70, v74
	v_ashrrev_i32_e32 v73, 31, v73
	s_wait_alu 0xfffd
	v_xor_b32_e32 v72, vcc_lo, v72
	v_mad_u32_u24 v74, v71, 36, v147
	v_mul_u32_u24_e32 v71, 36, v71
	v_and_b32_e32 v70, v70, v76
	s_wait_alu 0xf1ff
	v_xor_b32_e32 v73, s15, v73
	ds_load_b32 v182, v74 offset:1056
	v_add_nc_u32_e32 v184, v147, v71
	v_and_b32_e32 v70, v70, v72
	; wave barrier
	s_delay_alu instid0(VALU_DEP_1) | instskip(NEXT) | instid1(VALU_DEP_1)
	v_and_b32_e32 v70, v70, v73
	v_mbcnt_lo_u32_b32 v183, v70, 0
	v_cmp_ne_u32_e64 s15, 0, v70
	s_delay_alu instid0(VALU_DEP_2)
	v_cmp_eq_u32_e32 vcc_lo, 0, v183
	s_and_b32 s16, s15, vcc_lo
	s_wait_alu 0xfffe
	s_and_saveexec_b32 s15, s16
	s_cbranch_execz .LBB1256_735
; %bb.734:                              ;   in Loop: Header=BB1256_687 Depth=2
	s_wait_dscnt 0x0
	v_bcnt_u32_b32 v70, v70, v182
	ds_store_b32 v184, v70 offset:1056
.LBB1256_735:                           ;   in Loop: Header=BB1256_687 Depth=2
	s_wait_alu 0xfffe
	s_or_b32 exec_lo, exec_lo, s15
	v_cmp_lt_i64_e32 vcc_lo, -1, v[62:63]
	v_ashrrev_i32_e32 v71, 31, v63
	; wave barrier
	s_delay_alu instid0(VALU_DEP_1) | instskip(SKIP_2) | instid1(VALU_DEP_1)
	v_xor_b32_e32 v62, v71, v62
	s_wait_alu 0xfffd
	v_cndmask_b32_e64 v70, -1, 0x80000000, vcc_lo
	v_xor_b32_e32 v63, v70, v63
	s_delay_alu instid0(VALU_DEP_1) | instskip(SKIP_3) | instid1(VALU_DEP_1)
	v_cmp_ne_u64_e32 vcc_lo, s[42:43], v[62:63]
	s_wait_alu 0xfffd
	v_cndmask_b32_e32 v71, 0x80000000, v63, vcc_lo
	v_cndmask_b32_e32 v70, 0, v62, vcc_lo
	v_lshrrev_b64 v[70:71], s31, v[70:71]
	s_delay_alu instid0(VALU_DEP_1) | instskip(NEXT) | instid1(VALU_DEP_1)
	v_and_b32_e32 v71, s56, v70
	v_and_b32_e32 v70, 1, v71
	v_lshlrev_b32_e32 v72, 30, v71
	v_lshlrev_b32_e32 v73, 29, v71
	;; [unrolled: 1-line block ×4, first 2 shown]
	v_add_co_u32 v70, s15, v70, -1
	s_wait_alu 0xf1ff
	v_cndmask_b32_e64 v75, 0, 1, s15
	v_not_b32_e32 v186, v72
	v_cmp_gt_i32_e64 s15, 0, v72
	v_not_b32_e32 v72, v73
	v_lshlrev_b32_e32 v77, 26, v71
	v_cmp_ne_u32_e32 vcc_lo, 0, v75
	v_ashrrev_i32_e32 v186, 31, v186
	v_lshlrev_b32_e32 v185, 25, v71
	v_ashrrev_i32_e32 v72, 31, v72
	v_lshlrev_b32_e32 v75, 24, v71
	s_wait_alu 0xfffd
	v_xor_b32_e32 v70, vcc_lo, v70
	v_cmp_gt_i32_e32 vcc_lo, 0, v73
	v_not_b32_e32 v73, v74
	s_wait_alu 0xf1ff
	v_xor_b32_e32 v186, s15, v186
	v_cmp_gt_i32_e64 s15, 0, v74
	v_and_b32_e32 v70, exec_lo, v70
	v_not_b32_e32 v74, v76
	v_ashrrev_i32_e32 v73, 31, v73
	s_wait_alu 0xfffd
	v_xor_b32_e32 v72, vcc_lo, v72
	v_cmp_gt_i32_e32 vcc_lo, 0, v76
	v_and_b32_e32 v70, v70, v186
	v_not_b32_e32 v76, v77
	v_ashrrev_i32_e32 v74, 31, v74
	s_wait_alu 0xf1ff
	v_xor_b32_e32 v73, s15, v73
	v_cmp_gt_i32_e64 s15, 0, v77
	v_and_b32_e32 v70, v70, v72
	v_not_b32_e32 v72, v185
	v_ashrrev_i32_e32 v76, 31, v76
	s_wait_alu 0xfffd
	v_xor_b32_e32 v74, vcc_lo, v74
	v_cmp_gt_i32_e32 vcc_lo, 0, v185
	v_and_b32_e32 v70, v70, v73
	v_not_b32_e32 v73, v75
	v_ashrrev_i32_e32 v72, 31, v72
	s_wait_alu 0xf1ff
	v_xor_b32_e32 v76, s15, v76
	v_cmp_gt_i32_e64 s15, 0, v75
	v_and_b32_e32 v70, v70, v74
	v_ashrrev_i32_e32 v73, 31, v73
	s_wait_alu 0xfffd
	v_xor_b32_e32 v72, vcc_lo, v72
	v_mad_u32_u24 v74, v71, 36, v147
	v_mul_u32_u24_e32 v71, 36, v71
	v_and_b32_e32 v70, v70, v76
	s_wait_alu 0xf1ff
	v_xor_b32_e32 v73, s15, v73
	ds_load_b32 v185, v74 offset:1056
	v_add_nc_u32_e32 v187, v147, v71
	v_and_b32_e32 v70, v70, v72
	; wave barrier
	s_delay_alu instid0(VALU_DEP_1) | instskip(NEXT) | instid1(VALU_DEP_1)
	v_and_b32_e32 v70, v70, v73
	v_mbcnt_lo_u32_b32 v186, v70, 0
	v_cmp_ne_u32_e64 s15, 0, v70
	s_delay_alu instid0(VALU_DEP_2)
	v_cmp_eq_u32_e32 vcc_lo, 0, v186
	s_and_b32 s16, s15, vcc_lo
	s_wait_alu 0xfffe
	s_and_saveexec_b32 s15, s16
	s_cbranch_execz .LBB1256_737
; %bb.736:                              ;   in Loop: Header=BB1256_687 Depth=2
	s_wait_dscnt 0x0
	v_bcnt_u32_b32 v70, v70, v185
	ds_store_b32 v187, v70 offset:1056
.LBB1256_737:                           ;   in Loop: Header=BB1256_687 Depth=2
	s_wait_alu 0xfffe
	s_or_b32 exec_lo, exec_lo, s15
	v_cmp_lt_i64_e32 vcc_lo, -1, v[66:67]
	v_ashrrev_i32_e32 v71, 31, v67
	; wave barrier
	s_delay_alu instid0(VALU_DEP_1) | instskip(SKIP_2) | instid1(VALU_DEP_1)
	v_xor_b32_e32 v66, v71, v66
	s_wait_alu 0xfffd
	v_cndmask_b32_e64 v70, -1, 0x80000000, vcc_lo
	v_xor_b32_e32 v67, v70, v67
	s_delay_alu instid0(VALU_DEP_1) | instskip(SKIP_3) | instid1(VALU_DEP_1)
	v_cmp_ne_u64_e32 vcc_lo, s[42:43], v[66:67]
	s_wait_alu 0xfffd
	v_cndmask_b32_e32 v71, 0x80000000, v67, vcc_lo
	v_cndmask_b32_e32 v70, 0, v66, vcc_lo
	v_lshrrev_b64 v[70:71], s31, v[70:71]
	s_delay_alu instid0(VALU_DEP_1) | instskip(NEXT) | instid1(VALU_DEP_1)
	v_and_b32_e32 v71, s56, v70
	v_and_b32_e32 v70, 1, v71
	v_lshlrev_b32_e32 v72, 30, v71
	v_lshlrev_b32_e32 v73, 29, v71
	;; [unrolled: 1-line block ×4, first 2 shown]
	v_add_co_u32 v70, s15, v70, -1
	s_wait_alu 0xf1ff
	v_cndmask_b32_e64 v75, 0, 1, s15
	v_not_b32_e32 v189, v72
	v_cmp_gt_i32_e64 s15, 0, v72
	v_not_b32_e32 v72, v73
	v_lshlrev_b32_e32 v77, 26, v71
	v_cmp_ne_u32_e32 vcc_lo, 0, v75
	v_ashrrev_i32_e32 v189, 31, v189
	v_lshlrev_b32_e32 v188, 25, v71
	v_ashrrev_i32_e32 v72, 31, v72
	v_lshlrev_b32_e32 v75, 24, v71
	s_wait_alu 0xfffd
	v_xor_b32_e32 v70, vcc_lo, v70
	v_cmp_gt_i32_e32 vcc_lo, 0, v73
	v_not_b32_e32 v73, v74
	s_wait_alu 0xf1ff
	v_xor_b32_e32 v189, s15, v189
	v_cmp_gt_i32_e64 s15, 0, v74
	v_and_b32_e32 v70, exec_lo, v70
	v_not_b32_e32 v74, v76
	v_ashrrev_i32_e32 v73, 31, v73
	s_wait_alu 0xfffd
	v_xor_b32_e32 v72, vcc_lo, v72
	v_cmp_gt_i32_e32 vcc_lo, 0, v76
	v_and_b32_e32 v70, v70, v189
	v_not_b32_e32 v76, v77
	v_ashrrev_i32_e32 v74, 31, v74
	s_wait_alu 0xf1ff
	v_xor_b32_e32 v73, s15, v73
	v_cmp_gt_i32_e64 s15, 0, v77
	v_and_b32_e32 v70, v70, v72
	v_not_b32_e32 v72, v188
	v_ashrrev_i32_e32 v76, 31, v76
	s_wait_alu 0xfffd
	v_xor_b32_e32 v74, vcc_lo, v74
	v_cmp_gt_i32_e32 vcc_lo, 0, v188
	v_and_b32_e32 v70, v70, v73
	v_not_b32_e32 v73, v75
	v_ashrrev_i32_e32 v72, 31, v72
	s_wait_alu 0xf1ff
	v_xor_b32_e32 v76, s15, v76
	v_cmp_gt_i32_e64 s15, 0, v75
	v_and_b32_e32 v70, v70, v74
	v_ashrrev_i32_e32 v73, 31, v73
	s_wait_alu 0xfffd
	v_xor_b32_e32 v72, vcc_lo, v72
	v_mad_u32_u24 v74, v71, 36, v147
	v_mul_u32_u24_e32 v71, 36, v71
	v_and_b32_e32 v70, v70, v76
	s_wait_alu 0xf1ff
	v_xor_b32_e32 v73, s15, v73
	ds_load_b32 v188, v74 offset:1056
	v_add_nc_u32_e32 v190, v147, v71
	v_and_b32_e32 v70, v70, v72
	; wave barrier
	s_delay_alu instid0(VALU_DEP_1) | instskip(NEXT) | instid1(VALU_DEP_1)
	v_and_b32_e32 v70, v70, v73
	v_mbcnt_lo_u32_b32 v189, v70, 0
	v_cmp_ne_u32_e64 s15, 0, v70
	s_delay_alu instid0(VALU_DEP_2)
	v_cmp_eq_u32_e32 vcc_lo, 0, v189
	s_and_b32 s16, s15, vcc_lo
	s_wait_alu 0xfffe
	s_and_saveexec_b32 s15, s16
	s_cbranch_execz .LBB1256_739
; %bb.738:                              ;   in Loop: Header=BB1256_687 Depth=2
	s_wait_dscnt 0x0
	v_bcnt_u32_b32 v70, v70, v188
	ds_store_b32 v190, v70 offset:1056
.LBB1256_739:                           ;   in Loop: Header=BB1256_687 Depth=2
	s_wait_alu 0xfffe
	s_or_b32 exec_lo, exec_lo, s15
	v_cmp_lt_i64_e32 vcc_lo, -1, v[68:69]
	v_ashrrev_i32_e32 v71, 31, v69
	; wave barrier
	s_delay_alu instid0(VALU_DEP_1) | instskip(SKIP_2) | instid1(VALU_DEP_1)
	v_xor_b32_e32 v68, v71, v68
	s_wait_alu 0xfffd
	v_cndmask_b32_e64 v70, -1, 0x80000000, vcc_lo
	v_xor_b32_e32 v69, v70, v69
	s_delay_alu instid0(VALU_DEP_1) | instskip(SKIP_3) | instid1(VALU_DEP_1)
	v_cmp_ne_u64_e32 vcc_lo, s[42:43], v[68:69]
	s_wait_alu 0xfffd
	v_cndmask_b32_e32 v71, 0x80000000, v69, vcc_lo
	v_cndmask_b32_e32 v70, 0, v68, vcc_lo
	v_lshrrev_b64 v[70:71], s31, v[70:71]
	s_delay_alu instid0(VALU_DEP_1) | instskip(NEXT) | instid1(VALU_DEP_1)
	v_and_b32_e32 v71, s56, v70
	v_and_b32_e32 v70, 1, v71
	v_lshlrev_b32_e32 v72, 30, v71
	v_lshlrev_b32_e32 v73, 29, v71
	;; [unrolled: 1-line block ×4, first 2 shown]
	v_add_co_u32 v70, s15, v70, -1
	s_wait_alu 0xf1ff
	v_cndmask_b32_e64 v75, 0, 1, s15
	v_not_b32_e32 v192, v72
	v_cmp_gt_i32_e64 s15, 0, v72
	v_not_b32_e32 v72, v73
	v_lshlrev_b32_e32 v77, 26, v71
	v_cmp_ne_u32_e32 vcc_lo, 0, v75
	v_ashrrev_i32_e32 v192, 31, v192
	v_lshlrev_b32_e32 v191, 25, v71
	v_ashrrev_i32_e32 v72, 31, v72
	v_lshlrev_b32_e32 v75, 24, v71
	s_wait_alu 0xfffd
	v_xor_b32_e32 v70, vcc_lo, v70
	v_cmp_gt_i32_e32 vcc_lo, 0, v73
	v_not_b32_e32 v73, v74
	s_wait_alu 0xf1ff
	v_xor_b32_e32 v192, s15, v192
	v_cmp_gt_i32_e64 s15, 0, v74
	v_and_b32_e32 v70, exec_lo, v70
	v_not_b32_e32 v74, v76
	v_ashrrev_i32_e32 v73, 31, v73
	s_wait_alu 0xfffd
	v_xor_b32_e32 v72, vcc_lo, v72
	v_cmp_gt_i32_e32 vcc_lo, 0, v76
	v_and_b32_e32 v70, v70, v192
	v_not_b32_e32 v76, v77
	v_ashrrev_i32_e32 v74, 31, v74
	s_wait_alu 0xf1ff
	v_xor_b32_e32 v73, s15, v73
	v_cmp_gt_i32_e64 s15, 0, v77
	v_and_b32_e32 v70, v70, v72
	v_not_b32_e32 v72, v191
	v_ashrrev_i32_e32 v76, 31, v76
	s_wait_alu 0xfffd
	v_xor_b32_e32 v74, vcc_lo, v74
	v_cmp_gt_i32_e32 vcc_lo, 0, v191
	v_and_b32_e32 v70, v70, v73
	v_not_b32_e32 v73, v75
	v_ashrrev_i32_e32 v72, 31, v72
	s_wait_alu 0xf1ff
	v_xor_b32_e32 v76, s15, v76
	v_cmp_gt_i32_e64 s15, 0, v75
	v_and_b32_e32 v70, v70, v74
	v_ashrrev_i32_e32 v73, 31, v73
	s_wait_alu 0xfffd
	v_xor_b32_e32 v72, vcc_lo, v72
	v_mad_u32_u24 v74, v71, 36, v147
	v_mul_u32_u24_e32 v71, 36, v71
	v_and_b32_e32 v70, v70, v76
	s_wait_alu 0xf1ff
	v_xor_b32_e32 v73, s15, v73
	ds_load_b32 v191, v74 offset:1056
	v_add_nc_u32_e32 v193, v147, v71
	v_and_b32_e32 v70, v70, v72
	; wave barrier
	s_delay_alu instid0(VALU_DEP_1) | instskip(NEXT) | instid1(VALU_DEP_1)
	v_and_b32_e32 v70, v70, v73
	v_mbcnt_lo_u32_b32 v192, v70, 0
	v_cmp_ne_u32_e64 s15, 0, v70
	s_delay_alu instid0(VALU_DEP_2)
	v_cmp_eq_u32_e32 vcc_lo, 0, v192
	s_and_b32 s16, s15, vcc_lo
	s_wait_alu 0xfffe
	s_and_saveexec_b32 s15, s16
	s_cbranch_execz .LBB1256_741
; %bb.740:                              ;   in Loop: Header=BB1256_687 Depth=2
	s_wait_dscnt 0x0
	v_bcnt_u32_b32 v70, v70, v191
	ds_store_b32 v193, v70 offset:1056
.LBB1256_741:                           ;   in Loop: Header=BB1256_687 Depth=2
	s_wait_alu 0xfffe
	s_or_b32 exec_lo, exec_lo, s15
	v_cmp_lt_i64_e32 vcc_lo, -1, v[64:65]
	v_ashrrev_i32_e32 v71, 31, v65
	; wave barrier
	s_delay_alu instid0(VALU_DEP_1) | instskip(SKIP_2) | instid1(VALU_DEP_1)
	v_xor_b32_e32 v64, v71, v64
	s_wait_alu 0xfffd
	v_cndmask_b32_e64 v70, -1, 0x80000000, vcc_lo
	v_xor_b32_e32 v65, v70, v65
	s_delay_alu instid0(VALU_DEP_1) | instskip(SKIP_3) | instid1(VALU_DEP_1)
	v_cmp_ne_u64_e32 vcc_lo, s[42:43], v[64:65]
	s_wait_alu 0xfffd
	v_cndmask_b32_e32 v71, 0x80000000, v65, vcc_lo
	v_cndmask_b32_e32 v70, 0, v64, vcc_lo
	v_lshrrev_b64 v[70:71], s31, v[70:71]
	s_delay_alu instid0(VALU_DEP_1) | instskip(NEXT) | instid1(VALU_DEP_1)
	v_and_b32_e32 v71, s56, v70
	v_and_b32_e32 v70, 1, v71
	v_lshlrev_b32_e32 v72, 30, v71
	v_lshlrev_b32_e32 v73, 29, v71
	;; [unrolled: 1-line block ×4, first 2 shown]
	v_add_co_u32 v70, s15, v70, -1
	s_wait_alu 0xf1ff
	v_cndmask_b32_e64 v75, 0, 1, s15
	v_not_b32_e32 v195, v72
	v_cmp_gt_i32_e64 s15, 0, v72
	v_not_b32_e32 v72, v73
	v_lshlrev_b32_e32 v77, 26, v71
	v_cmp_ne_u32_e32 vcc_lo, 0, v75
	v_ashrrev_i32_e32 v195, 31, v195
	v_lshlrev_b32_e32 v194, 25, v71
	v_ashrrev_i32_e32 v72, 31, v72
	v_lshlrev_b32_e32 v75, 24, v71
	s_wait_alu 0xfffd
	v_xor_b32_e32 v70, vcc_lo, v70
	v_cmp_gt_i32_e32 vcc_lo, 0, v73
	v_not_b32_e32 v73, v74
	s_wait_alu 0xf1ff
	v_xor_b32_e32 v195, s15, v195
	v_cmp_gt_i32_e64 s15, 0, v74
	v_and_b32_e32 v70, exec_lo, v70
	v_not_b32_e32 v74, v76
	v_ashrrev_i32_e32 v73, 31, v73
	s_wait_alu 0xfffd
	v_xor_b32_e32 v72, vcc_lo, v72
	v_cmp_gt_i32_e32 vcc_lo, 0, v76
	v_and_b32_e32 v70, v70, v195
	v_not_b32_e32 v76, v77
	v_ashrrev_i32_e32 v74, 31, v74
	s_wait_alu 0xf1ff
	v_xor_b32_e32 v73, s15, v73
	v_cmp_gt_i32_e64 s15, 0, v77
	v_and_b32_e32 v70, v70, v72
	v_not_b32_e32 v72, v194
	v_ashrrev_i32_e32 v76, 31, v76
	s_wait_alu 0xfffd
	v_xor_b32_e32 v74, vcc_lo, v74
	v_cmp_gt_i32_e32 vcc_lo, 0, v194
	v_and_b32_e32 v70, v70, v73
	v_not_b32_e32 v73, v75
	v_ashrrev_i32_e32 v72, 31, v72
	s_wait_alu 0xf1ff
	v_xor_b32_e32 v76, s15, v76
	v_cmp_gt_i32_e64 s15, 0, v75
	v_and_b32_e32 v70, v70, v74
	v_ashrrev_i32_e32 v73, 31, v73
	s_wait_alu 0xfffd
	v_xor_b32_e32 v72, vcc_lo, v72
	v_mad_u32_u24 v74, v71, 36, v147
	v_mul_u32_u24_e32 v71, 36, v71
	v_and_b32_e32 v70, v70, v76
	s_wait_alu 0xf1ff
	v_xor_b32_e32 v73, s15, v73
	ds_load_b32 v194, v74 offset:1056
	v_add_nc_u32_e32 v196, v147, v71
	v_and_b32_e32 v70, v70, v72
	; wave barrier
	s_delay_alu instid0(VALU_DEP_1) | instskip(NEXT) | instid1(VALU_DEP_1)
	v_and_b32_e32 v70, v70, v73
	v_mbcnt_lo_u32_b32 v195, v70, 0
	v_cmp_ne_u32_e64 s15, 0, v70
	s_delay_alu instid0(VALU_DEP_2)
	v_cmp_eq_u32_e32 vcc_lo, 0, v195
	s_and_b32 s16, s15, vcc_lo
	s_wait_alu 0xfffe
	s_and_saveexec_b32 s15, s16
	s_cbranch_execz .LBB1256_743
; %bb.742:                              ;   in Loop: Header=BB1256_687 Depth=2
	s_wait_dscnt 0x0
	v_bcnt_u32_b32 v70, v70, v194
	ds_store_b32 v196, v70 offset:1056
.LBB1256_743:                           ;   in Loop: Header=BB1256_687 Depth=2
	s_wait_alu 0xfffe
	s_or_b32 exec_lo, exec_lo, s15
	v_cmp_lt_i64_e32 vcc_lo, -1, v[60:61]
	v_ashrrev_i32_e32 v71, 31, v61
	; wave barrier
	s_delay_alu instid0(VALU_DEP_1) | instskip(SKIP_2) | instid1(VALU_DEP_1)
	v_xor_b32_e32 v60, v71, v60
	s_wait_alu 0xfffd
	v_cndmask_b32_e64 v70, -1, 0x80000000, vcc_lo
	v_xor_b32_e32 v61, v70, v61
	s_delay_alu instid0(VALU_DEP_1) | instskip(SKIP_3) | instid1(VALU_DEP_1)
	v_cmp_ne_u64_e32 vcc_lo, s[42:43], v[60:61]
	s_wait_alu 0xfffd
	v_cndmask_b32_e32 v71, 0x80000000, v61, vcc_lo
	v_cndmask_b32_e32 v70, 0, v60, vcc_lo
	v_lshrrev_b64 v[70:71], s31, v[70:71]
	s_delay_alu instid0(VALU_DEP_1) | instskip(NEXT) | instid1(VALU_DEP_1)
	v_and_b32_e32 v71, s56, v70
	v_and_b32_e32 v70, 1, v71
	v_lshlrev_b32_e32 v72, 30, v71
	v_lshlrev_b32_e32 v73, 29, v71
	;; [unrolled: 1-line block ×4, first 2 shown]
	v_add_co_u32 v70, s15, v70, -1
	s_wait_alu 0xf1ff
	v_cndmask_b32_e64 v75, 0, 1, s15
	v_not_b32_e32 v198, v72
	v_cmp_gt_i32_e64 s15, 0, v72
	v_not_b32_e32 v72, v73
	v_lshlrev_b32_e32 v77, 26, v71
	v_cmp_ne_u32_e32 vcc_lo, 0, v75
	v_ashrrev_i32_e32 v198, 31, v198
	v_lshlrev_b32_e32 v197, 25, v71
	v_ashrrev_i32_e32 v72, 31, v72
	v_lshlrev_b32_e32 v75, 24, v71
	s_wait_alu 0xfffd
	v_xor_b32_e32 v70, vcc_lo, v70
	v_cmp_gt_i32_e32 vcc_lo, 0, v73
	v_not_b32_e32 v73, v74
	s_wait_alu 0xf1ff
	v_xor_b32_e32 v198, s15, v198
	v_cmp_gt_i32_e64 s15, 0, v74
	v_and_b32_e32 v70, exec_lo, v70
	v_not_b32_e32 v74, v76
	v_ashrrev_i32_e32 v73, 31, v73
	s_wait_alu 0xfffd
	v_xor_b32_e32 v72, vcc_lo, v72
	v_cmp_gt_i32_e32 vcc_lo, 0, v76
	v_and_b32_e32 v70, v70, v198
	v_not_b32_e32 v76, v77
	v_ashrrev_i32_e32 v74, 31, v74
	s_wait_alu 0xf1ff
	v_xor_b32_e32 v73, s15, v73
	v_cmp_gt_i32_e64 s15, 0, v77
	v_and_b32_e32 v70, v70, v72
	v_not_b32_e32 v72, v197
	v_ashrrev_i32_e32 v76, 31, v76
	s_wait_alu 0xfffd
	v_xor_b32_e32 v74, vcc_lo, v74
	v_cmp_gt_i32_e32 vcc_lo, 0, v197
	v_and_b32_e32 v70, v70, v73
	v_not_b32_e32 v73, v75
	v_ashrrev_i32_e32 v72, 31, v72
	s_wait_alu 0xf1ff
	v_xor_b32_e32 v76, s15, v76
	v_cmp_gt_i32_e64 s15, 0, v75
	v_and_b32_e32 v70, v70, v74
	v_ashrrev_i32_e32 v73, 31, v73
	s_wait_alu 0xfffd
	v_xor_b32_e32 v72, vcc_lo, v72
	v_mad_u32_u24 v74, v71, 36, v147
	v_mul_u32_u24_e32 v71, 36, v71
	v_and_b32_e32 v70, v70, v76
	s_wait_alu 0xf1ff
	v_xor_b32_e32 v73, s15, v73
	ds_load_b32 v197, v74 offset:1056
	v_add_nc_u32_e32 v199, v147, v71
	v_and_b32_e32 v70, v70, v72
	; wave barrier
	s_delay_alu instid0(VALU_DEP_1) | instskip(NEXT) | instid1(VALU_DEP_1)
	v_and_b32_e32 v70, v70, v73
	v_mbcnt_lo_u32_b32 v198, v70, 0
	v_cmp_ne_u32_e64 s15, 0, v70
	s_delay_alu instid0(VALU_DEP_2)
	v_cmp_eq_u32_e32 vcc_lo, 0, v198
	s_and_b32 s16, s15, vcc_lo
	s_wait_alu 0xfffe
	s_and_saveexec_b32 s15, s16
	s_cbranch_execz .LBB1256_745
; %bb.744:                              ;   in Loop: Header=BB1256_687 Depth=2
	s_wait_dscnt 0x0
	v_bcnt_u32_b32 v70, v70, v197
	ds_store_b32 v199, v70 offset:1056
.LBB1256_745:                           ;   in Loop: Header=BB1256_687 Depth=2
	s_wait_alu 0xfffe
	s_or_b32 exec_lo, exec_lo, s15
	v_cmp_lt_i64_e32 vcc_lo, -1, v[56:57]
	v_ashrrev_i32_e32 v71, 31, v57
	; wave barrier
	s_delay_alu instid0(VALU_DEP_1) | instskip(SKIP_2) | instid1(VALU_DEP_1)
	v_xor_b32_e32 v56, v71, v56
	s_wait_alu 0xfffd
	v_cndmask_b32_e64 v70, -1, 0x80000000, vcc_lo
	v_xor_b32_e32 v57, v70, v57
	s_delay_alu instid0(VALU_DEP_1) | instskip(SKIP_3) | instid1(VALU_DEP_1)
	v_cmp_ne_u64_e32 vcc_lo, s[42:43], v[56:57]
	s_wait_alu 0xfffd
	v_cndmask_b32_e32 v71, 0x80000000, v57, vcc_lo
	v_cndmask_b32_e32 v70, 0, v56, vcc_lo
	v_lshrrev_b64 v[70:71], s31, v[70:71]
	s_delay_alu instid0(VALU_DEP_1) | instskip(NEXT) | instid1(VALU_DEP_1)
	v_and_b32_e32 v71, s56, v70
	v_and_b32_e32 v70, 1, v71
	v_lshlrev_b32_e32 v72, 30, v71
	v_lshlrev_b32_e32 v73, 29, v71
	;; [unrolled: 1-line block ×4, first 2 shown]
	v_add_co_u32 v70, s15, v70, -1
	s_wait_alu 0xf1ff
	v_cndmask_b32_e64 v75, 0, 1, s15
	v_not_b32_e32 v201, v72
	v_cmp_gt_i32_e64 s15, 0, v72
	v_not_b32_e32 v72, v73
	v_lshlrev_b32_e32 v77, 26, v71
	v_cmp_ne_u32_e32 vcc_lo, 0, v75
	v_ashrrev_i32_e32 v201, 31, v201
	v_lshlrev_b32_e32 v200, 25, v71
	v_ashrrev_i32_e32 v72, 31, v72
	v_lshlrev_b32_e32 v75, 24, v71
	s_wait_alu 0xfffd
	v_xor_b32_e32 v70, vcc_lo, v70
	v_cmp_gt_i32_e32 vcc_lo, 0, v73
	v_not_b32_e32 v73, v74
	s_wait_alu 0xf1ff
	v_xor_b32_e32 v201, s15, v201
	v_cmp_gt_i32_e64 s15, 0, v74
	v_and_b32_e32 v70, exec_lo, v70
	v_not_b32_e32 v74, v76
	v_ashrrev_i32_e32 v73, 31, v73
	s_wait_alu 0xfffd
	v_xor_b32_e32 v72, vcc_lo, v72
	v_cmp_gt_i32_e32 vcc_lo, 0, v76
	v_and_b32_e32 v70, v70, v201
	v_not_b32_e32 v76, v77
	v_ashrrev_i32_e32 v74, 31, v74
	s_wait_alu 0xf1ff
	v_xor_b32_e32 v73, s15, v73
	v_cmp_gt_i32_e64 s15, 0, v77
	v_and_b32_e32 v70, v70, v72
	v_not_b32_e32 v72, v200
	v_ashrrev_i32_e32 v76, 31, v76
	s_wait_alu 0xfffd
	v_xor_b32_e32 v74, vcc_lo, v74
	v_cmp_gt_i32_e32 vcc_lo, 0, v200
	v_and_b32_e32 v70, v70, v73
	v_not_b32_e32 v73, v75
	v_ashrrev_i32_e32 v72, 31, v72
	s_wait_alu 0xf1ff
	v_xor_b32_e32 v76, s15, v76
	v_cmp_gt_i32_e64 s15, 0, v75
	v_and_b32_e32 v70, v70, v74
	v_ashrrev_i32_e32 v73, 31, v73
	s_wait_alu 0xfffd
	v_xor_b32_e32 v72, vcc_lo, v72
	v_mad_u32_u24 v74, v71, 36, v147
	v_mul_u32_u24_e32 v71, 36, v71
	v_and_b32_e32 v70, v70, v76
	s_wait_alu 0xf1ff
	v_xor_b32_e32 v73, s15, v73
	ds_load_b32 v200, v74 offset:1056
	v_add_nc_u32_e32 v202, v147, v71
	v_and_b32_e32 v70, v70, v72
	; wave barrier
	s_delay_alu instid0(VALU_DEP_1) | instskip(NEXT) | instid1(VALU_DEP_1)
	v_and_b32_e32 v70, v70, v73
	v_mbcnt_lo_u32_b32 v201, v70, 0
	v_cmp_ne_u32_e64 s15, 0, v70
	s_delay_alu instid0(VALU_DEP_2)
	v_cmp_eq_u32_e32 vcc_lo, 0, v201
	s_and_b32 s16, s15, vcc_lo
	s_wait_alu 0xfffe
	s_and_saveexec_b32 s15, s16
	s_cbranch_execz .LBB1256_747
; %bb.746:                              ;   in Loop: Header=BB1256_687 Depth=2
	s_wait_dscnt 0x0
	v_bcnt_u32_b32 v70, v70, v200
	ds_store_b32 v202, v70 offset:1056
.LBB1256_747:                           ;   in Loop: Header=BB1256_687 Depth=2
	s_wait_alu 0xfffe
	s_or_b32 exec_lo, exec_lo, s15
	v_cmp_lt_i64_e32 vcc_lo, -1, v[52:53]
	v_ashrrev_i32_e32 v71, 31, v53
	; wave barrier
	s_delay_alu instid0(VALU_DEP_1) | instskip(SKIP_2) | instid1(VALU_DEP_1)
	v_xor_b32_e32 v52, v71, v52
	s_wait_alu 0xfffd
	v_cndmask_b32_e64 v70, -1, 0x80000000, vcc_lo
	v_xor_b32_e32 v53, v70, v53
	s_delay_alu instid0(VALU_DEP_1) | instskip(SKIP_3) | instid1(VALU_DEP_1)
	v_cmp_ne_u64_e32 vcc_lo, s[42:43], v[52:53]
	s_wait_alu 0xfffd
	v_cndmask_b32_e32 v71, 0x80000000, v53, vcc_lo
	v_cndmask_b32_e32 v70, 0, v52, vcc_lo
	v_lshrrev_b64 v[70:71], s31, v[70:71]
	s_delay_alu instid0(VALU_DEP_1) | instskip(NEXT) | instid1(VALU_DEP_1)
	v_and_b32_e32 v71, s56, v70
	v_and_b32_e32 v70, 1, v71
	v_lshlrev_b32_e32 v72, 30, v71
	v_lshlrev_b32_e32 v73, 29, v71
	;; [unrolled: 1-line block ×4, first 2 shown]
	v_add_co_u32 v70, s15, v70, -1
	s_wait_alu 0xf1ff
	v_cndmask_b32_e64 v75, 0, 1, s15
	v_not_b32_e32 v204, v72
	v_cmp_gt_i32_e64 s15, 0, v72
	v_not_b32_e32 v72, v73
	v_lshlrev_b32_e32 v77, 26, v71
	v_cmp_ne_u32_e32 vcc_lo, 0, v75
	v_ashrrev_i32_e32 v204, 31, v204
	v_lshlrev_b32_e32 v203, 25, v71
	v_ashrrev_i32_e32 v72, 31, v72
	v_lshlrev_b32_e32 v75, 24, v71
	s_wait_alu 0xfffd
	v_xor_b32_e32 v70, vcc_lo, v70
	v_cmp_gt_i32_e32 vcc_lo, 0, v73
	v_not_b32_e32 v73, v74
	s_wait_alu 0xf1ff
	v_xor_b32_e32 v204, s15, v204
	v_cmp_gt_i32_e64 s15, 0, v74
	v_and_b32_e32 v70, exec_lo, v70
	v_not_b32_e32 v74, v76
	v_ashrrev_i32_e32 v73, 31, v73
	s_wait_alu 0xfffd
	v_xor_b32_e32 v72, vcc_lo, v72
	v_cmp_gt_i32_e32 vcc_lo, 0, v76
	v_and_b32_e32 v70, v70, v204
	v_not_b32_e32 v76, v77
	v_ashrrev_i32_e32 v74, 31, v74
	s_wait_alu 0xf1ff
	v_xor_b32_e32 v73, s15, v73
	v_cmp_gt_i32_e64 s15, 0, v77
	v_and_b32_e32 v70, v70, v72
	v_not_b32_e32 v72, v203
	v_ashrrev_i32_e32 v76, 31, v76
	s_wait_alu 0xfffd
	v_xor_b32_e32 v74, vcc_lo, v74
	v_cmp_gt_i32_e32 vcc_lo, 0, v203
	v_and_b32_e32 v70, v70, v73
	v_not_b32_e32 v73, v75
	v_ashrrev_i32_e32 v72, 31, v72
	s_wait_alu 0xf1ff
	v_xor_b32_e32 v76, s15, v76
	v_cmp_gt_i32_e64 s15, 0, v75
	v_and_b32_e32 v70, v70, v74
	v_ashrrev_i32_e32 v73, 31, v73
	s_wait_alu 0xfffd
	v_xor_b32_e32 v72, vcc_lo, v72
	v_mad_u32_u24 v74, v71, 36, v147
	v_mul_u32_u24_e32 v71, 36, v71
	v_and_b32_e32 v70, v70, v76
	s_wait_alu 0xf1ff
	v_xor_b32_e32 v73, s15, v73
	ds_load_b32 v203, v74 offset:1056
	v_add_nc_u32_e32 v205, v147, v71
	v_and_b32_e32 v70, v70, v72
	; wave barrier
	s_delay_alu instid0(VALU_DEP_1) | instskip(NEXT) | instid1(VALU_DEP_1)
	v_and_b32_e32 v70, v70, v73
	v_mbcnt_lo_u32_b32 v204, v70, 0
	v_cmp_ne_u32_e64 s15, 0, v70
	s_delay_alu instid0(VALU_DEP_2)
	v_cmp_eq_u32_e32 vcc_lo, 0, v204
	s_and_b32 s16, s15, vcc_lo
	s_wait_alu 0xfffe
	s_and_saveexec_b32 s15, s16
	s_cbranch_execz .LBB1256_749
; %bb.748:                              ;   in Loop: Header=BB1256_687 Depth=2
	s_wait_dscnt 0x0
	v_bcnt_u32_b32 v70, v70, v203
	ds_store_b32 v205, v70 offset:1056
.LBB1256_749:                           ;   in Loop: Header=BB1256_687 Depth=2
	s_wait_alu 0xfffe
	s_or_b32 exec_lo, exec_lo, s15
	v_cmp_lt_i64_e32 vcc_lo, -1, v[50:51]
	v_ashrrev_i32_e32 v71, 31, v51
	; wave barrier
	s_delay_alu instid0(VALU_DEP_1) | instskip(SKIP_2) | instid1(VALU_DEP_1)
	v_xor_b32_e32 v50, v71, v50
	s_wait_alu 0xfffd
	v_cndmask_b32_e64 v70, -1, 0x80000000, vcc_lo
	v_xor_b32_e32 v51, v70, v51
	s_delay_alu instid0(VALU_DEP_1) | instskip(SKIP_3) | instid1(VALU_DEP_1)
	v_cmp_ne_u64_e32 vcc_lo, s[42:43], v[50:51]
	s_wait_alu 0xfffd
	v_cndmask_b32_e32 v71, 0x80000000, v51, vcc_lo
	v_cndmask_b32_e32 v70, 0, v50, vcc_lo
	v_lshrrev_b64 v[70:71], s31, v[70:71]
	s_delay_alu instid0(VALU_DEP_1) | instskip(NEXT) | instid1(VALU_DEP_1)
	v_and_b32_e32 v71, s56, v70
	v_and_b32_e32 v70, 1, v71
	v_lshlrev_b32_e32 v72, 30, v71
	v_lshlrev_b32_e32 v73, 29, v71
	;; [unrolled: 1-line block ×4, first 2 shown]
	v_add_co_u32 v70, s15, v70, -1
	s_wait_alu 0xf1ff
	v_cndmask_b32_e64 v75, 0, 1, s15
	v_not_b32_e32 v207, v72
	v_cmp_gt_i32_e64 s15, 0, v72
	v_not_b32_e32 v72, v73
	v_lshlrev_b32_e32 v77, 26, v71
	v_cmp_ne_u32_e32 vcc_lo, 0, v75
	v_ashrrev_i32_e32 v207, 31, v207
	v_lshlrev_b32_e32 v206, 25, v71
	v_ashrrev_i32_e32 v72, 31, v72
	v_lshlrev_b32_e32 v75, 24, v71
	s_wait_alu 0xfffd
	v_xor_b32_e32 v70, vcc_lo, v70
	v_cmp_gt_i32_e32 vcc_lo, 0, v73
	v_not_b32_e32 v73, v74
	s_wait_alu 0xf1ff
	v_xor_b32_e32 v207, s15, v207
	v_cmp_gt_i32_e64 s15, 0, v74
	v_and_b32_e32 v70, exec_lo, v70
	v_not_b32_e32 v74, v76
	v_ashrrev_i32_e32 v73, 31, v73
	s_wait_alu 0xfffd
	v_xor_b32_e32 v72, vcc_lo, v72
	v_cmp_gt_i32_e32 vcc_lo, 0, v76
	v_and_b32_e32 v70, v70, v207
	v_not_b32_e32 v76, v77
	v_ashrrev_i32_e32 v74, 31, v74
	s_wait_alu 0xf1ff
	v_xor_b32_e32 v73, s15, v73
	v_cmp_gt_i32_e64 s15, 0, v77
	v_and_b32_e32 v70, v70, v72
	v_not_b32_e32 v72, v206
	v_ashrrev_i32_e32 v76, 31, v76
	s_wait_alu 0xfffd
	v_xor_b32_e32 v74, vcc_lo, v74
	v_cmp_gt_i32_e32 vcc_lo, 0, v206
	v_and_b32_e32 v70, v70, v73
	v_not_b32_e32 v73, v75
	v_ashrrev_i32_e32 v72, 31, v72
	s_wait_alu 0xf1ff
	v_xor_b32_e32 v76, s15, v76
	v_cmp_gt_i32_e64 s15, 0, v75
	v_and_b32_e32 v70, v70, v74
	v_ashrrev_i32_e32 v73, 31, v73
	s_wait_alu 0xfffd
	v_xor_b32_e32 v72, vcc_lo, v72
	v_mad_u32_u24 v74, v71, 36, v147
	v_mul_u32_u24_e32 v71, 36, v71
	v_and_b32_e32 v70, v70, v76
	s_wait_alu 0xf1ff
	v_xor_b32_e32 v73, s15, v73
	ds_load_b32 v206, v74 offset:1056
	v_add_nc_u32_e32 v208, v147, v71
	v_and_b32_e32 v70, v70, v72
	; wave barrier
	s_delay_alu instid0(VALU_DEP_1) | instskip(NEXT) | instid1(VALU_DEP_1)
	v_and_b32_e32 v70, v70, v73
	v_mbcnt_lo_u32_b32 v207, v70, 0
	v_cmp_ne_u32_e64 s15, 0, v70
	s_delay_alu instid0(VALU_DEP_2)
	v_cmp_eq_u32_e32 vcc_lo, 0, v207
	s_and_b32 s16, s15, vcc_lo
	s_wait_alu 0xfffe
	s_and_saveexec_b32 s15, s16
	s_cbranch_execz .LBB1256_751
; %bb.750:                              ;   in Loop: Header=BB1256_687 Depth=2
	s_wait_dscnt 0x0
	v_bcnt_u32_b32 v70, v70, v206
	ds_store_b32 v208, v70 offset:1056
.LBB1256_751:                           ;   in Loop: Header=BB1256_687 Depth=2
	s_wait_alu 0xfffe
	s_or_b32 exec_lo, exec_lo, s15
	v_cmp_lt_i64_e32 vcc_lo, -1, v[46:47]
	v_ashrrev_i32_e32 v71, 31, v47
	; wave barrier
	s_delay_alu instid0(VALU_DEP_1) | instskip(SKIP_2) | instid1(VALU_DEP_1)
	v_xor_b32_e32 v46, v71, v46
	s_wait_alu 0xfffd
	v_cndmask_b32_e64 v70, -1, 0x80000000, vcc_lo
	v_xor_b32_e32 v47, v70, v47
	s_delay_alu instid0(VALU_DEP_1) | instskip(SKIP_3) | instid1(VALU_DEP_1)
	v_cmp_ne_u64_e32 vcc_lo, s[42:43], v[46:47]
	s_wait_alu 0xfffd
	v_cndmask_b32_e32 v71, 0x80000000, v47, vcc_lo
	v_cndmask_b32_e32 v70, 0, v46, vcc_lo
	v_lshrrev_b64 v[70:71], s31, v[70:71]
	s_delay_alu instid0(VALU_DEP_1) | instskip(NEXT) | instid1(VALU_DEP_1)
	v_and_b32_e32 v71, s56, v70
	v_and_b32_e32 v70, 1, v71
	v_lshlrev_b32_e32 v72, 30, v71
	v_lshlrev_b32_e32 v73, 29, v71
	;; [unrolled: 1-line block ×4, first 2 shown]
	v_add_co_u32 v70, s15, v70, -1
	s_wait_alu 0xf1ff
	v_cndmask_b32_e64 v75, 0, 1, s15
	v_not_b32_e32 v210, v72
	v_cmp_gt_i32_e64 s15, 0, v72
	v_not_b32_e32 v72, v73
	v_lshlrev_b32_e32 v77, 26, v71
	v_cmp_ne_u32_e32 vcc_lo, 0, v75
	v_ashrrev_i32_e32 v210, 31, v210
	v_lshlrev_b32_e32 v209, 25, v71
	v_ashrrev_i32_e32 v72, 31, v72
	v_lshlrev_b32_e32 v75, 24, v71
	s_wait_alu 0xfffd
	v_xor_b32_e32 v70, vcc_lo, v70
	v_cmp_gt_i32_e32 vcc_lo, 0, v73
	v_not_b32_e32 v73, v74
	s_wait_alu 0xf1ff
	v_xor_b32_e32 v210, s15, v210
	v_cmp_gt_i32_e64 s15, 0, v74
	v_and_b32_e32 v70, exec_lo, v70
	v_not_b32_e32 v74, v76
	v_ashrrev_i32_e32 v73, 31, v73
	s_wait_alu 0xfffd
	v_xor_b32_e32 v72, vcc_lo, v72
	v_cmp_gt_i32_e32 vcc_lo, 0, v76
	v_and_b32_e32 v70, v70, v210
	v_not_b32_e32 v76, v77
	v_ashrrev_i32_e32 v74, 31, v74
	s_wait_alu 0xf1ff
	v_xor_b32_e32 v73, s15, v73
	v_cmp_gt_i32_e64 s15, 0, v77
	v_and_b32_e32 v70, v70, v72
	v_not_b32_e32 v72, v209
	v_ashrrev_i32_e32 v76, 31, v76
	s_wait_alu 0xfffd
	v_xor_b32_e32 v74, vcc_lo, v74
	v_cmp_gt_i32_e32 vcc_lo, 0, v209
	v_and_b32_e32 v70, v70, v73
	v_not_b32_e32 v73, v75
	v_ashrrev_i32_e32 v72, 31, v72
	s_wait_alu 0xf1ff
	v_xor_b32_e32 v76, s15, v76
	v_cmp_gt_i32_e64 s15, 0, v75
	v_and_b32_e32 v70, v70, v74
	v_ashrrev_i32_e32 v73, 31, v73
	s_wait_alu 0xfffd
	v_xor_b32_e32 v72, vcc_lo, v72
	v_mad_u32_u24 v74, v71, 36, v147
	v_mul_u32_u24_e32 v71, 36, v71
	v_and_b32_e32 v70, v70, v76
	s_wait_alu 0xf1ff
	v_xor_b32_e32 v73, s15, v73
	ds_load_b32 v209, v74 offset:1056
	v_add_nc_u32_e32 v212, v147, v71
	v_and_b32_e32 v70, v70, v72
	; wave barrier
	s_delay_alu instid0(VALU_DEP_1) | instskip(NEXT) | instid1(VALU_DEP_1)
	v_and_b32_e32 v70, v70, v73
	v_mbcnt_lo_u32_b32 v210, v70, 0
	v_cmp_ne_u32_e64 s15, 0, v70
	s_delay_alu instid0(VALU_DEP_2)
	v_cmp_eq_u32_e32 vcc_lo, 0, v210
	s_and_b32 s16, s15, vcc_lo
	s_wait_alu 0xfffe
	s_and_saveexec_b32 s15, s16
	s_cbranch_execz .LBB1256_753
; %bb.752:                              ;   in Loop: Header=BB1256_687 Depth=2
	s_wait_dscnt 0x0
	v_bcnt_u32_b32 v70, v70, v209
	ds_store_b32 v212, v70 offset:1056
.LBB1256_753:                           ;   in Loop: Header=BB1256_687 Depth=2
	s_wait_alu 0xfffe
	s_or_b32 exec_lo, exec_lo, s15
	v_cmp_lt_i64_e32 vcc_lo, -1, v[44:45]
	v_ashrrev_i32_e32 v71, 31, v45
	; wave barrier
	s_delay_alu instid0(VALU_DEP_1) | instskip(SKIP_2) | instid1(VALU_DEP_1)
	v_xor_b32_e32 v44, v71, v44
	s_wait_alu 0xfffd
	v_cndmask_b32_e64 v70, -1, 0x80000000, vcc_lo
	v_xor_b32_e32 v45, v70, v45
	s_delay_alu instid0(VALU_DEP_1) | instskip(SKIP_3) | instid1(VALU_DEP_1)
	v_cmp_ne_u64_e32 vcc_lo, s[42:43], v[44:45]
	s_wait_alu 0xfffd
	v_cndmask_b32_e32 v71, 0x80000000, v45, vcc_lo
	v_cndmask_b32_e32 v70, 0, v44, vcc_lo
	v_lshrrev_b64 v[70:71], s31, v[70:71]
	s_delay_alu instid0(VALU_DEP_1) | instskip(NEXT) | instid1(VALU_DEP_1)
	v_and_b32_e32 v71, s56, v70
	v_and_b32_e32 v70, 1, v71
	v_lshlrev_b32_e32 v72, 30, v71
	v_lshlrev_b32_e32 v73, 29, v71
	;; [unrolled: 1-line block ×4, first 2 shown]
	v_add_co_u32 v70, s15, v70, -1
	s_wait_alu 0xf1ff
	v_cndmask_b32_e64 v75, 0, 1, s15
	v_not_b32_e32 v213, v72
	v_cmp_gt_i32_e64 s15, 0, v72
	v_not_b32_e32 v72, v73
	v_lshlrev_b32_e32 v77, 26, v71
	v_cmp_ne_u32_e32 vcc_lo, 0, v75
	v_ashrrev_i32_e32 v213, 31, v213
	v_lshlrev_b32_e32 v211, 25, v71
	v_ashrrev_i32_e32 v72, 31, v72
	v_lshlrev_b32_e32 v75, 24, v71
	s_wait_alu 0xfffd
	v_xor_b32_e32 v70, vcc_lo, v70
	v_cmp_gt_i32_e32 vcc_lo, 0, v73
	v_not_b32_e32 v73, v74
	s_wait_alu 0xf1ff
	v_xor_b32_e32 v213, s15, v213
	v_cmp_gt_i32_e64 s15, 0, v74
	v_and_b32_e32 v70, exec_lo, v70
	v_not_b32_e32 v74, v76
	v_ashrrev_i32_e32 v73, 31, v73
	s_wait_alu 0xfffd
	v_xor_b32_e32 v72, vcc_lo, v72
	v_cmp_gt_i32_e32 vcc_lo, 0, v76
	v_and_b32_e32 v70, v70, v213
	v_not_b32_e32 v76, v77
	v_ashrrev_i32_e32 v74, 31, v74
	s_wait_alu 0xf1ff
	v_xor_b32_e32 v73, s15, v73
	v_cmp_gt_i32_e64 s15, 0, v77
	v_and_b32_e32 v70, v70, v72
	v_not_b32_e32 v72, v211
	v_ashrrev_i32_e32 v76, 31, v76
	s_wait_alu 0xfffd
	v_xor_b32_e32 v74, vcc_lo, v74
	v_cmp_gt_i32_e32 vcc_lo, 0, v211
	v_and_b32_e32 v70, v70, v73
	v_not_b32_e32 v73, v75
	v_ashrrev_i32_e32 v72, 31, v72
	s_wait_alu 0xf1ff
	v_xor_b32_e32 v76, s15, v76
	v_cmp_gt_i32_e64 s15, 0, v75
	v_and_b32_e32 v70, v70, v74
	v_ashrrev_i32_e32 v73, 31, v73
	s_wait_alu 0xfffd
	v_xor_b32_e32 v72, vcc_lo, v72
	v_mad_u32_u24 v74, v71, 36, v147
	v_mul_u32_u24_e32 v71, 36, v71
	v_and_b32_e32 v70, v70, v76
	s_wait_alu 0xf1ff
	v_xor_b32_e32 v73, s15, v73
	ds_load_b32 v211, v74 offset:1056
	v_add_nc_u32_e32 v214, v147, v71
	v_and_b32_e32 v70, v70, v72
	; wave barrier
	s_delay_alu instid0(VALU_DEP_1) | instskip(NEXT) | instid1(VALU_DEP_1)
	v_and_b32_e32 v70, v70, v73
	v_mbcnt_lo_u32_b32 v213, v70, 0
	v_cmp_ne_u32_e64 s15, 0, v70
	s_delay_alu instid0(VALU_DEP_2)
	v_cmp_eq_u32_e32 vcc_lo, 0, v213
	s_and_b32 s16, s15, vcc_lo
	s_wait_alu 0xfffe
	s_and_saveexec_b32 s15, s16
	s_cbranch_execz .LBB1256_755
; %bb.754:                              ;   in Loop: Header=BB1256_687 Depth=2
	s_wait_dscnt 0x0
	v_bcnt_u32_b32 v70, v70, v211
	ds_store_b32 v214, v70 offset:1056
.LBB1256_755:                           ;   in Loop: Header=BB1256_687 Depth=2
	s_wait_alu 0xfffe
	s_or_b32 exec_lo, exec_lo, s15
	; wave barrier
	s_wait_loadcnt_dscnt 0x0
	s_barrier_signal -1
	s_barrier_wait -1
	global_inv scope:SCOPE_SE
	ds_load_2addr_b32 v[76:77], v166 offset1:1
	ds_load_2addr_b32 v[74:75], v167 offset1:1
	;; [unrolled: 1-line block ×4, first 2 shown]
	ds_load_b32 v215, v103 offset:1088
	s_wait_dscnt 0x3
	v_add3_u32 v216, v77, v76, v74
	s_wait_dscnt 0x2
	s_delay_alu instid0(VALU_DEP_1) | instskip(SKIP_1) | instid1(VALU_DEP_1)
	v_add3_u32 v216, v216, v75, v72
	s_wait_dscnt 0x1
	v_add3_u32 v216, v216, v73, v70
	s_wait_dscnt 0x0
	s_delay_alu instid0(VALU_DEP_1) | instskip(NEXT) | instid1(VALU_DEP_1)
	v_add3_u32 v215, v216, v71, v215
	v_mov_b32_dpp v216, v215 row_shr:1 row_mask:0xf bank_mask:0xf
	s_delay_alu instid0(VALU_DEP_1) | instskip(NEXT) | instid1(VALU_DEP_1)
	v_cndmask_b32_e64 v216, v216, 0, s6
	v_add_nc_u32_e32 v215, v216, v215
	s_delay_alu instid0(VALU_DEP_1) | instskip(NEXT) | instid1(VALU_DEP_1)
	v_mov_b32_dpp v216, v215 row_shr:2 row_mask:0xf bank_mask:0xf
	v_cndmask_b32_e64 v216, 0, v216, s7
	s_delay_alu instid0(VALU_DEP_1) | instskip(NEXT) | instid1(VALU_DEP_1)
	v_add_nc_u32_e32 v215, v215, v216
	v_mov_b32_dpp v216, v215 row_shr:4 row_mask:0xf bank_mask:0xf
	s_delay_alu instid0(VALU_DEP_1) | instskip(NEXT) | instid1(VALU_DEP_1)
	v_cndmask_b32_e64 v216, 0, v216, s8
	v_add_nc_u32_e32 v215, v215, v216
	s_delay_alu instid0(VALU_DEP_1) | instskip(NEXT) | instid1(VALU_DEP_1)
	v_mov_b32_dpp v216, v215 row_shr:8 row_mask:0xf bank_mask:0xf
	v_cndmask_b32_e64 v216, 0, v216, s9
	s_delay_alu instid0(VALU_DEP_1) | instskip(SKIP_3) | instid1(VALU_DEP_1)
	v_add_nc_u32_e32 v215, v215, v216
	ds_swizzle_b32 v216, v215 offset:swizzle(BROADCAST,32,15)
	s_wait_dscnt 0x0
	v_cndmask_b32_e64 v216, v216, 0, s10
	v_add_nc_u32_e32 v215, v215, v216
	s_and_saveexec_b32 s15, s3
; %bb.756:                              ;   in Loop: Header=BB1256_687 Depth=2
	ds_store_b32 v97, v215 offset:1024
; %bb.757:                              ;   in Loop: Header=BB1256_687 Depth=2
	s_wait_alu 0xfffe
	s_or_b32 exec_lo, exec_lo, s15
	s_wait_loadcnt_dscnt 0x0
	s_barrier_signal -1
	s_barrier_wait -1
	global_inv scope:SCOPE_SE
	s_and_saveexec_b32 s15, s4
	s_cbranch_execz .LBB1256_759
; %bb.758:                              ;   in Loop: Header=BB1256_687 Depth=2
	ds_load_b32 v216, v105 offset:1024
	s_wait_dscnt 0x0
	v_mov_b32_dpp v217, v216 row_shr:1 row_mask:0xf bank_mask:0xf
	s_delay_alu instid0(VALU_DEP_1) | instskip(NEXT) | instid1(VALU_DEP_1)
	v_cndmask_b32_e64 v217, v217, 0, s12
	v_add_nc_u32_e32 v216, v217, v216
	s_delay_alu instid0(VALU_DEP_1) | instskip(NEXT) | instid1(VALU_DEP_1)
	v_mov_b32_dpp v217, v216 row_shr:2 row_mask:0xf bank_mask:0xf
	v_cndmask_b32_e64 v217, 0, v217, s13
	s_delay_alu instid0(VALU_DEP_1) | instskip(NEXT) | instid1(VALU_DEP_1)
	v_add_nc_u32_e32 v216, v216, v217
	v_mov_b32_dpp v217, v216 row_shr:4 row_mask:0xf bank_mask:0xf
	s_delay_alu instid0(VALU_DEP_1) | instskip(NEXT) | instid1(VALU_DEP_1)
	v_cndmask_b32_e64 v217, 0, v217, s14
	v_add_nc_u32_e32 v216, v216, v217
	ds_store_b32 v105, v216 offset:1024
.LBB1256_759:                           ;   in Loop: Header=BB1256_687 Depth=2
	s_wait_alu 0xfffe
	s_or_b32 exec_lo, exec_lo, s15
	v_mov_b32_e32 v216, 0
	s_wait_loadcnt_dscnt 0x0
	s_barrier_signal -1
	s_barrier_wait -1
	global_inv scope:SCOPE_SE
	s_and_saveexec_b32 s15, s5
; %bb.760:                              ;   in Loop: Header=BB1256_687 Depth=2
	ds_load_b32 v216, v97 offset:1020
; %bb.761:                              ;   in Loop: Header=BB1256_687 Depth=2
	s_wait_alu 0xfffe
	s_or_b32 exec_lo, exec_lo, s15
	s_wait_dscnt 0x0
	v_add_nc_u32_e32 v215, v216, v215
	ds_bpermute_b32 v215, v126, v215
	s_wait_dscnt 0x0
	v_cndmask_b32_e64 v215, v215, v216, s11
	s_delay_alu instid0(VALU_DEP_1) | instskip(NEXT) | instid1(VALU_DEP_1)
	v_cndmask_b32_e64 v215, v215, 0, s0
	v_add_nc_u32_e32 v76, v215, v76
	s_delay_alu instid0(VALU_DEP_1) | instskip(NEXT) | instid1(VALU_DEP_1)
	v_add_nc_u32_e32 v77, v76, v77
	v_add_nc_u32_e32 v74, v77, v74
	s_delay_alu instid0(VALU_DEP_1) | instskip(NEXT) | instid1(VALU_DEP_1)
	v_add_nc_u32_e32 v75, v74, v75
	;; [unrolled: 3-line block ×3, first 2 shown]
	v_add_nc_u32_e32 v70, v73, v70
	s_delay_alu instid0(VALU_DEP_1)
	v_add_nc_u32_e32 v71, v70, v71
	ds_store_2addr_b32 v165, v73, v70 offset1:1
	ds_store_2addr_b32 v166, v215, v76 offset1:1
	;; [unrolled: 1-line block ×4, first 2 shown]
	ds_store_b32 v103, v71 offset:1088
	s_wait_loadcnt_dscnt 0x0
	s_barrier_signal -1
	s_barrier_wait -1
	global_inv scope:SCOPE_SE
	ds_load_b32 v71, v169 offset:1056
	ds_load_b32 v76, v172 offset:1056
	;; [unrolled: 1-line block ×17, first 2 shown]
	v_mov_b32_e32 v70, 0x1000
	s_and_saveexec_b32 s15, s1
; %bb.762:                              ;   in Loop: Header=BB1256_687 Depth=2
	ds_load_b32 v70, v103 offset:1092
; %bb.763:                              ;   in Loop: Header=BB1256_687 Depth=2
	s_wait_alu 0xfffe
	s_or_b32 exec_lo, exec_lo, s15
	s_wait_loadcnt_dscnt 0x0
	s_barrier_signal -1
	s_barrier_wait -1
	global_inv scope:SCOPE_SE
	s_and_saveexec_b32 s15, s2
	s_cbranch_execz .LBB1256_765
; %bb.764:                              ;   in Loop: Header=BB1256_687 Depth=2
	ds_load_b32 v187, v78
	s_wait_dscnt 0x0
	v_sub_nc_u32_e32 v184, v187, v184
	ds_store_b32 v78, v184
.LBB1256_765:                           ;   in Loop: Header=BB1256_687 Depth=2
	s_wait_alu 0xfffe
	s_or_b32 exec_lo, exec_lo, s15
	v_lshlrev_b32_e32 v2, 3, v2
	v_lshlrev_b32_e32 v171, 3, v171
	;; [unrolled: 1-line block ×5, first 2 shown]
	v_lshl_add_u32 v71, v71, 3, v2
	v_lshlrev_b32_e32 v2, 3, v173
	v_lshlrev_b32_e32 v75, 3, v75
	;; [unrolled: 1-line block ×4, first 2 shown]
	ds_store_b64 v71, v[38:39] offset:1024
	v_lshlrev_b32_e32 v38, 3, v74
	v_lshlrev_b32_e32 v39, 3, v180
	;; [unrolled: 1-line block ×7, first 2 shown]
	v_add3_u32 v72, v171, v170, v76
	v_add3_u32 v73, v174, v2, v75
	;; [unrolled: 1-line block ×5, first 2 shown]
	v_lshlrev_b32_e32 v2, 3, v186
	v_lshlrev_b32_e32 v38, 3, v185
	;; [unrolled: 1-line block ×3, first 2 shown]
	ds_store_b64 v72, v[40:41] offset:1024
	ds_store_b64 v73, v[42:43] offset:1024
	;; [unrolled: 1-line block ×5, first 2 shown]
	v_lshlrev_b32_e32 v41, 3, v189
	v_lshlrev_b32_e32 v42, 3, v188
	;; [unrolled: 1-line block ×12, first 2 shown]
	v_add3_u32 v40, v2, v38, v39
	v_add3_u32 v41, v41, v42, v43
	;; [unrolled: 1-line block ×5, first 2 shown]
	ds_store_b64 v40, v[62:63] offset:1024
	ds_store_b64 v41, v[66:67] offset:1024
	;; [unrolled: 1-line block ×5, first 2 shown]
	v_lshlrev_b32_e32 v2, 3, v201
	v_lshlrev_b32_e32 v38, 3, v200
	;; [unrolled: 1-line block ×15, first 2 shown]
	v_add3_u32 v49, v2, v38, v39
	v_add3_u32 v54, v54, v55, v58
	;; [unrolled: 1-line block ×5, first 2 shown]
	v_cmp_lt_u32_e32 vcc_lo, v1, v164
	ds_store_b64 v49, v[56:57] offset:1024
	ds_store_b64 v54, v[52:53] offset:1024
	;; [unrolled: 1-line block ×5, first 2 shown]
	s_wait_loadcnt_dscnt 0x0
	s_barrier_signal -1
	s_barrier_wait -1
	global_inv scope:SCOPE_SE
	s_and_saveexec_b32 s16, vcc_lo
	s_cbranch_execnz .LBB1256_834
; %bb.766:                              ;   in Loop: Header=BB1256_687 Depth=2
	s_wait_alu 0xfffe
	s_or_b32 exec_lo, exec_lo, s16
	v_cmp_lt_u32_e64 s15, v79, v164
	s_and_saveexec_b32 s17, s15
	s_cbranch_execnz .LBB1256_835
.LBB1256_767:                           ;   in Loop: Header=BB1256_687 Depth=2
	s_wait_alu 0xfffe
	s_or_b32 exec_lo, exec_lo, s17
	v_cmp_lt_u32_e64 s16, v80, v164
	s_and_saveexec_b32 s18, s16
	s_cbranch_execnz .LBB1256_836
.LBB1256_768:                           ;   in Loop: Header=BB1256_687 Depth=2
	s_wait_alu 0xfffe
	s_or_b32 exec_lo, exec_lo, s18
	v_cmp_lt_u32_e64 s17, v81, v164
	s_and_saveexec_b32 s19, s17
	s_cbranch_execnz .LBB1256_837
.LBB1256_769:                           ;   in Loop: Header=BB1256_687 Depth=2
	s_wait_alu 0xfffe
	s_or_b32 exec_lo, exec_lo, s19
	v_cmp_lt_u32_e64 s18, v84, v164
	s_and_saveexec_b32 s20, s18
	s_cbranch_execnz .LBB1256_838
.LBB1256_770:                           ;   in Loop: Header=BB1256_687 Depth=2
	s_wait_alu 0xfffe
	s_or_b32 exec_lo, exec_lo, s20
	v_cmp_lt_u32_e64 s19, v85, v164
	s_and_saveexec_b32 s21, s19
	s_cbranch_execnz .LBB1256_839
.LBB1256_771:                           ;   in Loop: Header=BB1256_687 Depth=2
	s_wait_alu 0xfffe
	s_or_b32 exec_lo, exec_lo, s21
	v_cmp_lt_u32_e64 s20, v86, v164
	s_and_saveexec_b32 s22, s20
	s_cbranch_execnz .LBB1256_840
.LBB1256_772:                           ;   in Loop: Header=BB1256_687 Depth=2
	s_wait_alu 0xfffe
	s_or_b32 exec_lo, exec_lo, s22
	v_cmp_lt_u32_e64 s21, v87, v164
	s_and_saveexec_b32 s23, s21
	s_cbranch_execnz .LBB1256_841
.LBB1256_773:                           ;   in Loop: Header=BB1256_687 Depth=2
	s_wait_alu 0xfffe
	s_or_b32 exec_lo, exec_lo, s23
	v_cmp_lt_u32_e64 s22, v88, v164
	s_and_saveexec_b32 s24, s22
	s_cbranch_execnz .LBB1256_842
.LBB1256_774:                           ;   in Loop: Header=BB1256_687 Depth=2
	s_wait_alu 0xfffe
	s_or_b32 exec_lo, exec_lo, s24
	v_cmp_lt_u32_e64 s23, v89, v164
	s_and_saveexec_b32 s25, s23
	s_cbranch_execnz .LBB1256_843
.LBB1256_775:                           ;   in Loop: Header=BB1256_687 Depth=2
	s_wait_alu 0xfffe
	s_or_b32 exec_lo, exec_lo, s25
	v_cmp_lt_u32_e64 s24, v90, v164
	s_and_saveexec_b32 s26, s24
	s_cbranch_execnz .LBB1256_844
.LBB1256_776:                           ;   in Loop: Header=BB1256_687 Depth=2
	s_wait_alu 0xfffe
	s_or_b32 exec_lo, exec_lo, s26
	v_cmp_lt_u32_e64 s25, v91, v164
	s_and_saveexec_b32 s27, s25
	s_cbranch_execnz .LBB1256_845
.LBB1256_777:                           ;   in Loop: Header=BB1256_687 Depth=2
	s_wait_alu 0xfffe
	s_or_b32 exec_lo, exec_lo, s27
	v_cmp_lt_u32_e64 s26, v92, v164
	s_and_saveexec_b32 s28, s26
	s_cbranch_execnz .LBB1256_846
.LBB1256_778:                           ;   in Loop: Header=BB1256_687 Depth=2
	s_wait_alu 0xfffe
	s_or_b32 exec_lo, exec_lo, s28
	v_cmp_lt_u32_e64 s27, v93, v164
	s_and_saveexec_b32 s29, s27
	s_cbranch_execnz .LBB1256_847
.LBB1256_779:                           ;   in Loop: Header=BB1256_687 Depth=2
	s_wait_alu 0xfffe
	s_or_b32 exec_lo, exec_lo, s29
	v_cmp_lt_u32_e64 s28, v94, v164
	s_and_saveexec_b32 s30, s28
	s_cbranch_execnz .LBB1256_848
.LBB1256_780:                           ;   in Loop: Header=BB1256_687 Depth=2
	s_wait_alu 0xfffe
	s_or_b32 exec_lo, exec_lo, s30
	v_cmp_lt_u32_e64 s29, v95, v164
	s_and_saveexec_b32 s59, s29
	s_cbranch_execz .LBB1256_782
.LBB1256_781:                           ;   in Loop: Header=BB1256_687 Depth=2
	ds_load_b64 v[38:39], v110 offset:31744
	s_wait_dscnt 0x0
	v_cmp_ne_u64_e64 s30, s[42:43], v[38:39]
	s_wait_alu 0xf1ff
	s_delay_alu instid0(VALU_DEP_1) | instskip(SKIP_2) | instid1(VALU_DEP_2)
	v_cndmask_b32_e64 v45, 0x80000000, v39, s30
	v_cndmask_b32_e64 v44, 0, v38, s30
	v_cmp_lt_i64_e64 s30, -1, v[38:39]
	v_lshrrev_b64 v[44:45], s31, v[44:45]
	s_wait_alu 0xf1ff
	s_delay_alu instid0(VALU_DEP_2) | instskip(NEXT) | instid1(VALU_DEP_2)
	v_cndmask_b32_e64 v46, 0x80000000, -1, s30
	v_and_b32_e32 v2, s56, v44
	v_ashrrev_i32_e32 v44, 31, v39
	s_delay_alu instid0(VALU_DEP_3) | instskip(NEXT) | instid1(VALU_DEP_3)
	v_xor_b32_e32 v39, v46, v39
	v_lshlrev_b32_e32 v2, 2, v2
	s_delay_alu instid0(VALU_DEP_3) | instskip(SKIP_4) | instid1(VALU_DEP_1)
	v_not_b32_e32 v47, v44
	ds_load_b32 v2, v2
	v_xor_b32_e32 v38, v47, v38
	s_wait_dscnt 0x0
	v_add_nc_u32_e32 v2, v2, v95
	v_lshlrev_b64_e32 v[44:45], 3, v[2:3]
	s_delay_alu instid0(VALU_DEP_1) | instskip(SKIP_1) | instid1(VALU_DEP_2)
	v_add_co_u32 v44, s30, s38, v44
	s_wait_alu 0xf1ff
	v_add_co_ci_u32_e64 v45, null, s39, v45, s30
	global_store_b64 v[44:45], v[38:39], off
.LBB1256_782:                           ;   in Loop: Header=BB1256_687 Depth=2
	s_wait_alu 0xfffe
	s_or_b32 exec_lo, exec_lo, s59
	s_lshl_b64 s[60:61], s[34:35], 3
	s_wait_alu 0xfffe
	v_add_co_u32 v38, s30, v128, s60
	s_wait_alu 0xf1ff
	v_add_co_ci_u32_e64 v39, null, s61, v129, s30
	v_cmp_lt_u32_e64 s30, v127, v164
	s_and_saveexec_b32 s34, s30
	s_wait_alu 0xfffe
	s_xor_b32 s30, exec_lo, s34
	s_cbranch_execnz .LBB1256_849
; %bb.783:                              ;   in Loop: Header=BB1256_687 Depth=2
	s_wait_alu 0xfffe
	s_or_b32 exec_lo, exec_lo, s30
	s_delay_alu instid0(SALU_CYCLE_1)
	s_mov_b32 s34, exec_lo
	v_cmpx_lt_u32_e64 v130, v164
	s_cbranch_execnz .LBB1256_850
.LBB1256_784:                           ;   in Loop: Header=BB1256_687 Depth=2
	s_wait_alu 0xfffe
	s_or_b32 exec_lo, exec_lo, s34
	s_delay_alu instid0(SALU_CYCLE_1)
	s_mov_b32 s34, exec_lo
	v_cmpx_lt_u32_e64 v131, v164
	s_cbranch_execnz .LBB1256_851
.LBB1256_785:                           ;   in Loop: Header=BB1256_687 Depth=2
	s_wait_alu 0xfffe
	s_or_b32 exec_lo, exec_lo, s34
	s_delay_alu instid0(SALU_CYCLE_1)
	s_mov_b32 s34, exec_lo
	v_cmpx_lt_u32_e64 v132, v164
	s_cbranch_execnz .LBB1256_852
.LBB1256_786:                           ;   in Loop: Header=BB1256_687 Depth=2
	s_wait_alu 0xfffe
	s_or_b32 exec_lo, exec_lo, s34
	s_delay_alu instid0(SALU_CYCLE_1)
	s_mov_b32 s34, exec_lo
	v_cmpx_lt_u32_e64 v133, v164
	s_cbranch_execnz .LBB1256_853
.LBB1256_787:                           ;   in Loop: Header=BB1256_687 Depth=2
	s_wait_alu 0xfffe
	s_or_b32 exec_lo, exec_lo, s34
	s_delay_alu instid0(SALU_CYCLE_1)
	s_mov_b32 s34, exec_lo
	v_cmpx_lt_u32_e64 v134, v164
	s_cbranch_execnz .LBB1256_854
.LBB1256_788:                           ;   in Loop: Header=BB1256_687 Depth=2
	s_wait_alu 0xfffe
	s_or_b32 exec_lo, exec_lo, s34
	s_delay_alu instid0(SALU_CYCLE_1)
	s_mov_b32 s34, exec_lo
	v_cmpx_lt_u32_e64 v135, v164
	s_cbranch_execnz .LBB1256_855
.LBB1256_789:                           ;   in Loop: Header=BB1256_687 Depth=2
	s_wait_alu 0xfffe
	s_or_b32 exec_lo, exec_lo, s34
	s_delay_alu instid0(SALU_CYCLE_1)
	s_mov_b32 s34, exec_lo
	v_cmpx_lt_u32_e64 v136, v164
	s_cbranch_execnz .LBB1256_856
.LBB1256_790:                           ;   in Loop: Header=BB1256_687 Depth=2
	s_wait_alu 0xfffe
	s_or_b32 exec_lo, exec_lo, s34
	s_delay_alu instid0(SALU_CYCLE_1)
	s_mov_b32 s34, exec_lo
	v_cmpx_lt_u32_e64 v137, v164
	s_cbranch_execnz .LBB1256_857
.LBB1256_791:                           ;   in Loop: Header=BB1256_687 Depth=2
	s_wait_alu 0xfffe
	s_or_b32 exec_lo, exec_lo, s34
	s_delay_alu instid0(SALU_CYCLE_1)
	s_mov_b32 s34, exec_lo
	v_cmpx_lt_u32_e64 v138, v164
	s_cbranch_execnz .LBB1256_858
.LBB1256_792:                           ;   in Loop: Header=BB1256_687 Depth=2
	s_wait_alu 0xfffe
	s_or_b32 exec_lo, exec_lo, s34
	s_delay_alu instid0(SALU_CYCLE_1)
	s_mov_b32 s34, exec_lo
	v_cmpx_lt_u32_e64 v139, v164
	s_cbranch_execnz .LBB1256_859
.LBB1256_793:                           ;   in Loop: Header=BB1256_687 Depth=2
	s_wait_alu 0xfffe
	s_or_b32 exec_lo, exec_lo, s34
	s_delay_alu instid0(SALU_CYCLE_1)
	s_mov_b32 s34, exec_lo
	v_cmpx_lt_u32_e64 v140, v164
	s_cbranch_execnz .LBB1256_860
.LBB1256_794:                           ;   in Loop: Header=BB1256_687 Depth=2
	s_wait_alu 0xfffe
	s_or_b32 exec_lo, exec_lo, s34
	s_delay_alu instid0(SALU_CYCLE_1)
	s_mov_b32 s34, exec_lo
	v_cmpx_lt_u32_e64 v141, v164
	s_cbranch_execnz .LBB1256_861
.LBB1256_795:                           ;   in Loop: Header=BB1256_687 Depth=2
	s_wait_alu 0xfffe
	s_or_b32 exec_lo, exec_lo, s34
	s_delay_alu instid0(SALU_CYCLE_1)
	s_mov_b32 s34, exec_lo
	v_cmpx_lt_u32_e64 v142, v164
	s_cbranch_execnz .LBB1256_862
.LBB1256_796:                           ;   in Loop: Header=BB1256_687 Depth=2
	s_wait_alu 0xfffe
	s_or_b32 exec_lo, exec_lo, s34
	s_delay_alu instid0(SALU_CYCLE_1)
	s_mov_b32 s34, exec_lo
	v_cmpx_lt_u32_e64 v143, v164
	s_cbranch_execnz .LBB1256_863
.LBB1256_797:                           ;   in Loop: Header=BB1256_687 Depth=2
	s_wait_alu 0xfffe
	s_or_b32 exec_lo, exec_lo, s34
	s_delay_alu instid0(SALU_CYCLE_1)
	s_mov_b32 s34, exec_lo
	v_cmpx_lt_u32_e64 v144, v164
	s_cbranch_execnz .LBB1256_864
.LBB1256_798:                           ;   in Loop: Header=BB1256_687 Depth=2
	s_wait_alu 0xfffe
	s_or_b32 exec_lo, exec_lo, s34
	s_and_saveexec_b32 s34, vcc_lo
	s_cbranch_execnz .LBB1256_865
.LBB1256_799:                           ;   in Loop: Header=BB1256_687 Depth=2
	s_wait_alu 0xfffe
	s_or_b32 exec_lo, exec_lo, s34
	s_and_saveexec_b32 s34, s15
	s_cbranch_execnz .LBB1256_866
.LBB1256_800:                           ;   in Loop: Header=BB1256_687 Depth=2
	s_wait_alu 0xfffe
	s_or_b32 exec_lo, exec_lo, s34
	s_and_saveexec_b32 s34, s16
	s_cbranch_execnz .LBB1256_867
.LBB1256_801:                           ;   in Loop: Header=BB1256_687 Depth=2
	s_wait_alu 0xfffe
	s_or_b32 exec_lo, exec_lo, s34
	s_and_saveexec_b32 s34, s17
	s_cbranch_execnz .LBB1256_868
.LBB1256_802:                           ;   in Loop: Header=BB1256_687 Depth=2
	s_wait_alu 0xfffe
	s_or_b32 exec_lo, exec_lo, s34
	s_and_saveexec_b32 s34, s18
	s_cbranch_execnz .LBB1256_869
.LBB1256_803:                           ;   in Loop: Header=BB1256_687 Depth=2
	s_wait_alu 0xfffe
	s_or_b32 exec_lo, exec_lo, s34
	s_and_saveexec_b32 s34, s19
	s_cbranch_execnz .LBB1256_870
.LBB1256_804:                           ;   in Loop: Header=BB1256_687 Depth=2
	s_wait_alu 0xfffe
	s_or_b32 exec_lo, exec_lo, s34
	s_and_saveexec_b32 s34, s20
	s_cbranch_execnz .LBB1256_871
.LBB1256_805:                           ;   in Loop: Header=BB1256_687 Depth=2
	s_wait_alu 0xfffe
	s_or_b32 exec_lo, exec_lo, s34
	s_and_saveexec_b32 s34, s21
	s_cbranch_execnz .LBB1256_872
.LBB1256_806:                           ;   in Loop: Header=BB1256_687 Depth=2
	s_wait_alu 0xfffe
	s_or_b32 exec_lo, exec_lo, s34
	s_and_saveexec_b32 s34, s22
	s_cbranch_execnz .LBB1256_873
.LBB1256_807:                           ;   in Loop: Header=BB1256_687 Depth=2
	s_wait_alu 0xfffe
	s_or_b32 exec_lo, exec_lo, s34
	s_and_saveexec_b32 s34, s23
	s_cbranch_execnz .LBB1256_874
.LBB1256_808:                           ;   in Loop: Header=BB1256_687 Depth=2
	s_wait_alu 0xfffe
	s_or_b32 exec_lo, exec_lo, s34
	s_and_saveexec_b32 s34, s24
	s_cbranch_execnz .LBB1256_875
.LBB1256_809:                           ;   in Loop: Header=BB1256_687 Depth=2
	s_wait_alu 0xfffe
	s_or_b32 exec_lo, exec_lo, s34
	s_and_saveexec_b32 s34, s25
	s_cbranch_execnz .LBB1256_876
.LBB1256_810:                           ;   in Loop: Header=BB1256_687 Depth=2
	s_wait_alu 0xfffe
	s_or_b32 exec_lo, exec_lo, s34
	s_and_saveexec_b32 s34, s26
	s_cbranch_execnz .LBB1256_877
.LBB1256_811:                           ;   in Loop: Header=BB1256_687 Depth=2
	s_wait_alu 0xfffe
	s_or_b32 exec_lo, exec_lo, s34
	s_and_saveexec_b32 s34, s27
	s_cbranch_execnz .LBB1256_878
.LBB1256_812:                           ;   in Loop: Header=BB1256_687 Depth=2
	s_wait_alu 0xfffe
	s_or_b32 exec_lo, exec_lo, s34
	s_and_saveexec_b32 s34, s28
	s_cbranch_execnz .LBB1256_879
.LBB1256_813:                           ;   in Loop: Header=BB1256_687 Depth=2
	s_wait_alu 0xfffe
	s_or_b32 exec_lo, exec_lo, s34
	s_and_saveexec_b32 s34, s29
	s_cbranch_execz .LBB1256_815
.LBB1256_814:                           ;   in Loop: Header=BB1256_687 Depth=2
	ds_load_b64 v[38:39], v110 offset:31744
	s_wait_dscnt 0x0
	v_cmp_ne_u64_e64 s30, s[42:43], v[38:39]
	s_wait_alu 0xf1ff
	s_delay_alu instid0(VALU_DEP_1) | instskip(SKIP_1) | instid1(VALU_DEP_1)
	v_cndmask_b32_e64 v39, 0x80000000, v39, s30
	v_cndmask_b32_e64 v38, 0, v38, s30
	v_lshrrev_b64 v[38:39], s31, v[38:39]
	s_delay_alu instid0(VALU_DEP_1)
	v_and_b32_e32 v148, s56, v38
.LBB1256_815:                           ;   in Loop: Header=BB1256_687 Depth=2
	s_wait_alu 0xfffe
	s_or_b32 exec_lo, exec_lo, s34
	s_wait_loadcnt 0x0
	s_wait_storecnt 0x0
	s_barrier_signal -1
	s_barrier_wait -1
	global_inv scope:SCOPE_SE
	ds_store_b64 v71, v[36:37] offset:1024
	ds_store_b64 v72, v[34:35] offset:1024
	;; [unrolled: 1-line block ×16, first 2 shown]
	s_wait_loadcnt_dscnt 0x0
	s_barrier_signal -1
	s_barrier_wait -1
	global_inv scope:SCOPE_SE
	s_and_saveexec_b32 s30, vcc_lo
	s_cbranch_execnz .LBB1256_880
; %bb.816:                              ;   in Loop: Header=BB1256_687 Depth=2
	s_wait_alu 0xfffe
	s_or_b32 exec_lo, exec_lo, s30
	s_and_saveexec_b32 s30, s15
	s_cbranch_execnz .LBB1256_881
.LBB1256_817:                           ;   in Loop: Header=BB1256_687 Depth=2
	s_wait_alu 0xfffe
	s_or_b32 exec_lo, exec_lo, s30
	s_and_saveexec_b32 s15, s16
	s_cbranch_execnz .LBB1256_882
.LBB1256_818:                           ;   in Loop: Header=BB1256_687 Depth=2
	s_wait_alu 0xfffe
	s_or_b32 exec_lo, exec_lo, s15
	s_and_saveexec_b32 s15, s17
	s_cbranch_execnz .LBB1256_883
.LBB1256_819:                           ;   in Loop: Header=BB1256_687 Depth=2
	s_wait_alu 0xfffe
	s_or_b32 exec_lo, exec_lo, s15
	s_and_saveexec_b32 s15, s18
	s_cbranch_execnz .LBB1256_884
.LBB1256_820:                           ;   in Loop: Header=BB1256_687 Depth=2
	s_wait_alu 0xfffe
	s_or_b32 exec_lo, exec_lo, s15
	s_and_saveexec_b32 s15, s19
	s_cbranch_execnz .LBB1256_885
.LBB1256_821:                           ;   in Loop: Header=BB1256_687 Depth=2
	s_wait_alu 0xfffe
	s_or_b32 exec_lo, exec_lo, s15
	s_and_saveexec_b32 s15, s20
	s_cbranch_execnz .LBB1256_886
.LBB1256_822:                           ;   in Loop: Header=BB1256_687 Depth=2
	s_wait_alu 0xfffe
	s_or_b32 exec_lo, exec_lo, s15
	s_and_saveexec_b32 s15, s21
	s_cbranch_execnz .LBB1256_887
.LBB1256_823:                           ;   in Loop: Header=BB1256_687 Depth=2
	s_wait_alu 0xfffe
	s_or_b32 exec_lo, exec_lo, s15
	s_and_saveexec_b32 s15, s22
	s_cbranch_execnz .LBB1256_888
.LBB1256_824:                           ;   in Loop: Header=BB1256_687 Depth=2
	s_wait_alu 0xfffe
	s_or_b32 exec_lo, exec_lo, s15
	s_and_saveexec_b32 s15, s23
	s_cbranch_execnz .LBB1256_889
.LBB1256_825:                           ;   in Loop: Header=BB1256_687 Depth=2
	s_wait_alu 0xfffe
	s_or_b32 exec_lo, exec_lo, s15
	s_and_saveexec_b32 s15, s24
	s_cbranch_execnz .LBB1256_890
.LBB1256_826:                           ;   in Loop: Header=BB1256_687 Depth=2
	s_wait_alu 0xfffe
	s_or_b32 exec_lo, exec_lo, s15
	s_and_saveexec_b32 s15, s25
	s_cbranch_execnz .LBB1256_891
.LBB1256_827:                           ;   in Loop: Header=BB1256_687 Depth=2
	s_wait_alu 0xfffe
	s_or_b32 exec_lo, exec_lo, s15
	s_and_saveexec_b32 s15, s26
	s_cbranch_execnz .LBB1256_892
.LBB1256_828:                           ;   in Loop: Header=BB1256_687 Depth=2
	s_wait_alu 0xfffe
	s_or_b32 exec_lo, exec_lo, s15
	s_and_saveexec_b32 s15, s27
	s_cbranch_execnz .LBB1256_893
.LBB1256_829:                           ;   in Loop: Header=BB1256_687 Depth=2
	s_wait_alu 0xfffe
	s_or_b32 exec_lo, exec_lo, s15
	s_and_saveexec_b32 s15, s28
	s_cbranch_execnz .LBB1256_894
.LBB1256_830:                           ;   in Loop: Header=BB1256_687 Depth=2
	s_wait_alu 0xfffe
	s_or_b32 exec_lo, exec_lo, s15
	s_and_saveexec_b32 s15, s29
	s_cbranch_execz .LBB1256_832
.LBB1256_831:                           ;   in Loop: Header=BB1256_687 Depth=2
	v_lshlrev_b32_e32 v2, 2, v148
	ds_load_b32 v2, v2
	ds_load_b64 v[38:39], v110 offset:31744
	s_wait_dscnt 0x1
	v_add_nc_u32_e32 v2, v2, v95
	s_delay_alu instid0(VALU_DEP_1) | instskip(NEXT) | instid1(VALU_DEP_1)
	v_lshlrev_b64_e32 v[40:41], 3, v[2:3]
	v_add_co_u32 v40, vcc_lo, s44, v40
	s_wait_alu 0xfffd
	s_delay_alu instid0(VALU_DEP_2)
	v_add_co_ci_u32_e64 v41, null, s45, v41, vcc_lo
	s_wait_dscnt 0x0
	global_store_b64 v[40:41], v[38:39], off
.LBB1256_832:                           ;   in Loop: Header=BB1256_687 Depth=2
	s_wait_alu 0xfffe
	s_or_b32 exec_lo, exec_lo, s15
	s_wait_loadcnt 0x0
	s_wait_storecnt 0x0
	s_barrier_signal -1
	s_barrier_wait -1
	global_inv scope:SCOPE_SE
	s_and_saveexec_b32 s15, s2
	s_cbranch_execz .LBB1256_686
; %bb.833:                              ;   in Loop: Header=BB1256_687 Depth=2
	ds_load_b32 v2, v78
	s_wait_dscnt 0x0
	v_add_nc_u32_e32 v2, v2, v70
	ds_store_b32 v78, v2
	s_branch .LBB1256_686
.LBB1256_834:                           ;   in Loop: Header=BB1256_687 Depth=2
	ds_load_b64 v[38:39], v110 offset:1024
	s_wait_dscnt 0x0
	v_cmp_ne_u64_e64 s15, s[42:43], v[38:39]
	s_wait_alu 0xf1ff
	s_delay_alu instid0(VALU_DEP_1) | instskip(SKIP_2) | instid1(VALU_DEP_2)
	v_cndmask_b32_e64 v45, 0x80000000, v39, s15
	v_cndmask_b32_e64 v44, 0, v38, s15
	v_cmp_lt_i64_e64 s15, -1, v[38:39]
	v_lshrrev_b64 v[44:45], s31, v[44:45]
	s_wait_alu 0xf1ff
	s_delay_alu instid0(VALU_DEP_2) | instskip(NEXT) | instid1(VALU_DEP_2)
	v_cndmask_b32_e64 v46, 0x80000000, -1, s15
	v_and_b32_e32 v2, s56, v44
	v_ashrrev_i32_e32 v44, 31, v39
	s_delay_alu instid0(VALU_DEP_3) | instskip(NEXT) | instid1(VALU_DEP_3)
	v_xor_b32_e32 v39, v46, v39
	v_lshlrev_b32_e32 v2, 2, v2
	s_delay_alu instid0(VALU_DEP_3) | instskip(SKIP_4) | instid1(VALU_DEP_1)
	v_not_b32_e32 v47, v44
	ds_load_b32 v2, v2
	v_xor_b32_e32 v38, v47, v38
	s_wait_dscnt 0x0
	v_add_nc_u32_e32 v2, v2, v1
	v_lshlrev_b64_e32 v[44:45], 3, v[2:3]
	s_delay_alu instid0(VALU_DEP_1) | instskip(SKIP_1) | instid1(VALU_DEP_2)
	v_add_co_u32 v44, s15, s38, v44
	s_wait_alu 0xf1ff
	v_add_co_ci_u32_e64 v45, null, s39, v45, s15
	global_store_b64 v[44:45], v[38:39], off
	s_wait_alu 0xfffe
	s_or_b32 exec_lo, exec_lo, s16
	v_cmp_lt_u32_e64 s15, v79, v164
	s_and_saveexec_b32 s17, s15
	s_cbranch_execz .LBB1256_767
.LBB1256_835:                           ;   in Loop: Header=BB1256_687 Depth=2
	ds_load_b64 v[38:39], v110 offset:3072
	s_wait_dscnt 0x0
	v_cmp_ne_u64_e64 s16, s[42:43], v[38:39]
	s_wait_alu 0xf1ff
	s_delay_alu instid0(VALU_DEP_1) | instskip(SKIP_2) | instid1(VALU_DEP_2)
	v_cndmask_b32_e64 v45, 0x80000000, v39, s16
	v_cndmask_b32_e64 v44, 0, v38, s16
	v_cmp_lt_i64_e64 s16, -1, v[38:39]
	v_lshrrev_b64 v[44:45], s31, v[44:45]
	s_wait_alu 0xf1ff
	s_delay_alu instid0(VALU_DEP_2) | instskip(NEXT) | instid1(VALU_DEP_2)
	v_cndmask_b32_e64 v46, 0x80000000, -1, s16
	v_and_b32_e32 v2, s56, v44
	v_ashrrev_i32_e32 v44, 31, v39
	s_delay_alu instid0(VALU_DEP_3) | instskip(NEXT) | instid1(VALU_DEP_3)
	v_xor_b32_e32 v39, v46, v39
	v_lshlrev_b32_e32 v2, 2, v2
	s_delay_alu instid0(VALU_DEP_3) | instskip(SKIP_4) | instid1(VALU_DEP_1)
	v_not_b32_e32 v47, v44
	ds_load_b32 v2, v2
	v_xor_b32_e32 v38, v47, v38
	s_wait_dscnt 0x0
	v_add_nc_u32_e32 v2, v2, v79
	v_lshlrev_b64_e32 v[44:45], 3, v[2:3]
	s_delay_alu instid0(VALU_DEP_1) | instskip(SKIP_1) | instid1(VALU_DEP_2)
	v_add_co_u32 v44, s16, s38, v44
	s_wait_alu 0xf1ff
	v_add_co_ci_u32_e64 v45, null, s39, v45, s16
	global_store_b64 v[44:45], v[38:39], off
	s_wait_alu 0xfffe
	s_or_b32 exec_lo, exec_lo, s17
	v_cmp_lt_u32_e64 s16, v80, v164
	s_and_saveexec_b32 s18, s16
	s_cbranch_execz .LBB1256_768
.LBB1256_836:                           ;   in Loop: Header=BB1256_687 Depth=2
	ds_load_b64 v[38:39], v110 offset:5120
	s_wait_dscnt 0x0
	v_cmp_ne_u64_e64 s17, s[42:43], v[38:39]
	s_wait_alu 0xf1ff
	s_delay_alu instid0(VALU_DEP_1) | instskip(SKIP_2) | instid1(VALU_DEP_2)
	v_cndmask_b32_e64 v45, 0x80000000, v39, s17
	v_cndmask_b32_e64 v44, 0, v38, s17
	v_cmp_lt_i64_e64 s17, -1, v[38:39]
	v_lshrrev_b64 v[44:45], s31, v[44:45]
	s_wait_alu 0xf1ff
	s_delay_alu instid0(VALU_DEP_2) | instskip(NEXT) | instid1(VALU_DEP_2)
	v_cndmask_b32_e64 v46, 0x80000000, -1, s17
	v_and_b32_e32 v2, s56, v44
	v_ashrrev_i32_e32 v44, 31, v39
	s_delay_alu instid0(VALU_DEP_3) | instskip(NEXT) | instid1(VALU_DEP_3)
	v_xor_b32_e32 v39, v46, v39
	v_lshlrev_b32_e32 v2, 2, v2
	s_delay_alu instid0(VALU_DEP_3) | instskip(SKIP_4) | instid1(VALU_DEP_1)
	v_not_b32_e32 v47, v44
	ds_load_b32 v2, v2
	v_xor_b32_e32 v38, v47, v38
	s_wait_dscnt 0x0
	v_add_nc_u32_e32 v2, v2, v80
	v_lshlrev_b64_e32 v[44:45], 3, v[2:3]
	s_delay_alu instid0(VALU_DEP_1) | instskip(SKIP_1) | instid1(VALU_DEP_2)
	v_add_co_u32 v44, s17, s38, v44
	s_wait_alu 0xf1ff
	v_add_co_ci_u32_e64 v45, null, s39, v45, s17
	global_store_b64 v[44:45], v[38:39], off
	s_wait_alu 0xfffe
	s_or_b32 exec_lo, exec_lo, s18
	v_cmp_lt_u32_e64 s17, v81, v164
	s_and_saveexec_b32 s19, s17
	s_cbranch_execz .LBB1256_769
.LBB1256_837:                           ;   in Loop: Header=BB1256_687 Depth=2
	ds_load_b64 v[38:39], v110 offset:7168
	s_wait_dscnt 0x0
	v_cmp_ne_u64_e64 s18, s[42:43], v[38:39]
	s_wait_alu 0xf1ff
	s_delay_alu instid0(VALU_DEP_1) | instskip(SKIP_2) | instid1(VALU_DEP_2)
	v_cndmask_b32_e64 v45, 0x80000000, v39, s18
	v_cndmask_b32_e64 v44, 0, v38, s18
	v_cmp_lt_i64_e64 s18, -1, v[38:39]
	v_lshrrev_b64 v[44:45], s31, v[44:45]
	s_wait_alu 0xf1ff
	s_delay_alu instid0(VALU_DEP_2) | instskip(NEXT) | instid1(VALU_DEP_2)
	v_cndmask_b32_e64 v46, 0x80000000, -1, s18
	v_and_b32_e32 v2, s56, v44
	v_ashrrev_i32_e32 v44, 31, v39
	s_delay_alu instid0(VALU_DEP_3) | instskip(NEXT) | instid1(VALU_DEP_3)
	v_xor_b32_e32 v39, v46, v39
	v_lshlrev_b32_e32 v2, 2, v2
	s_delay_alu instid0(VALU_DEP_3) | instskip(SKIP_4) | instid1(VALU_DEP_1)
	v_not_b32_e32 v47, v44
	ds_load_b32 v2, v2
	v_xor_b32_e32 v38, v47, v38
	s_wait_dscnt 0x0
	v_add_nc_u32_e32 v2, v2, v81
	v_lshlrev_b64_e32 v[44:45], 3, v[2:3]
	s_delay_alu instid0(VALU_DEP_1) | instskip(SKIP_1) | instid1(VALU_DEP_2)
	v_add_co_u32 v44, s18, s38, v44
	s_wait_alu 0xf1ff
	v_add_co_ci_u32_e64 v45, null, s39, v45, s18
	global_store_b64 v[44:45], v[38:39], off
	s_wait_alu 0xfffe
	s_or_b32 exec_lo, exec_lo, s19
	v_cmp_lt_u32_e64 s18, v84, v164
	s_and_saveexec_b32 s20, s18
	s_cbranch_execz .LBB1256_770
.LBB1256_838:                           ;   in Loop: Header=BB1256_687 Depth=2
	ds_load_b64 v[38:39], v110 offset:9216
	s_wait_dscnt 0x0
	v_cmp_ne_u64_e64 s19, s[42:43], v[38:39]
	s_wait_alu 0xf1ff
	s_delay_alu instid0(VALU_DEP_1) | instskip(SKIP_2) | instid1(VALU_DEP_2)
	v_cndmask_b32_e64 v45, 0x80000000, v39, s19
	v_cndmask_b32_e64 v44, 0, v38, s19
	v_cmp_lt_i64_e64 s19, -1, v[38:39]
	v_lshrrev_b64 v[44:45], s31, v[44:45]
	s_wait_alu 0xf1ff
	s_delay_alu instid0(VALU_DEP_2) | instskip(NEXT) | instid1(VALU_DEP_2)
	v_cndmask_b32_e64 v46, 0x80000000, -1, s19
	v_and_b32_e32 v2, s56, v44
	v_ashrrev_i32_e32 v44, 31, v39
	s_delay_alu instid0(VALU_DEP_3) | instskip(NEXT) | instid1(VALU_DEP_3)
	v_xor_b32_e32 v39, v46, v39
	v_lshlrev_b32_e32 v2, 2, v2
	s_delay_alu instid0(VALU_DEP_3) | instskip(SKIP_4) | instid1(VALU_DEP_1)
	v_not_b32_e32 v47, v44
	ds_load_b32 v2, v2
	v_xor_b32_e32 v38, v47, v38
	s_wait_dscnt 0x0
	v_add_nc_u32_e32 v2, v2, v84
	v_lshlrev_b64_e32 v[44:45], 3, v[2:3]
	s_delay_alu instid0(VALU_DEP_1) | instskip(SKIP_1) | instid1(VALU_DEP_2)
	v_add_co_u32 v44, s19, s38, v44
	s_wait_alu 0xf1ff
	v_add_co_ci_u32_e64 v45, null, s39, v45, s19
	global_store_b64 v[44:45], v[38:39], off
	s_wait_alu 0xfffe
	s_or_b32 exec_lo, exec_lo, s20
	v_cmp_lt_u32_e64 s19, v85, v164
	s_and_saveexec_b32 s21, s19
	s_cbranch_execz .LBB1256_771
.LBB1256_839:                           ;   in Loop: Header=BB1256_687 Depth=2
	ds_load_b64 v[38:39], v110 offset:11264
	s_wait_dscnt 0x0
	v_cmp_ne_u64_e64 s20, s[42:43], v[38:39]
	s_wait_alu 0xf1ff
	s_delay_alu instid0(VALU_DEP_1) | instskip(SKIP_2) | instid1(VALU_DEP_2)
	v_cndmask_b32_e64 v45, 0x80000000, v39, s20
	v_cndmask_b32_e64 v44, 0, v38, s20
	v_cmp_lt_i64_e64 s20, -1, v[38:39]
	v_lshrrev_b64 v[44:45], s31, v[44:45]
	s_wait_alu 0xf1ff
	s_delay_alu instid0(VALU_DEP_2) | instskip(NEXT) | instid1(VALU_DEP_2)
	v_cndmask_b32_e64 v46, 0x80000000, -1, s20
	v_and_b32_e32 v2, s56, v44
	v_ashrrev_i32_e32 v44, 31, v39
	s_delay_alu instid0(VALU_DEP_3) | instskip(NEXT) | instid1(VALU_DEP_3)
	v_xor_b32_e32 v39, v46, v39
	v_lshlrev_b32_e32 v2, 2, v2
	s_delay_alu instid0(VALU_DEP_3) | instskip(SKIP_4) | instid1(VALU_DEP_1)
	v_not_b32_e32 v47, v44
	ds_load_b32 v2, v2
	v_xor_b32_e32 v38, v47, v38
	s_wait_dscnt 0x0
	v_add_nc_u32_e32 v2, v2, v85
	v_lshlrev_b64_e32 v[44:45], 3, v[2:3]
	s_delay_alu instid0(VALU_DEP_1) | instskip(SKIP_1) | instid1(VALU_DEP_2)
	v_add_co_u32 v44, s20, s38, v44
	s_wait_alu 0xf1ff
	v_add_co_ci_u32_e64 v45, null, s39, v45, s20
	global_store_b64 v[44:45], v[38:39], off
	s_wait_alu 0xfffe
	s_or_b32 exec_lo, exec_lo, s21
	v_cmp_lt_u32_e64 s20, v86, v164
	s_and_saveexec_b32 s22, s20
	s_cbranch_execz .LBB1256_772
.LBB1256_840:                           ;   in Loop: Header=BB1256_687 Depth=2
	ds_load_b64 v[38:39], v110 offset:13312
	s_wait_dscnt 0x0
	v_cmp_ne_u64_e64 s21, s[42:43], v[38:39]
	s_wait_alu 0xf1ff
	s_delay_alu instid0(VALU_DEP_1) | instskip(SKIP_2) | instid1(VALU_DEP_2)
	v_cndmask_b32_e64 v45, 0x80000000, v39, s21
	v_cndmask_b32_e64 v44, 0, v38, s21
	v_cmp_lt_i64_e64 s21, -1, v[38:39]
	v_lshrrev_b64 v[44:45], s31, v[44:45]
	s_wait_alu 0xf1ff
	s_delay_alu instid0(VALU_DEP_2) | instskip(NEXT) | instid1(VALU_DEP_2)
	v_cndmask_b32_e64 v46, 0x80000000, -1, s21
	v_and_b32_e32 v2, s56, v44
	v_ashrrev_i32_e32 v44, 31, v39
	s_delay_alu instid0(VALU_DEP_3) | instskip(NEXT) | instid1(VALU_DEP_3)
	v_xor_b32_e32 v39, v46, v39
	v_lshlrev_b32_e32 v2, 2, v2
	s_delay_alu instid0(VALU_DEP_3) | instskip(SKIP_4) | instid1(VALU_DEP_1)
	v_not_b32_e32 v47, v44
	ds_load_b32 v2, v2
	v_xor_b32_e32 v38, v47, v38
	s_wait_dscnt 0x0
	v_add_nc_u32_e32 v2, v2, v86
	v_lshlrev_b64_e32 v[44:45], 3, v[2:3]
	s_delay_alu instid0(VALU_DEP_1) | instskip(SKIP_1) | instid1(VALU_DEP_2)
	v_add_co_u32 v44, s21, s38, v44
	s_wait_alu 0xf1ff
	v_add_co_ci_u32_e64 v45, null, s39, v45, s21
	global_store_b64 v[44:45], v[38:39], off
	s_wait_alu 0xfffe
	s_or_b32 exec_lo, exec_lo, s22
	v_cmp_lt_u32_e64 s21, v87, v164
	s_and_saveexec_b32 s23, s21
	s_cbranch_execz .LBB1256_773
.LBB1256_841:                           ;   in Loop: Header=BB1256_687 Depth=2
	ds_load_b64 v[38:39], v110 offset:15360
	s_wait_dscnt 0x0
	v_cmp_ne_u64_e64 s22, s[42:43], v[38:39]
	s_wait_alu 0xf1ff
	s_delay_alu instid0(VALU_DEP_1) | instskip(SKIP_2) | instid1(VALU_DEP_2)
	v_cndmask_b32_e64 v45, 0x80000000, v39, s22
	v_cndmask_b32_e64 v44, 0, v38, s22
	v_cmp_lt_i64_e64 s22, -1, v[38:39]
	v_lshrrev_b64 v[44:45], s31, v[44:45]
	s_wait_alu 0xf1ff
	s_delay_alu instid0(VALU_DEP_2) | instskip(NEXT) | instid1(VALU_DEP_2)
	v_cndmask_b32_e64 v46, 0x80000000, -1, s22
	v_and_b32_e32 v2, s56, v44
	v_ashrrev_i32_e32 v44, 31, v39
	s_delay_alu instid0(VALU_DEP_3) | instskip(NEXT) | instid1(VALU_DEP_3)
	v_xor_b32_e32 v39, v46, v39
	v_lshlrev_b32_e32 v2, 2, v2
	s_delay_alu instid0(VALU_DEP_3) | instskip(SKIP_4) | instid1(VALU_DEP_1)
	v_not_b32_e32 v47, v44
	ds_load_b32 v2, v2
	v_xor_b32_e32 v38, v47, v38
	s_wait_dscnt 0x0
	v_add_nc_u32_e32 v2, v2, v87
	v_lshlrev_b64_e32 v[44:45], 3, v[2:3]
	s_delay_alu instid0(VALU_DEP_1) | instskip(SKIP_1) | instid1(VALU_DEP_2)
	v_add_co_u32 v44, s22, s38, v44
	s_wait_alu 0xf1ff
	v_add_co_ci_u32_e64 v45, null, s39, v45, s22
	global_store_b64 v[44:45], v[38:39], off
	s_wait_alu 0xfffe
	s_or_b32 exec_lo, exec_lo, s23
	v_cmp_lt_u32_e64 s22, v88, v164
	s_and_saveexec_b32 s24, s22
	s_cbranch_execz .LBB1256_774
.LBB1256_842:                           ;   in Loop: Header=BB1256_687 Depth=2
	ds_load_b64 v[38:39], v110 offset:17408
	s_wait_dscnt 0x0
	v_cmp_ne_u64_e64 s23, s[42:43], v[38:39]
	s_wait_alu 0xf1ff
	s_delay_alu instid0(VALU_DEP_1) | instskip(SKIP_2) | instid1(VALU_DEP_2)
	v_cndmask_b32_e64 v45, 0x80000000, v39, s23
	v_cndmask_b32_e64 v44, 0, v38, s23
	v_cmp_lt_i64_e64 s23, -1, v[38:39]
	v_lshrrev_b64 v[44:45], s31, v[44:45]
	s_wait_alu 0xf1ff
	s_delay_alu instid0(VALU_DEP_2) | instskip(NEXT) | instid1(VALU_DEP_2)
	v_cndmask_b32_e64 v46, 0x80000000, -1, s23
	v_and_b32_e32 v2, s56, v44
	v_ashrrev_i32_e32 v44, 31, v39
	s_delay_alu instid0(VALU_DEP_3) | instskip(NEXT) | instid1(VALU_DEP_3)
	v_xor_b32_e32 v39, v46, v39
	v_lshlrev_b32_e32 v2, 2, v2
	s_delay_alu instid0(VALU_DEP_3) | instskip(SKIP_4) | instid1(VALU_DEP_1)
	v_not_b32_e32 v47, v44
	ds_load_b32 v2, v2
	v_xor_b32_e32 v38, v47, v38
	s_wait_dscnt 0x0
	v_add_nc_u32_e32 v2, v2, v88
	v_lshlrev_b64_e32 v[44:45], 3, v[2:3]
	s_delay_alu instid0(VALU_DEP_1) | instskip(SKIP_1) | instid1(VALU_DEP_2)
	v_add_co_u32 v44, s23, s38, v44
	s_wait_alu 0xf1ff
	v_add_co_ci_u32_e64 v45, null, s39, v45, s23
	global_store_b64 v[44:45], v[38:39], off
	s_wait_alu 0xfffe
	s_or_b32 exec_lo, exec_lo, s24
	v_cmp_lt_u32_e64 s23, v89, v164
	s_and_saveexec_b32 s25, s23
	s_cbranch_execz .LBB1256_775
.LBB1256_843:                           ;   in Loop: Header=BB1256_687 Depth=2
	ds_load_b64 v[38:39], v110 offset:19456
	s_wait_dscnt 0x0
	v_cmp_ne_u64_e64 s24, s[42:43], v[38:39]
	s_wait_alu 0xf1ff
	s_delay_alu instid0(VALU_DEP_1) | instskip(SKIP_2) | instid1(VALU_DEP_2)
	v_cndmask_b32_e64 v45, 0x80000000, v39, s24
	v_cndmask_b32_e64 v44, 0, v38, s24
	v_cmp_lt_i64_e64 s24, -1, v[38:39]
	v_lshrrev_b64 v[44:45], s31, v[44:45]
	s_wait_alu 0xf1ff
	s_delay_alu instid0(VALU_DEP_2) | instskip(NEXT) | instid1(VALU_DEP_2)
	v_cndmask_b32_e64 v46, 0x80000000, -1, s24
	v_and_b32_e32 v2, s56, v44
	v_ashrrev_i32_e32 v44, 31, v39
	s_delay_alu instid0(VALU_DEP_3) | instskip(NEXT) | instid1(VALU_DEP_3)
	v_xor_b32_e32 v39, v46, v39
	v_lshlrev_b32_e32 v2, 2, v2
	s_delay_alu instid0(VALU_DEP_3) | instskip(SKIP_4) | instid1(VALU_DEP_1)
	v_not_b32_e32 v47, v44
	ds_load_b32 v2, v2
	v_xor_b32_e32 v38, v47, v38
	s_wait_dscnt 0x0
	v_add_nc_u32_e32 v2, v2, v89
	v_lshlrev_b64_e32 v[44:45], 3, v[2:3]
	s_delay_alu instid0(VALU_DEP_1) | instskip(SKIP_1) | instid1(VALU_DEP_2)
	v_add_co_u32 v44, s24, s38, v44
	s_wait_alu 0xf1ff
	v_add_co_ci_u32_e64 v45, null, s39, v45, s24
	global_store_b64 v[44:45], v[38:39], off
	s_wait_alu 0xfffe
	s_or_b32 exec_lo, exec_lo, s25
	v_cmp_lt_u32_e64 s24, v90, v164
	s_and_saveexec_b32 s26, s24
	s_cbranch_execz .LBB1256_776
.LBB1256_844:                           ;   in Loop: Header=BB1256_687 Depth=2
	ds_load_b64 v[38:39], v110 offset:21504
	s_wait_dscnt 0x0
	v_cmp_ne_u64_e64 s25, s[42:43], v[38:39]
	s_wait_alu 0xf1ff
	s_delay_alu instid0(VALU_DEP_1) | instskip(SKIP_2) | instid1(VALU_DEP_2)
	v_cndmask_b32_e64 v45, 0x80000000, v39, s25
	v_cndmask_b32_e64 v44, 0, v38, s25
	v_cmp_lt_i64_e64 s25, -1, v[38:39]
	v_lshrrev_b64 v[44:45], s31, v[44:45]
	s_wait_alu 0xf1ff
	s_delay_alu instid0(VALU_DEP_2) | instskip(NEXT) | instid1(VALU_DEP_2)
	v_cndmask_b32_e64 v46, 0x80000000, -1, s25
	v_and_b32_e32 v2, s56, v44
	v_ashrrev_i32_e32 v44, 31, v39
	s_delay_alu instid0(VALU_DEP_3) | instskip(NEXT) | instid1(VALU_DEP_3)
	v_xor_b32_e32 v39, v46, v39
	v_lshlrev_b32_e32 v2, 2, v2
	s_delay_alu instid0(VALU_DEP_3) | instskip(SKIP_4) | instid1(VALU_DEP_1)
	v_not_b32_e32 v47, v44
	ds_load_b32 v2, v2
	v_xor_b32_e32 v38, v47, v38
	s_wait_dscnt 0x0
	v_add_nc_u32_e32 v2, v2, v90
	v_lshlrev_b64_e32 v[44:45], 3, v[2:3]
	s_delay_alu instid0(VALU_DEP_1) | instskip(SKIP_1) | instid1(VALU_DEP_2)
	v_add_co_u32 v44, s25, s38, v44
	s_wait_alu 0xf1ff
	v_add_co_ci_u32_e64 v45, null, s39, v45, s25
	global_store_b64 v[44:45], v[38:39], off
	s_wait_alu 0xfffe
	s_or_b32 exec_lo, exec_lo, s26
	v_cmp_lt_u32_e64 s25, v91, v164
	s_and_saveexec_b32 s27, s25
	s_cbranch_execz .LBB1256_777
.LBB1256_845:                           ;   in Loop: Header=BB1256_687 Depth=2
	ds_load_b64 v[38:39], v110 offset:23552
	s_wait_dscnt 0x0
	v_cmp_ne_u64_e64 s26, s[42:43], v[38:39]
	s_wait_alu 0xf1ff
	s_delay_alu instid0(VALU_DEP_1) | instskip(SKIP_2) | instid1(VALU_DEP_2)
	v_cndmask_b32_e64 v45, 0x80000000, v39, s26
	v_cndmask_b32_e64 v44, 0, v38, s26
	v_cmp_lt_i64_e64 s26, -1, v[38:39]
	v_lshrrev_b64 v[44:45], s31, v[44:45]
	s_wait_alu 0xf1ff
	s_delay_alu instid0(VALU_DEP_2) | instskip(NEXT) | instid1(VALU_DEP_2)
	v_cndmask_b32_e64 v46, 0x80000000, -1, s26
	v_and_b32_e32 v2, s56, v44
	v_ashrrev_i32_e32 v44, 31, v39
	s_delay_alu instid0(VALU_DEP_3) | instskip(NEXT) | instid1(VALU_DEP_3)
	v_xor_b32_e32 v39, v46, v39
	v_lshlrev_b32_e32 v2, 2, v2
	s_delay_alu instid0(VALU_DEP_3) | instskip(SKIP_4) | instid1(VALU_DEP_1)
	v_not_b32_e32 v47, v44
	ds_load_b32 v2, v2
	v_xor_b32_e32 v38, v47, v38
	s_wait_dscnt 0x0
	v_add_nc_u32_e32 v2, v2, v91
	v_lshlrev_b64_e32 v[44:45], 3, v[2:3]
	s_delay_alu instid0(VALU_DEP_1) | instskip(SKIP_1) | instid1(VALU_DEP_2)
	v_add_co_u32 v44, s26, s38, v44
	s_wait_alu 0xf1ff
	v_add_co_ci_u32_e64 v45, null, s39, v45, s26
	global_store_b64 v[44:45], v[38:39], off
	s_wait_alu 0xfffe
	s_or_b32 exec_lo, exec_lo, s27
	v_cmp_lt_u32_e64 s26, v92, v164
	s_and_saveexec_b32 s28, s26
	s_cbranch_execz .LBB1256_778
.LBB1256_846:                           ;   in Loop: Header=BB1256_687 Depth=2
	ds_load_b64 v[38:39], v110 offset:25600
	s_wait_dscnt 0x0
	v_cmp_ne_u64_e64 s27, s[42:43], v[38:39]
	s_wait_alu 0xf1ff
	s_delay_alu instid0(VALU_DEP_1) | instskip(SKIP_2) | instid1(VALU_DEP_2)
	v_cndmask_b32_e64 v45, 0x80000000, v39, s27
	v_cndmask_b32_e64 v44, 0, v38, s27
	v_cmp_lt_i64_e64 s27, -1, v[38:39]
	v_lshrrev_b64 v[44:45], s31, v[44:45]
	s_wait_alu 0xf1ff
	s_delay_alu instid0(VALU_DEP_2) | instskip(NEXT) | instid1(VALU_DEP_2)
	v_cndmask_b32_e64 v46, 0x80000000, -1, s27
	v_and_b32_e32 v2, s56, v44
	v_ashrrev_i32_e32 v44, 31, v39
	s_delay_alu instid0(VALU_DEP_3) | instskip(NEXT) | instid1(VALU_DEP_3)
	v_xor_b32_e32 v39, v46, v39
	v_lshlrev_b32_e32 v2, 2, v2
	s_delay_alu instid0(VALU_DEP_3) | instskip(SKIP_4) | instid1(VALU_DEP_1)
	v_not_b32_e32 v47, v44
	ds_load_b32 v2, v2
	v_xor_b32_e32 v38, v47, v38
	s_wait_dscnt 0x0
	v_add_nc_u32_e32 v2, v2, v92
	v_lshlrev_b64_e32 v[44:45], 3, v[2:3]
	s_delay_alu instid0(VALU_DEP_1) | instskip(SKIP_1) | instid1(VALU_DEP_2)
	v_add_co_u32 v44, s27, s38, v44
	s_wait_alu 0xf1ff
	v_add_co_ci_u32_e64 v45, null, s39, v45, s27
	global_store_b64 v[44:45], v[38:39], off
	s_wait_alu 0xfffe
	s_or_b32 exec_lo, exec_lo, s28
	v_cmp_lt_u32_e64 s27, v93, v164
	s_and_saveexec_b32 s29, s27
	s_cbranch_execz .LBB1256_779
.LBB1256_847:                           ;   in Loop: Header=BB1256_687 Depth=2
	ds_load_b64 v[38:39], v110 offset:27648
	s_wait_dscnt 0x0
	v_cmp_ne_u64_e64 s28, s[42:43], v[38:39]
	s_wait_alu 0xf1ff
	s_delay_alu instid0(VALU_DEP_1) | instskip(SKIP_2) | instid1(VALU_DEP_2)
	v_cndmask_b32_e64 v45, 0x80000000, v39, s28
	v_cndmask_b32_e64 v44, 0, v38, s28
	v_cmp_lt_i64_e64 s28, -1, v[38:39]
	v_lshrrev_b64 v[44:45], s31, v[44:45]
	s_wait_alu 0xf1ff
	s_delay_alu instid0(VALU_DEP_2) | instskip(NEXT) | instid1(VALU_DEP_2)
	v_cndmask_b32_e64 v46, 0x80000000, -1, s28
	v_and_b32_e32 v2, s56, v44
	v_ashrrev_i32_e32 v44, 31, v39
	s_delay_alu instid0(VALU_DEP_3) | instskip(NEXT) | instid1(VALU_DEP_3)
	v_xor_b32_e32 v39, v46, v39
	v_lshlrev_b32_e32 v2, 2, v2
	s_delay_alu instid0(VALU_DEP_3) | instskip(SKIP_4) | instid1(VALU_DEP_1)
	v_not_b32_e32 v47, v44
	ds_load_b32 v2, v2
	v_xor_b32_e32 v38, v47, v38
	s_wait_dscnt 0x0
	v_add_nc_u32_e32 v2, v2, v93
	v_lshlrev_b64_e32 v[44:45], 3, v[2:3]
	s_delay_alu instid0(VALU_DEP_1) | instskip(SKIP_1) | instid1(VALU_DEP_2)
	v_add_co_u32 v44, s28, s38, v44
	s_wait_alu 0xf1ff
	v_add_co_ci_u32_e64 v45, null, s39, v45, s28
	global_store_b64 v[44:45], v[38:39], off
	s_wait_alu 0xfffe
	s_or_b32 exec_lo, exec_lo, s29
	v_cmp_lt_u32_e64 s28, v94, v164
	s_and_saveexec_b32 s30, s28
	s_cbranch_execz .LBB1256_780
.LBB1256_848:                           ;   in Loop: Header=BB1256_687 Depth=2
	ds_load_b64 v[38:39], v110 offset:29696
	s_wait_dscnt 0x0
	v_cmp_ne_u64_e64 s29, s[42:43], v[38:39]
	s_wait_alu 0xf1ff
	s_delay_alu instid0(VALU_DEP_1) | instskip(SKIP_2) | instid1(VALU_DEP_2)
	v_cndmask_b32_e64 v45, 0x80000000, v39, s29
	v_cndmask_b32_e64 v44, 0, v38, s29
	v_cmp_lt_i64_e64 s29, -1, v[38:39]
	v_lshrrev_b64 v[44:45], s31, v[44:45]
	s_wait_alu 0xf1ff
	s_delay_alu instid0(VALU_DEP_2) | instskip(NEXT) | instid1(VALU_DEP_2)
	v_cndmask_b32_e64 v46, 0x80000000, -1, s29
	v_and_b32_e32 v2, s56, v44
	v_ashrrev_i32_e32 v44, 31, v39
	s_delay_alu instid0(VALU_DEP_3) | instskip(NEXT) | instid1(VALU_DEP_3)
	v_xor_b32_e32 v39, v46, v39
	v_lshlrev_b32_e32 v2, 2, v2
	s_delay_alu instid0(VALU_DEP_3) | instskip(SKIP_4) | instid1(VALU_DEP_1)
	v_not_b32_e32 v47, v44
	ds_load_b32 v2, v2
	v_xor_b32_e32 v38, v47, v38
	s_wait_dscnt 0x0
	v_add_nc_u32_e32 v2, v2, v94
	v_lshlrev_b64_e32 v[44:45], 3, v[2:3]
	s_delay_alu instid0(VALU_DEP_1) | instskip(SKIP_1) | instid1(VALU_DEP_2)
	v_add_co_u32 v44, s29, s38, v44
	s_wait_alu 0xf1ff
	v_add_co_ci_u32_e64 v45, null, s39, v45, s29
	global_store_b64 v[44:45], v[38:39], off
	s_wait_alu 0xfffe
	s_or_b32 exec_lo, exec_lo, s30
	v_cmp_lt_u32_e64 s29, v95, v164
	s_and_saveexec_b32 s59, s29
	s_cbranch_execnz .LBB1256_781
	s_branch .LBB1256_782
.LBB1256_849:                           ;   in Loop: Header=BB1256_687 Depth=2
	global_load_b64 v[36:37], v[38:39], off
	s_wait_alu 0xfffe
	s_or_b32 exec_lo, exec_lo, s30
	s_delay_alu instid0(SALU_CYCLE_1)
	s_mov_b32 s34, exec_lo
	v_cmpx_lt_u32_e64 v130, v164
	s_cbranch_execz .LBB1256_784
.LBB1256_850:                           ;   in Loop: Header=BB1256_687 Depth=2
	global_load_b64 v[34:35], v[38:39], off offset:256
	s_wait_alu 0xfffe
	s_or_b32 exec_lo, exec_lo, s34
	s_delay_alu instid0(SALU_CYCLE_1)
	s_mov_b32 s34, exec_lo
	v_cmpx_lt_u32_e64 v131, v164
	s_cbranch_execz .LBB1256_785
.LBB1256_851:                           ;   in Loop: Header=BB1256_687 Depth=2
	global_load_b64 v[32:33], v[38:39], off offset:512
	s_wait_alu 0xfffe
	s_or_b32 exec_lo, exec_lo, s34
	s_delay_alu instid0(SALU_CYCLE_1)
	s_mov_b32 s34, exec_lo
	v_cmpx_lt_u32_e64 v132, v164
	s_cbranch_execz .LBB1256_786
.LBB1256_852:                           ;   in Loop: Header=BB1256_687 Depth=2
	global_load_b64 v[30:31], v[38:39], off offset:768
	s_wait_alu 0xfffe
	s_or_b32 exec_lo, exec_lo, s34
	s_delay_alu instid0(SALU_CYCLE_1)
	s_mov_b32 s34, exec_lo
	v_cmpx_lt_u32_e64 v133, v164
	s_cbranch_execz .LBB1256_787
.LBB1256_853:                           ;   in Loop: Header=BB1256_687 Depth=2
	global_load_b64 v[28:29], v[38:39], off offset:1024
	s_wait_alu 0xfffe
	s_or_b32 exec_lo, exec_lo, s34
	s_delay_alu instid0(SALU_CYCLE_1)
	s_mov_b32 s34, exec_lo
	v_cmpx_lt_u32_e64 v134, v164
	s_cbranch_execz .LBB1256_788
.LBB1256_854:                           ;   in Loop: Header=BB1256_687 Depth=2
	global_load_b64 v[26:27], v[38:39], off offset:1280
	s_wait_alu 0xfffe
	s_or_b32 exec_lo, exec_lo, s34
	s_delay_alu instid0(SALU_CYCLE_1)
	s_mov_b32 s34, exec_lo
	v_cmpx_lt_u32_e64 v135, v164
	s_cbranch_execz .LBB1256_789
.LBB1256_855:                           ;   in Loop: Header=BB1256_687 Depth=2
	global_load_b64 v[24:25], v[38:39], off offset:1536
	s_wait_alu 0xfffe
	s_or_b32 exec_lo, exec_lo, s34
	s_delay_alu instid0(SALU_CYCLE_1)
	s_mov_b32 s34, exec_lo
	v_cmpx_lt_u32_e64 v136, v164
	s_cbranch_execz .LBB1256_790
.LBB1256_856:                           ;   in Loop: Header=BB1256_687 Depth=2
	global_load_b64 v[22:23], v[38:39], off offset:1792
	s_wait_alu 0xfffe
	s_or_b32 exec_lo, exec_lo, s34
	s_delay_alu instid0(SALU_CYCLE_1)
	s_mov_b32 s34, exec_lo
	v_cmpx_lt_u32_e64 v137, v164
	s_cbranch_execz .LBB1256_791
.LBB1256_857:                           ;   in Loop: Header=BB1256_687 Depth=2
	global_load_b64 v[20:21], v[38:39], off offset:2048
	s_wait_alu 0xfffe
	s_or_b32 exec_lo, exec_lo, s34
	s_delay_alu instid0(SALU_CYCLE_1)
	s_mov_b32 s34, exec_lo
	v_cmpx_lt_u32_e64 v138, v164
	s_cbranch_execz .LBB1256_792
.LBB1256_858:                           ;   in Loop: Header=BB1256_687 Depth=2
	global_load_b64 v[18:19], v[38:39], off offset:2304
	s_wait_alu 0xfffe
	s_or_b32 exec_lo, exec_lo, s34
	s_delay_alu instid0(SALU_CYCLE_1)
	s_mov_b32 s34, exec_lo
	v_cmpx_lt_u32_e64 v139, v164
	s_cbranch_execz .LBB1256_793
.LBB1256_859:                           ;   in Loop: Header=BB1256_687 Depth=2
	global_load_b64 v[16:17], v[38:39], off offset:2560
	s_wait_alu 0xfffe
	s_or_b32 exec_lo, exec_lo, s34
	s_delay_alu instid0(SALU_CYCLE_1)
	s_mov_b32 s34, exec_lo
	v_cmpx_lt_u32_e64 v140, v164
	s_cbranch_execz .LBB1256_794
.LBB1256_860:                           ;   in Loop: Header=BB1256_687 Depth=2
	global_load_b64 v[14:15], v[38:39], off offset:2816
	s_wait_alu 0xfffe
	s_or_b32 exec_lo, exec_lo, s34
	s_delay_alu instid0(SALU_CYCLE_1)
	s_mov_b32 s34, exec_lo
	v_cmpx_lt_u32_e64 v141, v164
	s_cbranch_execz .LBB1256_795
.LBB1256_861:                           ;   in Loop: Header=BB1256_687 Depth=2
	global_load_b64 v[12:13], v[38:39], off offset:3072
	s_wait_alu 0xfffe
	s_or_b32 exec_lo, exec_lo, s34
	s_delay_alu instid0(SALU_CYCLE_1)
	s_mov_b32 s34, exec_lo
	v_cmpx_lt_u32_e64 v142, v164
	s_cbranch_execz .LBB1256_796
.LBB1256_862:                           ;   in Loop: Header=BB1256_687 Depth=2
	global_load_b64 v[10:11], v[38:39], off offset:3328
	s_wait_alu 0xfffe
	s_or_b32 exec_lo, exec_lo, s34
	s_delay_alu instid0(SALU_CYCLE_1)
	s_mov_b32 s34, exec_lo
	v_cmpx_lt_u32_e64 v143, v164
	s_cbranch_execz .LBB1256_797
.LBB1256_863:                           ;   in Loop: Header=BB1256_687 Depth=2
	global_load_b64 v[8:9], v[38:39], off offset:3584
	s_wait_alu 0xfffe
	s_or_b32 exec_lo, exec_lo, s34
	s_delay_alu instid0(SALU_CYCLE_1)
	s_mov_b32 s34, exec_lo
	v_cmpx_lt_u32_e64 v144, v164
	s_cbranch_execz .LBB1256_798
.LBB1256_864:                           ;   in Loop: Header=BB1256_687 Depth=2
	global_load_b64 v[6:7], v[38:39], off offset:3840
	s_wait_alu 0xfffe
	s_or_b32 exec_lo, exec_lo, s34
	s_and_saveexec_b32 s34, vcc_lo
	s_cbranch_execz .LBB1256_799
.LBB1256_865:                           ;   in Loop: Header=BB1256_687 Depth=2
	ds_load_b64 v[38:39], v110 offset:1024
	s_wait_dscnt 0x0
	v_cmp_ne_u64_e64 s30, s[42:43], v[38:39]
	s_wait_alu 0xf1ff
	s_delay_alu instid0(VALU_DEP_1) | instskip(SKIP_1) | instid1(VALU_DEP_1)
	v_cndmask_b32_e64 v39, 0x80000000, v39, s30
	v_cndmask_b32_e64 v38, 0, v38, s30
	v_lshrrev_b64 v[38:39], s31, v[38:39]
	s_delay_alu instid0(VALU_DEP_1)
	v_and_b32_e32 v163, s56, v38
	s_wait_alu 0xfffe
	s_or_b32 exec_lo, exec_lo, s34
	s_and_saveexec_b32 s34, s15
	s_cbranch_execz .LBB1256_800
.LBB1256_866:                           ;   in Loop: Header=BB1256_687 Depth=2
	ds_load_b64 v[38:39], v110 offset:3072
	s_wait_dscnt 0x0
	v_cmp_ne_u64_e64 s30, s[42:43], v[38:39]
	s_wait_alu 0xf1ff
	s_delay_alu instid0(VALU_DEP_1) | instskip(SKIP_1) | instid1(VALU_DEP_1)
	v_cndmask_b32_e64 v39, 0x80000000, v39, s30
	v_cndmask_b32_e64 v38, 0, v38, s30
	v_lshrrev_b64 v[38:39], s31, v[38:39]
	s_delay_alu instid0(VALU_DEP_1)
	v_and_b32_e32 v162, s56, v38
	s_wait_alu 0xfffe
	s_or_b32 exec_lo, exec_lo, s34
	s_and_saveexec_b32 s34, s16
	s_cbranch_execz .LBB1256_801
.LBB1256_867:                           ;   in Loop: Header=BB1256_687 Depth=2
	ds_load_b64 v[38:39], v110 offset:5120
	s_wait_dscnt 0x0
	v_cmp_ne_u64_e64 s30, s[42:43], v[38:39]
	s_wait_alu 0xf1ff
	s_delay_alu instid0(VALU_DEP_1) | instskip(SKIP_1) | instid1(VALU_DEP_1)
	v_cndmask_b32_e64 v39, 0x80000000, v39, s30
	v_cndmask_b32_e64 v38, 0, v38, s30
	v_lshrrev_b64 v[38:39], s31, v[38:39]
	s_delay_alu instid0(VALU_DEP_1)
	v_and_b32_e32 v161, s56, v38
	s_wait_alu 0xfffe
	s_or_b32 exec_lo, exec_lo, s34
	s_and_saveexec_b32 s34, s17
	s_cbranch_execz .LBB1256_802
.LBB1256_868:                           ;   in Loop: Header=BB1256_687 Depth=2
	ds_load_b64 v[38:39], v110 offset:7168
	s_wait_dscnt 0x0
	v_cmp_ne_u64_e64 s30, s[42:43], v[38:39]
	s_wait_alu 0xf1ff
	s_delay_alu instid0(VALU_DEP_1) | instskip(SKIP_1) | instid1(VALU_DEP_1)
	v_cndmask_b32_e64 v39, 0x80000000, v39, s30
	v_cndmask_b32_e64 v38, 0, v38, s30
	v_lshrrev_b64 v[38:39], s31, v[38:39]
	s_delay_alu instid0(VALU_DEP_1)
	v_and_b32_e32 v160, s56, v38
	s_wait_alu 0xfffe
	s_or_b32 exec_lo, exec_lo, s34
	s_and_saveexec_b32 s34, s18
	s_cbranch_execz .LBB1256_803
.LBB1256_869:                           ;   in Loop: Header=BB1256_687 Depth=2
	ds_load_b64 v[38:39], v110 offset:9216
	s_wait_dscnt 0x0
	v_cmp_ne_u64_e64 s30, s[42:43], v[38:39]
	s_wait_alu 0xf1ff
	s_delay_alu instid0(VALU_DEP_1) | instskip(SKIP_1) | instid1(VALU_DEP_1)
	v_cndmask_b32_e64 v39, 0x80000000, v39, s30
	v_cndmask_b32_e64 v38, 0, v38, s30
	v_lshrrev_b64 v[38:39], s31, v[38:39]
	s_delay_alu instid0(VALU_DEP_1)
	v_and_b32_e32 v159, s56, v38
	s_wait_alu 0xfffe
	s_or_b32 exec_lo, exec_lo, s34
	s_and_saveexec_b32 s34, s19
	s_cbranch_execz .LBB1256_804
.LBB1256_870:                           ;   in Loop: Header=BB1256_687 Depth=2
	ds_load_b64 v[38:39], v110 offset:11264
	s_wait_dscnt 0x0
	v_cmp_ne_u64_e64 s30, s[42:43], v[38:39]
	s_wait_alu 0xf1ff
	s_delay_alu instid0(VALU_DEP_1) | instskip(SKIP_1) | instid1(VALU_DEP_1)
	v_cndmask_b32_e64 v39, 0x80000000, v39, s30
	v_cndmask_b32_e64 v38, 0, v38, s30
	v_lshrrev_b64 v[38:39], s31, v[38:39]
	s_delay_alu instid0(VALU_DEP_1)
	v_and_b32_e32 v158, s56, v38
	s_wait_alu 0xfffe
	s_or_b32 exec_lo, exec_lo, s34
	s_and_saveexec_b32 s34, s20
	s_cbranch_execz .LBB1256_805
.LBB1256_871:                           ;   in Loop: Header=BB1256_687 Depth=2
	ds_load_b64 v[38:39], v110 offset:13312
	s_wait_dscnt 0x0
	v_cmp_ne_u64_e64 s30, s[42:43], v[38:39]
	s_wait_alu 0xf1ff
	s_delay_alu instid0(VALU_DEP_1) | instskip(SKIP_1) | instid1(VALU_DEP_1)
	v_cndmask_b32_e64 v39, 0x80000000, v39, s30
	v_cndmask_b32_e64 v38, 0, v38, s30
	v_lshrrev_b64 v[38:39], s31, v[38:39]
	s_delay_alu instid0(VALU_DEP_1)
	v_and_b32_e32 v157, s56, v38
	s_wait_alu 0xfffe
	s_or_b32 exec_lo, exec_lo, s34
	s_and_saveexec_b32 s34, s21
	s_cbranch_execz .LBB1256_806
.LBB1256_872:                           ;   in Loop: Header=BB1256_687 Depth=2
	ds_load_b64 v[38:39], v110 offset:15360
	s_wait_dscnt 0x0
	v_cmp_ne_u64_e64 s30, s[42:43], v[38:39]
	s_wait_alu 0xf1ff
	s_delay_alu instid0(VALU_DEP_1) | instskip(SKIP_1) | instid1(VALU_DEP_1)
	v_cndmask_b32_e64 v39, 0x80000000, v39, s30
	v_cndmask_b32_e64 v38, 0, v38, s30
	v_lshrrev_b64 v[38:39], s31, v[38:39]
	s_delay_alu instid0(VALU_DEP_1)
	v_and_b32_e32 v156, s56, v38
	s_wait_alu 0xfffe
	s_or_b32 exec_lo, exec_lo, s34
	s_and_saveexec_b32 s34, s22
	s_cbranch_execz .LBB1256_807
.LBB1256_873:                           ;   in Loop: Header=BB1256_687 Depth=2
	ds_load_b64 v[38:39], v110 offset:17408
	s_wait_dscnt 0x0
	v_cmp_ne_u64_e64 s30, s[42:43], v[38:39]
	s_wait_alu 0xf1ff
	s_delay_alu instid0(VALU_DEP_1) | instskip(SKIP_1) | instid1(VALU_DEP_1)
	v_cndmask_b32_e64 v39, 0x80000000, v39, s30
	v_cndmask_b32_e64 v38, 0, v38, s30
	v_lshrrev_b64 v[38:39], s31, v[38:39]
	s_delay_alu instid0(VALU_DEP_1)
	v_and_b32_e32 v155, s56, v38
	s_wait_alu 0xfffe
	s_or_b32 exec_lo, exec_lo, s34
	s_and_saveexec_b32 s34, s23
	s_cbranch_execz .LBB1256_808
.LBB1256_874:                           ;   in Loop: Header=BB1256_687 Depth=2
	ds_load_b64 v[38:39], v110 offset:19456
	s_wait_dscnt 0x0
	v_cmp_ne_u64_e64 s30, s[42:43], v[38:39]
	s_wait_alu 0xf1ff
	s_delay_alu instid0(VALU_DEP_1) | instskip(SKIP_1) | instid1(VALU_DEP_1)
	v_cndmask_b32_e64 v39, 0x80000000, v39, s30
	v_cndmask_b32_e64 v38, 0, v38, s30
	v_lshrrev_b64 v[38:39], s31, v[38:39]
	s_delay_alu instid0(VALU_DEP_1)
	v_and_b32_e32 v154, s56, v38
	s_wait_alu 0xfffe
	s_or_b32 exec_lo, exec_lo, s34
	s_and_saveexec_b32 s34, s24
	s_cbranch_execz .LBB1256_809
.LBB1256_875:                           ;   in Loop: Header=BB1256_687 Depth=2
	ds_load_b64 v[38:39], v110 offset:21504
	s_wait_dscnt 0x0
	v_cmp_ne_u64_e64 s30, s[42:43], v[38:39]
	s_wait_alu 0xf1ff
	s_delay_alu instid0(VALU_DEP_1) | instskip(SKIP_1) | instid1(VALU_DEP_1)
	v_cndmask_b32_e64 v39, 0x80000000, v39, s30
	v_cndmask_b32_e64 v38, 0, v38, s30
	v_lshrrev_b64 v[38:39], s31, v[38:39]
	s_delay_alu instid0(VALU_DEP_1)
	v_and_b32_e32 v153, s56, v38
	s_wait_alu 0xfffe
	s_or_b32 exec_lo, exec_lo, s34
	s_and_saveexec_b32 s34, s25
	s_cbranch_execz .LBB1256_810
.LBB1256_876:                           ;   in Loop: Header=BB1256_687 Depth=2
	ds_load_b64 v[38:39], v110 offset:23552
	s_wait_dscnt 0x0
	v_cmp_ne_u64_e64 s30, s[42:43], v[38:39]
	s_wait_alu 0xf1ff
	s_delay_alu instid0(VALU_DEP_1) | instskip(SKIP_1) | instid1(VALU_DEP_1)
	v_cndmask_b32_e64 v39, 0x80000000, v39, s30
	v_cndmask_b32_e64 v38, 0, v38, s30
	v_lshrrev_b64 v[38:39], s31, v[38:39]
	s_delay_alu instid0(VALU_DEP_1)
	v_and_b32_e32 v152, s56, v38
	s_wait_alu 0xfffe
	s_or_b32 exec_lo, exec_lo, s34
	s_and_saveexec_b32 s34, s26
	s_cbranch_execz .LBB1256_811
.LBB1256_877:                           ;   in Loop: Header=BB1256_687 Depth=2
	ds_load_b64 v[38:39], v110 offset:25600
	s_wait_dscnt 0x0
	v_cmp_ne_u64_e64 s30, s[42:43], v[38:39]
	s_wait_alu 0xf1ff
	s_delay_alu instid0(VALU_DEP_1) | instskip(SKIP_1) | instid1(VALU_DEP_1)
	v_cndmask_b32_e64 v39, 0x80000000, v39, s30
	v_cndmask_b32_e64 v38, 0, v38, s30
	v_lshrrev_b64 v[38:39], s31, v[38:39]
	s_delay_alu instid0(VALU_DEP_1)
	v_and_b32_e32 v151, s56, v38
	s_wait_alu 0xfffe
	s_or_b32 exec_lo, exec_lo, s34
	s_and_saveexec_b32 s34, s27
	s_cbranch_execz .LBB1256_812
.LBB1256_878:                           ;   in Loop: Header=BB1256_687 Depth=2
	ds_load_b64 v[38:39], v110 offset:27648
	s_wait_dscnt 0x0
	v_cmp_ne_u64_e64 s30, s[42:43], v[38:39]
	s_wait_alu 0xf1ff
	s_delay_alu instid0(VALU_DEP_1) | instskip(SKIP_1) | instid1(VALU_DEP_1)
	v_cndmask_b32_e64 v39, 0x80000000, v39, s30
	v_cndmask_b32_e64 v38, 0, v38, s30
	v_lshrrev_b64 v[38:39], s31, v[38:39]
	s_delay_alu instid0(VALU_DEP_1)
	v_and_b32_e32 v150, s56, v38
	s_wait_alu 0xfffe
	s_or_b32 exec_lo, exec_lo, s34
	s_and_saveexec_b32 s34, s28
	s_cbranch_execz .LBB1256_813
.LBB1256_879:                           ;   in Loop: Header=BB1256_687 Depth=2
	ds_load_b64 v[38:39], v110 offset:29696
	s_wait_dscnt 0x0
	v_cmp_ne_u64_e64 s30, s[42:43], v[38:39]
	s_wait_alu 0xf1ff
	s_delay_alu instid0(VALU_DEP_1) | instskip(SKIP_1) | instid1(VALU_DEP_1)
	v_cndmask_b32_e64 v39, 0x80000000, v39, s30
	v_cndmask_b32_e64 v38, 0, v38, s30
	v_lshrrev_b64 v[38:39], s31, v[38:39]
	s_delay_alu instid0(VALU_DEP_1)
	v_and_b32_e32 v149, s56, v38
	s_wait_alu 0xfffe
	s_or_b32 exec_lo, exec_lo, s34
	s_and_saveexec_b32 s34, s29
	s_cbranch_execnz .LBB1256_814
	s_branch .LBB1256_815
.LBB1256_880:                           ;   in Loop: Header=BB1256_687 Depth=2
	v_lshlrev_b32_e32 v2, 2, v163
	ds_load_b32 v2, v2
	ds_load_b64 v[38:39], v110 offset:1024
	s_wait_dscnt 0x1
	v_add_nc_u32_e32 v2, v2, v1
	s_delay_alu instid0(VALU_DEP_1) | instskip(NEXT) | instid1(VALU_DEP_1)
	v_lshlrev_b64_e32 v[40:41], 3, v[2:3]
	v_add_co_u32 v40, vcc_lo, s44, v40
	s_wait_alu 0xfffd
	s_delay_alu instid0(VALU_DEP_2)
	v_add_co_ci_u32_e64 v41, null, s45, v41, vcc_lo
	s_wait_dscnt 0x0
	global_store_b64 v[40:41], v[38:39], off
	s_wait_alu 0xfffe
	s_or_b32 exec_lo, exec_lo, s30
	s_and_saveexec_b32 s30, s15
	s_cbranch_execz .LBB1256_817
.LBB1256_881:                           ;   in Loop: Header=BB1256_687 Depth=2
	v_lshlrev_b32_e32 v2, 2, v162
	ds_load_b32 v2, v2
	ds_load_b64 v[38:39], v110 offset:3072
	s_wait_dscnt 0x1
	v_add_nc_u32_e32 v2, v2, v79
	s_delay_alu instid0(VALU_DEP_1) | instskip(NEXT) | instid1(VALU_DEP_1)
	v_lshlrev_b64_e32 v[40:41], 3, v[2:3]
	v_add_co_u32 v40, vcc_lo, s44, v40
	s_wait_alu 0xfffd
	s_delay_alu instid0(VALU_DEP_2)
	v_add_co_ci_u32_e64 v41, null, s45, v41, vcc_lo
	s_wait_dscnt 0x0
	global_store_b64 v[40:41], v[38:39], off
	s_wait_alu 0xfffe
	s_or_b32 exec_lo, exec_lo, s30
	s_and_saveexec_b32 s15, s16
	s_cbranch_execz .LBB1256_818
.LBB1256_882:                           ;   in Loop: Header=BB1256_687 Depth=2
	v_lshlrev_b32_e32 v2, 2, v161
	ds_load_b32 v2, v2
	ds_load_b64 v[38:39], v110 offset:5120
	s_wait_dscnt 0x1
	v_add_nc_u32_e32 v2, v2, v80
	s_delay_alu instid0(VALU_DEP_1) | instskip(NEXT) | instid1(VALU_DEP_1)
	v_lshlrev_b64_e32 v[40:41], 3, v[2:3]
	v_add_co_u32 v40, vcc_lo, s44, v40
	s_wait_alu 0xfffd
	s_delay_alu instid0(VALU_DEP_2)
	v_add_co_ci_u32_e64 v41, null, s45, v41, vcc_lo
	s_wait_dscnt 0x0
	global_store_b64 v[40:41], v[38:39], off
	s_wait_alu 0xfffe
	s_or_b32 exec_lo, exec_lo, s15
	s_and_saveexec_b32 s15, s17
	s_cbranch_execz .LBB1256_819
.LBB1256_883:                           ;   in Loop: Header=BB1256_687 Depth=2
	v_lshlrev_b32_e32 v2, 2, v160
	ds_load_b32 v2, v2
	ds_load_b64 v[38:39], v110 offset:7168
	s_wait_dscnt 0x1
	v_add_nc_u32_e32 v2, v2, v81
	s_delay_alu instid0(VALU_DEP_1) | instskip(NEXT) | instid1(VALU_DEP_1)
	v_lshlrev_b64_e32 v[40:41], 3, v[2:3]
	v_add_co_u32 v40, vcc_lo, s44, v40
	s_wait_alu 0xfffd
	s_delay_alu instid0(VALU_DEP_2)
	v_add_co_ci_u32_e64 v41, null, s45, v41, vcc_lo
	s_wait_dscnt 0x0
	global_store_b64 v[40:41], v[38:39], off
	s_wait_alu 0xfffe
	s_or_b32 exec_lo, exec_lo, s15
	s_and_saveexec_b32 s15, s18
	s_cbranch_execz .LBB1256_820
.LBB1256_884:                           ;   in Loop: Header=BB1256_687 Depth=2
	v_lshlrev_b32_e32 v2, 2, v159
	ds_load_b32 v2, v2
	ds_load_b64 v[38:39], v110 offset:9216
	s_wait_dscnt 0x1
	v_add_nc_u32_e32 v2, v2, v84
	s_delay_alu instid0(VALU_DEP_1) | instskip(NEXT) | instid1(VALU_DEP_1)
	v_lshlrev_b64_e32 v[40:41], 3, v[2:3]
	v_add_co_u32 v40, vcc_lo, s44, v40
	s_wait_alu 0xfffd
	s_delay_alu instid0(VALU_DEP_2)
	v_add_co_ci_u32_e64 v41, null, s45, v41, vcc_lo
	s_wait_dscnt 0x0
	global_store_b64 v[40:41], v[38:39], off
	s_wait_alu 0xfffe
	s_or_b32 exec_lo, exec_lo, s15
	s_and_saveexec_b32 s15, s19
	s_cbranch_execz .LBB1256_821
.LBB1256_885:                           ;   in Loop: Header=BB1256_687 Depth=2
	v_lshlrev_b32_e32 v2, 2, v158
	ds_load_b32 v2, v2
	ds_load_b64 v[38:39], v110 offset:11264
	s_wait_dscnt 0x1
	v_add_nc_u32_e32 v2, v2, v85
	s_delay_alu instid0(VALU_DEP_1) | instskip(NEXT) | instid1(VALU_DEP_1)
	v_lshlrev_b64_e32 v[40:41], 3, v[2:3]
	v_add_co_u32 v40, vcc_lo, s44, v40
	s_wait_alu 0xfffd
	s_delay_alu instid0(VALU_DEP_2)
	v_add_co_ci_u32_e64 v41, null, s45, v41, vcc_lo
	s_wait_dscnt 0x0
	global_store_b64 v[40:41], v[38:39], off
	s_wait_alu 0xfffe
	s_or_b32 exec_lo, exec_lo, s15
	s_and_saveexec_b32 s15, s20
	s_cbranch_execz .LBB1256_822
.LBB1256_886:                           ;   in Loop: Header=BB1256_687 Depth=2
	v_lshlrev_b32_e32 v2, 2, v157
	ds_load_b32 v2, v2
	ds_load_b64 v[38:39], v110 offset:13312
	s_wait_dscnt 0x1
	v_add_nc_u32_e32 v2, v2, v86
	s_delay_alu instid0(VALU_DEP_1) | instskip(NEXT) | instid1(VALU_DEP_1)
	v_lshlrev_b64_e32 v[40:41], 3, v[2:3]
	v_add_co_u32 v40, vcc_lo, s44, v40
	s_wait_alu 0xfffd
	s_delay_alu instid0(VALU_DEP_2)
	v_add_co_ci_u32_e64 v41, null, s45, v41, vcc_lo
	s_wait_dscnt 0x0
	global_store_b64 v[40:41], v[38:39], off
	s_wait_alu 0xfffe
	s_or_b32 exec_lo, exec_lo, s15
	s_and_saveexec_b32 s15, s21
	s_cbranch_execz .LBB1256_823
.LBB1256_887:                           ;   in Loop: Header=BB1256_687 Depth=2
	v_lshlrev_b32_e32 v2, 2, v156
	ds_load_b32 v2, v2
	ds_load_b64 v[38:39], v110 offset:15360
	s_wait_dscnt 0x1
	v_add_nc_u32_e32 v2, v2, v87
	s_delay_alu instid0(VALU_DEP_1) | instskip(NEXT) | instid1(VALU_DEP_1)
	v_lshlrev_b64_e32 v[40:41], 3, v[2:3]
	v_add_co_u32 v40, vcc_lo, s44, v40
	s_wait_alu 0xfffd
	s_delay_alu instid0(VALU_DEP_2)
	v_add_co_ci_u32_e64 v41, null, s45, v41, vcc_lo
	s_wait_dscnt 0x0
	global_store_b64 v[40:41], v[38:39], off
	s_wait_alu 0xfffe
	s_or_b32 exec_lo, exec_lo, s15
	s_and_saveexec_b32 s15, s22
	s_cbranch_execz .LBB1256_824
.LBB1256_888:                           ;   in Loop: Header=BB1256_687 Depth=2
	v_lshlrev_b32_e32 v2, 2, v155
	ds_load_b32 v2, v2
	ds_load_b64 v[38:39], v110 offset:17408
	s_wait_dscnt 0x1
	v_add_nc_u32_e32 v2, v2, v88
	s_delay_alu instid0(VALU_DEP_1) | instskip(NEXT) | instid1(VALU_DEP_1)
	v_lshlrev_b64_e32 v[40:41], 3, v[2:3]
	v_add_co_u32 v40, vcc_lo, s44, v40
	s_wait_alu 0xfffd
	s_delay_alu instid0(VALU_DEP_2)
	v_add_co_ci_u32_e64 v41, null, s45, v41, vcc_lo
	s_wait_dscnt 0x0
	global_store_b64 v[40:41], v[38:39], off
	s_wait_alu 0xfffe
	s_or_b32 exec_lo, exec_lo, s15
	s_and_saveexec_b32 s15, s23
	s_cbranch_execz .LBB1256_825
.LBB1256_889:                           ;   in Loop: Header=BB1256_687 Depth=2
	v_lshlrev_b32_e32 v2, 2, v154
	ds_load_b32 v2, v2
	ds_load_b64 v[38:39], v110 offset:19456
	s_wait_dscnt 0x1
	v_add_nc_u32_e32 v2, v2, v89
	s_delay_alu instid0(VALU_DEP_1) | instskip(NEXT) | instid1(VALU_DEP_1)
	v_lshlrev_b64_e32 v[40:41], 3, v[2:3]
	v_add_co_u32 v40, vcc_lo, s44, v40
	s_wait_alu 0xfffd
	s_delay_alu instid0(VALU_DEP_2)
	v_add_co_ci_u32_e64 v41, null, s45, v41, vcc_lo
	s_wait_dscnt 0x0
	global_store_b64 v[40:41], v[38:39], off
	s_wait_alu 0xfffe
	s_or_b32 exec_lo, exec_lo, s15
	s_and_saveexec_b32 s15, s24
	s_cbranch_execz .LBB1256_826
.LBB1256_890:                           ;   in Loop: Header=BB1256_687 Depth=2
	v_lshlrev_b32_e32 v2, 2, v153
	ds_load_b32 v2, v2
	ds_load_b64 v[38:39], v110 offset:21504
	s_wait_dscnt 0x1
	v_add_nc_u32_e32 v2, v2, v90
	s_delay_alu instid0(VALU_DEP_1) | instskip(NEXT) | instid1(VALU_DEP_1)
	v_lshlrev_b64_e32 v[40:41], 3, v[2:3]
	v_add_co_u32 v40, vcc_lo, s44, v40
	s_wait_alu 0xfffd
	s_delay_alu instid0(VALU_DEP_2)
	v_add_co_ci_u32_e64 v41, null, s45, v41, vcc_lo
	s_wait_dscnt 0x0
	global_store_b64 v[40:41], v[38:39], off
	s_wait_alu 0xfffe
	s_or_b32 exec_lo, exec_lo, s15
	s_and_saveexec_b32 s15, s25
	s_cbranch_execz .LBB1256_827
.LBB1256_891:                           ;   in Loop: Header=BB1256_687 Depth=2
	v_lshlrev_b32_e32 v2, 2, v152
	ds_load_b32 v2, v2
	ds_load_b64 v[38:39], v110 offset:23552
	s_wait_dscnt 0x1
	v_add_nc_u32_e32 v2, v2, v91
	s_delay_alu instid0(VALU_DEP_1) | instskip(NEXT) | instid1(VALU_DEP_1)
	v_lshlrev_b64_e32 v[40:41], 3, v[2:3]
	v_add_co_u32 v40, vcc_lo, s44, v40
	s_wait_alu 0xfffd
	s_delay_alu instid0(VALU_DEP_2)
	v_add_co_ci_u32_e64 v41, null, s45, v41, vcc_lo
	s_wait_dscnt 0x0
	global_store_b64 v[40:41], v[38:39], off
	s_wait_alu 0xfffe
	s_or_b32 exec_lo, exec_lo, s15
	s_and_saveexec_b32 s15, s26
	s_cbranch_execz .LBB1256_828
.LBB1256_892:                           ;   in Loop: Header=BB1256_687 Depth=2
	v_lshlrev_b32_e32 v2, 2, v151
	ds_load_b32 v2, v2
	ds_load_b64 v[38:39], v110 offset:25600
	s_wait_dscnt 0x1
	v_add_nc_u32_e32 v2, v2, v92
	s_delay_alu instid0(VALU_DEP_1) | instskip(NEXT) | instid1(VALU_DEP_1)
	v_lshlrev_b64_e32 v[40:41], 3, v[2:3]
	v_add_co_u32 v40, vcc_lo, s44, v40
	s_wait_alu 0xfffd
	s_delay_alu instid0(VALU_DEP_2)
	v_add_co_ci_u32_e64 v41, null, s45, v41, vcc_lo
	s_wait_dscnt 0x0
	global_store_b64 v[40:41], v[38:39], off
	s_wait_alu 0xfffe
	s_or_b32 exec_lo, exec_lo, s15
	s_and_saveexec_b32 s15, s27
	s_cbranch_execz .LBB1256_829
.LBB1256_893:                           ;   in Loop: Header=BB1256_687 Depth=2
	v_lshlrev_b32_e32 v2, 2, v150
	ds_load_b32 v2, v2
	ds_load_b64 v[38:39], v110 offset:27648
	s_wait_dscnt 0x1
	v_add_nc_u32_e32 v2, v2, v93
	s_delay_alu instid0(VALU_DEP_1) | instskip(NEXT) | instid1(VALU_DEP_1)
	v_lshlrev_b64_e32 v[40:41], 3, v[2:3]
	v_add_co_u32 v40, vcc_lo, s44, v40
	s_wait_alu 0xfffd
	s_delay_alu instid0(VALU_DEP_2)
	v_add_co_ci_u32_e64 v41, null, s45, v41, vcc_lo
	s_wait_dscnt 0x0
	global_store_b64 v[40:41], v[38:39], off
	s_wait_alu 0xfffe
	s_or_b32 exec_lo, exec_lo, s15
	s_and_saveexec_b32 s15, s28
	s_cbranch_execz .LBB1256_830
.LBB1256_894:                           ;   in Loop: Header=BB1256_687 Depth=2
	v_lshlrev_b32_e32 v2, 2, v149
	ds_load_b32 v2, v2
	ds_load_b64 v[38:39], v110 offset:29696
	s_wait_dscnt 0x1
	v_add_nc_u32_e32 v2, v2, v94
	s_delay_alu instid0(VALU_DEP_1) | instskip(NEXT) | instid1(VALU_DEP_1)
	v_lshlrev_b64_e32 v[40:41], 3, v[2:3]
	v_add_co_u32 v40, vcc_lo, s44, v40
	s_wait_alu 0xfffd
	s_delay_alu instid0(VALU_DEP_2)
	v_add_co_ci_u32_e64 v41, null, s45, v41, vcc_lo
	s_wait_dscnt 0x0
	global_store_b64 v[40:41], v[38:39], off
	s_wait_alu 0xfffe
	s_or_b32 exec_lo, exec_lo, s15
	s_and_saveexec_b32 s15, s29
	s_cbranch_execnz .LBB1256_831
	s_branch .LBB1256_832
.LBB1256_895:                           ;   in Loop: Header=BB1256_17 Depth=1
	s_wait_loadcnt_dscnt 0x0
	s_barrier_signal -1
	s_mov_b32 s6, 0
	s_barrier_wait -1
.LBB1256_896:                           ;   in Loop: Header=BB1256_17 Depth=1
	s_wait_alu 0xfffe
	s_and_b32 vcc_lo, exec_lo, s6
	s_wait_alu 0xfffe
	s_cbranch_vccz .LBB1256_16
; %bb.897:                              ;   in Loop: Header=BB1256_17 Depth=1
	s_mov_b32 s8, s55
	s_mov_b32 s34, s33
	s_barrier_signal -1
	s_barrier_wait -1
	global_inv scope:SCOPE_SE
                                        ; implicit-def: $vgpr6_vgpr7
                                        ; implicit-def: $vgpr8_vgpr9
                                        ; implicit-def: $vgpr10_vgpr11
                                        ; implicit-def: $vgpr12_vgpr13
                                        ; implicit-def: $vgpr14_vgpr15
                                        ; implicit-def: $vgpr16_vgpr17
                                        ; implicit-def: $vgpr18_vgpr19
                                        ; implicit-def: $vgpr20_vgpr21
                                        ; implicit-def: $vgpr22_vgpr23
                                        ; implicit-def: $vgpr24_vgpr25
                                        ; implicit-def: $vgpr26_vgpr27
                                        ; implicit-def: $vgpr28_vgpr29
                                        ; implicit-def: $vgpr30_vgpr31
                                        ; implicit-def: $vgpr32_vgpr33
                                        ; implicit-def: $vgpr34_vgpr35
                                        ; implicit-def: $vgpr36_vgpr37
	s_branch .LBB1256_899
.LBB1256_898:                           ;   in Loop: Header=BB1256_899 Depth=2
	s_wait_alu 0xfffe
	s_or_b32 exec_lo, exec_lo, s6
	s_addk_co_i32 s8, 0xf000
	s_cmp_ge_u32 s9, s51
	s_mov_b32 s34, s9
	s_cbranch_scc1 .LBB1256_967
.LBB1256_899:                           ;   Parent Loop BB1256_17 Depth=1
                                        ; =>  This Inner Loop Header: Depth=2
	s_wait_alu 0xfffe
	s_add_co_i32 s9, s34, 0x1000
	s_mov_b32 s6, -1
	s_wait_alu 0xfffe
	s_cmp_gt_u32 s9, s51
                                        ; implicit-def: $vgpr38_vgpr39
                                        ; implicit-def: $vgpr40_vgpr41
                                        ; implicit-def: $vgpr42_vgpr43
                                        ; implicit-def: $vgpr44_vgpr45
                                        ; implicit-def: $vgpr46_vgpr47
                                        ; implicit-def: $vgpr48_vgpr49
                                        ; implicit-def: $vgpr50_vgpr51
                                        ; implicit-def: $vgpr52_vgpr53
                                        ; implicit-def: $vgpr54_vgpr55
                                        ; implicit-def: $vgpr56_vgpr57
                                        ; implicit-def: $vgpr58_vgpr59
                                        ; implicit-def: $vgpr60_vgpr61
                                        ; implicit-def: $vgpr62_vgpr63
                                        ; implicit-def: $vgpr64_vgpr65
                                        ; implicit-def: $vgpr66_vgpr67
                                        ; implicit-def: $vgpr68_vgpr69
	s_cbranch_scc1 .LBB1256_901
; %bb.900:                              ;   in Loop: Header=BB1256_899 Depth=2
	s_lshl_b64 s[6:7], s[34:35], 3
	s_wait_alu 0xfffe
	v_add_co_u32 v68, vcc_lo, v117, s6
	s_wait_alu 0xfffd
	v_add_co_ci_u32_e64 v69, null, s7, v118, vcc_lo
	s_mov_b32 s6, 0
	s_clause 0xf
	global_load_b64 v[38:39], v[68:69], off
	global_load_b64 v[40:41], v[68:69], off offset:2048
	global_load_b64 v[42:43], v[68:69], off offset:4096
	;; [unrolled: 1-line block ×15, first 2 shown]
.LBB1256_901:                           ;   in Loop: Header=BB1256_899 Depth=2
	s_wait_alu 0xfffe
	s_and_not1_b32 vcc_lo, exec_lo, s6
	s_movk_i32 s6, 0x1000
	s_wait_alu 0xfffe
	s_cbranch_vccnz .LBB1256_920
; %bb.902:                              ;   in Loop: Header=BB1256_899 Depth=2
	s_lshl_b64 s[6:7], s[34:35], 3
	s_mov_b32 s10, exec_lo
	s_wait_alu 0xfffe
	s_add_nc_u64 s[6:7], s[36:37], s[6:7]
	v_cmpx_gt_u32_e64 s8, v1
	s_cbranch_execnz .LBB1256_952
; %bb.903:                              ;   in Loop: Header=BB1256_899 Depth=2
	s_or_b32 exec_lo, exec_lo, s10
	s_delay_alu instid0(SALU_CYCLE_1)
	s_mov_b32 s10, exec_lo
	v_cmpx_gt_u32_e64 s8, v79
	s_cbranch_execnz .LBB1256_953
.LBB1256_904:                           ;   in Loop: Header=BB1256_899 Depth=2
	s_wait_alu 0xfffe
	s_or_b32 exec_lo, exec_lo, s10
	s_delay_alu instid0(SALU_CYCLE_1)
	s_mov_b32 s10, exec_lo
	v_cmpx_gt_u32_e64 s8, v80
	s_cbranch_execnz .LBB1256_954
.LBB1256_905:                           ;   in Loop: Header=BB1256_899 Depth=2
	s_wait_alu 0xfffe
	s_or_b32 exec_lo, exec_lo, s10
	s_delay_alu instid0(SALU_CYCLE_1)
	s_mov_b32 s10, exec_lo
	v_cmpx_gt_u32_e64 s8, v81
	s_cbranch_execnz .LBB1256_955
.LBB1256_906:                           ;   in Loop: Header=BB1256_899 Depth=2
	s_wait_alu 0xfffe
	s_or_b32 exec_lo, exec_lo, s10
	s_delay_alu instid0(SALU_CYCLE_1)
	s_mov_b32 s10, exec_lo
	v_cmpx_gt_u32_e64 s8, v84
	s_cbranch_execnz .LBB1256_956
.LBB1256_907:                           ;   in Loop: Header=BB1256_899 Depth=2
	s_wait_alu 0xfffe
	s_or_b32 exec_lo, exec_lo, s10
	s_delay_alu instid0(SALU_CYCLE_1)
	s_mov_b32 s10, exec_lo
	v_cmpx_gt_u32_e64 s8, v85
	s_cbranch_execnz .LBB1256_957
.LBB1256_908:                           ;   in Loop: Header=BB1256_899 Depth=2
	s_wait_alu 0xfffe
	s_or_b32 exec_lo, exec_lo, s10
	s_delay_alu instid0(SALU_CYCLE_1)
	s_mov_b32 s10, exec_lo
	v_cmpx_gt_u32_e64 s8, v86
	s_cbranch_execnz .LBB1256_958
.LBB1256_909:                           ;   in Loop: Header=BB1256_899 Depth=2
	s_wait_alu 0xfffe
	s_or_b32 exec_lo, exec_lo, s10
	s_delay_alu instid0(SALU_CYCLE_1)
	s_mov_b32 s10, exec_lo
	v_cmpx_gt_u32_e64 s8, v87
	s_cbranch_execnz .LBB1256_959
.LBB1256_910:                           ;   in Loop: Header=BB1256_899 Depth=2
	s_wait_alu 0xfffe
	s_or_b32 exec_lo, exec_lo, s10
	s_delay_alu instid0(SALU_CYCLE_1)
	s_mov_b32 s10, exec_lo
	v_cmpx_gt_u32_e64 s8, v88
	s_cbranch_execnz .LBB1256_960
.LBB1256_911:                           ;   in Loop: Header=BB1256_899 Depth=2
	s_wait_alu 0xfffe
	s_or_b32 exec_lo, exec_lo, s10
	s_delay_alu instid0(SALU_CYCLE_1)
	s_mov_b32 s10, exec_lo
	v_cmpx_gt_u32_e64 s8, v89
	s_cbranch_execnz .LBB1256_961
.LBB1256_912:                           ;   in Loop: Header=BB1256_899 Depth=2
	s_wait_alu 0xfffe
	s_or_b32 exec_lo, exec_lo, s10
	s_delay_alu instid0(SALU_CYCLE_1)
	s_mov_b32 s10, exec_lo
	v_cmpx_gt_u32_e64 s8, v90
	s_cbranch_execnz .LBB1256_962
.LBB1256_913:                           ;   in Loop: Header=BB1256_899 Depth=2
	s_wait_alu 0xfffe
	s_or_b32 exec_lo, exec_lo, s10
	s_delay_alu instid0(SALU_CYCLE_1)
	s_mov_b32 s10, exec_lo
	v_cmpx_gt_u32_e64 s8, v91
	s_cbranch_execnz .LBB1256_963
.LBB1256_914:                           ;   in Loop: Header=BB1256_899 Depth=2
	s_wait_alu 0xfffe
	s_or_b32 exec_lo, exec_lo, s10
	s_delay_alu instid0(SALU_CYCLE_1)
	s_mov_b32 s10, exec_lo
	v_cmpx_gt_u32_e64 s8, v92
	s_cbranch_execnz .LBB1256_964
.LBB1256_915:                           ;   in Loop: Header=BB1256_899 Depth=2
	s_wait_alu 0xfffe
	s_or_b32 exec_lo, exec_lo, s10
	s_delay_alu instid0(SALU_CYCLE_1)
	s_mov_b32 s10, exec_lo
	v_cmpx_gt_u32_e64 s8, v93
	s_cbranch_execnz .LBB1256_965
.LBB1256_916:                           ;   in Loop: Header=BB1256_899 Depth=2
	s_wait_alu 0xfffe
	s_or_b32 exec_lo, exec_lo, s10
	s_delay_alu instid0(SALU_CYCLE_1)
	s_mov_b32 s10, exec_lo
	v_cmpx_gt_u32_e64 s8, v94
	s_cbranch_execnz .LBB1256_966
.LBB1256_917:                           ;   in Loop: Header=BB1256_899 Depth=2
	s_wait_alu 0xfffe
	s_or_b32 exec_lo, exec_lo, s10
	s_delay_alu instid0(SALU_CYCLE_1)
	s_mov_b32 s10, exec_lo
	v_cmpx_gt_u32_e64 s8, v95
	s_cbranch_execz .LBB1256_919
.LBB1256_918:                           ;   in Loop: Header=BB1256_899 Depth=2
	global_load_b64 v[6:7], v124, s[6:7] offset:30720
.LBB1256_919:                           ;   in Loop: Header=BB1256_899 Depth=2
	s_wait_alu 0xfffe
	s_or_b32 exec_lo, exec_lo, s10
	s_wait_loadcnt 0x0
	v_dual_mov_b32 v39, v37 :: v_dual_mov_b32 v38, v36
	v_dual_mov_b32 v41, v35 :: v_dual_mov_b32 v40, v34
	;; [unrolled: 1-line block ×16, first 2 shown]
	s_mov_b32 s6, s8
.LBB1256_920:                           ;   in Loop: Header=BB1256_899 Depth=2
	s_wait_loadcnt 0x0
	s_delay_alu instid0(VALU_DEP_1)
	v_dual_mov_b32 v6, v68 :: v_dual_mov_b32 v7, v69
	v_dual_mov_b32 v8, v66 :: v_dual_mov_b32 v9, v67
	v_dual_mov_b32 v10, v64 :: v_dual_mov_b32 v11, v65
	v_dual_mov_b32 v12, v62 :: v_dual_mov_b32 v13, v63
	v_dual_mov_b32 v14, v60 :: v_dual_mov_b32 v15, v61
	v_dual_mov_b32 v16, v58 :: v_dual_mov_b32 v17, v59
	v_dual_mov_b32 v18, v56 :: v_dual_mov_b32 v19, v57
	v_dual_mov_b32 v20, v54 :: v_dual_mov_b32 v21, v55
	v_dual_mov_b32 v22, v52 :: v_dual_mov_b32 v23, v53
	v_dual_mov_b32 v24, v50 :: v_dual_mov_b32 v25, v51
	v_dual_mov_b32 v26, v48 :: v_dual_mov_b32 v27, v49
	v_dual_mov_b32 v28, v46 :: v_dual_mov_b32 v29, v47
	v_dual_mov_b32 v30, v44 :: v_dual_mov_b32 v31, v45
	v_dual_mov_b32 v32, v42 :: v_dual_mov_b32 v33, v43
	v_dual_mov_b32 v34, v40 :: v_dual_mov_b32 v35, v41
	v_dual_mov_b32 v36, v38 :: v_dual_mov_b32 v37, v39
	s_mov_b32 s7, exec_lo
	s_wait_alu 0xfffe
	v_cmpx_gt_u32_e64 s6, v1
	s_cbranch_execnz .LBB1256_936
; %bb.921:                              ;   in Loop: Header=BB1256_899 Depth=2
	s_or_b32 exec_lo, exec_lo, s7
	s_delay_alu instid0(SALU_CYCLE_1)
	s_mov_b32 s7, exec_lo
	v_cmpx_gt_u32_e64 s6, v79
	s_cbranch_execnz .LBB1256_937
.LBB1256_922:                           ;   in Loop: Header=BB1256_899 Depth=2
	s_wait_alu 0xfffe
	s_or_b32 exec_lo, exec_lo, s7
	s_delay_alu instid0(SALU_CYCLE_1)
	s_mov_b32 s7, exec_lo
	v_cmpx_gt_u32_e64 s6, v80
	s_cbranch_execnz .LBB1256_938
.LBB1256_923:                           ;   in Loop: Header=BB1256_899 Depth=2
	s_wait_alu 0xfffe
	s_or_b32 exec_lo, exec_lo, s7
	s_delay_alu instid0(SALU_CYCLE_1)
	s_mov_b32 s7, exec_lo
	v_cmpx_gt_u32_e64 s6, v81
	s_cbranch_execnz .LBB1256_939
.LBB1256_924:                           ;   in Loop: Header=BB1256_899 Depth=2
	s_wait_alu 0xfffe
	s_or_b32 exec_lo, exec_lo, s7
	s_delay_alu instid0(SALU_CYCLE_1)
	s_mov_b32 s7, exec_lo
	v_cmpx_gt_u32_e64 s6, v84
	s_cbranch_execnz .LBB1256_940
.LBB1256_925:                           ;   in Loop: Header=BB1256_899 Depth=2
	s_wait_alu 0xfffe
	s_or_b32 exec_lo, exec_lo, s7
	s_delay_alu instid0(SALU_CYCLE_1)
	s_mov_b32 s7, exec_lo
	v_cmpx_gt_u32_e64 s6, v85
	s_cbranch_execnz .LBB1256_941
.LBB1256_926:                           ;   in Loop: Header=BB1256_899 Depth=2
	s_wait_alu 0xfffe
	s_or_b32 exec_lo, exec_lo, s7
	s_delay_alu instid0(SALU_CYCLE_1)
	s_mov_b32 s7, exec_lo
	v_cmpx_gt_u32_e64 s6, v86
	s_cbranch_execnz .LBB1256_942
.LBB1256_927:                           ;   in Loop: Header=BB1256_899 Depth=2
	s_wait_alu 0xfffe
	s_or_b32 exec_lo, exec_lo, s7
	s_delay_alu instid0(SALU_CYCLE_1)
	s_mov_b32 s7, exec_lo
	v_cmpx_gt_u32_e64 s6, v87
	s_cbranch_execnz .LBB1256_943
.LBB1256_928:                           ;   in Loop: Header=BB1256_899 Depth=2
	s_wait_alu 0xfffe
	s_or_b32 exec_lo, exec_lo, s7
	s_delay_alu instid0(SALU_CYCLE_1)
	s_mov_b32 s7, exec_lo
	v_cmpx_gt_u32_e64 s6, v88
	s_cbranch_execnz .LBB1256_944
.LBB1256_929:                           ;   in Loop: Header=BB1256_899 Depth=2
	s_wait_alu 0xfffe
	s_or_b32 exec_lo, exec_lo, s7
	s_delay_alu instid0(SALU_CYCLE_1)
	s_mov_b32 s7, exec_lo
	v_cmpx_gt_u32_e64 s6, v89
	s_cbranch_execnz .LBB1256_945
.LBB1256_930:                           ;   in Loop: Header=BB1256_899 Depth=2
	s_wait_alu 0xfffe
	s_or_b32 exec_lo, exec_lo, s7
	s_delay_alu instid0(SALU_CYCLE_1)
	s_mov_b32 s7, exec_lo
	v_cmpx_gt_u32_e64 s6, v90
	s_cbranch_execnz .LBB1256_946
.LBB1256_931:                           ;   in Loop: Header=BB1256_899 Depth=2
	s_wait_alu 0xfffe
	s_or_b32 exec_lo, exec_lo, s7
	s_delay_alu instid0(SALU_CYCLE_1)
	s_mov_b32 s7, exec_lo
	v_cmpx_gt_u32_e64 s6, v91
	s_cbranch_execnz .LBB1256_947
.LBB1256_932:                           ;   in Loop: Header=BB1256_899 Depth=2
	s_wait_alu 0xfffe
	s_or_b32 exec_lo, exec_lo, s7
	s_delay_alu instid0(SALU_CYCLE_1)
	s_mov_b32 s7, exec_lo
	v_cmpx_gt_u32_e64 s6, v92
	s_cbranch_execnz .LBB1256_948
.LBB1256_933:                           ;   in Loop: Header=BB1256_899 Depth=2
	s_wait_alu 0xfffe
	s_or_b32 exec_lo, exec_lo, s7
	s_delay_alu instid0(SALU_CYCLE_1)
	s_mov_b32 s7, exec_lo
	v_cmpx_gt_u32_e64 s6, v93
	s_cbranch_execnz .LBB1256_949
.LBB1256_934:                           ;   in Loop: Header=BB1256_899 Depth=2
	s_wait_alu 0xfffe
	s_or_b32 exec_lo, exec_lo, s7
	s_delay_alu instid0(SALU_CYCLE_1)
	s_mov_b32 s7, exec_lo
	v_cmpx_gt_u32_e64 s6, v94
	s_cbranch_execnz .LBB1256_950
.LBB1256_935:                           ;   in Loop: Header=BB1256_899 Depth=2
	s_wait_alu 0xfffe
	s_or_b32 exec_lo, exec_lo, s7
	v_cmp_gt_u32_e32 vcc_lo, s6, v95
	s_and_saveexec_b32 s6, vcc_lo
	s_cbranch_execz .LBB1256_898
	s_branch .LBB1256_951
.LBB1256_936:                           ;   in Loop: Header=BB1256_899 Depth=2
	v_cmp_lt_i64_e32 vcc_lo, -1, v[36:37]
	v_ashrrev_i32_e32 v38, 31, v37
	s_delay_alu instid0(VALU_DEP_1) | instskip(SKIP_2) | instid1(VALU_DEP_1)
	v_xor_b32_e32 v38, v38, v36
	s_wait_alu 0xfffd
	v_cndmask_b32_e64 v2, -1, 0x80000000, vcc_lo
	v_xor_b32_e32 v39, v2, v37
	s_delay_alu instid0(VALU_DEP_1) | instskip(SKIP_3) | instid1(VALU_DEP_1)
	v_cmp_ne_u64_e32 vcc_lo, s[42:43], v[38:39]
	s_wait_alu 0xfffd
	v_cndmask_b32_e32 v39, 0x80000000, v39, vcc_lo
	v_cndmask_b32_e32 v38, 0, v38, vcc_lo
	v_lshrrev_b64 v[38:39], s31, v[38:39]
	s_delay_alu instid0(VALU_DEP_1) | instskip(NEXT) | instid1(VALU_DEP_1)
	v_and_b32_e32 v2, s56, v38
	v_lshl_or_b32 v2, v2, 4, v96
	ds_add_u32 v2, v123
	s_or_b32 exec_lo, exec_lo, s7
	s_delay_alu instid0(SALU_CYCLE_1)
	s_mov_b32 s7, exec_lo
	v_cmpx_gt_u32_e64 s6, v79
	s_cbranch_execz .LBB1256_922
.LBB1256_937:                           ;   in Loop: Header=BB1256_899 Depth=2
	v_cmp_lt_i64_e32 vcc_lo, -1, v[34:35]
	v_ashrrev_i32_e32 v38, 31, v35
	s_delay_alu instid0(VALU_DEP_1) | instskip(SKIP_2) | instid1(VALU_DEP_1)
	v_xor_b32_e32 v38, v38, v34
	s_wait_alu 0xfffd
	v_cndmask_b32_e64 v2, -1, 0x80000000, vcc_lo
	v_xor_b32_e32 v39, v2, v35
	s_delay_alu instid0(VALU_DEP_1) | instskip(SKIP_3) | instid1(VALU_DEP_1)
	v_cmp_ne_u64_e32 vcc_lo, s[42:43], v[38:39]
	s_wait_alu 0xfffd
	v_cndmask_b32_e32 v39, 0x80000000, v39, vcc_lo
	v_cndmask_b32_e32 v38, 0, v38, vcc_lo
	v_lshrrev_b64 v[38:39], s31, v[38:39]
	s_delay_alu instid0(VALU_DEP_1) | instskip(NEXT) | instid1(VALU_DEP_1)
	v_and_b32_e32 v2, s56, v38
	v_lshl_or_b32 v2, v2, 4, v96
	ds_add_u32 v2, v123
	s_wait_alu 0xfffe
	s_or_b32 exec_lo, exec_lo, s7
	s_delay_alu instid0(SALU_CYCLE_1)
	s_mov_b32 s7, exec_lo
	v_cmpx_gt_u32_e64 s6, v80
	s_cbranch_execz .LBB1256_923
.LBB1256_938:                           ;   in Loop: Header=BB1256_899 Depth=2
	v_cmp_lt_i64_e32 vcc_lo, -1, v[32:33]
	v_ashrrev_i32_e32 v38, 31, v33
	s_delay_alu instid0(VALU_DEP_1) | instskip(SKIP_2) | instid1(VALU_DEP_1)
	v_xor_b32_e32 v38, v38, v32
	s_wait_alu 0xfffd
	v_cndmask_b32_e64 v2, -1, 0x80000000, vcc_lo
	v_xor_b32_e32 v39, v2, v33
	s_delay_alu instid0(VALU_DEP_1) | instskip(SKIP_3) | instid1(VALU_DEP_1)
	v_cmp_ne_u64_e32 vcc_lo, s[42:43], v[38:39]
	s_wait_alu 0xfffd
	v_cndmask_b32_e32 v39, 0x80000000, v39, vcc_lo
	v_cndmask_b32_e32 v38, 0, v38, vcc_lo
	v_lshrrev_b64 v[38:39], s31, v[38:39]
	s_delay_alu instid0(VALU_DEP_1) | instskip(NEXT) | instid1(VALU_DEP_1)
	v_and_b32_e32 v2, s56, v38
	v_lshl_or_b32 v2, v2, 4, v96
	ds_add_u32 v2, v123
	s_wait_alu 0xfffe
	s_or_b32 exec_lo, exec_lo, s7
	s_delay_alu instid0(SALU_CYCLE_1)
	s_mov_b32 s7, exec_lo
	v_cmpx_gt_u32_e64 s6, v81
	s_cbranch_execz .LBB1256_924
.LBB1256_939:                           ;   in Loop: Header=BB1256_899 Depth=2
	v_cmp_lt_i64_e32 vcc_lo, -1, v[30:31]
	v_ashrrev_i32_e32 v38, 31, v31
	s_delay_alu instid0(VALU_DEP_1) | instskip(SKIP_2) | instid1(VALU_DEP_1)
	v_xor_b32_e32 v38, v38, v30
	s_wait_alu 0xfffd
	v_cndmask_b32_e64 v2, -1, 0x80000000, vcc_lo
	v_xor_b32_e32 v39, v2, v31
	s_delay_alu instid0(VALU_DEP_1) | instskip(SKIP_3) | instid1(VALU_DEP_1)
	v_cmp_ne_u64_e32 vcc_lo, s[42:43], v[38:39]
	s_wait_alu 0xfffd
	v_cndmask_b32_e32 v39, 0x80000000, v39, vcc_lo
	v_cndmask_b32_e32 v38, 0, v38, vcc_lo
	v_lshrrev_b64 v[38:39], s31, v[38:39]
	s_delay_alu instid0(VALU_DEP_1) | instskip(NEXT) | instid1(VALU_DEP_1)
	v_and_b32_e32 v2, s56, v38
	v_lshl_or_b32 v2, v2, 4, v96
	ds_add_u32 v2, v123
	s_wait_alu 0xfffe
	s_or_b32 exec_lo, exec_lo, s7
	s_delay_alu instid0(SALU_CYCLE_1)
	s_mov_b32 s7, exec_lo
	v_cmpx_gt_u32_e64 s6, v84
	s_cbranch_execz .LBB1256_925
.LBB1256_940:                           ;   in Loop: Header=BB1256_899 Depth=2
	v_cmp_lt_i64_e32 vcc_lo, -1, v[28:29]
	v_ashrrev_i32_e32 v38, 31, v29
	s_delay_alu instid0(VALU_DEP_1) | instskip(SKIP_2) | instid1(VALU_DEP_1)
	v_xor_b32_e32 v38, v38, v28
	s_wait_alu 0xfffd
	v_cndmask_b32_e64 v2, -1, 0x80000000, vcc_lo
	v_xor_b32_e32 v39, v2, v29
	s_delay_alu instid0(VALU_DEP_1) | instskip(SKIP_3) | instid1(VALU_DEP_1)
	v_cmp_ne_u64_e32 vcc_lo, s[42:43], v[38:39]
	s_wait_alu 0xfffd
	v_cndmask_b32_e32 v39, 0x80000000, v39, vcc_lo
	v_cndmask_b32_e32 v38, 0, v38, vcc_lo
	v_lshrrev_b64 v[38:39], s31, v[38:39]
	s_delay_alu instid0(VALU_DEP_1) | instskip(NEXT) | instid1(VALU_DEP_1)
	v_and_b32_e32 v2, s56, v38
	v_lshl_or_b32 v2, v2, 4, v96
	ds_add_u32 v2, v123
	s_wait_alu 0xfffe
	s_or_b32 exec_lo, exec_lo, s7
	s_delay_alu instid0(SALU_CYCLE_1)
	s_mov_b32 s7, exec_lo
	v_cmpx_gt_u32_e64 s6, v85
	s_cbranch_execz .LBB1256_926
.LBB1256_941:                           ;   in Loop: Header=BB1256_899 Depth=2
	v_cmp_lt_i64_e32 vcc_lo, -1, v[26:27]
	v_ashrrev_i32_e32 v38, 31, v27
	s_delay_alu instid0(VALU_DEP_1) | instskip(SKIP_2) | instid1(VALU_DEP_1)
	v_xor_b32_e32 v38, v38, v26
	s_wait_alu 0xfffd
	v_cndmask_b32_e64 v2, -1, 0x80000000, vcc_lo
	v_xor_b32_e32 v39, v2, v27
	s_delay_alu instid0(VALU_DEP_1) | instskip(SKIP_3) | instid1(VALU_DEP_1)
	v_cmp_ne_u64_e32 vcc_lo, s[42:43], v[38:39]
	s_wait_alu 0xfffd
	v_cndmask_b32_e32 v39, 0x80000000, v39, vcc_lo
	v_cndmask_b32_e32 v38, 0, v38, vcc_lo
	v_lshrrev_b64 v[38:39], s31, v[38:39]
	s_delay_alu instid0(VALU_DEP_1) | instskip(NEXT) | instid1(VALU_DEP_1)
	v_and_b32_e32 v2, s56, v38
	v_lshl_or_b32 v2, v2, 4, v96
	ds_add_u32 v2, v123
	s_wait_alu 0xfffe
	s_or_b32 exec_lo, exec_lo, s7
	s_delay_alu instid0(SALU_CYCLE_1)
	s_mov_b32 s7, exec_lo
	v_cmpx_gt_u32_e64 s6, v86
	s_cbranch_execz .LBB1256_927
.LBB1256_942:                           ;   in Loop: Header=BB1256_899 Depth=2
	v_cmp_lt_i64_e32 vcc_lo, -1, v[24:25]
	v_ashrrev_i32_e32 v38, 31, v25
	s_delay_alu instid0(VALU_DEP_1) | instskip(SKIP_2) | instid1(VALU_DEP_1)
	v_xor_b32_e32 v38, v38, v24
	s_wait_alu 0xfffd
	v_cndmask_b32_e64 v2, -1, 0x80000000, vcc_lo
	v_xor_b32_e32 v39, v2, v25
	s_delay_alu instid0(VALU_DEP_1) | instskip(SKIP_3) | instid1(VALU_DEP_1)
	v_cmp_ne_u64_e32 vcc_lo, s[42:43], v[38:39]
	s_wait_alu 0xfffd
	v_cndmask_b32_e32 v39, 0x80000000, v39, vcc_lo
	v_cndmask_b32_e32 v38, 0, v38, vcc_lo
	v_lshrrev_b64 v[38:39], s31, v[38:39]
	s_delay_alu instid0(VALU_DEP_1) | instskip(NEXT) | instid1(VALU_DEP_1)
	v_and_b32_e32 v2, s56, v38
	v_lshl_or_b32 v2, v2, 4, v96
	ds_add_u32 v2, v123
	s_wait_alu 0xfffe
	s_or_b32 exec_lo, exec_lo, s7
	s_delay_alu instid0(SALU_CYCLE_1)
	s_mov_b32 s7, exec_lo
	v_cmpx_gt_u32_e64 s6, v87
	s_cbranch_execz .LBB1256_928
.LBB1256_943:                           ;   in Loop: Header=BB1256_899 Depth=2
	v_cmp_lt_i64_e32 vcc_lo, -1, v[22:23]
	v_ashrrev_i32_e32 v38, 31, v23
	s_delay_alu instid0(VALU_DEP_1) | instskip(SKIP_2) | instid1(VALU_DEP_1)
	v_xor_b32_e32 v38, v38, v22
	s_wait_alu 0xfffd
	v_cndmask_b32_e64 v2, -1, 0x80000000, vcc_lo
	v_xor_b32_e32 v39, v2, v23
	s_delay_alu instid0(VALU_DEP_1) | instskip(SKIP_3) | instid1(VALU_DEP_1)
	v_cmp_ne_u64_e32 vcc_lo, s[42:43], v[38:39]
	s_wait_alu 0xfffd
	v_cndmask_b32_e32 v39, 0x80000000, v39, vcc_lo
	v_cndmask_b32_e32 v38, 0, v38, vcc_lo
	v_lshrrev_b64 v[38:39], s31, v[38:39]
	s_delay_alu instid0(VALU_DEP_1) | instskip(NEXT) | instid1(VALU_DEP_1)
	v_and_b32_e32 v2, s56, v38
	v_lshl_or_b32 v2, v2, 4, v96
	ds_add_u32 v2, v123
	s_wait_alu 0xfffe
	s_or_b32 exec_lo, exec_lo, s7
	s_delay_alu instid0(SALU_CYCLE_1)
	s_mov_b32 s7, exec_lo
	v_cmpx_gt_u32_e64 s6, v88
	s_cbranch_execz .LBB1256_929
.LBB1256_944:                           ;   in Loop: Header=BB1256_899 Depth=2
	v_cmp_lt_i64_e32 vcc_lo, -1, v[20:21]
	v_ashrrev_i32_e32 v38, 31, v21
	s_delay_alu instid0(VALU_DEP_1) | instskip(SKIP_2) | instid1(VALU_DEP_1)
	v_xor_b32_e32 v38, v38, v20
	s_wait_alu 0xfffd
	v_cndmask_b32_e64 v2, -1, 0x80000000, vcc_lo
	v_xor_b32_e32 v39, v2, v21
	s_delay_alu instid0(VALU_DEP_1) | instskip(SKIP_3) | instid1(VALU_DEP_1)
	v_cmp_ne_u64_e32 vcc_lo, s[42:43], v[38:39]
	s_wait_alu 0xfffd
	v_cndmask_b32_e32 v39, 0x80000000, v39, vcc_lo
	v_cndmask_b32_e32 v38, 0, v38, vcc_lo
	v_lshrrev_b64 v[38:39], s31, v[38:39]
	s_delay_alu instid0(VALU_DEP_1) | instskip(NEXT) | instid1(VALU_DEP_1)
	v_and_b32_e32 v2, s56, v38
	v_lshl_or_b32 v2, v2, 4, v96
	ds_add_u32 v2, v123
	s_wait_alu 0xfffe
	s_or_b32 exec_lo, exec_lo, s7
	s_delay_alu instid0(SALU_CYCLE_1)
	s_mov_b32 s7, exec_lo
	v_cmpx_gt_u32_e64 s6, v89
	s_cbranch_execz .LBB1256_930
.LBB1256_945:                           ;   in Loop: Header=BB1256_899 Depth=2
	v_cmp_lt_i64_e32 vcc_lo, -1, v[18:19]
	v_ashrrev_i32_e32 v38, 31, v19
	s_delay_alu instid0(VALU_DEP_1) | instskip(SKIP_2) | instid1(VALU_DEP_1)
	v_xor_b32_e32 v38, v38, v18
	s_wait_alu 0xfffd
	v_cndmask_b32_e64 v2, -1, 0x80000000, vcc_lo
	v_xor_b32_e32 v39, v2, v19
	s_delay_alu instid0(VALU_DEP_1) | instskip(SKIP_3) | instid1(VALU_DEP_1)
	v_cmp_ne_u64_e32 vcc_lo, s[42:43], v[38:39]
	s_wait_alu 0xfffd
	v_cndmask_b32_e32 v39, 0x80000000, v39, vcc_lo
	v_cndmask_b32_e32 v38, 0, v38, vcc_lo
	v_lshrrev_b64 v[38:39], s31, v[38:39]
	s_delay_alu instid0(VALU_DEP_1) | instskip(NEXT) | instid1(VALU_DEP_1)
	v_and_b32_e32 v2, s56, v38
	v_lshl_or_b32 v2, v2, 4, v96
	ds_add_u32 v2, v123
	s_wait_alu 0xfffe
	s_or_b32 exec_lo, exec_lo, s7
	s_delay_alu instid0(SALU_CYCLE_1)
	s_mov_b32 s7, exec_lo
	v_cmpx_gt_u32_e64 s6, v90
	s_cbranch_execz .LBB1256_931
.LBB1256_946:                           ;   in Loop: Header=BB1256_899 Depth=2
	v_cmp_lt_i64_e32 vcc_lo, -1, v[16:17]
	v_ashrrev_i32_e32 v38, 31, v17
	s_delay_alu instid0(VALU_DEP_1) | instskip(SKIP_2) | instid1(VALU_DEP_1)
	v_xor_b32_e32 v38, v38, v16
	s_wait_alu 0xfffd
	v_cndmask_b32_e64 v2, -1, 0x80000000, vcc_lo
	v_xor_b32_e32 v39, v2, v17
	s_delay_alu instid0(VALU_DEP_1) | instskip(SKIP_3) | instid1(VALU_DEP_1)
	v_cmp_ne_u64_e32 vcc_lo, s[42:43], v[38:39]
	s_wait_alu 0xfffd
	v_cndmask_b32_e32 v39, 0x80000000, v39, vcc_lo
	v_cndmask_b32_e32 v38, 0, v38, vcc_lo
	v_lshrrev_b64 v[38:39], s31, v[38:39]
	s_delay_alu instid0(VALU_DEP_1) | instskip(NEXT) | instid1(VALU_DEP_1)
	v_and_b32_e32 v2, s56, v38
	v_lshl_or_b32 v2, v2, 4, v96
	ds_add_u32 v2, v123
	s_wait_alu 0xfffe
	s_or_b32 exec_lo, exec_lo, s7
	s_delay_alu instid0(SALU_CYCLE_1)
	s_mov_b32 s7, exec_lo
	v_cmpx_gt_u32_e64 s6, v91
	s_cbranch_execz .LBB1256_932
.LBB1256_947:                           ;   in Loop: Header=BB1256_899 Depth=2
	v_cmp_lt_i64_e32 vcc_lo, -1, v[14:15]
	v_ashrrev_i32_e32 v38, 31, v15
	s_delay_alu instid0(VALU_DEP_1) | instskip(SKIP_2) | instid1(VALU_DEP_1)
	v_xor_b32_e32 v38, v38, v14
	s_wait_alu 0xfffd
	v_cndmask_b32_e64 v2, -1, 0x80000000, vcc_lo
	v_xor_b32_e32 v39, v2, v15
	s_delay_alu instid0(VALU_DEP_1) | instskip(SKIP_3) | instid1(VALU_DEP_1)
	v_cmp_ne_u64_e32 vcc_lo, s[42:43], v[38:39]
	s_wait_alu 0xfffd
	v_cndmask_b32_e32 v39, 0x80000000, v39, vcc_lo
	v_cndmask_b32_e32 v38, 0, v38, vcc_lo
	v_lshrrev_b64 v[38:39], s31, v[38:39]
	s_delay_alu instid0(VALU_DEP_1) | instskip(NEXT) | instid1(VALU_DEP_1)
	v_and_b32_e32 v2, s56, v38
	v_lshl_or_b32 v2, v2, 4, v96
	ds_add_u32 v2, v123
	s_wait_alu 0xfffe
	s_or_b32 exec_lo, exec_lo, s7
	s_delay_alu instid0(SALU_CYCLE_1)
	s_mov_b32 s7, exec_lo
	v_cmpx_gt_u32_e64 s6, v92
	s_cbranch_execz .LBB1256_933
.LBB1256_948:                           ;   in Loop: Header=BB1256_899 Depth=2
	v_cmp_lt_i64_e32 vcc_lo, -1, v[12:13]
	v_ashrrev_i32_e32 v38, 31, v13
	s_delay_alu instid0(VALU_DEP_1) | instskip(SKIP_2) | instid1(VALU_DEP_1)
	v_xor_b32_e32 v38, v38, v12
	s_wait_alu 0xfffd
	v_cndmask_b32_e64 v2, -1, 0x80000000, vcc_lo
	v_xor_b32_e32 v39, v2, v13
	s_delay_alu instid0(VALU_DEP_1) | instskip(SKIP_3) | instid1(VALU_DEP_1)
	v_cmp_ne_u64_e32 vcc_lo, s[42:43], v[38:39]
	s_wait_alu 0xfffd
	v_cndmask_b32_e32 v39, 0x80000000, v39, vcc_lo
	v_cndmask_b32_e32 v38, 0, v38, vcc_lo
	v_lshrrev_b64 v[38:39], s31, v[38:39]
	s_delay_alu instid0(VALU_DEP_1) | instskip(NEXT) | instid1(VALU_DEP_1)
	v_and_b32_e32 v2, s56, v38
	v_lshl_or_b32 v2, v2, 4, v96
	ds_add_u32 v2, v123
	s_wait_alu 0xfffe
	s_or_b32 exec_lo, exec_lo, s7
	s_delay_alu instid0(SALU_CYCLE_1)
	s_mov_b32 s7, exec_lo
	v_cmpx_gt_u32_e64 s6, v93
	s_cbranch_execz .LBB1256_934
.LBB1256_949:                           ;   in Loop: Header=BB1256_899 Depth=2
	v_cmp_lt_i64_e32 vcc_lo, -1, v[10:11]
	v_ashrrev_i32_e32 v38, 31, v11
	s_delay_alu instid0(VALU_DEP_1) | instskip(SKIP_2) | instid1(VALU_DEP_1)
	v_xor_b32_e32 v38, v38, v10
	s_wait_alu 0xfffd
	v_cndmask_b32_e64 v2, -1, 0x80000000, vcc_lo
	v_xor_b32_e32 v39, v2, v11
	s_delay_alu instid0(VALU_DEP_1) | instskip(SKIP_3) | instid1(VALU_DEP_1)
	v_cmp_ne_u64_e32 vcc_lo, s[42:43], v[38:39]
	s_wait_alu 0xfffd
	v_cndmask_b32_e32 v39, 0x80000000, v39, vcc_lo
	v_cndmask_b32_e32 v38, 0, v38, vcc_lo
	v_lshrrev_b64 v[38:39], s31, v[38:39]
	s_delay_alu instid0(VALU_DEP_1) | instskip(NEXT) | instid1(VALU_DEP_1)
	v_and_b32_e32 v2, s56, v38
	v_lshl_or_b32 v2, v2, 4, v96
	ds_add_u32 v2, v123
	s_wait_alu 0xfffe
	s_or_b32 exec_lo, exec_lo, s7
	s_delay_alu instid0(SALU_CYCLE_1)
	s_mov_b32 s7, exec_lo
	v_cmpx_gt_u32_e64 s6, v94
	s_cbranch_execz .LBB1256_935
.LBB1256_950:                           ;   in Loop: Header=BB1256_899 Depth=2
	v_cmp_lt_i64_e32 vcc_lo, -1, v[8:9]
	v_ashrrev_i32_e32 v38, 31, v9
	s_delay_alu instid0(VALU_DEP_1) | instskip(SKIP_2) | instid1(VALU_DEP_1)
	v_xor_b32_e32 v38, v38, v8
	s_wait_alu 0xfffd
	v_cndmask_b32_e64 v2, -1, 0x80000000, vcc_lo
	v_xor_b32_e32 v39, v2, v9
	s_delay_alu instid0(VALU_DEP_1) | instskip(SKIP_3) | instid1(VALU_DEP_1)
	v_cmp_ne_u64_e32 vcc_lo, s[42:43], v[38:39]
	s_wait_alu 0xfffd
	v_cndmask_b32_e32 v39, 0x80000000, v39, vcc_lo
	v_cndmask_b32_e32 v38, 0, v38, vcc_lo
	v_lshrrev_b64 v[38:39], s31, v[38:39]
	s_delay_alu instid0(VALU_DEP_1) | instskip(NEXT) | instid1(VALU_DEP_1)
	v_and_b32_e32 v2, s56, v38
	v_lshl_or_b32 v2, v2, 4, v96
	ds_add_u32 v2, v123
	s_wait_alu 0xfffe
	s_or_b32 exec_lo, exec_lo, s7
	v_cmp_gt_u32_e32 vcc_lo, s6, v95
	s_and_saveexec_b32 s6, vcc_lo
	s_cbranch_execz .LBB1256_898
.LBB1256_951:                           ;   in Loop: Header=BB1256_899 Depth=2
	v_cmp_lt_i64_e32 vcc_lo, -1, v[6:7]
	v_ashrrev_i32_e32 v38, 31, v7
	s_delay_alu instid0(VALU_DEP_1) | instskip(SKIP_2) | instid1(VALU_DEP_1)
	v_xor_b32_e32 v38, v38, v6
	s_wait_alu 0xfffd
	v_cndmask_b32_e64 v2, -1, 0x80000000, vcc_lo
	v_xor_b32_e32 v39, v2, v7
	s_delay_alu instid0(VALU_DEP_1) | instskip(SKIP_3) | instid1(VALU_DEP_1)
	v_cmp_ne_u64_e32 vcc_lo, s[42:43], v[38:39]
	s_wait_alu 0xfffd
	v_cndmask_b32_e32 v39, 0x80000000, v39, vcc_lo
	v_cndmask_b32_e32 v38, 0, v38, vcc_lo
	v_lshrrev_b64 v[38:39], s31, v[38:39]
	s_delay_alu instid0(VALU_DEP_1) | instskip(NEXT) | instid1(VALU_DEP_1)
	v_and_b32_e32 v2, s56, v38
	v_lshl_or_b32 v2, v2, 4, v96
	ds_add_u32 v2, v123
	s_branch .LBB1256_898
.LBB1256_952:                           ;   in Loop: Header=BB1256_899 Depth=2
	global_load_b64 v[36:37], v124, s[6:7]
	s_or_b32 exec_lo, exec_lo, s10
	s_delay_alu instid0(SALU_CYCLE_1)
	s_mov_b32 s10, exec_lo
	v_cmpx_gt_u32_e64 s8, v79
	s_cbranch_execz .LBB1256_904
.LBB1256_953:                           ;   in Loop: Header=BB1256_899 Depth=2
	global_load_b64 v[34:35], v124, s[6:7] offset:2048
	s_wait_alu 0xfffe
	s_or_b32 exec_lo, exec_lo, s10
	s_delay_alu instid0(SALU_CYCLE_1)
	s_mov_b32 s10, exec_lo
	v_cmpx_gt_u32_e64 s8, v80
	s_cbranch_execz .LBB1256_905
.LBB1256_954:                           ;   in Loop: Header=BB1256_899 Depth=2
	global_load_b64 v[32:33], v124, s[6:7] offset:4096
	s_wait_alu 0xfffe
	s_or_b32 exec_lo, exec_lo, s10
	s_delay_alu instid0(SALU_CYCLE_1)
	s_mov_b32 s10, exec_lo
	v_cmpx_gt_u32_e64 s8, v81
	s_cbranch_execz .LBB1256_906
.LBB1256_955:                           ;   in Loop: Header=BB1256_899 Depth=2
	global_load_b64 v[30:31], v124, s[6:7] offset:6144
	s_wait_alu 0xfffe
	s_or_b32 exec_lo, exec_lo, s10
	s_delay_alu instid0(SALU_CYCLE_1)
	s_mov_b32 s10, exec_lo
	v_cmpx_gt_u32_e64 s8, v84
	s_cbranch_execz .LBB1256_907
.LBB1256_956:                           ;   in Loop: Header=BB1256_899 Depth=2
	global_load_b64 v[28:29], v124, s[6:7] offset:8192
	s_wait_alu 0xfffe
	s_or_b32 exec_lo, exec_lo, s10
	s_delay_alu instid0(SALU_CYCLE_1)
	s_mov_b32 s10, exec_lo
	v_cmpx_gt_u32_e64 s8, v85
	s_cbranch_execz .LBB1256_908
.LBB1256_957:                           ;   in Loop: Header=BB1256_899 Depth=2
	global_load_b64 v[26:27], v124, s[6:7] offset:10240
	s_wait_alu 0xfffe
	s_or_b32 exec_lo, exec_lo, s10
	s_delay_alu instid0(SALU_CYCLE_1)
	s_mov_b32 s10, exec_lo
	v_cmpx_gt_u32_e64 s8, v86
	s_cbranch_execz .LBB1256_909
.LBB1256_958:                           ;   in Loop: Header=BB1256_899 Depth=2
	global_load_b64 v[24:25], v124, s[6:7] offset:12288
	s_wait_alu 0xfffe
	s_or_b32 exec_lo, exec_lo, s10
	s_delay_alu instid0(SALU_CYCLE_1)
	s_mov_b32 s10, exec_lo
	v_cmpx_gt_u32_e64 s8, v87
	s_cbranch_execz .LBB1256_910
.LBB1256_959:                           ;   in Loop: Header=BB1256_899 Depth=2
	global_load_b64 v[22:23], v124, s[6:7] offset:14336
	s_wait_alu 0xfffe
	s_or_b32 exec_lo, exec_lo, s10
	s_delay_alu instid0(SALU_CYCLE_1)
	s_mov_b32 s10, exec_lo
	v_cmpx_gt_u32_e64 s8, v88
	s_cbranch_execz .LBB1256_911
.LBB1256_960:                           ;   in Loop: Header=BB1256_899 Depth=2
	global_load_b64 v[20:21], v124, s[6:7] offset:16384
	s_wait_alu 0xfffe
	s_or_b32 exec_lo, exec_lo, s10
	s_delay_alu instid0(SALU_CYCLE_1)
	s_mov_b32 s10, exec_lo
	v_cmpx_gt_u32_e64 s8, v89
	s_cbranch_execz .LBB1256_912
.LBB1256_961:                           ;   in Loop: Header=BB1256_899 Depth=2
	global_load_b64 v[18:19], v124, s[6:7] offset:18432
	s_wait_alu 0xfffe
	s_or_b32 exec_lo, exec_lo, s10
	s_delay_alu instid0(SALU_CYCLE_1)
	s_mov_b32 s10, exec_lo
	v_cmpx_gt_u32_e64 s8, v90
	s_cbranch_execz .LBB1256_913
.LBB1256_962:                           ;   in Loop: Header=BB1256_899 Depth=2
	global_load_b64 v[16:17], v124, s[6:7] offset:20480
	s_wait_alu 0xfffe
	s_or_b32 exec_lo, exec_lo, s10
	s_delay_alu instid0(SALU_CYCLE_1)
	s_mov_b32 s10, exec_lo
	v_cmpx_gt_u32_e64 s8, v91
	s_cbranch_execz .LBB1256_914
.LBB1256_963:                           ;   in Loop: Header=BB1256_899 Depth=2
	global_load_b64 v[14:15], v124, s[6:7] offset:22528
	s_wait_alu 0xfffe
	s_or_b32 exec_lo, exec_lo, s10
	s_delay_alu instid0(SALU_CYCLE_1)
	s_mov_b32 s10, exec_lo
	v_cmpx_gt_u32_e64 s8, v92
	s_cbranch_execz .LBB1256_915
.LBB1256_964:                           ;   in Loop: Header=BB1256_899 Depth=2
	global_load_b64 v[12:13], v124, s[6:7] offset:24576
	s_wait_alu 0xfffe
	s_or_b32 exec_lo, exec_lo, s10
	s_delay_alu instid0(SALU_CYCLE_1)
	s_mov_b32 s10, exec_lo
	v_cmpx_gt_u32_e64 s8, v93
	s_cbranch_execz .LBB1256_916
.LBB1256_965:                           ;   in Loop: Header=BB1256_899 Depth=2
	global_load_b64 v[10:11], v124, s[6:7] offset:26624
	s_wait_alu 0xfffe
	s_or_b32 exec_lo, exec_lo, s10
	s_delay_alu instid0(SALU_CYCLE_1)
	s_mov_b32 s10, exec_lo
	v_cmpx_gt_u32_e64 s8, v94
	s_cbranch_execz .LBB1256_917
.LBB1256_966:                           ;   in Loop: Header=BB1256_899 Depth=2
	global_load_b64 v[8:9], v124, s[6:7] offset:28672
	s_wait_alu 0xfffe
	s_or_b32 exec_lo, exec_lo, s10
	s_delay_alu instid0(SALU_CYCLE_1)
	s_mov_b32 s10, exec_lo
	v_cmpx_gt_u32_e64 s8, v95
	s_cbranch_execnz .LBB1256_918
	s_branch .LBB1256_919
.LBB1256_967:                           ;   in Loop: Header=BB1256_17 Depth=1
	v_mov_b32_e32 v2, 0
	s_wait_dscnt 0x0
	s_barrier_signal -1
	s_barrier_wait -1
	global_inv scope:SCOPE_SE
	s_and_saveexec_b32 s6, s2
	s_cbranch_execz .LBB1256_969
; %bb.968:                              ;   in Loop: Header=BB1256_17 Depth=1
	ds_load_2addr_b64 v[6:9], v98 offset1:1
	s_wait_dscnt 0x0
	v_add_nc_u32_e32 v2, v7, v6
	s_delay_alu instid0(VALU_DEP_1)
	v_add3_u32 v2, v2, v8, v9
.LBB1256_969:                           ;   in Loop: Header=BB1256_17 Depth=1
	s_wait_alu 0xfffe
	s_or_b32 exec_lo, exec_lo, s6
	v_and_b32_e32 v6, 15, v125
	s_delay_alu instid0(VALU_DEP_2) | instskip(SKIP_1) | instid1(VALU_DEP_3)
	v_mov_b32_dpp v7, v2 row_shr:1 row_mask:0xf bank_mask:0xf
	v_and_b32_e32 v8, 16, v125
	v_cmp_eq_u32_e64 s6, 0, v6
	v_cmp_lt_u32_e64 s7, 1, v6
	v_cmp_lt_u32_e64 s8, 3, v6
	v_cmp_lt_u32_e64 s9, 7, v6
	v_cmp_eq_u32_e64 s10, 0, v8
	s_wait_alu 0xf1ff
	v_cndmask_b32_e64 v7, v7, 0, s6
	s_delay_alu instid0(VALU_DEP_1) | instskip(NEXT) | instid1(VALU_DEP_1)
	v_add_nc_u32_e32 v2, v7, v2
	v_mov_b32_dpp v7, v2 row_shr:2 row_mask:0xf bank_mask:0xf
	s_delay_alu instid0(VALU_DEP_1) | instskip(NEXT) | instid1(VALU_DEP_1)
	v_cndmask_b32_e64 v7, 0, v7, s7
	v_add_nc_u32_e32 v2, v2, v7
	s_delay_alu instid0(VALU_DEP_1) | instskip(NEXT) | instid1(VALU_DEP_1)
	v_mov_b32_dpp v7, v2 row_shr:4 row_mask:0xf bank_mask:0xf
	v_cndmask_b32_e64 v7, 0, v7, s8
	s_delay_alu instid0(VALU_DEP_1) | instskip(NEXT) | instid1(VALU_DEP_1)
	v_add_nc_u32_e32 v2, v2, v7
	v_mov_b32_dpp v7, v2 row_shr:8 row_mask:0xf bank_mask:0xf
	s_delay_alu instid0(VALU_DEP_1) | instskip(SKIP_1) | instid1(VALU_DEP_2)
	v_cndmask_b32_e64 v6, 0, v7, s9
	v_bfe_i32 v7, v125, 4, 1
	v_add_nc_u32_e32 v2, v2, v6
	ds_swizzle_b32 v6, v2 offset:swizzle(BROADCAST,32,15)
	s_wait_dscnt 0x0
	v_and_b32_e32 v6, v7, v6
	s_delay_alu instid0(VALU_DEP_1)
	v_add_nc_u32_e32 v6, v2, v6
	s_and_saveexec_b32 s11, s3
; %bb.970:                              ;   in Loop: Header=BB1256_17 Depth=1
	ds_store_b32 v99, v6
; %bb.971:                              ;   in Loop: Header=BB1256_17 Depth=1
	s_wait_alu 0xfffe
	s_or_b32 exec_lo, exec_lo, s11
	v_and_b32_e32 v2, 7, v125
	s_wait_loadcnt_dscnt 0x0
	s_barrier_signal -1
	s_barrier_wait -1
	global_inv scope:SCOPE_SE
	s_and_saveexec_b32 s11, s4
	s_cbranch_execz .LBB1256_973
; %bb.972:                              ;   in Loop: Header=BB1256_17 Depth=1
	ds_load_b32 v7, v100
	v_cmp_ne_u32_e32 vcc_lo, 0, v2
	s_wait_dscnt 0x0
	v_mov_b32_dpp v8, v7 row_shr:1 row_mask:0xf bank_mask:0xf
	s_wait_alu 0xfffd
	s_delay_alu instid0(VALU_DEP_1) | instskip(SKIP_1) | instid1(VALU_DEP_2)
	v_cndmask_b32_e32 v8, 0, v8, vcc_lo
	v_cmp_lt_u32_e32 vcc_lo, 1, v2
	v_add_nc_u32_e32 v7, v8, v7
	s_delay_alu instid0(VALU_DEP_1) | instskip(SKIP_1) | instid1(VALU_DEP_1)
	v_mov_b32_dpp v8, v7 row_shr:2 row_mask:0xf bank_mask:0xf
	s_wait_alu 0xfffd
	v_cndmask_b32_e32 v8, 0, v8, vcc_lo
	v_cmp_lt_u32_e32 vcc_lo, 3, v2
	s_delay_alu instid0(VALU_DEP_2) | instskip(NEXT) | instid1(VALU_DEP_1)
	v_add_nc_u32_e32 v7, v7, v8
	v_mov_b32_dpp v8, v7 row_shr:4 row_mask:0xf bank_mask:0xf
	s_wait_alu 0xfffd
	s_delay_alu instid0(VALU_DEP_1) | instskip(NEXT) | instid1(VALU_DEP_1)
	v_cndmask_b32_e32 v8, 0, v8, vcc_lo
	v_add_nc_u32_e32 v7, v7, v8
	ds_store_b32 v100, v7
.LBB1256_973:                           ;   in Loop: Header=BB1256_17 Depth=1
	s_wait_alu 0xfffe
	s_or_b32 exec_lo, exec_lo, s11
	v_mov_b32_e32 v7, 0
	s_wait_loadcnt_dscnt 0x0
	s_barrier_signal -1
	s_barrier_wait -1
	global_inv scope:SCOPE_SE
	s_and_saveexec_b32 s11, s5
; %bb.974:                              ;   in Loop: Header=BB1256_17 Depth=1
	ds_load_b32 v7, v101
; %bb.975:                              ;   in Loop: Header=BB1256_17 Depth=1
	s_wait_alu 0xfffe
	s_or_b32 exec_lo, exec_lo, s11
	v_sub_co_u32 v8, s11, v125, 1
	s_wait_dscnt 0x0
	v_add_nc_u32_e32 v6, v7, v6
	s_wait_loadcnt 0x0
	s_barrier_signal -1
	v_cmp_gt_i32_e32 vcc_lo, 0, v8
	s_barrier_wait -1
	global_inv scope:SCOPE_SE
	s_wait_alu 0xfffd
	v_cndmask_b32_e32 v8, v8, v125, vcc_lo
	s_delay_alu instid0(VALU_DEP_1)
	v_lshlrev_b32_e32 v126, 2, v8
	ds_bpermute_b32 v6, v126, v6
	s_and_saveexec_b32 s12, s2
	s_cbranch_execz .LBB1256_977
; %bb.976:                              ;   in Loop: Header=BB1256_17 Depth=1
	s_wait_dscnt 0x0
	v_cndmask_b32_e64 v6, v6, v7, s11
	s_delay_alu instid0(VALU_DEP_1)
	v_add_nc_u32_e32 v6, s33, v6
	ds_store_b32 v78, v6
.LBB1256_977:                           ;   in Loop: Header=BB1256_17 Depth=1
	s_wait_alu 0xfffe
	s_or_b32 exec_lo, exec_lo, s12
	s_load_b64 s[12:13], s[52:53], 0x0
	v_lshlrev_b32_e32 v8, 3, v125
	v_or_b32_e32 v127, v125, v102
	s_mov_b32 s57, s55
                                        ; implicit-def: $vgpr10_vgpr11
                                        ; implicit-def: $vgpr12_vgpr13
                                        ; implicit-def: $vgpr14_vgpr15
                                        ; implicit-def: $vgpr16_vgpr17
                                        ; implicit-def: $vgpr18_vgpr19
                                        ; implicit-def: $vgpr20_vgpr21
                                        ; implicit-def: $vgpr22_vgpr23
                                        ; implicit-def: $vgpr24_vgpr25
                                        ; implicit-def: $vgpr26_vgpr27
                                        ; implicit-def: $vgpr28_vgpr29
                                        ; implicit-def: $vgpr30_vgpr31
                                        ; implicit-def: $vgpr32_vgpr33
                                        ; implicit-def: $vgpr34_vgpr35
                                        ; implicit-def: $vgpr36_vgpr37
                                        ; implicit-def: $vgpr148
                                        ; implicit-def: $vgpr149
                                        ; implicit-def: $vgpr150
                                        ; implicit-def: $vgpr151
                                        ; implicit-def: $vgpr152
                                        ; implicit-def: $vgpr153
                                        ; implicit-def: $vgpr154
                                        ; implicit-def: $vgpr155
                                        ; implicit-def: $vgpr156
                                        ; implicit-def: $vgpr157
                                        ; implicit-def: $vgpr158
                                        ; implicit-def: $vgpr159
                                        ; implicit-def: $vgpr160
                                        ; implicit-def: $vgpr161
                                        ; implicit-def: $vgpr162
                                        ; implicit-def: $vgpr163
	s_delay_alu instid0(VALU_DEP_2)
	v_add_co_u32 v128, vcc_lo, v119, v8
	s_wait_alu 0xfffd
	v_add_co_ci_u32_e64 v129, null, 0, v120, vcc_lo
	v_add_co_u32 v145, vcc_lo, v121, v8
	v_or_b32_e32 v130, 32, v127
	v_or_b32_e32 v131, 64, v127
	;; [unrolled: 1-line block ×8, first 2 shown]
	s_wait_kmcnt 0x0
	s_cmp_lt_u32 ttmp7, s13
	v_or_b32_e32 v138, 0x120, v127
	s_cselect_b32 s34, 14, 20
	s_cmp_lt_u32 ttmp9, s12
	s_wait_alu 0xfffe
	s_add_nc_u64 s[14:15], s[52:53], s[34:35]
	s_cselect_b32 s34, 12, 18
	s_load_u16 s15, s[14:15], 0x0
	s_add_nc_u64 s[12:13], s[52:53], s[34:35]
	v_or_b32_e32 v139, 0x140, v127
	s_load_u16 s16, s[12:13], 0x0
	v_cmp_eq_u32_e64 s12, 0, v2
	v_cmp_lt_u32_e64 s13, 1, v2
	v_cmp_lt_u32_e64 s14, 3, v2
	v_or_b32_e32 v140, 0x160, v127
	v_or_b32_e32 v141, 0x180, v127
	;; [unrolled: 1-line block ×5, first 2 shown]
	v_add_co_ci_u32_e64 v146, null, 0, v122, vcc_lo
	s_mov_b32 s34, s33
                                        ; implicit-def: $vgpr8_vgpr9
	s_wait_kmcnt 0x0
	v_mad_u32_u24 v2, v104, s15, v0
	s_wait_dscnt 0x0
	s_delay_alu instid0(VALU_DEP_1) | instskip(NEXT) | instid1(VALU_DEP_1)
	v_mad_co_u64_u32 v[6:7], null, v2, s16, v[1:2]
	v_lshrrev_b32_e32 v2, 3, v6
                                        ; implicit-def: $vgpr6_vgpr7
	s_delay_alu instid0(VALU_DEP_1)
	v_and_b32_e32 v147, 0x1ffffffc, v2
	s_branch .LBB1256_979
.LBB1256_978:                           ;   in Loop: Header=BB1256_979 Depth=2
	s_wait_alu 0xfffe
	s_or_b32 exec_lo, exec_lo, s15
	s_addk_co_i32 s57, 0xf000
	s_cmp_lt_u32 s58, s51
	s_mov_b32 s34, s58
	s_cbranch_scc0 .LBB1256_15
.LBB1256_979:                           ;   Parent Loop BB1256_17 Depth=1
                                        ; =>  This Inner Loop Header: Depth=2
	s_wait_alu 0xfffe
	s_add_co_i32 s58, s34, 0x1000
	s_wait_alu 0xfffe
	s_cmp_gt_u32 s58, s51
	s_cbranch_scc1 .LBB1256_981
; %bb.980:                              ;   in Loop: Header=BB1256_979 Depth=2
	s_lshl_b64 s[16:17], s[34:35], 3
	s_mov_b32 s15, -1
	s_wait_alu 0xfffe
	v_add_co_u32 v44, vcc_lo, v145, s16
	s_wait_alu 0xfffd
	v_add_co_ci_u32_e64 v45, null, s17, v146, vcc_lo
	s_clause 0xe
	global_load_b64 v[38:39], v[44:45], off
	global_load_b64 v[40:41], v[44:45], off offset:256
	global_load_b64 v[42:43], v[44:45], off offset:512
	global_load_b64 v[48:49], v[44:45], off offset:768
	global_load_b64 v[54:55], v[44:45], off offset:1024
	global_load_b64 v[58:59], v[44:45], off offset:1280
	global_load_b64 v[62:63], v[44:45], off offset:1536
	global_load_b64 v[66:67], v[44:45], off offset:1792
	global_load_b64 v[68:69], v[44:45], off offset:2048
	global_load_b64 v[64:65], v[44:45], off offset:2304
	global_load_b64 v[60:61], v[44:45], off offset:2560
	global_load_b64 v[56:57], v[44:45], off offset:2816
	global_load_b64 v[52:53], v[44:45], off offset:3072
	global_load_b64 v[50:51], v[44:45], off offset:3328
	global_load_b64 v[46:47], v[44:45], off offset:3584
	s_movk_i32 s16, 0x1000
	s_cbranch_execz .LBB1256_982
	s_branch .LBB1256_1013
.LBB1256_981:                           ;   in Loop: Header=BB1256_979 Depth=2
	s_mov_b32 s15, 0
                                        ; implicit-def: $vgpr38_vgpr39
                                        ; implicit-def: $vgpr40_vgpr41
                                        ; implicit-def: $vgpr42_vgpr43
                                        ; implicit-def: $vgpr48_vgpr49
                                        ; implicit-def: $vgpr54_vgpr55
                                        ; implicit-def: $vgpr58_vgpr59
                                        ; implicit-def: $vgpr62_vgpr63
                                        ; implicit-def: $vgpr66_vgpr67
                                        ; implicit-def: $vgpr68_vgpr69
                                        ; implicit-def: $vgpr64_vgpr65
                                        ; implicit-def: $vgpr60_vgpr61
                                        ; implicit-def: $vgpr56_vgpr57
                                        ; implicit-def: $vgpr52_vgpr53
                                        ; implicit-def: $vgpr50_vgpr51
                                        ; implicit-def: $vgpr46_vgpr47
	s_movk_i32 s16, 0x1000
.LBB1256_982:                           ;   in Loop: Header=BB1256_979 Depth=2
	s_wait_loadcnt 0xd
	v_dual_mov_b32 v40, v4 :: v_dual_mov_b32 v41, v5
	s_lshl_b64 s[16:17], s[34:35], 3
	s_mov_b32 s15, exec_lo
	s_wait_alu 0xfffe
	v_add_co_u32 v44, vcc_lo, v145, s16
	s_wait_alu 0xfffd
	v_add_co_ci_u32_e64 v45, null, s17, v146, vcc_lo
	v_dual_mov_b32 v38, v40 :: v_dual_mov_b32 v39, v41
	v_cmpx_gt_u32_e64 s57, v127
	s_cbranch_execz .LBB1256_984
; %bb.983:                              ;   in Loop: Header=BB1256_979 Depth=2
	global_load_b64 v[38:39], v[44:45], off
.LBB1256_984:                           ;   in Loop: Header=BB1256_979 Depth=2
	s_or_b32 exec_lo, exec_lo, s15
	s_delay_alu instid0(SALU_CYCLE_1)
	s_mov_b32 s15, exec_lo
	v_cmpx_gt_u32_e64 s57, v130
	s_cbranch_execz .LBB1256_986
; %bb.985:                              ;   in Loop: Header=BB1256_979 Depth=2
	global_load_b64 v[40:41], v[44:45], off offset:256
.LBB1256_986:                           ;   in Loop: Header=BB1256_979 Depth=2
	s_wait_alu 0xfffe
	s_or_b32 exec_lo, exec_lo, s15
	s_wait_loadcnt 0xc
	v_dual_mov_b32 v43, v5 :: v_dual_mov_b32 v42, v4
	s_mov_b32 s15, exec_lo
	v_cmpx_gt_u32_e64 s57, v131
	s_cbranch_execz .LBB1256_988
; %bb.987:                              ;   in Loop: Header=BB1256_979 Depth=2
	global_load_b64 v[42:43], v[44:45], off offset:512
.LBB1256_988:                           ;   in Loop: Header=BB1256_979 Depth=2
	s_wait_alu 0xfffe
	s_or_b32 exec_lo, exec_lo, s15
	s_wait_loadcnt 0xb
	v_dual_mov_b32 v49, v5 :: v_dual_mov_b32 v48, v4
	;; [unrolled: 10-line block ×7, first 2 shown]
	s_mov_b32 s15, exec_lo
	v_cmpx_gt_u32_e64 s57, v137
	s_cbranch_execz .LBB1256_1000
; %bb.999:                              ;   in Loop: Header=BB1256_979 Depth=2
	global_load_b64 v[68:69], v[44:45], off offset:2048
.LBB1256_1000:                          ;   in Loop: Header=BB1256_979 Depth=2
	s_wait_alu 0xfffe
	s_or_b32 exec_lo, exec_lo, s15
	s_wait_loadcnt 0x5
	v_dual_mov_b32 v65, v5 :: v_dual_mov_b32 v64, v4
	s_mov_b32 s15, exec_lo
	v_cmpx_gt_u32_e64 s57, v138
	s_cbranch_execz .LBB1256_1002
; %bb.1001:                             ;   in Loop: Header=BB1256_979 Depth=2
	global_load_b64 v[64:65], v[44:45], off offset:2304
.LBB1256_1002:                          ;   in Loop: Header=BB1256_979 Depth=2
	s_wait_alu 0xfffe
	s_or_b32 exec_lo, exec_lo, s15
	s_wait_loadcnt 0x4
	v_dual_mov_b32 v61, v5 :: v_dual_mov_b32 v60, v4
	s_mov_b32 s15, exec_lo
	v_cmpx_gt_u32_e64 s57, v139
	s_cbranch_execz .LBB1256_1004
; %bb.1003:                             ;   in Loop: Header=BB1256_979 Depth=2
	global_load_b64 v[60:61], v[44:45], off offset:2560
.LBB1256_1004:                          ;   in Loop: Header=BB1256_979 Depth=2
	;; [unrolled: 10-line block ×6, first 2 shown]
	s_wait_alu 0xfffe
	s_or_b32 exec_lo, exec_lo, s15
	v_cmp_gt_u32_e64 s15, s57, v144
	s_sub_co_i32 s16, s51, s34
.LBB1256_1013:                          ;   in Loop: Header=BB1256_979 Depth=2
	v_dual_mov_b32 v164, s57 :: v_dual_mov_b32 v45, v5
	v_mov_b32_e32 v44, v4
	s_and_saveexec_b32 s17, s15
	s_cbranch_execz .LBB1256_1015
; %bb.1014:                             ;   in Loop: Header=BB1256_979 Depth=2
	s_lshl_b64 s[18:19], s[34:35], 3
	s_wait_alu 0xfffe
	v_mov_b32_e32 v164, s16
	v_add_co_u32 v44, vcc_lo, v145, s18
	s_wait_alu 0xfffd
	v_add_co_ci_u32_e64 v45, null, s19, v146, vcc_lo
	global_load_b64 v[44:45], v[44:45], off offset:3840
.LBB1256_1015:                          ;   in Loop: Header=BB1256_979 Depth=2
	s_wait_alu 0xfffe
	s_or_b32 exec_lo, exec_lo, s17
	s_wait_loadcnt 0xe
	v_cmp_lt_i64_e32 vcc_lo, -1, v[38:39]
	v_ashrrev_i32_e32 v70, 31, v39
	v_add_nc_u32_e32 v166, 0x420, v103
	v_add_nc_u32_e32 v167, 0x428, v103
	;; [unrolled: 1-line block ×3, first 2 shown]
	s_delay_alu instid0(VALU_DEP_4) | instskip(SKIP_2) | instid1(VALU_DEP_1)
	v_xor_b32_e32 v38, v70, v38
	s_wait_alu 0xfffd
	v_cndmask_b32_e64 v2, -1, 0x80000000, vcc_lo
	v_xor_b32_e32 v39, v2, v39
	s_delay_alu instid0(VALU_DEP_1) | instskip(SKIP_3) | instid1(VALU_DEP_1)
	v_cmp_ne_u64_e32 vcc_lo, s[42:43], v[38:39]
	s_wait_alu 0xfffd
	v_cndmask_b32_e32 v71, 0x80000000, v39, vcc_lo
	v_cndmask_b32_e32 v70, 0, v38, vcc_lo
	v_lshrrev_b64 v[70:71], s31, v[70:71]
	s_delay_alu instid0(VALU_DEP_1) | instskip(NEXT) | instid1(VALU_DEP_1)
	v_and_b32_e32 v71, s56, v70
	v_and_b32_e32 v2, 1, v71
	v_lshlrev_b32_e32 v70, 30, v71
	v_lshlrev_b32_e32 v72, 29, v71
	;; [unrolled: 1-line block ×4, first 2 shown]
	v_add_co_u32 v2, s15, v2, -1
	s_wait_alu 0xf1ff
	v_cndmask_b32_e64 v74, 0, 1, s15
	v_not_b32_e32 v165, v70
	v_cmp_gt_i32_e64 s15, 0, v70
	v_not_b32_e32 v70, v72
	v_lshlrev_b32_e32 v76, 26, v71
	v_cmp_ne_u32_e32 vcc_lo, 0, v74
	v_ashrrev_i32_e32 v165, 31, v165
	v_lshlrev_b32_e32 v77, 25, v71
	v_ashrrev_i32_e32 v70, 31, v70
	v_lshlrev_b32_e32 v74, 24, v71
	s_wait_alu 0xfffd
	v_xor_b32_e32 v2, vcc_lo, v2
	v_cmp_gt_i32_e32 vcc_lo, 0, v72
	v_not_b32_e32 v72, v73
	s_wait_alu 0xf1ff
	v_xor_b32_e32 v165, s15, v165
	v_cmp_gt_i32_e64 s15, 0, v73
	v_and_b32_e32 v2, exec_lo, v2
	v_not_b32_e32 v73, v75
	v_ashrrev_i32_e32 v72, 31, v72
	s_wait_alu 0xfffd
	v_xor_b32_e32 v70, vcc_lo, v70
	v_cmp_gt_i32_e32 vcc_lo, 0, v75
	v_and_b32_e32 v2, v2, v165
	v_not_b32_e32 v75, v76
	v_ashrrev_i32_e32 v73, 31, v73
	s_wait_alu 0xf1ff
	v_xor_b32_e32 v72, s15, v72
	v_cmp_gt_i32_e64 s15, 0, v76
	v_and_b32_e32 v2, v2, v70
	v_not_b32_e32 v70, v77
	v_ashrrev_i32_e32 v75, 31, v75
	s_wait_alu 0xfffd
	v_xor_b32_e32 v73, vcc_lo, v73
	v_cmp_gt_i32_e32 vcc_lo, 0, v77
	v_and_b32_e32 v2, v2, v72
	v_not_b32_e32 v72, v74
	v_ashrrev_i32_e32 v70, 31, v70
	s_wait_alu 0xf1ff
	v_xor_b32_e32 v75, s15, v75
	v_cmp_gt_i32_e64 s15, 0, v74
	v_and_b32_e32 v2, v2, v73
	v_ashrrev_i32_e32 v72, 31, v72
	s_wait_alu 0xfffd
	v_xor_b32_e32 v70, vcc_lo, v70
	v_mul_u32_u24_e32 v71, 36, v71
	v_add_nc_u32_e32 v165, 0x438, v103
	v_and_b32_e32 v2, v2, v75
	s_wait_alu 0xf1ff
	v_xor_b32_e32 v72, s15, v72
	v_add_nc_u32_e32 v169, v147, v71
	ds_store_2addr_b32 v165, v3, v3 offset1:1
	v_and_b32_e32 v2, v2, v70
	ds_store_2addr_b32 v166, v3, v3 offset1:1
	ds_store_2addr_b32 v167, v3, v3 offset1:1
	;; [unrolled: 1-line block ×3, first 2 shown]
	ds_store_b32 v103, v3 offset:1088
	s_wait_loadcnt_dscnt 0x0
	s_barrier_signal -1
	s_barrier_wait -1
	v_and_b32_e32 v70, v2, v72
	global_inv scope:SCOPE_SE
	; wave barrier
	v_mbcnt_lo_u32_b32 v2, v70, 0
	v_cmp_ne_u32_e64 s15, 0, v70
	s_delay_alu instid0(VALU_DEP_2)
	v_cmp_eq_u32_e32 vcc_lo, 0, v2
	s_and_b32 s16, s15, vcc_lo
	s_wait_alu 0xfffe
	s_and_saveexec_b32 s15, s16
; %bb.1016:                             ;   in Loop: Header=BB1256_979 Depth=2
	v_bcnt_u32_b32 v70, v70, 0
	ds_store_b32 v169, v70 offset:1056
; %bb.1017:                             ;   in Loop: Header=BB1256_979 Depth=2
	s_wait_alu 0xfffe
	s_or_b32 exec_lo, exec_lo, s15
	v_cmp_lt_i64_e32 vcc_lo, -1, v[40:41]
	v_ashrrev_i32_e32 v71, 31, v41
	; wave barrier
	s_delay_alu instid0(VALU_DEP_1) | instskip(SKIP_2) | instid1(VALU_DEP_1)
	v_xor_b32_e32 v40, v71, v40
	s_wait_alu 0xfffd
	v_cndmask_b32_e64 v70, -1, 0x80000000, vcc_lo
	v_xor_b32_e32 v41, v70, v41
	s_delay_alu instid0(VALU_DEP_1) | instskip(SKIP_3) | instid1(VALU_DEP_1)
	v_cmp_ne_u64_e32 vcc_lo, s[42:43], v[40:41]
	s_wait_alu 0xfffd
	v_cndmask_b32_e32 v71, 0x80000000, v41, vcc_lo
	v_cndmask_b32_e32 v70, 0, v40, vcc_lo
	v_lshrrev_b64 v[70:71], s31, v[70:71]
	s_delay_alu instid0(VALU_DEP_1) | instskip(NEXT) | instid1(VALU_DEP_1)
	v_and_b32_e32 v71, s56, v70
	v_and_b32_e32 v70, 1, v71
	v_lshlrev_b32_e32 v72, 30, v71
	v_lshlrev_b32_e32 v73, 29, v71
	;; [unrolled: 1-line block ×4, first 2 shown]
	v_add_co_u32 v70, s15, v70, -1
	s_wait_alu 0xf1ff
	v_cndmask_b32_e64 v75, 0, 1, s15
	v_not_b32_e32 v171, v72
	v_cmp_gt_i32_e64 s15, 0, v72
	v_not_b32_e32 v72, v73
	v_lshlrev_b32_e32 v77, 26, v71
	v_cmp_ne_u32_e32 vcc_lo, 0, v75
	v_ashrrev_i32_e32 v171, 31, v171
	v_lshlrev_b32_e32 v170, 25, v71
	v_ashrrev_i32_e32 v72, 31, v72
	v_lshlrev_b32_e32 v75, 24, v71
	s_wait_alu 0xfffd
	v_xor_b32_e32 v70, vcc_lo, v70
	v_cmp_gt_i32_e32 vcc_lo, 0, v73
	v_not_b32_e32 v73, v74
	s_wait_alu 0xf1ff
	v_xor_b32_e32 v171, s15, v171
	v_cmp_gt_i32_e64 s15, 0, v74
	v_and_b32_e32 v70, exec_lo, v70
	v_not_b32_e32 v74, v76
	v_ashrrev_i32_e32 v73, 31, v73
	s_wait_alu 0xfffd
	v_xor_b32_e32 v72, vcc_lo, v72
	v_cmp_gt_i32_e32 vcc_lo, 0, v76
	v_and_b32_e32 v70, v70, v171
	v_not_b32_e32 v76, v77
	v_ashrrev_i32_e32 v74, 31, v74
	s_wait_alu 0xf1ff
	v_xor_b32_e32 v73, s15, v73
	v_cmp_gt_i32_e64 s15, 0, v77
	v_and_b32_e32 v70, v70, v72
	v_not_b32_e32 v72, v170
	v_ashrrev_i32_e32 v76, 31, v76
	s_wait_alu 0xfffd
	v_xor_b32_e32 v74, vcc_lo, v74
	v_cmp_gt_i32_e32 vcc_lo, 0, v170
	v_and_b32_e32 v70, v70, v73
	v_not_b32_e32 v73, v75
	v_ashrrev_i32_e32 v72, 31, v72
	s_wait_alu 0xf1ff
	v_xor_b32_e32 v76, s15, v76
	v_cmp_gt_i32_e64 s15, 0, v75
	v_and_b32_e32 v70, v70, v74
	v_ashrrev_i32_e32 v73, 31, v73
	s_wait_alu 0xfffd
	v_xor_b32_e32 v72, vcc_lo, v72
	v_mad_u32_u24 v74, v71, 36, v147
	v_mul_u32_u24_e32 v71, 36, v71
	v_and_b32_e32 v70, v70, v76
	s_wait_alu 0xf1ff
	v_xor_b32_e32 v73, s15, v73
	ds_load_b32 v170, v74 offset:1056
	v_add_nc_u32_e32 v172, v147, v71
	v_and_b32_e32 v70, v70, v72
	; wave barrier
	s_delay_alu instid0(VALU_DEP_1) | instskip(NEXT) | instid1(VALU_DEP_1)
	v_and_b32_e32 v70, v70, v73
	v_mbcnt_lo_u32_b32 v171, v70, 0
	v_cmp_ne_u32_e64 s15, 0, v70
	s_delay_alu instid0(VALU_DEP_2)
	v_cmp_eq_u32_e32 vcc_lo, 0, v171
	s_and_b32 s16, s15, vcc_lo
	s_wait_alu 0xfffe
	s_and_saveexec_b32 s15, s16
	s_cbranch_execz .LBB1256_1019
; %bb.1018:                             ;   in Loop: Header=BB1256_979 Depth=2
	s_wait_dscnt 0x0
	v_bcnt_u32_b32 v70, v70, v170
	ds_store_b32 v172, v70 offset:1056
.LBB1256_1019:                          ;   in Loop: Header=BB1256_979 Depth=2
	s_wait_alu 0xfffe
	s_or_b32 exec_lo, exec_lo, s15
	v_cmp_lt_i64_e32 vcc_lo, -1, v[42:43]
	v_ashrrev_i32_e32 v71, 31, v43
	; wave barrier
	s_delay_alu instid0(VALU_DEP_1) | instskip(SKIP_2) | instid1(VALU_DEP_1)
	v_xor_b32_e32 v42, v71, v42
	s_wait_alu 0xfffd
	v_cndmask_b32_e64 v70, -1, 0x80000000, vcc_lo
	v_xor_b32_e32 v43, v70, v43
	s_delay_alu instid0(VALU_DEP_1) | instskip(SKIP_3) | instid1(VALU_DEP_1)
	v_cmp_ne_u64_e32 vcc_lo, s[42:43], v[42:43]
	s_wait_alu 0xfffd
	v_cndmask_b32_e32 v71, 0x80000000, v43, vcc_lo
	v_cndmask_b32_e32 v70, 0, v42, vcc_lo
	v_lshrrev_b64 v[70:71], s31, v[70:71]
	s_delay_alu instid0(VALU_DEP_1) | instskip(NEXT) | instid1(VALU_DEP_1)
	v_and_b32_e32 v71, s56, v70
	v_and_b32_e32 v70, 1, v71
	v_lshlrev_b32_e32 v72, 30, v71
	v_lshlrev_b32_e32 v73, 29, v71
	;; [unrolled: 1-line block ×4, first 2 shown]
	v_add_co_u32 v70, s15, v70, -1
	s_wait_alu 0xf1ff
	v_cndmask_b32_e64 v75, 0, 1, s15
	v_not_b32_e32 v174, v72
	v_cmp_gt_i32_e64 s15, 0, v72
	v_not_b32_e32 v72, v73
	v_lshlrev_b32_e32 v77, 26, v71
	v_cmp_ne_u32_e32 vcc_lo, 0, v75
	v_ashrrev_i32_e32 v174, 31, v174
	v_lshlrev_b32_e32 v173, 25, v71
	v_ashrrev_i32_e32 v72, 31, v72
	v_lshlrev_b32_e32 v75, 24, v71
	s_wait_alu 0xfffd
	v_xor_b32_e32 v70, vcc_lo, v70
	v_cmp_gt_i32_e32 vcc_lo, 0, v73
	v_not_b32_e32 v73, v74
	s_wait_alu 0xf1ff
	v_xor_b32_e32 v174, s15, v174
	v_cmp_gt_i32_e64 s15, 0, v74
	v_and_b32_e32 v70, exec_lo, v70
	v_not_b32_e32 v74, v76
	v_ashrrev_i32_e32 v73, 31, v73
	s_wait_alu 0xfffd
	v_xor_b32_e32 v72, vcc_lo, v72
	v_cmp_gt_i32_e32 vcc_lo, 0, v76
	v_and_b32_e32 v70, v70, v174
	v_not_b32_e32 v76, v77
	v_ashrrev_i32_e32 v74, 31, v74
	s_wait_alu 0xf1ff
	v_xor_b32_e32 v73, s15, v73
	v_cmp_gt_i32_e64 s15, 0, v77
	v_and_b32_e32 v70, v70, v72
	v_not_b32_e32 v72, v173
	v_ashrrev_i32_e32 v76, 31, v76
	s_wait_alu 0xfffd
	v_xor_b32_e32 v74, vcc_lo, v74
	v_cmp_gt_i32_e32 vcc_lo, 0, v173
	v_and_b32_e32 v70, v70, v73
	v_not_b32_e32 v73, v75
	v_ashrrev_i32_e32 v72, 31, v72
	s_wait_alu 0xf1ff
	v_xor_b32_e32 v76, s15, v76
	v_cmp_gt_i32_e64 s15, 0, v75
	v_and_b32_e32 v70, v70, v74
	v_ashrrev_i32_e32 v73, 31, v73
	s_wait_alu 0xfffd
	v_xor_b32_e32 v72, vcc_lo, v72
	v_mad_u32_u24 v74, v71, 36, v147
	v_mul_u32_u24_e32 v71, 36, v71
	v_and_b32_e32 v70, v70, v76
	s_wait_alu 0xf1ff
	v_xor_b32_e32 v73, s15, v73
	ds_load_b32 v173, v74 offset:1056
	v_add_nc_u32_e32 v175, v147, v71
	v_and_b32_e32 v70, v70, v72
	; wave barrier
	s_delay_alu instid0(VALU_DEP_1) | instskip(NEXT) | instid1(VALU_DEP_1)
	v_and_b32_e32 v70, v70, v73
	v_mbcnt_lo_u32_b32 v174, v70, 0
	v_cmp_ne_u32_e64 s15, 0, v70
	s_delay_alu instid0(VALU_DEP_2)
	v_cmp_eq_u32_e32 vcc_lo, 0, v174
	s_and_b32 s16, s15, vcc_lo
	s_wait_alu 0xfffe
	s_and_saveexec_b32 s15, s16
	s_cbranch_execz .LBB1256_1021
; %bb.1020:                             ;   in Loop: Header=BB1256_979 Depth=2
	s_wait_dscnt 0x0
	v_bcnt_u32_b32 v70, v70, v173
	ds_store_b32 v175, v70 offset:1056
.LBB1256_1021:                          ;   in Loop: Header=BB1256_979 Depth=2
	s_wait_alu 0xfffe
	s_or_b32 exec_lo, exec_lo, s15
	v_cmp_lt_i64_e32 vcc_lo, -1, v[48:49]
	v_ashrrev_i32_e32 v71, 31, v49
	; wave barrier
	s_delay_alu instid0(VALU_DEP_1) | instskip(SKIP_2) | instid1(VALU_DEP_1)
	v_xor_b32_e32 v48, v71, v48
	s_wait_alu 0xfffd
	v_cndmask_b32_e64 v70, -1, 0x80000000, vcc_lo
	v_xor_b32_e32 v49, v70, v49
	s_delay_alu instid0(VALU_DEP_1) | instskip(SKIP_3) | instid1(VALU_DEP_1)
	v_cmp_ne_u64_e32 vcc_lo, s[42:43], v[48:49]
	s_wait_alu 0xfffd
	v_cndmask_b32_e32 v71, 0x80000000, v49, vcc_lo
	v_cndmask_b32_e32 v70, 0, v48, vcc_lo
	v_lshrrev_b64 v[70:71], s31, v[70:71]
	s_delay_alu instid0(VALU_DEP_1) | instskip(NEXT) | instid1(VALU_DEP_1)
	v_and_b32_e32 v71, s56, v70
	v_and_b32_e32 v70, 1, v71
	v_lshlrev_b32_e32 v72, 30, v71
	v_lshlrev_b32_e32 v73, 29, v71
	;; [unrolled: 1-line block ×4, first 2 shown]
	v_add_co_u32 v70, s15, v70, -1
	s_wait_alu 0xf1ff
	v_cndmask_b32_e64 v75, 0, 1, s15
	v_not_b32_e32 v177, v72
	v_cmp_gt_i32_e64 s15, 0, v72
	v_not_b32_e32 v72, v73
	v_lshlrev_b32_e32 v77, 26, v71
	v_cmp_ne_u32_e32 vcc_lo, 0, v75
	v_ashrrev_i32_e32 v177, 31, v177
	v_lshlrev_b32_e32 v176, 25, v71
	v_ashrrev_i32_e32 v72, 31, v72
	v_lshlrev_b32_e32 v75, 24, v71
	s_wait_alu 0xfffd
	v_xor_b32_e32 v70, vcc_lo, v70
	v_cmp_gt_i32_e32 vcc_lo, 0, v73
	v_not_b32_e32 v73, v74
	s_wait_alu 0xf1ff
	v_xor_b32_e32 v177, s15, v177
	v_cmp_gt_i32_e64 s15, 0, v74
	v_and_b32_e32 v70, exec_lo, v70
	v_not_b32_e32 v74, v76
	v_ashrrev_i32_e32 v73, 31, v73
	s_wait_alu 0xfffd
	v_xor_b32_e32 v72, vcc_lo, v72
	v_cmp_gt_i32_e32 vcc_lo, 0, v76
	v_and_b32_e32 v70, v70, v177
	v_not_b32_e32 v76, v77
	v_ashrrev_i32_e32 v74, 31, v74
	s_wait_alu 0xf1ff
	v_xor_b32_e32 v73, s15, v73
	v_cmp_gt_i32_e64 s15, 0, v77
	v_and_b32_e32 v70, v70, v72
	v_not_b32_e32 v72, v176
	v_ashrrev_i32_e32 v76, 31, v76
	s_wait_alu 0xfffd
	v_xor_b32_e32 v74, vcc_lo, v74
	v_cmp_gt_i32_e32 vcc_lo, 0, v176
	v_and_b32_e32 v70, v70, v73
	v_not_b32_e32 v73, v75
	v_ashrrev_i32_e32 v72, 31, v72
	s_wait_alu 0xf1ff
	v_xor_b32_e32 v76, s15, v76
	v_cmp_gt_i32_e64 s15, 0, v75
	v_and_b32_e32 v70, v70, v74
	v_ashrrev_i32_e32 v73, 31, v73
	s_wait_alu 0xfffd
	v_xor_b32_e32 v72, vcc_lo, v72
	v_mad_u32_u24 v74, v71, 36, v147
	v_mul_u32_u24_e32 v71, 36, v71
	v_and_b32_e32 v70, v70, v76
	s_wait_alu 0xf1ff
	v_xor_b32_e32 v73, s15, v73
	ds_load_b32 v176, v74 offset:1056
	v_add_nc_u32_e32 v178, v147, v71
	v_and_b32_e32 v70, v70, v72
	; wave barrier
	s_delay_alu instid0(VALU_DEP_1) | instskip(NEXT) | instid1(VALU_DEP_1)
	v_and_b32_e32 v70, v70, v73
	v_mbcnt_lo_u32_b32 v177, v70, 0
	v_cmp_ne_u32_e64 s15, 0, v70
	s_delay_alu instid0(VALU_DEP_2)
	v_cmp_eq_u32_e32 vcc_lo, 0, v177
	s_and_b32 s16, s15, vcc_lo
	s_wait_alu 0xfffe
	s_and_saveexec_b32 s15, s16
	s_cbranch_execz .LBB1256_1023
; %bb.1022:                             ;   in Loop: Header=BB1256_979 Depth=2
	s_wait_dscnt 0x0
	v_bcnt_u32_b32 v70, v70, v176
	ds_store_b32 v178, v70 offset:1056
.LBB1256_1023:                          ;   in Loop: Header=BB1256_979 Depth=2
	s_wait_alu 0xfffe
	s_or_b32 exec_lo, exec_lo, s15
	v_cmp_lt_i64_e32 vcc_lo, -1, v[54:55]
	v_ashrrev_i32_e32 v71, 31, v55
	; wave barrier
	s_delay_alu instid0(VALU_DEP_1) | instskip(SKIP_2) | instid1(VALU_DEP_1)
	v_xor_b32_e32 v54, v71, v54
	s_wait_alu 0xfffd
	v_cndmask_b32_e64 v70, -1, 0x80000000, vcc_lo
	v_xor_b32_e32 v55, v70, v55
	s_delay_alu instid0(VALU_DEP_1) | instskip(SKIP_3) | instid1(VALU_DEP_1)
	v_cmp_ne_u64_e32 vcc_lo, s[42:43], v[54:55]
	s_wait_alu 0xfffd
	v_cndmask_b32_e32 v71, 0x80000000, v55, vcc_lo
	v_cndmask_b32_e32 v70, 0, v54, vcc_lo
	v_lshrrev_b64 v[70:71], s31, v[70:71]
	s_delay_alu instid0(VALU_DEP_1) | instskip(NEXT) | instid1(VALU_DEP_1)
	v_and_b32_e32 v71, s56, v70
	v_and_b32_e32 v70, 1, v71
	v_lshlrev_b32_e32 v72, 30, v71
	v_lshlrev_b32_e32 v73, 29, v71
	;; [unrolled: 1-line block ×4, first 2 shown]
	v_add_co_u32 v70, s15, v70, -1
	s_wait_alu 0xf1ff
	v_cndmask_b32_e64 v75, 0, 1, s15
	v_not_b32_e32 v180, v72
	v_cmp_gt_i32_e64 s15, 0, v72
	v_not_b32_e32 v72, v73
	v_lshlrev_b32_e32 v77, 26, v71
	v_cmp_ne_u32_e32 vcc_lo, 0, v75
	v_ashrrev_i32_e32 v180, 31, v180
	v_lshlrev_b32_e32 v179, 25, v71
	v_ashrrev_i32_e32 v72, 31, v72
	v_lshlrev_b32_e32 v75, 24, v71
	s_wait_alu 0xfffd
	v_xor_b32_e32 v70, vcc_lo, v70
	v_cmp_gt_i32_e32 vcc_lo, 0, v73
	v_not_b32_e32 v73, v74
	s_wait_alu 0xf1ff
	v_xor_b32_e32 v180, s15, v180
	v_cmp_gt_i32_e64 s15, 0, v74
	v_and_b32_e32 v70, exec_lo, v70
	v_not_b32_e32 v74, v76
	v_ashrrev_i32_e32 v73, 31, v73
	s_wait_alu 0xfffd
	v_xor_b32_e32 v72, vcc_lo, v72
	v_cmp_gt_i32_e32 vcc_lo, 0, v76
	v_and_b32_e32 v70, v70, v180
	v_not_b32_e32 v76, v77
	v_ashrrev_i32_e32 v74, 31, v74
	s_wait_alu 0xf1ff
	v_xor_b32_e32 v73, s15, v73
	v_cmp_gt_i32_e64 s15, 0, v77
	v_and_b32_e32 v70, v70, v72
	v_not_b32_e32 v72, v179
	v_ashrrev_i32_e32 v76, 31, v76
	s_wait_alu 0xfffd
	v_xor_b32_e32 v74, vcc_lo, v74
	v_cmp_gt_i32_e32 vcc_lo, 0, v179
	v_and_b32_e32 v70, v70, v73
	v_not_b32_e32 v73, v75
	v_ashrrev_i32_e32 v72, 31, v72
	s_wait_alu 0xf1ff
	v_xor_b32_e32 v76, s15, v76
	v_cmp_gt_i32_e64 s15, 0, v75
	v_and_b32_e32 v70, v70, v74
	v_ashrrev_i32_e32 v73, 31, v73
	s_wait_alu 0xfffd
	v_xor_b32_e32 v72, vcc_lo, v72
	v_mad_u32_u24 v74, v71, 36, v147
	v_mul_u32_u24_e32 v71, 36, v71
	v_and_b32_e32 v70, v70, v76
	s_wait_alu 0xf1ff
	v_xor_b32_e32 v73, s15, v73
	ds_load_b32 v179, v74 offset:1056
	v_add_nc_u32_e32 v181, v147, v71
	v_and_b32_e32 v70, v70, v72
	; wave barrier
	s_delay_alu instid0(VALU_DEP_1) | instskip(NEXT) | instid1(VALU_DEP_1)
	v_and_b32_e32 v70, v70, v73
	v_mbcnt_lo_u32_b32 v180, v70, 0
	v_cmp_ne_u32_e64 s15, 0, v70
	s_delay_alu instid0(VALU_DEP_2)
	v_cmp_eq_u32_e32 vcc_lo, 0, v180
	s_and_b32 s16, s15, vcc_lo
	s_wait_alu 0xfffe
	s_and_saveexec_b32 s15, s16
	s_cbranch_execz .LBB1256_1025
; %bb.1024:                             ;   in Loop: Header=BB1256_979 Depth=2
	s_wait_dscnt 0x0
	v_bcnt_u32_b32 v70, v70, v179
	ds_store_b32 v181, v70 offset:1056
.LBB1256_1025:                          ;   in Loop: Header=BB1256_979 Depth=2
	s_wait_alu 0xfffe
	s_or_b32 exec_lo, exec_lo, s15
	v_cmp_lt_i64_e32 vcc_lo, -1, v[58:59]
	v_ashrrev_i32_e32 v71, 31, v59
	; wave barrier
	s_delay_alu instid0(VALU_DEP_1) | instskip(SKIP_2) | instid1(VALU_DEP_1)
	v_xor_b32_e32 v58, v71, v58
	s_wait_alu 0xfffd
	v_cndmask_b32_e64 v70, -1, 0x80000000, vcc_lo
	v_xor_b32_e32 v59, v70, v59
	s_delay_alu instid0(VALU_DEP_1) | instskip(SKIP_3) | instid1(VALU_DEP_1)
	v_cmp_ne_u64_e32 vcc_lo, s[42:43], v[58:59]
	s_wait_alu 0xfffd
	v_cndmask_b32_e32 v71, 0x80000000, v59, vcc_lo
	v_cndmask_b32_e32 v70, 0, v58, vcc_lo
	v_lshrrev_b64 v[70:71], s31, v[70:71]
	s_delay_alu instid0(VALU_DEP_1) | instskip(NEXT) | instid1(VALU_DEP_1)
	v_and_b32_e32 v71, s56, v70
	v_and_b32_e32 v70, 1, v71
	v_lshlrev_b32_e32 v72, 30, v71
	v_lshlrev_b32_e32 v73, 29, v71
	;; [unrolled: 1-line block ×4, first 2 shown]
	v_add_co_u32 v70, s15, v70, -1
	s_wait_alu 0xf1ff
	v_cndmask_b32_e64 v75, 0, 1, s15
	v_not_b32_e32 v183, v72
	v_cmp_gt_i32_e64 s15, 0, v72
	v_not_b32_e32 v72, v73
	v_lshlrev_b32_e32 v77, 26, v71
	v_cmp_ne_u32_e32 vcc_lo, 0, v75
	v_ashrrev_i32_e32 v183, 31, v183
	v_lshlrev_b32_e32 v182, 25, v71
	v_ashrrev_i32_e32 v72, 31, v72
	v_lshlrev_b32_e32 v75, 24, v71
	s_wait_alu 0xfffd
	v_xor_b32_e32 v70, vcc_lo, v70
	v_cmp_gt_i32_e32 vcc_lo, 0, v73
	v_not_b32_e32 v73, v74
	s_wait_alu 0xf1ff
	v_xor_b32_e32 v183, s15, v183
	v_cmp_gt_i32_e64 s15, 0, v74
	v_and_b32_e32 v70, exec_lo, v70
	v_not_b32_e32 v74, v76
	v_ashrrev_i32_e32 v73, 31, v73
	s_wait_alu 0xfffd
	v_xor_b32_e32 v72, vcc_lo, v72
	v_cmp_gt_i32_e32 vcc_lo, 0, v76
	v_and_b32_e32 v70, v70, v183
	v_not_b32_e32 v76, v77
	v_ashrrev_i32_e32 v74, 31, v74
	s_wait_alu 0xf1ff
	v_xor_b32_e32 v73, s15, v73
	v_cmp_gt_i32_e64 s15, 0, v77
	v_and_b32_e32 v70, v70, v72
	v_not_b32_e32 v72, v182
	v_ashrrev_i32_e32 v76, 31, v76
	s_wait_alu 0xfffd
	v_xor_b32_e32 v74, vcc_lo, v74
	v_cmp_gt_i32_e32 vcc_lo, 0, v182
	v_and_b32_e32 v70, v70, v73
	v_not_b32_e32 v73, v75
	v_ashrrev_i32_e32 v72, 31, v72
	s_wait_alu 0xf1ff
	v_xor_b32_e32 v76, s15, v76
	v_cmp_gt_i32_e64 s15, 0, v75
	v_and_b32_e32 v70, v70, v74
	v_ashrrev_i32_e32 v73, 31, v73
	s_wait_alu 0xfffd
	v_xor_b32_e32 v72, vcc_lo, v72
	v_mad_u32_u24 v74, v71, 36, v147
	v_mul_u32_u24_e32 v71, 36, v71
	v_and_b32_e32 v70, v70, v76
	s_wait_alu 0xf1ff
	v_xor_b32_e32 v73, s15, v73
	ds_load_b32 v182, v74 offset:1056
	v_add_nc_u32_e32 v184, v147, v71
	v_and_b32_e32 v70, v70, v72
	; wave barrier
	s_delay_alu instid0(VALU_DEP_1) | instskip(NEXT) | instid1(VALU_DEP_1)
	v_and_b32_e32 v70, v70, v73
	v_mbcnt_lo_u32_b32 v183, v70, 0
	v_cmp_ne_u32_e64 s15, 0, v70
	s_delay_alu instid0(VALU_DEP_2)
	v_cmp_eq_u32_e32 vcc_lo, 0, v183
	s_and_b32 s16, s15, vcc_lo
	s_wait_alu 0xfffe
	s_and_saveexec_b32 s15, s16
	s_cbranch_execz .LBB1256_1027
; %bb.1026:                             ;   in Loop: Header=BB1256_979 Depth=2
	s_wait_dscnt 0x0
	v_bcnt_u32_b32 v70, v70, v182
	ds_store_b32 v184, v70 offset:1056
.LBB1256_1027:                          ;   in Loop: Header=BB1256_979 Depth=2
	s_wait_alu 0xfffe
	s_or_b32 exec_lo, exec_lo, s15
	v_cmp_lt_i64_e32 vcc_lo, -1, v[62:63]
	v_ashrrev_i32_e32 v71, 31, v63
	; wave barrier
	s_delay_alu instid0(VALU_DEP_1) | instskip(SKIP_2) | instid1(VALU_DEP_1)
	v_xor_b32_e32 v62, v71, v62
	s_wait_alu 0xfffd
	v_cndmask_b32_e64 v70, -1, 0x80000000, vcc_lo
	v_xor_b32_e32 v63, v70, v63
	s_delay_alu instid0(VALU_DEP_1) | instskip(SKIP_3) | instid1(VALU_DEP_1)
	v_cmp_ne_u64_e32 vcc_lo, s[42:43], v[62:63]
	s_wait_alu 0xfffd
	v_cndmask_b32_e32 v71, 0x80000000, v63, vcc_lo
	v_cndmask_b32_e32 v70, 0, v62, vcc_lo
	v_lshrrev_b64 v[70:71], s31, v[70:71]
	s_delay_alu instid0(VALU_DEP_1) | instskip(NEXT) | instid1(VALU_DEP_1)
	v_and_b32_e32 v71, s56, v70
	v_and_b32_e32 v70, 1, v71
	v_lshlrev_b32_e32 v72, 30, v71
	v_lshlrev_b32_e32 v73, 29, v71
	;; [unrolled: 1-line block ×4, first 2 shown]
	v_add_co_u32 v70, s15, v70, -1
	s_wait_alu 0xf1ff
	v_cndmask_b32_e64 v75, 0, 1, s15
	v_not_b32_e32 v186, v72
	v_cmp_gt_i32_e64 s15, 0, v72
	v_not_b32_e32 v72, v73
	v_lshlrev_b32_e32 v77, 26, v71
	v_cmp_ne_u32_e32 vcc_lo, 0, v75
	v_ashrrev_i32_e32 v186, 31, v186
	v_lshlrev_b32_e32 v185, 25, v71
	v_ashrrev_i32_e32 v72, 31, v72
	v_lshlrev_b32_e32 v75, 24, v71
	s_wait_alu 0xfffd
	v_xor_b32_e32 v70, vcc_lo, v70
	v_cmp_gt_i32_e32 vcc_lo, 0, v73
	v_not_b32_e32 v73, v74
	s_wait_alu 0xf1ff
	v_xor_b32_e32 v186, s15, v186
	v_cmp_gt_i32_e64 s15, 0, v74
	v_and_b32_e32 v70, exec_lo, v70
	v_not_b32_e32 v74, v76
	v_ashrrev_i32_e32 v73, 31, v73
	s_wait_alu 0xfffd
	v_xor_b32_e32 v72, vcc_lo, v72
	v_cmp_gt_i32_e32 vcc_lo, 0, v76
	v_and_b32_e32 v70, v70, v186
	v_not_b32_e32 v76, v77
	v_ashrrev_i32_e32 v74, 31, v74
	s_wait_alu 0xf1ff
	v_xor_b32_e32 v73, s15, v73
	v_cmp_gt_i32_e64 s15, 0, v77
	v_and_b32_e32 v70, v70, v72
	v_not_b32_e32 v72, v185
	v_ashrrev_i32_e32 v76, 31, v76
	s_wait_alu 0xfffd
	v_xor_b32_e32 v74, vcc_lo, v74
	v_cmp_gt_i32_e32 vcc_lo, 0, v185
	v_and_b32_e32 v70, v70, v73
	v_not_b32_e32 v73, v75
	v_ashrrev_i32_e32 v72, 31, v72
	s_wait_alu 0xf1ff
	v_xor_b32_e32 v76, s15, v76
	v_cmp_gt_i32_e64 s15, 0, v75
	v_and_b32_e32 v70, v70, v74
	v_ashrrev_i32_e32 v73, 31, v73
	s_wait_alu 0xfffd
	v_xor_b32_e32 v72, vcc_lo, v72
	v_mad_u32_u24 v74, v71, 36, v147
	v_mul_u32_u24_e32 v71, 36, v71
	v_and_b32_e32 v70, v70, v76
	s_wait_alu 0xf1ff
	v_xor_b32_e32 v73, s15, v73
	ds_load_b32 v185, v74 offset:1056
	v_add_nc_u32_e32 v187, v147, v71
	v_and_b32_e32 v70, v70, v72
	; wave barrier
	s_delay_alu instid0(VALU_DEP_1) | instskip(NEXT) | instid1(VALU_DEP_1)
	v_and_b32_e32 v70, v70, v73
	v_mbcnt_lo_u32_b32 v186, v70, 0
	v_cmp_ne_u32_e64 s15, 0, v70
	s_delay_alu instid0(VALU_DEP_2)
	v_cmp_eq_u32_e32 vcc_lo, 0, v186
	s_and_b32 s16, s15, vcc_lo
	s_wait_alu 0xfffe
	s_and_saveexec_b32 s15, s16
	s_cbranch_execz .LBB1256_1029
; %bb.1028:                             ;   in Loop: Header=BB1256_979 Depth=2
	s_wait_dscnt 0x0
	v_bcnt_u32_b32 v70, v70, v185
	ds_store_b32 v187, v70 offset:1056
.LBB1256_1029:                          ;   in Loop: Header=BB1256_979 Depth=2
	s_wait_alu 0xfffe
	s_or_b32 exec_lo, exec_lo, s15
	v_cmp_lt_i64_e32 vcc_lo, -1, v[66:67]
	v_ashrrev_i32_e32 v71, 31, v67
	; wave barrier
	s_delay_alu instid0(VALU_DEP_1) | instskip(SKIP_2) | instid1(VALU_DEP_1)
	v_xor_b32_e32 v66, v71, v66
	s_wait_alu 0xfffd
	v_cndmask_b32_e64 v70, -1, 0x80000000, vcc_lo
	v_xor_b32_e32 v67, v70, v67
	s_delay_alu instid0(VALU_DEP_1) | instskip(SKIP_3) | instid1(VALU_DEP_1)
	v_cmp_ne_u64_e32 vcc_lo, s[42:43], v[66:67]
	s_wait_alu 0xfffd
	v_cndmask_b32_e32 v71, 0x80000000, v67, vcc_lo
	v_cndmask_b32_e32 v70, 0, v66, vcc_lo
	v_lshrrev_b64 v[70:71], s31, v[70:71]
	s_delay_alu instid0(VALU_DEP_1) | instskip(NEXT) | instid1(VALU_DEP_1)
	v_and_b32_e32 v71, s56, v70
	v_and_b32_e32 v70, 1, v71
	v_lshlrev_b32_e32 v72, 30, v71
	v_lshlrev_b32_e32 v73, 29, v71
	;; [unrolled: 1-line block ×4, first 2 shown]
	v_add_co_u32 v70, s15, v70, -1
	s_wait_alu 0xf1ff
	v_cndmask_b32_e64 v75, 0, 1, s15
	v_not_b32_e32 v189, v72
	v_cmp_gt_i32_e64 s15, 0, v72
	v_not_b32_e32 v72, v73
	v_lshlrev_b32_e32 v77, 26, v71
	v_cmp_ne_u32_e32 vcc_lo, 0, v75
	v_ashrrev_i32_e32 v189, 31, v189
	v_lshlrev_b32_e32 v188, 25, v71
	v_ashrrev_i32_e32 v72, 31, v72
	v_lshlrev_b32_e32 v75, 24, v71
	s_wait_alu 0xfffd
	v_xor_b32_e32 v70, vcc_lo, v70
	v_cmp_gt_i32_e32 vcc_lo, 0, v73
	v_not_b32_e32 v73, v74
	s_wait_alu 0xf1ff
	v_xor_b32_e32 v189, s15, v189
	v_cmp_gt_i32_e64 s15, 0, v74
	v_and_b32_e32 v70, exec_lo, v70
	v_not_b32_e32 v74, v76
	v_ashrrev_i32_e32 v73, 31, v73
	s_wait_alu 0xfffd
	v_xor_b32_e32 v72, vcc_lo, v72
	v_cmp_gt_i32_e32 vcc_lo, 0, v76
	v_and_b32_e32 v70, v70, v189
	v_not_b32_e32 v76, v77
	v_ashrrev_i32_e32 v74, 31, v74
	s_wait_alu 0xf1ff
	v_xor_b32_e32 v73, s15, v73
	v_cmp_gt_i32_e64 s15, 0, v77
	v_and_b32_e32 v70, v70, v72
	v_not_b32_e32 v72, v188
	v_ashrrev_i32_e32 v76, 31, v76
	s_wait_alu 0xfffd
	v_xor_b32_e32 v74, vcc_lo, v74
	v_cmp_gt_i32_e32 vcc_lo, 0, v188
	v_and_b32_e32 v70, v70, v73
	v_not_b32_e32 v73, v75
	v_ashrrev_i32_e32 v72, 31, v72
	s_wait_alu 0xf1ff
	v_xor_b32_e32 v76, s15, v76
	v_cmp_gt_i32_e64 s15, 0, v75
	v_and_b32_e32 v70, v70, v74
	v_ashrrev_i32_e32 v73, 31, v73
	s_wait_alu 0xfffd
	v_xor_b32_e32 v72, vcc_lo, v72
	v_mad_u32_u24 v74, v71, 36, v147
	v_mul_u32_u24_e32 v71, 36, v71
	v_and_b32_e32 v70, v70, v76
	s_wait_alu 0xf1ff
	v_xor_b32_e32 v73, s15, v73
	ds_load_b32 v188, v74 offset:1056
	v_add_nc_u32_e32 v190, v147, v71
	v_and_b32_e32 v70, v70, v72
	; wave barrier
	s_delay_alu instid0(VALU_DEP_1) | instskip(NEXT) | instid1(VALU_DEP_1)
	v_and_b32_e32 v70, v70, v73
	v_mbcnt_lo_u32_b32 v189, v70, 0
	v_cmp_ne_u32_e64 s15, 0, v70
	s_delay_alu instid0(VALU_DEP_2)
	v_cmp_eq_u32_e32 vcc_lo, 0, v189
	s_and_b32 s16, s15, vcc_lo
	s_wait_alu 0xfffe
	s_and_saveexec_b32 s15, s16
	s_cbranch_execz .LBB1256_1031
; %bb.1030:                             ;   in Loop: Header=BB1256_979 Depth=2
	s_wait_dscnt 0x0
	v_bcnt_u32_b32 v70, v70, v188
	ds_store_b32 v190, v70 offset:1056
.LBB1256_1031:                          ;   in Loop: Header=BB1256_979 Depth=2
	s_wait_alu 0xfffe
	s_or_b32 exec_lo, exec_lo, s15
	v_cmp_lt_i64_e32 vcc_lo, -1, v[68:69]
	v_ashrrev_i32_e32 v71, 31, v69
	; wave barrier
	s_delay_alu instid0(VALU_DEP_1) | instskip(SKIP_2) | instid1(VALU_DEP_1)
	v_xor_b32_e32 v68, v71, v68
	s_wait_alu 0xfffd
	v_cndmask_b32_e64 v70, -1, 0x80000000, vcc_lo
	v_xor_b32_e32 v69, v70, v69
	s_delay_alu instid0(VALU_DEP_1) | instskip(SKIP_3) | instid1(VALU_DEP_1)
	v_cmp_ne_u64_e32 vcc_lo, s[42:43], v[68:69]
	s_wait_alu 0xfffd
	v_cndmask_b32_e32 v71, 0x80000000, v69, vcc_lo
	v_cndmask_b32_e32 v70, 0, v68, vcc_lo
	v_lshrrev_b64 v[70:71], s31, v[70:71]
	s_delay_alu instid0(VALU_DEP_1) | instskip(NEXT) | instid1(VALU_DEP_1)
	v_and_b32_e32 v71, s56, v70
	v_and_b32_e32 v70, 1, v71
	v_lshlrev_b32_e32 v72, 30, v71
	v_lshlrev_b32_e32 v73, 29, v71
	;; [unrolled: 1-line block ×4, first 2 shown]
	v_add_co_u32 v70, s15, v70, -1
	s_wait_alu 0xf1ff
	v_cndmask_b32_e64 v75, 0, 1, s15
	v_not_b32_e32 v192, v72
	v_cmp_gt_i32_e64 s15, 0, v72
	v_not_b32_e32 v72, v73
	v_lshlrev_b32_e32 v77, 26, v71
	v_cmp_ne_u32_e32 vcc_lo, 0, v75
	v_ashrrev_i32_e32 v192, 31, v192
	v_lshlrev_b32_e32 v191, 25, v71
	v_ashrrev_i32_e32 v72, 31, v72
	v_lshlrev_b32_e32 v75, 24, v71
	s_wait_alu 0xfffd
	v_xor_b32_e32 v70, vcc_lo, v70
	v_cmp_gt_i32_e32 vcc_lo, 0, v73
	v_not_b32_e32 v73, v74
	s_wait_alu 0xf1ff
	v_xor_b32_e32 v192, s15, v192
	v_cmp_gt_i32_e64 s15, 0, v74
	v_and_b32_e32 v70, exec_lo, v70
	v_not_b32_e32 v74, v76
	v_ashrrev_i32_e32 v73, 31, v73
	s_wait_alu 0xfffd
	v_xor_b32_e32 v72, vcc_lo, v72
	v_cmp_gt_i32_e32 vcc_lo, 0, v76
	v_and_b32_e32 v70, v70, v192
	v_not_b32_e32 v76, v77
	v_ashrrev_i32_e32 v74, 31, v74
	s_wait_alu 0xf1ff
	v_xor_b32_e32 v73, s15, v73
	v_cmp_gt_i32_e64 s15, 0, v77
	v_and_b32_e32 v70, v70, v72
	v_not_b32_e32 v72, v191
	v_ashrrev_i32_e32 v76, 31, v76
	s_wait_alu 0xfffd
	v_xor_b32_e32 v74, vcc_lo, v74
	v_cmp_gt_i32_e32 vcc_lo, 0, v191
	v_and_b32_e32 v70, v70, v73
	v_not_b32_e32 v73, v75
	v_ashrrev_i32_e32 v72, 31, v72
	s_wait_alu 0xf1ff
	v_xor_b32_e32 v76, s15, v76
	v_cmp_gt_i32_e64 s15, 0, v75
	v_and_b32_e32 v70, v70, v74
	v_ashrrev_i32_e32 v73, 31, v73
	s_wait_alu 0xfffd
	v_xor_b32_e32 v72, vcc_lo, v72
	v_mad_u32_u24 v74, v71, 36, v147
	v_mul_u32_u24_e32 v71, 36, v71
	v_and_b32_e32 v70, v70, v76
	s_wait_alu 0xf1ff
	v_xor_b32_e32 v73, s15, v73
	ds_load_b32 v191, v74 offset:1056
	v_add_nc_u32_e32 v193, v147, v71
	v_and_b32_e32 v70, v70, v72
	; wave barrier
	s_delay_alu instid0(VALU_DEP_1) | instskip(NEXT) | instid1(VALU_DEP_1)
	v_and_b32_e32 v70, v70, v73
	v_mbcnt_lo_u32_b32 v192, v70, 0
	v_cmp_ne_u32_e64 s15, 0, v70
	s_delay_alu instid0(VALU_DEP_2)
	v_cmp_eq_u32_e32 vcc_lo, 0, v192
	s_and_b32 s16, s15, vcc_lo
	s_wait_alu 0xfffe
	s_and_saveexec_b32 s15, s16
	s_cbranch_execz .LBB1256_1033
; %bb.1032:                             ;   in Loop: Header=BB1256_979 Depth=2
	s_wait_dscnt 0x0
	v_bcnt_u32_b32 v70, v70, v191
	ds_store_b32 v193, v70 offset:1056
.LBB1256_1033:                          ;   in Loop: Header=BB1256_979 Depth=2
	s_wait_alu 0xfffe
	s_or_b32 exec_lo, exec_lo, s15
	v_cmp_lt_i64_e32 vcc_lo, -1, v[64:65]
	v_ashrrev_i32_e32 v71, 31, v65
	; wave barrier
	s_delay_alu instid0(VALU_DEP_1) | instskip(SKIP_2) | instid1(VALU_DEP_1)
	v_xor_b32_e32 v64, v71, v64
	s_wait_alu 0xfffd
	v_cndmask_b32_e64 v70, -1, 0x80000000, vcc_lo
	v_xor_b32_e32 v65, v70, v65
	s_delay_alu instid0(VALU_DEP_1) | instskip(SKIP_3) | instid1(VALU_DEP_1)
	v_cmp_ne_u64_e32 vcc_lo, s[42:43], v[64:65]
	s_wait_alu 0xfffd
	v_cndmask_b32_e32 v71, 0x80000000, v65, vcc_lo
	v_cndmask_b32_e32 v70, 0, v64, vcc_lo
	v_lshrrev_b64 v[70:71], s31, v[70:71]
	s_delay_alu instid0(VALU_DEP_1) | instskip(NEXT) | instid1(VALU_DEP_1)
	v_and_b32_e32 v71, s56, v70
	v_and_b32_e32 v70, 1, v71
	v_lshlrev_b32_e32 v72, 30, v71
	v_lshlrev_b32_e32 v73, 29, v71
	;; [unrolled: 1-line block ×4, first 2 shown]
	v_add_co_u32 v70, s15, v70, -1
	s_wait_alu 0xf1ff
	v_cndmask_b32_e64 v75, 0, 1, s15
	v_not_b32_e32 v195, v72
	v_cmp_gt_i32_e64 s15, 0, v72
	v_not_b32_e32 v72, v73
	v_lshlrev_b32_e32 v77, 26, v71
	v_cmp_ne_u32_e32 vcc_lo, 0, v75
	v_ashrrev_i32_e32 v195, 31, v195
	v_lshlrev_b32_e32 v194, 25, v71
	v_ashrrev_i32_e32 v72, 31, v72
	v_lshlrev_b32_e32 v75, 24, v71
	s_wait_alu 0xfffd
	v_xor_b32_e32 v70, vcc_lo, v70
	v_cmp_gt_i32_e32 vcc_lo, 0, v73
	v_not_b32_e32 v73, v74
	s_wait_alu 0xf1ff
	v_xor_b32_e32 v195, s15, v195
	v_cmp_gt_i32_e64 s15, 0, v74
	v_and_b32_e32 v70, exec_lo, v70
	v_not_b32_e32 v74, v76
	v_ashrrev_i32_e32 v73, 31, v73
	s_wait_alu 0xfffd
	v_xor_b32_e32 v72, vcc_lo, v72
	v_cmp_gt_i32_e32 vcc_lo, 0, v76
	v_and_b32_e32 v70, v70, v195
	v_not_b32_e32 v76, v77
	v_ashrrev_i32_e32 v74, 31, v74
	s_wait_alu 0xf1ff
	v_xor_b32_e32 v73, s15, v73
	v_cmp_gt_i32_e64 s15, 0, v77
	v_and_b32_e32 v70, v70, v72
	v_not_b32_e32 v72, v194
	v_ashrrev_i32_e32 v76, 31, v76
	s_wait_alu 0xfffd
	v_xor_b32_e32 v74, vcc_lo, v74
	v_cmp_gt_i32_e32 vcc_lo, 0, v194
	v_and_b32_e32 v70, v70, v73
	v_not_b32_e32 v73, v75
	v_ashrrev_i32_e32 v72, 31, v72
	s_wait_alu 0xf1ff
	v_xor_b32_e32 v76, s15, v76
	v_cmp_gt_i32_e64 s15, 0, v75
	v_and_b32_e32 v70, v70, v74
	v_ashrrev_i32_e32 v73, 31, v73
	s_wait_alu 0xfffd
	v_xor_b32_e32 v72, vcc_lo, v72
	v_mad_u32_u24 v74, v71, 36, v147
	v_mul_u32_u24_e32 v71, 36, v71
	v_and_b32_e32 v70, v70, v76
	s_wait_alu 0xf1ff
	v_xor_b32_e32 v73, s15, v73
	ds_load_b32 v194, v74 offset:1056
	v_add_nc_u32_e32 v196, v147, v71
	v_and_b32_e32 v70, v70, v72
	; wave barrier
	s_delay_alu instid0(VALU_DEP_1) | instskip(NEXT) | instid1(VALU_DEP_1)
	v_and_b32_e32 v70, v70, v73
	v_mbcnt_lo_u32_b32 v195, v70, 0
	v_cmp_ne_u32_e64 s15, 0, v70
	s_delay_alu instid0(VALU_DEP_2)
	v_cmp_eq_u32_e32 vcc_lo, 0, v195
	s_and_b32 s16, s15, vcc_lo
	s_wait_alu 0xfffe
	s_and_saveexec_b32 s15, s16
	s_cbranch_execz .LBB1256_1035
; %bb.1034:                             ;   in Loop: Header=BB1256_979 Depth=2
	s_wait_dscnt 0x0
	v_bcnt_u32_b32 v70, v70, v194
	ds_store_b32 v196, v70 offset:1056
.LBB1256_1035:                          ;   in Loop: Header=BB1256_979 Depth=2
	s_wait_alu 0xfffe
	s_or_b32 exec_lo, exec_lo, s15
	v_cmp_lt_i64_e32 vcc_lo, -1, v[60:61]
	v_ashrrev_i32_e32 v71, 31, v61
	; wave barrier
	s_delay_alu instid0(VALU_DEP_1) | instskip(SKIP_2) | instid1(VALU_DEP_1)
	v_xor_b32_e32 v60, v71, v60
	s_wait_alu 0xfffd
	v_cndmask_b32_e64 v70, -1, 0x80000000, vcc_lo
	v_xor_b32_e32 v61, v70, v61
	s_delay_alu instid0(VALU_DEP_1) | instskip(SKIP_3) | instid1(VALU_DEP_1)
	v_cmp_ne_u64_e32 vcc_lo, s[42:43], v[60:61]
	s_wait_alu 0xfffd
	v_cndmask_b32_e32 v71, 0x80000000, v61, vcc_lo
	v_cndmask_b32_e32 v70, 0, v60, vcc_lo
	v_lshrrev_b64 v[70:71], s31, v[70:71]
	s_delay_alu instid0(VALU_DEP_1) | instskip(NEXT) | instid1(VALU_DEP_1)
	v_and_b32_e32 v71, s56, v70
	v_and_b32_e32 v70, 1, v71
	v_lshlrev_b32_e32 v72, 30, v71
	v_lshlrev_b32_e32 v73, 29, v71
	v_lshlrev_b32_e32 v74, 28, v71
	v_lshlrev_b32_e32 v76, 27, v71
	v_add_co_u32 v70, s15, v70, -1
	s_wait_alu 0xf1ff
	v_cndmask_b32_e64 v75, 0, 1, s15
	v_not_b32_e32 v198, v72
	v_cmp_gt_i32_e64 s15, 0, v72
	v_not_b32_e32 v72, v73
	v_lshlrev_b32_e32 v77, 26, v71
	v_cmp_ne_u32_e32 vcc_lo, 0, v75
	v_ashrrev_i32_e32 v198, 31, v198
	v_lshlrev_b32_e32 v197, 25, v71
	v_ashrrev_i32_e32 v72, 31, v72
	v_lshlrev_b32_e32 v75, 24, v71
	s_wait_alu 0xfffd
	v_xor_b32_e32 v70, vcc_lo, v70
	v_cmp_gt_i32_e32 vcc_lo, 0, v73
	v_not_b32_e32 v73, v74
	s_wait_alu 0xf1ff
	v_xor_b32_e32 v198, s15, v198
	v_cmp_gt_i32_e64 s15, 0, v74
	v_and_b32_e32 v70, exec_lo, v70
	v_not_b32_e32 v74, v76
	v_ashrrev_i32_e32 v73, 31, v73
	s_wait_alu 0xfffd
	v_xor_b32_e32 v72, vcc_lo, v72
	v_cmp_gt_i32_e32 vcc_lo, 0, v76
	v_and_b32_e32 v70, v70, v198
	v_not_b32_e32 v76, v77
	v_ashrrev_i32_e32 v74, 31, v74
	s_wait_alu 0xf1ff
	v_xor_b32_e32 v73, s15, v73
	v_cmp_gt_i32_e64 s15, 0, v77
	v_and_b32_e32 v70, v70, v72
	v_not_b32_e32 v72, v197
	v_ashrrev_i32_e32 v76, 31, v76
	s_wait_alu 0xfffd
	v_xor_b32_e32 v74, vcc_lo, v74
	v_cmp_gt_i32_e32 vcc_lo, 0, v197
	v_and_b32_e32 v70, v70, v73
	v_not_b32_e32 v73, v75
	v_ashrrev_i32_e32 v72, 31, v72
	s_wait_alu 0xf1ff
	v_xor_b32_e32 v76, s15, v76
	v_cmp_gt_i32_e64 s15, 0, v75
	v_and_b32_e32 v70, v70, v74
	v_ashrrev_i32_e32 v73, 31, v73
	s_wait_alu 0xfffd
	v_xor_b32_e32 v72, vcc_lo, v72
	v_mad_u32_u24 v74, v71, 36, v147
	v_mul_u32_u24_e32 v71, 36, v71
	v_and_b32_e32 v70, v70, v76
	s_wait_alu 0xf1ff
	v_xor_b32_e32 v73, s15, v73
	ds_load_b32 v197, v74 offset:1056
	v_add_nc_u32_e32 v199, v147, v71
	v_and_b32_e32 v70, v70, v72
	; wave barrier
	s_delay_alu instid0(VALU_DEP_1) | instskip(NEXT) | instid1(VALU_DEP_1)
	v_and_b32_e32 v70, v70, v73
	v_mbcnt_lo_u32_b32 v198, v70, 0
	v_cmp_ne_u32_e64 s15, 0, v70
	s_delay_alu instid0(VALU_DEP_2)
	v_cmp_eq_u32_e32 vcc_lo, 0, v198
	s_and_b32 s16, s15, vcc_lo
	s_wait_alu 0xfffe
	s_and_saveexec_b32 s15, s16
	s_cbranch_execz .LBB1256_1037
; %bb.1036:                             ;   in Loop: Header=BB1256_979 Depth=2
	s_wait_dscnt 0x0
	v_bcnt_u32_b32 v70, v70, v197
	ds_store_b32 v199, v70 offset:1056
.LBB1256_1037:                          ;   in Loop: Header=BB1256_979 Depth=2
	s_wait_alu 0xfffe
	s_or_b32 exec_lo, exec_lo, s15
	v_cmp_lt_i64_e32 vcc_lo, -1, v[56:57]
	v_ashrrev_i32_e32 v71, 31, v57
	; wave barrier
	s_delay_alu instid0(VALU_DEP_1) | instskip(SKIP_2) | instid1(VALU_DEP_1)
	v_xor_b32_e32 v56, v71, v56
	s_wait_alu 0xfffd
	v_cndmask_b32_e64 v70, -1, 0x80000000, vcc_lo
	v_xor_b32_e32 v57, v70, v57
	s_delay_alu instid0(VALU_DEP_1) | instskip(SKIP_3) | instid1(VALU_DEP_1)
	v_cmp_ne_u64_e32 vcc_lo, s[42:43], v[56:57]
	s_wait_alu 0xfffd
	v_cndmask_b32_e32 v71, 0x80000000, v57, vcc_lo
	v_cndmask_b32_e32 v70, 0, v56, vcc_lo
	v_lshrrev_b64 v[70:71], s31, v[70:71]
	s_delay_alu instid0(VALU_DEP_1) | instskip(NEXT) | instid1(VALU_DEP_1)
	v_and_b32_e32 v71, s56, v70
	v_and_b32_e32 v70, 1, v71
	v_lshlrev_b32_e32 v72, 30, v71
	v_lshlrev_b32_e32 v73, 29, v71
	;; [unrolled: 1-line block ×4, first 2 shown]
	v_add_co_u32 v70, s15, v70, -1
	s_wait_alu 0xf1ff
	v_cndmask_b32_e64 v75, 0, 1, s15
	v_not_b32_e32 v201, v72
	v_cmp_gt_i32_e64 s15, 0, v72
	v_not_b32_e32 v72, v73
	v_lshlrev_b32_e32 v77, 26, v71
	v_cmp_ne_u32_e32 vcc_lo, 0, v75
	v_ashrrev_i32_e32 v201, 31, v201
	v_lshlrev_b32_e32 v200, 25, v71
	v_ashrrev_i32_e32 v72, 31, v72
	v_lshlrev_b32_e32 v75, 24, v71
	s_wait_alu 0xfffd
	v_xor_b32_e32 v70, vcc_lo, v70
	v_cmp_gt_i32_e32 vcc_lo, 0, v73
	v_not_b32_e32 v73, v74
	s_wait_alu 0xf1ff
	v_xor_b32_e32 v201, s15, v201
	v_cmp_gt_i32_e64 s15, 0, v74
	v_and_b32_e32 v70, exec_lo, v70
	v_not_b32_e32 v74, v76
	v_ashrrev_i32_e32 v73, 31, v73
	s_wait_alu 0xfffd
	v_xor_b32_e32 v72, vcc_lo, v72
	v_cmp_gt_i32_e32 vcc_lo, 0, v76
	v_and_b32_e32 v70, v70, v201
	v_not_b32_e32 v76, v77
	v_ashrrev_i32_e32 v74, 31, v74
	s_wait_alu 0xf1ff
	v_xor_b32_e32 v73, s15, v73
	v_cmp_gt_i32_e64 s15, 0, v77
	v_and_b32_e32 v70, v70, v72
	v_not_b32_e32 v72, v200
	v_ashrrev_i32_e32 v76, 31, v76
	s_wait_alu 0xfffd
	v_xor_b32_e32 v74, vcc_lo, v74
	v_cmp_gt_i32_e32 vcc_lo, 0, v200
	v_and_b32_e32 v70, v70, v73
	v_not_b32_e32 v73, v75
	v_ashrrev_i32_e32 v72, 31, v72
	s_wait_alu 0xf1ff
	v_xor_b32_e32 v76, s15, v76
	v_cmp_gt_i32_e64 s15, 0, v75
	v_and_b32_e32 v70, v70, v74
	v_ashrrev_i32_e32 v73, 31, v73
	s_wait_alu 0xfffd
	v_xor_b32_e32 v72, vcc_lo, v72
	v_mad_u32_u24 v74, v71, 36, v147
	v_mul_u32_u24_e32 v71, 36, v71
	v_and_b32_e32 v70, v70, v76
	s_wait_alu 0xf1ff
	v_xor_b32_e32 v73, s15, v73
	ds_load_b32 v200, v74 offset:1056
	v_add_nc_u32_e32 v202, v147, v71
	v_and_b32_e32 v70, v70, v72
	; wave barrier
	s_delay_alu instid0(VALU_DEP_1) | instskip(NEXT) | instid1(VALU_DEP_1)
	v_and_b32_e32 v70, v70, v73
	v_mbcnt_lo_u32_b32 v201, v70, 0
	v_cmp_ne_u32_e64 s15, 0, v70
	s_delay_alu instid0(VALU_DEP_2)
	v_cmp_eq_u32_e32 vcc_lo, 0, v201
	s_and_b32 s16, s15, vcc_lo
	s_wait_alu 0xfffe
	s_and_saveexec_b32 s15, s16
	s_cbranch_execz .LBB1256_1039
; %bb.1038:                             ;   in Loop: Header=BB1256_979 Depth=2
	s_wait_dscnt 0x0
	v_bcnt_u32_b32 v70, v70, v200
	ds_store_b32 v202, v70 offset:1056
.LBB1256_1039:                          ;   in Loop: Header=BB1256_979 Depth=2
	s_wait_alu 0xfffe
	s_or_b32 exec_lo, exec_lo, s15
	v_cmp_lt_i64_e32 vcc_lo, -1, v[52:53]
	v_ashrrev_i32_e32 v71, 31, v53
	; wave barrier
	s_delay_alu instid0(VALU_DEP_1) | instskip(SKIP_2) | instid1(VALU_DEP_1)
	v_xor_b32_e32 v52, v71, v52
	s_wait_alu 0xfffd
	v_cndmask_b32_e64 v70, -1, 0x80000000, vcc_lo
	v_xor_b32_e32 v53, v70, v53
	s_delay_alu instid0(VALU_DEP_1) | instskip(SKIP_3) | instid1(VALU_DEP_1)
	v_cmp_ne_u64_e32 vcc_lo, s[42:43], v[52:53]
	s_wait_alu 0xfffd
	v_cndmask_b32_e32 v71, 0x80000000, v53, vcc_lo
	v_cndmask_b32_e32 v70, 0, v52, vcc_lo
	v_lshrrev_b64 v[70:71], s31, v[70:71]
	s_delay_alu instid0(VALU_DEP_1) | instskip(NEXT) | instid1(VALU_DEP_1)
	v_and_b32_e32 v71, s56, v70
	v_and_b32_e32 v70, 1, v71
	v_lshlrev_b32_e32 v72, 30, v71
	v_lshlrev_b32_e32 v73, 29, v71
	;; [unrolled: 1-line block ×4, first 2 shown]
	v_add_co_u32 v70, s15, v70, -1
	s_wait_alu 0xf1ff
	v_cndmask_b32_e64 v75, 0, 1, s15
	v_not_b32_e32 v204, v72
	v_cmp_gt_i32_e64 s15, 0, v72
	v_not_b32_e32 v72, v73
	v_lshlrev_b32_e32 v77, 26, v71
	v_cmp_ne_u32_e32 vcc_lo, 0, v75
	v_ashrrev_i32_e32 v204, 31, v204
	v_lshlrev_b32_e32 v203, 25, v71
	v_ashrrev_i32_e32 v72, 31, v72
	v_lshlrev_b32_e32 v75, 24, v71
	s_wait_alu 0xfffd
	v_xor_b32_e32 v70, vcc_lo, v70
	v_cmp_gt_i32_e32 vcc_lo, 0, v73
	v_not_b32_e32 v73, v74
	s_wait_alu 0xf1ff
	v_xor_b32_e32 v204, s15, v204
	v_cmp_gt_i32_e64 s15, 0, v74
	v_and_b32_e32 v70, exec_lo, v70
	v_not_b32_e32 v74, v76
	v_ashrrev_i32_e32 v73, 31, v73
	s_wait_alu 0xfffd
	v_xor_b32_e32 v72, vcc_lo, v72
	v_cmp_gt_i32_e32 vcc_lo, 0, v76
	v_and_b32_e32 v70, v70, v204
	v_not_b32_e32 v76, v77
	v_ashrrev_i32_e32 v74, 31, v74
	s_wait_alu 0xf1ff
	v_xor_b32_e32 v73, s15, v73
	v_cmp_gt_i32_e64 s15, 0, v77
	v_and_b32_e32 v70, v70, v72
	v_not_b32_e32 v72, v203
	v_ashrrev_i32_e32 v76, 31, v76
	s_wait_alu 0xfffd
	v_xor_b32_e32 v74, vcc_lo, v74
	v_cmp_gt_i32_e32 vcc_lo, 0, v203
	v_and_b32_e32 v70, v70, v73
	v_not_b32_e32 v73, v75
	v_ashrrev_i32_e32 v72, 31, v72
	s_wait_alu 0xf1ff
	v_xor_b32_e32 v76, s15, v76
	v_cmp_gt_i32_e64 s15, 0, v75
	v_and_b32_e32 v70, v70, v74
	v_ashrrev_i32_e32 v73, 31, v73
	s_wait_alu 0xfffd
	v_xor_b32_e32 v72, vcc_lo, v72
	v_mad_u32_u24 v74, v71, 36, v147
	v_mul_u32_u24_e32 v71, 36, v71
	v_and_b32_e32 v70, v70, v76
	s_wait_alu 0xf1ff
	v_xor_b32_e32 v73, s15, v73
	ds_load_b32 v203, v74 offset:1056
	v_add_nc_u32_e32 v205, v147, v71
	v_and_b32_e32 v70, v70, v72
	; wave barrier
	s_delay_alu instid0(VALU_DEP_1) | instskip(NEXT) | instid1(VALU_DEP_1)
	v_and_b32_e32 v70, v70, v73
	v_mbcnt_lo_u32_b32 v204, v70, 0
	v_cmp_ne_u32_e64 s15, 0, v70
	s_delay_alu instid0(VALU_DEP_2)
	v_cmp_eq_u32_e32 vcc_lo, 0, v204
	s_and_b32 s16, s15, vcc_lo
	s_wait_alu 0xfffe
	s_and_saveexec_b32 s15, s16
	s_cbranch_execz .LBB1256_1041
; %bb.1040:                             ;   in Loop: Header=BB1256_979 Depth=2
	s_wait_dscnt 0x0
	v_bcnt_u32_b32 v70, v70, v203
	ds_store_b32 v205, v70 offset:1056
.LBB1256_1041:                          ;   in Loop: Header=BB1256_979 Depth=2
	s_wait_alu 0xfffe
	s_or_b32 exec_lo, exec_lo, s15
	v_cmp_lt_i64_e32 vcc_lo, -1, v[50:51]
	v_ashrrev_i32_e32 v71, 31, v51
	; wave barrier
	s_delay_alu instid0(VALU_DEP_1) | instskip(SKIP_2) | instid1(VALU_DEP_1)
	v_xor_b32_e32 v50, v71, v50
	s_wait_alu 0xfffd
	v_cndmask_b32_e64 v70, -1, 0x80000000, vcc_lo
	v_xor_b32_e32 v51, v70, v51
	s_delay_alu instid0(VALU_DEP_1) | instskip(SKIP_3) | instid1(VALU_DEP_1)
	v_cmp_ne_u64_e32 vcc_lo, s[42:43], v[50:51]
	s_wait_alu 0xfffd
	v_cndmask_b32_e32 v71, 0x80000000, v51, vcc_lo
	v_cndmask_b32_e32 v70, 0, v50, vcc_lo
	v_lshrrev_b64 v[70:71], s31, v[70:71]
	s_delay_alu instid0(VALU_DEP_1) | instskip(NEXT) | instid1(VALU_DEP_1)
	v_and_b32_e32 v71, s56, v70
	v_and_b32_e32 v70, 1, v71
	v_lshlrev_b32_e32 v72, 30, v71
	v_lshlrev_b32_e32 v73, 29, v71
	;; [unrolled: 1-line block ×4, first 2 shown]
	v_add_co_u32 v70, s15, v70, -1
	s_wait_alu 0xf1ff
	v_cndmask_b32_e64 v75, 0, 1, s15
	v_not_b32_e32 v207, v72
	v_cmp_gt_i32_e64 s15, 0, v72
	v_not_b32_e32 v72, v73
	v_lshlrev_b32_e32 v77, 26, v71
	v_cmp_ne_u32_e32 vcc_lo, 0, v75
	v_ashrrev_i32_e32 v207, 31, v207
	v_lshlrev_b32_e32 v206, 25, v71
	v_ashrrev_i32_e32 v72, 31, v72
	v_lshlrev_b32_e32 v75, 24, v71
	s_wait_alu 0xfffd
	v_xor_b32_e32 v70, vcc_lo, v70
	v_cmp_gt_i32_e32 vcc_lo, 0, v73
	v_not_b32_e32 v73, v74
	s_wait_alu 0xf1ff
	v_xor_b32_e32 v207, s15, v207
	v_cmp_gt_i32_e64 s15, 0, v74
	v_and_b32_e32 v70, exec_lo, v70
	v_not_b32_e32 v74, v76
	v_ashrrev_i32_e32 v73, 31, v73
	s_wait_alu 0xfffd
	v_xor_b32_e32 v72, vcc_lo, v72
	v_cmp_gt_i32_e32 vcc_lo, 0, v76
	v_and_b32_e32 v70, v70, v207
	v_not_b32_e32 v76, v77
	v_ashrrev_i32_e32 v74, 31, v74
	s_wait_alu 0xf1ff
	v_xor_b32_e32 v73, s15, v73
	v_cmp_gt_i32_e64 s15, 0, v77
	v_and_b32_e32 v70, v70, v72
	v_not_b32_e32 v72, v206
	v_ashrrev_i32_e32 v76, 31, v76
	s_wait_alu 0xfffd
	v_xor_b32_e32 v74, vcc_lo, v74
	v_cmp_gt_i32_e32 vcc_lo, 0, v206
	v_and_b32_e32 v70, v70, v73
	v_not_b32_e32 v73, v75
	v_ashrrev_i32_e32 v72, 31, v72
	s_wait_alu 0xf1ff
	v_xor_b32_e32 v76, s15, v76
	v_cmp_gt_i32_e64 s15, 0, v75
	v_and_b32_e32 v70, v70, v74
	v_ashrrev_i32_e32 v73, 31, v73
	s_wait_alu 0xfffd
	v_xor_b32_e32 v72, vcc_lo, v72
	v_mad_u32_u24 v74, v71, 36, v147
	v_mul_u32_u24_e32 v71, 36, v71
	v_and_b32_e32 v70, v70, v76
	s_wait_alu 0xf1ff
	v_xor_b32_e32 v73, s15, v73
	ds_load_b32 v206, v74 offset:1056
	v_add_nc_u32_e32 v208, v147, v71
	v_and_b32_e32 v70, v70, v72
	; wave barrier
	s_delay_alu instid0(VALU_DEP_1) | instskip(NEXT) | instid1(VALU_DEP_1)
	v_and_b32_e32 v70, v70, v73
	v_mbcnt_lo_u32_b32 v207, v70, 0
	v_cmp_ne_u32_e64 s15, 0, v70
	s_delay_alu instid0(VALU_DEP_2)
	v_cmp_eq_u32_e32 vcc_lo, 0, v207
	s_and_b32 s16, s15, vcc_lo
	s_wait_alu 0xfffe
	s_and_saveexec_b32 s15, s16
	s_cbranch_execz .LBB1256_1043
; %bb.1042:                             ;   in Loop: Header=BB1256_979 Depth=2
	s_wait_dscnt 0x0
	v_bcnt_u32_b32 v70, v70, v206
	ds_store_b32 v208, v70 offset:1056
.LBB1256_1043:                          ;   in Loop: Header=BB1256_979 Depth=2
	s_wait_alu 0xfffe
	s_or_b32 exec_lo, exec_lo, s15
	v_cmp_lt_i64_e32 vcc_lo, -1, v[46:47]
	v_ashrrev_i32_e32 v71, 31, v47
	; wave barrier
	s_delay_alu instid0(VALU_DEP_1) | instskip(SKIP_2) | instid1(VALU_DEP_1)
	v_xor_b32_e32 v46, v71, v46
	s_wait_alu 0xfffd
	v_cndmask_b32_e64 v70, -1, 0x80000000, vcc_lo
	v_xor_b32_e32 v47, v70, v47
	s_delay_alu instid0(VALU_DEP_1) | instskip(SKIP_3) | instid1(VALU_DEP_1)
	v_cmp_ne_u64_e32 vcc_lo, s[42:43], v[46:47]
	s_wait_alu 0xfffd
	v_cndmask_b32_e32 v71, 0x80000000, v47, vcc_lo
	v_cndmask_b32_e32 v70, 0, v46, vcc_lo
	v_lshrrev_b64 v[70:71], s31, v[70:71]
	s_delay_alu instid0(VALU_DEP_1) | instskip(NEXT) | instid1(VALU_DEP_1)
	v_and_b32_e32 v71, s56, v70
	v_and_b32_e32 v70, 1, v71
	v_lshlrev_b32_e32 v72, 30, v71
	v_lshlrev_b32_e32 v73, 29, v71
	;; [unrolled: 1-line block ×4, first 2 shown]
	v_add_co_u32 v70, s15, v70, -1
	s_wait_alu 0xf1ff
	v_cndmask_b32_e64 v75, 0, 1, s15
	v_not_b32_e32 v210, v72
	v_cmp_gt_i32_e64 s15, 0, v72
	v_not_b32_e32 v72, v73
	v_lshlrev_b32_e32 v77, 26, v71
	v_cmp_ne_u32_e32 vcc_lo, 0, v75
	v_ashrrev_i32_e32 v210, 31, v210
	v_lshlrev_b32_e32 v209, 25, v71
	v_ashrrev_i32_e32 v72, 31, v72
	v_lshlrev_b32_e32 v75, 24, v71
	s_wait_alu 0xfffd
	v_xor_b32_e32 v70, vcc_lo, v70
	v_cmp_gt_i32_e32 vcc_lo, 0, v73
	v_not_b32_e32 v73, v74
	s_wait_alu 0xf1ff
	v_xor_b32_e32 v210, s15, v210
	v_cmp_gt_i32_e64 s15, 0, v74
	v_and_b32_e32 v70, exec_lo, v70
	v_not_b32_e32 v74, v76
	v_ashrrev_i32_e32 v73, 31, v73
	s_wait_alu 0xfffd
	v_xor_b32_e32 v72, vcc_lo, v72
	v_cmp_gt_i32_e32 vcc_lo, 0, v76
	v_and_b32_e32 v70, v70, v210
	v_not_b32_e32 v76, v77
	v_ashrrev_i32_e32 v74, 31, v74
	s_wait_alu 0xf1ff
	v_xor_b32_e32 v73, s15, v73
	v_cmp_gt_i32_e64 s15, 0, v77
	v_and_b32_e32 v70, v70, v72
	v_not_b32_e32 v72, v209
	v_ashrrev_i32_e32 v76, 31, v76
	s_wait_alu 0xfffd
	v_xor_b32_e32 v74, vcc_lo, v74
	v_cmp_gt_i32_e32 vcc_lo, 0, v209
	v_and_b32_e32 v70, v70, v73
	v_not_b32_e32 v73, v75
	v_ashrrev_i32_e32 v72, 31, v72
	s_wait_alu 0xf1ff
	v_xor_b32_e32 v76, s15, v76
	v_cmp_gt_i32_e64 s15, 0, v75
	v_and_b32_e32 v70, v70, v74
	v_ashrrev_i32_e32 v73, 31, v73
	s_wait_alu 0xfffd
	v_xor_b32_e32 v72, vcc_lo, v72
	v_mad_u32_u24 v74, v71, 36, v147
	v_mul_u32_u24_e32 v71, 36, v71
	v_and_b32_e32 v70, v70, v76
	s_wait_alu 0xf1ff
	v_xor_b32_e32 v73, s15, v73
	ds_load_b32 v209, v74 offset:1056
	v_add_nc_u32_e32 v212, v147, v71
	v_and_b32_e32 v70, v70, v72
	; wave barrier
	s_delay_alu instid0(VALU_DEP_1) | instskip(NEXT) | instid1(VALU_DEP_1)
	v_and_b32_e32 v70, v70, v73
	v_mbcnt_lo_u32_b32 v210, v70, 0
	v_cmp_ne_u32_e64 s15, 0, v70
	s_delay_alu instid0(VALU_DEP_2)
	v_cmp_eq_u32_e32 vcc_lo, 0, v210
	s_and_b32 s16, s15, vcc_lo
	s_wait_alu 0xfffe
	s_and_saveexec_b32 s15, s16
	s_cbranch_execz .LBB1256_1045
; %bb.1044:                             ;   in Loop: Header=BB1256_979 Depth=2
	s_wait_dscnt 0x0
	v_bcnt_u32_b32 v70, v70, v209
	ds_store_b32 v212, v70 offset:1056
.LBB1256_1045:                          ;   in Loop: Header=BB1256_979 Depth=2
	s_wait_alu 0xfffe
	s_or_b32 exec_lo, exec_lo, s15
	v_cmp_lt_i64_e32 vcc_lo, -1, v[44:45]
	v_ashrrev_i32_e32 v71, 31, v45
	; wave barrier
	s_delay_alu instid0(VALU_DEP_1) | instskip(SKIP_2) | instid1(VALU_DEP_1)
	v_xor_b32_e32 v44, v71, v44
	s_wait_alu 0xfffd
	v_cndmask_b32_e64 v70, -1, 0x80000000, vcc_lo
	v_xor_b32_e32 v45, v70, v45
	s_delay_alu instid0(VALU_DEP_1) | instskip(SKIP_3) | instid1(VALU_DEP_1)
	v_cmp_ne_u64_e32 vcc_lo, s[42:43], v[44:45]
	s_wait_alu 0xfffd
	v_cndmask_b32_e32 v71, 0x80000000, v45, vcc_lo
	v_cndmask_b32_e32 v70, 0, v44, vcc_lo
	v_lshrrev_b64 v[70:71], s31, v[70:71]
	s_delay_alu instid0(VALU_DEP_1) | instskip(NEXT) | instid1(VALU_DEP_1)
	v_and_b32_e32 v71, s56, v70
	v_and_b32_e32 v70, 1, v71
	v_lshlrev_b32_e32 v72, 30, v71
	v_lshlrev_b32_e32 v73, 29, v71
	;; [unrolled: 1-line block ×4, first 2 shown]
	v_add_co_u32 v70, s15, v70, -1
	s_wait_alu 0xf1ff
	v_cndmask_b32_e64 v75, 0, 1, s15
	v_not_b32_e32 v213, v72
	v_cmp_gt_i32_e64 s15, 0, v72
	v_not_b32_e32 v72, v73
	v_lshlrev_b32_e32 v77, 26, v71
	v_cmp_ne_u32_e32 vcc_lo, 0, v75
	v_ashrrev_i32_e32 v213, 31, v213
	v_lshlrev_b32_e32 v211, 25, v71
	v_ashrrev_i32_e32 v72, 31, v72
	v_lshlrev_b32_e32 v75, 24, v71
	s_wait_alu 0xfffd
	v_xor_b32_e32 v70, vcc_lo, v70
	v_cmp_gt_i32_e32 vcc_lo, 0, v73
	v_not_b32_e32 v73, v74
	s_wait_alu 0xf1ff
	v_xor_b32_e32 v213, s15, v213
	v_cmp_gt_i32_e64 s15, 0, v74
	v_and_b32_e32 v70, exec_lo, v70
	v_not_b32_e32 v74, v76
	v_ashrrev_i32_e32 v73, 31, v73
	s_wait_alu 0xfffd
	v_xor_b32_e32 v72, vcc_lo, v72
	v_cmp_gt_i32_e32 vcc_lo, 0, v76
	v_and_b32_e32 v70, v70, v213
	v_not_b32_e32 v76, v77
	v_ashrrev_i32_e32 v74, 31, v74
	s_wait_alu 0xf1ff
	v_xor_b32_e32 v73, s15, v73
	v_cmp_gt_i32_e64 s15, 0, v77
	v_and_b32_e32 v70, v70, v72
	v_not_b32_e32 v72, v211
	v_ashrrev_i32_e32 v76, 31, v76
	s_wait_alu 0xfffd
	v_xor_b32_e32 v74, vcc_lo, v74
	v_cmp_gt_i32_e32 vcc_lo, 0, v211
	v_and_b32_e32 v70, v70, v73
	v_not_b32_e32 v73, v75
	v_ashrrev_i32_e32 v72, 31, v72
	s_wait_alu 0xf1ff
	v_xor_b32_e32 v76, s15, v76
	v_cmp_gt_i32_e64 s15, 0, v75
	v_and_b32_e32 v70, v70, v74
	v_ashrrev_i32_e32 v73, 31, v73
	s_wait_alu 0xfffd
	v_xor_b32_e32 v72, vcc_lo, v72
	v_mad_u32_u24 v74, v71, 36, v147
	v_mul_u32_u24_e32 v71, 36, v71
	v_and_b32_e32 v70, v70, v76
	s_wait_alu 0xf1ff
	v_xor_b32_e32 v73, s15, v73
	ds_load_b32 v211, v74 offset:1056
	v_add_nc_u32_e32 v214, v147, v71
	v_and_b32_e32 v70, v70, v72
	; wave barrier
	s_delay_alu instid0(VALU_DEP_1) | instskip(NEXT) | instid1(VALU_DEP_1)
	v_and_b32_e32 v70, v70, v73
	v_mbcnt_lo_u32_b32 v213, v70, 0
	v_cmp_ne_u32_e64 s15, 0, v70
	s_delay_alu instid0(VALU_DEP_2)
	v_cmp_eq_u32_e32 vcc_lo, 0, v213
	s_and_b32 s16, s15, vcc_lo
	s_wait_alu 0xfffe
	s_and_saveexec_b32 s15, s16
	s_cbranch_execz .LBB1256_1047
; %bb.1046:                             ;   in Loop: Header=BB1256_979 Depth=2
	s_wait_dscnt 0x0
	v_bcnt_u32_b32 v70, v70, v211
	ds_store_b32 v214, v70 offset:1056
.LBB1256_1047:                          ;   in Loop: Header=BB1256_979 Depth=2
	s_wait_alu 0xfffe
	s_or_b32 exec_lo, exec_lo, s15
	; wave barrier
	s_wait_loadcnt_dscnt 0x0
	s_barrier_signal -1
	s_barrier_wait -1
	global_inv scope:SCOPE_SE
	ds_load_2addr_b32 v[76:77], v166 offset1:1
	ds_load_2addr_b32 v[74:75], v167 offset1:1
	;; [unrolled: 1-line block ×4, first 2 shown]
	ds_load_b32 v215, v103 offset:1088
	s_wait_dscnt 0x3
	v_add3_u32 v216, v77, v76, v74
	s_wait_dscnt 0x2
	s_delay_alu instid0(VALU_DEP_1) | instskip(SKIP_1) | instid1(VALU_DEP_1)
	v_add3_u32 v216, v216, v75, v72
	s_wait_dscnt 0x1
	v_add3_u32 v216, v216, v73, v70
	s_wait_dscnt 0x0
	s_delay_alu instid0(VALU_DEP_1) | instskip(NEXT) | instid1(VALU_DEP_1)
	v_add3_u32 v215, v216, v71, v215
	v_mov_b32_dpp v216, v215 row_shr:1 row_mask:0xf bank_mask:0xf
	s_delay_alu instid0(VALU_DEP_1) | instskip(NEXT) | instid1(VALU_DEP_1)
	v_cndmask_b32_e64 v216, v216, 0, s6
	v_add_nc_u32_e32 v215, v216, v215
	s_delay_alu instid0(VALU_DEP_1) | instskip(NEXT) | instid1(VALU_DEP_1)
	v_mov_b32_dpp v216, v215 row_shr:2 row_mask:0xf bank_mask:0xf
	v_cndmask_b32_e64 v216, 0, v216, s7
	s_delay_alu instid0(VALU_DEP_1) | instskip(NEXT) | instid1(VALU_DEP_1)
	v_add_nc_u32_e32 v215, v215, v216
	v_mov_b32_dpp v216, v215 row_shr:4 row_mask:0xf bank_mask:0xf
	s_delay_alu instid0(VALU_DEP_1) | instskip(NEXT) | instid1(VALU_DEP_1)
	v_cndmask_b32_e64 v216, 0, v216, s8
	v_add_nc_u32_e32 v215, v215, v216
	s_delay_alu instid0(VALU_DEP_1) | instskip(NEXT) | instid1(VALU_DEP_1)
	v_mov_b32_dpp v216, v215 row_shr:8 row_mask:0xf bank_mask:0xf
	v_cndmask_b32_e64 v216, 0, v216, s9
	s_delay_alu instid0(VALU_DEP_1) | instskip(SKIP_3) | instid1(VALU_DEP_1)
	v_add_nc_u32_e32 v215, v215, v216
	ds_swizzle_b32 v216, v215 offset:swizzle(BROADCAST,32,15)
	s_wait_dscnt 0x0
	v_cndmask_b32_e64 v216, v216, 0, s10
	v_add_nc_u32_e32 v215, v215, v216
	s_and_saveexec_b32 s15, s3
; %bb.1048:                             ;   in Loop: Header=BB1256_979 Depth=2
	ds_store_b32 v97, v215 offset:1024
; %bb.1049:                             ;   in Loop: Header=BB1256_979 Depth=2
	s_wait_alu 0xfffe
	s_or_b32 exec_lo, exec_lo, s15
	s_wait_loadcnt_dscnt 0x0
	s_barrier_signal -1
	s_barrier_wait -1
	global_inv scope:SCOPE_SE
	s_and_saveexec_b32 s15, s4
	s_cbranch_execz .LBB1256_1051
; %bb.1050:                             ;   in Loop: Header=BB1256_979 Depth=2
	ds_load_b32 v216, v105 offset:1024
	s_wait_dscnt 0x0
	v_mov_b32_dpp v217, v216 row_shr:1 row_mask:0xf bank_mask:0xf
	s_delay_alu instid0(VALU_DEP_1) | instskip(NEXT) | instid1(VALU_DEP_1)
	v_cndmask_b32_e64 v217, v217, 0, s12
	v_add_nc_u32_e32 v216, v217, v216
	s_delay_alu instid0(VALU_DEP_1) | instskip(NEXT) | instid1(VALU_DEP_1)
	v_mov_b32_dpp v217, v216 row_shr:2 row_mask:0xf bank_mask:0xf
	v_cndmask_b32_e64 v217, 0, v217, s13
	s_delay_alu instid0(VALU_DEP_1) | instskip(NEXT) | instid1(VALU_DEP_1)
	v_add_nc_u32_e32 v216, v216, v217
	v_mov_b32_dpp v217, v216 row_shr:4 row_mask:0xf bank_mask:0xf
	s_delay_alu instid0(VALU_DEP_1) | instskip(NEXT) | instid1(VALU_DEP_1)
	v_cndmask_b32_e64 v217, 0, v217, s14
	v_add_nc_u32_e32 v216, v216, v217
	ds_store_b32 v105, v216 offset:1024
.LBB1256_1051:                          ;   in Loop: Header=BB1256_979 Depth=2
	s_wait_alu 0xfffe
	s_or_b32 exec_lo, exec_lo, s15
	v_mov_b32_e32 v216, 0
	s_wait_loadcnt_dscnt 0x0
	s_barrier_signal -1
	s_barrier_wait -1
	global_inv scope:SCOPE_SE
	s_and_saveexec_b32 s15, s5
; %bb.1052:                             ;   in Loop: Header=BB1256_979 Depth=2
	ds_load_b32 v216, v97 offset:1020
; %bb.1053:                             ;   in Loop: Header=BB1256_979 Depth=2
	s_wait_alu 0xfffe
	s_or_b32 exec_lo, exec_lo, s15
	s_wait_dscnt 0x0
	v_add_nc_u32_e32 v215, v216, v215
	ds_bpermute_b32 v215, v126, v215
	s_wait_dscnt 0x0
	v_cndmask_b32_e64 v215, v215, v216, s11
	s_delay_alu instid0(VALU_DEP_1) | instskip(NEXT) | instid1(VALU_DEP_1)
	v_cndmask_b32_e64 v215, v215, 0, s0
	v_add_nc_u32_e32 v76, v215, v76
	s_delay_alu instid0(VALU_DEP_1) | instskip(NEXT) | instid1(VALU_DEP_1)
	v_add_nc_u32_e32 v77, v76, v77
	v_add_nc_u32_e32 v74, v77, v74
	s_delay_alu instid0(VALU_DEP_1) | instskip(NEXT) | instid1(VALU_DEP_1)
	v_add_nc_u32_e32 v75, v74, v75
	;; [unrolled: 3-line block ×3, first 2 shown]
	v_add_nc_u32_e32 v70, v73, v70
	s_delay_alu instid0(VALU_DEP_1)
	v_add_nc_u32_e32 v71, v70, v71
	ds_store_2addr_b32 v165, v73, v70 offset1:1
	ds_store_2addr_b32 v166, v215, v76 offset1:1
	;; [unrolled: 1-line block ×4, first 2 shown]
	ds_store_b32 v103, v71 offset:1088
	s_wait_loadcnt_dscnt 0x0
	s_barrier_signal -1
	s_barrier_wait -1
	global_inv scope:SCOPE_SE
	ds_load_b32 v71, v169 offset:1056
	ds_load_b32 v76, v172 offset:1056
	;; [unrolled: 1-line block ×17, first 2 shown]
	v_mov_b32_e32 v70, 0x1000
	s_and_saveexec_b32 s15, s1
; %bb.1054:                             ;   in Loop: Header=BB1256_979 Depth=2
	ds_load_b32 v70, v103 offset:1092
; %bb.1055:                             ;   in Loop: Header=BB1256_979 Depth=2
	s_wait_alu 0xfffe
	s_or_b32 exec_lo, exec_lo, s15
	s_wait_loadcnt_dscnt 0x0
	s_barrier_signal -1
	s_barrier_wait -1
	global_inv scope:SCOPE_SE
	s_and_saveexec_b32 s15, s2
	s_cbranch_execz .LBB1256_1057
; %bb.1056:                             ;   in Loop: Header=BB1256_979 Depth=2
	ds_load_b32 v187, v78
	s_wait_dscnt 0x0
	v_sub_nc_u32_e32 v184, v187, v184
	ds_store_b32 v78, v184
.LBB1256_1057:                          ;   in Loop: Header=BB1256_979 Depth=2
	s_wait_alu 0xfffe
	s_or_b32 exec_lo, exec_lo, s15
	v_lshlrev_b32_e32 v2, 3, v2
	v_lshlrev_b32_e32 v171, 3, v171
	;; [unrolled: 1-line block ×5, first 2 shown]
	v_lshl_add_u32 v71, v71, 3, v2
	v_lshlrev_b32_e32 v2, 3, v173
	v_lshlrev_b32_e32 v75, 3, v75
	;; [unrolled: 1-line block ×4, first 2 shown]
	ds_store_b64 v71, v[38:39] offset:1024
	v_lshlrev_b32_e32 v38, 3, v74
	v_lshlrev_b32_e32 v39, 3, v180
	;; [unrolled: 1-line block ×7, first 2 shown]
	v_add3_u32 v72, v171, v170, v76
	v_add3_u32 v73, v174, v2, v75
	;; [unrolled: 1-line block ×5, first 2 shown]
	v_lshlrev_b32_e32 v2, 3, v186
	v_lshlrev_b32_e32 v38, 3, v185
	;; [unrolled: 1-line block ×3, first 2 shown]
	ds_store_b64 v72, v[40:41] offset:1024
	ds_store_b64 v73, v[42:43] offset:1024
	;; [unrolled: 1-line block ×5, first 2 shown]
	v_lshlrev_b32_e32 v41, 3, v189
	v_lshlrev_b32_e32 v42, 3, v188
	;; [unrolled: 1-line block ×12, first 2 shown]
	v_add3_u32 v40, v2, v38, v39
	v_add3_u32 v41, v41, v42, v43
	v_add3_u32 v42, v48, v49, v54
	v_add3_u32 v43, v55, v58, v59
	v_add3_u32 v48, v170, v171, v169
	ds_store_b64 v40, v[62:63] offset:1024
	ds_store_b64 v41, v[66:67] offset:1024
	;; [unrolled: 1-line block ×5, first 2 shown]
	v_lshlrev_b32_e32 v2, 3, v201
	v_lshlrev_b32_e32 v38, 3, v200
	;; [unrolled: 1-line block ×15, first 2 shown]
	v_add3_u32 v49, v2, v38, v39
	v_add3_u32 v54, v54, v55, v58
	;; [unrolled: 1-line block ×5, first 2 shown]
	v_cmp_lt_u32_e32 vcc_lo, v1, v164
	ds_store_b64 v49, v[56:57] offset:1024
	ds_store_b64 v54, v[52:53] offset:1024
	;; [unrolled: 1-line block ×5, first 2 shown]
	s_wait_loadcnt_dscnt 0x0
	s_barrier_signal -1
	s_barrier_wait -1
	global_inv scope:SCOPE_SE
	s_and_saveexec_b32 s16, vcc_lo
	s_cbranch_execnz .LBB1256_1126
; %bb.1058:                             ;   in Loop: Header=BB1256_979 Depth=2
	s_wait_alu 0xfffe
	s_or_b32 exec_lo, exec_lo, s16
	v_cmp_lt_u32_e64 s15, v79, v164
	s_and_saveexec_b32 s17, s15
	s_cbranch_execnz .LBB1256_1127
.LBB1256_1059:                          ;   in Loop: Header=BB1256_979 Depth=2
	s_wait_alu 0xfffe
	s_or_b32 exec_lo, exec_lo, s17
	v_cmp_lt_u32_e64 s16, v80, v164
	s_and_saveexec_b32 s18, s16
	s_cbranch_execnz .LBB1256_1128
.LBB1256_1060:                          ;   in Loop: Header=BB1256_979 Depth=2
	s_wait_alu 0xfffe
	s_or_b32 exec_lo, exec_lo, s18
	v_cmp_lt_u32_e64 s17, v81, v164
	s_and_saveexec_b32 s19, s17
	s_cbranch_execnz .LBB1256_1129
.LBB1256_1061:                          ;   in Loop: Header=BB1256_979 Depth=2
	s_wait_alu 0xfffe
	s_or_b32 exec_lo, exec_lo, s19
	v_cmp_lt_u32_e64 s18, v84, v164
	s_and_saveexec_b32 s20, s18
	s_cbranch_execnz .LBB1256_1130
.LBB1256_1062:                          ;   in Loop: Header=BB1256_979 Depth=2
	s_wait_alu 0xfffe
	s_or_b32 exec_lo, exec_lo, s20
	v_cmp_lt_u32_e64 s19, v85, v164
	s_and_saveexec_b32 s21, s19
	s_cbranch_execnz .LBB1256_1131
.LBB1256_1063:                          ;   in Loop: Header=BB1256_979 Depth=2
	s_wait_alu 0xfffe
	s_or_b32 exec_lo, exec_lo, s21
	v_cmp_lt_u32_e64 s20, v86, v164
	s_and_saveexec_b32 s22, s20
	s_cbranch_execnz .LBB1256_1132
.LBB1256_1064:                          ;   in Loop: Header=BB1256_979 Depth=2
	s_wait_alu 0xfffe
	s_or_b32 exec_lo, exec_lo, s22
	v_cmp_lt_u32_e64 s21, v87, v164
	s_and_saveexec_b32 s23, s21
	s_cbranch_execnz .LBB1256_1133
.LBB1256_1065:                          ;   in Loop: Header=BB1256_979 Depth=2
	s_wait_alu 0xfffe
	s_or_b32 exec_lo, exec_lo, s23
	v_cmp_lt_u32_e64 s22, v88, v164
	s_and_saveexec_b32 s24, s22
	s_cbranch_execnz .LBB1256_1134
.LBB1256_1066:                          ;   in Loop: Header=BB1256_979 Depth=2
	s_wait_alu 0xfffe
	s_or_b32 exec_lo, exec_lo, s24
	v_cmp_lt_u32_e64 s23, v89, v164
	s_and_saveexec_b32 s25, s23
	s_cbranch_execnz .LBB1256_1135
.LBB1256_1067:                          ;   in Loop: Header=BB1256_979 Depth=2
	s_wait_alu 0xfffe
	s_or_b32 exec_lo, exec_lo, s25
	v_cmp_lt_u32_e64 s24, v90, v164
	s_and_saveexec_b32 s26, s24
	s_cbranch_execnz .LBB1256_1136
.LBB1256_1068:                          ;   in Loop: Header=BB1256_979 Depth=2
	s_wait_alu 0xfffe
	s_or_b32 exec_lo, exec_lo, s26
	v_cmp_lt_u32_e64 s25, v91, v164
	s_and_saveexec_b32 s27, s25
	s_cbranch_execnz .LBB1256_1137
.LBB1256_1069:                          ;   in Loop: Header=BB1256_979 Depth=2
	s_wait_alu 0xfffe
	s_or_b32 exec_lo, exec_lo, s27
	v_cmp_lt_u32_e64 s26, v92, v164
	s_and_saveexec_b32 s28, s26
	s_cbranch_execnz .LBB1256_1138
.LBB1256_1070:                          ;   in Loop: Header=BB1256_979 Depth=2
	s_wait_alu 0xfffe
	s_or_b32 exec_lo, exec_lo, s28
	v_cmp_lt_u32_e64 s27, v93, v164
	s_and_saveexec_b32 s29, s27
	s_cbranch_execnz .LBB1256_1139
.LBB1256_1071:                          ;   in Loop: Header=BB1256_979 Depth=2
	s_wait_alu 0xfffe
	s_or_b32 exec_lo, exec_lo, s29
	v_cmp_lt_u32_e64 s28, v94, v164
	s_and_saveexec_b32 s30, s28
	s_cbranch_execnz .LBB1256_1140
.LBB1256_1072:                          ;   in Loop: Header=BB1256_979 Depth=2
	s_wait_alu 0xfffe
	s_or_b32 exec_lo, exec_lo, s30
	v_cmp_lt_u32_e64 s29, v95, v164
	s_and_saveexec_b32 s59, s29
	s_cbranch_execz .LBB1256_1074
.LBB1256_1073:                          ;   in Loop: Header=BB1256_979 Depth=2
	ds_load_b64 v[38:39], v110 offset:31744
	s_wait_dscnt 0x0
	v_cmp_ne_u64_e64 s30, s[42:43], v[38:39]
	s_wait_alu 0xf1ff
	s_delay_alu instid0(VALU_DEP_1) | instskip(SKIP_2) | instid1(VALU_DEP_2)
	v_cndmask_b32_e64 v45, 0x80000000, v39, s30
	v_cndmask_b32_e64 v44, 0, v38, s30
	v_cmp_lt_i64_e64 s30, -1, v[38:39]
	v_lshrrev_b64 v[44:45], s31, v[44:45]
	s_wait_alu 0xf1ff
	s_delay_alu instid0(VALU_DEP_2) | instskip(NEXT) | instid1(VALU_DEP_2)
	v_cndmask_b32_e64 v46, 0x80000000, -1, s30
	v_and_b32_e32 v2, s56, v44
	v_ashrrev_i32_e32 v44, 31, v39
	s_delay_alu instid0(VALU_DEP_3) | instskip(NEXT) | instid1(VALU_DEP_3)
	v_xor_b32_e32 v39, v46, v39
	v_lshlrev_b32_e32 v2, 2, v2
	s_delay_alu instid0(VALU_DEP_3) | instskip(SKIP_4) | instid1(VALU_DEP_1)
	v_not_b32_e32 v47, v44
	ds_load_b32 v2, v2
	v_xor_b32_e32 v38, v47, v38
	s_wait_dscnt 0x0
	v_add_nc_u32_e32 v2, v2, v95
	v_lshlrev_b64_e32 v[44:45], 3, v[2:3]
	s_delay_alu instid0(VALU_DEP_1) | instskip(SKIP_1) | instid1(VALU_DEP_2)
	v_add_co_u32 v44, s30, s40, v44
	s_wait_alu 0xf1ff
	v_add_co_ci_u32_e64 v45, null, s41, v45, s30
	global_store_b64 v[44:45], v[38:39], off
.LBB1256_1074:                          ;   in Loop: Header=BB1256_979 Depth=2
	s_wait_alu 0xfffe
	s_or_b32 exec_lo, exec_lo, s59
	s_lshl_b64 s[60:61], s[34:35], 3
	s_wait_alu 0xfffe
	v_add_co_u32 v38, s30, v128, s60
	s_wait_alu 0xf1ff
	v_add_co_ci_u32_e64 v39, null, s61, v129, s30
	v_cmp_lt_u32_e64 s30, v127, v164
	s_and_saveexec_b32 s34, s30
	s_wait_alu 0xfffe
	s_xor_b32 s30, exec_lo, s34
	s_cbranch_execnz .LBB1256_1141
; %bb.1075:                             ;   in Loop: Header=BB1256_979 Depth=2
	s_wait_alu 0xfffe
	s_or_b32 exec_lo, exec_lo, s30
	s_delay_alu instid0(SALU_CYCLE_1)
	s_mov_b32 s34, exec_lo
	v_cmpx_lt_u32_e64 v130, v164
	s_cbranch_execnz .LBB1256_1142
.LBB1256_1076:                          ;   in Loop: Header=BB1256_979 Depth=2
	s_wait_alu 0xfffe
	s_or_b32 exec_lo, exec_lo, s34
	s_delay_alu instid0(SALU_CYCLE_1)
	s_mov_b32 s34, exec_lo
	v_cmpx_lt_u32_e64 v131, v164
	s_cbranch_execnz .LBB1256_1143
.LBB1256_1077:                          ;   in Loop: Header=BB1256_979 Depth=2
	s_wait_alu 0xfffe
	s_or_b32 exec_lo, exec_lo, s34
	s_delay_alu instid0(SALU_CYCLE_1)
	s_mov_b32 s34, exec_lo
	v_cmpx_lt_u32_e64 v132, v164
	s_cbranch_execnz .LBB1256_1144
.LBB1256_1078:                          ;   in Loop: Header=BB1256_979 Depth=2
	s_wait_alu 0xfffe
	s_or_b32 exec_lo, exec_lo, s34
	s_delay_alu instid0(SALU_CYCLE_1)
	s_mov_b32 s34, exec_lo
	v_cmpx_lt_u32_e64 v133, v164
	s_cbranch_execnz .LBB1256_1145
.LBB1256_1079:                          ;   in Loop: Header=BB1256_979 Depth=2
	s_wait_alu 0xfffe
	s_or_b32 exec_lo, exec_lo, s34
	s_delay_alu instid0(SALU_CYCLE_1)
	s_mov_b32 s34, exec_lo
	v_cmpx_lt_u32_e64 v134, v164
	s_cbranch_execnz .LBB1256_1146
.LBB1256_1080:                          ;   in Loop: Header=BB1256_979 Depth=2
	s_wait_alu 0xfffe
	s_or_b32 exec_lo, exec_lo, s34
	s_delay_alu instid0(SALU_CYCLE_1)
	s_mov_b32 s34, exec_lo
	v_cmpx_lt_u32_e64 v135, v164
	s_cbranch_execnz .LBB1256_1147
.LBB1256_1081:                          ;   in Loop: Header=BB1256_979 Depth=2
	s_wait_alu 0xfffe
	s_or_b32 exec_lo, exec_lo, s34
	s_delay_alu instid0(SALU_CYCLE_1)
	s_mov_b32 s34, exec_lo
	v_cmpx_lt_u32_e64 v136, v164
	s_cbranch_execnz .LBB1256_1148
.LBB1256_1082:                          ;   in Loop: Header=BB1256_979 Depth=2
	s_wait_alu 0xfffe
	s_or_b32 exec_lo, exec_lo, s34
	s_delay_alu instid0(SALU_CYCLE_1)
	s_mov_b32 s34, exec_lo
	v_cmpx_lt_u32_e64 v137, v164
	s_cbranch_execnz .LBB1256_1149
.LBB1256_1083:                          ;   in Loop: Header=BB1256_979 Depth=2
	s_wait_alu 0xfffe
	s_or_b32 exec_lo, exec_lo, s34
	s_delay_alu instid0(SALU_CYCLE_1)
	s_mov_b32 s34, exec_lo
	v_cmpx_lt_u32_e64 v138, v164
	s_cbranch_execnz .LBB1256_1150
.LBB1256_1084:                          ;   in Loop: Header=BB1256_979 Depth=2
	s_wait_alu 0xfffe
	s_or_b32 exec_lo, exec_lo, s34
	s_delay_alu instid0(SALU_CYCLE_1)
	s_mov_b32 s34, exec_lo
	v_cmpx_lt_u32_e64 v139, v164
	s_cbranch_execnz .LBB1256_1151
.LBB1256_1085:                          ;   in Loop: Header=BB1256_979 Depth=2
	s_wait_alu 0xfffe
	s_or_b32 exec_lo, exec_lo, s34
	s_delay_alu instid0(SALU_CYCLE_1)
	s_mov_b32 s34, exec_lo
	v_cmpx_lt_u32_e64 v140, v164
	s_cbranch_execnz .LBB1256_1152
.LBB1256_1086:                          ;   in Loop: Header=BB1256_979 Depth=2
	s_wait_alu 0xfffe
	s_or_b32 exec_lo, exec_lo, s34
	s_delay_alu instid0(SALU_CYCLE_1)
	s_mov_b32 s34, exec_lo
	v_cmpx_lt_u32_e64 v141, v164
	s_cbranch_execnz .LBB1256_1153
.LBB1256_1087:                          ;   in Loop: Header=BB1256_979 Depth=2
	s_wait_alu 0xfffe
	s_or_b32 exec_lo, exec_lo, s34
	s_delay_alu instid0(SALU_CYCLE_1)
	s_mov_b32 s34, exec_lo
	v_cmpx_lt_u32_e64 v142, v164
	s_cbranch_execnz .LBB1256_1154
.LBB1256_1088:                          ;   in Loop: Header=BB1256_979 Depth=2
	s_wait_alu 0xfffe
	s_or_b32 exec_lo, exec_lo, s34
	s_delay_alu instid0(SALU_CYCLE_1)
	s_mov_b32 s34, exec_lo
	v_cmpx_lt_u32_e64 v143, v164
	s_cbranch_execnz .LBB1256_1155
.LBB1256_1089:                          ;   in Loop: Header=BB1256_979 Depth=2
	s_wait_alu 0xfffe
	s_or_b32 exec_lo, exec_lo, s34
	s_delay_alu instid0(SALU_CYCLE_1)
	s_mov_b32 s34, exec_lo
	v_cmpx_lt_u32_e64 v144, v164
	s_cbranch_execnz .LBB1256_1156
.LBB1256_1090:                          ;   in Loop: Header=BB1256_979 Depth=2
	s_wait_alu 0xfffe
	s_or_b32 exec_lo, exec_lo, s34
	s_and_saveexec_b32 s34, vcc_lo
	s_cbranch_execnz .LBB1256_1157
.LBB1256_1091:                          ;   in Loop: Header=BB1256_979 Depth=2
	s_wait_alu 0xfffe
	s_or_b32 exec_lo, exec_lo, s34
	s_and_saveexec_b32 s34, s15
	s_cbranch_execnz .LBB1256_1158
.LBB1256_1092:                          ;   in Loop: Header=BB1256_979 Depth=2
	s_wait_alu 0xfffe
	s_or_b32 exec_lo, exec_lo, s34
	s_and_saveexec_b32 s34, s16
	s_cbranch_execnz .LBB1256_1159
.LBB1256_1093:                          ;   in Loop: Header=BB1256_979 Depth=2
	s_wait_alu 0xfffe
	s_or_b32 exec_lo, exec_lo, s34
	s_and_saveexec_b32 s34, s17
	s_cbranch_execnz .LBB1256_1160
.LBB1256_1094:                          ;   in Loop: Header=BB1256_979 Depth=2
	s_wait_alu 0xfffe
	s_or_b32 exec_lo, exec_lo, s34
	s_and_saveexec_b32 s34, s18
	s_cbranch_execnz .LBB1256_1161
.LBB1256_1095:                          ;   in Loop: Header=BB1256_979 Depth=2
	s_wait_alu 0xfffe
	s_or_b32 exec_lo, exec_lo, s34
	s_and_saveexec_b32 s34, s19
	s_cbranch_execnz .LBB1256_1162
.LBB1256_1096:                          ;   in Loop: Header=BB1256_979 Depth=2
	s_wait_alu 0xfffe
	s_or_b32 exec_lo, exec_lo, s34
	s_and_saveexec_b32 s34, s20
	s_cbranch_execnz .LBB1256_1163
.LBB1256_1097:                          ;   in Loop: Header=BB1256_979 Depth=2
	s_wait_alu 0xfffe
	s_or_b32 exec_lo, exec_lo, s34
	s_and_saveexec_b32 s34, s21
	s_cbranch_execnz .LBB1256_1164
.LBB1256_1098:                          ;   in Loop: Header=BB1256_979 Depth=2
	s_wait_alu 0xfffe
	s_or_b32 exec_lo, exec_lo, s34
	s_and_saveexec_b32 s34, s22
	s_cbranch_execnz .LBB1256_1165
.LBB1256_1099:                          ;   in Loop: Header=BB1256_979 Depth=2
	s_wait_alu 0xfffe
	s_or_b32 exec_lo, exec_lo, s34
	s_and_saveexec_b32 s34, s23
	s_cbranch_execnz .LBB1256_1166
.LBB1256_1100:                          ;   in Loop: Header=BB1256_979 Depth=2
	s_wait_alu 0xfffe
	s_or_b32 exec_lo, exec_lo, s34
	s_and_saveexec_b32 s34, s24
	s_cbranch_execnz .LBB1256_1167
.LBB1256_1101:                          ;   in Loop: Header=BB1256_979 Depth=2
	s_wait_alu 0xfffe
	s_or_b32 exec_lo, exec_lo, s34
	s_and_saveexec_b32 s34, s25
	s_cbranch_execnz .LBB1256_1168
.LBB1256_1102:                          ;   in Loop: Header=BB1256_979 Depth=2
	s_wait_alu 0xfffe
	s_or_b32 exec_lo, exec_lo, s34
	s_and_saveexec_b32 s34, s26
	s_cbranch_execnz .LBB1256_1169
.LBB1256_1103:                          ;   in Loop: Header=BB1256_979 Depth=2
	s_wait_alu 0xfffe
	s_or_b32 exec_lo, exec_lo, s34
	s_and_saveexec_b32 s34, s27
	s_cbranch_execnz .LBB1256_1170
.LBB1256_1104:                          ;   in Loop: Header=BB1256_979 Depth=2
	s_wait_alu 0xfffe
	s_or_b32 exec_lo, exec_lo, s34
	s_and_saveexec_b32 s34, s28
	s_cbranch_execnz .LBB1256_1171
.LBB1256_1105:                          ;   in Loop: Header=BB1256_979 Depth=2
	s_wait_alu 0xfffe
	s_or_b32 exec_lo, exec_lo, s34
	s_and_saveexec_b32 s34, s29
	s_cbranch_execz .LBB1256_1107
.LBB1256_1106:                          ;   in Loop: Header=BB1256_979 Depth=2
	ds_load_b64 v[38:39], v110 offset:31744
	s_wait_dscnt 0x0
	v_cmp_ne_u64_e64 s30, s[42:43], v[38:39]
	s_wait_alu 0xf1ff
	s_delay_alu instid0(VALU_DEP_1) | instskip(SKIP_1) | instid1(VALU_DEP_1)
	v_cndmask_b32_e64 v39, 0x80000000, v39, s30
	v_cndmask_b32_e64 v38, 0, v38, s30
	v_lshrrev_b64 v[38:39], s31, v[38:39]
	s_delay_alu instid0(VALU_DEP_1)
	v_and_b32_e32 v148, s56, v38
.LBB1256_1107:                          ;   in Loop: Header=BB1256_979 Depth=2
	s_wait_alu 0xfffe
	s_or_b32 exec_lo, exec_lo, s34
	s_wait_loadcnt 0x0
	s_wait_storecnt 0x0
	s_barrier_signal -1
	s_barrier_wait -1
	global_inv scope:SCOPE_SE
	ds_store_b64 v71, v[36:37] offset:1024
	ds_store_b64 v72, v[34:35] offset:1024
	;; [unrolled: 1-line block ×16, first 2 shown]
	s_wait_loadcnt_dscnt 0x0
	s_barrier_signal -1
	s_barrier_wait -1
	global_inv scope:SCOPE_SE
	s_and_saveexec_b32 s30, vcc_lo
	s_cbranch_execnz .LBB1256_1172
; %bb.1108:                             ;   in Loop: Header=BB1256_979 Depth=2
	s_wait_alu 0xfffe
	s_or_b32 exec_lo, exec_lo, s30
	s_and_saveexec_b32 s30, s15
	s_cbranch_execnz .LBB1256_1173
.LBB1256_1109:                          ;   in Loop: Header=BB1256_979 Depth=2
	s_wait_alu 0xfffe
	s_or_b32 exec_lo, exec_lo, s30
	s_and_saveexec_b32 s15, s16
	s_cbranch_execnz .LBB1256_1174
.LBB1256_1110:                          ;   in Loop: Header=BB1256_979 Depth=2
	s_wait_alu 0xfffe
	s_or_b32 exec_lo, exec_lo, s15
	s_and_saveexec_b32 s15, s17
	s_cbranch_execnz .LBB1256_1175
.LBB1256_1111:                          ;   in Loop: Header=BB1256_979 Depth=2
	s_wait_alu 0xfffe
	s_or_b32 exec_lo, exec_lo, s15
	s_and_saveexec_b32 s15, s18
	s_cbranch_execnz .LBB1256_1176
.LBB1256_1112:                          ;   in Loop: Header=BB1256_979 Depth=2
	s_wait_alu 0xfffe
	s_or_b32 exec_lo, exec_lo, s15
	s_and_saveexec_b32 s15, s19
	s_cbranch_execnz .LBB1256_1177
.LBB1256_1113:                          ;   in Loop: Header=BB1256_979 Depth=2
	s_wait_alu 0xfffe
	s_or_b32 exec_lo, exec_lo, s15
	s_and_saveexec_b32 s15, s20
	s_cbranch_execnz .LBB1256_1178
.LBB1256_1114:                          ;   in Loop: Header=BB1256_979 Depth=2
	s_wait_alu 0xfffe
	s_or_b32 exec_lo, exec_lo, s15
	s_and_saveexec_b32 s15, s21
	s_cbranch_execnz .LBB1256_1179
.LBB1256_1115:                          ;   in Loop: Header=BB1256_979 Depth=2
	s_wait_alu 0xfffe
	s_or_b32 exec_lo, exec_lo, s15
	s_and_saveexec_b32 s15, s22
	s_cbranch_execnz .LBB1256_1180
.LBB1256_1116:                          ;   in Loop: Header=BB1256_979 Depth=2
	s_wait_alu 0xfffe
	s_or_b32 exec_lo, exec_lo, s15
	s_and_saveexec_b32 s15, s23
	s_cbranch_execnz .LBB1256_1181
.LBB1256_1117:                          ;   in Loop: Header=BB1256_979 Depth=2
	s_wait_alu 0xfffe
	s_or_b32 exec_lo, exec_lo, s15
	s_and_saveexec_b32 s15, s24
	s_cbranch_execnz .LBB1256_1182
.LBB1256_1118:                          ;   in Loop: Header=BB1256_979 Depth=2
	s_wait_alu 0xfffe
	s_or_b32 exec_lo, exec_lo, s15
	s_and_saveexec_b32 s15, s25
	s_cbranch_execnz .LBB1256_1183
.LBB1256_1119:                          ;   in Loop: Header=BB1256_979 Depth=2
	s_wait_alu 0xfffe
	s_or_b32 exec_lo, exec_lo, s15
	s_and_saveexec_b32 s15, s26
	s_cbranch_execnz .LBB1256_1184
.LBB1256_1120:                          ;   in Loop: Header=BB1256_979 Depth=2
	s_wait_alu 0xfffe
	s_or_b32 exec_lo, exec_lo, s15
	s_and_saveexec_b32 s15, s27
	s_cbranch_execnz .LBB1256_1185
.LBB1256_1121:                          ;   in Loop: Header=BB1256_979 Depth=2
	s_wait_alu 0xfffe
	s_or_b32 exec_lo, exec_lo, s15
	s_and_saveexec_b32 s15, s28
	s_cbranch_execnz .LBB1256_1186
.LBB1256_1122:                          ;   in Loop: Header=BB1256_979 Depth=2
	s_wait_alu 0xfffe
	s_or_b32 exec_lo, exec_lo, s15
	s_and_saveexec_b32 s15, s29
	s_cbranch_execz .LBB1256_1124
.LBB1256_1123:                          ;   in Loop: Header=BB1256_979 Depth=2
	v_lshlrev_b32_e32 v2, 2, v148
	ds_load_b32 v2, v2
	ds_load_b64 v[38:39], v110 offset:31744
	s_wait_dscnt 0x1
	v_add_nc_u32_e32 v2, v2, v95
	s_delay_alu instid0(VALU_DEP_1) | instskip(NEXT) | instid1(VALU_DEP_1)
	v_lshlrev_b64_e32 v[40:41], 3, v[2:3]
	v_add_co_u32 v40, vcc_lo, s46, v40
	s_wait_alu 0xfffd
	s_delay_alu instid0(VALU_DEP_2)
	v_add_co_ci_u32_e64 v41, null, s47, v41, vcc_lo
	s_wait_dscnt 0x0
	global_store_b64 v[40:41], v[38:39], off
.LBB1256_1124:                          ;   in Loop: Header=BB1256_979 Depth=2
	s_wait_alu 0xfffe
	s_or_b32 exec_lo, exec_lo, s15
	s_wait_loadcnt 0x0
	s_wait_storecnt 0x0
	s_barrier_signal -1
	s_barrier_wait -1
	global_inv scope:SCOPE_SE
	s_and_saveexec_b32 s15, s2
	s_cbranch_execz .LBB1256_978
; %bb.1125:                             ;   in Loop: Header=BB1256_979 Depth=2
	ds_load_b32 v2, v78
	s_wait_dscnt 0x0
	v_add_nc_u32_e32 v2, v2, v70
	ds_store_b32 v78, v2
	s_branch .LBB1256_978
.LBB1256_1126:                          ;   in Loop: Header=BB1256_979 Depth=2
	ds_load_b64 v[38:39], v110 offset:1024
	s_wait_dscnt 0x0
	v_cmp_ne_u64_e64 s15, s[42:43], v[38:39]
	s_wait_alu 0xf1ff
	s_delay_alu instid0(VALU_DEP_1) | instskip(SKIP_2) | instid1(VALU_DEP_2)
	v_cndmask_b32_e64 v45, 0x80000000, v39, s15
	v_cndmask_b32_e64 v44, 0, v38, s15
	v_cmp_lt_i64_e64 s15, -1, v[38:39]
	v_lshrrev_b64 v[44:45], s31, v[44:45]
	s_wait_alu 0xf1ff
	s_delay_alu instid0(VALU_DEP_2) | instskip(NEXT) | instid1(VALU_DEP_2)
	v_cndmask_b32_e64 v46, 0x80000000, -1, s15
	v_and_b32_e32 v2, s56, v44
	v_ashrrev_i32_e32 v44, 31, v39
	s_delay_alu instid0(VALU_DEP_3) | instskip(NEXT) | instid1(VALU_DEP_3)
	v_xor_b32_e32 v39, v46, v39
	v_lshlrev_b32_e32 v2, 2, v2
	s_delay_alu instid0(VALU_DEP_3) | instskip(SKIP_4) | instid1(VALU_DEP_1)
	v_not_b32_e32 v47, v44
	ds_load_b32 v2, v2
	v_xor_b32_e32 v38, v47, v38
	s_wait_dscnt 0x0
	v_add_nc_u32_e32 v2, v2, v1
	v_lshlrev_b64_e32 v[44:45], 3, v[2:3]
	s_delay_alu instid0(VALU_DEP_1) | instskip(SKIP_1) | instid1(VALU_DEP_2)
	v_add_co_u32 v44, s15, s40, v44
	s_wait_alu 0xf1ff
	v_add_co_ci_u32_e64 v45, null, s41, v45, s15
	global_store_b64 v[44:45], v[38:39], off
	s_wait_alu 0xfffe
	s_or_b32 exec_lo, exec_lo, s16
	v_cmp_lt_u32_e64 s15, v79, v164
	s_and_saveexec_b32 s17, s15
	s_cbranch_execz .LBB1256_1059
.LBB1256_1127:                          ;   in Loop: Header=BB1256_979 Depth=2
	ds_load_b64 v[38:39], v110 offset:3072
	s_wait_dscnt 0x0
	v_cmp_ne_u64_e64 s16, s[42:43], v[38:39]
	s_wait_alu 0xf1ff
	s_delay_alu instid0(VALU_DEP_1) | instskip(SKIP_2) | instid1(VALU_DEP_2)
	v_cndmask_b32_e64 v45, 0x80000000, v39, s16
	v_cndmask_b32_e64 v44, 0, v38, s16
	v_cmp_lt_i64_e64 s16, -1, v[38:39]
	v_lshrrev_b64 v[44:45], s31, v[44:45]
	s_wait_alu 0xf1ff
	s_delay_alu instid0(VALU_DEP_2) | instskip(NEXT) | instid1(VALU_DEP_2)
	v_cndmask_b32_e64 v46, 0x80000000, -1, s16
	v_and_b32_e32 v2, s56, v44
	v_ashrrev_i32_e32 v44, 31, v39
	s_delay_alu instid0(VALU_DEP_3) | instskip(NEXT) | instid1(VALU_DEP_3)
	v_xor_b32_e32 v39, v46, v39
	v_lshlrev_b32_e32 v2, 2, v2
	s_delay_alu instid0(VALU_DEP_3) | instskip(SKIP_4) | instid1(VALU_DEP_1)
	v_not_b32_e32 v47, v44
	ds_load_b32 v2, v2
	v_xor_b32_e32 v38, v47, v38
	s_wait_dscnt 0x0
	v_add_nc_u32_e32 v2, v2, v79
	v_lshlrev_b64_e32 v[44:45], 3, v[2:3]
	s_delay_alu instid0(VALU_DEP_1) | instskip(SKIP_1) | instid1(VALU_DEP_2)
	v_add_co_u32 v44, s16, s40, v44
	s_wait_alu 0xf1ff
	v_add_co_ci_u32_e64 v45, null, s41, v45, s16
	global_store_b64 v[44:45], v[38:39], off
	s_wait_alu 0xfffe
	s_or_b32 exec_lo, exec_lo, s17
	v_cmp_lt_u32_e64 s16, v80, v164
	s_and_saveexec_b32 s18, s16
	s_cbranch_execz .LBB1256_1060
.LBB1256_1128:                          ;   in Loop: Header=BB1256_979 Depth=2
	ds_load_b64 v[38:39], v110 offset:5120
	s_wait_dscnt 0x0
	v_cmp_ne_u64_e64 s17, s[42:43], v[38:39]
	s_wait_alu 0xf1ff
	s_delay_alu instid0(VALU_DEP_1) | instskip(SKIP_2) | instid1(VALU_DEP_2)
	v_cndmask_b32_e64 v45, 0x80000000, v39, s17
	v_cndmask_b32_e64 v44, 0, v38, s17
	v_cmp_lt_i64_e64 s17, -1, v[38:39]
	v_lshrrev_b64 v[44:45], s31, v[44:45]
	s_wait_alu 0xf1ff
	s_delay_alu instid0(VALU_DEP_2) | instskip(NEXT) | instid1(VALU_DEP_2)
	v_cndmask_b32_e64 v46, 0x80000000, -1, s17
	v_and_b32_e32 v2, s56, v44
	v_ashrrev_i32_e32 v44, 31, v39
	s_delay_alu instid0(VALU_DEP_3) | instskip(NEXT) | instid1(VALU_DEP_3)
	v_xor_b32_e32 v39, v46, v39
	v_lshlrev_b32_e32 v2, 2, v2
	s_delay_alu instid0(VALU_DEP_3) | instskip(SKIP_4) | instid1(VALU_DEP_1)
	v_not_b32_e32 v47, v44
	ds_load_b32 v2, v2
	v_xor_b32_e32 v38, v47, v38
	s_wait_dscnt 0x0
	v_add_nc_u32_e32 v2, v2, v80
	v_lshlrev_b64_e32 v[44:45], 3, v[2:3]
	s_delay_alu instid0(VALU_DEP_1) | instskip(SKIP_1) | instid1(VALU_DEP_2)
	v_add_co_u32 v44, s17, s40, v44
	s_wait_alu 0xf1ff
	v_add_co_ci_u32_e64 v45, null, s41, v45, s17
	global_store_b64 v[44:45], v[38:39], off
	s_wait_alu 0xfffe
	s_or_b32 exec_lo, exec_lo, s18
	v_cmp_lt_u32_e64 s17, v81, v164
	s_and_saveexec_b32 s19, s17
	s_cbranch_execz .LBB1256_1061
.LBB1256_1129:                          ;   in Loop: Header=BB1256_979 Depth=2
	ds_load_b64 v[38:39], v110 offset:7168
	s_wait_dscnt 0x0
	v_cmp_ne_u64_e64 s18, s[42:43], v[38:39]
	s_wait_alu 0xf1ff
	s_delay_alu instid0(VALU_DEP_1) | instskip(SKIP_2) | instid1(VALU_DEP_2)
	v_cndmask_b32_e64 v45, 0x80000000, v39, s18
	v_cndmask_b32_e64 v44, 0, v38, s18
	v_cmp_lt_i64_e64 s18, -1, v[38:39]
	v_lshrrev_b64 v[44:45], s31, v[44:45]
	s_wait_alu 0xf1ff
	s_delay_alu instid0(VALU_DEP_2) | instskip(NEXT) | instid1(VALU_DEP_2)
	v_cndmask_b32_e64 v46, 0x80000000, -1, s18
	v_and_b32_e32 v2, s56, v44
	v_ashrrev_i32_e32 v44, 31, v39
	s_delay_alu instid0(VALU_DEP_3) | instskip(NEXT) | instid1(VALU_DEP_3)
	v_xor_b32_e32 v39, v46, v39
	v_lshlrev_b32_e32 v2, 2, v2
	s_delay_alu instid0(VALU_DEP_3) | instskip(SKIP_4) | instid1(VALU_DEP_1)
	v_not_b32_e32 v47, v44
	ds_load_b32 v2, v2
	v_xor_b32_e32 v38, v47, v38
	s_wait_dscnt 0x0
	v_add_nc_u32_e32 v2, v2, v81
	v_lshlrev_b64_e32 v[44:45], 3, v[2:3]
	s_delay_alu instid0(VALU_DEP_1) | instskip(SKIP_1) | instid1(VALU_DEP_2)
	v_add_co_u32 v44, s18, s40, v44
	s_wait_alu 0xf1ff
	v_add_co_ci_u32_e64 v45, null, s41, v45, s18
	global_store_b64 v[44:45], v[38:39], off
	s_wait_alu 0xfffe
	s_or_b32 exec_lo, exec_lo, s19
	v_cmp_lt_u32_e64 s18, v84, v164
	s_and_saveexec_b32 s20, s18
	s_cbranch_execz .LBB1256_1062
.LBB1256_1130:                          ;   in Loop: Header=BB1256_979 Depth=2
	ds_load_b64 v[38:39], v110 offset:9216
	s_wait_dscnt 0x0
	v_cmp_ne_u64_e64 s19, s[42:43], v[38:39]
	s_wait_alu 0xf1ff
	s_delay_alu instid0(VALU_DEP_1) | instskip(SKIP_2) | instid1(VALU_DEP_2)
	v_cndmask_b32_e64 v45, 0x80000000, v39, s19
	v_cndmask_b32_e64 v44, 0, v38, s19
	v_cmp_lt_i64_e64 s19, -1, v[38:39]
	v_lshrrev_b64 v[44:45], s31, v[44:45]
	s_wait_alu 0xf1ff
	s_delay_alu instid0(VALU_DEP_2) | instskip(NEXT) | instid1(VALU_DEP_2)
	v_cndmask_b32_e64 v46, 0x80000000, -1, s19
	v_and_b32_e32 v2, s56, v44
	v_ashrrev_i32_e32 v44, 31, v39
	s_delay_alu instid0(VALU_DEP_3) | instskip(NEXT) | instid1(VALU_DEP_3)
	v_xor_b32_e32 v39, v46, v39
	v_lshlrev_b32_e32 v2, 2, v2
	s_delay_alu instid0(VALU_DEP_3) | instskip(SKIP_4) | instid1(VALU_DEP_1)
	v_not_b32_e32 v47, v44
	ds_load_b32 v2, v2
	v_xor_b32_e32 v38, v47, v38
	s_wait_dscnt 0x0
	v_add_nc_u32_e32 v2, v2, v84
	v_lshlrev_b64_e32 v[44:45], 3, v[2:3]
	s_delay_alu instid0(VALU_DEP_1) | instskip(SKIP_1) | instid1(VALU_DEP_2)
	v_add_co_u32 v44, s19, s40, v44
	s_wait_alu 0xf1ff
	v_add_co_ci_u32_e64 v45, null, s41, v45, s19
	global_store_b64 v[44:45], v[38:39], off
	s_wait_alu 0xfffe
	s_or_b32 exec_lo, exec_lo, s20
	v_cmp_lt_u32_e64 s19, v85, v164
	s_and_saveexec_b32 s21, s19
	s_cbranch_execz .LBB1256_1063
.LBB1256_1131:                          ;   in Loop: Header=BB1256_979 Depth=2
	ds_load_b64 v[38:39], v110 offset:11264
	s_wait_dscnt 0x0
	v_cmp_ne_u64_e64 s20, s[42:43], v[38:39]
	s_wait_alu 0xf1ff
	s_delay_alu instid0(VALU_DEP_1) | instskip(SKIP_2) | instid1(VALU_DEP_2)
	v_cndmask_b32_e64 v45, 0x80000000, v39, s20
	v_cndmask_b32_e64 v44, 0, v38, s20
	v_cmp_lt_i64_e64 s20, -1, v[38:39]
	v_lshrrev_b64 v[44:45], s31, v[44:45]
	s_wait_alu 0xf1ff
	s_delay_alu instid0(VALU_DEP_2) | instskip(NEXT) | instid1(VALU_DEP_2)
	v_cndmask_b32_e64 v46, 0x80000000, -1, s20
	v_and_b32_e32 v2, s56, v44
	v_ashrrev_i32_e32 v44, 31, v39
	s_delay_alu instid0(VALU_DEP_3) | instskip(NEXT) | instid1(VALU_DEP_3)
	v_xor_b32_e32 v39, v46, v39
	v_lshlrev_b32_e32 v2, 2, v2
	s_delay_alu instid0(VALU_DEP_3) | instskip(SKIP_4) | instid1(VALU_DEP_1)
	v_not_b32_e32 v47, v44
	ds_load_b32 v2, v2
	v_xor_b32_e32 v38, v47, v38
	s_wait_dscnt 0x0
	v_add_nc_u32_e32 v2, v2, v85
	v_lshlrev_b64_e32 v[44:45], 3, v[2:3]
	s_delay_alu instid0(VALU_DEP_1) | instskip(SKIP_1) | instid1(VALU_DEP_2)
	v_add_co_u32 v44, s20, s40, v44
	s_wait_alu 0xf1ff
	v_add_co_ci_u32_e64 v45, null, s41, v45, s20
	global_store_b64 v[44:45], v[38:39], off
	s_wait_alu 0xfffe
	s_or_b32 exec_lo, exec_lo, s21
	v_cmp_lt_u32_e64 s20, v86, v164
	s_and_saveexec_b32 s22, s20
	s_cbranch_execz .LBB1256_1064
.LBB1256_1132:                          ;   in Loop: Header=BB1256_979 Depth=2
	ds_load_b64 v[38:39], v110 offset:13312
	s_wait_dscnt 0x0
	v_cmp_ne_u64_e64 s21, s[42:43], v[38:39]
	s_wait_alu 0xf1ff
	s_delay_alu instid0(VALU_DEP_1) | instskip(SKIP_2) | instid1(VALU_DEP_2)
	v_cndmask_b32_e64 v45, 0x80000000, v39, s21
	v_cndmask_b32_e64 v44, 0, v38, s21
	v_cmp_lt_i64_e64 s21, -1, v[38:39]
	v_lshrrev_b64 v[44:45], s31, v[44:45]
	s_wait_alu 0xf1ff
	s_delay_alu instid0(VALU_DEP_2) | instskip(NEXT) | instid1(VALU_DEP_2)
	v_cndmask_b32_e64 v46, 0x80000000, -1, s21
	v_and_b32_e32 v2, s56, v44
	v_ashrrev_i32_e32 v44, 31, v39
	s_delay_alu instid0(VALU_DEP_3) | instskip(NEXT) | instid1(VALU_DEP_3)
	v_xor_b32_e32 v39, v46, v39
	v_lshlrev_b32_e32 v2, 2, v2
	s_delay_alu instid0(VALU_DEP_3) | instskip(SKIP_4) | instid1(VALU_DEP_1)
	v_not_b32_e32 v47, v44
	ds_load_b32 v2, v2
	v_xor_b32_e32 v38, v47, v38
	s_wait_dscnt 0x0
	v_add_nc_u32_e32 v2, v2, v86
	v_lshlrev_b64_e32 v[44:45], 3, v[2:3]
	s_delay_alu instid0(VALU_DEP_1) | instskip(SKIP_1) | instid1(VALU_DEP_2)
	v_add_co_u32 v44, s21, s40, v44
	s_wait_alu 0xf1ff
	v_add_co_ci_u32_e64 v45, null, s41, v45, s21
	global_store_b64 v[44:45], v[38:39], off
	s_wait_alu 0xfffe
	s_or_b32 exec_lo, exec_lo, s22
	v_cmp_lt_u32_e64 s21, v87, v164
	s_and_saveexec_b32 s23, s21
	s_cbranch_execz .LBB1256_1065
.LBB1256_1133:                          ;   in Loop: Header=BB1256_979 Depth=2
	ds_load_b64 v[38:39], v110 offset:15360
	s_wait_dscnt 0x0
	v_cmp_ne_u64_e64 s22, s[42:43], v[38:39]
	s_wait_alu 0xf1ff
	s_delay_alu instid0(VALU_DEP_1) | instskip(SKIP_2) | instid1(VALU_DEP_2)
	v_cndmask_b32_e64 v45, 0x80000000, v39, s22
	v_cndmask_b32_e64 v44, 0, v38, s22
	v_cmp_lt_i64_e64 s22, -1, v[38:39]
	v_lshrrev_b64 v[44:45], s31, v[44:45]
	s_wait_alu 0xf1ff
	s_delay_alu instid0(VALU_DEP_2) | instskip(NEXT) | instid1(VALU_DEP_2)
	v_cndmask_b32_e64 v46, 0x80000000, -1, s22
	v_and_b32_e32 v2, s56, v44
	v_ashrrev_i32_e32 v44, 31, v39
	s_delay_alu instid0(VALU_DEP_3) | instskip(NEXT) | instid1(VALU_DEP_3)
	v_xor_b32_e32 v39, v46, v39
	v_lshlrev_b32_e32 v2, 2, v2
	s_delay_alu instid0(VALU_DEP_3) | instskip(SKIP_4) | instid1(VALU_DEP_1)
	v_not_b32_e32 v47, v44
	ds_load_b32 v2, v2
	v_xor_b32_e32 v38, v47, v38
	s_wait_dscnt 0x0
	v_add_nc_u32_e32 v2, v2, v87
	v_lshlrev_b64_e32 v[44:45], 3, v[2:3]
	s_delay_alu instid0(VALU_DEP_1) | instskip(SKIP_1) | instid1(VALU_DEP_2)
	v_add_co_u32 v44, s22, s40, v44
	s_wait_alu 0xf1ff
	v_add_co_ci_u32_e64 v45, null, s41, v45, s22
	global_store_b64 v[44:45], v[38:39], off
	s_wait_alu 0xfffe
	s_or_b32 exec_lo, exec_lo, s23
	v_cmp_lt_u32_e64 s22, v88, v164
	s_and_saveexec_b32 s24, s22
	s_cbranch_execz .LBB1256_1066
.LBB1256_1134:                          ;   in Loop: Header=BB1256_979 Depth=2
	ds_load_b64 v[38:39], v110 offset:17408
	s_wait_dscnt 0x0
	v_cmp_ne_u64_e64 s23, s[42:43], v[38:39]
	s_wait_alu 0xf1ff
	s_delay_alu instid0(VALU_DEP_1) | instskip(SKIP_2) | instid1(VALU_DEP_2)
	v_cndmask_b32_e64 v45, 0x80000000, v39, s23
	v_cndmask_b32_e64 v44, 0, v38, s23
	v_cmp_lt_i64_e64 s23, -1, v[38:39]
	v_lshrrev_b64 v[44:45], s31, v[44:45]
	s_wait_alu 0xf1ff
	s_delay_alu instid0(VALU_DEP_2) | instskip(NEXT) | instid1(VALU_DEP_2)
	v_cndmask_b32_e64 v46, 0x80000000, -1, s23
	v_and_b32_e32 v2, s56, v44
	v_ashrrev_i32_e32 v44, 31, v39
	s_delay_alu instid0(VALU_DEP_3) | instskip(NEXT) | instid1(VALU_DEP_3)
	v_xor_b32_e32 v39, v46, v39
	v_lshlrev_b32_e32 v2, 2, v2
	s_delay_alu instid0(VALU_DEP_3) | instskip(SKIP_4) | instid1(VALU_DEP_1)
	v_not_b32_e32 v47, v44
	ds_load_b32 v2, v2
	v_xor_b32_e32 v38, v47, v38
	s_wait_dscnt 0x0
	v_add_nc_u32_e32 v2, v2, v88
	v_lshlrev_b64_e32 v[44:45], 3, v[2:3]
	s_delay_alu instid0(VALU_DEP_1) | instskip(SKIP_1) | instid1(VALU_DEP_2)
	v_add_co_u32 v44, s23, s40, v44
	s_wait_alu 0xf1ff
	v_add_co_ci_u32_e64 v45, null, s41, v45, s23
	global_store_b64 v[44:45], v[38:39], off
	s_wait_alu 0xfffe
	s_or_b32 exec_lo, exec_lo, s24
	v_cmp_lt_u32_e64 s23, v89, v164
	s_and_saveexec_b32 s25, s23
	s_cbranch_execz .LBB1256_1067
.LBB1256_1135:                          ;   in Loop: Header=BB1256_979 Depth=2
	ds_load_b64 v[38:39], v110 offset:19456
	s_wait_dscnt 0x0
	v_cmp_ne_u64_e64 s24, s[42:43], v[38:39]
	s_wait_alu 0xf1ff
	s_delay_alu instid0(VALU_DEP_1) | instskip(SKIP_2) | instid1(VALU_DEP_2)
	v_cndmask_b32_e64 v45, 0x80000000, v39, s24
	v_cndmask_b32_e64 v44, 0, v38, s24
	v_cmp_lt_i64_e64 s24, -1, v[38:39]
	v_lshrrev_b64 v[44:45], s31, v[44:45]
	s_wait_alu 0xf1ff
	s_delay_alu instid0(VALU_DEP_2) | instskip(NEXT) | instid1(VALU_DEP_2)
	v_cndmask_b32_e64 v46, 0x80000000, -1, s24
	v_and_b32_e32 v2, s56, v44
	v_ashrrev_i32_e32 v44, 31, v39
	s_delay_alu instid0(VALU_DEP_3) | instskip(NEXT) | instid1(VALU_DEP_3)
	v_xor_b32_e32 v39, v46, v39
	v_lshlrev_b32_e32 v2, 2, v2
	s_delay_alu instid0(VALU_DEP_3) | instskip(SKIP_4) | instid1(VALU_DEP_1)
	v_not_b32_e32 v47, v44
	ds_load_b32 v2, v2
	v_xor_b32_e32 v38, v47, v38
	s_wait_dscnt 0x0
	v_add_nc_u32_e32 v2, v2, v89
	v_lshlrev_b64_e32 v[44:45], 3, v[2:3]
	s_delay_alu instid0(VALU_DEP_1) | instskip(SKIP_1) | instid1(VALU_DEP_2)
	v_add_co_u32 v44, s24, s40, v44
	s_wait_alu 0xf1ff
	v_add_co_ci_u32_e64 v45, null, s41, v45, s24
	global_store_b64 v[44:45], v[38:39], off
	s_wait_alu 0xfffe
	s_or_b32 exec_lo, exec_lo, s25
	v_cmp_lt_u32_e64 s24, v90, v164
	s_and_saveexec_b32 s26, s24
	s_cbranch_execz .LBB1256_1068
.LBB1256_1136:                          ;   in Loop: Header=BB1256_979 Depth=2
	ds_load_b64 v[38:39], v110 offset:21504
	s_wait_dscnt 0x0
	v_cmp_ne_u64_e64 s25, s[42:43], v[38:39]
	s_wait_alu 0xf1ff
	s_delay_alu instid0(VALU_DEP_1) | instskip(SKIP_2) | instid1(VALU_DEP_2)
	v_cndmask_b32_e64 v45, 0x80000000, v39, s25
	v_cndmask_b32_e64 v44, 0, v38, s25
	v_cmp_lt_i64_e64 s25, -1, v[38:39]
	v_lshrrev_b64 v[44:45], s31, v[44:45]
	s_wait_alu 0xf1ff
	s_delay_alu instid0(VALU_DEP_2) | instskip(NEXT) | instid1(VALU_DEP_2)
	v_cndmask_b32_e64 v46, 0x80000000, -1, s25
	v_and_b32_e32 v2, s56, v44
	v_ashrrev_i32_e32 v44, 31, v39
	s_delay_alu instid0(VALU_DEP_3) | instskip(NEXT) | instid1(VALU_DEP_3)
	v_xor_b32_e32 v39, v46, v39
	v_lshlrev_b32_e32 v2, 2, v2
	s_delay_alu instid0(VALU_DEP_3) | instskip(SKIP_4) | instid1(VALU_DEP_1)
	v_not_b32_e32 v47, v44
	ds_load_b32 v2, v2
	v_xor_b32_e32 v38, v47, v38
	s_wait_dscnt 0x0
	v_add_nc_u32_e32 v2, v2, v90
	v_lshlrev_b64_e32 v[44:45], 3, v[2:3]
	s_delay_alu instid0(VALU_DEP_1) | instskip(SKIP_1) | instid1(VALU_DEP_2)
	v_add_co_u32 v44, s25, s40, v44
	s_wait_alu 0xf1ff
	v_add_co_ci_u32_e64 v45, null, s41, v45, s25
	global_store_b64 v[44:45], v[38:39], off
	s_wait_alu 0xfffe
	s_or_b32 exec_lo, exec_lo, s26
	v_cmp_lt_u32_e64 s25, v91, v164
	s_and_saveexec_b32 s27, s25
	s_cbranch_execz .LBB1256_1069
.LBB1256_1137:                          ;   in Loop: Header=BB1256_979 Depth=2
	ds_load_b64 v[38:39], v110 offset:23552
	s_wait_dscnt 0x0
	v_cmp_ne_u64_e64 s26, s[42:43], v[38:39]
	s_wait_alu 0xf1ff
	s_delay_alu instid0(VALU_DEP_1) | instskip(SKIP_2) | instid1(VALU_DEP_2)
	v_cndmask_b32_e64 v45, 0x80000000, v39, s26
	v_cndmask_b32_e64 v44, 0, v38, s26
	v_cmp_lt_i64_e64 s26, -1, v[38:39]
	v_lshrrev_b64 v[44:45], s31, v[44:45]
	s_wait_alu 0xf1ff
	s_delay_alu instid0(VALU_DEP_2) | instskip(NEXT) | instid1(VALU_DEP_2)
	v_cndmask_b32_e64 v46, 0x80000000, -1, s26
	v_and_b32_e32 v2, s56, v44
	v_ashrrev_i32_e32 v44, 31, v39
	s_delay_alu instid0(VALU_DEP_3) | instskip(NEXT) | instid1(VALU_DEP_3)
	v_xor_b32_e32 v39, v46, v39
	v_lshlrev_b32_e32 v2, 2, v2
	s_delay_alu instid0(VALU_DEP_3) | instskip(SKIP_4) | instid1(VALU_DEP_1)
	v_not_b32_e32 v47, v44
	ds_load_b32 v2, v2
	v_xor_b32_e32 v38, v47, v38
	s_wait_dscnt 0x0
	v_add_nc_u32_e32 v2, v2, v91
	v_lshlrev_b64_e32 v[44:45], 3, v[2:3]
	s_delay_alu instid0(VALU_DEP_1) | instskip(SKIP_1) | instid1(VALU_DEP_2)
	v_add_co_u32 v44, s26, s40, v44
	s_wait_alu 0xf1ff
	v_add_co_ci_u32_e64 v45, null, s41, v45, s26
	global_store_b64 v[44:45], v[38:39], off
	s_wait_alu 0xfffe
	s_or_b32 exec_lo, exec_lo, s27
	v_cmp_lt_u32_e64 s26, v92, v164
	s_and_saveexec_b32 s28, s26
	s_cbranch_execz .LBB1256_1070
.LBB1256_1138:                          ;   in Loop: Header=BB1256_979 Depth=2
	ds_load_b64 v[38:39], v110 offset:25600
	s_wait_dscnt 0x0
	v_cmp_ne_u64_e64 s27, s[42:43], v[38:39]
	s_wait_alu 0xf1ff
	s_delay_alu instid0(VALU_DEP_1) | instskip(SKIP_2) | instid1(VALU_DEP_2)
	v_cndmask_b32_e64 v45, 0x80000000, v39, s27
	v_cndmask_b32_e64 v44, 0, v38, s27
	v_cmp_lt_i64_e64 s27, -1, v[38:39]
	v_lshrrev_b64 v[44:45], s31, v[44:45]
	s_wait_alu 0xf1ff
	s_delay_alu instid0(VALU_DEP_2) | instskip(NEXT) | instid1(VALU_DEP_2)
	v_cndmask_b32_e64 v46, 0x80000000, -1, s27
	v_and_b32_e32 v2, s56, v44
	v_ashrrev_i32_e32 v44, 31, v39
	s_delay_alu instid0(VALU_DEP_3) | instskip(NEXT) | instid1(VALU_DEP_3)
	v_xor_b32_e32 v39, v46, v39
	v_lshlrev_b32_e32 v2, 2, v2
	s_delay_alu instid0(VALU_DEP_3) | instskip(SKIP_4) | instid1(VALU_DEP_1)
	v_not_b32_e32 v47, v44
	ds_load_b32 v2, v2
	v_xor_b32_e32 v38, v47, v38
	s_wait_dscnt 0x0
	v_add_nc_u32_e32 v2, v2, v92
	v_lshlrev_b64_e32 v[44:45], 3, v[2:3]
	s_delay_alu instid0(VALU_DEP_1) | instskip(SKIP_1) | instid1(VALU_DEP_2)
	v_add_co_u32 v44, s27, s40, v44
	s_wait_alu 0xf1ff
	v_add_co_ci_u32_e64 v45, null, s41, v45, s27
	global_store_b64 v[44:45], v[38:39], off
	s_wait_alu 0xfffe
	s_or_b32 exec_lo, exec_lo, s28
	v_cmp_lt_u32_e64 s27, v93, v164
	s_and_saveexec_b32 s29, s27
	s_cbranch_execz .LBB1256_1071
.LBB1256_1139:                          ;   in Loop: Header=BB1256_979 Depth=2
	ds_load_b64 v[38:39], v110 offset:27648
	s_wait_dscnt 0x0
	v_cmp_ne_u64_e64 s28, s[42:43], v[38:39]
	s_wait_alu 0xf1ff
	s_delay_alu instid0(VALU_DEP_1) | instskip(SKIP_2) | instid1(VALU_DEP_2)
	v_cndmask_b32_e64 v45, 0x80000000, v39, s28
	v_cndmask_b32_e64 v44, 0, v38, s28
	v_cmp_lt_i64_e64 s28, -1, v[38:39]
	v_lshrrev_b64 v[44:45], s31, v[44:45]
	s_wait_alu 0xf1ff
	s_delay_alu instid0(VALU_DEP_2) | instskip(NEXT) | instid1(VALU_DEP_2)
	v_cndmask_b32_e64 v46, 0x80000000, -1, s28
	v_and_b32_e32 v2, s56, v44
	v_ashrrev_i32_e32 v44, 31, v39
	s_delay_alu instid0(VALU_DEP_3) | instskip(NEXT) | instid1(VALU_DEP_3)
	v_xor_b32_e32 v39, v46, v39
	v_lshlrev_b32_e32 v2, 2, v2
	s_delay_alu instid0(VALU_DEP_3) | instskip(SKIP_4) | instid1(VALU_DEP_1)
	v_not_b32_e32 v47, v44
	ds_load_b32 v2, v2
	v_xor_b32_e32 v38, v47, v38
	s_wait_dscnt 0x0
	v_add_nc_u32_e32 v2, v2, v93
	v_lshlrev_b64_e32 v[44:45], 3, v[2:3]
	s_delay_alu instid0(VALU_DEP_1) | instskip(SKIP_1) | instid1(VALU_DEP_2)
	v_add_co_u32 v44, s28, s40, v44
	s_wait_alu 0xf1ff
	v_add_co_ci_u32_e64 v45, null, s41, v45, s28
	global_store_b64 v[44:45], v[38:39], off
	s_wait_alu 0xfffe
	s_or_b32 exec_lo, exec_lo, s29
	v_cmp_lt_u32_e64 s28, v94, v164
	s_and_saveexec_b32 s30, s28
	s_cbranch_execz .LBB1256_1072
.LBB1256_1140:                          ;   in Loop: Header=BB1256_979 Depth=2
	ds_load_b64 v[38:39], v110 offset:29696
	s_wait_dscnt 0x0
	v_cmp_ne_u64_e64 s29, s[42:43], v[38:39]
	s_wait_alu 0xf1ff
	s_delay_alu instid0(VALU_DEP_1) | instskip(SKIP_2) | instid1(VALU_DEP_2)
	v_cndmask_b32_e64 v45, 0x80000000, v39, s29
	v_cndmask_b32_e64 v44, 0, v38, s29
	v_cmp_lt_i64_e64 s29, -1, v[38:39]
	v_lshrrev_b64 v[44:45], s31, v[44:45]
	s_wait_alu 0xf1ff
	s_delay_alu instid0(VALU_DEP_2) | instskip(NEXT) | instid1(VALU_DEP_2)
	v_cndmask_b32_e64 v46, 0x80000000, -1, s29
	v_and_b32_e32 v2, s56, v44
	v_ashrrev_i32_e32 v44, 31, v39
	s_delay_alu instid0(VALU_DEP_3) | instskip(NEXT) | instid1(VALU_DEP_3)
	v_xor_b32_e32 v39, v46, v39
	v_lshlrev_b32_e32 v2, 2, v2
	s_delay_alu instid0(VALU_DEP_3) | instskip(SKIP_4) | instid1(VALU_DEP_1)
	v_not_b32_e32 v47, v44
	ds_load_b32 v2, v2
	v_xor_b32_e32 v38, v47, v38
	s_wait_dscnt 0x0
	v_add_nc_u32_e32 v2, v2, v94
	v_lshlrev_b64_e32 v[44:45], 3, v[2:3]
	s_delay_alu instid0(VALU_DEP_1) | instskip(SKIP_1) | instid1(VALU_DEP_2)
	v_add_co_u32 v44, s29, s40, v44
	s_wait_alu 0xf1ff
	v_add_co_ci_u32_e64 v45, null, s41, v45, s29
	global_store_b64 v[44:45], v[38:39], off
	s_wait_alu 0xfffe
	s_or_b32 exec_lo, exec_lo, s30
	v_cmp_lt_u32_e64 s29, v95, v164
	s_and_saveexec_b32 s59, s29
	s_cbranch_execnz .LBB1256_1073
	s_branch .LBB1256_1074
.LBB1256_1141:                          ;   in Loop: Header=BB1256_979 Depth=2
	global_load_b64 v[36:37], v[38:39], off
	s_wait_alu 0xfffe
	s_or_b32 exec_lo, exec_lo, s30
	s_delay_alu instid0(SALU_CYCLE_1)
	s_mov_b32 s34, exec_lo
	v_cmpx_lt_u32_e64 v130, v164
	s_cbranch_execz .LBB1256_1076
.LBB1256_1142:                          ;   in Loop: Header=BB1256_979 Depth=2
	global_load_b64 v[34:35], v[38:39], off offset:256
	s_wait_alu 0xfffe
	s_or_b32 exec_lo, exec_lo, s34
	s_delay_alu instid0(SALU_CYCLE_1)
	s_mov_b32 s34, exec_lo
	v_cmpx_lt_u32_e64 v131, v164
	s_cbranch_execz .LBB1256_1077
.LBB1256_1143:                          ;   in Loop: Header=BB1256_979 Depth=2
	global_load_b64 v[32:33], v[38:39], off offset:512
	s_wait_alu 0xfffe
	s_or_b32 exec_lo, exec_lo, s34
	s_delay_alu instid0(SALU_CYCLE_1)
	s_mov_b32 s34, exec_lo
	v_cmpx_lt_u32_e64 v132, v164
	s_cbranch_execz .LBB1256_1078
.LBB1256_1144:                          ;   in Loop: Header=BB1256_979 Depth=2
	global_load_b64 v[30:31], v[38:39], off offset:768
	s_wait_alu 0xfffe
	s_or_b32 exec_lo, exec_lo, s34
	s_delay_alu instid0(SALU_CYCLE_1)
	s_mov_b32 s34, exec_lo
	v_cmpx_lt_u32_e64 v133, v164
	s_cbranch_execz .LBB1256_1079
.LBB1256_1145:                          ;   in Loop: Header=BB1256_979 Depth=2
	global_load_b64 v[28:29], v[38:39], off offset:1024
	s_wait_alu 0xfffe
	s_or_b32 exec_lo, exec_lo, s34
	s_delay_alu instid0(SALU_CYCLE_1)
	s_mov_b32 s34, exec_lo
	v_cmpx_lt_u32_e64 v134, v164
	s_cbranch_execz .LBB1256_1080
.LBB1256_1146:                          ;   in Loop: Header=BB1256_979 Depth=2
	global_load_b64 v[26:27], v[38:39], off offset:1280
	s_wait_alu 0xfffe
	s_or_b32 exec_lo, exec_lo, s34
	s_delay_alu instid0(SALU_CYCLE_1)
	s_mov_b32 s34, exec_lo
	v_cmpx_lt_u32_e64 v135, v164
	s_cbranch_execz .LBB1256_1081
.LBB1256_1147:                          ;   in Loop: Header=BB1256_979 Depth=2
	global_load_b64 v[24:25], v[38:39], off offset:1536
	s_wait_alu 0xfffe
	s_or_b32 exec_lo, exec_lo, s34
	s_delay_alu instid0(SALU_CYCLE_1)
	s_mov_b32 s34, exec_lo
	v_cmpx_lt_u32_e64 v136, v164
	s_cbranch_execz .LBB1256_1082
.LBB1256_1148:                          ;   in Loop: Header=BB1256_979 Depth=2
	global_load_b64 v[22:23], v[38:39], off offset:1792
	s_wait_alu 0xfffe
	s_or_b32 exec_lo, exec_lo, s34
	s_delay_alu instid0(SALU_CYCLE_1)
	s_mov_b32 s34, exec_lo
	v_cmpx_lt_u32_e64 v137, v164
	s_cbranch_execz .LBB1256_1083
.LBB1256_1149:                          ;   in Loop: Header=BB1256_979 Depth=2
	global_load_b64 v[20:21], v[38:39], off offset:2048
	s_wait_alu 0xfffe
	s_or_b32 exec_lo, exec_lo, s34
	s_delay_alu instid0(SALU_CYCLE_1)
	s_mov_b32 s34, exec_lo
	v_cmpx_lt_u32_e64 v138, v164
	s_cbranch_execz .LBB1256_1084
.LBB1256_1150:                          ;   in Loop: Header=BB1256_979 Depth=2
	global_load_b64 v[18:19], v[38:39], off offset:2304
	s_wait_alu 0xfffe
	s_or_b32 exec_lo, exec_lo, s34
	s_delay_alu instid0(SALU_CYCLE_1)
	s_mov_b32 s34, exec_lo
	v_cmpx_lt_u32_e64 v139, v164
	s_cbranch_execz .LBB1256_1085
.LBB1256_1151:                          ;   in Loop: Header=BB1256_979 Depth=2
	global_load_b64 v[16:17], v[38:39], off offset:2560
	s_wait_alu 0xfffe
	s_or_b32 exec_lo, exec_lo, s34
	s_delay_alu instid0(SALU_CYCLE_1)
	s_mov_b32 s34, exec_lo
	v_cmpx_lt_u32_e64 v140, v164
	s_cbranch_execz .LBB1256_1086
.LBB1256_1152:                          ;   in Loop: Header=BB1256_979 Depth=2
	global_load_b64 v[14:15], v[38:39], off offset:2816
	s_wait_alu 0xfffe
	s_or_b32 exec_lo, exec_lo, s34
	s_delay_alu instid0(SALU_CYCLE_1)
	s_mov_b32 s34, exec_lo
	v_cmpx_lt_u32_e64 v141, v164
	s_cbranch_execz .LBB1256_1087
.LBB1256_1153:                          ;   in Loop: Header=BB1256_979 Depth=2
	global_load_b64 v[12:13], v[38:39], off offset:3072
	s_wait_alu 0xfffe
	s_or_b32 exec_lo, exec_lo, s34
	s_delay_alu instid0(SALU_CYCLE_1)
	s_mov_b32 s34, exec_lo
	v_cmpx_lt_u32_e64 v142, v164
	s_cbranch_execz .LBB1256_1088
.LBB1256_1154:                          ;   in Loop: Header=BB1256_979 Depth=2
	global_load_b64 v[10:11], v[38:39], off offset:3328
	s_wait_alu 0xfffe
	s_or_b32 exec_lo, exec_lo, s34
	s_delay_alu instid0(SALU_CYCLE_1)
	s_mov_b32 s34, exec_lo
	v_cmpx_lt_u32_e64 v143, v164
	s_cbranch_execz .LBB1256_1089
.LBB1256_1155:                          ;   in Loop: Header=BB1256_979 Depth=2
	global_load_b64 v[8:9], v[38:39], off offset:3584
	s_wait_alu 0xfffe
	s_or_b32 exec_lo, exec_lo, s34
	s_delay_alu instid0(SALU_CYCLE_1)
	s_mov_b32 s34, exec_lo
	v_cmpx_lt_u32_e64 v144, v164
	s_cbranch_execz .LBB1256_1090
.LBB1256_1156:                          ;   in Loop: Header=BB1256_979 Depth=2
	global_load_b64 v[6:7], v[38:39], off offset:3840
	s_wait_alu 0xfffe
	s_or_b32 exec_lo, exec_lo, s34
	s_and_saveexec_b32 s34, vcc_lo
	s_cbranch_execz .LBB1256_1091
.LBB1256_1157:                          ;   in Loop: Header=BB1256_979 Depth=2
	ds_load_b64 v[38:39], v110 offset:1024
	s_wait_dscnt 0x0
	v_cmp_ne_u64_e64 s30, s[42:43], v[38:39]
	s_wait_alu 0xf1ff
	s_delay_alu instid0(VALU_DEP_1) | instskip(SKIP_1) | instid1(VALU_DEP_1)
	v_cndmask_b32_e64 v39, 0x80000000, v39, s30
	v_cndmask_b32_e64 v38, 0, v38, s30
	v_lshrrev_b64 v[38:39], s31, v[38:39]
	s_delay_alu instid0(VALU_DEP_1)
	v_and_b32_e32 v163, s56, v38
	s_wait_alu 0xfffe
	s_or_b32 exec_lo, exec_lo, s34
	s_and_saveexec_b32 s34, s15
	s_cbranch_execz .LBB1256_1092
.LBB1256_1158:                          ;   in Loop: Header=BB1256_979 Depth=2
	ds_load_b64 v[38:39], v110 offset:3072
	s_wait_dscnt 0x0
	v_cmp_ne_u64_e64 s30, s[42:43], v[38:39]
	s_wait_alu 0xf1ff
	s_delay_alu instid0(VALU_DEP_1) | instskip(SKIP_1) | instid1(VALU_DEP_1)
	v_cndmask_b32_e64 v39, 0x80000000, v39, s30
	v_cndmask_b32_e64 v38, 0, v38, s30
	v_lshrrev_b64 v[38:39], s31, v[38:39]
	s_delay_alu instid0(VALU_DEP_1)
	v_and_b32_e32 v162, s56, v38
	s_wait_alu 0xfffe
	s_or_b32 exec_lo, exec_lo, s34
	s_and_saveexec_b32 s34, s16
	s_cbranch_execz .LBB1256_1093
.LBB1256_1159:                          ;   in Loop: Header=BB1256_979 Depth=2
	ds_load_b64 v[38:39], v110 offset:5120
	s_wait_dscnt 0x0
	v_cmp_ne_u64_e64 s30, s[42:43], v[38:39]
	s_wait_alu 0xf1ff
	s_delay_alu instid0(VALU_DEP_1) | instskip(SKIP_1) | instid1(VALU_DEP_1)
	v_cndmask_b32_e64 v39, 0x80000000, v39, s30
	v_cndmask_b32_e64 v38, 0, v38, s30
	v_lshrrev_b64 v[38:39], s31, v[38:39]
	s_delay_alu instid0(VALU_DEP_1)
	v_and_b32_e32 v161, s56, v38
	s_wait_alu 0xfffe
	s_or_b32 exec_lo, exec_lo, s34
	s_and_saveexec_b32 s34, s17
	s_cbranch_execz .LBB1256_1094
.LBB1256_1160:                          ;   in Loop: Header=BB1256_979 Depth=2
	ds_load_b64 v[38:39], v110 offset:7168
	s_wait_dscnt 0x0
	v_cmp_ne_u64_e64 s30, s[42:43], v[38:39]
	s_wait_alu 0xf1ff
	s_delay_alu instid0(VALU_DEP_1) | instskip(SKIP_1) | instid1(VALU_DEP_1)
	v_cndmask_b32_e64 v39, 0x80000000, v39, s30
	v_cndmask_b32_e64 v38, 0, v38, s30
	v_lshrrev_b64 v[38:39], s31, v[38:39]
	s_delay_alu instid0(VALU_DEP_1)
	v_and_b32_e32 v160, s56, v38
	s_wait_alu 0xfffe
	s_or_b32 exec_lo, exec_lo, s34
	s_and_saveexec_b32 s34, s18
	s_cbranch_execz .LBB1256_1095
.LBB1256_1161:                          ;   in Loop: Header=BB1256_979 Depth=2
	ds_load_b64 v[38:39], v110 offset:9216
	s_wait_dscnt 0x0
	v_cmp_ne_u64_e64 s30, s[42:43], v[38:39]
	s_wait_alu 0xf1ff
	s_delay_alu instid0(VALU_DEP_1) | instskip(SKIP_1) | instid1(VALU_DEP_1)
	v_cndmask_b32_e64 v39, 0x80000000, v39, s30
	v_cndmask_b32_e64 v38, 0, v38, s30
	v_lshrrev_b64 v[38:39], s31, v[38:39]
	s_delay_alu instid0(VALU_DEP_1)
	v_and_b32_e32 v159, s56, v38
	s_wait_alu 0xfffe
	s_or_b32 exec_lo, exec_lo, s34
	s_and_saveexec_b32 s34, s19
	s_cbranch_execz .LBB1256_1096
.LBB1256_1162:                          ;   in Loop: Header=BB1256_979 Depth=2
	ds_load_b64 v[38:39], v110 offset:11264
	s_wait_dscnt 0x0
	v_cmp_ne_u64_e64 s30, s[42:43], v[38:39]
	s_wait_alu 0xf1ff
	s_delay_alu instid0(VALU_DEP_1) | instskip(SKIP_1) | instid1(VALU_DEP_1)
	v_cndmask_b32_e64 v39, 0x80000000, v39, s30
	v_cndmask_b32_e64 v38, 0, v38, s30
	v_lshrrev_b64 v[38:39], s31, v[38:39]
	s_delay_alu instid0(VALU_DEP_1)
	v_and_b32_e32 v158, s56, v38
	s_wait_alu 0xfffe
	s_or_b32 exec_lo, exec_lo, s34
	s_and_saveexec_b32 s34, s20
	s_cbranch_execz .LBB1256_1097
.LBB1256_1163:                          ;   in Loop: Header=BB1256_979 Depth=2
	ds_load_b64 v[38:39], v110 offset:13312
	s_wait_dscnt 0x0
	v_cmp_ne_u64_e64 s30, s[42:43], v[38:39]
	s_wait_alu 0xf1ff
	s_delay_alu instid0(VALU_DEP_1) | instskip(SKIP_1) | instid1(VALU_DEP_1)
	v_cndmask_b32_e64 v39, 0x80000000, v39, s30
	v_cndmask_b32_e64 v38, 0, v38, s30
	v_lshrrev_b64 v[38:39], s31, v[38:39]
	s_delay_alu instid0(VALU_DEP_1)
	v_and_b32_e32 v157, s56, v38
	s_wait_alu 0xfffe
	s_or_b32 exec_lo, exec_lo, s34
	s_and_saveexec_b32 s34, s21
	s_cbranch_execz .LBB1256_1098
.LBB1256_1164:                          ;   in Loop: Header=BB1256_979 Depth=2
	ds_load_b64 v[38:39], v110 offset:15360
	s_wait_dscnt 0x0
	v_cmp_ne_u64_e64 s30, s[42:43], v[38:39]
	s_wait_alu 0xf1ff
	s_delay_alu instid0(VALU_DEP_1) | instskip(SKIP_1) | instid1(VALU_DEP_1)
	v_cndmask_b32_e64 v39, 0x80000000, v39, s30
	v_cndmask_b32_e64 v38, 0, v38, s30
	v_lshrrev_b64 v[38:39], s31, v[38:39]
	s_delay_alu instid0(VALU_DEP_1)
	v_and_b32_e32 v156, s56, v38
	s_wait_alu 0xfffe
	s_or_b32 exec_lo, exec_lo, s34
	s_and_saveexec_b32 s34, s22
	s_cbranch_execz .LBB1256_1099
.LBB1256_1165:                          ;   in Loop: Header=BB1256_979 Depth=2
	ds_load_b64 v[38:39], v110 offset:17408
	s_wait_dscnt 0x0
	v_cmp_ne_u64_e64 s30, s[42:43], v[38:39]
	s_wait_alu 0xf1ff
	s_delay_alu instid0(VALU_DEP_1) | instskip(SKIP_1) | instid1(VALU_DEP_1)
	v_cndmask_b32_e64 v39, 0x80000000, v39, s30
	v_cndmask_b32_e64 v38, 0, v38, s30
	v_lshrrev_b64 v[38:39], s31, v[38:39]
	s_delay_alu instid0(VALU_DEP_1)
	v_and_b32_e32 v155, s56, v38
	s_wait_alu 0xfffe
	s_or_b32 exec_lo, exec_lo, s34
	s_and_saveexec_b32 s34, s23
	s_cbranch_execz .LBB1256_1100
.LBB1256_1166:                          ;   in Loop: Header=BB1256_979 Depth=2
	ds_load_b64 v[38:39], v110 offset:19456
	s_wait_dscnt 0x0
	v_cmp_ne_u64_e64 s30, s[42:43], v[38:39]
	s_wait_alu 0xf1ff
	s_delay_alu instid0(VALU_DEP_1) | instskip(SKIP_1) | instid1(VALU_DEP_1)
	v_cndmask_b32_e64 v39, 0x80000000, v39, s30
	v_cndmask_b32_e64 v38, 0, v38, s30
	v_lshrrev_b64 v[38:39], s31, v[38:39]
	s_delay_alu instid0(VALU_DEP_1)
	v_and_b32_e32 v154, s56, v38
	s_wait_alu 0xfffe
	s_or_b32 exec_lo, exec_lo, s34
	s_and_saveexec_b32 s34, s24
	s_cbranch_execz .LBB1256_1101
.LBB1256_1167:                          ;   in Loop: Header=BB1256_979 Depth=2
	ds_load_b64 v[38:39], v110 offset:21504
	s_wait_dscnt 0x0
	v_cmp_ne_u64_e64 s30, s[42:43], v[38:39]
	s_wait_alu 0xf1ff
	s_delay_alu instid0(VALU_DEP_1) | instskip(SKIP_1) | instid1(VALU_DEP_1)
	v_cndmask_b32_e64 v39, 0x80000000, v39, s30
	v_cndmask_b32_e64 v38, 0, v38, s30
	v_lshrrev_b64 v[38:39], s31, v[38:39]
	s_delay_alu instid0(VALU_DEP_1)
	v_and_b32_e32 v153, s56, v38
	s_wait_alu 0xfffe
	s_or_b32 exec_lo, exec_lo, s34
	s_and_saveexec_b32 s34, s25
	s_cbranch_execz .LBB1256_1102
.LBB1256_1168:                          ;   in Loop: Header=BB1256_979 Depth=2
	ds_load_b64 v[38:39], v110 offset:23552
	s_wait_dscnt 0x0
	v_cmp_ne_u64_e64 s30, s[42:43], v[38:39]
	s_wait_alu 0xf1ff
	s_delay_alu instid0(VALU_DEP_1) | instskip(SKIP_1) | instid1(VALU_DEP_1)
	v_cndmask_b32_e64 v39, 0x80000000, v39, s30
	v_cndmask_b32_e64 v38, 0, v38, s30
	v_lshrrev_b64 v[38:39], s31, v[38:39]
	s_delay_alu instid0(VALU_DEP_1)
	v_and_b32_e32 v152, s56, v38
	s_wait_alu 0xfffe
	s_or_b32 exec_lo, exec_lo, s34
	s_and_saveexec_b32 s34, s26
	s_cbranch_execz .LBB1256_1103
.LBB1256_1169:                          ;   in Loop: Header=BB1256_979 Depth=2
	ds_load_b64 v[38:39], v110 offset:25600
	s_wait_dscnt 0x0
	v_cmp_ne_u64_e64 s30, s[42:43], v[38:39]
	s_wait_alu 0xf1ff
	s_delay_alu instid0(VALU_DEP_1) | instskip(SKIP_1) | instid1(VALU_DEP_1)
	v_cndmask_b32_e64 v39, 0x80000000, v39, s30
	v_cndmask_b32_e64 v38, 0, v38, s30
	v_lshrrev_b64 v[38:39], s31, v[38:39]
	s_delay_alu instid0(VALU_DEP_1)
	v_and_b32_e32 v151, s56, v38
	s_wait_alu 0xfffe
	s_or_b32 exec_lo, exec_lo, s34
	s_and_saveexec_b32 s34, s27
	s_cbranch_execz .LBB1256_1104
.LBB1256_1170:                          ;   in Loop: Header=BB1256_979 Depth=2
	ds_load_b64 v[38:39], v110 offset:27648
	s_wait_dscnt 0x0
	v_cmp_ne_u64_e64 s30, s[42:43], v[38:39]
	s_wait_alu 0xf1ff
	s_delay_alu instid0(VALU_DEP_1) | instskip(SKIP_1) | instid1(VALU_DEP_1)
	v_cndmask_b32_e64 v39, 0x80000000, v39, s30
	v_cndmask_b32_e64 v38, 0, v38, s30
	v_lshrrev_b64 v[38:39], s31, v[38:39]
	s_delay_alu instid0(VALU_DEP_1)
	v_and_b32_e32 v150, s56, v38
	s_wait_alu 0xfffe
	s_or_b32 exec_lo, exec_lo, s34
	s_and_saveexec_b32 s34, s28
	s_cbranch_execz .LBB1256_1105
.LBB1256_1171:                          ;   in Loop: Header=BB1256_979 Depth=2
	ds_load_b64 v[38:39], v110 offset:29696
	s_wait_dscnt 0x0
	v_cmp_ne_u64_e64 s30, s[42:43], v[38:39]
	s_wait_alu 0xf1ff
	s_delay_alu instid0(VALU_DEP_1) | instskip(SKIP_1) | instid1(VALU_DEP_1)
	v_cndmask_b32_e64 v39, 0x80000000, v39, s30
	v_cndmask_b32_e64 v38, 0, v38, s30
	v_lshrrev_b64 v[38:39], s31, v[38:39]
	s_delay_alu instid0(VALU_DEP_1)
	v_and_b32_e32 v149, s56, v38
	s_wait_alu 0xfffe
	s_or_b32 exec_lo, exec_lo, s34
	s_and_saveexec_b32 s34, s29
	s_cbranch_execnz .LBB1256_1106
	s_branch .LBB1256_1107
.LBB1256_1172:                          ;   in Loop: Header=BB1256_979 Depth=2
	v_lshlrev_b32_e32 v2, 2, v163
	ds_load_b32 v2, v2
	ds_load_b64 v[38:39], v110 offset:1024
	s_wait_dscnt 0x1
	v_add_nc_u32_e32 v2, v2, v1
	s_delay_alu instid0(VALU_DEP_1) | instskip(NEXT) | instid1(VALU_DEP_1)
	v_lshlrev_b64_e32 v[40:41], 3, v[2:3]
	v_add_co_u32 v40, vcc_lo, s46, v40
	s_wait_alu 0xfffd
	s_delay_alu instid0(VALU_DEP_2)
	v_add_co_ci_u32_e64 v41, null, s47, v41, vcc_lo
	s_wait_dscnt 0x0
	global_store_b64 v[40:41], v[38:39], off
	s_wait_alu 0xfffe
	s_or_b32 exec_lo, exec_lo, s30
	s_and_saveexec_b32 s30, s15
	s_cbranch_execz .LBB1256_1109
.LBB1256_1173:                          ;   in Loop: Header=BB1256_979 Depth=2
	v_lshlrev_b32_e32 v2, 2, v162
	ds_load_b32 v2, v2
	ds_load_b64 v[38:39], v110 offset:3072
	s_wait_dscnt 0x1
	v_add_nc_u32_e32 v2, v2, v79
	s_delay_alu instid0(VALU_DEP_1) | instskip(NEXT) | instid1(VALU_DEP_1)
	v_lshlrev_b64_e32 v[40:41], 3, v[2:3]
	v_add_co_u32 v40, vcc_lo, s46, v40
	s_wait_alu 0xfffd
	s_delay_alu instid0(VALU_DEP_2)
	v_add_co_ci_u32_e64 v41, null, s47, v41, vcc_lo
	s_wait_dscnt 0x0
	global_store_b64 v[40:41], v[38:39], off
	s_wait_alu 0xfffe
	s_or_b32 exec_lo, exec_lo, s30
	s_and_saveexec_b32 s15, s16
	s_cbranch_execz .LBB1256_1110
.LBB1256_1174:                          ;   in Loop: Header=BB1256_979 Depth=2
	v_lshlrev_b32_e32 v2, 2, v161
	ds_load_b32 v2, v2
	ds_load_b64 v[38:39], v110 offset:5120
	s_wait_dscnt 0x1
	v_add_nc_u32_e32 v2, v2, v80
	s_delay_alu instid0(VALU_DEP_1) | instskip(NEXT) | instid1(VALU_DEP_1)
	v_lshlrev_b64_e32 v[40:41], 3, v[2:3]
	v_add_co_u32 v40, vcc_lo, s46, v40
	s_wait_alu 0xfffd
	s_delay_alu instid0(VALU_DEP_2)
	v_add_co_ci_u32_e64 v41, null, s47, v41, vcc_lo
	s_wait_dscnt 0x0
	global_store_b64 v[40:41], v[38:39], off
	s_wait_alu 0xfffe
	s_or_b32 exec_lo, exec_lo, s15
	s_and_saveexec_b32 s15, s17
	s_cbranch_execz .LBB1256_1111
.LBB1256_1175:                          ;   in Loop: Header=BB1256_979 Depth=2
	v_lshlrev_b32_e32 v2, 2, v160
	ds_load_b32 v2, v2
	ds_load_b64 v[38:39], v110 offset:7168
	s_wait_dscnt 0x1
	v_add_nc_u32_e32 v2, v2, v81
	s_delay_alu instid0(VALU_DEP_1) | instskip(NEXT) | instid1(VALU_DEP_1)
	v_lshlrev_b64_e32 v[40:41], 3, v[2:3]
	v_add_co_u32 v40, vcc_lo, s46, v40
	s_wait_alu 0xfffd
	s_delay_alu instid0(VALU_DEP_2)
	v_add_co_ci_u32_e64 v41, null, s47, v41, vcc_lo
	s_wait_dscnt 0x0
	global_store_b64 v[40:41], v[38:39], off
	s_wait_alu 0xfffe
	s_or_b32 exec_lo, exec_lo, s15
	s_and_saveexec_b32 s15, s18
	s_cbranch_execz .LBB1256_1112
.LBB1256_1176:                          ;   in Loop: Header=BB1256_979 Depth=2
	v_lshlrev_b32_e32 v2, 2, v159
	ds_load_b32 v2, v2
	ds_load_b64 v[38:39], v110 offset:9216
	s_wait_dscnt 0x1
	v_add_nc_u32_e32 v2, v2, v84
	s_delay_alu instid0(VALU_DEP_1) | instskip(NEXT) | instid1(VALU_DEP_1)
	v_lshlrev_b64_e32 v[40:41], 3, v[2:3]
	v_add_co_u32 v40, vcc_lo, s46, v40
	s_wait_alu 0xfffd
	s_delay_alu instid0(VALU_DEP_2)
	v_add_co_ci_u32_e64 v41, null, s47, v41, vcc_lo
	s_wait_dscnt 0x0
	global_store_b64 v[40:41], v[38:39], off
	s_wait_alu 0xfffe
	s_or_b32 exec_lo, exec_lo, s15
	s_and_saveexec_b32 s15, s19
	s_cbranch_execz .LBB1256_1113
.LBB1256_1177:                          ;   in Loop: Header=BB1256_979 Depth=2
	v_lshlrev_b32_e32 v2, 2, v158
	ds_load_b32 v2, v2
	ds_load_b64 v[38:39], v110 offset:11264
	s_wait_dscnt 0x1
	v_add_nc_u32_e32 v2, v2, v85
	s_delay_alu instid0(VALU_DEP_1) | instskip(NEXT) | instid1(VALU_DEP_1)
	v_lshlrev_b64_e32 v[40:41], 3, v[2:3]
	v_add_co_u32 v40, vcc_lo, s46, v40
	s_wait_alu 0xfffd
	s_delay_alu instid0(VALU_DEP_2)
	v_add_co_ci_u32_e64 v41, null, s47, v41, vcc_lo
	s_wait_dscnt 0x0
	global_store_b64 v[40:41], v[38:39], off
	s_wait_alu 0xfffe
	s_or_b32 exec_lo, exec_lo, s15
	s_and_saveexec_b32 s15, s20
	s_cbranch_execz .LBB1256_1114
.LBB1256_1178:                          ;   in Loop: Header=BB1256_979 Depth=2
	v_lshlrev_b32_e32 v2, 2, v157
	ds_load_b32 v2, v2
	ds_load_b64 v[38:39], v110 offset:13312
	s_wait_dscnt 0x1
	v_add_nc_u32_e32 v2, v2, v86
	s_delay_alu instid0(VALU_DEP_1) | instskip(NEXT) | instid1(VALU_DEP_1)
	v_lshlrev_b64_e32 v[40:41], 3, v[2:3]
	v_add_co_u32 v40, vcc_lo, s46, v40
	s_wait_alu 0xfffd
	s_delay_alu instid0(VALU_DEP_2)
	v_add_co_ci_u32_e64 v41, null, s47, v41, vcc_lo
	s_wait_dscnt 0x0
	global_store_b64 v[40:41], v[38:39], off
	s_wait_alu 0xfffe
	s_or_b32 exec_lo, exec_lo, s15
	s_and_saveexec_b32 s15, s21
	s_cbranch_execz .LBB1256_1115
.LBB1256_1179:                          ;   in Loop: Header=BB1256_979 Depth=2
	v_lshlrev_b32_e32 v2, 2, v156
	ds_load_b32 v2, v2
	ds_load_b64 v[38:39], v110 offset:15360
	s_wait_dscnt 0x1
	v_add_nc_u32_e32 v2, v2, v87
	s_delay_alu instid0(VALU_DEP_1) | instskip(NEXT) | instid1(VALU_DEP_1)
	v_lshlrev_b64_e32 v[40:41], 3, v[2:3]
	v_add_co_u32 v40, vcc_lo, s46, v40
	s_wait_alu 0xfffd
	s_delay_alu instid0(VALU_DEP_2)
	v_add_co_ci_u32_e64 v41, null, s47, v41, vcc_lo
	s_wait_dscnt 0x0
	global_store_b64 v[40:41], v[38:39], off
	s_wait_alu 0xfffe
	s_or_b32 exec_lo, exec_lo, s15
	s_and_saveexec_b32 s15, s22
	s_cbranch_execz .LBB1256_1116
.LBB1256_1180:                          ;   in Loop: Header=BB1256_979 Depth=2
	v_lshlrev_b32_e32 v2, 2, v155
	ds_load_b32 v2, v2
	ds_load_b64 v[38:39], v110 offset:17408
	s_wait_dscnt 0x1
	v_add_nc_u32_e32 v2, v2, v88
	s_delay_alu instid0(VALU_DEP_1) | instskip(NEXT) | instid1(VALU_DEP_1)
	v_lshlrev_b64_e32 v[40:41], 3, v[2:3]
	v_add_co_u32 v40, vcc_lo, s46, v40
	s_wait_alu 0xfffd
	s_delay_alu instid0(VALU_DEP_2)
	v_add_co_ci_u32_e64 v41, null, s47, v41, vcc_lo
	s_wait_dscnt 0x0
	global_store_b64 v[40:41], v[38:39], off
	s_wait_alu 0xfffe
	s_or_b32 exec_lo, exec_lo, s15
	s_and_saveexec_b32 s15, s23
	s_cbranch_execz .LBB1256_1117
.LBB1256_1181:                          ;   in Loop: Header=BB1256_979 Depth=2
	v_lshlrev_b32_e32 v2, 2, v154
	ds_load_b32 v2, v2
	ds_load_b64 v[38:39], v110 offset:19456
	s_wait_dscnt 0x1
	v_add_nc_u32_e32 v2, v2, v89
	s_delay_alu instid0(VALU_DEP_1) | instskip(NEXT) | instid1(VALU_DEP_1)
	v_lshlrev_b64_e32 v[40:41], 3, v[2:3]
	v_add_co_u32 v40, vcc_lo, s46, v40
	s_wait_alu 0xfffd
	s_delay_alu instid0(VALU_DEP_2)
	v_add_co_ci_u32_e64 v41, null, s47, v41, vcc_lo
	s_wait_dscnt 0x0
	global_store_b64 v[40:41], v[38:39], off
	s_wait_alu 0xfffe
	s_or_b32 exec_lo, exec_lo, s15
	s_and_saveexec_b32 s15, s24
	s_cbranch_execz .LBB1256_1118
.LBB1256_1182:                          ;   in Loop: Header=BB1256_979 Depth=2
	v_lshlrev_b32_e32 v2, 2, v153
	ds_load_b32 v2, v2
	ds_load_b64 v[38:39], v110 offset:21504
	s_wait_dscnt 0x1
	v_add_nc_u32_e32 v2, v2, v90
	s_delay_alu instid0(VALU_DEP_1) | instskip(NEXT) | instid1(VALU_DEP_1)
	v_lshlrev_b64_e32 v[40:41], 3, v[2:3]
	v_add_co_u32 v40, vcc_lo, s46, v40
	s_wait_alu 0xfffd
	s_delay_alu instid0(VALU_DEP_2)
	v_add_co_ci_u32_e64 v41, null, s47, v41, vcc_lo
	s_wait_dscnt 0x0
	global_store_b64 v[40:41], v[38:39], off
	s_wait_alu 0xfffe
	s_or_b32 exec_lo, exec_lo, s15
	s_and_saveexec_b32 s15, s25
	s_cbranch_execz .LBB1256_1119
.LBB1256_1183:                          ;   in Loop: Header=BB1256_979 Depth=2
	v_lshlrev_b32_e32 v2, 2, v152
	ds_load_b32 v2, v2
	ds_load_b64 v[38:39], v110 offset:23552
	s_wait_dscnt 0x1
	v_add_nc_u32_e32 v2, v2, v91
	s_delay_alu instid0(VALU_DEP_1) | instskip(NEXT) | instid1(VALU_DEP_1)
	v_lshlrev_b64_e32 v[40:41], 3, v[2:3]
	v_add_co_u32 v40, vcc_lo, s46, v40
	s_wait_alu 0xfffd
	s_delay_alu instid0(VALU_DEP_2)
	v_add_co_ci_u32_e64 v41, null, s47, v41, vcc_lo
	s_wait_dscnt 0x0
	global_store_b64 v[40:41], v[38:39], off
	s_wait_alu 0xfffe
	s_or_b32 exec_lo, exec_lo, s15
	s_and_saveexec_b32 s15, s26
	s_cbranch_execz .LBB1256_1120
.LBB1256_1184:                          ;   in Loop: Header=BB1256_979 Depth=2
	v_lshlrev_b32_e32 v2, 2, v151
	ds_load_b32 v2, v2
	ds_load_b64 v[38:39], v110 offset:25600
	s_wait_dscnt 0x1
	v_add_nc_u32_e32 v2, v2, v92
	s_delay_alu instid0(VALU_DEP_1) | instskip(NEXT) | instid1(VALU_DEP_1)
	v_lshlrev_b64_e32 v[40:41], 3, v[2:3]
	v_add_co_u32 v40, vcc_lo, s46, v40
	s_wait_alu 0xfffd
	s_delay_alu instid0(VALU_DEP_2)
	v_add_co_ci_u32_e64 v41, null, s47, v41, vcc_lo
	s_wait_dscnt 0x0
	global_store_b64 v[40:41], v[38:39], off
	s_wait_alu 0xfffe
	s_or_b32 exec_lo, exec_lo, s15
	s_and_saveexec_b32 s15, s27
	s_cbranch_execz .LBB1256_1121
.LBB1256_1185:                          ;   in Loop: Header=BB1256_979 Depth=2
	v_lshlrev_b32_e32 v2, 2, v150
	ds_load_b32 v2, v2
	ds_load_b64 v[38:39], v110 offset:27648
	s_wait_dscnt 0x1
	v_add_nc_u32_e32 v2, v2, v93
	s_delay_alu instid0(VALU_DEP_1) | instskip(NEXT) | instid1(VALU_DEP_1)
	v_lshlrev_b64_e32 v[40:41], 3, v[2:3]
	v_add_co_u32 v40, vcc_lo, s46, v40
	s_wait_alu 0xfffd
	s_delay_alu instid0(VALU_DEP_2)
	v_add_co_ci_u32_e64 v41, null, s47, v41, vcc_lo
	s_wait_dscnt 0x0
	global_store_b64 v[40:41], v[38:39], off
	s_wait_alu 0xfffe
	s_or_b32 exec_lo, exec_lo, s15
	s_and_saveexec_b32 s15, s28
	s_cbranch_execz .LBB1256_1122
.LBB1256_1186:                          ;   in Loop: Header=BB1256_979 Depth=2
	v_lshlrev_b32_e32 v2, 2, v149
	ds_load_b32 v2, v2
	ds_load_b64 v[38:39], v110 offset:29696
	s_wait_dscnt 0x1
	v_add_nc_u32_e32 v2, v2, v94
	s_delay_alu instid0(VALU_DEP_1) | instskip(NEXT) | instid1(VALU_DEP_1)
	v_lshlrev_b64_e32 v[40:41], 3, v[2:3]
	v_add_co_u32 v40, vcc_lo, s46, v40
	s_wait_alu 0xfffd
	s_delay_alu instid0(VALU_DEP_2)
	v_add_co_ci_u32_e64 v41, null, s47, v41, vcc_lo
	s_wait_dscnt 0x0
	global_store_b64 v[40:41], v[38:39], off
	s_wait_alu 0xfffe
	s_or_b32 exec_lo, exec_lo, s15
	s_and_saveexec_b32 s15, s29
	s_cbranch_execnz .LBB1256_1123
	s_branch .LBB1256_1124
.LBB1256_1187:
	s_endpgm
	.section	.rodata,"a",@progbits
	.p2align	6, 0x0
	.amdhsa_kernel _ZN7rocprim17ROCPRIM_400000_NS6detail17trampoline_kernelINS0_14default_configENS1_36segmented_radix_sort_config_selectorIdlEEZNS1_25segmented_radix_sort_implIS3_Lb0EPKdPdPKlPlN2at6native12_GLOBAL__N_18offset_tEEE10hipError_tPvRmT1_PNSt15iterator_traitsISK_E10value_typeET2_T3_PNSL_ISQ_E10value_typeET4_jRbjT5_SW_jjP12ihipStream_tbEUlT_E2_NS1_11comp_targetILNS1_3genE10ELNS1_11target_archE1201ELNS1_3gpuE5ELNS1_3repE0EEENS1_30default_config_static_selectorELNS0_4arch9wavefront6targetE0EEEvSK_
		.amdhsa_group_segment_fixed_size 33824
		.amdhsa_private_segment_fixed_size 176
		.amdhsa_kernarg_size 336
		.amdhsa_user_sgpr_count 2
		.amdhsa_user_sgpr_dispatch_ptr 0
		.amdhsa_user_sgpr_queue_ptr 0
		.amdhsa_user_sgpr_kernarg_segment_ptr 1
		.amdhsa_user_sgpr_dispatch_id 0
		.amdhsa_user_sgpr_private_segment_size 0
		.amdhsa_wavefront_size32 1
		.amdhsa_uses_dynamic_stack 0
		.amdhsa_enable_private_segment 1
		.amdhsa_system_sgpr_workgroup_id_x 1
		.amdhsa_system_sgpr_workgroup_id_y 1
		.amdhsa_system_sgpr_workgroup_id_z 0
		.amdhsa_system_sgpr_workgroup_info 0
		.amdhsa_system_vgpr_workitem_id 2
		.amdhsa_next_free_vgpr 248
		.amdhsa_next_free_sgpr 62
		.amdhsa_reserve_vcc 1
		.amdhsa_float_round_mode_32 0
		.amdhsa_float_round_mode_16_64 0
		.amdhsa_float_denorm_mode_32 3
		.amdhsa_float_denorm_mode_16_64 3
		.amdhsa_fp16_overflow 0
		.amdhsa_workgroup_processor_mode 1
		.amdhsa_memory_ordered 1
		.amdhsa_forward_progress 1
		.amdhsa_inst_pref_size 255
		.amdhsa_round_robin_scheduling 0
		.amdhsa_exception_fp_ieee_invalid_op 0
		.amdhsa_exception_fp_denorm_src 0
		.amdhsa_exception_fp_ieee_div_zero 0
		.amdhsa_exception_fp_ieee_overflow 0
		.amdhsa_exception_fp_ieee_underflow 0
		.amdhsa_exception_fp_ieee_inexact 0
		.amdhsa_exception_int_div_zero 0
	.end_amdhsa_kernel
	.section	.text._ZN7rocprim17ROCPRIM_400000_NS6detail17trampoline_kernelINS0_14default_configENS1_36segmented_radix_sort_config_selectorIdlEEZNS1_25segmented_radix_sort_implIS3_Lb0EPKdPdPKlPlN2at6native12_GLOBAL__N_18offset_tEEE10hipError_tPvRmT1_PNSt15iterator_traitsISK_E10value_typeET2_T3_PNSL_ISQ_E10value_typeET4_jRbjT5_SW_jjP12ihipStream_tbEUlT_E2_NS1_11comp_targetILNS1_3genE10ELNS1_11target_archE1201ELNS1_3gpuE5ELNS1_3repE0EEENS1_30default_config_static_selectorELNS0_4arch9wavefront6targetE0EEEvSK_,"axG",@progbits,_ZN7rocprim17ROCPRIM_400000_NS6detail17trampoline_kernelINS0_14default_configENS1_36segmented_radix_sort_config_selectorIdlEEZNS1_25segmented_radix_sort_implIS3_Lb0EPKdPdPKlPlN2at6native12_GLOBAL__N_18offset_tEEE10hipError_tPvRmT1_PNSt15iterator_traitsISK_E10value_typeET2_T3_PNSL_ISQ_E10value_typeET4_jRbjT5_SW_jjP12ihipStream_tbEUlT_E2_NS1_11comp_targetILNS1_3genE10ELNS1_11target_archE1201ELNS1_3gpuE5ELNS1_3repE0EEENS1_30default_config_static_selectorELNS0_4arch9wavefront6targetE0EEEvSK_,comdat
.Lfunc_end1256:
	.size	_ZN7rocprim17ROCPRIM_400000_NS6detail17trampoline_kernelINS0_14default_configENS1_36segmented_radix_sort_config_selectorIdlEEZNS1_25segmented_radix_sort_implIS3_Lb0EPKdPdPKlPlN2at6native12_GLOBAL__N_18offset_tEEE10hipError_tPvRmT1_PNSt15iterator_traitsISK_E10value_typeET2_T3_PNSL_ISQ_E10value_typeET4_jRbjT5_SW_jjP12ihipStream_tbEUlT_E2_NS1_11comp_targetILNS1_3genE10ELNS1_11target_archE1201ELNS1_3gpuE5ELNS1_3repE0EEENS1_30default_config_static_selectorELNS0_4arch9wavefront6targetE0EEEvSK_, .Lfunc_end1256-_ZN7rocprim17ROCPRIM_400000_NS6detail17trampoline_kernelINS0_14default_configENS1_36segmented_radix_sort_config_selectorIdlEEZNS1_25segmented_radix_sort_implIS3_Lb0EPKdPdPKlPlN2at6native12_GLOBAL__N_18offset_tEEE10hipError_tPvRmT1_PNSt15iterator_traitsISK_E10value_typeET2_T3_PNSL_ISQ_E10value_typeET4_jRbjT5_SW_jjP12ihipStream_tbEUlT_E2_NS1_11comp_targetILNS1_3genE10ELNS1_11target_archE1201ELNS1_3gpuE5ELNS1_3repE0EEENS1_30default_config_static_selectorELNS0_4arch9wavefront6targetE0EEEvSK_
                                        ; -- End function
	.set _ZN7rocprim17ROCPRIM_400000_NS6detail17trampoline_kernelINS0_14default_configENS1_36segmented_radix_sort_config_selectorIdlEEZNS1_25segmented_radix_sort_implIS3_Lb0EPKdPdPKlPlN2at6native12_GLOBAL__N_18offset_tEEE10hipError_tPvRmT1_PNSt15iterator_traitsISK_E10value_typeET2_T3_PNSL_ISQ_E10value_typeET4_jRbjT5_SW_jjP12ihipStream_tbEUlT_E2_NS1_11comp_targetILNS1_3genE10ELNS1_11target_archE1201ELNS1_3gpuE5ELNS1_3repE0EEENS1_30default_config_static_selectorELNS0_4arch9wavefront6targetE0EEEvSK_.num_vgpr, max(218, .L_ZN7rocprim17ROCPRIM_400000_NS6detail26segmented_warp_sort_helperINS1_20WarpSortHelperConfigILj8ELj4ELj256EEEdlLi256ELb0EvE4sortIPKdPdPKlPlEEvT_S9_T0_T1_SC_T2_bjjjjRNS5_12storage_typeE.num_vgpr, .L_ZN7rocprim17ROCPRIM_400000_NS6detail40segmented_radix_sort_single_block_helperIdlLj256ELj16ELb0EE4sortIPKdPdPKlPlEEbT_T0_T1_T2_jjjjRNS3_12storage_typeE.num_vgpr)
	.set _ZN7rocprim17ROCPRIM_400000_NS6detail17trampoline_kernelINS0_14default_configENS1_36segmented_radix_sort_config_selectorIdlEEZNS1_25segmented_radix_sort_implIS3_Lb0EPKdPdPKlPlN2at6native12_GLOBAL__N_18offset_tEEE10hipError_tPvRmT1_PNSt15iterator_traitsISK_E10value_typeET2_T3_PNSL_ISQ_E10value_typeET4_jRbjT5_SW_jjP12ihipStream_tbEUlT_E2_NS1_11comp_targetILNS1_3genE10ELNS1_11target_archE1201ELNS1_3gpuE5ELNS1_3repE0EEENS1_30default_config_static_selectorELNS0_4arch9wavefront6targetE0EEEvSK_.num_agpr, max(0, .L_ZN7rocprim17ROCPRIM_400000_NS6detail26segmented_warp_sort_helperINS1_20WarpSortHelperConfigILj8ELj4ELj256EEEdlLi256ELb0EvE4sortIPKdPdPKlPlEEvT_S9_T0_T1_SC_T2_bjjjjRNS5_12storage_typeE.num_agpr, .L_ZN7rocprim17ROCPRIM_400000_NS6detail40segmented_radix_sort_single_block_helperIdlLj256ELj16ELb0EE4sortIPKdPdPKlPlEEbT_T0_T1_T2_jjjjRNS3_12storage_typeE.num_agpr)
	.set _ZN7rocprim17ROCPRIM_400000_NS6detail17trampoline_kernelINS0_14default_configENS1_36segmented_radix_sort_config_selectorIdlEEZNS1_25segmented_radix_sort_implIS3_Lb0EPKdPdPKlPlN2at6native12_GLOBAL__N_18offset_tEEE10hipError_tPvRmT1_PNSt15iterator_traitsISK_E10value_typeET2_T3_PNSL_ISQ_E10value_typeET4_jRbjT5_SW_jjP12ihipStream_tbEUlT_E2_NS1_11comp_targetILNS1_3genE10ELNS1_11target_archE1201ELNS1_3gpuE5ELNS1_3repE0EEENS1_30default_config_static_selectorELNS0_4arch9wavefront6targetE0EEEvSK_.numbered_sgpr, max(62, .L_ZN7rocprim17ROCPRIM_400000_NS6detail26segmented_warp_sort_helperINS1_20WarpSortHelperConfigILj8ELj4ELj256EEEdlLi256ELb0EvE4sortIPKdPdPKlPlEEvT_S9_T0_T1_SC_T2_bjjjjRNS5_12storage_typeE.numbered_sgpr, .L_ZN7rocprim17ROCPRIM_400000_NS6detail40segmented_radix_sort_single_block_helperIdlLj256ELj16ELb0EE4sortIPKdPdPKlPlEEbT_T0_T1_T2_jjjjRNS3_12storage_typeE.numbered_sgpr)
	.set _ZN7rocprim17ROCPRIM_400000_NS6detail17trampoline_kernelINS0_14default_configENS1_36segmented_radix_sort_config_selectorIdlEEZNS1_25segmented_radix_sort_implIS3_Lb0EPKdPdPKlPlN2at6native12_GLOBAL__N_18offset_tEEE10hipError_tPvRmT1_PNSt15iterator_traitsISK_E10value_typeET2_T3_PNSL_ISQ_E10value_typeET4_jRbjT5_SW_jjP12ihipStream_tbEUlT_E2_NS1_11comp_targetILNS1_3genE10ELNS1_11target_archE1201ELNS1_3gpuE5ELNS1_3repE0EEENS1_30default_config_static_selectorELNS0_4arch9wavefront6targetE0EEEvSK_.num_named_barrier, max(0, .L_ZN7rocprim17ROCPRIM_400000_NS6detail26segmented_warp_sort_helperINS1_20WarpSortHelperConfigILj8ELj4ELj256EEEdlLi256ELb0EvE4sortIPKdPdPKlPlEEvT_S9_T0_T1_SC_T2_bjjjjRNS5_12storage_typeE.num_named_barrier, .L_ZN7rocprim17ROCPRIM_400000_NS6detail40segmented_radix_sort_single_block_helperIdlLj256ELj16ELb0EE4sortIPKdPdPKlPlEEbT_T0_T1_T2_jjjjRNS3_12storage_typeE.num_named_barrier)
	.set _ZN7rocprim17ROCPRIM_400000_NS6detail17trampoline_kernelINS0_14default_configENS1_36segmented_radix_sort_config_selectorIdlEEZNS1_25segmented_radix_sort_implIS3_Lb0EPKdPdPKlPlN2at6native12_GLOBAL__N_18offset_tEEE10hipError_tPvRmT1_PNSt15iterator_traitsISK_E10value_typeET2_T3_PNSL_ISQ_E10value_typeET4_jRbjT5_SW_jjP12ihipStream_tbEUlT_E2_NS1_11comp_targetILNS1_3genE10ELNS1_11target_archE1201ELNS1_3gpuE5ELNS1_3repE0EEENS1_30default_config_static_selectorELNS0_4arch9wavefront6targetE0EEEvSK_.private_seg_size, 0+max(.L_ZN7rocprim17ROCPRIM_400000_NS6detail26segmented_warp_sort_helperINS1_20WarpSortHelperConfigILj8ELj4ELj256EEEdlLi256ELb0EvE4sortIPKdPdPKlPlEEvT_S9_T0_T1_SC_T2_bjjjjRNS5_12storage_typeE.private_seg_size, .L_ZN7rocprim17ROCPRIM_400000_NS6detail40segmented_radix_sort_single_block_helperIdlLj256ELj16ELb0EE4sortIPKdPdPKlPlEEbT_T0_T1_T2_jjjjRNS3_12storage_typeE.private_seg_size)
	.set _ZN7rocprim17ROCPRIM_400000_NS6detail17trampoline_kernelINS0_14default_configENS1_36segmented_radix_sort_config_selectorIdlEEZNS1_25segmented_radix_sort_implIS3_Lb0EPKdPdPKlPlN2at6native12_GLOBAL__N_18offset_tEEE10hipError_tPvRmT1_PNSt15iterator_traitsISK_E10value_typeET2_T3_PNSL_ISQ_E10value_typeET4_jRbjT5_SW_jjP12ihipStream_tbEUlT_E2_NS1_11comp_targetILNS1_3genE10ELNS1_11target_archE1201ELNS1_3gpuE5ELNS1_3repE0EEENS1_30default_config_static_selectorELNS0_4arch9wavefront6targetE0EEEvSK_.uses_vcc, or(1, .L_ZN7rocprim17ROCPRIM_400000_NS6detail26segmented_warp_sort_helperINS1_20WarpSortHelperConfigILj8ELj4ELj256EEEdlLi256ELb0EvE4sortIPKdPdPKlPlEEvT_S9_T0_T1_SC_T2_bjjjjRNS5_12storage_typeE.uses_vcc, .L_ZN7rocprim17ROCPRIM_400000_NS6detail40segmented_radix_sort_single_block_helperIdlLj256ELj16ELb0EE4sortIPKdPdPKlPlEEbT_T0_T1_T2_jjjjRNS3_12storage_typeE.uses_vcc)
	.set _ZN7rocprim17ROCPRIM_400000_NS6detail17trampoline_kernelINS0_14default_configENS1_36segmented_radix_sort_config_selectorIdlEEZNS1_25segmented_radix_sort_implIS3_Lb0EPKdPdPKlPlN2at6native12_GLOBAL__N_18offset_tEEE10hipError_tPvRmT1_PNSt15iterator_traitsISK_E10value_typeET2_T3_PNSL_ISQ_E10value_typeET4_jRbjT5_SW_jjP12ihipStream_tbEUlT_E2_NS1_11comp_targetILNS1_3genE10ELNS1_11target_archE1201ELNS1_3gpuE5ELNS1_3repE0EEENS1_30default_config_static_selectorELNS0_4arch9wavefront6targetE0EEEvSK_.uses_flat_scratch, or(0, .L_ZN7rocprim17ROCPRIM_400000_NS6detail26segmented_warp_sort_helperINS1_20WarpSortHelperConfigILj8ELj4ELj256EEEdlLi256ELb0EvE4sortIPKdPdPKlPlEEvT_S9_T0_T1_SC_T2_bjjjjRNS5_12storage_typeE.uses_flat_scratch, .L_ZN7rocprim17ROCPRIM_400000_NS6detail40segmented_radix_sort_single_block_helperIdlLj256ELj16ELb0EE4sortIPKdPdPKlPlEEbT_T0_T1_T2_jjjjRNS3_12storage_typeE.uses_flat_scratch)
	.set _ZN7rocprim17ROCPRIM_400000_NS6detail17trampoline_kernelINS0_14default_configENS1_36segmented_radix_sort_config_selectorIdlEEZNS1_25segmented_radix_sort_implIS3_Lb0EPKdPdPKlPlN2at6native12_GLOBAL__N_18offset_tEEE10hipError_tPvRmT1_PNSt15iterator_traitsISK_E10value_typeET2_T3_PNSL_ISQ_E10value_typeET4_jRbjT5_SW_jjP12ihipStream_tbEUlT_E2_NS1_11comp_targetILNS1_3genE10ELNS1_11target_archE1201ELNS1_3gpuE5ELNS1_3repE0EEENS1_30default_config_static_selectorELNS0_4arch9wavefront6targetE0EEEvSK_.has_dyn_sized_stack, or(0, .L_ZN7rocprim17ROCPRIM_400000_NS6detail26segmented_warp_sort_helperINS1_20WarpSortHelperConfigILj8ELj4ELj256EEEdlLi256ELb0EvE4sortIPKdPdPKlPlEEvT_S9_T0_T1_SC_T2_bjjjjRNS5_12storage_typeE.has_dyn_sized_stack, .L_ZN7rocprim17ROCPRIM_400000_NS6detail40segmented_radix_sort_single_block_helperIdlLj256ELj16ELb0EE4sortIPKdPdPKlPlEEbT_T0_T1_T2_jjjjRNS3_12storage_typeE.has_dyn_sized_stack)
	.set _ZN7rocprim17ROCPRIM_400000_NS6detail17trampoline_kernelINS0_14default_configENS1_36segmented_radix_sort_config_selectorIdlEEZNS1_25segmented_radix_sort_implIS3_Lb0EPKdPdPKlPlN2at6native12_GLOBAL__N_18offset_tEEE10hipError_tPvRmT1_PNSt15iterator_traitsISK_E10value_typeET2_T3_PNSL_ISQ_E10value_typeET4_jRbjT5_SW_jjP12ihipStream_tbEUlT_E2_NS1_11comp_targetILNS1_3genE10ELNS1_11target_archE1201ELNS1_3gpuE5ELNS1_3repE0EEENS1_30default_config_static_selectorELNS0_4arch9wavefront6targetE0EEEvSK_.has_recursion, or(0, .L_ZN7rocprim17ROCPRIM_400000_NS6detail26segmented_warp_sort_helperINS1_20WarpSortHelperConfigILj8ELj4ELj256EEEdlLi256ELb0EvE4sortIPKdPdPKlPlEEvT_S9_T0_T1_SC_T2_bjjjjRNS5_12storage_typeE.has_recursion, .L_ZN7rocprim17ROCPRIM_400000_NS6detail40segmented_radix_sort_single_block_helperIdlLj256ELj16ELb0EE4sortIPKdPdPKlPlEEbT_T0_T1_T2_jjjjRNS3_12storage_typeE.has_recursion)
	.set _ZN7rocprim17ROCPRIM_400000_NS6detail17trampoline_kernelINS0_14default_configENS1_36segmented_radix_sort_config_selectorIdlEEZNS1_25segmented_radix_sort_implIS3_Lb0EPKdPdPKlPlN2at6native12_GLOBAL__N_18offset_tEEE10hipError_tPvRmT1_PNSt15iterator_traitsISK_E10value_typeET2_T3_PNSL_ISQ_E10value_typeET4_jRbjT5_SW_jjP12ihipStream_tbEUlT_E2_NS1_11comp_targetILNS1_3genE10ELNS1_11target_archE1201ELNS1_3gpuE5ELNS1_3repE0EEENS1_30default_config_static_selectorELNS0_4arch9wavefront6targetE0EEEvSK_.has_indirect_call, or(0, .L_ZN7rocprim17ROCPRIM_400000_NS6detail26segmented_warp_sort_helperINS1_20WarpSortHelperConfigILj8ELj4ELj256EEEdlLi256ELb0EvE4sortIPKdPdPKlPlEEvT_S9_T0_T1_SC_T2_bjjjjRNS5_12storage_typeE.has_indirect_call, .L_ZN7rocprim17ROCPRIM_400000_NS6detail40segmented_radix_sort_single_block_helperIdlLj256ELj16ELb0EE4sortIPKdPdPKlPlEEbT_T0_T1_T2_jjjjRNS3_12storage_typeE.has_indirect_call)
	.section	.AMDGPU.csdata,"",@progbits
; Kernel info:
; codeLenInByte = 90424
; TotalNumSgprs: 64
; NumVgprs: 248
; ScratchSize: 176
; MemoryBound: 0
; FloatMode: 240
; IeeeMode: 1
; LDSByteSize: 33824 bytes/workgroup (compile time only)
; SGPRBlocks: 0
; VGPRBlocks: 30
; NumSGPRsForWavesPerEU: 64
; NumVGPRsForWavesPerEU: 248
; Occupancy: 5
; WaveLimiterHint : 1
; COMPUTE_PGM_RSRC2:SCRATCH_EN: 1
; COMPUTE_PGM_RSRC2:USER_SGPR: 2
; COMPUTE_PGM_RSRC2:TRAP_HANDLER: 0
; COMPUTE_PGM_RSRC2:TGID_X_EN: 1
; COMPUTE_PGM_RSRC2:TGID_Y_EN: 1
; COMPUTE_PGM_RSRC2:TGID_Z_EN: 0
; COMPUTE_PGM_RSRC2:TIDIG_COMP_CNT: 2
	.section	.text._ZN7rocprim17ROCPRIM_400000_NS6detail17trampoline_kernelINS0_14default_configENS1_36segmented_radix_sort_config_selectorIdlEEZNS1_25segmented_radix_sort_implIS3_Lb0EPKdPdPKlPlN2at6native12_GLOBAL__N_18offset_tEEE10hipError_tPvRmT1_PNSt15iterator_traitsISK_E10value_typeET2_T3_PNSL_ISQ_E10value_typeET4_jRbjT5_SW_jjP12ihipStream_tbEUlT_E2_NS1_11comp_targetILNS1_3genE10ELNS1_11target_archE1200ELNS1_3gpuE4ELNS1_3repE0EEENS1_30default_config_static_selectorELNS0_4arch9wavefront6targetE0EEEvSK_,"axG",@progbits,_ZN7rocprim17ROCPRIM_400000_NS6detail17trampoline_kernelINS0_14default_configENS1_36segmented_radix_sort_config_selectorIdlEEZNS1_25segmented_radix_sort_implIS3_Lb0EPKdPdPKlPlN2at6native12_GLOBAL__N_18offset_tEEE10hipError_tPvRmT1_PNSt15iterator_traitsISK_E10value_typeET2_T3_PNSL_ISQ_E10value_typeET4_jRbjT5_SW_jjP12ihipStream_tbEUlT_E2_NS1_11comp_targetILNS1_3genE10ELNS1_11target_archE1200ELNS1_3gpuE4ELNS1_3repE0EEENS1_30default_config_static_selectorELNS0_4arch9wavefront6targetE0EEEvSK_,comdat
	.globl	_ZN7rocprim17ROCPRIM_400000_NS6detail17trampoline_kernelINS0_14default_configENS1_36segmented_radix_sort_config_selectorIdlEEZNS1_25segmented_radix_sort_implIS3_Lb0EPKdPdPKlPlN2at6native12_GLOBAL__N_18offset_tEEE10hipError_tPvRmT1_PNSt15iterator_traitsISK_E10value_typeET2_T3_PNSL_ISQ_E10value_typeET4_jRbjT5_SW_jjP12ihipStream_tbEUlT_E2_NS1_11comp_targetILNS1_3genE10ELNS1_11target_archE1200ELNS1_3gpuE4ELNS1_3repE0EEENS1_30default_config_static_selectorELNS0_4arch9wavefront6targetE0EEEvSK_ ; -- Begin function _ZN7rocprim17ROCPRIM_400000_NS6detail17trampoline_kernelINS0_14default_configENS1_36segmented_radix_sort_config_selectorIdlEEZNS1_25segmented_radix_sort_implIS3_Lb0EPKdPdPKlPlN2at6native12_GLOBAL__N_18offset_tEEE10hipError_tPvRmT1_PNSt15iterator_traitsISK_E10value_typeET2_T3_PNSL_ISQ_E10value_typeET4_jRbjT5_SW_jjP12ihipStream_tbEUlT_E2_NS1_11comp_targetILNS1_3genE10ELNS1_11target_archE1200ELNS1_3gpuE4ELNS1_3repE0EEENS1_30default_config_static_selectorELNS0_4arch9wavefront6targetE0EEEvSK_
	.p2align	8
	.type	_ZN7rocprim17ROCPRIM_400000_NS6detail17trampoline_kernelINS0_14default_configENS1_36segmented_radix_sort_config_selectorIdlEEZNS1_25segmented_radix_sort_implIS3_Lb0EPKdPdPKlPlN2at6native12_GLOBAL__N_18offset_tEEE10hipError_tPvRmT1_PNSt15iterator_traitsISK_E10value_typeET2_T3_PNSL_ISQ_E10value_typeET4_jRbjT5_SW_jjP12ihipStream_tbEUlT_E2_NS1_11comp_targetILNS1_3genE10ELNS1_11target_archE1200ELNS1_3gpuE4ELNS1_3repE0EEENS1_30default_config_static_selectorELNS0_4arch9wavefront6targetE0EEEvSK_,@function
_ZN7rocprim17ROCPRIM_400000_NS6detail17trampoline_kernelINS0_14default_configENS1_36segmented_radix_sort_config_selectorIdlEEZNS1_25segmented_radix_sort_implIS3_Lb0EPKdPdPKlPlN2at6native12_GLOBAL__N_18offset_tEEE10hipError_tPvRmT1_PNSt15iterator_traitsISK_E10value_typeET2_T3_PNSL_ISQ_E10value_typeET4_jRbjT5_SW_jjP12ihipStream_tbEUlT_E2_NS1_11comp_targetILNS1_3genE10ELNS1_11target_archE1200ELNS1_3gpuE4ELNS1_3repE0EEENS1_30default_config_static_selectorELNS0_4arch9wavefront6targetE0EEEvSK_: ; @_ZN7rocprim17ROCPRIM_400000_NS6detail17trampoline_kernelINS0_14default_configENS1_36segmented_radix_sort_config_selectorIdlEEZNS1_25segmented_radix_sort_implIS3_Lb0EPKdPdPKlPlN2at6native12_GLOBAL__N_18offset_tEEE10hipError_tPvRmT1_PNSt15iterator_traitsISK_E10value_typeET2_T3_PNSL_ISQ_E10value_typeET4_jRbjT5_SW_jjP12ihipStream_tbEUlT_E2_NS1_11comp_targetILNS1_3genE10ELNS1_11target_archE1200ELNS1_3gpuE4ELNS1_3repE0EEENS1_30default_config_static_selectorELNS0_4arch9wavefront6targetE0EEEvSK_
; %bb.0:
	.section	.rodata,"a",@progbits
	.p2align	6, 0x0
	.amdhsa_kernel _ZN7rocprim17ROCPRIM_400000_NS6detail17trampoline_kernelINS0_14default_configENS1_36segmented_radix_sort_config_selectorIdlEEZNS1_25segmented_radix_sort_implIS3_Lb0EPKdPdPKlPlN2at6native12_GLOBAL__N_18offset_tEEE10hipError_tPvRmT1_PNSt15iterator_traitsISK_E10value_typeET2_T3_PNSL_ISQ_E10value_typeET4_jRbjT5_SW_jjP12ihipStream_tbEUlT_E2_NS1_11comp_targetILNS1_3genE10ELNS1_11target_archE1200ELNS1_3gpuE4ELNS1_3repE0EEENS1_30default_config_static_selectorELNS0_4arch9wavefront6targetE0EEEvSK_
		.amdhsa_group_segment_fixed_size 0
		.amdhsa_private_segment_fixed_size 0
		.amdhsa_kernarg_size 80
		.amdhsa_user_sgpr_count 2
		.amdhsa_user_sgpr_dispatch_ptr 0
		.amdhsa_user_sgpr_queue_ptr 0
		.amdhsa_user_sgpr_kernarg_segment_ptr 1
		.amdhsa_user_sgpr_dispatch_id 0
		.amdhsa_user_sgpr_private_segment_size 0
		.amdhsa_wavefront_size32 1
		.amdhsa_uses_dynamic_stack 0
		.amdhsa_enable_private_segment 0
		.amdhsa_system_sgpr_workgroup_id_x 1
		.amdhsa_system_sgpr_workgroup_id_y 0
		.amdhsa_system_sgpr_workgroup_id_z 0
		.amdhsa_system_sgpr_workgroup_info 0
		.amdhsa_system_vgpr_workitem_id 0
		.amdhsa_next_free_vgpr 1
		.amdhsa_next_free_sgpr 1
		.amdhsa_reserve_vcc 0
		.amdhsa_float_round_mode_32 0
		.amdhsa_float_round_mode_16_64 0
		.amdhsa_float_denorm_mode_32 3
		.amdhsa_float_denorm_mode_16_64 3
		.amdhsa_fp16_overflow 0
		.amdhsa_workgroup_processor_mode 1
		.amdhsa_memory_ordered 1
		.amdhsa_forward_progress 1
		.amdhsa_inst_pref_size 0
		.amdhsa_round_robin_scheduling 0
		.amdhsa_exception_fp_ieee_invalid_op 0
		.amdhsa_exception_fp_denorm_src 0
		.amdhsa_exception_fp_ieee_div_zero 0
		.amdhsa_exception_fp_ieee_overflow 0
		.amdhsa_exception_fp_ieee_underflow 0
		.amdhsa_exception_fp_ieee_inexact 0
		.amdhsa_exception_int_div_zero 0
	.end_amdhsa_kernel
	.section	.text._ZN7rocprim17ROCPRIM_400000_NS6detail17trampoline_kernelINS0_14default_configENS1_36segmented_radix_sort_config_selectorIdlEEZNS1_25segmented_radix_sort_implIS3_Lb0EPKdPdPKlPlN2at6native12_GLOBAL__N_18offset_tEEE10hipError_tPvRmT1_PNSt15iterator_traitsISK_E10value_typeET2_T3_PNSL_ISQ_E10value_typeET4_jRbjT5_SW_jjP12ihipStream_tbEUlT_E2_NS1_11comp_targetILNS1_3genE10ELNS1_11target_archE1200ELNS1_3gpuE4ELNS1_3repE0EEENS1_30default_config_static_selectorELNS0_4arch9wavefront6targetE0EEEvSK_,"axG",@progbits,_ZN7rocprim17ROCPRIM_400000_NS6detail17trampoline_kernelINS0_14default_configENS1_36segmented_radix_sort_config_selectorIdlEEZNS1_25segmented_radix_sort_implIS3_Lb0EPKdPdPKlPlN2at6native12_GLOBAL__N_18offset_tEEE10hipError_tPvRmT1_PNSt15iterator_traitsISK_E10value_typeET2_T3_PNSL_ISQ_E10value_typeET4_jRbjT5_SW_jjP12ihipStream_tbEUlT_E2_NS1_11comp_targetILNS1_3genE10ELNS1_11target_archE1200ELNS1_3gpuE4ELNS1_3repE0EEENS1_30default_config_static_selectorELNS0_4arch9wavefront6targetE0EEEvSK_,comdat
.Lfunc_end1257:
	.size	_ZN7rocprim17ROCPRIM_400000_NS6detail17trampoline_kernelINS0_14default_configENS1_36segmented_radix_sort_config_selectorIdlEEZNS1_25segmented_radix_sort_implIS3_Lb0EPKdPdPKlPlN2at6native12_GLOBAL__N_18offset_tEEE10hipError_tPvRmT1_PNSt15iterator_traitsISK_E10value_typeET2_T3_PNSL_ISQ_E10value_typeET4_jRbjT5_SW_jjP12ihipStream_tbEUlT_E2_NS1_11comp_targetILNS1_3genE10ELNS1_11target_archE1200ELNS1_3gpuE4ELNS1_3repE0EEENS1_30default_config_static_selectorELNS0_4arch9wavefront6targetE0EEEvSK_, .Lfunc_end1257-_ZN7rocprim17ROCPRIM_400000_NS6detail17trampoline_kernelINS0_14default_configENS1_36segmented_radix_sort_config_selectorIdlEEZNS1_25segmented_radix_sort_implIS3_Lb0EPKdPdPKlPlN2at6native12_GLOBAL__N_18offset_tEEE10hipError_tPvRmT1_PNSt15iterator_traitsISK_E10value_typeET2_T3_PNSL_ISQ_E10value_typeET4_jRbjT5_SW_jjP12ihipStream_tbEUlT_E2_NS1_11comp_targetILNS1_3genE10ELNS1_11target_archE1200ELNS1_3gpuE4ELNS1_3repE0EEENS1_30default_config_static_selectorELNS0_4arch9wavefront6targetE0EEEvSK_
                                        ; -- End function
	.set _ZN7rocprim17ROCPRIM_400000_NS6detail17trampoline_kernelINS0_14default_configENS1_36segmented_radix_sort_config_selectorIdlEEZNS1_25segmented_radix_sort_implIS3_Lb0EPKdPdPKlPlN2at6native12_GLOBAL__N_18offset_tEEE10hipError_tPvRmT1_PNSt15iterator_traitsISK_E10value_typeET2_T3_PNSL_ISQ_E10value_typeET4_jRbjT5_SW_jjP12ihipStream_tbEUlT_E2_NS1_11comp_targetILNS1_3genE10ELNS1_11target_archE1200ELNS1_3gpuE4ELNS1_3repE0EEENS1_30default_config_static_selectorELNS0_4arch9wavefront6targetE0EEEvSK_.num_vgpr, 0
	.set _ZN7rocprim17ROCPRIM_400000_NS6detail17trampoline_kernelINS0_14default_configENS1_36segmented_radix_sort_config_selectorIdlEEZNS1_25segmented_radix_sort_implIS3_Lb0EPKdPdPKlPlN2at6native12_GLOBAL__N_18offset_tEEE10hipError_tPvRmT1_PNSt15iterator_traitsISK_E10value_typeET2_T3_PNSL_ISQ_E10value_typeET4_jRbjT5_SW_jjP12ihipStream_tbEUlT_E2_NS1_11comp_targetILNS1_3genE10ELNS1_11target_archE1200ELNS1_3gpuE4ELNS1_3repE0EEENS1_30default_config_static_selectorELNS0_4arch9wavefront6targetE0EEEvSK_.num_agpr, 0
	.set _ZN7rocprim17ROCPRIM_400000_NS6detail17trampoline_kernelINS0_14default_configENS1_36segmented_radix_sort_config_selectorIdlEEZNS1_25segmented_radix_sort_implIS3_Lb0EPKdPdPKlPlN2at6native12_GLOBAL__N_18offset_tEEE10hipError_tPvRmT1_PNSt15iterator_traitsISK_E10value_typeET2_T3_PNSL_ISQ_E10value_typeET4_jRbjT5_SW_jjP12ihipStream_tbEUlT_E2_NS1_11comp_targetILNS1_3genE10ELNS1_11target_archE1200ELNS1_3gpuE4ELNS1_3repE0EEENS1_30default_config_static_selectorELNS0_4arch9wavefront6targetE0EEEvSK_.numbered_sgpr, 0
	.set _ZN7rocprim17ROCPRIM_400000_NS6detail17trampoline_kernelINS0_14default_configENS1_36segmented_radix_sort_config_selectorIdlEEZNS1_25segmented_radix_sort_implIS3_Lb0EPKdPdPKlPlN2at6native12_GLOBAL__N_18offset_tEEE10hipError_tPvRmT1_PNSt15iterator_traitsISK_E10value_typeET2_T3_PNSL_ISQ_E10value_typeET4_jRbjT5_SW_jjP12ihipStream_tbEUlT_E2_NS1_11comp_targetILNS1_3genE10ELNS1_11target_archE1200ELNS1_3gpuE4ELNS1_3repE0EEENS1_30default_config_static_selectorELNS0_4arch9wavefront6targetE0EEEvSK_.num_named_barrier, 0
	.set _ZN7rocprim17ROCPRIM_400000_NS6detail17trampoline_kernelINS0_14default_configENS1_36segmented_radix_sort_config_selectorIdlEEZNS1_25segmented_radix_sort_implIS3_Lb0EPKdPdPKlPlN2at6native12_GLOBAL__N_18offset_tEEE10hipError_tPvRmT1_PNSt15iterator_traitsISK_E10value_typeET2_T3_PNSL_ISQ_E10value_typeET4_jRbjT5_SW_jjP12ihipStream_tbEUlT_E2_NS1_11comp_targetILNS1_3genE10ELNS1_11target_archE1200ELNS1_3gpuE4ELNS1_3repE0EEENS1_30default_config_static_selectorELNS0_4arch9wavefront6targetE0EEEvSK_.private_seg_size, 0
	.set _ZN7rocprim17ROCPRIM_400000_NS6detail17trampoline_kernelINS0_14default_configENS1_36segmented_radix_sort_config_selectorIdlEEZNS1_25segmented_radix_sort_implIS3_Lb0EPKdPdPKlPlN2at6native12_GLOBAL__N_18offset_tEEE10hipError_tPvRmT1_PNSt15iterator_traitsISK_E10value_typeET2_T3_PNSL_ISQ_E10value_typeET4_jRbjT5_SW_jjP12ihipStream_tbEUlT_E2_NS1_11comp_targetILNS1_3genE10ELNS1_11target_archE1200ELNS1_3gpuE4ELNS1_3repE0EEENS1_30default_config_static_selectorELNS0_4arch9wavefront6targetE0EEEvSK_.uses_vcc, 0
	.set _ZN7rocprim17ROCPRIM_400000_NS6detail17trampoline_kernelINS0_14default_configENS1_36segmented_radix_sort_config_selectorIdlEEZNS1_25segmented_radix_sort_implIS3_Lb0EPKdPdPKlPlN2at6native12_GLOBAL__N_18offset_tEEE10hipError_tPvRmT1_PNSt15iterator_traitsISK_E10value_typeET2_T3_PNSL_ISQ_E10value_typeET4_jRbjT5_SW_jjP12ihipStream_tbEUlT_E2_NS1_11comp_targetILNS1_3genE10ELNS1_11target_archE1200ELNS1_3gpuE4ELNS1_3repE0EEENS1_30default_config_static_selectorELNS0_4arch9wavefront6targetE0EEEvSK_.uses_flat_scratch, 0
	.set _ZN7rocprim17ROCPRIM_400000_NS6detail17trampoline_kernelINS0_14default_configENS1_36segmented_radix_sort_config_selectorIdlEEZNS1_25segmented_radix_sort_implIS3_Lb0EPKdPdPKlPlN2at6native12_GLOBAL__N_18offset_tEEE10hipError_tPvRmT1_PNSt15iterator_traitsISK_E10value_typeET2_T3_PNSL_ISQ_E10value_typeET4_jRbjT5_SW_jjP12ihipStream_tbEUlT_E2_NS1_11comp_targetILNS1_3genE10ELNS1_11target_archE1200ELNS1_3gpuE4ELNS1_3repE0EEENS1_30default_config_static_selectorELNS0_4arch9wavefront6targetE0EEEvSK_.has_dyn_sized_stack, 0
	.set _ZN7rocprim17ROCPRIM_400000_NS6detail17trampoline_kernelINS0_14default_configENS1_36segmented_radix_sort_config_selectorIdlEEZNS1_25segmented_radix_sort_implIS3_Lb0EPKdPdPKlPlN2at6native12_GLOBAL__N_18offset_tEEE10hipError_tPvRmT1_PNSt15iterator_traitsISK_E10value_typeET2_T3_PNSL_ISQ_E10value_typeET4_jRbjT5_SW_jjP12ihipStream_tbEUlT_E2_NS1_11comp_targetILNS1_3genE10ELNS1_11target_archE1200ELNS1_3gpuE4ELNS1_3repE0EEENS1_30default_config_static_selectorELNS0_4arch9wavefront6targetE0EEEvSK_.has_recursion, 0
	.set _ZN7rocprim17ROCPRIM_400000_NS6detail17trampoline_kernelINS0_14default_configENS1_36segmented_radix_sort_config_selectorIdlEEZNS1_25segmented_radix_sort_implIS3_Lb0EPKdPdPKlPlN2at6native12_GLOBAL__N_18offset_tEEE10hipError_tPvRmT1_PNSt15iterator_traitsISK_E10value_typeET2_T3_PNSL_ISQ_E10value_typeET4_jRbjT5_SW_jjP12ihipStream_tbEUlT_E2_NS1_11comp_targetILNS1_3genE10ELNS1_11target_archE1200ELNS1_3gpuE4ELNS1_3repE0EEENS1_30default_config_static_selectorELNS0_4arch9wavefront6targetE0EEEvSK_.has_indirect_call, 0
	.section	.AMDGPU.csdata,"",@progbits
; Kernel info:
; codeLenInByte = 0
; TotalNumSgprs: 0
; NumVgprs: 0
; ScratchSize: 0
; MemoryBound: 0
; FloatMode: 240
; IeeeMode: 1
; LDSByteSize: 0 bytes/workgroup (compile time only)
; SGPRBlocks: 0
; VGPRBlocks: 0
; NumSGPRsForWavesPerEU: 1
; NumVGPRsForWavesPerEU: 1
; Occupancy: 16
; WaveLimiterHint : 0
; COMPUTE_PGM_RSRC2:SCRATCH_EN: 0
; COMPUTE_PGM_RSRC2:USER_SGPR: 2
; COMPUTE_PGM_RSRC2:TRAP_HANDLER: 0
; COMPUTE_PGM_RSRC2:TGID_X_EN: 1
; COMPUTE_PGM_RSRC2:TGID_Y_EN: 0
; COMPUTE_PGM_RSRC2:TGID_Z_EN: 0
; COMPUTE_PGM_RSRC2:TIDIG_COMP_CNT: 0
	.section	.text._ZN7rocprim17ROCPRIM_400000_NS6detail17trampoline_kernelINS0_14default_configENS1_36segmented_radix_sort_config_selectorIdlEEZNS1_25segmented_radix_sort_implIS3_Lb0EPKdPdPKlPlN2at6native12_GLOBAL__N_18offset_tEEE10hipError_tPvRmT1_PNSt15iterator_traitsISK_E10value_typeET2_T3_PNSL_ISQ_E10value_typeET4_jRbjT5_SW_jjP12ihipStream_tbEUlT_E2_NS1_11comp_targetILNS1_3genE9ELNS1_11target_archE1100ELNS1_3gpuE3ELNS1_3repE0EEENS1_30default_config_static_selectorELNS0_4arch9wavefront6targetE0EEEvSK_,"axG",@progbits,_ZN7rocprim17ROCPRIM_400000_NS6detail17trampoline_kernelINS0_14default_configENS1_36segmented_radix_sort_config_selectorIdlEEZNS1_25segmented_radix_sort_implIS3_Lb0EPKdPdPKlPlN2at6native12_GLOBAL__N_18offset_tEEE10hipError_tPvRmT1_PNSt15iterator_traitsISK_E10value_typeET2_T3_PNSL_ISQ_E10value_typeET4_jRbjT5_SW_jjP12ihipStream_tbEUlT_E2_NS1_11comp_targetILNS1_3genE9ELNS1_11target_archE1100ELNS1_3gpuE3ELNS1_3repE0EEENS1_30default_config_static_selectorELNS0_4arch9wavefront6targetE0EEEvSK_,comdat
	.globl	_ZN7rocprim17ROCPRIM_400000_NS6detail17trampoline_kernelINS0_14default_configENS1_36segmented_radix_sort_config_selectorIdlEEZNS1_25segmented_radix_sort_implIS3_Lb0EPKdPdPKlPlN2at6native12_GLOBAL__N_18offset_tEEE10hipError_tPvRmT1_PNSt15iterator_traitsISK_E10value_typeET2_T3_PNSL_ISQ_E10value_typeET4_jRbjT5_SW_jjP12ihipStream_tbEUlT_E2_NS1_11comp_targetILNS1_3genE9ELNS1_11target_archE1100ELNS1_3gpuE3ELNS1_3repE0EEENS1_30default_config_static_selectorELNS0_4arch9wavefront6targetE0EEEvSK_ ; -- Begin function _ZN7rocprim17ROCPRIM_400000_NS6detail17trampoline_kernelINS0_14default_configENS1_36segmented_radix_sort_config_selectorIdlEEZNS1_25segmented_radix_sort_implIS3_Lb0EPKdPdPKlPlN2at6native12_GLOBAL__N_18offset_tEEE10hipError_tPvRmT1_PNSt15iterator_traitsISK_E10value_typeET2_T3_PNSL_ISQ_E10value_typeET4_jRbjT5_SW_jjP12ihipStream_tbEUlT_E2_NS1_11comp_targetILNS1_3genE9ELNS1_11target_archE1100ELNS1_3gpuE3ELNS1_3repE0EEENS1_30default_config_static_selectorELNS0_4arch9wavefront6targetE0EEEvSK_
	.p2align	8
	.type	_ZN7rocprim17ROCPRIM_400000_NS6detail17trampoline_kernelINS0_14default_configENS1_36segmented_radix_sort_config_selectorIdlEEZNS1_25segmented_radix_sort_implIS3_Lb0EPKdPdPKlPlN2at6native12_GLOBAL__N_18offset_tEEE10hipError_tPvRmT1_PNSt15iterator_traitsISK_E10value_typeET2_T3_PNSL_ISQ_E10value_typeET4_jRbjT5_SW_jjP12ihipStream_tbEUlT_E2_NS1_11comp_targetILNS1_3genE9ELNS1_11target_archE1100ELNS1_3gpuE3ELNS1_3repE0EEENS1_30default_config_static_selectorELNS0_4arch9wavefront6targetE0EEEvSK_,@function
_ZN7rocprim17ROCPRIM_400000_NS6detail17trampoline_kernelINS0_14default_configENS1_36segmented_radix_sort_config_selectorIdlEEZNS1_25segmented_radix_sort_implIS3_Lb0EPKdPdPKlPlN2at6native12_GLOBAL__N_18offset_tEEE10hipError_tPvRmT1_PNSt15iterator_traitsISK_E10value_typeET2_T3_PNSL_ISQ_E10value_typeET4_jRbjT5_SW_jjP12ihipStream_tbEUlT_E2_NS1_11comp_targetILNS1_3genE9ELNS1_11target_archE1100ELNS1_3gpuE3ELNS1_3repE0EEENS1_30default_config_static_selectorELNS0_4arch9wavefront6targetE0EEEvSK_: ; @_ZN7rocprim17ROCPRIM_400000_NS6detail17trampoline_kernelINS0_14default_configENS1_36segmented_radix_sort_config_selectorIdlEEZNS1_25segmented_radix_sort_implIS3_Lb0EPKdPdPKlPlN2at6native12_GLOBAL__N_18offset_tEEE10hipError_tPvRmT1_PNSt15iterator_traitsISK_E10value_typeET2_T3_PNSL_ISQ_E10value_typeET4_jRbjT5_SW_jjP12ihipStream_tbEUlT_E2_NS1_11comp_targetILNS1_3genE9ELNS1_11target_archE1100ELNS1_3gpuE3ELNS1_3repE0EEENS1_30default_config_static_selectorELNS0_4arch9wavefront6targetE0EEEvSK_
; %bb.0:
	.section	.rodata,"a",@progbits
	.p2align	6, 0x0
	.amdhsa_kernel _ZN7rocprim17ROCPRIM_400000_NS6detail17trampoline_kernelINS0_14default_configENS1_36segmented_radix_sort_config_selectorIdlEEZNS1_25segmented_radix_sort_implIS3_Lb0EPKdPdPKlPlN2at6native12_GLOBAL__N_18offset_tEEE10hipError_tPvRmT1_PNSt15iterator_traitsISK_E10value_typeET2_T3_PNSL_ISQ_E10value_typeET4_jRbjT5_SW_jjP12ihipStream_tbEUlT_E2_NS1_11comp_targetILNS1_3genE9ELNS1_11target_archE1100ELNS1_3gpuE3ELNS1_3repE0EEENS1_30default_config_static_selectorELNS0_4arch9wavefront6targetE0EEEvSK_
		.amdhsa_group_segment_fixed_size 0
		.amdhsa_private_segment_fixed_size 0
		.amdhsa_kernarg_size 80
		.amdhsa_user_sgpr_count 2
		.amdhsa_user_sgpr_dispatch_ptr 0
		.amdhsa_user_sgpr_queue_ptr 0
		.amdhsa_user_sgpr_kernarg_segment_ptr 1
		.amdhsa_user_sgpr_dispatch_id 0
		.amdhsa_user_sgpr_private_segment_size 0
		.amdhsa_wavefront_size32 1
		.amdhsa_uses_dynamic_stack 0
		.amdhsa_enable_private_segment 0
		.amdhsa_system_sgpr_workgroup_id_x 1
		.amdhsa_system_sgpr_workgroup_id_y 0
		.amdhsa_system_sgpr_workgroup_id_z 0
		.amdhsa_system_sgpr_workgroup_info 0
		.amdhsa_system_vgpr_workitem_id 0
		.amdhsa_next_free_vgpr 1
		.amdhsa_next_free_sgpr 1
		.amdhsa_reserve_vcc 0
		.amdhsa_float_round_mode_32 0
		.amdhsa_float_round_mode_16_64 0
		.amdhsa_float_denorm_mode_32 3
		.amdhsa_float_denorm_mode_16_64 3
		.amdhsa_fp16_overflow 0
		.amdhsa_workgroup_processor_mode 1
		.amdhsa_memory_ordered 1
		.amdhsa_forward_progress 1
		.amdhsa_inst_pref_size 0
		.amdhsa_round_robin_scheduling 0
		.amdhsa_exception_fp_ieee_invalid_op 0
		.amdhsa_exception_fp_denorm_src 0
		.amdhsa_exception_fp_ieee_div_zero 0
		.amdhsa_exception_fp_ieee_overflow 0
		.amdhsa_exception_fp_ieee_underflow 0
		.amdhsa_exception_fp_ieee_inexact 0
		.amdhsa_exception_int_div_zero 0
	.end_amdhsa_kernel
	.section	.text._ZN7rocprim17ROCPRIM_400000_NS6detail17trampoline_kernelINS0_14default_configENS1_36segmented_radix_sort_config_selectorIdlEEZNS1_25segmented_radix_sort_implIS3_Lb0EPKdPdPKlPlN2at6native12_GLOBAL__N_18offset_tEEE10hipError_tPvRmT1_PNSt15iterator_traitsISK_E10value_typeET2_T3_PNSL_ISQ_E10value_typeET4_jRbjT5_SW_jjP12ihipStream_tbEUlT_E2_NS1_11comp_targetILNS1_3genE9ELNS1_11target_archE1100ELNS1_3gpuE3ELNS1_3repE0EEENS1_30default_config_static_selectorELNS0_4arch9wavefront6targetE0EEEvSK_,"axG",@progbits,_ZN7rocprim17ROCPRIM_400000_NS6detail17trampoline_kernelINS0_14default_configENS1_36segmented_radix_sort_config_selectorIdlEEZNS1_25segmented_radix_sort_implIS3_Lb0EPKdPdPKlPlN2at6native12_GLOBAL__N_18offset_tEEE10hipError_tPvRmT1_PNSt15iterator_traitsISK_E10value_typeET2_T3_PNSL_ISQ_E10value_typeET4_jRbjT5_SW_jjP12ihipStream_tbEUlT_E2_NS1_11comp_targetILNS1_3genE9ELNS1_11target_archE1100ELNS1_3gpuE3ELNS1_3repE0EEENS1_30default_config_static_selectorELNS0_4arch9wavefront6targetE0EEEvSK_,comdat
.Lfunc_end1258:
	.size	_ZN7rocprim17ROCPRIM_400000_NS6detail17trampoline_kernelINS0_14default_configENS1_36segmented_radix_sort_config_selectorIdlEEZNS1_25segmented_radix_sort_implIS3_Lb0EPKdPdPKlPlN2at6native12_GLOBAL__N_18offset_tEEE10hipError_tPvRmT1_PNSt15iterator_traitsISK_E10value_typeET2_T3_PNSL_ISQ_E10value_typeET4_jRbjT5_SW_jjP12ihipStream_tbEUlT_E2_NS1_11comp_targetILNS1_3genE9ELNS1_11target_archE1100ELNS1_3gpuE3ELNS1_3repE0EEENS1_30default_config_static_selectorELNS0_4arch9wavefront6targetE0EEEvSK_, .Lfunc_end1258-_ZN7rocprim17ROCPRIM_400000_NS6detail17trampoline_kernelINS0_14default_configENS1_36segmented_radix_sort_config_selectorIdlEEZNS1_25segmented_radix_sort_implIS3_Lb0EPKdPdPKlPlN2at6native12_GLOBAL__N_18offset_tEEE10hipError_tPvRmT1_PNSt15iterator_traitsISK_E10value_typeET2_T3_PNSL_ISQ_E10value_typeET4_jRbjT5_SW_jjP12ihipStream_tbEUlT_E2_NS1_11comp_targetILNS1_3genE9ELNS1_11target_archE1100ELNS1_3gpuE3ELNS1_3repE0EEENS1_30default_config_static_selectorELNS0_4arch9wavefront6targetE0EEEvSK_
                                        ; -- End function
	.set _ZN7rocprim17ROCPRIM_400000_NS6detail17trampoline_kernelINS0_14default_configENS1_36segmented_radix_sort_config_selectorIdlEEZNS1_25segmented_radix_sort_implIS3_Lb0EPKdPdPKlPlN2at6native12_GLOBAL__N_18offset_tEEE10hipError_tPvRmT1_PNSt15iterator_traitsISK_E10value_typeET2_T3_PNSL_ISQ_E10value_typeET4_jRbjT5_SW_jjP12ihipStream_tbEUlT_E2_NS1_11comp_targetILNS1_3genE9ELNS1_11target_archE1100ELNS1_3gpuE3ELNS1_3repE0EEENS1_30default_config_static_selectorELNS0_4arch9wavefront6targetE0EEEvSK_.num_vgpr, 0
	.set _ZN7rocprim17ROCPRIM_400000_NS6detail17trampoline_kernelINS0_14default_configENS1_36segmented_radix_sort_config_selectorIdlEEZNS1_25segmented_radix_sort_implIS3_Lb0EPKdPdPKlPlN2at6native12_GLOBAL__N_18offset_tEEE10hipError_tPvRmT1_PNSt15iterator_traitsISK_E10value_typeET2_T3_PNSL_ISQ_E10value_typeET4_jRbjT5_SW_jjP12ihipStream_tbEUlT_E2_NS1_11comp_targetILNS1_3genE9ELNS1_11target_archE1100ELNS1_3gpuE3ELNS1_3repE0EEENS1_30default_config_static_selectorELNS0_4arch9wavefront6targetE0EEEvSK_.num_agpr, 0
	.set _ZN7rocprim17ROCPRIM_400000_NS6detail17trampoline_kernelINS0_14default_configENS1_36segmented_radix_sort_config_selectorIdlEEZNS1_25segmented_radix_sort_implIS3_Lb0EPKdPdPKlPlN2at6native12_GLOBAL__N_18offset_tEEE10hipError_tPvRmT1_PNSt15iterator_traitsISK_E10value_typeET2_T3_PNSL_ISQ_E10value_typeET4_jRbjT5_SW_jjP12ihipStream_tbEUlT_E2_NS1_11comp_targetILNS1_3genE9ELNS1_11target_archE1100ELNS1_3gpuE3ELNS1_3repE0EEENS1_30default_config_static_selectorELNS0_4arch9wavefront6targetE0EEEvSK_.numbered_sgpr, 0
	.set _ZN7rocprim17ROCPRIM_400000_NS6detail17trampoline_kernelINS0_14default_configENS1_36segmented_radix_sort_config_selectorIdlEEZNS1_25segmented_radix_sort_implIS3_Lb0EPKdPdPKlPlN2at6native12_GLOBAL__N_18offset_tEEE10hipError_tPvRmT1_PNSt15iterator_traitsISK_E10value_typeET2_T3_PNSL_ISQ_E10value_typeET4_jRbjT5_SW_jjP12ihipStream_tbEUlT_E2_NS1_11comp_targetILNS1_3genE9ELNS1_11target_archE1100ELNS1_3gpuE3ELNS1_3repE0EEENS1_30default_config_static_selectorELNS0_4arch9wavefront6targetE0EEEvSK_.num_named_barrier, 0
	.set _ZN7rocprim17ROCPRIM_400000_NS6detail17trampoline_kernelINS0_14default_configENS1_36segmented_radix_sort_config_selectorIdlEEZNS1_25segmented_radix_sort_implIS3_Lb0EPKdPdPKlPlN2at6native12_GLOBAL__N_18offset_tEEE10hipError_tPvRmT1_PNSt15iterator_traitsISK_E10value_typeET2_T3_PNSL_ISQ_E10value_typeET4_jRbjT5_SW_jjP12ihipStream_tbEUlT_E2_NS1_11comp_targetILNS1_3genE9ELNS1_11target_archE1100ELNS1_3gpuE3ELNS1_3repE0EEENS1_30default_config_static_selectorELNS0_4arch9wavefront6targetE0EEEvSK_.private_seg_size, 0
	.set _ZN7rocprim17ROCPRIM_400000_NS6detail17trampoline_kernelINS0_14default_configENS1_36segmented_radix_sort_config_selectorIdlEEZNS1_25segmented_radix_sort_implIS3_Lb0EPKdPdPKlPlN2at6native12_GLOBAL__N_18offset_tEEE10hipError_tPvRmT1_PNSt15iterator_traitsISK_E10value_typeET2_T3_PNSL_ISQ_E10value_typeET4_jRbjT5_SW_jjP12ihipStream_tbEUlT_E2_NS1_11comp_targetILNS1_3genE9ELNS1_11target_archE1100ELNS1_3gpuE3ELNS1_3repE0EEENS1_30default_config_static_selectorELNS0_4arch9wavefront6targetE0EEEvSK_.uses_vcc, 0
	.set _ZN7rocprim17ROCPRIM_400000_NS6detail17trampoline_kernelINS0_14default_configENS1_36segmented_radix_sort_config_selectorIdlEEZNS1_25segmented_radix_sort_implIS3_Lb0EPKdPdPKlPlN2at6native12_GLOBAL__N_18offset_tEEE10hipError_tPvRmT1_PNSt15iterator_traitsISK_E10value_typeET2_T3_PNSL_ISQ_E10value_typeET4_jRbjT5_SW_jjP12ihipStream_tbEUlT_E2_NS1_11comp_targetILNS1_3genE9ELNS1_11target_archE1100ELNS1_3gpuE3ELNS1_3repE0EEENS1_30default_config_static_selectorELNS0_4arch9wavefront6targetE0EEEvSK_.uses_flat_scratch, 0
	.set _ZN7rocprim17ROCPRIM_400000_NS6detail17trampoline_kernelINS0_14default_configENS1_36segmented_radix_sort_config_selectorIdlEEZNS1_25segmented_radix_sort_implIS3_Lb0EPKdPdPKlPlN2at6native12_GLOBAL__N_18offset_tEEE10hipError_tPvRmT1_PNSt15iterator_traitsISK_E10value_typeET2_T3_PNSL_ISQ_E10value_typeET4_jRbjT5_SW_jjP12ihipStream_tbEUlT_E2_NS1_11comp_targetILNS1_3genE9ELNS1_11target_archE1100ELNS1_3gpuE3ELNS1_3repE0EEENS1_30default_config_static_selectorELNS0_4arch9wavefront6targetE0EEEvSK_.has_dyn_sized_stack, 0
	.set _ZN7rocprim17ROCPRIM_400000_NS6detail17trampoline_kernelINS0_14default_configENS1_36segmented_radix_sort_config_selectorIdlEEZNS1_25segmented_radix_sort_implIS3_Lb0EPKdPdPKlPlN2at6native12_GLOBAL__N_18offset_tEEE10hipError_tPvRmT1_PNSt15iterator_traitsISK_E10value_typeET2_T3_PNSL_ISQ_E10value_typeET4_jRbjT5_SW_jjP12ihipStream_tbEUlT_E2_NS1_11comp_targetILNS1_3genE9ELNS1_11target_archE1100ELNS1_3gpuE3ELNS1_3repE0EEENS1_30default_config_static_selectorELNS0_4arch9wavefront6targetE0EEEvSK_.has_recursion, 0
	.set _ZN7rocprim17ROCPRIM_400000_NS6detail17trampoline_kernelINS0_14default_configENS1_36segmented_radix_sort_config_selectorIdlEEZNS1_25segmented_radix_sort_implIS3_Lb0EPKdPdPKlPlN2at6native12_GLOBAL__N_18offset_tEEE10hipError_tPvRmT1_PNSt15iterator_traitsISK_E10value_typeET2_T3_PNSL_ISQ_E10value_typeET4_jRbjT5_SW_jjP12ihipStream_tbEUlT_E2_NS1_11comp_targetILNS1_3genE9ELNS1_11target_archE1100ELNS1_3gpuE3ELNS1_3repE0EEENS1_30default_config_static_selectorELNS0_4arch9wavefront6targetE0EEEvSK_.has_indirect_call, 0
	.section	.AMDGPU.csdata,"",@progbits
; Kernel info:
; codeLenInByte = 0
; TotalNumSgprs: 0
; NumVgprs: 0
; ScratchSize: 0
; MemoryBound: 0
; FloatMode: 240
; IeeeMode: 1
; LDSByteSize: 0 bytes/workgroup (compile time only)
; SGPRBlocks: 0
; VGPRBlocks: 0
; NumSGPRsForWavesPerEU: 1
; NumVGPRsForWavesPerEU: 1
; Occupancy: 16
; WaveLimiterHint : 0
; COMPUTE_PGM_RSRC2:SCRATCH_EN: 0
; COMPUTE_PGM_RSRC2:USER_SGPR: 2
; COMPUTE_PGM_RSRC2:TRAP_HANDLER: 0
; COMPUTE_PGM_RSRC2:TGID_X_EN: 1
; COMPUTE_PGM_RSRC2:TGID_Y_EN: 0
; COMPUTE_PGM_RSRC2:TGID_Z_EN: 0
; COMPUTE_PGM_RSRC2:TIDIG_COMP_CNT: 0
	.section	.text._ZN7rocprim17ROCPRIM_400000_NS6detail17trampoline_kernelINS0_14default_configENS1_36segmented_radix_sort_config_selectorIdlEEZNS1_25segmented_radix_sort_implIS3_Lb0EPKdPdPKlPlN2at6native12_GLOBAL__N_18offset_tEEE10hipError_tPvRmT1_PNSt15iterator_traitsISK_E10value_typeET2_T3_PNSL_ISQ_E10value_typeET4_jRbjT5_SW_jjP12ihipStream_tbEUlT_E2_NS1_11comp_targetILNS1_3genE8ELNS1_11target_archE1030ELNS1_3gpuE2ELNS1_3repE0EEENS1_30default_config_static_selectorELNS0_4arch9wavefront6targetE0EEEvSK_,"axG",@progbits,_ZN7rocprim17ROCPRIM_400000_NS6detail17trampoline_kernelINS0_14default_configENS1_36segmented_radix_sort_config_selectorIdlEEZNS1_25segmented_radix_sort_implIS3_Lb0EPKdPdPKlPlN2at6native12_GLOBAL__N_18offset_tEEE10hipError_tPvRmT1_PNSt15iterator_traitsISK_E10value_typeET2_T3_PNSL_ISQ_E10value_typeET4_jRbjT5_SW_jjP12ihipStream_tbEUlT_E2_NS1_11comp_targetILNS1_3genE8ELNS1_11target_archE1030ELNS1_3gpuE2ELNS1_3repE0EEENS1_30default_config_static_selectorELNS0_4arch9wavefront6targetE0EEEvSK_,comdat
	.globl	_ZN7rocprim17ROCPRIM_400000_NS6detail17trampoline_kernelINS0_14default_configENS1_36segmented_radix_sort_config_selectorIdlEEZNS1_25segmented_radix_sort_implIS3_Lb0EPKdPdPKlPlN2at6native12_GLOBAL__N_18offset_tEEE10hipError_tPvRmT1_PNSt15iterator_traitsISK_E10value_typeET2_T3_PNSL_ISQ_E10value_typeET4_jRbjT5_SW_jjP12ihipStream_tbEUlT_E2_NS1_11comp_targetILNS1_3genE8ELNS1_11target_archE1030ELNS1_3gpuE2ELNS1_3repE0EEENS1_30default_config_static_selectorELNS0_4arch9wavefront6targetE0EEEvSK_ ; -- Begin function _ZN7rocprim17ROCPRIM_400000_NS6detail17trampoline_kernelINS0_14default_configENS1_36segmented_radix_sort_config_selectorIdlEEZNS1_25segmented_radix_sort_implIS3_Lb0EPKdPdPKlPlN2at6native12_GLOBAL__N_18offset_tEEE10hipError_tPvRmT1_PNSt15iterator_traitsISK_E10value_typeET2_T3_PNSL_ISQ_E10value_typeET4_jRbjT5_SW_jjP12ihipStream_tbEUlT_E2_NS1_11comp_targetILNS1_3genE8ELNS1_11target_archE1030ELNS1_3gpuE2ELNS1_3repE0EEENS1_30default_config_static_selectorELNS0_4arch9wavefront6targetE0EEEvSK_
	.p2align	8
	.type	_ZN7rocprim17ROCPRIM_400000_NS6detail17trampoline_kernelINS0_14default_configENS1_36segmented_radix_sort_config_selectorIdlEEZNS1_25segmented_radix_sort_implIS3_Lb0EPKdPdPKlPlN2at6native12_GLOBAL__N_18offset_tEEE10hipError_tPvRmT1_PNSt15iterator_traitsISK_E10value_typeET2_T3_PNSL_ISQ_E10value_typeET4_jRbjT5_SW_jjP12ihipStream_tbEUlT_E2_NS1_11comp_targetILNS1_3genE8ELNS1_11target_archE1030ELNS1_3gpuE2ELNS1_3repE0EEENS1_30default_config_static_selectorELNS0_4arch9wavefront6targetE0EEEvSK_,@function
_ZN7rocprim17ROCPRIM_400000_NS6detail17trampoline_kernelINS0_14default_configENS1_36segmented_radix_sort_config_selectorIdlEEZNS1_25segmented_radix_sort_implIS3_Lb0EPKdPdPKlPlN2at6native12_GLOBAL__N_18offset_tEEE10hipError_tPvRmT1_PNSt15iterator_traitsISK_E10value_typeET2_T3_PNSL_ISQ_E10value_typeET4_jRbjT5_SW_jjP12ihipStream_tbEUlT_E2_NS1_11comp_targetILNS1_3genE8ELNS1_11target_archE1030ELNS1_3gpuE2ELNS1_3repE0EEENS1_30default_config_static_selectorELNS0_4arch9wavefront6targetE0EEEvSK_: ; @_ZN7rocprim17ROCPRIM_400000_NS6detail17trampoline_kernelINS0_14default_configENS1_36segmented_radix_sort_config_selectorIdlEEZNS1_25segmented_radix_sort_implIS3_Lb0EPKdPdPKlPlN2at6native12_GLOBAL__N_18offset_tEEE10hipError_tPvRmT1_PNSt15iterator_traitsISK_E10value_typeET2_T3_PNSL_ISQ_E10value_typeET4_jRbjT5_SW_jjP12ihipStream_tbEUlT_E2_NS1_11comp_targetILNS1_3genE8ELNS1_11target_archE1030ELNS1_3gpuE2ELNS1_3repE0EEENS1_30default_config_static_selectorELNS0_4arch9wavefront6targetE0EEEvSK_
; %bb.0:
	.section	.rodata,"a",@progbits
	.p2align	6, 0x0
	.amdhsa_kernel _ZN7rocprim17ROCPRIM_400000_NS6detail17trampoline_kernelINS0_14default_configENS1_36segmented_radix_sort_config_selectorIdlEEZNS1_25segmented_radix_sort_implIS3_Lb0EPKdPdPKlPlN2at6native12_GLOBAL__N_18offset_tEEE10hipError_tPvRmT1_PNSt15iterator_traitsISK_E10value_typeET2_T3_PNSL_ISQ_E10value_typeET4_jRbjT5_SW_jjP12ihipStream_tbEUlT_E2_NS1_11comp_targetILNS1_3genE8ELNS1_11target_archE1030ELNS1_3gpuE2ELNS1_3repE0EEENS1_30default_config_static_selectorELNS0_4arch9wavefront6targetE0EEEvSK_
		.amdhsa_group_segment_fixed_size 0
		.amdhsa_private_segment_fixed_size 0
		.amdhsa_kernarg_size 80
		.amdhsa_user_sgpr_count 2
		.amdhsa_user_sgpr_dispatch_ptr 0
		.amdhsa_user_sgpr_queue_ptr 0
		.amdhsa_user_sgpr_kernarg_segment_ptr 1
		.amdhsa_user_sgpr_dispatch_id 0
		.amdhsa_user_sgpr_private_segment_size 0
		.amdhsa_wavefront_size32 1
		.amdhsa_uses_dynamic_stack 0
		.amdhsa_enable_private_segment 0
		.amdhsa_system_sgpr_workgroup_id_x 1
		.amdhsa_system_sgpr_workgroup_id_y 0
		.amdhsa_system_sgpr_workgroup_id_z 0
		.amdhsa_system_sgpr_workgroup_info 0
		.amdhsa_system_vgpr_workitem_id 0
		.amdhsa_next_free_vgpr 1
		.amdhsa_next_free_sgpr 1
		.amdhsa_reserve_vcc 0
		.amdhsa_float_round_mode_32 0
		.amdhsa_float_round_mode_16_64 0
		.amdhsa_float_denorm_mode_32 3
		.amdhsa_float_denorm_mode_16_64 3
		.amdhsa_fp16_overflow 0
		.amdhsa_workgroup_processor_mode 1
		.amdhsa_memory_ordered 1
		.amdhsa_forward_progress 1
		.amdhsa_inst_pref_size 0
		.amdhsa_round_robin_scheduling 0
		.amdhsa_exception_fp_ieee_invalid_op 0
		.amdhsa_exception_fp_denorm_src 0
		.amdhsa_exception_fp_ieee_div_zero 0
		.amdhsa_exception_fp_ieee_overflow 0
		.amdhsa_exception_fp_ieee_underflow 0
		.amdhsa_exception_fp_ieee_inexact 0
		.amdhsa_exception_int_div_zero 0
	.end_amdhsa_kernel
	.section	.text._ZN7rocprim17ROCPRIM_400000_NS6detail17trampoline_kernelINS0_14default_configENS1_36segmented_radix_sort_config_selectorIdlEEZNS1_25segmented_radix_sort_implIS3_Lb0EPKdPdPKlPlN2at6native12_GLOBAL__N_18offset_tEEE10hipError_tPvRmT1_PNSt15iterator_traitsISK_E10value_typeET2_T3_PNSL_ISQ_E10value_typeET4_jRbjT5_SW_jjP12ihipStream_tbEUlT_E2_NS1_11comp_targetILNS1_3genE8ELNS1_11target_archE1030ELNS1_3gpuE2ELNS1_3repE0EEENS1_30default_config_static_selectorELNS0_4arch9wavefront6targetE0EEEvSK_,"axG",@progbits,_ZN7rocprim17ROCPRIM_400000_NS6detail17trampoline_kernelINS0_14default_configENS1_36segmented_radix_sort_config_selectorIdlEEZNS1_25segmented_radix_sort_implIS3_Lb0EPKdPdPKlPlN2at6native12_GLOBAL__N_18offset_tEEE10hipError_tPvRmT1_PNSt15iterator_traitsISK_E10value_typeET2_T3_PNSL_ISQ_E10value_typeET4_jRbjT5_SW_jjP12ihipStream_tbEUlT_E2_NS1_11comp_targetILNS1_3genE8ELNS1_11target_archE1030ELNS1_3gpuE2ELNS1_3repE0EEENS1_30default_config_static_selectorELNS0_4arch9wavefront6targetE0EEEvSK_,comdat
.Lfunc_end1259:
	.size	_ZN7rocprim17ROCPRIM_400000_NS6detail17trampoline_kernelINS0_14default_configENS1_36segmented_radix_sort_config_selectorIdlEEZNS1_25segmented_radix_sort_implIS3_Lb0EPKdPdPKlPlN2at6native12_GLOBAL__N_18offset_tEEE10hipError_tPvRmT1_PNSt15iterator_traitsISK_E10value_typeET2_T3_PNSL_ISQ_E10value_typeET4_jRbjT5_SW_jjP12ihipStream_tbEUlT_E2_NS1_11comp_targetILNS1_3genE8ELNS1_11target_archE1030ELNS1_3gpuE2ELNS1_3repE0EEENS1_30default_config_static_selectorELNS0_4arch9wavefront6targetE0EEEvSK_, .Lfunc_end1259-_ZN7rocprim17ROCPRIM_400000_NS6detail17trampoline_kernelINS0_14default_configENS1_36segmented_radix_sort_config_selectorIdlEEZNS1_25segmented_radix_sort_implIS3_Lb0EPKdPdPKlPlN2at6native12_GLOBAL__N_18offset_tEEE10hipError_tPvRmT1_PNSt15iterator_traitsISK_E10value_typeET2_T3_PNSL_ISQ_E10value_typeET4_jRbjT5_SW_jjP12ihipStream_tbEUlT_E2_NS1_11comp_targetILNS1_3genE8ELNS1_11target_archE1030ELNS1_3gpuE2ELNS1_3repE0EEENS1_30default_config_static_selectorELNS0_4arch9wavefront6targetE0EEEvSK_
                                        ; -- End function
	.set _ZN7rocprim17ROCPRIM_400000_NS6detail17trampoline_kernelINS0_14default_configENS1_36segmented_radix_sort_config_selectorIdlEEZNS1_25segmented_radix_sort_implIS3_Lb0EPKdPdPKlPlN2at6native12_GLOBAL__N_18offset_tEEE10hipError_tPvRmT1_PNSt15iterator_traitsISK_E10value_typeET2_T3_PNSL_ISQ_E10value_typeET4_jRbjT5_SW_jjP12ihipStream_tbEUlT_E2_NS1_11comp_targetILNS1_3genE8ELNS1_11target_archE1030ELNS1_3gpuE2ELNS1_3repE0EEENS1_30default_config_static_selectorELNS0_4arch9wavefront6targetE0EEEvSK_.num_vgpr, 0
	.set _ZN7rocprim17ROCPRIM_400000_NS6detail17trampoline_kernelINS0_14default_configENS1_36segmented_radix_sort_config_selectorIdlEEZNS1_25segmented_radix_sort_implIS3_Lb0EPKdPdPKlPlN2at6native12_GLOBAL__N_18offset_tEEE10hipError_tPvRmT1_PNSt15iterator_traitsISK_E10value_typeET2_T3_PNSL_ISQ_E10value_typeET4_jRbjT5_SW_jjP12ihipStream_tbEUlT_E2_NS1_11comp_targetILNS1_3genE8ELNS1_11target_archE1030ELNS1_3gpuE2ELNS1_3repE0EEENS1_30default_config_static_selectorELNS0_4arch9wavefront6targetE0EEEvSK_.num_agpr, 0
	.set _ZN7rocprim17ROCPRIM_400000_NS6detail17trampoline_kernelINS0_14default_configENS1_36segmented_radix_sort_config_selectorIdlEEZNS1_25segmented_radix_sort_implIS3_Lb0EPKdPdPKlPlN2at6native12_GLOBAL__N_18offset_tEEE10hipError_tPvRmT1_PNSt15iterator_traitsISK_E10value_typeET2_T3_PNSL_ISQ_E10value_typeET4_jRbjT5_SW_jjP12ihipStream_tbEUlT_E2_NS1_11comp_targetILNS1_3genE8ELNS1_11target_archE1030ELNS1_3gpuE2ELNS1_3repE0EEENS1_30default_config_static_selectorELNS0_4arch9wavefront6targetE0EEEvSK_.numbered_sgpr, 0
	.set _ZN7rocprim17ROCPRIM_400000_NS6detail17trampoline_kernelINS0_14default_configENS1_36segmented_radix_sort_config_selectorIdlEEZNS1_25segmented_radix_sort_implIS3_Lb0EPKdPdPKlPlN2at6native12_GLOBAL__N_18offset_tEEE10hipError_tPvRmT1_PNSt15iterator_traitsISK_E10value_typeET2_T3_PNSL_ISQ_E10value_typeET4_jRbjT5_SW_jjP12ihipStream_tbEUlT_E2_NS1_11comp_targetILNS1_3genE8ELNS1_11target_archE1030ELNS1_3gpuE2ELNS1_3repE0EEENS1_30default_config_static_selectorELNS0_4arch9wavefront6targetE0EEEvSK_.num_named_barrier, 0
	.set _ZN7rocprim17ROCPRIM_400000_NS6detail17trampoline_kernelINS0_14default_configENS1_36segmented_radix_sort_config_selectorIdlEEZNS1_25segmented_radix_sort_implIS3_Lb0EPKdPdPKlPlN2at6native12_GLOBAL__N_18offset_tEEE10hipError_tPvRmT1_PNSt15iterator_traitsISK_E10value_typeET2_T3_PNSL_ISQ_E10value_typeET4_jRbjT5_SW_jjP12ihipStream_tbEUlT_E2_NS1_11comp_targetILNS1_3genE8ELNS1_11target_archE1030ELNS1_3gpuE2ELNS1_3repE0EEENS1_30default_config_static_selectorELNS0_4arch9wavefront6targetE0EEEvSK_.private_seg_size, 0
	.set _ZN7rocprim17ROCPRIM_400000_NS6detail17trampoline_kernelINS0_14default_configENS1_36segmented_radix_sort_config_selectorIdlEEZNS1_25segmented_radix_sort_implIS3_Lb0EPKdPdPKlPlN2at6native12_GLOBAL__N_18offset_tEEE10hipError_tPvRmT1_PNSt15iterator_traitsISK_E10value_typeET2_T3_PNSL_ISQ_E10value_typeET4_jRbjT5_SW_jjP12ihipStream_tbEUlT_E2_NS1_11comp_targetILNS1_3genE8ELNS1_11target_archE1030ELNS1_3gpuE2ELNS1_3repE0EEENS1_30default_config_static_selectorELNS0_4arch9wavefront6targetE0EEEvSK_.uses_vcc, 0
	.set _ZN7rocprim17ROCPRIM_400000_NS6detail17trampoline_kernelINS0_14default_configENS1_36segmented_radix_sort_config_selectorIdlEEZNS1_25segmented_radix_sort_implIS3_Lb0EPKdPdPKlPlN2at6native12_GLOBAL__N_18offset_tEEE10hipError_tPvRmT1_PNSt15iterator_traitsISK_E10value_typeET2_T3_PNSL_ISQ_E10value_typeET4_jRbjT5_SW_jjP12ihipStream_tbEUlT_E2_NS1_11comp_targetILNS1_3genE8ELNS1_11target_archE1030ELNS1_3gpuE2ELNS1_3repE0EEENS1_30default_config_static_selectorELNS0_4arch9wavefront6targetE0EEEvSK_.uses_flat_scratch, 0
	.set _ZN7rocprim17ROCPRIM_400000_NS6detail17trampoline_kernelINS0_14default_configENS1_36segmented_radix_sort_config_selectorIdlEEZNS1_25segmented_radix_sort_implIS3_Lb0EPKdPdPKlPlN2at6native12_GLOBAL__N_18offset_tEEE10hipError_tPvRmT1_PNSt15iterator_traitsISK_E10value_typeET2_T3_PNSL_ISQ_E10value_typeET4_jRbjT5_SW_jjP12ihipStream_tbEUlT_E2_NS1_11comp_targetILNS1_3genE8ELNS1_11target_archE1030ELNS1_3gpuE2ELNS1_3repE0EEENS1_30default_config_static_selectorELNS0_4arch9wavefront6targetE0EEEvSK_.has_dyn_sized_stack, 0
	.set _ZN7rocprim17ROCPRIM_400000_NS6detail17trampoline_kernelINS0_14default_configENS1_36segmented_radix_sort_config_selectorIdlEEZNS1_25segmented_radix_sort_implIS3_Lb0EPKdPdPKlPlN2at6native12_GLOBAL__N_18offset_tEEE10hipError_tPvRmT1_PNSt15iterator_traitsISK_E10value_typeET2_T3_PNSL_ISQ_E10value_typeET4_jRbjT5_SW_jjP12ihipStream_tbEUlT_E2_NS1_11comp_targetILNS1_3genE8ELNS1_11target_archE1030ELNS1_3gpuE2ELNS1_3repE0EEENS1_30default_config_static_selectorELNS0_4arch9wavefront6targetE0EEEvSK_.has_recursion, 0
	.set _ZN7rocprim17ROCPRIM_400000_NS6detail17trampoline_kernelINS0_14default_configENS1_36segmented_radix_sort_config_selectorIdlEEZNS1_25segmented_radix_sort_implIS3_Lb0EPKdPdPKlPlN2at6native12_GLOBAL__N_18offset_tEEE10hipError_tPvRmT1_PNSt15iterator_traitsISK_E10value_typeET2_T3_PNSL_ISQ_E10value_typeET4_jRbjT5_SW_jjP12ihipStream_tbEUlT_E2_NS1_11comp_targetILNS1_3genE8ELNS1_11target_archE1030ELNS1_3gpuE2ELNS1_3repE0EEENS1_30default_config_static_selectorELNS0_4arch9wavefront6targetE0EEEvSK_.has_indirect_call, 0
	.section	.AMDGPU.csdata,"",@progbits
; Kernel info:
; codeLenInByte = 0
; TotalNumSgprs: 0
; NumVgprs: 0
; ScratchSize: 0
; MemoryBound: 0
; FloatMode: 240
; IeeeMode: 1
; LDSByteSize: 0 bytes/workgroup (compile time only)
; SGPRBlocks: 0
; VGPRBlocks: 0
; NumSGPRsForWavesPerEU: 1
; NumVGPRsForWavesPerEU: 1
; Occupancy: 16
; WaveLimiterHint : 0
; COMPUTE_PGM_RSRC2:SCRATCH_EN: 0
; COMPUTE_PGM_RSRC2:USER_SGPR: 2
; COMPUTE_PGM_RSRC2:TRAP_HANDLER: 0
; COMPUTE_PGM_RSRC2:TGID_X_EN: 1
; COMPUTE_PGM_RSRC2:TGID_Y_EN: 0
; COMPUTE_PGM_RSRC2:TGID_Z_EN: 0
; COMPUTE_PGM_RSRC2:TIDIG_COMP_CNT: 0
	.section	.text._ZN2at6native12_GLOBAL__N_123sort_postprocess_kernelIfEEvPKT_PS3_PlPK15HIP_vector_typeIiLj2EEii,"axG",@progbits,_ZN2at6native12_GLOBAL__N_123sort_postprocess_kernelIfEEvPKT_PS3_PlPK15HIP_vector_typeIiLj2EEii,comdat
	.globl	_ZN2at6native12_GLOBAL__N_123sort_postprocess_kernelIfEEvPKT_PS3_PlPK15HIP_vector_typeIiLj2EEii ; -- Begin function _ZN2at6native12_GLOBAL__N_123sort_postprocess_kernelIfEEvPKT_PS3_PlPK15HIP_vector_typeIiLj2EEii
	.p2align	8
	.type	_ZN2at6native12_GLOBAL__N_123sort_postprocess_kernelIfEEvPKT_PS3_PlPK15HIP_vector_typeIiLj2EEii,@function
_ZN2at6native12_GLOBAL__N_123sort_postprocess_kernelIfEEvPKT_PS3_PlPK15HIP_vector_typeIiLj2EEii: ; @_ZN2at6native12_GLOBAL__N_123sort_postprocess_kernelIfEEvPKT_PS3_PlPK15HIP_vector_typeIiLj2EEii
; %bb.0:
	s_clause 0x1
	s_load_b32 s6, s[0:1], 0x34
	s_load_b64 s[4:5], s[0:1], 0x20
	s_mov_b32 s3, 0
	s_mov_b32 s2, ttmp9
	s_mov_b32 s17, s3
	s_wait_kmcnt 0x0
	s_and_b32 s16, s6, 0xffff
	s_mul_i32 s14, s5, s4
	s_mul_u64 s[12:13], s[16:17], s[2:3]
	s_ashr_i32 s15, s14, 31
	v_add_co_u32 v1, s2, s12, v0
	s_delay_alu instid0(VALU_DEP_1) | instskip(NEXT) | instid1(VALU_DEP_1)
	v_add_co_ci_u32_e64 v2, null, s13, 0, s2
	v_cmp_gt_i64_e32 vcc_lo, s[14:15], v[1:2]
	v_mov_b32_e32 v1, 0
	s_and_saveexec_b32 s2, vcc_lo
	s_cbranch_execz .LBB1260_3
; %bb.1:
	s_abs_i32 s2, s5
	s_wait_alu 0xfffe
	s_cvt_f32_u32 s4, s2
	s_delay_alu instid0(SALU_CYCLE_3) | instskip(SKIP_4) | instid1(TRANS32_DEP_1)
	v_rcp_iflag_f32_e32 v2, s4
	s_add_nc_u64 s[4:5], s[0:1], 40
	s_load_b32 s17, s[4:5], 0x0
	s_load_b256 s[4:11], s[0:1], 0x0
	s_sub_co_i32 s1, 0, s2
	v_readfirstlane_b32 s0, v2
	s_mul_f32 s0, s0, 0x4f7ffffe
	s_delay_alu instid0(SALU_CYCLE_3) | instskip(NEXT) | instid1(SALU_CYCLE_3)
	s_cvt_u32_f32 s0, s0
	s_mul_i32 s1, s1, s0
	s_delay_alu instid0(SALU_CYCLE_1)
	s_mul_hi_u32 s18, s0, s1
	s_wait_kmcnt 0x0
	s_mul_i32 s1, s17, s16
	s_add_co_i32 s17, s0, s18
	s_mul_i32 s16, ttmp9, s16
.LBB1260_2:                             ; =>This Inner Loop Header: Depth=1
	s_delay_alu instid0(SALU_CYCLE_1) | instskip(NEXT) | instid1(VALU_DEP_1)
	v_add_nc_u32_e32 v2, s16, v0
	v_sub_nc_u32_e32 v3, 0, v2
	v_ashrrev_i32_e32 v5, 31, v2
	s_delay_alu instid0(VALU_DEP_2) | instskip(NEXT) | instid1(VALU_DEP_1)
	v_max_i32_e32 v3, v2, v3
	v_mul_hi_u32 v4, v3, s17
	s_delay_alu instid0(VALU_DEP_1) | instskip(NEXT) | instid1(VALU_DEP_1)
	v_mul_lo_u32 v4, v4, s2
	v_sub_nc_u32_e32 v3, v3, v4
	s_delay_alu instid0(VALU_DEP_1) | instskip(SKIP_2) | instid1(VALU_DEP_2)
	v_subrev_nc_u32_e32 v4, s2, v3
	v_cmp_le_u32_e32 vcc_lo, s2, v3
	s_wait_alu 0xfffd
	v_dual_cndmask_b32 v3, v3, v4 :: v_dual_add_nc_u32 v2, v2, v5
	s_delay_alu instid0(VALU_DEP_1) | instskip(SKIP_2) | instid1(VALU_DEP_2)
	v_subrev_nc_u32_e32 v4, s2, v3
	v_cmp_le_u32_e32 vcc_lo, s2, v3
	s_wait_alu 0xfffd
	v_cndmask_b32_e32 v3, v3, v4, vcc_lo
	s_delay_alu instid0(VALU_DEP_1) | instskip(NEXT) | instid1(VALU_DEP_1)
	v_xor_b32_e32 v3, v3, v5
	v_sub_nc_u32_e32 v2, v2, v3
	v_sub_nc_u32_e32 v4, v3, v5
	s_delay_alu instid0(VALU_DEP_2) | instskip(NEXT) | instid1(VALU_DEP_2)
	v_ashrrev_i32_e32 v3, 31, v2
	v_ashrrev_i32_e32 v5, 31, v4
	s_delay_alu instid0(VALU_DEP_2) | instskip(NEXT) | instid1(VALU_DEP_2)
	v_lshlrev_b64_e32 v[6:7], 3, v[2:3]
	v_lshlrev_b64_e32 v[8:9], 3, v[4:5]
	v_lshlrev_b64_e32 v[2:3], 2, v[2:3]
	v_lshlrev_b64_e32 v[4:5], 2, v[4:5]
	s_delay_alu instid0(VALU_DEP_4) | instskip(SKIP_3) | instid1(VALU_DEP_3)
	v_add_co_u32 v10, vcc_lo, s10, v6
	s_wait_alu 0xfffd
	v_add_co_ci_u32_e64 v11, null, s11, v7, vcc_lo
	v_add_co_u32 v6, s0, s8, v6
	v_add_co_u32 v10, vcc_lo, v10, v8
	s_wait_alu 0xfffd
	s_delay_alu instid0(VALU_DEP_3)
	v_add_co_ci_u32_e64 v11, null, v11, v9, vcc_lo
	v_add_co_u32 v14, vcc_lo, s4, v2
	s_wait_alu 0xfffd
	v_add_co_ci_u32_e64 v15, null, s5, v3, vcc_lo
	global_load_b32 v10, v[10:11], off offset:4
	s_wait_alu 0xf1ff
	v_add_co_ci_u32_e64 v7, null, s9, v7, s0
	s_wait_loadcnt 0x0
	v_ashrrev_i32_e32 v11, 31, v10
	s_delay_alu instid0(VALU_DEP_1) | instskip(NEXT) | instid1(VALU_DEP_1)
	v_lshlrev_b64_e32 v[12:13], 2, v[10:11]
	v_add_co_u32 v12, vcc_lo, v14, v12
	s_wait_alu 0xfffd
	s_delay_alu instid0(VALU_DEP_2)
	v_add_co_ci_u32_e64 v13, null, v15, v13, vcc_lo
	v_add_co_u32 v0, vcc_lo, v0, s1
	s_wait_alu 0xfffd
	v_add_co_ci_u32_e64 v1, null, 0, v1, vcc_lo
	global_load_b32 v14, v[12:13], off
	v_add_co_u32 v12, vcc_lo, s12, v0
	s_wait_alu 0xfffd
	v_add_co_ci_u32_e64 v13, null, s13, v1, vcc_lo
	s_delay_alu instid0(VALU_DEP_1)
	v_cmp_le_i64_e32 vcc_lo, s[14:15], v[12:13]
	v_add_co_u32 v12, s0, s6, v2
	s_wait_alu 0xf1ff
	v_add_co_ci_u32_e64 v13, null, s7, v3, s0
	v_add_co_u32 v2, s0, v6, v8
	s_wait_alu 0xf1ff
	v_add_co_ci_u32_e64 v3, null, v7, v9, s0
	;; [unrolled: 3-line block ×3, first 2 shown]
	s_or_b32 s3, vcc_lo, s3
	global_store_b64 v[2:3], v[10:11], off
	s_wait_loadcnt 0x0
	global_store_b32 v[4:5], v14, off
	s_wait_alu 0xfffe
	s_and_not1_b32 exec_lo, exec_lo, s3
	s_cbranch_execnz .LBB1260_2
.LBB1260_3:
	s_endpgm
	.section	.rodata,"a",@progbits
	.p2align	6, 0x0
	.amdhsa_kernel _ZN2at6native12_GLOBAL__N_123sort_postprocess_kernelIfEEvPKT_PS3_PlPK15HIP_vector_typeIiLj2EEii
		.amdhsa_group_segment_fixed_size 0
		.amdhsa_private_segment_fixed_size 0
		.amdhsa_kernarg_size 296
		.amdhsa_user_sgpr_count 2
		.amdhsa_user_sgpr_dispatch_ptr 0
		.amdhsa_user_sgpr_queue_ptr 0
		.amdhsa_user_sgpr_kernarg_segment_ptr 1
		.amdhsa_user_sgpr_dispatch_id 0
		.amdhsa_user_sgpr_private_segment_size 0
		.amdhsa_wavefront_size32 1
		.amdhsa_uses_dynamic_stack 0
		.amdhsa_enable_private_segment 0
		.amdhsa_system_sgpr_workgroup_id_x 1
		.amdhsa_system_sgpr_workgroup_id_y 0
		.amdhsa_system_sgpr_workgroup_id_z 0
		.amdhsa_system_sgpr_workgroup_info 0
		.amdhsa_system_vgpr_workitem_id 0
		.amdhsa_next_free_vgpr 16
		.amdhsa_next_free_sgpr 19
		.amdhsa_reserve_vcc 1
		.amdhsa_float_round_mode_32 0
		.amdhsa_float_round_mode_16_64 0
		.amdhsa_float_denorm_mode_32 3
		.amdhsa_float_denorm_mode_16_64 3
		.amdhsa_fp16_overflow 0
		.amdhsa_workgroup_processor_mode 1
		.amdhsa_memory_ordered 1
		.amdhsa_forward_progress 1
		.amdhsa_inst_pref_size 5
		.amdhsa_round_robin_scheduling 0
		.amdhsa_exception_fp_ieee_invalid_op 0
		.amdhsa_exception_fp_denorm_src 0
		.amdhsa_exception_fp_ieee_div_zero 0
		.amdhsa_exception_fp_ieee_overflow 0
		.amdhsa_exception_fp_ieee_underflow 0
		.amdhsa_exception_fp_ieee_inexact 0
		.amdhsa_exception_int_div_zero 0
	.end_amdhsa_kernel
	.section	.text._ZN2at6native12_GLOBAL__N_123sort_postprocess_kernelIfEEvPKT_PS3_PlPK15HIP_vector_typeIiLj2EEii,"axG",@progbits,_ZN2at6native12_GLOBAL__N_123sort_postprocess_kernelIfEEvPKT_PS3_PlPK15HIP_vector_typeIiLj2EEii,comdat
.Lfunc_end1260:
	.size	_ZN2at6native12_GLOBAL__N_123sort_postprocess_kernelIfEEvPKT_PS3_PlPK15HIP_vector_typeIiLj2EEii, .Lfunc_end1260-_ZN2at6native12_GLOBAL__N_123sort_postprocess_kernelIfEEvPKT_PS3_PlPK15HIP_vector_typeIiLj2EEii
                                        ; -- End function
	.set _ZN2at6native12_GLOBAL__N_123sort_postprocess_kernelIfEEvPKT_PS3_PlPK15HIP_vector_typeIiLj2EEii.num_vgpr, 16
	.set _ZN2at6native12_GLOBAL__N_123sort_postprocess_kernelIfEEvPKT_PS3_PlPK15HIP_vector_typeIiLj2EEii.num_agpr, 0
	.set _ZN2at6native12_GLOBAL__N_123sort_postprocess_kernelIfEEvPKT_PS3_PlPK15HIP_vector_typeIiLj2EEii.numbered_sgpr, 19
	.set _ZN2at6native12_GLOBAL__N_123sort_postprocess_kernelIfEEvPKT_PS3_PlPK15HIP_vector_typeIiLj2EEii.num_named_barrier, 0
	.set _ZN2at6native12_GLOBAL__N_123sort_postprocess_kernelIfEEvPKT_PS3_PlPK15HIP_vector_typeIiLj2EEii.private_seg_size, 0
	.set _ZN2at6native12_GLOBAL__N_123sort_postprocess_kernelIfEEvPKT_PS3_PlPK15HIP_vector_typeIiLj2EEii.uses_vcc, 1
	.set _ZN2at6native12_GLOBAL__N_123sort_postprocess_kernelIfEEvPKT_PS3_PlPK15HIP_vector_typeIiLj2EEii.uses_flat_scratch, 0
	.set _ZN2at6native12_GLOBAL__N_123sort_postprocess_kernelIfEEvPKT_PS3_PlPK15HIP_vector_typeIiLj2EEii.has_dyn_sized_stack, 0
	.set _ZN2at6native12_GLOBAL__N_123sort_postprocess_kernelIfEEvPKT_PS3_PlPK15HIP_vector_typeIiLj2EEii.has_recursion, 0
	.set _ZN2at6native12_GLOBAL__N_123sort_postprocess_kernelIfEEvPKT_PS3_PlPK15HIP_vector_typeIiLj2EEii.has_indirect_call, 0
	.section	.AMDGPU.csdata,"",@progbits
; Kernel info:
; codeLenInByte = 632
; TotalNumSgprs: 21
; NumVgprs: 16
; ScratchSize: 0
; MemoryBound: 0
; FloatMode: 240
; IeeeMode: 1
; LDSByteSize: 0 bytes/workgroup (compile time only)
; SGPRBlocks: 0
; VGPRBlocks: 1
; NumSGPRsForWavesPerEU: 21
; NumVGPRsForWavesPerEU: 16
; Occupancy: 16
; WaveLimiterHint : 1
; COMPUTE_PGM_RSRC2:SCRATCH_EN: 0
; COMPUTE_PGM_RSRC2:USER_SGPR: 2
; COMPUTE_PGM_RSRC2:TRAP_HANDLER: 0
; COMPUTE_PGM_RSRC2:TGID_X_EN: 1
; COMPUTE_PGM_RSRC2:TGID_Y_EN: 0
; COMPUTE_PGM_RSRC2:TGID_Z_EN: 0
; COMPUTE_PGM_RSRC2:TIDIG_COMP_CNT: 0
	.section	.text._ZN7rocprim17ROCPRIM_400000_NS6detail17trampoline_kernelINS0_13select_configILj256ELj13ELNS0_17block_load_methodE3ELS4_3ELS4_3ELNS0_20block_scan_algorithmE0ELj4294967295EEENS1_25partition_config_selectorILNS1_17partition_subalgoE4EjNS0_10empty_typeEbEEZZNS1_14partition_implILS8_4ELb0ES6_15HIP_vector_typeIjLj2EENS0_17counting_iteratorIjlEEPS9_SG_NS0_5tupleIJPjSI_NS0_16reverse_iteratorISI_EEEEENSH_IJSG_SG_SG_EEES9_SI_JZNS1_25segmented_radix_sort_implINS0_14default_configELb1EPKfPfPKlPlN2at6native12_GLOBAL__N_18offset_tEEE10hipError_tPvRmT1_PNSt15iterator_traitsIS12_E10value_typeET2_T3_PNS13_IS18_E10value_typeET4_jRbjT5_S1E_jjP12ihipStream_tbEUljE_ZNSN_ISO_Lb1ESQ_SR_ST_SU_SY_EESZ_S10_S11_S12_S16_S17_S18_S1B_S1C_jS1D_jS1E_S1E_jjS1G_bEUljE0_EEESZ_S10_S11_S18_S1C_S1E_T6_T7_T9_mT8_S1G_bDpT10_ENKUlT_T0_E_clISt17integral_constantIbLb0EES1U_EEDaS1P_S1Q_EUlS1P_E_NS1_11comp_targetILNS1_3genE0ELNS1_11target_archE4294967295ELNS1_3gpuE0ELNS1_3repE0EEENS1_30default_config_static_selectorELNS0_4arch9wavefront6targetE0EEEvS12_,"axG",@progbits,_ZN7rocprim17ROCPRIM_400000_NS6detail17trampoline_kernelINS0_13select_configILj256ELj13ELNS0_17block_load_methodE3ELS4_3ELS4_3ELNS0_20block_scan_algorithmE0ELj4294967295EEENS1_25partition_config_selectorILNS1_17partition_subalgoE4EjNS0_10empty_typeEbEEZZNS1_14partition_implILS8_4ELb0ES6_15HIP_vector_typeIjLj2EENS0_17counting_iteratorIjlEEPS9_SG_NS0_5tupleIJPjSI_NS0_16reverse_iteratorISI_EEEEENSH_IJSG_SG_SG_EEES9_SI_JZNS1_25segmented_radix_sort_implINS0_14default_configELb1EPKfPfPKlPlN2at6native12_GLOBAL__N_18offset_tEEE10hipError_tPvRmT1_PNSt15iterator_traitsIS12_E10value_typeET2_T3_PNS13_IS18_E10value_typeET4_jRbjT5_S1E_jjP12ihipStream_tbEUljE_ZNSN_ISO_Lb1ESQ_SR_ST_SU_SY_EESZ_S10_S11_S12_S16_S17_S18_S1B_S1C_jS1D_jS1E_S1E_jjS1G_bEUljE0_EEESZ_S10_S11_S18_S1C_S1E_T6_T7_T9_mT8_S1G_bDpT10_ENKUlT_T0_E_clISt17integral_constantIbLb0EES1U_EEDaS1P_S1Q_EUlS1P_E_NS1_11comp_targetILNS1_3genE0ELNS1_11target_archE4294967295ELNS1_3gpuE0ELNS1_3repE0EEENS1_30default_config_static_selectorELNS0_4arch9wavefront6targetE0EEEvS12_,comdat
	.globl	_ZN7rocprim17ROCPRIM_400000_NS6detail17trampoline_kernelINS0_13select_configILj256ELj13ELNS0_17block_load_methodE3ELS4_3ELS4_3ELNS0_20block_scan_algorithmE0ELj4294967295EEENS1_25partition_config_selectorILNS1_17partition_subalgoE4EjNS0_10empty_typeEbEEZZNS1_14partition_implILS8_4ELb0ES6_15HIP_vector_typeIjLj2EENS0_17counting_iteratorIjlEEPS9_SG_NS0_5tupleIJPjSI_NS0_16reverse_iteratorISI_EEEEENSH_IJSG_SG_SG_EEES9_SI_JZNS1_25segmented_radix_sort_implINS0_14default_configELb1EPKfPfPKlPlN2at6native12_GLOBAL__N_18offset_tEEE10hipError_tPvRmT1_PNSt15iterator_traitsIS12_E10value_typeET2_T3_PNS13_IS18_E10value_typeET4_jRbjT5_S1E_jjP12ihipStream_tbEUljE_ZNSN_ISO_Lb1ESQ_SR_ST_SU_SY_EESZ_S10_S11_S12_S16_S17_S18_S1B_S1C_jS1D_jS1E_S1E_jjS1G_bEUljE0_EEESZ_S10_S11_S18_S1C_S1E_T6_T7_T9_mT8_S1G_bDpT10_ENKUlT_T0_E_clISt17integral_constantIbLb0EES1U_EEDaS1P_S1Q_EUlS1P_E_NS1_11comp_targetILNS1_3genE0ELNS1_11target_archE4294967295ELNS1_3gpuE0ELNS1_3repE0EEENS1_30default_config_static_selectorELNS0_4arch9wavefront6targetE0EEEvS12_ ; -- Begin function _ZN7rocprim17ROCPRIM_400000_NS6detail17trampoline_kernelINS0_13select_configILj256ELj13ELNS0_17block_load_methodE3ELS4_3ELS4_3ELNS0_20block_scan_algorithmE0ELj4294967295EEENS1_25partition_config_selectorILNS1_17partition_subalgoE4EjNS0_10empty_typeEbEEZZNS1_14partition_implILS8_4ELb0ES6_15HIP_vector_typeIjLj2EENS0_17counting_iteratorIjlEEPS9_SG_NS0_5tupleIJPjSI_NS0_16reverse_iteratorISI_EEEEENSH_IJSG_SG_SG_EEES9_SI_JZNS1_25segmented_radix_sort_implINS0_14default_configELb1EPKfPfPKlPlN2at6native12_GLOBAL__N_18offset_tEEE10hipError_tPvRmT1_PNSt15iterator_traitsIS12_E10value_typeET2_T3_PNS13_IS18_E10value_typeET4_jRbjT5_S1E_jjP12ihipStream_tbEUljE_ZNSN_ISO_Lb1ESQ_SR_ST_SU_SY_EESZ_S10_S11_S12_S16_S17_S18_S1B_S1C_jS1D_jS1E_S1E_jjS1G_bEUljE0_EEESZ_S10_S11_S18_S1C_S1E_T6_T7_T9_mT8_S1G_bDpT10_ENKUlT_T0_E_clISt17integral_constantIbLb0EES1U_EEDaS1P_S1Q_EUlS1P_E_NS1_11comp_targetILNS1_3genE0ELNS1_11target_archE4294967295ELNS1_3gpuE0ELNS1_3repE0EEENS1_30default_config_static_selectorELNS0_4arch9wavefront6targetE0EEEvS12_
	.p2align	8
	.type	_ZN7rocprim17ROCPRIM_400000_NS6detail17trampoline_kernelINS0_13select_configILj256ELj13ELNS0_17block_load_methodE3ELS4_3ELS4_3ELNS0_20block_scan_algorithmE0ELj4294967295EEENS1_25partition_config_selectorILNS1_17partition_subalgoE4EjNS0_10empty_typeEbEEZZNS1_14partition_implILS8_4ELb0ES6_15HIP_vector_typeIjLj2EENS0_17counting_iteratorIjlEEPS9_SG_NS0_5tupleIJPjSI_NS0_16reverse_iteratorISI_EEEEENSH_IJSG_SG_SG_EEES9_SI_JZNS1_25segmented_radix_sort_implINS0_14default_configELb1EPKfPfPKlPlN2at6native12_GLOBAL__N_18offset_tEEE10hipError_tPvRmT1_PNSt15iterator_traitsIS12_E10value_typeET2_T3_PNS13_IS18_E10value_typeET4_jRbjT5_S1E_jjP12ihipStream_tbEUljE_ZNSN_ISO_Lb1ESQ_SR_ST_SU_SY_EESZ_S10_S11_S12_S16_S17_S18_S1B_S1C_jS1D_jS1E_S1E_jjS1G_bEUljE0_EEESZ_S10_S11_S18_S1C_S1E_T6_T7_T9_mT8_S1G_bDpT10_ENKUlT_T0_E_clISt17integral_constantIbLb0EES1U_EEDaS1P_S1Q_EUlS1P_E_NS1_11comp_targetILNS1_3genE0ELNS1_11target_archE4294967295ELNS1_3gpuE0ELNS1_3repE0EEENS1_30default_config_static_selectorELNS0_4arch9wavefront6targetE0EEEvS12_,@function
_ZN7rocprim17ROCPRIM_400000_NS6detail17trampoline_kernelINS0_13select_configILj256ELj13ELNS0_17block_load_methodE3ELS4_3ELS4_3ELNS0_20block_scan_algorithmE0ELj4294967295EEENS1_25partition_config_selectorILNS1_17partition_subalgoE4EjNS0_10empty_typeEbEEZZNS1_14partition_implILS8_4ELb0ES6_15HIP_vector_typeIjLj2EENS0_17counting_iteratorIjlEEPS9_SG_NS0_5tupleIJPjSI_NS0_16reverse_iteratorISI_EEEEENSH_IJSG_SG_SG_EEES9_SI_JZNS1_25segmented_radix_sort_implINS0_14default_configELb1EPKfPfPKlPlN2at6native12_GLOBAL__N_18offset_tEEE10hipError_tPvRmT1_PNSt15iterator_traitsIS12_E10value_typeET2_T3_PNS13_IS18_E10value_typeET4_jRbjT5_S1E_jjP12ihipStream_tbEUljE_ZNSN_ISO_Lb1ESQ_SR_ST_SU_SY_EESZ_S10_S11_S12_S16_S17_S18_S1B_S1C_jS1D_jS1E_S1E_jjS1G_bEUljE0_EEESZ_S10_S11_S18_S1C_S1E_T6_T7_T9_mT8_S1G_bDpT10_ENKUlT_T0_E_clISt17integral_constantIbLb0EES1U_EEDaS1P_S1Q_EUlS1P_E_NS1_11comp_targetILNS1_3genE0ELNS1_11target_archE4294967295ELNS1_3gpuE0ELNS1_3repE0EEENS1_30default_config_static_selectorELNS0_4arch9wavefront6targetE0EEEvS12_: ; @_ZN7rocprim17ROCPRIM_400000_NS6detail17trampoline_kernelINS0_13select_configILj256ELj13ELNS0_17block_load_methodE3ELS4_3ELS4_3ELNS0_20block_scan_algorithmE0ELj4294967295EEENS1_25partition_config_selectorILNS1_17partition_subalgoE4EjNS0_10empty_typeEbEEZZNS1_14partition_implILS8_4ELb0ES6_15HIP_vector_typeIjLj2EENS0_17counting_iteratorIjlEEPS9_SG_NS0_5tupleIJPjSI_NS0_16reverse_iteratorISI_EEEEENSH_IJSG_SG_SG_EEES9_SI_JZNS1_25segmented_radix_sort_implINS0_14default_configELb1EPKfPfPKlPlN2at6native12_GLOBAL__N_18offset_tEEE10hipError_tPvRmT1_PNSt15iterator_traitsIS12_E10value_typeET2_T3_PNS13_IS18_E10value_typeET4_jRbjT5_S1E_jjP12ihipStream_tbEUljE_ZNSN_ISO_Lb1ESQ_SR_ST_SU_SY_EESZ_S10_S11_S12_S16_S17_S18_S1B_S1C_jS1D_jS1E_S1E_jjS1G_bEUljE0_EEESZ_S10_S11_S18_S1C_S1E_T6_T7_T9_mT8_S1G_bDpT10_ENKUlT_T0_E_clISt17integral_constantIbLb0EES1U_EEDaS1P_S1Q_EUlS1P_E_NS1_11comp_targetILNS1_3genE0ELNS1_11target_archE4294967295ELNS1_3gpuE0ELNS1_3repE0EEENS1_30default_config_static_selectorELNS0_4arch9wavefront6targetE0EEEvS12_
; %bb.0:
	.section	.rodata,"a",@progbits
	.p2align	6, 0x0
	.amdhsa_kernel _ZN7rocprim17ROCPRIM_400000_NS6detail17trampoline_kernelINS0_13select_configILj256ELj13ELNS0_17block_load_methodE3ELS4_3ELS4_3ELNS0_20block_scan_algorithmE0ELj4294967295EEENS1_25partition_config_selectorILNS1_17partition_subalgoE4EjNS0_10empty_typeEbEEZZNS1_14partition_implILS8_4ELb0ES6_15HIP_vector_typeIjLj2EENS0_17counting_iteratorIjlEEPS9_SG_NS0_5tupleIJPjSI_NS0_16reverse_iteratorISI_EEEEENSH_IJSG_SG_SG_EEES9_SI_JZNS1_25segmented_radix_sort_implINS0_14default_configELb1EPKfPfPKlPlN2at6native12_GLOBAL__N_18offset_tEEE10hipError_tPvRmT1_PNSt15iterator_traitsIS12_E10value_typeET2_T3_PNS13_IS18_E10value_typeET4_jRbjT5_S1E_jjP12ihipStream_tbEUljE_ZNSN_ISO_Lb1ESQ_SR_ST_SU_SY_EESZ_S10_S11_S12_S16_S17_S18_S1B_S1C_jS1D_jS1E_S1E_jjS1G_bEUljE0_EEESZ_S10_S11_S18_S1C_S1E_T6_T7_T9_mT8_S1G_bDpT10_ENKUlT_T0_E_clISt17integral_constantIbLb0EES1U_EEDaS1P_S1Q_EUlS1P_E_NS1_11comp_targetILNS1_3genE0ELNS1_11target_archE4294967295ELNS1_3gpuE0ELNS1_3repE0EEENS1_30default_config_static_selectorELNS0_4arch9wavefront6targetE0EEEvS12_
		.amdhsa_group_segment_fixed_size 0
		.amdhsa_private_segment_fixed_size 0
		.amdhsa_kernarg_size 176
		.amdhsa_user_sgpr_count 2
		.amdhsa_user_sgpr_dispatch_ptr 0
		.amdhsa_user_sgpr_queue_ptr 0
		.amdhsa_user_sgpr_kernarg_segment_ptr 1
		.amdhsa_user_sgpr_dispatch_id 0
		.amdhsa_user_sgpr_private_segment_size 0
		.amdhsa_wavefront_size32 1
		.amdhsa_uses_dynamic_stack 0
		.amdhsa_enable_private_segment 0
		.amdhsa_system_sgpr_workgroup_id_x 1
		.amdhsa_system_sgpr_workgroup_id_y 0
		.amdhsa_system_sgpr_workgroup_id_z 0
		.amdhsa_system_sgpr_workgroup_info 0
		.amdhsa_system_vgpr_workitem_id 0
		.amdhsa_next_free_vgpr 1
		.amdhsa_next_free_sgpr 1
		.amdhsa_reserve_vcc 0
		.amdhsa_float_round_mode_32 0
		.amdhsa_float_round_mode_16_64 0
		.amdhsa_float_denorm_mode_32 3
		.amdhsa_float_denorm_mode_16_64 3
		.amdhsa_fp16_overflow 0
		.amdhsa_workgroup_processor_mode 1
		.amdhsa_memory_ordered 1
		.amdhsa_forward_progress 1
		.amdhsa_inst_pref_size 0
		.amdhsa_round_robin_scheduling 0
		.amdhsa_exception_fp_ieee_invalid_op 0
		.amdhsa_exception_fp_denorm_src 0
		.amdhsa_exception_fp_ieee_div_zero 0
		.amdhsa_exception_fp_ieee_overflow 0
		.amdhsa_exception_fp_ieee_underflow 0
		.amdhsa_exception_fp_ieee_inexact 0
		.amdhsa_exception_int_div_zero 0
	.end_amdhsa_kernel
	.section	.text._ZN7rocprim17ROCPRIM_400000_NS6detail17trampoline_kernelINS0_13select_configILj256ELj13ELNS0_17block_load_methodE3ELS4_3ELS4_3ELNS0_20block_scan_algorithmE0ELj4294967295EEENS1_25partition_config_selectorILNS1_17partition_subalgoE4EjNS0_10empty_typeEbEEZZNS1_14partition_implILS8_4ELb0ES6_15HIP_vector_typeIjLj2EENS0_17counting_iteratorIjlEEPS9_SG_NS0_5tupleIJPjSI_NS0_16reverse_iteratorISI_EEEEENSH_IJSG_SG_SG_EEES9_SI_JZNS1_25segmented_radix_sort_implINS0_14default_configELb1EPKfPfPKlPlN2at6native12_GLOBAL__N_18offset_tEEE10hipError_tPvRmT1_PNSt15iterator_traitsIS12_E10value_typeET2_T3_PNS13_IS18_E10value_typeET4_jRbjT5_S1E_jjP12ihipStream_tbEUljE_ZNSN_ISO_Lb1ESQ_SR_ST_SU_SY_EESZ_S10_S11_S12_S16_S17_S18_S1B_S1C_jS1D_jS1E_S1E_jjS1G_bEUljE0_EEESZ_S10_S11_S18_S1C_S1E_T6_T7_T9_mT8_S1G_bDpT10_ENKUlT_T0_E_clISt17integral_constantIbLb0EES1U_EEDaS1P_S1Q_EUlS1P_E_NS1_11comp_targetILNS1_3genE0ELNS1_11target_archE4294967295ELNS1_3gpuE0ELNS1_3repE0EEENS1_30default_config_static_selectorELNS0_4arch9wavefront6targetE0EEEvS12_,"axG",@progbits,_ZN7rocprim17ROCPRIM_400000_NS6detail17trampoline_kernelINS0_13select_configILj256ELj13ELNS0_17block_load_methodE3ELS4_3ELS4_3ELNS0_20block_scan_algorithmE0ELj4294967295EEENS1_25partition_config_selectorILNS1_17partition_subalgoE4EjNS0_10empty_typeEbEEZZNS1_14partition_implILS8_4ELb0ES6_15HIP_vector_typeIjLj2EENS0_17counting_iteratorIjlEEPS9_SG_NS0_5tupleIJPjSI_NS0_16reverse_iteratorISI_EEEEENSH_IJSG_SG_SG_EEES9_SI_JZNS1_25segmented_radix_sort_implINS0_14default_configELb1EPKfPfPKlPlN2at6native12_GLOBAL__N_18offset_tEEE10hipError_tPvRmT1_PNSt15iterator_traitsIS12_E10value_typeET2_T3_PNS13_IS18_E10value_typeET4_jRbjT5_S1E_jjP12ihipStream_tbEUljE_ZNSN_ISO_Lb1ESQ_SR_ST_SU_SY_EESZ_S10_S11_S12_S16_S17_S18_S1B_S1C_jS1D_jS1E_S1E_jjS1G_bEUljE0_EEESZ_S10_S11_S18_S1C_S1E_T6_T7_T9_mT8_S1G_bDpT10_ENKUlT_T0_E_clISt17integral_constantIbLb0EES1U_EEDaS1P_S1Q_EUlS1P_E_NS1_11comp_targetILNS1_3genE0ELNS1_11target_archE4294967295ELNS1_3gpuE0ELNS1_3repE0EEENS1_30default_config_static_selectorELNS0_4arch9wavefront6targetE0EEEvS12_,comdat
.Lfunc_end1261:
	.size	_ZN7rocprim17ROCPRIM_400000_NS6detail17trampoline_kernelINS0_13select_configILj256ELj13ELNS0_17block_load_methodE3ELS4_3ELS4_3ELNS0_20block_scan_algorithmE0ELj4294967295EEENS1_25partition_config_selectorILNS1_17partition_subalgoE4EjNS0_10empty_typeEbEEZZNS1_14partition_implILS8_4ELb0ES6_15HIP_vector_typeIjLj2EENS0_17counting_iteratorIjlEEPS9_SG_NS0_5tupleIJPjSI_NS0_16reverse_iteratorISI_EEEEENSH_IJSG_SG_SG_EEES9_SI_JZNS1_25segmented_radix_sort_implINS0_14default_configELb1EPKfPfPKlPlN2at6native12_GLOBAL__N_18offset_tEEE10hipError_tPvRmT1_PNSt15iterator_traitsIS12_E10value_typeET2_T3_PNS13_IS18_E10value_typeET4_jRbjT5_S1E_jjP12ihipStream_tbEUljE_ZNSN_ISO_Lb1ESQ_SR_ST_SU_SY_EESZ_S10_S11_S12_S16_S17_S18_S1B_S1C_jS1D_jS1E_S1E_jjS1G_bEUljE0_EEESZ_S10_S11_S18_S1C_S1E_T6_T7_T9_mT8_S1G_bDpT10_ENKUlT_T0_E_clISt17integral_constantIbLb0EES1U_EEDaS1P_S1Q_EUlS1P_E_NS1_11comp_targetILNS1_3genE0ELNS1_11target_archE4294967295ELNS1_3gpuE0ELNS1_3repE0EEENS1_30default_config_static_selectorELNS0_4arch9wavefront6targetE0EEEvS12_, .Lfunc_end1261-_ZN7rocprim17ROCPRIM_400000_NS6detail17trampoline_kernelINS0_13select_configILj256ELj13ELNS0_17block_load_methodE3ELS4_3ELS4_3ELNS0_20block_scan_algorithmE0ELj4294967295EEENS1_25partition_config_selectorILNS1_17partition_subalgoE4EjNS0_10empty_typeEbEEZZNS1_14partition_implILS8_4ELb0ES6_15HIP_vector_typeIjLj2EENS0_17counting_iteratorIjlEEPS9_SG_NS0_5tupleIJPjSI_NS0_16reverse_iteratorISI_EEEEENSH_IJSG_SG_SG_EEES9_SI_JZNS1_25segmented_radix_sort_implINS0_14default_configELb1EPKfPfPKlPlN2at6native12_GLOBAL__N_18offset_tEEE10hipError_tPvRmT1_PNSt15iterator_traitsIS12_E10value_typeET2_T3_PNS13_IS18_E10value_typeET4_jRbjT5_S1E_jjP12ihipStream_tbEUljE_ZNSN_ISO_Lb1ESQ_SR_ST_SU_SY_EESZ_S10_S11_S12_S16_S17_S18_S1B_S1C_jS1D_jS1E_S1E_jjS1G_bEUljE0_EEESZ_S10_S11_S18_S1C_S1E_T6_T7_T9_mT8_S1G_bDpT10_ENKUlT_T0_E_clISt17integral_constantIbLb0EES1U_EEDaS1P_S1Q_EUlS1P_E_NS1_11comp_targetILNS1_3genE0ELNS1_11target_archE4294967295ELNS1_3gpuE0ELNS1_3repE0EEENS1_30default_config_static_selectorELNS0_4arch9wavefront6targetE0EEEvS12_
                                        ; -- End function
	.set _ZN7rocprim17ROCPRIM_400000_NS6detail17trampoline_kernelINS0_13select_configILj256ELj13ELNS0_17block_load_methodE3ELS4_3ELS4_3ELNS0_20block_scan_algorithmE0ELj4294967295EEENS1_25partition_config_selectorILNS1_17partition_subalgoE4EjNS0_10empty_typeEbEEZZNS1_14partition_implILS8_4ELb0ES6_15HIP_vector_typeIjLj2EENS0_17counting_iteratorIjlEEPS9_SG_NS0_5tupleIJPjSI_NS0_16reverse_iteratorISI_EEEEENSH_IJSG_SG_SG_EEES9_SI_JZNS1_25segmented_radix_sort_implINS0_14default_configELb1EPKfPfPKlPlN2at6native12_GLOBAL__N_18offset_tEEE10hipError_tPvRmT1_PNSt15iterator_traitsIS12_E10value_typeET2_T3_PNS13_IS18_E10value_typeET4_jRbjT5_S1E_jjP12ihipStream_tbEUljE_ZNSN_ISO_Lb1ESQ_SR_ST_SU_SY_EESZ_S10_S11_S12_S16_S17_S18_S1B_S1C_jS1D_jS1E_S1E_jjS1G_bEUljE0_EEESZ_S10_S11_S18_S1C_S1E_T6_T7_T9_mT8_S1G_bDpT10_ENKUlT_T0_E_clISt17integral_constantIbLb0EES1U_EEDaS1P_S1Q_EUlS1P_E_NS1_11comp_targetILNS1_3genE0ELNS1_11target_archE4294967295ELNS1_3gpuE0ELNS1_3repE0EEENS1_30default_config_static_selectorELNS0_4arch9wavefront6targetE0EEEvS12_.num_vgpr, 0
	.set _ZN7rocprim17ROCPRIM_400000_NS6detail17trampoline_kernelINS0_13select_configILj256ELj13ELNS0_17block_load_methodE3ELS4_3ELS4_3ELNS0_20block_scan_algorithmE0ELj4294967295EEENS1_25partition_config_selectorILNS1_17partition_subalgoE4EjNS0_10empty_typeEbEEZZNS1_14partition_implILS8_4ELb0ES6_15HIP_vector_typeIjLj2EENS0_17counting_iteratorIjlEEPS9_SG_NS0_5tupleIJPjSI_NS0_16reverse_iteratorISI_EEEEENSH_IJSG_SG_SG_EEES9_SI_JZNS1_25segmented_radix_sort_implINS0_14default_configELb1EPKfPfPKlPlN2at6native12_GLOBAL__N_18offset_tEEE10hipError_tPvRmT1_PNSt15iterator_traitsIS12_E10value_typeET2_T3_PNS13_IS18_E10value_typeET4_jRbjT5_S1E_jjP12ihipStream_tbEUljE_ZNSN_ISO_Lb1ESQ_SR_ST_SU_SY_EESZ_S10_S11_S12_S16_S17_S18_S1B_S1C_jS1D_jS1E_S1E_jjS1G_bEUljE0_EEESZ_S10_S11_S18_S1C_S1E_T6_T7_T9_mT8_S1G_bDpT10_ENKUlT_T0_E_clISt17integral_constantIbLb0EES1U_EEDaS1P_S1Q_EUlS1P_E_NS1_11comp_targetILNS1_3genE0ELNS1_11target_archE4294967295ELNS1_3gpuE0ELNS1_3repE0EEENS1_30default_config_static_selectorELNS0_4arch9wavefront6targetE0EEEvS12_.num_agpr, 0
	.set _ZN7rocprim17ROCPRIM_400000_NS6detail17trampoline_kernelINS0_13select_configILj256ELj13ELNS0_17block_load_methodE3ELS4_3ELS4_3ELNS0_20block_scan_algorithmE0ELj4294967295EEENS1_25partition_config_selectorILNS1_17partition_subalgoE4EjNS0_10empty_typeEbEEZZNS1_14partition_implILS8_4ELb0ES6_15HIP_vector_typeIjLj2EENS0_17counting_iteratorIjlEEPS9_SG_NS0_5tupleIJPjSI_NS0_16reverse_iteratorISI_EEEEENSH_IJSG_SG_SG_EEES9_SI_JZNS1_25segmented_radix_sort_implINS0_14default_configELb1EPKfPfPKlPlN2at6native12_GLOBAL__N_18offset_tEEE10hipError_tPvRmT1_PNSt15iterator_traitsIS12_E10value_typeET2_T3_PNS13_IS18_E10value_typeET4_jRbjT5_S1E_jjP12ihipStream_tbEUljE_ZNSN_ISO_Lb1ESQ_SR_ST_SU_SY_EESZ_S10_S11_S12_S16_S17_S18_S1B_S1C_jS1D_jS1E_S1E_jjS1G_bEUljE0_EEESZ_S10_S11_S18_S1C_S1E_T6_T7_T9_mT8_S1G_bDpT10_ENKUlT_T0_E_clISt17integral_constantIbLb0EES1U_EEDaS1P_S1Q_EUlS1P_E_NS1_11comp_targetILNS1_3genE0ELNS1_11target_archE4294967295ELNS1_3gpuE0ELNS1_3repE0EEENS1_30default_config_static_selectorELNS0_4arch9wavefront6targetE0EEEvS12_.numbered_sgpr, 0
	.set _ZN7rocprim17ROCPRIM_400000_NS6detail17trampoline_kernelINS0_13select_configILj256ELj13ELNS0_17block_load_methodE3ELS4_3ELS4_3ELNS0_20block_scan_algorithmE0ELj4294967295EEENS1_25partition_config_selectorILNS1_17partition_subalgoE4EjNS0_10empty_typeEbEEZZNS1_14partition_implILS8_4ELb0ES6_15HIP_vector_typeIjLj2EENS0_17counting_iteratorIjlEEPS9_SG_NS0_5tupleIJPjSI_NS0_16reverse_iteratorISI_EEEEENSH_IJSG_SG_SG_EEES9_SI_JZNS1_25segmented_radix_sort_implINS0_14default_configELb1EPKfPfPKlPlN2at6native12_GLOBAL__N_18offset_tEEE10hipError_tPvRmT1_PNSt15iterator_traitsIS12_E10value_typeET2_T3_PNS13_IS18_E10value_typeET4_jRbjT5_S1E_jjP12ihipStream_tbEUljE_ZNSN_ISO_Lb1ESQ_SR_ST_SU_SY_EESZ_S10_S11_S12_S16_S17_S18_S1B_S1C_jS1D_jS1E_S1E_jjS1G_bEUljE0_EEESZ_S10_S11_S18_S1C_S1E_T6_T7_T9_mT8_S1G_bDpT10_ENKUlT_T0_E_clISt17integral_constantIbLb0EES1U_EEDaS1P_S1Q_EUlS1P_E_NS1_11comp_targetILNS1_3genE0ELNS1_11target_archE4294967295ELNS1_3gpuE0ELNS1_3repE0EEENS1_30default_config_static_selectorELNS0_4arch9wavefront6targetE0EEEvS12_.num_named_barrier, 0
	.set _ZN7rocprim17ROCPRIM_400000_NS6detail17trampoline_kernelINS0_13select_configILj256ELj13ELNS0_17block_load_methodE3ELS4_3ELS4_3ELNS0_20block_scan_algorithmE0ELj4294967295EEENS1_25partition_config_selectorILNS1_17partition_subalgoE4EjNS0_10empty_typeEbEEZZNS1_14partition_implILS8_4ELb0ES6_15HIP_vector_typeIjLj2EENS0_17counting_iteratorIjlEEPS9_SG_NS0_5tupleIJPjSI_NS0_16reverse_iteratorISI_EEEEENSH_IJSG_SG_SG_EEES9_SI_JZNS1_25segmented_radix_sort_implINS0_14default_configELb1EPKfPfPKlPlN2at6native12_GLOBAL__N_18offset_tEEE10hipError_tPvRmT1_PNSt15iterator_traitsIS12_E10value_typeET2_T3_PNS13_IS18_E10value_typeET4_jRbjT5_S1E_jjP12ihipStream_tbEUljE_ZNSN_ISO_Lb1ESQ_SR_ST_SU_SY_EESZ_S10_S11_S12_S16_S17_S18_S1B_S1C_jS1D_jS1E_S1E_jjS1G_bEUljE0_EEESZ_S10_S11_S18_S1C_S1E_T6_T7_T9_mT8_S1G_bDpT10_ENKUlT_T0_E_clISt17integral_constantIbLb0EES1U_EEDaS1P_S1Q_EUlS1P_E_NS1_11comp_targetILNS1_3genE0ELNS1_11target_archE4294967295ELNS1_3gpuE0ELNS1_3repE0EEENS1_30default_config_static_selectorELNS0_4arch9wavefront6targetE0EEEvS12_.private_seg_size, 0
	.set _ZN7rocprim17ROCPRIM_400000_NS6detail17trampoline_kernelINS0_13select_configILj256ELj13ELNS0_17block_load_methodE3ELS4_3ELS4_3ELNS0_20block_scan_algorithmE0ELj4294967295EEENS1_25partition_config_selectorILNS1_17partition_subalgoE4EjNS0_10empty_typeEbEEZZNS1_14partition_implILS8_4ELb0ES6_15HIP_vector_typeIjLj2EENS0_17counting_iteratorIjlEEPS9_SG_NS0_5tupleIJPjSI_NS0_16reverse_iteratorISI_EEEEENSH_IJSG_SG_SG_EEES9_SI_JZNS1_25segmented_radix_sort_implINS0_14default_configELb1EPKfPfPKlPlN2at6native12_GLOBAL__N_18offset_tEEE10hipError_tPvRmT1_PNSt15iterator_traitsIS12_E10value_typeET2_T3_PNS13_IS18_E10value_typeET4_jRbjT5_S1E_jjP12ihipStream_tbEUljE_ZNSN_ISO_Lb1ESQ_SR_ST_SU_SY_EESZ_S10_S11_S12_S16_S17_S18_S1B_S1C_jS1D_jS1E_S1E_jjS1G_bEUljE0_EEESZ_S10_S11_S18_S1C_S1E_T6_T7_T9_mT8_S1G_bDpT10_ENKUlT_T0_E_clISt17integral_constantIbLb0EES1U_EEDaS1P_S1Q_EUlS1P_E_NS1_11comp_targetILNS1_3genE0ELNS1_11target_archE4294967295ELNS1_3gpuE0ELNS1_3repE0EEENS1_30default_config_static_selectorELNS0_4arch9wavefront6targetE0EEEvS12_.uses_vcc, 0
	.set _ZN7rocprim17ROCPRIM_400000_NS6detail17trampoline_kernelINS0_13select_configILj256ELj13ELNS0_17block_load_methodE3ELS4_3ELS4_3ELNS0_20block_scan_algorithmE0ELj4294967295EEENS1_25partition_config_selectorILNS1_17partition_subalgoE4EjNS0_10empty_typeEbEEZZNS1_14partition_implILS8_4ELb0ES6_15HIP_vector_typeIjLj2EENS0_17counting_iteratorIjlEEPS9_SG_NS0_5tupleIJPjSI_NS0_16reverse_iteratorISI_EEEEENSH_IJSG_SG_SG_EEES9_SI_JZNS1_25segmented_radix_sort_implINS0_14default_configELb1EPKfPfPKlPlN2at6native12_GLOBAL__N_18offset_tEEE10hipError_tPvRmT1_PNSt15iterator_traitsIS12_E10value_typeET2_T3_PNS13_IS18_E10value_typeET4_jRbjT5_S1E_jjP12ihipStream_tbEUljE_ZNSN_ISO_Lb1ESQ_SR_ST_SU_SY_EESZ_S10_S11_S12_S16_S17_S18_S1B_S1C_jS1D_jS1E_S1E_jjS1G_bEUljE0_EEESZ_S10_S11_S18_S1C_S1E_T6_T7_T9_mT8_S1G_bDpT10_ENKUlT_T0_E_clISt17integral_constantIbLb0EES1U_EEDaS1P_S1Q_EUlS1P_E_NS1_11comp_targetILNS1_3genE0ELNS1_11target_archE4294967295ELNS1_3gpuE0ELNS1_3repE0EEENS1_30default_config_static_selectorELNS0_4arch9wavefront6targetE0EEEvS12_.uses_flat_scratch, 0
	.set _ZN7rocprim17ROCPRIM_400000_NS6detail17trampoline_kernelINS0_13select_configILj256ELj13ELNS0_17block_load_methodE3ELS4_3ELS4_3ELNS0_20block_scan_algorithmE0ELj4294967295EEENS1_25partition_config_selectorILNS1_17partition_subalgoE4EjNS0_10empty_typeEbEEZZNS1_14partition_implILS8_4ELb0ES6_15HIP_vector_typeIjLj2EENS0_17counting_iteratorIjlEEPS9_SG_NS0_5tupleIJPjSI_NS0_16reverse_iteratorISI_EEEEENSH_IJSG_SG_SG_EEES9_SI_JZNS1_25segmented_radix_sort_implINS0_14default_configELb1EPKfPfPKlPlN2at6native12_GLOBAL__N_18offset_tEEE10hipError_tPvRmT1_PNSt15iterator_traitsIS12_E10value_typeET2_T3_PNS13_IS18_E10value_typeET4_jRbjT5_S1E_jjP12ihipStream_tbEUljE_ZNSN_ISO_Lb1ESQ_SR_ST_SU_SY_EESZ_S10_S11_S12_S16_S17_S18_S1B_S1C_jS1D_jS1E_S1E_jjS1G_bEUljE0_EEESZ_S10_S11_S18_S1C_S1E_T6_T7_T9_mT8_S1G_bDpT10_ENKUlT_T0_E_clISt17integral_constantIbLb0EES1U_EEDaS1P_S1Q_EUlS1P_E_NS1_11comp_targetILNS1_3genE0ELNS1_11target_archE4294967295ELNS1_3gpuE0ELNS1_3repE0EEENS1_30default_config_static_selectorELNS0_4arch9wavefront6targetE0EEEvS12_.has_dyn_sized_stack, 0
	.set _ZN7rocprim17ROCPRIM_400000_NS6detail17trampoline_kernelINS0_13select_configILj256ELj13ELNS0_17block_load_methodE3ELS4_3ELS4_3ELNS0_20block_scan_algorithmE0ELj4294967295EEENS1_25partition_config_selectorILNS1_17partition_subalgoE4EjNS0_10empty_typeEbEEZZNS1_14partition_implILS8_4ELb0ES6_15HIP_vector_typeIjLj2EENS0_17counting_iteratorIjlEEPS9_SG_NS0_5tupleIJPjSI_NS0_16reverse_iteratorISI_EEEEENSH_IJSG_SG_SG_EEES9_SI_JZNS1_25segmented_radix_sort_implINS0_14default_configELb1EPKfPfPKlPlN2at6native12_GLOBAL__N_18offset_tEEE10hipError_tPvRmT1_PNSt15iterator_traitsIS12_E10value_typeET2_T3_PNS13_IS18_E10value_typeET4_jRbjT5_S1E_jjP12ihipStream_tbEUljE_ZNSN_ISO_Lb1ESQ_SR_ST_SU_SY_EESZ_S10_S11_S12_S16_S17_S18_S1B_S1C_jS1D_jS1E_S1E_jjS1G_bEUljE0_EEESZ_S10_S11_S18_S1C_S1E_T6_T7_T9_mT8_S1G_bDpT10_ENKUlT_T0_E_clISt17integral_constantIbLb0EES1U_EEDaS1P_S1Q_EUlS1P_E_NS1_11comp_targetILNS1_3genE0ELNS1_11target_archE4294967295ELNS1_3gpuE0ELNS1_3repE0EEENS1_30default_config_static_selectorELNS0_4arch9wavefront6targetE0EEEvS12_.has_recursion, 0
	.set _ZN7rocprim17ROCPRIM_400000_NS6detail17trampoline_kernelINS0_13select_configILj256ELj13ELNS0_17block_load_methodE3ELS4_3ELS4_3ELNS0_20block_scan_algorithmE0ELj4294967295EEENS1_25partition_config_selectorILNS1_17partition_subalgoE4EjNS0_10empty_typeEbEEZZNS1_14partition_implILS8_4ELb0ES6_15HIP_vector_typeIjLj2EENS0_17counting_iteratorIjlEEPS9_SG_NS0_5tupleIJPjSI_NS0_16reverse_iteratorISI_EEEEENSH_IJSG_SG_SG_EEES9_SI_JZNS1_25segmented_radix_sort_implINS0_14default_configELb1EPKfPfPKlPlN2at6native12_GLOBAL__N_18offset_tEEE10hipError_tPvRmT1_PNSt15iterator_traitsIS12_E10value_typeET2_T3_PNS13_IS18_E10value_typeET4_jRbjT5_S1E_jjP12ihipStream_tbEUljE_ZNSN_ISO_Lb1ESQ_SR_ST_SU_SY_EESZ_S10_S11_S12_S16_S17_S18_S1B_S1C_jS1D_jS1E_S1E_jjS1G_bEUljE0_EEESZ_S10_S11_S18_S1C_S1E_T6_T7_T9_mT8_S1G_bDpT10_ENKUlT_T0_E_clISt17integral_constantIbLb0EES1U_EEDaS1P_S1Q_EUlS1P_E_NS1_11comp_targetILNS1_3genE0ELNS1_11target_archE4294967295ELNS1_3gpuE0ELNS1_3repE0EEENS1_30default_config_static_selectorELNS0_4arch9wavefront6targetE0EEEvS12_.has_indirect_call, 0
	.section	.AMDGPU.csdata,"",@progbits
; Kernel info:
; codeLenInByte = 0
; TotalNumSgprs: 0
; NumVgprs: 0
; ScratchSize: 0
; MemoryBound: 0
; FloatMode: 240
; IeeeMode: 1
; LDSByteSize: 0 bytes/workgroup (compile time only)
; SGPRBlocks: 0
; VGPRBlocks: 0
; NumSGPRsForWavesPerEU: 1
; NumVGPRsForWavesPerEU: 1
; Occupancy: 16
; WaveLimiterHint : 0
; COMPUTE_PGM_RSRC2:SCRATCH_EN: 0
; COMPUTE_PGM_RSRC2:USER_SGPR: 2
; COMPUTE_PGM_RSRC2:TRAP_HANDLER: 0
; COMPUTE_PGM_RSRC2:TGID_X_EN: 1
; COMPUTE_PGM_RSRC2:TGID_Y_EN: 0
; COMPUTE_PGM_RSRC2:TGID_Z_EN: 0
; COMPUTE_PGM_RSRC2:TIDIG_COMP_CNT: 0
	.section	.text._ZN7rocprim17ROCPRIM_400000_NS6detail17trampoline_kernelINS0_13select_configILj256ELj13ELNS0_17block_load_methodE3ELS4_3ELS4_3ELNS0_20block_scan_algorithmE0ELj4294967295EEENS1_25partition_config_selectorILNS1_17partition_subalgoE4EjNS0_10empty_typeEbEEZZNS1_14partition_implILS8_4ELb0ES6_15HIP_vector_typeIjLj2EENS0_17counting_iteratorIjlEEPS9_SG_NS0_5tupleIJPjSI_NS0_16reverse_iteratorISI_EEEEENSH_IJSG_SG_SG_EEES9_SI_JZNS1_25segmented_radix_sort_implINS0_14default_configELb1EPKfPfPKlPlN2at6native12_GLOBAL__N_18offset_tEEE10hipError_tPvRmT1_PNSt15iterator_traitsIS12_E10value_typeET2_T3_PNS13_IS18_E10value_typeET4_jRbjT5_S1E_jjP12ihipStream_tbEUljE_ZNSN_ISO_Lb1ESQ_SR_ST_SU_SY_EESZ_S10_S11_S12_S16_S17_S18_S1B_S1C_jS1D_jS1E_S1E_jjS1G_bEUljE0_EEESZ_S10_S11_S18_S1C_S1E_T6_T7_T9_mT8_S1G_bDpT10_ENKUlT_T0_E_clISt17integral_constantIbLb0EES1U_EEDaS1P_S1Q_EUlS1P_E_NS1_11comp_targetILNS1_3genE5ELNS1_11target_archE942ELNS1_3gpuE9ELNS1_3repE0EEENS1_30default_config_static_selectorELNS0_4arch9wavefront6targetE0EEEvS12_,"axG",@progbits,_ZN7rocprim17ROCPRIM_400000_NS6detail17trampoline_kernelINS0_13select_configILj256ELj13ELNS0_17block_load_methodE3ELS4_3ELS4_3ELNS0_20block_scan_algorithmE0ELj4294967295EEENS1_25partition_config_selectorILNS1_17partition_subalgoE4EjNS0_10empty_typeEbEEZZNS1_14partition_implILS8_4ELb0ES6_15HIP_vector_typeIjLj2EENS0_17counting_iteratorIjlEEPS9_SG_NS0_5tupleIJPjSI_NS0_16reverse_iteratorISI_EEEEENSH_IJSG_SG_SG_EEES9_SI_JZNS1_25segmented_radix_sort_implINS0_14default_configELb1EPKfPfPKlPlN2at6native12_GLOBAL__N_18offset_tEEE10hipError_tPvRmT1_PNSt15iterator_traitsIS12_E10value_typeET2_T3_PNS13_IS18_E10value_typeET4_jRbjT5_S1E_jjP12ihipStream_tbEUljE_ZNSN_ISO_Lb1ESQ_SR_ST_SU_SY_EESZ_S10_S11_S12_S16_S17_S18_S1B_S1C_jS1D_jS1E_S1E_jjS1G_bEUljE0_EEESZ_S10_S11_S18_S1C_S1E_T6_T7_T9_mT8_S1G_bDpT10_ENKUlT_T0_E_clISt17integral_constantIbLb0EES1U_EEDaS1P_S1Q_EUlS1P_E_NS1_11comp_targetILNS1_3genE5ELNS1_11target_archE942ELNS1_3gpuE9ELNS1_3repE0EEENS1_30default_config_static_selectorELNS0_4arch9wavefront6targetE0EEEvS12_,comdat
	.globl	_ZN7rocprim17ROCPRIM_400000_NS6detail17trampoline_kernelINS0_13select_configILj256ELj13ELNS0_17block_load_methodE3ELS4_3ELS4_3ELNS0_20block_scan_algorithmE0ELj4294967295EEENS1_25partition_config_selectorILNS1_17partition_subalgoE4EjNS0_10empty_typeEbEEZZNS1_14partition_implILS8_4ELb0ES6_15HIP_vector_typeIjLj2EENS0_17counting_iteratorIjlEEPS9_SG_NS0_5tupleIJPjSI_NS0_16reverse_iteratorISI_EEEEENSH_IJSG_SG_SG_EEES9_SI_JZNS1_25segmented_radix_sort_implINS0_14default_configELb1EPKfPfPKlPlN2at6native12_GLOBAL__N_18offset_tEEE10hipError_tPvRmT1_PNSt15iterator_traitsIS12_E10value_typeET2_T3_PNS13_IS18_E10value_typeET4_jRbjT5_S1E_jjP12ihipStream_tbEUljE_ZNSN_ISO_Lb1ESQ_SR_ST_SU_SY_EESZ_S10_S11_S12_S16_S17_S18_S1B_S1C_jS1D_jS1E_S1E_jjS1G_bEUljE0_EEESZ_S10_S11_S18_S1C_S1E_T6_T7_T9_mT8_S1G_bDpT10_ENKUlT_T0_E_clISt17integral_constantIbLb0EES1U_EEDaS1P_S1Q_EUlS1P_E_NS1_11comp_targetILNS1_3genE5ELNS1_11target_archE942ELNS1_3gpuE9ELNS1_3repE0EEENS1_30default_config_static_selectorELNS0_4arch9wavefront6targetE0EEEvS12_ ; -- Begin function _ZN7rocprim17ROCPRIM_400000_NS6detail17trampoline_kernelINS0_13select_configILj256ELj13ELNS0_17block_load_methodE3ELS4_3ELS4_3ELNS0_20block_scan_algorithmE0ELj4294967295EEENS1_25partition_config_selectorILNS1_17partition_subalgoE4EjNS0_10empty_typeEbEEZZNS1_14partition_implILS8_4ELb0ES6_15HIP_vector_typeIjLj2EENS0_17counting_iteratorIjlEEPS9_SG_NS0_5tupleIJPjSI_NS0_16reverse_iteratorISI_EEEEENSH_IJSG_SG_SG_EEES9_SI_JZNS1_25segmented_radix_sort_implINS0_14default_configELb1EPKfPfPKlPlN2at6native12_GLOBAL__N_18offset_tEEE10hipError_tPvRmT1_PNSt15iterator_traitsIS12_E10value_typeET2_T3_PNS13_IS18_E10value_typeET4_jRbjT5_S1E_jjP12ihipStream_tbEUljE_ZNSN_ISO_Lb1ESQ_SR_ST_SU_SY_EESZ_S10_S11_S12_S16_S17_S18_S1B_S1C_jS1D_jS1E_S1E_jjS1G_bEUljE0_EEESZ_S10_S11_S18_S1C_S1E_T6_T7_T9_mT8_S1G_bDpT10_ENKUlT_T0_E_clISt17integral_constantIbLb0EES1U_EEDaS1P_S1Q_EUlS1P_E_NS1_11comp_targetILNS1_3genE5ELNS1_11target_archE942ELNS1_3gpuE9ELNS1_3repE0EEENS1_30default_config_static_selectorELNS0_4arch9wavefront6targetE0EEEvS12_
	.p2align	8
	.type	_ZN7rocprim17ROCPRIM_400000_NS6detail17trampoline_kernelINS0_13select_configILj256ELj13ELNS0_17block_load_methodE3ELS4_3ELS4_3ELNS0_20block_scan_algorithmE0ELj4294967295EEENS1_25partition_config_selectorILNS1_17partition_subalgoE4EjNS0_10empty_typeEbEEZZNS1_14partition_implILS8_4ELb0ES6_15HIP_vector_typeIjLj2EENS0_17counting_iteratorIjlEEPS9_SG_NS0_5tupleIJPjSI_NS0_16reverse_iteratorISI_EEEEENSH_IJSG_SG_SG_EEES9_SI_JZNS1_25segmented_radix_sort_implINS0_14default_configELb1EPKfPfPKlPlN2at6native12_GLOBAL__N_18offset_tEEE10hipError_tPvRmT1_PNSt15iterator_traitsIS12_E10value_typeET2_T3_PNS13_IS18_E10value_typeET4_jRbjT5_S1E_jjP12ihipStream_tbEUljE_ZNSN_ISO_Lb1ESQ_SR_ST_SU_SY_EESZ_S10_S11_S12_S16_S17_S18_S1B_S1C_jS1D_jS1E_S1E_jjS1G_bEUljE0_EEESZ_S10_S11_S18_S1C_S1E_T6_T7_T9_mT8_S1G_bDpT10_ENKUlT_T0_E_clISt17integral_constantIbLb0EES1U_EEDaS1P_S1Q_EUlS1P_E_NS1_11comp_targetILNS1_3genE5ELNS1_11target_archE942ELNS1_3gpuE9ELNS1_3repE0EEENS1_30default_config_static_selectorELNS0_4arch9wavefront6targetE0EEEvS12_,@function
_ZN7rocprim17ROCPRIM_400000_NS6detail17trampoline_kernelINS0_13select_configILj256ELj13ELNS0_17block_load_methodE3ELS4_3ELS4_3ELNS0_20block_scan_algorithmE0ELj4294967295EEENS1_25partition_config_selectorILNS1_17partition_subalgoE4EjNS0_10empty_typeEbEEZZNS1_14partition_implILS8_4ELb0ES6_15HIP_vector_typeIjLj2EENS0_17counting_iteratorIjlEEPS9_SG_NS0_5tupleIJPjSI_NS0_16reverse_iteratorISI_EEEEENSH_IJSG_SG_SG_EEES9_SI_JZNS1_25segmented_radix_sort_implINS0_14default_configELb1EPKfPfPKlPlN2at6native12_GLOBAL__N_18offset_tEEE10hipError_tPvRmT1_PNSt15iterator_traitsIS12_E10value_typeET2_T3_PNS13_IS18_E10value_typeET4_jRbjT5_S1E_jjP12ihipStream_tbEUljE_ZNSN_ISO_Lb1ESQ_SR_ST_SU_SY_EESZ_S10_S11_S12_S16_S17_S18_S1B_S1C_jS1D_jS1E_S1E_jjS1G_bEUljE0_EEESZ_S10_S11_S18_S1C_S1E_T6_T7_T9_mT8_S1G_bDpT10_ENKUlT_T0_E_clISt17integral_constantIbLb0EES1U_EEDaS1P_S1Q_EUlS1P_E_NS1_11comp_targetILNS1_3genE5ELNS1_11target_archE942ELNS1_3gpuE9ELNS1_3repE0EEENS1_30default_config_static_selectorELNS0_4arch9wavefront6targetE0EEEvS12_: ; @_ZN7rocprim17ROCPRIM_400000_NS6detail17trampoline_kernelINS0_13select_configILj256ELj13ELNS0_17block_load_methodE3ELS4_3ELS4_3ELNS0_20block_scan_algorithmE0ELj4294967295EEENS1_25partition_config_selectorILNS1_17partition_subalgoE4EjNS0_10empty_typeEbEEZZNS1_14partition_implILS8_4ELb0ES6_15HIP_vector_typeIjLj2EENS0_17counting_iteratorIjlEEPS9_SG_NS0_5tupleIJPjSI_NS0_16reverse_iteratorISI_EEEEENSH_IJSG_SG_SG_EEES9_SI_JZNS1_25segmented_radix_sort_implINS0_14default_configELb1EPKfPfPKlPlN2at6native12_GLOBAL__N_18offset_tEEE10hipError_tPvRmT1_PNSt15iterator_traitsIS12_E10value_typeET2_T3_PNS13_IS18_E10value_typeET4_jRbjT5_S1E_jjP12ihipStream_tbEUljE_ZNSN_ISO_Lb1ESQ_SR_ST_SU_SY_EESZ_S10_S11_S12_S16_S17_S18_S1B_S1C_jS1D_jS1E_S1E_jjS1G_bEUljE0_EEESZ_S10_S11_S18_S1C_S1E_T6_T7_T9_mT8_S1G_bDpT10_ENKUlT_T0_E_clISt17integral_constantIbLb0EES1U_EEDaS1P_S1Q_EUlS1P_E_NS1_11comp_targetILNS1_3genE5ELNS1_11target_archE942ELNS1_3gpuE9ELNS1_3repE0EEENS1_30default_config_static_selectorELNS0_4arch9wavefront6targetE0EEEvS12_
; %bb.0:
	.section	.rodata,"a",@progbits
	.p2align	6, 0x0
	.amdhsa_kernel _ZN7rocprim17ROCPRIM_400000_NS6detail17trampoline_kernelINS0_13select_configILj256ELj13ELNS0_17block_load_methodE3ELS4_3ELS4_3ELNS0_20block_scan_algorithmE0ELj4294967295EEENS1_25partition_config_selectorILNS1_17partition_subalgoE4EjNS0_10empty_typeEbEEZZNS1_14partition_implILS8_4ELb0ES6_15HIP_vector_typeIjLj2EENS0_17counting_iteratorIjlEEPS9_SG_NS0_5tupleIJPjSI_NS0_16reverse_iteratorISI_EEEEENSH_IJSG_SG_SG_EEES9_SI_JZNS1_25segmented_radix_sort_implINS0_14default_configELb1EPKfPfPKlPlN2at6native12_GLOBAL__N_18offset_tEEE10hipError_tPvRmT1_PNSt15iterator_traitsIS12_E10value_typeET2_T3_PNS13_IS18_E10value_typeET4_jRbjT5_S1E_jjP12ihipStream_tbEUljE_ZNSN_ISO_Lb1ESQ_SR_ST_SU_SY_EESZ_S10_S11_S12_S16_S17_S18_S1B_S1C_jS1D_jS1E_S1E_jjS1G_bEUljE0_EEESZ_S10_S11_S18_S1C_S1E_T6_T7_T9_mT8_S1G_bDpT10_ENKUlT_T0_E_clISt17integral_constantIbLb0EES1U_EEDaS1P_S1Q_EUlS1P_E_NS1_11comp_targetILNS1_3genE5ELNS1_11target_archE942ELNS1_3gpuE9ELNS1_3repE0EEENS1_30default_config_static_selectorELNS0_4arch9wavefront6targetE0EEEvS12_
		.amdhsa_group_segment_fixed_size 0
		.amdhsa_private_segment_fixed_size 0
		.amdhsa_kernarg_size 176
		.amdhsa_user_sgpr_count 2
		.amdhsa_user_sgpr_dispatch_ptr 0
		.amdhsa_user_sgpr_queue_ptr 0
		.amdhsa_user_sgpr_kernarg_segment_ptr 1
		.amdhsa_user_sgpr_dispatch_id 0
		.amdhsa_user_sgpr_private_segment_size 0
		.amdhsa_wavefront_size32 1
		.amdhsa_uses_dynamic_stack 0
		.amdhsa_enable_private_segment 0
		.amdhsa_system_sgpr_workgroup_id_x 1
		.amdhsa_system_sgpr_workgroup_id_y 0
		.amdhsa_system_sgpr_workgroup_id_z 0
		.amdhsa_system_sgpr_workgroup_info 0
		.amdhsa_system_vgpr_workitem_id 0
		.amdhsa_next_free_vgpr 1
		.amdhsa_next_free_sgpr 1
		.amdhsa_reserve_vcc 0
		.amdhsa_float_round_mode_32 0
		.amdhsa_float_round_mode_16_64 0
		.amdhsa_float_denorm_mode_32 3
		.amdhsa_float_denorm_mode_16_64 3
		.amdhsa_fp16_overflow 0
		.amdhsa_workgroup_processor_mode 1
		.amdhsa_memory_ordered 1
		.amdhsa_forward_progress 1
		.amdhsa_inst_pref_size 0
		.amdhsa_round_robin_scheduling 0
		.amdhsa_exception_fp_ieee_invalid_op 0
		.amdhsa_exception_fp_denorm_src 0
		.amdhsa_exception_fp_ieee_div_zero 0
		.amdhsa_exception_fp_ieee_overflow 0
		.amdhsa_exception_fp_ieee_underflow 0
		.amdhsa_exception_fp_ieee_inexact 0
		.amdhsa_exception_int_div_zero 0
	.end_amdhsa_kernel
	.section	.text._ZN7rocprim17ROCPRIM_400000_NS6detail17trampoline_kernelINS0_13select_configILj256ELj13ELNS0_17block_load_methodE3ELS4_3ELS4_3ELNS0_20block_scan_algorithmE0ELj4294967295EEENS1_25partition_config_selectorILNS1_17partition_subalgoE4EjNS0_10empty_typeEbEEZZNS1_14partition_implILS8_4ELb0ES6_15HIP_vector_typeIjLj2EENS0_17counting_iteratorIjlEEPS9_SG_NS0_5tupleIJPjSI_NS0_16reverse_iteratorISI_EEEEENSH_IJSG_SG_SG_EEES9_SI_JZNS1_25segmented_radix_sort_implINS0_14default_configELb1EPKfPfPKlPlN2at6native12_GLOBAL__N_18offset_tEEE10hipError_tPvRmT1_PNSt15iterator_traitsIS12_E10value_typeET2_T3_PNS13_IS18_E10value_typeET4_jRbjT5_S1E_jjP12ihipStream_tbEUljE_ZNSN_ISO_Lb1ESQ_SR_ST_SU_SY_EESZ_S10_S11_S12_S16_S17_S18_S1B_S1C_jS1D_jS1E_S1E_jjS1G_bEUljE0_EEESZ_S10_S11_S18_S1C_S1E_T6_T7_T9_mT8_S1G_bDpT10_ENKUlT_T0_E_clISt17integral_constantIbLb0EES1U_EEDaS1P_S1Q_EUlS1P_E_NS1_11comp_targetILNS1_3genE5ELNS1_11target_archE942ELNS1_3gpuE9ELNS1_3repE0EEENS1_30default_config_static_selectorELNS0_4arch9wavefront6targetE0EEEvS12_,"axG",@progbits,_ZN7rocprim17ROCPRIM_400000_NS6detail17trampoline_kernelINS0_13select_configILj256ELj13ELNS0_17block_load_methodE3ELS4_3ELS4_3ELNS0_20block_scan_algorithmE0ELj4294967295EEENS1_25partition_config_selectorILNS1_17partition_subalgoE4EjNS0_10empty_typeEbEEZZNS1_14partition_implILS8_4ELb0ES6_15HIP_vector_typeIjLj2EENS0_17counting_iteratorIjlEEPS9_SG_NS0_5tupleIJPjSI_NS0_16reverse_iteratorISI_EEEEENSH_IJSG_SG_SG_EEES9_SI_JZNS1_25segmented_radix_sort_implINS0_14default_configELb1EPKfPfPKlPlN2at6native12_GLOBAL__N_18offset_tEEE10hipError_tPvRmT1_PNSt15iterator_traitsIS12_E10value_typeET2_T3_PNS13_IS18_E10value_typeET4_jRbjT5_S1E_jjP12ihipStream_tbEUljE_ZNSN_ISO_Lb1ESQ_SR_ST_SU_SY_EESZ_S10_S11_S12_S16_S17_S18_S1B_S1C_jS1D_jS1E_S1E_jjS1G_bEUljE0_EEESZ_S10_S11_S18_S1C_S1E_T6_T7_T9_mT8_S1G_bDpT10_ENKUlT_T0_E_clISt17integral_constantIbLb0EES1U_EEDaS1P_S1Q_EUlS1P_E_NS1_11comp_targetILNS1_3genE5ELNS1_11target_archE942ELNS1_3gpuE9ELNS1_3repE0EEENS1_30default_config_static_selectorELNS0_4arch9wavefront6targetE0EEEvS12_,comdat
.Lfunc_end1262:
	.size	_ZN7rocprim17ROCPRIM_400000_NS6detail17trampoline_kernelINS0_13select_configILj256ELj13ELNS0_17block_load_methodE3ELS4_3ELS4_3ELNS0_20block_scan_algorithmE0ELj4294967295EEENS1_25partition_config_selectorILNS1_17partition_subalgoE4EjNS0_10empty_typeEbEEZZNS1_14partition_implILS8_4ELb0ES6_15HIP_vector_typeIjLj2EENS0_17counting_iteratorIjlEEPS9_SG_NS0_5tupleIJPjSI_NS0_16reverse_iteratorISI_EEEEENSH_IJSG_SG_SG_EEES9_SI_JZNS1_25segmented_radix_sort_implINS0_14default_configELb1EPKfPfPKlPlN2at6native12_GLOBAL__N_18offset_tEEE10hipError_tPvRmT1_PNSt15iterator_traitsIS12_E10value_typeET2_T3_PNS13_IS18_E10value_typeET4_jRbjT5_S1E_jjP12ihipStream_tbEUljE_ZNSN_ISO_Lb1ESQ_SR_ST_SU_SY_EESZ_S10_S11_S12_S16_S17_S18_S1B_S1C_jS1D_jS1E_S1E_jjS1G_bEUljE0_EEESZ_S10_S11_S18_S1C_S1E_T6_T7_T9_mT8_S1G_bDpT10_ENKUlT_T0_E_clISt17integral_constantIbLb0EES1U_EEDaS1P_S1Q_EUlS1P_E_NS1_11comp_targetILNS1_3genE5ELNS1_11target_archE942ELNS1_3gpuE9ELNS1_3repE0EEENS1_30default_config_static_selectorELNS0_4arch9wavefront6targetE0EEEvS12_, .Lfunc_end1262-_ZN7rocprim17ROCPRIM_400000_NS6detail17trampoline_kernelINS0_13select_configILj256ELj13ELNS0_17block_load_methodE3ELS4_3ELS4_3ELNS0_20block_scan_algorithmE0ELj4294967295EEENS1_25partition_config_selectorILNS1_17partition_subalgoE4EjNS0_10empty_typeEbEEZZNS1_14partition_implILS8_4ELb0ES6_15HIP_vector_typeIjLj2EENS0_17counting_iteratorIjlEEPS9_SG_NS0_5tupleIJPjSI_NS0_16reverse_iteratorISI_EEEEENSH_IJSG_SG_SG_EEES9_SI_JZNS1_25segmented_radix_sort_implINS0_14default_configELb1EPKfPfPKlPlN2at6native12_GLOBAL__N_18offset_tEEE10hipError_tPvRmT1_PNSt15iterator_traitsIS12_E10value_typeET2_T3_PNS13_IS18_E10value_typeET4_jRbjT5_S1E_jjP12ihipStream_tbEUljE_ZNSN_ISO_Lb1ESQ_SR_ST_SU_SY_EESZ_S10_S11_S12_S16_S17_S18_S1B_S1C_jS1D_jS1E_S1E_jjS1G_bEUljE0_EEESZ_S10_S11_S18_S1C_S1E_T6_T7_T9_mT8_S1G_bDpT10_ENKUlT_T0_E_clISt17integral_constantIbLb0EES1U_EEDaS1P_S1Q_EUlS1P_E_NS1_11comp_targetILNS1_3genE5ELNS1_11target_archE942ELNS1_3gpuE9ELNS1_3repE0EEENS1_30default_config_static_selectorELNS0_4arch9wavefront6targetE0EEEvS12_
                                        ; -- End function
	.set _ZN7rocprim17ROCPRIM_400000_NS6detail17trampoline_kernelINS0_13select_configILj256ELj13ELNS0_17block_load_methodE3ELS4_3ELS4_3ELNS0_20block_scan_algorithmE0ELj4294967295EEENS1_25partition_config_selectorILNS1_17partition_subalgoE4EjNS0_10empty_typeEbEEZZNS1_14partition_implILS8_4ELb0ES6_15HIP_vector_typeIjLj2EENS0_17counting_iteratorIjlEEPS9_SG_NS0_5tupleIJPjSI_NS0_16reverse_iteratorISI_EEEEENSH_IJSG_SG_SG_EEES9_SI_JZNS1_25segmented_radix_sort_implINS0_14default_configELb1EPKfPfPKlPlN2at6native12_GLOBAL__N_18offset_tEEE10hipError_tPvRmT1_PNSt15iterator_traitsIS12_E10value_typeET2_T3_PNS13_IS18_E10value_typeET4_jRbjT5_S1E_jjP12ihipStream_tbEUljE_ZNSN_ISO_Lb1ESQ_SR_ST_SU_SY_EESZ_S10_S11_S12_S16_S17_S18_S1B_S1C_jS1D_jS1E_S1E_jjS1G_bEUljE0_EEESZ_S10_S11_S18_S1C_S1E_T6_T7_T9_mT8_S1G_bDpT10_ENKUlT_T0_E_clISt17integral_constantIbLb0EES1U_EEDaS1P_S1Q_EUlS1P_E_NS1_11comp_targetILNS1_3genE5ELNS1_11target_archE942ELNS1_3gpuE9ELNS1_3repE0EEENS1_30default_config_static_selectorELNS0_4arch9wavefront6targetE0EEEvS12_.num_vgpr, 0
	.set _ZN7rocprim17ROCPRIM_400000_NS6detail17trampoline_kernelINS0_13select_configILj256ELj13ELNS0_17block_load_methodE3ELS4_3ELS4_3ELNS0_20block_scan_algorithmE0ELj4294967295EEENS1_25partition_config_selectorILNS1_17partition_subalgoE4EjNS0_10empty_typeEbEEZZNS1_14partition_implILS8_4ELb0ES6_15HIP_vector_typeIjLj2EENS0_17counting_iteratorIjlEEPS9_SG_NS0_5tupleIJPjSI_NS0_16reverse_iteratorISI_EEEEENSH_IJSG_SG_SG_EEES9_SI_JZNS1_25segmented_radix_sort_implINS0_14default_configELb1EPKfPfPKlPlN2at6native12_GLOBAL__N_18offset_tEEE10hipError_tPvRmT1_PNSt15iterator_traitsIS12_E10value_typeET2_T3_PNS13_IS18_E10value_typeET4_jRbjT5_S1E_jjP12ihipStream_tbEUljE_ZNSN_ISO_Lb1ESQ_SR_ST_SU_SY_EESZ_S10_S11_S12_S16_S17_S18_S1B_S1C_jS1D_jS1E_S1E_jjS1G_bEUljE0_EEESZ_S10_S11_S18_S1C_S1E_T6_T7_T9_mT8_S1G_bDpT10_ENKUlT_T0_E_clISt17integral_constantIbLb0EES1U_EEDaS1P_S1Q_EUlS1P_E_NS1_11comp_targetILNS1_3genE5ELNS1_11target_archE942ELNS1_3gpuE9ELNS1_3repE0EEENS1_30default_config_static_selectorELNS0_4arch9wavefront6targetE0EEEvS12_.num_agpr, 0
	.set _ZN7rocprim17ROCPRIM_400000_NS6detail17trampoline_kernelINS0_13select_configILj256ELj13ELNS0_17block_load_methodE3ELS4_3ELS4_3ELNS0_20block_scan_algorithmE0ELj4294967295EEENS1_25partition_config_selectorILNS1_17partition_subalgoE4EjNS0_10empty_typeEbEEZZNS1_14partition_implILS8_4ELb0ES6_15HIP_vector_typeIjLj2EENS0_17counting_iteratorIjlEEPS9_SG_NS0_5tupleIJPjSI_NS0_16reverse_iteratorISI_EEEEENSH_IJSG_SG_SG_EEES9_SI_JZNS1_25segmented_radix_sort_implINS0_14default_configELb1EPKfPfPKlPlN2at6native12_GLOBAL__N_18offset_tEEE10hipError_tPvRmT1_PNSt15iterator_traitsIS12_E10value_typeET2_T3_PNS13_IS18_E10value_typeET4_jRbjT5_S1E_jjP12ihipStream_tbEUljE_ZNSN_ISO_Lb1ESQ_SR_ST_SU_SY_EESZ_S10_S11_S12_S16_S17_S18_S1B_S1C_jS1D_jS1E_S1E_jjS1G_bEUljE0_EEESZ_S10_S11_S18_S1C_S1E_T6_T7_T9_mT8_S1G_bDpT10_ENKUlT_T0_E_clISt17integral_constantIbLb0EES1U_EEDaS1P_S1Q_EUlS1P_E_NS1_11comp_targetILNS1_3genE5ELNS1_11target_archE942ELNS1_3gpuE9ELNS1_3repE0EEENS1_30default_config_static_selectorELNS0_4arch9wavefront6targetE0EEEvS12_.numbered_sgpr, 0
	.set _ZN7rocprim17ROCPRIM_400000_NS6detail17trampoline_kernelINS0_13select_configILj256ELj13ELNS0_17block_load_methodE3ELS4_3ELS4_3ELNS0_20block_scan_algorithmE0ELj4294967295EEENS1_25partition_config_selectorILNS1_17partition_subalgoE4EjNS0_10empty_typeEbEEZZNS1_14partition_implILS8_4ELb0ES6_15HIP_vector_typeIjLj2EENS0_17counting_iteratorIjlEEPS9_SG_NS0_5tupleIJPjSI_NS0_16reverse_iteratorISI_EEEEENSH_IJSG_SG_SG_EEES9_SI_JZNS1_25segmented_radix_sort_implINS0_14default_configELb1EPKfPfPKlPlN2at6native12_GLOBAL__N_18offset_tEEE10hipError_tPvRmT1_PNSt15iterator_traitsIS12_E10value_typeET2_T3_PNS13_IS18_E10value_typeET4_jRbjT5_S1E_jjP12ihipStream_tbEUljE_ZNSN_ISO_Lb1ESQ_SR_ST_SU_SY_EESZ_S10_S11_S12_S16_S17_S18_S1B_S1C_jS1D_jS1E_S1E_jjS1G_bEUljE0_EEESZ_S10_S11_S18_S1C_S1E_T6_T7_T9_mT8_S1G_bDpT10_ENKUlT_T0_E_clISt17integral_constantIbLb0EES1U_EEDaS1P_S1Q_EUlS1P_E_NS1_11comp_targetILNS1_3genE5ELNS1_11target_archE942ELNS1_3gpuE9ELNS1_3repE0EEENS1_30default_config_static_selectorELNS0_4arch9wavefront6targetE0EEEvS12_.num_named_barrier, 0
	.set _ZN7rocprim17ROCPRIM_400000_NS6detail17trampoline_kernelINS0_13select_configILj256ELj13ELNS0_17block_load_methodE3ELS4_3ELS4_3ELNS0_20block_scan_algorithmE0ELj4294967295EEENS1_25partition_config_selectorILNS1_17partition_subalgoE4EjNS0_10empty_typeEbEEZZNS1_14partition_implILS8_4ELb0ES6_15HIP_vector_typeIjLj2EENS0_17counting_iteratorIjlEEPS9_SG_NS0_5tupleIJPjSI_NS0_16reverse_iteratorISI_EEEEENSH_IJSG_SG_SG_EEES9_SI_JZNS1_25segmented_radix_sort_implINS0_14default_configELb1EPKfPfPKlPlN2at6native12_GLOBAL__N_18offset_tEEE10hipError_tPvRmT1_PNSt15iterator_traitsIS12_E10value_typeET2_T3_PNS13_IS18_E10value_typeET4_jRbjT5_S1E_jjP12ihipStream_tbEUljE_ZNSN_ISO_Lb1ESQ_SR_ST_SU_SY_EESZ_S10_S11_S12_S16_S17_S18_S1B_S1C_jS1D_jS1E_S1E_jjS1G_bEUljE0_EEESZ_S10_S11_S18_S1C_S1E_T6_T7_T9_mT8_S1G_bDpT10_ENKUlT_T0_E_clISt17integral_constantIbLb0EES1U_EEDaS1P_S1Q_EUlS1P_E_NS1_11comp_targetILNS1_3genE5ELNS1_11target_archE942ELNS1_3gpuE9ELNS1_3repE0EEENS1_30default_config_static_selectorELNS0_4arch9wavefront6targetE0EEEvS12_.private_seg_size, 0
	.set _ZN7rocprim17ROCPRIM_400000_NS6detail17trampoline_kernelINS0_13select_configILj256ELj13ELNS0_17block_load_methodE3ELS4_3ELS4_3ELNS0_20block_scan_algorithmE0ELj4294967295EEENS1_25partition_config_selectorILNS1_17partition_subalgoE4EjNS0_10empty_typeEbEEZZNS1_14partition_implILS8_4ELb0ES6_15HIP_vector_typeIjLj2EENS0_17counting_iteratorIjlEEPS9_SG_NS0_5tupleIJPjSI_NS0_16reverse_iteratorISI_EEEEENSH_IJSG_SG_SG_EEES9_SI_JZNS1_25segmented_radix_sort_implINS0_14default_configELb1EPKfPfPKlPlN2at6native12_GLOBAL__N_18offset_tEEE10hipError_tPvRmT1_PNSt15iterator_traitsIS12_E10value_typeET2_T3_PNS13_IS18_E10value_typeET4_jRbjT5_S1E_jjP12ihipStream_tbEUljE_ZNSN_ISO_Lb1ESQ_SR_ST_SU_SY_EESZ_S10_S11_S12_S16_S17_S18_S1B_S1C_jS1D_jS1E_S1E_jjS1G_bEUljE0_EEESZ_S10_S11_S18_S1C_S1E_T6_T7_T9_mT8_S1G_bDpT10_ENKUlT_T0_E_clISt17integral_constantIbLb0EES1U_EEDaS1P_S1Q_EUlS1P_E_NS1_11comp_targetILNS1_3genE5ELNS1_11target_archE942ELNS1_3gpuE9ELNS1_3repE0EEENS1_30default_config_static_selectorELNS0_4arch9wavefront6targetE0EEEvS12_.uses_vcc, 0
	.set _ZN7rocprim17ROCPRIM_400000_NS6detail17trampoline_kernelINS0_13select_configILj256ELj13ELNS0_17block_load_methodE3ELS4_3ELS4_3ELNS0_20block_scan_algorithmE0ELj4294967295EEENS1_25partition_config_selectorILNS1_17partition_subalgoE4EjNS0_10empty_typeEbEEZZNS1_14partition_implILS8_4ELb0ES6_15HIP_vector_typeIjLj2EENS0_17counting_iteratorIjlEEPS9_SG_NS0_5tupleIJPjSI_NS0_16reverse_iteratorISI_EEEEENSH_IJSG_SG_SG_EEES9_SI_JZNS1_25segmented_radix_sort_implINS0_14default_configELb1EPKfPfPKlPlN2at6native12_GLOBAL__N_18offset_tEEE10hipError_tPvRmT1_PNSt15iterator_traitsIS12_E10value_typeET2_T3_PNS13_IS18_E10value_typeET4_jRbjT5_S1E_jjP12ihipStream_tbEUljE_ZNSN_ISO_Lb1ESQ_SR_ST_SU_SY_EESZ_S10_S11_S12_S16_S17_S18_S1B_S1C_jS1D_jS1E_S1E_jjS1G_bEUljE0_EEESZ_S10_S11_S18_S1C_S1E_T6_T7_T9_mT8_S1G_bDpT10_ENKUlT_T0_E_clISt17integral_constantIbLb0EES1U_EEDaS1P_S1Q_EUlS1P_E_NS1_11comp_targetILNS1_3genE5ELNS1_11target_archE942ELNS1_3gpuE9ELNS1_3repE0EEENS1_30default_config_static_selectorELNS0_4arch9wavefront6targetE0EEEvS12_.uses_flat_scratch, 0
	.set _ZN7rocprim17ROCPRIM_400000_NS6detail17trampoline_kernelINS0_13select_configILj256ELj13ELNS0_17block_load_methodE3ELS4_3ELS4_3ELNS0_20block_scan_algorithmE0ELj4294967295EEENS1_25partition_config_selectorILNS1_17partition_subalgoE4EjNS0_10empty_typeEbEEZZNS1_14partition_implILS8_4ELb0ES6_15HIP_vector_typeIjLj2EENS0_17counting_iteratorIjlEEPS9_SG_NS0_5tupleIJPjSI_NS0_16reverse_iteratorISI_EEEEENSH_IJSG_SG_SG_EEES9_SI_JZNS1_25segmented_radix_sort_implINS0_14default_configELb1EPKfPfPKlPlN2at6native12_GLOBAL__N_18offset_tEEE10hipError_tPvRmT1_PNSt15iterator_traitsIS12_E10value_typeET2_T3_PNS13_IS18_E10value_typeET4_jRbjT5_S1E_jjP12ihipStream_tbEUljE_ZNSN_ISO_Lb1ESQ_SR_ST_SU_SY_EESZ_S10_S11_S12_S16_S17_S18_S1B_S1C_jS1D_jS1E_S1E_jjS1G_bEUljE0_EEESZ_S10_S11_S18_S1C_S1E_T6_T7_T9_mT8_S1G_bDpT10_ENKUlT_T0_E_clISt17integral_constantIbLb0EES1U_EEDaS1P_S1Q_EUlS1P_E_NS1_11comp_targetILNS1_3genE5ELNS1_11target_archE942ELNS1_3gpuE9ELNS1_3repE0EEENS1_30default_config_static_selectorELNS0_4arch9wavefront6targetE0EEEvS12_.has_dyn_sized_stack, 0
	.set _ZN7rocprim17ROCPRIM_400000_NS6detail17trampoline_kernelINS0_13select_configILj256ELj13ELNS0_17block_load_methodE3ELS4_3ELS4_3ELNS0_20block_scan_algorithmE0ELj4294967295EEENS1_25partition_config_selectorILNS1_17partition_subalgoE4EjNS0_10empty_typeEbEEZZNS1_14partition_implILS8_4ELb0ES6_15HIP_vector_typeIjLj2EENS0_17counting_iteratorIjlEEPS9_SG_NS0_5tupleIJPjSI_NS0_16reverse_iteratorISI_EEEEENSH_IJSG_SG_SG_EEES9_SI_JZNS1_25segmented_radix_sort_implINS0_14default_configELb1EPKfPfPKlPlN2at6native12_GLOBAL__N_18offset_tEEE10hipError_tPvRmT1_PNSt15iterator_traitsIS12_E10value_typeET2_T3_PNS13_IS18_E10value_typeET4_jRbjT5_S1E_jjP12ihipStream_tbEUljE_ZNSN_ISO_Lb1ESQ_SR_ST_SU_SY_EESZ_S10_S11_S12_S16_S17_S18_S1B_S1C_jS1D_jS1E_S1E_jjS1G_bEUljE0_EEESZ_S10_S11_S18_S1C_S1E_T6_T7_T9_mT8_S1G_bDpT10_ENKUlT_T0_E_clISt17integral_constantIbLb0EES1U_EEDaS1P_S1Q_EUlS1P_E_NS1_11comp_targetILNS1_3genE5ELNS1_11target_archE942ELNS1_3gpuE9ELNS1_3repE0EEENS1_30default_config_static_selectorELNS0_4arch9wavefront6targetE0EEEvS12_.has_recursion, 0
	.set _ZN7rocprim17ROCPRIM_400000_NS6detail17trampoline_kernelINS0_13select_configILj256ELj13ELNS0_17block_load_methodE3ELS4_3ELS4_3ELNS0_20block_scan_algorithmE0ELj4294967295EEENS1_25partition_config_selectorILNS1_17partition_subalgoE4EjNS0_10empty_typeEbEEZZNS1_14partition_implILS8_4ELb0ES6_15HIP_vector_typeIjLj2EENS0_17counting_iteratorIjlEEPS9_SG_NS0_5tupleIJPjSI_NS0_16reverse_iteratorISI_EEEEENSH_IJSG_SG_SG_EEES9_SI_JZNS1_25segmented_radix_sort_implINS0_14default_configELb1EPKfPfPKlPlN2at6native12_GLOBAL__N_18offset_tEEE10hipError_tPvRmT1_PNSt15iterator_traitsIS12_E10value_typeET2_T3_PNS13_IS18_E10value_typeET4_jRbjT5_S1E_jjP12ihipStream_tbEUljE_ZNSN_ISO_Lb1ESQ_SR_ST_SU_SY_EESZ_S10_S11_S12_S16_S17_S18_S1B_S1C_jS1D_jS1E_S1E_jjS1G_bEUljE0_EEESZ_S10_S11_S18_S1C_S1E_T6_T7_T9_mT8_S1G_bDpT10_ENKUlT_T0_E_clISt17integral_constantIbLb0EES1U_EEDaS1P_S1Q_EUlS1P_E_NS1_11comp_targetILNS1_3genE5ELNS1_11target_archE942ELNS1_3gpuE9ELNS1_3repE0EEENS1_30default_config_static_selectorELNS0_4arch9wavefront6targetE0EEEvS12_.has_indirect_call, 0
	.section	.AMDGPU.csdata,"",@progbits
; Kernel info:
; codeLenInByte = 0
; TotalNumSgprs: 0
; NumVgprs: 0
; ScratchSize: 0
; MemoryBound: 0
; FloatMode: 240
; IeeeMode: 1
; LDSByteSize: 0 bytes/workgroup (compile time only)
; SGPRBlocks: 0
; VGPRBlocks: 0
; NumSGPRsForWavesPerEU: 1
; NumVGPRsForWavesPerEU: 1
; Occupancy: 16
; WaveLimiterHint : 0
; COMPUTE_PGM_RSRC2:SCRATCH_EN: 0
; COMPUTE_PGM_RSRC2:USER_SGPR: 2
; COMPUTE_PGM_RSRC2:TRAP_HANDLER: 0
; COMPUTE_PGM_RSRC2:TGID_X_EN: 1
; COMPUTE_PGM_RSRC2:TGID_Y_EN: 0
; COMPUTE_PGM_RSRC2:TGID_Z_EN: 0
; COMPUTE_PGM_RSRC2:TIDIG_COMP_CNT: 0
	.section	.text._ZN7rocprim17ROCPRIM_400000_NS6detail17trampoline_kernelINS0_13select_configILj256ELj13ELNS0_17block_load_methodE3ELS4_3ELS4_3ELNS0_20block_scan_algorithmE0ELj4294967295EEENS1_25partition_config_selectorILNS1_17partition_subalgoE4EjNS0_10empty_typeEbEEZZNS1_14partition_implILS8_4ELb0ES6_15HIP_vector_typeIjLj2EENS0_17counting_iteratorIjlEEPS9_SG_NS0_5tupleIJPjSI_NS0_16reverse_iteratorISI_EEEEENSH_IJSG_SG_SG_EEES9_SI_JZNS1_25segmented_radix_sort_implINS0_14default_configELb1EPKfPfPKlPlN2at6native12_GLOBAL__N_18offset_tEEE10hipError_tPvRmT1_PNSt15iterator_traitsIS12_E10value_typeET2_T3_PNS13_IS18_E10value_typeET4_jRbjT5_S1E_jjP12ihipStream_tbEUljE_ZNSN_ISO_Lb1ESQ_SR_ST_SU_SY_EESZ_S10_S11_S12_S16_S17_S18_S1B_S1C_jS1D_jS1E_S1E_jjS1G_bEUljE0_EEESZ_S10_S11_S18_S1C_S1E_T6_T7_T9_mT8_S1G_bDpT10_ENKUlT_T0_E_clISt17integral_constantIbLb0EES1U_EEDaS1P_S1Q_EUlS1P_E_NS1_11comp_targetILNS1_3genE4ELNS1_11target_archE910ELNS1_3gpuE8ELNS1_3repE0EEENS1_30default_config_static_selectorELNS0_4arch9wavefront6targetE0EEEvS12_,"axG",@progbits,_ZN7rocprim17ROCPRIM_400000_NS6detail17trampoline_kernelINS0_13select_configILj256ELj13ELNS0_17block_load_methodE3ELS4_3ELS4_3ELNS0_20block_scan_algorithmE0ELj4294967295EEENS1_25partition_config_selectorILNS1_17partition_subalgoE4EjNS0_10empty_typeEbEEZZNS1_14partition_implILS8_4ELb0ES6_15HIP_vector_typeIjLj2EENS0_17counting_iteratorIjlEEPS9_SG_NS0_5tupleIJPjSI_NS0_16reverse_iteratorISI_EEEEENSH_IJSG_SG_SG_EEES9_SI_JZNS1_25segmented_radix_sort_implINS0_14default_configELb1EPKfPfPKlPlN2at6native12_GLOBAL__N_18offset_tEEE10hipError_tPvRmT1_PNSt15iterator_traitsIS12_E10value_typeET2_T3_PNS13_IS18_E10value_typeET4_jRbjT5_S1E_jjP12ihipStream_tbEUljE_ZNSN_ISO_Lb1ESQ_SR_ST_SU_SY_EESZ_S10_S11_S12_S16_S17_S18_S1B_S1C_jS1D_jS1E_S1E_jjS1G_bEUljE0_EEESZ_S10_S11_S18_S1C_S1E_T6_T7_T9_mT8_S1G_bDpT10_ENKUlT_T0_E_clISt17integral_constantIbLb0EES1U_EEDaS1P_S1Q_EUlS1P_E_NS1_11comp_targetILNS1_3genE4ELNS1_11target_archE910ELNS1_3gpuE8ELNS1_3repE0EEENS1_30default_config_static_selectorELNS0_4arch9wavefront6targetE0EEEvS12_,comdat
	.globl	_ZN7rocprim17ROCPRIM_400000_NS6detail17trampoline_kernelINS0_13select_configILj256ELj13ELNS0_17block_load_methodE3ELS4_3ELS4_3ELNS0_20block_scan_algorithmE0ELj4294967295EEENS1_25partition_config_selectorILNS1_17partition_subalgoE4EjNS0_10empty_typeEbEEZZNS1_14partition_implILS8_4ELb0ES6_15HIP_vector_typeIjLj2EENS0_17counting_iteratorIjlEEPS9_SG_NS0_5tupleIJPjSI_NS0_16reverse_iteratorISI_EEEEENSH_IJSG_SG_SG_EEES9_SI_JZNS1_25segmented_radix_sort_implINS0_14default_configELb1EPKfPfPKlPlN2at6native12_GLOBAL__N_18offset_tEEE10hipError_tPvRmT1_PNSt15iterator_traitsIS12_E10value_typeET2_T3_PNS13_IS18_E10value_typeET4_jRbjT5_S1E_jjP12ihipStream_tbEUljE_ZNSN_ISO_Lb1ESQ_SR_ST_SU_SY_EESZ_S10_S11_S12_S16_S17_S18_S1B_S1C_jS1D_jS1E_S1E_jjS1G_bEUljE0_EEESZ_S10_S11_S18_S1C_S1E_T6_T7_T9_mT8_S1G_bDpT10_ENKUlT_T0_E_clISt17integral_constantIbLb0EES1U_EEDaS1P_S1Q_EUlS1P_E_NS1_11comp_targetILNS1_3genE4ELNS1_11target_archE910ELNS1_3gpuE8ELNS1_3repE0EEENS1_30default_config_static_selectorELNS0_4arch9wavefront6targetE0EEEvS12_ ; -- Begin function _ZN7rocprim17ROCPRIM_400000_NS6detail17trampoline_kernelINS0_13select_configILj256ELj13ELNS0_17block_load_methodE3ELS4_3ELS4_3ELNS0_20block_scan_algorithmE0ELj4294967295EEENS1_25partition_config_selectorILNS1_17partition_subalgoE4EjNS0_10empty_typeEbEEZZNS1_14partition_implILS8_4ELb0ES6_15HIP_vector_typeIjLj2EENS0_17counting_iteratorIjlEEPS9_SG_NS0_5tupleIJPjSI_NS0_16reverse_iteratorISI_EEEEENSH_IJSG_SG_SG_EEES9_SI_JZNS1_25segmented_radix_sort_implINS0_14default_configELb1EPKfPfPKlPlN2at6native12_GLOBAL__N_18offset_tEEE10hipError_tPvRmT1_PNSt15iterator_traitsIS12_E10value_typeET2_T3_PNS13_IS18_E10value_typeET4_jRbjT5_S1E_jjP12ihipStream_tbEUljE_ZNSN_ISO_Lb1ESQ_SR_ST_SU_SY_EESZ_S10_S11_S12_S16_S17_S18_S1B_S1C_jS1D_jS1E_S1E_jjS1G_bEUljE0_EEESZ_S10_S11_S18_S1C_S1E_T6_T7_T9_mT8_S1G_bDpT10_ENKUlT_T0_E_clISt17integral_constantIbLb0EES1U_EEDaS1P_S1Q_EUlS1P_E_NS1_11comp_targetILNS1_3genE4ELNS1_11target_archE910ELNS1_3gpuE8ELNS1_3repE0EEENS1_30default_config_static_selectorELNS0_4arch9wavefront6targetE0EEEvS12_
	.p2align	8
	.type	_ZN7rocprim17ROCPRIM_400000_NS6detail17trampoline_kernelINS0_13select_configILj256ELj13ELNS0_17block_load_methodE3ELS4_3ELS4_3ELNS0_20block_scan_algorithmE0ELj4294967295EEENS1_25partition_config_selectorILNS1_17partition_subalgoE4EjNS0_10empty_typeEbEEZZNS1_14partition_implILS8_4ELb0ES6_15HIP_vector_typeIjLj2EENS0_17counting_iteratorIjlEEPS9_SG_NS0_5tupleIJPjSI_NS0_16reverse_iteratorISI_EEEEENSH_IJSG_SG_SG_EEES9_SI_JZNS1_25segmented_radix_sort_implINS0_14default_configELb1EPKfPfPKlPlN2at6native12_GLOBAL__N_18offset_tEEE10hipError_tPvRmT1_PNSt15iterator_traitsIS12_E10value_typeET2_T3_PNS13_IS18_E10value_typeET4_jRbjT5_S1E_jjP12ihipStream_tbEUljE_ZNSN_ISO_Lb1ESQ_SR_ST_SU_SY_EESZ_S10_S11_S12_S16_S17_S18_S1B_S1C_jS1D_jS1E_S1E_jjS1G_bEUljE0_EEESZ_S10_S11_S18_S1C_S1E_T6_T7_T9_mT8_S1G_bDpT10_ENKUlT_T0_E_clISt17integral_constantIbLb0EES1U_EEDaS1P_S1Q_EUlS1P_E_NS1_11comp_targetILNS1_3genE4ELNS1_11target_archE910ELNS1_3gpuE8ELNS1_3repE0EEENS1_30default_config_static_selectorELNS0_4arch9wavefront6targetE0EEEvS12_,@function
_ZN7rocprim17ROCPRIM_400000_NS6detail17trampoline_kernelINS0_13select_configILj256ELj13ELNS0_17block_load_methodE3ELS4_3ELS4_3ELNS0_20block_scan_algorithmE0ELj4294967295EEENS1_25partition_config_selectorILNS1_17partition_subalgoE4EjNS0_10empty_typeEbEEZZNS1_14partition_implILS8_4ELb0ES6_15HIP_vector_typeIjLj2EENS0_17counting_iteratorIjlEEPS9_SG_NS0_5tupleIJPjSI_NS0_16reverse_iteratorISI_EEEEENSH_IJSG_SG_SG_EEES9_SI_JZNS1_25segmented_radix_sort_implINS0_14default_configELb1EPKfPfPKlPlN2at6native12_GLOBAL__N_18offset_tEEE10hipError_tPvRmT1_PNSt15iterator_traitsIS12_E10value_typeET2_T3_PNS13_IS18_E10value_typeET4_jRbjT5_S1E_jjP12ihipStream_tbEUljE_ZNSN_ISO_Lb1ESQ_SR_ST_SU_SY_EESZ_S10_S11_S12_S16_S17_S18_S1B_S1C_jS1D_jS1E_S1E_jjS1G_bEUljE0_EEESZ_S10_S11_S18_S1C_S1E_T6_T7_T9_mT8_S1G_bDpT10_ENKUlT_T0_E_clISt17integral_constantIbLb0EES1U_EEDaS1P_S1Q_EUlS1P_E_NS1_11comp_targetILNS1_3genE4ELNS1_11target_archE910ELNS1_3gpuE8ELNS1_3repE0EEENS1_30default_config_static_selectorELNS0_4arch9wavefront6targetE0EEEvS12_: ; @_ZN7rocprim17ROCPRIM_400000_NS6detail17trampoline_kernelINS0_13select_configILj256ELj13ELNS0_17block_load_methodE3ELS4_3ELS4_3ELNS0_20block_scan_algorithmE0ELj4294967295EEENS1_25partition_config_selectorILNS1_17partition_subalgoE4EjNS0_10empty_typeEbEEZZNS1_14partition_implILS8_4ELb0ES6_15HIP_vector_typeIjLj2EENS0_17counting_iteratorIjlEEPS9_SG_NS0_5tupleIJPjSI_NS0_16reverse_iteratorISI_EEEEENSH_IJSG_SG_SG_EEES9_SI_JZNS1_25segmented_radix_sort_implINS0_14default_configELb1EPKfPfPKlPlN2at6native12_GLOBAL__N_18offset_tEEE10hipError_tPvRmT1_PNSt15iterator_traitsIS12_E10value_typeET2_T3_PNS13_IS18_E10value_typeET4_jRbjT5_S1E_jjP12ihipStream_tbEUljE_ZNSN_ISO_Lb1ESQ_SR_ST_SU_SY_EESZ_S10_S11_S12_S16_S17_S18_S1B_S1C_jS1D_jS1E_S1E_jjS1G_bEUljE0_EEESZ_S10_S11_S18_S1C_S1E_T6_T7_T9_mT8_S1G_bDpT10_ENKUlT_T0_E_clISt17integral_constantIbLb0EES1U_EEDaS1P_S1Q_EUlS1P_E_NS1_11comp_targetILNS1_3genE4ELNS1_11target_archE910ELNS1_3gpuE8ELNS1_3repE0EEENS1_30default_config_static_selectorELNS0_4arch9wavefront6targetE0EEEvS12_
; %bb.0:
	.section	.rodata,"a",@progbits
	.p2align	6, 0x0
	.amdhsa_kernel _ZN7rocprim17ROCPRIM_400000_NS6detail17trampoline_kernelINS0_13select_configILj256ELj13ELNS0_17block_load_methodE3ELS4_3ELS4_3ELNS0_20block_scan_algorithmE0ELj4294967295EEENS1_25partition_config_selectorILNS1_17partition_subalgoE4EjNS0_10empty_typeEbEEZZNS1_14partition_implILS8_4ELb0ES6_15HIP_vector_typeIjLj2EENS0_17counting_iteratorIjlEEPS9_SG_NS0_5tupleIJPjSI_NS0_16reverse_iteratorISI_EEEEENSH_IJSG_SG_SG_EEES9_SI_JZNS1_25segmented_radix_sort_implINS0_14default_configELb1EPKfPfPKlPlN2at6native12_GLOBAL__N_18offset_tEEE10hipError_tPvRmT1_PNSt15iterator_traitsIS12_E10value_typeET2_T3_PNS13_IS18_E10value_typeET4_jRbjT5_S1E_jjP12ihipStream_tbEUljE_ZNSN_ISO_Lb1ESQ_SR_ST_SU_SY_EESZ_S10_S11_S12_S16_S17_S18_S1B_S1C_jS1D_jS1E_S1E_jjS1G_bEUljE0_EEESZ_S10_S11_S18_S1C_S1E_T6_T7_T9_mT8_S1G_bDpT10_ENKUlT_T0_E_clISt17integral_constantIbLb0EES1U_EEDaS1P_S1Q_EUlS1P_E_NS1_11comp_targetILNS1_3genE4ELNS1_11target_archE910ELNS1_3gpuE8ELNS1_3repE0EEENS1_30default_config_static_selectorELNS0_4arch9wavefront6targetE0EEEvS12_
		.amdhsa_group_segment_fixed_size 0
		.amdhsa_private_segment_fixed_size 0
		.amdhsa_kernarg_size 176
		.amdhsa_user_sgpr_count 2
		.amdhsa_user_sgpr_dispatch_ptr 0
		.amdhsa_user_sgpr_queue_ptr 0
		.amdhsa_user_sgpr_kernarg_segment_ptr 1
		.amdhsa_user_sgpr_dispatch_id 0
		.amdhsa_user_sgpr_private_segment_size 0
		.amdhsa_wavefront_size32 1
		.amdhsa_uses_dynamic_stack 0
		.amdhsa_enable_private_segment 0
		.amdhsa_system_sgpr_workgroup_id_x 1
		.amdhsa_system_sgpr_workgroup_id_y 0
		.amdhsa_system_sgpr_workgroup_id_z 0
		.amdhsa_system_sgpr_workgroup_info 0
		.amdhsa_system_vgpr_workitem_id 0
		.amdhsa_next_free_vgpr 1
		.amdhsa_next_free_sgpr 1
		.amdhsa_reserve_vcc 0
		.amdhsa_float_round_mode_32 0
		.amdhsa_float_round_mode_16_64 0
		.amdhsa_float_denorm_mode_32 3
		.amdhsa_float_denorm_mode_16_64 3
		.amdhsa_fp16_overflow 0
		.amdhsa_workgroup_processor_mode 1
		.amdhsa_memory_ordered 1
		.amdhsa_forward_progress 1
		.amdhsa_inst_pref_size 0
		.amdhsa_round_robin_scheduling 0
		.amdhsa_exception_fp_ieee_invalid_op 0
		.amdhsa_exception_fp_denorm_src 0
		.amdhsa_exception_fp_ieee_div_zero 0
		.amdhsa_exception_fp_ieee_overflow 0
		.amdhsa_exception_fp_ieee_underflow 0
		.amdhsa_exception_fp_ieee_inexact 0
		.amdhsa_exception_int_div_zero 0
	.end_amdhsa_kernel
	.section	.text._ZN7rocprim17ROCPRIM_400000_NS6detail17trampoline_kernelINS0_13select_configILj256ELj13ELNS0_17block_load_methodE3ELS4_3ELS4_3ELNS0_20block_scan_algorithmE0ELj4294967295EEENS1_25partition_config_selectorILNS1_17partition_subalgoE4EjNS0_10empty_typeEbEEZZNS1_14partition_implILS8_4ELb0ES6_15HIP_vector_typeIjLj2EENS0_17counting_iteratorIjlEEPS9_SG_NS0_5tupleIJPjSI_NS0_16reverse_iteratorISI_EEEEENSH_IJSG_SG_SG_EEES9_SI_JZNS1_25segmented_radix_sort_implINS0_14default_configELb1EPKfPfPKlPlN2at6native12_GLOBAL__N_18offset_tEEE10hipError_tPvRmT1_PNSt15iterator_traitsIS12_E10value_typeET2_T3_PNS13_IS18_E10value_typeET4_jRbjT5_S1E_jjP12ihipStream_tbEUljE_ZNSN_ISO_Lb1ESQ_SR_ST_SU_SY_EESZ_S10_S11_S12_S16_S17_S18_S1B_S1C_jS1D_jS1E_S1E_jjS1G_bEUljE0_EEESZ_S10_S11_S18_S1C_S1E_T6_T7_T9_mT8_S1G_bDpT10_ENKUlT_T0_E_clISt17integral_constantIbLb0EES1U_EEDaS1P_S1Q_EUlS1P_E_NS1_11comp_targetILNS1_3genE4ELNS1_11target_archE910ELNS1_3gpuE8ELNS1_3repE0EEENS1_30default_config_static_selectorELNS0_4arch9wavefront6targetE0EEEvS12_,"axG",@progbits,_ZN7rocprim17ROCPRIM_400000_NS6detail17trampoline_kernelINS0_13select_configILj256ELj13ELNS0_17block_load_methodE3ELS4_3ELS4_3ELNS0_20block_scan_algorithmE0ELj4294967295EEENS1_25partition_config_selectorILNS1_17partition_subalgoE4EjNS0_10empty_typeEbEEZZNS1_14partition_implILS8_4ELb0ES6_15HIP_vector_typeIjLj2EENS0_17counting_iteratorIjlEEPS9_SG_NS0_5tupleIJPjSI_NS0_16reverse_iteratorISI_EEEEENSH_IJSG_SG_SG_EEES9_SI_JZNS1_25segmented_radix_sort_implINS0_14default_configELb1EPKfPfPKlPlN2at6native12_GLOBAL__N_18offset_tEEE10hipError_tPvRmT1_PNSt15iterator_traitsIS12_E10value_typeET2_T3_PNS13_IS18_E10value_typeET4_jRbjT5_S1E_jjP12ihipStream_tbEUljE_ZNSN_ISO_Lb1ESQ_SR_ST_SU_SY_EESZ_S10_S11_S12_S16_S17_S18_S1B_S1C_jS1D_jS1E_S1E_jjS1G_bEUljE0_EEESZ_S10_S11_S18_S1C_S1E_T6_T7_T9_mT8_S1G_bDpT10_ENKUlT_T0_E_clISt17integral_constantIbLb0EES1U_EEDaS1P_S1Q_EUlS1P_E_NS1_11comp_targetILNS1_3genE4ELNS1_11target_archE910ELNS1_3gpuE8ELNS1_3repE0EEENS1_30default_config_static_selectorELNS0_4arch9wavefront6targetE0EEEvS12_,comdat
.Lfunc_end1263:
	.size	_ZN7rocprim17ROCPRIM_400000_NS6detail17trampoline_kernelINS0_13select_configILj256ELj13ELNS0_17block_load_methodE3ELS4_3ELS4_3ELNS0_20block_scan_algorithmE0ELj4294967295EEENS1_25partition_config_selectorILNS1_17partition_subalgoE4EjNS0_10empty_typeEbEEZZNS1_14partition_implILS8_4ELb0ES6_15HIP_vector_typeIjLj2EENS0_17counting_iteratorIjlEEPS9_SG_NS0_5tupleIJPjSI_NS0_16reverse_iteratorISI_EEEEENSH_IJSG_SG_SG_EEES9_SI_JZNS1_25segmented_radix_sort_implINS0_14default_configELb1EPKfPfPKlPlN2at6native12_GLOBAL__N_18offset_tEEE10hipError_tPvRmT1_PNSt15iterator_traitsIS12_E10value_typeET2_T3_PNS13_IS18_E10value_typeET4_jRbjT5_S1E_jjP12ihipStream_tbEUljE_ZNSN_ISO_Lb1ESQ_SR_ST_SU_SY_EESZ_S10_S11_S12_S16_S17_S18_S1B_S1C_jS1D_jS1E_S1E_jjS1G_bEUljE0_EEESZ_S10_S11_S18_S1C_S1E_T6_T7_T9_mT8_S1G_bDpT10_ENKUlT_T0_E_clISt17integral_constantIbLb0EES1U_EEDaS1P_S1Q_EUlS1P_E_NS1_11comp_targetILNS1_3genE4ELNS1_11target_archE910ELNS1_3gpuE8ELNS1_3repE0EEENS1_30default_config_static_selectorELNS0_4arch9wavefront6targetE0EEEvS12_, .Lfunc_end1263-_ZN7rocprim17ROCPRIM_400000_NS6detail17trampoline_kernelINS0_13select_configILj256ELj13ELNS0_17block_load_methodE3ELS4_3ELS4_3ELNS0_20block_scan_algorithmE0ELj4294967295EEENS1_25partition_config_selectorILNS1_17partition_subalgoE4EjNS0_10empty_typeEbEEZZNS1_14partition_implILS8_4ELb0ES6_15HIP_vector_typeIjLj2EENS0_17counting_iteratorIjlEEPS9_SG_NS0_5tupleIJPjSI_NS0_16reverse_iteratorISI_EEEEENSH_IJSG_SG_SG_EEES9_SI_JZNS1_25segmented_radix_sort_implINS0_14default_configELb1EPKfPfPKlPlN2at6native12_GLOBAL__N_18offset_tEEE10hipError_tPvRmT1_PNSt15iterator_traitsIS12_E10value_typeET2_T3_PNS13_IS18_E10value_typeET4_jRbjT5_S1E_jjP12ihipStream_tbEUljE_ZNSN_ISO_Lb1ESQ_SR_ST_SU_SY_EESZ_S10_S11_S12_S16_S17_S18_S1B_S1C_jS1D_jS1E_S1E_jjS1G_bEUljE0_EEESZ_S10_S11_S18_S1C_S1E_T6_T7_T9_mT8_S1G_bDpT10_ENKUlT_T0_E_clISt17integral_constantIbLb0EES1U_EEDaS1P_S1Q_EUlS1P_E_NS1_11comp_targetILNS1_3genE4ELNS1_11target_archE910ELNS1_3gpuE8ELNS1_3repE0EEENS1_30default_config_static_selectorELNS0_4arch9wavefront6targetE0EEEvS12_
                                        ; -- End function
	.set _ZN7rocprim17ROCPRIM_400000_NS6detail17trampoline_kernelINS0_13select_configILj256ELj13ELNS0_17block_load_methodE3ELS4_3ELS4_3ELNS0_20block_scan_algorithmE0ELj4294967295EEENS1_25partition_config_selectorILNS1_17partition_subalgoE4EjNS0_10empty_typeEbEEZZNS1_14partition_implILS8_4ELb0ES6_15HIP_vector_typeIjLj2EENS0_17counting_iteratorIjlEEPS9_SG_NS0_5tupleIJPjSI_NS0_16reverse_iteratorISI_EEEEENSH_IJSG_SG_SG_EEES9_SI_JZNS1_25segmented_radix_sort_implINS0_14default_configELb1EPKfPfPKlPlN2at6native12_GLOBAL__N_18offset_tEEE10hipError_tPvRmT1_PNSt15iterator_traitsIS12_E10value_typeET2_T3_PNS13_IS18_E10value_typeET4_jRbjT5_S1E_jjP12ihipStream_tbEUljE_ZNSN_ISO_Lb1ESQ_SR_ST_SU_SY_EESZ_S10_S11_S12_S16_S17_S18_S1B_S1C_jS1D_jS1E_S1E_jjS1G_bEUljE0_EEESZ_S10_S11_S18_S1C_S1E_T6_T7_T9_mT8_S1G_bDpT10_ENKUlT_T0_E_clISt17integral_constantIbLb0EES1U_EEDaS1P_S1Q_EUlS1P_E_NS1_11comp_targetILNS1_3genE4ELNS1_11target_archE910ELNS1_3gpuE8ELNS1_3repE0EEENS1_30default_config_static_selectorELNS0_4arch9wavefront6targetE0EEEvS12_.num_vgpr, 0
	.set _ZN7rocprim17ROCPRIM_400000_NS6detail17trampoline_kernelINS0_13select_configILj256ELj13ELNS0_17block_load_methodE3ELS4_3ELS4_3ELNS0_20block_scan_algorithmE0ELj4294967295EEENS1_25partition_config_selectorILNS1_17partition_subalgoE4EjNS0_10empty_typeEbEEZZNS1_14partition_implILS8_4ELb0ES6_15HIP_vector_typeIjLj2EENS0_17counting_iteratorIjlEEPS9_SG_NS0_5tupleIJPjSI_NS0_16reverse_iteratorISI_EEEEENSH_IJSG_SG_SG_EEES9_SI_JZNS1_25segmented_radix_sort_implINS0_14default_configELb1EPKfPfPKlPlN2at6native12_GLOBAL__N_18offset_tEEE10hipError_tPvRmT1_PNSt15iterator_traitsIS12_E10value_typeET2_T3_PNS13_IS18_E10value_typeET4_jRbjT5_S1E_jjP12ihipStream_tbEUljE_ZNSN_ISO_Lb1ESQ_SR_ST_SU_SY_EESZ_S10_S11_S12_S16_S17_S18_S1B_S1C_jS1D_jS1E_S1E_jjS1G_bEUljE0_EEESZ_S10_S11_S18_S1C_S1E_T6_T7_T9_mT8_S1G_bDpT10_ENKUlT_T0_E_clISt17integral_constantIbLb0EES1U_EEDaS1P_S1Q_EUlS1P_E_NS1_11comp_targetILNS1_3genE4ELNS1_11target_archE910ELNS1_3gpuE8ELNS1_3repE0EEENS1_30default_config_static_selectorELNS0_4arch9wavefront6targetE0EEEvS12_.num_agpr, 0
	.set _ZN7rocprim17ROCPRIM_400000_NS6detail17trampoline_kernelINS0_13select_configILj256ELj13ELNS0_17block_load_methodE3ELS4_3ELS4_3ELNS0_20block_scan_algorithmE0ELj4294967295EEENS1_25partition_config_selectorILNS1_17partition_subalgoE4EjNS0_10empty_typeEbEEZZNS1_14partition_implILS8_4ELb0ES6_15HIP_vector_typeIjLj2EENS0_17counting_iteratorIjlEEPS9_SG_NS0_5tupleIJPjSI_NS0_16reverse_iteratorISI_EEEEENSH_IJSG_SG_SG_EEES9_SI_JZNS1_25segmented_radix_sort_implINS0_14default_configELb1EPKfPfPKlPlN2at6native12_GLOBAL__N_18offset_tEEE10hipError_tPvRmT1_PNSt15iterator_traitsIS12_E10value_typeET2_T3_PNS13_IS18_E10value_typeET4_jRbjT5_S1E_jjP12ihipStream_tbEUljE_ZNSN_ISO_Lb1ESQ_SR_ST_SU_SY_EESZ_S10_S11_S12_S16_S17_S18_S1B_S1C_jS1D_jS1E_S1E_jjS1G_bEUljE0_EEESZ_S10_S11_S18_S1C_S1E_T6_T7_T9_mT8_S1G_bDpT10_ENKUlT_T0_E_clISt17integral_constantIbLb0EES1U_EEDaS1P_S1Q_EUlS1P_E_NS1_11comp_targetILNS1_3genE4ELNS1_11target_archE910ELNS1_3gpuE8ELNS1_3repE0EEENS1_30default_config_static_selectorELNS0_4arch9wavefront6targetE0EEEvS12_.numbered_sgpr, 0
	.set _ZN7rocprim17ROCPRIM_400000_NS6detail17trampoline_kernelINS0_13select_configILj256ELj13ELNS0_17block_load_methodE3ELS4_3ELS4_3ELNS0_20block_scan_algorithmE0ELj4294967295EEENS1_25partition_config_selectorILNS1_17partition_subalgoE4EjNS0_10empty_typeEbEEZZNS1_14partition_implILS8_4ELb0ES6_15HIP_vector_typeIjLj2EENS0_17counting_iteratorIjlEEPS9_SG_NS0_5tupleIJPjSI_NS0_16reverse_iteratorISI_EEEEENSH_IJSG_SG_SG_EEES9_SI_JZNS1_25segmented_radix_sort_implINS0_14default_configELb1EPKfPfPKlPlN2at6native12_GLOBAL__N_18offset_tEEE10hipError_tPvRmT1_PNSt15iterator_traitsIS12_E10value_typeET2_T3_PNS13_IS18_E10value_typeET4_jRbjT5_S1E_jjP12ihipStream_tbEUljE_ZNSN_ISO_Lb1ESQ_SR_ST_SU_SY_EESZ_S10_S11_S12_S16_S17_S18_S1B_S1C_jS1D_jS1E_S1E_jjS1G_bEUljE0_EEESZ_S10_S11_S18_S1C_S1E_T6_T7_T9_mT8_S1G_bDpT10_ENKUlT_T0_E_clISt17integral_constantIbLb0EES1U_EEDaS1P_S1Q_EUlS1P_E_NS1_11comp_targetILNS1_3genE4ELNS1_11target_archE910ELNS1_3gpuE8ELNS1_3repE0EEENS1_30default_config_static_selectorELNS0_4arch9wavefront6targetE0EEEvS12_.num_named_barrier, 0
	.set _ZN7rocprim17ROCPRIM_400000_NS6detail17trampoline_kernelINS0_13select_configILj256ELj13ELNS0_17block_load_methodE3ELS4_3ELS4_3ELNS0_20block_scan_algorithmE0ELj4294967295EEENS1_25partition_config_selectorILNS1_17partition_subalgoE4EjNS0_10empty_typeEbEEZZNS1_14partition_implILS8_4ELb0ES6_15HIP_vector_typeIjLj2EENS0_17counting_iteratorIjlEEPS9_SG_NS0_5tupleIJPjSI_NS0_16reverse_iteratorISI_EEEEENSH_IJSG_SG_SG_EEES9_SI_JZNS1_25segmented_radix_sort_implINS0_14default_configELb1EPKfPfPKlPlN2at6native12_GLOBAL__N_18offset_tEEE10hipError_tPvRmT1_PNSt15iterator_traitsIS12_E10value_typeET2_T3_PNS13_IS18_E10value_typeET4_jRbjT5_S1E_jjP12ihipStream_tbEUljE_ZNSN_ISO_Lb1ESQ_SR_ST_SU_SY_EESZ_S10_S11_S12_S16_S17_S18_S1B_S1C_jS1D_jS1E_S1E_jjS1G_bEUljE0_EEESZ_S10_S11_S18_S1C_S1E_T6_T7_T9_mT8_S1G_bDpT10_ENKUlT_T0_E_clISt17integral_constantIbLb0EES1U_EEDaS1P_S1Q_EUlS1P_E_NS1_11comp_targetILNS1_3genE4ELNS1_11target_archE910ELNS1_3gpuE8ELNS1_3repE0EEENS1_30default_config_static_selectorELNS0_4arch9wavefront6targetE0EEEvS12_.private_seg_size, 0
	.set _ZN7rocprim17ROCPRIM_400000_NS6detail17trampoline_kernelINS0_13select_configILj256ELj13ELNS0_17block_load_methodE3ELS4_3ELS4_3ELNS0_20block_scan_algorithmE0ELj4294967295EEENS1_25partition_config_selectorILNS1_17partition_subalgoE4EjNS0_10empty_typeEbEEZZNS1_14partition_implILS8_4ELb0ES6_15HIP_vector_typeIjLj2EENS0_17counting_iteratorIjlEEPS9_SG_NS0_5tupleIJPjSI_NS0_16reverse_iteratorISI_EEEEENSH_IJSG_SG_SG_EEES9_SI_JZNS1_25segmented_radix_sort_implINS0_14default_configELb1EPKfPfPKlPlN2at6native12_GLOBAL__N_18offset_tEEE10hipError_tPvRmT1_PNSt15iterator_traitsIS12_E10value_typeET2_T3_PNS13_IS18_E10value_typeET4_jRbjT5_S1E_jjP12ihipStream_tbEUljE_ZNSN_ISO_Lb1ESQ_SR_ST_SU_SY_EESZ_S10_S11_S12_S16_S17_S18_S1B_S1C_jS1D_jS1E_S1E_jjS1G_bEUljE0_EEESZ_S10_S11_S18_S1C_S1E_T6_T7_T9_mT8_S1G_bDpT10_ENKUlT_T0_E_clISt17integral_constantIbLb0EES1U_EEDaS1P_S1Q_EUlS1P_E_NS1_11comp_targetILNS1_3genE4ELNS1_11target_archE910ELNS1_3gpuE8ELNS1_3repE0EEENS1_30default_config_static_selectorELNS0_4arch9wavefront6targetE0EEEvS12_.uses_vcc, 0
	.set _ZN7rocprim17ROCPRIM_400000_NS6detail17trampoline_kernelINS0_13select_configILj256ELj13ELNS0_17block_load_methodE3ELS4_3ELS4_3ELNS0_20block_scan_algorithmE0ELj4294967295EEENS1_25partition_config_selectorILNS1_17partition_subalgoE4EjNS0_10empty_typeEbEEZZNS1_14partition_implILS8_4ELb0ES6_15HIP_vector_typeIjLj2EENS0_17counting_iteratorIjlEEPS9_SG_NS0_5tupleIJPjSI_NS0_16reverse_iteratorISI_EEEEENSH_IJSG_SG_SG_EEES9_SI_JZNS1_25segmented_radix_sort_implINS0_14default_configELb1EPKfPfPKlPlN2at6native12_GLOBAL__N_18offset_tEEE10hipError_tPvRmT1_PNSt15iterator_traitsIS12_E10value_typeET2_T3_PNS13_IS18_E10value_typeET4_jRbjT5_S1E_jjP12ihipStream_tbEUljE_ZNSN_ISO_Lb1ESQ_SR_ST_SU_SY_EESZ_S10_S11_S12_S16_S17_S18_S1B_S1C_jS1D_jS1E_S1E_jjS1G_bEUljE0_EEESZ_S10_S11_S18_S1C_S1E_T6_T7_T9_mT8_S1G_bDpT10_ENKUlT_T0_E_clISt17integral_constantIbLb0EES1U_EEDaS1P_S1Q_EUlS1P_E_NS1_11comp_targetILNS1_3genE4ELNS1_11target_archE910ELNS1_3gpuE8ELNS1_3repE0EEENS1_30default_config_static_selectorELNS0_4arch9wavefront6targetE0EEEvS12_.uses_flat_scratch, 0
	.set _ZN7rocprim17ROCPRIM_400000_NS6detail17trampoline_kernelINS0_13select_configILj256ELj13ELNS0_17block_load_methodE3ELS4_3ELS4_3ELNS0_20block_scan_algorithmE0ELj4294967295EEENS1_25partition_config_selectorILNS1_17partition_subalgoE4EjNS0_10empty_typeEbEEZZNS1_14partition_implILS8_4ELb0ES6_15HIP_vector_typeIjLj2EENS0_17counting_iteratorIjlEEPS9_SG_NS0_5tupleIJPjSI_NS0_16reverse_iteratorISI_EEEEENSH_IJSG_SG_SG_EEES9_SI_JZNS1_25segmented_radix_sort_implINS0_14default_configELb1EPKfPfPKlPlN2at6native12_GLOBAL__N_18offset_tEEE10hipError_tPvRmT1_PNSt15iterator_traitsIS12_E10value_typeET2_T3_PNS13_IS18_E10value_typeET4_jRbjT5_S1E_jjP12ihipStream_tbEUljE_ZNSN_ISO_Lb1ESQ_SR_ST_SU_SY_EESZ_S10_S11_S12_S16_S17_S18_S1B_S1C_jS1D_jS1E_S1E_jjS1G_bEUljE0_EEESZ_S10_S11_S18_S1C_S1E_T6_T7_T9_mT8_S1G_bDpT10_ENKUlT_T0_E_clISt17integral_constantIbLb0EES1U_EEDaS1P_S1Q_EUlS1P_E_NS1_11comp_targetILNS1_3genE4ELNS1_11target_archE910ELNS1_3gpuE8ELNS1_3repE0EEENS1_30default_config_static_selectorELNS0_4arch9wavefront6targetE0EEEvS12_.has_dyn_sized_stack, 0
	.set _ZN7rocprim17ROCPRIM_400000_NS6detail17trampoline_kernelINS0_13select_configILj256ELj13ELNS0_17block_load_methodE3ELS4_3ELS4_3ELNS0_20block_scan_algorithmE0ELj4294967295EEENS1_25partition_config_selectorILNS1_17partition_subalgoE4EjNS0_10empty_typeEbEEZZNS1_14partition_implILS8_4ELb0ES6_15HIP_vector_typeIjLj2EENS0_17counting_iteratorIjlEEPS9_SG_NS0_5tupleIJPjSI_NS0_16reverse_iteratorISI_EEEEENSH_IJSG_SG_SG_EEES9_SI_JZNS1_25segmented_radix_sort_implINS0_14default_configELb1EPKfPfPKlPlN2at6native12_GLOBAL__N_18offset_tEEE10hipError_tPvRmT1_PNSt15iterator_traitsIS12_E10value_typeET2_T3_PNS13_IS18_E10value_typeET4_jRbjT5_S1E_jjP12ihipStream_tbEUljE_ZNSN_ISO_Lb1ESQ_SR_ST_SU_SY_EESZ_S10_S11_S12_S16_S17_S18_S1B_S1C_jS1D_jS1E_S1E_jjS1G_bEUljE0_EEESZ_S10_S11_S18_S1C_S1E_T6_T7_T9_mT8_S1G_bDpT10_ENKUlT_T0_E_clISt17integral_constantIbLb0EES1U_EEDaS1P_S1Q_EUlS1P_E_NS1_11comp_targetILNS1_3genE4ELNS1_11target_archE910ELNS1_3gpuE8ELNS1_3repE0EEENS1_30default_config_static_selectorELNS0_4arch9wavefront6targetE0EEEvS12_.has_recursion, 0
	.set _ZN7rocprim17ROCPRIM_400000_NS6detail17trampoline_kernelINS0_13select_configILj256ELj13ELNS0_17block_load_methodE3ELS4_3ELS4_3ELNS0_20block_scan_algorithmE0ELj4294967295EEENS1_25partition_config_selectorILNS1_17partition_subalgoE4EjNS0_10empty_typeEbEEZZNS1_14partition_implILS8_4ELb0ES6_15HIP_vector_typeIjLj2EENS0_17counting_iteratorIjlEEPS9_SG_NS0_5tupleIJPjSI_NS0_16reverse_iteratorISI_EEEEENSH_IJSG_SG_SG_EEES9_SI_JZNS1_25segmented_radix_sort_implINS0_14default_configELb1EPKfPfPKlPlN2at6native12_GLOBAL__N_18offset_tEEE10hipError_tPvRmT1_PNSt15iterator_traitsIS12_E10value_typeET2_T3_PNS13_IS18_E10value_typeET4_jRbjT5_S1E_jjP12ihipStream_tbEUljE_ZNSN_ISO_Lb1ESQ_SR_ST_SU_SY_EESZ_S10_S11_S12_S16_S17_S18_S1B_S1C_jS1D_jS1E_S1E_jjS1G_bEUljE0_EEESZ_S10_S11_S18_S1C_S1E_T6_T7_T9_mT8_S1G_bDpT10_ENKUlT_T0_E_clISt17integral_constantIbLb0EES1U_EEDaS1P_S1Q_EUlS1P_E_NS1_11comp_targetILNS1_3genE4ELNS1_11target_archE910ELNS1_3gpuE8ELNS1_3repE0EEENS1_30default_config_static_selectorELNS0_4arch9wavefront6targetE0EEEvS12_.has_indirect_call, 0
	.section	.AMDGPU.csdata,"",@progbits
; Kernel info:
; codeLenInByte = 0
; TotalNumSgprs: 0
; NumVgprs: 0
; ScratchSize: 0
; MemoryBound: 0
; FloatMode: 240
; IeeeMode: 1
; LDSByteSize: 0 bytes/workgroup (compile time only)
; SGPRBlocks: 0
; VGPRBlocks: 0
; NumSGPRsForWavesPerEU: 1
; NumVGPRsForWavesPerEU: 1
; Occupancy: 16
; WaveLimiterHint : 0
; COMPUTE_PGM_RSRC2:SCRATCH_EN: 0
; COMPUTE_PGM_RSRC2:USER_SGPR: 2
; COMPUTE_PGM_RSRC2:TRAP_HANDLER: 0
; COMPUTE_PGM_RSRC2:TGID_X_EN: 1
; COMPUTE_PGM_RSRC2:TGID_Y_EN: 0
; COMPUTE_PGM_RSRC2:TGID_Z_EN: 0
; COMPUTE_PGM_RSRC2:TIDIG_COMP_CNT: 0
	.section	.text._ZN7rocprim17ROCPRIM_400000_NS6detail17trampoline_kernelINS0_13select_configILj256ELj13ELNS0_17block_load_methodE3ELS4_3ELS4_3ELNS0_20block_scan_algorithmE0ELj4294967295EEENS1_25partition_config_selectorILNS1_17partition_subalgoE4EjNS0_10empty_typeEbEEZZNS1_14partition_implILS8_4ELb0ES6_15HIP_vector_typeIjLj2EENS0_17counting_iteratorIjlEEPS9_SG_NS0_5tupleIJPjSI_NS0_16reverse_iteratorISI_EEEEENSH_IJSG_SG_SG_EEES9_SI_JZNS1_25segmented_radix_sort_implINS0_14default_configELb1EPKfPfPKlPlN2at6native12_GLOBAL__N_18offset_tEEE10hipError_tPvRmT1_PNSt15iterator_traitsIS12_E10value_typeET2_T3_PNS13_IS18_E10value_typeET4_jRbjT5_S1E_jjP12ihipStream_tbEUljE_ZNSN_ISO_Lb1ESQ_SR_ST_SU_SY_EESZ_S10_S11_S12_S16_S17_S18_S1B_S1C_jS1D_jS1E_S1E_jjS1G_bEUljE0_EEESZ_S10_S11_S18_S1C_S1E_T6_T7_T9_mT8_S1G_bDpT10_ENKUlT_T0_E_clISt17integral_constantIbLb0EES1U_EEDaS1P_S1Q_EUlS1P_E_NS1_11comp_targetILNS1_3genE3ELNS1_11target_archE908ELNS1_3gpuE7ELNS1_3repE0EEENS1_30default_config_static_selectorELNS0_4arch9wavefront6targetE0EEEvS12_,"axG",@progbits,_ZN7rocprim17ROCPRIM_400000_NS6detail17trampoline_kernelINS0_13select_configILj256ELj13ELNS0_17block_load_methodE3ELS4_3ELS4_3ELNS0_20block_scan_algorithmE0ELj4294967295EEENS1_25partition_config_selectorILNS1_17partition_subalgoE4EjNS0_10empty_typeEbEEZZNS1_14partition_implILS8_4ELb0ES6_15HIP_vector_typeIjLj2EENS0_17counting_iteratorIjlEEPS9_SG_NS0_5tupleIJPjSI_NS0_16reverse_iteratorISI_EEEEENSH_IJSG_SG_SG_EEES9_SI_JZNS1_25segmented_radix_sort_implINS0_14default_configELb1EPKfPfPKlPlN2at6native12_GLOBAL__N_18offset_tEEE10hipError_tPvRmT1_PNSt15iterator_traitsIS12_E10value_typeET2_T3_PNS13_IS18_E10value_typeET4_jRbjT5_S1E_jjP12ihipStream_tbEUljE_ZNSN_ISO_Lb1ESQ_SR_ST_SU_SY_EESZ_S10_S11_S12_S16_S17_S18_S1B_S1C_jS1D_jS1E_S1E_jjS1G_bEUljE0_EEESZ_S10_S11_S18_S1C_S1E_T6_T7_T9_mT8_S1G_bDpT10_ENKUlT_T0_E_clISt17integral_constantIbLb0EES1U_EEDaS1P_S1Q_EUlS1P_E_NS1_11comp_targetILNS1_3genE3ELNS1_11target_archE908ELNS1_3gpuE7ELNS1_3repE0EEENS1_30default_config_static_selectorELNS0_4arch9wavefront6targetE0EEEvS12_,comdat
	.globl	_ZN7rocprim17ROCPRIM_400000_NS6detail17trampoline_kernelINS0_13select_configILj256ELj13ELNS0_17block_load_methodE3ELS4_3ELS4_3ELNS0_20block_scan_algorithmE0ELj4294967295EEENS1_25partition_config_selectorILNS1_17partition_subalgoE4EjNS0_10empty_typeEbEEZZNS1_14partition_implILS8_4ELb0ES6_15HIP_vector_typeIjLj2EENS0_17counting_iteratorIjlEEPS9_SG_NS0_5tupleIJPjSI_NS0_16reverse_iteratorISI_EEEEENSH_IJSG_SG_SG_EEES9_SI_JZNS1_25segmented_radix_sort_implINS0_14default_configELb1EPKfPfPKlPlN2at6native12_GLOBAL__N_18offset_tEEE10hipError_tPvRmT1_PNSt15iterator_traitsIS12_E10value_typeET2_T3_PNS13_IS18_E10value_typeET4_jRbjT5_S1E_jjP12ihipStream_tbEUljE_ZNSN_ISO_Lb1ESQ_SR_ST_SU_SY_EESZ_S10_S11_S12_S16_S17_S18_S1B_S1C_jS1D_jS1E_S1E_jjS1G_bEUljE0_EEESZ_S10_S11_S18_S1C_S1E_T6_T7_T9_mT8_S1G_bDpT10_ENKUlT_T0_E_clISt17integral_constantIbLb0EES1U_EEDaS1P_S1Q_EUlS1P_E_NS1_11comp_targetILNS1_3genE3ELNS1_11target_archE908ELNS1_3gpuE7ELNS1_3repE0EEENS1_30default_config_static_selectorELNS0_4arch9wavefront6targetE0EEEvS12_ ; -- Begin function _ZN7rocprim17ROCPRIM_400000_NS6detail17trampoline_kernelINS0_13select_configILj256ELj13ELNS0_17block_load_methodE3ELS4_3ELS4_3ELNS0_20block_scan_algorithmE0ELj4294967295EEENS1_25partition_config_selectorILNS1_17partition_subalgoE4EjNS0_10empty_typeEbEEZZNS1_14partition_implILS8_4ELb0ES6_15HIP_vector_typeIjLj2EENS0_17counting_iteratorIjlEEPS9_SG_NS0_5tupleIJPjSI_NS0_16reverse_iteratorISI_EEEEENSH_IJSG_SG_SG_EEES9_SI_JZNS1_25segmented_radix_sort_implINS0_14default_configELb1EPKfPfPKlPlN2at6native12_GLOBAL__N_18offset_tEEE10hipError_tPvRmT1_PNSt15iterator_traitsIS12_E10value_typeET2_T3_PNS13_IS18_E10value_typeET4_jRbjT5_S1E_jjP12ihipStream_tbEUljE_ZNSN_ISO_Lb1ESQ_SR_ST_SU_SY_EESZ_S10_S11_S12_S16_S17_S18_S1B_S1C_jS1D_jS1E_S1E_jjS1G_bEUljE0_EEESZ_S10_S11_S18_S1C_S1E_T6_T7_T9_mT8_S1G_bDpT10_ENKUlT_T0_E_clISt17integral_constantIbLb0EES1U_EEDaS1P_S1Q_EUlS1P_E_NS1_11comp_targetILNS1_3genE3ELNS1_11target_archE908ELNS1_3gpuE7ELNS1_3repE0EEENS1_30default_config_static_selectorELNS0_4arch9wavefront6targetE0EEEvS12_
	.p2align	8
	.type	_ZN7rocprim17ROCPRIM_400000_NS6detail17trampoline_kernelINS0_13select_configILj256ELj13ELNS0_17block_load_methodE3ELS4_3ELS4_3ELNS0_20block_scan_algorithmE0ELj4294967295EEENS1_25partition_config_selectorILNS1_17partition_subalgoE4EjNS0_10empty_typeEbEEZZNS1_14partition_implILS8_4ELb0ES6_15HIP_vector_typeIjLj2EENS0_17counting_iteratorIjlEEPS9_SG_NS0_5tupleIJPjSI_NS0_16reverse_iteratorISI_EEEEENSH_IJSG_SG_SG_EEES9_SI_JZNS1_25segmented_radix_sort_implINS0_14default_configELb1EPKfPfPKlPlN2at6native12_GLOBAL__N_18offset_tEEE10hipError_tPvRmT1_PNSt15iterator_traitsIS12_E10value_typeET2_T3_PNS13_IS18_E10value_typeET4_jRbjT5_S1E_jjP12ihipStream_tbEUljE_ZNSN_ISO_Lb1ESQ_SR_ST_SU_SY_EESZ_S10_S11_S12_S16_S17_S18_S1B_S1C_jS1D_jS1E_S1E_jjS1G_bEUljE0_EEESZ_S10_S11_S18_S1C_S1E_T6_T7_T9_mT8_S1G_bDpT10_ENKUlT_T0_E_clISt17integral_constantIbLb0EES1U_EEDaS1P_S1Q_EUlS1P_E_NS1_11comp_targetILNS1_3genE3ELNS1_11target_archE908ELNS1_3gpuE7ELNS1_3repE0EEENS1_30default_config_static_selectorELNS0_4arch9wavefront6targetE0EEEvS12_,@function
_ZN7rocprim17ROCPRIM_400000_NS6detail17trampoline_kernelINS0_13select_configILj256ELj13ELNS0_17block_load_methodE3ELS4_3ELS4_3ELNS0_20block_scan_algorithmE0ELj4294967295EEENS1_25partition_config_selectorILNS1_17partition_subalgoE4EjNS0_10empty_typeEbEEZZNS1_14partition_implILS8_4ELb0ES6_15HIP_vector_typeIjLj2EENS0_17counting_iteratorIjlEEPS9_SG_NS0_5tupleIJPjSI_NS0_16reverse_iteratorISI_EEEEENSH_IJSG_SG_SG_EEES9_SI_JZNS1_25segmented_radix_sort_implINS0_14default_configELb1EPKfPfPKlPlN2at6native12_GLOBAL__N_18offset_tEEE10hipError_tPvRmT1_PNSt15iterator_traitsIS12_E10value_typeET2_T3_PNS13_IS18_E10value_typeET4_jRbjT5_S1E_jjP12ihipStream_tbEUljE_ZNSN_ISO_Lb1ESQ_SR_ST_SU_SY_EESZ_S10_S11_S12_S16_S17_S18_S1B_S1C_jS1D_jS1E_S1E_jjS1G_bEUljE0_EEESZ_S10_S11_S18_S1C_S1E_T6_T7_T9_mT8_S1G_bDpT10_ENKUlT_T0_E_clISt17integral_constantIbLb0EES1U_EEDaS1P_S1Q_EUlS1P_E_NS1_11comp_targetILNS1_3genE3ELNS1_11target_archE908ELNS1_3gpuE7ELNS1_3repE0EEENS1_30default_config_static_selectorELNS0_4arch9wavefront6targetE0EEEvS12_: ; @_ZN7rocprim17ROCPRIM_400000_NS6detail17trampoline_kernelINS0_13select_configILj256ELj13ELNS0_17block_load_methodE3ELS4_3ELS4_3ELNS0_20block_scan_algorithmE0ELj4294967295EEENS1_25partition_config_selectorILNS1_17partition_subalgoE4EjNS0_10empty_typeEbEEZZNS1_14partition_implILS8_4ELb0ES6_15HIP_vector_typeIjLj2EENS0_17counting_iteratorIjlEEPS9_SG_NS0_5tupleIJPjSI_NS0_16reverse_iteratorISI_EEEEENSH_IJSG_SG_SG_EEES9_SI_JZNS1_25segmented_radix_sort_implINS0_14default_configELb1EPKfPfPKlPlN2at6native12_GLOBAL__N_18offset_tEEE10hipError_tPvRmT1_PNSt15iterator_traitsIS12_E10value_typeET2_T3_PNS13_IS18_E10value_typeET4_jRbjT5_S1E_jjP12ihipStream_tbEUljE_ZNSN_ISO_Lb1ESQ_SR_ST_SU_SY_EESZ_S10_S11_S12_S16_S17_S18_S1B_S1C_jS1D_jS1E_S1E_jjS1G_bEUljE0_EEESZ_S10_S11_S18_S1C_S1E_T6_T7_T9_mT8_S1G_bDpT10_ENKUlT_T0_E_clISt17integral_constantIbLb0EES1U_EEDaS1P_S1Q_EUlS1P_E_NS1_11comp_targetILNS1_3genE3ELNS1_11target_archE908ELNS1_3gpuE7ELNS1_3repE0EEENS1_30default_config_static_selectorELNS0_4arch9wavefront6targetE0EEEvS12_
; %bb.0:
	.section	.rodata,"a",@progbits
	.p2align	6, 0x0
	.amdhsa_kernel _ZN7rocprim17ROCPRIM_400000_NS6detail17trampoline_kernelINS0_13select_configILj256ELj13ELNS0_17block_load_methodE3ELS4_3ELS4_3ELNS0_20block_scan_algorithmE0ELj4294967295EEENS1_25partition_config_selectorILNS1_17partition_subalgoE4EjNS0_10empty_typeEbEEZZNS1_14partition_implILS8_4ELb0ES6_15HIP_vector_typeIjLj2EENS0_17counting_iteratorIjlEEPS9_SG_NS0_5tupleIJPjSI_NS0_16reverse_iteratorISI_EEEEENSH_IJSG_SG_SG_EEES9_SI_JZNS1_25segmented_radix_sort_implINS0_14default_configELb1EPKfPfPKlPlN2at6native12_GLOBAL__N_18offset_tEEE10hipError_tPvRmT1_PNSt15iterator_traitsIS12_E10value_typeET2_T3_PNS13_IS18_E10value_typeET4_jRbjT5_S1E_jjP12ihipStream_tbEUljE_ZNSN_ISO_Lb1ESQ_SR_ST_SU_SY_EESZ_S10_S11_S12_S16_S17_S18_S1B_S1C_jS1D_jS1E_S1E_jjS1G_bEUljE0_EEESZ_S10_S11_S18_S1C_S1E_T6_T7_T9_mT8_S1G_bDpT10_ENKUlT_T0_E_clISt17integral_constantIbLb0EES1U_EEDaS1P_S1Q_EUlS1P_E_NS1_11comp_targetILNS1_3genE3ELNS1_11target_archE908ELNS1_3gpuE7ELNS1_3repE0EEENS1_30default_config_static_selectorELNS0_4arch9wavefront6targetE0EEEvS12_
		.amdhsa_group_segment_fixed_size 0
		.amdhsa_private_segment_fixed_size 0
		.amdhsa_kernarg_size 176
		.amdhsa_user_sgpr_count 2
		.amdhsa_user_sgpr_dispatch_ptr 0
		.amdhsa_user_sgpr_queue_ptr 0
		.amdhsa_user_sgpr_kernarg_segment_ptr 1
		.amdhsa_user_sgpr_dispatch_id 0
		.amdhsa_user_sgpr_private_segment_size 0
		.amdhsa_wavefront_size32 1
		.amdhsa_uses_dynamic_stack 0
		.amdhsa_enable_private_segment 0
		.amdhsa_system_sgpr_workgroup_id_x 1
		.amdhsa_system_sgpr_workgroup_id_y 0
		.amdhsa_system_sgpr_workgroup_id_z 0
		.amdhsa_system_sgpr_workgroup_info 0
		.amdhsa_system_vgpr_workitem_id 0
		.amdhsa_next_free_vgpr 1
		.amdhsa_next_free_sgpr 1
		.amdhsa_reserve_vcc 0
		.amdhsa_float_round_mode_32 0
		.amdhsa_float_round_mode_16_64 0
		.amdhsa_float_denorm_mode_32 3
		.amdhsa_float_denorm_mode_16_64 3
		.amdhsa_fp16_overflow 0
		.amdhsa_workgroup_processor_mode 1
		.amdhsa_memory_ordered 1
		.amdhsa_forward_progress 1
		.amdhsa_inst_pref_size 0
		.amdhsa_round_robin_scheduling 0
		.amdhsa_exception_fp_ieee_invalid_op 0
		.amdhsa_exception_fp_denorm_src 0
		.amdhsa_exception_fp_ieee_div_zero 0
		.amdhsa_exception_fp_ieee_overflow 0
		.amdhsa_exception_fp_ieee_underflow 0
		.amdhsa_exception_fp_ieee_inexact 0
		.amdhsa_exception_int_div_zero 0
	.end_amdhsa_kernel
	.section	.text._ZN7rocprim17ROCPRIM_400000_NS6detail17trampoline_kernelINS0_13select_configILj256ELj13ELNS0_17block_load_methodE3ELS4_3ELS4_3ELNS0_20block_scan_algorithmE0ELj4294967295EEENS1_25partition_config_selectorILNS1_17partition_subalgoE4EjNS0_10empty_typeEbEEZZNS1_14partition_implILS8_4ELb0ES6_15HIP_vector_typeIjLj2EENS0_17counting_iteratorIjlEEPS9_SG_NS0_5tupleIJPjSI_NS0_16reverse_iteratorISI_EEEEENSH_IJSG_SG_SG_EEES9_SI_JZNS1_25segmented_radix_sort_implINS0_14default_configELb1EPKfPfPKlPlN2at6native12_GLOBAL__N_18offset_tEEE10hipError_tPvRmT1_PNSt15iterator_traitsIS12_E10value_typeET2_T3_PNS13_IS18_E10value_typeET4_jRbjT5_S1E_jjP12ihipStream_tbEUljE_ZNSN_ISO_Lb1ESQ_SR_ST_SU_SY_EESZ_S10_S11_S12_S16_S17_S18_S1B_S1C_jS1D_jS1E_S1E_jjS1G_bEUljE0_EEESZ_S10_S11_S18_S1C_S1E_T6_T7_T9_mT8_S1G_bDpT10_ENKUlT_T0_E_clISt17integral_constantIbLb0EES1U_EEDaS1P_S1Q_EUlS1P_E_NS1_11comp_targetILNS1_3genE3ELNS1_11target_archE908ELNS1_3gpuE7ELNS1_3repE0EEENS1_30default_config_static_selectorELNS0_4arch9wavefront6targetE0EEEvS12_,"axG",@progbits,_ZN7rocprim17ROCPRIM_400000_NS6detail17trampoline_kernelINS0_13select_configILj256ELj13ELNS0_17block_load_methodE3ELS4_3ELS4_3ELNS0_20block_scan_algorithmE0ELj4294967295EEENS1_25partition_config_selectorILNS1_17partition_subalgoE4EjNS0_10empty_typeEbEEZZNS1_14partition_implILS8_4ELb0ES6_15HIP_vector_typeIjLj2EENS0_17counting_iteratorIjlEEPS9_SG_NS0_5tupleIJPjSI_NS0_16reverse_iteratorISI_EEEEENSH_IJSG_SG_SG_EEES9_SI_JZNS1_25segmented_radix_sort_implINS0_14default_configELb1EPKfPfPKlPlN2at6native12_GLOBAL__N_18offset_tEEE10hipError_tPvRmT1_PNSt15iterator_traitsIS12_E10value_typeET2_T3_PNS13_IS18_E10value_typeET4_jRbjT5_S1E_jjP12ihipStream_tbEUljE_ZNSN_ISO_Lb1ESQ_SR_ST_SU_SY_EESZ_S10_S11_S12_S16_S17_S18_S1B_S1C_jS1D_jS1E_S1E_jjS1G_bEUljE0_EEESZ_S10_S11_S18_S1C_S1E_T6_T7_T9_mT8_S1G_bDpT10_ENKUlT_T0_E_clISt17integral_constantIbLb0EES1U_EEDaS1P_S1Q_EUlS1P_E_NS1_11comp_targetILNS1_3genE3ELNS1_11target_archE908ELNS1_3gpuE7ELNS1_3repE0EEENS1_30default_config_static_selectorELNS0_4arch9wavefront6targetE0EEEvS12_,comdat
.Lfunc_end1264:
	.size	_ZN7rocprim17ROCPRIM_400000_NS6detail17trampoline_kernelINS0_13select_configILj256ELj13ELNS0_17block_load_methodE3ELS4_3ELS4_3ELNS0_20block_scan_algorithmE0ELj4294967295EEENS1_25partition_config_selectorILNS1_17partition_subalgoE4EjNS0_10empty_typeEbEEZZNS1_14partition_implILS8_4ELb0ES6_15HIP_vector_typeIjLj2EENS0_17counting_iteratorIjlEEPS9_SG_NS0_5tupleIJPjSI_NS0_16reverse_iteratorISI_EEEEENSH_IJSG_SG_SG_EEES9_SI_JZNS1_25segmented_radix_sort_implINS0_14default_configELb1EPKfPfPKlPlN2at6native12_GLOBAL__N_18offset_tEEE10hipError_tPvRmT1_PNSt15iterator_traitsIS12_E10value_typeET2_T3_PNS13_IS18_E10value_typeET4_jRbjT5_S1E_jjP12ihipStream_tbEUljE_ZNSN_ISO_Lb1ESQ_SR_ST_SU_SY_EESZ_S10_S11_S12_S16_S17_S18_S1B_S1C_jS1D_jS1E_S1E_jjS1G_bEUljE0_EEESZ_S10_S11_S18_S1C_S1E_T6_T7_T9_mT8_S1G_bDpT10_ENKUlT_T0_E_clISt17integral_constantIbLb0EES1U_EEDaS1P_S1Q_EUlS1P_E_NS1_11comp_targetILNS1_3genE3ELNS1_11target_archE908ELNS1_3gpuE7ELNS1_3repE0EEENS1_30default_config_static_selectorELNS0_4arch9wavefront6targetE0EEEvS12_, .Lfunc_end1264-_ZN7rocprim17ROCPRIM_400000_NS6detail17trampoline_kernelINS0_13select_configILj256ELj13ELNS0_17block_load_methodE3ELS4_3ELS4_3ELNS0_20block_scan_algorithmE0ELj4294967295EEENS1_25partition_config_selectorILNS1_17partition_subalgoE4EjNS0_10empty_typeEbEEZZNS1_14partition_implILS8_4ELb0ES6_15HIP_vector_typeIjLj2EENS0_17counting_iteratorIjlEEPS9_SG_NS0_5tupleIJPjSI_NS0_16reverse_iteratorISI_EEEEENSH_IJSG_SG_SG_EEES9_SI_JZNS1_25segmented_radix_sort_implINS0_14default_configELb1EPKfPfPKlPlN2at6native12_GLOBAL__N_18offset_tEEE10hipError_tPvRmT1_PNSt15iterator_traitsIS12_E10value_typeET2_T3_PNS13_IS18_E10value_typeET4_jRbjT5_S1E_jjP12ihipStream_tbEUljE_ZNSN_ISO_Lb1ESQ_SR_ST_SU_SY_EESZ_S10_S11_S12_S16_S17_S18_S1B_S1C_jS1D_jS1E_S1E_jjS1G_bEUljE0_EEESZ_S10_S11_S18_S1C_S1E_T6_T7_T9_mT8_S1G_bDpT10_ENKUlT_T0_E_clISt17integral_constantIbLb0EES1U_EEDaS1P_S1Q_EUlS1P_E_NS1_11comp_targetILNS1_3genE3ELNS1_11target_archE908ELNS1_3gpuE7ELNS1_3repE0EEENS1_30default_config_static_selectorELNS0_4arch9wavefront6targetE0EEEvS12_
                                        ; -- End function
	.set _ZN7rocprim17ROCPRIM_400000_NS6detail17trampoline_kernelINS0_13select_configILj256ELj13ELNS0_17block_load_methodE3ELS4_3ELS4_3ELNS0_20block_scan_algorithmE0ELj4294967295EEENS1_25partition_config_selectorILNS1_17partition_subalgoE4EjNS0_10empty_typeEbEEZZNS1_14partition_implILS8_4ELb0ES6_15HIP_vector_typeIjLj2EENS0_17counting_iteratorIjlEEPS9_SG_NS0_5tupleIJPjSI_NS0_16reverse_iteratorISI_EEEEENSH_IJSG_SG_SG_EEES9_SI_JZNS1_25segmented_radix_sort_implINS0_14default_configELb1EPKfPfPKlPlN2at6native12_GLOBAL__N_18offset_tEEE10hipError_tPvRmT1_PNSt15iterator_traitsIS12_E10value_typeET2_T3_PNS13_IS18_E10value_typeET4_jRbjT5_S1E_jjP12ihipStream_tbEUljE_ZNSN_ISO_Lb1ESQ_SR_ST_SU_SY_EESZ_S10_S11_S12_S16_S17_S18_S1B_S1C_jS1D_jS1E_S1E_jjS1G_bEUljE0_EEESZ_S10_S11_S18_S1C_S1E_T6_T7_T9_mT8_S1G_bDpT10_ENKUlT_T0_E_clISt17integral_constantIbLb0EES1U_EEDaS1P_S1Q_EUlS1P_E_NS1_11comp_targetILNS1_3genE3ELNS1_11target_archE908ELNS1_3gpuE7ELNS1_3repE0EEENS1_30default_config_static_selectorELNS0_4arch9wavefront6targetE0EEEvS12_.num_vgpr, 0
	.set _ZN7rocprim17ROCPRIM_400000_NS6detail17trampoline_kernelINS0_13select_configILj256ELj13ELNS0_17block_load_methodE3ELS4_3ELS4_3ELNS0_20block_scan_algorithmE0ELj4294967295EEENS1_25partition_config_selectorILNS1_17partition_subalgoE4EjNS0_10empty_typeEbEEZZNS1_14partition_implILS8_4ELb0ES6_15HIP_vector_typeIjLj2EENS0_17counting_iteratorIjlEEPS9_SG_NS0_5tupleIJPjSI_NS0_16reverse_iteratorISI_EEEEENSH_IJSG_SG_SG_EEES9_SI_JZNS1_25segmented_radix_sort_implINS0_14default_configELb1EPKfPfPKlPlN2at6native12_GLOBAL__N_18offset_tEEE10hipError_tPvRmT1_PNSt15iterator_traitsIS12_E10value_typeET2_T3_PNS13_IS18_E10value_typeET4_jRbjT5_S1E_jjP12ihipStream_tbEUljE_ZNSN_ISO_Lb1ESQ_SR_ST_SU_SY_EESZ_S10_S11_S12_S16_S17_S18_S1B_S1C_jS1D_jS1E_S1E_jjS1G_bEUljE0_EEESZ_S10_S11_S18_S1C_S1E_T6_T7_T9_mT8_S1G_bDpT10_ENKUlT_T0_E_clISt17integral_constantIbLb0EES1U_EEDaS1P_S1Q_EUlS1P_E_NS1_11comp_targetILNS1_3genE3ELNS1_11target_archE908ELNS1_3gpuE7ELNS1_3repE0EEENS1_30default_config_static_selectorELNS0_4arch9wavefront6targetE0EEEvS12_.num_agpr, 0
	.set _ZN7rocprim17ROCPRIM_400000_NS6detail17trampoline_kernelINS0_13select_configILj256ELj13ELNS0_17block_load_methodE3ELS4_3ELS4_3ELNS0_20block_scan_algorithmE0ELj4294967295EEENS1_25partition_config_selectorILNS1_17partition_subalgoE4EjNS0_10empty_typeEbEEZZNS1_14partition_implILS8_4ELb0ES6_15HIP_vector_typeIjLj2EENS0_17counting_iteratorIjlEEPS9_SG_NS0_5tupleIJPjSI_NS0_16reverse_iteratorISI_EEEEENSH_IJSG_SG_SG_EEES9_SI_JZNS1_25segmented_radix_sort_implINS0_14default_configELb1EPKfPfPKlPlN2at6native12_GLOBAL__N_18offset_tEEE10hipError_tPvRmT1_PNSt15iterator_traitsIS12_E10value_typeET2_T3_PNS13_IS18_E10value_typeET4_jRbjT5_S1E_jjP12ihipStream_tbEUljE_ZNSN_ISO_Lb1ESQ_SR_ST_SU_SY_EESZ_S10_S11_S12_S16_S17_S18_S1B_S1C_jS1D_jS1E_S1E_jjS1G_bEUljE0_EEESZ_S10_S11_S18_S1C_S1E_T6_T7_T9_mT8_S1G_bDpT10_ENKUlT_T0_E_clISt17integral_constantIbLb0EES1U_EEDaS1P_S1Q_EUlS1P_E_NS1_11comp_targetILNS1_3genE3ELNS1_11target_archE908ELNS1_3gpuE7ELNS1_3repE0EEENS1_30default_config_static_selectorELNS0_4arch9wavefront6targetE0EEEvS12_.numbered_sgpr, 0
	.set _ZN7rocprim17ROCPRIM_400000_NS6detail17trampoline_kernelINS0_13select_configILj256ELj13ELNS0_17block_load_methodE3ELS4_3ELS4_3ELNS0_20block_scan_algorithmE0ELj4294967295EEENS1_25partition_config_selectorILNS1_17partition_subalgoE4EjNS0_10empty_typeEbEEZZNS1_14partition_implILS8_4ELb0ES6_15HIP_vector_typeIjLj2EENS0_17counting_iteratorIjlEEPS9_SG_NS0_5tupleIJPjSI_NS0_16reverse_iteratorISI_EEEEENSH_IJSG_SG_SG_EEES9_SI_JZNS1_25segmented_radix_sort_implINS0_14default_configELb1EPKfPfPKlPlN2at6native12_GLOBAL__N_18offset_tEEE10hipError_tPvRmT1_PNSt15iterator_traitsIS12_E10value_typeET2_T3_PNS13_IS18_E10value_typeET4_jRbjT5_S1E_jjP12ihipStream_tbEUljE_ZNSN_ISO_Lb1ESQ_SR_ST_SU_SY_EESZ_S10_S11_S12_S16_S17_S18_S1B_S1C_jS1D_jS1E_S1E_jjS1G_bEUljE0_EEESZ_S10_S11_S18_S1C_S1E_T6_T7_T9_mT8_S1G_bDpT10_ENKUlT_T0_E_clISt17integral_constantIbLb0EES1U_EEDaS1P_S1Q_EUlS1P_E_NS1_11comp_targetILNS1_3genE3ELNS1_11target_archE908ELNS1_3gpuE7ELNS1_3repE0EEENS1_30default_config_static_selectorELNS0_4arch9wavefront6targetE0EEEvS12_.num_named_barrier, 0
	.set _ZN7rocprim17ROCPRIM_400000_NS6detail17trampoline_kernelINS0_13select_configILj256ELj13ELNS0_17block_load_methodE3ELS4_3ELS4_3ELNS0_20block_scan_algorithmE0ELj4294967295EEENS1_25partition_config_selectorILNS1_17partition_subalgoE4EjNS0_10empty_typeEbEEZZNS1_14partition_implILS8_4ELb0ES6_15HIP_vector_typeIjLj2EENS0_17counting_iteratorIjlEEPS9_SG_NS0_5tupleIJPjSI_NS0_16reverse_iteratorISI_EEEEENSH_IJSG_SG_SG_EEES9_SI_JZNS1_25segmented_radix_sort_implINS0_14default_configELb1EPKfPfPKlPlN2at6native12_GLOBAL__N_18offset_tEEE10hipError_tPvRmT1_PNSt15iterator_traitsIS12_E10value_typeET2_T3_PNS13_IS18_E10value_typeET4_jRbjT5_S1E_jjP12ihipStream_tbEUljE_ZNSN_ISO_Lb1ESQ_SR_ST_SU_SY_EESZ_S10_S11_S12_S16_S17_S18_S1B_S1C_jS1D_jS1E_S1E_jjS1G_bEUljE0_EEESZ_S10_S11_S18_S1C_S1E_T6_T7_T9_mT8_S1G_bDpT10_ENKUlT_T0_E_clISt17integral_constantIbLb0EES1U_EEDaS1P_S1Q_EUlS1P_E_NS1_11comp_targetILNS1_3genE3ELNS1_11target_archE908ELNS1_3gpuE7ELNS1_3repE0EEENS1_30default_config_static_selectorELNS0_4arch9wavefront6targetE0EEEvS12_.private_seg_size, 0
	.set _ZN7rocprim17ROCPRIM_400000_NS6detail17trampoline_kernelINS0_13select_configILj256ELj13ELNS0_17block_load_methodE3ELS4_3ELS4_3ELNS0_20block_scan_algorithmE0ELj4294967295EEENS1_25partition_config_selectorILNS1_17partition_subalgoE4EjNS0_10empty_typeEbEEZZNS1_14partition_implILS8_4ELb0ES6_15HIP_vector_typeIjLj2EENS0_17counting_iteratorIjlEEPS9_SG_NS0_5tupleIJPjSI_NS0_16reverse_iteratorISI_EEEEENSH_IJSG_SG_SG_EEES9_SI_JZNS1_25segmented_radix_sort_implINS0_14default_configELb1EPKfPfPKlPlN2at6native12_GLOBAL__N_18offset_tEEE10hipError_tPvRmT1_PNSt15iterator_traitsIS12_E10value_typeET2_T3_PNS13_IS18_E10value_typeET4_jRbjT5_S1E_jjP12ihipStream_tbEUljE_ZNSN_ISO_Lb1ESQ_SR_ST_SU_SY_EESZ_S10_S11_S12_S16_S17_S18_S1B_S1C_jS1D_jS1E_S1E_jjS1G_bEUljE0_EEESZ_S10_S11_S18_S1C_S1E_T6_T7_T9_mT8_S1G_bDpT10_ENKUlT_T0_E_clISt17integral_constantIbLb0EES1U_EEDaS1P_S1Q_EUlS1P_E_NS1_11comp_targetILNS1_3genE3ELNS1_11target_archE908ELNS1_3gpuE7ELNS1_3repE0EEENS1_30default_config_static_selectorELNS0_4arch9wavefront6targetE0EEEvS12_.uses_vcc, 0
	.set _ZN7rocprim17ROCPRIM_400000_NS6detail17trampoline_kernelINS0_13select_configILj256ELj13ELNS0_17block_load_methodE3ELS4_3ELS4_3ELNS0_20block_scan_algorithmE0ELj4294967295EEENS1_25partition_config_selectorILNS1_17partition_subalgoE4EjNS0_10empty_typeEbEEZZNS1_14partition_implILS8_4ELb0ES6_15HIP_vector_typeIjLj2EENS0_17counting_iteratorIjlEEPS9_SG_NS0_5tupleIJPjSI_NS0_16reverse_iteratorISI_EEEEENSH_IJSG_SG_SG_EEES9_SI_JZNS1_25segmented_radix_sort_implINS0_14default_configELb1EPKfPfPKlPlN2at6native12_GLOBAL__N_18offset_tEEE10hipError_tPvRmT1_PNSt15iterator_traitsIS12_E10value_typeET2_T3_PNS13_IS18_E10value_typeET4_jRbjT5_S1E_jjP12ihipStream_tbEUljE_ZNSN_ISO_Lb1ESQ_SR_ST_SU_SY_EESZ_S10_S11_S12_S16_S17_S18_S1B_S1C_jS1D_jS1E_S1E_jjS1G_bEUljE0_EEESZ_S10_S11_S18_S1C_S1E_T6_T7_T9_mT8_S1G_bDpT10_ENKUlT_T0_E_clISt17integral_constantIbLb0EES1U_EEDaS1P_S1Q_EUlS1P_E_NS1_11comp_targetILNS1_3genE3ELNS1_11target_archE908ELNS1_3gpuE7ELNS1_3repE0EEENS1_30default_config_static_selectorELNS0_4arch9wavefront6targetE0EEEvS12_.uses_flat_scratch, 0
	.set _ZN7rocprim17ROCPRIM_400000_NS6detail17trampoline_kernelINS0_13select_configILj256ELj13ELNS0_17block_load_methodE3ELS4_3ELS4_3ELNS0_20block_scan_algorithmE0ELj4294967295EEENS1_25partition_config_selectorILNS1_17partition_subalgoE4EjNS0_10empty_typeEbEEZZNS1_14partition_implILS8_4ELb0ES6_15HIP_vector_typeIjLj2EENS0_17counting_iteratorIjlEEPS9_SG_NS0_5tupleIJPjSI_NS0_16reverse_iteratorISI_EEEEENSH_IJSG_SG_SG_EEES9_SI_JZNS1_25segmented_radix_sort_implINS0_14default_configELb1EPKfPfPKlPlN2at6native12_GLOBAL__N_18offset_tEEE10hipError_tPvRmT1_PNSt15iterator_traitsIS12_E10value_typeET2_T3_PNS13_IS18_E10value_typeET4_jRbjT5_S1E_jjP12ihipStream_tbEUljE_ZNSN_ISO_Lb1ESQ_SR_ST_SU_SY_EESZ_S10_S11_S12_S16_S17_S18_S1B_S1C_jS1D_jS1E_S1E_jjS1G_bEUljE0_EEESZ_S10_S11_S18_S1C_S1E_T6_T7_T9_mT8_S1G_bDpT10_ENKUlT_T0_E_clISt17integral_constantIbLb0EES1U_EEDaS1P_S1Q_EUlS1P_E_NS1_11comp_targetILNS1_3genE3ELNS1_11target_archE908ELNS1_3gpuE7ELNS1_3repE0EEENS1_30default_config_static_selectorELNS0_4arch9wavefront6targetE0EEEvS12_.has_dyn_sized_stack, 0
	.set _ZN7rocprim17ROCPRIM_400000_NS6detail17trampoline_kernelINS0_13select_configILj256ELj13ELNS0_17block_load_methodE3ELS4_3ELS4_3ELNS0_20block_scan_algorithmE0ELj4294967295EEENS1_25partition_config_selectorILNS1_17partition_subalgoE4EjNS0_10empty_typeEbEEZZNS1_14partition_implILS8_4ELb0ES6_15HIP_vector_typeIjLj2EENS0_17counting_iteratorIjlEEPS9_SG_NS0_5tupleIJPjSI_NS0_16reverse_iteratorISI_EEEEENSH_IJSG_SG_SG_EEES9_SI_JZNS1_25segmented_radix_sort_implINS0_14default_configELb1EPKfPfPKlPlN2at6native12_GLOBAL__N_18offset_tEEE10hipError_tPvRmT1_PNSt15iterator_traitsIS12_E10value_typeET2_T3_PNS13_IS18_E10value_typeET4_jRbjT5_S1E_jjP12ihipStream_tbEUljE_ZNSN_ISO_Lb1ESQ_SR_ST_SU_SY_EESZ_S10_S11_S12_S16_S17_S18_S1B_S1C_jS1D_jS1E_S1E_jjS1G_bEUljE0_EEESZ_S10_S11_S18_S1C_S1E_T6_T7_T9_mT8_S1G_bDpT10_ENKUlT_T0_E_clISt17integral_constantIbLb0EES1U_EEDaS1P_S1Q_EUlS1P_E_NS1_11comp_targetILNS1_3genE3ELNS1_11target_archE908ELNS1_3gpuE7ELNS1_3repE0EEENS1_30default_config_static_selectorELNS0_4arch9wavefront6targetE0EEEvS12_.has_recursion, 0
	.set _ZN7rocprim17ROCPRIM_400000_NS6detail17trampoline_kernelINS0_13select_configILj256ELj13ELNS0_17block_load_methodE3ELS4_3ELS4_3ELNS0_20block_scan_algorithmE0ELj4294967295EEENS1_25partition_config_selectorILNS1_17partition_subalgoE4EjNS0_10empty_typeEbEEZZNS1_14partition_implILS8_4ELb0ES6_15HIP_vector_typeIjLj2EENS0_17counting_iteratorIjlEEPS9_SG_NS0_5tupleIJPjSI_NS0_16reverse_iteratorISI_EEEEENSH_IJSG_SG_SG_EEES9_SI_JZNS1_25segmented_radix_sort_implINS0_14default_configELb1EPKfPfPKlPlN2at6native12_GLOBAL__N_18offset_tEEE10hipError_tPvRmT1_PNSt15iterator_traitsIS12_E10value_typeET2_T3_PNS13_IS18_E10value_typeET4_jRbjT5_S1E_jjP12ihipStream_tbEUljE_ZNSN_ISO_Lb1ESQ_SR_ST_SU_SY_EESZ_S10_S11_S12_S16_S17_S18_S1B_S1C_jS1D_jS1E_S1E_jjS1G_bEUljE0_EEESZ_S10_S11_S18_S1C_S1E_T6_T7_T9_mT8_S1G_bDpT10_ENKUlT_T0_E_clISt17integral_constantIbLb0EES1U_EEDaS1P_S1Q_EUlS1P_E_NS1_11comp_targetILNS1_3genE3ELNS1_11target_archE908ELNS1_3gpuE7ELNS1_3repE0EEENS1_30default_config_static_selectorELNS0_4arch9wavefront6targetE0EEEvS12_.has_indirect_call, 0
	.section	.AMDGPU.csdata,"",@progbits
; Kernel info:
; codeLenInByte = 0
; TotalNumSgprs: 0
; NumVgprs: 0
; ScratchSize: 0
; MemoryBound: 0
; FloatMode: 240
; IeeeMode: 1
; LDSByteSize: 0 bytes/workgroup (compile time only)
; SGPRBlocks: 0
; VGPRBlocks: 0
; NumSGPRsForWavesPerEU: 1
; NumVGPRsForWavesPerEU: 1
; Occupancy: 16
; WaveLimiterHint : 0
; COMPUTE_PGM_RSRC2:SCRATCH_EN: 0
; COMPUTE_PGM_RSRC2:USER_SGPR: 2
; COMPUTE_PGM_RSRC2:TRAP_HANDLER: 0
; COMPUTE_PGM_RSRC2:TGID_X_EN: 1
; COMPUTE_PGM_RSRC2:TGID_Y_EN: 0
; COMPUTE_PGM_RSRC2:TGID_Z_EN: 0
; COMPUTE_PGM_RSRC2:TIDIG_COMP_CNT: 0
	.section	.text._ZN7rocprim17ROCPRIM_400000_NS6detail17trampoline_kernelINS0_13select_configILj256ELj13ELNS0_17block_load_methodE3ELS4_3ELS4_3ELNS0_20block_scan_algorithmE0ELj4294967295EEENS1_25partition_config_selectorILNS1_17partition_subalgoE4EjNS0_10empty_typeEbEEZZNS1_14partition_implILS8_4ELb0ES6_15HIP_vector_typeIjLj2EENS0_17counting_iteratorIjlEEPS9_SG_NS0_5tupleIJPjSI_NS0_16reverse_iteratorISI_EEEEENSH_IJSG_SG_SG_EEES9_SI_JZNS1_25segmented_radix_sort_implINS0_14default_configELb1EPKfPfPKlPlN2at6native12_GLOBAL__N_18offset_tEEE10hipError_tPvRmT1_PNSt15iterator_traitsIS12_E10value_typeET2_T3_PNS13_IS18_E10value_typeET4_jRbjT5_S1E_jjP12ihipStream_tbEUljE_ZNSN_ISO_Lb1ESQ_SR_ST_SU_SY_EESZ_S10_S11_S12_S16_S17_S18_S1B_S1C_jS1D_jS1E_S1E_jjS1G_bEUljE0_EEESZ_S10_S11_S18_S1C_S1E_T6_T7_T9_mT8_S1G_bDpT10_ENKUlT_T0_E_clISt17integral_constantIbLb0EES1U_EEDaS1P_S1Q_EUlS1P_E_NS1_11comp_targetILNS1_3genE2ELNS1_11target_archE906ELNS1_3gpuE6ELNS1_3repE0EEENS1_30default_config_static_selectorELNS0_4arch9wavefront6targetE0EEEvS12_,"axG",@progbits,_ZN7rocprim17ROCPRIM_400000_NS6detail17trampoline_kernelINS0_13select_configILj256ELj13ELNS0_17block_load_methodE3ELS4_3ELS4_3ELNS0_20block_scan_algorithmE0ELj4294967295EEENS1_25partition_config_selectorILNS1_17partition_subalgoE4EjNS0_10empty_typeEbEEZZNS1_14partition_implILS8_4ELb0ES6_15HIP_vector_typeIjLj2EENS0_17counting_iteratorIjlEEPS9_SG_NS0_5tupleIJPjSI_NS0_16reverse_iteratorISI_EEEEENSH_IJSG_SG_SG_EEES9_SI_JZNS1_25segmented_radix_sort_implINS0_14default_configELb1EPKfPfPKlPlN2at6native12_GLOBAL__N_18offset_tEEE10hipError_tPvRmT1_PNSt15iterator_traitsIS12_E10value_typeET2_T3_PNS13_IS18_E10value_typeET4_jRbjT5_S1E_jjP12ihipStream_tbEUljE_ZNSN_ISO_Lb1ESQ_SR_ST_SU_SY_EESZ_S10_S11_S12_S16_S17_S18_S1B_S1C_jS1D_jS1E_S1E_jjS1G_bEUljE0_EEESZ_S10_S11_S18_S1C_S1E_T6_T7_T9_mT8_S1G_bDpT10_ENKUlT_T0_E_clISt17integral_constantIbLb0EES1U_EEDaS1P_S1Q_EUlS1P_E_NS1_11comp_targetILNS1_3genE2ELNS1_11target_archE906ELNS1_3gpuE6ELNS1_3repE0EEENS1_30default_config_static_selectorELNS0_4arch9wavefront6targetE0EEEvS12_,comdat
	.globl	_ZN7rocprim17ROCPRIM_400000_NS6detail17trampoline_kernelINS0_13select_configILj256ELj13ELNS0_17block_load_methodE3ELS4_3ELS4_3ELNS0_20block_scan_algorithmE0ELj4294967295EEENS1_25partition_config_selectorILNS1_17partition_subalgoE4EjNS0_10empty_typeEbEEZZNS1_14partition_implILS8_4ELb0ES6_15HIP_vector_typeIjLj2EENS0_17counting_iteratorIjlEEPS9_SG_NS0_5tupleIJPjSI_NS0_16reverse_iteratorISI_EEEEENSH_IJSG_SG_SG_EEES9_SI_JZNS1_25segmented_radix_sort_implINS0_14default_configELb1EPKfPfPKlPlN2at6native12_GLOBAL__N_18offset_tEEE10hipError_tPvRmT1_PNSt15iterator_traitsIS12_E10value_typeET2_T3_PNS13_IS18_E10value_typeET4_jRbjT5_S1E_jjP12ihipStream_tbEUljE_ZNSN_ISO_Lb1ESQ_SR_ST_SU_SY_EESZ_S10_S11_S12_S16_S17_S18_S1B_S1C_jS1D_jS1E_S1E_jjS1G_bEUljE0_EEESZ_S10_S11_S18_S1C_S1E_T6_T7_T9_mT8_S1G_bDpT10_ENKUlT_T0_E_clISt17integral_constantIbLb0EES1U_EEDaS1P_S1Q_EUlS1P_E_NS1_11comp_targetILNS1_3genE2ELNS1_11target_archE906ELNS1_3gpuE6ELNS1_3repE0EEENS1_30default_config_static_selectorELNS0_4arch9wavefront6targetE0EEEvS12_ ; -- Begin function _ZN7rocprim17ROCPRIM_400000_NS6detail17trampoline_kernelINS0_13select_configILj256ELj13ELNS0_17block_load_methodE3ELS4_3ELS4_3ELNS0_20block_scan_algorithmE0ELj4294967295EEENS1_25partition_config_selectorILNS1_17partition_subalgoE4EjNS0_10empty_typeEbEEZZNS1_14partition_implILS8_4ELb0ES6_15HIP_vector_typeIjLj2EENS0_17counting_iteratorIjlEEPS9_SG_NS0_5tupleIJPjSI_NS0_16reverse_iteratorISI_EEEEENSH_IJSG_SG_SG_EEES9_SI_JZNS1_25segmented_radix_sort_implINS0_14default_configELb1EPKfPfPKlPlN2at6native12_GLOBAL__N_18offset_tEEE10hipError_tPvRmT1_PNSt15iterator_traitsIS12_E10value_typeET2_T3_PNS13_IS18_E10value_typeET4_jRbjT5_S1E_jjP12ihipStream_tbEUljE_ZNSN_ISO_Lb1ESQ_SR_ST_SU_SY_EESZ_S10_S11_S12_S16_S17_S18_S1B_S1C_jS1D_jS1E_S1E_jjS1G_bEUljE0_EEESZ_S10_S11_S18_S1C_S1E_T6_T7_T9_mT8_S1G_bDpT10_ENKUlT_T0_E_clISt17integral_constantIbLb0EES1U_EEDaS1P_S1Q_EUlS1P_E_NS1_11comp_targetILNS1_3genE2ELNS1_11target_archE906ELNS1_3gpuE6ELNS1_3repE0EEENS1_30default_config_static_selectorELNS0_4arch9wavefront6targetE0EEEvS12_
	.p2align	8
	.type	_ZN7rocprim17ROCPRIM_400000_NS6detail17trampoline_kernelINS0_13select_configILj256ELj13ELNS0_17block_load_methodE3ELS4_3ELS4_3ELNS0_20block_scan_algorithmE0ELj4294967295EEENS1_25partition_config_selectorILNS1_17partition_subalgoE4EjNS0_10empty_typeEbEEZZNS1_14partition_implILS8_4ELb0ES6_15HIP_vector_typeIjLj2EENS0_17counting_iteratorIjlEEPS9_SG_NS0_5tupleIJPjSI_NS0_16reverse_iteratorISI_EEEEENSH_IJSG_SG_SG_EEES9_SI_JZNS1_25segmented_radix_sort_implINS0_14default_configELb1EPKfPfPKlPlN2at6native12_GLOBAL__N_18offset_tEEE10hipError_tPvRmT1_PNSt15iterator_traitsIS12_E10value_typeET2_T3_PNS13_IS18_E10value_typeET4_jRbjT5_S1E_jjP12ihipStream_tbEUljE_ZNSN_ISO_Lb1ESQ_SR_ST_SU_SY_EESZ_S10_S11_S12_S16_S17_S18_S1B_S1C_jS1D_jS1E_S1E_jjS1G_bEUljE0_EEESZ_S10_S11_S18_S1C_S1E_T6_T7_T9_mT8_S1G_bDpT10_ENKUlT_T0_E_clISt17integral_constantIbLb0EES1U_EEDaS1P_S1Q_EUlS1P_E_NS1_11comp_targetILNS1_3genE2ELNS1_11target_archE906ELNS1_3gpuE6ELNS1_3repE0EEENS1_30default_config_static_selectorELNS0_4arch9wavefront6targetE0EEEvS12_,@function
_ZN7rocprim17ROCPRIM_400000_NS6detail17trampoline_kernelINS0_13select_configILj256ELj13ELNS0_17block_load_methodE3ELS4_3ELS4_3ELNS0_20block_scan_algorithmE0ELj4294967295EEENS1_25partition_config_selectorILNS1_17partition_subalgoE4EjNS0_10empty_typeEbEEZZNS1_14partition_implILS8_4ELb0ES6_15HIP_vector_typeIjLj2EENS0_17counting_iteratorIjlEEPS9_SG_NS0_5tupleIJPjSI_NS0_16reverse_iteratorISI_EEEEENSH_IJSG_SG_SG_EEES9_SI_JZNS1_25segmented_radix_sort_implINS0_14default_configELb1EPKfPfPKlPlN2at6native12_GLOBAL__N_18offset_tEEE10hipError_tPvRmT1_PNSt15iterator_traitsIS12_E10value_typeET2_T3_PNS13_IS18_E10value_typeET4_jRbjT5_S1E_jjP12ihipStream_tbEUljE_ZNSN_ISO_Lb1ESQ_SR_ST_SU_SY_EESZ_S10_S11_S12_S16_S17_S18_S1B_S1C_jS1D_jS1E_S1E_jjS1G_bEUljE0_EEESZ_S10_S11_S18_S1C_S1E_T6_T7_T9_mT8_S1G_bDpT10_ENKUlT_T0_E_clISt17integral_constantIbLb0EES1U_EEDaS1P_S1Q_EUlS1P_E_NS1_11comp_targetILNS1_3genE2ELNS1_11target_archE906ELNS1_3gpuE6ELNS1_3repE0EEENS1_30default_config_static_selectorELNS0_4arch9wavefront6targetE0EEEvS12_: ; @_ZN7rocprim17ROCPRIM_400000_NS6detail17trampoline_kernelINS0_13select_configILj256ELj13ELNS0_17block_load_methodE3ELS4_3ELS4_3ELNS0_20block_scan_algorithmE0ELj4294967295EEENS1_25partition_config_selectorILNS1_17partition_subalgoE4EjNS0_10empty_typeEbEEZZNS1_14partition_implILS8_4ELb0ES6_15HIP_vector_typeIjLj2EENS0_17counting_iteratorIjlEEPS9_SG_NS0_5tupleIJPjSI_NS0_16reverse_iteratorISI_EEEEENSH_IJSG_SG_SG_EEES9_SI_JZNS1_25segmented_radix_sort_implINS0_14default_configELb1EPKfPfPKlPlN2at6native12_GLOBAL__N_18offset_tEEE10hipError_tPvRmT1_PNSt15iterator_traitsIS12_E10value_typeET2_T3_PNS13_IS18_E10value_typeET4_jRbjT5_S1E_jjP12ihipStream_tbEUljE_ZNSN_ISO_Lb1ESQ_SR_ST_SU_SY_EESZ_S10_S11_S12_S16_S17_S18_S1B_S1C_jS1D_jS1E_S1E_jjS1G_bEUljE0_EEESZ_S10_S11_S18_S1C_S1E_T6_T7_T9_mT8_S1G_bDpT10_ENKUlT_T0_E_clISt17integral_constantIbLb0EES1U_EEDaS1P_S1Q_EUlS1P_E_NS1_11comp_targetILNS1_3genE2ELNS1_11target_archE906ELNS1_3gpuE6ELNS1_3repE0EEENS1_30default_config_static_selectorELNS0_4arch9wavefront6targetE0EEEvS12_
; %bb.0:
	.section	.rodata,"a",@progbits
	.p2align	6, 0x0
	.amdhsa_kernel _ZN7rocprim17ROCPRIM_400000_NS6detail17trampoline_kernelINS0_13select_configILj256ELj13ELNS0_17block_load_methodE3ELS4_3ELS4_3ELNS0_20block_scan_algorithmE0ELj4294967295EEENS1_25partition_config_selectorILNS1_17partition_subalgoE4EjNS0_10empty_typeEbEEZZNS1_14partition_implILS8_4ELb0ES6_15HIP_vector_typeIjLj2EENS0_17counting_iteratorIjlEEPS9_SG_NS0_5tupleIJPjSI_NS0_16reverse_iteratorISI_EEEEENSH_IJSG_SG_SG_EEES9_SI_JZNS1_25segmented_radix_sort_implINS0_14default_configELb1EPKfPfPKlPlN2at6native12_GLOBAL__N_18offset_tEEE10hipError_tPvRmT1_PNSt15iterator_traitsIS12_E10value_typeET2_T3_PNS13_IS18_E10value_typeET4_jRbjT5_S1E_jjP12ihipStream_tbEUljE_ZNSN_ISO_Lb1ESQ_SR_ST_SU_SY_EESZ_S10_S11_S12_S16_S17_S18_S1B_S1C_jS1D_jS1E_S1E_jjS1G_bEUljE0_EEESZ_S10_S11_S18_S1C_S1E_T6_T7_T9_mT8_S1G_bDpT10_ENKUlT_T0_E_clISt17integral_constantIbLb0EES1U_EEDaS1P_S1Q_EUlS1P_E_NS1_11comp_targetILNS1_3genE2ELNS1_11target_archE906ELNS1_3gpuE6ELNS1_3repE0EEENS1_30default_config_static_selectorELNS0_4arch9wavefront6targetE0EEEvS12_
		.amdhsa_group_segment_fixed_size 0
		.amdhsa_private_segment_fixed_size 0
		.amdhsa_kernarg_size 176
		.amdhsa_user_sgpr_count 2
		.amdhsa_user_sgpr_dispatch_ptr 0
		.amdhsa_user_sgpr_queue_ptr 0
		.amdhsa_user_sgpr_kernarg_segment_ptr 1
		.amdhsa_user_sgpr_dispatch_id 0
		.amdhsa_user_sgpr_private_segment_size 0
		.amdhsa_wavefront_size32 1
		.amdhsa_uses_dynamic_stack 0
		.amdhsa_enable_private_segment 0
		.amdhsa_system_sgpr_workgroup_id_x 1
		.amdhsa_system_sgpr_workgroup_id_y 0
		.amdhsa_system_sgpr_workgroup_id_z 0
		.amdhsa_system_sgpr_workgroup_info 0
		.amdhsa_system_vgpr_workitem_id 0
		.amdhsa_next_free_vgpr 1
		.amdhsa_next_free_sgpr 1
		.amdhsa_reserve_vcc 0
		.amdhsa_float_round_mode_32 0
		.amdhsa_float_round_mode_16_64 0
		.amdhsa_float_denorm_mode_32 3
		.amdhsa_float_denorm_mode_16_64 3
		.amdhsa_fp16_overflow 0
		.amdhsa_workgroup_processor_mode 1
		.amdhsa_memory_ordered 1
		.amdhsa_forward_progress 1
		.amdhsa_inst_pref_size 0
		.amdhsa_round_robin_scheduling 0
		.amdhsa_exception_fp_ieee_invalid_op 0
		.amdhsa_exception_fp_denorm_src 0
		.amdhsa_exception_fp_ieee_div_zero 0
		.amdhsa_exception_fp_ieee_overflow 0
		.amdhsa_exception_fp_ieee_underflow 0
		.amdhsa_exception_fp_ieee_inexact 0
		.amdhsa_exception_int_div_zero 0
	.end_amdhsa_kernel
	.section	.text._ZN7rocprim17ROCPRIM_400000_NS6detail17trampoline_kernelINS0_13select_configILj256ELj13ELNS0_17block_load_methodE3ELS4_3ELS4_3ELNS0_20block_scan_algorithmE0ELj4294967295EEENS1_25partition_config_selectorILNS1_17partition_subalgoE4EjNS0_10empty_typeEbEEZZNS1_14partition_implILS8_4ELb0ES6_15HIP_vector_typeIjLj2EENS0_17counting_iteratorIjlEEPS9_SG_NS0_5tupleIJPjSI_NS0_16reverse_iteratorISI_EEEEENSH_IJSG_SG_SG_EEES9_SI_JZNS1_25segmented_radix_sort_implINS0_14default_configELb1EPKfPfPKlPlN2at6native12_GLOBAL__N_18offset_tEEE10hipError_tPvRmT1_PNSt15iterator_traitsIS12_E10value_typeET2_T3_PNS13_IS18_E10value_typeET4_jRbjT5_S1E_jjP12ihipStream_tbEUljE_ZNSN_ISO_Lb1ESQ_SR_ST_SU_SY_EESZ_S10_S11_S12_S16_S17_S18_S1B_S1C_jS1D_jS1E_S1E_jjS1G_bEUljE0_EEESZ_S10_S11_S18_S1C_S1E_T6_T7_T9_mT8_S1G_bDpT10_ENKUlT_T0_E_clISt17integral_constantIbLb0EES1U_EEDaS1P_S1Q_EUlS1P_E_NS1_11comp_targetILNS1_3genE2ELNS1_11target_archE906ELNS1_3gpuE6ELNS1_3repE0EEENS1_30default_config_static_selectorELNS0_4arch9wavefront6targetE0EEEvS12_,"axG",@progbits,_ZN7rocprim17ROCPRIM_400000_NS6detail17trampoline_kernelINS0_13select_configILj256ELj13ELNS0_17block_load_methodE3ELS4_3ELS4_3ELNS0_20block_scan_algorithmE0ELj4294967295EEENS1_25partition_config_selectorILNS1_17partition_subalgoE4EjNS0_10empty_typeEbEEZZNS1_14partition_implILS8_4ELb0ES6_15HIP_vector_typeIjLj2EENS0_17counting_iteratorIjlEEPS9_SG_NS0_5tupleIJPjSI_NS0_16reverse_iteratorISI_EEEEENSH_IJSG_SG_SG_EEES9_SI_JZNS1_25segmented_radix_sort_implINS0_14default_configELb1EPKfPfPKlPlN2at6native12_GLOBAL__N_18offset_tEEE10hipError_tPvRmT1_PNSt15iterator_traitsIS12_E10value_typeET2_T3_PNS13_IS18_E10value_typeET4_jRbjT5_S1E_jjP12ihipStream_tbEUljE_ZNSN_ISO_Lb1ESQ_SR_ST_SU_SY_EESZ_S10_S11_S12_S16_S17_S18_S1B_S1C_jS1D_jS1E_S1E_jjS1G_bEUljE0_EEESZ_S10_S11_S18_S1C_S1E_T6_T7_T9_mT8_S1G_bDpT10_ENKUlT_T0_E_clISt17integral_constantIbLb0EES1U_EEDaS1P_S1Q_EUlS1P_E_NS1_11comp_targetILNS1_3genE2ELNS1_11target_archE906ELNS1_3gpuE6ELNS1_3repE0EEENS1_30default_config_static_selectorELNS0_4arch9wavefront6targetE0EEEvS12_,comdat
.Lfunc_end1265:
	.size	_ZN7rocprim17ROCPRIM_400000_NS6detail17trampoline_kernelINS0_13select_configILj256ELj13ELNS0_17block_load_methodE3ELS4_3ELS4_3ELNS0_20block_scan_algorithmE0ELj4294967295EEENS1_25partition_config_selectorILNS1_17partition_subalgoE4EjNS0_10empty_typeEbEEZZNS1_14partition_implILS8_4ELb0ES6_15HIP_vector_typeIjLj2EENS0_17counting_iteratorIjlEEPS9_SG_NS0_5tupleIJPjSI_NS0_16reverse_iteratorISI_EEEEENSH_IJSG_SG_SG_EEES9_SI_JZNS1_25segmented_radix_sort_implINS0_14default_configELb1EPKfPfPKlPlN2at6native12_GLOBAL__N_18offset_tEEE10hipError_tPvRmT1_PNSt15iterator_traitsIS12_E10value_typeET2_T3_PNS13_IS18_E10value_typeET4_jRbjT5_S1E_jjP12ihipStream_tbEUljE_ZNSN_ISO_Lb1ESQ_SR_ST_SU_SY_EESZ_S10_S11_S12_S16_S17_S18_S1B_S1C_jS1D_jS1E_S1E_jjS1G_bEUljE0_EEESZ_S10_S11_S18_S1C_S1E_T6_T7_T9_mT8_S1G_bDpT10_ENKUlT_T0_E_clISt17integral_constantIbLb0EES1U_EEDaS1P_S1Q_EUlS1P_E_NS1_11comp_targetILNS1_3genE2ELNS1_11target_archE906ELNS1_3gpuE6ELNS1_3repE0EEENS1_30default_config_static_selectorELNS0_4arch9wavefront6targetE0EEEvS12_, .Lfunc_end1265-_ZN7rocprim17ROCPRIM_400000_NS6detail17trampoline_kernelINS0_13select_configILj256ELj13ELNS0_17block_load_methodE3ELS4_3ELS4_3ELNS0_20block_scan_algorithmE0ELj4294967295EEENS1_25partition_config_selectorILNS1_17partition_subalgoE4EjNS0_10empty_typeEbEEZZNS1_14partition_implILS8_4ELb0ES6_15HIP_vector_typeIjLj2EENS0_17counting_iteratorIjlEEPS9_SG_NS0_5tupleIJPjSI_NS0_16reverse_iteratorISI_EEEEENSH_IJSG_SG_SG_EEES9_SI_JZNS1_25segmented_radix_sort_implINS0_14default_configELb1EPKfPfPKlPlN2at6native12_GLOBAL__N_18offset_tEEE10hipError_tPvRmT1_PNSt15iterator_traitsIS12_E10value_typeET2_T3_PNS13_IS18_E10value_typeET4_jRbjT5_S1E_jjP12ihipStream_tbEUljE_ZNSN_ISO_Lb1ESQ_SR_ST_SU_SY_EESZ_S10_S11_S12_S16_S17_S18_S1B_S1C_jS1D_jS1E_S1E_jjS1G_bEUljE0_EEESZ_S10_S11_S18_S1C_S1E_T6_T7_T9_mT8_S1G_bDpT10_ENKUlT_T0_E_clISt17integral_constantIbLb0EES1U_EEDaS1P_S1Q_EUlS1P_E_NS1_11comp_targetILNS1_3genE2ELNS1_11target_archE906ELNS1_3gpuE6ELNS1_3repE0EEENS1_30default_config_static_selectorELNS0_4arch9wavefront6targetE0EEEvS12_
                                        ; -- End function
	.set _ZN7rocprim17ROCPRIM_400000_NS6detail17trampoline_kernelINS0_13select_configILj256ELj13ELNS0_17block_load_methodE3ELS4_3ELS4_3ELNS0_20block_scan_algorithmE0ELj4294967295EEENS1_25partition_config_selectorILNS1_17partition_subalgoE4EjNS0_10empty_typeEbEEZZNS1_14partition_implILS8_4ELb0ES6_15HIP_vector_typeIjLj2EENS0_17counting_iteratorIjlEEPS9_SG_NS0_5tupleIJPjSI_NS0_16reverse_iteratorISI_EEEEENSH_IJSG_SG_SG_EEES9_SI_JZNS1_25segmented_radix_sort_implINS0_14default_configELb1EPKfPfPKlPlN2at6native12_GLOBAL__N_18offset_tEEE10hipError_tPvRmT1_PNSt15iterator_traitsIS12_E10value_typeET2_T3_PNS13_IS18_E10value_typeET4_jRbjT5_S1E_jjP12ihipStream_tbEUljE_ZNSN_ISO_Lb1ESQ_SR_ST_SU_SY_EESZ_S10_S11_S12_S16_S17_S18_S1B_S1C_jS1D_jS1E_S1E_jjS1G_bEUljE0_EEESZ_S10_S11_S18_S1C_S1E_T6_T7_T9_mT8_S1G_bDpT10_ENKUlT_T0_E_clISt17integral_constantIbLb0EES1U_EEDaS1P_S1Q_EUlS1P_E_NS1_11comp_targetILNS1_3genE2ELNS1_11target_archE906ELNS1_3gpuE6ELNS1_3repE0EEENS1_30default_config_static_selectorELNS0_4arch9wavefront6targetE0EEEvS12_.num_vgpr, 0
	.set _ZN7rocprim17ROCPRIM_400000_NS6detail17trampoline_kernelINS0_13select_configILj256ELj13ELNS0_17block_load_methodE3ELS4_3ELS4_3ELNS0_20block_scan_algorithmE0ELj4294967295EEENS1_25partition_config_selectorILNS1_17partition_subalgoE4EjNS0_10empty_typeEbEEZZNS1_14partition_implILS8_4ELb0ES6_15HIP_vector_typeIjLj2EENS0_17counting_iteratorIjlEEPS9_SG_NS0_5tupleIJPjSI_NS0_16reverse_iteratorISI_EEEEENSH_IJSG_SG_SG_EEES9_SI_JZNS1_25segmented_radix_sort_implINS0_14default_configELb1EPKfPfPKlPlN2at6native12_GLOBAL__N_18offset_tEEE10hipError_tPvRmT1_PNSt15iterator_traitsIS12_E10value_typeET2_T3_PNS13_IS18_E10value_typeET4_jRbjT5_S1E_jjP12ihipStream_tbEUljE_ZNSN_ISO_Lb1ESQ_SR_ST_SU_SY_EESZ_S10_S11_S12_S16_S17_S18_S1B_S1C_jS1D_jS1E_S1E_jjS1G_bEUljE0_EEESZ_S10_S11_S18_S1C_S1E_T6_T7_T9_mT8_S1G_bDpT10_ENKUlT_T0_E_clISt17integral_constantIbLb0EES1U_EEDaS1P_S1Q_EUlS1P_E_NS1_11comp_targetILNS1_3genE2ELNS1_11target_archE906ELNS1_3gpuE6ELNS1_3repE0EEENS1_30default_config_static_selectorELNS0_4arch9wavefront6targetE0EEEvS12_.num_agpr, 0
	.set _ZN7rocprim17ROCPRIM_400000_NS6detail17trampoline_kernelINS0_13select_configILj256ELj13ELNS0_17block_load_methodE3ELS4_3ELS4_3ELNS0_20block_scan_algorithmE0ELj4294967295EEENS1_25partition_config_selectorILNS1_17partition_subalgoE4EjNS0_10empty_typeEbEEZZNS1_14partition_implILS8_4ELb0ES6_15HIP_vector_typeIjLj2EENS0_17counting_iteratorIjlEEPS9_SG_NS0_5tupleIJPjSI_NS0_16reverse_iteratorISI_EEEEENSH_IJSG_SG_SG_EEES9_SI_JZNS1_25segmented_radix_sort_implINS0_14default_configELb1EPKfPfPKlPlN2at6native12_GLOBAL__N_18offset_tEEE10hipError_tPvRmT1_PNSt15iterator_traitsIS12_E10value_typeET2_T3_PNS13_IS18_E10value_typeET4_jRbjT5_S1E_jjP12ihipStream_tbEUljE_ZNSN_ISO_Lb1ESQ_SR_ST_SU_SY_EESZ_S10_S11_S12_S16_S17_S18_S1B_S1C_jS1D_jS1E_S1E_jjS1G_bEUljE0_EEESZ_S10_S11_S18_S1C_S1E_T6_T7_T9_mT8_S1G_bDpT10_ENKUlT_T0_E_clISt17integral_constantIbLb0EES1U_EEDaS1P_S1Q_EUlS1P_E_NS1_11comp_targetILNS1_3genE2ELNS1_11target_archE906ELNS1_3gpuE6ELNS1_3repE0EEENS1_30default_config_static_selectorELNS0_4arch9wavefront6targetE0EEEvS12_.numbered_sgpr, 0
	.set _ZN7rocprim17ROCPRIM_400000_NS6detail17trampoline_kernelINS0_13select_configILj256ELj13ELNS0_17block_load_methodE3ELS4_3ELS4_3ELNS0_20block_scan_algorithmE0ELj4294967295EEENS1_25partition_config_selectorILNS1_17partition_subalgoE4EjNS0_10empty_typeEbEEZZNS1_14partition_implILS8_4ELb0ES6_15HIP_vector_typeIjLj2EENS0_17counting_iteratorIjlEEPS9_SG_NS0_5tupleIJPjSI_NS0_16reverse_iteratorISI_EEEEENSH_IJSG_SG_SG_EEES9_SI_JZNS1_25segmented_radix_sort_implINS0_14default_configELb1EPKfPfPKlPlN2at6native12_GLOBAL__N_18offset_tEEE10hipError_tPvRmT1_PNSt15iterator_traitsIS12_E10value_typeET2_T3_PNS13_IS18_E10value_typeET4_jRbjT5_S1E_jjP12ihipStream_tbEUljE_ZNSN_ISO_Lb1ESQ_SR_ST_SU_SY_EESZ_S10_S11_S12_S16_S17_S18_S1B_S1C_jS1D_jS1E_S1E_jjS1G_bEUljE0_EEESZ_S10_S11_S18_S1C_S1E_T6_T7_T9_mT8_S1G_bDpT10_ENKUlT_T0_E_clISt17integral_constantIbLb0EES1U_EEDaS1P_S1Q_EUlS1P_E_NS1_11comp_targetILNS1_3genE2ELNS1_11target_archE906ELNS1_3gpuE6ELNS1_3repE0EEENS1_30default_config_static_selectorELNS0_4arch9wavefront6targetE0EEEvS12_.num_named_barrier, 0
	.set _ZN7rocprim17ROCPRIM_400000_NS6detail17trampoline_kernelINS0_13select_configILj256ELj13ELNS0_17block_load_methodE3ELS4_3ELS4_3ELNS0_20block_scan_algorithmE0ELj4294967295EEENS1_25partition_config_selectorILNS1_17partition_subalgoE4EjNS0_10empty_typeEbEEZZNS1_14partition_implILS8_4ELb0ES6_15HIP_vector_typeIjLj2EENS0_17counting_iteratorIjlEEPS9_SG_NS0_5tupleIJPjSI_NS0_16reverse_iteratorISI_EEEEENSH_IJSG_SG_SG_EEES9_SI_JZNS1_25segmented_radix_sort_implINS0_14default_configELb1EPKfPfPKlPlN2at6native12_GLOBAL__N_18offset_tEEE10hipError_tPvRmT1_PNSt15iterator_traitsIS12_E10value_typeET2_T3_PNS13_IS18_E10value_typeET4_jRbjT5_S1E_jjP12ihipStream_tbEUljE_ZNSN_ISO_Lb1ESQ_SR_ST_SU_SY_EESZ_S10_S11_S12_S16_S17_S18_S1B_S1C_jS1D_jS1E_S1E_jjS1G_bEUljE0_EEESZ_S10_S11_S18_S1C_S1E_T6_T7_T9_mT8_S1G_bDpT10_ENKUlT_T0_E_clISt17integral_constantIbLb0EES1U_EEDaS1P_S1Q_EUlS1P_E_NS1_11comp_targetILNS1_3genE2ELNS1_11target_archE906ELNS1_3gpuE6ELNS1_3repE0EEENS1_30default_config_static_selectorELNS0_4arch9wavefront6targetE0EEEvS12_.private_seg_size, 0
	.set _ZN7rocprim17ROCPRIM_400000_NS6detail17trampoline_kernelINS0_13select_configILj256ELj13ELNS0_17block_load_methodE3ELS4_3ELS4_3ELNS0_20block_scan_algorithmE0ELj4294967295EEENS1_25partition_config_selectorILNS1_17partition_subalgoE4EjNS0_10empty_typeEbEEZZNS1_14partition_implILS8_4ELb0ES6_15HIP_vector_typeIjLj2EENS0_17counting_iteratorIjlEEPS9_SG_NS0_5tupleIJPjSI_NS0_16reverse_iteratorISI_EEEEENSH_IJSG_SG_SG_EEES9_SI_JZNS1_25segmented_radix_sort_implINS0_14default_configELb1EPKfPfPKlPlN2at6native12_GLOBAL__N_18offset_tEEE10hipError_tPvRmT1_PNSt15iterator_traitsIS12_E10value_typeET2_T3_PNS13_IS18_E10value_typeET4_jRbjT5_S1E_jjP12ihipStream_tbEUljE_ZNSN_ISO_Lb1ESQ_SR_ST_SU_SY_EESZ_S10_S11_S12_S16_S17_S18_S1B_S1C_jS1D_jS1E_S1E_jjS1G_bEUljE0_EEESZ_S10_S11_S18_S1C_S1E_T6_T7_T9_mT8_S1G_bDpT10_ENKUlT_T0_E_clISt17integral_constantIbLb0EES1U_EEDaS1P_S1Q_EUlS1P_E_NS1_11comp_targetILNS1_3genE2ELNS1_11target_archE906ELNS1_3gpuE6ELNS1_3repE0EEENS1_30default_config_static_selectorELNS0_4arch9wavefront6targetE0EEEvS12_.uses_vcc, 0
	.set _ZN7rocprim17ROCPRIM_400000_NS6detail17trampoline_kernelINS0_13select_configILj256ELj13ELNS0_17block_load_methodE3ELS4_3ELS4_3ELNS0_20block_scan_algorithmE0ELj4294967295EEENS1_25partition_config_selectorILNS1_17partition_subalgoE4EjNS0_10empty_typeEbEEZZNS1_14partition_implILS8_4ELb0ES6_15HIP_vector_typeIjLj2EENS0_17counting_iteratorIjlEEPS9_SG_NS0_5tupleIJPjSI_NS0_16reverse_iteratorISI_EEEEENSH_IJSG_SG_SG_EEES9_SI_JZNS1_25segmented_radix_sort_implINS0_14default_configELb1EPKfPfPKlPlN2at6native12_GLOBAL__N_18offset_tEEE10hipError_tPvRmT1_PNSt15iterator_traitsIS12_E10value_typeET2_T3_PNS13_IS18_E10value_typeET4_jRbjT5_S1E_jjP12ihipStream_tbEUljE_ZNSN_ISO_Lb1ESQ_SR_ST_SU_SY_EESZ_S10_S11_S12_S16_S17_S18_S1B_S1C_jS1D_jS1E_S1E_jjS1G_bEUljE0_EEESZ_S10_S11_S18_S1C_S1E_T6_T7_T9_mT8_S1G_bDpT10_ENKUlT_T0_E_clISt17integral_constantIbLb0EES1U_EEDaS1P_S1Q_EUlS1P_E_NS1_11comp_targetILNS1_3genE2ELNS1_11target_archE906ELNS1_3gpuE6ELNS1_3repE0EEENS1_30default_config_static_selectorELNS0_4arch9wavefront6targetE0EEEvS12_.uses_flat_scratch, 0
	.set _ZN7rocprim17ROCPRIM_400000_NS6detail17trampoline_kernelINS0_13select_configILj256ELj13ELNS0_17block_load_methodE3ELS4_3ELS4_3ELNS0_20block_scan_algorithmE0ELj4294967295EEENS1_25partition_config_selectorILNS1_17partition_subalgoE4EjNS0_10empty_typeEbEEZZNS1_14partition_implILS8_4ELb0ES6_15HIP_vector_typeIjLj2EENS0_17counting_iteratorIjlEEPS9_SG_NS0_5tupleIJPjSI_NS0_16reverse_iteratorISI_EEEEENSH_IJSG_SG_SG_EEES9_SI_JZNS1_25segmented_radix_sort_implINS0_14default_configELb1EPKfPfPKlPlN2at6native12_GLOBAL__N_18offset_tEEE10hipError_tPvRmT1_PNSt15iterator_traitsIS12_E10value_typeET2_T3_PNS13_IS18_E10value_typeET4_jRbjT5_S1E_jjP12ihipStream_tbEUljE_ZNSN_ISO_Lb1ESQ_SR_ST_SU_SY_EESZ_S10_S11_S12_S16_S17_S18_S1B_S1C_jS1D_jS1E_S1E_jjS1G_bEUljE0_EEESZ_S10_S11_S18_S1C_S1E_T6_T7_T9_mT8_S1G_bDpT10_ENKUlT_T0_E_clISt17integral_constantIbLb0EES1U_EEDaS1P_S1Q_EUlS1P_E_NS1_11comp_targetILNS1_3genE2ELNS1_11target_archE906ELNS1_3gpuE6ELNS1_3repE0EEENS1_30default_config_static_selectorELNS0_4arch9wavefront6targetE0EEEvS12_.has_dyn_sized_stack, 0
	.set _ZN7rocprim17ROCPRIM_400000_NS6detail17trampoline_kernelINS0_13select_configILj256ELj13ELNS0_17block_load_methodE3ELS4_3ELS4_3ELNS0_20block_scan_algorithmE0ELj4294967295EEENS1_25partition_config_selectorILNS1_17partition_subalgoE4EjNS0_10empty_typeEbEEZZNS1_14partition_implILS8_4ELb0ES6_15HIP_vector_typeIjLj2EENS0_17counting_iteratorIjlEEPS9_SG_NS0_5tupleIJPjSI_NS0_16reverse_iteratorISI_EEEEENSH_IJSG_SG_SG_EEES9_SI_JZNS1_25segmented_radix_sort_implINS0_14default_configELb1EPKfPfPKlPlN2at6native12_GLOBAL__N_18offset_tEEE10hipError_tPvRmT1_PNSt15iterator_traitsIS12_E10value_typeET2_T3_PNS13_IS18_E10value_typeET4_jRbjT5_S1E_jjP12ihipStream_tbEUljE_ZNSN_ISO_Lb1ESQ_SR_ST_SU_SY_EESZ_S10_S11_S12_S16_S17_S18_S1B_S1C_jS1D_jS1E_S1E_jjS1G_bEUljE0_EEESZ_S10_S11_S18_S1C_S1E_T6_T7_T9_mT8_S1G_bDpT10_ENKUlT_T0_E_clISt17integral_constantIbLb0EES1U_EEDaS1P_S1Q_EUlS1P_E_NS1_11comp_targetILNS1_3genE2ELNS1_11target_archE906ELNS1_3gpuE6ELNS1_3repE0EEENS1_30default_config_static_selectorELNS0_4arch9wavefront6targetE0EEEvS12_.has_recursion, 0
	.set _ZN7rocprim17ROCPRIM_400000_NS6detail17trampoline_kernelINS0_13select_configILj256ELj13ELNS0_17block_load_methodE3ELS4_3ELS4_3ELNS0_20block_scan_algorithmE0ELj4294967295EEENS1_25partition_config_selectorILNS1_17partition_subalgoE4EjNS0_10empty_typeEbEEZZNS1_14partition_implILS8_4ELb0ES6_15HIP_vector_typeIjLj2EENS0_17counting_iteratorIjlEEPS9_SG_NS0_5tupleIJPjSI_NS0_16reverse_iteratorISI_EEEEENSH_IJSG_SG_SG_EEES9_SI_JZNS1_25segmented_radix_sort_implINS0_14default_configELb1EPKfPfPKlPlN2at6native12_GLOBAL__N_18offset_tEEE10hipError_tPvRmT1_PNSt15iterator_traitsIS12_E10value_typeET2_T3_PNS13_IS18_E10value_typeET4_jRbjT5_S1E_jjP12ihipStream_tbEUljE_ZNSN_ISO_Lb1ESQ_SR_ST_SU_SY_EESZ_S10_S11_S12_S16_S17_S18_S1B_S1C_jS1D_jS1E_S1E_jjS1G_bEUljE0_EEESZ_S10_S11_S18_S1C_S1E_T6_T7_T9_mT8_S1G_bDpT10_ENKUlT_T0_E_clISt17integral_constantIbLb0EES1U_EEDaS1P_S1Q_EUlS1P_E_NS1_11comp_targetILNS1_3genE2ELNS1_11target_archE906ELNS1_3gpuE6ELNS1_3repE0EEENS1_30default_config_static_selectorELNS0_4arch9wavefront6targetE0EEEvS12_.has_indirect_call, 0
	.section	.AMDGPU.csdata,"",@progbits
; Kernel info:
; codeLenInByte = 0
; TotalNumSgprs: 0
; NumVgprs: 0
; ScratchSize: 0
; MemoryBound: 0
; FloatMode: 240
; IeeeMode: 1
; LDSByteSize: 0 bytes/workgroup (compile time only)
; SGPRBlocks: 0
; VGPRBlocks: 0
; NumSGPRsForWavesPerEU: 1
; NumVGPRsForWavesPerEU: 1
; Occupancy: 16
; WaveLimiterHint : 0
; COMPUTE_PGM_RSRC2:SCRATCH_EN: 0
; COMPUTE_PGM_RSRC2:USER_SGPR: 2
; COMPUTE_PGM_RSRC2:TRAP_HANDLER: 0
; COMPUTE_PGM_RSRC2:TGID_X_EN: 1
; COMPUTE_PGM_RSRC2:TGID_Y_EN: 0
; COMPUTE_PGM_RSRC2:TGID_Z_EN: 0
; COMPUTE_PGM_RSRC2:TIDIG_COMP_CNT: 0
	.section	.text._ZN7rocprim17ROCPRIM_400000_NS6detail17trampoline_kernelINS0_13select_configILj256ELj13ELNS0_17block_load_methodE3ELS4_3ELS4_3ELNS0_20block_scan_algorithmE0ELj4294967295EEENS1_25partition_config_selectorILNS1_17partition_subalgoE4EjNS0_10empty_typeEbEEZZNS1_14partition_implILS8_4ELb0ES6_15HIP_vector_typeIjLj2EENS0_17counting_iteratorIjlEEPS9_SG_NS0_5tupleIJPjSI_NS0_16reverse_iteratorISI_EEEEENSH_IJSG_SG_SG_EEES9_SI_JZNS1_25segmented_radix_sort_implINS0_14default_configELb1EPKfPfPKlPlN2at6native12_GLOBAL__N_18offset_tEEE10hipError_tPvRmT1_PNSt15iterator_traitsIS12_E10value_typeET2_T3_PNS13_IS18_E10value_typeET4_jRbjT5_S1E_jjP12ihipStream_tbEUljE_ZNSN_ISO_Lb1ESQ_SR_ST_SU_SY_EESZ_S10_S11_S12_S16_S17_S18_S1B_S1C_jS1D_jS1E_S1E_jjS1G_bEUljE0_EEESZ_S10_S11_S18_S1C_S1E_T6_T7_T9_mT8_S1G_bDpT10_ENKUlT_T0_E_clISt17integral_constantIbLb0EES1U_EEDaS1P_S1Q_EUlS1P_E_NS1_11comp_targetILNS1_3genE10ELNS1_11target_archE1200ELNS1_3gpuE4ELNS1_3repE0EEENS1_30default_config_static_selectorELNS0_4arch9wavefront6targetE0EEEvS12_,"axG",@progbits,_ZN7rocprim17ROCPRIM_400000_NS6detail17trampoline_kernelINS0_13select_configILj256ELj13ELNS0_17block_load_methodE3ELS4_3ELS4_3ELNS0_20block_scan_algorithmE0ELj4294967295EEENS1_25partition_config_selectorILNS1_17partition_subalgoE4EjNS0_10empty_typeEbEEZZNS1_14partition_implILS8_4ELb0ES6_15HIP_vector_typeIjLj2EENS0_17counting_iteratorIjlEEPS9_SG_NS0_5tupleIJPjSI_NS0_16reverse_iteratorISI_EEEEENSH_IJSG_SG_SG_EEES9_SI_JZNS1_25segmented_radix_sort_implINS0_14default_configELb1EPKfPfPKlPlN2at6native12_GLOBAL__N_18offset_tEEE10hipError_tPvRmT1_PNSt15iterator_traitsIS12_E10value_typeET2_T3_PNS13_IS18_E10value_typeET4_jRbjT5_S1E_jjP12ihipStream_tbEUljE_ZNSN_ISO_Lb1ESQ_SR_ST_SU_SY_EESZ_S10_S11_S12_S16_S17_S18_S1B_S1C_jS1D_jS1E_S1E_jjS1G_bEUljE0_EEESZ_S10_S11_S18_S1C_S1E_T6_T7_T9_mT8_S1G_bDpT10_ENKUlT_T0_E_clISt17integral_constantIbLb0EES1U_EEDaS1P_S1Q_EUlS1P_E_NS1_11comp_targetILNS1_3genE10ELNS1_11target_archE1200ELNS1_3gpuE4ELNS1_3repE0EEENS1_30default_config_static_selectorELNS0_4arch9wavefront6targetE0EEEvS12_,comdat
	.globl	_ZN7rocprim17ROCPRIM_400000_NS6detail17trampoline_kernelINS0_13select_configILj256ELj13ELNS0_17block_load_methodE3ELS4_3ELS4_3ELNS0_20block_scan_algorithmE0ELj4294967295EEENS1_25partition_config_selectorILNS1_17partition_subalgoE4EjNS0_10empty_typeEbEEZZNS1_14partition_implILS8_4ELb0ES6_15HIP_vector_typeIjLj2EENS0_17counting_iteratorIjlEEPS9_SG_NS0_5tupleIJPjSI_NS0_16reverse_iteratorISI_EEEEENSH_IJSG_SG_SG_EEES9_SI_JZNS1_25segmented_radix_sort_implINS0_14default_configELb1EPKfPfPKlPlN2at6native12_GLOBAL__N_18offset_tEEE10hipError_tPvRmT1_PNSt15iterator_traitsIS12_E10value_typeET2_T3_PNS13_IS18_E10value_typeET4_jRbjT5_S1E_jjP12ihipStream_tbEUljE_ZNSN_ISO_Lb1ESQ_SR_ST_SU_SY_EESZ_S10_S11_S12_S16_S17_S18_S1B_S1C_jS1D_jS1E_S1E_jjS1G_bEUljE0_EEESZ_S10_S11_S18_S1C_S1E_T6_T7_T9_mT8_S1G_bDpT10_ENKUlT_T0_E_clISt17integral_constantIbLb0EES1U_EEDaS1P_S1Q_EUlS1P_E_NS1_11comp_targetILNS1_3genE10ELNS1_11target_archE1200ELNS1_3gpuE4ELNS1_3repE0EEENS1_30default_config_static_selectorELNS0_4arch9wavefront6targetE0EEEvS12_ ; -- Begin function _ZN7rocprim17ROCPRIM_400000_NS6detail17trampoline_kernelINS0_13select_configILj256ELj13ELNS0_17block_load_methodE3ELS4_3ELS4_3ELNS0_20block_scan_algorithmE0ELj4294967295EEENS1_25partition_config_selectorILNS1_17partition_subalgoE4EjNS0_10empty_typeEbEEZZNS1_14partition_implILS8_4ELb0ES6_15HIP_vector_typeIjLj2EENS0_17counting_iteratorIjlEEPS9_SG_NS0_5tupleIJPjSI_NS0_16reverse_iteratorISI_EEEEENSH_IJSG_SG_SG_EEES9_SI_JZNS1_25segmented_radix_sort_implINS0_14default_configELb1EPKfPfPKlPlN2at6native12_GLOBAL__N_18offset_tEEE10hipError_tPvRmT1_PNSt15iterator_traitsIS12_E10value_typeET2_T3_PNS13_IS18_E10value_typeET4_jRbjT5_S1E_jjP12ihipStream_tbEUljE_ZNSN_ISO_Lb1ESQ_SR_ST_SU_SY_EESZ_S10_S11_S12_S16_S17_S18_S1B_S1C_jS1D_jS1E_S1E_jjS1G_bEUljE0_EEESZ_S10_S11_S18_S1C_S1E_T6_T7_T9_mT8_S1G_bDpT10_ENKUlT_T0_E_clISt17integral_constantIbLb0EES1U_EEDaS1P_S1Q_EUlS1P_E_NS1_11comp_targetILNS1_3genE10ELNS1_11target_archE1200ELNS1_3gpuE4ELNS1_3repE0EEENS1_30default_config_static_selectorELNS0_4arch9wavefront6targetE0EEEvS12_
	.p2align	8
	.type	_ZN7rocprim17ROCPRIM_400000_NS6detail17trampoline_kernelINS0_13select_configILj256ELj13ELNS0_17block_load_methodE3ELS4_3ELS4_3ELNS0_20block_scan_algorithmE0ELj4294967295EEENS1_25partition_config_selectorILNS1_17partition_subalgoE4EjNS0_10empty_typeEbEEZZNS1_14partition_implILS8_4ELb0ES6_15HIP_vector_typeIjLj2EENS0_17counting_iteratorIjlEEPS9_SG_NS0_5tupleIJPjSI_NS0_16reverse_iteratorISI_EEEEENSH_IJSG_SG_SG_EEES9_SI_JZNS1_25segmented_radix_sort_implINS0_14default_configELb1EPKfPfPKlPlN2at6native12_GLOBAL__N_18offset_tEEE10hipError_tPvRmT1_PNSt15iterator_traitsIS12_E10value_typeET2_T3_PNS13_IS18_E10value_typeET4_jRbjT5_S1E_jjP12ihipStream_tbEUljE_ZNSN_ISO_Lb1ESQ_SR_ST_SU_SY_EESZ_S10_S11_S12_S16_S17_S18_S1B_S1C_jS1D_jS1E_S1E_jjS1G_bEUljE0_EEESZ_S10_S11_S18_S1C_S1E_T6_T7_T9_mT8_S1G_bDpT10_ENKUlT_T0_E_clISt17integral_constantIbLb0EES1U_EEDaS1P_S1Q_EUlS1P_E_NS1_11comp_targetILNS1_3genE10ELNS1_11target_archE1200ELNS1_3gpuE4ELNS1_3repE0EEENS1_30default_config_static_selectorELNS0_4arch9wavefront6targetE0EEEvS12_,@function
_ZN7rocprim17ROCPRIM_400000_NS6detail17trampoline_kernelINS0_13select_configILj256ELj13ELNS0_17block_load_methodE3ELS4_3ELS4_3ELNS0_20block_scan_algorithmE0ELj4294967295EEENS1_25partition_config_selectorILNS1_17partition_subalgoE4EjNS0_10empty_typeEbEEZZNS1_14partition_implILS8_4ELb0ES6_15HIP_vector_typeIjLj2EENS0_17counting_iteratorIjlEEPS9_SG_NS0_5tupleIJPjSI_NS0_16reverse_iteratorISI_EEEEENSH_IJSG_SG_SG_EEES9_SI_JZNS1_25segmented_radix_sort_implINS0_14default_configELb1EPKfPfPKlPlN2at6native12_GLOBAL__N_18offset_tEEE10hipError_tPvRmT1_PNSt15iterator_traitsIS12_E10value_typeET2_T3_PNS13_IS18_E10value_typeET4_jRbjT5_S1E_jjP12ihipStream_tbEUljE_ZNSN_ISO_Lb1ESQ_SR_ST_SU_SY_EESZ_S10_S11_S12_S16_S17_S18_S1B_S1C_jS1D_jS1E_S1E_jjS1G_bEUljE0_EEESZ_S10_S11_S18_S1C_S1E_T6_T7_T9_mT8_S1G_bDpT10_ENKUlT_T0_E_clISt17integral_constantIbLb0EES1U_EEDaS1P_S1Q_EUlS1P_E_NS1_11comp_targetILNS1_3genE10ELNS1_11target_archE1200ELNS1_3gpuE4ELNS1_3repE0EEENS1_30default_config_static_selectorELNS0_4arch9wavefront6targetE0EEEvS12_: ; @_ZN7rocprim17ROCPRIM_400000_NS6detail17trampoline_kernelINS0_13select_configILj256ELj13ELNS0_17block_load_methodE3ELS4_3ELS4_3ELNS0_20block_scan_algorithmE0ELj4294967295EEENS1_25partition_config_selectorILNS1_17partition_subalgoE4EjNS0_10empty_typeEbEEZZNS1_14partition_implILS8_4ELb0ES6_15HIP_vector_typeIjLj2EENS0_17counting_iteratorIjlEEPS9_SG_NS0_5tupleIJPjSI_NS0_16reverse_iteratorISI_EEEEENSH_IJSG_SG_SG_EEES9_SI_JZNS1_25segmented_radix_sort_implINS0_14default_configELb1EPKfPfPKlPlN2at6native12_GLOBAL__N_18offset_tEEE10hipError_tPvRmT1_PNSt15iterator_traitsIS12_E10value_typeET2_T3_PNS13_IS18_E10value_typeET4_jRbjT5_S1E_jjP12ihipStream_tbEUljE_ZNSN_ISO_Lb1ESQ_SR_ST_SU_SY_EESZ_S10_S11_S12_S16_S17_S18_S1B_S1C_jS1D_jS1E_S1E_jjS1G_bEUljE0_EEESZ_S10_S11_S18_S1C_S1E_T6_T7_T9_mT8_S1G_bDpT10_ENKUlT_T0_E_clISt17integral_constantIbLb0EES1U_EEDaS1P_S1Q_EUlS1P_E_NS1_11comp_targetILNS1_3genE10ELNS1_11target_archE1200ELNS1_3gpuE4ELNS1_3repE0EEENS1_30default_config_static_selectorELNS0_4arch9wavefront6targetE0EEEvS12_
; %bb.0:
	s_clause 0x6
	s_load_b32 s6, s[0:1], 0x80
	s_load_b128 s[24:27], s[0:1], 0x58
	s_load_b64 s[34:35], s[0:1], 0x10
	s_load_b64 s[2:3], s[0:1], 0x68
	s_load_b32 s7, s[0:1], 0x8
	s_load_b64 s[42:43], s[0:1], 0xa8
	s_load_b256 s[16:23], s[0:1], 0x88
	s_mov_b32 s5, 0
	s_mul_i32 s40, ttmp9, 0xd00
	s_wait_kmcnt 0x0
	s_mul_i32 s4, s6, 0xd00
	s_load_b128 s[28:31], s[26:27], 0x0
	s_add_co_i32 s8, s4, s34
	s_add_co_i32 s6, s6, -1
	s_sub_co_i32 s33, s2, s8
	s_add_nc_u64 s[4:5], s[34:35], s[4:5]
	s_addk_co_i32 s33, 0xd00
	s_cmp_eq_u32 ttmp9, s6
	v_cmp_gt_u64_e64 s2, s[2:3], s[4:5]
	s_cselect_b32 s15, -1, 0
	s_cmp_lg_u32 ttmp9, s6
	s_mov_b32 s5, -1
	s_cselect_b32 s3, -1, 0
	s_add_co_i32 s4, s7, s40
	s_wait_alu 0xfffe
	s_or_b32 s3, s3, s2
	s_add_co_i32 s4, s4, s34
	s_wait_alu 0xfffe
	s_and_b32 vcc_lo, exec_lo, s3
	v_add_nc_u32_e32 v1, s4, v0
	s_cbranch_vccz .LBB1266_2
; %bb.1:
	s_delay_alu instid0(VALU_DEP_1)
	v_add_nc_u32_e32 v2, 0x100, v1
	v_lshlrev_b32_e32 v10, 2, v0
	v_add_nc_u32_e32 v3, 0x200, v1
	v_add_nc_u32_e32 v4, 0x300, v1
	;; [unrolled: 1-line block ×11, first 2 shown]
	ds_store_2addr_stride64_b32 v10, v1, v2 offset1:4
	ds_store_2addr_stride64_b32 v10, v3, v4 offset0:8 offset1:12
	ds_store_2addr_stride64_b32 v10, v5, v6 offset0:16 offset1:20
	;; [unrolled: 1-line block ×5, first 2 shown]
	ds_store_b32 v10, v14 offset:12288
	s_wait_dscnt 0x0
	s_barrier_signal -1
	s_mov_b32 s5, 0
	s_barrier_wait -1
.LBB1266_2:
	v_cmp_gt_u32_e64 s2, s33, v0
	v_or_b32_e32 v38, 0x100, v0
	v_or_b32_e32 v37, 0x200, v0
	v_or_b32_e32 v36, 0x300, v0
	v_or_b32_e32 v35, 0x400, v0
	v_or_b32_e32 v34, 0x500, v0
	v_or_b32_e32 v33, 0x600, v0
	v_or_b32_e32 v32, 0x700, v0
	v_or_b32_e32 v31, 0x800, v0
	v_or_b32_e32 v30, 0x900, v0
	v_or_b32_e32 v29, 0xa00, v0
	v_or_b32_e32 v28, 0xb00, v0
	v_or_b32_e32 v27, 0xc00, v0
	s_wait_alu 0xfffe
	s_and_not1_b32 vcc_lo, exec_lo, s5
	s_cbranch_vccnz .LBB1266_4
; %bb.3:
	v_cmp_gt_u32_e32 vcc_lo, s33, v38
	v_add_nc_u32_e32 v3, s4, v37
	v_add_nc_u32_e32 v2, s4, v38
	v_cndmask_b32_e64 v1, 0, v1, s2
	v_lshlrev_b32_e32 v14, 2, v0
	s_delay_alu instid0(VALU_DEP_3)
	v_cndmask_b32_e32 v2, 0, v2, vcc_lo
	v_cmp_gt_u32_e32 vcc_lo, s33, v37
	s_wait_alu 0xfffd
	v_cndmask_b32_e32 v3, 0, v3, vcc_lo
	v_cmp_gt_u32_e32 vcc_lo, s33, v36
	v_add_nc_u32_e32 v5, s4, v35
	v_add_nc_u32_e32 v4, s4, v36
	s_wait_alu 0xfffd
	s_delay_alu instid0(VALU_DEP_1)
	v_cndmask_b32_e32 v4, 0, v4, vcc_lo
	v_cmp_gt_u32_e32 vcc_lo, s33, v35
	s_wait_alu 0xfffd
	v_cndmask_b32_e32 v5, 0, v5, vcc_lo
	v_cmp_gt_u32_e32 vcc_lo, s33, v34
	v_add_nc_u32_e32 v7, s4, v33
	v_add_nc_u32_e32 v6, s4, v34
	s_wait_alu 0xfffd
	s_delay_alu instid0(VALU_DEP_1)
	;; [unrolled: 9-line block ×5, first 2 shown]
	v_cndmask_b32_e32 v12, 0, v12, vcc_lo
	v_cmp_gt_u32_e32 vcc_lo, s33, v27
	s_wait_alu 0xfffd
	v_cndmask_b32_e32 v13, 0, v13, vcc_lo
	ds_store_2addr_stride64_b32 v14, v1, v2 offset1:4
	ds_store_2addr_stride64_b32 v14, v3, v4 offset0:8 offset1:12
	ds_store_2addr_stride64_b32 v14, v5, v6 offset0:16 offset1:20
	;; [unrolled: 1-line block ×5, first 2 shown]
	ds_store_b32 v14, v13 offset:12288
	s_wait_dscnt 0x0
	s_barrier_signal -1
	s_barrier_wait -1
.LBB1266_4:
	v_mul_u32_u24_e32 v41, 13, v0
	s_clause 0x1
	s_load_b128 s[36:39], s[0:1], 0x28
	s_load_b64 s[26:27], s[0:1], 0x38
	global_inv scope:SCOPE_SE
	v_cndmask_b32_e64 v39, 0, 1, s3
	s_and_not1_b32 vcc_lo, exec_lo, s3
	v_lshlrev_b32_e32 v1, 2, v41
	ds_load_2addr_b32 v[19:20], v1 offset1:1
	ds_load_2addr_b32 v[17:18], v1 offset0:2 offset1:3
	ds_load_2addr_b32 v[15:16], v1 offset0:4 offset1:5
	;; [unrolled: 1-line block ×5, first 2 shown]
	ds_load_b32 v40, v1 offset:48
	s_wait_loadcnt_dscnt 0x0
	s_barrier_signal -1
	s_barrier_wait -1
	global_inv scope:SCOPE_SE
	s_wait_alu 0xfffe
	s_cbranch_vccnz .LBB1266_32
; %bb.5:
	v_add_nc_u32_e32 v1, s17, v19
	v_add_nc_u32_e32 v2, s19, v19
	s_mov_b32 s44, 0
	s_mov_b32 s41, 0
	s_mov_b32 s3, exec_lo
	v_mul_lo_u32 v1, v1, s16
	v_mul_lo_u32 v2, v2, s18
	s_delay_alu instid0(VALU_DEP_1) | instskip(NEXT) | instid1(VALU_DEP_1)
	v_sub_nc_u32_e32 v1, v1, v2
	v_cmp_lt_u32_e32 vcc_lo, s20, v1
	v_cmpx_ge_u32_e64 s20, v1
	s_cbranch_execz .LBB1266_7
; %bb.6:
	v_add_nc_u32_e32 v1, s22, v19
	v_add_nc_u32_e32 v2, s42, v19
	s_delay_alu instid0(VALU_DEP_2) | instskip(NEXT) | instid1(VALU_DEP_2)
	v_mul_lo_u32 v1, v1, s21
	v_mul_lo_u32 v2, v2, s23
	s_delay_alu instid0(VALU_DEP_1) | instskip(NEXT) | instid1(VALU_DEP_1)
	v_sub_nc_u32_e32 v1, v1, v2
	v_cmp_lt_u32_e64 s2, s43, v1
	s_and_b32 s41, s2, exec_lo
.LBB1266_7:
	s_wait_alu 0xfffe
	s_or_b32 exec_lo, exec_lo, s3
	v_add_nc_u32_e32 v1, s17, v20
	v_add_nc_u32_e32 v2, s19, v20
	s_mov_b32 s4, exec_lo
	s_delay_alu instid0(VALU_DEP_2) | instskip(NEXT) | instid1(VALU_DEP_2)
	v_mul_lo_u32 v1, v1, s16
	v_mul_lo_u32 v2, v2, s18
	s_delay_alu instid0(VALU_DEP_1) | instskip(NEXT) | instid1(VALU_DEP_1)
	v_sub_nc_u32_e32 v1, v1, v2
	v_cmp_lt_u32_e64 s2, s20, v1
	v_cmpx_ge_u32_e64 s20, v1
	s_cbranch_execz .LBB1266_9
; %bb.8:
	v_add_nc_u32_e32 v1, s22, v20
	v_add_nc_u32_e32 v2, s42, v20
	s_delay_alu instid0(VALU_DEP_2) | instskip(NEXT) | instid1(VALU_DEP_2)
	v_mul_lo_u32 v1, v1, s21
	v_mul_lo_u32 v2, v2, s23
	s_delay_alu instid0(VALU_DEP_1) | instskip(NEXT) | instid1(VALU_DEP_1)
	v_sub_nc_u32_e32 v1, v1, v2
	v_cmp_lt_u32_e64 s3, s43, v1
	s_and_b32 s44, s3, exec_lo
.LBB1266_9:
	s_wait_alu 0xfffe
	s_or_b32 exec_lo, exec_lo, s4
	v_add_nc_u32_e32 v1, s17, v17
	v_add_nc_u32_e32 v2, s19, v17
	s_mov_b32 s46, 0
	s_mov_b32 s45, 0
	s_mov_b32 s5, exec_lo
	v_mul_lo_u32 v1, v1, s16
	v_mul_lo_u32 v2, v2, s18
	s_delay_alu instid0(VALU_DEP_1) | instskip(NEXT) | instid1(VALU_DEP_1)
	v_sub_nc_u32_e32 v1, v1, v2
	v_cmp_lt_u32_e64 s3, s20, v1
	v_cmpx_ge_u32_e64 s20, v1
	s_cbranch_execz .LBB1266_11
; %bb.10:
	v_add_nc_u32_e32 v1, s22, v17
	v_add_nc_u32_e32 v2, s42, v17
	s_delay_alu instid0(VALU_DEP_2) | instskip(NEXT) | instid1(VALU_DEP_2)
	v_mul_lo_u32 v1, v1, s21
	v_mul_lo_u32 v2, v2, s23
	s_delay_alu instid0(VALU_DEP_1) | instskip(NEXT) | instid1(VALU_DEP_1)
	v_sub_nc_u32_e32 v1, v1, v2
	v_cmp_lt_u32_e64 s4, s43, v1
	s_and_b32 s45, s4, exec_lo
.LBB1266_11:
	s_wait_alu 0xfffe
	s_or_b32 exec_lo, exec_lo, s5
	v_add_nc_u32_e32 v1, s17, v18
	v_add_nc_u32_e32 v2, s19, v18
	s_mov_b32 s6, exec_lo
	s_delay_alu instid0(VALU_DEP_2) | instskip(NEXT) | instid1(VALU_DEP_2)
	v_mul_lo_u32 v1, v1, s16
	v_mul_lo_u32 v2, v2, s18
	s_delay_alu instid0(VALU_DEP_1) | instskip(NEXT) | instid1(VALU_DEP_1)
	v_sub_nc_u32_e32 v1, v1, v2
	v_cmp_lt_u32_e64 s4, s20, v1
	v_cmpx_ge_u32_e64 s20, v1
	s_cbranch_execz .LBB1266_13
; %bb.12:
	v_add_nc_u32_e32 v1, s22, v18
	v_add_nc_u32_e32 v2, s42, v18
	s_delay_alu instid0(VALU_DEP_2) | instskip(NEXT) | instid1(VALU_DEP_2)
	v_mul_lo_u32 v1, v1, s21
	v_mul_lo_u32 v2, v2, s23
	s_delay_alu instid0(VALU_DEP_1) | instskip(NEXT) | instid1(VALU_DEP_1)
	v_sub_nc_u32_e32 v1, v1, v2
	v_cmp_lt_u32_e64 s5, s43, v1
	s_and_b32 s46, s5, exec_lo
.LBB1266_13:
	s_or_b32 exec_lo, exec_lo, s6
	v_add_nc_u32_e32 v1, s17, v15
	v_add_nc_u32_e32 v2, s19, v15
	s_mov_b32 s48, 0
	s_mov_b32 s47, 0
	s_mov_b32 s7, exec_lo
	v_mul_lo_u32 v1, v1, s16
	v_mul_lo_u32 v2, v2, s18
	s_delay_alu instid0(VALU_DEP_1) | instskip(NEXT) | instid1(VALU_DEP_1)
	v_sub_nc_u32_e32 v1, v1, v2
	v_cmp_lt_u32_e64 s5, s20, v1
	v_cmpx_ge_u32_e64 s20, v1
	s_cbranch_execz .LBB1266_15
; %bb.14:
	v_add_nc_u32_e32 v1, s22, v15
	v_add_nc_u32_e32 v2, s42, v15
	s_delay_alu instid0(VALU_DEP_2) | instskip(NEXT) | instid1(VALU_DEP_2)
	v_mul_lo_u32 v1, v1, s21
	v_mul_lo_u32 v2, v2, s23
	s_delay_alu instid0(VALU_DEP_1) | instskip(NEXT) | instid1(VALU_DEP_1)
	v_sub_nc_u32_e32 v1, v1, v2
	v_cmp_lt_u32_e64 s6, s43, v1
	s_and_b32 s47, s6, exec_lo
.LBB1266_15:
	s_or_b32 exec_lo, exec_lo, s7
	v_add_nc_u32_e32 v1, s17, v16
	v_add_nc_u32_e32 v2, s19, v16
	s_mov_b32 s8, exec_lo
	s_delay_alu instid0(VALU_DEP_2) | instskip(NEXT) | instid1(VALU_DEP_2)
	v_mul_lo_u32 v1, v1, s16
	v_mul_lo_u32 v2, v2, s18
	s_delay_alu instid0(VALU_DEP_1) | instskip(NEXT) | instid1(VALU_DEP_1)
	v_sub_nc_u32_e32 v1, v1, v2
	v_cmp_lt_u32_e64 s6, s20, v1
	v_cmpx_ge_u32_e64 s20, v1
	s_cbranch_execz .LBB1266_17
; %bb.16:
	v_add_nc_u32_e32 v1, s22, v16
	v_add_nc_u32_e32 v2, s42, v16
	s_delay_alu instid0(VALU_DEP_2) | instskip(NEXT) | instid1(VALU_DEP_2)
	v_mul_lo_u32 v1, v1, s21
	v_mul_lo_u32 v2, v2, s23
	s_delay_alu instid0(VALU_DEP_1) | instskip(NEXT) | instid1(VALU_DEP_1)
	v_sub_nc_u32_e32 v1, v1, v2
	v_cmp_lt_u32_e64 s7, s43, v1
	s_and_b32 s48, s7, exec_lo
.LBB1266_17:
	s_or_b32 exec_lo, exec_lo, s8
	v_add_nc_u32_e32 v1, s17, v13
	v_add_nc_u32_e32 v2, s19, v13
	s_mov_b32 s50, 0
	s_mov_b32 s49, 0
	s_mov_b32 s9, exec_lo
	v_mul_lo_u32 v1, v1, s16
	v_mul_lo_u32 v2, v2, s18
	s_delay_alu instid0(VALU_DEP_1) | instskip(NEXT) | instid1(VALU_DEP_1)
	v_sub_nc_u32_e32 v1, v1, v2
	v_cmp_lt_u32_e64 s7, s20, v1
	v_cmpx_ge_u32_e64 s20, v1
	s_cbranch_execz .LBB1266_19
; %bb.18:
	v_add_nc_u32_e32 v1, s22, v13
	v_add_nc_u32_e32 v2, s42, v13
	s_delay_alu instid0(VALU_DEP_2) | instskip(NEXT) | instid1(VALU_DEP_2)
	v_mul_lo_u32 v1, v1, s21
	v_mul_lo_u32 v2, v2, s23
	s_delay_alu instid0(VALU_DEP_1) | instskip(NEXT) | instid1(VALU_DEP_1)
	v_sub_nc_u32_e32 v1, v1, v2
	v_cmp_lt_u32_e64 s8, s43, v1
	s_and_b32 s49, s8, exec_lo
.LBB1266_19:
	;; [unrolled: 47-line block ×5, first 2 shown]
	s_or_b32 exec_lo, exec_lo, s57
	v_cndmask_b32_e64 v2, 0, 1, s2
	s_wait_alu 0xf1ff
	v_cndmask_b32_e64 v4, 0, 1, s4
	s_wait_alu 0xfffd
	v_cndmask_b32_e64 v1, 0, 1, vcc_lo
	v_cndmask_b32_e64 v3, 0, 1, s3
	v_cndmask_b32_e64 v6, 0, 1, s6
	v_lshlrev_b16 v2, 8, v2
	v_lshlrev_b16 v4, 8, v4
	v_cndmask_b32_e64 v8, 0, 1, s8
	v_cndmask_b32_e64 v22, 0, 1, s10
	;; [unrolled: 1-line block ×3, first 2 shown]
	v_or_b32_e32 v1, v1, v2
	v_or_b32_e32 v2, v3, v4
	v_cndmask_b32_e64 v51, 0, 1, s41
	v_cndmask_b32_e64 v5, 0, 1, s5
	;; [unrolled: 1-line block ×3, first 2 shown]
	v_and_b32_e32 v1, 0xffff, v1
	v_lshlrev_b32_e32 v2, 16, v2
	v_cndmask_b32_e64 v21, 0, 1, s9
	v_cndmask_b32_e64 v23, 0, 1, s11
	;; [unrolled: 1-line block ×8, first 2 shown]
	v_or_b32_e32 v42, v1, v2
	v_lshlrev_b16 v1, 8, v6
	v_lshlrev_b16 v2, 8, v8
	;; [unrolled: 1-line block ×5, first 2 shown]
	v_cndmask_b32_e64 v26, 0, 1, s53
	v_cndmask_b32_e64 v44, 0, 1, s50
	;; [unrolled: 1-line block ×5, first 2 shown]
	v_or_b32_e32 v1, v5, v1
	v_or_b32_e32 v2, v7, v2
	;; [unrolled: 1-line block ×5, first 2 shown]
	v_lshlrev_b16 v4, 8, v4
	v_lshlrev_b16 v8, 8, v49
	;; [unrolled: 1-line block ×5, first 2 shown]
	v_or_b32_e32 v4, v50, v4
	v_or_b32_e32 v3, v3, v8
	;; [unrolled: 1-line block ×5, first 2 shown]
	v_and_b32_e32 v1, 0xffff, v1
	v_lshlrev_b32_e32 v2, 16, v2
	v_and_b32_e32 v5, 0xffff, v5
	v_lshlrev_b32_e32 v6, 16, v6
	;; [unrolled: 2-line block ×5, first 2 shown]
	v_cndmask_b32_e64 v45, 0, 1, s54
	v_cndmask_b32_e64 v48, 0, 1, s56
	v_or_b32_e32 v44, v1, v2
	v_or_b32_e32 v47, v5, v6
	;; [unrolled: 1-line block ×5, first 2 shown]
	s_load_b64 s[4:5], s[0:1], 0x78
	s_and_b32 vcc_lo, exec_lo, s51
	s_wait_alu 0xfffe
	s_cbranch_vccnz .LBB1266_33
	s_branch .LBB1266_110
.LBB1266_32:
                                        ; implicit-def: $vgpr48
                                        ; implicit-def: $vgpr45
                                        ; implicit-def: $vgpr46
                                        ; implicit-def: $vgpr43
                                        ; implicit-def: $vgpr49
                                        ; implicit-def: $vgpr47
                                        ; implicit-def: $vgpr44
                                        ; implicit-def: $vgpr42
	s_load_b64 s[4:5], s[0:1], 0x78
	s_cbranch_execz .LBB1266_110
.LBB1266_33:
	v_dual_mov_b32 v2, 0 :: v_dual_mov_b32 v1, 0
	s_mov_b32 s1, exec_lo
	v_cmpx_gt_u32_e64 s33, v41
	s_cbranch_execz .LBB1266_37
; %bb.34:
	v_add_nc_u32_e32 v1, s17, v19
	v_add_nc_u32_e32 v2, s19, v19
	s_mov_b32 s3, 0
	s_mov_b32 s2, exec_lo
	s_delay_alu instid0(VALU_DEP_2) | instskip(NEXT) | instid1(VALU_DEP_2)
	v_mul_lo_u32 v1, v1, s16
	v_mul_lo_u32 v2, v2, s18
	s_delay_alu instid0(VALU_DEP_1) | instskip(NEXT) | instid1(VALU_DEP_1)
	v_sub_nc_u32_e32 v1, v1, v2
	v_cmp_lt_u32_e32 vcc_lo, s20, v1
	v_cmpx_ge_u32_e64 s20, v1
	s_cbranch_execz .LBB1266_36
; %bb.35:
	v_add_nc_u32_e32 v1, s22, v19
	v_add_nc_u32_e32 v2, s42, v19
	s_delay_alu instid0(VALU_DEP_2) | instskip(NEXT) | instid1(VALU_DEP_2)
	v_mul_lo_u32 v1, v1, s21
	v_mul_lo_u32 v2, v2, s23
	s_delay_alu instid0(VALU_DEP_1) | instskip(NEXT) | instid1(VALU_DEP_1)
	v_sub_nc_u32_e32 v1, v1, v2
	v_cmp_lt_u32_e64 s0, s43, v1
	s_and_b32 s3, s0, exec_lo
.LBB1266_36:
	s_wait_alu 0xfffe
	s_or_b32 exec_lo, exec_lo, s2
	v_cndmask_b32_e64 v2, 0, 1, s3
	s_wait_alu 0xfffd
	v_cndmask_b32_e64 v1, 0, 1, vcc_lo
.LBB1266_37:
	s_or_b32 exec_lo, exec_lo, s1
	s_delay_alu instid0(VALU_DEP_2) | instskip(SKIP_1) | instid1(VALU_DEP_3)
	v_lshlrev_b16 v2, 8, v2
	v_add_nc_u32_e32 v3, 1, v41
	v_and_b32_e32 v6, 0xff, v1
	v_lshlrev_b16 v1, 8, 0
                                        ; implicit-def: $vgpr5
                                        ; implicit-def: $vgpr8
                                        ; implicit-def: $vgpr4
	s_delay_alu instid0(VALU_DEP_4) | instskip(NEXT) | instid1(VALU_DEP_4)
	v_and_b32_e32 v2, 0xffff, v2
	v_cmp_le_u32_e32 vcc_lo, s33, v3
                                        ; implicit-def: $vgpr3
	s_delay_alu instid0(VALU_DEP_2) | instskip(SKIP_2) | instid1(SALU_CYCLE_1)
	v_lshrrev_b32_e32 v21, 8, v2
	v_and_b32_e32 v7, 0xff, v2
                                        ; implicit-def: $vgpr2
	s_and_saveexec_b32 s0, vcc_lo
	s_xor_b32 s0, exec_lo, s0
	s_cbranch_execz .LBB1266_39
; %bb.38:
	v_lshlrev_b16 v2, 8, v21
	v_and_b32_e32 v4, 0xffff, v1
                                        ; implicit-def: $vgpr21
	v_mov_b32_e32 v5, 0
	s_delay_alu instid0(VALU_DEP_3) | instskip(SKIP_1) | instid1(VALU_DEP_2)
	v_or_b32_e32 v3, v7, v2
	v_mov_b32_e32 v2, 0
                                        ; implicit-def: $vgpr7
	v_and_b32_e32 v8, 0xffff, v3
	v_and_b32_e32 v3, 0xffff, v1
                                        ; implicit-def: $vgpr1
.LBB1266_39:
	s_and_not1_saveexec_b32 s1, s0
	s_cbranch_execz .LBB1266_43
; %bb.40:
	v_add_nc_u32_e32 v2, s17, v20
	v_add_nc_u32_e32 v3, s19, v20
	s_mov_b32 s2, 0
	s_mov_b32 s3, exec_lo
	s_delay_alu instid0(VALU_DEP_2) | instskip(NEXT) | instid1(VALU_DEP_2)
	v_mul_lo_u32 v2, v2, s16
	v_mul_lo_u32 v3, v3, s18
	s_delay_alu instid0(VALU_DEP_1) | instskip(NEXT) | instid1(VALU_DEP_1)
	v_sub_nc_u32_e32 v2, v2, v3
	v_cmp_lt_u32_e32 vcc_lo, s20, v2
	v_cmpx_ge_u32_e64 s20, v2
	s_cbranch_execz .LBB1266_42
; %bb.41:
	v_add_nc_u32_e32 v2, s22, v20
	v_add_nc_u32_e32 v3, s42, v20
	s_delay_alu instid0(VALU_DEP_2) | instskip(NEXT) | instid1(VALU_DEP_2)
	v_mul_lo_u32 v2, v2, s21
	v_mul_lo_u32 v3, v3, s23
	s_delay_alu instid0(VALU_DEP_1) | instskip(NEXT) | instid1(VALU_DEP_1)
	v_sub_nc_u32_e32 v2, v2, v3
	v_cmp_lt_u32_e64 s0, s43, v2
	s_and_b32 s2, s0, exec_lo
.LBB1266_42:
	s_wait_alu 0xfffe
	s_or_b32 exec_lo, exec_lo, s3
	s_wait_alu 0xfffd
	v_cndmask_b32_e64 v2, 0, 1, vcc_lo
	v_lshlrev_b16 v3, 8, v21
	v_dual_mov_b32 v5, 0 :: v_dual_and_b32 v4, 0xffff, v1
	s_delay_alu instid0(VALU_DEP_3) | instskip(NEXT) | instid1(VALU_DEP_3)
	v_lshlrev_b16 v2, 8, v2
	v_or_b32_e32 v3, v7, v3
	v_cndmask_b32_e64 v7, 0, 1, s2
	s_delay_alu instid0(VALU_DEP_3) | instskip(NEXT) | instid1(VALU_DEP_3)
	v_or_b32_e32 v6, v6, v2
	v_dual_mov_b32 v2, 0 :: v_dual_and_b32 v3, 0xffff, v3
	s_delay_alu instid0(VALU_DEP_2) | instskip(NEXT) | instid1(VALU_DEP_2)
	v_and_b32_e32 v6, 0xffff, v6
	v_lshl_or_b32 v8, v7, 16, v3
	v_and_b32_e32 v3, 0xffff, v1
.LBB1266_43:
	s_or_b32 exec_lo, exec_lo, s1
	v_add_nc_u32_e32 v1, 2, v41
	v_and_b32_e32 v21, 0xff, v6
	v_lshrrev_b32_e32 v22, 8, v6
                                        ; implicit-def: $vgpr7
	s_delay_alu instid0(VALU_DEP_3) | instskip(SKIP_1) | instid1(SALU_CYCLE_1)
	v_cmp_le_u32_e32 vcc_lo, s33, v1
                                        ; implicit-def: $vgpr1
	s_and_saveexec_b32 s0, vcc_lo
	s_xor_b32 s0, exec_lo, s0
	s_cbranch_execz .LBB1266_45
; %bb.44:
	v_lshlrev_b16 v1, 8, v22
	v_perm_b32 v4, v4, v4, 0x3060504
                                        ; implicit-def: $vgpr22
	s_delay_alu instid0(VALU_DEP_2) | instskip(SKIP_1) | instid1(VALU_DEP_2)
	v_or_b32_e32 v1, v21, v1
	v_and_b32_e32 v21, 0xff0000, v8
	v_and_b32_e32 v1, 0xffff, v1
	s_delay_alu instid0(VALU_DEP_1) | instskip(NEXT) | instid1(VALU_DEP_3)
	v_and_or_b32 v7, 0xff000000, v6, v1
	v_perm_b32 v1, v8, v21, 0x3020504
                                        ; implicit-def: $vgpr21
                                        ; implicit-def: $vgpr6
                                        ; implicit-def: $vgpr8
.LBB1266_45:
	s_and_not1_saveexec_b32 s1, s0
	s_cbranch_execz .LBB1266_49
; %bb.46:
	v_add_nc_u32_e32 v1, s17, v17
	v_add_nc_u32_e32 v7, s19, v17
	s_mov_b32 s2, 0
	s_mov_b32 s3, exec_lo
	s_delay_alu instid0(VALU_DEP_2) | instskip(NEXT) | instid1(VALU_DEP_2)
	v_mul_lo_u32 v1, v1, s16
	v_mul_lo_u32 v7, v7, s18
	s_delay_alu instid0(VALU_DEP_1) | instskip(NEXT) | instid1(VALU_DEP_1)
	v_sub_nc_u32_e32 v1, v1, v7
	v_cmp_lt_u32_e32 vcc_lo, s20, v1
	v_cmpx_ge_u32_e64 s20, v1
	s_cbranch_execz .LBB1266_48
; %bb.47:
	v_add_nc_u32_e32 v1, s22, v17
	v_add_nc_u32_e32 v7, s42, v17
	s_delay_alu instid0(VALU_DEP_2) | instskip(NEXT) | instid1(VALU_DEP_2)
	v_mul_lo_u32 v1, v1, s21
	v_mul_lo_u32 v7, v7, s23
	s_delay_alu instid0(VALU_DEP_1) | instskip(NEXT) | instid1(VALU_DEP_1)
	v_sub_nc_u32_e32 v1, v1, v7
	v_cmp_lt_u32_e64 s0, s43, v1
	s_and_b32 s2, s0, exec_lo
.LBB1266_48:
	s_wait_alu 0xfffe
	s_or_b32 exec_lo, exec_lo, s3
	v_lshrrev_b32_e32 v6, 24, v6
	v_cndmask_b32_e64 v7, 0, 1, s2
	v_lshrrev_b32_e32 v23, 8, v8
	v_lshrrev_b32_e32 v24, 16, v8
	s_wait_alu 0xfffd
	v_cndmask_b32_e64 v1, 0, 1, vcc_lo
	v_lshlrev_b16 v22, 8, v22
	v_lshlrev_b16 v6, 8, v6
	v_and_b32_e32 v8, 0xff, v8
	v_lshlrev_b16 v23, 8, v23
	v_lshlrev_b16 v7, 8, v7
	v_and_b32_e32 v24, 0xff, v24
	v_or_b32_e32 v21, v21, v22
	v_or_b32_e32 v1, v1, v6
	;; [unrolled: 1-line block ×3, first 2 shown]
	s_delay_alu instid0(VALU_DEP_4) | instskip(NEXT) | instid1(VALU_DEP_4)
	v_or_b32_e32 v7, v24, v7
	v_and_b32_e32 v8, 0xffff, v21
	s_delay_alu instid0(VALU_DEP_4) | instskip(NEXT) | instid1(VALU_DEP_4)
	v_lshlrev_b32_e32 v1, 16, v1
	v_and_b32_e32 v6, 0xffff, v6
	s_delay_alu instid0(VALU_DEP_4) | instskip(NEXT) | instid1(VALU_DEP_3)
	v_lshlrev_b32_e32 v21, 16, v7
	v_or_b32_e32 v7, v8, v1
	s_delay_alu instid0(VALU_DEP_2)
	v_or_b32_e32 v1, v6, v21
.LBB1266_49:
	s_or_b32 exec_lo, exec_lo, s1
	v_add_nc_u32_e32 v6, 3, v41
	v_lshrrev_b32_e32 v8, 24, v5
	v_lshrrev_b32_e32 v21, 16, v5
	;; [unrolled: 1-line block ×3, first 2 shown]
                                        ; implicit-def: $vgpr42
	s_delay_alu instid0(VALU_DEP_4) | instskip(SKIP_1) | instid1(SALU_CYCLE_1)
	v_cmp_le_u32_e32 vcc_lo, s33, v6
                                        ; implicit-def: $vgpr6
	s_and_saveexec_b32 s0, vcc_lo
	s_xor_b32 s0, exec_lo, s0
	s_cbranch_execz .LBB1266_51
; %bb.50:
	v_lshlrev_b16 v6, 8, v8
	v_and_b32_e32 v8, 0xff, v21
	v_lshlrev_b16 v5, 8, v5
	v_perm_b32 v4, v4, v4, 0x3060504
	v_perm_b32 v3, v3, v3, 0x3060504
                                        ; implicit-def: $vgpr21
	s_delay_alu instid0(VALU_DEP_4) | instskip(SKIP_2) | instid1(VALU_DEP_3)
	v_or_b32_e32 v6, v8, v6
	v_and_b32_e32 v8, 0xff0000, v7
	v_and_b32_e32 v5, 0xffff, v5
	v_lshlrev_b32_e32 v6, 16, v6
	s_delay_alu instid0(VALU_DEP_3) | instskip(NEXT) | instid1(VALU_DEP_2)
	v_perm_b32 v42, v7, v8, 0x3020504
                                        ; implicit-def: $vgpr7
                                        ; implicit-def: $vgpr8
	v_or_b32_e32 v6, v5, v6
                                        ; implicit-def: $vgpr5
.LBB1266_51:
	s_and_not1_saveexec_b32 s1, s0
	s_cbranch_execz .LBB1266_55
; %bb.52:
	v_add_nc_u32_e32 v6, s17, v18
	v_add_nc_u32_e32 v22, s19, v18
	s_mov_b32 s2, 0
	s_mov_b32 s3, exec_lo
	s_delay_alu instid0(VALU_DEP_2) | instskip(NEXT) | instid1(VALU_DEP_2)
	v_mul_lo_u32 v6, v6, s16
	v_mul_lo_u32 v22, v22, s18
	s_delay_alu instid0(VALU_DEP_1) | instskip(NEXT) | instid1(VALU_DEP_1)
	v_sub_nc_u32_e32 v6, v6, v22
	v_cmp_lt_u32_e32 vcc_lo, s20, v6
	v_cmpx_ge_u32_e64 s20, v6
	s_cbranch_execz .LBB1266_54
; %bb.53:
	v_add_nc_u32_e32 v6, s22, v18
	v_add_nc_u32_e32 v22, s42, v18
	s_delay_alu instid0(VALU_DEP_2) | instskip(NEXT) | instid1(VALU_DEP_2)
	v_mul_lo_u32 v6, v6, s21
	v_mul_lo_u32 v22, v22, s23
	s_delay_alu instid0(VALU_DEP_1) | instskip(NEXT) | instid1(VALU_DEP_1)
	v_sub_nc_u32_e32 v6, v6, v22
	v_cmp_lt_u32_e64 s0, s43, v6
	s_and_b32 s2, s0, exec_lo
.LBB1266_54:
	s_wait_alu 0xfffe
	s_or_b32 exec_lo, exec_lo, s3
	v_lshrrev_b32_e32 v6, 8, v7
	s_wait_alu 0xfffd
	v_cndmask_b32_e64 v22, 0, 1, vcc_lo
	v_lshrrev_b32_e32 v23, 16, v7
	v_cndmask_b32_e64 v24, 0, 1, s2
	v_and_b32_e32 v7, 0xff, v7
	v_lshlrev_b16 v6, 8, v6
	v_lshlrev_b16 v22, 8, v22
	v_and_b32_e32 v23, 0xff, v23
	v_lshlrev_b16 v8, 8, v8
	v_and_b32_e32 v21, 0xff, v21
	v_lshlrev_b16 v5, 8, v5
	v_or_b32_e32 v6, v7, v6
	v_or_b32_e32 v7, v23, v22
	s_delay_alu instid0(VALU_DEP_4) | instskip(NEXT) | instid1(VALU_DEP_4)
	v_or_b32_e32 v8, v21, v8
	v_or_b32_e32 v5, v24, v5
	s_delay_alu instid0(VALU_DEP_4) | instskip(NEXT) | instid1(VALU_DEP_4)
	v_and_b32_e32 v6, 0xffff, v6
	v_lshlrev_b32_e32 v7, 16, v7
	s_delay_alu instid0(VALU_DEP_4) | instskip(NEXT) | instid1(VALU_DEP_4)
	v_lshlrev_b32_e32 v8, 16, v8
	v_and_b32_e32 v5, 0xffff, v5
	s_delay_alu instid0(VALU_DEP_3) | instskip(NEXT) | instid1(VALU_DEP_2)
	v_or_b32_e32 v42, v6, v7
	v_or_b32_e32 v6, v5, v8
.LBB1266_55:
	s_or_b32 exec_lo, exec_lo, s1
	v_add_nc_u32_e32 v5, 4, v41
	v_lshrrev_b32_e32 v21, 8, v4
	v_lshrrev_b32_e32 v22, 16, v4
	;; [unrolled: 1-line block ×4, first 2 shown]
	v_cmp_le_u32_e32 vcc_lo, s33, v5
	v_lshrrev_b32_e32 v8, 16, v6
                                        ; implicit-def: $vgpr4
                                        ; implicit-def: $vgpr5
	s_and_saveexec_b32 s0, vcc_lo
	s_delay_alu instid0(SALU_CYCLE_1)
	s_xor_b32 s0, exec_lo, s0
	s_cbranch_execz .LBB1266_57
; %bb.56:
	v_lshlrev_b16 v4, 8, v23
	v_and_b32_e32 v5, 0xff, v22
	v_lshlrev_b16 v21, 8, v21
	v_lshlrev_b16 v7, 8, v7
	v_and_b32_e32 v8, 0xff, v8
	v_perm_b32 v3, v3, v3, 0x3060504
	v_or_b32_e32 v4, v5, v4
	v_and_b32_e32 v5, 0xffff, v21
                                        ; implicit-def: $vgpr21
                                        ; implicit-def: $vgpr22
                                        ; implicit-def: $vgpr23
	s_delay_alu instid0(VALU_DEP_4) | instskip(NEXT) | instid1(VALU_DEP_3)
	v_or_b32_e32 v7, v8, v7
	v_lshlrev_b32_e32 v8, 16, v4
	s_delay_alu instid0(VALU_DEP_2) | instskip(NEXT) | instid1(VALU_DEP_2)
	v_perm_b32 v4, v7, v6, 0x5040c00
                                        ; implicit-def: $vgpr6
                                        ; implicit-def: $vgpr7
	v_or_b32_e32 v5, v5, v8
                                        ; implicit-def: $vgpr8
.LBB1266_57:
	s_and_not1_saveexec_b32 s1, s0
	s_cbranch_execz .LBB1266_61
; %bb.58:
	v_add_nc_u32_e32 v4, s17, v15
	v_add_nc_u32_e32 v5, s19, v15
	s_mov_b32 s2, 0
	s_mov_b32 s3, exec_lo
	s_delay_alu instid0(VALU_DEP_2) | instskip(NEXT) | instid1(VALU_DEP_2)
	v_mul_lo_u32 v4, v4, s16
	v_mul_lo_u32 v5, v5, s18
	s_delay_alu instid0(VALU_DEP_1) | instskip(NEXT) | instid1(VALU_DEP_1)
	v_sub_nc_u32_e32 v4, v4, v5
	v_cmp_lt_u32_e32 vcc_lo, s20, v4
	v_cmpx_ge_u32_e64 s20, v4
	s_cbranch_execz .LBB1266_60
; %bb.59:
	v_add_nc_u32_e32 v4, s22, v15
	v_add_nc_u32_e32 v5, s42, v15
	s_delay_alu instid0(VALU_DEP_2) | instskip(NEXT) | instid1(VALU_DEP_2)
	v_mul_lo_u32 v4, v4, s21
	v_mul_lo_u32 v5, v5, s23
	s_delay_alu instid0(VALU_DEP_1) | instskip(NEXT) | instid1(VALU_DEP_1)
	v_sub_nc_u32_e32 v4, v4, v5
	v_cmp_lt_u32_e64 s0, s43, v4
	s_and_b32 s2, s0, exec_lo
.LBB1266_60:
	s_wait_alu 0xfffe
	s_or_b32 exec_lo, exec_lo, s3
	v_cndmask_b32_e64 v4, 0, 1, s2
	s_wait_alu 0xfffd
	v_cndmask_b32_e64 v5, 0, 1, vcc_lo
	v_lshlrev_b16 v23, 8, v23
	v_and_b32_e32 v22, 0xff, v22
	v_lshlrev_b16 v21, 8, v21
	v_lshlrev_b16 v4, 8, v4
	v_and_b32_e32 v6, 0xff, v6
	v_lshlrev_b16 v7, 8, v7
	v_and_b32_e32 v8, 0xff, v8
	v_or_b32_e32 v22, v22, v23
	v_or_b32_e32 v5, v5, v21
	;; [unrolled: 1-line block ×3, first 2 shown]
	s_delay_alu instid0(VALU_DEP_4) | instskip(NEXT) | instid1(VALU_DEP_4)
	v_or_b32_e32 v6, v8, v7
	v_lshlrev_b32_e32 v7, 16, v22
	s_delay_alu instid0(VALU_DEP_4) | instskip(NEXT) | instid1(VALU_DEP_4)
	v_and_b32_e32 v5, 0xffff, v5
	v_and_b32_e32 v4, 0xffff, v4
	s_delay_alu instid0(VALU_DEP_4) | instskip(NEXT) | instid1(VALU_DEP_3)
	v_lshlrev_b32_e32 v6, 16, v6
	v_or_b32_e32 v5, v5, v7
	s_delay_alu instid0(VALU_DEP_2)
	v_or_b32_e32 v4, v4, v6
.LBB1266_61:
	s_or_b32 exec_lo, exec_lo, s1
	v_add_nc_u32_e32 v6, 5, v41
	s_delay_alu instid0(VALU_DEP_2)
	v_lshrrev_b32_e32 v21, 16, v5
	v_lshrrev_b32_e32 v23, 24, v5
	v_and_b32_e32 v8, 0xff, v4
	v_lshrrev_b32_e32 v22, 8, v4
	v_cmp_le_u32_e32 vcc_lo, s33, v6
                                        ; implicit-def: $vgpr6
                                        ; implicit-def: $vgpr7
	s_and_saveexec_b32 s0, vcc_lo
	s_delay_alu instid0(SALU_CYCLE_1)
	s_xor_b32 s0, exec_lo, s0
	s_cbranch_execz .LBB1266_63
; %bb.62:
	v_lshlrev_b16 v6, 8, v22
	v_lshlrev_b16 v7, 8, v23
	v_and_b32_e32 v21, 0xff, v21
	v_perm_b32 v3, v3, v3, 0x3060504
                                        ; implicit-def: $vgpr23
                                        ; implicit-def: $vgpr22
	s_delay_alu instid0(VALU_DEP_4) | instskip(NEXT) | instid1(VALU_DEP_3)
	v_or_b32_e32 v6, v8, v6
                                        ; implicit-def: $vgpr8
	v_or_b32_e32 v7, v21, v7
                                        ; implicit-def: $vgpr21
	s_delay_alu instid0(VALU_DEP_2) | instskip(NEXT) | instid1(VALU_DEP_2)
	v_and_b32_e32 v6, 0xffff, v6
	v_perm_b32 v7, v7, v5, 0x5040c00
                                        ; implicit-def: $vgpr5
	s_delay_alu instid0(VALU_DEP_2)
	v_and_or_b32 v6, 0xff000000, v4, v6
                                        ; implicit-def: $vgpr4
.LBB1266_63:
	s_and_not1_saveexec_b32 s1, s0
	s_cbranch_execz .LBB1266_67
; %bb.64:
	v_add_nc_u32_e32 v6, s17, v16
	v_add_nc_u32_e32 v7, s19, v16
	s_mov_b32 s2, 0
	s_mov_b32 s3, exec_lo
	s_delay_alu instid0(VALU_DEP_2) | instskip(NEXT) | instid1(VALU_DEP_2)
	v_mul_lo_u32 v6, v6, s16
	v_mul_lo_u32 v7, v7, s18
	s_delay_alu instid0(VALU_DEP_1) | instskip(NEXT) | instid1(VALU_DEP_1)
	v_sub_nc_u32_e32 v6, v6, v7
	v_cmp_lt_u32_e32 vcc_lo, s20, v6
	v_cmpx_ge_u32_e64 s20, v6
	s_cbranch_execz .LBB1266_66
; %bb.65:
	v_add_nc_u32_e32 v6, s22, v16
	v_add_nc_u32_e32 v7, s42, v16
	s_delay_alu instid0(VALU_DEP_2) | instskip(NEXT) | instid1(VALU_DEP_2)
	v_mul_lo_u32 v6, v6, s21
	v_mul_lo_u32 v7, v7, s23
	s_delay_alu instid0(VALU_DEP_1) | instskip(NEXT) | instid1(VALU_DEP_1)
	v_sub_nc_u32_e32 v6, v6, v7
	v_cmp_lt_u32_e64 s0, s43, v6
	s_and_b32 s2, s0, exec_lo
.LBB1266_66:
	s_wait_alu 0xfffe
	s_or_b32 exec_lo, exec_lo, s3
	s_wait_alu 0xfffd
	v_cndmask_b32_e64 v6, 0, 1, vcc_lo
	v_lshrrev_b32_e32 v4, 24, v4
	v_cndmask_b32_e64 v7, 0, 1, s2
	v_lshlrev_b16 v23, 8, v23
	v_and_b32_e32 v21, 0xff, v21
	v_lshlrev_b16 v6, 8, v6
	v_lshlrev_b16 v22, 8, v22
	v_and_b32_e32 v5, 0xff, v5
	v_lshlrev_b16 v4, 8, v4
	v_or_b32_e32 v21, v21, v23
	s_delay_alu instid0(VALU_DEP_4) | instskip(NEXT) | instid1(VALU_DEP_4)
	v_or_b32_e32 v8, v8, v22
	v_or_b32_e32 v5, v5, v6
	s_delay_alu instid0(VALU_DEP_4) | instskip(NEXT) | instid1(VALU_DEP_4)
	v_or_b32_e32 v4, v7, v4
	v_lshlrev_b32_e32 v6, 16, v21
	s_delay_alu instid0(VALU_DEP_4) | instskip(NEXT) | instid1(VALU_DEP_4)
	v_and_b32_e32 v8, 0xffff, v8
	v_and_b32_e32 v5, 0xffff, v5
	s_delay_alu instid0(VALU_DEP_4) | instskip(NEXT) | instid1(VALU_DEP_2)
	v_lshlrev_b32_e32 v4, 16, v4
	v_or_b32_e32 v7, v5, v6
	s_delay_alu instid0(VALU_DEP_2)
	v_or_b32_e32 v6, v8, v4
.LBB1266_67:
	s_or_b32 exec_lo, exec_lo, s1
	v_add_nc_u32_e32 v4, 6, v41
	s_delay_alu instid0(VALU_DEP_3) | instskip(NEXT) | instid1(VALU_DEP_2)
	v_lshrrev_b32_e32 v8, 8, v7
                                        ; implicit-def: $vgpr43
                                        ; implicit-def: $vgpr5
	v_cmp_le_u32_e32 vcc_lo, s33, v4
	v_and_b32_e32 v4, 0xff, v7
	s_and_saveexec_b32 s0, vcc_lo
	s_delay_alu instid0(SALU_CYCLE_1)
	s_xor_b32 s0, exec_lo, s0
	s_cbranch_execz .LBB1266_69
; %bb.68:
	v_lshlrev_b16 v5, 8, v8
	v_perm_b32 v3, v3, v3, 0x3060504
                                        ; implicit-def: $vgpr8
	s_delay_alu instid0(VALU_DEP_2) | instskip(SKIP_1) | instid1(VALU_DEP_2)
	v_or_b32_e32 v4, v4, v5
	v_and_b32_e32 v5, 0xff0000, v6
	v_and_b32_e32 v4, 0xffff, v4
	s_delay_alu instid0(VALU_DEP_2) | instskip(NEXT) | instid1(VALU_DEP_2)
	v_perm_b32 v43, v6, v5, 0x3020504
                                        ; implicit-def: $vgpr6
	v_and_or_b32 v5, 0xff000000, v7, v4
                                        ; implicit-def: $vgpr4
                                        ; implicit-def: $vgpr7
.LBB1266_69:
	s_and_not1_saveexec_b32 s1, s0
	s_cbranch_execz .LBB1266_73
; %bb.70:
	v_add_nc_u32_e32 v5, s17, v13
	v_add_nc_u32_e32 v21, s19, v13
	s_mov_b32 s2, 0
	s_mov_b32 s3, exec_lo
	s_delay_alu instid0(VALU_DEP_2) | instskip(NEXT) | instid1(VALU_DEP_2)
	v_mul_lo_u32 v5, v5, s16
	v_mul_lo_u32 v21, v21, s18
	s_delay_alu instid0(VALU_DEP_1) | instskip(NEXT) | instid1(VALU_DEP_1)
	v_sub_nc_u32_e32 v5, v5, v21
	v_cmp_lt_u32_e32 vcc_lo, s20, v5
	v_cmpx_ge_u32_e64 s20, v5
	s_cbranch_execz .LBB1266_72
; %bb.71:
	v_add_nc_u32_e32 v5, s22, v13
	v_add_nc_u32_e32 v21, s42, v13
	s_delay_alu instid0(VALU_DEP_2) | instskip(NEXT) | instid1(VALU_DEP_2)
	v_mul_lo_u32 v5, v5, s21
	v_mul_lo_u32 v21, v21, s23
	s_delay_alu instid0(VALU_DEP_1) | instskip(NEXT) | instid1(VALU_DEP_1)
	v_sub_nc_u32_e32 v5, v5, v21
	v_cmp_lt_u32_e64 s0, s43, v5
	s_and_b32 s2, s0, exec_lo
.LBB1266_72:
	s_wait_alu 0xfffe
	s_or_b32 exec_lo, exec_lo, s3
	v_lshrrev_b32_e32 v7, 24, v7
	v_cndmask_b32_e64 v21, 0, 1, s2
	v_lshrrev_b32_e32 v22, 8, v6
	v_lshrrev_b32_e32 v23, 16, v6
	s_wait_alu 0xfffd
	v_cndmask_b32_e64 v5, 0, 1, vcc_lo
	v_lshlrev_b16 v8, 8, v8
	v_lshlrev_b16 v7, 8, v7
	v_and_b32_e32 v6, 0xff, v6
	v_lshlrev_b16 v22, 8, v22
	v_lshlrev_b16 v21, 8, v21
	v_and_b32_e32 v23, 0xff, v23
	v_or_b32_e32 v4, v4, v8
	v_or_b32_e32 v5, v5, v7
	;; [unrolled: 1-line block ×3, first 2 shown]
	s_delay_alu instid0(VALU_DEP_4) | instskip(NEXT) | instid1(VALU_DEP_4)
	v_or_b32_e32 v7, v23, v21
	v_and_b32_e32 v4, 0xffff, v4
	s_delay_alu instid0(VALU_DEP_4) | instskip(NEXT) | instid1(VALU_DEP_4)
	v_lshlrev_b32_e32 v5, 16, v5
	v_and_b32_e32 v6, 0xffff, v6
	s_delay_alu instid0(VALU_DEP_4) | instskip(NEXT) | instid1(VALU_DEP_3)
	v_lshlrev_b32_e32 v7, 16, v7
	v_or_b32_e32 v5, v4, v5
	s_delay_alu instid0(VALU_DEP_2)
	v_or_b32_e32 v43, v6, v7
.LBB1266_73:
	s_or_b32 exec_lo, exec_lo, s1
	v_add_nc_u32_e32 v4, 7, v41
	v_lshrrev_b32_e32 v6, 8, v3
	v_lshrrev_b32_e32 v7, 16, v3
	;; [unrolled: 1-line block ×3, first 2 shown]
                                        ; implicit-def: $vgpr44
	s_delay_alu instid0(VALU_DEP_4) | instskip(SKIP_1) | instid1(SALU_CYCLE_1)
	v_cmp_le_u32_e32 vcc_lo, s33, v4
                                        ; implicit-def: $vgpr4
	s_and_saveexec_b32 s0, vcc_lo
	s_xor_b32 s0, exec_lo, s0
	s_cbranch_execz .LBB1266_75
; %bb.74:
	v_lshlrev_b16 v3, 8, v3
	v_and_b32_e32 v4, 0xff, v7
                                        ; implicit-def: $vgpr7
	s_delay_alu instid0(VALU_DEP_1) | instskip(SKIP_2) | instid1(VALU_DEP_3)
	v_or_b32_e32 v3, v4, v3
	v_lshlrev_b16 v4, 8, v6
	v_and_b32_e32 v6, 0xff0000, v5
	v_lshlrev_b32_e32 v3, 16, v3
	s_delay_alu instid0(VALU_DEP_3) | instskip(NEXT) | instid1(VALU_DEP_3)
	v_and_b32_e32 v4, 0xffff, v4
	v_perm_b32 v44, v5, v6, 0x3020504
                                        ; implicit-def: $vgpr5
                                        ; implicit-def: $vgpr6
	s_delay_alu instid0(VALU_DEP_2)
	v_or_b32_e32 v4, v4, v3
                                        ; implicit-def: $vgpr3
.LBB1266_75:
	s_and_not1_saveexec_b32 s1, s0
	s_cbranch_execz .LBB1266_79
; %bb.76:
	v_add_nc_u32_e32 v4, s17, v14
	v_add_nc_u32_e32 v8, s19, v14
	s_mov_b32 s2, 0
	s_mov_b32 s3, exec_lo
	s_delay_alu instid0(VALU_DEP_2) | instskip(NEXT) | instid1(VALU_DEP_2)
	v_mul_lo_u32 v4, v4, s16
	v_mul_lo_u32 v8, v8, s18
	s_delay_alu instid0(VALU_DEP_1) | instskip(NEXT) | instid1(VALU_DEP_1)
	v_sub_nc_u32_e32 v4, v4, v8
	v_cmp_lt_u32_e32 vcc_lo, s20, v4
	v_cmpx_ge_u32_e64 s20, v4
	s_cbranch_execz .LBB1266_78
; %bb.77:
	v_add_nc_u32_e32 v4, s22, v14
	v_add_nc_u32_e32 v8, s42, v14
	s_delay_alu instid0(VALU_DEP_2) | instskip(NEXT) | instid1(VALU_DEP_2)
	v_mul_lo_u32 v4, v4, s21
	v_mul_lo_u32 v8, v8, s23
	s_delay_alu instid0(VALU_DEP_1) | instskip(NEXT) | instid1(VALU_DEP_1)
	v_sub_nc_u32_e32 v4, v4, v8
	v_cmp_lt_u32_e64 s0, s43, v4
	s_and_b32 s2, s0, exec_lo
.LBB1266_78:
	s_wait_alu 0xfffe
	s_or_b32 exec_lo, exec_lo, s3
	v_lshrrev_b32_e32 v4, 8, v5
	s_wait_alu 0xfffd
	v_cndmask_b32_e64 v8, 0, 1, vcc_lo
	v_lshrrev_b32_e32 v21, 16, v5
	v_cndmask_b32_e64 v22, 0, 1, s2
	v_and_b32_e32 v5, 0xff, v5
	v_lshlrev_b16 v4, 8, v4
	v_lshlrev_b16 v8, 8, v8
	v_and_b32_e32 v21, 0xff, v21
	v_lshlrev_b16 v3, 8, v3
	v_and_b32_e32 v7, 0xff, v7
	v_lshlrev_b16 v6, 8, v6
	v_or_b32_e32 v4, v5, v4
	v_or_b32_e32 v5, v21, v8
	s_delay_alu instid0(VALU_DEP_4) | instskip(NEXT) | instid1(VALU_DEP_4)
	v_or_b32_e32 v3, v7, v3
	v_or_b32_e32 v6, v22, v6
	s_delay_alu instid0(VALU_DEP_4) | instskip(NEXT) | instid1(VALU_DEP_4)
	v_and_b32_e32 v4, 0xffff, v4
	v_lshlrev_b32_e32 v5, 16, v5
	s_delay_alu instid0(VALU_DEP_4) | instskip(NEXT) | instid1(VALU_DEP_4)
	v_lshlrev_b32_e32 v3, 16, v3
	v_and_b32_e32 v6, 0xffff, v6
	s_delay_alu instid0(VALU_DEP_3) | instskip(NEXT) | instid1(VALU_DEP_2)
	v_or_b32_e32 v44, v4, v5
	v_or_b32_e32 v4, v6, v3
.LBB1266_79:
	s_or_b32 exec_lo, exec_lo, s1
	v_add_nc_u32_e32 v3, 8, v41
	s_delay_alu instid0(VALU_DEP_2)
	v_lshrrev_b32_e32 v5, 16, v4
	v_lshrrev_b32_e32 v6, 24, v4
	;; [unrolled: 1-line block ×4, first 2 shown]
	v_cmp_le_u32_e32 vcc_lo, s33, v3
	v_lshrrev_b32_e32 v7, 8, v2
                                        ; implicit-def: $vgpr2
                                        ; implicit-def: $vgpr3
	s_and_saveexec_b32 s0, vcc_lo
	s_delay_alu instid0(SALU_CYCLE_1)
	s_xor_b32 s0, exec_lo, s0
	s_cbranch_execz .LBB1266_81
; %bb.80:
	v_lshlrev_b16 v2, 8, v8
	v_and_b32_e32 v3, 0xff, v21
	v_lshlrev_b16 v7, 8, v7
	v_lshlrev_b16 v6, 8, v6
	v_perm_b32 v1, v1, v1, 0x3060504
                                        ; implicit-def: $vgpr8
                                        ; implicit-def: $vgpr21
	s_delay_alu instid0(VALU_DEP_4) | instskip(SKIP_2) | instid1(VALU_DEP_3)
	v_or_b32_e32 v2, v3, v2
	v_and_b32_e32 v3, 0xff, v5
	v_and_b32_e32 v5, 0xffff, v7
                                        ; implicit-def: $vgpr7
	v_lshlrev_b32_e32 v2, 16, v2
	s_delay_alu instid0(VALU_DEP_3) | instskip(NEXT) | instid1(VALU_DEP_2)
	v_or_b32_e32 v6, v3, v6
	v_or_b32_e32 v3, v5, v2
	s_delay_alu instid0(VALU_DEP_2)
	v_perm_b32 v2, v6, v4, 0x5040c00
                                        ; implicit-def: $vgpr4
                                        ; implicit-def: $vgpr5
                                        ; implicit-def: $vgpr6
.LBB1266_81:
	s_and_not1_saveexec_b32 s1, s0
	s_cbranch_execz .LBB1266_85
; %bb.82:
	v_add_nc_u32_e32 v2, s17, v11
	v_add_nc_u32_e32 v3, s19, v11
	s_mov_b32 s2, 0
	s_mov_b32 s3, exec_lo
	s_delay_alu instid0(VALU_DEP_2) | instskip(NEXT) | instid1(VALU_DEP_2)
	v_mul_lo_u32 v2, v2, s16
	v_mul_lo_u32 v3, v3, s18
	s_delay_alu instid0(VALU_DEP_1) | instskip(NEXT) | instid1(VALU_DEP_1)
	v_sub_nc_u32_e32 v2, v2, v3
	v_cmp_lt_u32_e32 vcc_lo, s20, v2
	v_cmpx_ge_u32_e64 s20, v2
	s_cbranch_execz .LBB1266_84
; %bb.83:
	v_add_nc_u32_e32 v2, s22, v11
	v_add_nc_u32_e32 v3, s42, v11
	s_delay_alu instid0(VALU_DEP_2) | instskip(NEXT) | instid1(VALU_DEP_2)
	v_mul_lo_u32 v2, v2, s21
	v_mul_lo_u32 v3, v3, s23
	s_delay_alu instid0(VALU_DEP_1) | instskip(NEXT) | instid1(VALU_DEP_1)
	v_sub_nc_u32_e32 v2, v2, v3
	v_cmp_lt_u32_e64 s0, s43, v2
	s_and_b32 s2, s0, exec_lo
.LBB1266_84:
	s_wait_alu 0xfffe
	s_or_b32 exec_lo, exec_lo, s3
	v_cndmask_b32_e64 v2, 0, 1, s2
	s_wait_alu 0xfffd
	v_cndmask_b32_e64 v3, 0, 1, vcc_lo
	v_lshlrev_b16 v8, 8, v8
	v_and_b32_e32 v21, 0xff, v21
	v_lshlrev_b16 v7, 8, v7
	v_lshlrev_b16 v2, 8, v2
	v_and_b32_e32 v4, 0xff, v4
	v_lshlrev_b16 v6, 8, v6
	v_and_b32_e32 v5, 0xff, v5
	v_or_b32_e32 v8, v21, v8
	v_or_b32_e32 v3, v3, v7
	;; [unrolled: 1-line block ×3, first 2 shown]
	s_delay_alu instid0(VALU_DEP_4) | instskip(NEXT) | instid1(VALU_DEP_4)
	v_or_b32_e32 v4, v5, v6
	v_lshlrev_b32_e32 v5, 16, v8
	s_delay_alu instid0(VALU_DEP_4) | instskip(NEXT) | instid1(VALU_DEP_4)
	v_and_b32_e32 v3, 0xffff, v3
	v_and_b32_e32 v2, 0xffff, v2
	s_delay_alu instid0(VALU_DEP_4) | instskip(NEXT) | instid1(VALU_DEP_3)
	v_lshlrev_b32_e32 v4, 16, v4
	v_or_b32_e32 v3, v3, v5
	s_delay_alu instid0(VALU_DEP_2)
	v_or_b32_e32 v2, v2, v4
.LBB1266_85:
	s_or_b32 exec_lo, exec_lo, s1
	v_add_nc_u32_e32 v4, 9, v41
	s_delay_alu instid0(VALU_DEP_2)
	v_lshrrev_b32_e32 v6, 8, v2
	v_lshrrev_b32_e32 v21, 24, v3
	;; [unrolled: 1-line block ×3, first 2 shown]
	v_and_b32_e32 v7, 0xff, v2
	v_cmp_le_u32_e32 vcc_lo, s33, v4
                                        ; implicit-def: $vgpr4
                                        ; implicit-def: $vgpr5
	s_and_saveexec_b32 s0, vcc_lo
	s_delay_alu instid0(SALU_CYCLE_1)
	s_xor_b32 s0, exec_lo, s0
	s_cbranch_execz .LBB1266_87
; %bb.86:
	v_lshlrev_b16 v4, 8, v6
	v_lshlrev_b16 v5, 8, v21
	v_and_b32_e32 v6, 0xff, v8
	v_perm_b32 v1, v1, v1, 0x3060504
                                        ; implicit-def: $vgpr21
                                        ; implicit-def: $vgpr8
	s_delay_alu instid0(VALU_DEP_4) | instskip(NEXT) | instid1(VALU_DEP_3)
	v_or_b32_e32 v4, v7, v4
                                        ; implicit-def: $vgpr7
	v_or_b32_e32 v5, v6, v5
                                        ; implicit-def: $vgpr6
	s_delay_alu instid0(VALU_DEP_2) | instskip(NEXT) | instid1(VALU_DEP_2)
	v_and_b32_e32 v4, 0xffff, v4
	v_perm_b32 v5, v5, v3, 0x5040c00
                                        ; implicit-def: $vgpr3
	s_delay_alu instid0(VALU_DEP_2)
	v_and_or_b32 v4, 0xff000000, v2, v4
                                        ; implicit-def: $vgpr2
.LBB1266_87:
	s_and_not1_saveexec_b32 s1, s0
	s_cbranch_execz .LBB1266_91
; %bb.88:
	v_add_nc_u32_e32 v4, s17, v12
	v_add_nc_u32_e32 v5, s19, v12
	s_mov_b32 s2, 0
	s_mov_b32 s3, exec_lo
	s_delay_alu instid0(VALU_DEP_2) | instskip(NEXT) | instid1(VALU_DEP_2)
	v_mul_lo_u32 v4, v4, s16
	v_mul_lo_u32 v5, v5, s18
	s_delay_alu instid0(VALU_DEP_1) | instskip(NEXT) | instid1(VALU_DEP_1)
	v_sub_nc_u32_e32 v4, v4, v5
	v_cmp_lt_u32_e32 vcc_lo, s20, v4
	v_cmpx_ge_u32_e64 s20, v4
	s_cbranch_execz .LBB1266_90
; %bb.89:
	v_add_nc_u32_e32 v4, s22, v12
	v_add_nc_u32_e32 v5, s42, v12
	s_delay_alu instid0(VALU_DEP_2) | instskip(NEXT) | instid1(VALU_DEP_2)
	v_mul_lo_u32 v4, v4, s21
	v_mul_lo_u32 v5, v5, s23
	s_delay_alu instid0(VALU_DEP_1) | instskip(NEXT) | instid1(VALU_DEP_1)
	v_sub_nc_u32_e32 v4, v4, v5
	v_cmp_lt_u32_e64 s0, s43, v4
	s_and_b32 s2, s0, exec_lo
.LBB1266_90:
	s_wait_alu 0xfffe
	s_or_b32 exec_lo, exec_lo, s3
	s_wait_alu 0xfffd
	v_cndmask_b32_e64 v4, 0, 1, vcc_lo
	v_lshrrev_b32_e32 v2, 24, v2
	v_cndmask_b32_e64 v5, 0, 1, s2
	v_lshlrev_b16 v21, 8, v21
	v_and_b32_e32 v8, 0xff, v8
	v_lshlrev_b16 v4, 8, v4
	v_lshlrev_b16 v6, 8, v6
	v_and_b32_e32 v3, 0xff, v3
	v_lshlrev_b16 v2, 8, v2
	v_or_b32_e32 v8, v8, v21
	s_delay_alu instid0(VALU_DEP_4) | instskip(NEXT) | instid1(VALU_DEP_4)
	v_or_b32_e32 v6, v7, v6
	v_or_b32_e32 v3, v3, v4
	s_delay_alu instid0(VALU_DEP_4) | instskip(NEXT) | instid1(VALU_DEP_4)
	v_or_b32_e32 v2, v5, v2
	v_lshlrev_b32_e32 v4, 16, v8
	s_delay_alu instid0(VALU_DEP_4) | instskip(NEXT) | instid1(VALU_DEP_4)
	v_and_b32_e32 v6, 0xffff, v6
	v_and_b32_e32 v3, 0xffff, v3
	s_delay_alu instid0(VALU_DEP_4) | instskip(NEXT) | instid1(VALU_DEP_2)
	v_lshlrev_b32_e32 v2, 16, v2
	v_or_b32_e32 v5, v3, v4
	s_delay_alu instid0(VALU_DEP_2)
	v_or_b32_e32 v4, v6, v2
.LBB1266_91:
	s_or_b32 exec_lo, exec_lo, s1
	v_add_nc_u32_e32 v2, 10, v41
	s_delay_alu instid0(VALU_DEP_3) | instskip(SKIP_1) | instid1(VALU_DEP_3)
	v_and_b32_e32 v3, 0xff, v5
	v_lshrrev_b32_e32 v6, 8, v5
                                        ; implicit-def: $vgpr46
	v_cmp_le_u32_e32 vcc_lo, s33, v2
                                        ; implicit-def: $vgpr2
	s_and_saveexec_b32 s0, vcc_lo
	s_delay_alu instid0(SALU_CYCLE_1)
	s_xor_b32 s0, exec_lo, s0
	s_cbranch_execz .LBB1266_93
; %bb.92:
	v_lshlrev_b16 v2, 8, v6
	v_perm_b32 v1, v1, v1, 0x3060504
                                        ; implicit-def: $vgpr6
	s_delay_alu instid0(VALU_DEP_2) | instskip(SKIP_1) | instid1(VALU_DEP_2)
	v_or_b32_e32 v2, v3, v2
	v_and_b32_e32 v3, 0xff0000, v4
	v_and_b32_e32 v2, 0xffff, v2
	s_delay_alu instid0(VALU_DEP_2) | instskip(NEXT) | instid1(VALU_DEP_2)
	v_perm_b32 v46, v4, v3, 0x3020504
                                        ; implicit-def: $vgpr3
                                        ; implicit-def: $vgpr4
	v_and_or_b32 v2, 0xff000000, v5, v2
                                        ; implicit-def: $vgpr5
.LBB1266_93:
	s_and_not1_saveexec_b32 s1, s0
	s_cbranch_execz .LBB1266_97
; %bb.94:
	v_add_nc_u32_e32 v2, s17, v9
	v_add_nc_u32_e32 v7, s19, v9
	s_mov_b32 s2, 0
	s_mov_b32 s3, exec_lo
	s_delay_alu instid0(VALU_DEP_2) | instskip(NEXT) | instid1(VALU_DEP_2)
	v_mul_lo_u32 v2, v2, s16
	v_mul_lo_u32 v7, v7, s18
	s_delay_alu instid0(VALU_DEP_1) | instskip(NEXT) | instid1(VALU_DEP_1)
	v_sub_nc_u32_e32 v2, v2, v7
	v_cmp_lt_u32_e32 vcc_lo, s20, v2
	v_cmpx_ge_u32_e64 s20, v2
	s_cbranch_execz .LBB1266_96
; %bb.95:
	v_add_nc_u32_e32 v2, s22, v9
	v_add_nc_u32_e32 v7, s42, v9
	s_delay_alu instid0(VALU_DEP_2) | instskip(NEXT) | instid1(VALU_DEP_2)
	v_mul_lo_u32 v2, v2, s21
	v_mul_lo_u32 v7, v7, s23
	s_delay_alu instid0(VALU_DEP_1) | instskip(NEXT) | instid1(VALU_DEP_1)
	v_sub_nc_u32_e32 v2, v2, v7
	v_cmp_lt_u32_e64 s0, s43, v2
	s_and_b32 s2, s0, exec_lo
.LBB1266_96:
	s_wait_alu 0xfffe
	s_or_b32 exec_lo, exec_lo, s3
	v_lshrrev_b32_e32 v5, 24, v5
	v_cndmask_b32_e64 v7, 0, 1, s2
	v_lshrrev_b32_e32 v8, 8, v4
	v_lshrrev_b32_e32 v21, 16, v4
	s_wait_alu 0xfffd
	v_cndmask_b32_e64 v2, 0, 1, vcc_lo
	v_lshlrev_b16 v6, 8, v6
	v_lshlrev_b16 v5, 8, v5
	v_and_b32_e32 v4, 0xff, v4
	v_lshlrev_b16 v8, 8, v8
	v_lshlrev_b16 v7, 8, v7
	v_and_b32_e32 v21, 0xff, v21
	v_or_b32_e32 v3, v3, v6
	v_or_b32_e32 v2, v2, v5
	;; [unrolled: 1-line block ×3, first 2 shown]
	s_delay_alu instid0(VALU_DEP_4) | instskip(NEXT) | instid1(VALU_DEP_4)
	v_or_b32_e32 v5, v21, v7
	v_and_b32_e32 v3, 0xffff, v3
	s_delay_alu instid0(VALU_DEP_4) | instskip(NEXT) | instid1(VALU_DEP_4)
	v_lshlrev_b32_e32 v2, 16, v2
	v_and_b32_e32 v4, 0xffff, v4
	s_delay_alu instid0(VALU_DEP_4) | instskip(NEXT) | instid1(VALU_DEP_3)
	v_lshlrev_b32_e32 v5, 16, v5
	v_or_b32_e32 v2, v3, v2
	s_delay_alu instid0(VALU_DEP_2)
	v_or_b32_e32 v46, v4, v5
.LBB1266_97:
	s_or_b32 exec_lo, exec_lo, s1
	v_add_nc_u32_e32 v3, 11, v41
	v_mov_b32_e32 v45, 0
	s_mov_b32 s0, exec_lo
                                        ; implicit-def: $vgpr47
	s_delay_alu instid0(VALU_DEP_2)
	v_cmpx_le_u32_e64 s33, v3
	s_xor_b32 s0, exec_lo, s0
; %bb.98:
	v_and_b32_e32 v3, 0xff0000, v2
	v_perm_b32 v1, v1, v1, 0x3060504
	s_delay_alu instid0(VALU_DEP_2)
	v_perm_b32 v47, v2, v3, 0x3020504
                                        ; implicit-def: $vgpr2
; %bb.99:
	s_and_not1_saveexec_b32 s1, s0
	s_cbranch_execz .LBB1266_103
; %bb.100:
	v_add_nc_u32_e32 v3, s17, v10
	v_add_nc_u32_e32 v4, s19, v10
	s_mov_b32 s2, 0
	s_mov_b32 s3, exec_lo
	s_delay_alu instid0(VALU_DEP_2) | instskip(NEXT) | instid1(VALU_DEP_2)
	v_mul_lo_u32 v3, v3, s16
	v_mul_lo_u32 v4, v4, s18
	s_delay_alu instid0(VALU_DEP_1) | instskip(NEXT) | instid1(VALU_DEP_1)
	v_sub_nc_u32_e32 v3, v3, v4
	v_cmp_lt_u32_e32 vcc_lo, s20, v3
	v_cmpx_ge_u32_e64 s20, v3
	s_cbranch_execz .LBB1266_102
; %bb.101:
	v_add_nc_u32_e32 v3, s22, v10
	v_add_nc_u32_e32 v4, s42, v10
	s_delay_alu instid0(VALU_DEP_2) | instskip(NEXT) | instid1(VALU_DEP_2)
	v_mul_lo_u32 v3, v3, s21
	v_mul_lo_u32 v4, v4, s23
	s_delay_alu instid0(VALU_DEP_1) | instskip(NEXT) | instid1(VALU_DEP_1)
	v_sub_nc_u32_e32 v3, v3, v4
	v_cmp_lt_u32_e64 s0, s43, v3
	s_and_b32 s2, s0, exec_lo
.LBB1266_102:
	s_wait_alu 0xfffe
	s_or_b32 exec_lo, exec_lo, s3
	v_lshrrev_b32_e32 v3, 8, v2
	s_wait_alu 0xfffd
	v_cndmask_b32_e64 v4, 0, 1, vcc_lo
	v_lshrrev_b32_e32 v5, 16, v2
	v_and_b32_e32 v2, 0xff, v2
	v_cndmask_b32_e64 v45, 0, 1, s2
	v_lshlrev_b16 v3, 8, v3
	v_lshlrev_b16 v4, 8, v4
	v_and_b32_e32 v5, 0xff, v5
	s_delay_alu instid0(VALU_DEP_3) | instskip(NEXT) | instid1(VALU_DEP_2)
	v_or_b32_e32 v2, v2, v3
	v_or_b32_e32 v3, v5, v4
	s_delay_alu instid0(VALU_DEP_2) | instskip(NEXT) | instid1(VALU_DEP_2)
	v_and_b32_e32 v2, 0xffff, v2
	v_lshlrev_b32_e32 v3, 16, v3
	s_delay_alu instid0(VALU_DEP_1)
	v_or_b32_e32 v47, v2, v3
.LBB1266_103:
	s_or_b32 exec_lo, exec_lo, s1
	v_add_nc_u32_e32 v4, 12, v41
	v_lshrrev_b32_e32 v2, 8, v1
	v_lshrrev_b32_e32 v3, 16, v1
	v_lshrrev_b32_e32 v1, 24, v1
	s_mov_b32 s0, exec_lo
                                        ; implicit-def: $vgpr49
	v_cmpx_le_u32_e64 s33, v4
	s_xor_b32 s0, exec_lo, s0
	s_cbranch_execz .LBB1266_105
; %bb.104:
	v_lshlrev_b16 v1, 8, v1
	v_and_b32_e32 v3, 0xff, v3
	v_lshlrev_b16 v2, 8, v2
	s_delay_alu instid0(VALU_DEP_2) | instskip(NEXT) | instid1(VALU_DEP_2)
	v_or_b32_e32 v1, v3, v1
	v_and_b32_e32 v2, 0xffff, v2
                                        ; implicit-def: $vgpr3
	s_delay_alu instid0(VALU_DEP_2) | instskip(NEXT) | instid1(VALU_DEP_1)
	v_lshlrev_b32_e32 v1, 16, v1
	v_or_b32_e32 v49, v2, v1
                                        ; implicit-def: $vgpr1
                                        ; implicit-def: $vgpr2
.LBB1266_105:
	s_or_saveexec_b32 s1, s0
	v_mov_b32_e32 v48, 0
	s_xor_b32 exec_lo, exec_lo, s1
	s_cbranch_execz .LBB1266_109
; %bb.106:
	v_add_nc_u32_e32 v4, s17, v40
	v_add_nc_u32_e32 v5, s19, v40
	s_mov_b32 s2, 0
	s_mov_b32 s3, exec_lo
	s_delay_alu instid0(VALU_DEP_2) | instskip(NEXT) | instid1(VALU_DEP_2)
	v_mul_lo_u32 v4, v4, s16
	v_mul_lo_u32 v5, v5, s18
	s_delay_alu instid0(VALU_DEP_1) | instskip(NEXT) | instid1(VALU_DEP_1)
	v_sub_nc_u32_e32 v4, v4, v5
	v_cmp_lt_u32_e32 vcc_lo, s20, v4
	v_cmpx_ge_u32_e64 s20, v4
	s_cbranch_execz .LBB1266_108
; %bb.107:
	v_add_nc_u32_e32 v4, s22, v40
	v_add_nc_u32_e32 v5, s42, v40
	s_delay_alu instid0(VALU_DEP_2) | instskip(NEXT) | instid1(VALU_DEP_2)
	v_mul_lo_u32 v4, v4, s21
	v_mul_lo_u32 v5, v5, s23
	s_delay_alu instid0(VALU_DEP_1) | instskip(NEXT) | instid1(VALU_DEP_1)
	v_sub_nc_u32_e32 v4, v4, v5
	v_cmp_lt_u32_e64 s0, s43, v4
	s_and_b32 s2, s0, exec_lo
.LBB1266_108:
	s_wait_alu 0xfffe
	s_or_b32 exec_lo, exec_lo, s3
	s_wait_alu 0xfffd
	v_cndmask_b32_e64 v4, 0, 1, vcc_lo
	v_lshlrev_b16 v1, 8, v1
	v_and_b32_e32 v3, 0xff, v3
	v_lshlrev_b16 v2, 8, v2
	v_cndmask_b32_e64 v48, 0, 1, s2
	s_delay_alu instid0(VALU_DEP_3) | instskip(NEXT) | instid1(VALU_DEP_3)
	v_or_b32_e32 v1, v3, v1
	v_or_b32_e32 v2, v4, v2
	s_delay_alu instid0(VALU_DEP_2) | instskip(NEXT) | instid1(VALU_DEP_2)
	v_lshlrev_b32_e32 v1, 16, v1
	v_and_b32_e32 v2, 0xffff, v2
	s_delay_alu instid0(VALU_DEP_1)
	v_or_b32_e32 v49, v2, v1
.LBB1266_109:
	s_or_b32 exec_lo, exec_lo, s1
.LBB1266_110:
	v_and_b32_e32 v72, 0xff, v42
	s_delay_alu instid0(VALU_DEP_2)
	v_bfe_u32 v73, v49, 8, 8
	v_bfe_u32 v70, v42, 8, 8
	;; [unrolled: 1-line block ×4, first 2 shown]
	v_lshrrev_b32_e32 v55, 24, v49
	v_lshrrev_b32_e32 v54, 24, v42
	v_and_b32_e32 v68, 0xff, v43
	v_and_b32_e32 v66, 0xff, v44
	v_bfe_u32 v67, v43, 8, 8
	v_add3_u32 v1, v70, v72, v69
	v_add3_u32 v2, v71, v73, v55
	v_bfe_u32 v64, v44, 8, 8
	v_bfe_u32 v65, v43, 16, 8
	;; [unrolled: 1-line block ×3, first 2 shown]
	v_lshrrev_b32_e32 v53, 24, v43
	v_add3_u32 v1, v1, v54, v66
	v_add3_u32 v2, v2, v68, v67
	v_lshrrev_b32_e32 v52, 24, v44
	v_and_b32_e32 v63, 0xff, v46
	v_and_b32_e32 v61, 0xff, v47
	v_bfe_u32 v62, v46, 8, 8
	v_add3_u32 v1, v1, v64, v59
	v_add3_u32 v2, v2, v65, v53
	v_bfe_u32 v58, v47, 8, 8
	v_bfe_u32 v60, v46, 16, 8
	;; [unrolled: 1-line block ×3, first 2 shown]
	v_lshrrev_b32_e32 v51, 24, v46
	v_add3_u32 v1, v1, v52, v61
	v_add3_u32 v2, v2, v63, v62
	v_mbcnt_lo_u32_b32 v74, -1, 0
	v_lshrrev_b32_e32 v50, 24, v47
	v_and_b32_e32 v57, 0xff, v45
	v_and_b32_e32 v3, 0xff, v49
	;; [unrolled: 1-line block ×3, first 2 shown]
	v_add3_u32 v1, v1, v58, v56
	v_add3_u32 v2, v2, v60, v51
	v_and_b32_e32 v76, 15, v74
	v_and_b32_e32 v78, 16, v74
	v_lshrrev_b32_e32 v75, 5, v0
	v_add3_u32 v79, v1, v50, v3
	v_add3_u32 v80, v2, v57, v4
	v_cmp_eq_u32_e64 s1, 0, v76
	v_cmp_lt_u32_e64 s0, 1, v76
	v_cmp_lt_u32_e64 s2, 3, v76
	v_or_b32_e32 v77, 31, v0
	s_cmp_lg_u32 ttmp9, 0
	s_mov_b32 s3, -1
	v_cmp_lt_u32_e32 vcc_lo, 7, v76
	s_cbranch_scc0 .LBB1266_131
; %bb.111:
	v_mov_b32_dpp v2, v79 row_shr:1 row_mask:0xf bank_mask:0xf
	v_mov_b32_dpp v1, v80 row_shr:1 row_mask:0xf bank_mask:0xf
	s_mov_b32 s3, exec_lo
	s_delay_alu instid0(VALU_DEP_2) | instskip(NEXT) | instid1(VALU_DEP_2)
	v_add_nc_u32_e32 v2, v2, v79
	v_add_nc_u32_e32 v1, v1, v80
	s_delay_alu instid0(VALU_DEP_2) | instskip(NEXT) | instid1(VALU_DEP_2)
	v_cndmask_b32_e64 v2, v2, v79, s1
	v_cndmask_b32_e64 v1, v1, v80, s1
	s_delay_alu instid0(VALU_DEP_2) | instskip(NEXT) | instid1(VALU_DEP_2)
	v_mov_b32_dpp v4, v2 row_shr:2 row_mask:0xf bank_mask:0xf
	v_mov_b32_dpp v3, v1 row_shr:2 row_mask:0xf bank_mask:0xf
	s_delay_alu instid0(VALU_DEP_2) | instskip(NEXT) | instid1(VALU_DEP_1)
	v_add_nc_u32_e32 v4, v2, v4
	v_cndmask_b32_e64 v2, v2, v4, s0
	s_delay_alu instid0(VALU_DEP_1) | instskip(NEXT) | instid1(VALU_DEP_1)
	v_mov_b32_dpp v4, v2 row_shr:4 row_mask:0xf bank_mask:0xf
	v_add_nc_u32_e32 v4, v2, v4
	s_wait_alu 0xf1ff
	s_delay_alu instid0(VALU_DEP_1) | instskip(NEXT) | instid1(VALU_DEP_1)
	v_cndmask_b32_e64 v2, v2, v4, s2
	v_mov_b32_dpp v4, v2 row_shr:8 row_mask:0xf bank_mask:0xf
	s_delay_alu instid0(VALU_DEP_1) | instskip(SKIP_1) | instid1(VALU_DEP_1)
	v_add_nc_u32_e32 v4, v2, v4
	s_wait_alu 0xfffd
	v_dual_cndmask_b32 v2, v2, v4 :: v_dual_add_nc_u32 v3, v1, v3
	s_delay_alu instid0(VALU_DEP_1) | instskip(SKIP_2) | instid1(VALU_DEP_1)
	v_cndmask_b32_e64 v1, v1, v3, s0
	ds_swizzle_b32 v4, v2 offset:swizzle(BROADCAST,32,15)
	v_mov_b32_dpp v3, v1 row_shr:4 row_mask:0xf bank_mask:0xf
	v_add_nc_u32_e32 v3, v1, v3
	s_delay_alu instid0(VALU_DEP_1) | instskip(NEXT) | instid1(VALU_DEP_1)
	v_cndmask_b32_e64 v1, v1, v3, s2
	v_mov_b32_dpp v3, v1 row_shr:8 row_mask:0xf bank_mask:0xf
	s_wait_dscnt 0x0
	v_add_nc_u32_e32 v4, v2, v4
	s_delay_alu instid0(VALU_DEP_2) | instskip(NEXT) | instid1(VALU_DEP_1)
	v_add_nc_u32_e32 v3, v1, v3
	v_cndmask_b32_e32 v1, v1, v3, vcc_lo
	v_cmp_eq_u32_e32 vcc_lo, 0, v78
	ds_swizzle_b32 v3, v1 offset:swizzle(BROADCAST,32,15)
	s_wait_dscnt 0x0
	v_add_nc_u32_e32 v3, v1, v3
	v_cmpx_eq_u32_e64 v0, v77
; %bb.112:
	s_wait_alu 0xfffd
	s_delay_alu instid0(VALU_DEP_2)
	v_dual_cndmask_b32 v6, v3, v1 :: v_dual_lshlrev_b32 v7, 3, v75
	v_cndmask_b32_e32 v5, v4, v2, vcc_lo
	ds_store_b64 v7, v[5:6]
; %bb.113:
	s_wait_alu 0xfffe
	s_or_b32 exec_lo, exec_lo, s3
	s_delay_alu instid0(SALU_CYCLE_1)
	s_mov_b32 s3, exec_lo
	s_wait_loadcnt_dscnt 0x0
	s_barrier_signal -1
	s_barrier_wait -1
	global_inv scope:SCOPE_SE
	v_cmpx_gt_u32_e32 8, v0
	s_cbranch_execz .LBB1266_115
; %bb.114:
	v_lshlrev_b32_e32 v7, 3, v0
	v_and_b32_e32 v22, 7, v74
	ds_load_b64 v[5:6], v7
	v_cmp_eq_u32_e64 s2, 0, v22
	s_wait_dscnt 0x0
	v_mov_b32_dpp v8, v5 row_shr:1 row_mask:0xf bank_mask:0xf
	v_mov_b32_dpp v21, v6 row_shr:1 row_mask:0xf bank_mask:0xf
	s_delay_alu instid0(VALU_DEP_2) | instskip(NEXT) | instid1(VALU_DEP_2)
	v_add_nc_u32_e32 v8, v8, v5
	v_add_nc_u32_e32 v21, v21, v6
	s_wait_alu 0xf1ff
	s_delay_alu instid0(VALU_DEP_2) | instskip(NEXT) | instid1(VALU_DEP_2)
	v_cndmask_b32_e64 v5, v8, v5, s2
	v_cndmask_b32_e64 v6, v21, v6, s2
	v_cmp_lt_u32_e64 s2, 1, v22
	s_delay_alu instid0(VALU_DEP_3) | instskip(NEXT) | instid1(VALU_DEP_3)
	v_mov_b32_dpp v8, v5 row_shr:2 row_mask:0xf bank_mask:0xf
	v_mov_b32_dpp v21, v6 row_shr:2 row_mask:0xf bank_mask:0xf
	s_delay_alu instid0(VALU_DEP_2) | instskip(NEXT) | instid1(VALU_DEP_2)
	v_add_nc_u32_e32 v8, v5, v8
	v_add_nc_u32_e32 v21, v6, v21
	s_wait_alu 0xf1ff
	s_delay_alu instid0(VALU_DEP_2) | instskip(NEXT) | instid1(VALU_DEP_2)
	v_cndmask_b32_e64 v5, v5, v8, s2
	v_cndmask_b32_e64 v6, v6, v21, s2
	v_cmp_lt_u32_e64 s2, 3, v22
	s_delay_alu instid0(VALU_DEP_3) | instskip(NEXT) | instid1(VALU_DEP_3)
	v_mov_b32_dpp v8, v5 row_shr:4 row_mask:0xf bank_mask:0xf
	v_mov_b32_dpp v21, v6 row_shr:4 row_mask:0xf bank_mask:0xf
	s_wait_alu 0xf1ff
	s_delay_alu instid0(VALU_DEP_2) | instskip(NEXT) | instid1(VALU_DEP_2)
	v_cndmask_b32_e64 v8, 0, v8, s2
	v_cndmask_b32_e64 v21, 0, v21, s2
	s_delay_alu instid0(VALU_DEP_2) | instskip(NEXT) | instid1(VALU_DEP_2)
	v_add_nc_u32_e32 v5, v8, v5
	v_add_nc_u32_e32 v6, v21, v6
	ds_store_b64 v7, v[5:6]
.LBB1266_115:
	s_wait_alu 0xfffe
	s_or_b32 exec_lo, exec_lo, s3
	v_dual_cndmask_b32 v1, v3, v1 :: v_dual_cndmask_b32 v2, v4, v2
	s_mov_b32 s3, exec_lo
	v_cmp_gt_u32_e32 vcc_lo, 32, v0
	s_wait_loadcnt_dscnt 0x0
	s_barrier_signal -1
	s_barrier_wait -1
	global_inv scope:SCOPE_SE
                                        ; implicit-def: $vgpr21
	v_cmpx_lt_u32_e32 31, v0
	s_cbranch_execz .LBB1266_117
; %bb.116:
	v_lshl_add_u32 v3, v75, 3, -8
	ds_load_b64 v[21:22], v3
	s_wait_dscnt 0x0
	v_add_nc_u32_e32 v1, v22, v1
	v_add_nc_u32_e32 v2, v21, v2
.LBB1266_117:
	s_wait_alu 0xfffe
	s_or_b32 exec_lo, exec_lo, s3
	v_sub_co_u32 v3, s2, v74, 1
	s_delay_alu instid0(VALU_DEP_1) | instskip(SKIP_1) | instid1(VALU_DEP_1)
	v_cmp_gt_i32_e64 s3, 0, v3
	s_wait_alu 0xf1ff
	v_cndmask_b32_e64 v3, v3, v74, s3
	s_delay_alu instid0(VALU_DEP_1)
	v_lshlrev_b32_e32 v3, 2, v3
	ds_bpermute_b32 v81, v3, v2
	ds_bpermute_b32 v82, v3, v1
	s_and_saveexec_b32 s3, vcc_lo
	s_cbranch_execz .LBB1266_136
; %bb.118:
	v_mov_b32_e32 v4, 0
	ds_load_b64 v[1:2], v4 offset:56
	s_and_saveexec_b32 s6, s2
	s_cbranch_execz .LBB1266_120
; %bb.119:
	s_add_co_i32 s8, ttmp9, 32
	s_mov_b32 s9, 0
	s_wait_alu 0xfffe
	s_lshl_b64 s[8:9], s[8:9], 4
	s_wait_kmcnt 0x0
	s_wait_alu 0xfffe
	s_add_nc_u64 s[8:9], s[4:5], s[8:9]
	v_mov_b32_e32 v3, 1
	s_wait_alu 0xfffe
	v_dual_mov_b32 v5, s8 :: v_dual_mov_b32 v6, s9
	s_wait_dscnt 0x0
	;;#ASMSTART
	global_store_b128 v[5:6], v[1:4] off scope:SCOPE_DEV	
s_wait_storecnt 0x0
	;;#ASMEND
.LBB1266_120:
	s_wait_alu 0xfffe
	s_or_b32 exec_lo, exec_lo, s6
	v_xad_u32 v23, v74, -1, ttmp9
	s_mov_b32 s7, 0
	s_mov_b32 s6, exec_lo
	s_delay_alu instid0(VALU_DEP_1) | instskip(NEXT) | instid1(VALU_DEP_1)
	v_add_nc_u32_e32 v3, 32, v23
	v_lshlrev_b64_e32 v[3:4], 4, v[3:4]
	s_wait_kmcnt 0x0
	s_delay_alu instid0(VALU_DEP_1) | instskip(SKIP_1) | instid1(VALU_DEP_2)
	v_add_co_u32 v3, vcc_lo, s4, v3
	s_wait_alu 0xfffd
	v_add_co_ci_u32_e64 v4, null, s5, v4, vcc_lo
	;;#ASMSTART
	global_load_b128 v[5:8], v[3:4] off scope:SCOPE_DEV	
s_wait_loadcnt 0x0
	;;#ASMEND
	v_and_b32_e32 v8, 0xff, v7
	s_delay_alu instid0(VALU_DEP_1)
	v_cmpx_eq_u16_e32 0, v8
	s_cbranch_execz .LBB1266_123
.LBB1266_121:                           ; =>This Inner Loop Header: Depth=1
	;;#ASMSTART
	global_load_b128 v[5:8], v[3:4] off scope:SCOPE_DEV	
s_wait_loadcnt 0x0
	;;#ASMEND
	v_and_b32_e32 v8, 0xff, v7
	s_delay_alu instid0(VALU_DEP_1)
	v_cmp_ne_u16_e32 vcc_lo, 0, v8
	s_wait_alu 0xfffe
	s_or_b32 s7, vcc_lo, s7
	s_wait_alu 0xfffe
	s_and_not1_b32 exec_lo, exec_lo, s7
	s_cbranch_execnz .LBB1266_121
; %bb.122:
	s_or_b32 exec_lo, exec_lo, s7
.LBB1266_123:
	s_wait_alu 0xfffe
	s_or_b32 exec_lo, exec_lo, s6
	v_cmp_ne_u32_e32 vcc_lo, 31, v74
	v_lshlrev_b32_e64 v84, v74, -1
	v_add_nc_u32_e32 v86, 2, v74
	v_add_nc_u32_e32 v88, 4, v74
	v_add_nc_u32_e32 v90, 8, v74
	s_wait_alu 0xfffd
	v_add_co_ci_u32_e64 v3, null, 0, v74, vcc_lo
	v_lshl_or_b32 v91, v74, 2, 64
	v_add_nc_u32_e32 v92, 16, v74
	s_delay_alu instid0(VALU_DEP_3)
	v_lshlrev_b32_e32 v83, 2, v3
	v_and_b32_e32 v3, 0xff, v7
	ds_bpermute_b32 v4, v83, v6
	v_cmp_eq_u16_e32 vcc_lo, 2, v3
	s_wait_alu 0xfffd
	v_and_b32_e32 v8, vcc_lo, v84
	v_cmp_gt_u32_e32 vcc_lo, 30, v74
	s_delay_alu instid0(VALU_DEP_2) | instskip(SKIP_2) | instid1(VALU_DEP_2)
	v_or_b32_e32 v8, 0x80000000, v8
	s_wait_alu 0xfffd
	v_cndmask_b32_e64 v24, 0, 2, vcc_lo
	v_ctz_i32_b32_e32 v8, v8
	s_delay_alu instid0(VALU_DEP_2) | instskip(SKIP_2) | instid1(VALU_DEP_3)
	v_add_lshl_u32 v85, v24, v74, 2
	s_wait_dscnt 0x0
	v_add_nc_u32_e32 v4, v4, v6
	v_cmp_lt_u32_e32 vcc_lo, v74, v8
	s_wait_alu 0xfffd
	s_delay_alu instid0(VALU_DEP_2) | instskip(SKIP_3) | instid1(VALU_DEP_1)
	v_cndmask_b32_e32 v4, v6, v4, vcc_lo
	ds_bpermute_b32 v3, v83, v5
	s_wait_dscnt 0x0
	v_add_nc_u32_e32 v3, v3, v5
	v_cndmask_b32_e32 v3, v5, v3, vcc_lo
	ds_bpermute_b32 v5, v85, v4
	v_cmp_gt_u32_e32 vcc_lo, 28, v74
	ds_bpermute_b32 v6, v85, v3
	s_wait_alu 0xfffd
	v_cndmask_b32_e64 v24, 0, 4, vcc_lo
	v_cmp_gt_u32_e32 vcc_lo, v86, v8
	s_delay_alu instid0(VALU_DEP_2)
	v_add_lshl_u32 v87, v24, v74, 2
	s_wait_dscnt 0x1
	v_add_nc_u32_e32 v5, v4, v5
	s_wait_dscnt 0x0
	v_add_nc_u32_e32 v6, v3, v6
	s_wait_alu 0xfffd
	s_delay_alu instid0(VALU_DEP_1)
	v_dual_cndmask_b32 v4, v5, v4 :: v_dual_cndmask_b32 v3, v6, v3
	ds_bpermute_b32 v5, v87, v4
	v_cmp_gt_u32_e32 vcc_lo, 24, v74
	ds_bpermute_b32 v6, v87, v3
	s_wait_alu 0xfffd
	v_cndmask_b32_e64 v24, 0, 8, vcc_lo
	v_cmp_gt_u32_e32 vcc_lo, v88, v8
	s_delay_alu instid0(VALU_DEP_2)
	v_add_lshl_u32 v89, v24, v74, 2
	s_wait_dscnt 0x1
	v_dual_mov_b32 v24, 0 :: v_dual_add_nc_u32 v5, v4, v5
	s_wait_dscnt 0x0
	v_add_nc_u32_e32 v6, v3, v6
	s_wait_alu 0xfffd
	s_delay_alu instid0(VALU_DEP_1)
	v_dual_cndmask_b32 v4, v5, v4 :: v_dual_cndmask_b32 v3, v6, v3
	ds_bpermute_b32 v5, v89, v4
	v_cmp_gt_u32_e32 vcc_lo, v90, v8
	ds_bpermute_b32 v6, v89, v3
	s_wait_dscnt 0x1
	v_add_nc_u32_e32 v5, v4, v5
	s_wait_dscnt 0x0
	v_add_nc_u32_e32 v6, v3, v6
	s_wait_alu 0xfffd
	s_delay_alu instid0(VALU_DEP_1)
	v_dual_cndmask_b32 v4, v5, v4 :: v_dual_cndmask_b32 v3, v6, v3
	ds_bpermute_b32 v6, v91, v4
	v_cmp_le_u32_e32 vcc_lo, v92, v8
	ds_bpermute_b32 v5, v91, v3
	s_wait_dscnt 0x0
	s_wait_alu 0xfffd
	v_dual_cndmask_b32 v6, 0, v6 :: v_dual_cndmask_b32 v5, 0, v5
	s_delay_alu instid0(VALU_DEP_1) | instskip(NEXT) | instid1(VALU_DEP_2)
	v_add_nc_u32_e32 v6, v6, v4
	v_add_nc_u32_e32 v5, v5, v3
	s_branch .LBB1266_127
.LBB1266_124:                           ;   in Loop: Header=BB1266_127 Depth=1
	s_or_b32 exec_lo, exec_lo, s7
.LBB1266_125:                           ;   in Loop: Header=BB1266_127 Depth=1
	s_wait_alu 0xfffe
	s_or_b32 exec_lo, exec_lo, s6
	ds_bpermute_b32 v8, v83, v5
	ds_bpermute_b32 v25, v83, v6
	v_subrev_nc_u32_e32 v23, 32, v23
	s_mov_b32 s6, 0
	s_wait_dscnt 0x1
	v_add_nc_u32_e32 v8, v8, v5
	v_and_b32_e32 v26, 0xff, v7
	s_wait_dscnt 0x0
	v_add_nc_u32_e32 v25, v25, v6
	s_delay_alu instid0(VALU_DEP_2) | instskip(SKIP_2) | instid1(VALU_DEP_1)
	v_cmp_eq_u16_e32 vcc_lo, 2, v26
	s_wait_alu 0xfffd
	v_and_or_b32 v26, vcc_lo, v84, 0x80000000
	v_ctz_i32_b32_e32 v26, v26
	s_delay_alu instid0(VALU_DEP_1)
	v_cmp_lt_u32_e32 vcc_lo, v74, v26
	s_wait_alu 0xfffd
	v_dual_cndmask_b32 v6, v6, v25 :: v_dual_cndmask_b32 v5, v5, v8
	v_cmp_gt_u32_e32 vcc_lo, v86, v26
	ds_bpermute_b32 v25, v85, v6
	ds_bpermute_b32 v8, v85, v5
	s_wait_dscnt 0x1
	v_add_nc_u32_e32 v25, v6, v25
	s_wait_dscnt 0x0
	v_add_nc_u32_e32 v8, v5, v8
	s_wait_alu 0xfffd
	s_delay_alu instid0(VALU_DEP_1)
	v_dual_cndmask_b32 v6, v25, v6 :: v_dual_cndmask_b32 v5, v8, v5
	v_cmp_gt_u32_e32 vcc_lo, v88, v26
	ds_bpermute_b32 v25, v87, v6
	ds_bpermute_b32 v8, v87, v5
	s_wait_dscnt 0x1
	v_add_nc_u32_e32 v25, v6, v25
	s_wait_dscnt 0x0
	v_add_nc_u32_e32 v8, v5, v8
	s_wait_alu 0xfffd
	s_delay_alu instid0(VALU_DEP_1)
	;; [unrolled: 10-line block ×3, first 2 shown]
	v_dual_cndmask_b32 v6, v25, v6 :: v_dual_cndmask_b32 v5, v8, v5
	v_cmp_le_u32_e32 vcc_lo, v92, v26
	ds_bpermute_b32 v25, v91, v6
	ds_bpermute_b32 v8, v91, v5
	s_wait_dscnt 0x0
	s_wait_alu 0xfffd
	v_dual_cndmask_b32 v25, 0, v25 :: v_dual_cndmask_b32 v8, 0, v8
	s_delay_alu instid0(VALU_DEP_1) | instskip(NEXT) | instid1(VALU_DEP_2)
	v_add3_u32 v6, v6, v4, v25
	v_add3_u32 v5, v5, v3, v8
.LBB1266_126:                           ;   in Loop: Header=BB1266_127 Depth=1
	s_wait_alu 0xfffe
	s_and_b32 vcc_lo, exec_lo, s6
	s_wait_alu 0xfffe
	s_cbranch_vccnz .LBB1266_132
.LBB1266_127:                           ; =>This Loop Header: Depth=1
                                        ;     Child Loop BB1266_130 Depth 2
	v_and_b32_e32 v3, 0xff, v7
	s_mov_b32 s6, -1
                                        ; implicit-def: $vgpr7
	s_delay_alu instid0(VALU_DEP_1)
	v_cmp_ne_u16_e32 vcc_lo, 2, v3
	v_dual_mov_b32 v3, v5 :: v_dual_mov_b32 v4, v6
                                        ; implicit-def: $vgpr5_vgpr6
	s_cmp_lg_u32 vcc_lo, exec_lo
	s_cbranch_scc1 .LBB1266_126
; %bb.128:                              ;   in Loop: Header=BB1266_127 Depth=1
	v_lshlrev_b64_e32 v[5:6], 4, v[23:24]
	s_mov_b32 s6, exec_lo
	s_delay_alu instid0(VALU_DEP_1) | instskip(SKIP_1) | instid1(VALU_DEP_2)
	v_add_co_u32 v25, vcc_lo, s4, v5
	s_wait_alu 0xfffd
	v_add_co_ci_u32_e64 v26, null, s5, v6, vcc_lo
	;;#ASMSTART
	global_load_b128 v[5:8], v[25:26] off scope:SCOPE_DEV	
s_wait_loadcnt 0x0
	;;#ASMEND
	v_and_b32_e32 v8, 0xff, v7
	s_delay_alu instid0(VALU_DEP_1)
	v_cmpx_eq_u16_e32 0, v8
	s_cbranch_execz .LBB1266_125
; %bb.129:                              ;   in Loop: Header=BB1266_127 Depth=1
	s_mov_b32 s7, 0
.LBB1266_130:                           ;   Parent Loop BB1266_127 Depth=1
                                        ; =>  This Inner Loop Header: Depth=2
	;;#ASMSTART
	global_load_b128 v[5:8], v[25:26] off scope:SCOPE_DEV	
s_wait_loadcnt 0x0
	;;#ASMEND
	v_and_b32_e32 v8, 0xff, v7
	s_delay_alu instid0(VALU_DEP_1)
	v_cmp_ne_u16_e32 vcc_lo, 0, v8
	s_wait_alu 0xfffe
	s_or_b32 s7, vcc_lo, s7
	s_wait_alu 0xfffe
	s_and_not1_b32 exec_lo, exec_lo, s7
	s_cbranch_execnz .LBB1266_130
	s_branch .LBB1266_124
.LBB1266_131:
                                        ; implicit-def: $vgpr81
                                        ; implicit-def: $vgpr3
                                        ; implicit-def: $vgpr82
	s_wait_alu 0xfffe
	s_and_b32 vcc_lo, exec_lo, s3
	s_wait_alu 0xfffe
	s_cbranch_vccnz .LBB1266_137
	s_branch .LBB1266_146
.LBB1266_132:
	s_and_saveexec_b32 s6, s2
	s_cbranch_execnz .LBB1266_374
; %bb.133:
	s_wait_alu 0xfffe
	s_or_b32 exec_lo, exec_lo, s6
	s_and_saveexec_b32 s6, s2
	s_cbranch_execnz .LBB1266_375
.LBB1266_134:
	s_wait_alu 0xfffe
	s_or_b32 exec_lo, exec_lo, s6
	v_cmp_eq_u32_e32 vcc_lo, 0, v0
	s_and_b32 exec_lo, exec_lo, vcc_lo
.LBB1266_135:
	v_mov_b32_e32 v1, 0
	ds_store_b64 v1, v[3:4] offset:56
.LBB1266_136:
	s_wait_alu 0xfffe
	s_or_b32 exec_lo, exec_lo, s3
	s_wait_dscnt 0x0
	v_cndmask_b32_e64 v8, v82, v22, s2
	v_mov_b32_e32 v1, 0
	s_wait_loadcnt 0x0
	s_barrier_signal -1
	s_barrier_wait -1
	global_inv scope:SCOPE_SE
	ds_load_b64 v[5:6], v1 offset:56
	s_wait_loadcnt_dscnt 0x0
	s_barrier_signal -1
	s_barrier_wait -1
	global_inv scope:SCOPE_SE
	v_cndmask_b32_e64 v7, v81, v21, s2
	v_cmp_eq_u32_e32 vcc_lo, 0, v0
	v_add_nc_u32_e32 v8, v6, v8
	ds_load_b128 v[1:4], v1 offset:13312
	v_add_nc_u32_e32 v7, v5, v7
	s_wait_alu 0xfffd
	s_delay_alu instid0(VALU_DEP_1)
	v_dual_cndmask_b32 v81, v8, v6 :: v_dual_cndmask_b32 v82, v7, v5
	s_branch .LBB1266_146
.LBB1266_137:
	s_wait_dscnt 0x0
	v_mov_b32_dpp v2, v80 row_shr:1 row_mask:0xf bank_mask:0xf
	v_cmp_lt_u32_e32 vcc_lo, 3, v76
	v_mov_b32_dpp v1, v79 row_shr:1 row_mask:0xf bank_mask:0xf
	s_delay_alu instid0(VALU_DEP_3) | instskip(NEXT) | instid1(VALU_DEP_1)
	v_add_nc_u32_e32 v2, v2, v80
	v_cndmask_b32_e64 v2, v2, v80, s1
	s_delay_alu instid0(VALU_DEP_1) | instskip(NEXT) | instid1(VALU_DEP_1)
	v_mov_b32_dpp v4, v2 row_shr:2 row_mask:0xf bank_mask:0xf
	v_add_nc_u32_e32 v4, v2, v4
	s_delay_alu instid0(VALU_DEP_1) | instskip(NEXT) | instid1(VALU_DEP_1)
	v_cndmask_b32_e64 v2, v2, v4, s0
	v_mov_b32_dpp v4, v2 row_shr:4 row_mask:0xf bank_mask:0xf
	s_delay_alu instid0(VALU_DEP_1) | instskip(SKIP_1) | instid1(VALU_DEP_1)
	v_add_nc_u32_e32 v4, v2, v4
	s_wait_alu 0xfffd
	v_dual_cndmask_b32 v2, v2, v4 :: v_dual_add_nc_u32 v1, v1, v79
	s_delay_alu instid0(VALU_DEP_1) | instskip(SKIP_1) | instid1(VALU_DEP_2)
	v_cndmask_b32_e64 v1, v1, v79, s1
	s_mov_b32 s1, exec_lo
	v_mov_b32_dpp v4, v2 row_shr:8 row_mask:0xf bank_mask:0xf
	s_delay_alu instid0(VALU_DEP_2) | instskip(NEXT) | instid1(VALU_DEP_1)
	v_mov_b32_dpp v3, v1 row_shr:2 row_mask:0xf bank_mask:0xf
	v_add_nc_u32_e32 v3, v1, v3
	s_delay_alu instid0(VALU_DEP_1) | instskip(NEXT) | instid1(VALU_DEP_1)
	v_cndmask_b32_e64 v1, v1, v3, s0
	v_mov_b32_dpp v3, v1 row_shr:4 row_mask:0xf bank_mask:0xf
	s_delay_alu instid0(VALU_DEP_1) | instskip(NEXT) | instid1(VALU_DEP_1)
	v_add_nc_u32_e32 v3, v1, v3
	v_cndmask_b32_e32 v3, v1, v3, vcc_lo
	v_cmp_lt_u32_e32 vcc_lo, 7, v76
	s_delay_alu instid0(VALU_DEP_2) | instskip(NEXT) | instid1(VALU_DEP_1)
	v_mov_b32_dpp v1, v3 row_shr:8 row_mask:0xf bank_mask:0xf
	v_add_nc_u32_e32 v5, v3, v1
	v_add_nc_u32_e32 v1, v2, v4
	s_wait_alu 0xfffd
	s_delay_alu instid0(VALU_DEP_1) | instskip(NEXT) | instid1(VALU_DEP_3)
	v_cndmask_b32_e32 v1, v2, v1, vcc_lo
	v_cndmask_b32_e32 v2, v3, v5, vcc_lo
	v_cmp_eq_u32_e32 vcc_lo, 0, v78
	ds_swizzle_b32 v3, v1 offset:swizzle(BROADCAST,32,15)
	ds_swizzle_b32 v4, v2 offset:swizzle(BROADCAST,32,15)
	s_wait_dscnt 0x1
	v_add_nc_u32_e32 v3, v1, v3
	s_wait_dscnt 0x0
	v_add_nc_u32_e32 v4, v2, v4
	v_cmpx_eq_u32_e64 v0, v77
; %bb.138:
	s_wait_alu 0xfffd
	s_delay_alu instid0(VALU_DEP_2)
	v_dual_cndmask_b32 v5, v4, v2 :: v_dual_cndmask_b32 v6, v3, v1
	v_lshlrev_b32_e32 v7, 3, v75
	ds_store_b64 v7, v[5:6]
; %bb.139:
	s_wait_alu 0xfffe
	s_or_b32 exec_lo, exec_lo, s1
	s_delay_alu instid0(SALU_CYCLE_1)
	s_mov_b32 s1, exec_lo
	s_wait_loadcnt_dscnt 0x0
	s_barrier_signal -1
	s_barrier_wait -1
	global_inv scope:SCOPE_SE
	v_cmpx_gt_u32_e32 8, v0
	s_cbranch_execz .LBB1266_141
; %bb.140:
	v_lshlrev_b32_e32 v7, 3, v0
	v_and_b32_e32 v22, 7, v74
	ds_load_b64 v[5:6], v7
	v_cmp_eq_u32_e64 s0, 0, v22
	s_wait_dscnt 0x0
	v_mov_b32_dpp v8, v5 row_shr:1 row_mask:0xf bank_mask:0xf
	v_mov_b32_dpp v21, v6 row_shr:1 row_mask:0xf bank_mask:0xf
	s_delay_alu instid0(VALU_DEP_2) | instskip(NEXT) | instid1(VALU_DEP_2)
	v_add_nc_u32_e32 v8, v8, v5
	v_add_nc_u32_e32 v21, v21, v6
	s_wait_alu 0xf1ff
	s_delay_alu instid0(VALU_DEP_2) | instskip(NEXT) | instid1(VALU_DEP_2)
	v_cndmask_b32_e64 v5, v8, v5, s0
	v_cndmask_b32_e64 v6, v21, v6, s0
	v_cmp_lt_u32_e64 s0, 1, v22
	s_delay_alu instid0(VALU_DEP_3) | instskip(NEXT) | instid1(VALU_DEP_3)
	v_mov_b32_dpp v8, v5 row_shr:2 row_mask:0xf bank_mask:0xf
	v_mov_b32_dpp v21, v6 row_shr:2 row_mask:0xf bank_mask:0xf
	s_delay_alu instid0(VALU_DEP_2) | instskip(NEXT) | instid1(VALU_DEP_2)
	v_add_nc_u32_e32 v8, v5, v8
	v_add_nc_u32_e32 v21, v6, v21
	s_wait_alu 0xf1ff
	s_delay_alu instid0(VALU_DEP_2) | instskip(NEXT) | instid1(VALU_DEP_2)
	v_cndmask_b32_e64 v5, v5, v8, s0
	v_cndmask_b32_e64 v6, v6, v21, s0
	v_cmp_lt_u32_e64 s0, 3, v22
	s_delay_alu instid0(VALU_DEP_3) | instskip(NEXT) | instid1(VALU_DEP_3)
	v_mov_b32_dpp v8, v5 row_shr:4 row_mask:0xf bank_mask:0xf
	v_mov_b32_dpp v21, v6 row_shr:4 row_mask:0xf bank_mask:0xf
	s_wait_alu 0xf1ff
	s_delay_alu instid0(VALU_DEP_2) | instskip(NEXT) | instid1(VALU_DEP_2)
	v_cndmask_b32_e64 v8, 0, v8, s0
	v_cndmask_b32_e64 v21, 0, v21, s0
	s_delay_alu instid0(VALU_DEP_2) | instskip(NEXT) | instid1(VALU_DEP_2)
	v_add_nc_u32_e32 v5, v8, v5
	v_add_nc_u32_e32 v6, v21, v6
	ds_store_b64 v7, v[5:6]
.LBB1266_141:
	s_wait_alu 0xfffe
	s_or_b32 exec_lo, exec_lo, s1
	v_dual_mov_b32 v7, 0 :: v_dual_mov_b32 v6, 0
	v_mov_b32_e32 v5, 0
	s_mov_b32 s1, exec_lo
	s_wait_loadcnt_dscnt 0x0
	s_barrier_signal -1
	s_barrier_wait -1
	global_inv scope:SCOPE_SE
	v_cmpx_lt_u32_e32 31, v0
; %bb.142:
	v_lshl_add_u32 v5, v75, 3, -8
	ds_load_b64 v[5:6], v5
; %bb.143:
	s_wait_alu 0xfffe
	s_or_b32 exec_lo, exec_lo, s1
	v_sub_co_u32 v8, s0, v74, 1
	v_dual_cndmask_b32 v2, v4, v2 :: v_dual_cndmask_b32 v1, v3, v1
	v_cmp_eq_u32_e32 vcc_lo, 0, v0
	s_delay_alu instid0(VALU_DEP_3) | instskip(SKIP_1) | instid1(VALU_DEP_3)
	v_cmp_gt_i32_e64 s1, 0, v8
	s_wait_dscnt 0x0
	v_add_nc_u32_e32 v2, v5, v2
	v_add_nc_u32_e32 v1, v6, v1
	s_wait_alu 0xf1ff
	v_cndmask_b32_e64 v4, v8, v74, s1
	s_delay_alu instid0(VALU_DEP_1)
	v_lshlrev_b32_e32 v3, 2, v4
	ds_bpermute_b32 v8, v3, v2
	ds_bpermute_b32 v21, v3, v1
	ds_load_b64 v[1:2], v7 offset:56
	s_and_saveexec_b32 s1, vcc_lo
	s_cbranch_execz .LBB1266_145
; %bb.144:
	s_wait_kmcnt 0x0
	s_add_nc_u64 s[2:3], s[4:5], 0x200
	v_dual_mov_b32 v3, 2 :: v_dual_mov_b32 v4, 0
	s_wait_alu 0xfffe
	v_dual_mov_b32 v23, s3 :: v_dual_mov_b32 v22, s2
	s_wait_dscnt 0x0
	;;#ASMSTART
	global_store_b128 v[22:23], v[1:4] off scope:SCOPE_DEV	
s_wait_storecnt 0x0
	;;#ASMEND
.LBB1266_145:
	s_wait_alu 0xfffe
	s_or_b32 exec_lo, exec_lo, s1
	s_wait_dscnt 0x1
	v_cndmask_b32_e64 v3, v21, v6, s0
	v_cndmask_b32_e64 v5, v8, v5, s0
	v_mov_b32_e32 v4, 0
	s_wait_loadcnt_dscnt 0x0
	s_barrier_signal -1
	v_cndmask_b32_e64 v81, v3, 0, vcc_lo
	v_cndmask_b32_e64 v82, v5, 0, vcc_lo
	v_mov_b32_e32 v3, 0
	s_barrier_wait -1
	global_inv scope:SCOPE_SE
.LBB1266_146:
	v_lshrrev_b32_e32 v77, 8, v49
	s_delay_alu instid0(VALU_DEP_2)
	v_add_nc_u32_e32 v73, v81, v73
	s_wait_dscnt 0x0
	v_sub_nc_u32_e32 v81, v81, v4
	v_lshlrev_b32_e32 v84, 1, v1
	v_lshrrev_b32_e32 v75, 16, v49
	v_and_b32_e32 v77, 1, v77
	v_add_nc_u32_e32 v71, v73, v71
	v_add_nc_u32_e32 v81, v81, v1
	v_add3_u32 v87, v84, v2, v41
	v_and_b32_e32 v75, 1, v75
	v_cmp_eq_u32_e32 vcc_lo, 1, v77
	v_add_nc_u32_e32 v72, v82, v72
	v_sub_nc_u32_e32 v82, v82, v3
	v_sub_nc_u32_e32 v73, v73, v4
	v_lshrrev_b32_e32 v76, 8, v42
	v_lshrrev_b32_e32 v74, 16, v42
	v_and_b32_e32 v42, 1, v42
	v_add_nc_u32_e32 v41, v82, v81
	v_add_nc_u32_e32 v73, v73, v1
	v_and_b32_e32 v76, 1, v76
	s_wait_kmcnt 0x0
	v_add_co_u32 v5, s0, s28, v3
	v_sub_nc_u32_e32 v41, v87, v41
	s_wait_alu 0xf1ff
	v_add_co_ci_u32_e64 v6, null, s29, 0, s0
	v_sub_co_u32 v80, s0, s30, v1
	s_wait_alu 0xfffd
	v_cndmask_b32_e32 v41, v41, v81, vcc_lo
	v_cmp_eq_u32_e32 vcc_lo, 1, v75
	v_add_nc_u32_e32 v78, v71, v55
	v_sub_nc_u32_e32 v71, v71, v4
	s_wait_alu 0xf1ff
	v_sub_co_ci_u32_e64 v83, null, s31, 0, s0
	v_and_b32_e32 v55, 1, v55
	v_and_b32_e32 v74, 1, v74
	v_add_nc_u32_e32 v71, v71, v1
	v_add_nc_u32_e32 v70, v72, v70
	v_sub_nc_u32_e32 v72, v72, v3
	v_lshrrev_b32_e32 v26, 8, v43
	v_lshrrev_b32_e32 v25, 16, v43
	v_and_b32_e32 v43, 1, v43
	v_lshrrev_b32_e32 v23, 16, v44
	v_add_nc_u32_e32 v88, v73, v72
	v_and_b32_e32 v26, 1, v26
	v_lshrrev_b32_e32 v24, 8, v44
	v_and_b32_e32 v44, 1, v44
	v_lshrrev_b32_e32 v8, 16, v46
	v_sub_nc_u32_e32 v88, v87, v88
	v_lshrrev_b32_e32 v22, 8, v46
	v_and_b32_e32 v24, 1, v24
	v_lshrrev_b32_e32 v21, 8, v47
	v_and_b32_e32 v8, 1, v8
	v_add_nc_u32_e32 v88, 1, v88
	v_and_b32_e32 v22, 1, v22
	v_lshrrev_b32_e32 v7, 16, v47
	s_mov_b32 s41, 0
	s_wait_alu 0xfffd
	v_cndmask_b32_e32 v73, v88, v73, vcc_lo
	v_cmp_eq_u32_e32 vcc_lo, 1, v42
	v_add_nc_u32_e32 v68, v78, v68
	v_and_b32_e32 v7, 1, v7
	s_wait_alu 0xfffd
	v_cndmask_b32_e32 v81, v41, v82, vcc_lo
	v_cmp_eq_u32_e32 vcc_lo, 1, v76
	v_add_nc_u32_e32 v69, v70, v69
	v_sub_nc_u32_e32 v70, v70, v3
	v_sub_nc_u32_e32 v76, v78, v4
	s_wait_alu 0xfffd
	v_dual_cndmask_b32 v72, v73, v72 :: v_dual_add_nc_u32 v67, v68, v67
	v_add_co_u32 v41, vcc_lo, v80, v4
	v_add_nc_u32_e32 v75, v71, v70
	s_wait_alu 0xfffd
	v_add_co_ci_u32_e64 v42, null, 0, v83, vcc_lo
	v_cmp_eq_u32_e32 vcc_lo, 1, v55
	v_add_nc_u32_e32 v79, v69, v54
	v_sub_nc_u32_e32 v73, v87, v75
	v_sub_nc_u32_e32 v69, v69, v3
	v_sub_nc_u32_e32 v68, v68, v4
	v_lshlrev_b32_e32 v75, 2, v81
	v_lshlrev_b32_e32 v72, 2, v72
	v_add_nc_u32_e32 v73, 2, v73
	ds_store_b32 v75, v19
	ds_store_b32 v72, v20
	s_wait_alu 0xfffd
	v_dual_cndmask_b32 v55, v73, v71 :: v_dual_add_nc_u32 v68, v68, v1
	v_add_nc_u32_e32 v71, v76, v1
	v_cmp_eq_u32_e32 vcc_lo, 1, v74
	v_and_b32_e32 v54, 1, v54
	s_delay_alu instid0(VALU_DEP_3) | instskip(SKIP_4) | instid1(VALU_DEP_3)
	v_add_nc_u32_e32 v73, v69, v71
	s_wait_alu 0xfffd
	v_cndmask_b32_e32 v55, v55, v70, vcc_lo
	v_sub_nc_u32_e32 v70, v79, v3
	v_cmp_eq_u32_e32 vcc_lo, 1, v43
	v_lshlrev_b32_e32 v19, 2, v55
	s_delay_alu instid0(VALU_DEP_3)
	v_add_nc_u32_e32 v20, v70, v68
	v_sub_nc_u32_e32 v55, v87, v73
	ds_store_b32 v19, v17
	v_sub_nc_u32_e32 v20, v87, v20
	v_add_nc_u32_e32 v55, 3, v55
	v_and_b32_e32 v19, 1, v25
	s_wait_alu 0xfffd
	s_delay_alu instid0(VALU_DEP_2) | instskip(SKIP_2) | instid1(VALU_DEP_2)
	v_dual_cndmask_b32 v43, v55, v71 :: v_dual_add_nc_u32 v20, 4, v20
	v_cmp_eq_u32_e32 vcc_lo, 1, v26
	s_wait_alu 0xfffd
	v_cndmask_b32_e32 v20, v20, v68, vcc_lo
	v_cmp_eq_u32_e32 vcc_lo, 1, v54
	s_wait_alu 0xfffd
	v_cndmask_b32_e32 v26, v43, v69, vcc_lo
	v_cmp_eq_u32_e32 vcc_lo, 1, v44
	v_add_nc_u32_e32 v65, v67, v65
	v_sub_nc_u32_e32 v67, v67, v4
	s_delay_alu instid0(VALU_DEP_4)
	v_lshlrev_b32_e32 v17, 2, v26
	s_wait_alu 0xfffd
	v_cndmask_b32_e32 v20, v20, v70, vcc_lo
	v_cmp_eq_u32_e32 vcc_lo, 1, v19
	v_add_nc_u32_e32 v67, v67, v1
	v_add_nc_u32_e32 v66, v79, v66
	;; [unrolled: 1-line block ×3, first 2 shown]
	v_sub_nc_u32_e32 v26, v65, v4
	v_lshlrev_b32_e32 v20, 2, v20
	ds_store_b32 v17, v18
	ds_store_b32 v20, v15
	v_add_nc_u32_e32 v64, v66, v64
	v_sub_nc_u32_e32 v66, v66, v3
	v_add_nc_u32_e32 v26, v26, v1
	v_add_nc_u32_e32 v63, v85, v63
	v_and_b32_e32 v20, 1, v53
	s_delay_alu instid0(VALU_DEP_4) | instskip(NEXT) | instid1(VALU_DEP_1)
	v_add_nc_u32_e32 v55, v66, v67
	v_sub_nc_u32_e32 v43, v87, v55
	s_delay_alu instid0(VALU_DEP_1) | instskip(SKIP_2) | instid1(VALU_DEP_2)
	v_add_nc_u32_e32 v25, 5, v43
	v_sub_nc_u32_e32 v43, v85, v4
	s_wait_alu 0xfffd
	v_cndmask_b32_e32 v19, v25, v67, vcc_lo
	v_cmp_eq_u32_e32 vcc_lo, 1, v24
	s_delay_alu instid0(VALU_DEP_3) | instskip(SKIP_1) | instid1(VALU_DEP_3)
	v_add_nc_u32_e32 v43, v43, v1
	s_wait_alu 0xfffd
	v_cndmask_b32_e32 v19, v19, v66, vcc_lo
	v_add_nc_u32_e32 v59, v64, v59
	v_sub_nc_u32_e32 v25, v64, v3
	v_cmp_eq_u32_e32 vcc_lo, 1, v20
	v_and_b32_e32 v20, 1, v52
	v_lshlrev_b32_e32 v15, 2, v19
	v_sub_nc_u32_e32 v24, v59, v3
	v_add_nc_u32_e32 v44, v25, v26
	v_add_nc_u32_e32 v86, v59, v52
	v_and_b32_e32 v19, 1, v23
	v_sub_nc_u32_e32 v23, v63, v4
	v_add_nc_u32_e32 v17, v24, v43
	v_sub_nc_u32_e32 v18, v87, v44
	v_and_b32_e32 v44, 1, v46
	v_sub_nc_u32_e32 v46, v86, v3
	v_add_nc_u32_e32 v23, v23, v1
	v_sub_nc_u32_e32 v17, v87, v17
	v_add_nc_u32_e32 v18, 6, v18
	v_add_nc_u32_e32 v61, v86, v61
	s_wait_alu 0xfffd
	s_delay_alu instid0(VALU_DEP_2)
	v_dual_cndmask_b32 v18, v18, v26 :: v_dual_add_nc_u32 v17, 7, v17
	v_cmp_eq_u32_e32 vcc_lo, 1, v44
	v_add_nc_u32_e32 v26, v46, v23
	v_add_nc_u32_e32 v58, v61, v58
	s_wait_alu 0xfffd
	v_cndmask_b32_e32 v17, v17, v43, vcc_lo
	v_cmp_eq_u32_e32 vcc_lo, 1, v19
	v_sub_nc_u32_e32 v19, v87, v26
	s_wait_alu 0xfffd
	v_cndmask_b32_e32 v18, v18, v25, vcc_lo
	v_cmp_eq_u32_e32 vcc_lo, 1, v20
	v_add_nc_u32_e32 v62, v63, v62
	v_add_nc_u32_e32 v19, 8, v19
	v_sub_nc_u32_e32 v25, v61, v3
	s_wait_alu 0xfffd
	v_dual_cndmask_b32 v17, v17, v24 :: v_dual_lshlrev_b32 v18, 2, v18
	v_sub_nc_u32_e32 v20, v62, v4
	v_and_b32_e32 v24, 1, v47
	v_cmp_eq_u32_e32 vcc_lo, 1, v22
	s_delay_alu instid0(VALU_DEP_4) | instskip(NEXT) | instid1(VALU_DEP_4)
	v_lshlrev_b32_e32 v17, 2, v17
	v_add_nc_u32_e32 v20, v20, v1
	ds_store_b32 v15, v16
	ds_store_b32 v18, v13
	;; [unrolled: 1-line block ×3, first 2 shown]
	s_wait_alu 0xfffd
	v_cndmask_b32_e32 v19, v19, v23, vcc_lo
	v_cmp_eq_u32_e32 vcc_lo, 1, v24
	v_add_nc_u32_e32 v60, v62, v60
	v_add_nc_u32_e32 v22, v25, v20
	v_sub_nc_u32_e32 v17, v58, v3
	v_and_b32_e32 v15, 1, v21
	s_wait_alu 0xfffd
	v_cndmask_b32_e32 v19, v19, v46, vcc_lo
	v_sub_nc_u32_e32 v16, v60, v4
	v_sub_nc_u32_e32 v13, v87, v22
	v_cmp_eq_u32_e32 vcc_lo, 1, v8
	v_add_nc_u32_e32 v89, v60, v51
	v_lshlrev_b32_e32 v14, 2, v19
	v_add_nc_u32_e32 v16, v16, v1
	v_add_nc_u32_e32 v13, 9, v13
	s_delay_alu instid0(VALU_DEP_4)
	v_sub_nc_u32_e32 v18, v89, v4
	ds_store_b32 v14, v11
	v_add_nc_u32_e32 v19, v17, v16
	s_wait_alu 0xfffd
	v_cndmask_b32_e32 v8, v13, v20, vcc_lo
	v_cmp_eq_u32_e32 vcc_lo, 1, v15
	v_and_b32_e32 v15, 1, v51
	v_and_b32_e32 v20, 1, v45
	v_sub_nc_u32_e32 v14, v87, v19
	v_add_nc_u32_e32 v18, v18, v1
	s_wait_alu 0xfffd
	v_cndmask_b32_e32 v8, v8, v25, vcc_lo
	v_cmp_eq_u32_e32 vcc_lo, 1, v15
	v_add_nc_u32_e32 v57, v89, v57
	v_add_nc_u32_e32 v14, 10, v14
	v_and_b32_e32 v15, 1, v50
	v_lshlrev_b32_e32 v8, 2, v8
	s_delay_alu instid0(VALU_DEP_4)
	v_sub_nc_u32_e32 v19, v57, v4
	s_wait_alu 0xfffd
	v_cndmask_b32_e32 v14, v14, v16, vcc_lo
	v_cmp_eq_u32_e32 vcc_lo, 1, v20
	v_add_nc_u32_e32 v56, v58, v56
	v_add_nc_u32_e32 v19, v19, v1
	s_delay_alu instid0(VALU_DEP_2) | instskip(NEXT) | instid1(VALU_DEP_1)
	v_sub_nc_u32_e32 v13, v56, v3
	v_add_nc_u32_e32 v11, v13, v18
	s_delay_alu instid0(VALU_DEP_1) | instskip(NEXT) | instid1(VALU_DEP_1)
	v_sub_nc_u32_e32 v11, v87, v11
	v_add_nc_u32_e32 v11, 11, v11
	s_wait_alu 0xfffd
	s_delay_alu instid0(VALU_DEP_1) | instskip(SKIP_2) | instid1(VALU_DEP_2)
	v_cndmask_b32_e32 v11, v11, v18, vcc_lo
	v_add_nc_u32_e32 v77, v56, v50
	v_cmp_eq_u32_e32 vcc_lo, 1, v7
	v_sub_nc_u32_e32 v3, v77, v3
	s_wait_alu 0xfffd
	v_cndmask_b32_e32 v7, v14, v17, vcc_lo
	v_cmp_eq_u32_e32 vcc_lo, 1, v15
	v_and_b32_e32 v15, 1, v49
	v_add_nc_u32_e32 v16, v3, v19
	s_delay_alu instid0(VALU_DEP_4) | instskip(SKIP_4) | instid1(VALU_DEP_3)
	v_lshlrev_b32_e32 v7, 2, v7
	s_wait_alu 0xfffd
	v_cndmask_b32_e32 v11, v11, v13, vcc_lo
	v_and_b32_e32 v13, 1, v48
	v_sub_nc_u32_e32 v14, v87, v16
	v_lshlrev_b32_e32 v11, 2, v11
	s_delay_alu instid0(VALU_DEP_3)
	v_cmp_eq_u32_e32 vcc_lo, 1, v13
	ds_store_b32 v8, v12
	ds_store_b32 v7, v9
	;; [unrolled: 1-line block ×3, first 2 shown]
	v_add_nc_u32_e32 v14, 12, v14
	v_add_co_u32 v7, s0, v2, v84
	s_wait_alu 0xf1ff
	v_add_co_ci_u32_e64 v8, null, 0, 0, s0
	s_wait_alu 0xfffd
	v_cndmask_b32_e32 v13, v14, v19, vcc_lo
	v_cmp_eq_u32_e32 vcc_lo, 1, v15
	s_wait_alu 0xfffe
	s_add_nc_u64 s[0:1], s[34:35], s[40:41]
	v_lshlrev_b64_e32 v[9:10], 2, v[5:6]
	v_add_nc_u32_e32 v12, v1, v2
	s_wait_alu 0xfffd
	v_cndmask_b32_e32 v3, v13, v3, vcc_lo
	v_add_co_u32 v7, vcc_lo, v7, v41
	s_wait_alu 0xfffd
	v_add_co_ci_u32_e64 v8, null, v8, v42, vcc_lo
	s_delay_alu instid0(VALU_DEP_3)
	v_lshlrev_b32_e32 v3, 2, v3
	ds_store_b32 v3, v40
	v_add_co_u32 v3, vcc_lo, v7, v5
	s_wait_alu 0xfffd
	v_add_co_ci_u32_e64 v7, null, v8, v6, vcc_lo
	s_wait_loadcnt_dscnt 0x0
	s_wait_alu 0xfffe
	v_sub_co_u32 v3, vcc_lo, s0, v3
	s_wait_alu 0xfffd
	v_sub_co_ci_u32_e64 v11, null, s1, v7, vcc_lo
	v_lshlrev_b64_e32 v[7:8], 2, v[41:42]
	v_add_co_u32 v9, s0, s36, v9
	s_wait_alu 0xf1ff
	v_add_co_ci_u32_e64 v10, null, s37, v10, s0
	s_mov_b32 s0, -1
	v_add_co_u32 v7, vcc_lo, s38, v7
	s_wait_alu 0xfffd
	v_add_co_ci_u32_e64 v8, null, s39, v8, vcc_lo
	v_cmp_ne_u32_e32 vcc_lo, 1, v39
	s_barrier_signal -1
	s_barrier_wait -1
	global_inv scope:SCOPE_SE
	s_cbranch_vccz .LBB1266_150
; %bb.147:
	s_wait_alu 0xfffe
	s_and_b32 vcc_lo, exec_lo, s0
	s_wait_alu 0xfffe
	s_cbranch_vccnz .LBB1266_255
.LBB1266_148:
	v_cmp_eq_u32_e32 vcc_lo, 0, v0
	s_and_b32 s0, vcc_lo, s15
	s_wait_alu 0xfffe
	s_and_saveexec_b32 s1, s0
	s_cbranch_execnz .LBB1266_373
.LBB1266_149:
	s_endpgm
.LBB1266_150:
	s_mov_b32 s0, exec_lo
	v_cmpx_ge_u32_e64 v0, v1
	s_wait_alu 0xfffe
	s_xor_b32 s0, exec_lo, s0
	s_cbranch_execz .LBB1266_156
; %bb.151:
	s_mov_b32 s1, exec_lo
	v_cmpx_ge_u32_e64 v0, v12
	s_wait_alu 0xfffe
	s_xor_b32 s1, exec_lo, s1
	s_cbranch_execz .LBB1266_153
; %bb.152:
	v_lshlrev_b32_e32 v13, 2, v0
	ds_load_b32 v15, v13
	v_add_co_u32 v13, vcc_lo, v3, v0
	s_wait_alu 0xfffd
	v_add_co_ci_u32_e64 v14, null, 0, v11, vcc_lo
	s_delay_alu instid0(VALU_DEP_1) | instskip(NEXT) | instid1(VALU_DEP_1)
	v_lshlrev_b64_e32 v[13:14], 2, v[13:14]
	v_sub_co_u32 v13, vcc_lo, s26, v13
	s_wait_alu 0xfffd
	s_delay_alu instid0(VALU_DEP_2)
	v_sub_co_ci_u32_e64 v14, null, s27, v14, vcc_lo
	s_wait_dscnt 0x0
	global_store_b32 v[13:14], v15, off offset:-4
.LBB1266_153:
	s_wait_alu 0xfffe
	s_and_not1_saveexec_b32 s1, s1
	s_cbranch_execz .LBB1266_155
; %bb.154:
	v_lshlrev_b32_e32 v13, 2, v0
	v_readfirstlane_b32 s2, v7
	v_readfirstlane_b32 s3, v8
	ds_load_b32 v14, v13
	s_wait_dscnt 0x0
	global_store_b32 v13, v14, s[2:3]
.LBB1266_155:
	s_wait_alu 0xfffe
	s_or_b32 exec_lo, exec_lo, s1
.LBB1266_156:
	s_wait_alu 0xfffe
	s_and_not1_saveexec_b32 s0, s0
	s_cbranch_execz .LBB1266_158
; %bb.157:
	v_lshlrev_b32_e32 v13, 2, v0
	v_readfirstlane_b32 s2, v9
	v_readfirstlane_b32 s3, v10
	ds_load_b32 v14, v13
	s_wait_dscnt 0x0
	global_store_b32 v13, v14, s[2:3]
.LBB1266_158:
	s_wait_alu 0xfffe
	s_or_b32 exec_lo, exec_lo, s0
	s_delay_alu instid0(SALU_CYCLE_1)
	s_mov_b32 s0, exec_lo
	v_cmpx_ge_u32_e64 v38, v1
	s_wait_alu 0xfffe
	s_xor_b32 s0, exec_lo, s0
	s_cbranch_execz .LBB1266_164
; %bb.159:
	s_mov_b32 s1, exec_lo
	v_cmpx_ge_u32_e64 v38, v12
	s_wait_alu 0xfffe
	s_xor_b32 s1, exec_lo, s1
	s_cbranch_execz .LBB1266_161
; %bb.160:
	v_lshlrev_b32_e32 v13, 2, v0
	ds_load_b32 v15, v13 offset:1024
	v_add_co_u32 v13, vcc_lo, v3, v0
	s_wait_alu 0xfffd
	v_add_co_ci_u32_e64 v14, null, 0, v11, vcc_lo
	s_delay_alu instid0(VALU_DEP_1) | instskip(NEXT) | instid1(VALU_DEP_1)
	v_lshlrev_b64_e32 v[13:14], 2, v[13:14]
	v_sub_co_u32 v13, vcc_lo, s26, v13
	s_wait_alu 0xfffd
	s_delay_alu instid0(VALU_DEP_2)
	v_sub_co_ci_u32_e64 v14, null, s27, v14, vcc_lo
	s_wait_dscnt 0x0
	global_store_b32 v[13:14], v15, off offset:-1028
.LBB1266_161:
	s_wait_alu 0xfffe
	s_and_not1_saveexec_b32 s1, s1
	s_cbranch_execz .LBB1266_163
; %bb.162:
	v_lshlrev_b32_e32 v13, 2, v0
	v_readfirstlane_b32 s2, v7
	v_readfirstlane_b32 s3, v8
	ds_load_b32 v14, v13 offset:1024
	s_wait_dscnt 0x0
	global_store_b32 v13, v14, s[2:3] offset:1024
.LBB1266_163:
	s_wait_alu 0xfffe
	s_or_b32 exec_lo, exec_lo, s1
.LBB1266_164:
	s_wait_alu 0xfffe
	s_and_not1_saveexec_b32 s0, s0
	s_cbranch_execz .LBB1266_166
; %bb.165:
	v_lshlrev_b32_e32 v13, 2, v0
	v_readfirstlane_b32 s2, v9
	v_readfirstlane_b32 s3, v10
	ds_load_b32 v14, v13 offset:1024
	s_wait_dscnt 0x0
	global_store_b32 v13, v14, s[2:3] offset:1024
.LBB1266_166:
	s_wait_alu 0xfffe
	s_or_b32 exec_lo, exec_lo, s0
	s_delay_alu instid0(SALU_CYCLE_1)
	s_mov_b32 s0, exec_lo
	v_cmpx_ge_u32_e64 v37, v1
	s_wait_alu 0xfffe
	s_xor_b32 s0, exec_lo, s0
	s_cbranch_execz .LBB1266_172
; %bb.167:
	s_mov_b32 s1, exec_lo
	v_cmpx_ge_u32_e64 v37, v12
	s_wait_alu 0xfffe
	s_xor_b32 s1, exec_lo, s1
	s_cbranch_execz .LBB1266_169
; %bb.168:
	v_lshlrev_b32_e32 v13, 2, v0
	ds_load_b32 v15, v13 offset:2048
	v_add_co_u32 v13, vcc_lo, v3, v0
	s_wait_alu 0xfffd
	v_add_co_ci_u32_e64 v14, null, 0, v11, vcc_lo
	s_delay_alu instid0(VALU_DEP_1) | instskip(NEXT) | instid1(VALU_DEP_1)
	v_lshlrev_b64_e32 v[13:14], 2, v[13:14]
	v_sub_co_u32 v13, vcc_lo, s26, v13
	s_wait_alu 0xfffd
	s_delay_alu instid0(VALU_DEP_2)
	v_sub_co_ci_u32_e64 v14, null, s27, v14, vcc_lo
	s_wait_dscnt 0x0
	global_store_b32 v[13:14], v15, off offset:-2052
.LBB1266_169:
	s_wait_alu 0xfffe
	s_and_not1_saveexec_b32 s1, s1
	s_cbranch_execz .LBB1266_171
; %bb.170:
	v_lshlrev_b32_e32 v13, 2, v0
	v_readfirstlane_b32 s2, v7
	v_readfirstlane_b32 s3, v8
	ds_load_b32 v14, v13 offset:2048
	s_wait_dscnt 0x0
	global_store_b32 v13, v14, s[2:3] offset:2048
.LBB1266_171:
	s_wait_alu 0xfffe
	s_or_b32 exec_lo, exec_lo, s1
.LBB1266_172:
	s_wait_alu 0xfffe
	s_and_not1_saveexec_b32 s0, s0
	s_cbranch_execz .LBB1266_174
; %bb.173:
	v_lshlrev_b32_e32 v13, 2, v0
	v_readfirstlane_b32 s2, v9
	v_readfirstlane_b32 s3, v10
	ds_load_b32 v14, v13 offset:2048
	s_wait_dscnt 0x0
	global_store_b32 v13, v14, s[2:3] offset:2048
.LBB1266_174:
	;; [unrolled: 54-line block ×12, first 2 shown]
	s_wait_alu 0xfffe
	s_or_b32 exec_lo, exec_lo, s0
	s_branch .LBB1266_148
.LBB1266_255:
	s_mov_b32 s0, exec_lo
	v_cmpx_gt_u32_e64 s33, v0
	s_cbranch_execz .LBB1266_264
; %bb.256:
	s_mov_b32 s1, exec_lo
	v_cmpx_ge_u32_e64 v0, v1
	s_wait_alu 0xfffe
	s_xor_b32 s1, exec_lo, s1
	s_cbranch_execz .LBB1266_262
; %bb.257:
	s_mov_b32 s2, exec_lo
	v_cmpx_ge_u32_e64 v0, v12
	s_wait_alu 0xfffe
	s_xor_b32 s2, exec_lo, s2
	s_cbranch_execz .LBB1266_259
; %bb.258:
	v_lshlrev_b32_e32 v13, 2, v0
	ds_load_b32 v15, v13
	v_add_co_u32 v13, vcc_lo, v3, v0
	s_wait_alu 0xfffd
	v_add_co_ci_u32_e64 v14, null, 0, v11, vcc_lo
	s_delay_alu instid0(VALU_DEP_1) | instskip(NEXT) | instid1(VALU_DEP_1)
	v_lshlrev_b64_e32 v[13:14], 2, v[13:14]
	v_sub_co_u32 v13, vcc_lo, s26, v13
	s_wait_alu 0xfffd
	s_delay_alu instid0(VALU_DEP_2)
	v_sub_co_ci_u32_e64 v14, null, s27, v14, vcc_lo
	s_wait_dscnt 0x0
	global_store_b32 v[13:14], v15, off offset:-4
.LBB1266_259:
	s_wait_alu 0xfffe
	s_and_not1_saveexec_b32 s2, s2
	s_cbranch_execz .LBB1266_261
; %bb.260:
	v_lshlrev_b32_e32 v13, 2, v0
	v_readfirstlane_b32 s4, v7
	v_readfirstlane_b32 s5, v8
	ds_load_b32 v14, v13
	s_wait_dscnt 0x0
	global_store_b32 v13, v14, s[4:5]
.LBB1266_261:
	s_wait_alu 0xfffe
	s_or_b32 exec_lo, exec_lo, s2
.LBB1266_262:
	s_wait_alu 0xfffe
	s_and_not1_saveexec_b32 s1, s1
	s_cbranch_execz .LBB1266_264
; %bb.263:
	v_lshlrev_b32_e32 v13, 2, v0
	v_readfirstlane_b32 s2, v9
	v_readfirstlane_b32 s3, v10
	ds_load_b32 v14, v13
	s_wait_dscnt 0x0
	global_store_b32 v13, v14, s[2:3]
.LBB1266_264:
	s_wait_alu 0xfffe
	s_or_b32 exec_lo, exec_lo, s0
	s_delay_alu instid0(SALU_CYCLE_1)
	s_mov_b32 s0, exec_lo
	v_cmpx_gt_u32_e64 s33, v38
	s_cbranch_execz .LBB1266_273
; %bb.265:
	s_mov_b32 s1, exec_lo
	v_cmpx_ge_u32_e64 v38, v1
	s_wait_alu 0xfffe
	s_xor_b32 s1, exec_lo, s1
	s_cbranch_execz .LBB1266_271
; %bb.266:
	s_mov_b32 s2, exec_lo
	v_cmpx_ge_u32_e64 v38, v12
	s_wait_alu 0xfffe
	s_xor_b32 s2, exec_lo, s2
	s_cbranch_execz .LBB1266_268
; %bb.267:
	v_lshlrev_b32_e32 v13, 2, v0
	ds_load_b32 v15, v13 offset:1024
	v_add_co_u32 v13, vcc_lo, v3, v0
	s_wait_alu 0xfffd
	v_add_co_ci_u32_e64 v14, null, 0, v11, vcc_lo
	s_delay_alu instid0(VALU_DEP_1) | instskip(NEXT) | instid1(VALU_DEP_1)
	v_lshlrev_b64_e32 v[13:14], 2, v[13:14]
	v_sub_co_u32 v13, vcc_lo, s26, v13
	s_wait_alu 0xfffd
	s_delay_alu instid0(VALU_DEP_2)
	v_sub_co_ci_u32_e64 v14, null, s27, v14, vcc_lo
	s_wait_dscnt 0x0
	global_store_b32 v[13:14], v15, off offset:-1028
.LBB1266_268:
	s_wait_alu 0xfffe
	s_and_not1_saveexec_b32 s2, s2
	s_cbranch_execz .LBB1266_270
; %bb.269:
	v_lshlrev_b32_e32 v13, 2, v0
	v_readfirstlane_b32 s4, v7
	v_readfirstlane_b32 s5, v8
	ds_load_b32 v14, v13 offset:1024
	s_wait_dscnt 0x0
	global_store_b32 v13, v14, s[4:5] offset:1024
.LBB1266_270:
	s_wait_alu 0xfffe
	s_or_b32 exec_lo, exec_lo, s2
.LBB1266_271:
	s_wait_alu 0xfffe
	s_and_not1_saveexec_b32 s1, s1
	s_cbranch_execz .LBB1266_273
; %bb.272:
	v_lshlrev_b32_e32 v13, 2, v0
	v_readfirstlane_b32 s2, v9
	v_readfirstlane_b32 s3, v10
	ds_load_b32 v14, v13 offset:1024
	s_wait_dscnt 0x0
	global_store_b32 v13, v14, s[2:3] offset:1024
.LBB1266_273:
	s_wait_alu 0xfffe
	s_or_b32 exec_lo, exec_lo, s0
	s_delay_alu instid0(SALU_CYCLE_1)
	s_mov_b32 s0, exec_lo
	v_cmpx_gt_u32_e64 s33, v37
	s_cbranch_execz .LBB1266_282
; %bb.274:
	s_mov_b32 s1, exec_lo
	v_cmpx_ge_u32_e64 v37, v1
	s_wait_alu 0xfffe
	s_xor_b32 s1, exec_lo, s1
	s_cbranch_execz .LBB1266_280
; %bb.275:
	s_mov_b32 s2, exec_lo
	v_cmpx_ge_u32_e64 v37, v12
	s_wait_alu 0xfffe
	s_xor_b32 s2, exec_lo, s2
	s_cbranch_execz .LBB1266_277
; %bb.276:
	v_lshlrev_b32_e32 v13, 2, v0
	ds_load_b32 v15, v13 offset:2048
	v_add_co_u32 v13, vcc_lo, v3, v0
	s_wait_alu 0xfffd
	v_add_co_ci_u32_e64 v14, null, 0, v11, vcc_lo
	s_delay_alu instid0(VALU_DEP_1) | instskip(NEXT) | instid1(VALU_DEP_1)
	v_lshlrev_b64_e32 v[13:14], 2, v[13:14]
	v_sub_co_u32 v13, vcc_lo, s26, v13
	s_wait_alu 0xfffd
	s_delay_alu instid0(VALU_DEP_2)
	v_sub_co_ci_u32_e64 v14, null, s27, v14, vcc_lo
	s_wait_dscnt 0x0
	global_store_b32 v[13:14], v15, off offset:-2052
.LBB1266_277:
	s_wait_alu 0xfffe
	s_and_not1_saveexec_b32 s2, s2
	s_cbranch_execz .LBB1266_279
; %bb.278:
	v_lshlrev_b32_e32 v13, 2, v0
	v_readfirstlane_b32 s4, v7
	v_readfirstlane_b32 s5, v8
	ds_load_b32 v14, v13 offset:2048
	s_wait_dscnt 0x0
	global_store_b32 v13, v14, s[4:5] offset:2048
.LBB1266_279:
	s_wait_alu 0xfffe
	s_or_b32 exec_lo, exec_lo, s2
.LBB1266_280:
	s_wait_alu 0xfffe
	s_and_not1_saveexec_b32 s1, s1
	s_cbranch_execz .LBB1266_282
; %bb.281:
	v_lshlrev_b32_e32 v13, 2, v0
	v_readfirstlane_b32 s2, v9
	v_readfirstlane_b32 s3, v10
	ds_load_b32 v14, v13 offset:2048
	s_wait_dscnt 0x0
	global_store_b32 v13, v14, s[2:3] offset:2048
.LBB1266_282:
	;; [unrolled: 58-line block ×11, first 2 shown]
	s_wait_alu 0xfffe
	s_or_b32 exec_lo, exec_lo, s0
	s_delay_alu instid0(SALU_CYCLE_1)
	s_mov_b32 s0, exec_lo
	v_cmpx_gt_u32_e64 s33, v27
	s_cbranch_execz .LBB1266_372
; %bb.364:
	s_mov_b32 s1, exec_lo
	v_cmpx_ge_u32_e64 v27, v1
	s_wait_alu 0xfffe
	s_xor_b32 s1, exec_lo, s1
	s_cbranch_execz .LBB1266_370
; %bb.365:
	s_mov_b32 s2, exec_lo
	v_cmpx_ge_u32_e64 v27, v12
	s_wait_alu 0xfffe
	s_xor_b32 s2, exec_lo, s2
	s_cbranch_execz .LBB1266_367
; %bb.366:
	v_lshlrev_b32_e32 v7, 2, v0
	ds_load_b32 v9, v7 offset:12288
	v_add_co_u32 v7, vcc_lo, v3, v0
	s_wait_alu 0xfffd
	v_add_co_ci_u32_e64 v8, null, 0, v11, vcc_lo
	s_delay_alu instid0(VALU_DEP_1) | instskip(NEXT) | instid1(VALU_DEP_1)
	v_lshlrev_b64_e32 v[7:8], 2, v[7:8]
	v_sub_co_u32 v7, vcc_lo, s26, v7
	s_wait_alu 0xfffd
	s_delay_alu instid0(VALU_DEP_2)
	v_sub_co_ci_u32_e64 v8, null, s27, v8, vcc_lo
	s_wait_dscnt 0x0
	global_store_b32 v[7:8], v9, off offset:-12292
                                        ; implicit-def: $vgpr7_vgpr8
.LBB1266_367:
	s_wait_alu 0xfffe
	s_and_not1_saveexec_b32 s2, s2
	s_cbranch_execz .LBB1266_369
; %bb.368:
	v_lshlrev_b32_e32 v3, 2, v0
	v_readfirstlane_b32 s4, v7
	v_readfirstlane_b32 s5, v8
	ds_load_b32 v9, v3 offset:12288
	s_wait_dscnt 0x0
	global_store_b32 v3, v9, s[4:5] offset:12288
.LBB1266_369:
	s_wait_alu 0xfffe
	s_or_b32 exec_lo, exec_lo, s2
                                        ; implicit-def: $vgpr9_vgpr10
.LBB1266_370:
	s_wait_alu 0xfffe
	s_and_not1_saveexec_b32 s1, s1
	s_cbranch_execz .LBB1266_372
; %bb.371:
	v_lshlrev_b32_e32 v3, 2, v0
	v_readfirstlane_b32 s2, v9
	v_readfirstlane_b32 s3, v10
	ds_load_b32 v7, v3 offset:12288
	s_wait_dscnt 0x0
	global_store_b32 v3, v7, s[2:3] offset:12288
.LBB1266_372:
	s_wait_alu 0xfffe
	s_or_b32 exec_lo, exec_lo, s0
	v_cmp_eq_u32_e32 vcc_lo, 0, v0
	s_and_b32 s0, vcc_lo, s15
	s_wait_alu 0xfffe
	s_and_saveexec_b32 s1, s0
	s_cbranch_execz .LBB1266_149
.LBB1266_373:
	v_add_co_u32 v0, s0, s30, v2
	s_wait_alu 0xf1ff
	v_add_co_ci_u32_e64 v3, null, s31, 0, s0
	v_mov_b32_e32 v7, 0
	s_delay_alu instid0(VALU_DEP_3) | instskip(SKIP_1) | instid1(VALU_DEP_3)
	v_add_co_u32 v2, vcc_lo, v0, v4
	s_wait_alu 0xfffd
	v_add_co_ci_u32_e64 v3, null, 0, v3, vcc_lo
	v_add_co_u32 v0, vcc_lo, v5, v1
	s_wait_alu 0xfffd
	v_add_co_ci_u32_e64 v1, null, 0, v6, vcc_lo
	global_store_b128 v7, v[0:3], s[24:25]
	s_endpgm
.LBB1266_374:
	s_add_co_i32 s8, ttmp9, 32
	s_mov_b32 s9, 0
	v_dual_mov_b32 v7, 2 :: v_dual_add_nc_u32 v6, v4, v2
	s_wait_alu 0xfffe
	s_lshl_b64 s[8:9], s[8:9], 4
	v_dual_mov_b32 v8, 0 :: v_dual_add_nc_u32 v5, v3, v1
	s_wait_alu 0xfffe
	s_add_nc_u64 s[8:9], s[4:5], s[8:9]
	s_wait_alu 0xfffe
	v_dual_mov_b32 v24, s9 :: v_dual_mov_b32 v23, s8
	;;#ASMSTART
	global_store_b128 v[23:24], v[5:8] off scope:SCOPE_DEV	
s_wait_storecnt 0x0
	;;#ASMEND
	s_or_b32 exec_lo, exec_lo, s6
	s_and_saveexec_b32 s6, s2
	s_cbranch_execz .LBB1266_134
.LBB1266_375:
	v_mov_b32_e32 v5, 0
	ds_store_b128 v5, v[1:4] offset:13312
	s_wait_alu 0xfffe
	s_or_b32 exec_lo, exec_lo, s6
	v_cmp_eq_u32_e32 vcc_lo, 0, v0
	s_and_b32 exec_lo, exec_lo, vcc_lo
	s_cbranch_execnz .LBB1266_135
	s_branch .LBB1266_136
	.section	.rodata,"a",@progbits
	.p2align	6, 0x0
	.amdhsa_kernel _ZN7rocprim17ROCPRIM_400000_NS6detail17trampoline_kernelINS0_13select_configILj256ELj13ELNS0_17block_load_methodE3ELS4_3ELS4_3ELNS0_20block_scan_algorithmE0ELj4294967295EEENS1_25partition_config_selectorILNS1_17partition_subalgoE4EjNS0_10empty_typeEbEEZZNS1_14partition_implILS8_4ELb0ES6_15HIP_vector_typeIjLj2EENS0_17counting_iteratorIjlEEPS9_SG_NS0_5tupleIJPjSI_NS0_16reverse_iteratorISI_EEEEENSH_IJSG_SG_SG_EEES9_SI_JZNS1_25segmented_radix_sort_implINS0_14default_configELb1EPKfPfPKlPlN2at6native12_GLOBAL__N_18offset_tEEE10hipError_tPvRmT1_PNSt15iterator_traitsIS12_E10value_typeET2_T3_PNS13_IS18_E10value_typeET4_jRbjT5_S1E_jjP12ihipStream_tbEUljE_ZNSN_ISO_Lb1ESQ_SR_ST_SU_SY_EESZ_S10_S11_S12_S16_S17_S18_S1B_S1C_jS1D_jS1E_S1E_jjS1G_bEUljE0_EEESZ_S10_S11_S18_S1C_S1E_T6_T7_T9_mT8_S1G_bDpT10_ENKUlT_T0_E_clISt17integral_constantIbLb0EES1U_EEDaS1P_S1Q_EUlS1P_E_NS1_11comp_targetILNS1_3genE10ELNS1_11target_archE1200ELNS1_3gpuE4ELNS1_3repE0EEENS1_30default_config_static_selectorELNS0_4arch9wavefront6targetE0EEEvS12_
		.amdhsa_group_segment_fixed_size 13328
		.amdhsa_private_segment_fixed_size 0
		.amdhsa_kernarg_size 176
		.amdhsa_user_sgpr_count 2
		.amdhsa_user_sgpr_dispatch_ptr 0
		.amdhsa_user_sgpr_queue_ptr 0
		.amdhsa_user_sgpr_kernarg_segment_ptr 1
		.amdhsa_user_sgpr_dispatch_id 0
		.amdhsa_user_sgpr_private_segment_size 0
		.amdhsa_wavefront_size32 1
		.amdhsa_uses_dynamic_stack 0
		.amdhsa_enable_private_segment 0
		.amdhsa_system_sgpr_workgroup_id_x 1
		.amdhsa_system_sgpr_workgroup_id_y 0
		.amdhsa_system_sgpr_workgroup_id_z 0
		.amdhsa_system_sgpr_workgroup_info 0
		.amdhsa_system_vgpr_workitem_id 0
		.amdhsa_next_free_vgpr 93
		.amdhsa_next_free_sgpr 58
		.amdhsa_reserve_vcc 1
		.amdhsa_float_round_mode_32 0
		.amdhsa_float_round_mode_16_64 0
		.amdhsa_float_denorm_mode_32 3
		.amdhsa_float_denorm_mode_16_64 3
		.amdhsa_fp16_overflow 0
		.amdhsa_workgroup_processor_mode 1
		.amdhsa_memory_ordered 1
		.amdhsa_forward_progress 1
		.amdhsa_inst_pref_size 148
		.amdhsa_round_robin_scheduling 0
		.amdhsa_exception_fp_ieee_invalid_op 0
		.amdhsa_exception_fp_denorm_src 0
		.amdhsa_exception_fp_ieee_div_zero 0
		.amdhsa_exception_fp_ieee_overflow 0
		.amdhsa_exception_fp_ieee_underflow 0
		.amdhsa_exception_fp_ieee_inexact 0
		.amdhsa_exception_int_div_zero 0
	.end_amdhsa_kernel
	.section	.text._ZN7rocprim17ROCPRIM_400000_NS6detail17trampoline_kernelINS0_13select_configILj256ELj13ELNS0_17block_load_methodE3ELS4_3ELS4_3ELNS0_20block_scan_algorithmE0ELj4294967295EEENS1_25partition_config_selectorILNS1_17partition_subalgoE4EjNS0_10empty_typeEbEEZZNS1_14partition_implILS8_4ELb0ES6_15HIP_vector_typeIjLj2EENS0_17counting_iteratorIjlEEPS9_SG_NS0_5tupleIJPjSI_NS0_16reverse_iteratorISI_EEEEENSH_IJSG_SG_SG_EEES9_SI_JZNS1_25segmented_radix_sort_implINS0_14default_configELb1EPKfPfPKlPlN2at6native12_GLOBAL__N_18offset_tEEE10hipError_tPvRmT1_PNSt15iterator_traitsIS12_E10value_typeET2_T3_PNS13_IS18_E10value_typeET4_jRbjT5_S1E_jjP12ihipStream_tbEUljE_ZNSN_ISO_Lb1ESQ_SR_ST_SU_SY_EESZ_S10_S11_S12_S16_S17_S18_S1B_S1C_jS1D_jS1E_S1E_jjS1G_bEUljE0_EEESZ_S10_S11_S18_S1C_S1E_T6_T7_T9_mT8_S1G_bDpT10_ENKUlT_T0_E_clISt17integral_constantIbLb0EES1U_EEDaS1P_S1Q_EUlS1P_E_NS1_11comp_targetILNS1_3genE10ELNS1_11target_archE1200ELNS1_3gpuE4ELNS1_3repE0EEENS1_30default_config_static_selectorELNS0_4arch9wavefront6targetE0EEEvS12_,"axG",@progbits,_ZN7rocprim17ROCPRIM_400000_NS6detail17trampoline_kernelINS0_13select_configILj256ELj13ELNS0_17block_load_methodE3ELS4_3ELS4_3ELNS0_20block_scan_algorithmE0ELj4294967295EEENS1_25partition_config_selectorILNS1_17partition_subalgoE4EjNS0_10empty_typeEbEEZZNS1_14partition_implILS8_4ELb0ES6_15HIP_vector_typeIjLj2EENS0_17counting_iteratorIjlEEPS9_SG_NS0_5tupleIJPjSI_NS0_16reverse_iteratorISI_EEEEENSH_IJSG_SG_SG_EEES9_SI_JZNS1_25segmented_radix_sort_implINS0_14default_configELb1EPKfPfPKlPlN2at6native12_GLOBAL__N_18offset_tEEE10hipError_tPvRmT1_PNSt15iterator_traitsIS12_E10value_typeET2_T3_PNS13_IS18_E10value_typeET4_jRbjT5_S1E_jjP12ihipStream_tbEUljE_ZNSN_ISO_Lb1ESQ_SR_ST_SU_SY_EESZ_S10_S11_S12_S16_S17_S18_S1B_S1C_jS1D_jS1E_S1E_jjS1G_bEUljE0_EEESZ_S10_S11_S18_S1C_S1E_T6_T7_T9_mT8_S1G_bDpT10_ENKUlT_T0_E_clISt17integral_constantIbLb0EES1U_EEDaS1P_S1Q_EUlS1P_E_NS1_11comp_targetILNS1_3genE10ELNS1_11target_archE1200ELNS1_3gpuE4ELNS1_3repE0EEENS1_30default_config_static_selectorELNS0_4arch9wavefront6targetE0EEEvS12_,comdat
.Lfunc_end1266:
	.size	_ZN7rocprim17ROCPRIM_400000_NS6detail17trampoline_kernelINS0_13select_configILj256ELj13ELNS0_17block_load_methodE3ELS4_3ELS4_3ELNS0_20block_scan_algorithmE0ELj4294967295EEENS1_25partition_config_selectorILNS1_17partition_subalgoE4EjNS0_10empty_typeEbEEZZNS1_14partition_implILS8_4ELb0ES6_15HIP_vector_typeIjLj2EENS0_17counting_iteratorIjlEEPS9_SG_NS0_5tupleIJPjSI_NS0_16reverse_iteratorISI_EEEEENSH_IJSG_SG_SG_EEES9_SI_JZNS1_25segmented_radix_sort_implINS0_14default_configELb1EPKfPfPKlPlN2at6native12_GLOBAL__N_18offset_tEEE10hipError_tPvRmT1_PNSt15iterator_traitsIS12_E10value_typeET2_T3_PNS13_IS18_E10value_typeET4_jRbjT5_S1E_jjP12ihipStream_tbEUljE_ZNSN_ISO_Lb1ESQ_SR_ST_SU_SY_EESZ_S10_S11_S12_S16_S17_S18_S1B_S1C_jS1D_jS1E_S1E_jjS1G_bEUljE0_EEESZ_S10_S11_S18_S1C_S1E_T6_T7_T9_mT8_S1G_bDpT10_ENKUlT_T0_E_clISt17integral_constantIbLb0EES1U_EEDaS1P_S1Q_EUlS1P_E_NS1_11comp_targetILNS1_3genE10ELNS1_11target_archE1200ELNS1_3gpuE4ELNS1_3repE0EEENS1_30default_config_static_selectorELNS0_4arch9wavefront6targetE0EEEvS12_, .Lfunc_end1266-_ZN7rocprim17ROCPRIM_400000_NS6detail17trampoline_kernelINS0_13select_configILj256ELj13ELNS0_17block_load_methodE3ELS4_3ELS4_3ELNS0_20block_scan_algorithmE0ELj4294967295EEENS1_25partition_config_selectorILNS1_17partition_subalgoE4EjNS0_10empty_typeEbEEZZNS1_14partition_implILS8_4ELb0ES6_15HIP_vector_typeIjLj2EENS0_17counting_iteratorIjlEEPS9_SG_NS0_5tupleIJPjSI_NS0_16reverse_iteratorISI_EEEEENSH_IJSG_SG_SG_EEES9_SI_JZNS1_25segmented_radix_sort_implINS0_14default_configELb1EPKfPfPKlPlN2at6native12_GLOBAL__N_18offset_tEEE10hipError_tPvRmT1_PNSt15iterator_traitsIS12_E10value_typeET2_T3_PNS13_IS18_E10value_typeET4_jRbjT5_S1E_jjP12ihipStream_tbEUljE_ZNSN_ISO_Lb1ESQ_SR_ST_SU_SY_EESZ_S10_S11_S12_S16_S17_S18_S1B_S1C_jS1D_jS1E_S1E_jjS1G_bEUljE0_EEESZ_S10_S11_S18_S1C_S1E_T6_T7_T9_mT8_S1G_bDpT10_ENKUlT_T0_E_clISt17integral_constantIbLb0EES1U_EEDaS1P_S1Q_EUlS1P_E_NS1_11comp_targetILNS1_3genE10ELNS1_11target_archE1200ELNS1_3gpuE4ELNS1_3repE0EEENS1_30default_config_static_selectorELNS0_4arch9wavefront6targetE0EEEvS12_
                                        ; -- End function
	.set _ZN7rocprim17ROCPRIM_400000_NS6detail17trampoline_kernelINS0_13select_configILj256ELj13ELNS0_17block_load_methodE3ELS4_3ELS4_3ELNS0_20block_scan_algorithmE0ELj4294967295EEENS1_25partition_config_selectorILNS1_17partition_subalgoE4EjNS0_10empty_typeEbEEZZNS1_14partition_implILS8_4ELb0ES6_15HIP_vector_typeIjLj2EENS0_17counting_iteratorIjlEEPS9_SG_NS0_5tupleIJPjSI_NS0_16reverse_iteratorISI_EEEEENSH_IJSG_SG_SG_EEES9_SI_JZNS1_25segmented_radix_sort_implINS0_14default_configELb1EPKfPfPKlPlN2at6native12_GLOBAL__N_18offset_tEEE10hipError_tPvRmT1_PNSt15iterator_traitsIS12_E10value_typeET2_T3_PNS13_IS18_E10value_typeET4_jRbjT5_S1E_jjP12ihipStream_tbEUljE_ZNSN_ISO_Lb1ESQ_SR_ST_SU_SY_EESZ_S10_S11_S12_S16_S17_S18_S1B_S1C_jS1D_jS1E_S1E_jjS1G_bEUljE0_EEESZ_S10_S11_S18_S1C_S1E_T6_T7_T9_mT8_S1G_bDpT10_ENKUlT_T0_E_clISt17integral_constantIbLb0EES1U_EEDaS1P_S1Q_EUlS1P_E_NS1_11comp_targetILNS1_3genE10ELNS1_11target_archE1200ELNS1_3gpuE4ELNS1_3repE0EEENS1_30default_config_static_selectorELNS0_4arch9wavefront6targetE0EEEvS12_.num_vgpr, 93
	.set _ZN7rocprim17ROCPRIM_400000_NS6detail17trampoline_kernelINS0_13select_configILj256ELj13ELNS0_17block_load_methodE3ELS4_3ELS4_3ELNS0_20block_scan_algorithmE0ELj4294967295EEENS1_25partition_config_selectorILNS1_17partition_subalgoE4EjNS0_10empty_typeEbEEZZNS1_14partition_implILS8_4ELb0ES6_15HIP_vector_typeIjLj2EENS0_17counting_iteratorIjlEEPS9_SG_NS0_5tupleIJPjSI_NS0_16reverse_iteratorISI_EEEEENSH_IJSG_SG_SG_EEES9_SI_JZNS1_25segmented_radix_sort_implINS0_14default_configELb1EPKfPfPKlPlN2at6native12_GLOBAL__N_18offset_tEEE10hipError_tPvRmT1_PNSt15iterator_traitsIS12_E10value_typeET2_T3_PNS13_IS18_E10value_typeET4_jRbjT5_S1E_jjP12ihipStream_tbEUljE_ZNSN_ISO_Lb1ESQ_SR_ST_SU_SY_EESZ_S10_S11_S12_S16_S17_S18_S1B_S1C_jS1D_jS1E_S1E_jjS1G_bEUljE0_EEESZ_S10_S11_S18_S1C_S1E_T6_T7_T9_mT8_S1G_bDpT10_ENKUlT_T0_E_clISt17integral_constantIbLb0EES1U_EEDaS1P_S1Q_EUlS1P_E_NS1_11comp_targetILNS1_3genE10ELNS1_11target_archE1200ELNS1_3gpuE4ELNS1_3repE0EEENS1_30default_config_static_selectorELNS0_4arch9wavefront6targetE0EEEvS12_.num_agpr, 0
	.set _ZN7rocprim17ROCPRIM_400000_NS6detail17trampoline_kernelINS0_13select_configILj256ELj13ELNS0_17block_load_methodE3ELS4_3ELS4_3ELNS0_20block_scan_algorithmE0ELj4294967295EEENS1_25partition_config_selectorILNS1_17partition_subalgoE4EjNS0_10empty_typeEbEEZZNS1_14partition_implILS8_4ELb0ES6_15HIP_vector_typeIjLj2EENS0_17counting_iteratorIjlEEPS9_SG_NS0_5tupleIJPjSI_NS0_16reverse_iteratorISI_EEEEENSH_IJSG_SG_SG_EEES9_SI_JZNS1_25segmented_radix_sort_implINS0_14default_configELb1EPKfPfPKlPlN2at6native12_GLOBAL__N_18offset_tEEE10hipError_tPvRmT1_PNSt15iterator_traitsIS12_E10value_typeET2_T3_PNS13_IS18_E10value_typeET4_jRbjT5_S1E_jjP12ihipStream_tbEUljE_ZNSN_ISO_Lb1ESQ_SR_ST_SU_SY_EESZ_S10_S11_S12_S16_S17_S18_S1B_S1C_jS1D_jS1E_S1E_jjS1G_bEUljE0_EEESZ_S10_S11_S18_S1C_S1E_T6_T7_T9_mT8_S1G_bDpT10_ENKUlT_T0_E_clISt17integral_constantIbLb0EES1U_EEDaS1P_S1Q_EUlS1P_E_NS1_11comp_targetILNS1_3genE10ELNS1_11target_archE1200ELNS1_3gpuE4ELNS1_3repE0EEENS1_30default_config_static_selectorELNS0_4arch9wavefront6targetE0EEEvS12_.numbered_sgpr, 58
	.set _ZN7rocprim17ROCPRIM_400000_NS6detail17trampoline_kernelINS0_13select_configILj256ELj13ELNS0_17block_load_methodE3ELS4_3ELS4_3ELNS0_20block_scan_algorithmE0ELj4294967295EEENS1_25partition_config_selectorILNS1_17partition_subalgoE4EjNS0_10empty_typeEbEEZZNS1_14partition_implILS8_4ELb0ES6_15HIP_vector_typeIjLj2EENS0_17counting_iteratorIjlEEPS9_SG_NS0_5tupleIJPjSI_NS0_16reverse_iteratorISI_EEEEENSH_IJSG_SG_SG_EEES9_SI_JZNS1_25segmented_radix_sort_implINS0_14default_configELb1EPKfPfPKlPlN2at6native12_GLOBAL__N_18offset_tEEE10hipError_tPvRmT1_PNSt15iterator_traitsIS12_E10value_typeET2_T3_PNS13_IS18_E10value_typeET4_jRbjT5_S1E_jjP12ihipStream_tbEUljE_ZNSN_ISO_Lb1ESQ_SR_ST_SU_SY_EESZ_S10_S11_S12_S16_S17_S18_S1B_S1C_jS1D_jS1E_S1E_jjS1G_bEUljE0_EEESZ_S10_S11_S18_S1C_S1E_T6_T7_T9_mT8_S1G_bDpT10_ENKUlT_T0_E_clISt17integral_constantIbLb0EES1U_EEDaS1P_S1Q_EUlS1P_E_NS1_11comp_targetILNS1_3genE10ELNS1_11target_archE1200ELNS1_3gpuE4ELNS1_3repE0EEENS1_30default_config_static_selectorELNS0_4arch9wavefront6targetE0EEEvS12_.num_named_barrier, 0
	.set _ZN7rocprim17ROCPRIM_400000_NS6detail17trampoline_kernelINS0_13select_configILj256ELj13ELNS0_17block_load_methodE3ELS4_3ELS4_3ELNS0_20block_scan_algorithmE0ELj4294967295EEENS1_25partition_config_selectorILNS1_17partition_subalgoE4EjNS0_10empty_typeEbEEZZNS1_14partition_implILS8_4ELb0ES6_15HIP_vector_typeIjLj2EENS0_17counting_iteratorIjlEEPS9_SG_NS0_5tupleIJPjSI_NS0_16reverse_iteratorISI_EEEEENSH_IJSG_SG_SG_EEES9_SI_JZNS1_25segmented_radix_sort_implINS0_14default_configELb1EPKfPfPKlPlN2at6native12_GLOBAL__N_18offset_tEEE10hipError_tPvRmT1_PNSt15iterator_traitsIS12_E10value_typeET2_T3_PNS13_IS18_E10value_typeET4_jRbjT5_S1E_jjP12ihipStream_tbEUljE_ZNSN_ISO_Lb1ESQ_SR_ST_SU_SY_EESZ_S10_S11_S12_S16_S17_S18_S1B_S1C_jS1D_jS1E_S1E_jjS1G_bEUljE0_EEESZ_S10_S11_S18_S1C_S1E_T6_T7_T9_mT8_S1G_bDpT10_ENKUlT_T0_E_clISt17integral_constantIbLb0EES1U_EEDaS1P_S1Q_EUlS1P_E_NS1_11comp_targetILNS1_3genE10ELNS1_11target_archE1200ELNS1_3gpuE4ELNS1_3repE0EEENS1_30default_config_static_selectorELNS0_4arch9wavefront6targetE0EEEvS12_.private_seg_size, 0
	.set _ZN7rocprim17ROCPRIM_400000_NS6detail17trampoline_kernelINS0_13select_configILj256ELj13ELNS0_17block_load_methodE3ELS4_3ELS4_3ELNS0_20block_scan_algorithmE0ELj4294967295EEENS1_25partition_config_selectorILNS1_17partition_subalgoE4EjNS0_10empty_typeEbEEZZNS1_14partition_implILS8_4ELb0ES6_15HIP_vector_typeIjLj2EENS0_17counting_iteratorIjlEEPS9_SG_NS0_5tupleIJPjSI_NS0_16reverse_iteratorISI_EEEEENSH_IJSG_SG_SG_EEES9_SI_JZNS1_25segmented_radix_sort_implINS0_14default_configELb1EPKfPfPKlPlN2at6native12_GLOBAL__N_18offset_tEEE10hipError_tPvRmT1_PNSt15iterator_traitsIS12_E10value_typeET2_T3_PNS13_IS18_E10value_typeET4_jRbjT5_S1E_jjP12ihipStream_tbEUljE_ZNSN_ISO_Lb1ESQ_SR_ST_SU_SY_EESZ_S10_S11_S12_S16_S17_S18_S1B_S1C_jS1D_jS1E_S1E_jjS1G_bEUljE0_EEESZ_S10_S11_S18_S1C_S1E_T6_T7_T9_mT8_S1G_bDpT10_ENKUlT_T0_E_clISt17integral_constantIbLb0EES1U_EEDaS1P_S1Q_EUlS1P_E_NS1_11comp_targetILNS1_3genE10ELNS1_11target_archE1200ELNS1_3gpuE4ELNS1_3repE0EEENS1_30default_config_static_selectorELNS0_4arch9wavefront6targetE0EEEvS12_.uses_vcc, 1
	.set _ZN7rocprim17ROCPRIM_400000_NS6detail17trampoline_kernelINS0_13select_configILj256ELj13ELNS0_17block_load_methodE3ELS4_3ELS4_3ELNS0_20block_scan_algorithmE0ELj4294967295EEENS1_25partition_config_selectorILNS1_17partition_subalgoE4EjNS0_10empty_typeEbEEZZNS1_14partition_implILS8_4ELb0ES6_15HIP_vector_typeIjLj2EENS0_17counting_iteratorIjlEEPS9_SG_NS0_5tupleIJPjSI_NS0_16reverse_iteratorISI_EEEEENSH_IJSG_SG_SG_EEES9_SI_JZNS1_25segmented_radix_sort_implINS0_14default_configELb1EPKfPfPKlPlN2at6native12_GLOBAL__N_18offset_tEEE10hipError_tPvRmT1_PNSt15iterator_traitsIS12_E10value_typeET2_T3_PNS13_IS18_E10value_typeET4_jRbjT5_S1E_jjP12ihipStream_tbEUljE_ZNSN_ISO_Lb1ESQ_SR_ST_SU_SY_EESZ_S10_S11_S12_S16_S17_S18_S1B_S1C_jS1D_jS1E_S1E_jjS1G_bEUljE0_EEESZ_S10_S11_S18_S1C_S1E_T6_T7_T9_mT8_S1G_bDpT10_ENKUlT_T0_E_clISt17integral_constantIbLb0EES1U_EEDaS1P_S1Q_EUlS1P_E_NS1_11comp_targetILNS1_3genE10ELNS1_11target_archE1200ELNS1_3gpuE4ELNS1_3repE0EEENS1_30default_config_static_selectorELNS0_4arch9wavefront6targetE0EEEvS12_.uses_flat_scratch, 0
	.set _ZN7rocprim17ROCPRIM_400000_NS6detail17trampoline_kernelINS0_13select_configILj256ELj13ELNS0_17block_load_methodE3ELS4_3ELS4_3ELNS0_20block_scan_algorithmE0ELj4294967295EEENS1_25partition_config_selectorILNS1_17partition_subalgoE4EjNS0_10empty_typeEbEEZZNS1_14partition_implILS8_4ELb0ES6_15HIP_vector_typeIjLj2EENS0_17counting_iteratorIjlEEPS9_SG_NS0_5tupleIJPjSI_NS0_16reverse_iteratorISI_EEEEENSH_IJSG_SG_SG_EEES9_SI_JZNS1_25segmented_radix_sort_implINS0_14default_configELb1EPKfPfPKlPlN2at6native12_GLOBAL__N_18offset_tEEE10hipError_tPvRmT1_PNSt15iterator_traitsIS12_E10value_typeET2_T3_PNS13_IS18_E10value_typeET4_jRbjT5_S1E_jjP12ihipStream_tbEUljE_ZNSN_ISO_Lb1ESQ_SR_ST_SU_SY_EESZ_S10_S11_S12_S16_S17_S18_S1B_S1C_jS1D_jS1E_S1E_jjS1G_bEUljE0_EEESZ_S10_S11_S18_S1C_S1E_T6_T7_T9_mT8_S1G_bDpT10_ENKUlT_T0_E_clISt17integral_constantIbLb0EES1U_EEDaS1P_S1Q_EUlS1P_E_NS1_11comp_targetILNS1_3genE10ELNS1_11target_archE1200ELNS1_3gpuE4ELNS1_3repE0EEENS1_30default_config_static_selectorELNS0_4arch9wavefront6targetE0EEEvS12_.has_dyn_sized_stack, 0
	.set _ZN7rocprim17ROCPRIM_400000_NS6detail17trampoline_kernelINS0_13select_configILj256ELj13ELNS0_17block_load_methodE3ELS4_3ELS4_3ELNS0_20block_scan_algorithmE0ELj4294967295EEENS1_25partition_config_selectorILNS1_17partition_subalgoE4EjNS0_10empty_typeEbEEZZNS1_14partition_implILS8_4ELb0ES6_15HIP_vector_typeIjLj2EENS0_17counting_iteratorIjlEEPS9_SG_NS0_5tupleIJPjSI_NS0_16reverse_iteratorISI_EEEEENSH_IJSG_SG_SG_EEES9_SI_JZNS1_25segmented_radix_sort_implINS0_14default_configELb1EPKfPfPKlPlN2at6native12_GLOBAL__N_18offset_tEEE10hipError_tPvRmT1_PNSt15iterator_traitsIS12_E10value_typeET2_T3_PNS13_IS18_E10value_typeET4_jRbjT5_S1E_jjP12ihipStream_tbEUljE_ZNSN_ISO_Lb1ESQ_SR_ST_SU_SY_EESZ_S10_S11_S12_S16_S17_S18_S1B_S1C_jS1D_jS1E_S1E_jjS1G_bEUljE0_EEESZ_S10_S11_S18_S1C_S1E_T6_T7_T9_mT8_S1G_bDpT10_ENKUlT_T0_E_clISt17integral_constantIbLb0EES1U_EEDaS1P_S1Q_EUlS1P_E_NS1_11comp_targetILNS1_3genE10ELNS1_11target_archE1200ELNS1_3gpuE4ELNS1_3repE0EEENS1_30default_config_static_selectorELNS0_4arch9wavefront6targetE0EEEvS12_.has_recursion, 0
	.set _ZN7rocprim17ROCPRIM_400000_NS6detail17trampoline_kernelINS0_13select_configILj256ELj13ELNS0_17block_load_methodE3ELS4_3ELS4_3ELNS0_20block_scan_algorithmE0ELj4294967295EEENS1_25partition_config_selectorILNS1_17partition_subalgoE4EjNS0_10empty_typeEbEEZZNS1_14partition_implILS8_4ELb0ES6_15HIP_vector_typeIjLj2EENS0_17counting_iteratorIjlEEPS9_SG_NS0_5tupleIJPjSI_NS0_16reverse_iteratorISI_EEEEENSH_IJSG_SG_SG_EEES9_SI_JZNS1_25segmented_radix_sort_implINS0_14default_configELb1EPKfPfPKlPlN2at6native12_GLOBAL__N_18offset_tEEE10hipError_tPvRmT1_PNSt15iterator_traitsIS12_E10value_typeET2_T3_PNS13_IS18_E10value_typeET4_jRbjT5_S1E_jjP12ihipStream_tbEUljE_ZNSN_ISO_Lb1ESQ_SR_ST_SU_SY_EESZ_S10_S11_S12_S16_S17_S18_S1B_S1C_jS1D_jS1E_S1E_jjS1G_bEUljE0_EEESZ_S10_S11_S18_S1C_S1E_T6_T7_T9_mT8_S1G_bDpT10_ENKUlT_T0_E_clISt17integral_constantIbLb0EES1U_EEDaS1P_S1Q_EUlS1P_E_NS1_11comp_targetILNS1_3genE10ELNS1_11target_archE1200ELNS1_3gpuE4ELNS1_3repE0EEENS1_30default_config_static_selectorELNS0_4arch9wavefront6targetE0EEEvS12_.has_indirect_call, 0
	.section	.AMDGPU.csdata,"",@progbits
; Kernel info:
; codeLenInByte = 18900
; TotalNumSgprs: 60
; NumVgprs: 93
; ScratchSize: 0
; MemoryBound: 0
; FloatMode: 240
; IeeeMode: 1
; LDSByteSize: 13328 bytes/workgroup (compile time only)
; SGPRBlocks: 0
; VGPRBlocks: 11
; NumSGPRsForWavesPerEU: 60
; NumVGPRsForWavesPerEU: 93
; Occupancy: 16
; WaveLimiterHint : 1
; COMPUTE_PGM_RSRC2:SCRATCH_EN: 0
; COMPUTE_PGM_RSRC2:USER_SGPR: 2
; COMPUTE_PGM_RSRC2:TRAP_HANDLER: 0
; COMPUTE_PGM_RSRC2:TGID_X_EN: 1
; COMPUTE_PGM_RSRC2:TGID_Y_EN: 0
; COMPUTE_PGM_RSRC2:TGID_Z_EN: 0
; COMPUTE_PGM_RSRC2:TIDIG_COMP_CNT: 0
	.section	.text._ZN7rocprim17ROCPRIM_400000_NS6detail17trampoline_kernelINS0_13select_configILj256ELj13ELNS0_17block_load_methodE3ELS4_3ELS4_3ELNS0_20block_scan_algorithmE0ELj4294967295EEENS1_25partition_config_selectorILNS1_17partition_subalgoE4EjNS0_10empty_typeEbEEZZNS1_14partition_implILS8_4ELb0ES6_15HIP_vector_typeIjLj2EENS0_17counting_iteratorIjlEEPS9_SG_NS0_5tupleIJPjSI_NS0_16reverse_iteratorISI_EEEEENSH_IJSG_SG_SG_EEES9_SI_JZNS1_25segmented_radix_sort_implINS0_14default_configELb1EPKfPfPKlPlN2at6native12_GLOBAL__N_18offset_tEEE10hipError_tPvRmT1_PNSt15iterator_traitsIS12_E10value_typeET2_T3_PNS13_IS18_E10value_typeET4_jRbjT5_S1E_jjP12ihipStream_tbEUljE_ZNSN_ISO_Lb1ESQ_SR_ST_SU_SY_EESZ_S10_S11_S12_S16_S17_S18_S1B_S1C_jS1D_jS1E_S1E_jjS1G_bEUljE0_EEESZ_S10_S11_S18_S1C_S1E_T6_T7_T9_mT8_S1G_bDpT10_ENKUlT_T0_E_clISt17integral_constantIbLb0EES1U_EEDaS1P_S1Q_EUlS1P_E_NS1_11comp_targetILNS1_3genE9ELNS1_11target_archE1100ELNS1_3gpuE3ELNS1_3repE0EEENS1_30default_config_static_selectorELNS0_4arch9wavefront6targetE0EEEvS12_,"axG",@progbits,_ZN7rocprim17ROCPRIM_400000_NS6detail17trampoline_kernelINS0_13select_configILj256ELj13ELNS0_17block_load_methodE3ELS4_3ELS4_3ELNS0_20block_scan_algorithmE0ELj4294967295EEENS1_25partition_config_selectorILNS1_17partition_subalgoE4EjNS0_10empty_typeEbEEZZNS1_14partition_implILS8_4ELb0ES6_15HIP_vector_typeIjLj2EENS0_17counting_iteratorIjlEEPS9_SG_NS0_5tupleIJPjSI_NS0_16reverse_iteratorISI_EEEEENSH_IJSG_SG_SG_EEES9_SI_JZNS1_25segmented_radix_sort_implINS0_14default_configELb1EPKfPfPKlPlN2at6native12_GLOBAL__N_18offset_tEEE10hipError_tPvRmT1_PNSt15iterator_traitsIS12_E10value_typeET2_T3_PNS13_IS18_E10value_typeET4_jRbjT5_S1E_jjP12ihipStream_tbEUljE_ZNSN_ISO_Lb1ESQ_SR_ST_SU_SY_EESZ_S10_S11_S12_S16_S17_S18_S1B_S1C_jS1D_jS1E_S1E_jjS1G_bEUljE0_EEESZ_S10_S11_S18_S1C_S1E_T6_T7_T9_mT8_S1G_bDpT10_ENKUlT_T0_E_clISt17integral_constantIbLb0EES1U_EEDaS1P_S1Q_EUlS1P_E_NS1_11comp_targetILNS1_3genE9ELNS1_11target_archE1100ELNS1_3gpuE3ELNS1_3repE0EEENS1_30default_config_static_selectorELNS0_4arch9wavefront6targetE0EEEvS12_,comdat
	.globl	_ZN7rocprim17ROCPRIM_400000_NS6detail17trampoline_kernelINS0_13select_configILj256ELj13ELNS0_17block_load_methodE3ELS4_3ELS4_3ELNS0_20block_scan_algorithmE0ELj4294967295EEENS1_25partition_config_selectorILNS1_17partition_subalgoE4EjNS0_10empty_typeEbEEZZNS1_14partition_implILS8_4ELb0ES6_15HIP_vector_typeIjLj2EENS0_17counting_iteratorIjlEEPS9_SG_NS0_5tupleIJPjSI_NS0_16reverse_iteratorISI_EEEEENSH_IJSG_SG_SG_EEES9_SI_JZNS1_25segmented_radix_sort_implINS0_14default_configELb1EPKfPfPKlPlN2at6native12_GLOBAL__N_18offset_tEEE10hipError_tPvRmT1_PNSt15iterator_traitsIS12_E10value_typeET2_T3_PNS13_IS18_E10value_typeET4_jRbjT5_S1E_jjP12ihipStream_tbEUljE_ZNSN_ISO_Lb1ESQ_SR_ST_SU_SY_EESZ_S10_S11_S12_S16_S17_S18_S1B_S1C_jS1D_jS1E_S1E_jjS1G_bEUljE0_EEESZ_S10_S11_S18_S1C_S1E_T6_T7_T9_mT8_S1G_bDpT10_ENKUlT_T0_E_clISt17integral_constantIbLb0EES1U_EEDaS1P_S1Q_EUlS1P_E_NS1_11comp_targetILNS1_3genE9ELNS1_11target_archE1100ELNS1_3gpuE3ELNS1_3repE0EEENS1_30default_config_static_selectorELNS0_4arch9wavefront6targetE0EEEvS12_ ; -- Begin function _ZN7rocprim17ROCPRIM_400000_NS6detail17trampoline_kernelINS0_13select_configILj256ELj13ELNS0_17block_load_methodE3ELS4_3ELS4_3ELNS0_20block_scan_algorithmE0ELj4294967295EEENS1_25partition_config_selectorILNS1_17partition_subalgoE4EjNS0_10empty_typeEbEEZZNS1_14partition_implILS8_4ELb0ES6_15HIP_vector_typeIjLj2EENS0_17counting_iteratorIjlEEPS9_SG_NS0_5tupleIJPjSI_NS0_16reverse_iteratorISI_EEEEENSH_IJSG_SG_SG_EEES9_SI_JZNS1_25segmented_radix_sort_implINS0_14default_configELb1EPKfPfPKlPlN2at6native12_GLOBAL__N_18offset_tEEE10hipError_tPvRmT1_PNSt15iterator_traitsIS12_E10value_typeET2_T3_PNS13_IS18_E10value_typeET4_jRbjT5_S1E_jjP12ihipStream_tbEUljE_ZNSN_ISO_Lb1ESQ_SR_ST_SU_SY_EESZ_S10_S11_S12_S16_S17_S18_S1B_S1C_jS1D_jS1E_S1E_jjS1G_bEUljE0_EEESZ_S10_S11_S18_S1C_S1E_T6_T7_T9_mT8_S1G_bDpT10_ENKUlT_T0_E_clISt17integral_constantIbLb0EES1U_EEDaS1P_S1Q_EUlS1P_E_NS1_11comp_targetILNS1_3genE9ELNS1_11target_archE1100ELNS1_3gpuE3ELNS1_3repE0EEENS1_30default_config_static_selectorELNS0_4arch9wavefront6targetE0EEEvS12_
	.p2align	8
	.type	_ZN7rocprim17ROCPRIM_400000_NS6detail17trampoline_kernelINS0_13select_configILj256ELj13ELNS0_17block_load_methodE3ELS4_3ELS4_3ELNS0_20block_scan_algorithmE0ELj4294967295EEENS1_25partition_config_selectorILNS1_17partition_subalgoE4EjNS0_10empty_typeEbEEZZNS1_14partition_implILS8_4ELb0ES6_15HIP_vector_typeIjLj2EENS0_17counting_iteratorIjlEEPS9_SG_NS0_5tupleIJPjSI_NS0_16reverse_iteratorISI_EEEEENSH_IJSG_SG_SG_EEES9_SI_JZNS1_25segmented_radix_sort_implINS0_14default_configELb1EPKfPfPKlPlN2at6native12_GLOBAL__N_18offset_tEEE10hipError_tPvRmT1_PNSt15iterator_traitsIS12_E10value_typeET2_T3_PNS13_IS18_E10value_typeET4_jRbjT5_S1E_jjP12ihipStream_tbEUljE_ZNSN_ISO_Lb1ESQ_SR_ST_SU_SY_EESZ_S10_S11_S12_S16_S17_S18_S1B_S1C_jS1D_jS1E_S1E_jjS1G_bEUljE0_EEESZ_S10_S11_S18_S1C_S1E_T6_T7_T9_mT8_S1G_bDpT10_ENKUlT_T0_E_clISt17integral_constantIbLb0EES1U_EEDaS1P_S1Q_EUlS1P_E_NS1_11comp_targetILNS1_3genE9ELNS1_11target_archE1100ELNS1_3gpuE3ELNS1_3repE0EEENS1_30default_config_static_selectorELNS0_4arch9wavefront6targetE0EEEvS12_,@function
_ZN7rocprim17ROCPRIM_400000_NS6detail17trampoline_kernelINS0_13select_configILj256ELj13ELNS0_17block_load_methodE3ELS4_3ELS4_3ELNS0_20block_scan_algorithmE0ELj4294967295EEENS1_25partition_config_selectorILNS1_17partition_subalgoE4EjNS0_10empty_typeEbEEZZNS1_14partition_implILS8_4ELb0ES6_15HIP_vector_typeIjLj2EENS0_17counting_iteratorIjlEEPS9_SG_NS0_5tupleIJPjSI_NS0_16reverse_iteratorISI_EEEEENSH_IJSG_SG_SG_EEES9_SI_JZNS1_25segmented_radix_sort_implINS0_14default_configELb1EPKfPfPKlPlN2at6native12_GLOBAL__N_18offset_tEEE10hipError_tPvRmT1_PNSt15iterator_traitsIS12_E10value_typeET2_T3_PNS13_IS18_E10value_typeET4_jRbjT5_S1E_jjP12ihipStream_tbEUljE_ZNSN_ISO_Lb1ESQ_SR_ST_SU_SY_EESZ_S10_S11_S12_S16_S17_S18_S1B_S1C_jS1D_jS1E_S1E_jjS1G_bEUljE0_EEESZ_S10_S11_S18_S1C_S1E_T6_T7_T9_mT8_S1G_bDpT10_ENKUlT_T0_E_clISt17integral_constantIbLb0EES1U_EEDaS1P_S1Q_EUlS1P_E_NS1_11comp_targetILNS1_3genE9ELNS1_11target_archE1100ELNS1_3gpuE3ELNS1_3repE0EEENS1_30default_config_static_selectorELNS0_4arch9wavefront6targetE0EEEvS12_: ; @_ZN7rocprim17ROCPRIM_400000_NS6detail17trampoline_kernelINS0_13select_configILj256ELj13ELNS0_17block_load_methodE3ELS4_3ELS4_3ELNS0_20block_scan_algorithmE0ELj4294967295EEENS1_25partition_config_selectorILNS1_17partition_subalgoE4EjNS0_10empty_typeEbEEZZNS1_14partition_implILS8_4ELb0ES6_15HIP_vector_typeIjLj2EENS0_17counting_iteratorIjlEEPS9_SG_NS0_5tupleIJPjSI_NS0_16reverse_iteratorISI_EEEEENSH_IJSG_SG_SG_EEES9_SI_JZNS1_25segmented_radix_sort_implINS0_14default_configELb1EPKfPfPKlPlN2at6native12_GLOBAL__N_18offset_tEEE10hipError_tPvRmT1_PNSt15iterator_traitsIS12_E10value_typeET2_T3_PNS13_IS18_E10value_typeET4_jRbjT5_S1E_jjP12ihipStream_tbEUljE_ZNSN_ISO_Lb1ESQ_SR_ST_SU_SY_EESZ_S10_S11_S12_S16_S17_S18_S1B_S1C_jS1D_jS1E_S1E_jjS1G_bEUljE0_EEESZ_S10_S11_S18_S1C_S1E_T6_T7_T9_mT8_S1G_bDpT10_ENKUlT_T0_E_clISt17integral_constantIbLb0EES1U_EEDaS1P_S1Q_EUlS1P_E_NS1_11comp_targetILNS1_3genE9ELNS1_11target_archE1100ELNS1_3gpuE3ELNS1_3repE0EEENS1_30default_config_static_selectorELNS0_4arch9wavefront6targetE0EEEvS12_
; %bb.0:
	.section	.rodata,"a",@progbits
	.p2align	6, 0x0
	.amdhsa_kernel _ZN7rocprim17ROCPRIM_400000_NS6detail17trampoline_kernelINS0_13select_configILj256ELj13ELNS0_17block_load_methodE3ELS4_3ELS4_3ELNS0_20block_scan_algorithmE0ELj4294967295EEENS1_25partition_config_selectorILNS1_17partition_subalgoE4EjNS0_10empty_typeEbEEZZNS1_14partition_implILS8_4ELb0ES6_15HIP_vector_typeIjLj2EENS0_17counting_iteratorIjlEEPS9_SG_NS0_5tupleIJPjSI_NS0_16reverse_iteratorISI_EEEEENSH_IJSG_SG_SG_EEES9_SI_JZNS1_25segmented_radix_sort_implINS0_14default_configELb1EPKfPfPKlPlN2at6native12_GLOBAL__N_18offset_tEEE10hipError_tPvRmT1_PNSt15iterator_traitsIS12_E10value_typeET2_T3_PNS13_IS18_E10value_typeET4_jRbjT5_S1E_jjP12ihipStream_tbEUljE_ZNSN_ISO_Lb1ESQ_SR_ST_SU_SY_EESZ_S10_S11_S12_S16_S17_S18_S1B_S1C_jS1D_jS1E_S1E_jjS1G_bEUljE0_EEESZ_S10_S11_S18_S1C_S1E_T6_T7_T9_mT8_S1G_bDpT10_ENKUlT_T0_E_clISt17integral_constantIbLb0EES1U_EEDaS1P_S1Q_EUlS1P_E_NS1_11comp_targetILNS1_3genE9ELNS1_11target_archE1100ELNS1_3gpuE3ELNS1_3repE0EEENS1_30default_config_static_selectorELNS0_4arch9wavefront6targetE0EEEvS12_
		.amdhsa_group_segment_fixed_size 0
		.amdhsa_private_segment_fixed_size 0
		.amdhsa_kernarg_size 176
		.amdhsa_user_sgpr_count 2
		.amdhsa_user_sgpr_dispatch_ptr 0
		.amdhsa_user_sgpr_queue_ptr 0
		.amdhsa_user_sgpr_kernarg_segment_ptr 1
		.amdhsa_user_sgpr_dispatch_id 0
		.amdhsa_user_sgpr_private_segment_size 0
		.amdhsa_wavefront_size32 1
		.amdhsa_uses_dynamic_stack 0
		.amdhsa_enable_private_segment 0
		.amdhsa_system_sgpr_workgroup_id_x 1
		.amdhsa_system_sgpr_workgroup_id_y 0
		.amdhsa_system_sgpr_workgroup_id_z 0
		.amdhsa_system_sgpr_workgroup_info 0
		.amdhsa_system_vgpr_workitem_id 0
		.amdhsa_next_free_vgpr 1
		.amdhsa_next_free_sgpr 1
		.amdhsa_reserve_vcc 0
		.amdhsa_float_round_mode_32 0
		.amdhsa_float_round_mode_16_64 0
		.amdhsa_float_denorm_mode_32 3
		.amdhsa_float_denorm_mode_16_64 3
		.amdhsa_fp16_overflow 0
		.amdhsa_workgroup_processor_mode 1
		.amdhsa_memory_ordered 1
		.amdhsa_forward_progress 1
		.amdhsa_inst_pref_size 0
		.amdhsa_round_robin_scheduling 0
		.amdhsa_exception_fp_ieee_invalid_op 0
		.amdhsa_exception_fp_denorm_src 0
		.amdhsa_exception_fp_ieee_div_zero 0
		.amdhsa_exception_fp_ieee_overflow 0
		.amdhsa_exception_fp_ieee_underflow 0
		.amdhsa_exception_fp_ieee_inexact 0
		.amdhsa_exception_int_div_zero 0
	.end_amdhsa_kernel
	.section	.text._ZN7rocprim17ROCPRIM_400000_NS6detail17trampoline_kernelINS0_13select_configILj256ELj13ELNS0_17block_load_methodE3ELS4_3ELS4_3ELNS0_20block_scan_algorithmE0ELj4294967295EEENS1_25partition_config_selectorILNS1_17partition_subalgoE4EjNS0_10empty_typeEbEEZZNS1_14partition_implILS8_4ELb0ES6_15HIP_vector_typeIjLj2EENS0_17counting_iteratorIjlEEPS9_SG_NS0_5tupleIJPjSI_NS0_16reverse_iteratorISI_EEEEENSH_IJSG_SG_SG_EEES9_SI_JZNS1_25segmented_radix_sort_implINS0_14default_configELb1EPKfPfPKlPlN2at6native12_GLOBAL__N_18offset_tEEE10hipError_tPvRmT1_PNSt15iterator_traitsIS12_E10value_typeET2_T3_PNS13_IS18_E10value_typeET4_jRbjT5_S1E_jjP12ihipStream_tbEUljE_ZNSN_ISO_Lb1ESQ_SR_ST_SU_SY_EESZ_S10_S11_S12_S16_S17_S18_S1B_S1C_jS1D_jS1E_S1E_jjS1G_bEUljE0_EEESZ_S10_S11_S18_S1C_S1E_T6_T7_T9_mT8_S1G_bDpT10_ENKUlT_T0_E_clISt17integral_constantIbLb0EES1U_EEDaS1P_S1Q_EUlS1P_E_NS1_11comp_targetILNS1_3genE9ELNS1_11target_archE1100ELNS1_3gpuE3ELNS1_3repE0EEENS1_30default_config_static_selectorELNS0_4arch9wavefront6targetE0EEEvS12_,"axG",@progbits,_ZN7rocprim17ROCPRIM_400000_NS6detail17trampoline_kernelINS0_13select_configILj256ELj13ELNS0_17block_load_methodE3ELS4_3ELS4_3ELNS0_20block_scan_algorithmE0ELj4294967295EEENS1_25partition_config_selectorILNS1_17partition_subalgoE4EjNS0_10empty_typeEbEEZZNS1_14partition_implILS8_4ELb0ES6_15HIP_vector_typeIjLj2EENS0_17counting_iteratorIjlEEPS9_SG_NS0_5tupleIJPjSI_NS0_16reverse_iteratorISI_EEEEENSH_IJSG_SG_SG_EEES9_SI_JZNS1_25segmented_radix_sort_implINS0_14default_configELb1EPKfPfPKlPlN2at6native12_GLOBAL__N_18offset_tEEE10hipError_tPvRmT1_PNSt15iterator_traitsIS12_E10value_typeET2_T3_PNS13_IS18_E10value_typeET4_jRbjT5_S1E_jjP12ihipStream_tbEUljE_ZNSN_ISO_Lb1ESQ_SR_ST_SU_SY_EESZ_S10_S11_S12_S16_S17_S18_S1B_S1C_jS1D_jS1E_S1E_jjS1G_bEUljE0_EEESZ_S10_S11_S18_S1C_S1E_T6_T7_T9_mT8_S1G_bDpT10_ENKUlT_T0_E_clISt17integral_constantIbLb0EES1U_EEDaS1P_S1Q_EUlS1P_E_NS1_11comp_targetILNS1_3genE9ELNS1_11target_archE1100ELNS1_3gpuE3ELNS1_3repE0EEENS1_30default_config_static_selectorELNS0_4arch9wavefront6targetE0EEEvS12_,comdat
.Lfunc_end1267:
	.size	_ZN7rocprim17ROCPRIM_400000_NS6detail17trampoline_kernelINS0_13select_configILj256ELj13ELNS0_17block_load_methodE3ELS4_3ELS4_3ELNS0_20block_scan_algorithmE0ELj4294967295EEENS1_25partition_config_selectorILNS1_17partition_subalgoE4EjNS0_10empty_typeEbEEZZNS1_14partition_implILS8_4ELb0ES6_15HIP_vector_typeIjLj2EENS0_17counting_iteratorIjlEEPS9_SG_NS0_5tupleIJPjSI_NS0_16reverse_iteratorISI_EEEEENSH_IJSG_SG_SG_EEES9_SI_JZNS1_25segmented_radix_sort_implINS0_14default_configELb1EPKfPfPKlPlN2at6native12_GLOBAL__N_18offset_tEEE10hipError_tPvRmT1_PNSt15iterator_traitsIS12_E10value_typeET2_T3_PNS13_IS18_E10value_typeET4_jRbjT5_S1E_jjP12ihipStream_tbEUljE_ZNSN_ISO_Lb1ESQ_SR_ST_SU_SY_EESZ_S10_S11_S12_S16_S17_S18_S1B_S1C_jS1D_jS1E_S1E_jjS1G_bEUljE0_EEESZ_S10_S11_S18_S1C_S1E_T6_T7_T9_mT8_S1G_bDpT10_ENKUlT_T0_E_clISt17integral_constantIbLb0EES1U_EEDaS1P_S1Q_EUlS1P_E_NS1_11comp_targetILNS1_3genE9ELNS1_11target_archE1100ELNS1_3gpuE3ELNS1_3repE0EEENS1_30default_config_static_selectorELNS0_4arch9wavefront6targetE0EEEvS12_, .Lfunc_end1267-_ZN7rocprim17ROCPRIM_400000_NS6detail17trampoline_kernelINS0_13select_configILj256ELj13ELNS0_17block_load_methodE3ELS4_3ELS4_3ELNS0_20block_scan_algorithmE0ELj4294967295EEENS1_25partition_config_selectorILNS1_17partition_subalgoE4EjNS0_10empty_typeEbEEZZNS1_14partition_implILS8_4ELb0ES6_15HIP_vector_typeIjLj2EENS0_17counting_iteratorIjlEEPS9_SG_NS0_5tupleIJPjSI_NS0_16reverse_iteratorISI_EEEEENSH_IJSG_SG_SG_EEES9_SI_JZNS1_25segmented_radix_sort_implINS0_14default_configELb1EPKfPfPKlPlN2at6native12_GLOBAL__N_18offset_tEEE10hipError_tPvRmT1_PNSt15iterator_traitsIS12_E10value_typeET2_T3_PNS13_IS18_E10value_typeET4_jRbjT5_S1E_jjP12ihipStream_tbEUljE_ZNSN_ISO_Lb1ESQ_SR_ST_SU_SY_EESZ_S10_S11_S12_S16_S17_S18_S1B_S1C_jS1D_jS1E_S1E_jjS1G_bEUljE0_EEESZ_S10_S11_S18_S1C_S1E_T6_T7_T9_mT8_S1G_bDpT10_ENKUlT_T0_E_clISt17integral_constantIbLb0EES1U_EEDaS1P_S1Q_EUlS1P_E_NS1_11comp_targetILNS1_3genE9ELNS1_11target_archE1100ELNS1_3gpuE3ELNS1_3repE0EEENS1_30default_config_static_selectorELNS0_4arch9wavefront6targetE0EEEvS12_
                                        ; -- End function
	.set _ZN7rocprim17ROCPRIM_400000_NS6detail17trampoline_kernelINS0_13select_configILj256ELj13ELNS0_17block_load_methodE3ELS4_3ELS4_3ELNS0_20block_scan_algorithmE0ELj4294967295EEENS1_25partition_config_selectorILNS1_17partition_subalgoE4EjNS0_10empty_typeEbEEZZNS1_14partition_implILS8_4ELb0ES6_15HIP_vector_typeIjLj2EENS0_17counting_iteratorIjlEEPS9_SG_NS0_5tupleIJPjSI_NS0_16reverse_iteratorISI_EEEEENSH_IJSG_SG_SG_EEES9_SI_JZNS1_25segmented_radix_sort_implINS0_14default_configELb1EPKfPfPKlPlN2at6native12_GLOBAL__N_18offset_tEEE10hipError_tPvRmT1_PNSt15iterator_traitsIS12_E10value_typeET2_T3_PNS13_IS18_E10value_typeET4_jRbjT5_S1E_jjP12ihipStream_tbEUljE_ZNSN_ISO_Lb1ESQ_SR_ST_SU_SY_EESZ_S10_S11_S12_S16_S17_S18_S1B_S1C_jS1D_jS1E_S1E_jjS1G_bEUljE0_EEESZ_S10_S11_S18_S1C_S1E_T6_T7_T9_mT8_S1G_bDpT10_ENKUlT_T0_E_clISt17integral_constantIbLb0EES1U_EEDaS1P_S1Q_EUlS1P_E_NS1_11comp_targetILNS1_3genE9ELNS1_11target_archE1100ELNS1_3gpuE3ELNS1_3repE0EEENS1_30default_config_static_selectorELNS0_4arch9wavefront6targetE0EEEvS12_.num_vgpr, 0
	.set _ZN7rocprim17ROCPRIM_400000_NS6detail17trampoline_kernelINS0_13select_configILj256ELj13ELNS0_17block_load_methodE3ELS4_3ELS4_3ELNS0_20block_scan_algorithmE0ELj4294967295EEENS1_25partition_config_selectorILNS1_17partition_subalgoE4EjNS0_10empty_typeEbEEZZNS1_14partition_implILS8_4ELb0ES6_15HIP_vector_typeIjLj2EENS0_17counting_iteratorIjlEEPS9_SG_NS0_5tupleIJPjSI_NS0_16reverse_iteratorISI_EEEEENSH_IJSG_SG_SG_EEES9_SI_JZNS1_25segmented_radix_sort_implINS0_14default_configELb1EPKfPfPKlPlN2at6native12_GLOBAL__N_18offset_tEEE10hipError_tPvRmT1_PNSt15iterator_traitsIS12_E10value_typeET2_T3_PNS13_IS18_E10value_typeET4_jRbjT5_S1E_jjP12ihipStream_tbEUljE_ZNSN_ISO_Lb1ESQ_SR_ST_SU_SY_EESZ_S10_S11_S12_S16_S17_S18_S1B_S1C_jS1D_jS1E_S1E_jjS1G_bEUljE0_EEESZ_S10_S11_S18_S1C_S1E_T6_T7_T9_mT8_S1G_bDpT10_ENKUlT_T0_E_clISt17integral_constantIbLb0EES1U_EEDaS1P_S1Q_EUlS1P_E_NS1_11comp_targetILNS1_3genE9ELNS1_11target_archE1100ELNS1_3gpuE3ELNS1_3repE0EEENS1_30default_config_static_selectorELNS0_4arch9wavefront6targetE0EEEvS12_.num_agpr, 0
	.set _ZN7rocprim17ROCPRIM_400000_NS6detail17trampoline_kernelINS0_13select_configILj256ELj13ELNS0_17block_load_methodE3ELS4_3ELS4_3ELNS0_20block_scan_algorithmE0ELj4294967295EEENS1_25partition_config_selectorILNS1_17partition_subalgoE4EjNS0_10empty_typeEbEEZZNS1_14partition_implILS8_4ELb0ES6_15HIP_vector_typeIjLj2EENS0_17counting_iteratorIjlEEPS9_SG_NS0_5tupleIJPjSI_NS0_16reverse_iteratorISI_EEEEENSH_IJSG_SG_SG_EEES9_SI_JZNS1_25segmented_radix_sort_implINS0_14default_configELb1EPKfPfPKlPlN2at6native12_GLOBAL__N_18offset_tEEE10hipError_tPvRmT1_PNSt15iterator_traitsIS12_E10value_typeET2_T3_PNS13_IS18_E10value_typeET4_jRbjT5_S1E_jjP12ihipStream_tbEUljE_ZNSN_ISO_Lb1ESQ_SR_ST_SU_SY_EESZ_S10_S11_S12_S16_S17_S18_S1B_S1C_jS1D_jS1E_S1E_jjS1G_bEUljE0_EEESZ_S10_S11_S18_S1C_S1E_T6_T7_T9_mT8_S1G_bDpT10_ENKUlT_T0_E_clISt17integral_constantIbLb0EES1U_EEDaS1P_S1Q_EUlS1P_E_NS1_11comp_targetILNS1_3genE9ELNS1_11target_archE1100ELNS1_3gpuE3ELNS1_3repE0EEENS1_30default_config_static_selectorELNS0_4arch9wavefront6targetE0EEEvS12_.numbered_sgpr, 0
	.set _ZN7rocprim17ROCPRIM_400000_NS6detail17trampoline_kernelINS0_13select_configILj256ELj13ELNS0_17block_load_methodE3ELS4_3ELS4_3ELNS0_20block_scan_algorithmE0ELj4294967295EEENS1_25partition_config_selectorILNS1_17partition_subalgoE4EjNS0_10empty_typeEbEEZZNS1_14partition_implILS8_4ELb0ES6_15HIP_vector_typeIjLj2EENS0_17counting_iteratorIjlEEPS9_SG_NS0_5tupleIJPjSI_NS0_16reverse_iteratorISI_EEEEENSH_IJSG_SG_SG_EEES9_SI_JZNS1_25segmented_radix_sort_implINS0_14default_configELb1EPKfPfPKlPlN2at6native12_GLOBAL__N_18offset_tEEE10hipError_tPvRmT1_PNSt15iterator_traitsIS12_E10value_typeET2_T3_PNS13_IS18_E10value_typeET4_jRbjT5_S1E_jjP12ihipStream_tbEUljE_ZNSN_ISO_Lb1ESQ_SR_ST_SU_SY_EESZ_S10_S11_S12_S16_S17_S18_S1B_S1C_jS1D_jS1E_S1E_jjS1G_bEUljE0_EEESZ_S10_S11_S18_S1C_S1E_T6_T7_T9_mT8_S1G_bDpT10_ENKUlT_T0_E_clISt17integral_constantIbLb0EES1U_EEDaS1P_S1Q_EUlS1P_E_NS1_11comp_targetILNS1_3genE9ELNS1_11target_archE1100ELNS1_3gpuE3ELNS1_3repE0EEENS1_30default_config_static_selectorELNS0_4arch9wavefront6targetE0EEEvS12_.num_named_barrier, 0
	.set _ZN7rocprim17ROCPRIM_400000_NS6detail17trampoline_kernelINS0_13select_configILj256ELj13ELNS0_17block_load_methodE3ELS4_3ELS4_3ELNS0_20block_scan_algorithmE0ELj4294967295EEENS1_25partition_config_selectorILNS1_17partition_subalgoE4EjNS0_10empty_typeEbEEZZNS1_14partition_implILS8_4ELb0ES6_15HIP_vector_typeIjLj2EENS0_17counting_iteratorIjlEEPS9_SG_NS0_5tupleIJPjSI_NS0_16reverse_iteratorISI_EEEEENSH_IJSG_SG_SG_EEES9_SI_JZNS1_25segmented_radix_sort_implINS0_14default_configELb1EPKfPfPKlPlN2at6native12_GLOBAL__N_18offset_tEEE10hipError_tPvRmT1_PNSt15iterator_traitsIS12_E10value_typeET2_T3_PNS13_IS18_E10value_typeET4_jRbjT5_S1E_jjP12ihipStream_tbEUljE_ZNSN_ISO_Lb1ESQ_SR_ST_SU_SY_EESZ_S10_S11_S12_S16_S17_S18_S1B_S1C_jS1D_jS1E_S1E_jjS1G_bEUljE0_EEESZ_S10_S11_S18_S1C_S1E_T6_T7_T9_mT8_S1G_bDpT10_ENKUlT_T0_E_clISt17integral_constantIbLb0EES1U_EEDaS1P_S1Q_EUlS1P_E_NS1_11comp_targetILNS1_3genE9ELNS1_11target_archE1100ELNS1_3gpuE3ELNS1_3repE0EEENS1_30default_config_static_selectorELNS0_4arch9wavefront6targetE0EEEvS12_.private_seg_size, 0
	.set _ZN7rocprim17ROCPRIM_400000_NS6detail17trampoline_kernelINS0_13select_configILj256ELj13ELNS0_17block_load_methodE3ELS4_3ELS4_3ELNS0_20block_scan_algorithmE0ELj4294967295EEENS1_25partition_config_selectorILNS1_17partition_subalgoE4EjNS0_10empty_typeEbEEZZNS1_14partition_implILS8_4ELb0ES6_15HIP_vector_typeIjLj2EENS0_17counting_iteratorIjlEEPS9_SG_NS0_5tupleIJPjSI_NS0_16reverse_iteratorISI_EEEEENSH_IJSG_SG_SG_EEES9_SI_JZNS1_25segmented_radix_sort_implINS0_14default_configELb1EPKfPfPKlPlN2at6native12_GLOBAL__N_18offset_tEEE10hipError_tPvRmT1_PNSt15iterator_traitsIS12_E10value_typeET2_T3_PNS13_IS18_E10value_typeET4_jRbjT5_S1E_jjP12ihipStream_tbEUljE_ZNSN_ISO_Lb1ESQ_SR_ST_SU_SY_EESZ_S10_S11_S12_S16_S17_S18_S1B_S1C_jS1D_jS1E_S1E_jjS1G_bEUljE0_EEESZ_S10_S11_S18_S1C_S1E_T6_T7_T9_mT8_S1G_bDpT10_ENKUlT_T0_E_clISt17integral_constantIbLb0EES1U_EEDaS1P_S1Q_EUlS1P_E_NS1_11comp_targetILNS1_3genE9ELNS1_11target_archE1100ELNS1_3gpuE3ELNS1_3repE0EEENS1_30default_config_static_selectorELNS0_4arch9wavefront6targetE0EEEvS12_.uses_vcc, 0
	.set _ZN7rocprim17ROCPRIM_400000_NS6detail17trampoline_kernelINS0_13select_configILj256ELj13ELNS0_17block_load_methodE3ELS4_3ELS4_3ELNS0_20block_scan_algorithmE0ELj4294967295EEENS1_25partition_config_selectorILNS1_17partition_subalgoE4EjNS0_10empty_typeEbEEZZNS1_14partition_implILS8_4ELb0ES6_15HIP_vector_typeIjLj2EENS0_17counting_iteratorIjlEEPS9_SG_NS0_5tupleIJPjSI_NS0_16reverse_iteratorISI_EEEEENSH_IJSG_SG_SG_EEES9_SI_JZNS1_25segmented_radix_sort_implINS0_14default_configELb1EPKfPfPKlPlN2at6native12_GLOBAL__N_18offset_tEEE10hipError_tPvRmT1_PNSt15iterator_traitsIS12_E10value_typeET2_T3_PNS13_IS18_E10value_typeET4_jRbjT5_S1E_jjP12ihipStream_tbEUljE_ZNSN_ISO_Lb1ESQ_SR_ST_SU_SY_EESZ_S10_S11_S12_S16_S17_S18_S1B_S1C_jS1D_jS1E_S1E_jjS1G_bEUljE0_EEESZ_S10_S11_S18_S1C_S1E_T6_T7_T9_mT8_S1G_bDpT10_ENKUlT_T0_E_clISt17integral_constantIbLb0EES1U_EEDaS1P_S1Q_EUlS1P_E_NS1_11comp_targetILNS1_3genE9ELNS1_11target_archE1100ELNS1_3gpuE3ELNS1_3repE0EEENS1_30default_config_static_selectorELNS0_4arch9wavefront6targetE0EEEvS12_.uses_flat_scratch, 0
	.set _ZN7rocprim17ROCPRIM_400000_NS6detail17trampoline_kernelINS0_13select_configILj256ELj13ELNS0_17block_load_methodE3ELS4_3ELS4_3ELNS0_20block_scan_algorithmE0ELj4294967295EEENS1_25partition_config_selectorILNS1_17partition_subalgoE4EjNS0_10empty_typeEbEEZZNS1_14partition_implILS8_4ELb0ES6_15HIP_vector_typeIjLj2EENS0_17counting_iteratorIjlEEPS9_SG_NS0_5tupleIJPjSI_NS0_16reverse_iteratorISI_EEEEENSH_IJSG_SG_SG_EEES9_SI_JZNS1_25segmented_radix_sort_implINS0_14default_configELb1EPKfPfPKlPlN2at6native12_GLOBAL__N_18offset_tEEE10hipError_tPvRmT1_PNSt15iterator_traitsIS12_E10value_typeET2_T3_PNS13_IS18_E10value_typeET4_jRbjT5_S1E_jjP12ihipStream_tbEUljE_ZNSN_ISO_Lb1ESQ_SR_ST_SU_SY_EESZ_S10_S11_S12_S16_S17_S18_S1B_S1C_jS1D_jS1E_S1E_jjS1G_bEUljE0_EEESZ_S10_S11_S18_S1C_S1E_T6_T7_T9_mT8_S1G_bDpT10_ENKUlT_T0_E_clISt17integral_constantIbLb0EES1U_EEDaS1P_S1Q_EUlS1P_E_NS1_11comp_targetILNS1_3genE9ELNS1_11target_archE1100ELNS1_3gpuE3ELNS1_3repE0EEENS1_30default_config_static_selectorELNS0_4arch9wavefront6targetE0EEEvS12_.has_dyn_sized_stack, 0
	.set _ZN7rocprim17ROCPRIM_400000_NS6detail17trampoline_kernelINS0_13select_configILj256ELj13ELNS0_17block_load_methodE3ELS4_3ELS4_3ELNS0_20block_scan_algorithmE0ELj4294967295EEENS1_25partition_config_selectorILNS1_17partition_subalgoE4EjNS0_10empty_typeEbEEZZNS1_14partition_implILS8_4ELb0ES6_15HIP_vector_typeIjLj2EENS0_17counting_iteratorIjlEEPS9_SG_NS0_5tupleIJPjSI_NS0_16reverse_iteratorISI_EEEEENSH_IJSG_SG_SG_EEES9_SI_JZNS1_25segmented_radix_sort_implINS0_14default_configELb1EPKfPfPKlPlN2at6native12_GLOBAL__N_18offset_tEEE10hipError_tPvRmT1_PNSt15iterator_traitsIS12_E10value_typeET2_T3_PNS13_IS18_E10value_typeET4_jRbjT5_S1E_jjP12ihipStream_tbEUljE_ZNSN_ISO_Lb1ESQ_SR_ST_SU_SY_EESZ_S10_S11_S12_S16_S17_S18_S1B_S1C_jS1D_jS1E_S1E_jjS1G_bEUljE0_EEESZ_S10_S11_S18_S1C_S1E_T6_T7_T9_mT8_S1G_bDpT10_ENKUlT_T0_E_clISt17integral_constantIbLb0EES1U_EEDaS1P_S1Q_EUlS1P_E_NS1_11comp_targetILNS1_3genE9ELNS1_11target_archE1100ELNS1_3gpuE3ELNS1_3repE0EEENS1_30default_config_static_selectorELNS0_4arch9wavefront6targetE0EEEvS12_.has_recursion, 0
	.set _ZN7rocprim17ROCPRIM_400000_NS6detail17trampoline_kernelINS0_13select_configILj256ELj13ELNS0_17block_load_methodE3ELS4_3ELS4_3ELNS0_20block_scan_algorithmE0ELj4294967295EEENS1_25partition_config_selectorILNS1_17partition_subalgoE4EjNS0_10empty_typeEbEEZZNS1_14partition_implILS8_4ELb0ES6_15HIP_vector_typeIjLj2EENS0_17counting_iteratorIjlEEPS9_SG_NS0_5tupleIJPjSI_NS0_16reverse_iteratorISI_EEEEENSH_IJSG_SG_SG_EEES9_SI_JZNS1_25segmented_radix_sort_implINS0_14default_configELb1EPKfPfPKlPlN2at6native12_GLOBAL__N_18offset_tEEE10hipError_tPvRmT1_PNSt15iterator_traitsIS12_E10value_typeET2_T3_PNS13_IS18_E10value_typeET4_jRbjT5_S1E_jjP12ihipStream_tbEUljE_ZNSN_ISO_Lb1ESQ_SR_ST_SU_SY_EESZ_S10_S11_S12_S16_S17_S18_S1B_S1C_jS1D_jS1E_S1E_jjS1G_bEUljE0_EEESZ_S10_S11_S18_S1C_S1E_T6_T7_T9_mT8_S1G_bDpT10_ENKUlT_T0_E_clISt17integral_constantIbLb0EES1U_EEDaS1P_S1Q_EUlS1P_E_NS1_11comp_targetILNS1_3genE9ELNS1_11target_archE1100ELNS1_3gpuE3ELNS1_3repE0EEENS1_30default_config_static_selectorELNS0_4arch9wavefront6targetE0EEEvS12_.has_indirect_call, 0
	.section	.AMDGPU.csdata,"",@progbits
; Kernel info:
; codeLenInByte = 0
; TotalNumSgprs: 0
; NumVgprs: 0
; ScratchSize: 0
; MemoryBound: 0
; FloatMode: 240
; IeeeMode: 1
; LDSByteSize: 0 bytes/workgroup (compile time only)
; SGPRBlocks: 0
; VGPRBlocks: 0
; NumSGPRsForWavesPerEU: 1
; NumVGPRsForWavesPerEU: 1
; Occupancy: 16
; WaveLimiterHint : 0
; COMPUTE_PGM_RSRC2:SCRATCH_EN: 0
; COMPUTE_PGM_RSRC2:USER_SGPR: 2
; COMPUTE_PGM_RSRC2:TRAP_HANDLER: 0
; COMPUTE_PGM_RSRC2:TGID_X_EN: 1
; COMPUTE_PGM_RSRC2:TGID_Y_EN: 0
; COMPUTE_PGM_RSRC2:TGID_Z_EN: 0
; COMPUTE_PGM_RSRC2:TIDIG_COMP_CNT: 0
	.section	.text._ZN7rocprim17ROCPRIM_400000_NS6detail17trampoline_kernelINS0_13select_configILj256ELj13ELNS0_17block_load_methodE3ELS4_3ELS4_3ELNS0_20block_scan_algorithmE0ELj4294967295EEENS1_25partition_config_selectorILNS1_17partition_subalgoE4EjNS0_10empty_typeEbEEZZNS1_14partition_implILS8_4ELb0ES6_15HIP_vector_typeIjLj2EENS0_17counting_iteratorIjlEEPS9_SG_NS0_5tupleIJPjSI_NS0_16reverse_iteratorISI_EEEEENSH_IJSG_SG_SG_EEES9_SI_JZNS1_25segmented_radix_sort_implINS0_14default_configELb1EPKfPfPKlPlN2at6native12_GLOBAL__N_18offset_tEEE10hipError_tPvRmT1_PNSt15iterator_traitsIS12_E10value_typeET2_T3_PNS13_IS18_E10value_typeET4_jRbjT5_S1E_jjP12ihipStream_tbEUljE_ZNSN_ISO_Lb1ESQ_SR_ST_SU_SY_EESZ_S10_S11_S12_S16_S17_S18_S1B_S1C_jS1D_jS1E_S1E_jjS1G_bEUljE0_EEESZ_S10_S11_S18_S1C_S1E_T6_T7_T9_mT8_S1G_bDpT10_ENKUlT_T0_E_clISt17integral_constantIbLb0EES1U_EEDaS1P_S1Q_EUlS1P_E_NS1_11comp_targetILNS1_3genE8ELNS1_11target_archE1030ELNS1_3gpuE2ELNS1_3repE0EEENS1_30default_config_static_selectorELNS0_4arch9wavefront6targetE0EEEvS12_,"axG",@progbits,_ZN7rocprim17ROCPRIM_400000_NS6detail17trampoline_kernelINS0_13select_configILj256ELj13ELNS0_17block_load_methodE3ELS4_3ELS4_3ELNS0_20block_scan_algorithmE0ELj4294967295EEENS1_25partition_config_selectorILNS1_17partition_subalgoE4EjNS0_10empty_typeEbEEZZNS1_14partition_implILS8_4ELb0ES6_15HIP_vector_typeIjLj2EENS0_17counting_iteratorIjlEEPS9_SG_NS0_5tupleIJPjSI_NS0_16reverse_iteratorISI_EEEEENSH_IJSG_SG_SG_EEES9_SI_JZNS1_25segmented_radix_sort_implINS0_14default_configELb1EPKfPfPKlPlN2at6native12_GLOBAL__N_18offset_tEEE10hipError_tPvRmT1_PNSt15iterator_traitsIS12_E10value_typeET2_T3_PNS13_IS18_E10value_typeET4_jRbjT5_S1E_jjP12ihipStream_tbEUljE_ZNSN_ISO_Lb1ESQ_SR_ST_SU_SY_EESZ_S10_S11_S12_S16_S17_S18_S1B_S1C_jS1D_jS1E_S1E_jjS1G_bEUljE0_EEESZ_S10_S11_S18_S1C_S1E_T6_T7_T9_mT8_S1G_bDpT10_ENKUlT_T0_E_clISt17integral_constantIbLb0EES1U_EEDaS1P_S1Q_EUlS1P_E_NS1_11comp_targetILNS1_3genE8ELNS1_11target_archE1030ELNS1_3gpuE2ELNS1_3repE0EEENS1_30default_config_static_selectorELNS0_4arch9wavefront6targetE0EEEvS12_,comdat
	.globl	_ZN7rocprim17ROCPRIM_400000_NS6detail17trampoline_kernelINS0_13select_configILj256ELj13ELNS0_17block_load_methodE3ELS4_3ELS4_3ELNS0_20block_scan_algorithmE0ELj4294967295EEENS1_25partition_config_selectorILNS1_17partition_subalgoE4EjNS0_10empty_typeEbEEZZNS1_14partition_implILS8_4ELb0ES6_15HIP_vector_typeIjLj2EENS0_17counting_iteratorIjlEEPS9_SG_NS0_5tupleIJPjSI_NS0_16reverse_iteratorISI_EEEEENSH_IJSG_SG_SG_EEES9_SI_JZNS1_25segmented_radix_sort_implINS0_14default_configELb1EPKfPfPKlPlN2at6native12_GLOBAL__N_18offset_tEEE10hipError_tPvRmT1_PNSt15iterator_traitsIS12_E10value_typeET2_T3_PNS13_IS18_E10value_typeET4_jRbjT5_S1E_jjP12ihipStream_tbEUljE_ZNSN_ISO_Lb1ESQ_SR_ST_SU_SY_EESZ_S10_S11_S12_S16_S17_S18_S1B_S1C_jS1D_jS1E_S1E_jjS1G_bEUljE0_EEESZ_S10_S11_S18_S1C_S1E_T6_T7_T9_mT8_S1G_bDpT10_ENKUlT_T0_E_clISt17integral_constantIbLb0EES1U_EEDaS1P_S1Q_EUlS1P_E_NS1_11comp_targetILNS1_3genE8ELNS1_11target_archE1030ELNS1_3gpuE2ELNS1_3repE0EEENS1_30default_config_static_selectorELNS0_4arch9wavefront6targetE0EEEvS12_ ; -- Begin function _ZN7rocprim17ROCPRIM_400000_NS6detail17trampoline_kernelINS0_13select_configILj256ELj13ELNS0_17block_load_methodE3ELS4_3ELS4_3ELNS0_20block_scan_algorithmE0ELj4294967295EEENS1_25partition_config_selectorILNS1_17partition_subalgoE4EjNS0_10empty_typeEbEEZZNS1_14partition_implILS8_4ELb0ES6_15HIP_vector_typeIjLj2EENS0_17counting_iteratorIjlEEPS9_SG_NS0_5tupleIJPjSI_NS0_16reverse_iteratorISI_EEEEENSH_IJSG_SG_SG_EEES9_SI_JZNS1_25segmented_radix_sort_implINS0_14default_configELb1EPKfPfPKlPlN2at6native12_GLOBAL__N_18offset_tEEE10hipError_tPvRmT1_PNSt15iterator_traitsIS12_E10value_typeET2_T3_PNS13_IS18_E10value_typeET4_jRbjT5_S1E_jjP12ihipStream_tbEUljE_ZNSN_ISO_Lb1ESQ_SR_ST_SU_SY_EESZ_S10_S11_S12_S16_S17_S18_S1B_S1C_jS1D_jS1E_S1E_jjS1G_bEUljE0_EEESZ_S10_S11_S18_S1C_S1E_T6_T7_T9_mT8_S1G_bDpT10_ENKUlT_T0_E_clISt17integral_constantIbLb0EES1U_EEDaS1P_S1Q_EUlS1P_E_NS1_11comp_targetILNS1_3genE8ELNS1_11target_archE1030ELNS1_3gpuE2ELNS1_3repE0EEENS1_30default_config_static_selectorELNS0_4arch9wavefront6targetE0EEEvS12_
	.p2align	8
	.type	_ZN7rocprim17ROCPRIM_400000_NS6detail17trampoline_kernelINS0_13select_configILj256ELj13ELNS0_17block_load_methodE3ELS4_3ELS4_3ELNS0_20block_scan_algorithmE0ELj4294967295EEENS1_25partition_config_selectorILNS1_17partition_subalgoE4EjNS0_10empty_typeEbEEZZNS1_14partition_implILS8_4ELb0ES6_15HIP_vector_typeIjLj2EENS0_17counting_iteratorIjlEEPS9_SG_NS0_5tupleIJPjSI_NS0_16reverse_iteratorISI_EEEEENSH_IJSG_SG_SG_EEES9_SI_JZNS1_25segmented_radix_sort_implINS0_14default_configELb1EPKfPfPKlPlN2at6native12_GLOBAL__N_18offset_tEEE10hipError_tPvRmT1_PNSt15iterator_traitsIS12_E10value_typeET2_T3_PNS13_IS18_E10value_typeET4_jRbjT5_S1E_jjP12ihipStream_tbEUljE_ZNSN_ISO_Lb1ESQ_SR_ST_SU_SY_EESZ_S10_S11_S12_S16_S17_S18_S1B_S1C_jS1D_jS1E_S1E_jjS1G_bEUljE0_EEESZ_S10_S11_S18_S1C_S1E_T6_T7_T9_mT8_S1G_bDpT10_ENKUlT_T0_E_clISt17integral_constantIbLb0EES1U_EEDaS1P_S1Q_EUlS1P_E_NS1_11comp_targetILNS1_3genE8ELNS1_11target_archE1030ELNS1_3gpuE2ELNS1_3repE0EEENS1_30default_config_static_selectorELNS0_4arch9wavefront6targetE0EEEvS12_,@function
_ZN7rocprim17ROCPRIM_400000_NS6detail17trampoline_kernelINS0_13select_configILj256ELj13ELNS0_17block_load_methodE3ELS4_3ELS4_3ELNS0_20block_scan_algorithmE0ELj4294967295EEENS1_25partition_config_selectorILNS1_17partition_subalgoE4EjNS0_10empty_typeEbEEZZNS1_14partition_implILS8_4ELb0ES6_15HIP_vector_typeIjLj2EENS0_17counting_iteratorIjlEEPS9_SG_NS0_5tupleIJPjSI_NS0_16reverse_iteratorISI_EEEEENSH_IJSG_SG_SG_EEES9_SI_JZNS1_25segmented_radix_sort_implINS0_14default_configELb1EPKfPfPKlPlN2at6native12_GLOBAL__N_18offset_tEEE10hipError_tPvRmT1_PNSt15iterator_traitsIS12_E10value_typeET2_T3_PNS13_IS18_E10value_typeET4_jRbjT5_S1E_jjP12ihipStream_tbEUljE_ZNSN_ISO_Lb1ESQ_SR_ST_SU_SY_EESZ_S10_S11_S12_S16_S17_S18_S1B_S1C_jS1D_jS1E_S1E_jjS1G_bEUljE0_EEESZ_S10_S11_S18_S1C_S1E_T6_T7_T9_mT8_S1G_bDpT10_ENKUlT_T0_E_clISt17integral_constantIbLb0EES1U_EEDaS1P_S1Q_EUlS1P_E_NS1_11comp_targetILNS1_3genE8ELNS1_11target_archE1030ELNS1_3gpuE2ELNS1_3repE0EEENS1_30default_config_static_selectorELNS0_4arch9wavefront6targetE0EEEvS12_: ; @_ZN7rocprim17ROCPRIM_400000_NS6detail17trampoline_kernelINS0_13select_configILj256ELj13ELNS0_17block_load_methodE3ELS4_3ELS4_3ELNS0_20block_scan_algorithmE0ELj4294967295EEENS1_25partition_config_selectorILNS1_17partition_subalgoE4EjNS0_10empty_typeEbEEZZNS1_14partition_implILS8_4ELb0ES6_15HIP_vector_typeIjLj2EENS0_17counting_iteratorIjlEEPS9_SG_NS0_5tupleIJPjSI_NS0_16reverse_iteratorISI_EEEEENSH_IJSG_SG_SG_EEES9_SI_JZNS1_25segmented_radix_sort_implINS0_14default_configELb1EPKfPfPKlPlN2at6native12_GLOBAL__N_18offset_tEEE10hipError_tPvRmT1_PNSt15iterator_traitsIS12_E10value_typeET2_T3_PNS13_IS18_E10value_typeET4_jRbjT5_S1E_jjP12ihipStream_tbEUljE_ZNSN_ISO_Lb1ESQ_SR_ST_SU_SY_EESZ_S10_S11_S12_S16_S17_S18_S1B_S1C_jS1D_jS1E_S1E_jjS1G_bEUljE0_EEESZ_S10_S11_S18_S1C_S1E_T6_T7_T9_mT8_S1G_bDpT10_ENKUlT_T0_E_clISt17integral_constantIbLb0EES1U_EEDaS1P_S1Q_EUlS1P_E_NS1_11comp_targetILNS1_3genE8ELNS1_11target_archE1030ELNS1_3gpuE2ELNS1_3repE0EEENS1_30default_config_static_selectorELNS0_4arch9wavefront6targetE0EEEvS12_
; %bb.0:
	.section	.rodata,"a",@progbits
	.p2align	6, 0x0
	.amdhsa_kernel _ZN7rocprim17ROCPRIM_400000_NS6detail17trampoline_kernelINS0_13select_configILj256ELj13ELNS0_17block_load_methodE3ELS4_3ELS4_3ELNS0_20block_scan_algorithmE0ELj4294967295EEENS1_25partition_config_selectorILNS1_17partition_subalgoE4EjNS0_10empty_typeEbEEZZNS1_14partition_implILS8_4ELb0ES6_15HIP_vector_typeIjLj2EENS0_17counting_iteratorIjlEEPS9_SG_NS0_5tupleIJPjSI_NS0_16reverse_iteratorISI_EEEEENSH_IJSG_SG_SG_EEES9_SI_JZNS1_25segmented_radix_sort_implINS0_14default_configELb1EPKfPfPKlPlN2at6native12_GLOBAL__N_18offset_tEEE10hipError_tPvRmT1_PNSt15iterator_traitsIS12_E10value_typeET2_T3_PNS13_IS18_E10value_typeET4_jRbjT5_S1E_jjP12ihipStream_tbEUljE_ZNSN_ISO_Lb1ESQ_SR_ST_SU_SY_EESZ_S10_S11_S12_S16_S17_S18_S1B_S1C_jS1D_jS1E_S1E_jjS1G_bEUljE0_EEESZ_S10_S11_S18_S1C_S1E_T6_T7_T9_mT8_S1G_bDpT10_ENKUlT_T0_E_clISt17integral_constantIbLb0EES1U_EEDaS1P_S1Q_EUlS1P_E_NS1_11comp_targetILNS1_3genE8ELNS1_11target_archE1030ELNS1_3gpuE2ELNS1_3repE0EEENS1_30default_config_static_selectorELNS0_4arch9wavefront6targetE0EEEvS12_
		.amdhsa_group_segment_fixed_size 0
		.amdhsa_private_segment_fixed_size 0
		.amdhsa_kernarg_size 176
		.amdhsa_user_sgpr_count 2
		.amdhsa_user_sgpr_dispatch_ptr 0
		.amdhsa_user_sgpr_queue_ptr 0
		.amdhsa_user_sgpr_kernarg_segment_ptr 1
		.amdhsa_user_sgpr_dispatch_id 0
		.amdhsa_user_sgpr_private_segment_size 0
		.amdhsa_wavefront_size32 1
		.amdhsa_uses_dynamic_stack 0
		.amdhsa_enable_private_segment 0
		.amdhsa_system_sgpr_workgroup_id_x 1
		.amdhsa_system_sgpr_workgroup_id_y 0
		.amdhsa_system_sgpr_workgroup_id_z 0
		.amdhsa_system_sgpr_workgroup_info 0
		.amdhsa_system_vgpr_workitem_id 0
		.amdhsa_next_free_vgpr 1
		.amdhsa_next_free_sgpr 1
		.amdhsa_reserve_vcc 0
		.amdhsa_float_round_mode_32 0
		.amdhsa_float_round_mode_16_64 0
		.amdhsa_float_denorm_mode_32 3
		.amdhsa_float_denorm_mode_16_64 3
		.amdhsa_fp16_overflow 0
		.amdhsa_workgroup_processor_mode 1
		.amdhsa_memory_ordered 1
		.amdhsa_forward_progress 1
		.amdhsa_inst_pref_size 0
		.amdhsa_round_robin_scheduling 0
		.amdhsa_exception_fp_ieee_invalid_op 0
		.amdhsa_exception_fp_denorm_src 0
		.amdhsa_exception_fp_ieee_div_zero 0
		.amdhsa_exception_fp_ieee_overflow 0
		.amdhsa_exception_fp_ieee_underflow 0
		.amdhsa_exception_fp_ieee_inexact 0
		.amdhsa_exception_int_div_zero 0
	.end_amdhsa_kernel
	.section	.text._ZN7rocprim17ROCPRIM_400000_NS6detail17trampoline_kernelINS0_13select_configILj256ELj13ELNS0_17block_load_methodE3ELS4_3ELS4_3ELNS0_20block_scan_algorithmE0ELj4294967295EEENS1_25partition_config_selectorILNS1_17partition_subalgoE4EjNS0_10empty_typeEbEEZZNS1_14partition_implILS8_4ELb0ES6_15HIP_vector_typeIjLj2EENS0_17counting_iteratorIjlEEPS9_SG_NS0_5tupleIJPjSI_NS0_16reverse_iteratorISI_EEEEENSH_IJSG_SG_SG_EEES9_SI_JZNS1_25segmented_radix_sort_implINS0_14default_configELb1EPKfPfPKlPlN2at6native12_GLOBAL__N_18offset_tEEE10hipError_tPvRmT1_PNSt15iterator_traitsIS12_E10value_typeET2_T3_PNS13_IS18_E10value_typeET4_jRbjT5_S1E_jjP12ihipStream_tbEUljE_ZNSN_ISO_Lb1ESQ_SR_ST_SU_SY_EESZ_S10_S11_S12_S16_S17_S18_S1B_S1C_jS1D_jS1E_S1E_jjS1G_bEUljE0_EEESZ_S10_S11_S18_S1C_S1E_T6_T7_T9_mT8_S1G_bDpT10_ENKUlT_T0_E_clISt17integral_constantIbLb0EES1U_EEDaS1P_S1Q_EUlS1P_E_NS1_11comp_targetILNS1_3genE8ELNS1_11target_archE1030ELNS1_3gpuE2ELNS1_3repE0EEENS1_30default_config_static_selectorELNS0_4arch9wavefront6targetE0EEEvS12_,"axG",@progbits,_ZN7rocprim17ROCPRIM_400000_NS6detail17trampoline_kernelINS0_13select_configILj256ELj13ELNS0_17block_load_methodE3ELS4_3ELS4_3ELNS0_20block_scan_algorithmE0ELj4294967295EEENS1_25partition_config_selectorILNS1_17partition_subalgoE4EjNS0_10empty_typeEbEEZZNS1_14partition_implILS8_4ELb0ES6_15HIP_vector_typeIjLj2EENS0_17counting_iteratorIjlEEPS9_SG_NS0_5tupleIJPjSI_NS0_16reverse_iteratorISI_EEEEENSH_IJSG_SG_SG_EEES9_SI_JZNS1_25segmented_radix_sort_implINS0_14default_configELb1EPKfPfPKlPlN2at6native12_GLOBAL__N_18offset_tEEE10hipError_tPvRmT1_PNSt15iterator_traitsIS12_E10value_typeET2_T3_PNS13_IS18_E10value_typeET4_jRbjT5_S1E_jjP12ihipStream_tbEUljE_ZNSN_ISO_Lb1ESQ_SR_ST_SU_SY_EESZ_S10_S11_S12_S16_S17_S18_S1B_S1C_jS1D_jS1E_S1E_jjS1G_bEUljE0_EEESZ_S10_S11_S18_S1C_S1E_T6_T7_T9_mT8_S1G_bDpT10_ENKUlT_T0_E_clISt17integral_constantIbLb0EES1U_EEDaS1P_S1Q_EUlS1P_E_NS1_11comp_targetILNS1_3genE8ELNS1_11target_archE1030ELNS1_3gpuE2ELNS1_3repE0EEENS1_30default_config_static_selectorELNS0_4arch9wavefront6targetE0EEEvS12_,comdat
.Lfunc_end1268:
	.size	_ZN7rocprim17ROCPRIM_400000_NS6detail17trampoline_kernelINS0_13select_configILj256ELj13ELNS0_17block_load_methodE3ELS4_3ELS4_3ELNS0_20block_scan_algorithmE0ELj4294967295EEENS1_25partition_config_selectorILNS1_17partition_subalgoE4EjNS0_10empty_typeEbEEZZNS1_14partition_implILS8_4ELb0ES6_15HIP_vector_typeIjLj2EENS0_17counting_iteratorIjlEEPS9_SG_NS0_5tupleIJPjSI_NS0_16reverse_iteratorISI_EEEEENSH_IJSG_SG_SG_EEES9_SI_JZNS1_25segmented_radix_sort_implINS0_14default_configELb1EPKfPfPKlPlN2at6native12_GLOBAL__N_18offset_tEEE10hipError_tPvRmT1_PNSt15iterator_traitsIS12_E10value_typeET2_T3_PNS13_IS18_E10value_typeET4_jRbjT5_S1E_jjP12ihipStream_tbEUljE_ZNSN_ISO_Lb1ESQ_SR_ST_SU_SY_EESZ_S10_S11_S12_S16_S17_S18_S1B_S1C_jS1D_jS1E_S1E_jjS1G_bEUljE0_EEESZ_S10_S11_S18_S1C_S1E_T6_T7_T9_mT8_S1G_bDpT10_ENKUlT_T0_E_clISt17integral_constantIbLb0EES1U_EEDaS1P_S1Q_EUlS1P_E_NS1_11comp_targetILNS1_3genE8ELNS1_11target_archE1030ELNS1_3gpuE2ELNS1_3repE0EEENS1_30default_config_static_selectorELNS0_4arch9wavefront6targetE0EEEvS12_, .Lfunc_end1268-_ZN7rocprim17ROCPRIM_400000_NS6detail17trampoline_kernelINS0_13select_configILj256ELj13ELNS0_17block_load_methodE3ELS4_3ELS4_3ELNS0_20block_scan_algorithmE0ELj4294967295EEENS1_25partition_config_selectorILNS1_17partition_subalgoE4EjNS0_10empty_typeEbEEZZNS1_14partition_implILS8_4ELb0ES6_15HIP_vector_typeIjLj2EENS0_17counting_iteratorIjlEEPS9_SG_NS0_5tupleIJPjSI_NS0_16reverse_iteratorISI_EEEEENSH_IJSG_SG_SG_EEES9_SI_JZNS1_25segmented_radix_sort_implINS0_14default_configELb1EPKfPfPKlPlN2at6native12_GLOBAL__N_18offset_tEEE10hipError_tPvRmT1_PNSt15iterator_traitsIS12_E10value_typeET2_T3_PNS13_IS18_E10value_typeET4_jRbjT5_S1E_jjP12ihipStream_tbEUljE_ZNSN_ISO_Lb1ESQ_SR_ST_SU_SY_EESZ_S10_S11_S12_S16_S17_S18_S1B_S1C_jS1D_jS1E_S1E_jjS1G_bEUljE0_EEESZ_S10_S11_S18_S1C_S1E_T6_T7_T9_mT8_S1G_bDpT10_ENKUlT_T0_E_clISt17integral_constantIbLb0EES1U_EEDaS1P_S1Q_EUlS1P_E_NS1_11comp_targetILNS1_3genE8ELNS1_11target_archE1030ELNS1_3gpuE2ELNS1_3repE0EEENS1_30default_config_static_selectorELNS0_4arch9wavefront6targetE0EEEvS12_
                                        ; -- End function
	.set _ZN7rocprim17ROCPRIM_400000_NS6detail17trampoline_kernelINS0_13select_configILj256ELj13ELNS0_17block_load_methodE3ELS4_3ELS4_3ELNS0_20block_scan_algorithmE0ELj4294967295EEENS1_25partition_config_selectorILNS1_17partition_subalgoE4EjNS0_10empty_typeEbEEZZNS1_14partition_implILS8_4ELb0ES6_15HIP_vector_typeIjLj2EENS0_17counting_iteratorIjlEEPS9_SG_NS0_5tupleIJPjSI_NS0_16reverse_iteratorISI_EEEEENSH_IJSG_SG_SG_EEES9_SI_JZNS1_25segmented_radix_sort_implINS0_14default_configELb1EPKfPfPKlPlN2at6native12_GLOBAL__N_18offset_tEEE10hipError_tPvRmT1_PNSt15iterator_traitsIS12_E10value_typeET2_T3_PNS13_IS18_E10value_typeET4_jRbjT5_S1E_jjP12ihipStream_tbEUljE_ZNSN_ISO_Lb1ESQ_SR_ST_SU_SY_EESZ_S10_S11_S12_S16_S17_S18_S1B_S1C_jS1D_jS1E_S1E_jjS1G_bEUljE0_EEESZ_S10_S11_S18_S1C_S1E_T6_T7_T9_mT8_S1G_bDpT10_ENKUlT_T0_E_clISt17integral_constantIbLb0EES1U_EEDaS1P_S1Q_EUlS1P_E_NS1_11comp_targetILNS1_3genE8ELNS1_11target_archE1030ELNS1_3gpuE2ELNS1_3repE0EEENS1_30default_config_static_selectorELNS0_4arch9wavefront6targetE0EEEvS12_.num_vgpr, 0
	.set _ZN7rocprim17ROCPRIM_400000_NS6detail17trampoline_kernelINS0_13select_configILj256ELj13ELNS0_17block_load_methodE3ELS4_3ELS4_3ELNS0_20block_scan_algorithmE0ELj4294967295EEENS1_25partition_config_selectorILNS1_17partition_subalgoE4EjNS0_10empty_typeEbEEZZNS1_14partition_implILS8_4ELb0ES6_15HIP_vector_typeIjLj2EENS0_17counting_iteratorIjlEEPS9_SG_NS0_5tupleIJPjSI_NS0_16reverse_iteratorISI_EEEEENSH_IJSG_SG_SG_EEES9_SI_JZNS1_25segmented_radix_sort_implINS0_14default_configELb1EPKfPfPKlPlN2at6native12_GLOBAL__N_18offset_tEEE10hipError_tPvRmT1_PNSt15iterator_traitsIS12_E10value_typeET2_T3_PNS13_IS18_E10value_typeET4_jRbjT5_S1E_jjP12ihipStream_tbEUljE_ZNSN_ISO_Lb1ESQ_SR_ST_SU_SY_EESZ_S10_S11_S12_S16_S17_S18_S1B_S1C_jS1D_jS1E_S1E_jjS1G_bEUljE0_EEESZ_S10_S11_S18_S1C_S1E_T6_T7_T9_mT8_S1G_bDpT10_ENKUlT_T0_E_clISt17integral_constantIbLb0EES1U_EEDaS1P_S1Q_EUlS1P_E_NS1_11comp_targetILNS1_3genE8ELNS1_11target_archE1030ELNS1_3gpuE2ELNS1_3repE0EEENS1_30default_config_static_selectorELNS0_4arch9wavefront6targetE0EEEvS12_.num_agpr, 0
	.set _ZN7rocprim17ROCPRIM_400000_NS6detail17trampoline_kernelINS0_13select_configILj256ELj13ELNS0_17block_load_methodE3ELS4_3ELS4_3ELNS0_20block_scan_algorithmE0ELj4294967295EEENS1_25partition_config_selectorILNS1_17partition_subalgoE4EjNS0_10empty_typeEbEEZZNS1_14partition_implILS8_4ELb0ES6_15HIP_vector_typeIjLj2EENS0_17counting_iteratorIjlEEPS9_SG_NS0_5tupleIJPjSI_NS0_16reverse_iteratorISI_EEEEENSH_IJSG_SG_SG_EEES9_SI_JZNS1_25segmented_radix_sort_implINS0_14default_configELb1EPKfPfPKlPlN2at6native12_GLOBAL__N_18offset_tEEE10hipError_tPvRmT1_PNSt15iterator_traitsIS12_E10value_typeET2_T3_PNS13_IS18_E10value_typeET4_jRbjT5_S1E_jjP12ihipStream_tbEUljE_ZNSN_ISO_Lb1ESQ_SR_ST_SU_SY_EESZ_S10_S11_S12_S16_S17_S18_S1B_S1C_jS1D_jS1E_S1E_jjS1G_bEUljE0_EEESZ_S10_S11_S18_S1C_S1E_T6_T7_T9_mT8_S1G_bDpT10_ENKUlT_T0_E_clISt17integral_constantIbLb0EES1U_EEDaS1P_S1Q_EUlS1P_E_NS1_11comp_targetILNS1_3genE8ELNS1_11target_archE1030ELNS1_3gpuE2ELNS1_3repE0EEENS1_30default_config_static_selectorELNS0_4arch9wavefront6targetE0EEEvS12_.numbered_sgpr, 0
	.set _ZN7rocprim17ROCPRIM_400000_NS6detail17trampoline_kernelINS0_13select_configILj256ELj13ELNS0_17block_load_methodE3ELS4_3ELS4_3ELNS0_20block_scan_algorithmE0ELj4294967295EEENS1_25partition_config_selectorILNS1_17partition_subalgoE4EjNS0_10empty_typeEbEEZZNS1_14partition_implILS8_4ELb0ES6_15HIP_vector_typeIjLj2EENS0_17counting_iteratorIjlEEPS9_SG_NS0_5tupleIJPjSI_NS0_16reverse_iteratorISI_EEEEENSH_IJSG_SG_SG_EEES9_SI_JZNS1_25segmented_radix_sort_implINS0_14default_configELb1EPKfPfPKlPlN2at6native12_GLOBAL__N_18offset_tEEE10hipError_tPvRmT1_PNSt15iterator_traitsIS12_E10value_typeET2_T3_PNS13_IS18_E10value_typeET4_jRbjT5_S1E_jjP12ihipStream_tbEUljE_ZNSN_ISO_Lb1ESQ_SR_ST_SU_SY_EESZ_S10_S11_S12_S16_S17_S18_S1B_S1C_jS1D_jS1E_S1E_jjS1G_bEUljE0_EEESZ_S10_S11_S18_S1C_S1E_T6_T7_T9_mT8_S1G_bDpT10_ENKUlT_T0_E_clISt17integral_constantIbLb0EES1U_EEDaS1P_S1Q_EUlS1P_E_NS1_11comp_targetILNS1_3genE8ELNS1_11target_archE1030ELNS1_3gpuE2ELNS1_3repE0EEENS1_30default_config_static_selectorELNS0_4arch9wavefront6targetE0EEEvS12_.num_named_barrier, 0
	.set _ZN7rocprim17ROCPRIM_400000_NS6detail17trampoline_kernelINS0_13select_configILj256ELj13ELNS0_17block_load_methodE3ELS4_3ELS4_3ELNS0_20block_scan_algorithmE0ELj4294967295EEENS1_25partition_config_selectorILNS1_17partition_subalgoE4EjNS0_10empty_typeEbEEZZNS1_14partition_implILS8_4ELb0ES6_15HIP_vector_typeIjLj2EENS0_17counting_iteratorIjlEEPS9_SG_NS0_5tupleIJPjSI_NS0_16reverse_iteratorISI_EEEEENSH_IJSG_SG_SG_EEES9_SI_JZNS1_25segmented_radix_sort_implINS0_14default_configELb1EPKfPfPKlPlN2at6native12_GLOBAL__N_18offset_tEEE10hipError_tPvRmT1_PNSt15iterator_traitsIS12_E10value_typeET2_T3_PNS13_IS18_E10value_typeET4_jRbjT5_S1E_jjP12ihipStream_tbEUljE_ZNSN_ISO_Lb1ESQ_SR_ST_SU_SY_EESZ_S10_S11_S12_S16_S17_S18_S1B_S1C_jS1D_jS1E_S1E_jjS1G_bEUljE0_EEESZ_S10_S11_S18_S1C_S1E_T6_T7_T9_mT8_S1G_bDpT10_ENKUlT_T0_E_clISt17integral_constantIbLb0EES1U_EEDaS1P_S1Q_EUlS1P_E_NS1_11comp_targetILNS1_3genE8ELNS1_11target_archE1030ELNS1_3gpuE2ELNS1_3repE0EEENS1_30default_config_static_selectorELNS0_4arch9wavefront6targetE0EEEvS12_.private_seg_size, 0
	.set _ZN7rocprim17ROCPRIM_400000_NS6detail17trampoline_kernelINS0_13select_configILj256ELj13ELNS0_17block_load_methodE3ELS4_3ELS4_3ELNS0_20block_scan_algorithmE0ELj4294967295EEENS1_25partition_config_selectorILNS1_17partition_subalgoE4EjNS0_10empty_typeEbEEZZNS1_14partition_implILS8_4ELb0ES6_15HIP_vector_typeIjLj2EENS0_17counting_iteratorIjlEEPS9_SG_NS0_5tupleIJPjSI_NS0_16reverse_iteratorISI_EEEEENSH_IJSG_SG_SG_EEES9_SI_JZNS1_25segmented_radix_sort_implINS0_14default_configELb1EPKfPfPKlPlN2at6native12_GLOBAL__N_18offset_tEEE10hipError_tPvRmT1_PNSt15iterator_traitsIS12_E10value_typeET2_T3_PNS13_IS18_E10value_typeET4_jRbjT5_S1E_jjP12ihipStream_tbEUljE_ZNSN_ISO_Lb1ESQ_SR_ST_SU_SY_EESZ_S10_S11_S12_S16_S17_S18_S1B_S1C_jS1D_jS1E_S1E_jjS1G_bEUljE0_EEESZ_S10_S11_S18_S1C_S1E_T6_T7_T9_mT8_S1G_bDpT10_ENKUlT_T0_E_clISt17integral_constantIbLb0EES1U_EEDaS1P_S1Q_EUlS1P_E_NS1_11comp_targetILNS1_3genE8ELNS1_11target_archE1030ELNS1_3gpuE2ELNS1_3repE0EEENS1_30default_config_static_selectorELNS0_4arch9wavefront6targetE0EEEvS12_.uses_vcc, 0
	.set _ZN7rocprim17ROCPRIM_400000_NS6detail17trampoline_kernelINS0_13select_configILj256ELj13ELNS0_17block_load_methodE3ELS4_3ELS4_3ELNS0_20block_scan_algorithmE0ELj4294967295EEENS1_25partition_config_selectorILNS1_17partition_subalgoE4EjNS0_10empty_typeEbEEZZNS1_14partition_implILS8_4ELb0ES6_15HIP_vector_typeIjLj2EENS0_17counting_iteratorIjlEEPS9_SG_NS0_5tupleIJPjSI_NS0_16reverse_iteratorISI_EEEEENSH_IJSG_SG_SG_EEES9_SI_JZNS1_25segmented_radix_sort_implINS0_14default_configELb1EPKfPfPKlPlN2at6native12_GLOBAL__N_18offset_tEEE10hipError_tPvRmT1_PNSt15iterator_traitsIS12_E10value_typeET2_T3_PNS13_IS18_E10value_typeET4_jRbjT5_S1E_jjP12ihipStream_tbEUljE_ZNSN_ISO_Lb1ESQ_SR_ST_SU_SY_EESZ_S10_S11_S12_S16_S17_S18_S1B_S1C_jS1D_jS1E_S1E_jjS1G_bEUljE0_EEESZ_S10_S11_S18_S1C_S1E_T6_T7_T9_mT8_S1G_bDpT10_ENKUlT_T0_E_clISt17integral_constantIbLb0EES1U_EEDaS1P_S1Q_EUlS1P_E_NS1_11comp_targetILNS1_3genE8ELNS1_11target_archE1030ELNS1_3gpuE2ELNS1_3repE0EEENS1_30default_config_static_selectorELNS0_4arch9wavefront6targetE0EEEvS12_.uses_flat_scratch, 0
	.set _ZN7rocprim17ROCPRIM_400000_NS6detail17trampoline_kernelINS0_13select_configILj256ELj13ELNS0_17block_load_methodE3ELS4_3ELS4_3ELNS0_20block_scan_algorithmE0ELj4294967295EEENS1_25partition_config_selectorILNS1_17partition_subalgoE4EjNS0_10empty_typeEbEEZZNS1_14partition_implILS8_4ELb0ES6_15HIP_vector_typeIjLj2EENS0_17counting_iteratorIjlEEPS9_SG_NS0_5tupleIJPjSI_NS0_16reverse_iteratorISI_EEEEENSH_IJSG_SG_SG_EEES9_SI_JZNS1_25segmented_radix_sort_implINS0_14default_configELb1EPKfPfPKlPlN2at6native12_GLOBAL__N_18offset_tEEE10hipError_tPvRmT1_PNSt15iterator_traitsIS12_E10value_typeET2_T3_PNS13_IS18_E10value_typeET4_jRbjT5_S1E_jjP12ihipStream_tbEUljE_ZNSN_ISO_Lb1ESQ_SR_ST_SU_SY_EESZ_S10_S11_S12_S16_S17_S18_S1B_S1C_jS1D_jS1E_S1E_jjS1G_bEUljE0_EEESZ_S10_S11_S18_S1C_S1E_T6_T7_T9_mT8_S1G_bDpT10_ENKUlT_T0_E_clISt17integral_constantIbLb0EES1U_EEDaS1P_S1Q_EUlS1P_E_NS1_11comp_targetILNS1_3genE8ELNS1_11target_archE1030ELNS1_3gpuE2ELNS1_3repE0EEENS1_30default_config_static_selectorELNS0_4arch9wavefront6targetE0EEEvS12_.has_dyn_sized_stack, 0
	.set _ZN7rocprim17ROCPRIM_400000_NS6detail17trampoline_kernelINS0_13select_configILj256ELj13ELNS0_17block_load_methodE3ELS4_3ELS4_3ELNS0_20block_scan_algorithmE0ELj4294967295EEENS1_25partition_config_selectorILNS1_17partition_subalgoE4EjNS0_10empty_typeEbEEZZNS1_14partition_implILS8_4ELb0ES6_15HIP_vector_typeIjLj2EENS0_17counting_iteratorIjlEEPS9_SG_NS0_5tupleIJPjSI_NS0_16reverse_iteratorISI_EEEEENSH_IJSG_SG_SG_EEES9_SI_JZNS1_25segmented_radix_sort_implINS0_14default_configELb1EPKfPfPKlPlN2at6native12_GLOBAL__N_18offset_tEEE10hipError_tPvRmT1_PNSt15iterator_traitsIS12_E10value_typeET2_T3_PNS13_IS18_E10value_typeET4_jRbjT5_S1E_jjP12ihipStream_tbEUljE_ZNSN_ISO_Lb1ESQ_SR_ST_SU_SY_EESZ_S10_S11_S12_S16_S17_S18_S1B_S1C_jS1D_jS1E_S1E_jjS1G_bEUljE0_EEESZ_S10_S11_S18_S1C_S1E_T6_T7_T9_mT8_S1G_bDpT10_ENKUlT_T0_E_clISt17integral_constantIbLb0EES1U_EEDaS1P_S1Q_EUlS1P_E_NS1_11comp_targetILNS1_3genE8ELNS1_11target_archE1030ELNS1_3gpuE2ELNS1_3repE0EEENS1_30default_config_static_selectorELNS0_4arch9wavefront6targetE0EEEvS12_.has_recursion, 0
	.set _ZN7rocprim17ROCPRIM_400000_NS6detail17trampoline_kernelINS0_13select_configILj256ELj13ELNS0_17block_load_methodE3ELS4_3ELS4_3ELNS0_20block_scan_algorithmE0ELj4294967295EEENS1_25partition_config_selectorILNS1_17partition_subalgoE4EjNS0_10empty_typeEbEEZZNS1_14partition_implILS8_4ELb0ES6_15HIP_vector_typeIjLj2EENS0_17counting_iteratorIjlEEPS9_SG_NS0_5tupleIJPjSI_NS0_16reverse_iteratorISI_EEEEENSH_IJSG_SG_SG_EEES9_SI_JZNS1_25segmented_radix_sort_implINS0_14default_configELb1EPKfPfPKlPlN2at6native12_GLOBAL__N_18offset_tEEE10hipError_tPvRmT1_PNSt15iterator_traitsIS12_E10value_typeET2_T3_PNS13_IS18_E10value_typeET4_jRbjT5_S1E_jjP12ihipStream_tbEUljE_ZNSN_ISO_Lb1ESQ_SR_ST_SU_SY_EESZ_S10_S11_S12_S16_S17_S18_S1B_S1C_jS1D_jS1E_S1E_jjS1G_bEUljE0_EEESZ_S10_S11_S18_S1C_S1E_T6_T7_T9_mT8_S1G_bDpT10_ENKUlT_T0_E_clISt17integral_constantIbLb0EES1U_EEDaS1P_S1Q_EUlS1P_E_NS1_11comp_targetILNS1_3genE8ELNS1_11target_archE1030ELNS1_3gpuE2ELNS1_3repE0EEENS1_30default_config_static_selectorELNS0_4arch9wavefront6targetE0EEEvS12_.has_indirect_call, 0
	.section	.AMDGPU.csdata,"",@progbits
; Kernel info:
; codeLenInByte = 0
; TotalNumSgprs: 0
; NumVgprs: 0
; ScratchSize: 0
; MemoryBound: 0
; FloatMode: 240
; IeeeMode: 1
; LDSByteSize: 0 bytes/workgroup (compile time only)
; SGPRBlocks: 0
; VGPRBlocks: 0
; NumSGPRsForWavesPerEU: 1
; NumVGPRsForWavesPerEU: 1
; Occupancy: 16
; WaveLimiterHint : 0
; COMPUTE_PGM_RSRC2:SCRATCH_EN: 0
; COMPUTE_PGM_RSRC2:USER_SGPR: 2
; COMPUTE_PGM_RSRC2:TRAP_HANDLER: 0
; COMPUTE_PGM_RSRC2:TGID_X_EN: 1
; COMPUTE_PGM_RSRC2:TGID_Y_EN: 0
; COMPUTE_PGM_RSRC2:TGID_Z_EN: 0
; COMPUTE_PGM_RSRC2:TIDIG_COMP_CNT: 0
	.section	.text._ZN7rocprim17ROCPRIM_400000_NS6detail17trampoline_kernelINS0_13select_configILj256ELj13ELNS0_17block_load_methodE3ELS4_3ELS4_3ELNS0_20block_scan_algorithmE0ELj4294967295EEENS1_25partition_config_selectorILNS1_17partition_subalgoE4EjNS0_10empty_typeEbEEZZNS1_14partition_implILS8_4ELb0ES6_15HIP_vector_typeIjLj2EENS0_17counting_iteratorIjlEEPS9_SG_NS0_5tupleIJPjSI_NS0_16reverse_iteratorISI_EEEEENSH_IJSG_SG_SG_EEES9_SI_JZNS1_25segmented_radix_sort_implINS0_14default_configELb1EPKfPfPKlPlN2at6native12_GLOBAL__N_18offset_tEEE10hipError_tPvRmT1_PNSt15iterator_traitsIS12_E10value_typeET2_T3_PNS13_IS18_E10value_typeET4_jRbjT5_S1E_jjP12ihipStream_tbEUljE_ZNSN_ISO_Lb1ESQ_SR_ST_SU_SY_EESZ_S10_S11_S12_S16_S17_S18_S1B_S1C_jS1D_jS1E_S1E_jjS1G_bEUljE0_EEESZ_S10_S11_S18_S1C_S1E_T6_T7_T9_mT8_S1G_bDpT10_ENKUlT_T0_E_clISt17integral_constantIbLb1EES1U_EEDaS1P_S1Q_EUlS1P_E_NS1_11comp_targetILNS1_3genE0ELNS1_11target_archE4294967295ELNS1_3gpuE0ELNS1_3repE0EEENS1_30default_config_static_selectorELNS0_4arch9wavefront6targetE0EEEvS12_,"axG",@progbits,_ZN7rocprim17ROCPRIM_400000_NS6detail17trampoline_kernelINS0_13select_configILj256ELj13ELNS0_17block_load_methodE3ELS4_3ELS4_3ELNS0_20block_scan_algorithmE0ELj4294967295EEENS1_25partition_config_selectorILNS1_17partition_subalgoE4EjNS0_10empty_typeEbEEZZNS1_14partition_implILS8_4ELb0ES6_15HIP_vector_typeIjLj2EENS0_17counting_iteratorIjlEEPS9_SG_NS0_5tupleIJPjSI_NS0_16reverse_iteratorISI_EEEEENSH_IJSG_SG_SG_EEES9_SI_JZNS1_25segmented_radix_sort_implINS0_14default_configELb1EPKfPfPKlPlN2at6native12_GLOBAL__N_18offset_tEEE10hipError_tPvRmT1_PNSt15iterator_traitsIS12_E10value_typeET2_T3_PNS13_IS18_E10value_typeET4_jRbjT5_S1E_jjP12ihipStream_tbEUljE_ZNSN_ISO_Lb1ESQ_SR_ST_SU_SY_EESZ_S10_S11_S12_S16_S17_S18_S1B_S1C_jS1D_jS1E_S1E_jjS1G_bEUljE0_EEESZ_S10_S11_S18_S1C_S1E_T6_T7_T9_mT8_S1G_bDpT10_ENKUlT_T0_E_clISt17integral_constantIbLb1EES1U_EEDaS1P_S1Q_EUlS1P_E_NS1_11comp_targetILNS1_3genE0ELNS1_11target_archE4294967295ELNS1_3gpuE0ELNS1_3repE0EEENS1_30default_config_static_selectorELNS0_4arch9wavefront6targetE0EEEvS12_,comdat
	.globl	_ZN7rocprim17ROCPRIM_400000_NS6detail17trampoline_kernelINS0_13select_configILj256ELj13ELNS0_17block_load_methodE3ELS4_3ELS4_3ELNS0_20block_scan_algorithmE0ELj4294967295EEENS1_25partition_config_selectorILNS1_17partition_subalgoE4EjNS0_10empty_typeEbEEZZNS1_14partition_implILS8_4ELb0ES6_15HIP_vector_typeIjLj2EENS0_17counting_iteratorIjlEEPS9_SG_NS0_5tupleIJPjSI_NS0_16reverse_iteratorISI_EEEEENSH_IJSG_SG_SG_EEES9_SI_JZNS1_25segmented_radix_sort_implINS0_14default_configELb1EPKfPfPKlPlN2at6native12_GLOBAL__N_18offset_tEEE10hipError_tPvRmT1_PNSt15iterator_traitsIS12_E10value_typeET2_T3_PNS13_IS18_E10value_typeET4_jRbjT5_S1E_jjP12ihipStream_tbEUljE_ZNSN_ISO_Lb1ESQ_SR_ST_SU_SY_EESZ_S10_S11_S12_S16_S17_S18_S1B_S1C_jS1D_jS1E_S1E_jjS1G_bEUljE0_EEESZ_S10_S11_S18_S1C_S1E_T6_T7_T9_mT8_S1G_bDpT10_ENKUlT_T0_E_clISt17integral_constantIbLb1EES1U_EEDaS1P_S1Q_EUlS1P_E_NS1_11comp_targetILNS1_3genE0ELNS1_11target_archE4294967295ELNS1_3gpuE0ELNS1_3repE0EEENS1_30default_config_static_selectorELNS0_4arch9wavefront6targetE0EEEvS12_ ; -- Begin function _ZN7rocprim17ROCPRIM_400000_NS6detail17trampoline_kernelINS0_13select_configILj256ELj13ELNS0_17block_load_methodE3ELS4_3ELS4_3ELNS0_20block_scan_algorithmE0ELj4294967295EEENS1_25partition_config_selectorILNS1_17partition_subalgoE4EjNS0_10empty_typeEbEEZZNS1_14partition_implILS8_4ELb0ES6_15HIP_vector_typeIjLj2EENS0_17counting_iteratorIjlEEPS9_SG_NS0_5tupleIJPjSI_NS0_16reverse_iteratorISI_EEEEENSH_IJSG_SG_SG_EEES9_SI_JZNS1_25segmented_radix_sort_implINS0_14default_configELb1EPKfPfPKlPlN2at6native12_GLOBAL__N_18offset_tEEE10hipError_tPvRmT1_PNSt15iterator_traitsIS12_E10value_typeET2_T3_PNS13_IS18_E10value_typeET4_jRbjT5_S1E_jjP12ihipStream_tbEUljE_ZNSN_ISO_Lb1ESQ_SR_ST_SU_SY_EESZ_S10_S11_S12_S16_S17_S18_S1B_S1C_jS1D_jS1E_S1E_jjS1G_bEUljE0_EEESZ_S10_S11_S18_S1C_S1E_T6_T7_T9_mT8_S1G_bDpT10_ENKUlT_T0_E_clISt17integral_constantIbLb1EES1U_EEDaS1P_S1Q_EUlS1P_E_NS1_11comp_targetILNS1_3genE0ELNS1_11target_archE4294967295ELNS1_3gpuE0ELNS1_3repE0EEENS1_30default_config_static_selectorELNS0_4arch9wavefront6targetE0EEEvS12_
	.p2align	8
	.type	_ZN7rocprim17ROCPRIM_400000_NS6detail17trampoline_kernelINS0_13select_configILj256ELj13ELNS0_17block_load_methodE3ELS4_3ELS4_3ELNS0_20block_scan_algorithmE0ELj4294967295EEENS1_25partition_config_selectorILNS1_17partition_subalgoE4EjNS0_10empty_typeEbEEZZNS1_14partition_implILS8_4ELb0ES6_15HIP_vector_typeIjLj2EENS0_17counting_iteratorIjlEEPS9_SG_NS0_5tupleIJPjSI_NS0_16reverse_iteratorISI_EEEEENSH_IJSG_SG_SG_EEES9_SI_JZNS1_25segmented_radix_sort_implINS0_14default_configELb1EPKfPfPKlPlN2at6native12_GLOBAL__N_18offset_tEEE10hipError_tPvRmT1_PNSt15iterator_traitsIS12_E10value_typeET2_T3_PNS13_IS18_E10value_typeET4_jRbjT5_S1E_jjP12ihipStream_tbEUljE_ZNSN_ISO_Lb1ESQ_SR_ST_SU_SY_EESZ_S10_S11_S12_S16_S17_S18_S1B_S1C_jS1D_jS1E_S1E_jjS1G_bEUljE0_EEESZ_S10_S11_S18_S1C_S1E_T6_T7_T9_mT8_S1G_bDpT10_ENKUlT_T0_E_clISt17integral_constantIbLb1EES1U_EEDaS1P_S1Q_EUlS1P_E_NS1_11comp_targetILNS1_3genE0ELNS1_11target_archE4294967295ELNS1_3gpuE0ELNS1_3repE0EEENS1_30default_config_static_selectorELNS0_4arch9wavefront6targetE0EEEvS12_,@function
_ZN7rocprim17ROCPRIM_400000_NS6detail17trampoline_kernelINS0_13select_configILj256ELj13ELNS0_17block_load_methodE3ELS4_3ELS4_3ELNS0_20block_scan_algorithmE0ELj4294967295EEENS1_25partition_config_selectorILNS1_17partition_subalgoE4EjNS0_10empty_typeEbEEZZNS1_14partition_implILS8_4ELb0ES6_15HIP_vector_typeIjLj2EENS0_17counting_iteratorIjlEEPS9_SG_NS0_5tupleIJPjSI_NS0_16reverse_iteratorISI_EEEEENSH_IJSG_SG_SG_EEES9_SI_JZNS1_25segmented_radix_sort_implINS0_14default_configELb1EPKfPfPKlPlN2at6native12_GLOBAL__N_18offset_tEEE10hipError_tPvRmT1_PNSt15iterator_traitsIS12_E10value_typeET2_T3_PNS13_IS18_E10value_typeET4_jRbjT5_S1E_jjP12ihipStream_tbEUljE_ZNSN_ISO_Lb1ESQ_SR_ST_SU_SY_EESZ_S10_S11_S12_S16_S17_S18_S1B_S1C_jS1D_jS1E_S1E_jjS1G_bEUljE0_EEESZ_S10_S11_S18_S1C_S1E_T6_T7_T9_mT8_S1G_bDpT10_ENKUlT_T0_E_clISt17integral_constantIbLb1EES1U_EEDaS1P_S1Q_EUlS1P_E_NS1_11comp_targetILNS1_3genE0ELNS1_11target_archE4294967295ELNS1_3gpuE0ELNS1_3repE0EEENS1_30default_config_static_selectorELNS0_4arch9wavefront6targetE0EEEvS12_: ; @_ZN7rocprim17ROCPRIM_400000_NS6detail17trampoline_kernelINS0_13select_configILj256ELj13ELNS0_17block_load_methodE3ELS4_3ELS4_3ELNS0_20block_scan_algorithmE0ELj4294967295EEENS1_25partition_config_selectorILNS1_17partition_subalgoE4EjNS0_10empty_typeEbEEZZNS1_14partition_implILS8_4ELb0ES6_15HIP_vector_typeIjLj2EENS0_17counting_iteratorIjlEEPS9_SG_NS0_5tupleIJPjSI_NS0_16reverse_iteratorISI_EEEEENSH_IJSG_SG_SG_EEES9_SI_JZNS1_25segmented_radix_sort_implINS0_14default_configELb1EPKfPfPKlPlN2at6native12_GLOBAL__N_18offset_tEEE10hipError_tPvRmT1_PNSt15iterator_traitsIS12_E10value_typeET2_T3_PNS13_IS18_E10value_typeET4_jRbjT5_S1E_jjP12ihipStream_tbEUljE_ZNSN_ISO_Lb1ESQ_SR_ST_SU_SY_EESZ_S10_S11_S12_S16_S17_S18_S1B_S1C_jS1D_jS1E_S1E_jjS1G_bEUljE0_EEESZ_S10_S11_S18_S1C_S1E_T6_T7_T9_mT8_S1G_bDpT10_ENKUlT_T0_E_clISt17integral_constantIbLb1EES1U_EEDaS1P_S1Q_EUlS1P_E_NS1_11comp_targetILNS1_3genE0ELNS1_11target_archE4294967295ELNS1_3gpuE0ELNS1_3repE0EEENS1_30default_config_static_selectorELNS0_4arch9wavefront6targetE0EEEvS12_
; %bb.0:
	.section	.rodata,"a",@progbits
	.p2align	6, 0x0
	.amdhsa_kernel _ZN7rocprim17ROCPRIM_400000_NS6detail17trampoline_kernelINS0_13select_configILj256ELj13ELNS0_17block_load_methodE3ELS4_3ELS4_3ELNS0_20block_scan_algorithmE0ELj4294967295EEENS1_25partition_config_selectorILNS1_17partition_subalgoE4EjNS0_10empty_typeEbEEZZNS1_14partition_implILS8_4ELb0ES6_15HIP_vector_typeIjLj2EENS0_17counting_iteratorIjlEEPS9_SG_NS0_5tupleIJPjSI_NS0_16reverse_iteratorISI_EEEEENSH_IJSG_SG_SG_EEES9_SI_JZNS1_25segmented_radix_sort_implINS0_14default_configELb1EPKfPfPKlPlN2at6native12_GLOBAL__N_18offset_tEEE10hipError_tPvRmT1_PNSt15iterator_traitsIS12_E10value_typeET2_T3_PNS13_IS18_E10value_typeET4_jRbjT5_S1E_jjP12ihipStream_tbEUljE_ZNSN_ISO_Lb1ESQ_SR_ST_SU_SY_EESZ_S10_S11_S12_S16_S17_S18_S1B_S1C_jS1D_jS1E_S1E_jjS1G_bEUljE0_EEESZ_S10_S11_S18_S1C_S1E_T6_T7_T9_mT8_S1G_bDpT10_ENKUlT_T0_E_clISt17integral_constantIbLb1EES1U_EEDaS1P_S1Q_EUlS1P_E_NS1_11comp_targetILNS1_3genE0ELNS1_11target_archE4294967295ELNS1_3gpuE0ELNS1_3repE0EEENS1_30default_config_static_selectorELNS0_4arch9wavefront6targetE0EEEvS12_
		.amdhsa_group_segment_fixed_size 0
		.amdhsa_private_segment_fixed_size 0
		.amdhsa_kernarg_size 184
		.amdhsa_user_sgpr_count 2
		.amdhsa_user_sgpr_dispatch_ptr 0
		.amdhsa_user_sgpr_queue_ptr 0
		.amdhsa_user_sgpr_kernarg_segment_ptr 1
		.amdhsa_user_sgpr_dispatch_id 0
		.amdhsa_user_sgpr_private_segment_size 0
		.amdhsa_wavefront_size32 1
		.amdhsa_uses_dynamic_stack 0
		.amdhsa_enable_private_segment 0
		.amdhsa_system_sgpr_workgroup_id_x 1
		.amdhsa_system_sgpr_workgroup_id_y 0
		.amdhsa_system_sgpr_workgroup_id_z 0
		.amdhsa_system_sgpr_workgroup_info 0
		.amdhsa_system_vgpr_workitem_id 0
		.amdhsa_next_free_vgpr 1
		.amdhsa_next_free_sgpr 1
		.amdhsa_reserve_vcc 0
		.amdhsa_float_round_mode_32 0
		.amdhsa_float_round_mode_16_64 0
		.amdhsa_float_denorm_mode_32 3
		.amdhsa_float_denorm_mode_16_64 3
		.amdhsa_fp16_overflow 0
		.amdhsa_workgroup_processor_mode 1
		.amdhsa_memory_ordered 1
		.amdhsa_forward_progress 1
		.amdhsa_inst_pref_size 0
		.amdhsa_round_robin_scheduling 0
		.amdhsa_exception_fp_ieee_invalid_op 0
		.amdhsa_exception_fp_denorm_src 0
		.amdhsa_exception_fp_ieee_div_zero 0
		.amdhsa_exception_fp_ieee_overflow 0
		.amdhsa_exception_fp_ieee_underflow 0
		.amdhsa_exception_fp_ieee_inexact 0
		.amdhsa_exception_int_div_zero 0
	.end_amdhsa_kernel
	.section	.text._ZN7rocprim17ROCPRIM_400000_NS6detail17trampoline_kernelINS0_13select_configILj256ELj13ELNS0_17block_load_methodE3ELS4_3ELS4_3ELNS0_20block_scan_algorithmE0ELj4294967295EEENS1_25partition_config_selectorILNS1_17partition_subalgoE4EjNS0_10empty_typeEbEEZZNS1_14partition_implILS8_4ELb0ES6_15HIP_vector_typeIjLj2EENS0_17counting_iteratorIjlEEPS9_SG_NS0_5tupleIJPjSI_NS0_16reverse_iteratorISI_EEEEENSH_IJSG_SG_SG_EEES9_SI_JZNS1_25segmented_radix_sort_implINS0_14default_configELb1EPKfPfPKlPlN2at6native12_GLOBAL__N_18offset_tEEE10hipError_tPvRmT1_PNSt15iterator_traitsIS12_E10value_typeET2_T3_PNS13_IS18_E10value_typeET4_jRbjT5_S1E_jjP12ihipStream_tbEUljE_ZNSN_ISO_Lb1ESQ_SR_ST_SU_SY_EESZ_S10_S11_S12_S16_S17_S18_S1B_S1C_jS1D_jS1E_S1E_jjS1G_bEUljE0_EEESZ_S10_S11_S18_S1C_S1E_T6_T7_T9_mT8_S1G_bDpT10_ENKUlT_T0_E_clISt17integral_constantIbLb1EES1U_EEDaS1P_S1Q_EUlS1P_E_NS1_11comp_targetILNS1_3genE0ELNS1_11target_archE4294967295ELNS1_3gpuE0ELNS1_3repE0EEENS1_30default_config_static_selectorELNS0_4arch9wavefront6targetE0EEEvS12_,"axG",@progbits,_ZN7rocprim17ROCPRIM_400000_NS6detail17trampoline_kernelINS0_13select_configILj256ELj13ELNS0_17block_load_methodE3ELS4_3ELS4_3ELNS0_20block_scan_algorithmE0ELj4294967295EEENS1_25partition_config_selectorILNS1_17partition_subalgoE4EjNS0_10empty_typeEbEEZZNS1_14partition_implILS8_4ELb0ES6_15HIP_vector_typeIjLj2EENS0_17counting_iteratorIjlEEPS9_SG_NS0_5tupleIJPjSI_NS0_16reverse_iteratorISI_EEEEENSH_IJSG_SG_SG_EEES9_SI_JZNS1_25segmented_radix_sort_implINS0_14default_configELb1EPKfPfPKlPlN2at6native12_GLOBAL__N_18offset_tEEE10hipError_tPvRmT1_PNSt15iterator_traitsIS12_E10value_typeET2_T3_PNS13_IS18_E10value_typeET4_jRbjT5_S1E_jjP12ihipStream_tbEUljE_ZNSN_ISO_Lb1ESQ_SR_ST_SU_SY_EESZ_S10_S11_S12_S16_S17_S18_S1B_S1C_jS1D_jS1E_S1E_jjS1G_bEUljE0_EEESZ_S10_S11_S18_S1C_S1E_T6_T7_T9_mT8_S1G_bDpT10_ENKUlT_T0_E_clISt17integral_constantIbLb1EES1U_EEDaS1P_S1Q_EUlS1P_E_NS1_11comp_targetILNS1_3genE0ELNS1_11target_archE4294967295ELNS1_3gpuE0ELNS1_3repE0EEENS1_30default_config_static_selectorELNS0_4arch9wavefront6targetE0EEEvS12_,comdat
.Lfunc_end1269:
	.size	_ZN7rocprim17ROCPRIM_400000_NS6detail17trampoline_kernelINS0_13select_configILj256ELj13ELNS0_17block_load_methodE3ELS4_3ELS4_3ELNS0_20block_scan_algorithmE0ELj4294967295EEENS1_25partition_config_selectorILNS1_17partition_subalgoE4EjNS0_10empty_typeEbEEZZNS1_14partition_implILS8_4ELb0ES6_15HIP_vector_typeIjLj2EENS0_17counting_iteratorIjlEEPS9_SG_NS0_5tupleIJPjSI_NS0_16reverse_iteratorISI_EEEEENSH_IJSG_SG_SG_EEES9_SI_JZNS1_25segmented_radix_sort_implINS0_14default_configELb1EPKfPfPKlPlN2at6native12_GLOBAL__N_18offset_tEEE10hipError_tPvRmT1_PNSt15iterator_traitsIS12_E10value_typeET2_T3_PNS13_IS18_E10value_typeET4_jRbjT5_S1E_jjP12ihipStream_tbEUljE_ZNSN_ISO_Lb1ESQ_SR_ST_SU_SY_EESZ_S10_S11_S12_S16_S17_S18_S1B_S1C_jS1D_jS1E_S1E_jjS1G_bEUljE0_EEESZ_S10_S11_S18_S1C_S1E_T6_T7_T9_mT8_S1G_bDpT10_ENKUlT_T0_E_clISt17integral_constantIbLb1EES1U_EEDaS1P_S1Q_EUlS1P_E_NS1_11comp_targetILNS1_3genE0ELNS1_11target_archE4294967295ELNS1_3gpuE0ELNS1_3repE0EEENS1_30default_config_static_selectorELNS0_4arch9wavefront6targetE0EEEvS12_, .Lfunc_end1269-_ZN7rocprim17ROCPRIM_400000_NS6detail17trampoline_kernelINS0_13select_configILj256ELj13ELNS0_17block_load_methodE3ELS4_3ELS4_3ELNS0_20block_scan_algorithmE0ELj4294967295EEENS1_25partition_config_selectorILNS1_17partition_subalgoE4EjNS0_10empty_typeEbEEZZNS1_14partition_implILS8_4ELb0ES6_15HIP_vector_typeIjLj2EENS0_17counting_iteratorIjlEEPS9_SG_NS0_5tupleIJPjSI_NS0_16reverse_iteratorISI_EEEEENSH_IJSG_SG_SG_EEES9_SI_JZNS1_25segmented_radix_sort_implINS0_14default_configELb1EPKfPfPKlPlN2at6native12_GLOBAL__N_18offset_tEEE10hipError_tPvRmT1_PNSt15iterator_traitsIS12_E10value_typeET2_T3_PNS13_IS18_E10value_typeET4_jRbjT5_S1E_jjP12ihipStream_tbEUljE_ZNSN_ISO_Lb1ESQ_SR_ST_SU_SY_EESZ_S10_S11_S12_S16_S17_S18_S1B_S1C_jS1D_jS1E_S1E_jjS1G_bEUljE0_EEESZ_S10_S11_S18_S1C_S1E_T6_T7_T9_mT8_S1G_bDpT10_ENKUlT_T0_E_clISt17integral_constantIbLb1EES1U_EEDaS1P_S1Q_EUlS1P_E_NS1_11comp_targetILNS1_3genE0ELNS1_11target_archE4294967295ELNS1_3gpuE0ELNS1_3repE0EEENS1_30default_config_static_selectorELNS0_4arch9wavefront6targetE0EEEvS12_
                                        ; -- End function
	.set _ZN7rocprim17ROCPRIM_400000_NS6detail17trampoline_kernelINS0_13select_configILj256ELj13ELNS0_17block_load_methodE3ELS4_3ELS4_3ELNS0_20block_scan_algorithmE0ELj4294967295EEENS1_25partition_config_selectorILNS1_17partition_subalgoE4EjNS0_10empty_typeEbEEZZNS1_14partition_implILS8_4ELb0ES6_15HIP_vector_typeIjLj2EENS0_17counting_iteratorIjlEEPS9_SG_NS0_5tupleIJPjSI_NS0_16reverse_iteratorISI_EEEEENSH_IJSG_SG_SG_EEES9_SI_JZNS1_25segmented_radix_sort_implINS0_14default_configELb1EPKfPfPKlPlN2at6native12_GLOBAL__N_18offset_tEEE10hipError_tPvRmT1_PNSt15iterator_traitsIS12_E10value_typeET2_T3_PNS13_IS18_E10value_typeET4_jRbjT5_S1E_jjP12ihipStream_tbEUljE_ZNSN_ISO_Lb1ESQ_SR_ST_SU_SY_EESZ_S10_S11_S12_S16_S17_S18_S1B_S1C_jS1D_jS1E_S1E_jjS1G_bEUljE0_EEESZ_S10_S11_S18_S1C_S1E_T6_T7_T9_mT8_S1G_bDpT10_ENKUlT_T0_E_clISt17integral_constantIbLb1EES1U_EEDaS1P_S1Q_EUlS1P_E_NS1_11comp_targetILNS1_3genE0ELNS1_11target_archE4294967295ELNS1_3gpuE0ELNS1_3repE0EEENS1_30default_config_static_selectorELNS0_4arch9wavefront6targetE0EEEvS12_.num_vgpr, 0
	.set _ZN7rocprim17ROCPRIM_400000_NS6detail17trampoline_kernelINS0_13select_configILj256ELj13ELNS0_17block_load_methodE3ELS4_3ELS4_3ELNS0_20block_scan_algorithmE0ELj4294967295EEENS1_25partition_config_selectorILNS1_17partition_subalgoE4EjNS0_10empty_typeEbEEZZNS1_14partition_implILS8_4ELb0ES6_15HIP_vector_typeIjLj2EENS0_17counting_iteratorIjlEEPS9_SG_NS0_5tupleIJPjSI_NS0_16reverse_iteratorISI_EEEEENSH_IJSG_SG_SG_EEES9_SI_JZNS1_25segmented_radix_sort_implINS0_14default_configELb1EPKfPfPKlPlN2at6native12_GLOBAL__N_18offset_tEEE10hipError_tPvRmT1_PNSt15iterator_traitsIS12_E10value_typeET2_T3_PNS13_IS18_E10value_typeET4_jRbjT5_S1E_jjP12ihipStream_tbEUljE_ZNSN_ISO_Lb1ESQ_SR_ST_SU_SY_EESZ_S10_S11_S12_S16_S17_S18_S1B_S1C_jS1D_jS1E_S1E_jjS1G_bEUljE0_EEESZ_S10_S11_S18_S1C_S1E_T6_T7_T9_mT8_S1G_bDpT10_ENKUlT_T0_E_clISt17integral_constantIbLb1EES1U_EEDaS1P_S1Q_EUlS1P_E_NS1_11comp_targetILNS1_3genE0ELNS1_11target_archE4294967295ELNS1_3gpuE0ELNS1_3repE0EEENS1_30default_config_static_selectorELNS0_4arch9wavefront6targetE0EEEvS12_.num_agpr, 0
	.set _ZN7rocprim17ROCPRIM_400000_NS6detail17trampoline_kernelINS0_13select_configILj256ELj13ELNS0_17block_load_methodE3ELS4_3ELS4_3ELNS0_20block_scan_algorithmE0ELj4294967295EEENS1_25partition_config_selectorILNS1_17partition_subalgoE4EjNS0_10empty_typeEbEEZZNS1_14partition_implILS8_4ELb0ES6_15HIP_vector_typeIjLj2EENS0_17counting_iteratorIjlEEPS9_SG_NS0_5tupleIJPjSI_NS0_16reverse_iteratorISI_EEEEENSH_IJSG_SG_SG_EEES9_SI_JZNS1_25segmented_radix_sort_implINS0_14default_configELb1EPKfPfPKlPlN2at6native12_GLOBAL__N_18offset_tEEE10hipError_tPvRmT1_PNSt15iterator_traitsIS12_E10value_typeET2_T3_PNS13_IS18_E10value_typeET4_jRbjT5_S1E_jjP12ihipStream_tbEUljE_ZNSN_ISO_Lb1ESQ_SR_ST_SU_SY_EESZ_S10_S11_S12_S16_S17_S18_S1B_S1C_jS1D_jS1E_S1E_jjS1G_bEUljE0_EEESZ_S10_S11_S18_S1C_S1E_T6_T7_T9_mT8_S1G_bDpT10_ENKUlT_T0_E_clISt17integral_constantIbLb1EES1U_EEDaS1P_S1Q_EUlS1P_E_NS1_11comp_targetILNS1_3genE0ELNS1_11target_archE4294967295ELNS1_3gpuE0ELNS1_3repE0EEENS1_30default_config_static_selectorELNS0_4arch9wavefront6targetE0EEEvS12_.numbered_sgpr, 0
	.set _ZN7rocprim17ROCPRIM_400000_NS6detail17trampoline_kernelINS0_13select_configILj256ELj13ELNS0_17block_load_methodE3ELS4_3ELS4_3ELNS0_20block_scan_algorithmE0ELj4294967295EEENS1_25partition_config_selectorILNS1_17partition_subalgoE4EjNS0_10empty_typeEbEEZZNS1_14partition_implILS8_4ELb0ES6_15HIP_vector_typeIjLj2EENS0_17counting_iteratorIjlEEPS9_SG_NS0_5tupleIJPjSI_NS0_16reverse_iteratorISI_EEEEENSH_IJSG_SG_SG_EEES9_SI_JZNS1_25segmented_radix_sort_implINS0_14default_configELb1EPKfPfPKlPlN2at6native12_GLOBAL__N_18offset_tEEE10hipError_tPvRmT1_PNSt15iterator_traitsIS12_E10value_typeET2_T3_PNS13_IS18_E10value_typeET4_jRbjT5_S1E_jjP12ihipStream_tbEUljE_ZNSN_ISO_Lb1ESQ_SR_ST_SU_SY_EESZ_S10_S11_S12_S16_S17_S18_S1B_S1C_jS1D_jS1E_S1E_jjS1G_bEUljE0_EEESZ_S10_S11_S18_S1C_S1E_T6_T7_T9_mT8_S1G_bDpT10_ENKUlT_T0_E_clISt17integral_constantIbLb1EES1U_EEDaS1P_S1Q_EUlS1P_E_NS1_11comp_targetILNS1_3genE0ELNS1_11target_archE4294967295ELNS1_3gpuE0ELNS1_3repE0EEENS1_30default_config_static_selectorELNS0_4arch9wavefront6targetE0EEEvS12_.num_named_barrier, 0
	.set _ZN7rocprim17ROCPRIM_400000_NS6detail17trampoline_kernelINS0_13select_configILj256ELj13ELNS0_17block_load_methodE3ELS4_3ELS4_3ELNS0_20block_scan_algorithmE0ELj4294967295EEENS1_25partition_config_selectorILNS1_17partition_subalgoE4EjNS0_10empty_typeEbEEZZNS1_14partition_implILS8_4ELb0ES6_15HIP_vector_typeIjLj2EENS0_17counting_iteratorIjlEEPS9_SG_NS0_5tupleIJPjSI_NS0_16reverse_iteratorISI_EEEEENSH_IJSG_SG_SG_EEES9_SI_JZNS1_25segmented_radix_sort_implINS0_14default_configELb1EPKfPfPKlPlN2at6native12_GLOBAL__N_18offset_tEEE10hipError_tPvRmT1_PNSt15iterator_traitsIS12_E10value_typeET2_T3_PNS13_IS18_E10value_typeET4_jRbjT5_S1E_jjP12ihipStream_tbEUljE_ZNSN_ISO_Lb1ESQ_SR_ST_SU_SY_EESZ_S10_S11_S12_S16_S17_S18_S1B_S1C_jS1D_jS1E_S1E_jjS1G_bEUljE0_EEESZ_S10_S11_S18_S1C_S1E_T6_T7_T9_mT8_S1G_bDpT10_ENKUlT_T0_E_clISt17integral_constantIbLb1EES1U_EEDaS1P_S1Q_EUlS1P_E_NS1_11comp_targetILNS1_3genE0ELNS1_11target_archE4294967295ELNS1_3gpuE0ELNS1_3repE0EEENS1_30default_config_static_selectorELNS0_4arch9wavefront6targetE0EEEvS12_.private_seg_size, 0
	.set _ZN7rocprim17ROCPRIM_400000_NS6detail17trampoline_kernelINS0_13select_configILj256ELj13ELNS0_17block_load_methodE3ELS4_3ELS4_3ELNS0_20block_scan_algorithmE0ELj4294967295EEENS1_25partition_config_selectorILNS1_17partition_subalgoE4EjNS0_10empty_typeEbEEZZNS1_14partition_implILS8_4ELb0ES6_15HIP_vector_typeIjLj2EENS0_17counting_iteratorIjlEEPS9_SG_NS0_5tupleIJPjSI_NS0_16reverse_iteratorISI_EEEEENSH_IJSG_SG_SG_EEES9_SI_JZNS1_25segmented_radix_sort_implINS0_14default_configELb1EPKfPfPKlPlN2at6native12_GLOBAL__N_18offset_tEEE10hipError_tPvRmT1_PNSt15iterator_traitsIS12_E10value_typeET2_T3_PNS13_IS18_E10value_typeET4_jRbjT5_S1E_jjP12ihipStream_tbEUljE_ZNSN_ISO_Lb1ESQ_SR_ST_SU_SY_EESZ_S10_S11_S12_S16_S17_S18_S1B_S1C_jS1D_jS1E_S1E_jjS1G_bEUljE0_EEESZ_S10_S11_S18_S1C_S1E_T6_T7_T9_mT8_S1G_bDpT10_ENKUlT_T0_E_clISt17integral_constantIbLb1EES1U_EEDaS1P_S1Q_EUlS1P_E_NS1_11comp_targetILNS1_3genE0ELNS1_11target_archE4294967295ELNS1_3gpuE0ELNS1_3repE0EEENS1_30default_config_static_selectorELNS0_4arch9wavefront6targetE0EEEvS12_.uses_vcc, 0
	.set _ZN7rocprim17ROCPRIM_400000_NS6detail17trampoline_kernelINS0_13select_configILj256ELj13ELNS0_17block_load_methodE3ELS4_3ELS4_3ELNS0_20block_scan_algorithmE0ELj4294967295EEENS1_25partition_config_selectorILNS1_17partition_subalgoE4EjNS0_10empty_typeEbEEZZNS1_14partition_implILS8_4ELb0ES6_15HIP_vector_typeIjLj2EENS0_17counting_iteratorIjlEEPS9_SG_NS0_5tupleIJPjSI_NS0_16reverse_iteratorISI_EEEEENSH_IJSG_SG_SG_EEES9_SI_JZNS1_25segmented_radix_sort_implINS0_14default_configELb1EPKfPfPKlPlN2at6native12_GLOBAL__N_18offset_tEEE10hipError_tPvRmT1_PNSt15iterator_traitsIS12_E10value_typeET2_T3_PNS13_IS18_E10value_typeET4_jRbjT5_S1E_jjP12ihipStream_tbEUljE_ZNSN_ISO_Lb1ESQ_SR_ST_SU_SY_EESZ_S10_S11_S12_S16_S17_S18_S1B_S1C_jS1D_jS1E_S1E_jjS1G_bEUljE0_EEESZ_S10_S11_S18_S1C_S1E_T6_T7_T9_mT8_S1G_bDpT10_ENKUlT_T0_E_clISt17integral_constantIbLb1EES1U_EEDaS1P_S1Q_EUlS1P_E_NS1_11comp_targetILNS1_3genE0ELNS1_11target_archE4294967295ELNS1_3gpuE0ELNS1_3repE0EEENS1_30default_config_static_selectorELNS0_4arch9wavefront6targetE0EEEvS12_.uses_flat_scratch, 0
	.set _ZN7rocprim17ROCPRIM_400000_NS6detail17trampoline_kernelINS0_13select_configILj256ELj13ELNS0_17block_load_methodE3ELS4_3ELS4_3ELNS0_20block_scan_algorithmE0ELj4294967295EEENS1_25partition_config_selectorILNS1_17partition_subalgoE4EjNS0_10empty_typeEbEEZZNS1_14partition_implILS8_4ELb0ES6_15HIP_vector_typeIjLj2EENS0_17counting_iteratorIjlEEPS9_SG_NS0_5tupleIJPjSI_NS0_16reverse_iteratorISI_EEEEENSH_IJSG_SG_SG_EEES9_SI_JZNS1_25segmented_radix_sort_implINS0_14default_configELb1EPKfPfPKlPlN2at6native12_GLOBAL__N_18offset_tEEE10hipError_tPvRmT1_PNSt15iterator_traitsIS12_E10value_typeET2_T3_PNS13_IS18_E10value_typeET4_jRbjT5_S1E_jjP12ihipStream_tbEUljE_ZNSN_ISO_Lb1ESQ_SR_ST_SU_SY_EESZ_S10_S11_S12_S16_S17_S18_S1B_S1C_jS1D_jS1E_S1E_jjS1G_bEUljE0_EEESZ_S10_S11_S18_S1C_S1E_T6_T7_T9_mT8_S1G_bDpT10_ENKUlT_T0_E_clISt17integral_constantIbLb1EES1U_EEDaS1P_S1Q_EUlS1P_E_NS1_11comp_targetILNS1_3genE0ELNS1_11target_archE4294967295ELNS1_3gpuE0ELNS1_3repE0EEENS1_30default_config_static_selectorELNS0_4arch9wavefront6targetE0EEEvS12_.has_dyn_sized_stack, 0
	.set _ZN7rocprim17ROCPRIM_400000_NS6detail17trampoline_kernelINS0_13select_configILj256ELj13ELNS0_17block_load_methodE3ELS4_3ELS4_3ELNS0_20block_scan_algorithmE0ELj4294967295EEENS1_25partition_config_selectorILNS1_17partition_subalgoE4EjNS0_10empty_typeEbEEZZNS1_14partition_implILS8_4ELb0ES6_15HIP_vector_typeIjLj2EENS0_17counting_iteratorIjlEEPS9_SG_NS0_5tupleIJPjSI_NS0_16reverse_iteratorISI_EEEEENSH_IJSG_SG_SG_EEES9_SI_JZNS1_25segmented_radix_sort_implINS0_14default_configELb1EPKfPfPKlPlN2at6native12_GLOBAL__N_18offset_tEEE10hipError_tPvRmT1_PNSt15iterator_traitsIS12_E10value_typeET2_T3_PNS13_IS18_E10value_typeET4_jRbjT5_S1E_jjP12ihipStream_tbEUljE_ZNSN_ISO_Lb1ESQ_SR_ST_SU_SY_EESZ_S10_S11_S12_S16_S17_S18_S1B_S1C_jS1D_jS1E_S1E_jjS1G_bEUljE0_EEESZ_S10_S11_S18_S1C_S1E_T6_T7_T9_mT8_S1G_bDpT10_ENKUlT_T0_E_clISt17integral_constantIbLb1EES1U_EEDaS1P_S1Q_EUlS1P_E_NS1_11comp_targetILNS1_3genE0ELNS1_11target_archE4294967295ELNS1_3gpuE0ELNS1_3repE0EEENS1_30default_config_static_selectorELNS0_4arch9wavefront6targetE0EEEvS12_.has_recursion, 0
	.set _ZN7rocprim17ROCPRIM_400000_NS6detail17trampoline_kernelINS0_13select_configILj256ELj13ELNS0_17block_load_methodE3ELS4_3ELS4_3ELNS0_20block_scan_algorithmE0ELj4294967295EEENS1_25partition_config_selectorILNS1_17partition_subalgoE4EjNS0_10empty_typeEbEEZZNS1_14partition_implILS8_4ELb0ES6_15HIP_vector_typeIjLj2EENS0_17counting_iteratorIjlEEPS9_SG_NS0_5tupleIJPjSI_NS0_16reverse_iteratorISI_EEEEENSH_IJSG_SG_SG_EEES9_SI_JZNS1_25segmented_radix_sort_implINS0_14default_configELb1EPKfPfPKlPlN2at6native12_GLOBAL__N_18offset_tEEE10hipError_tPvRmT1_PNSt15iterator_traitsIS12_E10value_typeET2_T3_PNS13_IS18_E10value_typeET4_jRbjT5_S1E_jjP12ihipStream_tbEUljE_ZNSN_ISO_Lb1ESQ_SR_ST_SU_SY_EESZ_S10_S11_S12_S16_S17_S18_S1B_S1C_jS1D_jS1E_S1E_jjS1G_bEUljE0_EEESZ_S10_S11_S18_S1C_S1E_T6_T7_T9_mT8_S1G_bDpT10_ENKUlT_T0_E_clISt17integral_constantIbLb1EES1U_EEDaS1P_S1Q_EUlS1P_E_NS1_11comp_targetILNS1_3genE0ELNS1_11target_archE4294967295ELNS1_3gpuE0ELNS1_3repE0EEENS1_30default_config_static_selectorELNS0_4arch9wavefront6targetE0EEEvS12_.has_indirect_call, 0
	.section	.AMDGPU.csdata,"",@progbits
; Kernel info:
; codeLenInByte = 0
; TotalNumSgprs: 0
; NumVgprs: 0
; ScratchSize: 0
; MemoryBound: 0
; FloatMode: 240
; IeeeMode: 1
; LDSByteSize: 0 bytes/workgroup (compile time only)
; SGPRBlocks: 0
; VGPRBlocks: 0
; NumSGPRsForWavesPerEU: 1
; NumVGPRsForWavesPerEU: 1
; Occupancy: 16
; WaveLimiterHint : 0
; COMPUTE_PGM_RSRC2:SCRATCH_EN: 0
; COMPUTE_PGM_RSRC2:USER_SGPR: 2
; COMPUTE_PGM_RSRC2:TRAP_HANDLER: 0
; COMPUTE_PGM_RSRC2:TGID_X_EN: 1
; COMPUTE_PGM_RSRC2:TGID_Y_EN: 0
; COMPUTE_PGM_RSRC2:TGID_Z_EN: 0
; COMPUTE_PGM_RSRC2:TIDIG_COMP_CNT: 0
	.section	.text._ZN7rocprim17ROCPRIM_400000_NS6detail17trampoline_kernelINS0_13select_configILj256ELj13ELNS0_17block_load_methodE3ELS4_3ELS4_3ELNS0_20block_scan_algorithmE0ELj4294967295EEENS1_25partition_config_selectorILNS1_17partition_subalgoE4EjNS0_10empty_typeEbEEZZNS1_14partition_implILS8_4ELb0ES6_15HIP_vector_typeIjLj2EENS0_17counting_iteratorIjlEEPS9_SG_NS0_5tupleIJPjSI_NS0_16reverse_iteratorISI_EEEEENSH_IJSG_SG_SG_EEES9_SI_JZNS1_25segmented_radix_sort_implINS0_14default_configELb1EPKfPfPKlPlN2at6native12_GLOBAL__N_18offset_tEEE10hipError_tPvRmT1_PNSt15iterator_traitsIS12_E10value_typeET2_T3_PNS13_IS18_E10value_typeET4_jRbjT5_S1E_jjP12ihipStream_tbEUljE_ZNSN_ISO_Lb1ESQ_SR_ST_SU_SY_EESZ_S10_S11_S12_S16_S17_S18_S1B_S1C_jS1D_jS1E_S1E_jjS1G_bEUljE0_EEESZ_S10_S11_S18_S1C_S1E_T6_T7_T9_mT8_S1G_bDpT10_ENKUlT_T0_E_clISt17integral_constantIbLb1EES1U_EEDaS1P_S1Q_EUlS1P_E_NS1_11comp_targetILNS1_3genE5ELNS1_11target_archE942ELNS1_3gpuE9ELNS1_3repE0EEENS1_30default_config_static_selectorELNS0_4arch9wavefront6targetE0EEEvS12_,"axG",@progbits,_ZN7rocprim17ROCPRIM_400000_NS6detail17trampoline_kernelINS0_13select_configILj256ELj13ELNS0_17block_load_methodE3ELS4_3ELS4_3ELNS0_20block_scan_algorithmE0ELj4294967295EEENS1_25partition_config_selectorILNS1_17partition_subalgoE4EjNS0_10empty_typeEbEEZZNS1_14partition_implILS8_4ELb0ES6_15HIP_vector_typeIjLj2EENS0_17counting_iteratorIjlEEPS9_SG_NS0_5tupleIJPjSI_NS0_16reverse_iteratorISI_EEEEENSH_IJSG_SG_SG_EEES9_SI_JZNS1_25segmented_radix_sort_implINS0_14default_configELb1EPKfPfPKlPlN2at6native12_GLOBAL__N_18offset_tEEE10hipError_tPvRmT1_PNSt15iterator_traitsIS12_E10value_typeET2_T3_PNS13_IS18_E10value_typeET4_jRbjT5_S1E_jjP12ihipStream_tbEUljE_ZNSN_ISO_Lb1ESQ_SR_ST_SU_SY_EESZ_S10_S11_S12_S16_S17_S18_S1B_S1C_jS1D_jS1E_S1E_jjS1G_bEUljE0_EEESZ_S10_S11_S18_S1C_S1E_T6_T7_T9_mT8_S1G_bDpT10_ENKUlT_T0_E_clISt17integral_constantIbLb1EES1U_EEDaS1P_S1Q_EUlS1P_E_NS1_11comp_targetILNS1_3genE5ELNS1_11target_archE942ELNS1_3gpuE9ELNS1_3repE0EEENS1_30default_config_static_selectorELNS0_4arch9wavefront6targetE0EEEvS12_,comdat
	.globl	_ZN7rocprim17ROCPRIM_400000_NS6detail17trampoline_kernelINS0_13select_configILj256ELj13ELNS0_17block_load_methodE3ELS4_3ELS4_3ELNS0_20block_scan_algorithmE0ELj4294967295EEENS1_25partition_config_selectorILNS1_17partition_subalgoE4EjNS0_10empty_typeEbEEZZNS1_14partition_implILS8_4ELb0ES6_15HIP_vector_typeIjLj2EENS0_17counting_iteratorIjlEEPS9_SG_NS0_5tupleIJPjSI_NS0_16reverse_iteratorISI_EEEEENSH_IJSG_SG_SG_EEES9_SI_JZNS1_25segmented_radix_sort_implINS0_14default_configELb1EPKfPfPKlPlN2at6native12_GLOBAL__N_18offset_tEEE10hipError_tPvRmT1_PNSt15iterator_traitsIS12_E10value_typeET2_T3_PNS13_IS18_E10value_typeET4_jRbjT5_S1E_jjP12ihipStream_tbEUljE_ZNSN_ISO_Lb1ESQ_SR_ST_SU_SY_EESZ_S10_S11_S12_S16_S17_S18_S1B_S1C_jS1D_jS1E_S1E_jjS1G_bEUljE0_EEESZ_S10_S11_S18_S1C_S1E_T6_T7_T9_mT8_S1G_bDpT10_ENKUlT_T0_E_clISt17integral_constantIbLb1EES1U_EEDaS1P_S1Q_EUlS1P_E_NS1_11comp_targetILNS1_3genE5ELNS1_11target_archE942ELNS1_3gpuE9ELNS1_3repE0EEENS1_30default_config_static_selectorELNS0_4arch9wavefront6targetE0EEEvS12_ ; -- Begin function _ZN7rocprim17ROCPRIM_400000_NS6detail17trampoline_kernelINS0_13select_configILj256ELj13ELNS0_17block_load_methodE3ELS4_3ELS4_3ELNS0_20block_scan_algorithmE0ELj4294967295EEENS1_25partition_config_selectorILNS1_17partition_subalgoE4EjNS0_10empty_typeEbEEZZNS1_14partition_implILS8_4ELb0ES6_15HIP_vector_typeIjLj2EENS0_17counting_iteratorIjlEEPS9_SG_NS0_5tupleIJPjSI_NS0_16reverse_iteratorISI_EEEEENSH_IJSG_SG_SG_EEES9_SI_JZNS1_25segmented_radix_sort_implINS0_14default_configELb1EPKfPfPKlPlN2at6native12_GLOBAL__N_18offset_tEEE10hipError_tPvRmT1_PNSt15iterator_traitsIS12_E10value_typeET2_T3_PNS13_IS18_E10value_typeET4_jRbjT5_S1E_jjP12ihipStream_tbEUljE_ZNSN_ISO_Lb1ESQ_SR_ST_SU_SY_EESZ_S10_S11_S12_S16_S17_S18_S1B_S1C_jS1D_jS1E_S1E_jjS1G_bEUljE0_EEESZ_S10_S11_S18_S1C_S1E_T6_T7_T9_mT8_S1G_bDpT10_ENKUlT_T0_E_clISt17integral_constantIbLb1EES1U_EEDaS1P_S1Q_EUlS1P_E_NS1_11comp_targetILNS1_3genE5ELNS1_11target_archE942ELNS1_3gpuE9ELNS1_3repE0EEENS1_30default_config_static_selectorELNS0_4arch9wavefront6targetE0EEEvS12_
	.p2align	8
	.type	_ZN7rocprim17ROCPRIM_400000_NS6detail17trampoline_kernelINS0_13select_configILj256ELj13ELNS0_17block_load_methodE3ELS4_3ELS4_3ELNS0_20block_scan_algorithmE0ELj4294967295EEENS1_25partition_config_selectorILNS1_17partition_subalgoE4EjNS0_10empty_typeEbEEZZNS1_14partition_implILS8_4ELb0ES6_15HIP_vector_typeIjLj2EENS0_17counting_iteratorIjlEEPS9_SG_NS0_5tupleIJPjSI_NS0_16reverse_iteratorISI_EEEEENSH_IJSG_SG_SG_EEES9_SI_JZNS1_25segmented_radix_sort_implINS0_14default_configELb1EPKfPfPKlPlN2at6native12_GLOBAL__N_18offset_tEEE10hipError_tPvRmT1_PNSt15iterator_traitsIS12_E10value_typeET2_T3_PNS13_IS18_E10value_typeET4_jRbjT5_S1E_jjP12ihipStream_tbEUljE_ZNSN_ISO_Lb1ESQ_SR_ST_SU_SY_EESZ_S10_S11_S12_S16_S17_S18_S1B_S1C_jS1D_jS1E_S1E_jjS1G_bEUljE0_EEESZ_S10_S11_S18_S1C_S1E_T6_T7_T9_mT8_S1G_bDpT10_ENKUlT_T0_E_clISt17integral_constantIbLb1EES1U_EEDaS1P_S1Q_EUlS1P_E_NS1_11comp_targetILNS1_3genE5ELNS1_11target_archE942ELNS1_3gpuE9ELNS1_3repE0EEENS1_30default_config_static_selectorELNS0_4arch9wavefront6targetE0EEEvS12_,@function
_ZN7rocprim17ROCPRIM_400000_NS6detail17trampoline_kernelINS0_13select_configILj256ELj13ELNS0_17block_load_methodE3ELS4_3ELS4_3ELNS0_20block_scan_algorithmE0ELj4294967295EEENS1_25partition_config_selectorILNS1_17partition_subalgoE4EjNS0_10empty_typeEbEEZZNS1_14partition_implILS8_4ELb0ES6_15HIP_vector_typeIjLj2EENS0_17counting_iteratorIjlEEPS9_SG_NS0_5tupleIJPjSI_NS0_16reverse_iteratorISI_EEEEENSH_IJSG_SG_SG_EEES9_SI_JZNS1_25segmented_radix_sort_implINS0_14default_configELb1EPKfPfPKlPlN2at6native12_GLOBAL__N_18offset_tEEE10hipError_tPvRmT1_PNSt15iterator_traitsIS12_E10value_typeET2_T3_PNS13_IS18_E10value_typeET4_jRbjT5_S1E_jjP12ihipStream_tbEUljE_ZNSN_ISO_Lb1ESQ_SR_ST_SU_SY_EESZ_S10_S11_S12_S16_S17_S18_S1B_S1C_jS1D_jS1E_S1E_jjS1G_bEUljE0_EEESZ_S10_S11_S18_S1C_S1E_T6_T7_T9_mT8_S1G_bDpT10_ENKUlT_T0_E_clISt17integral_constantIbLb1EES1U_EEDaS1P_S1Q_EUlS1P_E_NS1_11comp_targetILNS1_3genE5ELNS1_11target_archE942ELNS1_3gpuE9ELNS1_3repE0EEENS1_30default_config_static_selectorELNS0_4arch9wavefront6targetE0EEEvS12_: ; @_ZN7rocprim17ROCPRIM_400000_NS6detail17trampoline_kernelINS0_13select_configILj256ELj13ELNS0_17block_load_methodE3ELS4_3ELS4_3ELNS0_20block_scan_algorithmE0ELj4294967295EEENS1_25partition_config_selectorILNS1_17partition_subalgoE4EjNS0_10empty_typeEbEEZZNS1_14partition_implILS8_4ELb0ES6_15HIP_vector_typeIjLj2EENS0_17counting_iteratorIjlEEPS9_SG_NS0_5tupleIJPjSI_NS0_16reverse_iteratorISI_EEEEENSH_IJSG_SG_SG_EEES9_SI_JZNS1_25segmented_radix_sort_implINS0_14default_configELb1EPKfPfPKlPlN2at6native12_GLOBAL__N_18offset_tEEE10hipError_tPvRmT1_PNSt15iterator_traitsIS12_E10value_typeET2_T3_PNS13_IS18_E10value_typeET4_jRbjT5_S1E_jjP12ihipStream_tbEUljE_ZNSN_ISO_Lb1ESQ_SR_ST_SU_SY_EESZ_S10_S11_S12_S16_S17_S18_S1B_S1C_jS1D_jS1E_S1E_jjS1G_bEUljE0_EEESZ_S10_S11_S18_S1C_S1E_T6_T7_T9_mT8_S1G_bDpT10_ENKUlT_T0_E_clISt17integral_constantIbLb1EES1U_EEDaS1P_S1Q_EUlS1P_E_NS1_11comp_targetILNS1_3genE5ELNS1_11target_archE942ELNS1_3gpuE9ELNS1_3repE0EEENS1_30default_config_static_selectorELNS0_4arch9wavefront6targetE0EEEvS12_
; %bb.0:
	.section	.rodata,"a",@progbits
	.p2align	6, 0x0
	.amdhsa_kernel _ZN7rocprim17ROCPRIM_400000_NS6detail17trampoline_kernelINS0_13select_configILj256ELj13ELNS0_17block_load_methodE3ELS4_3ELS4_3ELNS0_20block_scan_algorithmE0ELj4294967295EEENS1_25partition_config_selectorILNS1_17partition_subalgoE4EjNS0_10empty_typeEbEEZZNS1_14partition_implILS8_4ELb0ES6_15HIP_vector_typeIjLj2EENS0_17counting_iteratorIjlEEPS9_SG_NS0_5tupleIJPjSI_NS0_16reverse_iteratorISI_EEEEENSH_IJSG_SG_SG_EEES9_SI_JZNS1_25segmented_radix_sort_implINS0_14default_configELb1EPKfPfPKlPlN2at6native12_GLOBAL__N_18offset_tEEE10hipError_tPvRmT1_PNSt15iterator_traitsIS12_E10value_typeET2_T3_PNS13_IS18_E10value_typeET4_jRbjT5_S1E_jjP12ihipStream_tbEUljE_ZNSN_ISO_Lb1ESQ_SR_ST_SU_SY_EESZ_S10_S11_S12_S16_S17_S18_S1B_S1C_jS1D_jS1E_S1E_jjS1G_bEUljE0_EEESZ_S10_S11_S18_S1C_S1E_T6_T7_T9_mT8_S1G_bDpT10_ENKUlT_T0_E_clISt17integral_constantIbLb1EES1U_EEDaS1P_S1Q_EUlS1P_E_NS1_11comp_targetILNS1_3genE5ELNS1_11target_archE942ELNS1_3gpuE9ELNS1_3repE0EEENS1_30default_config_static_selectorELNS0_4arch9wavefront6targetE0EEEvS12_
		.amdhsa_group_segment_fixed_size 0
		.amdhsa_private_segment_fixed_size 0
		.amdhsa_kernarg_size 184
		.amdhsa_user_sgpr_count 2
		.amdhsa_user_sgpr_dispatch_ptr 0
		.amdhsa_user_sgpr_queue_ptr 0
		.amdhsa_user_sgpr_kernarg_segment_ptr 1
		.amdhsa_user_sgpr_dispatch_id 0
		.amdhsa_user_sgpr_private_segment_size 0
		.amdhsa_wavefront_size32 1
		.amdhsa_uses_dynamic_stack 0
		.amdhsa_enable_private_segment 0
		.amdhsa_system_sgpr_workgroup_id_x 1
		.amdhsa_system_sgpr_workgroup_id_y 0
		.amdhsa_system_sgpr_workgroup_id_z 0
		.amdhsa_system_sgpr_workgroup_info 0
		.amdhsa_system_vgpr_workitem_id 0
		.amdhsa_next_free_vgpr 1
		.amdhsa_next_free_sgpr 1
		.amdhsa_reserve_vcc 0
		.amdhsa_float_round_mode_32 0
		.amdhsa_float_round_mode_16_64 0
		.amdhsa_float_denorm_mode_32 3
		.amdhsa_float_denorm_mode_16_64 3
		.amdhsa_fp16_overflow 0
		.amdhsa_workgroup_processor_mode 1
		.amdhsa_memory_ordered 1
		.amdhsa_forward_progress 1
		.amdhsa_inst_pref_size 0
		.amdhsa_round_robin_scheduling 0
		.amdhsa_exception_fp_ieee_invalid_op 0
		.amdhsa_exception_fp_denorm_src 0
		.amdhsa_exception_fp_ieee_div_zero 0
		.amdhsa_exception_fp_ieee_overflow 0
		.amdhsa_exception_fp_ieee_underflow 0
		.amdhsa_exception_fp_ieee_inexact 0
		.amdhsa_exception_int_div_zero 0
	.end_amdhsa_kernel
	.section	.text._ZN7rocprim17ROCPRIM_400000_NS6detail17trampoline_kernelINS0_13select_configILj256ELj13ELNS0_17block_load_methodE3ELS4_3ELS4_3ELNS0_20block_scan_algorithmE0ELj4294967295EEENS1_25partition_config_selectorILNS1_17partition_subalgoE4EjNS0_10empty_typeEbEEZZNS1_14partition_implILS8_4ELb0ES6_15HIP_vector_typeIjLj2EENS0_17counting_iteratorIjlEEPS9_SG_NS0_5tupleIJPjSI_NS0_16reverse_iteratorISI_EEEEENSH_IJSG_SG_SG_EEES9_SI_JZNS1_25segmented_radix_sort_implINS0_14default_configELb1EPKfPfPKlPlN2at6native12_GLOBAL__N_18offset_tEEE10hipError_tPvRmT1_PNSt15iterator_traitsIS12_E10value_typeET2_T3_PNS13_IS18_E10value_typeET4_jRbjT5_S1E_jjP12ihipStream_tbEUljE_ZNSN_ISO_Lb1ESQ_SR_ST_SU_SY_EESZ_S10_S11_S12_S16_S17_S18_S1B_S1C_jS1D_jS1E_S1E_jjS1G_bEUljE0_EEESZ_S10_S11_S18_S1C_S1E_T6_T7_T9_mT8_S1G_bDpT10_ENKUlT_T0_E_clISt17integral_constantIbLb1EES1U_EEDaS1P_S1Q_EUlS1P_E_NS1_11comp_targetILNS1_3genE5ELNS1_11target_archE942ELNS1_3gpuE9ELNS1_3repE0EEENS1_30default_config_static_selectorELNS0_4arch9wavefront6targetE0EEEvS12_,"axG",@progbits,_ZN7rocprim17ROCPRIM_400000_NS6detail17trampoline_kernelINS0_13select_configILj256ELj13ELNS0_17block_load_methodE3ELS4_3ELS4_3ELNS0_20block_scan_algorithmE0ELj4294967295EEENS1_25partition_config_selectorILNS1_17partition_subalgoE4EjNS0_10empty_typeEbEEZZNS1_14partition_implILS8_4ELb0ES6_15HIP_vector_typeIjLj2EENS0_17counting_iteratorIjlEEPS9_SG_NS0_5tupleIJPjSI_NS0_16reverse_iteratorISI_EEEEENSH_IJSG_SG_SG_EEES9_SI_JZNS1_25segmented_radix_sort_implINS0_14default_configELb1EPKfPfPKlPlN2at6native12_GLOBAL__N_18offset_tEEE10hipError_tPvRmT1_PNSt15iterator_traitsIS12_E10value_typeET2_T3_PNS13_IS18_E10value_typeET4_jRbjT5_S1E_jjP12ihipStream_tbEUljE_ZNSN_ISO_Lb1ESQ_SR_ST_SU_SY_EESZ_S10_S11_S12_S16_S17_S18_S1B_S1C_jS1D_jS1E_S1E_jjS1G_bEUljE0_EEESZ_S10_S11_S18_S1C_S1E_T6_T7_T9_mT8_S1G_bDpT10_ENKUlT_T0_E_clISt17integral_constantIbLb1EES1U_EEDaS1P_S1Q_EUlS1P_E_NS1_11comp_targetILNS1_3genE5ELNS1_11target_archE942ELNS1_3gpuE9ELNS1_3repE0EEENS1_30default_config_static_selectorELNS0_4arch9wavefront6targetE0EEEvS12_,comdat
.Lfunc_end1270:
	.size	_ZN7rocprim17ROCPRIM_400000_NS6detail17trampoline_kernelINS0_13select_configILj256ELj13ELNS0_17block_load_methodE3ELS4_3ELS4_3ELNS0_20block_scan_algorithmE0ELj4294967295EEENS1_25partition_config_selectorILNS1_17partition_subalgoE4EjNS0_10empty_typeEbEEZZNS1_14partition_implILS8_4ELb0ES6_15HIP_vector_typeIjLj2EENS0_17counting_iteratorIjlEEPS9_SG_NS0_5tupleIJPjSI_NS0_16reverse_iteratorISI_EEEEENSH_IJSG_SG_SG_EEES9_SI_JZNS1_25segmented_radix_sort_implINS0_14default_configELb1EPKfPfPKlPlN2at6native12_GLOBAL__N_18offset_tEEE10hipError_tPvRmT1_PNSt15iterator_traitsIS12_E10value_typeET2_T3_PNS13_IS18_E10value_typeET4_jRbjT5_S1E_jjP12ihipStream_tbEUljE_ZNSN_ISO_Lb1ESQ_SR_ST_SU_SY_EESZ_S10_S11_S12_S16_S17_S18_S1B_S1C_jS1D_jS1E_S1E_jjS1G_bEUljE0_EEESZ_S10_S11_S18_S1C_S1E_T6_T7_T9_mT8_S1G_bDpT10_ENKUlT_T0_E_clISt17integral_constantIbLb1EES1U_EEDaS1P_S1Q_EUlS1P_E_NS1_11comp_targetILNS1_3genE5ELNS1_11target_archE942ELNS1_3gpuE9ELNS1_3repE0EEENS1_30default_config_static_selectorELNS0_4arch9wavefront6targetE0EEEvS12_, .Lfunc_end1270-_ZN7rocprim17ROCPRIM_400000_NS6detail17trampoline_kernelINS0_13select_configILj256ELj13ELNS0_17block_load_methodE3ELS4_3ELS4_3ELNS0_20block_scan_algorithmE0ELj4294967295EEENS1_25partition_config_selectorILNS1_17partition_subalgoE4EjNS0_10empty_typeEbEEZZNS1_14partition_implILS8_4ELb0ES6_15HIP_vector_typeIjLj2EENS0_17counting_iteratorIjlEEPS9_SG_NS0_5tupleIJPjSI_NS0_16reverse_iteratorISI_EEEEENSH_IJSG_SG_SG_EEES9_SI_JZNS1_25segmented_radix_sort_implINS0_14default_configELb1EPKfPfPKlPlN2at6native12_GLOBAL__N_18offset_tEEE10hipError_tPvRmT1_PNSt15iterator_traitsIS12_E10value_typeET2_T3_PNS13_IS18_E10value_typeET4_jRbjT5_S1E_jjP12ihipStream_tbEUljE_ZNSN_ISO_Lb1ESQ_SR_ST_SU_SY_EESZ_S10_S11_S12_S16_S17_S18_S1B_S1C_jS1D_jS1E_S1E_jjS1G_bEUljE0_EEESZ_S10_S11_S18_S1C_S1E_T6_T7_T9_mT8_S1G_bDpT10_ENKUlT_T0_E_clISt17integral_constantIbLb1EES1U_EEDaS1P_S1Q_EUlS1P_E_NS1_11comp_targetILNS1_3genE5ELNS1_11target_archE942ELNS1_3gpuE9ELNS1_3repE0EEENS1_30default_config_static_selectorELNS0_4arch9wavefront6targetE0EEEvS12_
                                        ; -- End function
	.set _ZN7rocprim17ROCPRIM_400000_NS6detail17trampoline_kernelINS0_13select_configILj256ELj13ELNS0_17block_load_methodE3ELS4_3ELS4_3ELNS0_20block_scan_algorithmE0ELj4294967295EEENS1_25partition_config_selectorILNS1_17partition_subalgoE4EjNS0_10empty_typeEbEEZZNS1_14partition_implILS8_4ELb0ES6_15HIP_vector_typeIjLj2EENS0_17counting_iteratorIjlEEPS9_SG_NS0_5tupleIJPjSI_NS0_16reverse_iteratorISI_EEEEENSH_IJSG_SG_SG_EEES9_SI_JZNS1_25segmented_radix_sort_implINS0_14default_configELb1EPKfPfPKlPlN2at6native12_GLOBAL__N_18offset_tEEE10hipError_tPvRmT1_PNSt15iterator_traitsIS12_E10value_typeET2_T3_PNS13_IS18_E10value_typeET4_jRbjT5_S1E_jjP12ihipStream_tbEUljE_ZNSN_ISO_Lb1ESQ_SR_ST_SU_SY_EESZ_S10_S11_S12_S16_S17_S18_S1B_S1C_jS1D_jS1E_S1E_jjS1G_bEUljE0_EEESZ_S10_S11_S18_S1C_S1E_T6_T7_T9_mT8_S1G_bDpT10_ENKUlT_T0_E_clISt17integral_constantIbLb1EES1U_EEDaS1P_S1Q_EUlS1P_E_NS1_11comp_targetILNS1_3genE5ELNS1_11target_archE942ELNS1_3gpuE9ELNS1_3repE0EEENS1_30default_config_static_selectorELNS0_4arch9wavefront6targetE0EEEvS12_.num_vgpr, 0
	.set _ZN7rocprim17ROCPRIM_400000_NS6detail17trampoline_kernelINS0_13select_configILj256ELj13ELNS0_17block_load_methodE3ELS4_3ELS4_3ELNS0_20block_scan_algorithmE0ELj4294967295EEENS1_25partition_config_selectorILNS1_17partition_subalgoE4EjNS0_10empty_typeEbEEZZNS1_14partition_implILS8_4ELb0ES6_15HIP_vector_typeIjLj2EENS0_17counting_iteratorIjlEEPS9_SG_NS0_5tupleIJPjSI_NS0_16reverse_iteratorISI_EEEEENSH_IJSG_SG_SG_EEES9_SI_JZNS1_25segmented_radix_sort_implINS0_14default_configELb1EPKfPfPKlPlN2at6native12_GLOBAL__N_18offset_tEEE10hipError_tPvRmT1_PNSt15iterator_traitsIS12_E10value_typeET2_T3_PNS13_IS18_E10value_typeET4_jRbjT5_S1E_jjP12ihipStream_tbEUljE_ZNSN_ISO_Lb1ESQ_SR_ST_SU_SY_EESZ_S10_S11_S12_S16_S17_S18_S1B_S1C_jS1D_jS1E_S1E_jjS1G_bEUljE0_EEESZ_S10_S11_S18_S1C_S1E_T6_T7_T9_mT8_S1G_bDpT10_ENKUlT_T0_E_clISt17integral_constantIbLb1EES1U_EEDaS1P_S1Q_EUlS1P_E_NS1_11comp_targetILNS1_3genE5ELNS1_11target_archE942ELNS1_3gpuE9ELNS1_3repE0EEENS1_30default_config_static_selectorELNS0_4arch9wavefront6targetE0EEEvS12_.num_agpr, 0
	.set _ZN7rocprim17ROCPRIM_400000_NS6detail17trampoline_kernelINS0_13select_configILj256ELj13ELNS0_17block_load_methodE3ELS4_3ELS4_3ELNS0_20block_scan_algorithmE0ELj4294967295EEENS1_25partition_config_selectorILNS1_17partition_subalgoE4EjNS0_10empty_typeEbEEZZNS1_14partition_implILS8_4ELb0ES6_15HIP_vector_typeIjLj2EENS0_17counting_iteratorIjlEEPS9_SG_NS0_5tupleIJPjSI_NS0_16reverse_iteratorISI_EEEEENSH_IJSG_SG_SG_EEES9_SI_JZNS1_25segmented_radix_sort_implINS0_14default_configELb1EPKfPfPKlPlN2at6native12_GLOBAL__N_18offset_tEEE10hipError_tPvRmT1_PNSt15iterator_traitsIS12_E10value_typeET2_T3_PNS13_IS18_E10value_typeET4_jRbjT5_S1E_jjP12ihipStream_tbEUljE_ZNSN_ISO_Lb1ESQ_SR_ST_SU_SY_EESZ_S10_S11_S12_S16_S17_S18_S1B_S1C_jS1D_jS1E_S1E_jjS1G_bEUljE0_EEESZ_S10_S11_S18_S1C_S1E_T6_T7_T9_mT8_S1G_bDpT10_ENKUlT_T0_E_clISt17integral_constantIbLb1EES1U_EEDaS1P_S1Q_EUlS1P_E_NS1_11comp_targetILNS1_3genE5ELNS1_11target_archE942ELNS1_3gpuE9ELNS1_3repE0EEENS1_30default_config_static_selectorELNS0_4arch9wavefront6targetE0EEEvS12_.numbered_sgpr, 0
	.set _ZN7rocprim17ROCPRIM_400000_NS6detail17trampoline_kernelINS0_13select_configILj256ELj13ELNS0_17block_load_methodE3ELS4_3ELS4_3ELNS0_20block_scan_algorithmE0ELj4294967295EEENS1_25partition_config_selectorILNS1_17partition_subalgoE4EjNS0_10empty_typeEbEEZZNS1_14partition_implILS8_4ELb0ES6_15HIP_vector_typeIjLj2EENS0_17counting_iteratorIjlEEPS9_SG_NS0_5tupleIJPjSI_NS0_16reverse_iteratorISI_EEEEENSH_IJSG_SG_SG_EEES9_SI_JZNS1_25segmented_radix_sort_implINS0_14default_configELb1EPKfPfPKlPlN2at6native12_GLOBAL__N_18offset_tEEE10hipError_tPvRmT1_PNSt15iterator_traitsIS12_E10value_typeET2_T3_PNS13_IS18_E10value_typeET4_jRbjT5_S1E_jjP12ihipStream_tbEUljE_ZNSN_ISO_Lb1ESQ_SR_ST_SU_SY_EESZ_S10_S11_S12_S16_S17_S18_S1B_S1C_jS1D_jS1E_S1E_jjS1G_bEUljE0_EEESZ_S10_S11_S18_S1C_S1E_T6_T7_T9_mT8_S1G_bDpT10_ENKUlT_T0_E_clISt17integral_constantIbLb1EES1U_EEDaS1P_S1Q_EUlS1P_E_NS1_11comp_targetILNS1_3genE5ELNS1_11target_archE942ELNS1_3gpuE9ELNS1_3repE0EEENS1_30default_config_static_selectorELNS0_4arch9wavefront6targetE0EEEvS12_.num_named_barrier, 0
	.set _ZN7rocprim17ROCPRIM_400000_NS6detail17trampoline_kernelINS0_13select_configILj256ELj13ELNS0_17block_load_methodE3ELS4_3ELS4_3ELNS0_20block_scan_algorithmE0ELj4294967295EEENS1_25partition_config_selectorILNS1_17partition_subalgoE4EjNS0_10empty_typeEbEEZZNS1_14partition_implILS8_4ELb0ES6_15HIP_vector_typeIjLj2EENS0_17counting_iteratorIjlEEPS9_SG_NS0_5tupleIJPjSI_NS0_16reverse_iteratorISI_EEEEENSH_IJSG_SG_SG_EEES9_SI_JZNS1_25segmented_radix_sort_implINS0_14default_configELb1EPKfPfPKlPlN2at6native12_GLOBAL__N_18offset_tEEE10hipError_tPvRmT1_PNSt15iterator_traitsIS12_E10value_typeET2_T3_PNS13_IS18_E10value_typeET4_jRbjT5_S1E_jjP12ihipStream_tbEUljE_ZNSN_ISO_Lb1ESQ_SR_ST_SU_SY_EESZ_S10_S11_S12_S16_S17_S18_S1B_S1C_jS1D_jS1E_S1E_jjS1G_bEUljE0_EEESZ_S10_S11_S18_S1C_S1E_T6_T7_T9_mT8_S1G_bDpT10_ENKUlT_T0_E_clISt17integral_constantIbLb1EES1U_EEDaS1P_S1Q_EUlS1P_E_NS1_11comp_targetILNS1_3genE5ELNS1_11target_archE942ELNS1_3gpuE9ELNS1_3repE0EEENS1_30default_config_static_selectorELNS0_4arch9wavefront6targetE0EEEvS12_.private_seg_size, 0
	.set _ZN7rocprim17ROCPRIM_400000_NS6detail17trampoline_kernelINS0_13select_configILj256ELj13ELNS0_17block_load_methodE3ELS4_3ELS4_3ELNS0_20block_scan_algorithmE0ELj4294967295EEENS1_25partition_config_selectorILNS1_17partition_subalgoE4EjNS0_10empty_typeEbEEZZNS1_14partition_implILS8_4ELb0ES6_15HIP_vector_typeIjLj2EENS0_17counting_iteratorIjlEEPS9_SG_NS0_5tupleIJPjSI_NS0_16reverse_iteratorISI_EEEEENSH_IJSG_SG_SG_EEES9_SI_JZNS1_25segmented_radix_sort_implINS0_14default_configELb1EPKfPfPKlPlN2at6native12_GLOBAL__N_18offset_tEEE10hipError_tPvRmT1_PNSt15iterator_traitsIS12_E10value_typeET2_T3_PNS13_IS18_E10value_typeET4_jRbjT5_S1E_jjP12ihipStream_tbEUljE_ZNSN_ISO_Lb1ESQ_SR_ST_SU_SY_EESZ_S10_S11_S12_S16_S17_S18_S1B_S1C_jS1D_jS1E_S1E_jjS1G_bEUljE0_EEESZ_S10_S11_S18_S1C_S1E_T6_T7_T9_mT8_S1G_bDpT10_ENKUlT_T0_E_clISt17integral_constantIbLb1EES1U_EEDaS1P_S1Q_EUlS1P_E_NS1_11comp_targetILNS1_3genE5ELNS1_11target_archE942ELNS1_3gpuE9ELNS1_3repE0EEENS1_30default_config_static_selectorELNS0_4arch9wavefront6targetE0EEEvS12_.uses_vcc, 0
	.set _ZN7rocprim17ROCPRIM_400000_NS6detail17trampoline_kernelINS0_13select_configILj256ELj13ELNS0_17block_load_methodE3ELS4_3ELS4_3ELNS0_20block_scan_algorithmE0ELj4294967295EEENS1_25partition_config_selectorILNS1_17partition_subalgoE4EjNS0_10empty_typeEbEEZZNS1_14partition_implILS8_4ELb0ES6_15HIP_vector_typeIjLj2EENS0_17counting_iteratorIjlEEPS9_SG_NS0_5tupleIJPjSI_NS0_16reverse_iteratorISI_EEEEENSH_IJSG_SG_SG_EEES9_SI_JZNS1_25segmented_radix_sort_implINS0_14default_configELb1EPKfPfPKlPlN2at6native12_GLOBAL__N_18offset_tEEE10hipError_tPvRmT1_PNSt15iterator_traitsIS12_E10value_typeET2_T3_PNS13_IS18_E10value_typeET4_jRbjT5_S1E_jjP12ihipStream_tbEUljE_ZNSN_ISO_Lb1ESQ_SR_ST_SU_SY_EESZ_S10_S11_S12_S16_S17_S18_S1B_S1C_jS1D_jS1E_S1E_jjS1G_bEUljE0_EEESZ_S10_S11_S18_S1C_S1E_T6_T7_T9_mT8_S1G_bDpT10_ENKUlT_T0_E_clISt17integral_constantIbLb1EES1U_EEDaS1P_S1Q_EUlS1P_E_NS1_11comp_targetILNS1_3genE5ELNS1_11target_archE942ELNS1_3gpuE9ELNS1_3repE0EEENS1_30default_config_static_selectorELNS0_4arch9wavefront6targetE0EEEvS12_.uses_flat_scratch, 0
	.set _ZN7rocprim17ROCPRIM_400000_NS6detail17trampoline_kernelINS0_13select_configILj256ELj13ELNS0_17block_load_methodE3ELS4_3ELS4_3ELNS0_20block_scan_algorithmE0ELj4294967295EEENS1_25partition_config_selectorILNS1_17partition_subalgoE4EjNS0_10empty_typeEbEEZZNS1_14partition_implILS8_4ELb0ES6_15HIP_vector_typeIjLj2EENS0_17counting_iteratorIjlEEPS9_SG_NS0_5tupleIJPjSI_NS0_16reverse_iteratorISI_EEEEENSH_IJSG_SG_SG_EEES9_SI_JZNS1_25segmented_radix_sort_implINS0_14default_configELb1EPKfPfPKlPlN2at6native12_GLOBAL__N_18offset_tEEE10hipError_tPvRmT1_PNSt15iterator_traitsIS12_E10value_typeET2_T3_PNS13_IS18_E10value_typeET4_jRbjT5_S1E_jjP12ihipStream_tbEUljE_ZNSN_ISO_Lb1ESQ_SR_ST_SU_SY_EESZ_S10_S11_S12_S16_S17_S18_S1B_S1C_jS1D_jS1E_S1E_jjS1G_bEUljE0_EEESZ_S10_S11_S18_S1C_S1E_T6_T7_T9_mT8_S1G_bDpT10_ENKUlT_T0_E_clISt17integral_constantIbLb1EES1U_EEDaS1P_S1Q_EUlS1P_E_NS1_11comp_targetILNS1_3genE5ELNS1_11target_archE942ELNS1_3gpuE9ELNS1_3repE0EEENS1_30default_config_static_selectorELNS0_4arch9wavefront6targetE0EEEvS12_.has_dyn_sized_stack, 0
	.set _ZN7rocprim17ROCPRIM_400000_NS6detail17trampoline_kernelINS0_13select_configILj256ELj13ELNS0_17block_load_methodE3ELS4_3ELS4_3ELNS0_20block_scan_algorithmE0ELj4294967295EEENS1_25partition_config_selectorILNS1_17partition_subalgoE4EjNS0_10empty_typeEbEEZZNS1_14partition_implILS8_4ELb0ES6_15HIP_vector_typeIjLj2EENS0_17counting_iteratorIjlEEPS9_SG_NS0_5tupleIJPjSI_NS0_16reverse_iteratorISI_EEEEENSH_IJSG_SG_SG_EEES9_SI_JZNS1_25segmented_radix_sort_implINS0_14default_configELb1EPKfPfPKlPlN2at6native12_GLOBAL__N_18offset_tEEE10hipError_tPvRmT1_PNSt15iterator_traitsIS12_E10value_typeET2_T3_PNS13_IS18_E10value_typeET4_jRbjT5_S1E_jjP12ihipStream_tbEUljE_ZNSN_ISO_Lb1ESQ_SR_ST_SU_SY_EESZ_S10_S11_S12_S16_S17_S18_S1B_S1C_jS1D_jS1E_S1E_jjS1G_bEUljE0_EEESZ_S10_S11_S18_S1C_S1E_T6_T7_T9_mT8_S1G_bDpT10_ENKUlT_T0_E_clISt17integral_constantIbLb1EES1U_EEDaS1P_S1Q_EUlS1P_E_NS1_11comp_targetILNS1_3genE5ELNS1_11target_archE942ELNS1_3gpuE9ELNS1_3repE0EEENS1_30default_config_static_selectorELNS0_4arch9wavefront6targetE0EEEvS12_.has_recursion, 0
	.set _ZN7rocprim17ROCPRIM_400000_NS6detail17trampoline_kernelINS0_13select_configILj256ELj13ELNS0_17block_load_methodE3ELS4_3ELS4_3ELNS0_20block_scan_algorithmE0ELj4294967295EEENS1_25partition_config_selectorILNS1_17partition_subalgoE4EjNS0_10empty_typeEbEEZZNS1_14partition_implILS8_4ELb0ES6_15HIP_vector_typeIjLj2EENS0_17counting_iteratorIjlEEPS9_SG_NS0_5tupleIJPjSI_NS0_16reverse_iteratorISI_EEEEENSH_IJSG_SG_SG_EEES9_SI_JZNS1_25segmented_radix_sort_implINS0_14default_configELb1EPKfPfPKlPlN2at6native12_GLOBAL__N_18offset_tEEE10hipError_tPvRmT1_PNSt15iterator_traitsIS12_E10value_typeET2_T3_PNS13_IS18_E10value_typeET4_jRbjT5_S1E_jjP12ihipStream_tbEUljE_ZNSN_ISO_Lb1ESQ_SR_ST_SU_SY_EESZ_S10_S11_S12_S16_S17_S18_S1B_S1C_jS1D_jS1E_S1E_jjS1G_bEUljE0_EEESZ_S10_S11_S18_S1C_S1E_T6_T7_T9_mT8_S1G_bDpT10_ENKUlT_T0_E_clISt17integral_constantIbLb1EES1U_EEDaS1P_S1Q_EUlS1P_E_NS1_11comp_targetILNS1_3genE5ELNS1_11target_archE942ELNS1_3gpuE9ELNS1_3repE0EEENS1_30default_config_static_selectorELNS0_4arch9wavefront6targetE0EEEvS12_.has_indirect_call, 0
	.section	.AMDGPU.csdata,"",@progbits
; Kernel info:
; codeLenInByte = 0
; TotalNumSgprs: 0
; NumVgprs: 0
; ScratchSize: 0
; MemoryBound: 0
; FloatMode: 240
; IeeeMode: 1
; LDSByteSize: 0 bytes/workgroup (compile time only)
; SGPRBlocks: 0
; VGPRBlocks: 0
; NumSGPRsForWavesPerEU: 1
; NumVGPRsForWavesPerEU: 1
; Occupancy: 16
; WaveLimiterHint : 0
; COMPUTE_PGM_RSRC2:SCRATCH_EN: 0
; COMPUTE_PGM_RSRC2:USER_SGPR: 2
; COMPUTE_PGM_RSRC2:TRAP_HANDLER: 0
; COMPUTE_PGM_RSRC2:TGID_X_EN: 1
; COMPUTE_PGM_RSRC2:TGID_Y_EN: 0
; COMPUTE_PGM_RSRC2:TGID_Z_EN: 0
; COMPUTE_PGM_RSRC2:TIDIG_COMP_CNT: 0
	.section	.text._ZN7rocprim17ROCPRIM_400000_NS6detail17trampoline_kernelINS0_13select_configILj256ELj13ELNS0_17block_load_methodE3ELS4_3ELS4_3ELNS0_20block_scan_algorithmE0ELj4294967295EEENS1_25partition_config_selectorILNS1_17partition_subalgoE4EjNS0_10empty_typeEbEEZZNS1_14partition_implILS8_4ELb0ES6_15HIP_vector_typeIjLj2EENS0_17counting_iteratorIjlEEPS9_SG_NS0_5tupleIJPjSI_NS0_16reverse_iteratorISI_EEEEENSH_IJSG_SG_SG_EEES9_SI_JZNS1_25segmented_radix_sort_implINS0_14default_configELb1EPKfPfPKlPlN2at6native12_GLOBAL__N_18offset_tEEE10hipError_tPvRmT1_PNSt15iterator_traitsIS12_E10value_typeET2_T3_PNS13_IS18_E10value_typeET4_jRbjT5_S1E_jjP12ihipStream_tbEUljE_ZNSN_ISO_Lb1ESQ_SR_ST_SU_SY_EESZ_S10_S11_S12_S16_S17_S18_S1B_S1C_jS1D_jS1E_S1E_jjS1G_bEUljE0_EEESZ_S10_S11_S18_S1C_S1E_T6_T7_T9_mT8_S1G_bDpT10_ENKUlT_T0_E_clISt17integral_constantIbLb1EES1U_EEDaS1P_S1Q_EUlS1P_E_NS1_11comp_targetILNS1_3genE4ELNS1_11target_archE910ELNS1_3gpuE8ELNS1_3repE0EEENS1_30default_config_static_selectorELNS0_4arch9wavefront6targetE0EEEvS12_,"axG",@progbits,_ZN7rocprim17ROCPRIM_400000_NS6detail17trampoline_kernelINS0_13select_configILj256ELj13ELNS0_17block_load_methodE3ELS4_3ELS4_3ELNS0_20block_scan_algorithmE0ELj4294967295EEENS1_25partition_config_selectorILNS1_17partition_subalgoE4EjNS0_10empty_typeEbEEZZNS1_14partition_implILS8_4ELb0ES6_15HIP_vector_typeIjLj2EENS0_17counting_iteratorIjlEEPS9_SG_NS0_5tupleIJPjSI_NS0_16reverse_iteratorISI_EEEEENSH_IJSG_SG_SG_EEES9_SI_JZNS1_25segmented_radix_sort_implINS0_14default_configELb1EPKfPfPKlPlN2at6native12_GLOBAL__N_18offset_tEEE10hipError_tPvRmT1_PNSt15iterator_traitsIS12_E10value_typeET2_T3_PNS13_IS18_E10value_typeET4_jRbjT5_S1E_jjP12ihipStream_tbEUljE_ZNSN_ISO_Lb1ESQ_SR_ST_SU_SY_EESZ_S10_S11_S12_S16_S17_S18_S1B_S1C_jS1D_jS1E_S1E_jjS1G_bEUljE0_EEESZ_S10_S11_S18_S1C_S1E_T6_T7_T9_mT8_S1G_bDpT10_ENKUlT_T0_E_clISt17integral_constantIbLb1EES1U_EEDaS1P_S1Q_EUlS1P_E_NS1_11comp_targetILNS1_3genE4ELNS1_11target_archE910ELNS1_3gpuE8ELNS1_3repE0EEENS1_30default_config_static_selectorELNS0_4arch9wavefront6targetE0EEEvS12_,comdat
	.globl	_ZN7rocprim17ROCPRIM_400000_NS6detail17trampoline_kernelINS0_13select_configILj256ELj13ELNS0_17block_load_methodE3ELS4_3ELS4_3ELNS0_20block_scan_algorithmE0ELj4294967295EEENS1_25partition_config_selectorILNS1_17partition_subalgoE4EjNS0_10empty_typeEbEEZZNS1_14partition_implILS8_4ELb0ES6_15HIP_vector_typeIjLj2EENS0_17counting_iteratorIjlEEPS9_SG_NS0_5tupleIJPjSI_NS0_16reverse_iteratorISI_EEEEENSH_IJSG_SG_SG_EEES9_SI_JZNS1_25segmented_radix_sort_implINS0_14default_configELb1EPKfPfPKlPlN2at6native12_GLOBAL__N_18offset_tEEE10hipError_tPvRmT1_PNSt15iterator_traitsIS12_E10value_typeET2_T3_PNS13_IS18_E10value_typeET4_jRbjT5_S1E_jjP12ihipStream_tbEUljE_ZNSN_ISO_Lb1ESQ_SR_ST_SU_SY_EESZ_S10_S11_S12_S16_S17_S18_S1B_S1C_jS1D_jS1E_S1E_jjS1G_bEUljE0_EEESZ_S10_S11_S18_S1C_S1E_T6_T7_T9_mT8_S1G_bDpT10_ENKUlT_T0_E_clISt17integral_constantIbLb1EES1U_EEDaS1P_S1Q_EUlS1P_E_NS1_11comp_targetILNS1_3genE4ELNS1_11target_archE910ELNS1_3gpuE8ELNS1_3repE0EEENS1_30default_config_static_selectorELNS0_4arch9wavefront6targetE0EEEvS12_ ; -- Begin function _ZN7rocprim17ROCPRIM_400000_NS6detail17trampoline_kernelINS0_13select_configILj256ELj13ELNS0_17block_load_methodE3ELS4_3ELS4_3ELNS0_20block_scan_algorithmE0ELj4294967295EEENS1_25partition_config_selectorILNS1_17partition_subalgoE4EjNS0_10empty_typeEbEEZZNS1_14partition_implILS8_4ELb0ES6_15HIP_vector_typeIjLj2EENS0_17counting_iteratorIjlEEPS9_SG_NS0_5tupleIJPjSI_NS0_16reverse_iteratorISI_EEEEENSH_IJSG_SG_SG_EEES9_SI_JZNS1_25segmented_radix_sort_implINS0_14default_configELb1EPKfPfPKlPlN2at6native12_GLOBAL__N_18offset_tEEE10hipError_tPvRmT1_PNSt15iterator_traitsIS12_E10value_typeET2_T3_PNS13_IS18_E10value_typeET4_jRbjT5_S1E_jjP12ihipStream_tbEUljE_ZNSN_ISO_Lb1ESQ_SR_ST_SU_SY_EESZ_S10_S11_S12_S16_S17_S18_S1B_S1C_jS1D_jS1E_S1E_jjS1G_bEUljE0_EEESZ_S10_S11_S18_S1C_S1E_T6_T7_T9_mT8_S1G_bDpT10_ENKUlT_T0_E_clISt17integral_constantIbLb1EES1U_EEDaS1P_S1Q_EUlS1P_E_NS1_11comp_targetILNS1_3genE4ELNS1_11target_archE910ELNS1_3gpuE8ELNS1_3repE0EEENS1_30default_config_static_selectorELNS0_4arch9wavefront6targetE0EEEvS12_
	.p2align	8
	.type	_ZN7rocprim17ROCPRIM_400000_NS6detail17trampoline_kernelINS0_13select_configILj256ELj13ELNS0_17block_load_methodE3ELS4_3ELS4_3ELNS0_20block_scan_algorithmE0ELj4294967295EEENS1_25partition_config_selectorILNS1_17partition_subalgoE4EjNS0_10empty_typeEbEEZZNS1_14partition_implILS8_4ELb0ES6_15HIP_vector_typeIjLj2EENS0_17counting_iteratorIjlEEPS9_SG_NS0_5tupleIJPjSI_NS0_16reverse_iteratorISI_EEEEENSH_IJSG_SG_SG_EEES9_SI_JZNS1_25segmented_radix_sort_implINS0_14default_configELb1EPKfPfPKlPlN2at6native12_GLOBAL__N_18offset_tEEE10hipError_tPvRmT1_PNSt15iterator_traitsIS12_E10value_typeET2_T3_PNS13_IS18_E10value_typeET4_jRbjT5_S1E_jjP12ihipStream_tbEUljE_ZNSN_ISO_Lb1ESQ_SR_ST_SU_SY_EESZ_S10_S11_S12_S16_S17_S18_S1B_S1C_jS1D_jS1E_S1E_jjS1G_bEUljE0_EEESZ_S10_S11_S18_S1C_S1E_T6_T7_T9_mT8_S1G_bDpT10_ENKUlT_T0_E_clISt17integral_constantIbLb1EES1U_EEDaS1P_S1Q_EUlS1P_E_NS1_11comp_targetILNS1_3genE4ELNS1_11target_archE910ELNS1_3gpuE8ELNS1_3repE0EEENS1_30default_config_static_selectorELNS0_4arch9wavefront6targetE0EEEvS12_,@function
_ZN7rocprim17ROCPRIM_400000_NS6detail17trampoline_kernelINS0_13select_configILj256ELj13ELNS0_17block_load_methodE3ELS4_3ELS4_3ELNS0_20block_scan_algorithmE0ELj4294967295EEENS1_25partition_config_selectorILNS1_17partition_subalgoE4EjNS0_10empty_typeEbEEZZNS1_14partition_implILS8_4ELb0ES6_15HIP_vector_typeIjLj2EENS0_17counting_iteratorIjlEEPS9_SG_NS0_5tupleIJPjSI_NS0_16reverse_iteratorISI_EEEEENSH_IJSG_SG_SG_EEES9_SI_JZNS1_25segmented_radix_sort_implINS0_14default_configELb1EPKfPfPKlPlN2at6native12_GLOBAL__N_18offset_tEEE10hipError_tPvRmT1_PNSt15iterator_traitsIS12_E10value_typeET2_T3_PNS13_IS18_E10value_typeET4_jRbjT5_S1E_jjP12ihipStream_tbEUljE_ZNSN_ISO_Lb1ESQ_SR_ST_SU_SY_EESZ_S10_S11_S12_S16_S17_S18_S1B_S1C_jS1D_jS1E_S1E_jjS1G_bEUljE0_EEESZ_S10_S11_S18_S1C_S1E_T6_T7_T9_mT8_S1G_bDpT10_ENKUlT_T0_E_clISt17integral_constantIbLb1EES1U_EEDaS1P_S1Q_EUlS1P_E_NS1_11comp_targetILNS1_3genE4ELNS1_11target_archE910ELNS1_3gpuE8ELNS1_3repE0EEENS1_30default_config_static_selectorELNS0_4arch9wavefront6targetE0EEEvS12_: ; @_ZN7rocprim17ROCPRIM_400000_NS6detail17trampoline_kernelINS0_13select_configILj256ELj13ELNS0_17block_load_methodE3ELS4_3ELS4_3ELNS0_20block_scan_algorithmE0ELj4294967295EEENS1_25partition_config_selectorILNS1_17partition_subalgoE4EjNS0_10empty_typeEbEEZZNS1_14partition_implILS8_4ELb0ES6_15HIP_vector_typeIjLj2EENS0_17counting_iteratorIjlEEPS9_SG_NS0_5tupleIJPjSI_NS0_16reverse_iteratorISI_EEEEENSH_IJSG_SG_SG_EEES9_SI_JZNS1_25segmented_radix_sort_implINS0_14default_configELb1EPKfPfPKlPlN2at6native12_GLOBAL__N_18offset_tEEE10hipError_tPvRmT1_PNSt15iterator_traitsIS12_E10value_typeET2_T3_PNS13_IS18_E10value_typeET4_jRbjT5_S1E_jjP12ihipStream_tbEUljE_ZNSN_ISO_Lb1ESQ_SR_ST_SU_SY_EESZ_S10_S11_S12_S16_S17_S18_S1B_S1C_jS1D_jS1E_S1E_jjS1G_bEUljE0_EEESZ_S10_S11_S18_S1C_S1E_T6_T7_T9_mT8_S1G_bDpT10_ENKUlT_T0_E_clISt17integral_constantIbLb1EES1U_EEDaS1P_S1Q_EUlS1P_E_NS1_11comp_targetILNS1_3genE4ELNS1_11target_archE910ELNS1_3gpuE8ELNS1_3repE0EEENS1_30default_config_static_selectorELNS0_4arch9wavefront6targetE0EEEvS12_
; %bb.0:
	.section	.rodata,"a",@progbits
	.p2align	6, 0x0
	.amdhsa_kernel _ZN7rocprim17ROCPRIM_400000_NS6detail17trampoline_kernelINS0_13select_configILj256ELj13ELNS0_17block_load_methodE3ELS4_3ELS4_3ELNS0_20block_scan_algorithmE0ELj4294967295EEENS1_25partition_config_selectorILNS1_17partition_subalgoE4EjNS0_10empty_typeEbEEZZNS1_14partition_implILS8_4ELb0ES6_15HIP_vector_typeIjLj2EENS0_17counting_iteratorIjlEEPS9_SG_NS0_5tupleIJPjSI_NS0_16reverse_iteratorISI_EEEEENSH_IJSG_SG_SG_EEES9_SI_JZNS1_25segmented_radix_sort_implINS0_14default_configELb1EPKfPfPKlPlN2at6native12_GLOBAL__N_18offset_tEEE10hipError_tPvRmT1_PNSt15iterator_traitsIS12_E10value_typeET2_T3_PNS13_IS18_E10value_typeET4_jRbjT5_S1E_jjP12ihipStream_tbEUljE_ZNSN_ISO_Lb1ESQ_SR_ST_SU_SY_EESZ_S10_S11_S12_S16_S17_S18_S1B_S1C_jS1D_jS1E_S1E_jjS1G_bEUljE0_EEESZ_S10_S11_S18_S1C_S1E_T6_T7_T9_mT8_S1G_bDpT10_ENKUlT_T0_E_clISt17integral_constantIbLb1EES1U_EEDaS1P_S1Q_EUlS1P_E_NS1_11comp_targetILNS1_3genE4ELNS1_11target_archE910ELNS1_3gpuE8ELNS1_3repE0EEENS1_30default_config_static_selectorELNS0_4arch9wavefront6targetE0EEEvS12_
		.amdhsa_group_segment_fixed_size 0
		.amdhsa_private_segment_fixed_size 0
		.amdhsa_kernarg_size 184
		.amdhsa_user_sgpr_count 2
		.amdhsa_user_sgpr_dispatch_ptr 0
		.amdhsa_user_sgpr_queue_ptr 0
		.amdhsa_user_sgpr_kernarg_segment_ptr 1
		.amdhsa_user_sgpr_dispatch_id 0
		.amdhsa_user_sgpr_private_segment_size 0
		.amdhsa_wavefront_size32 1
		.amdhsa_uses_dynamic_stack 0
		.amdhsa_enable_private_segment 0
		.amdhsa_system_sgpr_workgroup_id_x 1
		.amdhsa_system_sgpr_workgroup_id_y 0
		.amdhsa_system_sgpr_workgroup_id_z 0
		.amdhsa_system_sgpr_workgroup_info 0
		.amdhsa_system_vgpr_workitem_id 0
		.amdhsa_next_free_vgpr 1
		.amdhsa_next_free_sgpr 1
		.amdhsa_reserve_vcc 0
		.amdhsa_float_round_mode_32 0
		.amdhsa_float_round_mode_16_64 0
		.amdhsa_float_denorm_mode_32 3
		.amdhsa_float_denorm_mode_16_64 3
		.amdhsa_fp16_overflow 0
		.amdhsa_workgroup_processor_mode 1
		.amdhsa_memory_ordered 1
		.amdhsa_forward_progress 1
		.amdhsa_inst_pref_size 0
		.amdhsa_round_robin_scheduling 0
		.amdhsa_exception_fp_ieee_invalid_op 0
		.amdhsa_exception_fp_denorm_src 0
		.amdhsa_exception_fp_ieee_div_zero 0
		.amdhsa_exception_fp_ieee_overflow 0
		.amdhsa_exception_fp_ieee_underflow 0
		.amdhsa_exception_fp_ieee_inexact 0
		.amdhsa_exception_int_div_zero 0
	.end_amdhsa_kernel
	.section	.text._ZN7rocprim17ROCPRIM_400000_NS6detail17trampoline_kernelINS0_13select_configILj256ELj13ELNS0_17block_load_methodE3ELS4_3ELS4_3ELNS0_20block_scan_algorithmE0ELj4294967295EEENS1_25partition_config_selectorILNS1_17partition_subalgoE4EjNS0_10empty_typeEbEEZZNS1_14partition_implILS8_4ELb0ES6_15HIP_vector_typeIjLj2EENS0_17counting_iteratorIjlEEPS9_SG_NS0_5tupleIJPjSI_NS0_16reverse_iteratorISI_EEEEENSH_IJSG_SG_SG_EEES9_SI_JZNS1_25segmented_radix_sort_implINS0_14default_configELb1EPKfPfPKlPlN2at6native12_GLOBAL__N_18offset_tEEE10hipError_tPvRmT1_PNSt15iterator_traitsIS12_E10value_typeET2_T3_PNS13_IS18_E10value_typeET4_jRbjT5_S1E_jjP12ihipStream_tbEUljE_ZNSN_ISO_Lb1ESQ_SR_ST_SU_SY_EESZ_S10_S11_S12_S16_S17_S18_S1B_S1C_jS1D_jS1E_S1E_jjS1G_bEUljE0_EEESZ_S10_S11_S18_S1C_S1E_T6_T7_T9_mT8_S1G_bDpT10_ENKUlT_T0_E_clISt17integral_constantIbLb1EES1U_EEDaS1P_S1Q_EUlS1P_E_NS1_11comp_targetILNS1_3genE4ELNS1_11target_archE910ELNS1_3gpuE8ELNS1_3repE0EEENS1_30default_config_static_selectorELNS0_4arch9wavefront6targetE0EEEvS12_,"axG",@progbits,_ZN7rocprim17ROCPRIM_400000_NS6detail17trampoline_kernelINS0_13select_configILj256ELj13ELNS0_17block_load_methodE3ELS4_3ELS4_3ELNS0_20block_scan_algorithmE0ELj4294967295EEENS1_25partition_config_selectorILNS1_17partition_subalgoE4EjNS0_10empty_typeEbEEZZNS1_14partition_implILS8_4ELb0ES6_15HIP_vector_typeIjLj2EENS0_17counting_iteratorIjlEEPS9_SG_NS0_5tupleIJPjSI_NS0_16reverse_iteratorISI_EEEEENSH_IJSG_SG_SG_EEES9_SI_JZNS1_25segmented_radix_sort_implINS0_14default_configELb1EPKfPfPKlPlN2at6native12_GLOBAL__N_18offset_tEEE10hipError_tPvRmT1_PNSt15iterator_traitsIS12_E10value_typeET2_T3_PNS13_IS18_E10value_typeET4_jRbjT5_S1E_jjP12ihipStream_tbEUljE_ZNSN_ISO_Lb1ESQ_SR_ST_SU_SY_EESZ_S10_S11_S12_S16_S17_S18_S1B_S1C_jS1D_jS1E_S1E_jjS1G_bEUljE0_EEESZ_S10_S11_S18_S1C_S1E_T6_T7_T9_mT8_S1G_bDpT10_ENKUlT_T0_E_clISt17integral_constantIbLb1EES1U_EEDaS1P_S1Q_EUlS1P_E_NS1_11comp_targetILNS1_3genE4ELNS1_11target_archE910ELNS1_3gpuE8ELNS1_3repE0EEENS1_30default_config_static_selectorELNS0_4arch9wavefront6targetE0EEEvS12_,comdat
.Lfunc_end1271:
	.size	_ZN7rocprim17ROCPRIM_400000_NS6detail17trampoline_kernelINS0_13select_configILj256ELj13ELNS0_17block_load_methodE3ELS4_3ELS4_3ELNS0_20block_scan_algorithmE0ELj4294967295EEENS1_25partition_config_selectorILNS1_17partition_subalgoE4EjNS0_10empty_typeEbEEZZNS1_14partition_implILS8_4ELb0ES6_15HIP_vector_typeIjLj2EENS0_17counting_iteratorIjlEEPS9_SG_NS0_5tupleIJPjSI_NS0_16reverse_iteratorISI_EEEEENSH_IJSG_SG_SG_EEES9_SI_JZNS1_25segmented_radix_sort_implINS0_14default_configELb1EPKfPfPKlPlN2at6native12_GLOBAL__N_18offset_tEEE10hipError_tPvRmT1_PNSt15iterator_traitsIS12_E10value_typeET2_T3_PNS13_IS18_E10value_typeET4_jRbjT5_S1E_jjP12ihipStream_tbEUljE_ZNSN_ISO_Lb1ESQ_SR_ST_SU_SY_EESZ_S10_S11_S12_S16_S17_S18_S1B_S1C_jS1D_jS1E_S1E_jjS1G_bEUljE0_EEESZ_S10_S11_S18_S1C_S1E_T6_T7_T9_mT8_S1G_bDpT10_ENKUlT_T0_E_clISt17integral_constantIbLb1EES1U_EEDaS1P_S1Q_EUlS1P_E_NS1_11comp_targetILNS1_3genE4ELNS1_11target_archE910ELNS1_3gpuE8ELNS1_3repE0EEENS1_30default_config_static_selectorELNS0_4arch9wavefront6targetE0EEEvS12_, .Lfunc_end1271-_ZN7rocprim17ROCPRIM_400000_NS6detail17trampoline_kernelINS0_13select_configILj256ELj13ELNS0_17block_load_methodE3ELS4_3ELS4_3ELNS0_20block_scan_algorithmE0ELj4294967295EEENS1_25partition_config_selectorILNS1_17partition_subalgoE4EjNS0_10empty_typeEbEEZZNS1_14partition_implILS8_4ELb0ES6_15HIP_vector_typeIjLj2EENS0_17counting_iteratorIjlEEPS9_SG_NS0_5tupleIJPjSI_NS0_16reverse_iteratorISI_EEEEENSH_IJSG_SG_SG_EEES9_SI_JZNS1_25segmented_radix_sort_implINS0_14default_configELb1EPKfPfPKlPlN2at6native12_GLOBAL__N_18offset_tEEE10hipError_tPvRmT1_PNSt15iterator_traitsIS12_E10value_typeET2_T3_PNS13_IS18_E10value_typeET4_jRbjT5_S1E_jjP12ihipStream_tbEUljE_ZNSN_ISO_Lb1ESQ_SR_ST_SU_SY_EESZ_S10_S11_S12_S16_S17_S18_S1B_S1C_jS1D_jS1E_S1E_jjS1G_bEUljE0_EEESZ_S10_S11_S18_S1C_S1E_T6_T7_T9_mT8_S1G_bDpT10_ENKUlT_T0_E_clISt17integral_constantIbLb1EES1U_EEDaS1P_S1Q_EUlS1P_E_NS1_11comp_targetILNS1_3genE4ELNS1_11target_archE910ELNS1_3gpuE8ELNS1_3repE0EEENS1_30default_config_static_selectorELNS0_4arch9wavefront6targetE0EEEvS12_
                                        ; -- End function
	.set _ZN7rocprim17ROCPRIM_400000_NS6detail17trampoline_kernelINS0_13select_configILj256ELj13ELNS0_17block_load_methodE3ELS4_3ELS4_3ELNS0_20block_scan_algorithmE0ELj4294967295EEENS1_25partition_config_selectorILNS1_17partition_subalgoE4EjNS0_10empty_typeEbEEZZNS1_14partition_implILS8_4ELb0ES6_15HIP_vector_typeIjLj2EENS0_17counting_iteratorIjlEEPS9_SG_NS0_5tupleIJPjSI_NS0_16reverse_iteratorISI_EEEEENSH_IJSG_SG_SG_EEES9_SI_JZNS1_25segmented_radix_sort_implINS0_14default_configELb1EPKfPfPKlPlN2at6native12_GLOBAL__N_18offset_tEEE10hipError_tPvRmT1_PNSt15iterator_traitsIS12_E10value_typeET2_T3_PNS13_IS18_E10value_typeET4_jRbjT5_S1E_jjP12ihipStream_tbEUljE_ZNSN_ISO_Lb1ESQ_SR_ST_SU_SY_EESZ_S10_S11_S12_S16_S17_S18_S1B_S1C_jS1D_jS1E_S1E_jjS1G_bEUljE0_EEESZ_S10_S11_S18_S1C_S1E_T6_T7_T9_mT8_S1G_bDpT10_ENKUlT_T0_E_clISt17integral_constantIbLb1EES1U_EEDaS1P_S1Q_EUlS1P_E_NS1_11comp_targetILNS1_3genE4ELNS1_11target_archE910ELNS1_3gpuE8ELNS1_3repE0EEENS1_30default_config_static_selectorELNS0_4arch9wavefront6targetE0EEEvS12_.num_vgpr, 0
	.set _ZN7rocprim17ROCPRIM_400000_NS6detail17trampoline_kernelINS0_13select_configILj256ELj13ELNS0_17block_load_methodE3ELS4_3ELS4_3ELNS0_20block_scan_algorithmE0ELj4294967295EEENS1_25partition_config_selectorILNS1_17partition_subalgoE4EjNS0_10empty_typeEbEEZZNS1_14partition_implILS8_4ELb0ES6_15HIP_vector_typeIjLj2EENS0_17counting_iteratorIjlEEPS9_SG_NS0_5tupleIJPjSI_NS0_16reverse_iteratorISI_EEEEENSH_IJSG_SG_SG_EEES9_SI_JZNS1_25segmented_radix_sort_implINS0_14default_configELb1EPKfPfPKlPlN2at6native12_GLOBAL__N_18offset_tEEE10hipError_tPvRmT1_PNSt15iterator_traitsIS12_E10value_typeET2_T3_PNS13_IS18_E10value_typeET4_jRbjT5_S1E_jjP12ihipStream_tbEUljE_ZNSN_ISO_Lb1ESQ_SR_ST_SU_SY_EESZ_S10_S11_S12_S16_S17_S18_S1B_S1C_jS1D_jS1E_S1E_jjS1G_bEUljE0_EEESZ_S10_S11_S18_S1C_S1E_T6_T7_T9_mT8_S1G_bDpT10_ENKUlT_T0_E_clISt17integral_constantIbLb1EES1U_EEDaS1P_S1Q_EUlS1P_E_NS1_11comp_targetILNS1_3genE4ELNS1_11target_archE910ELNS1_3gpuE8ELNS1_3repE0EEENS1_30default_config_static_selectorELNS0_4arch9wavefront6targetE0EEEvS12_.num_agpr, 0
	.set _ZN7rocprim17ROCPRIM_400000_NS6detail17trampoline_kernelINS0_13select_configILj256ELj13ELNS0_17block_load_methodE3ELS4_3ELS4_3ELNS0_20block_scan_algorithmE0ELj4294967295EEENS1_25partition_config_selectorILNS1_17partition_subalgoE4EjNS0_10empty_typeEbEEZZNS1_14partition_implILS8_4ELb0ES6_15HIP_vector_typeIjLj2EENS0_17counting_iteratorIjlEEPS9_SG_NS0_5tupleIJPjSI_NS0_16reverse_iteratorISI_EEEEENSH_IJSG_SG_SG_EEES9_SI_JZNS1_25segmented_radix_sort_implINS0_14default_configELb1EPKfPfPKlPlN2at6native12_GLOBAL__N_18offset_tEEE10hipError_tPvRmT1_PNSt15iterator_traitsIS12_E10value_typeET2_T3_PNS13_IS18_E10value_typeET4_jRbjT5_S1E_jjP12ihipStream_tbEUljE_ZNSN_ISO_Lb1ESQ_SR_ST_SU_SY_EESZ_S10_S11_S12_S16_S17_S18_S1B_S1C_jS1D_jS1E_S1E_jjS1G_bEUljE0_EEESZ_S10_S11_S18_S1C_S1E_T6_T7_T9_mT8_S1G_bDpT10_ENKUlT_T0_E_clISt17integral_constantIbLb1EES1U_EEDaS1P_S1Q_EUlS1P_E_NS1_11comp_targetILNS1_3genE4ELNS1_11target_archE910ELNS1_3gpuE8ELNS1_3repE0EEENS1_30default_config_static_selectorELNS0_4arch9wavefront6targetE0EEEvS12_.numbered_sgpr, 0
	.set _ZN7rocprim17ROCPRIM_400000_NS6detail17trampoline_kernelINS0_13select_configILj256ELj13ELNS0_17block_load_methodE3ELS4_3ELS4_3ELNS0_20block_scan_algorithmE0ELj4294967295EEENS1_25partition_config_selectorILNS1_17partition_subalgoE4EjNS0_10empty_typeEbEEZZNS1_14partition_implILS8_4ELb0ES6_15HIP_vector_typeIjLj2EENS0_17counting_iteratorIjlEEPS9_SG_NS0_5tupleIJPjSI_NS0_16reverse_iteratorISI_EEEEENSH_IJSG_SG_SG_EEES9_SI_JZNS1_25segmented_radix_sort_implINS0_14default_configELb1EPKfPfPKlPlN2at6native12_GLOBAL__N_18offset_tEEE10hipError_tPvRmT1_PNSt15iterator_traitsIS12_E10value_typeET2_T3_PNS13_IS18_E10value_typeET4_jRbjT5_S1E_jjP12ihipStream_tbEUljE_ZNSN_ISO_Lb1ESQ_SR_ST_SU_SY_EESZ_S10_S11_S12_S16_S17_S18_S1B_S1C_jS1D_jS1E_S1E_jjS1G_bEUljE0_EEESZ_S10_S11_S18_S1C_S1E_T6_T7_T9_mT8_S1G_bDpT10_ENKUlT_T0_E_clISt17integral_constantIbLb1EES1U_EEDaS1P_S1Q_EUlS1P_E_NS1_11comp_targetILNS1_3genE4ELNS1_11target_archE910ELNS1_3gpuE8ELNS1_3repE0EEENS1_30default_config_static_selectorELNS0_4arch9wavefront6targetE0EEEvS12_.num_named_barrier, 0
	.set _ZN7rocprim17ROCPRIM_400000_NS6detail17trampoline_kernelINS0_13select_configILj256ELj13ELNS0_17block_load_methodE3ELS4_3ELS4_3ELNS0_20block_scan_algorithmE0ELj4294967295EEENS1_25partition_config_selectorILNS1_17partition_subalgoE4EjNS0_10empty_typeEbEEZZNS1_14partition_implILS8_4ELb0ES6_15HIP_vector_typeIjLj2EENS0_17counting_iteratorIjlEEPS9_SG_NS0_5tupleIJPjSI_NS0_16reverse_iteratorISI_EEEEENSH_IJSG_SG_SG_EEES9_SI_JZNS1_25segmented_radix_sort_implINS0_14default_configELb1EPKfPfPKlPlN2at6native12_GLOBAL__N_18offset_tEEE10hipError_tPvRmT1_PNSt15iterator_traitsIS12_E10value_typeET2_T3_PNS13_IS18_E10value_typeET4_jRbjT5_S1E_jjP12ihipStream_tbEUljE_ZNSN_ISO_Lb1ESQ_SR_ST_SU_SY_EESZ_S10_S11_S12_S16_S17_S18_S1B_S1C_jS1D_jS1E_S1E_jjS1G_bEUljE0_EEESZ_S10_S11_S18_S1C_S1E_T6_T7_T9_mT8_S1G_bDpT10_ENKUlT_T0_E_clISt17integral_constantIbLb1EES1U_EEDaS1P_S1Q_EUlS1P_E_NS1_11comp_targetILNS1_3genE4ELNS1_11target_archE910ELNS1_3gpuE8ELNS1_3repE0EEENS1_30default_config_static_selectorELNS0_4arch9wavefront6targetE0EEEvS12_.private_seg_size, 0
	.set _ZN7rocprim17ROCPRIM_400000_NS6detail17trampoline_kernelINS0_13select_configILj256ELj13ELNS0_17block_load_methodE3ELS4_3ELS4_3ELNS0_20block_scan_algorithmE0ELj4294967295EEENS1_25partition_config_selectorILNS1_17partition_subalgoE4EjNS0_10empty_typeEbEEZZNS1_14partition_implILS8_4ELb0ES6_15HIP_vector_typeIjLj2EENS0_17counting_iteratorIjlEEPS9_SG_NS0_5tupleIJPjSI_NS0_16reverse_iteratorISI_EEEEENSH_IJSG_SG_SG_EEES9_SI_JZNS1_25segmented_radix_sort_implINS0_14default_configELb1EPKfPfPKlPlN2at6native12_GLOBAL__N_18offset_tEEE10hipError_tPvRmT1_PNSt15iterator_traitsIS12_E10value_typeET2_T3_PNS13_IS18_E10value_typeET4_jRbjT5_S1E_jjP12ihipStream_tbEUljE_ZNSN_ISO_Lb1ESQ_SR_ST_SU_SY_EESZ_S10_S11_S12_S16_S17_S18_S1B_S1C_jS1D_jS1E_S1E_jjS1G_bEUljE0_EEESZ_S10_S11_S18_S1C_S1E_T6_T7_T9_mT8_S1G_bDpT10_ENKUlT_T0_E_clISt17integral_constantIbLb1EES1U_EEDaS1P_S1Q_EUlS1P_E_NS1_11comp_targetILNS1_3genE4ELNS1_11target_archE910ELNS1_3gpuE8ELNS1_3repE0EEENS1_30default_config_static_selectorELNS0_4arch9wavefront6targetE0EEEvS12_.uses_vcc, 0
	.set _ZN7rocprim17ROCPRIM_400000_NS6detail17trampoline_kernelINS0_13select_configILj256ELj13ELNS0_17block_load_methodE3ELS4_3ELS4_3ELNS0_20block_scan_algorithmE0ELj4294967295EEENS1_25partition_config_selectorILNS1_17partition_subalgoE4EjNS0_10empty_typeEbEEZZNS1_14partition_implILS8_4ELb0ES6_15HIP_vector_typeIjLj2EENS0_17counting_iteratorIjlEEPS9_SG_NS0_5tupleIJPjSI_NS0_16reverse_iteratorISI_EEEEENSH_IJSG_SG_SG_EEES9_SI_JZNS1_25segmented_radix_sort_implINS0_14default_configELb1EPKfPfPKlPlN2at6native12_GLOBAL__N_18offset_tEEE10hipError_tPvRmT1_PNSt15iterator_traitsIS12_E10value_typeET2_T3_PNS13_IS18_E10value_typeET4_jRbjT5_S1E_jjP12ihipStream_tbEUljE_ZNSN_ISO_Lb1ESQ_SR_ST_SU_SY_EESZ_S10_S11_S12_S16_S17_S18_S1B_S1C_jS1D_jS1E_S1E_jjS1G_bEUljE0_EEESZ_S10_S11_S18_S1C_S1E_T6_T7_T9_mT8_S1G_bDpT10_ENKUlT_T0_E_clISt17integral_constantIbLb1EES1U_EEDaS1P_S1Q_EUlS1P_E_NS1_11comp_targetILNS1_3genE4ELNS1_11target_archE910ELNS1_3gpuE8ELNS1_3repE0EEENS1_30default_config_static_selectorELNS0_4arch9wavefront6targetE0EEEvS12_.uses_flat_scratch, 0
	.set _ZN7rocprim17ROCPRIM_400000_NS6detail17trampoline_kernelINS0_13select_configILj256ELj13ELNS0_17block_load_methodE3ELS4_3ELS4_3ELNS0_20block_scan_algorithmE0ELj4294967295EEENS1_25partition_config_selectorILNS1_17partition_subalgoE4EjNS0_10empty_typeEbEEZZNS1_14partition_implILS8_4ELb0ES6_15HIP_vector_typeIjLj2EENS0_17counting_iteratorIjlEEPS9_SG_NS0_5tupleIJPjSI_NS0_16reverse_iteratorISI_EEEEENSH_IJSG_SG_SG_EEES9_SI_JZNS1_25segmented_radix_sort_implINS0_14default_configELb1EPKfPfPKlPlN2at6native12_GLOBAL__N_18offset_tEEE10hipError_tPvRmT1_PNSt15iterator_traitsIS12_E10value_typeET2_T3_PNS13_IS18_E10value_typeET4_jRbjT5_S1E_jjP12ihipStream_tbEUljE_ZNSN_ISO_Lb1ESQ_SR_ST_SU_SY_EESZ_S10_S11_S12_S16_S17_S18_S1B_S1C_jS1D_jS1E_S1E_jjS1G_bEUljE0_EEESZ_S10_S11_S18_S1C_S1E_T6_T7_T9_mT8_S1G_bDpT10_ENKUlT_T0_E_clISt17integral_constantIbLb1EES1U_EEDaS1P_S1Q_EUlS1P_E_NS1_11comp_targetILNS1_3genE4ELNS1_11target_archE910ELNS1_3gpuE8ELNS1_3repE0EEENS1_30default_config_static_selectorELNS0_4arch9wavefront6targetE0EEEvS12_.has_dyn_sized_stack, 0
	.set _ZN7rocprim17ROCPRIM_400000_NS6detail17trampoline_kernelINS0_13select_configILj256ELj13ELNS0_17block_load_methodE3ELS4_3ELS4_3ELNS0_20block_scan_algorithmE0ELj4294967295EEENS1_25partition_config_selectorILNS1_17partition_subalgoE4EjNS0_10empty_typeEbEEZZNS1_14partition_implILS8_4ELb0ES6_15HIP_vector_typeIjLj2EENS0_17counting_iteratorIjlEEPS9_SG_NS0_5tupleIJPjSI_NS0_16reverse_iteratorISI_EEEEENSH_IJSG_SG_SG_EEES9_SI_JZNS1_25segmented_radix_sort_implINS0_14default_configELb1EPKfPfPKlPlN2at6native12_GLOBAL__N_18offset_tEEE10hipError_tPvRmT1_PNSt15iterator_traitsIS12_E10value_typeET2_T3_PNS13_IS18_E10value_typeET4_jRbjT5_S1E_jjP12ihipStream_tbEUljE_ZNSN_ISO_Lb1ESQ_SR_ST_SU_SY_EESZ_S10_S11_S12_S16_S17_S18_S1B_S1C_jS1D_jS1E_S1E_jjS1G_bEUljE0_EEESZ_S10_S11_S18_S1C_S1E_T6_T7_T9_mT8_S1G_bDpT10_ENKUlT_T0_E_clISt17integral_constantIbLb1EES1U_EEDaS1P_S1Q_EUlS1P_E_NS1_11comp_targetILNS1_3genE4ELNS1_11target_archE910ELNS1_3gpuE8ELNS1_3repE0EEENS1_30default_config_static_selectorELNS0_4arch9wavefront6targetE0EEEvS12_.has_recursion, 0
	.set _ZN7rocprim17ROCPRIM_400000_NS6detail17trampoline_kernelINS0_13select_configILj256ELj13ELNS0_17block_load_methodE3ELS4_3ELS4_3ELNS0_20block_scan_algorithmE0ELj4294967295EEENS1_25partition_config_selectorILNS1_17partition_subalgoE4EjNS0_10empty_typeEbEEZZNS1_14partition_implILS8_4ELb0ES6_15HIP_vector_typeIjLj2EENS0_17counting_iteratorIjlEEPS9_SG_NS0_5tupleIJPjSI_NS0_16reverse_iteratorISI_EEEEENSH_IJSG_SG_SG_EEES9_SI_JZNS1_25segmented_radix_sort_implINS0_14default_configELb1EPKfPfPKlPlN2at6native12_GLOBAL__N_18offset_tEEE10hipError_tPvRmT1_PNSt15iterator_traitsIS12_E10value_typeET2_T3_PNS13_IS18_E10value_typeET4_jRbjT5_S1E_jjP12ihipStream_tbEUljE_ZNSN_ISO_Lb1ESQ_SR_ST_SU_SY_EESZ_S10_S11_S12_S16_S17_S18_S1B_S1C_jS1D_jS1E_S1E_jjS1G_bEUljE0_EEESZ_S10_S11_S18_S1C_S1E_T6_T7_T9_mT8_S1G_bDpT10_ENKUlT_T0_E_clISt17integral_constantIbLb1EES1U_EEDaS1P_S1Q_EUlS1P_E_NS1_11comp_targetILNS1_3genE4ELNS1_11target_archE910ELNS1_3gpuE8ELNS1_3repE0EEENS1_30default_config_static_selectorELNS0_4arch9wavefront6targetE0EEEvS12_.has_indirect_call, 0
	.section	.AMDGPU.csdata,"",@progbits
; Kernel info:
; codeLenInByte = 0
; TotalNumSgprs: 0
; NumVgprs: 0
; ScratchSize: 0
; MemoryBound: 0
; FloatMode: 240
; IeeeMode: 1
; LDSByteSize: 0 bytes/workgroup (compile time only)
; SGPRBlocks: 0
; VGPRBlocks: 0
; NumSGPRsForWavesPerEU: 1
; NumVGPRsForWavesPerEU: 1
; Occupancy: 16
; WaveLimiterHint : 0
; COMPUTE_PGM_RSRC2:SCRATCH_EN: 0
; COMPUTE_PGM_RSRC2:USER_SGPR: 2
; COMPUTE_PGM_RSRC2:TRAP_HANDLER: 0
; COMPUTE_PGM_RSRC2:TGID_X_EN: 1
; COMPUTE_PGM_RSRC2:TGID_Y_EN: 0
; COMPUTE_PGM_RSRC2:TGID_Z_EN: 0
; COMPUTE_PGM_RSRC2:TIDIG_COMP_CNT: 0
	.section	.text._ZN7rocprim17ROCPRIM_400000_NS6detail17trampoline_kernelINS0_13select_configILj256ELj13ELNS0_17block_load_methodE3ELS4_3ELS4_3ELNS0_20block_scan_algorithmE0ELj4294967295EEENS1_25partition_config_selectorILNS1_17partition_subalgoE4EjNS0_10empty_typeEbEEZZNS1_14partition_implILS8_4ELb0ES6_15HIP_vector_typeIjLj2EENS0_17counting_iteratorIjlEEPS9_SG_NS0_5tupleIJPjSI_NS0_16reverse_iteratorISI_EEEEENSH_IJSG_SG_SG_EEES9_SI_JZNS1_25segmented_radix_sort_implINS0_14default_configELb1EPKfPfPKlPlN2at6native12_GLOBAL__N_18offset_tEEE10hipError_tPvRmT1_PNSt15iterator_traitsIS12_E10value_typeET2_T3_PNS13_IS18_E10value_typeET4_jRbjT5_S1E_jjP12ihipStream_tbEUljE_ZNSN_ISO_Lb1ESQ_SR_ST_SU_SY_EESZ_S10_S11_S12_S16_S17_S18_S1B_S1C_jS1D_jS1E_S1E_jjS1G_bEUljE0_EEESZ_S10_S11_S18_S1C_S1E_T6_T7_T9_mT8_S1G_bDpT10_ENKUlT_T0_E_clISt17integral_constantIbLb1EES1U_EEDaS1P_S1Q_EUlS1P_E_NS1_11comp_targetILNS1_3genE3ELNS1_11target_archE908ELNS1_3gpuE7ELNS1_3repE0EEENS1_30default_config_static_selectorELNS0_4arch9wavefront6targetE0EEEvS12_,"axG",@progbits,_ZN7rocprim17ROCPRIM_400000_NS6detail17trampoline_kernelINS0_13select_configILj256ELj13ELNS0_17block_load_methodE3ELS4_3ELS4_3ELNS0_20block_scan_algorithmE0ELj4294967295EEENS1_25partition_config_selectorILNS1_17partition_subalgoE4EjNS0_10empty_typeEbEEZZNS1_14partition_implILS8_4ELb0ES6_15HIP_vector_typeIjLj2EENS0_17counting_iteratorIjlEEPS9_SG_NS0_5tupleIJPjSI_NS0_16reverse_iteratorISI_EEEEENSH_IJSG_SG_SG_EEES9_SI_JZNS1_25segmented_radix_sort_implINS0_14default_configELb1EPKfPfPKlPlN2at6native12_GLOBAL__N_18offset_tEEE10hipError_tPvRmT1_PNSt15iterator_traitsIS12_E10value_typeET2_T3_PNS13_IS18_E10value_typeET4_jRbjT5_S1E_jjP12ihipStream_tbEUljE_ZNSN_ISO_Lb1ESQ_SR_ST_SU_SY_EESZ_S10_S11_S12_S16_S17_S18_S1B_S1C_jS1D_jS1E_S1E_jjS1G_bEUljE0_EEESZ_S10_S11_S18_S1C_S1E_T6_T7_T9_mT8_S1G_bDpT10_ENKUlT_T0_E_clISt17integral_constantIbLb1EES1U_EEDaS1P_S1Q_EUlS1P_E_NS1_11comp_targetILNS1_3genE3ELNS1_11target_archE908ELNS1_3gpuE7ELNS1_3repE0EEENS1_30default_config_static_selectorELNS0_4arch9wavefront6targetE0EEEvS12_,comdat
	.globl	_ZN7rocprim17ROCPRIM_400000_NS6detail17trampoline_kernelINS0_13select_configILj256ELj13ELNS0_17block_load_methodE3ELS4_3ELS4_3ELNS0_20block_scan_algorithmE0ELj4294967295EEENS1_25partition_config_selectorILNS1_17partition_subalgoE4EjNS0_10empty_typeEbEEZZNS1_14partition_implILS8_4ELb0ES6_15HIP_vector_typeIjLj2EENS0_17counting_iteratorIjlEEPS9_SG_NS0_5tupleIJPjSI_NS0_16reverse_iteratorISI_EEEEENSH_IJSG_SG_SG_EEES9_SI_JZNS1_25segmented_radix_sort_implINS0_14default_configELb1EPKfPfPKlPlN2at6native12_GLOBAL__N_18offset_tEEE10hipError_tPvRmT1_PNSt15iterator_traitsIS12_E10value_typeET2_T3_PNS13_IS18_E10value_typeET4_jRbjT5_S1E_jjP12ihipStream_tbEUljE_ZNSN_ISO_Lb1ESQ_SR_ST_SU_SY_EESZ_S10_S11_S12_S16_S17_S18_S1B_S1C_jS1D_jS1E_S1E_jjS1G_bEUljE0_EEESZ_S10_S11_S18_S1C_S1E_T6_T7_T9_mT8_S1G_bDpT10_ENKUlT_T0_E_clISt17integral_constantIbLb1EES1U_EEDaS1P_S1Q_EUlS1P_E_NS1_11comp_targetILNS1_3genE3ELNS1_11target_archE908ELNS1_3gpuE7ELNS1_3repE0EEENS1_30default_config_static_selectorELNS0_4arch9wavefront6targetE0EEEvS12_ ; -- Begin function _ZN7rocprim17ROCPRIM_400000_NS6detail17trampoline_kernelINS0_13select_configILj256ELj13ELNS0_17block_load_methodE3ELS4_3ELS4_3ELNS0_20block_scan_algorithmE0ELj4294967295EEENS1_25partition_config_selectorILNS1_17partition_subalgoE4EjNS0_10empty_typeEbEEZZNS1_14partition_implILS8_4ELb0ES6_15HIP_vector_typeIjLj2EENS0_17counting_iteratorIjlEEPS9_SG_NS0_5tupleIJPjSI_NS0_16reverse_iteratorISI_EEEEENSH_IJSG_SG_SG_EEES9_SI_JZNS1_25segmented_radix_sort_implINS0_14default_configELb1EPKfPfPKlPlN2at6native12_GLOBAL__N_18offset_tEEE10hipError_tPvRmT1_PNSt15iterator_traitsIS12_E10value_typeET2_T3_PNS13_IS18_E10value_typeET4_jRbjT5_S1E_jjP12ihipStream_tbEUljE_ZNSN_ISO_Lb1ESQ_SR_ST_SU_SY_EESZ_S10_S11_S12_S16_S17_S18_S1B_S1C_jS1D_jS1E_S1E_jjS1G_bEUljE0_EEESZ_S10_S11_S18_S1C_S1E_T6_T7_T9_mT8_S1G_bDpT10_ENKUlT_T0_E_clISt17integral_constantIbLb1EES1U_EEDaS1P_S1Q_EUlS1P_E_NS1_11comp_targetILNS1_3genE3ELNS1_11target_archE908ELNS1_3gpuE7ELNS1_3repE0EEENS1_30default_config_static_selectorELNS0_4arch9wavefront6targetE0EEEvS12_
	.p2align	8
	.type	_ZN7rocprim17ROCPRIM_400000_NS6detail17trampoline_kernelINS0_13select_configILj256ELj13ELNS0_17block_load_methodE3ELS4_3ELS4_3ELNS0_20block_scan_algorithmE0ELj4294967295EEENS1_25partition_config_selectorILNS1_17partition_subalgoE4EjNS0_10empty_typeEbEEZZNS1_14partition_implILS8_4ELb0ES6_15HIP_vector_typeIjLj2EENS0_17counting_iteratorIjlEEPS9_SG_NS0_5tupleIJPjSI_NS0_16reverse_iteratorISI_EEEEENSH_IJSG_SG_SG_EEES9_SI_JZNS1_25segmented_radix_sort_implINS0_14default_configELb1EPKfPfPKlPlN2at6native12_GLOBAL__N_18offset_tEEE10hipError_tPvRmT1_PNSt15iterator_traitsIS12_E10value_typeET2_T3_PNS13_IS18_E10value_typeET4_jRbjT5_S1E_jjP12ihipStream_tbEUljE_ZNSN_ISO_Lb1ESQ_SR_ST_SU_SY_EESZ_S10_S11_S12_S16_S17_S18_S1B_S1C_jS1D_jS1E_S1E_jjS1G_bEUljE0_EEESZ_S10_S11_S18_S1C_S1E_T6_T7_T9_mT8_S1G_bDpT10_ENKUlT_T0_E_clISt17integral_constantIbLb1EES1U_EEDaS1P_S1Q_EUlS1P_E_NS1_11comp_targetILNS1_3genE3ELNS1_11target_archE908ELNS1_3gpuE7ELNS1_3repE0EEENS1_30default_config_static_selectorELNS0_4arch9wavefront6targetE0EEEvS12_,@function
_ZN7rocprim17ROCPRIM_400000_NS6detail17trampoline_kernelINS0_13select_configILj256ELj13ELNS0_17block_load_methodE3ELS4_3ELS4_3ELNS0_20block_scan_algorithmE0ELj4294967295EEENS1_25partition_config_selectorILNS1_17partition_subalgoE4EjNS0_10empty_typeEbEEZZNS1_14partition_implILS8_4ELb0ES6_15HIP_vector_typeIjLj2EENS0_17counting_iteratorIjlEEPS9_SG_NS0_5tupleIJPjSI_NS0_16reverse_iteratorISI_EEEEENSH_IJSG_SG_SG_EEES9_SI_JZNS1_25segmented_radix_sort_implINS0_14default_configELb1EPKfPfPKlPlN2at6native12_GLOBAL__N_18offset_tEEE10hipError_tPvRmT1_PNSt15iterator_traitsIS12_E10value_typeET2_T3_PNS13_IS18_E10value_typeET4_jRbjT5_S1E_jjP12ihipStream_tbEUljE_ZNSN_ISO_Lb1ESQ_SR_ST_SU_SY_EESZ_S10_S11_S12_S16_S17_S18_S1B_S1C_jS1D_jS1E_S1E_jjS1G_bEUljE0_EEESZ_S10_S11_S18_S1C_S1E_T6_T7_T9_mT8_S1G_bDpT10_ENKUlT_T0_E_clISt17integral_constantIbLb1EES1U_EEDaS1P_S1Q_EUlS1P_E_NS1_11comp_targetILNS1_3genE3ELNS1_11target_archE908ELNS1_3gpuE7ELNS1_3repE0EEENS1_30default_config_static_selectorELNS0_4arch9wavefront6targetE0EEEvS12_: ; @_ZN7rocprim17ROCPRIM_400000_NS6detail17trampoline_kernelINS0_13select_configILj256ELj13ELNS0_17block_load_methodE3ELS4_3ELS4_3ELNS0_20block_scan_algorithmE0ELj4294967295EEENS1_25partition_config_selectorILNS1_17partition_subalgoE4EjNS0_10empty_typeEbEEZZNS1_14partition_implILS8_4ELb0ES6_15HIP_vector_typeIjLj2EENS0_17counting_iteratorIjlEEPS9_SG_NS0_5tupleIJPjSI_NS0_16reverse_iteratorISI_EEEEENSH_IJSG_SG_SG_EEES9_SI_JZNS1_25segmented_radix_sort_implINS0_14default_configELb1EPKfPfPKlPlN2at6native12_GLOBAL__N_18offset_tEEE10hipError_tPvRmT1_PNSt15iterator_traitsIS12_E10value_typeET2_T3_PNS13_IS18_E10value_typeET4_jRbjT5_S1E_jjP12ihipStream_tbEUljE_ZNSN_ISO_Lb1ESQ_SR_ST_SU_SY_EESZ_S10_S11_S12_S16_S17_S18_S1B_S1C_jS1D_jS1E_S1E_jjS1G_bEUljE0_EEESZ_S10_S11_S18_S1C_S1E_T6_T7_T9_mT8_S1G_bDpT10_ENKUlT_T0_E_clISt17integral_constantIbLb1EES1U_EEDaS1P_S1Q_EUlS1P_E_NS1_11comp_targetILNS1_3genE3ELNS1_11target_archE908ELNS1_3gpuE7ELNS1_3repE0EEENS1_30default_config_static_selectorELNS0_4arch9wavefront6targetE0EEEvS12_
; %bb.0:
	.section	.rodata,"a",@progbits
	.p2align	6, 0x0
	.amdhsa_kernel _ZN7rocprim17ROCPRIM_400000_NS6detail17trampoline_kernelINS0_13select_configILj256ELj13ELNS0_17block_load_methodE3ELS4_3ELS4_3ELNS0_20block_scan_algorithmE0ELj4294967295EEENS1_25partition_config_selectorILNS1_17partition_subalgoE4EjNS0_10empty_typeEbEEZZNS1_14partition_implILS8_4ELb0ES6_15HIP_vector_typeIjLj2EENS0_17counting_iteratorIjlEEPS9_SG_NS0_5tupleIJPjSI_NS0_16reverse_iteratorISI_EEEEENSH_IJSG_SG_SG_EEES9_SI_JZNS1_25segmented_radix_sort_implINS0_14default_configELb1EPKfPfPKlPlN2at6native12_GLOBAL__N_18offset_tEEE10hipError_tPvRmT1_PNSt15iterator_traitsIS12_E10value_typeET2_T3_PNS13_IS18_E10value_typeET4_jRbjT5_S1E_jjP12ihipStream_tbEUljE_ZNSN_ISO_Lb1ESQ_SR_ST_SU_SY_EESZ_S10_S11_S12_S16_S17_S18_S1B_S1C_jS1D_jS1E_S1E_jjS1G_bEUljE0_EEESZ_S10_S11_S18_S1C_S1E_T6_T7_T9_mT8_S1G_bDpT10_ENKUlT_T0_E_clISt17integral_constantIbLb1EES1U_EEDaS1P_S1Q_EUlS1P_E_NS1_11comp_targetILNS1_3genE3ELNS1_11target_archE908ELNS1_3gpuE7ELNS1_3repE0EEENS1_30default_config_static_selectorELNS0_4arch9wavefront6targetE0EEEvS12_
		.amdhsa_group_segment_fixed_size 0
		.amdhsa_private_segment_fixed_size 0
		.amdhsa_kernarg_size 184
		.amdhsa_user_sgpr_count 2
		.amdhsa_user_sgpr_dispatch_ptr 0
		.amdhsa_user_sgpr_queue_ptr 0
		.amdhsa_user_sgpr_kernarg_segment_ptr 1
		.amdhsa_user_sgpr_dispatch_id 0
		.amdhsa_user_sgpr_private_segment_size 0
		.amdhsa_wavefront_size32 1
		.amdhsa_uses_dynamic_stack 0
		.amdhsa_enable_private_segment 0
		.amdhsa_system_sgpr_workgroup_id_x 1
		.amdhsa_system_sgpr_workgroup_id_y 0
		.amdhsa_system_sgpr_workgroup_id_z 0
		.amdhsa_system_sgpr_workgroup_info 0
		.amdhsa_system_vgpr_workitem_id 0
		.amdhsa_next_free_vgpr 1
		.amdhsa_next_free_sgpr 1
		.amdhsa_reserve_vcc 0
		.amdhsa_float_round_mode_32 0
		.amdhsa_float_round_mode_16_64 0
		.amdhsa_float_denorm_mode_32 3
		.amdhsa_float_denorm_mode_16_64 3
		.amdhsa_fp16_overflow 0
		.amdhsa_workgroup_processor_mode 1
		.amdhsa_memory_ordered 1
		.amdhsa_forward_progress 1
		.amdhsa_inst_pref_size 0
		.amdhsa_round_robin_scheduling 0
		.amdhsa_exception_fp_ieee_invalid_op 0
		.amdhsa_exception_fp_denorm_src 0
		.amdhsa_exception_fp_ieee_div_zero 0
		.amdhsa_exception_fp_ieee_overflow 0
		.amdhsa_exception_fp_ieee_underflow 0
		.amdhsa_exception_fp_ieee_inexact 0
		.amdhsa_exception_int_div_zero 0
	.end_amdhsa_kernel
	.section	.text._ZN7rocprim17ROCPRIM_400000_NS6detail17trampoline_kernelINS0_13select_configILj256ELj13ELNS0_17block_load_methodE3ELS4_3ELS4_3ELNS0_20block_scan_algorithmE0ELj4294967295EEENS1_25partition_config_selectorILNS1_17partition_subalgoE4EjNS0_10empty_typeEbEEZZNS1_14partition_implILS8_4ELb0ES6_15HIP_vector_typeIjLj2EENS0_17counting_iteratorIjlEEPS9_SG_NS0_5tupleIJPjSI_NS0_16reverse_iteratorISI_EEEEENSH_IJSG_SG_SG_EEES9_SI_JZNS1_25segmented_radix_sort_implINS0_14default_configELb1EPKfPfPKlPlN2at6native12_GLOBAL__N_18offset_tEEE10hipError_tPvRmT1_PNSt15iterator_traitsIS12_E10value_typeET2_T3_PNS13_IS18_E10value_typeET4_jRbjT5_S1E_jjP12ihipStream_tbEUljE_ZNSN_ISO_Lb1ESQ_SR_ST_SU_SY_EESZ_S10_S11_S12_S16_S17_S18_S1B_S1C_jS1D_jS1E_S1E_jjS1G_bEUljE0_EEESZ_S10_S11_S18_S1C_S1E_T6_T7_T9_mT8_S1G_bDpT10_ENKUlT_T0_E_clISt17integral_constantIbLb1EES1U_EEDaS1P_S1Q_EUlS1P_E_NS1_11comp_targetILNS1_3genE3ELNS1_11target_archE908ELNS1_3gpuE7ELNS1_3repE0EEENS1_30default_config_static_selectorELNS0_4arch9wavefront6targetE0EEEvS12_,"axG",@progbits,_ZN7rocprim17ROCPRIM_400000_NS6detail17trampoline_kernelINS0_13select_configILj256ELj13ELNS0_17block_load_methodE3ELS4_3ELS4_3ELNS0_20block_scan_algorithmE0ELj4294967295EEENS1_25partition_config_selectorILNS1_17partition_subalgoE4EjNS0_10empty_typeEbEEZZNS1_14partition_implILS8_4ELb0ES6_15HIP_vector_typeIjLj2EENS0_17counting_iteratorIjlEEPS9_SG_NS0_5tupleIJPjSI_NS0_16reverse_iteratorISI_EEEEENSH_IJSG_SG_SG_EEES9_SI_JZNS1_25segmented_radix_sort_implINS0_14default_configELb1EPKfPfPKlPlN2at6native12_GLOBAL__N_18offset_tEEE10hipError_tPvRmT1_PNSt15iterator_traitsIS12_E10value_typeET2_T3_PNS13_IS18_E10value_typeET4_jRbjT5_S1E_jjP12ihipStream_tbEUljE_ZNSN_ISO_Lb1ESQ_SR_ST_SU_SY_EESZ_S10_S11_S12_S16_S17_S18_S1B_S1C_jS1D_jS1E_S1E_jjS1G_bEUljE0_EEESZ_S10_S11_S18_S1C_S1E_T6_T7_T9_mT8_S1G_bDpT10_ENKUlT_T0_E_clISt17integral_constantIbLb1EES1U_EEDaS1P_S1Q_EUlS1P_E_NS1_11comp_targetILNS1_3genE3ELNS1_11target_archE908ELNS1_3gpuE7ELNS1_3repE0EEENS1_30default_config_static_selectorELNS0_4arch9wavefront6targetE0EEEvS12_,comdat
.Lfunc_end1272:
	.size	_ZN7rocprim17ROCPRIM_400000_NS6detail17trampoline_kernelINS0_13select_configILj256ELj13ELNS0_17block_load_methodE3ELS4_3ELS4_3ELNS0_20block_scan_algorithmE0ELj4294967295EEENS1_25partition_config_selectorILNS1_17partition_subalgoE4EjNS0_10empty_typeEbEEZZNS1_14partition_implILS8_4ELb0ES6_15HIP_vector_typeIjLj2EENS0_17counting_iteratorIjlEEPS9_SG_NS0_5tupleIJPjSI_NS0_16reverse_iteratorISI_EEEEENSH_IJSG_SG_SG_EEES9_SI_JZNS1_25segmented_radix_sort_implINS0_14default_configELb1EPKfPfPKlPlN2at6native12_GLOBAL__N_18offset_tEEE10hipError_tPvRmT1_PNSt15iterator_traitsIS12_E10value_typeET2_T3_PNS13_IS18_E10value_typeET4_jRbjT5_S1E_jjP12ihipStream_tbEUljE_ZNSN_ISO_Lb1ESQ_SR_ST_SU_SY_EESZ_S10_S11_S12_S16_S17_S18_S1B_S1C_jS1D_jS1E_S1E_jjS1G_bEUljE0_EEESZ_S10_S11_S18_S1C_S1E_T6_T7_T9_mT8_S1G_bDpT10_ENKUlT_T0_E_clISt17integral_constantIbLb1EES1U_EEDaS1P_S1Q_EUlS1P_E_NS1_11comp_targetILNS1_3genE3ELNS1_11target_archE908ELNS1_3gpuE7ELNS1_3repE0EEENS1_30default_config_static_selectorELNS0_4arch9wavefront6targetE0EEEvS12_, .Lfunc_end1272-_ZN7rocprim17ROCPRIM_400000_NS6detail17trampoline_kernelINS0_13select_configILj256ELj13ELNS0_17block_load_methodE3ELS4_3ELS4_3ELNS0_20block_scan_algorithmE0ELj4294967295EEENS1_25partition_config_selectorILNS1_17partition_subalgoE4EjNS0_10empty_typeEbEEZZNS1_14partition_implILS8_4ELb0ES6_15HIP_vector_typeIjLj2EENS0_17counting_iteratorIjlEEPS9_SG_NS0_5tupleIJPjSI_NS0_16reverse_iteratorISI_EEEEENSH_IJSG_SG_SG_EEES9_SI_JZNS1_25segmented_radix_sort_implINS0_14default_configELb1EPKfPfPKlPlN2at6native12_GLOBAL__N_18offset_tEEE10hipError_tPvRmT1_PNSt15iterator_traitsIS12_E10value_typeET2_T3_PNS13_IS18_E10value_typeET4_jRbjT5_S1E_jjP12ihipStream_tbEUljE_ZNSN_ISO_Lb1ESQ_SR_ST_SU_SY_EESZ_S10_S11_S12_S16_S17_S18_S1B_S1C_jS1D_jS1E_S1E_jjS1G_bEUljE0_EEESZ_S10_S11_S18_S1C_S1E_T6_T7_T9_mT8_S1G_bDpT10_ENKUlT_T0_E_clISt17integral_constantIbLb1EES1U_EEDaS1P_S1Q_EUlS1P_E_NS1_11comp_targetILNS1_3genE3ELNS1_11target_archE908ELNS1_3gpuE7ELNS1_3repE0EEENS1_30default_config_static_selectorELNS0_4arch9wavefront6targetE0EEEvS12_
                                        ; -- End function
	.set _ZN7rocprim17ROCPRIM_400000_NS6detail17trampoline_kernelINS0_13select_configILj256ELj13ELNS0_17block_load_methodE3ELS4_3ELS4_3ELNS0_20block_scan_algorithmE0ELj4294967295EEENS1_25partition_config_selectorILNS1_17partition_subalgoE4EjNS0_10empty_typeEbEEZZNS1_14partition_implILS8_4ELb0ES6_15HIP_vector_typeIjLj2EENS0_17counting_iteratorIjlEEPS9_SG_NS0_5tupleIJPjSI_NS0_16reverse_iteratorISI_EEEEENSH_IJSG_SG_SG_EEES9_SI_JZNS1_25segmented_radix_sort_implINS0_14default_configELb1EPKfPfPKlPlN2at6native12_GLOBAL__N_18offset_tEEE10hipError_tPvRmT1_PNSt15iterator_traitsIS12_E10value_typeET2_T3_PNS13_IS18_E10value_typeET4_jRbjT5_S1E_jjP12ihipStream_tbEUljE_ZNSN_ISO_Lb1ESQ_SR_ST_SU_SY_EESZ_S10_S11_S12_S16_S17_S18_S1B_S1C_jS1D_jS1E_S1E_jjS1G_bEUljE0_EEESZ_S10_S11_S18_S1C_S1E_T6_T7_T9_mT8_S1G_bDpT10_ENKUlT_T0_E_clISt17integral_constantIbLb1EES1U_EEDaS1P_S1Q_EUlS1P_E_NS1_11comp_targetILNS1_3genE3ELNS1_11target_archE908ELNS1_3gpuE7ELNS1_3repE0EEENS1_30default_config_static_selectorELNS0_4arch9wavefront6targetE0EEEvS12_.num_vgpr, 0
	.set _ZN7rocprim17ROCPRIM_400000_NS6detail17trampoline_kernelINS0_13select_configILj256ELj13ELNS0_17block_load_methodE3ELS4_3ELS4_3ELNS0_20block_scan_algorithmE0ELj4294967295EEENS1_25partition_config_selectorILNS1_17partition_subalgoE4EjNS0_10empty_typeEbEEZZNS1_14partition_implILS8_4ELb0ES6_15HIP_vector_typeIjLj2EENS0_17counting_iteratorIjlEEPS9_SG_NS0_5tupleIJPjSI_NS0_16reverse_iteratorISI_EEEEENSH_IJSG_SG_SG_EEES9_SI_JZNS1_25segmented_radix_sort_implINS0_14default_configELb1EPKfPfPKlPlN2at6native12_GLOBAL__N_18offset_tEEE10hipError_tPvRmT1_PNSt15iterator_traitsIS12_E10value_typeET2_T3_PNS13_IS18_E10value_typeET4_jRbjT5_S1E_jjP12ihipStream_tbEUljE_ZNSN_ISO_Lb1ESQ_SR_ST_SU_SY_EESZ_S10_S11_S12_S16_S17_S18_S1B_S1C_jS1D_jS1E_S1E_jjS1G_bEUljE0_EEESZ_S10_S11_S18_S1C_S1E_T6_T7_T9_mT8_S1G_bDpT10_ENKUlT_T0_E_clISt17integral_constantIbLb1EES1U_EEDaS1P_S1Q_EUlS1P_E_NS1_11comp_targetILNS1_3genE3ELNS1_11target_archE908ELNS1_3gpuE7ELNS1_3repE0EEENS1_30default_config_static_selectorELNS0_4arch9wavefront6targetE0EEEvS12_.num_agpr, 0
	.set _ZN7rocprim17ROCPRIM_400000_NS6detail17trampoline_kernelINS0_13select_configILj256ELj13ELNS0_17block_load_methodE3ELS4_3ELS4_3ELNS0_20block_scan_algorithmE0ELj4294967295EEENS1_25partition_config_selectorILNS1_17partition_subalgoE4EjNS0_10empty_typeEbEEZZNS1_14partition_implILS8_4ELb0ES6_15HIP_vector_typeIjLj2EENS0_17counting_iteratorIjlEEPS9_SG_NS0_5tupleIJPjSI_NS0_16reverse_iteratorISI_EEEEENSH_IJSG_SG_SG_EEES9_SI_JZNS1_25segmented_radix_sort_implINS0_14default_configELb1EPKfPfPKlPlN2at6native12_GLOBAL__N_18offset_tEEE10hipError_tPvRmT1_PNSt15iterator_traitsIS12_E10value_typeET2_T3_PNS13_IS18_E10value_typeET4_jRbjT5_S1E_jjP12ihipStream_tbEUljE_ZNSN_ISO_Lb1ESQ_SR_ST_SU_SY_EESZ_S10_S11_S12_S16_S17_S18_S1B_S1C_jS1D_jS1E_S1E_jjS1G_bEUljE0_EEESZ_S10_S11_S18_S1C_S1E_T6_T7_T9_mT8_S1G_bDpT10_ENKUlT_T0_E_clISt17integral_constantIbLb1EES1U_EEDaS1P_S1Q_EUlS1P_E_NS1_11comp_targetILNS1_3genE3ELNS1_11target_archE908ELNS1_3gpuE7ELNS1_3repE0EEENS1_30default_config_static_selectorELNS0_4arch9wavefront6targetE0EEEvS12_.numbered_sgpr, 0
	.set _ZN7rocprim17ROCPRIM_400000_NS6detail17trampoline_kernelINS0_13select_configILj256ELj13ELNS0_17block_load_methodE3ELS4_3ELS4_3ELNS0_20block_scan_algorithmE0ELj4294967295EEENS1_25partition_config_selectorILNS1_17partition_subalgoE4EjNS0_10empty_typeEbEEZZNS1_14partition_implILS8_4ELb0ES6_15HIP_vector_typeIjLj2EENS0_17counting_iteratorIjlEEPS9_SG_NS0_5tupleIJPjSI_NS0_16reverse_iteratorISI_EEEEENSH_IJSG_SG_SG_EEES9_SI_JZNS1_25segmented_radix_sort_implINS0_14default_configELb1EPKfPfPKlPlN2at6native12_GLOBAL__N_18offset_tEEE10hipError_tPvRmT1_PNSt15iterator_traitsIS12_E10value_typeET2_T3_PNS13_IS18_E10value_typeET4_jRbjT5_S1E_jjP12ihipStream_tbEUljE_ZNSN_ISO_Lb1ESQ_SR_ST_SU_SY_EESZ_S10_S11_S12_S16_S17_S18_S1B_S1C_jS1D_jS1E_S1E_jjS1G_bEUljE0_EEESZ_S10_S11_S18_S1C_S1E_T6_T7_T9_mT8_S1G_bDpT10_ENKUlT_T0_E_clISt17integral_constantIbLb1EES1U_EEDaS1P_S1Q_EUlS1P_E_NS1_11comp_targetILNS1_3genE3ELNS1_11target_archE908ELNS1_3gpuE7ELNS1_3repE0EEENS1_30default_config_static_selectorELNS0_4arch9wavefront6targetE0EEEvS12_.num_named_barrier, 0
	.set _ZN7rocprim17ROCPRIM_400000_NS6detail17trampoline_kernelINS0_13select_configILj256ELj13ELNS0_17block_load_methodE3ELS4_3ELS4_3ELNS0_20block_scan_algorithmE0ELj4294967295EEENS1_25partition_config_selectorILNS1_17partition_subalgoE4EjNS0_10empty_typeEbEEZZNS1_14partition_implILS8_4ELb0ES6_15HIP_vector_typeIjLj2EENS0_17counting_iteratorIjlEEPS9_SG_NS0_5tupleIJPjSI_NS0_16reverse_iteratorISI_EEEEENSH_IJSG_SG_SG_EEES9_SI_JZNS1_25segmented_radix_sort_implINS0_14default_configELb1EPKfPfPKlPlN2at6native12_GLOBAL__N_18offset_tEEE10hipError_tPvRmT1_PNSt15iterator_traitsIS12_E10value_typeET2_T3_PNS13_IS18_E10value_typeET4_jRbjT5_S1E_jjP12ihipStream_tbEUljE_ZNSN_ISO_Lb1ESQ_SR_ST_SU_SY_EESZ_S10_S11_S12_S16_S17_S18_S1B_S1C_jS1D_jS1E_S1E_jjS1G_bEUljE0_EEESZ_S10_S11_S18_S1C_S1E_T6_T7_T9_mT8_S1G_bDpT10_ENKUlT_T0_E_clISt17integral_constantIbLb1EES1U_EEDaS1P_S1Q_EUlS1P_E_NS1_11comp_targetILNS1_3genE3ELNS1_11target_archE908ELNS1_3gpuE7ELNS1_3repE0EEENS1_30default_config_static_selectorELNS0_4arch9wavefront6targetE0EEEvS12_.private_seg_size, 0
	.set _ZN7rocprim17ROCPRIM_400000_NS6detail17trampoline_kernelINS0_13select_configILj256ELj13ELNS0_17block_load_methodE3ELS4_3ELS4_3ELNS0_20block_scan_algorithmE0ELj4294967295EEENS1_25partition_config_selectorILNS1_17partition_subalgoE4EjNS0_10empty_typeEbEEZZNS1_14partition_implILS8_4ELb0ES6_15HIP_vector_typeIjLj2EENS0_17counting_iteratorIjlEEPS9_SG_NS0_5tupleIJPjSI_NS0_16reverse_iteratorISI_EEEEENSH_IJSG_SG_SG_EEES9_SI_JZNS1_25segmented_radix_sort_implINS0_14default_configELb1EPKfPfPKlPlN2at6native12_GLOBAL__N_18offset_tEEE10hipError_tPvRmT1_PNSt15iterator_traitsIS12_E10value_typeET2_T3_PNS13_IS18_E10value_typeET4_jRbjT5_S1E_jjP12ihipStream_tbEUljE_ZNSN_ISO_Lb1ESQ_SR_ST_SU_SY_EESZ_S10_S11_S12_S16_S17_S18_S1B_S1C_jS1D_jS1E_S1E_jjS1G_bEUljE0_EEESZ_S10_S11_S18_S1C_S1E_T6_T7_T9_mT8_S1G_bDpT10_ENKUlT_T0_E_clISt17integral_constantIbLb1EES1U_EEDaS1P_S1Q_EUlS1P_E_NS1_11comp_targetILNS1_3genE3ELNS1_11target_archE908ELNS1_3gpuE7ELNS1_3repE0EEENS1_30default_config_static_selectorELNS0_4arch9wavefront6targetE0EEEvS12_.uses_vcc, 0
	.set _ZN7rocprim17ROCPRIM_400000_NS6detail17trampoline_kernelINS0_13select_configILj256ELj13ELNS0_17block_load_methodE3ELS4_3ELS4_3ELNS0_20block_scan_algorithmE0ELj4294967295EEENS1_25partition_config_selectorILNS1_17partition_subalgoE4EjNS0_10empty_typeEbEEZZNS1_14partition_implILS8_4ELb0ES6_15HIP_vector_typeIjLj2EENS0_17counting_iteratorIjlEEPS9_SG_NS0_5tupleIJPjSI_NS0_16reverse_iteratorISI_EEEEENSH_IJSG_SG_SG_EEES9_SI_JZNS1_25segmented_radix_sort_implINS0_14default_configELb1EPKfPfPKlPlN2at6native12_GLOBAL__N_18offset_tEEE10hipError_tPvRmT1_PNSt15iterator_traitsIS12_E10value_typeET2_T3_PNS13_IS18_E10value_typeET4_jRbjT5_S1E_jjP12ihipStream_tbEUljE_ZNSN_ISO_Lb1ESQ_SR_ST_SU_SY_EESZ_S10_S11_S12_S16_S17_S18_S1B_S1C_jS1D_jS1E_S1E_jjS1G_bEUljE0_EEESZ_S10_S11_S18_S1C_S1E_T6_T7_T9_mT8_S1G_bDpT10_ENKUlT_T0_E_clISt17integral_constantIbLb1EES1U_EEDaS1P_S1Q_EUlS1P_E_NS1_11comp_targetILNS1_3genE3ELNS1_11target_archE908ELNS1_3gpuE7ELNS1_3repE0EEENS1_30default_config_static_selectorELNS0_4arch9wavefront6targetE0EEEvS12_.uses_flat_scratch, 0
	.set _ZN7rocprim17ROCPRIM_400000_NS6detail17trampoline_kernelINS0_13select_configILj256ELj13ELNS0_17block_load_methodE3ELS4_3ELS4_3ELNS0_20block_scan_algorithmE0ELj4294967295EEENS1_25partition_config_selectorILNS1_17partition_subalgoE4EjNS0_10empty_typeEbEEZZNS1_14partition_implILS8_4ELb0ES6_15HIP_vector_typeIjLj2EENS0_17counting_iteratorIjlEEPS9_SG_NS0_5tupleIJPjSI_NS0_16reverse_iteratorISI_EEEEENSH_IJSG_SG_SG_EEES9_SI_JZNS1_25segmented_radix_sort_implINS0_14default_configELb1EPKfPfPKlPlN2at6native12_GLOBAL__N_18offset_tEEE10hipError_tPvRmT1_PNSt15iterator_traitsIS12_E10value_typeET2_T3_PNS13_IS18_E10value_typeET4_jRbjT5_S1E_jjP12ihipStream_tbEUljE_ZNSN_ISO_Lb1ESQ_SR_ST_SU_SY_EESZ_S10_S11_S12_S16_S17_S18_S1B_S1C_jS1D_jS1E_S1E_jjS1G_bEUljE0_EEESZ_S10_S11_S18_S1C_S1E_T6_T7_T9_mT8_S1G_bDpT10_ENKUlT_T0_E_clISt17integral_constantIbLb1EES1U_EEDaS1P_S1Q_EUlS1P_E_NS1_11comp_targetILNS1_3genE3ELNS1_11target_archE908ELNS1_3gpuE7ELNS1_3repE0EEENS1_30default_config_static_selectorELNS0_4arch9wavefront6targetE0EEEvS12_.has_dyn_sized_stack, 0
	.set _ZN7rocprim17ROCPRIM_400000_NS6detail17trampoline_kernelINS0_13select_configILj256ELj13ELNS0_17block_load_methodE3ELS4_3ELS4_3ELNS0_20block_scan_algorithmE0ELj4294967295EEENS1_25partition_config_selectorILNS1_17partition_subalgoE4EjNS0_10empty_typeEbEEZZNS1_14partition_implILS8_4ELb0ES6_15HIP_vector_typeIjLj2EENS0_17counting_iteratorIjlEEPS9_SG_NS0_5tupleIJPjSI_NS0_16reverse_iteratorISI_EEEEENSH_IJSG_SG_SG_EEES9_SI_JZNS1_25segmented_radix_sort_implINS0_14default_configELb1EPKfPfPKlPlN2at6native12_GLOBAL__N_18offset_tEEE10hipError_tPvRmT1_PNSt15iterator_traitsIS12_E10value_typeET2_T3_PNS13_IS18_E10value_typeET4_jRbjT5_S1E_jjP12ihipStream_tbEUljE_ZNSN_ISO_Lb1ESQ_SR_ST_SU_SY_EESZ_S10_S11_S12_S16_S17_S18_S1B_S1C_jS1D_jS1E_S1E_jjS1G_bEUljE0_EEESZ_S10_S11_S18_S1C_S1E_T6_T7_T9_mT8_S1G_bDpT10_ENKUlT_T0_E_clISt17integral_constantIbLb1EES1U_EEDaS1P_S1Q_EUlS1P_E_NS1_11comp_targetILNS1_3genE3ELNS1_11target_archE908ELNS1_3gpuE7ELNS1_3repE0EEENS1_30default_config_static_selectorELNS0_4arch9wavefront6targetE0EEEvS12_.has_recursion, 0
	.set _ZN7rocprim17ROCPRIM_400000_NS6detail17trampoline_kernelINS0_13select_configILj256ELj13ELNS0_17block_load_methodE3ELS4_3ELS4_3ELNS0_20block_scan_algorithmE0ELj4294967295EEENS1_25partition_config_selectorILNS1_17partition_subalgoE4EjNS0_10empty_typeEbEEZZNS1_14partition_implILS8_4ELb0ES6_15HIP_vector_typeIjLj2EENS0_17counting_iteratorIjlEEPS9_SG_NS0_5tupleIJPjSI_NS0_16reverse_iteratorISI_EEEEENSH_IJSG_SG_SG_EEES9_SI_JZNS1_25segmented_radix_sort_implINS0_14default_configELb1EPKfPfPKlPlN2at6native12_GLOBAL__N_18offset_tEEE10hipError_tPvRmT1_PNSt15iterator_traitsIS12_E10value_typeET2_T3_PNS13_IS18_E10value_typeET4_jRbjT5_S1E_jjP12ihipStream_tbEUljE_ZNSN_ISO_Lb1ESQ_SR_ST_SU_SY_EESZ_S10_S11_S12_S16_S17_S18_S1B_S1C_jS1D_jS1E_S1E_jjS1G_bEUljE0_EEESZ_S10_S11_S18_S1C_S1E_T6_T7_T9_mT8_S1G_bDpT10_ENKUlT_T0_E_clISt17integral_constantIbLb1EES1U_EEDaS1P_S1Q_EUlS1P_E_NS1_11comp_targetILNS1_3genE3ELNS1_11target_archE908ELNS1_3gpuE7ELNS1_3repE0EEENS1_30default_config_static_selectorELNS0_4arch9wavefront6targetE0EEEvS12_.has_indirect_call, 0
	.section	.AMDGPU.csdata,"",@progbits
; Kernel info:
; codeLenInByte = 0
; TotalNumSgprs: 0
; NumVgprs: 0
; ScratchSize: 0
; MemoryBound: 0
; FloatMode: 240
; IeeeMode: 1
; LDSByteSize: 0 bytes/workgroup (compile time only)
; SGPRBlocks: 0
; VGPRBlocks: 0
; NumSGPRsForWavesPerEU: 1
; NumVGPRsForWavesPerEU: 1
; Occupancy: 16
; WaveLimiterHint : 0
; COMPUTE_PGM_RSRC2:SCRATCH_EN: 0
; COMPUTE_PGM_RSRC2:USER_SGPR: 2
; COMPUTE_PGM_RSRC2:TRAP_HANDLER: 0
; COMPUTE_PGM_RSRC2:TGID_X_EN: 1
; COMPUTE_PGM_RSRC2:TGID_Y_EN: 0
; COMPUTE_PGM_RSRC2:TGID_Z_EN: 0
; COMPUTE_PGM_RSRC2:TIDIG_COMP_CNT: 0
	.section	.text._ZN7rocprim17ROCPRIM_400000_NS6detail17trampoline_kernelINS0_13select_configILj256ELj13ELNS0_17block_load_methodE3ELS4_3ELS4_3ELNS0_20block_scan_algorithmE0ELj4294967295EEENS1_25partition_config_selectorILNS1_17partition_subalgoE4EjNS0_10empty_typeEbEEZZNS1_14partition_implILS8_4ELb0ES6_15HIP_vector_typeIjLj2EENS0_17counting_iteratorIjlEEPS9_SG_NS0_5tupleIJPjSI_NS0_16reverse_iteratorISI_EEEEENSH_IJSG_SG_SG_EEES9_SI_JZNS1_25segmented_radix_sort_implINS0_14default_configELb1EPKfPfPKlPlN2at6native12_GLOBAL__N_18offset_tEEE10hipError_tPvRmT1_PNSt15iterator_traitsIS12_E10value_typeET2_T3_PNS13_IS18_E10value_typeET4_jRbjT5_S1E_jjP12ihipStream_tbEUljE_ZNSN_ISO_Lb1ESQ_SR_ST_SU_SY_EESZ_S10_S11_S12_S16_S17_S18_S1B_S1C_jS1D_jS1E_S1E_jjS1G_bEUljE0_EEESZ_S10_S11_S18_S1C_S1E_T6_T7_T9_mT8_S1G_bDpT10_ENKUlT_T0_E_clISt17integral_constantIbLb1EES1U_EEDaS1P_S1Q_EUlS1P_E_NS1_11comp_targetILNS1_3genE2ELNS1_11target_archE906ELNS1_3gpuE6ELNS1_3repE0EEENS1_30default_config_static_selectorELNS0_4arch9wavefront6targetE0EEEvS12_,"axG",@progbits,_ZN7rocprim17ROCPRIM_400000_NS6detail17trampoline_kernelINS0_13select_configILj256ELj13ELNS0_17block_load_methodE3ELS4_3ELS4_3ELNS0_20block_scan_algorithmE0ELj4294967295EEENS1_25partition_config_selectorILNS1_17partition_subalgoE4EjNS0_10empty_typeEbEEZZNS1_14partition_implILS8_4ELb0ES6_15HIP_vector_typeIjLj2EENS0_17counting_iteratorIjlEEPS9_SG_NS0_5tupleIJPjSI_NS0_16reverse_iteratorISI_EEEEENSH_IJSG_SG_SG_EEES9_SI_JZNS1_25segmented_radix_sort_implINS0_14default_configELb1EPKfPfPKlPlN2at6native12_GLOBAL__N_18offset_tEEE10hipError_tPvRmT1_PNSt15iterator_traitsIS12_E10value_typeET2_T3_PNS13_IS18_E10value_typeET4_jRbjT5_S1E_jjP12ihipStream_tbEUljE_ZNSN_ISO_Lb1ESQ_SR_ST_SU_SY_EESZ_S10_S11_S12_S16_S17_S18_S1B_S1C_jS1D_jS1E_S1E_jjS1G_bEUljE0_EEESZ_S10_S11_S18_S1C_S1E_T6_T7_T9_mT8_S1G_bDpT10_ENKUlT_T0_E_clISt17integral_constantIbLb1EES1U_EEDaS1P_S1Q_EUlS1P_E_NS1_11comp_targetILNS1_3genE2ELNS1_11target_archE906ELNS1_3gpuE6ELNS1_3repE0EEENS1_30default_config_static_selectorELNS0_4arch9wavefront6targetE0EEEvS12_,comdat
	.globl	_ZN7rocprim17ROCPRIM_400000_NS6detail17trampoline_kernelINS0_13select_configILj256ELj13ELNS0_17block_load_methodE3ELS4_3ELS4_3ELNS0_20block_scan_algorithmE0ELj4294967295EEENS1_25partition_config_selectorILNS1_17partition_subalgoE4EjNS0_10empty_typeEbEEZZNS1_14partition_implILS8_4ELb0ES6_15HIP_vector_typeIjLj2EENS0_17counting_iteratorIjlEEPS9_SG_NS0_5tupleIJPjSI_NS0_16reverse_iteratorISI_EEEEENSH_IJSG_SG_SG_EEES9_SI_JZNS1_25segmented_radix_sort_implINS0_14default_configELb1EPKfPfPKlPlN2at6native12_GLOBAL__N_18offset_tEEE10hipError_tPvRmT1_PNSt15iterator_traitsIS12_E10value_typeET2_T3_PNS13_IS18_E10value_typeET4_jRbjT5_S1E_jjP12ihipStream_tbEUljE_ZNSN_ISO_Lb1ESQ_SR_ST_SU_SY_EESZ_S10_S11_S12_S16_S17_S18_S1B_S1C_jS1D_jS1E_S1E_jjS1G_bEUljE0_EEESZ_S10_S11_S18_S1C_S1E_T6_T7_T9_mT8_S1G_bDpT10_ENKUlT_T0_E_clISt17integral_constantIbLb1EES1U_EEDaS1P_S1Q_EUlS1P_E_NS1_11comp_targetILNS1_3genE2ELNS1_11target_archE906ELNS1_3gpuE6ELNS1_3repE0EEENS1_30default_config_static_selectorELNS0_4arch9wavefront6targetE0EEEvS12_ ; -- Begin function _ZN7rocprim17ROCPRIM_400000_NS6detail17trampoline_kernelINS0_13select_configILj256ELj13ELNS0_17block_load_methodE3ELS4_3ELS4_3ELNS0_20block_scan_algorithmE0ELj4294967295EEENS1_25partition_config_selectorILNS1_17partition_subalgoE4EjNS0_10empty_typeEbEEZZNS1_14partition_implILS8_4ELb0ES6_15HIP_vector_typeIjLj2EENS0_17counting_iteratorIjlEEPS9_SG_NS0_5tupleIJPjSI_NS0_16reverse_iteratorISI_EEEEENSH_IJSG_SG_SG_EEES9_SI_JZNS1_25segmented_radix_sort_implINS0_14default_configELb1EPKfPfPKlPlN2at6native12_GLOBAL__N_18offset_tEEE10hipError_tPvRmT1_PNSt15iterator_traitsIS12_E10value_typeET2_T3_PNS13_IS18_E10value_typeET4_jRbjT5_S1E_jjP12ihipStream_tbEUljE_ZNSN_ISO_Lb1ESQ_SR_ST_SU_SY_EESZ_S10_S11_S12_S16_S17_S18_S1B_S1C_jS1D_jS1E_S1E_jjS1G_bEUljE0_EEESZ_S10_S11_S18_S1C_S1E_T6_T7_T9_mT8_S1G_bDpT10_ENKUlT_T0_E_clISt17integral_constantIbLb1EES1U_EEDaS1P_S1Q_EUlS1P_E_NS1_11comp_targetILNS1_3genE2ELNS1_11target_archE906ELNS1_3gpuE6ELNS1_3repE0EEENS1_30default_config_static_selectorELNS0_4arch9wavefront6targetE0EEEvS12_
	.p2align	8
	.type	_ZN7rocprim17ROCPRIM_400000_NS6detail17trampoline_kernelINS0_13select_configILj256ELj13ELNS0_17block_load_methodE3ELS4_3ELS4_3ELNS0_20block_scan_algorithmE0ELj4294967295EEENS1_25partition_config_selectorILNS1_17partition_subalgoE4EjNS0_10empty_typeEbEEZZNS1_14partition_implILS8_4ELb0ES6_15HIP_vector_typeIjLj2EENS0_17counting_iteratorIjlEEPS9_SG_NS0_5tupleIJPjSI_NS0_16reverse_iteratorISI_EEEEENSH_IJSG_SG_SG_EEES9_SI_JZNS1_25segmented_radix_sort_implINS0_14default_configELb1EPKfPfPKlPlN2at6native12_GLOBAL__N_18offset_tEEE10hipError_tPvRmT1_PNSt15iterator_traitsIS12_E10value_typeET2_T3_PNS13_IS18_E10value_typeET4_jRbjT5_S1E_jjP12ihipStream_tbEUljE_ZNSN_ISO_Lb1ESQ_SR_ST_SU_SY_EESZ_S10_S11_S12_S16_S17_S18_S1B_S1C_jS1D_jS1E_S1E_jjS1G_bEUljE0_EEESZ_S10_S11_S18_S1C_S1E_T6_T7_T9_mT8_S1G_bDpT10_ENKUlT_T0_E_clISt17integral_constantIbLb1EES1U_EEDaS1P_S1Q_EUlS1P_E_NS1_11comp_targetILNS1_3genE2ELNS1_11target_archE906ELNS1_3gpuE6ELNS1_3repE0EEENS1_30default_config_static_selectorELNS0_4arch9wavefront6targetE0EEEvS12_,@function
_ZN7rocprim17ROCPRIM_400000_NS6detail17trampoline_kernelINS0_13select_configILj256ELj13ELNS0_17block_load_methodE3ELS4_3ELS4_3ELNS0_20block_scan_algorithmE0ELj4294967295EEENS1_25partition_config_selectorILNS1_17partition_subalgoE4EjNS0_10empty_typeEbEEZZNS1_14partition_implILS8_4ELb0ES6_15HIP_vector_typeIjLj2EENS0_17counting_iteratorIjlEEPS9_SG_NS0_5tupleIJPjSI_NS0_16reverse_iteratorISI_EEEEENSH_IJSG_SG_SG_EEES9_SI_JZNS1_25segmented_radix_sort_implINS0_14default_configELb1EPKfPfPKlPlN2at6native12_GLOBAL__N_18offset_tEEE10hipError_tPvRmT1_PNSt15iterator_traitsIS12_E10value_typeET2_T3_PNS13_IS18_E10value_typeET4_jRbjT5_S1E_jjP12ihipStream_tbEUljE_ZNSN_ISO_Lb1ESQ_SR_ST_SU_SY_EESZ_S10_S11_S12_S16_S17_S18_S1B_S1C_jS1D_jS1E_S1E_jjS1G_bEUljE0_EEESZ_S10_S11_S18_S1C_S1E_T6_T7_T9_mT8_S1G_bDpT10_ENKUlT_T0_E_clISt17integral_constantIbLb1EES1U_EEDaS1P_S1Q_EUlS1P_E_NS1_11comp_targetILNS1_3genE2ELNS1_11target_archE906ELNS1_3gpuE6ELNS1_3repE0EEENS1_30default_config_static_selectorELNS0_4arch9wavefront6targetE0EEEvS12_: ; @_ZN7rocprim17ROCPRIM_400000_NS6detail17trampoline_kernelINS0_13select_configILj256ELj13ELNS0_17block_load_methodE3ELS4_3ELS4_3ELNS0_20block_scan_algorithmE0ELj4294967295EEENS1_25partition_config_selectorILNS1_17partition_subalgoE4EjNS0_10empty_typeEbEEZZNS1_14partition_implILS8_4ELb0ES6_15HIP_vector_typeIjLj2EENS0_17counting_iteratorIjlEEPS9_SG_NS0_5tupleIJPjSI_NS0_16reverse_iteratorISI_EEEEENSH_IJSG_SG_SG_EEES9_SI_JZNS1_25segmented_radix_sort_implINS0_14default_configELb1EPKfPfPKlPlN2at6native12_GLOBAL__N_18offset_tEEE10hipError_tPvRmT1_PNSt15iterator_traitsIS12_E10value_typeET2_T3_PNS13_IS18_E10value_typeET4_jRbjT5_S1E_jjP12ihipStream_tbEUljE_ZNSN_ISO_Lb1ESQ_SR_ST_SU_SY_EESZ_S10_S11_S12_S16_S17_S18_S1B_S1C_jS1D_jS1E_S1E_jjS1G_bEUljE0_EEESZ_S10_S11_S18_S1C_S1E_T6_T7_T9_mT8_S1G_bDpT10_ENKUlT_T0_E_clISt17integral_constantIbLb1EES1U_EEDaS1P_S1Q_EUlS1P_E_NS1_11comp_targetILNS1_3genE2ELNS1_11target_archE906ELNS1_3gpuE6ELNS1_3repE0EEENS1_30default_config_static_selectorELNS0_4arch9wavefront6targetE0EEEvS12_
; %bb.0:
	.section	.rodata,"a",@progbits
	.p2align	6, 0x0
	.amdhsa_kernel _ZN7rocprim17ROCPRIM_400000_NS6detail17trampoline_kernelINS0_13select_configILj256ELj13ELNS0_17block_load_methodE3ELS4_3ELS4_3ELNS0_20block_scan_algorithmE0ELj4294967295EEENS1_25partition_config_selectorILNS1_17partition_subalgoE4EjNS0_10empty_typeEbEEZZNS1_14partition_implILS8_4ELb0ES6_15HIP_vector_typeIjLj2EENS0_17counting_iteratorIjlEEPS9_SG_NS0_5tupleIJPjSI_NS0_16reverse_iteratorISI_EEEEENSH_IJSG_SG_SG_EEES9_SI_JZNS1_25segmented_radix_sort_implINS0_14default_configELb1EPKfPfPKlPlN2at6native12_GLOBAL__N_18offset_tEEE10hipError_tPvRmT1_PNSt15iterator_traitsIS12_E10value_typeET2_T3_PNS13_IS18_E10value_typeET4_jRbjT5_S1E_jjP12ihipStream_tbEUljE_ZNSN_ISO_Lb1ESQ_SR_ST_SU_SY_EESZ_S10_S11_S12_S16_S17_S18_S1B_S1C_jS1D_jS1E_S1E_jjS1G_bEUljE0_EEESZ_S10_S11_S18_S1C_S1E_T6_T7_T9_mT8_S1G_bDpT10_ENKUlT_T0_E_clISt17integral_constantIbLb1EES1U_EEDaS1P_S1Q_EUlS1P_E_NS1_11comp_targetILNS1_3genE2ELNS1_11target_archE906ELNS1_3gpuE6ELNS1_3repE0EEENS1_30default_config_static_selectorELNS0_4arch9wavefront6targetE0EEEvS12_
		.amdhsa_group_segment_fixed_size 0
		.amdhsa_private_segment_fixed_size 0
		.amdhsa_kernarg_size 184
		.amdhsa_user_sgpr_count 2
		.amdhsa_user_sgpr_dispatch_ptr 0
		.amdhsa_user_sgpr_queue_ptr 0
		.amdhsa_user_sgpr_kernarg_segment_ptr 1
		.amdhsa_user_sgpr_dispatch_id 0
		.amdhsa_user_sgpr_private_segment_size 0
		.amdhsa_wavefront_size32 1
		.amdhsa_uses_dynamic_stack 0
		.amdhsa_enable_private_segment 0
		.amdhsa_system_sgpr_workgroup_id_x 1
		.amdhsa_system_sgpr_workgroup_id_y 0
		.amdhsa_system_sgpr_workgroup_id_z 0
		.amdhsa_system_sgpr_workgroup_info 0
		.amdhsa_system_vgpr_workitem_id 0
		.amdhsa_next_free_vgpr 1
		.amdhsa_next_free_sgpr 1
		.amdhsa_reserve_vcc 0
		.amdhsa_float_round_mode_32 0
		.amdhsa_float_round_mode_16_64 0
		.amdhsa_float_denorm_mode_32 3
		.amdhsa_float_denorm_mode_16_64 3
		.amdhsa_fp16_overflow 0
		.amdhsa_workgroup_processor_mode 1
		.amdhsa_memory_ordered 1
		.amdhsa_forward_progress 1
		.amdhsa_inst_pref_size 0
		.amdhsa_round_robin_scheduling 0
		.amdhsa_exception_fp_ieee_invalid_op 0
		.amdhsa_exception_fp_denorm_src 0
		.amdhsa_exception_fp_ieee_div_zero 0
		.amdhsa_exception_fp_ieee_overflow 0
		.amdhsa_exception_fp_ieee_underflow 0
		.amdhsa_exception_fp_ieee_inexact 0
		.amdhsa_exception_int_div_zero 0
	.end_amdhsa_kernel
	.section	.text._ZN7rocprim17ROCPRIM_400000_NS6detail17trampoline_kernelINS0_13select_configILj256ELj13ELNS0_17block_load_methodE3ELS4_3ELS4_3ELNS0_20block_scan_algorithmE0ELj4294967295EEENS1_25partition_config_selectorILNS1_17partition_subalgoE4EjNS0_10empty_typeEbEEZZNS1_14partition_implILS8_4ELb0ES6_15HIP_vector_typeIjLj2EENS0_17counting_iteratorIjlEEPS9_SG_NS0_5tupleIJPjSI_NS0_16reverse_iteratorISI_EEEEENSH_IJSG_SG_SG_EEES9_SI_JZNS1_25segmented_radix_sort_implINS0_14default_configELb1EPKfPfPKlPlN2at6native12_GLOBAL__N_18offset_tEEE10hipError_tPvRmT1_PNSt15iterator_traitsIS12_E10value_typeET2_T3_PNS13_IS18_E10value_typeET4_jRbjT5_S1E_jjP12ihipStream_tbEUljE_ZNSN_ISO_Lb1ESQ_SR_ST_SU_SY_EESZ_S10_S11_S12_S16_S17_S18_S1B_S1C_jS1D_jS1E_S1E_jjS1G_bEUljE0_EEESZ_S10_S11_S18_S1C_S1E_T6_T7_T9_mT8_S1G_bDpT10_ENKUlT_T0_E_clISt17integral_constantIbLb1EES1U_EEDaS1P_S1Q_EUlS1P_E_NS1_11comp_targetILNS1_3genE2ELNS1_11target_archE906ELNS1_3gpuE6ELNS1_3repE0EEENS1_30default_config_static_selectorELNS0_4arch9wavefront6targetE0EEEvS12_,"axG",@progbits,_ZN7rocprim17ROCPRIM_400000_NS6detail17trampoline_kernelINS0_13select_configILj256ELj13ELNS0_17block_load_methodE3ELS4_3ELS4_3ELNS0_20block_scan_algorithmE0ELj4294967295EEENS1_25partition_config_selectorILNS1_17partition_subalgoE4EjNS0_10empty_typeEbEEZZNS1_14partition_implILS8_4ELb0ES6_15HIP_vector_typeIjLj2EENS0_17counting_iteratorIjlEEPS9_SG_NS0_5tupleIJPjSI_NS0_16reverse_iteratorISI_EEEEENSH_IJSG_SG_SG_EEES9_SI_JZNS1_25segmented_radix_sort_implINS0_14default_configELb1EPKfPfPKlPlN2at6native12_GLOBAL__N_18offset_tEEE10hipError_tPvRmT1_PNSt15iterator_traitsIS12_E10value_typeET2_T3_PNS13_IS18_E10value_typeET4_jRbjT5_S1E_jjP12ihipStream_tbEUljE_ZNSN_ISO_Lb1ESQ_SR_ST_SU_SY_EESZ_S10_S11_S12_S16_S17_S18_S1B_S1C_jS1D_jS1E_S1E_jjS1G_bEUljE0_EEESZ_S10_S11_S18_S1C_S1E_T6_T7_T9_mT8_S1G_bDpT10_ENKUlT_T0_E_clISt17integral_constantIbLb1EES1U_EEDaS1P_S1Q_EUlS1P_E_NS1_11comp_targetILNS1_3genE2ELNS1_11target_archE906ELNS1_3gpuE6ELNS1_3repE0EEENS1_30default_config_static_selectorELNS0_4arch9wavefront6targetE0EEEvS12_,comdat
.Lfunc_end1273:
	.size	_ZN7rocprim17ROCPRIM_400000_NS6detail17trampoline_kernelINS0_13select_configILj256ELj13ELNS0_17block_load_methodE3ELS4_3ELS4_3ELNS0_20block_scan_algorithmE0ELj4294967295EEENS1_25partition_config_selectorILNS1_17partition_subalgoE4EjNS0_10empty_typeEbEEZZNS1_14partition_implILS8_4ELb0ES6_15HIP_vector_typeIjLj2EENS0_17counting_iteratorIjlEEPS9_SG_NS0_5tupleIJPjSI_NS0_16reverse_iteratorISI_EEEEENSH_IJSG_SG_SG_EEES9_SI_JZNS1_25segmented_radix_sort_implINS0_14default_configELb1EPKfPfPKlPlN2at6native12_GLOBAL__N_18offset_tEEE10hipError_tPvRmT1_PNSt15iterator_traitsIS12_E10value_typeET2_T3_PNS13_IS18_E10value_typeET4_jRbjT5_S1E_jjP12ihipStream_tbEUljE_ZNSN_ISO_Lb1ESQ_SR_ST_SU_SY_EESZ_S10_S11_S12_S16_S17_S18_S1B_S1C_jS1D_jS1E_S1E_jjS1G_bEUljE0_EEESZ_S10_S11_S18_S1C_S1E_T6_T7_T9_mT8_S1G_bDpT10_ENKUlT_T0_E_clISt17integral_constantIbLb1EES1U_EEDaS1P_S1Q_EUlS1P_E_NS1_11comp_targetILNS1_3genE2ELNS1_11target_archE906ELNS1_3gpuE6ELNS1_3repE0EEENS1_30default_config_static_selectorELNS0_4arch9wavefront6targetE0EEEvS12_, .Lfunc_end1273-_ZN7rocprim17ROCPRIM_400000_NS6detail17trampoline_kernelINS0_13select_configILj256ELj13ELNS0_17block_load_methodE3ELS4_3ELS4_3ELNS0_20block_scan_algorithmE0ELj4294967295EEENS1_25partition_config_selectorILNS1_17partition_subalgoE4EjNS0_10empty_typeEbEEZZNS1_14partition_implILS8_4ELb0ES6_15HIP_vector_typeIjLj2EENS0_17counting_iteratorIjlEEPS9_SG_NS0_5tupleIJPjSI_NS0_16reverse_iteratorISI_EEEEENSH_IJSG_SG_SG_EEES9_SI_JZNS1_25segmented_radix_sort_implINS0_14default_configELb1EPKfPfPKlPlN2at6native12_GLOBAL__N_18offset_tEEE10hipError_tPvRmT1_PNSt15iterator_traitsIS12_E10value_typeET2_T3_PNS13_IS18_E10value_typeET4_jRbjT5_S1E_jjP12ihipStream_tbEUljE_ZNSN_ISO_Lb1ESQ_SR_ST_SU_SY_EESZ_S10_S11_S12_S16_S17_S18_S1B_S1C_jS1D_jS1E_S1E_jjS1G_bEUljE0_EEESZ_S10_S11_S18_S1C_S1E_T6_T7_T9_mT8_S1G_bDpT10_ENKUlT_T0_E_clISt17integral_constantIbLb1EES1U_EEDaS1P_S1Q_EUlS1P_E_NS1_11comp_targetILNS1_3genE2ELNS1_11target_archE906ELNS1_3gpuE6ELNS1_3repE0EEENS1_30default_config_static_selectorELNS0_4arch9wavefront6targetE0EEEvS12_
                                        ; -- End function
	.set _ZN7rocprim17ROCPRIM_400000_NS6detail17trampoline_kernelINS0_13select_configILj256ELj13ELNS0_17block_load_methodE3ELS4_3ELS4_3ELNS0_20block_scan_algorithmE0ELj4294967295EEENS1_25partition_config_selectorILNS1_17partition_subalgoE4EjNS0_10empty_typeEbEEZZNS1_14partition_implILS8_4ELb0ES6_15HIP_vector_typeIjLj2EENS0_17counting_iteratorIjlEEPS9_SG_NS0_5tupleIJPjSI_NS0_16reverse_iteratorISI_EEEEENSH_IJSG_SG_SG_EEES9_SI_JZNS1_25segmented_radix_sort_implINS0_14default_configELb1EPKfPfPKlPlN2at6native12_GLOBAL__N_18offset_tEEE10hipError_tPvRmT1_PNSt15iterator_traitsIS12_E10value_typeET2_T3_PNS13_IS18_E10value_typeET4_jRbjT5_S1E_jjP12ihipStream_tbEUljE_ZNSN_ISO_Lb1ESQ_SR_ST_SU_SY_EESZ_S10_S11_S12_S16_S17_S18_S1B_S1C_jS1D_jS1E_S1E_jjS1G_bEUljE0_EEESZ_S10_S11_S18_S1C_S1E_T6_T7_T9_mT8_S1G_bDpT10_ENKUlT_T0_E_clISt17integral_constantIbLb1EES1U_EEDaS1P_S1Q_EUlS1P_E_NS1_11comp_targetILNS1_3genE2ELNS1_11target_archE906ELNS1_3gpuE6ELNS1_3repE0EEENS1_30default_config_static_selectorELNS0_4arch9wavefront6targetE0EEEvS12_.num_vgpr, 0
	.set _ZN7rocprim17ROCPRIM_400000_NS6detail17trampoline_kernelINS0_13select_configILj256ELj13ELNS0_17block_load_methodE3ELS4_3ELS4_3ELNS0_20block_scan_algorithmE0ELj4294967295EEENS1_25partition_config_selectorILNS1_17partition_subalgoE4EjNS0_10empty_typeEbEEZZNS1_14partition_implILS8_4ELb0ES6_15HIP_vector_typeIjLj2EENS0_17counting_iteratorIjlEEPS9_SG_NS0_5tupleIJPjSI_NS0_16reverse_iteratorISI_EEEEENSH_IJSG_SG_SG_EEES9_SI_JZNS1_25segmented_radix_sort_implINS0_14default_configELb1EPKfPfPKlPlN2at6native12_GLOBAL__N_18offset_tEEE10hipError_tPvRmT1_PNSt15iterator_traitsIS12_E10value_typeET2_T3_PNS13_IS18_E10value_typeET4_jRbjT5_S1E_jjP12ihipStream_tbEUljE_ZNSN_ISO_Lb1ESQ_SR_ST_SU_SY_EESZ_S10_S11_S12_S16_S17_S18_S1B_S1C_jS1D_jS1E_S1E_jjS1G_bEUljE0_EEESZ_S10_S11_S18_S1C_S1E_T6_T7_T9_mT8_S1G_bDpT10_ENKUlT_T0_E_clISt17integral_constantIbLb1EES1U_EEDaS1P_S1Q_EUlS1P_E_NS1_11comp_targetILNS1_3genE2ELNS1_11target_archE906ELNS1_3gpuE6ELNS1_3repE0EEENS1_30default_config_static_selectorELNS0_4arch9wavefront6targetE0EEEvS12_.num_agpr, 0
	.set _ZN7rocprim17ROCPRIM_400000_NS6detail17trampoline_kernelINS0_13select_configILj256ELj13ELNS0_17block_load_methodE3ELS4_3ELS4_3ELNS0_20block_scan_algorithmE0ELj4294967295EEENS1_25partition_config_selectorILNS1_17partition_subalgoE4EjNS0_10empty_typeEbEEZZNS1_14partition_implILS8_4ELb0ES6_15HIP_vector_typeIjLj2EENS0_17counting_iteratorIjlEEPS9_SG_NS0_5tupleIJPjSI_NS0_16reverse_iteratorISI_EEEEENSH_IJSG_SG_SG_EEES9_SI_JZNS1_25segmented_radix_sort_implINS0_14default_configELb1EPKfPfPKlPlN2at6native12_GLOBAL__N_18offset_tEEE10hipError_tPvRmT1_PNSt15iterator_traitsIS12_E10value_typeET2_T3_PNS13_IS18_E10value_typeET4_jRbjT5_S1E_jjP12ihipStream_tbEUljE_ZNSN_ISO_Lb1ESQ_SR_ST_SU_SY_EESZ_S10_S11_S12_S16_S17_S18_S1B_S1C_jS1D_jS1E_S1E_jjS1G_bEUljE0_EEESZ_S10_S11_S18_S1C_S1E_T6_T7_T9_mT8_S1G_bDpT10_ENKUlT_T0_E_clISt17integral_constantIbLb1EES1U_EEDaS1P_S1Q_EUlS1P_E_NS1_11comp_targetILNS1_3genE2ELNS1_11target_archE906ELNS1_3gpuE6ELNS1_3repE0EEENS1_30default_config_static_selectorELNS0_4arch9wavefront6targetE0EEEvS12_.numbered_sgpr, 0
	.set _ZN7rocprim17ROCPRIM_400000_NS6detail17trampoline_kernelINS0_13select_configILj256ELj13ELNS0_17block_load_methodE3ELS4_3ELS4_3ELNS0_20block_scan_algorithmE0ELj4294967295EEENS1_25partition_config_selectorILNS1_17partition_subalgoE4EjNS0_10empty_typeEbEEZZNS1_14partition_implILS8_4ELb0ES6_15HIP_vector_typeIjLj2EENS0_17counting_iteratorIjlEEPS9_SG_NS0_5tupleIJPjSI_NS0_16reverse_iteratorISI_EEEEENSH_IJSG_SG_SG_EEES9_SI_JZNS1_25segmented_radix_sort_implINS0_14default_configELb1EPKfPfPKlPlN2at6native12_GLOBAL__N_18offset_tEEE10hipError_tPvRmT1_PNSt15iterator_traitsIS12_E10value_typeET2_T3_PNS13_IS18_E10value_typeET4_jRbjT5_S1E_jjP12ihipStream_tbEUljE_ZNSN_ISO_Lb1ESQ_SR_ST_SU_SY_EESZ_S10_S11_S12_S16_S17_S18_S1B_S1C_jS1D_jS1E_S1E_jjS1G_bEUljE0_EEESZ_S10_S11_S18_S1C_S1E_T6_T7_T9_mT8_S1G_bDpT10_ENKUlT_T0_E_clISt17integral_constantIbLb1EES1U_EEDaS1P_S1Q_EUlS1P_E_NS1_11comp_targetILNS1_3genE2ELNS1_11target_archE906ELNS1_3gpuE6ELNS1_3repE0EEENS1_30default_config_static_selectorELNS0_4arch9wavefront6targetE0EEEvS12_.num_named_barrier, 0
	.set _ZN7rocprim17ROCPRIM_400000_NS6detail17trampoline_kernelINS0_13select_configILj256ELj13ELNS0_17block_load_methodE3ELS4_3ELS4_3ELNS0_20block_scan_algorithmE0ELj4294967295EEENS1_25partition_config_selectorILNS1_17partition_subalgoE4EjNS0_10empty_typeEbEEZZNS1_14partition_implILS8_4ELb0ES6_15HIP_vector_typeIjLj2EENS0_17counting_iteratorIjlEEPS9_SG_NS0_5tupleIJPjSI_NS0_16reverse_iteratorISI_EEEEENSH_IJSG_SG_SG_EEES9_SI_JZNS1_25segmented_radix_sort_implINS0_14default_configELb1EPKfPfPKlPlN2at6native12_GLOBAL__N_18offset_tEEE10hipError_tPvRmT1_PNSt15iterator_traitsIS12_E10value_typeET2_T3_PNS13_IS18_E10value_typeET4_jRbjT5_S1E_jjP12ihipStream_tbEUljE_ZNSN_ISO_Lb1ESQ_SR_ST_SU_SY_EESZ_S10_S11_S12_S16_S17_S18_S1B_S1C_jS1D_jS1E_S1E_jjS1G_bEUljE0_EEESZ_S10_S11_S18_S1C_S1E_T6_T7_T9_mT8_S1G_bDpT10_ENKUlT_T0_E_clISt17integral_constantIbLb1EES1U_EEDaS1P_S1Q_EUlS1P_E_NS1_11comp_targetILNS1_3genE2ELNS1_11target_archE906ELNS1_3gpuE6ELNS1_3repE0EEENS1_30default_config_static_selectorELNS0_4arch9wavefront6targetE0EEEvS12_.private_seg_size, 0
	.set _ZN7rocprim17ROCPRIM_400000_NS6detail17trampoline_kernelINS0_13select_configILj256ELj13ELNS0_17block_load_methodE3ELS4_3ELS4_3ELNS0_20block_scan_algorithmE0ELj4294967295EEENS1_25partition_config_selectorILNS1_17partition_subalgoE4EjNS0_10empty_typeEbEEZZNS1_14partition_implILS8_4ELb0ES6_15HIP_vector_typeIjLj2EENS0_17counting_iteratorIjlEEPS9_SG_NS0_5tupleIJPjSI_NS0_16reverse_iteratorISI_EEEEENSH_IJSG_SG_SG_EEES9_SI_JZNS1_25segmented_radix_sort_implINS0_14default_configELb1EPKfPfPKlPlN2at6native12_GLOBAL__N_18offset_tEEE10hipError_tPvRmT1_PNSt15iterator_traitsIS12_E10value_typeET2_T3_PNS13_IS18_E10value_typeET4_jRbjT5_S1E_jjP12ihipStream_tbEUljE_ZNSN_ISO_Lb1ESQ_SR_ST_SU_SY_EESZ_S10_S11_S12_S16_S17_S18_S1B_S1C_jS1D_jS1E_S1E_jjS1G_bEUljE0_EEESZ_S10_S11_S18_S1C_S1E_T6_T7_T9_mT8_S1G_bDpT10_ENKUlT_T0_E_clISt17integral_constantIbLb1EES1U_EEDaS1P_S1Q_EUlS1P_E_NS1_11comp_targetILNS1_3genE2ELNS1_11target_archE906ELNS1_3gpuE6ELNS1_3repE0EEENS1_30default_config_static_selectorELNS0_4arch9wavefront6targetE0EEEvS12_.uses_vcc, 0
	.set _ZN7rocprim17ROCPRIM_400000_NS6detail17trampoline_kernelINS0_13select_configILj256ELj13ELNS0_17block_load_methodE3ELS4_3ELS4_3ELNS0_20block_scan_algorithmE0ELj4294967295EEENS1_25partition_config_selectorILNS1_17partition_subalgoE4EjNS0_10empty_typeEbEEZZNS1_14partition_implILS8_4ELb0ES6_15HIP_vector_typeIjLj2EENS0_17counting_iteratorIjlEEPS9_SG_NS0_5tupleIJPjSI_NS0_16reverse_iteratorISI_EEEEENSH_IJSG_SG_SG_EEES9_SI_JZNS1_25segmented_radix_sort_implINS0_14default_configELb1EPKfPfPKlPlN2at6native12_GLOBAL__N_18offset_tEEE10hipError_tPvRmT1_PNSt15iterator_traitsIS12_E10value_typeET2_T3_PNS13_IS18_E10value_typeET4_jRbjT5_S1E_jjP12ihipStream_tbEUljE_ZNSN_ISO_Lb1ESQ_SR_ST_SU_SY_EESZ_S10_S11_S12_S16_S17_S18_S1B_S1C_jS1D_jS1E_S1E_jjS1G_bEUljE0_EEESZ_S10_S11_S18_S1C_S1E_T6_T7_T9_mT8_S1G_bDpT10_ENKUlT_T0_E_clISt17integral_constantIbLb1EES1U_EEDaS1P_S1Q_EUlS1P_E_NS1_11comp_targetILNS1_3genE2ELNS1_11target_archE906ELNS1_3gpuE6ELNS1_3repE0EEENS1_30default_config_static_selectorELNS0_4arch9wavefront6targetE0EEEvS12_.uses_flat_scratch, 0
	.set _ZN7rocprim17ROCPRIM_400000_NS6detail17trampoline_kernelINS0_13select_configILj256ELj13ELNS0_17block_load_methodE3ELS4_3ELS4_3ELNS0_20block_scan_algorithmE0ELj4294967295EEENS1_25partition_config_selectorILNS1_17partition_subalgoE4EjNS0_10empty_typeEbEEZZNS1_14partition_implILS8_4ELb0ES6_15HIP_vector_typeIjLj2EENS0_17counting_iteratorIjlEEPS9_SG_NS0_5tupleIJPjSI_NS0_16reverse_iteratorISI_EEEEENSH_IJSG_SG_SG_EEES9_SI_JZNS1_25segmented_radix_sort_implINS0_14default_configELb1EPKfPfPKlPlN2at6native12_GLOBAL__N_18offset_tEEE10hipError_tPvRmT1_PNSt15iterator_traitsIS12_E10value_typeET2_T3_PNS13_IS18_E10value_typeET4_jRbjT5_S1E_jjP12ihipStream_tbEUljE_ZNSN_ISO_Lb1ESQ_SR_ST_SU_SY_EESZ_S10_S11_S12_S16_S17_S18_S1B_S1C_jS1D_jS1E_S1E_jjS1G_bEUljE0_EEESZ_S10_S11_S18_S1C_S1E_T6_T7_T9_mT8_S1G_bDpT10_ENKUlT_T0_E_clISt17integral_constantIbLb1EES1U_EEDaS1P_S1Q_EUlS1P_E_NS1_11comp_targetILNS1_3genE2ELNS1_11target_archE906ELNS1_3gpuE6ELNS1_3repE0EEENS1_30default_config_static_selectorELNS0_4arch9wavefront6targetE0EEEvS12_.has_dyn_sized_stack, 0
	.set _ZN7rocprim17ROCPRIM_400000_NS6detail17trampoline_kernelINS0_13select_configILj256ELj13ELNS0_17block_load_methodE3ELS4_3ELS4_3ELNS0_20block_scan_algorithmE0ELj4294967295EEENS1_25partition_config_selectorILNS1_17partition_subalgoE4EjNS0_10empty_typeEbEEZZNS1_14partition_implILS8_4ELb0ES6_15HIP_vector_typeIjLj2EENS0_17counting_iteratorIjlEEPS9_SG_NS0_5tupleIJPjSI_NS0_16reverse_iteratorISI_EEEEENSH_IJSG_SG_SG_EEES9_SI_JZNS1_25segmented_radix_sort_implINS0_14default_configELb1EPKfPfPKlPlN2at6native12_GLOBAL__N_18offset_tEEE10hipError_tPvRmT1_PNSt15iterator_traitsIS12_E10value_typeET2_T3_PNS13_IS18_E10value_typeET4_jRbjT5_S1E_jjP12ihipStream_tbEUljE_ZNSN_ISO_Lb1ESQ_SR_ST_SU_SY_EESZ_S10_S11_S12_S16_S17_S18_S1B_S1C_jS1D_jS1E_S1E_jjS1G_bEUljE0_EEESZ_S10_S11_S18_S1C_S1E_T6_T7_T9_mT8_S1G_bDpT10_ENKUlT_T0_E_clISt17integral_constantIbLb1EES1U_EEDaS1P_S1Q_EUlS1P_E_NS1_11comp_targetILNS1_3genE2ELNS1_11target_archE906ELNS1_3gpuE6ELNS1_3repE0EEENS1_30default_config_static_selectorELNS0_4arch9wavefront6targetE0EEEvS12_.has_recursion, 0
	.set _ZN7rocprim17ROCPRIM_400000_NS6detail17trampoline_kernelINS0_13select_configILj256ELj13ELNS0_17block_load_methodE3ELS4_3ELS4_3ELNS0_20block_scan_algorithmE0ELj4294967295EEENS1_25partition_config_selectorILNS1_17partition_subalgoE4EjNS0_10empty_typeEbEEZZNS1_14partition_implILS8_4ELb0ES6_15HIP_vector_typeIjLj2EENS0_17counting_iteratorIjlEEPS9_SG_NS0_5tupleIJPjSI_NS0_16reverse_iteratorISI_EEEEENSH_IJSG_SG_SG_EEES9_SI_JZNS1_25segmented_radix_sort_implINS0_14default_configELb1EPKfPfPKlPlN2at6native12_GLOBAL__N_18offset_tEEE10hipError_tPvRmT1_PNSt15iterator_traitsIS12_E10value_typeET2_T3_PNS13_IS18_E10value_typeET4_jRbjT5_S1E_jjP12ihipStream_tbEUljE_ZNSN_ISO_Lb1ESQ_SR_ST_SU_SY_EESZ_S10_S11_S12_S16_S17_S18_S1B_S1C_jS1D_jS1E_S1E_jjS1G_bEUljE0_EEESZ_S10_S11_S18_S1C_S1E_T6_T7_T9_mT8_S1G_bDpT10_ENKUlT_T0_E_clISt17integral_constantIbLb1EES1U_EEDaS1P_S1Q_EUlS1P_E_NS1_11comp_targetILNS1_3genE2ELNS1_11target_archE906ELNS1_3gpuE6ELNS1_3repE0EEENS1_30default_config_static_selectorELNS0_4arch9wavefront6targetE0EEEvS12_.has_indirect_call, 0
	.section	.AMDGPU.csdata,"",@progbits
; Kernel info:
; codeLenInByte = 0
; TotalNumSgprs: 0
; NumVgprs: 0
; ScratchSize: 0
; MemoryBound: 0
; FloatMode: 240
; IeeeMode: 1
; LDSByteSize: 0 bytes/workgroup (compile time only)
; SGPRBlocks: 0
; VGPRBlocks: 0
; NumSGPRsForWavesPerEU: 1
; NumVGPRsForWavesPerEU: 1
; Occupancy: 16
; WaveLimiterHint : 0
; COMPUTE_PGM_RSRC2:SCRATCH_EN: 0
; COMPUTE_PGM_RSRC2:USER_SGPR: 2
; COMPUTE_PGM_RSRC2:TRAP_HANDLER: 0
; COMPUTE_PGM_RSRC2:TGID_X_EN: 1
; COMPUTE_PGM_RSRC2:TGID_Y_EN: 0
; COMPUTE_PGM_RSRC2:TGID_Z_EN: 0
; COMPUTE_PGM_RSRC2:TIDIG_COMP_CNT: 0
	.section	.text._ZN7rocprim17ROCPRIM_400000_NS6detail17trampoline_kernelINS0_13select_configILj256ELj13ELNS0_17block_load_methodE3ELS4_3ELS4_3ELNS0_20block_scan_algorithmE0ELj4294967295EEENS1_25partition_config_selectorILNS1_17partition_subalgoE4EjNS0_10empty_typeEbEEZZNS1_14partition_implILS8_4ELb0ES6_15HIP_vector_typeIjLj2EENS0_17counting_iteratorIjlEEPS9_SG_NS0_5tupleIJPjSI_NS0_16reverse_iteratorISI_EEEEENSH_IJSG_SG_SG_EEES9_SI_JZNS1_25segmented_radix_sort_implINS0_14default_configELb1EPKfPfPKlPlN2at6native12_GLOBAL__N_18offset_tEEE10hipError_tPvRmT1_PNSt15iterator_traitsIS12_E10value_typeET2_T3_PNS13_IS18_E10value_typeET4_jRbjT5_S1E_jjP12ihipStream_tbEUljE_ZNSN_ISO_Lb1ESQ_SR_ST_SU_SY_EESZ_S10_S11_S12_S16_S17_S18_S1B_S1C_jS1D_jS1E_S1E_jjS1G_bEUljE0_EEESZ_S10_S11_S18_S1C_S1E_T6_T7_T9_mT8_S1G_bDpT10_ENKUlT_T0_E_clISt17integral_constantIbLb1EES1U_EEDaS1P_S1Q_EUlS1P_E_NS1_11comp_targetILNS1_3genE10ELNS1_11target_archE1200ELNS1_3gpuE4ELNS1_3repE0EEENS1_30default_config_static_selectorELNS0_4arch9wavefront6targetE0EEEvS12_,"axG",@progbits,_ZN7rocprim17ROCPRIM_400000_NS6detail17trampoline_kernelINS0_13select_configILj256ELj13ELNS0_17block_load_methodE3ELS4_3ELS4_3ELNS0_20block_scan_algorithmE0ELj4294967295EEENS1_25partition_config_selectorILNS1_17partition_subalgoE4EjNS0_10empty_typeEbEEZZNS1_14partition_implILS8_4ELb0ES6_15HIP_vector_typeIjLj2EENS0_17counting_iteratorIjlEEPS9_SG_NS0_5tupleIJPjSI_NS0_16reverse_iteratorISI_EEEEENSH_IJSG_SG_SG_EEES9_SI_JZNS1_25segmented_radix_sort_implINS0_14default_configELb1EPKfPfPKlPlN2at6native12_GLOBAL__N_18offset_tEEE10hipError_tPvRmT1_PNSt15iterator_traitsIS12_E10value_typeET2_T3_PNS13_IS18_E10value_typeET4_jRbjT5_S1E_jjP12ihipStream_tbEUljE_ZNSN_ISO_Lb1ESQ_SR_ST_SU_SY_EESZ_S10_S11_S12_S16_S17_S18_S1B_S1C_jS1D_jS1E_S1E_jjS1G_bEUljE0_EEESZ_S10_S11_S18_S1C_S1E_T6_T7_T9_mT8_S1G_bDpT10_ENKUlT_T0_E_clISt17integral_constantIbLb1EES1U_EEDaS1P_S1Q_EUlS1P_E_NS1_11comp_targetILNS1_3genE10ELNS1_11target_archE1200ELNS1_3gpuE4ELNS1_3repE0EEENS1_30default_config_static_selectorELNS0_4arch9wavefront6targetE0EEEvS12_,comdat
	.globl	_ZN7rocprim17ROCPRIM_400000_NS6detail17trampoline_kernelINS0_13select_configILj256ELj13ELNS0_17block_load_methodE3ELS4_3ELS4_3ELNS0_20block_scan_algorithmE0ELj4294967295EEENS1_25partition_config_selectorILNS1_17partition_subalgoE4EjNS0_10empty_typeEbEEZZNS1_14partition_implILS8_4ELb0ES6_15HIP_vector_typeIjLj2EENS0_17counting_iteratorIjlEEPS9_SG_NS0_5tupleIJPjSI_NS0_16reverse_iteratorISI_EEEEENSH_IJSG_SG_SG_EEES9_SI_JZNS1_25segmented_radix_sort_implINS0_14default_configELb1EPKfPfPKlPlN2at6native12_GLOBAL__N_18offset_tEEE10hipError_tPvRmT1_PNSt15iterator_traitsIS12_E10value_typeET2_T3_PNS13_IS18_E10value_typeET4_jRbjT5_S1E_jjP12ihipStream_tbEUljE_ZNSN_ISO_Lb1ESQ_SR_ST_SU_SY_EESZ_S10_S11_S12_S16_S17_S18_S1B_S1C_jS1D_jS1E_S1E_jjS1G_bEUljE0_EEESZ_S10_S11_S18_S1C_S1E_T6_T7_T9_mT8_S1G_bDpT10_ENKUlT_T0_E_clISt17integral_constantIbLb1EES1U_EEDaS1P_S1Q_EUlS1P_E_NS1_11comp_targetILNS1_3genE10ELNS1_11target_archE1200ELNS1_3gpuE4ELNS1_3repE0EEENS1_30default_config_static_selectorELNS0_4arch9wavefront6targetE0EEEvS12_ ; -- Begin function _ZN7rocprim17ROCPRIM_400000_NS6detail17trampoline_kernelINS0_13select_configILj256ELj13ELNS0_17block_load_methodE3ELS4_3ELS4_3ELNS0_20block_scan_algorithmE0ELj4294967295EEENS1_25partition_config_selectorILNS1_17partition_subalgoE4EjNS0_10empty_typeEbEEZZNS1_14partition_implILS8_4ELb0ES6_15HIP_vector_typeIjLj2EENS0_17counting_iteratorIjlEEPS9_SG_NS0_5tupleIJPjSI_NS0_16reverse_iteratorISI_EEEEENSH_IJSG_SG_SG_EEES9_SI_JZNS1_25segmented_radix_sort_implINS0_14default_configELb1EPKfPfPKlPlN2at6native12_GLOBAL__N_18offset_tEEE10hipError_tPvRmT1_PNSt15iterator_traitsIS12_E10value_typeET2_T3_PNS13_IS18_E10value_typeET4_jRbjT5_S1E_jjP12ihipStream_tbEUljE_ZNSN_ISO_Lb1ESQ_SR_ST_SU_SY_EESZ_S10_S11_S12_S16_S17_S18_S1B_S1C_jS1D_jS1E_S1E_jjS1G_bEUljE0_EEESZ_S10_S11_S18_S1C_S1E_T6_T7_T9_mT8_S1G_bDpT10_ENKUlT_T0_E_clISt17integral_constantIbLb1EES1U_EEDaS1P_S1Q_EUlS1P_E_NS1_11comp_targetILNS1_3genE10ELNS1_11target_archE1200ELNS1_3gpuE4ELNS1_3repE0EEENS1_30default_config_static_selectorELNS0_4arch9wavefront6targetE0EEEvS12_
	.p2align	8
	.type	_ZN7rocprim17ROCPRIM_400000_NS6detail17trampoline_kernelINS0_13select_configILj256ELj13ELNS0_17block_load_methodE3ELS4_3ELS4_3ELNS0_20block_scan_algorithmE0ELj4294967295EEENS1_25partition_config_selectorILNS1_17partition_subalgoE4EjNS0_10empty_typeEbEEZZNS1_14partition_implILS8_4ELb0ES6_15HIP_vector_typeIjLj2EENS0_17counting_iteratorIjlEEPS9_SG_NS0_5tupleIJPjSI_NS0_16reverse_iteratorISI_EEEEENSH_IJSG_SG_SG_EEES9_SI_JZNS1_25segmented_radix_sort_implINS0_14default_configELb1EPKfPfPKlPlN2at6native12_GLOBAL__N_18offset_tEEE10hipError_tPvRmT1_PNSt15iterator_traitsIS12_E10value_typeET2_T3_PNS13_IS18_E10value_typeET4_jRbjT5_S1E_jjP12ihipStream_tbEUljE_ZNSN_ISO_Lb1ESQ_SR_ST_SU_SY_EESZ_S10_S11_S12_S16_S17_S18_S1B_S1C_jS1D_jS1E_S1E_jjS1G_bEUljE0_EEESZ_S10_S11_S18_S1C_S1E_T6_T7_T9_mT8_S1G_bDpT10_ENKUlT_T0_E_clISt17integral_constantIbLb1EES1U_EEDaS1P_S1Q_EUlS1P_E_NS1_11comp_targetILNS1_3genE10ELNS1_11target_archE1200ELNS1_3gpuE4ELNS1_3repE0EEENS1_30default_config_static_selectorELNS0_4arch9wavefront6targetE0EEEvS12_,@function
_ZN7rocprim17ROCPRIM_400000_NS6detail17trampoline_kernelINS0_13select_configILj256ELj13ELNS0_17block_load_methodE3ELS4_3ELS4_3ELNS0_20block_scan_algorithmE0ELj4294967295EEENS1_25partition_config_selectorILNS1_17partition_subalgoE4EjNS0_10empty_typeEbEEZZNS1_14partition_implILS8_4ELb0ES6_15HIP_vector_typeIjLj2EENS0_17counting_iteratorIjlEEPS9_SG_NS0_5tupleIJPjSI_NS0_16reverse_iteratorISI_EEEEENSH_IJSG_SG_SG_EEES9_SI_JZNS1_25segmented_radix_sort_implINS0_14default_configELb1EPKfPfPKlPlN2at6native12_GLOBAL__N_18offset_tEEE10hipError_tPvRmT1_PNSt15iterator_traitsIS12_E10value_typeET2_T3_PNS13_IS18_E10value_typeET4_jRbjT5_S1E_jjP12ihipStream_tbEUljE_ZNSN_ISO_Lb1ESQ_SR_ST_SU_SY_EESZ_S10_S11_S12_S16_S17_S18_S1B_S1C_jS1D_jS1E_S1E_jjS1G_bEUljE0_EEESZ_S10_S11_S18_S1C_S1E_T6_T7_T9_mT8_S1G_bDpT10_ENKUlT_T0_E_clISt17integral_constantIbLb1EES1U_EEDaS1P_S1Q_EUlS1P_E_NS1_11comp_targetILNS1_3genE10ELNS1_11target_archE1200ELNS1_3gpuE4ELNS1_3repE0EEENS1_30default_config_static_selectorELNS0_4arch9wavefront6targetE0EEEvS12_: ; @_ZN7rocprim17ROCPRIM_400000_NS6detail17trampoline_kernelINS0_13select_configILj256ELj13ELNS0_17block_load_methodE3ELS4_3ELS4_3ELNS0_20block_scan_algorithmE0ELj4294967295EEENS1_25partition_config_selectorILNS1_17partition_subalgoE4EjNS0_10empty_typeEbEEZZNS1_14partition_implILS8_4ELb0ES6_15HIP_vector_typeIjLj2EENS0_17counting_iteratorIjlEEPS9_SG_NS0_5tupleIJPjSI_NS0_16reverse_iteratorISI_EEEEENSH_IJSG_SG_SG_EEES9_SI_JZNS1_25segmented_radix_sort_implINS0_14default_configELb1EPKfPfPKlPlN2at6native12_GLOBAL__N_18offset_tEEE10hipError_tPvRmT1_PNSt15iterator_traitsIS12_E10value_typeET2_T3_PNS13_IS18_E10value_typeET4_jRbjT5_S1E_jjP12ihipStream_tbEUljE_ZNSN_ISO_Lb1ESQ_SR_ST_SU_SY_EESZ_S10_S11_S12_S16_S17_S18_S1B_S1C_jS1D_jS1E_S1E_jjS1G_bEUljE0_EEESZ_S10_S11_S18_S1C_S1E_T6_T7_T9_mT8_S1G_bDpT10_ENKUlT_T0_E_clISt17integral_constantIbLb1EES1U_EEDaS1P_S1Q_EUlS1P_E_NS1_11comp_targetILNS1_3genE10ELNS1_11target_archE1200ELNS1_3gpuE4ELNS1_3repE0EEENS1_30default_config_static_selectorELNS0_4arch9wavefront6targetE0EEEvS12_
; %bb.0:
	s_endpgm
	.section	.rodata,"a",@progbits
	.p2align	6, 0x0
	.amdhsa_kernel _ZN7rocprim17ROCPRIM_400000_NS6detail17trampoline_kernelINS0_13select_configILj256ELj13ELNS0_17block_load_methodE3ELS4_3ELS4_3ELNS0_20block_scan_algorithmE0ELj4294967295EEENS1_25partition_config_selectorILNS1_17partition_subalgoE4EjNS0_10empty_typeEbEEZZNS1_14partition_implILS8_4ELb0ES6_15HIP_vector_typeIjLj2EENS0_17counting_iteratorIjlEEPS9_SG_NS0_5tupleIJPjSI_NS0_16reverse_iteratorISI_EEEEENSH_IJSG_SG_SG_EEES9_SI_JZNS1_25segmented_radix_sort_implINS0_14default_configELb1EPKfPfPKlPlN2at6native12_GLOBAL__N_18offset_tEEE10hipError_tPvRmT1_PNSt15iterator_traitsIS12_E10value_typeET2_T3_PNS13_IS18_E10value_typeET4_jRbjT5_S1E_jjP12ihipStream_tbEUljE_ZNSN_ISO_Lb1ESQ_SR_ST_SU_SY_EESZ_S10_S11_S12_S16_S17_S18_S1B_S1C_jS1D_jS1E_S1E_jjS1G_bEUljE0_EEESZ_S10_S11_S18_S1C_S1E_T6_T7_T9_mT8_S1G_bDpT10_ENKUlT_T0_E_clISt17integral_constantIbLb1EES1U_EEDaS1P_S1Q_EUlS1P_E_NS1_11comp_targetILNS1_3genE10ELNS1_11target_archE1200ELNS1_3gpuE4ELNS1_3repE0EEENS1_30default_config_static_selectorELNS0_4arch9wavefront6targetE0EEEvS12_
		.amdhsa_group_segment_fixed_size 0
		.amdhsa_private_segment_fixed_size 0
		.amdhsa_kernarg_size 184
		.amdhsa_user_sgpr_count 2
		.amdhsa_user_sgpr_dispatch_ptr 0
		.amdhsa_user_sgpr_queue_ptr 0
		.amdhsa_user_sgpr_kernarg_segment_ptr 1
		.amdhsa_user_sgpr_dispatch_id 0
		.amdhsa_user_sgpr_private_segment_size 0
		.amdhsa_wavefront_size32 1
		.amdhsa_uses_dynamic_stack 0
		.amdhsa_enable_private_segment 0
		.amdhsa_system_sgpr_workgroup_id_x 1
		.amdhsa_system_sgpr_workgroup_id_y 0
		.amdhsa_system_sgpr_workgroup_id_z 0
		.amdhsa_system_sgpr_workgroup_info 0
		.amdhsa_system_vgpr_workitem_id 0
		.amdhsa_next_free_vgpr 1
		.amdhsa_next_free_sgpr 1
		.amdhsa_reserve_vcc 0
		.amdhsa_float_round_mode_32 0
		.amdhsa_float_round_mode_16_64 0
		.amdhsa_float_denorm_mode_32 3
		.amdhsa_float_denorm_mode_16_64 3
		.amdhsa_fp16_overflow 0
		.amdhsa_workgroup_processor_mode 1
		.amdhsa_memory_ordered 1
		.amdhsa_forward_progress 1
		.amdhsa_inst_pref_size 1
		.amdhsa_round_robin_scheduling 0
		.amdhsa_exception_fp_ieee_invalid_op 0
		.amdhsa_exception_fp_denorm_src 0
		.amdhsa_exception_fp_ieee_div_zero 0
		.amdhsa_exception_fp_ieee_overflow 0
		.amdhsa_exception_fp_ieee_underflow 0
		.amdhsa_exception_fp_ieee_inexact 0
		.amdhsa_exception_int_div_zero 0
	.end_amdhsa_kernel
	.section	.text._ZN7rocprim17ROCPRIM_400000_NS6detail17trampoline_kernelINS0_13select_configILj256ELj13ELNS0_17block_load_methodE3ELS4_3ELS4_3ELNS0_20block_scan_algorithmE0ELj4294967295EEENS1_25partition_config_selectorILNS1_17partition_subalgoE4EjNS0_10empty_typeEbEEZZNS1_14partition_implILS8_4ELb0ES6_15HIP_vector_typeIjLj2EENS0_17counting_iteratorIjlEEPS9_SG_NS0_5tupleIJPjSI_NS0_16reverse_iteratorISI_EEEEENSH_IJSG_SG_SG_EEES9_SI_JZNS1_25segmented_radix_sort_implINS0_14default_configELb1EPKfPfPKlPlN2at6native12_GLOBAL__N_18offset_tEEE10hipError_tPvRmT1_PNSt15iterator_traitsIS12_E10value_typeET2_T3_PNS13_IS18_E10value_typeET4_jRbjT5_S1E_jjP12ihipStream_tbEUljE_ZNSN_ISO_Lb1ESQ_SR_ST_SU_SY_EESZ_S10_S11_S12_S16_S17_S18_S1B_S1C_jS1D_jS1E_S1E_jjS1G_bEUljE0_EEESZ_S10_S11_S18_S1C_S1E_T6_T7_T9_mT8_S1G_bDpT10_ENKUlT_T0_E_clISt17integral_constantIbLb1EES1U_EEDaS1P_S1Q_EUlS1P_E_NS1_11comp_targetILNS1_3genE10ELNS1_11target_archE1200ELNS1_3gpuE4ELNS1_3repE0EEENS1_30default_config_static_selectorELNS0_4arch9wavefront6targetE0EEEvS12_,"axG",@progbits,_ZN7rocprim17ROCPRIM_400000_NS6detail17trampoline_kernelINS0_13select_configILj256ELj13ELNS0_17block_load_methodE3ELS4_3ELS4_3ELNS0_20block_scan_algorithmE0ELj4294967295EEENS1_25partition_config_selectorILNS1_17partition_subalgoE4EjNS0_10empty_typeEbEEZZNS1_14partition_implILS8_4ELb0ES6_15HIP_vector_typeIjLj2EENS0_17counting_iteratorIjlEEPS9_SG_NS0_5tupleIJPjSI_NS0_16reverse_iteratorISI_EEEEENSH_IJSG_SG_SG_EEES9_SI_JZNS1_25segmented_radix_sort_implINS0_14default_configELb1EPKfPfPKlPlN2at6native12_GLOBAL__N_18offset_tEEE10hipError_tPvRmT1_PNSt15iterator_traitsIS12_E10value_typeET2_T3_PNS13_IS18_E10value_typeET4_jRbjT5_S1E_jjP12ihipStream_tbEUljE_ZNSN_ISO_Lb1ESQ_SR_ST_SU_SY_EESZ_S10_S11_S12_S16_S17_S18_S1B_S1C_jS1D_jS1E_S1E_jjS1G_bEUljE0_EEESZ_S10_S11_S18_S1C_S1E_T6_T7_T9_mT8_S1G_bDpT10_ENKUlT_T0_E_clISt17integral_constantIbLb1EES1U_EEDaS1P_S1Q_EUlS1P_E_NS1_11comp_targetILNS1_3genE10ELNS1_11target_archE1200ELNS1_3gpuE4ELNS1_3repE0EEENS1_30default_config_static_selectorELNS0_4arch9wavefront6targetE0EEEvS12_,comdat
.Lfunc_end1274:
	.size	_ZN7rocprim17ROCPRIM_400000_NS6detail17trampoline_kernelINS0_13select_configILj256ELj13ELNS0_17block_load_methodE3ELS4_3ELS4_3ELNS0_20block_scan_algorithmE0ELj4294967295EEENS1_25partition_config_selectorILNS1_17partition_subalgoE4EjNS0_10empty_typeEbEEZZNS1_14partition_implILS8_4ELb0ES6_15HIP_vector_typeIjLj2EENS0_17counting_iteratorIjlEEPS9_SG_NS0_5tupleIJPjSI_NS0_16reverse_iteratorISI_EEEEENSH_IJSG_SG_SG_EEES9_SI_JZNS1_25segmented_radix_sort_implINS0_14default_configELb1EPKfPfPKlPlN2at6native12_GLOBAL__N_18offset_tEEE10hipError_tPvRmT1_PNSt15iterator_traitsIS12_E10value_typeET2_T3_PNS13_IS18_E10value_typeET4_jRbjT5_S1E_jjP12ihipStream_tbEUljE_ZNSN_ISO_Lb1ESQ_SR_ST_SU_SY_EESZ_S10_S11_S12_S16_S17_S18_S1B_S1C_jS1D_jS1E_S1E_jjS1G_bEUljE0_EEESZ_S10_S11_S18_S1C_S1E_T6_T7_T9_mT8_S1G_bDpT10_ENKUlT_T0_E_clISt17integral_constantIbLb1EES1U_EEDaS1P_S1Q_EUlS1P_E_NS1_11comp_targetILNS1_3genE10ELNS1_11target_archE1200ELNS1_3gpuE4ELNS1_3repE0EEENS1_30default_config_static_selectorELNS0_4arch9wavefront6targetE0EEEvS12_, .Lfunc_end1274-_ZN7rocprim17ROCPRIM_400000_NS6detail17trampoline_kernelINS0_13select_configILj256ELj13ELNS0_17block_load_methodE3ELS4_3ELS4_3ELNS0_20block_scan_algorithmE0ELj4294967295EEENS1_25partition_config_selectorILNS1_17partition_subalgoE4EjNS0_10empty_typeEbEEZZNS1_14partition_implILS8_4ELb0ES6_15HIP_vector_typeIjLj2EENS0_17counting_iteratorIjlEEPS9_SG_NS0_5tupleIJPjSI_NS0_16reverse_iteratorISI_EEEEENSH_IJSG_SG_SG_EEES9_SI_JZNS1_25segmented_radix_sort_implINS0_14default_configELb1EPKfPfPKlPlN2at6native12_GLOBAL__N_18offset_tEEE10hipError_tPvRmT1_PNSt15iterator_traitsIS12_E10value_typeET2_T3_PNS13_IS18_E10value_typeET4_jRbjT5_S1E_jjP12ihipStream_tbEUljE_ZNSN_ISO_Lb1ESQ_SR_ST_SU_SY_EESZ_S10_S11_S12_S16_S17_S18_S1B_S1C_jS1D_jS1E_S1E_jjS1G_bEUljE0_EEESZ_S10_S11_S18_S1C_S1E_T6_T7_T9_mT8_S1G_bDpT10_ENKUlT_T0_E_clISt17integral_constantIbLb1EES1U_EEDaS1P_S1Q_EUlS1P_E_NS1_11comp_targetILNS1_3genE10ELNS1_11target_archE1200ELNS1_3gpuE4ELNS1_3repE0EEENS1_30default_config_static_selectorELNS0_4arch9wavefront6targetE0EEEvS12_
                                        ; -- End function
	.set _ZN7rocprim17ROCPRIM_400000_NS6detail17trampoline_kernelINS0_13select_configILj256ELj13ELNS0_17block_load_methodE3ELS4_3ELS4_3ELNS0_20block_scan_algorithmE0ELj4294967295EEENS1_25partition_config_selectorILNS1_17partition_subalgoE4EjNS0_10empty_typeEbEEZZNS1_14partition_implILS8_4ELb0ES6_15HIP_vector_typeIjLj2EENS0_17counting_iteratorIjlEEPS9_SG_NS0_5tupleIJPjSI_NS0_16reverse_iteratorISI_EEEEENSH_IJSG_SG_SG_EEES9_SI_JZNS1_25segmented_radix_sort_implINS0_14default_configELb1EPKfPfPKlPlN2at6native12_GLOBAL__N_18offset_tEEE10hipError_tPvRmT1_PNSt15iterator_traitsIS12_E10value_typeET2_T3_PNS13_IS18_E10value_typeET4_jRbjT5_S1E_jjP12ihipStream_tbEUljE_ZNSN_ISO_Lb1ESQ_SR_ST_SU_SY_EESZ_S10_S11_S12_S16_S17_S18_S1B_S1C_jS1D_jS1E_S1E_jjS1G_bEUljE0_EEESZ_S10_S11_S18_S1C_S1E_T6_T7_T9_mT8_S1G_bDpT10_ENKUlT_T0_E_clISt17integral_constantIbLb1EES1U_EEDaS1P_S1Q_EUlS1P_E_NS1_11comp_targetILNS1_3genE10ELNS1_11target_archE1200ELNS1_3gpuE4ELNS1_3repE0EEENS1_30default_config_static_selectorELNS0_4arch9wavefront6targetE0EEEvS12_.num_vgpr, 0
	.set _ZN7rocprim17ROCPRIM_400000_NS6detail17trampoline_kernelINS0_13select_configILj256ELj13ELNS0_17block_load_methodE3ELS4_3ELS4_3ELNS0_20block_scan_algorithmE0ELj4294967295EEENS1_25partition_config_selectorILNS1_17partition_subalgoE4EjNS0_10empty_typeEbEEZZNS1_14partition_implILS8_4ELb0ES6_15HIP_vector_typeIjLj2EENS0_17counting_iteratorIjlEEPS9_SG_NS0_5tupleIJPjSI_NS0_16reverse_iteratorISI_EEEEENSH_IJSG_SG_SG_EEES9_SI_JZNS1_25segmented_radix_sort_implINS0_14default_configELb1EPKfPfPKlPlN2at6native12_GLOBAL__N_18offset_tEEE10hipError_tPvRmT1_PNSt15iterator_traitsIS12_E10value_typeET2_T3_PNS13_IS18_E10value_typeET4_jRbjT5_S1E_jjP12ihipStream_tbEUljE_ZNSN_ISO_Lb1ESQ_SR_ST_SU_SY_EESZ_S10_S11_S12_S16_S17_S18_S1B_S1C_jS1D_jS1E_S1E_jjS1G_bEUljE0_EEESZ_S10_S11_S18_S1C_S1E_T6_T7_T9_mT8_S1G_bDpT10_ENKUlT_T0_E_clISt17integral_constantIbLb1EES1U_EEDaS1P_S1Q_EUlS1P_E_NS1_11comp_targetILNS1_3genE10ELNS1_11target_archE1200ELNS1_3gpuE4ELNS1_3repE0EEENS1_30default_config_static_selectorELNS0_4arch9wavefront6targetE0EEEvS12_.num_agpr, 0
	.set _ZN7rocprim17ROCPRIM_400000_NS6detail17trampoline_kernelINS0_13select_configILj256ELj13ELNS0_17block_load_methodE3ELS4_3ELS4_3ELNS0_20block_scan_algorithmE0ELj4294967295EEENS1_25partition_config_selectorILNS1_17partition_subalgoE4EjNS0_10empty_typeEbEEZZNS1_14partition_implILS8_4ELb0ES6_15HIP_vector_typeIjLj2EENS0_17counting_iteratorIjlEEPS9_SG_NS0_5tupleIJPjSI_NS0_16reverse_iteratorISI_EEEEENSH_IJSG_SG_SG_EEES9_SI_JZNS1_25segmented_radix_sort_implINS0_14default_configELb1EPKfPfPKlPlN2at6native12_GLOBAL__N_18offset_tEEE10hipError_tPvRmT1_PNSt15iterator_traitsIS12_E10value_typeET2_T3_PNS13_IS18_E10value_typeET4_jRbjT5_S1E_jjP12ihipStream_tbEUljE_ZNSN_ISO_Lb1ESQ_SR_ST_SU_SY_EESZ_S10_S11_S12_S16_S17_S18_S1B_S1C_jS1D_jS1E_S1E_jjS1G_bEUljE0_EEESZ_S10_S11_S18_S1C_S1E_T6_T7_T9_mT8_S1G_bDpT10_ENKUlT_T0_E_clISt17integral_constantIbLb1EES1U_EEDaS1P_S1Q_EUlS1P_E_NS1_11comp_targetILNS1_3genE10ELNS1_11target_archE1200ELNS1_3gpuE4ELNS1_3repE0EEENS1_30default_config_static_selectorELNS0_4arch9wavefront6targetE0EEEvS12_.numbered_sgpr, 0
	.set _ZN7rocprim17ROCPRIM_400000_NS6detail17trampoline_kernelINS0_13select_configILj256ELj13ELNS0_17block_load_methodE3ELS4_3ELS4_3ELNS0_20block_scan_algorithmE0ELj4294967295EEENS1_25partition_config_selectorILNS1_17partition_subalgoE4EjNS0_10empty_typeEbEEZZNS1_14partition_implILS8_4ELb0ES6_15HIP_vector_typeIjLj2EENS0_17counting_iteratorIjlEEPS9_SG_NS0_5tupleIJPjSI_NS0_16reverse_iteratorISI_EEEEENSH_IJSG_SG_SG_EEES9_SI_JZNS1_25segmented_radix_sort_implINS0_14default_configELb1EPKfPfPKlPlN2at6native12_GLOBAL__N_18offset_tEEE10hipError_tPvRmT1_PNSt15iterator_traitsIS12_E10value_typeET2_T3_PNS13_IS18_E10value_typeET4_jRbjT5_S1E_jjP12ihipStream_tbEUljE_ZNSN_ISO_Lb1ESQ_SR_ST_SU_SY_EESZ_S10_S11_S12_S16_S17_S18_S1B_S1C_jS1D_jS1E_S1E_jjS1G_bEUljE0_EEESZ_S10_S11_S18_S1C_S1E_T6_T7_T9_mT8_S1G_bDpT10_ENKUlT_T0_E_clISt17integral_constantIbLb1EES1U_EEDaS1P_S1Q_EUlS1P_E_NS1_11comp_targetILNS1_3genE10ELNS1_11target_archE1200ELNS1_3gpuE4ELNS1_3repE0EEENS1_30default_config_static_selectorELNS0_4arch9wavefront6targetE0EEEvS12_.num_named_barrier, 0
	.set _ZN7rocprim17ROCPRIM_400000_NS6detail17trampoline_kernelINS0_13select_configILj256ELj13ELNS0_17block_load_methodE3ELS4_3ELS4_3ELNS0_20block_scan_algorithmE0ELj4294967295EEENS1_25partition_config_selectorILNS1_17partition_subalgoE4EjNS0_10empty_typeEbEEZZNS1_14partition_implILS8_4ELb0ES6_15HIP_vector_typeIjLj2EENS0_17counting_iteratorIjlEEPS9_SG_NS0_5tupleIJPjSI_NS0_16reverse_iteratorISI_EEEEENSH_IJSG_SG_SG_EEES9_SI_JZNS1_25segmented_radix_sort_implINS0_14default_configELb1EPKfPfPKlPlN2at6native12_GLOBAL__N_18offset_tEEE10hipError_tPvRmT1_PNSt15iterator_traitsIS12_E10value_typeET2_T3_PNS13_IS18_E10value_typeET4_jRbjT5_S1E_jjP12ihipStream_tbEUljE_ZNSN_ISO_Lb1ESQ_SR_ST_SU_SY_EESZ_S10_S11_S12_S16_S17_S18_S1B_S1C_jS1D_jS1E_S1E_jjS1G_bEUljE0_EEESZ_S10_S11_S18_S1C_S1E_T6_T7_T9_mT8_S1G_bDpT10_ENKUlT_T0_E_clISt17integral_constantIbLb1EES1U_EEDaS1P_S1Q_EUlS1P_E_NS1_11comp_targetILNS1_3genE10ELNS1_11target_archE1200ELNS1_3gpuE4ELNS1_3repE0EEENS1_30default_config_static_selectorELNS0_4arch9wavefront6targetE0EEEvS12_.private_seg_size, 0
	.set _ZN7rocprim17ROCPRIM_400000_NS6detail17trampoline_kernelINS0_13select_configILj256ELj13ELNS0_17block_load_methodE3ELS4_3ELS4_3ELNS0_20block_scan_algorithmE0ELj4294967295EEENS1_25partition_config_selectorILNS1_17partition_subalgoE4EjNS0_10empty_typeEbEEZZNS1_14partition_implILS8_4ELb0ES6_15HIP_vector_typeIjLj2EENS0_17counting_iteratorIjlEEPS9_SG_NS0_5tupleIJPjSI_NS0_16reverse_iteratorISI_EEEEENSH_IJSG_SG_SG_EEES9_SI_JZNS1_25segmented_radix_sort_implINS0_14default_configELb1EPKfPfPKlPlN2at6native12_GLOBAL__N_18offset_tEEE10hipError_tPvRmT1_PNSt15iterator_traitsIS12_E10value_typeET2_T3_PNS13_IS18_E10value_typeET4_jRbjT5_S1E_jjP12ihipStream_tbEUljE_ZNSN_ISO_Lb1ESQ_SR_ST_SU_SY_EESZ_S10_S11_S12_S16_S17_S18_S1B_S1C_jS1D_jS1E_S1E_jjS1G_bEUljE0_EEESZ_S10_S11_S18_S1C_S1E_T6_T7_T9_mT8_S1G_bDpT10_ENKUlT_T0_E_clISt17integral_constantIbLb1EES1U_EEDaS1P_S1Q_EUlS1P_E_NS1_11comp_targetILNS1_3genE10ELNS1_11target_archE1200ELNS1_3gpuE4ELNS1_3repE0EEENS1_30default_config_static_selectorELNS0_4arch9wavefront6targetE0EEEvS12_.uses_vcc, 0
	.set _ZN7rocprim17ROCPRIM_400000_NS6detail17trampoline_kernelINS0_13select_configILj256ELj13ELNS0_17block_load_methodE3ELS4_3ELS4_3ELNS0_20block_scan_algorithmE0ELj4294967295EEENS1_25partition_config_selectorILNS1_17partition_subalgoE4EjNS0_10empty_typeEbEEZZNS1_14partition_implILS8_4ELb0ES6_15HIP_vector_typeIjLj2EENS0_17counting_iteratorIjlEEPS9_SG_NS0_5tupleIJPjSI_NS0_16reverse_iteratorISI_EEEEENSH_IJSG_SG_SG_EEES9_SI_JZNS1_25segmented_radix_sort_implINS0_14default_configELb1EPKfPfPKlPlN2at6native12_GLOBAL__N_18offset_tEEE10hipError_tPvRmT1_PNSt15iterator_traitsIS12_E10value_typeET2_T3_PNS13_IS18_E10value_typeET4_jRbjT5_S1E_jjP12ihipStream_tbEUljE_ZNSN_ISO_Lb1ESQ_SR_ST_SU_SY_EESZ_S10_S11_S12_S16_S17_S18_S1B_S1C_jS1D_jS1E_S1E_jjS1G_bEUljE0_EEESZ_S10_S11_S18_S1C_S1E_T6_T7_T9_mT8_S1G_bDpT10_ENKUlT_T0_E_clISt17integral_constantIbLb1EES1U_EEDaS1P_S1Q_EUlS1P_E_NS1_11comp_targetILNS1_3genE10ELNS1_11target_archE1200ELNS1_3gpuE4ELNS1_3repE0EEENS1_30default_config_static_selectorELNS0_4arch9wavefront6targetE0EEEvS12_.uses_flat_scratch, 0
	.set _ZN7rocprim17ROCPRIM_400000_NS6detail17trampoline_kernelINS0_13select_configILj256ELj13ELNS0_17block_load_methodE3ELS4_3ELS4_3ELNS0_20block_scan_algorithmE0ELj4294967295EEENS1_25partition_config_selectorILNS1_17partition_subalgoE4EjNS0_10empty_typeEbEEZZNS1_14partition_implILS8_4ELb0ES6_15HIP_vector_typeIjLj2EENS0_17counting_iteratorIjlEEPS9_SG_NS0_5tupleIJPjSI_NS0_16reverse_iteratorISI_EEEEENSH_IJSG_SG_SG_EEES9_SI_JZNS1_25segmented_radix_sort_implINS0_14default_configELb1EPKfPfPKlPlN2at6native12_GLOBAL__N_18offset_tEEE10hipError_tPvRmT1_PNSt15iterator_traitsIS12_E10value_typeET2_T3_PNS13_IS18_E10value_typeET4_jRbjT5_S1E_jjP12ihipStream_tbEUljE_ZNSN_ISO_Lb1ESQ_SR_ST_SU_SY_EESZ_S10_S11_S12_S16_S17_S18_S1B_S1C_jS1D_jS1E_S1E_jjS1G_bEUljE0_EEESZ_S10_S11_S18_S1C_S1E_T6_T7_T9_mT8_S1G_bDpT10_ENKUlT_T0_E_clISt17integral_constantIbLb1EES1U_EEDaS1P_S1Q_EUlS1P_E_NS1_11comp_targetILNS1_3genE10ELNS1_11target_archE1200ELNS1_3gpuE4ELNS1_3repE0EEENS1_30default_config_static_selectorELNS0_4arch9wavefront6targetE0EEEvS12_.has_dyn_sized_stack, 0
	.set _ZN7rocprim17ROCPRIM_400000_NS6detail17trampoline_kernelINS0_13select_configILj256ELj13ELNS0_17block_load_methodE3ELS4_3ELS4_3ELNS0_20block_scan_algorithmE0ELj4294967295EEENS1_25partition_config_selectorILNS1_17partition_subalgoE4EjNS0_10empty_typeEbEEZZNS1_14partition_implILS8_4ELb0ES6_15HIP_vector_typeIjLj2EENS0_17counting_iteratorIjlEEPS9_SG_NS0_5tupleIJPjSI_NS0_16reverse_iteratorISI_EEEEENSH_IJSG_SG_SG_EEES9_SI_JZNS1_25segmented_radix_sort_implINS0_14default_configELb1EPKfPfPKlPlN2at6native12_GLOBAL__N_18offset_tEEE10hipError_tPvRmT1_PNSt15iterator_traitsIS12_E10value_typeET2_T3_PNS13_IS18_E10value_typeET4_jRbjT5_S1E_jjP12ihipStream_tbEUljE_ZNSN_ISO_Lb1ESQ_SR_ST_SU_SY_EESZ_S10_S11_S12_S16_S17_S18_S1B_S1C_jS1D_jS1E_S1E_jjS1G_bEUljE0_EEESZ_S10_S11_S18_S1C_S1E_T6_T7_T9_mT8_S1G_bDpT10_ENKUlT_T0_E_clISt17integral_constantIbLb1EES1U_EEDaS1P_S1Q_EUlS1P_E_NS1_11comp_targetILNS1_3genE10ELNS1_11target_archE1200ELNS1_3gpuE4ELNS1_3repE0EEENS1_30default_config_static_selectorELNS0_4arch9wavefront6targetE0EEEvS12_.has_recursion, 0
	.set _ZN7rocprim17ROCPRIM_400000_NS6detail17trampoline_kernelINS0_13select_configILj256ELj13ELNS0_17block_load_methodE3ELS4_3ELS4_3ELNS0_20block_scan_algorithmE0ELj4294967295EEENS1_25partition_config_selectorILNS1_17partition_subalgoE4EjNS0_10empty_typeEbEEZZNS1_14partition_implILS8_4ELb0ES6_15HIP_vector_typeIjLj2EENS0_17counting_iteratorIjlEEPS9_SG_NS0_5tupleIJPjSI_NS0_16reverse_iteratorISI_EEEEENSH_IJSG_SG_SG_EEES9_SI_JZNS1_25segmented_radix_sort_implINS0_14default_configELb1EPKfPfPKlPlN2at6native12_GLOBAL__N_18offset_tEEE10hipError_tPvRmT1_PNSt15iterator_traitsIS12_E10value_typeET2_T3_PNS13_IS18_E10value_typeET4_jRbjT5_S1E_jjP12ihipStream_tbEUljE_ZNSN_ISO_Lb1ESQ_SR_ST_SU_SY_EESZ_S10_S11_S12_S16_S17_S18_S1B_S1C_jS1D_jS1E_S1E_jjS1G_bEUljE0_EEESZ_S10_S11_S18_S1C_S1E_T6_T7_T9_mT8_S1G_bDpT10_ENKUlT_T0_E_clISt17integral_constantIbLb1EES1U_EEDaS1P_S1Q_EUlS1P_E_NS1_11comp_targetILNS1_3genE10ELNS1_11target_archE1200ELNS1_3gpuE4ELNS1_3repE0EEENS1_30default_config_static_selectorELNS0_4arch9wavefront6targetE0EEEvS12_.has_indirect_call, 0
	.section	.AMDGPU.csdata,"",@progbits
; Kernel info:
; codeLenInByte = 4
; TotalNumSgprs: 0
; NumVgprs: 0
; ScratchSize: 0
; MemoryBound: 0
; FloatMode: 240
; IeeeMode: 1
; LDSByteSize: 0 bytes/workgroup (compile time only)
; SGPRBlocks: 0
; VGPRBlocks: 0
; NumSGPRsForWavesPerEU: 1
; NumVGPRsForWavesPerEU: 1
; Occupancy: 16
; WaveLimiterHint : 0
; COMPUTE_PGM_RSRC2:SCRATCH_EN: 0
; COMPUTE_PGM_RSRC2:USER_SGPR: 2
; COMPUTE_PGM_RSRC2:TRAP_HANDLER: 0
; COMPUTE_PGM_RSRC2:TGID_X_EN: 1
; COMPUTE_PGM_RSRC2:TGID_Y_EN: 0
; COMPUTE_PGM_RSRC2:TGID_Z_EN: 0
; COMPUTE_PGM_RSRC2:TIDIG_COMP_CNT: 0
	.section	.text._ZN7rocprim17ROCPRIM_400000_NS6detail17trampoline_kernelINS0_13select_configILj256ELj13ELNS0_17block_load_methodE3ELS4_3ELS4_3ELNS0_20block_scan_algorithmE0ELj4294967295EEENS1_25partition_config_selectorILNS1_17partition_subalgoE4EjNS0_10empty_typeEbEEZZNS1_14partition_implILS8_4ELb0ES6_15HIP_vector_typeIjLj2EENS0_17counting_iteratorIjlEEPS9_SG_NS0_5tupleIJPjSI_NS0_16reverse_iteratorISI_EEEEENSH_IJSG_SG_SG_EEES9_SI_JZNS1_25segmented_radix_sort_implINS0_14default_configELb1EPKfPfPKlPlN2at6native12_GLOBAL__N_18offset_tEEE10hipError_tPvRmT1_PNSt15iterator_traitsIS12_E10value_typeET2_T3_PNS13_IS18_E10value_typeET4_jRbjT5_S1E_jjP12ihipStream_tbEUljE_ZNSN_ISO_Lb1ESQ_SR_ST_SU_SY_EESZ_S10_S11_S12_S16_S17_S18_S1B_S1C_jS1D_jS1E_S1E_jjS1G_bEUljE0_EEESZ_S10_S11_S18_S1C_S1E_T6_T7_T9_mT8_S1G_bDpT10_ENKUlT_T0_E_clISt17integral_constantIbLb1EES1U_EEDaS1P_S1Q_EUlS1P_E_NS1_11comp_targetILNS1_3genE9ELNS1_11target_archE1100ELNS1_3gpuE3ELNS1_3repE0EEENS1_30default_config_static_selectorELNS0_4arch9wavefront6targetE0EEEvS12_,"axG",@progbits,_ZN7rocprim17ROCPRIM_400000_NS6detail17trampoline_kernelINS0_13select_configILj256ELj13ELNS0_17block_load_methodE3ELS4_3ELS4_3ELNS0_20block_scan_algorithmE0ELj4294967295EEENS1_25partition_config_selectorILNS1_17partition_subalgoE4EjNS0_10empty_typeEbEEZZNS1_14partition_implILS8_4ELb0ES6_15HIP_vector_typeIjLj2EENS0_17counting_iteratorIjlEEPS9_SG_NS0_5tupleIJPjSI_NS0_16reverse_iteratorISI_EEEEENSH_IJSG_SG_SG_EEES9_SI_JZNS1_25segmented_radix_sort_implINS0_14default_configELb1EPKfPfPKlPlN2at6native12_GLOBAL__N_18offset_tEEE10hipError_tPvRmT1_PNSt15iterator_traitsIS12_E10value_typeET2_T3_PNS13_IS18_E10value_typeET4_jRbjT5_S1E_jjP12ihipStream_tbEUljE_ZNSN_ISO_Lb1ESQ_SR_ST_SU_SY_EESZ_S10_S11_S12_S16_S17_S18_S1B_S1C_jS1D_jS1E_S1E_jjS1G_bEUljE0_EEESZ_S10_S11_S18_S1C_S1E_T6_T7_T9_mT8_S1G_bDpT10_ENKUlT_T0_E_clISt17integral_constantIbLb1EES1U_EEDaS1P_S1Q_EUlS1P_E_NS1_11comp_targetILNS1_3genE9ELNS1_11target_archE1100ELNS1_3gpuE3ELNS1_3repE0EEENS1_30default_config_static_selectorELNS0_4arch9wavefront6targetE0EEEvS12_,comdat
	.globl	_ZN7rocprim17ROCPRIM_400000_NS6detail17trampoline_kernelINS0_13select_configILj256ELj13ELNS0_17block_load_methodE3ELS4_3ELS4_3ELNS0_20block_scan_algorithmE0ELj4294967295EEENS1_25partition_config_selectorILNS1_17partition_subalgoE4EjNS0_10empty_typeEbEEZZNS1_14partition_implILS8_4ELb0ES6_15HIP_vector_typeIjLj2EENS0_17counting_iteratorIjlEEPS9_SG_NS0_5tupleIJPjSI_NS0_16reverse_iteratorISI_EEEEENSH_IJSG_SG_SG_EEES9_SI_JZNS1_25segmented_radix_sort_implINS0_14default_configELb1EPKfPfPKlPlN2at6native12_GLOBAL__N_18offset_tEEE10hipError_tPvRmT1_PNSt15iterator_traitsIS12_E10value_typeET2_T3_PNS13_IS18_E10value_typeET4_jRbjT5_S1E_jjP12ihipStream_tbEUljE_ZNSN_ISO_Lb1ESQ_SR_ST_SU_SY_EESZ_S10_S11_S12_S16_S17_S18_S1B_S1C_jS1D_jS1E_S1E_jjS1G_bEUljE0_EEESZ_S10_S11_S18_S1C_S1E_T6_T7_T9_mT8_S1G_bDpT10_ENKUlT_T0_E_clISt17integral_constantIbLb1EES1U_EEDaS1P_S1Q_EUlS1P_E_NS1_11comp_targetILNS1_3genE9ELNS1_11target_archE1100ELNS1_3gpuE3ELNS1_3repE0EEENS1_30default_config_static_selectorELNS0_4arch9wavefront6targetE0EEEvS12_ ; -- Begin function _ZN7rocprim17ROCPRIM_400000_NS6detail17trampoline_kernelINS0_13select_configILj256ELj13ELNS0_17block_load_methodE3ELS4_3ELS4_3ELNS0_20block_scan_algorithmE0ELj4294967295EEENS1_25partition_config_selectorILNS1_17partition_subalgoE4EjNS0_10empty_typeEbEEZZNS1_14partition_implILS8_4ELb0ES6_15HIP_vector_typeIjLj2EENS0_17counting_iteratorIjlEEPS9_SG_NS0_5tupleIJPjSI_NS0_16reverse_iteratorISI_EEEEENSH_IJSG_SG_SG_EEES9_SI_JZNS1_25segmented_radix_sort_implINS0_14default_configELb1EPKfPfPKlPlN2at6native12_GLOBAL__N_18offset_tEEE10hipError_tPvRmT1_PNSt15iterator_traitsIS12_E10value_typeET2_T3_PNS13_IS18_E10value_typeET4_jRbjT5_S1E_jjP12ihipStream_tbEUljE_ZNSN_ISO_Lb1ESQ_SR_ST_SU_SY_EESZ_S10_S11_S12_S16_S17_S18_S1B_S1C_jS1D_jS1E_S1E_jjS1G_bEUljE0_EEESZ_S10_S11_S18_S1C_S1E_T6_T7_T9_mT8_S1G_bDpT10_ENKUlT_T0_E_clISt17integral_constantIbLb1EES1U_EEDaS1P_S1Q_EUlS1P_E_NS1_11comp_targetILNS1_3genE9ELNS1_11target_archE1100ELNS1_3gpuE3ELNS1_3repE0EEENS1_30default_config_static_selectorELNS0_4arch9wavefront6targetE0EEEvS12_
	.p2align	8
	.type	_ZN7rocprim17ROCPRIM_400000_NS6detail17trampoline_kernelINS0_13select_configILj256ELj13ELNS0_17block_load_methodE3ELS4_3ELS4_3ELNS0_20block_scan_algorithmE0ELj4294967295EEENS1_25partition_config_selectorILNS1_17partition_subalgoE4EjNS0_10empty_typeEbEEZZNS1_14partition_implILS8_4ELb0ES6_15HIP_vector_typeIjLj2EENS0_17counting_iteratorIjlEEPS9_SG_NS0_5tupleIJPjSI_NS0_16reverse_iteratorISI_EEEEENSH_IJSG_SG_SG_EEES9_SI_JZNS1_25segmented_radix_sort_implINS0_14default_configELb1EPKfPfPKlPlN2at6native12_GLOBAL__N_18offset_tEEE10hipError_tPvRmT1_PNSt15iterator_traitsIS12_E10value_typeET2_T3_PNS13_IS18_E10value_typeET4_jRbjT5_S1E_jjP12ihipStream_tbEUljE_ZNSN_ISO_Lb1ESQ_SR_ST_SU_SY_EESZ_S10_S11_S12_S16_S17_S18_S1B_S1C_jS1D_jS1E_S1E_jjS1G_bEUljE0_EEESZ_S10_S11_S18_S1C_S1E_T6_T7_T9_mT8_S1G_bDpT10_ENKUlT_T0_E_clISt17integral_constantIbLb1EES1U_EEDaS1P_S1Q_EUlS1P_E_NS1_11comp_targetILNS1_3genE9ELNS1_11target_archE1100ELNS1_3gpuE3ELNS1_3repE0EEENS1_30default_config_static_selectorELNS0_4arch9wavefront6targetE0EEEvS12_,@function
_ZN7rocprim17ROCPRIM_400000_NS6detail17trampoline_kernelINS0_13select_configILj256ELj13ELNS0_17block_load_methodE3ELS4_3ELS4_3ELNS0_20block_scan_algorithmE0ELj4294967295EEENS1_25partition_config_selectorILNS1_17partition_subalgoE4EjNS0_10empty_typeEbEEZZNS1_14partition_implILS8_4ELb0ES6_15HIP_vector_typeIjLj2EENS0_17counting_iteratorIjlEEPS9_SG_NS0_5tupleIJPjSI_NS0_16reverse_iteratorISI_EEEEENSH_IJSG_SG_SG_EEES9_SI_JZNS1_25segmented_radix_sort_implINS0_14default_configELb1EPKfPfPKlPlN2at6native12_GLOBAL__N_18offset_tEEE10hipError_tPvRmT1_PNSt15iterator_traitsIS12_E10value_typeET2_T3_PNS13_IS18_E10value_typeET4_jRbjT5_S1E_jjP12ihipStream_tbEUljE_ZNSN_ISO_Lb1ESQ_SR_ST_SU_SY_EESZ_S10_S11_S12_S16_S17_S18_S1B_S1C_jS1D_jS1E_S1E_jjS1G_bEUljE0_EEESZ_S10_S11_S18_S1C_S1E_T6_T7_T9_mT8_S1G_bDpT10_ENKUlT_T0_E_clISt17integral_constantIbLb1EES1U_EEDaS1P_S1Q_EUlS1P_E_NS1_11comp_targetILNS1_3genE9ELNS1_11target_archE1100ELNS1_3gpuE3ELNS1_3repE0EEENS1_30default_config_static_selectorELNS0_4arch9wavefront6targetE0EEEvS12_: ; @_ZN7rocprim17ROCPRIM_400000_NS6detail17trampoline_kernelINS0_13select_configILj256ELj13ELNS0_17block_load_methodE3ELS4_3ELS4_3ELNS0_20block_scan_algorithmE0ELj4294967295EEENS1_25partition_config_selectorILNS1_17partition_subalgoE4EjNS0_10empty_typeEbEEZZNS1_14partition_implILS8_4ELb0ES6_15HIP_vector_typeIjLj2EENS0_17counting_iteratorIjlEEPS9_SG_NS0_5tupleIJPjSI_NS0_16reverse_iteratorISI_EEEEENSH_IJSG_SG_SG_EEES9_SI_JZNS1_25segmented_radix_sort_implINS0_14default_configELb1EPKfPfPKlPlN2at6native12_GLOBAL__N_18offset_tEEE10hipError_tPvRmT1_PNSt15iterator_traitsIS12_E10value_typeET2_T3_PNS13_IS18_E10value_typeET4_jRbjT5_S1E_jjP12ihipStream_tbEUljE_ZNSN_ISO_Lb1ESQ_SR_ST_SU_SY_EESZ_S10_S11_S12_S16_S17_S18_S1B_S1C_jS1D_jS1E_S1E_jjS1G_bEUljE0_EEESZ_S10_S11_S18_S1C_S1E_T6_T7_T9_mT8_S1G_bDpT10_ENKUlT_T0_E_clISt17integral_constantIbLb1EES1U_EEDaS1P_S1Q_EUlS1P_E_NS1_11comp_targetILNS1_3genE9ELNS1_11target_archE1100ELNS1_3gpuE3ELNS1_3repE0EEENS1_30default_config_static_selectorELNS0_4arch9wavefront6targetE0EEEvS12_
; %bb.0:
	.section	.rodata,"a",@progbits
	.p2align	6, 0x0
	.amdhsa_kernel _ZN7rocprim17ROCPRIM_400000_NS6detail17trampoline_kernelINS0_13select_configILj256ELj13ELNS0_17block_load_methodE3ELS4_3ELS4_3ELNS0_20block_scan_algorithmE0ELj4294967295EEENS1_25partition_config_selectorILNS1_17partition_subalgoE4EjNS0_10empty_typeEbEEZZNS1_14partition_implILS8_4ELb0ES6_15HIP_vector_typeIjLj2EENS0_17counting_iteratorIjlEEPS9_SG_NS0_5tupleIJPjSI_NS0_16reverse_iteratorISI_EEEEENSH_IJSG_SG_SG_EEES9_SI_JZNS1_25segmented_radix_sort_implINS0_14default_configELb1EPKfPfPKlPlN2at6native12_GLOBAL__N_18offset_tEEE10hipError_tPvRmT1_PNSt15iterator_traitsIS12_E10value_typeET2_T3_PNS13_IS18_E10value_typeET4_jRbjT5_S1E_jjP12ihipStream_tbEUljE_ZNSN_ISO_Lb1ESQ_SR_ST_SU_SY_EESZ_S10_S11_S12_S16_S17_S18_S1B_S1C_jS1D_jS1E_S1E_jjS1G_bEUljE0_EEESZ_S10_S11_S18_S1C_S1E_T6_T7_T9_mT8_S1G_bDpT10_ENKUlT_T0_E_clISt17integral_constantIbLb1EES1U_EEDaS1P_S1Q_EUlS1P_E_NS1_11comp_targetILNS1_3genE9ELNS1_11target_archE1100ELNS1_3gpuE3ELNS1_3repE0EEENS1_30default_config_static_selectorELNS0_4arch9wavefront6targetE0EEEvS12_
		.amdhsa_group_segment_fixed_size 0
		.amdhsa_private_segment_fixed_size 0
		.amdhsa_kernarg_size 184
		.amdhsa_user_sgpr_count 2
		.amdhsa_user_sgpr_dispatch_ptr 0
		.amdhsa_user_sgpr_queue_ptr 0
		.amdhsa_user_sgpr_kernarg_segment_ptr 1
		.amdhsa_user_sgpr_dispatch_id 0
		.amdhsa_user_sgpr_private_segment_size 0
		.amdhsa_wavefront_size32 1
		.amdhsa_uses_dynamic_stack 0
		.amdhsa_enable_private_segment 0
		.amdhsa_system_sgpr_workgroup_id_x 1
		.amdhsa_system_sgpr_workgroup_id_y 0
		.amdhsa_system_sgpr_workgroup_id_z 0
		.amdhsa_system_sgpr_workgroup_info 0
		.amdhsa_system_vgpr_workitem_id 0
		.amdhsa_next_free_vgpr 1
		.amdhsa_next_free_sgpr 1
		.amdhsa_reserve_vcc 0
		.amdhsa_float_round_mode_32 0
		.amdhsa_float_round_mode_16_64 0
		.amdhsa_float_denorm_mode_32 3
		.amdhsa_float_denorm_mode_16_64 3
		.amdhsa_fp16_overflow 0
		.amdhsa_workgroup_processor_mode 1
		.amdhsa_memory_ordered 1
		.amdhsa_forward_progress 1
		.amdhsa_inst_pref_size 0
		.amdhsa_round_robin_scheduling 0
		.amdhsa_exception_fp_ieee_invalid_op 0
		.amdhsa_exception_fp_denorm_src 0
		.amdhsa_exception_fp_ieee_div_zero 0
		.amdhsa_exception_fp_ieee_overflow 0
		.amdhsa_exception_fp_ieee_underflow 0
		.amdhsa_exception_fp_ieee_inexact 0
		.amdhsa_exception_int_div_zero 0
	.end_amdhsa_kernel
	.section	.text._ZN7rocprim17ROCPRIM_400000_NS6detail17trampoline_kernelINS0_13select_configILj256ELj13ELNS0_17block_load_methodE3ELS4_3ELS4_3ELNS0_20block_scan_algorithmE0ELj4294967295EEENS1_25partition_config_selectorILNS1_17partition_subalgoE4EjNS0_10empty_typeEbEEZZNS1_14partition_implILS8_4ELb0ES6_15HIP_vector_typeIjLj2EENS0_17counting_iteratorIjlEEPS9_SG_NS0_5tupleIJPjSI_NS0_16reverse_iteratorISI_EEEEENSH_IJSG_SG_SG_EEES9_SI_JZNS1_25segmented_radix_sort_implINS0_14default_configELb1EPKfPfPKlPlN2at6native12_GLOBAL__N_18offset_tEEE10hipError_tPvRmT1_PNSt15iterator_traitsIS12_E10value_typeET2_T3_PNS13_IS18_E10value_typeET4_jRbjT5_S1E_jjP12ihipStream_tbEUljE_ZNSN_ISO_Lb1ESQ_SR_ST_SU_SY_EESZ_S10_S11_S12_S16_S17_S18_S1B_S1C_jS1D_jS1E_S1E_jjS1G_bEUljE0_EEESZ_S10_S11_S18_S1C_S1E_T6_T7_T9_mT8_S1G_bDpT10_ENKUlT_T0_E_clISt17integral_constantIbLb1EES1U_EEDaS1P_S1Q_EUlS1P_E_NS1_11comp_targetILNS1_3genE9ELNS1_11target_archE1100ELNS1_3gpuE3ELNS1_3repE0EEENS1_30default_config_static_selectorELNS0_4arch9wavefront6targetE0EEEvS12_,"axG",@progbits,_ZN7rocprim17ROCPRIM_400000_NS6detail17trampoline_kernelINS0_13select_configILj256ELj13ELNS0_17block_load_methodE3ELS4_3ELS4_3ELNS0_20block_scan_algorithmE0ELj4294967295EEENS1_25partition_config_selectorILNS1_17partition_subalgoE4EjNS0_10empty_typeEbEEZZNS1_14partition_implILS8_4ELb0ES6_15HIP_vector_typeIjLj2EENS0_17counting_iteratorIjlEEPS9_SG_NS0_5tupleIJPjSI_NS0_16reverse_iteratorISI_EEEEENSH_IJSG_SG_SG_EEES9_SI_JZNS1_25segmented_radix_sort_implINS0_14default_configELb1EPKfPfPKlPlN2at6native12_GLOBAL__N_18offset_tEEE10hipError_tPvRmT1_PNSt15iterator_traitsIS12_E10value_typeET2_T3_PNS13_IS18_E10value_typeET4_jRbjT5_S1E_jjP12ihipStream_tbEUljE_ZNSN_ISO_Lb1ESQ_SR_ST_SU_SY_EESZ_S10_S11_S12_S16_S17_S18_S1B_S1C_jS1D_jS1E_S1E_jjS1G_bEUljE0_EEESZ_S10_S11_S18_S1C_S1E_T6_T7_T9_mT8_S1G_bDpT10_ENKUlT_T0_E_clISt17integral_constantIbLb1EES1U_EEDaS1P_S1Q_EUlS1P_E_NS1_11comp_targetILNS1_3genE9ELNS1_11target_archE1100ELNS1_3gpuE3ELNS1_3repE0EEENS1_30default_config_static_selectorELNS0_4arch9wavefront6targetE0EEEvS12_,comdat
.Lfunc_end1275:
	.size	_ZN7rocprim17ROCPRIM_400000_NS6detail17trampoline_kernelINS0_13select_configILj256ELj13ELNS0_17block_load_methodE3ELS4_3ELS4_3ELNS0_20block_scan_algorithmE0ELj4294967295EEENS1_25partition_config_selectorILNS1_17partition_subalgoE4EjNS0_10empty_typeEbEEZZNS1_14partition_implILS8_4ELb0ES6_15HIP_vector_typeIjLj2EENS0_17counting_iteratorIjlEEPS9_SG_NS0_5tupleIJPjSI_NS0_16reverse_iteratorISI_EEEEENSH_IJSG_SG_SG_EEES9_SI_JZNS1_25segmented_radix_sort_implINS0_14default_configELb1EPKfPfPKlPlN2at6native12_GLOBAL__N_18offset_tEEE10hipError_tPvRmT1_PNSt15iterator_traitsIS12_E10value_typeET2_T3_PNS13_IS18_E10value_typeET4_jRbjT5_S1E_jjP12ihipStream_tbEUljE_ZNSN_ISO_Lb1ESQ_SR_ST_SU_SY_EESZ_S10_S11_S12_S16_S17_S18_S1B_S1C_jS1D_jS1E_S1E_jjS1G_bEUljE0_EEESZ_S10_S11_S18_S1C_S1E_T6_T7_T9_mT8_S1G_bDpT10_ENKUlT_T0_E_clISt17integral_constantIbLb1EES1U_EEDaS1P_S1Q_EUlS1P_E_NS1_11comp_targetILNS1_3genE9ELNS1_11target_archE1100ELNS1_3gpuE3ELNS1_3repE0EEENS1_30default_config_static_selectorELNS0_4arch9wavefront6targetE0EEEvS12_, .Lfunc_end1275-_ZN7rocprim17ROCPRIM_400000_NS6detail17trampoline_kernelINS0_13select_configILj256ELj13ELNS0_17block_load_methodE3ELS4_3ELS4_3ELNS0_20block_scan_algorithmE0ELj4294967295EEENS1_25partition_config_selectorILNS1_17partition_subalgoE4EjNS0_10empty_typeEbEEZZNS1_14partition_implILS8_4ELb0ES6_15HIP_vector_typeIjLj2EENS0_17counting_iteratorIjlEEPS9_SG_NS0_5tupleIJPjSI_NS0_16reverse_iteratorISI_EEEEENSH_IJSG_SG_SG_EEES9_SI_JZNS1_25segmented_radix_sort_implINS0_14default_configELb1EPKfPfPKlPlN2at6native12_GLOBAL__N_18offset_tEEE10hipError_tPvRmT1_PNSt15iterator_traitsIS12_E10value_typeET2_T3_PNS13_IS18_E10value_typeET4_jRbjT5_S1E_jjP12ihipStream_tbEUljE_ZNSN_ISO_Lb1ESQ_SR_ST_SU_SY_EESZ_S10_S11_S12_S16_S17_S18_S1B_S1C_jS1D_jS1E_S1E_jjS1G_bEUljE0_EEESZ_S10_S11_S18_S1C_S1E_T6_T7_T9_mT8_S1G_bDpT10_ENKUlT_T0_E_clISt17integral_constantIbLb1EES1U_EEDaS1P_S1Q_EUlS1P_E_NS1_11comp_targetILNS1_3genE9ELNS1_11target_archE1100ELNS1_3gpuE3ELNS1_3repE0EEENS1_30default_config_static_selectorELNS0_4arch9wavefront6targetE0EEEvS12_
                                        ; -- End function
	.set _ZN7rocprim17ROCPRIM_400000_NS6detail17trampoline_kernelINS0_13select_configILj256ELj13ELNS0_17block_load_methodE3ELS4_3ELS4_3ELNS0_20block_scan_algorithmE0ELj4294967295EEENS1_25partition_config_selectorILNS1_17partition_subalgoE4EjNS0_10empty_typeEbEEZZNS1_14partition_implILS8_4ELb0ES6_15HIP_vector_typeIjLj2EENS0_17counting_iteratorIjlEEPS9_SG_NS0_5tupleIJPjSI_NS0_16reverse_iteratorISI_EEEEENSH_IJSG_SG_SG_EEES9_SI_JZNS1_25segmented_radix_sort_implINS0_14default_configELb1EPKfPfPKlPlN2at6native12_GLOBAL__N_18offset_tEEE10hipError_tPvRmT1_PNSt15iterator_traitsIS12_E10value_typeET2_T3_PNS13_IS18_E10value_typeET4_jRbjT5_S1E_jjP12ihipStream_tbEUljE_ZNSN_ISO_Lb1ESQ_SR_ST_SU_SY_EESZ_S10_S11_S12_S16_S17_S18_S1B_S1C_jS1D_jS1E_S1E_jjS1G_bEUljE0_EEESZ_S10_S11_S18_S1C_S1E_T6_T7_T9_mT8_S1G_bDpT10_ENKUlT_T0_E_clISt17integral_constantIbLb1EES1U_EEDaS1P_S1Q_EUlS1P_E_NS1_11comp_targetILNS1_3genE9ELNS1_11target_archE1100ELNS1_3gpuE3ELNS1_3repE0EEENS1_30default_config_static_selectorELNS0_4arch9wavefront6targetE0EEEvS12_.num_vgpr, 0
	.set _ZN7rocprim17ROCPRIM_400000_NS6detail17trampoline_kernelINS0_13select_configILj256ELj13ELNS0_17block_load_methodE3ELS4_3ELS4_3ELNS0_20block_scan_algorithmE0ELj4294967295EEENS1_25partition_config_selectorILNS1_17partition_subalgoE4EjNS0_10empty_typeEbEEZZNS1_14partition_implILS8_4ELb0ES6_15HIP_vector_typeIjLj2EENS0_17counting_iteratorIjlEEPS9_SG_NS0_5tupleIJPjSI_NS0_16reverse_iteratorISI_EEEEENSH_IJSG_SG_SG_EEES9_SI_JZNS1_25segmented_radix_sort_implINS0_14default_configELb1EPKfPfPKlPlN2at6native12_GLOBAL__N_18offset_tEEE10hipError_tPvRmT1_PNSt15iterator_traitsIS12_E10value_typeET2_T3_PNS13_IS18_E10value_typeET4_jRbjT5_S1E_jjP12ihipStream_tbEUljE_ZNSN_ISO_Lb1ESQ_SR_ST_SU_SY_EESZ_S10_S11_S12_S16_S17_S18_S1B_S1C_jS1D_jS1E_S1E_jjS1G_bEUljE0_EEESZ_S10_S11_S18_S1C_S1E_T6_T7_T9_mT8_S1G_bDpT10_ENKUlT_T0_E_clISt17integral_constantIbLb1EES1U_EEDaS1P_S1Q_EUlS1P_E_NS1_11comp_targetILNS1_3genE9ELNS1_11target_archE1100ELNS1_3gpuE3ELNS1_3repE0EEENS1_30default_config_static_selectorELNS0_4arch9wavefront6targetE0EEEvS12_.num_agpr, 0
	.set _ZN7rocprim17ROCPRIM_400000_NS6detail17trampoline_kernelINS0_13select_configILj256ELj13ELNS0_17block_load_methodE3ELS4_3ELS4_3ELNS0_20block_scan_algorithmE0ELj4294967295EEENS1_25partition_config_selectorILNS1_17partition_subalgoE4EjNS0_10empty_typeEbEEZZNS1_14partition_implILS8_4ELb0ES6_15HIP_vector_typeIjLj2EENS0_17counting_iteratorIjlEEPS9_SG_NS0_5tupleIJPjSI_NS0_16reverse_iteratorISI_EEEEENSH_IJSG_SG_SG_EEES9_SI_JZNS1_25segmented_radix_sort_implINS0_14default_configELb1EPKfPfPKlPlN2at6native12_GLOBAL__N_18offset_tEEE10hipError_tPvRmT1_PNSt15iterator_traitsIS12_E10value_typeET2_T3_PNS13_IS18_E10value_typeET4_jRbjT5_S1E_jjP12ihipStream_tbEUljE_ZNSN_ISO_Lb1ESQ_SR_ST_SU_SY_EESZ_S10_S11_S12_S16_S17_S18_S1B_S1C_jS1D_jS1E_S1E_jjS1G_bEUljE0_EEESZ_S10_S11_S18_S1C_S1E_T6_T7_T9_mT8_S1G_bDpT10_ENKUlT_T0_E_clISt17integral_constantIbLb1EES1U_EEDaS1P_S1Q_EUlS1P_E_NS1_11comp_targetILNS1_3genE9ELNS1_11target_archE1100ELNS1_3gpuE3ELNS1_3repE0EEENS1_30default_config_static_selectorELNS0_4arch9wavefront6targetE0EEEvS12_.numbered_sgpr, 0
	.set _ZN7rocprim17ROCPRIM_400000_NS6detail17trampoline_kernelINS0_13select_configILj256ELj13ELNS0_17block_load_methodE3ELS4_3ELS4_3ELNS0_20block_scan_algorithmE0ELj4294967295EEENS1_25partition_config_selectorILNS1_17partition_subalgoE4EjNS0_10empty_typeEbEEZZNS1_14partition_implILS8_4ELb0ES6_15HIP_vector_typeIjLj2EENS0_17counting_iteratorIjlEEPS9_SG_NS0_5tupleIJPjSI_NS0_16reverse_iteratorISI_EEEEENSH_IJSG_SG_SG_EEES9_SI_JZNS1_25segmented_radix_sort_implINS0_14default_configELb1EPKfPfPKlPlN2at6native12_GLOBAL__N_18offset_tEEE10hipError_tPvRmT1_PNSt15iterator_traitsIS12_E10value_typeET2_T3_PNS13_IS18_E10value_typeET4_jRbjT5_S1E_jjP12ihipStream_tbEUljE_ZNSN_ISO_Lb1ESQ_SR_ST_SU_SY_EESZ_S10_S11_S12_S16_S17_S18_S1B_S1C_jS1D_jS1E_S1E_jjS1G_bEUljE0_EEESZ_S10_S11_S18_S1C_S1E_T6_T7_T9_mT8_S1G_bDpT10_ENKUlT_T0_E_clISt17integral_constantIbLb1EES1U_EEDaS1P_S1Q_EUlS1P_E_NS1_11comp_targetILNS1_3genE9ELNS1_11target_archE1100ELNS1_3gpuE3ELNS1_3repE0EEENS1_30default_config_static_selectorELNS0_4arch9wavefront6targetE0EEEvS12_.num_named_barrier, 0
	.set _ZN7rocprim17ROCPRIM_400000_NS6detail17trampoline_kernelINS0_13select_configILj256ELj13ELNS0_17block_load_methodE3ELS4_3ELS4_3ELNS0_20block_scan_algorithmE0ELj4294967295EEENS1_25partition_config_selectorILNS1_17partition_subalgoE4EjNS0_10empty_typeEbEEZZNS1_14partition_implILS8_4ELb0ES6_15HIP_vector_typeIjLj2EENS0_17counting_iteratorIjlEEPS9_SG_NS0_5tupleIJPjSI_NS0_16reverse_iteratorISI_EEEEENSH_IJSG_SG_SG_EEES9_SI_JZNS1_25segmented_radix_sort_implINS0_14default_configELb1EPKfPfPKlPlN2at6native12_GLOBAL__N_18offset_tEEE10hipError_tPvRmT1_PNSt15iterator_traitsIS12_E10value_typeET2_T3_PNS13_IS18_E10value_typeET4_jRbjT5_S1E_jjP12ihipStream_tbEUljE_ZNSN_ISO_Lb1ESQ_SR_ST_SU_SY_EESZ_S10_S11_S12_S16_S17_S18_S1B_S1C_jS1D_jS1E_S1E_jjS1G_bEUljE0_EEESZ_S10_S11_S18_S1C_S1E_T6_T7_T9_mT8_S1G_bDpT10_ENKUlT_T0_E_clISt17integral_constantIbLb1EES1U_EEDaS1P_S1Q_EUlS1P_E_NS1_11comp_targetILNS1_3genE9ELNS1_11target_archE1100ELNS1_3gpuE3ELNS1_3repE0EEENS1_30default_config_static_selectorELNS0_4arch9wavefront6targetE0EEEvS12_.private_seg_size, 0
	.set _ZN7rocprim17ROCPRIM_400000_NS6detail17trampoline_kernelINS0_13select_configILj256ELj13ELNS0_17block_load_methodE3ELS4_3ELS4_3ELNS0_20block_scan_algorithmE0ELj4294967295EEENS1_25partition_config_selectorILNS1_17partition_subalgoE4EjNS0_10empty_typeEbEEZZNS1_14partition_implILS8_4ELb0ES6_15HIP_vector_typeIjLj2EENS0_17counting_iteratorIjlEEPS9_SG_NS0_5tupleIJPjSI_NS0_16reverse_iteratorISI_EEEEENSH_IJSG_SG_SG_EEES9_SI_JZNS1_25segmented_radix_sort_implINS0_14default_configELb1EPKfPfPKlPlN2at6native12_GLOBAL__N_18offset_tEEE10hipError_tPvRmT1_PNSt15iterator_traitsIS12_E10value_typeET2_T3_PNS13_IS18_E10value_typeET4_jRbjT5_S1E_jjP12ihipStream_tbEUljE_ZNSN_ISO_Lb1ESQ_SR_ST_SU_SY_EESZ_S10_S11_S12_S16_S17_S18_S1B_S1C_jS1D_jS1E_S1E_jjS1G_bEUljE0_EEESZ_S10_S11_S18_S1C_S1E_T6_T7_T9_mT8_S1G_bDpT10_ENKUlT_T0_E_clISt17integral_constantIbLb1EES1U_EEDaS1P_S1Q_EUlS1P_E_NS1_11comp_targetILNS1_3genE9ELNS1_11target_archE1100ELNS1_3gpuE3ELNS1_3repE0EEENS1_30default_config_static_selectorELNS0_4arch9wavefront6targetE0EEEvS12_.uses_vcc, 0
	.set _ZN7rocprim17ROCPRIM_400000_NS6detail17trampoline_kernelINS0_13select_configILj256ELj13ELNS0_17block_load_methodE3ELS4_3ELS4_3ELNS0_20block_scan_algorithmE0ELj4294967295EEENS1_25partition_config_selectorILNS1_17partition_subalgoE4EjNS0_10empty_typeEbEEZZNS1_14partition_implILS8_4ELb0ES6_15HIP_vector_typeIjLj2EENS0_17counting_iteratorIjlEEPS9_SG_NS0_5tupleIJPjSI_NS0_16reverse_iteratorISI_EEEEENSH_IJSG_SG_SG_EEES9_SI_JZNS1_25segmented_radix_sort_implINS0_14default_configELb1EPKfPfPKlPlN2at6native12_GLOBAL__N_18offset_tEEE10hipError_tPvRmT1_PNSt15iterator_traitsIS12_E10value_typeET2_T3_PNS13_IS18_E10value_typeET4_jRbjT5_S1E_jjP12ihipStream_tbEUljE_ZNSN_ISO_Lb1ESQ_SR_ST_SU_SY_EESZ_S10_S11_S12_S16_S17_S18_S1B_S1C_jS1D_jS1E_S1E_jjS1G_bEUljE0_EEESZ_S10_S11_S18_S1C_S1E_T6_T7_T9_mT8_S1G_bDpT10_ENKUlT_T0_E_clISt17integral_constantIbLb1EES1U_EEDaS1P_S1Q_EUlS1P_E_NS1_11comp_targetILNS1_3genE9ELNS1_11target_archE1100ELNS1_3gpuE3ELNS1_3repE0EEENS1_30default_config_static_selectorELNS0_4arch9wavefront6targetE0EEEvS12_.uses_flat_scratch, 0
	.set _ZN7rocprim17ROCPRIM_400000_NS6detail17trampoline_kernelINS0_13select_configILj256ELj13ELNS0_17block_load_methodE3ELS4_3ELS4_3ELNS0_20block_scan_algorithmE0ELj4294967295EEENS1_25partition_config_selectorILNS1_17partition_subalgoE4EjNS0_10empty_typeEbEEZZNS1_14partition_implILS8_4ELb0ES6_15HIP_vector_typeIjLj2EENS0_17counting_iteratorIjlEEPS9_SG_NS0_5tupleIJPjSI_NS0_16reverse_iteratorISI_EEEEENSH_IJSG_SG_SG_EEES9_SI_JZNS1_25segmented_radix_sort_implINS0_14default_configELb1EPKfPfPKlPlN2at6native12_GLOBAL__N_18offset_tEEE10hipError_tPvRmT1_PNSt15iterator_traitsIS12_E10value_typeET2_T3_PNS13_IS18_E10value_typeET4_jRbjT5_S1E_jjP12ihipStream_tbEUljE_ZNSN_ISO_Lb1ESQ_SR_ST_SU_SY_EESZ_S10_S11_S12_S16_S17_S18_S1B_S1C_jS1D_jS1E_S1E_jjS1G_bEUljE0_EEESZ_S10_S11_S18_S1C_S1E_T6_T7_T9_mT8_S1G_bDpT10_ENKUlT_T0_E_clISt17integral_constantIbLb1EES1U_EEDaS1P_S1Q_EUlS1P_E_NS1_11comp_targetILNS1_3genE9ELNS1_11target_archE1100ELNS1_3gpuE3ELNS1_3repE0EEENS1_30default_config_static_selectorELNS0_4arch9wavefront6targetE0EEEvS12_.has_dyn_sized_stack, 0
	.set _ZN7rocprim17ROCPRIM_400000_NS6detail17trampoline_kernelINS0_13select_configILj256ELj13ELNS0_17block_load_methodE3ELS4_3ELS4_3ELNS0_20block_scan_algorithmE0ELj4294967295EEENS1_25partition_config_selectorILNS1_17partition_subalgoE4EjNS0_10empty_typeEbEEZZNS1_14partition_implILS8_4ELb0ES6_15HIP_vector_typeIjLj2EENS0_17counting_iteratorIjlEEPS9_SG_NS0_5tupleIJPjSI_NS0_16reverse_iteratorISI_EEEEENSH_IJSG_SG_SG_EEES9_SI_JZNS1_25segmented_radix_sort_implINS0_14default_configELb1EPKfPfPKlPlN2at6native12_GLOBAL__N_18offset_tEEE10hipError_tPvRmT1_PNSt15iterator_traitsIS12_E10value_typeET2_T3_PNS13_IS18_E10value_typeET4_jRbjT5_S1E_jjP12ihipStream_tbEUljE_ZNSN_ISO_Lb1ESQ_SR_ST_SU_SY_EESZ_S10_S11_S12_S16_S17_S18_S1B_S1C_jS1D_jS1E_S1E_jjS1G_bEUljE0_EEESZ_S10_S11_S18_S1C_S1E_T6_T7_T9_mT8_S1G_bDpT10_ENKUlT_T0_E_clISt17integral_constantIbLb1EES1U_EEDaS1P_S1Q_EUlS1P_E_NS1_11comp_targetILNS1_3genE9ELNS1_11target_archE1100ELNS1_3gpuE3ELNS1_3repE0EEENS1_30default_config_static_selectorELNS0_4arch9wavefront6targetE0EEEvS12_.has_recursion, 0
	.set _ZN7rocprim17ROCPRIM_400000_NS6detail17trampoline_kernelINS0_13select_configILj256ELj13ELNS0_17block_load_methodE3ELS4_3ELS4_3ELNS0_20block_scan_algorithmE0ELj4294967295EEENS1_25partition_config_selectorILNS1_17partition_subalgoE4EjNS0_10empty_typeEbEEZZNS1_14partition_implILS8_4ELb0ES6_15HIP_vector_typeIjLj2EENS0_17counting_iteratorIjlEEPS9_SG_NS0_5tupleIJPjSI_NS0_16reverse_iteratorISI_EEEEENSH_IJSG_SG_SG_EEES9_SI_JZNS1_25segmented_radix_sort_implINS0_14default_configELb1EPKfPfPKlPlN2at6native12_GLOBAL__N_18offset_tEEE10hipError_tPvRmT1_PNSt15iterator_traitsIS12_E10value_typeET2_T3_PNS13_IS18_E10value_typeET4_jRbjT5_S1E_jjP12ihipStream_tbEUljE_ZNSN_ISO_Lb1ESQ_SR_ST_SU_SY_EESZ_S10_S11_S12_S16_S17_S18_S1B_S1C_jS1D_jS1E_S1E_jjS1G_bEUljE0_EEESZ_S10_S11_S18_S1C_S1E_T6_T7_T9_mT8_S1G_bDpT10_ENKUlT_T0_E_clISt17integral_constantIbLb1EES1U_EEDaS1P_S1Q_EUlS1P_E_NS1_11comp_targetILNS1_3genE9ELNS1_11target_archE1100ELNS1_3gpuE3ELNS1_3repE0EEENS1_30default_config_static_selectorELNS0_4arch9wavefront6targetE0EEEvS12_.has_indirect_call, 0
	.section	.AMDGPU.csdata,"",@progbits
; Kernel info:
; codeLenInByte = 0
; TotalNumSgprs: 0
; NumVgprs: 0
; ScratchSize: 0
; MemoryBound: 0
; FloatMode: 240
; IeeeMode: 1
; LDSByteSize: 0 bytes/workgroup (compile time only)
; SGPRBlocks: 0
; VGPRBlocks: 0
; NumSGPRsForWavesPerEU: 1
; NumVGPRsForWavesPerEU: 1
; Occupancy: 16
; WaveLimiterHint : 0
; COMPUTE_PGM_RSRC2:SCRATCH_EN: 0
; COMPUTE_PGM_RSRC2:USER_SGPR: 2
; COMPUTE_PGM_RSRC2:TRAP_HANDLER: 0
; COMPUTE_PGM_RSRC2:TGID_X_EN: 1
; COMPUTE_PGM_RSRC2:TGID_Y_EN: 0
; COMPUTE_PGM_RSRC2:TGID_Z_EN: 0
; COMPUTE_PGM_RSRC2:TIDIG_COMP_CNT: 0
	.section	.text._ZN7rocprim17ROCPRIM_400000_NS6detail17trampoline_kernelINS0_13select_configILj256ELj13ELNS0_17block_load_methodE3ELS4_3ELS4_3ELNS0_20block_scan_algorithmE0ELj4294967295EEENS1_25partition_config_selectorILNS1_17partition_subalgoE4EjNS0_10empty_typeEbEEZZNS1_14partition_implILS8_4ELb0ES6_15HIP_vector_typeIjLj2EENS0_17counting_iteratorIjlEEPS9_SG_NS0_5tupleIJPjSI_NS0_16reverse_iteratorISI_EEEEENSH_IJSG_SG_SG_EEES9_SI_JZNS1_25segmented_radix_sort_implINS0_14default_configELb1EPKfPfPKlPlN2at6native12_GLOBAL__N_18offset_tEEE10hipError_tPvRmT1_PNSt15iterator_traitsIS12_E10value_typeET2_T3_PNS13_IS18_E10value_typeET4_jRbjT5_S1E_jjP12ihipStream_tbEUljE_ZNSN_ISO_Lb1ESQ_SR_ST_SU_SY_EESZ_S10_S11_S12_S16_S17_S18_S1B_S1C_jS1D_jS1E_S1E_jjS1G_bEUljE0_EEESZ_S10_S11_S18_S1C_S1E_T6_T7_T9_mT8_S1G_bDpT10_ENKUlT_T0_E_clISt17integral_constantIbLb1EES1U_EEDaS1P_S1Q_EUlS1P_E_NS1_11comp_targetILNS1_3genE8ELNS1_11target_archE1030ELNS1_3gpuE2ELNS1_3repE0EEENS1_30default_config_static_selectorELNS0_4arch9wavefront6targetE0EEEvS12_,"axG",@progbits,_ZN7rocprim17ROCPRIM_400000_NS6detail17trampoline_kernelINS0_13select_configILj256ELj13ELNS0_17block_load_methodE3ELS4_3ELS4_3ELNS0_20block_scan_algorithmE0ELj4294967295EEENS1_25partition_config_selectorILNS1_17partition_subalgoE4EjNS0_10empty_typeEbEEZZNS1_14partition_implILS8_4ELb0ES6_15HIP_vector_typeIjLj2EENS0_17counting_iteratorIjlEEPS9_SG_NS0_5tupleIJPjSI_NS0_16reverse_iteratorISI_EEEEENSH_IJSG_SG_SG_EEES9_SI_JZNS1_25segmented_radix_sort_implINS0_14default_configELb1EPKfPfPKlPlN2at6native12_GLOBAL__N_18offset_tEEE10hipError_tPvRmT1_PNSt15iterator_traitsIS12_E10value_typeET2_T3_PNS13_IS18_E10value_typeET4_jRbjT5_S1E_jjP12ihipStream_tbEUljE_ZNSN_ISO_Lb1ESQ_SR_ST_SU_SY_EESZ_S10_S11_S12_S16_S17_S18_S1B_S1C_jS1D_jS1E_S1E_jjS1G_bEUljE0_EEESZ_S10_S11_S18_S1C_S1E_T6_T7_T9_mT8_S1G_bDpT10_ENKUlT_T0_E_clISt17integral_constantIbLb1EES1U_EEDaS1P_S1Q_EUlS1P_E_NS1_11comp_targetILNS1_3genE8ELNS1_11target_archE1030ELNS1_3gpuE2ELNS1_3repE0EEENS1_30default_config_static_selectorELNS0_4arch9wavefront6targetE0EEEvS12_,comdat
	.globl	_ZN7rocprim17ROCPRIM_400000_NS6detail17trampoline_kernelINS0_13select_configILj256ELj13ELNS0_17block_load_methodE3ELS4_3ELS4_3ELNS0_20block_scan_algorithmE0ELj4294967295EEENS1_25partition_config_selectorILNS1_17partition_subalgoE4EjNS0_10empty_typeEbEEZZNS1_14partition_implILS8_4ELb0ES6_15HIP_vector_typeIjLj2EENS0_17counting_iteratorIjlEEPS9_SG_NS0_5tupleIJPjSI_NS0_16reverse_iteratorISI_EEEEENSH_IJSG_SG_SG_EEES9_SI_JZNS1_25segmented_radix_sort_implINS0_14default_configELb1EPKfPfPKlPlN2at6native12_GLOBAL__N_18offset_tEEE10hipError_tPvRmT1_PNSt15iterator_traitsIS12_E10value_typeET2_T3_PNS13_IS18_E10value_typeET4_jRbjT5_S1E_jjP12ihipStream_tbEUljE_ZNSN_ISO_Lb1ESQ_SR_ST_SU_SY_EESZ_S10_S11_S12_S16_S17_S18_S1B_S1C_jS1D_jS1E_S1E_jjS1G_bEUljE0_EEESZ_S10_S11_S18_S1C_S1E_T6_T7_T9_mT8_S1G_bDpT10_ENKUlT_T0_E_clISt17integral_constantIbLb1EES1U_EEDaS1P_S1Q_EUlS1P_E_NS1_11comp_targetILNS1_3genE8ELNS1_11target_archE1030ELNS1_3gpuE2ELNS1_3repE0EEENS1_30default_config_static_selectorELNS0_4arch9wavefront6targetE0EEEvS12_ ; -- Begin function _ZN7rocprim17ROCPRIM_400000_NS6detail17trampoline_kernelINS0_13select_configILj256ELj13ELNS0_17block_load_methodE3ELS4_3ELS4_3ELNS0_20block_scan_algorithmE0ELj4294967295EEENS1_25partition_config_selectorILNS1_17partition_subalgoE4EjNS0_10empty_typeEbEEZZNS1_14partition_implILS8_4ELb0ES6_15HIP_vector_typeIjLj2EENS0_17counting_iteratorIjlEEPS9_SG_NS0_5tupleIJPjSI_NS0_16reverse_iteratorISI_EEEEENSH_IJSG_SG_SG_EEES9_SI_JZNS1_25segmented_radix_sort_implINS0_14default_configELb1EPKfPfPKlPlN2at6native12_GLOBAL__N_18offset_tEEE10hipError_tPvRmT1_PNSt15iterator_traitsIS12_E10value_typeET2_T3_PNS13_IS18_E10value_typeET4_jRbjT5_S1E_jjP12ihipStream_tbEUljE_ZNSN_ISO_Lb1ESQ_SR_ST_SU_SY_EESZ_S10_S11_S12_S16_S17_S18_S1B_S1C_jS1D_jS1E_S1E_jjS1G_bEUljE0_EEESZ_S10_S11_S18_S1C_S1E_T6_T7_T9_mT8_S1G_bDpT10_ENKUlT_T0_E_clISt17integral_constantIbLb1EES1U_EEDaS1P_S1Q_EUlS1P_E_NS1_11comp_targetILNS1_3genE8ELNS1_11target_archE1030ELNS1_3gpuE2ELNS1_3repE0EEENS1_30default_config_static_selectorELNS0_4arch9wavefront6targetE0EEEvS12_
	.p2align	8
	.type	_ZN7rocprim17ROCPRIM_400000_NS6detail17trampoline_kernelINS0_13select_configILj256ELj13ELNS0_17block_load_methodE3ELS4_3ELS4_3ELNS0_20block_scan_algorithmE0ELj4294967295EEENS1_25partition_config_selectorILNS1_17partition_subalgoE4EjNS0_10empty_typeEbEEZZNS1_14partition_implILS8_4ELb0ES6_15HIP_vector_typeIjLj2EENS0_17counting_iteratorIjlEEPS9_SG_NS0_5tupleIJPjSI_NS0_16reverse_iteratorISI_EEEEENSH_IJSG_SG_SG_EEES9_SI_JZNS1_25segmented_radix_sort_implINS0_14default_configELb1EPKfPfPKlPlN2at6native12_GLOBAL__N_18offset_tEEE10hipError_tPvRmT1_PNSt15iterator_traitsIS12_E10value_typeET2_T3_PNS13_IS18_E10value_typeET4_jRbjT5_S1E_jjP12ihipStream_tbEUljE_ZNSN_ISO_Lb1ESQ_SR_ST_SU_SY_EESZ_S10_S11_S12_S16_S17_S18_S1B_S1C_jS1D_jS1E_S1E_jjS1G_bEUljE0_EEESZ_S10_S11_S18_S1C_S1E_T6_T7_T9_mT8_S1G_bDpT10_ENKUlT_T0_E_clISt17integral_constantIbLb1EES1U_EEDaS1P_S1Q_EUlS1P_E_NS1_11comp_targetILNS1_3genE8ELNS1_11target_archE1030ELNS1_3gpuE2ELNS1_3repE0EEENS1_30default_config_static_selectorELNS0_4arch9wavefront6targetE0EEEvS12_,@function
_ZN7rocprim17ROCPRIM_400000_NS6detail17trampoline_kernelINS0_13select_configILj256ELj13ELNS0_17block_load_methodE3ELS4_3ELS4_3ELNS0_20block_scan_algorithmE0ELj4294967295EEENS1_25partition_config_selectorILNS1_17partition_subalgoE4EjNS0_10empty_typeEbEEZZNS1_14partition_implILS8_4ELb0ES6_15HIP_vector_typeIjLj2EENS0_17counting_iteratorIjlEEPS9_SG_NS0_5tupleIJPjSI_NS0_16reverse_iteratorISI_EEEEENSH_IJSG_SG_SG_EEES9_SI_JZNS1_25segmented_radix_sort_implINS0_14default_configELb1EPKfPfPKlPlN2at6native12_GLOBAL__N_18offset_tEEE10hipError_tPvRmT1_PNSt15iterator_traitsIS12_E10value_typeET2_T3_PNS13_IS18_E10value_typeET4_jRbjT5_S1E_jjP12ihipStream_tbEUljE_ZNSN_ISO_Lb1ESQ_SR_ST_SU_SY_EESZ_S10_S11_S12_S16_S17_S18_S1B_S1C_jS1D_jS1E_S1E_jjS1G_bEUljE0_EEESZ_S10_S11_S18_S1C_S1E_T6_T7_T9_mT8_S1G_bDpT10_ENKUlT_T0_E_clISt17integral_constantIbLb1EES1U_EEDaS1P_S1Q_EUlS1P_E_NS1_11comp_targetILNS1_3genE8ELNS1_11target_archE1030ELNS1_3gpuE2ELNS1_3repE0EEENS1_30default_config_static_selectorELNS0_4arch9wavefront6targetE0EEEvS12_: ; @_ZN7rocprim17ROCPRIM_400000_NS6detail17trampoline_kernelINS0_13select_configILj256ELj13ELNS0_17block_load_methodE3ELS4_3ELS4_3ELNS0_20block_scan_algorithmE0ELj4294967295EEENS1_25partition_config_selectorILNS1_17partition_subalgoE4EjNS0_10empty_typeEbEEZZNS1_14partition_implILS8_4ELb0ES6_15HIP_vector_typeIjLj2EENS0_17counting_iteratorIjlEEPS9_SG_NS0_5tupleIJPjSI_NS0_16reverse_iteratorISI_EEEEENSH_IJSG_SG_SG_EEES9_SI_JZNS1_25segmented_radix_sort_implINS0_14default_configELb1EPKfPfPKlPlN2at6native12_GLOBAL__N_18offset_tEEE10hipError_tPvRmT1_PNSt15iterator_traitsIS12_E10value_typeET2_T3_PNS13_IS18_E10value_typeET4_jRbjT5_S1E_jjP12ihipStream_tbEUljE_ZNSN_ISO_Lb1ESQ_SR_ST_SU_SY_EESZ_S10_S11_S12_S16_S17_S18_S1B_S1C_jS1D_jS1E_S1E_jjS1G_bEUljE0_EEESZ_S10_S11_S18_S1C_S1E_T6_T7_T9_mT8_S1G_bDpT10_ENKUlT_T0_E_clISt17integral_constantIbLb1EES1U_EEDaS1P_S1Q_EUlS1P_E_NS1_11comp_targetILNS1_3genE8ELNS1_11target_archE1030ELNS1_3gpuE2ELNS1_3repE0EEENS1_30default_config_static_selectorELNS0_4arch9wavefront6targetE0EEEvS12_
; %bb.0:
	.section	.rodata,"a",@progbits
	.p2align	6, 0x0
	.amdhsa_kernel _ZN7rocprim17ROCPRIM_400000_NS6detail17trampoline_kernelINS0_13select_configILj256ELj13ELNS0_17block_load_methodE3ELS4_3ELS4_3ELNS0_20block_scan_algorithmE0ELj4294967295EEENS1_25partition_config_selectorILNS1_17partition_subalgoE4EjNS0_10empty_typeEbEEZZNS1_14partition_implILS8_4ELb0ES6_15HIP_vector_typeIjLj2EENS0_17counting_iteratorIjlEEPS9_SG_NS0_5tupleIJPjSI_NS0_16reverse_iteratorISI_EEEEENSH_IJSG_SG_SG_EEES9_SI_JZNS1_25segmented_radix_sort_implINS0_14default_configELb1EPKfPfPKlPlN2at6native12_GLOBAL__N_18offset_tEEE10hipError_tPvRmT1_PNSt15iterator_traitsIS12_E10value_typeET2_T3_PNS13_IS18_E10value_typeET4_jRbjT5_S1E_jjP12ihipStream_tbEUljE_ZNSN_ISO_Lb1ESQ_SR_ST_SU_SY_EESZ_S10_S11_S12_S16_S17_S18_S1B_S1C_jS1D_jS1E_S1E_jjS1G_bEUljE0_EEESZ_S10_S11_S18_S1C_S1E_T6_T7_T9_mT8_S1G_bDpT10_ENKUlT_T0_E_clISt17integral_constantIbLb1EES1U_EEDaS1P_S1Q_EUlS1P_E_NS1_11comp_targetILNS1_3genE8ELNS1_11target_archE1030ELNS1_3gpuE2ELNS1_3repE0EEENS1_30default_config_static_selectorELNS0_4arch9wavefront6targetE0EEEvS12_
		.amdhsa_group_segment_fixed_size 0
		.amdhsa_private_segment_fixed_size 0
		.amdhsa_kernarg_size 184
		.amdhsa_user_sgpr_count 2
		.amdhsa_user_sgpr_dispatch_ptr 0
		.amdhsa_user_sgpr_queue_ptr 0
		.amdhsa_user_sgpr_kernarg_segment_ptr 1
		.amdhsa_user_sgpr_dispatch_id 0
		.amdhsa_user_sgpr_private_segment_size 0
		.amdhsa_wavefront_size32 1
		.amdhsa_uses_dynamic_stack 0
		.amdhsa_enable_private_segment 0
		.amdhsa_system_sgpr_workgroup_id_x 1
		.amdhsa_system_sgpr_workgroup_id_y 0
		.amdhsa_system_sgpr_workgroup_id_z 0
		.amdhsa_system_sgpr_workgroup_info 0
		.amdhsa_system_vgpr_workitem_id 0
		.amdhsa_next_free_vgpr 1
		.amdhsa_next_free_sgpr 1
		.amdhsa_reserve_vcc 0
		.amdhsa_float_round_mode_32 0
		.amdhsa_float_round_mode_16_64 0
		.amdhsa_float_denorm_mode_32 3
		.amdhsa_float_denorm_mode_16_64 3
		.amdhsa_fp16_overflow 0
		.amdhsa_workgroup_processor_mode 1
		.amdhsa_memory_ordered 1
		.amdhsa_forward_progress 1
		.amdhsa_inst_pref_size 0
		.amdhsa_round_robin_scheduling 0
		.amdhsa_exception_fp_ieee_invalid_op 0
		.amdhsa_exception_fp_denorm_src 0
		.amdhsa_exception_fp_ieee_div_zero 0
		.amdhsa_exception_fp_ieee_overflow 0
		.amdhsa_exception_fp_ieee_underflow 0
		.amdhsa_exception_fp_ieee_inexact 0
		.amdhsa_exception_int_div_zero 0
	.end_amdhsa_kernel
	.section	.text._ZN7rocprim17ROCPRIM_400000_NS6detail17trampoline_kernelINS0_13select_configILj256ELj13ELNS0_17block_load_methodE3ELS4_3ELS4_3ELNS0_20block_scan_algorithmE0ELj4294967295EEENS1_25partition_config_selectorILNS1_17partition_subalgoE4EjNS0_10empty_typeEbEEZZNS1_14partition_implILS8_4ELb0ES6_15HIP_vector_typeIjLj2EENS0_17counting_iteratorIjlEEPS9_SG_NS0_5tupleIJPjSI_NS0_16reverse_iteratorISI_EEEEENSH_IJSG_SG_SG_EEES9_SI_JZNS1_25segmented_radix_sort_implINS0_14default_configELb1EPKfPfPKlPlN2at6native12_GLOBAL__N_18offset_tEEE10hipError_tPvRmT1_PNSt15iterator_traitsIS12_E10value_typeET2_T3_PNS13_IS18_E10value_typeET4_jRbjT5_S1E_jjP12ihipStream_tbEUljE_ZNSN_ISO_Lb1ESQ_SR_ST_SU_SY_EESZ_S10_S11_S12_S16_S17_S18_S1B_S1C_jS1D_jS1E_S1E_jjS1G_bEUljE0_EEESZ_S10_S11_S18_S1C_S1E_T6_T7_T9_mT8_S1G_bDpT10_ENKUlT_T0_E_clISt17integral_constantIbLb1EES1U_EEDaS1P_S1Q_EUlS1P_E_NS1_11comp_targetILNS1_3genE8ELNS1_11target_archE1030ELNS1_3gpuE2ELNS1_3repE0EEENS1_30default_config_static_selectorELNS0_4arch9wavefront6targetE0EEEvS12_,"axG",@progbits,_ZN7rocprim17ROCPRIM_400000_NS6detail17trampoline_kernelINS0_13select_configILj256ELj13ELNS0_17block_load_methodE3ELS4_3ELS4_3ELNS0_20block_scan_algorithmE0ELj4294967295EEENS1_25partition_config_selectorILNS1_17partition_subalgoE4EjNS0_10empty_typeEbEEZZNS1_14partition_implILS8_4ELb0ES6_15HIP_vector_typeIjLj2EENS0_17counting_iteratorIjlEEPS9_SG_NS0_5tupleIJPjSI_NS0_16reverse_iteratorISI_EEEEENSH_IJSG_SG_SG_EEES9_SI_JZNS1_25segmented_radix_sort_implINS0_14default_configELb1EPKfPfPKlPlN2at6native12_GLOBAL__N_18offset_tEEE10hipError_tPvRmT1_PNSt15iterator_traitsIS12_E10value_typeET2_T3_PNS13_IS18_E10value_typeET4_jRbjT5_S1E_jjP12ihipStream_tbEUljE_ZNSN_ISO_Lb1ESQ_SR_ST_SU_SY_EESZ_S10_S11_S12_S16_S17_S18_S1B_S1C_jS1D_jS1E_S1E_jjS1G_bEUljE0_EEESZ_S10_S11_S18_S1C_S1E_T6_T7_T9_mT8_S1G_bDpT10_ENKUlT_T0_E_clISt17integral_constantIbLb1EES1U_EEDaS1P_S1Q_EUlS1P_E_NS1_11comp_targetILNS1_3genE8ELNS1_11target_archE1030ELNS1_3gpuE2ELNS1_3repE0EEENS1_30default_config_static_selectorELNS0_4arch9wavefront6targetE0EEEvS12_,comdat
.Lfunc_end1276:
	.size	_ZN7rocprim17ROCPRIM_400000_NS6detail17trampoline_kernelINS0_13select_configILj256ELj13ELNS0_17block_load_methodE3ELS4_3ELS4_3ELNS0_20block_scan_algorithmE0ELj4294967295EEENS1_25partition_config_selectorILNS1_17partition_subalgoE4EjNS0_10empty_typeEbEEZZNS1_14partition_implILS8_4ELb0ES6_15HIP_vector_typeIjLj2EENS0_17counting_iteratorIjlEEPS9_SG_NS0_5tupleIJPjSI_NS0_16reverse_iteratorISI_EEEEENSH_IJSG_SG_SG_EEES9_SI_JZNS1_25segmented_radix_sort_implINS0_14default_configELb1EPKfPfPKlPlN2at6native12_GLOBAL__N_18offset_tEEE10hipError_tPvRmT1_PNSt15iterator_traitsIS12_E10value_typeET2_T3_PNS13_IS18_E10value_typeET4_jRbjT5_S1E_jjP12ihipStream_tbEUljE_ZNSN_ISO_Lb1ESQ_SR_ST_SU_SY_EESZ_S10_S11_S12_S16_S17_S18_S1B_S1C_jS1D_jS1E_S1E_jjS1G_bEUljE0_EEESZ_S10_S11_S18_S1C_S1E_T6_T7_T9_mT8_S1G_bDpT10_ENKUlT_T0_E_clISt17integral_constantIbLb1EES1U_EEDaS1P_S1Q_EUlS1P_E_NS1_11comp_targetILNS1_3genE8ELNS1_11target_archE1030ELNS1_3gpuE2ELNS1_3repE0EEENS1_30default_config_static_selectorELNS0_4arch9wavefront6targetE0EEEvS12_, .Lfunc_end1276-_ZN7rocprim17ROCPRIM_400000_NS6detail17trampoline_kernelINS0_13select_configILj256ELj13ELNS0_17block_load_methodE3ELS4_3ELS4_3ELNS0_20block_scan_algorithmE0ELj4294967295EEENS1_25partition_config_selectorILNS1_17partition_subalgoE4EjNS0_10empty_typeEbEEZZNS1_14partition_implILS8_4ELb0ES6_15HIP_vector_typeIjLj2EENS0_17counting_iteratorIjlEEPS9_SG_NS0_5tupleIJPjSI_NS0_16reverse_iteratorISI_EEEEENSH_IJSG_SG_SG_EEES9_SI_JZNS1_25segmented_radix_sort_implINS0_14default_configELb1EPKfPfPKlPlN2at6native12_GLOBAL__N_18offset_tEEE10hipError_tPvRmT1_PNSt15iterator_traitsIS12_E10value_typeET2_T3_PNS13_IS18_E10value_typeET4_jRbjT5_S1E_jjP12ihipStream_tbEUljE_ZNSN_ISO_Lb1ESQ_SR_ST_SU_SY_EESZ_S10_S11_S12_S16_S17_S18_S1B_S1C_jS1D_jS1E_S1E_jjS1G_bEUljE0_EEESZ_S10_S11_S18_S1C_S1E_T6_T7_T9_mT8_S1G_bDpT10_ENKUlT_T0_E_clISt17integral_constantIbLb1EES1U_EEDaS1P_S1Q_EUlS1P_E_NS1_11comp_targetILNS1_3genE8ELNS1_11target_archE1030ELNS1_3gpuE2ELNS1_3repE0EEENS1_30default_config_static_selectorELNS0_4arch9wavefront6targetE0EEEvS12_
                                        ; -- End function
	.set _ZN7rocprim17ROCPRIM_400000_NS6detail17trampoline_kernelINS0_13select_configILj256ELj13ELNS0_17block_load_methodE3ELS4_3ELS4_3ELNS0_20block_scan_algorithmE0ELj4294967295EEENS1_25partition_config_selectorILNS1_17partition_subalgoE4EjNS0_10empty_typeEbEEZZNS1_14partition_implILS8_4ELb0ES6_15HIP_vector_typeIjLj2EENS0_17counting_iteratorIjlEEPS9_SG_NS0_5tupleIJPjSI_NS0_16reverse_iteratorISI_EEEEENSH_IJSG_SG_SG_EEES9_SI_JZNS1_25segmented_radix_sort_implINS0_14default_configELb1EPKfPfPKlPlN2at6native12_GLOBAL__N_18offset_tEEE10hipError_tPvRmT1_PNSt15iterator_traitsIS12_E10value_typeET2_T3_PNS13_IS18_E10value_typeET4_jRbjT5_S1E_jjP12ihipStream_tbEUljE_ZNSN_ISO_Lb1ESQ_SR_ST_SU_SY_EESZ_S10_S11_S12_S16_S17_S18_S1B_S1C_jS1D_jS1E_S1E_jjS1G_bEUljE0_EEESZ_S10_S11_S18_S1C_S1E_T6_T7_T9_mT8_S1G_bDpT10_ENKUlT_T0_E_clISt17integral_constantIbLb1EES1U_EEDaS1P_S1Q_EUlS1P_E_NS1_11comp_targetILNS1_3genE8ELNS1_11target_archE1030ELNS1_3gpuE2ELNS1_3repE0EEENS1_30default_config_static_selectorELNS0_4arch9wavefront6targetE0EEEvS12_.num_vgpr, 0
	.set _ZN7rocprim17ROCPRIM_400000_NS6detail17trampoline_kernelINS0_13select_configILj256ELj13ELNS0_17block_load_methodE3ELS4_3ELS4_3ELNS0_20block_scan_algorithmE0ELj4294967295EEENS1_25partition_config_selectorILNS1_17partition_subalgoE4EjNS0_10empty_typeEbEEZZNS1_14partition_implILS8_4ELb0ES6_15HIP_vector_typeIjLj2EENS0_17counting_iteratorIjlEEPS9_SG_NS0_5tupleIJPjSI_NS0_16reverse_iteratorISI_EEEEENSH_IJSG_SG_SG_EEES9_SI_JZNS1_25segmented_radix_sort_implINS0_14default_configELb1EPKfPfPKlPlN2at6native12_GLOBAL__N_18offset_tEEE10hipError_tPvRmT1_PNSt15iterator_traitsIS12_E10value_typeET2_T3_PNS13_IS18_E10value_typeET4_jRbjT5_S1E_jjP12ihipStream_tbEUljE_ZNSN_ISO_Lb1ESQ_SR_ST_SU_SY_EESZ_S10_S11_S12_S16_S17_S18_S1B_S1C_jS1D_jS1E_S1E_jjS1G_bEUljE0_EEESZ_S10_S11_S18_S1C_S1E_T6_T7_T9_mT8_S1G_bDpT10_ENKUlT_T0_E_clISt17integral_constantIbLb1EES1U_EEDaS1P_S1Q_EUlS1P_E_NS1_11comp_targetILNS1_3genE8ELNS1_11target_archE1030ELNS1_3gpuE2ELNS1_3repE0EEENS1_30default_config_static_selectorELNS0_4arch9wavefront6targetE0EEEvS12_.num_agpr, 0
	.set _ZN7rocprim17ROCPRIM_400000_NS6detail17trampoline_kernelINS0_13select_configILj256ELj13ELNS0_17block_load_methodE3ELS4_3ELS4_3ELNS0_20block_scan_algorithmE0ELj4294967295EEENS1_25partition_config_selectorILNS1_17partition_subalgoE4EjNS0_10empty_typeEbEEZZNS1_14partition_implILS8_4ELb0ES6_15HIP_vector_typeIjLj2EENS0_17counting_iteratorIjlEEPS9_SG_NS0_5tupleIJPjSI_NS0_16reverse_iteratorISI_EEEEENSH_IJSG_SG_SG_EEES9_SI_JZNS1_25segmented_radix_sort_implINS0_14default_configELb1EPKfPfPKlPlN2at6native12_GLOBAL__N_18offset_tEEE10hipError_tPvRmT1_PNSt15iterator_traitsIS12_E10value_typeET2_T3_PNS13_IS18_E10value_typeET4_jRbjT5_S1E_jjP12ihipStream_tbEUljE_ZNSN_ISO_Lb1ESQ_SR_ST_SU_SY_EESZ_S10_S11_S12_S16_S17_S18_S1B_S1C_jS1D_jS1E_S1E_jjS1G_bEUljE0_EEESZ_S10_S11_S18_S1C_S1E_T6_T7_T9_mT8_S1G_bDpT10_ENKUlT_T0_E_clISt17integral_constantIbLb1EES1U_EEDaS1P_S1Q_EUlS1P_E_NS1_11comp_targetILNS1_3genE8ELNS1_11target_archE1030ELNS1_3gpuE2ELNS1_3repE0EEENS1_30default_config_static_selectorELNS0_4arch9wavefront6targetE0EEEvS12_.numbered_sgpr, 0
	.set _ZN7rocprim17ROCPRIM_400000_NS6detail17trampoline_kernelINS0_13select_configILj256ELj13ELNS0_17block_load_methodE3ELS4_3ELS4_3ELNS0_20block_scan_algorithmE0ELj4294967295EEENS1_25partition_config_selectorILNS1_17partition_subalgoE4EjNS0_10empty_typeEbEEZZNS1_14partition_implILS8_4ELb0ES6_15HIP_vector_typeIjLj2EENS0_17counting_iteratorIjlEEPS9_SG_NS0_5tupleIJPjSI_NS0_16reverse_iteratorISI_EEEEENSH_IJSG_SG_SG_EEES9_SI_JZNS1_25segmented_radix_sort_implINS0_14default_configELb1EPKfPfPKlPlN2at6native12_GLOBAL__N_18offset_tEEE10hipError_tPvRmT1_PNSt15iterator_traitsIS12_E10value_typeET2_T3_PNS13_IS18_E10value_typeET4_jRbjT5_S1E_jjP12ihipStream_tbEUljE_ZNSN_ISO_Lb1ESQ_SR_ST_SU_SY_EESZ_S10_S11_S12_S16_S17_S18_S1B_S1C_jS1D_jS1E_S1E_jjS1G_bEUljE0_EEESZ_S10_S11_S18_S1C_S1E_T6_T7_T9_mT8_S1G_bDpT10_ENKUlT_T0_E_clISt17integral_constantIbLb1EES1U_EEDaS1P_S1Q_EUlS1P_E_NS1_11comp_targetILNS1_3genE8ELNS1_11target_archE1030ELNS1_3gpuE2ELNS1_3repE0EEENS1_30default_config_static_selectorELNS0_4arch9wavefront6targetE0EEEvS12_.num_named_barrier, 0
	.set _ZN7rocprim17ROCPRIM_400000_NS6detail17trampoline_kernelINS0_13select_configILj256ELj13ELNS0_17block_load_methodE3ELS4_3ELS4_3ELNS0_20block_scan_algorithmE0ELj4294967295EEENS1_25partition_config_selectorILNS1_17partition_subalgoE4EjNS0_10empty_typeEbEEZZNS1_14partition_implILS8_4ELb0ES6_15HIP_vector_typeIjLj2EENS0_17counting_iteratorIjlEEPS9_SG_NS0_5tupleIJPjSI_NS0_16reverse_iteratorISI_EEEEENSH_IJSG_SG_SG_EEES9_SI_JZNS1_25segmented_radix_sort_implINS0_14default_configELb1EPKfPfPKlPlN2at6native12_GLOBAL__N_18offset_tEEE10hipError_tPvRmT1_PNSt15iterator_traitsIS12_E10value_typeET2_T3_PNS13_IS18_E10value_typeET4_jRbjT5_S1E_jjP12ihipStream_tbEUljE_ZNSN_ISO_Lb1ESQ_SR_ST_SU_SY_EESZ_S10_S11_S12_S16_S17_S18_S1B_S1C_jS1D_jS1E_S1E_jjS1G_bEUljE0_EEESZ_S10_S11_S18_S1C_S1E_T6_T7_T9_mT8_S1G_bDpT10_ENKUlT_T0_E_clISt17integral_constantIbLb1EES1U_EEDaS1P_S1Q_EUlS1P_E_NS1_11comp_targetILNS1_3genE8ELNS1_11target_archE1030ELNS1_3gpuE2ELNS1_3repE0EEENS1_30default_config_static_selectorELNS0_4arch9wavefront6targetE0EEEvS12_.private_seg_size, 0
	.set _ZN7rocprim17ROCPRIM_400000_NS6detail17trampoline_kernelINS0_13select_configILj256ELj13ELNS0_17block_load_methodE3ELS4_3ELS4_3ELNS0_20block_scan_algorithmE0ELj4294967295EEENS1_25partition_config_selectorILNS1_17partition_subalgoE4EjNS0_10empty_typeEbEEZZNS1_14partition_implILS8_4ELb0ES6_15HIP_vector_typeIjLj2EENS0_17counting_iteratorIjlEEPS9_SG_NS0_5tupleIJPjSI_NS0_16reverse_iteratorISI_EEEEENSH_IJSG_SG_SG_EEES9_SI_JZNS1_25segmented_radix_sort_implINS0_14default_configELb1EPKfPfPKlPlN2at6native12_GLOBAL__N_18offset_tEEE10hipError_tPvRmT1_PNSt15iterator_traitsIS12_E10value_typeET2_T3_PNS13_IS18_E10value_typeET4_jRbjT5_S1E_jjP12ihipStream_tbEUljE_ZNSN_ISO_Lb1ESQ_SR_ST_SU_SY_EESZ_S10_S11_S12_S16_S17_S18_S1B_S1C_jS1D_jS1E_S1E_jjS1G_bEUljE0_EEESZ_S10_S11_S18_S1C_S1E_T6_T7_T9_mT8_S1G_bDpT10_ENKUlT_T0_E_clISt17integral_constantIbLb1EES1U_EEDaS1P_S1Q_EUlS1P_E_NS1_11comp_targetILNS1_3genE8ELNS1_11target_archE1030ELNS1_3gpuE2ELNS1_3repE0EEENS1_30default_config_static_selectorELNS0_4arch9wavefront6targetE0EEEvS12_.uses_vcc, 0
	.set _ZN7rocprim17ROCPRIM_400000_NS6detail17trampoline_kernelINS0_13select_configILj256ELj13ELNS0_17block_load_methodE3ELS4_3ELS4_3ELNS0_20block_scan_algorithmE0ELj4294967295EEENS1_25partition_config_selectorILNS1_17partition_subalgoE4EjNS0_10empty_typeEbEEZZNS1_14partition_implILS8_4ELb0ES6_15HIP_vector_typeIjLj2EENS0_17counting_iteratorIjlEEPS9_SG_NS0_5tupleIJPjSI_NS0_16reverse_iteratorISI_EEEEENSH_IJSG_SG_SG_EEES9_SI_JZNS1_25segmented_radix_sort_implINS0_14default_configELb1EPKfPfPKlPlN2at6native12_GLOBAL__N_18offset_tEEE10hipError_tPvRmT1_PNSt15iterator_traitsIS12_E10value_typeET2_T3_PNS13_IS18_E10value_typeET4_jRbjT5_S1E_jjP12ihipStream_tbEUljE_ZNSN_ISO_Lb1ESQ_SR_ST_SU_SY_EESZ_S10_S11_S12_S16_S17_S18_S1B_S1C_jS1D_jS1E_S1E_jjS1G_bEUljE0_EEESZ_S10_S11_S18_S1C_S1E_T6_T7_T9_mT8_S1G_bDpT10_ENKUlT_T0_E_clISt17integral_constantIbLb1EES1U_EEDaS1P_S1Q_EUlS1P_E_NS1_11comp_targetILNS1_3genE8ELNS1_11target_archE1030ELNS1_3gpuE2ELNS1_3repE0EEENS1_30default_config_static_selectorELNS0_4arch9wavefront6targetE0EEEvS12_.uses_flat_scratch, 0
	.set _ZN7rocprim17ROCPRIM_400000_NS6detail17trampoline_kernelINS0_13select_configILj256ELj13ELNS0_17block_load_methodE3ELS4_3ELS4_3ELNS0_20block_scan_algorithmE0ELj4294967295EEENS1_25partition_config_selectorILNS1_17partition_subalgoE4EjNS0_10empty_typeEbEEZZNS1_14partition_implILS8_4ELb0ES6_15HIP_vector_typeIjLj2EENS0_17counting_iteratorIjlEEPS9_SG_NS0_5tupleIJPjSI_NS0_16reverse_iteratorISI_EEEEENSH_IJSG_SG_SG_EEES9_SI_JZNS1_25segmented_radix_sort_implINS0_14default_configELb1EPKfPfPKlPlN2at6native12_GLOBAL__N_18offset_tEEE10hipError_tPvRmT1_PNSt15iterator_traitsIS12_E10value_typeET2_T3_PNS13_IS18_E10value_typeET4_jRbjT5_S1E_jjP12ihipStream_tbEUljE_ZNSN_ISO_Lb1ESQ_SR_ST_SU_SY_EESZ_S10_S11_S12_S16_S17_S18_S1B_S1C_jS1D_jS1E_S1E_jjS1G_bEUljE0_EEESZ_S10_S11_S18_S1C_S1E_T6_T7_T9_mT8_S1G_bDpT10_ENKUlT_T0_E_clISt17integral_constantIbLb1EES1U_EEDaS1P_S1Q_EUlS1P_E_NS1_11comp_targetILNS1_3genE8ELNS1_11target_archE1030ELNS1_3gpuE2ELNS1_3repE0EEENS1_30default_config_static_selectorELNS0_4arch9wavefront6targetE0EEEvS12_.has_dyn_sized_stack, 0
	.set _ZN7rocprim17ROCPRIM_400000_NS6detail17trampoline_kernelINS0_13select_configILj256ELj13ELNS0_17block_load_methodE3ELS4_3ELS4_3ELNS0_20block_scan_algorithmE0ELj4294967295EEENS1_25partition_config_selectorILNS1_17partition_subalgoE4EjNS0_10empty_typeEbEEZZNS1_14partition_implILS8_4ELb0ES6_15HIP_vector_typeIjLj2EENS0_17counting_iteratorIjlEEPS9_SG_NS0_5tupleIJPjSI_NS0_16reverse_iteratorISI_EEEEENSH_IJSG_SG_SG_EEES9_SI_JZNS1_25segmented_radix_sort_implINS0_14default_configELb1EPKfPfPKlPlN2at6native12_GLOBAL__N_18offset_tEEE10hipError_tPvRmT1_PNSt15iterator_traitsIS12_E10value_typeET2_T3_PNS13_IS18_E10value_typeET4_jRbjT5_S1E_jjP12ihipStream_tbEUljE_ZNSN_ISO_Lb1ESQ_SR_ST_SU_SY_EESZ_S10_S11_S12_S16_S17_S18_S1B_S1C_jS1D_jS1E_S1E_jjS1G_bEUljE0_EEESZ_S10_S11_S18_S1C_S1E_T6_T7_T9_mT8_S1G_bDpT10_ENKUlT_T0_E_clISt17integral_constantIbLb1EES1U_EEDaS1P_S1Q_EUlS1P_E_NS1_11comp_targetILNS1_3genE8ELNS1_11target_archE1030ELNS1_3gpuE2ELNS1_3repE0EEENS1_30default_config_static_selectorELNS0_4arch9wavefront6targetE0EEEvS12_.has_recursion, 0
	.set _ZN7rocprim17ROCPRIM_400000_NS6detail17trampoline_kernelINS0_13select_configILj256ELj13ELNS0_17block_load_methodE3ELS4_3ELS4_3ELNS0_20block_scan_algorithmE0ELj4294967295EEENS1_25partition_config_selectorILNS1_17partition_subalgoE4EjNS0_10empty_typeEbEEZZNS1_14partition_implILS8_4ELb0ES6_15HIP_vector_typeIjLj2EENS0_17counting_iteratorIjlEEPS9_SG_NS0_5tupleIJPjSI_NS0_16reverse_iteratorISI_EEEEENSH_IJSG_SG_SG_EEES9_SI_JZNS1_25segmented_radix_sort_implINS0_14default_configELb1EPKfPfPKlPlN2at6native12_GLOBAL__N_18offset_tEEE10hipError_tPvRmT1_PNSt15iterator_traitsIS12_E10value_typeET2_T3_PNS13_IS18_E10value_typeET4_jRbjT5_S1E_jjP12ihipStream_tbEUljE_ZNSN_ISO_Lb1ESQ_SR_ST_SU_SY_EESZ_S10_S11_S12_S16_S17_S18_S1B_S1C_jS1D_jS1E_S1E_jjS1G_bEUljE0_EEESZ_S10_S11_S18_S1C_S1E_T6_T7_T9_mT8_S1G_bDpT10_ENKUlT_T0_E_clISt17integral_constantIbLb1EES1U_EEDaS1P_S1Q_EUlS1P_E_NS1_11comp_targetILNS1_3genE8ELNS1_11target_archE1030ELNS1_3gpuE2ELNS1_3repE0EEENS1_30default_config_static_selectorELNS0_4arch9wavefront6targetE0EEEvS12_.has_indirect_call, 0
	.section	.AMDGPU.csdata,"",@progbits
; Kernel info:
; codeLenInByte = 0
; TotalNumSgprs: 0
; NumVgprs: 0
; ScratchSize: 0
; MemoryBound: 0
; FloatMode: 240
; IeeeMode: 1
; LDSByteSize: 0 bytes/workgroup (compile time only)
; SGPRBlocks: 0
; VGPRBlocks: 0
; NumSGPRsForWavesPerEU: 1
; NumVGPRsForWavesPerEU: 1
; Occupancy: 16
; WaveLimiterHint : 0
; COMPUTE_PGM_RSRC2:SCRATCH_EN: 0
; COMPUTE_PGM_RSRC2:USER_SGPR: 2
; COMPUTE_PGM_RSRC2:TRAP_HANDLER: 0
; COMPUTE_PGM_RSRC2:TGID_X_EN: 1
; COMPUTE_PGM_RSRC2:TGID_Y_EN: 0
; COMPUTE_PGM_RSRC2:TGID_Z_EN: 0
; COMPUTE_PGM_RSRC2:TIDIG_COMP_CNT: 0
	.section	.text._ZN7rocprim17ROCPRIM_400000_NS6detail17trampoline_kernelINS0_13select_configILj256ELj13ELNS0_17block_load_methodE3ELS4_3ELS4_3ELNS0_20block_scan_algorithmE0ELj4294967295EEENS1_25partition_config_selectorILNS1_17partition_subalgoE4EjNS0_10empty_typeEbEEZZNS1_14partition_implILS8_4ELb0ES6_15HIP_vector_typeIjLj2EENS0_17counting_iteratorIjlEEPS9_SG_NS0_5tupleIJPjSI_NS0_16reverse_iteratorISI_EEEEENSH_IJSG_SG_SG_EEES9_SI_JZNS1_25segmented_radix_sort_implINS0_14default_configELb1EPKfPfPKlPlN2at6native12_GLOBAL__N_18offset_tEEE10hipError_tPvRmT1_PNSt15iterator_traitsIS12_E10value_typeET2_T3_PNS13_IS18_E10value_typeET4_jRbjT5_S1E_jjP12ihipStream_tbEUljE_ZNSN_ISO_Lb1ESQ_SR_ST_SU_SY_EESZ_S10_S11_S12_S16_S17_S18_S1B_S1C_jS1D_jS1E_S1E_jjS1G_bEUljE0_EEESZ_S10_S11_S18_S1C_S1E_T6_T7_T9_mT8_S1G_bDpT10_ENKUlT_T0_E_clISt17integral_constantIbLb1EES1T_IbLb0EEEEDaS1P_S1Q_EUlS1P_E_NS1_11comp_targetILNS1_3genE0ELNS1_11target_archE4294967295ELNS1_3gpuE0ELNS1_3repE0EEENS1_30default_config_static_selectorELNS0_4arch9wavefront6targetE0EEEvS12_,"axG",@progbits,_ZN7rocprim17ROCPRIM_400000_NS6detail17trampoline_kernelINS0_13select_configILj256ELj13ELNS0_17block_load_methodE3ELS4_3ELS4_3ELNS0_20block_scan_algorithmE0ELj4294967295EEENS1_25partition_config_selectorILNS1_17partition_subalgoE4EjNS0_10empty_typeEbEEZZNS1_14partition_implILS8_4ELb0ES6_15HIP_vector_typeIjLj2EENS0_17counting_iteratorIjlEEPS9_SG_NS0_5tupleIJPjSI_NS0_16reverse_iteratorISI_EEEEENSH_IJSG_SG_SG_EEES9_SI_JZNS1_25segmented_radix_sort_implINS0_14default_configELb1EPKfPfPKlPlN2at6native12_GLOBAL__N_18offset_tEEE10hipError_tPvRmT1_PNSt15iterator_traitsIS12_E10value_typeET2_T3_PNS13_IS18_E10value_typeET4_jRbjT5_S1E_jjP12ihipStream_tbEUljE_ZNSN_ISO_Lb1ESQ_SR_ST_SU_SY_EESZ_S10_S11_S12_S16_S17_S18_S1B_S1C_jS1D_jS1E_S1E_jjS1G_bEUljE0_EEESZ_S10_S11_S18_S1C_S1E_T6_T7_T9_mT8_S1G_bDpT10_ENKUlT_T0_E_clISt17integral_constantIbLb1EES1T_IbLb0EEEEDaS1P_S1Q_EUlS1P_E_NS1_11comp_targetILNS1_3genE0ELNS1_11target_archE4294967295ELNS1_3gpuE0ELNS1_3repE0EEENS1_30default_config_static_selectorELNS0_4arch9wavefront6targetE0EEEvS12_,comdat
	.globl	_ZN7rocprim17ROCPRIM_400000_NS6detail17trampoline_kernelINS0_13select_configILj256ELj13ELNS0_17block_load_methodE3ELS4_3ELS4_3ELNS0_20block_scan_algorithmE0ELj4294967295EEENS1_25partition_config_selectorILNS1_17partition_subalgoE4EjNS0_10empty_typeEbEEZZNS1_14partition_implILS8_4ELb0ES6_15HIP_vector_typeIjLj2EENS0_17counting_iteratorIjlEEPS9_SG_NS0_5tupleIJPjSI_NS0_16reverse_iteratorISI_EEEEENSH_IJSG_SG_SG_EEES9_SI_JZNS1_25segmented_radix_sort_implINS0_14default_configELb1EPKfPfPKlPlN2at6native12_GLOBAL__N_18offset_tEEE10hipError_tPvRmT1_PNSt15iterator_traitsIS12_E10value_typeET2_T3_PNS13_IS18_E10value_typeET4_jRbjT5_S1E_jjP12ihipStream_tbEUljE_ZNSN_ISO_Lb1ESQ_SR_ST_SU_SY_EESZ_S10_S11_S12_S16_S17_S18_S1B_S1C_jS1D_jS1E_S1E_jjS1G_bEUljE0_EEESZ_S10_S11_S18_S1C_S1E_T6_T7_T9_mT8_S1G_bDpT10_ENKUlT_T0_E_clISt17integral_constantIbLb1EES1T_IbLb0EEEEDaS1P_S1Q_EUlS1P_E_NS1_11comp_targetILNS1_3genE0ELNS1_11target_archE4294967295ELNS1_3gpuE0ELNS1_3repE0EEENS1_30default_config_static_selectorELNS0_4arch9wavefront6targetE0EEEvS12_ ; -- Begin function _ZN7rocprim17ROCPRIM_400000_NS6detail17trampoline_kernelINS0_13select_configILj256ELj13ELNS0_17block_load_methodE3ELS4_3ELS4_3ELNS0_20block_scan_algorithmE0ELj4294967295EEENS1_25partition_config_selectorILNS1_17partition_subalgoE4EjNS0_10empty_typeEbEEZZNS1_14partition_implILS8_4ELb0ES6_15HIP_vector_typeIjLj2EENS0_17counting_iteratorIjlEEPS9_SG_NS0_5tupleIJPjSI_NS0_16reverse_iteratorISI_EEEEENSH_IJSG_SG_SG_EEES9_SI_JZNS1_25segmented_radix_sort_implINS0_14default_configELb1EPKfPfPKlPlN2at6native12_GLOBAL__N_18offset_tEEE10hipError_tPvRmT1_PNSt15iterator_traitsIS12_E10value_typeET2_T3_PNS13_IS18_E10value_typeET4_jRbjT5_S1E_jjP12ihipStream_tbEUljE_ZNSN_ISO_Lb1ESQ_SR_ST_SU_SY_EESZ_S10_S11_S12_S16_S17_S18_S1B_S1C_jS1D_jS1E_S1E_jjS1G_bEUljE0_EEESZ_S10_S11_S18_S1C_S1E_T6_T7_T9_mT8_S1G_bDpT10_ENKUlT_T0_E_clISt17integral_constantIbLb1EES1T_IbLb0EEEEDaS1P_S1Q_EUlS1P_E_NS1_11comp_targetILNS1_3genE0ELNS1_11target_archE4294967295ELNS1_3gpuE0ELNS1_3repE0EEENS1_30default_config_static_selectorELNS0_4arch9wavefront6targetE0EEEvS12_
	.p2align	8
	.type	_ZN7rocprim17ROCPRIM_400000_NS6detail17trampoline_kernelINS0_13select_configILj256ELj13ELNS0_17block_load_methodE3ELS4_3ELS4_3ELNS0_20block_scan_algorithmE0ELj4294967295EEENS1_25partition_config_selectorILNS1_17partition_subalgoE4EjNS0_10empty_typeEbEEZZNS1_14partition_implILS8_4ELb0ES6_15HIP_vector_typeIjLj2EENS0_17counting_iteratorIjlEEPS9_SG_NS0_5tupleIJPjSI_NS0_16reverse_iteratorISI_EEEEENSH_IJSG_SG_SG_EEES9_SI_JZNS1_25segmented_radix_sort_implINS0_14default_configELb1EPKfPfPKlPlN2at6native12_GLOBAL__N_18offset_tEEE10hipError_tPvRmT1_PNSt15iterator_traitsIS12_E10value_typeET2_T3_PNS13_IS18_E10value_typeET4_jRbjT5_S1E_jjP12ihipStream_tbEUljE_ZNSN_ISO_Lb1ESQ_SR_ST_SU_SY_EESZ_S10_S11_S12_S16_S17_S18_S1B_S1C_jS1D_jS1E_S1E_jjS1G_bEUljE0_EEESZ_S10_S11_S18_S1C_S1E_T6_T7_T9_mT8_S1G_bDpT10_ENKUlT_T0_E_clISt17integral_constantIbLb1EES1T_IbLb0EEEEDaS1P_S1Q_EUlS1P_E_NS1_11comp_targetILNS1_3genE0ELNS1_11target_archE4294967295ELNS1_3gpuE0ELNS1_3repE0EEENS1_30default_config_static_selectorELNS0_4arch9wavefront6targetE0EEEvS12_,@function
_ZN7rocprim17ROCPRIM_400000_NS6detail17trampoline_kernelINS0_13select_configILj256ELj13ELNS0_17block_load_methodE3ELS4_3ELS4_3ELNS0_20block_scan_algorithmE0ELj4294967295EEENS1_25partition_config_selectorILNS1_17partition_subalgoE4EjNS0_10empty_typeEbEEZZNS1_14partition_implILS8_4ELb0ES6_15HIP_vector_typeIjLj2EENS0_17counting_iteratorIjlEEPS9_SG_NS0_5tupleIJPjSI_NS0_16reverse_iteratorISI_EEEEENSH_IJSG_SG_SG_EEES9_SI_JZNS1_25segmented_radix_sort_implINS0_14default_configELb1EPKfPfPKlPlN2at6native12_GLOBAL__N_18offset_tEEE10hipError_tPvRmT1_PNSt15iterator_traitsIS12_E10value_typeET2_T3_PNS13_IS18_E10value_typeET4_jRbjT5_S1E_jjP12ihipStream_tbEUljE_ZNSN_ISO_Lb1ESQ_SR_ST_SU_SY_EESZ_S10_S11_S12_S16_S17_S18_S1B_S1C_jS1D_jS1E_S1E_jjS1G_bEUljE0_EEESZ_S10_S11_S18_S1C_S1E_T6_T7_T9_mT8_S1G_bDpT10_ENKUlT_T0_E_clISt17integral_constantIbLb1EES1T_IbLb0EEEEDaS1P_S1Q_EUlS1P_E_NS1_11comp_targetILNS1_3genE0ELNS1_11target_archE4294967295ELNS1_3gpuE0ELNS1_3repE0EEENS1_30default_config_static_selectorELNS0_4arch9wavefront6targetE0EEEvS12_: ; @_ZN7rocprim17ROCPRIM_400000_NS6detail17trampoline_kernelINS0_13select_configILj256ELj13ELNS0_17block_load_methodE3ELS4_3ELS4_3ELNS0_20block_scan_algorithmE0ELj4294967295EEENS1_25partition_config_selectorILNS1_17partition_subalgoE4EjNS0_10empty_typeEbEEZZNS1_14partition_implILS8_4ELb0ES6_15HIP_vector_typeIjLj2EENS0_17counting_iteratorIjlEEPS9_SG_NS0_5tupleIJPjSI_NS0_16reverse_iteratorISI_EEEEENSH_IJSG_SG_SG_EEES9_SI_JZNS1_25segmented_radix_sort_implINS0_14default_configELb1EPKfPfPKlPlN2at6native12_GLOBAL__N_18offset_tEEE10hipError_tPvRmT1_PNSt15iterator_traitsIS12_E10value_typeET2_T3_PNS13_IS18_E10value_typeET4_jRbjT5_S1E_jjP12ihipStream_tbEUljE_ZNSN_ISO_Lb1ESQ_SR_ST_SU_SY_EESZ_S10_S11_S12_S16_S17_S18_S1B_S1C_jS1D_jS1E_S1E_jjS1G_bEUljE0_EEESZ_S10_S11_S18_S1C_S1E_T6_T7_T9_mT8_S1G_bDpT10_ENKUlT_T0_E_clISt17integral_constantIbLb1EES1T_IbLb0EEEEDaS1P_S1Q_EUlS1P_E_NS1_11comp_targetILNS1_3genE0ELNS1_11target_archE4294967295ELNS1_3gpuE0ELNS1_3repE0EEENS1_30default_config_static_selectorELNS0_4arch9wavefront6targetE0EEEvS12_
; %bb.0:
	.section	.rodata,"a",@progbits
	.p2align	6, 0x0
	.amdhsa_kernel _ZN7rocprim17ROCPRIM_400000_NS6detail17trampoline_kernelINS0_13select_configILj256ELj13ELNS0_17block_load_methodE3ELS4_3ELS4_3ELNS0_20block_scan_algorithmE0ELj4294967295EEENS1_25partition_config_selectorILNS1_17partition_subalgoE4EjNS0_10empty_typeEbEEZZNS1_14partition_implILS8_4ELb0ES6_15HIP_vector_typeIjLj2EENS0_17counting_iteratorIjlEEPS9_SG_NS0_5tupleIJPjSI_NS0_16reverse_iteratorISI_EEEEENSH_IJSG_SG_SG_EEES9_SI_JZNS1_25segmented_radix_sort_implINS0_14default_configELb1EPKfPfPKlPlN2at6native12_GLOBAL__N_18offset_tEEE10hipError_tPvRmT1_PNSt15iterator_traitsIS12_E10value_typeET2_T3_PNS13_IS18_E10value_typeET4_jRbjT5_S1E_jjP12ihipStream_tbEUljE_ZNSN_ISO_Lb1ESQ_SR_ST_SU_SY_EESZ_S10_S11_S12_S16_S17_S18_S1B_S1C_jS1D_jS1E_S1E_jjS1G_bEUljE0_EEESZ_S10_S11_S18_S1C_S1E_T6_T7_T9_mT8_S1G_bDpT10_ENKUlT_T0_E_clISt17integral_constantIbLb1EES1T_IbLb0EEEEDaS1P_S1Q_EUlS1P_E_NS1_11comp_targetILNS1_3genE0ELNS1_11target_archE4294967295ELNS1_3gpuE0ELNS1_3repE0EEENS1_30default_config_static_selectorELNS0_4arch9wavefront6targetE0EEEvS12_
		.amdhsa_group_segment_fixed_size 0
		.amdhsa_private_segment_fixed_size 0
		.amdhsa_kernarg_size 176
		.amdhsa_user_sgpr_count 2
		.amdhsa_user_sgpr_dispatch_ptr 0
		.amdhsa_user_sgpr_queue_ptr 0
		.amdhsa_user_sgpr_kernarg_segment_ptr 1
		.amdhsa_user_sgpr_dispatch_id 0
		.amdhsa_user_sgpr_private_segment_size 0
		.amdhsa_wavefront_size32 1
		.amdhsa_uses_dynamic_stack 0
		.amdhsa_enable_private_segment 0
		.amdhsa_system_sgpr_workgroup_id_x 1
		.amdhsa_system_sgpr_workgroup_id_y 0
		.amdhsa_system_sgpr_workgroup_id_z 0
		.amdhsa_system_sgpr_workgroup_info 0
		.amdhsa_system_vgpr_workitem_id 0
		.amdhsa_next_free_vgpr 1
		.amdhsa_next_free_sgpr 1
		.amdhsa_reserve_vcc 0
		.amdhsa_float_round_mode_32 0
		.amdhsa_float_round_mode_16_64 0
		.amdhsa_float_denorm_mode_32 3
		.amdhsa_float_denorm_mode_16_64 3
		.amdhsa_fp16_overflow 0
		.amdhsa_workgroup_processor_mode 1
		.amdhsa_memory_ordered 1
		.amdhsa_forward_progress 1
		.amdhsa_inst_pref_size 0
		.amdhsa_round_robin_scheduling 0
		.amdhsa_exception_fp_ieee_invalid_op 0
		.amdhsa_exception_fp_denorm_src 0
		.amdhsa_exception_fp_ieee_div_zero 0
		.amdhsa_exception_fp_ieee_overflow 0
		.amdhsa_exception_fp_ieee_underflow 0
		.amdhsa_exception_fp_ieee_inexact 0
		.amdhsa_exception_int_div_zero 0
	.end_amdhsa_kernel
	.section	.text._ZN7rocprim17ROCPRIM_400000_NS6detail17trampoline_kernelINS0_13select_configILj256ELj13ELNS0_17block_load_methodE3ELS4_3ELS4_3ELNS0_20block_scan_algorithmE0ELj4294967295EEENS1_25partition_config_selectorILNS1_17partition_subalgoE4EjNS0_10empty_typeEbEEZZNS1_14partition_implILS8_4ELb0ES6_15HIP_vector_typeIjLj2EENS0_17counting_iteratorIjlEEPS9_SG_NS0_5tupleIJPjSI_NS0_16reverse_iteratorISI_EEEEENSH_IJSG_SG_SG_EEES9_SI_JZNS1_25segmented_radix_sort_implINS0_14default_configELb1EPKfPfPKlPlN2at6native12_GLOBAL__N_18offset_tEEE10hipError_tPvRmT1_PNSt15iterator_traitsIS12_E10value_typeET2_T3_PNS13_IS18_E10value_typeET4_jRbjT5_S1E_jjP12ihipStream_tbEUljE_ZNSN_ISO_Lb1ESQ_SR_ST_SU_SY_EESZ_S10_S11_S12_S16_S17_S18_S1B_S1C_jS1D_jS1E_S1E_jjS1G_bEUljE0_EEESZ_S10_S11_S18_S1C_S1E_T6_T7_T9_mT8_S1G_bDpT10_ENKUlT_T0_E_clISt17integral_constantIbLb1EES1T_IbLb0EEEEDaS1P_S1Q_EUlS1P_E_NS1_11comp_targetILNS1_3genE0ELNS1_11target_archE4294967295ELNS1_3gpuE0ELNS1_3repE0EEENS1_30default_config_static_selectorELNS0_4arch9wavefront6targetE0EEEvS12_,"axG",@progbits,_ZN7rocprim17ROCPRIM_400000_NS6detail17trampoline_kernelINS0_13select_configILj256ELj13ELNS0_17block_load_methodE3ELS4_3ELS4_3ELNS0_20block_scan_algorithmE0ELj4294967295EEENS1_25partition_config_selectorILNS1_17partition_subalgoE4EjNS0_10empty_typeEbEEZZNS1_14partition_implILS8_4ELb0ES6_15HIP_vector_typeIjLj2EENS0_17counting_iteratorIjlEEPS9_SG_NS0_5tupleIJPjSI_NS0_16reverse_iteratorISI_EEEEENSH_IJSG_SG_SG_EEES9_SI_JZNS1_25segmented_radix_sort_implINS0_14default_configELb1EPKfPfPKlPlN2at6native12_GLOBAL__N_18offset_tEEE10hipError_tPvRmT1_PNSt15iterator_traitsIS12_E10value_typeET2_T3_PNS13_IS18_E10value_typeET4_jRbjT5_S1E_jjP12ihipStream_tbEUljE_ZNSN_ISO_Lb1ESQ_SR_ST_SU_SY_EESZ_S10_S11_S12_S16_S17_S18_S1B_S1C_jS1D_jS1E_S1E_jjS1G_bEUljE0_EEESZ_S10_S11_S18_S1C_S1E_T6_T7_T9_mT8_S1G_bDpT10_ENKUlT_T0_E_clISt17integral_constantIbLb1EES1T_IbLb0EEEEDaS1P_S1Q_EUlS1P_E_NS1_11comp_targetILNS1_3genE0ELNS1_11target_archE4294967295ELNS1_3gpuE0ELNS1_3repE0EEENS1_30default_config_static_selectorELNS0_4arch9wavefront6targetE0EEEvS12_,comdat
.Lfunc_end1277:
	.size	_ZN7rocprim17ROCPRIM_400000_NS6detail17trampoline_kernelINS0_13select_configILj256ELj13ELNS0_17block_load_methodE3ELS4_3ELS4_3ELNS0_20block_scan_algorithmE0ELj4294967295EEENS1_25partition_config_selectorILNS1_17partition_subalgoE4EjNS0_10empty_typeEbEEZZNS1_14partition_implILS8_4ELb0ES6_15HIP_vector_typeIjLj2EENS0_17counting_iteratorIjlEEPS9_SG_NS0_5tupleIJPjSI_NS0_16reverse_iteratorISI_EEEEENSH_IJSG_SG_SG_EEES9_SI_JZNS1_25segmented_radix_sort_implINS0_14default_configELb1EPKfPfPKlPlN2at6native12_GLOBAL__N_18offset_tEEE10hipError_tPvRmT1_PNSt15iterator_traitsIS12_E10value_typeET2_T3_PNS13_IS18_E10value_typeET4_jRbjT5_S1E_jjP12ihipStream_tbEUljE_ZNSN_ISO_Lb1ESQ_SR_ST_SU_SY_EESZ_S10_S11_S12_S16_S17_S18_S1B_S1C_jS1D_jS1E_S1E_jjS1G_bEUljE0_EEESZ_S10_S11_S18_S1C_S1E_T6_T7_T9_mT8_S1G_bDpT10_ENKUlT_T0_E_clISt17integral_constantIbLb1EES1T_IbLb0EEEEDaS1P_S1Q_EUlS1P_E_NS1_11comp_targetILNS1_3genE0ELNS1_11target_archE4294967295ELNS1_3gpuE0ELNS1_3repE0EEENS1_30default_config_static_selectorELNS0_4arch9wavefront6targetE0EEEvS12_, .Lfunc_end1277-_ZN7rocprim17ROCPRIM_400000_NS6detail17trampoline_kernelINS0_13select_configILj256ELj13ELNS0_17block_load_methodE3ELS4_3ELS4_3ELNS0_20block_scan_algorithmE0ELj4294967295EEENS1_25partition_config_selectorILNS1_17partition_subalgoE4EjNS0_10empty_typeEbEEZZNS1_14partition_implILS8_4ELb0ES6_15HIP_vector_typeIjLj2EENS0_17counting_iteratorIjlEEPS9_SG_NS0_5tupleIJPjSI_NS0_16reverse_iteratorISI_EEEEENSH_IJSG_SG_SG_EEES9_SI_JZNS1_25segmented_radix_sort_implINS0_14default_configELb1EPKfPfPKlPlN2at6native12_GLOBAL__N_18offset_tEEE10hipError_tPvRmT1_PNSt15iterator_traitsIS12_E10value_typeET2_T3_PNS13_IS18_E10value_typeET4_jRbjT5_S1E_jjP12ihipStream_tbEUljE_ZNSN_ISO_Lb1ESQ_SR_ST_SU_SY_EESZ_S10_S11_S12_S16_S17_S18_S1B_S1C_jS1D_jS1E_S1E_jjS1G_bEUljE0_EEESZ_S10_S11_S18_S1C_S1E_T6_T7_T9_mT8_S1G_bDpT10_ENKUlT_T0_E_clISt17integral_constantIbLb1EES1T_IbLb0EEEEDaS1P_S1Q_EUlS1P_E_NS1_11comp_targetILNS1_3genE0ELNS1_11target_archE4294967295ELNS1_3gpuE0ELNS1_3repE0EEENS1_30default_config_static_selectorELNS0_4arch9wavefront6targetE0EEEvS12_
                                        ; -- End function
	.set _ZN7rocprim17ROCPRIM_400000_NS6detail17trampoline_kernelINS0_13select_configILj256ELj13ELNS0_17block_load_methodE3ELS4_3ELS4_3ELNS0_20block_scan_algorithmE0ELj4294967295EEENS1_25partition_config_selectorILNS1_17partition_subalgoE4EjNS0_10empty_typeEbEEZZNS1_14partition_implILS8_4ELb0ES6_15HIP_vector_typeIjLj2EENS0_17counting_iteratorIjlEEPS9_SG_NS0_5tupleIJPjSI_NS0_16reverse_iteratorISI_EEEEENSH_IJSG_SG_SG_EEES9_SI_JZNS1_25segmented_radix_sort_implINS0_14default_configELb1EPKfPfPKlPlN2at6native12_GLOBAL__N_18offset_tEEE10hipError_tPvRmT1_PNSt15iterator_traitsIS12_E10value_typeET2_T3_PNS13_IS18_E10value_typeET4_jRbjT5_S1E_jjP12ihipStream_tbEUljE_ZNSN_ISO_Lb1ESQ_SR_ST_SU_SY_EESZ_S10_S11_S12_S16_S17_S18_S1B_S1C_jS1D_jS1E_S1E_jjS1G_bEUljE0_EEESZ_S10_S11_S18_S1C_S1E_T6_T7_T9_mT8_S1G_bDpT10_ENKUlT_T0_E_clISt17integral_constantIbLb1EES1T_IbLb0EEEEDaS1P_S1Q_EUlS1P_E_NS1_11comp_targetILNS1_3genE0ELNS1_11target_archE4294967295ELNS1_3gpuE0ELNS1_3repE0EEENS1_30default_config_static_selectorELNS0_4arch9wavefront6targetE0EEEvS12_.num_vgpr, 0
	.set _ZN7rocprim17ROCPRIM_400000_NS6detail17trampoline_kernelINS0_13select_configILj256ELj13ELNS0_17block_load_methodE3ELS4_3ELS4_3ELNS0_20block_scan_algorithmE0ELj4294967295EEENS1_25partition_config_selectorILNS1_17partition_subalgoE4EjNS0_10empty_typeEbEEZZNS1_14partition_implILS8_4ELb0ES6_15HIP_vector_typeIjLj2EENS0_17counting_iteratorIjlEEPS9_SG_NS0_5tupleIJPjSI_NS0_16reverse_iteratorISI_EEEEENSH_IJSG_SG_SG_EEES9_SI_JZNS1_25segmented_radix_sort_implINS0_14default_configELb1EPKfPfPKlPlN2at6native12_GLOBAL__N_18offset_tEEE10hipError_tPvRmT1_PNSt15iterator_traitsIS12_E10value_typeET2_T3_PNS13_IS18_E10value_typeET4_jRbjT5_S1E_jjP12ihipStream_tbEUljE_ZNSN_ISO_Lb1ESQ_SR_ST_SU_SY_EESZ_S10_S11_S12_S16_S17_S18_S1B_S1C_jS1D_jS1E_S1E_jjS1G_bEUljE0_EEESZ_S10_S11_S18_S1C_S1E_T6_T7_T9_mT8_S1G_bDpT10_ENKUlT_T0_E_clISt17integral_constantIbLb1EES1T_IbLb0EEEEDaS1P_S1Q_EUlS1P_E_NS1_11comp_targetILNS1_3genE0ELNS1_11target_archE4294967295ELNS1_3gpuE0ELNS1_3repE0EEENS1_30default_config_static_selectorELNS0_4arch9wavefront6targetE0EEEvS12_.num_agpr, 0
	.set _ZN7rocprim17ROCPRIM_400000_NS6detail17trampoline_kernelINS0_13select_configILj256ELj13ELNS0_17block_load_methodE3ELS4_3ELS4_3ELNS0_20block_scan_algorithmE0ELj4294967295EEENS1_25partition_config_selectorILNS1_17partition_subalgoE4EjNS0_10empty_typeEbEEZZNS1_14partition_implILS8_4ELb0ES6_15HIP_vector_typeIjLj2EENS0_17counting_iteratorIjlEEPS9_SG_NS0_5tupleIJPjSI_NS0_16reverse_iteratorISI_EEEEENSH_IJSG_SG_SG_EEES9_SI_JZNS1_25segmented_radix_sort_implINS0_14default_configELb1EPKfPfPKlPlN2at6native12_GLOBAL__N_18offset_tEEE10hipError_tPvRmT1_PNSt15iterator_traitsIS12_E10value_typeET2_T3_PNS13_IS18_E10value_typeET4_jRbjT5_S1E_jjP12ihipStream_tbEUljE_ZNSN_ISO_Lb1ESQ_SR_ST_SU_SY_EESZ_S10_S11_S12_S16_S17_S18_S1B_S1C_jS1D_jS1E_S1E_jjS1G_bEUljE0_EEESZ_S10_S11_S18_S1C_S1E_T6_T7_T9_mT8_S1G_bDpT10_ENKUlT_T0_E_clISt17integral_constantIbLb1EES1T_IbLb0EEEEDaS1P_S1Q_EUlS1P_E_NS1_11comp_targetILNS1_3genE0ELNS1_11target_archE4294967295ELNS1_3gpuE0ELNS1_3repE0EEENS1_30default_config_static_selectorELNS0_4arch9wavefront6targetE0EEEvS12_.numbered_sgpr, 0
	.set _ZN7rocprim17ROCPRIM_400000_NS6detail17trampoline_kernelINS0_13select_configILj256ELj13ELNS0_17block_load_methodE3ELS4_3ELS4_3ELNS0_20block_scan_algorithmE0ELj4294967295EEENS1_25partition_config_selectorILNS1_17partition_subalgoE4EjNS0_10empty_typeEbEEZZNS1_14partition_implILS8_4ELb0ES6_15HIP_vector_typeIjLj2EENS0_17counting_iteratorIjlEEPS9_SG_NS0_5tupleIJPjSI_NS0_16reverse_iteratorISI_EEEEENSH_IJSG_SG_SG_EEES9_SI_JZNS1_25segmented_radix_sort_implINS0_14default_configELb1EPKfPfPKlPlN2at6native12_GLOBAL__N_18offset_tEEE10hipError_tPvRmT1_PNSt15iterator_traitsIS12_E10value_typeET2_T3_PNS13_IS18_E10value_typeET4_jRbjT5_S1E_jjP12ihipStream_tbEUljE_ZNSN_ISO_Lb1ESQ_SR_ST_SU_SY_EESZ_S10_S11_S12_S16_S17_S18_S1B_S1C_jS1D_jS1E_S1E_jjS1G_bEUljE0_EEESZ_S10_S11_S18_S1C_S1E_T6_T7_T9_mT8_S1G_bDpT10_ENKUlT_T0_E_clISt17integral_constantIbLb1EES1T_IbLb0EEEEDaS1P_S1Q_EUlS1P_E_NS1_11comp_targetILNS1_3genE0ELNS1_11target_archE4294967295ELNS1_3gpuE0ELNS1_3repE0EEENS1_30default_config_static_selectorELNS0_4arch9wavefront6targetE0EEEvS12_.num_named_barrier, 0
	.set _ZN7rocprim17ROCPRIM_400000_NS6detail17trampoline_kernelINS0_13select_configILj256ELj13ELNS0_17block_load_methodE3ELS4_3ELS4_3ELNS0_20block_scan_algorithmE0ELj4294967295EEENS1_25partition_config_selectorILNS1_17partition_subalgoE4EjNS0_10empty_typeEbEEZZNS1_14partition_implILS8_4ELb0ES6_15HIP_vector_typeIjLj2EENS0_17counting_iteratorIjlEEPS9_SG_NS0_5tupleIJPjSI_NS0_16reverse_iteratorISI_EEEEENSH_IJSG_SG_SG_EEES9_SI_JZNS1_25segmented_radix_sort_implINS0_14default_configELb1EPKfPfPKlPlN2at6native12_GLOBAL__N_18offset_tEEE10hipError_tPvRmT1_PNSt15iterator_traitsIS12_E10value_typeET2_T3_PNS13_IS18_E10value_typeET4_jRbjT5_S1E_jjP12ihipStream_tbEUljE_ZNSN_ISO_Lb1ESQ_SR_ST_SU_SY_EESZ_S10_S11_S12_S16_S17_S18_S1B_S1C_jS1D_jS1E_S1E_jjS1G_bEUljE0_EEESZ_S10_S11_S18_S1C_S1E_T6_T7_T9_mT8_S1G_bDpT10_ENKUlT_T0_E_clISt17integral_constantIbLb1EES1T_IbLb0EEEEDaS1P_S1Q_EUlS1P_E_NS1_11comp_targetILNS1_3genE0ELNS1_11target_archE4294967295ELNS1_3gpuE0ELNS1_3repE0EEENS1_30default_config_static_selectorELNS0_4arch9wavefront6targetE0EEEvS12_.private_seg_size, 0
	.set _ZN7rocprim17ROCPRIM_400000_NS6detail17trampoline_kernelINS0_13select_configILj256ELj13ELNS0_17block_load_methodE3ELS4_3ELS4_3ELNS0_20block_scan_algorithmE0ELj4294967295EEENS1_25partition_config_selectorILNS1_17partition_subalgoE4EjNS0_10empty_typeEbEEZZNS1_14partition_implILS8_4ELb0ES6_15HIP_vector_typeIjLj2EENS0_17counting_iteratorIjlEEPS9_SG_NS0_5tupleIJPjSI_NS0_16reverse_iteratorISI_EEEEENSH_IJSG_SG_SG_EEES9_SI_JZNS1_25segmented_radix_sort_implINS0_14default_configELb1EPKfPfPKlPlN2at6native12_GLOBAL__N_18offset_tEEE10hipError_tPvRmT1_PNSt15iterator_traitsIS12_E10value_typeET2_T3_PNS13_IS18_E10value_typeET4_jRbjT5_S1E_jjP12ihipStream_tbEUljE_ZNSN_ISO_Lb1ESQ_SR_ST_SU_SY_EESZ_S10_S11_S12_S16_S17_S18_S1B_S1C_jS1D_jS1E_S1E_jjS1G_bEUljE0_EEESZ_S10_S11_S18_S1C_S1E_T6_T7_T9_mT8_S1G_bDpT10_ENKUlT_T0_E_clISt17integral_constantIbLb1EES1T_IbLb0EEEEDaS1P_S1Q_EUlS1P_E_NS1_11comp_targetILNS1_3genE0ELNS1_11target_archE4294967295ELNS1_3gpuE0ELNS1_3repE0EEENS1_30default_config_static_selectorELNS0_4arch9wavefront6targetE0EEEvS12_.uses_vcc, 0
	.set _ZN7rocprim17ROCPRIM_400000_NS6detail17trampoline_kernelINS0_13select_configILj256ELj13ELNS0_17block_load_methodE3ELS4_3ELS4_3ELNS0_20block_scan_algorithmE0ELj4294967295EEENS1_25partition_config_selectorILNS1_17partition_subalgoE4EjNS0_10empty_typeEbEEZZNS1_14partition_implILS8_4ELb0ES6_15HIP_vector_typeIjLj2EENS0_17counting_iteratorIjlEEPS9_SG_NS0_5tupleIJPjSI_NS0_16reverse_iteratorISI_EEEEENSH_IJSG_SG_SG_EEES9_SI_JZNS1_25segmented_radix_sort_implINS0_14default_configELb1EPKfPfPKlPlN2at6native12_GLOBAL__N_18offset_tEEE10hipError_tPvRmT1_PNSt15iterator_traitsIS12_E10value_typeET2_T3_PNS13_IS18_E10value_typeET4_jRbjT5_S1E_jjP12ihipStream_tbEUljE_ZNSN_ISO_Lb1ESQ_SR_ST_SU_SY_EESZ_S10_S11_S12_S16_S17_S18_S1B_S1C_jS1D_jS1E_S1E_jjS1G_bEUljE0_EEESZ_S10_S11_S18_S1C_S1E_T6_T7_T9_mT8_S1G_bDpT10_ENKUlT_T0_E_clISt17integral_constantIbLb1EES1T_IbLb0EEEEDaS1P_S1Q_EUlS1P_E_NS1_11comp_targetILNS1_3genE0ELNS1_11target_archE4294967295ELNS1_3gpuE0ELNS1_3repE0EEENS1_30default_config_static_selectorELNS0_4arch9wavefront6targetE0EEEvS12_.uses_flat_scratch, 0
	.set _ZN7rocprim17ROCPRIM_400000_NS6detail17trampoline_kernelINS0_13select_configILj256ELj13ELNS0_17block_load_methodE3ELS4_3ELS4_3ELNS0_20block_scan_algorithmE0ELj4294967295EEENS1_25partition_config_selectorILNS1_17partition_subalgoE4EjNS0_10empty_typeEbEEZZNS1_14partition_implILS8_4ELb0ES6_15HIP_vector_typeIjLj2EENS0_17counting_iteratorIjlEEPS9_SG_NS0_5tupleIJPjSI_NS0_16reverse_iteratorISI_EEEEENSH_IJSG_SG_SG_EEES9_SI_JZNS1_25segmented_radix_sort_implINS0_14default_configELb1EPKfPfPKlPlN2at6native12_GLOBAL__N_18offset_tEEE10hipError_tPvRmT1_PNSt15iterator_traitsIS12_E10value_typeET2_T3_PNS13_IS18_E10value_typeET4_jRbjT5_S1E_jjP12ihipStream_tbEUljE_ZNSN_ISO_Lb1ESQ_SR_ST_SU_SY_EESZ_S10_S11_S12_S16_S17_S18_S1B_S1C_jS1D_jS1E_S1E_jjS1G_bEUljE0_EEESZ_S10_S11_S18_S1C_S1E_T6_T7_T9_mT8_S1G_bDpT10_ENKUlT_T0_E_clISt17integral_constantIbLb1EES1T_IbLb0EEEEDaS1P_S1Q_EUlS1P_E_NS1_11comp_targetILNS1_3genE0ELNS1_11target_archE4294967295ELNS1_3gpuE0ELNS1_3repE0EEENS1_30default_config_static_selectorELNS0_4arch9wavefront6targetE0EEEvS12_.has_dyn_sized_stack, 0
	.set _ZN7rocprim17ROCPRIM_400000_NS6detail17trampoline_kernelINS0_13select_configILj256ELj13ELNS0_17block_load_methodE3ELS4_3ELS4_3ELNS0_20block_scan_algorithmE0ELj4294967295EEENS1_25partition_config_selectorILNS1_17partition_subalgoE4EjNS0_10empty_typeEbEEZZNS1_14partition_implILS8_4ELb0ES6_15HIP_vector_typeIjLj2EENS0_17counting_iteratorIjlEEPS9_SG_NS0_5tupleIJPjSI_NS0_16reverse_iteratorISI_EEEEENSH_IJSG_SG_SG_EEES9_SI_JZNS1_25segmented_radix_sort_implINS0_14default_configELb1EPKfPfPKlPlN2at6native12_GLOBAL__N_18offset_tEEE10hipError_tPvRmT1_PNSt15iterator_traitsIS12_E10value_typeET2_T3_PNS13_IS18_E10value_typeET4_jRbjT5_S1E_jjP12ihipStream_tbEUljE_ZNSN_ISO_Lb1ESQ_SR_ST_SU_SY_EESZ_S10_S11_S12_S16_S17_S18_S1B_S1C_jS1D_jS1E_S1E_jjS1G_bEUljE0_EEESZ_S10_S11_S18_S1C_S1E_T6_T7_T9_mT8_S1G_bDpT10_ENKUlT_T0_E_clISt17integral_constantIbLb1EES1T_IbLb0EEEEDaS1P_S1Q_EUlS1P_E_NS1_11comp_targetILNS1_3genE0ELNS1_11target_archE4294967295ELNS1_3gpuE0ELNS1_3repE0EEENS1_30default_config_static_selectorELNS0_4arch9wavefront6targetE0EEEvS12_.has_recursion, 0
	.set _ZN7rocprim17ROCPRIM_400000_NS6detail17trampoline_kernelINS0_13select_configILj256ELj13ELNS0_17block_load_methodE3ELS4_3ELS4_3ELNS0_20block_scan_algorithmE0ELj4294967295EEENS1_25partition_config_selectorILNS1_17partition_subalgoE4EjNS0_10empty_typeEbEEZZNS1_14partition_implILS8_4ELb0ES6_15HIP_vector_typeIjLj2EENS0_17counting_iteratorIjlEEPS9_SG_NS0_5tupleIJPjSI_NS0_16reverse_iteratorISI_EEEEENSH_IJSG_SG_SG_EEES9_SI_JZNS1_25segmented_radix_sort_implINS0_14default_configELb1EPKfPfPKlPlN2at6native12_GLOBAL__N_18offset_tEEE10hipError_tPvRmT1_PNSt15iterator_traitsIS12_E10value_typeET2_T3_PNS13_IS18_E10value_typeET4_jRbjT5_S1E_jjP12ihipStream_tbEUljE_ZNSN_ISO_Lb1ESQ_SR_ST_SU_SY_EESZ_S10_S11_S12_S16_S17_S18_S1B_S1C_jS1D_jS1E_S1E_jjS1G_bEUljE0_EEESZ_S10_S11_S18_S1C_S1E_T6_T7_T9_mT8_S1G_bDpT10_ENKUlT_T0_E_clISt17integral_constantIbLb1EES1T_IbLb0EEEEDaS1P_S1Q_EUlS1P_E_NS1_11comp_targetILNS1_3genE0ELNS1_11target_archE4294967295ELNS1_3gpuE0ELNS1_3repE0EEENS1_30default_config_static_selectorELNS0_4arch9wavefront6targetE0EEEvS12_.has_indirect_call, 0
	.section	.AMDGPU.csdata,"",@progbits
; Kernel info:
; codeLenInByte = 0
; TotalNumSgprs: 0
; NumVgprs: 0
; ScratchSize: 0
; MemoryBound: 0
; FloatMode: 240
; IeeeMode: 1
; LDSByteSize: 0 bytes/workgroup (compile time only)
; SGPRBlocks: 0
; VGPRBlocks: 0
; NumSGPRsForWavesPerEU: 1
; NumVGPRsForWavesPerEU: 1
; Occupancy: 16
; WaveLimiterHint : 0
; COMPUTE_PGM_RSRC2:SCRATCH_EN: 0
; COMPUTE_PGM_RSRC2:USER_SGPR: 2
; COMPUTE_PGM_RSRC2:TRAP_HANDLER: 0
; COMPUTE_PGM_RSRC2:TGID_X_EN: 1
; COMPUTE_PGM_RSRC2:TGID_Y_EN: 0
; COMPUTE_PGM_RSRC2:TGID_Z_EN: 0
; COMPUTE_PGM_RSRC2:TIDIG_COMP_CNT: 0
	.section	.text._ZN7rocprim17ROCPRIM_400000_NS6detail17trampoline_kernelINS0_13select_configILj256ELj13ELNS0_17block_load_methodE3ELS4_3ELS4_3ELNS0_20block_scan_algorithmE0ELj4294967295EEENS1_25partition_config_selectorILNS1_17partition_subalgoE4EjNS0_10empty_typeEbEEZZNS1_14partition_implILS8_4ELb0ES6_15HIP_vector_typeIjLj2EENS0_17counting_iteratorIjlEEPS9_SG_NS0_5tupleIJPjSI_NS0_16reverse_iteratorISI_EEEEENSH_IJSG_SG_SG_EEES9_SI_JZNS1_25segmented_radix_sort_implINS0_14default_configELb1EPKfPfPKlPlN2at6native12_GLOBAL__N_18offset_tEEE10hipError_tPvRmT1_PNSt15iterator_traitsIS12_E10value_typeET2_T3_PNS13_IS18_E10value_typeET4_jRbjT5_S1E_jjP12ihipStream_tbEUljE_ZNSN_ISO_Lb1ESQ_SR_ST_SU_SY_EESZ_S10_S11_S12_S16_S17_S18_S1B_S1C_jS1D_jS1E_S1E_jjS1G_bEUljE0_EEESZ_S10_S11_S18_S1C_S1E_T6_T7_T9_mT8_S1G_bDpT10_ENKUlT_T0_E_clISt17integral_constantIbLb1EES1T_IbLb0EEEEDaS1P_S1Q_EUlS1P_E_NS1_11comp_targetILNS1_3genE5ELNS1_11target_archE942ELNS1_3gpuE9ELNS1_3repE0EEENS1_30default_config_static_selectorELNS0_4arch9wavefront6targetE0EEEvS12_,"axG",@progbits,_ZN7rocprim17ROCPRIM_400000_NS6detail17trampoline_kernelINS0_13select_configILj256ELj13ELNS0_17block_load_methodE3ELS4_3ELS4_3ELNS0_20block_scan_algorithmE0ELj4294967295EEENS1_25partition_config_selectorILNS1_17partition_subalgoE4EjNS0_10empty_typeEbEEZZNS1_14partition_implILS8_4ELb0ES6_15HIP_vector_typeIjLj2EENS0_17counting_iteratorIjlEEPS9_SG_NS0_5tupleIJPjSI_NS0_16reverse_iteratorISI_EEEEENSH_IJSG_SG_SG_EEES9_SI_JZNS1_25segmented_radix_sort_implINS0_14default_configELb1EPKfPfPKlPlN2at6native12_GLOBAL__N_18offset_tEEE10hipError_tPvRmT1_PNSt15iterator_traitsIS12_E10value_typeET2_T3_PNS13_IS18_E10value_typeET4_jRbjT5_S1E_jjP12ihipStream_tbEUljE_ZNSN_ISO_Lb1ESQ_SR_ST_SU_SY_EESZ_S10_S11_S12_S16_S17_S18_S1B_S1C_jS1D_jS1E_S1E_jjS1G_bEUljE0_EEESZ_S10_S11_S18_S1C_S1E_T6_T7_T9_mT8_S1G_bDpT10_ENKUlT_T0_E_clISt17integral_constantIbLb1EES1T_IbLb0EEEEDaS1P_S1Q_EUlS1P_E_NS1_11comp_targetILNS1_3genE5ELNS1_11target_archE942ELNS1_3gpuE9ELNS1_3repE0EEENS1_30default_config_static_selectorELNS0_4arch9wavefront6targetE0EEEvS12_,comdat
	.globl	_ZN7rocprim17ROCPRIM_400000_NS6detail17trampoline_kernelINS0_13select_configILj256ELj13ELNS0_17block_load_methodE3ELS4_3ELS4_3ELNS0_20block_scan_algorithmE0ELj4294967295EEENS1_25partition_config_selectorILNS1_17partition_subalgoE4EjNS0_10empty_typeEbEEZZNS1_14partition_implILS8_4ELb0ES6_15HIP_vector_typeIjLj2EENS0_17counting_iteratorIjlEEPS9_SG_NS0_5tupleIJPjSI_NS0_16reverse_iteratorISI_EEEEENSH_IJSG_SG_SG_EEES9_SI_JZNS1_25segmented_radix_sort_implINS0_14default_configELb1EPKfPfPKlPlN2at6native12_GLOBAL__N_18offset_tEEE10hipError_tPvRmT1_PNSt15iterator_traitsIS12_E10value_typeET2_T3_PNS13_IS18_E10value_typeET4_jRbjT5_S1E_jjP12ihipStream_tbEUljE_ZNSN_ISO_Lb1ESQ_SR_ST_SU_SY_EESZ_S10_S11_S12_S16_S17_S18_S1B_S1C_jS1D_jS1E_S1E_jjS1G_bEUljE0_EEESZ_S10_S11_S18_S1C_S1E_T6_T7_T9_mT8_S1G_bDpT10_ENKUlT_T0_E_clISt17integral_constantIbLb1EES1T_IbLb0EEEEDaS1P_S1Q_EUlS1P_E_NS1_11comp_targetILNS1_3genE5ELNS1_11target_archE942ELNS1_3gpuE9ELNS1_3repE0EEENS1_30default_config_static_selectorELNS0_4arch9wavefront6targetE0EEEvS12_ ; -- Begin function _ZN7rocprim17ROCPRIM_400000_NS6detail17trampoline_kernelINS0_13select_configILj256ELj13ELNS0_17block_load_methodE3ELS4_3ELS4_3ELNS0_20block_scan_algorithmE0ELj4294967295EEENS1_25partition_config_selectorILNS1_17partition_subalgoE4EjNS0_10empty_typeEbEEZZNS1_14partition_implILS8_4ELb0ES6_15HIP_vector_typeIjLj2EENS0_17counting_iteratorIjlEEPS9_SG_NS0_5tupleIJPjSI_NS0_16reverse_iteratorISI_EEEEENSH_IJSG_SG_SG_EEES9_SI_JZNS1_25segmented_radix_sort_implINS0_14default_configELb1EPKfPfPKlPlN2at6native12_GLOBAL__N_18offset_tEEE10hipError_tPvRmT1_PNSt15iterator_traitsIS12_E10value_typeET2_T3_PNS13_IS18_E10value_typeET4_jRbjT5_S1E_jjP12ihipStream_tbEUljE_ZNSN_ISO_Lb1ESQ_SR_ST_SU_SY_EESZ_S10_S11_S12_S16_S17_S18_S1B_S1C_jS1D_jS1E_S1E_jjS1G_bEUljE0_EEESZ_S10_S11_S18_S1C_S1E_T6_T7_T9_mT8_S1G_bDpT10_ENKUlT_T0_E_clISt17integral_constantIbLb1EES1T_IbLb0EEEEDaS1P_S1Q_EUlS1P_E_NS1_11comp_targetILNS1_3genE5ELNS1_11target_archE942ELNS1_3gpuE9ELNS1_3repE0EEENS1_30default_config_static_selectorELNS0_4arch9wavefront6targetE0EEEvS12_
	.p2align	8
	.type	_ZN7rocprim17ROCPRIM_400000_NS6detail17trampoline_kernelINS0_13select_configILj256ELj13ELNS0_17block_load_methodE3ELS4_3ELS4_3ELNS0_20block_scan_algorithmE0ELj4294967295EEENS1_25partition_config_selectorILNS1_17partition_subalgoE4EjNS0_10empty_typeEbEEZZNS1_14partition_implILS8_4ELb0ES6_15HIP_vector_typeIjLj2EENS0_17counting_iteratorIjlEEPS9_SG_NS0_5tupleIJPjSI_NS0_16reverse_iteratorISI_EEEEENSH_IJSG_SG_SG_EEES9_SI_JZNS1_25segmented_radix_sort_implINS0_14default_configELb1EPKfPfPKlPlN2at6native12_GLOBAL__N_18offset_tEEE10hipError_tPvRmT1_PNSt15iterator_traitsIS12_E10value_typeET2_T3_PNS13_IS18_E10value_typeET4_jRbjT5_S1E_jjP12ihipStream_tbEUljE_ZNSN_ISO_Lb1ESQ_SR_ST_SU_SY_EESZ_S10_S11_S12_S16_S17_S18_S1B_S1C_jS1D_jS1E_S1E_jjS1G_bEUljE0_EEESZ_S10_S11_S18_S1C_S1E_T6_T7_T9_mT8_S1G_bDpT10_ENKUlT_T0_E_clISt17integral_constantIbLb1EES1T_IbLb0EEEEDaS1P_S1Q_EUlS1P_E_NS1_11comp_targetILNS1_3genE5ELNS1_11target_archE942ELNS1_3gpuE9ELNS1_3repE0EEENS1_30default_config_static_selectorELNS0_4arch9wavefront6targetE0EEEvS12_,@function
_ZN7rocprim17ROCPRIM_400000_NS6detail17trampoline_kernelINS0_13select_configILj256ELj13ELNS0_17block_load_methodE3ELS4_3ELS4_3ELNS0_20block_scan_algorithmE0ELj4294967295EEENS1_25partition_config_selectorILNS1_17partition_subalgoE4EjNS0_10empty_typeEbEEZZNS1_14partition_implILS8_4ELb0ES6_15HIP_vector_typeIjLj2EENS0_17counting_iteratorIjlEEPS9_SG_NS0_5tupleIJPjSI_NS0_16reverse_iteratorISI_EEEEENSH_IJSG_SG_SG_EEES9_SI_JZNS1_25segmented_radix_sort_implINS0_14default_configELb1EPKfPfPKlPlN2at6native12_GLOBAL__N_18offset_tEEE10hipError_tPvRmT1_PNSt15iterator_traitsIS12_E10value_typeET2_T3_PNS13_IS18_E10value_typeET4_jRbjT5_S1E_jjP12ihipStream_tbEUljE_ZNSN_ISO_Lb1ESQ_SR_ST_SU_SY_EESZ_S10_S11_S12_S16_S17_S18_S1B_S1C_jS1D_jS1E_S1E_jjS1G_bEUljE0_EEESZ_S10_S11_S18_S1C_S1E_T6_T7_T9_mT8_S1G_bDpT10_ENKUlT_T0_E_clISt17integral_constantIbLb1EES1T_IbLb0EEEEDaS1P_S1Q_EUlS1P_E_NS1_11comp_targetILNS1_3genE5ELNS1_11target_archE942ELNS1_3gpuE9ELNS1_3repE0EEENS1_30default_config_static_selectorELNS0_4arch9wavefront6targetE0EEEvS12_: ; @_ZN7rocprim17ROCPRIM_400000_NS6detail17trampoline_kernelINS0_13select_configILj256ELj13ELNS0_17block_load_methodE3ELS4_3ELS4_3ELNS0_20block_scan_algorithmE0ELj4294967295EEENS1_25partition_config_selectorILNS1_17partition_subalgoE4EjNS0_10empty_typeEbEEZZNS1_14partition_implILS8_4ELb0ES6_15HIP_vector_typeIjLj2EENS0_17counting_iteratorIjlEEPS9_SG_NS0_5tupleIJPjSI_NS0_16reverse_iteratorISI_EEEEENSH_IJSG_SG_SG_EEES9_SI_JZNS1_25segmented_radix_sort_implINS0_14default_configELb1EPKfPfPKlPlN2at6native12_GLOBAL__N_18offset_tEEE10hipError_tPvRmT1_PNSt15iterator_traitsIS12_E10value_typeET2_T3_PNS13_IS18_E10value_typeET4_jRbjT5_S1E_jjP12ihipStream_tbEUljE_ZNSN_ISO_Lb1ESQ_SR_ST_SU_SY_EESZ_S10_S11_S12_S16_S17_S18_S1B_S1C_jS1D_jS1E_S1E_jjS1G_bEUljE0_EEESZ_S10_S11_S18_S1C_S1E_T6_T7_T9_mT8_S1G_bDpT10_ENKUlT_T0_E_clISt17integral_constantIbLb1EES1T_IbLb0EEEEDaS1P_S1Q_EUlS1P_E_NS1_11comp_targetILNS1_3genE5ELNS1_11target_archE942ELNS1_3gpuE9ELNS1_3repE0EEENS1_30default_config_static_selectorELNS0_4arch9wavefront6targetE0EEEvS12_
; %bb.0:
	.section	.rodata,"a",@progbits
	.p2align	6, 0x0
	.amdhsa_kernel _ZN7rocprim17ROCPRIM_400000_NS6detail17trampoline_kernelINS0_13select_configILj256ELj13ELNS0_17block_load_methodE3ELS4_3ELS4_3ELNS0_20block_scan_algorithmE0ELj4294967295EEENS1_25partition_config_selectorILNS1_17partition_subalgoE4EjNS0_10empty_typeEbEEZZNS1_14partition_implILS8_4ELb0ES6_15HIP_vector_typeIjLj2EENS0_17counting_iteratorIjlEEPS9_SG_NS0_5tupleIJPjSI_NS0_16reverse_iteratorISI_EEEEENSH_IJSG_SG_SG_EEES9_SI_JZNS1_25segmented_radix_sort_implINS0_14default_configELb1EPKfPfPKlPlN2at6native12_GLOBAL__N_18offset_tEEE10hipError_tPvRmT1_PNSt15iterator_traitsIS12_E10value_typeET2_T3_PNS13_IS18_E10value_typeET4_jRbjT5_S1E_jjP12ihipStream_tbEUljE_ZNSN_ISO_Lb1ESQ_SR_ST_SU_SY_EESZ_S10_S11_S12_S16_S17_S18_S1B_S1C_jS1D_jS1E_S1E_jjS1G_bEUljE0_EEESZ_S10_S11_S18_S1C_S1E_T6_T7_T9_mT8_S1G_bDpT10_ENKUlT_T0_E_clISt17integral_constantIbLb1EES1T_IbLb0EEEEDaS1P_S1Q_EUlS1P_E_NS1_11comp_targetILNS1_3genE5ELNS1_11target_archE942ELNS1_3gpuE9ELNS1_3repE0EEENS1_30default_config_static_selectorELNS0_4arch9wavefront6targetE0EEEvS12_
		.amdhsa_group_segment_fixed_size 0
		.amdhsa_private_segment_fixed_size 0
		.amdhsa_kernarg_size 176
		.amdhsa_user_sgpr_count 2
		.amdhsa_user_sgpr_dispatch_ptr 0
		.amdhsa_user_sgpr_queue_ptr 0
		.amdhsa_user_sgpr_kernarg_segment_ptr 1
		.amdhsa_user_sgpr_dispatch_id 0
		.amdhsa_user_sgpr_private_segment_size 0
		.amdhsa_wavefront_size32 1
		.amdhsa_uses_dynamic_stack 0
		.amdhsa_enable_private_segment 0
		.amdhsa_system_sgpr_workgroup_id_x 1
		.amdhsa_system_sgpr_workgroup_id_y 0
		.amdhsa_system_sgpr_workgroup_id_z 0
		.amdhsa_system_sgpr_workgroup_info 0
		.amdhsa_system_vgpr_workitem_id 0
		.amdhsa_next_free_vgpr 1
		.amdhsa_next_free_sgpr 1
		.amdhsa_reserve_vcc 0
		.amdhsa_float_round_mode_32 0
		.amdhsa_float_round_mode_16_64 0
		.amdhsa_float_denorm_mode_32 3
		.amdhsa_float_denorm_mode_16_64 3
		.amdhsa_fp16_overflow 0
		.amdhsa_workgroup_processor_mode 1
		.amdhsa_memory_ordered 1
		.amdhsa_forward_progress 1
		.amdhsa_inst_pref_size 0
		.amdhsa_round_robin_scheduling 0
		.amdhsa_exception_fp_ieee_invalid_op 0
		.amdhsa_exception_fp_denorm_src 0
		.amdhsa_exception_fp_ieee_div_zero 0
		.amdhsa_exception_fp_ieee_overflow 0
		.amdhsa_exception_fp_ieee_underflow 0
		.amdhsa_exception_fp_ieee_inexact 0
		.amdhsa_exception_int_div_zero 0
	.end_amdhsa_kernel
	.section	.text._ZN7rocprim17ROCPRIM_400000_NS6detail17trampoline_kernelINS0_13select_configILj256ELj13ELNS0_17block_load_methodE3ELS4_3ELS4_3ELNS0_20block_scan_algorithmE0ELj4294967295EEENS1_25partition_config_selectorILNS1_17partition_subalgoE4EjNS0_10empty_typeEbEEZZNS1_14partition_implILS8_4ELb0ES6_15HIP_vector_typeIjLj2EENS0_17counting_iteratorIjlEEPS9_SG_NS0_5tupleIJPjSI_NS0_16reverse_iteratorISI_EEEEENSH_IJSG_SG_SG_EEES9_SI_JZNS1_25segmented_radix_sort_implINS0_14default_configELb1EPKfPfPKlPlN2at6native12_GLOBAL__N_18offset_tEEE10hipError_tPvRmT1_PNSt15iterator_traitsIS12_E10value_typeET2_T3_PNS13_IS18_E10value_typeET4_jRbjT5_S1E_jjP12ihipStream_tbEUljE_ZNSN_ISO_Lb1ESQ_SR_ST_SU_SY_EESZ_S10_S11_S12_S16_S17_S18_S1B_S1C_jS1D_jS1E_S1E_jjS1G_bEUljE0_EEESZ_S10_S11_S18_S1C_S1E_T6_T7_T9_mT8_S1G_bDpT10_ENKUlT_T0_E_clISt17integral_constantIbLb1EES1T_IbLb0EEEEDaS1P_S1Q_EUlS1P_E_NS1_11comp_targetILNS1_3genE5ELNS1_11target_archE942ELNS1_3gpuE9ELNS1_3repE0EEENS1_30default_config_static_selectorELNS0_4arch9wavefront6targetE0EEEvS12_,"axG",@progbits,_ZN7rocprim17ROCPRIM_400000_NS6detail17trampoline_kernelINS0_13select_configILj256ELj13ELNS0_17block_load_methodE3ELS4_3ELS4_3ELNS0_20block_scan_algorithmE0ELj4294967295EEENS1_25partition_config_selectorILNS1_17partition_subalgoE4EjNS0_10empty_typeEbEEZZNS1_14partition_implILS8_4ELb0ES6_15HIP_vector_typeIjLj2EENS0_17counting_iteratorIjlEEPS9_SG_NS0_5tupleIJPjSI_NS0_16reverse_iteratorISI_EEEEENSH_IJSG_SG_SG_EEES9_SI_JZNS1_25segmented_radix_sort_implINS0_14default_configELb1EPKfPfPKlPlN2at6native12_GLOBAL__N_18offset_tEEE10hipError_tPvRmT1_PNSt15iterator_traitsIS12_E10value_typeET2_T3_PNS13_IS18_E10value_typeET4_jRbjT5_S1E_jjP12ihipStream_tbEUljE_ZNSN_ISO_Lb1ESQ_SR_ST_SU_SY_EESZ_S10_S11_S12_S16_S17_S18_S1B_S1C_jS1D_jS1E_S1E_jjS1G_bEUljE0_EEESZ_S10_S11_S18_S1C_S1E_T6_T7_T9_mT8_S1G_bDpT10_ENKUlT_T0_E_clISt17integral_constantIbLb1EES1T_IbLb0EEEEDaS1P_S1Q_EUlS1P_E_NS1_11comp_targetILNS1_3genE5ELNS1_11target_archE942ELNS1_3gpuE9ELNS1_3repE0EEENS1_30default_config_static_selectorELNS0_4arch9wavefront6targetE0EEEvS12_,comdat
.Lfunc_end1278:
	.size	_ZN7rocprim17ROCPRIM_400000_NS6detail17trampoline_kernelINS0_13select_configILj256ELj13ELNS0_17block_load_methodE3ELS4_3ELS4_3ELNS0_20block_scan_algorithmE0ELj4294967295EEENS1_25partition_config_selectorILNS1_17partition_subalgoE4EjNS0_10empty_typeEbEEZZNS1_14partition_implILS8_4ELb0ES6_15HIP_vector_typeIjLj2EENS0_17counting_iteratorIjlEEPS9_SG_NS0_5tupleIJPjSI_NS0_16reverse_iteratorISI_EEEEENSH_IJSG_SG_SG_EEES9_SI_JZNS1_25segmented_radix_sort_implINS0_14default_configELb1EPKfPfPKlPlN2at6native12_GLOBAL__N_18offset_tEEE10hipError_tPvRmT1_PNSt15iterator_traitsIS12_E10value_typeET2_T3_PNS13_IS18_E10value_typeET4_jRbjT5_S1E_jjP12ihipStream_tbEUljE_ZNSN_ISO_Lb1ESQ_SR_ST_SU_SY_EESZ_S10_S11_S12_S16_S17_S18_S1B_S1C_jS1D_jS1E_S1E_jjS1G_bEUljE0_EEESZ_S10_S11_S18_S1C_S1E_T6_T7_T9_mT8_S1G_bDpT10_ENKUlT_T0_E_clISt17integral_constantIbLb1EES1T_IbLb0EEEEDaS1P_S1Q_EUlS1P_E_NS1_11comp_targetILNS1_3genE5ELNS1_11target_archE942ELNS1_3gpuE9ELNS1_3repE0EEENS1_30default_config_static_selectorELNS0_4arch9wavefront6targetE0EEEvS12_, .Lfunc_end1278-_ZN7rocprim17ROCPRIM_400000_NS6detail17trampoline_kernelINS0_13select_configILj256ELj13ELNS0_17block_load_methodE3ELS4_3ELS4_3ELNS0_20block_scan_algorithmE0ELj4294967295EEENS1_25partition_config_selectorILNS1_17partition_subalgoE4EjNS0_10empty_typeEbEEZZNS1_14partition_implILS8_4ELb0ES6_15HIP_vector_typeIjLj2EENS0_17counting_iteratorIjlEEPS9_SG_NS0_5tupleIJPjSI_NS0_16reverse_iteratorISI_EEEEENSH_IJSG_SG_SG_EEES9_SI_JZNS1_25segmented_radix_sort_implINS0_14default_configELb1EPKfPfPKlPlN2at6native12_GLOBAL__N_18offset_tEEE10hipError_tPvRmT1_PNSt15iterator_traitsIS12_E10value_typeET2_T3_PNS13_IS18_E10value_typeET4_jRbjT5_S1E_jjP12ihipStream_tbEUljE_ZNSN_ISO_Lb1ESQ_SR_ST_SU_SY_EESZ_S10_S11_S12_S16_S17_S18_S1B_S1C_jS1D_jS1E_S1E_jjS1G_bEUljE0_EEESZ_S10_S11_S18_S1C_S1E_T6_T7_T9_mT8_S1G_bDpT10_ENKUlT_T0_E_clISt17integral_constantIbLb1EES1T_IbLb0EEEEDaS1P_S1Q_EUlS1P_E_NS1_11comp_targetILNS1_3genE5ELNS1_11target_archE942ELNS1_3gpuE9ELNS1_3repE0EEENS1_30default_config_static_selectorELNS0_4arch9wavefront6targetE0EEEvS12_
                                        ; -- End function
	.set _ZN7rocprim17ROCPRIM_400000_NS6detail17trampoline_kernelINS0_13select_configILj256ELj13ELNS0_17block_load_methodE3ELS4_3ELS4_3ELNS0_20block_scan_algorithmE0ELj4294967295EEENS1_25partition_config_selectorILNS1_17partition_subalgoE4EjNS0_10empty_typeEbEEZZNS1_14partition_implILS8_4ELb0ES6_15HIP_vector_typeIjLj2EENS0_17counting_iteratorIjlEEPS9_SG_NS0_5tupleIJPjSI_NS0_16reverse_iteratorISI_EEEEENSH_IJSG_SG_SG_EEES9_SI_JZNS1_25segmented_radix_sort_implINS0_14default_configELb1EPKfPfPKlPlN2at6native12_GLOBAL__N_18offset_tEEE10hipError_tPvRmT1_PNSt15iterator_traitsIS12_E10value_typeET2_T3_PNS13_IS18_E10value_typeET4_jRbjT5_S1E_jjP12ihipStream_tbEUljE_ZNSN_ISO_Lb1ESQ_SR_ST_SU_SY_EESZ_S10_S11_S12_S16_S17_S18_S1B_S1C_jS1D_jS1E_S1E_jjS1G_bEUljE0_EEESZ_S10_S11_S18_S1C_S1E_T6_T7_T9_mT8_S1G_bDpT10_ENKUlT_T0_E_clISt17integral_constantIbLb1EES1T_IbLb0EEEEDaS1P_S1Q_EUlS1P_E_NS1_11comp_targetILNS1_3genE5ELNS1_11target_archE942ELNS1_3gpuE9ELNS1_3repE0EEENS1_30default_config_static_selectorELNS0_4arch9wavefront6targetE0EEEvS12_.num_vgpr, 0
	.set _ZN7rocprim17ROCPRIM_400000_NS6detail17trampoline_kernelINS0_13select_configILj256ELj13ELNS0_17block_load_methodE3ELS4_3ELS4_3ELNS0_20block_scan_algorithmE0ELj4294967295EEENS1_25partition_config_selectorILNS1_17partition_subalgoE4EjNS0_10empty_typeEbEEZZNS1_14partition_implILS8_4ELb0ES6_15HIP_vector_typeIjLj2EENS0_17counting_iteratorIjlEEPS9_SG_NS0_5tupleIJPjSI_NS0_16reverse_iteratorISI_EEEEENSH_IJSG_SG_SG_EEES9_SI_JZNS1_25segmented_radix_sort_implINS0_14default_configELb1EPKfPfPKlPlN2at6native12_GLOBAL__N_18offset_tEEE10hipError_tPvRmT1_PNSt15iterator_traitsIS12_E10value_typeET2_T3_PNS13_IS18_E10value_typeET4_jRbjT5_S1E_jjP12ihipStream_tbEUljE_ZNSN_ISO_Lb1ESQ_SR_ST_SU_SY_EESZ_S10_S11_S12_S16_S17_S18_S1B_S1C_jS1D_jS1E_S1E_jjS1G_bEUljE0_EEESZ_S10_S11_S18_S1C_S1E_T6_T7_T9_mT8_S1G_bDpT10_ENKUlT_T0_E_clISt17integral_constantIbLb1EES1T_IbLb0EEEEDaS1P_S1Q_EUlS1P_E_NS1_11comp_targetILNS1_3genE5ELNS1_11target_archE942ELNS1_3gpuE9ELNS1_3repE0EEENS1_30default_config_static_selectorELNS0_4arch9wavefront6targetE0EEEvS12_.num_agpr, 0
	.set _ZN7rocprim17ROCPRIM_400000_NS6detail17trampoline_kernelINS0_13select_configILj256ELj13ELNS0_17block_load_methodE3ELS4_3ELS4_3ELNS0_20block_scan_algorithmE0ELj4294967295EEENS1_25partition_config_selectorILNS1_17partition_subalgoE4EjNS0_10empty_typeEbEEZZNS1_14partition_implILS8_4ELb0ES6_15HIP_vector_typeIjLj2EENS0_17counting_iteratorIjlEEPS9_SG_NS0_5tupleIJPjSI_NS0_16reverse_iteratorISI_EEEEENSH_IJSG_SG_SG_EEES9_SI_JZNS1_25segmented_radix_sort_implINS0_14default_configELb1EPKfPfPKlPlN2at6native12_GLOBAL__N_18offset_tEEE10hipError_tPvRmT1_PNSt15iterator_traitsIS12_E10value_typeET2_T3_PNS13_IS18_E10value_typeET4_jRbjT5_S1E_jjP12ihipStream_tbEUljE_ZNSN_ISO_Lb1ESQ_SR_ST_SU_SY_EESZ_S10_S11_S12_S16_S17_S18_S1B_S1C_jS1D_jS1E_S1E_jjS1G_bEUljE0_EEESZ_S10_S11_S18_S1C_S1E_T6_T7_T9_mT8_S1G_bDpT10_ENKUlT_T0_E_clISt17integral_constantIbLb1EES1T_IbLb0EEEEDaS1P_S1Q_EUlS1P_E_NS1_11comp_targetILNS1_3genE5ELNS1_11target_archE942ELNS1_3gpuE9ELNS1_3repE0EEENS1_30default_config_static_selectorELNS0_4arch9wavefront6targetE0EEEvS12_.numbered_sgpr, 0
	.set _ZN7rocprim17ROCPRIM_400000_NS6detail17trampoline_kernelINS0_13select_configILj256ELj13ELNS0_17block_load_methodE3ELS4_3ELS4_3ELNS0_20block_scan_algorithmE0ELj4294967295EEENS1_25partition_config_selectorILNS1_17partition_subalgoE4EjNS0_10empty_typeEbEEZZNS1_14partition_implILS8_4ELb0ES6_15HIP_vector_typeIjLj2EENS0_17counting_iteratorIjlEEPS9_SG_NS0_5tupleIJPjSI_NS0_16reverse_iteratorISI_EEEEENSH_IJSG_SG_SG_EEES9_SI_JZNS1_25segmented_radix_sort_implINS0_14default_configELb1EPKfPfPKlPlN2at6native12_GLOBAL__N_18offset_tEEE10hipError_tPvRmT1_PNSt15iterator_traitsIS12_E10value_typeET2_T3_PNS13_IS18_E10value_typeET4_jRbjT5_S1E_jjP12ihipStream_tbEUljE_ZNSN_ISO_Lb1ESQ_SR_ST_SU_SY_EESZ_S10_S11_S12_S16_S17_S18_S1B_S1C_jS1D_jS1E_S1E_jjS1G_bEUljE0_EEESZ_S10_S11_S18_S1C_S1E_T6_T7_T9_mT8_S1G_bDpT10_ENKUlT_T0_E_clISt17integral_constantIbLb1EES1T_IbLb0EEEEDaS1P_S1Q_EUlS1P_E_NS1_11comp_targetILNS1_3genE5ELNS1_11target_archE942ELNS1_3gpuE9ELNS1_3repE0EEENS1_30default_config_static_selectorELNS0_4arch9wavefront6targetE0EEEvS12_.num_named_barrier, 0
	.set _ZN7rocprim17ROCPRIM_400000_NS6detail17trampoline_kernelINS0_13select_configILj256ELj13ELNS0_17block_load_methodE3ELS4_3ELS4_3ELNS0_20block_scan_algorithmE0ELj4294967295EEENS1_25partition_config_selectorILNS1_17partition_subalgoE4EjNS0_10empty_typeEbEEZZNS1_14partition_implILS8_4ELb0ES6_15HIP_vector_typeIjLj2EENS0_17counting_iteratorIjlEEPS9_SG_NS0_5tupleIJPjSI_NS0_16reverse_iteratorISI_EEEEENSH_IJSG_SG_SG_EEES9_SI_JZNS1_25segmented_radix_sort_implINS0_14default_configELb1EPKfPfPKlPlN2at6native12_GLOBAL__N_18offset_tEEE10hipError_tPvRmT1_PNSt15iterator_traitsIS12_E10value_typeET2_T3_PNS13_IS18_E10value_typeET4_jRbjT5_S1E_jjP12ihipStream_tbEUljE_ZNSN_ISO_Lb1ESQ_SR_ST_SU_SY_EESZ_S10_S11_S12_S16_S17_S18_S1B_S1C_jS1D_jS1E_S1E_jjS1G_bEUljE0_EEESZ_S10_S11_S18_S1C_S1E_T6_T7_T9_mT8_S1G_bDpT10_ENKUlT_T0_E_clISt17integral_constantIbLb1EES1T_IbLb0EEEEDaS1P_S1Q_EUlS1P_E_NS1_11comp_targetILNS1_3genE5ELNS1_11target_archE942ELNS1_3gpuE9ELNS1_3repE0EEENS1_30default_config_static_selectorELNS0_4arch9wavefront6targetE0EEEvS12_.private_seg_size, 0
	.set _ZN7rocprim17ROCPRIM_400000_NS6detail17trampoline_kernelINS0_13select_configILj256ELj13ELNS0_17block_load_methodE3ELS4_3ELS4_3ELNS0_20block_scan_algorithmE0ELj4294967295EEENS1_25partition_config_selectorILNS1_17partition_subalgoE4EjNS0_10empty_typeEbEEZZNS1_14partition_implILS8_4ELb0ES6_15HIP_vector_typeIjLj2EENS0_17counting_iteratorIjlEEPS9_SG_NS0_5tupleIJPjSI_NS0_16reverse_iteratorISI_EEEEENSH_IJSG_SG_SG_EEES9_SI_JZNS1_25segmented_radix_sort_implINS0_14default_configELb1EPKfPfPKlPlN2at6native12_GLOBAL__N_18offset_tEEE10hipError_tPvRmT1_PNSt15iterator_traitsIS12_E10value_typeET2_T3_PNS13_IS18_E10value_typeET4_jRbjT5_S1E_jjP12ihipStream_tbEUljE_ZNSN_ISO_Lb1ESQ_SR_ST_SU_SY_EESZ_S10_S11_S12_S16_S17_S18_S1B_S1C_jS1D_jS1E_S1E_jjS1G_bEUljE0_EEESZ_S10_S11_S18_S1C_S1E_T6_T7_T9_mT8_S1G_bDpT10_ENKUlT_T0_E_clISt17integral_constantIbLb1EES1T_IbLb0EEEEDaS1P_S1Q_EUlS1P_E_NS1_11comp_targetILNS1_3genE5ELNS1_11target_archE942ELNS1_3gpuE9ELNS1_3repE0EEENS1_30default_config_static_selectorELNS0_4arch9wavefront6targetE0EEEvS12_.uses_vcc, 0
	.set _ZN7rocprim17ROCPRIM_400000_NS6detail17trampoline_kernelINS0_13select_configILj256ELj13ELNS0_17block_load_methodE3ELS4_3ELS4_3ELNS0_20block_scan_algorithmE0ELj4294967295EEENS1_25partition_config_selectorILNS1_17partition_subalgoE4EjNS0_10empty_typeEbEEZZNS1_14partition_implILS8_4ELb0ES6_15HIP_vector_typeIjLj2EENS0_17counting_iteratorIjlEEPS9_SG_NS0_5tupleIJPjSI_NS0_16reverse_iteratorISI_EEEEENSH_IJSG_SG_SG_EEES9_SI_JZNS1_25segmented_radix_sort_implINS0_14default_configELb1EPKfPfPKlPlN2at6native12_GLOBAL__N_18offset_tEEE10hipError_tPvRmT1_PNSt15iterator_traitsIS12_E10value_typeET2_T3_PNS13_IS18_E10value_typeET4_jRbjT5_S1E_jjP12ihipStream_tbEUljE_ZNSN_ISO_Lb1ESQ_SR_ST_SU_SY_EESZ_S10_S11_S12_S16_S17_S18_S1B_S1C_jS1D_jS1E_S1E_jjS1G_bEUljE0_EEESZ_S10_S11_S18_S1C_S1E_T6_T7_T9_mT8_S1G_bDpT10_ENKUlT_T0_E_clISt17integral_constantIbLb1EES1T_IbLb0EEEEDaS1P_S1Q_EUlS1P_E_NS1_11comp_targetILNS1_3genE5ELNS1_11target_archE942ELNS1_3gpuE9ELNS1_3repE0EEENS1_30default_config_static_selectorELNS0_4arch9wavefront6targetE0EEEvS12_.uses_flat_scratch, 0
	.set _ZN7rocprim17ROCPRIM_400000_NS6detail17trampoline_kernelINS0_13select_configILj256ELj13ELNS0_17block_load_methodE3ELS4_3ELS4_3ELNS0_20block_scan_algorithmE0ELj4294967295EEENS1_25partition_config_selectorILNS1_17partition_subalgoE4EjNS0_10empty_typeEbEEZZNS1_14partition_implILS8_4ELb0ES6_15HIP_vector_typeIjLj2EENS0_17counting_iteratorIjlEEPS9_SG_NS0_5tupleIJPjSI_NS0_16reverse_iteratorISI_EEEEENSH_IJSG_SG_SG_EEES9_SI_JZNS1_25segmented_radix_sort_implINS0_14default_configELb1EPKfPfPKlPlN2at6native12_GLOBAL__N_18offset_tEEE10hipError_tPvRmT1_PNSt15iterator_traitsIS12_E10value_typeET2_T3_PNS13_IS18_E10value_typeET4_jRbjT5_S1E_jjP12ihipStream_tbEUljE_ZNSN_ISO_Lb1ESQ_SR_ST_SU_SY_EESZ_S10_S11_S12_S16_S17_S18_S1B_S1C_jS1D_jS1E_S1E_jjS1G_bEUljE0_EEESZ_S10_S11_S18_S1C_S1E_T6_T7_T9_mT8_S1G_bDpT10_ENKUlT_T0_E_clISt17integral_constantIbLb1EES1T_IbLb0EEEEDaS1P_S1Q_EUlS1P_E_NS1_11comp_targetILNS1_3genE5ELNS1_11target_archE942ELNS1_3gpuE9ELNS1_3repE0EEENS1_30default_config_static_selectorELNS0_4arch9wavefront6targetE0EEEvS12_.has_dyn_sized_stack, 0
	.set _ZN7rocprim17ROCPRIM_400000_NS6detail17trampoline_kernelINS0_13select_configILj256ELj13ELNS0_17block_load_methodE3ELS4_3ELS4_3ELNS0_20block_scan_algorithmE0ELj4294967295EEENS1_25partition_config_selectorILNS1_17partition_subalgoE4EjNS0_10empty_typeEbEEZZNS1_14partition_implILS8_4ELb0ES6_15HIP_vector_typeIjLj2EENS0_17counting_iteratorIjlEEPS9_SG_NS0_5tupleIJPjSI_NS0_16reverse_iteratorISI_EEEEENSH_IJSG_SG_SG_EEES9_SI_JZNS1_25segmented_radix_sort_implINS0_14default_configELb1EPKfPfPKlPlN2at6native12_GLOBAL__N_18offset_tEEE10hipError_tPvRmT1_PNSt15iterator_traitsIS12_E10value_typeET2_T3_PNS13_IS18_E10value_typeET4_jRbjT5_S1E_jjP12ihipStream_tbEUljE_ZNSN_ISO_Lb1ESQ_SR_ST_SU_SY_EESZ_S10_S11_S12_S16_S17_S18_S1B_S1C_jS1D_jS1E_S1E_jjS1G_bEUljE0_EEESZ_S10_S11_S18_S1C_S1E_T6_T7_T9_mT8_S1G_bDpT10_ENKUlT_T0_E_clISt17integral_constantIbLb1EES1T_IbLb0EEEEDaS1P_S1Q_EUlS1P_E_NS1_11comp_targetILNS1_3genE5ELNS1_11target_archE942ELNS1_3gpuE9ELNS1_3repE0EEENS1_30default_config_static_selectorELNS0_4arch9wavefront6targetE0EEEvS12_.has_recursion, 0
	.set _ZN7rocprim17ROCPRIM_400000_NS6detail17trampoline_kernelINS0_13select_configILj256ELj13ELNS0_17block_load_methodE3ELS4_3ELS4_3ELNS0_20block_scan_algorithmE0ELj4294967295EEENS1_25partition_config_selectorILNS1_17partition_subalgoE4EjNS0_10empty_typeEbEEZZNS1_14partition_implILS8_4ELb0ES6_15HIP_vector_typeIjLj2EENS0_17counting_iteratorIjlEEPS9_SG_NS0_5tupleIJPjSI_NS0_16reverse_iteratorISI_EEEEENSH_IJSG_SG_SG_EEES9_SI_JZNS1_25segmented_radix_sort_implINS0_14default_configELb1EPKfPfPKlPlN2at6native12_GLOBAL__N_18offset_tEEE10hipError_tPvRmT1_PNSt15iterator_traitsIS12_E10value_typeET2_T3_PNS13_IS18_E10value_typeET4_jRbjT5_S1E_jjP12ihipStream_tbEUljE_ZNSN_ISO_Lb1ESQ_SR_ST_SU_SY_EESZ_S10_S11_S12_S16_S17_S18_S1B_S1C_jS1D_jS1E_S1E_jjS1G_bEUljE0_EEESZ_S10_S11_S18_S1C_S1E_T6_T7_T9_mT8_S1G_bDpT10_ENKUlT_T0_E_clISt17integral_constantIbLb1EES1T_IbLb0EEEEDaS1P_S1Q_EUlS1P_E_NS1_11comp_targetILNS1_3genE5ELNS1_11target_archE942ELNS1_3gpuE9ELNS1_3repE0EEENS1_30default_config_static_selectorELNS0_4arch9wavefront6targetE0EEEvS12_.has_indirect_call, 0
	.section	.AMDGPU.csdata,"",@progbits
; Kernel info:
; codeLenInByte = 0
; TotalNumSgprs: 0
; NumVgprs: 0
; ScratchSize: 0
; MemoryBound: 0
; FloatMode: 240
; IeeeMode: 1
; LDSByteSize: 0 bytes/workgroup (compile time only)
; SGPRBlocks: 0
; VGPRBlocks: 0
; NumSGPRsForWavesPerEU: 1
; NumVGPRsForWavesPerEU: 1
; Occupancy: 16
; WaveLimiterHint : 0
; COMPUTE_PGM_RSRC2:SCRATCH_EN: 0
; COMPUTE_PGM_RSRC2:USER_SGPR: 2
; COMPUTE_PGM_RSRC2:TRAP_HANDLER: 0
; COMPUTE_PGM_RSRC2:TGID_X_EN: 1
; COMPUTE_PGM_RSRC2:TGID_Y_EN: 0
; COMPUTE_PGM_RSRC2:TGID_Z_EN: 0
; COMPUTE_PGM_RSRC2:TIDIG_COMP_CNT: 0
	.section	.text._ZN7rocprim17ROCPRIM_400000_NS6detail17trampoline_kernelINS0_13select_configILj256ELj13ELNS0_17block_load_methodE3ELS4_3ELS4_3ELNS0_20block_scan_algorithmE0ELj4294967295EEENS1_25partition_config_selectorILNS1_17partition_subalgoE4EjNS0_10empty_typeEbEEZZNS1_14partition_implILS8_4ELb0ES6_15HIP_vector_typeIjLj2EENS0_17counting_iteratorIjlEEPS9_SG_NS0_5tupleIJPjSI_NS0_16reverse_iteratorISI_EEEEENSH_IJSG_SG_SG_EEES9_SI_JZNS1_25segmented_radix_sort_implINS0_14default_configELb1EPKfPfPKlPlN2at6native12_GLOBAL__N_18offset_tEEE10hipError_tPvRmT1_PNSt15iterator_traitsIS12_E10value_typeET2_T3_PNS13_IS18_E10value_typeET4_jRbjT5_S1E_jjP12ihipStream_tbEUljE_ZNSN_ISO_Lb1ESQ_SR_ST_SU_SY_EESZ_S10_S11_S12_S16_S17_S18_S1B_S1C_jS1D_jS1E_S1E_jjS1G_bEUljE0_EEESZ_S10_S11_S18_S1C_S1E_T6_T7_T9_mT8_S1G_bDpT10_ENKUlT_T0_E_clISt17integral_constantIbLb1EES1T_IbLb0EEEEDaS1P_S1Q_EUlS1P_E_NS1_11comp_targetILNS1_3genE4ELNS1_11target_archE910ELNS1_3gpuE8ELNS1_3repE0EEENS1_30default_config_static_selectorELNS0_4arch9wavefront6targetE0EEEvS12_,"axG",@progbits,_ZN7rocprim17ROCPRIM_400000_NS6detail17trampoline_kernelINS0_13select_configILj256ELj13ELNS0_17block_load_methodE3ELS4_3ELS4_3ELNS0_20block_scan_algorithmE0ELj4294967295EEENS1_25partition_config_selectorILNS1_17partition_subalgoE4EjNS0_10empty_typeEbEEZZNS1_14partition_implILS8_4ELb0ES6_15HIP_vector_typeIjLj2EENS0_17counting_iteratorIjlEEPS9_SG_NS0_5tupleIJPjSI_NS0_16reverse_iteratorISI_EEEEENSH_IJSG_SG_SG_EEES9_SI_JZNS1_25segmented_radix_sort_implINS0_14default_configELb1EPKfPfPKlPlN2at6native12_GLOBAL__N_18offset_tEEE10hipError_tPvRmT1_PNSt15iterator_traitsIS12_E10value_typeET2_T3_PNS13_IS18_E10value_typeET4_jRbjT5_S1E_jjP12ihipStream_tbEUljE_ZNSN_ISO_Lb1ESQ_SR_ST_SU_SY_EESZ_S10_S11_S12_S16_S17_S18_S1B_S1C_jS1D_jS1E_S1E_jjS1G_bEUljE0_EEESZ_S10_S11_S18_S1C_S1E_T6_T7_T9_mT8_S1G_bDpT10_ENKUlT_T0_E_clISt17integral_constantIbLb1EES1T_IbLb0EEEEDaS1P_S1Q_EUlS1P_E_NS1_11comp_targetILNS1_3genE4ELNS1_11target_archE910ELNS1_3gpuE8ELNS1_3repE0EEENS1_30default_config_static_selectorELNS0_4arch9wavefront6targetE0EEEvS12_,comdat
	.globl	_ZN7rocprim17ROCPRIM_400000_NS6detail17trampoline_kernelINS0_13select_configILj256ELj13ELNS0_17block_load_methodE3ELS4_3ELS4_3ELNS0_20block_scan_algorithmE0ELj4294967295EEENS1_25partition_config_selectorILNS1_17partition_subalgoE4EjNS0_10empty_typeEbEEZZNS1_14partition_implILS8_4ELb0ES6_15HIP_vector_typeIjLj2EENS0_17counting_iteratorIjlEEPS9_SG_NS0_5tupleIJPjSI_NS0_16reverse_iteratorISI_EEEEENSH_IJSG_SG_SG_EEES9_SI_JZNS1_25segmented_radix_sort_implINS0_14default_configELb1EPKfPfPKlPlN2at6native12_GLOBAL__N_18offset_tEEE10hipError_tPvRmT1_PNSt15iterator_traitsIS12_E10value_typeET2_T3_PNS13_IS18_E10value_typeET4_jRbjT5_S1E_jjP12ihipStream_tbEUljE_ZNSN_ISO_Lb1ESQ_SR_ST_SU_SY_EESZ_S10_S11_S12_S16_S17_S18_S1B_S1C_jS1D_jS1E_S1E_jjS1G_bEUljE0_EEESZ_S10_S11_S18_S1C_S1E_T6_T7_T9_mT8_S1G_bDpT10_ENKUlT_T0_E_clISt17integral_constantIbLb1EES1T_IbLb0EEEEDaS1P_S1Q_EUlS1P_E_NS1_11comp_targetILNS1_3genE4ELNS1_11target_archE910ELNS1_3gpuE8ELNS1_3repE0EEENS1_30default_config_static_selectorELNS0_4arch9wavefront6targetE0EEEvS12_ ; -- Begin function _ZN7rocprim17ROCPRIM_400000_NS6detail17trampoline_kernelINS0_13select_configILj256ELj13ELNS0_17block_load_methodE3ELS4_3ELS4_3ELNS0_20block_scan_algorithmE0ELj4294967295EEENS1_25partition_config_selectorILNS1_17partition_subalgoE4EjNS0_10empty_typeEbEEZZNS1_14partition_implILS8_4ELb0ES6_15HIP_vector_typeIjLj2EENS0_17counting_iteratorIjlEEPS9_SG_NS0_5tupleIJPjSI_NS0_16reverse_iteratorISI_EEEEENSH_IJSG_SG_SG_EEES9_SI_JZNS1_25segmented_radix_sort_implINS0_14default_configELb1EPKfPfPKlPlN2at6native12_GLOBAL__N_18offset_tEEE10hipError_tPvRmT1_PNSt15iterator_traitsIS12_E10value_typeET2_T3_PNS13_IS18_E10value_typeET4_jRbjT5_S1E_jjP12ihipStream_tbEUljE_ZNSN_ISO_Lb1ESQ_SR_ST_SU_SY_EESZ_S10_S11_S12_S16_S17_S18_S1B_S1C_jS1D_jS1E_S1E_jjS1G_bEUljE0_EEESZ_S10_S11_S18_S1C_S1E_T6_T7_T9_mT8_S1G_bDpT10_ENKUlT_T0_E_clISt17integral_constantIbLb1EES1T_IbLb0EEEEDaS1P_S1Q_EUlS1P_E_NS1_11comp_targetILNS1_3genE4ELNS1_11target_archE910ELNS1_3gpuE8ELNS1_3repE0EEENS1_30default_config_static_selectorELNS0_4arch9wavefront6targetE0EEEvS12_
	.p2align	8
	.type	_ZN7rocprim17ROCPRIM_400000_NS6detail17trampoline_kernelINS0_13select_configILj256ELj13ELNS0_17block_load_methodE3ELS4_3ELS4_3ELNS0_20block_scan_algorithmE0ELj4294967295EEENS1_25partition_config_selectorILNS1_17partition_subalgoE4EjNS0_10empty_typeEbEEZZNS1_14partition_implILS8_4ELb0ES6_15HIP_vector_typeIjLj2EENS0_17counting_iteratorIjlEEPS9_SG_NS0_5tupleIJPjSI_NS0_16reverse_iteratorISI_EEEEENSH_IJSG_SG_SG_EEES9_SI_JZNS1_25segmented_radix_sort_implINS0_14default_configELb1EPKfPfPKlPlN2at6native12_GLOBAL__N_18offset_tEEE10hipError_tPvRmT1_PNSt15iterator_traitsIS12_E10value_typeET2_T3_PNS13_IS18_E10value_typeET4_jRbjT5_S1E_jjP12ihipStream_tbEUljE_ZNSN_ISO_Lb1ESQ_SR_ST_SU_SY_EESZ_S10_S11_S12_S16_S17_S18_S1B_S1C_jS1D_jS1E_S1E_jjS1G_bEUljE0_EEESZ_S10_S11_S18_S1C_S1E_T6_T7_T9_mT8_S1G_bDpT10_ENKUlT_T0_E_clISt17integral_constantIbLb1EES1T_IbLb0EEEEDaS1P_S1Q_EUlS1P_E_NS1_11comp_targetILNS1_3genE4ELNS1_11target_archE910ELNS1_3gpuE8ELNS1_3repE0EEENS1_30default_config_static_selectorELNS0_4arch9wavefront6targetE0EEEvS12_,@function
_ZN7rocprim17ROCPRIM_400000_NS6detail17trampoline_kernelINS0_13select_configILj256ELj13ELNS0_17block_load_methodE3ELS4_3ELS4_3ELNS0_20block_scan_algorithmE0ELj4294967295EEENS1_25partition_config_selectorILNS1_17partition_subalgoE4EjNS0_10empty_typeEbEEZZNS1_14partition_implILS8_4ELb0ES6_15HIP_vector_typeIjLj2EENS0_17counting_iteratorIjlEEPS9_SG_NS0_5tupleIJPjSI_NS0_16reverse_iteratorISI_EEEEENSH_IJSG_SG_SG_EEES9_SI_JZNS1_25segmented_radix_sort_implINS0_14default_configELb1EPKfPfPKlPlN2at6native12_GLOBAL__N_18offset_tEEE10hipError_tPvRmT1_PNSt15iterator_traitsIS12_E10value_typeET2_T3_PNS13_IS18_E10value_typeET4_jRbjT5_S1E_jjP12ihipStream_tbEUljE_ZNSN_ISO_Lb1ESQ_SR_ST_SU_SY_EESZ_S10_S11_S12_S16_S17_S18_S1B_S1C_jS1D_jS1E_S1E_jjS1G_bEUljE0_EEESZ_S10_S11_S18_S1C_S1E_T6_T7_T9_mT8_S1G_bDpT10_ENKUlT_T0_E_clISt17integral_constantIbLb1EES1T_IbLb0EEEEDaS1P_S1Q_EUlS1P_E_NS1_11comp_targetILNS1_3genE4ELNS1_11target_archE910ELNS1_3gpuE8ELNS1_3repE0EEENS1_30default_config_static_selectorELNS0_4arch9wavefront6targetE0EEEvS12_: ; @_ZN7rocprim17ROCPRIM_400000_NS6detail17trampoline_kernelINS0_13select_configILj256ELj13ELNS0_17block_load_methodE3ELS4_3ELS4_3ELNS0_20block_scan_algorithmE0ELj4294967295EEENS1_25partition_config_selectorILNS1_17partition_subalgoE4EjNS0_10empty_typeEbEEZZNS1_14partition_implILS8_4ELb0ES6_15HIP_vector_typeIjLj2EENS0_17counting_iteratorIjlEEPS9_SG_NS0_5tupleIJPjSI_NS0_16reverse_iteratorISI_EEEEENSH_IJSG_SG_SG_EEES9_SI_JZNS1_25segmented_radix_sort_implINS0_14default_configELb1EPKfPfPKlPlN2at6native12_GLOBAL__N_18offset_tEEE10hipError_tPvRmT1_PNSt15iterator_traitsIS12_E10value_typeET2_T3_PNS13_IS18_E10value_typeET4_jRbjT5_S1E_jjP12ihipStream_tbEUljE_ZNSN_ISO_Lb1ESQ_SR_ST_SU_SY_EESZ_S10_S11_S12_S16_S17_S18_S1B_S1C_jS1D_jS1E_S1E_jjS1G_bEUljE0_EEESZ_S10_S11_S18_S1C_S1E_T6_T7_T9_mT8_S1G_bDpT10_ENKUlT_T0_E_clISt17integral_constantIbLb1EES1T_IbLb0EEEEDaS1P_S1Q_EUlS1P_E_NS1_11comp_targetILNS1_3genE4ELNS1_11target_archE910ELNS1_3gpuE8ELNS1_3repE0EEENS1_30default_config_static_selectorELNS0_4arch9wavefront6targetE0EEEvS12_
; %bb.0:
	.section	.rodata,"a",@progbits
	.p2align	6, 0x0
	.amdhsa_kernel _ZN7rocprim17ROCPRIM_400000_NS6detail17trampoline_kernelINS0_13select_configILj256ELj13ELNS0_17block_load_methodE3ELS4_3ELS4_3ELNS0_20block_scan_algorithmE0ELj4294967295EEENS1_25partition_config_selectorILNS1_17partition_subalgoE4EjNS0_10empty_typeEbEEZZNS1_14partition_implILS8_4ELb0ES6_15HIP_vector_typeIjLj2EENS0_17counting_iteratorIjlEEPS9_SG_NS0_5tupleIJPjSI_NS0_16reverse_iteratorISI_EEEEENSH_IJSG_SG_SG_EEES9_SI_JZNS1_25segmented_radix_sort_implINS0_14default_configELb1EPKfPfPKlPlN2at6native12_GLOBAL__N_18offset_tEEE10hipError_tPvRmT1_PNSt15iterator_traitsIS12_E10value_typeET2_T3_PNS13_IS18_E10value_typeET4_jRbjT5_S1E_jjP12ihipStream_tbEUljE_ZNSN_ISO_Lb1ESQ_SR_ST_SU_SY_EESZ_S10_S11_S12_S16_S17_S18_S1B_S1C_jS1D_jS1E_S1E_jjS1G_bEUljE0_EEESZ_S10_S11_S18_S1C_S1E_T6_T7_T9_mT8_S1G_bDpT10_ENKUlT_T0_E_clISt17integral_constantIbLb1EES1T_IbLb0EEEEDaS1P_S1Q_EUlS1P_E_NS1_11comp_targetILNS1_3genE4ELNS1_11target_archE910ELNS1_3gpuE8ELNS1_3repE0EEENS1_30default_config_static_selectorELNS0_4arch9wavefront6targetE0EEEvS12_
		.amdhsa_group_segment_fixed_size 0
		.amdhsa_private_segment_fixed_size 0
		.amdhsa_kernarg_size 176
		.amdhsa_user_sgpr_count 2
		.amdhsa_user_sgpr_dispatch_ptr 0
		.amdhsa_user_sgpr_queue_ptr 0
		.amdhsa_user_sgpr_kernarg_segment_ptr 1
		.amdhsa_user_sgpr_dispatch_id 0
		.amdhsa_user_sgpr_private_segment_size 0
		.amdhsa_wavefront_size32 1
		.amdhsa_uses_dynamic_stack 0
		.amdhsa_enable_private_segment 0
		.amdhsa_system_sgpr_workgroup_id_x 1
		.amdhsa_system_sgpr_workgroup_id_y 0
		.amdhsa_system_sgpr_workgroup_id_z 0
		.amdhsa_system_sgpr_workgroup_info 0
		.amdhsa_system_vgpr_workitem_id 0
		.amdhsa_next_free_vgpr 1
		.amdhsa_next_free_sgpr 1
		.amdhsa_reserve_vcc 0
		.amdhsa_float_round_mode_32 0
		.amdhsa_float_round_mode_16_64 0
		.amdhsa_float_denorm_mode_32 3
		.amdhsa_float_denorm_mode_16_64 3
		.amdhsa_fp16_overflow 0
		.amdhsa_workgroup_processor_mode 1
		.amdhsa_memory_ordered 1
		.amdhsa_forward_progress 1
		.amdhsa_inst_pref_size 0
		.amdhsa_round_robin_scheduling 0
		.amdhsa_exception_fp_ieee_invalid_op 0
		.amdhsa_exception_fp_denorm_src 0
		.amdhsa_exception_fp_ieee_div_zero 0
		.amdhsa_exception_fp_ieee_overflow 0
		.amdhsa_exception_fp_ieee_underflow 0
		.amdhsa_exception_fp_ieee_inexact 0
		.amdhsa_exception_int_div_zero 0
	.end_amdhsa_kernel
	.section	.text._ZN7rocprim17ROCPRIM_400000_NS6detail17trampoline_kernelINS0_13select_configILj256ELj13ELNS0_17block_load_methodE3ELS4_3ELS4_3ELNS0_20block_scan_algorithmE0ELj4294967295EEENS1_25partition_config_selectorILNS1_17partition_subalgoE4EjNS0_10empty_typeEbEEZZNS1_14partition_implILS8_4ELb0ES6_15HIP_vector_typeIjLj2EENS0_17counting_iteratorIjlEEPS9_SG_NS0_5tupleIJPjSI_NS0_16reverse_iteratorISI_EEEEENSH_IJSG_SG_SG_EEES9_SI_JZNS1_25segmented_radix_sort_implINS0_14default_configELb1EPKfPfPKlPlN2at6native12_GLOBAL__N_18offset_tEEE10hipError_tPvRmT1_PNSt15iterator_traitsIS12_E10value_typeET2_T3_PNS13_IS18_E10value_typeET4_jRbjT5_S1E_jjP12ihipStream_tbEUljE_ZNSN_ISO_Lb1ESQ_SR_ST_SU_SY_EESZ_S10_S11_S12_S16_S17_S18_S1B_S1C_jS1D_jS1E_S1E_jjS1G_bEUljE0_EEESZ_S10_S11_S18_S1C_S1E_T6_T7_T9_mT8_S1G_bDpT10_ENKUlT_T0_E_clISt17integral_constantIbLb1EES1T_IbLb0EEEEDaS1P_S1Q_EUlS1P_E_NS1_11comp_targetILNS1_3genE4ELNS1_11target_archE910ELNS1_3gpuE8ELNS1_3repE0EEENS1_30default_config_static_selectorELNS0_4arch9wavefront6targetE0EEEvS12_,"axG",@progbits,_ZN7rocprim17ROCPRIM_400000_NS6detail17trampoline_kernelINS0_13select_configILj256ELj13ELNS0_17block_load_methodE3ELS4_3ELS4_3ELNS0_20block_scan_algorithmE0ELj4294967295EEENS1_25partition_config_selectorILNS1_17partition_subalgoE4EjNS0_10empty_typeEbEEZZNS1_14partition_implILS8_4ELb0ES6_15HIP_vector_typeIjLj2EENS0_17counting_iteratorIjlEEPS9_SG_NS0_5tupleIJPjSI_NS0_16reverse_iteratorISI_EEEEENSH_IJSG_SG_SG_EEES9_SI_JZNS1_25segmented_radix_sort_implINS0_14default_configELb1EPKfPfPKlPlN2at6native12_GLOBAL__N_18offset_tEEE10hipError_tPvRmT1_PNSt15iterator_traitsIS12_E10value_typeET2_T3_PNS13_IS18_E10value_typeET4_jRbjT5_S1E_jjP12ihipStream_tbEUljE_ZNSN_ISO_Lb1ESQ_SR_ST_SU_SY_EESZ_S10_S11_S12_S16_S17_S18_S1B_S1C_jS1D_jS1E_S1E_jjS1G_bEUljE0_EEESZ_S10_S11_S18_S1C_S1E_T6_T7_T9_mT8_S1G_bDpT10_ENKUlT_T0_E_clISt17integral_constantIbLb1EES1T_IbLb0EEEEDaS1P_S1Q_EUlS1P_E_NS1_11comp_targetILNS1_3genE4ELNS1_11target_archE910ELNS1_3gpuE8ELNS1_3repE0EEENS1_30default_config_static_selectorELNS0_4arch9wavefront6targetE0EEEvS12_,comdat
.Lfunc_end1279:
	.size	_ZN7rocprim17ROCPRIM_400000_NS6detail17trampoline_kernelINS0_13select_configILj256ELj13ELNS0_17block_load_methodE3ELS4_3ELS4_3ELNS0_20block_scan_algorithmE0ELj4294967295EEENS1_25partition_config_selectorILNS1_17partition_subalgoE4EjNS0_10empty_typeEbEEZZNS1_14partition_implILS8_4ELb0ES6_15HIP_vector_typeIjLj2EENS0_17counting_iteratorIjlEEPS9_SG_NS0_5tupleIJPjSI_NS0_16reverse_iteratorISI_EEEEENSH_IJSG_SG_SG_EEES9_SI_JZNS1_25segmented_radix_sort_implINS0_14default_configELb1EPKfPfPKlPlN2at6native12_GLOBAL__N_18offset_tEEE10hipError_tPvRmT1_PNSt15iterator_traitsIS12_E10value_typeET2_T3_PNS13_IS18_E10value_typeET4_jRbjT5_S1E_jjP12ihipStream_tbEUljE_ZNSN_ISO_Lb1ESQ_SR_ST_SU_SY_EESZ_S10_S11_S12_S16_S17_S18_S1B_S1C_jS1D_jS1E_S1E_jjS1G_bEUljE0_EEESZ_S10_S11_S18_S1C_S1E_T6_T7_T9_mT8_S1G_bDpT10_ENKUlT_T0_E_clISt17integral_constantIbLb1EES1T_IbLb0EEEEDaS1P_S1Q_EUlS1P_E_NS1_11comp_targetILNS1_3genE4ELNS1_11target_archE910ELNS1_3gpuE8ELNS1_3repE0EEENS1_30default_config_static_selectorELNS0_4arch9wavefront6targetE0EEEvS12_, .Lfunc_end1279-_ZN7rocprim17ROCPRIM_400000_NS6detail17trampoline_kernelINS0_13select_configILj256ELj13ELNS0_17block_load_methodE3ELS4_3ELS4_3ELNS0_20block_scan_algorithmE0ELj4294967295EEENS1_25partition_config_selectorILNS1_17partition_subalgoE4EjNS0_10empty_typeEbEEZZNS1_14partition_implILS8_4ELb0ES6_15HIP_vector_typeIjLj2EENS0_17counting_iteratorIjlEEPS9_SG_NS0_5tupleIJPjSI_NS0_16reverse_iteratorISI_EEEEENSH_IJSG_SG_SG_EEES9_SI_JZNS1_25segmented_radix_sort_implINS0_14default_configELb1EPKfPfPKlPlN2at6native12_GLOBAL__N_18offset_tEEE10hipError_tPvRmT1_PNSt15iterator_traitsIS12_E10value_typeET2_T3_PNS13_IS18_E10value_typeET4_jRbjT5_S1E_jjP12ihipStream_tbEUljE_ZNSN_ISO_Lb1ESQ_SR_ST_SU_SY_EESZ_S10_S11_S12_S16_S17_S18_S1B_S1C_jS1D_jS1E_S1E_jjS1G_bEUljE0_EEESZ_S10_S11_S18_S1C_S1E_T6_T7_T9_mT8_S1G_bDpT10_ENKUlT_T0_E_clISt17integral_constantIbLb1EES1T_IbLb0EEEEDaS1P_S1Q_EUlS1P_E_NS1_11comp_targetILNS1_3genE4ELNS1_11target_archE910ELNS1_3gpuE8ELNS1_3repE0EEENS1_30default_config_static_selectorELNS0_4arch9wavefront6targetE0EEEvS12_
                                        ; -- End function
	.set _ZN7rocprim17ROCPRIM_400000_NS6detail17trampoline_kernelINS0_13select_configILj256ELj13ELNS0_17block_load_methodE3ELS4_3ELS4_3ELNS0_20block_scan_algorithmE0ELj4294967295EEENS1_25partition_config_selectorILNS1_17partition_subalgoE4EjNS0_10empty_typeEbEEZZNS1_14partition_implILS8_4ELb0ES6_15HIP_vector_typeIjLj2EENS0_17counting_iteratorIjlEEPS9_SG_NS0_5tupleIJPjSI_NS0_16reverse_iteratorISI_EEEEENSH_IJSG_SG_SG_EEES9_SI_JZNS1_25segmented_radix_sort_implINS0_14default_configELb1EPKfPfPKlPlN2at6native12_GLOBAL__N_18offset_tEEE10hipError_tPvRmT1_PNSt15iterator_traitsIS12_E10value_typeET2_T3_PNS13_IS18_E10value_typeET4_jRbjT5_S1E_jjP12ihipStream_tbEUljE_ZNSN_ISO_Lb1ESQ_SR_ST_SU_SY_EESZ_S10_S11_S12_S16_S17_S18_S1B_S1C_jS1D_jS1E_S1E_jjS1G_bEUljE0_EEESZ_S10_S11_S18_S1C_S1E_T6_T7_T9_mT8_S1G_bDpT10_ENKUlT_T0_E_clISt17integral_constantIbLb1EES1T_IbLb0EEEEDaS1P_S1Q_EUlS1P_E_NS1_11comp_targetILNS1_3genE4ELNS1_11target_archE910ELNS1_3gpuE8ELNS1_3repE0EEENS1_30default_config_static_selectorELNS0_4arch9wavefront6targetE0EEEvS12_.num_vgpr, 0
	.set _ZN7rocprim17ROCPRIM_400000_NS6detail17trampoline_kernelINS0_13select_configILj256ELj13ELNS0_17block_load_methodE3ELS4_3ELS4_3ELNS0_20block_scan_algorithmE0ELj4294967295EEENS1_25partition_config_selectorILNS1_17partition_subalgoE4EjNS0_10empty_typeEbEEZZNS1_14partition_implILS8_4ELb0ES6_15HIP_vector_typeIjLj2EENS0_17counting_iteratorIjlEEPS9_SG_NS0_5tupleIJPjSI_NS0_16reverse_iteratorISI_EEEEENSH_IJSG_SG_SG_EEES9_SI_JZNS1_25segmented_radix_sort_implINS0_14default_configELb1EPKfPfPKlPlN2at6native12_GLOBAL__N_18offset_tEEE10hipError_tPvRmT1_PNSt15iterator_traitsIS12_E10value_typeET2_T3_PNS13_IS18_E10value_typeET4_jRbjT5_S1E_jjP12ihipStream_tbEUljE_ZNSN_ISO_Lb1ESQ_SR_ST_SU_SY_EESZ_S10_S11_S12_S16_S17_S18_S1B_S1C_jS1D_jS1E_S1E_jjS1G_bEUljE0_EEESZ_S10_S11_S18_S1C_S1E_T6_T7_T9_mT8_S1G_bDpT10_ENKUlT_T0_E_clISt17integral_constantIbLb1EES1T_IbLb0EEEEDaS1P_S1Q_EUlS1P_E_NS1_11comp_targetILNS1_3genE4ELNS1_11target_archE910ELNS1_3gpuE8ELNS1_3repE0EEENS1_30default_config_static_selectorELNS0_4arch9wavefront6targetE0EEEvS12_.num_agpr, 0
	.set _ZN7rocprim17ROCPRIM_400000_NS6detail17trampoline_kernelINS0_13select_configILj256ELj13ELNS0_17block_load_methodE3ELS4_3ELS4_3ELNS0_20block_scan_algorithmE0ELj4294967295EEENS1_25partition_config_selectorILNS1_17partition_subalgoE4EjNS0_10empty_typeEbEEZZNS1_14partition_implILS8_4ELb0ES6_15HIP_vector_typeIjLj2EENS0_17counting_iteratorIjlEEPS9_SG_NS0_5tupleIJPjSI_NS0_16reverse_iteratorISI_EEEEENSH_IJSG_SG_SG_EEES9_SI_JZNS1_25segmented_radix_sort_implINS0_14default_configELb1EPKfPfPKlPlN2at6native12_GLOBAL__N_18offset_tEEE10hipError_tPvRmT1_PNSt15iterator_traitsIS12_E10value_typeET2_T3_PNS13_IS18_E10value_typeET4_jRbjT5_S1E_jjP12ihipStream_tbEUljE_ZNSN_ISO_Lb1ESQ_SR_ST_SU_SY_EESZ_S10_S11_S12_S16_S17_S18_S1B_S1C_jS1D_jS1E_S1E_jjS1G_bEUljE0_EEESZ_S10_S11_S18_S1C_S1E_T6_T7_T9_mT8_S1G_bDpT10_ENKUlT_T0_E_clISt17integral_constantIbLb1EES1T_IbLb0EEEEDaS1P_S1Q_EUlS1P_E_NS1_11comp_targetILNS1_3genE4ELNS1_11target_archE910ELNS1_3gpuE8ELNS1_3repE0EEENS1_30default_config_static_selectorELNS0_4arch9wavefront6targetE0EEEvS12_.numbered_sgpr, 0
	.set _ZN7rocprim17ROCPRIM_400000_NS6detail17trampoline_kernelINS0_13select_configILj256ELj13ELNS0_17block_load_methodE3ELS4_3ELS4_3ELNS0_20block_scan_algorithmE0ELj4294967295EEENS1_25partition_config_selectorILNS1_17partition_subalgoE4EjNS0_10empty_typeEbEEZZNS1_14partition_implILS8_4ELb0ES6_15HIP_vector_typeIjLj2EENS0_17counting_iteratorIjlEEPS9_SG_NS0_5tupleIJPjSI_NS0_16reverse_iteratorISI_EEEEENSH_IJSG_SG_SG_EEES9_SI_JZNS1_25segmented_radix_sort_implINS0_14default_configELb1EPKfPfPKlPlN2at6native12_GLOBAL__N_18offset_tEEE10hipError_tPvRmT1_PNSt15iterator_traitsIS12_E10value_typeET2_T3_PNS13_IS18_E10value_typeET4_jRbjT5_S1E_jjP12ihipStream_tbEUljE_ZNSN_ISO_Lb1ESQ_SR_ST_SU_SY_EESZ_S10_S11_S12_S16_S17_S18_S1B_S1C_jS1D_jS1E_S1E_jjS1G_bEUljE0_EEESZ_S10_S11_S18_S1C_S1E_T6_T7_T9_mT8_S1G_bDpT10_ENKUlT_T0_E_clISt17integral_constantIbLb1EES1T_IbLb0EEEEDaS1P_S1Q_EUlS1P_E_NS1_11comp_targetILNS1_3genE4ELNS1_11target_archE910ELNS1_3gpuE8ELNS1_3repE0EEENS1_30default_config_static_selectorELNS0_4arch9wavefront6targetE0EEEvS12_.num_named_barrier, 0
	.set _ZN7rocprim17ROCPRIM_400000_NS6detail17trampoline_kernelINS0_13select_configILj256ELj13ELNS0_17block_load_methodE3ELS4_3ELS4_3ELNS0_20block_scan_algorithmE0ELj4294967295EEENS1_25partition_config_selectorILNS1_17partition_subalgoE4EjNS0_10empty_typeEbEEZZNS1_14partition_implILS8_4ELb0ES6_15HIP_vector_typeIjLj2EENS0_17counting_iteratorIjlEEPS9_SG_NS0_5tupleIJPjSI_NS0_16reverse_iteratorISI_EEEEENSH_IJSG_SG_SG_EEES9_SI_JZNS1_25segmented_radix_sort_implINS0_14default_configELb1EPKfPfPKlPlN2at6native12_GLOBAL__N_18offset_tEEE10hipError_tPvRmT1_PNSt15iterator_traitsIS12_E10value_typeET2_T3_PNS13_IS18_E10value_typeET4_jRbjT5_S1E_jjP12ihipStream_tbEUljE_ZNSN_ISO_Lb1ESQ_SR_ST_SU_SY_EESZ_S10_S11_S12_S16_S17_S18_S1B_S1C_jS1D_jS1E_S1E_jjS1G_bEUljE0_EEESZ_S10_S11_S18_S1C_S1E_T6_T7_T9_mT8_S1G_bDpT10_ENKUlT_T0_E_clISt17integral_constantIbLb1EES1T_IbLb0EEEEDaS1P_S1Q_EUlS1P_E_NS1_11comp_targetILNS1_3genE4ELNS1_11target_archE910ELNS1_3gpuE8ELNS1_3repE0EEENS1_30default_config_static_selectorELNS0_4arch9wavefront6targetE0EEEvS12_.private_seg_size, 0
	.set _ZN7rocprim17ROCPRIM_400000_NS6detail17trampoline_kernelINS0_13select_configILj256ELj13ELNS0_17block_load_methodE3ELS4_3ELS4_3ELNS0_20block_scan_algorithmE0ELj4294967295EEENS1_25partition_config_selectorILNS1_17partition_subalgoE4EjNS0_10empty_typeEbEEZZNS1_14partition_implILS8_4ELb0ES6_15HIP_vector_typeIjLj2EENS0_17counting_iteratorIjlEEPS9_SG_NS0_5tupleIJPjSI_NS0_16reverse_iteratorISI_EEEEENSH_IJSG_SG_SG_EEES9_SI_JZNS1_25segmented_radix_sort_implINS0_14default_configELb1EPKfPfPKlPlN2at6native12_GLOBAL__N_18offset_tEEE10hipError_tPvRmT1_PNSt15iterator_traitsIS12_E10value_typeET2_T3_PNS13_IS18_E10value_typeET4_jRbjT5_S1E_jjP12ihipStream_tbEUljE_ZNSN_ISO_Lb1ESQ_SR_ST_SU_SY_EESZ_S10_S11_S12_S16_S17_S18_S1B_S1C_jS1D_jS1E_S1E_jjS1G_bEUljE0_EEESZ_S10_S11_S18_S1C_S1E_T6_T7_T9_mT8_S1G_bDpT10_ENKUlT_T0_E_clISt17integral_constantIbLb1EES1T_IbLb0EEEEDaS1P_S1Q_EUlS1P_E_NS1_11comp_targetILNS1_3genE4ELNS1_11target_archE910ELNS1_3gpuE8ELNS1_3repE0EEENS1_30default_config_static_selectorELNS0_4arch9wavefront6targetE0EEEvS12_.uses_vcc, 0
	.set _ZN7rocprim17ROCPRIM_400000_NS6detail17trampoline_kernelINS0_13select_configILj256ELj13ELNS0_17block_load_methodE3ELS4_3ELS4_3ELNS0_20block_scan_algorithmE0ELj4294967295EEENS1_25partition_config_selectorILNS1_17partition_subalgoE4EjNS0_10empty_typeEbEEZZNS1_14partition_implILS8_4ELb0ES6_15HIP_vector_typeIjLj2EENS0_17counting_iteratorIjlEEPS9_SG_NS0_5tupleIJPjSI_NS0_16reverse_iteratorISI_EEEEENSH_IJSG_SG_SG_EEES9_SI_JZNS1_25segmented_radix_sort_implINS0_14default_configELb1EPKfPfPKlPlN2at6native12_GLOBAL__N_18offset_tEEE10hipError_tPvRmT1_PNSt15iterator_traitsIS12_E10value_typeET2_T3_PNS13_IS18_E10value_typeET4_jRbjT5_S1E_jjP12ihipStream_tbEUljE_ZNSN_ISO_Lb1ESQ_SR_ST_SU_SY_EESZ_S10_S11_S12_S16_S17_S18_S1B_S1C_jS1D_jS1E_S1E_jjS1G_bEUljE0_EEESZ_S10_S11_S18_S1C_S1E_T6_T7_T9_mT8_S1G_bDpT10_ENKUlT_T0_E_clISt17integral_constantIbLb1EES1T_IbLb0EEEEDaS1P_S1Q_EUlS1P_E_NS1_11comp_targetILNS1_3genE4ELNS1_11target_archE910ELNS1_3gpuE8ELNS1_3repE0EEENS1_30default_config_static_selectorELNS0_4arch9wavefront6targetE0EEEvS12_.uses_flat_scratch, 0
	.set _ZN7rocprim17ROCPRIM_400000_NS6detail17trampoline_kernelINS0_13select_configILj256ELj13ELNS0_17block_load_methodE3ELS4_3ELS4_3ELNS0_20block_scan_algorithmE0ELj4294967295EEENS1_25partition_config_selectorILNS1_17partition_subalgoE4EjNS0_10empty_typeEbEEZZNS1_14partition_implILS8_4ELb0ES6_15HIP_vector_typeIjLj2EENS0_17counting_iteratorIjlEEPS9_SG_NS0_5tupleIJPjSI_NS0_16reverse_iteratorISI_EEEEENSH_IJSG_SG_SG_EEES9_SI_JZNS1_25segmented_radix_sort_implINS0_14default_configELb1EPKfPfPKlPlN2at6native12_GLOBAL__N_18offset_tEEE10hipError_tPvRmT1_PNSt15iterator_traitsIS12_E10value_typeET2_T3_PNS13_IS18_E10value_typeET4_jRbjT5_S1E_jjP12ihipStream_tbEUljE_ZNSN_ISO_Lb1ESQ_SR_ST_SU_SY_EESZ_S10_S11_S12_S16_S17_S18_S1B_S1C_jS1D_jS1E_S1E_jjS1G_bEUljE0_EEESZ_S10_S11_S18_S1C_S1E_T6_T7_T9_mT8_S1G_bDpT10_ENKUlT_T0_E_clISt17integral_constantIbLb1EES1T_IbLb0EEEEDaS1P_S1Q_EUlS1P_E_NS1_11comp_targetILNS1_3genE4ELNS1_11target_archE910ELNS1_3gpuE8ELNS1_3repE0EEENS1_30default_config_static_selectorELNS0_4arch9wavefront6targetE0EEEvS12_.has_dyn_sized_stack, 0
	.set _ZN7rocprim17ROCPRIM_400000_NS6detail17trampoline_kernelINS0_13select_configILj256ELj13ELNS0_17block_load_methodE3ELS4_3ELS4_3ELNS0_20block_scan_algorithmE0ELj4294967295EEENS1_25partition_config_selectorILNS1_17partition_subalgoE4EjNS0_10empty_typeEbEEZZNS1_14partition_implILS8_4ELb0ES6_15HIP_vector_typeIjLj2EENS0_17counting_iteratorIjlEEPS9_SG_NS0_5tupleIJPjSI_NS0_16reverse_iteratorISI_EEEEENSH_IJSG_SG_SG_EEES9_SI_JZNS1_25segmented_radix_sort_implINS0_14default_configELb1EPKfPfPKlPlN2at6native12_GLOBAL__N_18offset_tEEE10hipError_tPvRmT1_PNSt15iterator_traitsIS12_E10value_typeET2_T3_PNS13_IS18_E10value_typeET4_jRbjT5_S1E_jjP12ihipStream_tbEUljE_ZNSN_ISO_Lb1ESQ_SR_ST_SU_SY_EESZ_S10_S11_S12_S16_S17_S18_S1B_S1C_jS1D_jS1E_S1E_jjS1G_bEUljE0_EEESZ_S10_S11_S18_S1C_S1E_T6_T7_T9_mT8_S1G_bDpT10_ENKUlT_T0_E_clISt17integral_constantIbLb1EES1T_IbLb0EEEEDaS1P_S1Q_EUlS1P_E_NS1_11comp_targetILNS1_3genE4ELNS1_11target_archE910ELNS1_3gpuE8ELNS1_3repE0EEENS1_30default_config_static_selectorELNS0_4arch9wavefront6targetE0EEEvS12_.has_recursion, 0
	.set _ZN7rocprim17ROCPRIM_400000_NS6detail17trampoline_kernelINS0_13select_configILj256ELj13ELNS0_17block_load_methodE3ELS4_3ELS4_3ELNS0_20block_scan_algorithmE0ELj4294967295EEENS1_25partition_config_selectorILNS1_17partition_subalgoE4EjNS0_10empty_typeEbEEZZNS1_14partition_implILS8_4ELb0ES6_15HIP_vector_typeIjLj2EENS0_17counting_iteratorIjlEEPS9_SG_NS0_5tupleIJPjSI_NS0_16reverse_iteratorISI_EEEEENSH_IJSG_SG_SG_EEES9_SI_JZNS1_25segmented_radix_sort_implINS0_14default_configELb1EPKfPfPKlPlN2at6native12_GLOBAL__N_18offset_tEEE10hipError_tPvRmT1_PNSt15iterator_traitsIS12_E10value_typeET2_T3_PNS13_IS18_E10value_typeET4_jRbjT5_S1E_jjP12ihipStream_tbEUljE_ZNSN_ISO_Lb1ESQ_SR_ST_SU_SY_EESZ_S10_S11_S12_S16_S17_S18_S1B_S1C_jS1D_jS1E_S1E_jjS1G_bEUljE0_EEESZ_S10_S11_S18_S1C_S1E_T6_T7_T9_mT8_S1G_bDpT10_ENKUlT_T0_E_clISt17integral_constantIbLb1EES1T_IbLb0EEEEDaS1P_S1Q_EUlS1P_E_NS1_11comp_targetILNS1_3genE4ELNS1_11target_archE910ELNS1_3gpuE8ELNS1_3repE0EEENS1_30default_config_static_selectorELNS0_4arch9wavefront6targetE0EEEvS12_.has_indirect_call, 0
	.section	.AMDGPU.csdata,"",@progbits
; Kernel info:
; codeLenInByte = 0
; TotalNumSgprs: 0
; NumVgprs: 0
; ScratchSize: 0
; MemoryBound: 0
; FloatMode: 240
; IeeeMode: 1
; LDSByteSize: 0 bytes/workgroup (compile time only)
; SGPRBlocks: 0
; VGPRBlocks: 0
; NumSGPRsForWavesPerEU: 1
; NumVGPRsForWavesPerEU: 1
; Occupancy: 16
; WaveLimiterHint : 0
; COMPUTE_PGM_RSRC2:SCRATCH_EN: 0
; COMPUTE_PGM_RSRC2:USER_SGPR: 2
; COMPUTE_PGM_RSRC2:TRAP_HANDLER: 0
; COMPUTE_PGM_RSRC2:TGID_X_EN: 1
; COMPUTE_PGM_RSRC2:TGID_Y_EN: 0
; COMPUTE_PGM_RSRC2:TGID_Z_EN: 0
; COMPUTE_PGM_RSRC2:TIDIG_COMP_CNT: 0
	.section	.text._ZN7rocprim17ROCPRIM_400000_NS6detail17trampoline_kernelINS0_13select_configILj256ELj13ELNS0_17block_load_methodE3ELS4_3ELS4_3ELNS0_20block_scan_algorithmE0ELj4294967295EEENS1_25partition_config_selectorILNS1_17partition_subalgoE4EjNS0_10empty_typeEbEEZZNS1_14partition_implILS8_4ELb0ES6_15HIP_vector_typeIjLj2EENS0_17counting_iteratorIjlEEPS9_SG_NS0_5tupleIJPjSI_NS0_16reverse_iteratorISI_EEEEENSH_IJSG_SG_SG_EEES9_SI_JZNS1_25segmented_radix_sort_implINS0_14default_configELb1EPKfPfPKlPlN2at6native12_GLOBAL__N_18offset_tEEE10hipError_tPvRmT1_PNSt15iterator_traitsIS12_E10value_typeET2_T3_PNS13_IS18_E10value_typeET4_jRbjT5_S1E_jjP12ihipStream_tbEUljE_ZNSN_ISO_Lb1ESQ_SR_ST_SU_SY_EESZ_S10_S11_S12_S16_S17_S18_S1B_S1C_jS1D_jS1E_S1E_jjS1G_bEUljE0_EEESZ_S10_S11_S18_S1C_S1E_T6_T7_T9_mT8_S1G_bDpT10_ENKUlT_T0_E_clISt17integral_constantIbLb1EES1T_IbLb0EEEEDaS1P_S1Q_EUlS1P_E_NS1_11comp_targetILNS1_3genE3ELNS1_11target_archE908ELNS1_3gpuE7ELNS1_3repE0EEENS1_30default_config_static_selectorELNS0_4arch9wavefront6targetE0EEEvS12_,"axG",@progbits,_ZN7rocprim17ROCPRIM_400000_NS6detail17trampoline_kernelINS0_13select_configILj256ELj13ELNS0_17block_load_methodE3ELS4_3ELS4_3ELNS0_20block_scan_algorithmE0ELj4294967295EEENS1_25partition_config_selectorILNS1_17partition_subalgoE4EjNS0_10empty_typeEbEEZZNS1_14partition_implILS8_4ELb0ES6_15HIP_vector_typeIjLj2EENS0_17counting_iteratorIjlEEPS9_SG_NS0_5tupleIJPjSI_NS0_16reverse_iteratorISI_EEEEENSH_IJSG_SG_SG_EEES9_SI_JZNS1_25segmented_radix_sort_implINS0_14default_configELb1EPKfPfPKlPlN2at6native12_GLOBAL__N_18offset_tEEE10hipError_tPvRmT1_PNSt15iterator_traitsIS12_E10value_typeET2_T3_PNS13_IS18_E10value_typeET4_jRbjT5_S1E_jjP12ihipStream_tbEUljE_ZNSN_ISO_Lb1ESQ_SR_ST_SU_SY_EESZ_S10_S11_S12_S16_S17_S18_S1B_S1C_jS1D_jS1E_S1E_jjS1G_bEUljE0_EEESZ_S10_S11_S18_S1C_S1E_T6_T7_T9_mT8_S1G_bDpT10_ENKUlT_T0_E_clISt17integral_constantIbLb1EES1T_IbLb0EEEEDaS1P_S1Q_EUlS1P_E_NS1_11comp_targetILNS1_3genE3ELNS1_11target_archE908ELNS1_3gpuE7ELNS1_3repE0EEENS1_30default_config_static_selectorELNS0_4arch9wavefront6targetE0EEEvS12_,comdat
	.globl	_ZN7rocprim17ROCPRIM_400000_NS6detail17trampoline_kernelINS0_13select_configILj256ELj13ELNS0_17block_load_methodE3ELS4_3ELS4_3ELNS0_20block_scan_algorithmE0ELj4294967295EEENS1_25partition_config_selectorILNS1_17partition_subalgoE4EjNS0_10empty_typeEbEEZZNS1_14partition_implILS8_4ELb0ES6_15HIP_vector_typeIjLj2EENS0_17counting_iteratorIjlEEPS9_SG_NS0_5tupleIJPjSI_NS0_16reverse_iteratorISI_EEEEENSH_IJSG_SG_SG_EEES9_SI_JZNS1_25segmented_radix_sort_implINS0_14default_configELb1EPKfPfPKlPlN2at6native12_GLOBAL__N_18offset_tEEE10hipError_tPvRmT1_PNSt15iterator_traitsIS12_E10value_typeET2_T3_PNS13_IS18_E10value_typeET4_jRbjT5_S1E_jjP12ihipStream_tbEUljE_ZNSN_ISO_Lb1ESQ_SR_ST_SU_SY_EESZ_S10_S11_S12_S16_S17_S18_S1B_S1C_jS1D_jS1E_S1E_jjS1G_bEUljE0_EEESZ_S10_S11_S18_S1C_S1E_T6_T7_T9_mT8_S1G_bDpT10_ENKUlT_T0_E_clISt17integral_constantIbLb1EES1T_IbLb0EEEEDaS1P_S1Q_EUlS1P_E_NS1_11comp_targetILNS1_3genE3ELNS1_11target_archE908ELNS1_3gpuE7ELNS1_3repE0EEENS1_30default_config_static_selectorELNS0_4arch9wavefront6targetE0EEEvS12_ ; -- Begin function _ZN7rocprim17ROCPRIM_400000_NS6detail17trampoline_kernelINS0_13select_configILj256ELj13ELNS0_17block_load_methodE3ELS4_3ELS4_3ELNS0_20block_scan_algorithmE0ELj4294967295EEENS1_25partition_config_selectorILNS1_17partition_subalgoE4EjNS0_10empty_typeEbEEZZNS1_14partition_implILS8_4ELb0ES6_15HIP_vector_typeIjLj2EENS0_17counting_iteratorIjlEEPS9_SG_NS0_5tupleIJPjSI_NS0_16reverse_iteratorISI_EEEEENSH_IJSG_SG_SG_EEES9_SI_JZNS1_25segmented_radix_sort_implINS0_14default_configELb1EPKfPfPKlPlN2at6native12_GLOBAL__N_18offset_tEEE10hipError_tPvRmT1_PNSt15iterator_traitsIS12_E10value_typeET2_T3_PNS13_IS18_E10value_typeET4_jRbjT5_S1E_jjP12ihipStream_tbEUljE_ZNSN_ISO_Lb1ESQ_SR_ST_SU_SY_EESZ_S10_S11_S12_S16_S17_S18_S1B_S1C_jS1D_jS1E_S1E_jjS1G_bEUljE0_EEESZ_S10_S11_S18_S1C_S1E_T6_T7_T9_mT8_S1G_bDpT10_ENKUlT_T0_E_clISt17integral_constantIbLb1EES1T_IbLb0EEEEDaS1P_S1Q_EUlS1P_E_NS1_11comp_targetILNS1_3genE3ELNS1_11target_archE908ELNS1_3gpuE7ELNS1_3repE0EEENS1_30default_config_static_selectorELNS0_4arch9wavefront6targetE0EEEvS12_
	.p2align	8
	.type	_ZN7rocprim17ROCPRIM_400000_NS6detail17trampoline_kernelINS0_13select_configILj256ELj13ELNS0_17block_load_methodE3ELS4_3ELS4_3ELNS0_20block_scan_algorithmE0ELj4294967295EEENS1_25partition_config_selectorILNS1_17partition_subalgoE4EjNS0_10empty_typeEbEEZZNS1_14partition_implILS8_4ELb0ES6_15HIP_vector_typeIjLj2EENS0_17counting_iteratorIjlEEPS9_SG_NS0_5tupleIJPjSI_NS0_16reverse_iteratorISI_EEEEENSH_IJSG_SG_SG_EEES9_SI_JZNS1_25segmented_radix_sort_implINS0_14default_configELb1EPKfPfPKlPlN2at6native12_GLOBAL__N_18offset_tEEE10hipError_tPvRmT1_PNSt15iterator_traitsIS12_E10value_typeET2_T3_PNS13_IS18_E10value_typeET4_jRbjT5_S1E_jjP12ihipStream_tbEUljE_ZNSN_ISO_Lb1ESQ_SR_ST_SU_SY_EESZ_S10_S11_S12_S16_S17_S18_S1B_S1C_jS1D_jS1E_S1E_jjS1G_bEUljE0_EEESZ_S10_S11_S18_S1C_S1E_T6_T7_T9_mT8_S1G_bDpT10_ENKUlT_T0_E_clISt17integral_constantIbLb1EES1T_IbLb0EEEEDaS1P_S1Q_EUlS1P_E_NS1_11comp_targetILNS1_3genE3ELNS1_11target_archE908ELNS1_3gpuE7ELNS1_3repE0EEENS1_30default_config_static_selectorELNS0_4arch9wavefront6targetE0EEEvS12_,@function
_ZN7rocprim17ROCPRIM_400000_NS6detail17trampoline_kernelINS0_13select_configILj256ELj13ELNS0_17block_load_methodE3ELS4_3ELS4_3ELNS0_20block_scan_algorithmE0ELj4294967295EEENS1_25partition_config_selectorILNS1_17partition_subalgoE4EjNS0_10empty_typeEbEEZZNS1_14partition_implILS8_4ELb0ES6_15HIP_vector_typeIjLj2EENS0_17counting_iteratorIjlEEPS9_SG_NS0_5tupleIJPjSI_NS0_16reverse_iteratorISI_EEEEENSH_IJSG_SG_SG_EEES9_SI_JZNS1_25segmented_radix_sort_implINS0_14default_configELb1EPKfPfPKlPlN2at6native12_GLOBAL__N_18offset_tEEE10hipError_tPvRmT1_PNSt15iterator_traitsIS12_E10value_typeET2_T3_PNS13_IS18_E10value_typeET4_jRbjT5_S1E_jjP12ihipStream_tbEUljE_ZNSN_ISO_Lb1ESQ_SR_ST_SU_SY_EESZ_S10_S11_S12_S16_S17_S18_S1B_S1C_jS1D_jS1E_S1E_jjS1G_bEUljE0_EEESZ_S10_S11_S18_S1C_S1E_T6_T7_T9_mT8_S1G_bDpT10_ENKUlT_T0_E_clISt17integral_constantIbLb1EES1T_IbLb0EEEEDaS1P_S1Q_EUlS1P_E_NS1_11comp_targetILNS1_3genE3ELNS1_11target_archE908ELNS1_3gpuE7ELNS1_3repE0EEENS1_30default_config_static_selectorELNS0_4arch9wavefront6targetE0EEEvS12_: ; @_ZN7rocprim17ROCPRIM_400000_NS6detail17trampoline_kernelINS0_13select_configILj256ELj13ELNS0_17block_load_methodE3ELS4_3ELS4_3ELNS0_20block_scan_algorithmE0ELj4294967295EEENS1_25partition_config_selectorILNS1_17partition_subalgoE4EjNS0_10empty_typeEbEEZZNS1_14partition_implILS8_4ELb0ES6_15HIP_vector_typeIjLj2EENS0_17counting_iteratorIjlEEPS9_SG_NS0_5tupleIJPjSI_NS0_16reverse_iteratorISI_EEEEENSH_IJSG_SG_SG_EEES9_SI_JZNS1_25segmented_radix_sort_implINS0_14default_configELb1EPKfPfPKlPlN2at6native12_GLOBAL__N_18offset_tEEE10hipError_tPvRmT1_PNSt15iterator_traitsIS12_E10value_typeET2_T3_PNS13_IS18_E10value_typeET4_jRbjT5_S1E_jjP12ihipStream_tbEUljE_ZNSN_ISO_Lb1ESQ_SR_ST_SU_SY_EESZ_S10_S11_S12_S16_S17_S18_S1B_S1C_jS1D_jS1E_S1E_jjS1G_bEUljE0_EEESZ_S10_S11_S18_S1C_S1E_T6_T7_T9_mT8_S1G_bDpT10_ENKUlT_T0_E_clISt17integral_constantIbLb1EES1T_IbLb0EEEEDaS1P_S1Q_EUlS1P_E_NS1_11comp_targetILNS1_3genE3ELNS1_11target_archE908ELNS1_3gpuE7ELNS1_3repE0EEENS1_30default_config_static_selectorELNS0_4arch9wavefront6targetE0EEEvS12_
; %bb.0:
	.section	.rodata,"a",@progbits
	.p2align	6, 0x0
	.amdhsa_kernel _ZN7rocprim17ROCPRIM_400000_NS6detail17trampoline_kernelINS0_13select_configILj256ELj13ELNS0_17block_load_methodE3ELS4_3ELS4_3ELNS0_20block_scan_algorithmE0ELj4294967295EEENS1_25partition_config_selectorILNS1_17partition_subalgoE4EjNS0_10empty_typeEbEEZZNS1_14partition_implILS8_4ELb0ES6_15HIP_vector_typeIjLj2EENS0_17counting_iteratorIjlEEPS9_SG_NS0_5tupleIJPjSI_NS0_16reverse_iteratorISI_EEEEENSH_IJSG_SG_SG_EEES9_SI_JZNS1_25segmented_radix_sort_implINS0_14default_configELb1EPKfPfPKlPlN2at6native12_GLOBAL__N_18offset_tEEE10hipError_tPvRmT1_PNSt15iterator_traitsIS12_E10value_typeET2_T3_PNS13_IS18_E10value_typeET4_jRbjT5_S1E_jjP12ihipStream_tbEUljE_ZNSN_ISO_Lb1ESQ_SR_ST_SU_SY_EESZ_S10_S11_S12_S16_S17_S18_S1B_S1C_jS1D_jS1E_S1E_jjS1G_bEUljE0_EEESZ_S10_S11_S18_S1C_S1E_T6_T7_T9_mT8_S1G_bDpT10_ENKUlT_T0_E_clISt17integral_constantIbLb1EES1T_IbLb0EEEEDaS1P_S1Q_EUlS1P_E_NS1_11comp_targetILNS1_3genE3ELNS1_11target_archE908ELNS1_3gpuE7ELNS1_3repE0EEENS1_30default_config_static_selectorELNS0_4arch9wavefront6targetE0EEEvS12_
		.amdhsa_group_segment_fixed_size 0
		.amdhsa_private_segment_fixed_size 0
		.amdhsa_kernarg_size 176
		.amdhsa_user_sgpr_count 2
		.amdhsa_user_sgpr_dispatch_ptr 0
		.amdhsa_user_sgpr_queue_ptr 0
		.amdhsa_user_sgpr_kernarg_segment_ptr 1
		.amdhsa_user_sgpr_dispatch_id 0
		.amdhsa_user_sgpr_private_segment_size 0
		.amdhsa_wavefront_size32 1
		.amdhsa_uses_dynamic_stack 0
		.amdhsa_enable_private_segment 0
		.amdhsa_system_sgpr_workgroup_id_x 1
		.amdhsa_system_sgpr_workgroup_id_y 0
		.amdhsa_system_sgpr_workgroup_id_z 0
		.amdhsa_system_sgpr_workgroup_info 0
		.amdhsa_system_vgpr_workitem_id 0
		.amdhsa_next_free_vgpr 1
		.amdhsa_next_free_sgpr 1
		.amdhsa_reserve_vcc 0
		.amdhsa_float_round_mode_32 0
		.amdhsa_float_round_mode_16_64 0
		.amdhsa_float_denorm_mode_32 3
		.amdhsa_float_denorm_mode_16_64 3
		.amdhsa_fp16_overflow 0
		.amdhsa_workgroup_processor_mode 1
		.amdhsa_memory_ordered 1
		.amdhsa_forward_progress 1
		.amdhsa_inst_pref_size 0
		.amdhsa_round_robin_scheduling 0
		.amdhsa_exception_fp_ieee_invalid_op 0
		.amdhsa_exception_fp_denorm_src 0
		.amdhsa_exception_fp_ieee_div_zero 0
		.amdhsa_exception_fp_ieee_overflow 0
		.amdhsa_exception_fp_ieee_underflow 0
		.amdhsa_exception_fp_ieee_inexact 0
		.amdhsa_exception_int_div_zero 0
	.end_amdhsa_kernel
	.section	.text._ZN7rocprim17ROCPRIM_400000_NS6detail17trampoline_kernelINS0_13select_configILj256ELj13ELNS0_17block_load_methodE3ELS4_3ELS4_3ELNS0_20block_scan_algorithmE0ELj4294967295EEENS1_25partition_config_selectorILNS1_17partition_subalgoE4EjNS0_10empty_typeEbEEZZNS1_14partition_implILS8_4ELb0ES6_15HIP_vector_typeIjLj2EENS0_17counting_iteratorIjlEEPS9_SG_NS0_5tupleIJPjSI_NS0_16reverse_iteratorISI_EEEEENSH_IJSG_SG_SG_EEES9_SI_JZNS1_25segmented_radix_sort_implINS0_14default_configELb1EPKfPfPKlPlN2at6native12_GLOBAL__N_18offset_tEEE10hipError_tPvRmT1_PNSt15iterator_traitsIS12_E10value_typeET2_T3_PNS13_IS18_E10value_typeET4_jRbjT5_S1E_jjP12ihipStream_tbEUljE_ZNSN_ISO_Lb1ESQ_SR_ST_SU_SY_EESZ_S10_S11_S12_S16_S17_S18_S1B_S1C_jS1D_jS1E_S1E_jjS1G_bEUljE0_EEESZ_S10_S11_S18_S1C_S1E_T6_T7_T9_mT8_S1G_bDpT10_ENKUlT_T0_E_clISt17integral_constantIbLb1EES1T_IbLb0EEEEDaS1P_S1Q_EUlS1P_E_NS1_11comp_targetILNS1_3genE3ELNS1_11target_archE908ELNS1_3gpuE7ELNS1_3repE0EEENS1_30default_config_static_selectorELNS0_4arch9wavefront6targetE0EEEvS12_,"axG",@progbits,_ZN7rocprim17ROCPRIM_400000_NS6detail17trampoline_kernelINS0_13select_configILj256ELj13ELNS0_17block_load_methodE3ELS4_3ELS4_3ELNS0_20block_scan_algorithmE0ELj4294967295EEENS1_25partition_config_selectorILNS1_17partition_subalgoE4EjNS0_10empty_typeEbEEZZNS1_14partition_implILS8_4ELb0ES6_15HIP_vector_typeIjLj2EENS0_17counting_iteratorIjlEEPS9_SG_NS0_5tupleIJPjSI_NS0_16reverse_iteratorISI_EEEEENSH_IJSG_SG_SG_EEES9_SI_JZNS1_25segmented_radix_sort_implINS0_14default_configELb1EPKfPfPKlPlN2at6native12_GLOBAL__N_18offset_tEEE10hipError_tPvRmT1_PNSt15iterator_traitsIS12_E10value_typeET2_T3_PNS13_IS18_E10value_typeET4_jRbjT5_S1E_jjP12ihipStream_tbEUljE_ZNSN_ISO_Lb1ESQ_SR_ST_SU_SY_EESZ_S10_S11_S12_S16_S17_S18_S1B_S1C_jS1D_jS1E_S1E_jjS1G_bEUljE0_EEESZ_S10_S11_S18_S1C_S1E_T6_T7_T9_mT8_S1G_bDpT10_ENKUlT_T0_E_clISt17integral_constantIbLb1EES1T_IbLb0EEEEDaS1P_S1Q_EUlS1P_E_NS1_11comp_targetILNS1_3genE3ELNS1_11target_archE908ELNS1_3gpuE7ELNS1_3repE0EEENS1_30default_config_static_selectorELNS0_4arch9wavefront6targetE0EEEvS12_,comdat
.Lfunc_end1280:
	.size	_ZN7rocprim17ROCPRIM_400000_NS6detail17trampoline_kernelINS0_13select_configILj256ELj13ELNS0_17block_load_methodE3ELS4_3ELS4_3ELNS0_20block_scan_algorithmE0ELj4294967295EEENS1_25partition_config_selectorILNS1_17partition_subalgoE4EjNS0_10empty_typeEbEEZZNS1_14partition_implILS8_4ELb0ES6_15HIP_vector_typeIjLj2EENS0_17counting_iteratorIjlEEPS9_SG_NS0_5tupleIJPjSI_NS0_16reverse_iteratorISI_EEEEENSH_IJSG_SG_SG_EEES9_SI_JZNS1_25segmented_radix_sort_implINS0_14default_configELb1EPKfPfPKlPlN2at6native12_GLOBAL__N_18offset_tEEE10hipError_tPvRmT1_PNSt15iterator_traitsIS12_E10value_typeET2_T3_PNS13_IS18_E10value_typeET4_jRbjT5_S1E_jjP12ihipStream_tbEUljE_ZNSN_ISO_Lb1ESQ_SR_ST_SU_SY_EESZ_S10_S11_S12_S16_S17_S18_S1B_S1C_jS1D_jS1E_S1E_jjS1G_bEUljE0_EEESZ_S10_S11_S18_S1C_S1E_T6_T7_T9_mT8_S1G_bDpT10_ENKUlT_T0_E_clISt17integral_constantIbLb1EES1T_IbLb0EEEEDaS1P_S1Q_EUlS1P_E_NS1_11comp_targetILNS1_3genE3ELNS1_11target_archE908ELNS1_3gpuE7ELNS1_3repE0EEENS1_30default_config_static_selectorELNS0_4arch9wavefront6targetE0EEEvS12_, .Lfunc_end1280-_ZN7rocprim17ROCPRIM_400000_NS6detail17trampoline_kernelINS0_13select_configILj256ELj13ELNS0_17block_load_methodE3ELS4_3ELS4_3ELNS0_20block_scan_algorithmE0ELj4294967295EEENS1_25partition_config_selectorILNS1_17partition_subalgoE4EjNS0_10empty_typeEbEEZZNS1_14partition_implILS8_4ELb0ES6_15HIP_vector_typeIjLj2EENS0_17counting_iteratorIjlEEPS9_SG_NS0_5tupleIJPjSI_NS0_16reverse_iteratorISI_EEEEENSH_IJSG_SG_SG_EEES9_SI_JZNS1_25segmented_radix_sort_implINS0_14default_configELb1EPKfPfPKlPlN2at6native12_GLOBAL__N_18offset_tEEE10hipError_tPvRmT1_PNSt15iterator_traitsIS12_E10value_typeET2_T3_PNS13_IS18_E10value_typeET4_jRbjT5_S1E_jjP12ihipStream_tbEUljE_ZNSN_ISO_Lb1ESQ_SR_ST_SU_SY_EESZ_S10_S11_S12_S16_S17_S18_S1B_S1C_jS1D_jS1E_S1E_jjS1G_bEUljE0_EEESZ_S10_S11_S18_S1C_S1E_T6_T7_T9_mT8_S1G_bDpT10_ENKUlT_T0_E_clISt17integral_constantIbLb1EES1T_IbLb0EEEEDaS1P_S1Q_EUlS1P_E_NS1_11comp_targetILNS1_3genE3ELNS1_11target_archE908ELNS1_3gpuE7ELNS1_3repE0EEENS1_30default_config_static_selectorELNS0_4arch9wavefront6targetE0EEEvS12_
                                        ; -- End function
	.set _ZN7rocprim17ROCPRIM_400000_NS6detail17trampoline_kernelINS0_13select_configILj256ELj13ELNS0_17block_load_methodE3ELS4_3ELS4_3ELNS0_20block_scan_algorithmE0ELj4294967295EEENS1_25partition_config_selectorILNS1_17partition_subalgoE4EjNS0_10empty_typeEbEEZZNS1_14partition_implILS8_4ELb0ES6_15HIP_vector_typeIjLj2EENS0_17counting_iteratorIjlEEPS9_SG_NS0_5tupleIJPjSI_NS0_16reverse_iteratorISI_EEEEENSH_IJSG_SG_SG_EEES9_SI_JZNS1_25segmented_radix_sort_implINS0_14default_configELb1EPKfPfPKlPlN2at6native12_GLOBAL__N_18offset_tEEE10hipError_tPvRmT1_PNSt15iterator_traitsIS12_E10value_typeET2_T3_PNS13_IS18_E10value_typeET4_jRbjT5_S1E_jjP12ihipStream_tbEUljE_ZNSN_ISO_Lb1ESQ_SR_ST_SU_SY_EESZ_S10_S11_S12_S16_S17_S18_S1B_S1C_jS1D_jS1E_S1E_jjS1G_bEUljE0_EEESZ_S10_S11_S18_S1C_S1E_T6_T7_T9_mT8_S1G_bDpT10_ENKUlT_T0_E_clISt17integral_constantIbLb1EES1T_IbLb0EEEEDaS1P_S1Q_EUlS1P_E_NS1_11comp_targetILNS1_3genE3ELNS1_11target_archE908ELNS1_3gpuE7ELNS1_3repE0EEENS1_30default_config_static_selectorELNS0_4arch9wavefront6targetE0EEEvS12_.num_vgpr, 0
	.set _ZN7rocprim17ROCPRIM_400000_NS6detail17trampoline_kernelINS0_13select_configILj256ELj13ELNS0_17block_load_methodE3ELS4_3ELS4_3ELNS0_20block_scan_algorithmE0ELj4294967295EEENS1_25partition_config_selectorILNS1_17partition_subalgoE4EjNS0_10empty_typeEbEEZZNS1_14partition_implILS8_4ELb0ES6_15HIP_vector_typeIjLj2EENS0_17counting_iteratorIjlEEPS9_SG_NS0_5tupleIJPjSI_NS0_16reverse_iteratorISI_EEEEENSH_IJSG_SG_SG_EEES9_SI_JZNS1_25segmented_radix_sort_implINS0_14default_configELb1EPKfPfPKlPlN2at6native12_GLOBAL__N_18offset_tEEE10hipError_tPvRmT1_PNSt15iterator_traitsIS12_E10value_typeET2_T3_PNS13_IS18_E10value_typeET4_jRbjT5_S1E_jjP12ihipStream_tbEUljE_ZNSN_ISO_Lb1ESQ_SR_ST_SU_SY_EESZ_S10_S11_S12_S16_S17_S18_S1B_S1C_jS1D_jS1E_S1E_jjS1G_bEUljE0_EEESZ_S10_S11_S18_S1C_S1E_T6_T7_T9_mT8_S1G_bDpT10_ENKUlT_T0_E_clISt17integral_constantIbLb1EES1T_IbLb0EEEEDaS1P_S1Q_EUlS1P_E_NS1_11comp_targetILNS1_3genE3ELNS1_11target_archE908ELNS1_3gpuE7ELNS1_3repE0EEENS1_30default_config_static_selectorELNS0_4arch9wavefront6targetE0EEEvS12_.num_agpr, 0
	.set _ZN7rocprim17ROCPRIM_400000_NS6detail17trampoline_kernelINS0_13select_configILj256ELj13ELNS0_17block_load_methodE3ELS4_3ELS4_3ELNS0_20block_scan_algorithmE0ELj4294967295EEENS1_25partition_config_selectorILNS1_17partition_subalgoE4EjNS0_10empty_typeEbEEZZNS1_14partition_implILS8_4ELb0ES6_15HIP_vector_typeIjLj2EENS0_17counting_iteratorIjlEEPS9_SG_NS0_5tupleIJPjSI_NS0_16reverse_iteratorISI_EEEEENSH_IJSG_SG_SG_EEES9_SI_JZNS1_25segmented_radix_sort_implINS0_14default_configELb1EPKfPfPKlPlN2at6native12_GLOBAL__N_18offset_tEEE10hipError_tPvRmT1_PNSt15iterator_traitsIS12_E10value_typeET2_T3_PNS13_IS18_E10value_typeET4_jRbjT5_S1E_jjP12ihipStream_tbEUljE_ZNSN_ISO_Lb1ESQ_SR_ST_SU_SY_EESZ_S10_S11_S12_S16_S17_S18_S1B_S1C_jS1D_jS1E_S1E_jjS1G_bEUljE0_EEESZ_S10_S11_S18_S1C_S1E_T6_T7_T9_mT8_S1G_bDpT10_ENKUlT_T0_E_clISt17integral_constantIbLb1EES1T_IbLb0EEEEDaS1P_S1Q_EUlS1P_E_NS1_11comp_targetILNS1_3genE3ELNS1_11target_archE908ELNS1_3gpuE7ELNS1_3repE0EEENS1_30default_config_static_selectorELNS0_4arch9wavefront6targetE0EEEvS12_.numbered_sgpr, 0
	.set _ZN7rocprim17ROCPRIM_400000_NS6detail17trampoline_kernelINS0_13select_configILj256ELj13ELNS0_17block_load_methodE3ELS4_3ELS4_3ELNS0_20block_scan_algorithmE0ELj4294967295EEENS1_25partition_config_selectorILNS1_17partition_subalgoE4EjNS0_10empty_typeEbEEZZNS1_14partition_implILS8_4ELb0ES6_15HIP_vector_typeIjLj2EENS0_17counting_iteratorIjlEEPS9_SG_NS0_5tupleIJPjSI_NS0_16reverse_iteratorISI_EEEEENSH_IJSG_SG_SG_EEES9_SI_JZNS1_25segmented_radix_sort_implINS0_14default_configELb1EPKfPfPKlPlN2at6native12_GLOBAL__N_18offset_tEEE10hipError_tPvRmT1_PNSt15iterator_traitsIS12_E10value_typeET2_T3_PNS13_IS18_E10value_typeET4_jRbjT5_S1E_jjP12ihipStream_tbEUljE_ZNSN_ISO_Lb1ESQ_SR_ST_SU_SY_EESZ_S10_S11_S12_S16_S17_S18_S1B_S1C_jS1D_jS1E_S1E_jjS1G_bEUljE0_EEESZ_S10_S11_S18_S1C_S1E_T6_T7_T9_mT8_S1G_bDpT10_ENKUlT_T0_E_clISt17integral_constantIbLb1EES1T_IbLb0EEEEDaS1P_S1Q_EUlS1P_E_NS1_11comp_targetILNS1_3genE3ELNS1_11target_archE908ELNS1_3gpuE7ELNS1_3repE0EEENS1_30default_config_static_selectorELNS0_4arch9wavefront6targetE0EEEvS12_.num_named_barrier, 0
	.set _ZN7rocprim17ROCPRIM_400000_NS6detail17trampoline_kernelINS0_13select_configILj256ELj13ELNS0_17block_load_methodE3ELS4_3ELS4_3ELNS0_20block_scan_algorithmE0ELj4294967295EEENS1_25partition_config_selectorILNS1_17partition_subalgoE4EjNS0_10empty_typeEbEEZZNS1_14partition_implILS8_4ELb0ES6_15HIP_vector_typeIjLj2EENS0_17counting_iteratorIjlEEPS9_SG_NS0_5tupleIJPjSI_NS0_16reverse_iteratorISI_EEEEENSH_IJSG_SG_SG_EEES9_SI_JZNS1_25segmented_radix_sort_implINS0_14default_configELb1EPKfPfPKlPlN2at6native12_GLOBAL__N_18offset_tEEE10hipError_tPvRmT1_PNSt15iterator_traitsIS12_E10value_typeET2_T3_PNS13_IS18_E10value_typeET4_jRbjT5_S1E_jjP12ihipStream_tbEUljE_ZNSN_ISO_Lb1ESQ_SR_ST_SU_SY_EESZ_S10_S11_S12_S16_S17_S18_S1B_S1C_jS1D_jS1E_S1E_jjS1G_bEUljE0_EEESZ_S10_S11_S18_S1C_S1E_T6_T7_T9_mT8_S1G_bDpT10_ENKUlT_T0_E_clISt17integral_constantIbLb1EES1T_IbLb0EEEEDaS1P_S1Q_EUlS1P_E_NS1_11comp_targetILNS1_3genE3ELNS1_11target_archE908ELNS1_3gpuE7ELNS1_3repE0EEENS1_30default_config_static_selectorELNS0_4arch9wavefront6targetE0EEEvS12_.private_seg_size, 0
	.set _ZN7rocprim17ROCPRIM_400000_NS6detail17trampoline_kernelINS0_13select_configILj256ELj13ELNS0_17block_load_methodE3ELS4_3ELS4_3ELNS0_20block_scan_algorithmE0ELj4294967295EEENS1_25partition_config_selectorILNS1_17partition_subalgoE4EjNS0_10empty_typeEbEEZZNS1_14partition_implILS8_4ELb0ES6_15HIP_vector_typeIjLj2EENS0_17counting_iteratorIjlEEPS9_SG_NS0_5tupleIJPjSI_NS0_16reverse_iteratorISI_EEEEENSH_IJSG_SG_SG_EEES9_SI_JZNS1_25segmented_radix_sort_implINS0_14default_configELb1EPKfPfPKlPlN2at6native12_GLOBAL__N_18offset_tEEE10hipError_tPvRmT1_PNSt15iterator_traitsIS12_E10value_typeET2_T3_PNS13_IS18_E10value_typeET4_jRbjT5_S1E_jjP12ihipStream_tbEUljE_ZNSN_ISO_Lb1ESQ_SR_ST_SU_SY_EESZ_S10_S11_S12_S16_S17_S18_S1B_S1C_jS1D_jS1E_S1E_jjS1G_bEUljE0_EEESZ_S10_S11_S18_S1C_S1E_T6_T7_T9_mT8_S1G_bDpT10_ENKUlT_T0_E_clISt17integral_constantIbLb1EES1T_IbLb0EEEEDaS1P_S1Q_EUlS1P_E_NS1_11comp_targetILNS1_3genE3ELNS1_11target_archE908ELNS1_3gpuE7ELNS1_3repE0EEENS1_30default_config_static_selectorELNS0_4arch9wavefront6targetE0EEEvS12_.uses_vcc, 0
	.set _ZN7rocprim17ROCPRIM_400000_NS6detail17trampoline_kernelINS0_13select_configILj256ELj13ELNS0_17block_load_methodE3ELS4_3ELS4_3ELNS0_20block_scan_algorithmE0ELj4294967295EEENS1_25partition_config_selectorILNS1_17partition_subalgoE4EjNS0_10empty_typeEbEEZZNS1_14partition_implILS8_4ELb0ES6_15HIP_vector_typeIjLj2EENS0_17counting_iteratorIjlEEPS9_SG_NS0_5tupleIJPjSI_NS0_16reverse_iteratorISI_EEEEENSH_IJSG_SG_SG_EEES9_SI_JZNS1_25segmented_radix_sort_implINS0_14default_configELb1EPKfPfPKlPlN2at6native12_GLOBAL__N_18offset_tEEE10hipError_tPvRmT1_PNSt15iterator_traitsIS12_E10value_typeET2_T3_PNS13_IS18_E10value_typeET4_jRbjT5_S1E_jjP12ihipStream_tbEUljE_ZNSN_ISO_Lb1ESQ_SR_ST_SU_SY_EESZ_S10_S11_S12_S16_S17_S18_S1B_S1C_jS1D_jS1E_S1E_jjS1G_bEUljE0_EEESZ_S10_S11_S18_S1C_S1E_T6_T7_T9_mT8_S1G_bDpT10_ENKUlT_T0_E_clISt17integral_constantIbLb1EES1T_IbLb0EEEEDaS1P_S1Q_EUlS1P_E_NS1_11comp_targetILNS1_3genE3ELNS1_11target_archE908ELNS1_3gpuE7ELNS1_3repE0EEENS1_30default_config_static_selectorELNS0_4arch9wavefront6targetE0EEEvS12_.uses_flat_scratch, 0
	.set _ZN7rocprim17ROCPRIM_400000_NS6detail17trampoline_kernelINS0_13select_configILj256ELj13ELNS0_17block_load_methodE3ELS4_3ELS4_3ELNS0_20block_scan_algorithmE0ELj4294967295EEENS1_25partition_config_selectorILNS1_17partition_subalgoE4EjNS0_10empty_typeEbEEZZNS1_14partition_implILS8_4ELb0ES6_15HIP_vector_typeIjLj2EENS0_17counting_iteratorIjlEEPS9_SG_NS0_5tupleIJPjSI_NS0_16reverse_iteratorISI_EEEEENSH_IJSG_SG_SG_EEES9_SI_JZNS1_25segmented_radix_sort_implINS0_14default_configELb1EPKfPfPKlPlN2at6native12_GLOBAL__N_18offset_tEEE10hipError_tPvRmT1_PNSt15iterator_traitsIS12_E10value_typeET2_T3_PNS13_IS18_E10value_typeET4_jRbjT5_S1E_jjP12ihipStream_tbEUljE_ZNSN_ISO_Lb1ESQ_SR_ST_SU_SY_EESZ_S10_S11_S12_S16_S17_S18_S1B_S1C_jS1D_jS1E_S1E_jjS1G_bEUljE0_EEESZ_S10_S11_S18_S1C_S1E_T6_T7_T9_mT8_S1G_bDpT10_ENKUlT_T0_E_clISt17integral_constantIbLb1EES1T_IbLb0EEEEDaS1P_S1Q_EUlS1P_E_NS1_11comp_targetILNS1_3genE3ELNS1_11target_archE908ELNS1_3gpuE7ELNS1_3repE0EEENS1_30default_config_static_selectorELNS0_4arch9wavefront6targetE0EEEvS12_.has_dyn_sized_stack, 0
	.set _ZN7rocprim17ROCPRIM_400000_NS6detail17trampoline_kernelINS0_13select_configILj256ELj13ELNS0_17block_load_methodE3ELS4_3ELS4_3ELNS0_20block_scan_algorithmE0ELj4294967295EEENS1_25partition_config_selectorILNS1_17partition_subalgoE4EjNS0_10empty_typeEbEEZZNS1_14partition_implILS8_4ELb0ES6_15HIP_vector_typeIjLj2EENS0_17counting_iteratorIjlEEPS9_SG_NS0_5tupleIJPjSI_NS0_16reverse_iteratorISI_EEEEENSH_IJSG_SG_SG_EEES9_SI_JZNS1_25segmented_radix_sort_implINS0_14default_configELb1EPKfPfPKlPlN2at6native12_GLOBAL__N_18offset_tEEE10hipError_tPvRmT1_PNSt15iterator_traitsIS12_E10value_typeET2_T3_PNS13_IS18_E10value_typeET4_jRbjT5_S1E_jjP12ihipStream_tbEUljE_ZNSN_ISO_Lb1ESQ_SR_ST_SU_SY_EESZ_S10_S11_S12_S16_S17_S18_S1B_S1C_jS1D_jS1E_S1E_jjS1G_bEUljE0_EEESZ_S10_S11_S18_S1C_S1E_T6_T7_T9_mT8_S1G_bDpT10_ENKUlT_T0_E_clISt17integral_constantIbLb1EES1T_IbLb0EEEEDaS1P_S1Q_EUlS1P_E_NS1_11comp_targetILNS1_3genE3ELNS1_11target_archE908ELNS1_3gpuE7ELNS1_3repE0EEENS1_30default_config_static_selectorELNS0_4arch9wavefront6targetE0EEEvS12_.has_recursion, 0
	.set _ZN7rocprim17ROCPRIM_400000_NS6detail17trampoline_kernelINS0_13select_configILj256ELj13ELNS0_17block_load_methodE3ELS4_3ELS4_3ELNS0_20block_scan_algorithmE0ELj4294967295EEENS1_25partition_config_selectorILNS1_17partition_subalgoE4EjNS0_10empty_typeEbEEZZNS1_14partition_implILS8_4ELb0ES6_15HIP_vector_typeIjLj2EENS0_17counting_iteratorIjlEEPS9_SG_NS0_5tupleIJPjSI_NS0_16reverse_iteratorISI_EEEEENSH_IJSG_SG_SG_EEES9_SI_JZNS1_25segmented_radix_sort_implINS0_14default_configELb1EPKfPfPKlPlN2at6native12_GLOBAL__N_18offset_tEEE10hipError_tPvRmT1_PNSt15iterator_traitsIS12_E10value_typeET2_T3_PNS13_IS18_E10value_typeET4_jRbjT5_S1E_jjP12ihipStream_tbEUljE_ZNSN_ISO_Lb1ESQ_SR_ST_SU_SY_EESZ_S10_S11_S12_S16_S17_S18_S1B_S1C_jS1D_jS1E_S1E_jjS1G_bEUljE0_EEESZ_S10_S11_S18_S1C_S1E_T6_T7_T9_mT8_S1G_bDpT10_ENKUlT_T0_E_clISt17integral_constantIbLb1EES1T_IbLb0EEEEDaS1P_S1Q_EUlS1P_E_NS1_11comp_targetILNS1_3genE3ELNS1_11target_archE908ELNS1_3gpuE7ELNS1_3repE0EEENS1_30default_config_static_selectorELNS0_4arch9wavefront6targetE0EEEvS12_.has_indirect_call, 0
	.section	.AMDGPU.csdata,"",@progbits
; Kernel info:
; codeLenInByte = 0
; TotalNumSgprs: 0
; NumVgprs: 0
; ScratchSize: 0
; MemoryBound: 0
; FloatMode: 240
; IeeeMode: 1
; LDSByteSize: 0 bytes/workgroup (compile time only)
; SGPRBlocks: 0
; VGPRBlocks: 0
; NumSGPRsForWavesPerEU: 1
; NumVGPRsForWavesPerEU: 1
; Occupancy: 16
; WaveLimiterHint : 0
; COMPUTE_PGM_RSRC2:SCRATCH_EN: 0
; COMPUTE_PGM_RSRC2:USER_SGPR: 2
; COMPUTE_PGM_RSRC2:TRAP_HANDLER: 0
; COMPUTE_PGM_RSRC2:TGID_X_EN: 1
; COMPUTE_PGM_RSRC2:TGID_Y_EN: 0
; COMPUTE_PGM_RSRC2:TGID_Z_EN: 0
; COMPUTE_PGM_RSRC2:TIDIG_COMP_CNT: 0
	.section	.text._ZN7rocprim17ROCPRIM_400000_NS6detail17trampoline_kernelINS0_13select_configILj256ELj13ELNS0_17block_load_methodE3ELS4_3ELS4_3ELNS0_20block_scan_algorithmE0ELj4294967295EEENS1_25partition_config_selectorILNS1_17partition_subalgoE4EjNS0_10empty_typeEbEEZZNS1_14partition_implILS8_4ELb0ES6_15HIP_vector_typeIjLj2EENS0_17counting_iteratorIjlEEPS9_SG_NS0_5tupleIJPjSI_NS0_16reverse_iteratorISI_EEEEENSH_IJSG_SG_SG_EEES9_SI_JZNS1_25segmented_radix_sort_implINS0_14default_configELb1EPKfPfPKlPlN2at6native12_GLOBAL__N_18offset_tEEE10hipError_tPvRmT1_PNSt15iterator_traitsIS12_E10value_typeET2_T3_PNS13_IS18_E10value_typeET4_jRbjT5_S1E_jjP12ihipStream_tbEUljE_ZNSN_ISO_Lb1ESQ_SR_ST_SU_SY_EESZ_S10_S11_S12_S16_S17_S18_S1B_S1C_jS1D_jS1E_S1E_jjS1G_bEUljE0_EEESZ_S10_S11_S18_S1C_S1E_T6_T7_T9_mT8_S1G_bDpT10_ENKUlT_T0_E_clISt17integral_constantIbLb1EES1T_IbLb0EEEEDaS1P_S1Q_EUlS1P_E_NS1_11comp_targetILNS1_3genE2ELNS1_11target_archE906ELNS1_3gpuE6ELNS1_3repE0EEENS1_30default_config_static_selectorELNS0_4arch9wavefront6targetE0EEEvS12_,"axG",@progbits,_ZN7rocprim17ROCPRIM_400000_NS6detail17trampoline_kernelINS0_13select_configILj256ELj13ELNS0_17block_load_methodE3ELS4_3ELS4_3ELNS0_20block_scan_algorithmE0ELj4294967295EEENS1_25partition_config_selectorILNS1_17partition_subalgoE4EjNS0_10empty_typeEbEEZZNS1_14partition_implILS8_4ELb0ES6_15HIP_vector_typeIjLj2EENS0_17counting_iteratorIjlEEPS9_SG_NS0_5tupleIJPjSI_NS0_16reverse_iteratorISI_EEEEENSH_IJSG_SG_SG_EEES9_SI_JZNS1_25segmented_radix_sort_implINS0_14default_configELb1EPKfPfPKlPlN2at6native12_GLOBAL__N_18offset_tEEE10hipError_tPvRmT1_PNSt15iterator_traitsIS12_E10value_typeET2_T3_PNS13_IS18_E10value_typeET4_jRbjT5_S1E_jjP12ihipStream_tbEUljE_ZNSN_ISO_Lb1ESQ_SR_ST_SU_SY_EESZ_S10_S11_S12_S16_S17_S18_S1B_S1C_jS1D_jS1E_S1E_jjS1G_bEUljE0_EEESZ_S10_S11_S18_S1C_S1E_T6_T7_T9_mT8_S1G_bDpT10_ENKUlT_T0_E_clISt17integral_constantIbLb1EES1T_IbLb0EEEEDaS1P_S1Q_EUlS1P_E_NS1_11comp_targetILNS1_3genE2ELNS1_11target_archE906ELNS1_3gpuE6ELNS1_3repE0EEENS1_30default_config_static_selectorELNS0_4arch9wavefront6targetE0EEEvS12_,comdat
	.globl	_ZN7rocprim17ROCPRIM_400000_NS6detail17trampoline_kernelINS0_13select_configILj256ELj13ELNS0_17block_load_methodE3ELS4_3ELS4_3ELNS0_20block_scan_algorithmE0ELj4294967295EEENS1_25partition_config_selectorILNS1_17partition_subalgoE4EjNS0_10empty_typeEbEEZZNS1_14partition_implILS8_4ELb0ES6_15HIP_vector_typeIjLj2EENS0_17counting_iteratorIjlEEPS9_SG_NS0_5tupleIJPjSI_NS0_16reverse_iteratorISI_EEEEENSH_IJSG_SG_SG_EEES9_SI_JZNS1_25segmented_radix_sort_implINS0_14default_configELb1EPKfPfPKlPlN2at6native12_GLOBAL__N_18offset_tEEE10hipError_tPvRmT1_PNSt15iterator_traitsIS12_E10value_typeET2_T3_PNS13_IS18_E10value_typeET4_jRbjT5_S1E_jjP12ihipStream_tbEUljE_ZNSN_ISO_Lb1ESQ_SR_ST_SU_SY_EESZ_S10_S11_S12_S16_S17_S18_S1B_S1C_jS1D_jS1E_S1E_jjS1G_bEUljE0_EEESZ_S10_S11_S18_S1C_S1E_T6_T7_T9_mT8_S1G_bDpT10_ENKUlT_T0_E_clISt17integral_constantIbLb1EES1T_IbLb0EEEEDaS1P_S1Q_EUlS1P_E_NS1_11comp_targetILNS1_3genE2ELNS1_11target_archE906ELNS1_3gpuE6ELNS1_3repE0EEENS1_30default_config_static_selectorELNS0_4arch9wavefront6targetE0EEEvS12_ ; -- Begin function _ZN7rocprim17ROCPRIM_400000_NS6detail17trampoline_kernelINS0_13select_configILj256ELj13ELNS0_17block_load_methodE3ELS4_3ELS4_3ELNS0_20block_scan_algorithmE0ELj4294967295EEENS1_25partition_config_selectorILNS1_17partition_subalgoE4EjNS0_10empty_typeEbEEZZNS1_14partition_implILS8_4ELb0ES6_15HIP_vector_typeIjLj2EENS0_17counting_iteratorIjlEEPS9_SG_NS0_5tupleIJPjSI_NS0_16reverse_iteratorISI_EEEEENSH_IJSG_SG_SG_EEES9_SI_JZNS1_25segmented_radix_sort_implINS0_14default_configELb1EPKfPfPKlPlN2at6native12_GLOBAL__N_18offset_tEEE10hipError_tPvRmT1_PNSt15iterator_traitsIS12_E10value_typeET2_T3_PNS13_IS18_E10value_typeET4_jRbjT5_S1E_jjP12ihipStream_tbEUljE_ZNSN_ISO_Lb1ESQ_SR_ST_SU_SY_EESZ_S10_S11_S12_S16_S17_S18_S1B_S1C_jS1D_jS1E_S1E_jjS1G_bEUljE0_EEESZ_S10_S11_S18_S1C_S1E_T6_T7_T9_mT8_S1G_bDpT10_ENKUlT_T0_E_clISt17integral_constantIbLb1EES1T_IbLb0EEEEDaS1P_S1Q_EUlS1P_E_NS1_11comp_targetILNS1_3genE2ELNS1_11target_archE906ELNS1_3gpuE6ELNS1_3repE0EEENS1_30default_config_static_selectorELNS0_4arch9wavefront6targetE0EEEvS12_
	.p2align	8
	.type	_ZN7rocprim17ROCPRIM_400000_NS6detail17trampoline_kernelINS0_13select_configILj256ELj13ELNS0_17block_load_methodE3ELS4_3ELS4_3ELNS0_20block_scan_algorithmE0ELj4294967295EEENS1_25partition_config_selectorILNS1_17partition_subalgoE4EjNS0_10empty_typeEbEEZZNS1_14partition_implILS8_4ELb0ES6_15HIP_vector_typeIjLj2EENS0_17counting_iteratorIjlEEPS9_SG_NS0_5tupleIJPjSI_NS0_16reverse_iteratorISI_EEEEENSH_IJSG_SG_SG_EEES9_SI_JZNS1_25segmented_radix_sort_implINS0_14default_configELb1EPKfPfPKlPlN2at6native12_GLOBAL__N_18offset_tEEE10hipError_tPvRmT1_PNSt15iterator_traitsIS12_E10value_typeET2_T3_PNS13_IS18_E10value_typeET4_jRbjT5_S1E_jjP12ihipStream_tbEUljE_ZNSN_ISO_Lb1ESQ_SR_ST_SU_SY_EESZ_S10_S11_S12_S16_S17_S18_S1B_S1C_jS1D_jS1E_S1E_jjS1G_bEUljE0_EEESZ_S10_S11_S18_S1C_S1E_T6_T7_T9_mT8_S1G_bDpT10_ENKUlT_T0_E_clISt17integral_constantIbLb1EES1T_IbLb0EEEEDaS1P_S1Q_EUlS1P_E_NS1_11comp_targetILNS1_3genE2ELNS1_11target_archE906ELNS1_3gpuE6ELNS1_3repE0EEENS1_30default_config_static_selectorELNS0_4arch9wavefront6targetE0EEEvS12_,@function
_ZN7rocprim17ROCPRIM_400000_NS6detail17trampoline_kernelINS0_13select_configILj256ELj13ELNS0_17block_load_methodE3ELS4_3ELS4_3ELNS0_20block_scan_algorithmE0ELj4294967295EEENS1_25partition_config_selectorILNS1_17partition_subalgoE4EjNS0_10empty_typeEbEEZZNS1_14partition_implILS8_4ELb0ES6_15HIP_vector_typeIjLj2EENS0_17counting_iteratorIjlEEPS9_SG_NS0_5tupleIJPjSI_NS0_16reverse_iteratorISI_EEEEENSH_IJSG_SG_SG_EEES9_SI_JZNS1_25segmented_radix_sort_implINS0_14default_configELb1EPKfPfPKlPlN2at6native12_GLOBAL__N_18offset_tEEE10hipError_tPvRmT1_PNSt15iterator_traitsIS12_E10value_typeET2_T3_PNS13_IS18_E10value_typeET4_jRbjT5_S1E_jjP12ihipStream_tbEUljE_ZNSN_ISO_Lb1ESQ_SR_ST_SU_SY_EESZ_S10_S11_S12_S16_S17_S18_S1B_S1C_jS1D_jS1E_S1E_jjS1G_bEUljE0_EEESZ_S10_S11_S18_S1C_S1E_T6_T7_T9_mT8_S1G_bDpT10_ENKUlT_T0_E_clISt17integral_constantIbLb1EES1T_IbLb0EEEEDaS1P_S1Q_EUlS1P_E_NS1_11comp_targetILNS1_3genE2ELNS1_11target_archE906ELNS1_3gpuE6ELNS1_3repE0EEENS1_30default_config_static_selectorELNS0_4arch9wavefront6targetE0EEEvS12_: ; @_ZN7rocprim17ROCPRIM_400000_NS6detail17trampoline_kernelINS0_13select_configILj256ELj13ELNS0_17block_load_methodE3ELS4_3ELS4_3ELNS0_20block_scan_algorithmE0ELj4294967295EEENS1_25partition_config_selectorILNS1_17partition_subalgoE4EjNS0_10empty_typeEbEEZZNS1_14partition_implILS8_4ELb0ES6_15HIP_vector_typeIjLj2EENS0_17counting_iteratorIjlEEPS9_SG_NS0_5tupleIJPjSI_NS0_16reverse_iteratorISI_EEEEENSH_IJSG_SG_SG_EEES9_SI_JZNS1_25segmented_radix_sort_implINS0_14default_configELb1EPKfPfPKlPlN2at6native12_GLOBAL__N_18offset_tEEE10hipError_tPvRmT1_PNSt15iterator_traitsIS12_E10value_typeET2_T3_PNS13_IS18_E10value_typeET4_jRbjT5_S1E_jjP12ihipStream_tbEUljE_ZNSN_ISO_Lb1ESQ_SR_ST_SU_SY_EESZ_S10_S11_S12_S16_S17_S18_S1B_S1C_jS1D_jS1E_S1E_jjS1G_bEUljE0_EEESZ_S10_S11_S18_S1C_S1E_T6_T7_T9_mT8_S1G_bDpT10_ENKUlT_T0_E_clISt17integral_constantIbLb1EES1T_IbLb0EEEEDaS1P_S1Q_EUlS1P_E_NS1_11comp_targetILNS1_3genE2ELNS1_11target_archE906ELNS1_3gpuE6ELNS1_3repE0EEENS1_30default_config_static_selectorELNS0_4arch9wavefront6targetE0EEEvS12_
; %bb.0:
	.section	.rodata,"a",@progbits
	.p2align	6, 0x0
	.amdhsa_kernel _ZN7rocprim17ROCPRIM_400000_NS6detail17trampoline_kernelINS0_13select_configILj256ELj13ELNS0_17block_load_methodE3ELS4_3ELS4_3ELNS0_20block_scan_algorithmE0ELj4294967295EEENS1_25partition_config_selectorILNS1_17partition_subalgoE4EjNS0_10empty_typeEbEEZZNS1_14partition_implILS8_4ELb0ES6_15HIP_vector_typeIjLj2EENS0_17counting_iteratorIjlEEPS9_SG_NS0_5tupleIJPjSI_NS0_16reverse_iteratorISI_EEEEENSH_IJSG_SG_SG_EEES9_SI_JZNS1_25segmented_radix_sort_implINS0_14default_configELb1EPKfPfPKlPlN2at6native12_GLOBAL__N_18offset_tEEE10hipError_tPvRmT1_PNSt15iterator_traitsIS12_E10value_typeET2_T3_PNS13_IS18_E10value_typeET4_jRbjT5_S1E_jjP12ihipStream_tbEUljE_ZNSN_ISO_Lb1ESQ_SR_ST_SU_SY_EESZ_S10_S11_S12_S16_S17_S18_S1B_S1C_jS1D_jS1E_S1E_jjS1G_bEUljE0_EEESZ_S10_S11_S18_S1C_S1E_T6_T7_T9_mT8_S1G_bDpT10_ENKUlT_T0_E_clISt17integral_constantIbLb1EES1T_IbLb0EEEEDaS1P_S1Q_EUlS1P_E_NS1_11comp_targetILNS1_3genE2ELNS1_11target_archE906ELNS1_3gpuE6ELNS1_3repE0EEENS1_30default_config_static_selectorELNS0_4arch9wavefront6targetE0EEEvS12_
		.amdhsa_group_segment_fixed_size 0
		.amdhsa_private_segment_fixed_size 0
		.amdhsa_kernarg_size 176
		.amdhsa_user_sgpr_count 2
		.amdhsa_user_sgpr_dispatch_ptr 0
		.amdhsa_user_sgpr_queue_ptr 0
		.amdhsa_user_sgpr_kernarg_segment_ptr 1
		.amdhsa_user_sgpr_dispatch_id 0
		.amdhsa_user_sgpr_private_segment_size 0
		.amdhsa_wavefront_size32 1
		.amdhsa_uses_dynamic_stack 0
		.amdhsa_enable_private_segment 0
		.amdhsa_system_sgpr_workgroup_id_x 1
		.amdhsa_system_sgpr_workgroup_id_y 0
		.amdhsa_system_sgpr_workgroup_id_z 0
		.amdhsa_system_sgpr_workgroup_info 0
		.amdhsa_system_vgpr_workitem_id 0
		.amdhsa_next_free_vgpr 1
		.amdhsa_next_free_sgpr 1
		.amdhsa_reserve_vcc 0
		.amdhsa_float_round_mode_32 0
		.amdhsa_float_round_mode_16_64 0
		.amdhsa_float_denorm_mode_32 3
		.amdhsa_float_denorm_mode_16_64 3
		.amdhsa_fp16_overflow 0
		.amdhsa_workgroup_processor_mode 1
		.amdhsa_memory_ordered 1
		.amdhsa_forward_progress 1
		.amdhsa_inst_pref_size 0
		.amdhsa_round_robin_scheduling 0
		.amdhsa_exception_fp_ieee_invalid_op 0
		.amdhsa_exception_fp_denorm_src 0
		.amdhsa_exception_fp_ieee_div_zero 0
		.amdhsa_exception_fp_ieee_overflow 0
		.amdhsa_exception_fp_ieee_underflow 0
		.amdhsa_exception_fp_ieee_inexact 0
		.amdhsa_exception_int_div_zero 0
	.end_amdhsa_kernel
	.section	.text._ZN7rocprim17ROCPRIM_400000_NS6detail17trampoline_kernelINS0_13select_configILj256ELj13ELNS0_17block_load_methodE3ELS4_3ELS4_3ELNS0_20block_scan_algorithmE0ELj4294967295EEENS1_25partition_config_selectorILNS1_17partition_subalgoE4EjNS0_10empty_typeEbEEZZNS1_14partition_implILS8_4ELb0ES6_15HIP_vector_typeIjLj2EENS0_17counting_iteratorIjlEEPS9_SG_NS0_5tupleIJPjSI_NS0_16reverse_iteratorISI_EEEEENSH_IJSG_SG_SG_EEES9_SI_JZNS1_25segmented_radix_sort_implINS0_14default_configELb1EPKfPfPKlPlN2at6native12_GLOBAL__N_18offset_tEEE10hipError_tPvRmT1_PNSt15iterator_traitsIS12_E10value_typeET2_T3_PNS13_IS18_E10value_typeET4_jRbjT5_S1E_jjP12ihipStream_tbEUljE_ZNSN_ISO_Lb1ESQ_SR_ST_SU_SY_EESZ_S10_S11_S12_S16_S17_S18_S1B_S1C_jS1D_jS1E_S1E_jjS1G_bEUljE0_EEESZ_S10_S11_S18_S1C_S1E_T6_T7_T9_mT8_S1G_bDpT10_ENKUlT_T0_E_clISt17integral_constantIbLb1EES1T_IbLb0EEEEDaS1P_S1Q_EUlS1P_E_NS1_11comp_targetILNS1_3genE2ELNS1_11target_archE906ELNS1_3gpuE6ELNS1_3repE0EEENS1_30default_config_static_selectorELNS0_4arch9wavefront6targetE0EEEvS12_,"axG",@progbits,_ZN7rocprim17ROCPRIM_400000_NS6detail17trampoline_kernelINS0_13select_configILj256ELj13ELNS0_17block_load_methodE3ELS4_3ELS4_3ELNS0_20block_scan_algorithmE0ELj4294967295EEENS1_25partition_config_selectorILNS1_17partition_subalgoE4EjNS0_10empty_typeEbEEZZNS1_14partition_implILS8_4ELb0ES6_15HIP_vector_typeIjLj2EENS0_17counting_iteratorIjlEEPS9_SG_NS0_5tupleIJPjSI_NS0_16reverse_iteratorISI_EEEEENSH_IJSG_SG_SG_EEES9_SI_JZNS1_25segmented_radix_sort_implINS0_14default_configELb1EPKfPfPKlPlN2at6native12_GLOBAL__N_18offset_tEEE10hipError_tPvRmT1_PNSt15iterator_traitsIS12_E10value_typeET2_T3_PNS13_IS18_E10value_typeET4_jRbjT5_S1E_jjP12ihipStream_tbEUljE_ZNSN_ISO_Lb1ESQ_SR_ST_SU_SY_EESZ_S10_S11_S12_S16_S17_S18_S1B_S1C_jS1D_jS1E_S1E_jjS1G_bEUljE0_EEESZ_S10_S11_S18_S1C_S1E_T6_T7_T9_mT8_S1G_bDpT10_ENKUlT_T0_E_clISt17integral_constantIbLb1EES1T_IbLb0EEEEDaS1P_S1Q_EUlS1P_E_NS1_11comp_targetILNS1_3genE2ELNS1_11target_archE906ELNS1_3gpuE6ELNS1_3repE0EEENS1_30default_config_static_selectorELNS0_4arch9wavefront6targetE0EEEvS12_,comdat
.Lfunc_end1281:
	.size	_ZN7rocprim17ROCPRIM_400000_NS6detail17trampoline_kernelINS0_13select_configILj256ELj13ELNS0_17block_load_methodE3ELS4_3ELS4_3ELNS0_20block_scan_algorithmE0ELj4294967295EEENS1_25partition_config_selectorILNS1_17partition_subalgoE4EjNS0_10empty_typeEbEEZZNS1_14partition_implILS8_4ELb0ES6_15HIP_vector_typeIjLj2EENS0_17counting_iteratorIjlEEPS9_SG_NS0_5tupleIJPjSI_NS0_16reverse_iteratorISI_EEEEENSH_IJSG_SG_SG_EEES9_SI_JZNS1_25segmented_radix_sort_implINS0_14default_configELb1EPKfPfPKlPlN2at6native12_GLOBAL__N_18offset_tEEE10hipError_tPvRmT1_PNSt15iterator_traitsIS12_E10value_typeET2_T3_PNS13_IS18_E10value_typeET4_jRbjT5_S1E_jjP12ihipStream_tbEUljE_ZNSN_ISO_Lb1ESQ_SR_ST_SU_SY_EESZ_S10_S11_S12_S16_S17_S18_S1B_S1C_jS1D_jS1E_S1E_jjS1G_bEUljE0_EEESZ_S10_S11_S18_S1C_S1E_T6_T7_T9_mT8_S1G_bDpT10_ENKUlT_T0_E_clISt17integral_constantIbLb1EES1T_IbLb0EEEEDaS1P_S1Q_EUlS1P_E_NS1_11comp_targetILNS1_3genE2ELNS1_11target_archE906ELNS1_3gpuE6ELNS1_3repE0EEENS1_30default_config_static_selectorELNS0_4arch9wavefront6targetE0EEEvS12_, .Lfunc_end1281-_ZN7rocprim17ROCPRIM_400000_NS6detail17trampoline_kernelINS0_13select_configILj256ELj13ELNS0_17block_load_methodE3ELS4_3ELS4_3ELNS0_20block_scan_algorithmE0ELj4294967295EEENS1_25partition_config_selectorILNS1_17partition_subalgoE4EjNS0_10empty_typeEbEEZZNS1_14partition_implILS8_4ELb0ES6_15HIP_vector_typeIjLj2EENS0_17counting_iteratorIjlEEPS9_SG_NS0_5tupleIJPjSI_NS0_16reverse_iteratorISI_EEEEENSH_IJSG_SG_SG_EEES9_SI_JZNS1_25segmented_radix_sort_implINS0_14default_configELb1EPKfPfPKlPlN2at6native12_GLOBAL__N_18offset_tEEE10hipError_tPvRmT1_PNSt15iterator_traitsIS12_E10value_typeET2_T3_PNS13_IS18_E10value_typeET4_jRbjT5_S1E_jjP12ihipStream_tbEUljE_ZNSN_ISO_Lb1ESQ_SR_ST_SU_SY_EESZ_S10_S11_S12_S16_S17_S18_S1B_S1C_jS1D_jS1E_S1E_jjS1G_bEUljE0_EEESZ_S10_S11_S18_S1C_S1E_T6_T7_T9_mT8_S1G_bDpT10_ENKUlT_T0_E_clISt17integral_constantIbLb1EES1T_IbLb0EEEEDaS1P_S1Q_EUlS1P_E_NS1_11comp_targetILNS1_3genE2ELNS1_11target_archE906ELNS1_3gpuE6ELNS1_3repE0EEENS1_30default_config_static_selectorELNS0_4arch9wavefront6targetE0EEEvS12_
                                        ; -- End function
	.set _ZN7rocprim17ROCPRIM_400000_NS6detail17trampoline_kernelINS0_13select_configILj256ELj13ELNS0_17block_load_methodE3ELS4_3ELS4_3ELNS0_20block_scan_algorithmE0ELj4294967295EEENS1_25partition_config_selectorILNS1_17partition_subalgoE4EjNS0_10empty_typeEbEEZZNS1_14partition_implILS8_4ELb0ES6_15HIP_vector_typeIjLj2EENS0_17counting_iteratorIjlEEPS9_SG_NS0_5tupleIJPjSI_NS0_16reverse_iteratorISI_EEEEENSH_IJSG_SG_SG_EEES9_SI_JZNS1_25segmented_radix_sort_implINS0_14default_configELb1EPKfPfPKlPlN2at6native12_GLOBAL__N_18offset_tEEE10hipError_tPvRmT1_PNSt15iterator_traitsIS12_E10value_typeET2_T3_PNS13_IS18_E10value_typeET4_jRbjT5_S1E_jjP12ihipStream_tbEUljE_ZNSN_ISO_Lb1ESQ_SR_ST_SU_SY_EESZ_S10_S11_S12_S16_S17_S18_S1B_S1C_jS1D_jS1E_S1E_jjS1G_bEUljE0_EEESZ_S10_S11_S18_S1C_S1E_T6_T7_T9_mT8_S1G_bDpT10_ENKUlT_T0_E_clISt17integral_constantIbLb1EES1T_IbLb0EEEEDaS1P_S1Q_EUlS1P_E_NS1_11comp_targetILNS1_3genE2ELNS1_11target_archE906ELNS1_3gpuE6ELNS1_3repE0EEENS1_30default_config_static_selectorELNS0_4arch9wavefront6targetE0EEEvS12_.num_vgpr, 0
	.set _ZN7rocprim17ROCPRIM_400000_NS6detail17trampoline_kernelINS0_13select_configILj256ELj13ELNS0_17block_load_methodE3ELS4_3ELS4_3ELNS0_20block_scan_algorithmE0ELj4294967295EEENS1_25partition_config_selectorILNS1_17partition_subalgoE4EjNS0_10empty_typeEbEEZZNS1_14partition_implILS8_4ELb0ES6_15HIP_vector_typeIjLj2EENS0_17counting_iteratorIjlEEPS9_SG_NS0_5tupleIJPjSI_NS0_16reverse_iteratorISI_EEEEENSH_IJSG_SG_SG_EEES9_SI_JZNS1_25segmented_radix_sort_implINS0_14default_configELb1EPKfPfPKlPlN2at6native12_GLOBAL__N_18offset_tEEE10hipError_tPvRmT1_PNSt15iterator_traitsIS12_E10value_typeET2_T3_PNS13_IS18_E10value_typeET4_jRbjT5_S1E_jjP12ihipStream_tbEUljE_ZNSN_ISO_Lb1ESQ_SR_ST_SU_SY_EESZ_S10_S11_S12_S16_S17_S18_S1B_S1C_jS1D_jS1E_S1E_jjS1G_bEUljE0_EEESZ_S10_S11_S18_S1C_S1E_T6_T7_T9_mT8_S1G_bDpT10_ENKUlT_T0_E_clISt17integral_constantIbLb1EES1T_IbLb0EEEEDaS1P_S1Q_EUlS1P_E_NS1_11comp_targetILNS1_3genE2ELNS1_11target_archE906ELNS1_3gpuE6ELNS1_3repE0EEENS1_30default_config_static_selectorELNS0_4arch9wavefront6targetE0EEEvS12_.num_agpr, 0
	.set _ZN7rocprim17ROCPRIM_400000_NS6detail17trampoline_kernelINS0_13select_configILj256ELj13ELNS0_17block_load_methodE3ELS4_3ELS4_3ELNS0_20block_scan_algorithmE0ELj4294967295EEENS1_25partition_config_selectorILNS1_17partition_subalgoE4EjNS0_10empty_typeEbEEZZNS1_14partition_implILS8_4ELb0ES6_15HIP_vector_typeIjLj2EENS0_17counting_iteratorIjlEEPS9_SG_NS0_5tupleIJPjSI_NS0_16reverse_iteratorISI_EEEEENSH_IJSG_SG_SG_EEES9_SI_JZNS1_25segmented_radix_sort_implINS0_14default_configELb1EPKfPfPKlPlN2at6native12_GLOBAL__N_18offset_tEEE10hipError_tPvRmT1_PNSt15iterator_traitsIS12_E10value_typeET2_T3_PNS13_IS18_E10value_typeET4_jRbjT5_S1E_jjP12ihipStream_tbEUljE_ZNSN_ISO_Lb1ESQ_SR_ST_SU_SY_EESZ_S10_S11_S12_S16_S17_S18_S1B_S1C_jS1D_jS1E_S1E_jjS1G_bEUljE0_EEESZ_S10_S11_S18_S1C_S1E_T6_T7_T9_mT8_S1G_bDpT10_ENKUlT_T0_E_clISt17integral_constantIbLb1EES1T_IbLb0EEEEDaS1P_S1Q_EUlS1P_E_NS1_11comp_targetILNS1_3genE2ELNS1_11target_archE906ELNS1_3gpuE6ELNS1_3repE0EEENS1_30default_config_static_selectorELNS0_4arch9wavefront6targetE0EEEvS12_.numbered_sgpr, 0
	.set _ZN7rocprim17ROCPRIM_400000_NS6detail17trampoline_kernelINS0_13select_configILj256ELj13ELNS0_17block_load_methodE3ELS4_3ELS4_3ELNS0_20block_scan_algorithmE0ELj4294967295EEENS1_25partition_config_selectorILNS1_17partition_subalgoE4EjNS0_10empty_typeEbEEZZNS1_14partition_implILS8_4ELb0ES6_15HIP_vector_typeIjLj2EENS0_17counting_iteratorIjlEEPS9_SG_NS0_5tupleIJPjSI_NS0_16reverse_iteratorISI_EEEEENSH_IJSG_SG_SG_EEES9_SI_JZNS1_25segmented_radix_sort_implINS0_14default_configELb1EPKfPfPKlPlN2at6native12_GLOBAL__N_18offset_tEEE10hipError_tPvRmT1_PNSt15iterator_traitsIS12_E10value_typeET2_T3_PNS13_IS18_E10value_typeET4_jRbjT5_S1E_jjP12ihipStream_tbEUljE_ZNSN_ISO_Lb1ESQ_SR_ST_SU_SY_EESZ_S10_S11_S12_S16_S17_S18_S1B_S1C_jS1D_jS1E_S1E_jjS1G_bEUljE0_EEESZ_S10_S11_S18_S1C_S1E_T6_T7_T9_mT8_S1G_bDpT10_ENKUlT_T0_E_clISt17integral_constantIbLb1EES1T_IbLb0EEEEDaS1P_S1Q_EUlS1P_E_NS1_11comp_targetILNS1_3genE2ELNS1_11target_archE906ELNS1_3gpuE6ELNS1_3repE0EEENS1_30default_config_static_selectorELNS0_4arch9wavefront6targetE0EEEvS12_.num_named_barrier, 0
	.set _ZN7rocprim17ROCPRIM_400000_NS6detail17trampoline_kernelINS0_13select_configILj256ELj13ELNS0_17block_load_methodE3ELS4_3ELS4_3ELNS0_20block_scan_algorithmE0ELj4294967295EEENS1_25partition_config_selectorILNS1_17partition_subalgoE4EjNS0_10empty_typeEbEEZZNS1_14partition_implILS8_4ELb0ES6_15HIP_vector_typeIjLj2EENS0_17counting_iteratorIjlEEPS9_SG_NS0_5tupleIJPjSI_NS0_16reverse_iteratorISI_EEEEENSH_IJSG_SG_SG_EEES9_SI_JZNS1_25segmented_radix_sort_implINS0_14default_configELb1EPKfPfPKlPlN2at6native12_GLOBAL__N_18offset_tEEE10hipError_tPvRmT1_PNSt15iterator_traitsIS12_E10value_typeET2_T3_PNS13_IS18_E10value_typeET4_jRbjT5_S1E_jjP12ihipStream_tbEUljE_ZNSN_ISO_Lb1ESQ_SR_ST_SU_SY_EESZ_S10_S11_S12_S16_S17_S18_S1B_S1C_jS1D_jS1E_S1E_jjS1G_bEUljE0_EEESZ_S10_S11_S18_S1C_S1E_T6_T7_T9_mT8_S1G_bDpT10_ENKUlT_T0_E_clISt17integral_constantIbLb1EES1T_IbLb0EEEEDaS1P_S1Q_EUlS1P_E_NS1_11comp_targetILNS1_3genE2ELNS1_11target_archE906ELNS1_3gpuE6ELNS1_3repE0EEENS1_30default_config_static_selectorELNS0_4arch9wavefront6targetE0EEEvS12_.private_seg_size, 0
	.set _ZN7rocprim17ROCPRIM_400000_NS6detail17trampoline_kernelINS0_13select_configILj256ELj13ELNS0_17block_load_methodE3ELS4_3ELS4_3ELNS0_20block_scan_algorithmE0ELj4294967295EEENS1_25partition_config_selectorILNS1_17partition_subalgoE4EjNS0_10empty_typeEbEEZZNS1_14partition_implILS8_4ELb0ES6_15HIP_vector_typeIjLj2EENS0_17counting_iteratorIjlEEPS9_SG_NS0_5tupleIJPjSI_NS0_16reverse_iteratorISI_EEEEENSH_IJSG_SG_SG_EEES9_SI_JZNS1_25segmented_radix_sort_implINS0_14default_configELb1EPKfPfPKlPlN2at6native12_GLOBAL__N_18offset_tEEE10hipError_tPvRmT1_PNSt15iterator_traitsIS12_E10value_typeET2_T3_PNS13_IS18_E10value_typeET4_jRbjT5_S1E_jjP12ihipStream_tbEUljE_ZNSN_ISO_Lb1ESQ_SR_ST_SU_SY_EESZ_S10_S11_S12_S16_S17_S18_S1B_S1C_jS1D_jS1E_S1E_jjS1G_bEUljE0_EEESZ_S10_S11_S18_S1C_S1E_T6_T7_T9_mT8_S1G_bDpT10_ENKUlT_T0_E_clISt17integral_constantIbLb1EES1T_IbLb0EEEEDaS1P_S1Q_EUlS1P_E_NS1_11comp_targetILNS1_3genE2ELNS1_11target_archE906ELNS1_3gpuE6ELNS1_3repE0EEENS1_30default_config_static_selectorELNS0_4arch9wavefront6targetE0EEEvS12_.uses_vcc, 0
	.set _ZN7rocprim17ROCPRIM_400000_NS6detail17trampoline_kernelINS0_13select_configILj256ELj13ELNS0_17block_load_methodE3ELS4_3ELS4_3ELNS0_20block_scan_algorithmE0ELj4294967295EEENS1_25partition_config_selectorILNS1_17partition_subalgoE4EjNS0_10empty_typeEbEEZZNS1_14partition_implILS8_4ELb0ES6_15HIP_vector_typeIjLj2EENS0_17counting_iteratorIjlEEPS9_SG_NS0_5tupleIJPjSI_NS0_16reverse_iteratorISI_EEEEENSH_IJSG_SG_SG_EEES9_SI_JZNS1_25segmented_radix_sort_implINS0_14default_configELb1EPKfPfPKlPlN2at6native12_GLOBAL__N_18offset_tEEE10hipError_tPvRmT1_PNSt15iterator_traitsIS12_E10value_typeET2_T3_PNS13_IS18_E10value_typeET4_jRbjT5_S1E_jjP12ihipStream_tbEUljE_ZNSN_ISO_Lb1ESQ_SR_ST_SU_SY_EESZ_S10_S11_S12_S16_S17_S18_S1B_S1C_jS1D_jS1E_S1E_jjS1G_bEUljE0_EEESZ_S10_S11_S18_S1C_S1E_T6_T7_T9_mT8_S1G_bDpT10_ENKUlT_T0_E_clISt17integral_constantIbLb1EES1T_IbLb0EEEEDaS1P_S1Q_EUlS1P_E_NS1_11comp_targetILNS1_3genE2ELNS1_11target_archE906ELNS1_3gpuE6ELNS1_3repE0EEENS1_30default_config_static_selectorELNS0_4arch9wavefront6targetE0EEEvS12_.uses_flat_scratch, 0
	.set _ZN7rocprim17ROCPRIM_400000_NS6detail17trampoline_kernelINS0_13select_configILj256ELj13ELNS0_17block_load_methodE3ELS4_3ELS4_3ELNS0_20block_scan_algorithmE0ELj4294967295EEENS1_25partition_config_selectorILNS1_17partition_subalgoE4EjNS0_10empty_typeEbEEZZNS1_14partition_implILS8_4ELb0ES6_15HIP_vector_typeIjLj2EENS0_17counting_iteratorIjlEEPS9_SG_NS0_5tupleIJPjSI_NS0_16reverse_iteratorISI_EEEEENSH_IJSG_SG_SG_EEES9_SI_JZNS1_25segmented_radix_sort_implINS0_14default_configELb1EPKfPfPKlPlN2at6native12_GLOBAL__N_18offset_tEEE10hipError_tPvRmT1_PNSt15iterator_traitsIS12_E10value_typeET2_T3_PNS13_IS18_E10value_typeET4_jRbjT5_S1E_jjP12ihipStream_tbEUljE_ZNSN_ISO_Lb1ESQ_SR_ST_SU_SY_EESZ_S10_S11_S12_S16_S17_S18_S1B_S1C_jS1D_jS1E_S1E_jjS1G_bEUljE0_EEESZ_S10_S11_S18_S1C_S1E_T6_T7_T9_mT8_S1G_bDpT10_ENKUlT_T0_E_clISt17integral_constantIbLb1EES1T_IbLb0EEEEDaS1P_S1Q_EUlS1P_E_NS1_11comp_targetILNS1_3genE2ELNS1_11target_archE906ELNS1_3gpuE6ELNS1_3repE0EEENS1_30default_config_static_selectorELNS0_4arch9wavefront6targetE0EEEvS12_.has_dyn_sized_stack, 0
	.set _ZN7rocprim17ROCPRIM_400000_NS6detail17trampoline_kernelINS0_13select_configILj256ELj13ELNS0_17block_load_methodE3ELS4_3ELS4_3ELNS0_20block_scan_algorithmE0ELj4294967295EEENS1_25partition_config_selectorILNS1_17partition_subalgoE4EjNS0_10empty_typeEbEEZZNS1_14partition_implILS8_4ELb0ES6_15HIP_vector_typeIjLj2EENS0_17counting_iteratorIjlEEPS9_SG_NS0_5tupleIJPjSI_NS0_16reverse_iteratorISI_EEEEENSH_IJSG_SG_SG_EEES9_SI_JZNS1_25segmented_radix_sort_implINS0_14default_configELb1EPKfPfPKlPlN2at6native12_GLOBAL__N_18offset_tEEE10hipError_tPvRmT1_PNSt15iterator_traitsIS12_E10value_typeET2_T3_PNS13_IS18_E10value_typeET4_jRbjT5_S1E_jjP12ihipStream_tbEUljE_ZNSN_ISO_Lb1ESQ_SR_ST_SU_SY_EESZ_S10_S11_S12_S16_S17_S18_S1B_S1C_jS1D_jS1E_S1E_jjS1G_bEUljE0_EEESZ_S10_S11_S18_S1C_S1E_T6_T7_T9_mT8_S1G_bDpT10_ENKUlT_T0_E_clISt17integral_constantIbLb1EES1T_IbLb0EEEEDaS1P_S1Q_EUlS1P_E_NS1_11comp_targetILNS1_3genE2ELNS1_11target_archE906ELNS1_3gpuE6ELNS1_3repE0EEENS1_30default_config_static_selectorELNS0_4arch9wavefront6targetE0EEEvS12_.has_recursion, 0
	.set _ZN7rocprim17ROCPRIM_400000_NS6detail17trampoline_kernelINS0_13select_configILj256ELj13ELNS0_17block_load_methodE3ELS4_3ELS4_3ELNS0_20block_scan_algorithmE0ELj4294967295EEENS1_25partition_config_selectorILNS1_17partition_subalgoE4EjNS0_10empty_typeEbEEZZNS1_14partition_implILS8_4ELb0ES6_15HIP_vector_typeIjLj2EENS0_17counting_iteratorIjlEEPS9_SG_NS0_5tupleIJPjSI_NS0_16reverse_iteratorISI_EEEEENSH_IJSG_SG_SG_EEES9_SI_JZNS1_25segmented_radix_sort_implINS0_14default_configELb1EPKfPfPKlPlN2at6native12_GLOBAL__N_18offset_tEEE10hipError_tPvRmT1_PNSt15iterator_traitsIS12_E10value_typeET2_T3_PNS13_IS18_E10value_typeET4_jRbjT5_S1E_jjP12ihipStream_tbEUljE_ZNSN_ISO_Lb1ESQ_SR_ST_SU_SY_EESZ_S10_S11_S12_S16_S17_S18_S1B_S1C_jS1D_jS1E_S1E_jjS1G_bEUljE0_EEESZ_S10_S11_S18_S1C_S1E_T6_T7_T9_mT8_S1G_bDpT10_ENKUlT_T0_E_clISt17integral_constantIbLb1EES1T_IbLb0EEEEDaS1P_S1Q_EUlS1P_E_NS1_11comp_targetILNS1_3genE2ELNS1_11target_archE906ELNS1_3gpuE6ELNS1_3repE0EEENS1_30default_config_static_selectorELNS0_4arch9wavefront6targetE0EEEvS12_.has_indirect_call, 0
	.section	.AMDGPU.csdata,"",@progbits
; Kernel info:
; codeLenInByte = 0
; TotalNumSgprs: 0
; NumVgprs: 0
; ScratchSize: 0
; MemoryBound: 0
; FloatMode: 240
; IeeeMode: 1
; LDSByteSize: 0 bytes/workgroup (compile time only)
; SGPRBlocks: 0
; VGPRBlocks: 0
; NumSGPRsForWavesPerEU: 1
; NumVGPRsForWavesPerEU: 1
; Occupancy: 16
; WaveLimiterHint : 0
; COMPUTE_PGM_RSRC2:SCRATCH_EN: 0
; COMPUTE_PGM_RSRC2:USER_SGPR: 2
; COMPUTE_PGM_RSRC2:TRAP_HANDLER: 0
; COMPUTE_PGM_RSRC2:TGID_X_EN: 1
; COMPUTE_PGM_RSRC2:TGID_Y_EN: 0
; COMPUTE_PGM_RSRC2:TGID_Z_EN: 0
; COMPUTE_PGM_RSRC2:TIDIG_COMP_CNT: 0
	.section	.text._ZN7rocprim17ROCPRIM_400000_NS6detail17trampoline_kernelINS0_13select_configILj256ELj13ELNS0_17block_load_methodE3ELS4_3ELS4_3ELNS0_20block_scan_algorithmE0ELj4294967295EEENS1_25partition_config_selectorILNS1_17partition_subalgoE4EjNS0_10empty_typeEbEEZZNS1_14partition_implILS8_4ELb0ES6_15HIP_vector_typeIjLj2EENS0_17counting_iteratorIjlEEPS9_SG_NS0_5tupleIJPjSI_NS0_16reverse_iteratorISI_EEEEENSH_IJSG_SG_SG_EEES9_SI_JZNS1_25segmented_radix_sort_implINS0_14default_configELb1EPKfPfPKlPlN2at6native12_GLOBAL__N_18offset_tEEE10hipError_tPvRmT1_PNSt15iterator_traitsIS12_E10value_typeET2_T3_PNS13_IS18_E10value_typeET4_jRbjT5_S1E_jjP12ihipStream_tbEUljE_ZNSN_ISO_Lb1ESQ_SR_ST_SU_SY_EESZ_S10_S11_S12_S16_S17_S18_S1B_S1C_jS1D_jS1E_S1E_jjS1G_bEUljE0_EEESZ_S10_S11_S18_S1C_S1E_T6_T7_T9_mT8_S1G_bDpT10_ENKUlT_T0_E_clISt17integral_constantIbLb1EES1T_IbLb0EEEEDaS1P_S1Q_EUlS1P_E_NS1_11comp_targetILNS1_3genE10ELNS1_11target_archE1200ELNS1_3gpuE4ELNS1_3repE0EEENS1_30default_config_static_selectorELNS0_4arch9wavefront6targetE0EEEvS12_,"axG",@progbits,_ZN7rocprim17ROCPRIM_400000_NS6detail17trampoline_kernelINS0_13select_configILj256ELj13ELNS0_17block_load_methodE3ELS4_3ELS4_3ELNS0_20block_scan_algorithmE0ELj4294967295EEENS1_25partition_config_selectorILNS1_17partition_subalgoE4EjNS0_10empty_typeEbEEZZNS1_14partition_implILS8_4ELb0ES6_15HIP_vector_typeIjLj2EENS0_17counting_iteratorIjlEEPS9_SG_NS0_5tupleIJPjSI_NS0_16reverse_iteratorISI_EEEEENSH_IJSG_SG_SG_EEES9_SI_JZNS1_25segmented_radix_sort_implINS0_14default_configELb1EPKfPfPKlPlN2at6native12_GLOBAL__N_18offset_tEEE10hipError_tPvRmT1_PNSt15iterator_traitsIS12_E10value_typeET2_T3_PNS13_IS18_E10value_typeET4_jRbjT5_S1E_jjP12ihipStream_tbEUljE_ZNSN_ISO_Lb1ESQ_SR_ST_SU_SY_EESZ_S10_S11_S12_S16_S17_S18_S1B_S1C_jS1D_jS1E_S1E_jjS1G_bEUljE0_EEESZ_S10_S11_S18_S1C_S1E_T6_T7_T9_mT8_S1G_bDpT10_ENKUlT_T0_E_clISt17integral_constantIbLb1EES1T_IbLb0EEEEDaS1P_S1Q_EUlS1P_E_NS1_11comp_targetILNS1_3genE10ELNS1_11target_archE1200ELNS1_3gpuE4ELNS1_3repE0EEENS1_30default_config_static_selectorELNS0_4arch9wavefront6targetE0EEEvS12_,comdat
	.globl	_ZN7rocprim17ROCPRIM_400000_NS6detail17trampoline_kernelINS0_13select_configILj256ELj13ELNS0_17block_load_methodE3ELS4_3ELS4_3ELNS0_20block_scan_algorithmE0ELj4294967295EEENS1_25partition_config_selectorILNS1_17partition_subalgoE4EjNS0_10empty_typeEbEEZZNS1_14partition_implILS8_4ELb0ES6_15HIP_vector_typeIjLj2EENS0_17counting_iteratorIjlEEPS9_SG_NS0_5tupleIJPjSI_NS0_16reverse_iteratorISI_EEEEENSH_IJSG_SG_SG_EEES9_SI_JZNS1_25segmented_radix_sort_implINS0_14default_configELb1EPKfPfPKlPlN2at6native12_GLOBAL__N_18offset_tEEE10hipError_tPvRmT1_PNSt15iterator_traitsIS12_E10value_typeET2_T3_PNS13_IS18_E10value_typeET4_jRbjT5_S1E_jjP12ihipStream_tbEUljE_ZNSN_ISO_Lb1ESQ_SR_ST_SU_SY_EESZ_S10_S11_S12_S16_S17_S18_S1B_S1C_jS1D_jS1E_S1E_jjS1G_bEUljE0_EEESZ_S10_S11_S18_S1C_S1E_T6_T7_T9_mT8_S1G_bDpT10_ENKUlT_T0_E_clISt17integral_constantIbLb1EES1T_IbLb0EEEEDaS1P_S1Q_EUlS1P_E_NS1_11comp_targetILNS1_3genE10ELNS1_11target_archE1200ELNS1_3gpuE4ELNS1_3repE0EEENS1_30default_config_static_selectorELNS0_4arch9wavefront6targetE0EEEvS12_ ; -- Begin function _ZN7rocprim17ROCPRIM_400000_NS6detail17trampoline_kernelINS0_13select_configILj256ELj13ELNS0_17block_load_methodE3ELS4_3ELS4_3ELNS0_20block_scan_algorithmE0ELj4294967295EEENS1_25partition_config_selectorILNS1_17partition_subalgoE4EjNS0_10empty_typeEbEEZZNS1_14partition_implILS8_4ELb0ES6_15HIP_vector_typeIjLj2EENS0_17counting_iteratorIjlEEPS9_SG_NS0_5tupleIJPjSI_NS0_16reverse_iteratorISI_EEEEENSH_IJSG_SG_SG_EEES9_SI_JZNS1_25segmented_radix_sort_implINS0_14default_configELb1EPKfPfPKlPlN2at6native12_GLOBAL__N_18offset_tEEE10hipError_tPvRmT1_PNSt15iterator_traitsIS12_E10value_typeET2_T3_PNS13_IS18_E10value_typeET4_jRbjT5_S1E_jjP12ihipStream_tbEUljE_ZNSN_ISO_Lb1ESQ_SR_ST_SU_SY_EESZ_S10_S11_S12_S16_S17_S18_S1B_S1C_jS1D_jS1E_S1E_jjS1G_bEUljE0_EEESZ_S10_S11_S18_S1C_S1E_T6_T7_T9_mT8_S1G_bDpT10_ENKUlT_T0_E_clISt17integral_constantIbLb1EES1T_IbLb0EEEEDaS1P_S1Q_EUlS1P_E_NS1_11comp_targetILNS1_3genE10ELNS1_11target_archE1200ELNS1_3gpuE4ELNS1_3repE0EEENS1_30default_config_static_selectorELNS0_4arch9wavefront6targetE0EEEvS12_
	.p2align	8
	.type	_ZN7rocprim17ROCPRIM_400000_NS6detail17trampoline_kernelINS0_13select_configILj256ELj13ELNS0_17block_load_methodE3ELS4_3ELS4_3ELNS0_20block_scan_algorithmE0ELj4294967295EEENS1_25partition_config_selectorILNS1_17partition_subalgoE4EjNS0_10empty_typeEbEEZZNS1_14partition_implILS8_4ELb0ES6_15HIP_vector_typeIjLj2EENS0_17counting_iteratorIjlEEPS9_SG_NS0_5tupleIJPjSI_NS0_16reverse_iteratorISI_EEEEENSH_IJSG_SG_SG_EEES9_SI_JZNS1_25segmented_radix_sort_implINS0_14default_configELb1EPKfPfPKlPlN2at6native12_GLOBAL__N_18offset_tEEE10hipError_tPvRmT1_PNSt15iterator_traitsIS12_E10value_typeET2_T3_PNS13_IS18_E10value_typeET4_jRbjT5_S1E_jjP12ihipStream_tbEUljE_ZNSN_ISO_Lb1ESQ_SR_ST_SU_SY_EESZ_S10_S11_S12_S16_S17_S18_S1B_S1C_jS1D_jS1E_S1E_jjS1G_bEUljE0_EEESZ_S10_S11_S18_S1C_S1E_T6_T7_T9_mT8_S1G_bDpT10_ENKUlT_T0_E_clISt17integral_constantIbLb1EES1T_IbLb0EEEEDaS1P_S1Q_EUlS1P_E_NS1_11comp_targetILNS1_3genE10ELNS1_11target_archE1200ELNS1_3gpuE4ELNS1_3repE0EEENS1_30default_config_static_selectorELNS0_4arch9wavefront6targetE0EEEvS12_,@function
_ZN7rocprim17ROCPRIM_400000_NS6detail17trampoline_kernelINS0_13select_configILj256ELj13ELNS0_17block_load_methodE3ELS4_3ELS4_3ELNS0_20block_scan_algorithmE0ELj4294967295EEENS1_25partition_config_selectorILNS1_17partition_subalgoE4EjNS0_10empty_typeEbEEZZNS1_14partition_implILS8_4ELb0ES6_15HIP_vector_typeIjLj2EENS0_17counting_iteratorIjlEEPS9_SG_NS0_5tupleIJPjSI_NS0_16reverse_iteratorISI_EEEEENSH_IJSG_SG_SG_EEES9_SI_JZNS1_25segmented_radix_sort_implINS0_14default_configELb1EPKfPfPKlPlN2at6native12_GLOBAL__N_18offset_tEEE10hipError_tPvRmT1_PNSt15iterator_traitsIS12_E10value_typeET2_T3_PNS13_IS18_E10value_typeET4_jRbjT5_S1E_jjP12ihipStream_tbEUljE_ZNSN_ISO_Lb1ESQ_SR_ST_SU_SY_EESZ_S10_S11_S12_S16_S17_S18_S1B_S1C_jS1D_jS1E_S1E_jjS1G_bEUljE0_EEESZ_S10_S11_S18_S1C_S1E_T6_T7_T9_mT8_S1G_bDpT10_ENKUlT_T0_E_clISt17integral_constantIbLb1EES1T_IbLb0EEEEDaS1P_S1Q_EUlS1P_E_NS1_11comp_targetILNS1_3genE10ELNS1_11target_archE1200ELNS1_3gpuE4ELNS1_3repE0EEENS1_30default_config_static_selectorELNS0_4arch9wavefront6targetE0EEEvS12_: ; @_ZN7rocprim17ROCPRIM_400000_NS6detail17trampoline_kernelINS0_13select_configILj256ELj13ELNS0_17block_load_methodE3ELS4_3ELS4_3ELNS0_20block_scan_algorithmE0ELj4294967295EEENS1_25partition_config_selectorILNS1_17partition_subalgoE4EjNS0_10empty_typeEbEEZZNS1_14partition_implILS8_4ELb0ES6_15HIP_vector_typeIjLj2EENS0_17counting_iteratorIjlEEPS9_SG_NS0_5tupleIJPjSI_NS0_16reverse_iteratorISI_EEEEENSH_IJSG_SG_SG_EEES9_SI_JZNS1_25segmented_radix_sort_implINS0_14default_configELb1EPKfPfPKlPlN2at6native12_GLOBAL__N_18offset_tEEE10hipError_tPvRmT1_PNSt15iterator_traitsIS12_E10value_typeET2_T3_PNS13_IS18_E10value_typeET4_jRbjT5_S1E_jjP12ihipStream_tbEUljE_ZNSN_ISO_Lb1ESQ_SR_ST_SU_SY_EESZ_S10_S11_S12_S16_S17_S18_S1B_S1C_jS1D_jS1E_S1E_jjS1G_bEUljE0_EEESZ_S10_S11_S18_S1C_S1E_T6_T7_T9_mT8_S1G_bDpT10_ENKUlT_T0_E_clISt17integral_constantIbLb1EES1T_IbLb0EEEEDaS1P_S1Q_EUlS1P_E_NS1_11comp_targetILNS1_3genE10ELNS1_11target_archE1200ELNS1_3gpuE4ELNS1_3repE0EEENS1_30default_config_static_selectorELNS0_4arch9wavefront6targetE0EEEvS12_
; %bb.0:
	s_endpgm
	.section	.rodata,"a",@progbits
	.p2align	6, 0x0
	.amdhsa_kernel _ZN7rocprim17ROCPRIM_400000_NS6detail17trampoline_kernelINS0_13select_configILj256ELj13ELNS0_17block_load_methodE3ELS4_3ELS4_3ELNS0_20block_scan_algorithmE0ELj4294967295EEENS1_25partition_config_selectorILNS1_17partition_subalgoE4EjNS0_10empty_typeEbEEZZNS1_14partition_implILS8_4ELb0ES6_15HIP_vector_typeIjLj2EENS0_17counting_iteratorIjlEEPS9_SG_NS0_5tupleIJPjSI_NS0_16reverse_iteratorISI_EEEEENSH_IJSG_SG_SG_EEES9_SI_JZNS1_25segmented_radix_sort_implINS0_14default_configELb1EPKfPfPKlPlN2at6native12_GLOBAL__N_18offset_tEEE10hipError_tPvRmT1_PNSt15iterator_traitsIS12_E10value_typeET2_T3_PNS13_IS18_E10value_typeET4_jRbjT5_S1E_jjP12ihipStream_tbEUljE_ZNSN_ISO_Lb1ESQ_SR_ST_SU_SY_EESZ_S10_S11_S12_S16_S17_S18_S1B_S1C_jS1D_jS1E_S1E_jjS1G_bEUljE0_EEESZ_S10_S11_S18_S1C_S1E_T6_T7_T9_mT8_S1G_bDpT10_ENKUlT_T0_E_clISt17integral_constantIbLb1EES1T_IbLb0EEEEDaS1P_S1Q_EUlS1P_E_NS1_11comp_targetILNS1_3genE10ELNS1_11target_archE1200ELNS1_3gpuE4ELNS1_3repE0EEENS1_30default_config_static_selectorELNS0_4arch9wavefront6targetE0EEEvS12_
		.amdhsa_group_segment_fixed_size 0
		.amdhsa_private_segment_fixed_size 0
		.amdhsa_kernarg_size 176
		.amdhsa_user_sgpr_count 2
		.amdhsa_user_sgpr_dispatch_ptr 0
		.amdhsa_user_sgpr_queue_ptr 0
		.amdhsa_user_sgpr_kernarg_segment_ptr 1
		.amdhsa_user_sgpr_dispatch_id 0
		.amdhsa_user_sgpr_private_segment_size 0
		.amdhsa_wavefront_size32 1
		.amdhsa_uses_dynamic_stack 0
		.amdhsa_enable_private_segment 0
		.amdhsa_system_sgpr_workgroup_id_x 1
		.amdhsa_system_sgpr_workgroup_id_y 0
		.amdhsa_system_sgpr_workgroup_id_z 0
		.amdhsa_system_sgpr_workgroup_info 0
		.amdhsa_system_vgpr_workitem_id 0
		.amdhsa_next_free_vgpr 1
		.amdhsa_next_free_sgpr 1
		.amdhsa_reserve_vcc 0
		.amdhsa_float_round_mode_32 0
		.amdhsa_float_round_mode_16_64 0
		.amdhsa_float_denorm_mode_32 3
		.amdhsa_float_denorm_mode_16_64 3
		.amdhsa_fp16_overflow 0
		.amdhsa_workgroup_processor_mode 1
		.amdhsa_memory_ordered 1
		.amdhsa_forward_progress 1
		.amdhsa_inst_pref_size 1
		.amdhsa_round_robin_scheduling 0
		.amdhsa_exception_fp_ieee_invalid_op 0
		.amdhsa_exception_fp_denorm_src 0
		.amdhsa_exception_fp_ieee_div_zero 0
		.amdhsa_exception_fp_ieee_overflow 0
		.amdhsa_exception_fp_ieee_underflow 0
		.amdhsa_exception_fp_ieee_inexact 0
		.amdhsa_exception_int_div_zero 0
	.end_amdhsa_kernel
	.section	.text._ZN7rocprim17ROCPRIM_400000_NS6detail17trampoline_kernelINS0_13select_configILj256ELj13ELNS0_17block_load_methodE3ELS4_3ELS4_3ELNS0_20block_scan_algorithmE0ELj4294967295EEENS1_25partition_config_selectorILNS1_17partition_subalgoE4EjNS0_10empty_typeEbEEZZNS1_14partition_implILS8_4ELb0ES6_15HIP_vector_typeIjLj2EENS0_17counting_iteratorIjlEEPS9_SG_NS0_5tupleIJPjSI_NS0_16reverse_iteratorISI_EEEEENSH_IJSG_SG_SG_EEES9_SI_JZNS1_25segmented_radix_sort_implINS0_14default_configELb1EPKfPfPKlPlN2at6native12_GLOBAL__N_18offset_tEEE10hipError_tPvRmT1_PNSt15iterator_traitsIS12_E10value_typeET2_T3_PNS13_IS18_E10value_typeET4_jRbjT5_S1E_jjP12ihipStream_tbEUljE_ZNSN_ISO_Lb1ESQ_SR_ST_SU_SY_EESZ_S10_S11_S12_S16_S17_S18_S1B_S1C_jS1D_jS1E_S1E_jjS1G_bEUljE0_EEESZ_S10_S11_S18_S1C_S1E_T6_T7_T9_mT8_S1G_bDpT10_ENKUlT_T0_E_clISt17integral_constantIbLb1EES1T_IbLb0EEEEDaS1P_S1Q_EUlS1P_E_NS1_11comp_targetILNS1_3genE10ELNS1_11target_archE1200ELNS1_3gpuE4ELNS1_3repE0EEENS1_30default_config_static_selectorELNS0_4arch9wavefront6targetE0EEEvS12_,"axG",@progbits,_ZN7rocprim17ROCPRIM_400000_NS6detail17trampoline_kernelINS0_13select_configILj256ELj13ELNS0_17block_load_methodE3ELS4_3ELS4_3ELNS0_20block_scan_algorithmE0ELj4294967295EEENS1_25partition_config_selectorILNS1_17partition_subalgoE4EjNS0_10empty_typeEbEEZZNS1_14partition_implILS8_4ELb0ES6_15HIP_vector_typeIjLj2EENS0_17counting_iteratorIjlEEPS9_SG_NS0_5tupleIJPjSI_NS0_16reverse_iteratorISI_EEEEENSH_IJSG_SG_SG_EEES9_SI_JZNS1_25segmented_radix_sort_implINS0_14default_configELb1EPKfPfPKlPlN2at6native12_GLOBAL__N_18offset_tEEE10hipError_tPvRmT1_PNSt15iterator_traitsIS12_E10value_typeET2_T3_PNS13_IS18_E10value_typeET4_jRbjT5_S1E_jjP12ihipStream_tbEUljE_ZNSN_ISO_Lb1ESQ_SR_ST_SU_SY_EESZ_S10_S11_S12_S16_S17_S18_S1B_S1C_jS1D_jS1E_S1E_jjS1G_bEUljE0_EEESZ_S10_S11_S18_S1C_S1E_T6_T7_T9_mT8_S1G_bDpT10_ENKUlT_T0_E_clISt17integral_constantIbLb1EES1T_IbLb0EEEEDaS1P_S1Q_EUlS1P_E_NS1_11comp_targetILNS1_3genE10ELNS1_11target_archE1200ELNS1_3gpuE4ELNS1_3repE0EEENS1_30default_config_static_selectorELNS0_4arch9wavefront6targetE0EEEvS12_,comdat
.Lfunc_end1282:
	.size	_ZN7rocprim17ROCPRIM_400000_NS6detail17trampoline_kernelINS0_13select_configILj256ELj13ELNS0_17block_load_methodE3ELS4_3ELS4_3ELNS0_20block_scan_algorithmE0ELj4294967295EEENS1_25partition_config_selectorILNS1_17partition_subalgoE4EjNS0_10empty_typeEbEEZZNS1_14partition_implILS8_4ELb0ES6_15HIP_vector_typeIjLj2EENS0_17counting_iteratorIjlEEPS9_SG_NS0_5tupleIJPjSI_NS0_16reverse_iteratorISI_EEEEENSH_IJSG_SG_SG_EEES9_SI_JZNS1_25segmented_radix_sort_implINS0_14default_configELb1EPKfPfPKlPlN2at6native12_GLOBAL__N_18offset_tEEE10hipError_tPvRmT1_PNSt15iterator_traitsIS12_E10value_typeET2_T3_PNS13_IS18_E10value_typeET4_jRbjT5_S1E_jjP12ihipStream_tbEUljE_ZNSN_ISO_Lb1ESQ_SR_ST_SU_SY_EESZ_S10_S11_S12_S16_S17_S18_S1B_S1C_jS1D_jS1E_S1E_jjS1G_bEUljE0_EEESZ_S10_S11_S18_S1C_S1E_T6_T7_T9_mT8_S1G_bDpT10_ENKUlT_T0_E_clISt17integral_constantIbLb1EES1T_IbLb0EEEEDaS1P_S1Q_EUlS1P_E_NS1_11comp_targetILNS1_3genE10ELNS1_11target_archE1200ELNS1_3gpuE4ELNS1_3repE0EEENS1_30default_config_static_selectorELNS0_4arch9wavefront6targetE0EEEvS12_, .Lfunc_end1282-_ZN7rocprim17ROCPRIM_400000_NS6detail17trampoline_kernelINS0_13select_configILj256ELj13ELNS0_17block_load_methodE3ELS4_3ELS4_3ELNS0_20block_scan_algorithmE0ELj4294967295EEENS1_25partition_config_selectorILNS1_17partition_subalgoE4EjNS0_10empty_typeEbEEZZNS1_14partition_implILS8_4ELb0ES6_15HIP_vector_typeIjLj2EENS0_17counting_iteratorIjlEEPS9_SG_NS0_5tupleIJPjSI_NS0_16reverse_iteratorISI_EEEEENSH_IJSG_SG_SG_EEES9_SI_JZNS1_25segmented_radix_sort_implINS0_14default_configELb1EPKfPfPKlPlN2at6native12_GLOBAL__N_18offset_tEEE10hipError_tPvRmT1_PNSt15iterator_traitsIS12_E10value_typeET2_T3_PNS13_IS18_E10value_typeET4_jRbjT5_S1E_jjP12ihipStream_tbEUljE_ZNSN_ISO_Lb1ESQ_SR_ST_SU_SY_EESZ_S10_S11_S12_S16_S17_S18_S1B_S1C_jS1D_jS1E_S1E_jjS1G_bEUljE0_EEESZ_S10_S11_S18_S1C_S1E_T6_T7_T9_mT8_S1G_bDpT10_ENKUlT_T0_E_clISt17integral_constantIbLb1EES1T_IbLb0EEEEDaS1P_S1Q_EUlS1P_E_NS1_11comp_targetILNS1_3genE10ELNS1_11target_archE1200ELNS1_3gpuE4ELNS1_3repE0EEENS1_30default_config_static_selectorELNS0_4arch9wavefront6targetE0EEEvS12_
                                        ; -- End function
	.set _ZN7rocprim17ROCPRIM_400000_NS6detail17trampoline_kernelINS0_13select_configILj256ELj13ELNS0_17block_load_methodE3ELS4_3ELS4_3ELNS0_20block_scan_algorithmE0ELj4294967295EEENS1_25partition_config_selectorILNS1_17partition_subalgoE4EjNS0_10empty_typeEbEEZZNS1_14partition_implILS8_4ELb0ES6_15HIP_vector_typeIjLj2EENS0_17counting_iteratorIjlEEPS9_SG_NS0_5tupleIJPjSI_NS0_16reverse_iteratorISI_EEEEENSH_IJSG_SG_SG_EEES9_SI_JZNS1_25segmented_radix_sort_implINS0_14default_configELb1EPKfPfPKlPlN2at6native12_GLOBAL__N_18offset_tEEE10hipError_tPvRmT1_PNSt15iterator_traitsIS12_E10value_typeET2_T3_PNS13_IS18_E10value_typeET4_jRbjT5_S1E_jjP12ihipStream_tbEUljE_ZNSN_ISO_Lb1ESQ_SR_ST_SU_SY_EESZ_S10_S11_S12_S16_S17_S18_S1B_S1C_jS1D_jS1E_S1E_jjS1G_bEUljE0_EEESZ_S10_S11_S18_S1C_S1E_T6_T7_T9_mT8_S1G_bDpT10_ENKUlT_T0_E_clISt17integral_constantIbLb1EES1T_IbLb0EEEEDaS1P_S1Q_EUlS1P_E_NS1_11comp_targetILNS1_3genE10ELNS1_11target_archE1200ELNS1_3gpuE4ELNS1_3repE0EEENS1_30default_config_static_selectorELNS0_4arch9wavefront6targetE0EEEvS12_.num_vgpr, 0
	.set _ZN7rocprim17ROCPRIM_400000_NS6detail17trampoline_kernelINS0_13select_configILj256ELj13ELNS0_17block_load_methodE3ELS4_3ELS4_3ELNS0_20block_scan_algorithmE0ELj4294967295EEENS1_25partition_config_selectorILNS1_17partition_subalgoE4EjNS0_10empty_typeEbEEZZNS1_14partition_implILS8_4ELb0ES6_15HIP_vector_typeIjLj2EENS0_17counting_iteratorIjlEEPS9_SG_NS0_5tupleIJPjSI_NS0_16reverse_iteratorISI_EEEEENSH_IJSG_SG_SG_EEES9_SI_JZNS1_25segmented_radix_sort_implINS0_14default_configELb1EPKfPfPKlPlN2at6native12_GLOBAL__N_18offset_tEEE10hipError_tPvRmT1_PNSt15iterator_traitsIS12_E10value_typeET2_T3_PNS13_IS18_E10value_typeET4_jRbjT5_S1E_jjP12ihipStream_tbEUljE_ZNSN_ISO_Lb1ESQ_SR_ST_SU_SY_EESZ_S10_S11_S12_S16_S17_S18_S1B_S1C_jS1D_jS1E_S1E_jjS1G_bEUljE0_EEESZ_S10_S11_S18_S1C_S1E_T6_T7_T9_mT8_S1G_bDpT10_ENKUlT_T0_E_clISt17integral_constantIbLb1EES1T_IbLb0EEEEDaS1P_S1Q_EUlS1P_E_NS1_11comp_targetILNS1_3genE10ELNS1_11target_archE1200ELNS1_3gpuE4ELNS1_3repE0EEENS1_30default_config_static_selectorELNS0_4arch9wavefront6targetE0EEEvS12_.num_agpr, 0
	.set _ZN7rocprim17ROCPRIM_400000_NS6detail17trampoline_kernelINS0_13select_configILj256ELj13ELNS0_17block_load_methodE3ELS4_3ELS4_3ELNS0_20block_scan_algorithmE0ELj4294967295EEENS1_25partition_config_selectorILNS1_17partition_subalgoE4EjNS0_10empty_typeEbEEZZNS1_14partition_implILS8_4ELb0ES6_15HIP_vector_typeIjLj2EENS0_17counting_iteratorIjlEEPS9_SG_NS0_5tupleIJPjSI_NS0_16reverse_iteratorISI_EEEEENSH_IJSG_SG_SG_EEES9_SI_JZNS1_25segmented_radix_sort_implINS0_14default_configELb1EPKfPfPKlPlN2at6native12_GLOBAL__N_18offset_tEEE10hipError_tPvRmT1_PNSt15iterator_traitsIS12_E10value_typeET2_T3_PNS13_IS18_E10value_typeET4_jRbjT5_S1E_jjP12ihipStream_tbEUljE_ZNSN_ISO_Lb1ESQ_SR_ST_SU_SY_EESZ_S10_S11_S12_S16_S17_S18_S1B_S1C_jS1D_jS1E_S1E_jjS1G_bEUljE0_EEESZ_S10_S11_S18_S1C_S1E_T6_T7_T9_mT8_S1G_bDpT10_ENKUlT_T0_E_clISt17integral_constantIbLb1EES1T_IbLb0EEEEDaS1P_S1Q_EUlS1P_E_NS1_11comp_targetILNS1_3genE10ELNS1_11target_archE1200ELNS1_3gpuE4ELNS1_3repE0EEENS1_30default_config_static_selectorELNS0_4arch9wavefront6targetE0EEEvS12_.numbered_sgpr, 0
	.set _ZN7rocprim17ROCPRIM_400000_NS6detail17trampoline_kernelINS0_13select_configILj256ELj13ELNS0_17block_load_methodE3ELS4_3ELS4_3ELNS0_20block_scan_algorithmE0ELj4294967295EEENS1_25partition_config_selectorILNS1_17partition_subalgoE4EjNS0_10empty_typeEbEEZZNS1_14partition_implILS8_4ELb0ES6_15HIP_vector_typeIjLj2EENS0_17counting_iteratorIjlEEPS9_SG_NS0_5tupleIJPjSI_NS0_16reverse_iteratorISI_EEEEENSH_IJSG_SG_SG_EEES9_SI_JZNS1_25segmented_radix_sort_implINS0_14default_configELb1EPKfPfPKlPlN2at6native12_GLOBAL__N_18offset_tEEE10hipError_tPvRmT1_PNSt15iterator_traitsIS12_E10value_typeET2_T3_PNS13_IS18_E10value_typeET4_jRbjT5_S1E_jjP12ihipStream_tbEUljE_ZNSN_ISO_Lb1ESQ_SR_ST_SU_SY_EESZ_S10_S11_S12_S16_S17_S18_S1B_S1C_jS1D_jS1E_S1E_jjS1G_bEUljE0_EEESZ_S10_S11_S18_S1C_S1E_T6_T7_T9_mT8_S1G_bDpT10_ENKUlT_T0_E_clISt17integral_constantIbLb1EES1T_IbLb0EEEEDaS1P_S1Q_EUlS1P_E_NS1_11comp_targetILNS1_3genE10ELNS1_11target_archE1200ELNS1_3gpuE4ELNS1_3repE0EEENS1_30default_config_static_selectorELNS0_4arch9wavefront6targetE0EEEvS12_.num_named_barrier, 0
	.set _ZN7rocprim17ROCPRIM_400000_NS6detail17trampoline_kernelINS0_13select_configILj256ELj13ELNS0_17block_load_methodE3ELS4_3ELS4_3ELNS0_20block_scan_algorithmE0ELj4294967295EEENS1_25partition_config_selectorILNS1_17partition_subalgoE4EjNS0_10empty_typeEbEEZZNS1_14partition_implILS8_4ELb0ES6_15HIP_vector_typeIjLj2EENS0_17counting_iteratorIjlEEPS9_SG_NS0_5tupleIJPjSI_NS0_16reverse_iteratorISI_EEEEENSH_IJSG_SG_SG_EEES9_SI_JZNS1_25segmented_radix_sort_implINS0_14default_configELb1EPKfPfPKlPlN2at6native12_GLOBAL__N_18offset_tEEE10hipError_tPvRmT1_PNSt15iterator_traitsIS12_E10value_typeET2_T3_PNS13_IS18_E10value_typeET4_jRbjT5_S1E_jjP12ihipStream_tbEUljE_ZNSN_ISO_Lb1ESQ_SR_ST_SU_SY_EESZ_S10_S11_S12_S16_S17_S18_S1B_S1C_jS1D_jS1E_S1E_jjS1G_bEUljE0_EEESZ_S10_S11_S18_S1C_S1E_T6_T7_T9_mT8_S1G_bDpT10_ENKUlT_T0_E_clISt17integral_constantIbLb1EES1T_IbLb0EEEEDaS1P_S1Q_EUlS1P_E_NS1_11comp_targetILNS1_3genE10ELNS1_11target_archE1200ELNS1_3gpuE4ELNS1_3repE0EEENS1_30default_config_static_selectorELNS0_4arch9wavefront6targetE0EEEvS12_.private_seg_size, 0
	.set _ZN7rocprim17ROCPRIM_400000_NS6detail17trampoline_kernelINS0_13select_configILj256ELj13ELNS0_17block_load_methodE3ELS4_3ELS4_3ELNS0_20block_scan_algorithmE0ELj4294967295EEENS1_25partition_config_selectorILNS1_17partition_subalgoE4EjNS0_10empty_typeEbEEZZNS1_14partition_implILS8_4ELb0ES6_15HIP_vector_typeIjLj2EENS0_17counting_iteratorIjlEEPS9_SG_NS0_5tupleIJPjSI_NS0_16reverse_iteratorISI_EEEEENSH_IJSG_SG_SG_EEES9_SI_JZNS1_25segmented_radix_sort_implINS0_14default_configELb1EPKfPfPKlPlN2at6native12_GLOBAL__N_18offset_tEEE10hipError_tPvRmT1_PNSt15iterator_traitsIS12_E10value_typeET2_T3_PNS13_IS18_E10value_typeET4_jRbjT5_S1E_jjP12ihipStream_tbEUljE_ZNSN_ISO_Lb1ESQ_SR_ST_SU_SY_EESZ_S10_S11_S12_S16_S17_S18_S1B_S1C_jS1D_jS1E_S1E_jjS1G_bEUljE0_EEESZ_S10_S11_S18_S1C_S1E_T6_T7_T9_mT8_S1G_bDpT10_ENKUlT_T0_E_clISt17integral_constantIbLb1EES1T_IbLb0EEEEDaS1P_S1Q_EUlS1P_E_NS1_11comp_targetILNS1_3genE10ELNS1_11target_archE1200ELNS1_3gpuE4ELNS1_3repE0EEENS1_30default_config_static_selectorELNS0_4arch9wavefront6targetE0EEEvS12_.uses_vcc, 0
	.set _ZN7rocprim17ROCPRIM_400000_NS6detail17trampoline_kernelINS0_13select_configILj256ELj13ELNS0_17block_load_methodE3ELS4_3ELS4_3ELNS0_20block_scan_algorithmE0ELj4294967295EEENS1_25partition_config_selectorILNS1_17partition_subalgoE4EjNS0_10empty_typeEbEEZZNS1_14partition_implILS8_4ELb0ES6_15HIP_vector_typeIjLj2EENS0_17counting_iteratorIjlEEPS9_SG_NS0_5tupleIJPjSI_NS0_16reverse_iteratorISI_EEEEENSH_IJSG_SG_SG_EEES9_SI_JZNS1_25segmented_radix_sort_implINS0_14default_configELb1EPKfPfPKlPlN2at6native12_GLOBAL__N_18offset_tEEE10hipError_tPvRmT1_PNSt15iterator_traitsIS12_E10value_typeET2_T3_PNS13_IS18_E10value_typeET4_jRbjT5_S1E_jjP12ihipStream_tbEUljE_ZNSN_ISO_Lb1ESQ_SR_ST_SU_SY_EESZ_S10_S11_S12_S16_S17_S18_S1B_S1C_jS1D_jS1E_S1E_jjS1G_bEUljE0_EEESZ_S10_S11_S18_S1C_S1E_T6_T7_T9_mT8_S1G_bDpT10_ENKUlT_T0_E_clISt17integral_constantIbLb1EES1T_IbLb0EEEEDaS1P_S1Q_EUlS1P_E_NS1_11comp_targetILNS1_3genE10ELNS1_11target_archE1200ELNS1_3gpuE4ELNS1_3repE0EEENS1_30default_config_static_selectorELNS0_4arch9wavefront6targetE0EEEvS12_.uses_flat_scratch, 0
	.set _ZN7rocprim17ROCPRIM_400000_NS6detail17trampoline_kernelINS0_13select_configILj256ELj13ELNS0_17block_load_methodE3ELS4_3ELS4_3ELNS0_20block_scan_algorithmE0ELj4294967295EEENS1_25partition_config_selectorILNS1_17partition_subalgoE4EjNS0_10empty_typeEbEEZZNS1_14partition_implILS8_4ELb0ES6_15HIP_vector_typeIjLj2EENS0_17counting_iteratorIjlEEPS9_SG_NS0_5tupleIJPjSI_NS0_16reverse_iteratorISI_EEEEENSH_IJSG_SG_SG_EEES9_SI_JZNS1_25segmented_radix_sort_implINS0_14default_configELb1EPKfPfPKlPlN2at6native12_GLOBAL__N_18offset_tEEE10hipError_tPvRmT1_PNSt15iterator_traitsIS12_E10value_typeET2_T3_PNS13_IS18_E10value_typeET4_jRbjT5_S1E_jjP12ihipStream_tbEUljE_ZNSN_ISO_Lb1ESQ_SR_ST_SU_SY_EESZ_S10_S11_S12_S16_S17_S18_S1B_S1C_jS1D_jS1E_S1E_jjS1G_bEUljE0_EEESZ_S10_S11_S18_S1C_S1E_T6_T7_T9_mT8_S1G_bDpT10_ENKUlT_T0_E_clISt17integral_constantIbLb1EES1T_IbLb0EEEEDaS1P_S1Q_EUlS1P_E_NS1_11comp_targetILNS1_3genE10ELNS1_11target_archE1200ELNS1_3gpuE4ELNS1_3repE0EEENS1_30default_config_static_selectorELNS0_4arch9wavefront6targetE0EEEvS12_.has_dyn_sized_stack, 0
	.set _ZN7rocprim17ROCPRIM_400000_NS6detail17trampoline_kernelINS0_13select_configILj256ELj13ELNS0_17block_load_methodE3ELS4_3ELS4_3ELNS0_20block_scan_algorithmE0ELj4294967295EEENS1_25partition_config_selectorILNS1_17partition_subalgoE4EjNS0_10empty_typeEbEEZZNS1_14partition_implILS8_4ELb0ES6_15HIP_vector_typeIjLj2EENS0_17counting_iteratorIjlEEPS9_SG_NS0_5tupleIJPjSI_NS0_16reverse_iteratorISI_EEEEENSH_IJSG_SG_SG_EEES9_SI_JZNS1_25segmented_radix_sort_implINS0_14default_configELb1EPKfPfPKlPlN2at6native12_GLOBAL__N_18offset_tEEE10hipError_tPvRmT1_PNSt15iterator_traitsIS12_E10value_typeET2_T3_PNS13_IS18_E10value_typeET4_jRbjT5_S1E_jjP12ihipStream_tbEUljE_ZNSN_ISO_Lb1ESQ_SR_ST_SU_SY_EESZ_S10_S11_S12_S16_S17_S18_S1B_S1C_jS1D_jS1E_S1E_jjS1G_bEUljE0_EEESZ_S10_S11_S18_S1C_S1E_T6_T7_T9_mT8_S1G_bDpT10_ENKUlT_T0_E_clISt17integral_constantIbLb1EES1T_IbLb0EEEEDaS1P_S1Q_EUlS1P_E_NS1_11comp_targetILNS1_3genE10ELNS1_11target_archE1200ELNS1_3gpuE4ELNS1_3repE0EEENS1_30default_config_static_selectorELNS0_4arch9wavefront6targetE0EEEvS12_.has_recursion, 0
	.set _ZN7rocprim17ROCPRIM_400000_NS6detail17trampoline_kernelINS0_13select_configILj256ELj13ELNS0_17block_load_methodE3ELS4_3ELS4_3ELNS0_20block_scan_algorithmE0ELj4294967295EEENS1_25partition_config_selectorILNS1_17partition_subalgoE4EjNS0_10empty_typeEbEEZZNS1_14partition_implILS8_4ELb0ES6_15HIP_vector_typeIjLj2EENS0_17counting_iteratorIjlEEPS9_SG_NS0_5tupleIJPjSI_NS0_16reverse_iteratorISI_EEEEENSH_IJSG_SG_SG_EEES9_SI_JZNS1_25segmented_radix_sort_implINS0_14default_configELb1EPKfPfPKlPlN2at6native12_GLOBAL__N_18offset_tEEE10hipError_tPvRmT1_PNSt15iterator_traitsIS12_E10value_typeET2_T3_PNS13_IS18_E10value_typeET4_jRbjT5_S1E_jjP12ihipStream_tbEUljE_ZNSN_ISO_Lb1ESQ_SR_ST_SU_SY_EESZ_S10_S11_S12_S16_S17_S18_S1B_S1C_jS1D_jS1E_S1E_jjS1G_bEUljE0_EEESZ_S10_S11_S18_S1C_S1E_T6_T7_T9_mT8_S1G_bDpT10_ENKUlT_T0_E_clISt17integral_constantIbLb1EES1T_IbLb0EEEEDaS1P_S1Q_EUlS1P_E_NS1_11comp_targetILNS1_3genE10ELNS1_11target_archE1200ELNS1_3gpuE4ELNS1_3repE0EEENS1_30default_config_static_selectorELNS0_4arch9wavefront6targetE0EEEvS12_.has_indirect_call, 0
	.section	.AMDGPU.csdata,"",@progbits
; Kernel info:
; codeLenInByte = 4
; TotalNumSgprs: 0
; NumVgprs: 0
; ScratchSize: 0
; MemoryBound: 0
; FloatMode: 240
; IeeeMode: 1
; LDSByteSize: 0 bytes/workgroup (compile time only)
; SGPRBlocks: 0
; VGPRBlocks: 0
; NumSGPRsForWavesPerEU: 1
; NumVGPRsForWavesPerEU: 1
; Occupancy: 16
; WaveLimiterHint : 0
; COMPUTE_PGM_RSRC2:SCRATCH_EN: 0
; COMPUTE_PGM_RSRC2:USER_SGPR: 2
; COMPUTE_PGM_RSRC2:TRAP_HANDLER: 0
; COMPUTE_PGM_RSRC2:TGID_X_EN: 1
; COMPUTE_PGM_RSRC2:TGID_Y_EN: 0
; COMPUTE_PGM_RSRC2:TGID_Z_EN: 0
; COMPUTE_PGM_RSRC2:TIDIG_COMP_CNT: 0
	.section	.text._ZN7rocprim17ROCPRIM_400000_NS6detail17trampoline_kernelINS0_13select_configILj256ELj13ELNS0_17block_load_methodE3ELS4_3ELS4_3ELNS0_20block_scan_algorithmE0ELj4294967295EEENS1_25partition_config_selectorILNS1_17partition_subalgoE4EjNS0_10empty_typeEbEEZZNS1_14partition_implILS8_4ELb0ES6_15HIP_vector_typeIjLj2EENS0_17counting_iteratorIjlEEPS9_SG_NS0_5tupleIJPjSI_NS0_16reverse_iteratorISI_EEEEENSH_IJSG_SG_SG_EEES9_SI_JZNS1_25segmented_radix_sort_implINS0_14default_configELb1EPKfPfPKlPlN2at6native12_GLOBAL__N_18offset_tEEE10hipError_tPvRmT1_PNSt15iterator_traitsIS12_E10value_typeET2_T3_PNS13_IS18_E10value_typeET4_jRbjT5_S1E_jjP12ihipStream_tbEUljE_ZNSN_ISO_Lb1ESQ_SR_ST_SU_SY_EESZ_S10_S11_S12_S16_S17_S18_S1B_S1C_jS1D_jS1E_S1E_jjS1G_bEUljE0_EEESZ_S10_S11_S18_S1C_S1E_T6_T7_T9_mT8_S1G_bDpT10_ENKUlT_T0_E_clISt17integral_constantIbLb1EES1T_IbLb0EEEEDaS1P_S1Q_EUlS1P_E_NS1_11comp_targetILNS1_3genE9ELNS1_11target_archE1100ELNS1_3gpuE3ELNS1_3repE0EEENS1_30default_config_static_selectorELNS0_4arch9wavefront6targetE0EEEvS12_,"axG",@progbits,_ZN7rocprim17ROCPRIM_400000_NS6detail17trampoline_kernelINS0_13select_configILj256ELj13ELNS0_17block_load_methodE3ELS4_3ELS4_3ELNS0_20block_scan_algorithmE0ELj4294967295EEENS1_25partition_config_selectorILNS1_17partition_subalgoE4EjNS0_10empty_typeEbEEZZNS1_14partition_implILS8_4ELb0ES6_15HIP_vector_typeIjLj2EENS0_17counting_iteratorIjlEEPS9_SG_NS0_5tupleIJPjSI_NS0_16reverse_iteratorISI_EEEEENSH_IJSG_SG_SG_EEES9_SI_JZNS1_25segmented_radix_sort_implINS0_14default_configELb1EPKfPfPKlPlN2at6native12_GLOBAL__N_18offset_tEEE10hipError_tPvRmT1_PNSt15iterator_traitsIS12_E10value_typeET2_T3_PNS13_IS18_E10value_typeET4_jRbjT5_S1E_jjP12ihipStream_tbEUljE_ZNSN_ISO_Lb1ESQ_SR_ST_SU_SY_EESZ_S10_S11_S12_S16_S17_S18_S1B_S1C_jS1D_jS1E_S1E_jjS1G_bEUljE0_EEESZ_S10_S11_S18_S1C_S1E_T6_T7_T9_mT8_S1G_bDpT10_ENKUlT_T0_E_clISt17integral_constantIbLb1EES1T_IbLb0EEEEDaS1P_S1Q_EUlS1P_E_NS1_11comp_targetILNS1_3genE9ELNS1_11target_archE1100ELNS1_3gpuE3ELNS1_3repE0EEENS1_30default_config_static_selectorELNS0_4arch9wavefront6targetE0EEEvS12_,comdat
	.globl	_ZN7rocprim17ROCPRIM_400000_NS6detail17trampoline_kernelINS0_13select_configILj256ELj13ELNS0_17block_load_methodE3ELS4_3ELS4_3ELNS0_20block_scan_algorithmE0ELj4294967295EEENS1_25partition_config_selectorILNS1_17partition_subalgoE4EjNS0_10empty_typeEbEEZZNS1_14partition_implILS8_4ELb0ES6_15HIP_vector_typeIjLj2EENS0_17counting_iteratorIjlEEPS9_SG_NS0_5tupleIJPjSI_NS0_16reverse_iteratorISI_EEEEENSH_IJSG_SG_SG_EEES9_SI_JZNS1_25segmented_radix_sort_implINS0_14default_configELb1EPKfPfPKlPlN2at6native12_GLOBAL__N_18offset_tEEE10hipError_tPvRmT1_PNSt15iterator_traitsIS12_E10value_typeET2_T3_PNS13_IS18_E10value_typeET4_jRbjT5_S1E_jjP12ihipStream_tbEUljE_ZNSN_ISO_Lb1ESQ_SR_ST_SU_SY_EESZ_S10_S11_S12_S16_S17_S18_S1B_S1C_jS1D_jS1E_S1E_jjS1G_bEUljE0_EEESZ_S10_S11_S18_S1C_S1E_T6_T7_T9_mT8_S1G_bDpT10_ENKUlT_T0_E_clISt17integral_constantIbLb1EES1T_IbLb0EEEEDaS1P_S1Q_EUlS1P_E_NS1_11comp_targetILNS1_3genE9ELNS1_11target_archE1100ELNS1_3gpuE3ELNS1_3repE0EEENS1_30default_config_static_selectorELNS0_4arch9wavefront6targetE0EEEvS12_ ; -- Begin function _ZN7rocprim17ROCPRIM_400000_NS6detail17trampoline_kernelINS0_13select_configILj256ELj13ELNS0_17block_load_methodE3ELS4_3ELS4_3ELNS0_20block_scan_algorithmE0ELj4294967295EEENS1_25partition_config_selectorILNS1_17partition_subalgoE4EjNS0_10empty_typeEbEEZZNS1_14partition_implILS8_4ELb0ES6_15HIP_vector_typeIjLj2EENS0_17counting_iteratorIjlEEPS9_SG_NS0_5tupleIJPjSI_NS0_16reverse_iteratorISI_EEEEENSH_IJSG_SG_SG_EEES9_SI_JZNS1_25segmented_radix_sort_implINS0_14default_configELb1EPKfPfPKlPlN2at6native12_GLOBAL__N_18offset_tEEE10hipError_tPvRmT1_PNSt15iterator_traitsIS12_E10value_typeET2_T3_PNS13_IS18_E10value_typeET4_jRbjT5_S1E_jjP12ihipStream_tbEUljE_ZNSN_ISO_Lb1ESQ_SR_ST_SU_SY_EESZ_S10_S11_S12_S16_S17_S18_S1B_S1C_jS1D_jS1E_S1E_jjS1G_bEUljE0_EEESZ_S10_S11_S18_S1C_S1E_T6_T7_T9_mT8_S1G_bDpT10_ENKUlT_T0_E_clISt17integral_constantIbLb1EES1T_IbLb0EEEEDaS1P_S1Q_EUlS1P_E_NS1_11comp_targetILNS1_3genE9ELNS1_11target_archE1100ELNS1_3gpuE3ELNS1_3repE0EEENS1_30default_config_static_selectorELNS0_4arch9wavefront6targetE0EEEvS12_
	.p2align	8
	.type	_ZN7rocprim17ROCPRIM_400000_NS6detail17trampoline_kernelINS0_13select_configILj256ELj13ELNS0_17block_load_methodE3ELS4_3ELS4_3ELNS0_20block_scan_algorithmE0ELj4294967295EEENS1_25partition_config_selectorILNS1_17partition_subalgoE4EjNS0_10empty_typeEbEEZZNS1_14partition_implILS8_4ELb0ES6_15HIP_vector_typeIjLj2EENS0_17counting_iteratorIjlEEPS9_SG_NS0_5tupleIJPjSI_NS0_16reverse_iteratorISI_EEEEENSH_IJSG_SG_SG_EEES9_SI_JZNS1_25segmented_radix_sort_implINS0_14default_configELb1EPKfPfPKlPlN2at6native12_GLOBAL__N_18offset_tEEE10hipError_tPvRmT1_PNSt15iterator_traitsIS12_E10value_typeET2_T3_PNS13_IS18_E10value_typeET4_jRbjT5_S1E_jjP12ihipStream_tbEUljE_ZNSN_ISO_Lb1ESQ_SR_ST_SU_SY_EESZ_S10_S11_S12_S16_S17_S18_S1B_S1C_jS1D_jS1E_S1E_jjS1G_bEUljE0_EEESZ_S10_S11_S18_S1C_S1E_T6_T7_T9_mT8_S1G_bDpT10_ENKUlT_T0_E_clISt17integral_constantIbLb1EES1T_IbLb0EEEEDaS1P_S1Q_EUlS1P_E_NS1_11comp_targetILNS1_3genE9ELNS1_11target_archE1100ELNS1_3gpuE3ELNS1_3repE0EEENS1_30default_config_static_selectorELNS0_4arch9wavefront6targetE0EEEvS12_,@function
_ZN7rocprim17ROCPRIM_400000_NS6detail17trampoline_kernelINS0_13select_configILj256ELj13ELNS0_17block_load_methodE3ELS4_3ELS4_3ELNS0_20block_scan_algorithmE0ELj4294967295EEENS1_25partition_config_selectorILNS1_17partition_subalgoE4EjNS0_10empty_typeEbEEZZNS1_14partition_implILS8_4ELb0ES6_15HIP_vector_typeIjLj2EENS0_17counting_iteratorIjlEEPS9_SG_NS0_5tupleIJPjSI_NS0_16reverse_iteratorISI_EEEEENSH_IJSG_SG_SG_EEES9_SI_JZNS1_25segmented_radix_sort_implINS0_14default_configELb1EPKfPfPKlPlN2at6native12_GLOBAL__N_18offset_tEEE10hipError_tPvRmT1_PNSt15iterator_traitsIS12_E10value_typeET2_T3_PNS13_IS18_E10value_typeET4_jRbjT5_S1E_jjP12ihipStream_tbEUljE_ZNSN_ISO_Lb1ESQ_SR_ST_SU_SY_EESZ_S10_S11_S12_S16_S17_S18_S1B_S1C_jS1D_jS1E_S1E_jjS1G_bEUljE0_EEESZ_S10_S11_S18_S1C_S1E_T6_T7_T9_mT8_S1G_bDpT10_ENKUlT_T0_E_clISt17integral_constantIbLb1EES1T_IbLb0EEEEDaS1P_S1Q_EUlS1P_E_NS1_11comp_targetILNS1_3genE9ELNS1_11target_archE1100ELNS1_3gpuE3ELNS1_3repE0EEENS1_30default_config_static_selectorELNS0_4arch9wavefront6targetE0EEEvS12_: ; @_ZN7rocprim17ROCPRIM_400000_NS6detail17trampoline_kernelINS0_13select_configILj256ELj13ELNS0_17block_load_methodE3ELS4_3ELS4_3ELNS0_20block_scan_algorithmE0ELj4294967295EEENS1_25partition_config_selectorILNS1_17partition_subalgoE4EjNS0_10empty_typeEbEEZZNS1_14partition_implILS8_4ELb0ES6_15HIP_vector_typeIjLj2EENS0_17counting_iteratorIjlEEPS9_SG_NS0_5tupleIJPjSI_NS0_16reverse_iteratorISI_EEEEENSH_IJSG_SG_SG_EEES9_SI_JZNS1_25segmented_radix_sort_implINS0_14default_configELb1EPKfPfPKlPlN2at6native12_GLOBAL__N_18offset_tEEE10hipError_tPvRmT1_PNSt15iterator_traitsIS12_E10value_typeET2_T3_PNS13_IS18_E10value_typeET4_jRbjT5_S1E_jjP12ihipStream_tbEUljE_ZNSN_ISO_Lb1ESQ_SR_ST_SU_SY_EESZ_S10_S11_S12_S16_S17_S18_S1B_S1C_jS1D_jS1E_S1E_jjS1G_bEUljE0_EEESZ_S10_S11_S18_S1C_S1E_T6_T7_T9_mT8_S1G_bDpT10_ENKUlT_T0_E_clISt17integral_constantIbLb1EES1T_IbLb0EEEEDaS1P_S1Q_EUlS1P_E_NS1_11comp_targetILNS1_3genE9ELNS1_11target_archE1100ELNS1_3gpuE3ELNS1_3repE0EEENS1_30default_config_static_selectorELNS0_4arch9wavefront6targetE0EEEvS12_
; %bb.0:
	.section	.rodata,"a",@progbits
	.p2align	6, 0x0
	.amdhsa_kernel _ZN7rocprim17ROCPRIM_400000_NS6detail17trampoline_kernelINS0_13select_configILj256ELj13ELNS0_17block_load_methodE3ELS4_3ELS4_3ELNS0_20block_scan_algorithmE0ELj4294967295EEENS1_25partition_config_selectorILNS1_17partition_subalgoE4EjNS0_10empty_typeEbEEZZNS1_14partition_implILS8_4ELb0ES6_15HIP_vector_typeIjLj2EENS0_17counting_iteratorIjlEEPS9_SG_NS0_5tupleIJPjSI_NS0_16reverse_iteratorISI_EEEEENSH_IJSG_SG_SG_EEES9_SI_JZNS1_25segmented_radix_sort_implINS0_14default_configELb1EPKfPfPKlPlN2at6native12_GLOBAL__N_18offset_tEEE10hipError_tPvRmT1_PNSt15iterator_traitsIS12_E10value_typeET2_T3_PNS13_IS18_E10value_typeET4_jRbjT5_S1E_jjP12ihipStream_tbEUljE_ZNSN_ISO_Lb1ESQ_SR_ST_SU_SY_EESZ_S10_S11_S12_S16_S17_S18_S1B_S1C_jS1D_jS1E_S1E_jjS1G_bEUljE0_EEESZ_S10_S11_S18_S1C_S1E_T6_T7_T9_mT8_S1G_bDpT10_ENKUlT_T0_E_clISt17integral_constantIbLb1EES1T_IbLb0EEEEDaS1P_S1Q_EUlS1P_E_NS1_11comp_targetILNS1_3genE9ELNS1_11target_archE1100ELNS1_3gpuE3ELNS1_3repE0EEENS1_30default_config_static_selectorELNS0_4arch9wavefront6targetE0EEEvS12_
		.amdhsa_group_segment_fixed_size 0
		.amdhsa_private_segment_fixed_size 0
		.amdhsa_kernarg_size 176
		.amdhsa_user_sgpr_count 2
		.amdhsa_user_sgpr_dispatch_ptr 0
		.amdhsa_user_sgpr_queue_ptr 0
		.amdhsa_user_sgpr_kernarg_segment_ptr 1
		.amdhsa_user_sgpr_dispatch_id 0
		.amdhsa_user_sgpr_private_segment_size 0
		.amdhsa_wavefront_size32 1
		.amdhsa_uses_dynamic_stack 0
		.amdhsa_enable_private_segment 0
		.amdhsa_system_sgpr_workgroup_id_x 1
		.amdhsa_system_sgpr_workgroup_id_y 0
		.amdhsa_system_sgpr_workgroup_id_z 0
		.amdhsa_system_sgpr_workgroup_info 0
		.amdhsa_system_vgpr_workitem_id 0
		.amdhsa_next_free_vgpr 1
		.amdhsa_next_free_sgpr 1
		.amdhsa_reserve_vcc 0
		.amdhsa_float_round_mode_32 0
		.amdhsa_float_round_mode_16_64 0
		.amdhsa_float_denorm_mode_32 3
		.amdhsa_float_denorm_mode_16_64 3
		.amdhsa_fp16_overflow 0
		.amdhsa_workgroup_processor_mode 1
		.amdhsa_memory_ordered 1
		.amdhsa_forward_progress 1
		.amdhsa_inst_pref_size 0
		.amdhsa_round_robin_scheduling 0
		.amdhsa_exception_fp_ieee_invalid_op 0
		.amdhsa_exception_fp_denorm_src 0
		.amdhsa_exception_fp_ieee_div_zero 0
		.amdhsa_exception_fp_ieee_overflow 0
		.amdhsa_exception_fp_ieee_underflow 0
		.amdhsa_exception_fp_ieee_inexact 0
		.amdhsa_exception_int_div_zero 0
	.end_amdhsa_kernel
	.section	.text._ZN7rocprim17ROCPRIM_400000_NS6detail17trampoline_kernelINS0_13select_configILj256ELj13ELNS0_17block_load_methodE3ELS4_3ELS4_3ELNS0_20block_scan_algorithmE0ELj4294967295EEENS1_25partition_config_selectorILNS1_17partition_subalgoE4EjNS0_10empty_typeEbEEZZNS1_14partition_implILS8_4ELb0ES6_15HIP_vector_typeIjLj2EENS0_17counting_iteratorIjlEEPS9_SG_NS0_5tupleIJPjSI_NS0_16reverse_iteratorISI_EEEEENSH_IJSG_SG_SG_EEES9_SI_JZNS1_25segmented_radix_sort_implINS0_14default_configELb1EPKfPfPKlPlN2at6native12_GLOBAL__N_18offset_tEEE10hipError_tPvRmT1_PNSt15iterator_traitsIS12_E10value_typeET2_T3_PNS13_IS18_E10value_typeET4_jRbjT5_S1E_jjP12ihipStream_tbEUljE_ZNSN_ISO_Lb1ESQ_SR_ST_SU_SY_EESZ_S10_S11_S12_S16_S17_S18_S1B_S1C_jS1D_jS1E_S1E_jjS1G_bEUljE0_EEESZ_S10_S11_S18_S1C_S1E_T6_T7_T9_mT8_S1G_bDpT10_ENKUlT_T0_E_clISt17integral_constantIbLb1EES1T_IbLb0EEEEDaS1P_S1Q_EUlS1P_E_NS1_11comp_targetILNS1_3genE9ELNS1_11target_archE1100ELNS1_3gpuE3ELNS1_3repE0EEENS1_30default_config_static_selectorELNS0_4arch9wavefront6targetE0EEEvS12_,"axG",@progbits,_ZN7rocprim17ROCPRIM_400000_NS6detail17trampoline_kernelINS0_13select_configILj256ELj13ELNS0_17block_load_methodE3ELS4_3ELS4_3ELNS0_20block_scan_algorithmE0ELj4294967295EEENS1_25partition_config_selectorILNS1_17partition_subalgoE4EjNS0_10empty_typeEbEEZZNS1_14partition_implILS8_4ELb0ES6_15HIP_vector_typeIjLj2EENS0_17counting_iteratorIjlEEPS9_SG_NS0_5tupleIJPjSI_NS0_16reverse_iteratorISI_EEEEENSH_IJSG_SG_SG_EEES9_SI_JZNS1_25segmented_radix_sort_implINS0_14default_configELb1EPKfPfPKlPlN2at6native12_GLOBAL__N_18offset_tEEE10hipError_tPvRmT1_PNSt15iterator_traitsIS12_E10value_typeET2_T3_PNS13_IS18_E10value_typeET4_jRbjT5_S1E_jjP12ihipStream_tbEUljE_ZNSN_ISO_Lb1ESQ_SR_ST_SU_SY_EESZ_S10_S11_S12_S16_S17_S18_S1B_S1C_jS1D_jS1E_S1E_jjS1G_bEUljE0_EEESZ_S10_S11_S18_S1C_S1E_T6_T7_T9_mT8_S1G_bDpT10_ENKUlT_T0_E_clISt17integral_constantIbLb1EES1T_IbLb0EEEEDaS1P_S1Q_EUlS1P_E_NS1_11comp_targetILNS1_3genE9ELNS1_11target_archE1100ELNS1_3gpuE3ELNS1_3repE0EEENS1_30default_config_static_selectorELNS0_4arch9wavefront6targetE0EEEvS12_,comdat
.Lfunc_end1283:
	.size	_ZN7rocprim17ROCPRIM_400000_NS6detail17trampoline_kernelINS0_13select_configILj256ELj13ELNS0_17block_load_methodE3ELS4_3ELS4_3ELNS0_20block_scan_algorithmE0ELj4294967295EEENS1_25partition_config_selectorILNS1_17partition_subalgoE4EjNS0_10empty_typeEbEEZZNS1_14partition_implILS8_4ELb0ES6_15HIP_vector_typeIjLj2EENS0_17counting_iteratorIjlEEPS9_SG_NS0_5tupleIJPjSI_NS0_16reverse_iteratorISI_EEEEENSH_IJSG_SG_SG_EEES9_SI_JZNS1_25segmented_radix_sort_implINS0_14default_configELb1EPKfPfPKlPlN2at6native12_GLOBAL__N_18offset_tEEE10hipError_tPvRmT1_PNSt15iterator_traitsIS12_E10value_typeET2_T3_PNS13_IS18_E10value_typeET4_jRbjT5_S1E_jjP12ihipStream_tbEUljE_ZNSN_ISO_Lb1ESQ_SR_ST_SU_SY_EESZ_S10_S11_S12_S16_S17_S18_S1B_S1C_jS1D_jS1E_S1E_jjS1G_bEUljE0_EEESZ_S10_S11_S18_S1C_S1E_T6_T7_T9_mT8_S1G_bDpT10_ENKUlT_T0_E_clISt17integral_constantIbLb1EES1T_IbLb0EEEEDaS1P_S1Q_EUlS1P_E_NS1_11comp_targetILNS1_3genE9ELNS1_11target_archE1100ELNS1_3gpuE3ELNS1_3repE0EEENS1_30default_config_static_selectorELNS0_4arch9wavefront6targetE0EEEvS12_, .Lfunc_end1283-_ZN7rocprim17ROCPRIM_400000_NS6detail17trampoline_kernelINS0_13select_configILj256ELj13ELNS0_17block_load_methodE3ELS4_3ELS4_3ELNS0_20block_scan_algorithmE0ELj4294967295EEENS1_25partition_config_selectorILNS1_17partition_subalgoE4EjNS0_10empty_typeEbEEZZNS1_14partition_implILS8_4ELb0ES6_15HIP_vector_typeIjLj2EENS0_17counting_iteratorIjlEEPS9_SG_NS0_5tupleIJPjSI_NS0_16reverse_iteratorISI_EEEEENSH_IJSG_SG_SG_EEES9_SI_JZNS1_25segmented_radix_sort_implINS0_14default_configELb1EPKfPfPKlPlN2at6native12_GLOBAL__N_18offset_tEEE10hipError_tPvRmT1_PNSt15iterator_traitsIS12_E10value_typeET2_T3_PNS13_IS18_E10value_typeET4_jRbjT5_S1E_jjP12ihipStream_tbEUljE_ZNSN_ISO_Lb1ESQ_SR_ST_SU_SY_EESZ_S10_S11_S12_S16_S17_S18_S1B_S1C_jS1D_jS1E_S1E_jjS1G_bEUljE0_EEESZ_S10_S11_S18_S1C_S1E_T6_T7_T9_mT8_S1G_bDpT10_ENKUlT_T0_E_clISt17integral_constantIbLb1EES1T_IbLb0EEEEDaS1P_S1Q_EUlS1P_E_NS1_11comp_targetILNS1_3genE9ELNS1_11target_archE1100ELNS1_3gpuE3ELNS1_3repE0EEENS1_30default_config_static_selectorELNS0_4arch9wavefront6targetE0EEEvS12_
                                        ; -- End function
	.set _ZN7rocprim17ROCPRIM_400000_NS6detail17trampoline_kernelINS0_13select_configILj256ELj13ELNS0_17block_load_methodE3ELS4_3ELS4_3ELNS0_20block_scan_algorithmE0ELj4294967295EEENS1_25partition_config_selectorILNS1_17partition_subalgoE4EjNS0_10empty_typeEbEEZZNS1_14partition_implILS8_4ELb0ES6_15HIP_vector_typeIjLj2EENS0_17counting_iteratorIjlEEPS9_SG_NS0_5tupleIJPjSI_NS0_16reverse_iteratorISI_EEEEENSH_IJSG_SG_SG_EEES9_SI_JZNS1_25segmented_radix_sort_implINS0_14default_configELb1EPKfPfPKlPlN2at6native12_GLOBAL__N_18offset_tEEE10hipError_tPvRmT1_PNSt15iterator_traitsIS12_E10value_typeET2_T3_PNS13_IS18_E10value_typeET4_jRbjT5_S1E_jjP12ihipStream_tbEUljE_ZNSN_ISO_Lb1ESQ_SR_ST_SU_SY_EESZ_S10_S11_S12_S16_S17_S18_S1B_S1C_jS1D_jS1E_S1E_jjS1G_bEUljE0_EEESZ_S10_S11_S18_S1C_S1E_T6_T7_T9_mT8_S1G_bDpT10_ENKUlT_T0_E_clISt17integral_constantIbLb1EES1T_IbLb0EEEEDaS1P_S1Q_EUlS1P_E_NS1_11comp_targetILNS1_3genE9ELNS1_11target_archE1100ELNS1_3gpuE3ELNS1_3repE0EEENS1_30default_config_static_selectorELNS0_4arch9wavefront6targetE0EEEvS12_.num_vgpr, 0
	.set _ZN7rocprim17ROCPRIM_400000_NS6detail17trampoline_kernelINS0_13select_configILj256ELj13ELNS0_17block_load_methodE3ELS4_3ELS4_3ELNS0_20block_scan_algorithmE0ELj4294967295EEENS1_25partition_config_selectorILNS1_17partition_subalgoE4EjNS0_10empty_typeEbEEZZNS1_14partition_implILS8_4ELb0ES6_15HIP_vector_typeIjLj2EENS0_17counting_iteratorIjlEEPS9_SG_NS0_5tupleIJPjSI_NS0_16reverse_iteratorISI_EEEEENSH_IJSG_SG_SG_EEES9_SI_JZNS1_25segmented_radix_sort_implINS0_14default_configELb1EPKfPfPKlPlN2at6native12_GLOBAL__N_18offset_tEEE10hipError_tPvRmT1_PNSt15iterator_traitsIS12_E10value_typeET2_T3_PNS13_IS18_E10value_typeET4_jRbjT5_S1E_jjP12ihipStream_tbEUljE_ZNSN_ISO_Lb1ESQ_SR_ST_SU_SY_EESZ_S10_S11_S12_S16_S17_S18_S1B_S1C_jS1D_jS1E_S1E_jjS1G_bEUljE0_EEESZ_S10_S11_S18_S1C_S1E_T6_T7_T9_mT8_S1G_bDpT10_ENKUlT_T0_E_clISt17integral_constantIbLb1EES1T_IbLb0EEEEDaS1P_S1Q_EUlS1P_E_NS1_11comp_targetILNS1_3genE9ELNS1_11target_archE1100ELNS1_3gpuE3ELNS1_3repE0EEENS1_30default_config_static_selectorELNS0_4arch9wavefront6targetE0EEEvS12_.num_agpr, 0
	.set _ZN7rocprim17ROCPRIM_400000_NS6detail17trampoline_kernelINS0_13select_configILj256ELj13ELNS0_17block_load_methodE3ELS4_3ELS4_3ELNS0_20block_scan_algorithmE0ELj4294967295EEENS1_25partition_config_selectorILNS1_17partition_subalgoE4EjNS0_10empty_typeEbEEZZNS1_14partition_implILS8_4ELb0ES6_15HIP_vector_typeIjLj2EENS0_17counting_iteratorIjlEEPS9_SG_NS0_5tupleIJPjSI_NS0_16reverse_iteratorISI_EEEEENSH_IJSG_SG_SG_EEES9_SI_JZNS1_25segmented_radix_sort_implINS0_14default_configELb1EPKfPfPKlPlN2at6native12_GLOBAL__N_18offset_tEEE10hipError_tPvRmT1_PNSt15iterator_traitsIS12_E10value_typeET2_T3_PNS13_IS18_E10value_typeET4_jRbjT5_S1E_jjP12ihipStream_tbEUljE_ZNSN_ISO_Lb1ESQ_SR_ST_SU_SY_EESZ_S10_S11_S12_S16_S17_S18_S1B_S1C_jS1D_jS1E_S1E_jjS1G_bEUljE0_EEESZ_S10_S11_S18_S1C_S1E_T6_T7_T9_mT8_S1G_bDpT10_ENKUlT_T0_E_clISt17integral_constantIbLb1EES1T_IbLb0EEEEDaS1P_S1Q_EUlS1P_E_NS1_11comp_targetILNS1_3genE9ELNS1_11target_archE1100ELNS1_3gpuE3ELNS1_3repE0EEENS1_30default_config_static_selectorELNS0_4arch9wavefront6targetE0EEEvS12_.numbered_sgpr, 0
	.set _ZN7rocprim17ROCPRIM_400000_NS6detail17trampoline_kernelINS0_13select_configILj256ELj13ELNS0_17block_load_methodE3ELS4_3ELS4_3ELNS0_20block_scan_algorithmE0ELj4294967295EEENS1_25partition_config_selectorILNS1_17partition_subalgoE4EjNS0_10empty_typeEbEEZZNS1_14partition_implILS8_4ELb0ES6_15HIP_vector_typeIjLj2EENS0_17counting_iteratorIjlEEPS9_SG_NS0_5tupleIJPjSI_NS0_16reverse_iteratorISI_EEEEENSH_IJSG_SG_SG_EEES9_SI_JZNS1_25segmented_radix_sort_implINS0_14default_configELb1EPKfPfPKlPlN2at6native12_GLOBAL__N_18offset_tEEE10hipError_tPvRmT1_PNSt15iterator_traitsIS12_E10value_typeET2_T3_PNS13_IS18_E10value_typeET4_jRbjT5_S1E_jjP12ihipStream_tbEUljE_ZNSN_ISO_Lb1ESQ_SR_ST_SU_SY_EESZ_S10_S11_S12_S16_S17_S18_S1B_S1C_jS1D_jS1E_S1E_jjS1G_bEUljE0_EEESZ_S10_S11_S18_S1C_S1E_T6_T7_T9_mT8_S1G_bDpT10_ENKUlT_T0_E_clISt17integral_constantIbLb1EES1T_IbLb0EEEEDaS1P_S1Q_EUlS1P_E_NS1_11comp_targetILNS1_3genE9ELNS1_11target_archE1100ELNS1_3gpuE3ELNS1_3repE0EEENS1_30default_config_static_selectorELNS0_4arch9wavefront6targetE0EEEvS12_.num_named_barrier, 0
	.set _ZN7rocprim17ROCPRIM_400000_NS6detail17trampoline_kernelINS0_13select_configILj256ELj13ELNS0_17block_load_methodE3ELS4_3ELS4_3ELNS0_20block_scan_algorithmE0ELj4294967295EEENS1_25partition_config_selectorILNS1_17partition_subalgoE4EjNS0_10empty_typeEbEEZZNS1_14partition_implILS8_4ELb0ES6_15HIP_vector_typeIjLj2EENS0_17counting_iteratorIjlEEPS9_SG_NS0_5tupleIJPjSI_NS0_16reverse_iteratorISI_EEEEENSH_IJSG_SG_SG_EEES9_SI_JZNS1_25segmented_radix_sort_implINS0_14default_configELb1EPKfPfPKlPlN2at6native12_GLOBAL__N_18offset_tEEE10hipError_tPvRmT1_PNSt15iterator_traitsIS12_E10value_typeET2_T3_PNS13_IS18_E10value_typeET4_jRbjT5_S1E_jjP12ihipStream_tbEUljE_ZNSN_ISO_Lb1ESQ_SR_ST_SU_SY_EESZ_S10_S11_S12_S16_S17_S18_S1B_S1C_jS1D_jS1E_S1E_jjS1G_bEUljE0_EEESZ_S10_S11_S18_S1C_S1E_T6_T7_T9_mT8_S1G_bDpT10_ENKUlT_T0_E_clISt17integral_constantIbLb1EES1T_IbLb0EEEEDaS1P_S1Q_EUlS1P_E_NS1_11comp_targetILNS1_3genE9ELNS1_11target_archE1100ELNS1_3gpuE3ELNS1_3repE0EEENS1_30default_config_static_selectorELNS0_4arch9wavefront6targetE0EEEvS12_.private_seg_size, 0
	.set _ZN7rocprim17ROCPRIM_400000_NS6detail17trampoline_kernelINS0_13select_configILj256ELj13ELNS0_17block_load_methodE3ELS4_3ELS4_3ELNS0_20block_scan_algorithmE0ELj4294967295EEENS1_25partition_config_selectorILNS1_17partition_subalgoE4EjNS0_10empty_typeEbEEZZNS1_14partition_implILS8_4ELb0ES6_15HIP_vector_typeIjLj2EENS0_17counting_iteratorIjlEEPS9_SG_NS0_5tupleIJPjSI_NS0_16reverse_iteratorISI_EEEEENSH_IJSG_SG_SG_EEES9_SI_JZNS1_25segmented_radix_sort_implINS0_14default_configELb1EPKfPfPKlPlN2at6native12_GLOBAL__N_18offset_tEEE10hipError_tPvRmT1_PNSt15iterator_traitsIS12_E10value_typeET2_T3_PNS13_IS18_E10value_typeET4_jRbjT5_S1E_jjP12ihipStream_tbEUljE_ZNSN_ISO_Lb1ESQ_SR_ST_SU_SY_EESZ_S10_S11_S12_S16_S17_S18_S1B_S1C_jS1D_jS1E_S1E_jjS1G_bEUljE0_EEESZ_S10_S11_S18_S1C_S1E_T6_T7_T9_mT8_S1G_bDpT10_ENKUlT_T0_E_clISt17integral_constantIbLb1EES1T_IbLb0EEEEDaS1P_S1Q_EUlS1P_E_NS1_11comp_targetILNS1_3genE9ELNS1_11target_archE1100ELNS1_3gpuE3ELNS1_3repE0EEENS1_30default_config_static_selectorELNS0_4arch9wavefront6targetE0EEEvS12_.uses_vcc, 0
	.set _ZN7rocprim17ROCPRIM_400000_NS6detail17trampoline_kernelINS0_13select_configILj256ELj13ELNS0_17block_load_methodE3ELS4_3ELS4_3ELNS0_20block_scan_algorithmE0ELj4294967295EEENS1_25partition_config_selectorILNS1_17partition_subalgoE4EjNS0_10empty_typeEbEEZZNS1_14partition_implILS8_4ELb0ES6_15HIP_vector_typeIjLj2EENS0_17counting_iteratorIjlEEPS9_SG_NS0_5tupleIJPjSI_NS0_16reverse_iteratorISI_EEEEENSH_IJSG_SG_SG_EEES9_SI_JZNS1_25segmented_radix_sort_implINS0_14default_configELb1EPKfPfPKlPlN2at6native12_GLOBAL__N_18offset_tEEE10hipError_tPvRmT1_PNSt15iterator_traitsIS12_E10value_typeET2_T3_PNS13_IS18_E10value_typeET4_jRbjT5_S1E_jjP12ihipStream_tbEUljE_ZNSN_ISO_Lb1ESQ_SR_ST_SU_SY_EESZ_S10_S11_S12_S16_S17_S18_S1B_S1C_jS1D_jS1E_S1E_jjS1G_bEUljE0_EEESZ_S10_S11_S18_S1C_S1E_T6_T7_T9_mT8_S1G_bDpT10_ENKUlT_T0_E_clISt17integral_constantIbLb1EES1T_IbLb0EEEEDaS1P_S1Q_EUlS1P_E_NS1_11comp_targetILNS1_3genE9ELNS1_11target_archE1100ELNS1_3gpuE3ELNS1_3repE0EEENS1_30default_config_static_selectorELNS0_4arch9wavefront6targetE0EEEvS12_.uses_flat_scratch, 0
	.set _ZN7rocprim17ROCPRIM_400000_NS6detail17trampoline_kernelINS0_13select_configILj256ELj13ELNS0_17block_load_methodE3ELS4_3ELS4_3ELNS0_20block_scan_algorithmE0ELj4294967295EEENS1_25partition_config_selectorILNS1_17partition_subalgoE4EjNS0_10empty_typeEbEEZZNS1_14partition_implILS8_4ELb0ES6_15HIP_vector_typeIjLj2EENS0_17counting_iteratorIjlEEPS9_SG_NS0_5tupleIJPjSI_NS0_16reverse_iteratorISI_EEEEENSH_IJSG_SG_SG_EEES9_SI_JZNS1_25segmented_radix_sort_implINS0_14default_configELb1EPKfPfPKlPlN2at6native12_GLOBAL__N_18offset_tEEE10hipError_tPvRmT1_PNSt15iterator_traitsIS12_E10value_typeET2_T3_PNS13_IS18_E10value_typeET4_jRbjT5_S1E_jjP12ihipStream_tbEUljE_ZNSN_ISO_Lb1ESQ_SR_ST_SU_SY_EESZ_S10_S11_S12_S16_S17_S18_S1B_S1C_jS1D_jS1E_S1E_jjS1G_bEUljE0_EEESZ_S10_S11_S18_S1C_S1E_T6_T7_T9_mT8_S1G_bDpT10_ENKUlT_T0_E_clISt17integral_constantIbLb1EES1T_IbLb0EEEEDaS1P_S1Q_EUlS1P_E_NS1_11comp_targetILNS1_3genE9ELNS1_11target_archE1100ELNS1_3gpuE3ELNS1_3repE0EEENS1_30default_config_static_selectorELNS0_4arch9wavefront6targetE0EEEvS12_.has_dyn_sized_stack, 0
	.set _ZN7rocprim17ROCPRIM_400000_NS6detail17trampoline_kernelINS0_13select_configILj256ELj13ELNS0_17block_load_methodE3ELS4_3ELS4_3ELNS0_20block_scan_algorithmE0ELj4294967295EEENS1_25partition_config_selectorILNS1_17partition_subalgoE4EjNS0_10empty_typeEbEEZZNS1_14partition_implILS8_4ELb0ES6_15HIP_vector_typeIjLj2EENS0_17counting_iteratorIjlEEPS9_SG_NS0_5tupleIJPjSI_NS0_16reverse_iteratorISI_EEEEENSH_IJSG_SG_SG_EEES9_SI_JZNS1_25segmented_radix_sort_implINS0_14default_configELb1EPKfPfPKlPlN2at6native12_GLOBAL__N_18offset_tEEE10hipError_tPvRmT1_PNSt15iterator_traitsIS12_E10value_typeET2_T3_PNS13_IS18_E10value_typeET4_jRbjT5_S1E_jjP12ihipStream_tbEUljE_ZNSN_ISO_Lb1ESQ_SR_ST_SU_SY_EESZ_S10_S11_S12_S16_S17_S18_S1B_S1C_jS1D_jS1E_S1E_jjS1G_bEUljE0_EEESZ_S10_S11_S18_S1C_S1E_T6_T7_T9_mT8_S1G_bDpT10_ENKUlT_T0_E_clISt17integral_constantIbLb1EES1T_IbLb0EEEEDaS1P_S1Q_EUlS1P_E_NS1_11comp_targetILNS1_3genE9ELNS1_11target_archE1100ELNS1_3gpuE3ELNS1_3repE0EEENS1_30default_config_static_selectorELNS0_4arch9wavefront6targetE0EEEvS12_.has_recursion, 0
	.set _ZN7rocprim17ROCPRIM_400000_NS6detail17trampoline_kernelINS0_13select_configILj256ELj13ELNS0_17block_load_methodE3ELS4_3ELS4_3ELNS0_20block_scan_algorithmE0ELj4294967295EEENS1_25partition_config_selectorILNS1_17partition_subalgoE4EjNS0_10empty_typeEbEEZZNS1_14partition_implILS8_4ELb0ES6_15HIP_vector_typeIjLj2EENS0_17counting_iteratorIjlEEPS9_SG_NS0_5tupleIJPjSI_NS0_16reverse_iteratorISI_EEEEENSH_IJSG_SG_SG_EEES9_SI_JZNS1_25segmented_radix_sort_implINS0_14default_configELb1EPKfPfPKlPlN2at6native12_GLOBAL__N_18offset_tEEE10hipError_tPvRmT1_PNSt15iterator_traitsIS12_E10value_typeET2_T3_PNS13_IS18_E10value_typeET4_jRbjT5_S1E_jjP12ihipStream_tbEUljE_ZNSN_ISO_Lb1ESQ_SR_ST_SU_SY_EESZ_S10_S11_S12_S16_S17_S18_S1B_S1C_jS1D_jS1E_S1E_jjS1G_bEUljE0_EEESZ_S10_S11_S18_S1C_S1E_T6_T7_T9_mT8_S1G_bDpT10_ENKUlT_T0_E_clISt17integral_constantIbLb1EES1T_IbLb0EEEEDaS1P_S1Q_EUlS1P_E_NS1_11comp_targetILNS1_3genE9ELNS1_11target_archE1100ELNS1_3gpuE3ELNS1_3repE0EEENS1_30default_config_static_selectorELNS0_4arch9wavefront6targetE0EEEvS12_.has_indirect_call, 0
	.section	.AMDGPU.csdata,"",@progbits
; Kernel info:
; codeLenInByte = 0
; TotalNumSgprs: 0
; NumVgprs: 0
; ScratchSize: 0
; MemoryBound: 0
; FloatMode: 240
; IeeeMode: 1
; LDSByteSize: 0 bytes/workgroup (compile time only)
; SGPRBlocks: 0
; VGPRBlocks: 0
; NumSGPRsForWavesPerEU: 1
; NumVGPRsForWavesPerEU: 1
; Occupancy: 16
; WaveLimiterHint : 0
; COMPUTE_PGM_RSRC2:SCRATCH_EN: 0
; COMPUTE_PGM_RSRC2:USER_SGPR: 2
; COMPUTE_PGM_RSRC2:TRAP_HANDLER: 0
; COMPUTE_PGM_RSRC2:TGID_X_EN: 1
; COMPUTE_PGM_RSRC2:TGID_Y_EN: 0
; COMPUTE_PGM_RSRC2:TGID_Z_EN: 0
; COMPUTE_PGM_RSRC2:TIDIG_COMP_CNT: 0
	.section	.text._ZN7rocprim17ROCPRIM_400000_NS6detail17trampoline_kernelINS0_13select_configILj256ELj13ELNS0_17block_load_methodE3ELS4_3ELS4_3ELNS0_20block_scan_algorithmE0ELj4294967295EEENS1_25partition_config_selectorILNS1_17partition_subalgoE4EjNS0_10empty_typeEbEEZZNS1_14partition_implILS8_4ELb0ES6_15HIP_vector_typeIjLj2EENS0_17counting_iteratorIjlEEPS9_SG_NS0_5tupleIJPjSI_NS0_16reverse_iteratorISI_EEEEENSH_IJSG_SG_SG_EEES9_SI_JZNS1_25segmented_radix_sort_implINS0_14default_configELb1EPKfPfPKlPlN2at6native12_GLOBAL__N_18offset_tEEE10hipError_tPvRmT1_PNSt15iterator_traitsIS12_E10value_typeET2_T3_PNS13_IS18_E10value_typeET4_jRbjT5_S1E_jjP12ihipStream_tbEUljE_ZNSN_ISO_Lb1ESQ_SR_ST_SU_SY_EESZ_S10_S11_S12_S16_S17_S18_S1B_S1C_jS1D_jS1E_S1E_jjS1G_bEUljE0_EEESZ_S10_S11_S18_S1C_S1E_T6_T7_T9_mT8_S1G_bDpT10_ENKUlT_T0_E_clISt17integral_constantIbLb1EES1T_IbLb0EEEEDaS1P_S1Q_EUlS1P_E_NS1_11comp_targetILNS1_3genE8ELNS1_11target_archE1030ELNS1_3gpuE2ELNS1_3repE0EEENS1_30default_config_static_selectorELNS0_4arch9wavefront6targetE0EEEvS12_,"axG",@progbits,_ZN7rocprim17ROCPRIM_400000_NS6detail17trampoline_kernelINS0_13select_configILj256ELj13ELNS0_17block_load_methodE3ELS4_3ELS4_3ELNS0_20block_scan_algorithmE0ELj4294967295EEENS1_25partition_config_selectorILNS1_17partition_subalgoE4EjNS0_10empty_typeEbEEZZNS1_14partition_implILS8_4ELb0ES6_15HIP_vector_typeIjLj2EENS0_17counting_iteratorIjlEEPS9_SG_NS0_5tupleIJPjSI_NS0_16reverse_iteratorISI_EEEEENSH_IJSG_SG_SG_EEES9_SI_JZNS1_25segmented_radix_sort_implINS0_14default_configELb1EPKfPfPKlPlN2at6native12_GLOBAL__N_18offset_tEEE10hipError_tPvRmT1_PNSt15iterator_traitsIS12_E10value_typeET2_T3_PNS13_IS18_E10value_typeET4_jRbjT5_S1E_jjP12ihipStream_tbEUljE_ZNSN_ISO_Lb1ESQ_SR_ST_SU_SY_EESZ_S10_S11_S12_S16_S17_S18_S1B_S1C_jS1D_jS1E_S1E_jjS1G_bEUljE0_EEESZ_S10_S11_S18_S1C_S1E_T6_T7_T9_mT8_S1G_bDpT10_ENKUlT_T0_E_clISt17integral_constantIbLb1EES1T_IbLb0EEEEDaS1P_S1Q_EUlS1P_E_NS1_11comp_targetILNS1_3genE8ELNS1_11target_archE1030ELNS1_3gpuE2ELNS1_3repE0EEENS1_30default_config_static_selectorELNS0_4arch9wavefront6targetE0EEEvS12_,comdat
	.globl	_ZN7rocprim17ROCPRIM_400000_NS6detail17trampoline_kernelINS0_13select_configILj256ELj13ELNS0_17block_load_methodE3ELS4_3ELS4_3ELNS0_20block_scan_algorithmE0ELj4294967295EEENS1_25partition_config_selectorILNS1_17partition_subalgoE4EjNS0_10empty_typeEbEEZZNS1_14partition_implILS8_4ELb0ES6_15HIP_vector_typeIjLj2EENS0_17counting_iteratorIjlEEPS9_SG_NS0_5tupleIJPjSI_NS0_16reverse_iteratorISI_EEEEENSH_IJSG_SG_SG_EEES9_SI_JZNS1_25segmented_radix_sort_implINS0_14default_configELb1EPKfPfPKlPlN2at6native12_GLOBAL__N_18offset_tEEE10hipError_tPvRmT1_PNSt15iterator_traitsIS12_E10value_typeET2_T3_PNS13_IS18_E10value_typeET4_jRbjT5_S1E_jjP12ihipStream_tbEUljE_ZNSN_ISO_Lb1ESQ_SR_ST_SU_SY_EESZ_S10_S11_S12_S16_S17_S18_S1B_S1C_jS1D_jS1E_S1E_jjS1G_bEUljE0_EEESZ_S10_S11_S18_S1C_S1E_T6_T7_T9_mT8_S1G_bDpT10_ENKUlT_T0_E_clISt17integral_constantIbLb1EES1T_IbLb0EEEEDaS1P_S1Q_EUlS1P_E_NS1_11comp_targetILNS1_3genE8ELNS1_11target_archE1030ELNS1_3gpuE2ELNS1_3repE0EEENS1_30default_config_static_selectorELNS0_4arch9wavefront6targetE0EEEvS12_ ; -- Begin function _ZN7rocprim17ROCPRIM_400000_NS6detail17trampoline_kernelINS0_13select_configILj256ELj13ELNS0_17block_load_methodE3ELS4_3ELS4_3ELNS0_20block_scan_algorithmE0ELj4294967295EEENS1_25partition_config_selectorILNS1_17partition_subalgoE4EjNS0_10empty_typeEbEEZZNS1_14partition_implILS8_4ELb0ES6_15HIP_vector_typeIjLj2EENS0_17counting_iteratorIjlEEPS9_SG_NS0_5tupleIJPjSI_NS0_16reverse_iteratorISI_EEEEENSH_IJSG_SG_SG_EEES9_SI_JZNS1_25segmented_radix_sort_implINS0_14default_configELb1EPKfPfPKlPlN2at6native12_GLOBAL__N_18offset_tEEE10hipError_tPvRmT1_PNSt15iterator_traitsIS12_E10value_typeET2_T3_PNS13_IS18_E10value_typeET4_jRbjT5_S1E_jjP12ihipStream_tbEUljE_ZNSN_ISO_Lb1ESQ_SR_ST_SU_SY_EESZ_S10_S11_S12_S16_S17_S18_S1B_S1C_jS1D_jS1E_S1E_jjS1G_bEUljE0_EEESZ_S10_S11_S18_S1C_S1E_T6_T7_T9_mT8_S1G_bDpT10_ENKUlT_T0_E_clISt17integral_constantIbLb1EES1T_IbLb0EEEEDaS1P_S1Q_EUlS1P_E_NS1_11comp_targetILNS1_3genE8ELNS1_11target_archE1030ELNS1_3gpuE2ELNS1_3repE0EEENS1_30default_config_static_selectorELNS0_4arch9wavefront6targetE0EEEvS12_
	.p2align	8
	.type	_ZN7rocprim17ROCPRIM_400000_NS6detail17trampoline_kernelINS0_13select_configILj256ELj13ELNS0_17block_load_methodE3ELS4_3ELS4_3ELNS0_20block_scan_algorithmE0ELj4294967295EEENS1_25partition_config_selectorILNS1_17partition_subalgoE4EjNS0_10empty_typeEbEEZZNS1_14partition_implILS8_4ELb0ES6_15HIP_vector_typeIjLj2EENS0_17counting_iteratorIjlEEPS9_SG_NS0_5tupleIJPjSI_NS0_16reverse_iteratorISI_EEEEENSH_IJSG_SG_SG_EEES9_SI_JZNS1_25segmented_radix_sort_implINS0_14default_configELb1EPKfPfPKlPlN2at6native12_GLOBAL__N_18offset_tEEE10hipError_tPvRmT1_PNSt15iterator_traitsIS12_E10value_typeET2_T3_PNS13_IS18_E10value_typeET4_jRbjT5_S1E_jjP12ihipStream_tbEUljE_ZNSN_ISO_Lb1ESQ_SR_ST_SU_SY_EESZ_S10_S11_S12_S16_S17_S18_S1B_S1C_jS1D_jS1E_S1E_jjS1G_bEUljE0_EEESZ_S10_S11_S18_S1C_S1E_T6_T7_T9_mT8_S1G_bDpT10_ENKUlT_T0_E_clISt17integral_constantIbLb1EES1T_IbLb0EEEEDaS1P_S1Q_EUlS1P_E_NS1_11comp_targetILNS1_3genE8ELNS1_11target_archE1030ELNS1_3gpuE2ELNS1_3repE0EEENS1_30default_config_static_selectorELNS0_4arch9wavefront6targetE0EEEvS12_,@function
_ZN7rocprim17ROCPRIM_400000_NS6detail17trampoline_kernelINS0_13select_configILj256ELj13ELNS0_17block_load_methodE3ELS4_3ELS4_3ELNS0_20block_scan_algorithmE0ELj4294967295EEENS1_25partition_config_selectorILNS1_17partition_subalgoE4EjNS0_10empty_typeEbEEZZNS1_14partition_implILS8_4ELb0ES6_15HIP_vector_typeIjLj2EENS0_17counting_iteratorIjlEEPS9_SG_NS0_5tupleIJPjSI_NS0_16reverse_iteratorISI_EEEEENSH_IJSG_SG_SG_EEES9_SI_JZNS1_25segmented_radix_sort_implINS0_14default_configELb1EPKfPfPKlPlN2at6native12_GLOBAL__N_18offset_tEEE10hipError_tPvRmT1_PNSt15iterator_traitsIS12_E10value_typeET2_T3_PNS13_IS18_E10value_typeET4_jRbjT5_S1E_jjP12ihipStream_tbEUljE_ZNSN_ISO_Lb1ESQ_SR_ST_SU_SY_EESZ_S10_S11_S12_S16_S17_S18_S1B_S1C_jS1D_jS1E_S1E_jjS1G_bEUljE0_EEESZ_S10_S11_S18_S1C_S1E_T6_T7_T9_mT8_S1G_bDpT10_ENKUlT_T0_E_clISt17integral_constantIbLb1EES1T_IbLb0EEEEDaS1P_S1Q_EUlS1P_E_NS1_11comp_targetILNS1_3genE8ELNS1_11target_archE1030ELNS1_3gpuE2ELNS1_3repE0EEENS1_30default_config_static_selectorELNS0_4arch9wavefront6targetE0EEEvS12_: ; @_ZN7rocprim17ROCPRIM_400000_NS6detail17trampoline_kernelINS0_13select_configILj256ELj13ELNS0_17block_load_methodE3ELS4_3ELS4_3ELNS0_20block_scan_algorithmE0ELj4294967295EEENS1_25partition_config_selectorILNS1_17partition_subalgoE4EjNS0_10empty_typeEbEEZZNS1_14partition_implILS8_4ELb0ES6_15HIP_vector_typeIjLj2EENS0_17counting_iteratorIjlEEPS9_SG_NS0_5tupleIJPjSI_NS0_16reverse_iteratorISI_EEEEENSH_IJSG_SG_SG_EEES9_SI_JZNS1_25segmented_radix_sort_implINS0_14default_configELb1EPKfPfPKlPlN2at6native12_GLOBAL__N_18offset_tEEE10hipError_tPvRmT1_PNSt15iterator_traitsIS12_E10value_typeET2_T3_PNS13_IS18_E10value_typeET4_jRbjT5_S1E_jjP12ihipStream_tbEUljE_ZNSN_ISO_Lb1ESQ_SR_ST_SU_SY_EESZ_S10_S11_S12_S16_S17_S18_S1B_S1C_jS1D_jS1E_S1E_jjS1G_bEUljE0_EEESZ_S10_S11_S18_S1C_S1E_T6_T7_T9_mT8_S1G_bDpT10_ENKUlT_T0_E_clISt17integral_constantIbLb1EES1T_IbLb0EEEEDaS1P_S1Q_EUlS1P_E_NS1_11comp_targetILNS1_3genE8ELNS1_11target_archE1030ELNS1_3gpuE2ELNS1_3repE0EEENS1_30default_config_static_selectorELNS0_4arch9wavefront6targetE0EEEvS12_
; %bb.0:
	.section	.rodata,"a",@progbits
	.p2align	6, 0x0
	.amdhsa_kernel _ZN7rocprim17ROCPRIM_400000_NS6detail17trampoline_kernelINS0_13select_configILj256ELj13ELNS0_17block_load_methodE3ELS4_3ELS4_3ELNS0_20block_scan_algorithmE0ELj4294967295EEENS1_25partition_config_selectorILNS1_17partition_subalgoE4EjNS0_10empty_typeEbEEZZNS1_14partition_implILS8_4ELb0ES6_15HIP_vector_typeIjLj2EENS0_17counting_iteratorIjlEEPS9_SG_NS0_5tupleIJPjSI_NS0_16reverse_iteratorISI_EEEEENSH_IJSG_SG_SG_EEES9_SI_JZNS1_25segmented_radix_sort_implINS0_14default_configELb1EPKfPfPKlPlN2at6native12_GLOBAL__N_18offset_tEEE10hipError_tPvRmT1_PNSt15iterator_traitsIS12_E10value_typeET2_T3_PNS13_IS18_E10value_typeET4_jRbjT5_S1E_jjP12ihipStream_tbEUljE_ZNSN_ISO_Lb1ESQ_SR_ST_SU_SY_EESZ_S10_S11_S12_S16_S17_S18_S1B_S1C_jS1D_jS1E_S1E_jjS1G_bEUljE0_EEESZ_S10_S11_S18_S1C_S1E_T6_T7_T9_mT8_S1G_bDpT10_ENKUlT_T0_E_clISt17integral_constantIbLb1EES1T_IbLb0EEEEDaS1P_S1Q_EUlS1P_E_NS1_11comp_targetILNS1_3genE8ELNS1_11target_archE1030ELNS1_3gpuE2ELNS1_3repE0EEENS1_30default_config_static_selectorELNS0_4arch9wavefront6targetE0EEEvS12_
		.amdhsa_group_segment_fixed_size 0
		.amdhsa_private_segment_fixed_size 0
		.amdhsa_kernarg_size 176
		.amdhsa_user_sgpr_count 2
		.amdhsa_user_sgpr_dispatch_ptr 0
		.amdhsa_user_sgpr_queue_ptr 0
		.amdhsa_user_sgpr_kernarg_segment_ptr 1
		.amdhsa_user_sgpr_dispatch_id 0
		.amdhsa_user_sgpr_private_segment_size 0
		.amdhsa_wavefront_size32 1
		.amdhsa_uses_dynamic_stack 0
		.amdhsa_enable_private_segment 0
		.amdhsa_system_sgpr_workgroup_id_x 1
		.amdhsa_system_sgpr_workgroup_id_y 0
		.amdhsa_system_sgpr_workgroup_id_z 0
		.amdhsa_system_sgpr_workgroup_info 0
		.amdhsa_system_vgpr_workitem_id 0
		.amdhsa_next_free_vgpr 1
		.amdhsa_next_free_sgpr 1
		.amdhsa_reserve_vcc 0
		.amdhsa_float_round_mode_32 0
		.amdhsa_float_round_mode_16_64 0
		.amdhsa_float_denorm_mode_32 3
		.amdhsa_float_denorm_mode_16_64 3
		.amdhsa_fp16_overflow 0
		.amdhsa_workgroup_processor_mode 1
		.amdhsa_memory_ordered 1
		.amdhsa_forward_progress 1
		.amdhsa_inst_pref_size 0
		.amdhsa_round_robin_scheduling 0
		.amdhsa_exception_fp_ieee_invalid_op 0
		.amdhsa_exception_fp_denorm_src 0
		.amdhsa_exception_fp_ieee_div_zero 0
		.amdhsa_exception_fp_ieee_overflow 0
		.amdhsa_exception_fp_ieee_underflow 0
		.amdhsa_exception_fp_ieee_inexact 0
		.amdhsa_exception_int_div_zero 0
	.end_amdhsa_kernel
	.section	.text._ZN7rocprim17ROCPRIM_400000_NS6detail17trampoline_kernelINS0_13select_configILj256ELj13ELNS0_17block_load_methodE3ELS4_3ELS4_3ELNS0_20block_scan_algorithmE0ELj4294967295EEENS1_25partition_config_selectorILNS1_17partition_subalgoE4EjNS0_10empty_typeEbEEZZNS1_14partition_implILS8_4ELb0ES6_15HIP_vector_typeIjLj2EENS0_17counting_iteratorIjlEEPS9_SG_NS0_5tupleIJPjSI_NS0_16reverse_iteratorISI_EEEEENSH_IJSG_SG_SG_EEES9_SI_JZNS1_25segmented_radix_sort_implINS0_14default_configELb1EPKfPfPKlPlN2at6native12_GLOBAL__N_18offset_tEEE10hipError_tPvRmT1_PNSt15iterator_traitsIS12_E10value_typeET2_T3_PNS13_IS18_E10value_typeET4_jRbjT5_S1E_jjP12ihipStream_tbEUljE_ZNSN_ISO_Lb1ESQ_SR_ST_SU_SY_EESZ_S10_S11_S12_S16_S17_S18_S1B_S1C_jS1D_jS1E_S1E_jjS1G_bEUljE0_EEESZ_S10_S11_S18_S1C_S1E_T6_T7_T9_mT8_S1G_bDpT10_ENKUlT_T0_E_clISt17integral_constantIbLb1EES1T_IbLb0EEEEDaS1P_S1Q_EUlS1P_E_NS1_11comp_targetILNS1_3genE8ELNS1_11target_archE1030ELNS1_3gpuE2ELNS1_3repE0EEENS1_30default_config_static_selectorELNS0_4arch9wavefront6targetE0EEEvS12_,"axG",@progbits,_ZN7rocprim17ROCPRIM_400000_NS6detail17trampoline_kernelINS0_13select_configILj256ELj13ELNS0_17block_load_methodE3ELS4_3ELS4_3ELNS0_20block_scan_algorithmE0ELj4294967295EEENS1_25partition_config_selectorILNS1_17partition_subalgoE4EjNS0_10empty_typeEbEEZZNS1_14partition_implILS8_4ELb0ES6_15HIP_vector_typeIjLj2EENS0_17counting_iteratorIjlEEPS9_SG_NS0_5tupleIJPjSI_NS0_16reverse_iteratorISI_EEEEENSH_IJSG_SG_SG_EEES9_SI_JZNS1_25segmented_radix_sort_implINS0_14default_configELb1EPKfPfPKlPlN2at6native12_GLOBAL__N_18offset_tEEE10hipError_tPvRmT1_PNSt15iterator_traitsIS12_E10value_typeET2_T3_PNS13_IS18_E10value_typeET4_jRbjT5_S1E_jjP12ihipStream_tbEUljE_ZNSN_ISO_Lb1ESQ_SR_ST_SU_SY_EESZ_S10_S11_S12_S16_S17_S18_S1B_S1C_jS1D_jS1E_S1E_jjS1G_bEUljE0_EEESZ_S10_S11_S18_S1C_S1E_T6_T7_T9_mT8_S1G_bDpT10_ENKUlT_T0_E_clISt17integral_constantIbLb1EES1T_IbLb0EEEEDaS1P_S1Q_EUlS1P_E_NS1_11comp_targetILNS1_3genE8ELNS1_11target_archE1030ELNS1_3gpuE2ELNS1_3repE0EEENS1_30default_config_static_selectorELNS0_4arch9wavefront6targetE0EEEvS12_,comdat
.Lfunc_end1284:
	.size	_ZN7rocprim17ROCPRIM_400000_NS6detail17trampoline_kernelINS0_13select_configILj256ELj13ELNS0_17block_load_methodE3ELS4_3ELS4_3ELNS0_20block_scan_algorithmE0ELj4294967295EEENS1_25partition_config_selectorILNS1_17partition_subalgoE4EjNS0_10empty_typeEbEEZZNS1_14partition_implILS8_4ELb0ES6_15HIP_vector_typeIjLj2EENS0_17counting_iteratorIjlEEPS9_SG_NS0_5tupleIJPjSI_NS0_16reverse_iteratorISI_EEEEENSH_IJSG_SG_SG_EEES9_SI_JZNS1_25segmented_radix_sort_implINS0_14default_configELb1EPKfPfPKlPlN2at6native12_GLOBAL__N_18offset_tEEE10hipError_tPvRmT1_PNSt15iterator_traitsIS12_E10value_typeET2_T3_PNS13_IS18_E10value_typeET4_jRbjT5_S1E_jjP12ihipStream_tbEUljE_ZNSN_ISO_Lb1ESQ_SR_ST_SU_SY_EESZ_S10_S11_S12_S16_S17_S18_S1B_S1C_jS1D_jS1E_S1E_jjS1G_bEUljE0_EEESZ_S10_S11_S18_S1C_S1E_T6_T7_T9_mT8_S1G_bDpT10_ENKUlT_T0_E_clISt17integral_constantIbLb1EES1T_IbLb0EEEEDaS1P_S1Q_EUlS1P_E_NS1_11comp_targetILNS1_3genE8ELNS1_11target_archE1030ELNS1_3gpuE2ELNS1_3repE0EEENS1_30default_config_static_selectorELNS0_4arch9wavefront6targetE0EEEvS12_, .Lfunc_end1284-_ZN7rocprim17ROCPRIM_400000_NS6detail17trampoline_kernelINS0_13select_configILj256ELj13ELNS0_17block_load_methodE3ELS4_3ELS4_3ELNS0_20block_scan_algorithmE0ELj4294967295EEENS1_25partition_config_selectorILNS1_17partition_subalgoE4EjNS0_10empty_typeEbEEZZNS1_14partition_implILS8_4ELb0ES6_15HIP_vector_typeIjLj2EENS0_17counting_iteratorIjlEEPS9_SG_NS0_5tupleIJPjSI_NS0_16reverse_iteratorISI_EEEEENSH_IJSG_SG_SG_EEES9_SI_JZNS1_25segmented_radix_sort_implINS0_14default_configELb1EPKfPfPKlPlN2at6native12_GLOBAL__N_18offset_tEEE10hipError_tPvRmT1_PNSt15iterator_traitsIS12_E10value_typeET2_T3_PNS13_IS18_E10value_typeET4_jRbjT5_S1E_jjP12ihipStream_tbEUljE_ZNSN_ISO_Lb1ESQ_SR_ST_SU_SY_EESZ_S10_S11_S12_S16_S17_S18_S1B_S1C_jS1D_jS1E_S1E_jjS1G_bEUljE0_EEESZ_S10_S11_S18_S1C_S1E_T6_T7_T9_mT8_S1G_bDpT10_ENKUlT_T0_E_clISt17integral_constantIbLb1EES1T_IbLb0EEEEDaS1P_S1Q_EUlS1P_E_NS1_11comp_targetILNS1_3genE8ELNS1_11target_archE1030ELNS1_3gpuE2ELNS1_3repE0EEENS1_30default_config_static_selectorELNS0_4arch9wavefront6targetE0EEEvS12_
                                        ; -- End function
	.set _ZN7rocprim17ROCPRIM_400000_NS6detail17trampoline_kernelINS0_13select_configILj256ELj13ELNS0_17block_load_methodE3ELS4_3ELS4_3ELNS0_20block_scan_algorithmE0ELj4294967295EEENS1_25partition_config_selectorILNS1_17partition_subalgoE4EjNS0_10empty_typeEbEEZZNS1_14partition_implILS8_4ELb0ES6_15HIP_vector_typeIjLj2EENS0_17counting_iteratorIjlEEPS9_SG_NS0_5tupleIJPjSI_NS0_16reverse_iteratorISI_EEEEENSH_IJSG_SG_SG_EEES9_SI_JZNS1_25segmented_radix_sort_implINS0_14default_configELb1EPKfPfPKlPlN2at6native12_GLOBAL__N_18offset_tEEE10hipError_tPvRmT1_PNSt15iterator_traitsIS12_E10value_typeET2_T3_PNS13_IS18_E10value_typeET4_jRbjT5_S1E_jjP12ihipStream_tbEUljE_ZNSN_ISO_Lb1ESQ_SR_ST_SU_SY_EESZ_S10_S11_S12_S16_S17_S18_S1B_S1C_jS1D_jS1E_S1E_jjS1G_bEUljE0_EEESZ_S10_S11_S18_S1C_S1E_T6_T7_T9_mT8_S1G_bDpT10_ENKUlT_T0_E_clISt17integral_constantIbLb1EES1T_IbLb0EEEEDaS1P_S1Q_EUlS1P_E_NS1_11comp_targetILNS1_3genE8ELNS1_11target_archE1030ELNS1_3gpuE2ELNS1_3repE0EEENS1_30default_config_static_selectorELNS0_4arch9wavefront6targetE0EEEvS12_.num_vgpr, 0
	.set _ZN7rocprim17ROCPRIM_400000_NS6detail17trampoline_kernelINS0_13select_configILj256ELj13ELNS0_17block_load_methodE3ELS4_3ELS4_3ELNS0_20block_scan_algorithmE0ELj4294967295EEENS1_25partition_config_selectorILNS1_17partition_subalgoE4EjNS0_10empty_typeEbEEZZNS1_14partition_implILS8_4ELb0ES6_15HIP_vector_typeIjLj2EENS0_17counting_iteratorIjlEEPS9_SG_NS0_5tupleIJPjSI_NS0_16reverse_iteratorISI_EEEEENSH_IJSG_SG_SG_EEES9_SI_JZNS1_25segmented_radix_sort_implINS0_14default_configELb1EPKfPfPKlPlN2at6native12_GLOBAL__N_18offset_tEEE10hipError_tPvRmT1_PNSt15iterator_traitsIS12_E10value_typeET2_T3_PNS13_IS18_E10value_typeET4_jRbjT5_S1E_jjP12ihipStream_tbEUljE_ZNSN_ISO_Lb1ESQ_SR_ST_SU_SY_EESZ_S10_S11_S12_S16_S17_S18_S1B_S1C_jS1D_jS1E_S1E_jjS1G_bEUljE0_EEESZ_S10_S11_S18_S1C_S1E_T6_T7_T9_mT8_S1G_bDpT10_ENKUlT_T0_E_clISt17integral_constantIbLb1EES1T_IbLb0EEEEDaS1P_S1Q_EUlS1P_E_NS1_11comp_targetILNS1_3genE8ELNS1_11target_archE1030ELNS1_3gpuE2ELNS1_3repE0EEENS1_30default_config_static_selectorELNS0_4arch9wavefront6targetE0EEEvS12_.num_agpr, 0
	.set _ZN7rocprim17ROCPRIM_400000_NS6detail17trampoline_kernelINS0_13select_configILj256ELj13ELNS0_17block_load_methodE3ELS4_3ELS4_3ELNS0_20block_scan_algorithmE0ELj4294967295EEENS1_25partition_config_selectorILNS1_17partition_subalgoE4EjNS0_10empty_typeEbEEZZNS1_14partition_implILS8_4ELb0ES6_15HIP_vector_typeIjLj2EENS0_17counting_iteratorIjlEEPS9_SG_NS0_5tupleIJPjSI_NS0_16reverse_iteratorISI_EEEEENSH_IJSG_SG_SG_EEES9_SI_JZNS1_25segmented_radix_sort_implINS0_14default_configELb1EPKfPfPKlPlN2at6native12_GLOBAL__N_18offset_tEEE10hipError_tPvRmT1_PNSt15iterator_traitsIS12_E10value_typeET2_T3_PNS13_IS18_E10value_typeET4_jRbjT5_S1E_jjP12ihipStream_tbEUljE_ZNSN_ISO_Lb1ESQ_SR_ST_SU_SY_EESZ_S10_S11_S12_S16_S17_S18_S1B_S1C_jS1D_jS1E_S1E_jjS1G_bEUljE0_EEESZ_S10_S11_S18_S1C_S1E_T6_T7_T9_mT8_S1G_bDpT10_ENKUlT_T0_E_clISt17integral_constantIbLb1EES1T_IbLb0EEEEDaS1P_S1Q_EUlS1P_E_NS1_11comp_targetILNS1_3genE8ELNS1_11target_archE1030ELNS1_3gpuE2ELNS1_3repE0EEENS1_30default_config_static_selectorELNS0_4arch9wavefront6targetE0EEEvS12_.numbered_sgpr, 0
	.set _ZN7rocprim17ROCPRIM_400000_NS6detail17trampoline_kernelINS0_13select_configILj256ELj13ELNS0_17block_load_methodE3ELS4_3ELS4_3ELNS0_20block_scan_algorithmE0ELj4294967295EEENS1_25partition_config_selectorILNS1_17partition_subalgoE4EjNS0_10empty_typeEbEEZZNS1_14partition_implILS8_4ELb0ES6_15HIP_vector_typeIjLj2EENS0_17counting_iteratorIjlEEPS9_SG_NS0_5tupleIJPjSI_NS0_16reverse_iteratorISI_EEEEENSH_IJSG_SG_SG_EEES9_SI_JZNS1_25segmented_radix_sort_implINS0_14default_configELb1EPKfPfPKlPlN2at6native12_GLOBAL__N_18offset_tEEE10hipError_tPvRmT1_PNSt15iterator_traitsIS12_E10value_typeET2_T3_PNS13_IS18_E10value_typeET4_jRbjT5_S1E_jjP12ihipStream_tbEUljE_ZNSN_ISO_Lb1ESQ_SR_ST_SU_SY_EESZ_S10_S11_S12_S16_S17_S18_S1B_S1C_jS1D_jS1E_S1E_jjS1G_bEUljE0_EEESZ_S10_S11_S18_S1C_S1E_T6_T7_T9_mT8_S1G_bDpT10_ENKUlT_T0_E_clISt17integral_constantIbLb1EES1T_IbLb0EEEEDaS1P_S1Q_EUlS1P_E_NS1_11comp_targetILNS1_3genE8ELNS1_11target_archE1030ELNS1_3gpuE2ELNS1_3repE0EEENS1_30default_config_static_selectorELNS0_4arch9wavefront6targetE0EEEvS12_.num_named_barrier, 0
	.set _ZN7rocprim17ROCPRIM_400000_NS6detail17trampoline_kernelINS0_13select_configILj256ELj13ELNS0_17block_load_methodE3ELS4_3ELS4_3ELNS0_20block_scan_algorithmE0ELj4294967295EEENS1_25partition_config_selectorILNS1_17partition_subalgoE4EjNS0_10empty_typeEbEEZZNS1_14partition_implILS8_4ELb0ES6_15HIP_vector_typeIjLj2EENS0_17counting_iteratorIjlEEPS9_SG_NS0_5tupleIJPjSI_NS0_16reverse_iteratorISI_EEEEENSH_IJSG_SG_SG_EEES9_SI_JZNS1_25segmented_radix_sort_implINS0_14default_configELb1EPKfPfPKlPlN2at6native12_GLOBAL__N_18offset_tEEE10hipError_tPvRmT1_PNSt15iterator_traitsIS12_E10value_typeET2_T3_PNS13_IS18_E10value_typeET4_jRbjT5_S1E_jjP12ihipStream_tbEUljE_ZNSN_ISO_Lb1ESQ_SR_ST_SU_SY_EESZ_S10_S11_S12_S16_S17_S18_S1B_S1C_jS1D_jS1E_S1E_jjS1G_bEUljE0_EEESZ_S10_S11_S18_S1C_S1E_T6_T7_T9_mT8_S1G_bDpT10_ENKUlT_T0_E_clISt17integral_constantIbLb1EES1T_IbLb0EEEEDaS1P_S1Q_EUlS1P_E_NS1_11comp_targetILNS1_3genE8ELNS1_11target_archE1030ELNS1_3gpuE2ELNS1_3repE0EEENS1_30default_config_static_selectorELNS0_4arch9wavefront6targetE0EEEvS12_.private_seg_size, 0
	.set _ZN7rocprim17ROCPRIM_400000_NS6detail17trampoline_kernelINS0_13select_configILj256ELj13ELNS0_17block_load_methodE3ELS4_3ELS4_3ELNS0_20block_scan_algorithmE0ELj4294967295EEENS1_25partition_config_selectorILNS1_17partition_subalgoE4EjNS0_10empty_typeEbEEZZNS1_14partition_implILS8_4ELb0ES6_15HIP_vector_typeIjLj2EENS0_17counting_iteratorIjlEEPS9_SG_NS0_5tupleIJPjSI_NS0_16reverse_iteratorISI_EEEEENSH_IJSG_SG_SG_EEES9_SI_JZNS1_25segmented_radix_sort_implINS0_14default_configELb1EPKfPfPKlPlN2at6native12_GLOBAL__N_18offset_tEEE10hipError_tPvRmT1_PNSt15iterator_traitsIS12_E10value_typeET2_T3_PNS13_IS18_E10value_typeET4_jRbjT5_S1E_jjP12ihipStream_tbEUljE_ZNSN_ISO_Lb1ESQ_SR_ST_SU_SY_EESZ_S10_S11_S12_S16_S17_S18_S1B_S1C_jS1D_jS1E_S1E_jjS1G_bEUljE0_EEESZ_S10_S11_S18_S1C_S1E_T6_T7_T9_mT8_S1G_bDpT10_ENKUlT_T0_E_clISt17integral_constantIbLb1EES1T_IbLb0EEEEDaS1P_S1Q_EUlS1P_E_NS1_11comp_targetILNS1_3genE8ELNS1_11target_archE1030ELNS1_3gpuE2ELNS1_3repE0EEENS1_30default_config_static_selectorELNS0_4arch9wavefront6targetE0EEEvS12_.uses_vcc, 0
	.set _ZN7rocprim17ROCPRIM_400000_NS6detail17trampoline_kernelINS0_13select_configILj256ELj13ELNS0_17block_load_methodE3ELS4_3ELS4_3ELNS0_20block_scan_algorithmE0ELj4294967295EEENS1_25partition_config_selectorILNS1_17partition_subalgoE4EjNS0_10empty_typeEbEEZZNS1_14partition_implILS8_4ELb0ES6_15HIP_vector_typeIjLj2EENS0_17counting_iteratorIjlEEPS9_SG_NS0_5tupleIJPjSI_NS0_16reverse_iteratorISI_EEEEENSH_IJSG_SG_SG_EEES9_SI_JZNS1_25segmented_radix_sort_implINS0_14default_configELb1EPKfPfPKlPlN2at6native12_GLOBAL__N_18offset_tEEE10hipError_tPvRmT1_PNSt15iterator_traitsIS12_E10value_typeET2_T3_PNS13_IS18_E10value_typeET4_jRbjT5_S1E_jjP12ihipStream_tbEUljE_ZNSN_ISO_Lb1ESQ_SR_ST_SU_SY_EESZ_S10_S11_S12_S16_S17_S18_S1B_S1C_jS1D_jS1E_S1E_jjS1G_bEUljE0_EEESZ_S10_S11_S18_S1C_S1E_T6_T7_T9_mT8_S1G_bDpT10_ENKUlT_T0_E_clISt17integral_constantIbLb1EES1T_IbLb0EEEEDaS1P_S1Q_EUlS1P_E_NS1_11comp_targetILNS1_3genE8ELNS1_11target_archE1030ELNS1_3gpuE2ELNS1_3repE0EEENS1_30default_config_static_selectorELNS0_4arch9wavefront6targetE0EEEvS12_.uses_flat_scratch, 0
	.set _ZN7rocprim17ROCPRIM_400000_NS6detail17trampoline_kernelINS0_13select_configILj256ELj13ELNS0_17block_load_methodE3ELS4_3ELS4_3ELNS0_20block_scan_algorithmE0ELj4294967295EEENS1_25partition_config_selectorILNS1_17partition_subalgoE4EjNS0_10empty_typeEbEEZZNS1_14partition_implILS8_4ELb0ES6_15HIP_vector_typeIjLj2EENS0_17counting_iteratorIjlEEPS9_SG_NS0_5tupleIJPjSI_NS0_16reverse_iteratorISI_EEEEENSH_IJSG_SG_SG_EEES9_SI_JZNS1_25segmented_radix_sort_implINS0_14default_configELb1EPKfPfPKlPlN2at6native12_GLOBAL__N_18offset_tEEE10hipError_tPvRmT1_PNSt15iterator_traitsIS12_E10value_typeET2_T3_PNS13_IS18_E10value_typeET4_jRbjT5_S1E_jjP12ihipStream_tbEUljE_ZNSN_ISO_Lb1ESQ_SR_ST_SU_SY_EESZ_S10_S11_S12_S16_S17_S18_S1B_S1C_jS1D_jS1E_S1E_jjS1G_bEUljE0_EEESZ_S10_S11_S18_S1C_S1E_T6_T7_T9_mT8_S1G_bDpT10_ENKUlT_T0_E_clISt17integral_constantIbLb1EES1T_IbLb0EEEEDaS1P_S1Q_EUlS1P_E_NS1_11comp_targetILNS1_3genE8ELNS1_11target_archE1030ELNS1_3gpuE2ELNS1_3repE0EEENS1_30default_config_static_selectorELNS0_4arch9wavefront6targetE0EEEvS12_.has_dyn_sized_stack, 0
	.set _ZN7rocprim17ROCPRIM_400000_NS6detail17trampoline_kernelINS0_13select_configILj256ELj13ELNS0_17block_load_methodE3ELS4_3ELS4_3ELNS0_20block_scan_algorithmE0ELj4294967295EEENS1_25partition_config_selectorILNS1_17partition_subalgoE4EjNS0_10empty_typeEbEEZZNS1_14partition_implILS8_4ELb0ES6_15HIP_vector_typeIjLj2EENS0_17counting_iteratorIjlEEPS9_SG_NS0_5tupleIJPjSI_NS0_16reverse_iteratorISI_EEEEENSH_IJSG_SG_SG_EEES9_SI_JZNS1_25segmented_radix_sort_implINS0_14default_configELb1EPKfPfPKlPlN2at6native12_GLOBAL__N_18offset_tEEE10hipError_tPvRmT1_PNSt15iterator_traitsIS12_E10value_typeET2_T3_PNS13_IS18_E10value_typeET4_jRbjT5_S1E_jjP12ihipStream_tbEUljE_ZNSN_ISO_Lb1ESQ_SR_ST_SU_SY_EESZ_S10_S11_S12_S16_S17_S18_S1B_S1C_jS1D_jS1E_S1E_jjS1G_bEUljE0_EEESZ_S10_S11_S18_S1C_S1E_T6_T7_T9_mT8_S1G_bDpT10_ENKUlT_T0_E_clISt17integral_constantIbLb1EES1T_IbLb0EEEEDaS1P_S1Q_EUlS1P_E_NS1_11comp_targetILNS1_3genE8ELNS1_11target_archE1030ELNS1_3gpuE2ELNS1_3repE0EEENS1_30default_config_static_selectorELNS0_4arch9wavefront6targetE0EEEvS12_.has_recursion, 0
	.set _ZN7rocprim17ROCPRIM_400000_NS6detail17trampoline_kernelINS0_13select_configILj256ELj13ELNS0_17block_load_methodE3ELS4_3ELS4_3ELNS0_20block_scan_algorithmE0ELj4294967295EEENS1_25partition_config_selectorILNS1_17partition_subalgoE4EjNS0_10empty_typeEbEEZZNS1_14partition_implILS8_4ELb0ES6_15HIP_vector_typeIjLj2EENS0_17counting_iteratorIjlEEPS9_SG_NS0_5tupleIJPjSI_NS0_16reverse_iteratorISI_EEEEENSH_IJSG_SG_SG_EEES9_SI_JZNS1_25segmented_radix_sort_implINS0_14default_configELb1EPKfPfPKlPlN2at6native12_GLOBAL__N_18offset_tEEE10hipError_tPvRmT1_PNSt15iterator_traitsIS12_E10value_typeET2_T3_PNS13_IS18_E10value_typeET4_jRbjT5_S1E_jjP12ihipStream_tbEUljE_ZNSN_ISO_Lb1ESQ_SR_ST_SU_SY_EESZ_S10_S11_S12_S16_S17_S18_S1B_S1C_jS1D_jS1E_S1E_jjS1G_bEUljE0_EEESZ_S10_S11_S18_S1C_S1E_T6_T7_T9_mT8_S1G_bDpT10_ENKUlT_T0_E_clISt17integral_constantIbLb1EES1T_IbLb0EEEEDaS1P_S1Q_EUlS1P_E_NS1_11comp_targetILNS1_3genE8ELNS1_11target_archE1030ELNS1_3gpuE2ELNS1_3repE0EEENS1_30default_config_static_selectorELNS0_4arch9wavefront6targetE0EEEvS12_.has_indirect_call, 0
	.section	.AMDGPU.csdata,"",@progbits
; Kernel info:
; codeLenInByte = 0
; TotalNumSgprs: 0
; NumVgprs: 0
; ScratchSize: 0
; MemoryBound: 0
; FloatMode: 240
; IeeeMode: 1
; LDSByteSize: 0 bytes/workgroup (compile time only)
; SGPRBlocks: 0
; VGPRBlocks: 0
; NumSGPRsForWavesPerEU: 1
; NumVGPRsForWavesPerEU: 1
; Occupancy: 16
; WaveLimiterHint : 0
; COMPUTE_PGM_RSRC2:SCRATCH_EN: 0
; COMPUTE_PGM_RSRC2:USER_SGPR: 2
; COMPUTE_PGM_RSRC2:TRAP_HANDLER: 0
; COMPUTE_PGM_RSRC2:TGID_X_EN: 1
; COMPUTE_PGM_RSRC2:TGID_Y_EN: 0
; COMPUTE_PGM_RSRC2:TGID_Z_EN: 0
; COMPUTE_PGM_RSRC2:TIDIG_COMP_CNT: 0
	.section	.text._ZN7rocprim17ROCPRIM_400000_NS6detail17trampoline_kernelINS0_13select_configILj256ELj13ELNS0_17block_load_methodE3ELS4_3ELS4_3ELNS0_20block_scan_algorithmE0ELj4294967295EEENS1_25partition_config_selectorILNS1_17partition_subalgoE4EjNS0_10empty_typeEbEEZZNS1_14partition_implILS8_4ELb0ES6_15HIP_vector_typeIjLj2EENS0_17counting_iteratorIjlEEPS9_SG_NS0_5tupleIJPjSI_NS0_16reverse_iteratorISI_EEEEENSH_IJSG_SG_SG_EEES9_SI_JZNS1_25segmented_radix_sort_implINS0_14default_configELb1EPKfPfPKlPlN2at6native12_GLOBAL__N_18offset_tEEE10hipError_tPvRmT1_PNSt15iterator_traitsIS12_E10value_typeET2_T3_PNS13_IS18_E10value_typeET4_jRbjT5_S1E_jjP12ihipStream_tbEUljE_ZNSN_ISO_Lb1ESQ_SR_ST_SU_SY_EESZ_S10_S11_S12_S16_S17_S18_S1B_S1C_jS1D_jS1E_S1E_jjS1G_bEUljE0_EEESZ_S10_S11_S18_S1C_S1E_T6_T7_T9_mT8_S1G_bDpT10_ENKUlT_T0_E_clISt17integral_constantIbLb0EES1T_IbLb1EEEEDaS1P_S1Q_EUlS1P_E_NS1_11comp_targetILNS1_3genE0ELNS1_11target_archE4294967295ELNS1_3gpuE0ELNS1_3repE0EEENS1_30default_config_static_selectorELNS0_4arch9wavefront6targetE0EEEvS12_,"axG",@progbits,_ZN7rocprim17ROCPRIM_400000_NS6detail17trampoline_kernelINS0_13select_configILj256ELj13ELNS0_17block_load_methodE3ELS4_3ELS4_3ELNS0_20block_scan_algorithmE0ELj4294967295EEENS1_25partition_config_selectorILNS1_17partition_subalgoE4EjNS0_10empty_typeEbEEZZNS1_14partition_implILS8_4ELb0ES6_15HIP_vector_typeIjLj2EENS0_17counting_iteratorIjlEEPS9_SG_NS0_5tupleIJPjSI_NS0_16reverse_iteratorISI_EEEEENSH_IJSG_SG_SG_EEES9_SI_JZNS1_25segmented_radix_sort_implINS0_14default_configELb1EPKfPfPKlPlN2at6native12_GLOBAL__N_18offset_tEEE10hipError_tPvRmT1_PNSt15iterator_traitsIS12_E10value_typeET2_T3_PNS13_IS18_E10value_typeET4_jRbjT5_S1E_jjP12ihipStream_tbEUljE_ZNSN_ISO_Lb1ESQ_SR_ST_SU_SY_EESZ_S10_S11_S12_S16_S17_S18_S1B_S1C_jS1D_jS1E_S1E_jjS1G_bEUljE0_EEESZ_S10_S11_S18_S1C_S1E_T6_T7_T9_mT8_S1G_bDpT10_ENKUlT_T0_E_clISt17integral_constantIbLb0EES1T_IbLb1EEEEDaS1P_S1Q_EUlS1P_E_NS1_11comp_targetILNS1_3genE0ELNS1_11target_archE4294967295ELNS1_3gpuE0ELNS1_3repE0EEENS1_30default_config_static_selectorELNS0_4arch9wavefront6targetE0EEEvS12_,comdat
	.globl	_ZN7rocprim17ROCPRIM_400000_NS6detail17trampoline_kernelINS0_13select_configILj256ELj13ELNS0_17block_load_methodE3ELS4_3ELS4_3ELNS0_20block_scan_algorithmE0ELj4294967295EEENS1_25partition_config_selectorILNS1_17partition_subalgoE4EjNS0_10empty_typeEbEEZZNS1_14partition_implILS8_4ELb0ES6_15HIP_vector_typeIjLj2EENS0_17counting_iteratorIjlEEPS9_SG_NS0_5tupleIJPjSI_NS0_16reverse_iteratorISI_EEEEENSH_IJSG_SG_SG_EEES9_SI_JZNS1_25segmented_radix_sort_implINS0_14default_configELb1EPKfPfPKlPlN2at6native12_GLOBAL__N_18offset_tEEE10hipError_tPvRmT1_PNSt15iterator_traitsIS12_E10value_typeET2_T3_PNS13_IS18_E10value_typeET4_jRbjT5_S1E_jjP12ihipStream_tbEUljE_ZNSN_ISO_Lb1ESQ_SR_ST_SU_SY_EESZ_S10_S11_S12_S16_S17_S18_S1B_S1C_jS1D_jS1E_S1E_jjS1G_bEUljE0_EEESZ_S10_S11_S18_S1C_S1E_T6_T7_T9_mT8_S1G_bDpT10_ENKUlT_T0_E_clISt17integral_constantIbLb0EES1T_IbLb1EEEEDaS1P_S1Q_EUlS1P_E_NS1_11comp_targetILNS1_3genE0ELNS1_11target_archE4294967295ELNS1_3gpuE0ELNS1_3repE0EEENS1_30default_config_static_selectorELNS0_4arch9wavefront6targetE0EEEvS12_ ; -- Begin function _ZN7rocprim17ROCPRIM_400000_NS6detail17trampoline_kernelINS0_13select_configILj256ELj13ELNS0_17block_load_methodE3ELS4_3ELS4_3ELNS0_20block_scan_algorithmE0ELj4294967295EEENS1_25partition_config_selectorILNS1_17partition_subalgoE4EjNS0_10empty_typeEbEEZZNS1_14partition_implILS8_4ELb0ES6_15HIP_vector_typeIjLj2EENS0_17counting_iteratorIjlEEPS9_SG_NS0_5tupleIJPjSI_NS0_16reverse_iteratorISI_EEEEENSH_IJSG_SG_SG_EEES9_SI_JZNS1_25segmented_radix_sort_implINS0_14default_configELb1EPKfPfPKlPlN2at6native12_GLOBAL__N_18offset_tEEE10hipError_tPvRmT1_PNSt15iterator_traitsIS12_E10value_typeET2_T3_PNS13_IS18_E10value_typeET4_jRbjT5_S1E_jjP12ihipStream_tbEUljE_ZNSN_ISO_Lb1ESQ_SR_ST_SU_SY_EESZ_S10_S11_S12_S16_S17_S18_S1B_S1C_jS1D_jS1E_S1E_jjS1G_bEUljE0_EEESZ_S10_S11_S18_S1C_S1E_T6_T7_T9_mT8_S1G_bDpT10_ENKUlT_T0_E_clISt17integral_constantIbLb0EES1T_IbLb1EEEEDaS1P_S1Q_EUlS1P_E_NS1_11comp_targetILNS1_3genE0ELNS1_11target_archE4294967295ELNS1_3gpuE0ELNS1_3repE0EEENS1_30default_config_static_selectorELNS0_4arch9wavefront6targetE0EEEvS12_
	.p2align	8
	.type	_ZN7rocprim17ROCPRIM_400000_NS6detail17trampoline_kernelINS0_13select_configILj256ELj13ELNS0_17block_load_methodE3ELS4_3ELS4_3ELNS0_20block_scan_algorithmE0ELj4294967295EEENS1_25partition_config_selectorILNS1_17partition_subalgoE4EjNS0_10empty_typeEbEEZZNS1_14partition_implILS8_4ELb0ES6_15HIP_vector_typeIjLj2EENS0_17counting_iteratorIjlEEPS9_SG_NS0_5tupleIJPjSI_NS0_16reverse_iteratorISI_EEEEENSH_IJSG_SG_SG_EEES9_SI_JZNS1_25segmented_radix_sort_implINS0_14default_configELb1EPKfPfPKlPlN2at6native12_GLOBAL__N_18offset_tEEE10hipError_tPvRmT1_PNSt15iterator_traitsIS12_E10value_typeET2_T3_PNS13_IS18_E10value_typeET4_jRbjT5_S1E_jjP12ihipStream_tbEUljE_ZNSN_ISO_Lb1ESQ_SR_ST_SU_SY_EESZ_S10_S11_S12_S16_S17_S18_S1B_S1C_jS1D_jS1E_S1E_jjS1G_bEUljE0_EEESZ_S10_S11_S18_S1C_S1E_T6_T7_T9_mT8_S1G_bDpT10_ENKUlT_T0_E_clISt17integral_constantIbLb0EES1T_IbLb1EEEEDaS1P_S1Q_EUlS1P_E_NS1_11comp_targetILNS1_3genE0ELNS1_11target_archE4294967295ELNS1_3gpuE0ELNS1_3repE0EEENS1_30default_config_static_selectorELNS0_4arch9wavefront6targetE0EEEvS12_,@function
_ZN7rocprim17ROCPRIM_400000_NS6detail17trampoline_kernelINS0_13select_configILj256ELj13ELNS0_17block_load_methodE3ELS4_3ELS4_3ELNS0_20block_scan_algorithmE0ELj4294967295EEENS1_25partition_config_selectorILNS1_17partition_subalgoE4EjNS0_10empty_typeEbEEZZNS1_14partition_implILS8_4ELb0ES6_15HIP_vector_typeIjLj2EENS0_17counting_iteratorIjlEEPS9_SG_NS0_5tupleIJPjSI_NS0_16reverse_iteratorISI_EEEEENSH_IJSG_SG_SG_EEES9_SI_JZNS1_25segmented_radix_sort_implINS0_14default_configELb1EPKfPfPKlPlN2at6native12_GLOBAL__N_18offset_tEEE10hipError_tPvRmT1_PNSt15iterator_traitsIS12_E10value_typeET2_T3_PNS13_IS18_E10value_typeET4_jRbjT5_S1E_jjP12ihipStream_tbEUljE_ZNSN_ISO_Lb1ESQ_SR_ST_SU_SY_EESZ_S10_S11_S12_S16_S17_S18_S1B_S1C_jS1D_jS1E_S1E_jjS1G_bEUljE0_EEESZ_S10_S11_S18_S1C_S1E_T6_T7_T9_mT8_S1G_bDpT10_ENKUlT_T0_E_clISt17integral_constantIbLb0EES1T_IbLb1EEEEDaS1P_S1Q_EUlS1P_E_NS1_11comp_targetILNS1_3genE0ELNS1_11target_archE4294967295ELNS1_3gpuE0ELNS1_3repE0EEENS1_30default_config_static_selectorELNS0_4arch9wavefront6targetE0EEEvS12_: ; @_ZN7rocprim17ROCPRIM_400000_NS6detail17trampoline_kernelINS0_13select_configILj256ELj13ELNS0_17block_load_methodE3ELS4_3ELS4_3ELNS0_20block_scan_algorithmE0ELj4294967295EEENS1_25partition_config_selectorILNS1_17partition_subalgoE4EjNS0_10empty_typeEbEEZZNS1_14partition_implILS8_4ELb0ES6_15HIP_vector_typeIjLj2EENS0_17counting_iteratorIjlEEPS9_SG_NS0_5tupleIJPjSI_NS0_16reverse_iteratorISI_EEEEENSH_IJSG_SG_SG_EEES9_SI_JZNS1_25segmented_radix_sort_implINS0_14default_configELb1EPKfPfPKlPlN2at6native12_GLOBAL__N_18offset_tEEE10hipError_tPvRmT1_PNSt15iterator_traitsIS12_E10value_typeET2_T3_PNS13_IS18_E10value_typeET4_jRbjT5_S1E_jjP12ihipStream_tbEUljE_ZNSN_ISO_Lb1ESQ_SR_ST_SU_SY_EESZ_S10_S11_S12_S16_S17_S18_S1B_S1C_jS1D_jS1E_S1E_jjS1G_bEUljE0_EEESZ_S10_S11_S18_S1C_S1E_T6_T7_T9_mT8_S1G_bDpT10_ENKUlT_T0_E_clISt17integral_constantIbLb0EES1T_IbLb1EEEEDaS1P_S1Q_EUlS1P_E_NS1_11comp_targetILNS1_3genE0ELNS1_11target_archE4294967295ELNS1_3gpuE0ELNS1_3repE0EEENS1_30default_config_static_selectorELNS0_4arch9wavefront6targetE0EEEvS12_
; %bb.0:
	.section	.rodata,"a",@progbits
	.p2align	6, 0x0
	.amdhsa_kernel _ZN7rocprim17ROCPRIM_400000_NS6detail17trampoline_kernelINS0_13select_configILj256ELj13ELNS0_17block_load_methodE3ELS4_3ELS4_3ELNS0_20block_scan_algorithmE0ELj4294967295EEENS1_25partition_config_selectorILNS1_17partition_subalgoE4EjNS0_10empty_typeEbEEZZNS1_14partition_implILS8_4ELb0ES6_15HIP_vector_typeIjLj2EENS0_17counting_iteratorIjlEEPS9_SG_NS0_5tupleIJPjSI_NS0_16reverse_iteratorISI_EEEEENSH_IJSG_SG_SG_EEES9_SI_JZNS1_25segmented_radix_sort_implINS0_14default_configELb1EPKfPfPKlPlN2at6native12_GLOBAL__N_18offset_tEEE10hipError_tPvRmT1_PNSt15iterator_traitsIS12_E10value_typeET2_T3_PNS13_IS18_E10value_typeET4_jRbjT5_S1E_jjP12ihipStream_tbEUljE_ZNSN_ISO_Lb1ESQ_SR_ST_SU_SY_EESZ_S10_S11_S12_S16_S17_S18_S1B_S1C_jS1D_jS1E_S1E_jjS1G_bEUljE0_EEESZ_S10_S11_S18_S1C_S1E_T6_T7_T9_mT8_S1G_bDpT10_ENKUlT_T0_E_clISt17integral_constantIbLb0EES1T_IbLb1EEEEDaS1P_S1Q_EUlS1P_E_NS1_11comp_targetILNS1_3genE0ELNS1_11target_archE4294967295ELNS1_3gpuE0ELNS1_3repE0EEENS1_30default_config_static_selectorELNS0_4arch9wavefront6targetE0EEEvS12_
		.amdhsa_group_segment_fixed_size 0
		.amdhsa_private_segment_fixed_size 0
		.amdhsa_kernarg_size 184
		.amdhsa_user_sgpr_count 2
		.amdhsa_user_sgpr_dispatch_ptr 0
		.amdhsa_user_sgpr_queue_ptr 0
		.amdhsa_user_sgpr_kernarg_segment_ptr 1
		.amdhsa_user_sgpr_dispatch_id 0
		.amdhsa_user_sgpr_private_segment_size 0
		.amdhsa_wavefront_size32 1
		.amdhsa_uses_dynamic_stack 0
		.amdhsa_enable_private_segment 0
		.amdhsa_system_sgpr_workgroup_id_x 1
		.amdhsa_system_sgpr_workgroup_id_y 0
		.amdhsa_system_sgpr_workgroup_id_z 0
		.amdhsa_system_sgpr_workgroup_info 0
		.amdhsa_system_vgpr_workitem_id 0
		.amdhsa_next_free_vgpr 1
		.amdhsa_next_free_sgpr 1
		.amdhsa_reserve_vcc 0
		.amdhsa_float_round_mode_32 0
		.amdhsa_float_round_mode_16_64 0
		.amdhsa_float_denorm_mode_32 3
		.amdhsa_float_denorm_mode_16_64 3
		.amdhsa_fp16_overflow 0
		.amdhsa_workgroup_processor_mode 1
		.amdhsa_memory_ordered 1
		.amdhsa_forward_progress 1
		.amdhsa_inst_pref_size 0
		.amdhsa_round_robin_scheduling 0
		.amdhsa_exception_fp_ieee_invalid_op 0
		.amdhsa_exception_fp_denorm_src 0
		.amdhsa_exception_fp_ieee_div_zero 0
		.amdhsa_exception_fp_ieee_overflow 0
		.amdhsa_exception_fp_ieee_underflow 0
		.amdhsa_exception_fp_ieee_inexact 0
		.amdhsa_exception_int_div_zero 0
	.end_amdhsa_kernel
	.section	.text._ZN7rocprim17ROCPRIM_400000_NS6detail17trampoline_kernelINS0_13select_configILj256ELj13ELNS0_17block_load_methodE3ELS4_3ELS4_3ELNS0_20block_scan_algorithmE0ELj4294967295EEENS1_25partition_config_selectorILNS1_17partition_subalgoE4EjNS0_10empty_typeEbEEZZNS1_14partition_implILS8_4ELb0ES6_15HIP_vector_typeIjLj2EENS0_17counting_iteratorIjlEEPS9_SG_NS0_5tupleIJPjSI_NS0_16reverse_iteratorISI_EEEEENSH_IJSG_SG_SG_EEES9_SI_JZNS1_25segmented_radix_sort_implINS0_14default_configELb1EPKfPfPKlPlN2at6native12_GLOBAL__N_18offset_tEEE10hipError_tPvRmT1_PNSt15iterator_traitsIS12_E10value_typeET2_T3_PNS13_IS18_E10value_typeET4_jRbjT5_S1E_jjP12ihipStream_tbEUljE_ZNSN_ISO_Lb1ESQ_SR_ST_SU_SY_EESZ_S10_S11_S12_S16_S17_S18_S1B_S1C_jS1D_jS1E_S1E_jjS1G_bEUljE0_EEESZ_S10_S11_S18_S1C_S1E_T6_T7_T9_mT8_S1G_bDpT10_ENKUlT_T0_E_clISt17integral_constantIbLb0EES1T_IbLb1EEEEDaS1P_S1Q_EUlS1P_E_NS1_11comp_targetILNS1_3genE0ELNS1_11target_archE4294967295ELNS1_3gpuE0ELNS1_3repE0EEENS1_30default_config_static_selectorELNS0_4arch9wavefront6targetE0EEEvS12_,"axG",@progbits,_ZN7rocprim17ROCPRIM_400000_NS6detail17trampoline_kernelINS0_13select_configILj256ELj13ELNS0_17block_load_methodE3ELS4_3ELS4_3ELNS0_20block_scan_algorithmE0ELj4294967295EEENS1_25partition_config_selectorILNS1_17partition_subalgoE4EjNS0_10empty_typeEbEEZZNS1_14partition_implILS8_4ELb0ES6_15HIP_vector_typeIjLj2EENS0_17counting_iteratorIjlEEPS9_SG_NS0_5tupleIJPjSI_NS0_16reverse_iteratorISI_EEEEENSH_IJSG_SG_SG_EEES9_SI_JZNS1_25segmented_radix_sort_implINS0_14default_configELb1EPKfPfPKlPlN2at6native12_GLOBAL__N_18offset_tEEE10hipError_tPvRmT1_PNSt15iterator_traitsIS12_E10value_typeET2_T3_PNS13_IS18_E10value_typeET4_jRbjT5_S1E_jjP12ihipStream_tbEUljE_ZNSN_ISO_Lb1ESQ_SR_ST_SU_SY_EESZ_S10_S11_S12_S16_S17_S18_S1B_S1C_jS1D_jS1E_S1E_jjS1G_bEUljE0_EEESZ_S10_S11_S18_S1C_S1E_T6_T7_T9_mT8_S1G_bDpT10_ENKUlT_T0_E_clISt17integral_constantIbLb0EES1T_IbLb1EEEEDaS1P_S1Q_EUlS1P_E_NS1_11comp_targetILNS1_3genE0ELNS1_11target_archE4294967295ELNS1_3gpuE0ELNS1_3repE0EEENS1_30default_config_static_selectorELNS0_4arch9wavefront6targetE0EEEvS12_,comdat
.Lfunc_end1285:
	.size	_ZN7rocprim17ROCPRIM_400000_NS6detail17trampoline_kernelINS0_13select_configILj256ELj13ELNS0_17block_load_methodE3ELS4_3ELS4_3ELNS0_20block_scan_algorithmE0ELj4294967295EEENS1_25partition_config_selectorILNS1_17partition_subalgoE4EjNS0_10empty_typeEbEEZZNS1_14partition_implILS8_4ELb0ES6_15HIP_vector_typeIjLj2EENS0_17counting_iteratorIjlEEPS9_SG_NS0_5tupleIJPjSI_NS0_16reverse_iteratorISI_EEEEENSH_IJSG_SG_SG_EEES9_SI_JZNS1_25segmented_radix_sort_implINS0_14default_configELb1EPKfPfPKlPlN2at6native12_GLOBAL__N_18offset_tEEE10hipError_tPvRmT1_PNSt15iterator_traitsIS12_E10value_typeET2_T3_PNS13_IS18_E10value_typeET4_jRbjT5_S1E_jjP12ihipStream_tbEUljE_ZNSN_ISO_Lb1ESQ_SR_ST_SU_SY_EESZ_S10_S11_S12_S16_S17_S18_S1B_S1C_jS1D_jS1E_S1E_jjS1G_bEUljE0_EEESZ_S10_S11_S18_S1C_S1E_T6_T7_T9_mT8_S1G_bDpT10_ENKUlT_T0_E_clISt17integral_constantIbLb0EES1T_IbLb1EEEEDaS1P_S1Q_EUlS1P_E_NS1_11comp_targetILNS1_3genE0ELNS1_11target_archE4294967295ELNS1_3gpuE0ELNS1_3repE0EEENS1_30default_config_static_selectorELNS0_4arch9wavefront6targetE0EEEvS12_, .Lfunc_end1285-_ZN7rocprim17ROCPRIM_400000_NS6detail17trampoline_kernelINS0_13select_configILj256ELj13ELNS0_17block_load_methodE3ELS4_3ELS4_3ELNS0_20block_scan_algorithmE0ELj4294967295EEENS1_25partition_config_selectorILNS1_17partition_subalgoE4EjNS0_10empty_typeEbEEZZNS1_14partition_implILS8_4ELb0ES6_15HIP_vector_typeIjLj2EENS0_17counting_iteratorIjlEEPS9_SG_NS0_5tupleIJPjSI_NS0_16reverse_iteratorISI_EEEEENSH_IJSG_SG_SG_EEES9_SI_JZNS1_25segmented_radix_sort_implINS0_14default_configELb1EPKfPfPKlPlN2at6native12_GLOBAL__N_18offset_tEEE10hipError_tPvRmT1_PNSt15iterator_traitsIS12_E10value_typeET2_T3_PNS13_IS18_E10value_typeET4_jRbjT5_S1E_jjP12ihipStream_tbEUljE_ZNSN_ISO_Lb1ESQ_SR_ST_SU_SY_EESZ_S10_S11_S12_S16_S17_S18_S1B_S1C_jS1D_jS1E_S1E_jjS1G_bEUljE0_EEESZ_S10_S11_S18_S1C_S1E_T6_T7_T9_mT8_S1G_bDpT10_ENKUlT_T0_E_clISt17integral_constantIbLb0EES1T_IbLb1EEEEDaS1P_S1Q_EUlS1P_E_NS1_11comp_targetILNS1_3genE0ELNS1_11target_archE4294967295ELNS1_3gpuE0ELNS1_3repE0EEENS1_30default_config_static_selectorELNS0_4arch9wavefront6targetE0EEEvS12_
                                        ; -- End function
	.set _ZN7rocprim17ROCPRIM_400000_NS6detail17trampoline_kernelINS0_13select_configILj256ELj13ELNS0_17block_load_methodE3ELS4_3ELS4_3ELNS0_20block_scan_algorithmE0ELj4294967295EEENS1_25partition_config_selectorILNS1_17partition_subalgoE4EjNS0_10empty_typeEbEEZZNS1_14partition_implILS8_4ELb0ES6_15HIP_vector_typeIjLj2EENS0_17counting_iteratorIjlEEPS9_SG_NS0_5tupleIJPjSI_NS0_16reverse_iteratorISI_EEEEENSH_IJSG_SG_SG_EEES9_SI_JZNS1_25segmented_radix_sort_implINS0_14default_configELb1EPKfPfPKlPlN2at6native12_GLOBAL__N_18offset_tEEE10hipError_tPvRmT1_PNSt15iterator_traitsIS12_E10value_typeET2_T3_PNS13_IS18_E10value_typeET4_jRbjT5_S1E_jjP12ihipStream_tbEUljE_ZNSN_ISO_Lb1ESQ_SR_ST_SU_SY_EESZ_S10_S11_S12_S16_S17_S18_S1B_S1C_jS1D_jS1E_S1E_jjS1G_bEUljE0_EEESZ_S10_S11_S18_S1C_S1E_T6_T7_T9_mT8_S1G_bDpT10_ENKUlT_T0_E_clISt17integral_constantIbLb0EES1T_IbLb1EEEEDaS1P_S1Q_EUlS1P_E_NS1_11comp_targetILNS1_3genE0ELNS1_11target_archE4294967295ELNS1_3gpuE0ELNS1_3repE0EEENS1_30default_config_static_selectorELNS0_4arch9wavefront6targetE0EEEvS12_.num_vgpr, 0
	.set _ZN7rocprim17ROCPRIM_400000_NS6detail17trampoline_kernelINS0_13select_configILj256ELj13ELNS0_17block_load_methodE3ELS4_3ELS4_3ELNS0_20block_scan_algorithmE0ELj4294967295EEENS1_25partition_config_selectorILNS1_17partition_subalgoE4EjNS0_10empty_typeEbEEZZNS1_14partition_implILS8_4ELb0ES6_15HIP_vector_typeIjLj2EENS0_17counting_iteratorIjlEEPS9_SG_NS0_5tupleIJPjSI_NS0_16reverse_iteratorISI_EEEEENSH_IJSG_SG_SG_EEES9_SI_JZNS1_25segmented_radix_sort_implINS0_14default_configELb1EPKfPfPKlPlN2at6native12_GLOBAL__N_18offset_tEEE10hipError_tPvRmT1_PNSt15iterator_traitsIS12_E10value_typeET2_T3_PNS13_IS18_E10value_typeET4_jRbjT5_S1E_jjP12ihipStream_tbEUljE_ZNSN_ISO_Lb1ESQ_SR_ST_SU_SY_EESZ_S10_S11_S12_S16_S17_S18_S1B_S1C_jS1D_jS1E_S1E_jjS1G_bEUljE0_EEESZ_S10_S11_S18_S1C_S1E_T6_T7_T9_mT8_S1G_bDpT10_ENKUlT_T0_E_clISt17integral_constantIbLb0EES1T_IbLb1EEEEDaS1P_S1Q_EUlS1P_E_NS1_11comp_targetILNS1_3genE0ELNS1_11target_archE4294967295ELNS1_3gpuE0ELNS1_3repE0EEENS1_30default_config_static_selectorELNS0_4arch9wavefront6targetE0EEEvS12_.num_agpr, 0
	.set _ZN7rocprim17ROCPRIM_400000_NS6detail17trampoline_kernelINS0_13select_configILj256ELj13ELNS0_17block_load_methodE3ELS4_3ELS4_3ELNS0_20block_scan_algorithmE0ELj4294967295EEENS1_25partition_config_selectorILNS1_17partition_subalgoE4EjNS0_10empty_typeEbEEZZNS1_14partition_implILS8_4ELb0ES6_15HIP_vector_typeIjLj2EENS0_17counting_iteratorIjlEEPS9_SG_NS0_5tupleIJPjSI_NS0_16reverse_iteratorISI_EEEEENSH_IJSG_SG_SG_EEES9_SI_JZNS1_25segmented_radix_sort_implINS0_14default_configELb1EPKfPfPKlPlN2at6native12_GLOBAL__N_18offset_tEEE10hipError_tPvRmT1_PNSt15iterator_traitsIS12_E10value_typeET2_T3_PNS13_IS18_E10value_typeET4_jRbjT5_S1E_jjP12ihipStream_tbEUljE_ZNSN_ISO_Lb1ESQ_SR_ST_SU_SY_EESZ_S10_S11_S12_S16_S17_S18_S1B_S1C_jS1D_jS1E_S1E_jjS1G_bEUljE0_EEESZ_S10_S11_S18_S1C_S1E_T6_T7_T9_mT8_S1G_bDpT10_ENKUlT_T0_E_clISt17integral_constantIbLb0EES1T_IbLb1EEEEDaS1P_S1Q_EUlS1P_E_NS1_11comp_targetILNS1_3genE0ELNS1_11target_archE4294967295ELNS1_3gpuE0ELNS1_3repE0EEENS1_30default_config_static_selectorELNS0_4arch9wavefront6targetE0EEEvS12_.numbered_sgpr, 0
	.set _ZN7rocprim17ROCPRIM_400000_NS6detail17trampoline_kernelINS0_13select_configILj256ELj13ELNS0_17block_load_methodE3ELS4_3ELS4_3ELNS0_20block_scan_algorithmE0ELj4294967295EEENS1_25partition_config_selectorILNS1_17partition_subalgoE4EjNS0_10empty_typeEbEEZZNS1_14partition_implILS8_4ELb0ES6_15HIP_vector_typeIjLj2EENS0_17counting_iteratorIjlEEPS9_SG_NS0_5tupleIJPjSI_NS0_16reverse_iteratorISI_EEEEENSH_IJSG_SG_SG_EEES9_SI_JZNS1_25segmented_radix_sort_implINS0_14default_configELb1EPKfPfPKlPlN2at6native12_GLOBAL__N_18offset_tEEE10hipError_tPvRmT1_PNSt15iterator_traitsIS12_E10value_typeET2_T3_PNS13_IS18_E10value_typeET4_jRbjT5_S1E_jjP12ihipStream_tbEUljE_ZNSN_ISO_Lb1ESQ_SR_ST_SU_SY_EESZ_S10_S11_S12_S16_S17_S18_S1B_S1C_jS1D_jS1E_S1E_jjS1G_bEUljE0_EEESZ_S10_S11_S18_S1C_S1E_T6_T7_T9_mT8_S1G_bDpT10_ENKUlT_T0_E_clISt17integral_constantIbLb0EES1T_IbLb1EEEEDaS1P_S1Q_EUlS1P_E_NS1_11comp_targetILNS1_3genE0ELNS1_11target_archE4294967295ELNS1_3gpuE0ELNS1_3repE0EEENS1_30default_config_static_selectorELNS0_4arch9wavefront6targetE0EEEvS12_.num_named_barrier, 0
	.set _ZN7rocprim17ROCPRIM_400000_NS6detail17trampoline_kernelINS0_13select_configILj256ELj13ELNS0_17block_load_methodE3ELS4_3ELS4_3ELNS0_20block_scan_algorithmE0ELj4294967295EEENS1_25partition_config_selectorILNS1_17partition_subalgoE4EjNS0_10empty_typeEbEEZZNS1_14partition_implILS8_4ELb0ES6_15HIP_vector_typeIjLj2EENS0_17counting_iteratorIjlEEPS9_SG_NS0_5tupleIJPjSI_NS0_16reverse_iteratorISI_EEEEENSH_IJSG_SG_SG_EEES9_SI_JZNS1_25segmented_radix_sort_implINS0_14default_configELb1EPKfPfPKlPlN2at6native12_GLOBAL__N_18offset_tEEE10hipError_tPvRmT1_PNSt15iterator_traitsIS12_E10value_typeET2_T3_PNS13_IS18_E10value_typeET4_jRbjT5_S1E_jjP12ihipStream_tbEUljE_ZNSN_ISO_Lb1ESQ_SR_ST_SU_SY_EESZ_S10_S11_S12_S16_S17_S18_S1B_S1C_jS1D_jS1E_S1E_jjS1G_bEUljE0_EEESZ_S10_S11_S18_S1C_S1E_T6_T7_T9_mT8_S1G_bDpT10_ENKUlT_T0_E_clISt17integral_constantIbLb0EES1T_IbLb1EEEEDaS1P_S1Q_EUlS1P_E_NS1_11comp_targetILNS1_3genE0ELNS1_11target_archE4294967295ELNS1_3gpuE0ELNS1_3repE0EEENS1_30default_config_static_selectorELNS0_4arch9wavefront6targetE0EEEvS12_.private_seg_size, 0
	.set _ZN7rocprim17ROCPRIM_400000_NS6detail17trampoline_kernelINS0_13select_configILj256ELj13ELNS0_17block_load_methodE3ELS4_3ELS4_3ELNS0_20block_scan_algorithmE0ELj4294967295EEENS1_25partition_config_selectorILNS1_17partition_subalgoE4EjNS0_10empty_typeEbEEZZNS1_14partition_implILS8_4ELb0ES6_15HIP_vector_typeIjLj2EENS0_17counting_iteratorIjlEEPS9_SG_NS0_5tupleIJPjSI_NS0_16reverse_iteratorISI_EEEEENSH_IJSG_SG_SG_EEES9_SI_JZNS1_25segmented_radix_sort_implINS0_14default_configELb1EPKfPfPKlPlN2at6native12_GLOBAL__N_18offset_tEEE10hipError_tPvRmT1_PNSt15iterator_traitsIS12_E10value_typeET2_T3_PNS13_IS18_E10value_typeET4_jRbjT5_S1E_jjP12ihipStream_tbEUljE_ZNSN_ISO_Lb1ESQ_SR_ST_SU_SY_EESZ_S10_S11_S12_S16_S17_S18_S1B_S1C_jS1D_jS1E_S1E_jjS1G_bEUljE0_EEESZ_S10_S11_S18_S1C_S1E_T6_T7_T9_mT8_S1G_bDpT10_ENKUlT_T0_E_clISt17integral_constantIbLb0EES1T_IbLb1EEEEDaS1P_S1Q_EUlS1P_E_NS1_11comp_targetILNS1_3genE0ELNS1_11target_archE4294967295ELNS1_3gpuE0ELNS1_3repE0EEENS1_30default_config_static_selectorELNS0_4arch9wavefront6targetE0EEEvS12_.uses_vcc, 0
	.set _ZN7rocprim17ROCPRIM_400000_NS6detail17trampoline_kernelINS0_13select_configILj256ELj13ELNS0_17block_load_methodE3ELS4_3ELS4_3ELNS0_20block_scan_algorithmE0ELj4294967295EEENS1_25partition_config_selectorILNS1_17partition_subalgoE4EjNS0_10empty_typeEbEEZZNS1_14partition_implILS8_4ELb0ES6_15HIP_vector_typeIjLj2EENS0_17counting_iteratorIjlEEPS9_SG_NS0_5tupleIJPjSI_NS0_16reverse_iteratorISI_EEEEENSH_IJSG_SG_SG_EEES9_SI_JZNS1_25segmented_radix_sort_implINS0_14default_configELb1EPKfPfPKlPlN2at6native12_GLOBAL__N_18offset_tEEE10hipError_tPvRmT1_PNSt15iterator_traitsIS12_E10value_typeET2_T3_PNS13_IS18_E10value_typeET4_jRbjT5_S1E_jjP12ihipStream_tbEUljE_ZNSN_ISO_Lb1ESQ_SR_ST_SU_SY_EESZ_S10_S11_S12_S16_S17_S18_S1B_S1C_jS1D_jS1E_S1E_jjS1G_bEUljE0_EEESZ_S10_S11_S18_S1C_S1E_T6_T7_T9_mT8_S1G_bDpT10_ENKUlT_T0_E_clISt17integral_constantIbLb0EES1T_IbLb1EEEEDaS1P_S1Q_EUlS1P_E_NS1_11comp_targetILNS1_3genE0ELNS1_11target_archE4294967295ELNS1_3gpuE0ELNS1_3repE0EEENS1_30default_config_static_selectorELNS0_4arch9wavefront6targetE0EEEvS12_.uses_flat_scratch, 0
	.set _ZN7rocprim17ROCPRIM_400000_NS6detail17trampoline_kernelINS0_13select_configILj256ELj13ELNS0_17block_load_methodE3ELS4_3ELS4_3ELNS0_20block_scan_algorithmE0ELj4294967295EEENS1_25partition_config_selectorILNS1_17partition_subalgoE4EjNS0_10empty_typeEbEEZZNS1_14partition_implILS8_4ELb0ES6_15HIP_vector_typeIjLj2EENS0_17counting_iteratorIjlEEPS9_SG_NS0_5tupleIJPjSI_NS0_16reverse_iteratorISI_EEEEENSH_IJSG_SG_SG_EEES9_SI_JZNS1_25segmented_radix_sort_implINS0_14default_configELb1EPKfPfPKlPlN2at6native12_GLOBAL__N_18offset_tEEE10hipError_tPvRmT1_PNSt15iterator_traitsIS12_E10value_typeET2_T3_PNS13_IS18_E10value_typeET4_jRbjT5_S1E_jjP12ihipStream_tbEUljE_ZNSN_ISO_Lb1ESQ_SR_ST_SU_SY_EESZ_S10_S11_S12_S16_S17_S18_S1B_S1C_jS1D_jS1E_S1E_jjS1G_bEUljE0_EEESZ_S10_S11_S18_S1C_S1E_T6_T7_T9_mT8_S1G_bDpT10_ENKUlT_T0_E_clISt17integral_constantIbLb0EES1T_IbLb1EEEEDaS1P_S1Q_EUlS1P_E_NS1_11comp_targetILNS1_3genE0ELNS1_11target_archE4294967295ELNS1_3gpuE0ELNS1_3repE0EEENS1_30default_config_static_selectorELNS0_4arch9wavefront6targetE0EEEvS12_.has_dyn_sized_stack, 0
	.set _ZN7rocprim17ROCPRIM_400000_NS6detail17trampoline_kernelINS0_13select_configILj256ELj13ELNS0_17block_load_methodE3ELS4_3ELS4_3ELNS0_20block_scan_algorithmE0ELj4294967295EEENS1_25partition_config_selectorILNS1_17partition_subalgoE4EjNS0_10empty_typeEbEEZZNS1_14partition_implILS8_4ELb0ES6_15HIP_vector_typeIjLj2EENS0_17counting_iteratorIjlEEPS9_SG_NS0_5tupleIJPjSI_NS0_16reverse_iteratorISI_EEEEENSH_IJSG_SG_SG_EEES9_SI_JZNS1_25segmented_radix_sort_implINS0_14default_configELb1EPKfPfPKlPlN2at6native12_GLOBAL__N_18offset_tEEE10hipError_tPvRmT1_PNSt15iterator_traitsIS12_E10value_typeET2_T3_PNS13_IS18_E10value_typeET4_jRbjT5_S1E_jjP12ihipStream_tbEUljE_ZNSN_ISO_Lb1ESQ_SR_ST_SU_SY_EESZ_S10_S11_S12_S16_S17_S18_S1B_S1C_jS1D_jS1E_S1E_jjS1G_bEUljE0_EEESZ_S10_S11_S18_S1C_S1E_T6_T7_T9_mT8_S1G_bDpT10_ENKUlT_T0_E_clISt17integral_constantIbLb0EES1T_IbLb1EEEEDaS1P_S1Q_EUlS1P_E_NS1_11comp_targetILNS1_3genE0ELNS1_11target_archE4294967295ELNS1_3gpuE0ELNS1_3repE0EEENS1_30default_config_static_selectorELNS0_4arch9wavefront6targetE0EEEvS12_.has_recursion, 0
	.set _ZN7rocprim17ROCPRIM_400000_NS6detail17trampoline_kernelINS0_13select_configILj256ELj13ELNS0_17block_load_methodE3ELS4_3ELS4_3ELNS0_20block_scan_algorithmE0ELj4294967295EEENS1_25partition_config_selectorILNS1_17partition_subalgoE4EjNS0_10empty_typeEbEEZZNS1_14partition_implILS8_4ELb0ES6_15HIP_vector_typeIjLj2EENS0_17counting_iteratorIjlEEPS9_SG_NS0_5tupleIJPjSI_NS0_16reverse_iteratorISI_EEEEENSH_IJSG_SG_SG_EEES9_SI_JZNS1_25segmented_radix_sort_implINS0_14default_configELb1EPKfPfPKlPlN2at6native12_GLOBAL__N_18offset_tEEE10hipError_tPvRmT1_PNSt15iterator_traitsIS12_E10value_typeET2_T3_PNS13_IS18_E10value_typeET4_jRbjT5_S1E_jjP12ihipStream_tbEUljE_ZNSN_ISO_Lb1ESQ_SR_ST_SU_SY_EESZ_S10_S11_S12_S16_S17_S18_S1B_S1C_jS1D_jS1E_S1E_jjS1G_bEUljE0_EEESZ_S10_S11_S18_S1C_S1E_T6_T7_T9_mT8_S1G_bDpT10_ENKUlT_T0_E_clISt17integral_constantIbLb0EES1T_IbLb1EEEEDaS1P_S1Q_EUlS1P_E_NS1_11comp_targetILNS1_3genE0ELNS1_11target_archE4294967295ELNS1_3gpuE0ELNS1_3repE0EEENS1_30default_config_static_selectorELNS0_4arch9wavefront6targetE0EEEvS12_.has_indirect_call, 0
	.section	.AMDGPU.csdata,"",@progbits
; Kernel info:
; codeLenInByte = 0
; TotalNumSgprs: 0
; NumVgprs: 0
; ScratchSize: 0
; MemoryBound: 0
; FloatMode: 240
; IeeeMode: 1
; LDSByteSize: 0 bytes/workgroup (compile time only)
; SGPRBlocks: 0
; VGPRBlocks: 0
; NumSGPRsForWavesPerEU: 1
; NumVGPRsForWavesPerEU: 1
; Occupancy: 16
; WaveLimiterHint : 0
; COMPUTE_PGM_RSRC2:SCRATCH_EN: 0
; COMPUTE_PGM_RSRC2:USER_SGPR: 2
; COMPUTE_PGM_RSRC2:TRAP_HANDLER: 0
; COMPUTE_PGM_RSRC2:TGID_X_EN: 1
; COMPUTE_PGM_RSRC2:TGID_Y_EN: 0
; COMPUTE_PGM_RSRC2:TGID_Z_EN: 0
; COMPUTE_PGM_RSRC2:TIDIG_COMP_CNT: 0
	.section	.text._ZN7rocprim17ROCPRIM_400000_NS6detail17trampoline_kernelINS0_13select_configILj256ELj13ELNS0_17block_load_methodE3ELS4_3ELS4_3ELNS0_20block_scan_algorithmE0ELj4294967295EEENS1_25partition_config_selectorILNS1_17partition_subalgoE4EjNS0_10empty_typeEbEEZZNS1_14partition_implILS8_4ELb0ES6_15HIP_vector_typeIjLj2EENS0_17counting_iteratorIjlEEPS9_SG_NS0_5tupleIJPjSI_NS0_16reverse_iteratorISI_EEEEENSH_IJSG_SG_SG_EEES9_SI_JZNS1_25segmented_radix_sort_implINS0_14default_configELb1EPKfPfPKlPlN2at6native12_GLOBAL__N_18offset_tEEE10hipError_tPvRmT1_PNSt15iterator_traitsIS12_E10value_typeET2_T3_PNS13_IS18_E10value_typeET4_jRbjT5_S1E_jjP12ihipStream_tbEUljE_ZNSN_ISO_Lb1ESQ_SR_ST_SU_SY_EESZ_S10_S11_S12_S16_S17_S18_S1B_S1C_jS1D_jS1E_S1E_jjS1G_bEUljE0_EEESZ_S10_S11_S18_S1C_S1E_T6_T7_T9_mT8_S1G_bDpT10_ENKUlT_T0_E_clISt17integral_constantIbLb0EES1T_IbLb1EEEEDaS1P_S1Q_EUlS1P_E_NS1_11comp_targetILNS1_3genE5ELNS1_11target_archE942ELNS1_3gpuE9ELNS1_3repE0EEENS1_30default_config_static_selectorELNS0_4arch9wavefront6targetE0EEEvS12_,"axG",@progbits,_ZN7rocprim17ROCPRIM_400000_NS6detail17trampoline_kernelINS0_13select_configILj256ELj13ELNS0_17block_load_methodE3ELS4_3ELS4_3ELNS0_20block_scan_algorithmE0ELj4294967295EEENS1_25partition_config_selectorILNS1_17partition_subalgoE4EjNS0_10empty_typeEbEEZZNS1_14partition_implILS8_4ELb0ES6_15HIP_vector_typeIjLj2EENS0_17counting_iteratorIjlEEPS9_SG_NS0_5tupleIJPjSI_NS0_16reverse_iteratorISI_EEEEENSH_IJSG_SG_SG_EEES9_SI_JZNS1_25segmented_radix_sort_implINS0_14default_configELb1EPKfPfPKlPlN2at6native12_GLOBAL__N_18offset_tEEE10hipError_tPvRmT1_PNSt15iterator_traitsIS12_E10value_typeET2_T3_PNS13_IS18_E10value_typeET4_jRbjT5_S1E_jjP12ihipStream_tbEUljE_ZNSN_ISO_Lb1ESQ_SR_ST_SU_SY_EESZ_S10_S11_S12_S16_S17_S18_S1B_S1C_jS1D_jS1E_S1E_jjS1G_bEUljE0_EEESZ_S10_S11_S18_S1C_S1E_T6_T7_T9_mT8_S1G_bDpT10_ENKUlT_T0_E_clISt17integral_constantIbLb0EES1T_IbLb1EEEEDaS1P_S1Q_EUlS1P_E_NS1_11comp_targetILNS1_3genE5ELNS1_11target_archE942ELNS1_3gpuE9ELNS1_3repE0EEENS1_30default_config_static_selectorELNS0_4arch9wavefront6targetE0EEEvS12_,comdat
	.globl	_ZN7rocprim17ROCPRIM_400000_NS6detail17trampoline_kernelINS0_13select_configILj256ELj13ELNS0_17block_load_methodE3ELS4_3ELS4_3ELNS0_20block_scan_algorithmE0ELj4294967295EEENS1_25partition_config_selectorILNS1_17partition_subalgoE4EjNS0_10empty_typeEbEEZZNS1_14partition_implILS8_4ELb0ES6_15HIP_vector_typeIjLj2EENS0_17counting_iteratorIjlEEPS9_SG_NS0_5tupleIJPjSI_NS0_16reverse_iteratorISI_EEEEENSH_IJSG_SG_SG_EEES9_SI_JZNS1_25segmented_radix_sort_implINS0_14default_configELb1EPKfPfPKlPlN2at6native12_GLOBAL__N_18offset_tEEE10hipError_tPvRmT1_PNSt15iterator_traitsIS12_E10value_typeET2_T3_PNS13_IS18_E10value_typeET4_jRbjT5_S1E_jjP12ihipStream_tbEUljE_ZNSN_ISO_Lb1ESQ_SR_ST_SU_SY_EESZ_S10_S11_S12_S16_S17_S18_S1B_S1C_jS1D_jS1E_S1E_jjS1G_bEUljE0_EEESZ_S10_S11_S18_S1C_S1E_T6_T7_T9_mT8_S1G_bDpT10_ENKUlT_T0_E_clISt17integral_constantIbLb0EES1T_IbLb1EEEEDaS1P_S1Q_EUlS1P_E_NS1_11comp_targetILNS1_3genE5ELNS1_11target_archE942ELNS1_3gpuE9ELNS1_3repE0EEENS1_30default_config_static_selectorELNS0_4arch9wavefront6targetE0EEEvS12_ ; -- Begin function _ZN7rocprim17ROCPRIM_400000_NS6detail17trampoline_kernelINS0_13select_configILj256ELj13ELNS0_17block_load_methodE3ELS4_3ELS4_3ELNS0_20block_scan_algorithmE0ELj4294967295EEENS1_25partition_config_selectorILNS1_17partition_subalgoE4EjNS0_10empty_typeEbEEZZNS1_14partition_implILS8_4ELb0ES6_15HIP_vector_typeIjLj2EENS0_17counting_iteratorIjlEEPS9_SG_NS0_5tupleIJPjSI_NS0_16reverse_iteratorISI_EEEEENSH_IJSG_SG_SG_EEES9_SI_JZNS1_25segmented_radix_sort_implINS0_14default_configELb1EPKfPfPKlPlN2at6native12_GLOBAL__N_18offset_tEEE10hipError_tPvRmT1_PNSt15iterator_traitsIS12_E10value_typeET2_T3_PNS13_IS18_E10value_typeET4_jRbjT5_S1E_jjP12ihipStream_tbEUljE_ZNSN_ISO_Lb1ESQ_SR_ST_SU_SY_EESZ_S10_S11_S12_S16_S17_S18_S1B_S1C_jS1D_jS1E_S1E_jjS1G_bEUljE0_EEESZ_S10_S11_S18_S1C_S1E_T6_T7_T9_mT8_S1G_bDpT10_ENKUlT_T0_E_clISt17integral_constantIbLb0EES1T_IbLb1EEEEDaS1P_S1Q_EUlS1P_E_NS1_11comp_targetILNS1_3genE5ELNS1_11target_archE942ELNS1_3gpuE9ELNS1_3repE0EEENS1_30default_config_static_selectorELNS0_4arch9wavefront6targetE0EEEvS12_
	.p2align	8
	.type	_ZN7rocprim17ROCPRIM_400000_NS6detail17trampoline_kernelINS0_13select_configILj256ELj13ELNS0_17block_load_methodE3ELS4_3ELS4_3ELNS0_20block_scan_algorithmE0ELj4294967295EEENS1_25partition_config_selectorILNS1_17partition_subalgoE4EjNS0_10empty_typeEbEEZZNS1_14partition_implILS8_4ELb0ES6_15HIP_vector_typeIjLj2EENS0_17counting_iteratorIjlEEPS9_SG_NS0_5tupleIJPjSI_NS0_16reverse_iteratorISI_EEEEENSH_IJSG_SG_SG_EEES9_SI_JZNS1_25segmented_radix_sort_implINS0_14default_configELb1EPKfPfPKlPlN2at6native12_GLOBAL__N_18offset_tEEE10hipError_tPvRmT1_PNSt15iterator_traitsIS12_E10value_typeET2_T3_PNS13_IS18_E10value_typeET4_jRbjT5_S1E_jjP12ihipStream_tbEUljE_ZNSN_ISO_Lb1ESQ_SR_ST_SU_SY_EESZ_S10_S11_S12_S16_S17_S18_S1B_S1C_jS1D_jS1E_S1E_jjS1G_bEUljE0_EEESZ_S10_S11_S18_S1C_S1E_T6_T7_T9_mT8_S1G_bDpT10_ENKUlT_T0_E_clISt17integral_constantIbLb0EES1T_IbLb1EEEEDaS1P_S1Q_EUlS1P_E_NS1_11comp_targetILNS1_3genE5ELNS1_11target_archE942ELNS1_3gpuE9ELNS1_3repE0EEENS1_30default_config_static_selectorELNS0_4arch9wavefront6targetE0EEEvS12_,@function
_ZN7rocprim17ROCPRIM_400000_NS6detail17trampoline_kernelINS0_13select_configILj256ELj13ELNS0_17block_load_methodE3ELS4_3ELS4_3ELNS0_20block_scan_algorithmE0ELj4294967295EEENS1_25partition_config_selectorILNS1_17partition_subalgoE4EjNS0_10empty_typeEbEEZZNS1_14partition_implILS8_4ELb0ES6_15HIP_vector_typeIjLj2EENS0_17counting_iteratorIjlEEPS9_SG_NS0_5tupleIJPjSI_NS0_16reverse_iteratorISI_EEEEENSH_IJSG_SG_SG_EEES9_SI_JZNS1_25segmented_radix_sort_implINS0_14default_configELb1EPKfPfPKlPlN2at6native12_GLOBAL__N_18offset_tEEE10hipError_tPvRmT1_PNSt15iterator_traitsIS12_E10value_typeET2_T3_PNS13_IS18_E10value_typeET4_jRbjT5_S1E_jjP12ihipStream_tbEUljE_ZNSN_ISO_Lb1ESQ_SR_ST_SU_SY_EESZ_S10_S11_S12_S16_S17_S18_S1B_S1C_jS1D_jS1E_S1E_jjS1G_bEUljE0_EEESZ_S10_S11_S18_S1C_S1E_T6_T7_T9_mT8_S1G_bDpT10_ENKUlT_T0_E_clISt17integral_constantIbLb0EES1T_IbLb1EEEEDaS1P_S1Q_EUlS1P_E_NS1_11comp_targetILNS1_3genE5ELNS1_11target_archE942ELNS1_3gpuE9ELNS1_3repE0EEENS1_30default_config_static_selectorELNS0_4arch9wavefront6targetE0EEEvS12_: ; @_ZN7rocprim17ROCPRIM_400000_NS6detail17trampoline_kernelINS0_13select_configILj256ELj13ELNS0_17block_load_methodE3ELS4_3ELS4_3ELNS0_20block_scan_algorithmE0ELj4294967295EEENS1_25partition_config_selectorILNS1_17partition_subalgoE4EjNS0_10empty_typeEbEEZZNS1_14partition_implILS8_4ELb0ES6_15HIP_vector_typeIjLj2EENS0_17counting_iteratorIjlEEPS9_SG_NS0_5tupleIJPjSI_NS0_16reverse_iteratorISI_EEEEENSH_IJSG_SG_SG_EEES9_SI_JZNS1_25segmented_radix_sort_implINS0_14default_configELb1EPKfPfPKlPlN2at6native12_GLOBAL__N_18offset_tEEE10hipError_tPvRmT1_PNSt15iterator_traitsIS12_E10value_typeET2_T3_PNS13_IS18_E10value_typeET4_jRbjT5_S1E_jjP12ihipStream_tbEUljE_ZNSN_ISO_Lb1ESQ_SR_ST_SU_SY_EESZ_S10_S11_S12_S16_S17_S18_S1B_S1C_jS1D_jS1E_S1E_jjS1G_bEUljE0_EEESZ_S10_S11_S18_S1C_S1E_T6_T7_T9_mT8_S1G_bDpT10_ENKUlT_T0_E_clISt17integral_constantIbLb0EES1T_IbLb1EEEEDaS1P_S1Q_EUlS1P_E_NS1_11comp_targetILNS1_3genE5ELNS1_11target_archE942ELNS1_3gpuE9ELNS1_3repE0EEENS1_30default_config_static_selectorELNS0_4arch9wavefront6targetE0EEEvS12_
; %bb.0:
	.section	.rodata,"a",@progbits
	.p2align	6, 0x0
	.amdhsa_kernel _ZN7rocprim17ROCPRIM_400000_NS6detail17trampoline_kernelINS0_13select_configILj256ELj13ELNS0_17block_load_methodE3ELS4_3ELS4_3ELNS0_20block_scan_algorithmE0ELj4294967295EEENS1_25partition_config_selectorILNS1_17partition_subalgoE4EjNS0_10empty_typeEbEEZZNS1_14partition_implILS8_4ELb0ES6_15HIP_vector_typeIjLj2EENS0_17counting_iteratorIjlEEPS9_SG_NS0_5tupleIJPjSI_NS0_16reverse_iteratorISI_EEEEENSH_IJSG_SG_SG_EEES9_SI_JZNS1_25segmented_radix_sort_implINS0_14default_configELb1EPKfPfPKlPlN2at6native12_GLOBAL__N_18offset_tEEE10hipError_tPvRmT1_PNSt15iterator_traitsIS12_E10value_typeET2_T3_PNS13_IS18_E10value_typeET4_jRbjT5_S1E_jjP12ihipStream_tbEUljE_ZNSN_ISO_Lb1ESQ_SR_ST_SU_SY_EESZ_S10_S11_S12_S16_S17_S18_S1B_S1C_jS1D_jS1E_S1E_jjS1G_bEUljE0_EEESZ_S10_S11_S18_S1C_S1E_T6_T7_T9_mT8_S1G_bDpT10_ENKUlT_T0_E_clISt17integral_constantIbLb0EES1T_IbLb1EEEEDaS1P_S1Q_EUlS1P_E_NS1_11comp_targetILNS1_3genE5ELNS1_11target_archE942ELNS1_3gpuE9ELNS1_3repE0EEENS1_30default_config_static_selectorELNS0_4arch9wavefront6targetE0EEEvS12_
		.amdhsa_group_segment_fixed_size 0
		.amdhsa_private_segment_fixed_size 0
		.amdhsa_kernarg_size 184
		.amdhsa_user_sgpr_count 2
		.amdhsa_user_sgpr_dispatch_ptr 0
		.amdhsa_user_sgpr_queue_ptr 0
		.amdhsa_user_sgpr_kernarg_segment_ptr 1
		.amdhsa_user_sgpr_dispatch_id 0
		.amdhsa_user_sgpr_private_segment_size 0
		.amdhsa_wavefront_size32 1
		.amdhsa_uses_dynamic_stack 0
		.amdhsa_enable_private_segment 0
		.amdhsa_system_sgpr_workgroup_id_x 1
		.amdhsa_system_sgpr_workgroup_id_y 0
		.amdhsa_system_sgpr_workgroup_id_z 0
		.amdhsa_system_sgpr_workgroup_info 0
		.amdhsa_system_vgpr_workitem_id 0
		.amdhsa_next_free_vgpr 1
		.amdhsa_next_free_sgpr 1
		.amdhsa_reserve_vcc 0
		.amdhsa_float_round_mode_32 0
		.amdhsa_float_round_mode_16_64 0
		.amdhsa_float_denorm_mode_32 3
		.amdhsa_float_denorm_mode_16_64 3
		.amdhsa_fp16_overflow 0
		.amdhsa_workgroup_processor_mode 1
		.amdhsa_memory_ordered 1
		.amdhsa_forward_progress 1
		.amdhsa_inst_pref_size 0
		.amdhsa_round_robin_scheduling 0
		.amdhsa_exception_fp_ieee_invalid_op 0
		.amdhsa_exception_fp_denorm_src 0
		.amdhsa_exception_fp_ieee_div_zero 0
		.amdhsa_exception_fp_ieee_overflow 0
		.amdhsa_exception_fp_ieee_underflow 0
		.amdhsa_exception_fp_ieee_inexact 0
		.amdhsa_exception_int_div_zero 0
	.end_amdhsa_kernel
	.section	.text._ZN7rocprim17ROCPRIM_400000_NS6detail17trampoline_kernelINS0_13select_configILj256ELj13ELNS0_17block_load_methodE3ELS4_3ELS4_3ELNS0_20block_scan_algorithmE0ELj4294967295EEENS1_25partition_config_selectorILNS1_17partition_subalgoE4EjNS0_10empty_typeEbEEZZNS1_14partition_implILS8_4ELb0ES6_15HIP_vector_typeIjLj2EENS0_17counting_iteratorIjlEEPS9_SG_NS0_5tupleIJPjSI_NS0_16reverse_iteratorISI_EEEEENSH_IJSG_SG_SG_EEES9_SI_JZNS1_25segmented_radix_sort_implINS0_14default_configELb1EPKfPfPKlPlN2at6native12_GLOBAL__N_18offset_tEEE10hipError_tPvRmT1_PNSt15iterator_traitsIS12_E10value_typeET2_T3_PNS13_IS18_E10value_typeET4_jRbjT5_S1E_jjP12ihipStream_tbEUljE_ZNSN_ISO_Lb1ESQ_SR_ST_SU_SY_EESZ_S10_S11_S12_S16_S17_S18_S1B_S1C_jS1D_jS1E_S1E_jjS1G_bEUljE0_EEESZ_S10_S11_S18_S1C_S1E_T6_T7_T9_mT8_S1G_bDpT10_ENKUlT_T0_E_clISt17integral_constantIbLb0EES1T_IbLb1EEEEDaS1P_S1Q_EUlS1P_E_NS1_11comp_targetILNS1_3genE5ELNS1_11target_archE942ELNS1_3gpuE9ELNS1_3repE0EEENS1_30default_config_static_selectorELNS0_4arch9wavefront6targetE0EEEvS12_,"axG",@progbits,_ZN7rocprim17ROCPRIM_400000_NS6detail17trampoline_kernelINS0_13select_configILj256ELj13ELNS0_17block_load_methodE3ELS4_3ELS4_3ELNS0_20block_scan_algorithmE0ELj4294967295EEENS1_25partition_config_selectorILNS1_17partition_subalgoE4EjNS0_10empty_typeEbEEZZNS1_14partition_implILS8_4ELb0ES6_15HIP_vector_typeIjLj2EENS0_17counting_iteratorIjlEEPS9_SG_NS0_5tupleIJPjSI_NS0_16reverse_iteratorISI_EEEEENSH_IJSG_SG_SG_EEES9_SI_JZNS1_25segmented_radix_sort_implINS0_14default_configELb1EPKfPfPKlPlN2at6native12_GLOBAL__N_18offset_tEEE10hipError_tPvRmT1_PNSt15iterator_traitsIS12_E10value_typeET2_T3_PNS13_IS18_E10value_typeET4_jRbjT5_S1E_jjP12ihipStream_tbEUljE_ZNSN_ISO_Lb1ESQ_SR_ST_SU_SY_EESZ_S10_S11_S12_S16_S17_S18_S1B_S1C_jS1D_jS1E_S1E_jjS1G_bEUljE0_EEESZ_S10_S11_S18_S1C_S1E_T6_T7_T9_mT8_S1G_bDpT10_ENKUlT_T0_E_clISt17integral_constantIbLb0EES1T_IbLb1EEEEDaS1P_S1Q_EUlS1P_E_NS1_11comp_targetILNS1_3genE5ELNS1_11target_archE942ELNS1_3gpuE9ELNS1_3repE0EEENS1_30default_config_static_selectorELNS0_4arch9wavefront6targetE0EEEvS12_,comdat
.Lfunc_end1286:
	.size	_ZN7rocprim17ROCPRIM_400000_NS6detail17trampoline_kernelINS0_13select_configILj256ELj13ELNS0_17block_load_methodE3ELS4_3ELS4_3ELNS0_20block_scan_algorithmE0ELj4294967295EEENS1_25partition_config_selectorILNS1_17partition_subalgoE4EjNS0_10empty_typeEbEEZZNS1_14partition_implILS8_4ELb0ES6_15HIP_vector_typeIjLj2EENS0_17counting_iteratorIjlEEPS9_SG_NS0_5tupleIJPjSI_NS0_16reverse_iteratorISI_EEEEENSH_IJSG_SG_SG_EEES9_SI_JZNS1_25segmented_radix_sort_implINS0_14default_configELb1EPKfPfPKlPlN2at6native12_GLOBAL__N_18offset_tEEE10hipError_tPvRmT1_PNSt15iterator_traitsIS12_E10value_typeET2_T3_PNS13_IS18_E10value_typeET4_jRbjT5_S1E_jjP12ihipStream_tbEUljE_ZNSN_ISO_Lb1ESQ_SR_ST_SU_SY_EESZ_S10_S11_S12_S16_S17_S18_S1B_S1C_jS1D_jS1E_S1E_jjS1G_bEUljE0_EEESZ_S10_S11_S18_S1C_S1E_T6_T7_T9_mT8_S1G_bDpT10_ENKUlT_T0_E_clISt17integral_constantIbLb0EES1T_IbLb1EEEEDaS1P_S1Q_EUlS1P_E_NS1_11comp_targetILNS1_3genE5ELNS1_11target_archE942ELNS1_3gpuE9ELNS1_3repE0EEENS1_30default_config_static_selectorELNS0_4arch9wavefront6targetE0EEEvS12_, .Lfunc_end1286-_ZN7rocprim17ROCPRIM_400000_NS6detail17trampoline_kernelINS0_13select_configILj256ELj13ELNS0_17block_load_methodE3ELS4_3ELS4_3ELNS0_20block_scan_algorithmE0ELj4294967295EEENS1_25partition_config_selectorILNS1_17partition_subalgoE4EjNS0_10empty_typeEbEEZZNS1_14partition_implILS8_4ELb0ES6_15HIP_vector_typeIjLj2EENS0_17counting_iteratorIjlEEPS9_SG_NS0_5tupleIJPjSI_NS0_16reverse_iteratorISI_EEEEENSH_IJSG_SG_SG_EEES9_SI_JZNS1_25segmented_radix_sort_implINS0_14default_configELb1EPKfPfPKlPlN2at6native12_GLOBAL__N_18offset_tEEE10hipError_tPvRmT1_PNSt15iterator_traitsIS12_E10value_typeET2_T3_PNS13_IS18_E10value_typeET4_jRbjT5_S1E_jjP12ihipStream_tbEUljE_ZNSN_ISO_Lb1ESQ_SR_ST_SU_SY_EESZ_S10_S11_S12_S16_S17_S18_S1B_S1C_jS1D_jS1E_S1E_jjS1G_bEUljE0_EEESZ_S10_S11_S18_S1C_S1E_T6_T7_T9_mT8_S1G_bDpT10_ENKUlT_T0_E_clISt17integral_constantIbLb0EES1T_IbLb1EEEEDaS1P_S1Q_EUlS1P_E_NS1_11comp_targetILNS1_3genE5ELNS1_11target_archE942ELNS1_3gpuE9ELNS1_3repE0EEENS1_30default_config_static_selectorELNS0_4arch9wavefront6targetE0EEEvS12_
                                        ; -- End function
	.set _ZN7rocprim17ROCPRIM_400000_NS6detail17trampoline_kernelINS0_13select_configILj256ELj13ELNS0_17block_load_methodE3ELS4_3ELS4_3ELNS0_20block_scan_algorithmE0ELj4294967295EEENS1_25partition_config_selectorILNS1_17partition_subalgoE4EjNS0_10empty_typeEbEEZZNS1_14partition_implILS8_4ELb0ES6_15HIP_vector_typeIjLj2EENS0_17counting_iteratorIjlEEPS9_SG_NS0_5tupleIJPjSI_NS0_16reverse_iteratorISI_EEEEENSH_IJSG_SG_SG_EEES9_SI_JZNS1_25segmented_radix_sort_implINS0_14default_configELb1EPKfPfPKlPlN2at6native12_GLOBAL__N_18offset_tEEE10hipError_tPvRmT1_PNSt15iterator_traitsIS12_E10value_typeET2_T3_PNS13_IS18_E10value_typeET4_jRbjT5_S1E_jjP12ihipStream_tbEUljE_ZNSN_ISO_Lb1ESQ_SR_ST_SU_SY_EESZ_S10_S11_S12_S16_S17_S18_S1B_S1C_jS1D_jS1E_S1E_jjS1G_bEUljE0_EEESZ_S10_S11_S18_S1C_S1E_T6_T7_T9_mT8_S1G_bDpT10_ENKUlT_T0_E_clISt17integral_constantIbLb0EES1T_IbLb1EEEEDaS1P_S1Q_EUlS1P_E_NS1_11comp_targetILNS1_3genE5ELNS1_11target_archE942ELNS1_3gpuE9ELNS1_3repE0EEENS1_30default_config_static_selectorELNS0_4arch9wavefront6targetE0EEEvS12_.num_vgpr, 0
	.set _ZN7rocprim17ROCPRIM_400000_NS6detail17trampoline_kernelINS0_13select_configILj256ELj13ELNS0_17block_load_methodE3ELS4_3ELS4_3ELNS0_20block_scan_algorithmE0ELj4294967295EEENS1_25partition_config_selectorILNS1_17partition_subalgoE4EjNS0_10empty_typeEbEEZZNS1_14partition_implILS8_4ELb0ES6_15HIP_vector_typeIjLj2EENS0_17counting_iteratorIjlEEPS9_SG_NS0_5tupleIJPjSI_NS0_16reverse_iteratorISI_EEEEENSH_IJSG_SG_SG_EEES9_SI_JZNS1_25segmented_radix_sort_implINS0_14default_configELb1EPKfPfPKlPlN2at6native12_GLOBAL__N_18offset_tEEE10hipError_tPvRmT1_PNSt15iterator_traitsIS12_E10value_typeET2_T3_PNS13_IS18_E10value_typeET4_jRbjT5_S1E_jjP12ihipStream_tbEUljE_ZNSN_ISO_Lb1ESQ_SR_ST_SU_SY_EESZ_S10_S11_S12_S16_S17_S18_S1B_S1C_jS1D_jS1E_S1E_jjS1G_bEUljE0_EEESZ_S10_S11_S18_S1C_S1E_T6_T7_T9_mT8_S1G_bDpT10_ENKUlT_T0_E_clISt17integral_constantIbLb0EES1T_IbLb1EEEEDaS1P_S1Q_EUlS1P_E_NS1_11comp_targetILNS1_3genE5ELNS1_11target_archE942ELNS1_3gpuE9ELNS1_3repE0EEENS1_30default_config_static_selectorELNS0_4arch9wavefront6targetE0EEEvS12_.num_agpr, 0
	.set _ZN7rocprim17ROCPRIM_400000_NS6detail17trampoline_kernelINS0_13select_configILj256ELj13ELNS0_17block_load_methodE3ELS4_3ELS4_3ELNS0_20block_scan_algorithmE0ELj4294967295EEENS1_25partition_config_selectorILNS1_17partition_subalgoE4EjNS0_10empty_typeEbEEZZNS1_14partition_implILS8_4ELb0ES6_15HIP_vector_typeIjLj2EENS0_17counting_iteratorIjlEEPS9_SG_NS0_5tupleIJPjSI_NS0_16reverse_iteratorISI_EEEEENSH_IJSG_SG_SG_EEES9_SI_JZNS1_25segmented_radix_sort_implINS0_14default_configELb1EPKfPfPKlPlN2at6native12_GLOBAL__N_18offset_tEEE10hipError_tPvRmT1_PNSt15iterator_traitsIS12_E10value_typeET2_T3_PNS13_IS18_E10value_typeET4_jRbjT5_S1E_jjP12ihipStream_tbEUljE_ZNSN_ISO_Lb1ESQ_SR_ST_SU_SY_EESZ_S10_S11_S12_S16_S17_S18_S1B_S1C_jS1D_jS1E_S1E_jjS1G_bEUljE0_EEESZ_S10_S11_S18_S1C_S1E_T6_T7_T9_mT8_S1G_bDpT10_ENKUlT_T0_E_clISt17integral_constantIbLb0EES1T_IbLb1EEEEDaS1P_S1Q_EUlS1P_E_NS1_11comp_targetILNS1_3genE5ELNS1_11target_archE942ELNS1_3gpuE9ELNS1_3repE0EEENS1_30default_config_static_selectorELNS0_4arch9wavefront6targetE0EEEvS12_.numbered_sgpr, 0
	.set _ZN7rocprim17ROCPRIM_400000_NS6detail17trampoline_kernelINS0_13select_configILj256ELj13ELNS0_17block_load_methodE3ELS4_3ELS4_3ELNS0_20block_scan_algorithmE0ELj4294967295EEENS1_25partition_config_selectorILNS1_17partition_subalgoE4EjNS0_10empty_typeEbEEZZNS1_14partition_implILS8_4ELb0ES6_15HIP_vector_typeIjLj2EENS0_17counting_iteratorIjlEEPS9_SG_NS0_5tupleIJPjSI_NS0_16reverse_iteratorISI_EEEEENSH_IJSG_SG_SG_EEES9_SI_JZNS1_25segmented_radix_sort_implINS0_14default_configELb1EPKfPfPKlPlN2at6native12_GLOBAL__N_18offset_tEEE10hipError_tPvRmT1_PNSt15iterator_traitsIS12_E10value_typeET2_T3_PNS13_IS18_E10value_typeET4_jRbjT5_S1E_jjP12ihipStream_tbEUljE_ZNSN_ISO_Lb1ESQ_SR_ST_SU_SY_EESZ_S10_S11_S12_S16_S17_S18_S1B_S1C_jS1D_jS1E_S1E_jjS1G_bEUljE0_EEESZ_S10_S11_S18_S1C_S1E_T6_T7_T9_mT8_S1G_bDpT10_ENKUlT_T0_E_clISt17integral_constantIbLb0EES1T_IbLb1EEEEDaS1P_S1Q_EUlS1P_E_NS1_11comp_targetILNS1_3genE5ELNS1_11target_archE942ELNS1_3gpuE9ELNS1_3repE0EEENS1_30default_config_static_selectorELNS0_4arch9wavefront6targetE0EEEvS12_.num_named_barrier, 0
	.set _ZN7rocprim17ROCPRIM_400000_NS6detail17trampoline_kernelINS0_13select_configILj256ELj13ELNS0_17block_load_methodE3ELS4_3ELS4_3ELNS0_20block_scan_algorithmE0ELj4294967295EEENS1_25partition_config_selectorILNS1_17partition_subalgoE4EjNS0_10empty_typeEbEEZZNS1_14partition_implILS8_4ELb0ES6_15HIP_vector_typeIjLj2EENS0_17counting_iteratorIjlEEPS9_SG_NS0_5tupleIJPjSI_NS0_16reverse_iteratorISI_EEEEENSH_IJSG_SG_SG_EEES9_SI_JZNS1_25segmented_radix_sort_implINS0_14default_configELb1EPKfPfPKlPlN2at6native12_GLOBAL__N_18offset_tEEE10hipError_tPvRmT1_PNSt15iterator_traitsIS12_E10value_typeET2_T3_PNS13_IS18_E10value_typeET4_jRbjT5_S1E_jjP12ihipStream_tbEUljE_ZNSN_ISO_Lb1ESQ_SR_ST_SU_SY_EESZ_S10_S11_S12_S16_S17_S18_S1B_S1C_jS1D_jS1E_S1E_jjS1G_bEUljE0_EEESZ_S10_S11_S18_S1C_S1E_T6_T7_T9_mT8_S1G_bDpT10_ENKUlT_T0_E_clISt17integral_constantIbLb0EES1T_IbLb1EEEEDaS1P_S1Q_EUlS1P_E_NS1_11comp_targetILNS1_3genE5ELNS1_11target_archE942ELNS1_3gpuE9ELNS1_3repE0EEENS1_30default_config_static_selectorELNS0_4arch9wavefront6targetE0EEEvS12_.private_seg_size, 0
	.set _ZN7rocprim17ROCPRIM_400000_NS6detail17trampoline_kernelINS0_13select_configILj256ELj13ELNS0_17block_load_methodE3ELS4_3ELS4_3ELNS0_20block_scan_algorithmE0ELj4294967295EEENS1_25partition_config_selectorILNS1_17partition_subalgoE4EjNS0_10empty_typeEbEEZZNS1_14partition_implILS8_4ELb0ES6_15HIP_vector_typeIjLj2EENS0_17counting_iteratorIjlEEPS9_SG_NS0_5tupleIJPjSI_NS0_16reverse_iteratorISI_EEEEENSH_IJSG_SG_SG_EEES9_SI_JZNS1_25segmented_radix_sort_implINS0_14default_configELb1EPKfPfPKlPlN2at6native12_GLOBAL__N_18offset_tEEE10hipError_tPvRmT1_PNSt15iterator_traitsIS12_E10value_typeET2_T3_PNS13_IS18_E10value_typeET4_jRbjT5_S1E_jjP12ihipStream_tbEUljE_ZNSN_ISO_Lb1ESQ_SR_ST_SU_SY_EESZ_S10_S11_S12_S16_S17_S18_S1B_S1C_jS1D_jS1E_S1E_jjS1G_bEUljE0_EEESZ_S10_S11_S18_S1C_S1E_T6_T7_T9_mT8_S1G_bDpT10_ENKUlT_T0_E_clISt17integral_constantIbLb0EES1T_IbLb1EEEEDaS1P_S1Q_EUlS1P_E_NS1_11comp_targetILNS1_3genE5ELNS1_11target_archE942ELNS1_3gpuE9ELNS1_3repE0EEENS1_30default_config_static_selectorELNS0_4arch9wavefront6targetE0EEEvS12_.uses_vcc, 0
	.set _ZN7rocprim17ROCPRIM_400000_NS6detail17trampoline_kernelINS0_13select_configILj256ELj13ELNS0_17block_load_methodE3ELS4_3ELS4_3ELNS0_20block_scan_algorithmE0ELj4294967295EEENS1_25partition_config_selectorILNS1_17partition_subalgoE4EjNS0_10empty_typeEbEEZZNS1_14partition_implILS8_4ELb0ES6_15HIP_vector_typeIjLj2EENS0_17counting_iteratorIjlEEPS9_SG_NS0_5tupleIJPjSI_NS0_16reverse_iteratorISI_EEEEENSH_IJSG_SG_SG_EEES9_SI_JZNS1_25segmented_radix_sort_implINS0_14default_configELb1EPKfPfPKlPlN2at6native12_GLOBAL__N_18offset_tEEE10hipError_tPvRmT1_PNSt15iterator_traitsIS12_E10value_typeET2_T3_PNS13_IS18_E10value_typeET4_jRbjT5_S1E_jjP12ihipStream_tbEUljE_ZNSN_ISO_Lb1ESQ_SR_ST_SU_SY_EESZ_S10_S11_S12_S16_S17_S18_S1B_S1C_jS1D_jS1E_S1E_jjS1G_bEUljE0_EEESZ_S10_S11_S18_S1C_S1E_T6_T7_T9_mT8_S1G_bDpT10_ENKUlT_T0_E_clISt17integral_constantIbLb0EES1T_IbLb1EEEEDaS1P_S1Q_EUlS1P_E_NS1_11comp_targetILNS1_3genE5ELNS1_11target_archE942ELNS1_3gpuE9ELNS1_3repE0EEENS1_30default_config_static_selectorELNS0_4arch9wavefront6targetE0EEEvS12_.uses_flat_scratch, 0
	.set _ZN7rocprim17ROCPRIM_400000_NS6detail17trampoline_kernelINS0_13select_configILj256ELj13ELNS0_17block_load_methodE3ELS4_3ELS4_3ELNS0_20block_scan_algorithmE0ELj4294967295EEENS1_25partition_config_selectorILNS1_17partition_subalgoE4EjNS0_10empty_typeEbEEZZNS1_14partition_implILS8_4ELb0ES6_15HIP_vector_typeIjLj2EENS0_17counting_iteratorIjlEEPS9_SG_NS0_5tupleIJPjSI_NS0_16reverse_iteratorISI_EEEEENSH_IJSG_SG_SG_EEES9_SI_JZNS1_25segmented_radix_sort_implINS0_14default_configELb1EPKfPfPKlPlN2at6native12_GLOBAL__N_18offset_tEEE10hipError_tPvRmT1_PNSt15iterator_traitsIS12_E10value_typeET2_T3_PNS13_IS18_E10value_typeET4_jRbjT5_S1E_jjP12ihipStream_tbEUljE_ZNSN_ISO_Lb1ESQ_SR_ST_SU_SY_EESZ_S10_S11_S12_S16_S17_S18_S1B_S1C_jS1D_jS1E_S1E_jjS1G_bEUljE0_EEESZ_S10_S11_S18_S1C_S1E_T6_T7_T9_mT8_S1G_bDpT10_ENKUlT_T0_E_clISt17integral_constantIbLb0EES1T_IbLb1EEEEDaS1P_S1Q_EUlS1P_E_NS1_11comp_targetILNS1_3genE5ELNS1_11target_archE942ELNS1_3gpuE9ELNS1_3repE0EEENS1_30default_config_static_selectorELNS0_4arch9wavefront6targetE0EEEvS12_.has_dyn_sized_stack, 0
	.set _ZN7rocprim17ROCPRIM_400000_NS6detail17trampoline_kernelINS0_13select_configILj256ELj13ELNS0_17block_load_methodE3ELS4_3ELS4_3ELNS0_20block_scan_algorithmE0ELj4294967295EEENS1_25partition_config_selectorILNS1_17partition_subalgoE4EjNS0_10empty_typeEbEEZZNS1_14partition_implILS8_4ELb0ES6_15HIP_vector_typeIjLj2EENS0_17counting_iteratorIjlEEPS9_SG_NS0_5tupleIJPjSI_NS0_16reverse_iteratorISI_EEEEENSH_IJSG_SG_SG_EEES9_SI_JZNS1_25segmented_radix_sort_implINS0_14default_configELb1EPKfPfPKlPlN2at6native12_GLOBAL__N_18offset_tEEE10hipError_tPvRmT1_PNSt15iterator_traitsIS12_E10value_typeET2_T3_PNS13_IS18_E10value_typeET4_jRbjT5_S1E_jjP12ihipStream_tbEUljE_ZNSN_ISO_Lb1ESQ_SR_ST_SU_SY_EESZ_S10_S11_S12_S16_S17_S18_S1B_S1C_jS1D_jS1E_S1E_jjS1G_bEUljE0_EEESZ_S10_S11_S18_S1C_S1E_T6_T7_T9_mT8_S1G_bDpT10_ENKUlT_T0_E_clISt17integral_constantIbLb0EES1T_IbLb1EEEEDaS1P_S1Q_EUlS1P_E_NS1_11comp_targetILNS1_3genE5ELNS1_11target_archE942ELNS1_3gpuE9ELNS1_3repE0EEENS1_30default_config_static_selectorELNS0_4arch9wavefront6targetE0EEEvS12_.has_recursion, 0
	.set _ZN7rocprim17ROCPRIM_400000_NS6detail17trampoline_kernelINS0_13select_configILj256ELj13ELNS0_17block_load_methodE3ELS4_3ELS4_3ELNS0_20block_scan_algorithmE0ELj4294967295EEENS1_25partition_config_selectorILNS1_17partition_subalgoE4EjNS0_10empty_typeEbEEZZNS1_14partition_implILS8_4ELb0ES6_15HIP_vector_typeIjLj2EENS0_17counting_iteratorIjlEEPS9_SG_NS0_5tupleIJPjSI_NS0_16reverse_iteratorISI_EEEEENSH_IJSG_SG_SG_EEES9_SI_JZNS1_25segmented_radix_sort_implINS0_14default_configELb1EPKfPfPKlPlN2at6native12_GLOBAL__N_18offset_tEEE10hipError_tPvRmT1_PNSt15iterator_traitsIS12_E10value_typeET2_T3_PNS13_IS18_E10value_typeET4_jRbjT5_S1E_jjP12ihipStream_tbEUljE_ZNSN_ISO_Lb1ESQ_SR_ST_SU_SY_EESZ_S10_S11_S12_S16_S17_S18_S1B_S1C_jS1D_jS1E_S1E_jjS1G_bEUljE0_EEESZ_S10_S11_S18_S1C_S1E_T6_T7_T9_mT8_S1G_bDpT10_ENKUlT_T0_E_clISt17integral_constantIbLb0EES1T_IbLb1EEEEDaS1P_S1Q_EUlS1P_E_NS1_11comp_targetILNS1_3genE5ELNS1_11target_archE942ELNS1_3gpuE9ELNS1_3repE0EEENS1_30default_config_static_selectorELNS0_4arch9wavefront6targetE0EEEvS12_.has_indirect_call, 0
	.section	.AMDGPU.csdata,"",@progbits
; Kernel info:
; codeLenInByte = 0
; TotalNumSgprs: 0
; NumVgprs: 0
; ScratchSize: 0
; MemoryBound: 0
; FloatMode: 240
; IeeeMode: 1
; LDSByteSize: 0 bytes/workgroup (compile time only)
; SGPRBlocks: 0
; VGPRBlocks: 0
; NumSGPRsForWavesPerEU: 1
; NumVGPRsForWavesPerEU: 1
; Occupancy: 16
; WaveLimiterHint : 0
; COMPUTE_PGM_RSRC2:SCRATCH_EN: 0
; COMPUTE_PGM_RSRC2:USER_SGPR: 2
; COMPUTE_PGM_RSRC2:TRAP_HANDLER: 0
; COMPUTE_PGM_RSRC2:TGID_X_EN: 1
; COMPUTE_PGM_RSRC2:TGID_Y_EN: 0
; COMPUTE_PGM_RSRC2:TGID_Z_EN: 0
; COMPUTE_PGM_RSRC2:TIDIG_COMP_CNT: 0
	.section	.text._ZN7rocprim17ROCPRIM_400000_NS6detail17trampoline_kernelINS0_13select_configILj256ELj13ELNS0_17block_load_methodE3ELS4_3ELS4_3ELNS0_20block_scan_algorithmE0ELj4294967295EEENS1_25partition_config_selectorILNS1_17partition_subalgoE4EjNS0_10empty_typeEbEEZZNS1_14partition_implILS8_4ELb0ES6_15HIP_vector_typeIjLj2EENS0_17counting_iteratorIjlEEPS9_SG_NS0_5tupleIJPjSI_NS0_16reverse_iteratorISI_EEEEENSH_IJSG_SG_SG_EEES9_SI_JZNS1_25segmented_radix_sort_implINS0_14default_configELb1EPKfPfPKlPlN2at6native12_GLOBAL__N_18offset_tEEE10hipError_tPvRmT1_PNSt15iterator_traitsIS12_E10value_typeET2_T3_PNS13_IS18_E10value_typeET4_jRbjT5_S1E_jjP12ihipStream_tbEUljE_ZNSN_ISO_Lb1ESQ_SR_ST_SU_SY_EESZ_S10_S11_S12_S16_S17_S18_S1B_S1C_jS1D_jS1E_S1E_jjS1G_bEUljE0_EEESZ_S10_S11_S18_S1C_S1E_T6_T7_T9_mT8_S1G_bDpT10_ENKUlT_T0_E_clISt17integral_constantIbLb0EES1T_IbLb1EEEEDaS1P_S1Q_EUlS1P_E_NS1_11comp_targetILNS1_3genE4ELNS1_11target_archE910ELNS1_3gpuE8ELNS1_3repE0EEENS1_30default_config_static_selectorELNS0_4arch9wavefront6targetE0EEEvS12_,"axG",@progbits,_ZN7rocprim17ROCPRIM_400000_NS6detail17trampoline_kernelINS0_13select_configILj256ELj13ELNS0_17block_load_methodE3ELS4_3ELS4_3ELNS0_20block_scan_algorithmE0ELj4294967295EEENS1_25partition_config_selectorILNS1_17partition_subalgoE4EjNS0_10empty_typeEbEEZZNS1_14partition_implILS8_4ELb0ES6_15HIP_vector_typeIjLj2EENS0_17counting_iteratorIjlEEPS9_SG_NS0_5tupleIJPjSI_NS0_16reverse_iteratorISI_EEEEENSH_IJSG_SG_SG_EEES9_SI_JZNS1_25segmented_radix_sort_implINS0_14default_configELb1EPKfPfPKlPlN2at6native12_GLOBAL__N_18offset_tEEE10hipError_tPvRmT1_PNSt15iterator_traitsIS12_E10value_typeET2_T3_PNS13_IS18_E10value_typeET4_jRbjT5_S1E_jjP12ihipStream_tbEUljE_ZNSN_ISO_Lb1ESQ_SR_ST_SU_SY_EESZ_S10_S11_S12_S16_S17_S18_S1B_S1C_jS1D_jS1E_S1E_jjS1G_bEUljE0_EEESZ_S10_S11_S18_S1C_S1E_T6_T7_T9_mT8_S1G_bDpT10_ENKUlT_T0_E_clISt17integral_constantIbLb0EES1T_IbLb1EEEEDaS1P_S1Q_EUlS1P_E_NS1_11comp_targetILNS1_3genE4ELNS1_11target_archE910ELNS1_3gpuE8ELNS1_3repE0EEENS1_30default_config_static_selectorELNS0_4arch9wavefront6targetE0EEEvS12_,comdat
	.globl	_ZN7rocprim17ROCPRIM_400000_NS6detail17trampoline_kernelINS0_13select_configILj256ELj13ELNS0_17block_load_methodE3ELS4_3ELS4_3ELNS0_20block_scan_algorithmE0ELj4294967295EEENS1_25partition_config_selectorILNS1_17partition_subalgoE4EjNS0_10empty_typeEbEEZZNS1_14partition_implILS8_4ELb0ES6_15HIP_vector_typeIjLj2EENS0_17counting_iteratorIjlEEPS9_SG_NS0_5tupleIJPjSI_NS0_16reverse_iteratorISI_EEEEENSH_IJSG_SG_SG_EEES9_SI_JZNS1_25segmented_radix_sort_implINS0_14default_configELb1EPKfPfPKlPlN2at6native12_GLOBAL__N_18offset_tEEE10hipError_tPvRmT1_PNSt15iterator_traitsIS12_E10value_typeET2_T3_PNS13_IS18_E10value_typeET4_jRbjT5_S1E_jjP12ihipStream_tbEUljE_ZNSN_ISO_Lb1ESQ_SR_ST_SU_SY_EESZ_S10_S11_S12_S16_S17_S18_S1B_S1C_jS1D_jS1E_S1E_jjS1G_bEUljE0_EEESZ_S10_S11_S18_S1C_S1E_T6_T7_T9_mT8_S1G_bDpT10_ENKUlT_T0_E_clISt17integral_constantIbLb0EES1T_IbLb1EEEEDaS1P_S1Q_EUlS1P_E_NS1_11comp_targetILNS1_3genE4ELNS1_11target_archE910ELNS1_3gpuE8ELNS1_3repE0EEENS1_30default_config_static_selectorELNS0_4arch9wavefront6targetE0EEEvS12_ ; -- Begin function _ZN7rocprim17ROCPRIM_400000_NS6detail17trampoline_kernelINS0_13select_configILj256ELj13ELNS0_17block_load_methodE3ELS4_3ELS4_3ELNS0_20block_scan_algorithmE0ELj4294967295EEENS1_25partition_config_selectorILNS1_17partition_subalgoE4EjNS0_10empty_typeEbEEZZNS1_14partition_implILS8_4ELb0ES6_15HIP_vector_typeIjLj2EENS0_17counting_iteratorIjlEEPS9_SG_NS0_5tupleIJPjSI_NS0_16reverse_iteratorISI_EEEEENSH_IJSG_SG_SG_EEES9_SI_JZNS1_25segmented_radix_sort_implINS0_14default_configELb1EPKfPfPKlPlN2at6native12_GLOBAL__N_18offset_tEEE10hipError_tPvRmT1_PNSt15iterator_traitsIS12_E10value_typeET2_T3_PNS13_IS18_E10value_typeET4_jRbjT5_S1E_jjP12ihipStream_tbEUljE_ZNSN_ISO_Lb1ESQ_SR_ST_SU_SY_EESZ_S10_S11_S12_S16_S17_S18_S1B_S1C_jS1D_jS1E_S1E_jjS1G_bEUljE0_EEESZ_S10_S11_S18_S1C_S1E_T6_T7_T9_mT8_S1G_bDpT10_ENKUlT_T0_E_clISt17integral_constantIbLb0EES1T_IbLb1EEEEDaS1P_S1Q_EUlS1P_E_NS1_11comp_targetILNS1_3genE4ELNS1_11target_archE910ELNS1_3gpuE8ELNS1_3repE0EEENS1_30default_config_static_selectorELNS0_4arch9wavefront6targetE0EEEvS12_
	.p2align	8
	.type	_ZN7rocprim17ROCPRIM_400000_NS6detail17trampoline_kernelINS0_13select_configILj256ELj13ELNS0_17block_load_methodE3ELS4_3ELS4_3ELNS0_20block_scan_algorithmE0ELj4294967295EEENS1_25partition_config_selectorILNS1_17partition_subalgoE4EjNS0_10empty_typeEbEEZZNS1_14partition_implILS8_4ELb0ES6_15HIP_vector_typeIjLj2EENS0_17counting_iteratorIjlEEPS9_SG_NS0_5tupleIJPjSI_NS0_16reverse_iteratorISI_EEEEENSH_IJSG_SG_SG_EEES9_SI_JZNS1_25segmented_radix_sort_implINS0_14default_configELb1EPKfPfPKlPlN2at6native12_GLOBAL__N_18offset_tEEE10hipError_tPvRmT1_PNSt15iterator_traitsIS12_E10value_typeET2_T3_PNS13_IS18_E10value_typeET4_jRbjT5_S1E_jjP12ihipStream_tbEUljE_ZNSN_ISO_Lb1ESQ_SR_ST_SU_SY_EESZ_S10_S11_S12_S16_S17_S18_S1B_S1C_jS1D_jS1E_S1E_jjS1G_bEUljE0_EEESZ_S10_S11_S18_S1C_S1E_T6_T7_T9_mT8_S1G_bDpT10_ENKUlT_T0_E_clISt17integral_constantIbLb0EES1T_IbLb1EEEEDaS1P_S1Q_EUlS1P_E_NS1_11comp_targetILNS1_3genE4ELNS1_11target_archE910ELNS1_3gpuE8ELNS1_3repE0EEENS1_30default_config_static_selectorELNS0_4arch9wavefront6targetE0EEEvS12_,@function
_ZN7rocprim17ROCPRIM_400000_NS6detail17trampoline_kernelINS0_13select_configILj256ELj13ELNS0_17block_load_methodE3ELS4_3ELS4_3ELNS0_20block_scan_algorithmE0ELj4294967295EEENS1_25partition_config_selectorILNS1_17partition_subalgoE4EjNS0_10empty_typeEbEEZZNS1_14partition_implILS8_4ELb0ES6_15HIP_vector_typeIjLj2EENS0_17counting_iteratorIjlEEPS9_SG_NS0_5tupleIJPjSI_NS0_16reverse_iteratorISI_EEEEENSH_IJSG_SG_SG_EEES9_SI_JZNS1_25segmented_radix_sort_implINS0_14default_configELb1EPKfPfPKlPlN2at6native12_GLOBAL__N_18offset_tEEE10hipError_tPvRmT1_PNSt15iterator_traitsIS12_E10value_typeET2_T3_PNS13_IS18_E10value_typeET4_jRbjT5_S1E_jjP12ihipStream_tbEUljE_ZNSN_ISO_Lb1ESQ_SR_ST_SU_SY_EESZ_S10_S11_S12_S16_S17_S18_S1B_S1C_jS1D_jS1E_S1E_jjS1G_bEUljE0_EEESZ_S10_S11_S18_S1C_S1E_T6_T7_T9_mT8_S1G_bDpT10_ENKUlT_T0_E_clISt17integral_constantIbLb0EES1T_IbLb1EEEEDaS1P_S1Q_EUlS1P_E_NS1_11comp_targetILNS1_3genE4ELNS1_11target_archE910ELNS1_3gpuE8ELNS1_3repE0EEENS1_30default_config_static_selectorELNS0_4arch9wavefront6targetE0EEEvS12_: ; @_ZN7rocprim17ROCPRIM_400000_NS6detail17trampoline_kernelINS0_13select_configILj256ELj13ELNS0_17block_load_methodE3ELS4_3ELS4_3ELNS0_20block_scan_algorithmE0ELj4294967295EEENS1_25partition_config_selectorILNS1_17partition_subalgoE4EjNS0_10empty_typeEbEEZZNS1_14partition_implILS8_4ELb0ES6_15HIP_vector_typeIjLj2EENS0_17counting_iteratorIjlEEPS9_SG_NS0_5tupleIJPjSI_NS0_16reverse_iteratorISI_EEEEENSH_IJSG_SG_SG_EEES9_SI_JZNS1_25segmented_radix_sort_implINS0_14default_configELb1EPKfPfPKlPlN2at6native12_GLOBAL__N_18offset_tEEE10hipError_tPvRmT1_PNSt15iterator_traitsIS12_E10value_typeET2_T3_PNS13_IS18_E10value_typeET4_jRbjT5_S1E_jjP12ihipStream_tbEUljE_ZNSN_ISO_Lb1ESQ_SR_ST_SU_SY_EESZ_S10_S11_S12_S16_S17_S18_S1B_S1C_jS1D_jS1E_S1E_jjS1G_bEUljE0_EEESZ_S10_S11_S18_S1C_S1E_T6_T7_T9_mT8_S1G_bDpT10_ENKUlT_T0_E_clISt17integral_constantIbLb0EES1T_IbLb1EEEEDaS1P_S1Q_EUlS1P_E_NS1_11comp_targetILNS1_3genE4ELNS1_11target_archE910ELNS1_3gpuE8ELNS1_3repE0EEENS1_30default_config_static_selectorELNS0_4arch9wavefront6targetE0EEEvS12_
; %bb.0:
	.section	.rodata,"a",@progbits
	.p2align	6, 0x0
	.amdhsa_kernel _ZN7rocprim17ROCPRIM_400000_NS6detail17trampoline_kernelINS0_13select_configILj256ELj13ELNS0_17block_load_methodE3ELS4_3ELS4_3ELNS0_20block_scan_algorithmE0ELj4294967295EEENS1_25partition_config_selectorILNS1_17partition_subalgoE4EjNS0_10empty_typeEbEEZZNS1_14partition_implILS8_4ELb0ES6_15HIP_vector_typeIjLj2EENS0_17counting_iteratorIjlEEPS9_SG_NS0_5tupleIJPjSI_NS0_16reverse_iteratorISI_EEEEENSH_IJSG_SG_SG_EEES9_SI_JZNS1_25segmented_radix_sort_implINS0_14default_configELb1EPKfPfPKlPlN2at6native12_GLOBAL__N_18offset_tEEE10hipError_tPvRmT1_PNSt15iterator_traitsIS12_E10value_typeET2_T3_PNS13_IS18_E10value_typeET4_jRbjT5_S1E_jjP12ihipStream_tbEUljE_ZNSN_ISO_Lb1ESQ_SR_ST_SU_SY_EESZ_S10_S11_S12_S16_S17_S18_S1B_S1C_jS1D_jS1E_S1E_jjS1G_bEUljE0_EEESZ_S10_S11_S18_S1C_S1E_T6_T7_T9_mT8_S1G_bDpT10_ENKUlT_T0_E_clISt17integral_constantIbLb0EES1T_IbLb1EEEEDaS1P_S1Q_EUlS1P_E_NS1_11comp_targetILNS1_3genE4ELNS1_11target_archE910ELNS1_3gpuE8ELNS1_3repE0EEENS1_30default_config_static_selectorELNS0_4arch9wavefront6targetE0EEEvS12_
		.amdhsa_group_segment_fixed_size 0
		.amdhsa_private_segment_fixed_size 0
		.amdhsa_kernarg_size 184
		.amdhsa_user_sgpr_count 2
		.amdhsa_user_sgpr_dispatch_ptr 0
		.amdhsa_user_sgpr_queue_ptr 0
		.amdhsa_user_sgpr_kernarg_segment_ptr 1
		.amdhsa_user_sgpr_dispatch_id 0
		.amdhsa_user_sgpr_private_segment_size 0
		.amdhsa_wavefront_size32 1
		.amdhsa_uses_dynamic_stack 0
		.amdhsa_enable_private_segment 0
		.amdhsa_system_sgpr_workgroup_id_x 1
		.amdhsa_system_sgpr_workgroup_id_y 0
		.amdhsa_system_sgpr_workgroup_id_z 0
		.amdhsa_system_sgpr_workgroup_info 0
		.amdhsa_system_vgpr_workitem_id 0
		.amdhsa_next_free_vgpr 1
		.amdhsa_next_free_sgpr 1
		.amdhsa_reserve_vcc 0
		.amdhsa_float_round_mode_32 0
		.amdhsa_float_round_mode_16_64 0
		.amdhsa_float_denorm_mode_32 3
		.amdhsa_float_denorm_mode_16_64 3
		.amdhsa_fp16_overflow 0
		.amdhsa_workgroup_processor_mode 1
		.amdhsa_memory_ordered 1
		.amdhsa_forward_progress 1
		.amdhsa_inst_pref_size 0
		.amdhsa_round_robin_scheduling 0
		.amdhsa_exception_fp_ieee_invalid_op 0
		.amdhsa_exception_fp_denorm_src 0
		.amdhsa_exception_fp_ieee_div_zero 0
		.amdhsa_exception_fp_ieee_overflow 0
		.amdhsa_exception_fp_ieee_underflow 0
		.amdhsa_exception_fp_ieee_inexact 0
		.amdhsa_exception_int_div_zero 0
	.end_amdhsa_kernel
	.section	.text._ZN7rocprim17ROCPRIM_400000_NS6detail17trampoline_kernelINS0_13select_configILj256ELj13ELNS0_17block_load_methodE3ELS4_3ELS4_3ELNS0_20block_scan_algorithmE0ELj4294967295EEENS1_25partition_config_selectorILNS1_17partition_subalgoE4EjNS0_10empty_typeEbEEZZNS1_14partition_implILS8_4ELb0ES6_15HIP_vector_typeIjLj2EENS0_17counting_iteratorIjlEEPS9_SG_NS0_5tupleIJPjSI_NS0_16reverse_iteratorISI_EEEEENSH_IJSG_SG_SG_EEES9_SI_JZNS1_25segmented_radix_sort_implINS0_14default_configELb1EPKfPfPKlPlN2at6native12_GLOBAL__N_18offset_tEEE10hipError_tPvRmT1_PNSt15iterator_traitsIS12_E10value_typeET2_T3_PNS13_IS18_E10value_typeET4_jRbjT5_S1E_jjP12ihipStream_tbEUljE_ZNSN_ISO_Lb1ESQ_SR_ST_SU_SY_EESZ_S10_S11_S12_S16_S17_S18_S1B_S1C_jS1D_jS1E_S1E_jjS1G_bEUljE0_EEESZ_S10_S11_S18_S1C_S1E_T6_T7_T9_mT8_S1G_bDpT10_ENKUlT_T0_E_clISt17integral_constantIbLb0EES1T_IbLb1EEEEDaS1P_S1Q_EUlS1P_E_NS1_11comp_targetILNS1_3genE4ELNS1_11target_archE910ELNS1_3gpuE8ELNS1_3repE0EEENS1_30default_config_static_selectorELNS0_4arch9wavefront6targetE0EEEvS12_,"axG",@progbits,_ZN7rocprim17ROCPRIM_400000_NS6detail17trampoline_kernelINS0_13select_configILj256ELj13ELNS0_17block_load_methodE3ELS4_3ELS4_3ELNS0_20block_scan_algorithmE0ELj4294967295EEENS1_25partition_config_selectorILNS1_17partition_subalgoE4EjNS0_10empty_typeEbEEZZNS1_14partition_implILS8_4ELb0ES6_15HIP_vector_typeIjLj2EENS0_17counting_iteratorIjlEEPS9_SG_NS0_5tupleIJPjSI_NS0_16reverse_iteratorISI_EEEEENSH_IJSG_SG_SG_EEES9_SI_JZNS1_25segmented_radix_sort_implINS0_14default_configELb1EPKfPfPKlPlN2at6native12_GLOBAL__N_18offset_tEEE10hipError_tPvRmT1_PNSt15iterator_traitsIS12_E10value_typeET2_T3_PNS13_IS18_E10value_typeET4_jRbjT5_S1E_jjP12ihipStream_tbEUljE_ZNSN_ISO_Lb1ESQ_SR_ST_SU_SY_EESZ_S10_S11_S12_S16_S17_S18_S1B_S1C_jS1D_jS1E_S1E_jjS1G_bEUljE0_EEESZ_S10_S11_S18_S1C_S1E_T6_T7_T9_mT8_S1G_bDpT10_ENKUlT_T0_E_clISt17integral_constantIbLb0EES1T_IbLb1EEEEDaS1P_S1Q_EUlS1P_E_NS1_11comp_targetILNS1_3genE4ELNS1_11target_archE910ELNS1_3gpuE8ELNS1_3repE0EEENS1_30default_config_static_selectorELNS0_4arch9wavefront6targetE0EEEvS12_,comdat
.Lfunc_end1287:
	.size	_ZN7rocprim17ROCPRIM_400000_NS6detail17trampoline_kernelINS0_13select_configILj256ELj13ELNS0_17block_load_methodE3ELS4_3ELS4_3ELNS0_20block_scan_algorithmE0ELj4294967295EEENS1_25partition_config_selectorILNS1_17partition_subalgoE4EjNS0_10empty_typeEbEEZZNS1_14partition_implILS8_4ELb0ES6_15HIP_vector_typeIjLj2EENS0_17counting_iteratorIjlEEPS9_SG_NS0_5tupleIJPjSI_NS0_16reverse_iteratorISI_EEEEENSH_IJSG_SG_SG_EEES9_SI_JZNS1_25segmented_radix_sort_implINS0_14default_configELb1EPKfPfPKlPlN2at6native12_GLOBAL__N_18offset_tEEE10hipError_tPvRmT1_PNSt15iterator_traitsIS12_E10value_typeET2_T3_PNS13_IS18_E10value_typeET4_jRbjT5_S1E_jjP12ihipStream_tbEUljE_ZNSN_ISO_Lb1ESQ_SR_ST_SU_SY_EESZ_S10_S11_S12_S16_S17_S18_S1B_S1C_jS1D_jS1E_S1E_jjS1G_bEUljE0_EEESZ_S10_S11_S18_S1C_S1E_T6_T7_T9_mT8_S1G_bDpT10_ENKUlT_T0_E_clISt17integral_constantIbLb0EES1T_IbLb1EEEEDaS1P_S1Q_EUlS1P_E_NS1_11comp_targetILNS1_3genE4ELNS1_11target_archE910ELNS1_3gpuE8ELNS1_3repE0EEENS1_30default_config_static_selectorELNS0_4arch9wavefront6targetE0EEEvS12_, .Lfunc_end1287-_ZN7rocprim17ROCPRIM_400000_NS6detail17trampoline_kernelINS0_13select_configILj256ELj13ELNS0_17block_load_methodE3ELS4_3ELS4_3ELNS0_20block_scan_algorithmE0ELj4294967295EEENS1_25partition_config_selectorILNS1_17partition_subalgoE4EjNS0_10empty_typeEbEEZZNS1_14partition_implILS8_4ELb0ES6_15HIP_vector_typeIjLj2EENS0_17counting_iteratorIjlEEPS9_SG_NS0_5tupleIJPjSI_NS0_16reverse_iteratorISI_EEEEENSH_IJSG_SG_SG_EEES9_SI_JZNS1_25segmented_radix_sort_implINS0_14default_configELb1EPKfPfPKlPlN2at6native12_GLOBAL__N_18offset_tEEE10hipError_tPvRmT1_PNSt15iterator_traitsIS12_E10value_typeET2_T3_PNS13_IS18_E10value_typeET4_jRbjT5_S1E_jjP12ihipStream_tbEUljE_ZNSN_ISO_Lb1ESQ_SR_ST_SU_SY_EESZ_S10_S11_S12_S16_S17_S18_S1B_S1C_jS1D_jS1E_S1E_jjS1G_bEUljE0_EEESZ_S10_S11_S18_S1C_S1E_T6_T7_T9_mT8_S1G_bDpT10_ENKUlT_T0_E_clISt17integral_constantIbLb0EES1T_IbLb1EEEEDaS1P_S1Q_EUlS1P_E_NS1_11comp_targetILNS1_3genE4ELNS1_11target_archE910ELNS1_3gpuE8ELNS1_3repE0EEENS1_30default_config_static_selectorELNS0_4arch9wavefront6targetE0EEEvS12_
                                        ; -- End function
	.set _ZN7rocprim17ROCPRIM_400000_NS6detail17trampoline_kernelINS0_13select_configILj256ELj13ELNS0_17block_load_methodE3ELS4_3ELS4_3ELNS0_20block_scan_algorithmE0ELj4294967295EEENS1_25partition_config_selectorILNS1_17partition_subalgoE4EjNS0_10empty_typeEbEEZZNS1_14partition_implILS8_4ELb0ES6_15HIP_vector_typeIjLj2EENS0_17counting_iteratorIjlEEPS9_SG_NS0_5tupleIJPjSI_NS0_16reverse_iteratorISI_EEEEENSH_IJSG_SG_SG_EEES9_SI_JZNS1_25segmented_radix_sort_implINS0_14default_configELb1EPKfPfPKlPlN2at6native12_GLOBAL__N_18offset_tEEE10hipError_tPvRmT1_PNSt15iterator_traitsIS12_E10value_typeET2_T3_PNS13_IS18_E10value_typeET4_jRbjT5_S1E_jjP12ihipStream_tbEUljE_ZNSN_ISO_Lb1ESQ_SR_ST_SU_SY_EESZ_S10_S11_S12_S16_S17_S18_S1B_S1C_jS1D_jS1E_S1E_jjS1G_bEUljE0_EEESZ_S10_S11_S18_S1C_S1E_T6_T7_T9_mT8_S1G_bDpT10_ENKUlT_T0_E_clISt17integral_constantIbLb0EES1T_IbLb1EEEEDaS1P_S1Q_EUlS1P_E_NS1_11comp_targetILNS1_3genE4ELNS1_11target_archE910ELNS1_3gpuE8ELNS1_3repE0EEENS1_30default_config_static_selectorELNS0_4arch9wavefront6targetE0EEEvS12_.num_vgpr, 0
	.set _ZN7rocprim17ROCPRIM_400000_NS6detail17trampoline_kernelINS0_13select_configILj256ELj13ELNS0_17block_load_methodE3ELS4_3ELS4_3ELNS0_20block_scan_algorithmE0ELj4294967295EEENS1_25partition_config_selectorILNS1_17partition_subalgoE4EjNS0_10empty_typeEbEEZZNS1_14partition_implILS8_4ELb0ES6_15HIP_vector_typeIjLj2EENS0_17counting_iteratorIjlEEPS9_SG_NS0_5tupleIJPjSI_NS0_16reverse_iteratorISI_EEEEENSH_IJSG_SG_SG_EEES9_SI_JZNS1_25segmented_radix_sort_implINS0_14default_configELb1EPKfPfPKlPlN2at6native12_GLOBAL__N_18offset_tEEE10hipError_tPvRmT1_PNSt15iterator_traitsIS12_E10value_typeET2_T3_PNS13_IS18_E10value_typeET4_jRbjT5_S1E_jjP12ihipStream_tbEUljE_ZNSN_ISO_Lb1ESQ_SR_ST_SU_SY_EESZ_S10_S11_S12_S16_S17_S18_S1B_S1C_jS1D_jS1E_S1E_jjS1G_bEUljE0_EEESZ_S10_S11_S18_S1C_S1E_T6_T7_T9_mT8_S1G_bDpT10_ENKUlT_T0_E_clISt17integral_constantIbLb0EES1T_IbLb1EEEEDaS1P_S1Q_EUlS1P_E_NS1_11comp_targetILNS1_3genE4ELNS1_11target_archE910ELNS1_3gpuE8ELNS1_3repE0EEENS1_30default_config_static_selectorELNS0_4arch9wavefront6targetE0EEEvS12_.num_agpr, 0
	.set _ZN7rocprim17ROCPRIM_400000_NS6detail17trampoline_kernelINS0_13select_configILj256ELj13ELNS0_17block_load_methodE3ELS4_3ELS4_3ELNS0_20block_scan_algorithmE0ELj4294967295EEENS1_25partition_config_selectorILNS1_17partition_subalgoE4EjNS0_10empty_typeEbEEZZNS1_14partition_implILS8_4ELb0ES6_15HIP_vector_typeIjLj2EENS0_17counting_iteratorIjlEEPS9_SG_NS0_5tupleIJPjSI_NS0_16reverse_iteratorISI_EEEEENSH_IJSG_SG_SG_EEES9_SI_JZNS1_25segmented_radix_sort_implINS0_14default_configELb1EPKfPfPKlPlN2at6native12_GLOBAL__N_18offset_tEEE10hipError_tPvRmT1_PNSt15iterator_traitsIS12_E10value_typeET2_T3_PNS13_IS18_E10value_typeET4_jRbjT5_S1E_jjP12ihipStream_tbEUljE_ZNSN_ISO_Lb1ESQ_SR_ST_SU_SY_EESZ_S10_S11_S12_S16_S17_S18_S1B_S1C_jS1D_jS1E_S1E_jjS1G_bEUljE0_EEESZ_S10_S11_S18_S1C_S1E_T6_T7_T9_mT8_S1G_bDpT10_ENKUlT_T0_E_clISt17integral_constantIbLb0EES1T_IbLb1EEEEDaS1P_S1Q_EUlS1P_E_NS1_11comp_targetILNS1_3genE4ELNS1_11target_archE910ELNS1_3gpuE8ELNS1_3repE0EEENS1_30default_config_static_selectorELNS0_4arch9wavefront6targetE0EEEvS12_.numbered_sgpr, 0
	.set _ZN7rocprim17ROCPRIM_400000_NS6detail17trampoline_kernelINS0_13select_configILj256ELj13ELNS0_17block_load_methodE3ELS4_3ELS4_3ELNS0_20block_scan_algorithmE0ELj4294967295EEENS1_25partition_config_selectorILNS1_17partition_subalgoE4EjNS0_10empty_typeEbEEZZNS1_14partition_implILS8_4ELb0ES6_15HIP_vector_typeIjLj2EENS0_17counting_iteratorIjlEEPS9_SG_NS0_5tupleIJPjSI_NS0_16reverse_iteratorISI_EEEEENSH_IJSG_SG_SG_EEES9_SI_JZNS1_25segmented_radix_sort_implINS0_14default_configELb1EPKfPfPKlPlN2at6native12_GLOBAL__N_18offset_tEEE10hipError_tPvRmT1_PNSt15iterator_traitsIS12_E10value_typeET2_T3_PNS13_IS18_E10value_typeET4_jRbjT5_S1E_jjP12ihipStream_tbEUljE_ZNSN_ISO_Lb1ESQ_SR_ST_SU_SY_EESZ_S10_S11_S12_S16_S17_S18_S1B_S1C_jS1D_jS1E_S1E_jjS1G_bEUljE0_EEESZ_S10_S11_S18_S1C_S1E_T6_T7_T9_mT8_S1G_bDpT10_ENKUlT_T0_E_clISt17integral_constantIbLb0EES1T_IbLb1EEEEDaS1P_S1Q_EUlS1P_E_NS1_11comp_targetILNS1_3genE4ELNS1_11target_archE910ELNS1_3gpuE8ELNS1_3repE0EEENS1_30default_config_static_selectorELNS0_4arch9wavefront6targetE0EEEvS12_.num_named_barrier, 0
	.set _ZN7rocprim17ROCPRIM_400000_NS6detail17trampoline_kernelINS0_13select_configILj256ELj13ELNS0_17block_load_methodE3ELS4_3ELS4_3ELNS0_20block_scan_algorithmE0ELj4294967295EEENS1_25partition_config_selectorILNS1_17partition_subalgoE4EjNS0_10empty_typeEbEEZZNS1_14partition_implILS8_4ELb0ES6_15HIP_vector_typeIjLj2EENS0_17counting_iteratorIjlEEPS9_SG_NS0_5tupleIJPjSI_NS0_16reverse_iteratorISI_EEEEENSH_IJSG_SG_SG_EEES9_SI_JZNS1_25segmented_radix_sort_implINS0_14default_configELb1EPKfPfPKlPlN2at6native12_GLOBAL__N_18offset_tEEE10hipError_tPvRmT1_PNSt15iterator_traitsIS12_E10value_typeET2_T3_PNS13_IS18_E10value_typeET4_jRbjT5_S1E_jjP12ihipStream_tbEUljE_ZNSN_ISO_Lb1ESQ_SR_ST_SU_SY_EESZ_S10_S11_S12_S16_S17_S18_S1B_S1C_jS1D_jS1E_S1E_jjS1G_bEUljE0_EEESZ_S10_S11_S18_S1C_S1E_T6_T7_T9_mT8_S1G_bDpT10_ENKUlT_T0_E_clISt17integral_constantIbLb0EES1T_IbLb1EEEEDaS1P_S1Q_EUlS1P_E_NS1_11comp_targetILNS1_3genE4ELNS1_11target_archE910ELNS1_3gpuE8ELNS1_3repE0EEENS1_30default_config_static_selectorELNS0_4arch9wavefront6targetE0EEEvS12_.private_seg_size, 0
	.set _ZN7rocprim17ROCPRIM_400000_NS6detail17trampoline_kernelINS0_13select_configILj256ELj13ELNS0_17block_load_methodE3ELS4_3ELS4_3ELNS0_20block_scan_algorithmE0ELj4294967295EEENS1_25partition_config_selectorILNS1_17partition_subalgoE4EjNS0_10empty_typeEbEEZZNS1_14partition_implILS8_4ELb0ES6_15HIP_vector_typeIjLj2EENS0_17counting_iteratorIjlEEPS9_SG_NS0_5tupleIJPjSI_NS0_16reverse_iteratorISI_EEEEENSH_IJSG_SG_SG_EEES9_SI_JZNS1_25segmented_radix_sort_implINS0_14default_configELb1EPKfPfPKlPlN2at6native12_GLOBAL__N_18offset_tEEE10hipError_tPvRmT1_PNSt15iterator_traitsIS12_E10value_typeET2_T3_PNS13_IS18_E10value_typeET4_jRbjT5_S1E_jjP12ihipStream_tbEUljE_ZNSN_ISO_Lb1ESQ_SR_ST_SU_SY_EESZ_S10_S11_S12_S16_S17_S18_S1B_S1C_jS1D_jS1E_S1E_jjS1G_bEUljE0_EEESZ_S10_S11_S18_S1C_S1E_T6_T7_T9_mT8_S1G_bDpT10_ENKUlT_T0_E_clISt17integral_constantIbLb0EES1T_IbLb1EEEEDaS1P_S1Q_EUlS1P_E_NS1_11comp_targetILNS1_3genE4ELNS1_11target_archE910ELNS1_3gpuE8ELNS1_3repE0EEENS1_30default_config_static_selectorELNS0_4arch9wavefront6targetE0EEEvS12_.uses_vcc, 0
	.set _ZN7rocprim17ROCPRIM_400000_NS6detail17trampoline_kernelINS0_13select_configILj256ELj13ELNS0_17block_load_methodE3ELS4_3ELS4_3ELNS0_20block_scan_algorithmE0ELj4294967295EEENS1_25partition_config_selectorILNS1_17partition_subalgoE4EjNS0_10empty_typeEbEEZZNS1_14partition_implILS8_4ELb0ES6_15HIP_vector_typeIjLj2EENS0_17counting_iteratorIjlEEPS9_SG_NS0_5tupleIJPjSI_NS0_16reverse_iteratorISI_EEEEENSH_IJSG_SG_SG_EEES9_SI_JZNS1_25segmented_radix_sort_implINS0_14default_configELb1EPKfPfPKlPlN2at6native12_GLOBAL__N_18offset_tEEE10hipError_tPvRmT1_PNSt15iterator_traitsIS12_E10value_typeET2_T3_PNS13_IS18_E10value_typeET4_jRbjT5_S1E_jjP12ihipStream_tbEUljE_ZNSN_ISO_Lb1ESQ_SR_ST_SU_SY_EESZ_S10_S11_S12_S16_S17_S18_S1B_S1C_jS1D_jS1E_S1E_jjS1G_bEUljE0_EEESZ_S10_S11_S18_S1C_S1E_T6_T7_T9_mT8_S1G_bDpT10_ENKUlT_T0_E_clISt17integral_constantIbLb0EES1T_IbLb1EEEEDaS1P_S1Q_EUlS1P_E_NS1_11comp_targetILNS1_3genE4ELNS1_11target_archE910ELNS1_3gpuE8ELNS1_3repE0EEENS1_30default_config_static_selectorELNS0_4arch9wavefront6targetE0EEEvS12_.uses_flat_scratch, 0
	.set _ZN7rocprim17ROCPRIM_400000_NS6detail17trampoline_kernelINS0_13select_configILj256ELj13ELNS0_17block_load_methodE3ELS4_3ELS4_3ELNS0_20block_scan_algorithmE0ELj4294967295EEENS1_25partition_config_selectorILNS1_17partition_subalgoE4EjNS0_10empty_typeEbEEZZNS1_14partition_implILS8_4ELb0ES6_15HIP_vector_typeIjLj2EENS0_17counting_iteratorIjlEEPS9_SG_NS0_5tupleIJPjSI_NS0_16reverse_iteratorISI_EEEEENSH_IJSG_SG_SG_EEES9_SI_JZNS1_25segmented_radix_sort_implINS0_14default_configELb1EPKfPfPKlPlN2at6native12_GLOBAL__N_18offset_tEEE10hipError_tPvRmT1_PNSt15iterator_traitsIS12_E10value_typeET2_T3_PNS13_IS18_E10value_typeET4_jRbjT5_S1E_jjP12ihipStream_tbEUljE_ZNSN_ISO_Lb1ESQ_SR_ST_SU_SY_EESZ_S10_S11_S12_S16_S17_S18_S1B_S1C_jS1D_jS1E_S1E_jjS1G_bEUljE0_EEESZ_S10_S11_S18_S1C_S1E_T6_T7_T9_mT8_S1G_bDpT10_ENKUlT_T0_E_clISt17integral_constantIbLb0EES1T_IbLb1EEEEDaS1P_S1Q_EUlS1P_E_NS1_11comp_targetILNS1_3genE4ELNS1_11target_archE910ELNS1_3gpuE8ELNS1_3repE0EEENS1_30default_config_static_selectorELNS0_4arch9wavefront6targetE0EEEvS12_.has_dyn_sized_stack, 0
	.set _ZN7rocprim17ROCPRIM_400000_NS6detail17trampoline_kernelINS0_13select_configILj256ELj13ELNS0_17block_load_methodE3ELS4_3ELS4_3ELNS0_20block_scan_algorithmE0ELj4294967295EEENS1_25partition_config_selectorILNS1_17partition_subalgoE4EjNS0_10empty_typeEbEEZZNS1_14partition_implILS8_4ELb0ES6_15HIP_vector_typeIjLj2EENS0_17counting_iteratorIjlEEPS9_SG_NS0_5tupleIJPjSI_NS0_16reverse_iteratorISI_EEEEENSH_IJSG_SG_SG_EEES9_SI_JZNS1_25segmented_radix_sort_implINS0_14default_configELb1EPKfPfPKlPlN2at6native12_GLOBAL__N_18offset_tEEE10hipError_tPvRmT1_PNSt15iterator_traitsIS12_E10value_typeET2_T3_PNS13_IS18_E10value_typeET4_jRbjT5_S1E_jjP12ihipStream_tbEUljE_ZNSN_ISO_Lb1ESQ_SR_ST_SU_SY_EESZ_S10_S11_S12_S16_S17_S18_S1B_S1C_jS1D_jS1E_S1E_jjS1G_bEUljE0_EEESZ_S10_S11_S18_S1C_S1E_T6_T7_T9_mT8_S1G_bDpT10_ENKUlT_T0_E_clISt17integral_constantIbLb0EES1T_IbLb1EEEEDaS1P_S1Q_EUlS1P_E_NS1_11comp_targetILNS1_3genE4ELNS1_11target_archE910ELNS1_3gpuE8ELNS1_3repE0EEENS1_30default_config_static_selectorELNS0_4arch9wavefront6targetE0EEEvS12_.has_recursion, 0
	.set _ZN7rocprim17ROCPRIM_400000_NS6detail17trampoline_kernelINS0_13select_configILj256ELj13ELNS0_17block_load_methodE3ELS4_3ELS4_3ELNS0_20block_scan_algorithmE0ELj4294967295EEENS1_25partition_config_selectorILNS1_17partition_subalgoE4EjNS0_10empty_typeEbEEZZNS1_14partition_implILS8_4ELb0ES6_15HIP_vector_typeIjLj2EENS0_17counting_iteratorIjlEEPS9_SG_NS0_5tupleIJPjSI_NS0_16reverse_iteratorISI_EEEEENSH_IJSG_SG_SG_EEES9_SI_JZNS1_25segmented_radix_sort_implINS0_14default_configELb1EPKfPfPKlPlN2at6native12_GLOBAL__N_18offset_tEEE10hipError_tPvRmT1_PNSt15iterator_traitsIS12_E10value_typeET2_T3_PNS13_IS18_E10value_typeET4_jRbjT5_S1E_jjP12ihipStream_tbEUljE_ZNSN_ISO_Lb1ESQ_SR_ST_SU_SY_EESZ_S10_S11_S12_S16_S17_S18_S1B_S1C_jS1D_jS1E_S1E_jjS1G_bEUljE0_EEESZ_S10_S11_S18_S1C_S1E_T6_T7_T9_mT8_S1G_bDpT10_ENKUlT_T0_E_clISt17integral_constantIbLb0EES1T_IbLb1EEEEDaS1P_S1Q_EUlS1P_E_NS1_11comp_targetILNS1_3genE4ELNS1_11target_archE910ELNS1_3gpuE8ELNS1_3repE0EEENS1_30default_config_static_selectorELNS0_4arch9wavefront6targetE0EEEvS12_.has_indirect_call, 0
	.section	.AMDGPU.csdata,"",@progbits
; Kernel info:
; codeLenInByte = 0
; TotalNumSgprs: 0
; NumVgprs: 0
; ScratchSize: 0
; MemoryBound: 0
; FloatMode: 240
; IeeeMode: 1
; LDSByteSize: 0 bytes/workgroup (compile time only)
; SGPRBlocks: 0
; VGPRBlocks: 0
; NumSGPRsForWavesPerEU: 1
; NumVGPRsForWavesPerEU: 1
; Occupancy: 16
; WaveLimiterHint : 0
; COMPUTE_PGM_RSRC2:SCRATCH_EN: 0
; COMPUTE_PGM_RSRC2:USER_SGPR: 2
; COMPUTE_PGM_RSRC2:TRAP_HANDLER: 0
; COMPUTE_PGM_RSRC2:TGID_X_EN: 1
; COMPUTE_PGM_RSRC2:TGID_Y_EN: 0
; COMPUTE_PGM_RSRC2:TGID_Z_EN: 0
; COMPUTE_PGM_RSRC2:TIDIG_COMP_CNT: 0
	.section	.text._ZN7rocprim17ROCPRIM_400000_NS6detail17trampoline_kernelINS0_13select_configILj256ELj13ELNS0_17block_load_methodE3ELS4_3ELS4_3ELNS0_20block_scan_algorithmE0ELj4294967295EEENS1_25partition_config_selectorILNS1_17partition_subalgoE4EjNS0_10empty_typeEbEEZZNS1_14partition_implILS8_4ELb0ES6_15HIP_vector_typeIjLj2EENS0_17counting_iteratorIjlEEPS9_SG_NS0_5tupleIJPjSI_NS0_16reverse_iteratorISI_EEEEENSH_IJSG_SG_SG_EEES9_SI_JZNS1_25segmented_radix_sort_implINS0_14default_configELb1EPKfPfPKlPlN2at6native12_GLOBAL__N_18offset_tEEE10hipError_tPvRmT1_PNSt15iterator_traitsIS12_E10value_typeET2_T3_PNS13_IS18_E10value_typeET4_jRbjT5_S1E_jjP12ihipStream_tbEUljE_ZNSN_ISO_Lb1ESQ_SR_ST_SU_SY_EESZ_S10_S11_S12_S16_S17_S18_S1B_S1C_jS1D_jS1E_S1E_jjS1G_bEUljE0_EEESZ_S10_S11_S18_S1C_S1E_T6_T7_T9_mT8_S1G_bDpT10_ENKUlT_T0_E_clISt17integral_constantIbLb0EES1T_IbLb1EEEEDaS1P_S1Q_EUlS1P_E_NS1_11comp_targetILNS1_3genE3ELNS1_11target_archE908ELNS1_3gpuE7ELNS1_3repE0EEENS1_30default_config_static_selectorELNS0_4arch9wavefront6targetE0EEEvS12_,"axG",@progbits,_ZN7rocprim17ROCPRIM_400000_NS6detail17trampoline_kernelINS0_13select_configILj256ELj13ELNS0_17block_load_methodE3ELS4_3ELS4_3ELNS0_20block_scan_algorithmE0ELj4294967295EEENS1_25partition_config_selectorILNS1_17partition_subalgoE4EjNS0_10empty_typeEbEEZZNS1_14partition_implILS8_4ELb0ES6_15HIP_vector_typeIjLj2EENS0_17counting_iteratorIjlEEPS9_SG_NS0_5tupleIJPjSI_NS0_16reverse_iteratorISI_EEEEENSH_IJSG_SG_SG_EEES9_SI_JZNS1_25segmented_radix_sort_implINS0_14default_configELb1EPKfPfPKlPlN2at6native12_GLOBAL__N_18offset_tEEE10hipError_tPvRmT1_PNSt15iterator_traitsIS12_E10value_typeET2_T3_PNS13_IS18_E10value_typeET4_jRbjT5_S1E_jjP12ihipStream_tbEUljE_ZNSN_ISO_Lb1ESQ_SR_ST_SU_SY_EESZ_S10_S11_S12_S16_S17_S18_S1B_S1C_jS1D_jS1E_S1E_jjS1G_bEUljE0_EEESZ_S10_S11_S18_S1C_S1E_T6_T7_T9_mT8_S1G_bDpT10_ENKUlT_T0_E_clISt17integral_constantIbLb0EES1T_IbLb1EEEEDaS1P_S1Q_EUlS1P_E_NS1_11comp_targetILNS1_3genE3ELNS1_11target_archE908ELNS1_3gpuE7ELNS1_3repE0EEENS1_30default_config_static_selectorELNS0_4arch9wavefront6targetE0EEEvS12_,comdat
	.globl	_ZN7rocprim17ROCPRIM_400000_NS6detail17trampoline_kernelINS0_13select_configILj256ELj13ELNS0_17block_load_methodE3ELS4_3ELS4_3ELNS0_20block_scan_algorithmE0ELj4294967295EEENS1_25partition_config_selectorILNS1_17partition_subalgoE4EjNS0_10empty_typeEbEEZZNS1_14partition_implILS8_4ELb0ES6_15HIP_vector_typeIjLj2EENS0_17counting_iteratorIjlEEPS9_SG_NS0_5tupleIJPjSI_NS0_16reverse_iteratorISI_EEEEENSH_IJSG_SG_SG_EEES9_SI_JZNS1_25segmented_radix_sort_implINS0_14default_configELb1EPKfPfPKlPlN2at6native12_GLOBAL__N_18offset_tEEE10hipError_tPvRmT1_PNSt15iterator_traitsIS12_E10value_typeET2_T3_PNS13_IS18_E10value_typeET4_jRbjT5_S1E_jjP12ihipStream_tbEUljE_ZNSN_ISO_Lb1ESQ_SR_ST_SU_SY_EESZ_S10_S11_S12_S16_S17_S18_S1B_S1C_jS1D_jS1E_S1E_jjS1G_bEUljE0_EEESZ_S10_S11_S18_S1C_S1E_T6_T7_T9_mT8_S1G_bDpT10_ENKUlT_T0_E_clISt17integral_constantIbLb0EES1T_IbLb1EEEEDaS1P_S1Q_EUlS1P_E_NS1_11comp_targetILNS1_3genE3ELNS1_11target_archE908ELNS1_3gpuE7ELNS1_3repE0EEENS1_30default_config_static_selectorELNS0_4arch9wavefront6targetE0EEEvS12_ ; -- Begin function _ZN7rocprim17ROCPRIM_400000_NS6detail17trampoline_kernelINS0_13select_configILj256ELj13ELNS0_17block_load_methodE3ELS4_3ELS4_3ELNS0_20block_scan_algorithmE0ELj4294967295EEENS1_25partition_config_selectorILNS1_17partition_subalgoE4EjNS0_10empty_typeEbEEZZNS1_14partition_implILS8_4ELb0ES6_15HIP_vector_typeIjLj2EENS0_17counting_iteratorIjlEEPS9_SG_NS0_5tupleIJPjSI_NS0_16reverse_iteratorISI_EEEEENSH_IJSG_SG_SG_EEES9_SI_JZNS1_25segmented_radix_sort_implINS0_14default_configELb1EPKfPfPKlPlN2at6native12_GLOBAL__N_18offset_tEEE10hipError_tPvRmT1_PNSt15iterator_traitsIS12_E10value_typeET2_T3_PNS13_IS18_E10value_typeET4_jRbjT5_S1E_jjP12ihipStream_tbEUljE_ZNSN_ISO_Lb1ESQ_SR_ST_SU_SY_EESZ_S10_S11_S12_S16_S17_S18_S1B_S1C_jS1D_jS1E_S1E_jjS1G_bEUljE0_EEESZ_S10_S11_S18_S1C_S1E_T6_T7_T9_mT8_S1G_bDpT10_ENKUlT_T0_E_clISt17integral_constantIbLb0EES1T_IbLb1EEEEDaS1P_S1Q_EUlS1P_E_NS1_11comp_targetILNS1_3genE3ELNS1_11target_archE908ELNS1_3gpuE7ELNS1_3repE0EEENS1_30default_config_static_selectorELNS0_4arch9wavefront6targetE0EEEvS12_
	.p2align	8
	.type	_ZN7rocprim17ROCPRIM_400000_NS6detail17trampoline_kernelINS0_13select_configILj256ELj13ELNS0_17block_load_methodE3ELS4_3ELS4_3ELNS0_20block_scan_algorithmE0ELj4294967295EEENS1_25partition_config_selectorILNS1_17partition_subalgoE4EjNS0_10empty_typeEbEEZZNS1_14partition_implILS8_4ELb0ES6_15HIP_vector_typeIjLj2EENS0_17counting_iteratorIjlEEPS9_SG_NS0_5tupleIJPjSI_NS0_16reverse_iteratorISI_EEEEENSH_IJSG_SG_SG_EEES9_SI_JZNS1_25segmented_radix_sort_implINS0_14default_configELb1EPKfPfPKlPlN2at6native12_GLOBAL__N_18offset_tEEE10hipError_tPvRmT1_PNSt15iterator_traitsIS12_E10value_typeET2_T3_PNS13_IS18_E10value_typeET4_jRbjT5_S1E_jjP12ihipStream_tbEUljE_ZNSN_ISO_Lb1ESQ_SR_ST_SU_SY_EESZ_S10_S11_S12_S16_S17_S18_S1B_S1C_jS1D_jS1E_S1E_jjS1G_bEUljE0_EEESZ_S10_S11_S18_S1C_S1E_T6_T7_T9_mT8_S1G_bDpT10_ENKUlT_T0_E_clISt17integral_constantIbLb0EES1T_IbLb1EEEEDaS1P_S1Q_EUlS1P_E_NS1_11comp_targetILNS1_3genE3ELNS1_11target_archE908ELNS1_3gpuE7ELNS1_3repE0EEENS1_30default_config_static_selectorELNS0_4arch9wavefront6targetE0EEEvS12_,@function
_ZN7rocprim17ROCPRIM_400000_NS6detail17trampoline_kernelINS0_13select_configILj256ELj13ELNS0_17block_load_methodE3ELS4_3ELS4_3ELNS0_20block_scan_algorithmE0ELj4294967295EEENS1_25partition_config_selectorILNS1_17partition_subalgoE4EjNS0_10empty_typeEbEEZZNS1_14partition_implILS8_4ELb0ES6_15HIP_vector_typeIjLj2EENS0_17counting_iteratorIjlEEPS9_SG_NS0_5tupleIJPjSI_NS0_16reverse_iteratorISI_EEEEENSH_IJSG_SG_SG_EEES9_SI_JZNS1_25segmented_radix_sort_implINS0_14default_configELb1EPKfPfPKlPlN2at6native12_GLOBAL__N_18offset_tEEE10hipError_tPvRmT1_PNSt15iterator_traitsIS12_E10value_typeET2_T3_PNS13_IS18_E10value_typeET4_jRbjT5_S1E_jjP12ihipStream_tbEUljE_ZNSN_ISO_Lb1ESQ_SR_ST_SU_SY_EESZ_S10_S11_S12_S16_S17_S18_S1B_S1C_jS1D_jS1E_S1E_jjS1G_bEUljE0_EEESZ_S10_S11_S18_S1C_S1E_T6_T7_T9_mT8_S1G_bDpT10_ENKUlT_T0_E_clISt17integral_constantIbLb0EES1T_IbLb1EEEEDaS1P_S1Q_EUlS1P_E_NS1_11comp_targetILNS1_3genE3ELNS1_11target_archE908ELNS1_3gpuE7ELNS1_3repE0EEENS1_30default_config_static_selectorELNS0_4arch9wavefront6targetE0EEEvS12_: ; @_ZN7rocprim17ROCPRIM_400000_NS6detail17trampoline_kernelINS0_13select_configILj256ELj13ELNS0_17block_load_methodE3ELS4_3ELS4_3ELNS0_20block_scan_algorithmE0ELj4294967295EEENS1_25partition_config_selectorILNS1_17partition_subalgoE4EjNS0_10empty_typeEbEEZZNS1_14partition_implILS8_4ELb0ES6_15HIP_vector_typeIjLj2EENS0_17counting_iteratorIjlEEPS9_SG_NS0_5tupleIJPjSI_NS0_16reverse_iteratorISI_EEEEENSH_IJSG_SG_SG_EEES9_SI_JZNS1_25segmented_radix_sort_implINS0_14default_configELb1EPKfPfPKlPlN2at6native12_GLOBAL__N_18offset_tEEE10hipError_tPvRmT1_PNSt15iterator_traitsIS12_E10value_typeET2_T3_PNS13_IS18_E10value_typeET4_jRbjT5_S1E_jjP12ihipStream_tbEUljE_ZNSN_ISO_Lb1ESQ_SR_ST_SU_SY_EESZ_S10_S11_S12_S16_S17_S18_S1B_S1C_jS1D_jS1E_S1E_jjS1G_bEUljE0_EEESZ_S10_S11_S18_S1C_S1E_T6_T7_T9_mT8_S1G_bDpT10_ENKUlT_T0_E_clISt17integral_constantIbLb0EES1T_IbLb1EEEEDaS1P_S1Q_EUlS1P_E_NS1_11comp_targetILNS1_3genE3ELNS1_11target_archE908ELNS1_3gpuE7ELNS1_3repE0EEENS1_30default_config_static_selectorELNS0_4arch9wavefront6targetE0EEEvS12_
; %bb.0:
	.section	.rodata,"a",@progbits
	.p2align	6, 0x0
	.amdhsa_kernel _ZN7rocprim17ROCPRIM_400000_NS6detail17trampoline_kernelINS0_13select_configILj256ELj13ELNS0_17block_load_methodE3ELS4_3ELS4_3ELNS0_20block_scan_algorithmE0ELj4294967295EEENS1_25partition_config_selectorILNS1_17partition_subalgoE4EjNS0_10empty_typeEbEEZZNS1_14partition_implILS8_4ELb0ES6_15HIP_vector_typeIjLj2EENS0_17counting_iteratorIjlEEPS9_SG_NS0_5tupleIJPjSI_NS0_16reverse_iteratorISI_EEEEENSH_IJSG_SG_SG_EEES9_SI_JZNS1_25segmented_radix_sort_implINS0_14default_configELb1EPKfPfPKlPlN2at6native12_GLOBAL__N_18offset_tEEE10hipError_tPvRmT1_PNSt15iterator_traitsIS12_E10value_typeET2_T3_PNS13_IS18_E10value_typeET4_jRbjT5_S1E_jjP12ihipStream_tbEUljE_ZNSN_ISO_Lb1ESQ_SR_ST_SU_SY_EESZ_S10_S11_S12_S16_S17_S18_S1B_S1C_jS1D_jS1E_S1E_jjS1G_bEUljE0_EEESZ_S10_S11_S18_S1C_S1E_T6_T7_T9_mT8_S1G_bDpT10_ENKUlT_T0_E_clISt17integral_constantIbLb0EES1T_IbLb1EEEEDaS1P_S1Q_EUlS1P_E_NS1_11comp_targetILNS1_3genE3ELNS1_11target_archE908ELNS1_3gpuE7ELNS1_3repE0EEENS1_30default_config_static_selectorELNS0_4arch9wavefront6targetE0EEEvS12_
		.amdhsa_group_segment_fixed_size 0
		.amdhsa_private_segment_fixed_size 0
		.amdhsa_kernarg_size 184
		.amdhsa_user_sgpr_count 2
		.amdhsa_user_sgpr_dispatch_ptr 0
		.amdhsa_user_sgpr_queue_ptr 0
		.amdhsa_user_sgpr_kernarg_segment_ptr 1
		.amdhsa_user_sgpr_dispatch_id 0
		.amdhsa_user_sgpr_private_segment_size 0
		.amdhsa_wavefront_size32 1
		.amdhsa_uses_dynamic_stack 0
		.amdhsa_enable_private_segment 0
		.amdhsa_system_sgpr_workgroup_id_x 1
		.amdhsa_system_sgpr_workgroup_id_y 0
		.amdhsa_system_sgpr_workgroup_id_z 0
		.amdhsa_system_sgpr_workgroup_info 0
		.amdhsa_system_vgpr_workitem_id 0
		.amdhsa_next_free_vgpr 1
		.amdhsa_next_free_sgpr 1
		.amdhsa_reserve_vcc 0
		.amdhsa_float_round_mode_32 0
		.amdhsa_float_round_mode_16_64 0
		.amdhsa_float_denorm_mode_32 3
		.amdhsa_float_denorm_mode_16_64 3
		.amdhsa_fp16_overflow 0
		.amdhsa_workgroup_processor_mode 1
		.amdhsa_memory_ordered 1
		.amdhsa_forward_progress 1
		.amdhsa_inst_pref_size 0
		.amdhsa_round_robin_scheduling 0
		.amdhsa_exception_fp_ieee_invalid_op 0
		.amdhsa_exception_fp_denorm_src 0
		.amdhsa_exception_fp_ieee_div_zero 0
		.amdhsa_exception_fp_ieee_overflow 0
		.amdhsa_exception_fp_ieee_underflow 0
		.amdhsa_exception_fp_ieee_inexact 0
		.amdhsa_exception_int_div_zero 0
	.end_amdhsa_kernel
	.section	.text._ZN7rocprim17ROCPRIM_400000_NS6detail17trampoline_kernelINS0_13select_configILj256ELj13ELNS0_17block_load_methodE3ELS4_3ELS4_3ELNS0_20block_scan_algorithmE0ELj4294967295EEENS1_25partition_config_selectorILNS1_17partition_subalgoE4EjNS0_10empty_typeEbEEZZNS1_14partition_implILS8_4ELb0ES6_15HIP_vector_typeIjLj2EENS0_17counting_iteratorIjlEEPS9_SG_NS0_5tupleIJPjSI_NS0_16reverse_iteratorISI_EEEEENSH_IJSG_SG_SG_EEES9_SI_JZNS1_25segmented_radix_sort_implINS0_14default_configELb1EPKfPfPKlPlN2at6native12_GLOBAL__N_18offset_tEEE10hipError_tPvRmT1_PNSt15iterator_traitsIS12_E10value_typeET2_T3_PNS13_IS18_E10value_typeET4_jRbjT5_S1E_jjP12ihipStream_tbEUljE_ZNSN_ISO_Lb1ESQ_SR_ST_SU_SY_EESZ_S10_S11_S12_S16_S17_S18_S1B_S1C_jS1D_jS1E_S1E_jjS1G_bEUljE0_EEESZ_S10_S11_S18_S1C_S1E_T6_T7_T9_mT8_S1G_bDpT10_ENKUlT_T0_E_clISt17integral_constantIbLb0EES1T_IbLb1EEEEDaS1P_S1Q_EUlS1P_E_NS1_11comp_targetILNS1_3genE3ELNS1_11target_archE908ELNS1_3gpuE7ELNS1_3repE0EEENS1_30default_config_static_selectorELNS0_4arch9wavefront6targetE0EEEvS12_,"axG",@progbits,_ZN7rocprim17ROCPRIM_400000_NS6detail17trampoline_kernelINS0_13select_configILj256ELj13ELNS0_17block_load_methodE3ELS4_3ELS4_3ELNS0_20block_scan_algorithmE0ELj4294967295EEENS1_25partition_config_selectorILNS1_17partition_subalgoE4EjNS0_10empty_typeEbEEZZNS1_14partition_implILS8_4ELb0ES6_15HIP_vector_typeIjLj2EENS0_17counting_iteratorIjlEEPS9_SG_NS0_5tupleIJPjSI_NS0_16reverse_iteratorISI_EEEEENSH_IJSG_SG_SG_EEES9_SI_JZNS1_25segmented_radix_sort_implINS0_14default_configELb1EPKfPfPKlPlN2at6native12_GLOBAL__N_18offset_tEEE10hipError_tPvRmT1_PNSt15iterator_traitsIS12_E10value_typeET2_T3_PNS13_IS18_E10value_typeET4_jRbjT5_S1E_jjP12ihipStream_tbEUljE_ZNSN_ISO_Lb1ESQ_SR_ST_SU_SY_EESZ_S10_S11_S12_S16_S17_S18_S1B_S1C_jS1D_jS1E_S1E_jjS1G_bEUljE0_EEESZ_S10_S11_S18_S1C_S1E_T6_T7_T9_mT8_S1G_bDpT10_ENKUlT_T0_E_clISt17integral_constantIbLb0EES1T_IbLb1EEEEDaS1P_S1Q_EUlS1P_E_NS1_11comp_targetILNS1_3genE3ELNS1_11target_archE908ELNS1_3gpuE7ELNS1_3repE0EEENS1_30default_config_static_selectorELNS0_4arch9wavefront6targetE0EEEvS12_,comdat
.Lfunc_end1288:
	.size	_ZN7rocprim17ROCPRIM_400000_NS6detail17trampoline_kernelINS0_13select_configILj256ELj13ELNS0_17block_load_methodE3ELS4_3ELS4_3ELNS0_20block_scan_algorithmE0ELj4294967295EEENS1_25partition_config_selectorILNS1_17partition_subalgoE4EjNS0_10empty_typeEbEEZZNS1_14partition_implILS8_4ELb0ES6_15HIP_vector_typeIjLj2EENS0_17counting_iteratorIjlEEPS9_SG_NS0_5tupleIJPjSI_NS0_16reverse_iteratorISI_EEEEENSH_IJSG_SG_SG_EEES9_SI_JZNS1_25segmented_radix_sort_implINS0_14default_configELb1EPKfPfPKlPlN2at6native12_GLOBAL__N_18offset_tEEE10hipError_tPvRmT1_PNSt15iterator_traitsIS12_E10value_typeET2_T3_PNS13_IS18_E10value_typeET4_jRbjT5_S1E_jjP12ihipStream_tbEUljE_ZNSN_ISO_Lb1ESQ_SR_ST_SU_SY_EESZ_S10_S11_S12_S16_S17_S18_S1B_S1C_jS1D_jS1E_S1E_jjS1G_bEUljE0_EEESZ_S10_S11_S18_S1C_S1E_T6_T7_T9_mT8_S1G_bDpT10_ENKUlT_T0_E_clISt17integral_constantIbLb0EES1T_IbLb1EEEEDaS1P_S1Q_EUlS1P_E_NS1_11comp_targetILNS1_3genE3ELNS1_11target_archE908ELNS1_3gpuE7ELNS1_3repE0EEENS1_30default_config_static_selectorELNS0_4arch9wavefront6targetE0EEEvS12_, .Lfunc_end1288-_ZN7rocprim17ROCPRIM_400000_NS6detail17trampoline_kernelINS0_13select_configILj256ELj13ELNS0_17block_load_methodE3ELS4_3ELS4_3ELNS0_20block_scan_algorithmE0ELj4294967295EEENS1_25partition_config_selectorILNS1_17partition_subalgoE4EjNS0_10empty_typeEbEEZZNS1_14partition_implILS8_4ELb0ES6_15HIP_vector_typeIjLj2EENS0_17counting_iteratorIjlEEPS9_SG_NS0_5tupleIJPjSI_NS0_16reverse_iteratorISI_EEEEENSH_IJSG_SG_SG_EEES9_SI_JZNS1_25segmented_radix_sort_implINS0_14default_configELb1EPKfPfPKlPlN2at6native12_GLOBAL__N_18offset_tEEE10hipError_tPvRmT1_PNSt15iterator_traitsIS12_E10value_typeET2_T3_PNS13_IS18_E10value_typeET4_jRbjT5_S1E_jjP12ihipStream_tbEUljE_ZNSN_ISO_Lb1ESQ_SR_ST_SU_SY_EESZ_S10_S11_S12_S16_S17_S18_S1B_S1C_jS1D_jS1E_S1E_jjS1G_bEUljE0_EEESZ_S10_S11_S18_S1C_S1E_T6_T7_T9_mT8_S1G_bDpT10_ENKUlT_T0_E_clISt17integral_constantIbLb0EES1T_IbLb1EEEEDaS1P_S1Q_EUlS1P_E_NS1_11comp_targetILNS1_3genE3ELNS1_11target_archE908ELNS1_3gpuE7ELNS1_3repE0EEENS1_30default_config_static_selectorELNS0_4arch9wavefront6targetE0EEEvS12_
                                        ; -- End function
	.set _ZN7rocprim17ROCPRIM_400000_NS6detail17trampoline_kernelINS0_13select_configILj256ELj13ELNS0_17block_load_methodE3ELS4_3ELS4_3ELNS0_20block_scan_algorithmE0ELj4294967295EEENS1_25partition_config_selectorILNS1_17partition_subalgoE4EjNS0_10empty_typeEbEEZZNS1_14partition_implILS8_4ELb0ES6_15HIP_vector_typeIjLj2EENS0_17counting_iteratorIjlEEPS9_SG_NS0_5tupleIJPjSI_NS0_16reverse_iteratorISI_EEEEENSH_IJSG_SG_SG_EEES9_SI_JZNS1_25segmented_radix_sort_implINS0_14default_configELb1EPKfPfPKlPlN2at6native12_GLOBAL__N_18offset_tEEE10hipError_tPvRmT1_PNSt15iterator_traitsIS12_E10value_typeET2_T3_PNS13_IS18_E10value_typeET4_jRbjT5_S1E_jjP12ihipStream_tbEUljE_ZNSN_ISO_Lb1ESQ_SR_ST_SU_SY_EESZ_S10_S11_S12_S16_S17_S18_S1B_S1C_jS1D_jS1E_S1E_jjS1G_bEUljE0_EEESZ_S10_S11_S18_S1C_S1E_T6_T7_T9_mT8_S1G_bDpT10_ENKUlT_T0_E_clISt17integral_constantIbLb0EES1T_IbLb1EEEEDaS1P_S1Q_EUlS1P_E_NS1_11comp_targetILNS1_3genE3ELNS1_11target_archE908ELNS1_3gpuE7ELNS1_3repE0EEENS1_30default_config_static_selectorELNS0_4arch9wavefront6targetE0EEEvS12_.num_vgpr, 0
	.set _ZN7rocprim17ROCPRIM_400000_NS6detail17trampoline_kernelINS0_13select_configILj256ELj13ELNS0_17block_load_methodE3ELS4_3ELS4_3ELNS0_20block_scan_algorithmE0ELj4294967295EEENS1_25partition_config_selectorILNS1_17partition_subalgoE4EjNS0_10empty_typeEbEEZZNS1_14partition_implILS8_4ELb0ES6_15HIP_vector_typeIjLj2EENS0_17counting_iteratorIjlEEPS9_SG_NS0_5tupleIJPjSI_NS0_16reverse_iteratorISI_EEEEENSH_IJSG_SG_SG_EEES9_SI_JZNS1_25segmented_radix_sort_implINS0_14default_configELb1EPKfPfPKlPlN2at6native12_GLOBAL__N_18offset_tEEE10hipError_tPvRmT1_PNSt15iterator_traitsIS12_E10value_typeET2_T3_PNS13_IS18_E10value_typeET4_jRbjT5_S1E_jjP12ihipStream_tbEUljE_ZNSN_ISO_Lb1ESQ_SR_ST_SU_SY_EESZ_S10_S11_S12_S16_S17_S18_S1B_S1C_jS1D_jS1E_S1E_jjS1G_bEUljE0_EEESZ_S10_S11_S18_S1C_S1E_T6_T7_T9_mT8_S1G_bDpT10_ENKUlT_T0_E_clISt17integral_constantIbLb0EES1T_IbLb1EEEEDaS1P_S1Q_EUlS1P_E_NS1_11comp_targetILNS1_3genE3ELNS1_11target_archE908ELNS1_3gpuE7ELNS1_3repE0EEENS1_30default_config_static_selectorELNS0_4arch9wavefront6targetE0EEEvS12_.num_agpr, 0
	.set _ZN7rocprim17ROCPRIM_400000_NS6detail17trampoline_kernelINS0_13select_configILj256ELj13ELNS0_17block_load_methodE3ELS4_3ELS4_3ELNS0_20block_scan_algorithmE0ELj4294967295EEENS1_25partition_config_selectorILNS1_17partition_subalgoE4EjNS0_10empty_typeEbEEZZNS1_14partition_implILS8_4ELb0ES6_15HIP_vector_typeIjLj2EENS0_17counting_iteratorIjlEEPS9_SG_NS0_5tupleIJPjSI_NS0_16reverse_iteratorISI_EEEEENSH_IJSG_SG_SG_EEES9_SI_JZNS1_25segmented_radix_sort_implINS0_14default_configELb1EPKfPfPKlPlN2at6native12_GLOBAL__N_18offset_tEEE10hipError_tPvRmT1_PNSt15iterator_traitsIS12_E10value_typeET2_T3_PNS13_IS18_E10value_typeET4_jRbjT5_S1E_jjP12ihipStream_tbEUljE_ZNSN_ISO_Lb1ESQ_SR_ST_SU_SY_EESZ_S10_S11_S12_S16_S17_S18_S1B_S1C_jS1D_jS1E_S1E_jjS1G_bEUljE0_EEESZ_S10_S11_S18_S1C_S1E_T6_T7_T9_mT8_S1G_bDpT10_ENKUlT_T0_E_clISt17integral_constantIbLb0EES1T_IbLb1EEEEDaS1P_S1Q_EUlS1P_E_NS1_11comp_targetILNS1_3genE3ELNS1_11target_archE908ELNS1_3gpuE7ELNS1_3repE0EEENS1_30default_config_static_selectorELNS0_4arch9wavefront6targetE0EEEvS12_.numbered_sgpr, 0
	.set _ZN7rocprim17ROCPRIM_400000_NS6detail17trampoline_kernelINS0_13select_configILj256ELj13ELNS0_17block_load_methodE3ELS4_3ELS4_3ELNS0_20block_scan_algorithmE0ELj4294967295EEENS1_25partition_config_selectorILNS1_17partition_subalgoE4EjNS0_10empty_typeEbEEZZNS1_14partition_implILS8_4ELb0ES6_15HIP_vector_typeIjLj2EENS0_17counting_iteratorIjlEEPS9_SG_NS0_5tupleIJPjSI_NS0_16reverse_iteratorISI_EEEEENSH_IJSG_SG_SG_EEES9_SI_JZNS1_25segmented_radix_sort_implINS0_14default_configELb1EPKfPfPKlPlN2at6native12_GLOBAL__N_18offset_tEEE10hipError_tPvRmT1_PNSt15iterator_traitsIS12_E10value_typeET2_T3_PNS13_IS18_E10value_typeET4_jRbjT5_S1E_jjP12ihipStream_tbEUljE_ZNSN_ISO_Lb1ESQ_SR_ST_SU_SY_EESZ_S10_S11_S12_S16_S17_S18_S1B_S1C_jS1D_jS1E_S1E_jjS1G_bEUljE0_EEESZ_S10_S11_S18_S1C_S1E_T6_T7_T9_mT8_S1G_bDpT10_ENKUlT_T0_E_clISt17integral_constantIbLb0EES1T_IbLb1EEEEDaS1P_S1Q_EUlS1P_E_NS1_11comp_targetILNS1_3genE3ELNS1_11target_archE908ELNS1_3gpuE7ELNS1_3repE0EEENS1_30default_config_static_selectorELNS0_4arch9wavefront6targetE0EEEvS12_.num_named_barrier, 0
	.set _ZN7rocprim17ROCPRIM_400000_NS6detail17trampoline_kernelINS0_13select_configILj256ELj13ELNS0_17block_load_methodE3ELS4_3ELS4_3ELNS0_20block_scan_algorithmE0ELj4294967295EEENS1_25partition_config_selectorILNS1_17partition_subalgoE4EjNS0_10empty_typeEbEEZZNS1_14partition_implILS8_4ELb0ES6_15HIP_vector_typeIjLj2EENS0_17counting_iteratorIjlEEPS9_SG_NS0_5tupleIJPjSI_NS0_16reverse_iteratorISI_EEEEENSH_IJSG_SG_SG_EEES9_SI_JZNS1_25segmented_radix_sort_implINS0_14default_configELb1EPKfPfPKlPlN2at6native12_GLOBAL__N_18offset_tEEE10hipError_tPvRmT1_PNSt15iterator_traitsIS12_E10value_typeET2_T3_PNS13_IS18_E10value_typeET4_jRbjT5_S1E_jjP12ihipStream_tbEUljE_ZNSN_ISO_Lb1ESQ_SR_ST_SU_SY_EESZ_S10_S11_S12_S16_S17_S18_S1B_S1C_jS1D_jS1E_S1E_jjS1G_bEUljE0_EEESZ_S10_S11_S18_S1C_S1E_T6_T7_T9_mT8_S1G_bDpT10_ENKUlT_T0_E_clISt17integral_constantIbLb0EES1T_IbLb1EEEEDaS1P_S1Q_EUlS1P_E_NS1_11comp_targetILNS1_3genE3ELNS1_11target_archE908ELNS1_3gpuE7ELNS1_3repE0EEENS1_30default_config_static_selectorELNS0_4arch9wavefront6targetE0EEEvS12_.private_seg_size, 0
	.set _ZN7rocprim17ROCPRIM_400000_NS6detail17trampoline_kernelINS0_13select_configILj256ELj13ELNS0_17block_load_methodE3ELS4_3ELS4_3ELNS0_20block_scan_algorithmE0ELj4294967295EEENS1_25partition_config_selectorILNS1_17partition_subalgoE4EjNS0_10empty_typeEbEEZZNS1_14partition_implILS8_4ELb0ES6_15HIP_vector_typeIjLj2EENS0_17counting_iteratorIjlEEPS9_SG_NS0_5tupleIJPjSI_NS0_16reverse_iteratorISI_EEEEENSH_IJSG_SG_SG_EEES9_SI_JZNS1_25segmented_radix_sort_implINS0_14default_configELb1EPKfPfPKlPlN2at6native12_GLOBAL__N_18offset_tEEE10hipError_tPvRmT1_PNSt15iterator_traitsIS12_E10value_typeET2_T3_PNS13_IS18_E10value_typeET4_jRbjT5_S1E_jjP12ihipStream_tbEUljE_ZNSN_ISO_Lb1ESQ_SR_ST_SU_SY_EESZ_S10_S11_S12_S16_S17_S18_S1B_S1C_jS1D_jS1E_S1E_jjS1G_bEUljE0_EEESZ_S10_S11_S18_S1C_S1E_T6_T7_T9_mT8_S1G_bDpT10_ENKUlT_T0_E_clISt17integral_constantIbLb0EES1T_IbLb1EEEEDaS1P_S1Q_EUlS1P_E_NS1_11comp_targetILNS1_3genE3ELNS1_11target_archE908ELNS1_3gpuE7ELNS1_3repE0EEENS1_30default_config_static_selectorELNS0_4arch9wavefront6targetE0EEEvS12_.uses_vcc, 0
	.set _ZN7rocprim17ROCPRIM_400000_NS6detail17trampoline_kernelINS0_13select_configILj256ELj13ELNS0_17block_load_methodE3ELS4_3ELS4_3ELNS0_20block_scan_algorithmE0ELj4294967295EEENS1_25partition_config_selectorILNS1_17partition_subalgoE4EjNS0_10empty_typeEbEEZZNS1_14partition_implILS8_4ELb0ES6_15HIP_vector_typeIjLj2EENS0_17counting_iteratorIjlEEPS9_SG_NS0_5tupleIJPjSI_NS0_16reverse_iteratorISI_EEEEENSH_IJSG_SG_SG_EEES9_SI_JZNS1_25segmented_radix_sort_implINS0_14default_configELb1EPKfPfPKlPlN2at6native12_GLOBAL__N_18offset_tEEE10hipError_tPvRmT1_PNSt15iterator_traitsIS12_E10value_typeET2_T3_PNS13_IS18_E10value_typeET4_jRbjT5_S1E_jjP12ihipStream_tbEUljE_ZNSN_ISO_Lb1ESQ_SR_ST_SU_SY_EESZ_S10_S11_S12_S16_S17_S18_S1B_S1C_jS1D_jS1E_S1E_jjS1G_bEUljE0_EEESZ_S10_S11_S18_S1C_S1E_T6_T7_T9_mT8_S1G_bDpT10_ENKUlT_T0_E_clISt17integral_constantIbLb0EES1T_IbLb1EEEEDaS1P_S1Q_EUlS1P_E_NS1_11comp_targetILNS1_3genE3ELNS1_11target_archE908ELNS1_3gpuE7ELNS1_3repE0EEENS1_30default_config_static_selectorELNS0_4arch9wavefront6targetE0EEEvS12_.uses_flat_scratch, 0
	.set _ZN7rocprim17ROCPRIM_400000_NS6detail17trampoline_kernelINS0_13select_configILj256ELj13ELNS0_17block_load_methodE3ELS4_3ELS4_3ELNS0_20block_scan_algorithmE0ELj4294967295EEENS1_25partition_config_selectorILNS1_17partition_subalgoE4EjNS0_10empty_typeEbEEZZNS1_14partition_implILS8_4ELb0ES6_15HIP_vector_typeIjLj2EENS0_17counting_iteratorIjlEEPS9_SG_NS0_5tupleIJPjSI_NS0_16reverse_iteratorISI_EEEEENSH_IJSG_SG_SG_EEES9_SI_JZNS1_25segmented_radix_sort_implINS0_14default_configELb1EPKfPfPKlPlN2at6native12_GLOBAL__N_18offset_tEEE10hipError_tPvRmT1_PNSt15iterator_traitsIS12_E10value_typeET2_T3_PNS13_IS18_E10value_typeET4_jRbjT5_S1E_jjP12ihipStream_tbEUljE_ZNSN_ISO_Lb1ESQ_SR_ST_SU_SY_EESZ_S10_S11_S12_S16_S17_S18_S1B_S1C_jS1D_jS1E_S1E_jjS1G_bEUljE0_EEESZ_S10_S11_S18_S1C_S1E_T6_T7_T9_mT8_S1G_bDpT10_ENKUlT_T0_E_clISt17integral_constantIbLb0EES1T_IbLb1EEEEDaS1P_S1Q_EUlS1P_E_NS1_11comp_targetILNS1_3genE3ELNS1_11target_archE908ELNS1_3gpuE7ELNS1_3repE0EEENS1_30default_config_static_selectorELNS0_4arch9wavefront6targetE0EEEvS12_.has_dyn_sized_stack, 0
	.set _ZN7rocprim17ROCPRIM_400000_NS6detail17trampoline_kernelINS0_13select_configILj256ELj13ELNS0_17block_load_methodE3ELS4_3ELS4_3ELNS0_20block_scan_algorithmE0ELj4294967295EEENS1_25partition_config_selectorILNS1_17partition_subalgoE4EjNS0_10empty_typeEbEEZZNS1_14partition_implILS8_4ELb0ES6_15HIP_vector_typeIjLj2EENS0_17counting_iteratorIjlEEPS9_SG_NS0_5tupleIJPjSI_NS0_16reverse_iteratorISI_EEEEENSH_IJSG_SG_SG_EEES9_SI_JZNS1_25segmented_radix_sort_implINS0_14default_configELb1EPKfPfPKlPlN2at6native12_GLOBAL__N_18offset_tEEE10hipError_tPvRmT1_PNSt15iterator_traitsIS12_E10value_typeET2_T3_PNS13_IS18_E10value_typeET4_jRbjT5_S1E_jjP12ihipStream_tbEUljE_ZNSN_ISO_Lb1ESQ_SR_ST_SU_SY_EESZ_S10_S11_S12_S16_S17_S18_S1B_S1C_jS1D_jS1E_S1E_jjS1G_bEUljE0_EEESZ_S10_S11_S18_S1C_S1E_T6_T7_T9_mT8_S1G_bDpT10_ENKUlT_T0_E_clISt17integral_constantIbLb0EES1T_IbLb1EEEEDaS1P_S1Q_EUlS1P_E_NS1_11comp_targetILNS1_3genE3ELNS1_11target_archE908ELNS1_3gpuE7ELNS1_3repE0EEENS1_30default_config_static_selectorELNS0_4arch9wavefront6targetE0EEEvS12_.has_recursion, 0
	.set _ZN7rocprim17ROCPRIM_400000_NS6detail17trampoline_kernelINS0_13select_configILj256ELj13ELNS0_17block_load_methodE3ELS4_3ELS4_3ELNS0_20block_scan_algorithmE0ELj4294967295EEENS1_25partition_config_selectorILNS1_17partition_subalgoE4EjNS0_10empty_typeEbEEZZNS1_14partition_implILS8_4ELb0ES6_15HIP_vector_typeIjLj2EENS0_17counting_iteratorIjlEEPS9_SG_NS0_5tupleIJPjSI_NS0_16reverse_iteratorISI_EEEEENSH_IJSG_SG_SG_EEES9_SI_JZNS1_25segmented_radix_sort_implINS0_14default_configELb1EPKfPfPKlPlN2at6native12_GLOBAL__N_18offset_tEEE10hipError_tPvRmT1_PNSt15iterator_traitsIS12_E10value_typeET2_T3_PNS13_IS18_E10value_typeET4_jRbjT5_S1E_jjP12ihipStream_tbEUljE_ZNSN_ISO_Lb1ESQ_SR_ST_SU_SY_EESZ_S10_S11_S12_S16_S17_S18_S1B_S1C_jS1D_jS1E_S1E_jjS1G_bEUljE0_EEESZ_S10_S11_S18_S1C_S1E_T6_T7_T9_mT8_S1G_bDpT10_ENKUlT_T0_E_clISt17integral_constantIbLb0EES1T_IbLb1EEEEDaS1P_S1Q_EUlS1P_E_NS1_11comp_targetILNS1_3genE3ELNS1_11target_archE908ELNS1_3gpuE7ELNS1_3repE0EEENS1_30default_config_static_selectorELNS0_4arch9wavefront6targetE0EEEvS12_.has_indirect_call, 0
	.section	.AMDGPU.csdata,"",@progbits
; Kernel info:
; codeLenInByte = 0
; TotalNumSgprs: 0
; NumVgprs: 0
; ScratchSize: 0
; MemoryBound: 0
; FloatMode: 240
; IeeeMode: 1
; LDSByteSize: 0 bytes/workgroup (compile time only)
; SGPRBlocks: 0
; VGPRBlocks: 0
; NumSGPRsForWavesPerEU: 1
; NumVGPRsForWavesPerEU: 1
; Occupancy: 16
; WaveLimiterHint : 0
; COMPUTE_PGM_RSRC2:SCRATCH_EN: 0
; COMPUTE_PGM_RSRC2:USER_SGPR: 2
; COMPUTE_PGM_RSRC2:TRAP_HANDLER: 0
; COMPUTE_PGM_RSRC2:TGID_X_EN: 1
; COMPUTE_PGM_RSRC2:TGID_Y_EN: 0
; COMPUTE_PGM_RSRC2:TGID_Z_EN: 0
; COMPUTE_PGM_RSRC2:TIDIG_COMP_CNT: 0
	.section	.text._ZN7rocprim17ROCPRIM_400000_NS6detail17trampoline_kernelINS0_13select_configILj256ELj13ELNS0_17block_load_methodE3ELS4_3ELS4_3ELNS0_20block_scan_algorithmE0ELj4294967295EEENS1_25partition_config_selectorILNS1_17partition_subalgoE4EjNS0_10empty_typeEbEEZZNS1_14partition_implILS8_4ELb0ES6_15HIP_vector_typeIjLj2EENS0_17counting_iteratorIjlEEPS9_SG_NS0_5tupleIJPjSI_NS0_16reverse_iteratorISI_EEEEENSH_IJSG_SG_SG_EEES9_SI_JZNS1_25segmented_radix_sort_implINS0_14default_configELb1EPKfPfPKlPlN2at6native12_GLOBAL__N_18offset_tEEE10hipError_tPvRmT1_PNSt15iterator_traitsIS12_E10value_typeET2_T3_PNS13_IS18_E10value_typeET4_jRbjT5_S1E_jjP12ihipStream_tbEUljE_ZNSN_ISO_Lb1ESQ_SR_ST_SU_SY_EESZ_S10_S11_S12_S16_S17_S18_S1B_S1C_jS1D_jS1E_S1E_jjS1G_bEUljE0_EEESZ_S10_S11_S18_S1C_S1E_T6_T7_T9_mT8_S1G_bDpT10_ENKUlT_T0_E_clISt17integral_constantIbLb0EES1T_IbLb1EEEEDaS1P_S1Q_EUlS1P_E_NS1_11comp_targetILNS1_3genE2ELNS1_11target_archE906ELNS1_3gpuE6ELNS1_3repE0EEENS1_30default_config_static_selectorELNS0_4arch9wavefront6targetE0EEEvS12_,"axG",@progbits,_ZN7rocprim17ROCPRIM_400000_NS6detail17trampoline_kernelINS0_13select_configILj256ELj13ELNS0_17block_load_methodE3ELS4_3ELS4_3ELNS0_20block_scan_algorithmE0ELj4294967295EEENS1_25partition_config_selectorILNS1_17partition_subalgoE4EjNS0_10empty_typeEbEEZZNS1_14partition_implILS8_4ELb0ES6_15HIP_vector_typeIjLj2EENS0_17counting_iteratorIjlEEPS9_SG_NS0_5tupleIJPjSI_NS0_16reverse_iteratorISI_EEEEENSH_IJSG_SG_SG_EEES9_SI_JZNS1_25segmented_radix_sort_implINS0_14default_configELb1EPKfPfPKlPlN2at6native12_GLOBAL__N_18offset_tEEE10hipError_tPvRmT1_PNSt15iterator_traitsIS12_E10value_typeET2_T3_PNS13_IS18_E10value_typeET4_jRbjT5_S1E_jjP12ihipStream_tbEUljE_ZNSN_ISO_Lb1ESQ_SR_ST_SU_SY_EESZ_S10_S11_S12_S16_S17_S18_S1B_S1C_jS1D_jS1E_S1E_jjS1G_bEUljE0_EEESZ_S10_S11_S18_S1C_S1E_T6_T7_T9_mT8_S1G_bDpT10_ENKUlT_T0_E_clISt17integral_constantIbLb0EES1T_IbLb1EEEEDaS1P_S1Q_EUlS1P_E_NS1_11comp_targetILNS1_3genE2ELNS1_11target_archE906ELNS1_3gpuE6ELNS1_3repE0EEENS1_30default_config_static_selectorELNS0_4arch9wavefront6targetE0EEEvS12_,comdat
	.globl	_ZN7rocprim17ROCPRIM_400000_NS6detail17trampoline_kernelINS0_13select_configILj256ELj13ELNS0_17block_load_methodE3ELS4_3ELS4_3ELNS0_20block_scan_algorithmE0ELj4294967295EEENS1_25partition_config_selectorILNS1_17partition_subalgoE4EjNS0_10empty_typeEbEEZZNS1_14partition_implILS8_4ELb0ES6_15HIP_vector_typeIjLj2EENS0_17counting_iteratorIjlEEPS9_SG_NS0_5tupleIJPjSI_NS0_16reverse_iteratorISI_EEEEENSH_IJSG_SG_SG_EEES9_SI_JZNS1_25segmented_radix_sort_implINS0_14default_configELb1EPKfPfPKlPlN2at6native12_GLOBAL__N_18offset_tEEE10hipError_tPvRmT1_PNSt15iterator_traitsIS12_E10value_typeET2_T3_PNS13_IS18_E10value_typeET4_jRbjT5_S1E_jjP12ihipStream_tbEUljE_ZNSN_ISO_Lb1ESQ_SR_ST_SU_SY_EESZ_S10_S11_S12_S16_S17_S18_S1B_S1C_jS1D_jS1E_S1E_jjS1G_bEUljE0_EEESZ_S10_S11_S18_S1C_S1E_T6_T7_T9_mT8_S1G_bDpT10_ENKUlT_T0_E_clISt17integral_constantIbLb0EES1T_IbLb1EEEEDaS1P_S1Q_EUlS1P_E_NS1_11comp_targetILNS1_3genE2ELNS1_11target_archE906ELNS1_3gpuE6ELNS1_3repE0EEENS1_30default_config_static_selectorELNS0_4arch9wavefront6targetE0EEEvS12_ ; -- Begin function _ZN7rocprim17ROCPRIM_400000_NS6detail17trampoline_kernelINS0_13select_configILj256ELj13ELNS0_17block_load_methodE3ELS4_3ELS4_3ELNS0_20block_scan_algorithmE0ELj4294967295EEENS1_25partition_config_selectorILNS1_17partition_subalgoE4EjNS0_10empty_typeEbEEZZNS1_14partition_implILS8_4ELb0ES6_15HIP_vector_typeIjLj2EENS0_17counting_iteratorIjlEEPS9_SG_NS0_5tupleIJPjSI_NS0_16reverse_iteratorISI_EEEEENSH_IJSG_SG_SG_EEES9_SI_JZNS1_25segmented_radix_sort_implINS0_14default_configELb1EPKfPfPKlPlN2at6native12_GLOBAL__N_18offset_tEEE10hipError_tPvRmT1_PNSt15iterator_traitsIS12_E10value_typeET2_T3_PNS13_IS18_E10value_typeET4_jRbjT5_S1E_jjP12ihipStream_tbEUljE_ZNSN_ISO_Lb1ESQ_SR_ST_SU_SY_EESZ_S10_S11_S12_S16_S17_S18_S1B_S1C_jS1D_jS1E_S1E_jjS1G_bEUljE0_EEESZ_S10_S11_S18_S1C_S1E_T6_T7_T9_mT8_S1G_bDpT10_ENKUlT_T0_E_clISt17integral_constantIbLb0EES1T_IbLb1EEEEDaS1P_S1Q_EUlS1P_E_NS1_11comp_targetILNS1_3genE2ELNS1_11target_archE906ELNS1_3gpuE6ELNS1_3repE0EEENS1_30default_config_static_selectorELNS0_4arch9wavefront6targetE0EEEvS12_
	.p2align	8
	.type	_ZN7rocprim17ROCPRIM_400000_NS6detail17trampoline_kernelINS0_13select_configILj256ELj13ELNS0_17block_load_methodE3ELS4_3ELS4_3ELNS0_20block_scan_algorithmE0ELj4294967295EEENS1_25partition_config_selectorILNS1_17partition_subalgoE4EjNS0_10empty_typeEbEEZZNS1_14partition_implILS8_4ELb0ES6_15HIP_vector_typeIjLj2EENS0_17counting_iteratorIjlEEPS9_SG_NS0_5tupleIJPjSI_NS0_16reverse_iteratorISI_EEEEENSH_IJSG_SG_SG_EEES9_SI_JZNS1_25segmented_radix_sort_implINS0_14default_configELb1EPKfPfPKlPlN2at6native12_GLOBAL__N_18offset_tEEE10hipError_tPvRmT1_PNSt15iterator_traitsIS12_E10value_typeET2_T3_PNS13_IS18_E10value_typeET4_jRbjT5_S1E_jjP12ihipStream_tbEUljE_ZNSN_ISO_Lb1ESQ_SR_ST_SU_SY_EESZ_S10_S11_S12_S16_S17_S18_S1B_S1C_jS1D_jS1E_S1E_jjS1G_bEUljE0_EEESZ_S10_S11_S18_S1C_S1E_T6_T7_T9_mT8_S1G_bDpT10_ENKUlT_T0_E_clISt17integral_constantIbLb0EES1T_IbLb1EEEEDaS1P_S1Q_EUlS1P_E_NS1_11comp_targetILNS1_3genE2ELNS1_11target_archE906ELNS1_3gpuE6ELNS1_3repE0EEENS1_30default_config_static_selectorELNS0_4arch9wavefront6targetE0EEEvS12_,@function
_ZN7rocprim17ROCPRIM_400000_NS6detail17trampoline_kernelINS0_13select_configILj256ELj13ELNS0_17block_load_methodE3ELS4_3ELS4_3ELNS0_20block_scan_algorithmE0ELj4294967295EEENS1_25partition_config_selectorILNS1_17partition_subalgoE4EjNS0_10empty_typeEbEEZZNS1_14partition_implILS8_4ELb0ES6_15HIP_vector_typeIjLj2EENS0_17counting_iteratorIjlEEPS9_SG_NS0_5tupleIJPjSI_NS0_16reverse_iteratorISI_EEEEENSH_IJSG_SG_SG_EEES9_SI_JZNS1_25segmented_radix_sort_implINS0_14default_configELb1EPKfPfPKlPlN2at6native12_GLOBAL__N_18offset_tEEE10hipError_tPvRmT1_PNSt15iterator_traitsIS12_E10value_typeET2_T3_PNS13_IS18_E10value_typeET4_jRbjT5_S1E_jjP12ihipStream_tbEUljE_ZNSN_ISO_Lb1ESQ_SR_ST_SU_SY_EESZ_S10_S11_S12_S16_S17_S18_S1B_S1C_jS1D_jS1E_S1E_jjS1G_bEUljE0_EEESZ_S10_S11_S18_S1C_S1E_T6_T7_T9_mT8_S1G_bDpT10_ENKUlT_T0_E_clISt17integral_constantIbLb0EES1T_IbLb1EEEEDaS1P_S1Q_EUlS1P_E_NS1_11comp_targetILNS1_3genE2ELNS1_11target_archE906ELNS1_3gpuE6ELNS1_3repE0EEENS1_30default_config_static_selectorELNS0_4arch9wavefront6targetE0EEEvS12_: ; @_ZN7rocprim17ROCPRIM_400000_NS6detail17trampoline_kernelINS0_13select_configILj256ELj13ELNS0_17block_load_methodE3ELS4_3ELS4_3ELNS0_20block_scan_algorithmE0ELj4294967295EEENS1_25partition_config_selectorILNS1_17partition_subalgoE4EjNS0_10empty_typeEbEEZZNS1_14partition_implILS8_4ELb0ES6_15HIP_vector_typeIjLj2EENS0_17counting_iteratorIjlEEPS9_SG_NS0_5tupleIJPjSI_NS0_16reverse_iteratorISI_EEEEENSH_IJSG_SG_SG_EEES9_SI_JZNS1_25segmented_radix_sort_implINS0_14default_configELb1EPKfPfPKlPlN2at6native12_GLOBAL__N_18offset_tEEE10hipError_tPvRmT1_PNSt15iterator_traitsIS12_E10value_typeET2_T3_PNS13_IS18_E10value_typeET4_jRbjT5_S1E_jjP12ihipStream_tbEUljE_ZNSN_ISO_Lb1ESQ_SR_ST_SU_SY_EESZ_S10_S11_S12_S16_S17_S18_S1B_S1C_jS1D_jS1E_S1E_jjS1G_bEUljE0_EEESZ_S10_S11_S18_S1C_S1E_T6_T7_T9_mT8_S1G_bDpT10_ENKUlT_T0_E_clISt17integral_constantIbLb0EES1T_IbLb1EEEEDaS1P_S1Q_EUlS1P_E_NS1_11comp_targetILNS1_3genE2ELNS1_11target_archE906ELNS1_3gpuE6ELNS1_3repE0EEENS1_30default_config_static_selectorELNS0_4arch9wavefront6targetE0EEEvS12_
; %bb.0:
	.section	.rodata,"a",@progbits
	.p2align	6, 0x0
	.amdhsa_kernel _ZN7rocprim17ROCPRIM_400000_NS6detail17trampoline_kernelINS0_13select_configILj256ELj13ELNS0_17block_load_methodE3ELS4_3ELS4_3ELNS0_20block_scan_algorithmE0ELj4294967295EEENS1_25partition_config_selectorILNS1_17partition_subalgoE4EjNS0_10empty_typeEbEEZZNS1_14partition_implILS8_4ELb0ES6_15HIP_vector_typeIjLj2EENS0_17counting_iteratorIjlEEPS9_SG_NS0_5tupleIJPjSI_NS0_16reverse_iteratorISI_EEEEENSH_IJSG_SG_SG_EEES9_SI_JZNS1_25segmented_radix_sort_implINS0_14default_configELb1EPKfPfPKlPlN2at6native12_GLOBAL__N_18offset_tEEE10hipError_tPvRmT1_PNSt15iterator_traitsIS12_E10value_typeET2_T3_PNS13_IS18_E10value_typeET4_jRbjT5_S1E_jjP12ihipStream_tbEUljE_ZNSN_ISO_Lb1ESQ_SR_ST_SU_SY_EESZ_S10_S11_S12_S16_S17_S18_S1B_S1C_jS1D_jS1E_S1E_jjS1G_bEUljE0_EEESZ_S10_S11_S18_S1C_S1E_T6_T7_T9_mT8_S1G_bDpT10_ENKUlT_T0_E_clISt17integral_constantIbLb0EES1T_IbLb1EEEEDaS1P_S1Q_EUlS1P_E_NS1_11comp_targetILNS1_3genE2ELNS1_11target_archE906ELNS1_3gpuE6ELNS1_3repE0EEENS1_30default_config_static_selectorELNS0_4arch9wavefront6targetE0EEEvS12_
		.amdhsa_group_segment_fixed_size 0
		.amdhsa_private_segment_fixed_size 0
		.amdhsa_kernarg_size 184
		.amdhsa_user_sgpr_count 2
		.amdhsa_user_sgpr_dispatch_ptr 0
		.amdhsa_user_sgpr_queue_ptr 0
		.amdhsa_user_sgpr_kernarg_segment_ptr 1
		.amdhsa_user_sgpr_dispatch_id 0
		.amdhsa_user_sgpr_private_segment_size 0
		.amdhsa_wavefront_size32 1
		.amdhsa_uses_dynamic_stack 0
		.amdhsa_enable_private_segment 0
		.amdhsa_system_sgpr_workgroup_id_x 1
		.amdhsa_system_sgpr_workgroup_id_y 0
		.amdhsa_system_sgpr_workgroup_id_z 0
		.amdhsa_system_sgpr_workgroup_info 0
		.amdhsa_system_vgpr_workitem_id 0
		.amdhsa_next_free_vgpr 1
		.amdhsa_next_free_sgpr 1
		.amdhsa_reserve_vcc 0
		.amdhsa_float_round_mode_32 0
		.amdhsa_float_round_mode_16_64 0
		.amdhsa_float_denorm_mode_32 3
		.amdhsa_float_denorm_mode_16_64 3
		.amdhsa_fp16_overflow 0
		.amdhsa_workgroup_processor_mode 1
		.amdhsa_memory_ordered 1
		.amdhsa_forward_progress 1
		.amdhsa_inst_pref_size 0
		.amdhsa_round_robin_scheduling 0
		.amdhsa_exception_fp_ieee_invalid_op 0
		.amdhsa_exception_fp_denorm_src 0
		.amdhsa_exception_fp_ieee_div_zero 0
		.amdhsa_exception_fp_ieee_overflow 0
		.amdhsa_exception_fp_ieee_underflow 0
		.amdhsa_exception_fp_ieee_inexact 0
		.amdhsa_exception_int_div_zero 0
	.end_amdhsa_kernel
	.section	.text._ZN7rocprim17ROCPRIM_400000_NS6detail17trampoline_kernelINS0_13select_configILj256ELj13ELNS0_17block_load_methodE3ELS4_3ELS4_3ELNS0_20block_scan_algorithmE0ELj4294967295EEENS1_25partition_config_selectorILNS1_17partition_subalgoE4EjNS0_10empty_typeEbEEZZNS1_14partition_implILS8_4ELb0ES6_15HIP_vector_typeIjLj2EENS0_17counting_iteratorIjlEEPS9_SG_NS0_5tupleIJPjSI_NS0_16reverse_iteratorISI_EEEEENSH_IJSG_SG_SG_EEES9_SI_JZNS1_25segmented_radix_sort_implINS0_14default_configELb1EPKfPfPKlPlN2at6native12_GLOBAL__N_18offset_tEEE10hipError_tPvRmT1_PNSt15iterator_traitsIS12_E10value_typeET2_T3_PNS13_IS18_E10value_typeET4_jRbjT5_S1E_jjP12ihipStream_tbEUljE_ZNSN_ISO_Lb1ESQ_SR_ST_SU_SY_EESZ_S10_S11_S12_S16_S17_S18_S1B_S1C_jS1D_jS1E_S1E_jjS1G_bEUljE0_EEESZ_S10_S11_S18_S1C_S1E_T6_T7_T9_mT8_S1G_bDpT10_ENKUlT_T0_E_clISt17integral_constantIbLb0EES1T_IbLb1EEEEDaS1P_S1Q_EUlS1P_E_NS1_11comp_targetILNS1_3genE2ELNS1_11target_archE906ELNS1_3gpuE6ELNS1_3repE0EEENS1_30default_config_static_selectorELNS0_4arch9wavefront6targetE0EEEvS12_,"axG",@progbits,_ZN7rocprim17ROCPRIM_400000_NS6detail17trampoline_kernelINS0_13select_configILj256ELj13ELNS0_17block_load_methodE3ELS4_3ELS4_3ELNS0_20block_scan_algorithmE0ELj4294967295EEENS1_25partition_config_selectorILNS1_17partition_subalgoE4EjNS0_10empty_typeEbEEZZNS1_14partition_implILS8_4ELb0ES6_15HIP_vector_typeIjLj2EENS0_17counting_iteratorIjlEEPS9_SG_NS0_5tupleIJPjSI_NS0_16reverse_iteratorISI_EEEEENSH_IJSG_SG_SG_EEES9_SI_JZNS1_25segmented_radix_sort_implINS0_14default_configELb1EPKfPfPKlPlN2at6native12_GLOBAL__N_18offset_tEEE10hipError_tPvRmT1_PNSt15iterator_traitsIS12_E10value_typeET2_T3_PNS13_IS18_E10value_typeET4_jRbjT5_S1E_jjP12ihipStream_tbEUljE_ZNSN_ISO_Lb1ESQ_SR_ST_SU_SY_EESZ_S10_S11_S12_S16_S17_S18_S1B_S1C_jS1D_jS1E_S1E_jjS1G_bEUljE0_EEESZ_S10_S11_S18_S1C_S1E_T6_T7_T9_mT8_S1G_bDpT10_ENKUlT_T0_E_clISt17integral_constantIbLb0EES1T_IbLb1EEEEDaS1P_S1Q_EUlS1P_E_NS1_11comp_targetILNS1_3genE2ELNS1_11target_archE906ELNS1_3gpuE6ELNS1_3repE0EEENS1_30default_config_static_selectorELNS0_4arch9wavefront6targetE0EEEvS12_,comdat
.Lfunc_end1289:
	.size	_ZN7rocprim17ROCPRIM_400000_NS6detail17trampoline_kernelINS0_13select_configILj256ELj13ELNS0_17block_load_methodE3ELS4_3ELS4_3ELNS0_20block_scan_algorithmE0ELj4294967295EEENS1_25partition_config_selectorILNS1_17partition_subalgoE4EjNS0_10empty_typeEbEEZZNS1_14partition_implILS8_4ELb0ES6_15HIP_vector_typeIjLj2EENS0_17counting_iteratorIjlEEPS9_SG_NS0_5tupleIJPjSI_NS0_16reverse_iteratorISI_EEEEENSH_IJSG_SG_SG_EEES9_SI_JZNS1_25segmented_radix_sort_implINS0_14default_configELb1EPKfPfPKlPlN2at6native12_GLOBAL__N_18offset_tEEE10hipError_tPvRmT1_PNSt15iterator_traitsIS12_E10value_typeET2_T3_PNS13_IS18_E10value_typeET4_jRbjT5_S1E_jjP12ihipStream_tbEUljE_ZNSN_ISO_Lb1ESQ_SR_ST_SU_SY_EESZ_S10_S11_S12_S16_S17_S18_S1B_S1C_jS1D_jS1E_S1E_jjS1G_bEUljE0_EEESZ_S10_S11_S18_S1C_S1E_T6_T7_T9_mT8_S1G_bDpT10_ENKUlT_T0_E_clISt17integral_constantIbLb0EES1T_IbLb1EEEEDaS1P_S1Q_EUlS1P_E_NS1_11comp_targetILNS1_3genE2ELNS1_11target_archE906ELNS1_3gpuE6ELNS1_3repE0EEENS1_30default_config_static_selectorELNS0_4arch9wavefront6targetE0EEEvS12_, .Lfunc_end1289-_ZN7rocprim17ROCPRIM_400000_NS6detail17trampoline_kernelINS0_13select_configILj256ELj13ELNS0_17block_load_methodE3ELS4_3ELS4_3ELNS0_20block_scan_algorithmE0ELj4294967295EEENS1_25partition_config_selectorILNS1_17partition_subalgoE4EjNS0_10empty_typeEbEEZZNS1_14partition_implILS8_4ELb0ES6_15HIP_vector_typeIjLj2EENS0_17counting_iteratorIjlEEPS9_SG_NS0_5tupleIJPjSI_NS0_16reverse_iteratorISI_EEEEENSH_IJSG_SG_SG_EEES9_SI_JZNS1_25segmented_radix_sort_implINS0_14default_configELb1EPKfPfPKlPlN2at6native12_GLOBAL__N_18offset_tEEE10hipError_tPvRmT1_PNSt15iterator_traitsIS12_E10value_typeET2_T3_PNS13_IS18_E10value_typeET4_jRbjT5_S1E_jjP12ihipStream_tbEUljE_ZNSN_ISO_Lb1ESQ_SR_ST_SU_SY_EESZ_S10_S11_S12_S16_S17_S18_S1B_S1C_jS1D_jS1E_S1E_jjS1G_bEUljE0_EEESZ_S10_S11_S18_S1C_S1E_T6_T7_T9_mT8_S1G_bDpT10_ENKUlT_T0_E_clISt17integral_constantIbLb0EES1T_IbLb1EEEEDaS1P_S1Q_EUlS1P_E_NS1_11comp_targetILNS1_3genE2ELNS1_11target_archE906ELNS1_3gpuE6ELNS1_3repE0EEENS1_30default_config_static_selectorELNS0_4arch9wavefront6targetE0EEEvS12_
                                        ; -- End function
	.set _ZN7rocprim17ROCPRIM_400000_NS6detail17trampoline_kernelINS0_13select_configILj256ELj13ELNS0_17block_load_methodE3ELS4_3ELS4_3ELNS0_20block_scan_algorithmE0ELj4294967295EEENS1_25partition_config_selectorILNS1_17partition_subalgoE4EjNS0_10empty_typeEbEEZZNS1_14partition_implILS8_4ELb0ES6_15HIP_vector_typeIjLj2EENS0_17counting_iteratorIjlEEPS9_SG_NS0_5tupleIJPjSI_NS0_16reverse_iteratorISI_EEEEENSH_IJSG_SG_SG_EEES9_SI_JZNS1_25segmented_radix_sort_implINS0_14default_configELb1EPKfPfPKlPlN2at6native12_GLOBAL__N_18offset_tEEE10hipError_tPvRmT1_PNSt15iterator_traitsIS12_E10value_typeET2_T3_PNS13_IS18_E10value_typeET4_jRbjT5_S1E_jjP12ihipStream_tbEUljE_ZNSN_ISO_Lb1ESQ_SR_ST_SU_SY_EESZ_S10_S11_S12_S16_S17_S18_S1B_S1C_jS1D_jS1E_S1E_jjS1G_bEUljE0_EEESZ_S10_S11_S18_S1C_S1E_T6_T7_T9_mT8_S1G_bDpT10_ENKUlT_T0_E_clISt17integral_constantIbLb0EES1T_IbLb1EEEEDaS1P_S1Q_EUlS1P_E_NS1_11comp_targetILNS1_3genE2ELNS1_11target_archE906ELNS1_3gpuE6ELNS1_3repE0EEENS1_30default_config_static_selectorELNS0_4arch9wavefront6targetE0EEEvS12_.num_vgpr, 0
	.set _ZN7rocprim17ROCPRIM_400000_NS6detail17trampoline_kernelINS0_13select_configILj256ELj13ELNS0_17block_load_methodE3ELS4_3ELS4_3ELNS0_20block_scan_algorithmE0ELj4294967295EEENS1_25partition_config_selectorILNS1_17partition_subalgoE4EjNS0_10empty_typeEbEEZZNS1_14partition_implILS8_4ELb0ES6_15HIP_vector_typeIjLj2EENS0_17counting_iteratorIjlEEPS9_SG_NS0_5tupleIJPjSI_NS0_16reverse_iteratorISI_EEEEENSH_IJSG_SG_SG_EEES9_SI_JZNS1_25segmented_radix_sort_implINS0_14default_configELb1EPKfPfPKlPlN2at6native12_GLOBAL__N_18offset_tEEE10hipError_tPvRmT1_PNSt15iterator_traitsIS12_E10value_typeET2_T3_PNS13_IS18_E10value_typeET4_jRbjT5_S1E_jjP12ihipStream_tbEUljE_ZNSN_ISO_Lb1ESQ_SR_ST_SU_SY_EESZ_S10_S11_S12_S16_S17_S18_S1B_S1C_jS1D_jS1E_S1E_jjS1G_bEUljE0_EEESZ_S10_S11_S18_S1C_S1E_T6_T7_T9_mT8_S1G_bDpT10_ENKUlT_T0_E_clISt17integral_constantIbLb0EES1T_IbLb1EEEEDaS1P_S1Q_EUlS1P_E_NS1_11comp_targetILNS1_3genE2ELNS1_11target_archE906ELNS1_3gpuE6ELNS1_3repE0EEENS1_30default_config_static_selectorELNS0_4arch9wavefront6targetE0EEEvS12_.num_agpr, 0
	.set _ZN7rocprim17ROCPRIM_400000_NS6detail17trampoline_kernelINS0_13select_configILj256ELj13ELNS0_17block_load_methodE3ELS4_3ELS4_3ELNS0_20block_scan_algorithmE0ELj4294967295EEENS1_25partition_config_selectorILNS1_17partition_subalgoE4EjNS0_10empty_typeEbEEZZNS1_14partition_implILS8_4ELb0ES6_15HIP_vector_typeIjLj2EENS0_17counting_iteratorIjlEEPS9_SG_NS0_5tupleIJPjSI_NS0_16reverse_iteratorISI_EEEEENSH_IJSG_SG_SG_EEES9_SI_JZNS1_25segmented_radix_sort_implINS0_14default_configELb1EPKfPfPKlPlN2at6native12_GLOBAL__N_18offset_tEEE10hipError_tPvRmT1_PNSt15iterator_traitsIS12_E10value_typeET2_T3_PNS13_IS18_E10value_typeET4_jRbjT5_S1E_jjP12ihipStream_tbEUljE_ZNSN_ISO_Lb1ESQ_SR_ST_SU_SY_EESZ_S10_S11_S12_S16_S17_S18_S1B_S1C_jS1D_jS1E_S1E_jjS1G_bEUljE0_EEESZ_S10_S11_S18_S1C_S1E_T6_T7_T9_mT8_S1G_bDpT10_ENKUlT_T0_E_clISt17integral_constantIbLb0EES1T_IbLb1EEEEDaS1P_S1Q_EUlS1P_E_NS1_11comp_targetILNS1_3genE2ELNS1_11target_archE906ELNS1_3gpuE6ELNS1_3repE0EEENS1_30default_config_static_selectorELNS0_4arch9wavefront6targetE0EEEvS12_.numbered_sgpr, 0
	.set _ZN7rocprim17ROCPRIM_400000_NS6detail17trampoline_kernelINS0_13select_configILj256ELj13ELNS0_17block_load_methodE3ELS4_3ELS4_3ELNS0_20block_scan_algorithmE0ELj4294967295EEENS1_25partition_config_selectorILNS1_17partition_subalgoE4EjNS0_10empty_typeEbEEZZNS1_14partition_implILS8_4ELb0ES6_15HIP_vector_typeIjLj2EENS0_17counting_iteratorIjlEEPS9_SG_NS0_5tupleIJPjSI_NS0_16reverse_iteratorISI_EEEEENSH_IJSG_SG_SG_EEES9_SI_JZNS1_25segmented_radix_sort_implINS0_14default_configELb1EPKfPfPKlPlN2at6native12_GLOBAL__N_18offset_tEEE10hipError_tPvRmT1_PNSt15iterator_traitsIS12_E10value_typeET2_T3_PNS13_IS18_E10value_typeET4_jRbjT5_S1E_jjP12ihipStream_tbEUljE_ZNSN_ISO_Lb1ESQ_SR_ST_SU_SY_EESZ_S10_S11_S12_S16_S17_S18_S1B_S1C_jS1D_jS1E_S1E_jjS1G_bEUljE0_EEESZ_S10_S11_S18_S1C_S1E_T6_T7_T9_mT8_S1G_bDpT10_ENKUlT_T0_E_clISt17integral_constantIbLb0EES1T_IbLb1EEEEDaS1P_S1Q_EUlS1P_E_NS1_11comp_targetILNS1_3genE2ELNS1_11target_archE906ELNS1_3gpuE6ELNS1_3repE0EEENS1_30default_config_static_selectorELNS0_4arch9wavefront6targetE0EEEvS12_.num_named_barrier, 0
	.set _ZN7rocprim17ROCPRIM_400000_NS6detail17trampoline_kernelINS0_13select_configILj256ELj13ELNS0_17block_load_methodE3ELS4_3ELS4_3ELNS0_20block_scan_algorithmE0ELj4294967295EEENS1_25partition_config_selectorILNS1_17partition_subalgoE4EjNS0_10empty_typeEbEEZZNS1_14partition_implILS8_4ELb0ES6_15HIP_vector_typeIjLj2EENS0_17counting_iteratorIjlEEPS9_SG_NS0_5tupleIJPjSI_NS0_16reverse_iteratorISI_EEEEENSH_IJSG_SG_SG_EEES9_SI_JZNS1_25segmented_radix_sort_implINS0_14default_configELb1EPKfPfPKlPlN2at6native12_GLOBAL__N_18offset_tEEE10hipError_tPvRmT1_PNSt15iterator_traitsIS12_E10value_typeET2_T3_PNS13_IS18_E10value_typeET4_jRbjT5_S1E_jjP12ihipStream_tbEUljE_ZNSN_ISO_Lb1ESQ_SR_ST_SU_SY_EESZ_S10_S11_S12_S16_S17_S18_S1B_S1C_jS1D_jS1E_S1E_jjS1G_bEUljE0_EEESZ_S10_S11_S18_S1C_S1E_T6_T7_T9_mT8_S1G_bDpT10_ENKUlT_T0_E_clISt17integral_constantIbLb0EES1T_IbLb1EEEEDaS1P_S1Q_EUlS1P_E_NS1_11comp_targetILNS1_3genE2ELNS1_11target_archE906ELNS1_3gpuE6ELNS1_3repE0EEENS1_30default_config_static_selectorELNS0_4arch9wavefront6targetE0EEEvS12_.private_seg_size, 0
	.set _ZN7rocprim17ROCPRIM_400000_NS6detail17trampoline_kernelINS0_13select_configILj256ELj13ELNS0_17block_load_methodE3ELS4_3ELS4_3ELNS0_20block_scan_algorithmE0ELj4294967295EEENS1_25partition_config_selectorILNS1_17partition_subalgoE4EjNS0_10empty_typeEbEEZZNS1_14partition_implILS8_4ELb0ES6_15HIP_vector_typeIjLj2EENS0_17counting_iteratorIjlEEPS9_SG_NS0_5tupleIJPjSI_NS0_16reverse_iteratorISI_EEEEENSH_IJSG_SG_SG_EEES9_SI_JZNS1_25segmented_radix_sort_implINS0_14default_configELb1EPKfPfPKlPlN2at6native12_GLOBAL__N_18offset_tEEE10hipError_tPvRmT1_PNSt15iterator_traitsIS12_E10value_typeET2_T3_PNS13_IS18_E10value_typeET4_jRbjT5_S1E_jjP12ihipStream_tbEUljE_ZNSN_ISO_Lb1ESQ_SR_ST_SU_SY_EESZ_S10_S11_S12_S16_S17_S18_S1B_S1C_jS1D_jS1E_S1E_jjS1G_bEUljE0_EEESZ_S10_S11_S18_S1C_S1E_T6_T7_T9_mT8_S1G_bDpT10_ENKUlT_T0_E_clISt17integral_constantIbLb0EES1T_IbLb1EEEEDaS1P_S1Q_EUlS1P_E_NS1_11comp_targetILNS1_3genE2ELNS1_11target_archE906ELNS1_3gpuE6ELNS1_3repE0EEENS1_30default_config_static_selectorELNS0_4arch9wavefront6targetE0EEEvS12_.uses_vcc, 0
	.set _ZN7rocprim17ROCPRIM_400000_NS6detail17trampoline_kernelINS0_13select_configILj256ELj13ELNS0_17block_load_methodE3ELS4_3ELS4_3ELNS0_20block_scan_algorithmE0ELj4294967295EEENS1_25partition_config_selectorILNS1_17partition_subalgoE4EjNS0_10empty_typeEbEEZZNS1_14partition_implILS8_4ELb0ES6_15HIP_vector_typeIjLj2EENS0_17counting_iteratorIjlEEPS9_SG_NS0_5tupleIJPjSI_NS0_16reverse_iteratorISI_EEEEENSH_IJSG_SG_SG_EEES9_SI_JZNS1_25segmented_radix_sort_implINS0_14default_configELb1EPKfPfPKlPlN2at6native12_GLOBAL__N_18offset_tEEE10hipError_tPvRmT1_PNSt15iterator_traitsIS12_E10value_typeET2_T3_PNS13_IS18_E10value_typeET4_jRbjT5_S1E_jjP12ihipStream_tbEUljE_ZNSN_ISO_Lb1ESQ_SR_ST_SU_SY_EESZ_S10_S11_S12_S16_S17_S18_S1B_S1C_jS1D_jS1E_S1E_jjS1G_bEUljE0_EEESZ_S10_S11_S18_S1C_S1E_T6_T7_T9_mT8_S1G_bDpT10_ENKUlT_T0_E_clISt17integral_constantIbLb0EES1T_IbLb1EEEEDaS1P_S1Q_EUlS1P_E_NS1_11comp_targetILNS1_3genE2ELNS1_11target_archE906ELNS1_3gpuE6ELNS1_3repE0EEENS1_30default_config_static_selectorELNS0_4arch9wavefront6targetE0EEEvS12_.uses_flat_scratch, 0
	.set _ZN7rocprim17ROCPRIM_400000_NS6detail17trampoline_kernelINS0_13select_configILj256ELj13ELNS0_17block_load_methodE3ELS4_3ELS4_3ELNS0_20block_scan_algorithmE0ELj4294967295EEENS1_25partition_config_selectorILNS1_17partition_subalgoE4EjNS0_10empty_typeEbEEZZNS1_14partition_implILS8_4ELb0ES6_15HIP_vector_typeIjLj2EENS0_17counting_iteratorIjlEEPS9_SG_NS0_5tupleIJPjSI_NS0_16reverse_iteratorISI_EEEEENSH_IJSG_SG_SG_EEES9_SI_JZNS1_25segmented_radix_sort_implINS0_14default_configELb1EPKfPfPKlPlN2at6native12_GLOBAL__N_18offset_tEEE10hipError_tPvRmT1_PNSt15iterator_traitsIS12_E10value_typeET2_T3_PNS13_IS18_E10value_typeET4_jRbjT5_S1E_jjP12ihipStream_tbEUljE_ZNSN_ISO_Lb1ESQ_SR_ST_SU_SY_EESZ_S10_S11_S12_S16_S17_S18_S1B_S1C_jS1D_jS1E_S1E_jjS1G_bEUljE0_EEESZ_S10_S11_S18_S1C_S1E_T6_T7_T9_mT8_S1G_bDpT10_ENKUlT_T0_E_clISt17integral_constantIbLb0EES1T_IbLb1EEEEDaS1P_S1Q_EUlS1P_E_NS1_11comp_targetILNS1_3genE2ELNS1_11target_archE906ELNS1_3gpuE6ELNS1_3repE0EEENS1_30default_config_static_selectorELNS0_4arch9wavefront6targetE0EEEvS12_.has_dyn_sized_stack, 0
	.set _ZN7rocprim17ROCPRIM_400000_NS6detail17trampoline_kernelINS0_13select_configILj256ELj13ELNS0_17block_load_methodE3ELS4_3ELS4_3ELNS0_20block_scan_algorithmE0ELj4294967295EEENS1_25partition_config_selectorILNS1_17partition_subalgoE4EjNS0_10empty_typeEbEEZZNS1_14partition_implILS8_4ELb0ES6_15HIP_vector_typeIjLj2EENS0_17counting_iteratorIjlEEPS9_SG_NS0_5tupleIJPjSI_NS0_16reverse_iteratorISI_EEEEENSH_IJSG_SG_SG_EEES9_SI_JZNS1_25segmented_radix_sort_implINS0_14default_configELb1EPKfPfPKlPlN2at6native12_GLOBAL__N_18offset_tEEE10hipError_tPvRmT1_PNSt15iterator_traitsIS12_E10value_typeET2_T3_PNS13_IS18_E10value_typeET4_jRbjT5_S1E_jjP12ihipStream_tbEUljE_ZNSN_ISO_Lb1ESQ_SR_ST_SU_SY_EESZ_S10_S11_S12_S16_S17_S18_S1B_S1C_jS1D_jS1E_S1E_jjS1G_bEUljE0_EEESZ_S10_S11_S18_S1C_S1E_T6_T7_T9_mT8_S1G_bDpT10_ENKUlT_T0_E_clISt17integral_constantIbLb0EES1T_IbLb1EEEEDaS1P_S1Q_EUlS1P_E_NS1_11comp_targetILNS1_3genE2ELNS1_11target_archE906ELNS1_3gpuE6ELNS1_3repE0EEENS1_30default_config_static_selectorELNS0_4arch9wavefront6targetE0EEEvS12_.has_recursion, 0
	.set _ZN7rocprim17ROCPRIM_400000_NS6detail17trampoline_kernelINS0_13select_configILj256ELj13ELNS0_17block_load_methodE3ELS4_3ELS4_3ELNS0_20block_scan_algorithmE0ELj4294967295EEENS1_25partition_config_selectorILNS1_17partition_subalgoE4EjNS0_10empty_typeEbEEZZNS1_14partition_implILS8_4ELb0ES6_15HIP_vector_typeIjLj2EENS0_17counting_iteratorIjlEEPS9_SG_NS0_5tupleIJPjSI_NS0_16reverse_iteratorISI_EEEEENSH_IJSG_SG_SG_EEES9_SI_JZNS1_25segmented_radix_sort_implINS0_14default_configELb1EPKfPfPKlPlN2at6native12_GLOBAL__N_18offset_tEEE10hipError_tPvRmT1_PNSt15iterator_traitsIS12_E10value_typeET2_T3_PNS13_IS18_E10value_typeET4_jRbjT5_S1E_jjP12ihipStream_tbEUljE_ZNSN_ISO_Lb1ESQ_SR_ST_SU_SY_EESZ_S10_S11_S12_S16_S17_S18_S1B_S1C_jS1D_jS1E_S1E_jjS1G_bEUljE0_EEESZ_S10_S11_S18_S1C_S1E_T6_T7_T9_mT8_S1G_bDpT10_ENKUlT_T0_E_clISt17integral_constantIbLb0EES1T_IbLb1EEEEDaS1P_S1Q_EUlS1P_E_NS1_11comp_targetILNS1_3genE2ELNS1_11target_archE906ELNS1_3gpuE6ELNS1_3repE0EEENS1_30default_config_static_selectorELNS0_4arch9wavefront6targetE0EEEvS12_.has_indirect_call, 0
	.section	.AMDGPU.csdata,"",@progbits
; Kernel info:
; codeLenInByte = 0
; TotalNumSgprs: 0
; NumVgprs: 0
; ScratchSize: 0
; MemoryBound: 0
; FloatMode: 240
; IeeeMode: 1
; LDSByteSize: 0 bytes/workgroup (compile time only)
; SGPRBlocks: 0
; VGPRBlocks: 0
; NumSGPRsForWavesPerEU: 1
; NumVGPRsForWavesPerEU: 1
; Occupancy: 16
; WaveLimiterHint : 0
; COMPUTE_PGM_RSRC2:SCRATCH_EN: 0
; COMPUTE_PGM_RSRC2:USER_SGPR: 2
; COMPUTE_PGM_RSRC2:TRAP_HANDLER: 0
; COMPUTE_PGM_RSRC2:TGID_X_EN: 1
; COMPUTE_PGM_RSRC2:TGID_Y_EN: 0
; COMPUTE_PGM_RSRC2:TGID_Z_EN: 0
; COMPUTE_PGM_RSRC2:TIDIG_COMP_CNT: 0
	.section	.text._ZN7rocprim17ROCPRIM_400000_NS6detail17trampoline_kernelINS0_13select_configILj256ELj13ELNS0_17block_load_methodE3ELS4_3ELS4_3ELNS0_20block_scan_algorithmE0ELj4294967295EEENS1_25partition_config_selectorILNS1_17partition_subalgoE4EjNS0_10empty_typeEbEEZZNS1_14partition_implILS8_4ELb0ES6_15HIP_vector_typeIjLj2EENS0_17counting_iteratorIjlEEPS9_SG_NS0_5tupleIJPjSI_NS0_16reverse_iteratorISI_EEEEENSH_IJSG_SG_SG_EEES9_SI_JZNS1_25segmented_radix_sort_implINS0_14default_configELb1EPKfPfPKlPlN2at6native12_GLOBAL__N_18offset_tEEE10hipError_tPvRmT1_PNSt15iterator_traitsIS12_E10value_typeET2_T3_PNS13_IS18_E10value_typeET4_jRbjT5_S1E_jjP12ihipStream_tbEUljE_ZNSN_ISO_Lb1ESQ_SR_ST_SU_SY_EESZ_S10_S11_S12_S16_S17_S18_S1B_S1C_jS1D_jS1E_S1E_jjS1G_bEUljE0_EEESZ_S10_S11_S18_S1C_S1E_T6_T7_T9_mT8_S1G_bDpT10_ENKUlT_T0_E_clISt17integral_constantIbLb0EES1T_IbLb1EEEEDaS1P_S1Q_EUlS1P_E_NS1_11comp_targetILNS1_3genE10ELNS1_11target_archE1200ELNS1_3gpuE4ELNS1_3repE0EEENS1_30default_config_static_selectorELNS0_4arch9wavefront6targetE0EEEvS12_,"axG",@progbits,_ZN7rocprim17ROCPRIM_400000_NS6detail17trampoline_kernelINS0_13select_configILj256ELj13ELNS0_17block_load_methodE3ELS4_3ELS4_3ELNS0_20block_scan_algorithmE0ELj4294967295EEENS1_25partition_config_selectorILNS1_17partition_subalgoE4EjNS0_10empty_typeEbEEZZNS1_14partition_implILS8_4ELb0ES6_15HIP_vector_typeIjLj2EENS0_17counting_iteratorIjlEEPS9_SG_NS0_5tupleIJPjSI_NS0_16reverse_iteratorISI_EEEEENSH_IJSG_SG_SG_EEES9_SI_JZNS1_25segmented_radix_sort_implINS0_14default_configELb1EPKfPfPKlPlN2at6native12_GLOBAL__N_18offset_tEEE10hipError_tPvRmT1_PNSt15iterator_traitsIS12_E10value_typeET2_T3_PNS13_IS18_E10value_typeET4_jRbjT5_S1E_jjP12ihipStream_tbEUljE_ZNSN_ISO_Lb1ESQ_SR_ST_SU_SY_EESZ_S10_S11_S12_S16_S17_S18_S1B_S1C_jS1D_jS1E_S1E_jjS1G_bEUljE0_EEESZ_S10_S11_S18_S1C_S1E_T6_T7_T9_mT8_S1G_bDpT10_ENKUlT_T0_E_clISt17integral_constantIbLb0EES1T_IbLb1EEEEDaS1P_S1Q_EUlS1P_E_NS1_11comp_targetILNS1_3genE10ELNS1_11target_archE1200ELNS1_3gpuE4ELNS1_3repE0EEENS1_30default_config_static_selectorELNS0_4arch9wavefront6targetE0EEEvS12_,comdat
	.globl	_ZN7rocprim17ROCPRIM_400000_NS6detail17trampoline_kernelINS0_13select_configILj256ELj13ELNS0_17block_load_methodE3ELS4_3ELS4_3ELNS0_20block_scan_algorithmE0ELj4294967295EEENS1_25partition_config_selectorILNS1_17partition_subalgoE4EjNS0_10empty_typeEbEEZZNS1_14partition_implILS8_4ELb0ES6_15HIP_vector_typeIjLj2EENS0_17counting_iteratorIjlEEPS9_SG_NS0_5tupleIJPjSI_NS0_16reverse_iteratorISI_EEEEENSH_IJSG_SG_SG_EEES9_SI_JZNS1_25segmented_radix_sort_implINS0_14default_configELb1EPKfPfPKlPlN2at6native12_GLOBAL__N_18offset_tEEE10hipError_tPvRmT1_PNSt15iterator_traitsIS12_E10value_typeET2_T3_PNS13_IS18_E10value_typeET4_jRbjT5_S1E_jjP12ihipStream_tbEUljE_ZNSN_ISO_Lb1ESQ_SR_ST_SU_SY_EESZ_S10_S11_S12_S16_S17_S18_S1B_S1C_jS1D_jS1E_S1E_jjS1G_bEUljE0_EEESZ_S10_S11_S18_S1C_S1E_T6_T7_T9_mT8_S1G_bDpT10_ENKUlT_T0_E_clISt17integral_constantIbLb0EES1T_IbLb1EEEEDaS1P_S1Q_EUlS1P_E_NS1_11comp_targetILNS1_3genE10ELNS1_11target_archE1200ELNS1_3gpuE4ELNS1_3repE0EEENS1_30default_config_static_selectorELNS0_4arch9wavefront6targetE0EEEvS12_ ; -- Begin function _ZN7rocprim17ROCPRIM_400000_NS6detail17trampoline_kernelINS0_13select_configILj256ELj13ELNS0_17block_load_methodE3ELS4_3ELS4_3ELNS0_20block_scan_algorithmE0ELj4294967295EEENS1_25partition_config_selectorILNS1_17partition_subalgoE4EjNS0_10empty_typeEbEEZZNS1_14partition_implILS8_4ELb0ES6_15HIP_vector_typeIjLj2EENS0_17counting_iteratorIjlEEPS9_SG_NS0_5tupleIJPjSI_NS0_16reverse_iteratorISI_EEEEENSH_IJSG_SG_SG_EEES9_SI_JZNS1_25segmented_radix_sort_implINS0_14default_configELb1EPKfPfPKlPlN2at6native12_GLOBAL__N_18offset_tEEE10hipError_tPvRmT1_PNSt15iterator_traitsIS12_E10value_typeET2_T3_PNS13_IS18_E10value_typeET4_jRbjT5_S1E_jjP12ihipStream_tbEUljE_ZNSN_ISO_Lb1ESQ_SR_ST_SU_SY_EESZ_S10_S11_S12_S16_S17_S18_S1B_S1C_jS1D_jS1E_S1E_jjS1G_bEUljE0_EEESZ_S10_S11_S18_S1C_S1E_T6_T7_T9_mT8_S1G_bDpT10_ENKUlT_T0_E_clISt17integral_constantIbLb0EES1T_IbLb1EEEEDaS1P_S1Q_EUlS1P_E_NS1_11comp_targetILNS1_3genE10ELNS1_11target_archE1200ELNS1_3gpuE4ELNS1_3repE0EEENS1_30default_config_static_selectorELNS0_4arch9wavefront6targetE0EEEvS12_
	.p2align	8
	.type	_ZN7rocprim17ROCPRIM_400000_NS6detail17trampoline_kernelINS0_13select_configILj256ELj13ELNS0_17block_load_methodE3ELS4_3ELS4_3ELNS0_20block_scan_algorithmE0ELj4294967295EEENS1_25partition_config_selectorILNS1_17partition_subalgoE4EjNS0_10empty_typeEbEEZZNS1_14partition_implILS8_4ELb0ES6_15HIP_vector_typeIjLj2EENS0_17counting_iteratorIjlEEPS9_SG_NS0_5tupleIJPjSI_NS0_16reverse_iteratorISI_EEEEENSH_IJSG_SG_SG_EEES9_SI_JZNS1_25segmented_radix_sort_implINS0_14default_configELb1EPKfPfPKlPlN2at6native12_GLOBAL__N_18offset_tEEE10hipError_tPvRmT1_PNSt15iterator_traitsIS12_E10value_typeET2_T3_PNS13_IS18_E10value_typeET4_jRbjT5_S1E_jjP12ihipStream_tbEUljE_ZNSN_ISO_Lb1ESQ_SR_ST_SU_SY_EESZ_S10_S11_S12_S16_S17_S18_S1B_S1C_jS1D_jS1E_S1E_jjS1G_bEUljE0_EEESZ_S10_S11_S18_S1C_S1E_T6_T7_T9_mT8_S1G_bDpT10_ENKUlT_T0_E_clISt17integral_constantIbLb0EES1T_IbLb1EEEEDaS1P_S1Q_EUlS1P_E_NS1_11comp_targetILNS1_3genE10ELNS1_11target_archE1200ELNS1_3gpuE4ELNS1_3repE0EEENS1_30default_config_static_selectorELNS0_4arch9wavefront6targetE0EEEvS12_,@function
_ZN7rocprim17ROCPRIM_400000_NS6detail17trampoline_kernelINS0_13select_configILj256ELj13ELNS0_17block_load_methodE3ELS4_3ELS4_3ELNS0_20block_scan_algorithmE0ELj4294967295EEENS1_25partition_config_selectorILNS1_17partition_subalgoE4EjNS0_10empty_typeEbEEZZNS1_14partition_implILS8_4ELb0ES6_15HIP_vector_typeIjLj2EENS0_17counting_iteratorIjlEEPS9_SG_NS0_5tupleIJPjSI_NS0_16reverse_iteratorISI_EEEEENSH_IJSG_SG_SG_EEES9_SI_JZNS1_25segmented_radix_sort_implINS0_14default_configELb1EPKfPfPKlPlN2at6native12_GLOBAL__N_18offset_tEEE10hipError_tPvRmT1_PNSt15iterator_traitsIS12_E10value_typeET2_T3_PNS13_IS18_E10value_typeET4_jRbjT5_S1E_jjP12ihipStream_tbEUljE_ZNSN_ISO_Lb1ESQ_SR_ST_SU_SY_EESZ_S10_S11_S12_S16_S17_S18_S1B_S1C_jS1D_jS1E_S1E_jjS1G_bEUljE0_EEESZ_S10_S11_S18_S1C_S1E_T6_T7_T9_mT8_S1G_bDpT10_ENKUlT_T0_E_clISt17integral_constantIbLb0EES1T_IbLb1EEEEDaS1P_S1Q_EUlS1P_E_NS1_11comp_targetILNS1_3genE10ELNS1_11target_archE1200ELNS1_3gpuE4ELNS1_3repE0EEENS1_30default_config_static_selectorELNS0_4arch9wavefront6targetE0EEEvS12_: ; @_ZN7rocprim17ROCPRIM_400000_NS6detail17trampoline_kernelINS0_13select_configILj256ELj13ELNS0_17block_load_methodE3ELS4_3ELS4_3ELNS0_20block_scan_algorithmE0ELj4294967295EEENS1_25partition_config_selectorILNS1_17partition_subalgoE4EjNS0_10empty_typeEbEEZZNS1_14partition_implILS8_4ELb0ES6_15HIP_vector_typeIjLj2EENS0_17counting_iteratorIjlEEPS9_SG_NS0_5tupleIJPjSI_NS0_16reverse_iteratorISI_EEEEENSH_IJSG_SG_SG_EEES9_SI_JZNS1_25segmented_radix_sort_implINS0_14default_configELb1EPKfPfPKlPlN2at6native12_GLOBAL__N_18offset_tEEE10hipError_tPvRmT1_PNSt15iterator_traitsIS12_E10value_typeET2_T3_PNS13_IS18_E10value_typeET4_jRbjT5_S1E_jjP12ihipStream_tbEUljE_ZNSN_ISO_Lb1ESQ_SR_ST_SU_SY_EESZ_S10_S11_S12_S16_S17_S18_S1B_S1C_jS1D_jS1E_S1E_jjS1G_bEUljE0_EEESZ_S10_S11_S18_S1C_S1E_T6_T7_T9_mT8_S1G_bDpT10_ENKUlT_T0_E_clISt17integral_constantIbLb0EES1T_IbLb1EEEEDaS1P_S1Q_EUlS1P_E_NS1_11comp_targetILNS1_3genE10ELNS1_11target_archE1200ELNS1_3gpuE4ELNS1_3repE0EEENS1_30default_config_static_selectorELNS0_4arch9wavefront6targetE0EEEvS12_
; %bb.0:
	s_clause 0x7
	s_load_b64 s[34:35], s[0:1], 0x10
	s_load_b128 s[28:31], s[0:1], 0x28
	s_load_b64 s[14:15], s[0:1], 0x38
	s_load_b128 s[24:27], s[0:1], 0x58
	s_load_b64 s[4:5], s[0:1], 0x68
	s_load_b64 s[36:37], s[0:1], 0x78
	s_load_b64 s[38:39], s[0:1], 0xb0
	s_load_b256 s[16:23], s[0:1], 0x90
	v_cmp_eq_u32_e64 s2, 0, v0
	s_and_saveexec_b32 s3, s2
	s_cbranch_execz .LBB1290_4
; %bb.1:
	s_mov_b32 s7, exec_lo
	s_mov_b32 s6, exec_lo
	v_mbcnt_lo_u32_b32 v1, s7, 0
                                        ; implicit-def: $vgpr2
	s_delay_alu instid0(VALU_DEP_1)
	v_cmpx_eq_u32_e32 0, v1
	s_cbranch_execz .LBB1290_3
; %bb.2:
	s_load_b64 s[8:9], s[0:1], 0x88
	s_bcnt1_i32_b32 s7, s7
	s_wait_alu 0xfffe
	v_dual_mov_b32 v2, 0 :: v_dual_mov_b32 v3, s7
	s_wait_kmcnt 0x0
	global_atomic_add_u32 v2, v2, v3, s[8:9] th:TH_ATOMIC_RETURN scope:SCOPE_DEV
.LBB1290_3:
	s_or_b32 exec_lo, exec_lo, s6
	s_wait_loadcnt 0x0
	v_readfirstlane_b32 s6, v2
	s_wait_alu 0xf1ff
	s_delay_alu instid0(VALU_DEP_1)
	v_dual_mov_b32 v2, 0 :: v_dual_add_nc_u32 v1, s6, v1
	ds_store_b32 v2, v1
.LBB1290_4:
	s_or_b32 exec_lo, exec_lo, s3
	v_mov_b32_e32 v1, 0
	s_clause 0x1
	s_load_b32 s3, s[0:1], 0x8
	s_load_b32 s0, s[0:1], 0x80
	s_wait_dscnt 0x0
	s_barrier_signal -1
	s_barrier_wait -1
	global_inv scope:SCOPE_SE
	ds_load_b32 v5, v1
	s_wait_loadcnt_dscnt 0x0
	s_barrier_signal -1
	s_barrier_wait -1
	global_inv scope:SCOPE_SE
	s_wait_kmcnt 0x0
	global_load_b128 v[1:4], v1, s[26:27]
	s_mov_b32 s1, 0
	s_add_co_i32 s3, s3, s34
	s_add_co_i32 s6, s0, -1
	s_mulk_i32 s0, 0xd00
	s_delay_alu instid0(SALU_CYCLE_1)
	s_add_co_i32 s7, s0, s34
	s_add_nc_u64 s[0:1], s[34:35], s[0:1]
	v_readfirstlane_b32 s33, v5
	v_cmp_gt_u64_e64 s0, s[4:5], s[0:1]
	s_wait_alu 0xfffe
	s_sub_co_i32 s27, s4, s7
	v_cmp_ne_u32_e32 vcc_lo, s6, v5
	v_mul_lo_u32 v43, 0xd00, v5
	s_addk_co_i32 s27, 0xd00
	s_cmp_eq_u32 s33, s6
	s_mov_b32 s4, -1
	s_cselect_b32 s26, -1, 0
	s_or_b32 s1, s0, vcc_lo
	s_wait_alu 0xfffe
	s_and_b32 vcc_lo, exec_lo, s1
	s_cbranch_vccz .LBB1290_6
; %bb.5:
	v_add3_u32 v5, v43, s3, v0
	v_lshlrev_b32_e32 v14, 2, v0
	s_mov_b32 s4, 0
	s_delay_alu instid0(VALU_DEP_2)
	v_add_nc_u32_e32 v6, 0x100, v5
	v_add_nc_u32_e32 v7, 0x200, v5
	v_add_nc_u32_e32 v8, 0x300, v5
	v_add_nc_u32_e32 v9, 0x400, v5
	v_add_nc_u32_e32 v10, 0x500, v5
	v_add_nc_u32_e32 v11, 0x600, v5
	v_add_nc_u32_e32 v12, 0x700, v5
	v_add_nc_u32_e32 v13, 0x800, v5
	v_add_nc_u32_e32 v15, 0x900, v5
	v_add_nc_u32_e32 v16, 0xa00, v5
	v_add_nc_u32_e32 v17, 0xb00, v5
	v_add_nc_u32_e32 v18, 0xc00, v5
	ds_store_2addr_stride64_b32 v14, v5, v6 offset1:4
	ds_store_2addr_stride64_b32 v14, v7, v8 offset0:8 offset1:12
	ds_store_2addr_stride64_b32 v14, v9, v10 offset0:16 offset1:20
	;; [unrolled: 1-line block ×5, first 2 shown]
	ds_store_b32 v14, v18 offset:12288
	s_wait_loadcnt_dscnt 0x0
	s_barrier_signal -1
	s_barrier_wait -1
.LBB1290_6:
	v_cmp_gt_u32_e64 s0, s27, v0
	v_or_b32_e32 v42, 0x100, v0
	v_or_b32_e32 v41, 0x200, v0
	v_or_b32_e32 v40, 0x300, v0
	v_or_b32_e32 v39, 0x400, v0
	v_or_b32_e32 v38, 0x500, v0
	v_or_b32_e32 v37, 0x600, v0
	v_or_b32_e32 v36, 0x700, v0
	v_or_b32_e32 v35, 0x800, v0
	v_or_b32_e32 v34, 0x900, v0
	v_or_b32_e32 v33, 0xa00, v0
	v_or_b32_e32 v32, 0xb00, v0
	v_or_b32_e32 v31, 0xc00, v0
	s_wait_alu 0xfffe
	s_and_not1_b32 vcc_lo, exec_lo, s4
	s_cbranch_vccnz .LBB1290_8
; %bb.7:
	v_add_nc_u32_e32 v5, s3, v43
	v_cmp_gt_u32_e32 vcc_lo, s27, v42
	s_delay_alu instid0(VALU_DEP_2) | instskip(NEXT) | instid1(VALU_DEP_1)
	v_add_nc_u32_e32 v7, v5, v42
	v_dual_cndmask_b32 v7, 0, v7 :: v_dual_add_nc_u32 v8, v5, v41
	v_cmp_gt_u32_e32 vcc_lo, s27, v41
	s_wait_alu 0xfffd
	s_delay_alu instid0(VALU_DEP_2)
	v_cndmask_b32_e32 v8, 0, v8, vcc_lo
	v_cmp_gt_u32_e32 vcc_lo, s27, v40
	v_add_nc_u32_e32 v17, v5, v32
	v_add_nc_u32_e32 v14, v5, v35
	;; [unrolled: 1-line block ×9, first 2 shown]
	s_wait_alu 0xfffd
	v_cndmask_b32_e32 v9, 0, v9, vcc_lo
	v_cmp_gt_u32_e32 vcc_lo, s27, v39
	v_cndmask_b32_e64 v6, 0, v6, s0
	s_wait_alu 0xfffd
	v_cndmask_b32_e32 v10, 0, v10, vcc_lo
	v_cmp_gt_u32_e32 vcc_lo, s27, v38
	v_add_nc_u32_e32 v12, v5, v37
	v_add_nc_u32_e32 v5, v5, v31
	s_wait_alu 0xfffd
	v_cndmask_b32_e32 v11, 0, v11, vcc_lo
	v_cmp_gt_u32_e32 vcc_lo, s27, v37
	s_wait_alu 0xfffd
	v_cndmask_b32_e32 v12, 0, v12, vcc_lo
	v_cmp_gt_u32_e32 vcc_lo, s27, v36
	;; [unrolled: 3-line block ×7, first 2 shown]
	s_wait_alu 0xfffd
	v_dual_cndmask_b32 v5, 0, v5 :: v_dual_lshlrev_b32 v18, 2, v0
	ds_store_2addr_stride64_b32 v18, v6, v7 offset1:4
	ds_store_2addr_stride64_b32 v18, v8, v9 offset0:8 offset1:12
	ds_store_2addr_stride64_b32 v18, v10, v11 offset0:16 offset1:20
	;; [unrolled: 1-line block ×5, first 2 shown]
	ds_store_b32 v18, v5 offset:12288
	s_wait_loadcnt_dscnt 0x0
	s_barrier_signal -1
	s_barrier_wait -1
.LBB1290_8:
	v_mul_u32_u24_e32 v46, 13, v0
	s_wait_loadcnt 0x0
	global_inv scope:SCOPE_SE
	v_cndmask_b32_e64 v44, 0, 1, s1
	s_and_not1_b32 vcc_lo, exec_lo, s1
	v_lshlrev_b32_e32 v5, 2, v46
	ds_load_2addr_b32 v[23:24], v5 offset1:1
	ds_load_2addr_b32 v[21:22], v5 offset0:2 offset1:3
	ds_load_2addr_b32 v[19:20], v5 offset0:4 offset1:5
	;; [unrolled: 1-line block ×5, first 2 shown]
	ds_load_b32 v45, v5 offset:48
	s_wait_loadcnt_dscnt 0x0
	s_barrier_signal -1
	s_barrier_wait -1
	global_inv scope:SCOPE_SE
	s_wait_alu 0xfffe
	s_cbranch_vccnz .LBB1290_36
; %bb.9:
	v_add_nc_u32_e32 v5, s17, v23
	v_add_nc_u32_e32 v6, s19, v23
	s_mov_b32 s41, 0
	s_mov_b32 s40, 0
	s_mov_b32 s1, exec_lo
	v_mul_lo_u32 v5, v5, s16
	v_mul_lo_u32 v6, v6, s18
	s_delay_alu instid0(VALU_DEP_1) | instskip(NEXT) | instid1(VALU_DEP_1)
	v_sub_nc_u32_e32 v5, v5, v6
	v_cmp_lt_u32_e32 vcc_lo, s20, v5
	v_cmpx_ge_u32_e64 s20, v5
	s_cbranch_execz .LBB1290_11
; %bb.10:
	v_add_nc_u32_e32 v5, s22, v23
	v_add_nc_u32_e32 v6, s38, v23
	s_delay_alu instid0(VALU_DEP_2) | instskip(NEXT) | instid1(VALU_DEP_2)
	v_mul_lo_u32 v5, v5, s21
	v_mul_lo_u32 v6, v6, s23
	s_delay_alu instid0(VALU_DEP_1) | instskip(NEXT) | instid1(VALU_DEP_1)
	v_sub_nc_u32_e32 v5, v5, v6
	v_cmp_lt_u32_e64 s0, s39, v5
	s_and_b32 s40, s0, exec_lo
.LBB1290_11:
	s_wait_alu 0xfffe
	s_or_b32 exec_lo, exec_lo, s1
	v_add_nc_u32_e32 v5, s17, v24
	v_add_nc_u32_e32 v6, s19, v24
	s_mov_b32 s3, exec_lo
	s_delay_alu instid0(VALU_DEP_2) | instskip(NEXT) | instid1(VALU_DEP_2)
	v_mul_lo_u32 v5, v5, s16
	v_mul_lo_u32 v6, v6, s18
	s_delay_alu instid0(VALU_DEP_1) | instskip(NEXT) | instid1(VALU_DEP_1)
	v_sub_nc_u32_e32 v5, v5, v6
	v_cmp_lt_u32_e64 s0, s20, v5
	v_cmpx_ge_u32_e64 s20, v5
	s_cbranch_execz .LBB1290_13
; %bb.12:
	v_add_nc_u32_e32 v5, s22, v24
	v_add_nc_u32_e32 v6, s38, v24
	s_delay_alu instid0(VALU_DEP_2) | instskip(NEXT) | instid1(VALU_DEP_2)
	v_mul_lo_u32 v5, v5, s21
	v_mul_lo_u32 v6, v6, s23
	s_delay_alu instid0(VALU_DEP_1) | instskip(NEXT) | instid1(VALU_DEP_1)
	v_sub_nc_u32_e32 v5, v5, v6
	v_cmp_lt_u32_e64 s1, s39, v5
	s_and_b32 s41, s1, exec_lo
.LBB1290_13:
	s_wait_alu 0xfffe
	s_or_b32 exec_lo, exec_lo, s3
	v_add_nc_u32_e32 v5, s17, v21
	v_add_nc_u32_e32 v6, s19, v21
	s_mov_b32 s43, 0
	s_mov_b32 s42, 0
	s_mov_b32 s4, exec_lo
	v_mul_lo_u32 v5, v5, s16
	v_mul_lo_u32 v6, v6, s18
	s_delay_alu instid0(VALU_DEP_1) | instskip(NEXT) | instid1(VALU_DEP_1)
	v_sub_nc_u32_e32 v5, v5, v6
	v_cmp_lt_u32_e64 s1, s20, v5
	v_cmpx_ge_u32_e64 s20, v5
	s_cbranch_execz .LBB1290_15
; %bb.14:
	v_add_nc_u32_e32 v5, s22, v21
	v_add_nc_u32_e32 v6, s38, v21
	s_delay_alu instid0(VALU_DEP_2) | instskip(NEXT) | instid1(VALU_DEP_2)
	v_mul_lo_u32 v5, v5, s21
	v_mul_lo_u32 v6, v6, s23
	s_delay_alu instid0(VALU_DEP_1) | instskip(NEXT) | instid1(VALU_DEP_1)
	v_sub_nc_u32_e32 v5, v5, v6
	v_cmp_lt_u32_e64 s3, s39, v5
	s_and_b32 s42, s3, exec_lo
.LBB1290_15:
	s_wait_alu 0xfffe
	s_or_b32 exec_lo, exec_lo, s4
	v_add_nc_u32_e32 v5, s17, v22
	v_add_nc_u32_e32 v6, s19, v22
	s_mov_b32 s5, exec_lo
	s_delay_alu instid0(VALU_DEP_2) | instskip(NEXT) | instid1(VALU_DEP_2)
	v_mul_lo_u32 v5, v5, s16
	v_mul_lo_u32 v6, v6, s18
	s_delay_alu instid0(VALU_DEP_1) | instskip(NEXT) | instid1(VALU_DEP_1)
	v_sub_nc_u32_e32 v5, v5, v6
	v_cmp_lt_u32_e64 s3, s20, v5
	v_cmpx_ge_u32_e64 s20, v5
	s_cbranch_execz .LBB1290_17
; %bb.16:
	v_add_nc_u32_e32 v5, s22, v22
	v_add_nc_u32_e32 v6, s38, v22
	s_delay_alu instid0(VALU_DEP_2) | instskip(NEXT) | instid1(VALU_DEP_2)
	v_mul_lo_u32 v5, v5, s21
	v_mul_lo_u32 v6, v6, s23
	s_delay_alu instid0(VALU_DEP_1) | instskip(NEXT) | instid1(VALU_DEP_1)
	v_sub_nc_u32_e32 v5, v5, v6
	v_cmp_lt_u32_e64 s4, s39, v5
	s_and_b32 s43, s4, exec_lo
.LBB1290_17:
	s_wait_alu 0xfffe
	s_or_b32 exec_lo, exec_lo, s5
	v_add_nc_u32_e32 v5, s17, v19
	v_add_nc_u32_e32 v6, s19, v19
	s_mov_b32 s45, 0
	s_mov_b32 s44, 0
	s_mov_b32 s6, exec_lo
	v_mul_lo_u32 v5, v5, s16
	v_mul_lo_u32 v6, v6, s18
	s_delay_alu instid0(VALU_DEP_1) | instskip(NEXT) | instid1(VALU_DEP_1)
	v_sub_nc_u32_e32 v5, v5, v6
	v_cmp_lt_u32_e64 s4, s20, v5
	;; [unrolled: 49-line block ×3, first 2 shown]
	v_cmpx_ge_u32_e64 s20, v5
	s_cbranch_execz .LBB1290_23
; %bb.22:
	v_add_nc_u32_e32 v5, s22, v17
	v_add_nc_u32_e32 v6, s38, v17
	s_delay_alu instid0(VALU_DEP_2) | instskip(NEXT) | instid1(VALU_DEP_2)
	v_mul_lo_u32 v5, v5, s21
	v_mul_lo_u32 v6, v6, s23
	s_delay_alu instid0(VALU_DEP_1) | instskip(NEXT) | instid1(VALU_DEP_1)
	v_sub_nc_u32_e32 v5, v5, v6
	v_cmp_lt_u32_e64 s7, s39, v5
	s_and_b32 s46, s7, exec_lo
.LBB1290_23:
	s_or_b32 exec_lo, exec_lo, s8
	v_add_nc_u32_e32 v5, s17, v18
	v_add_nc_u32_e32 v6, s19, v18
	s_mov_b32 s9, exec_lo
	s_delay_alu instid0(VALU_DEP_2) | instskip(NEXT) | instid1(VALU_DEP_2)
	v_mul_lo_u32 v5, v5, s16
	v_mul_lo_u32 v6, v6, s18
	s_delay_alu instid0(VALU_DEP_1) | instskip(NEXT) | instid1(VALU_DEP_1)
	v_sub_nc_u32_e32 v5, v5, v6
	v_cmp_lt_u32_e64 s7, s20, v5
	v_cmpx_ge_u32_e64 s20, v5
	s_cbranch_execz .LBB1290_25
; %bb.24:
	v_add_nc_u32_e32 v5, s22, v18
	v_add_nc_u32_e32 v6, s38, v18
	s_delay_alu instid0(VALU_DEP_2) | instskip(NEXT) | instid1(VALU_DEP_2)
	v_mul_lo_u32 v5, v5, s21
	v_mul_lo_u32 v6, v6, s23
	s_delay_alu instid0(VALU_DEP_1) | instskip(NEXT) | instid1(VALU_DEP_1)
	v_sub_nc_u32_e32 v5, v5, v6
	v_cmp_lt_u32_e64 s8, s39, v5
	s_and_b32 s47, s8, exec_lo
.LBB1290_25:
	s_or_b32 exec_lo, exec_lo, s9
	v_add_nc_u32_e32 v5, s17, v15
	v_add_nc_u32_e32 v6, s19, v15
	s_mov_b32 s50, 0
	s_mov_b32 s49, 0
	s_mov_b32 s10, exec_lo
	v_mul_lo_u32 v5, v5, s16
	v_mul_lo_u32 v6, v6, s18
	s_delay_alu instid0(VALU_DEP_1) | instskip(NEXT) | instid1(VALU_DEP_1)
	v_sub_nc_u32_e32 v5, v5, v6
	v_cmp_lt_u32_e64 s8, s20, v5
	v_cmpx_ge_u32_e64 s20, v5
	s_cbranch_execz .LBB1290_27
; %bb.26:
	v_add_nc_u32_e32 v5, s22, v15
	v_add_nc_u32_e32 v6, s38, v15
	s_delay_alu instid0(VALU_DEP_2) | instskip(NEXT) | instid1(VALU_DEP_2)
	v_mul_lo_u32 v5, v5, s21
	v_mul_lo_u32 v6, v6, s23
	s_delay_alu instid0(VALU_DEP_1) | instskip(NEXT) | instid1(VALU_DEP_1)
	v_sub_nc_u32_e32 v5, v5, v6
	v_cmp_lt_u32_e64 s9, s39, v5
	s_and_b32 s49, s9, exec_lo
.LBB1290_27:
	s_or_b32 exec_lo, exec_lo, s10
	v_add_nc_u32_e32 v5, s17, v16
	v_add_nc_u32_e32 v6, s19, v16
	s_mov_b32 s11, exec_lo
	s_delay_alu instid0(VALU_DEP_2) | instskip(NEXT) | instid1(VALU_DEP_2)
	v_mul_lo_u32 v5, v5, s16
	v_mul_lo_u32 v6, v6, s18
	s_delay_alu instid0(VALU_DEP_1) | instskip(NEXT) | instid1(VALU_DEP_1)
	v_sub_nc_u32_e32 v5, v5, v6
	v_cmp_lt_u32_e64 s9, s20, v5
	v_cmpx_ge_u32_e64 s20, v5
	s_cbranch_execz .LBB1290_29
; %bb.28:
	v_add_nc_u32_e32 v5, s22, v16
	v_add_nc_u32_e32 v6, s38, v16
	s_delay_alu instid0(VALU_DEP_2) | instskip(NEXT) | instid1(VALU_DEP_2)
	v_mul_lo_u32 v5, v5, s21
	v_mul_lo_u32 v6, v6, s23
	s_delay_alu instid0(VALU_DEP_1) | instskip(NEXT) | instid1(VALU_DEP_1)
	v_sub_nc_u32_e32 v5, v5, v6
	v_cmp_lt_u32_e64 s10, s39, v5
	s_and_b32 s50, s10, exec_lo
.LBB1290_29:
	s_or_b32 exec_lo, exec_lo, s11
	v_add_nc_u32_e32 v5, s17, v13
	v_add_nc_u32_e32 v6, s19, v13
	s_mov_b32 s51, 0
	s_mov_b32 s52, 0
	s_mov_b32 s12, exec_lo
	v_mul_lo_u32 v5, v5, s16
	v_mul_lo_u32 v6, v6, s18
	s_delay_alu instid0(VALU_DEP_1) | instskip(NEXT) | instid1(VALU_DEP_1)
	v_sub_nc_u32_e32 v5, v5, v6
	v_cmp_lt_u32_e64 s10, s20, v5
	;; [unrolled: 47-line block ×3, first 2 shown]
	v_cmpx_ge_u32_e64 s20, v5
	s_cbranch_execz .LBB1290_35
; %bb.34:
	v_add_nc_u32_e32 v5, s22, v45
	v_add_nc_u32_e32 v6, s38, v45
	s_delay_alu instid0(VALU_DEP_2) | instskip(NEXT) | instid1(VALU_DEP_2)
	v_mul_lo_u32 v5, v5, s21
	v_mul_lo_u32 v6, v6, s23
	s_delay_alu instid0(VALU_DEP_1) | instskip(NEXT) | instid1(VALU_DEP_1)
	v_sub_nc_u32_e32 v5, v5, v6
	v_cmp_lt_u32_e64 s13, s39, v5
	s_and_b32 s53, s13, exec_lo
.LBB1290_35:
	s_or_b32 exec_lo, exec_lo, s54
	v_cndmask_b32_e64 v6, 0, 1, s0
	v_cndmask_b32_e64 v8, 0, 1, s3
	s_wait_alu 0xfffd
	v_cndmask_b32_e64 v5, 0, 1, vcc_lo
	v_cndmask_b32_e64 v7, 0, 1, s1
	v_cndmask_b32_e64 v10, 0, 1, s5
	v_lshlrev_b16 v6, 8, v6
	v_lshlrev_b16 v8, 8, v8
	s_wait_alu 0xf1ff
	v_cndmask_b32_e64 v12, 0, 1, s7
	v_cndmask_b32_e64 v26, 0, 1, s9
	;; [unrolled: 1-line block ×3, first 2 shown]
	v_or_b32_e32 v5, v5, v6
	v_or_b32_e32 v6, v7, v8
	v_cndmask_b32_e64 v56, 0, 1, s40
	v_cndmask_b32_e64 v9, 0, 1, s4
	;; [unrolled: 1-line block ×3, first 2 shown]
	v_and_b32_e32 v5, 0xffff, v5
	v_lshlrev_b32_e32 v6, 16, v6
	v_cndmask_b32_e64 v25, 0, 1, s8
	v_cndmask_b32_e64 v27, 0, 1, s10
	;; [unrolled: 1-line block ×8, first 2 shown]
	v_or_b32_e32 v47, v5, v6
	v_lshlrev_b16 v5, 8, v10
	v_lshlrev_b16 v6, 8, v12
	;; [unrolled: 1-line block ×5, first 2 shown]
	v_cndmask_b32_e64 v30, 0, 1, s50
	v_cndmask_b32_e64 v49, 0, 1, s47
	;; [unrolled: 1-line block ×5, first 2 shown]
	v_or_b32_e32 v5, v9, v5
	v_or_b32_e32 v6, v11, v6
	;; [unrolled: 1-line block ×5, first 2 shown]
	v_lshlrev_b16 v8, 8, v8
	v_lshlrev_b16 v12, 8, v54
	;; [unrolled: 1-line block ×5, first 2 shown]
	v_or_b32_e32 v8, v55, v8
	v_or_b32_e32 v7, v7, v12
	;; [unrolled: 1-line block ×5, first 2 shown]
	v_and_b32_e32 v5, 0xffff, v5
	v_lshlrev_b32_e32 v6, 16, v6
	v_and_b32_e32 v9, 0xffff, v9
	v_lshlrev_b32_e32 v10, 16, v10
	;; [unrolled: 2-line block ×5, first 2 shown]
	v_cndmask_b32_e64 v50, 0, 1, s51
	v_cndmask_b32_e64 v53, 0, 1, s53
	v_or_b32_e32 v49, v5, v6
	v_or_b32_e32 v52, v9, v10
	;; [unrolled: 1-line block ×5, first 2 shown]
	s_and_b32 vcc_lo, exec_lo, s48
	s_wait_alu 0xfffe
	s_cbranch_vccnz .LBB1290_37
	s_branch .LBB1290_114
.LBB1290_36:
                                        ; implicit-def: $vgpr53
                                        ; implicit-def: $vgpr50
                                        ; implicit-def: $vgpr51
                                        ; implicit-def: $vgpr48
                                        ; implicit-def: $vgpr54
                                        ; implicit-def: $vgpr52
                                        ; implicit-def: $vgpr49
                                        ; implicit-def: $vgpr47
	s_cbranch_execz .LBB1290_114
.LBB1290_37:
	v_dual_mov_b32 v6, 0 :: v_dual_mov_b32 v5, 0
	s_mov_b32 s1, exec_lo
	v_cmpx_gt_u32_e64 s27, v46
	s_cbranch_execz .LBB1290_41
; %bb.38:
	v_add_nc_u32_e32 v5, s17, v23
	v_add_nc_u32_e32 v6, s19, v23
	s_mov_b32 s4, 0
	s_mov_b32 s3, exec_lo
	s_delay_alu instid0(VALU_DEP_2) | instskip(NEXT) | instid1(VALU_DEP_2)
	v_mul_lo_u32 v5, v5, s16
	v_mul_lo_u32 v6, v6, s18
	s_delay_alu instid0(VALU_DEP_1) | instskip(NEXT) | instid1(VALU_DEP_1)
	v_sub_nc_u32_e32 v5, v5, v6
	v_cmp_lt_u32_e32 vcc_lo, s20, v5
	v_cmpx_ge_u32_e64 s20, v5
	s_cbranch_execz .LBB1290_40
; %bb.39:
	v_add_nc_u32_e32 v5, s22, v23
	v_add_nc_u32_e32 v6, s38, v23
	s_delay_alu instid0(VALU_DEP_2) | instskip(NEXT) | instid1(VALU_DEP_2)
	v_mul_lo_u32 v5, v5, s21
	v_mul_lo_u32 v6, v6, s23
	s_delay_alu instid0(VALU_DEP_1) | instskip(NEXT) | instid1(VALU_DEP_1)
	v_sub_nc_u32_e32 v5, v5, v6
	v_cmp_lt_u32_e64 s0, s39, v5
	s_and_b32 s4, s0, exec_lo
.LBB1290_40:
	s_wait_alu 0xfffe
	s_or_b32 exec_lo, exec_lo, s3
	v_cndmask_b32_e64 v6, 0, 1, s4
	s_wait_alu 0xfffd
	v_cndmask_b32_e64 v5, 0, 1, vcc_lo
.LBB1290_41:
	s_wait_alu 0xfffe
	s_or_b32 exec_lo, exec_lo, s1
	v_lshlrev_b16 v6, 8, v6
	v_add_nc_u32_e32 v7, 1, v46
	v_and_b32_e32 v10, 0xff, v5
	v_lshlrev_b16 v5, 8, 0
                                        ; implicit-def: $vgpr9
                                        ; implicit-def: $vgpr12
                                        ; implicit-def: $vgpr8
	s_delay_alu instid0(VALU_DEP_4) | instskip(NEXT) | instid1(VALU_DEP_4)
	v_and_b32_e32 v6, 0xffff, v6
	v_cmp_le_u32_e32 vcc_lo, s27, v7
                                        ; implicit-def: $vgpr7
	s_delay_alu instid0(VALU_DEP_2)
	v_lshrrev_b32_e32 v25, 8, v6
	v_and_b32_e32 v11, 0xff, v6
                                        ; implicit-def: $vgpr6
	s_and_saveexec_b32 s0, vcc_lo
	s_wait_alu 0xfffe
	s_xor_b32 s0, exec_lo, s0
	s_cbranch_execz .LBB1290_43
; %bb.42:
	v_lshlrev_b16 v6, 8, v25
	v_and_b32_e32 v8, 0xffff, v5
                                        ; implicit-def: $vgpr25
	v_mov_b32_e32 v9, 0
	s_delay_alu instid0(VALU_DEP_3) | instskip(SKIP_1) | instid1(VALU_DEP_2)
	v_or_b32_e32 v7, v11, v6
	v_mov_b32_e32 v6, 0
                                        ; implicit-def: $vgpr11
	v_and_b32_e32 v12, 0xffff, v7
	v_and_b32_e32 v7, 0xffff, v5
                                        ; implicit-def: $vgpr5
.LBB1290_43:
	s_wait_alu 0xfffe
	s_and_not1_saveexec_b32 s1, s0
	s_cbranch_execz .LBB1290_47
; %bb.44:
	v_add_nc_u32_e32 v6, s17, v24
	v_add_nc_u32_e32 v7, s19, v24
	s_mov_b32 s3, 0
	s_mov_b32 s4, exec_lo
	s_delay_alu instid0(VALU_DEP_2) | instskip(NEXT) | instid1(VALU_DEP_2)
	v_mul_lo_u32 v6, v6, s16
	v_mul_lo_u32 v7, v7, s18
	s_delay_alu instid0(VALU_DEP_1) | instskip(NEXT) | instid1(VALU_DEP_1)
	v_sub_nc_u32_e32 v6, v6, v7
	v_cmp_lt_u32_e32 vcc_lo, s20, v6
	v_cmpx_ge_u32_e64 s20, v6
	s_cbranch_execz .LBB1290_46
; %bb.45:
	v_add_nc_u32_e32 v6, s22, v24
	v_add_nc_u32_e32 v7, s38, v24
	s_delay_alu instid0(VALU_DEP_2) | instskip(NEXT) | instid1(VALU_DEP_2)
	v_mul_lo_u32 v6, v6, s21
	v_mul_lo_u32 v7, v7, s23
	s_delay_alu instid0(VALU_DEP_1) | instskip(NEXT) | instid1(VALU_DEP_1)
	v_sub_nc_u32_e32 v6, v6, v7
	v_cmp_lt_u32_e64 s0, s39, v6
	s_and_b32 s3, s0, exec_lo
.LBB1290_46:
	s_wait_alu 0xfffe
	s_or_b32 exec_lo, exec_lo, s4
	s_wait_alu 0xfffd
	v_cndmask_b32_e64 v6, 0, 1, vcc_lo
	v_lshlrev_b16 v7, 8, v25
	v_dual_mov_b32 v9, 0 :: v_dual_and_b32 v8, 0xffff, v5
	s_delay_alu instid0(VALU_DEP_3) | instskip(NEXT) | instid1(VALU_DEP_3)
	v_lshlrev_b16 v6, 8, v6
	v_or_b32_e32 v7, v11, v7
	v_cndmask_b32_e64 v11, 0, 1, s3
	s_delay_alu instid0(VALU_DEP_3) | instskip(NEXT) | instid1(VALU_DEP_3)
	v_or_b32_e32 v10, v10, v6
	v_dual_mov_b32 v6, 0 :: v_dual_and_b32 v7, 0xffff, v7
	s_delay_alu instid0(VALU_DEP_2) | instskip(NEXT) | instid1(VALU_DEP_2)
	v_and_b32_e32 v10, 0xffff, v10
	v_lshl_or_b32 v12, v11, 16, v7
	v_and_b32_e32 v7, 0xffff, v5
.LBB1290_47:
	s_wait_alu 0xfffe
	s_or_b32 exec_lo, exec_lo, s1
	v_add_nc_u32_e32 v5, 2, v46
	v_and_b32_e32 v25, 0xff, v10
	v_lshrrev_b32_e32 v26, 8, v10
                                        ; implicit-def: $vgpr11
	s_delay_alu instid0(VALU_DEP_3)
	v_cmp_le_u32_e32 vcc_lo, s27, v5
                                        ; implicit-def: $vgpr5
	s_and_saveexec_b32 s0, vcc_lo
	s_wait_alu 0xfffe
	s_xor_b32 s0, exec_lo, s0
	s_cbranch_execz .LBB1290_49
; %bb.48:
	v_lshlrev_b16 v5, 8, v26
	v_perm_b32 v8, v8, v8, 0x3060504
                                        ; implicit-def: $vgpr26
	s_delay_alu instid0(VALU_DEP_2) | instskip(SKIP_1) | instid1(VALU_DEP_2)
	v_or_b32_e32 v5, v25, v5
	v_and_b32_e32 v25, 0xff0000, v12
	v_and_b32_e32 v5, 0xffff, v5
	s_delay_alu instid0(VALU_DEP_1) | instskip(NEXT) | instid1(VALU_DEP_3)
	v_and_or_b32 v11, 0xff000000, v10, v5
	v_perm_b32 v5, v12, v25, 0x3020504
                                        ; implicit-def: $vgpr25
                                        ; implicit-def: $vgpr10
                                        ; implicit-def: $vgpr12
.LBB1290_49:
	s_wait_alu 0xfffe
	s_and_not1_saveexec_b32 s1, s0
	s_cbranch_execz .LBB1290_53
; %bb.50:
	v_add_nc_u32_e32 v5, s17, v21
	v_add_nc_u32_e32 v11, s19, v21
	s_mov_b32 s3, 0
	s_mov_b32 s4, exec_lo
	s_delay_alu instid0(VALU_DEP_2) | instskip(NEXT) | instid1(VALU_DEP_2)
	v_mul_lo_u32 v5, v5, s16
	v_mul_lo_u32 v11, v11, s18
	s_delay_alu instid0(VALU_DEP_1) | instskip(NEXT) | instid1(VALU_DEP_1)
	v_sub_nc_u32_e32 v5, v5, v11
	v_cmp_lt_u32_e32 vcc_lo, s20, v5
	v_cmpx_ge_u32_e64 s20, v5
	s_cbranch_execz .LBB1290_52
; %bb.51:
	v_add_nc_u32_e32 v5, s22, v21
	v_add_nc_u32_e32 v11, s38, v21
	s_delay_alu instid0(VALU_DEP_2) | instskip(NEXT) | instid1(VALU_DEP_2)
	v_mul_lo_u32 v5, v5, s21
	v_mul_lo_u32 v11, v11, s23
	s_delay_alu instid0(VALU_DEP_1) | instskip(NEXT) | instid1(VALU_DEP_1)
	v_sub_nc_u32_e32 v5, v5, v11
	v_cmp_lt_u32_e64 s0, s39, v5
	s_and_b32 s3, s0, exec_lo
.LBB1290_52:
	s_wait_alu 0xfffe
	s_or_b32 exec_lo, exec_lo, s4
	v_lshrrev_b32_e32 v10, 24, v10
	v_cndmask_b32_e64 v11, 0, 1, s3
	v_lshrrev_b32_e32 v27, 8, v12
	v_lshrrev_b32_e32 v28, 16, v12
	s_wait_alu 0xfffd
	v_cndmask_b32_e64 v5, 0, 1, vcc_lo
	v_lshlrev_b16 v26, 8, v26
	v_lshlrev_b16 v10, 8, v10
	v_and_b32_e32 v12, 0xff, v12
	v_lshlrev_b16 v27, 8, v27
	v_lshlrev_b16 v11, 8, v11
	v_and_b32_e32 v28, 0xff, v28
	v_or_b32_e32 v25, v25, v26
	v_or_b32_e32 v5, v5, v10
	;; [unrolled: 1-line block ×3, first 2 shown]
	s_delay_alu instid0(VALU_DEP_4) | instskip(NEXT) | instid1(VALU_DEP_4)
	v_or_b32_e32 v11, v28, v11
	v_and_b32_e32 v12, 0xffff, v25
	s_delay_alu instid0(VALU_DEP_4) | instskip(NEXT) | instid1(VALU_DEP_4)
	v_lshlrev_b32_e32 v5, 16, v5
	v_and_b32_e32 v10, 0xffff, v10
	s_delay_alu instid0(VALU_DEP_4) | instskip(NEXT) | instid1(VALU_DEP_3)
	v_lshlrev_b32_e32 v25, 16, v11
	v_or_b32_e32 v11, v12, v5
	s_delay_alu instid0(VALU_DEP_2)
	v_or_b32_e32 v5, v10, v25
.LBB1290_53:
	s_wait_alu 0xfffe
	s_or_b32 exec_lo, exec_lo, s1
	v_add_nc_u32_e32 v10, 3, v46
	v_lshrrev_b32_e32 v12, 24, v9
	v_lshrrev_b32_e32 v25, 16, v9
	;; [unrolled: 1-line block ×3, first 2 shown]
                                        ; implicit-def: $vgpr47
	s_delay_alu instid0(VALU_DEP_4)
	v_cmp_le_u32_e32 vcc_lo, s27, v10
                                        ; implicit-def: $vgpr10
	s_and_saveexec_b32 s0, vcc_lo
	s_wait_alu 0xfffe
	s_xor_b32 s0, exec_lo, s0
	s_cbranch_execz .LBB1290_55
; %bb.54:
	v_lshlrev_b16 v10, 8, v12
	v_and_b32_e32 v12, 0xff, v25
	v_lshlrev_b16 v9, 8, v9
	v_perm_b32 v8, v8, v8, 0x3060504
	v_perm_b32 v7, v7, v7, 0x3060504
                                        ; implicit-def: $vgpr25
	s_delay_alu instid0(VALU_DEP_4) | instskip(SKIP_2) | instid1(VALU_DEP_3)
	v_or_b32_e32 v10, v12, v10
	v_and_b32_e32 v12, 0xff0000, v11
	v_and_b32_e32 v9, 0xffff, v9
	v_lshlrev_b32_e32 v10, 16, v10
	s_delay_alu instid0(VALU_DEP_3) | instskip(NEXT) | instid1(VALU_DEP_2)
	v_perm_b32 v47, v11, v12, 0x3020504
                                        ; implicit-def: $vgpr11
                                        ; implicit-def: $vgpr12
	v_or_b32_e32 v10, v9, v10
                                        ; implicit-def: $vgpr9
.LBB1290_55:
	s_wait_alu 0xfffe
	s_and_not1_saveexec_b32 s1, s0
	s_cbranch_execz .LBB1290_59
; %bb.56:
	v_add_nc_u32_e32 v10, s17, v22
	v_add_nc_u32_e32 v26, s19, v22
	s_mov_b32 s3, 0
	s_mov_b32 s4, exec_lo
	s_delay_alu instid0(VALU_DEP_2) | instskip(NEXT) | instid1(VALU_DEP_2)
	v_mul_lo_u32 v10, v10, s16
	v_mul_lo_u32 v26, v26, s18
	s_delay_alu instid0(VALU_DEP_1) | instskip(NEXT) | instid1(VALU_DEP_1)
	v_sub_nc_u32_e32 v10, v10, v26
	v_cmp_lt_u32_e32 vcc_lo, s20, v10
	v_cmpx_ge_u32_e64 s20, v10
	s_cbranch_execz .LBB1290_58
; %bb.57:
	v_add_nc_u32_e32 v10, s22, v22
	v_add_nc_u32_e32 v26, s38, v22
	s_delay_alu instid0(VALU_DEP_2) | instskip(NEXT) | instid1(VALU_DEP_2)
	v_mul_lo_u32 v10, v10, s21
	v_mul_lo_u32 v26, v26, s23
	s_delay_alu instid0(VALU_DEP_1) | instskip(NEXT) | instid1(VALU_DEP_1)
	v_sub_nc_u32_e32 v10, v10, v26
	v_cmp_lt_u32_e64 s0, s39, v10
	s_and_b32 s3, s0, exec_lo
.LBB1290_58:
	s_wait_alu 0xfffe
	s_or_b32 exec_lo, exec_lo, s4
	v_lshrrev_b32_e32 v10, 8, v11
	s_wait_alu 0xfffd
	v_cndmask_b32_e64 v26, 0, 1, vcc_lo
	v_lshrrev_b32_e32 v27, 16, v11
	v_cndmask_b32_e64 v28, 0, 1, s3
	v_and_b32_e32 v11, 0xff, v11
	v_lshlrev_b16 v10, 8, v10
	v_lshlrev_b16 v26, 8, v26
	v_and_b32_e32 v27, 0xff, v27
	v_lshlrev_b16 v12, 8, v12
	v_and_b32_e32 v25, 0xff, v25
	v_lshlrev_b16 v9, 8, v9
	v_or_b32_e32 v10, v11, v10
	v_or_b32_e32 v11, v27, v26
	s_delay_alu instid0(VALU_DEP_4) | instskip(NEXT) | instid1(VALU_DEP_4)
	v_or_b32_e32 v12, v25, v12
	v_or_b32_e32 v9, v28, v9
	s_delay_alu instid0(VALU_DEP_4) | instskip(NEXT) | instid1(VALU_DEP_4)
	v_and_b32_e32 v10, 0xffff, v10
	v_lshlrev_b32_e32 v11, 16, v11
	s_delay_alu instid0(VALU_DEP_4) | instskip(NEXT) | instid1(VALU_DEP_4)
	v_lshlrev_b32_e32 v12, 16, v12
	v_and_b32_e32 v9, 0xffff, v9
	s_delay_alu instid0(VALU_DEP_3) | instskip(NEXT) | instid1(VALU_DEP_2)
	v_or_b32_e32 v47, v10, v11
	v_or_b32_e32 v10, v9, v12
.LBB1290_59:
	s_wait_alu 0xfffe
	s_or_b32 exec_lo, exec_lo, s1
	v_add_nc_u32_e32 v9, 4, v46
	v_lshrrev_b32_e32 v25, 8, v8
	v_lshrrev_b32_e32 v26, 16, v8
	v_lshrrev_b32_e32 v27, 24, v8
	v_lshrrev_b32_e32 v11, 24, v10
	v_cmp_le_u32_e32 vcc_lo, s27, v9
	v_lshrrev_b32_e32 v12, 16, v10
                                        ; implicit-def: $vgpr8
                                        ; implicit-def: $vgpr9
	s_and_saveexec_b32 s0, vcc_lo
	s_wait_alu 0xfffe
	s_xor_b32 s0, exec_lo, s0
	s_cbranch_execz .LBB1290_61
; %bb.60:
	v_lshlrev_b16 v8, 8, v27
	v_and_b32_e32 v9, 0xff, v26
	v_lshlrev_b16 v25, 8, v25
	v_lshlrev_b16 v11, 8, v11
	v_and_b32_e32 v12, 0xff, v12
	v_perm_b32 v7, v7, v7, 0x3060504
	v_or_b32_e32 v8, v9, v8
	v_and_b32_e32 v9, 0xffff, v25
                                        ; implicit-def: $vgpr25
                                        ; implicit-def: $vgpr26
                                        ; implicit-def: $vgpr27
	s_delay_alu instid0(VALU_DEP_4) | instskip(NEXT) | instid1(VALU_DEP_3)
	v_or_b32_e32 v11, v12, v11
	v_lshlrev_b32_e32 v12, 16, v8
	s_delay_alu instid0(VALU_DEP_2) | instskip(NEXT) | instid1(VALU_DEP_2)
	v_perm_b32 v8, v11, v10, 0x5040c00
                                        ; implicit-def: $vgpr10
                                        ; implicit-def: $vgpr11
	v_or_b32_e32 v9, v9, v12
                                        ; implicit-def: $vgpr12
.LBB1290_61:
	s_wait_alu 0xfffe
	s_and_not1_saveexec_b32 s1, s0
	s_cbranch_execz .LBB1290_65
; %bb.62:
	v_add_nc_u32_e32 v8, s17, v19
	v_add_nc_u32_e32 v9, s19, v19
	s_mov_b32 s3, 0
	s_mov_b32 s4, exec_lo
	s_delay_alu instid0(VALU_DEP_2) | instskip(NEXT) | instid1(VALU_DEP_2)
	v_mul_lo_u32 v8, v8, s16
	v_mul_lo_u32 v9, v9, s18
	s_delay_alu instid0(VALU_DEP_1) | instskip(NEXT) | instid1(VALU_DEP_1)
	v_sub_nc_u32_e32 v8, v8, v9
	v_cmp_lt_u32_e32 vcc_lo, s20, v8
	v_cmpx_ge_u32_e64 s20, v8
	s_cbranch_execz .LBB1290_64
; %bb.63:
	v_add_nc_u32_e32 v8, s22, v19
	v_add_nc_u32_e32 v9, s38, v19
	s_delay_alu instid0(VALU_DEP_2) | instskip(NEXT) | instid1(VALU_DEP_2)
	v_mul_lo_u32 v8, v8, s21
	v_mul_lo_u32 v9, v9, s23
	s_delay_alu instid0(VALU_DEP_1) | instskip(NEXT) | instid1(VALU_DEP_1)
	v_sub_nc_u32_e32 v8, v8, v9
	v_cmp_lt_u32_e64 s0, s39, v8
	s_and_b32 s3, s0, exec_lo
.LBB1290_64:
	s_wait_alu 0xfffe
	s_or_b32 exec_lo, exec_lo, s4
	v_cndmask_b32_e64 v8, 0, 1, s3
	s_wait_alu 0xfffd
	v_cndmask_b32_e64 v9, 0, 1, vcc_lo
	v_lshlrev_b16 v27, 8, v27
	v_and_b32_e32 v26, 0xff, v26
	v_lshlrev_b16 v25, 8, v25
	v_lshlrev_b16 v8, 8, v8
	v_and_b32_e32 v10, 0xff, v10
	v_lshlrev_b16 v11, 8, v11
	v_and_b32_e32 v12, 0xff, v12
	v_or_b32_e32 v26, v26, v27
	v_or_b32_e32 v9, v9, v25
	;; [unrolled: 1-line block ×3, first 2 shown]
	s_delay_alu instid0(VALU_DEP_4) | instskip(NEXT) | instid1(VALU_DEP_4)
	v_or_b32_e32 v10, v12, v11
	v_lshlrev_b32_e32 v11, 16, v26
	s_delay_alu instid0(VALU_DEP_4) | instskip(NEXT) | instid1(VALU_DEP_4)
	v_and_b32_e32 v9, 0xffff, v9
	v_and_b32_e32 v8, 0xffff, v8
	s_delay_alu instid0(VALU_DEP_4) | instskip(NEXT) | instid1(VALU_DEP_3)
	v_lshlrev_b32_e32 v10, 16, v10
	v_or_b32_e32 v9, v9, v11
	s_delay_alu instid0(VALU_DEP_2)
	v_or_b32_e32 v8, v8, v10
.LBB1290_65:
	s_wait_alu 0xfffe
	s_or_b32 exec_lo, exec_lo, s1
	v_add_nc_u32_e32 v10, 5, v46
	v_lshrrev_b32_e32 v25, 16, v9
	v_lshrrev_b32_e32 v27, 24, v9
	v_and_b32_e32 v12, 0xff, v8
	v_lshrrev_b32_e32 v26, 8, v8
	v_cmp_le_u32_e32 vcc_lo, s27, v10
                                        ; implicit-def: $vgpr10
                                        ; implicit-def: $vgpr11
	s_and_saveexec_b32 s0, vcc_lo
	s_wait_alu 0xfffe
	s_xor_b32 s0, exec_lo, s0
	s_cbranch_execz .LBB1290_67
; %bb.66:
	v_lshlrev_b16 v10, 8, v26
	v_lshlrev_b16 v11, 8, v27
	v_and_b32_e32 v25, 0xff, v25
	v_perm_b32 v7, v7, v7, 0x3060504
                                        ; implicit-def: $vgpr27
                                        ; implicit-def: $vgpr26
	s_delay_alu instid0(VALU_DEP_4) | instskip(NEXT) | instid1(VALU_DEP_3)
	v_or_b32_e32 v10, v12, v10
                                        ; implicit-def: $vgpr12
	v_or_b32_e32 v11, v25, v11
                                        ; implicit-def: $vgpr25
	s_delay_alu instid0(VALU_DEP_2) | instskip(NEXT) | instid1(VALU_DEP_2)
	v_and_b32_e32 v10, 0xffff, v10
	v_perm_b32 v11, v11, v9, 0x5040c00
                                        ; implicit-def: $vgpr9
	s_delay_alu instid0(VALU_DEP_2)
	v_and_or_b32 v10, 0xff000000, v8, v10
                                        ; implicit-def: $vgpr8
.LBB1290_67:
	s_wait_alu 0xfffe
	s_and_not1_saveexec_b32 s1, s0
	s_cbranch_execz .LBB1290_71
; %bb.68:
	v_add_nc_u32_e32 v10, s17, v20
	v_add_nc_u32_e32 v11, s19, v20
	s_mov_b32 s3, 0
	s_mov_b32 s4, exec_lo
	s_delay_alu instid0(VALU_DEP_2) | instskip(NEXT) | instid1(VALU_DEP_2)
	v_mul_lo_u32 v10, v10, s16
	v_mul_lo_u32 v11, v11, s18
	s_delay_alu instid0(VALU_DEP_1) | instskip(NEXT) | instid1(VALU_DEP_1)
	v_sub_nc_u32_e32 v10, v10, v11
	v_cmp_lt_u32_e32 vcc_lo, s20, v10
	v_cmpx_ge_u32_e64 s20, v10
	s_cbranch_execz .LBB1290_70
; %bb.69:
	v_add_nc_u32_e32 v10, s22, v20
	v_add_nc_u32_e32 v11, s38, v20
	s_delay_alu instid0(VALU_DEP_2) | instskip(NEXT) | instid1(VALU_DEP_2)
	v_mul_lo_u32 v10, v10, s21
	v_mul_lo_u32 v11, v11, s23
	s_delay_alu instid0(VALU_DEP_1) | instskip(NEXT) | instid1(VALU_DEP_1)
	v_sub_nc_u32_e32 v10, v10, v11
	v_cmp_lt_u32_e64 s0, s39, v10
	s_and_b32 s3, s0, exec_lo
.LBB1290_70:
	s_wait_alu 0xfffe
	s_or_b32 exec_lo, exec_lo, s4
	s_wait_alu 0xfffd
	v_cndmask_b32_e64 v10, 0, 1, vcc_lo
	v_lshrrev_b32_e32 v8, 24, v8
	v_cndmask_b32_e64 v11, 0, 1, s3
	v_lshlrev_b16 v27, 8, v27
	v_and_b32_e32 v25, 0xff, v25
	v_lshlrev_b16 v10, 8, v10
	v_lshlrev_b16 v26, 8, v26
	v_and_b32_e32 v9, 0xff, v9
	v_lshlrev_b16 v8, 8, v8
	v_or_b32_e32 v25, v25, v27
	s_delay_alu instid0(VALU_DEP_4) | instskip(NEXT) | instid1(VALU_DEP_4)
	v_or_b32_e32 v12, v12, v26
	v_or_b32_e32 v9, v9, v10
	s_delay_alu instid0(VALU_DEP_4) | instskip(NEXT) | instid1(VALU_DEP_4)
	v_or_b32_e32 v8, v11, v8
	v_lshlrev_b32_e32 v10, 16, v25
	s_delay_alu instid0(VALU_DEP_4) | instskip(NEXT) | instid1(VALU_DEP_4)
	v_and_b32_e32 v12, 0xffff, v12
	v_and_b32_e32 v9, 0xffff, v9
	s_delay_alu instid0(VALU_DEP_4) | instskip(NEXT) | instid1(VALU_DEP_2)
	v_lshlrev_b32_e32 v8, 16, v8
	v_or_b32_e32 v11, v9, v10
	s_delay_alu instid0(VALU_DEP_2)
	v_or_b32_e32 v10, v12, v8
.LBB1290_71:
	s_wait_alu 0xfffe
	s_or_b32 exec_lo, exec_lo, s1
	v_add_nc_u32_e32 v8, 6, v46
	v_lshrrev_b32_e32 v12, 8, v11
                                        ; implicit-def: $vgpr48
                                        ; implicit-def: $vgpr9
	s_delay_alu instid0(VALU_DEP_2)
	v_cmp_le_u32_e32 vcc_lo, s27, v8
	v_and_b32_e32 v8, 0xff, v11
	s_and_saveexec_b32 s0, vcc_lo
	s_wait_alu 0xfffe
	s_xor_b32 s0, exec_lo, s0
	s_cbranch_execz .LBB1290_73
; %bb.72:
	v_lshlrev_b16 v9, 8, v12
	v_perm_b32 v7, v7, v7, 0x3060504
                                        ; implicit-def: $vgpr12
	s_delay_alu instid0(VALU_DEP_2) | instskip(SKIP_1) | instid1(VALU_DEP_2)
	v_or_b32_e32 v8, v8, v9
	v_and_b32_e32 v9, 0xff0000, v10
	v_and_b32_e32 v8, 0xffff, v8
	s_delay_alu instid0(VALU_DEP_2) | instskip(NEXT) | instid1(VALU_DEP_2)
	v_perm_b32 v48, v10, v9, 0x3020504
                                        ; implicit-def: $vgpr10
	v_and_or_b32 v9, 0xff000000, v11, v8
                                        ; implicit-def: $vgpr8
                                        ; implicit-def: $vgpr11
.LBB1290_73:
	s_wait_alu 0xfffe
	s_and_not1_saveexec_b32 s1, s0
	s_cbranch_execz .LBB1290_77
; %bb.74:
	v_add_nc_u32_e32 v9, s17, v17
	v_add_nc_u32_e32 v25, s19, v17
	s_mov_b32 s3, 0
	s_mov_b32 s4, exec_lo
	s_delay_alu instid0(VALU_DEP_2) | instskip(NEXT) | instid1(VALU_DEP_2)
	v_mul_lo_u32 v9, v9, s16
	v_mul_lo_u32 v25, v25, s18
	s_delay_alu instid0(VALU_DEP_1) | instskip(NEXT) | instid1(VALU_DEP_1)
	v_sub_nc_u32_e32 v9, v9, v25
	v_cmp_lt_u32_e32 vcc_lo, s20, v9
	v_cmpx_ge_u32_e64 s20, v9
	s_cbranch_execz .LBB1290_76
; %bb.75:
	v_add_nc_u32_e32 v9, s22, v17
	v_add_nc_u32_e32 v25, s38, v17
	s_delay_alu instid0(VALU_DEP_2) | instskip(NEXT) | instid1(VALU_DEP_2)
	v_mul_lo_u32 v9, v9, s21
	v_mul_lo_u32 v25, v25, s23
	s_delay_alu instid0(VALU_DEP_1) | instskip(NEXT) | instid1(VALU_DEP_1)
	v_sub_nc_u32_e32 v9, v9, v25
	v_cmp_lt_u32_e64 s0, s39, v9
	s_and_b32 s3, s0, exec_lo
.LBB1290_76:
	s_wait_alu 0xfffe
	s_or_b32 exec_lo, exec_lo, s4
	v_lshrrev_b32_e32 v11, 24, v11
	v_cndmask_b32_e64 v25, 0, 1, s3
	v_lshrrev_b32_e32 v26, 8, v10
	v_lshrrev_b32_e32 v27, 16, v10
	s_wait_alu 0xfffd
	v_cndmask_b32_e64 v9, 0, 1, vcc_lo
	v_lshlrev_b16 v12, 8, v12
	v_lshlrev_b16 v11, 8, v11
	v_and_b32_e32 v10, 0xff, v10
	v_lshlrev_b16 v26, 8, v26
	v_lshlrev_b16 v25, 8, v25
	v_and_b32_e32 v27, 0xff, v27
	v_or_b32_e32 v8, v8, v12
	v_or_b32_e32 v9, v9, v11
	;; [unrolled: 1-line block ×3, first 2 shown]
	s_delay_alu instid0(VALU_DEP_4) | instskip(NEXT) | instid1(VALU_DEP_4)
	v_or_b32_e32 v11, v27, v25
	v_and_b32_e32 v8, 0xffff, v8
	s_delay_alu instid0(VALU_DEP_4) | instskip(NEXT) | instid1(VALU_DEP_4)
	v_lshlrev_b32_e32 v9, 16, v9
	v_and_b32_e32 v10, 0xffff, v10
	s_delay_alu instid0(VALU_DEP_4) | instskip(NEXT) | instid1(VALU_DEP_3)
	v_lshlrev_b32_e32 v11, 16, v11
	v_or_b32_e32 v9, v8, v9
	s_delay_alu instid0(VALU_DEP_2)
	v_or_b32_e32 v48, v10, v11
.LBB1290_77:
	s_wait_alu 0xfffe
	s_or_b32 exec_lo, exec_lo, s1
	v_add_nc_u32_e32 v8, 7, v46
	v_lshrrev_b32_e32 v10, 8, v7
	v_lshrrev_b32_e32 v11, 16, v7
	;; [unrolled: 1-line block ×3, first 2 shown]
                                        ; implicit-def: $vgpr49
	s_delay_alu instid0(VALU_DEP_4)
	v_cmp_le_u32_e32 vcc_lo, s27, v8
                                        ; implicit-def: $vgpr8
	s_and_saveexec_b32 s0, vcc_lo
	s_wait_alu 0xfffe
	s_xor_b32 s0, exec_lo, s0
	s_cbranch_execz .LBB1290_79
; %bb.78:
	v_lshlrev_b16 v7, 8, v7
	v_and_b32_e32 v8, 0xff, v11
                                        ; implicit-def: $vgpr11
	s_delay_alu instid0(VALU_DEP_1) | instskip(SKIP_2) | instid1(VALU_DEP_3)
	v_or_b32_e32 v7, v8, v7
	v_lshlrev_b16 v8, 8, v10
	v_and_b32_e32 v10, 0xff0000, v9
	v_lshlrev_b32_e32 v7, 16, v7
	s_delay_alu instid0(VALU_DEP_3) | instskip(NEXT) | instid1(VALU_DEP_3)
	v_and_b32_e32 v8, 0xffff, v8
	v_perm_b32 v49, v9, v10, 0x3020504
                                        ; implicit-def: $vgpr9
                                        ; implicit-def: $vgpr10
	s_delay_alu instid0(VALU_DEP_2)
	v_or_b32_e32 v8, v8, v7
                                        ; implicit-def: $vgpr7
.LBB1290_79:
	s_wait_alu 0xfffe
	s_and_not1_saveexec_b32 s1, s0
	s_cbranch_execz .LBB1290_83
; %bb.80:
	v_add_nc_u32_e32 v8, s17, v18
	v_add_nc_u32_e32 v12, s19, v18
	s_mov_b32 s3, 0
	s_mov_b32 s4, exec_lo
	s_delay_alu instid0(VALU_DEP_2) | instskip(NEXT) | instid1(VALU_DEP_2)
	v_mul_lo_u32 v8, v8, s16
	v_mul_lo_u32 v12, v12, s18
	s_delay_alu instid0(VALU_DEP_1) | instskip(NEXT) | instid1(VALU_DEP_1)
	v_sub_nc_u32_e32 v8, v8, v12
	v_cmp_lt_u32_e32 vcc_lo, s20, v8
	v_cmpx_ge_u32_e64 s20, v8
	s_cbranch_execz .LBB1290_82
; %bb.81:
	v_add_nc_u32_e32 v8, s22, v18
	v_add_nc_u32_e32 v12, s38, v18
	s_delay_alu instid0(VALU_DEP_2) | instskip(NEXT) | instid1(VALU_DEP_2)
	v_mul_lo_u32 v8, v8, s21
	v_mul_lo_u32 v12, v12, s23
	s_delay_alu instid0(VALU_DEP_1) | instskip(NEXT) | instid1(VALU_DEP_1)
	v_sub_nc_u32_e32 v8, v8, v12
	v_cmp_lt_u32_e64 s0, s39, v8
	s_and_b32 s3, s0, exec_lo
.LBB1290_82:
	s_wait_alu 0xfffe
	s_or_b32 exec_lo, exec_lo, s4
	v_lshrrev_b32_e32 v8, 8, v9
	s_wait_alu 0xfffd
	v_cndmask_b32_e64 v12, 0, 1, vcc_lo
	v_lshrrev_b32_e32 v25, 16, v9
	v_cndmask_b32_e64 v26, 0, 1, s3
	v_and_b32_e32 v9, 0xff, v9
	v_lshlrev_b16 v8, 8, v8
	v_lshlrev_b16 v12, 8, v12
	v_and_b32_e32 v25, 0xff, v25
	v_lshlrev_b16 v7, 8, v7
	v_and_b32_e32 v11, 0xff, v11
	v_lshlrev_b16 v10, 8, v10
	v_or_b32_e32 v8, v9, v8
	v_or_b32_e32 v9, v25, v12
	s_delay_alu instid0(VALU_DEP_4) | instskip(NEXT) | instid1(VALU_DEP_4)
	v_or_b32_e32 v7, v11, v7
	v_or_b32_e32 v10, v26, v10
	s_delay_alu instid0(VALU_DEP_4) | instskip(NEXT) | instid1(VALU_DEP_4)
	v_and_b32_e32 v8, 0xffff, v8
	v_lshlrev_b32_e32 v9, 16, v9
	s_delay_alu instid0(VALU_DEP_4) | instskip(NEXT) | instid1(VALU_DEP_4)
	v_lshlrev_b32_e32 v7, 16, v7
	v_and_b32_e32 v10, 0xffff, v10
	s_delay_alu instid0(VALU_DEP_3) | instskip(NEXT) | instid1(VALU_DEP_2)
	v_or_b32_e32 v49, v8, v9
	v_or_b32_e32 v8, v10, v7
.LBB1290_83:
	s_wait_alu 0xfffe
	s_or_b32 exec_lo, exec_lo, s1
	v_add_nc_u32_e32 v7, 8, v46
	s_delay_alu instid0(VALU_DEP_2)
	v_lshrrev_b32_e32 v9, 16, v8
	v_lshrrev_b32_e32 v10, 24, v8
	;; [unrolled: 1-line block ×4, first 2 shown]
	v_cmp_le_u32_e32 vcc_lo, s27, v7
	v_lshrrev_b32_e32 v11, 8, v6
                                        ; implicit-def: $vgpr6
                                        ; implicit-def: $vgpr7
	s_and_saveexec_b32 s0, vcc_lo
	s_wait_alu 0xfffe
	s_xor_b32 s0, exec_lo, s0
	s_cbranch_execz .LBB1290_85
; %bb.84:
	v_lshlrev_b16 v6, 8, v12
	v_and_b32_e32 v7, 0xff, v25
	v_lshlrev_b16 v11, 8, v11
	v_lshlrev_b16 v10, 8, v10
	v_perm_b32 v5, v5, v5, 0x3060504
                                        ; implicit-def: $vgpr12
                                        ; implicit-def: $vgpr25
	s_delay_alu instid0(VALU_DEP_4) | instskip(SKIP_2) | instid1(VALU_DEP_3)
	v_or_b32_e32 v6, v7, v6
	v_and_b32_e32 v7, 0xff, v9
	v_and_b32_e32 v9, 0xffff, v11
                                        ; implicit-def: $vgpr11
	v_lshlrev_b32_e32 v6, 16, v6
	s_delay_alu instid0(VALU_DEP_3) | instskip(NEXT) | instid1(VALU_DEP_2)
	v_or_b32_e32 v10, v7, v10
	v_or_b32_e32 v7, v9, v6
	s_delay_alu instid0(VALU_DEP_2)
	v_perm_b32 v6, v10, v8, 0x5040c00
                                        ; implicit-def: $vgpr8
                                        ; implicit-def: $vgpr9
                                        ; implicit-def: $vgpr10
.LBB1290_85:
	s_wait_alu 0xfffe
	s_and_not1_saveexec_b32 s1, s0
	s_cbranch_execz .LBB1290_89
; %bb.86:
	v_add_nc_u32_e32 v6, s17, v15
	v_add_nc_u32_e32 v7, s19, v15
	s_mov_b32 s3, 0
	s_mov_b32 s4, exec_lo
	s_delay_alu instid0(VALU_DEP_2) | instskip(NEXT) | instid1(VALU_DEP_2)
	v_mul_lo_u32 v6, v6, s16
	v_mul_lo_u32 v7, v7, s18
	s_delay_alu instid0(VALU_DEP_1) | instskip(NEXT) | instid1(VALU_DEP_1)
	v_sub_nc_u32_e32 v6, v6, v7
	v_cmp_lt_u32_e32 vcc_lo, s20, v6
	v_cmpx_ge_u32_e64 s20, v6
	s_cbranch_execz .LBB1290_88
; %bb.87:
	v_add_nc_u32_e32 v6, s22, v15
	v_add_nc_u32_e32 v7, s38, v15
	s_delay_alu instid0(VALU_DEP_2) | instskip(NEXT) | instid1(VALU_DEP_2)
	v_mul_lo_u32 v6, v6, s21
	v_mul_lo_u32 v7, v7, s23
	s_delay_alu instid0(VALU_DEP_1) | instskip(NEXT) | instid1(VALU_DEP_1)
	v_sub_nc_u32_e32 v6, v6, v7
	v_cmp_lt_u32_e64 s0, s39, v6
	s_and_b32 s3, s0, exec_lo
.LBB1290_88:
	s_wait_alu 0xfffe
	s_or_b32 exec_lo, exec_lo, s4
	v_cndmask_b32_e64 v6, 0, 1, s3
	s_wait_alu 0xfffd
	v_cndmask_b32_e64 v7, 0, 1, vcc_lo
	v_lshlrev_b16 v12, 8, v12
	v_and_b32_e32 v25, 0xff, v25
	v_lshlrev_b16 v11, 8, v11
	v_lshlrev_b16 v6, 8, v6
	v_and_b32_e32 v8, 0xff, v8
	v_lshlrev_b16 v10, 8, v10
	v_and_b32_e32 v9, 0xff, v9
	v_or_b32_e32 v12, v25, v12
	v_or_b32_e32 v7, v7, v11
	v_or_b32_e32 v6, v8, v6
	s_delay_alu instid0(VALU_DEP_4) | instskip(NEXT) | instid1(VALU_DEP_4)
	v_or_b32_e32 v8, v9, v10
	v_lshlrev_b32_e32 v9, 16, v12
	s_delay_alu instid0(VALU_DEP_4) | instskip(NEXT) | instid1(VALU_DEP_4)
	v_and_b32_e32 v7, 0xffff, v7
	v_and_b32_e32 v6, 0xffff, v6
	s_delay_alu instid0(VALU_DEP_4) | instskip(NEXT) | instid1(VALU_DEP_3)
	v_lshlrev_b32_e32 v8, 16, v8
	v_or_b32_e32 v7, v7, v9
	s_delay_alu instid0(VALU_DEP_2)
	v_or_b32_e32 v6, v6, v8
.LBB1290_89:
	s_wait_alu 0xfffe
	s_or_b32 exec_lo, exec_lo, s1
	v_add_nc_u32_e32 v8, 9, v46
	s_delay_alu instid0(VALU_DEP_2)
	v_lshrrev_b32_e32 v10, 8, v6
	v_lshrrev_b32_e32 v25, 24, v7
	;; [unrolled: 1-line block ×3, first 2 shown]
	v_and_b32_e32 v11, 0xff, v6
	v_cmp_le_u32_e32 vcc_lo, s27, v8
                                        ; implicit-def: $vgpr8
                                        ; implicit-def: $vgpr9
	s_and_saveexec_b32 s0, vcc_lo
	s_wait_alu 0xfffe
	s_xor_b32 s0, exec_lo, s0
	s_cbranch_execz .LBB1290_91
; %bb.90:
	v_lshlrev_b16 v8, 8, v10
	v_lshlrev_b16 v9, 8, v25
	v_and_b32_e32 v10, 0xff, v12
	v_perm_b32 v5, v5, v5, 0x3060504
                                        ; implicit-def: $vgpr25
                                        ; implicit-def: $vgpr12
	s_delay_alu instid0(VALU_DEP_4) | instskip(NEXT) | instid1(VALU_DEP_3)
	v_or_b32_e32 v8, v11, v8
                                        ; implicit-def: $vgpr11
	v_or_b32_e32 v9, v10, v9
                                        ; implicit-def: $vgpr10
	s_delay_alu instid0(VALU_DEP_2) | instskip(NEXT) | instid1(VALU_DEP_2)
	v_and_b32_e32 v8, 0xffff, v8
	v_perm_b32 v9, v9, v7, 0x5040c00
                                        ; implicit-def: $vgpr7
	s_delay_alu instid0(VALU_DEP_2)
	v_and_or_b32 v8, 0xff000000, v6, v8
                                        ; implicit-def: $vgpr6
.LBB1290_91:
	s_wait_alu 0xfffe
	s_and_not1_saveexec_b32 s1, s0
	s_cbranch_execz .LBB1290_95
; %bb.92:
	v_add_nc_u32_e32 v8, s17, v16
	v_add_nc_u32_e32 v9, s19, v16
	s_mov_b32 s3, 0
	s_mov_b32 s4, exec_lo
	s_delay_alu instid0(VALU_DEP_2) | instskip(NEXT) | instid1(VALU_DEP_2)
	v_mul_lo_u32 v8, v8, s16
	v_mul_lo_u32 v9, v9, s18
	s_delay_alu instid0(VALU_DEP_1) | instskip(NEXT) | instid1(VALU_DEP_1)
	v_sub_nc_u32_e32 v8, v8, v9
	v_cmp_lt_u32_e32 vcc_lo, s20, v8
	v_cmpx_ge_u32_e64 s20, v8
	s_cbranch_execz .LBB1290_94
; %bb.93:
	v_add_nc_u32_e32 v8, s22, v16
	v_add_nc_u32_e32 v9, s38, v16
	s_delay_alu instid0(VALU_DEP_2) | instskip(NEXT) | instid1(VALU_DEP_2)
	v_mul_lo_u32 v8, v8, s21
	v_mul_lo_u32 v9, v9, s23
	s_delay_alu instid0(VALU_DEP_1) | instskip(NEXT) | instid1(VALU_DEP_1)
	v_sub_nc_u32_e32 v8, v8, v9
	v_cmp_lt_u32_e64 s0, s39, v8
	s_and_b32 s3, s0, exec_lo
.LBB1290_94:
	s_wait_alu 0xfffe
	s_or_b32 exec_lo, exec_lo, s4
	s_wait_alu 0xfffd
	v_cndmask_b32_e64 v8, 0, 1, vcc_lo
	v_lshrrev_b32_e32 v6, 24, v6
	v_cndmask_b32_e64 v9, 0, 1, s3
	v_lshlrev_b16 v25, 8, v25
	v_and_b32_e32 v12, 0xff, v12
	v_lshlrev_b16 v8, 8, v8
	v_lshlrev_b16 v10, 8, v10
	v_and_b32_e32 v7, 0xff, v7
	v_lshlrev_b16 v6, 8, v6
	v_or_b32_e32 v12, v12, v25
	s_delay_alu instid0(VALU_DEP_4) | instskip(NEXT) | instid1(VALU_DEP_4)
	v_or_b32_e32 v10, v11, v10
	v_or_b32_e32 v7, v7, v8
	s_delay_alu instid0(VALU_DEP_4) | instskip(NEXT) | instid1(VALU_DEP_4)
	v_or_b32_e32 v6, v9, v6
	v_lshlrev_b32_e32 v8, 16, v12
	s_delay_alu instid0(VALU_DEP_4) | instskip(NEXT) | instid1(VALU_DEP_4)
	v_and_b32_e32 v10, 0xffff, v10
	v_and_b32_e32 v7, 0xffff, v7
	s_delay_alu instid0(VALU_DEP_4) | instskip(NEXT) | instid1(VALU_DEP_2)
	v_lshlrev_b32_e32 v6, 16, v6
	v_or_b32_e32 v9, v7, v8
	s_delay_alu instid0(VALU_DEP_2)
	v_or_b32_e32 v8, v10, v6
.LBB1290_95:
	s_wait_alu 0xfffe
	s_or_b32 exec_lo, exec_lo, s1
	v_add_nc_u32_e32 v6, 10, v46
	v_and_b32_e32 v7, 0xff, v9
	v_lshrrev_b32_e32 v10, 8, v9
                                        ; implicit-def: $vgpr51
	s_delay_alu instid0(VALU_DEP_3)
	v_cmp_le_u32_e32 vcc_lo, s27, v6
                                        ; implicit-def: $vgpr6
	s_and_saveexec_b32 s0, vcc_lo
	s_wait_alu 0xfffe
	s_xor_b32 s0, exec_lo, s0
	s_cbranch_execz .LBB1290_97
; %bb.96:
	v_lshlrev_b16 v6, 8, v10
	v_perm_b32 v5, v5, v5, 0x3060504
                                        ; implicit-def: $vgpr10
	s_delay_alu instid0(VALU_DEP_2) | instskip(SKIP_1) | instid1(VALU_DEP_2)
	v_or_b32_e32 v6, v7, v6
	v_and_b32_e32 v7, 0xff0000, v8
	v_and_b32_e32 v6, 0xffff, v6
	s_delay_alu instid0(VALU_DEP_2) | instskip(NEXT) | instid1(VALU_DEP_2)
	v_perm_b32 v51, v8, v7, 0x3020504
                                        ; implicit-def: $vgpr7
                                        ; implicit-def: $vgpr8
	v_and_or_b32 v6, 0xff000000, v9, v6
                                        ; implicit-def: $vgpr9
.LBB1290_97:
	s_wait_alu 0xfffe
	s_and_not1_saveexec_b32 s1, s0
	s_cbranch_execz .LBB1290_101
; %bb.98:
	v_add_nc_u32_e32 v6, s17, v13
	v_add_nc_u32_e32 v11, s19, v13
	s_mov_b32 s3, 0
	s_mov_b32 s4, exec_lo
	s_delay_alu instid0(VALU_DEP_2) | instskip(NEXT) | instid1(VALU_DEP_2)
	v_mul_lo_u32 v6, v6, s16
	v_mul_lo_u32 v11, v11, s18
	s_delay_alu instid0(VALU_DEP_1) | instskip(NEXT) | instid1(VALU_DEP_1)
	v_sub_nc_u32_e32 v6, v6, v11
	v_cmp_lt_u32_e32 vcc_lo, s20, v6
	v_cmpx_ge_u32_e64 s20, v6
	s_cbranch_execz .LBB1290_100
; %bb.99:
	v_add_nc_u32_e32 v6, s22, v13
	v_add_nc_u32_e32 v11, s38, v13
	s_delay_alu instid0(VALU_DEP_2) | instskip(NEXT) | instid1(VALU_DEP_2)
	v_mul_lo_u32 v6, v6, s21
	v_mul_lo_u32 v11, v11, s23
	s_delay_alu instid0(VALU_DEP_1) | instskip(NEXT) | instid1(VALU_DEP_1)
	v_sub_nc_u32_e32 v6, v6, v11
	v_cmp_lt_u32_e64 s0, s39, v6
	s_and_b32 s3, s0, exec_lo
.LBB1290_100:
	s_wait_alu 0xfffe
	s_or_b32 exec_lo, exec_lo, s4
	v_lshrrev_b32_e32 v9, 24, v9
	v_cndmask_b32_e64 v11, 0, 1, s3
	v_lshrrev_b32_e32 v12, 8, v8
	v_lshrrev_b32_e32 v25, 16, v8
	s_wait_alu 0xfffd
	v_cndmask_b32_e64 v6, 0, 1, vcc_lo
	v_lshlrev_b16 v10, 8, v10
	v_lshlrev_b16 v9, 8, v9
	v_and_b32_e32 v8, 0xff, v8
	v_lshlrev_b16 v12, 8, v12
	v_lshlrev_b16 v11, 8, v11
	v_and_b32_e32 v25, 0xff, v25
	v_or_b32_e32 v7, v7, v10
	v_or_b32_e32 v6, v6, v9
	;; [unrolled: 1-line block ×3, first 2 shown]
	s_delay_alu instid0(VALU_DEP_4) | instskip(NEXT) | instid1(VALU_DEP_4)
	v_or_b32_e32 v9, v25, v11
	v_and_b32_e32 v7, 0xffff, v7
	s_delay_alu instid0(VALU_DEP_4) | instskip(NEXT) | instid1(VALU_DEP_4)
	v_lshlrev_b32_e32 v6, 16, v6
	v_and_b32_e32 v8, 0xffff, v8
	s_delay_alu instid0(VALU_DEP_4) | instskip(NEXT) | instid1(VALU_DEP_3)
	v_lshlrev_b32_e32 v9, 16, v9
	v_or_b32_e32 v6, v7, v6
	s_delay_alu instid0(VALU_DEP_2)
	v_or_b32_e32 v51, v8, v9
.LBB1290_101:
	s_wait_alu 0xfffe
	s_or_b32 exec_lo, exec_lo, s1
	v_dual_mov_b32 v50, 0 :: v_dual_add_nc_u32 v7, 11, v46
	s_mov_b32 s0, exec_lo
                                        ; implicit-def: $vgpr52
	s_delay_alu instid0(VALU_DEP_1)
	v_cmpx_le_u32_e64 s27, v7
	s_wait_alu 0xfffe
	s_xor_b32 s0, exec_lo, s0
; %bb.102:
	v_and_b32_e32 v7, 0xff0000, v6
	v_perm_b32 v5, v5, v5, 0x3060504
	s_delay_alu instid0(VALU_DEP_2)
	v_perm_b32 v52, v6, v7, 0x3020504
                                        ; implicit-def: $vgpr6
; %bb.103:
	s_wait_alu 0xfffe
	s_and_not1_saveexec_b32 s1, s0
	s_cbranch_execz .LBB1290_107
; %bb.104:
	v_add_nc_u32_e32 v7, s17, v14
	v_add_nc_u32_e32 v8, s19, v14
	s_mov_b32 s3, 0
	s_mov_b32 s4, exec_lo
	s_delay_alu instid0(VALU_DEP_2) | instskip(NEXT) | instid1(VALU_DEP_2)
	v_mul_lo_u32 v7, v7, s16
	v_mul_lo_u32 v8, v8, s18
	s_delay_alu instid0(VALU_DEP_1) | instskip(NEXT) | instid1(VALU_DEP_1)
	v_sub_nc_u32_e32 v7, v7, v8
	v_cmp_lt_u32_e32 vcc_lo, s20, v7
	v_cmpx_ge_u32_e64 s20, v7
	s_cbranch_execz .LBB1290_106
; %bb.105:
	v_add_nc_u32_e32 v7, s22, v14
	v_add_nc_u32_e32 v8, s38, v14
	s_delay_alu instid0(VALU_DEP_2) | instskip(NEXT) | instid1(VALU_DEP_2)
	v_mul_lo_u32 v7, v7, s21
	v_mul_lo_u32 v8, v8, s23
	s_delay_alu instid0(VALU_DEP_1) | instskip(NEXT) | instid1(VALU_DEP_1)
	v_sub_nc_u32_e32 v7, v7, v8
	v_cmp_lt_u32_e64 s0, s39, v7
	s_and_b32 s3, s0, exec_lo
.LBB1290_106:
	s_wait_alu 0xfffe
	s_or_b32 exec_lo, exec_lo, s4
	v_lshrrev_b32_e32 v7, 8, v6
	s_wait_alu 0xfffd
	v_cndmask_b32_e64 v8, 0, 1, vcc_lo
	v_lshrrev_b32_e32 v9, 16, v6
	v_and_b32_e32 v6, 0xff, v6
	v_cndmask_b32_e64 v50, 0, 1, s3
	v_lshlrev_b16 v7, 8, v7
	v_lshlrev_b16 v8, 8, v8
	v_and_b32_e32 v9, 0xff, v9
	s_delay_alu instid0(VALU_DEP_3) | instskip(NEXT) | instid1(VALU_DEP_2)
	v_or_b32_e32 v6, v6, v7
	v_or_b32_e32 v7, v9, v8
	s_delay_alu instid0(VALU_DEP_2) | instskip(NEXT) | instid1(VALU_DEP_2)
	v_and_b32_e32 v6, 0xffff, v6
	v_lshlrev_b32_e32 v7, 16, v7
	s_delay_alu instid0(VALU_DEP_1)
	v_or_b32_e32 v52, v6, v7
.LBB1290_107:
	s_wait_alu 0xfffe
	s_or_b32 exec_lo, exec_lo, s1
	v_add_nc_u32_e32 v8, 12, v46
	v_lshrrev_b32_e32 v6, 8, v5
	v_lshrrev_b32_e32 v7, 16, v5
	;; [unrolled: 1-line block ×3, first 2 shown]
	s_mov_b32 s0, exec_lo
                                        ; implicit-def: $vgpr54
	v_cmpx_le_u32_e64 s27, v8
	s_wait_alu 0xfffe
	s_xor_b32 s0, exec_lo, s0
	s_cbranch_execz .LBB1290_109
; %bb.108:
	v_lshlrev_b16 v5, 8, v5
	v_and_b32_e32 v7, 0xff, v7
	v_lshlrev_b16 v6, 8, v6
	s_delay_alu instid0(VALU_DEP_2) | instskip(NEXT) | instid1(VALU_DEP_2)
	v_or_b32_e32 v5, v7, v5
	v_and_b32_e32 v6, 0xffff, v6
                                        ; implicit-def: $vgpr7
	s_delay_alu instid0(VALU_DEP_2) | instskip(NEXT) | instid1(VALU_DEP_1)
	v_lshlrev_b32_e32 v5, 16, v5
	v_or_b32_e32 v54, v6, v5
                                        ; implicit-def: $vgpr5
                                        ; implicit-def: $vgpr6
.LBB1290_109:
	s_wait_alu 0xfffe
	s_or_saveexec_b32 s1, s0
	v_mov_b32_e32 v53, 0
	s_wait_alu 0xfffe
	s_xor_b32 exec_lo, exec_lo, s1
	s_cbranch_execz .LBB1290_113
; %bb.110:
	v_add_nc_u32_e32 v8, s17, v45
	v_add_nc_u32_e32 v9, s19, v45
	s_mov_b32 s3, 0
	s_mov_b32 s4, exec_lo
	s_delay_alu instid0(VALU_DEP_2) | instskip(NEXT) | instid1(VALU_DEP_2)
	v_mul_lo_u32 v8, v8, s16
	v_mul_lo_u32 v9, v9, s18
	s_delay_alu instid0(VALU_DEP_1) | instskip(NEXT) | instid1(VALU_DEP_1)
	v_sub_nc_u32_e32 v8, v8, v9
	v_cmp_lt_u32_e32 vcc_lo, s20, v8
	v_cmpx_ge_u32_e64 s20, v8
	s_cbranch_execz .LBB1290_112
; %bb.111:
	v_add_nc_u32_e32 v8, s22, v45
	v_add_nc_u32_e32 v9, s38, v45
	s_delay_alu instid0(VALU_DEP_2) | instskip(NEXT) | instid1(VALU_DEP_2)
	v_mul_lo_u32 v8, v8, s21
	v_mul_lo_u32 v9, v9, s23
	s_delay_alu instid0(VALU_DEP_1) | instskip(NEXT) | instid1(VALU_DEP_1)
	v_sub_nc_u32_e32 v8, v8, v9
	v_cmp_lt_u32_e64 s0, s39, v8
	s_and_b32 s3, s0, exec_lo
.LBB1290_112:
	s_wait_alu 0xfffe
	s_or_b32 exec_lo, exec_lo, s4
	s_wait_alu 0xfffd
	v_cndmask_b32_e64 v8, 0, 1, vcc_lo
	v_lshlrev_b16 v5, 8, v5
	v_and_b32_e32 v7, 0xff, v7
	v_lshlrev_b16 v6, 8, v6
	v_cndmask_b32_e64 v53, 0, 1, s3
	s_delay_alu instid0(VALU_DEP_3) | instskip(NEXT) | instid1(VALU_DEP_3)
	v_or_b32_e32 v5, v7, v5
	v_or_b32_e32 v6, v8, v6
	s_delay_alu instid0(VALU_DEP_2) | instskip(NEXT) | instid1(VALU_DEP_2)
	v_lshlrev_b32_e32 v5, 16, v5
	v_and_b32_e32 v6, 0xffff, v6
	s_delay_alu instid0(VALU_DEP_1)
	v_or_b32_e32 v54, v6, v5
.LBB1290_113:
	s_or_b32 exec_lo, exec_lo, s1
.LBB1290_114:
	v_and_b32_e32 v77, 0xff, v47
	s_delay_alu instid0(VALU_DEP_2)
	v_bfe_u32 v78, v54, 8, 8
	v_bfe_u32 v74, v47, 8, 8
	;; [unrolled: 1-line block ×4, first 2 shown]
	v_lshrrev_b32_e32 v60, 24, v54
	v_lshrrev_b32_e32 v59, 24, v47
	v_and_b32_e32 v73, 0xff, v48
	v_and_b32_e32 v71, 0xff, v49
	v_bfe_u32 v72, v48, 8, 8
	v_add3_u32 v5, v74, v77, v76
	v_add3_u32 v6, v75, v78, v60
	v_bfe_u32 v69, v49, 8, 8
	v_bfe_u32 v70, v48, 16, 8
	;; [unrolled: 1-line block ×3, first 2 shown]
	v_lshrrev_b32_e32 v58, 24, v48
	v_add3_u32 v5, v5, v59, v71
	v_add3_u32 v6, v6, v73, v72
	v_lshrrev_b32_e32 v57, 24, v49
	v_and_b32_e32 v68, 0xff, v51
	v_and_b32_e32 v66, 0xff, v52
	v_bfe_u32 v67, v51, 8, 8
	v_add3_u32 v5, v5, v69, v65
	v_add3_u32 v6, v6, v70, v58
	v_bfe_u32 v63, v52, 8, 8
	v_bfe_u32 v64, v51, 16, 8
	;; [unrolled: 1-line block ×3, first 2 shown]
	v_lshrrev_b32_e32 v56, 24, v51
	v_add3_u32 v5, v5, v57, v66
	v_add3_u32 v6, v6, v68, v67
	v_mbcnt_lo_u32_b32 v79, -1, 0
	v_lshrrev_b32_e32 v55, 24, v52
	v_and_b32_e32 v61, 0xff, v50
	v_and_b32_e32 v7, 0xff, v54
	;; [unrolled: 1-line block ×3, first 2 shown]
	v_add3_u32 v5, v5, v63, v62
	v_add3_u32 v6, v6, v64, v56
	v_and_b32_e32 v81, 15, v79
	v_and_b32_e32 v83, 16, v79
	v_lshrrev_b32_e32 v80, 5, v0
	v_add3_u32 v84, v5, v55, v7
	v_add3_u32 v85, v6, v61, v8
	v_cmp_eq_u32_e64 s1, 0, v81
	v_cmp_lt_u32_e64 s0, 1, v81
	v_cmp_lt_u32_e64 s3, 3, v81
	v_or_b32_e32 v82, 31, v0
	s_cmp_lg_u32 s33, 0
	s_mov_b32 s4, -1
	v_cmp_lt_u32_e32 vcc_lo, 7, v81
	s_cbranch_scc0 .LBB1290_135
; %bb.115:
	v_mov_b32_dpp v6, v84 row_shr:1 row_mask:0xf bank_mask:0xf
	v_mov_b32_dpp v5, v85 row_shr:1 row_mask:0xf bank_mask:0xf
	s_mov_b32 s4, exec_lo
	s_delay_alu instid0(VALU_DEP_2) | instskip(SKIP_1) | instid1(VALU_DEP_1)
	v_add_nc_u32_e32 v6, v6, v84
	s_wait_alu 0xf1ff
	v_cndmask_b32_e64 v6, v6, v84, s1
	s_delay_alu instid0(VALU_DEP_1) | instskip(NEXT) | instid1(VALU_DEP_1)
	v_mov_b32_dpp v8, v6 row_shr:2 row_mask:0xf bank_mask:0xf
	v_add_nc_u32_e32 v8, v6, v8
	s_delay_alu instid0(VALU_DEP_1) | instskip(NEXT) | instid1(VALU_DEP_1)
	v_cndmask_b32_e64 v6, v6, v8, s0
	v_mov_b32_dpp v8, v6 row_shr:4 row_mask:0xf bank_mask:0xf
	s_delay_alu instid0(VALU_DEP_1) | instskip(NEXT) | instid1(VALU_DEP_1)
	v_add_nc_u32_e32 v8, v6, v8
	v_cndmask_b32_e64 v6, v6, v8, s3
	s_delay_alu instid0(VALU_DEP_1) | instskip(NEXT) | instid1(VALU_DEP_1)
	v_mov_b32_dpp v8, v6 row_shr:8 row_mask:0xf bank_mask:0xf
	v_add_nc_u32_e32 v8, v6, v8
	s_wait_alu 0xfffd
	s_delay_alu instid0(VALU_DEP_1) | instskip(NEXT) | instid1(VALU_DEP_1)
	v_dual_cndmask_b32 v6, v6, v8 :: v_dual_add_nc_u32 v5, v5, v85
	v_cndmask_b32_e64 v5, v5, v85, s1
	ds_swizzle_b32 v8, v6 offset:swizzle(BROADCAST,32,15)
	v_mov_b32_dpp v7, v5 row_shr:2 row_mask:0xf bank_mask:0xf
	s_delay_alu instid0(VALU_DEP_1) | instskip(NEXT) | instid1(VALU_DEP_1)
	v_add_nc_u32_e32 v7, v5, v7
	v_cndmask_b32_e64 v5, v5, v7, s0
	s_delay_alu instid0(VALU_DEP_1) | instskip(SKIP_2) | instid1(VALU_DEP_2)
	v_mov_b32_dpp v7, v5 row_shr:4 row_mask:0xf bank_mask:0xf
	s_wait_dscnt 0x0
	v_add_nc_u32_e32 v8, v6, v8
	v_add_nc_u32_e32 v7, v5, v7
	s_delay_alu instid0(VALU_DEP_1) | instskip(NEXT) | instid1(VALU_DEP_1)
	v_cndmask_b32_e64 v5, v5, v7, s3
	v_mov_b32_dpp v7, v5 row_shr:8 row_mask:0xf bank_mask:0xf
	s_delay_alu instid0(VALU_DEP_1) | instskip(NEXT) | instid1(VALU_DEP_1)
	v_add_nc_u32_e32 v7, v5, v7
	v_cndmask_b32_e32 v5, v5, v7, vcc_lo
	v_cmp_eq_u32_e32 vcc_lo, 0, v83
	ds_swizzle_b32 v7, v5 offset:swizzle(BROADCAST,32,15)
	s_wait_dscnt 0x0
	v_add_nc_u32_e32 v7, v5, v7
	v_cmpx_eq_u32_e64 v0, v82
; %bb.116:
	s_wait_alu 0xfffd
	s_delay_alu instid0(VALU_DEP_2)
	v_dual_cndmask_b32 v10, v7, v5 :: v_dual_lshlrev_b32 v11, 3, v80
	v_cndmask_b32_e32 v9, v8, v6, vcc_lo
	ds_store_b64 v11, v[9:10]
; %bb.117:
	s_wait_alu 0xfffe
	s_or_b32 exec_lo, exec_lo, s4
	s_delay_alu instid0(SALU_CYCLE_1)
	s_mov_b32 s4, exec_lo
	s_wait_loadcnt_dscnt 0x0
	s_barrier_signal -1
	s_barrier_wait -1
	global_inv scope:SCOPE_SE
	v_cmpx_gt_u32_e32 8, v0
	s_cbranch_execz .LBB1290_119
; %bb.118:
	v_lshlrev_b32_e32 v11, 3, v0
	v_and_b32_e32 v26, 7, v79
	ds_load_b64 v[9:10], v11
	v_cmp_eq_u32_e64 s3, 0, v26
	s_wait_dscnt 0x0
	v_mov_b32_dpp v12, v9 row_shr:1 row_mask:0xf bank_mask:0xf
	v_mov_b32_dpp v25, v10 row_shr:1 row_mask:0xf bank_mask:0xf
	s_delay_alu instid0(VALU_DEP_2) | instskip(NEXT) | instid1(VALU_DEP_2)
	v_add_nc_u32_e32 v12, v12, v9
	v_add_nc_u32_e32 v25, v25, v10
	s_wait_alu 0xf1ff
	s_delay_alu instid0(VALU_DEP_2) | instskip(NEXT) | instid1(VALU_DEP_2)
	v_cndmask_b32_e64 v9, v12, v9, s3
	v_cndmask_b32_e64 v10, v25, v10, s3
	v_cmp_lt_u32_e64 s3, 1, v26
	s_delay_alu instid0(VALU_DEP_3) | instskip(NEXT) | instid1(VALU_DEP_3)
	v_mov_b32_dpp v12, v9 row_shr:2 row_mask:0xf bank_mask:0xf
	v_mov_b32_dpp v25, v10 row_shr:2 row_mask:0xf bank_mask:0xf
	s_delay_alu instid0(VALU_DEP_2) | instskip(NEXT) | instid1(VALU_DEP_2)
	v_add_nc_u32_e32 v12, v9, v12
	v_add_nc_u32_e32 v25, v10, v25
	s_wait_alu 0xf1ff
	s_delay_alu instid0(VALU_DEP_2) | instskip(NEXT) | instid1(VALU_DEP_2)
	v_cndmask_b32_e64 v9, v9, v12, s3
	v_cndmask_b32_e64 v10, v10, v25, s3
	v_cmp_lt_u32_e64 s3, 3, v26
	s_delay_alu instid0(VALU_DEP_3) | instskip(NEXT) | instid1(VALU_DEP_3)
	v_mov_b32_dpp v12, v9 row_shr:4 row_mask:0xf bank_mask:0xf
	v_mov_b32_dpp v25, v10 row_shr:4 row_mask:0xf bank_mask:0xf
	s_wait_alu 0xf1ff
	s_delay_alu instid0(VALU_DEP_2) | instskip(NEXT) | instid1(VALU_DEP_2)
	v_cndmask_b32_e64 v12, 0, v12, s3
	v_cndmask_b32_e64 v25, 0, v25, s3
	s_delay_alu instid0(VALU_DEP_2) | instskip(NEXT) | instid1(VALU_DEP_2)
	v_add_nc_u32_e32 v9, v12, v9
	v_add_nc_u32_e32 v10, v25, v10
	ds_store_b64 v11, v[9:10]
.LBB1290_119:
	s_wait_alu 0xfffe
	s_or_b32 exec_lo, exec_lo, s4
	v_dual_cndmask_b32 v5, v7, v5 :: v_dual_cndmask_b32 v6, v8, v6
	s_mov_b32 s4, exec_lo
	v_cmp_gt_u32_e32 vcc_lo, 32, v0
	s_wait_loadcnt_dscnt 0x0
	s_barrier_signal -1
	s_barrier_wait -1
	global_inv scope:SCOPE_SE
                                        ; implicit-def: $vgpr25
	v_cmpx_lt_u32_e32 31, v0
	s_cbranch_execz .LBB1290_121
; %bb.120:
	v_lshl_add_u32 v7, v80, 3, -8
	ds_load_b64 v[25:26], v7
	s_wait_dscnt 0x0
	v_add_nc_u32_e32 v5, v26, v5
	v_add_nc_u32_e32 v6, v25, v6
.LBB1290_121:
	s_wait_alu 0xfffe
	s_or_b32 exec_lo, exec_lo, s4
	v_sub_co_u32 v7, s3, v79, 1
	s_delay_alu instid0(VALU_DEP_1) | instskip(SKIP_1) | instid1(VALU_DEP_1)
	v_cmp_gt_i32_e64 s4, 0, v7
	s_wait_alu 0xf1ff
	v_cndmask_b32_e64 v7, v7, v79, s4
	s_delay_alu instid0(VALU_DEP_1)
	v_lshlrev_b32_e32 v7, 2, v7
	ds_bpermute_b32 v86, v7, v6
	ds_bpermute_b32 v87, v7, v5
	s_and_saveexec_b32 s4, vcc_lo
	s_cbranch_execz .LBB1290_140
; %bb.122:
	v_mov_b32_e32 v8, 0
	ds_load_b64 v[5:6], v8 offset:56
	s_and_saveexec_b32 s5, s3
	s_cbranch_execz .LBB1290_124
; %bb.123:
	s_add_co_i32 s6, s33, 32
	s_mov_b32 s7, 0
	s_wait_alu 0xfffe
	s_lshl_b64 s[6:7], s[6:7], 4
	s_wait_alu 0xfffe
	s_add_nc_u64 s[6:7], s[36:37], s[6:7]
	s_wait_alu 0xfffe
	v_dual_mov_b32 v7, 1 :: v_dual_mov_b32 v10, s7
	v_mov_b32_e32 v9, s6
	s_wait_dscnt 0x0
	;;#ASMSTART
	global_store_b128 v[9:10], v[5:8] off scope:SCOPE_DEV	
s_wait_storecnt 0x0
	;;#ASMEND
.LBB1290_124:
	s_wait_alu 0xfffe
	s_or_b32 exec_lo, exec_lo, s5
	v_xad_u32 v27, v79, -1, s33
	s_mov_b32 s6, 0
	s_mov_b32 s5, exec_lo
	s_delay_alu instid0(VALU_DEP_1) | instskip(NEXT) | instid1(VALU_DEP_1)
	v_add_nc_u32_e32 v7, 32, v27
	v_lshlrev_b64_e32 v[7:8], 4, v[7:8]
	s_delay_alu instid0(VALU_DEP_1) | instskip(SKIP_1) | instid1(VALU_DEP_2)
	v_add_co_u32 v7, vcc_lo, s36, v7
	s_wait_alu 0xfffd
	v_add_co_ci_u32_e64 v8, null, s37, v8, vcc_lo
	;;#ASMSTART
	global_load_b128 v[9:12], v[7:8] off scope:SCOPE_DEV	
s_wait_loadcnt 0x0
	;;#ASMEND
	v_and_b32_e32 v12, 0xff, v11
	s_delay_alu instid0(VALU_DEP_1)
	v_cmpx_eq_u16_e32 0, v12
	s_cbranch_execz .LBB1290_127
.LBB1290_125:                           ; =>This Inner Loop Header: Depth=1
	;;#ASMSTART
	global_load_b128 v[9:12], v[7:8] off scope:SCOPE_DEV	
s_wait_loadcnt 0x0
	;;#ASMEND
	v_and_b32_e32 v12, 0xff, v11
	s_delay_alu instid0(VALU_DEP_1)
	v_cmp_ne_u16_e32 vcc_lo, 0, v12
	s_wait_alu 0xfffe
	s_or_b32 s6, vcc_lo, s6
	s_wait_alu 0xfffe
	s_and_not1_b32 exec_lo, exec_lo, s6
	s_cbranch_execnz .LBB1290_125
; %bb.126:
	s_or_b32 exec_lo, exec_lo, s6
.LBB1290_127:
	s_wait_alu 0xfffe
	s_or_b32 exec_lo, exec_lo, s5
	v_cmp_ne_u32_e32 vcc_lo, 31, v79
	v_lshlrev_b32_e64 v89, v79, -1
	v_add_nc_u32_e32 v91, 2, v79
	v_add_nc_u32_e32 v93, 4, v79
	v_add_nc_u32_e32 v95, 8, v79
	s_wait_alu 0xfffd
	v_add_co_ci_u32_e64 v7, null, 0, v79, vcc_lo
	v_lshl_or_b32 v96, v79, 2, 64
	v_add_nc_u32_e32 v97, 16, v79
	s_delay_alu instid0(VALU_DEP_3) | instskip(SKIP_4) | instid1(VALU_DEP_1)
	v_lshlrev_b32_e32 v88, 2, v7
	ds_bpermute_b32 v8, v88, v10
	s_wait_dscnt 0x0
	v_add_nc_u32_e32 v8, v8, v10
	v_and_b32_e32 v7, 0xff, v11
	v_cmp_eq_u16_e32 vcc_lo, 2, v7
	ds_bpermute_b32 v7, v88, v9
	s_wait_dscnt 0x0
	v_add_nc_u32_e32 v7, v7, v9
	s_wait_alu 0xfffd
	v_and_b32_e32 v12, vcc_lo, v89
	v_cmp_gt_u32_e32 vcc_lo, 30, v79
	s_delay_alu instid0(VALU_DEP_2) | instskip(SKIP_2) | instid1(VALU_DEP_2)
	v_or_b32_e32 v12, 0x80000000, v12
	s_wait_alu 0xfffd
	v_cndmask_b32_e64 v28, 0, 2, vcc_lo
	v_ctz_i32_b32_e32 v12, v12
	s_delay_alu instid0(VALU_DEP_2) | instskip(NEXT) | instid1(VALU_DEP_2)
	v_add_lshl_u32 v90, v28, v79, 2
	v_cmp_lt_u32_e32 vcc_lo, v79, v12
	s_wait_alu 0xfffd
	v_dual_cndmask_b32 v8, v10, v8 :: v_dual_cndmask_b32 v7, v9, v7
	v_cmp_gt_u32_e32 vcc_lo, 28, v79
	ds_bpermute_b32 v9, v90, v8
	ds_bpermute_b32 v10, v90, v7
	s_wait_alu 0xfffd
	v_cndmask_b32_e64 v28, 0, 4, vcc_lo
	v_cmp_gt_u32_e32 vcc_lo, v91, v12
	s_delay_alu instid0(VALU_DEP_2)
	v_add_lshl_u32 v92, v28, v79, 2
	s_wait_dscnt 0x1
	v_add_nc_u32_e32 v9, v8, v9
	s_wait_dscnt 0x0
	v_add_nc_u32_e32 v10, v7, v10
	s_wait_alu 0xfffd
	s_delay_alu instid0(VALU_DEP_1)
	v_dual_cndmask_b32 v8, v9, v8 :: v_dual_cndmask_b32 v7, v10, v7
	v_cmp_gt_u32_e32 vcc_lo, 24, v79
	ds_bpermute_b32 v9, v92, v8
	ds_bpermute_b32 v10, v92, v7
	s_wait_alu 0xfffd
	v_cndmask_b32_e64 v28, 0, 8, vcc_lo
	v_cmp_gt_u32_e32 vcc_lo, v93, v12
	s_delay_alu instid0(VALU_DEP_2)
	v_add_lshl_u32 v94, v28, v79, 2
	s_wait_dscnt 0x1
	v_dual_mov_b32 v28, 0 :: v_dual_add_nc_u32 v9, v8, v9
	s_wait_dscnt 0x0
	v_add_nc_u32_e32 v10, v7, v10
	s_wait_alu 0xfffd
	s_delay_alu instid0(VALU_DEP_1)
	v_dual_cndmask_b32 v8, v9, v8 :: v_dual_cndmask_b32 v7, v10, v7
	v_cmp_gt_u32_e32 vcc_lo, v95, v12
	ds_bpermute_b32 v9, v94, v8
	ds_bpermute_b32 v10, v94, v7
	s_wait_dscnt 0x1
	v_add_nc_u32_e32 v9, v8, v9
	s_wait_dscnt 0x0
	v_add_nc_u32_e32 v10, v7, v10
	s_wait_alu 0xfffd
	s_delay_alu instid0(VALU_DEP_1)
	v_dual_cndmask_b32 v8, v9, v8 :: v_dual_cndmask_b32 v7, v10, v7
	v_cmp_le_u32_e32 vcc_lo, v97, v12
	ds_bpermute_b32 v10, v96, v8
	ds_bpermute_b32 v9, v96, v7
	s_wait_dscnt 0x0
	s_wait_alu 0xfffd
	v_dual_cndmask_b32 v10, 0, v10 :: v_dual_cndmask_b32 v9, 0, v9
	s_delay_alu instid0(VALU_DEP_1) | instskip(NEXT) | instid1(VALU_DEP_2)
	v_add_nc_u32_e32 v10, v10, v8
	v_add_nc_u32_e32 v9, v9, v7
	s_branch .LBB1290_131
.LBB1290_128:                           ;   in Loop: Header=BB1290_131 Depth=1
	s_or_b32 exec_lo, exec_lo, s6
.LBB1290_129:                           ;   in Loop: Header=BB1290_131 Depth=1
	s_wait_alu 0xfffe
	s_or_b32 exec_lo, exec_lo, s5
	ds_bpermute_b32 v12, v88, v9
	ds_bpermute_b32 v29, v88, v10
	v_subrev_nc_u32_e32 v27, 32, v27
	s_mov_b32 s5, 0
	s_wait_dscnt 0x1
	v_add_nc_u32_e32 v12, v12, v9
	v_and_b32_e32 v30, 0xff, v11
	s_wait_dscnt 0x0
	v_add_nc_u32_e32 v29, v29, v10
	s_delay_alu instid0(VALU_DEP_2) | instskip(SKIP_2) | instid1(VALU_DEP_1)
	v_cmp_eq_u16_e32 vcc_lo, 2, v30
	s_wait_alu 0xfffd
	v_and_or_b32 v30, vcc_lo, v89, 0x80000000
	v_ctz_i32_b32_e32 v30, v30
	s_delay_alu instid0(VALU_DEP_1)
	v_cmp_lt_u32_e32 vcc_lo, v79, v30
	s_wait_alu 0xfffd
	v_dual_cndmask_b32 v10, v10, v29 :: v_dual_cndmask_b32 v9, v9, v12
	v_cmp_gt_u32_e32 vcc_lo, v91, v30
	ds_bpermute_b32 v29, v90, v10
	ds_bpermute_b32 v12, v90, v9
	s_wait_dscnt 0x1
	v_add_nc_u32_e32 v29, v10, v29
	s_wait_dscnt 0x0
	v_add_nc_u32_e32 v12, v9, v12
	s_wait_alu 0xfffd
	s_delay_alu instid0(VALU_DEP_1)
	v_dual_cndmask_b32 v10, v29, v10 :: v_dual_cndmask_b32 v9, v12, v9
	v_cmp_gt_u32_e32 vcc_lo, v93, v30
	ds_bpermute_b32 v29, v92, v10
	ds_bpermute_b32 v12, v92, v9
	s_wait_dscnt 0x1
	v_add_nc_u32_e32 v29, v10, v29
	s_wait_dscnt 0x0
	v_add_nc_u32_e32 v12, v9, v12
	s_wait_alu 0xfffd
	s_delay_alu instid0(VALU_DEP_1)
	;; [unrolled: 10-line block ×3, first 2 shown]
	v_dual_cndmask_b32 v10, v29, v10 :: v_dual_cndmask_b32 v9, v12, v9
	v_cmp_le_u32_e32 vcc_lo, v97, v30
	ds_bpermute_b32 v29, v96, v10
	ds_bpermute_b32 v12, v96, v9
	s_wait_dscnt 0x0
	s_wait_alu 0xfffd
	v_dual_cndmask_b32 v29, 0, v29 :: v_dual_cndmask_b32 v12, 0, v12
	s_delay_alu instid0(VALU_DEP_1) | instskip(NEXT) | instid1(VALU_DEP_2)
	v_add3_u32 v10, v10, v8, v29
	v_add3_u32 v9, v9, v7, v12
.LBB1290_130:                           ;   in Loop: Header=BB1290_131 Depth=1
	s_wait_alu 0xfffe
	s_and_b32 vcc_lo, exec_lo, s5
	s_wait_alu 0xfffe
	s_cbranch_vccnz .LBB1290_136
.LBB1290_131:                           ; =>This Loop Header: Depth=1
                                        ;     Child Loop BB1290_134 Depth 2
	v_and_b32_e32 v7, 0xff, v11
	s_mov_b32 s5, -1
                                        ; implicit-def: $vgpr11
	s_delay_alu instid0(VALU_DEP_1)
	v_cmp_ne_u16_e32 vcc_lo, 2, v7
	v_dual_mov_b32 v7, v9 :: v_dual_mov_b32 v8, v10
                                        ; implicit-def: $vgpr9_vgpr10
	s_cmp_lg_u32 vcc_lo, exec_lo
	s_cbranch_scc1 .LBB1290_130
; %bb.132:                              ;   in Loop: Header=BB1290_131 Depth=1
	v_lshlrev_b64_e32 v[9:10], 4, v[27:28]
	s_mov_b32 s5, exec_lo
	s_delay_alu instid0(VALU_DEP_1) | instskip(SKIP_1) | instid1(VALU_DEP_2)
	v_add_co_u32 v29, vcc_lo, s36, v9
	s_wait_alu 0xfffd
	v_add_co_ci_u32_e64 v30, null, s37, v10, vcc_lo
	;;#ASMSTART
	global_load_b128 v[9:12], v[29:30] off scope:SCOPE_DEV	
s_wait_loadcnt 0x0
	;;#ASMEND
	v_and_b32_e32 v12, 0xff, v11
	s_delay_alu instid0(VALU_DEP_1)
	v_cmpx_eq_u16_e32 0, v12
	s_cbranch_execz .LBB1290_129
; %bb.133:                              ;   in Loop: Header=BB1290_131 Depth=1
	s_mov_b32 s6, 0
.LBB1290_134:                           ;   Parent Loop BB1290_131 Depth=1
                                        ; =>  This Inner Loop Header: Depth=2
	;;#ASMSTART
	global_load_b128 v[9:12], v[29:30] off scope:SCOPE_DEV	
s_wait_loadcnt 0x0
	;;#ASMEND
	v_and_b32_e32 v12, 0xff, v11
	s_delay_alu instid0(VALU_DEP_1)
	v_cmp_ne_u16_e32 vcc_lo, 0, v12
	s_wait_alu 0xfffe
	s_or_b32 s6, vcc_lo, s6
	s_wait_alu 0xfffe
	s_and_not1_b32 exec_lo, exec_lo, s6
	s_cbranch_execnz .LBB1290_134
	s_branch .LBB1290_128
.LBB1290_135:
                                        ; implicit-def: $vgpr29
                                        ; implicit-def: $vgpr7
                                        ; implicit-def: $vgpr86
	s_wait_alu 0xfffe
	s_and_b32 vcc_lo, exec_lo, s4
	s_wait_alu 0xfffe
	s_cbranch_vccnz .LBB1290_141
	s_branch .LBB1290_150
.LBB1290_136:
	s_and_saveexec_b32 s5, s3
	s_cbranch_execnz .LBB1290_378
; %bb.137:
	s_wait_alu 0xfffe
	s_or_b32 exec_lo, exec_lo, s5
	s_and_saveexec_b32 s5, s3
	s_cbranch_execnz .LBB1290_379
.LBB1290_138:
	s_wait_alu 0xfffe
	s_or_b32 exec_lo, exec_lo, s5
	s_delay_alu instid0(SALU_CYCLE_1)
	s_and_b32 exec_lo, exec_lo, s2
.LBB1290_139:
	v_mov_b32_e32 v5, 0
	ds_store_b64 v5, v[7:8] offset:56
.LBB1290_140:
	s_wait_alu 0xfffe
	s_or_b32 exec_lo, exec_lo, s4
	s_wait_dscnt 0x1
	v_cndmask_b32_e64 v12, v86, v25, s3
	v_mov_b32_e32 v5, 0
	s_wait_loadcnt_dscnt 0x0
	s_barrier_signal -1
	s_barrier_wait -1
	global_inv scope:SCOPE_SE
	ds_load_b64 v[9:10], v5 offset:56
	s_wait_loadcnt_dscnt 0x0
	s_barrier_signal -1
	s_barrier_wait -1
	global_inv scope:SCOPE_SE
	v_cndmask_b32_e64 v11, v87, v26, s3
	v_add_nc_u32_e32 v12, v9, v12
	ds_load_b128 v[5:8], v5 offset:13312
	v_add_nc_u32_e32 v11, v10, v11
	v_cndmask_b32_e64 v86, v12, v9, s2
	s_delay_alu instid0(VALU_DEP_2)
	v_cndmask_b32_e64 v29, v11, v10, s2
	s_branch .LBB1290_150
.LBB1290_141:
	s_wait_dscnt 0x0
	v_mov_b32_dpp v5, v84 row_shr:1 row_mask:0xf bank_mask:0xf
	v_cmp_lt_u32_e32 vcc_lo, 3, v81
	v_mov_b32_dpp v6, v85 row_shr:1 row_mask:0xf bank_mask:0xf
	s_delay_alu instid0(VALU_DEP_3) | instskip(NEXT) | instid1(VALU_DEP_1)
	v_add_nc_u32_e32 v5, v5, v84
	v_cndmask_b32_e64 v5, v5, v84, s1
	s_delay_alu instid0(VALU_DEP_1) | instskip(NEXT) | instid1(VALU_DEP_1)
	v_mov_b32_dpp v7, v5 row_shr:2 row_mask:0xf bank_mask:0xf
	v_add_nc_u32_e32 v7, v5, v7
	s_delay_alu instid0(VALU_DEP_1) | instskip(NEXT) | instid1(VALU_DEP_1)
	v_cndmask_b32_e64 v5, v5, v7, s0
	v_mov_b32_dpp v7, v5 row_shr:4 row_mask:0xf bank_mask:0xf
	s_delay_alu instid0(VALU_DEP_1) | instskip(SKIP_1) | instid1(VALU_DEP_1)
	v_add_nc_u32_e32 v7, v5, v7
	s_wait_alu 0xfffd
	v_dual_cndmask_b32 v7, v5, v7 :: v_dual_add_nc_u32 v6, v6, v85
	s_delay_alu instid0(VALU_DEP_1) | instskip(SKIP_1) | instid1(VALU_DEP_2)
	v_cndmask_b32_e64 v6, v6, v85, s1
	s_mov_b32 s1, exec_lo
	v_mov_b32_dpp v5, v7 row_shr:8 row_mask:0xf bank_mask:0xf
	s_delay_alu instid0(VALU_DEP_2) | instskip(NEXT) | instid1(VALU_DEP_2)
	v_mov_b32_dpp v8, v6 row_shr:2 row_mask:0xf bank_mask:0xf
	v_add_nc_u32_e32 v9, v7, v5
	s_delay_alu instid0(VALU_DEP_2) | instskip(NEXT) | instid1(VALU_DEP_1)
	v_add_nc_u32_e32 v8, v6, v8
	v_cndmask_b32_e64 v6, v6, v8, s0
	s_delay_alu instid0(VALU_DEP_1) | instskip(NEXT) | instid1(VALU_DEP_1)
	v_mov_b32_dpp v8, v6 row_shr:4 row_mask:0xf bank_mask:0xf
	v_add_nc_u32_e32 v8, v6, v8
	s_delay_alu instid0(VALU_DEP_1) | instskip(SKIP_1) | instid1(VALU_DEP_2)
	v_cndmask_b32_e32 v6, v6, v8, vcc_lo
	v_cmp_lt_u32_e32 vcc_lo, 7, v81
	v_mov_b32_dpp v8, v6 row_shr:8 row_mask:0xf bank_mask:0xf
	s_delay_alu instid0(VALU_DEP_1) | instskip(SKIP_1) | instid1(VALU_DEP_1)
	v_add_nc_u32_e32 v5, v6, v8
	s_wait_alu 0xfffd
	v_cndmask_b32_e32 v5, v6, v5, vcc_lo
	v_cndmask_b32_e32 v6, v7, v9, vcc_lo
	v_cmp_eq_u32_e32 vcc_lo, 0, v83
	ds_swizzle_b32 v7, v5 offset:swizzle(BROADCAST,32,15)
	ds_swizzle_b32 v8, v6 offset:swizzle(BROADCAST,32,15)
	s_wait_dscnt 0x1
	v_add_nc_u32_e32 v7, v5, v7
	s_wait_dscnt 0x0
	v_add_nc_u32_e32 v8, v6, v8
	v_cmpx_eq_u32_e64 v0, v82
; %bb.142:
	s_wait_alu 0xfffd
	s_delay_alu instid0(VALU_DEP_2)
	v_dual_cndmask_b32 v9, v8, v6 :: v_dual_cndmask_b32 v10, v7, v5
	v_lshlrev_b32_e32 v11, 3, v80
	ds_store_b64 v11, v[9:10]
; %bb.143:
	s_wait_alu 0xfffe
	s_or_b32 exec_lo, exec_lo, s1
	s_delay_alu instid0(SALU_CYCLE_1)
	s_mov_b32 s1, exec_lo
	s_wait_loadcnt_dscnt 0x0
	s_barrier_signal -1
	s_barrier_wait -1
	global_inv scope:SCOPE_SE
	v_cmpx_gt_u32_e32 8, v0
	s_cbranch_execz .LBB1290_145
; %bb.144:
	v_lshlrev_b32_e32 v11, 3, v0
	v_and_b32_e32 v26, 7, v79
	ds_load_b64 v[9:10], v11
	v_cmp_eq_u32_e64 s0, 0, v26
	s_wait_dscnt 0x0
	v_mov_b32_dpp v12, v9 row_shr:1 row_mask:0xf bank_mask:0xf
	v_mov_b32_dpp v25, v10 row_shr:1 row_mask:0xf bank_mask:0xf
	s_delay_alu instid0(VALU_DEP_2) | instskip(NEXT) | instid1(VALU_DEP_2)
	v_add_nc_u32_e32 v12, v12, v9
	v_add_nc_u32_e32 v25, v25, v10
	s_wait_alu 0xf1ff
	s_delay_alu instid0(VALU_DEP_2) | instskip(NEXT) | instid1(VALU_DEP_2)
	v_cndmask_b32_e64 v9, v12, v9, s0
	v_cndmask_b32_e64 v10, v25, v10, s0
	v_cmp_lt_u32_e64 s0, 1, v26
	s_delay_alu instid0(VALU_DEP_3) | instskip(NEXT) | instid1(VALU_DEP_3)
	v_mov_b32_dpp v12, v9 row_shr:2 row_mask:0xf bank_mask:0xf
	v_mov_b32_dpp v25, v10 row_shr:2 row_mask:0xf bank_mask:0xf
	s_delay_alu instid0(VALU_DEP_2) | instskip(NEXT) | instid1(VALU_DEP_2)
	v_add_nc_u32_e32 v12, v9, v12
	v_add_nc_u32_e32 v25, v10, v25
	s_wait_alu 0xf1ff
	s_delay_alu instid0(VALU_DEP_2) | instskip(NEXT) | instid1(VALU_DEP_2)
	v_cndmask_b32_e64 v9, v9, v12, s0
	v_cndmask_b32_e64 v10, v10, v25, s0
	v_cmp_lt_u32_e64 s0, 3, v26
	s_delay_alu instid0(VALU_DEP_3) | instskip(NEXT) | instid1(VALU_DEP_3)
	v_mov_b32_dpp v12, v9 row_shr:4 row_mask:0xf bank_mask:0xf
	v_mov_b32_dpp v25, v10 row_shr:4 row_mask:0xf bank_mask:0xf
	s_wait_alu 0xf1ff
	s_delay_alu instid0(VALU_DEP_2) | instskip(NEXT) | instid1(VALU_DEP_2)
	v_cndmask_b32_e64 v12, 0, v12, s0
	v_cndmask_b32_e64 v25, 0, v25, s0
	s_delay_alu instid0(VALU_DEP_2) | instskip(NEXT) | instid1(VALU_DEP_2)
	v_add_nc_u32_e32 v9, v12, v9
	v_add_nc_u32_e32 v10, v25, v10
	ds_store_b64 v11, v[9:10]
.LBB1290_145:
	s_wait_alu 0xfffe
	s_or_b32 exec_lo, exec_lo, s1
	v_dual_mov_b32 v11, 0 :: v_dual_mov_b32 v10, 0
	v_mov_b32_e32 v9, 0
	s_mov_b32 s1, exec_lo
	s_wait_loadcnt_dscnt 0x0
	s_barrier_signal -1
	s_barrier_wait -1
	global_inv scope:SCOPE_SE
	v_cmpx_lt_u32_e32 31, v0
; %bb.146:
	v_lshl_add_u32 v9, v80, 3, -8
	ds_load_b64 v[9:10], v9
; %bb.147:
	s_wait_alu 0xfffe
	s_or_b32 exec_lo, exec_lo, s1
	v_sub_co_u32 v12, s0, v79, 1
	v_dual_cndmask_b32 v6, v8, v6 :: v_dual_cndmask_b32 v5, v7, v5
	s_delay_alu instid0(VALU_DEP_2) | instskip(SKIP_1) | instid1(VALU_DEP_2)
	v_cmp_gt_i32_e64 s1, 0, v12
	s_wait_dscnt 0x0
	v_add_nc_u32_e32 v6, v9, v6
	s_delay_alu instid0(VALU_DEP_3) | instskip(SKIP_2) | instid1(VALU_DEP_1)
	v_add_nc_u32_e32 v5, v10, v5
	s_wait_alu 0xf1ff
	v_cndmask_b32_e64 v8, v12, v79, s1
	v_lshlrev_b32_e32 v7, 2, v8
	ds_bpermute_b32 v12, v7, v6
	ds_bpermute_b32 v25, v7, v5
	ds_load_b64 v[5:6], v11 offset:56
	s_and_saveexec_b32 s1, s2
	s_cbranch_execz .LBB1290_149
; %bb.148:
	s_add_nc_u64 s[4:5], s[36:37], 0x200
	v_dual_mov_b32 v7, 2 :: v_dual_mov_b32 v8, 0
	s_wait_alu 0xfffe
	v_dual_mov_b32 v27, s5 :: v_dual_mov_b32 v26, s4
	s_wait_dscnt 0x0
	;;#ASMSTART
	global_store_b128 v[26:27], v[5:8] off scope:SCOPE_DEV	
s_wait_storecnt 0x0
	;;#ASMEND
.LBB1290_149:
	s_wait_alu 0xfffe
	s_or_b32 exec_lo, exec_lo, s1
	s_wait_dscnt 0x1
	v_cndmask_b32_e64 v7, v25, v10, s0
	v_cndmask_b32_e64 v9, v12, v9, s0
	v_mov_b32_e32 v8, 0
	s_wait_loadcnt_dscnt 0x0
	s_barrier_signal -1
	v_cndmask_b32_e64 v29, v7, 0, s2
	v_cndmask_b32_e64 v86, v9, 0, s2
	v_mov_b32_e32 v7, 0
	s_barrier_wait -1
	global_inv scope:SCOPE_SE
.LBB1290_150:
	v_lshrrev_b32_e32 v81, 8, v54
	s_wait_dscnt 0x0
	v_add_co_u32 v1, vcc_lo, v1, v7
	s_wait_alu 0xfffd
	v_add_co_ci_u32_e64 v2, null, 0, v2, vcc_lo
	v_and_b32_e32 v81, 1, v81
	v_sub_co_u32 v84, vcc_lo, v3, v5
	s_wait_alu 0xfffd
	v_subrev_co_ci_u32_e64 v85, null, 0, v4, vcc_lo
	s_delay_alu instid0(VALU_DEP_3)
	v_cmp_eq_u32_e32 vcc_lo, 1, v81
	v_add_nc_u32_e32 v78, v29, v78
	v_sub_nc_u32_e32 v29, v29, v8
	v_lshlrev_b32_e32 v87, 1, v5
	v_lshrrev_b32_e32 v79, 16, v54
	v_lshrrev_b32_e32 v80, 8, v47
	v_add_nc_u32_e32 v75, v78, v75
	v_sub_nc_u32_e32 v78, v78, v8
	v_add_nc_u32_e32 v29, v29, v5
	v_add3_u32 v90, v87, v6, v46
	v_and_b32_e32 v79, 1, v79
	v_lshrrev_b32_e32 v30, 16, v47
	v_add_nc_u32_e32 v78, v78, v5
	v_add_nc_u32_e32 v77, v86, v77
	v_sub_nc_u32_e32 v86, v86, v7
	v_and_b32_e32 v47, 1, v47
	v_and_b32_e32 v80, 1, v80
	;; [unrolled: 1-line block ×3, first 2 shown]
	v_add_nc_u32_e32 v74, v77, v74
	v_sub_nc_u32_e32 v77, v77, v7
	v_add_nc_u32_e32 v46, v86, v29
	v_lshrrev_b32_e32 v28, 8, v48
	v_lshrrev_b32_e32 v27, 16, v48
	v_and_b32_e32 v48, 1, v48
	v_add_nc_u32_e32 v91, v78, v77
	v_sub_nc_u32_e32 v46, v90, v46
	v_and_b32_e32 v28, 1, v28
	v_lshrrev_b32_e32 v25, 16, v49
	v_lshrrev_b32_e32 v26, 8, v49
	v_sub_nc_u32_e32 v91, v90, v91
	s_wait_alu 0xfffd
	v_cndmask_b32_e32 v29, v46, v29, vcc_lo
	v_cmp_eq_u32_e32 vcc_lo, 1, v79
	v_lshrrev_b32_e32 v12, 8, v51
	v_and_b32_e32 v26, 1, v26
	v_add_nc_u32_e32 v91, 1, v91
	v_lshrrev_b32_e32 v10, 16, v51
	v_lshrrev_b32_e32 v11, 8, v52
	v_and_b32_e32 v12, 1, v12
	v_lshrrev_b32_e32 v9, 16, v52
	s_wait_alu 0xfffd
	v_cndmask_b32_e32 v46, v91, v78, vcc_lo
	v_cmp_eq_u32_e32 vcc_lo, 1, v47
	v_add_nc_u32_e32 v82, v75, v60
	v_sub_nc_u32_e32 v75, v75, v8
	v_and_b32_e32 v60, 1, v60
	v_and_b32_e32 v10, 1, v10
	s_wait_alu 0xfffd
	v_cndmask_b32_e32 v29, v29, v86, vcc_lo
	v_cmp_eq_u32_e32 vcc_lo, 1, v80
	v_add_nc_u32_e32 v75, v75, v5
	v_sub_nc_u32_e32 v80, v82, v8
	v_and_b32_e32 v11, 1, v11
	v_lshlrev_b32_e32 v29, 2, v29
	s_wait_alu 0xfffd
	v_cndmask_b32_e32 v77, v46, v77, vcc_lo
	v_add_nc_u32_e32 v76, v74, v76
	v_sub_nc_u32_e32 v74, v74, v7
	v_add_co_u32 v46, vcc_lo, v84, v8
	s_wait_alu 0xfffd
	v_add_co_ci_u32_e64 v47, null, 0, v85, vcc_lo
	s_delay_alu instid0(VALU_DEP_3)
	v_add_nc_u32_e32 v79, v75, v74
	v_cmp_eq_u32_e32 vcc_lo, 1, v60
	v_add_nc_u32_e32 v83, v76, v59
	v_lshlrev_b32_e32 v77, 2, v77
	ds_store_b32 v29, v23
	ds_store_b32 v77, v24
	v_sub_nc_u32_e32 v79, v90, v79
	v_and_b32_e32 v9, 1, v9
	s_delay_alu instid0(VALU_DEP_2) | instskip(SKIP_1) | instid1(VALU_DEP_1)
	v_add_nc_u32_e32 v79, 2, v79
	s_wait_alu 0xfffd
	v_dual_cndmask_b32 v60, v79, v75 :: v_dual_add_nc_u32 v73, v82, v73
	s_delay_alu instid0(VALU_DEP_1)
	v_add_nc_u32_e32 v72, v73, v72
	v_sub_nc_u32_e32 v75, v76, v7
	v_sub_nc_u32_e32 v73, v73, v8
	v_add_nc_u32_e32 v76, v80, v5
	v_cmp_eq_u32_e32 vcc_lo, 1, v30
	s_wait_alu 0xfffd
	s_delay_alu instid0(VALU_DEP_3)
	v_dual_cndmask_b32 v30, v60, v74 :: v_dual_add_nc_u32 v73, v73, v5
	v_sub_nc_u32_e32 v60, v83, v7
	v_add_nc_u32_e32 v74, v75, v76
	v_cmp_eq_u32_e32 vcc_lo, 1, v48
	v_and_b32_e32 v48, 1, v49
	v_lshlrev_b32_e32 v23, 2, v30
	v_add_nc_u32_e32 v24, v60, v73
	v_sub_nc_u32_e32 v29, v90, v74
	v_and_b32_e32 v30, 1, v59
	v_sub_nc_u32_e32 v59, v72, v8
	ds_store_b32 v23, v21
	v_sub_nc_u32_e32 v24, v90, v24
	v_add_nc_u32_e32 v29, 3, v29
	v_and_b32_e32 v23, 1, v27
	v_add_nc_u32_e32 v59, v59, v5
	s_delay_alu instid0(VALU_DEP_4)
	v_add_nc_u32_e32 v24, 4, v24
	s_wait_alu 0xfffd
	v_cndmask_b32_e32 v29, v29, v76, vcc_lo
	v_cmp_eq_u32_e32 vcc_lo, 1, v28
	s_wait_alu 0xfffd
	v_dual_cndmask_b32 v24, v24, v73 :: v_dual_add_nc_u32 v71, v83, v71
	s_delay_alu instid0(VALU_DEP_1) | instskip(SKIP_2) | instid1(VALU_DEP_3)
	v_add_nc_u32_e32 v69, v71, v69
	v_sub_nc_u32_e32 v71, v71, v7
	v_cmp_eq_u32_e32 vcc_lo, 1, v30
	v_add_nc_u32_e32 v65, v69, v65
	s_delay_alu instid0(VALU_DEP_3)
	v_add_nc_u32_e32 v49, v71, v59
	s_wait_alu 0xfffd
	v_cndmask_b32_e32 v28, v29, v75, vcc_lo
	v_cmp_eq_u32_e32 vcc_lo, 1, v48
	v_add_nc_u32_e32 v89, v65, v57
	v_sub_nc_u32_e32 v29, v90, v49
	s_delay_alu instid0(VALU_DEP_4)
	v_lshlrev_b32_e32 v21, 2, v28
	s_wait_alu 0xfffd
	v_cndmask_b32_e32 v24, v24, v60, vcc_lo
	v_cmp_eq_u32_e32 vcc_lo, 1, v23
	v_sub_nc_u32_e32 v48, v89, v7
	v_add_nc_u32_e32 v27, 5, v29
	v_add_nc_u32_e32 v66, v89, v66
	v_lshlrev_b32_e32 v24, 2, v24
	ds_store_b32 v21, v22
	ds_store_b32 v24, v19
	s_wait_alu 0xfffd
	v_cndmask_b32_e32 v23, v27, v59, vcc_lo
	v_cmp_eq_u32_e32 vcc_lo, 1, v26
	v_sub_nc_u32_e32 v27, v69, v7
	v_sub_nc_u32_e32 v26, v65, v7
	v_and_b32_e32 v24, 1, v58
	v_add_nc_u32_e32 v63, v66, v63
	s_wait_alu 0xfffd
	v_dual_cndmask_b32 v23, v23, v71 :: v_dual_add_nc_u32 v70, v72, v70
	s_delay_alu instid0(VALU_DEP_3) | instskip(SKIP_1) | instid1(VALU_DEP_3)
	v_cmp_eq_u32_e32 vcc_lo, 1, v24
	v_and_b32_e32 v24, 1, v57
	v_lshlrev_b32_e32 v19, 2, v23
	s_delay_alu instid0(VALU_DEP_4) | instskip(SKIP_3) | instid1(VALU_DEP_4)
	v_add_nc_u32_e32 v88, v70, v58
	v_sub_nc_u32_e32 v28, v70, v8
	v_and_b32_e32 v23, 1, v25
	v_add_nc_u32_e32 v62, v63, v62
	v_sub_nc_u32_e32 v29, v88, v8
	s_delay_alu instid0(VALU_DEP_4) | instskip(SKIP_1) | instid1(VALU_DEP_4)
	v_add_nc_u32_e32 v28, v28, v5
	v_add_nc_u32_e32 v68, v88, v68
	;; [unrolled: 1-line block ×3, first 2 shown]
	s_delay_alu instid0(VALU_DEP_4) | instskip(NEXT) | instid1(VALU_DEP_4)
	v_add_nc_u32_e32 v29, v29, v5
	v_add_nc_u32_e32 v30, v27, v28
	s_delay_alu instid0(VALU_DEP_4) | instskip(SKIP_1) | instid1(VALU_DEP_4)
	v_sub_nc_u32_e32 v25, v68, v8
	v_add_nc_u32_e32 v67, v68, v67
	v_add_nc_u32_e32 v21, v26, v29
	s_delay_alu instid0(VALU_DEP_4)
	v_sub_nc_u32_e32 v22, v90, v30
	v_and_b32_e32 v30, 1, v51
	v_add_nc_u32_e32 v25, v25, v5
	v_add_nc_u32_e32 v64, v67, v64
	v_sub_nc_u32_e32 v21, v90, v21
	v_add_nc_u32_e32 v22, 6, v22
	s_delay_alu instid0(VALU_DEP_3) | instskip(SKIP_1) | instid1(VALU_DEP_2)
	v_add_nc_u32_e32 v92, v64, v56
	s_wait_alu 0xfffd
	v_dual_cndmask_b32 v22, v22, v28 :: v_dual_add_nc_u32 v21, 7, v21
	v_cmp_eq_u32_e32 vcc_lo, 1, v30
	v_add_nc_u32_e32 v28, v48, v25
	v_add_nc_u32_e32 v61, v92, v61
	s_wait_alu 0xfffd
	v_cndmask_b32_e32 v21, v21, v29, vcc_lo
	v_cmp_eq_u32_e32 vcc_lo, 1, v23
	v_sub_nc_u32_e32 v23, v90, v28
	s_wait_alu 0xfffd
	v_cndmask_b32_e32 v22, v22, v27, vcc_lo
	v_cmp_eq_u32_e32 vcc_lo, 1, v24
	v_sub_nc_u32_e32 v24, v67, v8
	v_add_nc_u32_e32 v23, 8, v23
	v_sub_nc_u32_e32 v27, v66, v7
	v_lshlrev_b32_e32 v22, 2, v22
	s_wait_alu 0xfffd
	v_dual_cndmask_b32 v21, v21, v26 :: v_dual_add_nc_u32 v24, v24, v5
	v_cmp_eq_u32_e32 vcc_lo, 1, v12
	v_and_b32_e32 v26, 1, v52
	s_delay_alu instid0(VALU_DEP_3)
	v_lshlrev_b32_e32 v21, 2, v21
	ds_store_b32 v19, v20
	ds_store_b32 v22, v17
	;; [unrolled: 1-line block ×3, first 2 shown]
	s_wait_alu 0xfffd
	v_cndmask_b32_e32 v12, v23, v25, vcc_lo
	v_add_nc_u32_e32 v23, v27, v24
	v_cmp_eq_u32_e32 vcc_lo, 1, v26
	v_sub_nc_u32_e32 v18, v64, v8
	v_sub_nc_u32_e32 v19, v63, v7
	;; [unrolled: 1-line block ×4, first 2 shown]
	s_wait_alu 0xfffd
	v_cndmask_b32_e32 v12, v12, v48, vcc_lo
	v_add_nc_u32_e32 v18, v18, v5
	v_cmp_eq_u32_e32 vcc_lo, 1, v10
	v_add_nc_u32_e32 v20, v20, v5
	v_add_nc_u32_e32 v17, 9, v17
	v_lshlrev_b32_e32 v12, 2, v12
	v_add_nc_u32_e32 v21, v19, v18
	v_and_b32_e32 v22, 1, v50
	s_wait_alu 0xfffd
	v_cndmask_b32_e32 v10, v17, v24, vcc_lo
	v_sub_nc_u32_e32 v17, v62, v7
	ds_store_b32 v12, v15
	v_cmp_eq_u32_e32 vcc_lo, 1, v11
	v_sub_nc_u32_e32 v12, v90, v21
	v_and_b32_e32 v15, 1, v56
	v_add_nc_u32_e32 v11, v17, v20
	v_sub_nc_u32_e32 v21, v61, v8
	s_wait_alu 0xfffd
	v_cndmask_b32_e32 v10, v10, v27, vcc_lo
	v_add_nc_u32_e32 v12, 10, v12
	v_cmp_eq_u32_e32 vcc_lo, 1, v15
	v_sub_nc_u32_e32 v11, v90, v11
	v_sub_nc_u32_e32 v7, v78, v7
	v_add_nc_u32_e32 v21, v21, v5
	s_wait_alu 0xfffd
	v_dual_cndmask_b32 v12, v12, v18 :: v_dual_and_b32 v15, 1, v55
	v_add_nc_u32_e32 v11, 11, v11
	v_cmp_eq_u32_e32 vcc_lo, 1, v22
	v_add_nc_u32_e32 v18, v7, v21
	s_wait_alu 0xfffd
	s_delay_alu instid0(VALU_DEP_3)
	v_dual_cndmask_b32 v11, v11, v20 :: v_dual_lshlrev_b32 v10, 2, v10
	v_cmp_eq_u32_e32 vcc_lo, 1, v9
	s_wait_alu 0xfffd
	v_cndmask_b32_e32 v9, v12, v19, vcc_lo
	v_cmp_eq_u32_e32 vcc_lo, 1, v15
	v_sub_nc_u32_e32 v12, v90, v18
	v_and_b32_e32 v15, 1, v53
	s_delay_alu instid0(VALU_DEP_4) | instskip(SKIP_1) | instid1(VALU_DEP_3)
	v_lshlrev_b32_e32 v9, 2, v9
	s_wait_alu 0xfffd
	v_dual_cndmask_b32 v11, v11, v17 :: v_dual_add_nc_u32 v12, 12, v12
	v_and_b32_e32 v17, 1, v54
	v_cmp_eq_u32_e32 vcc_lo, 1, v15
	s_delay_alu instid0(VALU_DEP_3)
	v_lshlrev_b32_e32 v11, 2, v11
	ds_store_b32 v10, v16
	ds_store_b32 v9, v13
	;; [unrolled: 1-line block ×3, first 2 shown]
	s_wait_alu 0xfffd
	v_cndmask_b32_e32 v12, v12, v21, vcc_lo
	v_cmp_eq_u32_e32 vcc_lo, 1, v17
	v_add_co_u32 v9, s0, v6, v87
	s_wait_alu 0xf1ff
	v_add_co_ci_u32_e64 v10, null, 0, 0, s0
	s_wait_alu 0xfffd
	v_cndmask_b32_e32 v7, v12, v7, vcc_lo
	v_add_co_u32 v9, vcc_lo, v9, v46
	s_wait_alu 0xfffd
	v_add_co_ci_u32_e64 v10, null, v10, v47, vcc_lo
	s_delay_alu instid0(VALU_DEP_3)
	v_lshlrev_b32_e32 v7, 2, v7
	v_add_co_u32 v11, s0, s34, v43
	v_add_co_u32 v9, vcc_lo, v9, v1
	s_wait_alu 0xf1ff
	v_add_co_ci_u32_e64 v12, null, s35, 0, s0
	s_wait_alu 0xfffd
	v_add_co_ci_u32_e64 v10, null, v10, v2, vcc_lo
	ds_store_b32 v7, v45
	v_sub_co_u32 v7, vcc_lo, v11, v9
	s_wait_alu 0xfffd
	v_sub_co_ci_u32_e64 v13, null, v12, v10, vcc_lo
	v_lshlrev_b64_e32 v[9:10], 2, v[46:47]
	v_lshlrev_b64_e32 v[11:12], 2, v[1:2]
	v_add_nc_u32_e32 v14, v5, v6
	s_wait_loadcnt_dscnt 0x0
	s_barrier_signal -1
	s_barrier_wait -1
	v_add_co_u32 v9, vcc_lo, s30, v9
	s_wait_alu 0xfffd
	v_add_co_ci_u32_e64 v10, null, s31, v10, vcc_lo
	v_cmp_ne_u32_e32 vcc_lo, 1, v44
	v_add_co_u32 v11, s0, s28, v11
	s_wait_alu 0xf1ff
	v_add_co_ci_u32_e64 v12, null, s29, v12, s0
	s_mov_b32 s0, -1
	global_inv scope:SCOPE_SE
	s_cbranch_vccz .LBB1290_154
; %bb.151:
	s_wait_alu 0xfffe
	s_and_b32 vcc_lo, exec_lo, s0
	s_wait_alu 0xfffe
	s_cbranch_vccnz .LBB1290_259
.LBB1290_152:
	s_and_b32 s0, s2, s26
	s_wait_alu 0xfffe
	s_and_saveexec_b32 s1, s0
	s_cbranch_execnz .LBB1290_377
.LBB1290_153:
	s_nop 0
	s_sendmsg sendmsg(MSG_DEALLOC_VGPRS)
	s_endpgm
.LBB1290_154:
	s_mov_b32 s0, exec_lo
	v_cmpx_ge_u32_e64 v0, v5
	s_wait_alu 0xfffe
	s_xor_b32 s0, exec_lo, s0
	s_cbranch_execz .LBB1290_160
; %bb.155:
	s_mov_b32 s1, exec_lo
	v_cmpx_ge_u32_e64 v0, v14
	s_wait_alu 0xfffe
	s_xor_b32 s1, exec_lo, s1
	s_cbranch_execz .LBB1290_157
; %bb.156:
	v_lshlrev_b32_e32 v15, 2, v0
	ds_load_b32 v17, v15
	v_add_co_u32 v15, vcc_lo, v7, v0
	s_wait_alu 0xfffd
	v_add_co_ci_u32_e64 v16, null, 0, v13, vcc_lo
	s_delay_alu instid0(VALU_DEP_1) | instskip(NEXT) | instid1(VALU_DEP_1)
	v_lshlrev_b64_e32 v[15:16], 2, v[15:16]
	v_sub_co_u32 v15, vcc_lo, s14, v15
	s_wait_alu 0xfffd
	s_delay_alu instid0(VALU_DEP_2)
	v_sub_co_ci_u32_e64 v16, null, s15, v16, vcc_lo
	s_wait_dscnt 0x0
	global_store_b32 v[15:16], v17, off offset:-4
.LBB1290_157:
	s_wait_alu 0xfffe
	s_and_not1_saveexec_b32 s1, s1
	s_cbranch_execz .LBB1290_159
; %bb.158:
	v_lshlrev_b32_e32 v15, 2, v0
	v_readfirstlane_b32 s4, v9
	v_readfirstlane_b32 s5, v10
	ds_load_b32 v16, v15
	s_wait_dscnt 0x0
	global_store_b32 v15, v16, s[4:5]
.LBB1290_159:
	s_wait_alu 0xfffe
	s_or_b32 exec_lo, exec_lo, s1
.LBB1290_160:
	s_wait_alu 0xfffe
	s_and_not1_saveexec_b32 s0, s0
	s_cbranch_execz .LBB1290_162
; %bb.161:
	v_lshlrev_b32_e32 v15, 2, v0
	v_readfirstlane_b32 s4, v11
	v_readfirstlane_b32 s5, v12
	ds_load_b32 v16, v15
	s_wait_dscnt 0x0
	global_store_b32 v15, v16, s[4:5]
.LBB1290_162:
	s_wait_alu 0xfffe
	s_or_b32 exec_lo, exec_lo, s0
	s_delay_alu instid0(SALU_CYCLE_1)
	s_mov_b32 s0, exec_lo
	v_cmpx_ge_u32_e64 v42, v5
	s_wait_alu 0xfffe
	s_xor_b32 s0, exec_lo, s0
	s_cbranch_execz .LBB1290_168
; %bb.163:
	s_mov_b32 s1, exec_lo
	v_cmpx_ge_u32_e64 v42, v14
	s_wait_alu 0xfffe
	s_xor_b32 s1, exec_lo, s1
	s_cbranch_execz .LBB1290_165
; %bb.164:
	v_lshlrev_b32_e32 v15, 2, v0
	ds_load_b32 v17, v15 offset:1024
	v_add_co_u32 v15, vcc_lo, v7, v0
	s_wait_alu 0xfffd
	v_add_co_ci_u32_e64 v16, null, 0, v13, vcc_lo
	s_delay_alu instid0(VALU_DEP_1) | instskip(NEXT) | instid1(VALU_DEP_1)
	v_lshlrev_b64_e32 v[15:16], 2, v[15:16]
	v_sub_co_u32 v15, vcc_lo, s14, v15
	s_wait_alu 0xfffd
	s_delay_alu instid0(VALU_DEP_2)
	v_sub_co_ci_u32_e64 v16, null, s15, v16, vcc_lo
	s_wait_dscnt 0x0
	global_store_b32 v[15:16], v17, off offset:-1028
.LBB1290_165:
	s_wait_alu 0xfffe
	s_and_not1_saveexec_b32 s1, s1
	s_cbranch_execz .LBB1290_167
; %bb.166:
	v_lshlrev_b32_e32 v15, 2, v0
	v_readfirstlane_b32 s4, v9
	v_readfirstlane_b32 s5, v10
	ds_load_b32 v16, v15 offset:1024
	s_wait_dscnt 0x0
	global_store_b32 v15, v16, s[4:5] offset:1024
.LBB1290_167:
	s_wait_alu 0xfffe
	s_or_b32 exec_lo, exec_lo, s1
.LBB1290_168:
	s_wait_alu 0xfffe
	s_and_not1_saveexec_b32 s0, s0
	s_cbranch_execz .LBB1290_170
; %bb.169:
	v_lshlrev_b32_e32 v15, 2, v0
	v_readfirstlane_b32 s4, v11
	v_readfirstlane_b32 s5, v12
	ds_load_b32 v16, v15 offset:1024
	s_wait_dscnt 0x0
	global_store_b32 v15, v16, s[4:5] offset:1024
.LBB1290_170:
	s_wait_alu 0xfffe
	s_or_b32 exec_lo, exec_lo, s0
	s_delay_alu instid0(SALU_CYCLE_1)
	s_mov_b32 s0, exec_lo
	v_cmpx_ge_u32_e64 v41, v5
	s_wait_alu 0xfffe
	s_xor_b32 s0, exec_lo, s0
	s_cbranch_execz .LBB1290_176
; %bb.171:
	s_mov_b32 s1, exec_lo
	v_cmpx_ge_u32_e64 v41, v14
	s_wait_alu 0xfffe
	s_xor_b32 s1, exec_lo, s1
	s_cbranch_execz .LBB1290_173
; %bb.172:
	v_lshlrev_b32_e32 v15, 2, v0
	ds_load_b32 v17, v15 offset:2048
	v_add_co_u32 v15, vcc_lo, v7, v0
	s_wait_alu 0xfffd
	v_add_co_ci_u32_e64 v16, null, 0, v13, vcc_lo
	s_delay_alu instid0(VALU_DEP_1) | instskip(NEXT) | instid1(VALU_DEP_1)
	v_lshlrev_b64_e32 v[15:16], 2, v[15:16]
	v_sub_co_u32 v15, vcc_lo, s14, v15
	s_wait_alu 0xfffd
	s_delay_alu instid0(VALU_DEP_2)
	v_sub_co_ci_u32_e64 v16, null, s15, v16, vcc_lo
	s_wait_dscnt 0x0
	global_store_b32 v[15:16], v17, off offset:-2052
.LBB1290_173:
	s_wait_alu 0xfffe
	s_and_not1_saveexec_b32 s1, s1
	s_cbranch_execz .LBB1290_175
; %bb.174:
	v_lshlrev_b32_e32 v15, 2, v0
	v_readfirstlane_b32 s4, v9
	v_readfirstlane_b32 s5, v10
	ds_load_b32 v16, v15 offset:2048
	s_wait_dscnt 0x0
	global_store_b32 v15, v16, s[4:5] offset:2048
.LBB1290_175:
	s_wait_alu 0xfffe
	s_or_b32 exec_lo, exec_lo, s1
.LBB1290_176:
	s_wait_alu 0xfffe
	s_and_not1_saveexec_b32 s0, s0
	s_cbranch_execz .LBB1290_178
; %bb.177:
	v_lshlrev_b32_e32 v15, 2, v0
	v_readfirstlane_b32 s4, v11
	v_readfirstlane_b32 s5, v12
	ds_load_b32 v16, v15 offset:2048
	s_wait_dscnt 0x0
	global_store_b32 v15, v16, s[4:5] offset:2048
.LBB1290_178:
	;; [unrolled: 54-line block ×12, first 2 shown]
	s_wait_alu 0xfffe
	s_or_b32 exec_lo, exec_lo, s0
	s_branch .LBB1290_152
.LBB1290_259:
	s_mov_b32 s0, exec_lo
	v_cmpx_gt_u32_e64 s27, v0
	s_cbranch_execz .LBB1290_268
; %bb.260:
	s_mov_b32 s1, exec_lo
	v_cmpx_ge_u32_e64 v0, v5
	s_wait_alu 0xfffe
	s_xor_b32 s1, exec_lo, s1
	s_cbranch_execz .LBB1290_266
; %bb.261:
	s_mov_b32 s3, exec_lo
	v_cmpx_ge_u32_e64 v0, v14
	s_wait_alu 0xfffe
	s_xor_b32 s3, exec_lo, s3
	s_cbranch_execz .LBB1290_263
; %bb.262:
	v_lshlrev_b32_e32 v15, 2, v0
	ds_load_b32 v17, v15
	v_add_co_u32 v15, vcc_lo, v7, v0
	s_wait_alu 0xfffd
	v_add_co_ci_u32_e64 v16, null, 0, v13, vcc_lo
	s_delay_alu instid0(VALU_DEP_1) | instskip(NEXT) | instid1(VALU_DEP_1)
	v_lshlrev_b64_e32 v[15:16], 2, v[15:16]
	v_sub_co_u32 v15, vcc_lo, s14, v15
	s_wait_alu 0xfffd
	s_delay_alu instid0(VALU_DEP_2)
	v_sub_co_ci_u32_e64 v16, null, s15, v16, vcc_lo
	s_wait_dscnt 0x0
	global_store_b32 v[15:16], v17, off offset:-4
.LBB1290_263:
	s_wait_alu 0xfffe
	s_and_not1_saveexec_b32 s3, s3
	s_cbranch_execz .LBB1290_265
; %bb.264:
	v_lshlrev_b32_e32 v15, 2, v0
	v_readfirstlane_b32 s4, v9
	v_readfirstlane_b32 s5, v10
	ds_load_b32 v16, v15
	s_wait_dscnt 0x0
	global_store_b32 v15, v16, s[4:5]
.LBB1290_265:
	s_wait_alu 0xfffe
	s_or_b32 exec_lo, exec_lo, s3
.LBB1290_266:
	s_wait_alu 0xfffe
	s_and_not1_saveexec_b32 s1, s1
	s_cbranch_execz .LBB1290_268
; %bb.267:
	v_lshlrev_b32_e32 v15, 2, v0
	v_readfirstlane_b32 s4, v11
	v_readfirstlane_b32 s5, v12
	ds_load_b32 v16, v15
	s_wait_dscnt 0x0
	global_store_b32 v15, v16, s[4:5]
.LBB1290_268:
	s_wait_alu 0xfffe
	s_or_b32 exec_lo, exec_lo, s0
	s_delay_alu instid0(SALU_CYCLE_1)
	s_mov_b32 s0, exec_lo
	v_cmpx_gt_u32_e64 s27, v42
	s_cbranch_execz .LBB1290_277
; %bb.269:
	s_mov_b32 s1, exec_lo
	v_cmpx_ge_u32_e64 v42, v5
	s_wait_alu 0xfffe
	s_xor_b32 s1, exec_lo, s1
	s_cbranch_execz .LBB1290_275
; %bb.270:
	s_mov_b32 s3, exec_lo
	v_cmpx_ge_u32_e64 v42, v14
	s_wait_alu 0xfffe
	s_xor_b32 s3, exec_lo, s3
	s_cbranch_execz .LBB1290_272
; %bb.271:
	v_lshlrev_b32_e32 v15, 2, v0
	ds_load_b32 v17, v15 offset:1024
	v_add_co_u32 v15, vcc_lo, v7, v0
	s_wait_alu 0xfffd
	v_add_co_ci_u32_e64 v16, null, 0, v13, vcc_lo
	s_delay_alu instid0(VALU_DEP_1) | instskip(NEXT) | instid1(VALU_DEP_1)
	v_lshlrev_b64_e32 v[15:16], 2, v[15:16]
	v_sub_co_u32 v15, vcc_lo, s14, v15
	s_wait_alu 0xfffd
	s_delay_alu instid0(VALU_DEP_2)
	v_sub_co_ci_u32_e64 v16, null, s15, v16, vcc_lo
	s_wait_dscnt 0x0
	global_store_b32 v[15:16], v17, off offset:-1028
.LBB1290_272:
	s_wait_alu 0xfffe
	s_and_not1_saveexec_b32 s3, s3
	s_cbranch_execz .LBB1290_274
; %bb.273:
	v_lshlrev_b32_e32 v15, 2, v0
	v_readfirstlane_b32 s4, v9
	v_readfirstlane_b32 s5, v10
	ds_load_b32 v16, v15 offset:1024
	s_wait_dscnt 0x0
	global_store_b32 v15, v16, s[4:5] offset:1024
.LBB1290_274:
	s_wait_alu 0xfffe
	s_or_b32 exec_lo, exec_lo, s3
.LBB1290_275:
	s_wait_alu 0xfffe
	s_and_not1_saveexec_b32 s1, s1
	s_cbranch_execz .LBB1290_277
; %bb.276:
	v_lshlrev_b32_e32 v15, 2, v0
	v_readfirstlane_b32 s4, v11
	v_readfirstlane_b32 s5, v12
	ds_load_b32 v16, v15 offset:1024
	s_wait_dscnt 0x0
	global_store_b32 v15, v16, s[4:5] offset:1024
.LBB1290_277:
	s_wait_alu 0xfffe
	s_or_b32 exec_lo, exec_lo, s0
	s_delay_alu instid0(SALU_CYCLE_1)
	s_mov_b32 s0, exec_lo
	v_cmpx_gt_u32_e64 s27, v41
	s_cbranch_execz .LBB1290_286
; %bb.278:
	s_mov_b32 s1, exec_lo
	v_cmpx_ge_u32_e64 v41, v5
	s_wait_alu 0xfffe
	s_xor_b32 s1, exec_lo, s1
	s_cbranch_execz .LBB1290_284
; %bb.279:
	s_mov_b32 s3, exec_lo
	v_cmpx_ge_u32_e64 v41, v14
	s_wait_alu 0xfffe
	s_xor_b32 s3, exec_lo, s3
	s_cbranch_execz .LBB1290_281
; %bb.280:
	v_lshlrev_b32_e32 v15, 2, v0
	ds_load_b32 v17, v15 offset:2048
	v_add_co_u32 v15, vcc_lo, v7, v0
	s_wait_alu 0xfffd
	v_add_co_ci_u32_e64 v16, null, 0, v13, vcc_lo
	s_delay_alu instid0(VALU_DEP_1) | instskip(NEXT) | instid1(VALU_DEP_1)
	v_lshlrev_b64_e32 v[15:16], 2, v[15:16]
	v_sub_co_u32 v15, vcc_lo, s14, v15
	s_wait_alu 0xfffd
	s_delay_alu instid0(VALU_DEP_2)
	v_sub_co_ci_u32_e64 v16, null, s15, v16, vcc_lo
	s_wait_dscnt 0x0
	global_store_b32 v[15:16], v17, off offset:-2052
.LBB1290_281:
	s_wait_alu 0xfffe
	s_and_not1_saveexec_b32 s3, s3
	s_cbranch_execz .LBB1290_283
; %bb.282:
	v_lshlrev_b32_e32 v15, 2, v0
	v_readfirstlane_b32 s4, v9
	v_readfirstlane_b32 s5, v10
	ds_load_b32 v16, v15 offset:2048
	s_wait_dscnt 0x0
	global_store_b32 v15, v16, s[4:5] offset:2048
.LBB1290_283:
	s_wait_alu 0xfffe
	s_or_b32 exec_lo, exec_lo, s3
.LBB1290_284:
	s_wait_alu 0xfffe
	s_and_not1_saveexec_b32 s1, s1
	s_cbranch_execz .LBB1290_286
; %bb.285:
	v_lshlrev_b32_e32 v15, 2, v0
	v_readfirstlane_b32 s4, v11
	v_readfirstlane_b32 s5, v12
	ds_load_b32 v16, v15 offset:2048
	s_wait_dscnt 0x0
	global_store_b32 v15, v16, s[4:5] offset:2048
.LBB1290_286:
	;; [unrolled: 58-line block ×11, first 2 shown]
	s_wait_alu 0xfffe
	s_or_b32 exec_lo, exec_lo, s0
	s_delay_alu instid0(SALU_CYCLE_1)
	s_mov_b32 s0, exec_lo
	v_cmpx_gt_u32_e64 s27, v31
	s_cbranch_execz .LBB1290_376
; %bb.368:
	s_mov_b32 s1, exec_lo
	v_cmpx_ge_u32_e64 v31, v5
	s_wait_alu 0xfffe
	s_xor_b32 s1, exec_lo, s1
	s_cbranch_execz .LBB1290_374
; %bb.369:
	s_mov_b32 s3, exec_lo
	v_cmpx_ge_u32_e64 v31, v14
	s_wait_alu 0xfffe
	s_xor_b32 s3, exec_lo, s3
	s_cbranch_execz .LBB1290_371
; %bb.370:
	v_lshlrev_b32_e32 v9, 2, v0
	ds_load_b32 v11, v9 offset:12288
	v_add_co_u32 v9, vcc_lo, v7, v0
	s_wait_alu 0xfffd
	v_add_co_ci_u32_e64 v10, null, 0, v13, vcc_lo
                                        ; implicit-def: $vgpr0
	s_delay_alu instid0(VALU_DEP_1) | instskip(NEXT) | instid1(VALU_DEP_1)
	v_lshlrev_b64_e32 v[9:10], 2, v[9:10]
	v_sub_co_u32 v9, vcc_lo, s14, v9
	s_wait_alu 0xfffd
	s_delay_alu instid0(VALU_DEP_2)
	v_sub_co_ci_u32_e64 v10, null, s15, v10, vcc_lo
	s_wait_dscnt 0x0
	global_store_b32 v[9:10], v11, off offset:-12292
                                        ; implicit-def: $vgpr9_vgpr10
.LBB1290_371:
	s_wait_alu 0xfffe
	s_and_not1_saveexec_b32 s3, s3
	s_cbranch_execz .LBB1290_373
; %bb.372:
	v_lshlrev_b32_e32 v0, 2, v0
	v_readfirstlane_b32 s4, v9
	v_readfirstlane_b32 s5, v10
	ds_load_b32 v7, v0 offset:12288
	s_wait_dscnt 0x0
	global_store_b32 v0, v7, s[4:5] offset:12288
.LBB1290_373:
	s_wait_alu 0xfffe
	s_or_b32 exec_lo, exec_lo, s3
                                        ; implicit-def: $vgpr0
                                        ; implicit-def: $vgpr11_vgpr12
.LBB1290_374:
	s_wait_alu 0xfffe
	s_and_not1_saveexec_b32 s1, s1
	s_cbranch_execz .LBB1290_376
; %bb.375:
	v_lshlrev_b32_e32 v0, 2, v0
	v_readfirstlane_b32 s4, v11
	v_readfirstlane_b32 s5, v12
	ds_load_b32 v7, v0 offset:12288
	s_wait_dscnt 0x0
	global_store_b32 v0, v7, s[4:5] offset:12288
.LBB1290_376:
	s_wait_alu 0xfffe
	s_or_b32 exec_lo, exec_lo, s0
	s_and_b32 s0, s2, s26
	s_wait_alu 0xfffe
	s_and_saveexec_b32 s1, s0
	s_cbranch_execz .LBB1290_153
.LBB1290_377:
	v_add_co_u32 v0, vcc_lo, v3, v6
	s_wait_alu 0xfffd
	v_add_co_ci_u32_e64 v4, null, 0, v4, vcc_lo
	v_mov_b32_e32 v6, 0
	s_delay_alu instid0(VALU_DEP_3) | instskip(SKIP_1) | instid1(VALU_DEP_3)
	v_add_co_u32 v3, vcc_lo, v0, v8
	s_wait_alu 0xfffd
	v_add_co_ci_u32_e64 v4, null, 0, v4, vcc_lo
	v_add_co_u32 v1, vcc_lo, v1, v5
	s_wait_alu 0xfffd
	v_add_co_ci_u32_e64 v2, null, 0, v2, vcc_lo
	global_store_b128 v6, v[1:4], s[24:25]
	s_nop 0
	s_sendmsg sendmsg(MSG_DEALLOC_VGPRS)
	s_endpgm
.LBB1290_378:
	s_add_co_i32 s6, s33, 32
	s_mov_b32 s7, 0
	v_dual_mov_b32 v11, 2 :: v_dual_add_nc_u32 v10, v8, v6
	s_wait_alu 0xfffe
	s_lshl_b64 s[6:7], s[6:7], 4
	v_dual_mov_b32 v12, 0 :: v_dual_add_nc_u32 v9, v7, v5
	s_wait_alu 0xfffe
	s_add_nc_u64 s[6:7], s[36:37], s[6:7]
	s_wait_alu 0xfffe
	v_dual_mov_b32 v28, s7 :: v_dual_mov_b32 v27, s6
	;;#ASMSTART
	global_store_b128 v[27:28], v[9:12] off scope:SCOPE_DEV	
s_wait_storecnt 0x0
	;;#ASMEND
	s_or_b32 exec_lo, exec_lo, s5
	s_and_saveexec_b32 s5, s3
	s_cbranch_execz .LBB1290_138
.LBB1290_379:
	v_mov_b32_e32 v9, 0
	ds_store_b128 v9, v[5:8] offset:13312
	s_wait_alu 0xfffe
	s_or_b32 exec_lo, exec_lo, s5
	s_delay_alu instid0(SALU_CYCLE_1)
	s_and_b32 exec_lo, exec_lo, s2
	s_cbranch_execnz .LBB1290_139
	s_branch .LBB1290_140
	.section	.rodata,"a",@progbits
	.p2align	6, 0x0
	.amdhsa_kernel _ZN7rocprim17ROCPRIM_400000_NS6detail17trampoline_kernelINS0_13select_configILj256ELj13ELNS0_17block_load_methodE3ELS4_3ELS4_3ELNS0_20block_scan_algorithmE0ELj4294967295EEENS1_25partition_config_selectorILNS1_17partition_subalgoE4EjNS0_10empty_typeEbEEZZNS1_14partition_implILS8_4ELb0ES6_15HIP_vector_typeIjLj2EENS0_17counting_iteratorIjlEEPS9_SG_NS0_5tupleIJPjSI_NS0_16reverse_iteratorISI_EEEEENSH_IJSG_SG_SG_EEES9_SI_JZNS1_25segmented_radix_sort_implINS0_14default_configELb1EPKfPfPKlPlN2at6native12_GLOBAL__N_18offset_tEEE10hipError_tPvRmT1_PNSt15iterator_traitsIS12_E10value_typeET2_T3_PNS13_IS18_E10value_typeET4_jRbjT5_S1E_jjP12ihipStream_tbEUljE_ZNSN_ISO_Lb1ESQ_SR_ST_SU_SY_EESZ_S10_S11_S12_S16_S17_S18_S1B_S1C_jS1D_jS1E_S1E_jjS1G_bEUljE0_EEESZ_S10_S11_S18_S1C_S1E_T6_T7_T9_mT8_S1G_bDpT10_ENKUlT_T0_E_clISt17integral_constantIbLb0EES1T_IbLb1EEEEDaS1P_S1Q_EUlS1P_E_NS1_11comp_targetILNS1_3genE10ELNS1_11target_archE1200ELNS1_3gpuE4ELNS1_3repE0EEENS1_30default_config_static_selectorELNS0_4arch9wavefront6targetE0EEEvS12_
		.amdhsa_group_segment_fixed_size 13328
		.amdhsa_private_segment_fixed_size 0
		.amdhsa_kernarg_size 184
		.amdhsa_user_sgpr_count 2
		.amdhsa_user_sgpr_dispatch_ptr 0
		.amdhsa_user_sgpr_queue_ptr 0
		.amdhsa_user_sgpr_kernarg_segment_ptr 1
		.amdhsa_user_sgpr_dispatch_id 0
		.amdhsa_user_sgpr_private_segment_size 0
		.amdhsa_wavefront_size32 1
		.amdhsa_uses_dynamic_stack 0
		.amdhsa_enable_private_segment 0
		.amdhsa_system_sgpr_workgroup_id_x 1
		.amdhsa_system_sgpr_workgroup_id_y 0
		.amdhsa_system_sgpr_workgroup_id_z 0
		.amdhsa_system_sgpr_workgroup_info 0
		.amdhsa_system_vgpr_workitem_id 0
		.amdhsa_next_free_vgpr 98
		.amdhsa_next_free_sgpr 55
		.amdhsa_reserve_vcc 1
		.amdhsa_float_round_mode_32 0
		.amdhsa_float_round_mode_16_64 0
		.amdhsa_float_denorm_mode_32 3
		.amdhsa_float_denorm_mode_16_64 3
		.amdhsa_fp16_overflow 0
		.amdhsa_workgroup_processor_mode 1
		.amdhsa_memory_ordered 1
		.amdhsa_forward_progress 1
		.amdhsa_inst_pref_size 151
		.amdhsa_round_robin_scheduling 0
		.amdhsa_exception_fp_ieee_invalid_op 0
		.amdhsa_exception_fp_denorm_src 0
		.amdhsa_exception_fp_ieee_div_zero 0
		.amdhsa_exception_fp_ieee_overflow 0
		.amdhsa_exception_fp_ieee_underflow 0
		.amdhsa_exception_fp_ieee_inexact 0
		.amdhsa_exception_int_div_zero 0
	.end_amdhsa_kernel
	.section	.text._ZN7rocprim17ROCPRIM_400000_NS6detail17trampoline_kernelINS0_13select_configILj256ELj13ELNS0_17block_load_methodE3ELS4_3ELS4_3ELNS0_20block_scan_algorithmE0ELj4294967295EEENS1_25partition_config_selectorILNS1_17partition_subalgoE4EjNS0_10empty_typeEbEEZZNS1_14partition_implILS8_4ELb0ES6_15HIP_vector_typeIjLj2EENS0_17counting_iteratorIjlEEPS9_SG_NS0_5tupleIJPjSI_NS0_16reverse_iteratorISI_EEEEENSH_IJSG_SG_SG_EEES9_SI_JZNS1_25segmented_radix_sort_implINS0_14default_configELb1EPKfPfPKlPlN2at6native12_GLOBAL__N_18offset_tEEE10hipError_tPvRmT1_PNSt15iterator_traitsIS12_E10value_typeET2_T3_PNS13_IS18_E10value_typeET4_jRbjT5_S1E_jjP12ihipStream_tbEUljE_ZNSN_ISO_Lb1ESQ_SR_ST_SU_SY_EESZ_S10_S11_S12_S16_S17_S18_S1B_S1C_jS1D_jS1E_S1E_jjS1G_bEUljE0_EEESZ_S10_S11_S18_S1C_S1E_T6_T7_T9_mT8_S1G_bDpT10_ENKUlT_T0_E_clISt17integral_constantIbLb0EES1T_IbLb1EEEEDaS1P_S1Q_EUlS1P_E_NS1_11comp_targetILNS1_3genE10ELNS1_11target_archE1200ELNS1_3gpuE4ELNS1_3repE0EEENS1_30default_config_static_selectorELNS0_4arch9wavefront6targetE0EEEvS12_,"axG",@progbits,_ZN7rocprim17ROCPRIM_400000_NS6detail17trampoline_kernelINS0_13select_configILj256ELj13ELNS0_17block_load_methodE3ELS4_3ELS4_3ELNS0_20block_scan_algorithmE0ELj4294967295EEENS1_25partition_config_selectorILNS1_17partition_subalgoE4EjNS0_10empty_typeEbEEZZNS1_14partition_implILS8_4ELb0ES6_15HIP_vector_typeIjLj2EENS0_17counting_iteratorIjlEEPS9_SG_NS0_5tupleIJPjSI_NS0_16reverse_iteratorISI_EEEEENSH_IJSG_SG_SG_EEES9_SI_JZNS1_25segmented_radix_sort_implINS0_14default_configELb1EPKfPfPKlPlN2at6native12_GLOBAL__N_18offset_tEEE10hipError_tPvRmT1_PNSt15iterator_traitsIS12_E10value_typeET2_T3_PNS13_IS18_E10value_typeET4_jRbjT5_S1E_jjP12ihipStream_tbEUljE_ZNSN_ISO_Lb1ESQ_SR_ST_SU_SY_EESZ_S10_S11_S12_S16_S17_S18_S1B_S1C_jS1D_jS1E_S1E_jjS1G_bEUljE0_EEESZ_S10_S11_S18_S1C_S1E_T6_T7_T9_mT8_S1G_bDpT10_ENKUlT_T0_E_clISt17integral_constantIbLb0EES1T_IbLb1EEEEDaS1P_S1Q_EUlS1P_E_NS1_11comp_targetILNS1_3genE10ELNS1_11target_archE1200ELNS1_3gpuE4ELNS1_3repE0EEENS1_30default_config_static_selectorELNS0_4arch9wavefront6targetE0EEEvS12_,comdat
.Lfunc_end1290:
	.size	_ZN7rocprim17ROCPRIM_400000_NS6detail17trampoline_kernelINS0_13select_configILj256ELj13ELNS0_17block_load_methodE3ELS4_3ELS4_3ELNS0_20block_scan_algorithmE0ELj4294967295EEENS1_25partition_config_selectorILNS1_17partition_subalgoE4EjNS0_10empty_typeEbEEZZNS1_14partition_implILS8_4ELb0ES6_15HIP_vector_typeIjLj2EENS0_17counting_iteratorIjlEEPS9_SG_NS0_5tupleIJPjSI_NS0_16reverse_iteratorISI_EEEEENSH_IJSG_SG_SG_EEES9_SI_JZNS1_25segmented_radix_sort_implINS0_14default_configELb1EPKfPfPKlPlN2at6native12_GLOBAL__N_18offset_tEEE10hipError_tPvRmT1_PNSt15iterator_traitsIS12_E10value_typeET2_T3_PNS13_IS18_E10value_typeET4_jRbjT5_S1E_jjP12ihipStream_tbEUljE_ZNSN_ISO_Lb1ESQ_SR_ST_SU_SY_EESZ_S10_S11_S12_S16_S17_S18_S1B_S1C_jS1D_jS1E_S1E_jjS1G_bEUljE0_EEESZ_S10_S11_S18_S1C_S1E_T6_T7_T9_mT8_S1G_bDpT10_ENKUlT_T0_E_clISt17integral_constantIbLb0EES1T_IbLb1EEEEDaS1P_S1Q_EUlS1P_E_NS1_11comp_targetILNS1_3genE10ELNS1_11target_archE1200ELNS1_3gpuE4ELNS1_3repE0EEENS1_30default_config_static_selectorELNS0_4arch9wavefront6targetE0EEEvS12_, .Lfunc_end1290-_ZN7rocprim17ROCPRIM_400000_NS6detail17trampoline_kernelINS0_13select_configILj256ELj13ELNS0_17block_load_methodE3ELS4_3ELS4_3ELNS0_20block_scan_algorithmE0ELj4294967295EEENS1_25partition_config_selectorILNS1_17partition_subalgoE4EjNS0_10empty_typeEbEEZZNS1_14partition_implILS8_4ELb0ES6_15HIP_vector_typeIjLj2EENS0_17counting_iteratorIjlEEPS9_SG_NS0_5tupleIJPjSI_NS0_16reverse_iteratorISI_EEEEENSH_IJSG_SG_SG_EEES9_SI_JZNS1_25segmented_radix_sort_implINS0_14default_configELb1EPKfPfPKlPlN2at6native12_GLOBAL__N_18offset_tEEE10hipError_tPvRmT1_PNSt15iterator_traitsIS12_E10value_typeET2_T3_PNS13_IS18_E10value_typeET4_jRbjT5_S1E_jjP12ihipStream_tbEUljE_ZNSN_ISO_Lb1ESQ_SR_ST_SU_SY_EESZ_S10_S11_S12_S16_S17_S18_S1B_S1C_jS1D_jS1E_S1E_jjS1G_bEUljE0_EEESZ_S10_S11_S18_S1C_S1E_T6_T7_T9_mT8_S1G_bDpT10_ENKUlT_T0_E_clISt17integral_constantIbLb0EES1T_IbLb1EEEEDaS1P_S1Q_EUlS1P_E_NS1_11comp_targetILNS1_3genE10ELNS1_11target_archE1200ELNS1_3gpuE4ELNS1_3repE0EEENS1_30default_config_static_selectorELNS0_4arch9wavefront6targetE0EEEvS12_
                                        ; -- End function
	.set _ZN7rocprim17ROCPRIM_400000_NS6detail17trampoline_kernelINS0_13select_configILj256ELj13ELNS0_17block_load_methodE3ELS4_3ELS4_3ELNS0_20block_scan_algorithmE0ELj4294967295EEENS1_25partition_config_selectorILNS1_17partition_subalgoE4EjNS0_10empty_typeEbEEZZNS1_14partition_implILS8_4ELb0ES6_15HIP_vector_typeIjLj2EENS0_17counting_iteratorIjlEEPS9_SG_NS0_5tupleIJPjSI_NS0_16reverse_iteratorISI_EEEEENSH_IJSG_SG_SG_EEES9_SI_JZNS1_25segmented_radix_sort_implINS0_14default_configELb1EPKfPfPKlPlN2at6native12_GLOBAL__N_18offset_tEEE10hipError_tPvRmT1_PNSt15iterator_traitsIS12_E10value_typeET2_T3_PNS13_IS18_E10value_typeET4_jRbjT5_S1E_jjP12ihipStream_tbEUljE_ZNSN_ISO_Lb1ESQ_SR_ST_SU_SY_EESZ_S10_S11_S12_S16_S17_S18_S1B_S1C_jS1D_jS1E_S1E_jjS1G_bEUljE0_EEESZ_S10_S11_S18_S1C_S1E_T6_T7_T9_mT8_S1G_bDpT10_ENKUlT_T0_E_clISt17integral_constantIbLb0EES1T_IbLb1EEEEDaS1P_S1Q_EUlS1P_E_NS1_11comp_targetILNS1_3genE10ELNS1_11target_archE1200ELNS1_3gpuE4ELNS1_3repE0EEENS1_30default_config_static_selectorELNS0_4arch9wavefront6targetE0EEEvS12_.num_vgpr, 98
	.set _ZN7rocprim17ROCPRIM_400000_NS6detail17trampoline_kernelINS0_13select_configILj256ELj13ELNS0_17block_load_methodE3ELS4_3ELS4_3ELNS0_20block_scan_algorithmE0ELj4294967295EEENS1_25partition_config_selectorILNS1_17partition_subalgoE4EjNS0_10empty_typeEbEEZZNS1_14partition_implILS8_4ELb0ES6_15HIP_vector_typeIjLj2EENS0_17counting_iteratorIjlEEPS9_SG_NS0_5tupleIJPjSI_NS0_16reverse_iteratorISI_EEEEENSH_IJSG_SG_SG_EEES9_SI_JZNS1_25segmented_radix_sort_implINS0_14default_configELb1EPKfPfPKlPlN2at6native12_GLOBAL__N_18offset_tEEE10hipError_tPvRmT1_PNSt15iterator_traitsIS12_E10value_typeET2_T3_PNS13_IS18_E10value_typeET4_jRbjT5_S1E_jjP12ihipStream_tbEUljE_ZNSN_ISO_Lb1ESQ_SR_ST_SU_SY_EESZ_S10_S11_S12_S16_S17_S18_S1B_S1C_jS1D_jS1E_S1E_jjS1G_bEUljE0_EEESZ_S10_S11_S18_S1C_S1E_T6_T7_T9_mT8_S1G_bDpT10_ENKUlT_T0_E_clISt17integral_constantIbLb0EES1T_IbLb1EEEEDaS1P_S1Q_EUlS1P_E_NS1_11comp_targetILNS1_3genE10ELNS1_11target_archE1200ELNS1_3gpuE4ELNS1_3repE0EEENS1_30default_config_static_selectorELNS0_4arch9wavefront6targetE0EEEvS12_.num_agpr, 0
	.set _ZN7rocprim17ROCPRIM_400000_NS6detail17trampoline_kernelINS0_13select_configILj256ELj13ELNS0_17block_load_methodE3ELS4_3ELS4_3ELNS0_20block_scan_algorithmE0ELj4294967295EEENS1_25partition_config_selectorILNS1_17partition_subalgoE4EjNS0_10empty_typeEbEEZZNS1_14partition_implILS8_4ELb0ES6_15HIP_vector_typeIjLj2EENS0_17counting_iteratorIjlEEPS9_SG_NS0_5tupleIJPjSI_NS0_16reverse_iteratorISI_EEEEENSH_IJSG_SG_SG_EEES9_SI_JZNS1_25segmented_radix_sort_implINS0_14default_configELb1EPKfPfPKlPlN2at6native12_GLOBAL__N_18offset_tEEE10hipError_tPvRmT1_PNSt15iterator_traitsIS12_E10value_typeET2_T3_PNS13_IS18_E10value_typeET4_jRbjT5_S1E_jjP12ihipStream_tbEUljE_ZNSN_ISO_Lb1ESQ_SR_ST_SU_SY_EESZ_S10_S11_S12_S16_S17_S18_S1B_S1C_jS1D_jS1E_S1E_jjS1G_bEUljE0_EEESZ_S10_S11_S18_S1C_S1E_T6_T7_T9_mT8_S1G_bDpT10_ENKUlT_T0_E_clISt17integral_constantIbLb0EES1T_IbLb1EEEEDaS1P_S1Q_EUlS1P_E_NS1_11comp_targetILNS1_3genE10ELNS1_11target_archE1200ELNS1_3gpuE4ELNS1_3repE0EEENS1_30default_config_static_selectorELNS0_4arch9wavefront6targetE0EEEvS12_.numbered_sgpr, 55
	.set _ZN7rocprim17ROCPRIM_400000_NS6detail17trampoline_kernelINS0_13select_configILj256ELj13ELNS0_17block_load_methodE3ELS4_3ELS4_3ELNS0_20block_scan_algorithmE0ELj4294967295EEENS1_25partition_config_selectorILNS1_17partition_subalgoE4EjNS0_10empty_typeEbEEZZNS1_14partition_implILS8_4ELb0ES6_15HIP_vector_typeIjLj2EENS0_17counting_iteratorIjlEEPS9_SG_NS0_5tupleIJPjSI_NS0_16reverse_iteratorISI_EEEEENSH_IJSG_SG_SG_EEES9_SI_JZNS1_25segmented_radix_sort_implINS0_14default_configELb1EPKfPfPKlPlN2at6native12_GLOBAL__N_18offset_tEEE10hipError_tPvRmT1_PNSt15iterator_traitsIS12_E10value_typeET2_T3_PNS13_IS18_E10value_typeET4_jRbjT5_S1E_jjP12ihipStream_tbEUljE_ZNSN_ISO_Lb1ESQ_SR_ST_SU_SY_EESZ_S10_S11_S12_S16_S17_S18_S1B_S1C_jS1D_jS1E_S1E_jjS1G_bEUljE0_EEESZ_S10_S11_S18_S1C_S1E_T6_T7_T9_mT8_S1G_bDpT10_ENKUlT_T0_E_clISt17integral_constantIbLb0EES1T_IbLb1EEEEDaS1P_S1Q_EUlS1P_E_NS1_11comp_targetILNS1_3genE10ELNS1_11target_archE1200ELNS1_3gpuE4ELNS1_3repE0EEENS1_30default_config_static_selectorELNS0_4arch9wavefront6targetE0EEEvS12_.num_named_barrier, 0
	.set _ZN7rocprim17ROCPRIM_400000_NS6detail17trampoline_kernelINS0_13select_configILj256ELj13ELNS0_17block_load_methodE3ELS4_3ELS4_3ELNS0_20block_scan_algorithmE0ELj4294967295EEENS1_25partition_config_selectorILNS1_17partition_subalgoE4EjNS0_10empty_typeEbEEZZNS1_14partition_implILS8_4ELb0ES6_15HIP_vector_typeIjLj2EENS0_17counting_iteratorIjlEEPS9_SG_NS0_5tupleIJPjSI_NS0_16reverse_iteratorISI_EEEEENSH_IJSG_SG_SG_EEES9_SI_JZNS1_25segmented_radix_sort_implINS0_14default_configELb1EPKfPfPKlPlN2at6native12_GLOBAL__N_18offset_tEEE10hipError_tPvRmT1_PNSt15iterator_traitsIS12_E10value_typeET2_T3_PNS13_IS18_E10value_typeET4_jRbjT5_S1E_jjP12ihipStream_tbEUljE_ZNSN_ISO_Lb1ESQ_SR_ST_SU_SY_EESZ_S10_S11_S12_S16_S17_S18_S1B_S1C_jS1D_jS1E_S1E_jjS1G_bEUljE0_EEESZ_S10_S11_S18_S1C_S1E_T6_T7_T9_mT8_S1G_bDpT10_ENKUlT_T0_E_clISt17integral_constantIbLb0EES1T_IbLb1EEEEDaS1P_S1Q_EUlS1P_E_NS1_11comp_targetILNS1_3genE10ELNS1_11target_archE1200ELNS1_3gpuE4ELNS1_3repE0EEENS1_30default_config_static_selectorELNS0_4arch9wavefront6targetE0EEEvS12_.private_seg_size, 0
	.set _ZN7rocprim17ROCPRIM_400000_NS6detail17trampoline_kernelINS0_13select_configILj256ELj13ELNS0_17block_load_methodE3ELS4_3ELS4_3ELNS0_20block_scan_algorithmE0ELj4294967295EEENS1_25partition_config_selectorILNS1_17partition_subalgoE4EjNS0_10empty_typeEbEEZZNS1_14partition_implILS8_4ELb0ES6_15HIP_vector_typeIjLj2EENS0_17counting_iteratorIjlEEPS9_SG_NS0_5tupleIJPjSI_NS0_16reverse_iteratorISI_EEEEENSH_IJSG_SG_SG_EEES9_SI_JZNS1_25segmented_radix_sort_implINS0_14default_configELb1EPKfPfPKlPlN2at6native12_GLOBAL__N_18offset_tEEE10hipError_tPvRmT1_PNSt15iterator_traitsIS12_E10value_typeET2_T3_PNS13_IS18_E10value_typeET4_jRbjT5_S1E_jjP12ihipStream_tbEUljE_ZNSN_ISO_Lb1ESQ_SR_ST_SU_SY_EESZ_S10_S11_S12_S16_S17_S18_S1B_S1C_jS1D_jS1E_S1E_jjS1G_bEUljE0_EEESZ_S10_S11_S18_S1C_S1E_T6_T7_T9_mT8_S1G_bDpT10_ENKUlT_T0_E_clISt17integral_constantIbLb0EES1T_IbLb1EEEEDaS1P_S1Q_EUlS1P_E_NS1_11comp_targetILNS1_3genE10ELNS1_11target_archE1200ELNS1_3gpuE4ELNS1_3repE0EEENS1_30default_config_static_selectorELNS0_4arch9wavefront6targetE0EEEvS12_.uses_vcc, 1
	.set _ZN7rocprim17ROCPRIM_400000_NS6detail17trampoline_kernelINS0_13select_configILj256ELj13ELNS0_17block_load_methodE3ELS4_3ELS4_3ELNS0_20block_scan_algorithmE0ELj4294967295EEENS1_25partition_config_selectorILNS1_17partition_subalgoE4EjNS0_10empty_typeEbEEZZNS1_14partition_implILS8_4ELb0ES6_15HIP_vector_typeIjLj2EENS0_17counting_iteratorIjlEEPS9_SG_NS0_5tupleIJPjSI_NS0_16reverse_iteratorISI_EEEEENSH_IJSG_SG_SG_EEES9_SI_JZNS1_25segmented_radix_sort_implINS0_14default_configELb1EPKfPfPKlPlN2at6native12_GLOBAL__N_18offset_tEEE10hipError_tPvRmT1_PNSt15iterator_traitsIS12_E10value_typeET2_T3_PNS13_IS18_E10value_typeET4_jRbjT5_S1E_jjP12ihipStream_tbEUljE_ZNSN_ISO_Lb1ESQ_SR_ST_SU_SY_EESZ_S10_S11_S12_S16_S17_S18_S1B_S1C_jS1D_jS1E_S1E_jjS1G_bEUljE0_EEESZ_S10_S11_S18_S1C_S1E_T6_T7_T9_mT8_S1G_bDpT10_ENKUlT_T0_E_clISt17integral_constantIbLb0EES1T_IbLb1EEEEDaS1P_S1Q_EUlS1P_E_NS1_11comp_targetILNS1_3genE10ELNS1_11target_archE1200ELNS1_3gpuE4ELNS1_3repE0EEENS1_30default_config_static_selectorELNS0_4arch9wavefront6targetE0EEEvS12_.uses_flat_scratch, 0
	.set _ZN7rocprim17ROCPRIM_400000_NS6detail17trampoline_kernelINS0_13select_configILj256ELj13ELNS0_17block_load_methodE3ELS4_3ELS4_3ELNS0_20block_scan_algorithmE0ELj4294967295EEENS1_25partition_config_selectorILNS1_17partition_subalgoE4EjNS0_10empty_typeEbEEZZNS1_14partition_implILS8_4ELb0ES6_15HIP_vector_typeIjLj2EENS0_17counting_iteratorIjlEEPS9_SG_NS0_5tupleIJPjSI_NS0_16reverse_iteratorISI_EEEEENSH_IJSG_SG_SG_EEES9_SI_JZNS1_25segmented_radix_sort_implINS0_14default_configELb1EPKfPfPKlPlN2at6native12_GLOBAL__N_18offset_tEEE10hipError_tPvRmT1_PNSt15iterator_traitsIS12_E10value_typeET2_T3_PNS13_IS18_E10value_typeET4_jRbjT5_S1E_jjP12ihipStream_tbEUljE_ZNSN_ISO_Lb1ESQ_SR_ST_SU_SY_EESZ_S10_S11_S12_S16_S17_S18_S1B_S1C_jS1D_jS1E_S1E_jjS1G_bEUljE0_EEESZ_S10_S11_S18_S1C_S1E_T6_T7_T9_mT8_S1G_bDpT10_ENKUlT_T0_E_clISt17integral_constantIbLb0EES1T_IbLb1EEEEDaS1P_S1Q_EUlS1P_E_NS1_11comp_targetILNS1_3genE10ELNS1_11target_archE1200ELNS1_3gpuE4ELNS1_3repE0EEENS1_30default_config_static_selectorELNS0_4arch9wavefront6targetE0EEEvS12_.has_dyn_sized_stack, 0
	.set _ZN7rocprim17ROCPRIM_400000_NS6detail17trampoline_kernelINS0_13select_configILj256ELj13ELNS0_17block_load_methodE3ELS4_3ELS4_3ELNS0_20block_scan_algorithmE0ELj4294967295EEENS1_25partition_config_selectorILNS1_17partition_subalgoE4EjNS0_10empty_typeEbEEZZNS1_14partition_implILS8_4ELb0ES6_15HIP_vector_typeIjLj2EENS0_17counting_iteratorIjlEEPS9_SG_NS0_5tupleIJPjSI_NS0_16reverse_iteratorISI_EEEEENSH_IJSG_SG_SG_EEES9_SI_JZNS1_25segmented_radix_sort_implINS0_14default_configELb1EPKfPfPKlPlN2at6native12_GLOBAL__N_18offset_tEEE10hipError_tPvRmT1_PNSt15iterator_traitsIS12_E10value_typeET2_T3_PNS13_IS18_E10value_typeET4_jRbjT5_S1E_jjP12ihipStream_tbEUljE_ZNSN_ISO_Lb1ESQ_SR_ST_SU_SY_EESZ_S10_S11_S12_S16_S17_S18_S1B_S1C_jS1D_jS1E_S1E_jjS1G_bEUljE0_EEESZ_S10_S11_S18_S1C_S1E_T6_T7_T9_mT8_S1G_bDpT10_ENKUlT_T0_E_clISt17integral_constantIbLb0EES1T_IbLb1EEEEDaS1P_S1Q_EUlS1P_E_NS1_11comp_targetILNS1_3genE10ELNS1_11target_archE1200ELNS1_3gpuE4ELNS1_3repE0EEENS1_30default_config_static_selectorELNS0_4arch9wavefront6targetE0EEEvS12_.has_recursion, 0
	.set _ZN7rocprim17ROCPRIM_400000_NS6detail17trampoline_kernelINS0_13select_configILj256ELj13ELNS0_17block_load_methodE3ELS4_3ELS4_3ELNS0_20block_scan_algorithmE0ELj4294967295EEENS1_25partition_config_selectorILNS1_17partition_subalgoE4EjNS0_10empty_typeEbEEZZNS1_14partition_implILS8_4ELb0ES6_15HIP_vector_typeIjLj2EENS0_17counting_iteratorIjlEEPS9_SG_NS0_5tupleIJPjSI_NS0_16reverse_iteratorISI_EEEEENSH_IJSG_SG_SG_EEES9_SI_JZNS1_25segmented_radix_sort_implINS0_14default_configELb1EPKfPfPKlPlN2at6native12_GLOBAL__N_18offset_tEEE10hipError_tPvRmT1_PNSt15iterator_traitsIS12_E10value_typeET2_T3_PNS13_IS18_E10value_typeET4_jRbjT5_S1E_jjP12ihipStream_tbEUljE_ZNSN_ISO_Lb1ESQ_SR_ST_SU_SY_EESZ_S10_S11_S12_S16_S17_S18_S1B_S1C_jS1D_jS1E_S1E_jjS1G_bEUljE0_EEESZ_S10_S11_S18_S1C_S1E_T6_T7_T9_mT8_S1G_bDpT10_ENKUlT_T0_E_clISt17integral_constantIbLb0EES1T_IbLb1EEEEDaS1P_S1Q_EUlS1P_E_NS1_11comp_targetILNS1_3genE10ELNS1_11target_archE1200ELNS1_3gpuE4ELNS1_3repE0EEENS1_30default_config_static_selectorELNS0_4arch9wavefront6targetE0EEEvS12_.has_indirect_call, 0
	.section	.AMDGPU.csdata,"",@progbits
; Kernel info:
; codeLenInByte = 19208
; TotalNumSgprs: 57
; NumVgprs: 98
; ScratchSize: 0
; MemoryBound: 0
; FloatMode: 240
; IeeeMode: 1
; LDSByteSize: 13328 bytes/workgroup (compile time only)
; SGPRBlocks: 0
; VGPRBlocks: 12
; NumSGPRsForWavesPerEU: 57
; NumVGPRsForWavesPerEU: 98
; Occupancy: 12
; WaveLimiterHint : 1
; COMPUTE_PGM_RSRC2:SCRATCH_EN: 0
; COMPUTE_PGM_RSRC2:USER_SGPR: 2
; COMPUTE_PGM_RSRC2:TRAP_HANDLER: 0
; COMPUTE_PGM_RSRC2:TGID_X_EN: 1
; COMPUTE_PGM_RSRC2:TGID_Y_EN: 0
; COMPUTE_PGM_RSRC2:TGID_Z_EN: 0
; COMPUTE_PGM_RSRC2:TIDIG_COMP_CNT: 0
	.section	.text._ZN7rocprim17ROCPRIM_400000_NS6detail17trampoline_kernelINS0_13select_configILj256ELj13ELNS0_17block_load_methodE3ELS4_3ELS4_3ELNS0_20block_scan_algorithmE0ELj4294967295EEENS1_25partition_config_selectorILNS1_17partition_subalgoE4EjNS0_10empty_typeEbEEZZNS1_14partition_implILS8_4ELb0ES6_15HIP_vector_typeIjLj2EENS0_17counting_iteratorIjlEEPS9_SG_NS0_5tupleIJPjSI_NS0_16reverse_iteratorISI_EEEEENSH_IJSG_SG_SG_EEES9_SI_JZNS1_25segmented_radix_sort_implINS0_14default_configELb1EPKfPfPKlPlN2at6native12_GLOBAL__N_18offset_tEEE10hipError_tPvRmT1_PNSt15iterator_traitsIS12_E10value_typeET2_T3_PNS13_IS18_E10value_typeET4_jRbjT5_S1E_jjP12ihipStream_tbEUljE_ZNSN_ISO_Lb1ESQ_SR_ST_SU_SY_EESZ_S10_S11_S12_S16_S17_S18_S1B_S1C_jS1D_jS1E_S1E_jjS1G_bEUljE0_EEESZ_S10_S11_S18_S1C_S1E_T6_T7_T9_mT8_S1G_bDpT10_ENKUlT_T0_E_clISt17integral_constantIbLb0EES1T_IbLb1EEEEDaS1P_S1Q_EUlS1P_E_NS1_11comp_targetILNS1_3genE9ELNS1_11target_archE1100ELNS1_3gpuE3ELNS1_3repE0EEENS1_30default_config_static_selectorELNS0_4arch9wavefront6targetE0EEEvS12_,"axG",@progbits,_ZN7rocprim17ROCPRIM_400000_NS6detail17trampoline_kernelINS0_13select_configILj256ELj13ELNS0_17block_load_methodE3ELS4_3ELS4_3ELNS0_20block_scan_algorithmE0ELj4294967295EEENS1_25partition_config_selectorILNS1_17partition_subalgoE4EjNS0_10empty_typeEbEEZZNS1_14partition_implILS8_4ELb0ES6_15HIP_vector_typeIjLj2EENS0_17counting_iteratorIjlEEPS9_SG_NS0_5tupleIJPjSI_NS0_16reverse_iteratorISI_EEEEENSH_IJSG_SG_SG_EEES9_SI_JZNS1_25segmented_radix_sort_implINS0_14default_configELb1EPKfPfPKlPlN2at6native12_GLOBAL__N_18offset_tEEE10hipError_tPvRmT1_PNSt15iterator_traitsIS12_E10value_typeET2_T3_PNS13_IS18_E10value_typeET4_jRbjT5_S1E_jjP12ihipStream_tbEUljE_ZNSN_ISO_Lb1ESQ_SR_ST_SU_SY_EESZ_S10_S11_S12_S16_S17_S18_S1B_S1C_jS1D_jS1E_S1E_jjS1G_bEUljE0_EEESZ_S10_S11_S18_S1C_S1E_T6_T7_T9_mT8_S1G_bDpT10_ENKUlT_T0_E_clISt17integral_constantIbLb0EES1T_IbLb1EEEEDaS1P_S1Q_EUlS1P_E_NS1_11comp_targetILNS1_3genE9ELNS1_11target_archE1100ELNS1_3gpuE3ELNS1_3repE0EEENS1_30default_config_static_selectorELNS0_4arch9wavefront6targetE0EEEvS12_,comdat
	.globl	_ZN7rocprim17ROCPRIM_400000_NS6detail17trampoline_kernelINS0_13select_configILj256ELj13ELNS0_17block_load_methodE3ELS4_3ELS4_3ELNS0_20block_scan_algorithmE0ELj4294967295EEENS1_25partition_config_selectorILNS1_17partition_subalgoE4EjNS0_10empty_typeEbEEZZNS1_14partition_implILS8_4ELb0ES6_15HIP_vector_typeIjLj2EENS0_17counting_iteratorIjlEEPS9_SG_NS0_5tupleIJPjSI_NS0_16reverse_iteratorISI_EEEEENSH_IJSG_SG_SG_EEES9_SI_JZNS1_25segmented_radix_sort_implINS0_14default_configELb1EPKfPfPKlPlN2at6native12_GLOBAL__N_18offset_tEEE10hipError_tPvRmT1_PNSt15iterator_traitsIS12_E10value_typeET2_T3_PNS13_IS18_E10value_typeET4_jRbjT5_S1E_jjP12ihipStream_tbEUljE_ZNSN_ISO_Lb1ESQ_SR_ST_SU_SY_EESZ_S10_S11_S12_S16_S17_S18_S1B_S1C_jS1D_jS1E_S1E_jjS1G_bEUljE0_EEESZ_S10_S11_S18_S1C_S1E_T6_T7_T9_mT8_S1G_bDpT10_ENKUlT_T0_E_clISt17integral_constantIbLb0EES1T_IbLb1EEEEDaS1P_S1Q_EUlS1P_E_NS1_11comp_targetILNS1_3genE9ELNS1_11target_archE1100ELNS1_3gpuE3ELNS1_3repE0EEENS1_30default_config_static_selectorELNS0_4arch9wavefront6targetE0EEEvS12_ ; -- Begin function _ZN7rocprim17ROCPRIM_400000_NS6detail17trampoline_kernelINS0_13select_configILj256ELj13ELNS0_17block_load_methodE3ELS4_3ELS4_3ELNS0_20block_scan_algorithmE0ELj4294967295EEENS1_25partition_config_selectorILNS1_17partition_subalgoE4EjNS0_10empty_typeEbEEZZNS1_14partition_implILS8_4ELb0ES6_15HIP_vector_typeIjLj2EENS0_17counting_iteratorIjlEEPS9_SG_NS0_5tupleIJPjSI_NS0_16reverse_iteratorISI_EEEEENSH_IJSG_SG_SG_EEES9_SI_JZNS1_25segmented_radix_sort_implINS0_14default_configELb1EPKfPfPKlPlN2at6native12_GLOBAL__N_18offset_tEEE10hipError_tPvRmT1_PNSt15iterator_traitsIS12_E10value_typeET2_T3_PNS13_IS18_E10value_typeET4_jRbjT5_S1E_jjP12ihipStream_tbEUljE_ZNSN_ISO_Lb1ESQ_SR_ST_SU_SY_EESZ_S10_S11_S12_S16_S17_S18_S1B_S1C_jS1D_jS1E_S1E_jjS1G_bEUljE0_EEESZ_S10_S11_S18_S1C_S1E_T6_T7_T9_mT8_S1G_bDpT10_ENKUlT_T0_E_clISt17integral_constantIbLb0EES1T_IbLb1EEEEDaS1P_S1Q_EUlS1P_E_NS1_11comp_targetILNS1_3genE9ELNS1_11target_archE1100ELNS1_3gpuE3ELNS1_3repE0EEENS1_30default_config_static_selectorELNS0_4arch9wavefront6targetE0EEEvS12_
	.p2align	8
	.type	_ZN7rocprim17ROCPRIM_400000_NS6detail17trampoline_kernelINS0_13select_configILj256ELj13ELNS0_17block_load_methodE3ELS4_3ELS4_3ELNS0_20block_scan_algorithmE0ELj4294967295EEENS1_25partition_config_selectorILNS1_17partition_subalgoE4EjNS0_10empty_typeEbEEZZNS1_14partition_implILS8_4ELb0ES6_15HIP_vector_typeIjLj2EENS0_17counting_iteratorIjlEEPS9_SG_NS0_5tupleIJPjSI_NS0_16reverse_iteratorISI_EEEEENSH_IJSG_SG_SG_EEES9_SI_JZNS1_25segmented_radix_sort_implINS0_14default_configELb1EPKfPfPKlPlN2at6native12_GLOBAL__N_18offset_tEEE10hipError_tPvRmT1_PNSt15iterator_traitsIS12_E10value_typeET2_T3_PNS13_IS18_E10value_typeET4_jRbjT5_S1E_jjP12ihipStream_tbEUljE_ZNSN_ISO_Lb1ESQ_SR_ST_SU_SY_EESZ_S10_S11_S12_S16_S17_S18_S1B_S1C_jS1D_jS1E_S1E_jjS1G_bEUljE0_EEESZ_S10_S11_S18_S1C_S1E_T6_T7_T9_mT8_S1G_bDpT10_ENKUlT_T0_E_clISt17integral_constantIbLb0EES1T_IbLb1EEEEDaS1P_S1Q_EUlS1P_E_NS1_11comp_targetILNS1_3genE9ELNS1_11target_archE1100ELNS1_3gpuE3ELNS1_3repE0EEENS1_30default_config_static_selectorELNS0_4arch9wavefront6targetE0EEEvS12_,@function
_ZN7rocprim17ROCPRIM_400000_NS6detail17trampoline_kernelINS0_13select_configILj256ELj13ELNS0_17block_load_methodE3ELS4_3ELS4_3ELNS0_20block_scan_algorithmE0ELj4294967295EEENS1_25partition_config_selectorILNS1_17partition_subalgoE4EjNS0_10empty_typeEbEEZZNS1_14partition_implILS8_4ELb0ES6_15HIP_vector_typeIjLj2EENS0_17counting_iteratorIjlEEPS9_SG_NS0_5tupleIJPjSI_NS0_16reverse_iteratorISI_EEEEENSH_IJSG_SG_SG_EEES9_SI_JZNS1_25segmented_radix_sort_implINS0_14default_configELb1EPKfPfPKlPlN2at6native12_GLOBAL__N_18offset_tEEE10hipError_tPvRmT1_PNSt15iterator_traitsIS12_E10value_typeET2_T3_PNS13_IS18_E10value_typeET4_jRbjT5_S1E_jjP12ihipStream_tbEUljE_ZNSN_ISO_Lb1ESQ_SR_ST_SU_SY_EESZ_S10_S11_S12_S16_S17_S18_S1B_S1C_jS1D_jS1E_S1E_jjS1G_bEUljE0_EEESZ_S10_S11_S18_S1C_S1E_T6_T7_T9_mT8_S1G_bDpT10_ENKUlT_T0_E_clISt17integral_constantIbLb0EES1T_IbLb1EEEEDaS1P_S1Q_EUlS1P_E_NS1_11comp_targetILNS1_3genE9ELNS1_11target_archE1100ELNS1_3gpuE3ELNS1_3repE0EEENS1_30default_config_static_selectorELNS0_4arch9wavefront6targetE0EEEvS12_: ; @_ZN7rocprim17ROCPRIM_400000_NS6detail17trampoline_kernelINS0_13select_configILj256ELj13ELNS0_17block_load_methodE3ELS4_3ELS4_3ELNS0_20block_scan_algorithmE0ELj4294967295EEENS1_25partition_config_selectorILNS1_17partition_subalgoE4EjNS0_10empty_typeEbEEZZNS1_14partition_implILS8_4ELb0ES6_15HIP_vector_typeIjLj2EENS0_17counting_iteratorIjlEEPS9_SG_NS0_5tupleIJPjSI_NS0_16reverse_iteratorISI_EEEEENSH_IJSG_SG_SG_EEES9_SI_JZNS1_25segmented_radix_sort_implINS0_14default_configELb1EPKfPfPKlPlN2at6native12_GLOBAL__N_18offset_tEEE10hipError_tPvRmT1_PNSt15iterator_traitsIS12_E10value_typeET2_T3_PNS13_IS18_E10value_typeET4_jRbjT5_S1E_jjP12ihipStream_tbEUljE_ZNSN_ISO_Lb1ESQ_SR_ST_SU_SY_EESZ_S10_S11_S12_S16_S17_S18_S1B_S1C_jS1D_jS1E_S1E_jjS1G_bEUljE0_EEESZ_S10_S11_S18_S1C_S1E_T6_T7_T9_mT8_S1G_bDpT10_ENKUlT_T0_E_clISt17integral_constantIbLb0EES1T_IbLb1EEEEDaS1P_S1Q_EUlS1P_E_NS1_11comp_targetILNS1_3genE9ELNS1_11target_archE1100ELNS1_3gpuE3ELNS1_3repE0EEENS1_30default_config_static_selectorELNS0_4arch9wavefront6targetE0EEEvS12_
; %bb.0:
	.section	.rodata,"a",@progbits
	.p2align	6, 0x0
	.amdhsa_kernel _ZN7rocprim17ROCPRIM_400000_NS6detail17trampoline_kernelINS0_13select_configILj256ELj13ELNS0_17block_load_methodE3ELS4_3ELS4_3ELNS0_20block_scan_algorithmE0ELj4294967295EEENS1_25partition_config_selectorILNS1_17partition_subalgoE4EjNS0_10empty_typeEbEEZZNS1_14partition_implILS8_4ELb0ES6_15HIP_vector_typeIjLj2EENS0_17counting_iteratorIjlEEPS9_SG_NS0_5tupleIJPjSI_NS0_16reverse_iteratorISI_EEEEENSH_IJSG_SG_SG_EEES9_SI_JZNS1_25segmented_radix_sort_implINS0_14default_configELb1EPKfPfPKlPlN2at6native12_GLOBAL__N_18offset_tEEE10hipError_tPvRmT1_PNSt15iterator_traitsIS12_E10value_typeET2_T3_PNS13_IS18_E10value_typeET4_jRbjT5_S1E_jjP12ihipStream_tbEUljE_ZNSN_ISO_Lb1ESQ_SR_ST_SU_SY_EESZ_S10_S11_S12_S16_S17_S18_S1B_S1C_jS1D_jS1E_S1E_jjS1G_bEUljE0_EEESZ_S10_S11_S18_S1C_S1E_T6_T7_T9_mT8_S1G_bDpT10_ENKUlT_T0_E_clISt17integral_constantIbLb0EES1T_IbLb1EEEEDaS1P_S1Q_EUlS1P_E_NS1_11comp_targetILNS1_3genE9ELNS1_11target_archE1100ELNS1_3gpuE3ELNS1_3repE0EEENS1_30default_config_static_selectorELNS0_4arch9wavefront6targetE0EEEvS12_
		.amdhsa_group_segment_fixed_size 0
		.amdhsa_private_segment_fixed_size 0
		.amdhsa_kernarg_size 184
		.amdhsa_user_sgpr_count 2
		.amdhsa_user_sgpr_dispatch_ptr 0
		.amdhsa_user_sgpr_queue_ptr 0
		.amdhsa_user_sgpr_kernarg_segment_ptr 1
		.amdhsa_user_sgpr_dispatch_id 0
		.amdhsa_user_sgpr_private_segment_size 0
		.amdhsa_wavefront_size32 1
		.amdhsa_uses_dynamic_stack 0
		.amdhsa_enable_private_segment 0
		.amdhsa_system_sgpr_workgroup_id_x 1
		.amdhsa_system_sgpr_workgroup_id_y 0
		.amdhsa_system_sgpr_workgroup_id_z 0
		.amdhsa_system_sgpr_workgroup_info 0
		.amdhsa_system_vgpr_workitem_id 0
		.amdhsa_next_free_vgpr 1
		.amdhsa_next_free_sgpr 1
		.amdhsa_reserve_vcc 0
		.amdhsa_float_round_mode_32 0
		.amdhsa_float_round_mode_16_64 0
		.amdhsa_float_denorm_mode_32 3
		.amdhsa_float_denorm_mode_16_64 3
		.amdhsa_fp16_overflow 0
		.amdhsa_workgroup_processor_mode 1
		.amdhsa_memory_ordered 1
		.amdhsa_forward_progress 1
		.amdhsa_inst_pref_size 0
		.amdhsa_round_robin_scheduling 0
		.amdhsa_exception_fp_ieee_invalid_op 0
		.amdhsa_exception_fp_denorm_src 0
		.amdhsa_exception_fp_ieee_div_zero 0
		.amdhsa_exception_fp_ieee_overflow 0
		.amdhsa_exception_fp_ieee_underflow 0
		.amdhsa_exception_fp_ieee_inexact 0
		.amdhsa_exception_int_div_zero 0
	.end_amdhsa_kernel
	.section	.text._ZN7rocprim17ROCPRIM_400000_NS6detail17trampoline_kernelINS0_13select_configILj256ELj13ELNS0_17block_load_methodE3ELS4_3ELS4_3ELNS0_20block_scan_algorithmE0ELj4294967295EEENS1_25partition_config_selectorILNS1_17partition_subalgoE4EjNS0_10empty_typeEbEEZZNS1_14partition_implILS8_4ELb0ES6_15HIP_vector_typeIjLj2EENS0_17counting_iteratorIjlEEPS9_SG_NS0_5tupleIJPjSI_NS0_16reverse_iteratorISI_EEEEENSH_IJSG_SG_SG_EEES9_SI_JZNS1_25segmented_radix_sort_implINS0_14default_configELb1EPKfPfPKlPlN2at6native12_GLOBAL__N_18offset_tEEE10hipError_tPvRmT1_PNSt15iterator_traitsIS12_E10value_typeET2_T3_PNS13_IS18_E10value_typeET4_jRbjT5_S1E_jjP12ihipStream_tbEUljE_ZNSN_ISO_Lb1ESQ_SR_ST_SU_SY_EESZ_S10_S11_S12_S16_S17_S18_S1B_S1C_jS1D_jS1E_S1E_jjS1G_bEUljE0_EEESZ_S10_S11_S18_S1C_S1E_T6_T7_T9_mT8_S1G_bDpT10_ENKUlT_T0_E_clISt17integral_constantIbLb0EES1T_IbLb1EEEEDaS1P_S1Q_EUlS1P_E_NS1_11comp_targetILNS1_3genE9ELNS1_11target_archE1100ELNS1_3gpuE3ELNS1_3repE0EEENS1_30default_config_static_selectorELNS0_4arch9wavefront6targetE0EEEvS12_,"axG",@progbits,_ZN7rocprim17ROCPRIM_400000_NS6detail17trampoline_kernelINS0_13select_configILj256ELj13ELNS0_17block_load_methodE3ELS4_3ELS4_3ELNS0_20block_scan_algorithmE0ELj4294967295EEENS1_25partition_config_selectorILNS1_17partition_subalgoE4EjNS0_10empty_typeEbEEZZNS1_14partition_implILS8_4ELb0ES6_15HIP_vector_typeIjLj2EENS0_17counting_iteratorIjlEEPS9_SG_NS0_5tupleIJPjSI_NS0_16reverse_iteratorISI_EEEEENSH_IJSG_SG_SG_EEES9_SI_JZNS1_25segmented_radix_sort_implINS0_14default_configELb1EPKfPfPKlPlN2at6native12_GLOBAL__N_18offset_tEEE10hipError_tPvRmT1_PNSt15iterator_traitsIS12_E10value_typeET2_T3_PNS13_IS18_E10value_typeET4_jRbjT5_S1E_jjP12ihipStream_tbEUljE_ZNSN_ISO_Lb1ESQ_SR_ST_SU_SY_EESZ_S10_S11_S12_S16_S17_S18_S1B_S1C_jS1D_jS1E_S1E_jjS1G_bEUljE0_EEESZ_S10_S11_S18_S1C_S1E_T6_T7_T9_mT8_S1G_bDpT10_ENKUlT_T0_E_clISt17integral_constantIbLb0EES1T_IbLb1EEEEDaS1P_S1Q_EUlS1P_E_NS1_11comp_targetILNS1_3genE9ELNS1_11target_archE1100ELNS1_3gpuE3ELNS1_3repE0EEENS1_30default_config_static_selectorELNS0_4arch9wavefront6targetE0EEEvS12_,comdat
.Lfunc_end1291:
	.size	_ZN7rocprim17ROCPRIM_400000_NS6detail17trampoline_kernelINS0_13select_configILj256ELj13ELNS0_17block_load_methodE3ELS4_3ELS4_3ELNS0_20block_scan_algorithmE0ELj4294967295EEENS1_25partition_config_selectorILNS1_17partition_subalgoE4EjNS0_10empty_typeEbEEZZNS1_14partition_implILS8_4ELb0ES6_15HIP_vector_typeIjLj2EENS0_17counting_iteratorIjlEEPS9_SG_NS0_5tupleIJPjSI_NS0_16reverse_iteratorISI_EEEEENSH_IJSG_SG_SG_EEES9_SI_JZNS1_25segmented_radix_sort_implINS0_14default_configELb1EPKfPfPKlPlN2at6native12_GLOBAL__N_18offset_tEEE10hipError_tPvRmT1_PNSt15iterator_traitsIS12_E10value_typeET2_T3_PNS13_IS18_E10value_typeET4_jRbjT5_S1E_jjP12ihipStream_tbEUljE_ZNSN_ISO_Lb1ESQ_SR_ST_SU_SY_EESZ_S10_S11_S12_S16_S17_S18_S1B_S1C_jS1D_jS1E_S1E_jjS1G_bEUljE0_EEESZ_S10_S11_S18_S1C_S1E_T6_T7_T9_mT8_S1G_bDpT10_ENKUlT_T0_E_clISt17integral_constantIbLb0EES1T_IbLb1EEEEDaS1P_S1Q_EUlS1P_E_NS1_11comp_targetILNS1_3genE9ELNS1_11target_archE1100ELNS1_3gpuE3ELNS1_3repE0EEENS1_30default_config_static_selectorELNS0_4arch9wavefront6targetE0EEEvS12_, .Lfunc_end1291-_ZN7rocprim17ROCPRIM_400000_NS6detail17trampoline_kernelINS0_13select_configILj256ELj13ELNS0_17block_load_methodE3ELS4_3ELS4_3ELNS0_20block_scan_algorithmE0ELj4294967295EEENS1_25partition_config_selectorILNS1_17partition_subalgoE4EjNS0_10empty_typeEbEEZZNS1_14partition_implILS8_4ELb0ES6_15HIP_vector_typeIjLj2EENS0_17counting_iteratorIjlEEPS9_SG_NS0_5tupleIJPjSI_NS0_16reverse_iteratorISI_EEEEENSH_IJSG_SG_SG_EEES9_SI_JZNS1_25segmented_radix_sort_implINS0_14default_configELb1EPKfPfPKlPlN2at6native12_GLOBAL__N_18offset_tEEE10hipError_tPvRmT1_PNSt15iterator_traitsIS12_E10value_typeET2_T3_PNS13_IS18_E10value_typeET4_jRbjT5_S1E_jjP12ihipStream_tbEUljE_ZNSN_ISO_Lb1ESQ_SR_ST_SU_SY_EESZ_S10_S11_S12_S16_S17_S18_S1B_S1C_jS1D_jS1E_S1E_jjS1G_bEUljE0_EEESZ_S10_S11_S18_S1C_S1E_T6_T7_T9_mT8_S1G_bDpT10_ENKUlT_T0_E_clISt17integral_constantIbLb0EES1T_IbLb1EEEEDaS1P_S1Q_EUlS1P_E_NS1_11comp_targetILNS1_3genE9ELNS1_11target_archE1100ELNS1_3gpuE3ELNS1_3repE0EEENS1_30default_config_static_selectorELNS0_4arch9wavefront6targetE0EEEvS12_
                                        ; -- End function
	.set _ZN7rocprim17ROCPRIM_400000_NS6detail17trampoline_kernelINS0_13select_configILj256ELj13ELNS0_17block_load_methodE3ELS4_3ELS4_3ELNS0_20block_scan_algorithmE0ELj4294967295EEENS1_25partition_config_selectorILNS1_17partition_subalgoE4EjNS0_10empty_typeEbEEZZNS1_14partition_implILS8_4ELb0ES6_15HIP_vector_typeIjLj2EENS0_17counting_iteratorIjlEEPS9_SG_NS0_5tupleIJPjSI_NS0_16reverse_iteratorISI_EEEEENSH_IJSG_SG_SG_EEES9_SI_JZNS1_25segmented_radix_sort_implINS0_14default_configELb1EPKfPfPKlPlN2at6native12_GLOBAL__N_18offset_tEEE10hipError_tPvRmT1_PNSt15iterator_traitsIS12_E10value_typeET2_T3_PNS13_IS18_E10value_typeET4_jRbjT5_S1E_jjP12ihipStream_tbEUljE_ZNSN_ISO_Lb1ESQ_SR_ST_SU_SY_EESZ_S10_S11_S12_S16_S17_S18_S1B_S1C_jS1D_jS1E_S1E_jjS1G_bEUljE0_EEESZ_S10_S11_S18_S1C_S1E_T6_T7_T9_mT8_S1G_bDpT10_ENKUlT_T0_E_clISt17integral_constantIbLb0EES1T_IbLb1EEEEDaS1P_S1Q_EUlS1P_E_NS1_11comp_targetILNS1_3genE9ELNS1_11target_archE1100ELNS1_3gpuE3ELNS1_3repE0EEENS1_30default_config_static_selectorELNS0_4arch9wavefront6targetE0EEEvS12_.num_vgpr, 0
	.set _ZN7rocprim17ROCPRIM_400000_NS6detail17trampoline_kernelINS0_13select_configILj256ELj13ELNS0_17block_load_methodE3ELS4_3ELS4_3ELNS0_20block_scan_algorithmE0ELj4294967295EEENS1_25partition_config_selectorILNS1_17partition_subalgoE4EjNS0_10empty_typeEbEEZZNS1_14partition_implILS8_4ELb0ES6_15HIP_vector_typeIjLj2EENS0_17counting_iteratorIjlEEPS9_SG_NS0_5tupleIJPjSI_NS0_16reverse_iteratorISI_EEEEENSH_IJSG_SG_SG_EEES9_SI_JZNS1_25segmented_radix_sort_implINS0_14default_configELb1EPKfPfPKlPlN2at6native12_GLOBAL__N_18offset_tEEE10hipError_tPvRmT1_PNSt15iterator_traitsIS12_E10value_typeET2_T3_PNS13_IS18_E10value_typeET4_jRbjT5_S1E_jjP12ihipStream_tbEUljE_ZNSN_ISO_Lb1ESQ_SR_ST_SU_SY_EESZ_S10_S11_S12_S16_S17_S18_S1B_S1C_jS1D_jS1E_S1E_jjS1G_bEUljE0_EEESZ_S10_S11_S18_S1C_S1E_T6_T7_T9_mT8_S1G_bDpT10_ENKUlT_T0_E_clISt17integral_constantIbLb0EES1T_IbLb1EEEEDaS1P_S1Q_EUlS1P_E_NS1_11comp_targetILNS1_3genE9ELNS1_11target_archE1100ELNS1_3gpuE3ELNS1_3repE0EEENS1_30default_config_static_selectorELNS0_4arch9wavefront6targetE0EEEvS12_.num_agpr, 0
	.set _ZN7rocprim17ROCPRIM_400000_NS6detail17trampoline_kernelINS0_13select_configILj256ELj13ELNS0_17block_load_methodE3ELS4_3ELS4_3ELNS0_20block_scan_algorithmE0ELj4294967295EEENS1_25partition_config_selectorILNS1_17partition_subalgoE4EjNS0_10empty_typeEbEEZZNS1_14partition_implILS8_4ELb0ES6_15HIP_vector_typeIjLj2EENS0_17counting_iteratorIjlEEPS9_SG_NS0_5tupleIJPjSI_NS0_16reverse_iteratorISI_EEEEENSH_IJSG_SG_SG_EEES9_SI_JZNS1_25segmented_radix_sort_implINS0_14default_configELb1EPKfPfPKlPlN2at6native12_GLOBAL__N_18offset_tEEE10hipError_tPvRmT1_PNSt15iterator_traitsIS12_E10value_typeET2_T3_PNS13_IS18_E10value_typeET4_jRbjT5_S1E_jjP12ihipStream_tbEUljE_ZNSN_ISO_Lb1ESQ_SR_ST_SU_SY_EESZ_S10_S11_S12_S16_S17_S18_S1B_S1C_jS1D_jS1E_S1E_jjS1G_bEUljE0_EEESZ_S10_S11_S18_S1C_S1E_T6_T7_T9_mT8_S1G_bDpT10_ENKUlT_T0_E_clISt17integral_constantIbLb0EES1T_IbLb1EEEEDaS1P_S1Q_EUlS1P_E_NS1_11comp_targetILNS1_3genE9ELNS1_11target_archE1100ELNS1_3gpuE3ELNS1_3repE0EEENS1_30default_config_static_selectorELNS0_4arch9wavefront6targetE0EEEvS12_.numbered_sgpr, 0
	.set _ZN7rocprim17ROCPRIM_400000_NS6detail17trampoline_kernelINS0_13select_configILj256ELj13ELNS0_17block_load_methodE3ELS4_3ELS4_3ELNS0_20block_scan_algorithmE0ELj4294967295EEENS1_25partition_config_selectorILNS1_17partition_subalgoE4EjNS0_10empty_typeEbEEZZNS1_14partition_implILS8_4ELb0ES6_15HIP_vector_typeIjLj2EENS0_17counting_iteratorIjlEEPS9_SG_NS0_5tupleIJPjSI_NS0_16reverse_iteratorISI_EEEEENSH_IJSG_SG_SG_EEES9_SI_JZNS1_25segmented_radix_sort_implINS0_14default_configELb1EPKfPfPKlPlN2at6native12_GLOBAL__N_18offset_tEEE10hipError_tPvRmT1_PNSt15iterator_traitsIS12_E10value_typeET2_T3_PNS13_IS18_E10value_typeET4_jRbjT5_S1E_jjP12ihipStream_tbEUljE_ZNSN_ISO_Lb1ESQ_SR_ST_SU_SY_EESZ_S10_S11_S12_S16_S17_S18_S1B_S1C_jS1D_jS1E_S1E_jjS1G_bEUljE0_EEESZ_S10_S11_S18_S1C_S1E_T6_T7_T9_mT8_S1G_bDpT10_ENKUlT_T0_E_clISt17integral_constantIbLb0EES1T_IbLb1EEEEDaS1P_S1Q_EUlS1P_E_NS1_11comp_targetILNS1_3genE9ELNS1_11target_archE1100ELNS1_3gpuE3ELNS1_3repE0EEENS1_30default_config_static_selectorELNS0_4arch9wavefront6targetE0EEEvS12_.num_named_barrier, 0
	.set _ZN7rocprim17ROCPRIM_400000_NS6detail17trampoline_kernelINS0_13select_configILj256ELj13ELNS0_17block_load_methodE3ELS4_3ELS4_3ELNS0_20block_scan_algorithmE0ELj4294967295EEENS1_25partition_config_selectorILNS1_17partition_subalgoE4EjNS0_10empty_typeEbEEZZNS1_14partition_implILS8_4ELb0ES6_15HIP_vector_typeIjLj2EENS0_17counting_iteratorIjlEEPS9_SG_NS0_5tupleIJPjSI_NS0_16reverse_iteratorISI_EEEEENSH_IJSG_SG_SG_EEES9_SI_JZNS1_25segmented_radix_sort_implINS0_14default_configELb1EPKfPfPKlPlN2at6native12_GLOBAL__N_18offset_tEEE10hipError_tPvRmT1_PNSt15iterator_traitsIS12_E10value_typeET2_T3_PNS13_IS18_E10value_typeET4_jRbjT5_S1E_jjP12ihipStream_tbEUljE_ZNSN_ISO_Lb1ESQ_SR_ST_SU_SY_EESZ_S10_S11_S12_S16_S17_S18_S1B_S1C_jS1D_jS1E_S1E_jjS1G_bEUljE0_EEESZ_S10_S11_S18_S1C_S1E_T6_T7_T9_mT8_S1G_bDpT10_ENKUlT_T0_E_clISt17integral_constantIbLb0EES1T_IbLb1EEEEDaS1P_S1Q_EUlS1P_E_NS1_11comp_targetILNS1_3genE9ELNS1_11target_archE1100ELNS1_3gpuE3ELNS1_3repE0EEENS1_30default_config_static_selectorELNS0_4arch9wavefront6targetE0EEEvS12_.private_seg_size, 0
	.set _ZN7rocprim17ROCPRIM_400000_NS6detail17trampoline_kernelINS0_13select_configILj256ELj13ELNS0_17block_load_methodE3ELS4_3ELS4_3ELNS0_20block_scan_algorithmE0ELj4294967295EEENS1_25partition_config_selectorILNS1_17partition_subalgoE4EjNS0_10empty_typeEbEEZZNS1_14partition_implILS8_4ELb0ES6_15HIP_vector_typeIjLj2EENS0_17counting_iteratorIjlEEPS9_SG_NS0_5tupleIJPjSI_NS0_16reverse_iteratorISI_EEEEENSH_IJSG_SG_SG_EEES9_SI_JZNS1_25segmented_radix_sort_implINS0_14default_configELb1EPKfPfPKlPlN2at6native12_GLOBAL__N_18offset_tEEE10hipError_tPvRmT1_PNSt15iterator_traitsIS12_E10value_typeET2_T3_PNS13_IS18_E10value_typeET4_jRbjT5_S1E_jjP12ihipStream_tbEUljE_ZNSN_ISO_Lb1ESQ_SR_ST_SU_SY_EESZ_S10_S11_S12_S16_S17_S18_S1B_S1C_jS1D_jS1E_S1E_jjS1G_bEUljE0_EEESZ_S10_S11_S18_S1C_S1E_T6_T7_T9_mT8_S1G_bDpT10_ENKUlT_T0_E_clISt17integral_constantIbLb0EES1T_IbLb1EEEEDaS1P_S1Q_EUlS1P_E_NS1_11comp_targetILNS1_3genE9ELNS1_11target_archE1100ELNS1_3gpuE3ELNS1_3repE0EEENS1_30default_config_static_selectorELNS0_4arch9wavefront6targetE0EEEvS12_.uses_vcc, 0
	.set _ZN7rocprim17ROCPRIM_400000_NS6detail17trampoline_kernelINS0_13select_configILj256ELj13ELNS0_17block_load_methodE3ELS4_3ELS4_3ELNS0_20block_scan_algorithmE0ELj4294967295EEENS1_25partition_config_selectorILNS1_17partition_subalgoE4EjNS0_10empty_typeEbEEZZNS1_14partition_implILS8_4ELb0ES6_15HIP_vector_typeIjLj2EENS0_17counting_iteratorIjlEEPS9_SG_NS0_5tupleIJPjSI_NS0_16reverse_iteratorISI_EEEEENSH_IJSG_SG_SG_EEES9_SI_JZNS1_25segmented_radix_sort_implINS0_14default_configELb1EPKfPfPKlPlN2at6native12_GLOBAL__N_18offset_tEEE10hipError_tPvRmT1_PNSt15iterator_traitsIS12_E10value_typeET2_T3_PNS13_IS18_E10value_typeET4_jRbjT5_S1E_jjP12ihipStream_tbEUljE_ZNSN_ISO_Lb1ESQ_SR_ST_SU_SY_EESZ_S10_S11_S12_S16_S17_S18_S1B_S1C_jS1D_jS1E_S1E_jjS1G_bEUljE0_EEESZ_S10_S11_S18_S1C_S1E_T6_T7_T9_mT8_S1G_bDpT10_ENKUlT_T0_E_clISt17integral_constantIbLb0EES1T_IbLb1EEEEDaS1P_S1Q_EUlS1P_E_NS1_11comp_targetILNS1_3genE9ELNS1_11target_archE1100ELNS1_3gpuE3ELNS1_3repE0EEENS1_30default_config_static_selectorELNS0_4arch9wavefront6targetE0EEEvS12_.uses_flat_scratch, 0
	.set _ZN7rocprim17ROCPRIM_400000_NS6detail17trampoline_kernelINS0_13select_configILj256ELj13ELNS0_17block_load_methodE3ELS4_3ELS4_3ELNS0_20block_scan_algorithmE0ELj4294967295EEENS1_25partition_config_selectorILNS1_17partition_subalgoE4EjNS0_10empty_typeEbEEZZNS1_14partition_implILS8_4ELb0ES6_15HIP_vector_typeIjLj2EENS0_17counting_iteratorIjlEEPS9_SG_NS0_5tupleIJPjSI_NS0_16reverse_iteratorISI_EEEEENSH_IJSG_SG_SG_EEES9_SI_JZNS1_25segmented_radix_sort_implINS0_14default_configELb1EPKfPfPKlPlN2at6native12_GLOBAL__N_18offset_tEEE10hipError_tPvRmT1_PNSt15iterator_traitsIS12_E10value_typeET2_T3_PNS13_IS18_E10value_typeET4_jRbjT5_S1E_jjP12ihipStream_tbEUljE_ZNSN_ISO_Lb1ESQ_SR_ST_SU_SY_EESZ_S10_S11_S12_S16_S17_S18_S1B_S1C_jS1D_jS1E_S1E_jjS1G_bEUljE0_EEESZ_S10_S11_S18_S1C_S1E_T6_T7_T9_mT8_S1G_bDpT10_ENKUlT_T0_E_clISt17integral_constantIbLb0EES1T_IbLb1EEEEDaS1P_S1Q_EUlS1P_E_NS1_11comp_targetILNS1_3genE9ELNS1_11target_archE1100ELNS1_3gpuE3ELNS1_3repE0EEENS1_30default_config_static_selectorELNS0_4arch9wavefront6targetE0EEEvS12_.has_dyn_sized_stack, 0
	.set _ZN7rocprim17ROCPRIM_400000_NS6detail17trampoline_kernelINS0_13select_configILj256ELj13ELNS0_17block_load_methodE3ELS4_3ELS4_3ELNS0_20block_scan_algorithmE0ELj4294967295EEENS1_25partition_config_selectorILNS1_17partition_subalgoE4EjNS0_10empty_typeEbEEZZNS1_14partition_implILS8_4ELb0ES6_15HIP_vector_typeIjLj2EENS0_17counting_iteratorIjlEEPS9_SG_NS0_5tupleIJPjSI_NS0_16reverse_iteratorISI_EEEEENSH_IJSG_SG_SG_EEES9_SI_JZNS1_25segmented_radix_sort_implINS0_14default_configELb1EPKfPfPKlPlN2at6native12_GLOBAL__N_18offset_tEEE10hipError_tPvRmT1_PNSt15iterator_traitsIS12_E10value_typeET2_T3_PNS13_IS18_E10value_typeET4_jRbjT5_S1E_jjP12ihipStream_tbEUljE_ZNSN_ISO_Lb1ESQ_SR_ST_SU_SY_EESZ_S10_S11_S12_S16_S17_S18_S1B_S1C_jS1D_jS1E_S1E_jjS1G_bEUljE0_EEESZ_S10_S11_S18_S1C_S1E_T6_T7_T9_mT8_S1G_bDpT10_ENKUlT_T0_E_clISt17integral_constantIbLb0EES1T_IbLb1EEEEDaS1P_S1Q_EUlS1P_E_NS1_11comp_targetILNS1_3genE9ELNS1_11target_archE1100ELNS1_3gpuE3ELNS1_3repE0EEENS1_30default_config_static_selectorELNS0_4arch9wavefront6targetE0EEEvS12_.has_recursion, 0
	.set _ZN7rocprim17ROCPRIM_400000_NS6detail17trampoline_kernelINS0_13select_configILj256ELj13ELNS0_17block_load_methodE3ELS4_3ELS4_3ELNS0_20block_scan_algorithmE0ELj4294967295EEENS1_25partition_config_selectorILNS1_17partition_subalgoE4EjNS0_10empty_typeEbEEZZNS1_14partition_implILS8_4ELb0ES6_15HIP_vector_typeIjLj2EENS0_17counting_iteratorIjlEEPS9_SG_NS0_5tupleIJPjSI_NS0_16reverse_iteratorISI_EEEEENSH_IJSG_SG_SG_EEES9_SI_JZNS1_25segmented_radix_sort_implINS0_14default_configELb1EPKfPfPKlPlN2at6native12_GLOBAL__N_18offset_tEEE10hipError_tPvRmT1_PNSt15iterator_traitsIS12_E10value_typeET2_T3_PNS13_IS18_E10value_typeET4_jRbjT5_S1E_jjP12ihipStream_tbEUljE_ZNSN_ISO_Lb1ESQ_SR_ST_SU_SY_EESZ_S10_S11_S12_S16_S17_S18_S1B_S1C_jS1D_jS1E_S1E_jjS1G_bEUljE0_EEESZ_S10_S11_S18_S1C_S1E_T6_T7_T9_mT8_S1G_bDpT10_ENKUlT_T0_E_clISt17integral_constantIbLb0EES1T_IbLb1EEEEDaS1P_S1Q_EUlS1P_E_NS1_11comp_targetILNS1_3genE9ELNS1_11target_archE1100ELNS1_3gpuE3ELNS1_3repE0EEENS1_30default_config_static_selectorELNS0_4arch9wavefront6targetE0EEEvS12_.has_indirect_call, 0
	.section	.AMDGPU.csdata,"",@progbits
; Kernel info:
; codeLenInByte = 0
; TotalNumSgprs: 0
; NumVgprs: 0
; ScratchSize: 0
; MemoryBound: 0
; FloatMode: 240
; IeeeMode: 1
; LDSByteSize: 0 bytes/workgroup (compile time only)
; SGPRBlocks: 0
; VGPRBlocks: 0
; NumSGPRsForWavesPerEU: 1
; NumVGPRsForWavesPerEU: 1
; Occupancy: 16
; WaveLimiterHint : 0
; COMPUTE_PGM_RSRC2:SCRATCH_EN: 0
; COMPUTE_PGM_RSRC2:USER_SGPR: 2
; COMPUTE_PGM_RSRC2:TRAP_HANDLER: 0
; COMPUTE_PGM_RSRC2:TGID_X_EN: 1
; COMPUTE_PGM_RSRC2:TGID_Y_EN: 0
; COMPUTE_PGM_RSRC2:TGID_Z_EN: 0
; COMPUTE_PGM_RSRC2:TIDIG_COMP_CNT: 0
	.section	.text._ZN7rocprim17ROCPRIM_400000_NS6detail17trampoline_kernelINS0_13select_configILj256ELj13ELNS0_17block_load_methodE3ELS4_3ELS4_3ELNS0_20block_scan_algorithmE0ELj4294967295EEENS1_25partition_config_selectorILNS1_17partition_subalgoE4EjNS0_10empty_typeEbEEZZNS1_14partition_implILS8_4ELb0ES6_15HIP_vector_typeIjLj2EENS0_17counting_iteratorIjlEEPS9_SG_NS0_5tupleIJPjSI_NS0_16reverse_iteratorISI_EEEEENSH_IJSG_SG_SG_EEES9_SI_JZNS1_25segmented_radix_sort_implINS0_14default_configELb1EPKfPfPKlPlN2at6native12_GLOBAL__N_18offset_tEEE10hipError_tPvRmT1_PNSt15iterator_traitsIS12_E10value_typeET2_T3_PNS13_IS18_E10value_typeET4_jRbjT5_S1E_jjP12ihipStream_tbEUljE_ZNSN_ISO_Lb1ESQ_SR_ST_SU_SY_EESZ_S10_S11_S12_S16_S17_S18_S1B_S1C_jS1D_jS1E_S1E_jjS1G_bEUljE0_EEESZ_S10_S11_S18_S1C_S1E_T6_T7_T9_mT8_S1G_bDpT10_ENKUlT_T0_E_clISt17integral_constantIbLb0EES1T_IbLb1EEEEDaS1P_S1Q_EUlS1P_E_NS1_11comp_targetILNS1_3genE8ELNS1_11target_archE1030ELNS1_3gpuE2ELNS1_3repE0EEENS1_30default_config_static_selectorELNS0_4arch9wavefront6targetE0EEEvS12_,"axG",@progbits,_ZN7rocprim17ROCPRIM_400000_NS6detail17trampoline_kernelINS0_13select_configILj256ELj13ELNS0_17block_load_methodE3ELS4_3ELS4_3ELNS0_20block_scan_algorithmE0ELj4294967295EEENS1_25partition_config_selectorILNS1_17partition_subalgoE4EjNS0_10empty_typeEbEEZZNS1_14partition_implILS8_4ELb0ES6_15HIP_vector_typeIjLj2EENS0_17counting_iteratorIjlEEPS9_SG_NS0_5tupleIJPjSI_NS0_16reverse_iteratorISI_EEEEENSH_IJSG_SG_SG_EEES9_SI_JZNS1_25segmented_radix_sort_implINS0_14default_configELb1EPKfPfPKlPlN2at6native12_GLOBAL__N_18offset_tEEE10hipError_tPvRmT1_PNSt15iterator_traitsIS12_E10value_typeET2_T3_PNS13_IS18_E10value_typeET4_jRbjT5_S1E_jjP12ihipStream_tbEUljE_ZNSN_ISO_Lb1ESQ_SR_ST_SU_SY_EESZ_S10_S11_S12_S16_S17_S18_S1B_S1C_jS1D_jS1E_S1E_jjS1G_bEUljE0_EEESZ_S10_S11_S18_S1C_S1E_T6_T7_T9_mT8_S1G_bDpT10_ENKUlT_T0_E_clISt17integral_constantIbLb0EES1T_IbLb1EEEEDaS1P_S1Q_EUlS1P_E_NS1_11comp_targetILNS1_3genE8ELNS1_11target_archE1030ELNS1_3gpuE2ELNS1_3repE0EEENS1_30default_config_static_selectorELNS0_4arch9wavefront6targetE0EEEvS12_,comdat
	.globl	_ZN7rocprim17ROCPRIM_400000_NS6detail17trampoline_kernelINS0_13select_configILj256ELj13ELNS0_17block_load_methodE3ELS4_3ELS4_3ELNS0_20block_scan_algorithmE0ELj4294967295EEENS1_25partition_config_selectorILNS1_17partition_subalgoE4EjNS0_10empty_typeEbEEZZNS1_14partition_implILS8_4ELb0ES6_15HIP_vector_typeIjLj2EENS0_17counting_iteratorIjlEEPS9_SG_NS0_5tupleIJPjSI_NS0_16reverse_iteratorISI_EEEEENSH_IJSG_SG_SG_EEES9_SI_JZNS1_25segmented_radix_sort_implINS0_14default_configELb1EPKfPfPKlPlN2at6native12_GLOBAL__N_18offset_tEEE10hipError_tPvRmT1_PNSt15iterator_traitsIS12_E10value_typeET2_T3_PNS13_IS18_E10value_typeET4_jRbjT5_S1E_jjP12ihipStream_tbEUljE_ZNSN_ISO_Lb1ESQ_SR_ST_SU_SY_EESZ_S10_S11_S12_S16_S17_S18_S1B_S1C_jS1D_jS1E_S1E_jjS1G_bEUljE0_EEESZ_S10_S11_S18_S1C_S1E_T6_T7_T9_mT8_S1G_bDpT10_ENKUlT_T0_E_clISt17integral_constantIbLb0EES1T_IbLb1EEEEDaS1P_S1Q_EUlS1P_E_NS1_11comp_targetILNS1_3genE8ELNS1_11target_archE1030ELNS1_3gpuE2ELNS1_3repE0EEENS1_30default_config_static_selectorELNS0_4arch9wavefront6targetE0EEEvS12_ ; -- Begin function _ZN7rocprim17ROCPRIM_400000_NS6detail17trampoline_kernelINS0_13select_configILj256ELj13ELNS0_17block_load_methodE3ELS4_3ELS4_3ELNS0_20block_scan_algorithmE0ELj4294967295EEENS1_25partition_config_selectorILNS1_17partition_subalgoE4EjNS0_10empty_typeEbEEZZNS1_14partition_implILS8_4ELb0ES6_15HIP_vector_typeIjLj2EENS0_17counting_iteratorIjlEEPS9_SG_NS0_5tupleIJPjSI_NS0_16reverse_iteratorISI_EEEEENSH_IJSG_SG_SG_EEES9_SI_JZNS1_25segmented_radix_sort_implINS0_14default_configELb1EPKfPfPKlPlN2at6native12_GLOBAL__N_18offset_tEEE10hipError_tPvRmT1_PNSt15iterator_traitsIS12_E10value_typeET2_T3_PNS13_IS18_E10value_typeET4_jRbjT5_S1E_jjP12ihipStream_tbEUljE_ZNSN_ISO_Lb1ESQ_SR_ST_SU_SY_EESZ_S10_S11_S12_S16_S17_S18_S1B_S1C_jS1D_jS1E_S1E_jjS1G_bEUljE0_EEESZ_S10_S11_S18_S1C_S1E_T6_T7_T9_mT8_S1G_bDpT10_ENKUlT_T0_E_clISt17integral_constantIbLb0EES1T_IbLb1EEEEDaS1P_S1Q_EUlS1P_E_NS1_11comp_targetILNS1_3genE8ELNS1_11target_archE1030ELNS1_3gpuE2ELNS1_3repE0EEENS1_30default_config_static_selectorELNS0_4arch9wavefront6targetE0EEEvS12_
	.p2align	8
	.type	_ZN7rocprim17ROCPRIM_400000_NS6detail17trampoline_kernelINS0_13select_configILj256ELj13ELNS0_17block_load_methodE3ELS4_3ELS4_3ELNS0_20block_scan_algorithmE0ELj4294967295EEENS1_25partition_config_selectorILNS1_17partition_subalgoE4EjNS0_10empty_typeEbEEZZNS1_14partition_implILS8_4ELb0ES6_15HIP_vector_typeIjLj2EENS0_17counting_iteratorIjlEEPS9_SG_NS0_5tupleIJPjSI_NS0_16reverse_iteratorISI_EEEEENSH_IJSG_SG_SG_EEES9_SI_JZNS1_25segmented_radix_sort_implINS0_14default_configELb1EPKfPfPKlPlN2at6native12_GLOBAL__N_18offset_tEEE10hipError_tPvRmT1_PNSt15iterator_traitsIS12_E10value_typeET2_T3_PNS13_IS18_E10value_typeET4_jRbjT5_S1E_jjP12ihipStream_tbEUljE_ZNSN_ISO_Lb1ESQ_SR_ST_SU_SY_EESZ_S10_S11_S12_S16_S17_S18_S1B_S1C_jS1D_jS1E_S1E_jjS1G_bEUljE0_EEESZ_S10_S11_S18_S1C_S1E_T6_T7_T9_mT8_S1G_bDpT10_ENKUlT_T0_E_clISt17integral_constantIbLb0EES1T_IbLb1EEEEDaS1P_S1Q_EUlS1P_E_NS1_11comp_targetILNS1_3genE8ELNS1_11target_archE1030ELNS1_3gpuE2ELNS1_3repE0EEENS1_30default_config_static_selectorELNS0_4arch9wavefront6targetE0EEEvS12_,@function
_ZN7rocprim17ROCPRIM_400000_NS6detail17trampoline_kernelINS0_13select_configILj256ELj13ELNS0_17block_load_methodE3ELS4_3ELS4_3ELNS0_20block_scan_algorithmE0ELj4294967295EEENS1_25partition_config_selectorILNS1_17partition_subalgoE4EjNS0_10empty_typeEbEEZZNS1_14partition_implILS8_4ELb0ES6_15HIP_vector_typeIjLj2EENS0_17counting_iteratorIjlEEPS9_SG_NS0_5tupleIJPjSI_NS0_16reverse_iteratorISI_EEEEENSH_IJSG_SG_SG_EEES9_SI_JZNS1_25segmented_radix_sort_implINS0_14default_configELb1EPKfPfPKlPlN2at6native12_GLOBAL__N_18offset_tEEE10hipError_tPvRmT1_PNSt15iterator_traitsIS12_E10value_typeET2_T3_PNS13_IS18_E10value_typeET4_jRbjT5_S1E_jjP12ihipStream_tbEUljE_ZNSN_ISO_Lb1ESQ_SR_ST_SU_SY_EESZ_S10_S11_S12_S16_S17_S18_S1B_S1C_jS1D_jS1E_S1E_jjS1G_bEUljE0_EEESZ_S10_S11_S18_S1C_S1E_T6_T7_T9_mT8_S1G_bDpT10_ENKUlT_T0_E_clISt17integral_constantIbLb0EES1T_IbLb1EEEEDaS1P_S1Q_EUlS1P_E_NS1_11comp_targetILNS1_3genE8ELNS1_11target_archE1030ELNS1_3gpuE2ELNS1_3repE0EEENS1_30default_config_static_selectorELNS0_4arch9wavefront6targetE0EEEvS12_: ; @_ZN7rocprim17ROCPRIM_400000_NS6detail17trampoline_kernelINS0_13select_configILj256ELj13ELNS0_17block_load_methodE3ELS4_3ELS4_3ELNS0_20block_scan_algorithmE0ELj4294967295EEENS1_25partition_config_selectorILNS1_17partition_subalgoE4EjNS0_10empty_typeEbEEZZNS1_14partition_implILS8_4ELb0ES6_15HIP_vector_typeIjLj2EENS0_17counting_iteratorIjlEEPS9_SG_NS0_5tupleIJPjSI_NS0_16reverse_iteratorISI_EEEEENSH_IJSG_SG_SG_EEES9_SI_JZNS1_25segmented_radix_sort_implINS0_14default_configELb1EPKfPfPKlPlN2at6native12_GLOBAL__N_18offset_tEEE10hipError_tPvRmT1_PNSt15iterator_traitsIS12_E10value_typeET2_T3_PNS13_IS18_E10value_typeET4_jRbjT5_S1E_jjP12ihipStream_tbEUljE_ZNSN_ISO_Lb1ESQ_SR_ST_SU_SY_EESZ_S10_S11_S12_S16_S17_S18_S1B_S1C_jS1D_jS1E_S1E_jjS1G_bEUljE0_EEESZ_S10_S11_S18_S1C_S1E_T6_T7_T9_mT8_S1G_bDpT10_ENKUlT_T0_E_clISt17integral_constantIbLb0EES1T_IbLb1EEEEDaS1P_S1Q_EUlS1P_E_NS1_11comp_targetILNS1_3genE8ELNS1_11target_archE1030ELNS1_3gpuE2ELNS1_3repE0EEENS1_30default_config_static_selectorELNS0_4arch9wavefront6targetE0EEEvS12_
; %bb.0:
	.section	.rodata,"a",@progbits
	.p2align	6, 0x0
	.amdhsa_kernel _ZN7rocprim17ROCPRIM_400000_NS6detail17trampoline_kernelINS0_13select_configILj256ELj13ELNS0_17block_load_methodE3ELS4_3ELS4_3ELNS0_20block_scan_algorithmE0ELj4294967295EEENS1_25partition_config_selectorILNS1_17partition_subalgoE4EjNS0_10empty_typeEbEEZZNS1_14partition_implILS8_4ELb0ES6_15HIP_vector_typeIjLj2EENS0_17counting_iteratorIjlEEPS9_SG_NS0_5tupleIJPjSI_NS0_16reverse_iteratorISI_EEEEENSH_IJSG_SG_SG_EEES9_SI_JZNS1_25segmented_radix_sort_implINS0_14default_configELb1EPKfPfPKlPlN2at6native12_GLOBAL__N_18offset_tEEE10hipError_tPvRmT1_PNSt15iterator_traitsIS12_E10value_typeET2_T3_PNS13_IS18_E10value_typeET4_jRbjT5_S1E_jjP12ihipStream_tbEUljE_ZNSN_ISO_Lb1ESQ_SR_ST_SU_SY_EESZ_S10_S11_S12_S16_S17_S18_S1B_S1C_jS1D_jS1E_S1E_jjS1G_bEUljE0_EEESZ_S10_S11_S18_S1C_S1E_T6_T7_T9_mT8_S1G_bDpT10_ENKUlT_T0_E_clISt17integral_constantIbLb0EES1T_IbLb1EEEEDaS1P_S1Q_EUlS1P_E_NS1_11comp_targetILNS1_3genE8ELNS1_11target_archE1030ELNS1_3gpuE2ELNS1_3repE0EEENS1_30default_config_static_selectorELNS0_4arch9wavefront6targetE0EEEvS12_
		.amdhsa_group_segment_fixed_size 0
		.amdhsa_private_segment_fixed_size 0
		.amdhsa_kernarg_size 184
		.amdhsa_user_sgpr_count 2
		.amdhsa_user_sgpr_dispatch_ptr 0
		.amdhsa_user_sgpr_queue_ptr 0
		.amdhsa_user_sgpr_kernarg_segment_ptr 1
		.amdhsa_user_sgpr_dispatch_id 0
		.amdhsa_user_sgpr_private_segment_size 0
		.amdhsa_wavefront_size32 1
		.amdhsa_uses_dynamic_stack 0
		.amdhsa_enable_private_segment 0
		.amdhsa_system_sgpr_workgroup_id_x 1
		.amdhsa_system_sgpr_workgroup_id_y 0
		.amdhsa_system_sgpr_workgroup_id_z 0
		.amdhsa_system_sgpr_workgroup_info 0
		.amdhsa_system_vgpr_workitem_id 0
		.amdhsa_next_free_vgpr 1
		.amdhsa_next_free_sgpr 1
		.amdhsa_reserve_vcc 0
		.amdhsa_float_round_mode_32 0
		.amdhsa_float_round_mode_16_64 0
		.amdhsa_float_denorm_mode_32 3
		.amdhsa_float_denorm_mode_16_64 3
		.amdhsa_fp16_overflow 0
		.amdhsa_workgroup_processor_mode 1
		.amdhsa_memory_ordered 1
		.amdhsa_forward_progress 1
		.amdhsa_inst_pref_size 0
		.amdhsa_round_robin_scheduling 0
		.amdhsa_exception_fp_ieee_invalid_op 0
		.amdhsa_exception_fp_denorm_src 0
		.amdhsa_exception_fp_ieee_div_zero 0
		.amdhsa_exception_fp_ieee_overflow 0
		.amdhsa_exception_fp_ieee_underflow 0
		.amdhsa_exception_fp_ieee_inexact 0
		.amdhsa_exception_int_div_zero 0
	.end_amdhsa_kernel
	.section	.text._ZN7rocprim17ROCPRIM_400000_NS6detail17trampoline_kernelINS0_13select_configILj256ELj13ELNS0_17block_load_methodE3ELS4_3ELS4_3ELNS0_20block_scan_algorithmE0ELj4294967295EEENS1_25partition_config_selectorILNS1_17partition_subalgoE4EjNS0_10empty_typeEbEEZZNS1_14partition_implILS8_4ELb0ES6_15HIP_vector_typeIjLj2EENS0_17counting_iteratorIjlEEPS9_SG_NS0_5tupleIJPjSI_NS0_16reverse_iteratorISI_EEEEENSH_IJSG_SG_SG_EEES9_SI_JZNS1_25segmented_radix_sort_implINS0_14default_configELb1EPKfPfPKlPlN2at6native12_GLOBAL__N_18offset_tEEE10hipError_tPvRmT1_PNSt15iterator_traitsIS12_E10value_typeET2_T3_PNS13_IS18_E10value_typeET4_jRbjT5_S1E_jjP12ihipStream_tbEUljE_ZNSN_ISO_Lb1ESQ_SR_ST_SU_SY_EESZ_S10_S11_S12_S16_S17_S18_S1B_S1C_jS1D_jS1E_S1E_jjS1G_bEUljE0_EEESZ_S10_S11_S18_S1C_S1E_T6_T7_T9_mT8_S1G_bDpT10_ENKUlT_T0_E_clISt17integral_constantIbLb0EES1T_IbLb1EEEEDaS1P_S1Q_EUlS1P_E_NS1_11comp_targetILNS1_3genE8ELNS1_11target_archE1030ELNS1_3gpuE2ELNS1_3repE0EEENS1_30default_config_static_selectorELNS0_4arch9wavefront6targetE0EEEvS12_,"axG",@progbits,_ZN7rocprim17ROCPRIM_400000_NS6detail17trampoline_kernelINS0_13select_configILj256ELj13ELNS0_17block_load_methodE3ELS4_3ELS4_3ELNS0_20block_scan_algorithmE0ELj4294967295EEENS1_25partition_config_selectorILNS1_17partition_subalgoE4EjNS0_10empty_typeEbEEZZNS1_14partition_implILS8_4ELb0ES6_15HIP_vector_typeIjLj2EENS0_17counting_iteratorIjlEEPS9_SG_NS0_5tupleIJPjSI_NS0_16reverse_iteratorISI_EEEEENSH_IJSG_SG_SG_EEES9_SI_JZNS1_25segmented_radix_sort_implINS0_14default_configELb1EPKfPfPKlPlN2at6native12_GLOBAL__N_18offset_tEEE10hipError_tPvRmT1_PNSt15iterator_traitsIS12_E10value_typeET2_T3_PNS13_IS18_E10value_typeET4_jRbjT5_S1E_jjP12ihipStream_tbEUljE_ZNSN_ISO_Lb1ESQ_SR_ST_SU_SY_EESZ_S10_S11_S12_S16_S17_S18_S1B_S1C_jS1D_jS1E_S1E_jjS1G_bEUljE0_EEESZ_S10_S11_S18_S1C_S1E_T6_T7_T9_mT8_S1G_bDpT10_ENKUlT_T0_E_clISt17integral_constantIbLb0EES1T_IbLb1EEEEDaS1P_S1Q_EUlS1P_E_NS1_11comp_targetILNS1_3genE8ELNS1_11target_archE1030ELNS1_3gpuE2ELNS1_3repE0EEENS1_30default_config_static_selectorELNS0_4arch9wavefront6targetE0EEEvS12_,comdat
.Lfunc_end1292:
	.size	_ZN7rocprim17ROCPRIM_400000_NS6detail17trampoline_kernelINS0_13select_configILj256ELj13ELNS0_17block_load_methodE3ELS4_3ELS4_3ELNS0_20block_scan_algorithmE0ELj4294967295EEENS1_25partition_config_selectorILNS1_17partition_subalgoE4EjNS0_10empty_typeEbEEZZNS1_14partition_implILS8_4ELb0ES6_15HIP_vector_typeIjLj2EENS0_17counting_iteratorIjlEEPS9_SG_NS0_5tupleIJPjSI_NS0_16reverse_iteratorISI_EEEEENSH_IJSG_SG_SG_EEES9_SI_JZNS1_25segmented_radix_sort_implINS0_14default_configELb1EPKfPfPKlPlN2at6native12_GLOBAL__N_18offset_tEEE10hipError_tPvRmT1_PNSt15iterator_traitsIS12_E10value_typeET2_T3_PNS13_IS18_E10value_typeET4_jRbjT5_S1E_jjP12ihipStream_tbEUljE_ZNSN_ISO_Lb1ESQ_SR_ST_SU_SY_EESZ_S10_S11_S12_S16_S17_S18_S1B_S1C_jS1D_jS1E_S1E_jjS1G_bEUljE0_EEESZ_S10_S11_S18_S1C_S1E_T6_T7_T9_mT8_S1G_bDpT10_ENKUlT_T0_E_clISt17integral_constantIbLb0EES1T_IbLb1EEEEDaS1P_S1Q_EUlS1P_E_NS1_11comp_targetILNS1_3genE8ELNS1_11target_archE1030ELNS1_3gpuE2ELNS1_3repE0EEENS1_30default_config_static_selectorELNS0_4arch9wavefront6targetE0EEEvS12_, .Lfunc_end1292-_ZN7rocprim17ROCPRIM_400000_NS6detail17trampoline_kernelINS0_13select_configILj256ELj13ELNS0_17block_load_methodE3ELS4_3ELS4_3ELNS0_20block_scan_algorithmE0ELj4294967295EEENS1_25partition_config_selectorILNS1_17partition_subalgoE4EjNS0_10empty_typeEbEEZZNS1_14partition_implILS8_4ELb0ES6_15HIP_vector_typeIjLj2EENS0_17counting_iteratorIjlEEPS9_SG_NS0_5tupleIJPjSI_NS0_16reverse_iteratorISI_EEEEENSH_IJSG_SG_SG_EEES9_SI_JZNS1_25segmented_radix_sort_implINS0_14default_configELb1EPKfPfPKlPlN2at6native12_GLOBAL__N_18offset_tEEE10hipError_tPvRmT1_PNSt15iterator_traitsIS12_E10value_typeET2_T3_PNS13_IS18_E10value_typeET4_jRbjT5_S1E_jjP12ihipStream_tbEUljE_ZNSN_ISO_Lb1ESQ_SR_ST_SU_SY_EESZ_S10_S11_S12_S16_S17_S18_S1B_S1C_jS1D_jS1E_S1E_jjS1G_bEUljE0_EEESZ_S10_S11_S18_S1C_S1E_T6_T7_T9_mT8_S1G_bDpT10_ENKUlT_T0_E_clISt17integral_constantIbLb0EES1T_IbLb1EEEEDaS1P_S1Q_EUlS1P_E_NS1_11comp_targetILNS1_3genE8ELNS1_11target_archE1030ELNS1_3gpuE2ELNS1_3repE0EEENS1_30default_config_static_selectorELNS0_4arch9wavefront6targetE0EEEvS12_
                                        ; -- End function
	.set _ZN7rocprim17ROCPRIM_400000_NS6detail17trampoline_kernelINS0_13select_configILj256ELj13ELNS0_17block_load_methodE3ELS4_3ELS4_3ELNS0_20block_scan_algorithmE0ELj4294967295EEENS1_25partition_config_selectorILNS1_17partition_subalgoE4EjNS0_10empty_typeEbEEZZNS1_14partition_implILS8_4ELb0ES6_15HIP_vector_typeIjLj2EENS0_17counting_iteratorIjlEEPS9_SG_NS0_5tupleIJPjSI_NS0_16reverse_iteratorISI_EEEEENSH_IJSG_SG_SG_EEES9_SI_JZNS1_25segmented_radix_sort_implINS0_14default_configELb1EPKfPfPKlPlN2at6native12_GLOBAL__N_18offset_tEEE10hipError_tPvRmT1_PNSt15iterator_traitsIS12_E10value_typeET2_T3_PNS13_IS18_E10value_typeET4_jRbjT5_S1E_jjP12ihipStream_tbEUljE_ZNSN_ISO_Lb1ESQ_SR_ST_SU_SY_EESZ_S10_S11_S12_S16_S17_S18_S1B_S1C_jS1D_jS1E_S1E_jjS1G_bEUljE0_EEESZ_S10_S11_S18_S1C_S1E_T6_T7_T9_mT8_S1G_bDpT10_ENKUlT_T0_E_clISt17integral_constantIbLb0EES1T_IbLb1EEEEDaS1P_S1Q_EUlS1P_E_NS1_11comp_targetILNS1_3genE8ELNS1_11target_archE1030ELNS1_3gpuE2ELNS1_3repE0EEENS1_30default_config_static_selectorELNS0_4arch9wavefront6targetE0EEEvS12_.num_vgpr, 0
	.set _ZN7rocprim17ROCPRIM_400000_NS6detail17trampoline_kernelINS0_13select_configILj256ELj13ELNS0_17block_load_methodE3ELS4_3ELS4_3ELNS0_20block_scan_algorithmE0ELj4294967295EEENS1_25partition_config_selectorILNS1_17partition_subalgoE4EjNS0_10empty_typeEbEEZZNS1_14partition_implILS8_4ELb0ES6_15HIP_vector_typeIjLj2EENS0_17counting_iteratorIjlEEPS9_SG_NS0_5tupleIJPjSI_NS0_16reverse_iteratorISI_EEEEENSH_IJSG_SG_SG_EEES9_SI_JZNS1_25segmented_radix_sort_implINS0_14default_configELb1EPKfPfPKlPlN2at6native12_GLOBAL__N_18offset_tEEE10hipError_tPvRmT1_PNSt15iterator_traitsIS12_E10value_typeET2_T3_PNS13_IS18_E10value_typeET4_jRbjT5_S1E_jjP12ihipStream_tbEUljE_ZNSN_ISO_Lb1ESQ_SR_ST_SU_SY_EESZ_S10_S11_S12_S16_S17_S18_S1B_S1C_jS1D_jS1E_S1E_jjS1G_bEUljE0_EEESZ_S10_S11_S18_S1C_S1E_T6_T7_T9_mT8_S1G_bDpT10_ENKUlT_T0_E_clISt17integral_constantIbLb0EES1T_IbLb1EEEEDaS1P_S1Q_EUlS1P_E_NS1_11comp_targetILNS1_3genE8ELNS1_11target_archE1030ELNS1_3gpuE2ELNS1_3repE0EEENS1_30default_config_static_selectorELNS0_4arch9wavefront6targetE0EEEvS12_.num_agpr, 0
	.set _ZN7rocprim17ROCPRIM_400000_NS6detail17trampoline_kernelINS0_13select_configILj256ELj13ELNS0_17block_load_methodE3ELS4_3ELS4_3ELNS0_20block_scan_algorithmE0ELj4294967295EEENS1_25partition_config_selectorILNS1_17partition_subalgoE4EjNS0_10empty_typeEbEEZZNS1_14partition_implILS8_4ELb0ES6_15HIP_vector_typeIjLj2EENS0_17counting_iteratorIjlEEPS9_SG_NS0_5tupleIJPjSI_NS0_16reverse_iteratorISI_EEEEENSH_IJSG_SG_SG_EEES9_SI_JZNS1_25segmented_radix_sort_implINS0_14default_configELb1EPKfPfPKlPlN2at6native12_GLOBAL__N_18offset_tEEE10hipError_tPvRmT1_PNSt15iterator_traitsIS12_E10value_typeET2_T3_PNS13_IS18_E10value_typeET4_jRbjT5_S1E_jjP12ihipStream_tbEUljE_ZNSN_ISO_Lb1ESQ_SR_ST_SU_SY_EESZ_S10_S11_S12_S16_S17_S18_S1B_S1C_jS1D_jS1E_S1E_jjS1G_bEUljE0_EEESZ_S10_S11_S18_S1C_S1E_T6_T7_T9_mT8_S1G_bDpT10_ENKUlT_T0_E_clISt17integral_constantIbLb0EES1T_IbLb1EEEEDaS1P_S1Q_EUlS1P_E_NS1_11comp_targetILNS1_3genE8ELNS1_11target_archE1030ELNS1_3gpuE2ELNS1_3repE0EEENS1_30default_config_static_selectorELNS0_4arch9wavefront6targetE0EEEvS12_.numbered_sgpr, 0
	.set _ZN7rocprim17ROCPRIM_400000_NS6detail17trampoline_kernelINS0_13select_configILj256ELj13ELNS0_17block_load_methodE3ELS4_3ELS4_3ELNS0_20block_scan_algorithmE0ELj4294967295EEENS1_25partition_config_selectorILNS1_17partition_subalgoE4EjNS0_10empty_typeEbEEZZNS1_14partition_implILS8_4ELb0ES6_15HIP_vector_typeIjLj2EENS0_17counting_iteratorIjlEEPS9_SG_NS0_5tupleIJPjSI_NS0_16reverse_iteratorISI_EEEEENSH_IJSG_SG_SG_EEES9_SI_JZNS1_25segmented_radix_sort_implINS0_14default_configELb1EPKfPfPKlPlN2at6native12_GLOBAL__N_18offset_tEEE10hipError_tPvRmT1_PNSt15iterator_traitsIS12_E10value_typeET2_T3_PNS13_IS18_E10value_typeET4_jRbjT5_S1E_jjP12ihipStream_tbEUljE_ZNSN_ISO_Lb1ESQ_SR_ST_SU_SY_EESZ_S10_S11_S12_S16_S17_S18_S1B_S1C_jS1D_jS1E_S1E_jjS1G_bEUljE0_EEESZ_S10_S11_S18_S1C_S1E_T6_T7_T9_mT8_S1G_bDpT10_ENKUlT_T0_E_clISt17integral_constantIbLb0EES1T_IbLb1EEEEDaS1P_S1Q_EUlS1P_E_NS1_11comp_targetILNS1_3genE8ELNS1_11target_archE1030ELNS1_3gpuE2ELNS1_3repE0EEENS1_30default_config_static_selectorELNS0_4arch9wavefront6targetE0EEEvS12_.num_named_barrier, 0
	.set _ZN7rocprim17ROCPRIM_400000_NS6detail17trampoline_kernelINS0_13select_configILj256ELj13ELNS0_17block_load_methodE3ELS4_3ELS4_3ELNS0_20block_scan_algorithmE0ELj4294967295EEENS1_25partition_config_selectorILNS1_17partition_subalgoE4EjNS0_10empty_typeEbEEZZNS1_14partition_implILS8_4ELb0ES6_15HIP_vector_typeIjLj2EENS0_17counting_iteratorIjlEEPS9_SG_NS0_5tupleIJPjSI_NS0_16reverse_iteratorISI_EEEEENSH_IJSG_SG_SG_EEES9_SI_JZNS1_25segmented_radix_sort_implINS0_14default_configELb1EPKfPfPKlPlN2at6native12_GLOBAL__N_18offset_tEEE10hipError_tPvRmT1_PNSt15iterator_traitsIS12_E10value_typeET2_T3_PNS13_IS18_E10value_typeET4_jRbjT5_S1E_jjP12ihipStream_tbEUljE_ZNSN_ISO_Lb1ESQ_SR_ST_SU_SY_EESZ_S10_S11_S12_S16_S17_S18_S1B_S1C_jS1D_jS1E_S1E_jjS1G_bEUljE0_EEESZ_S10_S11_S18_S1C_S1E_T6_T7_T9_mT8_S1G_bDpT10_ENKUlT_T0_E_clISt17integral_constantIbLb0EES1T_IbLb1EEEEDaS1P_S1Q_EUlS1P_E_NS1_11comp_targetILNS1_3genE8ELNS1_11target_archE1030ELNS1_3gpuE2ELNS1_3repE0EEENS1_30default_config_static_selectorELNS0_4arch9wavefront6targetE0EEEvS12_.private_seg_size, 0
	.set _ZN7rocprim17ROCPRIM_400000_NS6detail17trampoline_kernelINS0_13select_configILj256ELj13ELNS0_17block_load_methodE3ELS4_3ELS4_3ELNS0_20block_scan_algorithmE0ELj4294967295EEENS1_25partition_config_selectorILNS1_17partition_subalgoE4EjNS0_10empty_typeEbEEZZNS1_14partition_implILS8_4ELb0ES6_15HIP_vector_typeIjLj2EENS0_17counting_iteratorIjlEEPS9_SG_NS0_5tupleIJPjSI_NS0_16reverse_iteratorISI_EEEEENSH_IJSG_SG_SG_EEES9_SI_JZNS1_25segmented_radix_sort_implINS0_14default_configELb1EPKfPfPKlPlN2at6native12_GLOBAL__N_18offset_tEEE10hipError_tPvRmT1_PNSt15iterator_traitsIS12_E10value_typeET2_T3_PNS13_IS18_E10value_typeET4_jRbjT5_S1E_jjP12ihipStream_tbEUljE_ZNSN_ISO_Lb1ESQ_SR_ST_SU_SY_EESZ_S10_S11_S12_S16_S17_S18_S1B_S1C_jS1D_jS1E_S1E_jjS1G_bEUljE0_EEESZ_S10_S11_S18_S1C_S1E_T6_T7_T9_mT8_S1G_bDpT10_ENKUlT_T0_E_clISt17integral_constantIbLb0EES1T_IbLb1EEEEDaS1P_S1Q_EUlS1P_E_NS1_11comp_targetILNS1_3genE8ELNS1_11target_archE1030ELNS1_3gpuE2ELNS1_3repE0EEENS1_30default_config_static_selectorELNS0_4arch9wavefront6targetE0EEEvS12_.uses_vcc, 0
	.set _ZN7rocprim17ROCPRIM_400000_NS6detail17trampoline_kernelINS0_13select_configILj256ELj13ELNS0_17block_load_methodE3ELS4_3ELS4_3ELNS0_20block_scan_algorithmE0ELj4294967295EEENS1_25partition_config_selectorILNS1_17partition_subalgoE4EjNS0_10empty_typeEbEEZZNS1_14partition_implILS8_4ELb0ES6_15HIP_vector_typeIjLj2EENS0_17counting_iteratorIjlEEPS9_SG_NS0_5tupleIJPjSI_NS0_16reverse_iteratorISI_EEEEENSH_IJSG_SG_SG_EEES9_SI_JZNS1_25segmented_radix_sort_implINS0_14default_configELb1EPKfPfPKlPlN2at6native12_GLOBAL__N_18offset_tEEE10hipError_tPvRmT1_PNSt15iterator_traitsIS12_E10value_typeET2_T3_PNS13_IS18_E10value_typeET4_jRbjT5_S1E_jjP12ihipStream_tbEUljE_ZNSN_ISO_Lb1ESQ_SR_ST_SU_SY_EESZ_S10_S11_S12_S16_S17_S18_S1B_S1C_jS1D_jS1E_S1E_jjS1G_bEUljE0_EEESZ_S10_S11_S18_S1C_S1E_T6_T7_T9_mT8_S1G_bDpT10_ENKUlT_T0_E_clISt17integral_constantIbLb0EES1T_IbLb1EEEEDaS1P_S1Q_EUlS1P_E_NS1_11comp_targetILNS1_3genE8ELNS1_11target_archE1030ELNS1_3gpuE2ELNS1_3repE0EEENS1_30default_config_static_selectorELNS0_4arch9wavefront6targetE0EEEvS12_.uses_flat_scratch, 0
	.set _ZN7rocprim17ROCPRIM_400000_NS6detail17trampoline_kernelINS0_13select_configILj256ELj13ELNS0_17block_load_methodE3ELS4_3ELS4_3ELNS0_20block_scan_algorithmE0ELj4294967295EEENS1_25partition_config_selectorILNS1_17partition_subalgoE4EjNS0_10empty_typeEbEEZZNS1_14partition_implILS8_4ELb0ES6_15HIP_vector_typeIjLj2EENS0_17counting_iteratorIjlEEPS9_SG_NS0_5tupleIJPjSI_NS0_16reverse_iteratorISI_EEEEENSH_IJSG_SG_SG_EEES9_SI_JZNS1_25segmented_radix_sort_implINS0_14default_configELb1EPKfPfPKlPlN2at6native12_GLOBAL__N_18offset_tEEE10hipError_tPvRmT1_PNSt15iterator_traitsIS12_E10value_typeET2_T3_PNS13_IS18_E10value_typeET4_jRbjT5_S1E_jjP12ihipStream_tbEUljE_ZNSN_ISO_Lb1ESQ_SR_ST_SU_SY_EESZ_S10_S11_S12_S16_S17_S18_S1B_S1C_jS1D_jS1E_S1E_jjS1G_bEUljE0_EEESZ_S10_S11_S18_S1C_S1E_T6_T7_T9_mT8_S1G_bDpT10_ENKUlT_T0_E_clISt17integral_constantIbLb0EES1T_IbLb1EEEEDaS1P_S1Q_EUlS1P_E_NS1_11comp_targetILNS1_3genE8ELNS1_11target_archE1030ELNS1_3gpuE2ELNS1_3repE0EEENS1_30default_config_static_selectorELNS0_4arch9wavefront6targetE0EEEvS12_.has_dyn_sized_stack, 0
	.set _ZN7rocprim17ROCPRIM_400000_NS6detail17trampoline_kernelINS0_13select_configILj256ELj13ELNS0_17block_load_methodE3ELS4_3ELS4_3ELNS0_20block_scan_algorithmE0ELj4294967295EEENS1_25partition_config_selectorILNS1_17partition_subalgoE4EjNS0_10empty_typeEbEEZZNS1_14partition_implILS8_4ELb0ES6_15HIP_vector_typeIjLj2EENS0_17counting_iteratorIjlEEPS9_SG_NS0_5tupleIJPjSI_NS0_16reverse_iteratorISI_EEEEENSH_IJSG_SG_SG_EEES9_SI_JZNS1_25segmented_radix_sort_implINS0_14default_configELb1EPKfPfPKlPlN2at6native12_GLOBAL__N_18offset_tEEE10hipError_tPvRmT1_PNSt15iterator_traitsIS12_E10value_typeET2_T3_PNS13_IS18_E10value_typeET4_jRbjT5_S1E_jjP12ihipStream_tbEUljE_ZNSN_ISO_Lb1ESQ_SR_ST_SU_SY_EESZ_S10_S11_S12_S16_S17_S18_S1B_S1C_jS1D_jS1E_S1E_jjS1G_bEUljE0_EEESZ_S10_S11_S18_S1C_S1E_T6_T7_T9_mT8_S1G_bDpT10_ENKUlT_T0_E_clISt17integral_constantIbLb0EES1T_IbLb1EEEEDaS1P_S1Q_EUlS1P_E_NS1_11comp_targetILNS1_3genE8ELNS1_11target_archE1030ELNS1_3gpuE2ELNS1_3repE0EEENS1_30default_config_static_selectorELNS0_4arch9wavefront6targetE0EEEvS12_.has_recursion, 0
	.set _ZN7rocprim17ROCPRIM_400000_NS6detail17trampoline_kernelINS0_13select_configILj256ELj13ELNS0_17block_load_methodE3ELS4_3ELS4_3ELNS0_20block_scan_algorithmE0ELj4294967295EEENS1_25partition_config_selectorILNS1_17partition_subalgoE4EjNS0_10empty_typeEbEEZZNS1_14partition_implILS8_4ELb0ES6_15HIP_vector_typeIjLj2EENS0_17counting_iteratorIjlEEPS9_SG_NS0_5tupleIJPjSI_NS0_16reverse_iteratorISI_EEEEENSH_IJSG_SG_SG_EEES9_SI_JZNS1_25segmented_radix_sort_implINS0_14default_configELb1EPKfPfPKlPlN2at6native12_GLOBAL__N_18offset_tEEE10hipError_tPvRmT1_PNSt15iterator_traitsIS12_E10value_typeET2_T3_PNS13_IS18_E10value_typeET4_jRbjT5_S1E_jjP12ihipStream_tbEUljE_ZNSN_ISO_Lb1ESQ_SR_ST_SU_SY_EESZ_S10_S11_S12_S16_S17_S18_S1B_S1C_jS1D_jS1E_S1E_jjS1G_bEUljE0_EEESZ_S10_S11_S18_S1C_S1E_T6_T7_T9_mT8_S1G_bDpT10_ENKUlT_T0_E_clISt17integral_constantIbLb0EES1T_IbLb1EEEEDaS1P_S1Q_EUlS1P_E_NS1_11comp_targetILNS1_3genE8ELNS1_11target_archE1030ELNS1_3gpuE2ELNS1_3repE0EEENS1_30default_config_static_selectorELNS0_4arch9wavefront6targetE0EEEvS12_.has_indirect_call, 0
	.section	.AMDGPU.csdata,"",@progbits
; Kernel info:
; codeLenInByte = 0
; TotalNumSgprs: 0
; NumVgprs: 0
; ScratchSize: 0
; MemoryBound: 0
; FloatMode: 240
; IeeeMode: 1
; LDSByteSize: 0 bytes/workgroup (compile time only)
; SGPRBlocks: 0
; VGPRBlocks: 0
; NumSGPRsForWavesPerEU: 1
; NumVGPRsForWavesPerEU: 1
; Occupancy: 16
; WaveLimiterHint : 0
; COMPUTE_PGM_RSRC2:SCRATCH_EN: 0
; COMPUTE_PGM_RSRC2:USER_SGPR: 2
; COMPUTE_PGM_RSRC2:TRAP_HANDLER: 0
; COMPUTE_PGM_RSRC2:TGID_X_EN: 1
; COMPUTE_PGM_RSRC2:TGID_Y_EN: 0
; COMPUTE_PGM_RSRC2:TGID_Z_EN: 0
; COMPUTE_PGM_RSRC2:TIDIG_COMP_CNT: 0
	.section	.text._ZN7rocprim17ROCPRIM_400000_NS6detail17trampoline_kernelINS0_13select_configILj256ELj13ELNS0_17block_load_methodE3ELS4_3ELS4_3ELNS0_20block_scan_algorithmE0ELj4294967295EEENS1_25partition_config_selectorILNS1_17partition_subalgoE3EjNS0_10empty_typeEbEEZZNS1_14partition_implILS8_3ELb0ES6_jNS0_17counting_iteratorIjlEEPS9_SE_NS0_5tupleIJPjSE_EEENSF_IJSE_SE_EEES9_SG_JZNS1_25segmented_radix_sort_implINS0_14default_configELb1EPKfPfPKlPlN2at6native12_GLOBAL__N_18offset_tEEE10hipError_tPvRmT1_PNSt15iterator_traitsISY_E10value_typeET2_T3_PNSZ_IS14_E10value_typeET4_jRbjT5_S1A_jjP12ihipStream_tbEUljE_EEESV_SW_SX_S14_S18_S1A_T6_T7_T9_mT8_S1C_bDpT10_ENKUlT_T0_E_clISt17integral_constantIbLb0EES1P_EEDaS1K_S1L_EUlS1K_E_NS1_11comp_targetILNS1_3genE0ELNS1_11target_archE4294967295ELNS1_3gpuE0ELNS1_3repE0EEENS1_30default_config_static_selectorELNS0_4arch9wavefront6targetE0EEEvSY_,"axG",@progbits,_ZN7rocprim17ROCPRIM_400000_NS6detail17trampoline_kernelINS0_13select_configILj256ELj13ELNS0_17block_load_methodE3ELS4_3ELS4_3ELNS0_20block_scan_algorithmE0ELj4294967295EEENS1_25partition_config_selectorILNS1_17partition_subalgoE3EjNS0_10empty_typeEbEEZZNS1_14partition_implILS8_3ELb0ES6_jNS0_17counting_iteratorIjlEEPS9_SE_NS0_5tupleIJPjSE_EEENSF_IJSE_SE_EEES9_SG_JZNS1_25segmented_radix_sort_implINS0_14default_configELb1EPKfPfPKlPlN2at6native12_GLOBAL__N_18offset_tEEE10hipError_tPvRmT1_PNSt15iterator_traitsISY_E10value_typeET2_T3_PNSZ_IS14_E10value_typeET4_jRbjT5_S1A_jjP12ihipStream_tbEUljE_EEESV_SW_SX_S14_S18_S1A_T6_T7_T9_mT8_S1C_bDpT10_ENKUlT_T0_E_clISt17integral_constantIbLb0EES1P_EEDaS1K_S1L_EUlS1K_E_NS1_11comp_targetILNS1_3genE0ELNS1_11target_archE4294967295ELNS1_3gpuE0ELNS1_3repE0EEENS1_30default_config_static_selectorELNS0_4arch9wavefront6targetE0EEEvSY_,comdat
	.globl	_ZN7rocprim17ROCPRIM_400000_NS6detail17trampoline_kernelINS0_13select_configILj256ELj13ELNS0_17block_load_methodE3ELS4_3ELS4_3ELNS0_20block_scan_algorithmE0ELj4294967295EEENS1_25partition_config_selectorILNS1_17partition_subalgoE3EjNS0_10empty_typeEbEEZZNS1_14partition_implILS8_3ELb0ES6_jNS0_17counting_iteratorIjlEEPS9_SE_NS0_5tupleIJPjSE_EEENSF_IJSE_SE_EEES9_SG_JZNS1_25segmented_radix_sort_implINS0_14default_configELb1EPKfPfPKlPlN2at6native12_GLOBAL__N_18offset_tEEE10hipError_tPvRmT1_PNSt15iterator_traitsISY_E10value_typeET2_T3_PNSZ_IS14_E10value_typeET4_jRbjT5_S1A_jjP12ihipStream_tbEUljE_EEESV_SW_SX_S14_S18_S1A_T6_T7_T9_mT8_S1C_bDpT10_ENKUlT_T0_E_clISt17integral_constantIbLb0EES1P_EEDaS1K_S1L_EUlS1K_E_NS1_11comp_targetILNS1_3genE0ELNS1_11target_archE4294967295ELNS1_3gpuE0ELNS1_3repE0EEENS1_30default_config_static_selectorELNS0_4arch9wavefront6targetE0EEEvSY_ ; -- Begin function _ZN7rocprim17ROCPRIM_400000_NS6detail17trampoline_kernelINS0_13select_configILj256ELj13ELNS0_17block_load_methodE3ELS4_3ELS4_3ELNS0_20block_scan_algorithmE0ELj4294967295EEENS1_25partition_config_selectorILNS1_17partition_subalgoE3EjNS0_10empty_typeEbEEZZNS1_14partition_implILS8_3ELb0ES6_jNS0_17counting_iteratorIjlEEPS9_SE_NS0_5tupleIJPjSE_EEENSF_IJSE_SE_EEES9_SG_JZNS1_25segmented_radix_sort_implINS0_14default_configELb1EPKfPfPKlPlN2at6native12_GLOBAL__N_18offset_tEEE10hipError_tPvRmT1_PNSt15iterator_traitsISY_E10value_typeET2_T3_PNSZ_IS14_E10value_typeET4_jRbjT5_S1A_jjP12ihipStream_tbEUljE_EEESV_SW_SX_S14_S18_S1A_T6_T7_T9_mT8_S1C_bDpT10_ENKUlT_T0_E_clISt17integral_constantIbLb0EES1P_EEDaS1K_S1L_EUlS1K_E_NS1_11comp_targetILNS1_3genE0ELNS1_11target_archE4294967295ELNS1_3gpuE0ELNS1_3repE0EEENS1_30default_config_static_selectorELNS0_4arch9wavefront6targetE0EEEvSY_
	.p2align	8
	.type	_ZN7rocprim17ROCPRIM_400000_NS6detail17trampoline_kernelINS0_13select_configILj256ELj13ELNS0_17block_load_methodE3ELS4_3ELS4_3ELNS0_20block_scan_algorithmE0ELj4294967295EEENS1_25partition_config_selectorILNS1_17partition_subalgoE3EjNS0_10empty_typeEbEEZZNS1_14partition_implILS8_3ELb0ES6_jNS0_17counting_iteratorIjlEEPS9_SE_NS0_5tupleIJPjSE_EEENSF_IJSE_SE_EEES9_SG_JZNS1_25segmented_radix_sort_implINS0_14default_configELb1EPKfPfPKlPlN2at6native12_GLOBAL__N_18offset_tEEE10hipError_tPvRmT1_PNSt15iterator_traitsISY_E10value_typeET2_T3_PNSZ_IS14_E10value_typeET4_jRbjT5_S1A_jjP12ihipStream_tbEUljE_EEESV_SW_SX_S14_S18_S1A_T6_T7_T9_mT8_S1C_bDpT10_ENKUlT_T0_E_clISt17integral_constantIbLb0EES1P_EEDaS1K_S1L_EUlS1K_E_NS1_11comp_targetILNS1_3genE0ELNS1_11target_archE4294967295ELNS1_3gpuE0ELNS1_3repE0EEENS1_30default_config_static_selectorELNS0_4arch9wavefront6targetE0EEEvSY_,@function
_ZN7rocprim17ROCPRIM_400000_NS6detail17trampoline_kernelINS0_13select_configILj256ELj13ELNS0_17block_load_methodE3ELS4_3ELS4_3ELNS0_20block_scan_algorithmE0ELj4294967295EEENS1_25partition_config_selectorILNS1_17partition_subalgoE3EjNS0_10empty_typeEbEEZZNS1_14partition_implILS8_3ELb0ES6_jNS0_17counting_iteratorIjlEEPS9_SE_NS0_5tupleIJPjSE_EEENSF_IJSE_SE_EEES9_SG_JZNS1_25segmented_radix_sort_implINS0_14default_configELb1EPKfPfPKlPlN2at6native12_GLOBAL__N_18offset_tEEE10hipError_tPvRmT1_PNSt15iterator_traitsISY_E10value_typeET2_T3_PNSZ_IS14_E10value_typeET4_jRbjT5_S1A_jjP12ihipStream_tbEUljE_EEESV_SW_SX_S14_S18_S1A_T6_T7_T9_mT8_S1C_bDpT10_ENKUlT_T0_E_clISt17integral_constantIbLb0EES1P_EEDaS1K_S1L_EUlS1K_E_NS1_11comp_targetILNS1_3genE0ELNS1_11target_archE4294967295ELNS1_3gpuE0ELNS1_3repE0EEENS1_30default_config_static_selectorELNS0_4arch9wavefront6targetE0EEEvSY_: ; @_ZN7rocprim17ROCPRIM_400000_NS6detail17trampoline_kernelINS0_13select_configILj256ELj13ELNS0_17block_load_methodE3ELS4_3ELS4_3ELNS0_20block_scan_algorithmE0ELj4294967295EEENS1_25partition_config_selectorILNS1_17partition_subalgoE3EjNS0_10empty_typeEbEEZZNS1_14partition_implILS8_3ELb0ES6_jNS0_17counting_iteratorIjlEEPS9_SE_NS0_5tupleIJPjSE_EEENSF_IJSE_SE_EEES9_SG_JZNS1_25segmented_radix_sort_implINS0_14default_configELb1EPKfPfPKlPlN2at6native12_GLOBAL__N_18offset_tEEE10hipError_tPvRmT1_PNSt15iterator_traitsISY_E10value_typeET2_T3_PNSZ_IS14_E10value_typeET4_jRbjT5_S1A_jjP12ihipStream_tbEUljE_EEESV_SW_SX_S14_S18_S1A_T6_T7_T9_mT8_S1C_bDpT10_ENKUlT_T0_E_clISt17integral_constantIbLb0EES1P_EEDaS1K_S1L_EUlS1K_E_NS1_11comp_targetILNS1_3genE0ELNS1_11target_archE4294967295ELNS1_3gpuE0ELNS1_3repE0EEENS1_30default_config_static_selectorELNS0_4arch9wavefront6targetE0EEEvSY_
; %bb.0:
	.section	.rodata,"a",@progbits
	.p2align	6, 0x0
	.amdhsa_kernel _ZN7rocprim17ROCPRIM_400000_NS6detail17trampoline_kernelINS0_13select_configILj256ELj13ELNS0_17block_load_methodE3ELS4_3ELS4_3ELNS0_20block_scan_algorithmE0ELj4294967295EEENS1_25partition_config_selectorILNS1_17partition_subalgoE3EjNS0_10empty_typeEbEEZZNS1_14partition_implILS8_3ELb0ES6_jNS0_17counting_iteratorIjlEEPS9_SE_NS0_5tupleIJPjSE_EEENSF_IJSE_SE_EEES9_SG_JZNS1_25segmented_radix_sort_implINS0_14default_configELb1EPKfPfPKlPlN2at6native12_GLOBAL__N_18offset_tEEE10hipError_tPvRmT1_PNSt15iterator_traitsISY_E10value_typeET2_T3_PNSZ_IS14_E10value_typeET4_jRbjT5_S1A_jjP12ihipStream_tbEUljE_EEESV_SW_SX_S14_S18_S1A_T6_T7_T9_mT8_S1C_bDpT10_ENKUlT_T0_E_clISt17integral_constantIbLb0EES1P_EEDaS1K_S1L_EUlS1K_E_NS1_11comp_targetILNS1_3genE0ELNS1_11target_archE4294967295ELNS1_3gpuE0ELNS1_3repE0EEENS1_30default_config_static_selectorELNS0_4arch9wavefront6targetE0EEEvSY_
		.amdhsa_group_segment_fixed_size 0
		.amdhsa_private_segment_fixed_size 0
		.amdhsa_kernarg_size 144
		.amdhsa_user_sgpr_count 2
		.amdhsa_user_sgpr_dispatch_ptr 0
		.amdhsa_user_sgpr_queue_ptr 0
		.amdhsa_user_sgpr_kernarg_segment_ptr 1
		.amdhsa_user_sgpr_dispatch_id 0
		.amdhsa_user_sgpr_private_segment_size 0
		.amdhsa_wavefront_size32 1
		.amdhsa_uses_dynamic_stack 0
		.amdhsa_enable_private_segment 0
		.amdhsa_system_sgpr_workgroup_id_x 1
		.amdhsa_system_sgpr_workgroup_id_y 0
		.amdhsa_system_sgpr_workgroup_id_z 0
		.amdhsa_system_sgpr_workgroup_info 0
		.amdhsa_system_vgpr_workitem_id 0
		.amdhsa_next_free_vgpr 1
		.amdhsa_next_free_sgpr 1
		.amdhsa_reserve_vcc 0
		.amdhsa_float_round_mode_32 0
		.amdhsa_float_round_mode_16_64 0
		.amdhsa_float_denorm_mode_32 3
		.amdhsa_float_denorm_mode_16_64 3
		.amdhsa_fp16_overflow 0
		.amdhsa_workgroup_processor_mode 1
		.amdhsa_memory_ordered 1
		.amdhsa_forward_progress 1
		.amdhsa_inst_pref_size 0
		.amdhsa_round_robin_scheduling 0
		.amdhsa_exception_fp_ieee_invalid_op 0
		.amdhsa_exception_fp_denorm_src 0
		.amdhsa_exception_fp_ieee_div_zero 0
		.amdhsa_exception_fp_ieee_overflow 0
		.amdhsa_exception_fp_ieee_underflow 0
		.amdhsa_exception_fp_ieee_inexact 0
		.amdhsa_exception_int_div_zero 0
	.end_amdhsa_kernel
	.section	.text._ZN7rocprim17ROCPRIM_400000_NS6detail17trampoline_kernelINS0_13select_configILj256ELj13ELNS0_17block_load_methodE3ELS4_3ELS4_3ELNS0_20block_scan_algorithmE0ELj4294967295EEENS1_25partition_config_selectorILNS1_17partition_subalgoE3EjNS0_10empty_typeEbEEZZNS1_14partition_implILS8_3ELb0ES6_jNS0_17counting_iteratorIjlEEPS9_SE_NS0_5tupleIJPjSE_EEENSF_IJSE_SE_EEES9_SG_JZNS1_25segmented_radix_sort_implINS0_14default_configELb1EPKfPfPKlPlN2at6native12_GLOBAL__N_18offset_tEEE10hipError_tPvRmT1_PNSt15iterator_traitsISY_E10value_typeET2_T3_PNSZ_IS14_E10value_typeET4_jRbjT5_S1A_jjP12ihipStream_tbEUljE_EEESV_SW_SX_S14_S18_S1A_T6_T7_T9_mT8_S1C_bDpT10_ENKUlT_T0_E_clISt17integral_constantIbLb0EES1P_EEDaS1K_S1L_EUlS1K_E_NS1_11comp_targetILNS1_3genE0ELNS1_11target_archE4294967295ELNS1_3gpuE0ELNS1_3repE0EEENS1_30default_config_static_selectorELNS0_4arch9wavefront6targetE0EEEvSY_,"axG",@progbits,_ZN7rocprim17ROCPRIM_400000_NS6detail17trampoline_kernelINS0_13select_configILj256ELj13ELNS0_17block_load_methodE3ELS4_3ELS4_3ELNS0_20block_scan_algorithmE0ELj4294967295EEENS1_25partition_config_selectorILNS1_17partition_subalgoE3EjNS0_10empty_typeEbEEZZNS1_14partition_implILS8_3ELb0ES6_jNS0_17counting_iteratorIjlEEPS9_SE_NS0_5tupleIJPjSE_EEENSF_IJSE_SE_EEES9_SG_JZNS1_25segmented_radix_sort_implINS0_14default_configELb1EPKfPfPKlPlN2at6native12_GLOBAL__N_18offset_tEEE10hipError_tPvRmT1_PNSt15iterator_traitsISY_E10value_typeET2_T3_PNSZ_IS14_E10value_typeET4_jRbjT5_S1A_jjP12ihipStream_tbEUljE_EEESV_SW_SX_S14_S18_S1A_T6_T7_T9_mT8_S1C_bDpT10_ENKUlT_T0_E_clISt17integral_constantIbLb0EES1P_EEDaS1K_S1L_EUlS1K_E_NS1_11comp_targetILNS1_3genE0ELNS1_11target_archE4294967295ELNS1_3gpuE0ELNS1_3repE0EEENS1_30default_config_static_selectorELNS0_4arch9wavefront6targetE0EEEvSY_,comdat
.Lfunc_end1293:
	.size	_ZN7rocprim17ROCPRIM_400000_NS6detail17trampoline_kernelINS0_13select_configILj256ELj13ELNS0_17block_load_methodE3ELS4_3ELS4_3ELNS0_20block_scan_algorithmE0ELj4294967295EEENS1_25partition_config_selectorILNS1_17partition_subalgoE3EjNS0_10empty_typeEbEEZZNS1_14partition_implILS8_3ELb0ES6_jNS0_17counting_iteratorIjlEEPS9_SE_NS0_5tupleIJPjSE_EEENSF_IJSE_SE_EEES9_SG_JZNS1_25segmented_radix_sort_implINS0_14default_configELb1EPKfPfPKlPlN2at6native12_GLOBAL__N_18offset_tEEE10hipError_tPvRmT1_PNSt15iterator_traitsISY_E10value_typeET2_T3_PNSZ_IS14_E10value_typeET4_jRbjT5_S1A_jjP12ihipStream_tbEUljE_EEESV_SW_SX_S14_S18_S1A_T6_T7_T9_mT8_S1C_bDpT10_ENKUlT_T0_E_clISt17integral_constantIbLb0EES1P_EEDaS1K_S1L_EUlS1K_E_NS1_11comp_targetILNS1_3genE0ELNS1_11target_archE4294967295ELNS1_3gpuE0ELNS1_3repE0EEENS1_30default_config_static_selectorELNS0_4arch9wavefront6targetE0EEEvSY_, .Lfunc_end1293-_ZN7rocprim17ROCPRIM_400000_NS6detail17trampoline_kernelINS0_13select_configILj256ELj13ELNS0_17block_load_methodE3ELS4_3ELS4_3ELNS0_20block_scan_algorithmE0ELj4294967295EEENS1_25partition_config_selectorILNS1_17partition_subalgoE3EjNS0_10empty_typeEbEEZZNS1_14partition_implILS8_3ELb0ES6_jNS0_17counting_iteratorIjlEEPS9_SE_NS0_5tupleIJPjSE_EEENSF_IJSE_SE_EEES9_SG_JZNS1_25segmented_radix_sort_implINS0_14default_configELb1EPKfPfPKlPlN2at6native12_GLOBAL__N_18offset_tEEE10hipError_tPvRmT1_PNSt15iterator_traitsISY_E10value_typeET2_T3_PNSZ_IS14_E10value_typeET4_jRbjT5_S1A_jjP12ihipStream_tbEUljE_EEESV_SW_SX_S14_S18_S1A_T6_T7_T9_mT8_S1C_bDpT10_ENKUlT_T0_E_clISt17integral_constantIbLb0EES1P_EEDaS1K_S1L_EUlS1K_E_NS1_11comp_targetILNS1_3genE0ELNS1_11target_archE4294967295ELNS1_3gpuE0ELNS1_3repE0EEENS1_30default_config_static_selectorELNS0_4arch9wavefront6targetE0EEEvSY_
                                        ; -- End function
	.set _ZN7rocprim17ROCPRIM_400000_NS6detail17trampoline_kernelINS0_13select_configILj256ELj13ELNS0_17block_load_methodE3ELS4_3ELS4_3ELNS0_20block_scan_algorithmE0ELj4294967295EEENS1_25partition_config_selectorILNS1_17partition_subalgoE3EjNS0_10empty_typeEbEEZZNS1_14partition_implILS8_3ELb0ES6_jNS0_17counting_iteratorIjlEEPS9_SE_NS0_5tupleIJPjSE_EEENSF_IJSE_SE_EEES9_SG_JZNS1_25segmented_radix_sort_implINS0_14default_configELb1EPKfPfPKlPlN2at6native12_GLOBAL__N_18offset_tEEE10hipError_tPvRmT1_PNSt15iterator_traitsISY_E10value_typeET2_T3_PNSZ_IS14_E10value_typeET4_jRbjT5_S1A_jjP12ihipStream_tbEUljE_EEESV_SW_SX_S14_S18_S1A_T6_T7_T9_mT8_S1C_bDpT10_ENKUlT_T0_E_clISt17integral_constantIbLb0EES1P_EEDaS1K_S1L_EUlS1K_E_NS1_11comp_targetILNS1_3genE0ELNS1_11target_archE4294967295ELNS1_3gpuE0ELNS1_3repE0EEENS1_30default_config_static_selectorELNS0_4arch9wavefront6targetE0EEEvSY_.num_vgpr, 0
	.set _ZN7rocprim17ROCPRIM_400000_NS6detail17trampoline_kernelINS0_13select_configILj256ELj13ELNS0_17block_load_methodE3ELS4_3ELS4_3ELNS0_20block_scan_algorithmE0ELj4294967295EEENS1_25partition_config_selectorILNS1_17partition_subalgoE3EjNS0_10empty_typeEbEEZZNS1_14partition_implILS8_3ELb0ES6_jNS0_17counting_iteratorIjlEEPS9_SE_NS0_5tupleIJPjSE_EEENSF_IJSE_SE_EEES9_SG_JZNS1_25segmented_radix_sort_implINS0_14default_configELb1EPKfPfPKlPlN2at6native12_GLOBAL__N_18offset_tEEE10hipError_tPvRmT1_PNSt15iterator_traitsISY_E10value_typeET2_T3_PNSZ_IS14_E10value_typeET4_jRbjT5_S1A_jjP12ihipStream_tbEUljE_EEESV_SW_SX_S14_S18_S1A_T6_T7_T9_mT8_S1C_bDpT10_ENKUlT_T0_E_clISt17integral_constantIbLb0EES1P_EEDaS1K_S1L_EUlS1K_E_NS1_11comp_targetILNS1_3genE0ELNS1_11target_archE4294967295ELNS1_3gpuE0ELNS1_3repE0EEENS1_30default_config_static_selectorELNS0_4arch9wavefront6targetE0EEEvSY_.num_agpr, 0
	.set _ZN7rocprim17ROCPRIM_400000_NS6detail17trampoline_kernelINS0_13select_configILj256ELj13ELNS0_17block_load_methodE3ELS4_3ELS4_3ELNS0_20block_scan_algorithmE0ELj4294967295EEENS1_25partition_config_selectorILNS1_17partition_subalgoE3EjNS0_10empty_typeEbEEZZNS1_14partition_implILS8_3ELb0ES6_jNS0_17counting_iteratorIjlEEPS9_SE_NS0_5tupleIJPjSE_EEENSF_IJSE_SE_EEES9_SG_JZNS1_25segmented_radix_sort_implINS0_14default_configELb1EPKfPfPKlPlN2at6native12_GLOBAL__N_18offset_tEEE10hipError_tPvRmT1_PNSt15iterator_traitsISY_E10value_typeET2_T3_PNSZ_IS14_E10value_typeET4_jRbjT5_S1A_jjP12ihipStream_tbEUljE_EEESV_SW_SX_S14_S18_S1A_T6_T7_T9_mT8_S1C_bDpT10_ENKUlT_T0_E_clISt17integral_constantIbLb0EES1P_EEDaS1K_S1L_EUlS1K_E_NS1_11comp_targetILNS1_3genE0ELNS1_11target_archE4294967295ELNS1_3gpuE0ELNS1_3repE0EEENS1_30default_config_static_selectorELNS0_4arch9wavefront6targetE0EEEvSY_.numbered_sgpr, 0
	.set _ZN7rocprim17ROCPRIM_400000_NS6detail17trampoline_kernelINS0_13select_configILj256ELj13ELNS0_17block_load_methodE3ELS4_3ELS4_3ELNS0_20block_scan_algorithmE0ELj4294967295EEENS1_25partition_config_selectorILNS1_17partition_subalgoE3EjNS0_10empty_typeEbEEZZNS1_14partition_implILS8_3ELb0ES6_jNS0_17counting_iteratorIjlEEPS9_SE_NS0_5tupleIJPjSE_EEENSF_IJSE_SE_EEES9_SG_JZNS1_25segmented_radix_sort_implINS0_14default_configELb1EPKfPfPKlPlN2at6native12_GLOBAL__N_18offset_tEEE10hipError_tPvRmT1_PNSt15iterator_traitsISY_E10value_typeET2_T3_PNSZ_IS14_E10value_typeET4_jRbjT5_S1A_jjP12ihipStream_tbEUljE_EEESV_SW_SX_S14_S18_S1A_T6_T7_T9_mT8_S1C_bDpT10_ENKUlT_T0_E_clISt17integral_constantIbLb0EES1P_EEDaS1K_S1L_EUlS1K_E_NS1_11comp_targetILNS1_3genE0ELNS1_11target_archE4294967295ELNS1_3gpuE0ELNS1_3repE0EEENS1_30default_config_static_selectorELNS0_4arch9wavefront6targetE0EEEvSY_.num_named_barrier, 0
	.set _ZN7rocprim17ROCPRIM_400000_NS6detail17trampoline_kernelINS0_13select_configILj256ELj13ELNS0_17block_load_methodE3ELS4_3ELS4_3ELNS0_20block_scan_algorithmE0ELj4294967295EEENS1_25partition_config_selectorILNS1_17partition_subalgoE3EjNS0_10empty_typeEbEEZZNS1_14partition_implILS8_3ELb0ES6_jNS0_17counting_iteratorIjlEEPS9_SE_NS0_5tupleIJPjSE_EEENSF_IJSE_SE_EEES9_SG_JZNS1_25segmented_radix_sort_implINS0_14default_configELb1EPKfPfPKlPlN2at6native12_GLOBAL__N_18offset_tEEE10hipError_tPvRmT1_PNSt15iterator_traitsISY_E10value_typeET2_T3_PNSZ_IS14_E10value_typeET4_jRbjT5_S1A_jjP12ihipStream_tbEUljE_EEESV_SW_SX_S14_S18_S1A_T6_T7_T9_mT8_S1C_bDpT10_ENKUlT_T0_E_clISt17integral_constantIbLb0EES1P_EEDaS1K_S1L_EUlS1K_E_NS1_11comp_targetILNS1_3genE0ELNS1_11target_archE4294967295ELNS1_3gpuE0ELNS1_3repE0EEENS1_30default_config_static_selectorELNS0_4arch9wavefront6targetE0EEEvSY_.private_seg_size, 0
	.set _ZN7rocprim17ROCPRIM_400000_NS6detail17trampoline_kernelINS0_13select_configILj256ELj13ELNS0_17block_load_methodE3ELS4_3ELS4_3ELNS0_20block_scan_algorithmE0ELj4294967295EEENS1_25partition_config_selectorILNS1_17partition_subalgoE3EjNS0_10empty_typeEbEEZZNS1_14partition_implILS8_3ELb0ES6_jNS0_17counting_iteratorIjlEEPS9_SE_NS0_5tupleIJPjSE_EEENSF_IJSE_SE_EEES9_SG_JZNS1_25segmented_radix_sort_implINS0_14default_configELb1EPKfPfPKlPlN2at6native12_GLOBAL__N_18offset_tEEE10hipError_tPvRmT1_PNSt15iterator_traitsISY_E10value_typeET2_T3_PNSZ_IS14_E10value_typeET4_jRbjT5_S1A_jjP12ihipStream_tbEUljE_EEESV_SW_SX_S14_S18_S1A_T6_T7_T9_mT8_S1C_bDpT10_ENKUlT_T0_E_clISt17integral_constantIbLb0EES1P_EEDaS1K_S1L_EUlS1K_E_NS1_11comp_targetILNS1_3genE0ELNS1_11target_archE4294967295ELNS1_3gpuE0ELNS1_3repE0EEENS1_30default_config_static_selectorELNS0_4arch9wavefront6targetE0EEEvSY_.uses_vcc, 0
	.set _ZN7rocprim17ROCPRIM_400000_NS6detail17trampoline_kernelINS0_13select_configILj256ELj13ELNS0_17block_load_methodE3ELS4_3ELS4_3ELNS0_20block_scan_algorithmE0ELj4294967295EEENS1_25partition_config_selectorILNS1_17partition_subalgoE3EjNS0_10empty_typeEbEEZZNS1_14partition_implILS8_3ELb0ES6_jNS0_17counting_iteratorIjlEEPS9_SE_NS0_5tupleIJPjSE_EEENSF_IJSE_SE_EEES9_SG_JZNS1_25segmented_radix_sort_implINS0_14default_configELb1EPKfPfPKlPlN2at6native12_GLOBAL__N_18offset_tEEE10hipError_tPvRmT1_PNSt15iterator_traitsISY_E10value_typeET2_T3_PNSZ_IS14_E10value_typeET4_jRbjT5_S1A_jjP12ihipStream_tbEUljE_EEESV_SW_SX_S14_S18_S1A_T6_T7_T9_mT8_S1C_bDpT10_ENKUlT_T0_E_clISt17integral_constantIbLb0EES1P_EEDaS1K_S1L_EUlS1K_E_NS1_11comp_targetILNS1_3genE0ELNS1_11target_archE4294967295ELNS1_3gpuE0ELNS1_3repE0EEENS1_30default_config_static_selectorELNS0_4arch9wavefront6targetE0EEEvSY_.uses_flat_scratch, 0
	.set _ZN7rocprim17ROCPRIM_400000_NS6detail17trampoline_kernelINS0_13select_configILj256ELj13ELNS0_17block_load_methodE3ELS4_3ELS4_3ELNS0_20block_scan_algorithmE0ELj4294967295EEENS1_25partition_config_selectorILNS1_17partition_subalgoE3EjNS0_10empty_typeEbEEZZNS1_14partition_implILS8_3ELb0ES6_jNS0_17counting_iteratorIjlEEPS9_SE_NS0_5tupleIJPjSE_EEENSF_IJSE_SE_EEES9_SG_JZNS1_25segmented_radix_sort_implINS0_14default_configELb1EPKfPfPKlPlN2at6native12_GLOBAL__N_18offset_tEEE10hipError_tPvRmT1_PNSt15iterator_traitsISY_E10value_typeET2_T3_PNSZ_IS14_E10value_typeET4_jRbjT5_S1A_jjP12ihipStream_tbEUljE_EEESV_SW_SX_S14_S18_S1A_T6_T7_T9_mT8_S1C_bDpT10_ENKUlT_T0_E_clISt17integral_constantIbLb0EES1P_EEDaS1K_S1L_EUlS1K_E_NS1_11comp_targetILNS1_3genE0ELNS1_11target_archE4294967295ELNS1_3gpuE0ELNS1_3repE0EEENS1_30default_config_static_selectorELNS0_4arch9wavefront6targetE0EEEvSY_.has_dyn_sized_stack, 0
	.set _ZN7rocprim17ROCPRIM_400000_NS6detail17trampoline_kernelINS0_13select_configILj256ELj13ELNS0_17block_load_methodE3ELS4_3ELS4_3ELNS0_20block_scan_algorithmE0ELj4294967295EEENS1_25partition_config_selectorILNS1_17partition_subalgoE3EjNS0_10empty_typeEbEEZZNS1_14partition_implILS8_3ELb0ES6_jNS0_17counting_iteratorIjlEEPS9_SE_NS0_5tupleIJPjSE_EEENSF_IJSE_SE_EEES9_SG_JZNS1_25segmented_radix_sort_implINS0_14default_configELb1EPKfPfPKlPlN2at6native12_GLOBAL__N_18offset_tEEE10hipError_tPvRmT1_PNSt15iterator_traitsISY_E10value_typeET2_T3_PNSZ_IS14_E10value_typeET4_jRbjT5_S1A_jjP12ihipStream_tbEUljE_EEESV_SW_SX_S14_S18_S1A_T6_T7_T9_mT8_S1C_bDpT10_ENKUlT_T0_E_clISt17integral_constantIbLb0EES1P_EEDaS1K_S1L_EUlS1K_E_NS1_11comp_targetILNS1_3genE0ELNS1_11target_archE4294967295ELNS1_3gpuE0ELNS1_3repE0EEENS1_30default_config_static_selectorELNS0_4arch9wavefront6targetE0EEEvSY_.has_recursion, 0
	.set _ZN7rocprim17ROCPRIM_400000_NS6detail17trampoline_kernelINS0_13select_configILj256ELj13ELNS0_17block_load_methodE3ELS4_3ELS4_3ELNS0_20block_scan_algorithmE0ELj4294967295EEENS1_25partition_config_selectorILNS1_17partition_subalgoE3EjNS0_10empty_typeEbEEZZNS1_14partition_implILS8_3ELb0ES6_jNS0_17counting_iteratorIjlEEPS9_SE_NS0_5tupleIJPjSE_EEENSF_IJSE_SE_EEES9_SG_JZNS1_25segmented_radix_sort_implINS0_14default_configELb1EPKfPfPKlPlN2at6native12_GLOBAL__N_18offset_tEEE10hipError_tPvRmT1_PNSt15iterator_traitsISY_E10value_typeET2_T3_PNSZ_IS14_E10value_typeET4_jRbjT5_S1A_jjP12ihipStream_tbEUljE_EEESV_SW_SX_S14_S18_S1A_T6_T7_T9_mT8_S1C_bDpT10_ENKUlT_T0_E_clISt17integral_constantIbLb0EES1P_EEDaS1K_S1L_EUlS1K_E_NS1_11comp_targetILNS1_3genE0ELNS1_11target_archE4294967295ELNS1_3gpuE0ELNS1_3repE0EEENS1_30default_config_static_selectorELNS0_4arch9wavefront6targetE0EEEvSY_.has_indirect_call, 0
	.section	.AMDGPU.csdata,"",@progbits
; Kernel info:
; codeLenInByte = 0
; TotalNumSgprs: 0
; NumVgprs: 0
; ScratchSize: 0
; MemoryBound: 0
; FloatMode: 240
; IeeeMode: 1
; LDSByteSize: 0 bytes/workgroup (compile time only)
; SGPRBlocks: 0
; VGPRBlocks: 0
; NumSGPRsForWavesPerEU: 1
; NumVGPRsForWavesPerEU: 1
; Occupancy: 16
; WaveLimiterHint : 0
; COMPUTE_PGM_RSRC2:SCRATCH_EN: 0
; COMPUTE_PGM_RSRC2:USER_SGPR: 2
; COMPUTE_PGM_RSRC2:TRAP_HANDLER: 0
; COMPUTE_PGM_RSRC2:TGID_X_EN: 1
; COMPUTE_PGM_RSRC2:TGID_Y_EN: 0
; COMPUTE_PGM_RSRC2:TGID_Z_EN: 0
; COMPUTE_PGM_RSRC2:TIDIG_COMP_CNT: 0
	.section	.text._ZN7rocprim17ROCPRIM_400000_NS6detail17trampoline_kernelINS0_13select_configILj256ELj13ELNS0_17block_load_methodE3ELS4_3ELS4_3ELNS0_20block_scan_algorithmE0ELj4294967295EEENS1_25partition_config_selectorILNS1_17partition_subalgoE3EjNS0_10empty_typeEbEEZZNS1_14partition_implILS8_3ELb0ES6_jNS0_17counting_iteratorIjlEEPS9_SE_NS0_5tupleIJPjSE_EEENSF_IJSE_SE_EEES9_SG_JZNS1_25segmented_radix_sort_implINS0_14default_configELb1EPKfPfPKlPlN2at6native12_GLOBAL__N_18offset_tEEE10hipError_tPvRmT1_PNSt15iterator_traitsISY_E10value_typeET2_T3_PNSZ_IS14_E10value_typeET4_jRbjT5_S1A_jjP12ihipStream_tbEUljE_EEESV_SW_SX_S14_S18_S1A_T6_T7_T9_mT8_S1C_bDpT10_ENKUlT_T0_E_clISt17integral_constantIbLb0EES1P_EEDaS1K_S1L_EUlS1K_E_NS1_11comp_targetILNS1_3genE5ELNS1_11target_archE942ELNS1_3gpuE9ELNS1_3repE0EEENS1_30default_config_static_selectorELNS0_4arch9wavefront6targetE0EEEvSY_,"axG",@progbits,_ZN7rocprim17ROCPRIM_400000_NS6detail17trampoline_kernelINS0_13select_configILj256ELj13ELNS0_17block_load_methodE3ELS4_3ELS4_3ELNS0_20block_scan_algorithmE0ELj4294967295EEENS1_25partition_config_selectorILNS1_17partition_subalgoE3EjNS0_10empty_typeEbEEZZNS1_14partition_implILS8_3ELb0ES6_jNS0_17counting_iteratorIjlEEPS9_SE_NS0_5tupleIJPjSE_EEENSF_IJSE_SE_EEES9_SG_JZNS1_25segmented_radix_sort_implINS0_14default_configELb1EPKfPfPKlPlN2at6native12_GLOBAL__N_18offset_tEEE10hipError_tPvRmT1_PNSt15iterator_traitsISY_E10value_typeET2_T3_PNSZ_IS14_E10value_typeET4_jRbjT5_S1A_jjP12ihipStream_tbEUljE_EEESV_SW_SX_S14_S18_S1A_T6_T7_T9_mT8_S1C_bDpT10_ENKUlT_T0_E_clISt17integral_constantIbLb0EES1P_EEDaS1K_S1L_EUlS1K_E_NS1_11comp_targetILNS1_3genE5ELNS1_11target_archE942ELNS1_3gpuE9ELNS1_3repE0EEENS1_30default_config_static_selectorELNS0_4arch9wavefront6targetE0EEEvSY_,comdat
	.globl	_ZN7rocprim17ROCPRIM_400000_NS6detail17trampoline_kernelINS0_13select_configILj256ELj13ELNS0_17block_load_methodE3ELS4_3ELS4_3ELNS0_20block_scan_algorithmE0ELj4294967295EEENS1_25partition_config_selectorILNS1_17partition_subalgoE3EjNS0_10empty_typeEbEEZZNS1_14partition_implILS8_3ELb0ES6_jNS0_17counting_iteratorIjlEEPS9_SE_NS0_5tupleIJPjSE_EEENSF_IJSE_SE_EEES9_SG_JZNS1_25segmented_radix_sort_implINS0_14default_configELb1EPKfPfPKlPlN2at6native12_GLOBAL__N_18offset_tEEE10hipError_tPvRmT1_PNSt15iterator_traitsISY_E10value_typeET2_T3_PNSZ_IS14_E10value_typeET4_jRbjT5_S1A_jjP12ihipStream_tbEUljE_EEESV_SW_SX_S14_S18_S1A_T6_T7_T9_mT8_S1C_bDpT10_ENKUlT_T0_E_clISt17integral_constantIbLb0EES1P_EEDaS1K_S1L_EUlS1K_E_NS1_11comp_targetILNS1_3genE5ELNS1_11target_archE942ELNS1_3gpuE9ELNS1_3repE0EEENS1_30default_config_static_selectorELNS0_4arch9wavefront6targetE0EEEvSY_ ; -- Begin function _ZN7rocprim17ROCPRIM_400000_NS6detail17trampoline_kernelINS0_13select_configILj256ELj13ELNS0_17block_load_methodE3ELS4_3ELS4_3ELNS0_20block_scan_algorithmE0ELj4294967295EEENS1_25partition_config_selectorILNS1_17partition_subalgoE3EjNS0_10empty_typeEbEEZZNS1_14partition_implILS8_3ELb0ES6_jNS0_17counting_iteratorIjlEEPS9_SE_NS0_5tupleIJPjSE_EEENSF_IJSE_SE_EEES9_SG_JZNS1_25segmented_radix_sort_implINS0_14default_configELb1EPKfPfPKlPlN2at6native12_GLOBAL__N_18offset_tEEE10hipError_tPvRmT1_PNSt15iterator_traitsISY_E10value_typeET2_T3_PNSZ_IS14_E10value_typeET4_jRbjT5_S1A_jjP12ihipStream_tbEUljE_EEESV_SW_SX_S14_S18_S1A_T6_T7_T9_mT8_S1C_bDpT10_ENKUlT_T0_E_clISt17integral_constantIbLb0EES1P_EEDaS1K_S1L_EUlS1K_E_NS1_11comp_targetILNS1_3genE5ELNS1_11target_archE942ELNS1_3gpuE9ELNS1_3repE0EEENS1_30default_config_static_selectorELNS0_4arch9wavefront6targetE0EEEvSY_
	.p2align	8
	.type	_ZN7rocprim17ROCPRIM_400000_NS6detail17trampoline_kernelINS0_13select_configILj256ELj13ELNS0_17block_load_methodE3ELS4_3ELS4_3ELNS0_20block_scan_algorithmE0ELj4294967295EEENS1_25partition_config_selectorILNS1_17partition_subalgoE3EjNS0_10empty_typeEbEEZZNS1_14partition_implILS8_3ELb0ES6_jNS0_17counting_iteratorIjlEEPS9_SE_NS0_5tupleIJPjSE_EEENSF_IJSE_SE_EEES9_SG_JZNS1_25segmented_radix_sort_implINS0_14default_configELb1EPKfPfPKlPlN2at6native12_GLOBAL__N_18offset_tEEE10hipError_tPvRmT1_PNSt15iterator_traitsISY_E10value_typeET2_T3_PNSZ_IS14_E10value_typeET4_jRbjT5_S1A_jjP12ihipStream_tbEUljE_EEESV_SW_SX_S14_S18_S1A_T6_T7_T9_mT8_S1C_bDpT10_ENKUlT_T0_E_clISt17integral_constantIbLb0EES1P_EEDaS1K_S1L_EUlS1K_E_NS1_11comp_targetILNS1_3genE5ELNS1_11target_archE942ELNS1_3gpuE9ELNS1_3repE0EEENS1_30default_config_static_selectorELNS0_4arch9wavefront6targetE0EEEvSY_,@function
_ZN7rocprim17ROCPRIM_400000_NS6detail17trampoline_kernelINS0_13select_configILj256ELj13ELNS0_17block_load_methodE3ELS4_3ELS4_3ELNS0_20block_scan_algorithmE0ELj4294967295EEENS1_25partition_config_selectorILNS1_17partition_subalgoE3EjNS0_10empty_typeEbEEZZNS1_14partition_implILS8_3ELb0ES6_jNS0_17counting_iteratorIjlEEPS9_SE_NS0_5tupleIJPjSE_EEENSF_IJSE_SE_EEES9_SG_JZNS1_25segmented_radix_sort_implINS0_14default_configELb1EPKfPfPKlPlN2at6native12_GLOBAL__N_18offset_tEEE10hipError_tPvRmT1_PNSt15iterator_traitsISY_E10value_typeET2_T3_PNSZ_IS14_E10value_typeET4_jRbjT5_S1A_jjP12ihipStream_tbEUljE_EEESV_SW_SX_S14_S18_S1A_T6_T7_T9_mT8_S1C_bDpT10_ENKUlT_T0_E_clISt17integral_constantIbLb0EES1P_EEDaS1K_S1L_EUlS1K_E_NS1_11comp_targetILNS1_3genE5ELNS1_11target_archE942ELNS1_3gpuE9ELNS1_3repE0EEENS1_30default_config_static_selectorELNS0_4arch9wavefront6targetE0EEEvSY_: ; @_ZN7rocprim17ROCPRIM_400000_NS6detail17trampoline_kernelINS0_13select_configILj256ELj13ELNS0_17block_load_methodE3ELS4_3ELS4_3ELNS0_20block_scan_algorithmE0ELj4294967295EEENS1_25partition_config_selectorILNS1_17partition_subalgoE3EjNS0_10empty_typeEbEEZZNS1_14partition_implILS8_3ELb0ES6_jNS0_17counting_iteratorIjlEEPS9_SE_NS0_5tupleIJPjSE_EEENSF_IJSE_SE_EEES9_SG_JZNS1_25segmented_radix_sort_implINS0_14default_configELb1EPKfPfPKlPlN2at6native12_GLOBAL__N_18offset_tEEE10hipError_tPvRmT1_PNSt15iterator_traitsISY_E10value_typeET2_T3_PNSZ_IS14_E10value_typeET4_jRbjT5_S1A_jjP12ihipStream_tbEUljE_EEESV_SW_SX_S14_S18_S1A_T6_T7_T9_mT8_S1C_bDpT10_ENKUlT_T0_E_clISt17integral_constantIbLb0EES1P_EEDaS1K_S1L_EUlS1K_E_NS1_11comp_targetILNS1_3genE5ELNS1_11target_archE942ELNS1_3gpuE9ELNS1_3repE0EEENS1_30default_config_static_selectorELNS0_4arch9wavefront6targetE0EEEvSY_
; %bb.0:
	.section	.rodata,"a",@progbits
	.p2align	6, 0x0
	.amdhsa_kernel _ZN7rocprim17ROCPRIM_400000_NS6detail17trampoline_kernelINS0_13select_configILj256ELj13ELNS0_17block_load_methodE3ELS4_3ELS4_3ELNS0_20block_scan_algorithmE0ELj4294967295EEENS1_25partition_config_selectorILNS1_17partition_subalgoE3EjNS0_10empty_typeEbEEZZNS1_14partition_implILS8_3ELb0ES6_jNS0_17counting_iteratorIjlEEPS9_SE_NS0_5tupleIJPjSE_EEENSF_IJSE_SE_EEES9_SG_JZNS1_25segmented_radix_sort_implINS0_14default_configELb1EPKfPfPKlPlN2at6native12_GLOBAL__N_18offset_tEEE10hipError_tPvRmT1_PNSt15iterator_traitsISY_E10value_typeET2_T3_PNSZ_IS14_E10value_typeET4_jRbjT5_S1A_jjP12ihipStream_tbEUljE_EEESV_SW_SX_S14_S18_S1A_T6_T7_T9_mT8_S1C_bDpT10_ENKUlT_T0_E_clISt17integral_constantIbLb0EES1P_EEDaS1K_S1L_EUlS1K_E_NS1_11comp_targetILNS1_3genE5ELNS1_11target_archE942ELNS1_3gpuE9ELNS1_3repE0EEENS1_30default_config_static_selectorELNS0_4arch9wavefront6targetE0EEEvSY_
		.amdhsa_group_segment_fixed_size 0
		.amdhsa_private_segment_fixed_size 0
		.amdhsa_kernarg_size 144
		.amdhsa_user_sgpr_count 2
		.amdhsa_user_sgpr_dispatch_ptr 0
		.amdhsa_user_sgpr_queue_ptr 0
		.amdhsa_user_sgpr_kernarg_segment_ptr 1
		.amdhsa_user_sgpr_dispatch_id 0
		.amdhsa_user_sgpr_private_segment_size 0
		.amdhsa_wavefront_size32 1
		.amdhsa_uses_dynamic_stack 0
		.amdhsa_enable_private_segment 0
		.amdhsa_system_sgpr_workgroup_id_x 1
		.amdhsa_system_sgpr_workgroup_id_y 0
		.amdhsa_system_sgpr_workgroup_id_z 0
		.amdhsa_system_sgpr_workgroup_info 0
		.amdhsa_system_vgpr_workitem_id 0
		.amdhsa_next_free_vgpr 1
		.amdhsa_next_free_sgpr 1
		.amdhsa_reserve_vcc 0
		.amdhsa_float_round_mode_32 0
		.amdhsa_float_round_mode_16_64 0
		.amdhsa_float_denorm_mode_32 3
		.amdhsa_float_denorm_mode_16_64 3
		.amdhsa_fp16_overflow 0
		.amdhsa_workgroup_processor_mode 1
		.amdhsa_memory_ordered 1
		.amdhsa_forward_progress 1
		.amdhsa_inst_pref_size 0
		.amdhsa_round_robin_scheduling 0
		.amdhsa_exception_fp_ieee_invalid_op 0
		.amdhsa_exception_fp_denorm_src 0
		.amdhsa_exception_fp_ieee_div_zero 0
		.amdhsa_exception_fp_ieee_overflow 0
		.amdhsa_exception_fp_ieee_underflow 0
		.amdhsa_exception_fp_ieee_inexact 0
		.amdhsa_exception_int_div_zero 0
	.end_amdhsa_kernel
	.section	.text._ZN7rocprim17ROCPRIM_400000_NS6detail17trampoline_kernelINS0_13select_configILj256ELj13ELNS0_17block_load_methodE3ELS4_3ELS4_3ELNS0_20block_scan_algorithmE0ELj4294967295EEENS1_25partition_config_selectorILNS1_17partition_subalgoE3EjNS0_10empty_typeEbEEZZNS1_14partition_implILS8_3ELb0ES6_jNS0_17counting_iteratorIjlEEPS9_SE_NS0_5tupleIJPjSE_EEENSF_IJSE_SE_EEES9_SG_JZNS1_25segmented_radix_sort_implINS0_14default_configELb1EPKfPfPKlPlN2at6native12_GLOBAL__N_18offset_tEEE10hipError_tPvRmT1_PNSt15iterator_traitsISY_E10value_typeET2_T3_PNSZ_IS14_E10value_typeET4_jRbjT5_S1A_jjP12ihipStream_tbEUljE_EEESV_SW_SX_S14_S18_S1A_T6_T7_T9_mT8_S1C_bDpT10_ENKUlT_T0_E_clISt17integral_constantIbLb0EES1P_EEDaS1K_S1L_EUlS1K_E_NS1_11comp_targetILNS1_3genE5ELNS1_11target_archE942ELNS1_3gpuE9ELNS1_3repE0EEENS1_30default_config_static_selectorELNS0_4arch9wavefront6targetE0EEEvSY_,"axG",@progbits,_ZN7rocprim17ROCPRIM_400000_NS6detail17trampoline_kernelINS0_13select_configILj256ELj13ELNS0_17block_load_methodE3ELS4_3ELS4_3ELNS0_20block_scan_algorithmE0ELj4294967295EEENS1_25partition_config_selectorILNS1_17partition_subalgoE3EjNS0_10empty_typeEbEEZZNS1_14partition_implILS8_3ELb0ES6_jNS0_17counting_iteratorIjlEEPS9_SE_NS0_5tupleIJPjSE_EEENSF_IJSE_SE_EEES9_SG_JZNS1_25segmented_radix_sort_implINS0_14default_configELb1EPKfPfPKlPlN2at6native12_GLOBAL__N_18offset_tEEE10hipError_tPvRmT1_PNSt15iterator_traitsISY_E10value_typeET2_T3_PNSZ_IS14_E10value_typeET4_jRbjT5_S1A_jjP12ihipStream_tbEUljE_EEESV_SW_SX_S14_S18_S1A_T6_T7_T9_mT8_S1C_bDpT10_ENKUlT_T0_E_clISt17integral_constantIbLb0EES1P_EEDaS1K_S1L_EUlS1K_E_NS1_11comp_targetILNS1_3genE5ELNS1_11target_archE942ELNS1_3gpuE9ELNS1_3repE0EEENS1_30default_config_static_selectorELNS0_4arch9wavefront6targetE0EEEvSY_,comdat
.Lfunc_end1294:
	.size	_ZN7rocprim17ROCPRIM_400000_NS6detail17trampoline_kernelINS0_13select_configILj256ELj13ELNS0_17block_load_methodE3ELS4_3ELS4_3ELNS0_20block_scan_algorithmE0ELj4294967295EEENS1_25partition_config_selectorILNS1_17partition_subalgoE3EjNS0_10empty_typeEbEEZZNS1_14partition_implILS8_3ELb0ES6_jNS0_17counting_iteratorIjlEEPS9_SE_NS0_5tupleIJPjSE_EEENSF_IJSE_SE_EEES9_SG_JZNS1_25segmented_radix_sort_implINS0_14default_configELb1EPKfPfPKlPlN2at6native12_GLOBAL__N_18offset_tEEE10hipError_tPvRmT1_PNSt15iterator_traitsISY_E10value_typeET2_T3_PNSZ_IS14_E10value_typeET4_jRbjT5_S1A_jjP12ihipStream_tbEUljE_EEESV_SW_SX_S14_S18_S1A_T6_T7_T9_mT8_S1C_bDpT10_ENKUlT_T0_E_clISt17integral_constantIbLb0EES1P_EEDaS1K_S1L_EUlS1K_E_NS1_11comp_targetILNS1_3genE5ELNS1_11target_archE942ELNS1_3gpuE9ELNS1_3repE0EEENS1_30default_config_static_selectorELNS0_4arch9wavefront6targetE0EEEvSY_, .Lfunc_end1294-_ZN7rocprim17ROCPRIM_400000_NS6detail17trampoline_kernelINS0_13select_configILj256ELj13ELNS0_17block_load_methodE3ELS4_3ELS4_3ELNS0_20block_scan_algorithmE0ELj4294967295EEENS1_25partition_config_selectorILNS1_17partition_subalgoE3EjNS0_10empty_typeEbEEZZNS1_14partition_implILS8_3ELb0ES6_jNS0_17counting_iteratorIjlEEPS9_SE_NS0_5tupleIJPjSE_EEENSF_IJSE_SE_EEES9_SG_JZNS1_25segmented_radix_sort_implINS0_14default_configELb1EPKfPfPKlPlN2at6native12_GLOBAL__N_18offset_tEEE10hipError_tPvRmT1_PNSt15iterator_traitsISY_E10value_typeET2_T3_PNSZ_IS14_E10value_typeET4_jRbjT5_S1A_jjP12ihipStream_tbEUljE_EEESV_SW_SX_S14_S18_S1A_T6_T7_T9_mT8_S1C_bDpT10_ENKUlT_T0_E_clISt17integral_constantIbLb0EES1P_EEDaS1K_S1L_EUlS1K_E_NS1_11comp_targetILNS1_3genE5ELNS1_11target_archE942ELNS1_3gpuE9ELNS1_3repE0EEENS1_30default_config_static_selectorELNS0_4arch9wavefront6targetE0EEEvSY_
                                        ; -- End function
	.set _ZN7rocprim17ROCPRIM_400000_NS6detail17trampoline_kernelINS0_13select_configILj256ELj13ELNS0_17block_load_methodE3ELS4_3ELS4_3ELNS0_20block_scan_algorithmE0ELj4294967295EEENS1_25partition_config_selectorILNS1_17partition_subalgoE3EjNS0_10empty_typeEbEEZZNS1_14partition_implILS8_3ELb0ES6_jNS0_17counting_iteratorIjlEEPS9_SE_NS0_5tupleIJPjSE_EEENSF_IJSE_SE_EEES9_SG_JZNS1_25segmented_radix_sort_implINS0_14default_configELb1EPKfPfPKlPlN2at6native12_GLOBAL__N_18offset_tEEE10hipError_tPvRmT1_PNSt15iterator_traitsISY_E10value_typeET2_T3_PNSZ_IS14_E10value_typeET4_jRbjT5_S1A_jjP12ihipStream_tbEUljE_EEESV_SW_SX_S14_S18_S1A_T6_T7_T9_mT8_S1C_bDpT10_ENKUlT_T0_E_clISt17integral_constantIbLb0EES1P_EEDaS1K_S1L_EUlS1K_E_NS1_11comp_targetILNS1_3genE5ELNS1_11target_archE942ELNS1_3gpuE9ELNS1_3repE0EEENS1_30default_config_static_selectorELNS0_4arch9wavefront6targetE0EEEvSY_.num_vgpr, 0
	.set _ZN7rocprim17ROCPRIM_400000_NS6detail17trampoline_kernelINS0_13select_configILj256ELj13ELNS0_17block_load_methodE3ELS4_3ELS4_3ELNS0_20block_scan_algorithmE0ELj4294967295EEENS1_25partition_config_selectorILNS1_17partition_subalgoE3EjNS0_10empty_typeEbEEZZNS1_14partition_implILS8_3ELb0ES6_jNS0_17counting_iteratorIjlEEPS9_SE_NS0_5tupleIJPjSE_EEENSF_IJSE_SE_EEES9_SG_JZNS1_25segmented_radix_sort_implINS0_14default_configELb1EPKfPfPKlPlN2at6native12_GLOBAL__N_18offset_tEEE10hipError_tPvRmT1_PNSt15iterator_traitsISY_E10value_typeET2_T3_PNSZ_IS14_E10value_typeET4_jRbjT5_S1A_jjP12ihipStream_tbEUljE_EEESV_SW_SX_S14_S18_S1A_T6_T7_T9_mT8_S1C_bDpT10_ENKUlT_T0_E_clISt17integral_constantIbLb0EES1P_EEDaS1K_S1L_EUlS1K_E_NS1_11comp_targetILNS1_3genE5ELNS1_11target_archE942ELNS1_3gpuE9ELNS1_3repE0EEENS1_30default_config_static_selectorELNS0_4arch9wavefront6targetE0EEEvSY_.num_agpr, 0
	.set _ZN7rocprim17ROCPRIM_400000_NS6detail17trampoline_kernelINS0_13select_configILj256ELj13ELNS0_17block_load_methodE3ELS4_3ELS4_3ELNS0_20block_scan_algorithmE0ELj4294967295EEENS1_25partition_config_selectorILNS1_17partition_subalgoE3EjNS0_10empty_typeEbEEZZNS1_14partition_implILS8_3ELb0ES6_jNS0_17counting_iteratorIjlEEPS9_SE_NS0_5tupleIJPjSE_EEENSF_IJSE_SE_EEES9_SG_JZNS1_25segmented_radix_sort_implINS0_14default_configELb1EPKfPfPKlPlN2at6native12_GLOBAL__N_18offset_tEEE10hipError_tPvRmT1_PNSt15iterator_traitsISY_E10value_typeET2_T3_PNSZ_IS14_E10value_typeET4_jRbjT5_S1A_jjP12ihipStream_tbEUljE_EEESV_SW_SX_S14_S18_S1A_T6_T7_T9_mT8_S1C_bDpT10_ENKUlT_T0_E_clISt17integral_constantIbLb0EES1P_EEDaS1K_S1L_EUlS1K_E_NS1_11comp_targetILNS1_3genE5ELNS1_11target_archE942ELNS1_3gpuE9ELNS1_3repE0EEENS1_30default_config_static_selectorELNS0_4arch9wavefront6targetE0EEEvSY_.numbered_sgpr, 0
	.set _ZN7rocprim17ROCPRIM_400000_NS6detail17trampoline_kernelINS0_13select_configILj256ELj13ELNS0_17block_load_methodE3ELS4_3ELS4_3ELNS0_20block_scan_algorithmE0ELj4294967295EEENS1_25partition_config_selectorILNS1_17partition_subalgoE3EjNS0_10empty_typeEbEEZZNS1_14partition_implILS8_3ELb0ES6_jNS0_17counting_iteratorIjlEEPS9_SE_NS0_5tupleIJPjSE_EEENSF_IJSE_SE_EEES9_SG_JZNS1_25segmented_radix_sort_implINS0_14default_configELb1EPKfPfPKlPlN2at6native12_GLOBAL__N_18offset_tEEE10hipError_tPvRmT1_PNSt15iterator_traitsISY_E10value_typeET2_T3_PNSZ_IS14_E10value_typeET4_jRbjT5_S1A_jjP12ihipStream_tbEUljE_EEESV_SW_SX_S14_S18_S1A_T6_T7_T9_mT8_S1C_bDpT10_ENKUlT_T0_E_clISt17integral_constantIbLb0EES1P_EEDaS1K_S1L_EUlS1K_E_NS1_11comp_targetILNS1_3genE5ELNS1_11target_archE942ELNS1_3gpuE9ELNS1_3repE0EEENS1_30default_config_static_selectorELNS0_4arch9wavefront6targetE0EEEvSY_.num_named_barrier, 0
	.set _ZN7rocprim17ROCPRIM_400000_NS6detail17trampoline_kernelINS0_13select_configILj256ELj13ELNS0_17block_load_methodE3ELS4_3ELS4_3ELNS0_20block_scan_algorithmE0ELj4294967295EEENS1_25partition_config_selectorILNS1_17partition_subalgoE3EjNS0_10empty_typeEbEEZZNS1_14partition_implILS8_3ELb0ES6_jNS0_17counting_iteratorIjlEEPS9_SE_NS0_5tupleIJPjSE_EEENSF_IJSE_SE_EEES9_SG_JZNS1_25segmented_radix_sort_implINS0_14default_configELb1EPKfPfPKlPlN2at6native12_GLOBAL__N_18offset_tEEE10hipError_tPvRmT1_PNSt15iterator_traitsISY_E10value_typeET2_T3_PNSZ_IS14_E10value_typeET4_jRbjT5_S1A_jjP12ihipStream_tbEUljE_EEESV_SW_SX_S14_S18_S1A_T6_T7_T9_mT8_S1C_bDpT10_ENKUlT_T0_E_clISt17integral_constantIbLb0EES1P_EEDaS1K_S1L_EUlS1K_E_NS1_11comp_targetILNS1_3genE5ELNS1_11target_archE942ELNS1_3gpuE9ELNS1_3repE0EEENS1_30default_config_static_selectorELNS0_4arch9wavefront6targetE0EEEvSY_.private_seg_size, 0
	.set _ZN7rocprim17ROCPRIM_400000_NS6detail17trampoline_kernelINS0_13select_configILj256ELj13ELNS0_17block_load_methodE3ELS4_3ELS4_3ELNS0_20block_scan_algorithmE0ELj4294967295EEENS1_25partition_config_selectorILNS1_17partition_subalgoE3EjNS0_10empty_typeEbEEZZNS1_14partition_implILS8_3ELb0ES6_jNS0_17counting_iteratorIjlEEPS9_SE_NS0_5tupleIJPjSE_EEENSF_IJSE_SE_EEES9_SG_JZNS1_25segmented_radix_sort_implINS0_14default_configELb1EPKfPfPKlPlN2at6native12_GLOBAL__N_18offset_tEEE10hipError_tPvRmT1_PNSt15iterator_traitsISY_E10value_typeET2_T3_PNSZ_IS14_E10value_typeET4_jRbjT5_S1A_jjP12ihipStream_tbEUljE_EEESV_SW_SX_S14_S18_S1A_T6_T7_T9_mT8_S1C_bDpT10_ENKUlT_T0_E_clISt17integral_constantIbLb0EES1P_EEDaS1K_S1L_EUlS1K_E_NS1_11comp_targetILNS1_3genE5ELNS1_11target_archE942ELNS1_3gpuE9ELNS1_3repE0EEENS1_30default_config_static_selectorELNS0_4arch9wavefront6targetE0EEEvSY_.uses_vcc, 0
	.set _ZN7rocprim17ROCPRIM_400000_NS6detail17trampoline_kernelINS0_13select_configILj256ELj13ELNS0_17block_load_methodE3ELS4_3ELS4_3ELNS0_20block_scan_algorithmE0ELj4294967295EEENS1_25partition_config_selectorILNS1_17partition_subalgoE3EjNS0_10empty_typeEbEEZZNS1_14partition_implILS8_3ELb0ES6_jNS0_17counting_iteratorIjlEEPS9_SE_NS0_5tupleIJPjSE_EEENSF_IJSE_SE_EEES9_SG_JZNS1_25segmented_radix_sort_implINS0_14default_configELb1EPKfPfPKlPlN2at6native12_GLOBAL__N_18offset_tEEE10hipError_tPvRmT1_PNSt15iterator_traitsISY_E10value_typeET2_T3_PNSZ_IS14_E10value_typeET4_jRbjT5_S1A_jjP12ihipStream_tbEUljE_EEESV_SW_SX_S14_S18_S1A_T6_T7_T9_mT8_S1C_bDpT10_ENKUlT_T0_E_clISt17integral_constantIbLb0EES1P_EEDaS1K_S1L_EUlS1K_E_NS1_11comp_targetILNS1_3genE5ELNS1_11target_archE942ELNS1_3gpuE9ELNS1_3repE0EEENS1_30default_config_static_selectorELNS0_4arch9wavefront6targetE0EEEvSY_.uses_flat_scratch, 0
	.set _ZN7rocprim17ROCPRIM_400000_NS6detail17trampoline_kernelINS0_13select_configILj256ELj13ELNS0_17block_load_methodE3ELS4_3ELS4_3ELNS0_20block_scan_algorithmE0ELj4294967295EEENS1_25partition_config_selectorILNS1_17partition_subalgoE3EjNS0_10empty_typeEbEEZZNS1_14partition_implILS8_3ELb0ES6_jNS0_17counting_iteratorIjlEEPS9_SE_NS0_5tupleIJPjSE_EEENSF_IJSE_SE_EEES9_SG_JZNS1_25segmented_radix_sort_implINS0_14default_configELb1EPKfPfPKlPlN2at6native12_GLOBAL__N_18offset_tEEE10hipError_tPvRmT1_PNSt15iterator_traitsISY_E10value_typeET2_T3_PNSZ_IS14_E10value_typeET4_jRbjT5_S1A_jjP12ihipStream_tbEUljE_EEESV_SW_SX_S14_S18_S1A_T6_T7_T9_mT8_S1C_bDpT10_ENKUlT_T0_E_clISt17integral_constantIbLb0EES1P_EEDaS1K_S1L_EUlS1K_E_NS1_11comp_targetILNS1_3genE5ELNS1_11target_archE942ELNS1_3gpuE9ELNS1_3repE0EEENS1_30default_config_static_selectorELNS0_4arch9wavefront6targetE0EEEvSY_.has_dyn_sized_stack, 0
	.set _ZN7rocprim17ROCPRIM_400000_NS6detail17trampoline_kernelINS0_13select_configILj256ELj13ELNS0_17block_load_methodE3ELS4_3ELS4_3ELNS0_20block_scan_algorithmE0ELj4294967295EEENS1_25partition_config_selectorILNS1_17partition_subalgoE3EjNS0_10empty_typeEbEEZZNS1_14partition_implILS8_3ELb0ES6_jNS0_17counting_iteratorIjlEEPS9_SE_NS0_5tupleIJPjSE_EEENSF_IJSE_SE_EEES9_SG_JZNS1_25segmented_radix_sort_implINS0_14default_configELb1EPKfPfPKlPlN2at6native12_GLOBAL__N_18offset_tEEE10hipError_tPvRmT1_PNSt15iterator_traitsISY_E10value_typeET2_T3_PNSZ_IS14_E10value_typeET4_jRbjT5_S1A_jjP12ihipStream_tbEUljE_EEESV_SW_SX_S14_S18_S1A_T6_T7_T9_mT8_S1C_bDpT10_ENKUlT_T0_E_clISt17integral_constantIbLb0EES1P_EEDaS1K_S1L_EUlS1K_E_NS1_11comp_targetILNS1_3genE5ELNS1_11target_archE942ELNS1_3gpuE9ELNS1_3repE0EEENS1_30default_config_static_selectorELNS0_4arch9wavefront6targetE0EEEvSY_.has_recursion, 0
	.set _ZN7rocprim17ROCPRIM_400000_NS6detail17trampoline_kernelINS0_13select_configILj256ELj13ELNS0_17block_load_methodE3ELS4_3ELS4_3ELNS0_20block_scan_algorithmE0ELj4294967295EEENS1_25partition_config_selectorILNS1_17partition_subalgoE3EjNS0_10empty_typeEbEEZZNS1_14partition_implILS8_3ELb0ES6_jNS0_17counting_iteratorIjlEEPS9_SE_NS0_5tupleIJPjSE_EEENSF_IJSE_SE_EEES9_SG_JZNS1_25segmented_radix_sort_implINS0_14default_configELb1EPKfPfPKlPlN2at6native12_GLOBAL__N_18offset_tEEE10hipError_tPvRmT1_PNSt15iterator_traitsISY_E10value_typeET2_T3_PNSZ_IS14_E10value_typeET4_jRbjT5_S1A_jjP12ihipStream_tbEUljE_EEESV_SW_SX_S14_S18_S1A_T6_T7_T9_mT8_S1C_bDpT10_ENKUlT_T0_E_clISt17integral_constantIbLb0EES1P_EEDaS1K_S1L_EUlS1K_E_NS1_11comp_targetILNS1_3genE5ELNS1_11target_archE942ELNS1_3gpuE9ELNS1_3repE0EEENS1_30default_config_static_selectorELNS0_4arch9wavefront6targetE0EEEvSY_.has_indirect_call, 0
	.section	.AMDGPU.csdata,"",@progbits
; Kernel info:
; codeLenInByte = 0
; TotalNumSgprs: 0
; NumVgprs: 0
; ScratchSize: 0
; MemoryBound: 0
; FloatMode: 240
; IeeeMode: 1
; LDSByteSize: 0 bytes/workgroup (compile time only)
; SGPRBlocks: 0
; VGPRBlocks: 0
; NumSGPRsForWavesPerEU: 1
; NumVGPRsForWavesPerEU: 1
; Occupancy: 16
; WaveLimiterHint : 0
; COMPUTE_PGM_RSRC2:SCRATCH_EN: 0
; COMPUTE_PGM_RSRC2:USER_SGPR: 2
; COMPUTE_PGM_RSRC2:TRAP_HANDLER: 0
; COMPUTE_PGM_RSRC2:TGID_X_EN: 1
; COMPUTE_PGM_RSRC2:TGID_Y_EN: 0
; COMPUTE_PGM_RSRC2:TGID_Z_EN: 0
; COMPUTE_PGM_RSRC2:TIDIG_COMP_CNT: 0
	.section	.text._ZN7rocprim17ROCPRIM_400000_NS6detail17trampoline_kernelINS0_13select_configILj256ELj13ELNS0_17block_load_methodE3ELS4_3ELS4_3ELNS0_20block_scan_algorithmE0ELj4294967295EEENS1_25partition_config_selectorILNS1_17partition_subalgoE3EjNS0_10empty_typeEbEEZZNS1_14partition_implILS8_3ELb0ES6_jNS0_17counting_iteratorIjlEEPS9_SE_NS0_5tupleIJPjSE_EEENSF_IJSE_SE_EEES9_SG_JZNS1_25segmented_radix_sort_implINS0_14default_configELb1EPKfPfPKlPlN2at6native12_GLOBAL__N_18offset_tEEE10hipError_tPvRmT1_PNSt15iterator_traitsISY_E10value_typeET2_T3_PNSZ_IS14_E10value_typeET4_jRbjT5_S1A_jjP12ihipStream_tbEUljE_EEESV_SW_SX_S14_S18_S1A_T6_T7_T9_mT8_S1C_bDpT10_ENKUlT_T0_E_clISt17integral_constantIbLb0EES1P_EEDaS1K_S1L_EUlS1K_E_NS1_11comp_targetILNS1_3genE4ELNS1_11target_archE910ELNS1_3gpuE8ELNS1_3repE0EEENS1_30default_config_static_selectorELNS0_4arch9wavefront6targetE0EEEvSY_,"axG",@progbits,_ZN7rocprim17ROCPRIM_400000_NS6detail17trampoline_kernelINS0_13select_configILj256ELj13ELNS0_17block_load_methodE3ELS4_3ELS4_3ELNS0_20block_scan_algorithmE0ELj4294967295EEENS1_25partition_config_selectorILNS1_17partition_subalgoE3EjNS0_10empty_typeEbEEZZNS1_14partition_implILS8_3ELb0ES6_jNS0_17counting_iteratorIjlEEPS9_SE_NS0_5tupleIJPjSE_EEENSF_IJSE_SE_EEES9_SG_JZNS1_25segmented_radix_sort_implINS0_14default_configELb1EPKfPfPKlPlN2at6native12_GLOBAL__N_18offset_tEEE10hipError_tPvRmT1_PNSt15iterator_traitsISY_E10value_typeET2_T3_PNSZ_IS14_E10value_typeET4_jRbjT5_S1A_jjP12ihipStream_tbEUljE_EEESV_SW_SX_S14_S18_S1A_T6_T7_T9_mT8_S1C_bDpT10_ENKUlT_T0_E_clISt17integral_constantIbLb0EES1P_EEDaS1K_S1L_EUlS1K_E_NS1_11comp_targetILNS1_3genE4ELNS1_11target_archE910ELNS1_3gpuE8ELNS1_3repE0EEENS1_30default_config_static_selectorELNS0_4arch9wavefront6targetE0EEEvSY_,comdat
	.globl	_ZN7rocprim17ROCPRIM_400000_NS6detail17trampoline_kernelINS0_13select_configILj256ELj13ELNS0_17block_load_methodE3ELS4_3ELS4_3ELNS0_20block_scan_algorithmE0ELj4294967295EEENS1_25partition_config_selectorILNS1_17partition_subalgoE3EjNS0_10empty_typeEbEEZZNS1_14partition_implILS8_3ELb0ES6_jNS0_17counting_iteratorIjlEEPS9_SE_NS0_5tupleIJPjSE_EEENSF_IJSE_SE_EEES9_SG_JZNS1_25segmented_radix_sort_implINS0_14default_configELb1EPKfPfPKlPlN2at6native12_GLOBAL__N_18offset_tEEE10hipError_tPvRmT1_PNSt15iterator_traitsISY_E10value_typeET2_T3_PNSZ_IS14_E10value_typeET4_jRbjT5_S1A_jjP12ihipStream_tbEUljE_EEESV_SW_SX_S14_S18_S1A_T6_T7_T9_mT8_S1C_bDpT10_ENKUlT_T0_E_clISt17integral_constantIbLb0EES1P_EEDaS1K_S1L_EUlS1K_E_NS1_11comp_targetILNS1_3genE4ELNS1_11target_archE910ELNS1_3gpuE8ELNS1_3repE0EEENS1_30default_config_static_selectorELNS0_4arch9wavefront6targetE0EEEvSY_ ; -- Begin function _ZN7rocprim17ROCPRIM_400000_NS6detail17trampoline_kernelINS0_13select_configILj256ELj13ELNS0_17block_load_methodE3ELS4_3ELS4_3ELNS0_20block_scan_algorithmE0ELj4294967295EEENS1_25partition_config_selectorILNS1_17partition_subalgoE3EjNS0_10empty_typeEbEEZZNS1_14partition_implILS8_3ELb0ES6_jNS0_17counting_iteratorIjlEEPS9_SE_NS0_5tupleIJPjSE_EEENSF_IJSE_SE_EEES9_SG_JZNS1_25segmented_radix_sort_implINS0_14default_configELb1EPKfPfPKlPlN2at6native12_GLOBAL__N_18offset_tEEE10hipError_tPvRmT1_PNSt15iterator_traitsISY_E10value_typeET2_T3_PNSZ_IS14_E10value_typeET4_jRbjT5_S1A_jjP12ihipStream_tbEUljE_EEESV_SW_SX_S14_S18_S1A_T6_T7_T9_mT8_S1C_bDpT10_ENKUlT_T0_E_clISt17integral_constantIbLb0EES1P_EEDaS1K_S1L_EUlS1K_E_NS1_11comp_targetILNS1_3genE4ELNS1_11target_archE910ELNS1_3gpuE8ELNS1_3repE0EEENS1_30default_config_static_selectorELNS0_4arch9wavefront6targetE0EEEvSY_
	.p2align	8
	.type	_ZN7rocprim17ROCPRIM_400000_NS6detail17trampoline_kernelINS0_13select_configILj256ELj13ELNS0_17block_load_methodE3ELS4_3ELS4_3ELNS0_20block_scan_algorithmE0ELj4294967295EEENS1_25partition_config_selectorILNS1_17partition_subalgoE3EjNS0_10empty_typeEbEEZZNS1_14partition_implILS8_3ELb0ES6_jNS0_17counting_iteratorIjlEEPS9_SE_NS0_5tupleIJPjSE_EEENSF_IJSE_SE_EEES9_SG_JZNS1_25segmented_radix_sort_implINS0_14default_configELb1EPKfPfPKlPlN2at6native12_GLOBAL__N_18offset_tEEE10hipError_tPvRmT1_PNSt15iterator_traitsISY_E10value_typeET2_T3_PNSZ_IS14_E10value_typeET4_jRbjT5_S1A_jjP12ihipStream_tbEUljE_EEESV_SW_SX_S14_S18_S1A_T6_T7_T9_mT8_S1C_bDpT10_ENKUlT_T0_E_clISt17integral_constantIbLb0EES1P_EEDaS1K_S1L_EUlS1K_E_NS1_11comp_targetILNS1_3genE4ELNS1_11target_archE910ELNS1_3gpuE8ELNS1_3repE0EEENS1_30default_config_static_selectorELNS0_4arch9wavefront6targetE0EEEvSY_,@function
_ZN7rocprim17ROCPRIM_400000_NS6detail17trampoline_kernelINS0_13select_configILj256ELj13ELNS0_17block_load_methodE3ELS4_3ELS4_3ELNS0_20block_scan_algorithmE0ELj4294967295EEENS1_25partition_config_selectorILNS1_17partition_subalgoE3EjNS0_10empty_typeEbEEZZNS1_14partition_implILS8_3ELb0ES6_jNS0_17counting_iteratorIjlEEPS9_SE_NS0_5tupleIJPjSE_EEENSF_IJSE_SE_EEES9_SG_JZNS1_25segmented_radix_sort_implINS0_14default_configELb1EPKfPfPKlPlN2at6native12_GLOBAL__N_18offset_tEEE10hipError_tPvRmT1_PNSt15iterator_traitsISY_E10value_typeET2_T3_PNSZ_IS14_E10value_typeET4_jRbjT5_S1A_jjP12ihipStream_tbEUljE_EEESV_SW_SX_S14_S18_S1A_T6_T7_T9_mT8_S1C_bDpT10_ENKUlT_T0_E_clISt17integral_constantIbLb0EES1P_EEDaS1K_S1L_EUlS1K_E_NS1_11comp_targetILNS1_3genE4ELNS1_11target_archE910ELNS1_3gpuE8ELNS1_3repE0EEENS1_30default_config_static_selectorELNS0_4arch9wavefront6targetE0EEEvSY_: ; @_ZN7rocprim17ROCPRIM_400000_NS6detail17trampoline_kernelINS0_13select_configILj256ELj13ELNS0_17block_load_methodE3ELS4_3ELS4_3ELNS0_20block_scan_algorithmE0ELj4294967295EEENS1_25partition_config_selectorILNS1_17partition_subalgoE3EjNS0_10empty_typeEbEEZZNS1_14partition_implILS8_3ELb0ES6_jNS0_17counting_iteratorIjlEEPS9_SE_NS0_5tupleIJPjSE_EEENSF_IJSE_SE_EEES9_SG_JZNS1_25segmented_radix_sort_implINS0_14default_configELb1EPKfPfPKlPlN2at6native12_GLOBAL__N_18offset_tEEE10hipError_tPvRmT1_PNSt15iterator_traitsISY_E10value_typeET2_T3_PNSZ_IS14_E10value_typeET4_jRbjT5_S1A_jjP12ihipStream_tbEUljE_EEESV_SW_SX_S14_S18_S1A_T6_T7_T9_mT8_S1C_bDpT10_ENKUlT_T0_E_clISt17integral_constantIbLb0EES1P_EEDaS1K_S1L_EUlS1K_E_NS1_11comp_targetILNS1_3genE4ELNS1_11target_archE910ELNS1_3gpuE8ELNS1_3repE0EEENS1_30default_config_static_selectorELNS0_4arch9wavefront6targetE0EEEvSY_
; %bb.0:
	.section	.rodata,"a",@progbits
	.p2align	6, 0x0
	.amdhsa_kernel _ZN7rocprim17ROCPRIM_400000_NS6detail17trampoline_kernelINS0_13select_configILj256ELj13ELNS0_17block_load_methodE3ELS4_3ELS4_3ELNS0_20block_scan_algorithmE0ELj4294967295EEENS1_25partition_config_selectorILNS1_17partition_subalgoE3EjNS0_10empty_typeEbEEZZNS1_14partition_implILS8_3ELb0ES6_jNS0_17counting_iteratorIjlEEPS9_SE_NS0_5tupleIJPjSE_EEENSF_IJSE_SE_EEES9_SG_JZNS1_25segmented_radix_sort_implINS0_14default_configELb1EPKfPfPKlPlN2at6native12_GLOBAL__N_18offset_tEEE10hipError_tPvRmT1_PNSt15iterator_traitsISY_E10value_typeET2_T3_PNSZ_IS14_E10value_typeET4_jRbjT5_S1A_jjP12ihipStream_tbEUljE_EEESV_SW_SX_S14_S18_S1A_T6_T7_T9_mT8_S1C_bDpT10_ENKUlT_T0_E_clISt17integral_constantIbLb0EES1P_EEDaS1K_S1L_EUlS1K_E_NS1_11comp_targetILNS1_3genE4ELNS1_11target_archE910ELNS1_3gpuE8ELNS1_3repE0EEENS1_30default_config_static_selectorELNS0_4arch9wavefront6targetE0EEEvSY_
		.amdhsa_group_segment_fixed_size 0
		.amdhsa_private_segment_fixed_size 0
		.amdhsa_kernarg_size 144
		.amdhsa_user_sgpr_count 2
		.amdhsa_user_sgpr_dispatch_ptr 0
		.amdhsa_user_sgpr_queue_ptr 0
		.amdhsa_user_sgpr_kernarg_segment_ptr 1
		.amdhsa_user_sgpr_dispatch_id 0
		.amdhsa_user_sgpr_private_segment_size 0
		.amdhsa_wavefront_size32 1
		.amdhsa_uses_dynamic_stack 0
		.amdhsa_enable_private_segment 0
		.amdhsa_system_sgpr_workgroup_id_x 1
		.amdhsa_system_sgpr_workgroup_id_y 0
		.amdhsa_system_sgpr_workgroup_id_z 0
		.amdhsa_system_sgpr_workgroup_info 0
		.amdhsa_system_vgpr_workitem_id 0
		.amdhsa_next_free_vgpr 1
		.amdhsa_next_free_sgpr 1
		.amdhsa_reserve_vcc 0
		.amdhsa_float_round_mode_32 0
		.amdhsa_float_round_mode_16_64 0
		.amdhsa_float_denorm_mode_32 3
		.amdhsa_float_denorm_mode_16_64 3
		.amdhsa_fp16_overflow 0
		.amdhsa_workgroup_processor_mode 1
		.amdhsa_memory_ordered 1
		.amdhsa_forward_progress 1
		.amdhsa_inst_pref_size 0
		.amdhsa_round_robin_scheduling 0
		.amdhsa_exception_fp_ieee_invalid_op 0
		.amdhsa_exception_fp_denorm_src 0
		.amdhsa_exception_fp_ieee_div_zero 0
		.amdhsa_exception_fp_ieee_overflow 0
		.amdhsa_exception_fp_ieee_underflow 0
		.amdhsa_exception_fp_ieee_inexact 0
		.amdhsa_exception_int_div_zero 0
	.end_amdhsa_kernel
	.section	.text._ZN7rocprim17ROCPRIM_400000_NS6detail17trampoline_kernelINS0_13select_configILj256ELj13ELNS0_17block_load_methodE3ELS4_3ELS4_3ELNS0_20block_scan_algorithmE0ELj4294967295EEENS1_25partition_config_selectorILNS1_17partition_subalgoE3EjNS0_10empty_typeEbEEZZNS1_14partition_implILS8_3ELb0ES6_jNS0_17counting_iteratorIjlEEPS9_SE_NS0_5tupleIJPjSE_EEENSF_IJSE_SE_EEES9_SG_JZNS1_25segmented_radix_sort_implINS0_14default_configELb1EPKfPfPKlPlN2at6native12_GLOBAL__N_18offset_tEEE10hipError_tPvRmT1_PNSt15iterator_traitsISY_E10value_typeET2_T3_PNSZ_IS14_E10value_typeET4_jRbjT5_S1A_jjP12ihipStream_tbEUljE_EEESV_SW_SX_S14_S18_S1A_T6_T7_T9_mT8_S1C_bDpT10_ENKUlT_T0_E_clISt17integral_constantIbLb0EES1P_EEDaS1K_S1L_EUlS1K_E_NS1_11comp_targetILNS1_3genE4ELNS1_11target_archE910ELNS1_3gpuE8ELNS1_3repE0EEENS1_30default_config_static_selectorELNS0_4arch9wavefront6targetE0EEEvSY_,"axG",@progbits,_ZN7rocprim17ROCPRIM_400000_NS6detail17trampoline_kernelINS0_13select_configILj256ELj13ELNS0_17block_load_methodE3ELS4_3ELS4_3ELNS0_20block_scan_algorithmE0ELj4294967295EEENS1_25partition_config_selectorILNS1_17partition_subalgoE3EjNS0_10empty_typeEbEEZZNS1_14partition_implILS8_3ELb0ES6_jNS0_17counting_iteratorIjlEEPS9_SE_NS0_5tupleIJPjSE_EEENSF_IJSE_SE_EEES9_SG_JZNS1_25segmented_radix_sort_implINS0_14default_configELb1EPKfPfPKlPlN2at6native12_GLOBAL__N_18offset_tEEE10hipError_tPvRmT1_PNSt15iterator_traitsISY_E10value_typeET2_T3_PNSZ_IS14_E10value_typeET4_jRbjT5_S1A_jjP12ihipStream_tbEUljE_EEESV_SW_SX_S14_S18_S1A_T6_T7_T9_mT8_S1C_bDpT10_ENKUlT_T0_E_clISt17integral_constantIbLb0EES1P_EEDaS1K_S1L_EUlS1K_E_NS1_11comp_targetILNS1_3genE4ELNS1_11target_archE910ELNS1_3gpuE8ELNS1_3repE0EEENS1_30default_config_static_selectorELNS0_4arch9wavefront6targetE0EEEvSY_,comdat
.Lfunc_end1295:
	.size	_ZN7rocprim17ROCPRIM_400000_NS6detail17trampoline_kernelINS0_13select_configILj256ELj13ELNS0_17block_load_methodE3ELS4_3ELS4_3ELNS0_20block_scan_algorithmE0ELj4294967295EEENS1_25partition_config_selectorILNS1_17partition_subalgoE3EjNS0_10empty_typeEbEEZZNS1_14partition_implILS8_3ELb0ES6_jNS0_17counting_iteratorIjlEEPS9_SE_NS0_5tupleIJPjSE_EEENSF_IJSE_SE_EEES9_SG_JZNS1_25segmented_radix_sort_implINS0_14default_configELb1EPKfPfPKlPlN2at6native12_GLOBAL__N_18offset_tEEE10hipError_tPvRmT1_PNSt15iterator_traitsISY_E10value_typeET2_T3_PNSZ_IS14_E10value_typeET4_jRbjT5_S1A_jjP12ihipStream_tbEUljE_EEESV_SW_SX_S14_S18_S1A_T6_T7_T9_mT8_S1C_bDpT10_ENKUlT_T0_E_clISt17integral_constantIbLb0EES1P_EEDaS1K_S1L_EUlS1K_E_NS1_11comp_targetILNS1_3genE4ELNS1_11target_archE910ELNS1_3gpuE8ELNS1_3repE0EEENS1_30default_config_static_selectorELNS0_4arch9wavefront6targetE0EEEvSY_, .Lfunc_end1295-_ZN7rocprim17ROCPRIM_400000_NS6detail17trampoline_kernelINS0_13select_configILj256ELj13ELNS0_17block_load_methodE3ELS4_3ELS4_3ELNS0_20block_scan_algorithmE0ELj4294967295EEENS1_25partition_config_selectorILNS1_17partition_subalgoE3EjNS0_10empty_typeEbEEZZNS1_14partition_implILS8_3ELb0ES6_jNS0_17counting_iteratorIjlEEPS9_SE_NS0_5tupleIJPjSE_EEENSF_IJSE_SE_EEES9_SG_JZNS1_25segmented_radix_sort_implINS0_14default_configELb1EPKfPfPKlPlN2at6native12_GLOBAL__N_18offset_tEEE10hipError_tPvRmT1_PNSt15iterator_traitsISY_E10value_typeET2_T3_PNSZ_IS14_E10value_typeET4_jRbjT5_S1A_jjP12ihipStream_tbEUljE_EEESV_SW_SX_S14_S18_S1A_T6_T7_T9_mT8_S1C_bDpT10_ENKUlT_T0_E_clISt17integral_constantIbLb0EES1P_EEDaS1K_S1L_EUlS1K_E_NS1_11comp_targetILNS1_3genE4ELNS1_11target_archE910ELNS1_3gpuE8ELNS1_3repE0EEENS1_30default_config_static_selectorELNS0_4arch9wavefront6targetE0EEEvSY_
                                        ; -- End function
	.set _ZN7rocprim17ROCPRIM_400000_NS6detail17trampoline_kernelINS0_13select_configILj256ELj13ELNS0_17block_load_methodE3ELS4_3ELS4_3ELNS0_20block_scan_algorithmE0ELj4294967295EEENS1_25partition_config_selectorILNS1_17partition_subalgoE3EjNS0_10empty_typeEbEEZZNS1_14partition_implILS8_3ELb0ES6_jNS0_17counting_iteratorIjlEEPS9_SE_NS0_5tupleIJPjSE_EEENSF_IJSE_SE_EEES9_SG_JZNS1_25segmented_radix_sort_implINS0_14default_configELb1EPKfPfPKlPlN2at6native12_GLOBAL__N_18offset_tEEE10hipError_tPvRmT1_PNSt15iterator_traitsISY_E10value_typeET2_T3_PNSZ_IS14_E10value_typeET4_jRbjT5_S1A_jjP12ihipStream_tbEUljE_EEESV_SW_SX_S14_S18_S1A_T6_T7_T9_mT8_S1C_bDpT10_ENKUlT_T0_E_clISt17integral_constantIbLb0EES1P_EEDaS1K_S1L_EUlS1K_E_NS1_11comp_targetILNS1_3genE4ELNS1_11target_archE910ELNS1_3gpuE8ELNS1_3repE0EEENS1_30default_config_static_selectorELNS0_4arch9wavefront6targetE0EEEvSY_.num_vgpr, 0
	.set _ZN7rocprim17ROCPRIM_400000_NS6detail17trampoline_kernelINS0_13select_configILj256ELj13ELNS0_17block_load_methodE3ELS4_3ELS4_3ELNS0_20block_scan_algorithmE0ELj4294967295EEENS1_25partition_config_selectorILNS1_17partition_subalgoE3EjNS0_10empty_typeEbEEZZNS1_14partition_implILS8_3ELb0ES6_jNS0_17counting_iteratorIjlEEPS9_SE_NS0_5tupleIJPjSE_EEENSF_IJSE_SE_EEES9_SG_JZNS1_25segmented_radix_sort_implINS0_14default_configELb1EPKfPfPKlPlN2at6native12_GLOBAL__N_18offset_tEEE10hipError_tPvRmT1_PNSt15iterator_traitsISY_E10value_typeET2_T3_PNSZ_IS14_E10value_typeET4_jRbjT5_S1A_jjP12ihipStream_tbEUljE_EEESV_SW_SX_S14_S18_S1A_T6_T7_T9_mT8_S1C_bDpT10_ENKUlT_T0_E_clISt17integral_constantIbLb0EES1P_EEDaS1K_S1L_EUlS1K_E_NS1_11comp_targetILNS1_3genE4ELNS1_11target_archE910ELNS1_3gpuE8ELNS1_3repE0EEENS1_30default_config_static_selectorELNS0_4arch9wavefront6targetE0EEEvSY_.num_agpr, 0
	.set _ZN7rocprim17ROCPRIM_400000_NS6detail17trampoline_kernelINS0_13select_configILj256ELj13ELNS0_17block_load_methodE3ELS4_3ELS4_3ELNS0_20block_scan_algorithmE0ELj4294967295EEENS1_25partition_config_selectorILNS1_17partition_subalgoE3EjNS0_10empty_typeEbEEZZNS1_14partition_implILS8_3ELb0ES6_jNS0_17counting_iteratorIjlEEPS9_SE_NS0_5tupleIJPjSE_EEENSF_IJSE_SE_EEES9_SG_JZNS1_25segmented_radix_sort_implINS0_14default_configELb1EPKfPfPKlPlN2at6native12_GLOBAL__N_18offset_tEEE10hipError_tPvRmT1_PNSt15iterator_traitsISY_E10value_typeET2_T3_PNSZ_IS14_E10value_typeET4_jRbjT5_S1A_jjP12ihipStream_tbEUljE_EEESV_SW_SX_S14_S18_S1A_T6_T7_T9_mT8_S1C_bDpT10_ENKUlT_T0_E_clISt17integral_constantIbLb0EES1P_EEDaS1K_S1L_EUlS1K_E_NS1_11comp_targetILNS1_3genE4ELNS1_11target_archE910ELNS1_3gpuE8ELNS1_3repE0EEENS1_30default_config_static_selectorELNS0_4arch9wavefront6targetE0EEEvSY_.numbered_sgpr, 0
	.set _ZN7rocprim17ROCPRIM_400000_NS6detail17trampoline_kernelINS0_13select_configILj256ELj13ELNS0_17block_load_methodE3ELS4_3ELS4_3ELNS0_20block_scan_algorithmE0ELj4294967295EEENS1_25partition_config_selectorILNS1_17partition_subalgoE3EjNS0_10empty_typeEbEEZZNS1_14partition_implILS8_3ELb0ES6_jNS0_17counting_iteratorIjlEEPS9_SE_NS0_5tupleIJPjSE_EEENSF_IJSE_SE_EEES9_SG_JZNS1_25segmented_radix_sort_implINS0_14default_configELb1EPKfPfPKlPlN2at6native12_GLOBAL__N_18offset_tEEE10hipError_tPvRmT1_PNSt15iterator_traitsISY_E10value_typeET2_T3_PNSZ_IS14_E10value_typeET4_jRbjT5_S1A_jjP12ihipStream_tbEUljE_EEESV_SW_SX_S14_S18_S1A_T6_T7_T9_mT8_S1C_bDpT10_ENKUlT_T0_E_clISt17integral_constantIbLb0EES1P_EEDaS1K_S1L_EUlS1K_E_NS1_11comp_targetILNS1_3genE4ELNS1_11target_archE910ELNS1_3gpuE8ELNS1_3repE0EEENS1_30default_config_static_selectorELNS0_4arch9wavefront6targetE0EEEvSY_.num_named_barrier, 0
	.set _ZN7rocprim17ROCPRIM_400000_NS6detail17trampoline_kernelINS0_13select_configILj256ELj13ELNS0_17block_load_methodE3ELS4_3ELS4_3ELNS0_20block_scan_algorithmE0ELj4294967295EEENS1_25partition_config_selectorILNS1_17partition_subalgoE3EjNS0_10empty_typeEbEEZZNS1_14partition_implILS8_3ELb0ES6_jNS0_17counting_iteratorIjlEEPS9_SE_NS0_5tupleIJPjSE_EEENSF_IJSE_SE_EEES9_SG_JZNS1_25segmented_radix_sort_implINS0_14default_configELb1EPKfPfPKlPlN2at6native12_GLOBAL__N_18offset_tEEE10hipError_tPvRmT1_PNSt15iterator_traitsISY_E10value_typeET2_T3_PNSZ_IS14_E10value_typeET4_jRbjT5_S1A_jjP12ihipStream_tbEUljE_EEESV_SW_SX_S14_S18_S1A_T6_T7_T9_mT8_S1C_bDpT10_ENKUlT_T0_E_clISt17integral_constantIbLb0EES1P_EEDaS1K_S1L_EUlS1K_E_NS1_11comp_targetILNS1_3genE4ELNS1_11target_archE910ELNS1_3gpuE8ELNS1_3repE0EEENS1_30default_config_static_selectorELNS0_4arch9wavefront6targetE0EEEvSY_.private_seg_size, 0
	.set _ZN7rocprim17ROCPRIM_400000_NS6detail17trampoline_kernelINS0_13select_configILj256ELj13ELNS0_17block_load_methodE3ELS4_3ELS4_3ELNS0_20block_scan_algorithmE0ELj4294967295EEENS1_25partition_config_selectorILNS1_17partition_subalgoE3EjNS0_10empty_typeEbEEZZNS1_14partition_implILS8_3ELb0ES6_jNS0_17counting_iteratorIjlEEPS9_SE_NS0_5tupleIJPjSE_EEENSF_IJSE_SE_EEES9_SG_JZNS1_25segmented_radix_sort_implINS0_14default_configELb1EPKfPfPKlPlN2at6native12_GLOBAL__N_18offset_tEEE10hipError_tPvRmT1_PNSt15iterator_traitsISY_E10value_typeET2_T3_PNSZ_IS14_E10value_typeET4_jRbjT5_S1A_jjP12ihipStream_tbEUljE_EEESV_SW_SX_S14_S18_S1A_T6_T7_T9_mT8_S1C_bDpT10_ENKUlT_T0_E_clISt17integral_constantIbLb0EES1P_EEDaS1K_S1L_EUlS1K_E_NS1_11comp_targetILNS1_3genE4ELNS1_11target_archE910ELNS1_3gpuE8ELNS1_3repE0EEENS1_30default_config_static_selectorELNS0_4arch9wavefront6targetE0EEEvSY_.uses_vcc, 0
	.set _ZN7rocprim17ROCPRIM_400000_NS6detail17trampoline_kernelINS0_13select_configILj256ELj13ELNS0_17block_load_methodE3ELS4_3ELS4_3ELNS0_20block_scan_algorithmE0ELj4294967295EEENS1_25partition_config_selectorILNS1_17partition_subalgoE3EjNS0_10empty_typeEbEEZZNS1_14partition_implILS8_3ELb0ES6_jNS0_17counting_iteratorIjlEEPS9_SE_NS0_5tupleIJPjSE_EEENSF_IJSE_SE_EEES9_SG_JZNS1_25segmented_radix_sort_implINS0_14default_configELb1EPKfPfPKlPlN2at6native12_GLOBAL__N_18offset_tEEE10hipError_tPvRmT1_PNSt15iterator_traitsISY_E10value_typeET2_T3_PNSZ_IS14_E10value_typeET4_jRbjT5_S1A_jjP12ihipStream_tbEUljE_EEESV_SW_SX_S14_S18_S1A_T6_T7_T9_mT8_S1C_bDpT10_ENKUlT_T0_E_clISt17integral_constantIbLb0EES1P_EEDaS1K_S1L_EUlS1K_E_NS1_11comp_targetILNS1_3genE4ELNS1_11target_archE910ELNS1_3gpuE8ELNS1_3repE0EEENS1_30default_config_static_selectorELNS0_4arch9wavefront6targetE0EEEvSY_.uses_flat_scratch, 0
	.set _ZN7rocprim17ROCPRIM_400000_NS6detail17trampoline_kernelINS0_13select_configILj256ELj13ELNS0_17block_load_methodE3ELS4_3ELS4_3ELNS0_20block_scan_algorithmE0ELj4294967295EEENS1_25partition_config_selectorILNS1_17partition_subalgoE3EjNS0_10empty_typeEbEEZZNS1_14partition_implILS8_3ELb0ES6_jNS0_17counting_iteratorIjlEEPS9_SE_NS0_5tupleIJPjSE_EEENSF_IJSE_SE_EEES9_SG_JZNS1_25segmented_radix_sort_implINS0_14default_configELb1EPKfPfPKlPlN2at6native12_GLOBAL__N_18offset_tEEE10hipError_tPvRmT1_PNSt15iterator_traitsISY_E10value_typeET2_T3_PNSZ_IS14_E10value_typeET4_jRbjT5_S1A_jjP12ihipStream_tbEUljE_EEESV_SW_SX_S14_S18_S1A_T6_T7_T9_mT8_S1C_bDpT10_ENKUlT_T0_E_clISt17integral_constantIbLb0EES1P_EEDaS1K_S1L_EUlS1K_E_NS1_11comp_targetILNS1_3genE4ELNS1_11target_archE910ELNS1_3gpuE8ELNS1_3repE0EEENS1_30default_config_static_selectorELNS0_4arch9wavefront6targetE0EEEvSY_.has_dyn_sized_stack, 0
	.set _ZN7rocprim17ROCPRIM_400000_NS6detail17trampoline_kernelINS0_13select_configILj256ELj13ELNS0_17block_load_methodE3ELS4_3ELS4_3ELNS0_20block_scan_algorithmE0ELj4294967295EEENS1_25partition_config_selectorILNS1_17partition_subalgoE3EjNS0_10empty_typeEbEEZZNS1_14partition_implILS8_3ELb0ES6_jNS0_17counting_iteratorIjlEEPS9_SE_NS0_5tupleIJPjSE_EEENSF_IJSE_SE_EEES9_SG_JZNS1_25segmented_radix_sort_implINS0_14default_configELb1EPKfPfPKlPlN2at6native12_GLOBAL__N_18offset_tEEE10hipError_tPvRmT1_PNSt15iterator_traitsISY_E10value_typeET2_T3_PNSZ_IS14_E10value_typeET4_jRbjT5_S1A_jjP12ihipStream_tbEUljE_EEESV_SW_SX_S14_S18_S1A_T6_T7_T9_mT8_S1C_bDpT10_ENKUlT_T0_E_clISt17integral_constantIbLb0EES1P_EEDaS1K_S1L_EUlS1K_E_NS1_11comp_targetILNS1_3genE4ELNS1_11target_archE910ELNS1_3gpuE8ELNS1_3repE0EEENS1_30default_config_static_selectorELNS0_4arch9wavefront6targetE0EEEvSY_.has_recursion, 0
	.set _ZN7rocprim17ROCPRIM_400000_NS6detail17trampoline_kernelINS0_13select_configILj256ELj13ELNS0_17block_load_methodE3ELS4_3ELS4_3ELNS0_20block_scan_algorithmE0ELj4294967295EEENS1_25partition_config_selectorILNS1_17partition_subalgoE3EjNS0_10empty_typeEbEEZZNS1_14partition_implILS8_3ELb0ES6_jNS0_17counting_iteratorIjlEEPS9_SE_NS0_5tupleIJPjSE_EEENSF_IJSE_SE_EEES9_SG_JZNS1_25segmented_radix_sort_implINS0_14default_configELb1EPKfPfPKlPlN2at6native12_GLOBAL__N_18offset_tEEE10hipError_tPvRmT1_PNSt15iterator_traitsISY_E10value_typeET2_T3_PNSZ_IS14_E10value_typeET4_jRbjT5_S1A_jjP12ihipStream_tbEUljE_EEESV_SW_SX_S14_S18_S1A_T6_T7_T9_mT8_S1C_bDpT10_ENKUlT_T0_E_clISt17integral_constantIbLb0EES1P_EEDaS1K_S1L_EUlS1K_E_NS1_11comp_targetILNS1_3genE4ELNS1_11target_archE910ELNS1_3gpuE8ELNS1_3repE0EEENS1_30default_config_static_selectorELNS0_4arch9wavefront6targetE0EEEvSY_.has_indirect_call, 0
	.section	.AMDGPU.csdata,"",@progbits
; Kernel info:
; codeLenInByte = 0
; TotalNumSgprs: 0
; NumVgprs: 0
; ScratchSize: 0
; MemoryBound: 0
; FloatMode: 240
; IeeeMode: 1
; LDSByteSize: 0 bytes/workgroup (compile time only)
; SGPRBlocks: 0
; VGPRBlocks: 0
; NumSGPRsForWavesPerEU: 1
; NumVGPRsForWavesPerEU: 1
; Occupancy: 16
; WaveLimiterHint : 0
; COMPUTE_PGM_RSRC2:SCRATCH_EN: 0
; COMPUTE_PGM_RSRC2:USER_SGPR: 2
; COMPUTE_PGM_RSRC2:TRAP_HANDLER: 0
; COMPUTE_PGM_RSRC2:TGID_X_EN: 1
; COMPUTE_PGM_RSRC2:TGID_Y_EN: 0
; COMPUTE_PGM_RSRC2:TGID_Z_EN: 0
; COMPUTE_PGM_RSRC2:TIDIG_COMP_CNT: 0
	.section	.text._ZN7rocprim17ROCPRIM_400000_NS6detail17trampoline_kernelINS0_13select_configILj256ELj13ELNS0_17block_load_methodE3ELS4_3ELS4_3ELNS0_20block_scan_algorithmE0ELj4294967295EEENS1_25partition_config_selectorILNS1_17partition_subalgoE3EjNS0_10empty_typeEbEEZZNS1_14partition_implILS8_3ELb0ES6_jNS0_17counting_iteratorIjlEEPS9_SE_NS0_5tupleIJPjSE_EEENSF_IJSE_SE_EEES9_SG_JZNS1_25segmented_radix_sort_implINS0_14default_configELb1EPKfPfPKlPlN2at6native12_GLOBAL__N_18offset_tEEE10hipError_tPvRmT1_PNSt15iterator_traitsISY_E10value_typeET2_T3_PNSZ_IS14_E10value_typeET4_jRbjT5_S1A_jjP12ihipStream_tbEUljE_EEESV_SW_SX_S14_S18_S1A_T6_T7_T9_mT8_S1C_bDpT10_ENKUlT_T0_E_clISt17integral_constantIbLb0EES1P_EEDaS1K_S1L_EUlS1K_E_NS1_11comp_targetILNS1_3genE3ELNS1_11target_archE908ELNS1_3gpuE7ELNS1_3repE0EEENS1_30default_config_static_selectorELNS0_4arch9wavefront6targetE0EEEvSY_,"axG",@progbits,_ZN7rocprim17ROCPRIM_400000_NS6detail17trampoline_kernelINS0_13select_configILj256ELj13ELNS0_17block_load_methodE3ELS4_3ELS4_3ELNS0_20block_scan_algorithmE0ELj4294967295EEENS1_25partition_config_selectorILNS1_17partition_subalgoE3EjNS0_10empty_typeEbEEZZNS1_14partition_implILS8_3ELb0ES6_jNS0_17counting_iteratorIjlEEPS9_SE_NS0_5tupleIJPjSE_EEENSF_IJSE_SE_EEES9_SG_JZNS1_25segmented_radix_sort_implINS0_14default_configELb1EPKfPfPKlPlN2at6native12_GLOBAL__N_18offset_tEEE10hipError_tPvRmT1_PNSt15iterator_traitsISY_E10value_typeET2_T3_PNSZ_IS14_E10value_typeET4_jRbjT5_S1A_jjP12ihipStream_tbEUljE_EEESV_SW_SX_S14_S18_S1A_T6_T7_T9_mT8_S1C_bDpT10_ENKUlT_T0_E_clISt17integral_constantIbLb0EES1P_EEDaS1K_S1L_EUlS1K_E_NS1_11comp_targetILNS1_3genE3ELNS1_11target_archE908ELNS1_3gpuE7ELNS1_3repE0EEENS1_30default_config_static_selectorELNS0_4arch9wavefront6targetE0EEEvSY_,comdat
	.globl	_ZN7rocprim17ROCPRIM_400000_NS6detail17trampoline_kernelINS0_13select_configILj256ELj13ELNS0_17block_load_methodE3ELS4_3ELS4_3ELNS0_20block_scan_algorithmE0ELj4294967295EEENS1_25partition_config_selectorILNS1_17partition_subalgoE3EjNS0_10empty_typeEbEEZZNS1_14partition_implILS8_3ELb0ES6_jNS0_17counting_iteratorIjlEEPS9_SE_NS0_5tupleIJPjSE_EEENSF_IJSE_SE_EEES9_SG_JZNS1_25segmented_radix_sort_implINS0_14default_configELb1EPKfPfPKlPlN2at6native12_GLOBAL__N_18offset_tEEE10hipError_tPvRmT1_PNSt15iterator_traitsISY_E10value_typeET2_T3_PNSZ_IS14_E10value_typeET4_jRbjT5_S1A_jjP12ihipStream_tbEUljE_EEESV_SW_SX_S14_S18_S1A_T6_T7_T9_mT8_S1C_bDpT10_ENKUlT_T0_E_clISt17integral_constantIbLb0EES1P_EEDaS1K_S1L_EUlS1K_E_NS1_11comp_targetILNS1_3genE3ELNS1_11target_archE908ELNS1_3gpuE7ELNS1_3repE0EEENS1_30default_config_static_selectorELNS0_4arch9wavefront6targetE0EEEvSY_ ; -- Begin function _ZN7rocprim17ROCPRIM_400000_NS6detail17trampoline_kernelINS0_13select_configILj256ELj13ELNS0_17block_load_methodE3ELS4_3ELS4_3ELNS0_20block_scan_algorithmE0ELj4294967295EEENS1_25partition_config_selectorILNS1_17partition_subalgoE3EjNS0_10empty_typeEbEEZZNS1_14partition_implILS8_3ELb0ES6_jNS0_17counting_iteratorIjlEEPS9_SE_NS0_5tupleIJPjSE_EEENSF_IJSE_SE_EEES9_SG_JZNS1_25segmented_radix_sort_implINS0_14default_configELb1EPKfPfPKlPlN2at6native12_GLOBAL__N_18offset_tEEE10hipError_tPvRmT1_PNSt15iterator_traitsISY_E10value_typeET2_T3_PNSZ_IS14_E10value_typeET4_jRbjT5_S1A_jjP12ihipStream_tbEUljE_EEESV_SW_SX_S14_S18_S1A_T6_T7_T9_mT8_S1C_bDpT10_ENKUlT_T0_E_clISt17integral_constantIbLb0EES1P_EEDaS1K_S1L_EUlS1K_E_NS1_11comp_targetILNS1_3genE3ELNS1_11target_archE908ELNS1_3gpuE7ELNS1_3repE0EEENS1_30default_config_static_selectorELNS0_4arch9wavefront6targetE0EEEvSY_
	.p2align	8
	.type	_ZN7rocprim17ROCPRIM_400000_NS6detail17trampoline_kernelINS0_13select_configILj256ELj13ELNS0_17block_load_methodE3ELS4_3ELS4_3ELNS0_20block_scan_algorithmE0ELj4294967295EEENS1_25partition_config_selectorILNS1_17partition_subalgoE3EjNS0_10empty_typeEbEEZZNS1_14partition_implILS8_3ELb0ES6_jNS0_17counting_iteratorIjlEEPS9_SE_NS0_5tupleIJPjSE_EEENSF_IJSE_SE_EEES9_SG_JZNS1_25segmented_radix_sort_implINS0_14default_configELb1EPKfPfPKlPlN2at6native12_GLOBAL__N_18offset_tEEE10hipError_tPvRmT1_PNSt15iterator_traitsISY_E10value_typeET2_T3_PNSZ_IS14_E10value_typeET4_jRbjT5_S1A_jjP12ihipStream_tbEUljE_EEESV_SW_SX_S14_S18_S1A_T6_T7_T9_mT8_S1C_bDpT10_ENKUlT_T0_E_clISt17integral_constantIbLb0EES1P_EEDaS1K_S1L_EUlS1K_E_NS1_11comp_targetILNS1_3genE3ELNS1_11target_archE908ELNS1_3gpuE7ELNS1_3repE0EEENS1_30default_config_static_selectorELNS0_4arch9wavefront6targetE0EEEvSY_,@function
_ZN7rocprim17ROCPRIM_400000_NS6detail17trampoline_kernelINS0_13select_configILj256ELj13ELNS0_17block_load_methodE3ELS4_3ELS4_3ELNS0_20block_scan_algorithmE0ELj4294967295EEENS1_25partition_config_selectorILNS1_17partition_subalgoE3EjNS0_10empty_typeEbEEZZNS1_14partition_implILS8_3ELb0ES6_jNS0_17counting_iteratorIjlEEPS9_SE_NS0_5tupleIJPjSE_EEENSF_IJSE_SE_EEES9_SG_JZNS1_25segmented_radix_sort_implINS0_14default_configELb1EPKfPfPKlPlN2at6native12_GLOBAL__N_18offset_tEEE10hipError_tPvRmT1_PNSt15iterator_traitsISY_E10value_typeET2_T3_PNSZ_IS14_E10value_typeET4_jRbjT5_S1A_jjP12ihipStream_tbEUljE_EEESV_SW_SX_S14_S18_S1A_T6_T7_T9_mT8_S1C_bDpT10_ENKUlT_T0_E_clISt17integral_constantIbLb0EES1P_EEDaS1K_S1L_EUlS1K_E_NS1_11comp_targetILNS1_3genE3ELNS1_11target_archE908ELNS1_3gpuE7ELNS1_3repE0EEENS1_30default_config_static_selectorELNS0_4arch9wavefront6targetE0EEEvSY_: ; @_ZN7rocprim17ROCPRIM_400000_NS6detail17trampoline_kernelINS0_13select_configILj256ELj13ELNS0_17block_load_methodE3ELS4_3ELS4_3ELNS0_20block_scan_algorithmE0ELj4294967295EEENS1_25partition_config_selectorILNS1_17partition_subalgoE3EjNS0_10empty_typeEbEEZZNS1_14partition_implILS8_3ELb0ES6_jNS0_17counting_iteratorIjlEEPS9_SE_NS0_5tupleIJPjSE_EEENSF_IJSE_SE_EEES9_SG_JZNS1_25segmented_radix_sort_implINS0_14default_configELb1EPKfPfPKlPlN2at6native12_GLOBAL__N_18offset_tEEE10hipError_tPvRmT1_PNSt15iterator_traitsISY_E10value_typeET2_T3_PNSZ_IS14_E10value_typeET4_jRbjT5_S1A_jjP12ihipStream_tbEUljE_EEESV_SW_SX_S14_S18_S1A_T6_T7_T9_mT8_S1C_bDpT10_ENKUlT_T0_E_clISt17integral_constantIbLb0EES1P_EEDaS1K_S1L_EUlS1K_E_NS1_11comp_targetILNS1_3genE3ELNS1_11target_archE908ELNS1_3gpuE7ELNS1_3repE0EEENS1_30default_config_static_selectorELNS0_4arch9wavefront6targetE0EEEvSY_
; %bb.0:
	.section	.rodata,"a",@progbits
	.p2align	6, 0x0
	.amdhsa_kernel _ZN7rocprim17ROCPRIM_400000_NS6detail17trampoline_kernelINS0_13select_configILj256ELj13ELNS0_17block_load_methodE3ELS4_3ELS4_3ELNS0_20block_scan_algorithmE0ELj4294967295EEENS1_25partition_config_selectorILNS1_17partition_subalgoE3EjNS0_10empty_typeEbEEZZNS1_14partition_implILS8_3ELb0ES6_jNS0_17counting_iteratorIjlEEPS9_SE_NS0_5tupleIJPjSE_EEENSF_IJSE_SE_EEES9_SG_JZNS1_25segmented_radix_sort_implINS0_14default_configELb1EPKfPfPKlPlN2at6native12_GLOBAL__N_18offset_tEEE10hipError_tPvRmT1_PNSt15iterator_traitsISY_E10value_typeET2_T3_PNSZ_IS14_E10value_typeET4_jRbjT5_S1A_jjP12ihipStream_tbEUljE_EEESV_SW_SX_S14_S18_S1A_T6_T7_T9_mT8_S1C_bDpT10_ENKUlT_T0_E_clISt17integral_constantIbLb0EES1P_EEDaS1K_S1L_EUlS1K_E_NS1_11comp_targetILNS1_3genE3ELNS1_11target_archE908ELNS1_3gpuE7ELNS1_3repE0EEENS1_30default_config_static_selectorELNS0_4arch9wavefront6targetE0EEEvSY_
		.amdhsa_group_segment_fixed_size 0
		.amdhsa_private_segment_fixed_size 0
		.amdhsa_kernarg_size 144
		.amdhsa_user_sgpr_count 2
		.amdhsa_user_sgpr_dispatch_ptr 0
		.amdhsa_user_sgpr_queue_ptr 0
		.amdhsa_user_sgpr_kernarg_segment_ptr 1
		.amdhsa_user_sgpr_dispatch_id 0
		.amdhsa_user_sgpr_private_segment_size 0
		.amdhsa_wavefront_size32 1
		.amdhsa_uses_dynamic_stack 0
		.amdhsa_enable_private_segment 0
		.amdhsa_system_sgpr_workgroup_id_x 1
		.amdhsa_system_sgpr_workgroup_id_y 0
		.amdhsa_system_sgpr_workgroup_id_z 0
		.amdhsa_system_sgpr_workgroup_info 0
		.amdhsa_system_vgpr_workitem_id 0
		.amdhsa_next_free_vgpr 1
		.amdhsa_next_free_sgpr 1
		.amdhsa_reserve_vcc 0
		.amdhsa_float_round_mode_32 0
		.amdhsa_float_round_mode_16_64 0
		.amdhsa_float_denorm_mode_32 3
		.amdhsa_float_denorm_mode_16_64 3
		.amdhsa_fp16_overflow 0
		.amdhsa_workgroup_processor_mode 1
		.amdhsa_memory_ordered 1
		.amdhsa_forward_progress 1
		.amdhsa_inst_pref_size 0
		.amdhsa_round_robin_scheduling 0
		.amdhsa_exception_fp_ieee_invalid_op 0
		.amdhsa_exception_fp_denorm_src 0
		.amdhsa_exception_fp_ieee_div_zero 0
		.amdhsa_exception_fp_ieee_overflow 0
		.amdhsa_exception_fp_ieee_underflow 0
		.amdhsa_exception_fp_ieee_inexact 0
		.amdhsa_exception_int_div_zero 0
	.end_amdhsa_kernel
	.section	.text._ZN7rocprim17ROCPRIM_400000_NS6detail17trampoline_kernelINS0_13select_configILj256ELj13ELNS0_17block_load_methodE3ELS4_3ELS4_3ELNS0_20block_scan_algorithmE0ELj4294967295EEENS1_25partition_config_selectorILNS1_17partition_subalgoE3EjNS0_10empty_typeEbEEZZNS1_14partition_implILS8_3ELb0ES6_jNS0_17counting_iteratorIjlEEPS9_SE_NS0_5tupleIJPjSE_EEENSF_IJSE_SE_EEES9_SG_JZNS1_25segmented_radix_sort_implINS0_14default_configELb1EPKfPfPKlPlN2at6native12_GLOBAL__N_18offset_tEEE10hipError_tPvRmT1_PNSt15iterator_traitsISY_E10value_typeET2_T3_PNSZ_IS14_E10value_typeET4_jRbjT5_S1A_jjP12ihipStream_tbEUljE_EEESV_SW_SX_S14_S18_S1A_T6_T7_T9_mT8_S1C_bDpT10_ENKUlT_T0_E_clISt17integral_constantIbLb0EES1P_EEDaS1K_S1L_EUlS1K_E_NS1_11comp_targetILNS1_3genE3ELNS1_11target_archE908ELNS1_3gpuE7ELNS1_3repE0EEENS1_30default_config_static_selectorELNS0_4arch9wavefront6targetE0EEEvSY_,"axG",@progbits,_ZN7rocprim17ROCPRIM_400000_NS6detail17trampoline_kernelINS0_13select_configILj256ELj13ELNS0_17block_load_methodE3ELS4_3ELS4_3ELNS0_20block_scan_algorithmE0ELj4294967295EEENS1_25partition_config_selectorILNS1_17partition_subalgoE3EjNS0_10empty_typeEbEEZZNS1_14partition_implILS8_3ELb0ES6_jNS0_17counting_iteratorIjlEEPS9_SE_NS0_5tupleIJPjSE_EEENSF_IJSE_SE_EEES9_SG_JZNS1_25segmented_radix_sort_implINS0_14default_configELb1EPKfPfPKlPlN2at6native12_GLOBAL__N_18offset_tEEE10hipError_tPvRmT1_PNSt15iterator_traitsISY_E10value_typeET2_T3_PNSZ_IS14_E10value_typeET4_jRbjT5_S1A_jjP12ihipStream_tbEUljE_EEESV_SW_SX_S14_S18_S1A_T6_T7_T9_mT8_S1C_bDpT10_ENKUlT_T0_E_clISt17integral_constantIbLb0EES1P_EEDaS1K_S1L_EUlS1K_E_NS1_11comp_targetILNS1_3genE3ELNS1_11target_archE908ELNS1_3gpuE7ELNS1_3repE0EEENS1_30default_config_static_selectorELNS0_4arch9wavefront6targetE0EEEvSY_,comdat
.Lfunc_end1296:
	.size	_ZN7rocprim17ROCPRIM_400000_NS6detail17trampoline_kernelINS0_13select_configILj256ELj13ELNS0_17block_load_methodE3ELS4_3ELS4_3ELNS0_20block_scan_algorithmE0ELj4294967295EEENS1_25partition_config_selectorILNS1_17partition_subalgoE3EjNS0_10empty_typeEbEEZZNS1_14partition_implILS8_3ELb0ES6_jNS0_17counting_iteratorIjlEEPS9_SE_NS0_5tupleIJPjSE_EEENSF_IJSE_SE_EEES9_SG_JZNS1_25segmented_radix_sort_implINS0_14default_configELb1EPKfPfPKlPlN2at6native12_GLOBAL__N_18offset_tEEE10hipError_tPvRmT1_PNSt15iterator_traitsISY_E10value_typeET2_T3_PNSZ_IS14_E10value_typeET4_jRbjT5_S1A_jjP12ihipStream_tbEUljE_EEESV_SW_SX_S14_S18_S1A_T6_T7_T9_mT8_S1C_bDpT10_ENKUlT_T0_E_clISt17integral_constantIbLb0EES1P_EEDaS1K_S1L_EUlS1K_E_NS1_11comp_targetILNS1_3genE3ELNS1_11target_archE908ELNS1_3gpuE7ELNS1_3repE0EEENS1_30default_config_static_selectorELNS0_4arch9wavefront6targetE0EEEvSY_, .Lfunc_end1296-_ZN7rocprim17ROCPRIM_400000_NS6detail17trampoline_kernelINS0_13select_configILj256ELj13ELNS0_17block_load_methodE3ELS4_3ELS4_3ELNS0_20block_scan_algorithmE0ELj4294967295EEENS1_25partition_config_selectorILNS1_17partition_subalgoE3EjNS0_10empty_typeEbEEZZNS1_14partition_implILS8_3ELb0ES6_jNS0_17counting_iteratorIjlEEPS9_SE_NS0_5tupleIJPjSE_EEENSF_IJSE_SE_EEES9_SG_JZNS1_25segmented_radix_sort_implINS0_14default_configELb1EPKfPfPKlPlN2at6native12_GLOBAL__N_18offset_tEEE10hipError_tPvRmT1_PNSt15iterator_traitsISY_E10value_typeET2_T3_PNSZ_IS14_E10value_typeET4_jRbjT5_S1A_jjP12ihipStream_tbEUljE_EEESV_SW_SX_S14_S18_S1A_T6_T7_T9_mT8_S1C_bDpT10_ENKUlT_T0_E_clISt17integral_constantIbLb0EES1P_EEDaS1K_S1L_EUlS1K_E_NS1_11comp_targetILNS1_3genE3ELNS1_11target_archE908ELNS1_3gpuE7ELNS1_3repE0EEENS1_30default_config_static_selectorELNS0_4arch9wavefront6targetE0EEEvSY_
                                        ; -- End function
	.set _ZN7rocprim17ROCPRIM_400000_NS6detail17trampoline_kernelINS0_13select_configILj256ELj13ELNS0_17block_load_methodE3ELS4_3ELS4_3ELNS0_20block_scan_algorithmE0ELj4294967295EEENS1_25partition_config_selectorILNS1_17partition_subalgoE3EjNS0_10empty_typeEbEEZZNS1_14partition_implILS8_3ELb0ES6_jNS0_17counting_iteratorIjlEEPS9_SE_NS0_5tupleIJPjSE_EEENSF_IJSE_SE_EEES9_SG_JZNS1_25segmented_radix_sort_implINS0_14default_configELb1EPKfPfPKlPlN2at6native12_GLOBAL__N_18offset_tEEE10hipError_tPvRmT1_PNSt15iterator_traitsISY_E10value_typeET2_T3_PNSZ_IS14_E10value_typeET4_jRbjT5_S1A_jjP12ihipStream_tbEUljE_EEESV_SW_SX_S14_S18_S1A_T6_T7_T9_mT8_S1C_bDpT10_ENKUlT_T0_E_clISt17integral_constantIbLb0EES1P_EEDaS1K_S1L_EUlS1K_E_NS1_11comp_targetILNS1_3genE3ELNS1_11target_archE908ELNS1_3gpuE7ELNS1_3repE0EEENS1_30default_config_static_selectorELNS0_4arch9wavefront6targetE0EEEvSY_.num_vgpr, 0
	.set _ZN7rocprim17ROCPRIM_400000_NS6detail17trampoline_kernelINS0_13select_configILj256ELj13ELNS0_17block_load_methodE3ELS4_3ELS4_3ELNS0_20block_scan_algorithmE0ELj4294967295EEENS1_25partition_config_selectorILNS1_17partition_subalgoE3EjNS0_10empty_typeEbEEZZNS1_14partition_implILS8_3ELb0ES6_jNS0_17counting_iteratorIjlEEPS9_SE_NS0_5tupleIJPjSE_EEENSF_IJSE_SE_EEES9_SG_JZNS1_25segmented_radix_sort_implINS0_14default_configELb1EPKfPfPKlPlN2at6native12_GLOBAL__N_18offset_tEEE10hipError_tPvRmT1_PNSt15iterator_traitsISY_E10value_typeET2_T3_PNSZ_IS14_E10value_typeET4_jRbjT5_S1A_jjP12ihipStream_tbEUljE_EEESV_SW_SX_S14_S18_S1A_T6_T7_T9_mT8_S1C_bDpT10_ENKUlT_T0_E_clISt17integral_constantIbLb0EES1P_EEDaS1K_S1L_EUlS1K_E_NS1_11comp_targetILNS1_3genE3ELNS1_11target_archE908ELNS1_3gpuE7ELNS1_3repE0EEENS1_30default_config_static_selectorELNS0_4arch9wavefront6targetE0EEEvSY_.num_agpr, 0
	.set _ZN7rocprim17ROCPRIM_400000_NS6detail17trampoline_kernelINS0_13select_configILj256ELj13ELNS0_17block_load_methodE3ELS4_3ELS4_3ELNS0_20block_scan_algorithmE0ELj4294967295EEENS1_25partition_config_selectorILNS1_17partition_subalgoE3EjNS0_10empty_typeEbEEZZNS1_14partition_implILS8_3ELb0ES6_jNS0_17counting_iteratorIjlEEPS9_SE_NS0_5tupleIJPjSE_EEENSF_IJSE_SE_EEES9_SG_JZNS1_25segmented_radix_sort_implINS0_14default_configELb1EPKfPfPKlPlN2at6native12_GLOBAL__N_18offset_tEEE10hipError_tPvRmT1_PNSt15iterator_traitsISY_E10value_typeET2_T3_PNSZ_IS14_E10value_typeET4_jRbjT5_S1A_jjP12ihipStream_tbEUljE_EEESV_SW_SX_S14_S18_S1A_T6_T7_T9_mT8_S1C_bDpT10_ENKUlT_T0_E_clISt17integral_constantIbLb0EES1P_EEDaS1K_S1L_EUlS1K_E_NS1_11comp_targetILNS1_3genE3ELNS1_11target_archE908ELNS1_3gpuE7ELNS1_3repE0EEENS1_30default_config_static_selectorELNS0_4arch9wavefront6targetE0EEEvSY_.numbered_sgpr, 0
	.set _ZN7rocprim17ROCPRIM_400000_NS6detail17trampoline_kernelINS0_13select_configILj256ELj13ELNS0_17block_load_methodE3ELS4_3ELS4_3ELNS0_20block_scan_algorithmE0ELj4294967295EEENS1_25partition_config_selectorILNS1_17partition_subalgoE3EjNS0_10empty_typeEbEEZZNS1_14partition_implILS8_3ELb0ES6_jNS0_17counting_iteratorIjlEEPS9_SE_NS0_5tupleIJPjSE_EEENSF_IJSE_SE_EEES9_SG_JZNS1_25segmented_radix_sort_implINS0_14default_configELb1EPKfPfPKlPlN2at6native12_GLOBAL__N_18offset_tEEE10hipError_tPvRmT1_PNSt15iterator_traitsISY_E10value_typeET2_T3_PNSZ_IS14_E10value_typeET4_jRbjT5_S1A_jjP12ihipStream_tbEUljE_EEESV_SW_SX_S14_S18_S1A_T6_T7_T9_mT8_S1C_bDpT10_ENKUlT_T0_E_clISt17integral_constantIbLb0EES1P_EEDaS1K_S1L_EUlS1K_E_NS1_11comp_targetILNS1_3genE3ELNS1_11target_archE908ELNS1_3gpuE7ELNS1_3repE0EEENS1_30default_config_static_selectorELNS0_4arch9wavefront6targetE0EEEvSY_.num_named_barrier, 0
	.set _ZN7rocprim17ROCPRIM_400000_NS6detail17trampoline_kernelINS0_13select_configILj256ELj13ELNS0_17block_load_methodE3ELS4_3ELS4_3ELNS0_20block_scan_algorithmE0ELj4294967295EEENS1_25partition_config_selectorILNS1_17partition_subalgoE3EjNS0_10empty_typeEbEEZZNS1_14partition_implILS8_3ELb0ES6_jNS0_17counting_iteratorIjlEEPS9_SE_NS0_5tupleIJPjSE_EEENSF_IJSE_SE_EEES9_SG_JZNS1_25segmented_radix_sort_implINS0_14default_configELb1EPKfPfPKlPlN2at6native12_GLOBAL__N_18offset_tEEE10hipError_tPvRmT1_PNSt15iterator_traitsISY_E10value_typeET2_T3_PNSZ_IS14_E10value_typeET4_jRbjT5_S1A_jjP12ihipStream_tbEUljE_EEESV_SW_SX_S14_S18_S1A_T6_T7_T9_mT8_S1C_bDpT10_ENKUlT_T0_E_clISt17integral_constantIbLb0EES1P_EEDaS1K_S1L_EUlS1K_E_NS1_11comp_targetILNS1_3genE3ELNS1_11target_archE908ELNS1_3gpuE7ELNS1_3repE0EEENS1_30default_config_static_selectorELNS0_4arch9wavefront6targetE0EEEvSY_.private_seg_size, 0
	.set _ZN7rocprim17ROCPRIM_400000_NS6detail17trampoline_kernelINS0_13select_configILj256ELj13ELNS0_17block_load_methodE3ELS4_3ELS4_3ELNS0_20block_scan_algorithmE0ELj4294967295EEENS1_25partition_config_selectorILNS1_17partition_subalgoE3EjNS0_10empty_typeEbEEZZNS1_14partition_implILS8_3ELb0ES6_jNS0_17counting_iteratorIjlEEPS9_SE_NS0_5tupleIJPjSE_EEENSF_IJSE_SE_EEES9_SG_JZNS1_25segmented_radix_sort_implINS0_14default_configELb1EPKfPfPKlPlN2at6native12_GLOBAL__N_18offset_tEEE10hipError_tPvRmT1_PNSt15iterator_traitsISY_E10value_typeET2_T3_PNSZ_IS14_E10value_typeET4_jRbjT5_S1A_jjP12ihipStream_tbEUljE_EEESV_SW_SX_S14_S18_S1A_T6_T7_T9_mT8_S1C_bDpT10_ENKUlT_T0_E_clISt17integral_constantIbLb0EES1P_EEDaS1K_S1L_EUlS1K_E_NS1_11comp_targetILNS1_3genE3ELNS1_11target_archE908ELNS1_3gpuE7ELNS1_3repE0EEENS1_30default_config_static_selectorELNS0_4arch9wavefront6targetE0EEEvSY_.uses_vcc, 0
	.set _ZN7rocprim17ROCPRIM_400000_NS6detail17trampoline_kernelINS0_13select_configILj256ELj13ELNS0_17block_load_methodE3ELS4_3ELS4_3ELNS0_20block_scan_algorithmE0ELj4294967295EEENS1_25partition_config_selectorILNS1_17partition_subalgoE3EjNS0_10empty_typeEbEEZZNS1_14partition_implILS8_3ELb0ES6_jNS0_17counting_iteratorIjlEEPS9_SE_NS0_5tupleIJPjSE_EEENSF_IJSE_SE_EEES9_SG_JZNS1_25segmented_radix_sort_implINS0_14default_configELb1EPKfPfPKlPlN2at6native12_GLOBAL__N_18offset_tEEE10hipError_tPvRmT1_PNSt15iterator_traitsISY_E10value_typeET2_T3_PNSZ_IS14_E10value_typeET4_jRbjT5_S1A_jjP12ihipStream_tbEUljE_EEESV_SW_SX_S14_S18_S1A_T6_T7_T9_mT8_S1C_bDpT10_ENKUlT_T0_E_clISt17integral_constantIbLb0EES1P_EEDaS1K_S1L_EUlS1K_E_NS1_11comp_targetILNS1_3genE3ELNS1_11target_archE908ELNS1_3gpuE7ELNS1_3repE0EEENS1_30default_config_static_selectorELNS0_4arch9wavefront6targetE0EEEvSY_.uses_flat_scratch, 0
	.set _ZN7rocprim17ROCPRIM_400000_NS6detail17trampoline_kernelINS0_13select_configILj256ELj13ELNS0_17block_load_methodE3ELS4_3ELS4_3ELNS0_20block_scan_algorithmE0ELj4294967295EEENS1_25partition_config_selectorILNS1_17partition_subalgoE3EjNS0_10empty_typeEbEEZZNS1_14partition_implILS8_3ELb0ES6_jNS0_17counting_iteratorIjlEEPS9_SE_NS0_5tupleIJPjSE_EEENSF_IJSE_SE_EEES9_SG_JZNS1_25segmented_radix_sort_implINS0_14default_configELb1EPKfPfPKlPlN2at6native12_GLOBAL__N_18offset_tEEE10hipError_tPvRmT1_PNSt15iterator_traitsISY_E10value_typeET2_T3_PNSZ_IS14_E10value_typeET4_jRbjT5_S1A_jjP12ihipStream_tbEUljE_EEESV_SW_SX_S14_S18_S1A_T6_T7_T9_mT8_S1C_bDpT10_ENKUlT_T0_E_clISt17integral_constantIbLb0EES1P_EEDaS1K_S1L_EUlS1K_E_NS1_11comp_targetILNS1_3genE3ELNS1_11target_archE908ELNS1_3gpuE7ELNS1_3repE0EEENS1_30default_config_static_selectorELNS0_4arch9wavefront6targetE0EEEvSY_.has_dyn_sized_stack, 0
	.set _ZN7rocprim17ROCPRIM_400000_NS6detail17trampoline_kernelINS0_13select_configILj256ELj13ELNS0_17block_load_methodE3ELS4_3ELS4_3ELNS0_20block_scan_algorithmE0ELj4294967295EEENS1_25partition_config_selectorILNS1_17partition_subalgoE3EjNS0_10empty_typeEbEEZZNS1_14partition_implILS8_3ELb0ES6_jNS0_17counting_iteratorIjlEEPS9_SE_NS0_5tupleIJPjSE_EEENSF_IJSE_SE_EEES9_SG_JZNS1_25segmented_radix_sort_implINS0_14default_configELb1EPKfPfPKlPlN2at6native12_GLOBAL__N_18offset_tEEE10hipError_tPvRmT1_PNSt15iterator_traitsISY_E10value_typeET2_T3_PNSZ_IS14_E10value_typeET4_jRbjT5_S1A_jjP12ihipStream_tbEUljE_EEESV_SW_SX_S14_S18_S1A_T6_T7_T9_mT8_S1C_bDpT10_ENKUlT_T0_E_clISt17integral_constantIbLb0EES1P_EEDaS1K_S1L_EUlS1K_E_NS1_11comp_targetILNS1_3genE3ELNS1_11target_archE908ELNS1_3gpuE7ELNS1_3repE0EEENS1_30default_config_static_selectorELNS0_4arch9wavefront6targetE0EEEvSY_.has_recursion, 0
	.set _ZN7rocprim17ROCPRIM_400000_NS6detail17trampoline_kernelINS0_13select_configILj256ELj13ELNS0_17block_load_methodE3ELS4_3ELS4_3ELNS0_20block_scan_algorithmE0ELj4294967295EEENS1_25partition_config_selectorILNS1_17partition_subalgoE3EjNS0_10empty_typeEbEEZZNS1_14partition_implILS8_3ELb0ES6_jNS0_17counting_iteratorIjlEEPS9_SE_NS0_5tupleIJPjSE_EEENSF_IJSE_SE_EEES9_SG_JZNS1_25segmented_radix_sort_implINS0_14default_configELb1EPKfPfPKlPlN2at6native12_GLOBAL__N_18offset_tEEE10hipError_tPvRmT1_PNSt15iterator_traitsISY_E10value_typeET2_T3_PNSZ_IS14_E10value_typeET4_jRbjT5_S1A_jjP12ihipStream_tbEUljE_EEESV_SW_SX_S14_S18_S1A_T6_T7_T9_mT8_S1C_bDpT10_ENKUlT_T0_E_clISt17integral_constantIbLb0EES1P_EEDaS1K_S1L_EUlS1K_E_NS1_11comp_targetILNS1_3genE3ELNS1_11target_archE908ELNS1_3gpuE7ELNS1_3repE0EEENS1_30default_config_static_selectorELNS0_4arch9wavefront6targetE0EEEvSY_.has_indirect_call, 0
	.section	.AMDGPU.csdata,"",@progbits
; Kernel info:
; codeLenInByte = 0
; TotalNumSgprs: 0
; NumVgprs: 0
; ScratchSize: 0
; MemoryBound: 0
; FloatMode: 240
; IeeeMode: 1
; LDSByteSize: 0 bytes/workgroup (compile time only)
; SGPRBlocks: 0
; VGPRBlocks: 0
; NumSGPRsForWavesPerEU: 1
; NumVGPRsForWavesPerEU: 1
; Occupancy: 16
; WaveLimiterHint : 0
; COMPUTE_PGM_RSRC2:SCRATCH_EN: 0
; COMPUTE_PGM_RSRC2:USER_SGPR: 2
; COMPUTE_PGM_RSRC2:TRAP_HANDLER: 0
; COMPUTE_PGM_RSRC2:TGID_X_EN: 1
; COMPUTE_PGM_RSRC2:TGID_Y_EN: 0
; COMPUTE_PGM_RSRC2:TGID_Z_EN: 0
; COMPUTE_PGM_RSRC2:TIDIG_COMP_CNT: 0
	.section	.text._ZN7rocprim17ROCPRIM_400000_NS6detail17trampoline_kernelINS0_13select_configILj256ELj13ELNS0_17block_load_methodE3ELS4_3ELS4_3ELNS0_20block_scan_algorithmE0ELj4294967295EEENS1_25partition_config_selectorILNS1_17partition_subalgoE3EjNS0_10empty_typeEbEEZZNS1_14partition_implILS8_3ELb0ES6_jNS0_17counting_iteratorIjlEEPS9_SE_NS0_5tupleIJPjSE_EEENSF_IJSE_SE_EEES9_SG_JZNS1_25segmented_radix_sort_implINS0_14default_configELb1EPKfPfPKlPlN2at6native12_GLOBAL__N_18offset_tEEE10hipError_tPvRmT1_PNSt15iterator_traitsISY_E10value_typeET2_T3_PNSZ_IS14_E10value_typeET4_jRbjT5_S1A_jjP12ihipStream_tbEUljE_EEESV_SW_SX_S14_S18_S1A_T6_T7_T9_mT8_S1C_bDpT10_ENKUlT_T0_E_clISt17integral_constantIbLb0EES1P_EEDaS1K_S1L_EUlS1K_E_NS1_11comp_targetILNS1_3genE2ELNS1_11target_archE906ELNS1_3gpuE6ELNS1_3repE0EEENS1_30default_config_static_selectorELNS0_4arch9wavefront6targetE0EEEvSY_,"axG",@progbits,_ZN7rocprim17ROCPRIM_400000_NS6detail17trampoline_kernelINS0_13select_configILj256ELj13ELNS0_17block_load_methodE3ELS4_3ELS4_3ELNS0_20block_scan_algorithmE0ELj4294967295EEENS1_25partition_config_selectorILNS1_17partition_subalgoE3EjNS0_10empty_typeEbEEZZNS1_14partition_implILS8_3ELb0ES6_jNS0_17counting_iteratorIjlEEPS9_SE_NS0_5tupleIJPjSE_EEENSF_IJSE_SE_EEES9_SG_JZNS1_25segmented_radix_sort_implINS0_14default_configELb1EPKfPfPKlPlN2at6native12_GLOBAL__N_18offset_tEEE10hipError_tPvRmT1_PNSt15iterator_traitsISY_E10value_typeET2_T3_PNSZ_IS14_E10value_typeET4_jRbjT5_S1A_jjP12ihipStream_tbEUljE_EEESV_SW_SX_S14_S18_S1A_T6_T7_T9_mT8_S1C_bDpT10_ENKUlT_T0_E_clISt17integral_constantIbLb0EES1P_EEDaS1K_S1L_EUlS1K_E_NS1_11comp_targetILNS1_3genE2ELNS1_11target_archE906ELNS1_3gpuE6ELNS1_3repE0EEENS1_30default_config_static_selectorELNS0_4arch9wavefront6targetE0EEEvSY_,comdat
	.globl	_ZN7rocprim17ROCPRIM_400000_NS6detail17trampoline_kernelINS0_13select_configILj256ELj13ELNS0_17block_load_methodE3ELS4_3ELS4_3ELNS0_20block_scan_algorithmE0ELj4294967295EEENS1_25partition_config_selectorILNS1_17partition_subalgoE3EjNS0_10empty_typeEbEEZZNS1_14partition_implILS8_3ELb0ES6_jNS0_17counting_iteratorIjlEEPS9_SE_NS0_5tupleIJPjSE_EEENSF_IJSE_SE_EEES9_SG_JZNS1_25segmented_radix_sort_implINS0_14default_configELb1EPKfPfPKlPlN2at6native12_GLOBAL__N_18offset_tEEE10hipError_tPvRmT1_PNSt15iterator_traitsISY_E10value_typeET2_T3_PNSZ_IS14_E10value_typeET4_jRbjT5_S1A_jjP12ihipStream_tbEUljE_EEESV_SW_SX_S14_S18_S1A_T6_T7_T9_mT8_S1C_bDpT10_ENKUlT_T0_E_clISt17integral_constantIbLb0EES1P_EEDaS1K_S1L_EUlS1K_E_NS1_11comp_targetILNS1_3genE2ELNS1_11target_archE906ELNS1_3gpuE6ELNS1_3repE0EEENS1_30default_config_static_selectorELNS0_4arch9wavefront6targetE0EEEvSY_ ; -- Begin function _ZN7rocprim17ROCPRIM_400000_NS6detail17trampoline_kernelINS0_13select_configILj256ELj13ELNS0_17block_load_methodE3ELS4_3ELS4_3ELNS0_20block_scan_algorithmE0ELj4294967295EEENS1_25partition_config_selectorILNS1_17partition_subalgoE3EjNS0_10empty_typeEbEEZZNS1_14partition_implILS8_3ELb0ES6_jNS0_17counting_iteratorIjlEEPS9_SE_NS0_5tupleIJPjSE_EEENSF_IJSE_SE_EEES9_SG_JZNS1_25segmented_radix_sort_implINS0_14default_configELb1EPKfPfPKlPlN2at6native12_GLOBAL__N_18offset_tEEE10hipError_tPvRmT1_PNSt15iterator_traitsISY_E10value_typeET2_T3_PNSZ_IS14_E10value_typeET4_jRbjT5_S1A_jjP12ihipStream_tbEUljE_EEESV_SW_SX_S14_S18_S1A_T6_T7_T9_mT8_S1C_bDpT10_ENKUlT_T0_E_clISt17integral_constantIbLb0EES1P_EEDaS1K_S1L_EUlS1K_E_NS1_11comp_targetILNS1_3genE2ELNS1_11target_archE906ELNS1_3gpuE6ELNS1_3repE0EEENS1_30default_config_static_selectorELNS0_4arch9wavefront6targetE0EEEvSY_
	.p2align	8
	.type	_ZN7rocprim17ROCPRIM_400000_NS6detail17trampoline_kernelINS0_13select_configILj256ELj13ELNS0_17block_load_methodE3ELS4_3ELS4_3ELNS0_20block_scan_algorithmE0ELj4294967295EEENS1_25partition_config_selectorILNS1_17partition_subalgoE3EjNS0_10empty_typeEbEEZZNS1_14partition_implILS8_3ELb0ES6_jNS0_17counting_iteratorIjlEEPS9_SE_NS0_5tupleIJPjSE_EEENSF_IJSE_SE_EEES9_SG_JZNS1_25segmented_radix_sort_implINS0_14default_configELb1EPKfPfPKlPlN2at6native12_GLOBAL__N_18offset_tEEE10hipError_tPvRmT1_PNSt15iterator_traitsISY_E10value_typeET2_T3_PNSZ_IS14_E10value_typeET4_jRbjT5_S1A_jjP12ihipStream_tbEUljE_EEESV_SW_SX_S14_S18_S1A_T6_T7_T9_mT8_S1C_bDpT10_ENKUlT_T0_E_clISt17integral_constantIbLb0EES1P_EEDaS1K_S1L_EUlS1K_E_NS1_11comp_targetILNS1_3genE2ELNS1_11target_archE906ELNS1_3gpuE6ELNS1_3repE0EEENS1_30default_config_static_selectorELNS0_4arch9wavefront6targetE0EEEvSY_,@function
_ZN7rocprim17ROCPRIM_400000_NS6detail17trampoline_kernelINS0_13select_configILj256ELj13ELNS0_17block_load_methodE3ELS4_3ELS4_3ELNS0_20block_scan_algorithmE0ELj4294967295EEENS1_25partition_config_selectorILNS1_17partition_subalgoE3EjNS0_10empty_typeEbEEZZNS1_14partition_implILS8_3ELb0ES6_jNS0_17counting_iteratorIjlEEPS9_SE_NS0_5tupleIJPjSE_EEENSF_IJSE_SE_EEES9_SG_JZNS1_25segmented_radix_sort_implINS0_14default_configELb1EPKfPfPKlPlN2at6native12_GLOBAL__N_18offset_tEEE10hipError_tPvRmT1_PNSt15iterator_traitsISY_E10value_typeET2_T3_PNSZ_IS14_E10value_typeET4_jRbjT5_S1A_jjP12ihipStream_tbEUljE_EEESV_SW_SX_S14_S18_S1A_T6_T7_T9_mT8_S1C_bDpT10_ENKUlT_T0_E_clISt17integral_constantIbLb0EES1P_EEDaS1K_S1L_EUlS1K_E_NS1_11comp_targetILNS1_3genE2ELNS1_11target_archE906ELNS1_3gpuE6ELNS1_3repE0EEENS1_30default_config_static_selectorELNS0_4arch9wavefront6targetE0EEEvSY_: ; @_ZN7rocprim17ROCPRIM_400000_NS6detail17trampoline_kernelINS0_13select_configILj256ELj13ELNS0_17block_load_methodE3ELS4_3ELS4_3ELNS0_20block_scan_algorithmE0ELj4294967295EEENS1_25partition_config_selectorILNS1_17partition_subalgoE3EjNS0_10empty_typeEbEEZZNS1_14partition_implILS8_3ELb0ES6_jNS0_17counting_iteratorIjlEEPS9_SE_NS0_5tupleIJPjSE_EEENSF_IJSE_SE_EEES9_SG_JZNS1_25segmented_radix_sort_implINS0_14default_configELb1EPKfPfPKlPlN2at6native12_GLOBAL__N_18offset_tEEE10hipError_tPvRmT1_PNSt15iterator_traitsISY_E10value_typeET2_T3_PNSZ_IS14_E10value_typeET4_jRbjT5_S1A_jjP12ihipStream_tbEUljE_EEESV_SW_SX_S14_S18_S1A_T6_T7_T9_mT8_S1C_bDpT10_ENKUlT_T0_E_clISt17integral_constantIbLb0EES1P_EEDaS1K_S1L_EUlS1K_E_NS1_11comp_targetILNS1_3genE2ELNS1_11target_archE906ELNS1_3gpuE6ELNS1_3repE0EEENS1_30default_config_static_selectorELNS0_4arch9wavefront6targetE0EEEvSY_
; %bb.0:
	.section	.rodata,"a",@progbits
	.p2align	6, 0x0
	.amdhsa_kernel _ZN7rocprim17ROCPRIM_400000_NS6detail17trampoline_kernelINS0_13select_configILj256ELj13ELNS0_17block_load_methodE3ELS4_3ELS4_3ELNS0_20block_scan_algorithmE0ELj4294967295EEENS1_25partition_config_selectorILNS1_17partition_subalgoE3EjNS0_10empty_typeEbEEZZNS1_14partition_implILS8_3ELb0ES6_jNS0_17counting_iteratorIjlEEPS9_SE_NS0_5tupleIJPjSE_EEENSF_IJSE_SE_EEES9_SG_JZNS1_25segmented_radix_sort_implINS0_14default_configELb1EPKfPfPKlPlN2at6native12_GLOBAL__N_18offset_tEEE10hipError_tPvRmT1_PNSt15iterator_traitsISY_E10value_typeET2_T3_PNSZ_IS14_E10value_typeET4_jRbjT5_S1A_jjP12ihipStream_tbEUljE_EEESV_SW_SX_S14_S18_S1A_T6_T7_T9_mT8_S1C_bDpT10_ENKUlT_T0_E_clISt17integral_constantIbLb0EES1P_EEDaS1K_S1L_EUlS1K_E_NS1_11comp_targetILNS1_3genE2ELNS1_11target_archE906ELNS1_3gpuE6ELNS1_3repE0EEENS1_30default_config_static_selectorELNS0_4arch9wavefront6targetE0EEEvSY_
		.amdhsa_group_segment_fixed_size 0
		.amdhsa_private_segment_fixed_size 0
		.amdhsa_kernarg_size 144
		.amdhsa_user_sgpr_count 2
		.amdhsa_user_sgpr_dispatch_ptr 0
		.amdhsa_user_sgpr_queue_ptr 0
		.amdhsa_user_sgpr_kernarg_segment_ptr 1
		.amdhsa_user_sgpr_dispatch_id 0
		.amdhsa_user_sgpr_private_segment_size 0
		.amdhsa_wavefront_size32 1
		.amdhsa_uses_dynamic_stack 0
		.amdhsa_enable_private_segment 0
		.amdhsa_system_sgpr_workgroup_id_x 1
		.amdhsa_system_sgpr_workgroup_id_y 0
		.amdhsa_system_sgpr_workgroup_id_z 0
		.amdhsa_system_sgpr_workgroup_info 0
		.amdhsa_system_vgpr_workitem_id 0
		.amdhsa_next_free_vgpr 1
		.amdhsa_next_free_sgpr 1
		.amdhsa_reserve_vcc 0
		.amdhsa_float_round_mode_32 0
		.amdhsa_float_round_mode_16_64 0
		.amdhsa_float_denorm_mode_32 3
		.amdhsa_float_denorm_mode_16_64 3
		.amdhsa_fp16_overflow 0
		.amdhsa_workgroup_processor_mode 1
		.amdhsa_memory_ordered 1
		.amdhsa_forward_progress 1
		.amdhsa_inst_pref_size 0
		.amdhsa_round_robin_scheduling 0
		.amdhsa_exception_fp_ieee_invalid_op 0
		.amdhsa_exception_fp_denorm_src 0
		.amdhsa_exception_fp_ieee_div_zero 0
		.amdhsa_exception_fp_ieee_overflow 0
		.amdhsa_exception_fp_ieee_underflow 0
		.amdhsa_exception_fp_ieee_inexact 0
		.amdhsa_exception_int_div_zero 0
	.end_amdhsa_kernel
	.section	.text._ZN7rocprim17ROCPRIM_400000_NS6detail17trampoline_kernelINS0_13select_configILj256ELj13ELNS0_17block_load_methodE3ELS4_3ELS4_3ELNS0_20block_scan_algorithmE0ELj4294967295EEENS1_25partition_config_selectorILNS1_17partition_subalgoE3EjNS0_10empty_typeEbEEZZNS1_14partition_implILS8_3ELb0ES6_jNS0_17counting_iteratorIjlEEPS9_SE_NS0_5tupleIJPjSE_EEENSF_IJSE_SE_EEES9_SG_JZNS1_25segmented_radix_sort_implINS0_14default_configELb1EPKfPfPKlPlN2at6native12_GLOBAL__N_18offset_tEEE10hipError_tPvRmT1_PNSt15iterator_traitsISY_E10value_typeET2_T3_PNSZ_IS14_E10value_typeET4_jRbjT5_S1A_jjP12ihipStream_tbEUljE_EEESV_SW_SX_S14_S18_S1A_T6_T7_T9_mT8_S1C_bDpT10_ENKUlT_T0_E_clISt17integral_constantIbLb0EES1P_EEDaS1K_S1L_EUlS1K_E_NS1_11comp_targetILNS1_3genE2ELNS1_11target_archE906ELNS1_3gpuE6ELNS1_3repE0EEENS1_30default_config_static_selectorELNS0_4arch9wavefront6targetE0EEEvSY_,"axG",@progbits,_ZN7rocprim17ROCPRIM_400000_NS6detail17trampoline_kernelINS0_13select_configILj256ELj13ELNS0_17block_load_methodE3ELS4_3ELS4_3ELNS0_20block_scan_algorithmE0ELj4294967295EEENS1_25partition_config_selectorILNS1_17partition_subalgoE3EjNS0_10empty_typeEbEEZZNS1_14partition_implILS8_3ELb0ES6_jNS0_17counting_iteratorIjlEEPS9_SE_NS0_5tupleIJPjSE_EEENSF_IJSE_SE_EEES9_SG_JZNS1_25segmented_radix_sort_implINS0_14default_configELb1EPKfPfPKlPlN2at6native12_GLOBAL__N_18offset_tEEE10hipError_tPvRmT1_PNSt15iterator_traitsISY_E10value_typeET2_T3_PNSZ_IS14_E10value_typeET4_jRbjT5_S1A_jjP12ihipStream_tbEUljE_EEESV_SW_SX_S14_S18_S1A_T6_T7_T9_mT8_S1C_bDpT10_ENKUlT_T0_E_clISt17integral_constantIbLb0EES1P_EEDaS1K_S1L_EUlS1K_E_NS1_11comp_targetILNS1_3genE2ELNS1_11target_archE906ELNS1_3gpuE6ELNS1_3repE0EEENS1_30default_config_static_selectorELNS0_4arch9wavefront6targetE0EEEvSY_,comdat
.Lfunc_end1297:
	.size	_ZN7rocprim17ROCPRIM_400000_NS6detail17trampoline_kernelINS0_13select_configILj256ELj13ELNS0_17block_load_methodE3ELS4_3ELS4_3ELNS0_20block_scan_algorithmE0ELj4294967295EEENS1_25partition_config_selectorILNS1_17partition_subalgoE3EjNS0_10empty_typeEbEEZZNS1_14partition_implILS8_3ELb0ES6_jNS0_17counting_iteratorIjlEEPS9_SE_NS0_5tupleIJPjSE_EEENSF_IJSE_SE_EEES9_SG_JZNS1_25segmented_radix_sort_implINS0_14default_configELb1EPKfPfPKlPlN2at6native12_GLOBAL__N_18offset_tEEE10hipError_tPvRmT1_PNSt15iterator_traitsISY_E10value_typeET2_T3_PNSZ_IS14_E10value_typeET4_jRbjT5_S1A_jjP12ihipStream_tbEUljE_EEESV_SW_SX_S14_S18_S1A_T6_T7_T9_mT8_S1C_bDpT10_ENKUlT_T0_E_clISt17integral_constantIbLb0EES1P_EEDaS1K_S1L_EUlS1K_E_NS1_11comp_targetILNS1_3genE2ELNS1_11target_archE906ELNS1_3gpuE6ELNS1_3repE0EEENS1_30default_config_static_selectorELNS0_4arch9wavefront6targetE0EEEvSY_, .Lfunc_end1297-_ZN7rocprim17ROCPRIM_400000_NS6detail17trampoline_kernelINS0_13select_configILj256ELj13ELNS0_17block_load_methodE3ELS4_3ELS4_3ELNS0_20block_scan_algorithmE0ELj4294967295EEENS1_25partition_config_selectorILNS1_17partition_subalgoE3EjNS0_10empty_typeEbEEZZNS1_14partition_implILS8_3ELb0ES6_jNS0_17counting_iteratorIjlEEPS9_SE_NS0_5tupleIJPjSE_EEENSF_IJSE_SE_EEES9_SG_JZNS1_25segmented_radix_sort_implINS0_14default_configELb1EPKfPfPKlPlN2at6native12_GLOBAL__N_18offset_tEEE10hipError_tPvRmT1_PNSt15iterator_traitsISY_E10value_typeET2_T3_PNSZ_IS14_E10value_typeET4_jRbjT5_S1A_jjP12ihipStream_tbEUljE_EEESV_SW_SX_S14_S18_S1A_T6_T7_T9_mT8_S1C_bDpT10_ENKUlT_T0_E_clISt17integral_constantIbLb0EES1P_EEDaS1K_S1L_EUlS1K_E_NS1_11comp_targetILNS1_3genE2ELNS1_11target_archE906ELNS1_3gpuE6ELNS1_3repE0EEENS1_30default_config_static_selectorELNS0_4arch9wavefront6targetE0EEEvSY_
                                        ; -- End function
	.set _ZN7rocprim17ROCPRIM_400000_NS6detail17trampoline_kernelINS0_13select_configILj256ELj13ELNS0_17block_load_methodE3ELS4_3ELS4_3ELNS0_20block_scan_algorithmE0ELj4294967295EEENS1_25partition_config_selectorILNS1_17partition_subalgoE3EjNS0_10empty_typeEbEEZZNS1_14partition_implILS8_3ELb0ES6_jNS0_17counting_iteratorIjlEEPS9_SE_NS0_5tupleIJPjSE_EEENSF_IJSE_SE_EEES9_SG_JZNS1_25segmented_radix_sort_implINS0_14default_configELb1EPKfPfPKlPlN2at6native12_GLOBAL__N_18offset_tEEE10hipError_tPvRmT1_PNSt15iterator_traitsISY_E10value_typeET2_T3_PNSZ_IS14_E10value_typeET4_jRbjT5_S1A_jjP12ihipStream_tbEUljE_EEESV_SW_SX_S14_S18_S1A_T6_T7_T9_mT8_S1C_bDpT10_ENKUlT_T0_E_clISt17integral_constantIbLb0EES1P_EEDaS1K_S1L_EUlS1K_E_NS1_11comp_targetILNS1_3genE2ELNS1_11target_archE906ELNS1_3gpuE6ELNS1_3repE0EEENS1_30default_config_static_selectorELNS0_4arch9wavefront6targetE0EEEvSY_.num_vgpr, 0
	.set _ZN7rocprim17ROCPRIM_400000_NS6detail17trampoline_kernelINS0_13select_configILj256ELj13ELNS0_17block_load_methodE3ELS4_3ELS4_3ELNS0_20block_scan_algorithmE0ELj4294967295EEENS1_25partition_config_selectorILNS1_17partition_subalgoE3EjNS0_10empty_typeEbEEZZNS1_14partition_implILS8_3ELb0ES6_jNS0_17counting_iteratorIjlEEPS9_SE_NS0_5tupleIJPjSE_EEENSF_IJSE_SE_EEES9_SG_JZNS1_25segmented_radix_sort_implINS0_14default_configELb1EPKfPfPKlPlN2at6native12_GLOBAL__N_18offset_tEEE10hipError_tPvRmT1_PNSt15iterator_traitsISY_E10value_typeET2_T3_PNSZ_IS14_E10value_typeET4_jRbjT5_S1A_jjP12ihipStream_tbEUljE_EEESV_SW_SX_S14_S18_S1A_T6_T7_T9_mT8_S1C_bDpT10_ENKUlT_T0_E_clISt17integral_constantIbLb0EES1P_EEDaS1K_S1L_EUlS1K_E_NS1_11comp_targetILNS1_3genE2ELNS1_11target_archE906ELNS1_3gpuE6ELNS1_3repE0EEENS1_30default_config_static_selectorELNS0_4arch9wavefront6targetE0EEEvSY_.num_agpr, 0
	.set _ZN7rocprim17ROCPRIM_400000_NS6detail17trampoline_kernelINS0_13select_configILj256ELj13ELNS0_17block_load_methodE3ELS4_3ELS4_3ELNS0_20block_scan_algorithmE0ELj4294967295EEENS1_25partition_config_selectorILNS1_17partition_subalgoE3EjNS0_10empty_typeEbEEZZNS1_14partition_implILS8_3ELb0ES6_jNS0_17counting_iteratorIjlEEPS9_SE_NS0_5tupleIJPjSE_EEENSF_IJSE_SE_EEES9_SG_JZNS1_25segmented_radix_sort_implINS0_14default_configELb1EPKfPfPKlPlN2at6native12_GLOBAL__N_18offset_tEEE10hipError_tPvRmT1_PNSt15iterator_traitsISY_E10value_typeET2_T3_PNSZ_IS14_E10value_typeET4_jRbjT5_S1A_jjP12ihipStream_tbEUljE_EEESV_SW_SX_S14_S18_S1A_T6_T7_T9_mT8_S1C_bDpT10_ENKUlT_T0_E_clISt17integral_constantIbLb0EES1P_EEDaS1K_S1L_EUlS1K_E_NS1_11comp_targetILNS1_3genE2ELNS1_11target_archE906ELNS1_3gpuE6ELNS1_3repE0EEENS1_30default_config_static_selectorELNS0_4arch9wavefront6targetE0EEEvSY_.numbered_sgpr, 0
	.set _ZN7rocprim17ROCPRIM_400000_NS6detail17trampoline_kernelINS0_13select_configILj256ELj13ELNS0_17block_load_methodE3ELS4_3ELS4_3ELNS0_20block_scan_algorithmE0ELj4294967295EEENS1_25partition_config_selectorILNS1_17partition_subalgoE3EjNS0_10empty_typeEbEEZZNS1_14partition_implILS8_3ELb0ES6_jNS0_17counting_iteratorIjlEEPS9_SE_NS0_5tupleIJPjSE_EEENSF_IJSE_SE_EEES9_SG_JZNS1_25segmented_radix_sort_implINS0_14default_configELb1EPKfPfPKlPlN2at6native12_GLOBAL__N_18offset_tEEE10hipError_tPvRmT1_PNSt15iterator_traitsISY_E10value_typeET2_T3_PNSZ_IS14_E10value_typeET4_jRbjT5_S1A_jjP12ihipStream_tbEUljE_EEESV_SW_SX_S14_S18_S1A_T6_T7_T9_mT8_S1C_bDpT10_ENKUlT_T0_E_clISt17integral_constantIbLb0EES1P_EEDaS1K_S1L_EUlS1K_E_NS1_11comp_targetILNS1_3genE2ELNS1_11target_archE906ELNS1_3gpuE6ELNS1_3repE0EEENS1_30default_config_static_selectorELNS0_4arch9wavefront6targetE0EEEvSY_.num_named_barrier, 0
	.set _ZN7rocprim17ROCPRIM_400000_NS6detail17trampoline_kernelINS0_13select_configILj256ELj13ELNS0_17block_load_methodE3ELS4_3ELS4_3ELNS0_20block_scan_algorithmE0ELj4294967295EEENS1_25partition_config_selectorILNS1_17partition_subalgoE3EjNS0_10empty_typeEbEEZZNS1_14partition_implILS8_3ELb0ES6_jNS0_17counting_iteratorIjlEEPS9_SE_NS0_5tupleIJPjSE_EEENSF_IJSE_SE_EEES9_SG_JZNS1_25segmented_radix_sort_implINS0_14default_configELb1EPKfPfPKlPlN2at6native12_GLOBAL__N_18offset_tEEE10hipError_tPvRmT1_PNSt15iterator_traitsISY_E10value_typeET2_T3_PNSZ_IS14_E10value_typeET4_jRbjT5_S1A_jjP12ihipStream_tbEUljE_EEESV_SW_SX_S14_S18_S1A_T6_T7_T9_mT8_S1C_bDpT10_ENKUlT_T0_E_clISt17integral_constantIbLb0EES1P_EEDaS1K_S1L_EUlS1K_E_NS1_11comp_targetILNS1_3genE2ELNS1_11target_archE906ELNS1_3gpuE6ELNS1_3repE0EEENS1_30default_config_static_selectorELNS0_4arch9wavefront6targetE0EEEvSY_.private_seg_size, 0
	.set _ZN7rocprim17ROCPRIM_400000_NS6detail17trampoline_kernelINS0_13select_configILj256ELj13ELNS0_17block_load_methodE3ELS4_3ELS4_3ELNS0_20block_scan_algorithmE0ELj4294967295EEENS1_25partition_config_selectorILNS1_17partition_subalgoE3EjNS0_10empty_typeEbEEZZNS1_14partition_implILS8_3ELb0ES6_jNS0_17counting_iteratorIjlEEPS9_SE_NS0_5tupleIJPjSE_EEENSF_IJSE_SE_EEES9_SG_JZNS1_25segmented_radix_sort_implINS0_14default_configELb1EPKfPfPKlPlN2at6native12_GLOBAL__N_18offset_tEEE10hipError_tPvRmT1_PNSt15iterator_traitsISY_E10value_typeET2_T3_PNSZ_IS14_E10value_typeET4_jRbjT5_S1A_jjP12ihipStream_tbEUljE_EEESV_SW_SX_S14_S18_S1A_T6_T7_T9_mT8_S1C_bDpT10_ENKUlT_T0_E_clISt17integral_constantIbLb0EES1P_EEDaS1K_S1L_EUlS1K_E_NS1_11comp_targetILNS1_3genE2ELNS1_11target_archE906ELNS1_3gpuE6ELNS1_3repE0EEENS1_30default_config_static_selectorELNS0_4arch9wavefront6targetE0EEEvSY_.uses_vcc, 0
	.set _ZN7rocprim17ROCPRIM_400000_NS6detail17trampoline_kernelINS0_13select_configILj256ELj13ELNS0_17block_load_methodE3ELS4_3ELS4_3ELNS0_20block_scan_algorithmE0ELj4294967295EEENS1_25partition_config_selectorILNS1_17partition_subalgoE3EjNS0_10empty_typeEbEEZZNS1_14partition_implILS8_3ELb0ES6_jNS0_17counting_iteratorIjlEEPS9_SE_NS0_5tupleIJPjSE_EEENSF_IJSE_SE_EEES9_SG_JZNS1_25segmented_radix_sort_implINS0_14default_configELb1EPKfPfPKlPlN2at6native12_GLOBAL__N_18offset_tEEE10hipError_tPvRmT1_PNSt15iterator_traitsISY_E10value_typeET2_T3_PNSZ_IS14_E10value_typeET4_jRbjT5_S1A_jjP12ihipStream_tbEUljE_EEESV_SW_SX_S14_S18_S1A_T6_T7_T9_mT8_S1C_bDpT10_ENKUlT_T0_E_clISt17integral_constantIbLb0EES1P_EEDaS1K_S1L_EUlS1K_E_NS1_11comp_targetILNS1_3genE2ELNS1_11target_archE906ELNS1_3gpuE6ELNS1_3repE0EEENS1_30default_config_static_selectorELNS0_4arch9wavefront6targetE0EEEvSY_.uses_flat_scratch, 0
	.set _ZN7rocprim17ROCPRIM_400000_NS6detail17trampoline_kernelINS0_13select_configILj256ELj13ELNS0_17block_load_methodE3ELS4_3ELS4_3ELNS0_20block_scan_algorithmE0ELj4294967295EEENS1_25partition_config_selectorILNS1_17partition_subalgoE3EjNS0_10empty_typeEbEEZZNS1_14partition_implILS8_3ELb0ES6_jNS0_17counting_iteratorIjlEEPS9_SE_NS0_5tupleIJPjSE_EEENSF_IJSE_SE_EEES9_SG_JZNS1_25segmented_radix_sort_implINS0_14default_configELb1EPKfPfPKlPlN2at6native12_GLOBAL__N_18offset_tEEE10hipError_tPvRmT1_PNSt15iterator_traitsISY_E10value_typeET2_T3_PNSZ_IS14_E10value_typeET4_jRbjT5_S1A_jjP12ihipStream_tbEUljE_EEESV_SW_SX_S14_S18_S1A_T6_T7_T9_mT8_S1C_bDpT10_ENKUlT_T0_E_clISt17integral_constantIbLb0EES1P_EEDaS1K_S1L_EUlS1K_E_NS1_11comp_targetILNS1_3genE2ELNS1_11target_archE906ELNS1_3gpuE6ELNS1_3repE0EEENS1_30default_config_static_selectorELNS0_4arch9wavefront6targetE0EEEvSY_.has_dyn_sized_stack, 0
	.set _ZN7rocprim17ROCPRIM_400000_NS6detail17trampoline_kernelINS0_13select_configILj256ELj13ELNS0_17block_load_methodE3ELS4_3ELS4_3ELNS0_20block_scan_algorithmE0ELj4294967295EEENS1_25partition_config_selectorILNS1_17partition_subalgoE3EjNS0_10empty_typeEbEEZZNS1_14partition_implILS8_3ELb0ES6_jNS0_17counting_iteratorIjlEEPS9_SE_NS0_5tupleIJPjSE_EEENSF_IJSE_SE_EEES9_SG_JZNS1_25segmented_radix_sort_implINS0_14default_configELb1EPKfPfPKlPlN2at6native12_GLOBAL__N_18offset_tEEE10hipError_tPvRmT1_PNSt15iterator_traitsISY_E10value_typeET2_T3_PNSZ_IS14_E10value_typeET4_jRbjT5_S1A_jjP12ihipStream_tbEUljE_EEESV_SW_SX_S14_S18_S1A_T6_T7_T9_mT8_S1C_bDpT10_ENKUlT_T0_E_clISt17integral_constantIbLb0EES1P_EEDaS1K_S1L_EUlS1K_E_NS1_11comp_targetILNS1_3genE2ELNS1_11target_archE906ELNS1_3gpuE6ELNS1_3repE0EEENS1_30default_config_static_selectorELNS0_4arch9wavefront6targetE0EEEvSY_.has_recursion, 0
	.set _ZN7rocprim17ROCPRIM_400000_NS6detail17trampoline_kernelINS0_13select_configILj256ELj13ELNS0_17block_load_methodE3ELS4_3ELS4_3ELNS0_20block_scan_algorithmE0ELj4294967295EEENS1_25partition_config_selectorILNS1_17partition_subalgoE3EjNS0_10empty_typeEbEEZZNS1_14partition_implILS8_3ELb0ES6_jNS0_17counting_iteratorIjlEEPS9_SE_NS0_5tupleIJPjSE_EEENSF_IJSE_SE_EEES9_SG_JZNS1_25segmented_radix_sort_implINS0_14default_configELb1EPKfPfPKlPlN2at6native12_GLOBAL__N_18offset_tEEE10hipError_tPvRmT1_PNSt15iterator_traitsISY_E10value_typeET2_T3_PNSZ_IS14_E10value_typeET4_jRbjT5_S1A_jjP12ihipStream_tbEUljE_EEESV_SW_SX_S14_S18_S1A_T6_T7_T9_mT8_S1C_bDpT10_ENKUlT_T0_E_clISt17integral_constantIbLb0EES1P_EEDaS1K_S1L_EUlS1K_E_NS1_11comp_targetILNS1_3genE2ELNS1_11target_archE906ELNS1_3gpuE6ELNS1_3repE0EEENS1_30default_config_static_selectorELNS0_4arch9wavefront6targetE0EEEvSY_.has_indirect_call, 0
	.section	.AMDGPU.csdata,"",@progbits
; Kernel info:
; codeLenInByte = 0
; TotalNumSgprs: 0
; NumVgprs: 0
; ScratchSize: 0
; MemoryBound: 0
; FloatMode: 240
; IeeeMode: 1
; LDSByteSize: 0 bytes/workgroup (compile time only)
; SGPRBlocks: 0
; VGPRBlocks: 0
; NumSGPRsForWavesPerEU: 1
; NumVGPRsForWavesPerEU: 1
; Occupancy: 16
; WaveLimiterHint : 0
; COMPUTE_PGM_RSRC2:SCRATCH_EN: 0
; COMPUTE_PGM_RSRC2:USER_SGPR: 2
; COMPUTE_PGM_RSRC2:TRAP_HANDLER: 0
; COMPUTE_PGM_RSRC2:TGID_X_EN: 1
; COMPUTE_PGM_RSRC2:TGID_Y_EN: 0
; COMPUTE_PGM_RSRC2:TGID_Z_EN: 0
; COMPUTE_PGM_RSRC2:TIDIG_COMP_CNT: 0
	.section	.text._ZN7rocprim17ROCPRIM_400000_NS6detail17trampoline_kernelINS0_13select_configILj256ELj13ELNS0_17block_load_methodE3ELS4_3ELS4_3ELNS0_20block_scan_algorithmE0ELj4294967295EEENS1_25partition_config_selectorILNS1_17partition_subalgoE3EjNS0_10empty_typeEbEEZZNS1_14partition_implILS8_3ELb0ES6_jNS0_17counting_iteratorIjlEEPS9_SE_NS0_5tupleIJPjSE_EEENSF_IJSE_SE_EEES9_SG_JZNS1_25segmented_radix_sort_implINS0_14default_configELb1EPKfPfPKlPlN2at6native12_GLOBAL__N_18offset_tEEE10hipError_tPvRmT1_PNSt15iterator_traitsISY_E10value_typeET2_T3_PNSZ_IS14_E10value_typeET4_jRbjT5_S1A_jjP12ihipStream_tbEUljE_EEESV_SW_SX_S14_S18_S1A_T6_T7_T9_mT8_S1C_bDpT10_ENKUlT_T0_E_clISt17integral_constantIbLb0EES1P_EEDaS1K_S1L_EUlS1K_E_NS1_11comp_targetILNS1_3genE10ELNS1_11target_archE1200ELNS1_3gpuE4ELNS1_3repE0EEENS1_30default_config_static_selectorELNS0_4arch9wavefront6targetE0EEEvSY_,"axG",@progbits,_ZN7rocprim17ROCPRIM_400000_NS6detail17trampoline_kernelINS0_13select_configILj256ELj13ELNS0_17block_load_methodE3ELS4_3ELS4_3ELNS0_20block_scan_algorithmE0ELj4294967295EEENS1_25partition_config_selectorILNS1_17partition_subalgoE3EjNS0_10empty_typeEbEEZZNS1_14partition_implILS8_3ELb0ES6_jNS0_17counting_iteratorIjlEEPS9_SE_NS0_5tupleIJPjSE_EEENSF_IJSE_SE_EEES9_SG_JZNS1_25segmented_radix_sort_implINS0_14default_configELb1EPKfPfPKlPlN2at6native12_GLOBAL__N_18offset_tEEE10hipError_tPvRmT1_PNSt15iterator_traitsISY_E10value_typeET2_T3_PNSZ_IS14_E10value_typeET4_jRbjT5_S1A_jjP12ihipStream_tbEUljE_EEESV_SW_SX_S14_S18_S1A_T6_T7_T9_mT8_S1C_bDpT10_ENKUlT_T0_E_clISt17integral_constantIbLb0EES1P_EEDaS1K_S1L_EUlS1K_E_NS1_11comp_targetILNS1_3genE10ELNS1_11target_archE1200ELNS1_3gpuE4ELNS1_3repE0EEENS1_30default_config_static_selectorELNS0_4arch9wavefront6targetE0EEEvSY_,comdat
	.globl	_ZN7rocprim17ROCPRIM_400000_NS6detail17trampoline_kernelINS0_13select_configILj256ELj13ELNS0_17block_load_methodE3ELS4_3ELS4_3ELNS0_20block_scan_algorithmE0ELj4294967295EEENS1_25partition_config_selectorILNS1_17partition_subalgoE3EjNS0_10empty_typeEbEEZZNS1_14partition_implILS8_3ELb0ES6_jNS0_17counting_iteratorIjlEEPS9_SE_NS0_5tupleIJPjSE_EEENSF_IJSE_SE_EEES9_SG_JZNS1_25segmented_radix_sort_implINS0_14default_configELb1EPKfPfPKlPlN2at6native12_GLOBAL__N_18offset_tEEE10hipError_tPvRmT1_PNSt15iterator_traitsISY_E10value_typeET2_T3_PNSZ_IS14_E10value_typeET4_jRbjT5_S1A_jjP12ihipStream_tbEUljE_EEESV_SW_SX_S14_S18_S1A_T6_T7_T9_mT8_S1C_bDpT10_ENKUlT_T0_E_clISt17integral_constantIbLb0EES1P_EEDaS1K_S1L_EUlS1K_E_NS1_11comp_targetILNS1_3genE10ELNS1_11target_archE1200ELNS1_3gpuE4ELNS1_3repE0EEENS1_30default_config_static_selectorELNS0_4arch9wavefront6targetE0EEEvSY_ ; -- Begin function _ZN7rocprim17ROCPRIM_400000_NS6detail17trampoline_kernelINS0_13select_configILj256ELj13ELNS0_17block_load_methodE3ELS4_3ELS4_3ELNS0_20block_scan_algorithmE0ELj4294967295EEENS1_25partition_config_selectorILNS1_17partition_subalgoE3EjNS0_10empty_typeEbEEZZNS1_14partition_implILS8_3ELb0ES6_jNS0_17counting_iteratorIjlEEPS9_SE_NS0_5tupleIJPjSE_EEENSF_IJSE_SE_EEES9_SG_JZNS1_25segmented_radix_sort_implINS0_14default_configELb1EPKfPfPKlPlN2at6native12_GLOBAL__N_18offset_tEEE10hipError_tPvRmT1_PNSt15iterator_traitsISY_E10value_typeET2_T3_PNSZ_IS14_E10value_typeET4_jRbjT5_S1A_jjP12ihipStream_tbEUljE_EEESV_SW_SX_S14_S18_S1A_T6_T7_T9_mT8_S1C_bDpT10_ENKUlT_T0_E_clISt17integral_constantIbLb0EES1P_EEDaS1K_S1L_EUlS1K_E_NS1_11comp_targetILNS1_3genE10ELNS1_11target_archE1200ELNS1_3gpuE4ELNS1_3repE0EEENS1_30default_config_static_selectorELNS0_4arch9wavefront6targetE0EEEvSY_
	.p2align	8
	.type	_ZN7rocprim17ROCPRIM_400000_NS6detail17trampoline_kernelINS0_13select_configILj256ELj13ELNS0_17block_load_methodE3ELS4_3ELS4_3ELNS0_20block_scan_algorithmE0ELj4294967295EEENS1_25partition_config_selectorILNS1_17partition_subalgoE3EjNS0_10empty_typeEbEEZZNS1_14partition_implILS8_3ELb0ES6_jNS0_17counting_iteratorIjlEEPS9_SE_NS0_5tupleIJPjSE_EEENSF_IJSE_SE_EEES9_SG_JZNS1_25segmented_radix_sort_implINS0_14default_configELb1EPKfPfPKlPlN2at6native12_GLOBAL__N_18offset_tEEE10hipError_tPvRmT1_PNSt15iterator_traitsISY_E10value_typeET2_T3_PNSZ_IS14_E10value_typeET4_jRbjT5_S1A_jjP12ihipStream_tbEUljE_EEESV_SW_SX_S14_S18_S1A_T6_T7_T9_mT8_S1C_bDpT10_ENKUlT_T0_E_clISt17integral_constantIbLb0EES1P_EEDaS1K_S1L_EUlS1K_E_NS1_11comp_targetILNS1_3genE10ELNS1_11target_archE1200ELNS1_3gpuE4ELNS1_3repE0EEENS1_30default_config_static_selectorELNS0_4arch9wavefront6targetE0EEEvSY_,@function
_ZN7rocprim17ROCPRIM_400000_NS6detail17trampoline_kernelINS0_13select_configILj256ELj13ELNS0_17block_load_methodE3ELS4_3ELS4_3ELNS0_20block_scan_algorithmE0ELj4294967295EEENS1_25partition_config_selectorILNS1_17partition_subalgoE3EjNS0_10empty_typeEbEEZZNS1_14partition_implILS8_3ELb0ES6_jNS0_17counting_iteratorIjlEEPS9_SE_NS0_5tupleIJPjSE_EEENSF_IJSE_SE_EEES9_SG_JZNS1_25segmented_radix_sort_implINS0_14default_configELb1EPKfPfPKlPlN2at6native12_GLOBAL__N_18offset_tEEE10hipError_tPvRmT1_PNSt15iterator_traitsISY_E10value_typeET2_T3_PNSZ_IS14_E10value_typeET4_jRbjT5_S1A_jjP12ihipStream_tbEUljE_EEESV_SW_SX_S14_S18_S1A_T6_T7_T9_mT8_S1C_bDpT10_ENKUlT_T0_E_clISt17integral_constantIbLb0EES1P_EEDaS1K_S1L_EUlS1K_E_NS1_11comp_targetILNS1_3genE10ELNS1_11target_archE1200ELNS1_3gpuE4ELNS1_3repE0EEENS1_30default_config_static_selectorELNS0_4arch9wavefront6targetE0EEEvSY_: ; @_ZN7rocprim17ROCPRIM_400000_NS6detail17trampoline_kernelINS0_13select_configILj256ELj13ELNS0_17block_load_methodE3ELS4_3ELS4_3ELNS0_20block_scan_algorithmE0ELj4294967295EEENS1_25partition_config_selectorILNS1_17partition_subalgoE3EjNS0_10empty_typeEbEEZZNS1_14partition_implILS8_3ELb0ES6_jNS0_17counting_iteratorIjlEEPS9_SE_NS0_5tupleIJPjSE_EEENSF_IJSE_SE_EEES9_SG_JZNS1_25segmented_radix_sort_implINS0_14default_configELb1EPKfPfPKlPlN2at6native12_GLOBAL__N_18offset_tEEE10hipError_tPvRmT1_PNSt15iterator_traitsISY_E10value_typeET2_T3_PNSZ_IS14_E10value_typeET4_jRbjT5_S1A_jjP12ihipStream_tbEUljE_EEESV_SW_SX_S14_S18_S1A_T6_T7_T9_mT8_S1C_bDpT10_ENKUlT_T0_E_clISt17integral_constantIbLb0EES1P_EEDaS1K_S1L_EUlS1K_E_NS1_11comp_targetILNS1_3genE10ELNS1_11target_archE1200ELNS1_3gpuE4ELNS1_3repE0EEENS1_30default_config_static_selectorELNS0_4arch9wavefront6targetE0EEEvSY_
; %bb.0:
	s_clause 0x6
	s_load_b32 s2, s[0:1], 0x70
	s_load_b128 s[8:11], s[0:1], 0x48
	s_load_b64 s[12:13], s[0:1], 0x10
	s_load_b64 s[14:15], s[0:1], 0x58
	s_load_b32 s20, s[0:1], 0x8
	s_load_b32 s3, s[0:1], 0x88
	s_load_b128 s[4:7], s[0:1], 0x78
	s_mov_b32 s17, 0
	v_lshlrev_b32_e32 v42, 2, v0
	s_wait_kmcnt 0x0
	s_mul_i32 s16, s2, 0xd00
	s_load_b64 s[18:19], s[10:11], 0x0
	s_add_co_i32 s10, s16, s12
	s_add_co_i32 s2, s2, -1
	s_sub_co_i32 s23, s14, s10
	s_add_nc_u64 s[10:11], s[12:13], s[16:17]
	s_addk_co_i32 s23, 0xd00
	s_cmp_eq_u32 ttmp9, s2
	s_mul_i32 s16, ttmp9, 0xd00
	s_cselect_b32 s22, -1, 0
	s_cmp_lg_u32 ttmp9, s2
	v_cmp_gt_u64_e64 s10, s[14:15], s[10:11]
	s_cselect_b32 s2, -1, 0
	s_add_co_i32 s11, s20, s16
	s_mov_b32 s17, -1
	s_wait_alu 0xfffe
	s_add_co_i32 s11, s11, s12
	s_wait_alu 0xfffe
	v_add_nc_u32_e32 v1, s11, v0
	s_or_b32 s10, s2, s10
	s_wait_alu 0xfffe
	s_and_b32 vcc_lo, exec_lo, s10
	s_cbranch_vccz .LBB1298_2
; %bb.1:
	v_add_nc_u32_e32 v2, 0x100, v1
	v_add_nc_u32_e32 v3, 0x200, v1
	;; [unrolled: 1-line block ×12, first 2 shown]
	ds_store_2addr_stride64_b32 v42, v1, v2 offset1:4
	ds_store_2addr_stride64_b32 v42, v3, v4 offset0:8 offset1:12
	ds_store_2addr_stride64_b32 v42, v5, v6 offset0:16 offset1:20
	;; [unrolled: 1-line block ×5, first 2 shown]
	ds_store_b32 v42, v13 offset:12288
	s_wait_dscnt 0x0
	s_barrier_signal -1
	s_mov_b32 s17, 0
	s_barrier_wait -1
.LBB1298_2:
	v_cmp_gt_u32_e64 s2, s23, v0
	v_or_b32_e32 v41, 0x100, v0
	v_or_b32_e32 v40, 0x200, v0
	;; [unrolled: 1-line block ×12, first 2 shown]
	s_and_not1_b32 vcc_lo, exec_lo, s17
	s_cbranch_vccnz .LBB1298_4
; %bb.3:
	v_cmp_gt_u32_e32 vcc_lo, s23, v41
	v_add_nc_u32_e32 v3, s11, v40
	v_add_nc_u32_e32 v2, s11, v41
	v_cndmask_b32_e64 v1, 0, v1, s2
	s_delay_alu instid0(VALU_DEP_2)
	v_cndmask_b32_e32 v2, 0, v2, vcc_lo
	v_cmp_gt_u32_e32 vcc_lo, s23, v40
	s_wait_alu 0xfffd
	v_cndmask_b32_e32 v3, 0, v3, vcc_lo
	v_cmp_gt_u32_e32 vcc_lo, s23, v39
	v_add_nc_u32_e32 v5, s11, v38
	v_add_nc_u32_e32 v4, s11, v39
	s_wait_alu 0xfffd
	s_delay_alu instid0(VALU_DEP_1)
	v_cndmask_b32_e32 v4, 0, v4, vcc_lo
	v_cmp_gt_u32_e32 vcc_lo, s23, v38
	s_wait_alu 0xfffd
	v_cndmask_b32_e32 v5, 0, v5, vcc_lo
	v_cmp_gt_u32_e32 vcc_lo, s23, v37
	v_add_nc_u32_e32 v7, s11, v36
	v_add_nc_u32_e32 v6, s11, v37
	s_wait_alu 0xfffd
	s_delay_alu instid0(VALU_DEP_1)
	;; [unrolled: 9-line block ×5, first 2 shown]
	v_cndmask_b32_e32 v12, 0, v12, vcc_lo
	v_cmp_gt_u32_e32 vcc_lo, s23, v30
	s_wait_alu 0xfffd
	v_cndmask_b32_e32 v13, 0, v13, vcc_lo
	ds_store_2addr_stride64_b32 v42, v1, v2 offset1:4
	ds_store_2addr_stride64_b32 v42, v3, v4 offset0:8 offset1:12
	ds_store_2addr_stride64_b32 v42, v5, v6 offset0:16 offset1:20
	;; [unrolled: 1-line block ×5, first 2 shown]
	ds_store_b32 v42, v13 offset:12288
	s_wait_dscnt 0x0
	s_barrier_signal -1
	s_barrier_wait -1
.LBB1298_4:
	v_mul_u32_u24_e32 v45, 13, v0
	global_inv scope:SCOPE_SE
	v_cndmask_b32_e64 v43, 0, 1, s10
	s_and_not1_b32 vcc_lo, exec_lo, s10
	v_lshlrev_b32_e32 v1, 2, v45
	ds_load_2addr_b32 v[26:27], v1 offset0:2 offset1:3
	ds_load_2addr_b32 v[22:23], v1 offset0:6 offset1:7
	;; [unrolled: 1-line block ×3, first 2 shown]
	ds_load_2addr_b32 v[28:29], v1 offset1:1
	ds_load_2addr_b32 v[18:19], v1 offset0:10 offset1:11
	ds_load_b32 v44, v1 offset:48
	ds_load_2addr_b32 v[20:21], v1 offset0:8 offset1:9
	s_wait_loadcnt_dscnt 0x0
	s_barrier_signal -1
	s_barrier_wait -1
	global_inv scope:SCOPE_SE
	s_wait_alu 0xfffe
	s_cbranch_vccnz .LBB1298_6
; %bb.5:
	v_add_nc_u32_e32 v1, s5, v27
	v_add_nc_u32_e32 v2, s7, v27
	;; [unrolled: 1-line block ×5, first 2 shown]
	v_mul_lo_u32 v1, v1, s4
	v_mul_lo_u32 v2, v2, s6
	v_add_nc_u32_e32 v8, s7, v26
	v_add_nc_u32_e32 v3, s5, v29
	;; [unrolled: 1-line block ×3, first 2 shown]
	v_mul_lo_u32 v5, v5, s4
	v_mul_lo_u32 v4, v4, s4
	v_add_nc_u32_e32 v9, s5, v24
	v_mul_lo_u32 v3, v3, s4
	v_sub_nc_u32_e32 v1, v1, v2
	v_mul_lo_u32 v2, v7, s6
	v_mul_lo_u32 v7, v8, s6
	;; [unrolled: 1-line block ×3, first 2 shown]
	v_add_nc_u32_e32 v8, s5, v25
	v_add_nc_u32_e32 v10, s7, v24
	v_mul_lo_u32 v9, v9, s4
	v_cmp_lt_u32_e32 vcc_lo, s3, v1
	v_add_nc_u32_e32 v14, s7, v19
	v_sub_nc_u32_e32 v2, v4, v2
	v_sub_nc_u32_e32 v4, v5, v7
	v_add_nc_u32_e32 v5, s7, v25
	v_sub_nc_u32_e32 v3, v3, v6
	v_add_nc_u32_e32 v6, s5, v23
	v_add_nc_u32_e32 v7, s7, v23
	v_mul_lo_u32 v8, v8, s4
	v_mul_lo_u32 v5, v5, s6
	;; [unrolled: 1-line block ×5, first 2 shown]
	s_wait_alu 0xfffd
	v_cndmask_b32_e64 v1, 0, 1, vcc_lo
	v_cmp_lt_u32_e32 vcc_lo, s3, v3
	v_mul_lo_u32 v14, v14, s6
	v_add_nc_u32_e32 v15, s7, v21
	v_sub_nc_u32_e32 v5, v8, v5
	v_add_nc_u32_e32 v8, s7, v22
	s_wait_alu 0xfffd
	v_cndmask_b32_e64 v3, 0, 1, vcc_lo
	v_sub_nc_u32_e32 v6, v6, v7
	v_mul_lo_u32 v15, v15, s6
	v_cmp_lt_u32_e32 vcc_lo, s3, v5
	v_mul_lo_u32 v7, v8, s6
	v_sub_nc_u32_e32 v8, v9, v10
	v_add_nc_u32_e32 v9, s5, v19
	v_add_nc_u32_e32 v10, s5, v21
	s_wait_alu 0xfffd
	v_cndmask_b32_e64 v5, 0, 1, vcc_lo
	v_cmp_lt_u32_e32 vcc_lo, s3, v6
	v_add_nc_u32_e32 v11, s5, v22
	v_mul_lo_u32 v9, v9, s4
	v_mul_lo_u32 v10, v10, s4
	v_add_nc_u32_e32 v12, s5, v20
	s_wait_alu 0xfffd
	v_cndmask_b32_e64 v6, 0, 1, vcc_lo
	v_mul_lo_u32 v11, v11, s4
	v_add_nc_u32_e32 v16, s7, v20
	v_lshlrev_b16 v3, 8, v3
	v_add_nc_u32_e32 v13, s5, v18
	v_sub_nc_u32_e32 v9, v9, v14
	v_sub_nc_u32_e32 v10, v10, v15
	v_add_nc_u32_e32 v17, s7, v18
	v_mul_lo_u32 v12, v12, s4
	v_mul_lo_u32 v16, v16, s6
	v_cmp_lt_u32_e32 vcc_lo, s3, v9
	v_sub_nc_u32_e32 v7, v11, v7
	v_lshrrev_b32_e32 v3, 8, v3
	v_mul_lo_u32 v11, v13, s4
	v_mul_lo_u32 v13, v17, s6
	s_wait_alu 0xfffd
	v_cndmask_b32_e64 v9, 0, 1, vcc_lo
	v_cmp_lt_u32_e32 vcc_lo, s3, v2
	v_sub_nc_u32_e32 v12, v12, v16
	v_lshlrev_b16 v3, 8, v3
	v_lshlrev_b16 v1, 8, v1
	;; [unrolled: 1-line block ×3, first 2 shown]
	s_wait_alu 0xfffd
	v_cndmask_b32_e64 v2, 0, 1, vcc_lo
	v_cmp_lt_u32_e32 vcc_lo, s3, v10
	v_sub_nc_u32_e32 v11, v11, v13
	v_add_nc_u32_e32 v14, s5, v44
	v_add_nc_u32_e32 v15, s7, v44
	v_or_b32_e32 v2, v2, v3
	s_wait_alu 0xfffd
	v_cndmask_b32_e64 v10, 0, 1, vcc_lo
	v_cmp_lt_u32_e32 vcc_lo, s3, v4
	v_lshlrev_b16 v3, 8, v9
	v_lshrrev_b32_e32 v5, 8, v5
	v_lshrrev_b32_e32 v1, 8, v1
	v_lshlrev_b16 v9, 8, v10
	s_wait_alu 0xfffd
	v_cndmask_b32_e64 v4, 0, 1, vcc_lo
	v_cmp_lt_u32_e32 vcc_lo, s3, v8
	v_lshrrev_b32_e32 v3, 8, v3
	v_mul_lo_u32 v14, v14, s4
	v_lshrrev_b32_e32 v9, 8, v9
	v_mul_lo_u32 v15, v15, s6
	s_wait_alu 0xfffd
	v_cndmask_b32_e64 v8, 0, 1, vcc_lo
	v_cmp_lt_u32_e32 vcc_lo, s3, v7
	v_lshlrev_b16 v6, 8, v6
	v_lshlrev_b16 v1, 8, v1
	;; [unrolled: 1-line block ×4, first 2 shown]
	s_wait_alu 0xfffd
	v_cndmask_b32_e64 v7, 0, 1, vcc_lo
	v_cmp_lt_u32_e32 vcc_lo, s3, v12
	v_lshlrev_b16 v3, 8, v3
	v_sub_nc_u32_e32 v10, v14, v15
	v_or_b32_e32 v1, v4, v1
	v_or_b32_e32 v4, v8, v5
	s_wait_alu 0xfffd
	v_cndmask_b32_e64 v12, 0, 1, vcc_lo
	v_cmp_lt_u32_e32 vcc_lo, s3, v11
	v_or_b32_e32 v5, v7, v6
	v_and_b32_e32 v2, 0xffff, v2
	v_lshlrev_b32_e32 v1, 16, v1
	v_or_b32_e32 v6, v12, v9
	s_wait_alu 0xfffd
	v_cndmask_b32_e64 v11, 0, 1, vcc_lo
	v_and_b32_e32 v4, 0xffff, v4
	v_lshlrev_b32_e32 v5, 16, v5
	v_cmp_lt_u32_e32 vcc_lo, s3, v10
	v_and_b32_e32 v6, 0xffff, v6
	v_or_b32_e32 v3, v11, v3
	v_or_b32_e32 v51, v2, v1
	;; [unrolled: 1-line block ×3, first 2 shown]
	s_wait_alu 0xfffd
	v_cndmask_b32_e64 v46, 0, 1, vcc_lo
	v_lshlrev_b32_e32 v3, 16, v3
	s_delay_alu instid0(VALU_DEP_1)
	v_or_b32_e32 v47, v6, v3
	s_clause 0x1
	s_load_b64 s[10:11], s[0:1], 0x28
	s_load_b64 s[20:21], s[0:1], 0x68
	s_cbranch_execz .LBB1298_7
	s_branch .LBB1298_34
.LBB1298_6:
                                        ; implicit-def: $vgpr46
                                        ; implicit-def: $vgpr47
                                        ; implicit-def: $vgpr49
                                        ; implicit-def: $vgpr51
	s_clause 0x1
	s_load_b64 s[10:11], s[0:1], 0x28
	s_load_b64 s[20:21], s[0:1], 0x68
.LBB1298_7:
	v_dual_mov_b32 v2, 0 :: v_dual_mov_b32 v1, 0
	s_mov_b32 s0, exec_lo
	v_cmpx_gt_u32_e64 s23, v45
	s_cbranch_execz .LBB1298_9
; %bb.8:
	v_add_nc_u32_e32 v1, s5, v28
	v_add_nc_u32_e32 v3, s7, v28
	s_delay_alu instid0(VALU_DEP_2) | instskip(NEXT) | instid1(VALU_DEP_2)
	v_mul_lo_u32 v1, v1, s4
	v_mul_lo_u32 v3, v3, s6
	s_delay_alu instid0(VALU_DEP_1) | instskip(NEXT) | instid1(VALU_DEP_1)
	v_sub_nc_u32_e32 v1, v1, v3
	v_cmp_lt_u32_e32 vcc_lo, s3, v1
	s_wait_alu 0xfffd
	v_cndmask_b32_e64 v1, 0, 1, vcc_lo
.LBB1298_9:
	s_or_b32 exec_lo, exec_lo, s0
	v_add_nc_u32_e32 v3, 1, v45
	s_mov_b32 s0, exec_lo
	s_delay_alu instid0(VALU_DEP_1)
	v_cmpx_gt_u32_e64 s23, v3
	s_cbranch_execz .LBB1298_11
; %bb.10:
	v_add_nc_u32_e32 v2, s5, v29
	v_add_nc_u32_e32 v3, s7, v29
	s_delay_alu instid0(VALU_DEP_2) | instskip(NEXT) | instid1(VALU_DEP_2)
	v_mul_lo_u32 v2, v2, s4
	v_mul_lo_u32 v3, v3, s6
	s_delay_alu instid0(VALU_DEP_1) | instskip(NEXT) | instid1(VALU_DEP_1)
	v_sub_nc_u32_e32 v2, v2, v3
	v_cmp_lt_u32_e32 vcc_lo, s3, v2
	s_wait_alu 0xfffd
	v_cndmask_b32_e64 v2, 0, 1, vcc_lo
.LBB1298_11:
	s_or_b32 exec_lo, exec_lo, s0
	v_dual_mov_b32 v4, 0 :: v_dual_add_nc_u32 v3, 2, v45
	s_delay_alu instid0(VALU_DEP_1)
	v_cmp_gt_u32_e32 vcc_lo, s23, v3
	v_mov_b32_e32 v3, 0
	s_and_saveexec_b32 s0, vcc_lo
	s_cbranch_execz .LBB1298_13
; %bb.12:
	v_add_nc_u32_e32 v3, s5, v26
	v_add_nc_u32_e32 v5, s7, v26
	s_delay_alu instid0(VALU_DEP_2) | instskip(NEXT) | instid1(VALU_DEP_2)
	v_mul_lo_u32 v3, v3, s4
	v_mul_lo_u32 v5, v5, s6
	s_delay_alu instid0(VALU_DEP_1) | instskip(NEXT) | instid1(VALU_DEP_1)
	v_sub_nc_u32_e32 v3, v3, v5
	v_cmp_lt_u32_e32 vcc_lo, s3, v3
	s_wait_alu 0xfffd
	v_cndmask_b32_e64 v3, 0, 1, vcc_lo
.LBB1298_13:
	s_or_b32 exec_lo, exec_lo, s0
	v_add_nc_u32_e32 v5, 3, v45
	s_mov_b32 s0, exec_lo
	s_delay_alu instid0(VALU_DEP_1)
	v_cmpx_gt_u32_e64 s23, v5
	s_cbranch_execz .LBB1298_15
; %bb.14:
	v_add_nc_u32_e32 v4, s5, v27
	v_add_nc_u32_e32 v5, s7, v27
	s_delay_alu instid0(VALU_DEP_2) | instskip(NEXT) | instid1(VALU_DEP_2)
	v_mul_lo_u32 v4, v4, s4
	v_mul_lo_u32 v5, v5, s6
	s_delay_alu instid0(VALU_DEP_1) | instskip(NEXT) | instid1(VALU_DEP_1)
	v_sub_nc_u32_e32 v4, v4, v5
	v_cmp_lt_u32_e32 vcc_lo, s3, v4
	s_wait_alu 0xfffd
	v_cndmask_b32_e64 v4, 0, 1, vcc_lo
.LBB1298_15:
	s_or_b32 exec_lo, exec_lo, s0
	v_dual_mov_b32 v6, 0 :: v_dual_add_nc_u32 v5, 4, v45
	s_delay_alu instid0(VALU_DEP_1)
	v_cmp_gt_u32_e32 vcc_lo, s23, v5
	v_mov_b32_e32 v5, 0
	s_and_saveexec_b32 s0, vcc_lo
	;; [unrolled: 37-line block ×5, first 2 shown]
	s_cbranch_execz .LBB1298_29
; %bb.28:
	v_add_nc_u32_e32 v11, s5, v18
	v_add_nc_u32_e32 v13, s7, v18
	s_delay_alu instid0(VALU_DEP_2) | instskip(NEXT) | instid1(VALU_DEP_2)
	v_mul_lo_u32 v11, v11, s4
	v_mul_lo_u32 v13, v13, s6
	s_delay_alu instid0(VALU_DEP_1) | instskip(NEXT) | instid1(VALU_DEP_1)
	v_sub_nc_u32_e32 v11, v11, v13
	v_cmp_lt_u32_e32 vcc_lo, s3, v11
	s_wait_alu 0xfffd
	v_cndmask_b32_e64 v11, 0, 1, vcc_lo
.LBB1298_29:
	s_or_b32 exec_lo, exec_lo, s0
	v_add_nc_u32_e32 v13, 11, v45
	s_mov_b32 s0, exec_lo
	s_delay_alu instid0(VALU_DEP_1)
	v_cmpx_gt_u32_e64 s23, v13
	s_cbranch_execz .LBB1298_31
; %bb.30:
	v_add_nc_u32_e32 v12, s5, v19
	v_add_nc_u32_e32 v13, s7, v19
	s_delay_alu instid0(VALU_DEP_2) | instskip(NEXT) | instid1(VALU_DEP_2)
	v_mul_lo_u32 v12, v12, s4
	v_mul_lo_u32 v13, v13, s6
	s_delay_alu instid0(VALU_DEP_1) | instskip(NEXT) | instid1(VALU_DEP_1)
	v_sub_nc_u32_e32 v12, v12, v13
	v_cmp_lt_u32_e32 vcc_lo, s3, v12
	s_wait_alu 0xfffd
	v_cndmask_b32_e64 v12, 0, 1, vcc_lo
.LBB1298_31:
	s_or_b32 exec_lo, exec_lo, s0
	v_dual_mov_b32 v46, 0 :: v_dual_add_nc_u32 v13, 12, v45
	s_mov_b32 s0, exec_lo
	s_delay_alu instid0(VALU_DEP_1)
	v_cmpx_gt_u32_e64 s23, v13
	s_cbranch_execz .LBB1298_33
; %bb.32:
	v_add_nc_u32_e32 v13, s5, v44
	v_add_nc_u32_e32 v14, s7, v44
	s_delay_alu instid0(VALU_DEP_2) | instskip(NEXT) | instid1(VALU_DEP_2)
	v_mul_lo_u32 v13, v13, s4
	v_mul_lo_u32 v14, v14, s6
	s_delay_alu instid0(VALU_DEP_1) | instskip(NEXT) | instid1(VALU_DEP_1)
	v_sub_nc_u32_e32 v13, v13, v14
	v_cmp_lt_u32_e32 vcc_lo, s3, v13
	s_wait_alu 0xfffd
	v_cndmask_b32_e64 v46, 0, 1, vcc_lo
.LBB1298_33:
	s_or_b32 exec_lo, exec_lo, s0
	v_lshlrev_b16 v2, 8, v2
	v_lshlrev_b16 v4, 8, v4
	;; [unrolled: 1-line block ×5, first 2 shown]
	v_or_b32_e32 v1, v1, v2
	v_lshlrev_b16 v2, 8, v12
	v_or_b32_e32 v3, v3, v4
	v_or_b32_e32 v4, v5, v6
	;; [unrolled: 1-line block ×5, first 2 shown]
	v_and_b32_e32 v1, 0xffff, v1
	v_lshlrev_b32_e32 v3, 16, v3
	v_and_b32_e32 v4, 0xffff, v4
	v_lshlrev_b32_e32 v5, 16, v5
	;; [unrolled: 2-line block ×3, first 2 shown]
	v_or_b32_e32 v51, v1, v3
	s_delay_alu instid0(VALU_DEP_4) | instskip(NEXT) | instid1(VALU_DEP_3)
	v_or_b32_e32 v49, v4, v5
	v_or_b32_e32 v47, v6, v2
.LBB1298_34:
	s_delay_alu instid0(VALU_DEP_3)
	v_and_b32_e32 v53, 0xff, v51
	v_bfe_u32 v54, v51, 8, 8
	v_bfe_u32 v55, v51, 16, 8
	v_lshrrev_b32_e32 v52, 24, v51
	v_and_b32_e32 v56, 0xff, v49
	v_bfe_u32 v57, v49, 8, 8
	v_bfe_u32 v58, v49, 16, 8
	v_add3_u32 v1, v54, v53, v55
	v_lshrrev_b32_e32 v50, 24, v49
	v_and_b32_e32 v59, 0xff, v47
	v_bfe_u32 v60, v47, 8, 8
	v_mbcnt_lo_u32_b32 v62, -1, 0
	v_add3_u32 v1, v1, v52, v56
	v_bfe_u32 v61, v47, 16, 8
	v_lshrrev_b32_e32 v48, 24, v47
	v_and_b32_e32 v2, 0xff, v46
	v_and_b32_e32 v3, 15, v62
	v_add3_u32 v1, v1, v57, v58
	v_or_b32_e32 v4, 31, v0
	v_and_b32_e32 v5, 16, v62
	v_lshrrev_b32_e32 v63, 5, v0
	v_cmp_eq_u32_e64 s5, 0, v3
	v_add3_u32 v1, v1, v50, v59
	v_cmp_lt_u32_e64 s4, 1, v3
	v_cmp_lt_u32_e64 s3, 3, v3
	;; [unrolled: 1-line block ×3, first 2 shown]
	v_cmp_eq_u32_e64 s1, 0, v5
	v_add3_u32 v1, v1, v60, v61
	v_cmp_eq_u32_e64 s0, v0, v4
	s_cmp_lg_u32 ttmp9, 0
	s_mov_b32 s6, -1
	v_add3_u32 v64, v1, v48, v2
	s_cbranch_scc0 .LBB1298_55
; %bb.35:
	s_delay_alu instid0(VALU_DEP_1) | instskip(SKIP_1) | instid1(VALU_DEP_1)
	v_mov_b32_dpp v1, v64 row_shr:1 row_mask:0xf bank_mask:0xf
	s_wait_alu 0xf1ff
	v_cndmask_b32_e64 v1, v1, 0, s5
	s_delay_alu instid0(VALU_DEP_1) | instskip(NEXT) | instid1(VALU_DEP_1)
	v_add_nc_u32_e32 v1, v1, v64
	v_mov_b32_dpp v2, v1 row_shr:2 row_mask:0xf bank_mask:0xf
	s_delay_alu instid0(VALU_DEP_1) | instskip(NEXT) | instid1(VALU_DEP_1)
	v_cndmask_b32_e64 v2, 0, v2, s4
	v_add_nc_u32_e32 v1, v1, v2
	s_delay_alu instid0(VALU_DEP_1) | instskip(NEXT) | instid1(VALU_DEP_1)
	v_mov_b32_dpp v2, v1 row_shr:4 row_mask:0xf bank_mask:0xf
	v_cndmask_b32_e64 v2, 0, v2, s3
	s_delay_alu instid0(VALU_DEP_1) | instskip(NEXT) | instid1(VALU_DEP_1)
	v_add_nc_u32_e32 v1, v1, v2
	v_mov_b32_dpp v2, v1 row_shr:8 row_mask:0xf bank_mask:0xf
	s_delay_alu instid0(VALU_DEP_1) | instskip(NEXT) | instid1(VALU_DEP_1)
	v_cndmask_b32_e64 v2, 0, v2, s2
	v_add_nc_u32_e32 v1, v1, v2
	ds_swizzle_b32 v2, v1 offset:swizzle(BROADCAST,32,15)
	s_wait_dscnt 0x0
	v_cndmask_b32_e64 v2, v2, 0, s1
	s_delay_alu instid0(VALU_DEP_1)
	v_add_nc_u32_e32 v1, v1, v2
	s_and_saveexec_b32 s6, s0
; %bb.36:
	v_lshlrev_b32_e32 v2, 2, v63
	ds_store_b32 v2, v1
; %bb.37:
	s_wait_alu 0xfffe
	s_or_b32 exec_lo, exec_lo, s6
	s_delay_alu instid0(SALU_CYCLE_1)
	s_mov_b32 s6, exec_lo
	s_wait_loadcnt_dscnt 0x0
	s_barrier_signal -1
	s_barrier_wait -1
	global_inv scope:SCOPE_SE
	v_cmpx_gt_u32_e32 8, v0
	s_cbranch_execz .LBB1298_39
; %bb.38:
	ds_load_b32 v2, v42
	s_wait_dscnt 0x0
	v_mov_b32_dpp v4, v2 row_shr:1 row_mask:0xf bank_mask:0xf
	v_and_b32_e32 v3, 7, v62
	s_delay_alu instid0(VALU_DEP_1) | instskip(SKIP_1) | instid1(VALU_DEP_3)
	v_cmp_ne_u32_e32 vcc_lo, 0, v3
	s_wait_alu 0xfffd
	v_cndmask_b32_e32 v4, 0, v4, vcc_lo
	v_cmp_lt_u32_e32 vcc_lo, 1, v3
	s_delay_alu instid0(VALU_DEP_2) | instskip(NEXT) | instid1(VALU_DEP_1)
	v_add_nc_u32_e32 v2, v4, v2
	v_mov_b32_dpp v4, v2 row_shr:2 row_mask:0xf bank_mask:0xf
	s_wait_alu 0xfffd
	s_delay_alu instid0(VALU_DEP_1) | instskip(SKIP_1) | instid1(VALU_DEP_2)
	v_cndmask_b32_e32 v4, 0, v4, vcc_lo
	v_cmp_lt_u32_e32 vcc_lo, 3, v3
	v_add_nc_u32_e32 v2, v2, v4
	s_delay_alu instid0(VALU_DEP_1) | instskip(SKIP_1) | instid1(VALU_DEP_1)
	v_mov_b32_dpp v4, v2 row_shr:4 row_mask:0xf bank_mask:0xf
	s_wait_alu 0xfffd
	v_cndmask_b32_e32 v3, 0, v4, vcc_lo
	s_delay_alu instid0(VALU_DEP_1)
	v_add_nc_u32_e32 v2, v2, v3
	ds_store_b32 v42, v2
.LBB1298_39:
	s_wait_alu 0xfffe
	s_or_b32 exec_lo, exec_lo, s6
	s_delay_alu instid0(SALU_CYCLE_1)
	s_mov_b32 s7, exec_lo
	v_cmp_gt_u32_e32 vcc_lo, 32, v0
	s_wait_loadcnt_dscnt 0x0
	s_barrier_signal -1
	s_barrier_wait -1
	global_inv scope:SCOPE_SE
                                        ; implicit-def: $vgpr9
	v_cmpx_lt_u32_e32 31, v0
	s_cbranch_execz .LBB1298_41
; %bb.40:
	v_lshl_add_u32 v2, v63, 2, -4
	ds_load_b32 v9, v2
	s_wait_dscnt 0x0
	v_add_nc_u32_e32 v1, v9, v1
.LBB1298_41:
	s_wait_alu 0xfffe
	s_or_b32 exec_lo, exec_lo, s7
	v_sub_co_u32 v2, s6, v62, 1
	s_delay_alu instid0(VALU_DEP_1) | instskip(SKIP_1) | instid1(VALU_DEP_1)
	v_cmp_gt_i32_e64 s7, 0, v2
	s_wait_alu 0xf1ff
	v_cndmask_b32_e64 v2, v2, v62, s7
	s_delay_alu instid0(VALU_DEP_1)
	v_lshlrev_b32_e32 v2, 2, v2
	ds_bpermute_b32 v10, v2, v1
	s_and_saveexec_b32 s7, vcc_lo
	s_cbranch_execz .LBB1298_60
; %bb.42:
	v_mov_b32_e32 v5, 0
	ds_load_b32 v1, v5 offset:28
	s_and_saveexec_b32 s17, s6
	s_cbranch_execz .LBB1298_44
; %bb.43:
	s_add_co_i32 s24, ttmp9, 32
	s_mov_b32 s25, 0
	v_mov_b32_e32 v2, 1
	s_lshl_b64 s[24:25], s[24:25], 3
	s_wait_kmcnt 0x0
	s_add_nc_u64 s[24:25], s[20:21], s[24:25]
	s_wait_dscnt 0x0
	global_store_b64 v5, v[1:2], s[24:25] scope:SCOPE_DEV
.LBB1298_44:
	s_or_b32 exec_lo, exec_lo, s17
	v_xad_u32 v3, v62, -1, ttmp9
	s_mov_b32 s24, 0
	s_mov_b32 s17, exec_lo
	s_delay_alu instid0(VALU_DEP_1) | instskip(NEXT) | instid1(VALU_DEP_1)
	v_add_nc_u32_e32 v4, 32, v3
	v_lshlrev_b64_e32 v[4:5], 3, v[4:5]
	s_wait_kmcnt 0x0
	s_delay_alu instid0(VALU_DEP_1) | instskip(SKIP_1) | instid1(VALU_DEP_2)
	v_add_co_u32 v7, vcc_lo, s20, v4
	s_wait_alu 0xfffd
	v_add_co_ci_u32_e64 v8, null, s21, v5, vcc_lo
	global_load_b64 v[5:6], v[7:8], off scope:SCOPE_DEV
	s_wait_loadcnt 0x0
	v_and_b32_e32 v2, 0xff, v6
	s_delay_alu instid0(VALU_DEP_1)
	v_cmpx_eq_u16_e32 0, v2
	s_cbranch_execz .LBB1298_47
.LBB1298_45:                            ; =>This Inner Loop Header: Depth=1
	global_load_b64 v[5:6], v[7:8], off scope:SCOPE_DEV
	s_wait_loadcnt 0x0
	v_and_b32_e32 v2, 0xff, v6
	s_delay_alu instid0(VALU_DEP_1) | instskip(SKIP_1) | instid1(SALU_CYCLE_1)
	v_cmp_ne_u16_e32 vcc_lo, 0, v2
	s_or_b32 s24, vcc_lo, s24
	s_and_not1_b32 exec_lo, exec_lo, s24
	s_cbranch_execnz .LBB1298_45
; %bb.46:
	s_or_b32 exec_lo, exec_lo, s24
.LBB1298_47:
	s_delay_alu instid0(SALU_CYCLE_1)
	s_or_b32 exec_lo, exec_lo, s17
	v_cmp_ne_u32_e32 vcc_lo, 31, v62
	v_lshlrev_b32_e64 v12, v62, -1
	v_add_nc_u32_e32 v14, 2, v62
	v_add_nc_u32_e32 v16, 4, v62
	;; [unrolled: 1-line block ×3, first 2 shown]
	s_wait_alu 0xfffd
	v_add_co_ci_u32_e64 v2, null, 0, v62, vcc_lo
	v_lshl_or_b32 v66, v62, 2, 64
	v_add_nc_u32_e32 v67, 16, v62
	s_delay_alu instid0(VALU_DEP_3)
	v_lshlrev_b32_e32 v11, 2, v2
	v_and_b32_e32 v2, 0xff, v6
	ds_bpermute_b32 v4, v11, v5
	v_cmp_eq_u16_e32 vcc_lo, 2, v2
	s_wait_alu 0xfffd
	v_and_or_b32 v2, vcc_lo, v12, 0x80000000
	v_cmp_gt_u32_e32 vcc_lo, 30, v62
	s_delay_alu instid0(VALU_DEP_2) | instskip(SKIP_2) | instid1(VALU_DEP_2)
	v_ctz_i32_b32_e32 v2, v2
	s_wait_alu 0xfffd
	v_cndmask_b32_e64 v7, 0, 2, vcc_lo
	v_cmp_lt_u32_e32 vcc_lo, v62, v2
	s_delay_alu instid0(VALU_DEP_2) | instskip(SKIP_4) | instid1(VALU_DEP_2)
	v_add_lshl_u32 v13, v7, v62, 2
	s_wait_dscnt 0x0
	s_wait_alu 0xfffd
	v_cndmask_b32_e32 v4, 0, v4, vcc_lo
	v_cmp_gt_u32_e32 vcc_lo, 28, v62
	v_add_nc_u32_e32 v4, v4, v5
	s_wait_alu 0xfffd
	v_cndmask_b32_e64 v7, 0, 4, vcc_lo
	v_cmp_le_u32_e32 vcc_lo, v14, v2
	ds_bpermute_b32 v5, v13, v4
	v_add_lshl_u32 v15, v7, v62, 2
	s_wait_dscnt 0x0
	s_wait_alu 0xfffd
	v_cndmask_b32_e32 v5, 0, v5, vcc_lo
	v_cmp_gt_u32_e32 vcc_lo, 24, v62
	s_delay_alu instid0(VALU_DEP_2)
	v_add_nc_u32_e32 v4, v4, v5
	s_wait_alu 0xfffd
	v_cndmask_b32_e64 v7, 0, 8, vcc_lo
	v_cmp_le_u32_e32 vcc_lo, v16, v2
	ds_bpermute_b32 v5, v15, v4
	v_add_lshl_u32 v17, v7, v62, 2
	s_wait_dscnt 0x0
	s_wait_alu 0xfffd
	v_cndmask_b32_e32 v5, 0, v5, vcc_lo
	v_cmp_le_u32_e32 vcc_lo, v65, v2
	s_delay_alu instid0(VALU_DEP_2)
	v_add_nc_u32_e32 v4, v4, v5
	ds_bpermute_b32 v5, v17, v4
	s_wait_dscnt 0x0
	s_wait_alu 0xfffd
	v_cndmask_b32_e32 v5, 0, v5, vcc_lo
	v_cmp_le_u32_e32 vcc_lo, v67, v2
	s_delay_alu instid0(VALU_DEP_2) | instskip(SKIP_4) | instid1(VALU_DEP_1)
	v_add_nc_u32_e32 v4, v4, v5
	ds_bpermute_b32 v5, v66, v4
	s_wait_dscnt 0x0
	s_wait_alu 0xfffd
	v_cndmask_b32_e32 v2, 0, v5, vcc_lo
	v_dual_mov_b32 v4, 0 :: v_dual_add_nc_u32 v5, v4, v2
	s_branch .LBB1298_51
.LBB1298_48:                            ;   in Loop: Header=BB1298_51 Depth=1
	s_or_b32 exec_lo, exec_lo, s24
.LBB1298_49:                            ;   in Loop: Header=BB1298_51 Depth=1
	s_delay_alu instid0(SALU_CYCLE_1) | instskip(SKIP_4) | instid1(VALU_DEP_2)
	s_or_b32 exec_lo, exec_lo, s17
	ds_bpermute_b32 v8, v11, v5
	v_and_b32_e32 v7, 0xff, v6
	v_subrev_nc_u32_e32 v3, 32, v3
	s_mov_b32 s17, 0
	v_cmp_eq_u16_e32 vcc_lo, 2, v7
	s_wait_alu 0xfffd
	v_and_or_b32 v7, vcc_lo, v12, 0x80000000
	s_delay_alu instid0(VALU_DEP_1) | instskip(NEXT) | instid1(VALU_DEP_1)
	v_ctz_i32_b32_e32 v7, v7
	v_cmp_lt_u32_e32 vcc_lo, v62, v7
	s_wait_dscnt 0x0
	s_wait_alu 0xfffd
	v_cndmask_b32_e32 v8, 0, v8, vcc_lo
	v_cmp_le_u32_e32 vcc_lo, v14, v7
	s_delay_alu instid0(VALU_DEP_2)
	v_add_nc_u32_e32 v5, v8, v5
	ds_bpermute_b32 v8, v13, v5
	s_wait_dscnt 0x0
	s_wait_alu 0xfffd
	v_cndmask_b32_e32 v8, 0, v8, vcc_lo
	v_cmp_le_u32_e32 vcc_lo, v16, v7
	s_delay_alu instid0(VALU_DEP_2)
	v_add_nc_u32_e32 v5, v5, v8
	ds_bpermute_b32 v8, v15, v5
	;; [unrolled: 7-line block ×3, first 2 shown]
	s_wait_dscnt 0x0
	s_wait_alu 0xfffd
	v_cndmask_b32_e32 v8, 0, v8, vcc_lo
	v_cmp_le_u32_e32 vcc_lo, v67, v7
	s_delay_alu instid0(VALU_DEP_2) | instskip(SKIP_4) | instid1(VALU_DEP_1)
	v_add_nc_u32_e32 v5, v5, v8
	ds_bpermute_b32 v8, v66, v5
	s_wait_dscnt 0x0
	s_wait_alu 0xfffd
	v_cndmask_b32_e32 v7, 0, v8, vcc_lo
	v_add3_u32 v5, v7, v2, v5
.LBB1298_50:                            ;   in Loop: Header=BB1298_51 Depth=1
	s_and_b32 vcc_lo, exec_lo, s17
	s_wait_alu 0xfffe
	s_cbranch_vccnz .LBB1298_56
.LBB1298_51:                            ; =>This Loop Header: Depth=1
                                        ;     Child Loop BB1298_54 Depth 2
	v_and_b32_e32 v2, 0xff, v6
	s_mov_b32 s17, -1
                                        ; implicit-def: $vgpr6
	s_delay_alu instid0(VALU_DEP_1)
	v_cmp_ne_u16_e32 vcc_lo, 2, v2
	v_mov_b32_e32 v2, v5
                                        ; implicit-def: $vgpr5
	s_cmp_lg_u32 vcc_lo, exec_lo
	s_cbranch_scc1 .LBB1298_50
; %bb.52:                               ;   in Loop: Header=BB1298_51 Depth=1
	v_lshlrev_b64_e32 v[5:6], 3, v[3:4]
	s_mov_b32 s17, exec_lo
	s_delay_alu instid0(VALU_DEP_1) | instskip(SKIP_1) | instid1(VALU_DEP_2)
	v_add_co_u32 v7, vcc_lo, s20, v5
	s_wait_alu 0xfffd
	v_add_co_ci_u32_e64 v8, null, s21, v6, vcc_lo
	global_load_b64 v[5:6], v[7:8], off scope:SCOPE_DEV
	s_wait_loadcnt 0x0
	v_and_b32_e32 v68, 0xff, v6
	s_delay_alu instid0(VALU_DEP_1)
	v_cmpx_eq_u16_e32 0, v68
	s_cbranch_execz .LBB1298_49
; %bb.53:                               ;   in Loop: Header=BB1298_51 Depth=1
	s_mov_b32 s24, 0
.LBB1298_54:                            ;   Parent Loop BB1298_51 Depth=1
                                        ; =>  This Inner Loop Header: Depth=2
	global_load_b64 v[5:6], v[7:8], off scope:SCOPE_DEV
	s_wait_loadcnt 0x0
	v_and_b32_e32 v68, 0xff, v6
	s_delay_alu instid0(VALU_DEP_1) | instskip(SKIP_1) | instid1(SALU_CYCLE_1)
	v_cmp_ne_u16_e32 vcc_lo, 0, v68
	s_or_b32 s24, vcc_lo, s24
	s_and_not1_b32 exec_lo, exec_lo, s24
	s_cbranch_execnz .LBB1298_54
	s_branch .LBB1298_48
.LBB1298_55:
                                        ; implicit-def: $vgpr17
                                        ; implicit-def: $vgpr1_vgpr2_vgpr3_vgpr4_vgpr5_vgpr6_vgpr7_vgpr8_vgpr9_vgpr10_vgpr11_vgpr12_vgpr13_vgpr14_vgpr15_vgpr16
	s_wait_alu 0xfffe
	s_and_b32 vcc_lo, exec_lo, s6
	s_wait_alu 0xfffe
	s_cbranch_vccnz .LBB1298_61
	s_branch .LBB1298_70
.LBB1298_56:
	s_and_saveexec_b32 s17, s6
	s_cbranch_execz .LBB1298_58
; %bb.57:
	s_add_co_i32 s24, ttmp9, 32
	s_mov_b32 s25, 0
	v_dual_mov_b32 v4, 2 :: v_dual_add_nc_u32 v3, v2, v1
	v_mov_b32_e32 v5, 0
	s_lshl_b64 s[24:25], s[24:25], 3
	s_delay_alu instid0(SALU_CYCLE_1)
	s_add_nc_u64 s[24:25], s[20:21], s[24:25]
	global_store_b64 v5, v[3:4], s[24:25] scope:SCOPE_DEV
	ds_store_b64 v5, v[1:2] offset:13312
.LBB1298_58:
	s_or_b32 exec_lo, exec_lo, s17
	v_cmp_eq_u32_e32 vcc_lo, 0, v0
	s_and_b32 exec_lo, exec_lo, vcc_lo
; %bb.59:
	v_mov_b32_e32 v1, 0
	ds_store_b32 v1, v2 offset:28
.LBB1298_60:
	s_wait_alu 0xfffe
	s_or_b32 exec_lo, exec_lo, s7
	s_wait_dscnt 0x0
	v_cndmask_b32_e64 v2, v10, v9, s6
	v_cmp_ne_u32_e32 vcc_lo, 0, v0
	v_mov_b32_e32 v11, 0
	s_wait_loadcnt 0x0
	s_wait_storecnt 0x0
	s_barrier_signal -1
	s_barrier_wait -1
	global_inv scope:SCOPE_SE
	s_wait_alu 0xfffd
	v_cndmask_b32_e32 v2, 0, v2, vcc_lo
	ds_load_b32 v1, v11 offset:28
	s_wait_loadcnt_dscnt 0x0
	s_barrier_signal -1
	s_barrier_wait -1
	global_inv scope:SCOPE_SE
	ds_load_b64 v[16:17], v11 offset:13312
	v_add_nc_u32_e32 v1, v1, v2
	s_delay_alu instid0(VALU_DEP_1) | instskip(NEXT) | instid1(VALU_DEP_1)
	v_add_nc_u32_e32 v2, v1, v53
	v_add_nc_u32_e32 v3, v2, v54
	s_delay_alu instid0(VALU_DEP_1) | instskip(NEXT) | instid1(VALU_DEP_1)
	v_add_nc_u32_e32 v4, v3, v55
	;; [unrolled: 3-line block ×6, first 2 shown]
	v_add_nc_u32_e32 v13, v12, v48
	s_branch .LBB1298_70
.LBB1298_61:
	v_mov_b32_dpp v1, v64 row_shr:1 row_mask:0xf bank_mask:0xf
	s_delay_alu instid0(VALU_DEP_1) | instskip(NEXT) | instid1(VALU_DEP_1)
	v_cndmask_b32_e64 v1, v1, 0, s5
	v_add_nc_u32_e32 v1, v1, v64
	s_delay_alu instid0(VALU_DEP_1) | instskip(NEXT) | instid1(VALU_DEP_1)
	v_mov_b32_dpp v2, v1 row_shr:2 row_mask:0xf bank_mask:0xf
	v_cndmask_b32_e64 v2, 0, v2, s4
	s_delay_alu instid0(VALU_DEP_1) | instskip(NEXT) | instid1(VALU_DEP_1)
	v_add_nc_u32_e32 v1, v1, v2
	v_mov_b32_dpp v2, v1 row_shr:4 row_mask:0xf bank_mask:0xf
	s_delay_alu instid0(VALU_DEP_1) | instskip(NEXT) | instid1(VALU_DEP_1)
	v_cndmask_b32_e64 v2, 0, v2, s3
	v_add_nc_u32_e32 v1, v1, v2
	s_delay_alu instid0(VALU_DEP_1) | instskip(NEXT) | instid1(VALU_DEP_1)
	v_mov_b32_dpp v2, v1 row_shr:8 row_mask:0xf bank_mask:0xf
	v_cndmask_b32_e64 v2, 0, v2, s2
	s_delay_alu instid0(VALU_DEP_1) | instskip(SKIP_3) | instid1(VALU_DEP_1)
	v_add_nc_u32_e32 v1, v1, v2
	ds_swizzle_b32 v2, v1 offset:swizzle(BROADCAST,32,15)
	s_wait_dscnt 0x0
	v_cndmask_b32_e64 v2, v2, 0, s1
	v_add_nc_u32_e32 v1, v1, v2
	s_and_saveexec_b32 s1, s0
; %bb.62:
	v_lshlrev_b32_e32 v2, 2, v63
	ds_store_b32 v2, v1
; %bb.63:
	s_wait_alu 0xfffe
	s_or_b32 exec_lo, exec_lo, s1
	s_delay_alu instid0(SALU_CYCLE_1)
	s_mov_b32 s0, exec_lo
	s_wait_loadcnt_dscnt 0x0
	s_barrier_signal -1
	s_barrier_wait -1
	global_inv scope:SCOPE_SE
	v_cmpx_gt_u32_e32 8, v0
	s_cbranch_execz .LBB1298_65
; %bb.64:
	ds_load_b32 v2, v42
	s_wait_dscnt 0x0
	v_mov_b32_dpp v4, v2 row_shr:1 row_mask:0xf bank_mask:0xf
	v_and_b32_e32 v3, 7, v62
	s_delay_alu instid0(VALU_DEP_1) | instskip(SKIP_1) | instid1(VALU_DEP_3)
	v_cmp_ne_u32_e32 vcc_lo, 0, v3
	s_wait_alu 0xfffd
	v_cndmask_b32_e32 v4, 0, v4, vcc_lo
	v_cmp_lt_u32_e32 vcc_lo, 1, v3
	s_delay_alu instid0(VALU_DEP_2) | instskip(NEXT) | instid1(VALU_DEP_1)
	v_add_nc_u32_e32 v2, v4, v2
	v_mov_b32_dpp v4, v2 row_shr:2 row_mask:0xf bank_mask:0xf
	s_wait_alu 0xfffd
	s_delay_alu instid0(VALU_DEP_1) | instskip(SKIP_1) | instid1(VALU_DEP_2)
	v_cndmask_b32_e32 v4, 0, v4, vcc_lo
	v_cmp_lt_u32_e32 vcc_lo, 3, v3
	v_add_nc_u32_e32 v2, v2, v4
	s_delay_alu instid0(VALU_DEP_1) | instskip(SKIP_1) | instid1(VALU_DEP_1)
	v_mov_b32_dpp v4, v2 row_shr:4 row_mask:0xf bank_mask:0xf
	s_wait_alu 0xfffd
	v_cndmask_b32_e32 v3, 0, v4, vcc_lo
	s_delay_alu instid0(VALU_DEP_1)
	v_add_nc_u32_e32 v2, v2, v3
	ds_store_b32 v42, v2
.LBB1298_65:
	s_wait_alu 0xfffe
	s_or_b32 exec_lo, exec_lo, s0
	v_dual_mov_b32 v3, 0 :: v_dual_mov_b32 v2, 0
	s_mov_b32 s0, exec_lo
	s_wait_loadcnt_dscnt 0x0
	s_barrier_signal -1
	s_barrier_wait -1
	global_inv scope:SCOPE_SE
	v_cmpx_lt_u32_e32 31, v0
; %bb.66:
	v_lshl_add_u32 v2, v63, 2, -4
	ds_load_b32 v2, v2
; %bb.67:
	s_wait_alu 0xfffe
	s_or_b32 exec_lo, exec_lo, s0
	v_sub_co_u32 v4, vcc_lo, v62, 1
	s_wait_dscnt 0x0
	v_add_nc_u32_e32 v1, v2, v1
	ds_load_b32 v16, v3 offset:28
	v_cmp_gt_i32_e64 s0, 0, v4
	s_wait_alu 0xf1ff
	s_delay_alu instid0(VALU_DEP_1) | instskip(SKIP_1) | instid1(VALU_DEP_2)
	v_cndmask_b32_e64 v4, v4, v62, s0
	v_cmp_eq_u32_e64 s0, 0, v0
	v_lshlrev_b32_e32 v4, 2, v4
	ds_bpermute_b32 v1, v4, v1
	s_and_saveexec_b32 s1, s0
	s_cbranch_execz .LBB1298_69
; %bb.68:
	v_mov_b32_e32 v3, 0
	v_mov_b32_e32 v17, 2
	s_wait_dscnt 0x1
	s_wait_kmcnt 0x0
	global_store_b64 v3, v[16:17], s[20:21] offset:256 scope:SCOPE_DEV
.LBB1298_69:
	s_wait_alu 0xfffe
	s_or_b32 exec_lo, exec_lo, s1
	s_wait_dscnt 0x0
	s_wait_alu 0xfffd
	v_cndmask_b32_e32 v1, v1, v2, vcc_lo
	s_wait_loadcnt 0x0
	s_wait_storecnt 0x0
	s_barrier_signal -1
	s_barrier_wait -1
	global_inv scope:SCOPE_SE
	v_cndmask_b32_e64 v1, v1, 0, s0
	s_delay_alu instid0(VALU_DEP_1) | instskip(NEXT) | instid1(VALU_DEP_1)
	v_dual_mov_b32 v17, 0 :: v_dual_add_nc_u32 v2, v1, v53
	v_add_nc_u32_e32 v3, v2, v54
	s_delay_alu instid0(VALU_DEP_1) | instskip(NEXT) | instid1(VALU_DEP_1)
	v_add_nc_u32_e32 v4, v3, v55
	v_add_nc_u32_e32 v5, v4, v52
	s_delay_alu instid0(VALU_DEP_1) | instskip(NEXT) | instid1(VALU_DEP_1)
	v_add_nc_u32_e32 v6, v5, v56
	;; [unrolled: 3-line block ×5, first 2 shown]
	v_add_nc_u32_e32 v13, v12, v48
.LBB1298_70:
	v_lshrrev_b32_e32 v56, 8, v51
	v_lshrrev_b32_e32 v55, 16, v51
	s_wait_dscnt 0x0
	v_sub_nc_u32_e32 v1, v1, v17
	v_and_b32_e32 v51, 1, v51
	v_sub_nc_u32_e32 v3, v3, v17
	v_add_nc_u32_e32 v45, v16, v45
	v_sub_nc_u32_e32 v2, v2, v17
	v_sub_nc_u32_e32 v4, v4, v17
	v_cmp_eq_u32_e32 vcc_lo, 1, v51
	v_and_b32_e32 v51, 1, v55
	v_sub_nc_u32_e32 v57, v45, v1
	v_and_b32_e32 v56, 1, v56
	v_sub_nc_u32_e32 v55, v45, v2
	v_lshrrev_b32_e32 v54, 8, v49
	v_lshrrev_b32_e32 v53, 16, v49
	s_wait_alu 0xfffd
	v_cndmask_b32_e32 v1, v57, v1, vcc_lo
	v_sub_nc_u32_e32 v57, v45, v3
	v_add_nc_u32_e32 v55, 1, v55
	v_cmp_eq_u32_e32 vcc_lo, 1, v56
	v_and_b32_e32 v52, 1, v52
	v_lshlrev_b32_e32 v1, 2, v1
	v_add_nc_u32_e32 v57, 2, v57
	v_lshrrev_b32_e32 v15, 8, v47
	v_lshrrev_b32_e32 v14, 16, v47
	ds_store_b32 v1, v28
	s_wait_alu 0xfffd
	v_cndmask_b32_e32 v1, v55, v2, vcc_lo
	v_cmp_eq_u32_e32 vcc_lo, 1, v51
	s_wait_alu 0xfffd
	s_delay_alu instid0(VALU_DEP_2)
	v_dual_cndmask_b32 v2, v57, v3 :: v_dual_lshlrev_b32 v1, 2, v1
	v_sub_nc_u32_e32 v58, v45, v4
	v_cmp_eq_u32_e32 vcc_lo, 1, v52
	ds_store_b32 v1, v29
	v_lshlrev_b32_e32 v2, 2, v2
	v_add_nc_u32_e32 v58, 3, v58
	s_wait_alu 0xfffd
	s_delay_alu instid0(VALU_DEP_1) | instskip(SKIP_2) | instid1(VALU_DEP_3)
	v_cndmask_b32_e32 v3, v58, v4, vcc_lo
	v_sub_nc_u32_e32 v4, v5, v17
	v_sub_nc_u32_e32 v5, v6, v17
	v_lshlrev_b32_e32 v3, 2, v3
	s_delay_alu instid0(VALU_DEP_3) | instskip(NEXT) | instid1(VALU_DEP_3)
	v_sub_nc_u32_e32 v1, v45, v4
	v_sub_nc_u32_e32 v6, v45, v5
	ds_store_b32 v2, v26
	ds_store_b32 v3, v27
	v_and_b32_e32 v2, 1, v49
	v_add_nc_u32_e32 v1, 4, v1
	v_add_nc_u32_e32 v3, 5, v6
	v_sub_nc_u32_e32 v6, v7, v17
	v_and_b32_e32 v7, 1, v54
	v_cmp_eq_u32_e32 vcc_lo, 1, v2
	v_sub_nc_u32_e32 v2, v8, v17
	s_wait_alu 0xfffd
	v_dual_cndmask_b32 v1, v1, v4 :: v_dual_and_b32 v8, 1, v50
	v_sub_nc_u32_e32 v4, v45, v6
	v_cmp_eq_u32_e32 vcc_lo, 1, v7
	v_and_b32_e32 v7, 1, v53
	s_delay_alu instid0(VALU_DEP_4)
	v_lshlrev_b32_e32 v1, 2, v1
	s_wait_alu 0xfffd
	v_dual_cndmask_b32 v3, v3, v5 :: v_dual_add_nc_u32 v4, 6, v4
	v_sub_nc_u32_e32 v5, v45, v2
	v_cmp_eq_u32_e32 vcc_lo, 1, v7
	v_sub_nc_u32_e32 v7, v13, v17
	s_delay_alu instid0(VALU_DEP_4)
	v_lshlrev_b32_e32 v3, 2, v3
	s_wait_alu 0xfffd
	v_dual_cndmask_b32 v4, v4, v6 :: v_dual_add_nc_u32 v5, 7, v5
	v_cmp_eq_u32_e32 vcc_lo, 1, v8
	v_sub_nc_u32_e32 v6, v9, v17
	ds_store_b32 v1, v24
	ds_store_b32 v3, v25
	s_wait_alu 0xfffd
	v_dual_cndmask_b32 v2, v5, v2 :: v_dual_lshlrev_b32 v3, 2, v4
	v_and_b32_e32 v5, 1, v47
	v_sub_nc_u32_e32 v1, v45, v6
	v_sub_nc_u32_e32 v4, v10, v17
	v_and_b32_e32 v10, 1, v48
	s_delay_alu instid0(VALU_DEP_4) | instskip(SKIP_2) | instid1(VALU_DEP_2)
	v_cmp_eq_u32_e32 vcc_lo, 1, v5
	v_sub_nc_u32_e32 v5, v12, v17
	v_add_nc_u32_e32 v1, 8, v1
	v_sub_nc_u32_e32 v9, v45, v5
	s_wait_alu 0xfffd
	s_delay_alu instid0(VALU_DEP_2)
	v_dual_cndmask_b32 v1, v1, v6 :: v_dual_and_b32 v6, 1, v15
	s_wait_kmcnt 0x0
	v_add_co_u32 v15, s0, s18, v17
	v_add_nc_u32_e32 v9, 11, v9
	v_lshlrev_b32_e32 v2, 2, v2
	ds_store_b32 v3, v22
	ds_store_b32 v2, v23
	v_sub_nc_u32_e32 v3, v11, v17
	v_sub_nc_u32_e32 v2, v45, v4
	v_cmp_eq_u32_e32 vcc_lo, 1, v6
	v_and_b32_e32 v11, 1, v46
	v_lshlrev_b32_e32 v1, 2, v1
	v_sub_nc_u32_e32 v8, v45, v3
	v_add_nc_u32_e32 v2, 9, v2
	s_wait_alu 0xf1ff
	v_add_co_ci_u32_e64 v17, null, s19, 0, s0
	s_delay_alu instid0(VALU_DEP_3) | instskip(SKIP_4) | instid1(VALU_DEP_3)
	v_add_nc_u32_e32 v6, 10, v8
	v_and_b32_e32 v8, 1, v14
	s_wait_alu 0xfffd
	v_cndmask_b32_e32 v2, v2, v4, vcc_lo
	v_sub_nc_u32_e32 v4, v45, v7
	v_cmp_eq_u32_e32 vcc_lo, 1, v8
	s_delay_alu instid0(VALU_DEP_3) | instskip(SKIP_1) | instid1(VALU_DEP_3)
	v_lshlrev_b32_e32 v2, 2, v2
	s_wait_alu 0xfffd
	v_dual_cndmask_b32 v3, v6, v3 :: v_dual_add_nc_u32 v4, 12, v4
	v_cmp_eq_u32_e32 vcc_lo, 1, v10
	s_delay_alu instid0(VALU_DEP_2) | instskip(SKIP_4) | instid1(VALU_DEP_2)
	v_lshlrev_b32_e32 v3, 2, v3
	s_wait_alu 0xfffd
	v_cndmask_b32_e32 v5, v9, v5, vcc_lo
	v_cmp_eq_u32_e32 vcc_lo, 1, v11
	s_wait_alu 0xfffd
	v_dual_cndmask_b32 v4, v4, v7 :: v_dual_lshlrev_b32 v5, 2, v5
	v_cmp_ne_u32_e32 vcc_lo, 1, v43
	s_delay_alu instid0(VALU_DEP_2)
	v_lshlrev_b32_e32 v4, 2, v4
	ds_store_b32 v1, v20
	ds_store_b32 v2, v21
	;; [unrolled: 1-line block ×5, first 2 shown]
	s_wait_loadcnt_dscnt 0x0
	s_barrier_signal -1
	s_barrier_wait -1
	global_inv scope:SCOPE_SE
	ds_load_2addr_stride64_b32 v[11:12], v42 offset1:4
	ds_load_2addr_stride64_b32 v[9:10], v42 offset0:8 offset1:12
	ds_load_2addr_stride64_b32 v[7:8], v42 offset0:16 offset1:20
	;; [unrolled: 1-line block ×5, first 2 shown]
	ds_load_b32 v18, v42 offset:12288
	s_cbranch_vccnz .LBB1298_124
; %bb.71:
	s_mov_b32 s17, 0
	v_sub_co_u32 v13, vcc_lo, v15, s12
	s_sub_nc_u64 s[0:1], s[14:15], s[16:17]
	s_wait_alu 0xfffd
	v_subrev_co_ci_u32_e64 v14, null, s13, v17, vcc_lo
	s_wait_alu 0xfffe
	v_add_co_u32 v19, s0, s0, v16
	s_wait_alu 0xf1ff
	v_add_co_ci_u32_e64 v20, null, s1, 0, s0
	s_mov_b32 s0, exec_lo
	v_add_co_u32 v19, vcc_lo, v19, v13
	s_wait_alu 0xfffd
	v_add_co_ci_u32_e64 v20, null, v20, v14, vcc_lo
                                        ; implicit-def: $vgpr13_vgpr14
	v_cmpx_ge_u32_e64 v0, v16
	s_wait_alu 0xfffe
	s_xor_b32 s0, exec_lo, s0
; %bb.72:
	v_not_b32_e32 v13, v0
	s_delay_alu instid0(VALU_DEP_1) | instskip(SKIP_2) | instid1(VALU_DEP_2)
	v_ashrrev_i32_e32 v14, 31, v13
	v_add_co_u32 v13, vcc_lo, v19, v13
	s_wait_alu 0xfffd
	v_add_co_ci_u32_e64 v14, null, v20, v14, vcc_lo
; %bb.73:
	s_wait_alu 0xfffe
	s_and_not1_saveexec_b32 s0, s0
; %bb.74:
	v_add_co_u32 v13, vcc_lo, v15, v0
	s_wait_alu 0xfffd
	v_add_co_ci_u32_e64 v14, null, 0, v17, vcc_lo
; %bb.75:
	s_wait_alu 0xfffe
	s_or_b32 exec_lo, exec_lo, s0
	s_delay_alu instid0(VALU_DEP_1) | instskip(SKIP_1) | instid1(VALU_DEP_1)
	v_lshlrev_b64_e32 v[13:14], 2, v[13:14]
	s_mov_b32 s0, exec_lo
	v_add_co_u32 v13, vcc_lo, s10, v13
	s_wait_alu 0xfffd
	s_delay_alu instid0(VALU_DEP_2)
	v_add_co_ci_u32_e64 v14, null, s11, v14, vcc_lo
	s_wait_dscnt 0x6
	global_store_b32 v[13:14], v11, off
                                        ; implicit-def: $vgpr13_vgpr14
	v_cmpx_ge_u32_e64 v41, v16
	s_wait_alu 0xfffe
	s_xor_b32 s0, exec_lo, s0
; %bb.76:
	v_xor_b32_e32 v13, 0xfffffeff, v0
	s_delay_alu instid0(VALU_DEP_1) | instskip(SKIP_2) | instid1(VALU_DEP_2)
	v_ashrrev_i32_e32 v14, 31, v13
	v_add_co_u32 v13, vcc_lo, v19, v13
	s_wait_alu 0xfffd
	v_add_co_ci_u32_e64 v14, null, v20, v14, vcc_lo
; %bb.77:
	s_wait_alu 0xfffe
	s_and_not1_saveexec_b32 s0, s0
; %bb.78:
	v_add_co_u32 v13, vcc_lo, v15, v41
	s_wait_alu 0xfffd
	v_add_co_ci_u32_e64 v14, null, 0, v17, vcc_lo
; %bb.79:
	s_wait_alu 0xfffe
	s_or_b32 exec_lo, exec_lo, s0
	s_delay_alu instid0(VALU_DEP_1) | instskip(SKIP_1) | instid1(VALU_DEP_1)
	v_lshlrev_b64_e32 v[13:14], 2, v[13:14]
	s_mov_b32 s0, exec_lo
	v_add_co_u32 v13, vcc_lo, s10, v13
	s_wait_alu 0xfffd
	s_delay_alu instid0(VALU_DEP_2)
	v_add_co_ci_u32_e64 v14, null, s11, v14, vcc_lo
	global_store_b32 v[13:14], v12, off
                                        ; implicit-def: $vgpr13_vgpr14
	v_cmpx_ge_u32_e64 v40, v16
	s_wait_alu 0xfffe
	s_xor_b32 s0, exec_lo, s0
; %bb.80:
	v_xor_b32_e32 v13, 0xfffffdff, v0
	s_delay_alu instid0(VALU_DEP_1) | instskip(SKIP_2) | instid1(VALU_DEP_2)
	v_ashrrev_i32_e32 v14, 31, v13
	v_add_co_u32 v13, vcc_lo, v19, v13
	s_wait_alu 0xfffd
	v_add_co_ci_u32_e64 v14, null, v20, v14, vcc_lo
; %bb.81:
	s_wait_alu 0xfffe
	s_and_not1_saveexec_b32 s0, s0
; %bb.82:
	v_add_co_u32 v13, vcc_lo, v15, v40
	s_wait_alu 0xfffd
	v_add_co_ci_u32_e64 v14, null, 0, v17, vcc_lo
; %bb.83:
	s_wait_alu 0xfffe
	s_or_b32 exec_lo, exec_lo, s0
	s_delay_alu instid0(VALU_DEP_1) | instskip(SKIP_1) | instid1(VALU_DEP_1)
	v_lshlrev_b64_e32 v[13:14], 2, v[13:14]
	s_mov_b32 s0, exec_lo
	v_add_co_u32 v13, vcc_lo, s10, v13
	s_wait_alu 0xfffd
	s_delay_alu instid0(VALU_DEP_2)
	v_add_co_ci_u32_e64 v14, null, s11, v14, vcc_lo
	s_wait_dscnt 0x5
	global_store_b32 v[13:14], v9, off
                                        ; implicit-def: $vgpr13_vgpr14
	v_cmpx_ge_u32_e64 v39, v16
	s_wait_alu 0xfffe
	s_xor_b32 s0, exec_lo, s0
; %bb.84:
	v_xor_b32_e32 v13, 0xfffffcff, v0
	s_delay_alu instid0(VALU_DEP_1) | instskip(SKIP_2) | instid1(VALU_DEP_2)
	v_ashrrev_i32_e32 v14, 31, v13
	v_add_co_u32 v13, vcc_lo, v19, v13
	s_wait_alu 0xfffd
	v_add_co_ci_u32_e64 v14, null, v20, v14, vcc_lo
; %bb.85:
	s_wait_alu 0xfffe
	s_and_not1_saveexec_b32 s0, s0
; %bb.86:
	v_add_co_u32 v13, vcc_lo, v15, v39
	s_wait_alu 0xfffd
	v_add_co_ci_u32_e64 v14, null, 0, v17, vcc_lo
; %bb.87:
	s_wait_alu 0xfffe
	s_or_b32 exec_lo, exec_lo, s0
	s_delay_alu instid0(VALU_DEP_1) | instskip(SKIP_1) | instid1(VALU_DEP_1)
	v_lshlrev_b64_e32 v[13:14], 2, v[13:14]
	s_mov_b32 s0, exec_lo
	v_add_co_u32 v13, vcc_lo, s10, v13
	s_wait_alu 0xfffd
	s_delay_alu instid0(VALU_DEP_2)
	v_add_co_ci_u32_e64 v14, null, s11, v14, vcc_lo
	global_store_b32 v[13:14], v10, off
                                        ; implicit-def: $vgpr13_vgpr14
	v_cmpx_ge_u32_e64 v38, v16
	s_wait_alu 0xfffe
	s_xor_b32 s0, exec_lo, s0
; %bb.88:
	v_xor_b32_e32 v13, 0xfffffbff, v0
	;; [unrolled: 59-line block ×6, first 2 shown]
	s_delay_alu instid0(VALU_DEP_1) | instskip(SKIP_2) | instid1(VALU_DEP_2)
	v_ashrrev_i32_e32 v14, 31, v13
	v_add_co_u32 v13, vcc_lo, v19, v13
	s_wait_alu 0xfffd
	v_add_co_ci_u32_e64 v14, null, v20, v14, vcc_lo
; %bb.121:
	s_wait_alu 0xfffe
	s_and_not1_saveexec_b32 s0, s0
; %bb.122:
	v_add_co_u32 v13, vcc_lo, v15, v30
	s_wait_alu 0xfffd
	v_add_co_ci_u32_e64 v14, null, 0, v17, vcc_lo
; %bb.123:
	s_wait_alu 0xfffe
	s_or_b32 exec_lo, exec_lo, s0
	s_mov_b32 s0, -1
	s_branch .LBB1298_204
.LBB1298_124:
	s_mov_b32 s0, 0
                                        ; implicit-def: $vgpr13_vgpr14
	s_cbranch_execz .LBB1298_204
; %bb.125:
	s_mov_b32 s17, 0
	s_delay_alu instid0(SALU_CYCLE_1)
	s_add_nc_u64 s[2:3], s[12:13], s[16:17]
	s_wait_alu 0xfffe
	s_sub_nc_u64 s[2:3], s[14:15], s[2:3]
	s_wait_alu 0xfffe
	v_add_co_u32 v13, s1, s2, v16
	s_wait_alu 0xf1ff
	v_add_co_ci_u32_e64 v14, null, s3, 0, s1
	s_mov_b32 s1, exec_lo
	v_add_co_u32 v19, vcc_lo, v13, v15
	s_wait_alu 0xfffd
	v_add_co_ci_u32_e64 v20, null, v14, v17, vcc_lo
	v_cmpx_gt_u32_e64 s23, v0
	s_cbranch_execz .LBB1298_161
; %bb.126:
	s_mov_b32 s2, exec_lo
                                        ; implicit-def: $vgpr13_vgpr14
	v_cmpx_ge_u32_e64 v0, v16
	s_wait_alu 0xfffe
	s_xor_b32 s2, exec_lo, s2
; %bb.127:
	v_not_b32_e32 v13, v0
	s_delay_alu instid0(VALU_DEP_1) | instskip(SKIP_2) | instid1(VALU_DEP_2)
	v_ashrrev_i32_e32 v14, 31, v13
	v_add_co_u32 v13, vcc_lo, v19, v13
	s_wait_alu 0xfffd
	v_add_co_ci_u32_e64 v14, null, v20, v14, vcc_lo
; %bb.128:
	s_wait_alu 0xfffe
	s_and_not1_saveexec_b32 s2, s2
; %bb.129:
	v_add_co_u32 v13, vcc_lo, v15, v0
	s_wait_alu 0xfffd
	v_add_co_ci_u32_e64 v14, null, 0, v17, vcc_lo
; %bb.130:
	s_wait_alu 0xfffe
	s_or_b32 exec_lo, exec_lo, s2
	s_delay_alu instid0(VALU_DEP_1) | instskip(NEXT) | instid1(VALU_DEP_1)
	v_lshlrev_b64_e32 v[13:14], 2, v[13:14]
	v_add_co_u32 v13, vcc_lo, s10, v13
	s_wait_alu 0xfffd
	s_delay_alu instid0(VALU_DEP_2) | instskip(SKIP_3) | instid1(SALU_CYCLE_1)
	v_add_co_ci_u32_e64 v14, null, s11, v14, vcc_lo
	s_wait_dscnt 0x6
	global_store_b32 v[13:14], v11, off
	s_or_b32 exec_lo, exec_lo, s1
	s_mov_b32 s1, exec_lo
	v_cmpx_gt_u32_e64 s23, v41
	s_cbranch_execnz .LBB1298_162
.LBB1298_131:
	s_wait_alu 0xfffe
	s_or_b32 exec_lo, exec_lo, s1
	s_delay_alu instid0(SALU_CYCLE_1)
	s_mov_b32 s1, exec_lo
	v_cmpx_gt_u32_e64 s23, v40
	s_cbranch_execz .LBB1298_167
.LBB1298_132:
	s_mov_b32 s2, exec_lo
                                        ; implicit-def: $vgpr11_vgpr12
	v_cmpx_ge_u32_e64 v40, v16
	s_wait_alu 0xfffe
	s_xor_b32 s2, exec_lo, s2
	s_cbranch_execz .LBB1298_134
; %bb.133:
	s_wait_dscnt 0x6
	v_xor_b32_e32 v11, 0xfffffdff, v0
                                        ; implicit-def: $vgpr40
	s_delay_alu instid0(VALU_DEP_1) | instskip(SKIP_2) | instid1(VALU_DEP_2)
	v_ashrrev_i32_e32 v12, 31, v11
	v_add_co_u32 v11, vcc_lo, v19, v11
	s_wait_alu 0xfffd
	v_add_co_ci_u32_e64 v12, null, v20, v12, vcc_lo
.LBB1298_134:
	s_wait_alu 0xfffe
	s_and_not1_saveexec_b32 s2, s2
	s_cbranch_execz .LBB1298_136
; %bb.135:
	s_wait_dscnt 0x6
	v_add_co_u32 v11, vcc_lo, v15, v40
	s_wait_alu 0xfffd
	v_add_co_ci_u32_e64 v12, null, 0, v17, vcc_lo
.LBB1298_136:
	s_wait_alu 0xfffe
	s_or_b32 exec_lo, exec_lo, s2
	s_wait_dscnt 0x6
	s_delay_alu instid0(VALU_DEP_1) | instskip(NEXT) | instid1(VALU_DEP_1)
	v_lshlrev_b64_e32 v[11:12], 2, v[11:12]
	v_add_co_u32 v11, vcc_lo, s10, v11
	s_wait_alu 0xfffd
	s_delay_alu instid0(VALU_DEP_2) | instskip(SKIP_3) | instid1(SALU_CYCLE_1)
	v_add_co_ci_u32_e64 v12, null, s11, v12, vcc_lo
	s_wait_dscnt 0x5
	global_store_b32 v[11:12], v9, off
	s_or_b32 exec_lo, exec_lo, s1
	s_mov_b32 s1, exec_lo
	v_cmpx_gt_u32_e64 s23, v39
	s_cbranch_execnz .LBB1298_168
.LBB1298_137:
	s_wait_alu 0xfffe
	s_or_b32 exec_lo, exec_lo, s1
	s_delay_alu instid0(SALU_CYCLE_1)
	s_mov_b32 s1, exec_lo
	v_cmpx_gt_u32_e64 s23, v38
	s_cbranch_execz .LBB1298_173
.LBB1298_138:
	s_mov_b32 s2, exec_lo
                                        ; implicit-def: $vgpr9_vgpr10
	v_cmpx_ge_u32_e64 v38, v16
	s_wait_alu 0xfffe
	s_xor_b32 s2, exec_lo, s2
	s_cbranch_execz .LBB1298_140
; %bb.139:
	s_wait_dscnt 0x5
	v_xor_b32_e32 v9, 0xfffffbff, v0
                                        ; implicit-def: $vgpr38
	s_delay_alu instid0(VALU_DEP_1) | instskip(SKIP_2) | instid1(VALU_DEP_2)
	v_ashrrev_i32_e32 v10, 31, v9
	v_add_co_u32 v9, vcc_lo, v19, v9
	s_wait_alu 0xfffd
	v_add_co_ci_u32_e64 v10, null, v20, v10, vcc_lo
.LBB1298_140:
	s_wait_alu 0xfffe
	s_and_not1_saveexec_b32 s2, s2
	s_cbranch_execz .LBB1298_142
; %bb.141:
	s_wait_dscnt 0x5
	v_add_co_u32 v9, vcc_lo, v15, v38
	s_wait_alu 0xfffd
	v_add_co_ci_u32_e64 v10, null, 0, v17, vcc_lo
.LBB1298_142:
	s_wait_alu 0xfffe
	s_or_b32 exec_lo, exec_lo, s2
	s_wait_dscnt 0x5
	s_delay_alu instid0(VALU_DEP_1) | instskip(NEXT) | instid1(VALU_DEP_1)
	v_lshlrev_b64_e32 v[9:10], 2, v[9:10]
	v_add_co_u32 v9, vcc_lo, s10, v9
	s_wait_alu 0xfffd
	s_delay_alu instid0(VALU_DEP_2) | instskip(SKIP_3) | instid1(SALU_CYCLE_1)
	v_add_co_ci_u32_e64 v10, null, s11, v10, vcc_lo
	s_wait_dscnt 0x4
	global_store_b32 v[9:10], v7, off
	s_or_b32 exec_lo, exec_lo, s1
	s_mov_b32 s1, exec_lo
	v_cmpx_gt_u32_e64 s23, v37
	s_cbranch_execnz .LBB1298_174
.LBB1298_143:
	s_wait_alu 0xfffe
	s_or_b32 exec_lo, exec_lo, s1
	s_delay_alu instid0(SALU_CYCLE_1)
	s_mov_b32 s1, exec_lo
	v_cmpx_gt_u32_e64 s23, v36
	s_cbranch_execz .LBB1298_179
.LBB1298_144:
	s_mov_b32 s2, exec_lo
                                        ; implicit-def: $vgpr7_vgpr8
	v_cmpx_ge_u32_e64 v36, v16
	s_wait_alu 0xfffe
	s_xor_b32 s2, exec_lo, s2
	s_cbranch_execz .LBB1298_146
; %bb.145:
	s_wait_dscnt 0x4
	v_xor_b32_e32 v7, 0xfffff9ff, v0
                                        ; implicit-def: $vgpr36
	s_delay_alu instid0(VALU_DEP_1) | instskip(SKIP_2) | instid1(VALU_DEP_2)
	v_ashrrev_i32_e32 v8, 31, v7
	v_add_co_u32 v7, vcc_lo, v19, v7
	s_wait_alu 0xfffd
	v_add_co_ci_u32_e64 v8, null, v20, v8, vcc_lo
.LBB1298_146:
	s_wait_alu 0xfffe
	s_and_not1_saveexec_b32 s2, s2
	s_cbranch_execz .LBB1298_148
; %bb.147:
	s_wait_dscnt 0x4
	v_add_co_u32 v7, vcc_lo, v15, v36
	s_wait_alu 0xfffd
	v_add_co_ci_u32_e64 v8, null, 0, v17, vcc_lo
.LBB1298_148:
	s_wait_alu 0xfffe
	s_or_b32 exec_lo, exec_lo, s2
	s_wait_dscnt 0x4
	s_delay_alu instid0(VALU_DEP_1) | instskip(NEXT) | instid1(VALU_DEP_1)
	v_lshlrev_b64_e32 v[7:8], 2, v[7:8]
	v_add_co_u32 v7, vcc_lo, s10, v7
	s_wait_alu 0xfffd
	s_delay_alu instid0(VALU_DEP_2) | instskip(SKIP_3) | instid1(SALU_CYCLE_1)
	v_add_co_ci_u32_e64 v8, null, s11, v8, vcc_lo
	s_wait_dscnt 0x3
	global_store_b32 v[7:8], v5, off
	s_or_b32 exec_lo, exec_lo, s1
	s_mov_b32 s1, exec_lo
	v_cmpx_gt_u32_e64 s23, v35
	s_cbranch_execnz .LBB1298_180
.LBB1298_149:
	s_wait_alu 0xfffe
	s_or_b32 exec_lo, exec_lo, s1
	s_delay_alu instid0(SALU_CYCLE_1)
	s_mov_b32 s1, exec_lo
	v_cmpx_gt_u32_e64 s23, v34
	s_cbranch_execz .LBB1298_185
.LBB1298_150:
	s_mov_b32 s2, exec_lo
                                        ; implicit-def: $vgpr5_vgpr6
	v_cmpx_ge_u32_e64 v34, v16
	s_wait_alu 0xfffe
	s_xor_b32 s2, exec_lo, s2
	s_cbranch_execz .LBB1298_152
; %bb.151:
	s_wait_dscnt 0x3
	v_xor_b32_e32 v5, 0xfffff7ff, v0
                                        ; implicit-def: $vgpr34
	s_delay_alu instid0(VALU_DEP_1) | instskip(SKIP_2) | instid1(VALU_DEP_2)
	v_ashrrev_i32_e32 v6, 31, v5
	v_add_co_u32 v5, vcc_lo, v19, v5
	s_wait_alu 0xfffd
	v_add_co_ci_u32_e64 v6, null, v20, v6, vcc_lo
.LBB1298_152:
	s_wait_alu 0xfffe
	s_and_not1_saveexec_b32 s2, s2
	s_cbranch_execz .LBB1298_154
; %bb.153:
	s_wait_dscnt 0x3
	v_add_co_u32 v5, vcc_lo, v15, v34
	s_wait_alu 0xfffd
	v_add_co_ci_u32_e64 v6, null, 0, v17, vcc_lo
.LBB1298_154:
	s_wait_alu 0xfffe
	s_or_b32 exec_lo, exec_lo, s2
	s_wait_dscnt 0x3
	s_delay_alu instid0(VALU_DEP_1) | instskip(NEXT) | instid1(VALU_DEP_1)
	v_lshlrev_b64_e32 v[5:6], 2, v[5:6]
	v_add_co_u32 v5, vcc_lo, s10, v5
	s_wait_alu 0xfffd
	s_delay_alu instid0(VALU_DEP_2) | instskip(SKIP_3) | instid1(SALU_CYCLE_1)
	v_add_co_ci_u32_e64 v6, null, s11, v6, vcc_lo
	s_wait_dscnt 0x2
	global_store_b32 v[5:6], v3, off
	s_or_b32 exec_lo, exec_lo, s1
	s_mov_b32 s1, exec_lo
	v_cmpx_gt_u32_e64 s23, v33
	s_cbranch_execnz .LBB1298_186
.LBB1298_155:
	s_wait_alu 0xfffe
	s_or_b32 exec_lo, exec_lo, s1
	s_delay_alu instid0(SALU_CYCLE_1)
	s_mov_b32 s1, exec_lo
	v_cmpx_gt_u32_e64 s23, v32
	s_cbranch_execz .LBB1298_191
.LBB1298_156:
	s_mov_b32 s2, exec_lo
                                        ; implicit-def: $vgpr3_vgpr4
	v_cmpx_ge_u32_e64 v32, v16
	s_wait_alu 0xfffe
	s_xor_b32 s2, exec_lo, s2
	s_cbranch_execz .LBB1298_158
; %bb.157:
	s_wait_dscnt 0x2
	v_xor_b32_e32 v3, 0xfffff5ff, v0
                                        ; implicit-def: $vgpr32
	s_delay_alu instid0(VALU_DEP_1) | instskip(SKIP_2) | instid1(VALU_DEP_2)
	v_ashrrev_i32_e32 v4, 31, v3
	v_add_co_u32 v3, vcc_lo, v19, v3
	s_wait_alu 0xfffd
	v_add_co_ci_u32_e64 v4, null, v20, v4, vcc_lo
.LBB1298_158:
	s_wait_alu 0xfffe
	s_and_not1_saveexec_b32 s2, s2
	s_cbranch_execz .LBB1298_160
; %bb.159:
	s_wait_dscnt 0x2
	v_add_co_u32 v3, vcc_lo, v15, v32
	s_wait_alu 0xfffd
	v_add_co_ci_u32_e64 v4, null, 0, v17, vcc_lo
.LBB1298_160:
	s_wait_alu 0xfffe
	s_or_b32 exec_lo, exec_lo, s2
	s_wait_dscnt 0x2
	s_delay_alu instid0(VALU_DEP_1) | instskip(NEXT) | instid1(VALU_DEP_1)
	v_lshlrev_b64_e32 v[3:4], 2, v[3:4]
	v_add_co_u32 v3, vcc_lo, s10, v3
	s_wait_alu 0xfffd
	s_delay_alu instid0(VALU_DEP_2) | instskip(SKIP_3) | instid1(SALU_CYCLE_1)
	v_add_co_ci_u32_e64 v4, null, s11, v4, vcc_lo
	s_wait_dscnt 0x1
	global_store_b32 v[3:4], v1, off
	s_or_b32 exec_lo, exec_lo, s1
	s_mov_b32 s1, exec_lo
	v_cmpx_gt_u32_e64 s23, v31
	s_cbranch_execz .LBB1298_197
	s_branch .LBB1298_192
.LBB1298_161:
	s_wait_alu 0xfffe
	s_or_b32 exec_lo, exec_lo, s1
	s_delay_alu instid0(SALU_CYCLE_1)
	s_mov_b32 s1, exec_lo
	v_cmpx_gt_u32_e64 s23, v41
	s_cbranch_execz .LBB1298_131
.LBB1298_162:
	s_mov_b32 s2, exec_lo
                                        ; implicit-def: $vgpr13_vgpr14
	v_cmpx_ge_u32_e64 v41, v16
	s_wait_alu 0xfffe
	s_xor_b32 s2, exec_lo, s2
	s_cbranch_execz .LBB1298_164
; %bb.163:
	s_wait_dscnt 0x6
	v_xor_b32_e32 v11, 0xfffffeff, v0
                                        ; implicit-def: $vgpr41
	s_delay_alu instid0(VALU_DEP_1) | instskip(SKIP_2) | instid1(VALU_DEP_2)
	v_ashrrev_i32_e32 v14, 31, v11
	v_add_co_u32 v13, vcc_lo, v19, v11
	s_wait_alu 0xfffd
	v_add_co_ci_u32_e64 v14, null, v20, v14, vcc_lo
.LBB1298_164:
	s_wait_alu 0xfffe
	s_and_not1_saveexec_b32 s2, s2
; %bb.165:
	v_add_co_u32 v13, vcc_lo, v15, v41
	s_wait_alu 0xfffd
	v_add_co_ci_u32_e64 v14, null, 0, v17, vcc_lo
; %bb.166:
	s_wait_alu 0xfffe
	s_or_b32 exec_lo, exec_lo, s2
	s_delay_alu instid0(VALU_DEP_1) | instskip(NEXT) | instid1(VALU_DEP_1)
	v_lshlrev_b64_e32 v[13:14], 2, v[13:14]
	v_add_co_u32 v13, vcc_lo, s10, v13
	s_wait_alu 0xfffd
	s_delay_alu instid0(VALU_DEP_2) | instskip(SKIP_3) | instid1(SALU_CYCLE_1)
	v_add_co_ci_u32_e64 v14, null, s11, v14, vcc_lo
	s_wait_dscnt 0x6
	global_store_b32 v[13:14], v12, off
	s_or_b32 exec_lo, exec_lo, s1
	s_mov_b32 s1, exec_lo
	v_cmpx_gt_u32_e64 s23, v40
	s_cbranch_execnz .LBB1298_132
.LBB1298_167:
	s_wait_alu 0xfffe
	s_or_b32 exec_lo, exec_lo, s1
	s_delay_alu instid0(SALU_CYCLE_1)
	s_mov_b32 s1, exec_lo
	v_cmpx_gt_u32_e64 s23, v39
	s_cbranch_execz .LBB1298_137
.LBB1298_168:
	s_mov_b32 s2, exec_lo
                                        ; implicit-def: $vgpr11_vgpr12
	v_cmpx_ge_u32_e64 v39, v16
	s_wait_alu 0xfffe
	s_xor_b32 s2, exec_lo, s2
	s_cbranch_execz .LBB1298_170
; %bb.169:
	s_wait_dscnt 0x5
	v_xor_b32_e32 v9, 0xfffffcff, v0
                                        ; implicit-def: $vgpr39
	s_delay_alu instid0(VALU_DEP_1) | instskip(SKIP_2) | instid1(VALU_DEP_2)
	v_ashrrev_i32_e32 v12, 31, v9
	v_add_co_u32 v11, vcc_lo, v19, v9
	s_wait_alu 0xfffd
	v_add_co_ci_u32_e64 v12, null, v20, v12, vcc_lo
.LBB1298_170:
	s_wait_alu 0xfffe
	s_and_not1_saveexec_b32 s2, s2
	s_cbranch_execz .LBB1298_172
; %bb.171:
	s_wait_dscnt 0x6
	v_add_co_u32 v11, vcc_lo, v15, v39
	s_wait_alu 0xfffd
	v_add_co_ci_u32_e64 v12, null, 0, v17, vcc_lo
.LBB1298_172:
	s_wait_alu 0xfffe
	s_or_b32 exec_lo, exec_lo, s2
	s_wait_dscnt 0x6
	s_delay_alu instid0(VALU_DEP_1) | instskip(NEXT) | instid1(VALU_DEP_1)
	v_lshlrev_b64_e32 v[11:12], 2, v[11:12]
	v_add_co_u32 v11, vcc_lo, s10, v11
	s_wait_alu 0xfffd
	s_delay_alu instid0(VALU_DEP_2) | instskip(SKIP_3) | instid1(SALU_CYCLE_1)
	v_add_co_ci_u32_e64 v12, null, s11, v12, vcc_lo
	s_wait_dscnt 0x5
	global_store_b32 v[11:12], v10, off
	s_or_b32 exec_lo, exec_lo, s1
	s_mov_b32 s1, exec_lo
	v_cmpx_gt_u32_e64 s23, v38
	s_cbranch_execnz .LBB1298_138
.LBB1298_173:
	s_wait_alu 0xfffe
	s_or_b32 exec_lo, exec_lo, s1
	s_delay_alu instid0(SALU_CYCLE_1)
	s_mov_b32 s1, exec_lo
	v_cmpx_gt_u32_e64 s23, v37
	s_cbranch_execz .LBB1298_143
.LBB1298_174:
	s_mov_b32 s2, exec_lo
                                        ; implicit-def: $vgpr9_vgpr10
	v_cmpx_ge_u32_e64 v37, v16
	s_wait_alu 0xfffe
	s_xor_b32 s2, exec_lo, s2
	s_cbranch_execz .LBB1298_176
; %bb.175:
	s_wait_dscnt 0x4
	v_xor_b32_e32 v7, 0xfffffaff, v0
                                        ; implicit-def: $vgpr37
	s_delay_alu instid0(VALU_DEP_1) | instskip(SKIP_2) | instid1(VALU_DEP_2)
	v_ashrrev_i32_e32 v10, 31, v7
	v_add_co_u32 v9, vcc_lo, v19, v7
	s_wait_alu 0xfffd
	v_add_co_ci_u32_e64 v10, null, v20, v10, vcc_lo
.LBB1298_176:
	s_wait_alu 0xfffe
	s_and_not1_saveexec_b32 s2, s2
	s_cbranch_execz .LBB1298_178
; %bb.177:
	s_wait_dscnt 0x5
	v_add_co_u32 v9, vcc_lo, v15, v37
	s_wait_alu 0xfffd
	v_add_co_ci_u32_e64 v10, null, 0, v17, vcc_lo
.LBB1298_178:
	s_wait_alu 0xfffe
	s_or_b32 exec_lo, exec_lo, s2
	s_wait_dscnt 0x5
	s_delay_alu instid0(VALU_DEP_1) | instskip(NEXT) | instid1(VALU_DEP_1)
	v_lshlrev_b64_e32 v[9:10], 2, v[9:10]
	v_add_co_u32 v9, vcc_lo, s10, v9
	s_wait_alu 0xfffd
	s_delay_alu instid0(VALU_DEP_2) | instskip(SKIP_3) | instid1(SALU_CYCLE_1)
	v_add_co_ci_u32_e64 v10, null, s11, v10, vcc_lo
	s_wait_dscnt 0x4
	global_store_b32 v[9:10], v8, off
	s_or_b32 exec_lo, exec_lo, s1
	s_mov_b32 s1, exec_lo
	v_cmpx_gt_u32_e64 s23, v36
	s_cbranch_execnz .LBB1298_144
.LBB1298_179:
	s_wait_alu 0xfffe
	s_or_b32 exec_lo, exec_lo, s1
	s_delay_alu instid0(SALU_CYCLE_1)
	s_mov_b32 s1, exec_lo
	v_cmpx_gt_u32_e64 s23, v35
	s_cbranch_execz .LBB1298_149
.LBB1298_180:
	s_mov_b32 s2, exec_lo
                                        ; implicit-def: $vgpr7_vgpr8
	v_cmpx_ge_u32_e64 v35, v16
	s_wait_alu 0xfffe
	s_xor_b32 s2, exec_lo, s2
	s_cbranch_execz .LBB1298_182
; %bb.181:
	s_wait_dscnt 0x3
	v_xor_b32_e32 v5, 0xfffff8ff, v0
                                        ; implicit-def: $vgpr35
	s_delay_alu instid0(VALU_DEP_1) | instskip(SKIP_2) | instid1(VALU_DEP_2)
	v_ashrrev_i32_e32 v8, 31, v5
	v_add_co_u32 v7, vcc_lo, v19, v5
	s_wait_alu 0xfffd
	v_add_co_ci_u32_e64 v8, null, v20, v8, vcc_lo
.LBB1298_182:
	s_wait_alu 0xfffe
	s_and_not1_saveexec_b32 s2, s2
	s_cbranch_execz .LBB1298_184
; %bb.183:
	s_wait_dscnt 0x4
	v_add_co_u32 v7, vcc_lo, v15, v35
	s_wait_alu 0xfffd
	v_add_co_ci_u32_e64 v8, null, 0, v17, vcc_lo
.LBB1298_184:
	s_wait_alu 0xfffe
	s_or_b32 exec_lo, exec_lo, s2
	s_wait_dscnt 0x4
	s_delay_alu instid0(VALU_DEP_1) | instskip(NEXT) | instid1(VALU_DEP_1)
	v_lshlrev_b64_e32 v[7:8], 2, v[7:8]
	v_add_co_u32 v7, vcc_lo, s10, v7
	s_wait_alu 0xfffd
	s_delay_alu instid0(VALU_DEP_2) | instskip(SKIP_3) | instid1(SALU_CYCLE_1)
	v_add_co_ci_u32_e64 v8, null, s11, v8, vcc_lo
	s_wait_dscnt 0x3
	global_store_b32 v[7:8], v6, off
	s_or_b32 exec_lo, exec_lo, s1
	s_mov_b32 s1, exec_lo
	v_cmpx_gt_u32_e64 s23, v34
	s_cbranch_execnz .LBB1298_150
.LBB1298_185:
	s_wait_alu 0xfffe
	s_or_b32 exec_lo, exec_lo, s1
	s_delay_alu instid0(SALU_CYCLE_1)
	s_mov_b32 s1, exec_lo
	v_cmpx_gt_u32_e64 s23, v33
	s_cbranch_execz .LBB1298_155
.LBB1298_186:
	s_mov_b32 s2, exec_lo
                                        ; implicit-def: $vgpr5_vgpr6
	v_cmpx_ge_u32_e64 v33, v16
	s_wait_alu 0xfffe
	s_xor_b32 s2, exec_lo, s2
	s_cbranch_execz .LBB1298_188
; %bb.187:
	s_wait_dscnt 0x2
	v_xor_b32_e32 v3, 0xfffff6ff, v0
                                        ; implicit-def: $vgpr33
	s_delay_alu instid0(VALU_DEP_1) | instskip(SKIP_2) | instid1(VALU_DEP_2)
	v_ashrrev_i32_e32 v6, 31, v3
	v_add_co_u32 v5, vcc_lo, v19, v3
	s_wait_alu 0xfffd
	v_add_co_ci_u32_e64 v6, null, v20, v6, vcc_lo
.LBB1298_188:
	s_wait_alu 0xfffe
	s_and_not1_saveexec_b32 s2, s2
	s_cbranch_execz .LBB1298_190
; %bb.189:
	s_wait_dscnt 0x3
	v_add_co_u32 v5, vcc_lo, v15, v33
	s_wait_alu 0xfffd
	v_add_co_ci_u32_e64 v6, null, 0, v17, vcc_lo
.LBB1298_190:
	s_wait_alu 0xfffe
	s_or_b32 exec_lo, exec_lo, s2
	s_wait_dscnt 0x3
	s_delay_alu instid0(VALU_DEP_1) | instskip(NEXT) | instid1(VALU_DEP_1)
	v_lshlrev_b64_e32 v[5:6], 2, v[5:6]
	v_add_co_u32 v5, vcc_lo, s10, v5
	s_wait_alu 0xfffd
	s_delay_alu instid0(VALU_DEP_2) | instskip(SKIP_3) | instid1(SALU_CYCLE_1)
	v_add_co_ci_u32_e64 v6, null, s11, v6, vcc_lo
	s_wait_dscnt 0x2
	global_store_b32 v[5:6], v4, off
	s_or_b32 exec_lo, exec_lo, s1
	s_mov_b32 s1, exec_lo
	v_cmpx_gt_u32_e64 s23, v32
	s_cbranch_execnz .LBB1298_156
.LBB1298_191:
	s_wait_alu 0xfffe
	s_or_b32 exec_lo, exec_lo, s1
	s_delay_alu instid0(SALU_CYCLE_1)
	s_mov_b32 s1, exec_lo
	v_cmpx_gt_u32_e64 s23, v31
	s_cbranch_execz .LBB1298_197
.LBB1298_192:
	s_mov_b32 s2, exec_lo
                                        ; implicit-def: $vgpr3_vgpr4
	v_cmpx_ge_u32_e64 v31, v16
	s_wait_alu 0xfffe
	s_xor_b32 s2, exec_lo, s2
	s_cbranch_execz .LBB1298_194
; %bb.193:
	s_wait_dscnt 0x1
	v_xor_b32_e32 v1, 0xfffff4ff, v0
                                        ; implicit-def: $vgpr31
	s_delay_alu instid0(VALU_DEP_1) | instskip(SKIP_2) | instid1(VALU_DEP_2)
	v_ashrrev_i32_e32 v4, 31, v1
	v_add_co_u32 v3, vcc_lo, v19, v1
	s_wait_alu 0xfffd
	v_add_co_ci_u32_e64 v4, null, v20, v4, vcc_lo
.LBB1298_194:
	s_wait_alu 0xfffe
	s_and_not1_saveexec_b32 s2, s2
	s_cbranch_execz .LBB1298_196
; %bb.195:
	s_wait_dscnt 0x2
	v_add_co_u32 v3, vcc_lo, v15, v31
	s_wait_alu 0xfffd
	v_add_co_ci_u32_e64 v4, null, 0, v17, vcc_lo
.LBB1298_196:
	s_wait_alu 0xfffe
	s_or_b32 exec_lo, exec_lo, s2
	s_wait_dscnt 0x2
	s_delay_alu instid0(VALU_DEP_1) | instskip(NEXT) | instid1(VALU_DEP_1)
	v_lshlrev_b64_e32 v[3:4], 2, v[3:4]
	v_add_co_u32 v3, vcc_lo, s10, v3
	s_wait_alu 0xfffd
	s_delay_alu instid0(VALU_DEP_2)
	v_add_co_ci_u32_e64 v4, null, s11, v4, vcc_lo
	s_wait_dscnt 0x1
	global_store_b32 v[3:4], v2, off
.LBB1298_197:
	s_wait_alu 0xfffe
	s_or_b32 exec_lo, exec_lo, s1
	s_delay_alu instid0(SALU_CYCLE_1)
	s_mov_b32 s1, exec_lo
                                        ; implicit-def: $vgpr13_vgpr14
	v_cmpx_gt_u32_e64 s23, v30
	s_cbranch_execz .LBB1298_203
; %bb.198:
	s_mov_b32 s2, exec_lo
                                        ; implicit-def: $vgpr13_vgpr14
	v_cmpx_ge_u32_e64 v30, v16
	s_wait_alu 0xfffe
	s_xor_b32 s2, exec_lo, s2
	s_cbranch_execz .LBB1298_200
; %bb.199:
	s_wait_dscnt 0x1
	v_xor_b32_e32 v1, 0xfffff3ff, v0
                                        ; implicit-def: $vgpr30
	s_delay_alu instid0(VALU_DEP_1) | instskip(SKIP_2) | instid1(VALU_DEP_2)
	v_ashrrev_i32_e32 v2, 31, v1
	v_add_co_u32 v13, vcc_lo, v19, v1
	s_wait_alu 0xfffd
	v_add_co_ci_u32_e64 v14, null, v20, v2, vcc_lo
.LBB1298_200:
	s_wait_alu 0xfffe
	s_and_not1_saveexec_b32 s2, s2
; %bb.201:
	v_add_co_u32 v13, vcc_lo, v15, v30
	s_wait_alu 0xfffd
	v_add_co_ci_u32_e64 v14, null, 0, v17, vcc_lo
; %bb.202:
	s_wait_alu 0xfffe
	s_or_b32 exec_lo, exec_lo, s2
	s_delay_alu instid0(SALU_CYCLE_1)
	s_or_b32 s0, s0, exec_lo
.LBB1298_203:
	s_wait_alu 0xfffe
	s_or_b32 exec_lo, exec_lo, s1
.LBB1298_204:
	s_wait_alu 0xfffe
	s_and_saveexec_b32 s1, s0
	s_cbranch_execz .LBB1298_206
; %bb.205:
	s_wait_dscnt 0x1
	v_lshlrev_b64_e32 v[1:2], 2, v[13:14]
	s_delay_alu instid0(VALU_DEP_1) | instskip(SKIP_1) | instid1(VALU_DEP_2)
	v_add_co_u32 v1, vcc_lo, s10, v1
	s_wait_alu 0xfffd
	v_add_co_ci_u32_e64 v2, null, s11, v2, vcc_lo
	s_wait_dscnt 0x0
	global_store_b32 v[1:2], v18, off
.LBB1298_206:
	s_wait_alu 0xfffe
	s_or_b32 exec_lo, exec_lo, s1
	v_cmp_eq_u32_e32 vcc_lo, 0, v0
	s_and_b32 s0, vcc_lo, s22
	s_wait_alu 0xfffe
	s_and_saveexec_b32 s1, s0
	s_cbranch_execz .LBB1298_208
; %bb.207:
	v_add_co_u32 v0, vcc_lo, v15, v16
	s_wait_dscnt 0x1
	v_mov_b32_e32 v2, 0
	s_wait_alu 0xfffd
	v_add_co_ci_u32_e64 v1, null, 0, v17, vcc_lo
	global_store_b64 v2, v[0:1], s[8:9]
.LBB1298_208:
	s_endpgm
	.section	.rodata,"a",@progbits
	.p2align	6, 0x0
	.amdhsa_kernel _ZN7rocprim17ROCPRIM_400000_NS6detail17trampoline_kernelINS0_13select_configILj256ELj13ELNS0_17block_load_methodE3ELS4_3ELS4_3ELNS0_20block_scan_algorithmE0ELj4294967295EEENS1_25partition_config_selectorILNS1_17partition_subalgoE3EjNS0_10empty_typeEbEEZZNS1_14partition_implILS8_3ELb0ES6_jNS0_17counting_iteratorIjlEEPS9_SE_NS0_5tupleIJPjSE_EEENSF_IJSE_SE_EEES9_SG_JZNS1_25segmented_radix_sort_implINS0_14default_configELb1EPKfPfPKlPlN2at6native12_GLOBAL__N_18offset_tEEE10hipError_tPvRmT1_PNSt15iterator_traitsISY_E10value_typeET2_T3_PNSZ_IS14_E10value_typeET4_jRbjT5_S1A_jjP12ihipStream_tbEUljE_EEESV_SW_SX_S14_S18_S1A_T6_T7_T9_mT8_S1C_bDpT10_ENKUlT_T0_E_clISt17integral_constantIbLb0EES1P_EEDaS1K_S1L_EUlS1K_E_NS1_11comp_targetILNS1_3genE10ELNS1_11target_archE1200ELNS1_3gpuE4ELNS1_3repE0EEENS1_30default_config_static_selectorELNS0_4arch9wavefront6targetE0EEEvSY_
		.amdhsa_group_segment_fixed_size 13320
		.amdhsa_private_segment_fixed_size 0
		.amdhsa_kernarg_size 144
		.amdhsa_user_sgpr_count 2
		.amdhsa_user_sgpr_dispatch_ptr 0
		.amdhsa_user_sgpr_queue_ptr 0
		.amdhsa_user_sgpr_kernarg_segment_ptr 1
		.amdhsa_user_sgpr_dispatch_id 0
		.amdhsa_user_sgpr_private_segment_size 0
		.amdhsa_wavefront_size32 1
		.amdhsa_uses_dynamic_stack 0
		.amdhsa_enable_private_segment 0
		.amdhsa_system_sgpr_workgroup_id_x 1
		.amdhsa_system_sgpr_workgroup_id_y 0
		.amdhsa_system_sgpr_workgroup_id_z 0
		.amdhsa_system_sgpr_workgroup_info 0
		.amdhsa_system_vgpr_workitem_id 0
		.amdhsa_next_free_vgpr 69
		.amdhsa_next_free_sgpr 26
		.amdhsa_reserve_vcc 1
		.amdhsa_float_round_mode_32 0
		.amdhsa_float_round_mode_16_64 0
		.amdhsa_float_denorm_mode_32 3
		.amdhsa_float_denorm_mode_16_64 3
		.amdhsa_fp16_overflow 0
		.amdhsa_workgroup_processor_mode 1
		.amdhsa_memory_ordered 1
		.amdhsa_forward_progress 1
		.amdhsa_inst_pref_size 84
		.amdhsa_round_robin_scheduling 0
		.amdhsa_exception_fp_ieee_invalid_op 0
		.amdhsa_exception_fp_denorm_src 0
		.amdhsa_exception_fp_ieee_div_zero 0
		.amdhsa_exception_fp_ieee_overflow 0
		.amdhsa_exception_fp_ieee_underflow 0
		.amdhsa_exception_fp_ieee_inexact 0
		.amdhsa_exception_int_div_zero 0
	.end_amdhsa_kernel
	.section	.text._ZN7rocprim17ROCPRIM_400000_NS6detail17trampoline_kernelINS0_13select_configILj256ELj13ELNS0_17block_load_methodE3ELS4_3ELS4_3ELNS0_20block_scan_algorithmE0ELj4294967295EEENS1_25partition_config_selectorILNS1_17partition_subalgoE3EjNS0_10empty_typeEbEEZZNS1_14partition_implILS8_3ELb0ES6_jNS0_17counting_iteratorIjlEEPS9_SE_NS0_5tupleIJPjSE_EEENSF_IJSE_SE_EEES9_SG_JZNS1_25segmented_radix_sort_implINS0_14default_configELb1EPKfPfPKlPlN2at6native12_GLOBAL__N_18offset_tEEE10hipError_tPvRmT1_PNSt15iterator_traitsISY_E10value_typeET2_T3_PNSZ_IS14_E10value_typeET4_jRbjT5_S1A_jjP12ihipStream_tbEUljE_EEESV_SW_SX_S14_S18_S1A_T6_T7_T9_mT8_S1C_bDpT10_ENKUlT_T0_E_clISt17integral_constantIbLb0EES1P_EEDaS1K_S1L_EUlS1K_E_NS1_11comp_targetILNS1_3genE10ELNS1_11target_archE1200ELNS1_3gpuE4ELNS1_3repE0EEENS1_30default_config_static_selectorELNS0_4arch9wavefront6targetE0EEEvSY_,"axG",@progbits,_ZN7rocprim17ROCPRIM_400000_NS6detail17trampoline_kernelINS0_13select_configILj256ELj13ELNS0_17block_load_methodE3ELS4_3ELS4_3ELNS0_20block_scan_algorithmE0ELj4294967295EEENS1_25partition_config_selectorILNS1_17partition_subalgoE3EjNS0_10empty_typeEbEEZZNS1_14partition_implILS8_3ELb0ES6_jNS0_17counting_iteratorIjlEEPS9_SE_NS0_5tupleIJPjSE_EEENSF_IJSE_SE_EEES9_SG_JZNS1_25segmented_radix_sort_implINS0_14default_configELb1EPKfPfPKlPlN2at6native12_GLOBAL__N_18offset_tEEE10hipError_tPvRmT1_PNSt15iterator_traitsISY_E10value_typeET2_T3_PNSZ_IS14_E10value_typeET4_jRbjT5_S1A_jjP12ihipStream_tbEUljE_EEESV_SW_SX_S14_S18_S1A_T6_T7_T9_mT8_S1C_bDpT10_ENKUlT_T0_E_clISt17integral_constantIbLb0EES1P_EEDaS1K_S1L_EUlS1K_E_NS1_11comp_targetILNS1_3genE10ELNS1_11target_archE1200ELNS1_3gpuE4ELNS1_3repE0EEENS1_30default_config_static_selectorELNS0_4arch9wavefront6targetE0EEEvSY_,comdat
.Lfunc_end1298:
	.size	_ZN7rocprim17ROCPRIM_400000_NS6detail17trampoline_kernelINS0_13select_configILj256ELj13ELNS0_17block_load_methodE3ELS4_3ELS4_3ELNS0_20block_scan_algorithmE0ELj4294967295EEENS1_25partition_config_selectorILNS1_17partition_subalgoE3EjNS0_10empty_typeEbEEZZNS1_14partition_implILS8_3ELb0ES6_jNS0_17counting_iteratorIjlEEPS9_SE_NS0_5tupleIJPjSE_EEENSF_IJSE_SE_EEES9_SG_JZNS1_25segmented_radix_sort_implINS0_14default_configELb1EPKfPfPKlPlN2at6native12_GLOBAL__N_18offset_tEEE10hipError_tPvRmT1_PNSt15iterator_traitsISY_E10value_typeET2_T3_PNSZ_IS14_E10value_typeET4_jRbjT5_S1A_jjP12ihipStream_tbEUljE_EEESV_SW_SX_S14_S18_S1A_T6_T7_T9_mT8_S1C_bDpT10_ENKUlT_T0_E_clISt17integral_constantIbLb0EES1P_EEDaS1K_S1L_EUlS1K_E_NS1_11comp_targetILNS1_3genE10ELNS1_11target_archE1200ELNS1_3gpuE4ELNS1_3repE0EEENS1_30default_config_static_selectorELNS0_4arch9wavefront6targetE0EEEvSY_, .Lfunc_end1298-_ZN7rocprim17ROCPRIM_400000_NS6detail17trampoline_kernelINS0_13select_configILj256ELj13ELNS0_17block_load_methodE3ELS4_3ELS4_3ELNS0_20block_scan_algorithmE0ELj4294967295EEENS1_25partition_config_selectorILNS1_17partition_subalgoE3EjNS0_10empty_typeEbEEZZNS1_14partition_implILS8_3ELb0ES6_jNS0_17counting_iteratorIjlEEPS9_SE_NS0_5tupleIJPjSE_EEENSF_IJSE_SE_EEES9_SG_JZNS1_25segmented_radix_sort_implINS0_14default_configELb1EPKfPfPKlPlN2at6native12_GLOBAL__N_18offset_tEEE10hipError_tPvRmT1_PNSt15iterator_traitsISY_E10value_typeET2_T3_PNSZ_IS14_E10value_typeET4_jRbjT5_S1A_jjP12ihipStream_tbEUljE_EEESV_SW_SX_S14_S18_S1A_T6_T7_T9_mT8_S1C_bDpT10_ENKUlT_T0_E_clISt17integral_constantIbLb0EES1P_EEDaS1K_S1L_EUlS1K_E_NS1_11comp_targetILNS1_3genE10ELNS1_11target_archE1200ELNS1_3gpuE4ELNS1_3repE0EEENS1_30default_config_static_selectorELNS0_4arch9wavefront6targetE0EEEvSY_
                                        ; -- End function
	.set _ZN7rocprim17ROCPRIM_400000_NS6detail17trampoline_kernelINS0_13select_configILj256ELj13ELNS0_17block_load_methodE3ELS4_3ELS4_3ELNS0_20block_scan_algorithmE0ELj4294967295EEENS1_25partition_config_selectorILNS1_17partition_subalgoE3EjNS0_10empty_typeEbEEZZNS1_14partition_implILS8_3ELb0ES6_jNS0_17counting_iteratorIjlEEPS9_SE_NS0_5tupleIJPjSE_EEENSF_IJSE_SE_EEES9_SG_JZNS1_25segmented_radix_sort_implINS0_14default_configELb1EPKfPfPKlPlN2at6native12_GLOBAL__N_18offset_tEEE10hipError_tPvRmT1_PNSt15iterator_traitsISY_E10value_typeET2_T3_PNSZ_IS14_E10value_typeET4_jRbjT5_S1A_jjP12ihipStream_tbEUljE_EEESV_SW_SX_S14_S18_S1A_T6_T7_T9_mT8_S1C_bDpT10_ENKUlT_T0_E_clISt17integral_constantIbLb0EES1P_EEDaS1K_S1L_EUlS1K_E_NS1_11comp_targetILNS1_3genE10ELNS1_11target_archE1200ELNS1_3gpuE4ELNS1_3repE0EEENS1_30default_config_static_selectorELNS0_4arch9wavefront6targetE0EEEvSY_.num_vgpr, 69
	.set _ZN7rocprim17ROCPRIM_400000_NS6detail17trampoline_kernelINS0_13select_configILj256ELj13ELNS0_17block_load_methodE3ELS4_3ELS4_3ELNS0_20block_scan_algorithmE0ELj4294967295EEENS1_25partition_config_selectorILNS1_17partition_subalgoE3EjNS0_10empty_typeEbEEZZNS1_14partition_implILS8_3ELb0ES6_jNS0_17counting_iteratorIjlEEPS9_SE_NS0_5tupleIJPjSE_EEENSF_IJSE_SE_EEES9_SG_JZNS1_25segmented_radix_sort_implINS0_14default_configELb1EPKfPfPKlPlN2at6native12_GLOBAL__N_18offset_tEEE10hipError_tPvRmT1_PNSt15iterator_traitsISY_E10value_typeET2_T3_PNSZ_IS14_E10value_typeET4_jRbjT5_S1A_jjP12ihipStream_tbEUljE_EEESV_SW_SX_S14_S18_S1A_T6_T7_T9_mT8_S1C_bDpT10_ENKUlT_T0_E_clISt17integral_constantIbLb0EES1P_EEDaS1K_S1L_EUlS1K_E_NS1_11comp_targetILNS1_3genE10ELNS1_11target_archE1200ELNS1_3gpuE4ELNS1_3repE0EEENS1_30default_config_static_selectorELNS0_4arch9wavefront6targetE0EEEvSY_.num_agpr, 0
	.set _ZN7rocprim17ROCPRIM_400000_NS6detail17trampoline_kernelINS0_13select_configILj256ELj13ELNS0_17block_load_methodE3ELS4_3ELS4_3ELNS0_20block_scan_algorithmE0ELj4294967295EEENS1_25partition_config_selectorILNS1_17partition_subalgoE3EjNS0_10empty_typeEbEEZZNS1_14partition_implILS8_3ELb0ES6_jNS0_17counting_iteratorIjlEEPS9_SE_NS0_5tupleIJPjSE_EEENSF_IJSE_SE_EEES9_SG_JZNS1_25segmented_radix_sort_implINS0_14default_configELb1EPKfPfPKlPlN2at6native12_GLOBAL__N_18offset_tEEE10hipError_tPvRmT1_PNSt15iterator_traitsISY_E10value_typeET2_T3_PNSZ_IS14_E10value_typeET4_jRbjT5_S1A_jjP12ihipStream_tbEUljE_EEESV_SW_SX_S14_S18_S1A_T6_T7_T9_mT8_S1C_bDpT10_ENKUlT_T0_E_clISt17integral_constantIbLb0EES1P_EEDaS1K_S1L_EUlS1K_E_NS1_11comp_targetILNS1_3genE10ELNS1_11target_archE1200ELNS1_3gpuE4ELNS1_3repE0EEENS1_30default_config_static_selectorELNS0_4arch9wavefront6targetE0EEEvSY_.numbered_sgpr, 26
	.set _ZN7rocprim17ROCPRIM_400000_NS6detail17trampoline_kernelINS0_13select_configILj256ELj13ELNS0_17block_load_methodE3ELS4_3ELS4_3ELNS0_20block_scan_algorithmE0ELj4294967295EEENS1_25partition_config_selectorILNS1_17partition_subalgoE3EjNS0_10empty_typeEbEEZZNS1_14partition_implILS8_3ELb0ES6_jNS0_17counting_iteratorIjlEEPS9_SE_NS0_5tupleIJPjSE_EEENSF_IJSE_SE_EEES9_SG_JZNS1_25segmented_radix_sort_implINS0_14default_configELb1EPKfPfPKlPlN2at6native12_GLOBAL__N_18offset_tEEE10hipError_tPvRmT1_PNSt15iterator_traitsISY_E10value_typeET2_T3_PNSZ_IS14_E10value_typeET4_jRbjT5_S1A_jjP12ihipStream_tbEUljE_EEESV_SW_SX_S14_S18_S1A_T6_T7_T9_mT8_S1C_bDpT10_ENKUlT_T0_E_clISt17integral_constantIbLb0EES1P_EEDaS1K_S1L_EUlS1K_E_NS1_11comp_targetILNS1_3genE10ELNS1_11target_archE1200ELNS1_3gpuE4ELNS1_3repE0EEENS1_30default_config_static_selectorELNS0_4arch9wavefront6targetE0EEEvSY_.num_named_barrier, 0
	.set _ZN7rocprim17ROCPRIM_400000_NS6detail17trampoline_kernelINS0_13select_configILj256ELj13ELNS0_17block_load_methodE3ELS4_3ELS4_3ELNS0_20block_scan_algorithmE0ELj4294967295EEENS1_25partition_config_selectorILNS1_17partition_subalgoE3EjNS0_10empty_typeEbEEZZNS1_14partition_implILS8_3ELb0ES6_jNS0_17counting_iteratorIjlEEPS9_SE_NS0_5tupleIJPjSE_EEENSF_IJSE_SE_EEES9_SG_JZNS1_25segmented_radix_sort_implINS0_14default_configELb1EPKfPfPKlPlN2at6native12_GLOBAL__N_18offset_tEEE10hipError_tPvRmT1_PNSt15iterator_traitsISY_E10value_typeET2_T3_PNSZ_IS14_E10value_typeET4_jRbjT5_S1A_jjP12ihipStream_tbEUljE_EEESV_SW_SX_S14_S18_S1A_T6_T7_T9_mT8_S1C_bDpT10_ENKUlT_T0_E_clISt17integral_constantIbLb0EES1P_EEDaS1K_S1L_EUlS1K_E_NS1_11comp_targetILNS1_3genE10ELNS1_11target_archE1200ELNS1_3gpuE4ELNS1_3repE0EEENS1_30default_config_static_selectorELNS0_4arch9wavefront6targetE0EEEvSY_.private_seg_size, 0
	.set _ZN7rocprim17ROCPRIM_400000_NS6detail17trampoline_kernelINS0_13select_configILj256ELj13ELNS0_17block_load_methodE3ELS4_3ELS4_3ELNS0_20block_scan_algorithmE0ELj4294967295EEENS1_25partition_config_selectorILNS1_17partition_subalgoE3EjNS0_10empty_typeEbEEZZNS1_14partition_implILS8_3ELb0ES6_jNS0_17counting_iteratorIjlEEPS9_SE_NS0_5tupleIJPjSE_EEENSF_IJSE_SE_EEES9_SG_JZNS1_25segmented_radix_sort_implINS0_14default_configELb1EPKfPfPKlPlN2at6native12_GLOBAL__N_18offset_tEEE10hipError_tPvRmT1_PNSt15iterator_traitsISY_E10value_typeET2_T3_PNSZ_IS14_E10value_typeET4_jRbjT5_S1A_jjP12ihipStream_tbEUljE_EEESV_SW_SX_S14_S18_S1A_T6_T7_T9_mT8_S1C_bDpT10_ENKUlT_T0_E_clISt17integral_constantIbLb0EES1P_EEDaS1K_S1L_EUlS1K_E_NS1_11comp_targetILNS1_3genE10ELNS1_11target_archE1200ELNS1_3gpuE4ELNS1_3repE0EEENS1_30default_config_static_selectorELNS0_4arch9wavefront6targetE0EEEvSY_.uses_vcc, 1
	.set _ZN7rocprim17ROCPRIM_400000_NS6detail17trampoline_kernelINS0_13select_configILj256ELj13ELNS0_17block_load_methodE3ELS4_3ELS4_3ELNS0_20block_scan_algorithmE0ELj4294967295EEENS1_25partition_config_selectorILNS1_17partition_subalgoE3EjNS0_10empty_typeEbEEZZNS1_14partition_implILS8_3ELb0ES6_jNS0_17counting_iteratorIjlEEPS9_SE_NS0_5tupleIJPjSE_EEENSF_IJSE_SE_EEES9_SG_JZNS1_25segmented_radix_sort_implINS0_14default_configELb1EPKfPfPKlPlN2at6native12_GLOBAL__N_18offset_tEEE10hipError_tPvRmT1_PNSt15iterator_traitsISY_E10value_typeET2_T3_PNSZ_IS14_E10value_typeET4_jRbjT5_S1A_jjP12ihipStream_tbEUljE_EEESV_SW_SX_S14_S18_S1A_T6_T7_T9_mT8_S1C_bDpT10_ENKUlT_T0_E_clISt17integral_constantIbLb0EES1P_EEDaS1K_S1L_EUlS1K_E_NS1_11comp_targetILNS1_3genE10ELNS1_11target_archE1200ELNS1_3gpuE4ELNS1_3repE0EEENS1_30default_config_static_selectorELNS0_4arch9wavefront6targetE0EEEvSY_.uses_flat_scratch, 0
	.set _ZN7rocprim17ROCPRIM_400000_NS6detail17trampoline_kernelINS0_13select_configILj256ELj13ELNS0_17block_load_methodE3ELS4_3ELS4_3ELNS0_20block_scan_algorithmE0ELj4294967295EEENS1_25partition_config_selectorILNS1_17partition_subalgoE3EjNS0_10empty_typeEbEEZZNS1_14partition_implILS8_3ELb0ES6_jNS0_17counting_iteratorIjlEEPS9_SE_NS0_5tupleIJPjSE_EEENSF_IJSE_SE_EEES9_SG_JZNS1_25segmented_radix_sort_implINS0_14default_configELb1EPKfPfPKlPlN2at6native12_GLOBAL__N_18offset_tEEE10hipError_tPvRmT1_PNSt15iterator_traitsISY_E10value_typeET2_T3_PNSZ_IS14_E10value_typeET4_jRbjT5_S1A_jjP12ihipStream_tbEUljE_EEESV_SW_SX_S14_S18_S1A_T6_T7_T9_mT8_S1C_bDpT10_ENKUlT_T0_E_clISt17integral_constantIbLb0EES1P_EEDaS1K_S1L_EUlS1K_E_NS1_11comp_targetILNS1_3genE10ELNS1_11target_archE1200ELNS1_3gpuE4ELNS1_3repE0EEENS1_30default_config_static_selectorELNS0_4arch9wavefront6targetE0EEEvSY_.has_dyn_sized_stack, 0
	.set _ZN7rocprim17ROCPRIM_400000_NS6detail17trampoline_kernelINS0_13select_configILj256ELj13ELNS0_17block_load_methodE3ELS4_3ELS4_3ELNS0_20block_scan_algorithmE0ELj4294967295EEENS1_25partition_config_selectorILNS1_17partition_subalgoE3EjNS0_10empty_typeEbEEZZNS1_14partition_implILS8_3ELb0ES6_jNS0_17counting_iteratorIjlEEPS9_SE_NS0_5tupleIJPjSE_EEENSF_IJSE_SE_EEES9_SG_JZNS1_25segmented_radix_sort_implINS0_14default_configELb1EPKfPfPKlPlN2at6native12_GLOBAL__N_18offset_tEEE10hipError_tPvRmT1_PNSt15iterator_traitsISY_E10value_typeET2_T3_PNSZ_IS14_E10value_typeET4_jRbjT5_S1A_jjP12ihipStream_tbEUljE_EEESV_SW_SX_S14_S18_S1A_T6_T7_T9_mT8_S1C_bDpT10_ENKUlT_T0_E_clISt17integral_constantIbLb0EES1P_EEDaS1K_S1L_EUlS1K_E_NS1_11comp_targetILNS1_3genE10ELNS1_11target_archE1200ELNS1_3gpuE4ELNS1_3repE0EEENS1_30default_config_static_selectorELNS0_4arch9wavefront6targetE0EEEvSY_.has_recursion, 0
	.set _ZN7rocprim17ROCPRIM_400000_NS6detail17trampoline_kernelINS0_13select_configILj256ELj13ELNS0_17block_load_methodE3ELS4_3ELS4_3ELNS0_20block_scan_algorithmE0ELj4294967295EEENS1_25partition_config_selectorILNS1_17partition_subalgoE3EjNS0_10empty_typeEbEEZZNS1_14partition_implILS8_3ELb0ES6_jNS0_17counting_iteratorIjlEEPS9_SE_NS0_5tupleIJPjSE_EEENSF_IJSE_SE_EEES9_SG_JZNS1_25segmented_radix_sort_implINS0_14default_configELb1EPKfPfPKlPlN2at6native12_GLOBAL__N_18offset_tEEE10hipError_tPvRmT1_PNSt15iterator_traitsISY_E10value_typeET2_T3_PNSZ_IS14_E10value_typeET4_jRbjT5_S1A_jjP12ihipStream_tbEUljE_EEESV_SW_SX_S14_S18_S1A_T6_T7_T9_mT8_S1C_bDpT10_ENKUlT_T0_E_clISt17integral_constantIbLb0EES1P_EEDaS1K_S1L_EUlS1K_E_NS1_11comp_targetILNS1_3genE10ELNS1_11target_archE1200ELNS1_3gpuE4ELNS1_3repE0EEENS1_30default_config_static_selectorELNS0_4arch9wavefront6targetE0EEEvSY_.has_indirect_call, 0
	.section	.AMDGPU.csdata,"",@progbits
; Kernel info:
; codeLenInByte = 10676
; TotalNumSgprs: 28
; NumVgprs: 69
; ScratchSize: 0
; MemoryBound: 0
; FloatMode: 240
; IeeeMode: 1
; LDSByteSize: 13320 bytes/workgroup (compile time only)
; SGPRBlocks: 0
; VGPRBlocks: 8
; NumSGPRsForWavesPerEU: 28
; NumVGPRsForWavesPerEU: 69
; Occupancy: 16
; WaveLimiterHint : 0
; COMPUTE_PGM_RSRC2:SCRATCH_EN: 0
; COMPUTE_PGM_RSRC2:USER_SGPR: 2
; COMPUTE_PGM_RSRC2:TRAP_HANDLER: 0
; COMPUTE_PGM_RSRC2:TGID_X_EN: 1
; COMPUTE_PGM_RSRC2:TGID_Y_EN: 0
; COMPUTE_PGM_RSRC2:TGID_Z_EN: 0
; COMPUTE_PGM_RSRC2:TIDIG_COMP_CNT: 0
	.section	.text._ZN7rocprim17ROCPRIM_400000_NS6detail17trampoline_kernelINS0_13select_configILj256ELj13ELNS0_17block_load_methodE3ELS4_3ELS4_3ELNS0_20block_scan_algorithmE0ELj4294967295EEENS1_25partition_config_selectorILNS1_17partition_subalgoE3EjNS0_10empty_typeEbEEZZNS1_14partition_implILS8_3ELb0ES6_jNS0_17counting_iteratorIjlEEPS9_SE_NS0_5tupleIJPjSE_EEENSF_IJSE_SE_EEES9_SG_JZNS1_25segmented_radix_sort_implINS0_14default_configELb1EPKfPfPKlPlN2at6native12_GLOBAL__N_18offset_tEEE10hipError_tPvRmT1_PNSt15iterator_traitsISY_E10value_typeET2_T3_PNSZ_IS14_E10value_typeET4_jRbjT5_S1A_jjP12ihipStream_tbEUljE_EEESV_SW_SX_S14_S18_S1A_T6_T7_T9_mT8_S1C_bDpT10_ENKUlT_T0_E_clISt17integral_constantIbLb0EES1P_EEDaS1K_S1L_EUlS1K_E_NS1_11comp_targetILNS1_3genE9ELNS1_11target_archE1100ELNS1_3gpuE3ELNS1_3repE0EEENS1_30default_config_static_selectorELNS0_4arch9wavefront6targetE0EEEvSY_,"axG",@progbits,_ZN7rocprim17ROCPRIM_400000_NS6detail17trampoline_kernelINS0_13select_configILj256ELj13ELNS0_17block_load_methodE3ELS4_3ELS4_3ELNS0_20block_scan_algorithmE0ELj4294967295EEENS1_25partition_config_selectorILNS1_17partition_subalgoE3EjNS0_10empty_typeEbEEZZNS1_14partition_implILS8_3ELb0ES6_jNS0_17counting_iteratorIjlEEPS9_SE_NS0_5tupleIJPjSE_EEENSF_IJSE_SE_EEES9_SG_JZNS1_25segmented_radix_sort_implINS0_14default_configELb1EPKfPfPKlPlN2at6native12_GLOBAL__N_18offset_tEEE10hipError_tPvRmT1_PNSt15iterator_traitsISY_E10value_typeET2_T3_PNSZ_IS14_E10value_typeET4_jRbjT5_S1A_jjP12ihipStream_tbEUljE_EEESV_SW_SX_S14_S18_S1A_T6_T7_T9_mT8_S1C_bDpT10_ENKUlT_T0_E_clISt17integral_constantIbLb0EES1P_EEDaS1K_S1L_EUlS1K_E_NS1_11comp_targetILNS1_3genE9ELNS1_11target_archE1100ELNS1_3gpuE3ELNS1_3repE0EEENS1_30default_config_static_selectorELNS0_4arch9wavefront6targetE0EEEvSY_,comdat
	.globl	_ZN7rocprim17ROCPRIM_400000_NS6detail17trampoline_kernelINS0_13select_configILj256ELj13ELNS0_17block_load_methodE3ELS4_3ELS4_3ELNS0_20block_scan_algorithmE0ELj4294967295EEENS1_25partition_config_selectorILNS1_17partition_subalgoE3EjNS0_10empty_typeEbEEZZNS1_14partition_implILS8_3ELb0ES6_jNS0_17counting_iteratorIjlEEPS9_SE_NS0_5tupleIJPjSE_EEENSF_IJSE_SE_EEES9_SG_JZNS1_25segmented_radix_sort_implINS0_14default_configELb1EPKfPfPKlPlN2at6native12_GLOBAL__N_18offset_tEEE10hipError_tPvRmT1_PNSt15iterator_traitsISY_E10value_typeET2_T3_PNSZ_IS14_E10value_typeET4_jRbjT5_S1A_jjP12ihipStream_tbEUljE_EEESV_SW_SX_S14_S18_S1A_T6_T7_T9_mT8_S1C_bDpT10_ENKUlT_T0_E_clISt17integral_constantIbLb0EES1P_EEDaS1K_S1L_EUlS1K_E_NS1_11comp_targetILNS1_3genE9ELNS1_11target_archE1100ELNS1_3gpuE3ELNS1_3repE0EEENS1_30default_config_static_selectorELNS0_4arch9wavefront6targetE0EEEvSY_ ; -- Begin function _ZN7rocprim17ROCPRIM_400000_NS6detail17trampoline_kernelINS0_13select_configILj256ELj13ELNS0_17block_load_methodE3ELS4_3ELS4_3ELNS0_20block_scan_algorithmE0ELj4294967295EEENS1_25partition_config_selectorILNS1_17partition_subalgoE3EjNS0_10empty_typeEbEEZZNS1_14partition_implILS8_3ELb0ES6_jNS0_17counting_iteratorIjlEEPS9_SE_NS0_5tupleIJPjSE_EEENSF_IJSE_SE_EEES9_SG_JZNS1_25segmented_radix_sort_implINS0_14default_configELb1EPKfPfPKlPlN2at6native12_GLOBAL__N_18offset_tEEE10hipError_tPvRmT1_PNSt15iterator_traitsISY_E10value_typeET2_T3_PNSZ_IS14_E10value_typeET4_jRbjT5_S1A_jjP12ihipStream_tbEUljE_EEESV_SW_SX_S14_S18_S1A_T6_T7_T9_mT8_S1C_bDpT10_ENKUlT_T0_E_clISt17integral_constantIbLb0EES1P_EEDaS1K_S1L_EUlS1K_E_NS1_11comp_targetILNS1_3genE9ELNS1_11target_archE1100ELNS1_3gpuE3ELNS1_3repE0EEENS1_30default_config_static_selectorELNS0_4arch9wavefront6targetE0EEEvSY_
	.p2align	8
	.type	_ZN7rocprim17ROCPRIM_400000_NS6detail17trampoline_kernelINS0_13select_configILj256ELj13ELNS0_17block_load_methodE3ELS4_3ELS4_3ELNS0_20block_scan_algorithmE0ELj4294967295EEENS1_25partition_config_selectorILNS1_17partition_subalgoE3EjNS0_10empty_typeEbEEZZNS1_14partition_implILS8_3ELb0ES6_jNS0_17counting_iteratorIjlEEPS9_SE_NS0_5tupleIJPjSE_EEENSF_IJSE_SE_EEES9_SG_JZNS1_25segmented_radix_sort_implINS0_14default_configELb1EPKfPfPKlPlN2at6native12_GLOBAL__N_18offset_tEEE10hipError_tPvRmT1_PNSt15iterator_traitsISY_E10value_typeET2_T3_PNSZ_IS14_E10value_typeET4_jRbjT5_S1A_jjP12ihipStream_tbEUljE_EEESV_SW_SX_S14_S18_S1A_T6_T7_T9_mT8_S1C_bDpT10_ENKUlT_T0_E_clISt17integral_constantIbLb0EES1P_EEDaS1K_S1L_EUlS1K_E_NS1_11comp_targetILNS1_3genE9ELNS1_11target_archE1100ELNS1_3gpuE3ELNS1_3repE0EEENS1_30default_config_static_selectorELNS0_4arch9wavefront6targetE0EEEvSY_,@function
_ZN7rocprim17ROCPRIM_400000_NS6detail17trampoline_kernelINS0_13select_configILj256ELj13ELNS0_17block_load_methodE3ELS4_3ELS4_3ELNS0_20block_scan_algorithmE0ELj4294967295EEENS1_25partition_config_selectorILNS1_17partition_subalgoE3EjNS0_10empty_typeEbEEZZNS1_14partition_implILS8_3ELb0ES6_jNS0_17counting_iteratorIjlEEPS9_SE_NS0_5tupleIJPjSE_EEENSF_IJSE_SE_EEES9_SG_JZNS1_25segmented_radix_sort_implINS0_14default_configELb1EPKfPfPKlPlN2at6native12_GLOBAL__N_18offset_tEEE10hipError_tPvRmT1_PNSt15iterator_traitsISY_E10value_typeET2_T3_PNSZ_IS14_E10value_typeET4_jRbjT5_S1A_jjP12ihipStream_tbEUljE_EEESV_SW_SX_S14_S18_S1A_T6_T7_T9_mT8_S1C_bDpT10_ENKUlT_T0_E_clISt17integral_constantIbLb0EES1P_EEDaS1K_S1L_EUlS1K_E_NS1_11comp_targetILNS1_3genE9ELNS1_11target_archE1100ELNS1_3gpuE3ELNS1_3repE0EEENS1_30default_config_static_selectorELNS0_4arch9wavefront6targetE0EEEvSY_: ; @_ZN7rocprim17ROCPRIM_400000_NS6detail17trampoline_kernelINS0_13select_configILj256ELj13ELNS0_17block_load_methodE3ELS4_3ELS4_3ELNS0_20block_scan_algorithmE0ELj4294967295EEENS1_25partition_config_selectorILNS1_17partition_subalgoE3EjNS0_10empty_typeEbEEZZNS1_14partition_implILS8_3ELb0ES6_jNS0_17counting_iteratorIjlEEPS9_SE_NS0_5tupleIJPjSE_EEENSF_IJSE_SE_EEES9_SG_JZNS1_25segmented_radix_sort_implINS0_14default_configELb1EPKfPfPKlPlN2at6native12_GLOBAL__N_18offset_tEEE10hipError_tPvRmT1_PNSt15iterator_traitsISY_E10value_typeET2_T3_PNSZ_IS14_E10value_typeET4_jRbjT5_S1A_jjP12ihipStream_tbEUljE_EEESV_SW_SX_S14_S18_S1A_T6_T7_T9_mT8_S1C_bDpT10_ENKUlT_T0_E_clISt17integral_constantIbLb0EES1P_EEDaS1K_S1L_EUlS1K_E_NS1_11comp_targetILNS1_3genE9ELNS1_11target_archE1100ELNS1_3gpuE3ELNS1_3repE0EEENS1_30default_config_static_selectorELNS0_4arch9wavefront6targetE0EEEvSY_
; %bb.0:
	.section	.rodata,"a",@progbits
	.p2align	6, 0x0
	.amdhsa_kernel _ZN7rocprim17ROCPRIM_400000_NS6detail17trampoline_kernelINS0_13select_configILj256ELj13ELNS0_17block_load_methodE3ELS4_3ELS4_3ELNS0_20block_scan_algorithmE0ELj4294967295EEENS1_25partition_config_selectorILNS1_17partition_subalgoE3EjNS0_10empty_typeEbEEZZNS1_14partition_implILS8_3ELb0ES6_jNS0_17counting_iteratorIjlEEPS9_SE_NS0_5tupleIJPjSE_EEENSF_IJSE_SE_EEES9_SG_JZNS1_25segmented_radix_sort_implINS0_14default_configELb1EPKfPfPKlPlN2at6native12_GLOBAL__N_18offset_tEEE10hipError_tPvRmT1_PNSt15iterator_traitsISY_E10value_typeET2_T3_PNSZ_IS14_E10value_typeET4_jRbjT5_S1A_jjP12ihipStream_tbEUljE_EEESV_SW_SX_S14_S18_S1A_T6_T7_T9_mT8_S1C_bDpT10_ENKUlT_T0_E_clISt17integral_constantIbLb0EES1P_EEDaS1K_S1L_EUlS1K_E_NS1_11comp_targetILNS1_3genE9ELNS1_11target_archE1100ELNS1_3gpuE3ELNS1_3repE0EEENS1_30default_config_static_selectorELNS0_4arch9wavefront6targetE0EEEvSY_
		.amdhsa_group_segment_fixed_size 0
		.amdhsa_private_segment_fixed_size 0
		.amdhsa_kernarg_size 144
		.amdhsa_user_sgpr_count 2
		.amdhsa_user_sgpr_dispatch_ptr 0
		.amdhsa_user_sgpr_queue_ptr 0
		.amdhsa_user_sgpr_kernarg_segment_ptr 1
		.amdhsa_user_sgpr_dispatch_id 0
		.amdhsa_user_sgpr_private_segment_size 0
		.amdhsa_wavefront_size32 1
		.amdhsa_uses_dynamic_stack 0
		.amdhsa_enable_private_segment 0
		.amdhsa_system_sgpr_workgroup_id_x 1
		.amdhsa_system_sgpr_workgroup_id_y 0
		.amdhsa_system_sgpr_workgroup_id_z 0
		.amdhsa_system_sgpr_workgroup_info 0
		.amdhsa_system_vgpr_workitem_id 0
		.amdhsa_next_free_vgpr 1
		.amdhsa_next_free_sgpr 1
		.amdhsa_reserve_vcc 0
		.amdhsa_float_round_mode_32 0
		.amdhsa_float_round_mode_16_64 0
		.amdhsa_float_denorm_mode_32 3
		.amdhsa_float_denorm_mode_16_64 3
		.amdhsa_fp16_overflow 0
		.amdhsa_workgroup_processor_mode 1
		.amdhsa_memory_ordered 1
		.amdhsa_forward_progress 1
		.amdhsa_inst_pref_size 0
		.amdhsa_round_robin_scheduling 0
		.amdhsa_exception_fp_ieee_invalid_op 0
		.amdhsa_exception_fp_denorm_src 0
		.amdhsa_exception_fp_ieee_div_zero 0
		.amdhsa_exception_fp_ieee_overflow 0
		.amdhsa_exception_fp_ieee_underflow 0
		.amdhsa_exception_fp_ieee_inexact 0
		.amdhsa_exception_int_div_zero 0
	.end_amdhsa_kernel
	.section	.text._ZN7rocprim17ROCPRIM_400000_NS6detail17trampoline_kernelINS0_13select_configILj256ELj13ELNS0_17block_load_methodE3ELS4_3ELS4_3ELNS0_20block_scan_algorithmE0ELj4294967295EEENS1_25partition_config_selectorILNS1_17partition_subalgoE3EjNS0_10empty_typeEbEEZZNS1_14partition_implILS8_3ELb0ES6_jNS0_17counting_iteratorIjlEEPS9_SE_NS0_5tupleIJPjSE_EEENSF_IJSE_SE_EEES9_SG_JZNS1_25segmented_radix_sort_implINS0_14default_configELb1EPKfPfPKlPlN2at6native12_GLOBAL__N_18offset_tEEE10hipError_tPvRmT1_PNSt15iterator_traitsISY_E10value_typeET2_T3_PNSZ_IS14_E10value_typeET4_jRbjT5_S1A_jjP12ihipStream_tbEUljE_EEESV_SW_SX_S14_S18_S1A_T6_T7_T9_mT8_S1C_bDpT10_ENKUlT_T0_E_clISt17integral_constantIbLb0EES1P_EEDaS1K_S1L_EUlS1K_E_NS1_11comp_targetILNS1_3genE9ELNS1_11target_archE1100ELNS1_3gpuE3ELNS1_3repE0EEENS1_30default_config_static_selectorELNS0_4arch9wavefront6targetE0EEEvSY_,"axG",@progbits,_ZN7rocprim17ROCPRIM_400000_NS6detail17trampoline_kernelINS0_13select_configILj256ELj13ELNS0_17block_load_methodE3ELS4_3ELS4_3ELNS0_20block_scan_algorithmE0ELj4294967295EEENS1_25partition_config_selectorILNS1_17partition_subalgoE3EjNS0_10empty_typeEbEEZZNS1_14partition_implILS8_3ELb0ES6_jNS0_17counting_iteratorIjlEEPS9_SE_NS0_5tupleIJPjSE_EEENSF_IJSE_SE_EEES9_SG_JZNS1_25segmented_radix_sort_implINS0_14default_configELb1EPKfPfPKlPlN2at6native12_GLOBAL__N_18offset_tEEE10hipError_tPvRmT1_PNSt15iterator_traitsISY_E10value_typeET2_T3_PNSZ_IS14_E10value_typeET4_jRbjT5_S1A_jjP12ihipStream_tbEUljE_EEESV_SW_SX_S14_S18_S1A_T6_T7_T9_mT8_S1C_bDpT10_ENKUlT_T0_E_clISt17integral_constantIbLb0EES1P_EEDaS1K_S1L_EUlS1K_E_NS1_11comp_targetILNS1_3genE9ELNS1_11target_archE1100ELNS1_3gpuE3ELNS1_3repE0EEENS1_30default_config_static_selectorELNS0_4arch9wavefront6targetE0EEEvSY_,comdat
.Lfunc_end1299:
	.size	_ZN7rocprim17ROCPRIM_400000_NS6detail17trampoline_kernelINS0_13select_configILj256ELj13ELNS0_17block_load_methodE3ELS4_3ELS4_3ELNS0_20block_scan_algorithmE0ELj4294967295EEENS1_25partition_config_selectorILNS1_17partition_subalgoE3EjNS0_10empty_typeEbEEZZNS1_14partition_implILS8_3ELb0ES6_jNS0_17counting_iteratorIjlEEPS9_SE_NS0_5tupleIJPjSE_EEENSF_IJSE_SE_EEES9_SG_JZNS1_25segmented_radix_sort_implINS0_14default_configELb1EPKfPfPKlPlN2at6native12_GLOBAL__N_18offset_tEEE10hipError_tPvRmT1_PNSt15iterator_traitsISY_E10value_typeET2_T3_PNSZ_IS14_E10value_typeET4_jRbjT5_S1A_jjP12ihipStream_tbEUljE_EEESV_SW_SX_S14_S18_S1A_T6_T7_T9_mT8_S1C_bDpT10_ENKUlT_T0_E_clISt17integral_constantIbLb0EES1P_EEDaS1K_S1L_EUlS1K_E_NS1_11comp_targetILNS1_3genE9ELNS1_11target_archE1100ELNS1_3gpuE3ELNS1_3repE0EEENS1_30default_config_static_selectorELNS0_4arch9wavefront6targetE0EEEvSY_, .Lfunc_end1299-_ZN7rocprim17ROCPRIM_400000_NS6detail17trampoline_kernelINS0_13select_configILj256ELj13ELNS0_17block_load_methodE3ELS4_3ELS4_3ELNS0_20block_scan_algorithmE0ELj4294967295EEENS1_25partition_config_selectorILNS1_17partition_subalgoE3EjNS0_10empty_typeEbEEZZNS1_14partition_implILS8_3ELb0ES6_jNS0_17counting_iteratorIjlEEPS9_SE_NS0_5tupleIJPjSE_EEENSF_IJSE_SE_EEES9_SG_JZNS1_25segmented_radix_sort_implINS0_14default_configELb1EPKfPfPKlPlN2at6native12_GLOBAL__N_18offset_tEEE10hipError_tPvRmT1_PNSt15iterator_traitsISY_E10value_typeET2_T3_PNSZ_IS14_E10value_typeET4_jRbjT5_S1A_jjP12ihipStream_tbEUljE_EEESV_SW_SX_S14_S18_S1A_T6_T7_T9_mT8_S1C_bDpT10_ENKUlT_T0_E_clISt17integral_constantIbLb0EES1P_EEDaS1K_S1L_EUlS1K_E_NS1_11comp_targetILNS1_3genE9ELNS1_11target_archE1100ELNS1_3gpuE3ELNS1_3repE0EEENS1_30default_config_static_selectorELNS0_4arch9wavefront6targetE0EEEvSY_
                                        ; -- End function
	.set _ZN7rocprim17ROCPRIM_400000_NS6detail17trampoline_kernelINS0_13select_configILj256ELj13ELNS0_17block_load_methodE3ELS4_3ELS4_3ELNS0_20block_scan_algorithmE0ELj4294967295EEENS1_25partition_config_selectorILNS1_17partition_subalgoE3EjNS0_10empty_typeEbEEZZNS1_14partition_implILS8_3ELb0ES6_jNS0_17counting_iteratorIjlEEPS9_SE_NS0_5tupleIJPjSE_EEENSF_IJSE_SE_EEES9_SG_JZNS1_25segmented_radix_sort_implINS0_14default_configELb1EPKfPfPKlPlN2at6native12_GLOBAL__N_18offset_tEEE10hipError_tPvRmT1_PNSt15iterator_traitsISY_E10value_typeET2_T3_PNSZ_IS14_E10value_typeET4_jRbjT5_S1A_jjP12ihipStream_tbEUljE_EEESV_SW_SX_S14_S18_S1A_T6_T7_T9_mT8_S1C_bDpT10_ENKUlT_T0_E_clISt17integral_constantIbLb0EES1P_EEDaS1K_S1L_EUlS1K_E_NS1_11comp_targetILNS1_3genE9ELNS1_11target_archE1100ELNS1_3gpuE3ELNS1_3repE0EEENS1_30default_config_static_selectorELNS0_4arch9wavefront6targetE0EEEvSY_.num_vgpr, 0
	.set _ZN7rocprim17ROCPRIM_400000_NS6detail17trampoline_kernelINS0_13select_configILj256ELj13ELNS0_17block_load_methodE3ELS4_3ELS4_3ELNS0_20block_scan_algorithmE0ELj4294967295EEENS1_25partition_config_selectorILNS1_17partition_subalgoE3EjNS0_10empty_typeEbEEZZNS1_14partition_implILS8_3ELb0ES6_jNS0_17counting_iteratorIjlEEPS9_SE_NS0_5tupleIJPjSE_EEENSF_IJSE_SE_EEES9_SG_JZNS1_25segmented_radix_sort_implINS0_14default_configELb1EPKfPfPKlPlN2at6native12_GLOBAL__N_18offset_tEEE10hipError_tPvRmT1_PNSt15iterator_traitsISY_E10value_typeET2_T3_PNSZ_IS14_E10value_typeET4_jRbjT5_S1A_jjP12ihipStream_tbEUljE_EEESV_SW_SX_S14_S18_S1A_T6_T7_T9_mT8_S1C_bDpT10_ENKUlT_T0_E_clISt17integral_constantIbLb0EES1P_EEDaS1K_S1L_EUlS1K_E_NS1_11comp_targetILNS1_3genE9ELNS1_11target_archE1100ELNS1_3gpuE3ELNS1_3repE0EEENS1_30default_config_static_selectorELNS0_4arch9wavefront6targetE0EEEvSY_.num_agpr, 0
	.set _ZN7rocprim17ROCPRIM_400000_NS6detail17trampoline_kernelINS0_13select_configILj256ELj13ELNS0_17block_load_methodE3ELS4_3ELS4_3ELNS0_20block_scan_algorithmE0ELj4294967295EEENS1_25partition_config_selectorILNS1_17partition_subalgoE3EjNS0_10empty_typeEbEEZZNS1_14partition_implILS8_3ELb0ES6_jNS0_17counting_iteratorIjlEEPS9_SE_NS0_5tupleIJPjSE_EEENSF_IJSE_SE_EEES9_SG_JZNS1_25segmented_radix_sort_implINS0_14default_configELb1EPKfPfPKlPlN2at6native12_GLOBAL__N_18offset_tEEE10hipError_tPvRmT1_PNSt15iterator_traitsISY_E10value_typeET2_T3_PNSZ_IS14_E10value_typeET4_jRbjT5_S1A_jjP12ihipStream_tbEUljE_EEESV_SW_SX_S14_S18_S1A_T6_T7_T9_mT8_S1C_bDpT10_ENKUlT_T0_E_clISt17integral_constantIbLb0EES1P_EEDaS1K_S1L_EUlS1K_E_NS1_11comp_targetILNS1_3genE9ELNS1_11target_archE1100ELNS1_3gpuE3ELNS1_3repE0EEENS1_30default_config_static_selectorELNS0_4arch9wavefront6targetE0EEEvSY_.numbered_sgpr, 0
	.set _ZN7rocprim17ROCPRIM_400000_NS6detail17trampoline_kernelINS0_13select_configILj256ELj13ELNS0_17block_load_methodE3ELS4_3ELS4_3ELNS0_20block_scan_algorithmE0ELj4294967295EEENS1_25partition_config_selectorILNS1_17partition_subalgoE3EjNS0_10empty_typeEbEEZZNS1_14partition_implILS8_3ELb0ES6_jNS0_17counting_iteratorIjlEEPS9_SE_NS0_5tupleIJPjSE_EEENSF_IJSE_SE_EEES9_SG_JZNS1_25segmented_radix_sort_implINS0_14default_configELb1EPKfPfPKlPlN2at6native12_GLOBAL__N_18offset_tEEE10hipError_tPvRmT1_PNSt15iterator_traitsISY_E10value_typeET2_T3_PNSZ_IS14_E10value_typeET4_jRbjT5_S1A_jjP12ihipStream_tbEUljE_EEESV_SW_SX_S14_S18_S1A_T6_T7_T9_mT8_S1C_bDpT10_ENKUlT_T0_E_clISt17integral_constantIbLb0EES1P_EEDaS1K_S1L_EUlS1K_E_NS1_11comp_targetILNS1_3genE9ELNS1_11target_archE1100ELNS1_3gpuE3ELNS1_3repE0EEENS1_30default_config_static_selectorELNS0_4arch9wavefront6targetE0EEEvSY_.num_named_barrier, 0
	.set _ZN7rocprim17ROCPRIM_400000_NS6detail17trampoline_kernelINS0_13select_configILj256ELj13ELNS0_17block_load_methodE3ELS4_3ELS4_3ELNS0_20block_scan_algorithmE0ELj4294967295EEENS1_25partition_config_selectorILNS1_17partition_subalgoE3EjNS0_10empty_typeEbEEZZNS1_14partition_implILS8_3ELb0ES6_jNS0_17counting_iteratorIjlEEPS9_SE_NS0_5tupleIJPjSE_EEENSF_IJSE_SE_EEES9_SG_JZNS1_25segmented_radix_sort_implINS0_14default_configELb1EPKfPfPKlPlN2at6native12_GLOBAL__N_18offset_tEEE10hipError_tPvRmT1_PNSt15iterator_traitsISY_E10value_typeET2_T3_PNSZ_IS14_E10value_typeET4_jRbjT5_S1A_jjP12ihipStream_tbEUljE_EEESV_SW_SX_S14_S18_S1A_T6_T7_T9_mT8_S1C_bDpT10_ENKUlT_T0_E_clISt17integral_constantIbLb0EES1P_EEDaS1K_S1L_EUlS1K_E_NS1_11comp_targetILNS1_3genE9ELNS1_11target_archE1100ELNS1_3gpuE3ELNS1_3repE0EEENS1_30default_config_static_selectorELNS0_4arch9wavefront6targetE0EEEvSY_.private_seg_size, 0
	.set _ZN7rocprim17ROCPRIM_400000_NS6detail17trampoline_kernelINS0_13select_configILj256ELj13ELNS0_17block_load_methodE3ELS4_3ELS4_3ELNS0_20block_scan_algorithmE0ELj4294967295EEENS1_25partition_config_selectorILNS1_17partition_subalgoE3EjNS0_10empty_typeEbEEZZNS1_14partition_implILS8_3ELb0ES6_jNS0_17counting_iteratorIjlEEPS9_SE_NS0_5tupleIJPjSE_EEENSF_IJSE_SE_EEES9_SG_JZNS1_25segmented_radix_sort_implINS0_14default_configELb1EPKfPfPKlPlN2at6native12_GLOBAL__N_18offset_tEEE10hipError_tPvRmT1_PNSt15iterator_traitsISY_E10value_typeET2_T3_PNSZ_IS14_E10value_typeET4_jRbjT5_S1A_jjP12ihipStream_tbEUljE_EEESV_SW_SX_S14_S18_S1A_T6_T7_T9_mT8_S1C_bDpT10_ENKUlT_T0_E_clISt17integral_constantIbLb0EES1P_EEDaS1K_S1L_EUlS1K_E_NS1_11comp_targetILNS1_3genE9ELNS1_11target_archE1100ELNS1_3gpuE3ELNS1_3repE0EEENS1_30default_config_static_selectorELNS0_4arch9wavefront6targetE0EEEvSY_.uses_vcc, 0
	.set _ZN7rocprim17ROCPRIM_400000_NS6detail17trampoline_kernelINS0_13select_configILj256ELj13ELNS0_17block_load_methodE3ELS4_3ELS4_3ELNS0_20block_scan_algorithmE0ELj4294967295EEENS1_25partition_config_selectorILNS1_17partition_subalgoE3EjNS0_10empty_typeEbEEZZNS1_14partition_implILS8_3ELb0ES6_jNS0_17counting_iteratorIjlEEPS9_SE_NS0_5tupleIJPjSE_EEENSF_IJSE_SE_EEES9_SG_JZNS1_25segmented_radix_sort_implINS0_14default_configELb1EPKfPfPKlPlN2at6native12_GLOBAL__N_18offset_tEEE10hipError_tPvRmT1_PNSt15iterator_traitsISY_E10value_typeET2_T3_PNSZ_IS14_E10value_typeET4_jRbjT5_S1A_jjP12ihipStream_tbEUljE_EEESV_SW_SX_S14_S18_S1A_T6_T7_T9_mT8_S1C_bDpT10_ENKUlT_T0_E_clISt17integral_constantIbLb0EES1P_EEDaS1K_S1L_EUlS1K_E_NS1_11comp_targetILNS1_3genE9ELNS1_11target_archE1100ELNS1_3gpuE3ELNS1_3repE0EEENS1_30default_config_static_selectorELNS0_4arch9wavefront6targetE0EEEvSY_.uses_flat_scratch, 0
	.set _ZN7rocprim17ROCPRIM_400000_NS6detail17trampoline_kernelINS0_13select_configILj256ELj13ELNS0_17block_load_methodE3ELS4_3ELS4_3ELNS0_20block_scan_algorithmE0ELj4294967295EEENS1_25partition_config_selectorILNS1_17partition_subalgoE3EjNS0_10empty_typeEbEEZZNS1_14partition_implILS8_3ELb0ES6_jNS0_17counting_iteratorIjlEEPS9_SE_NS0_5tupleIJPjSE_EEENSF_IJSE_SE_EEES9_SG_JZNS1_25segmented_radix_sort_implINS0_14default_configELb1EPKfPfPKlPlN2at6native12_GLOBAL__N_18offset_tEEE10hipError_tPvRmT1_PNSt15iterator_traitsISY_E10value_typeET2_T3_PNSZ_IS14_E10value_typeET4_jRbjT5_S1A_jjP12ihipStream_tbEUljE_EEESV_SW_SX_S14_S18_S1A_T6_T7_T9_mT8_S1C_bDpT10_ENKUlT_T0_E_clISt17integral_constantIbLb0EES1P_EEDaS1K_S1L_EUlS1K_E_NS1_11comp_targetILNS1_3genE9ELNS1_11target_archE1100ELNS1_3gpuE3ELNS1_3repE0EEENS1_30default_config_static_selectorELNS0_4arch9wavefront6targetE0EEEvSY_.has_dyn_sized_stack, 0
	.set _ZN7rocprim17ROCPRIM_400000_NS6detail17trampoline_kernelINS0_13select_configILj256ELj13ELNS0_17block_load_methodE3ELS4_3ELS4_3ELNS0_20block_scan_algorithmE0ELj4294967295EEENS1_25partition_config_selectorILNS1_17partition_subalgoE3EjNS0_10empty_typeEbEEZZNS1_14partition_implILS8_3ELb0ES6_jNS0_17counting_iteratorIjlEEPS9_SE_NS0_5tupleIJPjSE_EEENSF_IJSE_SE_EEES9_SG_JZNS1_25segmented_radix_sort_implINS0_14default_configELb1EPKfPfPKlPlN2at6native12_GLOBAL__N_18offset_tEEE10hipError_tPvRmT1_PNSt15iterator_traitsISY_E10value_typeET2_T3_PNSZ_IS14_E10value_typeET4_jRbjT5_S1A_jjP12ihipStream_tbEUljE_EEESV_SW_SX_S14_S18_S1A_T6_T7_T9_mT8_S1C_bDpT10_ENKUlT_T0_E_clISt17integral_constantIbLb0EES1P_EEDaS1K_S1L_EUlS1K_E_NS1_11comp_targetILNS1_3genE9ELNS1_11target_archE1100ELNS1_3gpuE3ELNS1_3repE0EEENS1_30default_config_static_selectorELNS0_4arch9wavefront6targetE0EEEvSY_.has_recursion, 0
	.set _ZN7rocprim17ROCPRIM_400000_NS6detail17trampoline_kernelINS0_13select_configILj256ELj13ELNS0_17block_load_methodE3ELS4_3ELS4_3ELNS0_20block_scan_algorithmE0ELj4294967295EEENS1_25partition_config_selectorILNS1_17partition_subalgoE3EjNS0_10empty_typeEbEEZZNS1_14partition_implILS8_3ELb0ES6_jNS0_17counting_iteratorIjlEEPS9_SE_NS0_5tupleIJPjSE_EEENSF_IJSE_SE_EEES9_SG_JZNS1_25segmented_radix_sort_implINS0_14default_configELb1EPKfPfPKlPlN2at6native12_GLOBAL__N_18offset_tEEE10hipError_tPvRmT1_PNSt15iterator_traitsISY_E10value_typeET2_T3_PNSZ_IS14_E10value_typeET4_jRbjT5_S1A_jjP12ihipStream_tbEUljE_EEESV_SW_SX_S14_S18_S1A_T6_T7_T9_mT8_S1C_bDpT10_ENKUlT_T0_E_clISt17integral_constantIbLb0EES1P_EEDaS1K_S1L_EUlS1K_E_NS1_11comp_targetILNS1_3genE9ELNS1_11target_archE1100ELNS1_3gpuE3ELNS1_3repE0EEENS1_30default_config_static_selectorELNS0_4arch9wavefront6targetE0EEEvSY_.has_indirect_call, 0
	.section	.AMDGPU.csdata,"",@progbits
; Kernel info:
; codeLenInByte = 0
; TotalNumSgprs: 0
; NumVgprs: 0
; ScratchSize: 0
; MemoryBound: 0
; FloatMode: 240
; IeeeMode: 1
; LDSByteSize: 0 bytes/workgroup (compile time only)
; SGPRBlocks: 0
; VGPRBlocks: 0
; NumSGPRsForWavesPerEU: 1
; NumVGPRsForWavesPerEU: 1
; Occupancy: 16
; WaveLimiterHint : 0
; COMPUTE_PGM_RSRC2:SCRATCH_EN: 0
; COMPUTE_PGM_RSRC2:USER_SGPR: 2
; COMPUTE_PGM_RSRC2:TRAP_HANDLER: 0
; COMPUTE_PGM_RSRC2:TGID_X_EN: 1
; COMPUTE_PGM_RSRC2:TGID_Y_EN: 0
; COMPUTE_PGM_RSRC2:TGID_Z_EN: 0
; COMPUTE_PGM_RSRC2:TIDIG_COMP_CNT: 0
	.section	.text._ZN7rocprim17ROCPRIM_400000_NS6detail17trampoline_kernelINS0_13select_configILj256ELj13ELNS0_17block_load_methodE3ELS4_3ELS4_3ELNS0_20block_scan_algorithmE0ELj4294967295EEENS1_25partition_config_selectorILNS1_17partition_subalgoE3EjNS0_10empty_typeEbEEZZNS1_14partition_implILS8_3ELb0ES6_jNS0_17counting_iteratorIjlEEPS9_SE_NS0_5tupleIJPjSE_EEENSF_IJSE_SE_EEES9_SG_JZNS1_25segmented_radix_sort_implINS0_14default_configELb1EPKfPfPKlPlN2at6native12_GLOBAL__N_18offset_tEEE10hipError_tPvRmT1_PNSt15iterator_traitsISY_E10value_typeET2_T3_PNSZ_IS14_E10value_typeET4_jRbjT5_S1A_jjP12ihipStream_tbEUljE_EEESV_SW_SX_S14_S18_S1A_T6_T7_T9_mT8_S1C_bDpT10_ENKUlT_T0_E_clISt17integral_constantIbLb0EES1P_EEDaS1K_S1L_EUlS1K_E_NS1_11comp_targetILNS1_3genE8ELNS1_11target_archE1030ELNS1_3gpuE2ELNS1_3repE0EEENS1_30default_config_static_selectorELNS0_4arch9wavefront6targetE0EEEvSY_,"axG",@progbits,_ZN7rocprim17ROCPRIM_400000_NS6detail17trampoline_kernelINS0_13select_configILj256ELj13ELNS0_17block_load_methodE3ELS4_3ELS4_3ELNS0_20block_scan_algorithmE0ELj4294967295EEENS1_25partition_config_selectorILNS1_17partition_subalgoE3EjNS0_10empty_typeEbEEZZNS1_14partition_implILS8_3ELb0ES6_jNS0_17counting_iteratorIjlEEPS9_SE_NS0_5tupleIJPjSE_EEENSF_IJSE_SE_EEES9_SG_JZNS1_25segmented_radix_sort_implINS0_14default_configELb1EPKfPfPKlPlN2at6native12_GLOBAL__N_18offset_tEEE10hipError_tPvRmT1_PNSt15iterator_traitsISY_E10value_typeET2_T3_PNSZ_IS14_E10value_typeET4_jRbjT5_S1A_jjP12ihipStream_tbEUljE_EEESV_SW_SX_S14_S18_S1A_T6_T7_T9_mT8_S1C_bDpT10_ENKUlT_T0_E_clISt17integral_constantIbLb0EES1P_EEDaS1K_S1L_EUlS1K_E_NS1_11comp_targetILNS1_3genE8ELNS1_11target_archE1030ELNS1_3gpuE2ELNS1_3repE0EEENS1_30default_config_static_selectorELNS0_4arch9wavefront6targetE0EEEvSY_,comdat
	.globl	_ZN7rocprim17ROCPRIM_400000_NS6detail17trampoline_kernelINS0_13select_configILj256ELj13ELNS0_17block_load_methodE3ELS4_3ELS4_3ELNS0_20block_scan_algorithmE0ELj4294967295EEENS1_25partition_config_selectorILNS1_17partition_subalgoE3EjNS0_10empty_typeEbEEZZNS1_14partition_implILS8_3ELb0ES6_jNS0_17counting_iteratorIjlEEPS9_SE_NS0_5tupleIJPjSE_EEENSF_IJSE_SE_EEES9_SG_JZNS1_25segmented_radix_sort_implINS0_14default_configELb1EPKfPfPKlPlN2at6native12_GLOBAL__N_18offset_tEEE10hipError_tPvRmT1_PNSt15iterator_traitsISY_E10value_typeET2_T3_PNSZ_IS14_E10value_typeET4_jRbjT5_S1A_jjP12ihipStream_tbEUljE_EEESV_SW_SX_S14_S18_S1A_T6_T7_T9_mT8_S1C_bDpT10_ENKUlT_T0_E_clISt17integral_constantIbLb0EES1P_EEDaS1K_S1L_EUlS1K_E_NS1_11comp_targetILNS1_3genE8ELNS1_11target_archE1030ELNS1_3gpuE2ELNS1_3repE0EEENS1_30default_config_static_selectorELNS0_4arch9wavefront6targetE0EEEvSY_ ; -- Begin function _ZN7rocprim17ROCPRIM_400000_NS6detail17trampoline_kernelINS0_13select_configILj256ELj13ELNS0_17block_load_methodE3ELS4_3ELS4_3ELNS0_20block_scan_algorithmE0ELj4294967295EEENS1_25partition_config_selectorILNS1_17partition_subalgoE3EjNS0_10empty_typeEbEEZZNS1_14partition_implILS8_3ELb0ES6_jNS0_17counting_iteratorIjlEEPS9_SE_NS0_5tupleIJPjSE_EEENSF_IJSE_SE_EEES9_SG_JZNS1_25segmented_radix_sort_implINS0_14default_configELb1EPKfPfPKlPlN2at6native12_GLOBAL__N_18offset_tEEE10hipError_tPvRmT1_PNSt15iterator_traitsISY_E10value_typeET2_T3_PNSZ_IS14_E10value_typeET4_jRbjT5_S1A_jjP12ihipStream_tbEUljE_EEESV_SW_SX_S14_S18_S1A_T6_T7_T9_mT8_S1C_bDpT10_ENKUlT_T0_E_clISt17integral_constantIbLb0EES1P_EEDaS1K_S1L_EUlS1K_E_NS1_11comp_targetILNS1_3genE8ELNS1_11target_archE1030ELNS1_3gpuE2ELNS1_3repE0EEENS1_30default_config_static_selectorELNS0_4arch9wavefront6targetE0EEEvSY_
	.p2align	8
	.type	_ZN7rocprim17ROCPRIM_400000_NS6detail17trampoline_kernelINS0_13select_configILj256ELj13ELNS0_17block_load_methodE3ELS4_3ELS4_3ELNS0_20block_scan_algorithmE0ELj4294967295EEENS1_25partition_config_selectorILNS1_17partition_subalgoE3EjNS0_10empty_typeEbEEZZNS1_14partition_implILS8_3ELb0ES6_jNS0_17counting_iteratorIjlEEPS9_SE_NS0_5tupleIJPjSE_EEENSF_IJSE_SE_EEES9_SG_JZNS1_25segmented_radix_sort_implINS0_14default_configELb1EPKfPfPKlPlN2at6native12_GLOBAL__N_18offset_tEEE10hipError_tPvRmT1_PNSt15iterator_traitsISY_E10value_typeET2_T3_PNSZ_IS14_E10value_typeET4_jRbjT5_S1A_jjP12ihipStream_tbEUljE_EEESV_SW_SX_S14_S18_S1A_T6_T7_T9_mT8_S1C_bDpT10_ENKUlT_T0_E_clISt17integral_constantIbLb0EES1P_EEDaS1K_S1L_EUlS1K_E_NS1_11comp_targetILNS1_3genE8ELNS1_11target_archE1030ELNS1_3gpuE2ELNS1_3repE0EEENS1_30default_config_static_selectorELNS0_4arch9wavefront6targetE0EEEvSY_,@function
_ZN7rocprim17ROCPRIM_400000_NS6detail17trampoline_kernelINS0_13select_configILj256ELj13ELNS0_17block_load_methodE3ELS4_3ELS4_3ELNS0_20block_scan_algorithmE0ELj4294967295EEENS1_25partition_config_selectorILNS1_17partition_subalgoE3EjNS0_10empty_typeEbEEZZNS1_14partition_implILS8_3ELb0ES6_jNS0_17counting_iteratorIjlEEPS9_SE_NS0_5tupleIJPjSE_EEENSF_IJSE_SE_EEES9_SG_JZNS1_25segmented_radix_sort_implINS0_14default_configELb1EPKfPfPKlPlN2at6native12_GLOBAL__N_18offset_tEEE10hipError_tPvRmT1_PNSt15iterator_traitsISY_E10value_typeET2_T3_PNSZ_IS14_E10value_typeET4_jRbjT5_S1A_jjP12ihipStream_tbEUljE_EEESV_SW_SX_S14_S18_S1A_T6_T7_T9_mT8_S1C_bDpT10_ENKUlT_T0_E_clISt17integral_constantIbLb0EES1P_EEDaS1K_S1L_EUlS1K_E_NS1_11comp_targetILNS1_3genE8ELNS1_11target_archE1030ELNS1_3gpuE2ELNS1_3repE0EEENS1_30default_config_static_selectorELNS0_4arch9wavefront6targetE0EEEvSY_: ; @_ZN7rocprim17ROCPRIM_400000_NS6detail17trampoline_kernelINS0_13select_configILj256ELj13ELNS0_17block_load_methodE3ELS4_3ELS4_3ELNS0_20block_scan_algorithmE0ELj4294967295EEENS1_25partition_config_selectorILNS1_17partition_subalgoE3EjNS0_10empty_typeEbEEZZNS1_14partition_implILS8_3ELb0ES6_jNS0_17counting_iteratorIjlEEPS9_SE_NS0_5tupleIJPjSE_EEENSF_IJSE_SE_EEES9_SG_JZNS1_25segmented_radix_sort_implINS0_14default_configELb1EPKfPfPKlPlN2at6native12_GLOBAL__N_18offset_tEEE10hipError_tPvRmT1_PNSt15iterator_traitsISY_E10value_typeET2_T3_PNSZ_IS14_E10value_typeET4_jRbjT5_S1A_jjP12ihipStream_tbEUljE_EEESV_SW_SX_S14_S18_S1A_T6_T7_T9_mT8_S1C_bDpT10_ENKUlT_T0_E_clISt17integral_constantIbLb0EES1P_EEDaS1K_S1L_EUlS1K_E_NS1_11comp_targetILNS1_3genE8ELNS1_11target_archE1030ELNS1_3gpuE2ELNS1_3repE0EEENS1_30default_config_static_selectorELNS0_4arch9wavefront6targetE0EEEvSY_
; %bb.0:
	.section	.rodata,"a",@progbits
	.p2align	6, 0x0
	.amdhsa_kernel _ZN7rocprim17ROCPRIM_400000_NS6detail17trampoline_kernelINS0_13select_configILj256ELj13ELNS0_17block_load_methodE3ELS4_3ELS4_3ELNS0_20block_scan_algorithmE0ELj4294967295EEENS1_25partition_config_selectorILNS1_17partition_subalgoE3EjNS0_10empty_typeEbEEZZNS1_14partition_implILS8_3ELb0ES6_jNS0_17counting_iteratorIjlEEPS9_SE_NS0_5tupleIJPjSE_EEENSF_IJSE_SE_EEES9_SG_JZNS1_25segmented_radix_sort_implINS0_14default_configELb1EPKfPfPKlPlN2at6native12_GLOBAL__N_18offset_tEEE10hipError_tPvRmT1_PNSt15iterator_traitsISY_E10value_typeET2_T3_PNSZ_IS14_E10value_typeET4_jRbjT5_S1A_jjP12ihipStream_tbEUljE_EEESV_SW_SX_S14_S18_S1A_T6_T7_T9_mT8_S1C_bDpT10_ENKUlT_T0_E_clISt17integral_constantIbLb0EES1P_EEDaS1K_S1L_EUlS1K_E_NS1_11comp_targetILNS1_3genE8ELNS1_11target_archE1030ELNS1_3gpuE2ELNS1_3repE0EEENS1_30default_config_static_selectorELNS0_4arch9wavefront6targetE0EEEvSY_
		.amdhsa_group_segment_fixed_size 0
		.amdhsa_private_segment_fixed_size 0
		.amdhsa_kernarg_size 144
		.amdhsa_user_sgpr_count 2
		.amdhsa_user_sgpr_dispatch_ptr 0
		.amdhsa_user_sgpr_queue_ptr 0
		.amdhsa_user_sgpr_kernarg_segment_ptr 1
		.amdhsa_user_sgpr_dispatch_id 0
		.amdhsa_user_sgpr_private_segment_size 0
		.amdhsa_wavefront_size32 1
		.amdhsa_uses_dynamic_stack 0
		.amdhsa_enable_private_segment 0
		.amdhsa_system_sgpr_workgroup_id_x 1
		.amdhsa_system_sgpr_workgroup_id_y 0
		.amdhsa_system_sgpr_workgroup_id_z 0
		.amdhsa_system_sgpr_workgroup_info 0
		.amdhsa_system_vgpr_workitem_id 0
		.amdhsa_next_free_vgpr 1
		.amdhsa_next_free_sgpr 1
		.amdhsa_reserve_vcc 0
		.amdhsa_float_round_mode_32 0
		.amdhsa_float_round_mode_16_64 0
		.amdhsa_float_denorm_mode_32 3
		.amdhsa_float_denorm_mode_16_64 3
		.amdhsa_fp16_overflow 0
		.amdhsa_workgroup_processor_mode 1
		.amdhsa_memory_ordered 1
		.amdhsa_forward_progress 1
		.amdhsa_inst_pref_size 0
		.amdhsa_round_robin_scheduling 0
		.amdhsa_exception_fp_ieee_invalid_op 0
		.amdhsa_exception_fp_denorm_src 0
		.amdhsa_exception_fp_ieee_div_zero 0
		.amdhsa_exception_fp_ieee_overflow 0
		.amdhsa_exception_fp_ieee_underflow 0
		.amdhsa_exception_fp_ieee_inexact 0
		.amdhsa_exception_int_div_zero 0
	.end_amdhsa_kernel
	.section	.text._ZN7rocprim17ROCPRIM_400000_NS6detail17trampoline_kernelINS0_13select_configILj256ELj13ELNS0_17block_load_methodE3ELS4_3ELS4_3ELNS0_20block_scan_algorithmE0ELj4294967295EEENS1_25partition_config_selectorILNS1_17partition_subalgoE3EjNS0_10empty_typeEbEEZZNS1_14partition_implILS8_3ELb0ES6_jNS0_17counting_iteratorIjlEEPS9_SE_NS0_5tupleIJPjSE_EEENSF_IJSE_SE_EEES9_SG_JZNS1_25segmented_radix_sort_implINS0_14default_configELb1EPKfPfPKlPlN2at6native12_GLOBAL__N_18offset_tEEE10hipError_tPvRmT1_PNSt15iterator_traitsISY_E10value_typeET2_T3_PNSZ_IS14_E10value_typeET4_jRbjT5_S1A_jjP12ihipStream_tbEUljE_EEESV_SW_SX_S14_S18_S1A_T6_T7_T9_mT8_S1C_bDpT10_ENKUlT_T0_E_clISt17integral_constantIbLb0EES1P_EEDaS1K_S1L_EUlS1K_E_NS1_11comp_targetILNS1_3genE8ELNS1_11target_archE1030ELNS1_3gpuE2ELNS1_3repE0EEENS1_30default_config_static_selectorELNS0_4arch9wavefront6targetE0EEEvSY_,"axG",@progbits,_ZN7rocprim17ROCPRIM_400000_NS6detail17trampoline_kernelINS0_13select_configILj256ELj13ELNS0_17block_load_methodE3ELS4_3ELS4_3ELNS0_20block_scan_algorithmE0ELj4294967295EEENS1_25partition_config_selectorILNS1_17partition_subalgoE3EjNS0_10empty_typeEbEEZZNS1_14partition_implILS8_3ELb0ES6_jNS0_17counting_iteratorIjlEEPS9_SE_NS0_5tupleIJPjSE_EEENSF_IJSE_SE_EEES9_SG_JZNS1_25segmented_radix_sort_implINS0_14default_configELb1EPKfPfPKlPlN2at6native12_GLOBAL__N_18offset_tEEE10hipError_tPvRmT1_PNSt15iterator_traitsISY_E10value_typeET2_T3_PNSZ_IS14_E10value_typeET4_jRbjT5_S1A_jjP12ihipStream_tbEUljE_EEESV_SW_SX_S14_S18_S1A_T6_T7_T9_mT8_S1C_bDpT10_ENKUlT_T0_E_clISt17integral_constantIbLb0EES1P_EEDaS1K_S1L_EUlS1K_E_NS1_11comp_targetILNS1_3genE8ELNS1_11target_archE1030ELNS1_3gpuE2ELNS1_3repE0EEENS1_30default_config_static_selectorELNS0_4arch9wavefront6targetE0EEEvSY_,comdat
.Lfunc_end1300:
	.size	_ZN7rocprim17ROCPRIM_400000_NS6detail17trampoline_kernelINS0_13select_configILj256ELj13ELNS0_17block_load_methodE3ELS4_3ELS4_3ELNS0_20block_scan_algorithmE0ELj4294967295EEENS1_25partition_config_selectorILNS1_17partition_subalgoE3EjNS0_10empty_typeEbEEZZNS1_14partition_implILS8_3ELb0ES6_jNS0_17counting_iteratorIjlEEPS9_SE_NS0_5tupleIJPjSE_EEENSF_IJSE_SE_EEES9_SG_JZNS1_25segmented_radix_sort_implINS0_14default_configELb1EPKfPfPKlPlN2at6native12_GLOBAL__N_18offset_tEEE10hipError_tPvRmT1_PNSt15iterator_traitsISY_E10value_typeET2_T3_PNSZ_IS14_E10value_typeET4_jRbjT5_S1A_jjP12ihipStream_tbEUljE_EEESV_SW_SX_S14_S18_S1A_T6_T7_T9_mT8_S1C_bDpT10_ENKUlT_T0_E_clISt17integral_constantIbLb0EES1P_EEDaS1K_S1L_EUlS1K_E_NS1_11comp_targetILNS1_3genE8ELNS1_11target_archE1030ELNS1_3gpuE2ELNS1_3repE0EEENS1_30default_config_static_selectorELNS0_4arch9wavefront6targetE0EEEvSY_, .Lfunc_end1300-_ZN7rocprim17ROCPRIM_400000_NS6detail17trampoline_kernelINS0_13select_configILj256ELj13ELNS0_17block_load_methodE3ELS4_3ELS4_3ELNS0_20block_scan_algorithmE0ELj4294967295EEENS1_25partition_config_selectorILNS1_17partition_subalgoE3EjNS0_10empty_typeEbEEZZNS1_14partition_implILS8_3ELb0ES6_jNS0_17counting_iteratorIjlEEPS9_SE_NS0_5tupleIJPjSE_EEENSF_IJSE_SE_EEES9_SG_JZNS1_25segmented_radix_sort_implINS0_14default_configELb1EPKfPfPKlPlN2at6native12_GLOBAL__N_18offset_tEEE10hipError_tPvRmT1_PNSt15iterator_traitsISY_E10value_typeET2_T3_PNSZ_IS14_E10value_typeET4_jRbjT5_S1A_jjP12ihipStream_tbEUljE_EEESV_SW_SX_S14_S18_S1A_T6_T7_T9_mT8_S1C_bDpT10_ENKUlT_T0_E_clISt17integral_constantIbLb0EES1P_EEDaS1K_S1L_EUlS1K_E_NS1_11comp_targetILNS1_3genE8ELNS1_11target_archE1030ELNS1_3gpuE2ELNS1_3repE0EEENS1_30default_config_static_selectorELNS0_4arch9wavefront6targetE0EEEvSY_
                                        ; -- End function
	.set _ZN7rocprim17ROCPRIM_400000_NS6detail17trampoline_kernelINS0_13select_configILj256ELj13ELNS0_17block_load_methodE3ELS4_3ELS4_3ELNS0_20block_scan_algorithmE0ELj4294967295EEENS1_25partition_config_selectorILNS1_17partition_subalgoE3EjNS0_10empty_typeEbEEZZNS1_14partition_implILS8_3ELb0ES6_jNS0_17counting_iteratorIjlEEPS9_SE_NS0_5tupleIJPjSE_EEENSF_IJSE_SE_EEES9_SG_JZNS1_25segmented_radix_sort_implINS0_14default_configELb1EPKfPfPKlPlN2at6native12_GLOBAL__N_18offset_tEEE10hipError_tPvRmT1_PNSt15iterator_traitsISY_E10value_typeET2_T3_PNSZ_IS14_E10value_typeET4_jRbjT5_S1A_jjP12ihipStream_tbEUljE_EEESV_SW_SX_S14_S18_S1A_T6_T7_T9_mT8_S1C_bDpT10_ENKUlT_T0_E_clISt17integral_constantIbLb0EES1P_EEDaS1K_S1L_EUlS1K_E_NS1_11comp_targetILNS1_3genE8ELNS1_11target_archE1030ELNS1_3gpuE2ELNS1_3repE0EEENS1_30default_config_static_selectorELNS0_4arch9wavefront6targetE0EEEvSY_.num_vgpr, 0
	.set _ZN7rocprim17ROCPRIM_400000_NS6detail17trampoline_kernelINS0_13select_configILj256ELj13ELNS0_17block_load_methodE3ELS4_3ELS4_3ELNS0_20block_scan_algorithmE0ELj4294967295EEENS1_25partition_config_selectorILNS1_17partition_subalgoE3EjNS0_10empty_typeEbEEZZNS1_14partition_implILS8_3ELb0ES6_jNS0_17counting_iteratorIjlEEPS9_SE_NS0_5tupleIJPjSE_EEENSF_IJSE_SE_EEES9_SG_JZNS1_25segmented_radix_sort_implINS0_14default_configELb1EPKfPfPKlPlN2at6native12_GLOBAL__N_18offset_tEEE10hipError_tPvRmT1_PNSt15iterator_traitsISY_E10value_typeET2_T3_PNSZ_IS14_E10value_typeET4_jRbjT5_S1A_jjP12ihipStream_tbEUljE_EEESV_SW_SX_S14_S18_S1A_T6_T7_T9_mT8_S1C_bDpT10_ENKUlT_T0_E_clISt17integral_constantIbLb0EES1P_EEDaS1K_S1L_EUlS1K_E_NS1_11comp_targetILNS1_3genE8ELNS1_11target_archE1030ELNS1_3gpuE2ELNS1_3repE0EEENS1_30default_config_static_selectorELNS0_4arch9wavefront6targetE0EEEvSY_.num_agpr, 0
	.set _ZN7rocprim17ROCPRIM_400000_NS6detail17trampoline_kernelINS0_13select_configILj256ELj13ELNS0_17block_load_methodE3ELS4_3ELS4_3ELNS0_20block_scan_algorithmE0ELj4294967295EEENS1_25partition_config_selectorILNS1_17partition_subalgoE3EjNS0_10empty_typeEbEEZZNS1_14partition_implILS8_3ELb0ES6_jNS0_17counting_iteratorIjlEEPS9_SE_NS0_5tupleIJPjSE_EEENSF_IJSE_SE_EEES9_SG_JZNS1_25segmented_radix_sort_implINS0_14default_configELb1EPKfPfPKlPlN2at6native12_GLOBAL__N_18offset_tEEE10hipError_tPvRmT1_PNSt15iterator_traitsISY_E10value_typeET2_T3_PNSZ_IS14_E10value_typeET4_jRbjT5_S1A_jjP12ihipStream_tbEUljE_EEESV_SW_SX_S14_S18_S1A_T6_T7_T9_mT8_S1C_bDpT10_ENKUlT_T0_E_clISt17integral_constantIbLb0EES1P_EEDaS1K_S1L_EUlS1K_E_NS1_11comp_targetILNS1_3genE8ELNS1_11target_archE1030ELNS1_3gpuE2ELNS1_3repE0EEENS1_30default_config_static_selectorELNS0_4arch9wavefront6targetE0EEEvSY_.numbered_sgpr, 0
	.set _ZN7rocprim17ROCPRIM_400000_NS6detail17trampoline_kernelINS0_13select_configILj256ELj13ELNS0_17block_load_methodE3ELS4_3ELS4_3ELNS0_20block_scan_algorithmE0ELj4294967295EEENS1_25partition_config_selectorILNS1_17partition_subalgoE3EjNS0_10empty_typeEbEEZZNS1_14partition_implILS8_3ELb0ES6_jNS0_17counting_iteratorIjlEEPS9_SE_NS0_5tupleIJPjSE_EEENSF_IJSE_SE_EEES9_SG_JZNS1_25segmented_radix_sort_implINS0_14default_configELb1EPKfPfPKlPlN2at6native12_GLOBAL__N_18offset_tEEE10hipError_tPvRmT1_PNSt15iterator_traitsISY_E10value_typeET2_T3_PNSZ_IS14_E10value_typeET4_jRbjT5_S1A_jjP12ihipStream_tbEUljE_EEESV_SW_SX_S14_S18_S1A_T6_T7_T9_mT8_S1C_bDpT10_ENKUlT_T0_E_clISt17integral_constantIbLb0EES1P_EEDaS1K_S1L_EUlS1K_E_NS1_11comp_targetILNS1_3genE8ELNS1_11target_archE1030ELNS1_3gpuE2ELNS1_3repE0EEENS1_30default_config_static_selectorELNS0_4arch9wavefront6targetE0EEEvSY_.num_named_barrier, 0
	.set _ZN7rocprim17ROCPRIM_400000_NS6detail17trampoline_kernelINS0_13select_configILj256ELj13ELNS0_17block_load_methodE3ELS4_3ELS4_3ELNS0_20block_scan_algorithmE0ELj4294967295EEENS1_25partition_config_selectorILNS1_17partition_subalgoE3EjNS0_10empty_typeEbEEZZNS1_14partition_implILS8_3ELb0ES6_jNS0_17counting_iteratorIjlEEPS9_SE_NS0_5tupleIJPjSE_EEENSF_IJSE_SE_EEES9_SG_JZNS1_25segmented_radix_sort_implINS0_14default_configELb1EPKfPfPKlPlN2at6native12_GLOBAL__N_18offset_tEEE10hipError_tPvRmT1_PNSt15iterator_traitsISY_E10value_typeET2_T3_PNSZ_IS14_E10value_typeET4_jRbjT5_S1A_jjP12ihipStream_tbEUljE_EEESV_SW_SX_S14_S18_S1A_T6_T7_T9_mT8_S1C_bDpT10_ENKUlT_T0_E_clISt17integral_constantIbLb0EES1P_EEDaS1K_S1L_EUlS1K_E_NS1_11comp_targetILNS1_3genE8ELNS1_11target_archE1030ELNS1_3gpuE2ELNS1_3repE0EEENS1_30default_config_static_selectorELNS0_4arch9wavefront6targetE0EEEvSY_.private_seg_size, 0
	.set _ZN7rocprim17ROCPRIM_400000_NS6detail17trampoline_kernelINS0_13select_configILj256ELj13ELNS0_17block_load_methodE3ELS4_3ELS4_3ELNS0_20block_scan_algorithmE0ELj4294967295EEENS1_25partition_config_selectorILNS1_17partition_subalgoE3EjNS0_10empty_typeEbEEZZNS1_14partition_implILS8_3ELb0ES6_jNS0_17counting_iteratorIjlEEPS9_SE_NS0_5tupleIJPjSE_EEENSF_IJSE_SE_EEES9_SG_JZNS1_25segmented_radix_sort_implINS0_14default_configELb1EPKfPfPKlPlN2at6native12_GLOBAL__N_18offset_tEEE10hipError_tPvRmT1_PNSt15iterator_traitsISY_E10value_typeET2_T3_PNSZ_IS14_E10value_typeET4_jRbjT5_S1A_jjP12ihipStream_tbEUljE_EEESV_SW_SX_S14_S18_S1A_T6_T7_T9_mT8_S1C_bDpT10_ENKUlT_T0_E_clISt17integral_constantIbLb0EES1P_EEDaS1K_S1L_EUlS1K_E_NS1_11comp_targetILNS1_3genE8ELNS1_11target_archE1030ELNS1_3gpuE2ELNS1_3repE0EEENS1_30default_config_static_selectorELNS0_4arch9wavefront6targetE0EEEvSY_.uses_vcc, 0
	.set _ZN7rocprim17ROCPRIM_400000_NS6detail17trampoline_kernelINS0_13select_configILj256ELj13ELNS0_17block_load_methodE3ELS4_3ELS4_3ELNS0_20block_scan_algorithmE0ELj4294967295EEENS1_25partition_config_selectorILNS1_17partition_subalgoE3EjNS0_10empty_typeEbEEZZNS1_14partition_implILS8_3ELb0ES6_jNS0_17counting_iteratorIjlEEPS9_SE_NS0_5tupleIJPjSE_EEENSF_IJSE_SE_EEES9_SG_JZNS1_25segmented_radix_sort_implINS0_14default_configELb1EPKfPfPKlPlN2at6native12_GLOBAL__N_18offset_tEEE10hipError_tPvRmT1_PNSt15iterator_traitsISY_E10value_typeET2_T3_PNSZ_IS14_E10value_typeET4_jRbjT5_S1A_jjP12ihipStream_tbEUljE_EEESV_SW_SX_S14_S18_S1A_T6_T7_T9_mT8_S1C_bDpT10_ENKUlT_T0_E_clISt17integral_constantIbLb0EES1P_EEDaS1K_S1L_EUlS1K_E_NS1_11comp_targetILNS1_3genE8ELNS1_11target_archE1030ELNS1_3gpuE2ELNS1_3repE0EEENS1_30default_config_static_selectorELNS0_4arch9wavefront6targetE0EEEvSY_.uses_flat_scratch, 0
	.set _ZN7rocprim17ROCPRIM_400000_NS6detail17trampoline_kernelINS0_13select_configILj256ELj13ELNS0_17block_load_methodE3ELS4_3ELS4_3ELNS0_20block_scan_algorithmE0ELj4294967295EEENS1_25partition_config_selectorILNS1_17partition_subalgoE3EjNS0_10empty_typeEbEEZZNS1_14partition_implILS8_3ELb0ES6_jNS0_17counting_iteratorIjlEEPS9_SE_NS0_5tupleIJPjSE_EEENSF_IJSE_SE_EEES9_SG_JZNS1_25segmented_radix_sort_implINS0_14default_configELb1EPKfPfPKlPlN2at6native12_GLOBAL__N_18offset_tEEE10hipError_tPvRmT1_PNSt15iterator_traitsISY_E10value_typeET2_T3_PNSZ_IS14_E10value_typeET4_jRbjT5_S1A_jjP12ihipStream_tbEUljE_EEESV_SW_SX_S14_S18_S1A_T6_T7_T9_mT8_S1C_bDpT10_ENKUlT_T0_E_clISt17integral_constantIbLb0EES1P_EEDaS1K_S1L_EUlS1K_E_NS1_11comp_targetILNS1_3genE8ELNS1_11target_archE1030ELNS1_3gpuE2ELNS1_3repE0EEENS1_30default_config_static_selectorELNS0_4arch9wavefront6targetE0EEEvSY_.has_dyn_sized_stack, 0
	.set _ZN7rocprim17ROCPRIM_400000_NS6detail17trampoline_kernelINS0_13select_configILj256ELj13ELNS0_17block_load_methodE3ELS4_3ELS4_3ELNS0_20block_scan_algorithmE0ELj4294967295EEENS1_25partition_config_selectorILNS1_17partition_subalgoE3EjNS0_10empty_typeEbEEZZNS1_14partition_implILS8_3ELb0ES6_jNS0_17counting_iteratorIjlEEPS9_SE_NS0_5tupleIJPjSE_EEENSF_IJSE_SE_EEES9_SG_JZNS1_25segmented_radix_sort_implINS0_14default_configELb1EPKfPfPKlPlN2at6native12_GLOBAL__N_18offset_tEEE10hipError_tPvRmT1_PNSt15iterator_traitsISY_E10value_typeET2_T3_PNSZ_IS14_E10value_typeET4_jRbjT5_S1A_jjP12ihipStream_tbEUljE_EEESV_SW_SX_S14_S18_S1A_T6_T7_T9_mT8_S1C_bDpT10_ENKUlT_T0_E_clISt17integral_constantIbLb0EES1P_EEDaS1K_S1L_EUlS1K_E_NS1_11comp_targetILNS1_3genE8ELNS1_11target_archE1030ELNS1_3gpuE2ELNS1_3repE0EEENS1_30default_config_static_selectorELNS0_4arch9wavefront6targetE0EEEvSY_.has_recursion, 0
	.set _ZN7rocprim17ROCPRIM_400000_NS6detail17trampoline_kernelINS0_13select_configILj256ELj13ELNS0_17block_load_methodE3ELS4_3ELS4_3ELNS0_20block_scan_algorithmE0ELj4294967295EEENS1_25partition_config_selectorILNS1_17partition_subalgoE3EjNS0_10empty_typeEbEEZZNS1_14partition_implILS8_3ELb0ES6_jNS0_17counting_iteratorIjlEEPS9_SE_NS0_5tupleIJPjSE_EEENSF_IJSE_SE_EEES9_SG_JZNS1_25segmented_radix_sort_implINS0_14default_configELb1EPKfPfPKlPlN2at6native12_GLOBAL__N_18offset_tEEE10hipError_tPvRmT1_PNSt15iterator_traitsISY_E10value_typeET2_T3_PNSZ_IS14_E10value_typeET4_jRbjT5_S1A_jjP12ihipStream_tbEUljE_EEESV_SW_SX_S14_S18_S1A_T6_T7_T9_mT8_S1C_bDpT10_ENKUlT_T0_E_clISt17integral_constantIbLb0EES1P_EEDaS1K_S1L_EUlS1K_E_NS1_11comp_targetILNS1_3genE8ELNS1_11target_archE1030ELNS1_3gpuE2ELNS1_3repE0EEENS1_30default_config_static_selectorELNS0_4arch9wavefront6targetE0EEEvSY_.has_indirect_call, 0
	.section	.AMDGPU.csdata,"",@progbits
; Kernel info:
; codeLenInByte = 0
; TotalNumSgprs: 0
; NumVgprs: 0
; ScratchSize: 0
; MemoryBound: 0
; FloatMode: 240
; IeeeMode: 1
; LDSByteSize: 0 bytes/workgroup (compile time only)
; SGPRBlocks: 0
; VGPRBlocks: 0
; NumSGPRsForWavesPerEU: 1
; NumVGPRsForWavesPerEU: 1
; Occupancy: 16
; WaveLimiterHint : 0
; COMPUTE_PGM_RSRC2:SCRATCH_EN: 0
; COMPUTE_PGM_RSRC2:USER_SGPR: 2
; COMPUTE_PGM_RSRC2:TRAP_HANDLER: 0
; COMPUTE_PGM_RSRC2:TGID_X_EN: 1
; COMPUTE_PGM_RSRC2:TGID_Y_EN: 0
; COMPUTE_PGM_RSRC2:TGID_Z_EN: 0
; COMPUTE_PGM_RSRC2:TIDIG_COMP_CNT: 0
	.section	.text._ZN7rocprim17ROCPRIM_400000_NS6detail17trampoline_kernelINS0_13select_configILj256ELj13ELNS0_17block_load_methodE3ELS4_3ELS4_3ELNS0_20block_scan_algorithmE0ELj4294967295EEENS1_25partition_config_selectorILNS1_17partition_subalgoE3EjNS0_10empty_typeEbEEZZNS1_14partition_implILS8_3ELb0ES6_jNS0_17counting_iteratorIjlEEPS9_SE_NS0_5tupleIJPjSE_EEENSF_IJSE_SE_EEES9_SG_JZNS1_25segmented_radix_sort_implINS0_14default_configELb1EPKfPfPKlPlN2at6native12_GLOBAL__N_18offset_tEEE10hipError_tPvRmT1_PNSt15iterator_traitsISY_E10value_typeET2_T3_PNSZ_IS14_E10value_typeET4_jRbjT5_S1A_jjP12ihipStream_tbEUljE_EEESV_SW_SX_S14_S18_S1A_T6_T7_T9_mT8_S1C_bDpT10_ENKUlT_T0_E_clISt17integral_constantIbLb1EES1P_EEDaS1K_S1L_EUlS1K_E_NS1_11comp_targetILNS1_3genE0ELNS1_11target_archE4294967295ELNS1_3gpuE0ELNS1_3repE0EEENS1_30default_config_static_selectorELNS0_4arch9wavefront6targetE0EEEvSY_,"axG",@progbits,_ZN7rocprim17ROCPRIM_400000_NS6detail17trampoline_kernelINS0_13select_configILj256ELj13ELNS0_17block_load_methodE3ELS4_3ELS4_3ELNS0_20block_scan_algorithmE0ELj4294967295EEENS1_25partition_config_selectorILNS1_17partition_subalgoE3EjNS0_10empty_typeEbEEZZNS1_14partition_implILS8_3ELb0ES6_jNS0_17counting_iteratorIjlEEPS9_SE_NS0_5tupleIJPjSE_EEENSF_IJSE_SE_EEES9_SG_JZNS1_25segmented_radix_sort_implINS0_14default_configELb1EPKfPfPKlPlN2at6native12_GLOBAL__N_18offset_tEEE10hipError_tPvRmT1_PNSt15iterator_traitsISY_E10value_typeET2_T3_PNSZ_IS14_E10value_typeET4_jRbjT5_S1A_jjP12ihipStream_tbEUljE_EEESV_SW_SX_S14_S18_S1A_T6_T7_T9_mT8_S1C_bDpT10_ENKUlT_T0_E_clISt17integral_constantIbLb1EES1P_EEDaS1K_S1L_EUlS1K_E_NS1_11comp_targetILNS1_3genE0ELNS1_11target_archE4294967295ELNS1_3gpuE0ELNS1_3repE0EEENS1_30default_config_static_selectorELNS0_4arch9wavefront6targetE0EEEvSY_,comdat
	.globl	_ZN7rocprim17ROCPRIM_400000_NS6detail17trampoline_kernelINS0_13select_configILj256ELj13ELNS0_17block_load_methodE3ELS4_3ELS4_3ELNS0_20block_scan_algorithmE0ELj4294967295EEENS1_25partition_config_selectorILNS1_17partition_subalgoE3EjNS0_10empty_typeEbEEZZNS1_14partition_implILS8_3ELb0ES6_jNS0_17counting_iteratorIjlEEPS9_SE_NS0_5tupleIJPjSE_EEENSF_IJSE_SE_EEES9_SG_JZNS1_25segmented_radix_sort_implINS0_14default_configELb1EPKfPfPKlPlN2at6native12_GLOBAL__N_18offset_tEEE10hipError_tPvRmT1_PNSt15iterator_traitsISY_E10value_typeET2_T3_PNSZ_IS14_E10value_typeET4_jRbjT5_S1A_jjP12ihipStream_tbEUljE_EEESV_SW_SX_S14_S18_S1A_T6_T7_T9_mT8_S1C_bDpT10_ENKUlT_T0_E_clISt17integral_constantIbLb1EES1P_EEDaS1K_S1L_EUlS1K_E_NS1_11comp_targetILNS1_3genE0ELNS1_11target_archE4294967295ELNS1_3gpuE0ELNS1_3repE0EEENS1_30default_config_static_selectorELNS0_4arch9wavefront6targetE0EEEvSY_ ; -- Begin function _ZN7rocprim17ROCPRIM_400000_NS6detail17trampoline_kernelINS0_13select_configILj256ELj13ELNS0_17block_load_methodE3ELS4_3ELS4_3ELNS0_20block_scan_algorithmE0ELj4294967295EEENS1_25partition_config_selectorILNS1_17partition_subalgoE3EjNS0_10empty_typeEbEEZZNS1_14partition_implILS8_3ELb0ES6_jNS0_17counting_iteratorIjlEEPS9_SE_NS0_5tupleIJPjSE_EEENSF_IJSE_SE_EEES9_SG_JZNS1_25segmented_radix_sort_implINS0_14default_configELb1EPKfPfPKlPlN2at6native12_GLOBAL__N_18offset_tEEE10hipError_tPvRmT1_PNSt15iterator_traitsISY_E10value_typeET2_T3_PNSZ_IS14_E10value_typeET4_jRbjT5_S1A_jjP12ihipStream_tbEUljE_EEESV_SW_SX_S14_S18_S1A_T6_T7_T9_mT8_S1C_bDpT10_ENKUlT_T0_E_clISt17integral_constantIbLb1EES1P_EEDaS1K_S1L_EUlS1K_E_NS1_11comp_targetILNS1_3genE0ELNS1_11target_archE4294967295ELNS1_3gpuE0ELNS1_3repE0EEENS1_30default_config_static_selectorELNS0_4arch9wavefront6targetE0EEEvSY_
	.p2align	8
	.type	_ZN7rocprim17ROCPRIM_400000_NS6detail17trampoline_kernelINS0_13select_configILj256ELj13ELNS0_17block_load_methodE3ELS4_3ELS4_3ELNS0_20block_scan_algorithmE0ELj4294967295EEENS1_25partition_config_selectorILNS1_17partition_subalgoE3EjNS0_10empty_typeEbEEZZNS1_14partition_implILS8_3ELb0ES6_jNS0_17counting_iteratorIjlEEPS9_SE_NS0_5tupleIJPjSE_EEENSF_IJSE_SE_EEES9_SG_JZNS1_25segmented_radix_sort_implINS0_14default_configELb1EPKfPfPKlPlN2at6native12_GLOBAL__N_18offset_tEEE10hipError_tPvRmT1_PNSt15iterator_traitsISY_E10value_typeET2_T3_PNSZ_IS14_E10value_typeET4_jRbjT5_S1A_jjP12ihipStream_tbEUljE_EEESV_SW_SX_S14_S18_S1A_T6_T7_T9_mT8_S1C_bDpT10_ENKUlT_T0_E_clISt17integral_constantIbLb1EES1P_EEDaS1K_S1L_EUlS1K_E_NS1_11comp_targetILNS1_3genE0ELNS1_11target_archE4294967295ELNS1_3gpuE0ELNS1_3repE0EEENS1_30default_config_static_selectorELNS0_4arch9wavefront6targetE0EEEvSY_,@function
_ZN7rocprim17ROCPRIM_400000_NS6detail17trampoline_kernelINS0_13select_configILj256ELj13ELNS0_17block_load_methodE3ELS4_3ELS4_3ELNS0_20block_scan_algorithmE0ELj4294967295EEENS1_25partition_config_selectorILNS1_17partition_subalgoE3EjNS0_10empty_typeEbEEZZNS1_14partition_implILS8_3ELb0ES6_jNS0_17counting_iteratorIjlEEPS9_SE_NS0_5tupleIJPjSE_EEENSF_IJSE_SE_EEES9_SG_JZNS1_25segmented_radix_sort_implINS0_14default_configELb1EPKfPfPKlPlN2at6native12_GLOBAL__N_18offset_tEEE10hipError_tPvRmT1_PNSt15iterator_traitsISY_E10value_typeET2_T3_PNSZ_IS14_E10value_typeET4_jRbjT5_S1A_jjP12ihipStream_tbEUljE_EEESV_SW_SX_S14_S18_S1A_T6_T7_T9_mT8_S1C_bDpT10_ENKUlT_T0_E_clISt17integral_constantIbLb1EES1P_EEDaS1K_S1L_EUlS1K_E_NS1_11comp_targetILNS1_3genE0ELNS1_11target_archE4294967295ELNS1_3gpuE0ELNS1_3repE0EEENS1_30default_config_static_selectorELNS0_4arch9wavefront6targetE0EEEvSY_: ; @_ZN7rocprim17ROCPRIM_400000_NS6detail17trampoline_kernelINS0_13select_configILj256ELj13ELNS0_17block_load_methodE3ELS4_3ELS4_3ELNS0_20block_scan_algorithmE0ELj4294967295EEENS1_25partition_config_selectorILNS1_17partition_subalgoE3EjNS0_10empty_typeEbEEZZNS1_14partition_implILS8_3ELb0ES6_jNS0_17counting_iteratorIjlEEPS9_SE_NS0_5tupleIJPjSE_EEENSF_IJSE_SE_EEES9_SG_JZNS1_25segmented_radix_sort_implINS0_14default_configELb1EPKfPfPKlPlN2at6native12_GLOBAL__N_18offset_tEEE10hipError_tPvRmT1_PNSt15iterator_traitsISY_E10value_typeET2_T3_PNSZ_IS14_E10value_typeET4_jRbjT5_S1A_jjP12ihipStream_tbEUljE_EEESV_SW_SX_S14_S18_S1A_T6_T7_T9_mT8_S1C_bDpT10_ENKUlT_T0_E_clISt17integral_constantIbLb1EES1P_EEDaS1K_S1L_EUlS1K_E_NS1_11comp_targetILNS1_3genE0ELNS1_11target_archE4294967295ELNS1_3gpuE0ELNS1_3repE0EEENS1_30default_config_static_selectorELNS0_4arch9wavefront6targetE0EEEvSY_
; %bb.0:
	.section	.rodata,"a",@progbits
	.p2align	6, 0x0
	.amdhsa_kernel _ZN7rocprim17ROCPRIM_400000_NS6detail17trampoline_kernelINS0_13select_configILj256ELj13ELNS0_17block_load_methodE3ELS4_3ELS4_3ELNS0_20block_scan_algorithmE0ELj4294967295EEENS1_25partition_config_selectorILNS1_17partition_subalgoE3EjNS0_10empty_typeEbEEZZNS1_14partition_implILS8_3ELb0ES6_jNS0_17counting_iteratorIjlEEPS9_SE_NS0_5tupleIJPjSE_EEENSF_IJSE_SE_EEES9_SG_JZNS1_25segmented_radix_sort_implINS0_14default_configELb1EPKfPfPKlPlN2at6native12_GLOBAL__N_18offset_tEEE10hipError_tPvRmT1_PNSt15iterator_traitsISY_E10value_typeET2_T3_PNSZ_IS14_E10value_typeET4_jRbjT5_S1A_jjP12ihipStream_tbEUljE_EEESV_SW_SX_S14_S18_S1A_T6_T7_T9_mT8_S1C_bDpT10_ENKUlT_T0_E_clISt17integral_constantIbLb1EES1P_EEDaS1K_S1L_EUlS1K_E_NS1_11comp_targetILNS1_3genE0ELNS1_11target_archE4294967295ELNS1_3gpuE0ELNS1_3repE0EEENS1_30default_config_static_selectorELNS0_4arch9wavefront6targetE0EEEvSY_
		.amdhsa_group_segment_fixed_size 0
		.amdhsa_private_segment_fixed_size 0
		.amdhsa_kernarg_size 152
		.amdhsa_user_sgpr_count 2
		.amdhsa_user_sgpr_dispatch_ptr 0
		.amdhsa_user_sgpr_queue_ptr 0
		.amdhsa_user_sgpr_kernarg_segment_ptr 1
		.amdhsa_user_sgpr_dispatch_id 0
		.amdhsa_user_sgpr_private_segment_size 0
		.amdhsa_wavefront_size32 1
		.amdhsa_uses_dynamic_stack 0
		.amdhsa_enable_private_segment 0
		.amdhsa_system_sgpr_workgroup_id_x 1
		.amdhsa_system_sgpr_workgroup_id_y 0
		.amdhsa_system_sgpr_workgroup_id_z 0
		.amdhsa_system_sgpr_workgroup_info 0
		.amdhsa_system_vgpr_workitem_id 0
		.amdhsa_next_free_vgpr 1
		.amdhsa_next_free_sgpr 1
		.amdhsa_reserve_vcc 0
		.amdhsa_float_round_mode_32 0
		.amdhsa_float_round_mode_16_64 0
		.amdhsa_float_denorm_mode_32 3
		.amdhsa_float_denorm_mode_16_64 3
		.amdhsa_fp16_overflow 0
		.amdhsa_workgroup_processor_mode 1
		.amdhsa_memory_ordered 1
		.amdhsa_forward_progress 1
		.amdhsa_inst_pref_size 0
		.amdhsa_round_robin_scheduling 0
		.amdhsa_exception_fp_ieee_invalid_op 0
		.amdhsa_exception_fp_denorm_src 0
		.amdhsa_exception_fp_ieee_div_zero 0
		.amdhsa_exception_fp_ieee_overflow 0
		.amdhsa_exception_fp_ieee_underflow 0
		.amdhsa_exception_fp_ieee_inexact 0
		.amdhsa_exception_int_div_zero 0
	.end_amdhsa_kernel
	.section	.text._ZN7rocprim17ROCPRIM_400000_NS6detail17trampoline_kernelINS0_13select_configILj256ELj13ELNS0_17block_load_methodE3ELS4_3ELS4_3ELNS0_20block_scan_algorithmE0ELj4294967295EEENS1_25partition_config_selectorILNS1_17partition_subalgoE3EjNS0_10empty_typeEbEEZZNS1_14partition_implILS8_3ELb0ES6_jNS0_17counting_iteratorIjlEEPS9_SE_NS0_5tupleIJPjSE_EEENSF_IJSE_SE_EEES9_SG_JZNS1_25segmented_radix_sort_implINS0_14default_configELb1EPKfPfPKlPlN2at6native12_GLOBAL__N_18offset_tEEE10hipError_tPvRmT1_PNSt15iterator_traitsISY_E10value_typeET2_T3_PNSZ_IS14_E10value_typeET4_jRbjT5_S1A_jjP12ihipStream_tbEUljE_EEESV_SW_SX_S14_S18_S1A_T6_T7_T9_mT8_S1C_bDpT10_ENKUlT_T0_E_clISt17integral_constantIbLb1EES1P_EEDaS1K_S1L_EUlS1K_E_NS1_11comp_targetILNS1_3genE0ELNS1_11target_archE4294967295ELNS1_3gpuE0ELNS1_3repE0EEENS1_30default_config_static_selectorELNS0_4arch9wavefront6targetE0EEEvSY_,"axG",@progbits,_ZN7rocprim17ROCPRIM_400000_NS6detail17trampoline_kernelINS0_13select_configILj256ELj13ELNS0_17block_load_methodE3ELS4_3ELS4_3ELNS0_20block_scan_algorithmE0ELj4294967295EEENS1_25partition_config_selectorILNS1_17partition_subalgoE3EjNS0_10empty_typeEbEEZZNS1_14partition_implILS8_3ELb0ES6_jNS0_17counting_iteratorIjlEEPS9_SE_NS0_5tupleIJPjSE_EEENSF_IJSE_SE_EEES9_SG_JZNS1_25segmented_radix_sort_implINS0_14default_configELb1EPKfPfPKlPlN2at6native12_GLOBAL__N_18offset_tEEE10hipError_tPvRmT1_PNSt15iterator_traitsISY_E10value_typeET2_T3_PNSZ_IS14_E10value_typeET4_jRbjT5_S1A_jjP12ihipStream_tbEUljE_EEESV_SW_SX_S14_S18_S1A_T6_T7_T9_mT8_S1C_bDpT10_ENKUlT_T0_E_clISt17integral_constantIbLb1EES1P_EEDaS1K_S1L_EUlS1K_E_NS1_11comp_targetILNS1_3genE0ELNS1_11target_archE4294967295ELNS1_3gpuE0ELNS1_3repE0EEENS1_30default_config_static_selectorELNS0_4arch9wavefront6targetE0EEEvSY_,comdat
.Lfunc_end1301:
	.size	_ZN7rocprim17ROCPRIM_400000_NS6detail17trampoline_kernelINS0_13select_configILj256ELj13ELNS0_17block_load_methodE3ELS4_3ELS4_3ELNS0_20block_scan_algorithmE0ELj4294967295EEENS1_25partition_config_selectorILNS1_17partition_subalgoE3EjNS0_10empty_typeEbEEZZNS1_14partition_implILS8_3ELb0ES6_jNS0_17counting_iteratorIjlEEPS9_SE_NS0_5tupleIJPjSE_EEENSF_IJSE_SE_EEES9_SG_JZNS1_25segmented_radix_sort_implINS0_14default_configELb1EPKfPfPKlPlN2at6native12_GLOBAL__N_18offset_tEEE10hipError_tPvRmT1_PNSt15iterator_traitsISY_E10value_typeET2_T3_PNSZ_IS14_E10value_typeET4_jRbjT5_S1A_jjP12ihipStream_tbEUljE_EEESV_SW_SX_S14_S18_S1A_T6_T7_T9_mT8_S1C_bDpT10_ENKUlT_T0_E_clISt17integral_constantIbLb1EES1P_EEDaS1K_S1L_EUlS1K_E_NS1_11comp_targetILNS1_3genE0ELNS1_11target_archE4294967295ELNS1_3gpuE0ELNS1_3repE0EEENS1_30default_config_static_selectorELNS0_4arch9wavefront6targetE0EEEvSY_, .Lfunc_end1301-_ZN7rocprim17ROCPRIM_400000_NS6detail17trampoline_kernelINS0_13select_configILj256ELj13ELNS0_17block_load_methodE3ELS4_3ELS4_3ELNS0_20block_scan_algorithmE0ELj4294967295EEENS1_25partition_config_selectorILNS1_17partition_subalgoE3EjNS0_10empty_typeEbEEZZNS1_14partition_implILS8_3ELb0ES6_jNS0_17counting_iteratorIjlEEPS9_SE_NS0_5tupleIJPjSE_EEENSF_IJSE_SE_EEES9_SG_JZNS1_25segmented_radix_sort_implINS0_14default_configELb1EPKfPfPKlPlN2at6native12_GLOBAL__N_18offset_tEEE10hipError_tPvRmT1_PNSt15iterator_traitsISY_E10value_typeET2_T3_PNSZ_IS14_E10value_typeET4_jRbjT5_S1A_jjP12ihipStream_tbEUljE_EEESV_SW_SX_S14_S18_S1A_T6_T7_T9_mT8_S1C_bDpT10_ENKUlT_T0_E_clISt17integral_constantIbLb1EES1P_EEDaS1K_S1L_EUlS1K_E_NS1_11comp_targetILNS1_3genE0ELNS1_11target_archE4294967295ELNS1_3gpuE0ELNS1_3repE0EEENS1_30default_config_static_selectorELNS0_4arch9wavefront6targetE0EEEvSY_
                                        ; -- End function
	.set _ZN7rocprim17ROCPRIM_400000_NS6detail17trampoline_kernelINS0_13select_configILj256ELj13ELNS0_17block_load_methodE3ELS4_3ELS4_3ELNS0_20block_scan_algorithmE0ELj4294967295EEENS1_25partition_config_selectorILNS1_17partition_subalgoE3EjNS0_10empty_typeEbEEZZNS1_14partition_implILS8_3ELb0ES6_jNS0_17counting_iteratorIjlEEPS9_SE_NS0_5tupleIJPjSE_EEENSF_IJSE_SE_EEES9_SG_JZNS1_25segmented_radix_sort_implINS0_14default_configELb1EPKfPfPKlPlN2at6native12_GLOBAL__N_18offset_tEEE10hipError_tPvRmT1_PNSt15iterator_traitsISY_E10value_typeET2_T3_PNSZ_IS14_E10value_typeET4_jRbjT5_S1A_jjP12ihipStream_tbEUljE_EEESV_SW_SX_S14_S18_S1A_T6_T7_T9_mT8_S1C_bDpT10_ENKUlT_T0_E_clISt17integral_constantIbLb1EES1P_EEDaS1K_S1L_EUlS1K_E_NS1_11comp_targetILNS1_3genE0ELNS1_11target_archE4294967295ELNS1_3gpuE0ELNS1_3repE0EEENS1_30default_config_static_selectorELNS0_4arch9wavefront6targetE0EEEvSY_.num_vgpr, 0
	.set _ZN7rocprim17ROCPRIM_400000_NS6detail17trampoline_kernelINS0_13select_configILj256ELj13ELNS0_17block_load_methodE3ELS4_3ELS4_3ELNS0_20block_scan_algorithmE0ELj4294967295EEENS1_25partition_config_selectorILNS1_17partition_subalgoE3EjNS0_10empty_typeEbEEZZNS1_14partition_implILS8_3ELb0ES6_jNS0_17counting_iteratorIjlEEPS9_SE_NS0_5tupleIJPjSE_EEENSF_IJSE_SE_EEES9_SG_JZNS1_25segmented_radix_sort_implINS0_14default_configELb1EPKfPfPKlPlN2at6native12_GLOBAL__N_18offset_tEEE10hipError_tPvRmT1_PNSt15iterator_traitsISY_E10value_typeET2_T3_PNSZ_IS14_E10value_typeET4_jRbjT5_S1A_jjP12ihipStream_tbEUljE_EEESV_SW_SX_S14_S18_S1A_T6_T7_T9_mT8_S1C_bDpT10_ENKUlT_T0_E_clISt17integral_constantIbLb1EES1P_EEDaS1K_S1L_EUlS1K_E_NS1_11comp_targetILNS1_3genE0ELNS1_11target_archE4294967295ELNS1_3gpuE0ELNS1_3repE0EEENS1_30default_config_static_selectorELNS0_4arch9wavefront6targetE0EEEvSY_.num_agpr, 0
	.set _ZN7rocprim17ROCPRIM_400000_NS6detail17trampoline_kernelINS0_13select_configILj256ELj13ELNS0_17block_load_methodE3ELS4_3ELS4_3ELNS0_20block_scan_algorithmE0ELj4294967295EEENS1_25partition_config_selectorILNS1_17partition_subalgoE3EjNS0_10empty_typeEbEEZZNS1_14partition_implILS8_3ELb0ES6_jNS0_17counting_iteratorIjlEEPS9_SE_NS0_5tupleIJPjSE_EEENSF_IJSE_SE_EEES9_SG_JZNS1_25segmented_radix_sort_implINS0_14default_configELb1EPKfPfPKlPlN2at6native12_GLOBAL__N_18offset_tEEE10hipError_tPvRmT1_PNSt15iterator_traitsISY_E10value_typeET2_T3_PNSZ_IS14_E10value_typeET4_jRbjT5_S1A_jjP12ihipStream_tbEUljE_EEESV_SW_SX_S14_S18_S1A_T6_T7_T9_mT8_S1C_bDpT10_ENKUlT_T0_E_clISt17integral_constantIbLb1EES1P_EEDaS1K_S1L_EUlS1K_E_NS1_11comp_targetILNS1_3genE0ELNS1_11target_archE4294967295ELNS1_3gpuE0ELNS1_3repE0EEENS1_30default_config_static_selectorELNS0_4arch9wavefront6targetE0EEEvSY_.numbered_sgpr, 0
	.set _ZN7rocprim17ROCPRIM_400000_NS6detail17trampoline_kernelINS0_13select_configILj256ELj13ELNS0_17block_load_methodE3ELS4_3ELS4_3ELNS0_20block_scan_algorithmE0ELj4294967295EEENS1_25partition_config_selectorILNS1_17partition_subalgoE3EjNS0_10empty_typeEbEEZZNS1_14partition_implILS8_3ELb0ES6_jNS0_17counting_iteratorIjlEEPS9_SE_NS0_5tupleIJPjSE_EEENSF_IJSE_SE_EEES9_SG_JZNS1_25segmented_radix_sort_implINS0_14default_configELb1EPKfPfPKlPlN2at6native12_GLOBAL__N_18offset_tEEE10hipError_tPvRmT1_PNSt15iterator_traitsISY_E10value_typeET2_T3_PNSZ_IS14_E10value_typeET4_jRbjT5_S1A_jjP12ihipStream_tbEUljE_EEESV_SW_SX_S14_S18_S1A_T6_T7_T9_mT8_S1C_bDpT10_ENKUlT_T0_E_clISt17integral_constantIbLb1EES1P_EEDaS1K_S1L_EUlS1K_E_NS1_11comp_targetILNS1_3genE0ELNS1_11target_archE4294967295ELNS1_3gpuE0ELNS1_3repE0EEENS1_30default_config_static_selectorELNS0_4arch9wavefront6targetE0EEEvSY_.num_named_barrier, 0
	.set _ZN7rocprim17ROCPRIM_400000_NS6detail17trampoline_kernelINS0_13select_configILj256ELj13ELNS0_17block_load_methodE3ELS4_3ELS4_3ELNS0_20block_scan_algorithmE0ELj4294967295EEENS1_25partition_config_selectorILNS1_17partition_subalgoE3EjNS0_10empty_typeEbEEZZNS1_14partition_implILS8_3ELb0ES6_jNS0_17counting_iteratorIjlEEPS9_SE_NS0_5tupleIJPjSE_EEENSF_IJSE_SE_EEES9_SG_JZNS1_25segmented_radix_sort_implINS0_14default_configELb1EPKfPfPKlPlN2at6native12_GLOBAL__N_18offset_tEEE10hipError_tPvRmT1_PNSt15iterator_traitsISY_E10value_typeET2_T3_PNSZ_IS14_E10value_typeET4_jRbjT5_S1A_jjP12ihipStream_tbEUljE_EEESV_SW_SX_S14_S18_S1A_T6_T7_T9_mT8_S1C_bDpT10_ENKUlT_T0_E_clISt17integral_constantIbLb1EES1P_EEDaS1K_S1L_EUlS1K_E_NS1_11comp_targetILNS1_3genE0ELNS1_11target_archE4294967295ELNS1_3gpuE0ELNS1_3repE0EEENS1_30default_config_static_selectorELNS0_4arch9wavefront6targetE0EEEvSY_.private_seg_size, 0
	.set _ZN7rocprim17ROCPRIM_400000_NS6detail17trampoline_kernelINS0_13select_configILj256ELj13ELNS0_17block_load_methodE3ELS4_3ELS4_3ELNS0_20block_scan_algorithmE0ELj4294967295EEENS1_25partition_config_selectorILNS1_17partition_subalgoE3EjNS0_10empty_typeEbEEZZNS1_14partition_implILS8_3ELb0ES6_jNS0_17counting_iteratorIjlEEPS9_SE_NS0_5tupleIJPjSE_EEENSF_IJSE_SE_EEES9_SG_JZNS1_25segmented_radix_sort_implINS0_14default_configELb1EPKfPfPKlPlN2at6native12_GLOBAL__N_18offset_tEEE10hipError_tPvRmT1_PNSt15iterator_traitsISY_E10value_typeET2_T3_PNSZ_IS14_E10value_typeET4_jRbjT5_S1A_jjP12ihipStream_tbEUljE_EEESV_SW_SX_S14_S18_S1A_T6_T7_T9_mT8_S1C_bDpT10_ENKUlT_T0_E_clISt17integral_constantIbLb1EES1P_EEDaS1K_S1L_EUlS1K_E_NS1_11comp_targetILNS1_3genE0ELNS1_11target_archE4294967295ELNS1_3gpuE0ELNS1_3repE0EEENS1_30default_config_static_selectorELNS0_4arch9wavefront6targetE0EEEvSY_.uses_vcc, 0
	.set _ZN7rocprim17ROCPRIM_400000_NS6detail17trampoline_kernelINS0_13select_configILj256ELj13ELNS0_17block_load_methodE3ELS4_3ELS4_3ELNS0_20block_scan_algorithmE0ELj4294967295EEENS1_25partition_config_selectorILNS1_17partition_subalgoE3EjNS0_10empty_typeEbEEZZNS1_14partition_implILS8_3ELb0ES6_jNS0_17counting_iteratorIjlEEPS9_SE_NS0_5tupleIJPjSE_EEENSF_IJSE_SE_EEES9_SG_JZNS1_25segmented_radix_sort_implINS0_14default_configELb1EPKfPfPKlPlN2at6native12_GLOBAL__N_18offset_tEEE10hipError_tPvRmT1_PNSt15iterator_traitsISY_E10value_typeET2_T3_PNSZ_IS14_E10value_typeET4_jRbjT5_S1A_jjP12ihipStream_tbEUljE_EEESV_SW_SX_S14_S18_S1A_T6_T7_T9_mT8_S1C_bDpT10_ENKUlT_T0_E_clISt17integral_constantIbLb1EES1P_EEDaS1K_S1L_EUlS1K_E_NS1_11comp_targetILNS1_3genE0ELNS1_11target_archE4294967295ELNS1_3gpuE0ELNS1_3repE0EEENS1_30default_config_static_selectorELNS0_4arch9wavefront6targetE0EEEvSY_.uses_flat_scratch, 0
	.set _ZN7rocprim17ROCPRIM_400000_NS6detail17trampoline_kernelINS0_13select_configILj256ELj13ELNS0_17block_load_methodE3ELS4_3ELS4_3ELNS0_20block_scan_algorithmE0ELj4294967295EEENS1_25partition_config_selectorILNS1_17partition_subalgoE3EjNS0_10empty_typeEbEEZZNS1_14partition_implILS8_3ELb0ES6_jNS0_17counting_iteratorIjlEEPS9_SE_NS0_5tupleIJPjSE_EEENSF_IJSE_SE_EEES9_SG_JZNS1_25segmented_radix_sort_implINS0_14default_configELb1EPKfPfPKlPlN2at6native12_GLOBAL__N_18offset_tEEE10hipError_tPvRmT1_PNSt15iterator_traitsISY_E10value_typeET2_T3_PNSZ_IS14_E10value_typeET4_jRbjT5_S1A_jjP12ihipStream_tbEUljE_EEESV_SW_SX_S14_S18_S1A_T6_T7_T9_mT8_S1C_bDpT10_ENKUlT_T0_E_clISt17integral_constantIbLb1EES1P_EEDaS1K_S1L_EUlS1K_E_NS1_11comp_targetILNS1_3genE0ELNS1_11target_archE4294967295ELNS1_3gpuE0ELNS1_3repE0EEENS1_30default_config_static_selectorELNS0_4arch9wavefront6targetE0EEEvSY_.has_dyn_sized_stack, 0
	.set _ZN7rocprim17ROCPRIM_400000_NS6detail17trampoline_kernelINS0_13select_configILj256ELj13ELNS0_17block_load_methodE3ELS4_3ELS4_3ELNS0_20block_scan_algorithmE0ELj4294967295EEENS1_25partition_config_selectorILNS1_17partition_subalgoE3EjNS0_10empty_typeEbEEZZNS1_14partition_implILS8_3ELb0ES6_jNS0_17counting_iteratorIjlEEPS9_SE_NS0_5tupleIJPjSE_EEENSF_IJSE_SE_EEES9_SG_JZNS1_25segmented_radix_sort_implINS0_14default_configELb1EPKfPfPKlPlN2at6native12_GLOBAL__N_18offset_tEEE10hipError_tPvRmT1_PNSt15iterator_traitsISY_E10value_typeET2_T3_PNSZ_IS14_E10value_typeET4_jRbjT5_S1A_jjP12ihipStream_tbEUljE_EEESV_SW_SX_S14_S18_S1A_T6_T7_T9_mT8_S1C_bDpT10_ENKUlT_T0_E_clISt17integral_constantIbLb1EES1P_EEDaS1K_S1L_EUlS1K_E_NS1_11comp_targetILNS1_3genE0ELNS1_11target_archE4294967295ELNS1_3gpuE0ELNS1_3repE0EEENS1_30default_config_static_selectorELNS0_4arch9wavefront6targetE0EEEvSY_.has_recursion, 0
	.set _ZN7rocprim17ROCPRIM_400000_NS6detail17trampoline_kernelINS0_13select_configILj256ELj13ELNS0_17block_load_methodE3ELS4_3ELS4_3ELNS0_20block_scan_algorithmE0ELj4294967295EEENS1_25partition_config_selectorILNS1_17partition_subalgoE3EjNS0_10empty_typeEbEEZZNS1_14partition_implILS8_3ELb0ES6_jNS0_17counting_iteratorIjlEEPS9_SE_NS0_5tupleIJPjSE_EEENSF_IJSE_SE_EEES9_SG_JZNS1_25segmented_radix_sort_implINS0_14default_configELb1EPKfPfPKlPlN2at6native12_GLOBAL__N_18offset_tEEE10hipError_tPvRmT1_PNSt15iterator_traitsISY_E10value_typeET2_T3_PNSZ_IS14_E10value_typeET4_jRbjT5_S1A_jjP12ihipStream_tbEUljE_EEESV_SW_SX_S14_S18_S1A_T6_T7_T9_mT8_S1C_bDpT10_ENKUlT_T0_E_clISt17integral_constantIbLb1EES1P_EEDaS1K_S1L_EUlS1K_E_NS1_11comp_targetILNS1_3genE0ELNS1_11target_archE4294967295ELNS1_3gpuE0ELNS1_3repE0EEENS1_30default_config_static_selectorELNS0_4arch9wavefront6targetE0EEEvSY_.has_indirect_call, 0
	.section	.AMDGPU.csdata,"",@progbits
; Kernel info:
; codeLenInByte = 0
; TotalNumSgprs: 0
; NumVgprs: 0
; ScratchSize: 0
; MemoryBound: 0
; FloatMode: 240
; IeeeMode: 1
; LDSByteSize: 0 bytes/workgroup (compile time only)
; SGPRBlocks: 0
; VGPRBlocks: 0
; NumSGPRsForWavesPerEU: 1
; NumVGPRsForWavesPerEU: 1
; Occupancy: 16
; WaveLimiterHint : 0
; COMPUTE_PGM_RSRC2:SCRATCH_EN: 0
; COMPUTE_PGM_RSRC2:USER_SGPR: 2
; COMPUTE_PGM_RSRC2:TRAP_HANDLER: 0
; COMPUTE_PGM_RSRC2:TGID_X_EN: 1
; COMPUTE_PGM_RSRC2:TGID_Y_EN: 0
; COMPUTE_PGM_RSRC2:TGID_Z_EN: 0
; COMPUTE_PGM_RSRC2:TIDIG_COMP_CNT: 0
	.section	.text._ZN7rocprim17ROCPRIM_400000_NS6detail17trampoline_kernelINS0_13select_configILj256ELj13ELNS0_17block_load_methodE3ELS4_3ELS4_3ELNS0_20block_scan_algorithmE0ELj4294967295EEENS1_25partition_config_selectorILNS1_17partition_subalgoE3EjNS0_10empty_typeEbEEZZNS1_14partition_implILS8_3ELb0ES6_jNS0_17counting_iteratorIjlEEPS9_SE_NS0_5tupleIJPjSE_EEENSF_IJSE_SE_EEES9_SG_JZNS1_25segmented_radix_sort_implINS0_14default_configELb1EPKfPfPKlPlN2at6native12_GLOBAL__N_18offset_tEEE10hipError_tPvRmT1_PNSt15iterator_traitsISY_E10value_typeET2_T3_PNSZ_IS14_E10value_typeET4_jRbjT5_S1A_jjP12ihipStream_tbEUljE_EEESV_SW_SX_S14_S18_S1A_T6_T7_T9_mT8_S1C_bDpT10_ENKUlT_T0_E_clISt17integral_constantIbLb1EES1P_EEDaS1K_S1L_EUlS1K_E_NS1_11comp_targetILNS1_3genE5ELNS1_11target_archE942ELNS1_3gpuE9ELNS1_3repE0EEENS1_30default_config_static_selectorELNS0_4arch9wavefront6targetE0EEEvSY_,"axG",@progbits,_ZN7rocprim17ROCPRIM_400000_NS6detail17trampoline_kernelINS0_13select_configILj256ELj13ELNS0_17block_load_methodE3ELS4_3ELS4_3ELNS0_20block_scan_algorithmE0ELj4294967295EEENS1_25partition_config_selectorILNS1_17partition_subalgoE3EjNS0_10empty_typeEbEEZZNS1_14partition_implILS8_3ELb0ES6_jNS0_17counting_iteratorIjlEEPS9_SE_NS0_5tupleIJPjSE_EEENSF_IJSE_SE_EEES9_SG_JZNS1_25segmented_radix_sort_implINS0_14default_configELb1EPKfPfPKlPlN2at6native12_GLOBAL__N_18offset_tEEE10hipError_tPvRmT1_PNSt15iterator_traitsISY_E10value_typeET2_T3_PNSZ_IS14_E10value_typeET4_jRbjT5_S1A_jjP12ihipStream_tbEUljE_EEESV_SW_SX_S14_S18_S1A_T6_T7_T9_mT8_S1C_bDpT10_ENKUlT_T0_E_clISt17integral_constantIbLb1EES1P_EEDaS1K_S1L_EUlS1K_E_NS1_11comp_targetILNS1_3genE5ELNS1_11target_archE942ELNS1_3gpuE9ELNS1_3repE0EEENS1_30default_config_static_selectorELNS0_4arch9wavefront6targetE0EEEvSY_,comdat
	.globl	_ZN7rocprim17ROCPRIM_400000_NS6detail17trampoline_kernelINS0_13select_configILj256ELj13ELNS0_17block_load_methodE3ELS4_3ELS4_3ELNS0_20block_scan_algorithmE0ELj4294967295EEENS1_25partition_config_selectorILNS1_17partition_subalgoE3EjNS0_10empty_typeEbEEZZNS1_14partition_implILS8_3ELb0ES6_jNS0_17counting_iteratorIjlEEPS9_SE_NS0_5tupleIJPjSE_EEENSF_IJSE_SE_EEES9_SG_JZNS1_25segmented_radix_sort_implINS0_14default_configELb1EPKfPfPKlPlN2at6native12_GLOBAL__N_18offset_tEEE10hipError_tPvRmT1_PNSt15iterator_traitsISY_E10value_typeET2_T3_PNSZ_IS14_E10value_typeET4_jRbjT5_S1A_jjP12ihipStream_tbEUljE_EEESV_SW_SX_S14_S18_S1A_T6_T7_T9_mT8_S1C_bDpT10_ENKUlT_T0_E_clISt17integral_constantIbLb1EES1P_EEDaS1K_S1L_EUlS1K_E_NS1_11comp_targetILNS1_3genE5ELNS1_11target_archE942ELNS1_3gpuE9ELNS1_3repE0EEENS1_30default_config_static_selectorELNS0_4arch9wavefront6targetE0EEEvSY_ ; -- Begin function _ZN7rocprim17ROCPRIM_400000_NS6detail17trampoline_kernelINS0_13select_configILj256ELj13ELNS0_17block_load_methodE3ELS4_3ELS4_3ELNS0_20block_scan_algorithmE0ELj4294967295EEENS1_25partition_config_selectorILNS1_17partition_subalgoE3EjNS0_10empty_typeEbEEZZNS1_14partition_implILS8_3ELb0ES6_jNS0_17counting_iteratorIjlEEPS9_SE_NS0_5tupleIJPjSE_EEENSF_IJSE_SE_EEES9_SG_JZNS1_25segmented_radix_sort_implINS0_14default_configELb1EPKfPfPKlPlN2at6native12_GLOBAL__N_18offset_tEEE10hipError_tPvRmT1_PNSt15iterator_traitsISY_E10value_typeET2_T3_PNSZ_IS14_E10value_typeET4_jRbjT5_S1A_jjP12ihipStream_tbEUljE_EEESV_SW_SX_S14_S18_S1A_T6_T7_T9_mT8_S1C_bDpT10_ENKUlT_T0_E_clISt17integral_constantIbLb1EES1P_EEDaS1K_S1L_EUlS1K_E_NS1_11comp_targetILNS1_3genE5ELNS1_11target_archE942ELNS1_3gpuE9ELNS1_3repE0EEENS1_30default_config_static_selectorELNS0_4arch9wavefront6targetE0EEEvSY_
	.p2align	8
	.type	_ZN7rocprim17ROCPRIM_400000_NS6detail17trampoline_kernelINS0_13select_configILj256ELj13ELNS0_17block_load_methodE3ELS4_3ELS4_3ELNS0_20block_scan_algorithmE0ELj4294967295EEENS1_25partition_config_selectorILNS1_17partition_subalgoE3EjNS0_10empty_typeEbEEZZNS1_14partition_implILS8_3ELb0ES6_jNS0_17counting_iteratorIjlEEPS9_SE_NS0_5tupleIJPjSE_EEENSF_IJSE_SE_EEES9_SG_JZNS1_25segmented_radix_sort_implINS0_14default_configELb1EPKfPfPKlPlN2at6native12_GLOBAL__N_18offset_tEEE10hipError_tPvRmT1_PNSt15iterator_traitsISY_E10value_typeET2_T3_PNSZ_IS14_E10value_typeET4_jRbjT5_S1A_jjP12ihipStream_tbEUljE_EEESV_SW_SX_S14_S18_S1A_T6_T7_T9_mT8_S1C_bDpT10_ENKUlT_T0_E_clISt17integral_constantIbLb1EES1P_EEDaS1K_S1L_EUlS1K_E_NS1_11comp_targetILNS1_3genE5ELNS1_11target_archE942ELNS1_3gpuE9ELNS1_3repE0EEENS1_30default_config_static_selectorELNS0_4arch9wavefront6targetE0EEEvSY_,@function
_ZN7rocprim17ROCPRIM_400000_NS6detail17trampoline_kernelINS0_13select_configILj256ELj13ELNS0_17block_load_methodE3ELS4_3ELS4_3ELNS0_20block_scan_algorithmE0ELj4294967295EEENS1_25partition_config_selectorILNS1_17partition_subalgoE3EjNS0_10empty_typeEbEEZZNS1_14partition_implILS8_3ELb0ES6_jNS0_17counting_iteratorIjlEEPS9_SE_NS0_5tupleIJPjSE_EEENSF_IJSE_SE_EEES9_SG_JZNS1_25segmented_radix_sort_implINS0_14default_configELb1EPKfPfPKlPlN2at6native12_GLOBAL__N_18offset_tEEE10hipError_tPvRmT1_PNSt15iterator_traitsISY_E10value_typeET2_T3_PNSZ_IS14_E10value_typeET4_jRbjT5_S1A_jjP12ihipStream_tbEUljE_EEESV_SW_SX_S14_S18_S1A_T6_T7_T9_mT8_S1C_bDpT10_ENKUlT_T0_E_clISt17integral_constantIbLb1EES1P_EEDaS1K_S1L_EUlS1K_E_NS1_11comp_targetILNS1_3genE5ELNS1_11target_archE942ELNS1_3gpuE9ELNS1_3repE0EEENS1_30default_config_static_selectorELNS0_4arch9wavefront6targetE0EEEvSY_: ; @_ZN7rocprim17ROCPRIM_400000_NS6detail17trampoline_kernelINS0_13select_configILj256ELj13ELNS0_17block_load_methodE3ELS4_3ELS4_3ELNS0_20block_scan_algorithmE0ELj4294967295EEENS1_25partition_config_selectorILNS1_17partition_subalgoE3EjNS0_10empty_typeEbEEZZNS1_14partition_implILS8_3ELb0ES6_jNS0_17counting_iteratorIjlEEPS9_SE_NS0_5tupleIJPjSE_EEENSF_IJSE_SE_EEES9_SG_JZNS1_25segmented_radix_sort_implINS0_14default_configELb1EPKfPfPKlPlN2at6native12_GLOBAL__N_18offset_tEEE10hipError_tPvRmT1_PNSt15iterator_traitsISY_E10value_typeET2_T3_PNSZ_IS14_E10value_typeET4_jRbjT5_S1A_jjP12ihipStream_tbEUljE_EEESV_SW_SX_S14_S18_S1A_T6_T7_T9_mT8_S1C_bDpT10_ENKUlT_T0_E_clISt17integral_constantIbLb1EES1P_EEDaS1K_S1L_EUlS1K_E_NS1_11comp_targetILNS1_3genE5ELNS1_11target_archE942ELNS1_3gpuE9ELNS1_3repE0EEENS1_30default_config_static_selectorELNS0_4arch9wavefront6targetE0EEEvSY_
; %bb.0:
	.section	.rodata,"a",@progbits
	.p2align	6, 0x0
	.amdhsa_kernel _ZN7rocprim17ROCPRIM_400000_NS6detail17trampoline_kernelINS0_13select_configILj256ELj13ELNS0_17block_load_methodE3ELS4_3ELS4_3ELNS0_20block_scan_algorithmE0ELj4294967295EEENS1_25partition_config_selectorILNS1_17partition_subalgoE3EjNS0_10empty_typeEbEEZZNS1_14partition_implILS8_3ELb0ES6_jNS0_17counting_iteratorIjlEEPS9_SE_NS0_5tupleIJPjSE_EEENSF_IJSE_SE_EEES9_SG_JZNS1_25segmented_radix_sort_implINS0_14default_configELb1EPKfPfPKlPlN2at6native12_GLOBAL__N_18offset_tEEE10hipError_tPvRmT1_PNSt15iterator_traitsISY_E10value_typeET2_T3_PNSZ_IS14_E10value_typeET4_jRbjT5_S1A_jjP12ihipStream_tbEUljE_EEESV_SW_SX_S14_S18_S1A_T6_T7_T9_mT8_S1C_bDpT10_ENKUlT_T0_E_clISt17integral_constantIbLb1EES1P_EEDaS1K_S1L_EUlS1K_E_NS1_11comp_targetILNS1_3genE5ELNS1_11target_archE942ELNS1_3gpuE9ELNS1_3repE0EEENS1_30default_config_static_selectorELNS0_4arch9wavefront6targetE0EEEvSY_
		.amdhsa_group_segment_fixed_size 0
		.amdhsa_private_segment_fixed_size 0
		.amdhsa_kernarg_size 152
		.amdhsa_user_sgpr_count 2
		.amdhsa_user_sgpr_dispatch_ptr 0
		.amdhsa_user_sgpr_queue_ptr 0
		.amdhsa_user_sgpr_kernarg_segment_ptr 1
		.amdhsa_user_sgpr_dispatch_id 0
		.amdhsa_user_sgpr_private_segment_size 0
		.amdhsa_wavefront_size32 1
		.amdhsa_uses_dynamic_stack 0
		.amdhsa_enable_private_segment 0
		.amdhsa_system_sgpr_workgroup_id_x 1
		.amdhsa_system_sgpr_workgroup_id_y 0
		.amdhsa_system_sgpr_workgroup_id_z 0
		.amdhsa_system_sgpr_workgroup_info 0
		.amdhsa_system_vgpr_workitem_id 0
		.amdhsa_next_free_vgpr 1
		.amdhsa_next_free_sgpr 1
		.amdhsa_reserve_vcc 0
		.amdhsa_float_round_mode_32 0
		.amdhsa_float_round_mode_16_64 0
		.amdhsa_float_denorm_mode_32 3
		.amdhsa_float_denorm_mode_16_64 3
		.amdhsa_fp16_overflow 0
		.amdhsa_workgroup_processor_mode 1
		.amdhsa_memory_ordered 1
		.amdhsa_forward_progress 1
		.amdhsa_inst_pref_size 0
		.amdhsa_round_robin_scheduling 0
		.amdhsa_exception_fp_ieee_invalid_op 0
		.amdhsa_exception_fp_denorm_src 0
		.amdhsa_exception_fp_ieee_div_zero 0
		.amdhsa_exception_fp_ieee_overflow 0
		.amdhsa_exception_fp_ieee_underflow 0
		.amdhsa_exception_fp_ieee_inexact 0
		.amdhsa_exception_int_div_zero 0
	.end_amdhsa_kernel
	.section	.text._ZN7rocprim17ROCPRIM_400000_NS6detail17trampoline_kernelINS0_13select_configILj256ELj13ELNS0_17block_load_methodE3ELS4_3ELS4_3ELNS0_20block_scan_algorithmE0ELj4294967295EEENS1_25partition_config_selectorILNS1_17partition_subalgoE3EjNS0_10empty_typeEbEEZZNS1_14partition_implILS8_3ELb0ES6_jNS0_17counting_iteratorIjlEEPS9_SE_NS0_5tupleIJPjSE_EEENSF_IJSE_SE_EEES9_SG_JZNS1_25segmented_radix_sort_implINS0_14default_configELb1EPKfPfPKlPlN2at6native12_GLOBAL__N_18offset_tEEE10hipError_tPvRmT1_PNSt15iterator_traitsISY_E10value_typeET2_T3_PNSZ_IS14_E10value_typeET4_jRbjT5_S1A_jjP12ihipStream_tbEUljE_EEESV_SW_SX_S14_S18_S1A_T6_T7_T9_mT8_S1C_bDpT10_ENKUlT_T0_E_clISt17integral_constantIbLb1EES1P_EEDaS1K_S1L_EUlS1K_E_NS1_11comp_targetILNS1_3genE5ELNS1_11target_archE942ELNS1_3gpuE9ELNS1_3repE0EEENS1_30default_config_static_selectorELNS0_4arch9wavefront6targetE0EEEvSY_,"axG",@progbits,_ZN7rocprim17ROCPRIM_400000_NS6detail17trampoline_kernelINS0_13select_configILj256ELj13ELNS0_17block_load_methodE3ELS4_3ELS4_3ELNS0_20block_scan_algorithmE0ELj4294967295EEENS1_25partition_config_selectorILNS1_17partition_subalgoE3EjNS0_10empty_typeEbEEZZNS1_14partition_implILS8_3ELb0ES6_jNS0_17counting_iteratorIjlEEPS9_SE_NS0_5tupleIJPjSE_EEENSF_IJSE_SE_EEES9_SG_JZNS1_25segmented_radix_sort_implINS0_14default_configELb1EPKfPfPKlPlN2at6native12_GLOBAL__N_18offset_tEEE10hipError_tPvRmT1_PNSt15iterator_traitsISY_E10value_typeET2_T3_PNSZ_IS14_E10value_typeET4_jRbjT5_S1A_jjP12ihipStream_tbEUljE_EEESV_SW_SX_S14_S18_S1A_T6_T7_T9_mT8_S1C_bDpT10_ENKUlT_T0_E_clISt17integral_constantIbLb1EES1P_EEDaS1K_S1L_EUlS1K_E_NS1_11comp_targetILNS1_3genE5ELNS1_11target_archE942ELNS1_3gpuE9ELNS1_3repE0EEENS1_30default_config_static_selectorELNS0_4arch9wavefront6targetE0EEEvSY_,comdat
.Lfunc_end1302:
	.size	_ZN7rocprim17ROCPRIM_400000_NS6detail17trampoline_kernelINS0_13select_configILj256ELj13ELNS0_17block_load_methodE3ELS4_3ELS4_3ELNS0_20block_scan_algorithmE0ELj4294967295EEENS1_25partition_config_selectorILNS1_17partition_subalgoE3EjNS0_10empty_typeEbEEZZNS1_14partition_implILS8_3ELb0ES6_jNS0_17counting_iteratorIjlEEPS9_SE_NS0_5tupleIJPjSE_EEENSF_IJSE_SE_EEES9_SG_JZNS1_25segmented_radix_sort_implINS0_14default_configELb1EPKfPfPKlPlN2at6native12_GLOBAL__N_18offset_tEEE10hipError_tPvRmT1_PNSt15iterator_traitsISY_E10value_typeET2_T3_PNSZ_IS14_E10value_typeET4_jRbjT5_S1A_jjP12ihipStream_tbEUljE_EEESV_SW_SX_S14_S18_S1A_T6_T7_T9_mT8_S1C_bDpT10_ENKUlT_T0_E_clISt17integral_constantIbLb1EES1P_EEDaS1K_S1L_EUlS1K_E_NS1_11comp_targetILNS1_3genE5ELNS1_11target_archE942ELNS1_3gpuE9ELNS1_3repE0EEENS1_30default_config_static_selectorELNS0_4arch9wavefront6targetE0EEEvSY_, .Lfunc_end1302-_ZN7rocprim17ROCPRIM_400000_NS6detail17trampoline_kernelINS0_13select_configILj256ELj13ELNS0_17block_load_methodE3ELS4_3ELS4_3ELNS0_20block_scan_algorithmE0ELj4294967295EEENS1_25partition_config_selectorILNS1_17partition_subalgoE3EjNS0_10empty_typeEbEEZZNS1_14partition_implILS8_3ELb0ES6_jNS0_17counting_iteratorIjlEEPS9_SE_NS0_5tupleIJPjSE_EEENSF_IJSE_SE_EEES9_SG_JZNS1_25segmented_radix_sort_implINS0_14default_configELb1EPKfPfPKlPlN2at6native12_GLOBAL__N_18offset_tEEE10hipError_tPvRmT1_PNSt15iterator_traitsISY_E10value_typeET2_T3_PNSZ_IS14_E10value_typeET4_jRbjT5_S1A_jjP12ihipStream_tbEUljE_EEESV_SW_SX_S14_S18_S1A_T6_T7_T9_mT8_S1C_bDpT10_ENKUlT_T0_E_clISt17integral_constantIbLb1EES1P_EEDaS1K_S1L_EUlS1K_E_NS1_11comp_targetILNS1_3genE5ELNS1_11target_archE942ELNS1_3gpuE9ELNS1_3repE0EEENS1_30default_config_static_selectorELNS0_4arch9wavefront6targetE0EEEvSY_
                                        ; -- End function
	.set _ZN7rocprim17ROCPRIM_400000_NS6detail17trampoline_kernelINS0_13select_configILj256ELj13ELNS0_17block_load_methodE3ELS4_3ELS4_3ELNS0_20block_scan_algorithmE0ELj4294967295EEENS1_25partition_config_selectorILNS1_17partition_subalgoE3EjNS0_10empty_typeEbEEZZNS1_14partition_implILS8_3ELb0ES6_jNS0_17counting_iteratorIjlEEPS9_SE_NS0_5tupleIJPjSE_EEENSF_IJSE_SE_EEES9_SG_JZNS1_25segmented_radix_sort_implINS0_14default_configELb1EPKfPfPKlPlN2at6native12_GLOBAL__N_18offset_tEEE10hipError_tPvRmT1_PNSt15iterator_traitsISY_E10value_typeET2_T3_PNSZ_IS14_E10value_typeET4_jRbjT5_S1A_jjP12ihipStream_tbEUljE_EEESV_SW_SX_S14_S18_S1A_T6_T7_T9_mT8_S1C_bDpT10_ENKUlT_T0_E_clISt17integral_constantIbLb1EES1P_EEDaS1K_S1L_EUlS1K_E_NS1_11comp_targetILNS1_3genE5ELNS1_11target_archE942ELNS1_3gpuE9ELNS1_3repE0EEENS1_30default_config_static_selectorELNS0_4arch9wavefront6targetE0EEEvSY_.num_vgpr, 0
	.set _ZN7rocprim17ROCPRIM_400000_NS6detail17trampoline_kernelINS0_13select_configILj256ELj13ELNS0_17block_load_methodE3ELS4_3ELS4_3ELNS0_20block_scan_algorithmE0ELj4294967295EEENS1_25partition_config_selectorILNS1_17partition_subalgoE3EjNS0_10empty_typeEbEEZZNS1_14partition_implILS8_3ELb0ES6_jNS0_17counting_iteratorIjlEEPS9_SE_NS0_5tupleIJPjSE_EEENSF_IJSE_SE_EEES9_SG_JZNS1_25segmented_radix_sort_implINS0_14default_configELb1EPKfPfPKlPlN2at6native12_GLOBAL__N_18offset_tEEE10hipError_tPvRmT1_PNSt15iterator_traitsISY_E10value_typeET2_T3_PNSZ_IS14_E10value_typeET4_jRbjT5_S1A_jjP12ihipStream_tbEUljE_EEESV_SW_SX_S14_S18_S1A_T6_T7_T9_mT8_S1C_bDpT10_ENKUlT_T0_E_clISt17integral_constantIbLb1EES1P_EEDaS1K_S1L_EUlS1K_E_NS1_11comp_targetILNS1_3genE5ELNS1_11target_archE942ELNS1_3gpuE9ELNS1_3repE0EEENS1_30default_config_static_selectorELNS0_4arch9wavefront6targetE0EEEvSY_.num_agpr, 0
	.set _ZN7rocprim17ROCPRIM_400000_NS6detail17trampoline_kernelINS0_13select_configILj256ELj13ELNS0_17block_load_methodE3ELS4_3ELS4_3ELNS0_20block_scan_algorithmE0ELj4294967295EEENS1_25partition_config_selectorILNS1_17partition_subalgoE3EjNS0_10empty_typeEbEEZZNS1_14partition_implILS8_3ELb0ES6_jNS0_17counting_iteratorIjlEEPS9_SE_NS0_5tupleIJPjSE_EEENSF_IJSE_SE_EEES9_SG_JZNS1_25segmented_radix_sort_implINS0_14default_configELb1EPKfPfPKlPlN2at6native12_GLOBAL__N_18offset_tEEE10hipError_tPvRmT1_PNSt15iterator_traitsISY_E10value_typeET2_T3_PNSZ_IS14_E10value_typeET4_jRbjT5_S1A_jjP12ihipStream_tbEUljE_EEESV_SW_SX_S14_S18_S1A_T6_T7_T9_mT8_S1C_bDpT10_ENKUlT_T0_E_clISt17integral_constantIbLb1EES1P_EEDaS1K_S1L_EUlS1K_E_NS1_11comp_targetILNS1_3genE5ELNS1_11target_archE942ELNS1_3gpuE9ELNS1_3repE0EEENS1_30default_config_static_selectorELNS0_4arch9wavefront6targetE0EEEvSY_.numbered_sgpr, 0
	.set _ZN7rocprim17ROCPRIM_400000_NS6detail17trampoline_kernelINS0_13select_configILj256ELj13ELNS0_17block_load_methodE3ELS4_3ELS4_3ELNS0_20block_scan_algorithmE0ELj4294967295EEENS1_25partition_config_selectorILNS1_17partition_subalgoE3EjNS0_10empty_typeEbEEZZNS1_14partition_implILS8_3ELb0ES6_jNS0_17counting_iteratorIjlEEPS9_SE_NS0_5tupleIJPjSE_EEENSF_IJSE_SE_EEES9_SG_JZNS1_25segmented_radix_sort_implINS0_14default_configELb1EPKfPfPKlPlN2at6native12_GLOBAL__N_18offset_tEEE10hipError_tPvRmT1_PNSt15iterator_traitsISY_E10value_typeET2_T3_PNSZ_IS14_E10value_typeET4_jRbjT5_S1A_jjP12ihipStream_tbEUljE_EEESV_SW_SX_S14_S18_S1A_T6_T7_T9_mT8_S1C_bDpT10_ENKUlT_T0_E_clISt17integral_constantIbLb1EES1P_EEDaS1K_S1L_EUlS1K_E_NS1_11comp_targetILNS1_3genE5ELNS1_11target_archE942ELNS1_3gpuE9ELNS1_3repE0EEENS1_30default_config_static_selectorELNS0_4arch9wavefront6targetE0EEEvSY_.num_named_barrier, 0
	.set _ZN7rocprim17ROCPRIM_400000_NS6detail17trampoline_kernelINS0_13select_configILj256ELj13ELNS0_17block_load_methodE3ELS4_3ELS4_3ELNS0_20block_scan_algorithmE0ELj4294967295EEENS1_25partition_config_selectorILNS1_17partition_subalgoE3EjNS0_10empty_typeEbEEZZNS1_14partition_implILS8_3ELb0ES6_jNS0_17counting_iteratorIjlEEPS9_SE_NS0_5tupleIJPjSE_EEENSF_IJSE_SE_EEES9_SG_JZNS1_25segmented_radix_sort_implINS0_14default_configELb1EPKfPfPKlPlN2at6native12_GLOBAL__N_18offset_tEEE10hipError_tPvRmT1_PNSt15iterator_traitsISY_E10value_typeET2_T3_PNSZ_IS14_E10value_typeET4_jRbjT5_S1A_jjP12ihipStream_tbEUljE_EEESV_SW_SX_S14_S18_S1A_T6_T7_T9_mT8_S1C_bDpT10_ENKUlT_T0_E_clISt17integral_constantIbLb1EES1P_EEDaS1K_S1L_EUlS1K_E_NS1_11comp_targetILNS1_3genE5ELNS1_11target_archE942ELNS1_3gpuE9ELNS1_3repE0EEENS1_30default_config_static_selectorELNS0_4arch9wavefront6targetE0EEEvSY_.private_seg_size, 0
	.set _ZN7rocprim17ROCPRIM_400000_NS6detail17trampoline_kernelINS0_13select_configILj256ELj13ELNS0_17block_load_methodE3ELS4_3ELS4_3ELNS0_20block_scan_algorithmE0ELj4294967295EEENS1_25partition_config_selectorILNS1_17partition_subalgoE3EjNS0_10empty_typeEbEEZZNS1_14partition_implILS8_3ELb0ES6_jNS0_17counting_iteratorIjlEEPS9_SE_NS0_5tupleIJPjSE_EEENSF_IJSE_SE_EEES9_SG_JZNS1_25segmented_radix_sort_implINS0_14default_configELb1EPKfPfPKlPlN2at6native12_GLOBAL__N_18offset_tEEE10hipError_tPvRmT1_PNSt15iterator_traitsISY_E10value_typeET2_T3_PNSZ_IS14_E10value_typeET4_jRbjT5_S1A_jjP12ihipStream_tbEUljE_EEESV_SW_SX_S14_S18_S1A_T6_T7_T9_mT8_S1C_bDpT10_ENKUlT_T0_E_clISt17integral_constantIbLb1EES1P_EEDaS1K_S1L_EUlS1K_E_NS1_11comp_targetILNS1_3genE5ELNS1_11target_archE942ELNS1_3gpuE9ELNS1_3repE0EEENS1_30default_config_static_selectorELNS0_4arch9wavefront6targetE0EEEvSY_.uses_vcc, 0
	.set _ZN7rocprim17ROCPRIM_400000_NS6detail17trampoline_kernelINS0_13select_configILj256ELj13ELNS0_17block_load_methodE3ELS4_3ELS4_3ELNS0_20block_scan_algorithmE0ELj4294967295EEENS1_25partition_config_selectorILNS1_17partition_subalgoE3EjNS0_10empty_typeEbEEZZNS1_14partition_implILS8_3ELb0ES6_jNS0_17counting_iteratorIjlEEPS9_SE_NS0_5tupleIJPjSE_EEENSF_IJSE_SE_EEES9_SG_JZNS1_25segmented_radix_sort_implINS0_14default_configELb1EPKfPfPKlPlN2at6native12_GLOBAL__N_18offset_tEEE10hipError_tPvRmT1_PNSt15iterator_traitsISY_E10value_typeET2_T3_PNSZ_IS14_E10value_typeET4_jRbjT5_S1A_jjP12ihipStream_tbEUljE_EEESV_SW_SX_S14_S18_S1A_T6_T7_T9_mT8_S1C_bDpT10_ENKUlT_T0_E_clISt17integral_constantIbLb1EES1P_EEDaS1K_S1L_EUlS1K_E_NS1_11comp_targetILNS1_3genE5ELNS1_11target_archE942ELNS1_3gpuE9ELNS1_3repE0EEENS1_30default_config_static_selectorELNS0_4arch9wavefront6targetE0EEEvSY_.uses_flat_scratch, 0
	.set _ZN7rocprim17ROCPRIM_400000_NS6detail17trampoline_kernelINS0_13select_configILj256ELj13ELNS0_17block_load_methodE3ELS4_3ELS4_3ELNS0_20block_scan_algorithmE0ELj4294967295EEENS1_25partition_config_selectorILNS1_17partition_subalgoE3EjNS0_10empty_typeEbEEZZNS1_14partition_implILS8_3ELb0ES6_jNS0_17counting_iteratorIjlEEPS9_SE_NS0_5tupleIJPjSE_EEENSF_IJSE_SE_EEES9_SG_JZNS1_25segmented_radix_sort_implINS0_14default_configELb1EPKfPfPKlPlN2at6native12_GLOBAL__N_18offset_tEEE10hipError_tPvRmT1_PNSt15iterator_traitsISY_E10value_typeET2_T3_PNSZ_IS14_E10value_typeET4_jRbjT5_S1A_jjP12ihipStream_tbEUljE_EEESV_SW_SX_S14_S18_S1A_T6_T7_T9_mT8_S1C_bDpT10_ENKUlT_T0_E_clISt17integral_constantIbLb1EES1P_EEDaS1K_S1L_EUlS1K_E_NS1_11comp_targetILNS1_3genE5ELNS1_11target_archE942ELNS1_3gpuE9ELNS1_3repE0EEENS1_30default_config_static_selectorELNS0_4arch9wavefront6targetE0EEEvSY_.has_dyn_sized_stack, 0
	.set _ZN7rocprim17ROCPRIM_400000_NS6detail17trampoline_kernelINS0_13select_configILj256ELj13ELNS0_17block_load_methodE3ELS4_3ELS4_3ELNS0_20block_scan_algorithmE0ELj4294967295EEENS1_25partition_config_selectorILNS1_17partition_subalgoE3EjNS0_10empty_typeEbEEZZNS1_14partition_implILS8_3ELb0ES6_jNS0_17counting_iteratorIjlEEPS9_SE_NS0_5tupleIJPjSE_EEENSF_IJSE_SE_EEES9_SG_JZNS1_25segmented_radix_sort_implINS0_14default_configELb1EPKfPfPKlPlN2at6native12_GLOBAL__N_18offset_tEEE10hipError_tPvRmT1_PNSt15iterator_traitsISY_E10value_typeET2_T3_PNSZ_IS14_E10value_typeET4_jRbjT5_S1A_jjP12ihipStream_tbEUljE_EEESV_SW_SX_S14_S18_S1A_T6_T7_T9_mT8_S1C_bDpT10_ENKUlT_T0_E_clISt17integral_constantIbLb1EES1P_EEDaS1K_S1L_EUlS1K_E_NS1_11comp_targetILNS1_3genE5ELNS1_11target_archE942ELNS1_3gpuE9ELNS1_3repE0EEENS1_30default_config_static_selectorELNS0_4arch9wavefront6targetE0EEEvSY_.has_recursion, 0
	.set _ZN7rocprim17ROCPRIM_400000_NS6detail17trampoline_kernelINS0_13select_configILj256ELj13ELNS0_17block_load_methodE3ELS4_3ELS4_3ELNS0_20block_scan_algorithmE0ELj4294967295EEENS1_25partition_config_selectorILNS1_17partition_subalgoE3EjNS0_10empty_typeEbEEZZNS1_14partition_implILS8_3ELb0ES6_jNS0_17counting_iteratorIjlEEPS9_SE_NS0_5tupleIJPjSE_EEENSF_IJSE_SE_EEES9_SG_JZNS1_25segmented_radix_sort_implINS0_14default_configELb1EPKfPfPKlPlN2at6native12_GLOBAL__N_18offset_tEEE10hipError_tPvRmT1_PNSt15iterator_traitsISY_E10value_typeET2_T3_PNSZ_IS14_E10value_typeET4_jRbjT5_S1A_jjP12ihipStream_tbEUljE_EEESV_SW_SX_S14_S18_S1A_T6_T7_T9_mT8_S1C_bDpT10_ENKUlT_T0_E_clISt17integral_constantIbLb1EES1P_EEDaS1K_S1L_EUlS1K_E_NS1_11comp_targetILNS1_3genE5ELNS1_11target_archE942ELNS1_3gpuE9ELNS1_3repE0EEENS1_30default_config_static_selectorELNS0_4arch9wavefront6targetE0EEEvSY_.has_indirect_call, 0
	.section	.AMDGPU.csdata,"",@progbits
; Kernel info:
; codeLenInByte = 0
; TotalNumSgprs: 0
; NumVgprs: 0
; ScratchSize: 0
; MemoryBound: 0
; FloatMode: 240
; IeeeMode: 1
; LDSByteSize: 0 bytes/workgroup (compile time only)
; SGPRBlocks: 0
; VGPRBlocks: 0
; NumSGPRsForWavesPerEU: 1
; NumVGPRsForWavesPerEU: 1
; Occupancy: 16
; WaveLimiterHint : 0
; COMPUTE_PGM_RSRC2:SCRATCH_EN: 0
; COMPUTE_PGM_RSRC2:USER_SGPR: 2
; COMPUTE_PGM_RSRC2:TRAP_HANDLER: 0
; COMPUTE_PGM_RSRC2:TGID_X_EN: 1
; COMPUTE_PGM_RSRC2:TGID_Y_EN: 0
; COMPUTE_PGM_RSRC2:TGID_Z_EN: 0
; COMPUTE_PGM_RSRC2:TIDIG_COMP_CNT: 0
	.section	.text._ZN7rocprim17ROCPRIM_400000_NS6detail17trampoline_kernelINS0_13select_configILj256ELj13ELNS0_17block_load_methodE3ELS4_3ELS4_3ELNS0_20block_scan_algorithmE0ELj4294967295EEENS1_25partition_config_selectorILNS1_17partition_subalgoE3EjNS0_10empty_typeEbEEZZNS1_14partition_implILS8_3ELb0ES6_jNS0_17counting_iteratorIjlEEPS9_SE_NS0_5tupleIJPjSE_EEENSF_IJSE_SE_EEES9_SG_JZNS1_25segmented_radix_sort_implINS0_14default_configELb1EPKfPfPKlPlN2at6native12_GLOBAL__N_18offset_tEEE10hipError_tPvRmT1_PNSt15iterator_traitsISY_E10value_typeET2_T3_PNSZ_IS14_E10value_typeET4_jRbjT5_S1A_jjP12ihipStream_tbEUljE_EEESV_SW_SX_S14_S18_S1A_T6_T7_T9_mT8_S1C_bDpT10_ENKUlT_T0_E_clISt17integral_constantIbLb1EES1P_EEDaS1K_S1L_EUlS1K_E_NS1_11comp_targetILNS1_3genE4ELNS1_11target_archE910ELNS1_3gpuE8ELNS1_3repE0EEENS1_30default_config_static_selectorELNS0_4arch9wavefront6targetE0EEEvSY_,"axG",@progbits,_ZN7rocprim17ROCPRIM_400000_NS6detail17trampoline_kernelINS0_13select_configILj256ELj13ELNS0_17block_load_methodE3ELS4_3ELS4_3ELNS0_20block_scan_algorithmE0ELj4294967295EEENS1_25partition_config_selectorILNS1_17partition_subalgoE3EjNS0_10empty_typeEbEEZZNS1_14partition_implILS8_3ELb0ES6_jNS0_17counting_iteratorIjlEEPS9_SE_NS0_5tupleIJPjSE_EEENSF_IJSE_SE_EEES9_SG_JZNS1_25segmented_radix_sort_implINS0_14default_configELb1EPKfPfPKlPlN2at6native12_GLOBAL__N_18offset_tEEE10hipError_tPvRmT1_PNSt15iterator_traitsISY_E10value_typeET2_T3_PNSZ_IS14_E10value_typeET4_jRbjT5_S1A_jjP12ihipStream_tbEUljE_EEESV_SW_SX_S14_S18_S1A_T6_T7_T9_mT8_S1C_bDpT10_ENKUlT_T0_E_clISt17integral_constantIbLb1EES1P_EEDaS1K_S1L_EUlS1K_E_NS1_11comp_targetILNS1_3genE4ELNS1_11target_archE910ELNS1_3gpuE8ELNS1_3repE0EEENS1_30default_config_static_selectorELNS0_4arch9wavefront6targetE0EEEvSY_,comdat
	.globl	_ZN7rocprim17ROCPRIM_400000_NS6detail17trampoline_kernelINS0_13select_configILj256ELj13ELNS0_17block_load_methodE3ELS4_3ELS4_3ELNS0_20block_scan_algorithmE0ELj4294967295EEENS1_25partition_config_selectorILNS1_17partition_subalgoE3EjNS0_10empty_typeEbEEZZNS1_14partition_implILS8_3ELb0ES6_jNS0_17counting_iteratorIjlEEPS9_SE_NS0_5tupleIJPjSE_EEENSF_IJSE_SE_EEES9_SG_JZNS1_25segmented_radix_sort_implINS0_14default_configELb1EPKfPfPKlPlN2at6native12_GLOBAL__N_18offset_tEEE10hipError_tPvRmT1_PNSt15iterator_traitsISY_E10value_typeET2_T3_PNSZ_IS14_E10value_typeET4_jRbjT5_S1A_jjP12ihipStream_tbEUljE_EEESV_SW_SX_S14_S18_S1A_T6_T7_T9_mT8_S1C_bDpT10_ENKUlT_T0_E_clISt17integral_constantIbLb1EES1P_EEDaS1K_S1L_EUlS1K_E_NS1_11comp_targetILNS1_3genE4ELNS1_11target_archE910ELNS1_3gpuE8ELNS1_3repE0EEENS1_30default_config_static_selectorELNS0_4arch9wavefront6targetE0EEEvSY_ ; -- Begin function _ZN7rocprim17ROCPRIM_400000_NS6detail17trampoline_kernelINS0_13select_configILj256ELj13ELNS0_17block_load_methodE3ELS4_3ELS4_3ELNS0_20block_scan_algorithmE0ELj4294967295EEENS1_25partition_config_selectorILNS1_17partition_subalgoE3EjNS0_10empty_typeEbEEZZNS1_14partition_implILS8_3ELb0ES6_jNS0_17counting_iteratorIjlEEPS9_SE_NS0_5tupleIJPjSE_EEENSF_IJSE_SE_EEES9_SG_JZNS1_25segmented_radix_sort_implINS0_14default_configELb1EPKfPfPKlPlN2at6native12_GLOBAL__N_18offset_tEEE10hipError_tPvRmT1_PNSt15iterator_traitsISY_E10value_typeET2_T3_PNSZ_IS14_E10value_typeET4_jRbjT5_S1A_jjP12ihipStream_tbEUljE_EEESV_SW_SX_S14_S18_S1A_T6_T7_T9_mT8_S1C_bDpT10_ENKUlT_T0_E_clISt17integral_constantIbLb1EES1P_EEDaS1K_S1L_EUlS1K_E_NS1_11comp_targetILNS1_3genE4ELNS1_11target_archE910ELNS1_3gpuE8ELNS1_3repE0EEENS1_30default_config_static_selectorELNS0_4arch9wavefront6targetE0EEEvSY_
	.p2align	8
	.type	_ZN7rocprim17ROCPRIM_400000_NS6detail17trampoline_kernelINS0_13select_configILj256ELj13ELNS0_17block_load_methodE3ELS4_3ELS4_3ELNS0_20block_scan_algorithmE0ELj4294967295EEENS1_25partition_config_selectorILNS1_17partition_subalgoE3EjNS0_10empty_typeEbEEZZNS1_14partition_implILS8_3ELb0ES6_jNS0_17counting_iteratorIjlEEPS9_SE_NS0_5tupleIJPjSE_EEENSF_IJSE_SE_EEES9_SG_JZNS1_25segmented_radix_sort_implINS0_14default_configELb1EPKfPfPKlPlN2at6native12_GLOBAL__N_18offset_tEEE10hipError_tPvRmT1_PNSt15iterator_traitsISY_E10value_typeET2_T3_PNSZ_IS14_E10value_typeET4_jRbjT5_S1A_jjP12ihipStream_tbEUljE_EEESV_SW_SX_S14_S18_S1A_T6_T7_T9_mT8_S1C_bDpT10_ENKUlT_T0_E_clISt17integral_constantIbLb1EES1P_EEDaS1K_S1L_EUlS1K_E_NS1_11comp_targetILNS1_3genE4ELNS1_11target_archE910ELNS1_3gpuE8ELNS1_3repE0EEENS1_30default_config_static_selectorELNS0_4arch9wavefront6targetE0EEEvSY_,@function
_ZN7rocprim17ROCPRIM_400000_NS6detail17trampoline_kernelINS0_13select_configILj256ELj13ELNS0_17block_load_methodE3ELS4_3ELS4_3ELNS0_20block_scan_algorithmE0ELj4294967295EEENS1_25partition_config_selectorILNS1_17partition_subalgoE3EjNS0_10empty_typeEbEEZZNS1_14partition_implILS8_3ELb0ES6_jNS0_17counting_iteratorIjlEEPS9_SE_NS0_5tupleIJPjSE_EEENSF_IJSE_SE_EEES9_SG_JZNS1_25segmented_radix_sort_implINS0_14default_configELb1EPKfPfPKlPlN2at6native12_GLOBAL__N_18offset_tEEE10hipError_tPvRmT1_PNSt15iterator_traitsISY_E10value_typeET2_T3_PNSZ_IS14_E10value_typeET4_jRbjT5_S1A_jjP12ihipStream_tbEUljE_EEESV_SW_SX_S14_S18_S1A_T6_T7_T9_mT8_S1C_bDpT10_ENKUlT_T0_E_clISt17integral_constantIbLb1EES1P_EEDaS1K_S1L_EUlS1K_E_NS1_11comp_targetILNS1_3genE4ELNS1_11target_archE910ELNS1_3gpuE8ELNS1_3repE0EEENS1_30default_config_static_selectorELNS0_4arch9wavefront6targetE0EEEvSY_: ; @_ZN7rocprim17ROCPRIM_400000_NS6detail17trampoline_kernelINS0_13select_configILj256ELj13ELNS0_17block_load_methodE3ELS4_3ELS4_3ELNS0_20block_scan_algorithmE0ELj4294967295EEENS1_25partition_config_selectorILNS1_17partition_subalgoE3EjNS0_10empty_typeEbEEZZNS1_14partition_implILS8_3ELb0ES6_jNS0_17counting_iteratorIjlEEPS9_SE_NS0_5tupleIJPjSE_EEENSF_IJSE_SE_EEES9_SG_JZNS1_25segmented_radix_sort_implINS0_14default_configELb1EPKfPfPKlPlN2at6native12_GLOBAL__N_18offset_tEEE10hipError_tPvRmT1_PNSt15iterator_traitsISY_E10value_typeET2_T3_PNSZ_IS14_E10value_typeET4_jRbjT5_S1A_jjP12ihipStream_tbEUljE_EEESV_SW_SX_S14_S18_S1A_T6_T7_T9_mT8_S1C_bDpT10_ENKUlT_T0_E_clISt17integral_constantIbLb1EES1P_EEDaS1K_S1L_EUlS1K_E_NS1_11comp_targetILNS1_3genE4ELNS1_11target_archE910ELNS1_3gpuE8ELNS1_3repE0EEENS1_30default_config_static_selectorELNS0_4arch9wavefront6targetE0EEEvSY_
; %bb.0:
	.section	.rodata,"a",@progbits
	.p2align	6, 0x0
	.amdhsa_kernel _ZN7rocprim17ROCPRIM_400000_NS6detail17trampoline_kernelINS0_13select_configILj256ELj13ELNS0_17block_load_methodE3ELS4_3ELS4_3ELNS0_20block_scan_algorithmE0ELj4294967295EEENS1_25partition_config_selectorILNS1_17partition_subalgoE3EjNS0_10empty_typeEbEEZZNS1_14partition_implILS8_3ELb0ES6_jNS0_17counting_iteratorIjlEEPS9_SE_NS0_5tupleIJPjSE_EEENSF_IJSE_SE_EEES9_SG_JZNS1_25segmented_radix_sort_implINS0_14default_configELb1EPKfPfPKlPlN2at6native12_GLOBAL__N_18offset_tEEE10hipError_tPvRmT1_PNSt15iterator_traitsISY_E10value_typeET2_T3_PNSZ_IS14_E10value_typeET4_jRbjT5_S1A_jjP12ihipStream_tbEUljE_EEESV_SW_SX_S14_S18_S1A_T6_T7_T9_mT8_S1C_bDpT10_ENKUlT_T0_E_clISt17integral_constantIbLb1EES1P_EEDaS1K_S1L_EUlS1K_E_NS1_11comp_targetILNS1_3genE4ELNS1_11target_archE910ELNS1_3gpuE8ELNS1_3repE0EEENS1_30default_config_static_selectorELNS0_4arch9wavefront6targetE0EEEvSY_
		.amdhsa_group_segment_fixed_size 0
		.amdhsa_private_segment_fixed_size 0
		.amdhsa_kernarg_size 152
		.amdhsa_user_sgpr_count 2
		.amdhsa_user_sgpr_dispatch_ptr 0
		.amdhsa_user_sgpr_queue_ptr 0
		.amdhsa_user_sgpr_kernarg_segment_ptr 1
		.amdhsa_user_sgpr_dispatch_id 0
		.amdhsa_user_sgpr_private_segment_size 0
		.amdhsa_wavefront_size32 1
		.amdhsa_uses_dynamic_stack 0
		.amdhsa_enable_private_segment 0
		.amdhsa_system_sgpr_workgroup_id_x 1
		.amdhsa_system_sgpr_workgroup_id_y 0
		.amdhsa_system_sgpr_workgroup_id_z 0
		.amdhsa_system_sgpr_workgroup_info 0
		.amdhsa_system_vgpr_workitem_id 0
		.amdhsa_next_free_vgpr 1
		.amdhsa_next_free_sgpr 1
		.amdhsa_reserve_vcc 0
		.amdhsa_float_round_mode_32 0
		.amdhsa_float_round_mode_16_64 0
		.amdhsa_float_denorm_mode_32 3
		.amdhsa_float_denorm_mode_16_64 3
		.amdhsa_fp16_overflow 0
		.amdhsa_workgroup_processor_mode 1
		.amdhsa_memory_ordered 1
		.amdhsa_forward_progress 1
		.amdhsa_inst_pref_size 0
		.amdhsa_round_robin_scheduling 0
		.amdhsa_exception_fp_ieee_invalid_op 0
		.amdhsa_exception_fp_denorm_src 0
		.amdhsa_exception_fp_ieee_div_zero 0
		.amdhsa_exception_fp_ieee_overflow 0
		.amdhsa_exception_fp_ieee_underflow 0
		.amdhsa_exception_fp_ieee_inexact 0
		.amdhsa_exception_int_div_zero 0
	.end_amdhsa_kernel
	.section	.text._ZN7rocprim17ROCPRIM_400000_NS6detail17trampoline_kernelINS0_13select_configILj256ELj13ELNS0_17block_load_methodE3ELS4_3ELS4_3ELNS0_20block_scan_algorithmE0ELj4294967295EEENS1_25partition_config_selectorILNS1_17partition_subalgoE3EjNS0_10empty_typeEbEEZZNS1_14partition_implILS8_3ELb0ES6_jNS0_17counting_iteratorIjlEEPS9_SE_NS0_5tupleIJPjSE_EEENSF_IJSE_SE_EEES9_SG_JZNS1_25segmented_radix_sort_implINS0_14default_configELb1EPKfPfPKlPlN2at6native12_GLOBAL__N_18offset_tEEE10hipError_tPvRmT1_PNSt15iterator_traitsISY_E10value_typeET2_T3_PNSZ_IS14_E10value_typeET4_jRbjT5_S1A_jjP12ihipStream_tbEUljE_EEESV_SW_SX_S14_S18_S1A_T6_T7_T9_mT8_S1C_bDpT10_ENKUlT_T0_E_clISt17integral_constantIbLb1EES1P_EEDaS1K_S1L_EUlS1K_E_NS1_11comp_targetILNS1_3genE4ELNS1_11target_archE910ELNS1_3gpuE8ELNS1_3repE0EEENS1_30default_config_static_selectorELNS0_4arch9wavefront6targetE0EEEvSY_,"axG",@progbits,_ZN7rocprim17ROCPRIM_400000_NS6detail17trampoline_kernelINS0_13select_configILj256ELj13ELNS0_17block_load_methodE3ELS4_3ELS4_3ELNS0_20block_scan_algorithmE0ELj4294967295EEENS1_25partition_config_selectorILNS1_17partition_subalgoE3EjNS0_10empty_typeEbEEZZNS1_14partition_implILS8_3ELb0ES6_jNS0_17counting_iteratorIjlEEPS9_SE_NS0_5tupleIJPjSE_EEENSF_IJSE_SE_EEES9_SG_JZNS1_25segmented_radix_sort_implINS0_14default_configELb1EPKfPfPKlPlN2at6native12_GLOBAL__N_18offset_tEEE10hipError_tPvRmT1_PNSt15iterator_traitsISY_E10value_typeET2_T3_PNSZ_IS14_E10value_typeET4_jRbjT5_S1A_jjP12ihipStream_tbEUljE_EEESV_SW_SX_S14_S18_S1A_T6_T7_T9_mT8_S1C_bDpT10_ENKUlT_T0_E_clISt17integral_constantIbLb1EES1P_EEDaS1K_S1L_EUlS1K_E_NS1_11comp_targetILNS1_3genE4ELNS1_11target_archE910ELNS1_3gpuE8ELNS1_3repE0EEENS1_30default_config_static_selectorELNS0_4arch9wavefront6targetE0EEEvSY_,comdat
.Lfunc_end1303:
	.size	_ZN7rocprim17ROCPRIM_400000_NS6detail17trampoline_kernelINS0_13select_configILj256ELj13ELNS0_17block_load_methodE3ELS4_3ELS4_3ELNS0_20block_scan_algorithmE0ELj4294967295EEENS1_25partition_config_selectorILNS1_17partition_subalgoE3EjNS0_10empty_typeEbEEZZNS1_14partition_implILS8_3ELb0ES6_jNS0_17counting_iteratorIjlEEPS9_SE_NS0_5tupleIJPjSE_EEENSF_IJSE_SE_EEES9_SG_JZNS1_25segmented_radix_sort_implINS0_14default_configELb1EPKfPfPKlPlN2at6native12_GLOBAL__N_18offset_tEEE10hipError_tPvRmT1_PNSt15iterator_traitsISY_E10value_typeET2_T3_PNSZ_IS14_E10value_typeET4_jRbjT5_S1A_jjP12ihipStream_tbEUljE_EEESV_SW_SX_S14_S18_S1A_T6_T7_T9_mT8_S1C_bDpT10_ENKUlT_T0_E_clISt17integral_constantIbLb1EES1P_EEDaS1K_S1L_EUlS1K_E_NS1_11comp_targetILNS1_3genE4ELNS1_11target_archE910ELNS1_3gpuE8ELNS1_3repE0EEENS1_30default_config_static_selectorELNS0_4arch9wavefront6targetE0EEEvSY_, .Lfunc_end1303-_ZN7rocprim17ROCPRIM_400000_NS6detail17trampoline_kernelINS0_13select_configILj256ELj13ELNS0_17block_load_methodE3ELS4_3ELS4_3ELNS0_20block_scan_algorithmE0ELj4294967295EEENS1_25partition_config_selectorILNS1_17partition_subalgoE3EjNS0_10empty_typeEbEEZZNS1_14partition_implILS8_3ELb0ES6_jNS0_17counting_iteratorIjlEEPS9_SE_NS0_5tupleIJPjSE_EEENSF_IJSE_SE_EEES9_SG_JZNS1_25segmented_radix_sort_implINS0_14default_configELb1EPKfPfPKlPlN2at6native12_GLOBAL__N_18offset_tEEE10hipError_tPvRmT1_PNSt15iterator_traitsISY_E10value_typeET2_T3_PNSZ_IS14_E10value_typeET4_jRbjT5_S1A_jjP12ihipStream_tbEUljE_EEESV_SW_SX_S14_S18_S1A_T6_T7_T9_mT8_S1C_bDpT10_ENKUlT_T0_E_clISt17integral_constantIbLb1EES1P_EEDaS1K_S1L_EUlS1K_E_NS1_11comp_targetILNS1_3genE4ELNS1_11target_archE910ELNS1_3gpuE8ELNS1_3repE0EEENS1_30default_config_static_selectorELNS0_4arch9wavefront6targetE0EEEvSY_
                                        ; -- End function
	.set _ZN7rocprim17ROCPRIM_400000_NS6detail17trampoline_kernelINS0_13select_configILj256ELj13ELNS0_17block_load_methodE3ELS4_3ELS4_3ELNS0_20block_scan_algorithmE0ELj4294967295EEENS1_25partition_config_selectorILNS1_17partition_subalgoE3EjNS0_10empty_typeEbEEZZNS1_14partition_implILS8_3ELb0ES6_jNS0_17counting_iteratorIjlEEPS9_SE_NS0_5tupleIJPjSE_EEENSF_IJSE_SE_EEES9_SG_JZNS1_25segmented_radix_sort_implINS0_14default_configELb1EPKfPfPKlPlN2at6native12_GLOBAL__N_18offset_tEEE10hipError_tPvRmT1_PNSt15iterator_traitsISY_E10value_typeET2_T3_PNSZ_IS14_E10value_typeET4_jRbjT5_S1A_jjP12ihipStream_tbEUljE_EEESV_SW_SX_S14_S18_S1A_T6_T7_T9_mT8_S1C_bDpT10_ENKUlT_T0_E_clISt17integral_constantIbLb1EES1P_EEDaS1K_S1L_EUlS1K_E_NS1_11comp_targetILNS1_3genE4ELNS1_11target_archE910ELNS1_3gpuE8ELNS1_3repE0EEENS1_30default_config_static_selectorELNS0_4arch9wavefront6targetE0EEEvSY_.num_vgpr, 0
	.set _ZN7rocprim17ROCPRIM_400000_NS6detail17trampoline_kernelINS0_13select_configILj256ELj13ELNS0_17block_load_methodE3ELS4_3ELS4_3ELNS0_20block_scan_algorithmE0ELj4294967295EEENS1_25partition_config_selectorILNS1_17partition_subalgoE3EjNS0_10empty_typeEbEEZZNS1_14partition_implILS8_3ELb0ES6_jNS0_17counting_iteratorIjlEEPS9_SE_NS0_5tupleIJPjSE_EEENSF_IJSE_SE_EEES9_SG_JZNS1_25segmented_radix_sort_implINS0_14default_configELb1EPKfPfPKlPlN2at6native12_GLOBAL__N_18offset_tEEE10hipError_tPvRmT1_PNSt15iterator_traitsISY_E10value_typeET2_T3_PNSZ_IS14_E10value_typeET4_jRbjT5_S1A_jjP12ihipStream_tbEUljE_EEESV_SW_SX_S14_S18_S1A_T6_T7_T9_mT8_S1C_bDpT10_ENKUlT_T0_E_clISt17integral_constantIbLb1EES1P_EEDaS1K_S1L_EUlS1K_E_NS1_11comp_targetILNS1_3genE4ELNS1_11target_archE910ELNS1_3gpuE8ELNS1_3repE0EEENS1_30default_config_static_selectorELNS0_4arch9wavefront6targetE0EEEvSY_.num_agpr, 0
	.set _ZN7rocprim17ROCPRIM_400000_NS6detail17trampoline_kernelINS0_13select_configILj256ELj13ELNS0_17block_load_methodE3ELS4_3ELS4_3ELNS0_20block_scan_algorithmE0ELj4294967295EEENS1_25partition_config_selectorILNS1_17partition_subalgoE3EjNS0_10empty_typeEbEEZZNS1_14partition_implILS8_3ELb0ES6_jNS0_17counting_iteratorIjlEEPS9_SE_NS0_5tupleIJPjSE_EEENSF_IJSE_SE_EEES9_SG_JZNS1_25segmented_radix_sort_implINS0_14default_configELb1EPKfPfPKlPlN2at6native12_GLOBAL__N_18offset_tEEE10hipError_tPvRmT1_PNSt15iterator_traitsISY_E10value_typeET2_T3_PNSZ_IS14_E10value_typeET4_jRbjT5_S1A_jjP12ihipStream_tbEUljE_EEESV_SW_SX_S14_S18_S1A_T6_T7_T9_mT8_S1C_bDpT10_ENKUlT_T0_E_clISt17integral_constantIbLb1EES1P_EEDaS1K_S1L_EUlS1K_E_NS1_11comp_targetILNS1_3genE4ELNS1_11target_archE910ELNS1_3gpuE8ELNS1_3repE0EEENS1_30default_config_static_selectorELNS0_4arch9wavefront6targetE0EEEvSY_.numbered_sgpr, 0
	.set _ZN7rocprim17ROCPRIM_400000_NS6detail17trampoline_kernelINS0_13select_configILj256ELj13ELNS0_17block_load_methodE3ELS4_3ELS4_3ELNS0_20block_scan_algorithmE0ELj4294967295EEENS1_25partition_config_selectorILNS1_17partition_subalgoE3EjNS0_10empty_typeEbEEZZNS1_14partition_implILS8_3ELb0ES6_jNS0_17counting_iteratorIjlEEPS9_SE_NS0_5tupleIJPjSE_EEENSF_IJSE_SE_EEES9_SG_JZNS1_25segmented_radix_sort_implINS0_14default_configELb1EPKfPfPKlPlN2at6native12_GLOBAL__N_18offset_tEEE10hipError_tPvRmT1_PNSt15iterator_traitsISY_E10value_typeET2_T3_PNSZ_IS14_E10value_typeET4_jRbjT5_S1A_jjP12ihipStream_tbEUljE_EEESV_SW_SX_S14_S18_S1A_T6_T7_T9_mT8_S1C_bDpT10_ENKUlT_T0_E_clISt17integral_constantIbLb1EES1P_EEDaS1K_S1L_EUlS1K_E_NS1_11comp_targetILNS1_3genE4ELNS1_11target_archE910ELNS1_3gpuE8ELNS1_3repE0EEENS1_30default_config_static_selectorELNS0_4arch9wavefront6targetE0EEEvSY_.num_named_barrier, 0
	.set _ZN7rocprim17ROCPRIM_400000_NS6detail17trampoline_kernelINS0_13select_configILj256ELj13ELNS0_17block_load_methodE3ELS4_3ELS4_3ELNS0_20block_scan_algorithmE0ELj4294967295EEENS1_25partition_config_selectorILNS1_17partition_subalgoE3EjNS0_10empty_typeEbEEZZNS1_14partition_implILS8_3ELb0ES6_jNS0_17counting_iteratorIjlEEPS9_SE_NS0_5tupleIJPjSE_EEENSF_IJSE_SE_EEES9_SG_JZNS1_25segmented_radix_sort_implINS0_14default_configELb1EPKfPfPKlPlN2at6native12_GLOBAL__N_18offset_tEEE10hipError_tPvRmT1_PNSt15iterator_traitsISY_E10value_typeET2_T3_PNSZ_IS14_E10value_typeET4_jRbjT5_S1A_jjP12ihipStream_tbEUljE_EEESV_SW_SX_S14_S18_S1A_T6_T7_T9_mT8_S1C_bDpT10_ENKUlT_T0_E_clISt17integral_constantIbLb1EES1P_EEDaS1K_S1L_EUlS1K_E_NS1_11comp_targetILNS1_3genE4ELNS1_11target_archE910ELNS1_3gpuE8ELNS1_3repE0EEENS1_30default_config_static_selectorELNS0_4arch9wavefront6targetE0EEEvSY_.private_seg_size, 0
	.set _ZN7rocprim17ROCPRIM_400000_NS6detail17trampoline_kernelINS0_13select_configILj256ELj13ELNS0_17block_load_methodE3ELS4_3ELS4_3ELNS0_20block_scan_algorithmE0ELj4294967295EEENS1_25partition_config_selectorILNS1_17partition_subalgoE3EjNS0_10empty_typeEbEEZZNS1_14partition_implILS8_3ELb0ES6_jNS0_17counting_iteratorIjlEEPS9_SE_NS0_5tupleIJPjSE_EEENSF_IJSE_SE_EEES9_SG_JZNS1_25segmented_radix_sort_implINS0_14default_configELb1EPKfPfPKlPlN2at6native12_GLOBAL__N_18offset_tEEE10hipError_tPvRmT1_PNSt15iterator_traitsISY_E10value_typeET2_T3_PNSZ_IS14_E10value_typeET4_jRbjT5_S1A_jjP12ihipStream_tbEUljE_EEESV_SW_SX_S14_S18_S1A_T6_T7_T9_mT8_S1C_bDpT10_ENKUlT_T0_E_clISt17integral_constantIbLb1EES1P_EEDaS1K_S1L_EUlS1K_E_NS1_11comp_targetILNS1_3genE4ELNS1_11target_archE910ELNS1_3gpuE8ELNS1_3repE0EEENS1_30default_config_static_selectorELNS0_4arch9wavefront6targetE0EEEvSY_.uses_vcc, 0
	.set _ZN7rocprim17ROCPRIM_400000_NS6detail17trampoline_kernelINS0_13select_configILj256ELj13ELNS0_17block_load_methodE3ELS4_3ELS4_3ELNS0_20block_scan_algorithmE0ELj4294967295EEENS1_25partition_config_selectorILNS1_17partition_subalgoE3EjNS0_10empty_typeEbEEZZNS1_14partition_implILS8_3ELb0ES6_jNS0_17counting_iteratorIjlEEPS9_SE_NS0_5tupleIJPjSE_EEENSF_IJSE_SE_EEES9_SG_JZNS1_25segmented_radix_sort_implINS0_14default_configELb1EPKfPfPKlPlN2at6native12_GLOBAL__N_18offset_tEEE10hipError_tPvRmT1_PNSt15iterator_traitsISY_E10value_typeET2_T3_PNSZ_IS14_E10value_typeET4_jRbjT5_S1A_jjP12ihipStream_tbEUljE_EEESV_SW_SX_S14_S18_S1A_T6_T7_T9_mT8_S1C_bDpT10_ENKUlT_T0_E_clISt17integral_constantIbLb1EES1P_EEDaS1K_S1L_EUlS1K_E_NS1_11comp_targetILNS1_3genE4ELNS1_11target_archE910ELNS1_3gpuE8ELNS1_3repE0EEENS1_30default_config_static_selectorELNS0_4arch9wavefront6targetE0EEEvSY_.uses_flat_scratch, 0
	.set _ZN7rocprim17ROCPRIM_400000_NS6detail17trampoline_kernelINS0_13select_configILj256ELj13ELNS0_17block_load_methodE3ELS4_3ELS4_3ELNS0_20block_scan_algorithmE0ELj4294967295EEENS1_25partition_config_selectorILNS1_17partition_subalgoE3EjNS0_10empty_typeEbEEZZNS1_14partition_implILS8_3ELb0ES6_jNS0_17counting_iteratorIjlEEPS9_SE_NS0_5tupleIJPjSE_EEENSF_IJSE_SE_EEES9_SG_JZNS1_25segmented_radix_sort_implINS0_14default_configELb1EPKfPfPKlPlN2at6native12_GLOBAL__N_18offset_tEEE10hipError_tPvRmT1_PNSt15iterator_traitsISY_E10value_typeET2_T3_PNSZ_IS14_E10value_typeET4_jRbjT5_S1A_jjP12ihipStream_tbEUljE_EEESV_SW_SX_S14_S18_S1A_T6_T7_T9_mT8_S1C_bDpT10_ENKUlT_T0_E_clISt17integral_constantIbLb1EES1P_EEDaS1K_S1L_EUlS1K_E_NS1_11comp_targetILNS1_3genE4ELNS1_11target_archE910ELNS1_3gpuE8ELNS1_3repE0EEENS1_30default_config_static_selectorELNS0_4arch9wavefront6targetE0EEEvSY_.has_dyn_sized_stack, 0
	.set _ZN7rocprim17ROCPRIM_400000_NS6detail17trampoline_kernelINS0_13select_configILj256ELj13ELNS0_17block_load_methodE3ELS4_3ELS4_3ELNS0_20block_scan_algorithmE0ELj4294967295EEENS1_25partition_config_selectorILNS1_17partition_subalgoE3EjNS0_10empty_typeEbEEZZNS1_14partition_implILS8_3ELb0ES6_jNS0_17counting_iteratorIjlEEPS9_SE_NS0_5tupleIJPjSE_EEENSF_IJSE_SE_EEES9_SG_JZNS1_25segmented_radix_sort_implINS0_14default_configELb1EPKfPfPKlPlN2at6native12_GLOBAL__N_18offset_tEEE10hipError_tPvRmT1_PNSt15iterator_traitsISY_E10value_typeET2_T3_PNSZ_IS14_E10value_typeET4_jRbjT5_S1A_jjP12ihipStream_tbEUljE_EEESV_SW_SX_S14_S18_S1A_T6_T7_T9_mT8_S1C_bDpT10_ENKUlT_T0_E_clISt17integral_constantIbLb1EES1P_EEDaS1K_S1L_EUlS1K_E_NS1_11comp_targetILNS1_3genE4ELNS1_11target_archE910ELNS1_3gpuE8ELNS1_3repE0EEENS1_30default_config_static_selectorELNS0_4arch9wavefront6targetE0EEEvSY_.has_recursion, 0
	.set _ZN7rocprim17ROCPRIM_400000_NS6detail17trampoline_kernelINS0_13select_configILj256ELj13ELNS0_17block_load_methodE3ELS4_3ELS4_3ELNS0_20block_scan_algorithmE0ELj4294967295EEENS1_25partition_config_selectorILNS1_17partition_subalgoE3EjNS0_10empty_typeEbEEZZNS1_14partition_implILS8_3ELb0ES6_jNS0_17counting_iteratorIjlEEPS9_SE_NS0_5tupleIJPjSE_EEENSF_IJSE_SE_EEES9_SG_JZNS1_25segmented_radix_sort_implINS0_14default_configELb1EPKfPfPKlPlN2at6native12_GLOBAL__N_18offset_tEEE10hipError_tPvRmT1_PNSt15iterator_traitsISY_E10value_typeET2_T3_PNSZ_IS14_E10value_typeET4_jRbjT5_S1A_jjP12ihipStream_tbEUljE_EEESV_SW_SX_S14_S18_S1A_T6_T7_T9_mT8_S1C_bDpT10_ENKUlT_T0_E_clISt17integral_constantIbLb1EES1P_EEDaS1K_S1L_EUlS1K_E_NS1_11comp_targetILNS1_3genE4ELNS1_11target_archE910ELNS1_3gpuE8ELNS1_3repE0EEENS1_30default_config_static_selectorELNS0_4arch9wavefront6targetE0EEEvSY_.has_indirect_call, 0
	.section	.AMDGPU.csdata,"",@progbits
; Kernel info:
; codeLenInByte = 0
; TotalNumSgprs: 0
; NumVgprs: 0
; ScratchSize: 0
; MemoryBound: 0
; FloatMode: 240
; IeeeMode: 1
; LDSByteSize: 0 bytes/workgroup (compile time only)
; SGPRBlocks: 0
; VGPRBlocks: 0
; NumSGPRsForWavesPerEU: 1
; NumVGPRsForWavesPerEU: 1
; Occupancy: 16
; WaveLimiterHint : 0
; COMPUTE_PGM_RSRC2:SCRATCH_EN: 0
; COMPUTE_PGM_RSRC2:USER_SGPR: 2
; COMPUTE_PGM_RSRC2:TRAP_HANDLER: 0
; COMPUTE_PGM_RSRC2:TGID_X_EN: 1
; COMPUTE_PGM_RSRC2:TGID_Y_EN: 0
; COMPUTE_PGM_RSRC2:TGID_Z_EN: 0
; COMPUTE_PGM_RSRC2:TIDIG_COMP_CNT: 0
	.section	.text._ZN7rocprim17ROCPRIM_400000_NS6detail17trampoline_kernelINS0_13select_configILj256ELj13ELNS0_17block_load_methodE3ELS4_3ELS4_3ELNS0_20block_scan_algorithmE0ELj4294967295EEENS1_25partition_config_selectorILNS1_17partition_subalgoE3EjNS0_10empty_typeEbEEZZNS1_14partition_implILS8_3ELb0ES6_jNS0_17counting_iteratorIjlEEPS9_SE_NS0_5tupleIJPjSE_EEENSF_IJSE_SE_EEES9_SG_JZNS1_25segmented_radix_sort_implINS0_14default_configELb1EPKfPfPKlPlN2at6native12_GLOBAL__N_18offset_tEEE10hipError_tPvRmT1_PNSt15iterator_traitsISY_E10value_typeET2_T3_PNSZ_IS14_E10value_typeET4_jRbjT5_S1A_jjP12ihipStream_tbEUljE_EEESV_SW_SX_S14_S18_S1A_T6_T7_T9_mT8_S1C_bDpT10_ENKUlT_T0_E_clISt17integral_constantIbLb1EES1P_EEDaS1K_S1L_EUlS1K_E_NS1_11comp_targetILNS1_3genE3ELNS1_11target_archE908ELNS1_3gpuE7ELNS1_3repE0EEENS1_30default_config_static_selectorELNS0_4arch9wavefront6targetE0EEEvSY_,"axG",@progbits,_ZN7rocprim17ROCPRIM_400000_NS6detail17trampoline_kernelINS0_13select_configILj256ELj13ELNS0_17block_load_methodE3ELS4_3ELS4_3ELNS0_20block_scan_algorithmE0ELj4294967295EEENS1_25partition_config_selectorILNS1_17partition_subalgoE3EjNS0_10empty_typeEbEEZZNS1_14partition_implILS8_3ELb0ES6_jNS0_17counting_iteratorIjlEEPS9_SE_NS0_5tupleIJPjSE_EEENSF_IJSE_SE_EEES9_SG_JZNS1_25segmented_radix_sort_implINS0_14default_configELb1EPKfPfPKlPlN2at6native12_GLOBAL__N_18offset_tEEE10hipError_tPvRmT1_PNSt15iterator_traitsISY_E10value_typeET2_T3_PNSZ_IS14_E10value_typeET4_jRbjT5_S1A_jjP12ihipStream_tbEUljE_EEESV_SW_SX_S14_S18_S1A_T6_T7_T9_mT8_S1C_bDpT10_ENKUlT_T0_E_clISt17integral_constantIbLb1EES1P_EEDaS1K_S1L_EUlS1K_E_NS1_11comp_targetILNS1_3genE3ELNS1_11target_archE908ELNS1_3gpuE7ELNS1_3repE0EEENS1_30default_config_static_selectorELNS0_4arch9wavefront6targetE0EEEvSY_,comdat
	.globl	_ZN7rocprim17ROCPRIM_400000_NS6detail17trampoline_kernelINS0_13select_configILj256ELj13ELNS0_17block_load_methodE3ELS4_3ELS4_3ELNS0_20block_scan_algorithmE0ELj4294967295EEENS1_25partition_config_selectorILNS1_17partition_subalgoE3EjNS0_10empty_typeEbEEZZNS1_14partition_implILS8_3ELb0ES6_jNS0_17counting_iteratorIjlEEPS9_SE_NS0_5tupleIJPjSE_EEENSF_IJSE_SE_EEES9_SG_JZNS1_25segmented_radix_sort_implINS0_14default_configELb1EPKfPfPKlPlN2at6native12_GLOBAL__N_18offset_tEEE10hipError_tPvRmT1_PNSt15iterator_traitsISY_E10value_typeET2_T3_PNSZ_IS14_E10value_typeET4_jRbjT5_S1A_jjP12ihipStream_tbEUljE_EEESV_SW_SX_S14_S18_S1A_T6_T7_T9_mT8_S1C_bDpT10_ENKUlT_T0_E_clISt17integral_constantIbLb1EES1P_EEDaS1K_S1L_EUlS1K_E_NS1_11comp_targetILNS1_3genE3ELNS1_11target_archE908ELNS1_3gpuE7ELNS1_3repE0EEENS1_30default_config_static_selectorELNS0_4arch9wavefront6targetE0EEEvSY_ ; -- Begin function _ZN7rocprim17ROCPRIM_400000_NS6detail17trampoline_kernelINS0_13select_configILj256ELj13ELNS0_17block_load_methodE3ELS4_3ELS4_3ELNS0_20block_scan_algorithmE0ELj4294967295EEENS1_25partition_config_selectorILNS1_17partition_subalgoE3EjNS0_10empty_typeEbEEZZNS1_14partition_implILS8_3ELb0ES6_jNS0_17counting_iteratorIjlEEPS9_SE_NS0_5tupleIJPjSE_EEENSF_IJSE_SE_EEES9_SG_JZNS1_25segmented_radix_sort_implINS0_14default_configELb1EPKfPfPKlPlN2at6native12_GLOBAL__N_18offset_tEEE10hipError_tPvRmT1_PNSt15iterator_traitsISY_E10value_typeET2_T3_PNSZ_IS14_E10value_typeET4_jRbjT5_S1A_jjP12ihipStream_tbEUljE_EEESV_SW_SX_S14_S18_S1A_T6_T7_T9_mT8_S1C_bDpT10_ENKUlT_T0_E_clISt17integral_constantIbLb1EES1P_EEDaS1K_S1L_EUlS1K_E_NS1_11comp_targetILNS1_3genE3ELNS1_11target_archE908ELNS1_3gpuE7ELNS1_3repE0EEENS1_30default_config_static_selectorELNS0_4arch9wavefront6targetE0EEEvSY_
	.p2align	8
	.type	_ZN7rocprim17ROCPRIM_400000_NS6detail17trampoline_kernelINS0_13select_configILj256ELj13ELNS0_17block_load_methodE3ELS4_3ELS4_3ELNS0_20block_scan_algorithmE0ELj4294967295EEENS1_25partition_config_selectorILNS1_17partition_subalgoE3EjNS0_10empty_typeEbEEZZNS1_14partition_implILS8_3ELb0ES6_jNS0_17counting_iteratorIjlEEPS9_SE_NS0_5tupleIJPjSE_EEENSF_IJSE_SE_EEES9_SG_JZNS1_25segmented_radix_sort_implINS0_14default_configELb1EPKfPfPKlPlN2at6native12_GLOBAL__N_18offset_tEEE10hipError_tPvRmT1_PNSt15iterator_traitsISY_E10value_typeET2_T3_PNSZ_IS14_E10value_typeET4_jRbjT5_S1A_jjP12ihipStream_tbEUljE_EEESV_SW_SX_S14_S18_S1A_T6_T7_T9_mT8_S1C_bDpT10_ENKUlT_T0_E_clISt17integral_constantIbLb1EES1P_EEDaS1K_S1L_EUlS1K_E_NS1_11comp_targetILNS1_3genE3ELNS1_11target_archE908ELNS1_3gpuE7ELNS1_3repE0EEENS1_30default_config_static_selectorELNS0_4arch9wavefront6targetE0EEEvSY_,@function
_ZN7rocprim17ROCPRIM_400000_NS6detail17trampoline_kernelINS0_13select_configILj256ELj13ELNS0_17block_load_methodE3ELS4_3ELS4_3ELNS0_20block_scan_algorithmE0ELj4294967295EEENS1_25partition_config_selectorILNS1_17partition_subalgoE3EjNS0_10empty_typeEbEEZZNS1_14partition_implILS8_3ELb0ES6_jNS0_17counting_iteratorIjlEEPS9_SE_NS0_5tupleIJPjSE_EEENSF_IJSE_SE_EEES9_SG_JZNS1_25segmented_radix_sort_implINS0_14default_configELb1EPKfPfPKlPlN2at6native12_GLOBAL__N_18offset_tEEE10hipError_tPvRmT1_PNSt15iterator_traitsISY_E10value_typeET2_T3_PNSZ_IS14_E10value_typeET4_jRbjT5_S1A_jjP12ihipStream_tbEUljE_EEESV_SW_SX_S14_S18_S1A_T6_T7_T9_mT8_S1C_bDpT10_ENKUlT_T0_E_clISt17integral_constantIbLb1EES1P_EEDaS1K_S1L_EUlS1K_E_NS1_11comp_targetILNS1_3genE3ELNS1_11target_archE908ELNS1_3gpuE7ELNS1_3repE0EEENS1_30default_config_static_selectorELNS0_4arch9wavefront6targetE0EEEvSY_: ; @_ZN7rocprim17ROCPRIM_400000_NS6detail17trampoline_kernelINS0_13select_configILj256ELj13ELNS0_17block_load_methodE3ELS4_3ELS4_3ELNS0_20block_scan_algorithmE0ELj4294967295EEENS1_25partition_config_selectorILNS1_17partition_subalgoE3EjNS0_10empty_typeEbEEZZNS1_14partition_implILS8_3ELb0ES6_jNS0_17counting_iteratorIjlEEPS9_SE_NS0_5tupleIJPjSE_EEENSF_IJSE_SE_EEES9_SG_JZNS1_25segmented_radix_sort_implINS0_14default_configELb1EPKfPfPKlPlN2at6native12_GLOBAL__N_18offset_tEEE10hipError_tPvRmT1_PNSt15iterator_traitsISY_E10value_typeET2_T3_PNSZ_IS14_E10value_typeET4_jRbjT5_S1A_jjP12ihipStream_tbEUljE_EEESV_SW_SX_S14_S18_S1A_T6_T7_T9_mT8_S1C_bDpT10_ENKUlT_T0_E_clISt17integral_constantIbLb1EES1P_EEDaS1K_S1L_EUlS1K_E_NS1_11comp_targetILNS1_3genE3ELNS1_11target_archE908ELNS1_3gpuE7ELNS1_3repE0EEENS1_30default_config_static_selectorELNS0_4arch9wavefront6targetE0EEEvSY_
; %bb.0:
	.section	.rodata,"a",@progbits
	.p2align	6, 0x0
	.amdhsa_kernel _ZN7rocprim17ROCPRIM_400000_NS6detail17trampoline_kernelINS0_13select_configILj256ELj13ELNS0_17block_load_methodE3ELS4_3ELS4_3ELNS0_20block_scan_algorithmE0ELj4294967295EEENS1_25partition_config_selectorILNS1_17partition_subalgoE3EjNS0_10empty_typeEbEEZZNS1_14partition_implILS8_3ELb0ES6_jNS0_17counting_iteratorIjlEEPS9_SE_NS0_5tupleIJPjSE_EEENSF_IJSE_SE_EEES9_SG_JZNS1_25segmented_radix_sort_implINS0_14default_configELb1EPKfPfPKlPlN2at6native12_GLOBAL__N_18offset_tEEE10hipError_tPvRmT1_PNSt15iterator_traitsISY_E10value_typeET2_T3_PNSZ_IS14_E10value_typeET4_jRbjT5_S1A_jjP12ihipStream_tbEUljE_EEESV_SW_SX_S14_S18_S1A_T6_T7_T9_mT8_S1C_bDpT10_ENKUlT_T0_E_clISt17integral_constantIbLb1EES1P_EEDaS1K_S1L_EUlS1K_E_NS1_11comp_targetILNS1_3genE3ELNS1_11target_archE908ELNS1_3gpuE7ELNS1_3repE0EEENS1_30default_config_static_selectorELNS0_4arch9wavefront6targetE0EEEvSY_
		.amdhsa_group_segment_fixed_size 0
		.amdhsa_private_segment_fixed_size 0
		.amdhsa_kernarg_size 152
		.amdhsa_user_sgpr_count 2
		.amdhsa_user_sgpr_dispatch_ptr 0
		.amdhsa_user_sgpr_queue_ptr 0
		.amdhsa_user_sgpr_kernarg_segment_ptr 1
		.amdhsa_user_sgpr_dispatch_id 0
		.amdhsa_user_sgpr_private_segment_size 0
		.amdhsa_wavefront_size32 1
		.amdhsa_uses_dynamic_stack 0
		.amdhsa_enable_private_segment 0
		.amdhsa_system_sgpr_workgroup_id_x 1
		.amdhsa_system_sgpr_workgroup_id_y 0
		.amdhsa_system_sgpr_workgroup_id_z 0
		.amdhsa_system_sgpr_workgroup_info 0
		.amdhsa_system_vgpr_workitem_id 0
		.amdhsa_next_free_vgpr 1
		.amdhsa_next_free_sgpr 1
		.amdhsa_reserve_vcc 0
		.amdhsa_float_round_mode_32 0
		.amdhsa_float_round_mode_16_64 0
		.amdhsa_float_denorm_mode_32 3
		.amdhsa_float_denorm_mode_16_64 3
		.amdhsa_fp16_overflow 0
		.amdhsa_workgroup_processor_mode 1
		.amdhsa_memory_ordered 1
		.amdhsa_forward_progress 1
		.amdhsa_inst_pref_size 0
		.amdhsa_round_robin_scheduling 0
		.amdhsa_exception_fp_ieee_invalid_op 0
		.amdhsa_exception_fp_denorm_src 0
		.amdhsa_exception_fp_ieee_div_zero 0
		.amdhsa_exception_fp_ieee_overflow 0
		.amdhsa_exception_fp_ieee_underflow 0
		.amdhsa_exception_fp_ieee_inexact 0
		.amdhsa_exception_int_div_zero 0
	.end_amdhsa_kernel
	.section	.text._ZN7rocprim17ROCPRIM_400000_NS6detail17trampoline_kernelINS0_13select_configILj256ELj13ELNS0_17block_load_methodE3ELS4_3ELS4_3ELNS0_20block_scan_algorithmE0ELj4294967295EEENS1_25partition_config_selectorILNS1_17partition_subalgoE3EjNS0_10empty_typeEbEEZZNS1_14partition_implILS8_3ELb0ES6_jNS0_17counting_iteratorIjlEEPS9_SE_NS0_5tupleIJPjSE_EEENSF_IJSE_SE_EEES9_SG_JZNS1_25segmented_radix_sort_implINS0_14default_configELb1EPKfPfPKlPlN2at6native12_GLOBAL__N_18offset_tEEE10hipError_tPvRmT1_PNSt15iterator_traitsISY_E10value_typeET2_T3_PNSZ_IS14_E10value_typeET4_jRbjT5_S1A_jjP12ihipStream_tbEUljE_EEESV_SW_SX_S14_S18_S1A_T6_T7_T9_mT8_S1C_bDpT10_ENKUlT_T0_E_clISt17integral_constantIbLb1EES1P_EEDaS1K_S1L_EUlS1K_E_NS1_11comp_targetILNS1_3genE3ELNS1_11target_archE908ELNS1_3gpuE7ELNS1_3repE0EEENS1_30default_config_static_selectorELNS0_4arch9wavefront6targetE0EEEvSY_,"axG",@progbits,_ZN7rocprim17ROCPRIM_400000_NS6detail17trampoline_kernelINS0_13select_configILj256ELj13ELNS0_17block_load_methodE3ELS4_3ELS4_3ELNS0_20block_scan_algorithmE0ELj4294967295EEENS1_25partition_config_selectorILNS1_17partition_subalgoE3EjNS0_10empty_typeEbEEZZNS1_14partition_implILS8_3ELb0ES6_jNS0_17counting_iteratorIjlEEPS9_SE_NS0_5tupleIJPjSE_EEENSF_IJSE_SE_EEES9_SG_JZNS1_25segmented_radix_sort_implINS0_14default_configELb1EPKfPfPKlPlN2at6native12_GLOBAL__N_18offset_tEEE10hipError_tPvRmT1_PNSt15iterator_traitsISY_E10value_typeET2_T3_PNSZ_IS14_E10value_typeET4_jRbjT5_S1A_jjP12ihipStream_tbEUljE_EEESV_SW_SX_S14_S18_S1A_T6_T7_T9_mT8_S1C_bDpT10_ENKUlT_T0_E_clISt17integral_constantIbLb1EES1P_EEDaS1K_S1L_EUlS1K_E_NS1_11comp_targetILNS1_3genE3ELNS1_11target_archE908ELNS1_3gpuE7ELNS1_3repE0EEENS1_30default_config_static_selectorELNS0_4arch9wavefront6targetE0EEEvSY_,comdat
.Lfunc_end1304:
	.size	_ZN7rocprim17ROCPRIM_400000_NS6detail17trampoline_kernelINS0_13select_configILj256ELj13ELNS0_17block_load_methodE3ELS4_3ELS4_3ELNS0_20block_scan_algorithmE0ELj4294967295EEENS1_25partition_config_selectorILNS1_17partition_subalgoE3EjNS0_10empty_typeEbEEZZNS1_14partition_implILS8_3ELb0ES6_jNS0_17counting_iteratorIjlEEPS9_SE_NS0_5tupleIJPjSE_EEENSF_IJSE_SE_EEES9_SG_JZNS1_25segmented_radix_sort_implINS0_14default_configELb1EPKfPfPKlPlN2at6native12_GLOBAL__N_18offset_tEEE10hipError_tPvRmT1_PNSt15iterator_traitsISY_E10value_typeET2_T3_PNSZ_IS14_E10value_typeET4_jRbjT5_S1A_jjP12ihipStream_tbEUljE_EEESV_SW_SX_S14_S18_S1A_T6_T7_T9_mT8_S1C_bDpT10_ENKUlT_T0_E_clISt17integral_constantIbLb1EES1P_EEDaS1K_S1L_EUlS1K_E_NS1_11comp_targetILNS1_3genE3ELNS1_11target_archE908ELNS1_3gpuE7ELNS1_3repE0EEENS1_30default_config_static_selectorELNS0_4arch9wavefront6targetE0EEEvSY_, .Lfunc_end1304-_ZN7rocprim17ROCPRIM_400000_NS6detail17trampoline_kernelINS0_13select_configILj256ELj13ELNS0_17block_load_methodE3ELS4_3ELS4_3ELNS0_20block_scan_algorithmE0ELj4294967295EEENS1_25partition_config_selectorILNS1_17partition_subalgoE3EjNS0_10empty_typeEbEEZZNS1_14partition_implILS8_3ELb0ES6_jNS0_17counting_iteratorIjlEEPS9_SE_NS0_5tupleIJPjSE_EEENSF_IJSE_SE_EEES9_SG_JZNS1_25segmented_radix_sort_implINS0_14default_configELb1EPKfPfPKlPlN2at6native12_GLOBAL__N_18offset_tEEE10hipError_tPvRmT1_PNSt15iterator_traitsISY_E10value_typeET2_T3_PNSZ_IS14_E10value_typeET4_jRbjT5_S1A_jjP12ihipStream_tbEUljE_EEESV_SW_SX_S14_S18_S1A_T6_T7_T9_mT8_S1C_bDpT10_ENKUlT_T0_E_clISt17integral_constantIbLb1EES1P_EEDaS1K_S1L_EUlS1K_E_NS1_11comp_targetILNS1_3genE3ELNS1_11target_archE908ELNS1_3gpuE7ELNS1_3repE0EEENS1_30default_config_static_selectorELNS0_4arch9wavefront6targetE0EEEvSY_
                                        ; -- End function
	.set _ZN7rocprim17ROCPRIM_400000_NS6detail17trampoline_kernelINS0_13select_configILj256ELj13ELNS0_17block_load_methodE3ELS4_3ELS4_3ELNS0_20block_scan_algorithmE0ELj4294967295EEENS1_25partition_config_selectorILNS1_17partition_subalgoE3EjNS0_10empty_typeEbEEZZNS1_14partition_implILS8_3ELb0ES6_jNS0_17counting_iteratorIjlEEPS9_SE_NS0_5tupleIJPjSE_EEENSF_IJSE_SE_EEES9_SG_JZNS1_25segmented_radix_sort_implINS0_14default_configELb1EPKfPfPKlPlN2at6native12_GLOBAL__N_18offset_tEEE10hipError_tPvRmT1_PNSt15iterator_traitsISY_E10value_typeET2_T3_PNSZ_IS14_E10value_typeET4_jRbjT5_S1A_jjP12ihipStream_tbEUljE_EEESV_SW_SX_S14_S18_S1A_T6_T7_T9_mT8_S1C_bDpT10_ENKUlT_T0_E_clISt17integral_constantIbLb1EES1P_EEDaS1K_S1L_EUlS1K_E_NS1_11comp_targetILNS1_3genE3ELNS1_11target_archE908ELNS1_3gpuE7ELNS1_3repE0EEENS1_30default_config_static_selectorELNS0_4arch9wavefront6targetE0EEEvSY_.num_vgpr, 0
	.set _ZN7rocprim17ROCPRIM_400000_NS6detail17trampoline_kernelINS0_13select_configILj256ELj13ELNS0_17block_load_methodE3ELS4_3ELS4_3ELNS0_20block_scan_algorithmE0ELj4294967295EEENS1_25partition_config_selectorILNS1_17partition_subalgoE3EjNS0_10empty_typeEbEEZZNS1_14partition_implILS8_3ELb0ES6_jNS0_17counting_iteratorIjlEEPS9_SE_NS0_5tupleIJPjSE_EEENSF_IJSE_SE_EEES9_SG_JZNS1_25segmented_radix_sort_implINS0_14default_configELb1EPKfPfPKlPlN2at6native12_GLOBAL__N_18offset_tEEE10hipError_tPvRmT1_PNSt15iterator_traitsISY_E10value_typeET2_T3_PNSZ_IS14_E10value_typeET4_jRbjT5_S1A_jjP12ihipStream_tbEUljE_EEESV_SW_SX_S14_S18_S1A_T6_T7_T9_mT8_S1C_bDpT10_ENKUlT_T0_E_clISt17integral_constantIbLb1EES1P_EEDaS1K_S1L_EUlS1K_E_NS1_11comp_targetILNS1_3genE3ELNS1_11target_archE908ELNS1_3gpuE7ELNS1_3repE0EEENS1_30default_config_static_selectorELNS0_4arch9wavefront6targetE0EEEvSY_.num_agpr, 0
	.set _ZN7rocprim17ROCPRIM_400000_NS6detail17trampoline_kernelINS0_13select_configILj256ELj13ELNS0_17block_load_methodE3ELS4_3ELS4_3ELNS0_20block_scan_algorithmE0ELj4294967295EEENS1_25partition_config_selectorILNS1_17partition_subalgoE3EjNS0_10empty_typeEbEEZZNS1_14partition_implILS8_3ELb0ES6_jNS0_17counting_iteratorIjlEEPS9_SE_NS0_5tupleIJPjSE_EEENSF_IJSE_SE_EEES9_SG_JZNS1_25segmented_radix_sort_implINS0_14default_configELb1EPKfPfPKlPlN2at6native12_GLOBAL__N_18offset_tEEE10hipError_tPvRmT1_PNSt15iterator_traitsISY_E10value_typeET2_T3_PNSZ_IS14_E10value_typeET4_jRbjT5_S1A_jjP12ihipStream_tbEUljE_EEESV_SW_SX_S14_S18_S1A_T6_T7_T9_mT8_S1C_bDpT10_ENKUlT_T0_E_clISt17integral_constantIbLb1EES1P_EEDaS1K_S1L_EUlS1K_E_NS1_11comp_targetILNS1_3genE3ELNS1_11target_archE908ELNS1_3gpuE7ELNS1_3repE0EEENS1_30default_config_static_selectorELNS0_4arch9wavefront6targetE0EEEvSY_.numbered_sgpr, 0
	.set _ZN7rocprim17ROCPRIM_400000_NS6detail17trampoline_kernelINS0_13select_configILj256ELj13ELNS0_17block_load_methodE3ELS4_3ELS4_3ELNS0_20block_scan_algorithmE0ELj4294967295EEENS1_25partition_config_selectorILNS1_17partition_subalgoE3EjNS0_10empty_typeEbEEZZNS1_14partition_implILS8_3ELb0ES6_jNS0_17counting_iteratorIjlEEPS9_SE_NS0_5tupleIJPjSE_EEENSF_IJSE_SE_EEES9_SG_JZNS1_25segmented_radix_sort_implINS0_14default_configELb1EPKfPfPKlPlN2at6native12_GLOBAL__N_18offset_tEEE10hipError_tPvRmT1_PNSt15iterator_traitsISY_E10value_typeET2_T3_PNSZ_IS14_E10value_typeET4_jRbjT5_S1A_jjP12ihipStream_tbEUljE_EEESV_SW_SX_S14_S18_S1A_T6_T7_T9_mT8_S1C_bDpT10_ENKUlT_T0_E_clISt17integral_constantIbLb1EES1P_EEDaS1K_S1L_EUlS1K_E_NS1_11comp_targetILNS1_3genE3ELNS1_11target_archE908ELNS1_3gpuE7ELNS1_3repE0EEENS1_30default_config_static_selectorELNS0_4arch9wavefront6targetE0EEEvSY_.num_named_barrier, 0
	.set _ZN7rocprim17ROCPRIM_400000_NS6detail17trampoline_kernelINS0_13select_configILj256ELj13ELNS0_17block_load_methodE3ELS4_3ELS4_3ELNS0_20block_scan_algorithmE0ELj4294967295EEENS1_25partition_config_selectorILNS1_17partition_subalgoE3EjNS0_10empty_typeEbEEZZNS1_14partition_implILS8_3ELb0ES6_jNS0_17counting_iteratorIjlEEPS9_SE_NS0_5tupleIJPjSE_EEENSF_IJSE_SE_EEES9_SG_JZNS1_25segmented_radix_sort_implINS0_14default_configELb1EPKfPfPKlPlN2at6native12_GLOBAL__N_18offset_tEEE10hipError_tPvRmT1_PNSt15iterator_traitsISY_E10value_typeET2_T3_PNSZ_IS14_E10value_typeET4_jRbjT5_S1A_jjP12ihipStream_tbEUljE_EEESV_SW_SX_S14_S18_S1A_T6_T7_T9_mT8_S1C_bDpT10_ENKUlT_T0_E_clISt17integral_constantIbLb1EES1P_EEDaS1K_S1L_EUlS1K_E_NS1_11comp_targetILNS1_3genE3ELNS1_11target_archE908ELNS1_3gpuE7ELNS1_3repE0EEENS1_30default_config_static_selectorELNS0_4arch9wavefront6targetE0EEEvSY_.private_seg_size, 0
	.set _ZN7rocprim17ROCPRIM_400000_NS6detail17trampoline_kernelINS0_13select_configILj256ELj13ELNS0_17block_load_methodE3ELS4_3ELS4_3ELNS0_20block_scan_algorithmE0ELj4294967295EEENS1_25partition_config_selectorILNS1_17partition_subalgoE3EjNS0_10empty_typeEbEEZZNS1_14partition_implILS8_3ELb0ES6_jNS0_17counting_iteratorIjlEEPS9_SE_NS0_5tupleIJPjSE_EEENSF_IJSE_SE_EEES9_SG_JZNS1_25segmented_radix_sort_implINS0_14default_configELb1EPKfPfPKlPlN2at6native12_GLOBAL__N_18offset_tEEE10hipError_tPvRmT1_PNSt15iterator_traitsISY_E10value_typeET2_T3_PNSZ_IS14_E10value_typeET4_jRbjT5_S1A_jjP12ihipStream_tbEUljE_EEESV_SW_SX_S14_S18_S1A_T6_T7_T9_mT8_S1C_bDpT10_ENKUlT_T0_E_clISt17integral_constantIbLb1EES1P_EEDaS1K_S1L_EUlS1K_E_NS1_11comp_targetILNS1_3genE3ELNS1_11target_archE908ELNS1_3gpuE7ELNS1_3repE0EEENS1_30default_config_static_selectorELNS0_4arch9wavefront6targetE0EEEvSY_.uses_vcc, 0
	.set _ZN7rocprim17ROCPRIM_400000_NS6detail17trampoline_kernelINS0_13select_configILj256ELj13ELNS0_17block_load_methodE3ELS4_3ELS4_3ELNS0_20block_scan_algorithmE0ELj4294967295EEENS1_25partition_config_selectorILNS1_17partition_subalgoE3EjNS0_10empty_typeEbEEZZNS1_14partition_implILS8_3ELb0ES6_jNS0_17counting_iteratorIjlEEPS9_SE_NS0_5tupleIJPjSE_EEENSF_IJSE_SE_EEES9_SG_JZNS1_25segmented_radix_sort_implINS0_14default_configELb1EPKfPfPKlPlN2at6native12_GLOBAL__N_18offset_tEEE10hipError_tPvRmT1_PNSt15iterator_traitsISY_E10value_typeET2_T3_PNSZ_IS14_E10value_typeET4_jRbjT5_S1A_jjP12ihipStream_tbEUljE_EEESV_SW_SX_S14_S18_S1A_T6_T7_T9_mT8_S1C_bDpT10_ENKUlT_T0_E_clISt17integral_constantIbLb1EES1P_EEDaS1K_S1L_EUlS1K_E_NS1_11comp_targetILNS1_3genE3ELNS1_11target_archE908ELNS1_3gpuE7ELNS1_3repE0EEENS1_30default_config_static_selectorELNS0_4arch9wavefront6targetE0EEEvSY_.uses_flat_scratch, 0
	.set _ZN7rocprim17ROCPRIM_400000_NS6detail17trampoline_kernelINS0_13select_configILj256ELj13ELNS0_17block_load_methodE3ELS4_3ELS4_3ELNS0_20block_scan_algorithmE0ELj4294967295EEENS1_25partition_config_selectorILNS1_17partition_subalgoE3EjNS0_10empty_typeEbEEZZNS1_14partition_implILS8_3ELb0ES6_jNS0_17counting_iteratorIjlEEPS9_SE_NS0_5tupleIJPjSE_EEENSF_IJSE_SE_EEES9_SG_JZNS1_25segmented_radix_sort_implINS0_14default_configELb1EPKfPfPKlPlN2at6native12_GLOBAL__N_18offset_tEEE10hipError_tPvRmT1_PNSt15iterator_traitsISY_E10value_typeET2_T3_PNSZ_IS14_E10value_typeET4_jRbjT5_S1A_jjP12ihipStream_tbEUljE_EEESV_SW_SX_S14_S18_S1A_T6_T7_T9_mT8_S1C_bDpT10_ENKUlT_T0_E_clISt17integral_constantIbLb1EES1P_EEDaS1K_S1L_EUlS1K_E_NS1_11comp_targetILNS1_3genE3ELNS1_11target_archE908ELNS1_3gpuE7ELNS1_3repE0EEENS1_30default_config_static_selectorELNS0_4arch9wavefront6targetE0EEEvSY_.has_dyn_sized_stack, 0
	.set _ZN7rocprim17ROCPRIM_400000_NS6detail17trampoline_kernelINS0_13select_configILj256ELj13ELNS0_17block_load_methodE3ELS4_3ELS4_3ELNS0_20block_scan_algorithmE0ELj4294967295EEENS1_25partition_config_selectorILNS1_17partition_subalgoE3EjNS0_10empty_typeEbEEZZNS1_14partition_implILS8_3ELb0ES6_jNS0_17counting_iteratorIjlEEPS9_SE_NS0_5tupleIJPjSE_EEENSF_IJSE_SE_EEES9_SG_JZNS1_25segmented_radix_sort_implINS0_14default_configELb1EPKfPfPKlPlN2at6native12_GLOBAL__N_18offset_tEEE10hipError_tPvRmT1_PNSt15iterator_traitsISY_E10value_typeET2_T3_PNSZ_IS14_E10value_typeET4_jRbjT5_S1A_jjP12ihipStream_tbEUljE_EEESV_SW_SX_S14_S18_S1A_T6_T7_T9_mT8_S1C_bDpT10_ENKUlT_T0_E_clISt17integral_constantIbLb1EES1P_EEDaS1K_S1L_EUlS1K_E_NS1_11comp_targetILNS1_3genE3ELNS1_11target_archE908ELNS1_3gpuE7ELNS1_3repE0EEENS1_30default_config_static_selectorELNS0_4arch9wavefront6targetE0EEEvSY_.has_recursion, 0
	.set _ZN7rocprim17ROCPRIM_400000_NS6detail17trampoline_kernelINS0_13select_configILj256ELj13ELNS0_17block_load_methodE3ELS4_3ELS4_3ELNS0_20block_scan_algorithmE0ELj4294967295EEENS1_25partition_config_selectorILNS1_17partition_subalgoE3EjNS0_10empty_typeEbEEZZNS1_14partition_implILS8_3ELb0ES6_jNS0_17counting_iteratorIjlEEPS9_SE_NS0_5tupleIJPjSE_EEENSF_IJSE_SE_EEES9_SG_JZNS1_25segmented_radix_sort_implINS0_14default_configELb1EPKfPfPKlPlN2at6native12_GLOBAL__N_18offset_tEEE10hipError_tPvRmT1_PNSt15iterator_traitsISY_E10value_typeET2_T3_PNSZ_IS14_E10value_typeET4_jRbjT5_S1A_jjP12ihipStream_tbEUljE_EEESV_SW_SX_S14_S18_S1A_T6_T7_T9_mT8_S1C_bDpT10_ENKUlT_T0_E_clISt17integral_constantIbLb1EES1P_EEDaS1K_S1L_EUlS1K_E_NS1_11comp_targetILNS1_3genE3ELNS1_11target_archE908ELNS1_3gpuE7ELNS1_3repE0EEENS1_30default_config_static_selectorELNS0_4arch9wavefront6targetE0EEEvSY_.has_indirect_call, 0
	.section	.AMDGPU.csdata,"",@progbits
; Kernel info:
; codeLenInByte = 0
; TotalNumSgprs: 0
; NumVgprs: 0
; ScratchSize: 0
; MemoryBound: 0
; FloatMode: 240
; IeeeMode: 1
; LDSByteSize: 0 bytes/workgroup (compile time only)
; SGPRBlocks: 0
; VGPRBlocks: 0
; NumSGPRsForWavesPerEU: 1
; NumVGPRsForWavesPerEU: 1
; Occupancy: 16
; WaveLimiterHint : 0
; COMPUTE_PGM_RSRC2:SCRATCH_EN: 0
; COMPUTE_PGM_RSRC2:USER_SGPR: 2
; COMPUTE_PGM_RSRC2:TRAP_HANDLER: 0
; COMPUTE_PGM_RSRC2:TGID_X_EN: 1
; COMPUTE_PGM_RSRC2:TGID_Y_EN: 0
; COMPUTE_PGM_RSRC2:TGID_Z_EN: 0
; COMPUTE_PGM_RSRC2:TIDIG_COMP_CNT: 0
	.section	.text._ZN7rocprim17ROCPRIM_400000_NS6detail17trampoline_kernelINS0_13select_configILj256ELj13ELNS0_17block_load_methodE3ELS4_3ELS4_3ELNS0_20block_scan_algorithmE0ELj4294967295EEENS1_25partition_config_selectorILNS1_17partition_subalgoE3EjNS0_10empty_typeEbEEZZNS1_14partition_implILS8_3ELb0ES6_jNS0_17counting_iteratorIjlEEPS9_SE_NS0_5tupleIJPjSE_EEENSF_IJSE_SE_EEES9_SG_JZNS1_25segmented_radix_sort_implINS0_14default_configELb1EPKfPfPKlPlN2at6native12_GLOBAL__N_18offset_tEEE10hipError_tPvRmT1_PNSt15iterator_traitsISY_E10value_typeET2_T3_PNSZ_IS14_E10value_typeET4_jRbjT5_S1A_jjP12ihipStream_tbEUljE_EEESV_SW_SX_S14_S18_S1A_T6_T7_T9_mT8_S1C_bDpT10_ENKUlT_T0_E_clISt17integral_constantIbLb1EES1P_EEDaS1K_S1L_EUlS1K_E_NS1_11comp_targetILNS1_3genE2ELNS1_11target_archE906ELNS1_3gpuE6ELNS1_3repE0EEENS1_30default_config_static_selectorELNS0_4arch9wavefront6targetE0EEEvSY_,"axG",@progbits,_ZN7rocprim17ROCPRIM_400000_NS6detail17trampoline_kernelINS0_13select_configILj256ELj13ELNS0_17block_load_methodE3ELS4_3ELS4_3ELNS0_20block_scan_algorithmE0ELj4294967295EEENS1_25partition_config_selectorILNS1_17partition_subalgoE3EjNS0_10empty_typeEbEEZZNS1_14partition_implILS8_3ELb0ES6_jNS0_17counting_iteratorIjlEEPS9_SE_NS0_5tupleIJPjSE_EEENSF_IJSE_SE_EEES9_SG_JZNS1_25segmented_radix_sort_implINS0_14default_configELb1EPKfPfPKlPlN2at6native12_GLOBAL__N_18offset_tEEE10hipError_tPvRmT1_PNSt15iterator_traitsISY_E10value_typeET2_T3_PNSZ_IS14_E10value_typeET4_jRbjT5_S1A_jjP12ihipStream_tbEUljE_EEESV_SW_SX_S14_S18_S1A_T6_T7_T9_mT8_S1C_bDpT10_ENKUlT_T0_E_clISt17integral_constantIbLb1EES1P_EEDaS1K_S1L_EUlS1K_E_NS1_11comp_targetILNS1_3genE2ELNS1_11target_archE906ELNS1_3gpuE6ELNS1_3repE0EEENS1_30default_config_static_selectorELNS0_4arch9wavefront6targetE0EEEvSY_,comdat
	.globl	_ZN7rocprim17ROCPRIM_400000_NS6detail17trampoline_kernelINS0_13select_configILj256ELj13ELNS0_17block_load_methodE3ELS4_3ELS4_3ELNS0_20block_scan_algorithmE0ELj4294967295EEENS1_25partition_config_selectorILNS1_17partition_subalgoE3EjNS0_10empty_typeEbEEZZNS1_14partition_implILS8_3ELb0ES6_jNS0_17counting_iteratorIjlEEPS9_SE_NS0_5tupleIJPjSE_EEENSF_IJSE_SE_EEES9_SG_JZNS1_25segmented_radix_sort_implINS0_14default_configELb1EPKfPfPKlPlN2at6native12_GLOBAL__N_18offset_tEEE10hipError_tPvRmT1_PNSt15iterator_traitsISY_E10value_typeET2_T3_PNSZ_IS14_E10value_typeET4_jRbjT5_S1A_jjP12ihipStream_tbEUljE_EEESV_SW_SX_S14_S18_S1A_T6_T7_T9_mT8_S1C_bDpT10_ENKUlT_T0_E_clISt17integral_constantIbLb1EES1P_EEDaS1K_S1L_EUlS1K_E_NS1_11comp_targetILNS1_3genE2ELNS1_11target_archE906ELNS1_3gpuE6ELNS1_3repE0EEENS1_30default_config_static_selectorELNS0_4arch9wavefront6targetE0EEEvSY_ ; -- Begin function _ZN7rocprim17ROCPRIM_400000_NS6detail17trampoline_kernelINS0_13select_configILj256ELj13ELNS0_17block_load_methodE3ELS4_3ELS4_3ELNS0_20block_scan_algorithmE0ELj4294967295EEENS1_25partition_config_selectorILNS1_17partition_subalgoE3EjNS0_10empty_typeEbEEZZNS1_14partition_implILS8_3ELb0ES6_jNS0_17counting_iteratorIjlEEPS9_SE_NS0_5tupleIJPjSE_EEENSF_IJSE_SE_EEES9_SG_JZNS1_25segmented_radix_sort_implINS0_14default_configELb1EPKfPfPKlPlN2at6native12_GLOBAL__N_18offset_tEEE10hipError_tPvRmT1_PNSt15iterator_traitsISY_E10value_typeET2_T3_PNSZ_IS14_E10value_typeET4_jRbjT5_S1A_jjP12ihipStream_tbEUljE_EEESV_SW_SX_S14_S18_S1A_T6_T7_T9_mT8_S1C_bDpT10_ENKUlT_T0_E_clISt17integral_constantIbLb1EES1P_EEDaS1K_S1L_EUlS1K_E_NS1_11comp_targetILNS1_3genE2ELNS1_11target_archE906ELNS1_3gpuE6ELNS1_3repE0EEENS1_30default_config_static_selectorELNS0_4arch9wavefront6targetE0EEEvSY_
	.p2align	8
	.type	_ZN7rocprim17ROCPRIM_400000_NS6detail17trampoline_kernelINS0_13select_configILj256ELj13ELNS0_17block_load_methodE3ELS4_3ELS4_3ELNS0_20block_scan_algorithmE0ELj4294967295EEENS1_25partition_config_selectorILNS1_17partition_subalgoE3EjNS0_10empty_typeEbEEZZNS1_14partition_implILS8_3ELb0ES6_jNS0_17counting_iteratorIjlEEPS9_SE_NS0_5tupleIJPjSE_EEENSF_IJSE_SE_EEES9_SG_JZNS1_25segmented_radix_sort_implINS0_14default_configELb1EPKfPfPKlPlN2at6native12_GLOBAL__N_18offset_tEEE10hipError_tPvRmT1_PNSt15iterator_traitsISY_E10value_typeET2_T3_PNSZ_IS14_E10value_typeET4_jRbjT5_S1A_jjP12ihipStream_tbEUljE_EEESV_SW_SX_S14_S18_S1A_T6_T7_T9_mT8_S1C_bDpT10_ENKUlT_T0_E_clISt17integral_constantIbLb1EES1P_EEDaS1K_S1L_EUlS1K_E_NS1_11comp_targetILNS1_3genE2ELNS1_11target_archE906ELNS1_3gpuE6ELNS1_3repE0EEENS1_30default_config_static_selectorELNS0_4arch9wavefront6targetE0EEEvSY_,@function
_ZN7rocprim17ROCPRIM_400000_NS6detail17trampoline_kernelINS0_13select_configILj256ELj13ELNS0_17block_load_methodE3ELS4_3ELS4_3ELNS0_20block_scan_algorithmE0ELj4294967295EEENS1_25partition_config_selectorILNS1_17partition_subalgoE3EjNS0_10empty_typeEbEEZZNS1_14partition_implILS8_3ELb0ES6_jNS0_17counting_iteratorIjlEEPS9_SE_NS0_5tupleIJPjSE_EEENSF_IJSE_SE_EEES9_SG_JZNS1_25segmented_radix_sort_implINS0_14default_configELb1EPKfPfPKlPlN2at6native12_GLOBAL__N_18offset_tEEE10hipError_tPvRmT1_PNSt15iterator_traitsISY_E10value_typeET2_T3_PNSZ_IS14_E10value_typeET4_jRbjT5_S1A_jjP12ihipStream_tbEUljE_EEESV_SW_SX_S14_S18_S1A_T6_T7_T9_mT8_S1C_bDpT10_ENKUlT_T0_E_clISt17integral_constantIbLb1EES1P_EEDaS1K_S1L_EUlS1K_E_NS1_11comp_targetILNS1_3genE2ELNS1_11target_archE906ELNS1_3gpuE6ELNS1_3repE0EEENS1_30default_config_static_selectorELNS0_4arch9wavefront6targetE0EEEvSY_: ; @_ZN7rocprim17ROCPRIM_400000_NS6detail17trampoline_kernelINS0_13select_configILj256ELj13ELNS0_17block_load_methodE3ELS4_3ELS4_3ELNS0_20block_scan_algorithmE0ELj4294967295EEENS1_25partition_config_selectorILNS1_17partition_subalgoE3EjNS0_10empty_typeEbEEZZNS1_14partition_implILS8_3ELb0ES6_jNS0_17counting_iteratorIjlEEPS9_SE_NS0_5tupleIJPjSE_EEENSF_IJSE_SE_EEES9_SG_JZNS1_25segmented_radix_sort_implINS0_14default_configELb1EPKfPfPKlPlN2at6native12_GLOBAL__N_18offset_tEEE10hipError_tPvRmT1_PNSt15iterator_traitsISY_E10value_typeET2_T3_PNSZ_IS14_E10value_typeET4_jRbjT5_S1A_jjP12ihipStream_tbEUljE_EEESV_SW_SX_S14_S18_S1A_T6_T7_T9_mT8_S1C_bDpT10_ENKUlT_T0_E_clISt17integral_constantIbLb1EES1P_EEDaS1K_S1L_EUlS1K_E_NS1_11comp_targetILNS1_3genE2ELNS1_11target_archE906ELNS1_3gpuE6ELNS1_3repE0EEENS1_30default_config_static_selectorELNS0_4arch9wavefront6targetE0EEEvSY_
; %bb.0:
	.section	.rodata,"a",@progbits
	.p2align	6, 0x0
	.amdhsa_kernel _ZN7rocprim17ROCPRIM_400000_NS6detail17trampoline_kernelINS0_13select_configILj256ELj13ELNS0_17block_load_methodE3ELS4_3ELS4_3ELNS0_20block_scan_algorithmE0ELj4294967295EEENS1_25partition_config_selectorILNS1_17partition_subalgoE3EjNS0_10empty_typeEbEEZZNS1_14partition_implILS8_3ELb0ES6_jNS0_17counting_iteratorIjlEEPS9_SE_NS0_5tupleIJPjSE_EEENSF_IJSE_SE_EEES9_SG_JZNS1_25segmented_radix_sort_implINS0_14default_configELb1EPKfPfPKlPlN2at6native12_GLOBAL__N_18offset_tEEE10hipError_tPvRmT1_PNSt15iterator_traitsISY_E10value_typeET2_T3_PNSZ_IS14_E10value_typeET4_jRbjT5_S1A_jjP12ihipStream_tbEUljE_EEESV_SW_SX_S14_S18_S1A_T6_T7_T9_mT8_S1C_bDpT10_ENKUlT_T0_E_clISt17integral_constantIbLb1EES1P_EEDaS1K_S1L_EUlS1K_E_NS1_11comp_targetILNS1_3genE2ELNS1_11target_archE906ELNS1_3gpuE6ELNS1_3repE0EEENS1_30default_config_static_selectorELNS0_4arch9wavefront6targetE0EEEvSY_
		.amdhsa_group_segment_fixed_size 0
		.amdhsa_private_segment_fixed_size 0
		.amdhsa_kernarg_size 152
		.amdhsa_user_sgpr_count 2
		.amdhsa_user_sgpr_dispatch_ptr 0
		.amdhsa_user_sgpr_queue_ptr 0
		.amdhsa_user_sgpr_kernarg_segment_ptr 1
		.amdhsa_user_sgpr_dispatch_id 0
		.amdhsa_user_sgpr_private_segment_size 0
		.amdhsa_wavefront_size32 1
		.amdhsa_uses_dynamic_stack 0
		.amdhsa_enable_private_segment 0
		.amdhsa_system_sgpr_workgroup_id_x 1
		.amdhsa_system_sgpr_workgroup_id_y 0
		.amdhsa_system_sgpr_workgroup_id_z 0
		.amdhsa_system_sgpr_workgroup_info 0
		.amdhsa_system_vgpr_workitem_id 0
		.amdhsa_next_free_vgpr 1
		.amdhsa_next_free_sgpr 1
		.amdhsa_reserve_vcc 0
		.amdhsa_float_round_mode_32 0
		.amdhsa_float_round_mode_16_64 0
		.amdhsa_float_denorm_mode_32 3
		.amdhsa_float_denorm_mode_16_64 3
		.amdhsa_fp16_overflow 0
		.amdhsa_workgroup_processor_mode 1
		.amdhsa_memory_ordered 1
		.amdhsa_forward_progress 1
		.amdhsa_inst_pref_size 0
		.amdhsa_round_robin_scheduling 0
		.amdhsa_exception_fp_ieee_invalid_op 0
		.amdhsa_exception_fp_denorm_src 0
		.amdhsa_exception_fp_ieee_div_zero 0
		.amdhsa_exception_fp_ieee_overflow 0
		.amdhsa_exception_fp_ieee_underflow 0
		.amdhsa_exception_fp_ieee_inexact 0
		.amdhsa_exception_int_div_zero 0
	.end_amdhsa_kernel
	.section	.text._ZN7rocprim17ROCPRIM_400000_NS6detail17trampoline_kernelINS0_13select_configILj256ELj13ELNS0_17block_load_methodE3ELS4_3ELS4_3ELNS0_20block_scan_algorithmE0ELj4294967295EEENS1_25partition_config_selectorILNS1_17partition_subalgoE3EjNS0_10empty_typeEbEEZZNS1_14partition_implILS8_3ELb0ES6_jNS0_17counting_iteratorIjlEEPS9_SE_NS0_5tupleIJPjSE_EEENSF_IJSE_SE_EEES9_SG_JZNS1_25segmented_radix_sort_implINS0_14default_configELb1EPKfPfPKlPlN2at6native12_GLOBAL__N_18offset_tEEE10hipError_tPvRmT1_PNSt15iterator_traitsISY_E10value_typeET2_T3_PNSZ_IS14_E10value_typeET4_jRbjT5_S1A_jjP12ihipStream_tbEUljE_EEESV_SW_SX_S14_S18_S1A_T6_T7_T9_mT8_S1C_bDpT10_ENKUlT_T0_E_clISt17integral_constantIbLb1EES1P_EEDaS1K_S1L_EUlS1K_E_NS1_11comp_targetILNS1_3genE2ELNS1_11target_archE906ELNS1_3gpuE6ELNS1_3repE0EEENS1_30default_config_static_selectorELNS0_4arch9wavefront6targetE0EEEvSY_,"axG",@progbits,_ZN7rocprim17ROCPRIM_400000_NS6detail17trampoline_kernelINS0_13select_configILj256ELj13ELNS0_17block_load_methodE3ELS4_3ELS4_3ELNS0_20block_scan_algorithmE0ELj4294967295EEENS1_25partition_config_selectorILNS1_17partition_subalgoE3EjNS0_10empty_typeEbEEZZNS1_14partition_implILS8_3ELb0ES6_jNS0_17counting_iteratorIjlEEPS9_SE_NS0_5tupleIJPjSE_EEENSF_IJSE_SE_EEES9_SG_JZNS1_25segmented_radix_sort_implINS0_14default_configELb1EPKfPfPKlPlN2at6native12_GLOBAL__N_18offset_tEEE10hipError_tPvRmT1_PNSt15iterator_traitsISY_E10value_typeET2_T3_PNSZ_IS14_E10value_typeET4_jRbjT5_S1A_jjP12ihipStream_tbEUljE_EEESV_SW_SX_S14_S18_S1A_T6_T7_T9_mT8_S1C_bDpT10_ENKUlT_T0_E_clISt17integral_constantIbLb1EES1P_EEDaS1K_S1L_EUlS1K_E_NS1_11comp_targetILNS1_3genE2ELNS1_11target_archE906ELNS1_3gpuE6ELNS1_3repE0EEENS1_30default_config_static_selectorELNS0_4arch9wavefront6targetE0EEEvSY_,comdat
.Lfunc_end1305:
	.size	_ZN7rocprim17ROCPRIM_400000_NS6detail17trampoline_kernelINS0_13select_configILj256ELj13ELNS0_17block_load_methodE3ELS4_3ELS4_3ELNS0_20block_scan_algorithmE0ELj4294967295EEENS1_25partition_config_selectorILNS1_17partition_subalgoE3EjNS0_10empty_typeEbEEZZNS1_14partition_implILS8_3ELb0ES6_jNS0_17counting_iteratorIjlEEPS9_SE_NS0_5tupleIJPjSE_EEENSF_IJSE_SE_EEES9_SG_JZNS1_25segmented_radix_sort_implINS0_14default_configELb1EPKfPfPKlPlN2at6native12_GLOBAL__N_18offset_tEEE10hipError_tPvRmT1_PNSt15iterator_traitsISY_E10value_typeET2_T3_PNSZ_IS14_E10value_typeET4_jRbjT5_S1A_jjP12ihipStream_tbEUljE_EEESV_SW_SX_S14_S18_S1A_T6_T7_T9_mT8_S1C_bDpT10_ENKUlT_T0_E_clISt17integral_constantIbLb1EES1P_EEDaS1K_S1L_EUlS1K_E_NS1_11comp_targetILNS1_3genE2ELNS1_11target_archE906ELNS1_3gpuE6ELNS1_3repE0EEENS1_30default_config_static_selectorELNS0_4arch9wavefront6targetE0EEEvSY_, .Lfunc_end1305-_ZN7rocprim17ROCPRIM_400000_NS6detail17trampoline_kernelINS0_13select_configILj256ELj13ELNS0_17block_load_methodE3ELS4_3ELS4_3ELNS0_20block_scan_algorithmE0ELj4294967295EEENS1_25partition_config_selectorILNS1_17partition_subalgoE3EjNS0_10empty_typeEbEEZZNS1_14partition_implILS8_3ELb0ES6_jNS0_17counting_iteratorIjlEEPS9_SE_NS0_5tupleIJPjSE_EEENSF_IJSE_SE_EEES9_SG_JZNS1_25segmented_radix_sort_implINS0_14default_configELb1EPKfPfPKlPlN2at6native12_GLOBAL__N_18offset_tEEE10hipError_tPvRmT1_PNSt15iterator_traitsISY_E10value_typeET2_T3_PNSZ_IS14_E10value_typeET4_jRbjT5_S1A_jjP12ihipStream_tbEUljE_EEESV_SW_SX_S14_S18_S1A_T6_T7_T9_mT8_S1C_bDpT10_ENKUlT_T0_E_clISt17integral_constantIbLb1EES1P_EEDaS1K_S1L_EUlS1K_E_NS1_11comp_targetILNS1_3genE2ELNS1_11target_archE906ELNS1_3gpuE6ELNS1_3repE0EEENS1_30default_config_static_selectorELNS0_4arch9wavefront6targetE0EEEvSY_
                                        ; -- End function
	.set _ZN7rocprim17ROCPRIM_400000_NS6detail17trampoline_kernelINS0_13select_configILj256ELj13ELNS0_17block_load_methodE3ELS4_3ELS4_3ELNS0_20block_scan_algorithmE0ELj4294967295EEENS1_25partition_config_selectorILNS1_17partition_subalgoE3EjNS0_10empty_typeEbEEZZNS1_14partition_implILS8_3ELb0ES6_jNS0_17counting_iteratorIjlEEPS9_SE_NS0_5tupleIJPjSE_EEENSF_IJSE_SE_EEES9_SG_JZNS1_25segmented_radix_sort_implINS0_14default_configELb1EPKfPfPKlPlN2at6native12_GLOBAL__N_18offset_tEEE10hipError_tPvRmT1_PNSt15iterator_traitsISY_E10value_typeET2_T3_PNSZ_IS14_E10value_typeET4_jRbjT5_S1A_jjP12ihipStream_tbEUljE_EEESV_SW_SX_S14_S18_S1A_T6_T7_T9_mT8_S1C_bDpT10_ENKUlT_T0_E_clISt17integral_constantIbLb1EES1P_EEDaS1K_S1L_EUlS1K_E_NS1_11comp_targetILNS1_3genE2ELNS1_11target_archE906ELNS1_3gpuE6ELNS1_3repE0EEENS1_30default_config_static_selectorELNS0_4arch9wavefront6targetE0EEEvSY_.num_vgpr, 0
	.set _ZN7rocprim17ROCPRIM_400000_NS6detail17trampoline_kernelINS0_13select_configILj256ELj13ELNS0_17block_load_methodE3ELS4_3ELS4_3ELNS0_20block_scan_algorithmE0ELj4294967295EEENS1_25partition_config_selectorILNS1_17partition_subalgoE3EjNS0_10empty_typeEbEEZZNS1_14partition_implILS8_3ELb0ES6_jNS0_17counting_iteratorIjlEEPS9_SE_NS0_5tupleIJPjSE_EEENSF_IJSE_SE_EEES9_SG_JZNS1_25segmented_radix_sort_implINS0_14default_configELb1EPKfPfPKlPlN2at6native12_GLOBAL__N_18offset_tEEE10hipError_tPvRmT1_PNSt15iterator_traitsISY_E10value_typeET2_T3_PNSZ_IS14_E10value_typeET4_jRbjT5_S1A_jjP12ihipStream_tbEUljE_EEESV_SW_SX_S14_S18_S1A_T6_T7_T9_mT8_S1C_bDpT10_ENKUlT_T0_E_clISt17integral_constantIbLb1EES1P_EEDaS1K_S1L_EUlS1K_E_NS1_11comp_targetILNS1_3genE2ELNS1_11target_archE906ELNS1_3gpuE6ELNS1_3repE0EEENS1_30default_config_static_selectorELNS0_4arch9wavefront6targetE0EEEvSY_.num_agpr, 0
	.set _ZN7rocprim17ROCPRIM_400000_NS6detail17trampoline_kernelINS0_13select_configILj256ELj13ELNS0_17block_load_methodE3ELS4_3ELS4_3ELNS0_20block_scan_algorithmE0ELj4294967295EEENS1_25partition_config_selectorILNS1_17partition_subalgoE3EjNS0_10empty_typeEbEEZZNS1_14partition_implILS8_3ELb0ES6_jNS0_17counting_iteratorIjlEEPS9_SE_NS0_5tupleIJPjSE_EEENSF_IJSE_SE_EEES9_SG_JZNS1_25segmented_radix_sort_implINS0_14default_configELb1EPKfPfPKlPlN2at6native12_GLOBAL__N_18offset_tEEE10hipError_tPvRmT1_PNSt15iterator_traitsISY_E10value_typeET2_T3_PNSZ_IS14_E10value_typeET4_jRbjT5_S1A_jjP12ihipStream_tbEUljE_EEESV_SW_SX_S14_S18_S1A_T6_T7_T9_mT8_S1C_bDpT10_ENKUlT_T0_E_clISt17integral_constantIbLb1EES1P_EEDaS1K_S1L_EUlS1K_E_NS1_11comp_targetILNS1_3genE2ELNS1_11target_archE906ELNS1_3gpuE6ELNS1_3repE0EEENS1_30default_config_static_selectorELNS0_4arch9wavefront6targetE0EEEvSY_.numbered_sgpr, 0
	.set _ZN7rocprim17ROCPRIM_400000_NS6detail17trampoline_kernelINS0_13select_configILj256ELj13ELNS0_17block_load_methodE3ELS4_3ELS4_3ELNS0_20block_scan_algorithmE0ELj4294967295EEENS1_25partition_config_selectorILNS1_17partition_subalgoE3EjNS0_10empty_typeEbEEZZNS1_14partition_implILS8_3ELb0ES6_jNS0_17counting_iteratorIjlEEPS9_SE_NS0_5tupleIJPjSE_EEENSF_IJSE_SE_EEES9_SG_JZNS1_25segmented_radix_sort_implINS0_14default_configELb1EPKfPfPKlPlN2at6native12_GLOBAL__N_18offset_tEEE10hipError_tPvRmT1_PNSt15iterator_traitsISY_E10value_typeET2_T3_PNSZ_IS14_E10value_typeET4_jRbjT5_S1A_jjP12ihipStream_tbEUljE_EEESV_SW_SX_S14_S18_S1A_T6_T7_T9_mT8_S1C_bDpT10_ENKUlT_T0_E_clISt17integral_constantIbLb1EES1P_EEDaS1K_S1L_EUlS1K_E_NS1_11comp_targetILNS1_3genE2ELNS1_11target_archE906ELNS1_3gpuE6ELNS1_3repE0EEENS1_30default_config_static_selectorELNS0_4arch9wavefront6targetE0EEEvSY_.num_named_barrier, 0
	.set _ZN7rocprim17ROCPRIM_400000_NS6detail17trampoline_kernelINS0_13select_configILj256ELj13ELNS0_17block_load_methodE3ELS4_3ELS4_3ELNS0_20block_scan_algorithmE0ELj4294967295EEENS1_25partition_config_selectorILNS1_17partition_subalgoE3EjNS0_10empty_typeEbEEZZNS1_14partition_implILS8_3ELb0ES6_jNS0_17counting_iteratorIjlEEPS9_SE_NS0_5tupleIJPjSE_EEENSF_IJSE_SE_EEES9_SG_JZNS1_25segmented_radix_sort_implINS0_14default_configELb1EPKfPfPKlPlN2at6native12_GLOBAL__N_18offset_tEEE10hipError_tPvRmT1_PNSt15iterator_traitsISY_E10value_typeET2_T3_PNSZ_IS14_E10value_typeET4_jRbjT5_S1A_jjP12ihipStream_tbEUljE_EEESV_SW_SX_S14_S18_S1A_T6_T7_T9_mT8_S1C_bDpT10_ENKUlT_T0_E_clISt17integral_constantIbLb1EES1P_EEDaS1K_S1L_EUlS1K_E_NS1_11comp_targetILNS1_3genE2ELNS1_11target_archE906ELNS1_3gpuE6ELNS1_3repE0EEENS1_30default_config_static_selectorELNS0_4arch9wavefront6targetE0EEEvSY_.private_seg_size, 0
	.set _ZN7rocprim17ROCPRIM_400000_NS6detail17trampoline_kernelINS0_13select_configILj256ELj13ELNS0_17block_load_methodE3ELS4_3ELS4_3ELNS0_20block_scan_algorithmE0ELj4294967295EEENS1_25partition_config_selectorILNS1_17partition_subalgoE3EjNS0_10empty_typeEbEEZZNS1_14partition_implILS8_3ELb0ES6_jNS0_17counting_iteratorIjlEEPS9_SE_NS0_5tupleIJPjSE_EEENSF_IJSE_SE_EEES9_SG_JZNS1_25segmented_radix_sort_implINS0_14default_configELb1EPKfPfPKlPlN2at6native12_GLOBAL__N_18offset_tEEE10hipError_tPvRmT1_PNSt15iterator_traitsISY_E10value_typeET2_T3_PNSZ_IS14_E10value_typeET4_jRbjT5_S1A_jjP12ihipStream_tbEUljE_EEESV_SW_SX_S14_S18_S1A_T6_T7_T9_mT8_S1C_bDpT10_ENKUlT_T0_E_clISt17integral_constantIbLb1EES1P_EEDaS1K_S1L_EUlS1K_E_NS1_11comp_targetILNS1_3genE2ELNS1_11target_archE906ELNS1_3gpuE6ELNS1_3repE0EEENS1_30default_config_static_selectorELNS0_4arch9wavefront6targetE0EEEvSY_.uses_vcc, 0
	.set _ZN7rocprim17ROCPRIM_400000_NS6detail17trampoline_kernelINS0_13select_configILj256ELj13ELNS0_17block_load_methodE3ELS4_3ELS4_3ELNS0_20block_scan_algorithmE0ELj4294967295EEENS1_25partition_config_selectorILNS1_17partition_subalgoE3EjNS0_10empty_typeEbEEZZNS1_14partition_implILS8_3ELb0ES6_jNS0_17counting_iteratorIjlEEPS9_SE_NS0_5tupleIJPjSE_EEENSF_IJSE_SE_EEES9_SG_JZNS1_25segmented_radix_sort_implINS0_14default_configELb1EPKfPfPKlPlN2at6native12_GLOBAL__N_18offset_tEEE10hipError_tPvRmT1_PNSt15iterator_traitsISY_E10value_typeET2_T3_PNSZ_IS14_E10value_typeET4_jRbjT5_S1A_jjP12ihipStream_tbEUljE_EEESV_SW_SX_S14_S18_S1A_T6_T7_T9_mT8_S1C_bDpT10_ENKUlT_T0_E_clISt17integral_constantIbLb1EES1P_EEDaS1K_S1L_EUlS1K_E_NS1_11comp_targetILNS1_3genE2ELNS1_11target_archE906ELNS1_3gpuE6ELNS1_3repE0EEENS1_30default_config_static_selectorELNS0_4arch9wavefront6targetE0EEEvSY_.uses_flat_scratch, 0
	.set _ZN7rocprim17ROCPRIM_400000_NS6detail17trampoline_kernelINS0_13select_configILj256ELj13ELNS0_17block_load_methodE3ELS4_3ELS4_3ELNS0_20block_scan_algorithmE0ELj4294967295EEENS1_25partition_config_selectorILNS1_17partition_subalgoE3EjNS0_10empty_typeEbEEZZNS1_14partition_implILS8_3ELb0ES6_jNS0_17counting_iteratorIjlEEPS9_SE_NS0_5tupleIJPjSE_EEENSF_IJSE_SE_EEES9_SG_JZNS1_25segmented_radix_sort_implINS0_14default_configELb1EPKfPfPKlPlN2at6native12_GLOBAL__N_18offset_tEEE10hipError_tPvRmT1_PNSt15iterator_traitsISY_E10value_typeET2_T3_PNSZ_IS14_E10value_typeET4_jRbjT5_S1A_jjP12ihipStream_tbEUljE_EEESV_SW_SX_S14_S18_S1A_T6_T7_T9_mT8_S1C_bDpT10_ENKUlT_T0_E_clISt17integral_constantIbLb1EES1P_EEDaS1K_S1L_EUlS1K_E_NS1_11comp_targetILNS1_3genE2ELNS1_11target_archE906ELNS1_3gpuE6ELNS1_3repE0EEENS1_30default_config_static_selectorELNS0_4arch9wavefront6targetE0EEEvSY_.has_dyn_sized_stack, 0
	.set _ZN7rocprim17ROCPRIM_400000_NS6detail17trampoline_kernelINS0_13select_configILj256ELj13ELNS0_17block_load_methodE3ELS4_3ELS4_3ELNS0_20block_scan_algorithmE0ELj4294967295EEENS1_25partition_config_selectorILNS1_17partition_subalgoE3EjNS0_10empty_typeEbEEZZNS1_14partition_implILS8_3ELb0ES6_jNS0_17counting_iteratorIjlEEPS9_SE_NS0_5tupleIJPjSE_EEENSF_IJSE_SE_EEES9_SG_JZNS1_25segmented_radix_sort_implINS0_14default_configELb1EPKfPfPKlPlN2at6native12_GLOBAL__N_18offset_tEEE10hipError_tPvRmT1_PNSt15iterator_traitsISY_E10value_typeET2_T3_PNSZ_IS14_E10value_typeET4_jRbjT5_S1A_jjP12ihipStream_tbEUljE_EEESV_SW_SX_S14_S18_S1A_T6_T7_T9_mT8_S1C_bDpT10_ENKUlT_T0_E_clISt17integral_constantIbLb1EES1P_EEDaS1K_S1L_EUlS1K_E_NS1_11comp_targetILNS1_3genE2ELNS1_11target_archE906ELNS1_3gpuE6ELNS1_3repE0EEENS1_30default_config_static_selectorELNS0_4arch9wavefront6targetE0EEEvSY_.has_recursion, 0
	.set _ZN7rocprim17ROCPRIM_400000_NS6detail17trampoline_kernelINS0_13select_configILj256ELj13ELNS0_17block_load_methodE3ELS4_3ELS4_3ELNS0_20block_scan_algorithmE0ELj4294967295EEENS1_25partition_config_selectorILNS1_17partition_subalgoE3EjNS0_10empty_typeEbEEZZNS1_14partition_implILS8_3ELb0ES6_jNS0_17counting_iteratorIjlEEPS9_SE_NS0_5tupleIJPjSE_EEENSF_IJSE_SE_EEES9_SG_JZNS1_25segmented_radix_sort_implINS0_14default_configELb1EPKfPfPKlPlN2at6native12_GLOBAL__N_18offset_tEEE10hipError_tPvRmT1_PNSt15iterator_traitsISY_E10value_typeET2_T3_PNSZ_IS14_E10value_typeET4_jRbjT5_S1A_jjP12ihipStream_tbEUljE_EEESV_SW_SX_S14_S18_S1A_T6_T7_T9_mT8_S1C_bDpT10_ENKUlT_T0_E_clISt17integral_constantIbLb1EES1P_EEDaS1K_S1L_EUlS1K_E_NS1_11comp_targetILNS1_3genE2ELNS1_11target_archE906ELNS1_3gpuE6ELNS1_3repE0EEENS1_30default_config_static_selectorELNS0_4arch9wavefront6targetE0EEEvSY_.has_indirect_call, 0
	.section	.AMDGPU.csdata,"",@progbits
; Kernel info:
; codeLenInByte = 0
; TotalNumSgprs: 0
; NumVgprs: 0
; ScratchSize: 0
; MemoryBound: 0
; FloatMode: 240
; IeeeMode: 1
; LDSByteSize: 0 bytes/workgroup (compile time only)
; SGPRBlocks: 0
; VGPRBlocks: 0
; NumSGPRsForWavesPerEU: 1
; NumVGPRsForWavesPerEU: 1
; Occupancy: 16
; WaveLimiterHint : 0
; COMPUTE_PGM_RSRC2:SCRATCH_EN: 0
; COMPUTE_PGM_RSRC2:USER_SGPR: 2
; COMPUTE_PGM_RSRC2:TRAP_HANDLER: 0
; COMPUTE_PGM_RSRC2:TGID_X_EN: 1
; COMPUTE_PGM_RSRC2:TGID_Y_EN: 0
; COMPUTE_PGM_RSRC2:TGID_Z_EN: 0
; COMPUTE_PGM_RSRC2:TIDIG_COMP_CNT: 0
	.section	.text._ZN7rocprim17ROCPRIM_400000_NS6detail17trampoline_kernelINS0_13select_configILj256ELj13ELNS0_17block_load_methodE3ELS4_3ELS4_3ELNS0_20block_scan_algorithmE0ELj4294967295EEENS1_25partition_config_selectorILNS1_17partition_subalgoE3EjNS0_10empty_typeEbEEZZNS1_14partition_implILS8_3ELb0ES6_jNS0_17counting_iteratorIjlEEPS9_SE_NS0_5tupleIJPjSE_EEENSF_IJSE_SE_EEES9_SG_JZNS1_25segmented_radix_sort_implINS0_14default_configELb1EPKfPfPKlPlN2at6native12_GLOBAL__N_18offset_tEEE10hipError_tPvRmT1_PNSt15iterator_traitsISY_E10value_typeET2_T3_PNSZ_IS14_E10value_typeET4_jRbjT5_S1A_jjP12ihipStream_tbEUljE_EEESV_SW_SX_S14_S18_S1A_T6_T7_T9_mT8_S1C_bDpT10_ENKUlT_T0_E_clISt17integral_constantIbLb1EES1P_EEDaS1K_S1L_EUlS1K_E_NS1_11comp_targetILNS1_3genE10ELNS1_11target_archE1200ELNS1_3gpuE4ELNS1_3repE0EEENS1_30default_config_static_selectorELNS0_4arch9wavefront6targetE0EEEvSY_,"axG",@progbits,_ZN7rocprim17ROCPRIM_400000_NS6detail17trampoline_kernelINS0_13select_configILj256ELj13ELNS0_17block_load_methodE3ELS4_3ELS4_3ELNS0_20block_scan_algorithmE0ELj4294967295EEENS1_25partition_config_selectorILNS1_17partition_subalgoE3EjNS0_10empty_typeEbEEZZNS1_14partition_implILS8_3ELb0ES6_jNS0_17counting_iteratorIjlEEPS9_SE_NS0_5tupleIJPjSE_EEENSF_IJSE_SE_EEES9_SG_JZNS1_25segmented_radix_sort_implINS0_14default_configELb1EPKfPfPKlPlN2at6native12_GLOBAL__N_18offset_tEEE10hipError_tPvRmT1_PNSt15iterator_traitsISY_E10value_typeET2_T3_PNSZ_IS14_E10value_typeET4_jRbjT5_S1A_jjP12ihipStream_tbEUljE_EEESV_SW_SX_S14_S18_S1A_T6_T7_T9_mT8_S1C_bDpT10_ENKUlT_T0_E_clISt17integral_constantIbLb1EES1P_EEDaS1K_S1L_EUlS1K_E_NS1_11comp_targetILNS1_3genE10ELNS1_11target_archE1200ELNS1_3gpuE4ELNS1_3repE0EEENS1_30default_config_static_selectorELNS0_4arch9wavefront6targetE0EEEvSY_,comdat
	.globl	_ZN7rocprim17ROCPRIM_400000_NS6detail17trampoline_kernelINS0_13select_configILj256ELj13ELNS0_17block_load_methodE3ELS4_3ELS4_3ELNS0_20block_scan_algorithmE0ELj4294967295EEENS1_25partition_config_selectorILNS1_17partition_subalgoE3EjNS0_10empty_typeEbEEZZNS1_14partition_implILS8_3ELb0ES6_jNS0_17counting_iteratorIjlEEPS9_SE_NS0_5tupleIJPjSE_EEENSF_IJSE_SE_EEES9_SG_JZNS1_25segmented_radix_sort_implINS0_14default_configELb1EPKfPfPKlPlN2at6native12_GLOBAL__N_18offset_tEEE10hipError_tPvRmT1_PNSt15iterator_traitsISY_E10value_typeET2_T3_PNSZ_IS14_E10value_typeET4_jRbjT5_S1A_jjP12ihipStream_tbEUljE_EEESV_SW_SX_S14_S18_S1A_T6_T7_T9_mT8_S1C_bDpT10_ENKUlT_T0_E_clISt17integral_constantIbLb1EES1P_EEDaS1K_S1L_EUlS1K_E_NS1_11comp_targetILNS1_3genE10ELNS1_11target_archE1200ELNS1_3gpuE4ELNS1_3repE0EEENS1_30default_config_static_selectorELNS0_4arch9wavefront6targetE0EEEvSY_ ; -- Begin function _ZN7rocprim17ROCPRIM_400000_NS6detail17trampoline_kernelINS0_13select_configILj256ELj13ELNS0_17block_load_methodE3ELS4_3ELS4_3ELNS0_20block_scan_algorithmE0ELj4294967295EEENS1_25partition_config_selectorILNS1_17partition_subalgoE3EjNS0_10empty_typeEbEEZZNS1_14partition_implILS8_3ELb0ES6_jNS0_17counting_iteratorIjlEEPS9_SE_NS0_5tupleIJPjSE_EEENSF_IJSE_SE_EEES9_SG_JZNS1_25segmented_radix_sort_implINS0_14default_configELb1EPKfPfPKlPlN2at6native12_GLOBAL__N_18offset_tEEE10hipError_tPvRmT1_PNSt15iterator_traitsISY_E10value_typeET2_T3_PNSZ_IS14_E10value_typeET4_jRbjT5_S1A_jjP12ihipStream_tbEUljE_EEESV_SW_SX_S14_S18_S1A_T6_T7_T9_mT8_S1C_bDpT10_ENKUlT_T0_E_clISt17integral_constantIbLb1EES1P_EEDaS1K_S1L_EUlS1K_E_NS1_11comp_targetILNS1_3genE10ELNS1_11target_archE1200ELNS1_3gpuE4ELNS1_3repE0EEENS1_30default_config_static_selectorELNS0_4arch9wavefront6targetE0EEEvSY_
	.p2align	8
	.type	_ZN7rocprim17ROCPRIM_400000_NS6detail17trampoline_kernelINS0_13select_configILj256ELj13ELNS0_17block_load_methodE3ELS4_3ELS4_3ELNS0_20block_scan_algorithmE0ELj4294967295EEENS1_25partition_config_selectorILNS1_17partition_subalgoE3EjNS0_10empty_typeEbEEZZNS1_14partition_implILS8_3ELb0ES6_jNS0_17counting_iteratorIjlEEPS9_SE_NS0_5tupleIJPjSE_EEENSF_IJSE_SE_EEES9_SG_JZNS1_25segmented_radix_sort_implINS0_14default_configELb1EPKfPfPKlPlN2at6native12_GLOBAL__N_18offset_tEEE10hipError_tPvRmT1_PNSt15iterator_traitsISY_E10value_typeET2_T3_PNSZ_IS14_E10value_typeET4_jRbjT5_S1A_jjP12ihipStream_tbEUljE_EEESV_SW_SX_S14_S18_S1A_T6_T7_T9_mT8_S1C_bDpT10_ENKUlT_T0_E_clISt17integral_constantIbLb1EES1P_EEDaS1K_S1L_EUlS1K_E_NS1_11comp_targetILNS1_3genE10ELNS1_11target_archE1200ELNS1_3gpuE4ELNS1_3repE0EEENS1_30default_config_static_selectorELNS0_4arch9wavefront6targetE0EEEvSY_,@function
_ZN7rocprim17ROCPRIM_400000_NS6detail17trampoline_kernelINS0_13select_configILj256ELj13ELNS0_17block_load_methodE3ELS4_3ELS4_3ELNS0_20block_scan_algorithmE0ELj4294967295EEENS1_25partition_config_selectorILNS1_17partition_subalgoE3EjNS0_10empty_typeEbEEZZNS1_14partition_implILS8_3ELb0ES6_jNS0_17counting_iteratorIjlEEPS9_SE_NS0_5tupleIJPjSE_EEENSF_IJSE_SE_EEES9_SG_JZNS1_25segmented_radix_sort_implINS0_14default_configELb1EPKfPfPKlPlN2at6native12_GLOBAL__N_18offset_tEEE10hipError_tPvRmT1_PNSt15iterator_traitsISY_E10value_typeET2_T3_PNSZ_IS14_E10value_typeET4_jRbjT5_S1A_jjP12ihipStream_tbEUljE_EEESV_SW_SX_S14_S18_S1A_T6_T7_T9_mT8_S1C_bDpT10_ENKUlT_T0_E_clISt17integral_constantIbLb1EES1P_EEDaS1K_S1L_EUlS1K_E_NS1_11comp_targetILNS1_3genE10ELNS1_11target_archE1200ELNS1_3gpuE4ELNS1_3repE0EEENS1_30default_config_static_selectorELNS0_4arch9wavefront6targetE0EEEvSY_: ; @_ZN7rocprim17ROCPRIM_400000_NS6detail17trampoline_kernelINS0_13select_configILj256ELj13ELNS0_17block_load_methodE3ELS4_3ELS4_3ELNS0_20block_scan_algorithmE0ELj4294967295EEENS1_25partition_config_selectorILNS1_17partition_subalgoE3EjNS0_10empty_typeEbEEZZNS1_14partition_implILS8_3ELb0ES6_jNS0_17counting_iteratorIjlEEPS9_SE_NS0_5tupleIJPjSE_EEENSF_IJSE_SE_EEES9_SG_JZNS1_25segmented_radix_sort_implINS0_14default_configELb1EPKfPfPKlPlN2at6native12_GLOBAL__N_18offset_tEEE10hipError_tPvRmT1_PNSt15iterator_traitsISY_E10value_typeET2_T3_PNSZ_IS14_E10value_typeET4_jRbjT5_S1A_jjP12ihipStream_tbEUljE_EEESV_SW_SX_S14_S18_S1A_T6_T7_T9_mT8_S1C_bDpT10_ENKUlT_T0_E_clISt17integral_constantIbLb1EES1P_EEDaS1K_S1L_EUlS1K_E_NS1_11comp_targetILNS1_3genE10ELNS1_11target_archE1200ELNS1_3gpuE4ELNS1_3repE0EEENS1_30default_config_static_selectorELNS0_4arch9wavefront6targetE0EEEvSY_
; %bb.0:
	s_endpgm
	.section	.rodata,"a",@progbits
	.p2align	6, 0x0
	.amdhsa_kernel _ZN7rocprim17ROCPRIM_400000_NS6detail17trampoline_kernelINS0_13select_configILj256ELj13ELNS0_17block_load_methodE3ELS4_3ELS4_3ELNS0_20block_scan_algorithmE0ELj4294967295EEENS1_25partition_config_selectorILNS1_17partition_subalgoE3EjNS0_10empty_typeEbEEZZNS1_14partition_implILS8_3ELb0ES6_jNS0_17counting_iteratorIjlEEPS9_SE_NS0_5tupleIJPjSE_EEENSF_IJSE_SE_EEES9_SG_JZNS1_25segmented_radix_sort_implINS0_14default_configELb1EPKfPfPKlPlN2at6native12_GLOBAL__N_18offset_tEEE10hipError_tPvRmT1_PNSt15iterator_traitsISY_E10value_typeET2_T3_PNSZ_IS14_E10value_typeET4_jRbjT5_S1A_jjP12ihipStream_tbEUljE_EEESV_SW_SX_S14_S18_S1A_T6_T7_T9_mT8_S1C_bDpT10_ENKUlT_T0_E_clISt17integral_constantIbLb1EES1P_EEDaS1K_S1L_EUlS1K_E_NS1_11comp_targetILNS1_3genE10ELNS1_11target_archE1200ELNS1_3gpuE4ELNS1_3repE0EEENS1_30default_config_static_selectorELNS0_4arch9wavefront6targetE0EEEvSY_
		.amdhsa_group_segment_fixed_size 0
		.amdhsa_private_segment_fixed_size 0
		.amdhsa_kernarg_size 152
		.amdhsa_user_sgpr_count 2
		.amdhsa_user_sgpr_dispatch_ptr 0
		.amdhsa_user_sgpr_queue_ptr 0
		.amdhsa_user_sgpr_kernarg_segment_ptr 1
		.amdhsa_user_sgpr_dispatch_id 0
		.amdhsa_user_sgpr_private_segment_size 0
		.amdhsa_wavefront_size32 1
		.amdhsa_uses_dynamic_stack 0
		.amdhsa_enable_private_segment 0
		.amdhsa_system_sgpr_workgroup_id_x 1
		.amdhsa_system_sgpr_workgroup_id_y 0
		.amdhsa_system_sgpr_workgroup_id_z 0
		.amdhsa_system_sgpr_workgroup_info 0
		.amdhsa_system_vgpr_workitem_id 0
		.amdhsa_next_free_vgpr 1
		.amdhsa_next_free_sgpr 1
		.amdhsa_reserve_vcc 0
		.amdhsa_float_round_mode_32 0
		.amdhsa_float_round_mode_16_64 0
		.amdhsa_float_denorm_mode_32 3
		.amdhsa_float_denorm_mode_16_64 3
		.amdhsa_fp16_overflow 0
		.amdhsa_workgroup_processor_mode 1
		.amdhsa_memory_ordered 1
		.amdhsa_forward_progress 1
		.amdhsa_inst_pref_size 1
		.amdhsa_round_robin_scheduling 0
		.amdhsa_exception_fp_ieee_invalid_op 0
		.amdhsa_exception_fp_denorm_src 0
		.amdhsa_exception_fp_ieee_div_zero 0
		.amdhsa_exception_fp_ieee_overflow 0
		.amdhsa_exception_fp_ieee_underflow 0
		.amdhsa_exception_fp_ieee_inexact 0
		.amdhsa_exception_int_div_zero 0
	.end_amdhsa_kernel
	.section	.text._ZN7rocprim17ROCPRIM_400000_NS6detail17trampoline_kernelINS0_13select_configILj256ELj13ELNS0_17block_load_methodE3ELS4_3ELS4_3ELNS0_20block_scan_algorithmE0ELj4294967295EEENS1_25partition_config_selectorILNS1_17partition_subalgoE3EjNS0_10empty_typeEbEEZZNS1_14partition_implILS8_3ELb0ES6_jNS0_17counting_iteratorIjlEEPS9_SE_NS0_5tupleIJPjSE_EEENSF_IJSE_SE_EEES9_SG_JZNS1_25segmented_radix_sort_implINS0_14default_configELb1EPKfPfPKlPlN2at6native12_GLOBAL__N_18offset_tEEE10hipError_tPvRmT1_PNSt15iterator_traitsISY_E10value_typeET2_T3_PNSZ_IS14_E10value_typeET4_jRbjT5_S1A_jjP12ihipStream_tbEUljE_EEESV_SW_SX_S14_S18_S1A_T6_T7_T9_mT8_S1C_bDpT10_ENKUlT_T0_E_clISt17integral_constantIbLb1EES1P_EEDaS1K_S1L_EUlS1K_E_NS1_11comp_targetILNS1_3genE10ELNS1_11target_archE1200ELNS1_3gpuE4ELNS1_3repE0EEENS1_30default_config_static_selectorELNS0_4arch9wavefront6targetE0EEEvSY_,"axG",@progbits,_ZN7rocprim17ROCPRIM_400000_NS6detail17trampoline_kernelINS0_13select_configILj256ELj13ELNS0_17block_load_methodE3ELS4_3ELS4_3ELNS0_20block_scan_algorithmE0ELj4294967295EEENS1_25partition_config_selectorILNS1_17partition_subalgoE3EjNS0_10empty_typeEbEEZZNS1_14partition_implILS8_3ELb0ES6_jNS0_17counting_iteratorIjlEEPS9_SE_NS0_5tupleIJPjSE_EEENSF_IJSE_SE_EEES9_SG_JZNS1_25segmented_radix_sort_implINS0_14default_configELb1EPKfPfPKlPlN2at6native12_GLOBAL__N_18offset_tEEE10hipError_tPvRmT1_PNSt15iterator_traitsISY_E10value_typeET2_T3_PNSZ_IS14_E10value_typeET4_jRbjT5_S1A_jjP12ihipStream_tbEUljE_EEESV_SW_SX_S14_S18_S1A_T6_T7_T9_mT8_S1C_bDpT10_ENKUlT_T0_E_clISt17integral_constantIbLb1EES1P_EEDaS1K_S1L_EUlS1K_E_NS1_11comp_targetILNS1_3genE10ELNS1_11target_archE1200ELNS1_3gpuE4ELNS1_3repE0EEENS1_30default_config_static_selectorELNS0_4arch9wavefront6targetE0EEEvSY_,comdat
.Lfunc_end1306:
	.size	_ZN7rocprim17ROCPRIM_400000_NS6detail17trampoline_kernelINS0_13select_configILj256ELj13ELNS0_17block_load_methodE3ELS4_3ELS4_3ELNS0_20block_scan_algorithmE0ELj4294967295EEENS1_25partition_config_selectorILNS1_17partition_subalgoE3EjNS0_10empty_typeEbEEZZNS1_14partition_implILS8_3ELb0ES6_jNS0_17counting_iteratorIjlEEPS9_SE_NS0_5tupleIJPjSE_EEENSF_IJSE_SE_EEES9_SG_JZNS1_25segmented_radix_sort_implINS0_14default_configELb1EPKfPfPKlPlN2at6native12_GLOBAL__N_18offset_tEEE10hipError_tPvRmT1_PNSt15iterator_traitsISY_E10value_typeET2_T3_PNSZ_IS14_E10value_typeET4_jRbjT5_S1A_jjP12ihipStream_tbEUljE_EEESV_SW_SX_S14_S18_S1A_T6_T7_T9_mT8_S1C_bDpT10_ENKUlT_T0_E_clISt17integral_constantIbLb1EES1P_EEDaS1K_S1L_EUlS1K_E_NS1_11comp_targetILNS1_3genE10ELNS1_11target_archE1200ELNS1_3gpuE4ELNS1_3repE0EEENS1_30default_config_static_selectorELNS0_4arch9wavefront6targetE0EEEvSY_, .Lfunc_end1306-_ZN7rocprim17ROCPRIM_400000_NS6detail17trampoline_kernelINS0_13select_configILj256ELj13ELNS0_17block_load_methodE3ELS4_3ELS4_3ELNS0_20block_scan_algorithmE0ELj4294967295EEENS1_25partition_config_selectorILNS1_17partition_subalgoE3EjNS0_10empty_typeEbEEZZNS1_14partition_implILS8_3ELb0ES6_jNS0_17counting_iteratorIjlEEPS9_SE_NS0_5tupleIJPjSE_EEENSF_IJSE_SE_EEES9_SG_JZNS1_25segmented_radix_sort_implINS0_14default_configELb1EPKfPfPKlPlN2at6native12_GLOBAL__N_18offset_tEEE10hipError_tPvRmT1_PNSt15iterator_traitsISY_E10value_typeET2_T3_PNSZ_IS14_E10value_typeET4_jRbjT5_S1A_jjP12ihipStream_tbEUljE_EEESV_SW_SX_S14_S18_S1A_T6_T7_T9_mT8_S1C_bDpT10_ENKUlT_T0_E_clISt17integral_constantIbLb1EES1P_EEDaS1K_S1L_EUlS1K_E_NS1_11comp_targetILNS1_3genE10ELNS1_11target_archE1200ELNS1_3gpuE4ELNS1_3repE0EEENS1_30default_config_static_selectorELNS0_4arch9wavefront6targetE0EEEvSY_
                                        ; -- End function
	.set _ZN7rocprim17ROCPRIM_400000_NS6detail17trampoline_kernelINS0_13select_configILj256ELj13ELNS0_17block_load_methodE3ELS4_3ELS4_3ELNS0_20block_scan_algorithmE0ELj4294967295EEENS1_25partition_config_selectorILNS1_17partition_subalgoE3EjNS0_10empty_typeEbEEZZNS1_14partition_implILS8_3ELb0ES6_jNS0_17counting_iteratorIjlEEPS9_SE_NS0_5tupleIJPjSE_EEENSF_IJSE_SE_EEES9_SG_JZNS1_25segmented_radix_sort_implINS0_14default_configELb1EPKfPfPKlPlN2at6native12_GLOBAL__N_18offset_tEEE10hipError_tPvRmT1_PNSt15iterator_traitsISY_E10value_typeET2_T3_PNSZ_IS14_E10value_typeET4_jRbjT5_S1A_jjP12ihipStream_tbEUljE_EEESV_SW_SX_S14_S18_S1A_T6_T7_T9_mT8_S1C_bDpT10_ENKUlT_T0_E_clISt17integral_constantIbLb1EES1P_EEDaS1K_S1L_EUlS1K_E_NS1_11comp_targetILNS1_3genE10ELNS1_11target_archE1200ELNS1_3gpuE4ELNS1_3repE0EEENS1_30default_config_static_selectorELNS0_4arch9wavefront6targetE0EEEvSY_.num_vgpr, 0
	.set _ZN7rocprim17ROCPRIM_400000_NS6detail17trampoline_kernelINS0_13select_configILj256ELj13ELNS0_17block_load_methodE3ELS4_3ELS4_3ELNS0_20block_scan_algorithmE0ELj4294967295EEENS1_25partition_config_selectorILNS1_17partition_subalgoE3EjNS0_10empty_typeEbEEZZNS1_14partition_implILS8_3ELb0ES6_jNS0_17counting_iteratorIjlEEPS9_SE_NS0_5tupleIJPjSE_EEENSF_IJSE_SE_EEES9_SG_JZNS1_25segmented_radix_sort_implINS0_14default_configELb1EPKfPfPKlPlN2at6native12_GLOBAL__N_18offset_tEEE10hipError_tPvRmT1_PNSt15iterator_traitsISY_E10value_typeET2_T3_PNSZ_IS14_E10value_typeET4_jRbjT5_S1A_jjP12ihipStream_tbEUljE_EEESV_SW_SX_S14_S18_S1A_T6_T7_T9_mT8_S1C_bDpT10_ENKUlT_T0_E_clISt17integral_constantIbLb1EES1P_EEDaS1K_S1L_EUlS1K_E_NS1_11comp_targetILNS1_3genE10ELNS1_11target_archE1200ELNS1_3gpuE4ELNS1_3repE0EEENS1_30default_config_static_selectorELNS0_4arch9wavefront6targetE0EEEvSY_.num_agpr, 0
	.set _ZN7rocprim17ROCPRIM_400000_NS6detail17trampoline_kernelINS0_13select_configILj256ELj13ELNS0_17block_load_methodE3ELS4_3ELS4_3ELNS0_20block_scan_algorithmE0ELj4294967295EEENS1_25partition_config_selectorILNS1_17partition_subalgoE3EjNS0_10empty_typeEbEEZZNS1_14partition_implILS8_3ELb0ES6_jNS0_17counting_iteratorIjlEEPS9_SE_NS0_5tupleIJPjSE_EEENSF_IJSE_SE_EEES9_SG_JZNS1_25segmented_radix_sort_implINS0_14default_configELb1EPKfPfPKlPlN2at6native12_GLOBAL__N_18offset_tEEE10hipError_tPvRmT1_PNSt15iterator_traitsISY_E10value_typeET2_T3_PNSZ_IS14_E10value_typeET4_jRbjT5_S1A_jjP12ihipStream_tbEUljE_EEESV_SW_SX_S14_S18_S1A_T6_T7_T9_mT8_S1C_bDpT10_ENKUlT_T0_E_clISt17integral_constantIbLb1EES1P_EEDaS1K_S1L_EUlS1K_E_NS1_11comp_targetILNS1_3genE10ELNS1_11target_archE1200ELNS1_3gpuE4ELNS1_3repE0EEENS1_30default_config_static_selectorELNS0_4arch9wavefront6targetE0EEEvSY_.numbered_sgpr, 0
	.set _ZN7rocprim17ROCPRIM_400000_NS6detail17trampoline_kernelINS0_13select_configILj256ELj13ELNS0_17block_load_methodE3ELS4_3ELS4_3ELNS0_20block_scan_algorithmE0ELj4294967295EEENS1_25partition_config_selectorILNS1_17partition_subalgoE3EjNS0_10empty_typeEbEEZZNS1_14partition_implILS8_3ELb0ES6_jNS0_17counting_iteratorIjlEEPS9_SE_NS0_5tupleIJPjSE_EEENSF_IJSE_SE_EEES9_SG_JZNS1_25segmented_radix_sort_implINS0_14default_configELb1EPKfPfPKlPlN2at6native12_GLOBAL__N_18offset_tEEE10hipError_tPvRmT1_PNSt15iterator_traitsISY_E10value_typeET2_T3_PNSZ_IS14_E10value_typeET4_jRbjT5_S1A_jjP12ihipStream_tbEUljE_EEESV_SW_SX_S14_S18_S1A_T6_T7_T9_mT8_S1C_bDpT10_ENKUlT_T0_E_clISt17integral_constantIbLb1EES1P_EEDaS1K_S1L_EUlS1K_E_NS1_11comp_targetILNS1_3genE10ELNS1_11target_archE1200ELNS1_3gpuE4ELNS1_3repE0EEENS1_30default_config_static_selectorELNS0_4arch9wavefront6targetE0EEEvSY_.num_named_barrier, 0
	.set _ZN7rocprim17ROCPRIM_400000_NS6detail17trampoline_kernelINS0_13select_configILj256ELj13ELNS0_17block_load_methodE3ELS4_3ELS4_3ELNS0_20block_scan_algorithmE0ELj4294967295EEENS1_25partition_config_selectorILNS1_17partition_subalgoE3EjNS0_10empty_typeEbEEZZNS1_14partition_implILS8_3ELb0ES6_jNS0_17counting_iteratorIjlEEPS9_SE_NS0_5tupleIJPjSE_EEENSF_IJSE_SE_EEES9_SG_JZNS1_25segmented_radix_sort_implINS0_14default_configELb1EPKfPfPKlPlN2at6native12_GLOBAL__N_18offset_tEEE10hipError_tPvRmT1_PNSt15iterator_traitsISY_E10value_typeET2_T3_PNSZ_IS14_E10value_typeET4_jRbjT5_S1A_jjP12ihipStream_tbEUljE_EEESV_SW_SX_S14_S18_S1A_T6_T7_T9_mT8_S1C_bDpT10_ENKUlT_T0_E_clISt17integral_constantIbLb1EES1P_EEDaS1K_S1L_EUlS1K_E_NS1_11comp_targetILNS1_3genE10ELNS1_11target_archE1200ELNS1_3gpuE4ELNS1_3repE0EEENS1_30default_config_static_selectorELNS0_4arch9wavefront6targetE0EEEvSY_.private_seg_size, 0
	.set _ZN7rocprim17ROCPRIM_400000_NS6detail17trampoline_kernelINS0_13select_configILj256ELj13ELNS0_17block_load_methodE3ELS4_3ELS4_3ELNS0_20block_scan_algorithmE0ELj4294967295EEENS1_25partition_config_selectorILNS1_17partition_subalgoE3EjNS0_10empty_typeEbEEZZNS1_14partition_implILS8_3ELb0ES6_jNS0_17counting_iteratorIjlEEPS9_SE_NS0_5tupleIJPjSE_EEENSF_IJSE_SE_EEES9_SG_JZNS1_25segmented_radix_sort_implINS0_14default_configELb1EPKfPfPKlPlN2at6native12_GLOBAL__N_18offset_tEEE10hipError_tPvRmT1_PNSt15iterator_traitsISY_E10value_typeET2_T3_PNSZ_IS14_E10value_typeET4_jRbjT5_S1A_jjP12ihipStream_tbEUljE_EEESV_SW_SX_S14_S18_S1A_T6_T7_T9_mT8_S1C_bDpT10_ENKUlT_T0_E_clISt17integral_constantIbLb1EES1P_EEDaS1K_S1L_EUlS1K_E_NS1_11comp_targetILNS1_3genE10ELNS1_11target_archE1200ELNS1_3gpuE4ELNS1_3repE0EEENS1_30default_config_static_selectorELNS0_4arch9wavefront6targetE0EEEvSY_.uses_vcc, 0
	.set _ZN7rocprim17ROCPRIM_400000_NS6detail17trampoline_kernelINS0_13select_configILj256ELj13ELNS0_17block_load_methodE3ELS4_3ELS4_3ELNS0_20block_scan_algorithmE0ELj4294967295EEENS1_25partition_config_selectorILNS1_17partition_subalgoE3EjNS0_10empty_typeEbEEZZNS1_14partition_implILS8_3ELb0ES6_jNS0_17counting_iteratorIjlEEPS9_SE_NS0_5tupleIJPjSE_EEENSF_IJSE_SE_EEES9_SG_JZNS1_25segmented_radix_sort_implINS0_14default_configELb1EPKfPfPKlPlN2at6native12_GLOBAL__N_18offset_tEEE10hipError_tPvRmT1_PNSt15iterator_traitsISY_E10value_typeET2_T3_PNSZ_IS14_E10value_typeET4_jRbjT5_S1A_jjP12ihipStream_tbEUljE_EEESV_SW_SX_S14_S18_S1A_T6_T7_T9_mT8_S1C_bDpT10_ENKUlT_T0_E_clISt17integral_constantIbLb1EES1P_EEDaS1K_S1L_EUlS1K_E_NS1_11comp_targetILNS1_3genE10ELNS1_11target_archE1200ELNS1_3gpuE4ELNS1_3repE0EEENS1_30default_config_static_selectorELNS0_4arch9wavefront6targetE0EEEvSY_.uses_flat_scratch, 0
	.set _ZN7rocprim17ROCPRIM_400000_NS6detail17trampoline_kernelINS0_13select_configILj256ELj13ELNS0_17block_load_methodE3ELS4_3ELS4_3ELNS0_20block_scan_algorithmE0ELj4294967295EEENS1_25partition_config_selectorILNS1_17partition_subalgoE3EjNS0_10empty_typeEbEEZZNS1_14partition_implILS8_3ELb0ES6_jNS0_17counting_iteratorIjlEEPS9_SE_NS0_5tupleIJPjSE_EEENSF_IJSE_SE_EEES9_SG_JZNS1_25segmented_radix_sort_implINS0_14default_configELb1EPKfPfPKlPlN2at6native12_GLOBAL__N_18offset_tEEE10hipError_tPvRmT1_PNSt15iterator_traitsISY_E10value_typeET2_T3_PNSZ_IS14_E10value_typeET4_jRbjT5_S1A_jjP12ihipStream_tbEUljE_EEESV_SW_SX_S14_S18_S1A_T6_T7_T9_mT8_S1C_bDpT10_ENKUlT_T0_E_clISt17integral_constantIbLb1EES1P_EEDaS1K_S1L_EUlS1K_E_NS1_11comp_targetILNS1_3genE10ELNS1_11target_archE1200ELNS1_3gpuE4ELNS1_3repE0EEENS1_30default_config_static_selectorELNS0_4arch9wavefront6targetE0EEEvSY_.has_dyn_sized_stack, 0
	.set _ZN7rocprim17ROCPRIM_400000_NS6detail17trampoline_kernelINS0_13select_configILj256ELj13ELNS0_17block_load_methodE3ELS4_3ELS4_3ELNS0_20block_scan_algorithmE0ELj4294967295EEENS1_25partition_config_selectorILNS1_17partition_subalgoE3EjNS0_10empty_typeEbEEZZNS1_14partition_implILS8_3ELb0ES6_jNS0_17counting_iteratorIjlEEPS9_SE_NS0_5tupleIJPjSE_EEENSF_IJSE_SE_EEES9_SG_JZNS1_25segmented_radix_sort_implINS0_14default_configELb1EPKfPfPKlPlN2at6native12_GLOBAL__N_18offset_tEEE10hipError_tPvRmT1_PNSt15iterator_traitsISY_E10value_typeET2_T3_PNSZ_IS14_E10value_typeET4_jRbjT5_S1A_jjP12ihipStream_tbEUljE_EEESV_SW_SX_S14_S18_S1A_T6_T7_T9_mT8_S1C_bDpT10_ENKUlT_T0_E_clISt17integral_constantIbLb1EES1P_EEDaS1K_S1L_EUlS1K_E_NS1_11comp_targetILNS1_3genE10ELNS1_11target_archE1200ELNS1_3gpuE4ELNS1_3repE0EEENS1_30default_config_static_selectorELNS0_4arch9wavefront6targetE0EEEvSY_.has_recursion, 0
	.set _ZN7rocprim17ROCPRIM_400000_NS6detail17trampoline_kernelINS0_13select_configILj256ELj13ELNS0_17block_load_methodE3ELS4_3ELS4_3ELNS0_20block_scan_algorithmE0ELj4294967295EEENS1_25partition_config_selectorILNS1_17partition_subalgoE3EjNS0_10empty_typeEbEEZZNS1_14partition_implILS8_3ELb0ES6_jNS0_17counting_iteratorIjlEEPS9_SE_NS0_5tupleIJPjSE_EEENSF_IJSE_SE_EEES9_SG_JZNS1_25segmented_radix_sort_implINS0_14default_configELb1EPKfPfPKlPlN2at6native12_GLOBAL__N_18offset_tEEE10hipError_tPvRmT1_PNSt15iterator_traitsISY_E10value_typeET2_T3_PNSZ_IS14_E10value_typeET4_jRbjT5_S1A_jjP12ihipStream_tbEUljE_EEESV_SW_SX_S14_S18_S1A_T6_T7_T9_mT8_S1C_bDpT10_ENKUlT_T0_E_clISt17integral_constantIbLb1EES1P_EEDaS1K_S1L_EUlS1K_E_NS1_11comp_targetILNS1_3genE10ELNS1_11target_archE1200ELNS1_3gpuE4ELNS1_3repE0EEENS1_30default_config_static_selectorELNS0_4arch9wavefront6targetE0EEEvSY_.has_indirect_call, 0
	.section	.AMDGPU.csdata,"",@progbits
; Kernel info:
; codeLenInByte = 4
; TotalNumSgprs: 0
; NumVgprs: 0
; ScratchSize: 0
; MemoryBound: 0
; FloatMode: 240
; IeeeMode: 1
; LDSByteSize: 0 bytes/workgroup (compile time only)
; SGPRBlocks: 0
; VGPRBlocks: 0
; NumSGPRsForWavesPerEU: 1
; NumVGPRsForWavesPerEU: 1
; Occupancy: 16
; WaveLimiterHint : 0
; COMPUTE_PGM_RSRC2:SCRATCH_EN: 0
; COMPUTE_PGM_RSRC2:USER_SGPR: 2
; COMPUTE_PGM_RSRC2:TRAP_HANDLER: 0
; COMPUTE_PGM_RSRC2:TGID_X_EN: 1
; COMPUTE_PGM_RSRC2:TGID_Y_EN: 0
; COMPUTE_PGM_RSRC2:TGID_Z_EN: 0
; COMPUTE_PGM_RSRC2:TIDIG_COMP_CNT: 0
	.section	.text._ZN7rocprim17ROCPRIM_400000_NS6detail17trampoline_kernelINS0_13select_configILj256ELj13ELNS0_17block_load_methodE3ELS4_3ELS4_3ELNS0_20block_scan_algorithmE0ELj4294967295EEENS1_25partition_config_selectorILNS1_17partition_subalgoE3EjNS0_10empty_typeEbEEZZNS1_14partition_implILS8_3ELb0ES6_jNS0_17counting_iteratorIjlEEPS9_SE_NS0_5tupleIJPjSE_EEENSF_IJSE_SE_EEES9_SG_JZNS1_25segmented_radix_sort_implINS0_14default_configELb1EPKfPfPKlPlN2at6native12_GLOBAL__N_18offset_tEEE10hipError_tPvRmT1_PNSt15iterator_traitsISY_E10value_typeET2_T3_PNSZ_IS14_E10value_typeET4_jRbjT5_S1A_jjP12ihipStream_tbEUljE_EEESV_SW_SX_S14_S18_S1A_T6_T7_T9_mT8_S1C_bDpT10_ENKUlT_T0_E_clISt17integral_constantIbLb1EES1P_EEDaS1K_S1L_EUlS1K_E_NS1_11comp_targetILNS1_3genE9ELNS1_11target_archE1100ELNS1_3gpuE3ELNS1_3repE0EEENS1_30default_config_static_selectorELNS0_4arch9wavefront6targetE0EEEvSY_,"axG",@progbits,_ZN7rocprim17ROCPRIM_400000_NS6detail17trampoline_kernelINS0_13select_configILj256ELj13ELNS0_17block_load_methodE3ELS4_3ELS4_3ELNS0_20block_scan_algorithmE0ELj4294967295EEENS1_25partition_config_selectorILNS1_17partition_subalgoE3EjNS0_10empty_typeEbEEZZNS1_14partition_implILS8_3ELb0ES6_jNS0_17counting_iteratorIjlEEPS9_SE_NS0_5tupleIJPjSE_EEENSF_IJSE_SE_EEES9_SG_JZNS1_25segmented_radix_sort_implINS0_14default_configELb1EPKfPfPKlPlN2at6native12_GLOBAL__N_18offset_tEEE10hipError_tPvRmT1_PNSt15iterator_traitsISY_E10value_typeET2_T3_PNSZ_IS14_E10value_typeET4_jRbjT5_S1A_jjP12ihipStream_tbEUljE_EEESV_SW_SX_S14_S18_S1A_T6_T7_T9_mT8_S1C_bDpT10_ENKUlT_T0_E_clISt17integral_constantIbLb1EES1P_EEDaS1K_S1L_EUlS1K_E_NS1_11comp_targetILNS1_3genE9ELNS1_11target_archE1100ELNS1_3gpuE3ELNS1_3repE0EEENS1_30default_config_static_selectorELNS0_4arch9wavefront6targetE0EEEvSY_,comdat
	.globl	_ZN7rocprim17ROCPRIM_400000_NS6detail17trampoline_kernelINS0_13select_configILj256ELj13ELNS0_17block_load_methodE3ELS4_3ELS4_3ELNS0_20block_scan_algorithmE0ELj4294967295EEENS1_25partition_config_selectorILNS1_17partition_subalgoE3EjNS0_10empty_typeEbEEZZNS1_14partition_implILS8_3ELb0ES6_jNS0_17counting_iteratorIjlEEPS9_SE_NS0_5tupleIJPjSE_EEENSF_IJSE_SE_EEES9_SG_JZNS1_25segmented_radix_sort_implINS0_14default_configELb1EPKfPfPKlPlN2at6native12_GLOBAL__N_18offset_tEEE10hipError_tPvRmT1_PNSt15iterator_traitsISY_E10value_typeET2_T3_PNSZ_IS14_E10value_typeET4_jRbjT5_S1A_jjP12ihipStream_tbEUljE_EEESV_SW_SX_S14_S18_S1A_T6_T7_T9_mT8_S1C_bDpT10_ENKUlT_T0_E_clISt17integral_constantIbLb1EES1P_EEDaS1K_S1L_EUlS1K_E_NS1_11comp_targetILNS1_3genE9ELNS1_11target_archE1100ELNS1_3gpuE3ELNS1_3repE0EEENS1_30default_config_static_selectorELNS0_4arch9wavefront6targetE0EEEvSY_ ; -- Begin function _ZN7rocprim17ROCPRIM_400000_NS6detail17trampoline_kernelINS0_13select_configILj256ELj13ELNS0_17block_load_methodE3ELS4_3ELS4_3ELNS0_20block_scan_algorithmE0ELj4294967295EEENS1_25partition_config_selectorILNS1_17partition_subalgoE3EjNS0_10empty_typeEbEEZZNS1_14partition_implILS8_3ELb0ES6_jNS0_17counting_iteratorIjlEEPS9_SE_NS0_5tupleIJPjSE_EEENSF_IJSE_SE_EEES9_SG_JZNS1_25segmented_radix_sort_implINS0_14default_configELb1EPKfPfPKlPlN2at6native12_GLOBAL__N_18offset_tEEE10hipError_tPvRmT1_PNSt15iterator_traitsISY_E10value_typeET2_T3_PNSZ_IS14_E10value_typeET4_jRbjT5_S1A_jjP12ihipStream_tbEUljE_EEESV_SW_SX_S14_S18_S1A_T6_T7_T9_mT8_S1C_bDpT10_ENKUlT_T0_E_clISt17integral_constantIbLb1EES1P_EEDaS1K_S1L_EUlS1K_E_NS1_11comp_targetILNS1_3genE9ELNS1_11target_archE1100ELNS1_3gpuE3ELNS1_3repE0EEENS1_30default_config_static_selectorELNS0_4arch9wavefront6targetE0EEEvSY_
	.p2align	8
	.type	_ZN7rocprim17ROCPRIM_400000_NS6detail17trampoline_kernelINS0_13select_configILj256ELj13ELNS0_17block_load_methodE3ELS4_3ELS4_3ELNS0_20block_scan_algorithmE0ELj4294967295EEENS1_25partition_config_selectorILNS1_17partition_subalgoE3EjNS0_10empty_typeEbEEZZNS1_14partition_implILS8_3ELb0ES6_jNS0_17counting_iteratorIjlEEPS9_SE_NS0_5tupleIJPjSE_EEENSF_IJSE_SE_EEES9_SG_JZNS1_25segmented_radix_sort_implINS0_14default_configELb1EPKfPfPKlPlN2at6native12_GLOBAL__N_18offset_tEEE10hipError_tPvRmT1_PNSt15iterator_traitsISY_E10value_typeET2_T3_PNSZ_IS14_E10value_typeET4_jRbjT5_S1A_jjP12ihipStream_tbEUljE_EEESV_SW_SX_S14_S18_S1A_T6_T7_T9_mT8_S1C_bDpT10_ENKUlT_T0_E_clISt17integral_constantIbLb1EES1P_EEDaS1K_S1L_EUlS1K_E_NS1_11comp_targetILNS1_3genE9ELNS1_11target_archE1100ELNS1_3gpuE3ELNS1_3repE0EEENS1_30default_config_static_selectorELNS0_4arch9wavefront6targetE0EEEvSY_,@function
_ZN7rocprim17ROCPRIM_400000_NS6detail17trampoline_kernelINS0_13select_configILj256ELj13ELNS0_17block_load_methodE3ELS4_3ELS4_3ELNS0_20block_scan_algorithmE0ELj4294967295EEENS1_25partition_config_selectorILNS1_17partition_subalgoE3EjNS0_10empty_typeEbEEZZNS1_14partition_implILS8_3ELb0ES6_jNS0_17counting_iteratorIjlEEPS9_SE_NS0_5tupleIJPjSE_EEENSF_IJSE_SE_EEES9_SG_JZNS1_25segmented_radix_sort_implINS0_14default_configELb1EPKfPfPKlPlN2at6native12_GLOBAL__N_18offset_tEEE10hipError_tPvRmT1_PNSt15iterator_traitsISY_E10value_typeET2_T3_PNSZ_IS14_E10value_typeET4_jRbjT5_S1A_jjP12ihipStream_tbEUljE_EEESV_SW_SX_S14_S18_S1A_T6_T7_T9_mT8_S1C_bDpT10_ENKUlT_T0_E_clISt17integral_constantIbLb1EES1P_EEDaS1K_S1L_EUlS1K_E_NS1_11comp_targetILNS1_3genE9ELNS1_11target_archE1100ELNS1_3gpuE3ELNS1_3repE0EEENS1_30default_config_static_selectorELNS0_4arch9wavefront6targetE0EEEvSY_: ; @_ZN7rocprim17ROCPRIM_400000_NS6detail17trampoline_kernelINS0_13select_configILj256ELj13ELNS0_17block_load_methodE3ELS4_3ELS4_3ELNS0_20block_scan_algorithmE0ELj4294967295EEENS1_25partition_config_selectorILNS1_17partition_subalgoE3EjNS0_10empty_typeEbEEZZNS1_14partition_implILS8_3ELb0ES6_jNS0_17counting_iteratorIjlEEPS9_SE_NS0_5tupleIJPjSE_EEENSF_IJSE_SE_EEES9_SG_JZNS1_25segmented_radix_sort_implINS0_14default_configELb1EPKfPfPKlPlN2at6native12_GLOBAL__N_18offset_tEEE10hipError_tPvRmT1_PNSt15iterator_traitsISY_E10value_typeET2_T3_PNSZ_IS14_E10value_typeET4_jRbjT5_S1A_jjP12ihipStream_tbEUljE_EEESV_SW_SX_S14_S18_S1A_T6_T7_T9_mT8_S1C_bDpT10_ENKUlT_T0_E_clISt17integral_constantIbLb1EES1P_EEDaS1K_S1L_EUlS1K_E_NS1_11comp_targetILNS1_3genE9ELNS1_11target_archE1100ELNS1_3gpuE3ELNS1_3repE0EEENS1_30default_config_static_selectorELNS0_4arch9wavefront6targetE0EEEvSY_
; %bb.0:
	.section	.rodata,"a",@progbits
	.p2align	6, 0x0
	.amdhsa_kernel _ZN7rocprim17ROCPRIM_400000_NS6detail17trampoline_kernelINS0_13select_configILj256ELj13ELNS0_17block_load_methodE3ELS4_3ELS4_3ELNS0_20block_scan_algorithmE0ELj4294967295EEENS1_25partition_config_selectorILNS1_17partition_subalgoE3EjNS0_10empty_typeEbEEZZNS1_14partition_implILS8_3ELb0ES6_jNS0_17counting_iteratorIjlEEPS9_SE_NS0_5tupleIJPjSE_EEENSF_IJSE_SE_EEES9_SG_JZNS1_25segmented_radix_sort_implINS0_14default_configELb1EPKfPfPKlPlN2at6native12_GLOBAL__N_18offset_tEEE10hipError_tPvRmT1_PNSt15iterator_traitsISY_E10value_typeET2_T3_PNSZ_IS14_E10value_typeET4_jRbjT5_S1A_jjP12ihipStream_tbEUljE_EEESV_SW_SX_S14_S18_S1A_T6_T7_T9_mT8_S1C_bDpT10_ENKUlT_T0_E_clISt17integral_constantIbLb1EES1P_EEDaS1K_S1L_EUlS1K_E_NS1_11comp_targetILNS1_3genE9ELNS1_11target_archE1100ELNS1_3gpuE3ELNS1_3repE0EEENS1_30default_config_static_selectorELNS0_4arch9wavefront6targetE0EEEvSY_
		.amdhsa_group_segment_fixed_size 0
		.amdhsa_private_segment_fixed_size 0
		.amdhsa_kernarg_size 152
		.amdhsa_user_sgpr_count 2
		.amdhsa_user_sgpr_dispatch_ptr 0
		.amdhsa_user_sgpr_queue_ptr 0
		.amdhsa_user_sgpr_kernarg_segment_ptr 1
		.amdhsa_user_sgpr_dispatch_id 0
		.amdhsa_user_sgpr_private_segment_size 0
		.amdhsa_wavefront_size32 1
		.amdhsa_uses_dynamic_stack 0
		.amdhsa_enable_private_segment 0
		.amdhsa_system_sgpr_workgroup_id_x 1
		.amdhsa_system_sgpr_workgroup_id_y 0
		.amdhsa_system_sgpr_workgroup_id_z 0
		.amdhsa_system_sgpr_workgroup_info 0
		.amdhsa_system_vgpr_workitem_id 0
		.amdhsa_next_free_vgpr 1
		.amdhsa_next_free_sgpr 1
		.amdhsa_reserve_vcc 0
		.amdhsa_float_round_mode_32 0
		.amdhsa_float_round_mode_16_64 0
		.amdhsa_float_denorm_mode_32 3
		.amdhsa_float_denorm_mode_16_64 3
		.amdhsa_fp16_overflow 0
		.amdhsa_workgroup_processor_mode 1
		.amdhsa_memory_ordered 1
		.amdhsa_forward_progress 1
		.amdhsa_inst_pref_size 0
		.amdhsa_round_robin_scheduling 0
		.amdhsa_exception_fp_ieee_invalid_op 0
		.amdhsa_exception_fp_denorm_src 0
		.amdhsa_exception_fp_ieee_div_zero 0
		.amdhsa_exception_fp_ieee_overflow 0
		.amdhsa_exception_fp_ieee_underflow 0
		.amdhsa_exception_fp_ieee_inexact 0
		.amdhsa_exception_int_div_zero 0
	.end_amdhsa_kernel
	.section	.text._ZN7rocprim17ROCPRIM_400000_NS6detail17trampoline_kernelINS0_13select_configILj256ELj13ELNS0_17block_load_methodE3ELS4_3ELS4_3ELNS0_20block_scan_algorithmE0ELj4294967295EEENS1_25partition_config_selectorILNS1_17partition_subalgoE3EjNS0_10empty_typeEbEEZZNS1_14partition_implILS8_3ELb0ES6_jNS0_17counting_iteratorIjlEEPS9_SE_NS0_5tupleIJPjSE_EEENSF_IJSE_SE_EEES9_SG_JZNS1_25segmented_radix_sort_implINS0_14default_configELb1EPKfPfPKlPlN2at6native12_GLOBAL__N_18offset_tEEE10hipError_tPvRmT1_PNSt15iterator_traitsISY_E10value_typeET2_T3_PNSZ_IS14_E10value_typeET4_jRbjT5_S1A_jjP12ihipStream_tbEUljE_EEESV_SW_SX_S14_S18_S1A_T6_T7_T9_mT8_S1C_bDpT10_ENKUlT_T0_E_clISt17integral_constantIbLb1EES1P_EEDaS1K_S1L_EUlS1K_E_NS1_11comp_targetILNS1_3genE9ELNS1_11target_archE1100ELNS1_3gpuE3ELNS1_3repE0EEENS1_30default_config_static_selectorELNS0_4arch9wavefront6targetE0EEEvSY_,"axG",@progbits,_ZN7rocprim17ROCPRIM_400000_NS6detail17trampoline_kernelINS0_13select_configILj256ELj13ELNS0_17block_load_methodE3ELS4_3ELS4_3ELNS0_20block_scan_algorithmE0ELj4294967295EEENS1_25partition_config_selectorILNS1_17partition_subalgoE3EjNS0_10empty_typeEbEEZZNS1_14partition_implILS8_3ELb0ES6_jNS0_17counting_iteratorIjlEEPS9_SE_NS0_5tupleIJPjSE_EEENSF_IJSE_SE_EEES9_SG_JZNS1_25segmented_radix_sort_implINS0_14default_configELb1EPKfPfPKlPlN2at6native12_GLOBAL__N_18offset_tEEE10hipError_tPvRmT1_PNSt15iterator_traitsISY_E10value_typeET2_T3_PNSZ_IS14_E10value_typeET4_jRbjT5_S1A_jjP12ihipStream_tbEUljE_EEESV_SW_SX_S14_S18_S1A_T6_T7_T9_mT8_S1C_bDpT10_ENKUlT_T0_E_clISt17integral_constantIbLb1EES1P_EEDaS1K_S1L_EUlS1K_E_NS1_11comp_targetILNS1_3genE9ELNS1_11target_archE1100ELNS1_3gpuE3ELNS1_3repE0EEENS1_30default_config_static_selectorELNS0_4arch9wavefront6targetE0EEEvSY_,comdat
.Lfunc_end1307:
	.size	_ZN7rocprim17ROCPRIM_400000_NS6detail17trampoline_kernelINS0_13select_configILj256ELj13ELNS0_17block_load_methodE3ELS4_3ELS4_3ELNS0_20block_scan_algorithmE0ELj4294967295EEENS1_25partition_config_selectorILNS1_17partition_subalgoE3EjNS0_10empty_typeEbEEZZNS1_14partition_implILS8_3ELb0ES6_jNS0_17counting_iteratorIjlEEPS9_SE_NS0_5tupleIJPjSE_EEENSF_IJSE_SE_EEES9_SG_JZNS1_25segmented_radix_sort_implINS0_14default_configELb1EPKfPfPKlPlN2at6native12_GLOBAL__N_18offset_tEEE10hipError_tPvRmT1_PNSt15iterator_traitsISY_E10value_typeET2_T3_PNSZ_IS14_E10value_typeET4_jRbjT5_S1A_jjP12ihipStream_tbEUljE_EEESV_SW_SX_S14_S18_S1A_T6_T7_T9_mT8_S1C_bDpT10_ENKUlT_T0_E_clISt17integral_constantIbLb1EES1P_EEDaS1K_S1L_EUlS1K_E_NS1_11comp_targetILNS1_3genE9ELNS1_11target_archE1100ELNS1_3gpuE3ELNS1_3repE0EEENS1_30default_config_static_selectorELNS0_4arch9wavefront6targetE0EEEvSY_, .Lfunc_end1307-_ZN7rocprim17ROCPRIM_400000_NS6detail17trampoline_kernelINS0_13select_configILj256ELj13ELNS0_17block_load_methodE3ELS4_3ELS4_3ELNS0_20block_scan_algorithmE0ELj4294967295EEENS1_25partition_config_selectorILNS1_17partition_subalgoE3EjNS0_10empty_typeEbEEZZNS1_14partition_implILS8_3ELb0ES6_jNS0_17counting_iteratorIjlEEPS9_SE_NS0_5tupleIJPjSE_EEENSF_IJSE_SE_EEES9_SG_JZNS1_25segmented_radix_sort_implINS0_14default_configELb1EPKfPfPKlPlN2at6native12_GLOBAL__N_18offset_tEEE10hipError_tPvRmT1_PNSt15iterator_traitsISY_E10value_typeET2_T3_PNSZ_IS14_E10value_typeET4_jRbjT5_S1A_jjP12ihipStream_tbEUljE_EEESV_SW_SX_S14_S18_S1A_T6_T7_T9_mT8_S1C_bDpT10_ENKUlT_T0_E_clISt17integral_constantIbLb1EES1P_EEDaS1K_S1L_EUlS1K_E_NS1_11comp_targetILNS1_3genE9ELNS1_11target_archE1100ELNS1_3gpuE3ELNS1_3repE0EEENS1_30default_config_static_selectorELNS0_4arch9wavefront6targetE0EEEvSY_
                                        ; -- End function
	.set _ZN7rocprim17ROCPRIM_400000_NS6detail17trampoline_kernelINS0_13select_configILj256ELj13ELNS0_17block_load_methodE3ELS4_3ELS4_3ELNS0_20block_scan_algorithmE0ELj4294967295EEENS1_25partition_config_selectorILNS1_17partition_subalgoE3EjNS0_10empty_typeEbEEZZNS1_14partition_implILS8_3ELb0ES6_jNS0_17counting_iteratorIjlEEPS9_SE_NS0_5tupleIJPjSE_EEENSF_IJSE_SE_EEES9_SG_JZNS1_25segmented_radix_sort_implINS0_14default_configELb1EPKfPfPKlPlN2at6native12_GLOBAL__N_18offset_tEEE10hipError_tPvRmT1_PNSt15iterator_traitsISY_E10value_typeET2_T3_PNSZ_IS14_E10value_typeET4_jRbjT5_S1A_jjP12ihipStream_tbEUljE_EEESV_SW_SX_S14_S18_S1A_T6_T7_T9_mT8_S1C_bDpT10_ENKUlT_T0_E_clISt17integral_constantIbLb1EES1P_EEDaS1K_S1L_EUlS1K_E_NS1_11comp_targetILNS1_3genE9ELNS1_11target_archE1100ELNS1_3gpuE3ELNS1_3repE0EEENS1_30default_config_static_selectorELNS0_4arch9wavefront6targetE0EEEvSY_.num_vgpr, 0
	.set _ZN7rocprim17ROCPRIM_400000_NS6detail17trampoline_kernelINS0_13select_configILj256ELj13ELNS0_17block_load_methodE3ELS4_3ELS4_3ELNS0_20block_scan_algorithmE0ELj4294967295EEENS1_25partition_config_selectorILNS1_17partition_subalgoE3EjNS0_10empty_typeEbEEZZNS1_14partition_implILS8_3ELb0ES6_jNS0_17counting_iteratorIjlEEPS9_SE_NS0_5tupleIJPjSE_EEENSF_IJSE_SE_EEES9_SG_JZNS1_25segmented_radix_sort_implINS0_14default_configELb1EPKfPfPKlPlN2at6native12_GLOBAL__N_18offset_tEEE10hipError_tPvRmT1_PNSt15iterator_traitsISY_E10value_typeET2_T3_PNSZ_IS14_E10value_typeET4_jRbjT5_S1A_jjP12ihipStream_tbEUljE_EEESV_SW_SX_S14_S18_S1A_T6_T7_T9_mT8_S1C_bDpT10_ENKUlT_T0_E_clISt17integral_constantIbLb1EES1P_EEDaS1K_S1L_EUlS1K_E_NS1_11comp_targetILNS1_3genE9ELNS1_11target_archE1100ELNS1_3gpuE3ELNS1_3repE0EEENS1_30default_config_static_selectorELNS0_4arch9wavefront6targetE0EEEvSY_.num_agpr, 0
	.set _ZN7rocprim17ROCPRIM_400000_NS6detail17trampoline_kernelINS0_13select_configILj256ELj13ELNS0_17block_load_methodE3ELS4_3ELS4_3ELNS0_20block_scan_algorithmE0ELj4294967295EEENS1_25partition_config_selectorILNS1_17partition_subalgoE3EjNS0_10empty_typeEbEEZZNS1_14partition_implILS8_3ELb0ES6_jNS0_17counting_iteratorIjlEEPS9_SE_NS0_5tupleIJPjSE_EEENSF_IJSE_SE_EEES9_SG_JZNS1_25segmented_radix_sort_implINS0_14default_configELb1EPKfPfPKlPlN2at6native12_GLOBAL__N_18offset_tEEE10hipError_tPvRmT1_PNSt15iterator_traitsISY_E10value_typeET2_T3_PNSZ_IS14_E10value_typeET4_jRbjT5_S1A_jjP12ihipStream_tbEUljE_EEESV_SW_SX_S14_S18_S1A_T6_T7_T9_mT8_S1C_bDpT10_ENKUlT_T0_E_clISt17integral_constantIbLb1EES1P_EEDaS1K_S1L_EUlS1K_E_NS1_11comp_targetILNS1_3genE9ELNS1_11target_archE1100ELNS1_3gpuE3ELNS1_3repE0EEENS1_30default_config_static_selectorELNS0_4arch9wavefront6targetE0EEEvSY_.numbered_sgpr, 0
	.set _ZN7rocprim17ROCPRIM_400000_NS6detail17trampoline_kernelINS0_13select_configILj256ELj13ELNS0_17block_load_methodE3ELS4_3ELS4_3ELNS0_20block_scan_algorithmE0ELj4294967295EEENS1_25partition_config_selectorILNS1_17partition_subalgoE3EjNS0_10empty_typeEbEEZZNS1_14partition_implILS8_3ELb0ES6_jNS0_17counting_iteratorIjlEEPS9_SE_NS0_5tupleIJPjSE_EEENSF_IJSE_SE_EEES9_SG_JZNS1_25segmented_radix_sort_implINS0_14default_configELb1EPKfPfPKlPlN2at6native12_GLOBAL__N_18offset_tEEE10hipError_tPvRmT1_PNSt15iterator_traitsISY_E10value_typeET2_T3_PNSZ_IS14_E10value_typeET4_jRbjT5_S1A_jjP12ihipStream_tbEUljE_EEESV_SW_SX_S14_S18_S1A_T6_T7_T9_mT8_S1C_bDpT10_ENKUlT_T0_E_clISt17integral_constantIbLb1EES1P_EEDaS1K_S1L_EUlS1K_E_NS1_11comp_targetILNS1_3genE9ELNS1_11target_archE1100ELNS1_3gpuE3ELNS1_3repE0EEENS1_30default_config_static_selectorELNS0_4arch9wavefront6targetE0EEEvSY_.num_named_barrier, 0
	.set _ZN7rocprim17ROCPRIM_400000_NS6detail17trampoline_kernelINS0_13select_configILj256ELj13ELNS0_17block_load_methodE3ELS4_3ELS4_3ELNS0_20block_scan_algorithmE0ELj4294967295EEENS1_25partition_config_selectorILNS1_17partition_subalgoE3EjNS0_10empty_typeEbEEZZNS1_14partition_implILS8_3ELb0ES6_jNS0_17counting_iteratorIjlEEPS9_SE_NS0_5tupleIJPjSE_EEENSF_IJSE_SE_EEES9_SG_JZNS1_25segmented_radix_sort_implINS0_14default_configELb1EPKfPfPKlPlN2at6native12_GLOBAL__N_18offset_tEEE10hipError_tPvRmT1_PNSt15iterator_traitsISY_E10value_typeET2_T3_PNSZ_IS14_E10value_typeET4_jRbjT5_S1A_jjP12ihipStream_tbEUljE_EEESV_SW_SX_S14_S18_S1A_T6_T7_T9_mT8_S1C_bDpT10_ENKUlT_T0_E_clISt17integral_constantIbLb1EES1P_EEDaS1K_S1L_EUlS1K_E_NS1_11comp_targetILNS1_3genE9ELNS1_11target_archE1100ELNS1_3gpuE3ELNS1_3repE0EEENS1_30default_config_static_selectorELNS0_4arch9wavefront6targetE0EEEvSY_.private_seg_size, 0
	.set _ZN7rocprim17ROCPRIM_400000_NS6detail17trampoline_kernelINS0_13select_configILj256ELj13ELNS0_17block_load_methodE3ELS4_3ELS4_3ELNS0_20block_scan_algorithmE0ELj4294967295EEENS1_25partition_config_selectorILNS1_17partition_subalgoE3EjNS0_10empty_typeEbEEZZNS1_14partition_implILS8_3ELb0ES6_jNS0_17counting_iteratorIjlEEPS9_SE_NS0_5tupleIJPjSE_EEENSF_IJSE_SE_EEES9_SG_JZNS1_25segmented_radix_sort_implINS0_14default_configELb1EPKfPfPKlPlN2at6native12_GLOBAL__N_18offset_tEEE10hipError_tPvRmT1_PNSt15iterator_traitsISY_E10value_typeET2_T3_PNSZ_IS14_E10value_typeET4_jRbjT5_S1A_jjP12ihipStream_tbEUljE_EEESV_SW_SX_S14_S18_S1A_T6_T7_T9_mT8_S1C_bDpT10_ENKUlT_T0_E_clISt17integral_constantIbLb1EES1P_EEDaS1K_S1L_EUlS1K_E_NS1_11comp_targetILNS1_3genE9ELNS1_11target_archE1100ELNS1_3gpuE3ELNS1_3repE0EEENS1_30default_config_static_selectorELNS0_4arch9wavefront6targetE0EEEvSY_.uses_vcc, 0
	.set _ZN7rocprim17ROCPRIM_400000_NS6detail17trampoline_kernelINS0_13select_configILj256ELj13ELNS0_17block_load_methodE3ELS4_3ELS4_3ELNS0_20block_scan_algorithmE0ELj4294967295EEENS1_25partition_config_selectorILNS1_17partition_subalgoE3EjNS0_10empty_typeEbEEZZNS1_14partition_implILS8_3ELb0ES6_jNS0_17counting_iteratorIjlEEPS9_SE_NS0_5tupleIJPjSE_EEENSF_IJSE_SE_EEES9_SG_JZNS1_25segmented_radix_sort_implINS0_14default_configELb1EPKfPfPKlPlN2at6native12_GLOBAL__N_18offset_tEEE10hipError_tPvRmT1_PNSt15iterator_traitsISY_E10value_typeET2_T3_PNSZ_IS14_E10value_typeET4_jRbjT5_S1A_jjP12ihipStream_tbEUljE_EEESV_SW_SX_S14_S18_S1A_T6_T7_T9_mT8_S1C_bDpT10_ENKUlT_T0_E_clISt17integral_constantIbLb1EES1P_EEDaS1K_S1L_EUlS1K_E_NS1_11comp_targetILNS1_3genE9ELNS1_11target_archE1100ELNS1_3gpuE3ELNS1_3repE0EEENS1_30default_config_static_selectorELNS0_4arch9wavefront6targetE0EEEvSY_.uses_flat_scratch, 0
	.set _ZN7rocprim17ROCPRIM_400000_NS6detail17trampoline_kernelINS0_13select_configILj256ELj13ELNS0_17block_load_methodE3ELS4_3ELS4_3ELNS0_20block_scan_algorithmE0ELj4294967295EEENS1_25partition_config_selectorILNS1_17partition_subalgoE3EjNS0_10empty_typeEbEEZZNS1_14partition_implILS8_3ELb0ES6_jNS0_17counting_iteratorIjlEEPS9_SE_NS0_5tupleIJPjSE_EEENSF_IJSE_SE_EEES9_SG_JZNS1_25segmented_radix_sort_implINS0_14default_configELb1EPKfPfPKlPlN2at6native12_GLOBAL__N_18offset_tEEE10hipError_tPvRmT1_PNSt15iterator_traitsISY_E10value_typeET2_T3_PNSZ_IS14_E10value_typeET4_jRbjT5_S1A_jjP12ihipStream_tbEUljE_EEESV_SW_SX_S14_S18_S1A_T6_T7_T9_mT8_S1C_bDpT10_ENKUlT_T0_E_clISt17integral_constantIbLb1EES1P_EEDaS1K_S1L_EUlS1K_E_NS1_11comp_targetILNS1_3genE9ELNS1_11target_archE1100ELNS1_3gpuE3ELNS1_3repE0EEENS1_30default_config_static_selectorELNS0_4arch9wavefront6targetE0EEEvSY_.has_dyn_sized_stack, 0
	.set _ZN7rocprim17ROCPRIM_400000_NS6detail17trampoline_kernelINS0_13select_configILj256ELj13ELNS0_17block_load_methodE3ELS4_3ELS4_3ELNS0_20block_scan_algorithmE0ELj4294967295EEENS1_25partition_config_selectorILNS1_17partition_subalgoE3EjNS0_10empty_typeEbEEZZNS1_14partition_implILS8_3ELb0ES6_jNS0_17counting_iteratorIjlEEPS9_SE_NS0_5tupleIJPjSE_EEENSF_IJSE_SE_EEES9_SG_JZNS1_25segmented_radix_sort_implINS0_14default_configELb1EPKfPfPKlPlN2at6native12_GLOBAL__N_18offset_tEEE10hipError_tPvRmT1_PNSt15iterator_traitsISY_E10value_typeET2_T3_PNSZ_IS14_E10value_typeET4_jRbjT5_S1A_jjP12ihipStream_tbEUljE_EEESV_SW_SX_S14_S18_S1A_T6_T7_T9_mT8_S1C_bDpT10_ENKUlT_T0_E_clISt17integral_constantIbLb1EES1P_EEDaS1K_S1L_EUlS1K_E_NS1_11comp_targetILNS1_3genE9ELNS1_11target_archE1100ELNS1_3gpuE3ELNS1_3repE0EEENS1_30default_config_static_selectorELNS0_4arch9wavefront6targetE0EEEvSY_.has_recursion, 0
	.set _ZN7rocprim17ROCPRIM_400000_NS6detail17trampoline_kernelINS0_13select_configILj256ELj13ELNS0_17block_load_methodE3ELS4_3ELS4_3ELNS0_20block_scan_algorithmE0ELj4294967295EEENS1_25partition_config_selectorILNS1_17partition_subalgoE3EjNS0_10empty_typeEbEEZZNS1_14partition_implILS8_3ELb0ES6_jNS0_17counting_iteratorIjlEEPS9_SE_NS0_5tupleIJPjSE_EEENSF_IJSE_SE_EEES9_SG_JZNS1_25segmented_radix_sort_implINS0_14default_configELb1EPKfPfPKlPlN2at6native12_GLOBAL__N_18offset_tEEE10hipError_tPvRmT1_PNSt15iterator_traitsISY_E10value_typeET2_T3_PNSZ_IS14_E10value_typeET4_jRbjT5_S1A_jjP12ihipStream_tbEUljE_EEESV_SW_SX_S14_S18_S1A_T6_T7_T9_mT8_S1C_bDpT10_ENKUlT_T0_E_clISt17integral_constantIbLb1EES1P_EEDaS1K_S1L_EUlS1K_E_NS1_11comp_targetILNS1_3genE9ELNS1_11target_archE1100ELNS1_3gpuE3ELNS1_3repE0EEENS1_30default_config_static_selectorELNS0_4arch9wavefront6targetE0EEEvSY_.has_indirect_call, 0
	.section	.AMDGPU.csdata,"",@progbits
; Kernel info:
; codeLenInByte = 0
; TotalNumSgprs: 0
; NumVgprs: 0
; ScratchSize: 0
; MemoryBound: 0
; FloatMode: 240
; IeeeMode: 1
; LDSByteSize: 0 bytes/workgroup (compile time only)
; SGPRBlocks: 0
; VGPRBlocks: 0
; NumSGPRsForWavesPerEU: 1
; NumVGPRsForWavesPerEU: 1
; Occupancy: 16
; WaveLimiterHint : 0
; COMPUTE_PGM_RSRC2:SCRATCH_EN: 0
; COMPUTE_PGM_RSRC2:USER_SGPR: 2
; COMPUTE_PGM_RSRC2:TRAP_HANDLER: 0
; COMPUTE_PGM_RSRC2:TGID_X_EN: 1
; COMPUTE_PGM_RSRC2:TGID_Y_EN: 0
; COMPUTE_PGM_RSRC2:TGID_Z_EN: 0
; COMPUTE_PGM_RSRC2:TIDIG_COMP_CNT: 0
	.section	.text._ZN7rocprim17ROCPRIM_400000_NS6detail17trampoline_kernelINS0_13select_configILj256ELj13ELNS0_17block_load_methodE3ELS4_3ELS4_3ELNS0_20block_scan_algorithmE0ELj4294967295EEENS1_25partition_config_selectorILNS1_17partition_subalgoE3EjNS0_10empty_typeEbEEZZNS1_14partition_implILS8_3ELb0ES6_jNS0_17counting_iteratorIjlEEPS9_SE_NS0_5tupleIJPjSE_EEENSF_IJSE_SE_EEES9_SG_JZNS1_25segmented_radix_sort_implINS0_14default_configELb1EPKfPfPKlPlN2at6native12_GLOBAL__N_18offset_tEEE10hipError_tPvRmT1_PNSt15iterator_traitsISY_E10value_typeET2_T3_PNSZ_IS14_E10value_typeET4_jRbjT5_S1A_jjP12ihipStream_tbEUljE_EEESV_SW_SX_S14_S18_S1A_T6_T7_T9_mT8_S1C_bDpT10_ENKUlT_T0_E_clISt17integral_constantIbLb1EES1P_EEDaS1K_S1L_EUlS1K_E_NS1_11comp_targetILNS1_3genE8ELNS1_11target_archE1030ELNS1_3gpuE2ELNS1_3repE0EEENS1_30default_config_static_selectorELNS0_4arch9wavefront6targetE0EEEvSY_,"axG",@progbits,_ZN7rocprim17ROCPRIM_400000_NS6detail17trampoline_kernelINS0_13select_configILj256ELj13ELNS0_17block_load_methodE3ELS4_3ELS4_3ELNS0_20block_scan_algorithmE0ELj4294967295EEENS1_25partition_config_selectorILNS1_17partition_subalgoE3EjNS0_10empty_typeEbEEZZNS1_14partition_implILS8_3ELb0ES6_jNS0_17counting_iteratorIjlEEPS9_SE_NS0_5tupleIJPjSE_EEENSF_IJSE_SE_EEES9_SG_JZNS1_25segmented_radix_sort_implINS0_14default_configELb1EPKfPfPKlPlN2at6native12_GLOBAL__N_18offset_tEEE10hipError_tPvRmT1_PNSt15iterator_traitsISY_E10value_typeET2_T3_PNSZ_IS14_E10value_typeET4_jRbjT5_S1A_jjP12ihipStream_tbEUljE_EEESV_SW_SX_S14_S18_S1A_T6_T7_T9_mT8_S1C_bDpT10_ENKUlT_T0_E_clISt17integral_constantIbLb1EES1P_EEDaS1K_S1L_EUlS1K_E_NS1_11comp_targetILNS1_3genE8ELNS1_11target_archE1030ELNS1_3gpuE2ELNS1_3repE0EEENS1_30default_config_static_selectorELNS0_4arch9wavefront6targetE0EEEvSY_,comdat
	.globl	_ZN7rocprim17ROCPRIM_400000_NS6detail17trampoline_kernelINS0_13select_configILj256ELj13ELNS0_17block_load_methodE3ELS4_3ELS4_3ELNS0_20block_scan_algorithmE0ELj4294967295EEENS1_25partition_config_selectorILNS1_17partition_subalgoE3EjNS0_10empty_typeEbEEZZNS1_14partition_implILS8_3ELb0ES6_jNS0_17counting_iteratorIjlEEPS9_SE_NS0_5tupleIJPjSE_EEENSF_IJSE_SE_EEES9_SG_JZNS1_25segmented_radix_sort_implINS0_14default_configELb1EPKfPfPKlPlN2at6native12_GLOBAL__N_18offset_tEEE10hipError_tPvRmT1_PNSt15iterator_traitsISY_E10value_typeET2_T3_PNSZ_IS14_E10value_typeET4_jRbjT5_S1A_jjP12ihipStream_tbEUljE_EEESV_SW_SX_S14_S18_S1A_T6_T7_T9_mT8_S1C_bDpT10_ENKUlT_T0_E_clISt17integral_constantIbLb1EES1P_EEDaS1K_S1L_EUlS1K_E_NS1_11comp_targetILNS1_3genE8ELNS1_11target_archE1030ELNS1_3gpuE2ELNS1_3repE0EEENS1_30default_config_static_selectorELNS0_4arch9wavefront6targetE0EEEvSY_ ; -- Begin function _ZN7rocprim17ROCPRIM_400000_NS6detail17trampoline_kernelINS0_13select_configILj256ELj13ELNS0_17block_load_methodE3ELS4_3ELS4_3ELNS0_20block_scan_algorithmE0ELj4294967295EEENS1_25partition_config_selectorILNS1_17partition_subalgoE3EjNS0_10empty_typeEbEEZZNS1_14partition_implILS8_3ELb0ES6_jNS0_17counting_iteratorIjlEEPS9_SE_NS0_5tupleIJPjSE_EEENSF_IJSE_SE_EEES9_SG_JZNS1_25segmented_radix_sort_implINS0_14default_configELb1EPKfPfPKlPlN2at6native12_GLOBAL__N_18offset_tEEE10hipError_tPvRmT1_PNSt15iterator_traitsISY_E10value_typeET2_T3_PNSZ_IS14_E10value_typeET4_jRbjT5_S1A_jjP12ihipStream_tbEUljE_EEESV_SW_SX_S14_S18_S1A_T6_T7_T9_mT8_S1C_bDpT10_ENKUlT_T0_E_clISt17integral_constantIbLb1EES1P_EEDaS1K_S1L_EUlS1K_E_NS1_11comp_targetILNS1_3genE8ELNS1_11target_archE1030ELNS1_3gpuE2ELNS1_3repE0EEENS1_30default_config_static_selectorELNS0_4arch9wavefront6targetE0EEEvSY_
	.p2align	8
	.type	_ZN7rocprim17ROCPRIM_400000_NS6detail17trampoline_kernelINS0_13select_configILj256ELj13ELNS0_17block_load_methodE3ELS4_3ELS4_3ELNS0_20block_scan_algorithmE0ELj4294967295EEENS1_25partition_config_selectorILNS1_17partition_subalgoE3EjNS0_10empty_typeEbEEZZNS1_14partition_implILS8_3ELb0ES6_jNS0_17counting_iteratorIjlEEPS9_SE_NS0_5tupleIJPjSE_EEENSF_IJSE_SE_EEES9_SG_JZNS1_25segmented_radix_sort_implINS0_14default_configELb1EPKfPfPKlPlN2at6native12_GLOBAL__N_18offset_tEEE10hipError_tPvRmT1_PNSt15iterator_traitsISY_E10value_typeET2_T3_PNSZ_IS14_E10value_typeET4_jRbjT5_S1A_jjP12ihipStream_tbEUljE_EEESV_SW_SX_S14_S18_S1A_T6_T7_T9_mT8_S1C_bDpT10_ENKUlT_T0_E_clISt17integral_constantIbLb1EES1P_EEDaS1K_S1L_EUlS1K_E_NS1_11comp_targetILNS1_3genE8ELNS1_11target_archE1030ELNS1_3gpuE2ELNS1_3repE0EEENS1_30default_config_static_selectorELNS0_4arch9wavefront6targetE0EEEvSY_,@function
_ZN7rocprim17ROCPRIM_400000_NS6detail17trampoline_kernelINS0_13select_configILj256ELj13ELNS0_17block_load_methodE3ELS4_3ELS4_3ELNS0_20block_scan_algorithmE0ELj4294967295EEENS1_25partition_config_selectorILNS1_17partition_subalgoE3EjNS0_10empty_typeEbEEZZNS1_14partition_implILS8_3ELb0ES6_jNS0_17counting_iteratorIjlEEPS9_SE_NS0_5tupleIJPjSE_EEENSF_IJSE_SE_EEES9_SG_JZNS1_25segmented_radix_sort_implINS0_14default_configELb1EPKfPfPKlPlN2at6native12_GLOBAL__N_18offset_tEEE10hipError_tPvRmT1_PNSt15iterator_traitsISY_E10value_typeET2_T3_PNSZ_IS14_E10value_typeET4_jRbjT5_S1A_jjP12ihipStream_tbEUljE_EEESV_SW_SX_S14_S18_S1A_T6_T7_T9_mT8_S1C_bDpT10_ENKUlT_T0_E_clISt17integral_constantIbLb1EES1P_EEDaS1K_S1L_EUlS1K_E_NS1_11comp_targetILNS1_3genE8ELNS1_11target_archE1030ELNS1_3gpuE2ELNS1_3repE0EEENS1_30default_config_static_selectorELNS0_4arch9wavefront6targetE0EEEvSY_: ; @_ZN7rocprim17ROCPRIM_400000_NS6detail17trampoline_kernelINS0_13select_configILj256ELj13ELNS0_17block_load_methodE3ELS4_3ELS4_3ELNS0_20block_scan_algorithmE0ELj4294967295EEENS1_25partition_config_selectorILNS1_17partition_subalgoE3EjNS0_10empty_typeEbEEZZNS1_14partition_implILS8_3ELb0ES6_jNS0_17counting_iteratorIjlEEPS9_SE_NS0_5tupleIJPjSE_EEENSF_IJSE_SE_EEES9_SG_JZNS1_25segmented_radix_sort_implINS0_14default_configELb1EPKfPfPKlPlN2at6native12_GLOBAL__N_18offset_tEEE10hipError_tPvRmT1_PNSt15iterator_traitsISY_E10value_typeET2_T3_PNSZ_IS14_E10value_typeET4_jRbjT5_S1A_jjP12ihipStream_tbEUljE_EEESV_SW_SX_S14_S18_S1A_T6_T7_T9_mT8_S1C_bDpT10_ENKUlT_T0_E_clISt17integral_constantIbLb1EES1P_EEDaS1K_S1L_EUlS1K_E_NS1_11comp_targetILNS1_3genE8ELNS1_11target_archE1030ELNS1_3gpuE2ELNS1_3repE0EEENS1_30default_config_static_selectorELNS0_4arch9wavefront6targetE0EEEvSY_
; %bb.0:
	.section	.rodata,"a",@progbits
	.p2align	6, 0x0
	.amdhsa_kernel _ZN7rocprim17ROCPRIM_400000_NS6detail17trampoline_kernelINS0_13select_configILj256ELj13ELNS0_17block_load_methodE3ELS4_3ELS4_3ELNS0_20block_scan_algorithmE0ELj4294967295EEENS1_25partition_config_selectorILNS1_17partition_subalgoE3EjNS0_10empty_typeEbEEZZNS1_14partition_implILS8_3ELb0ES6_jNS0_17counting_iteratorIjlEEPS9_SE_NS0_5tupleIJPjSE_EEENSF_IJSE_SE_EEES9_SG_JZNS1_25segmented_radix_sort_implINS0_14default_configELb1EPKfPfPKlPlN2at6native12_GLOBAL__N_18offset_tEEE10hipError_tPvRmT1_PNSt15iterator_traitsISY_E10value_typeET2_T3_PNSZ_IS14_E10value_typeET4_jRbjT5_S1A_jjP12ihipStream_tbEUljE_EEESV_SW_SX_S14_S18_S1A_T6_T7_T9_mT8_S1C_bDpT10_ENKUlT_T0_E_clISt17integral_constantIbLb1EES1P_EEDaS1K_S1L_EUlS1K_E_NS1_11comp_targetILNS1_3genE8ELNS1_11target_archE1030ELNS1_3gpuE2ELNS1_3repE0EEENS1_30default_config_static_selectorELNS0_4arch9wavefront6targetE0EEEvSY_
		.amdhsa_group_segment_fixed_size 0
		.amdhsa_private_segment_fixed_size 0
		.amdhsa_kernarg_size 152
		.amdhsa_user_sgpr_count 2
		.amdhsa_user_sgpr_dispatch_ptr 0
		.amdhsa_user_sgpr_queue_ptr 0
		.amdhsa_user_sgpr_kernarg_segment_ptr 1
		.amdhsa_user_sgpr_dispatch_id 0
		.amdhsa_user_sgpr_private_segment_size 0
		.amdhsa_wavefront_size32 1
		.amdhsa_uses_dynamic_stack 0
		.amdhsa_enable_private_segment 0
		.amdhsa_system_sgpr_workgroup_id_x 1
		.amdhsa_system_sgpr_workgroup_id_y 0
		.amdhsa_system_sgpr_workgroup_id_z 0
		.amdhsa_system_sgpr_workgroup_info 0
		.amdhsa_system_vgpr_workitem_id 0
		.amdhsa_next_free_vgpr 1
		.amdhsa_next_free_sgpr 1
		.amdhsa_reserve_vcc 0
		.amdhsa_float_round_mode_32 0
		.amdhsa_float_round_mode_16_64 0
		.amdhsa_float_denorm_mode_32 3
		.amdhsa_float_denorm_mode_16_64 3
		.amdhsa_fp16_overflow 0
		.amdhsa_workgroup_processor_mode 1
		.amdhsa_memory_ordered 1
		.amdhsa_forward_progress 1
		.amdhsa_inst_pref_size 0
		.amdhsa_round_robin_scheduling 0
		.amdhsa_exception_fp_ieee_invalid_op 0
		.amdhsa_exception_fp_denorm_src 0
		.amdhsa_exception_fp_ieee_div_zero 0
		.amdhsa_exception_fp_ieee_overflow 0
		.amdhsa_exception_fp_ieee_underflow 0
		.amdhsa_exception_fp_ieee_inexact 0
		.amdhsa_exception_int_div_zero 0
	.end_amdhsa_kernel
	.section	.text._ZN7rocprim17ROCPRIM_400000_NS6detail17trampoline_kernelINS0_13select_configILj256ELj13ELNS0_17block_load_methodE3ELS4_3ELS4_3ELNS0_20block_scan_algorithmE0ELj4294967295EEENS1_25partition_config_selectorILNS1_17partition_subalgoE3EjNS0_10empty_typeEbEEZZNS1_14partition_implILS8_3ELb0ES6_jNS0_17counting_iteratorIjlEEPS9_SE_NS0_5tupleIJPjSE_EEENSF_IJSE_SE_EEES9_SG_JZNS1_25segmented_radix_sort_implINS0_14default_configELb1EPKfPfPKlPlN2at6native12_GLOBAL__N_18offset_tEEE10hipError_tPvRmT1_PNSt15iterator_traitsISY_E10value_typeET2_T3_PNSZ_IS14_E10value_typeET4_jRbjT5_S1A_jjP12ihipStream_tbEUljE_EEESV_SW_SX_S14_S18_S1A_T6_T7_T9_mT8_S1C_bDpT10_ENKUlT_T0_E_clISt17integral_constantIbLb1EES1P_EEDaS1K_S1L_EUlS1K_E_NS1_11comp_targetILNS1_3genE8ELNS1_11target_archE1030ELNS1_3gpuE2ELNS1_3repE0EEENS1_30default_config_static_selectorELNS0_4arch9wavefront6targetE0EEEvSY_,"axG",@progbits,_ZN7rocprim17ROCPRIM_400000_NS6detail17trampoline_kernelINS0_13select_configILj256ELj13ELNS0_17block_load_methodE3ELS4_3ELS4_3ELNS0_20block_scan_algorithmE0ELj4294967295EEENS1_25partition_config_selectorILNS1_17partition_subalgoE3EjNS0_10empty_typeEbEEZZNS1_14partition_implILS8_3ELb0ES6_jNS0_17counting_iteratorIjlEEPS9_SE_NS0_5tupleIJPjSE_EEENSF_IJSE_SE_EEES9_SG_JZNS1_25segmented_radix_sort_implINS0_14default_configELb1EPKfPfPKlPlN2at6native12_GLOBAL__N_18offset_tEEE10hipError_tPvRmT1_PNSt15iterator_traitsISY_E10value_typeET2_T3_PNSZ_IS14_E10value_typeET4_jRbjT5_S1A_jjP12ihipStream_tbEUljE_EEESV_SW_SX_S14_S18_S1A_T6_T7_T9_mT8_S1C_bDpT10_ENKUlT_T0_E_clISt17integral_constantIbLb1EES1P_EEDaS1K_S1L_EUlS1K_E_NS1_11comp_targetILNS1_3genE8ELNS1_11target_archE1030ELNS1_3gpuE2ELNS1_3repE0EEENS1_30default_config_static_selectorELNS0_4arch9wavefront6targetE0EEEvSY_,comdat
.Lfunc_end1308:
	.size	_ZN7rocprim17ROCPRIM_400000_NS6detail17trampoline_kernelINS0_13select_configILj256ELj13ELNS0_17block_load_methodE3ELS4_3ELS4_3ELNS0_20block_scan_algorithmE0ELj4294967295EEENS1_25partition_config_selectorILNS1_17partition_subalgoE3EjNS0_10empty_typeEbEEZZNS1_14partition_implILS8_3ELb0ES6_jNS0_17counting_iteratorIjlEEPS9_SE_NS0_5tupleIJPjSE_EEENSF_IJSE_SE_EEES9_SG_JZNS1_25segmented_radix_sort_implINS0_14default_configELb1EPKfPfPKlPlN2at6native12_GLOBAL__N_18offset_tEEE10hipError_tPvRmT1_PNSt15iterator_traitsISY_E10value_typeET2_T3_PNSZ_IS14_E10value_typeET4_jRbjT5_S1A_jjP12ihipStream_tbEUljE_EEESV_SW_SX_S14_S18_S1A_T6_T7_T9_mT8_S1C_bDpT10_ENKUlT_T0_E_clISt17integral_constantIbLb1EES1P_EEDaS1K_S1L_EUlS1K_E_NS1_11comp_targetILNS1_3genE8ELNS1_11target_archE1030ELNS1_3gpuE2ELNS1_3repE0EEENS1_30default_config_static_selectorELNS0_4arch9wavefront6targetE0EEEvSY_, .Lfunc_end1308-_ZN7rocprim17ROCPRIM_400000_NS6detail17trampoline_kernelINS0_13select_configILj256ELj13ELNS0_17block_load_methodE3ELS4_3ELS4_3ELNS0_20block_scan_algorithmE0ELj4294967295EEENS1_25partition_config_selectorILNS1_17partition_subalgoE3EjNS0_10empty_typeEbEEZZNS1_14partition_implILS8_3ELb0ES6_jNS0_17counting_iteratorIjlEEPS9_SE_NS0_5tupleIJPjSE_EEENSF_IJSE_SE_EEES9_SG_JZNS1_25segmented_radix_sort_implINS0_14default_configELb1EPKfPfPKlPlN2at6native12_GLOBAL__N_18offset_tEEE10hipError_tPvRmT1_PNSt15iterator_traitsISY_E10value_typeET2_T3_PNSZ_IS14_E10value_typeET4_jRbjT5_S1A_jjP12ihipStream_tbEUljE_EEESV_SW_SX_S14_S18_S1A_T6_T7_T9_mT8_S1C_bDpT10_ENKUlT_T0_E_clISt17integral_constantIbLb1EES1P_EEDaS1K_S1L_EUlS1K_E_NS1_11comp_targetILNS1_3genE8ELNS1_11target_archE1030ELNS1_3gpuE2ELNS1_3repE0EEENS1_30default_config_static_selectorELNS0_4arch9wavefront6targetE0EEEvSY_
                                        ; -- End function
	.set _ZN7rocprim17ROCPRIM_400000_NS6detail17trampoline_kernelINS0_13select_configILj256ELj13ELNS0_17block_load_methodE3ELS4_3ELS4_3ELNS0_20block_scan_algorithmE0ELj4294967295EEENS1_25partition_config_selectorILNS1_17partition_subalgoE3EjNS0_10empty_typeEbEEZZNS1_14partition_implILS8_3ELb0ES6_jNS0_17counting_iteratorIjlEEPS9_SE_NS0_5tupleIJPjSE_EEENSF_IJSE_SE_EEES9_SG_JZNS1_25segmented_radix_sort_implINS0_14default_configELb1EPKfPfPKlPlN2at6native12_GLOBAL__N_18offset_tEEE10hipError_tPvRmT1_PNSt15iterator_traitsISY_E10value_typeET2_T3_PNSZ_IS14_E10value_typeET4_jRbjT5_S1A_jjP12ihipStream_tbEUljE_EEESV_SW_SX_S14_S18_S1A_T6_T7_T9_mT8_S1C_bDpT10_ENKUlT_T0_E_clISt17integral_constantIbLb1EES1P_EEDaS1K_S1L_EUlS1K_E_NS1_11comp_targetILNS1_3genE8ELNS1_11target_archE1030ELNS1_3gpuE2ELNS1_3repE0EEENS1_30default_config_static_selectorELNS0_4arch9wavefront6targetE0EEEvSY_.num_vgpr, 0
	.set _ZN7rocprim17ROCPRIM_400000_NS6detail17trampoline_kernelINS0_13select_configILj256ELj13ELNS0_17block_load_methodE3ELS4_3ELS4_3ELNS0_20block_scan_algorithmE0ELj4294967295EEENS1_25partition_config_selectorILNS1_17partition_subalgoE3EjNS0_10empty_typeEbEEZZNS1_14partition_implILS8_3ELb0ES6_jNS0_17counting_iteratorIjlEEPS9_SE_NS0_5tupleIJPjSE_EEENSF_IJSE_SE_EEES9_SG_JZNS1_25segmented_radix_sort_implINS0_14default_configELb1EPKfPfPKlPlN2at6native12_GLOBAL__N_18offset_tEEE10hipError_tPvRmT1_PNSt15iterator_traitsISY_E10value_typeET2_T3_PNSZ_IS14_E10value_typeET4_jRbjT5_S1A_jjP12ihipStream_tbEUljE_EEESV_SW_SX_S14_S18_S1A_T6_T7_T9_mT8_S1C_bDpT10_ENKUlT_T0_E_clISt17integral_constantIbLb1EES1P_EEDaS1K_S1L_EUlS1K_E_NS1_11comp_targetILNS1_3genE8ELNS1_11target_archE1030ELNS1_3gpuE2ELNS1_3repE0EEENS1_30default_config_static_selectorELNS0_4arch9wavefront6targetE0EEEvSY_.num_agpr, 0
	.set _ZN7rocprim17ROCPRIM_400000_NS6detail17trampoline_kernelINS0_13select_configILj256ELj13ELNS0_17block_load_methodE3ELS4_3ELS4_3ELNS0_20block_scan_algorithmE0ELj4294967295EEENS1_25partition_config_selectorILNS1_17partition_subalgoE3EjNS0_10empty_typeEbEEZZNS1_14partition_implILS8_3ELb0ES6_jNS0_17counting_iteratorIjlEEPS9_SE_NS0_5tupleIJPjSE_EEENSF_IJSE_SE_EEES9_SG_JZNS1_25segmented_radix_sort_implINS0_14default_configELb1EPKfPfPKlPlN2at6native12_GLOBAL__N_18offset_tEEE10hipError_tPvRmT1_PNSt15iterator_traitsISY_E10value_typeET2_T3_PNSZ_IS14_E10value_typeET4_jRbjT5_S1A_jjP12ihipStream_tbEUljE_EEESV_SW_SX_S14_S18_S1A_T6_T7_T9_mT8_S1C_bDpT10_ENKUlT_T0_E_clISt17integral_constantIbLb1EES1P_EEDaS1K_S1L_EUlS1K_E_NS1_11comp_targetILNS1_3genE8ELNS1_11target_archE1030ELNS1_3gpuE2ELNS1_3repE0EEENS1_30default_config_static_selectorELNS0_4arch9wavefront6targetE0EEEvSY_.numbered_sgpr, 0
	.set _ZN7rocprim17ROCPRIM_400000_NS6detail17trampoline_kernelINS0_13select_configILj256ELj13ELNS0_17block_load_methodE3ELS4_3ELS4_3ELNS0_20block_scan_algorithmE0ELj4294967295EEENS1_25partition_config_selectorILNS1_17partition_subalgoE3EjNS0_10empty_typeEbEEZZNS1_14partition_implILS8_3ELb0ES6_jNS0_17counting_iteratorIjlEEPS9_SE_NS0_5tupleIJPjSE_EEENSF_IJSE_SE_EEES9_SG_JZNS1_25segmented_radix_sort_implINS0_14default_configELb1EPKfPfPKlPlN2at6native12_GLOBAL__N_18offset_tEEE10hipError_tPvRmT1_PNSt15iterator_traitsISY_E10value_typeET2_T3_PNSZ_IS14_E10value_typeET4_jRbjT5_S1A_jjP12ihipStream_tbEUljE_EEESV_SW_SX_S14_S18_S1A_T6_T7_T9_mT8_S1C_bDpT10_ENKUlT_T0_E_clISt17integral_constantIbLb1EES1P_EEDaS1K_S1L_EUlS1K_E_NS1_11comp_targetILNS1_3genE8ELNS1_11target_archE1030ELNS1_3gpuE2ELNS1_3repE0EEENS1_30default_config_static_selectorELNS0_4arch9wavefront6targetE0EEEvSY_.num_named_barrier, 0
	.set _ZN7rocprim17ROCPRIM_400000_NS6detail17trampoline_kernelINS0_13select_configILj256ELj13ELNS0_17block_load_methodE3ELS4_3ELS4_3ELNS0_20block_scan_algorithmE0ELj4294967295EEENS1_25partition_config_selectorILNS1_17partition_subalgoE3EjNS0_10empty_typeEbEEZZNS1_14partition_implILS8_3ELb0ES6_jNS0_17counting_iteratorIjlEEPS9_SE_NS0_5tupleIJPjSE_EEENSF_IJSE_SE_EEES9_SG_JZNS1_25segmented_radix_sort_implINS0_14default_configELb1EPKfPfPKlPlN2at6native12_GLOBAL__N_18offset_tEEE10hipError_tPvRmT1_PNSt15iterator_traitsISY_E10value_typeET2_T3_PNSZ_IS14_E10value_typeET4_jRbjT5_S1A_jjP12ihipStream_tbEUljE_EEESV_SW_SX_S14_S18_S1A_T6_T7_T9_mT8_S1C_bDpT10_ENKUlT_T0_E_clISt17integral_constantIbLb1EES1P_EEDaS1K_S1L_EUlS1K_E_NS1_11comp_targetILNS1_3genE8ELNS1_11target_archE1030ELNS1_3gpuE2ELNS1_3repE0EEENS1_30default_config_static_selectorELNS0_4arch9wavefront6targetE0EEEvSY_.private_seg_size, 0
	.set _ZN7rocprim17ROCPRIM_400000_NS6detail17trampoline_kernelINS0_13select_configILj256ELj13ELNS0_17block_load_methodE3ELS4_3ELS4_3ELNS0_20block_scan_algorithmE0ELj4294967295EEENS1_25partition_config_selectorILNS1_17partition_subalgoE3EjNS0_10empty_typeEbEEZZNS1_14partition_implILS8_3ELb0ES6_jNS0_17counting_iteratorIjlEEPS9_SE_NS0_5tupleIJPjSE_EEENSF_IJSE_SE_EEES9_SG_JZNS1_25segmented_radix_sort_implINS0_14default_configELb1EPKfPfPKlPlN2at6native12_GLOBAL__N_18offset_tEEE10hipError_tPvRmT1_PNSt15iterator_traitsISY_E10value_typeET2_T3_PNSZ_IS14_E10value_typeET4_jRbjT5_S1A_jjP12ihipStream_tbEUljE_EEESV_SW_SX_S14_S18_S1A_T6_T7_T9_mT8_S1C_bDpT10_ENKUlT_T0_E_clISt17integral_constantIbLb1EES1P_EEDaS1K_S1L_EUlS1K_E_NS1_11comp_targetILNS1_3genE8ELNS1_11target_archE1030ELNS1_3gpuE2ELNS1_3repE0EEENS1_30default_config_static_selectorELNS0_4arch9wavefront6targetE0EEEvSY_.uses_vcc, 0
	.set _ZN7rocprim17ROCPRIM_400000_NS6detail17trampoline_kernelINS0_13select_configILj256ELj13ELNS0_17block_load_methodE3ELS4_3ELS4_3ELNS0_20block_scan_algorithmE0ELj4294967295EEENS1_25partition_config_selectorILNS1_17partition_subalgoE3EjNS0_10empty_typeEbEEZZNS1_14partition_implILS8_3ELb0ES6_jNS0_17counting_iteratorIjlEEPS9_SE_NS0_5tupleIJPjSE_EEENSF_IJSE_SE_EEES9_SG_JZNS1_25segmented_radix_sort_implINS0_14default_configELb1EPKfPfPKlPlN2at6native12_GLOBAL__N_18offset_tEEE10hipError_tPvRmT1_PNSt15iterator_traitsISY_E10value_typeET2_T3_PNSZ_IS14_E10value_typeET4_jRbjT5_S1A_jjP12ihipStream_tbEUljE_EEESV_SW_SX_S14_S18_S1A_T6_T7_T9_mT8_S1C_bDpT10_ENKUlT_T0_E_clISt17integral_constantIbLb1EES1P_EEDaS1K_S1L_EUlS1K_E_NS1_11comp_targetILNS1_3genE8ELNS1_11target_archE1030ELNS1_3gpuE2ELNS1_3repE0EEENS1_30default_config_static_selectorELNS0_4arch9wavefront6targetE0EEEvSY_.uses_flat_scratch, 0
	.set _ZN7rocprim17ROCPRIM_400000_NS6detail17trampoline_kernelINS0_13select_configILj256ELj13ELNS0_17block_load_methodE3ELS4_3ELS4_3ELNS0_20block_scan_algorithmE0ELj4294967295EEENS1_25partition_config_selectorILNS1_17partition_subalgoE3EjNS0_10empty_typeEbEEZZNS1_14partition_implILS8_3ELb0ES6_jNS0_17counting_iteratorIjlEEPS9_SE_NS0_5tupleIJPjSE_EEENSF_IJSE_SE_EEES9_SG_JZNS1_25segmented_radix_sort_implINS0_14default_configELb1EPKfPfPKlPlN2at6native12_GLOBAL__N_18offset_tEEE10hipError_tPvRmT1_PNSt15iterator_traitsISY_E10value_typeET2_T3_PNSZ_IS14_E10value_typeET4_jRbjT5_S1A_jjP12ihipStream_tbEUljE_EEESV_SW_SX_S14_S18_S1A_T6_T7_T9_mT8_S1C_bDpT10_ENKUlT_T0_E_clISt17integral_constantIbLb1EES1P_EEDaS1K_S1L_EUlS1K_E_NS1_11comp_targetILNS1_3genE8ELNS1_11target_archE1030ELNS1_3gpuE2ELNS1_3repE0EEENS1_30default_config_static_selectorELNS0_4arch9wavefront6targetE0EEEvSY_.has_dyn_sized_stack, 0
	.set _ZN7rocprim17ROCPRIM_400000_NS6detail17trampoline_kernelINS0_13select_configILj256ELj13ELNS0_17block_load_methodE3ELS4_3ELS4_3ELNS0_20block_scan_algorithmE0ELj4294967295EEENS1_25partition_config_selectorILNS1_17partition_subalgoE3EjNS0_10empty_typeEbEEZZNS1_14partition_implILS8_3ELb0ES6_jNS0_17counting_iteratorIjlEEPS9_SE_NS0_5tupleIJPjSE_EEENSF_IJSE_SE_EEES9_SG_JZNS1_25segmented_radix_sort_implINS0_14default_configELb1EPKfPfPKlPlN2at6native12_GLOBAL__N_18offset_tEEE10hipError_tPvRmT1_PNSt15iterator_traitsISY_E10value_typeET2_T3_PNSZ_IS14_E10value_typeET4_jRbjT5_S1A_jjP12ihipStream_tbEUljE_EEESV_SW_SX_S14_S18_S1A_T6_T7_T9_mT8_S1C_bDpT10_ENKUlT_T0_E_clISt17integral_constantIbLb1EES1P_EEDaS1K_S1L_EUlS1K_E_NS1_11comp_targetILNS1_3genE8ELNS1_11target_archE1030ELNS1_3gpuE2ELNS1_3repE0EEENS1_30default_config_static_selectorELNS0_4arch9wavefront6targetE0EEEvSY_.has_recursion, 0
	.set _ZN7rocprim17ROCPRIM_400000_NS6detail17trampoline_kernelINS0_13select_configILj256ELj13ELNS0_17block_load_methodE3ELS4_3ELS4_3ELNS0_20block_scan_algorithmE0ELj4294967295EEENS1_25partition_config_selectorILNS1_17partition_subalgoE3EjNS0_10empty_typeEbEEZZNS1_14partition_implILS8_3ELb0ES6_jNS0_17counting_iteratorIjlEEPS9_SE_NS0_5tupleIJPjSE_EEENSF_IJSE_SE_EEES9_SG_JZNS1_25segmented_radix_sort_implINS0_14default_configELb1EPKfPfPKlPlN2at6native12_GLOBAL__N_18offset_tEEE10hipError_tPvRmT1_PNSt15iterator_traitsISY_E10value_typeET2_T3_PNSZ_IS14_E10value_typeET4_jRbjT5_S1A_jjP12ihipStream_tbEUljE_EEESV_SW_SX_S14_S18_S1A_T6_T7_T9_mT8_S1C_bDpT10_ENKUlT_T0_E_clISt17integral_constantIbLb1EES1P_EEDaS1K_S1L_EUlS1K_E_NS1_11comp_targetILNS1_3genE8ELNS1_11target_archE1030ELNS1_3gpuE2ELNS1_3repE0EEENS1_30default_config_static_selectorELNS0_4arch9wavefront6targetE0EEEvSY_.has_indirect_call, 0
	.section	.AMDGPU.csdata,"",@progbits
; Kernel info:
; codeLenInByte = 0
; TotalNumSgprs: 0
; NumVgprs: 0
; ScratchSize: 0
; MemoryBound: 0
; FloatMode: 240
; IeeeMode: 1
; LDSByteSize: 0 bytes/workgroup (compile time only)
; SGPRBlocks: 0
; VGPRBlocks: 0
; NumSGPRsForWavesPerEU: 1
; NumVGPRsForWavesPerEU: 1
; Occupancy: 16
; WaveLimiterHint : 0
; COMPUTE_PGM_RSRC2:SCRATCH_EN: 0
; COMPUTE_PGM_RSRC2:USER_SGPR: 2
; COMPUTE_PGM_RSRC2:TRAP_HANDLER: 0
; COMPUTE_PGM_RSRC2:TGID_X_EN: 1
; COMPUTE_PGM_RSRC2:TGID_Y_EN: 0
; COMPUTE_PGM_RSRC2:TGID_Z_EN: 0
; COMPUTE_PGM_RSRC2:TIDIG_COMP_CNT: 0
	.section	.text._ZN7rocprim17ROCPRIM_400000_NS6detail17trampoline_kernelINS0_13select_configILj256ELj13ELNS0_17block_load_methodE3ELS4_3ELS4_3ELNS0_20block_scan_algorithmE0ELj4294967295EEENS1_25partition_config_selectorILNS1_17partition_subalgoE3EjNS0_10empty_typeEbEEZZNS1_14partition_implILS8_3ELb0ES6_jNS0_17counting_iteratorIjlEEPS9_SE_NS0_5tupleIJPjSE_EEENSF_IJSE_SE_EEES9_SG_JZNS1_25segmented_radix_sort_implINS0_14default_configELb1EPKfPfPKlPlN2at6native12_GLOBAL__N_18offset_tEEE10hipError_tPvRmT1_PNSt15iterator_traitsISY_E10value_typeET2_T3_PNSZ_IS14_E10value_typeET4_jRbjT5_S1A_jjP12ihipStream_tbEUljE_EEESV_SW_SX_S14_S18_S1A_T6_T7_T9_mT8_S1C_bDpT10_ENKUlT_T0_E_clISt17integral_constantIbLb1EES1O_IbLb0EEEEDaS1K_S1L_EUlS1K_E_NS1_11comp_targetILNS1_3genE0ELNS1_11target_archE4294967295ELNS1_3gpuE0ELNS1_3repE0EEENS1_30default_config_static_selectorELNS0_4arch9wavefront6targetE0EEEvSY_,"axG",@progbits,_ZN7rocprim17ROCPRIM_400000_NS6detail17trampoline_kernelINS0_13select_configILj256ELj13ELNS0_17block_load_methodE3ELS4_3ELS4_3ELNS0_20block_scan_algorithmE0ELj4294967295EEENS1_25partition_config_selectorILNS1_17partition_subalgoE3EjNS0_10empty_typeEbEEZZNS1_14partition_implILS8_3ELb0ES6_jNS0_17counting_iteratorIjlEEPS9_SE_NS0_5tupleIJPjSE_EEENSF_IJSE_SE_EEES9_SG_JZNS1_25segmented_radix_sort_implINS0_14default_configELb1EPKfPfPKlPlN2at6native12_GLOBAL__N_18offset_tEEE10hipError_tPvRmT1_PNSt15iterator_traitsISY_E10value_typeET2_T3_PNSZ_IS14_E10value_typeET4_jRbjT5_S1A_jjP12ihipStream_tbEUljE_EEESV_SW_SX_S14_S18_S1A_T6_T7_T9_mT8_S1C_bDpT10_ENKUlT_T0_E_clISt17integral_constantIbLb1EES1O_IbLb0EEEEDaS1K_S1L_EUlS1K_E_NS1_11comp_targetILNS1_3genE0ELNS1_11target_archE4294967295ELNS1_3gpuE0ELNS1_3repE0EEENS1_30default_config_static_selectorELNS0_4arch9wavefront6targetE0EEEvSY_,comdat
	.globl	_ZN7rocprim17ROCPRIM_400000_NS6detail17trampoline_kernelINS0_13select_configILj256ELj13ELNS0_17block_load_methodE3ELS4_3ELS4_3ELNS0_20block_scan_algorithmE0ELj4294967295EEENS1_25partition_config_selectorILNS1_17partition_subalgoE3EjNS0_10empty_typeEbEEZZNS1_14partition_implILS8_3ELb0ES6_jNS0_17counting_iteratorIjlEEPS9_SE_NS0_5tupleIJPjSE_EEENSF_IJSE_SE_EEES9_SG_JZNS1_25segmented_radix_sort_implINS0_14default_configELb1EPKfPfPKlPlN2at6native12_GLOBAL__N_18offset_tEEE10hipError_tPvRmT1_PNSt15iterator_traitsISY_E10value_typeET2_T3_PNSZ_IS14_E10value_typeET4_jRbjT5_S1A_jjP12ihipStream_tbEUljE_EEESV_SW_SX_S14_S18_S1A_T6_T7_T9_mT8_S1C_bDpT10_ENKUlT_T0_E_clISt17integral_constantIbLb1EES1O_IbLb0EEEEDaS1K_S1L_EUlS1K_E_NS1_11comp_targetILNS1_3genE0ELNS1_11target_archE4294967295ELNS1_3gpuE0ELNS1_3repE0EEENS1_30default_config_static_selectorELNS0_4arch9wavefront6targetE0EEEvSY_ ; -- Begin function _ZN7rocprim17ROCPRIM_400000_NS6detail17trampoline_kernelINS0_13select_configILj256ELj13ELNS0_17block_load_methodE3ELS4_3ELS4_3ELNS0_20block_scan_algorithmE0ELj4294967295EEENS1_25partition_config_selectorILNS1_17partition_subalgoE3EjNS0_10empty_typeEbEEZZNS1_14partition_implILS8_3ELb0ES6_jNS0_17counting_iteratorIjlEEPS9_SE_NS0_5tupleIJPjSE_EEENSF_IJSE_SE_EEES9_SG_JZNS1_25segmented_radix_sort_implINS0_14default_configELb1EPKfPfPKlPlN2at6native12_GLOBAL__N_18offset_tEEE10hipError_tPvRmT1_PNSt15iterator_traitsISY_E10value_typeET2_T3_PNSZ_IS14_E10value_typeET4_jRbjT5_S1A_jjP12ihipStream_tbEUljE_EEESV_SW_SX_S14_S18_S1A_T6_T7_T9_mT8_S1C_bDpT10_ENKUlT_T0_E_clISt17integral_constantIbLb1EES1O_IbLb0EEEEDaS1K_S1L_EUlS1K_E_NS1_11comp_targetILNS1_3genE0ELNS1_11target_archE4294967295ELNS1_3gpuE0ELNS1_3repE0EEENS1_30default_config_static_selectorELNS0_4arch9wavefront6targetE0EEEvSY_
	.p2align	8
	.type	_ZN7rocprim17ROCPRIM_400000_NS6detail17trampoline_kernelINS0_13select_configILj256ELj13ELNS0_17block_load_methodE3ELS4_3ELS4_3ELNS0_20block_scan_algorithmE0ELj4294967295EEENS1_25partition_config_selectorILNS1_17partition_subalgoE3EjNS0_10empty_typeEbEEZZNS1_14partition_implILS8_3ELb0ES6_jNS0_17counting_iteratorIjlEEPS9_SE_NS0_5tupleIJPjSE_EEENSF_IJSE_SE_EEES9_SG_JZNS1_25segmented_radix_sort_implINS0_14default_configELb1EPKfPfPKlPlN2at6native12_GLOBAL__N_18offset_tEEE10hipError_tPvRmT1_PNSt15iterator_traitsISY_E10value_typeET2_T3_PNSZ_IS14_E10value_typeET4_jRbjT5_S1A_jjP12ihipStream_tbEUljE_EEESV_SW_SX_S14_S18_S1A_T6_T7_T9_mT8_S1C_bDpT10_ENKUlT_T0_E_clISt17integral_constantIbLb1EES1O_IbLb0EEEEDaS1K_S1L_EUlS1K_E_NS1_11comp_targetILNS1_3genE0ELNS1_11target_archE4294967295ELNS1_3gpuE0ELNS1_3repE0EEENS1_30default_config_static_selectorELNS0_4arch9wavefront6targetE0EEEvSY_,@function
_ZN7rocprim17ROCPRIM_400000_NS6detail17trampoline_kernelINS0_13select_configILj256ELj13ELNS0_17block_load_methodE3ELS4_3ELS4_3ELNS0_20block_scan_algorithmE0ELj4294967295EEENS1_25partition_config_selectorILNS1_17partition_subalgoE3EjNS0_10empty_typeEbEEZZNS1_14partition_implILS8_3ELb0ES6_jNS0_17counting_iteratorIjlEEPS9_SE_NS0_5tupleIJPjSE_EEENSF_IJSE_SE_EEES9_SG_JZNS1_25segmented_radix_sort_implINS0_14default_configELb1EPKfPfPKlPlN2at6native12_GLOBAL__N_18offset_tEEE10hipError_tPvRmT1_PNSt15iterator_traitsISY_E10value_typeET2_T3_PNSZ_IS14_E10value_typeET4_jRbjT5_S1A_jjP12ihipStream_tbEUljE_EEESV_SW_SX_S14_S18_S1A_T6_T7_T9_mT8_S1C_bDpT10_ENKUlT_T0_E_clISt17integral_constantIbLb1EES1O_IbLb0EEEEDaS1K_S1L_EUlS1K_E_NS1_11comp_targetILNS1_3genE0ELNS1_11target_archE4294967295ELNS1_3gpuE0ELNS1_3repE0EEENS1_30default_config_static_selectorELNS0_4arch9wavefront6targetE0EEEvSY_: ; @_ZN7rocprim17ROCPRIM_400000_NS6detail17trampoline_kernelINS0_13select_configILj256ELj13ELNS0_17block_load_methodE3ELS4_3ELS4_3ELNS0_20block_scan_algorithmE0ELj4294967295EEENS1_25partition_config_selectorILNS1_17partition_subalgoE3EjNS0_10empty_typeEbEEZZNS1_14partition_implILS8_3ELb0ES6_jNS0_17counting_iteratorIjlEEPS9_SE_NS0_5tupleIJPjSE_EEENSF_IJSE_SE_EEES9_SG_JZNS1_25segmented_radix_sort_implINS0_14default_configELb1EPKfPfPKlPlN2at6native12_GLOBAL__N_18offset_tEEE10hipError_tPvRmT1_PNSt15iterator_traitsISY_E10value_typeET2_T3_PNSZ_IS14_E10value_typeET4_jRbjT5_S1A_jjP12ihipStream_tbEUljE_EEESV_SW_SX_S14_S18_S1A_T6_T7_T9_mT8_S1C_bDpT10_ENKUlT_T0_E_clISt17integral_constantIbLb1EES1O_IbLb0EEEEDaS1K_S1L_EUlS1K_E_NS1_11comp_targetILNS1_3genE0ELNS1_11target_archE4294967295ELNS1_3gpuE0ELNS1_3repE0EEENS1_30default_config_static_selectorELNS0_4arch9wavefront6targetE0EEEvSY_
; %bb.0:
	.section	.rodata,"a",@progbits
	.p2align	6, 0x0
	.amdhsa_kernel _ZN7rocprim17ROCPRIM_400000_NS6detail17trampoline_kernelINS0_13select_configILj256ELj13ELNS0_17block_load_methodE3ELS4_3ELS4_3ELNS0_20block_scan_algorithmE0ELj4294967295EEENS1_25partition_config_selectorILNS1_17partition_subalgoE3EjNS0_10empty_typeEbEEZZNS1_14partition_implILS8_3ELb0ES6_jNS0_17counting_iteratorIjlEEPS9_SE_NS0_5tupleIJPjSE_EEENSF_IJSE_SE_EEES9_SG_JZNS1_25segmented_radix_sort_implINS0_14default_configELb1EPKfPfPKlPlN2at6native12_GLOBAL__N_18offset_tEEE10hipError_tPvRmT1_PNSt15iterator_traitsISY_E10value_typeET2_T3_PNSZ_IS14_E10value_typeET4_jRbjT5_S1A_jjP12ihipStream_tbEUljE_EEESV_SW_SX_S14_S18_S1A_T6_T7_T9_mT8_S1C_bDpT10_ENKUlT_T0_E_clISt17integral_constantIbLb1EES1O_IbLb0EEEEDaS1K_S1L_EUlS1K_E_NS1_11comp_targetILNS1_3genE0ELNS1_11target_archE4294967295ELNS1_3gpuE0ELNS1_3repE0EEENS1_30default_config_static_selectorELNS0_4arch9wavefront6targetE0EEEvSY_
		.amdhsa_group_segment_fixed_size 0
		.amdhsa_private_segment_fixed_size 0
		.amdhsa_kernarg_size 144
		.amdhsa_user_sgpr_count 2
		.amdhsa_user_sgpr_dispatch_ptr 0
		.amdhsa_user_sgpr_queue_ptr 0
		.amdhsa_user_sgpr_kernarg_segment_ptr 1
		.amdhsa_user_sgpr_dispatch_id 0
		.amdhsa_user_sgpr_private_segment_size 0
		.amdhsa_wavefront_size32 1
		.amdhsa_uses_dynamic_stack 0
		.amdhsa_enable_private_segment 0
		.amdhsa_system_sgpr_workgroup_id_x 1
		.amdhsa_system_sgpr_workgroup_id_y 0
		.amdhsa_system_sgpr_workgroup_id_z 0
		.amdhsa_system_sgpr_workgroup_info 0
		.amdhsa_system_vgpr_workitem_id 0
		.amdhsa_next_free_vgpr 1
		.amdhsa_next_free_sgpr 1
		.amdhsa_reserve_vcc 0
		.amdhsa_float_round_mode_32 0
		.amdhsa_float_round_mode_16_64 0
		.amdhsa_float_denorm_mode_32 3
		.amdhsa_float_denorm_mode_16_64 3
		.amdhsa_fp16_overflow 0
		.amdhsa_workgroup_processor_mode 1
		.amdhsa_memory_ordered 1
		.amdhsa_forward_progress 1
		.amdhsa_inst_pref_size 0
		.amdhsa_round_robin_scheduling 0
		.amdhsa_exception_fp_ieee_invalid_op 0
		.amdhsa_exception_fp_denorm_src 0
		.amdhsa_exception_fp_ieee_div_zero 0
		.amdhsa_exception_fp_ieee_overflow 0
		.amdhsa_exception_fp_ieee_underflow 0
		.amdhsa_exception_fp_ieee_inexact 0
		.amdhsa_exception_int_div_zero 0
	.end_amdhsa_kernel
	.section	.text._ZN7rocprim17ROCPRIM_400000_NS6detail17trampoline_kernelINS0_13select_configILj256ELj13ELNS0_17block_load_methodE3ELS4_3ELS4_3ELNS0_20block_scan_algorithmE0ELj4294967295EEENS1_25partition_config_selectorILNS1_17partition_subalgoE3EjNS0_10empty_typeEbEEZZNS1_14partition_implILS8_3ELb0ES6_jNS0_17counting_iteratorIjlEEPS9_SE_NS0_5tupleIJPjSE_EEENSF_IJSE_SE_EEES9_SG_JZNS1_25segmented_radix_sort_implINS0_14default_configELb1EPKfPfPKlPlN2at6native12_GLOBAL__N_18offset_tEEE10hipError_tPvRmT1_PNSt15iterator_traitsISY_E10value_typeET2_T3_PNSZ_IS14_E10value_typeET4_jRbjT5_S1A_jjP12ihipStream_tbEUljE_EEESV_SW_SX_S14_S18_S1A_T6_T7_T9_mT8_S1C_bDpT10_ENKUlT_T0_E_clISt17integral_constantIbLb1EES1O_IbLb0EEEEDaS1K_S1L_EUlS1K_E_NS1_11comp_targetILNS1_3genE0ELNS1_11target_archE4294967295ELNS1_3gpuE0ELNS1_3repE0EEENS1_30default_config_static_selectorELNS0_4arch9wavefront6targetE0EEEvSY_,"axG",@progbits,_ZN7rocprim17ROCPRIM_400000_NS6detail17trampoline_kernelINS0_13select_configILj256ELj13ELNS0_17block_load_methodE3ELS4_3ELS4_3ELNS0_20block_scan_algorithmE0ELj4294967295EEENS1_25partition_config_selectorILNS1_17partition_subalgoE3EjNS0_10empty_typeEbEEZZNS1_14partition_implILS8_3ELb0ES6_jNS0_17counting_iteratorIjlEEPS9_SE_NS0_5tupleIJPjSE_EEENSF_IJSE_SE_EEES9_SG_JZNS1_25segmented_radix_sort_implINS0_14default_configELb1EPKfPfPKlPlN2at6native12_GLOBAL__N_18offset_tEEE10hipError_tPvRmT1_PNSt15iterator_traitsISY_E10value_typeET2_T3_PNSZ_IS14_E10value_typeET4_jRbjT5_S1A_jjP12ihipStream_tbEUljE_EEESV_SW_SX_S14_S18_S1A_T6_T7_T9_mT8_S1C_bDpT10_ENKUlT_T0_E_clISt17integral_constantIbLb1EES1O_IbLb0EEEEDaS1K_S1L_EUlS1K_E_NS1_11comp_targetILNS1_3genE0ELNS1_11target_archE4294967295ELNS1_3gpuE0ELNS1_3repE0EEENS1_30default_config_static_selectorELNS0_4arch9wavefront6targetE0EEEvSY_,comdat
.Lfunc_end1309:
	.size	_ZN7rocprim17ROCPRIM_400000_NS6detail17trampoline_kernelINS0_13select_configILj256ELj13ELNS0_17block_load_methodE3ELS4_3ELS4_3ELNS0_20block_scan_algorithmE0ELj4294967295EEENS1_25partition_config_selectorILNS1_17partition_subalgoE3EjNS0_10empty_typeEbEEZZNS1_14partition_implILS8_3ELb0ES6_jNS0_17counting_iteratorIjlEEPS9_SE_NS0_5tupleIJPjSE_EEENSF_IJSE_SE_EEES9_SG_JZNS1_25segmented_radix_sort_implINS0_14default_configELb1EPKfPfPKlPlN2at6native12_GLOBAL__N_18offset_tEEE10hipError_tPvRmT1_PNSt15iterator_traitsISY_E10value_typeET2_T3_PNSZ_IS14_E10value_typeET4_jRbjT5_S1A_jjP12ihipStream_tbEUljE_EEESV_SW_SX_S14_S18_S1A_T6_T7_T9_mT8_S1C_bDpT10_ENKUlT_T0_E_clISt17integral_constantIbLb1EES1O_IbLb0EEEEDaS1K_S1L_EUlS1K_E_NS1_11comp_targetILNS1_3genE0ELNS1_11target_archE4294967295ELNS1_3gpuE0ELNS1_3repE0EEENS1_30default_config_static_selectorELNS0_4arch9wavefront6targetE0EEEvSY_, .Lfunc_end1309-_ZN7rocprim17ROCPRIM_400000_NS6detail17trampoline_kernelINS0_13select_configILj256ELj13ELNS0_17block_load_methodE3ELS4_3ELS4_3ELNS0_20block_scan_algorithmE0ELj4294967295EEENS1_25partition_config_selectorILNS1_17partition_subalgoE3EjNS0_10empty_typeEbEEZZNS1_14partition_implILS8_3ELb0ES6_jNS0_17counting_iteratorIjlEEPS9_SE_NS0_5tupleIJPjSE_EEENSF_IJSE_SE_EEES9_SG_JZNS1_25segmented_radix_sort_implINS0_14default_configELb1EPKfPfPKlPlN2at6native12_GLOBAL__N_18offset_tEEE10hipError_tPvRmT1_PNSt15iterator_traitsISY_E10value_typeET2_T3_PNSZ_IS14_E10value_typeET4_jRbjT5_S1A_jjP12ihipStream_tbEUljE_EEESV_SW_SX_S14_S18_S1A_T6_T7_T9_mT8_S1C_bDpT10_ENKUlT_T0_E_clISt17integral_constantIbLb1EES1O_IbLb0EEEEDaS1K_S1L_EUlS1K_E_NS1_11comp_targetILNS1_3genE0ELNS1_11target_archE4294967295ELNS1_3gpuE0ELNS1_3repE0EEENS1_30default_config_static_selectorELNS0_4arch9wavefront6targetE0EEEvSY_
                                        ; -- End function
	.set _ZN7rocprim17ROCPRIM_400000_NS6detail17trampoline_kernelINS0_13select_configILj256ELj13ELNS0_17block_load_methodE3ELS4_3ELS4_3ELNS0_20block_scan_algorithmE0ELj4294967295EEENS1_25partition_config_selectorILNS1_17partition_subalgoE3EjNS0_10empty_typeEbEEZZNS1_14partition_implILS8_3ELb0ES6_jNS0_17counting_iteratorIjlEEPS9_SE_NS0_5tupleIJPjSE_EEENSF_IJSE_SE_EEES9_SG_JZNS1_25segmented_radix_sort_implINS0_14default_configELb1EPKfPfPKlPlN2at6native12_GLOBAL__N_18offset_tEEE10hipError_tPvRmT1_PNSt15iterator_traitsISY_E10value_typeET2_T3_PNSZ_IS14_E10value_typeET4_jRbjT5_S1A_jjP12ihipStream_tbEUljE_EEESV_SW_SX_S14_S18_S1A_T6_T7_T9_mT8_S1C_bDpT10_ENKUlT_T0_E_clISt17integral_constantIbLb1EES1O_IbLb0EEEEDaS1K_S1L_EUlS1K_E_NS1_11comp_targetILNS1_3genE0ELNS1_11target_archE4294967295ELNS1_3gpuE0ELNS1_3repE0EEENS1_30default_config_static_selectorELNS0_4arch9wavefront6targetE0EEEvSY_.num_vgpr, 0
	.set _ZN7rocprim17ROCPRIM_400000_NS6detail17trampoline_kernelINS0_13select_configILj256ELj13ELNS0_17block_load_methodE3ELS4_3ELS4_3ELNS0_20block_scan_algorithmE0ELj4294967295EEENS1_25partition_config_selectorILNS1_17partition_subalgoE3EjNS0_10empty_typeEbEEZZNS1_14partition_implILS8_3ELb0ES6_jNS0_17counting_iteratorIjlEEPS9_SE_NS0_5tupleIJPjSE_EEENSF_IJSE_SE_EEES9_SG_JZNS1_25segmented_radix_sort_implINS0_14default_configELb1EPKfPfPKlPlN2at6native12_GLOBAL__N_18offset_tEEE10hipError_tPvRmT1_PNSt15iterator_traitsISY_E10value_typeET2_T3_PNSZ_IS14_E10value_typeET4_jRbjT5_S1A_jjP12ihipStream_tbEUljE_EEESV_SW_SX_S14_S18_S1A_T6_T7_T9_mT8_S1C_bDpT10_ENKUlT_T0_E_clISt17integral_constantIbLb1EES1O_IbLb0EEEEDaS1K_S1L_EUlS1K_E_NS1_11comp_targetILNS1_3genE0ELNS1_11target_archE4294967295ELNS1_3gpuE0ELNS1_3repE0EEENS1_30default_config_static_selectorELNS0_4arch9wavefront6targetE0EEEvSY_.num_agpr, 0
	.set _ZN7rocprim17ROCPRIM_400000_NS6detail17trampoline_kernelINS0_13select_configILj256ELj13ELNS0_17block_load_methodE3ELS4_3ELS4_3ELNS0_20block_scan_algorithmE0ELj4294967295EEENS1_25partition_config_selectorILNS1_17partition_subalgoE3EjNS0_10empty_typeEbEEZZNS1_14partition_implILS8_3ELb0ES6_jNS0_17counting_iteratorIjlEEPS9_SE_NS0_5tupleIJPjSE_EEENSF_IJSE_SE_EEES9_SG_JZNS1_25segmented_radix_sort_implINS0_14default_configELb1EPKfPfPKlPlN2at6native12_GLOBAL__N_18offset_tEEE10hipError_tPvRmT1_PNSt15iterator_traitsISY_E10value_typeET2_T3_PNSZ_IS14_E10value_typeET4_jRbjT5_S1A_jjP12ihipStream_tbEUljE_EEESV_SW_SX_S14_S18_S1A_T6_T7_T9_mT8_S1C_bDpT10_ENKUlT_T0_E_clISt17integral_constantIbLb1EES1O_IbLb0EEEEDaS1K_S1L_EUlS1K_E_NS1_11comp_targetILNS1_3genE0ELNS1_11target_archE4294967295ELNS1_3gpuE0ELNS1_3repE0EEENS1_30default_config_static_selectorELNS0_4arch9wavefront6targetE0EEEvSY_.numbered_sgpr, 0
	.set _ZN7rocprim17ROCPRIM_400000_NS6detail17trampoline_kernelINS0_13select_configILj256ELj13ELNS0_17block_load_methodE3ELS4_3ELS4_3ELNS0_20block_scan_algorithmE0ELj4294967295EEENS1_25partition_config_selectorILNS1_17partition_subalgoE3EjNS0_10empty_typeEbEEZZNS1_14partition_implILS8_3ELb0ES6_jNS0_17counting_iteratorIjlEEPS9_SE_NS0_5tupleIJPjSE_EEENSF_IJSE_SE_EEES9_SG_JZNS1_25segmented_radix_sort_implINS0_14default_configELb1EPKfPfPKlPlN2at6native12_GLOBAL__N_18offset_tEEE10hipError_tPvRmT1_PNSt15iterator_traitsISY_E10value_typeET2_T3_PNSZ_IS14_E10value_typeET4_jRbjT5_S1A_jjP12ihipStream_tbEUljE_EEESV_SW_SX_S14_S18_S1A_T6_T7_T9_mT8_S1C_bDpT10_ENKUlT_T0_E_clISt17integral_constantIbLb1EES1O_IbLb0EEEEDaS1K_S1L_EUlS1K_E_NS1_11comp_targetILNS1_3genE0ELNS1_11target_archE4294967295ELNS1_3gpuE0ELNS1_3repE0EEENS1_30default_config_static_selectorELNS0_4arch9wavefront6targetE0EEEvSY_.num_named_barrier, 0
	.set _ZN7rocprim17ROCPRIM_400000_NS6detail17trampoline_kernelINS0_13select_configILj256ELj13ELNS0_17block_load_methodE3ELS4_3ELS4_3ELNS0_20block_scan_algorithmE0ELj4294967295EEENS1_25partition_config_selectorILNS1_17partition_subalgoE3EjNS0_10empty_typeEbEEZZNS1_14partition_implILS8_3ELb0ES6_jNS0_17counting_iteratorIjlEEPS9_SE_NS0_5tupleIJPjSE_EEENSF_IJSE_SE_EEES9_SG_JZNS1_25segmented_radix_sort_implINS0_14default_configELb1EPKfPfPKlPlN2at6native12_GLOBAL__N_18offset_tEEE10hipError_tPvRmT1_PNSt15iterator_traitsISY_E10value_typeET2_T3_PNSZ_IS14_E10value_typeET4_jRbjT5_S1A_jjP12ihipStream_tbEUljE_EEESV_SW_SX_S14_S18_S1A_T6_T7_T9_mT8_S1C_bDpT10_ENKUlT_T0_E_clISt17integral_constantIbLb1EES1O_IbLb0EEEEDaS1K_S1L_EUlS1K_E_NS1_11comp_targetILNS1_3genE0ELNS1_11target_archE4294967295ELNS1_3gpuE0ELNS1_3repE0EEENS1_30default_config_static_selectorELNS0_4arch9wavefront6targetE0EEEvSY_.private_seg_size, 0
	.set _ZN7rocprim17ROCPRIM_400000_NS6detail17trampoline_kernelINS0_13select_configILj256ELj13ELNS0_17block_load_methodE3ELS4_3ELS4_3ELNS0_20block_scan_algorithmE0ELj4294967295EEENS1_25partition_config_selectorILNS1_17partition_subalgoE3EjNS0_10empty_typeEbEEZZNS1_14partition_implILS8_3ELb0ES6_jNS0_17counting_iteratorIjlEEPS9_SE_NS0_5tupleIJPjSE_EEENSF_IJSE_SE_EEES9_SG_JZNS1_25segmented_radix_sort_implINS0_14default_configELb1EPKfPfPKlPlN2at6native12_GLOBAL__N_18offset_tEEE10hipError_tPvRmT1_PNSt15iterator_traitsISY_E10value_typeET2_T3_PNSZ_IS14_E10value_typeET4_jRbjT5_S1A_jjP12ihipStream_tbEUljE_EEESV_SW_SX_S14_S18_S1A_T6_T7_T9_mT8_S1C_bDpT10_ENKUlT_T0_E_clISt17integral_constantIbLb1EES1O_IbLb0EEEEDaS1K_S1L_EUlS1K_E_NS1_11comp_targetILNS1_3genE0ELNS1_11target_archE4294967295ELNS1_3gpuE0ELNS1_3repE0EEENS1_30default_config_static_selectorELNS0_4arch9wavefront6targetE0EEEvSY_.uses_vcc, 0
	.set _ZN7rocprim17ROCPRIM_400000_NS6detail17trampoline_kernelINS0_13select_configILj256ELj13ELNS0_17block_load_methodE3ELS4_3ELS4_3ELNS0_20block_scan_algorithmE0ELj4294967295EEENS1_25partition_config_selectorILNS1_17partition_subalgoE3EjNS0_10empty_typeEbEEZZNS1_14partition_implILS8_3ELb0ES6_jNS0_17counting_iteratorIjlEEPS9_SE_NS0_5tupleIJPjSE_EEENSF_IJSE_SE_EEES9_SG_JZNS1_25segmented_radix_sort_implINS0_14default_configELb1EPKfPfPKlPlN2at6native12_GLOBAL__N_18offset_tEEE10hipError_tPvRmT1_PNSt15iterator_traitsISY_E10value_typeET2_T3_PNSZ_IS14_E10value_typeET4_jRbjT5_S1A_jjP12ihipStream_tbEUljE_EEESV_SW_SX_S14_S18_S1A_T6_T7_T9_mT8_S1C_bDpT10_ENKUlT_T0_E_clISt17integral_constantIbLb1EES1O_IbLb0EEEEDaS1K_S1L_EUlS1K_E_NS1_11comp_targetILNS1_3genE0ELNS1_11target_archE4294967295ELNS1_3gpuE0ELNS1_3repE0EEENS1_30default_config_static_selectorELNS0_4arch9wavefront6targetE0EEEvSY_.uses_flat_scratch, 0
	.set _ZN7rocprim17ROCPRIM_400000_NS6detail17trampoline_kernelINS0_13select_configILj256ELj13ELNS0_17block_load_methodE3ELS4_3ELS4_3ELNS0_20block_scan_algorithmE0ELj4294967295EEENS1_25partition_config_selectorILNS1_17partition_subalgoE3EjNS0_10empty_typeEbEEZZNS1_14partition_implILS8_3ELb0ES6_jNS0_17counting_iteratorIjlEEPS9_SE_NS0_5tupleIJPjSE_EEENSF_IJSE_SE_EEES9_SG_JZNS1_25segmented_radix_sort_implINS0_14default_configELb1EPKfPfPKlPlN2at6native12_GLOBAL__N_18offset_tEEE10hipError_tPvRmT1_PNSt15iterator_traitsISY_E10value_typeET2_T3_PNSZ_IS14_E10value_typeET4_jRbjT5_S1A_jjP12ihipStream_tbEUljE_EEESV_SW_SX_S14_S18_S1A_T6_T7_T9_mT8_S1C_bDpT10_ENKUlT_T0_E_clISt17integral_constantIbLb1EES1O_IbLb0EEEEDaS1K_S1L_EUlS1K_E_NS1_11comp_targetILNS1_3genE0ELNS1_11target_archE4294967295ELNS1_3gpuE0ELNS1_3repE0EEENS1_30default_config_static_selectorELNS0_4arch9wavefront6targetE0EEEvSY_.has_dyn_sized_stack, 0
	.set _ZN7rocprim17ROCPRIM_400000_NS6detail17trampoline_kernelINS0_13select_configILj256ELj13ELNS0_17block_load_methodE3ELS4_3ELS4_3ELNS0_20block_scan_algorithmE0ELj4294967295EEENS1_25partition_config_selectorILNS1_17partition_subalgoE3EjNS0_10empty_typeEbEEZZNS1_14partition_implILS8_3ELb0ES6_jNS0_17counting_iteratorIjlEEPS9_SE_NS0_5tupleIJPjSE_EEENSF_IJSE_SE_EEES9_SG_JZNS1_25segmented_radix_sort_implINS0_14default_configELb1EPKfPfPKlPlN2at6native12_GLOBAL__N_18offset_tEEE10hipError_tPvRmT1_PNSt15iterator_traitsISY_E10value_typeET2_T3_PNSZ_IS14_E10value_typeET4_jRbjT5_S1A_jjP12ihipStream_tbEUljE_EEESV_SW_SX_S14_S18_S1A_T6_T7_T9_mT8_S1C_bDpT10_ENKUlT_T0_E_clISt17integral_constantIbLb1EES1O_IbLb0EEEEDaS1K_S1L_EUlS1K_E_NS1_11comp_targetILNS1_3genE0ELNS1_11target_archE4294967295ELNS1_3gpuE0ELNS1_3repE0EEENS1_30default_config_static_selectorELNS0_4arch9wavefront6targetE0EEEvSY_.has_recursion, 0
	.set _ZN7rocprim17ROCPRIM_400000_NS6detail17trampoline_kernelINS0_13select_configILj256ELj13ELNS0_17block_load_methodE3ELS4_3ELS4_3ELNS0_20block_scan_algorithmE0ELj4294967295EEENS1_25partition_config_selectorILNS1_17partition_subalgoE3EjNS0_10empty_typeEbEEZZNS1_14partition_implILS8_3ELb0ES6_jNS0_17counting_iteratorIjlEEPS9_SE_NS0_5tupleIJPjSE_EEENSF_IJSE_SE_EEES9_SG_JZNS1_25segmented_radix_sort_implINS0_14default_configELb1EPKfPfPKlPlN2at6native12_GLOBAL__N_18offset_tEEE10hipError_tPvRmT1_PNSt15iterator_traitsISY_E10value_typeET2_T3_PNSZ_IS14_E10value_typeET4_jRbjT5_S1A_jjP12ihipStream_tbEUljE_EEESV_SW_SX_S14_S18_S1A_T6_T7_T9_mT8_S1C_bDpT10_ENKUlT_T0_E_clISt17integral_constantIbLb1EES1O_IbLb0EEEEDaS1K_S1L_EUlS1K_E_NS1_11comp_targetILNS1_3genE0ELNS1_11target_archE4294967295ELNS1_3gpuE0ELNS1_3repE0EEENS1_30default_config_static_selectorELNS0_4arch9wavefront6targetE0EEEvSY_.has_indirect_call, 0
	.section	.AMDGPU.csdata,"",@progbits
; Kernel info:
; codeLenInByte = 0
; TotalNumSgprs: 0
; NumVgprs: 0
; ScratchSize: 0
; MemoryBound: 0
; FloatMode: 240
; IeeeMode: 1
; LDSByteSize: 0 bytes/workgroup (compile time only)
; SGPRBlocks: 0
; VGPRBlocks: 0
; NumSGPRsForWavesPerEU: 1
; NumVGPRsForWavesPerEU: 1
; Occupancy: 16
; WaveLimiterHint : 0
; COMPUTE_PGM_RSRC2:SCRATCH_EN: 0
; COMPUTE_PGM_RSRC2:USER_SGPR: 2
; COMPUTE_PGM_RSRC2:TRAP_HANDLER: 0
; COMPUTE_PGM_RSRC2:TGID_X_EN: 1
; COMPUTE_PGM_RSRC2:TGID_Y_EN: 0
; COMPUTE_PGM_RSRC2:TGID_Z_EN: 0
; COMPUTE_PGM_RSRC2:TIDIG_COMP_CNT: 0
	.section	.text._ZN7rocprim17ROCPRIM_400000_NS6detail17trampoline_kernelINS0_13select_configILj256ELj13ELNS0_17block_load_methodE3ELS4_3ELS4_3ELNS0_20block_scan_algorithmE0ELj4294967295EEENS1_25partition_config_selectorILNS1_17partition_subalgoE3EjNS0_10empty_typeEbEEZZNS1_14partition_implILS8_3ELb0ES6_jNS0_17counting_iteratorIjlEEPS9_SE_NS0_5tupleIJPjSE_EEENSF_IJSE_SE_EEES9_SG_JZNS1_25segmented_radix_sort_implINS0_14default_configELb1EPKfPfPKlPlN2at6native12_GLOBAL__N_18offset_tEEE10hipError_tPvRmT1_PNSt15iterator_traitsISY_E10value_typeET2_T3_PNSZ_IS14_E10value_typeET4_jRbjT5_S1A_jjP12ihipStream_tbEUljE_EEESV_SW_SX_S14_S18_S1A_T6_T7_T9_mT8_S1C_bDpT10_ENKUlT_T0_E_clISt17integral_constantIbLb1EES1O_IbLb0EEEEDaS1K_S1L_EUlS1K_E_NS1_11comp_targetILNS1_3genE5ELNS1_11target_archE942ELNS1_3gpuE9ELNS1_3repE0EEENS1_30default_config_static_selectorELNS0_4arch9wavefront6targetE0EEEvSY_,"axG",@progbits,_ZN7rocprim17ROCPRIM_400000_NS6detail17trampoline_kernelINS0_13select_configILj256ELj13ELNS0_17block_load_methodE3ELS4_3ELS4_3ELNS0_20block_scan_algorithmE0ELj4294967295EEENS1_25partition_config_selectorILNS1_17partition_subalgoE3EjNS0_10empty_typeEbEEZZNS1_14partition_implILS8_3ELb0ES6_jNS0_17counting_iteratorIjlEEPS9_SE_NS0_5tupleIJPjSE_EEENSF_IJSE_SE_EEES9_SG_JZNS1_25segmented_radix_sort_implINS0_14default_configELb1EPKfPfPKlPlN2at6native12_GLOBAL__N_18offset_tEEE10hipError_tPvRmT1_PNSt15iterator_traitsISY_E10value_typeET2_T3_PNSZ_IS14_E10value_typeET4_jRbjT5_S1A_jjP12ihipStream_tbEUljE_EEESV_SW_SX_S14_S18_S1A_T6_T7_T9_mT8_S1C_bDpT10_ENKUlT_T0_E_clISt17integral_constantIbLb1EES1O_IbLb0EEEEDaS1K_S1L_EUlS1K_E_NS1_11comp_targetILNS1_3genE5ELNS1_11target_archE942ELNS1_3gpuE9ELNS1_3repE0EEENS1_30default_config_static_selectorELNS0_4arch9wavefront6targetE0EEEvSY_,comdat
	.globl	_ZN7rocprim17ROCPRIM_400000_NS6detail17trampoline_kernelINS0_13select_configILj256ELj13ELNS0_17block_load_methodE3ELS4_3ELS4_3ELNS0_20block_scan_algorithmE0ELj4294967295EEENS1_25partition_config_selectorILNS1_17partition_subalgoE3EjNS0_10empty_typeEbEEZZNS1_14partition_implILS8_3ELb0ES6_jNS0_17counting_iteratorIjlEEPS9_SE_NS0_5tupleIJPjSE_EEENSF_IJSE_SE_EEES9_SG_JZNS1_25segmented_radix_sort_implINS0_14default_configELb1EPKfPfPKlPlN2at6native12_GLOBAL__N_18offset_tEEE10hipError_tPvRmT1_PNSt15iterator_traitsISY_E10value_typeET2_T3_PNSZ_IS14_E10value_typeET4_jRbjT5_S1A_jjP12ihipStream_tbEUljE_EEESV_SW_SX_S14_S18_S1A_T6_T7_T9_mT8_S1C_bDpT10_ENKUlT_T0_E_clISt17integral_constantIbLb1EES1O_IbLb0EEEEDaS1K_S1L_EUlS1K_E_NS1_11comp_targetILNS1_3genE5ELNS1_11target_archE942ELNS1_3gpuE9ELNS1_3repE0EEENS1_30default_config_static_selectorELNS0_4arch9wavefront6targetE0EEEvSY_ ; -- Begin function _ZN7rocprim17ROCPRIM_400000_NS6detail17trampoline_kernelINS0_13select_configILj256ELj13ELNS0_17block_load_methodE3ELS4_3ELS4_3ELNS0_20block_scan_algorithmE0ELj4294967295EEENS1_25partition_config_selectorILNS1_17partition_subalgoE3EjNS0_10empty_typeEbEEZZNS1_14partition_implILS8_3ELb0ES6_jNS0_17counting_iteratorIjlEEPS9_SE_NS0_5tupleIJPjSE_EEENSF_IJSE_SE_EEES9_SG_JZNS1_25segmented_radix_sort_implINS0_14default_configELb1EPKfPfPKlPlN2at6native12_GLOBAL__N_18offset_tEEE10hipError_tPvRmT1_PNSt15iterator_traitsISY_E10value_typeET2_T3_PNSZ_IS14_E10value_typeET4_jRbjT5_S1A_jjP12ihipStream_tbEUljE_EEESV_SW_SX_S14_S18_S1A_T6_T7_T9_mT8_S1C_bDpT10_ENKUlT_T0_E_clISt17integral_constantIbLb1EES1O_IbLb0EEEEDaS1K_S1L_EUlS1K_E_NS1_11comp_targetILNS1_3genE5ELNS1_11target_archE942ELNS1_3gpuE9ELNS1_3repE0EEENS1_30default_config_static_selectorELNS0_4arch9wavefront6targetE0EEEvSY_
	.p2align	8
	.type	_ZN7rocprim17ROCPRIM_400000_NS6detail17trampoline_kernelINS0_13select_configILj256ELj13ELNS0_17block_load_methodE3ELS4_3ELS4_3ELNS0_20block_scan_algorithmE0ELj4294967295EEENS1_25partition_config_selectorILNS1_17partition_subalgoE3EjNS0_10empty_typeEbEEZZNS1_14partition_implILS8_3ELb0ES6_jNS0_17counting_iteratorIjlEEPS9_SE_NS0_5tupleIJPjSE_EEENSF_IJSE_SE_EEES9_SG_JZNS1_25segmented_radix_sort_implINS0_14default_configELb1EPKfPfPKlPlN2at6native12_GLOBAL__N_18offset_tEEE10hipError_tPvRmT1_PNSt15iterator_traitsISY_E10value_typeET2_T3_PNSZ_IS14_E10value_typeET4_jRbjT5_S1A_jjP12ihipStream_tbEUljE_EEESV_SW_SX_S14_S18_S1A_T6_T7_T9_mT8_S1C_bDpT10_ENKUlT_T0_E_clISt17integral_constantIbLb1EES1O_IbLb0EEEEDaS1K_S1L_EUlS1K_E_NS1_11comp_targetILNS1_3genE5ELNS1_11target_archE942ELNS1_3gpuE9ELNS1_3repE0EEENS1_30default_config_static_selectorELNS0_4arch9wavefront6targetE0EEEvSY_,@function
_ZN7rocprim17ROCPRIM_400000_NS6detail17trampoline_kernelINS0_13select_configILj256ELj13ELNS0_17block_load_methodE3ELS4_3ELS4_3ELNS0_20block_scan_algorithmE0ELj4294967295EEENS1_25partition_config_selectorILNS1_17partition_subalgoE3EjNS0_10empty_typeEbEEZZNS1_14partition_implILS8_3ELb0ES6_jNS0_17counting_iteratorIjlEEPS9_SE_NS0_5tupleIJPjSE_EEENSF_IJSE_SE_EEES9_SG_JZNS1_25segmented_radix_sort_implINS0_14default_configELb1EPKfPfPKlPlN2at6native12_GLOBAL__N_18offset_tEEE10hipError_tPvRmT1_PNSt15iterator_traitsISY_E10value_typeET2_T3_PNSZ_IS14_E10value_typeET4_jRbjT5_S1A_jjP12ihipStream_tbEUljE_EEESV_SW_SX_S14_S18_S1A_T6_T7_T9_mT8_S1C_bDpT10_ENKUlT_T0_E_clISt17integral_constantIbLb1EES1O_IbLb0EEEEDaS1K_S1L_EUlS1K_E_NS1_11comp_targetILNS1_3genE5ELNS1_11target_archE942ELNS1_3gpuE9ELNS1_3repE0EEENS1_30default_config_static_selectorELNS0_4arch9wavefront6targetE0EEEvSY_: ; @_ZN7rocprim17ROCPRIM_400000_NS6detail17trampoline_kernelINS0_13select_configILj256ELj13ELNS0_17block_load_methodE3ELS4_3ELS4_3ELNS0_20block_scan_algorithmE0ELj4294967295EEENS1_25partition_config_selectorILNS1_17partition_subalgoE3EjNS0_10empty_typeEbEEZZNS1_14partition_implILS8_3ELb0ES6_jNS0_17counting_iteratorIjlEEPS9_SE_NS0_5tupleIJPjSE_EEENSF_IJSE_SE_EEES9_SG_JZNS1_25segmented_radix_sort_implINS0_14default_configELb1EPKfPfPKlPlN2at6native12_GLOBAL__N_18offset_tEEE10hipError_tPvRmT1_PNSt15iterator_traitsISY_E10value_typeET2_T3_PNSZ_IS14_E10value_typeET4_jRbjT5_S1A_jjP12ihipStream_tbEUljE_EEESV_SW_SX_S14_S18_S1A_T6_T7_T9_mT8_S1C_bDpT10_ENKUlT_T0_E_clISt17integral_constantIbLb1EES1O_IbLb0EEEEDaS1K_S1L_EUlS1K_E_NS1_11comp_targetILNS1_3genE5ELNS1_11target_archE942ELNS1_3gpuE9ELNS1_3repE0EEENS1_30default_config_static_selectorELNS0_4arch9wavefront6targetE0EEEvSY_
; %bb.0:
	.section	.rodata,"a",@progbits
	.p2align	6, 0x0
	.amdhsa_kernel _ZN7rocprim17ROCPRIM_400000_NS6detail17trampoline_kernelINS0_13select_configILj256ELj13ELNS0_17block_load_methodE3ELS4_3ELS4_3ELNS0_20block_scan_algorithmE0ELj4294967295EEENS1_25partition_config_selectorILNS1_17partition_subalgoE3EjNS0_10empty_typeEbEEZZNS1_14partition_implILS8_3ELb0ES6_jNS0_17counting_iteratorIjlEEPS9_SE_NS0_5tupleIJPjSE_EEENSF_IJSE_SE_EEES9_SG_JZNS1_25segmented_radix_sort_implINS0_14default_configELb1EPKfPfPKlPlN2at6native12_GLOBAL__N_18offset_tEEE10hipError_tPvRmT1_PNSt15iterator_traitsISY_E10value_typeET2_T3_PNSZ_IS14_E10value_typeET4_jRbjT5_S1A_jjP12ihipStream_tbEUljE_EEESV_SW_SX_S14_S18_S1A_T6_T7_T9_mT8_S1C_bDpT10_ENKUlT_T0_E_clISt17integral_constantIbLb1EES1O_IbLb0EEEEDaS1K_S1L_EUlS1K_E_NS1_11comp_targetILNS1_3genE5ELNS1_11target_archE942ELNS1_3gpuE9ELNS1_3repE0EEENS1_30default_config_static_selectorELNS0_4arch9wavefront6targetE0EEEvSY_
		.amdhsa_group_segment_fixed_size 0
		.amdhsa_private_segment_fixed_size 0
		.amdhsa_kernarg_size 144
		.amdhsa_user_sgpr_count 2
		.amdhsa_user_sgpr_dispatch_ptr 0
		.amdhsa_user_sgpr_queue_ptr 0
		.amdhsa_user_sgpr_kernarg_segment_ptr 1
		.amdhsa_user_sgpr_dispatch_id 0
		.amdhsa_user_sgpr_private_segment_size 0
		.amdhsa_wavefront_size32 1
		.amdhsa_uses_dynamic_stack 0
		.amdhsa_enable_private_segment 0
		.amdhsa_system_sgpr_workgroup_id_x 1
		.amdhsa_system_sgpr_workgroup_id_y 0
		.amdhsa_system_sgpr_workgroup_id_z 0
		.amdhsa_system_sgpr_workgroup_info 0
		.amdhsa_system_vgpr_workitem_id 0
		.amdhsa_next_free_vgpr 1
		.amdhsa_next_free_sgpr 1
		.amdhsa_reserve_vcc 0
		.amdhsa_float_round_mode_32 0
		.amdhsa_float_round_mode_16_64 0
		.amdhsa_float_denorm_mode_32 3
		.amdhsa_float_denorm_mode_16_64 3
		.amdhsa_fp16_overflow 0
		.amdhsa_workgroup_processor_mode 1
		.amdhsa_memory_ordered 1
		.amdhsa_forward_progress 1
		.amdhsa_inst_pref_size 0
		.amdhsa_round_robin_scheduling 0
		.amdhsa_exception_fp_ieee_invalid_op 0
		.amdhsa_exception_fp_denorm_src 0
		.amdhsa_exception_fp_ieee_div_zero 0
		.amdhsa_exception_fp_ieee_overflow 0
		.amdhsa_exception_fp_ieee_underflow 0
		.amdhsa_exception_fp_ieee_inexact 0
		.amdhsa_exception_int_div_zero 0
	.end_amdhsa_kernel
	.section	.text._ZN7rocprim17ROCPRIM_400000_NS6detail17trampoline_kernelINS0_13select_configILj256ELj13ELNS0_17block_load_methodE3ELS4_3ELS4_3ELNS0_20block_scan_algorithmE0ELj4294967295EEENS1_25partition_config_selectorILNS1_17partition_subalgoE3EjNS0_10empty_typeEbEEZZNS1_14partition_implILS8_3ELb0ES6_jNS0_17counting_iteratorIjlEEPS9_SE_NS0_5tupleIJPjSE_EEENSF_IJSE_SE_EEES9_SG_JZNS1_25segmented_radix_sort_implINS0_14default_configELb1EPKfPfPKlPlN2at6native12_GLOBAL__N_18offset_tEEE10hipError_tPvRmT1_PNSt15iterator_traitsISY_E10value_typeET2_T3_PNSZ_IS14_E10value_typeET4_jRbjT5_S1A_jjP12ihipStream_tbEUljE_EEESV_SW_SX_S14_S18_S1A_T6_T7_T9_mT8_S1C_bDpT10_ENKUlT_T0_E_clISt17integral_constantIbLb1EES1O_IbLb0EEEEDaS1K_S1L_EUlS1K_E_NS1_11comp_targetILNS1_3genE5ELNS1_11target_archE942ELNS1_3gpuE9ELNS1_3repE0EEENS1_30default_config_static_selectorELNS0_4arch9wavefront6targetE0EEEvSY_,"axG",@progbits,_ZN7rocprim17ROCPRIM_400000_NS6detail17trampoline_kernelINS0_13select_configILj256ELj13ELNS0_17block_load_methodE3ELS4_3ELS4_3ELNS0_20block_scan_algorithmE0ELj4294967295EEENS1_25partition_config_selectorILNS1_17partition_subalgoE3EjNS0_10empty_typeEbEEZZNS1_14partition_implILS8_3ELb0ES6_jNS0_17counting_iteratorIjlEEPS9_SE_NS0_5tupleIJPjSE_EEENSF_IJSE_SE_EEES9_SG_JZNS1_25segmented_radix_sort_implINS0_14default_configELb1EPKfPfPKlPlN2at6native12_GLOBAL__N_18offset_tEEE10hipError_tPvRmT1_PNSt15iterator_traitsISY_E10value_typeET2_T3_PNSZ_IS14_E10value_typeET4_jRbjT5_S1A_jjP12ihipStream_tbEUljE_EEESV_SW_SX_S14_S18_S1A_T6_T7_T9_mT8_S1C_bDpT10_ENKUlT_T0_E_clISt17integral_constantIbLb1EES1O_IbLb0EEEEDaS1K_S1L_EUlS1K_E_NS1_11comp_targetILNS1_3genE5ELNS1_11target_archE942ELNS1_3gpuE9ELNS1_3repE0EEENS1_30default_config_static_selectorELNS0_4arch9wavefront6targetE0EEEvSY_,comdat
.Lfunc_end1310:
	.size	_ZN7rocprim17ROCPRIM_400000_NS6detail17trampoline_kernelINS0_13select_configILj256ELj13ELNS0_17block_load_methodE3ELS4_3ELS4_3ELNS0_20block_scan_algorithmE0ELj4294967295EEENS1_25partition_config_selectorILNS1_17partition_subalgoE3EjNS0_10empty_typeEbEEZZNS1_14partition_implILS8_3ELb0ES6_jNS0_17counting_iteratorIjlEEPS9_SE_NS0_5tupleIJPjSE_EEENSF_IJSE_SE_EEES9_SG_JZNS1_25segmented_radix_sort_implINS0_14default_configELb1EPKfPfPKlPlN2at6native12_GLOBAL__N_18offset_tEEE10hipError_tPvRmT1_PNSt15iterator_traitsISY_E10value_typeET2_T3_PNSZ_IS14_E10value_typeET4_jRbjT5_S1A_jjP12ihipStream_tbEUljE_EEESV_SW_SX_S14_S18_S1A_T6_T7_T9_mT8_S1C_bDpT10_ENKUlT_T0_E_clISt17integral_constantIbLb1EES1O_IbLb0EEEEDaS1K_S1L_EUlS1K_E_NS1_11comp_targetILNS1_3genE5ELNS1_11target_archE942ELNS1_3gpuE9ELNS1_3repE0EEENS1_30default_config_static_selectorELNS0_4arch9wavefront6targetE0EEEvSY_, .Lfunc_end1310-_ZN7rocprim17ROCPRIM_400000_NS6detail17trampoline_kernelINS0_13select_configILj256ELj13ELNS0_17block_load_methodE3ELS4_3ELS4_3ELNS0_20block_scan_algorithmE0ELj4294967295EEENS1_25partition_config_selectorILNS1_17partition_subalgoE3EjNS0_10empty_typeEbEEZZNS1_14partition_implILS8_3ELb0ES6_jNS0_17counting_iteratorIjlEEPS9_SE_NS0_5tupleIJPjSE_EEENSF_IJSE_SE_EEES9_SG_JZNS1_25segmented_radix_sort_implINS0_14default_configELb1EPKfPfPKlPlN2at6native12_GLOBAL__N_18offset_tEEE10hipError_tPvRmT1_PNSt15iterator_traitsISY_E10value_typeET2_T3_PNSZ_IS14_E10value_typeET4_jRbjT5_S1A_jjP12ihipStream_tbEUljE_EEESV_SW_SX_S14_S18_S1A_T6_T7_T9_mT8_S1C_bDpT10_ENKUlT_T0_E_clISt17integral_constantIbLb1EES1O_IbLb0EEEEDaS1K_S1L_EUlS1K_E_NS1_11comp_targetILNS1_3genE5ELNS1_11target_archE942ELNS1_3gpuE9ELNS1_3repE0EEENS1_30default_config_static_selectorELNS0_4arch9wavefront6targetE0EEEvSY_
                                        ; -- End function
	.set _ZN7rocprim17ROCPRIM_400000_NS6detail17trampoline_kernelINS0_13select_configILj256ELj13ELNS0_17block_load_methodE3ELS4_3ELS4_3ELNS0_20block_scan_algorithmE0ELj4294967295EEENS1_25partition_config_selectorILNS1_17partition_subalgoE3EjNS0_10empty_typeEbEEZZNS1_14partition_implILS8_3ELb0ES6_jNS0_17counting_iteratorIjlEEPS9_SE_NS0_5tupleIJPjSE_EEENSF_IJSE_SE_EEES9_SG_JZNS1_25segmented_radix_sort_implINS0_14default_configELb1EPKfPfPKlPlN2at6native12_GLOBAL__N_18offset_tEEE10hipError_tPvRmT1_PNSt15iterator_traitsISY_E10value_typeET2_T3_PNSZ_IS14_E10value_typeET4_jRbjT5_S1A_jjP12ihipStream_tbEUljE_EEESV_SW_SX_S14_S18_S1A_T6_T7_T9_mT8_S1C_bDpT10_ENKUlT_T0_E_clISt17integral_constantIbLb1EES1O_IbLb0EEEEDaS1K_S1L_EUlS1K_E_NS1_11comp_targetILNS1_3genE5ELNS1_11target_archE942ELNS1_3gpuE9ELNS1_3repE0EEENS1_30default_config_static_selectorELNS0_4arch9wavefront6targetE0EEEvSY_.num_vgpr, 0
	.set _ZN7rocprim17ROCPRIM_400000_NS6detail17trampoline_kernelINS0_13select_configILj256ELj13ELNS0_17block_load_methodE3ELS4_3ELS4_3ELNS0_20block_scan_algorithmE0ELj4294967295EEENS1_25partition_config_selectorILNS1_17partition_subalgoE3EjNS0_10empty_typeEbEEZZNS1_14partition_implILS8_3ELb0ES6_jNS0_17counting_iteratorIjlEEPS9_SE_NS0_5tupleIJPjSE_EEENSF_IJSE_SE_EEES9_SG_JZNS1_25segmented_radix_sort_implINS0_14default_configELb1EPKfPfPKlPlN2at6native12_GLOBAL__N_18offset_tEEE10hipError_tPvRmT1_PNSt15iterator_traitsISY_E10value_typeET2_T3_PNSZ_IS14_E10value_typeET4_jRbjT5_S1A_jjP12ihipStream_tbEUljE_EEESV_SW_SX_S14_S18_S1A_T6_T7_T9_mT8_S1C_bDpT10_ENKUlT_T0_E_clISt17integral_constantIbLb1EES1O_IbLb0EEEEDaS1K_S1L_EUlS1K_E_NS1_11comp_targetILNS1_3genE5ELNS1_11target_archE942ELNS1_3gpuE9ELNS1_3repE0EEENS1_30default_config_static_selectorELNS0_4arch9wavefront6targetE0EEEvSY_.num_agpr, 0
	.set _ZN7rocprim17ROCPRIM_400000_NS6detail17trampoline_kernelINS0_13select_configILj256ELj13ELNS0_17block_load_methodE3ELS4_3ELS4_3ELNS0_20block_scan_algorithmE0ELj4294967295EEENS1_25partition_config_selectorILNS1_17partition_subalgoE3EjNS0_10empty_typeEbEEZZNS1_14partition_implILS8_3ELb0ES6_jNS0_17counting_iteratorIjlEEPS9_SE_NS0_5tupleIJPjSE_EEENSF_IJSE_SE_EEES9_SG_JZNS1_25segmented_radix_sort_implINS0_14default_configELb1EPKfPfPKlPlN2at6native12_GLOBAL__N_18offset_tEEE10hipError_tPvRmT1_PNSt15iterator_traitsISY_E10value_typeET2_T3_PNSZ_IS14_E10value_typeET4_jRbjT5_S1A_jjP12ihipStream_tbEUljE_EEESV_SW_SX_S14_S18_S1A_T6_T7_T9_mT8_S1C_bDpT10_ENKUlT_T0_E_clISt17integral_constantIbLb1EES1O_IbLb0EEEEDaS1K_S1L_EUlS1K_E_NS1_11comp_targetILNS1_3genE5ELNS1_11target_archE942ELNS1_3gpuE9ELNS1_3repE0EEENS1_30default_config_static_selectorELNS0_4arch9wavefront6targetE0EEEvSY_.numbered_sgpr, 0
	.set _ZN7rocprim17ROCPRIM_400000_NS6detail17trampoline_kernelINS0_13select_configILj256ELj13ELNS0_17block_load_methodE3ELS4_3ELS4_3ELNS0_20block_scan_algorithmE0ELj4294967295EEENS1_25partition_config_selectorILNS1_17partition_subalgoE3EjNS0_10empty_typeEbEEZZNS1_14partition_implILS8_3ELb0ES6_jNS0_17counting_iteratorIjlEEPS9_SE_NS0_5tupleIJPjSE_EEENSF_IJSE_SE_EEES9_SG_JZNS1_25segmented_radix_sort_implINS0_14default_configELb1EPKfPfPKlPlN2at6native12_GLOBAL__N_18offset_tEEE10hipError_tPvRmT1_PNSt15iterator_traitsISY_E10value_typeET2_T3_PNSZ_IS14_E10value_typeET4_jRbjT5_S1A_jjP12ihipStream_tbEUljE_EEESV_SW_SX_S14_S18_S1A_T6_T7_T9_mT8_S1C_bDpT10_ENKUlT_T0_E_clISt17integral_constantIbLb1EES1O_IbLb0EEEEDaS1K_S1L_EUlS1K_E_NS1_11comp_targetILNS1_3genE5ELNS1_11target_archE942ELNS1_3gpuE9ELNS1_3repE0EEENS1_30default_config_static_selectorELNS0_4arch9wavefront6targetE0EEEvSY_.num_named_barrier, 0
	.set _ZN7rocprim17ROCPRIM_400000_NS6detail17trampoline_kernelINS0_13select_configILj256ELj13ELNS0_17block_load_methodE3ELS4_3ELS4_3ELNS0_20block_scan_algorithmE0ELj4294967295EEENS1_25partition_config_selectorILNS1_17partition_subalgoE3EjNS0_10empty_typeEbEEZZNS1_14partition_implILS8_3ELb0ES6_jNS0_17counting_iteratorIjlEEPS9_SE_NS0_5tupleIJPjSE_EEENSF_IJSE_SE_EEES9_SG_JZNS1_25segmented_radix_sort_implINS0_14default_configELb1EPKfPfPKlPlN2at6native12_GLOBAL__N_18offset_tEEE10hipError_tPvRmT1_PNSt15iterator_traitsISY_E10value_typeET2_T3_PNSZ_IS14_E10value_typeET4_jRbjT5_S1A_jjP12ihipStream_tbEUljE_EEESV_SW_SX_S14_S18_S1A_T6_T7_T9_mT8_S1C_bDpT10_ENKUlT_T0_E_clISt17integral_constantIbLb1EES1O_IbLb0EEEEDaS1K_S1L_EUlS1K_E_NS1_11comp_targetILNS1_3genE5ELNS1_11target_archE942ELNS1_3gpuE9ELNS1_3repE0EEENS1_30default_config_static_selectorELNS0_4arch9wavefront6targetE0EEEvSY_.private_seg_size, 0
	.set _ZN7rocprim17ROCPRIM_400000_NS6detail17trampoline_kernelINS0_13select_configILj256ELj13ELNS0_17block_load_methodE3ELS4_3ELS4_3ELNS0_20block_scan_algorithmE0ELj4294967295EEENS1_25partition_config_selectorILNS1_17partition_subalgoE3EjNS0_10empty_typeEbEEZZNS1_14partition_implILS8_3ELb0ES6_jNS0_17counting_iteratorIjlEEPS9_SE_NS0_5tupleIJPjSE_EEENSF_IJSE_SE_EEES9_SG_JZNS1_25segmented_radix_sort_implINS0_14default_configELb1EPKfPfPKlPlN2at6native12_GLOBAL__N_18offset_tEEE10hipError_tPvRmT1_PNSt15iterator_traitsISY_E10value_typeET2_T3_PNSZ_IS14_E10value_typeET4_jRbjT5_S1A_jjP12ihipStream_tbEUljE_EEESV_SW_SX_S14_S18_S1A_T6_T7_T9_mT8_S1C_bDpT10_ENKUlT_T0_E_clISt17integral_constantIbLb1EES1O_IbLb0EEEEDaS1K_S1L_EUlS1K_E_NS1_11comp_targetILNS1_3genE5ELNS1_11target_archE942ELNS1_3gpuE9ELNS1_3repE0EEENS1_30default_config_static_selectorELNS0_4arch9wavefront6targetE0EEEvSY_.uses_vcc, 0
	.set _ZN7rocprim17ROCPRIM_400000_NS6detail17trampoline_kernelINS0_13select_configILj256ELj13ELNS0_17block_load_methodE3ELS4_3ELS4_3ELNS0_20block_scan_algorithmE0ELj4294967295EEENS1_25partition_config_selectorILNS1_17partition_subalgoE3EjNS0_10empty_typeEbEEZZNS1_14partition_implILS8_3ELb0ES6_jNS0_17counting_iteratorIjlEEPS9_SE_NS0_5tupleIJPjSE_EEENSF_IJSE_SE_EEES9_SG_JZNS1_25segmented_radix_sort_implINS0_14default_configELb1EPKfPfPKlPlN2at6native12_GLOBAL__N_18offset_tEEE10hipError_tPvRmT1_PNSt15iterator_traitsISY_E10value_typeET2_T3_PNSZ_IS14_E10value_typeET4_jRbjT5_S1A_jjP12ihipStream_tbEUljE_EEESV_SW_SX_S14_S18_S1A_T6_T7_T9_mT8_S1C_bDpT10_ENKUlT_T0_E_clISt17integral_constantIbLb1EES1O_IbLb0EEEEDaS1K_S1L_EUlS1K_E_NS1_11comp_targetILNS1_3genE5ELNS1_11target_archE942ELNS1_3gpuE9ELNS1_3repE0EEENS1_30default_config_static_selectorELNS0_4arch9wavefront6targetE0EEEvSY_.uses_flat_scratch, 0
	.set _ZN7rocprim17ROCPRIM_400000_NS6detail17trampoline_kernelINS0_13select_configILj256ELj13ELNS0_17block_load_methodE3ELS4_3ELS4_3ELNS0_20block_scan_algorithmE0ELj4294967295EEENS1_25partition_config_selectorILNS1_17partition_subalgoE3EjNS0_10empty_typeEbEEZZNS1_14partition_implILS8_3ELb0ES6_jNS0_17counting_iteratorIjlEEPS9_SE_NS0_5tupleIJPjSE_EEENSF_IJSE_SE_EEES9_SG_JZNS1_25segmented_radix_sort_implINS0_14default_configELb1EPKfPfPKlPlN2at6native12_GLOBAL__N_18offset_tEEE10hipError_tPvRmT1_PNSt15iterator_traitsISY_E10value_typeET2_T3_PNSZ_IS14_E10value_typeET4_jRbjT5_S1A_jjP12ihipStream_tbEUljE_EEESV_SW_SX_S14_S18_S1A_T6_T7_T9_mT8_S1C_bDpT10_ENKUlT_T0_E_clISt17integral_constantIbLb1EES1O_IbLb0EEEEDaS1K_S1L_EUlS1K_E_NS1_11comp_targetILNS1_3genE5ELNS1_11target_archE942ELNS1_3gpuE9ELNS1_3repE0EEENS1_30default_config_static_selectorELNS0_4arch9wavefront6targetE0EEEvSY_.has_dyn_sized_stack, 0
	.set _ZN7rocprim17ROCPRIM_400000_NS6detail17trampoline_kernelINS0_13select_configILj256ELj13ELNS0_17block_load_methodE3ELS4_3ELS4_3ELNS0_20block_scan_algorithmE0ELj4294967295EEENS1_25partition_config_selectorILNS1_17partition_subalgoE3EjNS0_10empty_typeEbEEZZNS1_14partition_implILS8_3ELb0ES6_jNS0_17counting_iteratorIjlEEPS9_SE_NS0_5tupleIJPjSE_EEENSF_IJSE_SE_EEES9_SG_JZNS1_25segmented_radix_sort_implINS0_14default_configELb1EPKfPfPKlPlN2at6native12_GLOBAL__N_18offset_tEEE10hipError_tPvRmT1_PNSt15iterator_traitsISY_E10value_typeET2_T3_PNSZ_IS14_E10value_typeET4_jRbjT5_S1A_jjP12ihipStream_tbEUljE_EEESV_SW_SX_S14_S18_S1A_T6_T7_T9_mT8_S1C_bDpT10_ENKUlT_T0_E_clISt17integral_constantIbLb1EES1O_IbLb0EEEEDaS1K_S1L_EUlS1K_E_NS1_11comp_targetILNS1_3genE5ELNS1_11target_archE942ELNS1_3gpuE9ELNS1_3repE0EEENS1_30default_config_static_selectorELNS0_4arch9wavefront6targetE0EEEvSY_.has_recursion, 0
	.set _ZN7rocprim17ROCPRIM_400000_NS6detail17trampoline_kernelINS0_13select_configILj256ELj13ELNS0_17block_load_methodE3ELS4_3ELS4_3ELNS0_20block_scan_algorithmE0ELj4294967295EEENS1_25partition_config_selectorILNS1_17partition_subalgoE3EjNS0_10empty_typeEbEEZZNS1_14partition_implILS8_3ELb0ES6_jNS0_17counting_iteratorIjlEEPS9_SE_NS0_5tupleIJPjSE_EEENSF_IJSE_SE_EEES9_SG_JZNS1_25segmented_radix_sort_implINS0_14default_configELb1EPKfPfPKlPlN2at6native12_GLOBAL__N_18offset_tEEE10hipError_tPvRmT1_PNSt15iterator_traitsISY_E10value_typeET2_T3_PNSZ_IS14_E10value_typeET4_jRbjT5_S1A_jjP12ihipStream_tbEUljE_EEESV_SW_SX_S14_S18_S1A_T6_T7_T9_mT8_S1C_bDpT10_ENKUlT_T0_E_clISt17integral_constantIbLb1EES1O_IbLb0EEEEDaS1K_S1L_EUlS1K_E_NS1_11comp_targetILNS1_3genE5ELNS1_11target_archE942ELNS1_3gpuE9ELNS1_3repE0EEENS1_30default_config_static_selectorELNS0_4arch9wavefront6targetE0EEEvSY_.has_indirect_call, 0
	.section	.AMDGPU.csdata,"",@progbits
; Kernel info:
; codeLenInByte = 0
; TotalNumSgprs: 0
; NumVgprs: 0
; ScratchSize: 0
; MemoryBound: 0
; FloatMode: 240
; IeeeMode: 1
; LDSByteSize: 0 bytes/workgroup (compile time only)
; SGPRBlocks: 0
; VGPRBlocks: 0
; NumSGPRsForWavesPerEU: 1
; NumVGPRsForWavesPerEU: 1
; Occupancy: 16
; WaveLimiterHint : 0
; COMPUTE_PGM_RSRC2:SCRATCH_EN: 0
; COMPUTE_PGM_RSRC2:USER_SGPR: 2
; COMPUTE_PGM_RSRC2:TRAP_HANDLER: 0
; COMPUTE_PGM_RSRC2:TGID_X_EN: 1
; COMPUTE_PGM_RSRC2:TGID_Y_EN: 0
; COMPUTE_PGM_RSRC2:TGID_Z_EN: 0
; COMPUTE_PGM_RSRC2:TIDIG_COMP_CNT: 0
	.section	.text._ZN7rocprim17ROCPRIM_400000_NS6detail17trampoline_kernelINS0_13select_configILj256ELj13ELNS0_17block_load_methodE3ELS4_3ELS4_3ELNS0_20block_scan_algorithmE0ELj4294967295EEENS1_25partition_config_selectorILNS1_17partition_subalgoE3EjNS0_10empty_typeEbEEZZNS1_14partition_implILS8_3ELb0ES6_jNS0_17counting_iteratorIjlEEPS9_SE_NS0_5tupleIJPjSE_EEENSF_IJSE_SE_EEES9_SG_JZNS1_25segmented_radix_sort_implINS0_14default_configELb1EPKfPfPKlPlN2at6native12_GLOBAL__N_18offset_tEEE10hipError_tPvRmT1_PNSt15iterator_traitsISY_E10value_typeET2_T3_PNSZ_IS14_E10value_typeET4_jRbjT5_S1A_jjP12ihipStream_tbEUljE_EEESV_SW_SX_S14_S18_S1A_T6_T7_T9_mT8_S1C_bDpT10_ENKUlT_T0_E_clISt17integral_constantIbLb1EES1O_IbLb0EEEEDaS1K_S1L_EUlS1K_E_NS1_11comp_targetILNS1_3genE4ELNS1_11target_archE910ELNS1_3gpuE8ELNS1_3repE0EEENS1_30default_config_static_selectorELNS0_4arch9wavefront6targetE0EEEvSY_,"axG",@progbits,_ZN7rocprim17ROCPRIM_400000_NS6detail17trampoline_kernelINS0_13select_configILj256ELj13ELNS0_17block_load_methodE3ELS4_3ELS4_3ELNS0_20block_scan_algorithmE0ELj4294967295EEENS1_25partition_config_selectorILNS1_17partition_subalgoE3EjNS0_10empty_typeEbEEZZNS1_14partition_implILS8_3ELb0ES6_jNS0_17counting_iteratorIjlEEPS9_SE_NS0_5tupleIJPjSE_EEENSF_IJSE_SE_EEES9_SG_JZNS1_25segmented_radix_sort_implINS0_14default_configELb1EPKfPfPKlPlN2at6native12_GLOBAL__N_18offset_tEEE10hipError_tPvRmT1_PNSt15iterator_traitsISY_E10value_typeET2_T3_PNSZ_IS14_E10value_typeET4_jRbjT5_S1A_jjP12ihipStream_tbEUljE_EEESV_SW_SX_S14_S18_S1A_T6_T7_T9_mT8_S1C_bDpT10_ENKUlT_T0_E_clISt17integral_constantIbLb1EES1O_IbLb0EEEEDaS1K_S1L_EUlS1K_E_NS1_11comp_targetILNS1_3genE4ELNS1_11target_archE910ELNS1_3gpuE8ELNS1_3repE0EEENS1_30default_config_static_selectorELNS0_4arch9wavefront6targetE0EEEvSY_,comdat
	.globl	_ZN7rocprim17ROCPRIM_400000_NS6detail17trampoline_kernelINS0_13select_configILj256ELj13ELNS0_17block_load_methodE3ELS4_3ELS4_3ELNS0_20block_scan_algorithmE0ELj4294967295EEENS1_25partition_config_selectorILNS1_17partition_subalgoE3EjNS0_10empty_typeEbEEZZNS1_14partition_implILS8_3ELb0ES6_jNS0_17counting_iteratorIjlEEPS9_SE_NS0_5tupleIJPjSE_EEENSF_IJSE_SE_EEES9_SG_JZNS1_25segmented_radix_sort_implINS0_14default_configELb1EPKfPfPKlPlN2at6native12_GLOBAL__N_18offset_tEEE10hipError_tPvRmT1_PNSt15iterator_traitsISY_E10value_typeET2_T3_PNSZ_IS14_E10value_typeET4_jRbjT5_S1A_jjP12ihipStream_tbEUljE_EEESV_SW_SX_S14_S18_S1A_T6_T7_T9_mT8_S1C_bDpT10_ENKUlT_T0_E_clISt17integral_constantIbLb1EES1O_IbLb0EEEEDaS1K_S1L_EUlS1K_E_NS1_11comp_targetILNS1_3genE4ELNS1_11target_archE910ELNS1_3gpuE8ELNS1_3repE0EEENS1_30default_config_static_selectorELNS0_4arch9wavefront6targetE0EEEvSY_ ; -- Begin function _ZN7rocprim17ROCPRIM_400000_NS6detail17trampoline_kernelINS0_13select_configILj256ELj13ELNS0_17block_load_methodE3ELS4_3ELS4_3ELNS0_20block_scan_algorithmE0ELj4294967295EEENS1_25partition_config_selectorILNS1_17partition_subalgoE3EjNS0_10empty_typeEbEEZZNS1_14partition_implILS8_3ELb0ES6_jNS0_17counting_iteratorIjlEEPS9_SE_NS0_5tupleIJPjSE_EEENSF_IJSE_SE_EEES9_SG_JZNS1_25segmented_radix_sort_implINS0_14default_configELb1EPKfPfPKlPlN2at6native12_GLOBAL__N_18offset_tEEE10hipError_tPvRmT1_PNSt15iterator_traitsISY_E10value_typeET2_T3_PNSZ_IS14_E10value_typeET4_jRbjT5_S1A_jjP12ihipStream_tbEUljE_EEESV_SW_SX_S14_S18_S1A_T6_T7_T9_mT8_S1C_bDpT10_ENKUlT_T0_E_clISt17integral_constantIbLb1EES1O_IbLb0EEEEDaS1K_S1L_EUlS1K_E_NS1_11comp_targetILNS1_3genE4ELNS1_11target_archE910ELNS1_3gpuE8ELNS1_3repE0EEENS1_30default_config_static_selectorELNS0_4arch9wavefront6targetE0EEEvSY_
	.p2align	8
	.type	_ZN7rocprim17ROCPRIM_400000_NS6detail17trampoline_kernelINS0_13select_configILj256ELj13ELNS0_17block_load_methodE3ELS4_3ELS4_3ELNS0_20block_scan_algorithmE0ELj4294967295EEENS1_25partition_config_selectorILNS1_17partition_subalgoE3EjNS0_10empty_typeEbEEZZNS1_14partition_implILS8_3ELb0ES6_jNS0_17counting_iteratorIjlEEPS9_SE_NS0_5tupleIJPjSE_EEENSF_IJSE_SE_EEES9_SG_JZNS1_25segmented_radix_sort_implINS0_14default_configELb1EPKfPfPKlPlN2at6native12_GLOBAL__N_18offset_tEEE10hipError_tPvRmT1_PNSt15iterator_traitsISY_E10value_typeET2_T3_PNSZ_IS14_E10value_typeET4_jRbjT5_S1A_jjP12ihipStream_tbEUljE_EEESV_SW_SX_S14_S18_S1A_T6_T7_T9_mT8_S1C_bDpT10_ENKUlT_T0_E_clISt17integral_constantIbLb1EES1O_IbLb0EEEEDaS1K_S1L_EUlS1K_E_NS1_11comp_targetILNS1_3genE4ELNS1_11target_archE910ELNS1_3gpuE8ELNS1_3repE0EEENS1_30default_config_static_selectorELNS0_4arch9wavefront6targetE0EEEvSY_,@function
_ZN7rocprim17ROCPRIM_400000_NS6detail17trampoline_kernelINS0_13select_configILj256ELj13ELNS0_17block_load_methodE3ELS4_3ELS4_3ELNS0_20block_scan_algorithmE0ELj4294967295EEENS1_25partition_config_selectorILNS1_17partition_subalgoE3EjNS0_10empty_typeEbEEZZNS1_14partition_implILS8_3ELb0ES6_jNS0_17counting_iteratorIjlEEPS9_SE_NS0_5tupleIJPjSE_EEENSF_IJSE_SE_EEES9_SG_JZNS1_25segmented_radix_sort_implINS0_14default_configELb1EPKfPfPKlPlN2at6native12_GLOBAL__N_18offset_tEEE10hipError_tPvRmT1_PNSt15iterator_traitsISY_E10value_typeET2_T3_PNSZ_IS14_E10value_typeET4_jRbjT5_S1A_jjP12ihipStream_tbEUljE_EEESV_SW_SX_S14_S18_S1A_T6_T7_T9_mT8_S1C_bDpT10_ENKUlT_T0_E_clISt17integral_constantIbLb1EES1O_IbLb0EEEEDaS1K_S1L_EUlS1K_E_NS1_11comp_targetILNS1_3genE4ELNS1_11target_archE910ELNS1_3gpuE8ELNS1_3repE0EEENS1_30default_config_static_selectorELNS0_4arch9wavefront6targetE0EEEvSY_: ; @_ZN7rocprim17ROCPRIM_400000_NS6detail17trampoline_kernelINS0_13select_configILj256ELj13ELNS0_17block_load_methodE3ELS4_3ELS4_3ELNS0_20block_scan_algorithmE0ELj4294967295EEENS1_25partition_config_selectorILNS1_17partition_subalgoE3EjNS0_10empty_typeEbEEZZNS1_14partition_implILS8_3ELb0ES6_jNS0_17counting_iteratorIjlEEPS9_SE_NS0_5tupleIJPjSE_EEENSF_IJSE_SE_EEES9_SG_JZNS1_25segmented_radix_sort_implINS0_14default_configELb1EPKfPfPKlPlN2at6native12_GLOBAL__N_18offset_tEEE10hipError_tPvRmT1_PNSt15iterator_traitsISY_E10value_typeET2_T3_PNSZ_IS14_E10value_typeET4_jRbjT5_S1A_jjP12ihipStream_tbEUljE_EEESV_SW_SX_S14_S18_S1A_T6_T7_T9_mT8_S1C_bDpT10_ENKUlT_T0_E_clISt17integral_constantIbLb1EES1O_IbLb0EEEEDaS1K_S1L_EUlS1K_E_NS1_11comp_targetILNS1_3genE4ELNS1_11target_archE910ELNS1_3gpuE8ELNS1_3repE0EEENS1_30default_config_static_selectorELNS0_4arch9wavefront6targetE0EEEvSY_
; %bb.0:
	.section	.rodata,"a",@progbits
	.p2align	6, 0x0
	.amdhsa_kernel _ZN7rocprim17ROCPRIM_400000_NS6detail17trampoline_kernelINS0_13select_configILj256ELj13ELNS0_17block_load_methodE3ELS4_3ELS4_3ELNS0_20block_scan_algorithmE0ELj4294967295EEENS1_25partition_config_selectorILNS1_17partition_subalgoE3EjNS0_10empty_typeEbEEZZNS1_14partition_implILS8_3ELb0ES6_jNS0_17counting_iteratorIjlEEPS9_SE_NS0_5tupleIJPjSE_EEENSF_IJSE_SE_EEES9_SG_JZNS1_25segmented_radix_sort_implINS0_14default_configELb1EPKfPfPKlPlN2at6native12_GLOBAL__N_18offset_tEEE10hipError_tPvRmT1_PNSt15iterator_traitsISY_E10value_typeET2_T3_PNSZ_IS14_E10value_typeET4_jRbjT5_S1A_jjP12ihipStream_tbEUljE_EEESV_SW_SX_S14_S18_S1A_T6_T7_T9_mT8_S1C_bDpT10_ENKUlT_T0_E_clISt17integral_constantIbLb1EES1O_IbLb0EEEEDaS1K_S1L_EUlS1K_E_NS1_11comp_targetILNS1_3genE4ELNS1_11target_archE910ELNS1_3gpuE8ELNS1_3repE0EEENS1_30default_config_static_selectorELNS0_4arch9wavefront6targetE0EEEvSY_
		.amdhsa_group_segment_fixed_size 0
		.amdhsa_private_segment_fixed_size 0
		.amdhsa_kernarg_size 144
		.amdhsa_user_sgpr_count 2
		.amdhsa_user_sgpr_dispatch_ptr 0
		.amdhsa_user_sgpr_queue_ptr 0
		.amdhsa_user_sgpr_kernarg_segment_ptr 1
		.amdhsa_user_sgpr_dispatch_id 0
		.amdhsa_user_sgpr_private_segment_size 0
		.amdhsa_wavefront_size32 1
		.amdhsa_uses_dynamic_stack 0
		.amdhsa_enable_private_segment 0
		.amdhsa_system_sgpr_workgroup_id_x 1
		.amdhsa_system_sgpr_workgroup_id_y 0
		.amdhsa_system_sgpr_workgroup_id_z 0
		.amdhsa_system_sgpr_workgroup_info 0
		.amdhsa_system_vgpr_workitem_id 0
		.amdhsa_next_free_vgpr 1
		.amdhsa_next_free_sgpr 1
		.amdhsa_reserve_vcc 0
		.amdhsa_float_round_mode_32 0
		.amdhsa_float_round_mode_16_64 0
		.amdhsa_float_denorm_mode_32 3
		.amdhsa_float_denorm_mode_16_64 3
		.amdhsa_fp16_overflow 0
		.amdhsa_workgroup_processor_mode 1
		.amdhsa_memory_ordered 1
		.amdhsa_forward_progress 1
		.amdhsa_inst_pref_size 0
		.amdhsa_round_robin_scheduling 0
		.amdhsa_exception_fp_ieee_invalid_op 0
		.amdhsa_exception_fp_denorm_src 0
		.amdhsa_exception_fp_ieee_div_zero 0
		.amdhsa_exception_fp_ieee_overflow 0
		.amdhsa_exception_fp_ieee_underflow 0
		.amdhsa_exception_fp_ieee_inexact 0
		.amdhsa_exception_int_div_zero 0
	.end_amdhsa_kernel
	.section	.text._ZN7rocprim17ROCPRIM_400000_NS6detail17trampoline_kernelINS0_13select_configILj256ELj13ELNS0_17block_load_methodE3ELS4_3ELS4_3ELNS0_20block_scan_algorithmE0ELj4294967295EEENS1_25partition_config_selectorILNS1_17partition_subalgoE3EjNS0_10empty_typeEbEEZZNS1_14partition_implILS8_3ELb0ES6_jNS0_17counting_iteratorIjlEEPS9_SE_NS0_5tupleIJPjSE_EEENSF_IJSE_SE_EEES9_SG_JZNS1_25segmented_radix_sort_implINS0_14default_configELb1EPKfPfPKlPlN2at6native12_GLOBAL__N_18offset_tEEE10hipError_tPvRmT1_PNSt15iterator_traitsISY_E10value_typeET2_T3_PNSZ_IS14_E10value_typeET4_jRbjT5_S1A_jjP12ihipStream_tbEUljE_EEESV_SW_SX_S14_S18_S1A_T6_T7_T9_mT8_S1C_bDpT10_ENKUlT_T0_E_clISt17integral_constantIbLb1EES1O_IbLb0EEEEDaS1K_S1L_EUlS1K_E_NS1_11comp_targetILNS1_3genE4ELNS1_11target_archE910ELNS1_3gpuE8ELNS1_3repE0EEENS1_30default_config_static_selectorELNS0_4arch9wavefront6targetE0EEEvSY_,"axG",@progbits,_ZN7rocprim17ROCPRIM_400000_NS6detail17trampoline_kernelINS0_13select_configILj256ELj13ELNS0_17block_load_methodE3ELS4_3ELS4_3ELNS0_20block_scan_algorithmE0ELj4294967295EEENS1_25partition_config_selectorILNS1_17partition_subalgoE3EjNS0_10empty_typeEbEEZZNS1_14partition_implILS8_3ELb0ES6_jNS0_17counting_iteratorIjlEEPS9_SE_NS0_5tupleIJPjSE_EEENSF_IJSE_SE_EEES9_SG_JZNS1_25segmented_radix_sort_implINS0_14default_configELb1EPKfPfPKlPlN2at6native12_GLOBAL__N_18offset_tEEE10hipError_tPvRmT1_PNSt15iterator_traitsISY_E10value_typeET2_T3_PNSZ_IS14_E10value_typeET4_jRbjT5_S1A_jjP12ihipStream_tbEUljE_EEESV_SW_SX_S14_S18_S1A_T6_T7_T9_mT8_S1C_bDpT10_ENKUlT_T0_E_clISt17integral_constantIbLb1EES1O_IbLb0EEEEDaS1K_S1L_EUlS1K_E_NS1_11comp_targetILNS1_3genE4ELNS1_11target_archE910ELNS1_3gpuE8ELNS1_3repE0EEENS1_30default_config_static_selectorELNS0_4arch9wavefront6targetE0EEEvSY_,comdat
.Lfunc_end1311:
	.size	_ZN7rocprim17ROCPRIM_400000_NS6detail17trampoline_kernelINS0_13select_configILj256ELj13ELNS0_17block_load_methodE3ELS4_3ELS4_3ELNS0_20block_scan_algorithmE0ELj4294967295EEENS1_25partition_config_selectorILNS1_17partition_subalgoE3EjNS0_10empty_typeEbEEZZNS1_14partition_implILS8_3ELb0ES6_jNS0_17counting_iteratorIjlEEPS9_SE_NS0_5tupleIJPjSE_EEENSF_IJSE_SE_EEES9_SG_JZNS1_25segmented_radix_sort_implINS0_14default_configELb1EPKfPfPKlPlN2at6native12_GLOBAL__N_18offset_tEEE10hipError_tPvRmT1_PNSt15iterator_traitsISY_E10value_typeET2_T3_PNSZ_IS14_E10value_typeET4_jRbjT5_S1A_jjP12ihipStream_tbEUljE_EEESV_SW_SX_S14_S18_S1A_T6_T7_T9_mT8_S1C_bDpT10_ENKUlT_T0_E_clISt17integral_constantIbLb1EES1O_IbLb0EEEEDaS1K_S1L_EUlS1K_E_NS1_11comp_targetILNS1_3genE4ELNS1_11target_archE910ELNS1_3gpuE8ELNS1_3repE0EEENS1_30default_config_static_selectorELNS0_4arch9wavefront6targetE0EEEvSY_, .Lfunc_end1311-_ZN7rocprim17ROCPRIM_400000_NS6detail17trampoline_kernelINS0_13select_configILj256ELj13ELNS0_17block_load_methodE3ELS4_3ELS4_3ELNS0_20block_scan_algorithmE0ELj4294967295EEENS1_25partition_config_selectorILNS1_17partition_subalgoE3EjNS0_10empty_typeEbEEZZNS1_14partition_implILS8_3ELb0ES6_jNS0_17counting_iteratorIjlEEPS9_SE_NS0_5tupleIJPjSE_EEENSF_IJSE_SE_EEES9_SG_JZNS1_25segmented_radix_sort_implINS0_14default_configELb1EPKfPfPKlPlN2at6native12_GLOBAL__N_18offset_tEEE10hipError_tPvRmT1_PNSt15iterator_traitsISY_E10value_typeET2_T3_PNSZ_IS14_E10value_typeET4_jRbjT5_S1A_jjP12ihipStream_tbEUljE_EEESV_SW_SX_S14_S18_S1A_T6_T7_T9_mT8_S1C_bDpT10_ENKUlT_T0_E_clISt17integral_constantIbLb1EES1O_IbLb0EEEEDaS1K_S1L_EUlS1K_E_NS1_11comp_targetILNS1_3genE4ELNS1_11target_archE910ELNS1_3gpuE8ELNS1_3repE0EEENS1_30default_config_static_selectorELNS0_4arch9wavefront6targetE0EEEvSY_
                                        ; -- End function
	.set _ZN7rocprim17ROCPRIM_400000_NS6detail17trampoline_kernelINS0_13select_configILj256ELj13ELNS0_17block_load_methodE3ELS4_3ELS4_3ELNS0_20block_scan_algorithmE0ELj4294967295EEENS1_25partition_config_selectorILNS1_17partition_subalgoE3EjNS0_10empty_typeEbEEZZNS1_14partition_implILS8_3ELb0ES6_jNS0_17counting_iteratorIjlEEPS9_SE_NS0_5tupleIJPjSE_EEENSF_IJSE_SE_EEES9_SG_JZNS1_25segmented_radix_sort_implINS0_14default_configELb1EPKfPfPKlPlN2at6native12_GLOBAL__N_18offset_tEEE10hipError_tPvRmT1_PNSt15iterator_traitsISY_E10value_typeET2_T3_PNSZ_IS14_E10value_typeET4_jRbjT5_S1A_jjP12ihipStream_tbEUljE_EEESV_SW_SX_S14_S18_S1A_T6_T7_T9_mT8_S1C_bDpT10_ENKUlT_T0_E_clISt17integral_constantIbLb1EES1O_IbLb0EEEEDaS1K_S1L_EUlS1K_E_NS1_11comp_targetILNS1_3genE4ELNS1_11target_archE910ELNS1_3gpuE8ELNS1_3repE0EEENS1_30default_config_static_selectorELNS0_4arch9wavefront6targetE0EEEvSY_.num_vgpr, 0
	.set _ZN7rocprim17ROCPRIM_400000_NS6detail17trampoline_kernelINS0_13select_configILj256ELj13ELNS0_17block_load_methodE3ELS4_3ELS4_3ELNS0_20block_scan_algorithmE0ELj4294967295EEENS1_25partition_config_selectorILNS1_17partition_subalgoE3EjNS0_10empty_typeEbEEZZNS1_14partition_implILS8_3ELb0ES6_jNS0_17counting_iteratorIjlEEPS9_SE_NS0_5tupleIJPjSE_EEENSF_IJSE_SE_EEES9_SG_JZNS1_25segmented_radix_sort_implINS0_14default_configELb1EPKfPfPKlPlN2at6native12_GLOBAL__N_18offset_tEEE10hipError_tPvRmT1_PNSt15iterator_traitsISY_E10value_typeET2_T3_PNSZ_IS14_E10value_typeET4_jRbjT5_S1A_jjP12ihipStream_tbEUljE_EEESV_SW_SX_S14_S18_S1A_T6_T7_T9_mT8_S1C_bDpT10_ENKUlT_T0_E_clISt17integral_constantIbLb1EES1O_IbLb0EEEEDaS1K_S1L_EUlS1K_E_NS1_11comp_targetILNS1_3genE4ELNS1_11target_archE910ELNS1_3gpuE8ELNS1_3repE0EEENS1_30default_config_static_selectorELNS0_4arch9wavefront6targetE0EEEvSY_.num_agpr, 0
	.set _ZN7rocprim17ROCPRIM_400000_NS6detail17trampoline_kernelINS0_13select_configILj256ELj13ELNS0_17block_load_methodE3ELS4_3ELS4_3ELNS0_20block_scan_algorithmE0ELj4294967295EEENS1_25partition_config_selectorILNS1_17partition_subalgoE3EjNS0_10empty_typeEbEEZZNS1_14partition_implILS8_3ELb0ES6_jNS0_17counting_iteratorIjlEEPS9_SE_NS0_5tupleIJPjSE_EEENSF_IJSE_SE_EEES9_SG_JZNS1_25segmented_radix_sort_implINS0_14default_configELb1EPKfPfPKlPlN2at6native12_GLOBAL__N_18offset_tEEE10hipError_tPvRmT1_PNSt15iterator_traitsISY_E10value_typeET2_T3_PNSZ_IS14_E10value_typeET4_jRbjT5_S1A_jjP12ihipStream_tbEUljE_EEESV_SW_SX_S14_S18_S1A_T6_T7_T9_mT8_S1C_bDpT10_ENKUlT_T0_E_clISt17integral_constantIbLb1EES1O_IbLb0EEEEDaS1K_S1L_EUlS1K_E_NS1_11comp_targetILNS1_3genE4ELNS1_11target_archE910ELNS1_3gpuE8ELNS1_3repE0EEENS1_30default_config_static_selectorELNS0_4arch9wavefront6targetE0EEEvSY_.numbered_sgpr, 0
	.set _ZN7rocprim17ROCPRIM_400000_NS6detail17trampoline_kernelINS0_13select_configILj256ELj13ELNS0_17block_load_methodE3ELS4_3ELS4_3ELNS0_20block_scan_algorithmE0ELj4294967295EEENS1_25partition_config_selectorILNS1_17partition_subalgoE3EjNS0_10empty_typeEbEEZZNS1_14partition_implILS8_3ELb0ES6_jNS0_17counting_iteratorIjlEEPS9_SE_NS0_5tupleIJPjSE_EEENSF_IJSE_SE_EEES9_SG_JZNS1_25segmented_radix_sort_implINS0_14default_configELb1EPKfPfPKlPlN2at6native12_GLOBAL__N_18offset_tEEE10hipError_tPvRmT1_PNSt15iterator_traitsISY_E10value_typeET2_T3_PNSZ_IS14_E10value_typeET4_jRbjT5_S1A_jjP12ihipStream_tbEUljE_EEESV_SW_SX_S14_S18_S1A_T6_T7_T9_mT8_S1C_bDpT10_ENKUlT_T0_E_clISt17integral_constantIbLb1EES1O_IbLb0EEEEDaS1K_S1L_EUlS1K_E_NS1_11comp_targetILNS1_3genE4ELNS1_11target_archE910ELNS1_3gpuE8ELNS1_3repE0EEENS1_30default_config_static_selectorELNS0_4arch9wavefront6targetE0EEEvSY_.num_named_barrier, 0
	.set _ZN7rocprim17ROCPRIM_400000_NS6detail17trampoline_kernelINS0_13select_configILj256ELj13ELNS0_17block_load_methodE3ELS4_3ELS4_3ELNS0_20block_scan_algorithmE0ELj4294967295EEENS1_25partition_config_selectorILNS1_17partition_subalgoE3EjNS0_10empty_typeEbEEZZNS1_14partition_implILS8_3ELb0ES6_jNS0_17counting_iteratorIjlEEPS9_SE_NS0_5tupleIJPjSE_EEENSF_IJSE_SE_EEES9_SG_JZNS1_25segmented_radix_sort_implINS0_14default_configELb1EPKfPfPKlPlN2at6native12_GLOBAL__N_18offset_tEEE10hipError_tPvRmT1_PNSt15iterator_traitsISY_E10value_typeET2_T3_PNSZ_IS14_E10value_typeET4_jRbjT5_S1A_jjP12ihipStream_tbEUljE_EEESV_SW_SX_S14_S18_S1A_T6_T7_T9_mT8_S1C_bDpT10_ENKUlT_T0_E_clISt17integral_constantIbLb1EES1O_IbLb0EEEEDaS1K_S1L_EUlS1K_E_NS1_11comp_targetILNS1_3genE4ELNS1_11target_archE910ELNS1_3gpuE8ELNS1_3repE0EEENS1_30default_config_static_selectorELNS0_4arch9wavefront6targetE0EEEvSY_.private_seg_size, 0
	.set _ZN7rocprim17ROCPRIM_400000_NS6detail17trampoline_kernelINS0_13select_configILj256ELj13ELNS0_17block_load_methodE3ELS4_3ELS4_3ELNS0_20block_scan_algorithmE0ELj4294967295EEENS1_25partition_config_selectorILNS1_17partition_subalgoE3EjNS0_10empty_typeEbEEZZNS1_14partition_implILS8_3ELb0ES6_jNS0_17counting_iteratorIjlEEPS9_SE_NS0_5tupleIJPjSE_EEENSF_IJSE_SE_EEES9_SG_JZNS1_25segmented_radix_sort_implINS0_14default_configELb1EPKfPfPKlPlN2at6native12_GLOBAL__N_18offset_tEEE10hipError_tPvRmT1_PNSt15iterator_traitsISY_E10value_typeET2_T3_PNSZ_IS14_E10value_typeET4_jRbjT5_S1A_jjP12ihipStream_tbEUljE_EEESV_SW_SX_S14_S18_S1A_T6_T7_T9_mT8_S1C_bDpT10_ENKUlT_T0_E_clISt17integral_constantIbLb1EES1O_IbLb0EEEEDaS1K_S1L_EUlS1K_E_NS1_11comp_targetILNS1_3genE4ELNS1_11target_archE910ELNS1_3gpuE8ELNS1_3repE0EEENS1_30default_config_static_selectorELNS0_4arch9wavefront6targetE0EEEvSY_.uses_vcc, 0
	.set _ZN7rocprim17ROCPRIM_400000_NS6detail17trampoline_kernelINS0_13select_configILj256ELj13ELNS0_17block_load_methodE3ELS4_3ELS4_3ELNS0_20block_scan_algorithmE0ELj4294967295EEENS1_25partition_config_selectorILNS1_17partition_subalgoE3EjNS0_10empty_typeEbEEZZNS1_14partition_implILS8_3ELb0ES6_jNS0_17counting_iteratorIjlEEPS9_SE_NS0_5tupleIJPjSE_EEENSF_IJSE_SE_EEES9_SG_JZNS1_25segmented_radix_sort_implINS0_14default_configELb1EPKfPfPKlPlN2at6native12_GLOBAL__N_18offset_tEEE10hipError_tPvRmT1_PNSt15iterator_traitsISY_E10value_typeET2_T3_PNSZ_IS14_E10value_typeET4_jRbjT5_S1A_jjP12ihipStream_tbEUljE_EEESV_SW_SX_S14_S18_S1A_T6_T7_T9_mT8_S1C_bDpT10_ENKUlT_T0_E_clISt17integral_constantIbLb1EES1O_IbLb0EEEEDaS1K_S1L_EUlS1K_E_NS1_11comp_targetILNS1_3genE4ELNS1_11target_archE910ELNS1_3gpuE8ELNS1_3repE0EEENS1_30default_config_static_selectorELNS0_4arch9wavefront6targetE0EEEvSY_.uses_flat_scratch, 0
	.set _ZN7rocprim17ROCPRIM_400000_NS6detail17trampoline_kernelINS0_13select_configILj256ELj13ELNS0_17block_load_methodE3ELS4_3ELS4_3ELNS0_20block_scan_algorithmE0ELj4294967295EEENS1_25partition_config_selectorILNS1_17partition_subalgoE3EjNS0_10empty_typeEbEEZZNS1_14partition_implILS8_3ELb0ES6_jNS0_17counting_iteratorIjlEEPS9_SE_NS0_5tupleIJPjSE_EEENSF_IJSE_SE_EEES9_SG_JZNS1_25segmented_radix_sort_implINS0_14default_configELb1EPKfPfPKlPlN2at6native12_GLOBAL__N_18offset_tEEE10hipError_tPvRmT1_PNSt15iterator_traitsISY_E10value_typeET2_T3_PNSZ_IS14_E10value_typeET4_jRbjT5_S1A_jjP12ihipStream_tbEUljE_EEESV_SW_SX_S14_S18_S1A_T6_T7_T9_mT8_S1C_bDpT10_ENKUlT_T0_E_clISt17integral_constantIbLb1EES1O_IbLb0EEEEDaS1K_S1L_EUlS1K_E_NS1_11comp_targetILNS1_3genE4ELNS1_11target_archE910ELNS1_3gpuE8ELNS1_3repE0EEENS1_30default_config_static_selectorELNS0_4arch9wavefront6targetE0EEEvSY_.has_dyn_sized_stack, 0
	.set _ZN7rocprim17ROCPRIM_400000_NS6detail17trampoline_kernelINS0_13select_configILj256ELj13ELNS0_17block_load_methodE3ELS4_3ELS4_3ELNS0_20block_scan_algorithmE0ELj4294967295EEENS1_25partition_config_selectorILNS1_17partition_subalgoE3EjNS0_10empty_typeEbEEZZNS1_14partition_implILS8_3ELb0ES6_jNS0_17counting_iteratorIjlEEPS9_SE_NS0_5tupleIJPjSE_EEENSF_IJSE_SE_EEES9_SG_JZNS1_25segmented_radix_sort_implINS0_14default_configELb1EPKfPfPKlPlN2at6native12_GLOBAL__N_18offset_tEEE10hipError_tPvRmT1_PNSt15iterator_traitsISY_E10value_typeET2_T3_PNSZ_IS14_E10value_typeET4_jRbjT5_S1A_jjP12ihipStream_tbEUljE_EEESV_SW_SX_S14_S18_S1A_T6_T7_T9_mT8_S1C_bDpT10_ENKUlT_T0_E_clISt17integral_constantIbLb1EES1O_IbLb0EEEEDaS1K_S1L_EUlS1K_E_NS1_11comp_targetILNS1_3genE4ELNS1_11target_archE910ELNS1_3gpuE8ELNS1_3repE0EEENS1_30default_config_static_selectorELNS0_4arch9wavefront6targetE0EEEvSY_.has_recursion, 0
	.set _ZN7rocprim17ROCPRIM_400000_NS6detail17trampoline_kernelINS0_13select_configILj256ELj13ELNS0_17block_load_methodE3ELS4_3ELS4_3ELNS0_20block_scan_algorithmE0ELj4294967295EEENS1_25partition_config_selectorILNS1_17partition_subalgoE3EjNS0_10empty_typeEbEEZZNS1_14partition_implILS8_3ELb0ES6_jNS0_17counting_iteratorIjlEEPS9_SE_NS0_5tupleIJPjSE_EEENSF_IJSE_SE_EEES9_SG_JZNS1_25segmented_radix_sort_implINS0_14default_configELb1EPKfPfPKlPlN2at6native12_GLOBAL__N_18offset_tEEE10hipError_tPvRmT1_PNSt15iterator_traitsISY_E10value_typeET2_T3_PNSZ_IS14_E10value_typeET4_jRbjT5_S1A_jjP12ihipStream_tbEUljE_EEESV_SW_SX_S14_S18_S1A_T6_T7_T9_mT8_S1C_bDpT10_ENKUlT_T0_E_clISt17integral_constantIbLb1EES1O_IbLb0EEEEDaS1K_S1L_EUlS1K_E_NS1_11comp_targetILNS1_3genE4ELNS1_11target_archE910ELNS1_3gpuE8ELNS1_3repE0EEENS1_30default_config_static_selectorELNS0_4arch9wavefront6targetE0EEEvSY_.has_indirect_call, 0
	.section	.AMDGPU.csdata,"",@progbits
; Kernel info:
; codeLenInByte = 0
; TotalNumSgprs: 0
; NumVgprs: 0
; ScratchSize: 0
; MemoryBound: 0
; FloatMode: 240
; IeeeMode: 1
; LDSByteSize: 0 bytes/workgroup (compile time only)
; SGPRBlocks: 0
; VGPRBlocks: 0
; NumSGPRsForWavesPerEU: 1
; NumVGPRsForWavesPerEU: 1
; Occupancy: 16
; WaveLimiterHint : 0
; COMPUTE_PGM_RSRC2:SCRATCH_EN: 0
; COMPUTE_PGM_RSRC2:USER_SGPR: 2
; COMPUTE_PGM_RSRC2:TRAP_HANDLER: 0
; COMPUTE_PGM_RSRC2:TGID_X_EN: 1
; COMPUTE_PGM_RSRC2:TGID_Y_EN: 0
; COMPUTE_PGM_RSRC2:TGID_Z_EN: 0
; COMPUTE_PGM_RSRC2:TIDIG_COMP_CNT: 0
	.section	.text._ZN7rocprim17ROCPRIM_400000_NS6detail17trampoline_kernelINS0_13select_configILj256ELj13ELNS0_17block_load_methodE3ELS4_3ELS4_3ELNS0_20block_scan_algorithmE0ELj4294967295EEENS1_25partition_config_selectorILNS1_17partition_subalgoE3EjNS0_10empty_typeEbEEZZNS1_14partition_implILS8_3ELb0ES6_jNS0_17counting_iteratorIjlEEPS9_SE_NS0_5tupleIJPjSE_EEENSF_IJSE_SE_EEES9_SG_JZNS1_25segmented_radix_sort_implINS0_14default_configELb1EPKfPfPKlPlN2at6native12_GLOBAL__N_18offset_tEEE10hipError_tPvRmT1_PNSt15iterator_traitsISY_E10value_typeET2_T3_PNSZ_IS14_E10value_typeET4_jRbjT5_S1A_jjP12ihipStream_tbEUljE_EEESV_SW_SX_S14_S18_S1A_T6_T7_T9_mT8_S1C_bDpT10_ENKUlT_T0_E_clISt17integral_constantIbLb1EES1O_IbLb0EEEEDaS1K_S1L_EUlS1K_E_NS1_11comp_targetILNS1_3genE3ELNS1_11target_archE908ELNS1_3gpuE7ELNS1_3repE0EEENS1_30default_config_static_selectorELNS0_4arch9wavefront6targetE0EEEvSY_,"axG",@progbits,_ZN7rocprim17ROCPRIM_400000_NS6detail17trampoline_kernelINS0_13select_configILj256ELj13ELNS0_17block_load_methodE3ELS4_3ELS4_3ELNS0_20block_scan_algorithmE0ELj4294967295EEENS1_25partition_config_selectorILNS1_17partition_subalgoE3EjNS0_10empty_typeEbEEZZNS1_14partition_implILS8_3ELb0ES6_jNS0_17counting_iteratorIjlEEPS9_SE_NS0_5tupleIJPjSE_EEENSF_IJSE_SE_EEES9_SG_JZNS1_25segmented_radix_sort_implINS0_14default_configELb1EPKfPfPKlPlN2at6native12_GLOBAL__N_18offset_tEEE10hipError_tPvRmT1_PNSt15iterator_traitsISY_E10value_typeET2_T3_PNSZ_IS14_E10value_typeET4_jRbjT5_S1A_jjP12ihipStream_tbEUljE_EEESV_SW_SX_S14_S18_S1A_T6_T7_T9_mT8_S1C_bDpT10_ENKUlT_T0_E_clISt17integral_constantIbLb1EES1O_IbLb0EEEEDaS1K_S1L_EUlS1K_E_NS1_11comp_targetILNS1_3genE3ELNS1_11target_archE908ELNS1_3gpuE7ELNS1_3repE0EEENS1_30default_config_static_selectorELNS0_4arch9wavefront6targetE0EEEvSY_,comdat
	.globl	_ZN7rocprim17ROCPRIM_400000_NS6detail17trampoline_kernelINS0_13select_configILj256ELj13ELNS0_17block_load_methodE3ELS4_3ELS4_3ELNS0_20block_scan_algorithmE0ELj4294967295EEENS1_25partition_config_selectorILNS1_17partition_subalgoE3EjNS0_10empty_typeEbEEZZNS1_14partition_implILS8_3ELb0ES6_jNS0_17counting_iteratorIjlEEPS9_SE_NS0_5tupleIJPjSE_EEENSF_IJSE_SE_EEES9_SG_JZNS1_25segmented_radix_sort_implINS0_14default_configELb1EPKfPfPKlPlN2at6native12_GLOBAL__N_18offset_tEEE10hipError_tPvRmT1_PNSt15iterator_traitsISY_E10value_typeET2_T3_PNSZ_IS14_E10value_typeET4_jRbjT5_S1A_jjP12ihipStream_tbEUljE_EEESV_SW_SX_S14_S18_S1A_T6_T7_T9_mT8_S1C_bDpT10_ENKUlT_T0_E_clISt17integral_constantIbLb1EES1O_IbLb0EEEEDaS1K_S1L_EUlS1K_E_NS1_11comp_targetILNS1_3genE3ELNS1_11target_archE908ELNS1_3gpuE7ELNS1_3repE0EEENS1_30default_config_static_selectorELNS0_4arch9wavefront6targetE0EEEvSY_ ; -- Begin function _ZN7rocprim17ROCPRIM_400000_NS6detail17trampoline_kernelINS0_13select_configILj256ELj13ELNS0_17block_load_methodE3ELS4_3ELS4_3ELNS0_20block_scan_algorithmE0ELj4294967295EEENS1_25partition_config_selectorILNS1_17partition_subalgoE3EjNS0_10empty_typeEbEEZZNS1_14partition_implILS8_3ELb0ES6_jNS0_17counting_iteratorIjlEEPS9_SE_NS0_5tupleIJPjSE_EEENSF_IJSE_SE_EEES9_SG_JZNS1_25segmented_radix_sort_implINS0_14default_configELb1EPKfPfPKlPlN2at6native12_GLOBAL__N_18offset_tEEE10hipError_tPvRmT1_PNSt15iterator_traitsISY_E10value_typeET2_T3_PNSZ_IS14_E10value_typeET4_jRbjT5_S1A_jjP12ihipStream_tbEUljE_EEESV_SW_SX_S14_S18_S1A_T6_T7_T9_mT8_S1C_bDpT10_ENKUlT_T0_E_clISt17integral_constantIbLb1EES1O_IbLb0EEEEDaS1K_S1L_EUlS1K_E_NS1_11comp_targetILNS1_3genE3ELNS1_11target_archE908ELNS1_3gpuE7ELNS1_3repE0EEENS1_30default_config_static_selectorELNS0_4arch9wavefront6targetE0EEEvSY_
	.p2align	8
	.type	_ZN7rocprim17ROCPRIM_400000_NS6detail17trampoline_kernelINS0_13select_configILj256ELj13ELNS0_17block_load_methodE3ELS4_3ELS4_3ELNS0_20block_scan_algorithmE0ELj4294967295EEENS1_25partition_config_selectorILNS1_17partition_subalgoE3EjNS0_10empty_typeEbEEZZNS1_14partition_implILS8_3ELb0ES6_jNS0_17counting_iteratorIjlEEPS9_SE_NS0_5tupleIJPjSE_EEENSF_IJSE_SE_EEES9_SG_JZNS1_25segmented_radix_sort_implINS0_14default_configELb1EPKfPfPKlPlN2at6native12_GLOBAL__N_18offset_tEEE10hipError_tPvRmT1_PNSt15iterator_traitsISY_E10value_typeET2_T3_PNSZ_IS14_E10value_typeET4_jRbjT5_S1A_jjP12ihipStream_tbEUljE_EEESV_SW_SX_S14_S18_S1A_T6_T7_T9_mT8_S1C_bDpT10_ENKUlT_T0_E_clISt17integral_constantIbLb1EES1O_IbLb0EEEEDaS1K_S1L_EUlS1K_E_NS1_11comp_targetILNS1_3genE3ELNS1_11target_archE908ELNS1_3gpuE7ELNS1_3repE0EEENS1_30default_config_static_selectorELNS0_4arch9wavefront6targetE0EEEvSY_,@function
_ZN7rocprim17ROCPRIM_400000_NS6detail17trampoline_kernelINS0_13select_configILj256ELj13ELNS0_17block_load_methodE3ELS4_3ELS4_3ELNS0_20block_scan_algorithmE0ELj4294967295EEENS1_25partition_config_selectorILNS1_17partition_subalgoE3EjNS0_10empty_typeEbEEZZNS1_14partition_implILS8_3ELb0ES6_jNS0_17counting_iteratorIjlEEPS9_SE_NS0_5tupleIJPjSE_EEENSF_IJSE_SE_EEES9_SG_JZNS1_25segmented_radix_sort_implINS0_14default_configELb1EPKfPfPKlPlN2at6native12_GLOBAL__N_18offset_tEEE10hipError_tPvRmT1_PNSt15iterator_traitsISY_E10value_typeET2_T3_PNSZ_IS14_E10value_typeET4_jRbjT5_S1A_jjP12ihipStream_tbEUljE_EEESV_SW_SX_S14_S18_S1A_T6_T7_T9_mT8_S1C_bDpT10_ENKUlT_T0_E_clISt17integral_constantIbLb1EES1O_IbLb0EEEEDaS1K_S1L_EUlS1K_E_NS1_11comp_targetILNS1_3genE3ELNS1_11target_archE908ELNS1_3gpuE7ELNS1_3repE0EEENS1_30default_config_static_selectorELNS0_4arch9wavefront6targetE0EEEvSY_: ; @_ZN7rocprim17ROCPRIM_400000_NS6detail17trampoline_kernelINS0_13select_configILj256ELj13ELNS0_17block_load_methodE3ELS4_3ELS4_3ELNS0_20block_scan_algorithmE0ELj4294967295EEENS1_25partition_config_selectorILNS1_17partition_subalgoE3EjNS0_10empty_typeEbEEZZNS1_14partition_implILS8_3ELb0ES6_jNS0_17counting_iteratorIjlEEPS9_SE_NS0_5tupleIJPjSE_EEENSF_IJSE_SE_EEES9_SG_JZNS1_25segmented_radix_sort_implINS0_14default_configELb1EPKfPfPKlPlN2at6native12_GLOBAL__N_18offset_tEEE10hipError_tPvRmT1_PNSt15iterator_traitsISY_E10value_typeET2_T3_PNSZ_IS14_E10value_typeET4_jRbjT5_S1A_jjP12ihipStream_tbEUljE_EEESV_SW_SX_S14_S18_S1A_T6_T7_T9_mT8_S1C_bDpT10_ENKUlT_T0_E_clISt17integral_constantIbLb1EES1O_IbLb0EEEEDaS1K_S1L_EUlS1K_E_NS1_11comp_targetILNS1_3genE3ELNS1_11target_archE908ELNS1_3gpuE7ELNS1_3repE0EEENS1_30default_config_static_selectorELNS0_4arch9wavefront6targetE0EEEvSY_
; %bb.0:
	.section	.rodata,"a",@progbits
	.p2align	6, 0x0
	.amdhsa_kernel _ZN7rocprim17ROCPRIM_400000_NS6detail17trampoline_kernelINS0_13select_configILj256ELj13ELNS0_17block_load_methodE3ELS4_3ELS4_3ELNS0_20block_scan_algorithmE0ELj4294967295EEENS1_25partition_config_selectorILNS1_17partition_subalgoE3EjNS0_10empty_typeEbEEZZNS1_14partition_implILS8_3ELb0ES6_jNS0_17counting_iteratorIjlEEPS9_SE_NS0_5tupleIJPjSE_EEENSF_IJSE_SE_EEES9_SG_JZNS1_25segmented_radix_sort_implINS0_14default_configELb1EPKfPfPKlPlN2at6native12_GLOBAL__N_18offset_tEEE10hipError_tPvRmT1_PNSt15iterator_traitsISY_E10value_typeET2_T3_PNSZ_IS14_E10value_typeET4_jRbjT5_S1A_jjP12ihipStream_tbEUljE_EEESV_SW_SX_S14_S18_S1A_T6_T7_T9_mT8_S1C_bDpT10_ENKUlT_T0_E_clISt17integral_constantIbLb1EES1O_IbLb0EEEEDaS1K_S1L_EUlS1K_E_NS1_11comp_targetILNS1_3genE3ELNS1_11target_archE908ELNS1_3gpuE7ELNS1_3repE0EEENS1_30default_config_static_selectorELNS0_4arch9wavefront6targetE0EEEvSY_
		.amdhsa_group_segment_fixed_size 0
		.amdhsa_private_segment_fixed_size 0
		.amdhsa_kernarg_size 144
		.amdhsa_user_sgpr_count 2
		.amdhsa_user_sgpr_dispatch_ptr 0
		.amdhsa_user_sgpr_queue_ptr 0
		.amdhsa_user_sgpr_kernarg_segment_ptr 1
		.amdhsa_user_sgpr_dispatch_id 0
		.amdhsa_user_sgpr_private_segment_size 0
		.amdhsa_wavefront_size32 1
		.amdhsa_uses_dynamic_stack 0
		.amdhsa_enable_private_segment 0
		.amdhsa_system_sgpr_workgroup_id_x 1
		.amdhsa_system_sgpr_workgroup_id_y 0
		.amdhsa_system_sgpr_workgroup_id_z 0
		.amdhsa_system_sgpr_workgroup_info 0
		.amdhsa_system_vgpr_workitem_id 0
		.amdhsa_next_free_vgpr 1
		.amdhsa_next_free_sgpr 1
		.amdhsa_reserve_vcc 0
		.amdhsa_float_round_mode_32 0
		.amdhsa_float_round_mode_16_64 0
		.amdhsa_float_denorm_mode_32 3
		.amdhsa_float_denorm_mode_16_64 3
		.amdhsa_fp16_overflow 0
		.amdhsa_workgroup_processor_mode 1
		.amdhsa_memory_ordered 1
		.amdhsa_forward_progress 1
		.amdhsa_inst_pref_size 0
		.amdhsa_round_robin_scheduling 0
		.amdhsa_exception_fp_ieee_invalid_op 0
		.amdhsa_exception_fp_denorm_src 0
		.amdhsa_exception_fp_ieee_div_zero 0
		.amdhsa_exception_fp_ieee_overflow 0
		.amdhsa_exception_fp_ieee_underflow 0
		.amdhsa_exception_fp_ieee_inexact 0
		.amdhsa_exception_int_div_zero 0
	.end_amdhsa_kernel
	.section	.text._ZN7rocprim17ROCPRIM_400000_NS6detail17trampoline_kernelINS0_13select_configILj256ELj13ELNS0_17block_load_methodE3ELS4_3ELS4_3ELNS0_20block_scan_algorithmE0ELj4294967295EEENS1_25partition_config_selectorILNS1_17partition_subalgoE3EjNS0_10empty_typeEbEEZZNS1_14partition_implILS8_3ELb0ES6_jNS0_17counting_iteratorIjlEEPS9_SE_NS0_5tupleIJPjSE_EEENSF_IJSE_SE_EEES9_SG_JZNS1_25segmented_radix_sort_implINS0_14default_configELb1EPKfPfPKlPlN2at6native12_GLOBAL__N_18offset_tEEE10hipError_tPvRmT1_PNSt15iterator_traitsISY_E10value_typeET2_T3_PNSZ_IS14_E10value_typeET4_jRbjT5_S1A_jjP12ihipStream_tbEUljE_EEESV_SW_SX_S14_S18_S1A_T6_T7_T9_mT8_S1C_bDpT10_ENKUlT_T0_E_clISt17integral_constantIbLb1EES1O_IbLb0EEEEDaS1K_S1L_EUlS1K_E_NS1_11comp_targetILNS1_3genE3ELNS1_11target_archE908ELNS1_3gpuE7ELNS1_3repE0EEENS1_30default_config_static_selectorELNS0_4arch9wavefront6targetE0EEEvSY_,"axG",@progbits,_ZN7rocprim17ROCPRIM_400000_NS6detail17trampoline_kernelINS0_13select_configILj256ELj13ELNS0_17block_load_methodE3ELS4_3ELS4_3ELNS0_20block_scan_algorithmE0ELj4294967295EEENS1_25partition_config_selectorILNS1_17partition_subalgoE3EjNS0_10empty_typeEbEEZZNS1_14partition_implILS8_3ELb0ES6_jNS0_17counting_iteratorIjlEEPS9_SE_NS0_5tupleIJPjSE_EEENSF_IJSE_SE_EEES9_SG_JZNS1_25segmented_radix_sort_implINS0_14default_configELb1EPKfPfPKlPlN2at6native12_GLOBAL__N_18offset_tEEE10hipError_tPvRmT1_PNSt15iterator_traitsISY_E10value_typeET2_T3_PNSZ_IS14_E10value_typeET4_jRbjT5_S1A_jjP12ihipStream_tbEUljE_EEESV_SW_SX_S14_S18_S1A_T6_T7_T9_mT8_S1C_bDpT10_ENKUlT_T0_E_clISt17integral_constantIbLb1EES1O_IbLb0EEEEDaS1K_S1L_EUlS1K_E_NS1_11comp_targetILNS1_3genE3ELNS1_11target_archE908ELNS1_3gpuE7ELNS1_3repE0EEENS1_30default_config_static_selectorELNS0_4arch9wavefront6targetE0EEEvSY_,comdat
.Lfunc_end1312:
	.size	_ZN7rocprim17ROCPRIM_400000_NS6detail17trampoline_kernelINS0_13select_configILj256ELj13ELNS0_17block_load_methodE3ELS4_3ELS4_3ELNS0_20block_scan_algorithmE0ELj4294967295EEENS1_25partition_config_selectorILNS1_17partition_subalgoE3EjNS0_10empty_typeEbEEZZNS1_14partition_implILS8_3ELb0ES6_jNS0_17counting_iteratorIjlEEPS9_SE_NS0_5tupleIJPjSE_EEENSF_IJSE_SE_EEES9_SG_JZNS1_25segmented_radix_sort_implINS0_14default_configELb1EPKfPfPKlPlN2at6native12_GLOBAL__N_18offset_tEEE10hipError_tPvRmT1_PNSt15iterator_traitsISY_E10value_typeET2_T3_PNSZ_IS14_E10value_typeET4_jRbjT5_S1A_jjP12ihipStream_tbEUljE_EEESV_SW_SX_S14_S18_S1A_T6_T7_T9_mT8_S1C_bDpT10_ENKUlT_T0_E_clISt17integral_constantIbLb1EES1O_IbLb0EEEEDaS1K_S1L_EUlS1K_E_NS1_11comp_targetILNS1_3genE3ELNS1_11target_archE908ELNS1_3gpuE7ELNS1_3repE0EEENS1_30default_config_static_selectorELNS0_4arch9wavefront6targetE0EEEvSY_, .Lfunc_end1312-_ZN7rocprim17ROCPRIM_400000_NS6detail17trampoline_kernelINS0_13select_configILj256ELj13ELNS0_17block_load_methodE3ELS4_3ELS4_3ELNS0_20block_scan_algorithmE0ELj4294967295EEENS1_25partition_config_selectorILNS1_17partition_subalgoE3EjNS0_10empty_typeEbEEZZNS1_14partition_implILS8_3ELb0ES6_jNS0_17counting_iteratorIjlEEPS9_SE_NS0_5tupleIJPjSE_EEENSF_IJSE_SE_EEES9_SG_JZNS1_25segmented_radix_sort_implINS0_14default_configELb1EPKfPfPKlPlN2at6native12_GLOBAL__N_18offset_tEEE10hipError_tPvRmT1_PNSt15iterator_traitsISY_E10value_typeET2_T3_PNSZ_IS14_E10value_typeET4_jRbjT5_S1A_jjP12ihipStream_tbEUljE_EEESV_SW_SX_S14_S18_S1A_T6_T7_T9_mT8_S1C_bDpT10_ENKUlT_T0_E_clISt17integral_constantIbLb1EES1O_IbLb0EEEEDaS1K_S1L_EUlS1K_E_NS1_11comp_targetILNS1_3genE3ELNS1_11target_archE908ELNS1_3gpuE7ELNS1_3repE0EEENS1_30default_config_static_selectorELNS0_4arch9wavefront6targetE0EEEvSY_
                                        ; -- End function
	.set _ZN7rocprim17ROCPRIM_400000_NS6detail17trampoline_kernelINS0_13select_configILj256ELj13ELNS0_17block_load_methodE3ELS4_3ELS4_3ELNS0_20block_scan_algorithmE0ELj4294967295EEENS1_25partition_config_selectorILNS1_17partition_subalgoE3EjNS0_10empty_typeEbEEZZNS1_14partition_implILS8_3ELb0ES6_jNS0_17counting_iteratorIjlEEPS9_SE_NS0_5tupleIJPjSE_EEENSF_IJSE_SE_EEES9_SG_JZNS1_25segmented_radix_sort_implINS0_14default_configELb1EPKfPfPKlPlN2at6native12_GLOBAL__N_18offset_tEEE10hipError_tPvRmT1_PNSt15iterator_traitsISY_E10value_typeET2_T3_PNSZ_IS14_E10value_typeET4_jRbjT5_S1A_jjP12ihipStream_tbEUljE_EEESV_SW_SX_S14_S18_S1A_T6_T7_T9_mT8_S1C_bDpT10_ENKUlT_T0_E_clISt17integral_constantIbLb1EES1O_IbLb0EEEEDaS1K_S1L_EUlS1K_E_NS1_11comp_targetILNS1_3genE3ELNS1_11target_archE908ELNS1_3gpuE7ELNS1_3repE0EEENS1_30default_config_static_selectorELNS0_4arch9wavefront6targetE0EEEvSY_.num_vgpr, 0
	.set _ZN7rocprim17ROCPRIM_400000_NS6detail17trampoline_kernelINS0_13select_configILj256ELj13ELNS0_17block_load_methodE3ELS4_3ELS4_3ELNS0_20block_scan_algorithmE0ELj4294967295EEENS1_25partition_config_selectorILNS1_17partition_subalgoE3EjNS0_10empty_typeEbEEZZNS1_14partition_implILS8_3ELb0ES6_jNS0_17counting_iteratorIjlEEPS9_SE_NS0_5tupleIJPjSE_EEENSF_IJSE_SE_EEES9_SG_JZNS1_25segmented_radix_sort_implINS0_14default_configELb1EPKfPfPKlPlN2at6native12_GLOBAL__N_18offset_tEEE10hipError_tPvRmT1_PNSt15iterator_traitsISY_E10value_typeET2_T3_PNSZ_IS14_E10value_typeET4_jRbjT5_S1A_jjP12ihipStream_tbEUljE_EEESV_SW_SX_S14_S18_S1A_T6_T7_T9_mT8_S1C_bDpT10_ENKUlT_T0_E_clISt17integral_constantIbLb1EES1O_IbLb0EEEEDaS1K_S1L_EUlS1K_E_NS1_11comp_targetILNS1_3genE3ELNS1_11target_archE908ELNS1_3gpuE7ELNS1_3repE0EEENS1_30default_config_static_selectorELNS0_4arch9wavefront6targetE0EEEvSY_.num_agpr, 0
	.set _ZN7rocprim17ROCPRIM_400000_NS6detail17trampoline_kernelINS0_13select_configILj256ELj13ELNS0_17block_load_methodE3ELS4_3ELS4_3ELNS0_20block_scan_algorithmE0ELj4294967295EEENS1_25partition_config_selectorILNS1_17partition_subalgoE3EjNS0_10empty_typeEbEEZZNS1_14partition_implILS8_3ELb0ES6_jNS0_17counting_iteratorIjlEEPS9_SE_NS0_5tupleIJPjSE_EEENSF_IJSE_SE_EEES9_SG_JZNS1_25segmented_radix_sort_implINS0_14default_configELb1EPKfPfPKlPlN2at6native12_GLOBAL__N_18offset_tEEE10hipError_tPvRmT1_PNSt15iterator_traitsISY_E10value_typeET2_T3_PNSZ_IS14_E10value_typeET4_jRbjT5_S1A_jjP12ihipStream_tbEUljE_EEESV_SW_SX_S14_S18_S1A_T6_T7_T9_mT8_S1C_bDpT10_ENKUlT_T0_E_clISt17integral_constantIbLb1EES1O_IbLb0EEEEDaS1K_S1L_EUlS1K_E_NS1_11comp_targetILNS1_3genE3ELNS1_11target_archE908ELNS1_3gpuE7ELNS1_3repE0EEENS1_30default_config_static_selectorELNS0_4arch9wavefront6targetE0EEEvSY_.numbered_sgpr, 0
	.set _ZN7rocprim17ROCPRIM_400000_NS6detail17trampoline_kernelINS0_13select_configILj256ELj13ELNS0_17block_load_methodE3ELS4_3ELS4_3ELNS0_20block_scan_algorithmE0ELj4294967295EEENS1_25partition_config_selectorILNS1_17partition_subalgoE3EjNS0_10empty_typeEbEEZZNS1_14partition_implILS8_3ELb0ES6_jNS0_17counting_iteratorIjlEEPS9_SE_NS0_5tupleIJPjSE_EEENSF_IJSE_SE_EEES9_SG_JZNS1_25segmented_radix_sort_implINS0_14default_configELb1EPKfPfPKlPlN2at6native12_GLOBAL__N_18offset_tEEE10hipError_tPvRmT1_PNSt15iterator_traitsISY_E10value_typeET2_T3_PNSZ_IS14_E10value_typeET4_jRbjT5_S1A_jjP12ihipStream_tbEUljE_EEESV_SW_SX_S14_S18_S1A_T6_T7_T9_mT8_S1C_bDpT10_ENKUlT_T0_E_clISt17integral_constantIbLb1EES1O_IbLb0EEEEDaS1K_S1L_EUlS1K_E_NS1_11comp_targetILNS1_3genE3ELNS1_11target_archE908ELNS1_3gpuE7ELNS1_3repE0EEENS1_30default_config_static_selectorELNS0_4arch9wavefront6targetE0EEEvSY_.num_named_barrier, 0
	.set _ZN7rocprim17ROCPRIM_400000_NS6detail17trampoline_kernelINS0_13select_configILj256ELj13ELNS0_17block_load_methodE3ELS4_3ELS4_3ELNS0_20block_scan_algorithmE0ELj4294967295EEENS1_25partition_config_selectorILNS1_17partition_subalgoE3EjNS0_10empty_typeEbEEZZNS1_14partition_implILS8_3ELb0ES6_jNS0_17counting_iteratorIjlEEPS9_SE_NS0_5tupleIJPjSE_EEENSF_IJSE_SE_EEES9_SG_JZNS1_25segmented_radix_sort_implINS0_14default_configELb1EPKfPfPKlPlN2at6native12_GLOBAL__N_18offset_tEEE10hipError_tPvRmT1_PNSt15iterator_traitsISY_E10value_typeET2_T3_PNSZ_IS14_E10value_typeET4_jRbjT5_S1A_jjP12ihipStream_tbEUljE_EEESV_SW_SX_S14_S18_S1A_T6_T7_T9_mT8_S1C_bDpT10_ENKUlT_T0_E_clISt17integral_constantIbLb1EES1O_IbLb0EEEEDaS1K_S1L_EUlS1K_E_NS1_11comp_targetILNS1_3genE3ELNS1_11target_archE908ELNS1_3gpuE7ELNS1_3repE0EEENS1_30default_config_static_selectorELNS0_4arch9wavefront6targetE0EEEvSY_.private_seg_size, 0
	.set _ZN7rocprim17ROCPRIM_400000_NS6detail17trampoline_kernelINS0_13select_configILj256ELj13ELNS0_17block_load_methodE3ELS4_3ELS4_3ELNS0_20block_scan_algorithmE0ELj4294967295EEENS1_25partition_config_selectorILNS1_17partition_subalgoE3EjNS0_10empty_typeEbEEZZNS1_14partition_implILS8_3ELb0ES6_jNS0_17counting_iteratorIjlEEPS9_SE_NS0_5tupleIJPjSE_EEENSF_IJSE_SE_EEES9_SG_JZNS1_25segmented_radix_sort_implINS0_14default_configELb1EPKfPfPKlPlN2at6native12_GLOBAL__N_18offset_tEEE10hipError_tPvRmT1_PNSt15iterator_traitsISY_E10value_typeET2_T3_PNSZ_IS14_E10value_typeET4_jRbjT5_S1A_jjP12ihipStream_tbEUljE_EEESV_SW_SX_S14_S18_S1A_T6_T7_T9_mT8_S1C_bDpT10_ENKUlT_T0_E_clISt17integral_constantIbLb1EES1O_IbLb0EEEEDaS1K_S1L_EUlS1K_E_NS1_11comp_targetILNS1_3genE3ELNS1_11target_archE908ELNS1_3gpuE7ELNS1_3repE0EEENS1_30default_config_static_selectorELNS0_4arch9wavefront6targetE0EEEvSY_.uses_vcc, 0
	.set _ZN7rocprim17ROCPRIM_400000_NS6detail17trampoline_kernelINS0_13select_configILj256ELj13ELNS0_17block_load_methodE3ELS4_3ELS4_3ELNS0_20block_scan_algorithmE0ELj4294967295EEENS1_25partition_config_selectorILNS1_17partition_subalgoE3EjNS0_10empty_typeEbEEZZNS1_14partition_implILS8_3ELb0ES6_jNS0_17counting_iteratorIjlEEPS9_SE_NS0_5tupleIJPjSE_EEENSF_IJSE_SE_EEES9_SG_JZNS1_25segmented_radix_sort_implINS0_14default_configELb1EPKfPfPKlPlN2at6native12_GLOBAL__N_18offset_tEEE10hipError_tPvRmT1_PNSt15iterator_traitsISY_E10value_typeET2_T3_PNSZ_IS14_E10value_typeET4_jRbjT5_S1A_jjP12ihipStream_tbEUljE_EEESV_SW_SX_S14_S18_S1A_T6_T7_T9_mT8_S1C_bDpT10_ENKUlT_T0_E_clISt17integral_constantIbLb1EES1O_IbLb0EEEEDaS1K_S1L_EUlS1K_E_NS1_11comp_targetILNS1_3genE3ELNS1_11target_archE908ELNS1_3gpuE7ELNS1_3repE0EEENS1_30default_config_static_selectorELNS0_4arch9wavefront6targetE0EEEvSY_.uses_flat_scratch, 0
	.set _ZN7rocprim17ROCPRIM_400000_NS6detail17trampoline_kernelINS0_13select_configILj256ELj13ELNS0_17block_load_methodE3ELS4_3ELS4_3ELNS0_20block_scan_algorithmE0ELj4294967295EEENS1_25partition_config_selectorILNS1_17partition_subalgoE3EjNS0_10empty_typeEbEEZZNS1_14partition_implILS8_3ELb0ES6_jNS0_17counting_iteratorIjlEEPS9_SE_NS0_5tupleIJPjSE_EEENSF_IJSE_SE_EEES9_SG_JZNS1_25segmented_radix_sort_implINS0_14default_configELb1EPKfPfPKlPlN2at6native12_GLOBAL__N_18offset_tEEE10hipError_tPvRmT1_PNSt15iterator_traitsISY_E10value_typeET2_T3_PNSZ_IS14_E10value_typeET4_jRbjT5_S1A_jjP12ihipStream_tbEUljE_EEESV_SW_SX_S14_S18_S1A_T6_T7_T9_mT8_S1C_bDpT10_ENKUlT_T0_E_clISt17integral_constantIbLb1EES1O_IbLb0EEEEDaS1K_S1L_EUlS1K_E_NS1_11comp_targetILNS1_3genE3ELNS1_11target_archE908ELNS1_3gpuE7ELNS1_3repE0EEENS1_30default_config_static_selectorELNS0_4arch9wavefront6targetE0EEEvSY_.has_dyn_sized_stack, 0
	.set _ZN7rocprim17ROCPRIM_400000_NS6detail17trampoline_kernelINS0_13select_configILj256ELj13ELNS0_17block_load_methodE3ELS4_3ELS4_3ELNS0_20block_scan_algorithmE0ELj4294967295EEENS1_25partition_config_selectorILNS1_17partition_subalgoE3EjNS0_10empty_typeEbEEZZNS1_14partition_implILS8_3ELb0ES6_jNS0_17counting_iteratorIjlEEPS9_SE_NS0_5tupleIJPjSE_EEENSF_IJSE_SE_EEES9_SG_JZNS1_25segmented_radix_sort_implINS0_14default_configELb1EPKfPfPKlPlN2at6native12_GLOBAL__N_18offset_tEEE10hipError_tPvRmT1_PNSt15iterator_traitsISY_E10value_typeET2_T3_PNSZ_IS14_E10value_typeET4_jRbjT5_S1A_jjP12ihipStream_tbEUljE_EEESV_SW_SX_S14_S18_S1A_T6_T7_T9_mT8_S1C_bDpT10_ENKUlT_T0_E_clISt17integral_constantIbLb1EES1O_IbLb0EEEEDaS1K_S1L_EUlS1K_E_NS1_11comp_targetILNS1_3genE3ELNS1_11target_archE908ELNS1_3gpuE7ELNS1_3repE0EEENS1_30default_config_static_selectorELNS0_4arch9wavefront6targetE0EEEvSY_.has_recursion, 0
	.set _ZN7rocprim17ROCPRIM_400000_NS6detail17trampoline_kernelINS0_13select_configILj256ELj13ELNS0_17block_load_methodE3ELS4_3ELS4_3ELNS0_20block_scan_algorithmE0ELj4294967295EEENS1_25partition_config_selectorILNS1_17partition_subalgoE3EjNS0_10empty_typeEbEEZZNS1_14partition_implILS8_3ELb0ES6_jNS0_17counting_iteratorIjlEEPS9_SE_NS0_5tupleIJPjSE_EEENSF_IJSE_SE_EEES9_SG_JZNS1_25segmented_radix_sort_implINS0_14default_configELb1EPKfPfPKlPlN2at6native12_GLOBAL__N_18offset_tEEE10hipError_tPvRmT1_PNSt15iterator_traitsISY_E10value_typeET2_T3_PNSZ_IS14_E10value_typeET4_jRbjT5_S1A_jjP12ihipStream_tbEUljE_EEESV_SW_SX_S14_S18_S1A_T6_T7_T9_mT8_S1C_bDpT10_ENKUlT_T0_E_clISt17integral_constantIbLb1EES1O_IbLb0EEEEDaS1K_S1L_EUlS1K_E_NS1_11comp_targetILNS1_3genE3ELNS1_11target_archE908ELNS1_3gpuE7ELNS1_3repE0EEENS1_30default_config_static_selectorELNS0_4arch9wavefront6targetE0EEEvSY_.has_indirect_call, 0
	.section	.AMDGPU.csdata,"",@progbits
; Kernel info:
; codeLenInByte = 0
; TotalNumSgprs: 0
; NumVgprs: 0
; ScratchSize: 0
; MemoryBound: 0
; FloatMode: 240
; IeeeMode: 1
; LDSByteSize: 0 bytes/workgroup (compile time only)
; SGPRBlocks: 0
; VGPRBlocks: 0
; NumSGPRsForWavesPerEU: 1
; NumVGPRsForWavesPerEU: 1
; Occupancy: 16
; WaveLimiterHint : 0
; COMPUTE_PGM_RSRC2:SCRATCH_EN: 0
; COMPUTE_PGM_RSRC2:USER_SGPR: 2
; COMPUTE_PGM_RSRC2:TRAP_HANDLER: 0
; COMPUTE_PGM_RSRC2:TGID_X_EN: 1
; COMPUTE_PGM_RSRC2:TGID_Y_EN: 0
; COMPUTE_PGM_RSRC2:TGID_Z_EN: 0
; COMPUTE_PGM_RSRC2:TIDIG_COMP_CNT: 0
	.section	.text._ZN7rocprim17ROCPRIM_400000_NS6detail17trampoline_kernelINS0_13select_configILj256ELj13ELNS0_17block_load_methodE3ELS4_3ELS4_3ELNS0_20block_scan_algorithmE0ELj4294967295EEENS1_25partition_config_selectorILNS1_17partition_subalgoE3EjNS0_10empty_typeEbEEZZNS1_14partition_implILS8_3ELb0ES6_jNS0_17counting_iteratorIjlEEPS9_SE_NS0_5tupleIJPjSE_EEENSF_IJSE_SE_EEES9_SG_JZNS1_25segmented_radix_sort_implINS0_14default_configELb1EPKfPfPKlPlN2at6native12_GLOBAL__N_18offset_tEEE10hipError_tPvRmT1_PNSt15iterator_traitsISY_E10value_typeET2_T3_PNSZ_IS14_E10value_typeET4_jRbjT5_S1A_jjP12ihipStream_tbEUljE_EEESV_SW_SX_S14_S18_S1A_T6_T7_T9_mT8_S1C_bDpT10_ENKUlT_T0_E_clISt17integral_constantIbLb1EES1O_IbLb0EEEEDaS1K_S1L_EUlS1K_E_NS1_11comp_targetILNS1_3genE2ELNS1_11target_archE906ELNS1_3gpuE6ELNS1_3repE0EEENS1_30default_config_static_selectorELNS0_4arch9wavefront6targetE0EEEvSY_,"axG",@progbits,_ZN7rocprim17ROCPRIM_400000_NS6detail17trampoline_kernelINS0_13select_configILj256ELj13ELNS0_17block_load_methodE3ELS4_3ELS4_3ELNS0_20block_scan_algorithmE0ELj4294967295EEENS1_25partition_config_selectorILNS1_17partition_subalgoE3EjNS0_10empty_typeEbEEZZNS1_14partition_implILS8_3ELb0ES6_jNS0_17counting_iteratorIjlEEPS9_SE_NS0_5tupleIJPjSE_EEENSF_IJSE_SE_EEES9_SG_JZNS1_25segmented_radix_sort_implINS0_14default_configELb1EPKfPfPKlPlN2at6native12_GLOBAL__N_18offset_tEEE10hipError_tPvRmT1_PNSt15iterator_traitsISY_E10value_typeET2_T3_PNSZ_IS14_E10value_typeET4_jRbjT5_S1A_jjP12ihipStream_tbEUljE_EEESV_SW_SX_S14_S18_S1A_T6_T7_T9_mT8_S1C_bDpT10_ENKUlT_T0_E_clISt17integral_constantIbLb1EES1O_IbLb0EEEEDaS1K_S1L_EUlS1K_E_NS1_11comp_targetILNS1_3genE2ELNS1_11target_archE906ELNS1_3gpuE6ELNS1_3repE0EEENS1_30default_config_static_selectorELNS0_4arch9wavefront6targetE0EEEvSY_,comdat
	.globl	_ZN7rocprim17ROCPRIM_400000_NS6detail17trampoline_kernelINS0_13select_configILj256ELj13ELNS0_17block_load_methodE3ELS4_3ELS4_3ELNS0_20block_scan_algorithmE0ELj4294967295EEENS1_25partition_config_selectorILNS1_17partition_subalgoE3EjNS0_10empty_typeEbEEZZNS1_14partition_implILS8_3ELb0ES6_jNS0_17counting_iteratorIjlEEPS9_SE_NS0_5tupleIJPjSE_EEENSF_IJSE_SE_EEES9_SG_JZNS1_25segmented_radix_sort_implINS0_14default_configELb1EPKfPfPKlPlN2at6native12_GLOBAL__N_18offset_tEEE10hipError_tPvRmT1_PNSt15iterator_traitsISY_E10value_typeET2_T3_PNSZ_IS14_E10value_typeET4_jRbjT5_S1A_jjP12ihipStream_tbEUljE_EEESV_SW_SX_S14_S18_S1A_T6_T7_T9_mT8_S1C_bDpT10_ENKUlT_T0_E_clISt17integral_constantIbLb1EES1O_IbLb0EEEEDaS1K_S1L_EUlS1K_E_NS1_11comp_targetILNS1_3genE2ELNS1_11target_archE906ELNS1_3gpuE6ELNS1_3repE0EEENS1_30default_config_static_selectorELNS0_4arch9wavefront6targetE0EEEvSY_ ; -- Begin function _ZN7rocprim17ROCPRIM_400000_NS6detail17trampoline_kernelINS0_13select_configILj256ELj13ELNS0_17block_load_methodE3ELS4_3ELS4_3ELNS0_20block_scan_algorithmE0ELj4294967295EEENS1_25partition_config_selectorILNS1_17partition_subalgoE3EjNS0_10empty_typeEbEEZZNS1_14partition_implILS8_3ELb0ES6_jNS0_17counting_iteratorIjlEEPS9_SE_NS0_5tupleIJPjSE_EEENSF_IJSE_SE_EEES9_SG_JZNS1_25segmented_radix_sort_implINS0_14default_configELb1EPKfPfPKlPlN2at6native12_GLOBAL__N_18offset_tEEE10hipError_tPvRmT1_PNSt15iterator_traitsISY_E10value_typeET2_T3_PNSZ_IS14_E10value_typeET4_jRbjT5_S1A_jjP12ihipStream_tbEUljE_EEESV_SW_SX_S14_S18_S1A_T6_T7_T9_mT8_S1C_bDpT10_ENKUlT_T0_E_clISt17integral_constantIbLb1EES1O_IbLb0EEEEDaS1K_S1L_EUlS1K_E_NS1_11comp_targetILNS1_3genE2ELNS1_11target_archE906ELNS1_3gpuE6ELNS1_3repE0EEENS1_30default_config_static_selectorELNS0_4arch9wavefront6targetE0EEEvSY_
	.p2align	8
	.type	_ZN7rocprim17ROCPRIM_400000_NS6detail17trampoline_kernelINS0_13select_configILj256ELj13ELNS0_17block_load_methodE3ELS4_3ELS4_3ELNS0_20block_scan_algorithmE0ELj4294967295EEENS1_25partition_config_selectorILNS1_17partition_subalgoE3EjNS0_10empty_typeEbEEZZNS1_14partition_implILS8_3ELb0ES6_jNS0_17counting_iteratorIjlEEPS9_SE_NS0_5tupleIJPjSE_EEENSF_IJSE_SE_EEES9_SG_JZNS1_25segmented_radix_sort_implINS0_14default_configELb1EPKfPfPKlPlN2at6native12_GLOBAL__N_18offset_tEEE10hipError_tPvRmT1_PNSt15iterator_traitsISY_E10value_typeET2_T3_PNSZ_IS14_E10value_typeET4_jRbjT5_S1A_jjP12ihipStream_tbEUljE_EEESV_SW_SX_S14_S18_S1A_T6_T7_T9_mT8_S1C_bDpT10_ENKUlT_T0_E_clISt17integral_constantIbLb1EES1O_IbLb0EEEEDaS1K_S1L_EUlS1K_E_NS1_11comp_targetILNS1_3genE2ELNS1_11target_archE906ELNS1_3gpuE6ELNS1_3repE0EEENS1_30default_config_static_selectorELNS0_4arch9wavefront6targetE0EEEvSY_,@function
_ZN7rocprim17ROCPRIM_400000_NS6detail17trampoline_kernelINS0_13select_configILj256ELj13ELNS0_17block_load_methodE3ELS4_3ELS4_3ELNS0_20block_scan_algorithmE0ELj4294967295EEENS1_25partition_config_selectorILNS1_17partition_subalgoE3EjNS0_10empty_typeEbEEZZNS1_14partition_implILS8_3ELb0ES6_jNS0_17counting_iteratorIjlEEPS9_SE_NS0_5tupleIJPjSE_EEENSF_IJSE_SE_EEES9_SG_JZNS1_25segmented_radix_sort_implINS0_14default_configELb1EPKfPfPKlPlN2at6native12_GLOBAL__N_18offset_tEEE10hipError_tPvRmT1_PNSt15iterator_traitsISY_E10value_typeET2_T3_PNSZ_IS14_E10value_typeET4_jRbjT5_S1A_jjP12ihipStream_tbEUljE_EEESV_SW_SX_S14_S18_S1A_T6_T7_T9_mT8_S1C_bDpT10_ENKUlT_T0_E_clISt17integral_constantIbLb1EES1O_IbLb0EEEEDaS1K_S1L_EUlS1K_E_NS1_11comp_targetILNS1_3genE2ELNS1_11target_archE906ELNS1_3gpuE6ELNS1_3repE0EEENS1_30default_config_static_selectorELNS0_4arch9wavefront6targetE0EEEvSY_: ; @_ZN7rocprim17ROCPRIM_400000_NS6detail17trampoline_kernelINS0_13select_configILj256ELj13ELNS0_17block_load_methodE3ELS4_3ELS4_3ELNS0_20block_scan_algorithmE0ELj4294967295EEENS1_25partition_config_selectorILNS1_17partition_subalgoE3EjNS0_10empty_typeEbEEZZNS1_14partition_implILS8_3ELb0ES6_jNS0_17counting_iteratorIjlEEPS9_SE_NS0_5tupleIJPjSE_EEENSF_IJSE_SE_EEES9_SG_JZNS1_25segmented_radix_sort_implINS0_14default_configELb1EPKfPfPKlPlN2at6native12_GLOBAL__N_18offset_tEEE10hipError_tPvRmT1_PNSt15iterator_traitsISY_E10value_typeET2_T3_PNSZ_IS14_E10value_typeET4_jRbjT5_S1A_jjP12ihipStream_tbEUljE_EEESV_SW_SX_S14_S18_S1A_T6_T7_T9_mT8_S1C_bDpT10_ENKUlT_T0_E_clISt17integral_constantIbLb1EES1O_IbLb0EEEEDaS1K_S1L_EUlS1K_E_NS1_11comp_targetILNS1_3genE2ELNS1_11target_archE906ELNS1_3gpuE6ELNS1_3repE0EEENS1_30default_config_static_selectorELNS0_4arch9wavefront6targetE0EEEvSY_
; %bb.0:
	.section	.rodata,"a",@progbits
	.p2align	6, 0x0
	.amdhsa_kernel _ZN7rocprim17ROCPRIM_400000_NS6detail17trampoline_kernelINS0_13select_configILj256ELj13ELNS0_17block_load_methodE3ELS4_3ELS4_3ELNS0_20block_scan_algorithmE0ELj4294967295EEENS1_25partition_config_selectorILNS1_17partition_subalgoE3EjNS0_10empty_typeEbEEZZNS1_14partition_implILS8_3ELb0ES6_jNS0_17counting_iteratorIjlEEPS9_SE_NS0_5tupleIJPjSE_EEENSF_IJSE_SE_EEES9_SG_JZNS1_25segmented_radix_sort_implINS0_14default_configELb1EPKfPfPKlPlN2at6native12_GLOBAL__N_18offset_tEEE10hipError_tPvRmT1_PNSt15iterator_traitsISY_E10value_typeET2_T3_PNSZ_IS14_E10value_typeET4_jRbjT5_S1A_jjP12ihipStream_tbEUljE_EEESV_SW_SX_S14_S18_S1A_T6_T7_T9_mT8_S1C_bDpT10_ENKUlT_T0_E_clISt17integral_constantIbLb1EES1O_IbLb0EEEEDaS1K_S1L_EUlS1K_E_NS1_11comp_targetILNS1_3genE2ELNS1_11target_archE906ELNS1_3gpuE6ELNS1_3repE0EEENS1_30default_config_static_selectorELNS0_4arch9wavefront6targetE0EEEvSY_
		.amdhsa_group_segment_fixed_size 0
		.amdhsa_private_segment_fixed_size 0
		.amdhsa_kernarg_size 144
		.amdhsa_user_sgpr_count 2
		.amdhsa_user_sgpr_dispatch_ptr 0
		.amdhsa_user_sgpr_queue_ptr 0
		.amdhsa_user_sgpr_kernarg_segment_ptr 1
		.amdhsa_user_sgpr_dispatch_id 0
		.amdhsa_user_sgpr_private_segment_size 0
		.amdhsa_wavefront_size32 1
		.amdhsa_uses_dynamic_stack 0
		.amdhsa_enable_private_segment 0
		.amdhsa_system_sgpr_workgroup_id_x 1
		.amdhsa_system_sgpr_workgroup_id_y 0
		.amdhsa_system_sgpr_workgroup_id_z 0
		.amdhsa_system_sgpr_workgroup_info 0
		.amdhsa_system_vgpr_workitem_id 0
		.amdhsa_next_free_vgpr 1
		.amdhsa_next_free_sgpr 1
		.amdhsa_reserve_vcc 0
		.amdhsa_float_round_mode_32 0
		.amdhsa_float_round_mode_16_64 0
		.amdhsa_float_denorm_mode_32 3
		.amdhsa_float_denorm_mode_16_64 3
		.amdhsa_fp16_overflow 0
		.amdhsa_workgroup_processor_mode 1
		.amdhsa_memory_ordered 1
		.amdhsa_forward_progress 1
		.amdhsa_inst_pref_size 0
		.amdhsa_round_robin_scheduling 0
		.amdhsa_exception_fp_ieee_invalid_op 0
		.amdhsa_exception_fp_denorm_src 0
		.amdhsa_exception_fp_ieee_div_zero 0
		.amdhsa_exception_fp_ieee_overflow 0
		.amdhsa_exception_fp_ieee_underflow 0
		.amdhsa_exception_fp_ieee_inexact 0
		.amdhsa_exception_int_div_zero 0
	.end_amdhsa_kernel
	.section	.text._ZN7rocprim17ROCPRIM_400000_NS6detail17trampoline_kernelINS0_13select_configILj256ELj13ELNS0_17block_load_methodE3ELS4_3ELS4_3ELNS0_20block_scan_algorithmE0ELj4294967295EEENS1_25partition_config_selectorILNS1_17partition_subalgoE3EjNS0_10empty_typeEbEEZZNS1_14partition_implILS8_3ELb0ES6_jNS0_17counting_iteratorIjlEEPS9_SE_NS0_5tupleIJPjSE_EEENSF_IJSE_SE_EEES9_SG_JZNS1_25segmented_radix_sort_implINS0_14default_configELb1EPKfPfPKlPlN2at6native12_GLOBAL__N_18offset_tEEE10hipError_tPvRmT1_PNSt15iterator_traitsISY_E10value_typeET2_T3_PNSZ_IS14_E10value_typeET4_jRbjT5_S1A_jjP12ihipStream_tbEUljE_EEESV_SW_SX_S14_S18_S1A_T6_T7_T9_mT8_S1C_bDpT10_ENKUlT_T0_E_clISt17integral_constantIbLb1EES1O_IbLb0EEEEDaS1K_S1L_EUlS1K_E_NS1_11comp_targetILNS1_3genE2ELNS1_11target_archE906ELNS1_3gpuE6ELNS1_3repE0EEENS1_30default_config_static_selectorELNS0_4arch9wavefront6targetE0EEEvSY_,"axG",@progbits,_ZN7rocprim17ROCPRIM_400000_NS6detail17trampoline_kernelINS0_13select_configILj256ELj13ELNS0_17block_load_methodE3ELS4_3ELS4_3ELNS0_20block_scan_algorithmE0ELj4294967295EEENS1_25partition_config_selectorILNS1_17partition_subalgoE3EjNS0_10empty_typeEbEEZZNS1_14partition_implILS8_3ELb0ES6_jNS0_17counting_iteratorIjlEEPS9_SE_NS0_5tupleIJPjSE_EEENSF_IJSE_SE_EEES9_SG_JZNS1_25segmented_radix_sort_implINS0_14default_configELb1EPKfPfPKlPlN2at6native12_GLOBAL__N_18offset_tEEE10hipError_tPvRmT1_PNSt15iterator_traitsISY_E10value_typeET2_T3_PNSZ_IS14_E10value_typeET4_jRbjT5_S1A_jjP12ihipStream_tbEUljE_EEESV_SW_SX_S14_S18_S1A_T6_T7_T9_mT8_S1C_bDpT10_ENKUlT_T0_E_clISt17integral_constantIbLb1EES1O_IbLb0EEEEDaS1K_S1L_EUlS1K_E_NS1_11comp_targetILNS1_3genE2ELNS1_11target_archE906ELNS1_3gpuE6ELNS1_3repE0EEENS1_30default_config_static_selectorELNS0_4arch9wavefront6targetE0EEEvSY_,comdat
.Lfunc_end1313:
	.size	_ZN7rocprim17ROCPRIM_400000_NS6detail17trampoline_kernelINS0_13select_configILj256ELj13ELNS0_17block_load_methodE3ELS4_3ELS4_3ELNS0_20block_scan_algorithmE0ELj4294967295EEENS1_25partition_config_selectorILNS1_17partition_subalgoE3EjNS0_10empty_typeEbEEZZNS1_14partition_implILS8_3ELb0ES6_jNS0_17counting_iteratorIjlEEPS9_SE_NS0_5tupleIJPjSE_EEENSF_IJSE_SE_EEES9_SG_JZNS1_25segmented_radix_sort_implINS0_14default_configELb1EPKfPfPKlPlN2at6native12_GLOBAL__N_18offset_tEEE10hipError_tPvRmT1_PNSt15iterator_traitsISY_E10value_typeET2_T3_PNSZ_IS14_E10value_typeET4_jRbjT5_S1A_jjP12ihipStream_tbEUljE_EEESV_SW_SX_S14_S18_S1A_T6_T7_T9_mT8_S1C_bDpT10_ENKUlT_T0_E_clISt17integral_constantIbLb1EES1O_IbLb0EEEEDaS1K_S1L_EUlS1K_E_NS1_11comp_targetILNS1_3genE2ELNS1_11target_archE906ELNS1_3gpuE6ELNS1_3repE0EEENS1_30default_config_static_selectorELNS0_4arch9wavefront6targetE0EEEvSY_, .Lfunc_end1313-_ZN7rocprim17ROCPRIM_400000_NS6detail17trampoline_kernelINS0_13select_configILj256ELj13ELNS0_17block_load_methodE3ELS4_3ELS4_3ELNS0_20block_scan_algorithmE0ELj4294967295EEENS1_25partition_config_selectorILNS1_17partition_subalgoE3EjNS0_10empty_typeEbEEZZNS1_14partition_implILS8_3ELb0ES6_jNS0_17counting_iteratorIjlEEPS9_SE_NS0_5tupleIJPjSE_EEENSF_IJSE_SE_EEES9_SG_JZNS1_25segmented_radix_sort_implINS0_14default_configELb1EPKfPfPKlPlN2at6native12_GLOBAL__N_18offset_tEEE10hipError_tPvRmT1_PNSt15iterator_traitsISY_E10value_typeET2_T3_PNSZ_IS14_E10value_typeET4_jRbjT5_S1A_jjP12ihipStream_tbEUljE_EEESV_SW_SX_S14_S18_S1A_T6_T7_T9_mT8_S1C_bDpT10_ENKUlT_T0_E_clISt17integral_constantIbLb1EES1O_IbLb0EEEEDaS1K_S1L_EUlS1K_E_NS1_11comp_targetILNS1_3genE2ELNS1_11target_archE906ELNS1_3gpuE6ELNS1_3repE0EEENS1_30default_config_static_selectorELNS0_4arch9wavefront6targetE0EEEvSY_
                                        ; -- End function
	.set _ZN7rocprim17ROCPRIM_400000_NS6detail17trampoline_kernelINS0_13select_configILj256ELj13ELNS0_17block_load_methodE3ELS4_3ELS4_3ELNS0_20block_scan_algorithmE0ELj4294967295EEENS1_25partition_config_selectorILNS1_17partition_subalgoE3EjNS0_10empty_typeEbEEZZNS1_14partition_implILS8_3ELb0ES6_jNS0_17counting_iteratorIjlEEPS9_SE_NS0_5tupleIJPjSE_EEENSF_IJSE_SE_EEES9_SG_JZNS1_25segmented_radix_sort_implINS0_14default_configELb1EPKfPfPKlPlN2at6native12_GLOBAL__N_18offset_tEEE10hipError_tPvRmT1_PNSt15iterator_traitsISY_E10value_typeET2_T3_PNSZ_IS14_E10value_typeET4_jRbjT5_S1A_jjP12ihipStream_tbEUljE_EEESV_SW_SX_S14_S18_S1A_T6_T7_T9_mT8_S1C_bDpT10_ENKUlT_T0_E_clISt17integral_constantIbLb1EES1O_IbLb0EEEEDaS1K_S1L_EUlS1K_E_NS1_11comp_targetILNS1_3genE2ELNS1_11target_archE906ELNS1_3gpuE6ELNS1_3repE0EEENS1_30default_config_static_selectorELNS0_4arch9wavefront6targetE0EEEvSY_.num_vgpr, 0
	.set _ZN7rocprim17ROCPRIM_400000_NS6detail17trampoline_kernelINS0_13select_configILj256ELj13ELNS0_17block_load_methodE3ELS4_3ELS4_3ELNS0_20block_scan_algorithmE0ELj4294967295EEENS1_25partition_config_selectorILNS1_17partition_subalgoE3EjNS0_10empty_typeEbEEZZNS1_14partition_implILS8_3ELb0ES6_jNS0_17counting_iteratorIjlEEPS9_SE_NS0_5tupleIJPjSE_EEENSF_IJSE_SE_EEES9_SG_JZNS1_25segmented_radix_sort_implINS0_14default_configELb1EPKfPfPKlPlN2at6native12_GLOBAL__N_18offset_tEEE10hipError_tPvRmT1_PNSt15iterator_traitsISY_E10value_typeET2_T3_PNSZ_IS14_E10value_typeET4_jRbjT5_S1A_jjP12ihipStream_tbEUljE_EEESV_SW_SX_S14_S18_S1A_T6_T7_T9_mT8_S1C_bDpT10_ENKUlT_T0_E_clISt17integral_constantIbLb1EES1O_IbLb0EEEEDaS1K_S1L_EUlS1K_E_NS1_11comp_targetILNS1_3genE2ELNS1_11target_archE906ELNS1_3gpuE6ELNS1_3repE0EEENS1_30default_config_static_selectorELNS0_4arch9wavefront6targetE0EEEvSY_.num_agpr, 0
	.set _ZN7rocprim17ROCPRIM_400000_NS6detail17trampoline_kernelINS0_13select_configILj256ELj13ELNS0_17block_load_methodE3ELS4_3ELS4_3ELNS0_20block_scan_algorithmE0ELj4294967295EEENS1_25partition_config_selectorILNS1_17partition_subalgoE3EjNS0_10empty_typeEbEEZZNS1_14partition_implILS8_3ELb0ES6_jNS0_17counting_iteratorIjlEEPS9_SE_NS0_5tupleIJPjSE_EEENSF_IJSE_SE_EEES9_SG_JZNS1_25segmented_radix_sort_implINS0_14default_configELb1EPKfPfPKlPlN2at6native12_GLOBAL__N_18offset_tEEE10hipError_tPvRmT1_PNSt15iterator_traitsISY_E10value_typeET2_T3_PNSZ_IS14_E10value_typeET4_jRbjT5_S1A_jjP12ihipStream_tbEUljE_EEESV_SW_SX_S14_S18_S1A_T6_T7_T9_mT8_S1C_bDpT10_ENKUlT_T0_E_clISt17integral_constantIbLb1EES1O_IbLb0EEEEDaS1K_S1L_EUlS1K_E_NS1_11comp_targetILNS1_3genE2ELNS1_11target_archE906ELNS1_3gpuE6ELNS1_3repE0EEENS1_30default_config_static_selectorELNS0_4arch9wavefront6targetE0EEEvSY_.numbered_sgpr, 0
	.set _ZN7rocprim17ROCPRIM_400000_NS6detail17trampoline_kernelINS0_13select_configILj256ELj13ELNS0_17block_load_methodE3ELS4_3ELS4_3ELNS0_20block_scan_algorithmE0ELj4294967295EEENS1_25partition_config_selectorILNS1_17partition_subalgoE3EjNS0_10empty_typeEbEEZZNS1_14partition_implILS8_3ELb0ES6_jNS0_17counting_iteratorIjlEEPS9_SE_NS0_5tupleIJPjSE_EEENSF_IJSE_SE_EEES9_SG_JZNS1_25segmented_radix_sort_implINS0_14default_configELb1EPKfPfPKlPlN2at6native12_GLOBAL__N_18offset_tEEE10hipError_tPvRmT1_PNSt15iterator_traitsISY_E10value_typeET2_T3_PNSZ_IS14_E10value_typeET4_jRbjT5_S1A_jjP12ihipStream_tbEUljE_EEESV_SW_SX_S14_S18_S1A_T6_T7_T9_mT8_S1C_bDpT10_ENKUlT_T0_E_clISt17integral_constantIbLb1EES1O_IbLb0EEEEDaS1K_S1L_EUlS1K_E_NS1_11comp_targetILNS1_3genE2ELNS1_11target_archE906ELNS1_3gpuE6ELNS1_3repE0EEENS1_30default_config_static_selectorELNS0_4arch9wavefront6targetE0EEEvSY_.num_named_barrier, 0
	.set _ZN7rocprim17ROCPRIM_400000_NS6detail17trampoline_kernelINS0_13select_configILj256ELj13ELNS0_17block_load_methodE3ELS4_3ELS4_3ELNS0_20block_scan_algorithmE0ELj4294967295EEENS1_25partition_config_selectorILNS1_17partition_subalgoE3EjNS0_10empty_typeEbEEZZNS1_14partition_implILS8_3ELb0ES6_jNS0_17counting_iteratorIjlEEPS9_SE_NS0_5tupleIJPjSE_EEENSF_IJSE_SE_EEES9_SG_JZNS1_25segmented_radix_sort_implINS0_14default_configELb1EPKfPfPKlPlN2at6native12_GLOBAL__N_18offset_tEEE10hipError_tPvRmT1_PNSt15iterator_traitsISY_E10value_typeET2_T3_PNSZ_IS14_E10value_typeET4_jRbjT5_S1A_jjP12ihipStream_tbEUljE_EEESV_SW_SX_S14_S18_S1A_T6_T7_T9_mT8_S1C_bDpT10_ENKUlT_T0_E_clISt17integral_constantIbLb1EES1O_IbLb0EEEEDaS1K_S1L_EUlS1K_E_NS1_11comp_targetILNS1_3genE2ELNS1_11target_archE906ELNS1_3gpuE6ELNS1_3repE0EEENS1_30default_config_static_selectorELNS0_4arch9wavefront6targetE0EEEvSY_.private_seg_size, 0
	.set _ZN7rocprim17ROCPRIM_400000_NS6detail17trampoline_kernelINS0_13select_configILj256ELj13ELNS0_17block_load_methodE3ELS4_3ELS4_3ELNS0_20block_scan_algorithmE0ELj4294967295EEENS1_25partition_config_selectorILNS1_17partition_subalgoE3EjNS0_10empty_typeEbEEZZNS1_14partition_implILS8_3ELb0ES6_jNS0_17counting_iteratorIjlEEPS9_SE_NS0_5tupleIJPjSE_EEENSF_IJSE_SE_EEES9_SG_JZNS1_25segmented_radix_sort_implINS0_14default_configELb1EPKfPfPKlPlN2at6native12_GLOBAL__N_18offset_tEEE10hipError_tPvRmT1_PNSt15iterator_traitsISY_E10value_typeET2_T3_PNSZ_IS14_E10value_typeET4_jRbjT5_S1A_jjP12ihipStream_tbEUljE_EEESV_SW_SX_S14_S18_S1A_T6_T7_T9_mT8_S1C_bDpT10_ENKUlT_T0_E_clISt17integral_constantIbLb1EES1O_IbLb0EEEEDaS1K_S1L_EUlS1K_E_NS1_11comp_targetILNS1_3genE2ELNS1_11target_archE906ELNS1_3gpuE6ELNS1_3repE0EEENS1_30default_config_static_selectorELNS0_4arch9wavefront6targetE0EEEvSY_.uses_vcc, 0
	.set _ZN7rocprim17ROCPRIM_400000_NS6detail17trampoline_kernelINS0_13select_configILj256ELj13ELNS0_17block_load_methodE3ELS4_3ELS4_3ELNS0_20block_scan_algorithmE0ELj4294967295EEENS1_25partition_config_selectorILNS1_17partition_subalgoE3EjNS0_10empty_typeEbEEZZNS1_14partition_implILS8_3ELb0ES6_jNS0_17counting_iteratorIjlEEPS9_SE_NS0_5tupleIJPjSE_EEENSF_IJSE_SE_EEES9_SG_JZNS1_25segmented_radix_sort_implINS0_14default_configELb1EPKfPfPKlPlN2at6native12_GLOBAL__N_18offset_tEEE10hipError_tPvRmT1_PNSt15iterator_traitsISY_E10value_typeET2_T3_PNSZ_IS14_E10value_typeET4_jRbjT5_S1A_jjP12ihipStream_tbEUljE_EEESV_SW_SX_S14_S18_S1A_T6_T7_T9_mT8_S1C_bDpT10_ENKUlT_T0_E_clISt17integral_constantIbLb1EES1O_IbLb0EEEEDaS1K_S1L_EUlS1K_E_NS1_11comp_targetILNS1_3genE2ELNS1_11target_archE906ELNS1_3gpuE6ELNS1_3repE0EEENS1_30default_config_static_selectorELNS0_4arch9wavefront6targetE0EEEvSY_.uses_flat_scratch, 0
	.set _ZN7rocprim17ROCPRIM_400000_NS6detail17trampoline_kernelINS0_13select_configILj256ELj13ELNS0_17block_load_methodE3ELS4_3ELS4_3ELNS0_20block_scan_algorithmE0ELj4294967295EEENS1_25partition_config_selectorILNS1_17partition_subalgoE3EjNS0_10empty_typeEbEEZZNS1_14partition_implILS8_3ELb0ES6_jNS0_17counting_iteratorIjlEEPS9_SE_NS0_5tupleIJPjSE_EEENSF_IJSE_SE_EEES9_SG_JZNS1_25segmented_radix_sort_implINS0_14default_configELb1EPKfPfPKlPlN2at6native12_GLOBAL__N_18offset_tEEE10hipError_tPvRmT1_PNSt15iterator_traitsISY_E10value_typeET2_T3_PNSZ_IS14_E10value_typeET4_jRbjT5_S1A_jjP12ihipStream_tbEUljE_EEESV_SW_SX_S14_S18_S1A_T6_T7_T9_mT8_S1C_bDpT10_ENKUlT_T0_E_clISt17integral_constantIbLb1EES1O_IbLb0EEEEDaS1K_S1L_EUlS1K_E_NS1_11comp_targetILNS1_3genE2ELNS1_11target_archE906ELNS1_3gpuE6ELNS1_3repE0EEENS1_30default_config_static_selectorELNS0_4arch9wavefront6targetE0EEEvSY_.has_dyn_sized_stack, 0
	.set _ZN7rocprim17ROCPRIM_400000_NS6detail17trampoline_kernelINS0_13select_configILj256ELj13ELNS0_17block_load_methodE3ELS4_3ELS4_3ELNS0_20block_scan_algorithmE0ELj4294967295EEENS1_25partition_config_selectorILNS1_17partition_subalgoE3EjNS0_10empty_typeEbEEZZNS1_14partition_implILS8_3ELb0ES6_jNS0_17counting_iteratorIjlEEPS9_SE_NS0_5tupleIJPjSE_EEENSF_IJSE_SE_EEES9_SG_JZNS1_25segmented_radix_sort_implINS0_14default_configELb1EPKfPfPKlPlN2at6native12_GLOBAL__N_18offset_tEEE10hipError_tPvRmT1_PNSt15iterator_traitsISY_E10value_typeET2_T3_PNSZ_IS14_E10value_typeET4_jRbjT5_S1A_jjP12ihipStream_tbEUljE_EEESV_SW_SX_S14_S18_S1A_T6_T7_T9_mT8_S1C_bDpT10_ENKUlT_T0_E_clISt17integral_constantIbLb1EES1O_IbLb0EEEEDaS1K_S1L_EUlS1K_E_NS1_11comp_targetILNS1_3genE2ELNS1_11target_archE906ELNS1_3gpuE6ELNS1_3repE0EEENS1_30default_config_static_selectorELNS0_4arch9wavefront6targetE0EEEvSY_.has_recursion, 0
	.set _ZN7rocprim17ROCPRIM_400000_NS6detail17trampoline_kernelINS0_13select_configILj256ELj13ELNS0_17block_load_methodE3ELS4_3ELS4_3ELNS0_20block_scan_algorithmE0ELj4294967295EEENS1_25partition_config_selectorILNS1_17partition_subalgoE3EjNS0_10empty_typeEbEEZZNS1_14partition_implILS8_3ELb0ES6_jNS0_17counting_iteratorIjlEEPS9_SE_NS0_5tupleIJPjSE_EEENSF_IJSE_SE_EEES9_SG_JZNS1_25segmented_radix_sort_implINS0_14default_configELb1EPKfPfPKlPlN2at6native12_GLOBAL__N_18offset_tEEE10hipError_tPvRmT1_PNSt15iterator_traitsISY_E10value_typeET2_T3_PNSZ_IS14_E10value_typeET4_jRbjT5_S1A_jjP12ihipStream_tbEUljE_EEESV_SW_SX_S14_S18_S1A_T6_T7_T9_mT8_S1C_bDpT10_ENKUlT_T0_E_clISt17integral_constantIbLb1EES1O_IbLb0EEEEDaS1K_S1L_EUlS1K_E_NS1_11comp_targetILNS1_3genE2ELNS1_11target_archE906ELNS1_3gpuE6ELNS1_3repE0EEENS1_30default_config_static_selectorELNS0_4arch9wavefront6targetE0EEEvSY_.has_indirect_call, 0
	.section	.AMDGPU.csdata,"",@progbits
; Kernel info:
; codeLenInByte = 0
; TotalNumSgprs: 0
; NumVgprs: 0
; ScratchSize: 0
; MemoryBound: 0
; FloatMode: 240
; IeeeMode: 1
; LDSByteSize: 0 bytes/workgroup (compile time only)
; SGPRBlocks: 0
; VGPRBlocks: 0
; NumSGPRsForWavesPerEU: 1
; NumVGPRsForWavesPerEU: 1
; Occupancy: 16
; WaveLimiterHint : 0
; COMPUTE_PGM_RSRC2:SCRATCH_EN: 0
; COMPUTE_PGM_RSRC2:USER_SGPR: 2
; COMPUTE_PGM_RSRC2:TRAP_HANDLER: 0
; COMPUTE_PGM_RSRC2:TGID_X_EN: 1
; COMPUTE_PGM_RSRC2:TGID_Y_EN: 0
; COMPUTE_PGM_RSRC2:TGID_Z_EN: 0
; COMPUTE_PGM_RSRC2:TIDIG_COMP_CNT: 0
	.section	.text._ZN7rocprim17ROCPRIM_400000_NS6detail17trampoline_kernelINS0_13select_configILj256ELj13ELNS0_17block_load_methodE3ELS4_3ELS4_3ELNS0_20block_scan_algorithmE0ELj4294967295EEENS1_25partition_config_selectorILNS1_17partition_subalgoE3EjNS0_10empty_typeEbEEZZNS1_14partition_implILS8_3ELb0ES6_jNS0_17counting_iteratorIjlEEPS9_SE_NS0_5tupleIJPjSE_EEENSF_IJSE_SE_EEES9_SG_JZNS1_25segmented_radix_sort_implINS0_14default_configELb1EPKfPfPKlPlN2at6native12_GLOBAL__N_18offset_tEEE10hipError_tPvRmT1_PNSt15iterator_traitsISY_E10value_typeET2_T3_PNSZ_IS14_E10value_typeET4_jRbjT5_S1A_jjP12ihipStream_tbEUljE_EEESV_SW_SX_S14_S18_S1A_T6_T7_T9_mT8_S1C_bDpT10_ENKUlT_T0_E_clISt17integral_constantIbLb1EES1O_IbLb0EEEEDaS1K_S1L_EUlS1K_E_NS1_11comp_targetILNS1_3genE10ELNS1_11target_archE1200ELNS1_3gpuE4ELNS1_3repE0EEENS1_30default_config_static_selectorELNS0_4arch9wavefront6targetE0EEEvSY_,"axG",@progbits,_ZN7rocprim17ROCPRIM_400000_NS6detail17trampoline_kernelINS0_13select_configILj256ELj13ELNS0_17block_load_methodE3ELS4_3ELS4_3ELNS0_20block_scan_algorithmE0ELj4294967295EEENS1_25partition_config_selectorILNS1_17partition_subalgoE3EjNS0_10empty_typeEbEEZZNS1_14partition_implILS8_3ELb0ES6_jNS0_17counting_iteratorIjlEEPS9_SE_NS0_5tupleIJPjSE_EEENSF_IJSE_SE_EEES9_SG_JZNS1_25segmented_radix_sort_implINS0_14default_configELb1EPKfPfPKlPlN2at6native12_GLOBAL__N_18offset_tEEE10hipError_tPvRmT1_PNSt15iterator_traitsISY_E10value_typeET2_T3_PNSZ_IS14_E10value_typeET4_jRbjT5_S1A_jjP12ihipStream_tbEUljE_EEESV_SW_SX_S14_S18_S1A_T6_T7_T9_mT8_S1C_bDpT10_ENKUlT_T0_E_clISt17integral_constantIbLb1EES1O_IbLb0EEEEDaS1K_S1L_EUlS1K_E_NS1_11comp_targetILNS1_3genE10ELNS1_11target_archE1200ELNS1_3gpuE4ELNS1_3repE0EEENS1_30default_config_static_selectorELNS0_4arch9wavefront6targetE0EEEvSY_,comdat
	.globl	_ZN7rocprim17ROCPRIM_400000_NS6detail17trampoline_kernelINS0_13select_configILj256ELj13ELNS0_17block_load_methodE3ELS4_3ELS4_3ELNS0_20block_scan_algorithmE0ELj4294967295EEENS1_25partition_config_selectorILNS1_17partition_subalgoE3EjNS0_10empty_typeEbEEZZNS1_14partition_implILS8_3ELb0ES6_jNS0_17counting_iteratorIjlEEPS9_SE_NS0_5tupleIJPjSE_EEENSF_IJSE_SE_EEES9_SG_JZNS1_25segmented_radix_sort_implINS0_14default_configELb1EPKfPfPKlPlN2at6native12_GLOBAL__N_18offset_tEEE10hipError_tPvRmT1_PNSt15iterator_traitsISY_E10value_typeET2_T3_PNSZ_IS14_E10value_typeET4_jRbjT5_S1A_jjP12ihipStream_tbEUljE_EEESV_SW_SX_S14_S18_S1A_T6_T7_T9_mT8_S1C_bDpT10_ENKUlT_T0_E_clISt17integral_constantIbLb1EES1O_IbLb0EEEEDaS1K_S1L_EUlS1K_E_NS1_11comp_targetILNS1_3genE10ELNS1_11target_archE1200ELNS1_3gpuE4ELNS1_3repE0EEENS1_30default_config_static_selectorELNS0_4arch9wavefront6targetE0EEEvSY_ ; -- Begin function _ZN7rocprim17ROCPRIM_400000_NS6detail17trampoline_kernelINS0_13select_configILj256ELj13ELNS0_17block_load_methodE3ELS4_3ELS4_3ELNS0_20block_scan_algorithmE0ELj4294967295EEENS1_25partition_config_selectorILNS1_17partition_subalgoE3EjNS0_10empty_typeEbEEZZNS1_14partition_implILS8_3ELb0ES6_jNS0_17counting_iteratorIjlEEPS9_SE_NS0_5tupleIJPjSE_EEENSF_IJSE_SE_EEES9_SG_JZNS1_25segmented_radix_sort_implINS0_14default_configELb1EPKfPfPKlPlN2at6native12_GLOBAL__N_18offset_tEEE10hipError_tPvRmT1_PNSt15iterator_traitsISY_E10value_typeET2_T3_PNSZ_IS14_E10value_typeET4_jRbjT5_S1A_jjP12ihipStream_tbEUljE_EEESV_SW_SX_S14_S18_S1A_T6_T7_T9_mT8_S1C_bDpT10_ENKUlT_T0_E_clISt17integral_constantIbLb1EES1O_IbLb0EEEEDaS1K_S1L_EUlS1K_E_NS1_11comp_targetILNS1_3genE10ELNS1_11target_archE1200ELNS1_3gpuE4ELNS1_3repE0EEENS1_30default_config_static_selectorELNS0_4arch9wavefront6targetE0EEEvSY_
	.p2align	8
	.type	_ZN7rocprim17ROCPRIM_400000_NS6detail17trampoline_kernelINS0_13select_configILj256ELj13ELNS0_17block_load_methodE3ELS4_3ELS4_3ELNS0_20block_scan_algorithmE0ELj4294967295EEENS1_25partition_config_selectorILNS1_17partition_subalgoE3EjNS0_10empty_typeEbEEZZNS1_14partition_implILS8_3ELb0ES6_jNS0_17counting_iteratorIjlEEPS9_SE_NS0_5tupleIJPjSE_EEENSF_IJSE_SE_EEES9_SG_JZNS1_25segmented_radix_sort_implINS0_14default_configELb1EPKfPfPKlPlN2at6native12_GLOBAL__N_18offset_tEEE10hipError_tPvRmT1_PNSt15iterator_traitsISY_E10value_typeET2_T3_PNSZ_IS14_E10value_typeET4_jRbjT5_S1A_jjP12ihipStream_tbEUljE_EEESV_SW_SX_S14_S18_S1A_T6_T7_T9_mT8_S1C_bDpT10_ENKUlT_T0_E_clISt17integral_constantIbLb1EES1O_IbLb0EEEEDaS1K_S1L_EUlS1K_E_NS1_11comp_targetILNS1_3genE10ELNS1_11target_archE1200ELNS1_3gpuE4ELNS1_3repE0EEENS1_30default_config_static_selectorELNS0_4arch9wavefront6targetE0EEEvSY_,@function
_ZN7rocprim17ROCPRIM_400000_NS6detail17trampoline_kernelINS0_13select_configILj256ELj13ELNS0_17block_load_methodE3ELS4_3ELS4_3ELNS0_20block_scan_algorithmE0ELj4294967295EEENS1_25partition_config_selectorILNS1_17partition_subalgoE3EjNS0_10empty_typeEbEEZZNS1_14partition_implILS8_3ELb0ES6_jNS0_17counting_iteratorIjlEEPS9_SE_NS0_5tupleIJPjSE_EEENSF_IJSE_SE_EEES9_SG_JZNS1_25segmented_radix_sort_implINS0_14default_configELb1EPKfPfPKlPlN2at6native12_GLOBAL__N_18offset_tEEE10hipError_tPvRmT1_PNSt15iterator_traitsISY_E10value_typeET2_T3_PNSZ_IS14_E10value_typeET4_jRbjT5_S1A_jjP12ihipStream_tbEUljE_EEESV_SW_SX_S14_S18_S1A_T6_T7_T9_mT8_S1C_bDpT10_ENKUlT_T0_E_clISt17integral_constantIbLb1EES1O_IbLb0EEEEDaS1K_S1L_EUlS1K_E_NS1_11comp_targetILNS1_3genE10ELNS1_11target_archE1200ELNS1_3gpuE4ELNS1_3repE0EEENS1_30default_config_static_selectorELNS0_4arch9wavefront6targetE0EEEvSY_: ; @_ZN7rocprim17ROCPRIM_400000_NS6detail17trampoline_kernelINS0_13select_configILj256ELj13ELNS0_17block_load_methodE3ELS4_3ELS4_3ELNS0_20block_scan_algorithmE0ELj4294967295EEENS1_25partition_config_selectorILNS1_17partition_subalgoE3EjNS0_10empty_typeEbEEZZNS1_14partition_implILS8_3ELb0ES6_jNS0_17counting_iteratorIjlEEPS9_SE_NS0_5tupleIJPjSE_EEENSF_IJSE_SE_EEES9_SG_JZNS1_25segmented_radix_sort_implINS0_14default_configELb1EPKfPfPKlPlN2at6native12_GLOBAL__N_18offset_tEEE10hipError_tPvRmT1_PNSt15iterator_traitsISY_E10value_typeET2_T3_PNSZ_IS14_E10value_typeET4_jRbjT5_S1A_jjP12ihipStream_tbEUljE_EEESV_SW_SX_S14_S18_S1A_T6_T7_T9_mT8_S1C_bDpT10_ENKUlT_T0_E_clISt17integral_constantIbLb1EES1O_IbLb0EEEEDaS1K_S1L_EUlS1K_E_NS1_11comp_targetILNS1_3genE10ELNS1_11target_archE1200ELNS1_3gpuE4ELNS1_3repE0EEENS1_30default_config_static_selectorELNS0_4arch9wavefront6targetE0EEEvSY_
; %bb.0:
	s_endpgm
	.section	.rodata,"a",@progbits
	.p2align	6, 0x0
	.amdhsa_kernel _ZN7rocprim17ROCPRIM_400000_NS6detail17trampoline_kernelINS0_13select_configILj256ELj13ELNS0_17block_load_methodE3ELS4_3ELS4_3ELNS0_20block_scan_algorithmE0ELj4294967295EEENS1_25partition_config_selectorILNS1_17partition_subalgoE3EjNS0_10empty_typeEbEEZZNS1_14partition_implILS8_3ELb0ES6_jNS0_17counting_iteratorIjlEEPS9_SE_NS0_5tupleIJPjSE_EEENSF_IJSE_SE_EEES9_SG_JZNS1_25segmented_radix_sort_implINS0_14default_configELb1EPKfPfPKlPlN2at6native12_GLOBAL__N_18offset_tEEE10hipError_tPvRmT1_PNSt15iterator_traitsISY_E10value_typeET2_T3_PNSZ_IS14_E10value_typeET4_jRbjT5_S1A_jjP12ihipStream_tbEUljE_EEESV_SW_SX_S14_S18_S1A_T6_T7_T9_mT8_S1C_bDpT10_ENKUlT_T0_E_clISt17integral_constantIbLb1EES1O_IbLb0EEEEDaS1K_S1L_EUlS1K_E_NS1_11comp_targetILNS1_3genE10ELNS1_11target_archE1200ELNS1_3gpuE4ELNS1_3repE0EEENS1_30default_config_static_selectorELNS0_4arch9wavefront6targetE0EEEvSY_
		.amdhsa_group_segment_fixed_size 0
		.amdhsa_private_segment_fixed_size 0
		.amdhsa_kernarg_size 144
		.amdhsa_user_sgpr_count 2
		.amdhsa_user_sgpr_dispatch_ptr 0
		.amdhsa_user_sgpr_queue_ptr 0
		.amdhsa_user_sgpr_kernarg_segment_ptr 1
		.amdhsa_user_sgpr_dispatch_id 0
		.amdhsa_user_sgpr_private_segment_size 0
		.amdhsa_wavefront_size32 1
		.amdhsa_uses_dynamic_stack 0
		.amdhsa_enable_private_segment 0
		.amdhsa_system_sgpr_workgroup_id_x 1
		.amdhsa_system_sgpr_workgroup_id_y 0
		.amdhsa_system_sgpr_workgroup_id_z 0
		.amdhsa_system_sgpr_workgroup_info 0
		.amdhsa_system_vgpr_workitem_id 0
		.amdhsa_next_free_vgpr 1
		.amdhsa_next_free_sgpr 1
		.amdhsa_reserve_vcc 0
		.amdhsa_float_round_mode_32 0
		.amdhsa_float_round_mode_16_64 0
		.amdhsa_float_denorm_mode_32 3
		.amdhsa_float_denorm_mode_16_64 3
		.amdhsa_fp16_overflow 0
		.amdhsa_workgroup_processor_mode 1
		.amdhsa_memory_ordered 1
		.amdhsa_forward_progress 1
		.amdhsa_inst_pref_size 1
		.amdhsa_round_robin_scheduling 0
		.amdhsa_exception_fp_ieee_invalid_op 0
		.amdhsa_exception_fp_denorm_src 0
		.amdhsa_exception_fp_ieee_div_zero 0
		.amdhsa_exception_fp_ieee_overflow 0
		.amdhsa_exception_fp_ieee_underflow 0
		.amdhsa_exception_fp_ieee_inexact 0
		.amdhsa_exception_int_div_zero 0
	.end_amdhsa_kernel
	.section	.text._ZN7rocprim17ROCPRIM_400000_NS6detail17trampoline_kernelINS0_13select_configILj256ELj13ELNS0_17block_load_methodE3ELS4_3ELS4_3ELNS0_20block_scan_algorithmE0ELj4294967295EEENS1_25partition_config_selectorILNS1_17partition_subalgoE3EjNS0_10empty_typeEbEEZZNS1_14partition_implILS8_3ELb0ES6_jNS0_17counting_iteratorIjlEEPS9_SE_NS0_5tupleIJPjSE_EEENSF_IJSE_SE_EEES9_SG_JZNS1_25segmented_radix_sort_implINS0_14default_configELb1EPKfPfPKlPlN2at6native12_GLOBAL__N_18offset_tEEE10hipError_tPvRmT1_PNSt15iterator_traitsISY_E10value_typeET2_T3_PNSZ_IS14_E10value_typeET4_jRbjT5_S1A_jjP12ihipStream_tbEUljE_EEESV_SW_SX_S14_S18_S1A_T6_T7_T9_mT8_S1C_bDpT10_ENKUlT_T0_E_clISt17integral_constantIbLb1EES1O_IbLb0EEEEDaS1K_S1L_EUlS1K_E_NS1_11comp_targetILNS1_3genE10ELNS1_11target_archE1200ELNS1_3gpuE4ELNS1_3repE0EEENS1_30default_config_static_selectorELNS0_4arch9wavefront6targetE0EEEvSY_,"axG",@progbits,_ZN7rocprim17ROCPRIM_400000_NS6detail17trampoline_kernelINS0_13select_configILj256ELj13ELNS0_17block_load_methodE3ELS4_3ELS4_3ELNS0_20block_scan_algorithmE0ELj4294967295EEENS1_25partition_config_selectorILNS1_17partition_subalgoE3EjNS0_10empty_typeEbEEZZNS1_14partition_implILS8_3ELb0ES6_jNS0_17counting_iteratorIjlEEPS9_SE_NS0_5tupleIJPjSE_EEENSF_IJSE_SE_EEES9_SG_JZNS1_25segmented_radix_sort_implINS0_14default_configELb1EPKfPfPKlPlN2at6native12_GLOBAL__N_18offset_tEEE10hipError_tPvRmT1_PNSt15iterator_traitsISY_E10value_typeET2_T3_PNSZ_IS14_E10value_typeET4_jRbjT5_S1A_jjP12ihipStream_tbEUljE_EEESV_SW_SX_S14_S18_S1A_T6_T7_T9_mT8_S1C_bDpT10_ENKUlT_T0_E_clISt17integral_constantIbLb1EES1O_IbLb0EEEEDaS1K_S1L_EUlS1K_E_NS1_11comp_targetILNS1_3genE10ELNS1_11target_archE1200ELNS1_3gpuE4ELNS1_3repE0EEENS1_30default_config_static_selectorELNS0_4arch9wavefront6targetE0EEEvSY_,comdat
.Lfunc_end1314:
	.size	_ZN7rocprim17ROCPRIM_400000_NS6detail17trampoline_kernelINS0_13select_configILj256ELj13ELNS0_17block_load_methodE3ELS4_3ELS4_3ELNS0_20block_scan_algorithmE0ELj4294967295EEENS1_25partition_config_selectorILNS1_17partition_subalgoE3EjNS0_10empty_typeEbEEZZNS1_14partition_implILS8_3ELb0ES6_jNS0_17counting_iteratorIjlEEPS9_SE_NS0_5tupleIJPjSE_EEENSF_IJSE_SE_EEES9_SG_JZNS1_25segmented_radix_sort_implINS0_14default_configELb1EPKfPfPKlPlN2at6native12_GLOBAL__N_18offset_tEEE10hipError_tPvRmT1_PNSt15iterator_traitsISY_E10value_typeET2_T3_PNSZ_IS14_E10value_typeET4_jRbjT5_S1A_jjP12ihipStream_tbEUljE_EEESV_SW_SX_S14_S18_S1A_T6_T7_T9_mT8_S1C_bDpT10_ENKUlT_T0_E_clISt17integral_constantIbLb1EES1O_IbLb0EEEEDaS1K_S1L_EUlS1K_E_NS1_11comp_targetILNS1_3genE10ELNS1_11target_archE1200ELNS1_3gpuE4ELNS1_3repE0EEENS1_30default_config_static_selectorELNS0_4arch9wavefront6targetE0EEEvSY_, .Lfunc_end1314-_ZN7rocprim17ROCPRIM_400000_NS6detail17trampoline_kernelINS0_13select_configILj256ELj13ELNS0_17block_load_methodE3ELS4_3ELS4_3ELNS0_20block_scan_algorithmE0ELj4294967295EEENS1_25partition_config_selectorILNS1_17partition_subalgoE3EjNS0_10empty_typeEbEEZZNS1_14partition_implILS8_3ELb0ES6_jNS0_17counting_iteratorIjlEEPS9_SE_NS0_5tupleIJPjSE_EEENSF_IJSE_SE_EEES9_SG_JZNS1_25segmented_radix_sort_implINS0_14default_configELb1EPKfPfPKlPlN2at6native12_GLOBAL__N_18offset_tEEE10hipError_tPvRmT1_PNSt15iterator_traitsISY_E10value_typeET2_T3_PNSZ_IS14_E10value_typeET4_jRbjT5_S1A_jjP12ihipStream_tbEUljE_EEESV_SW_SX_S14_S18_S1A_T6_T7_T9_mT8_S1C_bDpT10_ENKUlT_T0_E_clISt17integral_constantIbLb1EES1O_IbLb0EEEEDaS1K_S1L_EUlS1K_E_NS1_11comp_targetILNS1_3genE10ELNS1_11target_archE1200ELNS1_3gpuE4ELNS1_3repE0EEENS1_30default_config_static_selectorELNS0_4arch9wavefront6targetE0EEEvSY_
                                        ; -- End function
	.set _ZN7rocprim17ROCPRIM_400000_NS6detail17trampoline_kernelINS0_13select_configILj256ELj13ELNS0_17block_load_methodE3ELS4_3ELS4_3ELNS0_20block_scan_algorithmE0ELj4294967295EEENS1_25partition_config_selectorILNS1_17partition_subalgoE3EjNS0_10empty_typeEbEEZZNS1_14partition_implILS8_3ELb0ES6_jNS0_17counting_iteratorIjlEEPS9_SE_NS0_5tupleIJPjSE_EEENSF_IJSE_SE_EEES9_SG_JZNS1_25segmented_radix_sort_implINS0_14default_configELb1EPKfPfPKlPlN2at6native12_GLOBAL__N_18offset_tEEE10hipError_tPvRmT1_PNSt15iterator_traitsISY_E10value_typeET2_T3_PNSZ_IS14_E10value_typeET4_jRbjT5_S1A_jjP12ihipStream_tbEUljE_EEESV_SW_SX_S14_S18_S1A_T6_T7_T9_mT8_S1C_bDpT10_ENKUlT_T0_E_clISt17integral_constantIbLb1EES1O_IbLb0EEEEDaS1K_S1L_EUlS1K_E_NS1_11comp_targetILNS1_3genE10ELNS1_11target_archE1200ELNS1_3gpuE4ELNS1_3repE0EEENS1_30default_config_static_selectorELNS0_4arch9wavefront6targetE0EEEvSY_.num_vgpr, 0
	.set _ZN7rocprim17ROCPRIM_400000_NS6detail17trampoline_kernelINS0_13select_configILj256ELj13ELNS0_17block_load_methodE3ELS4_3ELS4_3ELNS0_20block_scan_algorithmE0ELj4294967295EEENS1_25partition_config_selectorILNS1_17partition_subalgoE3EjNS0_10empty_typeEbEEZZNS1_14partition_implILS8_3ELb0ES6_jNS0_17counting_iteratorIjlEEPS9_SE_NS0_5tupleIJPjSE_EEENSF_IJSE_SE_EEES9_SG_JZNS1_25segmented_radix_sort_implINS0_14default_configELb1EPKfPfPKlPlN2at6native12_GLOBAL__N_18offset_tEEE10hipError_tPvRmT1_PNSt15iterator_traitsISY_E10value_typeET2_T3_PNSZ_IS14_E10value_typeET4_jRbjT5_S1A_jjP12ihipStream_tbEUljE_EEESV_SW_SX_S14_S18_S1A_T6_T7_T9_mT8_S1C_bDpT10_ENKUlT_T0_E_clISt17integral_constantIbLb1EES1O_IbLb0EEEEDaS1K_S1L_EUlS1K_E_NS1_11comp_targetILNS1_3genE10ELNS1_11target_archE1200ELNS1_3gpuE4ELNS1_3repE0EEENS1_30default_config_static_selectorELNS0_4arch9wavefront6targetE0EEEvSY_.num_agpr, 0
	.set _ZN7rocprim17ROCPRIM_400000_NS6detail17trampoline_kernelINS0_13select_configILj256ELj13ELNS0_17block_load_methodE3ELS4_3ELS4_3ELNS0_20block_scan_algorithmE0ELj4294967295EEENS1_25partition_config_selectorILNS1_17partition_subalgoE3EjNS0_10empty_typeEbEEZZNS1_14partition_implILS8_3ELb0ES6_jNS0_17counting_iteratorIjlEEPS9_SE_NS0_5tupleIJPjSE_EEENSF_IJSE_SE_EEES9_SG_JZNS1_25segmented_radix_sort_implINS0_14default_configELb1EPKfPfPKlPlN2at6native12_GLOBAL__N_18offset_tEEE10hipError_tPvRmT1_PNSt15iterator_traitsISY_E10value_typeET2_T3_PNSZ_IS14_E10value_typeET4_jRbjT5_S1A_jjP12ihipStream_tbEUljE_EEESV_SW_SX_S14_S18_S1A_T6_T7_T9_mT8_S1C_bDpT10_ENKUlT_T0_E_clISt17integral_constantIbLb1EES1O_IbLb0EEEEDaS1K_S1L_EUlS1K_E_NS1_11comp_targetILNS1_3genE10ELNS1_11target_archE1200ELNS1_3gpuE4ELNS1_3repE0EEENS1_30default_config_static_selectorELNS0_4arch9wavefront6targetE0EEEvSY_.numbered_sgpr, 0
	.set _ZN7rocprim17ROCPRIM_400000_NS6detail17trampoline_kernelINS0_13select_configILj256ELj13ELNS0_17block_load_methodE3ELS4_3ELS4_3ELNS0_20block_scan_algorithmE0ELj4294967295EEENS1_25partition_config_selectorILNS1_17partition_subalgoE3EjNS0_10empty_typeEbEEZZNS1_14partition_implILS8_3ELb0ES6_jNS0_17counting_iteratorIjlEEPS9_SE_NS0_5tupleIJPjSE_EEENSF_IJSE_SE_EEES9_SG_JZNS1_25segmented_radix_sort_implINS0_14default_configELb1EPKfPfPKlPlN2at6native12_GLOBAL__N_18offset_tEEE10hipError_tPvRmT1_PNSt15iterator_traitsISY_E10value_typeET2_T3_PNSZ_IS14_E10value_typeET4_jRbjT5_S1A_jjP12ihipStream_tbEUljE_EEESV_SW_SX_S14_S18_S1A_T6_T7_T9_mT8_S1C_bDpT10_ENKUlT_T0_E_clISt17integral_constantIbLb1EES1O_IbLb0EEEEDaS1K_S1L_EUlS1K_E_NS1_11comp_targetILNS1_3genE10ELNS1_11target_archE1200ELNS1_3gpuE4ELNS1_3repE0EEENS1_30default_config_static_selectorELNS0_4arch9wavefront6targetE0EEEvSY_.num_named_barrier, 0
	.set _ZN7rocprim17ROCPRIM_400000_NS6detail17trampoline_kernelINS0_13select_configILj256ELj13ELNS0_17block_load_methodE3ELS4_3ELS4_3ELNS0_20block_scan_algorithmE0ELj4294967295EEENS1_25partition_config_selectorILNS1_17partition_subalgoE3EjNS0_10empty_typeEbEEZZNS1_14partition_implILS8_3ELb0ES6_jNS0_17counting_iteratorIjlEEPS9_SE_NS0_5tupleIJPjSE_EEENSF_IJSE_SE_EEES9_SG_JZNS1_25segmented_radix_sort_implINS0_14default_configELb1EPKfPfPKlPlN2at6native12_GLOBAL__N_18offset_tEEE10hipError_tPvRmT1_PNSt15iterator_traitsISY_E10value_typeET2_T3_PNSZ_IS14_E10value_typeET4_jRbjT5_S1A_jjP12ihipStream_tbEUljE_EEESV_SW_SX_S14_S18_S1A_T6_T7_T9_mT8_S1C_bDpT10_ENKUlT_T0_E_clISt17integral_constantIbLb1EES1O_IbLb0EEEEDaS1K_S1L_EUlS1K_E_NS1_11comp_targetILNS1_3genE10ELNS1_11target_archE1200ELNS1_3gpuE4ELNS1_3repE0EEENS1_30default_config_static_selectorELNS0_4arch9wavefront6targetE0EEEvSY_.private_seg_size, 0
	.set _ZN7rocprim17ROCPRIM_400000_NS6detail17trampoline_kernelINS0_13select_configILj256ELj13ELNS0_17block_load_methodE3ELS4_3ELS4_3ELNS0_20block_scan_algorithmE0ELj4294967295EEENS1_25partition_config_selectorILNS1_17partition_subalgoE3EjNS0_10empty_typeEbEEZZNS1_14partition_implILS8_3ELb0ES6_jNS0_17counting_iteratorIjlEEPS9_SE_NS0_5tupleIJPjSE_EEENSF_IJSE_SE_EEES9_SG_JZNS1_25segmented_radix_sort_implINS0_14default_configELb1EPKfPfPKlPlN2at6native12_GLOBAL__N_18offset_tEEE10hipError_tPvRmT1_PNSt15iterator_traitsISY_E10value_typeET2_T3_PNSZ_IS14_E10value_typeET4_jRbjT5_S1A_jjP12ihipStream_tbEUljE_EEESV_SW_SX_S14_S18_S1A_T6_T7_T9_mT8_S1C_bDpT10_ENKUlT_T0_E_clISt17integral_constantIbLb1EES1O_IbLb0EEEEDaS1K_S1L_EUlS1K_E_NS1_11comp_targetILNS1_3genE10ELNS1_11target_archE1200ELNS1_3gpuE4ELNS1_3repE0EEENS1_30default_config_static_selectorELNS0_4arch9wavefront6targetE0EEEvSY_.uses_vcc, 0
	.set _ZN7rocprim17ROCPRIM_400000_NS6detail17trampoline_kernelINS0_13select_configILj256ELj13ELNS0_17block_load_methodE3ELS4_3ELS4_3ELNS0_20block_scan_algorithmE0ELj4294967295EEENS1_25partition_config_selectorILNS1_17partition_subalgoE3EjNS0_10empty_typeEbEEZZNS1_14partition_implILS8_3ELb0ES6_jNS0_17counting_iteratorIjlEEPS9_SE_NS0_5tupleIJPjSE_EEENSF_IJSE_SE_EEES9_SG_JZNS1_25segmented_radix_sort_implINS0_14default_configELb1EPKfPfPKlPlN2at6native12_GLOBAL__N_18offset_tEEE10hipError_tPvRmT1_PNSt15iterator_traitsISY_E10value_typeET2_T3_PNSZ_IS14_E10value_typeET4_jRbjT5_S1A_jjP12ihipStream_tbEUljE_EEESV_SW_SX_S14_S18_S1A_T6_T7_T9_mT8_S1C_bDpT10_ENKUlT_T0_E_clISt17integral_constantIbLb1EES1O_IbLb0EEEEDaS1K_S1L_EUlS1K_E_NS1_11comp_targetILNS1_3genE10ELNS1_11target_archE1200ELNS1_3gpuE4ELNS1_3repE0EEENS1_30default_config_static_selectorELNS0_4arch9wavefront6targetE0EEEvSY_.uses_flat_scratch, 0
	.set _ZN7rocprim17ROCPRIM_400000_NS6detail17trampoline_kernelINS0_13select_configILj256ELj13ELNS0_17block_load_methodE3ELS4_3ELS4_3ELNS0_20block_scan_algorithmE0ELj4294967295EEENS1_25partition_config_selectorILNS1_17partition_subalgoE3EjNS0_10empty_typeEbEEZZNS1_14partition_implILS8_3ELb0ES6_jNS0_17counting_iteratorIjlEEPS9_SE_NS0_5tupleIJPjSE_EEENSF_IJSE_SE_EEES9_SG_JZNS1_25segmented_radix_sort_implINS0_14default_configELb1EPKfPfPKlPlN2at6native12_GLOBAL__N_18offset_tEEE10hipError_tPvRmT1_PNSt15iterator_traitsISY_E10value_typeET2_T3_PNSZ_IS14_E10value_typeET4_jRbjT5_S1A_jjP12ihipStream_tbEUljE_EEESV_SW_SX_S14_S18_S1A_T6_T7_T9_mT8_S1C_bDpT10_ENKUlT_T0_E_clISt17integral_constantIbLb1EES1O_IbLb0EEEEDaS1K_S1L_EUlS1K_E_NS1_11comp_targetILNS1_3genE10ELNS1_11target_archE1200ELNS1_3gpuE4ELNS1_3repE0EEENS1_30default_config_static_selectorELNS0_4arch9wavefront6targetE0EEEvSY_.has_dyn_sized_stack, 0
	.set _ZN7rocprim17ROCPRIM_400000_NS6detail17trampoline_kernelINS0_13select_configILj256ELj13ELNS0_17block_load_methodE3ELS4_3ELS4_3ELNS0_20block_scan_algorithmE0ELj4294967295EEENS1_25partition_config_selectorILNS1_17partition_subalgoE3EjNS0_10empty_typeEbEEZZNS1_14partition_implILS8_3ELb0ES6_jNS0_17counting_iteratorIjlEEPS9_SE_NS0_5tupleIJPjSE_EEENSF_IJSE_SE_EEES9_SG_JZNS1_25segmented_radix_sort_implINS0_14default_configELb1EPKfPfPKlPlN2at6native12_GLOBAL__N_18offset_tEEE10hipError_tPvRmT1_PNSt15iterator_traitsISY_E10value_typeET2_T3_PNSZ_IS14_E10value_typeET4_jRbjT5_S1A_jjP12ihipStream_tbEUljE_EEESV_SW_SX_S14_S18_S1A_T6_T7_T9_mT8_S1C_bDpT10_ENKUlT_T0_E_clISt17integral_constantIbLb1EES1O_IbLb0EEEEDaS1K_S1L_EUlS1K_E_NS1_11comp_targetILNS1_3genE10ELNS1_11target_archE1200ELNS1_3gpuE4ELNS1_3repE0EEENS1_30default_config_static_selectorELNS0_4arch9wavefront6targetE0EEEvSY_.has_recursion, 0
	.set _ZN7rocprim17ROCPRIM_400000_NS6detail17trampoline_kernelINS0_13select_configILj256ELj13ELNS0_17block_load_methodE3ELS4_3ELS4_3ELNS0_20block_scan_algorithmE0ELj4294967295EEENS1_25partition_config_selectorILNS1_17partition_subalgoE3EjNS0_10empty_typeEbEEZZNS1_14partition_implILS8_3ELb0ES6_jNS0_17counting_iteratorIjlEEPS9_SE_NS0_5tupleIJPjSE_EEENSF_IJSE_SE_EEES9_SG_JZNS1_25segmented_radix_sort_implINS0_14default_configELb1EPKfPfPKlPlN2at6native12_GLOBAL__N_18offset_tEEE10hipError_tPvRmT1_PNSt15iterator_traitsISY_E10value_typeET2_T3_PNSZ_IS14_E10value_typeET4_jRbjT5_S1A_jjP12ihipStream_tbEUljE_EEESV_SW_SX_S14_S18_S1A_T6_T7_T9_mT8_S1C_bDpT10_ENKUlT_T0_E_clISt17integral_constantIbLb1EES1O_IbLb0EEEEDaS1K_S1L_EUlS1K_E_NS1_11comp_targetILNS1_3genE10ELNS1_11target_archE1200ELNS1_3gpuE4ELNS1_3repE0EEENS1_30default_config_static_selectorELNS0_4arch9wavefront6targetE0EEEvSY_.has_indirect_call, 0
	.section	.AMDGPU.csdata,"",@progbits
; Kernel info:
; codeLenInByte = 4
; TotalNumSgprs: 0
; NumVgprs: 0
; ScratchSize: 0
; MemoryBound: 0
; FloatMode: 240
; IeeeMode: 1
; LDSByteSize: 0 bytes/workgroup (compile time only)
; SGPRBlocks: 0
; VGPRBlocks: 0
; NumSGPRsForWavesPerEU: 1
; NumVGPRsForWavesPerEU: 1
; Occupancy: 16
; WaveLimiterHint : 0
; COMPUTE_PGM_RSRC2:SCRATCH_EN: 0
; COMPUTE_PGM_RSRC2:USER_SGPR: 2
; COMPUTE_PGM_RSRC2:TRAP_HANDLER: 0
; COMPUTE_PGM_RSRC2:TGID_X_EN: 1
; COMPUTE_PGM_RSRC2:TGID_Y_EN: 0
; COMPUTE_PGM_RSRC2:TGID_Z_EN: 0
; COMPUTE_PGM_RSRC2:TIDIG_COMP_CNT: 0
	.section	.text._ZN7rocprim17ROCPRIM_400000_NS6detail17trampoline_kernelINS0_13select_configILj256ELj13ELNS0_17block_load_methodE3ELS4_3ELS4_3ELNS0_20block_scan_algorithmE0ELj4294967295EEENS1_25partition_config_selectorILNS1_17partition_subalgoE3EjNS0_10empty_typeEbEEZZNS1_14partition_implILS8_3ELb0ES6_jNS0_17counting_iteratorIjlEEPS9_SE_NS0_5tupleIJPjSE_EEENSF_IJSE_SE_EEES9_SG_JZNS1_25segmented_radix_sort_implINS0_14default_configELb1EPKfPfPKlPlN2at6native12_GLOBAL__N_18offset_tEEE10hipError_tPvRmT1_PNSt15iterator_traitsISY_E10value_typeET2_T3_PNSZ_IS14_E10value_typeET4_jRbjT5_S1A_jjP12ihipStream_tbEUljE_EEESV_SW_SX_S14_S18_S1A_T6_T7_T9_mT8_S1C_bDpT10_ENKUlT_T0_E_clISt17integral_constantIbLb1EES1O_IbLb0EEEEDaS1K_S1L_EUlS1K_E_NS1_11comp_targetILNS1_3genE9ELNS1_11target_archE1100ELNS1_3gpuE3ELNS1_3repE0EEENS1_30default_config_static_selectorELNS0_4arch9wavefront6targetE0EEEvSY_,"axG",@progbits,_ZN7rocprim17ROCPRIM_400000_NS6detail17trampoline_kernelINS0_13select_configILj256ELj13ELNS0_17block_load_methodE3ELS4_3ELS4_3ELNS0_20block_scan_algorithmE0ELj4294967295EEENS1_25partition_config_selectorILNS1_17partition_subalgoE3EjNS0_10empty_typeEbEEZZNS1_14partition_implILS8_3ELb0ES6_jNS0_17counting_iteratorIjlEEPS9_SE_NS0_5tupleIJPjSE_EEENSF_IJSE_SE_EEES9_SG_JZNS1_25segmented_radix_sort_implINS0_14default_configELb1EPKfPfPKlPlN2at6native12_GLOBAL__N_18offset_tEEE10hipError_tPvRmT1_PNSt15iterator_traitsISY_E10value_typeET2_T3_PNSZ_IS14_E10value_typeET4_jRbjT5_S1A_jjP12ihipStream_tbEUljE_EEESV_SW_SX_S14_S18_S1A_T6_T7_T9_mT8_S1C_bDpT10_ENKUlT_T0_E_clISt17integral_constantIbLb1EES1O_IbLb0EEEEDaS1K_S1L_EUlS1K_E_NS1_11comp_targetILNS1_3genE9ELNS1_11target_archE1100ELNS1_3gpuE3ELNS1_3repE0EEENS1_30default_config_static_selectorELNS0_4arch9wavefront6targetE0EEEvSY_,comdat
	.globl	_ZN7rocprim17ROCPRIM_400000_NS6detail17trampoline_kernelINS0_13select_configILj256ELj13ELNS0_17block_load_methodE3ELS4_3ELS4_3ELNS0_20block_scan_algorithmE0ELj4294967295EEENS1_25partition_config_selectorILNS1_17partition_subalgoE3EjNS0_10empty_typeEbEEZZNS1_14partition_implILS8_3ELb0ES6_jNS0_17counting_iteratorIjlEEPS9_SE_NS0_5tupleIJPjSE_EEENSF_IJSE_SE_EEES9_SG_JZNS1_25segmented_radix_sort_implINS0_14default_configELb1EPKfPfPKlPlN2at6native12_GLOBAL__N_18offset_tEEE10hipError_tPvRmT1_PNSt15iterator_traitsISY_E10value_typeET2_T3_PNSZ_IS14_E10value_typeET4_jRbjT5_S1A_jjP12ihipStream_tbEUljE_EEESV_SW_SX_S14_S18_S1A_T6_T7_T9_mT8_S1C_bDpT10_ENKUlT_T0_E_clISt17integral_constantIbLb1EES1O_IbLb0EEEEDaS1K_S1L_EUlS1K_E_NS1_11comp_targetILNS1_3genE9ELNS1_11target_archE1100ELNS1_3gpuE3ELNS1_3repE0EEENS1_30default_config_static_selectorELNS0_4arch9wavefront6targetE0EEEvSY_ ; -- Begin function _ZN7rocprim17ROCPRIM_400000_NS6detail17trampoline_kernelINS0_13select_configILj256ELj13ELNS0_17block_load_methodE3ELS4_3ELS4_3ELNS0_20block_scan_algorithmE0ELj4294967295EEENS1_25partition_config_selectorILNS1_17partition_subalgoE3EjNS0_10empty_typeEbEEZZNS1_14partition_implILS8_3ELb0ES6_jNS0_17counting_iteratorIjlEEPS9_SE_NS0_5tupleIJPjSE_EEENSF_IJSE_SE_EEES9_SG_JZNS1_25segmented_radix_sort_implINS0_14default_configELb1EPKfPfPKlPlN2at6native12_GLOBAL__N_18offset_tEEE10hipError_tPvRmT1_PNSt15iterator_traitsISY_E10value_typeET2_T3_PNSZ_IS14_E10value_typeET4_jRbjT5_S1A_jjP12ihipStream_tbEUljE_EEESV_SW_SX_S14_S18_S1A_T6_T7_T9_mT8_S1C_bDpT10_ENKUlT_T0_E_clISt17integral_constantIbLb1EES1O_IbLb0EEEEDaS1K_S1L_EUlS1K_E_NS1_11comp_targetILNS1_3genE9ELNS1_11target_archE1100ELNS1_3gpuE3ELNS1_3repE0EEENS1_30default_config_static_selectorELNS0_4arch9wavefront6targetE0EEEvSY_
	.p2align	8
	.type	_ZN7rocprim17ROCPRIM_400000_NS6detail17trampoline_kernelINS0_13select_configILj256ELj13ELNS0_17block_load_methodE3ELS4_3ELS4_3ELNS0_20block_scan_algorithmE0ELj4294967295EEENS1_25partition_config_selectorILNS1_17partition_subalgoE3EjNS0_10empty_typeEbEEZZNS1_14partition_implILS8_3ELb0ES6_jNS0_17counting_iteratorIjlEEPS9_SE_NS0_5tupleIJPjSE_EEENSF_IJSE_SE_EEES9_SG_JZNS1_25segmented_radix_sort_implINS0_14default_configELb1EPKfPfPKlPlN2at6native12_GLOBAL__N_18offset_tEEE10hipError_tPvRmT1_PNSt15iterator_traitsISY_E10value_typeET2_T3_PNSZ_IS14_E10value_typeET4_jRbjT5_S1A_jjP12ihipStream_tbEUljE_EEESV_SW_SX_S14_S18_S1A_T6_T7_T9_mT8_S1C_bDpT10_ENKUlT_T0_E_clISt17integral_constantIbLb1EES1O_IbLb0EEEEDaS1K_S1L_EUlS1K_E_NS1_11comp_targetILNS1_3genE9ELNS1_11target_archE1100ELNS1_3gpuE3ELNS1_3repE0EEENS1_30default_config_static_selectorELNS0_4arch9wavefront6targetE0EEEvSY_,@function
_ZN7rocprim17ROCPRIM_400000_NS6detail17trampoline_kernelINS0_13select_configILj256ELj13ELNS0_17block_load_methodE3ELS4_3ELS4_3ELNS0_20block_scan_algorithmE0ELj4294967295EEENS1_25partition_config_selectorILNS1_17partition_subalgoE3EjNS0_10empty_typeEbEEZZNS1_14partition_implILS8_3ELb0ES6_jNS0_17counting_iteratorIjlEEPS9_SE_NS0_5tupleIJPjSE_EEENSF_IJSE_SE_EEES9_SG_JZNS1_25segmented_radix_sort_implINS0_14default_configELb1EPKfPfPKlPlN2at6native12_GLOBAL__N_18offset_tEEE10hipError_tPvRmT1_PNSt15iterator_traitsISY_E10value_typeET2_T3_PNSZ_IS14_E10value_typeET4_jRbjT5_S1A_jjP12ihipStream_tbEUljE_EEESV_SW_SX_S14_S18_S1A_T6_T7_T9_mT8_S1C_bDpT10_ENKUlT_T0_E_clISt17integral_constantIbLb1EES1O_IbLb0EEEEDaS1K_S1L_EUlS1K_E_NS1_11comp_targetILNS1_3genE9ELNS1_11target_archE1100ELNS1_3gpuE3ELNS1_3repE0EEENS1_30default_config_static_selectorELNS0_4arch9wavefront6targetE0EEEvSY_: ; @_ZN7rocprim17ROCPRIM_400000_NS6detail17trampoline_kernelINS0_13select_configILj256ELj13ELNS0_17block_load_methodE3ELS4_3ELS4_3ELNS0_20block_scan_algorithmE0ELj4294967295EEENS1_25partition_config_selectorILNS1_17partition_subalgoE3EjNS0_10empty_typeEbEEZZNS1_14partition_implILS8_3ELb0ES6_jNS0_17counting_iteratorIjlEEPS9_SE_NS0_5tupleIJPjSE_EEENSF_IJSE_SE_EEES9_SG_JZNS1_25segmented_radix_sort_implINS0_14default_configELb1EPKfPfPKlPlN2at6native12_GLOBAL__N_18offset_tEEE10hipError_tPvRmT1_PNSt15iterator_traitsISY_E10value_typeET2_T3_PNSZ_IS14_E10value_typeET4_jRbjT5_S1A_jjP12ihipStream_tbEUljE_EEESV_SW_SX_S14_S18_S1A_T6_T7_T9_mT8_S1C_bDpT10_ENKUlT_T0_E_clISt17integral_constantIbLb1EES1O_IbLb0EEEEDaS1K_S1L_EUlS1K_E_NS1_11comp_targetILNS1_3genE9ELNS1_11target_archE1100ELNS1_3gpuE3ELNS1_3repE0EEENS1_30default_config_static_selectorELNS0_4arch9wavefront6targetE0EEEvSY_
; %bb.0:
	.section	.rodata,"a",@progbits
	.p2align	6, 0x0
	.amdhsa_kernel _ZN7rocprim17ROCPRIM_400000_NS6detail17trampoline_kernelINS0_13select_configILj256ELj13ELNS0_17block_load_methodE3ELS4_3ELS4_3ELNS0_20block_scan_algorithmE0ELj4294967295EEENS1_25partition_config_selectorILNS1_17partition_subalgoE3EjNS0_10empty_typeEbEEZZNS1_14partition_implILS8_3ELb0ES6_jNS0_17counting_iteratorIjlEEPS9_SE_NS0_5tupleIJPjSE_EEENSF_IJSE_SE_EEES9_SG_JZNS1_25segmented_radix_sort_implINS0_14default_configELb1EPKfPfPKlPlN2at6native12_GLOBAL__N_18offset_tEEE10hipError_tPvRmT1_PNSt15iterator_traitsISY_E10value_typeET2_T3_PNSZ_IS14_E10value_typeET4_jRbjT5_S1A_jjP12ihipStream_tbEUljE_EEESV_SW_SX_S14_S18_S1A_T6_T7_T9_mT8_S1C_bDpT10_ENKUlT_T0_E_clISt17integral_constantIbLb1EES1O_IbLb0EEEEDaS1K_S1L_EUlS1K_E_NS1_11comp_targetILNS1_3genE9ELNS1_11target_archE1100ELNS1_3gpuE3ELNS1_3repE0EEENS1_30default_config_static_selectorELNS0_4arch9wavefront6targetE0EEEvSY_
		.amdhsa_group_segment_fixed_size 0
		.amdhsa_private_segment_fixed_size 0
		.amdhsa_kernarg_size 144
		.amdhsa_user_sgpr_count 2
		.amdhsa_user_sgpr_dispatch_ptr 0
		.amdhsa_user_sgpr_queue_ptr 0
		.amdhsa_user_sgpr_kernarg_segment_ptr 1
		.amdhsa_user_sgpr_dispatch_id 0
		.amdhsa_user_sgpr_private_segment_size 0
		.amdhsa_wavefront_size32 1
		.amdhsa_uses_dynamic_stack 0
		.amdhsa_enable_private_segment 0
		.amdhsa_system_sgpr_workgroup_id_x 1
		.amdhsa_system_sgpr_workgroup_id_y 0
		.amdhsa_system_sgpr_workgroup_id_z 0
		.amdhsa_system_sgpr_workgroup_info 0
		.amdhsa_system_vgpr_workitem_id 0
		.amdhsa_next_free_vgpr 1
		.amdhsa_next_free_sgpr 1
		.amdhsa_reserve_vcc 0
		.amdhsa_float_round_mode_32 0
		.amdhsa_float_round_mode_16_64 0
		.amdhsa_float_denorm_mode_32 3
		.amdhsa_float_denorm_mode_16_64 3
		.amdhsa_fp16_overflow 0
		.amdhsa_workgroup_processor_mode 1
		.amdhsa_memory_ordered 1
		.amdhsa_forward_progress 1
		.amdhsa_inst_pref_size 0
		.amdhsa_round_robin_scheduling 0
		.amdhsa_exception_fp_ieee_invalid_op 0
		.amdhsa_exception_fp_denorm_src 0
		.amdhsa_exception_fp_ieee_div_zero 0
		.amdhsa_exception_fp_ieee_overflow 0
		.amdhsa_exception_fp_ieee_underflow 0
		.amdhsa_exception_fp_ieee_inexact 0
		.amdhsa_exception_int_div_zero 0
	.end_amdhsa_kernel
	.section	.text._ZN7rocprim17ROCPRIM_400000_NS6detail17trampoline_kernelINS0_13select_configILj256ELj13ELNS0_17block_load_methodE3ELS4_3ELS4_3ELNS0_20block_scan_algorithmE0ELj4294967295EEENS1_25partition_config_selectorILNS1_17partition_subalgoE3EjNS0_10empty_typeEbEEZZNS1_14partition_implILS8_3ELb0ES6_jNS0_17counting_iteratorIjlEEPS9_SE_NS0_5tupleIJPjSE_EEENSF_IJSE_SE_EEES9_SG_JZNS1_25segmented_radix_sort_implINS0_14default_configELb1EPKfPfPKlPlN2at6native12_GLOBAL__N_18offset_tEEE10hipError_tPvRmT1_PNSt15iterator_traitsISY_E10value_typeET2_T3_PNSZ_IS14_E10value_typeET4_jRbjT5_S1A_jjP12ihipStream_tbEUljE_EEESV_SW_SX_S14_S18_S1A_T6_T7_T9_mT8_S1C_bDpT10_ENKUlT_T0_E_clISt17integral_constantIbLb1EES1O_IbLb0EEEEDaS1K_S1L_EUlS1K_E_NS1_11comp_targetILNS1_3genE9ELNS1_11target_archE1100ELNS1_3gpuE3ELNS1_3repE0EEENS1_30default_config_static_selectorELNS0_4arch9wavefront6targetE0EEEvSY_,"axG",@progbits,_ZN7rocprim17ROCPRIM_400000_NS6detail17trampoline_kernelINS0_13select_configILj256ELj13ELNS0_17block_load_methodE3ELS4_3ELS4_3ELNS0_20block_scan_algorithmE0ELj4294967295EEENS1_25partition_config_selectorILNS1_17partition_subalgoE3EjNS0_10empty_typeEbEEZZNS1_14partition_implILS8_3ELb0ES6_jNS0_17counting_iteratorIjlEEPS9_SE_NS0_5tupleIJPjSE_EEENSF_IJSE_SE_EEES9_SG_JZNS1_25segmented_radix_sort_implINS0_14default_configELb1EPKfPfPKlPlN2at6native12_GLOBAL__N_18offset_tEEE10hipError_tPvRmT1_PNSt15iterator_traitsISY_E10value_typeET2_T3_PNSZ_IS14_E10value_typeET4_jRbjT5_S1A_jjP12ihipStream_tbEUljE_EEESV_SW_SX_S14_S18_S1A_T6_T7_T9_mT8_S1C_bDpT10_ENKUlT_T0_E_clISt17integral_constantIbLb1EES1O_IbLb0EEEEDaS1K_S1L_EUlS1K_E_NS1_11comp_targetILNS1_3genE9ELNS1_11target_archE1100ELNS1_3gpuE3ELNS1_3repE0EEENS1_30default_config_static_selectorELNS0_4arch9wavefront6targetE0EEEvSY_,comdat
.Lfunc_end1315:
	.size	_ZN7rocprim17ROCPRIM_400000_NS6detail17trampoline_kernelINS0_13select_configILj256ELj13ELNS0_17block_load_methodE3ELS4_3ELS4_3ELNS0_20block_scan_algorithmE0ELj4294967295EEENS1_25partition_config_selectorILNS1_17partition_subalgoE3EjNS0_10empty_typeEbEEZZNS1_14partition_implILS8_3ELb0ES6_jNS0_17counting_iteratorIjlEEPS9_SE_NS0_5tupleIJPjSE_EEENSF_IJSE_SE_EEES9_SG_JZNS1_25segmented_radix_sort_implINS0_14default_configELb1EPKfPfPKlPlN2at6native12_GLOBAL__N_18offset_tEEE10hipError_tPvRmT1_PNSt15iterator_traitsISY_E10value_typeET2_T3_PNSZ_IS14_E10value_typeET4_jRbjT5_S1A_jjP12ihipStream_tbEUljE_EEESV_SW_SX_S14_S18_S1A_T6_T7_T9_mT8_S1C_bDpT10_ENKUlT_T0_E_clISt17integral_constantIbLb1EES1O_IbLb0EEEEDaS1K_S1L_EUlS1K_E_NS1_11comp_targetILNS1_3genE9ELNS1_11target_archE1100ELNS1_3gpuE3ELNS1_3repE0EEENS1_30default_config_static_selectorELNS0_4arch9wavefront6targetE0EEEvSY_, .Lfunc_end1315-_ZN7rocprim17ROCPRIM_400000_NS6detail17trampoline_kernelINS0_13select_configILj256ELj13ELNS0_17block_load_methodE3ELS4_3ELS4_3ELNS0_20block_scan_algorithmE0ELj4294967295EEENS1_25partition_config_selectorILNS1_17partition_subalgoE3EjNS0_10empty_typeEbEEZZNS1_14partition_implILS8_3ELb0ES6_jNS0_17counting_iteratorIjlEEPS9_SE_NS0_5tupleIJPjSE_EEENSF_IJSE_SE_EEES9_SG_JZNS1_25segmented_radix_sort_implINS0_14default_configELb1EPKfPfPKlPlN2at6native12_GLOBAL__N_18offset_tEEE10hipError_tPvRmT1_PNSt15iterator_traitsISY_E10value_typeET2_T3_PNSZ_IS14_E10value_typeET4_jRbjT5_S1A_jjP12ihipStream_tbEUljE_EEESV_SW_SX_S14_S18_S1A_T6_T7_T9_mT8_S1C_bDpT10_ENKUlT_T0_E_clISt17integral_constantIbLb1EES1O_IbLb0EEEEDaS1K_S1L_EUlS1K_E_NS1_11comp_targetILNS1_3genE9ELNS1_11target_archE1100ELNS1_3gpuE3ELNS1_3repE0EEENS1_30default_config_static_selectorELNS0_4arch9wavefront6targetE0EEEvSY_
                                        ; -- End function
	.set _ZN7rocprim17ROCPRIM_400000_NS6detail17trampoline_kernelINS0_13select_configILj256ELj13ELNS0_17block_load_methodE3ELS4_3ELS4_3ELNS0_20block_scan_algorithmE0ELj4294967295EEENS1_25partition_config_selectorILNS1_17partition_subalgoE3EjNS0_10empty_typeEbEEZZNS1_14partition_implILS8_3ELb0ES6_jNS0_17counting_iteratorIjlEEPS9_SE_NS0_5tupleIJPjSE_EEENSF_IJSE_SE_EEES9_SG_JZNS1_25segmented_radix_sort_implINS0_14default_configELb1EPKfPfPKlPlN2at6native12_GLOBAL__N_18offset_tEEE10hipError_tPvRmT1_PNSt15iterator_traitsISY_E10value_typeET2_T3_PNSZ_IS14_E10value_typeET4_jRbjT5_S1A_jjP12ihipStream_tbEUljE_EEESV_SW_SX_S14_S18_S1A_T6_T7_T9_mT8_S1C_bDpT10_ENKUlT_T0_E_clISt17integral_constantIbLb1EES1O_IbLb0EEEEDaS1K_S1L_EUlS1K_E_NS1_11comp_targetILNS1_3genE9ELNS1_11target_archE1100ELNS1_3gpuE3ELNS1_3repE0EEENS1_30default_config_static_selectorELNS0_4arch9wavefront6targetE0EEEvSY_.num_vgpr, 0
	.set _ZN7rocprim17ROCPRIM_400000_NS6detail17trampoline_kernelINS0_13select_configILj256ELj13ELNS0_17block_load_methodE3ELS4_3ELS4_3ELNS0_20block_scan_algorithmE0ELj4294967295EEENS1_25partition_config_selectorILNS1_17partition_subalgoE3EjNS0_10empty_typeEbEEZZNS1_14partition_implILS8_3ELb0ES6_jNS0_17counting_iteratorIjlEEPS9_SE_NS0_5tupleIJPjSE_EEENSF_IJSE_SE_EEES9_SG_JZNS1_25segmented_radix_sort_implINS0_14default_configELb1EPKfPfPKlPlN2at6native12_GLOBAL__N_18offset_tEEE10hipError_tPvRmT1_PNSt15iterator_traitsISY_E10value_typeET2_T3_PNSZ_IS14_E10value_typeET4_jRbjT5_S1A_jjP12ihipStream_tbEUljE_EEESV_SW_SX_S14_S18_S1A_T6_T7_T9_mT8_S1C_bDpT10_ENKUlT_T0_E_clISt17integral_constantIbLb1EES1O_IbLb0EEEEDaS1K_S1L_EUlS1K_E_NS1_11comp_targetILNS1_3genE9ELNS1_11target_archE1100ELNS1_3gpuE3ELNS1_3repE0EEENS1_30default_config_static_selectorELNS0_4arch9wavefront6targetE0EEEvSY_.num_agpr, 0
	.set _ZN7rocprim17ROCPRIM_400000_NS6detail17trampoline_kernelINS0_13select_configILj256ELj13ELNS0_17block_load_methodE3ELS4_3ELS4_3ELNS0_20block_scan_algorithmE0ELj4294967295EEENS1_25partition_config_selectorILNS1_17partition_subalgoE3EjNS0_10empty_typeEbEEZZNS1_14partition_implILS8_3ELb0ES6_jNS0_17counting_iteratorIjlEEPS9_SE_NS0_5tupleIJPjSE_EEENSF_IJSE_SE_EEES9_SG_JZNS1_25segmented_radix_sort_implINS0_14default_configELb1EPKfPfPKlPlN2at6native12_GLOBAL__N_18offset_tEEE10hipError_tPvRmT1_PNSt15iterator_traitsISY_E10value_typeET2_T3_PNSZ_IS14_E10value_typeET4_jRbjT5_S1A_jjP12ihipStream_tbEUljE_EEESV_SW_SX_S14_S18_S1A_T6_T7_T9_mT8_S1C_bDpT10_ENKUlT_T0_E_clISt17integral_constantIbLb1EES1O_IbLb0EEEEDaS1K_S1L_EUlS1K_E_NS1_11comp_targetILNS1_3genE9ELNS1_11target_archE1100ELNS1_3gpuE3ELNS1_3repE0EEENS1_30default_config_static_selectorELNS0_4arch9wavefront6targetE0EEEvSY_.numbered_sgpr, 0
	.set _ZN7rocprim17ROCPRIM_400000_NS6detail17trampoline_kernelINS0_13select_configILj256ELj13ELNS0_17block_load_methodE3ELS4_3ELS4_3ELNS0_20block_scan_algorithmE0ELj4294967295EEENS1_25partition_config_selectorILNS1_17partition_subalgoE3EjNS0_10empty_typeEbEEZZNS1_14partition_implILS8_3ELb0ES6_jNS0_17counting_iteratorIjlEEPS9_SE_NS0_5tupleIJPjSE_EEENSF_IJSE_SE_EEES9_SG_JZNS1_25segmented_radix_sort_implINS0_14default_configELb1EPKfPfPKlPlN2at6native12_GLOBAL__N_18offset_tEEE10hipError_tPvRmT1_PNSt15iterator_traitsISY_E10value_typeET2_T3_PNSZ_IS14_E10value_typeET4_jRbjT5_S1A_jjP12ihipStream_tbEUljE_EEESV_SW_SX_S14_S18_S1A_T6_T7_T9_mT8_S1C_bDpT10_ENKUlT_T0_E_clISt17integral_constantIbLb1EES1O_IbLb0EEEEDaS1K_S1L_EUlS1K_E_NS1_11comp_targetILNS1_3genE9ELNS1_11target_archE1100ELNS1_3gpuE3ELNS1_3repE0EEENS1_30default_config_static_selectorELNS0_4arch9wavefront6targetE0EEEvSY_.num_named_barrier, 0
	.set _ZN7rocprim17ROCPRIM_400000_NS6detail17trampoline_kernelINS0_13select_configILj256ELj13ELNS0_17block_load_methodE3ELS4_3ELS4_3ELNS0_20block_scan_algorithmE0ELj4294967295EEENS1_25partition_config_selectorILNS1_17partition_subalgoE3EjNS0_10empty_typeEbEEZZNS1_14partition_implILS8_3ELb0ES6_jNS0_17counting_iteratorIjlEEPS9_SE_NS0_5tupleIJPjSE_EEENSF_IJSE_SE_EEES9_SG_JZNS1_25segmented_radix_sort_implINS0_14default_configELb1EPKfPfPKlPlN2at6native12_GLOBAL__N_18offset_tEEE10hipError_tPvRmT1_PNSt15iterator_traitsISY_E10value_typeET2_T3_PNSZ_IS14_E10value_typeET4_jRbjT5_S1A_jjP12ihipStream_tbEUljE_EEESV_SW_SX_S14_S18_S1A_T6_T7_T9_mT8_S1C_bDpT10_ENKUlT_T0_E_clISt17integral_constantIbLb1EES1O_IbLb0EEEEDaS1K_S1L_EUlS1K_E_NS1_11comp_targetILNS1_3genE9ELNS1_11target_archE1100ELNS1_3gpuE3ELNS1_3repE0EEENS1_30default_config_static_selectorELNS0_4arch9wavefront6targetE0EEEvSY_.private_seg_size, 0
	.set _ZN7rocprim17ROCPRIM_400000_NS6detail17trampoline_kernelINS0_13select_configILj256ELj13ELNS0_17block_load_methodE3ELS4_3ELS4_3ELNS0_20block_scan_algorithmE0ELj4294967295EEENS1_25partition_config_selectorILNS1_17partition_subalgoE3EjNS0_10empty_typeEbEEZZNS1_14partition_implILS8_3ELb0ES6_jNS0_17counting_iteratorIjlEEPS9_SE_NS0_5tupleIJPjSE_EEENSF_IJSE_SE_EEES9_SG_JZNS1_25segmented_radix_sort_implINS0_14default_configELb1EPKfPfPKlPlN2at6native12_GLOBAL__N_18offset_tEEE10hipError_tPvRmT1_PNSt15iterator_traitsISY_E10value_typeET2_T3_PNSZ_IS14_E10value_typeET4_jRbjT5_S1A_jjP12ihipStream_tbEUljE_EEESV_SW_SX_S14_S18_S1A_T6_T7_T9_mT8_S1C_bDpT10_ENKUlT_T0_E_clISt17integral_constantIbLb1EES1O_IbLb0EEEEDaS1K_S1L_EUlS1K_E_NS1_11comp_targetILNS1_3genE9ELNS1_11target_archE1100ELNS1_3gpuE3ELNS1_3repE0EEENS1_30default_config_static_selectorELNS0_4arch9wavefront6targetE0EEEvSY_.uses_vcc, 0
	.set _ZN7rocprim17ROCPRIM_400000_NS6detail17trampoline_kernelINS0_13select_configILj256ELj13ELNS0_17block_load_methodE3ELS4_3ELS4_3ELNS0_20block_scan_algorithmE0ELj4294967295EEENS1_25partition_config_selectorILNS1_17partition_subalgoE3EjNS0_10empty_typeEbEEZZNS1_14partition_implILS8_3ELb0ES6_jNS0_17counting_iteratorIjlEEPS9_SE_NS0_5tupleIJPjSE_EEENSF_IJSE_SE_EEES9_SG_JZNS1_25segmented_radix_sort_implINS0_14default_configELb1EPKfPfPKlPlN2at6native12_GLOBAL__N_18offset_tEEE10hipError_tPvRmT1_PNSt15iterator_traitsISY_E10value_typeET2_T3_PNSZ_IS14_E10value_typeET4_jRbjT5_S1A_jjP12ihipStream_tbEUljE_EEESV_SW_SX_S14_S18_S1A_T6_T7_T9_mT8_S1C_bDpT10_ENKUlT_T0_E_clISt17integral_constantIbLb1EES1O_IbLb0EEEEDaS1K_S1L_EUlS1K_E_NS1_11comp_targetILNS1_3genE9ELNS1_11target_archE1100ELNS1_3gpuE3ELNS1_3repE0EEENS1_30default_config_static_selectorELNS0_4arch9wavefront6targetE0EEEvSY_.uses_flat_scratch, 0
	.set _ZN7rocprim17ROCPRIM_400000_NS6detail17trampoline_kernelINS0_13select_configILj256ELj13ELNS0_17block_load_methodE3ELS4_3ELS4_3ELNS0_20block_scan_algorithmE0ELj4294967295EEENS1_25partition_config_selectorILNS1_17partition_subalgoE3EjNS0_10empty_typeEbEEZZNS1_14partition_implILS8_3ELb0ES6_jNS0_17counting_iteratorIjlEEPS9_SE_NS0_5tupleIJPjSE_EEENSF_IJSE_SE_EEES9_SG_JZNS1_25segmented_radix_sort_implINS0_14default_configELb1EPKfPfPKlPlN2at6native12_GLOBAL__N_18offset_tEEE10hipError_tPvRmT1_PNSt15iterator_traitsISY_E10value_typeET2_T3_PNSZ_IS14_E10value_typeET4_jRbjT5_S1A_jjP12ihipStream_tbEUljE_EEESV_SW_SX_S14_S18_S1A_T6_T7_T9_mT8_S1C_bDpT10_ENKUlT_T0_E_clISt17integral_constantIbLb1EES1O_IbLb0EEEEDaS1K_S1L_EUlS1K_E_NS1_11comp_targetILNS1_3genE9ELNS1_11target_archE1100ELNS1_3gpuE3ELNS1_3repE0EEENS1_30default_config_static_selectorELNS0_4arch9wavefront6targetE0EEEvSY_.has_dyn_sized_stack, 0
	.set _ZN7rocprim17ROCPRIM_400000_NS6detail17trampoline_kernelINS0_13select_configILj256ELj13ELNS0_17block_load_methodE3ELS4_3ELS4_3ELNS0_20block_scan_algorithmE0ELj4294967295EEENS1_25partition_config_selectorILNS1_17partition_subalgoE3EjNS0_10empty_typeEbEEZZNS1_14partition_implILS8_3ELb0ES6_jNS0_17counting_iteratorIjlEEPS9_SE_NS0_5tupleIJPjSE_EEENSF_IJSE_SE_EEES9_SG_JZNS1_25segmented_radix_sort_implINS0_14default_configELb1EPKfPfPKlPlN2at6native12_GLOBAL__N_18offset_tEEE10hipError_tPvRmT1_PNSt15iterator_traitsISY_E10value_typeET2_T3_PNSZ_IS14_E10value_typeET4_jRbjT5_S1A_jjP12ihipStream_tbEUljE_EEESV_SW_SX_S14_S18_S1A_T6_T7_T9_mT8_S1C_bDpT10_ENKUlT_T0_E_clISt17integral_constantIbLb1EES1O_IbLb0EEEEDaS1K_S1L_EUlS1K_E_NS1_11comp_targetILNS1_3genE9ELNS1_11target_archE1100ELNS1_3gpuE3ELNS1_3repE0EEENS1_30default_config_static_selectorELNS0_4arch9wavefront6targetE0EEEvSY_.has_recursion, 0
	.set _ZN7rocprim17ROCPRIM_400000_NS6detail17trampoline_kernelINS0_13select_configILj256ELj13ELNS0_17block_load_methodE3ELS4_3ELS4_3ELNS0_20block_scan_algorithmE0ELj4294967295EEENS1_25partition_config_selectorILNS1_17partition_subalgoE3EjNS0_10empty_typeEbEEZZNS1_14partition_implILS8_3ELb0ES6_jNS0_17counting_iteratorIjlEEPS9_SE_NS0_5tupleIJPjSE_EEENSF_IJSE_SE_EEES9_SG_JZNS1_25segmented_radix_sort_implINS0_14default_configELb1EPKfPfPKlPlN2at6native12_GLOBAL__N_18offset_tEEE10hipError_tPvRmT1_PNSt15iterator_traitsISY_E10value_typeET2_T3_PNSZ_IS14_E10value_typeET4_jRbjT5_S1A_jjP12ihipStream_tbEUljE_EEESV_SW_SX_S14_S18_S1A_T6_T7_T9_mT8_S1C_bDpT10_ENKUlT_T0_E_clISt17integral_constantIbLb1EES1O_IbLb0EEEEDaS1K_S1L_EUlS1K_E_NS1_11comp_targetILNS1_3genE9ELNS1_11target_archE1100ELNS1_3gpuE3ELNS1_3repE0EEENS1_30default_config_static_selectorELNS0_4arch9wavefront6targetE0EEEvSY_.has_indirect_call, 0
	.section	.AMDGPU.csdata,"",@progbits
; Kernel info:
; codeLenInByte = 0
; TotalNumSgprs: 0
; NumVgprs: 0
; ScratchSize: 0
; MemoryBound: 0
; FloatMode: 240
; IeeeMode: 1
; LDSByteSize: 0 bytes/workgroup (compile time only)
; SGPRBlocks: 0
; VGPRBlocks: 0
; NumSGPRsForWavesPerEU: 1
; NumVGPRsForWavesPerEU: 1
; Occupancy: 16
; WaveLimiterHint : 0
; COMPUTE_PGM_RSRC2:SCRATCH_EN: 0
; COMPUTE_PGM_RSRC2:USER_SGPR: 2
; COMPUTE_PGM_RSRC2:TRAP_HANDLER: 0
; COMPUTE_PGM_RSRC2:TGID_X_EN: 1
; COMPUTE_PGM_RSRC2:TGID_Y_EN: 0
; COMPUTE_PGM_RSRC2:TGID_Z_EN: 0
; COMPUTE_PGM_RSRC2:TIDIG_COMP_CNT: 0
	.section	.text._ZN7rocprim17ROCPRIM_400000_NS6detail17trampoline_kernelINS0_13select_configILj256ELj13ELNS0_17block_load_methodE3ELS4_3ELS4_3ELNS0_20block_scan_algorithmE0ELj4294967295EEENS1_25partition_config_selectorILNS1_17partition_subalgoE3EjNS0_10empty_typeEbEEZZNS1_14partition_implILS8_3ELb0ES6_jNS0_17counting_iteratorIjlEEPS9_SE_NS0_5tupleIJPjSE_EEENSF_IJSE_SE_EEES9_SG_JZNS1_25segmented_radix_sort_implINS0_14default_configELb1EPKfPfPKlPlN2at6native12_GLOBAL__N_18offset_tEEE10hipError_tPvRmT1_PNSt15iterator_traitsISY_E10value_typeET2_T3_PNSZ_IS14_E10value_typeET4_jRbjT5_S1A_jjP12ihipStream_tbEUljE_EEESV_SW_SX_S14_S18_S1A_T6_T7_T9_mT8_S1C_bDpT10_ENKUlT_T0_E_clISt17integral_constantIbLb1EES1O_IbLb0EEEEDaS1K_S1L_EUlS1K_E_NS1_11comp_targetILNS1_3genE8ELNS1_11target_archE1030ELNS1_3gpuE2ELNS1_3repE0EEENS1_30default_config_static_selectorELNS0_4arch9wavefront6targetE0EEEvSY_,"axG",@progbits,_ZN7rocprim17ROCPRIM_400000_NS6detail17trampoline_kernelINS0_13select_configILj256ELj13ELNS0_17block_load_methodE3ELS4_3ELS4_3ELNS0_20block_scan_algorithmE0ELj4294967295EEENS1_25partition_config_selectorILNS1_17partition_subalgoE3EjNS0_10empty_typeEbEEZZNS1_14partition_implILS8_3ELb0ES6_jNS0_17counting_iteratorIjlEEPS9_SE_NS0_5tupleIJPjSE_EEENSF_IJSE_SE_EEES9_SG_JZNS1_25segmented_radix_sort_implINS0_14default_configELb1EPKfPfPKlPlN2at6native12_GLOBAL__N_18offset_tEEE10hipError_tPvRmT1_PNSt15iterator_traitsISY_E10value_typeET2_T3_PNSZ_IS14_E10value_typeET4_jRbjT5_S1A_jjP12ihipStream_tbEUljE_EEESV_SW_SX_S14_S18_S1A_T6_T7_T9_mT8_S1C_bDpT10_ENKUlT_T0_E_clISt17integral_constantIbLb1EES1O_IbLb0EEEEDaS1K_S1L_EUlS1K_E_NS1_11comp_targetILNS1_3genE8ELNS1_11target_archE1030ELNS1_3gpuE2ELNS1_3repE0EEENS1_30default_config_static_selectorELNS0_4arch9wavefront6targetE0EEEvSY_,comdat
	.globl	_ZN7rocprim17ROCPRIM_400000_NS6detail17trampoline_kernelINS0_13select_configILj256ELj13ELNS0_17block_load_methodE3ELS4_3ELS4_3ELNS0_20block_scan_algorithmE0ELj4294967295EEENS1_25partition_config_selectorILNS1_17partition_subalgoE3EjNS0_10empty_typeEbEEZZNS1_14partition_implILS8_3ELb0ES6_jNS0_17counting_iteratorIjlEEPS9_SE_NS0_5tupleIJPjSE_EEENSF_IJSE_SE_EEES9_SG_JZNS1_25segmented_radix_sort_implINS0_14default_configELb1EPKfPfPKlPlN2at6native12_GLOBAL__N_18offset_tEEE10hipError_tPvRmT1_PNSt15iterator_traitsISY_E10value_typeET2_T3_PNSZ_IS14_E10value_typeET4_jRbjT5_S1A_jjP12ihipStream_tbEUljE_EEESV_SW_SX_S14_S18_S1A_T6_T7_T9_mT8_S1C_bDpT10_ENKUlT_T0_E_clISt17integral_constantIbLb1EES1O_IbLb0EEEEDaS1K_S1L_EUlS1K_E_NS1_11comp_targetILNS1_3genE8ELNS1_11target_archE1030ELNS1_3gpuE2ELNS1_3repE0EEENS1_30default_config_static_selectorELNS0_4arch9wavefront6targetE0EEEvSY_ ; -- Begin function _ZN7rocprim17ROCPRIM_400000_NS6detail17trampoline_kernelINS0_13select_configILj256ELj13ELNS0_17block_load_methodE3ELS4_3ELS4_3ELNS0_20block_scan_algorithmE0ELj4294967295EEENS1_25partition_config_selectorILNS1_17partition_subalgoE3EjNS0_10empty_typeEbEEZZNS1_14partition_implILS8_3ELb0ES6_jNS0_17counting_iteratorIjlEEPS9_SE_NS0_5tupleIJPjSE_EEENSF_IJSE_SE_EEES9_SG_JZNS1_25segmented_radix_sort_implINS0_14default_configELb1EPKfPfPKlPlN2at6native12_GLOBAL__N_18offset_tEEE10hipError_tPvRmT1_PNSt15iterator_traitsISY_E10value_typeET2_T3_PNSZ_IS14_E10value_typeET4_jRbjT5_S1A_jjP12ihipStream_tbEUljE_EEESV_SW_SX_S14_S18_S1A_T6_T7_T9_mT8_S1C_bDpT10_ENKUlT_T0_E_clISt17integral_constantIbLb1EES1O_IbLb0EEEEDaS1K_S1L_EUlS1K_E_NS1_11comp_targetILNS1_3genE8ELNS1_11target_archE1030ELNS1_3gpuE2ELNS1_3repE0EEENS1_30default_config_static_selectorELNS0_4arch9wavefront6targetE0EEEvSY_
	.p2align	8
	.type	_ZN7rocprim17ROCPRIM_400000_NS6detail17trampoline_kernelINS0_13select_configILj256ELj13ELNS0_17block_load_methodE3ELS4_3ELS4_3ELNS0_20block_scan_algorithmE0ELj4294967295EEENS1_25partition_config_selectorILNS1_17partition_subalgoE3EjNS0_10empty_typeEbEEZZNS1_14partition_implILS8_3ELb0ES6_jNS0_17counting_iteratorIjlEEPS9_SE_NS0_5tupleIJPjSE_EEENSF_IJSE_SE_EEES9_SG_JZNS1_25segmented_radix_sort_implINS0_14default_configELb1EPKfPfPKlPlN2at6native12_GLOBAL__N_18offset_tEEE10hipError_tPvRmT1_PNSt15iterator_traitsISY_E10value_typeET2_T3_PNSZ_IS14_E10value_typeET4_jRbjT5_S1A_jjP12ihipStream_tbEUljE_EEESV_SW_SX_S14_S18_S1A_T6_T7_T9_mT8_S1C_bDpT10_ENKUlT_T0_E_clISt17integral_constantIbLb1EES1O_IbLb0EEEEDaS1K_S1L_EUlS1K_E_NS1_11comp_targetILNS1_3genE8ELNS1_11target_archE1030ELNS1_3gpuE2ELNS1_3repE0EEENS1_30default_config_static_selectorELNS0_4arch9wavefront6targetE0EEEvSY_,@function
_ZN7rocprim17ROCPRIM_400000_NS6detail17trampoline_kernelINS0_13select_configILj256ELj13ELNS0_17block_load_methodE3ELS4_3ELS4_3ELNS0_20block_scan_algorithmE0ELj4294967295EEENS1_25partition_config_selectorILNS1_17partition_subalgoE3EjNS0_10empty_typeEbEEZZNS1_14partition_implILS8_3ELb0ES6_jNS0_17counting_iteratorIjlEEPS9_SE_NS0_5tupleIJPjSE_EEENSF_IJSE_SE_EEES9_SG_JZNS1_25segmented_radix_sort_implINS0_14default_configELb1EPKfPfPKlPlN2at6native12_GLOBAL__N_18offset_tEEE10hipError_tPvRmT1_PNSt15iterator_traitsISY_E10value_typeET2_T3_PNSZ_IS14_E10value_typeET4_jRbjT5_S1A_jjP12ihipStream_tbEUljE_EEESV_SW_SX_S14_S18_S1A_T6_T7_T9_mT8_S1C_bDpT10_ENKUlT_T0_E_clISt17integral_constantIbLb1EES1O_IbLb0EEEEDaS1K_S1L_EUlS1K_E_NS1_11comp_targetILNS1_3genE8ELNS1_11target_archE1030ELNS1_3gpuE2ELNS1_3repE0EEENS1_30default_config_static_selectorELNS0_4arch9wavefront6targetE0EEEvSY_: ; @_ZN7rocprim17ROCPRIM_400000_NS6detail17trampoline_kernelINS0_13select_configILj256ELj13ELNS0_17block_load_methodE3ELS4_3ELS4_3ELNS0_20block_scan_algorithmE0ELj4294967295EEENS1_25partition_config_selectorILNS1_17partition_subalgoE3EjNS0_10empty_typeEbEEZZNS1_14partition_implILS8_3ELb0ES6_jNS0_17counting_iteratorIjlEEPS9_SE_NS0_5tupleIJPjSE_EEENSF_IJSE_SE_EEES9_SG_JZNS1_25segmented_radix_sort_implINS0_14default_configELb1EPKfPfPKlPlN2at6native12_GLOBAL__N_18offset_tEEE10hipError_tPvRmT1_PNSt15iterator_traitsISY_E10value_typeET2_T3_PNSZ_IS14_E10value_typeET4_jRbjT5_S1A_jjP12ihipStream_tbEUljE_EEESV_SW_SX_S14_S18_S1A_T6_T7_T9_mT8_S1C_bDpT10_ENKUlT_T0_E_clISt17integral_constantIbLb1EES1O_IbLb0EEEEDaS1K_S1L_EUlS1K_E_NS1_11comp_targetILNS1_3genE8ELNS1_11target_archE1030ELNS1_3gpuE2ELNS1_3repE0EEENS1_30default_config_static_selectorELNS0_4arch9wavefront6targetE0EEEvSY_
; %bb.0:
	.section	.rodata,"a",@progbits
	.p2align	6, 0x0
	.amdhsa_kernel _ZN7rocprim17ROCPRIM_400000_NS6detail17trampoline_kernelINS0_13select_configILj256ELj13ELNS0_17block_load_methodE3ELS4_3ELS4_3ELNS0_20block_scan_algorithmE0ELj4294967295EEENS1_25partition_config_selectorILNS1_17partition_subalgoE3EjNS0_10empty_typeEbEEZZNS1_14partition_implILS8_3ELb0ES6_jNS0_17counting_iteratorIjlEEPS9_SE_NS0_5tupleIJPjSE_EEENSF_IJSE_SE_EEES9_SG_JZNS1_25segmented_radix_sort_implINS0_14default_configELb1EPKfPfPKlPlN2at6native12_GLOBAL__N_18offset_tEEE10hipError_tPvRmT1_PNSt15iterator_traitsISY_E10value_typeET2_T3_PNSZ_IS14_E10value_typeET4_jRbjT5_S1A_jjP12ihipStream_tbEUljE_EEESV_SW_SX_S14_S18_S1A_T6_T7_T9_mT8_S1C_bDpT10_ENKUlT_T0_E_clISt17integral_constantIbLb1EES1O_IbLb0EEEEDaS1K_S1L_EUlS1K_E_NS1_11comp_targetILNS1_3genE8ELNS1_11target_archE1030ELNS1_3gpuE2ELNS1_3repE0EEENS1_30default_config_static_selectorELNS0_4arch9wavefront6targetE0EEEvSY_
		.amdhsa_group_segment_fixed_size 0
		.amdhsa_private_segment_fixed_size 0
		.amdhsa_kernarg_size 144
		.amdhsa_user_sgpr_count 2
		.amdhsa_user_sgpr_dispatch_ptr 0
		.amdhsa_user_sgpr_queue_ptr 0
		.amdhsa_user_sgpr_kernarg_segment_ptr 1
		.amdhsa_user_sgpr_dispatch_id 0
		.amdhsa_user_sgpr_private_segment_size 0
		.amdhsa_wavefront_size32 1
		.amdhsa_uses_dynamic_stack 0
		.amdhsa_enable_private_segment 0
		.amdhsa_system_sgpr_workgroup_id_x 1
		.amdhsa_system_sgpr_workgroup_id_y 0
		.amdhsa_system_sgpr_workgroup_id_z 0
		.amdhsa_system_sgpr_workgroup_info 0
		.amdhsa_system_vgpr_workitem_id 0
		.amdhsa_next_free_vgpr 1
		.amdhsa_next_free_sgpr 1
		.amdhsa_reserve_vcc 0
		.amdhsa_float_round_mode_32 0
		.amdhsa_float_round_mode_16_64 0
		.amdhsa_float_denorm_mode_32 3
		.amdhsa_float_denorm_mode_16_64 3
		.amdhsa_fp16_overflow 0
		.amdhsa_workgroup_processor_mode 1
		.amdhsa_memory_ordered 1
		.amdhsa_forward_progress 1
		.amdhsa_inst_pref_size 0
		.amdhsa_round_robin_scheduling 0
		.amdhsa_exception_fp_ieee_invalid_op 0
		.amdhsa_exception_fp_denorm_src 0
		.amdhsa_exception_fp_ieee_div_zero 0
		.amdhsa_exception_fp_ieee_overflow 0
		.amdhsa_exception_fp_ieee_underflow 0
		.amdhsa_exception_fp_ieee_inexact 0
		.amdhsa_exception_int_div_zero 0
	.end_amdhsa_kernel
	.section	.text._ZN7rocprim17ROCPRIM_400000_NS6detail17trampoline_kernelINS0_13select_configILj256ELj13ELNS0_17block_load_methodE3ELS4_3ELS4_3ELNS0_20block_scan_algorithmE0ELj4294967295EEENS1_25partition_config_selectorILNS1_17partition_subalgoE3EjNS0_10empty_typeEbEEZZNS1_14partition_implILS8_3ELb0ES6_jNS0_17counting_iteratorIjlEEPS9_SE_NS0_5tupleIJPjSE_EEENSF_IJSE_SE_EEES9_SG_JZNS1_25segmented_radix_sort_implINS0_14default_configELb1EPKfPfPKlPlN2at6native12_GLOBAL__N_18offset_tEEE10hipError_tPvRmT1_PNSt15iterator_traitsISY_E10value_typeET2_T3_PNSZ_IS14_E10value_typeET4_jRbjT5_S1A_jjP12ihipStream_tbEUljE_EEESV_SW_SX_S14_S18_S1A_T6_T7_T9_mT8_S1C_bDpT10_ENKUlT_T0_E_clISt17integral_constantIbLb1EES1O_IbLb0EEEEDaS1K_S1L_EUlS1K_E_NS1_11comp_targetILNS1_3genE8ELNS1_11target_archE1030ELNS1_3gpuE2ELNS1_3repE0EEENS1_30default_config_static_selectorELNS0_4arch9wavefront6targetE0EEEvSY_,"axG",@progbits,_ZN7rocprim17ROCPRIM_400000_NS6detail17trampoline_kernelINS0_13select_configILj256ELj13ELNS0_17block_load_methodE3ELS4_3ELS4_3ELNS0_20block_scan_algorithmE0ELj4294967295EEENS1_25partition_config_selectorILNS1_17partition_subalgoE3EjNS0_10empty_typeEbEEZZNS1_14partition_implILS8_3ELb0ES6_jNS0_17counting_iteratorIjlEEPS9_SE_NS0_5tupleIJPjSE_EEENSF_IJSE_SE_EEES9_SG_JZNS1_25segmented_radix_sort_implINS0_14default_configELb1EPKfPfPKlPlN2at6native12_GLOBAL__N_18offset_tEEE10hipError_tPvRmT1_PNSt15iterator_traitsISY_E10value_typeET2_T3_PNSZ_IS14_E10value_typeET4_jRbjT5_S1A_jjP12ihipStream_tbEUljE_EEESV_SW_SX_S14_S18_S1A_T6_T7_T9_mT8_S1C_bDpT10_ENKUlT_T0_E_clISt17integral_constantIbLb1EES1O_IbLb0EEEEDaS1K_S1L_EUlS1K_E_NS1_11comp_targetILNS1_3genE8ELNS1_11target_archE1030ELNS1_3gpuE2ELNS1_3repE0EEENS1_30default_config_static_selectorELNS0_4arch9wavefront6targetE0EEEvSY_,comdat
.Lfunc_end1316:
	.size	_ZN7rocprim17ROCPRIM_400000_NS6detail17trampoline_kernelINS0_13select_configILj256ELj13ELNS0_17block_load_methodE3ELS4_3ELS4_3ELNS0_20block_scan_algorithmE0ELj4294967295EEENS1_25partition_config_selectorILNS1_17partition_subalgoE3EjNS0_10empty_typeEbEEZZNS1_14partition_implILS8_3ELb0ES6_jNS0_17counting_iteratorIjlEEPS9_SE_NS0_5tupleIJPjSE_EEENSF_IJSE_SE_EEES9_SG_JZNS1_25segmented_radix_sort_implINS0_14default_configELb1EPKfPfPKlPlN2at6native12_GLOBAL__N_18offset_tEEE10hipError_tPvRmT1_PNSt15iterator_traitsISY_E10value_typeET2_T3_PNSZ_IS14_E10value_typeET4_jRbjT5_S1A_jjP12ihipStream_tbEUljE_EEESV_SW_SX_S14_S18_S1A_T6_T7_T9_mT8_S1C_bDpT10_ENKUlT_T0_E_clISt17integral_constantIbLb1EES1O_IbLb0EEEEDaS1K_S1L_EUlS1K_E_NS1_11comp_targetILNS1_3genE8ELNS1_11target_archE1030ELNS1_3gpuE2ELNS1_3repE0EEENS1_30default_config_static_selectorELNS0_4arch9wavefront6targetE0EEEvSY_, .Lfunc_end1316-_ZN7rocprim17ROCPRIM_400000_NS6detail17trampoline_kernelINS0_13select_configILj256ELj13ELNS0_17block_load_methodE3ELS4_3ELS4_3ELNS0_20block_scan_algorithmE0ELj4294967295EEENS1_25partition_config_selectorILNS1_17partition_subalgoE3EjNS0_10empty_typeEbEEZZNS1_14partition_implILS8_3ELb0ES6_jNS0_17counting_iteratorIjlEEPS9_SE_NS0_5tupleIJPjSE_EEENSF_IJSE_SE_EEES9_SG_JZNS1_25segmented_radix_sort_implINS0_14default_configELb1EPKfPfPKlPlN2at6native12_GLOBAL__N_18offset_tEEE10hipError_tPvRmT1_PNSt15iterator_traitsISY_E10value_typeET2_T3_PNSZ_IS14_E10value_typeET4_jRbjT5_S1A_jjP12ihipStream_tbEUljE_EEESV_SW_SX_S14_S18_S1A_T6_T7_T9_mT8_S1C_bDpT10_ENKUlT_T0_E_clISt17integral_constantIbLb1EES1O_IbLb0EEEEDaS1K_S1L_EUlS1K_E_NS1_11comp_targetILNS1_3genE8ELNS1_11target_archE1030ELNS1_3gpuE2ELNS1_3repE0EEENS1_30default_config_static_selectorELNS0_4arch9wavefront6targetE0EEEvSY_
                                        ; -- End function
	.set _ZN7rocprim17ROCPRIM_400000_NS6detail17trampoline_kernelINS0_13select_configILj256ELj13ELNS0_17block_load_methodE3ELS4_3ELS4_3ELNS0_20block_scan_algorithmE0ELj4294967295EEENS1_25partition_config_selectorILNS1_17partition_subalgoE3EjNS0_10empty_typeEbEEZZNS1_14partition_implILS8_3ELb0ES6_jNS0_17counting_iteratorIjlEEPS9_SE_NS0_5tupleIJPjSE_EEENSF_IJSE_SE_EEES9_SG_JZNS1_25segmented_radix_sort_implINS0_14default_configELb1EPKfPfPKlPlN2at6native12_GLOBAL__N_18offset_tEEE10hipError_tPvRmT1_PNSt15iterator_traitsISY_E10value_typeET2_T3_PNSZ_IS14_E10value_typeET4_jRbjT5_S1A_jjP12ihipStream_tbEUljE_EEESV_SW_SX_S14_S18_S1A_T6_T7_T9_mT8_S1C_bDpT10_ENKUlT_T0_E_clISt17integral_constantIbLb1EES1O_IbLb0EEEEDaS1K_S1L_EUlS1K_E_NS1_11comp_targetILNS1_3genE8ELNS1_11target_archE1030ELNS1_3gpuE2ELNS1_3repE0EEENS1_30default_config_static_selectorELNS0_4arch9wavefront6targetE0EEEvSY_.num_vgpr, 0
	.set _ZN7rocprim17ROCPRIM_400000_NS6detail17trampoline_kernelINS0_13select_configILj256ELj13ELNS0_17block_load_methodE3ELS4_3ELS4_3ELNS0_20block_scan_algorithmE0ELj4294967295EEENS1_25partition_config_selectorILNS1_17partition_subalgoE3EjNS0_10empty_typeEbEEZZNS1_14partition_implILS8_3ELb0ES6_jNS0_17counting_iteratorIjlEEPS9_SE_NS0_5tupleIJPjSE_EEENSF_IJSE_SE_EEES9_SG_JZNS1_25segmented_radix_sort_implINS0_14default_configELb1EPKfPfPKlPlN2at6native12_GLOBAL__N_18offset_tEEE10hipError_tPvRmT1_PNSt15iterator_traitsISY_E10value_typeET2_T3_PNSZ_IS14_E10value_typeET4_jRbjT5_S1A_jjP12ihipStream_tbEUljE_EEESV_SW_SX_S14_S18_S1A_T6_T7_T9_mT8_S1C_bDpT10_ENKUlT_T0_E_clISt17integral_constantIbLb1EES1O_IbLb0EEEEDaS1K_S1L_EUlS1K_E_NS1_11comp_targetILNS1_3genE8ELNS1_11target_archE1030ELNS1_3gpuE2ELNS1_3repE0EEENS1_30default_config_static_selectorELNS0_4arch9wavefront6targetE0EEEvSY_.num_agpr, 0
	.set _ZN7rocprim17ROCPRIM_400000_NS6detail17trampoline_kernelINS0_13select_configILj256ELj13ELNS0_17block_load_methodE3ELS4_3ELS4_3ELNS0_20block_scan_algorithmE0ELj4294967295EEENS1_25partition_config_selectorILNS1_17partition_subalgoE3EjNS0_10empty_typeEbEEZZNS1_14partition_implILS8_3ELb0ES6_jNS0_17counting_iteratorIjlEEPS9_SE_NS0_5tupleIJPjSE_EEENSF_IJSE_SE_EEES9_SG_JZNS1_25segmented_radix_sort_implINS0_14default_configELb1EPKfPfPKlPlN2at6native12_GLOBAL__N_18offset_tEEE10hipError_tPvRmT1_PNSt15iterator_traitsISY_E10value_typeET2_T3_PNSZ_IS14_E10value_typeET4_jRbjT5_S1A_jjP12ihipStream_tbEUljE_EEESV_SW_SX_S14_S18_S1A_T6_T7_T9_mT8_S1C_bDpT10_ENKUlT_T0_E_clISt17integral_constantIbLb1EES1O_IbLb0EEEEDaS1K_S1L_EUlS1K_E_NS1_11comp_targetILNS1_3genE8ELNS1_11target_archE1030ELNS1_3gpuE2ELNS1_3repE0EEENS1_30default_config_static_selectorELNS0_4arch9wavefront6targetE0EEEvSY_.numbered_sgpr, 0
	.set _ZN7rocprim17ROCPRIM_400000_NS6detail17trampoline_kernelINS0_13select_configILj256ELj13ELNS0_17block_load_methodE3ELS4_3ELS4_3ELNS0_20block_scan_algorithmE0ELj4294967295EEENS1_25partition_config_selectorILNS1_17partition_subalgoE3EjNS0_10empty_typeEbEEZZNS1_14partition_implILS8_3ELb0ES6_jNS0_17counting_iteratorIjlEEPS9_SE_NS0_5tupleIJPjSE_EEENSF_IJSE_SE_EEES9_SG_JZNS1_25segmented_radix_sort_implINS0_14default_configELb1EPKfPfPKlPlN2at6native12_GLOBAL__N_18offset_tEEE10hipError_tPvRmT1_PNSt15iterator_traitsISY_E10value_typeET2_T3_PNSZ_IS14_E10value_typeET4_jRbjT5_S1A_jjP12ihipStream_tbEUljE_EEESV_SW_SX_S14_S18_S1A_T6_T7_T9_mT8_S1C_bDpT10_ENKUlT_T0_E_clISt17integral_constantIbLb1EES1O_IbLb0EEEEDaS1K_S1L_EUlS1K_E_NS1_11comp_targetILNS1_3genE8ELNS1_11target_archE1030ELNS1_3gpuE2ELNS1_3repE0EEENS1_30default_config_static_selectorELNS0_4arch9wavefront6targetE0EEEvSY_.num_named_barrier, 0
	.set _ZN7rocprim17ROCPRIM_400000_NS6detail17trampoline_kernelINS0_13select_configILj256ELj13ELNS0_17block_load_methodE3ELS4_3ELS4_3ELNS0_20block_scan_algorithmE0ELj4294967295EEENS1_25partition_config_selectorILNS1_17partition_subalgoE3EjNS0_10empty_typeEbEEZZNS1_14partition_implILS8_3ELb0ES6_jNS0_17counting_iteratorIjlEEPS9_SE_NS0_5tupleIJPjSE_EEENSF_IJSE_SE_EEES9_SG_JZNS1_25segmented_radix_sort_implINS0_14default_configELb1EPKfPfPKlPlN2at6native12_GLOBAL__N_18offset_tEEE10hipError_tPvRmT1_PNSt15iterator_traitsISY_E10value_typeET2_T3_PNSZ_IS14_E10value_typeET4_jRbjT5_S1A_jjP12ihipStream_tbEUljE_EEESV_SW_SX_S14_S18_S1A_T6_T7_T9_mT8_S1C_bDpT10_ENKUlT_T0_E_clISt17integral_constantIbLb1EES1O_IbLb0EEEEDaS1K_S1L_EUlS1K_E_NS1_11comp_targetILNS1_3genE8ELNS1_11target_archE1030ELNS1_3gpuE2ELNS1_3repE0EEENS1_30default_config_static_selectorELNS0_4arch9wavefront6targetE0EEEvSY_.private_seg_size, 0
	.set _ZN7rocprim17ROCPRIM_400000_NS6detail17trampoline_kernelINS0_13select_configILj256ELj13ELNS0_17block_load_methodE3ELS4_3ELS4_3ELNS0_20block_scan_algorithmE0ELj4294967295EEENS1_25partition_config_selectorILNS1_17partition_subalgoE3EjNS0_10empty_typeEbEEZZNS1_14partition_implILS8_3ELb0ES6_jNS0_17counting_iteratorIjlEEPS9_SE_NS0_5tupleIJPjSE_EEENSF_IJSE_SE_EEES9_SG_JZNS1_25segmented_radix_sort_implINS0_14default_configELb1EPKfPfPKlPlN2at6native12_GLOBAL__N_18offset_tEEE10hipError_tPvRmT1_PNSt15iterator_traitsISY_E10value_typeET2_T3_PNSZ_IS14_E10value_typeET4_jRbjT5_S1A_jjP12ihipStream_tbEUljE_EEESV_SW_SX_S14_S18_S1A_T6_T7_T9_mT8_S1C_bDpT10_ENKUlT_T0_E_clISt17integral_constantIbLb1EES1O_IbLb0EEEEDaS1K_S1L_EUlS1K_E_NS1_11comp_targetILNS1_3genE8ELNS1_11target_archE1030ELNS1_3gpuE2ELNS1_3repE0EEENS1_30default_config_static_selectorELNS0_4arch9wavefront6targetE0EEEvSY_.uses_vcc, 0
	.set _ZN7rocprim17ROCPRIM_400000_NS6detail17trampoline_kernelINS0_13select_configILj256ELj13ELNS0_17block_load_methodE3ELS4_3ELS4_3ELNS0_20block_scan_algorithmE0ELj4294967295EEENS1_25partition_config_selectorILNS1_17partition_subalgoE3EjNS0_10empty_typeEbEEZZNS1_14partition_implILS8_3ELb0ES6_jNS0_17counting_iteratorIjlEEPS9_SE_NS0_5tupleIJPjSE_EEENSF_IJSE_SE_EEES9_SG_JZNS1_25segmented_radix_sort_implINS0_14default_configELb1EPKfPfPKlPlN2at6native12_GLOBAL__N_18offset_tEEE10hipError_tPvRmT1_PNSt15iterator_traitsISY_E10value_typeET2_T3_PNSZ_IS14_E10value_typeET4_jRbjT5_S1A_jjP12ihipStream_tbEUljE_EEESV_SW_SX_S14_S18_S1A_T6_T7_T9_mT8_S1C_bDpT10_ENKUlT_T0_E_clISt17integral_constantIbLb1EES1O_IbLb0EEEEDaS1K_S1L_EUlS1K_E_NS1_11comp_targetILNS1_3genE8ELNS1_11target_archE1030ELNS1_3gpuE2ELNS1_3repE0EEENS1_30default_config_static_selectorELNS0_4arch9wavefront6targetE0EEEvSY_.uses_flat_scratch, 0
	.set _ZN7rocprim17ROCPRIM_400000_NS6detail17trampoline_kernelINS0_13select_configILj256ELj13ELNS0_17block_load_methodE3ELS4_3ELS4_3ELNS0_20block_scan_algorithmE0ELj4294967295EEENS1_25partition_config_selectorILNS1_17partition_subalgoE3EjNS0_10empty_typeEbEEZZNS1_14partition_implILS8_3ELb0ES6_jNS0_17counting_iteratorIjlEEPS9_SE_NS0_5tupleIJPjSE_EEENSF_IJSE_SE_EEES9_SG_JZNS1_25segmented_radix_sort_implINS0_14default_configELb1EPKfPfPKlPlN2at6native12_GLOBAL__N_18offset_tEEE10hipError_tPvRmT1_PNSt15iterator_traitsISY_E10value_typeET2_T3_PNSZ_IS14_E10value_typeET4_jRbjT5_S1A_jjP12ihipStream_tbEUljE_EEESV_SW_SX_S14_S18_S1A_T6_T7_T9_mT8_S1C_bDpT10_ENKUlT_T0_E_clISt17integral_constantIbLb1EES1O_IbLb0EEEEDaS1K_S1L_EUlS1K_E_NS1_11comp_targetILNS1_3genE8ELNS1_11target_archE1030ELNS1_3gpuE2ELNS1_3repE0EEENS1_30default_config_static_selectorELNS0_4arch9wavefront6targetE0EEEvSY_.has_dyn_sized_stack, 0
	.set _ZN7rocprim17ROCPRIM_400000_NS6detail17trampoline_kernelINS0_13select_configILj256ELj13ELNS0_17block_load_methodE3ELS4_3ELS4_3ELNS0_20block_scan_algorithmE0ELj4294967295EEENS1_25partition_config_selectorILNS1_17partition_subalgoE3EjNS0_10empty_typeEbEEZZNS1_14partition_implILS8_3ELb0ES6_jNS0_17counting_iteratorIjlEEPS9_SE_NS0_5tupleIJPjSE_EEENSF_IJSE_SE_EEES9_SG_JZNS1_25segmented_radix_sort_implINS0_14default_configELb1EPKfPfPKlPlN2at6native12_GLOBAL__N_18offset_tEEE10hipError_tPvRmT1_PNSt15iterator_traitsISY_E10value_typeET2_T3_PNSZ_IS14_E10value_typeET4_jRbjT5_S1A_jjP12ihipStream_tbEUljE_EEESV_SW_SX_S14_S18_S1A_T6_T7_T9_mT8_S1C_bDpT10_ENKUlT_T0_E_clISt17integral_constantIbLb1EES1O_IbLb0EEEEDaS1K_S1L_EUlS1K_E_NS1_11comp_targetILNS1_3genE8ELNS1_11target_archE1030ELNS1_3gpuE2ELNS1_3repE0EEENS1_30default_config_static_selectorELNS0_4arch9wavefront6targetE0EEEvSY_.has_recursion, 0
	.set _ZN7rocprim17ROCPRIM_400000_NS6detail17trampoline_kernelINS0_13select_configILj256ELj13ELNS0_17block_load_methodE3ELS4_3ELS4_3ELNS0_20block_scan_algorithmE0ELj4294967295EEENS1_25partition_config_selectorILNS1_17partition_subalgoE3EjNS0_10empty_typeEbEEZZNS1_14partition_implILS8_3ELb0ES6_jNS0_17counting_iteratorIjlEEPS9_SE_NS0_5tupleIJPjSE_EEENSF_IJSE_SE_EEES9_SG_JZNS1_25segmented_radix_sort_implINS0_14default_configELb1EPKfPfPKlPlN2at6native12_GLOBAL__N_18offset_tEEE10hipError_tPvRmT1_PNSt15iterator_traitsISY_E10value_typeET2_T3_PNSZ_IS14_E10value_typeET4_jRbjT5_S1A_jjP12ihipStream_tbEUljE_EEESV_SW_SX_S14_S18_S1A_T6_T7_T9_mT8_S1C_bDpT10_ENKUlT_T0_E_clISt17integral_constantIbLb1EES1O_IbLb0EEEEDaS1K_S1L_EUlS1K_E_NS1_11comp_targetILNS1_3genE8ELNS1_11target_archE1030ELNS1_3gpuE2ELNS1_3repE0EEENS1_30default_config_static_selectorELNS0_4arch9wavefront6targetE0EEEvSY_.has_indirect_call, 0
	.section	.AMDGPU.csdata,"",@progbits
; Kernel info:
; codeLenInByte = 0
; TotalNumSgprs: 0
; NumVgprs: 0
; ScratchSize: 0
; MemoryBound: 0
; FloatMode: 240
; IeeeMode: 1
; LDSByteSize: 0 bytes/workgroup (compile time only)
; SGPRBlocks: 0
; VGPRBlocks: 0
; NumSGPRsForWavesPerEU: 1
; NumVGPRsForWavesPerEU: 1
; Occupancy: 16
; WaveLimiterHint : 0
; COMPUTE_PGM_RSRC2:SCRATCH_EN: 0
; COMPUTE_PGM_RSRC2:USER_SGPR: 2
; COMPUTE_PGM_RSRC2:TRAP_HANDLER: 0
; COMPUTE_PGM_RSRC2:TGID_X_EN: 1
; COMPUTE_PGM_RSRC2:TGID_Y_EN: 0
; COMPUTE_PGM_RSRC2:TGID_Z_EN: 0
; COMPUTE_PGM_RSRC2:TIDIG_COMP_CNT: 0
	.section	.text._ZN7rocprim17ROCPRIM_400000_NS6detail17trampoline_kernelINS0_13select_configILj256ELj13ELNS0_17block_load_methodE3ELS4_3ELS4_3ELNS0_20block_scan_algorithmE0ELj4294967295EEENS1_25partition_config_selectorILNS1_17partition_subalgoE3EjNS0_10empty_typeEbEEZZNS1_14partition_implILS8_3ELb0ES6_jNS0_17counting_iteratorIjlEEPS9_SE_NS0_5tupleIJPjSE_EEENSF_IJSE_SE_EEES9_SG_JZNS1_25segmented_radix_sort_implINS0_14default_configELb1EPKfPfPKlPlN2at6native12_GLOBAL__N_18offset_tEEE10hipError_tPvRmT1_PNSt15iterator_traitsISY_E10value_typeET2_T3_PNSZ_IS14_E10value_typeET4_jRbjT5_S1A_jjP12ihipStream_tbEUljE_EEESV_SW_SX_S14_S18_S1A_T6_T7_T9_mT8_S1C_bDpT10_ENKUlT_T0_E_clISt17integral_constantIbLb0EES1O_IbLb1EEEEDaS1K_S1L_EUlS1K_E_NS1_11comp_targetILNS1_3genE0ELNS1_11target_archE4294967295ELNS1_3gpuE0ELNS1_3repE0EEENS1_30default_config_static_selectorELNS0_4arch9wavefront6targetE0EEEvSY_,"axG",@progbits,_ZN7rocprim17ROCPRIM_400000_NS6detail17trampoline_kernelINS0_13select_configILj256ELj13ELNS0_17block_load_methodE3ELS4_3ELS4_3ELNS0_20block_scan_algorithmE0ELj4294967295EEENS1_25partition_config_selectorILNS1_17partition_subalgoE3EjNS0_10empty_typeEbEEZZNS1_14partition_implILS8_3ELb0ES6_jNS0_17counting_iteratorIjlEEPS9_SE_NS0_5tupleIJPjSE_EEENSF_IJSE_SE_EEES9_SG_JZNS1_25segmented_radix_sort_implINS0_14default_configELb1EPKfPfPKlPlN2at6native12_GLOBAL__N_18offset_tEEE10hipError_tPvRmT1_PNSt15iterator_traitsISY_E10value_typeET2_T3_PNSZ_IS14_E10value_typeET4_jRbjT5_S1A_jjP12ihipStream_tbEUljE_EEESV_SW_SX_S14_S18_S1A_T6_T7_T9_mT8_S1C_bDpT10_ENKUlT_T0_E_clISt17integral_constantIbLb0EES1O_IbLb1EEEEDaS1K_S1L_EUlS1K_E_NS1_11comp_targetILNS1_3genE0ELNS1_11target_archE4294967295ELNS1_3gpuE0ELNS1_3repE0EEENS1_30default_config_static_selectorELNS0_4arch9wavefront6targetE0EEEvSY_,comdat
	.globl	_ZN7rocprim17ROCPRIM_400000_NS6detail17trampoline_kernelINS0_13select_configILj256ELj13ELNS0_17block_load_methodE3ELS4_3ELS4_3ELNS0_20block_scan_algorithmE0ELj4294967295EEENS1_25partition_config_selectorILNS1_17partition_subalgoE3EjNS0_10empty_typeEbEEZZNS1_14partition_implILS8_3ELb0ES6_jNS0_17counting_iteratorIjlEEPS9_SE_NS0_5tupleIJPjSE_EEENSF_IJSE_SE_EEES9_SG_JZNS1_25segmented_radix_sort_implINS0_14default_configELb1EPKfPfPKlPlN2at6native12_GLOBAL__N_18offset_tEEE10hipError_tPvRmT1_PNSt15iterator_traitsISY_E10value_typeET2_T3_PNSZ_IS14_E10value_typeET4_jRbjT5_S1A_jjP12ihipStream_tbEUljE_EEESV_SW_SX_S14_S18_S1A_T6_T7_T9_mT8_S1C_bDpT10_ENKUlT_T0_E_clISt17integral_constantIbLb0EES1O_IbLb1EEEEDaS1K_S1L_EUlS1K_E_NS1_11comp_targetILNS1_3genE0ELNS1_11target_archE4294967295ELNS1_3gpuE0ELNS1_3repE0EEENS1_30default_config_static_selectorELNS0_4arch9wavefront6targetE0EEEvSY_ ; -- Begin function _ZN7rocprim17ROCPRIM_400000_NS6detail17trampoline_kernelINS0_13select_configILj256ELj13ELNS0_17block_load_methodE3ELS4_3ELS4_3ELNS0_20block_scan_algorithmE0ELj4294967295EEENS1_25partition_config_selectorILNS1_17partition_subalgoE3EjNS0_10empty_typeEbEEZZNS1_14partition_implILS8_3ELb0ES6_jNS0_17counting_iteratorIjlEEPS9_SE_NS0_5tupleIJPjSE_EEENSF_IJSE_SE_EEES9_SG_JZNS1_25segmented_radix_sort_implINS0_14default_configELb1EPKfPfPKlPlN2at6native12_GLOBAL__N_18offset_tEEE10hipError_tPvRmT1_PNSt15iterator_traitsISY_E10value_typeET2_T3_PNSZ_IS14_E10value_typeET4_jRbjT5_S1A_jjP12ihipStream_tbEUljE_EEESV_SW_SX_S14_S18_S1A_T6_T7_T9_mT8_S1C_bDpT10_ENKUlT_T0_E_clISt17integral_constantIbLb0EES1O_IbLb1EEEEDaS1K_S1L_EUlS1K_E_NS1_11comp_targetILNS1_3genE0ELNS1_11target_archE4294967295ELNS1_3gpuE0ELNS1_3repE0EEENS1_30default_config_static_selectorELNS0_4arch9wavefront6targetE0EEEvSY_
	.p2align	8
	.type	_ZN7rocprim17ROCPRIM_400000_NS6detail17trampoline_kernelINS0_13select_configILj256ELj13ELNS0_17block_load_methodE3ELS4_3ELS4_3ELNS0_20block_scan_algorithmE0ELj4294967295EEENS1_25partition_config_selectorILNS1_17partition_subalgoE3EjNS0_10empty_typeEbEEZZNS1_14partition_implILS8_3ELb0ES6_jNS0_17counting_iteratorIjlEEPS9_SE_NS0_5tupleIJPjSE_EEENSF_IJSE_SE_EEES9_SG_JZNS1_25segmented_radix_sort_implINS0_14default_configELb1EPKfPfPKlPlN2at6native12_GLOBAL__N_18offset_tEEE10hipError_tPvRmT1_PNSt15iterator_traitsISY_E10value_typeET2_T3_PNSZ_IS14_E10value_typeET4_jRbjT5_S1A_jjP12ihipStream_tbEUljE_EEESV_SW_SX_S14_S18_S1A_T6_T7_T9_mT8_S1C_bDpT10_ENKUlT_T0_E_clISt17integral_constantIbLb0EES1O_IbLb1EEEEDaS1K_S1L_EUlS1K_E_NS1_11comp_targetILNS1_3genE0ELNS1_11target_archE4294967295ELNS1_3gpuE0ELNS1_3repE0EEENS1_30default_config_static_selectorELNS0_4arch9wavefront6targetE0EEEvSY_,@function
_ZN7rocprim17ROCPRIM_400000_NS6detail17trampoline_kernelINS0_13select_configILj256ELj13ELNS0_17block_load_methodE3ELS4_3ELS4_3ELNS0_20block_scan_algorithmE0ELj4294967295EEENS1_25partition_config_selectorILNS1_17partition_subalgoE3EjNS0_10empty_typeEbEEZZNS1_14partition_implILS8_3ELb0ES6_jNS0_17counting_iteratorIjlEEPS9_SE_NS0_5tupleIJPjSE_EEENSF_IJSE_SE_EEES9_SG_JZNS1_25segmented_radix_sort_implINS0_14default_configELb1EPKfPfPKlPlN2at6native12_GLOBAL__N_18offset_tEEE10hipError_tPvRmT1_PNSt15iterator_traitsISY_E10value_typeET2_T3_PNSZ_IS14_E10value_typeET4_jRbjT5_S1A_jjP12ihipStream_tbEUljE_EEESV_SW_SX_S14_S18_S1A_T6_T7_T9_mT8_S1C_bDpT10_ENKUlT_T0_E_clISt17integral_constantIbLb0EES1O_IbLb1EEEEDaS1K_S1L_EUlS1K_E_NS1_11comp_targetILNS1_3genE0ELNS1_11target_archE4294967295ELNS1_3gpuE0ELNS1_3repE0EEENS1_30default_config_static_selectorELNS0_4arch9wavefront6targetE0EEEvSY_: ; @_ZN7rocprim17ROCPRIM_400000_NS6detail17trampoline_kernelINS0_13select_configILj256ELj13ELNS0_17block_load_methodE3ELS4_3ELS4_3ELNS0_20block_scan_algorithmE0ELj4294967295EEENS1_25partition_config_selectorILNS1_17partition_subalgoE3EjNS0_10empty_typeEbEEZZNS1_14partition_implILS8_3ELb0ES6_jNS0_17counting_iteratorIjlEEPS9_SE_NS0_5tupleIJPjSE_EEENSF_IJSE_SE_EEES9_SG_JZNS1_25segmented_radix_sort_implINS0_14default_configELb1EPKfPfPKlPlN2at6native12_GLOBAL__N_18offset_tEEE10hipError_tPvRmT1_PNSt15iterator_traitsISY_E10value_typeET2_T3_PNSZ_IS14_E10value_typeET4_jRbjT5_S1A_jjP12ihipStream_tbEUljE_EEESV_SW_SX_S14_S18_S1A_T6_T7_T9_mT8_S1C_bDpT10_ENKUlT_T0_E_clISt17integral_constantIbLb0EES1O_IbLb1EEEEDaS1K_S1L_EUlS1K_E_NS1_11comp_targetILNS1_3genE0ELNS1_11target_archE4294967295ELNS1_3gpuE0ELNS1_3repE0EEENS1_30default_config_static_selectorELNS0_4arch9wavefront6targetE0EEEvSY_
; %bb.0:
	.section	.rodata,"a",@progbits
	.p2align	6, 0x0
	.amdhsa_kernel _ZN7rocprim17ROCPRIM_400000_NS6detail17trampoline_kernelINS0_13select_configILj256ELj13ELNS0_17block_load_methodE3ELS4_3ELS4_3ELNS0_20block_scan_algorithmE0ELj4294967295EEENS1_25partition_config_selectorILNS1_17partition_subalgoE3EjNS0_10empty_typeEbEEZZNS1_14partition_implILS8_3ELb0ES6_jNS0_17counting_iteratorIjlEEPS9_SE_NS0_5tupleIJPjSE_EEENSF_IJSE_SE_EEES9_SG_JZNS1_25segmented_radix_sort_implINS0_14default_configELb1EPKfPfPKlPlN2at6native12_GLOBAL__N_18offset_tEEE10hipError_tPvRmT1_PNSt15iterator_traitsISY_E10value_typeET2_T3_PNSZ_IS14_E10value_typeET4_jRbjT5_S1A_jjP12ihipStream_tbEUljE_EEESV_SW_SX_S14_S18_S1A_T6_T7_T9_mT8_S1C_bDpT10_ENKUlT_T0_E_clISt17integral_constantIbLb0EES1O_IbLb1EEEEDaS1K_S1L_EUlS1K_E_NS1_11comp_targetILNS1_3genE0ELNS1_11target_archE4294967295ELNS1_3gpuE0ELNS1_3repE0EEENS1_30default_config_static_selectorELNS0_4arch9wavefront6targetE0EEEvSY_
		.amdhsa_group_segment_fixed_size 0
		.amdhsa_private_segment_fixed_size 0
		.amdhsa_kernarg_size 152
		.amdhsa_user_sgpr_count 2
		.amdhsa_user_sgpr_dispatch_ptr 0
		.amdhsa_user_sgpr_queue_ptr 0
		.amdhsa_user_sgpr_kernarg_segment_ptr 1
		.amdhsa_user_sgpr_dispatch_id 0
		.amdhsa_user_sgpr_private_segment_size 0
		.amdhsa_wavefront_size32 1
		.amdhsa_uses_dynamic_stack 0
		.amdhsa_enable_private_segment 0
		.amdhsa_system_sgpr_workgroup_id_x 1
		.amdhsa_system_sgpr_workgroup_id_y 0
		.amdhsa_system_sgpr_workgroup_id_z 0
		.amdhsa_system_sgpr_workgroup_info 0
		.amdhsa_system_vgpr_workitem_id 0
		.amdhsa_next_free_vgpr 1
		.amdhsa_next_free_sgpr 1
		.amdhsa_reserve_vcc 0
		.amdhsa_float_round_mode_32 0
		.amdhsa_float_round_mode_16_64 0
		.amdhsa_float_denorm_mode_32 3
		.amdhsa_float_denorm_mode_16_64 3
		.amdhsa_fp16_overflow 0
		.amdhsa_workgroup_processor_mode 1
		.amdhsa_memory_ordered 1
		.amdhsa_forward_progress 1
		.amdhsa_inst_pref_size 0
		.amdhsa_round_robin_scheduling 0
		.amdhsa_exception_fp_ieee_invalid_op 0
		.amdhsa_exception_fp_denorm_src 0
		.amdhsa_exception_fp_ieee_div_zero 0
		.amdhsa_exception_fp_ieee_overflow 0
		.amdhsa_exception_fp_ieee_underflow 0
		.amdhsa_exception_fp_ieee_inexact 0
		.amdhsa_exception_int_div_zero 0
	.end_amdhsa_kernel
	.section	.text._ZN7rocprim17ROCPRIM_400000_NS6detail17trampoline_kernelINS0_13select_configILj256ELj13ELNS0_17block_load_methodE3ELS4_3ELS4_3ELNS0_20block_scan_algorithmE0ELj4294967295EEENS1_25partition_config_selectorILNS1_17partition_subalgoE3EjNS0_10empty_typeEbEEZZNS1_14partition_implILS8_3ELb0ES6_jNS0_17counting_iteratorIjlEEPS9_SE_NS0_5tupleIJPjSE_EEENSF_IJSE_SE_EEES9_SG_JZNS1_25segmented_radix_sort_implINS0_14default_configELb1EPKfPfPKlPlN2at6native12_GLOBAL__N_18offset_tEEE10hipError_tPvRmT1_PNSt15iterator_traitsISY_E10value_typeET2_T3_PNSZ_IS14_E10value_typeET4_jRbjT5_S1A_jjP12ihipStream_tbEUljE_EEESV_SW_SX_S14_S18_S1A_T6_T7_T9_mT8_S1C_bDpT10_ENKUlT_T0_E_clISt17integral_constantIbLb0EES1O_IbLb1EEEEDaS1K_S1L_EUlS1K_E_NS1_11comp_targetILNS1_3genE0ELNS1_11target_archE4294967295ELNS1_3gpuE0ELNS1_3repE0EEENS1_30default_config_static_selectorELNS0_4arch9wavefront6targetE0EEEvSY_,"axG",@progbits,_ZN7rocprim17ROCPRIM_400000_NS6detail17trampoline_kernelINS0_13select_configILj256ELj13ELNS0_17block_load_methodE3ELS4_3ELS4_3ELNS0_20block_scan_algorithmE0ELj4294967295EEENS1_25partition_config_selectorILNS1_17partition_subalgoE3EjNS0_10empty_typeEbEEZZNS1_14partition_implILS8_3ELb0ES6_jNS0_17counting_iteratorIjlEEPS9_SE_NS0_5tupleIJPjSE_EEENSF_IJSE_SE_EEES9_SG_JZNS1_25segmented_radix_sort_implINS0_14default_configELb1EPKfPfPKlPlN2at6native12_GLOBAL__N_18offset_tEEE10hipError_tPvRmT1_PNSt15iterator_traitsISY_E10value_typeET2_T3_PNSZ_IS14_E10value_typeET4_jRbjT5_S1A_jjP12ihipStream_tbEUljE_EEESV_SW_SX_S14_S18_S1A_T6_T7_T9_mT8_S1C_bDpT10_ENKUlT_T0_E_clISt17integral_constantIbLb0EES1O_IbLb1EEEEDaS1K_S1L_EUlS1K_E_NS1_11comp_targetILNS1_3genE0ELNS1_11target_archE4294967295ELNS1_3gpuE0ELNS1_3repE0EEENS1_30default_config_static_selectorELNS0_4arch9wavefront6targetE0EEEvSY_,comdat
.Lfunc_end1317:
	.size	_ZN7rocprim17ROCPRIM_400000_NS6detail17trampoline_kernelINS0_13select_configILj256ELj13ELNS0_17block_load_methodE3ELS4_3ELS4_3ELNS0_20block_scan_algorithmE0ELj4294967295EEENS1_25partition_config_selectorILNS1_17partition_subalgoE3EjNS0_10empty_typeEbEEZZNS1_14partition_implILS8_3ELb0ES6_jNS0_17counting_iteratorIjlEEPS9_SE_NS0_5tupleIJPjSE_EEENSF_IJSE_SE_EEES9_SG_JZNS1_25segmented_radix_sort_implINS0_14default_configELb1EPKfPfPKlPlN2at6native12_GLOBAL__N_18offset_tEEE10hipError_tPvRmT1_PNSt15iterator_traitsISY_E10value_typeET2_T3_PNSZ_IS14_E10value_typeET4_jRbjT5_S1A_jjP12ihipStream_tbEUljE_EEESV_SW_SX_S14_S18_S1A_T6_T7_T9_mT8_S1C_bDpT10_ENKUlT_T0_E_clISt17integral_constantIbLb0EES1O_IbLb1EEEEDaS1K_S1L_EUlS1K_E_NS1_11comp_targetILNS1_3genE0ELNS1_11target_archE4294967295ELNS1_3gpuE0ELNS1_3repE0EEENS1_30default_config_static_selectorELNS0_4arch9wavefront6targetE0EEEvSY_, .Lfunc_end1317-_ZN7rocprim17ROCPRIM_400000_NS6detail17trampoline_kernelINS0_13select_configILj256ELj13ELNS0_17block_load_methodE3ELS4_3ELS4_3ELNS0_20block_scan_algorithmE0ELj4294967295EEENS1_25partition_config_selectorILNS1_17partition_subalgoE3EjNS0_10empty_typeEbEEZZNS1_14partition_implILS8_3ELb0ES6_jNS0_17counting_iteratorIjlEEPS9_SE_NS0_5tupleIJPjSE_EEENSF_IJSE_SE_EEES9_SG_JZNS1_25segmented_radix_sort_implINS0_14default_configELb1EPKfPfPKlPlN2at6native12_GLOBAL__N_18offset_tEEE10hipError_tPvRmT1_PNSt15iterator_traitsISY_E10value_typeET2_T3_PNSZ_IS14_E10value_typeET4_jRbjT5_S1A_jjP12ihipStream_tbEUljE_EEESV_SW_SX_S14_S18_S1A_T6_T7_T9_mT8_S1C_bDpT10_ENKUlT_T0_E_clISt17integral_constantIbLb0EES1O_IbLb1EEEEDaS1K_S1L_EUlS1K_E_NS1_11comp_targetILNS1_3genE0ELNS1_11target_archE4294967295ELNS1_3gpuE0ELNS1_3repE0EEENS1_30default_config_static_selectorELNS0_4arch9wavefront6targetE0EEEvSY_
                                        ; -- End function
	.set _ZN7rocprim17ROCPRIM_400000_NS6detail17trampoline_kernelINS0_13select_configILj256ELj13ELNS0_17block_load_methodE3ELS4_3ELS4_3ELNS0_20block_scan_algorithmE0ELj4294967295EEENS1_25partition_config_selectorILNS1_17partition_subalgoE3EjNS0_10empty_typeEbEEZZNS1_14partition_implILS8_3ELb0ES6_jNS0_17counting_iteratorIjlEEPS9_SE_NS0_5tupleIJPjSE_EEENSF_IJSE_SE_EEES9_SG_JZNS1_25segmented_radix_sort_implINS0_14default_configELb1EPKfPfPKlPlN2at6native12_GLOBAL__N_18offset_tEEE10hipError_tPvRmT1_PNSt15iterator_traitsISY_E10value_typeET2_T3_PNSZ_IS14_E10value_typeET4_jRbjT5_S1A_jjP12ihipStream_tbEUljE_EEESV_SW_SX_S14_S18_S1A_T6_T7_T9_mT8_S1C_bDpT10_ENKUlT_T0_E_clISt17integral_constantIbLb0EES1O_IbLb1EEEEDaS1K_S1L_EUlS1K_E_NS1_11comp_targetILNS1_3genE0ELNS1_11target_archE4294967295ELNS1_3gpuE0ELNS1_3repE0EEENS1_30default_config_static_selectorELNS0_4arch9wavefront6targetE0EEEvSY_.num_vgpr, 0
	.set _ZN7rocprim17ROCPRIM_400000_NS6detail17trampoline_kernelINS0_13select_configILj256ELj13ELNS0_17block_load_methodE3ELS4_3ELS4_3ELNS0_20block_scan_algorithmE0ELj4294967295EEENS1_25partition_config_selectorILNS1_17partition_subalgoE3EjNS0_10empty_typeEbEEZZNS1_14partition_implILS8_3ELb0ES6_jNS0_17counting_iteratorIjlEEPS9_SE_NS0_5tupleIJPjSE_EEENSF_IJSE_SE_EEES9_SG_JZNS1_25segmented_radix_sort_implINS0_14default_configELb1EPKfPfPKlPlN2at6native12_GLOBAL__N_18offset_tEEE10hipError_tPvRmT1_PNSt15iterator_traitsISY_E10value_typeET2_T3_PNSZ_IS14_E10value_typeET4_jRbjT5_S1A_jjP12ihipStream_tbEUljE_EEESV_SW_SX_S14_S18_S1A_T6_T7_T9_mT8_S1C_bDpT10_ENKUlT_T0_E_clISt17integral_constantIbLb0EES1O_IbLb1EEEEDaS1K_S1L_EUlS1K_E_NS1_11comp_targetILNS1_3genE0ELNS1_11target_archE4294967295ELNS1_3gpuE0ELNS1_3repE0EEENS1_30default_config_static_selectorELNS0_4arch9wavefront6targetE0EEEvSY_.num_agpr, 0
	.set _ZN7rocprim17ROCPRIM_400000_NS6detail17trampoline_kernelINS0_13select_configILj256ELj13ELNS0_17block_load_methodE3ELS4_3ELS4_3ELNS0_20block_scan_algorithmE0ELj4294967295EEENS1_25partition_config_selectorILNS1_17partition_subalgoE3EjNS0_10empty_typeEbEEZZNS1_14partition_implILS8_3ELb0ES6_jNS0_17counting_iteratorIjlEEPS9_SE_NS0_5tupleIJPjSE_EEENSF_IJSE_SE_EEES9_SG_JZNS1_25segmented_radix_sort_implINS0_14default_configELb1EPKfPfPKlPlN2at6native12_GLOBAL__N_18offset_tEEE10hipError_tPvRmT1_PNSt15iterator_traitsISY_E10value_typeET2_T3_PNSZ_IS14_E10value_typeET4_jRbjT5_S1A_jjP12ihipStream_tbEUljE_EEESV_SW_SX_S14_S18_S1A_T6_T7_T9_mT8_S1C_bDpT10_ENKUlT_T0_E_clISt17integral_constantIbLb0EES1O_IbLb1EEEEDaS1K_S1L_EUlS1K_E_NS1_11comp_targetILNS1_3genE0ELNS1_11target_archE4294967295ELNS1_3gpuE0ELNS1_3repE0EEENS1_30default_config_static_selectorELNS0_4arch9wavefront6targetE0EEEvSY_.numbered_sgpr, 0
	.set _ZN7rocprim17ROCPRIM_400000_NS6detail17trampoline_kernelINS0_13select_configILj256ELj13ELNS0_17block_load_methodE3ELS4_3ELS4_3ELNS0_20block_scan_algorithmE0ELj4294967295EEENS1_25partition_config_selectorILNS1_17partition_subalgoE3EjNS0_10empty_typeEbEEZZNS1_14partition_implILS8_3ELb0ES6_jNS0_17counting_iteratorIjlEEPS9_SE_NS0_5tupleIJPjSE_EEENSF_IJSE_SE_EEES9_SG_JZNS1_25segmented_radix_sort_implINS0_14default_configELb1EPKfPfPKlPlN2at6native12_GLOBAL__N_18offset_tEEE10hipError_tPvRmT1_PNSt15iterator_traitsISY_E10value_typeET2_T3_PNSZ_IS14_E10value_typeET4_jRbjT5_S1A_jjP12ihipStream_tbEUljE_EEESV_SW_SX_S14_S18_S1A_T6_T7_T9_mT8_S1C_bDpT10_ENKUlT_T0_E_clISt17integral_constantIbLb0EES1O_IbLb1EEEEDaS1K_S1L_EUlS1K_E_NS1_11comp_targetILNS1_3genE0ELNS1_11target_archE4294967295ELNS1_3gpuE0ELNS1_3repE0EEENS1_30default_config_static_selectorELNS0_4arch9wavefront6targetE0EEEvSY_.num_named_barrier, 0
	.set _ZN7rocprim17ROCPRIM_400000_NS6detail17trampoline_kernelINS0_13select_configILj256ELj13ELNS0_17block_load_methodE3ELS4_3ELS4_3ELNS0_20block_scan_algorithmE0ELj4294967295EEENS1_25partition_config_selectorILNS1_17partition_subalgoE3EjNS0_10empty_typeEbEEZZNS1_14partition_implILS8_3ELb0ES6_jNS0_17counting_iteratorIjlEEPS9_SE_NS0_5tupleIJPjSE_EEENSF_IJSE_SE_EEES9_SG_JZNS1_25segmented_radix_sort_implINS0_14default_configELb1EPKfPfPKlPlN2at6native12_GLOBAL__N_18offset_tEEE10hipError_tPvRmT1_PNSt15iterator_traitsISY_E10value_typeET2_T3_PNSZ_IS14_E10value_typeET4_jRbjT5_S1A_jjP12ihipStream_tbEUljE_EEESV_SW_SX_S14_S18_S1A_T6_T7_T9_mT8_S1C_bDpT10_ENKUlT_T0_E_clISt17integral_constantIbLb0EES1O_IbLb1EEEEDaS1K_S1L_EUlS1K_E_NS1_11comp_targetILNS1_3genE0ELNS1_11target_archE4294967295ELNS1_3gpuE0ELNS1_3repE0EEENS1_30default_config_static_selectorELNS0_4arch9wavefront6targetE0EEEvSY_.private_seg_size, 0
	.set _ZN7rocprim17ROCPRIM_400000_NS6detail17trampoline_kernelINS0_13select_configILj256ELj13ELNS0_17block_load_methodE3ELS4_3ELS4_3ELNS0_20block_scan_algorithmE0ELj4294967295EEENS1_25partition_config_selectorILNS1_17partition_subalgoE3EjNS0_10empty_typeEbEEZZNS1_14partition_implILS8_3ELb0ES6_jNS0_17counting_iteratorIjlEEPS9_SE_NS0_5tupleIJPjSE_EEENSF_IJSE_SE_EEES9_SG_JZNS1_25segmented_radix_sort_implINS0_14default_configELb1EPKfPfPKlPlN2at6native12_GLOBAL__N_18offset_tEEE10hipError_tPvRmT1_PNSt15iterator_traitsISY_E10value_typeET2_T3_PNSZ_IS14_E10value_typeET4_jRbjT5_S1A_jjP12ihipStream_tbEUljE_EEESV_SW_SX_S14_S18_S1A_T6_T7_T9_mT8_S1C_bDpT10_ENKUlT_T0_E_clISt17integral_constantIbLb0EES1O_IbLb1EEEEDaS1K_S1L_EUlS1K_E_NS1_11comp_targetILNS1_3genE0ELNS1_11target_archE4294967295ELNS1_3gpuE0ELNS1_3repE0EEENS1_30default_config_static_selectorELNS0_4arch9wavefront6targetE0EEEvSY_.uses_vcc, 0
	.set _ZN7rocprim17ROCPRIM_400000_NS6detail17trampoline_kernelINS0_13select_configILj256ELj13ELNS0_17block_load_methodE3ELS4_3ELS4_3ELNS0_20block_scan_algorithmE0ELj4294967295EEENS1_25partition_config_selectorILNS1_17partition_subalgoE3EjNS0_10empty_typeEbEEZZNS1_14partition_implILS8_3ELb0ES6_jNS0_17counting_iteratorIjlEEPS9_SE_NS0_5tupleIJPjSE_EEENSF_IJSE_SE_EEES9_SG_JZNS1_25segmented_radix_sort_implINS0_14default_configELb1EPKfPfPKlPlN2at6native12_GLOBAL__N_18offset_tEEE10hipError_tPvRmT1_PNSt15iterator_traitsISY_E10value_typeET2_T3_PNSZ_IS14_E10value_typeET4_jRbjT5_S1A_jjP12ihipStream_tbEUljE_EEESV_SW_SX_S14_S18_S1A_T6_T7_T9_mT8_S1C_bDpT10_ENKUlT_T0_E_clISt17integral_constantIbLb0EES1O_IbLb1EEEEDaS1K_S1L_EUlS1K_E_NS1_11comp_targetILNS1_3genE0ELNS1_11target_archE4294967295ELNS1_3gpuE0ELNS1_3repE0EEENS1_30default_config_static_selectorELNS0_4arch9wavefront6targetE0EEEvSY_.uses_flat_scratch, 0
	.set _ZN7rocprim17ROCPRIM_400000_NS6detail17trampoline_kernelINS0_13select_configILj256ELj13ELNS0_17block_load_methodE3ELS4_3ELS4_3ELNS0_20block_scan_algorithmE0ELj4294967295EEENS1_25partition_config_selectorILNS1_17partition_subalgoE3EjNS0_10empty_typeEbEEZZNS1_14partition_implILS8_3ELb0ES6_jNS0_17counting_iteratorIjlEEPS9_SE_NS0_5tupleIJPjSE_EEENSF_IJSE_SE_EEES9_SG_JZNS1_25segmented_radix_sort_implINS0_14default_configELb1EPKfPfPKlPlN2at6native12_GLOBAL__N_18offset_tEEE10hipError_tPvRmT1_PNSt15iterator_traitsISY_E10value_typeET2_T3_PNSZ_IS14_E10value_typeET4_jRbjT5_S1A_jjP12ihipStream_tbEUljE_EEESV_SW_SX_S14_S18_S1A_T6_T7_T9_mT8_S1C_bDpT10_ENKUlT_T0_E_clISt17integral_constantIbLb0EES1O_IbLb1EEEEDaS1K_S1L_EUlS1K_E_NS1_11comp_targetILNS1_3genE0ELNS1_11target_archE4294967295ELNS1_3gpuE0ELNS1_3repE0EEENS1_30default_config_static_selectorELNS0_4arch9wavefront6targetE0EEEvSY_.has_dyn_sized_stack, 0
	.set _ZN7rocprim17ROCPRIM_400000_NS6detail17trampoline_kernelINS0_13select_configILj256ELj13ELNS0_17block_load_methodE3ELS4_3ELS4_3ELNS0_20block_scan_algorithmE0ELj4294967295EEENS1_25partition_config_selectorILNS1_17partition_subalgoE3EjNS0_10empty_typeEbEEZZNS1_14partition_implILS8_3ELb0ES6_jNS0_17counting_iteratorIjlEEPS9_SE_NS0_5tupleIJPjSE_EEENSF_IJSE_SE_EEES9_SG_JZNS1_25segmented_radix_sort_implINS0_14default_configELb1EPKfPfPKlPlN2at6native12_GLOBAL__N_18offset_tEEE10hipError_tPvRmT1_PNSt15iterator_traitsISY_E10value_typeET2_T3_PNSZ_IS14_E10value_typeET4_jRbjT5_S1A_jjP12ihipStream_tbEUljE_EEESV_SW_SX_S14_S18_S1A_T6_T7_T9_mT8_S1C_bDpT10_ENKUlT_T0_E_clISt17integral_constantIbLb0EES1O_IbLb1EEEEDaS1K_S1L_EUlS1K_E_NS1_11comp_targetILNS1_3genE0ELNS1_11target_archE4294967295ELNS1_3gpuE0ELNS1_3repE0EEENS1_30default_config_static_selectorELNS0_4arch9wavefront6targetE0EEEvSY_.has_recursion, 0
	.set _ZN7rocprim17ROCPRIM_400000_NS6detail17trampoline_kernelINS0_13select_configILj256ELj13ELNS0_17block_load_methodE3ELS4_3ELS4_3ELNS0_20block_scan_algorithmE0ELj4294967295EEENS1_25partition_config_selectorILNS1_17partition_subalgoE3EjNS0_10empty_typeEbEEZZNS1_14partition_implILS8_3ELb0ES6_jNS0_17counting_iteratorIjlEEPS9_SE_NS0_5tupleIJPjSE_EEENSF_IJSE_SE_EEES9_SG_JZNS1_25segmented_radix_sort_implINS0_14default_configELb1EPKfPfPKlPlN2at6native12_GLOBAL__N_18offset_tEEE10hipError_tPvRmT1_PNSt15iterator_traitsISY_E10value_typeET2_T3_PNSZ_IS14_E10value_typeET4_jRbjT5_S1A_jjP12ihipStream_tbEUljE_EEESV_SW_SX_S14_S18_S1A_T6_T7_T9_mT8_S1C_bDpT10_ENKUlT_T0_E_clISt17integral_constantIbLb0EES1O_IbLb1EEEEDaS1K_S1L_EUlS1K_E_NS1_11comp_targetILNS1_3genE0ELNS1_11target_archE4294967295ELNS1_3gpuE0ELNS1_3repE0EEENS1_30default_config_static_selectorELNS0_4arch9wavefront6targetE0EEEvSY_.has_indirect_call, 0
	.section	.AMDGPU.csdata,"",@progbits
; Kernel info:
; codeLenInByte = 0
; TotalNumSgprs: 0
; NumVgprs: 0
; ScratchSize: 0
; MemoryBound: 0
; FloatMode: 240
; IeeeMode: 1
; LDSByteSize: 0 bytes/workgroup (compile time only)
; SGPRBlocks: 0
; VGPRBlocks: 0
; NumSGPRsForWavesPerEU: 1
; NumVGPRsForWavesPerEU: 1
; Occupancy: 16
; WaveLimiterHint : 0
; COMPUTE_PGM_RSRC2:SCRATCH_EN: 0
; COMPUTE_PGM_RSRC2:USER_SGPR: 2
; COMPUTE_PGM_RSRC2:TRAP_HANDLER: 0
; COMPUTE_PGM_RSRC2:TGID_X_EN: 1
; COMPUTE_PGM_RSRC2:TGID_Y_EN: 0
; COMPUTE_PGM_RSRC2:TGID_Z_EN: 0
; COMPUTE_PGM_RSRC2:TIDIG_COMP_CNT: 0
	.section	.text._ZN7rocprim17ROCPRIM_400000_NS6detail17trampoline_kernelINS0_13select_configILj256ELj13ELNS0_17block_load_methodE3ELS4_3ELS4_3ELNS0_20block_scan_algorithmE0ELj4294967295EEENS1_25partition_config_selectorILNS1_17partition_subalgoE3EjNS0_10empty_typeEbEEZZNS1_14partition_implILS8_3ELb0ES6_jNS0_17counting_iteratorIjlEEPS9_SE_NS0_5tupleIJPjSE_EEENSF_IJSE_SE_EEES9_SG_JZNS1_25segmented_radix_sort_implINS0_14default_configELb1EPKfPfPKlPlN2at6native12_GLOBAL__N_18offset_tEEE10hipError_tPvRmT1_PNSt15iterator_traitsISY_E10value_typeET2_T3_PNSZ_IS14_E10value_typeET4_jRbjT5_S1A_jjP12ihipStream_tbEUljE_EEESV_SW_SX_S14_S18_S1A_T6_T7_T9_mT8_S1C_bDpT10_ENKUlT_T0_E_clISt17integral_constantIbLb0EES1O_IbLb1EEEEDaS1K_S1L_EUlS1K_E_NS1_11comp_targetILNS1_3genE5ELNS1_11target_archE942ELNS1_3gpuE9ELNS1_3repE0EEENS1_30default_config_static_selectorELNS0_4arch9wavefront6targetE0EEEvSY_,"axG",@progbits,_ZN7rocprim17ROCPRIM_400000_NS6detail17trampoline_kernelINS0_13select_configILj256ELj13ELNS0_17block_load_methodE3ELS4_3ELS4_3ELNS0_20block_scan_algorithmE0ELj4294967295EEENS1_25partition_config_selectorILNS1_17partition_subalgoE3EjNS0_10empty_typeEbEEZZNS1_14partition_implILS8_3ELb0ES6_jNS0_17counting_iteratorIjlEEPS9_SE_NS0_5tupleIJPjSE_EEENSF_IJSE_SE_EEES9_SG_JZNS1_25segmented_radix_sort_implINS0_14default_configELb1EPKfPfPKlPlN2at6native12_GLOBAL__N_18offset_tEEE10hipError_tPvRmT1_PNSt15iterator_traitsISY_E10value_typeET2_T3_PNSZ_IS14_E10value_typeET4_jRbjT5_S1A_jjP12ihipStream_tbEUljE_EEESV_SW_SX_S14_S18_S1A_T6_T7_T9_mT8_S1C_bDpT10_ENKUlT_T0_E_clISt17integral_constantIbLb0EES1O_IbLb1EEEEDaS1K_S1L_EUlS1K_E_NS1_11comp_targetILNS1_3genE5ELNS1_11target_archE942ELNS1_3gpuE9ELNS1_3repE0EEENS1_30default_config_static_selectorELNS0_4arch9wavefront6targetE0EEEvSY_,comdat
	.globl	_ZN7rocprim17ROCPRIM_400000_NS6detail17trampoline_kernelINS0_13select_configILj256ELj13ELNS0_17block_load_methodE3ELS4_3ELS4_3ELNS0_20block_scan_algorithmE0ELj4294967295EEENS1_25partition_config_selectorILNS1_17partition_subalgoE3EjNS0_10empty_typeEbEEZZNS1_14partition_implILS8_3ELb0ES6_jNS0_17counting_iteratorIjlEEPS9_SE_NS0_5tupleIJPjSE_EEENSF_IJSE_SE_EEES9_SG_JZNS1_25segmented_radix_sort_implINS0_14default_configELb1EPKfPfPKlPlN2at6native12_GLOBAL__N_18offset_tEEE10hipError_tPvRmT1_PNSt15iterator_traitsISY_E10value_typeET2_T3_PNSZ_IS14_E10value_typeET4_jRbjT5_S1A_jjP12ihipStream_tbEUljE_EEESV_SW_SX_S14_S18_S1A_T6_T7_T9_mT8_S1C_bDpT10_ENKUlT_T0_E_clISt17integral_constantIbLb0EES1O_IbLb1EEEEDaS1K_S1L_EUlS1K_E_NS1_11comp_targetILNS1_3genE5ELNS1_11target_archE942ELNS1_3gpuE9ELNS1_3repE0EEENS1_30default_config_static_selectorELNS0_4arch9wavefront6targetE0EEEvSY_ ; -- Begin function _ZN7rocprim17ROCPRIM_400000_NS6detail17trampoline_kernelINS0_13select_configILj256ELj13ELNS0_17block_load_methodE3ELS4_3ELS4_3ELNS0_20block_scan_algorithmE0ELj4294967295EEENS1_25partition_config_selectorILNS1_17partition_subalgoE3EjNS0_10empty_typeEbEEZZNS1_14partition_implILS8_3ELb0ES6_jNS0_17counting_iteratorIjlEEPS9_SE_NS0_5tupleIJPjSE_EEENSF_IJSE_SE_EEES9_SG_JZNS1_25segmented_radix_sort_implINS0_14default_configELb1EPKfPfPKlPlN2at6native12_GLOBAL__N_18offset_tEEE10hipError_tPvRmT1_PNSt15iterator_traitsISY_E10value_typeET2_T3_PNSZ_IS14_E10value_typeET4_jRbjT5_S1A_jjP12ihipStream_tbEUljE_EEESV_SW_SX_S14_S18_S1A_T6_T7_T9_mT8_S1C_bDpT10_ENKUlT_T0_E_clISt17integral_constantIbLb0EES1O_IbLb1EEEEDaS1K_S1L_EUlS1K_E_NS1_11comp_targetILNS1_3genE5ELNS1_11target_archE942ELNS1_3gpuE9ELNS1_3repE0EEENS1_30default_config_static_selectorELNS0_4arch9wavefront6targetE0EEEvSY_
	.p2align	8
	.type	_ZN7rocprim17ROCPRIM_400000_NS6detail17trampoline_kernelINS0_13select_configILj256ELj13ELNS0_17block_load_methodE3ELS4_3ELS4_3ELNS0_20block_scan_algorithmE0ELj4294967295EEENS1_25partition_config_selectorILNS1_17partition_subalgoE3EjNS0_10empty_typeEbEEZZNS1_14partition_implILS8_3ELb0ES6_jNS0_17counting_iteratorIjlEEPS9_SE_NS0_5tupleIJPjSE_EEENSF_IJSE_SE_EEES9_SG_JZNS1_25segmented_radix_sort_implINS0_14default_configELb1EPKfPfPKlPlN2at6native12_GLOBAL__N_18offset_tEEE10hipError_tPvRmT1_PNSt15iterator_traitsISY_E10value_typeET2_T3_PNSZ_IS14_E10value_typeET4_jRbjT5_S1A_jjP12ihipStream_tbEUljE_EEESV_SW_SX_S14_S18_S1A_T6_T7_T9_mT8_S1C_bDpT10_ENKUlT_T0_E_clISt17integral_constantIbLb0EES1O_IbLb1EEEEDaS1K_S1L_EUlS1K_E_NS1_11comp_targetILNS1_3genE5ELNS1_11target_archE942ELNS1_3gpuE9ELNS1_3repE0EEENS1_30default_config_static_selectorELNS0_4arch9wavefront6targetE0EEEvSY_,@function
_ZN7rocprim17ROCPRIM_400000_NS6detail17trampoline_kernelINS0_13select_configILj256ELj13ELNS0_17block_load_methodE3ELS4_3ELS4_3ELNS0_20block_scan_algorithmE0ELj4294967295EEENS1_25partition_config_selectorILNS1_17partition_subalgoE3EjNS0_10empty_typeEbEEZZNS1_14partition_implILS8_3ELb0ES6_jNS0_17counting_iteratorIjlEEPS9_SE_NS0_5tupleIJPjSE_EEENSF_IJSE_SE_EEES9_SG_JZNS1_25segmented_radix_sort_implINS0_14default_configELb1EPKfPfPKlPlN2at6native12_GLOBAL__N_18offset_tEEE10hipError_tPvRmT1_PNSt15iterator_traitsISY_E10value_typeET2_T3_PNSZ_IS14_E10value_typeET4_jRbjT5_S1A_jjP12ihipStream_tbEUljE_EEESV_SW_SX_S14_S18_S1A_T6_T7_T9_mT8_S1C_bDpT10_ENKUlT_T0_E_clISt17integral_constantIbLb0EES1O_IbLb1EEEEDaS1K_S1L_EUlS1K_E_NS1_11comp_targetILNS1_3genE5ELNS1_11target_archE942ELNS1_3gpuE9ELNS1_3repE0EEENS1_30default_config_static_selectorELNS0_4arch9wavefront6targetE0EEEvSY_: ; @_ZN7rocprim17ROCPRIM_400000_NS6detail17trampoline_kernelINS0_13select_configILj256ELj13ELNS0_17block_load_methodE3ELS4_3ELS4_3ELNS0_20block_scan_algorithmE0ELj4294967295EEENS1_25partition_config_selectorILNS1_17partition_subalgoE3EjNS0_10empty_typeEbEEZZNS1_14partition_implILS8_3ELb0ES6_jNS0_17counting_iteratorIjlEEPS9_SE_NS0_5tupleIJPjSE_EEENSF_IJSE_SE_EEES9_SG_JZNS1_25segmented_radix_sort_implINS0_14default_configELb1EPKfPfPKlPlN2at6native12_GLOBAL__N_18offset_tEEE10hipError_tPvRmT1_PNSt15iterator_traitsISY_E10value_typeET2_T3_PNSZ_IS14_E10value_typeET4_jRbjT5_S1A_jjP12ihipStream_tbEUljE_EEESV_SW_SX_S14_S18_S1A_T6_T7_T9_mT8_S1C_bDpT10_ENKUlT_T0_E_clISt17integral_constantIbLb0EES1O_IbLb1EEEEDaS1K_S1L_EUlS1K_E_NS1_11comp_targetILNS1_3genE5ELNS1_11target_archE942ELNS1_3gpuE9ELNS1_3repE0EEENS1_30default_config_static_selectorELNS0_4arch9wavefront6targetE0EEEvSY_
; %bb.0:
	.section	.rodata,"a",@progbits
	.p2align	6, 0x0
	.amdhsa_kernel _ZN7rocprim17ROCPRIM_400000_NS6detail17trampoline_kernelINS0_13select_configILj256ELj13ELNS0_17block_load_methodE3ELS4_3ELS4_3ELNS0_20block_scan_algorithmE0ELj4294967295EEENS1_25partition_config_selectorILNS1_17partition_subalgoE3EjNS0_10empty_typeEbEEZZNS1_14partition_implILS8_3ELb0ES6_jNS0_17counting_iteratorIjlEEPS9_SE_NS0_5tupleIJPjSE_EEENSF_IJSE_SE_EEES9_SG_JZNS1_25segmented_radix_sort_implINS0_14default_configELb1EPKfPfPKlPlN2at6native12_GLOBAL__N_18offset_tEEE10hipError_tPvRmT1_PNSt15iterator_traitsISY_E10value_typeET2_T3_PNSZ_IS14_E10value_typeET4_jRbjT5_S1A_jjP12ihipStream_tbEUljE_EEESV_SW_SX_S14_S18_S1A_T6_T7_T9_mT8_S1C_bDpT10_ENKUlT_T0_E_clISt17integral_constantIbLb0EES1O_IbLb1EEEEDaS1K_S1L_EUlS1K_E_NS1_11comp_targetILNS1_3genE5ELNS1_11target_archE942ELNS1_3gpuE9ELNS1_3repE0EEENS1_30default_config_static_selectorELNS0_4arch9wavefront6targetE0EEEvSY_
		.amdhsa_group_segment_fixed_size 0
		.amdhsa_private_segment_fixed_size 0
		.amdhsa_kernarg_size 152
		.amdhsa_user_sgpr_count 2
		.amdhsa_user_sgpr_dispatch_ptr 0
		.amdhsa_user_sgpr_queue_ptr 0
		.amdhsa_user_sgpr_kernarg_segment_ptr 1
		.amdhsa_user_sgpr_dispatch_id 0
		.amdhsa_user_sgpr_private_segment_size 0
		.amdhsa_wavefront_size32 1
		.amdhsa_uses_dynamic_stack 0
		.amdhsa_enable_private_segment 0
		.amdhsa_system_sgpr_workgroup_id_x 1
		.amdhsa_system_sgpr_workgroup_id_y 0
		.amdhsa_system_sgpr_workgroup_id_z 0
		.amdhsa_system_sgpr_workgroup_info 0
		.amdhsa_system_vgpr_workitem_id 0
		.amdhsa_next_free_vgpr 1
		.amdhsa_next_free_sgpr 1
		.amdhsa_reserve_vcc 0
		.amdhsa_float_round_mode_32 0
		.amdhsa_float_round_mode_16_64 0
		.amdhsa_float_denorm_mode_32 3
		.amdhsa_float_denorm_mode_16_64 3
		.amdhsa_fp16_overflow 0
		.amdhsa_workgroup_processor_mode 1
		.amdhsa_memory_ordered 1
		.amdhsa_forward_progress 1
		.amdhsa_inst_pref_size 0
		.amdhsa_round_robin_scheduling 0
		.amdhsa_exception_fp_ieee_invalid_op 0
		.amdhsa_exception_fp_denorm_src 0
		.amdhsa_exception_fp_ieee_div_zero 0
		.amdhsa_exception_fp_ieee_overflow 0
		.amdhsa_exception_fp_ieee_underflow 0
		.amdhsa_exception_fp_ieee_inexact 0
		.amdhsa_exception_int_div_zero 0
	.end_amdhsa_kernel
	.section	.text._ZN7rocprim17ROCPRIM_400000_NS6detail17trampoline_kernelINS0_13select_configILj256ELj13ELNS0_17block_load_methodE3ELS4_3ELS4_3ELNS0_20block_scan_algorithmE0ELj4294967295EEENS1_25partition_config_selectorILNS1_17partition_subalgoE3EjNS0_10empty_typeEbEEZZNS1_14partition_implILS8_3ELb0ES6_jNS0_17counting_iteratorIjlEEPS9_SE_NS0_5tupleIJPjSE_EEENSF_IJSE_SE_EEES9_SG_JZNS1_25segmented_radix_sort_implINS0_14default_configELb1EPKfPfPKlPlN2at6native12_GLOBAL__N_18offset_tEEE10hipError_tPvRmT1_PNSt15iterator_traitsISY_E10value_typeET2_T3_PNSZ_IS14_E10value_typeET4_jRbjT5_S1A_jjP12ihipStream_tbEUljE_EEESV_SW_SX_S14_S18_S1A_T6_T7_T9_mT8_S1C_bDpT10_ENKUlT_T0_E_clISt17integral_constantIbLb0EES1O_IbLb1EEEEDaS1K_S1L_EUlS1K_E_NS1_11comp_targetILNS1_3genE5ELNS1_11target_archE942ELNS1_3gpuE9ELNS1_3repE0EEENS1_30default_config_static_selectorELNS0_4arch9wavefront6targetE0EEEvSY_,"axG",@progbits,_ZN7rocprim17ROCPRIM_400000_NS6detail17trampoline_kernelINS0_13select_configILj256ELj13ELNS0_17block_load_methodE3ELS4_3ELS4_3ELNS0_20block_scan_algorithmE0ELj4294967295EEENS1_25partition_config_selectorILNS1_17partition_subalgoE3EjNS0_10empty_typeEbEEZZNS1_14partition_implILS8_3ELb0ES6_jNS0_17counting_iteratorIjlEEPS9_SE_NS0_5tupleIJPjSE_EEENSF_IJSE_SE_EEES9_SG_JZNS1_25segmented_radix_sort_implINS0_14default_configELb1EPKfPfPKlPlN2at6native12_GLOBAL__N_18offset_tEEE10hipError_tPvRmT1_PNSt15iterator_traitsISY_E10value_typeET2_T3_PNSZ_IS14_E10value_typeET4_jRbjT5_S1A_jjP12ihipStream_tbEUljE_EEESV_SW_SX_S14_S18_S1A_T6_T7_T9_mT8_S1C_bDpT10_ENKUlT_T0_E_clISt17integral_constantIbLb0EES1O_IbLb1EEEEDaS1K_S1L_EUlS1K_E_NS1_11comp_targetILNS1_3genE5ELNS1_11target_archE942ELNS1_3gpuE9ELNS1_3repE0EEENS1_30default_config_static_selectorELNS0_4arch9wavefront6targetE0EEEvSY_,comdat
.Lfunc_end1318:
	.size	_ZN7rocprim17ROCPRIM_400000_NS6detail17trampoline_kernelINS0_13select_configILj256ELj13ELNS0_17block_load_methodE3ELS4_3ELS4_3ELNS0_20block_scan_algorithmE0ELj4294967295EEENS1_25partition_config_selectorILNS1_17partition_subalgoE3EjNS0_10empty_typeEbEEZZNS1_14partition_implILS8_3ELb0ES6_jNS0_17counting_iteratorIjlEEPS9_SE_NS0_5tupleIJPjSE_EEENSF_IJSE_SE_EEES9_SG_JZNS1_25segmented_radix_sort_implINS0_14default_configELb1EPKfPfPKlPlN2at6native12_GLOBAL__N_18offset_tEEE10hipError_tPvRmT1_PNSt15iterator_traitsISY_E10value_typeET2_T3_PNSZ_IS14_E10value_typeET4_jRbjT5_S1A_jjP12ihipStream_tbEUljE_EEESV_SW_SX_S14_S18_S1A_T6_T7_T9_mT8_S1C_bDpT10_ENKUlT_T0_E_clISt17integral_constantIbLb0EES1O_IbLb1EEEEDaS1K_S1L_EUlS1K_E_NS1_11comp_targetILNS1_3genE5ELNS1_11target_archE942ELNS1_3gpuE9ELNS1_3repE0EEENS1_30default_config_static_selectorELNS0_4arch9wavefront6targetE0EEEvSY_, .Lfunc_end1318-_ZN7rocprim17ROCPRIM_400000_NS6detail17trampoline_kernelINS0_13select_configILj256ELj13ELNS0_17block_load_methodE3ELS4_3ELS4_3ELNS0_20block_scan_algorithmE0ELj4294967295EEENS1_25partition_config_selectorILNS1_17partition_subalgoE3EjNS0_10empty_typeEbEEZZNS1_14partition_implILS8_3ELb0ES6_jNS0_17counting_iteratorIjlEEPS9_SE_NS0_5tupleIJPjSE_EEENSF_IJSE_SE_EEES9_SG_JZNS1_25segmented_radix_sort_implINS0_14default_configELb1EPKfPfPKlPlN2at6native12_GLOBAL__N_18offset_tEEE10hipError_tPvRmT1_PNSt15iterator_traitsISY_E10value_typeET2_T3_PNSZ_IS14_E10value_typeET4_jRbjT5_S1A_jjP12ihipStream_tbEUljE_EEESV_SW_SX_S14_S18_S1A_T6_T7_T9_mT8_S1C_bDpT10_ENKUlT_T0_E_clISt17integral_constantIbLb0EES1O_IbLb1EEEEDaS1K_S1L_EUlS1K_E_NS1_11comp_targetILNS1_3genE5ELNS1_11target_archE942ELNS1_3gpuE9ELNS1_3repE0EEENS1_30default_config_static_selectorELNS0_4arch9wavefront6targetE0EEEvSY_
                                        ; -- End function
	.set _ZN7rocprim17ROCPRIM_400000_NS6detail17trampoline_kernelINS0_13select_configILj256ELj13ELNS0_17block_load_methodE3ELS4_3ELS4_3ELNS0_20block_scan_algorithmE0ELj4294967295EEENS1_25partition_config_selectorILNS1_17partition_subalgoE3EjNS0_10empty_typeEbEEZZNS1_14partition_implILS8_3ELb0ES6_jNS0_17counting_iteratorIjlEEPS9_SE_NS0_5tupleIJPjSE_EEENSF_IJSE_SE_EEES9_SG_JZNS1_25segmented_radix_sort_implINS0_14default_configELb1EPKfPfPKlPlN2at6native12_GLOBAL__N_18offset_tEEE10hipError_tPvRmT1_PNSt15iterator_traitsISY_E10value_typeET2_T3_PNSZ_IS14_E10value_typeET4_jRbjT5_S1A_jjP12ihipStream_tbEUljE_EEESV_SW_SX_S14_S18_S1A_T6_T7_T9_mT8_S1C_bDpT10_ENKUlT_T0_E_clISt17integral_constantIbLb0EES1O_IbLb1EEEEDaS1K_S1L_EUlS1K_E_NS1_11comp_targetILNS1_3genE5ELNS1_11target_archE942ELNS1_3gpuE9ELNS1_3repE0EEENS1_30default_config_static_selectorELNS0_4arch9wavefront6targetE0EEEvSY_.num_vgpr, 0
	.set _ZN7rocprim17ROCPRIM_400000_NS6detail17trampoline_kernelINS0_13select_configILj256ELj13ELNS0_17block_load_methodE3ELS4_3ELS4_3ELNS0_20block_scan_algorithmE0ELj4294967295EEENS1_25partition_config_selectorILNS1_17partition_subalgoE3EjNS0_10empty_typeEbEEZZNS1_14partition_implILS8_3ELb0ES6_jNS0_17counting_iteratorIjlEEPS9_SE_NS0_5tupleIJPjSE_EEENSF_IJSE_SE_EEES9_SG_JZNS1_25segmented_radix_sort_implINS0_14default_configELb1EPKfPfPKlPlN2at6native12_GLOBAL__N_18offset_tEEE10hipError_tPvRmT1_PNSt15iterator_traitsISY_E10value_typeET2_T3_PNSZ_IS14_E10value_typeET4_jRbjT5_S1A_jjP12ihipStream_tbEUljE_EEESV_SW_SX_S14_S18_S1A_T6_T7_T9_mT8_S1C_bDpT10_ENKUlT_T0_E_clISt17integral_constantIbLb0EES1O_IbLb1EEEEDaS1K_S1L_EUlS1K_E_NS1_11comp_targetILNS1_3genE5ELNS1_11target_archE942ELNS1_3gpuE9ELNS1_3repE0EEENS1_30default_config_static_selectorELNS0_4arch9wavefront6targetE0EEEvSY_.num_agpr, 0
	.set _ZN7rocprim17ROCPRIM_400000_NS6detail17trampoline_kernelINS0_13select_configILj256ELj13ELNS0_17block_load_methodE3ELS4_3ELS4_3ELNS0_20block_scan_algorithmE0ELj4294967295EEENS1_25partition_config_selectorILNS1_17partition_subalgoE3EjNS0_10empty_typeEbEEZZNS1_14partition_implILS8_3ELb0ES6_jNS0_17counting_iteratorIjlEEPS9_SE_NS0_5tupleIJPjSE_EEENSF_IJSE_SE_EEES9_SG_JZNS1_25segmented_radix_sort_implINS0_14default_configELb1EPKfPfPKlPlN2at6native12_GLOBAL__N_18offset_tEEE10hipError_tPvRmT1_PNSt15iterator_traitsISY_E10value_typeET2_T3_PNSZ_IS14_E10value_typeET4_jRbjT5_S1A_jjP12ihipStream_tbEUljE_EEESV_SW_SX_S14_S18_S1A_T6_T7_T9_mT8_S1C_bDpT10_ENKUlT_T0_E_clISt17integral_constantIbLb0EES1O_IbLb1EEEEDaS1K_S1L_EUlS1K_E_NS1_11comp_targetILNS1_3genE5ELNS1_11target_archE942ELNS1_3gpuE9ELNS1_3repE0EEENS1_30default_config_static_selectorELNS0_4arch9wavefront6targetE0EEEvSY_.numbered_sgpr, 0
	.set _ZN7rocprim17ROCPRIM_400000_NS6detail17trampoline_kernelINS0_13select_configILj256ELj13ELNS0_17block_load_methodE3ELS4_3ELS4_3ELNS0_20block_scan_algorithmE0ELj4294967295EEENS1_25partition_config_selectorILNS1_17partition_subalgoE3EjNS0_10empty_typeEbEEZZNS1_14partition_implILS8_3ELb0ES6_jNS0_17counting_iteratorIjlEEPS9_SE_NS0_5tupleIJPjSE_EEENSF_IJSE_SE_EEES9_SG_JZNS1_25segmented_radix_sort_implINS0_14default_configELb1EPKfPfPKlPlN2at6native12_GLOBAL__N_18offset_tEEE10hipError_tPvRmT1_PNSt15iterator_traitsISY_E10value_typeET2_T3_PNSZ_IS14_E10value_typeET4_jRbjT5_S1A_jjP12ihipStream_tbEUljE_EEESV_SW_SX_S14_S18_S1A_T6_T7_T9_mT8_S1C_bDpT10_ENKUlT_T0_E_clISt17integral_constantIbLb0EES1O_IbLb1EEEEDaS1K_S1L_EUlS1K_E_NS1_11comp_targetILNS1_3genE5ELNS1_11target_archE942ELNS1_3gpuE9ELNS1_3repE0EEENS1_30default_config_static_selectorELNS0_4arch9wavefront6targetE0EEEvSY_.num_named_barrier, 0
	.set _ZN7rocprim17ROCPRIM_400000_NS6detail17trampoline_kernelINS0_13select_configILj256ELj13ELNS0_17block_load_methodE3ELS4_3ELS4_3ELNS0_20block_scan_algorithmE0ELj4294967295EEENS1_25partition_config_selectorILNS1_17partition_subalgoE3EjNS0_10empty_typeEbEEZZNS1_14partition_implILS8_3ELb0ES6_jNS0_17counting_iteratorIjlEEPS9_SE_NS0_5tupleIJPjSE_EEENSF_IJSE_SE_EEES9_SG_JZNS1_25segmented_radix_sort_implINS0_14default_configELb1EPKfPfPKlPlN2at6native12_GLOBAL__N_18offset_tEEE10hipError_tPvRmT1_PNSt15iterator_traitsISY_E10value_typeET2_T3_PNSZ_IS14_E10value_typeET4_jRbjT5_S1A_jjP12ihipStream_tbEUljE_EEESV_SW_SX_S14_S18_S1A_T6_T7_T9_mT8_S1C_bDpT10_ENKUlT_T0_E_clISt17integral_constantIbLb0EES1O_IbLb1EEEEDaS1K_S1L_EUlS1K_E_NS1_11comp_targetILNS1_3genE5ELNS1_11target_archE942ELNS1_3gpuE9ELNS1_3repE0EEENS1_30default_config_static_selectorELNS0_4arch9wavefront6targetE0EEEvSY_.private_seg_size, 0
	.set _ZN7rocprim17ROCPRIM_400000_NS6detail17trampoline_kernelINS0_13select_configILj256ELj13ELNS0_17block_load_methodE3ELS4_3ELS4_3ELNS0_20block_scan_algorithmE0ELj4294967295EEENS1_25partition_config_selectorILNS1_17partition_subalgoE3EjNS0_10empty_typeEbEEZZNS1_14partition_implILS8_3ELb0ES6_jNS0_17counting_iteratorIjlEEPS9_SE_NS0_5tupleIJPjSE_EEENSF_IJSE_SE_EEES9_SG_JZNS1_25segmented_radix_sort_implINS0_14default_configELb1EPKfPfPKlPlN2at6native12_GLOBAL__N_18offset_tEEE10hipError_tPvRmT1_PNSt15iterator_traitsISY_E10value_typeET2_T3_PNSZ_IS14_E10value_typeET4_jRbjT5_S1A_jjP12ihipStream_tbEUljE_EEESV_SW_SX_S14_S18_S1A_T6_T7_T9_mT8_S1C_bDpT10_ENKUlT_T0_E_clISt17integral_constantIbLb0EES1O_IbLb1EEEEDaS1K_S1L_EUlS1K_E_NS1_11comp_targetILNS1_3genE5ELNS1_11target_archE942ELNS1_3gpuE9ELNS1_3repE0EEENS1_30default_config_static_selectorELNS0_4arch9wavefront6targetE0EEEvSY_.uses_vcc, 0
	.set _ZN7rocprim17ROCPRIM_400000_NS6detail17trampoline_kernelINS0_13select_configILj256ELj13ELNS0_17block_load_methodE3ELS4_3ELS4_3ELNS0_20block_scan_algorithmE0ELj4294967295EEENS1_25partition_config_selectorILNS1_17partition_subalgoE3EjNS0_10empty_typeEbEEZZNS1_14partition_implILS8_3ELb0ES6_jNS0_17counting_iteratorIjlEEPS9_SE_NS0_5tupleIJPjSE_EEENSF_IJSE_SE_EEES9_SG_JZNS1_25segmented_radix_sort_implINS0_14default_configELb1EPKfPfPKlPlN2at6native12_GLOBAL__N_18offset_tEEE10hipError_tPvRmT1_PNSt15iterator_traitsISY_E10value_typeET2_T3_PNSZ_IS14_E10value_typeET4_jRbjT5_S1A_jjP12ihipStream_tbEUljE_EEESV_SW_SX_S14_S18_S1A_T6_T7_T9_mT8_S1C_bDpT10_ENKUlT_T0_E_clISt17integral_constantIbLb0EES1O_IbLb1EEEEDaS1K_S1L_EUlS1K_E_NS1_11comp_targetILNS1_3genE5ELNS1_11target_archE942ELNS1_3gpuE9ELNS1_3repE0EEENS1_30default_config_static_selectorELNS0_4arch9wavefront6targetE0EEEvSY_.uses_flat_scratch, 0
	.set _ZN7rocprim17ROCPRIM_400000_NS6detail17trampoline_kernelINS0_13select_configILj256ELj13ELNS0_17block_load_methodE3ELS4_3ELS4_3ELNS0_20block_scan_algorithmE0ELj4294967295EEENS1_25partition_config_selectorILNS1_17partition_subalgoE3EjNS0_10empty_typeEbEEZZNS1_14partition_implILS8_3ELb0ES6_jNS0_17counting_iteratorIjlEEPS9_SE_NS0_5tupleIJPjSE_EEENSF_IJSE_SE_EEES9_SG_JZNS1_25segmented_radix_sort_implINS0_14default_configELb1EPKfPfPKlPlN2at6native12_GLOBAL__N_18offset_tEEE10hipError_tPvRmT1_PNSt15iterator_traitsISY_E10value_typeET2_T3_PNSZ_IS14_E10value_typeET4_jRbjT5_S1A_jjP12ihipStream_tbEUljE_EEESV_SW_SX_S14_S18_S1A_T6_T7_T9_mT8_S1C_bDpT10_ENKUlT_T0_E_clISt17integral_constantIbLb0EES1O_IbLb1EEEEDaS1K_S1L_EUlS1K_E_NS1_11comp_targetILNS1_3genE5ELNS1_11target_archE942ELNS1_3gpuE9ELNS1_3repE0EEENS1_30default_config_static_selectorELNS0_4arch9wavefront6targetE0EEEvSY_.has_dyn_sized_stack, 0
	.set _ZN7rocprim17ROCPRIM_400000_NS6detail17trampoline_kernelINS0_13select_configILj256ELj13ELNS0_17block_load_methodE3ELS4_3ELS4_3ELNS0_20block_scan_algorithmE0ELj4294967295EEENS1_25partition_config_selectorILNS1_17partition_subalgoE3EjNS0_10empty_typeEbEEZZNS1_14partition_implILS8_3ELb0ES6_jNS0_17counting_iteratorIjlEEPS9_SE_NS0_5tupleIJPjSE_EEENSF_IJSE_SE_EEES9_SG_JZNS1_25segmented_radix_sort_implINS0_14default_configELb1EPKfPfPKlPlN2at6native12_GLOBAL__N_18offset_tEEE10hipError_tPvRmT1_PNSt15iterator_traitsISY_E10value_typeET2_T3_PNSZ_IS14_E10value_typeET4_jRbjT5_S1A_jjP12ihipStream_tbEUljE_EEESV_SW_SX_S14_S18_S1A_T6_T7_T9_mT8_S1C_bDpT10_ENKUlT_T0_E_clISt17integral_constantIbLb0EES1O_IbLb1EEEEDaS1K_S1L_EUlS1K_E_NS1_11comp_targetILNS1_3genE5ELNS1_11target_archE942ELNS1_3gpuE9ELNS1_3repE0EEENS1_30default_config_static_selectorELNS0_4arch9wavefront6targetE0EEEvSY_.has_recursion, 0
	.set _ZN7rocprim17ROCPRIM_400000_NS6detail17trampoline_kernelINS0_13select_configILj256ELj13ELNS0_17block_load_methodE3ELS4_3ELS4_3ELNS0_20block_scan_algorithmE0ELj4294967295EEENS1_25partition_config_selectorILNS1_17partition_subalgoE3EjNS0_10empty_typeEbEEZZNS1_14partition_implILS8_3ELb0ES6_jNS0_17counting_iteratorIjlEEPS9_SE_NS0_5tupleIJPjSE_EEENSF_IJSE_SE_EEES9_SG_JZNS1_25segmented_radix_sort_implINS0_14default_configELb1EPKfPfPKlPlN2at6native12_GLOBAL__N_18offset_tEEE10hipError_tPvRmT1_PNSt15iterator_traitsISY_E10value_typeET2_T3_PNSZ_IS14_E10value_typeET4_jRbjT5_S1A_jjP12ihipStream_tbEUljE_EEESV_SW_SX_S14_S18_S1A_T6_T7_T9_mT8_S1C_bDpT10_ENKUlT_T0_E_clISt17integral_constantIbLb0EES1O_IbLb1EEEEDaS1K_S1L_EUlS1K_E_NS1_11comp_targetILNS1_3genE5ELNS1_11target_archE942ELNS1_3gpuE9ELNS1_3repE0EEENS1_30default_config_static_selectorELNS0_4arch9wavefront6targetE0EEEvSY_.has_indirect_call, 0
	.section	.AMDGPU.csdata,"",@progbits
; Kernel info:
; codeLenInByte = 0
; TotalNumSgprs: 0
; NumVgprs: 0
; ScratchSize: 0
; MemoryBound: 0
; FloatMode: 240
; IeeeMode: 1
; LDSByteSize: 0 bytes/workgroup (compile time only)
; SGPRBlocks: 0
; VGPRBlocks: 0
; NumSGPRsForWavesPerEU: 1
; NumVGPRsForWavesPerEU: 1
; Occupancy: 16
; WaveLimiterHint : 0
; COMPUTE_PGM_RSRC2:SCRATCH_EN: 0
; COMPUTE_PGM_RSRC2:USER_SGPR: 2
; COMPUTE_PGM_RSRC2:TRAP_HANDLER: 0
; COMPUTE_PGM_RSRC2:TGID_X_EN: 1
; COMPUTE_PGM_RSRC2:TGID_Y_EN: 0
; COMPUTE_PGM_RSRC2:TGID_Z_EN: 0
; COMPUTE_PGM_RSRC2:TIDIG_COMP_CNT: 0
	.section	.text._ZN7rocprim17ROCPRIM_400000_NS6detail17trampoline_kernelINS0_13select_configILj256ELj13ELNS0_17block_load_methodE3ELS4_3ELS4_3ELNS0_20block_scan_algorithmE0ELj4294967295EEENS1_25partition_config_selectorILNS1_17partition_subalgoE3EjNS0_10empty_typeEbEEZZNS1_14partition_implILS8_3ELb0ES6_jNS0_17counting_iteratorIjlEEPS9_SE_NS0_5tupleIJPjSE_EEENSF_IJSE_SE_EEES9_SG_JZNS1_25segmented_radix_sort_implINS0_14default_configELb1EPKfPfPKlPlN2at6native12_GLOBAL__N_18offset_tEEE10hipError_tPvRmT1_PNSt15iterator_traitsISY_E10value_typeET2_T3_PNSZ_IS14_E10value_typeET4_jRbjT5_S1A_jjP12ihipStream_tbEUljE_EEESV_SW_SX_S14_S18_S1A_T6_T7_T9_mT8_S1C_bDpT10_ENKUlT_T0_E_clISt17integral_constantIbLb0EES1O_IbLb1EEEEDaS1K_S1L_EUlS1K_E_NS1_11comp_targetILNS1_3genE4ELNS1_11target_archE910ELNS1_3gpuE8ELNS1_3repE0EEENS1_30default_config_static_selectorELNS0_4arch9wavefront6targetE0EEEvSY_,"axG",@progbits,_ZN7rocprim17ROCPRIM_400000_NS6detail17trampoline_kernelINS0_13select_configILj256ELj13ELNS0_17block_load_methodE3ELS4_3ELS4_3ELNS0_20block_scan_algorithmE0ELj4294967295EEENS1_25partition_config_selectorILNS1_17partition_subalgoE3EjNS0_10empty_typeEbEEZZNS1_14partition_implILS8_3ELb0ES6_jNS0_17counting_iteratorIjlEEPS9_SE_NS0_5tupleIJPjSE_EEENSF_IJSE_SE_EEES9_SG_JZNS1_25segmented_radix_sort_implINS0_14default_configELb1EPKfPfPKlPlN2at6native12_GLOBAL__N_18offset_tEEE10hipError_tPvRmT1_PNSt15iterator_traitsISY_E10value_typeET2_T3_PNSZ_IS14_E10value_typeET4_jRbjT5_S1A_jjP12ihipStream_tbEUljE_EEESV_SW_SX_S14_S18_S1A_T6_T7_T9_mT8_S1C_bDpT10_ENKUlT_T0_E_clISt17integral_constantIbLb0EES1O_IbLb1EEEEDaS1K_S1L_EUlS1K_E_NS1_11comp_targetILNS1_3genE4ELNS1_11target_archE910ELNS1_3gpuE8ELNS1_3repE0EEENS1_30default_config_static_selectorELNS0_4arch9wavefront6targetE0EEEvSY_,comdat
	.globl	_ZN7rocprim17ROCPRIM_400000_NS6detail17trampoline_kernelINS0_13select_configILj256ELj13ELNS0_17block_load_methodE3ELS4_3ELS4_3ELNS0_20block_scan_algorithmE0ELj4294967295EEENS1_25partition_config_selectorILNS1_17partition_subalgoE3EjNS0_10empty_typeEbEEZZNS1_14partition_implILS8_3ELb0ES6_jNS0_17counting_iteratorIjlEEPS9_SE_NS0_5tupleIJPjSE_EEENSF_IJSE_SE_EEES9_SG_JZNS1_25segmented_radix_sort_implINS0_14default_configELb1EPKfPfPKlPlN2at6native12_GLOBAL__N_18offset_tEEE10hipError_tPvRmT1_PNSt15iterator_traitsISY_E10value_typeET2_T3_PNSZ_IS14_E10value_typeET4_jRbjT5_S1A_jjP12ihipStream_tbEUljE_EEESV_SW_SX_S14_S18_S1A_T6_T7_T9_mT8_S1C_bDpT10_ENKUlT_T0_E_clISt17integral_constantIbLb0EES1O_IbLb1EEEEDaS1K_S1L_EUlS1K_E_NS1_11comp_targetILNS1_3genE4ELNS1_11target_archE910ELNS1_3gpuE8ELNS1_3repE0EEENS1_30default_config_static_selectorELNS0_4arch9wavefront6targetE0EEEvSY_ ; -- Begin function _ZN7rocprim17ROCPRIM_400000_NS6detail17trampoline_kernelINS0_13select_configILj256ELj13ELNS0_17block_load_methodE3ELS4_3ELS4_3ELNS0_20block_scan_algorithmE0ELj4294967295EEENS1_25partition_config_selectorILNS1_17partition_subalgoE3EjNS0_10empty_typeEbEEZZNS1_14partition_implILS8_3ELb0ES6_jNS0_17counting_iteratorIjlEEPS9_SE_NS0_5tupleIJPjSE_EEENSF_IJSE_SE_EEES9_SG_JZNS1_25segmented_radix_sort_implINS0_14default_configELb1EPKfPfPKlPlN2at6native12_GLOBAL__N_18offset_tEEE10hipError_tPvRmT1_PNSt15iterator_traitsISY_E10value_typeET2_T3_PNSZ_IS14_E10value_typeET4_jRbjT5_S1A_jjP12ihipStream_tbEUljE_EEESV_SW_SX_S14_S18_S1A_T6_T7_T9_mT8_S1C_bDpT10_ENKUlT_T0_E_clISt17integral_constantIbLb0EES1O_IbLb1EEEEDaS1K_S1L_EUlS1K_E_NS1_11comp_targetILNS1_3genE4ELNS1_11target_archE910ELNS1_3gpuE8ELNS1_3repE0EEENS1_30default_config_static_selectorELNS0_4arch9wavefront6targetE0EEEvSY_
	.p2align	8
	.type	_ZN7rocprim17ROCPRIM_400000_NS6detail17trampoline_kernelINS0_13select_configILj256ELj13ELNS0_17block_load_methodE3ELS4_3ELS4_3ELNS0_20block_scan_algorithmE0ELj4294967295EEENS1_25partition_config_selectorILNS1_17partition_subalgoE3EjNS0_10empty_typeEbEEZZNS1_14partition_implILS8_3ELb0ES6_jNS0_17counting_iteratorIjlEEPS9_SE_NS0_5tupleIJPjSE_EEENSF_IJSE_SE_EEES9_SG_JZNS1_25segmented_radix_sort_implINS0_14default_configELb1EPKfPfPKlPlN2at6native12_GLOBAL__N_18offset_tEEE10hipError_tPvRmT1_PNSt15iterator_traitsISY_E10value_typeET2_T3_PNSZ_IS14_E10value_typeET4_jRbjT5_S1A_jjP12ihipStream_tbEUljE_EEESV_SW_SX_S14_S18_S1A_T6_T7_T9_mT8_S1C_bDpT10_ENKUlT_T0_E_clISt17integral_constantIbLb0EES1O_IbLb1EEEEDaS1K_S1L_EUlS1K_E_NS1_11comp_targetILNS1_3genE4ELNS1_11target_archE910ELNS1_3gpuE8ELNS1_3repE0EEENS1_30default_config_static_selectorELNS0_4arch9wavefront6targetE0EEEvSY_,@function
_ZN7rocprim17ROCPRIM_400000_NS6detail17trampoline_kernelINS0_13select_configILj256ELj13ELNS0_17block_load_methodE3ELS4_3ELS4_3ELNS0_20block_scan_algorithmE0ELj4294967295EEENS1_25partition_config_selectorILNS1_17partition_subalgoE3EjNS0_10empty_typeEbEEZZNS1_14partition_implILS8_3ELb0ES6_jNS0_17counting_iteratorIjlEEPS9_SE_NS0_5tupleIJPjSE_EEENSF_IJSE_SE_EEES9_SG_JZNS1_25segmented_radix_sort_implINS0_14default_configELb1EPKfPfPKlPlN2at6native12_GLOBAL__N_18offset_tEEE10hipError_tPvRmT1_PNSt15iterator_traitsISY_E10value_typeET2_T3_PNSZ_IS14_E10value_typeET4_jRbjT5_S1A_jjP12ihipStream_tbEUljE_EEESV_SW_SX_S14_S18_S1A_T6_T7_T9_mT8_S1C_bDpT10_ENKUlT_T0_E_clISt17integral_constantIbLb0EES1O_IbLb1EEEEDaS1K_S1L_EUlS1K_E_NS1_11comp_targetILNS1_3genE4ELNS1_11target_archE910ELNS1_3gpuE8ELNS1_3repE0EEENS1_30default_config_static_selectorELNS0_4arch9wavefront6targetE0EEEvSY_: ; @_ZN7rocprim17ROCPRIM_400000_NS6detail17trampoline_kernelINS0_13select_configILj256ELj13ELNS0_17block_load_methodE3ELS4_3ELS4_3ELNS0_20block_scan_algorithmE0ELj4294967295EEENS1_25partition_config_selectorILNS1_17partition_subalgoE3EjNS0_10empty_typeEbEEZZNS1_14partition_implILS8_3ELb0ES6_jNS0_17counting_iteratorIjlEEPS9_SE_NS0_5tupleIJPjSE_EEENSF_IJSE_SE_EEES9_SG_JZNS1_25segmented_radix_sort_implINS0_14default_configELb1EPKfPfPKlPlN2at6native12_GLOBAL__N_18offset_tEEE10hipError_tPvRmT1_PNSt15iterator_traitsISY_E10value_typeET2_T3_PNSZ_IS14_E10value_typeET4_jRbjT5_S1A_jjP12ihipStream_tbEUljE_EEESV_SW_SX_S14_S18_S1A_T6_T7_T9_mT8_S1C_bDpT10_ENKUlT_T0_E_clISt17integral_constantIbLb0EES1O_IbLb1EEEEDaS1K_S1L_EUlS1K_E_NS1_11comp_targetILNS1_3genE4ELNS1_11target_archE910ELNS1_3gpuE8ELNS1_3repE0EEENS1_30default_config_static_selectorELNS0_4arch9wavefront6targetE0EEEvSY_
; %bb.0:
	.section	.rodata,"a",@progbits
	.p2align	6, 0x0
	.amdhsa_kernel _ZN7rocprim17ROCPRIM_400000_NS6detail17trampoline_kernelINS0_13select_configILj256ELj13ELNS0_17block_load_methodE3ELS4_3ELS4_3ELNS0_20block_scan_algorithmE0ELj4294967295EEENS1_25partition_config_selectorILNS1_17partition_subalgoE3EjNS0_10empty_typeEbEEZZNS1_14partition_implILS8_3ELb0ES6_jNS0_17counting_iteratorIjlEEPS9_SE_NS0_5tupleIJPjSE_EEENSF_IJSE_SE_EEES9_SG_JZNS1_25segmented_radix_sort_implINS0_14default_configELb1EPKfPfPKlPlN2at6native12_GLOBAL__N_18offset_tEEE10hipError_tPvRmT1_PNSt15iterator_traitsISY_E10value_typeET2_T3_PNSZ_IS14_E10value_typeET4_jRbjT5_S1A_jjP12ihipStream_tbEUljE_EEESV_SW_SX_S14_S18_S1A_T6_T7_T9_mT8_S1C_bDpT10_ENKUlT_T0_E_clISt17integral_constantIbLb0EES1O_IbLb1EEEEDaS1K_S1L_EUlS1K_E_NS1_11comp_targetILNS1_3genE4ELNS1_11target_archE910ELNS1_3gpuE8ELNS1_3repE0EEENS1_30default_config_static_selectorELNS0_4arch9wavefront6targetE0EEEvSY_
		.amdhsa_group_segment_fixed_size 0
		.amdhsa_private_segment_fixed_size 0
		.amdhsa_kernarg_size 152
		.amdhsa_user_sgpr_count 2
		.amdhsa_user_sgpr_dispatch_ptr 0
		.amdhsa_user_sgpr_queue_ptr 0
		.amdhsa_user_sgpr_kernarg_segment_ptr 1
		.amdhsa_user_sgpr_dispatch_id 0
		.amdhsa_user_sgpr_private_segment_size 0
		.amdhsa_wavefront_size32 1
		.amdhsa_uses_dynamic_stack 0
		.amdhsa_enable_private_segment 0
		.amdhsa_system_sgpr_workgroup_id_x 1
		.amdhsa_system_sgpr_workgroup_id_y 0
		.amdhsa_system_sgpr_workgroup_id_z 0
		.amdhsa_system_sgpr_workgroup_info 0
		.amdhsa_system_vgpr_workitem_id 0
		.amdhsa_next_free_vgpr 1
		.amdhsa_next_free_sgpr 1
		.amdhsa_reserve_vcc 0
		.amdhsa_float_round_mode_32 0
		.amdhsa_float_round_mode_16_64 0
		.amdhsa_float_denorm_mode_32 3
		.amdhsa_float_denorm_mode_16_64 3
		.amdhsa_fp16_overflow 0
		.amdhsa_workgroup_processor_mode 1
		.amdhsa_memory_ordered 1
		.amdhsa_forward_progress 1
		.amdhsa_inst_pref_size 0
		.amdhsa_round_robin_scheduling 0
		.amdhsa_exception_fp_ieee_invalid_op 0
		.amdhsa_exception_fp_denorm_src 0
		.amdhsa_exception_fp_ieee_div_zero 0
		.amdhsa_exception_fp_ieee_overflow 0
		.amdhsa_exception_fp_ieee_underflow 0
		.amdhsa_exception_fp_ieee_inexact 0
		.amdhsa_exception_int_div_zero 0
	.end_amdhsa_kernel
	.section	.text._ZN7rocprim17ROCPRIM_400000_NS6detail17trampoline_kernelINS0_13select_configILj256ELj13ELNS0_17block_load_methodE3ELS4_3ELS4_3ELNS0_20block_scan_algorithmE0ELj4294967295EEENS1_25partition_config_selectorILNS1_17partition_subalgoE3EjNS0_10empty_typeEbEEZZNS1_14partition_implILS8_3ELb0ES6_jNS0_17counting_iteratorIjlEEPS9_SE_NS0_5tupleIJPjSE_EEENSF_IJSE_SE_EEES9_SG_JZNS1_25segmented_radix_sort_implINS0_14default_configELb1EPKfPfPKlPlN2at6native12_GLOBAL__N_18offset_tEEE10hipError_tPvRmT1_PNSt15iterator_traitsISY_E10value_typeET2_T3_PNSZ_IS14_E10value_typeET4_jRbjT5_S1A_jjP12ihipStream_tbEUljE_EEESV_SW_SX_S14_S18_S1A_T6_T7_T9_mT8_S1C_bDpT10_ENKUlT_T0_E_clISt17integral_constantIbLb0EES1O_IbLb1EEEEDaS1K_S1L_EUlS1K_E_NS1_11comp_targetILNS1_3genE4ELNS1_11target_archE910ELNS1_3gpuE8ELNS1_3repE0EEENS1_30default_config_static_selectorELNS0_4arch9wavefront6targetE0EEEvSY_,"axG",@progbits,_ZN7rocprim17ROCPRIM_400000_NS6detail17trampoline_kernelINS0_13select_configILj256ELj13ELNS0_17block_load_methodE3ELS4_3ELS4_3ELNS0_20block_scan_algorithmE0ELj4294967295EEENS1_25partition_config_selectorILNS1_17partition_subalgoE3EjNS0_10empty_typeEbEEZZNS1_14partition_implILS8_3ELb0ES6_jNS0_17counting_iteratorIjlEEPS9_SE_NS0_5tupleIJPjSE_EEENSF_IJSE_SE_EEES9_SG_JZNS1_25segmented_radix_sort_implINS0_14default_configELb1EPKfPfPKlPlN2at6native12_GLOBAL__N_18offset_tEEE10hipError_tPvRmT1_PNSt15iterator_traitsISY_E10value_typeET2_T3_PNSZ_IS14_E10value_typeET4_jRbjT5_S1A_jjP12ihipStream_tbEUljE_EEESV_SW_SX_S14_S18_S1A_T6_T7_T9_mT8_S1C_bDpT10_ENKUlT_T0_E_clISt17integral_constantIbLb0EES1O_IbLb1EEEEDaS1K_S1L_EUlS1K_E_NS1_11comp_targetILNS1_3genE4ELNS1_11target_archE910ELNS1_3gpuE8ELNS1_3repE0EEENS1_30default_config_static_selectorELNS0_4arch9wavefront6targetE0EEEvSY_,comdat
.Lfunc_end1319:
	.size	_ZN7rocprim17ROCPRIM_400000_NS6detail17trampoline_kernelINS0_13select_configILj256ELj13ELNS0_17block_load_methodE3ELS4_3ELS4_3ELNS0_20block_scan_algorithmE0ELj4294967295EEENS1_25partition_config_selectorILNS1_17partition_subalgoE3EjNS0_10empty_typeEbEEZZNS1_14partition_implILS8_3ELb0ES6_jNS0_17counting_iteratorIjlEEPS9_SE_NS0_5tupleIJPjSE_EEENSF_IJSE_SE_EEES9_SG_JZNS1_25segmented_radix_sort_implINS0_14default_configELb1EPKfPfPKlPlN2at6native12_GLOBAL__N_18offset_tEEE10hipError_tPvRmT1_PNSt15iterator_traitsISY_E10value_typeET2_T3_PNSZ_IS14_E10value_typeET4_jRbjT5_S1A_jjP12ihipStream_tbEUljE_EEESV_SW_SX_S14_S18_S1A_T6_T7_T9_mT8_S1C_bDpT10_ENKUlT_T0_E_clISt17integral_constantIbLb0EES1O_IbLb1EEEEDaS1K_S1L_EUlS1K_E_NS1_11comp_targetILNS1_3genE4ELNS1_11target_archE910ELNS1_3gpuE8ELNS1_3repE0EEENS1_30default_config_static_selectorELNS0_4arch9wavefront6targetE0EEEvSY_, .Lfunc_end1319-_ZN7rocprim17ROCPRIM_400000_NS6detail17trampoline_kernelINS0_13select_configILj256ELj13ELNS0_17block_load_methodE3ELS4_3ELS4_3ELNS0_20block_scan_algorithmE0ELj4294967295EEENS1_25partition_config_selectorILNS1_17partition_subalgoE3EjNS0_10empty_typeEbEEZZNS1_14partition_implILS8_3ELb0ES6_jNS0_17counting_iteratorIjlEEPS9_SE_NS0_5tupleIJPjSE_EEENSF_IJSE_SE_EEES9_SG_JZNS1_25segmented_radix_sort_implINS0_14default_configELb1EPKfPfPKlPlN2at6native12_GLOBAL__N_18offset_tEEE10hipError_tPvRmT1_PNSt15iterator_traitsISY_E10value_typeET2_T3_PNSZ_IS14_E10value_typeET4_jRbjT5_S1A_jjP12ihipStream_tbEUljE_EEESV_SW_SX_S14_S18_S1A_T6_T7_T9_mT8_S1C_bDpT10_ENKUlT_T0_E_clISt17integral_constantIbLb0EES1O_IbLb1EEEEDaS1K_S1L_EUlS1K_E_NS1_11comp_targetILNS1_3genE4ELNS1_11target_archE910ELNS1_3gpuE8ELNS1_3repE0EEENS1_30default_config_static_selectorELNS0_4arch9wavefront6targetE0EEEvSY_
                                        ; -- End function
	.set _ZN7rocprim17ROCPRIM_400000_NS6detail17trampoline_kernelINS0_13select_configILj256ELj13ELNS0_17block_load_methodE3ELS4_3ELS4_3ELNS0_20block_scan_algorithmE0ELj4294967295EEENS1_25partition_config_selectorILNS1_17partition_subalgoE3EjNS0_10empty_typeEbEEZZNS1_14partition_implILS8_3ELb0ES6_jNS0_17counting_iteratorIjlEEPS9_SE_NS0_5tupleIJPjSE_EEENSF_IJSE_SE_EEES9_SG_JZNS1_25segmented_radix_sort_implINS0_14default_configELb1EPKfPfPKlPlN2at6native12_GLOBAL__N_18offset_tEEE10hipError_tPvRmT1_PNSt15iterator_traitsISY_E10value_typeET2_T3_PNSZ_IS14_E10value_typeET4_jRbjT5_S1A_jjP12ihipStream_tbEUljE_EEESV_SW_SX_S14_S18_S1A_T6_T7_T9_mT8_S1C_bDpT10_ENKUlT_T0_E_clISt17integral_constantIbLb0EES1O_IbLb1EEEEDaS1K_S1L_EUlS1K_E_NS1_11comp_targetILNS1_3genE4ELNS1_11target_archE910ELNS1_3gpuE8ELNS1_3repE0EEENS1_30default_config_static_selectorELNS0_4arch9wavefront6targetE0EEEvSY_.num_vgpr, 0
	.set _ZN7rocprim17ROCPRIM_400000_NS6detail17trampoline_kernelINS0_13select_configILj256ELj13ELNS0_17block_load_methodE3ELS4_3ELS4_3ELNS0_20block_scan_algorithmE0ELj4294967295EEENS1_25partition_config_selectorILNS1_17partition_subalgoE3EjNS0_10empty_typeEbEEZZNS1_14partition_implILS8_3ELb0ES6_jNS0_17counting_iteratorIjlEEPS9_SE_NS0_5tupleIJPjSE_EEENSF_IJSE_SE_EEES9_SG_JZNS1_25segmented_radix_sort_implINS0_14default_configELb1EPKfPfPKlPlN2at6native12_GLOBAL__N_18offset_tEEE10hipError_tPvRmT1_PNSt15iterator_traitsISY_E10value_typeET2_T3_PNSZ_IS14_E10value_typeET4_jRbjT5_S1A_jjP12ihipStream_tbEUljE_EEESV_SW_SX_S14_S18_S1A_T6_T7_T9_mT8_S1C_bDpT10_ENKUlT_T0_E_clISt17integral_constantIbLb0EES1O_IbLb1EEEEDaS1K_S1L_EUlS1K_E_NS1_11comp_targetILNS1_3genE4ELNS1_11target_archE910ELNS1_3gpuE8ELNS1_3repE0EEENS1_30default_config_static_selectorELNS0_4arch9wavefront6targetE0EEEvSY_.num_agpr, 0
	.set _ZN7rocprim17ROCPRIM_400000_NS6detail17trampoline_kernelINS0_13select_configILj256ELj13ELNS0_17block_load_methodE3ELS4_3ELS4_3ELNS0_20block_scan_algorithmE0ELj4294967295EEENS1_25partition_config_selectorILNS1_17partition_subalgoE3EjNS0_10empty_typeEbEEZZNS1_14partition_implILS8_3ELb0ES6_jNS0_17counting_iteratorIjlEEPS9_SE_NS0_5tupleIJPjSE_EEENSF_IJSE_SE_EEES9_SG_JZNS1_25segmented_radix_sort_implINS0_14default_configELb1EPKfPfPKlPlN2at6native12_GLOBAL__N_18offset_tEEE10hipError_tPvRmT1_PNSt15iterator_traitsISY_E10value_typeET2_T3_PNSZ_IS14_E10value_typeET4_jRbjT5_S1A_jjP12ihipStream_tbEUljE_EEESV_SW_SX_S14_S18_S1A_T6_T7_T9_mT8_S1C_bDpT10_ENKUlT_T0_E_clISt17integral_constantIbLb0EES1O_IbLb1EEEEDaS1K_S1L_EUlS1K_E_NS1_11comp_targetILNS1_3genE4ELNS1_11target_archE910ELNS1_3gpuE8ELNS1_3repE0EEENS1_30default_config_static_selectorELNS0_4arch9wavefront6targetE0EEEvSY_.numbered_sgpr, 0
	.set _ZN7rocprim17ROCPRIM_400000_NS6detail17trampoline_kernelINS0_13select_configILj256ELj13ELNS0_17block_load_methodE3ELS4_3ELS4_3ELNS0_20block_scan_algorithmE0ELj4294967295EEENS1_25partition_config_selectorILNS1_17partition_subalgoE3EjNS0_10empty_typeEbEEZZNS1_14partition_implILS8_3ELb0ES6_jNS0_17counting_iteratorIjlEEPS9_SE_NS0_5tupleIJPjSE_EEENSF_IJSE_SE_EEES9_SG_JZNS1_25segmented_radix_sort_implINS0_14default_configELb1EPKfPfPKlPlN2at6native12_GLOBAL__N_18offset_tEEE10hipError_tPvRmT1_PNSt15iterator_traitsISY_E10value_typeET2_T3_PNSZ_IS14_E10value_typeET4_jRbjT5_S1A_jjP12ihipStream_tbEUljE_EEESV_SW_SX_S14_S18_S1A_T6_T7_T9_mT8_S1C_bDpT10_ENKUlT_T0_E_clISt17integral_constantIbLb0EES1O_IbLb1EEEEDaS1K_S1L_EUlS1K_E_NS1_11comp_targetILNS1_3genE4ELNS1_11target_archE910ELNS1_3gpuE8ELNS1_3repE0EEENS1_30default_config_static_selectorELNS0_4arch9wavefront6targetE0EEEvSY_.num_named_barrier, 0
	.set _ZN7rocprim17ROCPRIM_400000_NS6detail17trampoline_kernelINS0_13select_configILj256ELj13ELNS0_17block_load_methodE3ELS4_3ELS4_3ELNS0_20block_scan_algorithmE0ELj4294967295EEENS1_25partition_config_selectorILNS1_17partition_subalgoE3EjNS0_10empty_typeEbEEZZNS1_14partition_implILS8_3ELb0ES6_jNS0_17counting_iteratorIjlEEPS9_SE_NS0_5tupleIJPjSE_EEENSF_IJSE_SE_EEES9_SG_JZNS1_25segmented_radix_sort_implINS0_14default_configELb1EPKfPfPKlPlN2at6native12_GLOBAL__N_18offset_tEEE10hipError_tPvRmT1_PNSt15iterator_traitsISY_E10value_typeET2_T3_PNSZ_IS14_E10value_typeET4_jRbjT5_S1A_jjP12ihipStream_tbEUljE_EEESV_SW_SX_S14_S18_S1A_T6_T7_T9_mT8_S1C_bDpT10_ENKUlT_T0_E_clISt17integral_constantIbLb0EES1O_IbLb1EEEEDaS1K_S1L_EUlS1K_E_NS1_11comp_targetILNS1_3genE4ELNS1_11target_archE910ELNS1_3gpuE8ELNS1_3repE0EEENS1_30default_config_static_selectorELNS0_4arch9wavefront6targetE0EEEvSY_.private_seg_size, 0
	.set _ZN7rocprim17ROCPRIM_400000_NS6detail17trampoline_kernelINS0_13select_configILj256ELj13ELNS0_17block_load_methodE3ELS4_3ELS4_3ELNS0_20block_scan_algorithmE0ELj4294967295EEENS1_25partition_config_selectorILNS1_17partition_subalgoE3EjNS0_10empty_typeEbEEZZNS1_14partition_implILS8_3ELb0ES6_jNS0_17counting_iteratorIjlEEPS9_SE_NS0_5tupleIJPjSE_EEENSF_IJSE_SE_EEES9_SG_JZNS1_25segmented_radix_sort_implINS0_14default_configELb1EPKfPfPKlPlN2at6native12_GLOBAL__N_18offset_tEEE10hipError_tPvRmT1_PNSt15iterator_traitsISY_E10value_typeET2_T3_PNSZ_IS14_E10value_typeET4_jRbjT5_S1A_jjP12ihipStream_tbEUljE_EEESV_SW_SX_S14_S18_S1A_T6_T7_T9_mT8_S1C_bDpT10_ENKUlT_T0_E_clISt17integral_constantIbLb0EES1O_IbLb1EEEEDaS1K_S1L_EUlS1K_E_NS1_11comp_targetILNS1_3genE4ELNS1_11target_archE910ELNS1_3gpuE8ELNS1_3repE0EEENS1_30default_config_static_selectorELNS0_4arch9wavefront6targetE0EEEvSY_.uses_vcc, 0
	.set _ZN7rocprim17ROCPRIM_400000_NS6detail17trampoline_kernelINS0_13select_configILj256ELj13ELNS0_17block_load_methodE3ELS4_3ELS4_3ELNS0_20block_scan_algorithmE0ELj4294967295EEENS1_25partition_config_selectorILNS1_17partition_subalgoE3EjNS0_10empty_typeEbEEZZNS1_14partition_implILS8_3ELb0ES6_jNS0_17counting_iteratorIjlEEPS9_SE_NS0_5tupleIJPjSE_EEENSF_IJSE_SE_EEES9_SG_JZNS1_25segmented_radix_sort_implINS0_14default_configELb1EPKfPfPKlPlN2at6native12_GLOBAL__N_18offset_tEEE10hipError_tPvRmT1_PNSt15iterator_traitsISY_E10value_typeET2_T3_PNSZ_IS14_E10value_typeET4_jRbjT5_S1A_jjP12ihipStream_tbEUljE_EEESV_SW_SX_S14_S18_S1A_T6_T7_T9_mT8_S1C_bDpT10_ENKUlT_T0_E_clISt17integral_constantIbLb0EES1O_IbLb1EEEEDaS1K_S1L_EUlS1K_E_NS1_11comp_targetILNS1_3genE4ELNS1_11target_archE910ELNS1_3gpuE8ELNS1_3repE0EEENS1_30default_config_static_selectorELNS0_4arch9wavefront6targetE0EEEvSY_.uses_flat_scratch, 0
	.set _ZN7rocprim17ROCPRIM_400000_NS6detail17trampoline_kernelINS0_13select_configILj256ELj13ELNS0_17block_load_methodE3ELS4_3ELS4_3ELNS0_20block_scan_algorithmE0ELj4294967295EEENS1_25partition_config_selectorILNS1_17partition_subalgoE3EjNS0_10empty_typeEbEEZZNS1_14partition_implILS8_3ELb0ES6_jNS0_17counting_iteratorIjlEEPS9_SE_NS0_5tupleIJPjSE_EEENSF_IJSE_SE_EEES9_SG_JZNS1_25segmented_radix_sort_implINS0_14default_configELb1EPKfPfPKlPlN2at6native12_GLOBAL__N_18offset_tEEE10hipError_tPvRmT1_PNSt15iterator_traitsISY_E10value_typeET2_T3_PNSZ_IS14_E10value_typeET4_jRbjT5_S1A_jjP12ihipStream_tbEUljE_EEESV_SW_SX_S14_S18_S1A_T6_T7_T9_mT8_S1C_bDpT10_ENKUlT_T0_E_clISt17integral_constantIbLb0EES1O_IbLb1EEEEDaS1K_S1L_EUlS1K_E_NS1_11comp_targetILNS1_3genE4ELNS1_11target_archE910ELNS1_3gpuE8ELNS1_3repE0EEENS1_30default_config_static_selectorELNS0_4arch9wavefront6targetE0EEEvSY_.has_dyn_sized_stack, 0
	.set _ZN7rocprim17ROCPRIM_400000_NS6detail17trampoline_kernelINS0_13select_configILj256ELj13ELNS0_17block_load_methodE3ELS4_3ELS4_3ELNS0_20block_scan_algorithmE0ELj4294967295EEENS1_25partition_config_selectorILNS1_17partition_subalgoE3EjNS0_10empty_typeEbEEZZNS1_14partition_implILS8_3ELb0ES6_jNS0_17counting_iteratorIjlEEPS9_SE_NS0_5tupleIJPjSE_EEENSF_IJSE_SE_EEES9_SG_JZNS1_25segmented_radix_sort_implINS0_14default_configELb1EPKfPfPKlPlN2at6native12_GLOBAL__N_18offset_tEEE10hipError_tPvRmT1_PNSt15iterator_traitsISY_E10value_typeET2_T3_PNSZ_IS14_E10value_typeET4_jRbjT5_S1A_jjP12ihipStream_tbEUljE_EEESV_SW_SX_S14_S18_S1A_T6_T7_T9_mT8_S1C_bDpT10_ENKUlT_T0_E_clISt17integral_constantIbLb0EES1O_IbLb1EEEEDaS1K_S1L_EUlS1K_E_NS1_11comp_targetILNS1_3genE4ELNS1_11target_archE910ELNS1_3gpuE8ELNS1_3repE0EEENS1_30default_config_static_selectorELNS0_4arch9wavefront6targetE0EEEvSY_.has_recursion, 0
	.set _ZN7rocprim17ROCPRIM_400000_NS6detail17trampoline_kernelINS0_13select_configILj256ELj13ELNS0_17block_load_methodE3ELS4_3ELS4_3ELNS0_20block_scan_algorithmE0ELj4294967295EEENS1_25partition_config_selectorILNS1_17partition_subalgoE3EjNS0_10empty_typeEbEEZZNS1_14partition_implILS8_3ELb0ES6_jNS0_17counting_iteratorIjlEEPS9_SE_NS0_5tupleIJPjSE_EEENSF_IJSE_SE_EEES9_SG_JZNS1_25segmented_radix_sort_implINS0_14default_configELb1EPKfPfPKlPlN2at6native12_GLOBAL__N_18offset_tEEE10hipError_tPvRmT1_PNSt15iterator_traitsISY_E10value_typeET2_T3_PNSZ_IS14_E10value_typeET4_jRbjT5_S1A_jjP12ihipStream_tbEUljE_EEESV_SW_SX_S14_S18_S1A_T6_T7_T9_mT8_S1C_bDpT10_ENKUlT_T0_E_clISt17integral_constantIbLb0EES1O_IbLb1EEEEDaS1K_S1L_EUlS1K_E_NS1_11comp_targetILNS1_3genE4ELNS1_11target_archE910ELNS1_3gpuE8ELNS1_3repE0EEENS1_30default_config_static_selectorELNS0_4arch9wavefront6targetE0EEEvSY_.has_indirect_call, 0
	.section	.AMDGPU.csdata,"",@progbits
; Kernel info:
; codeLenInByte = 0
; TotalNumSgprs: 0
; NumVgprs: 0
; ScratchSize: 0
; MemoryBound: 0
; FloatMode: 240
; IeeeMode: 1
; LDSByteSize: 0 bytes/workgroup (compile time only)
; SGPRBlocks: 0
; VGPRBlocks: 0
; NumSGPRsForWavesPerEU: 1
; NumVGPRsForWavesPerEU: 1
; Occupancy: 16
; WaveLimiterHint : 0
; COMPUTE_PGM_RSRC2:SCRATCH_EN: 0
; COMPUTE_PGM_RSRC2:USER_SGPR: 2
; COMPUTE_PGM_RSRC2:TRAP_HANDLER: 0
; COMPUTE_PGM_RSRC2:TGID_X_EN: 1
; COMPUTE_PGM_RSRC2:TGID_Y_EN: 0
; COMPUTE_PGM_RSRC2:TGID_Z_EN: 0
; COMPUTE_PGM_RSRC2:TIDIG_COMP_CNT: 0
	.section	.text._ZN7rocprim17ROCPRIM_400000_NS6detail17trampoline_kernelINS0_13select_configILj256ELj13ELNS0_17block_load_methodE3ELS4_3ELS4_3ELNS0_20block_scan_algorithmE0ELj4294967295EEENS1_25partition_config_selectorILNS1_17partition_subalgoE3EjNS0_10empty_typeEbEEZZNS1_14partition_implILS8_3ELb0ES6_jNS0_17counting_iteratorIjlEEPS9_SE_NS0_5tupleIJPjSE_EEENSF_IJSE_SE_EEES9_SG_JZNS1_25segmented_radix_sort_implINS0_14default_configELb1EPKfPfPKlPlN2at6native12_GLOBAL__N_18offset_tEEE10hipError_tPvRmT1_PNSt15iterator_traitsISY_E10value_typeET2_T3_PNSZ_IS14_E10value_typeET4_jRbjT5_S1A_jjP12ihipStream_tbEUljE_EEESV_SW_SX_S14_S18_S1A_T6_T7_T9_mT8_S1C_bDpT10_ENKUlT_T0_E_clISt17integral_constantIbLb0EES1O_IbLb1EEEEDaS1K_S1L_EUlS1K_E_NS1_11comp_targetILNS1_3genE3ELNS1_11target_archE908ELNS1_3gpuE7ELNS1_3repE0EEENS1_30default_config_static_selectorELNS0_4arch9wavefront6targetE0EEEvSY_,"axG",@progbits,_ZN7rocprim17ROCPRIM_400000_NS6detail17trampoline_kernelINS0_13select_configILj256ELj13ELNS0_17block_load_methodE3ELS4_3ELS4_3ELNS0_20block_scan_algorithmE0ELj4294967295EEENS1_25partition_config_selectorILNS1_17partition_subalgoE3EjNS0_10empty_typeEbEEZZNS1_14partition_implILS8_3ELb0ES6_jNS0_17counting_iteratorIjlEEPS9_SE_NS0_5tupleIJPjSE_EEENSF_IJSE_SE_EEES9_SG_JZNS1_25segmented_radix_sort_implINS0_14default_configELb1EPKfPfPKlPlN2at6native12_GLOBAL__N_18offset_tEEE10hipError_tPvRmT1_PNSt15iterator_traitsISY_E10value_typeET2_T3_PNSZ_IS14_E10value_typeET4_jRbjT5_S1A_jjP12ihipStream_tbEUljE_EEESV_SW_SX_S14_S18_S1A_T6_T7_T9_mT8_S1C_bDpT10_ENKUlT_T0_E_clISt17integral_constantIbLb0EES1O_IbLb1EEEEDaS1K_S1L_EUlS1K_E_NS1_11comp_targetILNS1_3genE3ELNS1_11target_archE908ELNS1_3gpuE7ELNS1_3repE0EEENS1_30default_config_static_selectorELNS0_4arch9wavefront6targetE0EEEvSY_,comdat
	.globl	_ZN7rocprim17ROCPRIM_400000_NS6detail17trampoline_kernelINS0_13select_configILj256ELj13ELNS0_17block_load_methodE3ELS4_3ELS4_3ELNS0_20block_scan_algorithmE0ELj4294967295EEENS1_25partition_config_selectorILNS1_17partition_subalgoE3EjNS0_10empty_typeEbEEZZNS1_14partition_implILS8_3ELb0ES6_jNS0_17counting_iteratorIjlEEPS9_SE_NS0_5tupleIJPjSE_EEENSF_IJSE_SE_EEES9_SG_JZNS1_25segmented_radix_sort_implINS0_14default_configELb1EPKfPfPKlPlN2at6native12_GLOBAL__N_18offset_tEEE10hipError_tPvRmT1_PNSt15iterator_traitsISY_E10value_typeET2_T3_PNSZ_IS14_E10value_typeET4_jRbjT5_S1A_jjP12ihipStream_tbEUljE_EEESV_SW_SX_S14_S18_S1A_T6_T7_T9_mT8_S1C_bDpT10_ENKUlT_T0_E_clISt17integral_constantIbLb0EES1O_IbLb1EEEEDaS1K_S1L_EUlS1K_E_NS1_11comp_targetILNS1_3genE3ELNS1_11target_archE908ELNS1_3gpuE7ELNS1_3repE0EEENS1_30default_config_static_selectorELNS0_4arch9wavefront6targetE0EEEvSY_ ; -- Begin function _ZN7rocprim17ROCPRIM_400000_NS6detail17trampoline_kernelINS0_13select_configILj256ELj13ELNS0_17block_load_methodE3ELS4_3ELS4_3ELNS0_20block_scan_algorithmE0ELj4294967295EEENS1_25partition_config_selectorILNS1_17partition_subalgoE3EjNS0_10empty_typeEbEEZZNS1_14partition_implILS8_3ELb0ES6_jNS0_17counting_iteratorIjlEEPS9_SE_NS0_5tupleIJPjSE_EEENSF_IJSE_SE_EEES9_SG_JZNS1_25segmented_radix_sort_implINS0_14default_configELb1EPKfPfPKlPlN2at6native12_GLOBAL__N_18offset_tEEE10hipError_tPvRmT1_PNSt15iterator_traitsISY_E10value_typeET2_T3_PNSZ_IS14_E10value_typeET4_jRbjT5_S1A_jjP12ihipStream_tbEUljE_EEESV_SW_SX_S14_S18_S1A_T6_T7_T9_mT8_S1C_bDpT10_ENKUlT_T0_E_clISt17integral_constantIbLb0EES1O_IbLb1EEEEDaS1K_S1L_EUlS1K_E_NS1_11comp_targetILNS1_3genE3ELNS1_11target_archE908ELNS1_3gpuE7ELNS1_3repE0EEENS1_30default_config_static_selectorELNS0_4arch9wavefront6targetE0EEEvSY_
	.p2align	8
	.type	_ZN7rocprim17ROCPRIM_400000_NS6detail17trampoline_kernelINS0_13select_configILj256ELj13ELNS0_17block_load_methodE3ELS4_3ELS4_3ELNS0_20block_scan_algorithmE0ELj4294967295EEENS1_25partition_config_selectorILNS1_17partition_subalgoE3EjNS0_10empty_typeEbEEZZNS1_14partition_implILS8_3ELb0ES6_jNS0_17counting_iteratorIjlEEPS9_SE_NS0_5tupleIJPjSE_EEENSF_IJSE_SE_EEES9_SG_JZNS1_25segmented_radix_sort_implINS0_14default_configELb1EPKfPfPKlPlN2at6native12_GLOBAL__N_18offset_tEEE10hipError_tPvRmT1_PNSt15iterator_traitsISY_E10value_typeET2_T3_PNSZ_IS14_E10value_typeET4_jRbjT5_S1A_jjP12ihipStream_tbEUljE_EEESV_SW_SX_S14_S18_S1A_T6_T7_T9_mT8_S1C_bDpT10_ENKUlT_T0_E_clISt17integral_constantIbLb0EES1O_IbLb1EEEEDaS1K_S1L_EUlS1K_E_NS1_11comp_targetILNS1_3genE3ELNS1_11target_archE908ELNS1_3gpuE7ELNS1_3repE0EEENS1_30default_config_static_selectorELNS0_4arch9wavefront6targetE0EEEvSY_,@function
_ZN7rocprim17ROCPRIM_400000_NS6detail17trampoline_kernelINS0_13select_configILj256ELj13ELNS0_17block_load_methodE3ELS4_3ELS4_3ELNS0_20block_scan_algorithmE0ELj4294967295EEENS1_25partition_config_selectorILNS1_17partition_subalgoE3EjNS0_10empty_typeEbEEZZNS1_14partition_implILS8_3ELb0ES6_jNS0_17counting_iteratorIjlEEPS9_SE_NS0_5tupleIJPjSE_EEENSF_IJSE_SE_EEES9_SG_JZNS1_25segmented_radix_sort_implINS0_14default_configELb1EPKfPfPKlPlN2at6native12_GLOBAL__N_18offset_tEEE10hipError_tPvRmT1_PNSt15iterator_traitsISY_E10value_typeET2_T3_PNSZ_IS14_E10value_typeET4_jRbjT5_S1A_jjP12ihipStream_tbEUljE_EEESV_SW_SX_S14_S18_S1A_T6_T7_T9_mT8_S1C_bDpT10_ENKUlT_T0_E_clISt17integral_constantIbLb0EES1O_IbLb1EEEEDaS1K_S1L_EUlS1K_E_NS1_11comp_targetILNS1_3genE3ELNS1_11target_archE908ELNS1_3gpuE7ELNS1_3repE0EEENS1_30default_config_static_selectorELNS0_4arch9wavefront6targetE0EEEvSY_: ; @_ZN7rocprim17ROCPRIM_400000_NS6detail17trampoline_kernelINS0_13select_configILj256ELj13ELNS0_17block_load_methodE3ELS4_3ELS4_3ELNS0_20block_scan_algorithmE0ELj4294967295EEENS1_25partition_config_selectorILNS1_17partition_subalgoE3EjNS0_10empty_typeEbEEZZNS1_14partition_implILS8_3ELb0ES6_jNS0_17counting_iteratorIjlEEPS9_SE_NS0_5tupleIJPjSE_EEENSF_IJSE_SE_EEES9_SG_JZNS1_25segmented_radix_sort_implINS0_14default_configELb1EPKfPfPKlPlN2at6native12_GLOBAL__N_18offset_tEEE10hipError_tPvRmT1_PNSt15iterator_traitsISY_E10value_typeET2_T3_PNSZ_IS14_E10value_typeET4_jRbjT5_S1A_jjP12ihipStream_tbEUljE_EEESV_SW_SX_S14_S18_S1A_T6_T7_T9_mT8_S1C_bDpT10_ENKUlT_T0_E_clISt17integral_constantIbLb0EES1O_IbLb1EEEEDaS1K_S1L_EUlS1K_E_NS1_11comp_targetILNS1_3genE3ELNS1_11target_archE908ELNS1_3gpuE7ELNS1_3repE0EEENS1_30default_config_static_selectorELNS0_4arch9wavefront6targetE0EEEvSY_
; %bb.0:
	.section	.rodata,"a",@progbits
	.p2align	6, 0x0
	.amdhsa_kernel _ZN7rocprim17ROCPRIM_400000_NS6detail17trampoline_kernelINS0_13select_configILj256ELj13ELNS0_17block_load_methodE3ELS4_3ELS4_3ELNS0_20block_scan_algorithmE0ELj4294967295EEENS1_25partition_config_selectorILNS1_17partition_subalgoE3EjNS0_10empty_typeEbEEZZNS1_14partition_implILS8_3ELb0ES6_jNS0_17counting_iteratorIjlEEPS9_SE_NS0_5tupleIJPjSE_EEENSF_IJSE_SE_EEES9_SG_JZNS1_25segmented_radix_sort_implINS0_14default_configELb1EPKfPfPKlPlN2at6native12_GLOBAL__N_18offset_tEEE10hipError_tPvRmT1_PNSt15iterator_traitsISY_E10value_typeET2_T3_PNSZ_IS14_E10value_typeET4_jRbjT5_S1A_jjP12ihipStream_tbEUljE_EEESV_SW_SX_S14_S18_S1A_T6_T7_T9_mT8_S1C_bDpT10_ENKUlT_T0_E_clISt17integral_constantIbLb0EES1O_IbLb1EEEEDaS1K_S1L_EUlS1K_E_NS1_11comp_targetILNS1_3genE3ELNS1_11target_archE908ELNS1_3gpuE7ELNS1_3repE0EEENS1_30default_config_static_selectorELNS0_4arch9wavefront6targetE0EEEvSY_
		.amdhsa_group_segment_fixed_size 0
		.amdhsa_private_segment_fixed_size 0
		.amdhsa_kernarg_size 152
		.amdhsa_user_sgpr_count 2
		.amdhsa_user_sgpr_dispatch_ptr 0
		.amdhsa_user_sgpr_queue_ptr 0
		.amdhsa_user_sgpr_kernarg_segment_ptr 1
		.amdhsa_user_sgpr_dispatch_id 0
		.amdhsa_user_sgpr_private_segment_size 0
		.amdhsa_wavefront_size32 1
		.amdhsa_uses_dynamic_stack 0
		.amdhsa_enable_private_segment 0
		.amdhsa_system_sgpr_workgroup_id_x 1
		.amdhsa_system_sgpr_workgroup_id_y 0
		.amdhsa_system_sgpr_workgroup_id_z 0
		.amdhsa_system_sgpr_workgroup_info 0
		.amdhsa_system_vgpr_workitem_id 0
		.amdhsa_next_free_vgpr 1
		.amdhsa_next_free_sgpr 1
		.amdhsa_reserve_vcc 0
		.amdhsa_float_round_mode_32 0
		.amdhsa_float_round_mode_16_64 0
		.amdhsa_float_denorm_mode_32 3
		.amdhsa_float_denorm_mode_16_64 3
		.amdhsa_fp16_overflow 0
		.amdhsa_workgroup_processor_mode 1
		.amdhsa_memory_ordered 1
		.amdhsa_forward_progress 1
		.amdhsa_inst_pref_size 0
		.amdhsa_round_robin_scheduling 0
		.amdhsa_exception_fp_ieee_invalid_op 0
		.amdhsa_exception_fp_denorm_src 0
		.amdhsa_exception_fp_ieee_div_zero 0
		.amdhsa_exception_fp_ieee_overflow 0
		.amdhsa_exception_fp_ieee_underflow 0
		.amdhsa_exception_fp_ieee_inexact 0
		.amdhsa_exception_int_div_zero 0
	.end_amdhsa_kernel
	.section	.text._ZN7rocprim17ROCPRIM_400000_NS6detail17trampoline_kernelINS0_13select_configILj256ELj13ELNS0_17block_load_methodE3ELS4_3ELS4_3ELNS0_20block_scan_algorithmE0ELj4294967295EEENS1_25partition_config_selectorILNS1_17partition_subalgoE3EjNS0_10empty_typeEbEEZZNS1_14partition_implILS8_3ELb0ES6_jNS0_17counting_iteratorIjlEEPS9_SE_NS0_5tupleIJPjSE_EEENSF_IJSE_SE_EEES9_SG_JZNS1_25segmented_radix_sort_implINS0_14default_configELb1EPKfPfPKlPlN2at6native12_GLOBAL__N_18offset_tEEE10hipError_tPvRmT1_PNSt15iterator_traitsISY_E10value_typeET2_T3_PNSZ_IS14_E10value_typeET4_jRbjT5_S1A_jjP12ihipStream_tbEUljE_EEESV_SW_SX_S14_S18_S1A_T6_T7_T9_mT8_S1C_bDpT10_ENKUlT_T0_E_clISt17integral_constantIbLb0EES1O_IbLb1EEEEDaS1K_S1L_EUlS1K_E_NS1_11comp_targetILNS1_3genE3ELNS1_11target_archE908ELNS1_3gpuE7ELNS1_3repE0EEENS1_30default_config_static_selectorELNS0_4arch9wavefront6targetE0EEEvSY_,"axG",@progbits,_ZN7rocprim17ROCPRIM_400000_NS6detail17trampoline_kernelINS0_13select_configILj256ELj13ELNS0_17block_load_methodE3ELS4_3ELS4_3ELNS0_20block_scan_algorithmE0ELj4294967295EEENS1_25partition_config_selectorILNS1_17partition_subalgoE3EjNS0_10empty_typeEbEEZZNS1_14partition_implILS8_3ELb0ES6_jNS0_17counting_iteratorIjlEEPS9_SE_NS0_5tupleIJPjSE_EEENSF_IJSE_SE_EEES9_SG_JZNS1_25segmented_radix_sort_implINS0_14default_configELb1EPKfPfPKlPlN2at6native12_GLOBAL__N_18offset_tEEE10hipError_tPvRmT1_PNSt15iterator_traitsISY_E10value_typeET2_T3_PNSZ_IS14_E10value_typeET4_jRbjT5_S1A_jjP12ihipStream_tbEUljE_EEESV_SW_SX_S14_S18_S1A_T6_T7_T9_mT8_S1C_bDpT10_ENKUlT_T0_E_clISt17integral_constantIbLb0EES1O_IbLb1EEEEDaS1K_S1L_EUlS1K_E_NS1_11comp_targetILNS1_3genE3ELNS1_11target_archE908ELNS1_3gpuE7ELNS1_3repE0EEENS1_30default_config_static_selectorELNS0_4arch9wavefront6targetE0EEEvSY_,comdat
.Lfunc_end1320:
	.size	_ZN7rocprim17ROCPRIM_400000_NS6detail17trampoline_kernelINS0_13select_configILj256ELj13ELNS0_17block_load_methodE3ELS4_3ELS4_3ELNS0_20block_scan_algorithmE0ELj4294967295EEENS1_25partition_config_selectorILNS1_17partition_subalgoE3EjNS0_10empty_typeEbEEZZNS1_14partition_implILS8_3ELb0ES6_jNS0_17counting_iteratorIjlEEPS9_SE_NS0_5tupleIJPjSE_EEENSF_IJSE_SE_EEES9_SG_JZNS1_25segmented_radix_sort_implINS0_14default_configELb1EPKfPfPKlPlN2at6native12_GLOBAL__N_18offset_tEEE10hipError_tPvRmT1_PNSt15iterator_traitsISY_E10value_typeET2_T3_PNSZ_IS14_E10value_typeET4_jRbjT5_S1A_jjP12ihipStream_tbEUljE_EEESV_SW_SX_S14_S18_S1A_T6_T7_T9_mT8_S1C_bDpT10_ENKUlT_T0_E_clISt17integral_constantIbLb0EES1O_IbLb1EEEEDaS1K_S1L_EUlS1K_E_NS1_11comp_targetILNS1_3genE3ELNS1_11target_archE908ELNS1_3gpuE7ELNS1_3repE0EEENS1_30default_config_static_selectorELNS0_4arch9wavefront6targetE0EEEvSY_, .Lfunc_end1320-_ZN7rocprim17ROCPRIM_400000_NS6detail17trampoline_kernelINS0_13select_configILj256ELj13ELNS0_17block_load_methodE3ELS4_3ELS4_3ELNS0_20block_scan_algorithmE0ELj4294967295EEENS1_25partition_config_selectorILNS1_17partition_subalgoE3EjNS0_10empty_typeEbEEZZNS1_14partition_implILS8_3ELb0ES6_jNS0_17counting_iteratorIjlEEPS9_SE_NS0_5tupleIJPjSE_EEENSF_IJSE_SE_EEES9_SG_JZNS1_25segmented_radix_sort_implINS0_14default_configELb1EPKfPfPKlPlN2at6native12_GLOBAL__N_18offset_tEEE10hipError_tPvRmT1_PNSt15iterator_traitsISY_E10value_typeET2_T3_PNSZ_IS14_E10value_typeET4_jRbjT5_S1A_jjP12ihipStream_tbEUljE_EEESV_SW_SX_S14_S18_S1A_T6_T7_T9_mT8_S1C_bDpT10_ENKUlT_T0_E_clISt17integral_constantIbLb0EES1O_IbLb1EEEEDaS1K_S1L_EUlS1K_E_NS1_11comp_targetILNS1_3genE3ELNS1_11target_archE908ELNS1_3gpuE7ELNS1_3repE0EEENS1_30default_config_static_selectorELNS0_4arch9wavefront6targetE0EEEvSY_
                                        ; -- End function
	.set _ZN7rocprim17ROCPRIM_400000_NS6detail17trampoline_kernelINS0_13select_configILj256ELj13ELNS0_17block_load_methodE3ELS4_3ELS4_3ELNS0_20block_scan_algorithmE0ELj4294967295EEENS1_25partition_config_selectorILNS1_17partition_subalgoE3EjNS0_10empty_typeEbEEZZNS1_14partition_implILS8_3ELb0ES6_jNS0_17counting_iteratorIjlEEPS9_SE_NS0_5tupleIJPjSE_EEENSF_IJSE_SE_EEES9_SG_JZNS1_25segmented_radix_sort_implINS0_14default_configELb1EPKfPfPKlPlN2at6native12_GLOBAL__N_18offset_tEEE10hipError_tPvRmT1_PNSt15iterator_traitsISY_E10value_typeET2_T3_PNSZ_IS14_E10value_typeET4_jRbjT5_S1A_jjP12ihipStream_tbEUljE_EEESV_SW_SX_S14_S18_S1A_T6_T7_T9_mT8_S1C_bDpT10_ENKUlT_T0_E_clISt17integral_constantIbLb0EES1O_IbLb1EEEEDaS1K_S1L_EUlS1K_E_NS1_11comp_targetILNS1_3genE3ELNS1_11target_archE908ELNS1_3gpuE7ELNS1_3repE0EEENS1_30default_config_static_selectorELNS0_4arch9wavefront6targetE0EEEvSY_.num_vgpr, 0
	.set _ZN7rocprim17ROCPRIM_400000_NS6detail17trampoline_kernelINS0_13select_configILj256ELj13ELNS0_17block_load_methodE3ELS4_3ELS4_3ELNS0_20block_scan_algorithmE0ELj4294967295EEENS1_25partition_config_selectorILNS1_17partition_subalgoE3EjNS0_10empty_typeEbEEZZNS1_14partition_implILS8_3ELb0ES6_jNS0_17counting_iteratorIjlEEPS9_SE_NS0_5tupleIJPjSE_EEENSF_IJSE_SE_EEES9_SG_JZNS1_25segmented_radix_sort_implINS0_14default_configELb1EPKfPfPKlPlN2at6native12_GLOBAL__N_18offset_tEEE10hipError_tPvRmT1_PNSt15iterator_traitsISY_E10value_typeET2_T3_PNSZ_IS14_E10value_typeET4_jRbjT5_S1A_jjP12ihipStream_tbEUljE_EEESV_SW_SX_S14_S18_S1A_T6_T7_T9_mT8_S1C_bDpT10_ENKUlT_T0_E_clISt17integral_constantIbLb0EES1O_IbLb1EEEEDaS1K_S1L_EUlS1K_E_NS1_11comp_targetILNS1_3genE3ELNS1_11target_archE908ELNS1_3gpuE7ELNS1_3repE0EEENS1_30default_config_static_selectorELNS0_4arch9wavefront6targetE0EEEvSY_.num_agpr, 0
	.set _ZN7rocprim17ROCPRIM_400000_NS6detail17trampoline_kernelINS0_13select_configILj256ELj13ELNS0_17block_load_methodE3ELS4_3ELS4_3ELNS0_20block_scan_algorithmE0ELj4294967295EEENS1_25partition_config_selectorILNS1_17partition_subalgoE3EjNS0_10empty_typeEbEEZZNS1_14partition_implILS8_3ELb0ES6_jNS0_17counting_iteratorIjlEEPS9_SE_NS0_5tupleIJPjSE_EEENSF_IJSE_SE_EEES9_SG_JZNS1_25segmented_radix_sort_implINS0_14default_configELb1EPKfPfPKlPlN2at6native12_GLOBAL__N_18offset_tEEE10hipError_tPvRmT1_PNSt15iterator_traitsISY_E10value_typeET2_T3_PNSZ_IS14_E10value_typeET4_jRbjT5_S1A_jjP12ihipStream_tbEUljE_EEESV_SW_SX_S14_S18_S1A_T6_T7_T9_mT8_S1C_bDpT10_ENKUlT_T0_E_clISt17integral_constantIbLb0EES1O_IbLb1EEEEDaS1K_S1L_EUlS1K_E_NS1_11comp_targetILNS1_3genE3ELNS1_11target_archE908ELNS1_3gpuE7ELNS1_3repE0EEENS1_30default_config_static_selectorELNS0_4arch9wavefront6targetE0EEEvSY_.numbered_sgpr, 0
	.set _ZN7rocprim17ROCPRIM_400000_NS6detail17trampoline_kernelINS0_13select_configILj256ELj13ELNS0_17block_load_methodE3ELS4_3ELS4_3ELNS0_20block_scan_algorithmE0ELj4294967295EEENS1_25partition_config_selectorILNS1_17partition_subalgoE3EjNS0_10empty_typeEbEEZZNS1_14partition_implILS8_3ELb0ES6_jNS0_17counting_iteratorIjlEEPS9_SE_NS0_5tupleIJPjSE_EEENSF_IJSE_SE_EEES9_SG_JZNS1_25segmented_radix_sort_implINS0_14default_configELb1EPKfPfPKlPlN2at6native12_GLOBAL__N_18offset_tEEE10hipError_tPvRmT1_PNSt15iterator_traitsISY_E10value_typeET2_T3_PNSZ_IS14_E10value_typeET4_jRbjT5_S1A_jjP12ihipStream_tbEUljE_EEESV_SW_SX_S14_S18_S1A_T6_T7_T9_mT8_S1C_bDpT10_ENKUlT_T0_E_clISt17integral_constantIbLb0EES1O_IbLb1EEEEDaS1K_S1L_EUlS1K_E_NS1_11comp_targetILNS1_3genE3ELNS1_11target_archE908ELNS1_3gpuE7ELNS1_3repE0EEENS1_30default_config_static_selectorELNS0_4arch9wavefront6targetE0EEEvSY_.num_named_barrier, 0
	.set _ZN7rocprim17ROCPRIM_400000_NS6detail17trampoline_kernelINS0_13select_configILj256ELj13ELNS0_17block_load_methodE3ELS4_3ELS4_3ELNS0_20block_scan_algorithmE0ELj4294967295EEENS1_25partition_config_selectorILNS1_17partition_subalgoE3EjNS0_10empty_typeEbEEZZNS1_14partition_implILS8_3ELb0ES6_jNS0_17counting_iteratorIjlEEPS9_SE_NS0_5tupleIJPjSE_EEENSF_IJSE_SE_EEES9_SG_JZNS1_25segmented_radix_sort_implINS0_14default_configELb1EPKfPfPKlPlN2at6native12_GLOBAL__N_18offset_tEEE10hipError_tPvRmT1_PNSt15iterator_traitsISY_E10value_typeET2_T3_PNSZ_IS14_E10value_typeET4_jRbjT5_S1A_jjP12ihipStream_tbEUljE_EEESV_SW_SX_S14_S18_S1A_T6_T7_T9_mT8_S1C_bDpT10_ENKUlT_T0_E_clISt17integral_constantIbLb0EES1O_IbLb1EEEEDaS1K_S1L_EUlS1K_E_NS1_11comp_targetILNS1_3genE3ELNS1_11target_archE908ELNS1_3gpuE7ELNS1_3repE0EEENS1_30default_config_static_selectorELNS0_4arch9wavefront6targetE0EEEvSY_.private_seg_size, 0
	.set _ZN7rocprim17ROCPRIM_400000_NS6detail17trampoline_kernelINS0_13select_configILj256ELj13ELNS0_17block_load_methodE3ELS4_3ELS4_3ELNS0_20block_scan_algorithmE0ELj4294967295EEENS1_25partition_config_selectorILNS1_17partition_subalgoE3EjNS0_10empty_typeEbEEZZNS1_14partition_implILS8_3ELb0ES6_jNS0_17counting_iteratorIjlEEPS9_SE_NS0_5tupleIJPjSE_EEENSF_IJSE_SE_EEES9_SG_JZNS1_25segmented_radix_sort_implINS0_14default_configELb1EPKfPfPKlPlN2at6native12_GLOBAL__N_18offset_tEEE10hipError_tPvRmT1_PNSt15iterator_traitsISY_E10value_typeET2_T3_PNSZ_IS14_E10value_typeET4_jRbjT5_S1A_jjP12ihipStream_tbEUljE_EEESV_SW_SX_S14_S18_S1A_T6_T7_T9_mT8_S1C_bDpT10_ENKUlT_T0_E_clISt17integral_constantIbLb0EES1O_IbLb1EEEEDaS1K_S1L_EUlS1K_E_NS1_11comp_targetILNS1_3genE3ELNS1_11target_archE908ELNS1_3gpuE7ELNS1_3repE0EEENS1_30default_config_static_selectorELNS0_4arch9wavefront6targetE0EEEvSY_.uses_vcc, 0
	.set _ZN7rocprim17ROCPRIM_400000_NS6detail17trampoline_kernelINS0_13select_configILj256ELj13ELNS0_17block_load_methodE3ELS4_3ELS4_3ELNS0_20block_scan_algorithmE0ELj4294967295EEENS1_25partition_config_selectorILNS1_17partition_subalgoE3EjNS0_10empty_typeEbEEZZNS1_14partition_implILS8_3ELb0ES6_jNS0_17counting_iteratorIjlEEPS9_SE_NS0_5tupleIJPjSE_EEENSF_IJSE_SE_EEES9_SG_JZNS1_25segmented_radix_sort_implINS0_14default_configELb1EPKfPfPKlPlN2at6native12_GLOBAL__N_18offset_tEEE10hipError_tPvRmT1_PNSt15iterator_traitsISY_E10value_typeET2_T3_PNSZ_IS14_E10value_typeET4_jRbjT5_S1A_jjP12ihipStream_tbEUljE_EEESV_SW_SX_S14_S18_S1A_T6_T7_T9_mT8_S1C_bDpT10_ENKUlT_T0_E_clISt17integral_constantIbLb0EES1O_IbLb1EEEEDaS1K_S1L_EUlS1K_E_NS1_11comp_targetILNS1_3genE3ELNS1_11target_archE908ELNS1_3gpuE7ELNS1_3repE0EEENS1_30default_config_static_selectorELNS0_4arch9wavefront6targetE0EEEvSY_.uses_flat_scratch, 0
	.set _ZN7rocprim17ROCPRIM_400000_NS6detail17trampoline_kernelINS0_13select_configILj256ELj13ELNS0_17block_load_methodE3ELS4_3ELS4_3ELNS0_20block_scan_algorithmE0ELj4294967295EEENS1_25partition_config_selectorILNS1_17partition_subalgoE3EjNS0_10empty_typeEbEEZZNS1_14partition_implILS8_3ELb0ES6_jNS0_17counting_iteratorIjlEEPS9_SE_NS0_5tupleIJPjSE_EEENSF_IJSE_SE_EEES9_SG_JZNS1_25segmented_radix_sort_implINS0_14default_configELb1EPKfPfPKlPlN2at6native12_GLOBAL__N_18offset_tEEE10hipError_tPvRmT1_PNSt15iterator_traitsISY_E10value_typeET2_T3_PNSZ_IS14_E10value_typeET4_jRbjT5_S1A_jjP12ihipStream_tbEUljE_EEESV_SW_SX_S14_S18_S1A_T6_T7_T9_mT8_S1C_bDpT10_ENKUlT_T0_E_clISt17integral_constantIbLb0EES1O_IbLb1EEEEDaS1K_S1L_EUlS1K_E_NS1_11comp_targetILNS1_3genE3ELNS1_11target_archE908ELNS1_3gpuE7ELNS1_3repE0EEENS1_30default_config_static_selectorELNS0_4arch9wavefront6targetE0EEEvSY_.has_dyn_sized_stack, 0
	.set _ZN7rocprim17ROCPRIM_400000_NS6detail17trampoline_kernelINS0_13select_configILj256ELj13ELNS0_17block_load_methodE3ELS4_3ELS4_3ELNS0_20block_scan_algorithmE0ELj4294967295EEENS1_25partition_config_selectorILNS1_17partition_subalgoE3EjNS0_10empty_typeEbEEZZNS1_14partition_implILS8_3ELb0ES6_jNS0_17counting_iteratorIjlEEPS9_SE_NS0_5tupleIJPjSE_EEENSF_IJSE_SE_EEES9_SG_JZNS1_25segmented_radix_sort_implINS0_14default_configELb1EPKfPfPKlPlN2at6native12_GLOBAL__N_18offset_tEEE10hipError_tPvRmT1_PNSt15iterator_traitsISY_E10value_typeET2_T3_PNSZ_IS14_E10value_typeET4_jRbjT5_S1A_jjP12ihipStream_tbEUljE_EEESV_SW_SX_S14_S18_S1A_T6_T7_T9_mT8_S1C_bDpT10_ENKUlT_T0_E_clISt17integral_constantIbLb0EES1O_IbLb1EEEEDaS1K_S1L_EUlS1K_E_NS1_11comp_targetILNS1_3genE3ELNS1_11target_archE908ELNS1_3gpuE7ELNS1_3repE0EEENS1_30default_config_static_selectorELNS0_4arch9wavefront6targetE0EEEvSY_.has_recursion, 0
	.set _ZN7rocprim17ROCPRIM_400000_NS6detail17trampoline_kernelINS0_13select_configILj256ELj13ELNS0_17block_load_methodE3ELS4_3ELS4_3ELNS0_20block_scan_algorithmE0ELj4294967295EEENS1_25partition_config_selectorILNS1_17partition_subalgoE3EjNS0_10empty_typeEbEEZZNS1_14partition_implILS8_3ELb0ES6_jNS0_17counting_iteratorIjlEEPS9_SE_NS0_5tupleIJPjSE_EEENSF_IJSE_SE_EEES9_SG_JZNS1_25segmented_radix_sort_implINS0_14default_configELb1EPKfPfPKlPlN2at6native12_GLOBAL__N_18offset_tEEE10hipError_tPvRmT1_PNSt15iterator_traitsISY_E10value_typeET2_T3_PNSZ_IS14_E10value_typeET4_jRbjT5_S1A_jjP12ihipStream_tbEUljE_EEESV_SW_SX_S14_S18_S1A_T6_T7_T9_mT8_S1C_bDpT10_ENKUlT_T0_E_clISt17integral_constantIbLb0EES1O_IbLb1EEEEDaS1K_S1L_EUlS1K_E_NS1_11comp_targetILNS1_3genE3ELNS1_11target_archE908ELNS1_3gpuE7ELNS1_3repE0EEENS1_30default_config_static_selectorELNS0_4arch9wavefront6targetE0EEEvSY_.has_indirect_call, 0
	.section	.AMDGPU.csdata,"",@progbits
; Kernel info:
; codeLenInByte = 0
; TotalNumSgprs: 0
; NumVgprs: 0
; ScratchSize: 0
; MemoryBound: 0
; FloatMode: 240
; IeeeMode: 1
; LDSByteSize: 0 bytes/workgroup (compile time only)
; SGPRBlocks: 0
; VGPRBlocks: 0
; NumSGPRsForWavesPerEU: 1
; NumVGPRsForWavesPerEU: 1
; Occupancy: 16
; WaveLimiterHint : 0
; COMPUTE_PGM_RSRC2:SCRATCH_EN: 0
; COMPUTE_PGM_RSRC2:USER_SGPR: 2
; COMPUTE_PGM_RSRC2:TRAP_HANDLER: 0
; COMPUTE_PGM_RSRC2:TGID_X_EN: 1
; COMPUTE_PGM_RSRC2:TGID_Y_EN: 0
; COMPUTE_PGM_RSRC2:TGID_Z_EN: 0
; COMPUTE_PGM_RSRC2:TIDIG_COMP_CNT: 0
	.section	.text._ZN7rocprim17ROCPRIM_400000_NS6detail17trampoline_kernelINS0_13select_configILj256ELj13ELNS0_17block_load_methodE3ELS4_3ELS4_3ELNS0_20block_scan_algorithmE0ELj4294967295EEENS1_25partition_config_selectorILNS1_17partition_subalgoE3EjNS0_10empty_typeEbEEZZNS1_14partition_implILS8_3ELb0ES6_jNS0_17counting_iteratorIjlEEPS9_SE_NS0_5tupleIJPjSE_EEENSF_IJSE_SE_EEES9_SG_JZNS1_25segmented_radix_sort_implINS0_14default_configELb1EPKfPfPKlPlN2at6native12_GLOBAL__N_18offset_tEEE10hipError_tPvRmT1_PNSt15iterator_traitsISY_E10value_typeET2_T3_PNSZ_IS14_E10value_typeET4_jRbjT5_S1A_jjP12ihipStream_tbEUljE_EEESV_SW_SX_S14_S18_S1A_T6_T7_T9_mT8_S1C_bDpT10_ENKUlT_T0_E_clISt17integral_constantIbLb0EES1O_IbLb1EEEEDaS1K_S1L_EUlS1K_E_NS1_11comp_targetILNS1_3genE2ELNS1_11target_archE906ELNS1_3gpuE6ELNS1_3repE0EEENS1_30default_config_static_selectorELNS0_4arch9wavefront6targetE0EEEvSY_,"axG",@progbits,_ZN7rocprim17ROCPRIM_400000_NS6detail17trampoline_kernelINS0_13select_configILj256ELj13ELNS0_17block_load_methodE3ELS4_3ELS4_3ELNS0_20block_scan_algorithmE0ELj4294967295EEENS1_25partition_config_selectorILNS1_17partition_subalgoE3EjNS0_10empty_typeEbEEZZNS1_14partition_implILS8_3ELb0ES6_jNS0_17counting_iteratorIjlEEPS9_SE_NS0_5tupleIJPjSE_EEENSF_IJSE_SE_EEES9_SG_JZNS1_25segmented_radix_sort_implINS0_14default_configELb1EPKfPfPKlPlN2at6native12_GLOBAL__N_18offset_tEEE10hipError_tPvRmT1_PNSt15iterator_traitsISY_E10value_typeET2_T3_PNSZ_IS14_E10value_typeET4_jRbjT5_S1A_jjP12ihipStream_tbEUljE_EEESV_SW_SX_S14_S18_S1A_T6_T7_T9_mT8_S1C_bDpT10_ENKUlT_T0_E_clISt17integral_constantIbLb0EES1O_IbLb1EEEEDaS1K_S1L_EUlS1K_E_NS1_11comp_targetILNS1_3genE2ELNS1_11target_archE906ELNS1_3gpuE6ELNS1_3repE0EEENS1_30default_config_static_selectorELNS0_4arch9wavefront6targetE0EEEvSY_,comdat
	.globl	_ZN7rocprim17ROCPRIM_400000_NS6detail17trampoline_kernelINS0_13select_configILj256ELj13ELNS0_17block_load_methodE3ELS4_3ELS4_3ELNS0_20block_scan_algorithmE0ELj4294967295EEENS1_25partition_config_selectorILNS1_17partition_subalgoE3EjNS0_10empty_typeEbEEZZNS1_14partition_implILS8_3ELb0ES6_jNS0_17counting_iteratorIjlEEPS9_SE_NS0_5tupleIJPjSE_EEENSF_IJSE_SE_EEES9_SG_JZNS1_25segmented_radix_sort_implINS0_14default_configELb1EPKfPfPKlPlN2at6native12_GLOBAL__N_18offset_tEEE10hipError_tPvRmT1_PNSt15iterator_traitsISY_E10value_typeET2_T3_PNSZ_IS14_E10value_typeET4_jRbjT5_S1A_jjP12ihipStream_tbEUljE_EEESV_SW_SX_S14_S18_S1A_T6_T7_T9_mT8_S1C_bDpT10_ENKUlT_T0_E_clISt17integral_constantIbLb0EES1O_IbLb1EEEEDaS1K_S1L_EUlS1K_E_NS1_11comp_targetILNS1_3genE2ELNS1_11target_archE906ELNS1_3gpuE6ELNS1_3repE0EEENS1_30default_config_static_selectorELNS0_4arch9wavefront6targetE0EEEvSY_ ; -- Begin function _ZN7rocprim17ROCPRIM_400000_NS6detail17trampoline_kernelINS0_13select_configILj256ELj13ELNS0_17block_load_methodE3ELS4_3ELS4_3ELNS0_20block_scan_algorithmE0ELj4294967295EEENS1_25partition_config_selectorILNS1_17partition_subalgoE3EjNS0_10empty_typeEbEEZZNS1_14partition_implILS8_3ELb0ES6_jNS0_17counting_iteratorIjlEEPS9_SE_NS0_5tupleIJPjSE_EEENSF_IJSE_SE_EEES9_SG_JZNS1_25segmented_radix_sort_implINS0_14default_configELb1EPKfPfPKlPlN2at6native12_GLOBAL__N_18offset_tEEE10hipError_tPvRmT1_PNSt15iterator_traitsISY_E10value_typeET2_T3_PNSZ_IS14_E10value_typeET4_jRbjT5_S1A_jjP12ihipStream_tbEUljE_EEESV_SW_SX_S14_S18_S1A_T6_T7_T9_mT8_S1C_bDpT10_ENKUlT_T0_E_clISt17integral_constantIbLb0EES1O_IbLb1EEEEDaS1K_S1L_EUlS1K_E_NS1_11comp_targetILNS1_3genE2ELNS1_11target_archE906ELNS1_3gpuE6ELNS1_3repE0EEENS1_30default_config_static_selectorELNS0_4arch9wavefront6targetE0EEEvSY_
	.p2align	8
	.type	_ZN7rocprim17ROCPRIM_400000_NS6detail17trampoline_kernelINS0_13select_configILj256ELj13ELNS0_17block_load_methodE3ELS4_3ELS4_3ELNS0_20block_scan_algorithmE0ELj4294967295EEENS1_25partition_config_selectorILNS1_17partition_subalgoE3EjNS0_10empty_typeEbEEZZNS1_14partition_implILS8_3ELb0ES6_jNS0_17counting_iteratorIjlEEPS9_SE_NS0_5tupleIJPjSE_EEENSF_IJSE_SE_EEES9_SG_JZNS1_25segmented_radix_sort_implINS0_14default_configELb1EPKfPfPKlPlN2at6native12_GLOBAL__N_18offset_tEEE10hipError_tPvRmT1_PNSt15iterator_traitsISY_E10value_typeET2_T3_PNSZ_IS14_E10value_typeET4_jRbjT5_S1A_jjP12ihipStream_tbEUljE_EEESV_SW_SX_S14_S18_S1A_T6_T7_T9_mT8_S1C_bDpT10_ENKUlT_T0_E_clISt17integral_constantIbLb0EES1O_IbLb1EEEEDaS1K_S1L_EUlS1K_E_NS1_11comp_targetILNS1_3genE2ELNS1_11target_archE906ELNS1_3gpuE6ELNS1_3repE0EEENS1_30default_config_static_selectorELNS0_4arch9wavefront6targetE0EEEvSY_,@function
_ZN7rocprim17ROCPRIM_400000_NS6detail17trampoline_kernelINS0_13select_configILj256ELj13ELNS0_17block_load_methodE3ELS4_3ELS4_3ELNS0_20block_scan_algorithmE0ELj4294967295EEENS1_25partition_config_selectorILNS1_17partition_subalgoE3EjNS0_10empty_typeEbEEZZNS1_14partition_implILS8_3ELb0ES6_jNS0_17counting_iteratorIjlEEPS9_SE_NS0_5tupleIJPjSE_EEENSF_IJSE_SE_EEES9_SG_JZNS1_25segmented_radix_sort_implINS0_14default_configELb1EPKfPfPKlPlN2at6native12_GLOBAL__N_18offset_tEEE10hipError_tPvRmT1_PNSt15iterator_traitsISY_E10value_typeET2_T3_PNSZ_IS14_E10value_typeET4_jRbjT5_S1A_jjP12ihipStream_tbEUljE_EEESV_SW_SX_S14_S18_S1A_T6_T7_T9_mT8_S1C_bDpT10_ENKUlT_T0_E_clISt17integral_constantIbLb0EES1O_IbLb1EEEEDaS1K_S1L_EUlS1K_E_NS1_11comp_targetILNS1_3genE2ELNS1_11target_archE906ELNS1_3gpuE6ELNS1_3repE0EEENS1_30default_config_static_selectorELNS0_4arch9wavefront6targetE0EEEvSY_: ; @_ZN7rocprim17ROCPRIM_400000_NS6detail17trampoline_kernelINS0_13select_configILj256ELj13ELNS0_17block_load_methodE3ELS4_3ELS4_3ELNS0_20block_scan_algorithmE0ELj4294967295EEENS1_25partition_config_selectorILNS1_17partition_subalgoE3EjNS0_10empty_typeEbEEZZNS1_14partition_implILS8_3ELb0ES6_jNS0_17counting_iteratorIjlEEPS9_SE_NS0_5tupleIJPjSE_EEENSF_IJSE_SE_EEES9_SG_JZNS1_25segmented_radix_sort_implINS0_14default_configELb1EPKfPfPKlPlN2at6native12_GLOBAL__N_18offset_tEEE10hipError_tPvRmT1_PNSt15iterator_traitsISY_E10value_typeET2_T3_PNSZ_IS14_E10value_typeET4_jRbjT5_S1A_jjP12ihipStream_tbEUljE_EEESV_SW_SX_S14_S18_S1A_T6_T7_T9_mT8_S1C_bDpT10_ENKUlT_T0_E_clISt17integral_constantIbLb0EES1O_IbLb1EEEEDaS1K_S1L_EUlS1K_E_NS1_11comp_targetILNS1_3genE2ELNS1_11target_archE906ELNS1_3gpuE6ELNS1_3repE0EEENS1_30default_config_static_selectorELNS0_4arch9wavefront6targetE0EEEvSY_
; %bb.0:
	.section	.rodata,"a",@progbits
	.p2align	6, 0x0
	.amdhsa_kernel _ZN7rocprim17ROCPRIM_400000_NS6detail17trampoline_kernelINS0_13select_configILj256ELj13ELNS0_17block_load_methodE3ELS4_3ELS4_3ELNS0_20block_scan_algorithmE0ELj4294967295EEENS1_25partition_config_selectorILNS1_17partition_subalgoE3EjNS0_10empty_typeEbEEZZNS1_14partition_implILS8_3ELb0ES6_jNS0_17counting_iteratorIjlEEPS9_SE_NS0_5tupleIJPjSE_EEENSF_IJSE_SE_EEES9_SG_JZNS1_25segmented_radix_sort_implINS0_14default_configELb1EPKfPfPKlPlN2at6native12_GLOBAL__N_18offset_tEEE10hipError_tPvRmT1_PNSt15iterator_traitsISY_E10value_typeET2_T3_PNSZ_IS14_E10value_typeET4_jRbjT5_S1A_jjP12ihipStream_tbEUljE_EEESV_SW_SX_S14_S18_S1A_T6_T7_T9_mT8_S1C_bDpT10_ENKUlT_T0_E_clISt17integral_constantIbLb0EES1O_IbLb1EEEEDaS1K_S1L_EUlS1K_E_NS1_11comp_targetILNS1_3genE2ELNS1_11target_archE906ELNS1_3gpuE6ELNS1_3repE0EEENS1_30default_config_static_selectorELNS0_4arch9wavefront6targetE0EEEvSY_
		.amdhsa_group_segment_fixed_size 0
		.amdhsa_private_segment_fixed_size 0
		.amdhsa_kernarg_size 152
		.amdhsa_user_sgpr_count 2
		.amdhsa_user_sgpr_dispatch_ptr 0
		.amdhsa_user_sgpr_queue_ptr 0
		.amdhsa_user_sgpr_kernarg_segment_ptr 1
		.amdhsa_user_sgpr_dispatch_id 0
		.amdhsa_user_sgpr_private_segment_size 0
		.amdhsa_wavefront_size32 1
		.amdhsa_uses_dynamic_stack 0
		.amdhsa_enable_private_segment 0
		.amdhsa_system_sgpr_workgroup_id_x 1
		.amdhsa_system_sgpr_workgroup_id_y 0
		.amdhsa_system_sgpr_workgroup_id_z 0
		.amdhsa_system_sgpr_workgroup_info 0
		.amdhsa_system_vgpr_workitem_id 0
		.amdhsa_next_free_vgpr 1
		.amdhsa_next_free_sgpr 1
		.amdhsa_reserve_vcc 0
		.amdhsa_float_round_mode_32 0
		.amdhsa_float_round_mode_16_64 0
		.amdhsa_float_denorm_mode_32 3
		.amdhsa_float_denorm_mode_16_64 3
		.amdhsa_fp16_overflow 0
		.amdhsa_workgroup_processor_mode 1
		.amdhsa_memory_ordered 1
		.amdhsa_forward_progress 1
		.amdhsa_inst_pref_size 0
		.amdhsa_round_robin_scheduling 0
		.amdhsa_exception_fp_ieee_invalid_op 0
		.amdhsa_exception_fp_denorm_src 0
		.amdhsa_exception_fp_ieee_div_zero 0
		.amdhsa_exception_fp_ieee_overflow 0
		.amdhsa_exception_fp_ieee_underflow 0
		.amdhsa_exception_fp_ieee_inexact 0
		.amdhsa_exception_int_div_zero 0
	.end_amdhsa_kernel
	.section	.text._ZN7rocprim17ROCPRIM_400000_NS6detail17trampoline_kernelINS0_13select_configILj256ELj13ELNS0_17block_load_methodE3ELS4_3ELS4_3ELNS0_20block_scan_algorithmE0ELj4294967295EEENS1_25partition_config_selectorILNS1_17partition_subalgoE3EjNS0_10empty_typeEbEEZZNS1_14partition_implILS8_3ELb0ES6_jNS0_17counting_iteratorIjlEEPS9_SE_NS0_5tupleIJPjSE_EEENSF_IJSE_SE_EEES9_SG_JZNS1_25segmented_radix_sort_implINS0_14default_configELb1EPKfPfPKlPlN2at6native12_GLOBAL__N_18offset_tEEE10hipError_tPvRmT1_PNSt15iterator_traitsISY_E10value_typeET2_T3_PNSZ_IS14_E10value_typeET4_jRbjT5_S1A_jjP12ihipStream_tbEUljE_EEESV_SW_SX_S14_S18_S1A_T6_T7_T9_mT8_S1C_bDpT10_ENKUlT_T0_E_clISt17integral_constantIbLb0EES1O_IbLb1EEEEDaS1K_S1L_EUlS1K_E_NS1_11comp_targetILNS1_3genE2ELNS1_11target_archE906ELNS1_3gpuE6ELNS1_3repE0EEENS1_30default_config_static_selectorELNS0_4arch9wavefront6targetE0EEEvSY_,"axG",@progbits,_ZN7rocprim17ROCPRIM_400000_NS6detail17trampoline_kernelINS0_13select_configILj256ELj13ELNS0_17block_load_methodE3ELS4_3ELS4_3ELNS0_20block_scan_algorithmE0ELj4294967295EEENS1_25partition_config_selectorILNS1_17partition_subalgoE3EjNS0_10empty_typeEbEEZZNS1_14partition_implILS8_3ELb0ES6_jNS0_17counting_iteratorIjlEEPS9_SE_NS0_5tupleIJPjSE_EEENSF_IJSE_SE_EEES9_SG_JZNS1_25segmented_radix_sort_implINS0_14default_configELb1EPKfPfPKlPlN2at6native12_GLOBAL__N_18offset_tEEE10hipError_tPvRmT1_PNSt15iterator_traitsISY_E10value_typeET2_T3_PNSZ_IS14_E10value_typeET4_jRbjT5_S1A_jjP12ihipStream_tbEUljE_EEESV_SW_SX_S14_S18_S1A_T6_T7_T9_mT8_S1C_bDpT10_ENKUlT_T0_E_clISt17integral_constantIbLb0EES1O_IbLb1EEEEDaS1K_S1L_EUlS1K_E_NS1_11comp_targetILNS1_3genE2ELNS1_11target_archE906ELNS1_3gpuE6ELNS1_3repE0EEENS1_30default_config_static_selectorELNS0_4arch9wavefront6targetE0EEEvSY_,comdat
.Lfunc_end1321:
	.size	_ZN7rocprim17ROCPRIM_400000_NS6detail17trampoline_kernelINS0_13select_configILj256ELj13ELNS0_17block_load_methodE3ELS4_3ELS4_3ELNS0_20block_scan_algorithmE0ELj4294967295EEENS1_25partition_config_selectorILNS1_17partition_subalgoE3EjNS0_10empty_typeEbEEZZNS1_14partition_implILS8_3ELb0ES6_jNS0_17counting_iteratorIjlEEPS9_SE_NS0_5tupleIJPjSE_EEENSF_IJSE_SE_EEES9_SG_JZNS1_25segmented_radix_sort_implINS0_14default_configELb1EPKfPfPKlPlN2at6native12_GLOBAL__N_18offset_tEEE10hipError_tPvRmT1_PNSt15iterator_traitsISY_E10value_typeET2_T3_PNSZ_IS14_E10value_typeET4_jRbjT5_S1A_jjP12ihipStream_tbEUljE_EEESV_SW_SX_S14_S18_S1A_T6_T7_T9_mT8_S1C_bDpT10_ENKUlT_T0_E_clISt17integral_constantIbLb0EES1O_IbLb1EEEEDaS1K_S1L_EUlS1K_E_NS1_11comp_targetILNS1_3genE2ELNS1_11target_archE906ELNS1_3gpuE6ELNS1_3repE0EEENS1_30default_config_static_selectorELNS0_4arch9wavefront6targetE0EEEvSY_, .Lfunc_end1321-_ZN7rocprim17ROCPRIM_400000_NS6detail17trampoline_kernelINS0_13select_configILj256ELj13ELNS0_17block_load_methodE3ELS4_3ELS4_3ELNS0_20block_scan_algorithmE0ELj4294967295EEENS1_25partition_config_selectorILNS1_17partition_subalgoE3EjNS0_10empty_typeEbEEZZNS1_14partition_implILS8_3ELb0ES6_jNS0_17counting_iteratorIjlEEPS9_SE_NS0_5tupleIJPjSE_EEENSF_IJSE_SE_EEES9_SG_JZNS1_25segmented_radix_sort_implINS0_14default_configELb1EPKfPfPKlPlN2at6native12_GLOBAL__N_18offset_tEEE10hipError_tPvRmT1_PNSt15iterator_traitsISY_E10value_typeET2_T3_PNSZ_IS14_E10value_typeET4_jRbjT5_S1A_jjP12ihipStream_tbEUljE_EEESV_SW_SX_S14_S18_S1A_T6_T7_T9_mT8_S1C_bDpT10_ENKUlT_T0_E_clISt17integral_constantIbLb0EES1O_IbLb1EEEEDaS1K_S1L_EUlS1K_E_NS1_11comp_targetILNS1_3genE2ELNS1_11target_archE906ELNS1_3gpuE6ELNS1_3repE0EEENS1_30default_config_static_selectorELNS0_4arch9wavefront6targetE0EEEvSY_
                                        ; -- End function
	.set _ZN7rocprim17ROCPRIM_400000_NS6detail17trampoline_kernelINS0_13select_configILj256ELj13ELNS0_17block_load_methodE3ELS4_3ELS4_3ELNS0_20block_scan_algorithmE0ELj4294967295EEENS1_25partition_config_selectorILNS1_17partition_subalgoE3EjNS0_10empty_typeEbEEZZNS1_14partition_implILS8_3ELb0ES6_jNS0_17counting_iteratorIjlEEPS9_SE_NS0_5tupleIJPjSE_EEENSF_IJSE_SE_EEES9_SG_JZNS1_25segmented_radix_sort_implINS0_14default_configELb1EPKfPfPKlPlN2at6native12_GLOBAL__N_18offset_tEEE10hipError_tPvRmT1_PNSt15iterator_traitsISY_E10value_typeET2_T3_PNSZ_IS14_E10value_typeET4_jRbjT5_S1A_jjP12ihipStream_tbEUljE_EEESV_SW_SX_S14_S18_S1A_T6_T7_T9_mT8_S1C_bDpT10_ENKUlT_T0_E_clISt17integral_constantIbLb0EES1O_IbLb1EEEEDaS1K_S1L_EUlS1K_E_NS1_11comp_targetILNS1_3genE2ELNS1_11target_archE906ELNS1_3gpuE6ELNS1_3repE0EEENS1_30default_config_static_selectorELNS0_4arch9wavefront6targetE0EEEvSY_.num_vgpr, 0
	.set _ZN7rocprim17ROCPRIM_400000_NS6detail17trampoline_kernelINS0_13select_configILj256ELj13ELNS0_17block_load_methodE3ELS4_3ELS4_3ELNS0_20block_scan_algorithmE0ELj4294967295EEENS1_25partition_config_selectorILNS1_17partition_subalgoE3EjNS0_10empty_typeEbEEZZNS1_14partition_implILS8_3ELb0ES6_jNS0_17counting_iteratorIjlEEPS9_SE_NS0_5tupleIJPjSE_EEENSF_IJSE_SE_EEES9_SG_JZNS1_25segmented_radix_sort_implINS0_14default_configELb1EPKfPfPKlPlN2at6native12_GLOBAL__N_18offset_tEEE10hipError_tPvRmT1_PNSt15iterator_traitsISY_E10value_typeET2_T3_PNSZ_IS14_E10value_typeET4_jRbjT5_S1A_jjP12ihipStream_tbEUljE_EEESV_SW_SX_S14_S18_S1A_T6_T7_T9_mT8_S1C_bDpT10_ENKUlT_T0_E_clISt17integral_constantIbLb0EES1O_IbLb1EEEEDaS1K_S1L_EUlS1K_E_NS1_11comp_targetILNS1_3genE2ELNS1_11target_archE906ELNS1_3gpuE6ELNS1_3repE0EEENS1_30default_config_static_selectorELNS0_4arch9wavefront6targetE0EEEvSY_.num_agpr, 0
	.set _ZN7rocprim17ROCPRIM_400000_NS6detail17trampoline_kernelINS0_13select_configILj256ELj13ELNS0_17block_load_methodE3ELS4_3ELS4_3ELNS0_20block_scan_algorithmE0ELj4294967295EEENS1_25partition_config_selectorILNS1_17partition_subalgoE3EjNS0_10empty_typeEbEEZZNS1_14partition_implILS8_3ELb0ES6_jNS0_17counting_iteratorIjlEEPS9_SE_NS0_5tupleIJPjSE_EEENSF_IJSE_SE_EEES9_SG_JZNS1_25segmented_radix_sort_implINS0_14default_configELb1EPKfPfPKlPlN2at6native12_GLOBAL__N_18offset_tEEE10hipError_tPvRmT1_PNSt15iterator_traitsISY_E10value_typeET2_T3_PNSZ_IS14_E10value_typeET4_jRbjT5_S1A_jjP12ihipStream_tbEUljE_EEESV_SW_SX_S14_S18_S1A_T6_T7_T9_mT8_S1C_bDpT10_ENKUlT_T0_E_clISt17integral_constantIbLb0EES1O_IbLb1EEEEDaS1K_S1L_EUlS1K_E_NS1_11comp_targetILNS1_3genE2ELNS1_11target_archE906ELNS1_3gpuE6ELNS1_3repE0EEENS1_30default_config_static_selectorELNS0_4arch9wavefront6targetE0EEEvSY_.numbered_sgpr, 0
	.set _ZN7rocprim17ROCPRIM_400000_NS6detail17trampoline_kernelINS0_13select_configILj256ELj13ELNS0_17block_load_methodE3ELS4_3ELS4_3ELNS0_20block_scan_algorithmE0ELj4294967295EEENS1_25partition_config_selectorILNS1_17partition_subalgoE3EjNS0_10empty_typeEbEEZZNS1_14partition_implILS8_3ELb0ES6_jNS0_17counting_iteratorIjlEEPS9_SE_NS0_5tupleIJPjSE_EEENSF_IJSE_SE_EEES9_SG_JZNS1_25segmented_radix_sort_implINS0_14default_configELb1EPKfPfPKlPlN2at6native12_GLOBAL__N_18offset_tEEE10hipError_tPvRmT1_PNSt15iterator_traitsISY_E10value_typeET2_T3_PNSZ_IS14_E10value_typeET4_jRbjT5_S1A_jjP12ihipStream_tbEUljE_EEESV_SW_SX_S14_S18_S1A_T6_T7_T9_mT8_S1C_bDpT10_ENKUlT_T0_E_clISt17integral_constantIbLb0EES1O_IbLb1EEEEDaS1K_S1L_EUlS1K_E_NS1_11comp_targetILNS1_3genE2ELNS1_11target_archE906ELNS1_3gpuE6ELNS1_3repE0EEENS1_30default_config_static_selectorELNS0_4arch9wavefront6targetE0EEEvSY_.num_named_barrier, 0
	.set _ZN7rocprim17ROCPRIM_400000_NS6detail17trampoline_kernelINS0_13select_configILj256ELj13ELNS0_17block_load_methodE3ELS4_3ELS4_3ELNS0_20block_scan_algorithmE0ELj4294967295EEENS1_25partition_config_selectorILNS1_17partition_subalgoE3EjNS0_10empty_typeEbEEZZNS1_14partition_implILS8_3ELb0ES6_jNS0_17counting_iteratorIjlEEPS9_SE_NS0_5tupleIJPjSE_EEENSF_IJSE_SE_EEES9_SG_JZNS1_25segmented_radix_sort_implINS0_14default_configELb1EPKfPfPKlPlN2at6native12_GLOBAL__N_18offset_tEEE10hipError_tPvRmT1_PNSt15iterator_traitsISY_E10value_typeET2_T3_PNSZ_IS14_E10value_typeET4_jRbjT5_S1A_jjP12ihipStream_tbEUljE_EEESV_SW_SX_S14_S18_S1A_T6_T7_T9_mT8_S1C_bDpT10_ENKUlT_T0_E_clISt17integral_constantIbLb0EES1O_IbLb1EEEEDaS1K_S1L_EUlS1K_E_NS1_11comp_targetILNS1_3genE2ELNS1_11target_archE906ELNS1_3gpuE6ELNS1_3repE0EEENS1_30default_config_static_selectorELNS0_4arch9wavefront6targetE0EEEvSY_.private_seg_size, 0
	.set _ZN7rocprim17ROCPRIM_400000_NS6detail17trampoline_kernelINS0_13select_configILj256ELj13ELNS0_17block_load_methodE3ELS4_3ELS4_3ELNS0_20block_scan_algorithmE0ELj4294967295EEENS1_25partition_config_selectorILNS1_17partition_subalgoE3EjNS0_10empty_typeEbEEZZNS1_14partition_implILS8_3ELb0ES6_jNS0_17counting_iteratorIjlEEPS9_SE_NS0_5tupleIJPjSE_EEENSF_IJSE_SE_EEES9_SG_JZNS1_25segmented_radix_sort_implINS0_14default_configELb1EPKfPfPKlPlN2at6native12_GLOBAL__N_18offset_tEEE10hipError_tPvRmT1_PNSt15iterator_traitsISY_E10value_typeET2_T3_PNSZ_IS14_E10value_typeET4_jRbjT5_S1A_jjP12ihipStream_tbEUljE_EEESV_SW_SX_S14_S18_S1A_T6_T7_T9_mT8_S1C_bDpT10_ENKUlT_T0_E_clISt17integral_constantIbLb0EES1O_IbLb1EEEEDaS1K_S1L_EUlS1K_E_NS1_11comp_targetILNS1_3genE2ELNS1_11target_archE906ELNS1_3gpuE6ELNS1_3repE0EEENS1_30default_config_static_selectorELNS0_4arch9wavefront6targetE0EEEvSY_.uses_vcc, 0
	.set _ZN7rocprim17ROCPRIM_400000_NS6detail17trampoline_kernelINS0_13select_configILj256ELj13ELNS0_17block_load_methodE3ELS4_3ELS4_3ELNS0_20block_scan_algorithmE0ELj4294967295EEENS1_25partition_config_selectorILNS1_17partition_subalgoE3EjNS0_10empty_typeEbEEZZNS1_14partition_implILS8_3ELb0ES6_jNS0_17counting_iteratorIjlEEPS9_SE_NS0_5tupleIJPjSE_EEENSF_IJSE_SE_EEES9_SG_JZNS1_25segmented_radix_sort_implINS0_14default_configELb1EPKfPfPKlPlN2at6native12_GLOBAL__N_18offset_tEEE10hipError_tPvRmT1_PNSt15iterator_traitsISY_E10value_typeET2_T3_PNSZ_IS14_E10value_typeET4_jRbjT5_S1A_jjP12ihipStream_tbEUljE_EEESV_SW_SX_S14_S18_S1A_T6_T7_T9_mT8_S1C_bDpT10_ENKUlT_T0_E_clISt17integral_constantIbLb0EES1O_IbLb1EEEEDaS1K_S1L_EUlS1K_E_NS1_11comp_targetILNS1_3genE2ELNS1_11target_archE906ELNS1_3gpuE6ELNS1_3repE0EEENS1_30default_config_static_selectorELNS0_4arch9wavefront6targetE0EEEvSY_.uses_flat_scratch, 0
	.set _ZN7rocprim17ROCPRIM_400000_NS6detail17trampoline_kernelINS0_13select_configILj256ELj13ELNS0_17block_load_methodE3ELS4_3ELS4_3ELNS0_20block_scan_algorithmE0ELj4294967295EEENS1_25partition_config_selectorILNS1_17partition_subalgoE3EjNS0_10empty_typeEbEEZZNS1_14partition_implILS8_3ELb0ES6_jNS0_17counting_iteratorIjlEEPS9_SE_NS0_5tupleIJPjSE_EEENSF_IJSE_SE_EEES9_SG_JZNS1_25segmented_radix_sort_implINS0_14default_configELb1EPKfPfPKlPlN2at6native12_GLOBAL__N_18offset_tEEE10hipError_tPvRmT1_PNSt15iterator_traitsISY_E10value_typeET2_T3_PNSZ_IS14_E10value_typeET4_jRbjT5_S1A_jjP12ihipStream_tbEUljE_EEESV_SW_SX_S14_S18_S1A_T6_T7_T9_mT8_S1C_bDpT10_ENKUlT_T0_E_clISt17integral_constantIbLb0EES1O_IbLb1EEEEDaS1K_S1L_EUlS1K_E_NS1_11comp_targetILNS1_3genE2ELNS1_11target_archE906ELNS1_3gpuE6ELNS1_3repE0EEENS1_30default_config_static_selectorELNS0_4arch9wavefront6targetE0EEEvSY_.has_dyn_sized_stack, 0
	.set _ZN7rocprim17ROCPRIM_400000_NS6detail17trampoline_kernelINS0_13select_configILj256ELj13ELNS0_17block_load_methodE3ELS4_3ELS4_3ELNS0_20block_scan_algorithmE0ELj4294967295EEENS1_25partition_config_selectorILNS1_17partition_subalgoE3EjNS0_10empty_typeEbEEZZNS1_14partition_implILS8_3ELb0ES6_jNS0_17counting_iteratorIjlEEPS9_SE_NS0_5tupleIJPjSE_EEENSF_IJSE_SE_EEES9_SG_JZNS1_25segmented_radix_sort_implINS0_14default_configELb1EPKfPfPKlPlN2at6native12_GLOBAL__N_18offset_tEEE10hipError_tPvRmT1_PNSt15iterator_traitsISY_E10value_typeET2_T3_PNSZ_IS14_E10value_typeET4_jRbjT5_S1A_jjP12ihipStream_tbEUljE_EEESV_SW_SX_S14_S18_S1A_T6_T7_T9_mT8_S1C_bDpT10_ENKUlT_T0_E_clISt17integral_constantIbLb0EES1O_IbLb1EEEEDaS1K_S1L_EUlS1K_E_NS1_11comp_targetILNS1_3genE2ELNS1_11target_archE906ELNS1_3gpuE6ELNS1_3repE0EEENS1_30default_config_static_selectorELNS0_4arch9wavefront6targetE0EEEvSY_.has_recursion, 0
	.set _ZN7rocprim17ROCPRIM_400000_NS6detail17trampoline_kernelINS0_13select_configILj256ELj13ELNS0_17block_load_methodE3ELS4_3ELS4_3ELNS0_20block_scan_algorithmE0ELj4294967295EEENS1_25partition_config_selectorILNS1_17partition_subalgoE3EjNS0_10empty_typeEbEEZZNS1_14partition_implILS8_3ELb0ES6_jNS0_17counting_iteratorIjlEEPS9_SE_NS0_5tupleIJPjSE_EEENSF_IJSE_SE_EEES9_SG_JZNS1_25segmented_radix_sort_implINS0_14default_configELb1EPKfPfPKlPlN2at6native12_GLOBAL__N_18offset_tEEE10hipError_tPvRmT1_PNSt15iterator_traitsISY_E10value_typeET2_T3_PNSZ_IS14_E10value_typeET4_jRbjT5_S1A_jjP12ihipStream_tbEUljE_EEESV_SW_SX_S14_S18_S1A_T6_T7_T9_mT8_S1C_bDpT10_ENKUlT_T0_E_clISt17integral_constantIbLb0EES1O_IbLb1EEEEDaS1K_S1L_EUlS1K_E_NS1_11comp_targetILNS1_3genE2ELNS1_11target_archE906ELNS1_3gpuE6ELNS1_3repE0EEENS1_30default_config_static_selectorELNS0_4arch9wavefront6targetE0EEEvSY_.has_indirect_call, 0
	.section	.AMDGPU.csdata,"",@progbits
; Kernel info:
; codeLenInByte = 0
; TotalNumSgprs: 0
; NumVgprs: 0
; ScratchSize: 0
; MemoryBound: 0
; FloatMode: 240
; IeeeMode: 1
; LDSByteSize: 0 bytes/workgroup (compile time only)
; SGPRBlocks: 0
; VGPRBlocks: 0
; NumSGPRsForWavesPerEU: 1
; NumVGPRsForWavesPerEU: 1
; Occupancy: 16
; WaveLimiterHint : 0
; COMPUTE_PGM_RSRC2:SCRATCH_EN: 0
; COMPUTE_PGM_RSRC2:USER_SGPR: 2
; COMPUTE_PGM_RSRC2:TRAP_HANDLER: 0
; COMPUTE_PGM_RSRC2:TGID_X_EN: 1
; COMPUTE_PGM_RSRC2:TGID_Y_EN: 0
; COMPUTE_PGM_RSRC2:TGID_Z_EN: 0
; COMPUTE_PGM_RSRC2:TIDIG_COMP_CNT: 0
	.section	.text._ZN7rocprim17ROCPRIM_400000_NS6detail17trampoline_kernelINS0_13select_configILj256ELj13ELNS0_17block_load_methodE3ELS4_3ELS4_3ELNS0_20block_scan_algorithmE0ELj4294967295EEENS1_25partition_config_selectorILNS1_17partition_subalgoE3EjNS0_10empty_typeEbEEZZNS1_14partition_implILS8_3ELb0ES6_jNS0_17counting_iteratorIjlEEPS9_SE_NS0_5tupleIJPjSE_EEENSF_IJSE_SE_EEES9_SG_JZNS1_25segmented_radix_sort_implINS0_14default_configELb1EPKfPfPKlPlN2at6native12_GLOBAL__N_18offset_tEEE10hipError_tPvRmT1_PNSt15iterator_traitsISY_E10value_typeET2_T3_PNSZ_IS14_E10value_typeET4_jRbjT5_S1A_jjP12ihipStream_tbEUljE_EEESV_SW_SX_S14_S18_S1A_T6_T7_T9_mT8_S1C_bDpT10_ENKUlT_T0_E_clISt17integral_constantIbLb0EES1O_IbLb1EEEEDaS1K_S1L_EUlS1K_E_NS1_11comp_targetILNS1_3genE10ELNS1_11target_archE1200ELNS1_3gpuE4ELNS1_3repE0EEENS1_30default_config_static_selectorELNS0_4arch9wavefront6targetE0EEEvSY_,"axG",@progbits,_ZN7rocprim17ROCPRIM_400000_NS6detail17trampoline_kernelINS0_13select_configILj256ELj13ELNS0_17block_load_methodE3ELS4_3ELS4_3ELNS0_20block_scan_algorithmE0ELj4294967295EEENS1_25partition_config_selectorILNS1_17partition_subalgoE3EjNS0_10empty_typeEbEEZZNS1_14partition_implILS8_3ELb0ES6_jNS0_17counting_iteratorIjlEEPS9_SE_NS0_5tupleIJPjSE_EEENSF_IJSE_SE_EEES9_SG_JZNS1_25segmented_radix_sort_implINS0_14default_configELb1EPKfPfPKlPlN2at6native12_GLOBAL__N_18offset_tEEE10hipError_tPvRmT1_PNSt15iterator_traitsISY_E10value_typeET2_T3_PNSZ_IS14_E10value_typeET4_jRbjT5_S1A_jjP12ihipStream_tbEUljE_EEESV_SW_SX_S14_S18_S1A_T6_T7_T9_mT8_S1C_bDpT10_ENKUlT_T0_E_clISt17integral_constantIbLb0EES1O_IbLb1EEEEDaS1K_S1L_EUlS1K_E_NS1_11comp_targetILNS1_3genE10ELNS1_11target_archE1200ELNS1_3gpuE4ELNS1_3repE0EEENS1_30default_config_static_selectorELNS0_4arch9wavefront6targetE0EEEvSY_,comdat
	.globl	_ZN7rocprim17ROCPRIM_400000_NS6detail17trampoline_kernelINS0_13select_configILj256ELj13ELNS0_17block_load_methodE3ELS4_3ELS4_3ELNS0_20block_scan_algorithmE0ELj4294967295EEENS1_25partition_config_selectorILNS1_17partition_subalgoE3EjNS0_10empty_typeEbEEZZNS1_14partition_implILS8_3ELb0ES6_jNS0_17counting_iteratorIjlEEPS9_SE_NS0_5tupleIJPjSE_EEENSF_IJSE_SE_EEES9_SG_JZNS1_25segmented_radix_sort_implINS0_14default_configELb1EPKfPfPKlPlN2at6native12_GLOBAL__N_18offset_tEEE10hipError_tPvRmT1_PNSt15iterator_traitsISY_E10value_typeET2_T3_PNSZ_IS14_E10value_typeET4_jRbjT5_S1A_jjP12ihipStream_tbEUljE_EEESV_SW_SX_S14_S18_S1A_T6_T7_T9_mT8_S1C_bDpT10_ENKUlT_T0_E_clISt17integral_constantIbLb0EES1O_IbLb1EEEEDaS1K_S1L_EUlS1K_E_NS1_11comp_targetILNS1_3genE10ELNS1_11target_archE1200ELNS1_3gpuE4ELNS1_3repE0EEENS1_30default_config_static_selectorELNS0_4arch9wavefront6targetE0EEEvSY_ ; -- Begin function _ZN7rocprim17ROCPRIM_400000_NS6detail17trampoline_kernelINS0_13select_configILj256ELj13ELNS0_17block_load_methodE3ELS4_3ELS4_3ELNS0_20block_scan_algorithmE0ELj4294967295EEENS1_25partition_config_selectorILNS1_17partition_subalgoE3EjNS0_10empty_typeEbEEZZNS1_14partition_implILS8_3ELb0ES6_jNS0_17counting_iteratorIjlEEPS9_SE_NS0_5tupleIJPjSE_EEENSF_IJSE_SE_EEES9_SG_JZNS1_25segmented_radix_sort_implINS0_14default_configELb1EPKfPfPKlPlN2at6native12_GLOBAL__N_18offset_tEEE10hipError_tPvRmT1_PNSt15iterator_traitsISY_E10value_typeET2_T3_PNSZ_IS14_E10value_typeET4_jRbjT5_S1A_jjP12ihipStream_tbEUljE_EEESV_SW_SX_S14_S18_S1A_T6_T7_T9_mT8_S1C_bDpT10_ENKUlT_T0_E_clISt17integral_constantIbLb0EES1O_IbLb1EEEEDaS1K_S1L_EUlS1K_E_NS1_11comp_targetILNS1_3genE10ELNS1_11target_archE1200ELNS1_3gpuE4ELNS1_3repE0EEENS1_30default_config_static_selectorELNS0_4arch9wavefront6targetE0EEEvSY_
	.p2align	8
	.type	_ZN7rocprim17ROCPRIM_400000_NS6detail17trampoline_kernelINS0_13select_configILj256ELj13ELNS0_17block_load_methodE3ELS4_3ELS4_3ELNS0_20block_scan_algorithmE0ELj4294967295EEENS1_25partition_config_selectorILNS1_17partition_subalgoE3EjNS0_10empty_typeEbEEZZNS1_14partition_implILS8_3ELb0ES6_jNS0_17counting_iteratorIjlEEPS9_SE_NS0_5tupleIJPjSE_EEENSF_IJSE_SE_EEES9_SG_JZNS1_25segmented_radix_sort_implINS0_14default_configELb1EPKfPfPKlPlN2at6native12_GLOBAL__N_18offset_tEEE10hipError_tPvRmT1_PNSt15iterator_traitsISY_E10value_typeET2_T3_PNSZ_IS14_E10value_typeET4_jRbjT5_S1A_jjP12ihipStream_tbEUljE_EEESV_SW_SX_S14_S18_S1A_T6_T7_T9_mT8_S1C_bDpT10_ENKUlT_T0_E_clISt17integral_constantIbLb0EES1O_IbLb1EEEEDaS1K_S1L_EUlS1K_E_NS1_11comp_targetILNS1_3genE10ELNS1_11target_archE1200ELNS1_3gpuE4ELNS1_3repE0EEENS1_30default_config_static_selectorELNS0_4arch9wavefront6targetE0EEEvSY_,@function
_ZN7rocprim17ROCPRIM_400000_NS6detail17trampoline_kernelINS0_13select_configILj256ELj13ELNS0_17block_load_methodE3ELS4_3ELS4_3ELNS0_20block_scan_algorithmE0ELj4294967295EEENS1_25partition_config_selectorILNS1_17partition_subalgoE3EjNS0_10empty_typeEbEEZZNS1_14partition_implILS8_3ELb0ES6_jNS0_17counting_iteratorIjlEEPS9_SE_NS0_5tupleIJPjSE_EEENSF_IJSE_SE_EEES9_SG_JZNS1_25segmented_radix_sort_implINS0_14default_configELb1EPKfPfPKlPlN2at6native12_GLOBAL__N_18offset_tEEE10hipError_tPvRmT1_PNSt15iterator_traitsISY_E10value_typeET2_T3_PNSZ_IS14_E10value_typeET4_jRbjT5_S1A_jjP12ihipStream_tbEUljE_EEESV_SW_SX_S14_S18_S1A_T6_T7_T9_mT8_S1C_bDpT10_ENKUlT_T0_E_clISt17integral_constantIbLb0EES1O_IbLb1EEEEDaS1K_S1L_EUlS1K_E_NS1_11comp_targetILNS1_3genE10ELNS1_11target_archE1200ELNS1_3gpuE4ELNS1_3repE0EEENS1_30default_config_static_selectorELNS0_4arch9wavefront6targetE0EEEvSY_: ; @_ZN7rocprim17ROCPRIM_400000_NS6detail17trampoline_kernelINS0_13select_configILj256ELj13ELNS0_17block_load_methodE3ELS4_3ELS4_3ELNS0_20block_scan_algorithmE0ELj4294967295EEENS1_25partition_config_selectorILNS1_17partition_subalgoE3EjNS0_10empty_typeEbEEZZNS1_14partition_implILS8_3ELb0ES6_jNS0_17counting_iteratorIjlEEPS9_SE_NS0_5tupleIJPjSE_EEENSF_IJSE_SE_EEES9_SG_JZNS1_25segmented_radix_sort_implINS0_14default_configELb1EPKfPfPKlPlN2at6native12_GLOBAL__N_18offset_tEEE10hipError_tPvRmT1_PNSt15iterator_traitsISY_E10value_typeET2_T3_PNSZ_IS14_E10value_typeET4_jRbjT5_S1A_jjP12ihipStream_tbEUljE_EEESV_SW_SX_S14_S18_S1A_T6_T7_T9_mT8_S1C_bDpT10_ENKUlT_T0_E_clISt17integral_constantIbLb0EES1O_IbLb1EEEEDaS1K_S1L_EUlS1K_E_NS1_11comp_targetILNS1_3genE10ELNS1_11target_archE1200ELNS1_3gpuE4ELNS1_3repE0EEENS1_30default_config_static_selectorELNS0_4arch9wavefront6targetE0EEEvSY_
; %bb.0:
	s_clause 0x6
	s_load_b64 s[16:17], s[0:1], 0x10
	s_load_b64 s[10:11], s[0:1], 0x28
	;; [unrolled: 1-line block ×3, first 2 shown]
	s_load_b128 s[12:15], s[0:1], 0x48
	s_load_b32 s3, s[0:1], 0x90
	s_load_b64 s[20:21], s[0:1], 0x68
	s_load_b128 s[4:7], s[0:1], 0x80
	v_cmp_eq_u32_e64 s2, 0, v0
	s_and_saveexec_b32 s8, s2
	s_cbranch_execz .LBB1322_4
; %bb.1:
	s_mov_b32 s22, exec_lo
	s_mov_b32 s9, exec_lo
	v_mbcnt_lo_u32_b32 v1, s22, 0
                                        ; implicit-def: $vgpr2
	s_delay_alu instid0(VALU_DEP_1)
	v_cmpx_eq_u32_e32 0, v1
	s_cbranch_execz .LBB1322_3
; %bb.2:
	s_load_b64 s[24:25], s[0:1], 0x78
	s_bcnt1_i32_b32 s22, s22
	s_wait_alu 0xfffe
	v_dual_mov_b32 v2, 0 :: v_dual_mov_b32 v3, s22
	s_wait_kmcnt 0x0
	global_atomic_add_u32 v2, v2, v3, s[24:25] th:TH_ATOMIC_RETURN scope:SCOPE_DEV
.LBB1322_3:
	s_or_b32 exec_lo, exec_lo, s9
	s_wait_loadcnt 0x0
	v_readfirstlane_b32 s9, v2
	s_delay_alu instid0(VALU_DEP_1)
	v_dual_mov_b32 v2, 0 :: v_dual_add_nc_u32 v1, s9, v1
	ds_store_b32 v2, v1
.LBB1322_4:
	s_or_b32 exec_lo, exec_lo, s8
	v_mov_b32_e32 v1, 0
	s_clause 0x1
	s_load_b32 s8, s[0:1], 0x8
	s_load_b32 s0, s[0:1], 0x70
	s_wait_dscnt 0x0
	s_barrier_signal -1
	s_barrier_wait -1
	global_inv scope:SCOPE_SE
	ds_load_b32 v2, v1
	s_wait_loadcnt_dscnt 0x0
	s_barrier_signal -1
	s_barrier_wait -1
	global_inv scope:SCOPE_SE
	s_wait_kmcnt 0x0
	global_load_b64 v[17:18], v1, s[14:15]
	s_mov_b32 s1, 0
	v_lshlrev_b32_e32 v45, 2, v0
	s_mov_b32 s23, -1
	s_add_co_i32 s8, s8, s16
	s_add_co_i32 s9, s0, -1
	s_mulk_i32 s0, 0xd00
	s_delay_alu instid0(SALU_CYCLE_1)
	s_add_co_i32 s14, s0, s16
	s_add_nc_u64 s[0:1], s[16:17], s[0:1]
	v_readfirstlane_b32 s15, v2
	v_cmp_gt_u64_e64 s0, s[18:19], s[0:1]
	s_sub_co_i32 s22, s18, s14
	s_wait_alu 0xfffe
	v_cmp_ne_u32_e32 vcc_lo, s9, v2
	s_addk_co_i32 s22, 0xd00
	s_cmp_eq_u32 s15, s9
	s_mul_i32 s14, s15, 0xd00
	s_cselect_b32 s9, -1, 0
	s_or_b32 s1, s0, vcc_lo
	s_wait_alu 0xfffe
	s_and_b32 vcc_lo, exec_lo, s1
	s_cbranch_vccz .LBB1322_6
; %bb.5:
	v_add3_u32 v1, s14, s8, v0
	s_mov_b32 s23, 0
	s_delay_alu instid0(VALU_DEP_1)
	v_add_nc_u32_e32 v2, 0x100, v1
	v_add_nc_u32_e32 v3, 0x200, v1
	;; [unrolled: 1-line block ×12, first 2 shown]
	ds_store_2addr_stride64_b32 v45, v1, v2 offset1:4
	ds_store_2addr_stride64_b32 v45, v3, v4 offset0:8 offset1:12
	ds_store_2addr_stride64_b32 v45, v5, v6 offset0:16 offset1:20
	;; [unrolled: 1-line block ×5, first 2 shown]
	ds_store_b32 v45, v13 offset:12288
	s_wait_loadcnt_dscnt 0x0
	s_barrier_signal -1
	s_barrier_wait -1
.LBB1322_6:
	v_cmp_gt_u32_e64 s0, s22, v0
	v_or_b32_e32 v44, 0x100, v0
	v_or_b32_e32 v43, 0x200, v0
	;; [unrolled: 1-line block ×12, first 2 shown]
	s_wait_alu 0xfffe
	s_and_not1_b32 vcc_lo, exec_lo, s23
	s_cbranch_vccnz .LBB1322_8
; %bb.7:
	s_add_co_i32 s8, s14, s8
	v_cmp_gt_u32_e32 vcc_lo, s22, v44
	s_wait_alu 0xfffe
	v_add_nc_u32_e32 v13, s8, v33
	v_add_nc_u32_e32 v12, s8, v34
	;; [unrolled: 1-line block ×12, first 2 shown]
	s_delay_alu instid0(VALU_DEP_1) | instskip(SKIP_1) | instid1(VALU_DEP_2)
	v_dual_cndmask_b32 v2, 0, v2 :: v_dual_add_nc_u32 v1, s8, v0
	v_cmp_gt_u32_e32 vcc_lo, s22, v43
	v_cndmask_b32_e64 v1, 0, v1, s0
	s_wait_alu 0xfffd
	v_cndmask_b32_e32 v3, 0, v3, vcc_lo
	v_cmp_gt_u32_e32 vcc_lo, s22, v42
	s_wait_alu 0xfffd
	v_cndmask_b32_e32 v4, 0, v4, vcc_lo
	v_cmp_gt_u32_e32 vcc_lo, s22, v41
	;; [unrolled: 3-line block ×10, first 2 shown]
	s_wait_alu 0xfffd
	v_cndmask_b32_e32 v13, 0, v13, vcc_lo
	ds_store_2addr_stride64_b32 v45, v1, v2 offset1:4
	ds_store_2addr_stride64_b32 v45, v3, v4 offset0:8 offset1:12
	ds_store_2addr_stride64_b32 v45, v5, v6 offset0:16 offset1:20
	ds_store_2addr_stride64_b32 v45, v7, v8 offset0:24 offset1:28
	ds_store_2addr_stride64_b32 v45, v9, v10 offset0:32 offset1:36
	ds_store_2addr_stride64_b32 v45, v11, v12 offset0:40 offset1:44
	ds_store_b32 v45, v13 offset:12288
	s_wait_loadcnt_dscnt 0x0
	s_barrier_signal -1
	s_barrier_wait -1
.LBB1322_8:
	v_mul_u32_u24_e32 v48, 13, v0
	s_wait_loadcnt 0x0
	global_inv scope:SCOPE_SE
	v_cndmask_b32_e64 v46, 0, 1, s1
	s_and_not1_b32 vcc_lo, exec_lo, s1
	v_lshlrev_b32_e32 v1, 2, v48
	ds_load_2addr_b32 v[29:30], v1 offset0:2 offset1:3
	ds_load_2addr_b32 v[25:26], v1 offset0:6 offset1:7
	;; [unrolled: 1-line block ×3, first 2 shown]
	ds_load_2addr_b32 v[31:32], v1 offset1:1
	ds_load_2addr_b32 v[21:22], v1 offset0:10 offset1:11
	ds_load_b32 v47, v1 offset:48
	ds_load_2addr_b32 v[23:24], v1 offset0:8 offset1:9
	s_wait_loadcnt_dscnt 0x0
	s_barrier_signal -1
	s_barrier_wait -1
	global_inv scope:SCOPE_SE
	s_wait_alu 0xfffe
	s_cbranch_vccnz .LBB1322_10
; %bb.9:
	v_add_nc_u32_e32 v1, s5, v30
	v_add_nc_u32_e32 v2, s7, v30
	;; [unrolled: 1-line block ×5, first 2 shown]
	v_mul_lo_u32 v1, v1, s4
	v_mul_lo_u32 v2, v2, s6
	v_add_nc_u32_e32 v8, s7, v29
	v_add_nc_u32_e32 v3, s5, v32
	v_add_nc_u32_e32 v6, s7, v32
	v_mul_lo_u32 v5, v5, s4
	v_mul_lo_u32 v4, v4, s4
	v_add_nc_u32_e32 v9, s5, v27
	v_mul_lo_u32 v3, v3, s4
	v_sub_nc_u32_e32 v1, v1, v2
	v_mul_lo_u32 v2, v7, s6
	v_mul_lo_u32 v7, v8, s6
	;; [unrolled: 1-line block ×3, first 2 shown]
	v_add_nc_u32_e32 v8, s5, v28
	v_add_nc_u32_e32 v10, s7, v27
	v_mul_lo_u32 v9, v9, s4
	v_cmp_lt_u32_e32 vcc_lo, s3, v1
	v_add_nc_u32_e32 v14, s7, v22
	v_sub_nc_u32_e32 v2, v4, v2
	v_sub_nc_u32_e32 v4, v5, v7
	v_add_nc_u32_e32 v5, s7, v28
	v_sub_nc_u32_e32 v3, v3, v6
	v_add_nc_u32_e32 v6, s5, v26
	v_add_nc_u32_e32 v7, s7, v26
	v_mul_lo_u32 v8, v8, s4
	v_mul_lo_u32 v5, v5, s6
	v_mul_lo_u32 v10, v10, s6
	v_mul_lo_u32 v6, v6, s4
	v_mul_lo_u32 v7, v7, s6
	s_wait_alu 0xfffd
	v_cndmask_b32_e64 v1, 0, 1, vcc_lo
	v_cmp_lt_u32_e32 vcc_lo, s3, v3
	v_mul_lo_u32 v14, v14, s6
	v_add_nc_u32_e32 v15, s7, v24
	v_sub_nc_u32_e32 v5, v8, v5
	v_add_nc_u32_e32 v8, s7, v25
	s_wait_alu 0xfffd
	v_cndmask_b32_e64 v3, 0, 1, vcc_lo
	v_sub_nc_u32_e32 v6, v6, v7
	v_mul_lo_u32 v15, v15, s6
	v_cmp_lt_u32_e32 vcc_lo, s3, v5
	v_mul_lo_u32 v7, v8, s6
	v_sub_nc_u32_e32 v8, v9, v10
	v_add_nc_u32_e32 v9, s5, v22
	v_add_nc_u32_e32 v10, s5, v24
	s_wait_alu 0xfffd
	v_cndmask_b32_e64 v5, 0, 1, vcc_lo
	v_cmp_lt_u32_e32 vcc_lo, s3, v6
	v_add_nc_u32_e32 v11, s5, v25
	v_mul_lo_u32 v9, v9, s4
	v_mul_lo_u32 v10, v10, s4
	v_add_nc_u32_e32 v12, s5, v23
	s_wait_alu 0xfffd
	v_cndmask_b32_e64 v6, 0, 1, vcc_lo
	v_mul_lo_u32 v11, v11, s4
	v_add_nc_u32_e32 v16, s7, v23
	v_lshlrev_b16 v3, 8, v3
	v_add_nc_u32_e32 v13, s5, v21
	v_sub_nc_u32_e32 v9, v9, v14
	v_sub_nc_u32_e32 v10, v10, v15
	v_add_nc_u32_e32 v19, s7, v21
	v_mul_lo_u32 v12, v12, s4
	v_mul_lo_u32 v16, v16, s6
	v_cmp_lt_u32_e32 vcc_lo, s3, v9
	v_sub_nc_u32_e32 v7, v11, v7
	v_lshrrev_b32_e32 v3, 8, v3
	v_mul_lo_u32 v11, v13, s4
	v_mul_lo_u32 v13, v19, s6
	s_wait_alu 0xfffd
	v_cndmask_b32_e64 v9, 0, 1, vcc_lo
	v_cmp_lt_u32_e32 vcc_lo, s3, v2
	v_sub_nc_u32_e32 v12, v12, v16
	v_lshlrev_b16 v3, 8, v3
	v_lshlrev_b16 v1, 8, v1
	;; [unrolled: 1-line block ×3, first 2 shown]
	s_wait_alu 0xfffd
	v_cndmask_b32_e64 v2, 0, 1, vcc_lo
	v_cmp_lt_u32_e32 vcc_lo, s3, v10
	v_sub_nc_u32_e32 v11, v11, v13
	v_add_nc_u32_e32 v14, s5, v47
	v_add_nc_u32_e32 v15, s7, v47
	v_or_b32_e32 v2, v2, v3
	s_wait_alu 0xfffd
	v_cndmask_b32_e64 v10, 0, 1, vcc_lo
	v_cmp_lt_u32_e32 vcc_lo, s3, v4
	v_lshlrev_b16 v3, 8, v9
	v_lshrrev_b32_e32 v5, 8, v5
	v_lshrrev_b32_e32 v1, 8, v1
	v_lshlrev_b16 v9, 8, v10
	s_wait_alu 0xfffd
	v_cndmask_b32_e64 v4, 0, 1, vcc_lo
	v_cmp_lt_u32_e32 vcc_lo, s3, v8
	v_lshrrev_b32_e32 v3, 8, v3
	v_mul_lo_u32 v14, v14, s4
	v_lshrrev_b32_e32 v9, 8, v9
	v_mul_lo_u32 v15, v15, s6
	s_wait_alu 0xfffd
	v_cndmask_b32_e64 v8, 0, 1, vcc_lo
	v_cmp_lt_u32_e32 vcc_lo, s3, v7
	v_lshlrev_b16 v6, 8, v6
	v_lshlrev_b16 v1, 8, v1
	;; [unrolled: 1-line block ×4, first 2 shown]
	s_wait_alu 0xfffd
	v_cndmask_b32_e64 v7, 0, 1, vcc_lo
	v_cmp_lt_u32_e32 vcc_lo, s3, v12
	v_lshlrev_b16 v3, 8, v3
	v_sub_nc_u32_e32 v10, v14, v15
	v_or_b32_e32 v1, v4, v1
	v_or_b32_e32 v4, v8, v5
	s_wait_alu 0xfffd
	v_cndmask_b32_e64 v12, 0, 1, vcc_lo
	v_cmp_lt_u32_e32 vcc_lo, s3, v11
	v_or_b32_e32 v5, v7, v6
	v_and_b32_e32 v2, 0xffff, v2
	v_lshlrev_b32_e32 v1, 16, v1
	v_or_b32_e32 v6, v12, v9
	s_wait_alu 0xfffd
	v_cndmask_b32_e64 v11, 0, 1, vcc_lo
	v_and_b32_e32 v4, 0xffff, v4
	v_lshlrev_b32_e32 v5, 16, v5
	v_cmp_lt_u32_e32 vcc_lo, s3, v10
	v_and_b32_e32 v6, 0xffff, v6
	v_or_b32_e32 v3, v11, v3
	v_or_b32_e32 v54, v2, v1
	;; [unrolled: 1-line block ×3, first 2 shown]
	s_wait_alu 0xfffd
	v_cndmask_b32_e64 v49, 0, 1, vcc_lo
	v_lshlrev_b32_e32 v3, 16, v3
	s_delay_alu instid0(VALU_DEP_1)
	v_or_b32_e32 v50, v6, v3
	s_cbranch_execz .LBB1322_11
	s_branch .LBB1322_38
.LBB1322_10:
                                        ; implicit-def: $vgpr49
                                        ; implicit-def: $vgpr50
                                        ; implicit-def: $vgpr52
                                        ; implicit-def: $vgpr54
.LBB1322_11:
	v_dual_mov_b32 v2, 0 :: v_dual_mov_b32 v1, 0
	s_mov_b32 s0, exec_lo
	v_cmpx_gt_u32_e64 s22, v48
	s_cbranch_execz .LBB1322_13
; %bb.12:
	v_add_nc_u32_e32 v1, s5, v31
	v_add_nc_u32_e32 v3, s7, v31
	s_delay_alu instid0(VALU_DEP_2) | instskip(NEXT) | instid1(VALU_DEP_2)
	v_mul_lo_u32 v1, v1, s4
	v_mul_lo_u32 v3, v3, s6
	s_delay_alu instid0(VALU_DEP_1) | instskip(NEXT) | instid1(VALU_DEP_1)
	v_sub_nc_u32_e32 v1, v1, v3
	v_cmp_lt_u32_e32 vcc_lo, s3, v1
	s_wait_alu 0xfffd
	v_cndmask_b32_e64 v1, 0, 1, vcc_lo
.LBB1322_13:
	s_wait_alu 0xfffe
	s_or_b32 exec_lo, exec_lo, s0
	v_add_nc_u32_e32 v3, 1, v48
	s_mov_b32 s0, exec_lo
	s_delay_alu instid0(VALU_DEP_1)
	v_cmpx_gt_u32_e64 s22, v3
	s_cbranch_execz .LBB1322_15
; %bb.14:
	v_add_nc_u32_e32 v2, s5, v32
	v_add_nc_u32_e32 v3, s7, v32
	s_delay_alu instid0(VALU_DEP_2) | instskip(NEXT) | instid1(VALU_DEP_2)
	v_mul_lo_u32 v2, v2, s4
	v_mul_lo_u32 v3, v3, s6
	s_delay_alu instid0(VALU_DEP_1) | instskip(NEXT) | instid1(VALU_DEP_1)
	v_sub_nc_u32_e32 v2, v2, v3
	v_cmp_lt_u32_e32 vcc_lo, s3, v2
	s_wait_alu 0xfffd
	v_cndmask_b32_e64 v2, 0, 1, vcc_lo
.LBB1322_15:
	s_wait_alu 0xfffe
	s_or_b32 exec_lo, exec_lo, s0
	v_dual_mov_b32 v4, 0 :: v_dual_add_nc_u32 v3, 2, v48
	s_delay_alu instid0(VALU_DEP_1)
	v_cmp_gt_u32_e32 vcc_lo, s22, v3
	v_mov_b32_e32 v3, 0
	s_and_saveexec_b32 s0, vcc_lo
	s_cbranch_execz .LBB1322_17
; %bb.16:
	v_add_nc_u32_e32 v3, s5, v29
	v_add_nc_u32_e32 v5, s7, v29
	s_delay_alu instid0(VALU_DEP_2) | instskip(NEXT) | instid1(VALU_DEP_2)
	v_mul_lo_u32 v3, v3, s4
	v_mul_lo_u32 v5, v5, s6
	s_delay_alu instid0(VALU_DEP_1) | instskip(NEXT) | instid1(VALU_DEP_1)
	v_sub_nc_u32_e32 v3, v3, v5
	v_cmp_lt_u32_e32 vcc_lo, s3, v3
	s_wait_alu 0xfffd
	v_cndmask_b32_e64 v3, 0, 1, vcc_lo
.LBB1322_17:
	s_wait_alu 0xfffe
	s_or_b32 exec_lo, exec_lo, s0
	v_add_nc_u32_e32 v5, 3, v48
	s_mov_b32 s0, exec_lo
	s_delay_alu instid0(VALU_DEP_1)
	v_cmpx_gt_u32_e64 s22, v5
	s_cbranch_execz .LBB1322_19
; %bb.18:
	v_add_nc_u32_e32 v4, s5, v30
	v_add_nc_u32_e32 v5, s7, v30
	s_delay_alu instid0(VALU_DEP_2) | instskip(NEXT) | instid1(VALU_DEP_2)
	v_mul_lo_u32 v4, v4, s4
	v_mul_lo_u32 v5, v5, s6
	s_delay_alu instid0(VALU_DEP_1) | instskip(NEXT) | instid1(VALU_DEP_1)
	v_sub_nc_u32_e32 v4, v4, v5
	v_cmp_lt_u32_e32 vcc_lo, s3, v4
	s_wait_alu 0xfffd
	v_cndmask_b32_e64 v4, 0, 1, vcc_lo
.LBB1322_19:
	s_wait_alu 0xfffe
	s_or_b32 exec_lo, exec_lo, s0
	v_dual_mov_b32 v6, 0 :: v_dual_add_nc_u32 v5, 4, v48
	s_delay_alu instid0(VALU_DEP_1)
	v_cmp_gt_u32_e32 vcc_lo, s22, v5
	v_mov_b32_e32 v5, 0
	s_and_saveexec_b32 s0, vcc_lo
	;; [unrolled: 39-line block ×5, first 2 shown]
	s_cbranch_execz .LBB1322_33
; %bb.32:
	v_add_nc_u32_e32 v11, s5, v21
	v_add_nc_u32_e32 v13, s7, v21
	s_delay_alu instid0(VALU_DEP_2) | instskip(NEXT) | instid1(VALU_DEP_2)
	v_mul_lo_u32 v11, v11, s4
	v_mul_lo_u32 v13, v13, s6
	s_delay_alu instid0(VALU_DEP_1) | instskip(NEXT) | instid1(VALU_DEP_1)
	v_sub_nc_u32_e32 v11, v11, v13
	v_cmp_lt_u32_e32 vcc_lo, s3, v11
	s_wait_alu 0xfffd
	v_cndmask_b32_e64 v11, 0, 1, vcc_lo
.LBB1322_33:
	s_wait_alu 0xfffe
	s_or_b32 exec_lo, exec_lo, s0
	v_add_nc_u32_e32 v13, 11, v48
	s_mov_b32 s0, exec_lo
	s_delay_alu instid0(VALU_DEP_1)
	v_cmpx_gt_u32_e64 s22, v13
	s_cbranch_execz .LBB1322_35
; %bb.34:
	v_add_nc_u32_e32 v12, s5, v22
	v_add_nc_u32_e32 v13, s7, v22
	s_delay_alu instid0(VALU_DEP_2) | instskip(NEXT) | instid1(VALU_DEP_2)
	v_mul_lo_u32 v12, v12, s4
	v_mul_lo_u32 v13, v13, s6
	s_delay_alu instid0(VALU_DEP_1) | instskip(NEXT) | instid1(VALU_DEP_1)
	v_sub_nc_u32_e32 v12, v12, v13
	v_cmp_lt_u32_e32 vcc_lo, s3, v12
	s_wait_alu 0xfffd
	v_cndmask_b32_e64 v12, 0, 1, vcc_lo
.LBB1322_35:
	s_wait_alu 0xfffe
	s_or_b32 exec_lo, exec_lo, s0
	v_add_nc_u32_e32 v13, 12, v48
	v_mov_b32_e32 v49, 0
	s_mov_b32 s0, exec_lo
	s_delay_alu instid0(VALU_DEP_2)
	v_cmpx_gt_u32_e64 s22, v13
	s_cbranch_execz .LBB1322_37
; %bb.36:
	v_add_nc_u32_e32 v13, s5, v47
	v_add_nc_u32_e32 v14, s7, v47
	s_delay_alu instid0(VALU_DEP_2) | instskip(NEXT) | instid1(VALU_DEP_2)
	v_mul_lo_u32 v13, v13, s4
	v_mul_lo_u32 v14, v14, s6
	s_delay_alu instid0(VALU_DEP_1) | instskip(NEXT) | instid1(VALU_DEP_1)
	v_sub_nc_u32_e32 v13, v13, v14
	v_cmp_lt_u32_e32 vcc_lo, s3, v13
	s_wait_alu 0xfffd
	v_cndmask_b32_e64 v49, 0, 1, vcc_lo
.LBB1322_37:
	s_wait_alu 0xfffe
	s_or_b32 exec_lo, exec_lo, s0
	v_lshlrev_b16 v2, 8, v2
	v_lshlrev_b16 v4, 8, v4
	;; [unrolled: 1-line block ×5, first 2 shown]
	v_or_b32_e32 v1, v1, v2
	v_lshlrev_b16 v2, 8, v12
	v_or_b32_e32 v3, v3, v4
	v_or_b32_e32 v4, v5, v6
	;; [unrolled: 1-line block ×5, first 2 shown]
	v_and_b32_e32 v1, 0xffff, v1
	v_lshlrev_b32_e32 v3, 16, v3
	v_and_b32_e32 v4, 0xffff, v4
	v_lshlrev_b32_e32 v5, 16, v5
	;; [unrolled: 2-line block ×3, first 2 shown]
	v_or_b32_e32 v54, v1, v3
	s_delay_alu instid0(VALU_DEP_4) | instskip(NEXT) | instid1(VALU_DEP_3)
	v_or_b32_e32 v52, v4, v5
	v_or_b32_e32 v50, v6, v2
.LBB1322_38:
	s_delay_alu instid0(VALU_DEP_3)
	v_and_b32_e32 v56, 0xff, v54
	v_bfe_u32 v57, v54, 8, 8
	v_bfe_u32 v58, v54, 16, 8
	v_lshrrev_b32_e32 v55, 24, v54
	v_and_b32_e32 v59, 0xff, v52
	v_bfe_u32 v60, v52, 8, 8
	v_bfe_u32 v61, v52, 16, 8
	v_add3_u32 v1, v57, v56, v58
	v_lshrrev_b32_e32 v53, 24, v52
	v_and_b32_e32 v62, 0xff, v50
	v_bfe_u32 v63, v50, 8, 8
	v_mbcnt_lo_u32_b32 v65, -1, 0
	v_add3_u32 v1, v1, v55, v59
	v_bfe_u32 v64, v50, 16, 8
	v_lshrrev_b32_e32 v51, 24, v50
	v_and_b32_e32 v2, 0xff, v49
	v_and_b32_e32 v3, 15, v65
	v_add3_u32 v1, v1, v60, v61
	v_or_b32_e32 v4, 31, v0
	v_and_b32_e32 v5, 16, v65
	v_lshrrev_b32_e32 v66, 5, v0
	v_cmp_eq_u32_e64 s6, 0, v3
	v_add3_u32 v1, v1, v53, v62
	v_cmp_lt_u32_e64 s5, 1, v3
	v_cmp_lt_u32_e64 s4, 3, v3
	;; [unrolled: 1-line block ×3, first 2 shown]
	v_cmp_eq_u32_e64 s1, 0, v5
	v_add3_u32 v1, v1, v63, v64
	v_cmp_eq_u32_e64 s0, v0, v4
	s_cmp_lg_u32 s15, 0
	s_mov_b32 s7, -1
	v_add3_u32 v67, v1, v51, v2
	s_cbranch_scc0 .LBB1322_59
; %bb.39:
	s_delay_alu instid0(VALU_DEP_1) | instskip(NEXT) | instid1(VALU_DEP_1)
	v_mov_b32_dpp v1, v67 row_shr:1 row_mask:0xf bank_mask:0xf
	v_cndmask_b32_e64 v1, v1, 0, s6
	s_delay_alu instid0(VALU_DEP_1) | instskip(NEXT) | instid1(VALU_DEP_1)
	v_add_nc_u32_e32 v1, v1, v67
	v_mov_b32_dpp v2, v1 row_shr:2 row_mask:0xf bank_mask:0xf
	s_delay_alu instid0(VALU_DEP_1) | instskip(NEXT) | instid1(VALU_DEP_1)
	v_cndmask_b32_e64 v2, 0, v2, s5
	v_add_nc_u32_e32 v1, v1, v2
	s_delay_alu instid0(VALU_DEP_1) | instskip(NEXT) | instid1(VALU_DEP_1)
	v_mov_b32_dpp v2, v1 row_shr:4 row_mask:0xf bank_mask:0xf
	v_cndmask_b32_e64 v2, 0, v2, s4
	s_delay_alu instid0(VALU_DEP_1) | instskip(NEXT) | instid1(VALU_DEP_1)
	v_add_nc_u32_e32 v1, v1, v2
	v_mov_b32_dpp v2, v1 row_shr:8 row_mask:0xf bank_mask:0xf
	s_delay_alu instid0(VALU_DEP_1) | instskip(NEXT) | instid1(VALU_DEP_1)
	v_cndmask_b32_e64 v2, 0, v2, s3
	v_add_nc_u32_e32 v1, v1, v2
	ds_swizzle_b32 v2, v1 offset:swizzle(BROADCAST,32,15)
	s_wait_dscnt 0x0
	v_cndmask_b32_e64 v2, v2, 0, s1
	s_delay_alu instid0(VALU_DEP_1)
	v_add_nc_u32_e32 v1, v1, v2
	s_and_saveexec_b32 s7, s0
; %bb.40:
	v_lshlrev_b32_e32 v2, 2, v66
	ds_store_b32 v2, v1
; %bb.41:
	s_wait_alu 0xfffe
	s_or_b32 exec_lo, exec_lo, s7
	s_delay_alu instid0(SALU_CYCLE_1)
	s_mov_b32 s7, exec_lo
	s_wait_loadcnt_dscnt 0x0
	s_barrier_signal -1
	s_barrier_wait -1
	global_inv scope:SCOPE_SE
	v_cmpx_gt_u32_e32 8, v0
	s_cbranch_execz .LBB1322_43
; %bb.42:
	ds_load_b32 v2, v45
	s_wait_dscnt 0x0
	v_mov_b32_dpp v4, v2 row_shr:1 row_mask:0xf bank_mask:0xf
	v_and_b32_e32 v3, 7, v65
	s_delay_alu instid0(VALU_DEP_1) | instskip(SKIP_1) | instid1(VALU_DEP_3)
	v_cmp_ne_u32_e32 vcc_lo, 0, v3
	s_wait_alu 0xfffd
	v_cndmask_b32_e32 v4, 0, v4, vcc_lo
	v_cmp_lt_u32_e32 vcc_lo, 1, v3
	s_delay_alu instid0(VALU_DEP_2) | instskip(NEXT) | instid1(VALU_DEP_1)
	v_add_nc_u32_e32 v2, v4, v2
	v_mov_b32_dpp v4, v2 row_shr:2 row_mask:0xf bank_mask:0xf
	s_wait_alu 0xfffd
	s_delay_alu instid0(VALU_DEP_1) | instskip(SKIP_1) | instid1(VALU_DEP_2)
	v_cndmask_b32_e32 v4, 0, v4, vcc_lo
	v_cmp_lt_u32_e32 vcc_lo, 3, v3
	v_add_nc_u32_e32 v2, v2, v4
	s_delay_alu instid0(VALU_DEP_1) | instskip(SKIP_1) | instid1(VALU_DEP_1)
	v_mov_b32_dpp v4, v2 row_shr:4 row_mask:0xf bank_mask:0xf
	s_wait_alu 0xfffd
	v_cndmask_b32_e32 v3, 0, v4, vcc_lo
	s_delay_alu instid0(VALU_DEP_1)
	v_add_nc_u32_e32 v2, v2, v3
	ds_store_b32 v45, v2
.LBB1322_43:
	s_wait_alu 0xfffe
	s_or_b32 exec_lo, exec_lo, s7
	s_delay_alu instid0(SALU_CYCLE_1)
	s_mov_b32 s8, exec_lo
	v_cmp_gt_u32_e32 vcc_lo, 32, v0
	s_wait_loadcnt_dscnt 0x0
	s_barrier_signal -1
	s_barrier_wait -1
	global_inv scope:SCOPE_SE
                                        ; implicit-def: $vgpr9
	v_cmpx_lt_u32_e32 31, v0
	s_cbranch_execz .LBB1322_45
; %bb.44:
	v_lshl_add_u32 v2, v66, 2, -4
	ds_load_b32 v9, v2
	s_wait_dscnt 0x0
	v_add_nc_u32_e32 v1, v9, v1
.LBB1322_45:
	s_wait_alu 0xfffe
	s_or_b32 exec_lo, exec_lo, s8
	v_sub_co_u32 v2, s7, v65, 1
	s_delay_alu instid0(VALU_DEP_1) | instskip(SKIP_1) | instid1(VALU_DEP_1)
	v_cmp_gt_i32_e64 s8, 0, v2
	s_wait_alu 0xf1ff
	v_cndmask_b32_e64 v2, v2, v65, s8
	s_delay_alu instid0(VALU_DEP_1)
	v_lshlrev_b32_e32 v2, 2, v2
	ds_bpermute_b32 v10, v2, v1
	s_and_saveexec_b32 s8, vcc_lo
	s_cbranch_execz .LBB1322_64
; %bb.46:
	v_mov_b32_e32 v5, 0
	ds_load_b32 v1, v5 offset:28
	s_and_saveexec_b32 s23, s7
	s_cbranch_execz .LBB1322_48
; %bb.47:
	s_add_co_i32 s24, s15, 32
	s_mov_b32 s25, 0
	v_mov_b32_e32 v2, 1
	s_lshl_b64 s[24:25], s[24:25], 3
	s_delay_alu instid0(SALU_CYCLE_1)
	s_add_nc_u64 s[24:25], s[20:21], s[24:25]
	s_wait_dscnt 0x0
	global_store_b64 v5, v[1:2], s[24:25] scope:SCOPE_DEV
.LBB1322_48:
	s_wait_alu 0xfffe
	s_or_b32 exec_lo, exec_lo, s23
	v_xad_u32 v3, v65, -1, s15
	s_mov_b32 s24, 0
	s_mov_b32 s23, exec_lo
	s_delay_alu instid0(VALU_DEP_1) | instskip(NEXT) | instid1(VALU_DEP_1)
	v_add_nc_u32_e32 v4, 32, v3
	v_lshlrev_b64_e32 v[4:5], 3, v[4:5]
	s_delay_alu instid0(VALU_DEP_1) | instskip(SKIP_1) | instid1(VALU_DEP_2)
	v_add_co_u32 v7, vcc_lo, s20, v4
	s_wait_alu 0xfffd
	v_add_co_ci_u32_e64 v8, null, s21, v5, vcc_lo
	global_load_b64 v[5:6], v[7:8], off scope:SCOPE_DEV
	s_wait_loadcnt 0x0
	v_and_b32_e32 v2, 0xff, v6
	s_delay_alu instid0(VALU_DEP_1)
	v_cmpx_eq_u16_e32 0, v2
	s_cbranch_execz .LBB1322_51
.LBB1322_49:                            ; =>This Inner Loop Header: Depth=1
	global_load_b64 v[5:6], v[7:8], off scope:SCOPE_DEV
	s_wait_loadcnt 0x0
	v_and_b32_e32 v2, 0xff, v6
	s_delay_alu instid0(VALU_DEP_1) | instskip(SKIP_1) | instid1(SALU_CYCLE_1)
	v_cmp_ne_u16_e32 vcc_lo, 0, v2
	s_or_b32 s24, vcc_lo, s24
	s_and_not1_b32 exec_lo, exec_lo, s24
	s_cbranch_execnz .LBB1322_49
; %bb.50:
	s_or_b32 exec_lo, exec_lo, s24
.LBB1322_51:
	s_wait_alu 0xfffe
	s_or_b32 exec_lo, exec_lo, s23
	v_cmp_ne_u32_e32 vcc_lo, 31, v65
	v_lshlrev_b32_e64 v12, v65, -1
	v_add_nc_u32_e32 v14, 2, v65
	v_add_nc_u32_e32 v16, 4, v65
	;; [unrolled: 1-line block ×3, first 2 shown]
	s_wait_alu 0xfffd
	v_add_co_ci_u32_e64 v2, null, 0, v65, vcc_lo
	v_lshl_or_b32 v68, v65, 2, 64
	v_add_nc_u32_e32 v69, 16, v65
	s_delay_alu instid0(VALU_DEP_3)
	v_lshlrev_b32_e32 v11, 2, v2
	v_and_b32_e32 v2, 0xff, v6
	ds_bpermute_b32 v4, v11, v5
	v_cmp_eq_u16_e32 vcc_lo, 2, v2
	s_wait_alu 0xfffd
	v_and_or_b32 v2, vcc_lo, v12, 0x80000000
	v_cmp_gt_u32_e32 vcc_lo, 30, v65
	s_delay_alu instid0(VALU_DEP_2) | instskip(SKIP_2) | instid1(VALU_DEP_2)
	v_ctz_i32_b32_e32 v2, v2
	s_wait_alu 0xfffd
	v_cndmask_b32_e64 v7, 0, 2, vcc_lo
	v_cmp_lt_u32_e32 vcc_lo, v65, v2
	s_delay_alu instid0(VALU_DEP_2) | instskip(SKIP_4) | instid1(VALU_DEP_2)
	v_add_lshl_u32 v13, v7, v65, 2
	s_wait_dscnt 0x0
	s_wait_alu 0xfffd
	v_cndmask_b32_e32 v4, 0, v4, vcc_lo
	v_cmp_gt_u32_e32 vcc_lo, 28, v65
	v_add_nc_u32_e32 v4, v4, v5
	s_wait_alu 0xfffd
	v_cndmask_b32_e64 v7, 0, 4, vcc_lo
	v_cmp_le_u32_e32 vcc_lo, v14, v2
	ds_bpermute_b32 v5, v13, v4
	v_add_lshl_u32 v15, v7, v65, 2
	s_wait_dscnt 0x0
	s_wait_alu 0xfffd
	v_cndmask_b32_e32 v5, 0, v5, vcc_lo
	v_cmp_gt_u32_e32 vcc_lo, 24, v65
	s_delay_alu instid0(VALU_DEP_2)
	v_add_nc_u32_e32 v4, v4, v5
	s_wait_alu 0xfffd
	v_cndmask_b32_e64 v7, 0, 8, vcc_lo
	v_cmp_le_u32_e32 vcc_lo, v16, v2
	ds_bpermute_b32 v5, v15, v4
	v_add_lshl_u32 v19, v7, v65, 2
	s_wait_dscnt 0x0
	s_wait_alu 0xfffd
	v_cndmask_b32_e32 v5, 0, v5, vcc_lo
	v_cmp_le_u32_e32 vcc_lo, v20, v2
	s_delay_alu instid0(VALU_DEP_2)
	v_add_nc_u32_e32 v4, v4, v5
	ds_bpermute_b32 v5, v19, v4
	s_wait_dscnt 0x0
	s_wait_alu 0xfffd
	v_cndmask_b32_e32 v5, 0, v5, vcc_lo
	v_cmp_le_u32_e32 vcc_lo, v69, v2
	s_delay_alu instid0(VALU_DEP_2) | instskip(SKIP_4) | instid1(VALU_DEP_1)
	v_add_nc_u32_e32 v4, v4, v5
	ds_bpermute_b32 v5, v68, v4
	s_wait_dscnt 0x0
	s_wait_alu 0xfffd
	v_cndmask_b32_e32 v2, 0, v5, vcc_lo
	v_dual_mov_b32 v4, 0 :: v_dual_add_nc_u32 v5, v4, v2
	s_branch .LBB1322_55
.LBB1322_52:                            ;   in Loop: Header=BB1322_55 Depth=1
	s_or_b32 exec_lo, exec_lo, s24
.LBB1322_53:                            ;   in Loop: Header=BB1322_55 Depth=1
	s_wait_alu 0xfffe
	s_or_b32 exec_lo, exec_lo, s23
	ds_bpermute_b32 v8, v11, v5
	v_and_b32_e32 v7, 0xff, v6
	v_subrev_nc_u32_e32 v3, 32, v3
	s_mov_b32 s23, 0
	s_delay_alu instid0(VALU_DEP_2) | instskip(SKIP_2) | instid1(VALU_DEP_1)
	v_cmp_eq_u16_e32 vcc_lo, 2, v7
	s_wait_alu 0xfffd
	v_and_or_b32 v7, vcc_lo, v12, 0x80000000
	v_ctz_i32_b32_e32 v7, v7
	s_delay_alu instid0(VALU_DEP_1) | instskip(SKIP_4) | instid1(VALU_DEP_2)
	v_cmp_lt_u32_e32 vcc_lo, v65, v7
	s_wait_dscnt 0x0
	s_wait_alu 0xfffd
	v_cndmask_b32_e32 v8, 0, v8, vcc_lo
	v_cmp_le_u32_e32 vcc_lo, v14, v7
	v_add_nc_u32_e32 v5, v8, v5
	ds_bpermute_b32 v8, v13, v5
	s_wait_dscnt 0x0
	s_wait_alu 0xfffd
	v_cndmask_b32_e32 v8, 0, v8, vcc_lo
	v_cmp_le_u32_e32 vcc_lo, v16, v7
	s_delay_alu instid0(VALU_DEP_2)
	v_add_nc_u32_e32 v5, v5, v8
	ds_bpermute_b32 v8, v15, v5
	s_wait_dscnt 0x0
	s_wait_alu 0xfffd
	v_cndmask_b32_e32 v8, 0, v8, vcc_lo
	v_cmp_le_u32_e32 vcc_lo, v20, v7
	s_delay_alu instid0(VALU_DEP_2)
	v_add_nc_u32_e32 v5, v5, v8
	ds_bpermute_b32 v8, v19, v5
	s_wait_dscnt 0x0
	s_wait_alu 0xfffd
	v_cndmask_b32_e32 v8, 0, v8, vcc_lo
	v_cmp_le_u32_e32 vcc_lo, v69, v7
	s_delay_alu instid0(VALU_DEP_2) | instskip(SKIP_4) | instid1(VALU_DEP_1)
	v_add_nc_u32_e32 v5, v5, v8
	ds_bpermute_b32 v8, v68, v5
	s_wait_dscnt 0x0
	s_wait_alu 0xfffd
	v_cndmask_b32_e32 v7, 0, v8, vcc_lo
	v_add3_u32 v5, v7, v2, v5
.LBB1322_54:                            ;   in Loop: Header=BB1322_55 Depth=1
	s_wait_alu 0xfffe
	s_and_b32 vcc_lo, exec_lo, s23
	s_wait_alu 0xfffe
	s_cbranch_vccnz .LBB1322_60
.LBB1322_55:                            ; =>This Loop Header: Depth=1
                                        ;     Child Loop BB1322_58 Depth 2
	v_and_b32_e32 v2, 0xff, v6
	s_mov_b32 s23, -1
                                        ; implicit-def: $vgpr6
	s_delay_alu instid0(VALU_DEP_1)
	v_cmp_ne_u16_e32 vcc_lo, 2, v2
	v_mov_b32_e32 v2, v5
                                        ; implicit-def: $vgpr5
	s_cmp_lg_u32 vcc_lo, exec_lo
	s_cbranch_scc1 .LBB1322_54
; %bb.56:                               ;   in Loop: Header=BB1322_55 Depth=1
	v_lshlrev_b64_e32 v[5:6], 3, v[3:4]
	s_mov_b32 s23, exec_lo
	s_delay_alu instid0(VALU_DEP_1) | instskip(SKIP_1) | instid1(VALU_DEP_2)
	v_add_co_u32 v7, vcc_lo, s20, v5
	s_wait_alu 0xfffd
	v_add_co_ci_u32_e64 v8, null, s21, v6, vcc_lo
	global_load_b64 v[5:6], v[7:8], off scope:SCOPE_DEV
	s_wait_loadcnt 0x0
	v_and_b32_e32 v70, 0xff, v6
	s_delay_alu instid0(VALU_DEP_1)
	v_cmpx_eq_u16_e32 0, v70
	s_cbranch_execz .LBB1322_53
; %bb.57:                               ;   in Loop: Header=BB1322_55 Depth=1
	s_mov_b32 s24, 0
.LBB1322_58:                            ;   Parent Loop BB1322_55 Depth=1
                                        ; =>  This Inner Loop Header: Depth=2
	global_load_b64 v[5:6], v[7:8], off scope:SCOPE_DEV
	s_wait_loadcnt 0x0
	v_and_b32_e32 v70, 0xff, v6
	s_delay_alu instid0(VALU_DEP_1) | instskip(SKIP_1) | instid1(SALU_CYCLE_1)
	v_cmp_ne_u16_e32 vcc_lo, 0, v70
	s_or_b32 s24, vcc_lo, s24
	s_and_not1_b32 exec_lo, exec_lo, s24
	s_cbranch_execnz .LBB1322_58
	s_branch .LBB1322_52
.LBB1322_59:
                                        ; implicit-def: $vgpr20
                                        ; implicit-def: $vgpr1_vgpr2_vgpr3_vgpr4_vgpr5_vgpr6_vgpr7_vgpr8_vgpr9_vgpr10_vgpr11_vgpr12_vgpr13_vgpr14_vgpr15_vgpr16
	s_wait_alu 0xfffe
	s_and_b32 vcc_lo, exec_lo, s7
	s_wait_alu 0xfffe
	s_cbranch_vccnz .LBB1322_65
	s_branch .LBB1322_74
.LBB1322_60:
	s_and_saveexec_b32 s23, s7
	s_cbranch_execz .LBB1322_62
; %bb.61:
	s_add_co_i32 s24, s15, 32
	s_mov_b32 s25, 0
	v_dual_mov_b32 v4, 2 :: v_dual_add_nc_u32 v3, v2, v1
	v_mov_b32_e32 v5, 0
	s_lshl_b64 s[24:25], s[24:25], 3
	s_delay_alu instid0(SALU_CYCLE_1)
	s_add_nc_u64 s[24:25], s[20:21], s[24:25]
	global_store_b64 v5, v[3:4], s[24:25] scope:SCOPE_DEV
	ds_store_b64 v5, v[1:2] offset:13312
.LBB1322_62:
	s_wait_alu 0xfffe
	s_or_b32 exec_lo, exec_lo, s23
	s_delay_alu instid0(SALU_CYCLE_1)
	s_and_b32 exec_lo, exec_lo, s2
; %bb.63:
	v_mov_b32_e32 v1, 0
	ds_store_b32 v1, v2 offset:28
.LBB1322_64:
	s_wait_alu 0xfffe
	s_or_b32 exec_lo, exec_lo, s8
	v_mov_b32_e32 v11, 0
	s_wait_storecnt 0x0
	s_wait_loadcnt_dscnt 0x0
	s_barrier_signal -1
	s_barrier_wait -1
	global_inv scope:SCOPE_SE
	ds_load_b32 v1, v11 offset:28
	v_cndmask_b32_e64 v2, v10, v9, s7
	s_wait_loadcnt_dscnt 0x0
	s_barrier_signal -1
	s_barrier_wait -1
	global_inv scope:SCOPE_SE
	v_cndmask_b32_e64 v2, v2, 0, s2
	s_delay_alu instid0(VALU_DEP_1) | instskip(NEXT) | instid1(VALU_DEP_1)
	v_add_nc_u32_e32 v1, v1, v2
	v_add_nc_u32_e32 v2, v1, v56
	ds_load_b64 v[19:20], v11 offset:13312
	v_add_nc_u32_e32 v3, v2, v57
	s_delay_alu instid0(VALU_DEP_1) | instskip(NEXT) | instid1(VALU_DEP_1)
	v_add_nc_u32_e32 v4, v3, v58
	v_add_nc_u32_e32 v5, v4, v55
	s_delay_alu instid0(VALU_DEP_1) | instskip(NEXT) | instid1(VALU_DEP_1)
	v_add_nc_u32_e32 v6, v5, v59
	v_add_nc_u32_e32 v7, v6, v60
	s_delay_alu instid0(VALU_DEP_1) | instskip(NEXT) | instid1(VALU_DEP_1)
	v_add_nc_u32_e32 v8, v7, v61
	v_add_nc_u32_e32 v9, v8, v53
	s_delay_alu instid0(VALU_DEP_1) | instskip(NEXT) | instid1(VALU_DEP_1)
	v_add_nc_u32_e32 v10, v9, v62
	v_add_nc_u32_e32 v11, v10, v63
	s_delay_alu instid0(VALU_DEP_1) | instskip(NEXT) | instid1(VALU_DEP_1)
	v_add_nc_u32_e32 v12, v11, v64
	v_add_nc_u32_e32 v13, v12, v51
	s_branch .LBB1322_74
.LBB1322_65:
	v_mov_b32_dpp v1, v67 row_shr:1 row_mask:0xf bank_mask:0xf
	s_delay_alu instid0(VALU_DEP_1) | instskip(NEXT) | instid1(VALU_DEP_1)
	v_cndmask_b32_e64 v1, v1, 0, s6
	v_add_nc_u32_e32 v1, v1, v67
	s_delay_alu instid0(VALU_DEP_1) | instskip(NEXT) | instid1(VALU_DEP_1)
	v_mov_b32_dpp v2, v1 row_shr:2 row_mask:0xf bank_mask:0xf
	v_cndmask_b32_e64 v2, 0, v2, s5
	s_delay_alu instid0(VALU_DEP_1) | instskip(NEXT) | instid1(VALU_DEP_1)
	v_add_nc_u32_e32 v1, v1, v2
	v_mov_b32_dpp v2, v1 row_shr:4 row_mask:0xf bank_mask:0xf
	s_delay_alu instid0(VALU_DEP_1) | instskip(NEXT) | instid1(VALU_DEP_1)
	v_cndmask_b32_e64 v2, 0, v2, s4
	v_add_nc_u32_e32 v1, v1, v2
	s_delay_alu instid0(VALU_DEP_1) | instskip(NEXT) | instid1(VALU_DEP_1)
	v_mov_b32_dpp v2, v1 row_shr:8 row_mask:0xf bank_mask:0xf
	v_cndmask_b32_e64 v2, 0, v2, s3
	s_delay_alu instid0(VALU_DEP_1) | instskip(SKIP_3) | instid1(VALU_DEP_1)
	v_add_nc_u32_e32 v1, v1, v2
	ds_swizzle_b32 v2, v1 offset:swizzle(BROADCAST,32,15)
	s_wait_dscnt 0x0
	v_cndmask_b32_e64 v2, v2, 0, s1
	v_add_nc_u32_e32 v1, v1, v2
	s_and_saveexec_b32 s1, s0
; %bb.66:
	v_lshlrev_b32_e32 v2, 2, v66
	ds_store_b32 v2, v1
; %bb.67:
	s_wait_alu 0xfffe
	s_or_b32 exec_lo, exec_lo, s1
	s_delay_alu instid0(SALU_CYCLE_1)
	s_mov_b32 s0, exec_lo
	s_wait_loadcnt_dscnt 0x0
	s_barrier_signal -1
	s_barrier_wait -1
	global_inv scope:SCOPE_SE
	v_cmpx_gt_u32_e32 8, v0
	s_cbranch_execz .LBB1322_69
; %bb.68:
	ds_load_b32 v2, v45
	s_wait_dscnt 0x0
	v_mov_b32_dpp v4, v2 row_shr:1 row_mask:0xf bank_mask:0xf
	v_and_b32_e32 v3, 7, v65
	s_delay_alu instid0(VALU_DEP_1) | instskip(SKIP_1) | instid1(VALU_DEP_3)
	v_cmp_ne_u32_e32 vcc_lo, 0, v3
	s_wait_alu 0xfffd
	v_cndmask_b32_e32 v4, 0, v4, vcc_lo
	v_cmp_lt_u32_e32 vcc_lo, 1, v3
	s_delay_alu instid0(VALU_DEP_2) | instskip(NEXT) | instid1(VALU_DEP_1)
	v_add_nc_u32_e32 v2, v4, v2
	v_mov_b32_dpp v4, v2 row_shr:2 row_mask:0xf bank_mask:0xf
	s_wait_alu 0xfffd
	s_delay_alu instid0(VALU_DEP_1) | instskip(SKIP_1) | instid1(VALU_DEP_2)
	v_cndmask_b32_e32 v4, 0, v4, vcc_lo
	v_cmp_lt_u32_e32 vcc_lo, 3, v3
	v_add_nc_u32_e32 v2, v2, v4
	s_delay_alu instid0(VALU_DEP_1) | instskip(SKIP_1) | instid1(VALU_DEP_1)
	v_mov_b32_dpp v4, v2 row_shr:4 row_mask:0xf bank_mask:0xf
	s_wait_alu 0xfffd
	v_cndmask_b32_e32 v3, 0, v4, vcc_lo
	s_delay_alu instid0(VALU_DEP_1)
	v_add_nc_u32_e32 v2, v2, v3
	ds_store_b32 v45, v2
.LBB1322_69:
	s_wait_alu 0xfffe
	s_or_b32 exec_lo, exec_lo, s0
	v_dual_mov_b32 v3, 0 :: v_dual_mov_b32 v2, 0
	s_mov_b32 s0, exec_lo
	s_wait_loadcnt_dscnt 0x0
	s_barrier_signal -1
	s_barrier_wait -1
	global_inv scope:SCOPE_SE
	v_cmpx_lt_u32_e32 31, v0
; %bb.70:
	v_lshl_add_u32 v2, v66, 2, -4
	ds_load_b32 v2, v2
; %bb.71:
	s_wait_alu 0xfffe
	s_or_b32 exec_lo, exec_lo, s0
	v_sub_co_u32 v4, vcc_lo, v65, 1
	s_wait_dscnt 0x0
	v_add_nc_u32_e32 v1, v2, v1
	ds_load_b32 v19, v3 offset:28
	v_cmp_gt_i32_e64 s0, 0, v4
	s_wait_alu 0xf1ff
	s_delay_alu instid0(VALU_DEP_1) | instskip(NEXT) | instid1(VALU_DEP_1)
	v_cndmask_b32_e64 v4, v4, v65, s0
	v_lshlrev_b32_e32 v4, 2, v4
	ds_bpermute_b32 v1, v4, v1
	s_and_saveexec_b32 s0, s2
	s_cbranch_execz .LBB1322_73
; %bb.72:
	v_dual_mov_b32 v3, 0 :: v_dual_mov_b32 v20, 2
	s_wait_dscnt 0x1
	global_store_b64 v3, v[19:20], s[20:21] offset:256 scope:SCOPE_DEV
.LBB1322_73:
	s_wait_alu 0xfffe
	s_or_b32 exec_lo, exec_lo, s0
	s_wait_dscnt 0x0
	s_wait_alu 0xfffd
	v_cndmask_b32_e32 v1, v1, v2, vcc_lo
	s_wait_loadcnt 0x0
	s_wait_storecnt 0x0
	s_barrier_signal -1
	s_barrier_wait -1
	global_inv scope:SCOPE_SE
	v_cndmask_b32_e64 v1, v1, 0, s2
	v_mov_b32_e32 v20, 0
	s_delay_alu instid0(VALU_DEP_2) | instskip(NEXT) | instid1(VALU_DEP_1)
	v_add_nc_u32_e32 v2, v1, v56
	v_add_nc_u32_e32 v3, v2, v57
	s_delay_alu instid0(VALU_DEP_1) | instskip(NEXT) | instid1(VALU_DEP_1)
	v_add_nc_u32_e32 v4, v3, v58
	v_add_nc_u32_e32 v5, v4, v55
	s_delay_alu instid0(VALU_DEP_1) | instskip(NEXT) | instid1(VALU_DEP_1)
	;; [unrolled: 3-line block ×5, first 2 shown]
	v_add_nc_u32_e32 v12, v11, v64
	v_add_nc_u32_e32 v13, v12, v51
.LBB1322_74:
	s_wait_dscnt 0x0
	v_sub_nc_u32_e32 v1, v1, v20
	v_sub_nc_u32_e32 v2, v2, v20
	v_add_nc_u32_e32 v48, v19, v48
	v_lshrrev_b32_e32 v58, 8, v54
	v_lshrrev_b32_e32 v57, 16, v54
	v_sub_nc_u32_e32 v4, v4, v20
	v_sub_nc_u32_e32 v3, v3, v20
	;; [unrolled: 1-line block ×3, first 2 shown]
	v_and_b32_e32 v54, 1, v54
	v_and_b32_e32 v58, 1, v58
	;; [unrolled: 1-line block ×3, first 2 shown]
	v_lshrrev_b32_e32 v56, 8, v52
	v_lshrrev_b32_e32 v16, 16, v52
	v_cmp_eq_u32_e32 vcc_lo, 1, v54
	v_and_b32_e32 v54, 1, v57
	v_sub_nc_u32_e32 v57, v48, v2
	v_lshrrev_b32_e32 v15, 8, v50
	v_lshrrev_b32_e32 v14, 16, v50
	s_wait_alu 0xfffd
	v_cndmask_b32_e32 v1, v59, v1, vcc_lo
	v_cmp_eq_u32_e32 vcc_lo, 1, v58
	v_add_nc_u32_e32 v57, 1, v57
	s_delay_alu instid0(VALU_DEP_3)
	v_lshlrev_b32_e32 v1, 2, v1
	ds_store_b32 v1, v31
	s_wait_alu 0xfffd
	v_cndmask_b32_e32 v1, v57, v2, vcc_lo
	v_sub_nc_u32_e32 v59, v48, v3
	v_sub_nc_u32_e32 v60, v48, v4
	v_cmp_eq_u32_e32 vcc_lo, 1, v54
	s_delay_alu instid0(VALU_DEP_4) | instskip(NEXT) | instid1(VALU_DEP_4)
	v_lshlrev_b32_e32 v1, 2, v1
	v_add_nc_u32_e32 v59, 2, v59
	s_delay_alu instid0(VALU_DEP_4)
	v_add_nc_u32_e32 v60, 3, v60
	ds_store_b32 v1, v32
	s_wait_alu 0xfffd
	v_cndmask_b32_e32 v2, v59, v3, vcc_lo
	v_cmp_eq_u32_e32 vcc_lo, 1, v55
	s_wait_alu 0xfffd
	s_delay_alu instid0(VALU_DEP_2) | instskip(SKIP_2) | instid1(VALU_DEP_3)
	v_dual_cndmask_b32 v3, v60, v4 :: v_dual_lshlrev_b32 v2, 2, v2
	v_sub_nc_u32_e32 v4, v5, v20
	v_sub_nc_u32_e32 v5, v6, v20
	v_lshlrev_b32_e32 v3, 2, v3
	s_delay_alu instid0(VALU_DEP_3) | instskip(NEXT) | instid1(VALU_DEP_3)
	v_sub_nc_u32_e32 v1, v48, v4
	v_sub_nc_u32_e32 v6, v48, v5
	ds_store_b32 v2, v29
	ds_store_b32 v3, v30
	v_and_b32_e32 v2, 1, v52
	v_add_nc_u32_e32 v1, 4, v1
	v_add_nc_u32_e32 v3, 5, v6
	v_sub_nc_u32_e32 v6, v7, v20
	v_and_b32_e32 v7, 1, v56
	v_cmp_eq_u32_e32 vcc_lo, 1, v2
	v_sub_nc_u32_e32 v2, v8, v20
	s_wait_alu 0xfffd
	v_dual_cndmask_b32 v1, v1, v4 :: v_dual_and_b32 v8, 1, v53
	v_sub_nc_u32_e32 v4, v48, v6
	v_cmp_eq_u32_e32 vcc_lo, 1, v7
	v_and_b32_e32 v7, 1, v16
	s_delay_alu instid0(VALU_DEP_4)
	v_lshlrev_b32_e32 v1, 2, v1
	s_wait_alu 0xfffd
	v_dual_cndmask_b32 v3, v3, v5 :: v_dual_add_nc_u32 v4, 6, v4
	v_sub_nc_u32_e32 v5, v48, v2
	v_cmp_eq_u32_e32 vcc_lo, 1, v7
	v_sub_nc_u32_e32 v7, v13, v20
	s_delay_alu instid0(VALU_DEP_4)
	v_lshlrev_b32_e32 v3, 2, v3
	s_wait_alu 0xfffd
	v_dual_cndmask_b32 v4, v4, v6 :: v_dual_add_nc_u32 v5, 7, v5
	v_cmp_eq_u32_e32 vcc_lo, 1, v8
	v_sub_nc_u32_e32 v6, v9, v20
	ds_store_b32 v1, v27
	ds_store_b32 v3, v28
	s_wait_alu 0xfffd
	v_dual_cndmask_b32 v2, v5, v2 :: v_dual_lshlrev_b32 v3, 2, v4
	v_sub_nc_u32_e32 v1, v48, v6
	v_and_b32_e32 v5, 1, v50
	v_sub_nc_u32_e32 v4, v10, v20
	v_and_b32_e32 v10, 1, v51
	v_lshlrev_b32_e32 v2, 2, v2
	v_add_nc_u32_e32 v1, 8, v1
	ds_store_b32 v3, v25
	ds_store_b32 v2, v26
	v_cmp_eq_u32_e32 vcc_lo, 1, v5
	v_sub_nc_u32_e32 v3, v11, v20
	v_sub_nc_u32_e32 v2, v48, v4
	;; [unrolled: 1-line block ×3, first 2 shown]
	v_and_b32_e32 v11, 1, v49
	s_wait_alu 0xfffd
	v_dual_cndmask_b32 v1, v1, v6 :: v_dual_and_b32 v6, 1, v15
	v_sub_nc_u32_e32 v8, v48, v3
	v_add_nc_u32_e32 v2, 9, v2
	v_sub_nc_u32_e32 v9, v48, v5
	s_delay_alu instid0(VALU_DEP_4)
	v_lshlrev_b32_e32 v1, 2, v1
	v_cmp_eq_u32_e32 vcc_lo, 1, v6
	v_add_nc_u32_e32 v6, 10, v8
	v_and_b32_e32 v8, 1, v14
	v_add_nc_u32_e32 v9, 11, v9
	v_add_co_u32 v15, s0, v17, v20
	s_wait_alu 0xfffd
	v_cndmask_b32_e32 v2, v2, v4, vcc_lo
	v_cmp_eq_u32_e32 vcc_lo, 1, v8
	v_sub_nc_u32_e32 v4, v48, v7
	s_wait_alu 0xf1ff
	v_add_co_ci_u32_e64 v16, null, 0, v18, s0
	s_wait_alu 0xfffd
	v_dual_cndmask_b32 v3, v6, v3 :: v_dual_lshlrev_b32 v2, 2, v2
	v_cmp_eq_u32_e32 vcc_lo, 1, v10
	v_add_nc_u32_e32 v4, 12, v4
	s_delay_alu instid0(VALU_DEP_3) | instskip(SKIP_4) | instid1(VALU_DEP_2)
	v_lshlrev_b32_e32 v3, 2, v3
	s_wait_alu 0xfffd
	v_cndmask_b32_e32 v5, v9, v5, vcc_lo
	v_cmp_eq_u32_e32 vcc_lo, 1, v11
	s_wait_alu 0xfffd
	v_dual_cndmask_b32 v4, v4, v7 :: v_dual_lshlrev_b32 v5, 2, v5
	v_cmp_ne_u32_e32 vcc_lo, 1, v46
	s_delay_alu instid0(VALU_DEP_2)
	v_lshlrev_b32_e32 v4, 2, v4
	ds_store_b32 v1, v23
	ds_store_b32 v2, v24
	;; [unrolled: 1-line block ×5, first 2 shown]
	s_wait_loadcnt_dscnt 0x0
	s_barrier_signal -1
	s_barrier_wait -1
	global_inv scope:SCOPE_SE
	ds_load_2addr_stride64_b32 v[11:12], v45 offset1:4
	ds_load_2addr_stride64_b32 v[9:10], v45 offset0:8 offset1:12
	ds_load_2addr_stride64_b32 v[7:8], v45 offset0:16 offset1:20
	;; [unrolled: 1-line block ×5, first 2 shown]
	ds_load_b32 v21, v45 offset:12288
	s_cbranch_vccnz .LBB1322_131
; %bb.75:
	s_mov_b32 s15, 0
	v_sub_co_u32 v13, vcc_lo, v15, s16
	s_wait_alu 0xfffe
	s_sub_nc_u64 s[0:1], s[18:19], s[14:15]
	s_wait_alu 0xfffd
	v_subrev_co_ci_u32_e64 v14, null, s17, v16, vcc_lo
	s_wait_alu 0xfffe
	v_add_co_u32 v17, s0, s0, v19
	s_wait_alu 0xf1ff
	v_add_co_ci_u32_e64 v18, null, s1, 0, s0
	s_mov_b32 s0, exec_lo
	v_add_co_u32 v17, vcc_lo, v17, v13
	s_wait_alu 0xfffd
	v_add_co_ci_u32_e64 v18, null, v18, v14, vcc_lo
                                        ; implicit-def: $vgpr13_vgpr14
	v_cmpx_ge_u32_e64 v0, v19
	s_wait_alu 0xfffe
	s_xor_b32 s0, exec_lo, s0
; %bb.76:
	v_not_b32_e32 v13, v0
	s_delay_alu instid0(VALU_DEP_1) | instskip(SKIP_2) | instid1(VALU_DEP_2)
	v_ashrrev_i32_e32 v14, 31, v13
	v_add_co_u32 v13, vcc_lo, v17, v13
	s_wait_alu 0xfffd
	v_add_co_ci_u32_e64 v14, null, v18, v14, vcc_lo
; %bb.77:
	s_wait_alu 0xfffe
	s_and_not1_saveexec_b32 s0, s0
; %bb.78:
	v_add_co_u32 v13, vcc_lo, v15, v0
	s_wait_alu 0xfffd
	v_add_co_ci_u32_e64 v14, null, 0, v16, vcc_lo
; %bb.79:
	s_wait_alu 0xfffe
	s_or_b32 exec_lo, exec_lo, s0
	s_delay_alu instid0(VALU_DEP_1) | instskip(SKIP_1) | instid1(VALU_DEP_1)
	v_lshlrev_b64_e32 v[13:14], 2, v[13:14]
	s_mov_b32 s0, exec_lo
	v_add_co_u32 v13, vcc_lo, s10, v13
	s_wait_alu 0xfffd
	s_delay_alu instid0(VALU_DEP_2)
	v_add_co_ci_u32_e64 v14, null, s11, v14, vcc_lo
	s_wait_dscnt 0x6
	global_store_b32 v[13:14], v11, off
                                        ; implicit-def: $vgpr13_vgpr14
	v_cmpx_ge_u32_e64 v44, v19
	s_wait_alu 0xfffe
	s_xor_b32 s0, exec_lo, s0
; %bb.80:
	v_xor_b32_e32 v13, 0xfffffeff, v0
	s_delay_alu instid0(VALU_DEP_1) | instskip(SKIP_2) | instid1(VALU_DEP_2)
	v_ashrrev_i32_e32 v14, 31, v13
	v_add_co_u32 v13, vcc_lo, v17, v13
	s_wait_alu 0xfffd
	v_add_co_ci_u32_e64 v14, null, v18, v14, vcc_lo
; %bb.81:
	s_wait_alu 0xfffe
	s_and_not1_saveexec_b32 s0, s0
; %bb.82:
	v_add_co_u32 v13, vcc_lo, v15, v44
	s_wait_alu 0xfffd
	v_add_co_ci_u32_e64 v14, null, 0, v16, vcc_lo
; %bb.83:
	s_wait_alu 0xfffe
	s_or_b32 exec_lo, exec_lo, s0
	s_delay_alu instid0(VALU_DEP_1) | instskip(SKIP_1) | instid1(VALU_DEP_1)
	v_lshlrev_b64_e32 v[13:14], 2, v[13:14]
	s_mov_b32 s0, exec_lo
	v_add_co_u32 v13, vcc_lo, s10, v13
	s_wait_alu 0xfffd
	s_delay_alu instid0(VALU_DEP_2)
	v_add_co_ci_u32_e64 v14, null, s11, v14, vcc_lo
	global_store_b32 v[13:14], v12, off
                                        ; implicit-def: $vgpr13_vgpr14
	v_cmpx_ge_u32_e64 v43, v19
	s_wait_alu 0xfffe
	s_xor_b32 s0, exec_lo, s0
; %bb.84:
	v_xor_b32_e32 v13, 0xfffffdff, v0
	s_delay_alu instid0(VALU_DEP_1) | instskip(SKIP_2) | instid1(VALU_DEP_2)
	v_ashrrev_i32_e32 v14, 31, v13
	v_add_co_u32 v13, vcc_lo, v17, v13
	s_wait_alu 0xfffd
	v_add_co_ci_u32_e64 v14, null, v18, v14, vcc_lo
; %bb.85:
	s_wait_alu 0xfffe
	s_and_not1_saveexec_b32 s0, s0
; %bb.86:
	v_add_co_u32 v13, vcc_lo, v15, v43
	s_wait_alu 0xfffd
	v_add_co_ci_u32_e64 v14, null, 0, v16, vcc_lo
; %bb.87:
	s_wait_alu 0xfffe
	s_or_b32 exec_lo, exec_lo, s0
	s_delay_alu instid0(VALU_DEP_1) | instskip(SKIP_1) | instid1(VALU_DEP_1)
	v_lshlrev_b64_e32 v[13:14], 2, v[13:14]
	s_mov_b32 s0, exec_lo
	v_add_co_u32 v13, vcc_lo, s10, v13
	s_wait_alu 0xfffd
	s_delay_alu instid0(VALU_DEP_2)
	v_add_co_ci_u32_e64 v14, null, s11, v14, vcc_lo
	s_wait_dscnt 0x5
	global_store_b32 v[13:14], v9, off
                                        ; implicit-def: $vgpr13_vgpr14
	v_cmpx_ge_u32_e64 v42, v19
	s_wait_alu 0xfffe
	s_xor_b32 s0, exec_lo, s0
; %bb.88:
	v_xor_b32_e32 v13, 0xfffffcff, v0
	s_delay_alu instid0(VALU_DEP_1) | instskip(SKIP_2) | instid1(VALU_DEP_2)
	v_ashrrev_i32_e32 v14, 31, v13
	v_add_co_u32 v13, vcc_lo, v17, v13
	s_wait_alu 0xfffd
	v_add_co_ci_u32_e64 v14, null, v18, v14, vcc_lo
; %bb.89:
	s_wait_alu 0xfffe
	s_and_not1_saveexec_b32 s0, s0
; %bb.90:
	v_add_co_u32 v13, vcc_lo, v15, v42
	s_wait_alu 0xfffd
	v_add_co_ci_u32_e64 v14, null, 0, v16, vcc_lo
; %bb.91:
	s_wait_alu 0xfffe
	s_or_b32 exec_lo, exec_lo, s0
	s_delay_alu instid0(VALU_DEP_1) | instskip(SKIP_1) | instid1(VALU_DEP_1)
	v_lshlrev_b64_e32 v[13:14], 2, v[13:14]
	s_mov_b32 s0, exec_lo
	v_add_co_u32 v13, vcc_lo, s10, v13
	s_wait_alu 0xfffd
	s_delay_alu instid0(VALU_DEP_2)
	v_add_co_ci_u32_e64 v14, null, s11, v14, vcc_lo
	global_store_b32 v[13:14], v10, off
                                        ; implicit-def: $vgpr13_vgpr14
	v_cmpx_ge_u32_e64 v41, v19
	s_wait_alu 0xfffe
	s_xor_b32 s0, exec_lo, s0
; %bb.92:
	v_xor_b32_e32 v13, 0xfffffbff, v0
	s_delay_alu instid0(VALU_DEP_1) | instskip(SKIP_2) | instid1(VALU_DEP_2)
	v_ashrrev_i32_e32 v14, 31, v13
	v_add_co_u32 v13, vcc_lo, v17, v13
	s_wait_alu 0xfffd
	v_add_co_ci_u32_e64 v14, null, v18, v14, vcc_lo
; %bb.93:
	s_wait_alu 0xfffe
	s_and_not1_saveexec_b32 s0, s0
; %bb.94:
	v_add_co_u32 v13, vcc_lo, v15, v41
	s_wait_alu 0xfffd
	v_add_co_ci_u32_e64 v14, null, 0, v16, vcc_lo
; %bb.95:
	s_wait_alu 0xfffe
	s_or_b32 exec_lo, exec_lo, s0
	s_delay_alu instid0(VALU_DEP_1) | instskip(SKIP_1) | instid1(VALU_DEP_1)
	v_lshlrev_b64_e32 v[13:14], 2, v[13:14]
	s_mov_b32 s0, exec_lo
	v_add_co_u32 v13, vcc_lo, s10, v13
	s_wait_alu 0xfffd
	s_delay_alu instid0(VALU_DEP_2)
	v_add_co_ci_u32_e64 v14, null, s11, v14, vcc_lo
	s_wait_dscnt 0x4
	global_store_b32 v[13:14], v7, off
                                        ; implicit-def: $vgpr13_vgpr14
	v_cmpx_ge_u32_e64 v40, v19
	s_wait_alu 0xfffe
	s_xor_b32 s0, exec_lo, s0
; %bb.96:
	v_xor_b32_e32 v13, 0xfffffaff, v0
	s_delay_alu instid0(VALU_DEP_1) | instskip(SKIP_2) | instid1(VALU_DEP_2)
	v_ashrrev_i32_e32 v14, 31, v13
	v_add_co_u32 v13, vcc_lo, v17, v13
	s_wait_alu 0xfffd
	v_add_co_ci_u32_e64 v14, null, v18, v14, vcc_lo
; %bb.97:
	s_wait_alu 0xfffe
	s_and_not1_saveexec_b32 s0, s0
; %bb.98:
	v_add_co_u32 v13, vcc_lo, v15, v40
	s_wait_alu 0xfffd
	v_add_co_ci_u32_e64 v14, null, 0, v16, vcc_lo
; %bb.99:
	s_wait_alu 0xfffe
	s_or_b32 exec_lo, exec_lo, s0
	s_delay_alu instid0(VALU_DEP_1) | instskip(SKIP_1) | instid1(VALU_DEP_1)
	v_lshlrev_b64_e32 v[13:14], 2, v[13:14]
	s_mov_b32 s0, exec_lo
	v_add_co_u32 v13, vcc_lo, s10, v13
	s_wait_alu 0xfffd
	s_delay_alu instid0(VALU_DEP_2)
	v_add_co_ci_u32_e64 v14, null, s11, v14, vcc_lo
	global_store_b32 v[13:14], v8, off
                                        ; implicit-def: $vgpr13_vgpr14
	v_cmpx_ge_u32_e64 v39, v19
	s_wait_alu 0xfffe
	s_xor_b32 s0, exec_lo, s0
; %bb.100:
	v_xor_b32_e32 v13, 0xfffff9ff, v0
	s_delay_alu instid0(VALU_DEP_1) | instskip(SKIP_2) | instid1(VALU_DEP_2)
	v_ashrrev_i32_e32 v14, 31, v13
	v_add_co_u32 v13, vcc_lo, v17, v13
	s_wait_alu 0xfffd
	v_add_co_ci_u32_e64 v14, null, v18, v14, vcc_lo
; %bb.101:
	s_wait_alu 0xfffe
	s_and_not1_saveexec_b32 s0, s0
; %bb.102:
	v_add_co_u32 v13, vcc_lo, v15, v39
	s_wait_alu 0xfffd
	v_add_co_ci_u32_e64 v14, null, 0, v16, vcc_lo
; %bb.103:
	s_wait_alu 0xfffe
	s_or_b32 exec_lo, exec_lo, s0
	s_delay_alu instid0(VALU_DEP_1) | instskip(SKIP_1) | instid1(VALU_DEP_1)
	v_lshlrev_b64_e32 v[13:14], 2, v[13:14]
	s_mov_b32 s0, exec_lo
	v_add_co_u32 v13, vcc_lo, s10, v13
	s_wait_alu 0xfffd
	s_delay_alu instid0(VALU_DEP_2)
	v_add_co_ci_u32_e64 v14, null, s11, v14, vcc_lo
	s_wait_dscnt 0x3
	global_store_b32 v[13:14], v5, off
                                        ; implicit-def: $vgpr13_vgpr14
	v_cmpx_ge_u32_e64 v38, v19
	s_wait_alu 0xfffe
	s_xor_b32 s0, exec_lo, s0
; %bb.104:
	v_xor_b32_e32 v13, 0xfffff8ff, v0
	s_delay_alu instid0(VALU_DEP_1) | instskip(SKIP_2) | instid1(VALU_DEP_2)
	v_ashrrev_i32_e32 v14, 31, v13
	v_add_co_u32 v13, vcc_lo, v17, v13
	s_wait_alu 0xfffd
	v_add_co_ci_u32_e64 v14, null, v18, v14, vcc_lo
; %bb.105:
	s_wait_alu 0xfffe
	s_and_not1_saveexec_b32 s0, s0
; %bb.106:
	v_add_co_u32 v13, vcc_lo, v15, v38
	s_wait_alu 0xfffd
	v_add_co_ci_u32_e64 v14, null, 0, v16, vcc_lo
; %bb.107:
	s_wait_alu 0xfffe
	s_or_b32 exec_lo, exec_lo, s0
	s_delay_alu instid0(VALU_DEP_1) | instskip(SKIP_1) | instid1(VALU_DEP_1)
	v_lshlrev_b64_e32 v[13:14], 2, v[13:14]
	s_mov_b32 s0, exec_lo
	v_add_co_u32 v13, vcc_lo, s10, v13
	s_wait_alu 0xfffd
	s_delay_alu instid0(VALU_DEP_2)
	v_add_co_ci_u32_e64 v14, null, s11, v14, vcc_lo
	global_store_b32 v[13:14], v6, off
                                        ; implicit-def: $vgpr13_vgpr14
	v_cmpx_ge_u32_e64 v37, v19
	s_wait_alu 0xfffe
	s_xor_b32 s0, exec_lo, s0
; %bb.108:
	v_xor_b32_e32 v13, 0xfffff7ff, v0
	s_delay_alu instid0(VALU_DEP_1) | instskip(SKIP_2) | instid1(VALU_DEP_2)
	v_ashrrev_i32_e32 v14, 31, v13
	v_add_co_u32 v13, vcc_lo, v17, v13
	s_wait_alu 0xfffd
	v_add_co_ci_u32_e64 v14, null, v18, v14, vcc_lo
; %bb.109:
	s_wait_alu 0xfffe
	s_and_not1_saveexec_b32 s0, s0
; %bb.110:
	v_add_co_u32 v13, vcc_lo, v15, v37
	s_wait_alu 0xfffd
	v_add_co_ci_u32_e64 v14, null, 0, v16, vcc_lo
; %bb.111:
	s_wait_alu 0xfffe
	s_or_b32 exec_lo, exec_lo, s0
	s_delay_alu instid0(VALU_DEP_1) | instskip(SKIP_1) | instid1(VALU_DEP_1)
	v_lshlrev_b64_e32 v[13:14], 2, v[13:14]
	s_mov_b32 s0, exec_lo
	v_add_co_u32 v13, vcc_lo, s10, v13
	s_wait_alu 0xfffd
	s_delay_alu instid0(VALU_DEP_2)
	v_add_co_ci_u32_e64 v14, null, s11, v14, vcc_lo
	s_wait_dscnt 0x2
	global_store_b32 v[13:14], v3, off
                                        ; implicit-def: $vgpr13_vgpr14
	v_cmpx_ge_u32_e64 v36, v19
	s_wait_alu 0xfffe
	s_xor_b32 s0, exec_lo, s0
; %bb.112:
	v_xor_b32_e32 v13, 0xfffff6ff, v0
	s_delay_alu instid0(VALU_DEP_1) | instskip(SKIP_2) | instid1(VALU_DEP_2)
	v_ashrrev_i32_e32 v14, 31, v13
	v_add_co_u32 v13, vcc_lo, v17, v13
	s_wait_alu 0xfffd
	v_add_co_ci_u32_e64 v14, null, v18, v14, vcc_lo
; %bb.113:
	s_wait_alu 0xfffe
	s_and_not1_saveexec_b32 s0, s0
; %bb.114:
	v_add_co_u32 v13, vcc_lo, v15, v36
	s_wait_alu 0xfffd
	v_add_co_ci_u32_e64 v14, null, 0, v16, vcc_lo
; %bb.115:
	s_wait_alu 0xfffe
	s_or_b32 exec_lo, exec_lo, s0
	s_delay_alu instid0(VALU_DEP_1) | instskip(SKIP_1) | instid1(VALU_DEP_1)
	v_lshlrev_b64_e32 v[13:14], 2, v[13:14]
	s_mov_b32 s0, exec_lo
	v_add_co_u32 v13, vcc_lo, s10, v13
	s_wait_alu 0xfffd
	s_delay_alu instid0(VALU_DEP_2)
	v_add_co_ci_u32_e64 v14, null, s11, v14, vcc_lo
	global_store_b32 v[13:14], v4, off
                                        ; implicit-def: $vgpr13_vgpr14
	v_cmpx_ge_u32_e64 v35, v19
	s_wait_alu 0xfffe
	s_xor_b32 s0, exec_lo, s0
; %bb.116:
	v_xor_b32_e32 v13, 0xfffff5ff, v0
	s_delay_alu instid0(VALU_DEP_1) | instskip(SKIP_2) | instid1(VALU_DEP_2)
	v_ashrrev_i32_e32 v14, 31, v13
	v_add_co_u32 v13, vcc_lo, v17, v13
	s_wait_alu 0xfffd
	v_add_co_ci_u32_e64 v14, null, v18, v14, vcc_lo
; %bb.117:
	s_wait_alu 0xfffe
	s_and_not1_saveexec_b32 s0, s0
; %bb.118:
	v_add_co_u32 v13, vcc_lo, v15, v35
	s_wait_alu 0xfffd
	v_add_co_ci_u32_e64 v14, null, 0, v16, vcc_lo
; %bb.119:
	s_wait_alu 0xfffe
	s_or_b32 exec_lo, exec_lo, s0
	s_delay_alu instid0(VALU_DEP_1) | instskip(SKIP_1) | instid1(VALU_DEP_1)
	v_lshlrev_b64_e32 v[13:14], 2, v[13:14]
	s_mov_b32 s0, exec_lo
	v_add_co_u32 v13, vcc_lo, s10, v13
	s_wait_alu 0xfffd
	s_delay_alu instid0(VALU_DEP_2)
	v_add_co_ci_u32_e64 v14, null, s11, v14, vcc_lo
	s_wait_dscnt 0x1
	global_store_b32 v[13:14], v1, off
                                        ; implicit-def: $vgpr13_vgpr14
	v_cmpx_ge_u32_e64 v34, v19
	s_wait_alu 0xfffe
	s_xor_b32 s0, exec_lo, s0
; %bb.120:
	v_xor_b32_e32 v13, 0xfffff4ff, v0
	s_delay_alu instid0(VALU_DEP_1) | instskip(SKIP_2) | instid1(VALU_DEP_2)
	v_ashrrev_i32_e32 v14, 31, v13
	v_add_co_u32 v13, vcc_lo, v17, v13
	s_wait_alu 0xfffd
	v_add_co_ci_u32_e64 v14, null, v18, v14, vcc_lo
; %bb.121:
	s_wait_alu 0xfffe
	s_and_not1_saveexec_b32 s0, s0
; %bb.122:
	v_add_co_u32 v13, vcc_lo, v15, v34
	s_wait_alu 0xfffd
	v_add_co_ci_u32_e64 v14, null, 0, v16, vcc_lo
; %bb.123:
	s_wait_alu 0xfffe
	s_or_b32 exec_lo, exec_lo, s0
	s_delay_alu instid0(VALU_DEP_1) | instskip(SKIP_1) | instid1(VALU_DEP_1)
	v_lshlrev_b64_e32 v[13:14], 2, v[13:14]
	s_mov_b32 s0, exec_lo
	v_add_co_u32 v13, vcc_lo, s10, v13
	s_wait_alu 0xfffd
	s_delay_alu instid0(VALU_DEP_2)
	v_add_co_ci_u32_e64 v14, null, s11, v14, vcc_lo
	global_store_b32 v[13:14], v2, off
                                        ; implicit-def: $vgpr13_vgpr14
	v_cmpx_ge_u32_e64 v33, v19
	s_wait_alu 0xfffe
	s_xor_b32 s0, exec_lo, s0
; %bb.124:
	v_xor_b32_e32 v13, 0xfffff3ff, v0
	s_delay_alu instid0(VALU_DEP_1) | instskip(SKIP_2) | instid1(VALU_DEP_2)
	v_ashrrev_i32_e32 v14, 31, v13
	v_add_co_u32 v13, vcc_lo, v17, v13
	s_wait_alu 0xfffd
	v_add_co_ci_u32_e64 v14, null, v18, v14, vcc_lo
; %bb.125:
	s_wait_alu 0xfffe
	s_and_not1_saveexec_b32 s0, s0
; %bb.126:
	v_add_co_u32 v13, vcc_lo, v15, v33
	s_wait_alu 0xfffd
	v_add_co_ci_u32_e64 v14, null, 0, v16, vcc_lo
; %bb.127:
	s_wait_alu 0xfffe
	s_or_b32 exec_lo, exec_lo, s0
	s_mov_b32 s0, -1
.LBB1322_128:
	s_wait_alu 0xfffe
	s_and_saveexec_b32 s1, s0
	s_cbranch_execz .LBB1322_211
.LBB1322_129:
	s_wait_dscnt 0x1
	v_lshlrev_b64_e32 v[0:1], 2, v[13:14]
	s_delay_alu instid0(VALU_DEP_1) | instskip(SKIP_1) | instid1(VALU_DEP_2)
	v_add_co_u32 v0, vcc_lo, s10, v0
	s_wait_alu 0xfffd
	v_add_co_ci_u32_e64 v1, null, s11, v1, vcc_lo
	s_wait_dscnt 0x0
	global_store_b32 v[0:1], v21, off
	s_wait_alu 0xfffe
	s_or_b32 exec_lo, exec_lo, s1
	s_and_b32 s0, s2, s9
	s_wait_alu 0xfffe
	s_and_saveexec_b32 s1, s0
	s_cbranch_execnz .LBB1322_212
.LBB1322_130:
	s_endpgm
.LBB1322_131:
	s_mov_b32 s0, 0
                                        ; implicit-def: $vgpr13_vgpr14
	s_cbranch_execz .LBB1322_128
; %bb.132:
	s_mov_b32 s15, 0
	s_wait_alu 0xfffe
	s_add_nc_u64 s[4:5], s[16:17], s[14:15]
	s_wait_alu 0xfffe
	s_sub_nc_u64 s[4:5], s[18:19], s[4:5]
	s_wait_alu 0xfffe
	v_add_co_u32 v13, s1, s4, v19
	s_wait_alu 0xf1ff
	v_add_co_ci_u32_e64 v14, null, s5, 0, s1
	s_mov_b32 s1, exec_lo
	v_add_co_u32 v17, vcc_lo, v13, v15
	s_wait_alu 0xfffd
	v_add_co_ci_u32_e64 v18, null, v14, v16, vcc_lo
	v_cmpx_gt_u32_e64 s22, v0
	s_cbranch_execz .LBB1322_168
; %bb.133:
	s_mov_b32 s3, exec_lo
                                        ; implicit-def: $vgpr13_vgpr14
	v_cmpx_ge_u32_e64 v0, v19
	s_wait_alu 0xfffe
	s_xor_b32 s3, exec_lo, s3
; %bb.134:
	v_not_b32_e32 v13, v0
	s_delay_alu instid0(VALU_DEP_1) | instskip(SKIP_2) | instid1(VALU_DEP_2)
	v_ashrrev_i32_e32 v14, 31, v13
	v_add_co_u32 v13, vcc_lo, v17, v13
	s_wait_alu 0xfffd
	v_add_co_ci_u32_e64 v14, null, v18, v14, vcc_lo
; %bb.135:
	s_wait_alu 0xfffe
	s_and_not1_saveexec_b32 s3, s3
; %bb.136:
	v_add_co_u32 v13, vcc_lo, v15, v0
	s_wait_alu 0xfffd
	v_add_co_ci_u32_e64 v14, null, 0, v16, vcc_lo
; %bb.137:
	s_wait_alu 0xfffe
	s_or_b32 exec_lo, exec_lo, s3
	s_delay_alu instid0(VALU_DEP_1) | instskip(NEXT) | instid1(VALU_DEP_1)
	v_lshlrev_b64_e32 v[13:14], 2, v[13:14]
	v_add_co_u32 v13, vcc_lo, s10, v13
	s_wait_alu 0xfffd
	s_delay_alu instid0(VALU_DEP_2) | instskip(SKIP_3) | instid1(SALU_CYCLE_1)
	v_add_co_ci_u32_e64 v14, null, s11, v14, vcc_lo
	s_wait_dscnt 0x6
	global_store_b32 v[13:14], v11, off
	s_or_b32 exec_lo, exec_lo, s1
	s_mov_b32 s1, exec_lo
	v_cmpx_gt_u32_e64 s22, v44
	s_cbranch_execnz .LBB1322_169
.LBB1322_138:
	s_wait_alu 0xfffe
	s_or_b32 exec_lo, exec_lo, s1
	s_delay_alu instid0(SALU_CYCLE_1)
	s_mov_b32 s1, exec_lo
	v_cmpx_gt_u32_e64 s22, v43
	s_cbranch_execz .LBB1322_174
.LBB1322_139:
	s_mov_b32 s3, exec_lo
                                        ; implicit-def: $vgpr11_vgpr12
	v_cmpx_ge_u32_e64 v43, v19
	s_wait_alu 0xfffe
	s_xor_b32 s3, exec_lo, s3
	s_cbranch_execz .LBB1322_141
; %bb.140:
	s_wait_dscnt 0x6
	v_xor_b32_e32 v11, 0xfffffdff, v0
                                        ; implicit-def: $vgpr43
	s_delay_alu instid0(VALU_DEP_1) | instskip(SKIP_2) | instid1(VALU_DEP_2)
	v_ashrrev_i32_e32 v12, 31, v11
	v_add_co_u32 v11, vcc_lo, v17, v11
	s_wait_alu 0xfffd
	v_add_co_ci_u32_e64 v12, null, v18, v12, vcc_lo
.LBB1322_141:
	s_wait_alu 0xfffe
	s_and_not1_saveexec_b32 s3, s3
	s_cbranch_execz .LBB1322_143
; %bb.142:
	s_wait_dscnt 0x6
	v_add_co_u32 v11, vcc_lo, v15, v43
	s_wait_alu 0xfffd
	v_add_co_ci_u32_e64 v12, null, 0, v16, vcc_lo
.LBB1322_143:
	s_wait_alu 0xfffe
	s_or_b32 exec_lo, exec_lo, s3
	s_wait_dscnt 0x6
	s_delay_alu instid0(VALU_DEP_1) | instskip(NEXT) | instid1(VALU_DEP_1)
	v_lshlrev_b64_e32 v[11:12], 2, v[11:12]
	v_add_co_u32 v11, vcc_lo, s10, v11
	s_wait_alu 0xfffd
	s_delay_alu instid0(VALU_DEP_2) | instskip(SKIP_3) | instid1(SALU_CYCLE_1)
	v_add_co_ci_u32_e64 v12, null, s11, v12, vcc_lo
	s_wait_dscnt 0x5
	global_store_b32 v[11:12], v9, off
	s_or_b32 exec_lo, exec_lo, s1
	s_mov_b32 s1, exec_lo
	v_cmpx_gt_u32_e64 s22, v42
	s_cbranch_execnz .LBB1322_175
.LBB1322_144:
	s_wait_alu 0xfffe
	s_or_b32 exec_lo, exec_lo, s1
	s_delay_alu instid0(SALU_CYCLE_1)
	s_mov_b32 s1, exec_lo
	v_cmpx_gt_u32_e64 s22, v41
	s_cbranch_execz .LBB1322_180
.LBB1322_145:
	s_mov_b32 s3, exec_lo
                                        ; implicit-def: $vgpr9_vgpr10
	v_cmpx_ge_u32_e64 v41, v19
	s_wait_alu 0xfffe
	s_xor_b32 s3, exec_lo, s3
	s_cbranch_execz .LBB1322_147
; %bb.146:
	s_wait_dscnt 0x5
	v_xor_b32_e32 v9, 0xfffffbff, v0
                                        ; implicit-def: $vgpr41
	s_delay_alu instid0(VALU_DEP_1) | instskip(SKIP_2) | instid1(VALU_DEP_2)
	v_ashrrev_i32_e32 v10, 31, v9
	v_add_co_u32 v9, vcc_lo, v17, v9
	s_wait_alu 0xfffd
	v_add_co_ci_u32_e64 v10, null, v18, v10, vcc_lo
.LBB1322_147:
	s_wait_alu 0xfffe
	s_and_not1_saveexec_b32 s3, s3
	s_cbranch_execz .LBB1322_149
; %bb.148:
	s_wait_dscnt 0x5
	v_add_co_u32 v9, vcc_lo, v15, v41
	s_wait_alu 0xfffd
	v_add_co_ci_u32_e64 v10, null, 0, v16, vcc_lo
.LBB1322_149:
	s_wait_alu 0xfffe
	s_or_b32 exec_lo, exec_lo, s3
	s_wait_dscnt 0x5
	s_delay_alu instid0(VALU_DEP_1) | instskip(NEXT) | instid1(VALU_DEP_1)
	v_lshlrev_b64_e32 v[9:10], 2, v[9:10]
	v_add_co_u32 v9, vcc_lo, s10, v9
	s_wait_alu 0xfffd
	s_delay_alu instid0(VALU_DEP_2) | instskip(SKIP_3) | instid1(SALU_CYCLE_1)
	v_add_co_ci_u32_e64 v10, null, s11, v10, vcc_lo
	s_wait_dscnt 0x4
	global_store_b32 v[9:10], v7, off
	s_or_b32 exec_lo, exec_lo, s1
	s_mov_b32 s1, exec_lo
	v_cmpx_gt_u32_e64 s22, v40
	s_cbranch_execnz .LBB1322_181
.LBB1322_150:
	s_wait_alu 0xfffe
	s_or_b32 exec_lo, exec_lo, s1
	s_delay_alu instid0(SALU_CYCLE_1)
	s_mov_b32 s1, exec_lo
	v_cmpx_gt_u32_e64 s22, v39
	s_cbranch_execz .LBB1322_186
.LBB1322_151:
	s_mov_b32 s3, exec_lo
                                        ; implicit-def: $vgpr7_vgpr8
	v_cmpx_ge_u32_e64 v39, v19
	s_wait_alu 0xfffe
	s_xor_b32 s3, exec_lo, s3
	s_cbranch_execz .LBB1322_153
; %bb.152:
	s_wait_dscnt 0x4
	v_xor_b32_e32 v7, 0xfffff9ff, v0
                                        ; implicit-def: $vgpr39
	s_delay_alu instid0(VALU_DEP_1) | instskip(SKIP_2) | instid1(VALU_DEP_2)
	v_ashrrev_i32_e32 v8, 31, v7
	v_add_co_u32 v7, vcc_lo, v17, v7
	s_wait_alu 0xfffd
	v_add_co_ci_u32_e64 v8, null, v18, v8, vcc_lo
.LBB1322_153:
	s_wait_alu 0xfffe
	s_and_not1_saveexec_b32 s3, s3
	s_cbranch_execz .LBB1322_155
; %bb.154:
	s_wait_dscnt 0x4
	v_add_co_u32 v7, vcc_lo, v15, v39
	s_wait_alu 0xfffd
	v_add_co_ci_u32_e64 v8, null, 0, v16, vcc_lo
.LBB1322_155:
	s_wait_alu 0xfffe
	s_or_b32 exec_lo, exec_lo, s3
	s_wait_dscnt 0x4
	s_delay_alu instid0(VALU_DEP_1) | instskip(NEXT) | instid1(VALU_DEP_1)
	v_lshlrev_b64_e32 v[7:8], 2, v[7:8]
	v_add_co_u32 v7, vcc_lo, s10, v7
	s_wait_alu 0xfffd
	s_delay_alu instid0(VALU_DEP_2) | instskip(SKIP_3) | instid1(SALU_CYCLE_1)
	v_add_co_ci_u32_e64 v8, null, s11, v8, vcc_lo
	s_wait_dscnt 0x3
	global_store_b32 v[7:8], v5, off
	s_or_b32 exec_lo, exec_lo, s1
	s_mov_b32 s1, exec_lo
	v_cmpx_gt_u32_e64 s22, v38
	s_cbranch_execnz .LBB1322_187
.LBB1322_156:
	s_wait_alu 0xfffe
	s_or_b32 exec_lo, exec_lo, s1
	s_delay_alu instid0(SALU_CYCLE_1)
	s_mov_b32 s1, exec_lo
	v_cmpx_gt_u32_e64 s22, v37
	s_cbranch_execz .LBB1322_192
.LBB1322_157:
	s_mov_b32 s3, exec_lo
                                        ; implicit-def: $vgpr5_vgpr6
	v_cmpx_ge_u32_e64 v37, v19
	s_wait_alu 0xfffe
	s_xor_b32 s3, exec_lo, s3
	s_cbranch_execz .LBB1322_159
; %bb.158:
	s_wait_dscnt 0x3
	v_xor_b32_e32 v5, 0xfffff7ff, v0
                                        ; implicit-def: $vgpr37
	s_delay_alu instid0(VALU_DEP_1) | instskip(SKIP_2) | instid1(VALU_DEP_2)
	v_ashrrev_i32_e32 v6, 31, v5
	v_add_co_u32 v5, vcc_lo, v17, v5
	s_wait_alu 0xfffd
	v_add_co_ci_u32_e64 v6, null, v18, v6, vcc_lo
.LBB1322_159:
	s_wait_alu 0xfffe
	s_and_not1_saveexec_b32 s3, s3
	s_cbranch_execz .LBB1322_161
; %bb.160:
	s_wait_dscnt 0x3
	v_add_co_u32 v5, vcc_lo, v15, v37
	s_wait_alu 0xfffd
	v_add_co_ci_u32_e64 v6, null, 0, v16, vcc_lo
.LBB1322_161:
	s_wait_alu 0xfffe
	s_or_b32 exec_lo, exec_lo, s3
	s_wait_dscnt 0x3
	s_delay_alu instid0(VALU_DEP_1) | instskip(NEXT) | instid1(VALU_DEP_1)
	v_lshlrev_b64_e32 v[5:6], 2, v[5:6]
	v_add_co_u32 v5, vcc_lo, s10, v5
	s_wait_alu 0xfffd
	s_delay_alu instid0(VALU_DEP_2) | instskip(SKIP_3) | instid1(SALU_CYCLE_1)
	v_add_co_ci_u32_e64 v6, null, s11, v6, vcc_lo
	s_wait_dscnt 0x2
	global_store_b32 v[5:6], v3, off
	s_or_b32 exec_lo, exec_lo, s1
	s_mov_b32 s1, exec_lo
	v_cmpx_gt_u32_e64 s22, v36
	s_cbranch_execnz .LBB1322_193
.LBB1322_162:
	s_wait_alu 0xfffe
	s_or_b32 exec_lo, exec_lo, s1
	s_delay_alu instid0(SALU_CYCLE_1)
	s_mov_b32 s1, exec_lo
	v_cmpx_gt_u32_e64 s22, v35
	s_cbranch_execz .LBB1322_198
.LBB1322_163:
	s_mov_b32 s3, exec_lo
                                        ; implicit-def: $vgpr3_vgpr4
	v_cmpx_ge_u32_e64 v35, v19
	s_wait_alu 0xfffe
	s_xor_b32 s3, exec_lo, s3
	s_cbranch_execz .LBB1322_165
; %bb.164:
	s_wait_dscnt 0x2
	v_xor_b32_e32 v3, 0xfffff5ff, v0
                                        ; implicit-def: $vgpr35
	s_delay_alu instid0(VALU_DEP_1) | instskip(SKIP_2) | instid1(VALU_DEP_2)
	v_ashrrev_i32_e32 v4, 31, v3
	v_add_co_u32 v3, vcc_lo, v17, v3
	s_wait_alu 0xfffd
	v_add_co_ci_u32_e64 v4, null, v18, v4, vcc_lo
.LBB1322_165:
	s_wait_alu 0xfffe
	s_and_not1_saveexec_b32 s3, s3
	s_cbranch_execz .LBB1322_167
; %bb.166:
	s_wait_dscnt 0x2
	v_add_co_u32 v3, vcc_lo, v15, v35
	s_wait_alu 0xfffd
	v_add_co_ci_u32_e64 v4, null, 0, v16, vcc_lo
.LBB1322_167:
	s_wait_alu 0xfffe
	s_or_b32 exec_lo, exec_lo, s3
	s_wait_dscnt 0x2
	s_delay_alu instid0(VALU_DEP_1) | instskip(NEXT) | instid1(VALU_DEP_1)
	v_lshlrev_b64_e32 v[3:4], 2, v[3:4]
	v_add_co_u32 v3, vcc_lo, s10, v3
	s_wait_alu 0xfffd
	s_delay_alu instid0(VALU_DEP_2) | instskip(SKIP_3) | instid1(SALU_CYCLE_1)
	v_add_co_ci_u32_e64 v4, null, s11, v4, vcc_lo
	s_wait_dscnt 0x1
	global_store_b32 v[3:4], v1, off
	s_or_b32 exec_lo, exec_lo, s1
	s_mov_b32 s1, exec_lo
	v_cmpx_gt_u32_e64 s22, v34
	s_cbranch_execz .LBB1322_204
	s_branch .LBB1322_199
.LBB1322_168:
	s_wait_alu 0xfffe
	s_or_b32 exec_lo, exec_lo, s1
	s_delay_alu instid0(SALU_CYCLE_1)
	s_mov_b32 s1, exec_lo
	v_cmpx_gt_u32_e64 s22, v44
	s_cbranch_execz .LBB1322_138
.LBB1322_169:
	s_mov_b32 s3, exec_lo
                                        ; implicit-def: $vgpr13_vgpr14
	v_cmpx_ge_u32_e64 v44, v19
	s_wait_alu 0xfffe
	s_xor_b32 s3, exec_lo, s3
	s_cbranch_execz .LBB1322_171
; %bb.170:
	s_wait_dscnt 0x6
	v_xor_b32_e32 v11, 0xfffffeff, v0
                                        ; implicit-def: $vgpr44
	s_delay_alu instid0(VALU_DEP_1) | instskip(SKIP_2) | instid1(VALU_DEP_2)
	v_ashrrev_i32_e32 v14, 31, v11
	v_add_co_u32 v13, vcc_lo, v17, v11
	s_wait_alu 0xfffd
	v_add_co_ci_u32_e64 v14, null, v18, v14, vcc_lo
.LBB1322_171:
	s_wait_alu 0xfffe
	s_and_not1_saveexec_b32 s3, s3
; %bb.172:
	v_add_co_u32 v13, vcc_lo, v15, v44
	s_wait_alu 0xfffd
	v_add_co_ci_u32_e64 v14, null, 0, v16, vcc_lo
; %bb.173:
	s_wait_alu 0xfffe
	s_or_b32 exec_lo, exec_lo, s3
	s_delay_alu instid0(VALU_DEP_1) | instskip(NEXT) | instid1(VALU_DEP_1)
	v_lshlrev_b64_e32 v[13:14], 2, v[13:14]
	v_add_co_u32 v13, vcc_lo, s10, v13
	s_wait_alu 0xfffd
	s_delay_alu instid0(VALU_DEP_2) | instskip(SKIP_3) | instid1(SALU_CYCLE_1)
	v_add_co_ci_u32_e64 v14, null, s11, v14, vcc_lo
	s_wait_dscnt 0x6
	global_store_b32 v[13:14], v12, off
	s_or_b32 exec_lo, exec_lo, s1
	s_mov_b32 s1, exec_lo
	v_cmpx_gt_u32_e64 s22, v43
	s_cbranch_execnz .LBB1322_139
.LBB1322_174:
	s_wait_alu 0xfffe
	s_or_b32 exec_lo, exec_lo, s1
	s_delay_alu instid0(SALU_CYCLE_1)
	s_mov_b32 s1, exec_lo
	v_cmpx_gt_u32_e64 s22, v42
	s_cbranch_execz .LBB1322_144
.LBB1322_175:
	s_mov_b32 s3, exec_lo
                                        ; implicit-def: $vgpr11_vgpr12
	v_cmpx_ge_u32_e64 v42, v19
	s_wait_alu 0xfffe
	s_xor_b32 s3, exec_lo, s3
	s_cbranch_execz .LBB1322_177
; %bb.176:
	s_wait_dscnt 0x5
	v_xor_b32_e32 v9, 0xfffffcff, v0
                                        ; implicit-def: $vgpr42
	s_delay_alu instid0(VALU_DEP_1) | instskip(SKIP_2) | instid1(VALU_DEP_2)
	v_ashrrev_i32_e32 v12, 31, v9
	v_add_co_u32 v11, vcc_lo, v17, v9
	s_wait_alu 0xfffd
	v_add_co_ci_u32_e64 v12, null, v18, v12, vcc_lo
.LBB1322_177:
	s_wait_alu 0xfffe
	s_and_not1_saveexec_b32 s3, s3
	s_cbranch_execz .LBB1322_179
; %bb.178:
	s_wait_dscnt 0x6
	v_add_co_u32 v11, vcc_lo, v15, v42
	s_wait_alu 0xfffd
	v_add_co_ci_u32_e64 v12, null, 0, v16, vcc_lo
.LBB1322_179:
	s_wait_alu 0xfffe
	s_or_b32 exec_lo, exec_lo, s3
	s_wait_dscnt 0x6
	s_delay_alu instid0(VALU_DEP_1) | instskip(NEXT) | instid1(VALU_DEP_1)
	v_lshlrev_b64_e32 v[11:12], 2, v[11:12]
	v_add_co_u32 v11, vcc_lo, s10, v11
	s_wait_alu 0xfffd
	s_delay_alu instid0(VALU_DEP_2) | instskip(SKIP_3) | instid1(SALU_CYCLE_1)
	v_add_co_ci_u32_e64 v12, null, s11, v12, vcc_lo
	s_wait_dscnt 0x5
	global_store_b32 v[11:12], v10, off
	s_or_b32 exec_lo, exec_lo, s1
	s_mov_b32 s1, exec_lo
	v_cmpx_gt_u32_e64 s22, v41
	s_cbranch_execnz .LBB1322_145
.LBB1322_180:
	s_wait_alu 0xfffe
	s_or_b32 exec_lo, exec_lo, s1
	s_delay_alu instid0(SALU_CYCLE_1)
	s_mov_b32 s1, exec_lo
	v_cmpx_gt_u32_e64 s22, v40
	s_cbranch_execz .LBB1322_150
.LBB1322_181:
	s_mov_b32 s3, exec_lo
                                        ; implicit-def: $vgpr9_vgpr10
	v_cmpx_ge_u32_e64 v40, v19
	s_wait_alu 0xfffe
	s_xor_b32 s3, exec_lo, s3
	s_cbranch_execz .LBB1322_183
; %bb.182:
	s_wait_dscnt 0x4
	v_xor_b32_e32 v7, 0xfffffaff, v0
                                        ; implicit-def: $vgpr40
	s_delay_alu instid0(VALU_DEP_1) | instskip(SKIP_2) | instid1(VALU_DEP_2)
	v_ashrrev_i32_e32 v10, 31, v7
	v_add_co_u32 v9, vcc_lo, v17, v7
	s_wait_alu 0xfffd
	v_add_co_ci_u32_e64 v10, null, v18, v10, vcc_lo
.LBB1322_183:
	s_wait_alu 0xfffe
	s_and_not1_saveexec_b32 s3, s3
	s_cbranch_execz .LBB1322_185
; %bb.184:
	s_wait_dscnt 0x5
	v_add_co_u32 v9, vcc_lo, v15, v40
	s_wait_alu 0xfffd
	v_add_co_ci_u32_e64 v10, null, 0, v16, vcc_lo
.LBB1322_185:
	s_wait_alu 0xfffe
	s_or_b32 exec_lo, exec_lo, s3
	s_wait_dscnt 0x5
	s_delay_alu instid0(VALU_DEP_1) | instskip(NEXT) | instid1(VALU_DEP_1)
	v_lshlrev_b64_e32 v[9:10], 2, v[9:10]
	v_add_co_u32 v9, vcc_lo, s10, v9
	s_wait_alu 0xfffd
	s_delay_alu instid0(VALU_DEP_2) | instskip(SKIP_3) | instid1(SALU_CYCLE_1)
	v_add_co_ci_u32_e64 v10, null, s11, v10, vcc_lo
	s_wait_dscnt 0x4
	global_store_b32 v[9:10], v8, off
	s_or_b32 exec_lo, exec_lo, s1
	s_mov_b32 s1, exec_lo
	v_cmpx_gt_u32_e64 s22, v39
	s_cbranch_execnz .LBB1322_151
.LBB1322_186:
	s_wait_alu 0xfffe
	s_or_b32 exec_lo, exec_lo, s1
	s_delay_alu instid0(SALU_CYCLE_1)
	s_mov_b32 s1, exec_lo
	v_cmpx_gt_u32_e64 s22, v38
	s_cbranch_execz .LBB1322_156
.LBB1322_187:
	s_mov_b32 s3, exec_lo
                                        ; implicit-def: $vgpr7_vgpr8
	v_cmpx_ge_u32_e64 v38, v19
	s_wait_alu 0xfffe
	s_xor_b32 s3, exec_lo, s3
	s_cbranch_execz .LBB1322_189
; %bb.188:
	s_wait_dscnt 0x3
	v_xor_b32_e32 v5, 0xfffff8ff, v0
                                        ; implicit-def: $vgpr38
	s_delay_alu instid0(VALU_DEP_1) | instskip(SKIP_2) | instid1(VALU_DEP_2)
	v_ashrrev_i32_e32 v8, 31, v5
	v_add_co_u32 v7, vcc_lo, v17, v5
	s_wait_alu 0xfffd
	v_add_co_ci_u32_e64 v8, null, v18, v8, vcc_lo
.LBB1322_189:
	s_wait_alu 0xfffe
	s_and_not1_saveexec_b32 s3, s3
	s_cbranch_execz .LBB1322_191
; %bb.190:
	s_wait_dscnt 0x4
	v_add_co_u32 v7, vcc_lo, v15, v38
	s_wait_alu 0xfffd
	v_add_co_ci_u32_e64 v8, null, 0, v16, vcc_lo
.LBB1322_191:
	s_wait_alu 0xfffe
	s_or_b32 exec_lo, exec_lo, s3
	s_wait_dscnt 0x4
	s_delay_alu instid0(VALU_DEP_1) | instskip(NEXT) | instid1(VALU_DEP_1)
	v_lshlrev_b64_e32 v[7:8], 2, v[7:8]
	v_add_co_u32 v7, vcc_lo, s10, v7
	s_wait_alu 0xfffd
	s_delay_alu instid0(VALU_DEP_2) | instskip(SKIP_3) | instid1(SALU_CYCLE_1)
	v_add_co_ci_u32_e64 v8, null, s11, v8, vcc_lo
	s_wait_dscnt 0x3
	global_store_b32 v[7:8], v6, off
	s_or_b32 exec_lo, exec_lo, s1
	s_mov_b32 s1, exec_lo
	v_cmpx_gt_u32_e64 s22, v37
	s_cbranch_execnz .LBB1322_157
.LBB1322_192:
	s_wait_alu 0xfffe
	s_or_b32 exec_lo, exec_lo, s1
	s_delay_alu instid0(SALU_CYCLE_1)
	s_mov_b32 s1, exec_lo
	v_cmpx_gt_u32_e64 s22, v36
	s_cbranch_execz .LBB1322_162
.LBB1322_193:
	s_mov_b32 s3, exec_lo
                                        ; implicit-def: $vgpr5_vgpr6
	v_cmpx_ge_u32_e64 v36, v19
	s_wait_alu 0xfffe
	s_xor_b32 s3, exec_lo, s3
	s_cbranch_execz .LBB1322_195
; %bb.194:
	s_wait_dscnt 0x2
	v_xor_b32_e32 v3, 0xfffff6ff, v0
                                        ; implicit-def: $vgpr36
	s_delay_alu instid0(VALU_DEP_1) | instskip(SKIP_2) | instid1(VALU_DEP_2)
	v_ashrrev_i32_e32 v6, 31, v3
	v_add_co_u32 v5, vcc_lo, v17, v3
	s_wait_alu 0xfffd
	v_add_co_ci_u32_e64 v6, null, v18, v6, vcc_lo
.LBB1322_195:
	s_wait_alu 0xfffe
	s_and_not1_saveexec_b32 s3, s3
	s_cbranch_execz .LBB1322_197
; %bb.196:
	s_wait_dscnt 0x3
	v_add_co_u32 v5, vcc_lo, v15, v36
	s_wait_alu 0xfffd
	v_add_co_ci_u32_e64 v6, null, 0, v16, vcc_lo
.LBB1322_197:
	s_wait_alu 0xfffe
	s_or_b32 exec_lo, exec_lo, s3
	s_wait_dscnt 0x3
	s_delay_alu instid0(VALU_DEP_1) | instskip(NEXT) | instid1(VALU_DEP_1)
	v_lshlrev_b64_e32 v[5:6], 2, v[5:6]
	v_add_co_u32 v5, vcc_lo, s10, v5
	s_wait_alu 0xfffd
	s_delay_alu instid0(VALU_DEP_2) | instskip(SKIP_3) | instid1(SALU_CYCLE_1)
	v_add_co_ci_u32_e64 v6, null, s11, v6, vcc_lo
	s_wait_dscnt 0x2
	global_store_b32 v[5:6], v4, off
	s_or_b32 exec_lo, exec_lo, s1
	s_mov_b32 s1, exec_lo
	v_cmpx_gt_u32_e64 s22, v35
	s_cbranch_execnz .LBB1322_163
.LBB1322_198:
	s_wait_alu 0xfffe
	s_or_b32 exec_lo, exec_lo, s1
	s_delay_alu instid0(SALU_CYCLE_1)
	s_mov_b32 s1, exec_lo
	v_cmpx_gt_u32_e64 s22, v34
	s_cbranch_execz .LBB1322_204
.LBB1322_199:
	s_mov_b32 s3, exec_lo
                                        ; implicit-def: $vgpr3_vgpr4
	v_cmpx_ge_u32_e64 v34, v19
	s_wait_alu 0xfffe
	s_xor_b32 s3, exec_lo, s3
	s_cbranch_execz .LBB1322_201
; %bb.200:
	s_wait_dscnt 0x1
	v_xor_b32_e32 v1, 0xfffff4ff, v0
                                        ; implicit-def: $vgpr34
	s_delay_alu instid0(VALU_DEP_1) | instskip(SKIP_2) | instid1(VALU_DEP_2)
	v_ashrrev_i32_e32 v4, 31, v1
	v_add_co_u32 v3, vcc_lo, v17, v1
	s_wait_alu 0xfffd
	v_add_co_ci_u32_e64 v4, null, v18, v4, vcc_lo
.LBB1322_201:
	s_wait_alu 0xfffe
	s_and_not1_saveexec_b32 s3, s3
	s_cbranch_execz .LBB1322_203
; %bb.202:
	s_wait_dscnt 0x2
	v_add_co_u32 v3, vcc_lo, v15, v34
	s_wait_alu 0xfffd
	v_add_co_ci_u32_e64 v4, null, 0, v16, vcc_lo
.LBB1322_203:
	s_wait_alu 0xfffe
	s_or_b32 exec_lo, exec_lo, s3
	s_wait_dscnt 0x2
	s_delay_alu instid0(VALU_DEP_1) | instskip(NEXT) | instid1(VALU_DEP_1)
	v_lshlrev_b64_e32 v[3:4], 2, v[3:4]
	v_add_co_u32 v3, vcc_lo, s10, v3
	s_wait_alu 0xfffd
	s_delay_alu instid0(VALU_DEP_2)
	v_add_co_ci_u32_e64 v4, null, s11, v4, vcc_lo
	s_wait_dscnt 0x1
	global_store_b32 v[3:4], v2, off
.LBB1322_204:
	s_wait_alu 0xfffe
	s_or_b32 exec_lo, exec_lo, s1
	s_delay_alu instid0(SALU_CYCLE_1)
	s_mov_b32 s1, exec_lo
                                        ; implicit-def: $vgpr13_vgpr14
	v_cmpx_gt_u32_e64 s22, v33
	s_cbranch_execz .LBB1322_210
; %bb.205:
	s_mov_b32 s3, exec_lo
                                        ; implicit-def: $vgpr13_vgpr14
	v_cmpx_ge_u32_e64 v33, v19
	s_wait_alu 0xfffe
	s_xor_b32 s3, exec_lo, s3
	s_cbranch_execz .LBB1322_207
; %bb.206:
	v_xor_b32_e32 v0, 0xfffff3ff, v0
                                        ; implicit-def: $vgpr33
	s_wait_dscnt 0x1
	s_delay_alu instid0(VALU_DEP_1) | instskip(SKIP_2) | instid1(VALU_DEP_2)
	v_ashrrev_i32_e32 v1, 31, v0
	v_add_co_u32 v13, vcc_lo, v17, v0
	s_wait_alu 0xfffd
	v_add_co_ci_u32_e64 v14, null, v18, v1, vcc_lo
.LBB1322_207:
	s_wait_alu 0xfffe
	s_and_not1_saveexec_b32 s3, s3
; %bb.208:
	v_add_co_u32 v13, vcc_lo, v15, v33
	s_wait_alu 0xfffd
	v_add_co_ci_u32_e64 v14, null, 0, v16, vcc_lo
; %bb.209:
	s_wait_alu 0xfffe
	s_or_b32 exec_lo, exec_lo, s3
	s_delay_alu instid0(SALU_CYCLE_1)
	s_or_b32 s0, s0, exec_lo
.LBB1322_210:
	s_wait_alu 0xfffe
	s_or_b32 exec_lo, exec_lo, s1
	s_and_saveexec_b32 s1, s0
	s_cbranch_execnz .LBB1322_129
.LBB1322_211:
	s_wait_alu 0xfffe
	s_or_b32 exec_lo, exec_lo, s1
	s_and_b32 s0, s2, s9
	s_wait_alu 0xfffe
	s_and_saveexec_b32 s1, s0
	s_cbranch_execz .LBB1322_130
.LBB1322_212:
	v_add_co_u32 v0, vcc_lo, v15, v19
	s_wait_dscnt 0x1
	v_mov_b32_e32 v2, 0
	s_wait_alu 0xfffd
	v_add_co_ci_u32_e64 v1, null, 0, v16, vcc_lo
	global_store_b64 v2, v[0:1], s[12:13]
	s_endpgm
	.section	.rodata,"a",@progbits
	.p2align	6, 0x0
	.amdhsa_kernel _ZN7rocprim17ROCPRIM_400000_NS6detail17trampoline_kernelINS0_13select_configILj256ELj13ELNS0_17block_load_methodE3ELS4_3ELS4_3ELNS0_20block_scan_algorithmE0ELj4294967295EEENS1_25partition_config_selectorILNS1_17partition_subalgoE3EjNS0_10empty_typeEbEEZZNS1_14partition_implILS8_3ELb0ES6_jNS0_17counting_iteratorIjlEEPS9_SE_NS0_5tupleIJPjSE_EEENSF_IJSE_SE_EEES9_SG_JZNS1_25segmented_radix_sort_implINS0_14default_configELb1EPKfPfPKlPlN2at6native12_GLOBAL__N_18offset_tEEE10hipError_tPvRmT1_PNSt15iterator_traitsISY_E10value_typeET2_T3_PNSZ_IS14_E10value_typeET4_jRbjT5_S1A_jjP12ihipStream_tbEUljE_EEESV_SW_SX_S14_S18_S1A_T6_T7_T9_mT8_S1C_bDpT10_ENKUlT_T0_E_clISt17integral_constantIbLb0EES1O_IbLb1EEEEDaS1K_S1L_EUlS1K_E_NS1_11comp_targetILNS1_3genE10ELNS1_11target_archE1200ELNS1_3gpuE4ELNS1_3repE0EEENS1_30default_config_static_selectorELNS0_4arch9wavefront6targetE0EEEvSY_
		.amdhsa_group_segment_fixed_size 13320
		.amdhsa_private_segment_fixed_size 0
		.amdhsa_kernarg_size 152
		.amdhsa_user_sgpr_count 2
		.amdhsa_user_sgpr_dispatch_ptr 0
		.amdhsa_user_sgpr_queue_ptr 0
		.amdhsa_user_sgpr_kernarg_segment_ptr 1
		.amdhsa_user_sgpr_dispatch_id 0
		.amdhsa_user_sgpr_private_segment_size 0
		.amdhsa_wavefront_size32 1
		.amdhsa_uses_dynamic_stack 0
		.amdhsa_enable_private_segment 0
		.amdhsa_system_sgpr_workgroup_id_x 1
		.amdhsa_system_sgpr_workgroup_id_y 0
		.amdhsa_system_sgpr_workgroup_id_z 0
		.amdhsa_system_sgpr_workgroup_info 0
		.amdhsa_system_vgpr_workitem_id 0
		.amdhsa_next_free_vgpr 71
		.amdhsa_next_free_sgpr 26
		.amdhsa_reserve_vcc 1
		.amdhsa_float_round_mode_32 0
		.amdhsa_float_round_mode_16_64 0
		.amdhsa_float_denorm_mode_32 3
		.amdhsa_float_denorm_mode_16_64 3
		.amdhsa_fp16_overflow 0
		.amdhsa_workgroup_processor_mode 1
		.amdhsa_memory_ordered 1
		.amdhsa_forward_progress 1
		.amdhsa_inst_pref_size 86
		.amdhsa_round_robin_scheduling 0
		.amdhsa_exception_fp_ieee_invalid_op 0
		.amdhsa_exception_fp_denorm_src 0
		.amdhsa_exception_fp_ieee_div_zero 0
		.amdhsa_exception_fp_ieee_overflow 0
		.amdhsa_exception_fp_ieee_underflow 0
		.amdhsa_exception_fp_ieee_inexact 0
		.amdhsa_exception_int_div_zero 0
	.end_amdhsa_kernel
	.section	.text._ZN7rocprim17ROCPRIM_400000_NS6detail17trampoline_kernelINS0_13select_configILj256ELj13ELNS0_17block_load_methodE3ELS4_3ELS4_3ELNS0_20block_scan_algorithmE0ELj4294967295EEENS1_25partition_config_selectorILNS1_17partition_subalgoE3EjNS0_10empty_typeEbEEZZNS1_14partition_implILS8_3ELb0ES6_jNS0_17counting_iteratorIjlEEPS9_SE_NS0_5tupleIJPjSE_EEENSF_IJSE_SE_EEES9_SG_JZNS1_25segmented_radix_sort_implINS0_14default_configELb1EPKfPfPKlPlN2at6native12_GLOBAL__N_18offset_tEEE10hipError_tPvRmT1_PNSt15iterator_traitsISY_E10value_typeET2_T3_PNSZ_IS14_E10value_typeET4_jRbjT5_S1A_jjP12ihipStream_tbEUljE_EEESV_SW_SX_S14_S18_S1A_T6_T7_T9_mT8_S1C_bDpT10_ENKUlT_T0_E_clISt17integral_constantIbLb0EES1O_IbLb1EEEEDaS1K_S1L_EUlS1K_E_NS1_11comp_targetILNS1_3genE10ELNS1_11target_archE1200ELNS1_3gpuE4ELNS1_3repE0EEENS1_30default_config_static_selectorELNS0_4arch9wavefront6targetE0EEEvSY_,"axG",@progbits,_ZN7rocprim17ROCPRIM_400000_NS6detail17trampoline_kernelINS0_13select_configILj256ELj13ELNS0_17block_load_methodE3ELS4_3ELS4_3ELNS0_20block_scan_algorithmE0ELj4294967295EEENS1_25partition_config_selectorILNS1_17partition_subalgoE3EjNS0_10empty_typeEbEEZZNS1_14partition_implILS8_3ELb0ES6_jNS0_17counting_iteratorIjlEEPS9_SE_NS0_5tupleIJPjSE_EEENSF_IJSE_SE_EEES9_SG_JZNS1_25segmented_radix_sort_implINS0_14default_configELb1EPKfPfPKlPlN2at6native12_GLOBAL__N_18offset_tEEE10hipError_tPvRmT1_PNSt15iterator_traitsISY_E10value_typeET2_T3_PNSZ_IS14_E10value_typeET4_jRbjT5_S1A_jjP12ihipStream_tbEUljE_EEESV_SW_SX_S14_S18_S1A_T6_T7_T9_mT8_S1C_bDpT10_ENKUlT_T0_E_clISt17integral_constantIbLb0EES1O_IbLb1EEEEDaS1K_S1L_EUlS1K_E_NS1_11comp_targetILNS1_3genE10ELNS1_11target_archE1200ELNS1_3gpuE4ELNS1_3repE0EEENS1_30default_config_static_selectorELNS0_4arch9wavefront6targetE0EEEvSY_,comdat
.Lfunc_end1322:
	.size	_ZN7rocprim17ROCPRIM_400000_NS6detail17trampoline_kernelINS0_13select_configILj256ELj13ELNS0_17block_load_methodE3ELS4_3ELS4_3ELNS0_20block_scan_algorithmE0ELj4294967295EEENS1_25partition_config_selectorILNS1_17partition_subalgoE3EjNS0_10empty_typeEbEEZZNS1_14partition_implILS8_3ELb0ES6_jNS0_17counting_iteratorIjlEEPS9_SE_NS0_5tupleIJPjSE_EEENSF_IJSE_SE_EEES9_SG_JZNS1_25segmented_radix_sort_implINS0_14default_configELb1EPKfPfPKlPlN2at6native12_GLOBAL__N_18offset_tEEE10hipError_tPvRmT1_PNSt15iterator_traitsISY_E10value_typeET2_T3_PNSZ_IS14_E10value_typeET4_jRbjT5_S1A_jjP12ihipStream_tbEUljE_EEESV_SW_SX_S14_S18_S1A_T6_T7_T9_mT8_S1C_bDpT10_ENKUlT_T0_E_clISt17integral_constantIbLb0EES1O_IbLb1EEEEDaS1K_S1L_EUlS1K_E_NS1_11comp_targetILNS1_3genE10ELNS1_11target_archE1200ELNS1_3gpuE4ELNS1_3repE0EEENS1_30default_config_static_selectorELNS0_4arch9wavefront6targetE0EEEvSY_, .Lfunc_end1322-_ZN7rocprim17ROCPRIM_400000_NS6detail17trampoline_kernelINS0_13select_configILj256ELj13ELNS0_17block_load_methodE3ELS4_3ELS4_3ELNS0_20block_scan_algorithmE0ELj4294967295EEENS1_25partition_config_selectorILNS1_17partition_subalgoE3EjNS0_10empty_typeEbEEZZNS1_14partition_implILS8_3ELb0ES6_jNS0_17counting_iteratorIjlEEPS9_SE_NS0_5tupleIJPjSE_EEENSF_IJSE_SE_EEES9_SG_JZNS1_25segmented_radix_sort_implINS0_14default_configELb1EPKfPfPKlPlN2at6native12_GLOBAL__N_18offset_tEEE10hipError_tPvRmT1_PNSt15iterator_traitsISY_E10value_typeET2_T3_PNSZ_IS14_E10value_typeET4_jRbjT5_S1A_jjP12ihipStream_tbEUljE_EEESV_SW_SX_S14_S18_S1A_T6_T7_T9_mT8_S1C_bDpT10_ENKUlT_T0_E_clISt17integral_constantIbLb0EES1O_IbLb1EEEEDaS1K_S1L_EUlS1K_E_NS1_11comp_targetILNS1_3genE10ELNS1_11target_archE1200ELNS1_3gpuE4ELNS1_3repE0EEENS1_30default_config_static_selectorELNS0_4arch9wavefront6targetE0EEEvSY_
                                        ; -- End function
	.set _ZN7rocprim17ROCPRIM_400000_NS6detail17trampoline_kernelINS0_13select_configILj256ELj13ELNS0_17block_load_methodE3ELS4_3ELS4_3ELNS0_20block_scan_algorithmE0ELj4294967295EEENS1_25partition_config_selectorILNS1_17partition_subalgoE3EjNS0_10empty_typeEbEEZZNS1_14partition_implILS8_3ELb0ES6_jNS0_17counting_iteratorIjlEEPS9_SE_NS0_5tupleIJPjSE_EEENSF_IJSE_SE_EEES9_SG_JZNS1_25segmented_radix_sort_implINS0_14default_configELb1EPKfPfPKlPlN2at6native12_GLOBAL__N_18offset_tEEE10hipError_tPvRmT1_PNSt15iterator_traitsISY_E10value_typeET2_T3_PNSZ_IS14_E10value_typeET4_jRbjT5_S1A_jjP12ihipStream_tbEUljE_EEESV_SW_SX_S14_S18_S1A_T6_T7_T9_mT8_S1C_bDpT10_ENKUlT_T0_E_clISt17integral_constantIbLb0EES1O_IbLb1EEEEDaS1K_S1L_EUlS1K_E_NS1_11comp_targetILNS1_3genE10ELNS1_11target_archE1200ELNS1_3gpuE4ELNS1_3repE0EEENS1_30default_config_static_selectorELNS0_4arch9wavefront6targetE0EEEvSY_.num_vgpr, 71
	.set _ZN7rocprim17ROCPRIM_400000_NS6detail17trampoline_kernelINS0_13select_configILj256ELj13ELNS0_17block_load_methodE3ELS4_3ELS4_3ELNS0_20block_scan_algorithmE0ELj4294967295EEENS1_25partition_config_selectorILNS1_17partition_subalgoE3EjNS0_10empty_typeEbEEZZNS1_14partition_implILS8_3ELb0ES6_jNS0_17counting_iteratorIjlEEPS9_SE_NS0_5tupleIJPjSE_EEENSF_IJSE_SE_EEES9_SG_JZNS1_25segmented_radix_sort_implINS0_14default_configELb1EPKfPfPKlPlN2at6native12_GLOBAL__N_18offset_tEEE10hipError_tPvRmT1_PNSt15iterator_traitsISY_E10value_typeET2_T3_PNSZ_IS14_E10value_typeET4_jRbjT5_S1A_jjP12ihipStream_tbEUljE_EEESV_SW_SX_S14_S18_S1A_T6_T7_T9_mT8_S1C_bDpT10_ENKUlT_T0_E_clISt17integral_constantIbLb0EES1O_IbLb1EEEEDaS1K_S1L_EUlS1K_E_NS1_11comp_targetILNS1_3genE10ELNS1_11target_archE1200ELNS1_3gpuE4ELNS1_3repE0EEENS1_30default_config_static_selectorELNS0_4arch9wavefront6targetE0EEEvSY_.num_agpr, 0
	.set _ZN7rocprim17ROCPRIM_400000_NS6detail17trampoline_kernelINS0_13select_configILj256ELj13ELNS0_17block_load_methodE3ELS4_3ELS4_3ELNS0_20block_scan_algorithmE0ELj4294967295EEENS1_25partition_config_selectorILNS1_17partition_subalgoE3EjNS0_10empty_typeEbEEZZNS1_14partition_implILS8_3ELb0ES6_jNS0_17counting_iteratorIjlEEPS9_SE_NS0_5tupleIJPjSE_EEENSF_IJSE_SE_EEES9_SG_JZNS1_25segmented_radix_sort_implINS0_14default_configELb1EPKfPfPKlPlN2at6native12_GLOBAL__N_18offset_tEEE10hipError_tPvRmT1_PNSt15iterator_traitsISY_E10value_typeET2_T3_PNSZ_IS14_E10value_typeET4_jRbjT5_S1A_jjP12ihipStream_tbEUljE_EEESV_SW_SX_S14_S18_S1A_T6_T7_T9_mT8_S1C_bDpT10_ENKUlT_T0_E_clISt17integral_constantIbLb0EES1O_IbLb1EEEEDaS1K_S1L_EUlS1K_E_NS1_11comp_targetILNS1_3genE10ELNS1_11target_archE1200ELNS1_3gpuE4ELNS1_3repE0EEENS1_30default_config_static_selectorELNS0_4arch9wavefront6targetE0EEEvSY_.numbered_sgpr, 26
	.set _ZN7rocprim17ROCPRIM_400000_NS6detail17trampoline_kernelINS0_13select_configILj256ELj13ELNS0_17block_load_methodE3ELS4_3ELS4_3ELNS0_20block_scan_algorithmE0ELj4294967295EEENS1_25partition_config_selectorILNS1_17partition_subalgoE3EjNS0_10empty_typeEbEEZZNS1_14partition_implILS8_3ELb0ES6_jNS0_17counting_iteratorIjlEEPS9_SE_NS0_5tupleIJPjSE_EEENSF_IJSE_SE_EEES9_SG_JZNS1_25segmented_radix_sort_implINS0_14default_configELb1EPKfPfPKlPlN2at6native12_GLOBAL__N_18offset_tEEE10hipError_tPvRmT1_PNSt15iterator_traitsISY_E10value_typeET2_T3_PNSZ_IS14_E10value_typeET4_jRbjT5_S1A_jjP12ihipStream_tbEUljE_EEESV_SW_SX_S14_S18_S1A_T6_T7_T9_mT8_S1C_bDpT10_ENKUlT_T0_E_clISt17integral_constantIbLb0EES1O_IbLb1EEEEDaS1K_S1L_EUlS1K_E_NS1_11comp_targetILNS1_3genE10ELNS1_11target_archE1200ELNS1_3gpuE4ELNS1_3repE0EEENS1_30default_config_static_selectorELNS0_4arch9wavefront6targetE0EEEvSY_.num_named_barrier, 0
	.set _ZN7rocprim17ROCPRIM_400000_NS6detail17trampoline_kernelINS0_13select_configILj256ELj13ELNS0_17block_load_methodE3ELS4_3ELS4_3ELNS0_20block_scan_algorithmE0ELj4294967295EEENS1_25partition_config_selectorILNS1_17partition_subalgoE3EjNS0_10empty_typeEbEEZZNS1_14partition_implILS8_3ELb0ES6_jNS0_17counting_iteratorIjlEEPS9_SE_NS0_5tupleIJPjSE_EEENSF_IJSE_SE_EEES9_SG_JZNS1_25segmented_radix_sort_implINS0_14default_configELb1EPKfPfPKlPlN2at6native12_GLOBAL__N_18offset_tEEE10hipError_tPvRmT1_PNSt15iterator_traitsISY_E10value_typeET2_T3_PNSZ_IS14_E10value_typeET4_jRbjT5_S1A_jjP12ihipStream_tbEUljE_EEESV_SW_SX_S14_S18_S1A_T6_T7_T9_mT8_S1C_bDpT10_ENKUlT_T0_E_clISt17integral_constantIbLb0EES1O_IbLb1EEEEDaS1K_S1L_EUlS1K_E_NS1_11comp_targetILNS1_3genE10ELNS1_11target_archE1200ELNS1_3gpuE4ELNS1_3repE0EEENS1_30default_config_static_selectorELNS0_4arch9wavefront6targetE0EEEvSY_.private_seg_size, 0
	.set _ZN7rocprim17ROCPRIM_400000_NS6detail17trampoline_kernelINS0_13select_configILj256ELj13ELNS0_17block_load_methodE3ELS4_3ELS4_3ELNS0_20block_scan_algorithmE0ELj4294967295EEENS1_25partition_config_selectorILNS1_17partition_subalgoE3EjNS0_10empty_typeEbEEZZNS1_14partition_implILS8_3ELb0ES6_jNS0_17counting_iteratorIjlEEPS9_SE_NS0_5tupleIJPjSE_EEENSF_IJSE_SE_EEES9_SG_JZNS1_25segmented_radix_sort_implINS0_14default_configELb1EPKfPfPKlPlN2at6native12_GLOBAL__N_18offset_tEEE10hipError_tPvRmT1_PNSt15iterator_traitsISY_E10value_typeET2_T3_PNSZ_IS14_E10value_typeET4_jRbjT5_S1A_jjP12ihipStream_tbEUljE_EEESV_SW_SX_S14_S18_S1A_T6_T7_T9_mT8_S1C_bDpT10_ENKUlT_T0_E_clISt17integral_constantIbLb0EES1O_IbLb1EEEEDaS1K_S1L_EUlS1K_E_NS1_11comp_targetILNS1_3genE10ELNS1_11target_archE1200ELNS1_3gpuE4ELNS1_3repE0EEENS1_30default_config_static_selectorELNS0_4arch9wavefront6targetE0EEEvSY_.uses_vcc, 1
	.set _ZN7rocprim17ROCPRIM_400000_NS6detail17trampoline_kernelINS0_13select_configILj256ELj13ELNS0_17block_load_methodE3ELS4_3ELS4_3ELNS0_20block_scan_algorithmE0ELj4294967295EEENS1_25partition_config_selectorILNS1_17partition_subalgoE3EjNS0_10empty_typeEbEEZZNS1_14partition_implILS8_3ELb0ES6_jNS0_17counting_iteratorIjlEEPS9_SE_NS0_5tupleIJPjSE_EEENSF_IJSE_SE_EEES9_SG_JZNS1_25segmented_radix_sort_implINS0_14default_configELb1EPKfPfPKlPlN2at6native12_GLOBAL__N_18offset_tEEE10hipError_tPvRmT1_PNSt15iterator_traitsISY_E10value_typeET2_T3_PNSZ_IS14_E10value_typeET4_jRbjT5_S1A_jjP12ihipStream_tbEUljE_EEESV_SW_SX_S14_S18_S1A_T6_T7_T9_mT8_S1C_bDpT10_ENKUlT_T0_E_clISt17integral_constantIbLb0EES1O_IbLb1EEEEDaS1K_S1L_EUlS1K_E_NS1_11comp_targetILNS1_3genE10ELNS1_11target_archE1200ELNS1_3gpuE4ELNS1_3repE0EEENS1_30default_config_static_selectorELNS0_4arch9wavefront6targetE0EEEvSY_.uses_flat_scratch, 0
	.set _ZN7rocprim17ROCPRIM_400000_NS6detail17trampoline_kernelINS0_13select_configILj256ELj13ELNS0_17block_load_methodE3ELS4_3ELS4_3ELNS0_20block_scan_algorithmE0ELj4294967295EEENS1_25partition_config_selectorILNS1_17partition_subalgoE3EjNS0_10empty_typeEbEEZZNS1_14partition_implILS8_3ELb0ES6_jNS0_17counting_iteratorIjlEEPS9_SE_NS0_5tupleIJPjSE_EEENSF_IJSE_SE_EEES9_SG_JZNS1_25segmented_radix_sort_implINS0_14default_configELb1EPKfPfPKlPlN2at6native12_GLOBAL__N_18offset_tEEE10hipError_tPvRmT1_PNSt15iterator_traitsISY_E10value_typeET2_T3_PNSZ_IS14_E10value_typeET4_jRbjT5_S1A_jjP12ihipStream_tbEUljE_EEESV_SW_SX_S14_S18_S1A_T6_T7_T9_mT8_S1C_bDpT10_ENKUlT_T0_E_clISt17integral_constantIbLb0EES1O_IbLb1EEEEDaS1K_S1L_EUlS1K_E_NS1_11comp_targetILNS1_3genE10ELNS1_11target_archE1200ELNS1_3gpuE4ELNS1_3repE0EEENS1_30default_config_static_selectorELNS0_4arch9wavefront6targetE0EEEvSY_.has_dyn_sized_stack, 0
	.set _ZN7rocprim17ROCPRIM_400000_NS6detail17trampoline_kernelINS0_13select_configILj256ELj13ELNS0_17block_load_methodE3ELS4_3ELS4_3ELNS0_20block_scan_algorithmE0ELj4294967295EEENS1_25partition_config_selectorILNS1_17partition_subalgoE3EjNS0_10empty_typeEbEEZZNS1_14partition_implILS8_3ELb0ES6_jNS0_17counting_iteratorIjlEEPS9_SE_NS0_5tupleIJPjSE_EEENSF_IJSE_SE_EEES9_SG_JZNS1_25segmented_radix_sort_implINS0_14default_configELb1EPKfPfPKlPlN2at6native12_GLOBAL__N_18offset_tEEE10hipError_tPvRmT1_PNSt15iterator_traitsISY_E10value_typeET2_T3_PNSZ_IS14_E10value_typeET4_jRbjT5_S1A_jjP12ihipStream_tbEUljE_EEESV_SW_SX_S14_S18_S1A_T6_T7_T9_mT8_S1C_bDpT10_ENKUlT_T0_E_clISt17integral_constantIbLb0EES1O_IbLb1EEEEDaS1K_S1L_EUlS1K_E_NS1_11comp_targetILNS1_3genE10ELNS1_11target_archE1200ELNS1_3gpuE4ELNS1_3repE0EEENS1_30default_config_static_selectorELNS0_4arch9wavefront6targetE0EEEvSY_.has_recursion, 0
	.set _ZN7rocprim17ROCPRIM_400000_NS6detail17trampoline_kernelINS0_13select_configILj256ELj13ELNS0_17block_load_methodE3ELS4_3ELS4_3ELNS0_20block_scan_algorithmE0ELj4294967295EEENS1_25partition_config_selectorILNS1_17partition_subalgoE3EjNS0_10empty_typeEbEEZZNS1_14partition_implILS8_3ELb0ES6_jNS0_17counting_iteratorIjlEEPS9_SE_NS0_5tupleIJPjSE_EEENSF_IJSE_SE_EEES9_SG_JZNS1_25segmented_radix_sort_implINS0_14default_configELb1EPKfPfPKlPlN2at6native12_GLOBAL__N_18offset_tEEE10hipError_tPvRmT1_PNSt15iterator_traitsISY_E10value_typeET2_T3_PNSZ_IS14_E10value_typeET4_jRbjT5_S1A_jjP12ihipStream_tbEUljE_EEESV_SW_SX_S14_S18_S1A_T6_T7_T9_mT8_S1C_bDpT10_ENKUlT_T0_E_clISt17integral_constantIbLb0EES1O_IbLb1EEEEDaS1K_S1L_EUlS1K_E_NS1_11comp_targetILNS1_3genE10ELNS1_11target_archE1200ELNS1_3gpuE4ELNS1_3repE0EEENS1_30default_config_static_selectorELNS0_4arch9wavefront6targetE0EEEvSY_.has_indirect_call, 0
	.section	.AMDGPU.csdata,"",@progbits
; Kernel info:
; codeLenInByte = 10900
; TotalNumSgprs: 28
; NumVgprs: 71
; ScratchSize: 0
; MemoryBound: 0
; FloatMode: 240
; IeeeMode: 1
; LDSByteSize: 13320 bytes/workgroup (compile time only)
; SGPRBlocks: 0
; VGPRBlocks: 8
; NumSGPRsForWavesPerEU: 28
; NumVGPRsForWavesPerEU: 71
; Occupancy: 16
; WaveLimiterHint : 0
; COMPUTE_PGM_RSRC2:SCRATCH_EN: 0
; COMPUTE_PGM_RSRC2:USER_SGPR: 2
; COMPUTE_PGM_RSRC2:TRAP_HANDLER: 0
; COMPUTE_PGM_RSRC2:TGID_X_EN: 1
; COMPUTE_PGM_RSRC2:TGID_Y_EN: 0
; COMPUTE_PGM_RSRC2:TGID_Z_EN: 0
; COMPUTE_PGM_RSRC2:TIDIG_COMP_CNT: 0
	.section	.text._ZN7rocprim17ROCPRIM_400000_NS6detail17trampoline_kernelINS0_13select_configILj256ELj13ELNS0_17block_load_methodE3ELS4_3ELS4_3ELNS0_20block_scan_algorithmE0ELj4294967295EEENS1_25partition_config_selectorILNS1_17partition_subalgoE3EjNS0_10empty_typeEbEEZZNS1_14partition_implILS8_3ELb0ES6_jNS0_17counting_iteratorIjlEEPS9_SE_NS0_5tupleIJPjSE_EEENSF_IJSE_SE_EEES9_SG_JZNS1_25segmented_radix_sort_implINS0_14default_configELb1EPKfPfPKlPlN2at6native12_GLOBAL__N_18offset_tEEE10hipError_tPvRmT1_PNSt15iterator_traitsISY_E10value_typeET2_T3_PNSZ_IS14_E10value_typeET4_jRbjT5_S1A_jjP12ihipStream_tbEUljE_EEESV_SW_SX_S14_S18_S1A_T6_T7_T9_mT8_S1C_bDpT10_ENKUlT_T0_E_clISt17integral_constantIbLb0EES1O_IbLb1EEEEDaS1K_S1L_EUlS1K_E_NS1_11comp_targetILNS1_3genE9ELNS1_11target_archE1100ELNS1_3gpuE3ELNS1_3repE0EEENS1_30default_config_static_selectorELNS0_4arch9wavefront6targetE0EEEvSY_,"axG",@progbits,_ZN7rocprim17ROCPRIM_400000_NS6detail17trampoline_kernelINS0_13select_configILj256ELj13ELNS0_17block_load_methodE3ELS4_3ELS4_3ELNS0_20block_scan_algorithmE0ELj4294967295EEENS1_25partition_config_selectorILNS1_17partition_subalgoE3EjNS0_10empty_typeEbEEZZNS1_14partition_implILS8_3ELb0ES6_jNS0_17counting_iteratorIjlEEPS9_SE_NS0_5tupleIJPjSE_EEENSF_IJSE_SE_EEES9_SG_JZNS1_25segmented_radix_sort_implINS0_14default_configELb1EPKfPfPKlPlN2at6native12_GLOBAL__N_18offset_tEEE10hipError_tPvRmT1_PNSt15iterator_traitsISY_E10value_typeET2_T3_PNSZ_IS14_E10value_typeET4_jRbjT5_S1A_jjP12ihipStream_tbEUljE_EEESV_SW_SX_S14_S18_S1A_T6_T7_T9_mT8_S1C_bDpT10_ENKUlT_T0_E_clISt17integral_constantIbLb0EES1O_IbLb1EEEEDaS1K_S1L_EUlS1K_E_NS1_11comp_targetILNS1_3genE9ELNS1_11target_archE1100ELNS1_3gpuE3ELNS1_3repE0EEENS1_30default_config_static_selectorELNS0_4arch9wavefront6targetE0EEEvSY_,comdat
	.globl	_ZN7rocprim17ROCPRIM_400000_NS6detail17trampoline_kernelINS0_13select_configILj256ELj13ELNS0_17block_load_methodE3ELS4_3ELS4_3ELNS0_20block_scan_algorithmE0ELj4294967295EEENS1_25partition_config_selectorILNS1_17partition_subalgoE3EjNS0_10empty_typeEbEEZZNS1_14partition_implILS8_3ELb0ES6_jNS0_17counting_iteratorIjlEEPS9_SE_NS0_5tupleIJPjSE_EEENSF_IJSE_SE_EEES9_SG_JZNS1_25segmented_radix_sort_implINS0_14default_configELb1EPKfPfPKlPlN2at6native12_GLOBAL__N_18offset_tEEE10hipError_tPvRmT1_PNSt15iterator_traitsISY_E10value_typeET2_T3_PNSZ_IS14_E10value_typeET4_jRbjT5_S1A_jjP12ihipStream_tbEUljE_EEESV_SW_SX_S14_S18_S1A_T6_T7_T9_mT8_S1C_bDpT10_ENKUlT_T0_E_clISt17integral_constantIbLb0EES1O_IbLb1EEEEDaS1K_S1L_EUlS1K_E_NS1_11comp_targetILNS1_3genE9ELNS1_11target_archE1100ELNS1_3gpuE3ELNS1_3repE0EEENS1_30default_config_static_selectorELNS0_4arch9wavefront6targetE0EEEvSY_ ; -- Begin function _ZN7rocprim17ROCPRIM_400000_NS6detail17trampoline_kernelINS0_13select_configILj256ELj13ELNS0_17block_load_methodE3ELS4_3ELS4_3ELNS0_20block_scan_algorithmE0ELj4294967295EEENS1_25partition_config_selectorILNS1_17partition_subalgoE3EjNS0_10empty_typeEbEEZZNS1_14partition_implILS8_3ELb0ES6_jNS0_17counting_iteratorIjlEEPS9_SE_NS0_5tupleIJPjSE_EEENSF_IJSE_SE_EEES9_SG_JZNS1_25segmented_radix_sort_implINS0_14default_configELb1EPKfPfPKlPlN2at6native12_GLOBAL__N_18offset_tEEE10hipError_tPvRmT1_PNSt15iterator_traitsISY_E10value_typeET2_T3_PNSZ_IS14_E10value_typeET4_jRbjT5_S1A_jjP12ihipStream_tbEUljE_EEESV_SW_SX_S14_S18_S1A_T6_T7_T9_mT8_S1C_bDpT10_ENKUlT_T0_E_clISt17integral_constantIbLb0EES1O_IbLb1EEEEDaS1K_S1L_EUlS1K_E_NS1_11comp_targetILNS1_3genE9ELNS1_11target_archE1100ELNS1_3gpuE3ELNS1_3repE0EEENS1_30default_config_static_selectorELNS0_4arch9wavefront6targetE0EEEvSY_
	.p2align	8
	.type	_ZN7rocprim17ROCPRIM_400000_NS6detail17trampoline_kernelINS0_13select_configILj256ELj13ELNS0_17block_load_methodE3ELS4_3ELS4_3ELNS0_20block_scan_algorithmE0ELj4294967295EEENS1_25partition_config_selectorILNS1_17partition_subalgoE3EjNS0_10empty_typeEbEEZZNS1_14partition_implILS8_3ELb0ES6_jNS0_17counting_iteratorIjlEEPS9_SE_NS0_5tupleIJPjSE_EEENSF_IJSE_SE_EEES9_SG_JZNS1_25segmented_radix_sort_implINS0_14default_configELb1EPKfPfPKlPlN2at6native12_GLOBAL__N_18offset_tEEE10hipError_tPvRmT1_PNSt15iterator_traitsISY_E10value_typeET2_T3_PNSZ_IS14_E10value_typeET4_jRbjT5_S1A_jjP12ihipStream_tbEUljE_EEESV_SW_SX_S14_S18_S1A_T6_T7_T9_mT8_S1C_bDpT10_ENKUlT_T0_E_clISt17integral_constantIbLb0EES1O_IbLb1EEEEDaS1K_S1L_EUlS1K_E_NS1_11comp_targetILNS1_3genE9ELNS1_11target_archE1100ELNS1_3gpuE3ELNS1_3repE0EEENS1_30default_config_static_selectorELNS0_4arch9wavefront6targetE0EEEvSY_,@function
_ZN7rocprim17ROCPRIM_400000_NS6detail17trampoline_kernelINS0_13select_configILj256ELj13ELNS0_17block_load_methodE3ELS4_3ELS4_3ELNS0_20block_scan_algorithmE0ELj4294967295EEENS1_25partition_config_selectorILNS1_17partition_subalgoE3EjNS0_10empty_typeEbEEZZNS1_14partition_implILS8_3ELb0ES6_jNS0_17counting_iteratorIjlEEPS9_SE_NS0_5tupleIJPjSE_EEENSF_IJSE_SE_EEES9_SG_JZNS1_25segmented_radix_sort_implINS0_14default_configELb1EPKfPfPKlPlN2at6native12_GLOBAL__N_18offset_tEEE10hipError_tPvRmT1_PNSt15iterator_traitsISY_E10value_typeET2_T3_PNSZ_IS14_E10value_typeET4_jRbjT5_S1A_jjP12ihipStream_tbEUljE_EEESV_SW_SX_S14_S18_S1A_T6_T7_T9_mT8_S1C_bDpT10_ENKUlT_T0_E_clISt17integral_constantIbLb0EES1O_IbLb1EEEEDaS1K_S1L_EUlS1K_E_NS1_11comp_targetILNS1_3genE9ELNS1_11target_archE1100ELNS1_3gpuE3ELNS1_3repE0EEENS1_30default_config_static_selectorELNS0_4arch9wavefront6targetE0EEEvSY_: ; @_ZN7rocprim17ROCPRIM_400000_NS6detail17trampoline_kernelINS0_13select_configILj256ELj13ELNS0_17block_load_methodE3ELS4_3ELS4_3ELNS0_20block_scan_algorithmE0ELj4294967295EEENS1_25partition_config_selectorILNS1_17partition_subalgoE3EjNS0_10empty_typeEbEEZZNS1_14partition_implILS8_3ELb0ES6_jNS0_17counting_iteratorIjlEEPS9_SE_NS0_5tupleIJPjSE_EEENSF_IJSE_SE_EEES9_SG_JZNS1_25segmented_radix_sort_implINS0_14default_configELb1EPKfPfPKlPlN2at6native12_GLOBAL__N_18offset_tEEE10hipError_tPvRmT1_PNSt15iterator_traitsISY_E10value_typeET2_T3_PNSZ_IS14_E10value_typeET4_jRbjT5_S1A_jjP12ihipStream_tbEUljE_EEESV_SW_SX_S14_S18_S1A_T6_T7_T9_mT8_S1C_bDpT10_ENKUlT_T0_E_clISt17integral_constantIbLb0EES1O_IbLb1EEEEDaS1K_S1L_EUlS1K_E_NS1_11comp_targetILNS1_3genE9ELNS1_11target_archE1100ELNS1_3gpuE3ELNS1_3repE0EEENS1_30default_config_static_selectorELNS0_4arch9wavefront6targetE0EEEvSY_
; %bb.0:
	.section	.rodata,"a",@progbits
	.p2align	6, 0x0
	.amdhsa_kernel _ZN7rocprim17ROCPRIM_400000_NS6detail17trampoline_kernelINS0_13select_configILj256ELj13ELNS0_17block_load_methodE3ELS4_3ELS4_3ELNS0_20block_scan_algorithmE0ELj4294967295EEENS1_25partition_config_selectorILNS1_17partition_subalgoE3EjNS0_10empty_typeEbEEZZNS1_14partition_implILS8_3ELb0ES6_jNS0_17counting_iteratorIjlEEPS9_SE_NS0_5tupleIJPjSE_EEENSF_IJSE_SE_EEES9_SG_JZNS1_25segmented_radix_sort_implINS0_14default_configELb1EPKfPfPKlPlN2at6native12_GLOBAL__N_18offset_tEEE10hipError_tPvRmT1_PNSt15iterator_traitsISY_E10value_typeET2_T3_PNSZ_IS14_E10value_typeET4_jRbjT5_S1A_jjP12ihipStream_tbEUljE_EEESV_SW_SX_S14_S18_S1A_T6_T7_T9_mT8_S1C_bDpT10_ENKUlT_T0_E_clISt17integral_constantIbLb0EES1O_IbLb1EEEEDaS1K_S1L_EUlS1K_E_NS1_11comp_targetILNS1_3genE9ELNS1_11target_archE1100ELNS1_3gpuE3ELNS1_3repE0EEENS1_30default_config_static_selectorELNS0_4arch9wavefront6targetE0EEEvSY_
		.amdhsa_group_segment_fixed_size 0
		.amdhsa_private_segment_fixed_size 0
		.amdhsa_kernarg_size 152
		.amdhsa_user_sgpr_count 2
		.amdhsa_user_sgpr_dispatch_ptr 0
		.amdhsa_user_sgpr_queue_ptr 0
		.amdhsa_user_sgpr_kernarg_segment_ptr 1
		.amdhsa_user_sgpr_dispatch_id 0
		.amdhsa_user_sgpr_private_segment_size 0
		.amdhsa_wavefront_size32 1
		.amdhsa_uses_dynamic_stack 0
		.amdhsa_enable_private_segment 0
		.amdhsa_system_sgpr_workgroup_id_x 1
		.amdhsa_system_sgpr_workgroup_id_y 0
		.amdhsa_system_sgpr_workgroup_id_z 0
		.amdhsa_system_sgpr_workgroup_info 0
		.amdhsa_system_vgpr_workitem_id 0
		.amdhsa_next_free_vgpr 1
		.amdhsa_next_free_sgpr 1
		.amdhsa_reserve_vcc 0
		.amdhsa_float_round_mode_32 0
		.amdhsa_float_round_mode_16_64 0
		.amdhsa_float_denorm_mode_32 3
		.amdhsa_float_denorm_mode_16_64 3
		.amdhsa_fp16_overflow 0
		.amdhsa_workgroup_processor_mode 1
		.amdhsa_memory_ordered 1
		.amdhsa_forward_progress 1
		.amdhsa_inst_pref_size 0
		.amdhsa_round_robin_scheduling 0
		.amdhsa_exception_fp_ieee_invalid_op 0
		.amdhsa_exception_fp_denorm_src 0
		.amdhsa_exception_fp_ieee_div_zero 0
		.amdhsa_exception_fp_ieee_overflow 0
		.amdhsa_exception_fp_ieee_underflow 0
		.amdhsa_exception_fp_ieee_inexact 0
		.amdhsa_exception_int_div_zero 0
	.end_amdhsa_kernel
	.section	.text._ZN7rocprim17ROCPRIM_400000_NS6detail17trampoline_kernelINS0_13select_configILj256ELj13ELNS0_17block_load_methodE3ELS4_3ELS4_3ELNS0_20block_scan_algorithmE0ELj4294967295EEENS1_25partition_config_selectorILNS1_17partition_subalgoE3EjNS0_10empty_typeEbEEZZNS1_14partition_implILS8_3ELb0ES6_jNS0_17counting_iteratorIjlEEPS9_SE_NS0_5tupleIJPjSE_EEENSF_IJSE_SE_EEES9_SG_JZNS1_25segmented_radix_sort_implINS0_14default_configELb1EPKfPfPKlPlN2at6native12_GLOBAL__N_18offset_tEEE10hipError_tPvRmT1_PNSt15iterator_traitsISY_E10value_typeET2_T3_PNSZ_IS14_E10value_typeET4_jRbjT5_S1A_jjP12ihipStream_tbEUljE_EEESV_SW_SX_S14_S18_S1A_T6_T7_T9_mT8_S1C_bDpT10_ENKUlT_T0_E_clISt17integral_constantIbLb0EES1O_IbLb1EEEEDaS1K_S1L_EUlS1K_E_NS1_11comp_targetILNS1_3genE9ELNS1_11target_archE1100ELNS1_3gpuE3ELNS1_3repE0EEENS1_30default_config_static_selectorELNS0_4arch9wavefront6targetE0EEEvSY_,"axG",@progbits,_ZN7rocprim17ROCPRIM_400000_NS6detail17trampoline_kernelINS0_13select_configILj256ELj13ELNS0_17block_load_methodE3ELS4_3ELS4_3ELNS0_20block_scan_algorithmE0ELj4294967295EEENS1_25partition_config_selectorILNS1_17partition_subalgoE3EjNS0_10empty_typeEbEEZZNS1_14partition_implILS8_3ELb0ES6_jNS0_17counting_iteratorIjlEEPS9_SE_NS0_5tupleIJPjSE_EEENSF_IJSE_SE_EEES9_SG_JZNS1_25segmented_radix_sort_implINS0_14default_configELb1EPKfPfPKlPlN2at6native12_GLOBAL__N_18offset_tEEE10hipError_tPvRmT1_PNSt15iterator_traitsISY_E10value_typeET2_T3_PNSZ_IS14_E10value_typeET4_jRbjT5_S1A_jjP12ihipStream_tbEUljE_EEESV_SW_SX_S14_S18_S1A_T6_T7_T9_mT8_S1C_bDpT10_ENKUlT_T0_E_clISt17integral_constantIbLb0EES1O_IbLb1EEEEDaS1K_S1L_EUlS1K_E_NS1_11comp_targetILNS1_3genE9ELNS1_11target_archE1100ELNS1_3gpuE3ELNS1_3repE0EEENS1_30default_config_static_selectorELNS0_4arch9wavefront6targetE0EEEvSY_,comdat
.Lfunc_end1323:
	.size	_ZN7rocprim17ROCPRIM_400000_NS6detail17trampoline_kernelINS0_13select_configILj256ELj13ELNS0_17block_load_methodE3ELS4_3ELS4_3ELNS0_20block_scan_algorithmE0ELj4294967295EEENS1_25partition_config_selectorILNS1_17partition_subalgoE3EjNS0_10empty_typeEbEEZZNS1_14partition_implILS8_3ELb0ES6_jNS0_17counting_iteratorIjlEEPS9_SE_NS0_5tupleIJPjSE_EEENSF_IJSE_SE_EEES9_SG_JZNS1_25segmented_radix_sort_implINS0_14default_configELb1EPKfPfPKlPlN2at6native12_GLOBAL__N_18offset_tEEE10hipError_tPvRmT1_PNSt15iterator_traitsISY_E10value_typeET2_T3_PNSZ_IS14_E10value_typeET4_jRbjT5_S1A_jjP12ihipStream_tbEUljE_EEESV_SW_SX_S14_S18_S1A_T6_T7_T9_mT8_S1C_bDpT10_ENKUlT_T0_E_clISt17integral_constantIbLb0EES1O_IbLb1EEEEDaS1K_S1L_EUlS1K_E_NS1_11comp_targetILNS1_3genE9ELNS1_11target_archE1100ELNS1_3gpuE3ELNS1_3repE0EEENS1_30default_config_static_selectorELNS0_4arch9wavefront6targetE0EEEvSY_, .Lfunc_end1323-_ZN7rocprim17ROCPRIM_400000_NS6detail17trampoline_kernelINS0_13select_configILj256ELj13ELNS0_17block_load_methodE3ELS4_3ELS4_3ELNS0_20block_scan_algorithmE0ELj4294967295EEENS1_25partition_config_selectorILNS1_17partition_subalgoE3EjNS0_10empty_typeEbEEZZNS1_14partition_implILS8_3ELb0ES6_jNS0_17counting_iteratorIjlEEPS9_SE_NS0_5tupleIJPjSE_EEENSF_IJSE_SE_EEES9_SG_JZNS1_25segmented_radix_sort_implINS0_14default_configELb1EPKfPfPKlPlN2at6native12_GLOBAL__N_18offset_tEEE10hipError_tPvRmT1_PNSt15iterator_traitsISY_E10value_typeET2_T3_PNSZ_IS14_E10value_typeET4_jRbjT5_S1A_jjP12ihipStream_tbEUljE_EEESV_SW_SX_S14_S18_S1A_T6_T7_T9_mT8_S1C_bDpT10_ENKUlT_T0_E_clISt17integral_constantIbLb0EES1O_IbLb1EEEEDaS1K_S1L_EUlS1K_E_NS1_11comp_targetILNS1_3genE9ELNS1_11target_archE1100ELNS1_3gpuE3ELNS1_3repE0EEENS1_30default_config_static_selectorELNS0_4arch9wavefront6targetE0EEEvSY_
                                        ; -- End function
	.set _ZN7rocprim17ROCPRIM_400000_NS6detail17trampoline_kernelINS0_13select_configILj256ELj13ELNS0_17block_load_methodE3ELS4_3ELS4_3ELNS0_20block_scan_algorithmE0ELj4294967295EEENS1_25partition_config_selectorILNS1_17partition_subalgoE3EjNS0_10empty_typeEbEEZZNS1_14partition_implILS8_3ELb0ES6_jNS0_17counting_iteratorIjlEEPS9_SE_NS0_5tupleIJPjSE_EEENSF_IJSE_SE_EEES9_SG_JZNS1_25segmented_radix_sort_implINS0_14default_configELb1EPKfPfPKlPlN2at6native12_GLOBAL__N_18offset_tEEE10hipError_tPvRmT1_PNSt15iterator_traitsISY_E10value_typeET2_T3_PNSZ_IS14_E10value_typeET4_jRbjT5_S1A_jjP12ihipStream_tbEUljE_EEESV_SW_SX_S14_S18_S1A_T6_T7_T9_mT8_S1C_bDpT10_ENKUlT_T0_E_clISt17integral_constantIbLb0EES1O_IbLb1EEEEDaS1K_S1L_EUlS1K_E_NS1_11comp_targetILNS1_3genE9ELNS1_11target_archE1100ELNS1_3gpuE3ELNS1_3repE0EEENS1_30default_config_static_selectorELNS0_4arch9wavefront6targetE0EEEvSY_.num_vgpr, 0
	.set _ZN7rocprim17ROCPRIM_400000_NS6detail17trampoline_kernelINS0_13select_configILj256ELj13ELNS0_17block_load_methodE3ELS4_3ELS4_3ELNS0_20block_scan_algorithmE0ELj4294967295EEENS1_25partition_config_selectorILNS1_17partition_subalgoE3EjNS0_10empty_typeEbEEZZNS1_14partition_implILS8_3ELb0ES6_jNS0_17counting_iteratorIjlEEPS9_SE_NS0_5tupleIJPjSE_EEENSF_IJSE_SE_EEES9_SG_JZNS1_25segmented_radix_sort_implINS0_14default_configELb1EPKfPfPKlPlN2at6native12_GLOBAL__N_18offset_tEEE10hipError_tPvRmT1_PNSt15iterator_traitsISY_E10value_typeET2_T3_PNSZ_IS14_E10value_typeET4_jRbjT5_S1A_jjP12ihipStream_tbEUljE_EEESV_SW_SX_S14_S18_S1A_T6_T7_T9_mT8_S1C_bDpT10_ENKUlT_T0_E_clISt17integral_constantIbLb0EES1O_IbLb1EEEEDaS1K_S1L_EUlS1K_E_NS1_11comp_targetILNS1_3genE9ELNS1_11target_archE1100ELNS1_3gpuE3ELNS1_3repE0EEENS1_30default_config_static_selectorELNS0_4arch9wavefront6targetE0EEEvSY_.num_agpr, 0
	.set _ZN7rocprim17ROCPRIM_400000_NS6detail17trampoline_kernelINS0_13select_configILj256ELj13ELNS0_17block_load_methodE3ELS4_3ELS4_3ELNS0_20block_scan_algorithmE0ELj4294967295EEENS1_25partition_config_selectorILNS1_17partition_subalgoE3EjNS0_10empty_typeEbEEZZNS1_14partition_implILS8_3ELb0ES6_jNS0_17counting_iteratorIjlEEPS9_SE_NS0_5tupleIJPjSE_EEENSF_IJSE_SE_EEES9_SG_JZNS1_25segmented_radix_sort_implINS0_14default_configELb1EPKfPfPKlPlN2at6native12_GLOBAL__N_18offset_tEEE10hipError_tPvRmT1_PNSt15iterator_traitsISY_E10value_typeET2_T3_PNSZ_IS14_E10value_typeET4_jRbjT5_S1A_jjP12ihipStream_tbEUljE_EEESV_SW_SX_S14_S18_S1A_T6_T7_T9_mT8_S1C_bDpT10_ENKUlT_T0_E_clISt17integral_constantIbLb0EES1O_IbLb1EEEEDaS1K_S1L_EUlS1K_E_NS1_11comp_targetILNS1_3genE9ELNS1_11target_archE1100ELNS1_3gpuE3ELNS1_3repE0EEENS1_30default_config_static_selectorELNS0_4arch9wavefront6targetE0EEEvSY_.numbered_sgpr, 0
	.set _ZN7rocprim17ROCPRIM_400000_NS6detail17trampoline_kernelINS0_13select_configILj256ELj13ELNS0_17block_load_methodE3ELS4_3ELS4_3ELNS0_20block_scan_algorithmE0ELj4294967295EEENS1_25partition_config_selectorILNS1_17partition_subalgoE3EjNS0_10empty_typeEbEEZZNS1_14partition_implILS8_3ELb0ES6_jNS0_17counting_iteratorIjlEEPS9_SE_NS0_5tupleIJPjSE_EEENSF_IJSE_SE_EEES9_SG_JZNS1_25segmented_radix_sort_implINS0_14default_configELb1EPKfPfPKlPlN2at6native12_GLOBAL__N_18offset_tEEE10hipError_tPvRmT1_PNSt15iterator_traitsISY_E10value_typeET2_T3_PNSZ_IS14_E10value_typeET4_jRbjT5_S1A_jjP12ihipStream_tbEUljE_EEESV_SW_SX_S14_S18_S1A_T6_T7_T9_mT8_S1C_bDpT10_ENKUlT_T0_E_clISt17integral_constantIbLb0EES1O_IbLb1EEEEDaS1K_S1L_EUlS1K_E_NS1_11comp_targetILNS1_3genE9ELNS1_11target_archE1100ELNS1_3gpuE3ELNS1_3repE0EEENS1_30default_config_static_selectorELNS0_4arch9wavefront6targetE0EEEvSY_.num_named_barrier, 0
	.set _ZN7rocprim17ROCPRIM_400000_NS6detail17trampoline_kernelINS0_13select_configILj256ELj13ELNS0_17block_load_methodE3ELS4_3ELS4_3ELNS0_20block_scan_algorithmE0ELj4294967295EEENS1_25partition_config_selectorILNS1_17partition_subalgoE3EjNS0_10empty_typeEbEEZZNS1_14partition_implILS8_3ELb0ES6_jNS0_17counting_iteratorIjlEEPS9_SE_NS0_5tupleIJPjSE_EEENSF_IJSE_SE_EEES9_SG_JZNS1_25segmented_radix_sort_implINS0_14default_configELb1EPKfPfPKlPlN2at6native12_GLOBAL__N_18offset_tEEE10hipError_tPvRmT1_PNSt15iterator_traitsISY_E10value_typeET2_T3_PNSZ_IS14_E10value_typeET4_jRbjT5_S1A_jjP12ihipStream_tbEUljE_EEESV_SW_SX_S14_S18_S1A_T6_T7_T9_mT8_S1C_bDpT10_ENKUlT_T0_E_clISt17integral_constantIbLb0EES1O_IbLb1EEEEDaS1K_S1L_EUlS1K_E_NS1_11comp_targetILNS1_3genE9ELNS1_11target_archE1100ELNS1_3gpuE3ELNS1_3repE0EEENS1_30default_config_static_selectorELNS0_4arch9wavefront6targetE0EEEvSY_.private_seg_size, 0
	.set _ZN7rocprim17ROCPRIM_400000_NS6detail17trampoline_kernelINS0_13select_configILj256ELj13ELNS0_17block_load_methodE3ELS4_3ELS4_3ELNS0_20block_scan_algorithmE0ELj4294967295EEENS1_25partition_config_selectorILNS1_17partition_subalgoE3EjNS0_10empty_typeEbEEZZNS1_14partition_implILS8_3ELb0ES6_jNS0_17counting_iteratorIjlEEPS9_SE_NS0_5tupleIJPjSE_EEENSF_IJSE_SE_EEES9_SG_JZNS1_25segmented_radix_sort_implINS0_14default_configELb1EPKfPfPKlPlN2at6native12_GLOBAL__N_18offset_tEEE10hipError_tPvRmT1_PNSt15iterator_traitsISY_E10value_typeET2_T3_PNSZ_IS14_E10value_typeET4_jRbjT5_S1A_jjP12ihipStream_tbEUljE_EEESV_SW_SX_S14_S18_S1A_T6_T7_T9_mT8_S1C_bDpT10_ENKUlT_T0_E_clISt17integral_constantIbLb0EES1O_IbLb1EEEEDaS1K_S1L_EUlS1K_E_NS1_11comp_targetILNS1_3genE9ELNS1_11target_archE1100ELNS1_3gpuE3ELNS1_3repE0EEENS1_30default_config_static_selectorELNS0_4arch9wavefront6targetE0EEEvSY_.uses_vcc, 0
	.set _ZN7rocprim17ROCPRIM_400000_NS6detail17trampoline_kernelINS0_13select_configILj256ELj13ELNS0_17block_load_methodE3ELS4_3ELS4_3ELNS0_20block_scan_algorithmE0ELj4294967295EEENS1_25partition_config_selectorILNS1_17partition_subalgoE3EjNS0_10empty_typeEbEEZZNS1_14partition_implILS8_3ELb0ES6_jNS0_17counting_iteratorIjlEEPS9_SE_NS0_5tupleIJPjSE_EEENSF_IJSE_SE_EEES9_SG_JZNS1_25segmented_radix_sort_implINS0_14default_configELb1EPKfPfPKlPlN2at6native12_GLOBAL__N_18offset_tEEE10hipError_tPvRmT1_PNSt15iterator_traitsISY_E10value_typeET2_T3_PNSZ_IS14_E10value_typeET4_jRbjT5_S1A_jjP12ihipStream_tbEUljE_EEESV_SW_SX_S14_S18_S1A_T6_T7_T9_mT8_S1C_bDpT10_ENKUlT_T0_E_clISt17integral_constantIbLb0EES1O_IbLb1EEEEDaS1K_S1L_EUlS1K_E_NS1_11comp_targetILNS1_3genE9ELNS1_11target_archE1100ELNS1_3gpuE3ELNS1_3repE0EEENS1_30default_config_static_selectorELNS0_4arch9wavefront6targetE0EEEvSY_.uses_flat_scratch, 0
	.set _ZN7rocprim17ROCPRIM_400000_NS6detail17trampoline_kernelINS0_13select_configILj256ELj13ELNS0_17block_load_methodE3ELS4_3ELS4_3ELNS0_20block_scan_algorithmE0ELj4294967295EEENS1_25partition_config_selectorILNS1_17partition_subalgoE3EjNS0_10empty_typeEbEEZZNS1_14partition_implILS8_3ELb0ES6_jNS0_17counting_iteratorIjlEEPS9_SE_NS0_5tupleIJPjSE_EEENSF_IJSE_SE_EEES9_SG_JZNS1_25segmented_radix_sort_implINS0_14default_configELb1EPKfPfPKlPlN2at6native12_GLOBAL__N_18offset_tEEE10hipError_tPvRmT1_PNSt15iterator_traitsISY_E10value_typeET2_T3_PNSZ_IS14_E10value_typeET4_jRbjT5_S1A_jjP12ihipStream_tbEUljE_EEESV_SW_SX_S14_S18_S1A_T6_T7_T9_mT8_S1C_bDpT10_ENKUlT_T0_E_clISt17integral_constantIbLb0EES1O_IbLb1EEEEDaS1K_S1L_EUlS1K_E_NS1_11comp_targetILNS1_3genE9ELNS1_11target_archE1100ELNS1_3gpuE3ELNS1_3repE0EEENS1_30default_config_static_selectorELNS0_4arch9wavefront6targetE0EEEvSY_.has_dyn_sized_stack, 0
	.set _ZN7rocprim17ROCPRIM_400000_NS6detail17trampoline_kernelINS0_13select_configILj256ELj13ELNS0_17block_load_methodE3ELS4_3ELS4_3ELNS0_20block_scan_algorithmE0ELj4294967295EEENS1_25partition_config_selectorILNS1_17partition_subalgoE3EjNS0_10empty_typeEbEEZZNS1_14partition_implILS8_3ELb0ES6_jNS0_17counting_iteratorIjlEEPS9_SE_NS0_5tupleIJPjSE_EEENSF_IJSE_SE_EEES9_SG_JZNS1_25segmented_radix_sort_implINS0_14default_configELb1EPKfPfPKlPlN2at6native12_GLOBAL__N_18offset_tEEE10hipError_tPvRmT1_PNSt15iterator_traitsISY_E10value_typeET2_T3_PNSZ_IS14_E10value_typeET4_jRbjT5_S1A_jjP12ihipStream_tbEUljE_EEESV_SW_SX_S14_S18_S1A_T6_T7_T9_mT8_S1C_bDpT10_ENKUlT_T0_E_clISt17integral_constantIbLb0EES1O_IbLb1EEEEDaS1K_S1L_EUlS1K_E_NS1_11comp_targetILNS1_3genE9ELNS1_11target_archE1100ELNS1_3gpuE3ELNS1_3repE0EEENS1_30default_config_static_selectorELNS0_4arch9wavefront6targetE0EEEvSY_.has_recursion, 0
	.set _ZN7rocprim17ROCPRIM_400000_NS6detail17trampoline_kernelINS0_13select_configILj256ELj13ELNS0_17block_load_methodE3ELS4_3ELS4_3ELNS0_20block_scan_algorithmE0ELj4294967295EEENS1_25partition_config_selectorILNS1_17partition_subalgoE3EjNS0_10empty_typeEbEEZZNS1_14partition_implILS8_3ELb0ES6_jNS0_17counting_iteratorIjlEEPS9_SE_NS0_5tupleIJPjSE_EEENSF_IJSE_SE_EEES9_SG_JZNS1_25segmented_radix_sort_implINS0_14default_configELb1EPKfPfPKlPlN2at6native12_GLOBAL__N_18offset_tEEE10hipError_tPvRmT1_PNSt15iterator_traitsISY_E10value_typeET2_T3_PNSZ_IS14_E10value_typeET4_jRbjT5_S1A_jjP12ihipStream_tbEUljE_EEESV_SW_SX_S14_S18_S1A_T6_T7_T9_mT8_S1C_bDpT10_ENKUlT_T0_E_clISt17integral_constantIbLb0EES1O_IbLb1EEEEDaS1K_S1L_EUlS1K_E_NS1_11comp_targetILNS1_3genE9ELNS1_11target_archE1100ELNS1_3gpuE3ELNS1_3repE0EEENS1_30default_config_static_selectorELNS0_4arch9wavefront6targetE0EEEvSY_.has_indirect_call, 0
	.section	.AMDGPU.csdata,"",@progbits
; Kernel info:
; codeLenInByte = 0
; TotalNumSgprs: 0
; NumVgprs: 0
; ScratchSize: 0
; MemoryBound: 0
; FloatMode: 240
; IeeeMode: 1
; LDSByteSize: 0 bytes/workgroup (compile time only)
; SGPRBlocks: 0
; VGPRBlocks: 0
; NumSGPRsForWavesPerEU: 1
; NumVGPRsForWavesPerEU: 1
; Occupancy: 16
; WaveLimiterHint : 0
; COMPUTE_PGM_RSRC2:SCRATCH_EN: 0
; COMPUTE_PGM_RSRC2:USER_SGPR: 2
; COMPUTE_PGM_RSRC2:TRAP_HANDLER: 0
; COMPUTE_PGM_RSRC2:TGID_X_EN: 1
; COMPUTE_PGM_RSRC2:TGID_Y_EN: 0
; COMPUTE_PGM_RSRC2:TGID_Z_EN: 0
; COMPUTE_PGM_RSRC2:TIDIG_COMP_CNT: 0
	.section	.text._ZN7rocprim17ROCPRIM_400000_NS6detail17trampoline_kernelINS0_13select_configILj256ELj13ELNS0_17block_load_methodE3ELS4_3ELS4_3ELNS0_20block_scan_algorithmE0ELj4294967295EEENS1_25partition_config_selectorILNS1_17partition_subalgoE3EjNS0_10empty_typeEbEEZZNS1_14partition_implILS8_3ELb0ES6_jNS0_17counting_iteratorIjlEEPS9_SE_NS0_5tupleIJPjSE_EEENSF_IJSE_SE_EEES9_SG_JZNS1_25segmented_radix_sort_implINS0_14default_configELb1EPKfPfPKlPlN2at6native12_GLOBAL__N_18offset_tEEE10hipError_tPvRmT1_PNSt15iterator_traitsISY_E10value_typeET2_T3_PNSZ_IS14_E10value_typeET4_jRbjT5_S1A_jjP12ihipStream_tbEUljE_EEESV_SW_SX_S14_S18_S1A_T6_T7_T9_mT8_S1C_bDpT10_ENKUlT_T0_E_clISt17integral_constantIbLb0EES1O_IbLb1EEEEDaS1K_S1L_EUlS1K_E_NS1_11comp_targetILNS1_3genE8ELNS1_11target_archE1030ELNS1_3gpuE2ELNS1_3repE0EEENS1_30default_config_static_selectorELNS0_4arch9wavefront6targetE0EEEvSY_,"axG",@progbits,_ZN7rocprim17ROCPRIM_400000_NS6detail17trampoline_kernelINS0_13select_configILj256ELj13ELNS0_17block_load_methodE3ELS4_3ELS4_3ELNS0_20block_scan_algorithmE0ELj4294967295EEENS1_25partition_config_selectorILNS1_17partition_subalgoE3EjNS0_10empty_typeEbEEZZNS1_14partition_implILS8_3ELb0ES6_jNS0_17counting_iteratorIjlEEPS9_SE_NS0_5tupleIJPjSE_EEENSF_IJSE_SE_EEES9_SG_JZNS1_25segmented_radix_sort_implINS0_14default_configELb1EPKfPfPKlPlN2at6native12_GLOBAL__N_18offset_tEEE10hipError_tPvRmT1_PNSt15iterator_traitsISY_E10value_typeET2_T3_PNSZ_IS14_E10value_typeET4_jRbjT5_S1A_jjP12ihipStream_tbEUljE_EEESV_SW_SX_S14_S18_S1A_T6_T7_T9_mT8_S1C_bDpT10_ENKUlT_T0_E_clISt17integral_constantIbLb0EES1O_IbLb1EEEEDaS1K_S1L_EUlS1K_E_NS1_11comp_targetILNS1_3genE8ELNS1_11target_archE1030ELNS1_3gpuE2ELNS1_3repE0EEENS1_30default_config_static_selectorELNS0_4arch9wavefront6targetE0EEEvSY_,comdat
	.globl	_ZN7rocprim17ROCPRIM_400000_NS6detail17trampoline_kernelINS0_13select_configILj256ELj13ELNS0_17block_load_methodE3ELS4_3ELS4_3ELNS0_20block_scan_algorithmE0ELj4294967295EEENS1_25partition_config_selectorILNS1_17partition_subalgoE3EjNS0_10empty_typeEbEEZZNS1_14partition_implILS8_3ELb0ES6_jNS0_17counting_iteratorIjlEEPS9_SE_NS0_5tupleIJPjSE_EEENSF_IJSE_SE_EEES9_SG_JZNS1_25segmented_radix_sort_implINS0_14default_configELb1EPKfPfPKlPlN2at6native12_GLOBAL__N_18offset_tEEE10hipError_tPvRmT1_PNSt15iterator_traitsISY_E10value_typeET2_T3_PNSZ_IS14_E10value_typeET4_jRbjT5_S1A_jjP12ihipStream_tbEUljE_EEESV_SW_SX_S14_S18_S1A_T6_T7_T9_mT8_S1C_bDpT10_ENKUlT_T0_E_clISt17integral_constantIbLb0EES1O_IbLb1EEEEDaS1K_S1L_EUlS1K_E_NS1_11comp_targetILNS1_3genE8ELNS1_11target_archE1030ELNS1_3gpuE2ELNS1_3repE0EEENS1_30default_config_static_selectorELNS0_4arch9wavefront6targetE0EEEvSY_ ; -- Begin function _ZN7rocprim17ROCPRIM_400000_NS6detail17trampoline_kernelINS0_13select_configILj256ELj13ELNS0_17block_load_methodE3ELS4_3ELS4_3ELNS0_20block_scan_algorithmE0ELj4294967295EEENS1_25partition_config_selectorILNS1_17partition_subalgoE3EjNS0_10empty_typeEbEEZZNS1_14partition_implILS8_3ELb0ES6_jNS0_17counting_iteratorIjlEEPS9_SE_NS0_5tupleIJPjSE_EEENSF_IJSE_SE_EEES9_SG_JZNS1_25segmented_radix_sort_implINS0_14default_configELb1EPKfPfPKlPlN2at6native12_GLOBAL__N_18offset_tEEE10hipError_tPvRmT1_PNSt15iterator_traitsISY_E10value_typeET2_T3_PNSZ_IS14_E10value_typeET4_jRbjT5_S1A_jjP12ihipStream_tbEUljE_EEESV_SW_SX_S14_S18_S1A_T6_T7_T9_mT8_S1C_bDpT10_ENKUlT_T0_E_clISt17integral_constantIbLb0EES1O_IbLb1EEEEDaS1K_S1L_EUlS1K_E_NS1_11comp_targetILNS1_3genE8ELNS1_11target_archE1030ELNS1_3gpuE2ELNS1_3repE0EEENS1_30default_config_static_selectorELNS0_4arch9wavefront6targetE0EEEvSY_
	.p2align	8
	.type	_ZN7rocprim17ROCPRIM_400000_NS6detail17trampoline_kernelINS0_13select_configILj256ELj13ELNS0_17block_load_methodE3ELS4_3ELS4_3ELNS0_20block_scan_algorithmE0ELj4294967295EEENS1_25partition_config_selectorILNS1_17partition_subalgoE3EjNS0_10empty_typeEbEEZZNS1_14partition_implILS8_3ELb0ES6_jNS0_17counting_iteratorIjlEEPS9_SE_NS0_5tupleIJPjSE_EEENSF_IJSE_SE_EEES9_SG_JZNS1_25segmented_radix_sort_implINS0_14default_configELb1EPKfPfPKlPlN2at6native12_GLOBAL__N_18offset_tEEE10hipError_tPvRmT1_PNSt15iterator_traitsISY_E10value_typeET2_T3_PNSZ_IS14_E10value_typeET4_jRbjT5_S1A_jjP12ihipStream_tbEUljE_EEESV_SW_SX_S14_S18_S1A_T6_T7_T9_mT8_S1C_bDpT10_ENKUlT_T0_E_clISt17integral_constantIbLb0EES1O_IbLb1EEEEDaS1K_S1L_EUlS1K_E_NS1_11comp_targetILNS1_3genE8ELNS1_11target_archE1030ELNS1_3gpuE2ELNS1_3repE0EEENS1_30default_config_static_selectorELNS0_4arch9wavefront6targetE0EEEvSY_,@function
_ZN7rocprim17ROCPRIM_400000_NS6detail17trampoline_kernelINS0_13select_configILj256ELj13ELNS0_17block_load_methodE3ELS4_3ELS4_3ELNS0_20block_scan_algorithmE0ELj4294967295EEENS1_25partition_config_selectorILNS1_17partition_subalgoE3EjNS0_10empty_typeEbEEZZNS1_14partition_implILS8_3ELb0ES6_jNS0_17counting_iteratorIjlEEPS9_SE_NS0_5tupleIJPjSE_EEENSF_IJSE_SE_EEES9_SG_JZNS1_25segmented_radix_sort_implINS0_14default_configELb1EPKfPfPKlPlN2at6native12_GLOBAL__N_18offset_tEEE10hipError_tPvRmT1_PNSt15iterator_traitsISY_E10value_typeET2_T3_PNSZ_IS14_E10value_typeET4_jRbjT5_S1A_jjP12ihipStream_tbEUljE_EEESV_SW_SX_S14_S18_S1A_T6_T7_T9_mT8_S1C_bDpT10_ENKUlT_T0_E_clISt17integral_constantIbLb0EES1O_IbLb1EEEEDaS1K_S1L_EUlS1K_E_NS1_11comp_targetILNS1_3genE8ELNS1_11target_archE1030ELNS1_3gpuE2ELNS1_3repE0EEENS1_30default_config_static_selectorELNS0_4arch9wavefront6targetE0EEEvSY_: ; @_ZN7rocprim17ROCPRIM_400000_NS6detail17trampoline_kernelINS0_13select_configILj256ELj13ELNS0_17block_load_methodE3ELS4_3ELS4_3ELNS0_20block_scan_algorithmE0ELj4294967295EEENS1_25partition_config_selectorILNS1_17partition_subalgoE3EjNS0_10empty_typeEbEEZZNS1_14partition_implILS8_3ELb0ES6_jNS0_17counting_iteratorIjlEEPS9_SE_NS0_5tupleIJPjSE_EEENSF_IJSE_SE_EEES9_SG_JZNS1_25segmented_radix_sort_implINS0_14default_configELb1EPKfPfPKlPlN2at6native12_GLOBAL__N_18offset_tEEE10hipError_tPvRmT1_PNSt15iterator_traitsISY_E10value_typeET2_T3_PNSZ_IS14_E10value_typeET4_jRbjT5_S1A_jjP12ihipStream_tbEUljE_EEESV_SW_SX_S14_S18_S1A_T6_T7_T9_mT8_S1C_bDpT10_ENKUlT_T0_E_clISt17integral_constantIbLb0EES1O_IbLb1EEEEDaS1K_S1L_EUlS1K_E_NS1_11comp_targetILNS1_3genE8ELNS1_11target_archE1030ELNS1_3gpuE2ELNS1_3repE0EEENS1_30default_config_static_selectorELNS0_4arch9wavefront6targetE0EEEvSY_
; %bb.0:
	.section	.rodata,"a",@progbits
	.p2align	6, 0x0
	.amdhsa_kernel _ZN7rocprim17ROCPRIM_400000_NS6detail17trampoline_kernelINS0_13select_configILj256ELj13ELNS0_17block_load_methodE3ELS4_3ELS4_3ELNS0_20block_scan_algorithmE0ELj4294967295EEENS1_25partition_config_selectorILNS1_17partition_subalgoE3EjNS0_10empty_typeEbEEZZNS1_14partition_implILS8_3ELb0ES6_jNS0_17counting_iteratorIjlEEPS9_SE_NS0_5tupleIJPjSE_EEENSF_IJSE_SE_EEES9_SG_JZNS1_25segmented_radix_sort_implINS0_14default_configELb1EPKfPfPKlPlN2at6native12_GLOBAL__N_18offset_tEEE10hipError_tPvRmT1_PNSt15iterator_traitsISY_E10value_typeET2_T3_PNSZ_IS14_E10value_typeET4_jRbjT5_S1A_jjP12ihipStream_tbEUljE_EEESV_SW_SX_S14_S18_S1A_T6_T7_T9_mT8_S1C_bDpT10_ENKUlT_T0_E_clISt17integral_constantIbLb0EES1O_IbLb1EEEEDaS1K_S1L_EUlS1K_E_NS1_11comp_targetILNS1_3genE8ELNS1_11target_archE1030ELNS1_3gpuE2ELNS1_3repE0EEENS1_30default_config_static_selectorELNS0_4arch9wavefront6targetE0EEEvSY_
		.amdhsa_group_segment_fixed_size 0
		.amdhsa_private_segment_fixed_size 0
		.amdhsa_kernarg_size 152
		.amdhsa_user_sgpr_count 2
		.amdhsa_user_sgpr_dispatch_ptr 0
		.amdhsa_user_sgpr_queue_ptr 0
		.amdhsa_user_sgpr_kernarg_segment_ptr 1
		.amdhsa_user_sgpr_dispatch_id 0
		.amdhsa_user_sgpr_private_segment_size 0
		.amdhsa_wavefront_size32 1
		.amdhsa_uses_dynamic_stack 0
		.amdhsa_enable_private_segment 0
		.amdhsa_system_sgpr_workgroup_id_x 1
		.amdhsa_system_sgpr_workgroup_id_y 0
		.amdhsa_system_sgpr_workgroup_id_z 0
		.amdhsa_system_sgpr_workgroup_info 0
		.amdhsa_system_vgpr_workitem_id 0
		.amdhsa_next_free_vgpr 1
		.amdhsa_next_free_sgpr 1
		.amdhsa_reserve_vcc 0
		.amdhsa_float_round_mode_32 0
		.amdhsa_float_round_mode_16_64 0
		.amdhsa_float_denorm_mode_32 3
		.amdhsa_float_denorm_mode_16_64 3
		.amdhsa_fp16_overflow 0
		.amdhsa_workgroup_processor_mode 1
		.amdhsa_memory_ordered 1
		.amdhsa_forward_progress 1
		.amdhsa_inst_pref_size 0
		.amdhsa_round_robin_scheduling 0
		.amdhsa_exception_fp_ieee_invalid_op 0
		.amdhsa_exception_fp_denorm_src 0
		.amdhsa_exception_fp_ieee_div_zero 0
		.amdhsa_exception_fp_ieee_overflow 0
		.amdhsa_exception_fp_ieee_underflow 0
		.amdhsa_exception_fp_ieee_inexact 0
		.amdhsa_exception_int_div_zero 0
	.end_amdhsa_kernel
	.section	.text._ZN7rocprim17ROCPRIM_400000_NS6detail17trampoline_kernelINS0_13select_configILj256ELj13ELNS0_17block_load_methodE3ELS4_3ELS4_3ELNS0_20block_scan_algorithmE0ELj4294967295EEENS1_25partition_config_selectorILNS1_17partition_subalgoE3EjNS0_10empty_typeEbEEZZNS1_14partition_implILS8_3ELb0ES6_jNS0_17counting_iteratorIjlEEPS9_SE_NS0_5tupleIJPjSE_EEENSF_IJSE_SE_EEES9_SG_JZNS1_25segmented_radix_sort_implINS0_14default_configELb1EPKfPfPKlPlN2at6native12_GLOBAL__N_18offset_tEEE10hipError_tPvRmT1_PNSt15iterator_traitsISY_E10value_typeET2_T3_PNSZ_IS14_E10value_typeET4_jRbjT5_S1A_jjP12ihipStream_tbEUljE_EEESV_SW_SX_S14_S18_S1A_T6_T7_T9_mT8_S1C_bDpT10_ENKUlT_T0_E_clISt17integral_constantIbLb0EES1O_IbLb1EEEEDaS1K_S1L_EUlS1K_E_NS1_11comp_targetILNS1_3genE8ELNS1_11target_archE1030ELNS1_3gpuE2ELNS1_3repE0EEENS1_30default_config_static_selectorELNS0_4arch9wavefront6targetE0EEEvSY_,"axG",@progbits,_ZN7rocprim17ROCPRIM_400000_NS6detail17trampoline_kernelINS0_13select_configILj256ELj13ELNS0_17block_load_methodE3ELS4_3ELS4_3ELNS0_20block_scan_algorithmE0ELj4294967295EEENS1_25partition_config_selectorILNS1_17partition_subalgoE3EjNS0_10empty_typeEbEEZZNS1_14partition_implILS8_3ELb0ES6_jNS0_17counting_iteratorIjlEEPS9_SE_NS0_5tupleIJPjSE_EEENSF_IJSE_SE_EEES9_SG_JZNS1_25segmented_radix_sort_implINS0_14default_configELb1EPKfPfPKlPlN2at6native12_GLOBAL__N_18offset_tEEE10hipError_tPvRmT1_PNSt15iterator_traitsISY_E10value_typeET2_T3_PNSZ_IS14_E10value_typeET4_jRbjT5_S1A_jjP12ihipStream_tbEUljE_EEESV_SW_SX_S14_S18_S1A_T6_T7_T9_mT8_S1C_bDpT10_ENKUlT_T0_E_clISt17integral_constantIbLb0EES1O_IbLb1EEEEDaS1K_S1L_EUlS1K_E_NS1_11comp_targetILNS1_3genE8ELNS1_11target_archE1030ELNS1_3gpuE2ELNS1_3repE0EEENS1_30default_config_static_selectorELNS0_4arch9wavefront6targetE0EEEvSY_,comdat
.Lfunc_end1324:
	.size	_ZN7rocprim17ROCPRIM_400000_NS6detail17trampoline_kernelINS0_13select_configILj256ELj13ELNS0_17block_load_methodE3ELS4_3ELS4_3ELNS0_20block_scan_algorithmE0ELj4294967295EEENS1_25partition_config_selectorILNS1_17partition_subalgoE3EjNS0_10empty_typeEbEEZZNS1_14partition_implILS8_3ELb0ES6_jNS0_17counting_iteratorIjlEEPS9_SE_NS0_5tupleIJPjSE_EEENSF_IJSE_SE_EEES9_SG_JZNS1_25segmented_radix_sort_implINS0_14default_configELb1EPKfPfPKlPlN2at6native12_GLOBAL__N_18offset_tEEE10hipError_tPvRmT1_PNSt15iterator_traitsISY_E10value_typeET2_T3_PNSZ_IS14_E10value_typeET4_jRbjT5_S1A_jjP12ihipStream_tbEUljE_EEESV_SW_SX_S14_S18_S1A_T6_T7_T9_mT8_S1C_bDpT10_ENKUlT_T0_E_clISt17integral_constantIbLb0EES1O_IbLb1EEEEDaS1K_S1L_EUlS1K_E_NS1_11comp_targetILNS1_3genE8ELNS1_11target_archE1030ELNS1_3gpuE2ELNS1_3repE0EEENS1_30default_config_static_selectorELNS0_4arch9wavefront6targetE0EEEvSY_, .Lfunc_end1324-_ZN7rocprim17ROCPRIM_400000_NS6detail17trampoline_kernelINS0_13select_configILj256ELj13ELNS0_17block_load_methodE3ELS4_3ELS4_3ELNS0_20block_scan_algorithmE0ELj4294967295EEENS1_25partition_config_selectorILNS1_17partition_subalgoE3EjNS0_10empty_typeEbEEZZNS1_14partition_implILS8_3ELb0ES6_jNS0_17counting_iteratorIjlEEPS9_SE_NS0_5tupleIJPjSE_EEENSF_IJSE_SE_EEES9_SG_JZNS1_25segmented_radix_sort_implINS0_14default_configELb1EPKfPfPKlPlN2at6native12_GLOBAL__N_18offset_tEEE10hipError_tPvRmT1_PNSt15iterator_traitsISY_E10value_typeET2_T3_PNSZ_IS14_E10value_typeET4_jRbjT5_S1A_jjP12ihipStream_tbEUljE_EEESV_SW_SX_S14_S18_S1A_T6_T7_T9_mT8_S1C_bDpT10_ENKUlT_T0_E_clISt17integral_constantIbLb0EES1O_IbLb1EEEEDaS1K_S1L_EUlS1K_E_NS1_11comp_targetILNS1_3genE8ELNS1_11target_archE1030ELNS1_3gpuE2ELNS1_3repE0EEENS1_30default_config_static_selectorELNS0_4arch9wavefront6targetE0EEEvSY_
                                        ; -- End function
	.set _ZN7rocprim17ROCPRIM_400000_NS6detail17trampoline_kernelINS0_13select_configILj256ELj13ELNS0_17block_load_methodE3ELS4_3ELS4_3ELNS0_20block_scan_algorithmE0ELj4294967295EEENS1_25partition_config_selectorILNS1_17partition_subalgoE3EjNS0_10empty_typeEbEEZZNS1_14partition_implILS8_3ELb0ES6_jNS0_17counting_iteratorIjlEEPS9_SE_NS0_5tupleIJPjSE_EEENSF_IJSE_SE_EEES9_SG_JZNS1_25segmented_radix_sort_implINS0_14default_configELb1EPKfPfPKlPlN2at6native12_GLOBAL__N_18offset_tEEE10hipError_tPvRmT1_PNSt15iterator_traitsISY_E10value_typeET2_T3_PNSZ_IS14_E10value_typeET4_jRbjT5_S1A_jjP12ihipStream_tbEUljE_EEESV_SW_SX_S14_S18_S1A_T6_T7_T9_mT8_S1C_bDpT10_ENKUlT_T0_E_clISt17integral_constantIbLb0EES1O_IbLb1EEEEDaS1K_S1L_EUlS1K_E_NS1_11comp_targetILNS1_3genE8ELNS1_11target_archE1030ELNS1_3gpuE2ELNS1_3repE0EEENS1_30default_config_static_selectorELNS0_4arch9wavefront6targetE0EEEvSY_.num_vgpr, 0
	.set _ZN7rocprim17ROCPRIM_400000_NS6detail17trampoline_kernelINS0_13select_configILj256ELj13ELNS0_17block_load_methodE3ELS4_3ELS4_3ELNS0_20block_scan_algorithmE0ELj4294967295EEENS1_25partition_config_selectorILNS1_17partition_subalgoE3EjNS0_10empty_typeEbEEZZNS1_14partition_implILS8_3ELb0ES6_jNS0_17counting_iteratorIjlEEPS9_SE_NS0_5tupleIJPjSE_EEENSF_IJSE_SE_EEES9_SG_JZNS1_25segmented_radix_sort_implINS0_14default_configELb1EPKfPfPKlPlN2at6native12_GLOBAL__N_18offset_tEEE10hipError_tPvRmT1_PNSt15iterator_traitsISY_E10value_typeET2_T3_PNSZ_IS14_E10value_typeET4_jRbjT5_S1A_jjP12ihipStream_tbEUljE_EEESV_SW_SX_S14_S18_S1A_T6_T7_T9_mT8_S1C_bDpT10_ENKUlT_T0_E_clISt17integral_constantIbLb0EES1O_IbLb1EEEEDaS1K_S1L_EUlS1K_E_NS1_11comp_targetILNS1_3genE8ELNS1_11target_archE1030ELNS1_3gpuE2ELNS1_3repE0EEENS1_30default_config_static_selectorELNS0_4arch9wavefront6targetE0EEEvSY_.num_agpr, 0
	.set _ZN7rocprim17ROCPRIM_400000_NS6detail17trampoline_kernelINS0_13select_configILj256ELj13ELNS0_17block_load_methodE3ELS4_3ELS4_3ELNS0_20block_scan_algorithmE0ELj4294967295EEENS1_25partition_config_selectorILNS1_17partition_subalgoE3EjNS0_10empty_typeEbEEZZNS1_14partition_implILS8_3ELb0ES6_jNS0_17counting_iteratorIjlEEPS9_SE_NS0_5tupleIJPjSE_EEENSF_IJSE_SE_EEES9_SG_JZNS1_25segmented_radix_sort_implINS0_14default_configELb1EPKfPfPKlPlN2at6native12_GLOBAL__N_18offset_tEEE10hipError_tPvRmT1_PNSt15iterator_traitsISY_E10value_typeET2_T3_PNSZ_IS14_E10value_typeET4_jRbjT5_S1A_jjP12ihipStream_tbEUljE_EEESV_SW_SX_S14_S18_S1A_T6_T7_T9_mT8_S1C_bDpT10_ENKUlT_T0_E_clISt17integral_constantIbLb0EES1O_IbLb1EEEEDaS1K_S1L_EUlS1K_E_NS1_11comp_targetILNS1_3genE8ELNS1_11target_archE1030ELNS1_3gpuE2ELNS1_3repE0EEENS1_30default_config_static_selectorELNS0_4arch9wavefront6targetE0EEEvSY_.numbered_sgpr, 0
	.set _ZN7rocprim17ROCPRIM_400000_NS6detail17trampoline_kernelINS0_13select_configILj256ELj13ELNS0_17block_load_methodE3ELS4_3ELS4_3ELNS0_20block_scan_algorithmE0ELj4294967295EEENS1_25partition_config_selectorILNS1_17partition_subalgoE3EjNS0_10empty_typeEbEEZZNS1_14partition_implILS8_3ELb0ES6_jNS0_17counting_iteratorIjlEEPS9_SE_NS0_5tupleIJPjSE_EEENSF_IJSE_SE_EEES9_SG_JZNS1_25segmented_radix_sort_implINS0_14default_configELb1EPKfPfPKlPlN2at6native12_GLOBAL__N_18offset_tEEE10hipError_tPvRmT1_PNSt15iterator_traitsISY_E10value_typeET2_T3_PNSZ_IS14_E10value_typeET4_jRbjT5_S1A_jjP12ihipStream_tbEUljE_EEESV_SW_SX_S14_S18_S1A_T6_T7_T9_mT8_S1C_bDpT10_ENKUlT_T0_E_clISt17integral_constantIbLb0EES1O_IbLb1EEEEDaS1K_S1L_EUlS1K_E_NS1_11comp_targetILNS1_3genE8ELNS1_11target_archE1030ELNS1_3gpuE2ELNS1_3repE0EEENS1_30default_config_static_selectorELNS0_4arch9wavefront6targetE0EEEvSY_.num_named_barrier, 0
	.set _ZN7rocprim17ROCPRIM_400000_NS6detail17trampoline_kernelINS0_13select_configILj256ELj13ELNS0_17block_load_methodE3ELS4_3ELS4_3ELNS0_20block_scan_algorithmE0ELj4294967295EEENS1_25partition_config_selectorILNS1_17partition_subalgoE3EjNS0_10empty_typeEbEEZZNS1_14partition_implILS8_3ELb0ES6_jNS0_17counting_iteratorIjlEEPS9_SE_NS0_5tupleIJPjSE_EEENSF_IJSE_SE_EEES9_SG_JZNS1_25segmented_radix_sort_implINS0_14default_configELb1EPKfPfPKlPlN2at6native12_GLOBAL__N_18offset_tEEE10hipError_tPvRmT1_PNSt15iterator_traitsISY_E10value_typeET2_T3_PNSZ_IS14_E10value_typeET4_jRbjT5_S1A_jjP12ihipStream_tbEUljE_EEESV_SW_SX_S14_S18_S1A_T6_T7_T9_mT8_S1C_bDpT10_ENKUlT_T0_E_clISt17integral_constantIbLb0EES1O_IbLb1EEEEDaS1K_S1L_EUlS1K_E_NS1_11comp_targetILNS1_3genE8ELNS1_11target_archE1030ELNS1_3gpuE2ELNS1_3repE0EEENS1_30default_config_static_selectorELNS0_4arch9wavefront6targetE0EEEvSY_.private_seg_size, 0
	.set _ZN7rocprim17ROCPRIM_400000_NS6detail17trampoline_kernelINS0_13select_configILj256ELj13ELNS0_17block_load_methodE3ELS4_3ELS4_3ELNS0_20block_scan_algorithmE0ELj4294967295EEENS1_25partition_config_selectorILNS1_17partition_subalgoE3EjNS0_10empty_typeEbEEZZNS1_14partition_implILS8_3ELb0ES6_jNS0_17counting_iteratorIjlEEPS9_SE_NS0_5tupleIJPjSE_EEENSF_IJSE_SE_EEES9_SG_JZNS1_25segmented_radix_sort_implINS0_14default_configELb1EPKfPfPKlPlN2at6native12_GLOBAL__N_18offset_tEEE10hipError_tPvRmT1_PNSt15iterator_traitsISY_E10value_typeET2_T3_PNSZ_IS14_E10value_typeET4_jRbjT5_S1A_jjP12ihipStream_tbEUljE_EEESV_SW_SX_S14_S18_S1A_T6_T7_T9_mT8_S1C_bDpT10_ENKUlT_T0_E_clISt17integral_constantIbLb0EES1O_IbLb1EEEEDaS1K_S1L_EUlS1K_E_NS1_11comp_targetILNS1_3genE8ELNS1_11target_archE1030ELNS1_3gpuE2ELNS1_3repE0EEENS1_30default_config_static_selectorELNS0_4arch9wavefront6targetE0EEEvSY_.uses_vcc, 0
	.set _ZN7rocprim17ROCPRIM_400000_NS6detail17trampoline_kernelINS0_13select_configILj256ELj13ELNS0_17block_load_methodE3ELS4_3ELS4_3ELNS0_20block_scan_algorithmE0ELj4294967295EEENS1_25partition_config_selectorILNS1_17partition_subalgoE3EjNS0_10empty_typeEbEEZZNS1_14partition_implILS8_3ELb0ES6_jNS0_17counting_iteratorIjlEEPS9_SE_NS0_5tupleIJPjSE_EEENSF_IJSE_SE_EEES9_SG_JZNS1_25segmented_radix_sort_implINS0_14default_configELb1EPKfPfPKlPlN2at6native12_GLOBAL__N_18offset_tEEE10hipError_tPvRmT1_PNSt15iterator_traitsISY_E10value_typeET2_T3_PNSZ_IS14_E10value_typeET4_jRbjT5_S1A_jjP12ihipStream_tbEUljE_EEESV_SW_SX_S14_S18_S1A_T6_T7_T9_mT8_S1C_bDpT10_ENKUlT_T0_E_clISt17integral_constantIbLb0EES1O_IbLb1EEEEDaS1K_S1L_EUlS1K_E_NS1_11comp_targetILNS1_3genE8ELNS1_11target_archE1030ELNS1_3gpuE2ELNS1_3repE0EEENS1_30default_config_static_selectorELNS0_4arch9wavefront6targetE0EEEvSY_.uses_flat_scratch, 0
	.set _ZN7rocprim17ROCPRIM_400000_NS6detail17trampoline_kernelINS0_13select_configILj256ELj13ELNS0_17block_load_methodE3ELS4_3ELS4_3ELNS0_20block_scan_algorithmE0ELj4294967295EEENS1_25partition_config_selectorILNS1_17partition_subalgoE3EjNS0_10empty_typeEbEEZZNS1_14partition_implILS8_3ELb0ES6_jNS0_17counting_iteratorIjlEEPS9_SE_NS0_5tupleIJPjSE_EEENSF_IJSE_SE_EEES9_SG_JZNS1_25segmented_radix_sort_implINS0_14default_configELb1EPKfPfPKlPlN2at6native12_GLOBAL__N_18offset_tEEE10hipError_tPvRmT1_PNSt15iterator_traitsISY_E10value_typeET2_T3_PNSZ_IS14_E10value_typeET4_jRbjT5_S1A_jjP12ihipStream_tbEUljE_EEESV_SW_SX_S14_S18_S1A_T6_T7_T9_mT8_S1C_bDpT10_ENKUlT_T0_E_clISt17integral_constantIbLb0EES1O_IbLb1EEEEDaS1K_S1L_EUlS1K_E_NS1_11comp_targetILNS1_3genE8ELNS1_11target_archE1030ELNS1_3gpuE2ELNS1_3repE0EEENS1_30default_config_static_selectorELNS0_4arch9wavefront6targetE0EEEvSY_.has_dyn_sized_stack, 0
	.set _ZN7rocprim17ROCPRIM_400000_NS6detail17trampoline_kernelINS0_13select_configILj256ELj13ELNS0_17block_load_methodE3ELS4_3ELS4_3ELNS0_20block_scan_algorithmE0ELj4294967295EEENS1_25partition_config_selectorILNS1_17partition_subalgoE3EjNS0_10empty_typeEbEEZZNS1_14partition_implILS8_3ELb0ES6_jNS0_17counting_iteratorIjlEEPS9_SE_NS0_5tupleIJPjSE_EEENSF_IJSE_SE_EEES9_SG_JZNS1_25segmented_radix_sort_implINS0_14default_configELb1EPKfPfPKlPlN2at6native12_GLOBAL__N_18offset_tEEE10hipError_tPvRmT1_PNSt15iterator_traitsISY_E10value_typeET2_T3_PNSZ_IS14_E10value_typeET4_jRbjT5_S1A_jjP12ihipStream_tbEUljE_EEESV_SW_SX_S14_S18_S1A_T6_T7_T9_mT8_S1C_bDpT10_ENKUlT_T0_E_clISt17integral_constantIbLb0EES1O_IbLb1EEEEDaS1K_S1L_EUlS1K_E_NS1_11comp_targetILNS1_3genE8ELNS1_11target_archE1030ELNS1_3gpuE2ELNS1_3repE0EEENS1_30default_config_static_selectorELNS0_4arch9wavefront6targetE0EEEvSY_.has_recursion, 0
	.set _ZN7rocprim17ROCPRIM_400000_NS6detail17trampoline_kernelINS0_13select_configILj256ELj13ELNS0_17block_load_methodE3ELS4_3ELS4_3ELNS0_20block_scan_algorithmE0ELj4294967295EEENS1_25partition_config_selectorILNS1_17partition_subalgoE3EjNS0_10empty_typeEbEEZZNS1_14partition_implILS8_3ELb0ES6_jNS0_17counting_iteratorIjlEEPS9_SE_NS0_5tupleIJPjSE_EEENSF_IJSE_SE_EEES9_SG_JZNS1_25segmented_radix_sort_implINS0_14default_configELb1EPKfPfPKlPlN2at6native12_GLOBAL__N_18offset_tEEE10hipError_tPvRmT1_PNSt15iterator_traitsISY_E10value_typeET2_T3_PNSZ_IS14_E10value_typeET4_jRbjT5_S1A_jjP12ihipStream_tbEUljE_EEESV_SW_SX_S14_S18_S1A_T6_T7_T9_mT8_S1C_bDpT10_ENKUlT_T0_E_clISt17integral_constantIbLb0EES1O_IbLb1EEEEDaS1K_S1L_EUlS1K_E_NS1_11comp_targetILNS1_3genE8ELNS1_11target_archE1030ELNS1_3gpuE2ELNS1_3repE0EEENS1_30default_config_static_selectorELNS0_4arch9wavefront6targetE0EEEvSY_.has_indirect_call, 0
	.section	.AMDGPU.csdata,"",@progbits
; Kernel info:
; codeLenInByte = 0
; TotalNumSgprs: 0
; NumVgprs: 0
; ScratchSize: 0
; MemoryBound: 0
; FloatMode: 240
; IeeeMode: 1
; LDSByteSize: 0 bytes/workgroup (compile time only)
; SGPRBlocks: 0
; VGPRBlocks: 0
; NumSGPRsForWavesPerEU: 1
; NumVGPRsForWavesPerEU: 1
; Occupancy: 16
; WaveLimiterHint : 0
; COMPUTE_PGM_RSRC2:SCRATCH_EN: 0
; COMPUTE_PGM_RSRC2:USER_SGPR: 2
; COMPUTE_PGM_RSRC2:TRAP_HANDLER: 0
; COMPUTE_PGM_RSRC2:TGID_X_EN: 1
; COMPUTE_PGM_RSRC2:TGID_Y_EN: 0
; COMPUTE_PGM_RSRC2:TGID_Z_EN: 0
; COMPUTE_PGM_RSRC2:TIDIG_COMP_CNT: 0
	.section	.text._ZN7rocprim17ROCPRIM_400000_NS6detail17trampoline_kernelINS0_14default_configENS1_36segmented_radix_sort_config_selectorIflEEZNS1_25segmented_radix_sort_implIS3_Lb1EPKfPfPKlPlN2at6native12_GLOBAL__N_18offset_tEEE10hipError_tPvRmT1_PNSt15iterator_traitsISK_E10value_typeET2_T3_PNSL_ISQ_E10value_typeET4_jRbjT5_SW_jjP12ihipStream_tbEUlT_E_NS1_11comp_targetILNS1_3genE0ELNS1_11target_archE4294967295ELNS1_3gpuE0ELNS1_3repE0EEENS1_30default_config_static_selectorELNS0_4arch9wavefront6targetE0EEEvSK_,"axG",@progbits,_ZN7rocprim17ROCPRIM_400000_NS6detail17trampoline_kernelINS0_14default_configENS1_36segmented_radix_sort_config_selectorIflEEZNS1_25segmented_radix_sort_implIS3_Lb1EPKfPfPKlPlN2at6native12_GLOBAL__N_18offset_tEEE10hipError_tPvRmT1_PNSt15iterator_traitsISK_E10value_typeET2_T3_PNSL_ISQ_E10value_typeET4_jRbjT5_SW_jjP12ihipStream_tbEUlT_E_NS1_11comp_targetILNS1_3genE0ELNS1_11target_archE4294967295ELNS1_3gpuE0ELNS1_3repE0EEENS1_30default_config_static_selectorELNS0_4arch9wavefront6targetE0EEEvSK_,comdat
	.globl	_ZN7rocprim17ROCPRIM_400000_NS6detail17trampoline_kernelINS0_14default_configENS1_36segmented_radix_sort_config_selectorIflEEZNS1_25segmented_radix_sort_implIS3_Lb1EPKfPfPKlPlN2at6native12_GLOBAL__N_18offset_tEEE10hipError_tPvRmT1_PNSt15iterator_traitsISK_E10value_typeET2_T3_PNSL_ISQ_E10value_typeET4_jRbjT5_SW_jjP12ihipStream_tbEUlT_E_NS1_11comp_targetILNS1_3genE0ELNS1_11target_archE4294967295ELNS1_3gpuE0ELNS1_3repE0EEENS1_30default_config_static_selectorELNS0_4arch9wavefront6targetE0EEEvSK_ ; -- Begin function _ZN7rocprim17ROCPRIM_400000_NS6detail17trampoline_kernelINS0_14default_configENS1_36segmented_radix_sort_config_selectorIflEEZNS1_25segmented_radix_sort_implIS3_Lb1EPKfPfPKlPlN2at6native12_GLOBAL__N_18offset_tEEE10hipError_tPvRmT1_PNSt15iterator_traitsISK_E10value_typeET2_T3_PNSL_ISQ_E10value_typeET4_jRbjT5_SW_jjP12ihipStream_tbEUlT_E_NS1_11comp_targetILNS1_3genE0ELNS1_11target_archE4294967295ELNS1_3gpuE0ELNS1_3repE0EEENS1_30default_config_static_selectorELNS0_4arch9wavefront6targetE0EEEvSK_
	.p2align	8
	.type	_ZN7rocprim17ROCPRIM_400000_NS6detail17trampoline_kernelINS0_14default_configENS1_36segmented_radix_sort_config_selectorIflEEZNS1_25segmented_radix_sort_implIS3_Lb1EPKfPfPKlPlN2at6native12_GLOBAL__N_18offset_tEEE10hipError_tPvRmT1_PNSt15iterator_traitsISK_E10value_typeET2_T3_PNSL_ISQ_E10value_typeET4_jRbjT5_SW_jjP12ihipStream_tbEUlT_E_NS1_11comp_targetILNS1_3genE0ELNS1_11target_archE4294967295ELNS1_3gpuE0ELNS1_3repE0EEENS1_30default_config_static_selectorELNS0_4arch9wavefront6targetE0EEEvSK_,@function
_ZN7rocprim17ROCPRIM_400000_NS6detail17trampoline_kernelINS0_14default_configENS1_36segmented_radix_sort_config_selectorIflEEZNS1_25segmented_radix_sort_implIS3_Lb1EPKfPfPKlPlN2at6native12_GLOBAL__N_18offset_tEEE10hipError_tPvRmT1_PNSt15iterator_traitsISK_E10value_typeET2_T3_PNSL_ISQ_E10value_typeET4_jRbjT5_SW_jjP12ihipStream_tbEUlT_E_NS1_11comp_targetILNS1_3genE0ELNS1_11target_archE4294967295ELNS1_3gpuE0ELNS1_3repE0EEENS1_30default_config_static_selectorELNS0_4arch9wavefront6targetE0EEEvSK_: ; @_ZN7rocprim17ROCPRIM_400000_NS6detail17trampoline_kernelINS0_14default_configENS1_36segmented_radix_sort_config_selectorIflEEZNS1_25segmented_radix_sort_implIS3_Lb1EPKfPfPKlPlN2at6native12_GLOBAL__N_18offset_tEEE10hipError_tPvRmT1_PNSt15iterator_traitsISK_E10value_typeET2_T3_PNSL_ISQ_E10value_typeET4_jRbjT5_SW_jjP12ihipStream_tbEUlT_E_NS1_11comp_targetILNS1_3genE0ELNS1_11target_archE4294967295ELNS1_3gpuE0ELNS1_3repE0EEENS1_30default_config_static_selectorELNS0_4arch9wavefront6targetE0EEEvSK_
; %bb.0:
	.section	.rodata,"a",@progbits
	.p2align	6, 0x0
	.amdhsa_kernel _ZN7rocprim17ROCPRIM_400000_NS6detail17trampoline_kernelINS0_14default_configENS1_36segmented_radix_sort_config_selectorIflEEZNS1_25segmented_radix_sort_implIS3_Lb1EPKfPfPKlPlN2at6native12_GLOBAL__N_18offset_tEEE10hipError_tPvRmT1_PNSt15iterator_traitsISK_E10value_typeET2_T3_PNSL_ISQ_E10value_typeET4_jRbjT5_SW_jjP12ihipStream_tbEUlT_E_NS1_11comp_targetILNS1_3genE0ELNS1_11target_archE4294967295ELNS1_3gpuE0ELNS1_3repE0EEENS1_30default_config_static_selectorELNS0_4arch9wavefront6targetE0EEEvSK_
		.amdhsa_group_segment_fixed_size 0
		.amdhsa_private_segment_fixed_size 0
		.amdhsa_kernarg_size 96
		.amdhsa_user_sgpr_count 2
		.amdhsa_user_sgpr_dispatch_ptr 0
		.amdhsa_user_sgpr_queue_ptr 0
		.amdhsa_user_sgpr_kernarg_segment_ptr 1
		.amdhsa_user_sgpr_dispatch_id 0
		.amdhsa_user_sgpr_private_segment_size 0
		.amdhsa_wavefront_size32 1
		.amdhsa_uses_dynamic_stack 0
		.amdhsa_enable_private_segment 0
		.amdhsa_system_sgpr_workgroup_id_x 1
		.amdhsa_system_sgpr_workgroup_id_y 0
		.amdhsa_system_sgpr_workgroup_id_z 0
		.amdhsa_system_sgpr_workgroup_info 0
		.amdhsa_system_vgpr_workitem_id 0
		.amdhsa_next_free_vgpr 1
		.amdhsa_next_free_sgpr 1
		.amdhsa_reserve_vcc 0
		.amdhsa_float_round_mode_32 0
		.amdhsa_float_round_mode_16_64 0
		.amdhsa_float_denorm_mode_32 3
		.amdhsa_float_denorm_mode_16_64 3
		.amdhsa_fp16_overflow 0
		.amdhsa_workgroup_processor_mode 1
		.amdhsa_memory_ordered 1
		.amdhsa_forward_progress 1
		.amdhsa_inst_pref_size 0
		.amdhsa_round_robin_scheduling 0
		.amdhsa_exception_fp_ieee_invalid_op 0
		.amdhsa_exception_fp_denorm_src 0
		.amdhsa_exception_fp_ieee_div_zero 0
		.amdhsa_exception_fp_ieee_overflow 0
		.amdhsa_exception_fp_ieee_underflow 0
		.amdhsa_exception_fp_ieee_inexact 0
		.amdhsa_exception_int_div_zero 0
	.end_amdhsa_kernel
	.section	.text._ZN7rocprim17ROCPRIM_400000_NS6detail17trampoline_kernelINS0_14default_configENS1_36segmented_radix_sort_config_selectorIflEEZNS1_25segmented_radix_sort_implIS3_Lb1EPKfPfPKlPlN2at6native12_GLOBAL__N_18offset_tEEE10hipError_tPvRmT1_PNSt15iterator_traitsISK_E10value_typeET2_T3_PNSL_ISQ_E10value_typeET4_jRbjT5_SW_jjP12ihipStream_tbEUlT_E_NS1_11comp_targetILNS1_3genE0ELNS1_11target_archE4294967295ELNS1_3gpuE0ELNS1_3repE0EEENS1_30default_config_static_selectorELNS0_4arch9wavefront6targetE0EEEvSK_,"axG",@progbits,_ZN7rocprim17ROCPRIM_400000_NS6detail17trampoline_kernelINS0_14default_configENS1_36segmented_radix_sort_config_selectorIflEEZNS1_25segmented_radix_sort_implIS3_Lb1EPKfPfPKlPlN2at6native12_GLOBAL__N_18offset_tEEE10hipError_tPvRmT1_PNSt15iterator_traitsISK_E10value_typeET2_T3_PNSL_ISQ_E10value_typeET4_jRbjT5_SW_jjP12ihipStream_tbEUlT_E_NS1_11comp_targetILNS1_3genE0ELNS1_11target_archE4294967295ELNS1_3gpuE0ELNS1_3repE0EEENS1_30default_config_static_selectorELNS0_4arch9wavefront6targetE0EEEvSK_,comdat
.Lfunc_end1325:
	.size	_ZN7rocprim17ROCPRIM_400000_NS6detail17trampoline_kernelINS0_14default_configENS1_36segmented_radix_sort_config_selectorIflEEZNS1_25segmented_radix_sort_implIS3_Lb1EPKfPfPKlPlN2at6native12_GLOBAL__N_18offset_tEEE10hipError_tPvRmT1_PNSt15iterator_traitsISK_E10value_typeET2_T3_PNSL_ISQ_E10value_typeET4_jRbjT5_SW_jjP12ihipStream_tbEUlT_E_NS1_11comp_targetILNS1_3genE0ELNS1_11target_archE4294967295ELNS1_3gpuE0ELNS1_3repE0EEENS1_30default_config_static_selectorELNS0_4arch9wavefront6targetE0EEEvSK_, .Lfunc_end1325-_ZN7rocprim17ROCPRIM_400000_NS6detail17trampoline_kernelINS0_14default_configENS1_36segmented_radix_sort_config_selectorIflEEZNS1_25segmented_radix_sort_implIS3_Lb1EPKfPfPKlPlN2at6native12_GLOBAL__N_18offset_tEEE10hipError_tPvRmT1_PNSt15iterator_traitsISK_E10value_typeET2_T3_PNSL_ISQ_E10value_typeET4_jRbjT5_SW_jjP12ihipStream_tbEUlT_E_NS1_11comp_targetILNS1_3genE0ELNS1_11target_archE4294967295ELNS1_3gpuE0ELNS1_3repE0EEENS1_30default_config_static_selectorELNS0_4arch9wavefront6targetE0EEEvSK_
                                        ; -- End function
	.set _ZN7rocprim17ROCPRIM_400000_NS6detail17trampoline_kernelINS0_14default_configENS1_36segmented_radix_sort_config_selectorIflEEZNS1_25segmented_radix_sort_implIS3_Lb1EPKfPfPKlPlN2at6native12_GLOBAL__N_18offset_tEEE10hipError_tPvRmT1_PNSt15iterator_traitsISK_E10value_typeET2_T3_PNSL_ISQ_E10value_typeET4_jRbjT5_SW_jjP12ihipStream_tbEUlT_E_NS1_11comp_targetILNS1_3genE0ELNS1_11target_archE4294967295ELNS1_3gpuE0ELNS1_3repE0EEENS1_30default_config_static_selectorELNS0_4arch9wavefront6targetE0EEEvSK_.num_vgpr, 0
	.set _ZN7rocprim17ROCPRIM_400000_NS6detail17trampoline_kernelINS0_14default_configENS1_36segmented_radix_sort_config_selectorIflEEZNS1_25segmented_radix_sort_implIS3_Lb1EPKfPfPKlPlN2at6native12_GLOBAL__N_18offset_tEEE10hipError_tPvRmT1_PNSt15iterator_traitsISK_E10value_typeET2_T3_PNSL_ISQ_E10value_typeET4_jRbjT5_SW_jjP12ihipStream_tbEUlT_E_NS1_11comp_targetILNS1_3genE0ELNS1_11target_archE4294967295ELNS1_3gpuE0ELNS1_3repE0EEENS1_30default_config_static_selectorELNS0_4arch9wavefront6targetE0EEEvSK_.num_agpr, 0
	.set _ZN7rocprim17ROCPRIM_400000_NS6detail17trampoline_kernelINS0_14default_configENS1_36segmented_radix_sort_config_selectorIflEEZNS1_25segmented_radix_sort_implIS3_Lb1EPKfPfPKlPlN2at6native12_GLOBAL__N_18offset_tEEE10hipError_tPvRmT1_PNSt15iterator_traitsISK_E10value_typeET2_T3_PNSL_ISQ_E10value_typeET4_jRbjT5_SW_jjP12ihipStream_tbEUlT_E_NS1_11comp_targetILNS1_3genE0ELNS1_11target_archE4294967295ELNS1_3gpuE0ELNS1_3repE0EEENS1_30default_config_static_selectorELNS0_4arch9wavefront6targetE0EEEvSK_.numbered_sgpr, 0
	.set _ZN7rocprim17ROCPRIM_400000_NS6detail17trampoline_kernelINS0_14default_configENS1_36segmented_radix_sort_config_selectorIflEEZNS1_25segmented_radix_sort_implIS3_Lb1EPKfPfPKlPlN2at6native12_GLOBAL__N_18offset_tEEE10hipError_tPvRmT1_PNSt15iterator_traitsISK_E10value_typeET2_T3_PNSL_ISQ_E10value_typeET4_jRbjT5_SW_jjP12ihipStream_tbEUlT_E_NS1_11comp_targetILNS1_3genE0ELNS1_11target_archE4294967295ELNS1_3gpuE0ELNS1_3repE0EEENS1_30default_config_static_selectorELNS0_4arch9wavefront6targetE0EEEvSK_.num_named_barrier, 0
	.set _ZN7rocprim17ROCPRIM_400000_NS6detail17trampoline_kernelINS0_14default_configENS1_36segmented_radix_sort_config_selectorIflEEZNS1_25segmented_radix_sort_implIS3_Lb1EPKfPfPKlPlN2at6native12_GLOBAL__N_18offset_tEEE10hipError_tPvRmT1_PNSt15iterator_traitsISK_E10value_typeET2_T3_PNSL_ISQ_E10value_typeET4_jRbjT5_SW_jjP12ihipStream_tbEUlT_E_NS1_11comp_targetILNS1_3genE0ELNS1_11target_archE4294967295ELNS1_3gpuE0ELNS1_3repE0EEENS1_30default_config_static_selectorELNS0_4arch9wavefront6targetE0EEEvSK_.private_seg_size, 0
	.set _ZN7rocprim17ROCPRIM_400000_NS6detail17trampoline_kernelINS0_14default_configENS1_36segmented_radix_sort_config_selectorIflEEZNS1_25segmented_radix_sort_implIS3_Lb1EPKfPfPKlPlN2at6native12_GLOBAL__N_18offset_tEEE10hipError_tPvRmT1_PNSt15iterator_traitsISK_E10value_typeET2_T3_PNSL_ISQ_E10value_typeET4_jRbjT5_SW_jjP12ihipStream_tbEUlT_E_NS1_11comp_targetILNS1_3genE0ELNS1_11target_archE4294967295ELNS1_3gpuE0ELNS1_3repE0EEENS1_30default_config_static_selectorELNS0_4arch9wavefront6targetE0EEEvSK_.uses_vcc, 0
	.set _ZN7rocprim17ROCPRIM_400000_NS6detail17trampoline_kernelINS0_14default_configENS1_36segmented_radix_sort_config_selectorIflEEZNS1_25segmented_radix_sort_implIS3_Lb1EPKfPfPKlPlN2at6native12_GLOBAL__N_18offset_tEEE10hipError_tPvRmT1_PNSt15iterator_traitsISK_E10value_typeET2_T3_PNSL_ISQ_E10value_typeET4_jRbjT5_SW_jjP12ihipStream_tbEUlT_E_NS1_11comp_targetILNS1_3genE0ELNS1_11target_archE4294967295ELNS1_3gpuE0ELNS1_3repE0EEENS1_30default_config_static_selectorELNS0_4arch9wavefront6targetE0EEEvSK_.uses_flat_scratch, 0
	.set _ZN7rocprim17ROCPRIM_400000_NS6detail17trampoline_kernelINS0_14default_configENS1_36segmented_radix_sort_config_selectorIflEEZNS1_25segmented_radix_sort_implIS3_Lb1EPKfPfPKlPlN2at6native12_GLOBAL__N_18offset_tEEE10hipError_tPvRmT1_PNSt15iterator_traitsISK_E10value_typeET2_T3_PNSL_ISQ_E10value_typeET4_jRbjT5_SW_jjP12ihipStream_tbEUlT_E_NS1_11comp_targetILNS1_3genE0ELNS1_11target_archE4294967295ELNS1_3gpuE0ELNS1_3repE0EEENS1_30default_config_static_selectorELNS0_4arch9wavefront6targetE0EEEvSK_.has_dyn_sized_stack, 0
	.set _ZN7rocprim17ROCPRIM_400000_NS6detail17trampoline_kernelINS0_14default_configENS1_36segmented_radix_sort_config_selectorIflEEZNS1_25segmented_radix_sort_implIS3_Lb1EPKfPfPKlPlN2at6native12_GLOBAL__N_18offset_tEEE10hipError_tPvRmT1_PNSt15iterator_traitsISK_E10value_typeET2_T3_PNSL_ISQ_E10value_typeET4_jRbjT5_SW_jjP12ihipStream_tbEUlT_E_NS1_11comp_targetILNS1_3genE0ELNS1_11target_archE4294967295ELNS1_3gpuE0ELNS1_3repE0EEENS1_30default_config_static_selectorELNS0_4arch9wavefront6targetE0EEEvSK_.has_recursion, 0
	.set _ZN7rocprim17ROCPRIM_400000_NS6detail17trampoline_kernelINS0_14default_configENS1_36segmented_radix_sort_config_selectorIflEEZNS1_25segmented_radix_sort_implIS3_Lb1EPKfPfPKlPlN2at6native12_GLOBAL__N_18offset_tEEE10hipError_tPvRmT1_PNSt15iterator_traitsISK_E10value_typeET2_T3_PNSL_ISQ_E10value_typeET4_jRbjT5_SW_jjP12ihipStream_tbEUlT_E_NS1_11comp_targetILNS1_3genE0ELNS1_11target_archE4294967295ELNS1_3gpuE0ELNS1_3repE0EEENS1_30default_config_static_selectorELNS0_4arch9wavefront6targetE0EEEvSK_.has_indirect_call, 0
	.section	.AMDGPU.csdata,"",@progbits
; Kernel info:
; codeLenInByte = 0
; TotalNumSgprs: 0
; NumVgprs: 0
; ScratchSize: 0
; MemoryBound: 0
; FloatMode: 240
; IeeeMode: 1
; LDSByteSize: 0 bytes/workgroup (compile time only)
; SGPRBlocks: 0
; VGPRBlocks: 0
; NumSGPRsForWavesPerEU: 1
; NumVGPRsForWavesPerEU: 1
; Occupancy: 16
; WaveLimiterHint : 0
; COMPUTE_PGM_RSRC2:SCRATCH_EN: 0
; COMPUTE_PGM_RSRC2:USER_SGPR: 2
; COMPUTE_PGM_RSRC2:TRAP_HANDLER: 0
; COMPUTE_PGM_RSRC2:TGID_X_EN: 1
; COMPUTE_PGM_RSRC2:TGID_Y_EN: 0
; COMPUTE_PGM_RSRC2:TGID_Z_EN: 0
; COMPUTE_PGM_RSRC2:TIDIG_COMP_CNT: 0
	.section	.text._ZN7rocprim17ROCPRIM_400000_NS6detail17trampoline_kernelINS0_14default_configENS1_36segmented_radix_sort_config_selectorIflEEZNS1_25segmented_radix_sort_implIS3_Lb1EPKfPfPKlPlN2at6native12_GLOBAL__N_18offset_tEEE10hipError_tPvRmT1_PNSt15iterator_traitsISK_E10value_typeET2_T3_PNSL_ISQ_E10value_typeET4_jRbjT5_SW_jjP12ihipStream_tbEUlT_E_NS1_11comp_targetILNS1_3genE5ELNS1_11target_archE942ELNS1_3gpuE9ELNS1_3repE0EEENS1_30default_config_static_selectorELNS0_4arch9wavefront6targetE0EEEvSK_,"axG",@progbits,_ZN7rocprim17ROCPRIM_400000_NS6detail17trampoline_kernelINS0_14default_configENS1_36segmented_radix_sort_config_selectorIflEEZNS1_25segmented_radix_sort_implIS3_Lb1EPKfPfPKlPlN2at6native12_GLOBAL__N_18offset_tEEE10hipError_tPvRmT1_PNSt15iterator_traitsISK_E10value_typeET2_T3_PNSL_ISQ_E10value_typeET4_jRbjT5_SW_jjP12ihipStream_tbEUlT_E_NS1_11comp_targetILNS1_3genE5ELNS1_11target_archE942ELNS1_3gpuE9ELNS1_3repE0EEENS1_30default_config_static_selectorELNS0_4arch9wavefront6targetE0EEEvSK_,comdat
	.globl	_ZN7rocprim17ROCPRIM_400000_NS6detail17trampoline_kernelINS0_14default_configENS1_36segmented_radix_sort_config_selectorIflEEZNS1_25segmented_radix_sort_implIS3_Lb1EPKfPfPKlPlN2at6native12_GLOBAL__N_18offset_tEEE10hipError_tPvRmT1_PNSt15iterator_traitsISK_E10value_typeET2_T3_PNSL_ISQ_E10value_typeET4_jRbjT5_SW_jjP12ihipStream_tbEUlT_E_NS1_11comp_targetILNS1_3genE5ELNS1_11target_archE942ELNS1_3gpuE9ELNS1_3repE0EEENS1_30default_config_static_selectorELNS0_4arch9wavefront6targetE0EEEvSK_ ; -- Begin function _ZN7rocprim17ROCPRIM_400000_NS6detail17trampoline_kernelINS0_14default_configENS1_36segmented_radix_sort_config_selectorIflEEZNS1_25segmented_radix_sort_implIS3_Lb1EPKfPfPKlPlN2at6native12_GLOBAL__N_18offset_tEEE10hipError_tPvRmT1_PNSt15iterator_traitsISK_E10value_typeET2_T3_PNSL_ISQ_E10value_typeET4_jRbjT5_SW_jjP12ihipStream_tbEUlT_E_NS1_11comp_targetILNS1_3genE5ELNS1_11target_archE942ELNS1_3gpuE9ELNS1_3repE0EEENS1_30default_config_static_selectorELNS0_4arch9wavefront6targetE0EEEvSK_
	.p2align	8
	.type	_ZN7rocprim17ROCPRIM_400000_NS6detail17trampoline_kernelINS0_14default_configENS1_36segmented_radix_sort_config_selectorIflEEZNS1_25segmented_radix_sort_implIS3_Lb1EPKfPfPKlPlN2at6native12_GLOBAL__N_18offset_tEEE10hipError_tPvRmT1_PNSt15iterator_traitsISK_E10value_typeET2_T3_PNSL_ISQ_E10value_typeET4_jRbjT5_SW_jjP12ihipStream_tbEUlT_E_NS1_11comp_targetILNS1_3genE5ELNS1_11target_archE942ELNS1_3gpuE9ELNS1_3repE0EEENS1_30default_config_static_selectorELNS0_4arch9wavefront6targetE0EEEvSK_,@function
_ZN7rocprim17ROCPRIM_400000_NS6detail17trampoline_kernelINS0_14default_configENS1_36segmented_radix_sort_config_selectorIflEEZNS1_25segmented_radix_sort_implIS3_Lb1EPKfPfPKlPlN2at6native12_GLOBAL__N_18offset_tEEE10hipError_tPvRmT1_PNSt15iterator_traitsISK_E10value_typeET2_T3_PNSL_ISQ_E10value_typeET4_jRbjT5_SW_jjP12ihipStream_tbEUlT_E_NS1_11comp_targetILNS1_3genE5ELNS1_11target_archE942ELNS1_3gpuE9ELNS1_3repE0EEENS1_30default_config_static_selectorELNS0_4arch9wavefront6targetE0EEEvSK_: ; @_ZN7rocprim17ROCPRIM_400000_NS6detail17trampoline_kernelINS0_14default_configENS1_36segmented_radix_sort_config_selectorIflEEZNS1_25segmented_radix_sort_implIS3_Lb1EPKfPfPKlPlN2at6native12_GLOBAL__N_18offset_tEEE10hipError_tPvRmT1_PNSt15iterator_traitsISK_E10value_typeET2_T3_PNSL_ISQ_E10value_typeET4_jRbjT5_SW_jjP12ihipStream_tbEUlT_E_NS1_11comp_targetILNS1_3genE5ELNS1_11target_archE942ELNS1_3gpuE9ELNS1_3repE0EEENS1_30default_config_static_selectorELNS0_4arch9wavefront6targetE0EEEvSK_
; %bb.0:
	.section	.rodata,"a",@progbits
	.p2align	6, 0x0
	.amdhsa_kernel _ZN7rocprim17ROCPRIM_400000_NS6detail17trampoline_kernelINS0_14default_configENS1_36segmented_radix_sort_config_selectorIflEEZNS1_25segmented_radix_sort_implIS3_Lb1EPKfPfPKlPlN2at6native12_GLOBAL__N_18offset_tEEE10hipError_tPvRmT1_PNSt15iterator_traitsISK_E10value_typeET2_T3_PNSL_ISQ_E10value_typeET4_jRbjT5_SW_jjP12ihipStream_tbEUlT_E_NS1_11comp_targetILNS1_3genE5ELNS1_11target_archE942ELNS1_3gpuE9ELNS1_3repE0EEENS1_30default_config_static_selectorELNS0_4arch9wavefront6targetE0EEEvSK_
		.amdhsa_group_segment_fixed_size 0
		.amdhsa_private_segment_fixed_size 0
		.amdhsa_kernarg_size 96
		.amdhsa_user_sgpr_count 2
		.amdhsa_user_sgpr_dispatch_ptr 0
		.amdhsa_user_sgpr_queue_ptr 0
		.amdhsa_user_sgpr_kernarg_segment_ptr 1
		.amdhsa_user_sgpr_dispatch_id 0
		.amdhsa_user_sgpr_private_segment_size 0
		.amdhsa_wavefront_size32 1
		.amdhsa_uses_dynamic_stack 0
		.amdhsa_enable_private_segment 0
		.amdhsa_system_sgpr_workgroup_id_x 1
		.amdhsa_system_sgpr_workgroup_id_y 0
		.amdhsa_system_sgpr_workgroup_id_z 0
		.amdhsa_system_sgpr_workgroup_info 0
		.amdhsa_system_vgpr_workitem_id 0
		.amdhsa_next_free_vgpr 1
		.amdhsa_next_free_sgpr 1
		.amdhsa_reserve_vcc 0
		.amdhsa_float_round_mode_32 0
		.amdhsa_float_round_mode_16_64 0
		.amdhsa_float_denorm_mode_32 3
		.amdhsa_float_denorm_mode_16_64 3
		.amdhsa_fp16_overflow 0
		.amdhsa_workgroup_processor_mode 1
		.amdhsa_memory_ordered 1
		.amdhsa_forward_progress 1
		.amdhsa_inst_pref_size 0
		.amdhsa_round_robin_scheduling 0
		.amdhsa_exception_fp_ieee_invalid_op 0
		.amdhsa_exception_fp_denorm_src 0
		.amdhsa_exception_fp_ieee_div_zero 0
		.amdhsa_exception_fp_ieee_overflow 0
		.amdhsa_exception_fp_ieee_underflow 0
		.amdhsa_exception_fp_ieee_inexact 0
		.amdhsa_exception_int_div_zero 0
	.end_amdhsa_kernel
	.section	.text._ZN7rocprim17ROCPRIM_400000_NS6detail17trampoline_kernelINS0_14default_configENS1_36segmented_radix_sort_config_selectorIflEEZNS1_25segmented_radix_sort_implIS3_Lb1EPKfPfPKlPlN2at6native12_GLOBAL__N_18offset_tEEE10hipError_tPvRmT1_PNSt15iterator_traitsISK_E10value_typeET2_T3_PNSL_ISQ_E10value_typeET4_jRbjT5_SW_jjP12ihipStream_tbEUlT_E_NS1_11comp_targetILNS1_3genE5ELNS1_11target_archE942ELNS1_3gpuE9ELNS1_3repE0EEENS1_30default_config_static_selectorELNS0_4arch9wavefront6targetE0EEEvSK_,"axG",@progbits,_ZN7rocprim17ROCPRIM_400000_NS6detail17trampoline_kernelINS0_14default_configENS1_36segmented_radix_sort_config_selectorIflEEZNS1_25segmented_radix_sort_implIS3_Lb1EPKfPfPKlPlN2at6native12_GLOBAL__N_18offset_tEEE10hipError_tPvRmT1_PNSt15iterator_traitsISK_E10value_typeET2_T3_PNSL_ISQ_E10value_typeET4_jRbjT5_SW_jjP12ihipStream_tbEUlT_E_NS1_11comp_targetILNS1_3genE5ELNS1_11target_archE942ELNS1_3gpuE9ELNS1_3repE0EEENS1_30default_config_static_selectorELNS0_4arch9wavefront6targetE0EEEvSK_,comdat
.Lfunc_end1326:
	.size	_ZN7rocprim17ROCPRIM_400000_NS6detail17trampoline_kernelINS0_14default_configENS1_36segmented_radix_sort_config_selectorIflEEZNS1_25segmented_radix_sort_implIS3_Lb1EPKfPfPKlPlN2at6native12_GLOBAL__N_18offset_tEEE10hipError_tPvRmT1_PNSt15iterator_traitsISK_E10value_typeET2_T3_PNSL_ISQ_E10value_typeET4_jRbjT5_SW_jjP12ihipStream_tbEUlT_E_NS1_11comp_targetILNS1_3genE5ELNS1_11target_archE942ELNS1_3gpuE9ELNS1_3repE0EEENS1_30default_config_static_selectorELNS0_4arch9wavefront6targetE0EEEvSK_, .Lfunc_end1326-_ZN7rocprim17ROCPRIM_400000_NS6detail17trampoline_kernelINS0_14default_configENS1_36segmented_radix_sort_config_selectorIflEEZNS1_25segmented_radix_sort_implIS3_Lb1EPKfPfPKlPlN2at6native12_GLOBAL__N_18offset_tEEE10hipError_tPvRmT1_PNSt15iterator_traitsISK_E10value_typeET2_T3_PNSL_ISQ_E10value_typeET4_jRbjT5_SW_jjP12ihipStream_tbEUlT_E_NS1_11comp_targetILNS1_3genE5ELNS1_11target_archE942ELNS1_3gpuE9ELNS1_3repE0EEENS1_30default_config_static_selectorELNS0_4arch9wavefront6targetE0EEEvSK_
                                        ; -- End function
	.set _ZN7rocprim17ROCPRIM_400000_NS6detail17trampoline_kernelINS0_14default_configENS1_36segmented_radix_sort_config_selectorIflEEZNS1_25segmented_radix_sort_implIS3_Lb1EPKfPfPKlPlN2at6native12_GLOBAL__N_18offset_tEEE10hipError_tPvRmT1_PNSt15iterator_traitsISK_E10value_typeET2_T3_PNSL_ISQ_E10value_typeET4_jRbjT5_SW_jjP12ihipStream_tbEUlT_E_NS1_11comp_targetILNS1_3genE5ELNS1_11target_archE942ELNS1_3gpuE9ELNS1_3repE0EEENS1_30default_config_static_selectorELNS0_4arch9wavefront6targetE0EEEvSK_.num_vgpr, 0
	.set _ZN7rocprim17ROCPRIM_400000_NS6detail17trampoline_kernelINS0_14default_configENS1_36segmented_radix_sort_config_selectorIflEEZNS1_25segmented_radix_sort_implIS3_Lb1EPKfPfPKlPlN2at6native12_GLOBAL__N_18offset_tEEE10hipError_tPvRmT1_PNSt15iterator_traitsISK_E10value_typeET2_T3_PNSL_ISQ_E10value_typeET4_jRbjT5_SW_jjP12ihipStream_tbEUlT_E_NS1_11comp_targetILNS1_3genE5ELNS1_11target_archE942ELNS1_3gpuE9ELNS1_3repE0EEENS1_30default_config_static_selectorELNS0_4arch9wavefront6targetE0EEEvSK_.num_agpr, 0
	.set _ZN7rocprim17ROCPRIM_400000_NS6detail17trampoline_kernelINS0_14default_configENS1_36segmented_radix_sort_config_selectorIflEEZNS1_25segmented_radix_sort_implIS3_Lb1EPKfPfPKlPlN2at6native12_GLOBAL__N_18offset_tEEE10hipError_tPvRmT1_PNSt15iterator_traitsISK_E10value_typeET2_T3_PNSL_ISQ_E10value_typeET4_jRbjT5_SW_jjP12ihipStream_tbEUlT_E_NS1_11comp_targetILNS1_3genE5ELNS1_11target_archE942ELNS1_3gpuE9ELNS1_3repE0EEENS1_30default_config_static_selectorELNS0_4arch9wavefront6targetE0EEEvSK_.numbered_sgpr, 0
	.set _ZN7rocprim17ROCPRIM_400000_NS6detail17trampoline_kernelINS0_14default_configENS1_36segmented_radix_sort_config_selectorIflEEZNS1_25segmented_radix_sort_implIS3_Lb1EPKfPfPKlPlN2at6native12_GLOBAL__N_18offset_tEEE10hipError_tPvRmT1_PNSt15iterator_traitsISK_E10value_typeET2_T3_PNSL_ISQ_E10value_typeET4_jRbjT5_SW_jjP12ihipStream_tbEUlT_E_NS1_11comp_targetILNS1_3genE5ELNS1_11target_archE942ELNS1_3gpuE9ELNS1_3repE0EEENS1_30default_config_static_selectorELNS0_4arch9wavefront6targetE0EEEvSK_.num_named_barrier, 0
	.set _ZN7rocprim17ROCPRIM_400000_NS6detail17trampoline_kernelINS0_14default_configENS1_36segmented_radix_sort_config_selectorIflEEZNS1_25segmented_radix_sort_implIS3_Lb1EPKfPfPKlPlN2at6native12_GLOBAL__N_18offset_tEEE10hipError_tPvRmT1_PNSt15iterator_traitsISK_E10value_typeET2_T3_PNSL_ISQ_E10value_typeET4_jRbjT5_SW_jjP12ihipStream_tbEUlT_E_NS1_11comp_targetILNS1_3genE5ELNS1_11target_archE942ELNS1_3gpuE9ELNS1_3repE0EEENS1_30default_config_static_selectorELNS0_4arch9wavefront6targetE0EEEvSK_.private_seg_size, 0
	.set _ZN7rocprim17ROCPRIM_400000_NS6detail17trampoline_kernelINS0_14default_configENS1_36segmented_radix_sort_config_selectorIflEEZNS1_25segmented_radix_sort_implIS3_Lb1EPKfPfPKlPlN2at6native12_GLOBAL__N_18offset_tEEE10hipError_tPvRmT1_PNSt15iterator_traitsISK_E10value_typeET2_T3_PNSL_ISQ_E10value_typeET4_jRbjT5_SW_jjP12ihipStream_tbEUlT_E_NS1_11comp_targetILNS1_3genE5ELNS1_11target_archE942ELNS1_3gpuE9ELNS1_3repE0EEENS1_30default_config_static_selectorELNS0_4arch9wavefront6targetE0EEEvSK_.uses_vcc, 0
	.set _ZN7rocprim17ROCPRIM_400000_NS6detail17trampoline_kernelINS0_14default_configENS1_36segmented_radix_sort_config_selectorIflEEZNS1_25segmented_radix_sort_implIS3_Lb1EPKfPfPKlPlN2at6native12_GLOBAL__N_18offset_tEEE10hipError_tPvRmT1_PNSt15iterator_traitsISK_E10value_typeET2_T3_PNSL_ISQ_E10value_typeET4_jRbjT5_SW_jjP12ihipStream_tbEUlT_E_NS1_11comp_targetILNS1_3genE5ELNS1_11target_archE942ELNS1_3gpuE9ELNS1_3repE0EEENS1_30default_config_static_selectorELNS0_4arch9wavefront6targetE0EEEvSK_.uses_flat_scratch, 0
	.set _ZN7rocprim17ROCPRIM_400000_NS6detail17trampoline_kernelINS0_14default_configENS1_36segmented_radix_sort_config_selectorIflEEZNS1_25segmented_radix_sort_implIS3_Lb1EPKfPfPKlPlN2at6native12_GLOBAL__N_18offset_tEEE10hipError_tPvRmT1_PNSt15iterator_traitsISK_E10value_typeET2_T3_PNSL_ISQ_E10value_typeET4_jRbjT5_SW_jjP12ihipStream_tbEUlT_E_NS1_11comp_targetILNS1_3genE5ELNS1_11target_archE942ELNS1_3gpuE9ELNS1_3repE0EEENS1_30default_config_static_selectorELNS0_4arch9wavefront6targetE0EEEvSK_.has_dyn_sized_stack, 0
	.set _ZN7rocprim17ROCPRIM_400000_NS6detail17trampoline_kernelINS0_14default_configENS1_36segmented_radix_sort_config_selectorIflEEZNS1_25segmented_radix_sort_implIS3_Lb1EPKfPfPKlPlN2at6native12_GLOBAL__N_18offset_tEEE10hipError_tPvRmT1_PNSt15iterator_traitsISK_E10value_typeET2_T3_PNSL_ISQ_E10value_typeET4_jRbjT5_SW_jjP12ihipStream_tbEUlT_E_NS1_11comp_targetILNS1_3genE5ELNS1_11target_archE942ELNS1_3gpuE9ELNS1_3repE0EEENS1_30default_config_static_selectorELNS0_4arch9wavefront6targetE0EEEvSK_.has_recursion, 0
	.set _ZN7rocprim17ROCPRIM_400000_NS6detail17trampoline_kernelINS0_14default_configENS1_36segmented_radix_sort_config_selectorIflEEZNS1_25segmented_radix_sort_implIS3_Lb1EPKfPfPKlPlN2at6native12_GLOBAL__N_18offset_tEEE10hipError_tPvRmT1_PNSt15iterator_traitsISK_E10value_typeET2_T3_PNSL_ISQ_E10value_typeET4_jRbjT5_SW_jjP12ihipStream_tbEUlT_E_NS1_11comp_targetILNS1_3genE5ELNS1_11target_archE942ELNS1_3gpuE9ELNS1_3repE0EEENS1_30default_config_static_selectorELNS0_4arch9wavefront6targetE0EEEvSK_.has_indirect_call, 0
	.section	.AMDGPU.csdata,"",@progbits
; Kernel info:
; codeLenInByte = 0
; TotalNumSgprs: 0
; NumVgprs: 0
; ScratchSize: 0
; MemoryBound: 0
; FloatMode: 240
; IeeeMode: 1
; LDSByteSize: 0 bytes/workgroup (compile time only)
; SGPRBlocks: 0
; VGPRBlocks: 0
; NumSGPRsForWavesPerEU: 1
; NumVGPRsForWavesPerEU: 1
; Occupancy: 16
; WaveLimiterHint : 0
; COMPUTE_PGM_RSRC2:SCRATCH_EN: 0
; COMPUTE_PGM_RSRC2:USER_SGPR: 2
; COMPUTE_PGM_RSRC2:TRAP_HANDLER: 0
; COMPUTE_PGM_RSRC2:TGID_X_EN: 1
; COMPUTE_PGM_RSRC2:TGID_Y_EN: 0
; COMPUTE_PGM_RSRC2:TGID_Z_EN: 0
; COMPUTE_PGM_RSRC2:TIDIG_COMP_CNT: 0
	.section	.text._ZN7rocprim17ROCPRIM_400000_NS6detail17trampoline_kernelINS0_14default_configENS1_36segmented_radix_sort_config_selectorIflEEZNS1_25segmented_radix_sort_implIS3_Lb1EPKfPfPKlPlN2at6native12_GLOBAL__N_18offset_tEEE10hipError_tPvRmT1_PNSt15iterator_traitsISK_E10value_typeET2_T3_PNSL_ISQ_E10value_typeET4_jRbjT5_SW_jjP12ihipStream_tbEUlT_E_NS1_11comp_targetILNS1_3genE4ELNS1_11target_archE910ELNS1_3gpuE8ELNS1_3repE0EEENS1_30default_config_static_selectorELNS0_4arch9wavefront6targetE0EEEvSK_,"axG",@progbits,_ZN7rocprim17ROCPRIM_400000_NS6detail17trampoline_kernelINS0_14default_configENS1_36segmented_radix_sort_config_selectorIflEEZNS1_25segmented_radix_sort_implIS3_Lb1EPKfPfPKlPlN2at6native12_GLOBAL__N_18offset_tEEE10hipError_tPvRmT1_PNSt15iterator_traitsISK_E10value_typeET2_T3_PNSL_ISQ_E10value_typeET4_jRbjT5_SW_jjP12ihipStream_tbEUlT_E_NS1_11comp_targetILNS1_3genE4ELNS1_11target_archE910ELNS1_3gpuE8ELNS1_3repE0EEENS1_30default_config_static_selectorELNS0_4arch9wavefront6targetE0EEEvSK_,comdat
	.globl	_ZN7rocprim17ROCPRIM_400000_NS6detail17trampoline_kernelINS0_14default_configENS1_36segmented_radix_sort_config_selectorIflEEZNS1_25segmented_radix_sort_implIS3_Lb1EPKfPfPKlPlN2at6native12_GLOBAL__N_18offset_tEEE10hipError_tPvRmT1_PNSt15iterator_traitsISK_E10value_typeET2_T3_PNSL_ISQ_E10value_typeET4_jRbjT5_SW_jjP12ihipStream_tbEUlT_E_NS1_11comp_targetILNS1_3genE4ELNS1_11target_archE910ELNS1_3gpuE8ELNS1_3repE0EEENS1_30default_config_static_selectorELNS0_4arch9wavefront6targetE0EEEvSK_ ; -- Begin function _ZN7rocprim17ROCPRIM_400000_NS6detail17trampoline_kernelINS0_14default_configENS1_36segmented_radix_sort_config_selectorIflEEZNS1_25segmented_radix_sort_implIS3_Lb1EPKfPfPKlPlN2at6native12_GLOBAL__N_18offset_tEEE10hipError_tPvRmT1_PNSt15iterator_traitsISK_E10value_typeET2_T3_PNSL_ISQ_E10value_typeET4_jRbjT5_SW_jjP12ihipStream_tbEUlT_E_NS1_11comp_targetILNS1_3genE4ELNS1_11target_archE910ELNS1_3gpuE8ELNS1_3repE0EEENS1_30default_config_static_selectorELNS0_4arch9wavefront6targetE0EEEvSK_
	.p2align	8
	.type	_ZN7rocprim17ROCPRIM_400000_NS6detail17trampoline_kernelINS0_14default_configENS1_36segmented_radix_sort_config_selectorIflEEZNS1_25segmented_radix_sort_implIS3_Lb1EPKfPfPKlPlN2at6native12_GLOBAL__N_18offset_tEEE10hipError_tPvRmT1_PNSt15iterator_traitsISK_E10value_typeET2_T3_PNSL_ISQ_E10value_typeET4_jRbjT5_SW_jjP12ihipStream_tbEUlT_E_NS1_11comp_targetILNS1_3genE4ELNS1_11target_archE910ELNS1_3gpuE8ELNS1_3repE0EEENS1_30default_config_static_selectorELNS0_4arch9wavefront6targetE0EEEvSK_,@function
_ZN7rocprim17ROCPRIM_400000_NS6detail17trampoline_kernelINS0_14default_configENS1_36segmented_radix_sort_config_selectorIflEEZNS1_25segmented_radix_sort_implIS3_Lb1EPKfPfPKlPlN2at6native12_GLOBAL__N_18offset_tEEE10hipError_tPvRmT1_PNSt15iterator_traitsISK_E10value_typeET2_T3_PNSL_ISQ_E10value_typeET4_jRbjT5_SW_jjP12ihipStream_tbEUlT_E_NS1_11comp_targetILNS1_3genE4ELNS1_11target_archE910ELNS1_3gpuE8ELNS1_3repE0EEENS1_30default_config_static_selectorELNS0_4arch9wavefront6targetE0EEEvSK_: ; @_ZN7rocprim17ROCPRIM_400000_NS6detail17trampoline_kernelINS0_14default_configENS1_36segmented_radix_sort_config_selectorIflEEZNS1_25segmented_radix_sort_implIS3_Lb1EPKfPfPKlPlN2at6native12_GLOBAL__N_18offset_tEEE10hipError_tPvRmT1_PNSt15iterator_traitsISK_E10value_typeET2_T3_PNSL_ISQ_E10value_typeET4_jRbjT5_SW_jjP12ihipStream_tbEUlT_E_NS1_11comp_targetILNS1_3genE4ELNS1_11target_archE910ELNS1_3gpuE8ELNS1_3repE0EEENS1_30default_config_static_selectorELNS0_4arch9wavefront6targetE0EEEvSK_
; %bb.0:
	.section	.rodata,"a",@progbits
	.p2align	6, 0x0
	.amdhsa_kernel _ZN7rocprim17ROCPRIM_400000_NS6detail17trampoline_kernelINS0_14default_configENS1_36segmented_radix_sort_config_selectorIflEEZNS1_25segmented_radix_sort_implIS3_Lb1EPKfPfPKlPlN2at6native12_GLOBAL__N_18offset_tEEE10hipError_tPvRmT1_PNSt15iterator_traitsISK_E10value_typeET2_T3_PNSL_ISQ_E10value_typeET4_jRbjT5_SW_jjP12ihipStream_tbEUlT_E_NS1_11comp_targetILNS1_3genE4ELNS1_11target_archE910ELNS1_3gpuE8ELNS1_3repE0EEENS1_30default_config_static_selectorELNS0_4arch9wavefront6targetE0EEEvSK_
		.amdhsa_group_segment_fixed_size 0
		.amdhsa_private_segment_fixed_size 0
		.amdhsa_kernarg_size 96
		.amdhsa_user_sgpr_count 2
		.amdhsa_user_sgpr_dispatch_ptr 0
		.amdhsa_user_sgpr_queue_ptr 0
		.amdhsa_user_sgpr_kernarg_segment_ptr 1
		.amdhsa_user_sgpr_dispatch_id 0
		.amdhsa_user_sgpr_private_segment_size 0
		.amdhsa_wavefront_size32 1
		.amdhsa_uses_dynamic_stack 0
		.amdhsa_enable_private_segment 0
		.amdhsa_system_sgpr_workgroup_id_x 1
		.amdhsa_system_sgpr_workgroup_id_y 0
		.amdhsa_system_sgpr_workgroup_id_z 0
		.amdhsa_system_sgpr_workgroup_info 0
		.amdhsa_system_vgpr_workitem_id 0
		.amdhsa_next_free_vgpr 1
		.amdhsa_next_free_sgpr 1
		.amdhsa_reserve_vcc 0
		.amdhsa_float_round_mode_32 0
		.amdhsa_float_round_mode_16_64 0
		.amdhsa_float_denorm_mode_32 3
		.amdhsa_float_denorm_mode_16_64 3
		.amdhsa_fp16_overflow 0
		.amdhsa_workgroup_processor_mode 1
		.amdhsa_memory_ordered 1
		.amdhsa_forward_progress 1
		.amdhsa_inst_pref_size 0
		.amdhsa_round_robin_scheduling 0
		.amdhsa_exception_fp_ieee_invalid_op 0
		.amdhsa_exception_fp_denorm_src 0
		.amdhsa_exception_fp_ieee_div_zero 0
		.amdhsa_exception_fp_ieee_overflow 0
		.amdhsa_exception_fp_ieee_underflow 0
		.amdhsa_exception_fp_ieee_inexact 0
		.amdhsa_exception_int_div_zero 0
	.end_amdhsa_kernel
	.section	.text._ZN7rocprim17ROCPRIM_400000_NS6detail17trampoline_kernelINS0_14default_configENS1_36segmented_radix_sort_config_selectorIflEEZNS1_25segmented_radix_sort_implIS3_Lb1EPKfPfPKlPlN2at6native12_GLOBAL__N_18offset_tEEE10hipError_tPvRmT1_PNSt15iterator_traitsISK_E10value_typeET2_T3_PNSL_ISQ_E10value_typeET4_jRbjT5_SW_jjP12ihipStream_tbEUlT_E_NS1_11comp_targetILNS1_3genE4ELNS1_11target_archE910ELNS1_3gpuE8ELNS1_3repE0EEENS1_30default_config_static_selectorELNS0_4arch9wavefront6targetE0EEEvSK_,"axG",@progbits,_ZN7rocprim17ROCPRIM_400000_NS6detail17trampoline_kernelINS0_14default_configENS1_36segmented_radix_sort_config_selectorIflEEZNS1_25segmented_radix_sort_implIS3_Lb1EPKfPfPKlPlN2at6native12_GLOBAL__N_18offset_tEEE10hipError_tPvRmT1_PNSt15iterator_traitsISK_E10value_typeET2_T3_PNSL_ISQ_E10value_typeET4_jRbjT5_SW_jjP12ihipStream_tbEUlT_E_NS1_11comp_targetILNS1_3genE4ELNS1_11target_archE910ELNS1_3gpuE8ELNS1_3repE0EEENS1_30default_config_static_selectorELNS0_4arch9wavefront6targetE0EEEvSK_,comdat
.Lfunc_end1327:
	.size	_ZN7rocprim17ROCPRIM_400000_NS6detail17trampoline_kernelINS0_14default_configENS1_36segmented_radix_sort_config_selectorIflEEZNS1_25segmented_radix_sort_implIS3_Lb1EPKfPfPKlPlN2at6native12_GLOBAL__N_18offset_tEEE10hipError_tPvRmT1_PNSt15iterator_traitsISK_E10value_typeET2_T3_PNSL_ISQ_E10value_typeET4_jRbjT5_SW_jjP12ihipStream_tbEUlT_E_NS1_11comp_targetILNS1_3genE4ELNS1_11target_archE910ELNS1_3gpuE8ELNS1_3repE0EEENS1_30default_config_static_selectorELNS0_4arch9wavefront6targetE0EEEvSK_, .Lfunc_end1327-_ZN7rocprim17ROCPRIM_400000_NS6detail17trampoline_kernelINS0_14default_configENS1_36segmented_radix_sort_config_selectorIflEEZNS1_25segmented_radix_sort_implIS3_Lb1EPKfPfPKlPlN2at6native12_GLOBAL__N_18offset_tEEE10hipError_tPvRmT1_PNSt15iterator_traitsISK_E10value_typeET2_T3_PNSL_ISQ_E10value_typeET4_jRbjT5_SW_jjP12ihipStream_tbEUlT_E_NS1_11comp_targetILNS1_3genE4ELNS1_11target_archE910ELNS1_3gpuE8ELNS1_3repE0EEENS1_30default_config_static_selectorELNS0_4arch9wavefront6targetE0EEEvSK_
                                        ; -- End function
	.set _ZN7rocprim17ROCPRIM_400000_NS6detail17trampoline_kernelINS0_14default_configENS1_36segmented_radix_sort_config_selectorIflEEZNS1_25segmented_radix_sort_implIS3_Lb1EPKfPfPKlPlN2at6native12_GLOBAL__N_18offset_tEEE10hipError_tPvRmT1_PNSt15iterator_traitsISK_E10value_typeET2_T3_PNSL_ISQ_E10value_typeET4_jRbjT5_SW_jjP12ihipStream_tbEUlT_E_NS1_11comp_targetILNS1_3genE4ELNS1_11target_archE910ELNS1_3gpuE8ELNS1_3repE0EEENS1_30default_config_static_selectorELNS0_4arch9wavefront6targetE0EEEvSK_.num_vgpr, 0
	.set _ZN7rocprim17ROCPRIM_400000_NS6detail17trampoline_kernelINS0_14default_configENS1_36segmented_radix_sort_config_selectorIflEEZNS1_25segmented_radix_sort_implIS3_Lb1EPKfPfPKlPlN2at6native12_GLOBAL__N_18offset_tEEE10hipError_tPvRmT1_PNSt15iterator_traitsISK_E10value_typeET2_T3_PNSL_ISQ_E10value_typeET4_jRbjT5_SW_jjP12ihipStream_tbEUlT_E_NS1_11comp_targetILNS1_3genE4ELNS1_11target_archE910ELNS1_3gpuE8ELNS1_3repE0EEENS1_30default_config_static_selectorELNS0_4arch9wavefront6targetE0EEEvSK_.num_agpr, 0
	.set _ZN7rocprim17ROCPRIM_400000_NS6detail17trampoline_kernelINS0_14default_configENS1_36segmented_radix_sort_config_selectorIflEEZNS1_25segmented_radix_sort_implIS3_Lb1EPKfPfPKlPlN2at6native12_GLOBAL__N_18offset_tEEE10hipError_tPvRmT1_PNSt15iterator_traitsISK_E10value_typeET2_T3_PNSL_ISQ_E10value_typeET4_jRbjT5_SW_jjP12ihipStream_tbEUlT_E_NS1_11comp_targetILNS1_3genE4ELNS1_11target_archE910ELNS1_3gpuE8ELNS1_3repE0EEENS1_30default_config_static_selectorELNS0_4arch9wavefront6targetE0EEEvSK_.numbered_sgpr, 0
	.set _ZN7rocprim17ROCPRIM_400000_NS6detail17trampoline_kernelINS0_14default_configENS1_36segmented_radix_sort_config_selectorIflEEZNS1_25segmented_radix_sort_implIS3_Lb1EPKfPfPKlPlN2at6native12_GLOBAL__N_18offset_tEEE10hipError_tPvRmT1_PNSt15iterator_traitsISK_E10value_typeET2_T3_PNSL_ISQ_E10value_typeET4_jRbjT5_SW_jjP12ihipStream_tbEUlT_E_NS1_11comp_targetILNS1_3genE4ELNS1_11target_archE910ELNS1_3gpuE8ELNS1_3repE0EEENS1_30default_config_static_selectorELNS0_4arch9wavefront6targetE0EEEvSK_.num_named_barrier, 0
	.set _ZN7rocprim17ROCPRIM_400000_NS6detail17trampoline_kernelINS0_14default_configENS1_36segmented_radix_sort_config_selectorIflEEZNS1_25segmented_radix_sort_implIS3_Lb1EPKfPfPKlPlN2at6native12_GLOBAL__N_18offset_tEEE10hipError_tPvRmT1_PNSt15iterator_traitsISK_E10value_typeET2_T3_PNSL_ISQ_E10value_typeET4_jRbjT5_SW_jjP12ihipStream_tbEUlT_E_NS1_11comp_targetILNS1_3genE4ELNS1_11target_archE910ELNS1_3gpuE8ELNS1_3repE0EEENS1_30default_config_static_selectorELNS0_4arch9wavefront6targetE0EEEvSK_.private_seg_size, 0
	.set _ZN7rocprim17ROCPRIM_400000_NS6detail17trampoline_kernelINS0_14default_configENS1_36segmented_radix_sort_config_selectorIflEEZNS1_25segmented_radix_sort_implIS3_Lb1EPKfPfPKlPlN2at6native12_GLOBAL__N_18offset_tEEE10hipError_tPvRmT1_PNSt15iterator_traitsISK_E10value_typeET2_T3_PNSL_ISQ_E10value_typeET4_jRbjT5_SW_jjP12ihipStream_tbEUlT_E_NS1_11comp_targetILNS1_3genE4ELNS1_11target_archE910ELNS1_3gpuE8ELNS1_3repE0EEENS1_30default_config_static_selectorELNS0_4arch9wavefront6targetE0EEEvSK_.uses_vcc, 0
	.set _ZN7rocprim17ROCPRIM_400000_NS6detail17trampoline_kernelINS0_14default_configENS1_36segmented_radix_sort_config_selectorIflEEZNS1_25segmented_radix_sort_implIS3_Lb1EPKfPfPKlPlN2at6native12_GLOBAL__N_18offset_tEEE10hipError_tPvRmT1_PNSt15iterator_traitsISK_E10value_typeET2_T3_PNSL_ISQ_E10value_typeET4_jRbjT5_SW_jjP12ihipStream_tbEUlT_E_NS1_11comp_targetILNS1_3genE4ELNS1_11target_archE910ELNS1_3gpuE8ELNS1_3repE0EEENS1_30default_config_static_selectorELNS0_4arch9wavefront6targetE0EEEvSK_.uses_flat_scratch, 0
	.set _ZN7rocprim17ROCPRIM_400000_NS6detail17trampoline_kernelINS0_14default_configENS1_36segmented_radix_sort_config_selectorIflEEZNS1_25segmented_radix_sort_implIS3_Lb1EPKfPfPKlPlN2at6native12_GLOBAL__N_18offset_tEEE10hipError_tPvRmT1_PNSt15iterator_traitsISK_E10value_typeET2_T3_PNSL_ISQ_E10value_typeET4_jRbjT5_SW_jjP12ihipStream_tbEUlT_E_NS1_11comp_targetILNS1_3genE4ELNS1_11target_archE910ELNS1_3gpuE8ELNS1_3repE0EEENS1_30default_config_static_selectorELNS0_4arch9wavefront6targetE0EEEvSK_.has_dyn_sized_stack, 0
	.set _ZN7rocprim17ROCPRIM_400000_NS6detail17trampoline_kernelINS0_14default_configENS1_36segmented_radix_sort_config_selectorIflEEZNS1_25segmented_radix_sort_implIS3_Lb1EPKfPfPKlPlN2at6native12_GLOBAL__N_18offset_tEEE10hipError_tPvRmT1_PNSt15iterator_traitsISK_E10value_typeET2_T3_PNSL_ISQ_E10value_typeET4_jRbjT5_SW_jjP12ihipStream_tbEUlT_E_NS1_11comp_targetILNS1_3genE4ELNS1_11target_archE910ELNS1_3gpuE8ELNS1_3repE0EEENS1_30default_config_static_selectorELNS0_4arch9wavefront6targetE0EEEvSK_.has_recursion, 0
	.set _ZN7rocprim17ROCPRIM_400000_NS6detail17trampoline_kernelINS0_14default_configENS1_36segmented_radix_sort_config_selectorIflEEZNS1_25segmented_radix_sort_implIS3_Lb1EPKfPfPKlPlN2at6native12_GLOBAL__N_18offset_tEEE10hipError_tPvRmT1_PNSt15iterator_traitsISK_E10value_typeET2_T3_PNSL_ISQ_E10value_typeET4_jRbjT5_SW_jjP12ihipStream_tbEUlT_E_NS1_11comp_targetILNS1_3genE4ELNS1_11target_archE910ELNS1_3gpuE8ELNS1_3repE0EEENS1_30default_config_static_selectorELNS0_4arch9wavefront6targetE0EEEvSK_.has_indirect_call, 0
	.section	.AMDGPU.csdata,"",@progbits
; Kernel info:
; codeLenInByte = 0
; TotalNumSgprs: 0
; NumVgprs: 0
; ScratchSize: 0
; MemoryBound: 0
; FloatMode: 240
; IeeeMode: 1
; LDSByteSize: 0 bytes/workgroup (compile time only)
; SGPRBlocks: 0
; VGPRBlocks: 0
; NumSGPRsForWavesPerEU: 1
; NumVGPRsForWavesPerEU: 1
; Occupancy: 16
; WaveLimiterHint : 0
; COMPUTE_PGM_RSRC2:SCRATCH_EN: 0
; COMPUTE_PGM_RSRC2:USER_SGPR: 2
; COMPUTE_PGM_RSRC2:TRAP_HANDLER: 0
; COMPUTE_PGM_RSRC2:TGID_X_EN: 1
; COMPUTE_PGM_RSRC2:TGID_Y_EN: 0
; COMPUTE_PGM_RSRC2:TGID_Z_EN: 0
; COMPUTE_PGM_RSRC2:TIDIG_COMP_CNT: 0
	.section	.text._ZN7rocprim17ROCPRIM_400000_NS6detail17trampoline_kernelINS0_14default_configENS1_36segmented_radix_sort_config_selectorIflEEZNS1_25segmented_radix_sort_implIS3_Lb1EPKfPfPKlPlN2at6native12_GLOBAL__N_18offset_tEEE10hipError_tPvRmT1_PNSt15iterator_traitsISK_E10value_typeET2_T3_PNSL_ISQ_E10value_typeET4_jRbjT5_SW_jjP12ihipStream_tbEUlT_E_NS1_11comp_targetILNS1_3genE3ELNS1_11target_archE908ELNS1_3gpuE7ELNS1_3repE0EEENS1_30default_config_static_selectorELNS0_4arch9wavefront6targetE0EEEvSK_,"axG",@progbits,_ZN7rocprim17ROCPRIM_400000_NS6detail17trampoline_kernelINS0_14default_configENS1_36segmented_radix_sort_config_selectorIflEEZNS1_25segmented_radix_sort_implIS3_Lb1EPKfPfPKlPlN2at6native12_GLOBAL__N_18offset_tEEE10hipError_tPvRmT1_PNSt15iterator_traitsISK_E10value_typeET2_T3_PNSL_ISQ_E10value_typeET4_jRbjT5_SW_jjP12ihipStream_tbEUlT_E_NS1_11comp_targetILNS1_3genE3ELNS1_11target_archE908ELNS1_3gpuE7ELNS1_3repE0EEENS1_30default_config_static_selectorELNS0_4arch9wavefront6targetE0EEEvSK_,comdat
	.globl	_ZN7rocprim17ROCPRIM_400000_NS6detail17trampoline_kernelINS0_14default_configENS1_36segmented_radix_sort_config_selectorIflEEZNS1_25segmented_radix_sort_implIS3_Lb1EPKfPfPKlPlN2at6native12_GLOBAL__N_18offset_tEEE10hipError_tPvRmT1_PNSt15iterator_traitsISK_E10value_typeET2_T3_PNSL_ISQ_E10value_typeET4_jRbjT5_SW_jjP12ihipStream_tbEUlT_E_NS1_11comp_targetILNS1_3genE3ELNS1_11target_archE908ELNS1_3gpuE7ELNS1_3repE0EEENS1_30default_config_static_selectorELNS0_4arch9wavefront6targetE0EEEvSK_ ; -- Begin function _ZN7rocprim17ROCPRIM_400000_NS6detail17trampoline_kernelINS0_14default_configENS1_36segmented_radix_sort_config_selectorIflEEZNS1_25segmented_radix_sort_implIS3_Lb1EPKfPfPKlPlN2at6native12_GLOBAL__N_18offset_tEEE10hipError_tPvRmT1_PNSt15iterator_traitsISK_E10value_typeET2_T3_PNSL_ISQ_E10value_typeET4_jRbjT5_SW_jjP12ihipStream_tbEUlT_E_NS1_11comp_targetILNS1_3genE3ELNS1_11target_archE908ELNS1_3gpuE7ELNS1_3repE0EEENS1_30default_config_static_selectorELNS0_4arch9wavefront6targetE0EEEvSK_
	.p2align	8
	.type	_ZN7rocprim17ROCPRIM_400000_NS6detail17trampoline_kernelINS0_14default_configENS1_36segmented_radix_sort_config_selectorIflEEZNS1_25segmented_radix_sort_implIS3_Lb1EPKfPfPKlPlN2at6native12_GLOBAL__N_18offset_tEEE10hipError_tPvRmT1_PNSt15iterator_traitsISK_E10value_typeET2_T3_PNSL_ISQ_E10value_typeET4_jRbjT5_SW_jjP12ihipStream_tbEUlT_E_NS1_11comp_targetILNS1_3genE3ELNS1_11target_archE908ELNS1_3gpuE7ELNS1_3repE0EEENS1_30default_config_static_selectorELNS0_4arch9wavefront6targetE0EEEvSK_,@function
_ZN7rocprim17ROCPRIM_400000_NS6detail17trampoline_kernelINS0_14default_configENS1_36segmented_radix_sort_config_selectorIflEEZNS1_25segmented_radix_sort_implIS3_Lb1EPKfPfPKlPlN2at6native12_GLOBAL__N_18offset_tEEE10hipError_tPvRmT1_PNSt15iterator_traitsISK_E10value_typeET2_T3_PNSL_ISQ_E10value_typeET4_jRbjT5_SW_jjP12ihipStream_tbEUlT_E_NS1_11comp_targetILNS1_3genE3ELNS1_11target_archE908ELNS1_3gpuE7ELNS1_3repE0EEENS1_30default_config_static_selectorELNS0_4arch9wavefront6targetE0EEEvSK_: ; @_ZN7rocprim17ROCPRIM_400000_NS6detail17trampoline_kernelINS0_14default_configENS1_36segmented_radix_sort_config_selectorIflEEZNS1_25segmented_radix_sort_implIS3_Lb1EPKfPfPKlPlN2at6native12_GLOBAL__N_18offset_tEEE10hipError_tPvRmT1_PNSt15iterator_traitsISK_E10value_typeET2_T3_PNSL_ISQ_E10value_typeET4_jRbjT5_SW_jjP12ihipStream_tbEUlT_E_NS1_11comp_targetILNS1_3genE3ELNS1_11target_archE908ELNS1_3gpuE7ELNS1_3repE0EEENS1_30default_config_static_selectorELNS0_4arch9wavefront6targetE0EEEvSK_
; %bb.0:
	.section	.rodata,"a",@progbits
	.p2align	6, 0x0
	.amdhsa_kernel _ZN7rocprim17ROCPRIM_400000_NS6detail17trampoline_kernelINS0_14default_configENS1_36segmented_radix_sort_config_selectorIflEEZNS1_25segmented_radix_sort_implIS3_Lb1EPKfPfPKlPlN2at6native12_GLOBAL__N_18offset_tEEE10hipError_tPvRmT1_PNSt15iterator_traitsISK_E10value_typeET2_T3_PNSL_ISQ_E10value_typeET4_jRbjT5_SW_jjP12ihipStream_tbEUlT_E_NS1_11comp_targetILNS1_3genE3ELNS1_11target_archE908ELNS1_3gpuE7ELNS1_3repE0EEENS1_30default_config_static_selectorELNS0_4arch9wavefront6targetE0EEEvSK_
		.amdhsa_group_segment_fixed_size 0
		.amdhsa_private_segment_fixed_size 0
		.amdhsa_kernarg_size 96
		.amdhsa_user_sgpr_count 2
		.amdhsa_user_sgpr_dispatch_ptr 0
		.amdhsa_user_sgpr_queue_ptr 0
		.amdhsa_user_sgpr_kernarg_segment_ptr 1
		.amdhsa_user_sgpr_dispatch_id 0
		.amdhsa_user_sgpr_private_segment_size 0
		.amdhsa_wavefront_size32 1
		.amdhsa_uses_dynamic_stack 0
		.amdhsa_enable_private_segment 0
		.amdhsa_system_sgpr_workgroup_id_x 1
		.amdhsa_system_sgpr_workgroup_id_y 0
		.amdhsa_system_sgpr_workgroup_id_z 0
		.amdhsa_system_sgpr_workgroup_info 0
		.amdhsa_system_vgpr_workitem_id 0
		.amdhsa_next_free_vgpr 1
		.amdhsa_next_free_sgpr 1
		.amdhsa_reserve_vcc 0
		.amdhsa_float_round_mode_32 0
		.amdhsa_float_round_mode_16_64 0
		.amdhsa_float_denorm_mode_32 3
		.amdhsa_float_denorm_mode_16_64 3
		.amdhsa_fp16_overflow 0
		.amdhsa_workgroup_processor_mode 1
		.amdhsa_memory_ordered 1
		.amdhsa_forward_progress 1
		.amdhsa_inst_pref_size 0
		.amdhsa_round_robin_scheduling 0
		.amdhsa_exception_fp_ieee_invalid_op 0
		.amdhsa_exception_fp_denorm_src 0
		.amdhsa_exception_fp_ieee_div_zero 0
		.amdhsa_exception_fp_ieee_overflow 0
		.amdhsa_exception_fp_ieee_underflow 0
		.amdhsa_exception_fp_ieee_inexact 0
		.amdhsa_exception_int_div_zero 0
	.end_amdhsa_kernel
	.section	.text._ZN7rocprim17ROCPRIM_400000_NS6detail17trampoline_kernelINS0_14default_configENS1_36segmented_radix_sort_config_selectorIflEEZNS1_25segmented_radix_sort_implIS3_Lb1EPKfPfPKlPlN2at6native12_GLOBAL__N_18offset_tEEE10hipError_tPvRmT1_PNSt15iterator_traitsISK_E10value_typeET2_T3_PNSL_ISQ_E10value_typeET4_jRbjT5_SW_jjP12ihipStream_tbEUlT_E_NS1_11comp_targetILNS1_3genE3ELNS1_11target_archE908ELNS1_3gpuE7ELNS1_3repE0EEENS1_30default_config_static_selectorELNS0_4arch9wavefront6targetE0EEEvSK_,"axG",@progbits,_ZN7rocprim17ROCPRIM_400000_NS6detail17trampoline_kernelINS0_14default_configENS1_36segmented_radix_sort_config_selectorIflEEZNS1_25segmented_radix_sort_implIS3_Lb1EPKfPfPKlPlN2at6native12_GLOBAL__N_18offset_tEEE10hipError_tPvRmT1_PNSt15iterator_traitsISK_E10value_typeET2_T3_PNSL_ISQ_E10value_typeET4_jRbjT5_SW_jjP12ihipStream_tbEUlT_E_NS1_11comp_targetILNS1_3genE3ELNS1_11target_archE908ELNS1_3gpuE7ELNS1_3repE0EEENS1_30default_config_static_selectorELNS0_4arch9wavefront6targetE0EEEvSK_,comdat
.Lfunc_end1328:
	.size	_ZN7rocprim17ROCPRIM_400000_NS6detail17trampoline_kernelINS0_14default_configENS1_36segmented_radix_sort_config_selectorIflEEZNS1_25segmented_radix_sort_implIS3_Lb1EPKfPfPKlPlN2at6native12_GLOBAL__N_18offset_tEEE10hipError_tPvRmT1_PNSt15iterator_traitsISK_E10value_typeET2_T3_PNSL_ISQ_E10value_typeET4_jRbjT5_SW_jjP12ihipStream_tbEUlT_E_NS1_11comp_targetILNS1_3genE3ELNS1_11target_archE908ELNS1_3gpuE7ELNS1_3repE0EEENS1_30default_config_static_selectorELNS0_4arch9wavefront6targetE0EEEvSK_, .Lfunc_end1328-_ZN7rocprim17ROCPRIM_400000_NS6detail17trampoline_kernelINS0_14default_configENS1_36segmented_radix_sort_config_selectorIflEEZNS1_25segmented_radix_sort_implIS3_Lb1EPKfPfPKlPlN2at6native12_GLOBAL__N_18offset_tEEE10hipError_tPvRmT1_PNSt15iterator_traitsISK_E10value_typeET2_T3_PNSL_ISQ_E10value_typeET4_jRbjT5_SW_jjP12ihipStream_tbEUlT_E_NS1_11comp_targetILNS1_3genE3ELNS1_11target_archE908ELNS1_3gpuE7ELNS1_3repE0EEENS1_30default_config_static_selectorELNS0_4arch9wavefront6targetE0EEEvSK_
                                        ; -- End function
	.set _ZN7rocprim17ROCPRIM_400000_NS6detail17trampoline_kernelINS0_14default_configENS1_36segmented_radix_sort_config_selectorIflEEZNS1_25segmented_radix_sort_implIS3_Lb1EPKfPfPKlPlN2at6native12_GLOBAL__N_18offset_tEEE10hipError_tPvRmT1_PNSt15iterator_traitsISK_E10value_typeET2_T3_PNSL_ISQ_E10value_typeET4_jRbjT5_SW_jjP12ihipStream_tbEUlT_E_NS1_11comp_targetILNS1_3genE3ELNS1_11target_archE908ELNS1_3gpuE7ELNS1_3repE0EEENS1_30default_config_static_selectorELNS0_4arch9wavefront6targetE0EEEvSK_.num_vgpr, 0
	.set _ZN7rocprim17ROCPRIM_400000_NS6detail17trampoline_kernelINS0_14default_configENS1_36segmented_radix_sort_config_selectorIflEEZNS1_25segmented_radix_sort_implIS3_Lb1EPKfPfPKlPlN2at6native12_GLOBAL__N_18offset_tEEE10hipError_tPvRmT1_PNSt15iterator_traitsISK_E10value_typeET2_T3_PNSL_ISQ_E10value_typeET4_jRbjT5_SW_jjP12ihipStream_tbEUlT_E_NS1_11comp_targetILNS1_3genE3ELNS1_11target_archE908ELNS1_3gpuE7ELNS1_3repE0EEENS1_30default_config_static_selectorELNS0_4arch9wavefront6targetE0EEEvSK_.num_agpr, 0
	.set _ZN7rocprim17ROCPRIM_400000_NS6detail17trampoline_kernelINS0_14default_configENS1_36segmented_radix_sort_config_selectorIflEEZNS1_25segmented_radix_sort_implIS3_Lb1EPKfPfPKlPlN2at6native12_GLOBAL__N_18offset_tEEE10hipError_tPvRmT1_PNSt15iterator_traitsISK_E10value_typeET2_T3_PNSL_ISQ_E10value_typeET4_jRbjT5_SW_jjP12ihipStream_tbEUlT_E_NS1_11comp_targetILNS1_3genE3ELNS1_11target_archE908ELNS1_3gpuE7ELNS1_3repE0EEENS1_30default_config_static_selectorELNS0_4arch9wavefront6targetE0EEEvSK_.numbered_sgpr, 0
	.set _ZN7rocprim17ROCPRIM_400000_NS6detail17trampoline_kernelINS0_14default_configENS1_36segmented_radix_sort_config_selectorIflEEZNS1_25segmented_radix_sort_implIS3_Lb1EPKfPfPKlPlN2at6native12_GLOBAL__N_18offset_tEEE10hipError_tPvRmT1_PNSt15iterator_traitsISK_E10value_typeET2_T3_PNSL_ISQ_E10value_typeET4_jRbjT5_SW_jjP12ihipStream_tbEUlT_E_NS1_11comp_targetILNS1_3genE3ELNS1_11target_archE908ELNS1_3gpuE7ELNS1_3repE0EEENS1_30default_config_static_selectorELNS0_4arch9wavefront6targetE0EEEvSK_.num_named_barrier, 0
	.set _ZN7rocprim17ROCPRIM_400000_NS6detail17trampoline_kernelINS0_14default_configENS1_36segmented_radix_sort_config_selectorIflEEZNS1_25segmented_radix_sort_implIS3_Lb1EPKfPfPKlPlN2at6native12_GLOBAL__N_18offset_tEEE10hipError_tPvRmT1_PNSt15iterator_traitsISK_E10value_typeET2_T3_PNSL_ISQ_E10value_typeET4_jRbjT5_SW_jjP12ihipStream_tbEUlT_E_NS1_11comp_targetILNS1_3genE3ELNS1_11target_archE908ELNS1_3gpuE7ELNS1_3repE0EEENS1_30default_config_static_selectorELNS0_4arch9wavefront6targetE0EEEvSK_.private_seg_size, 0
	.set _ZN7rocprim17ROCPRIM_400000_NS6detail17trampoline_kernelINS0_14default_configENS1_36segmented_radix_sort_config_selectorIflEEZNS1_25segmented_radix_sort_implIS3_Lb1EPKfPfPKlPlN2at6native12_GLOBAL__N_18offset_tEEE10hipError_tPvRmT1_PNSt15iterator_traitsISK_E10value_typeET2_T3_PNSL_ISQ_E10value_typeET4_jRbjT5_SW_jjP12ihipStream_tbEUlT_E_NS1_11comp_targetILNS1_3genE3ELNS1_11target_archE908ELNS1_3gpuE7ELNS1_3repE0EEENS1_30default_config_static_selectorELNS0_4arch9wavefront6targetE0EEEvSK_.uses_vcc, 0
	.set _ZN7rocprim17ROCPRIM_400000_NS6detail17trampoline_kernelINS0_14default_configENS1_36segmented_radix_sort_config_selectorIflEEZNS1_25segmented_radix_sort_implIS3_Lb1EPKfPfPKlPlN2at6native12_GLOBAL__N_18offset_tEEE10hipError_tPvRmT1_PNSt15iterator_traitsISK_E10value_typeET2_T3_PNSL_ISQ_E10value_typeET4_jRbjT5_SW_jjP12ihipStream_tbEUlT_E_NS1_11comp_targetILNS1_3genE3ELNS1_11target_archE908ELNS1_3gpuE7ELNS1_3repE0EEENS1_30default_config_static_selectorELNS0_4arch9wavefront6targetE0EEEvSK_.uses_flat_scratch, 0
	.set _ZN7rocprim17ROCPRIM_400000_NS6detail17trampoline_kernelINS0_14default_configENS1_36segmented_radix_sort_config_selectorIflEEZNS1_25segmented_radix_sort_implIS3_Lb1EPKfPfPKlPlN2at6native12_GLOBAL__N_18offset_tEEE10hipError_tPvRmT1_PNSt15iterator_traitsISK_E10value_typeET2_T3_PNSL_ISQ_E10value_typeET4_jRbjT5_SW_jjP12ihipStream_tbEUlT_E_NS1_11comp_targetILNS1_3genE3ELNS1_11target_archE908ELNS1_3gpuE7ELNS1_3repE0EEENS1_30default_config_static_selectorELNS0_4arch9wavefront6targetE0EEEvSK_.has_dyn_sized_stack, 0
	.set _ZN7rocprim17ROCPRIM_400000_NS6detail17trampoline_kernelINS0_14default_configENS1_36segmented_radix_sort_config_selectorIflEEZNS1_25segmented_radix_sort_implIS3_Lb1EPKfPfPKlPlN2at6native12_GLOBAL__N_18offset_tEEE10hipError_tPvRmT1_PNSt15iterator_traitsISK_E10value_typeET2_T3_PNSL_ISQ_E10value_typeET4_jRbjT5_SW_jjP12ihipStream_tbEUlT_E_NS1_11comp_targetILNS1_3genE3ELNS1_11target_archE908ELNS1_3gpuE7ELNS1_3repE0EEENS1_30default_config_static_selectorELNS0_4arch9wavefront6targetE0EEEvSK_.has_recursion, 0
	.set _ZN7rocprim17ROCPRIM_400000_NS6detail17trampoline_kernelINS0_14default_configENS1_36segmented_radix_sort_config_selectorIflEEZNS1_25segmented_radix_sort_implIS3_Lb1EPKfPfPKlPlN2at6native12_GLOBAL__N_18offset_tEEE10hipError_tPvRmT1_PNSt15iterator_traitsISK_E10value_typeET2_T3_PNSL_ISQ_E10value_typeET4_jRbjT5_SW_jjP12ihipStream_tbEUlT_E_NS1_11comp_targetILNS1_3genE3ELNS1_11target_archE908ELNS1_3gpuE7ELNS1_3repE0EEENS1_30default_config_static_selectorELNS0_4arch9wavefront6targetE0EEEvSK_.has_indirect_call, 0
	.section	.AMDGPU.csdata,"",@progbits
; Kernel info:
; codeLenInByte = 0
; TotalNumSgprs: 0
; NumVgprs: 0
; ScratchSize: 0
; MemoryBound: 0
; FloatMode: 240
; IeeeMode: 1
; LDSByteSize: 0 bytes/workgroup (compile time only)
; SGPRBlocks: 0
; VGPRBlocks: 0
; NumSGPRsForWavesPerEU: 1
; NumVGPRsForWavesPerEU: 1
; Occupancy: 16
; WaveLimiterHint : 0
; COMPUTE_PGM_RSRC2:SCRATCH_EN: 0
; COMPUTE_PGM_RSRC2:USER_SGPR: 2
; COMPUTE_PGM_RSRC2:TRAP_HANDLER: 0
; COMPUTE_PGM_RSRC2:TGID_X_EN: 1
; COMPUTE_PGM_RSRC2:TGID_Y_EN: 0
; COMPUTE_PGM_RSRC2:TGID_Z_EN: 0
; COMPUTE_PGM_RSRC2:TIDIG_COMP_CNT: 0
	.section	.text._ZN7rocprim17ROCPRIM_400000_NS6detail17trampoline_kernelINS0_14default_configENS1_36segmented_radix_sort_config_selectorIflEEZNS1_25segmented_radix_sort_implIS3_Lb1EPKfPfPKlPlN2at6native12_GLOBAL__N_18offset_tEEE10hipError_tPvRmT1_PNSt15iterator_traitsISK_E10value_typeET2_T3_PNSL_ISQ_E10value_typeET4_jRbjT5_SW_jjP12ihipStream_tbEUlT_E_NS1_11comp_targetILNS1_3genE2ELNS1_11target_archE906ELNS1_3gpuE6ELNS1_3repE0EEENS1_30default_config_static_selectorELNS0_4arch9wavefront6targetE0EEEvSK_,"axG",@progbits,_ZN7rocprim17ROCPRIM_400000_NS6detail17trampoline_kernelINS0_14default_configENS1_36segmented_radix_sort_config_selectorIflEEZNS1_25segmented_radix_sort_implIS3_Lb1EPKfPfPKlPlN2at6native12_GLOBAL__N_18offset_tEEE10hipError_tPvRmT1_PNSt15iterator_traitsISK_E10value_typeET2_T3_PNSL_ISQ_E10value_typeET4_jRbjT5_SW_jjP12ihipStream_tbEUlT_E_NS1_11comp_targetILNS1_3genE2ELNS1_11target_archE906ELNS1_3gpuE6ELNS1_3repE0EEENS1_30default_config_static_selectorELNS0_4arch9wavefront6targetE0EEEvSK_,comdat
	.globl	_ZN7rocprim17ROCPRIM_400000_NS6detail17trampoline_kernelINS0_14default_configENS1_36segmented_radix_sort_config_selectorIflEEZNS1_25segmented_radix_sort_implIS3_Lb1EPKfPfPKlPlN2at6native12_GLOBAL__N_18offset_tEEE10hipError_tPvRmT1_PNSt15iterator_traitsISK_E10value_typeET2_T3_PNSL_ISQ_E10value_typeET4_jRbjT5_SW_jjP12ihipStream_tbEUlT_E_NS1_11comp_targetILNS1_3genE2ELNS1_11target_archE906ELNS1_3gpuE6ELNS1_3repE0EEENS1_30default_config_static_selectorELNS0_4arch9wavefront6targetE0EEEvSK_ ; -- Begin function _ZN7rocprim17ROCPRIM_400000_NS6detail17trampoline_kernelINS0_14default_configENS1_36segmented_radix_sort_config_selectorIflEEZNS1_25segmented_radix_sort_implIS3_Lb1EPKfPfPKlPlN2at6native12_GLOBAL__N_18offset_tEEE10hipError_tPvRmT1_PNSt15iterator_traitsISK_E10value_typeET2_T3_PNSL_ISQ_E10value_typeET4_jRbjT5_SW_jjP12ihipStream_tbEUlT_E_NS1_11comp_targetILNS1_3genE2ELNS1_11target_archE906ELNS1_3gpuE6ELNS1_3repE0EEENS1_30default_config_static_selectorELNS0_4arch9wavefront6targetE0EEEvSK_
	.p2align	8
	.type	_ZN7rocprim17ROCPRIM_400000_NS6detail17trampoline_kernelINS0_14default_configENS1_36segmented_radix_sort_config_selectorIflEEZNS1_25segmented_radix_sort_implIS3_Lb1EPKfPfPKlPlN2at6native12_GLOBAL__N_18offset_tEEE10hipError_tPvRmT1_PNSt15iterator_traitsISK_E10value_typeET2_T3_PNSL_ISQ_E10value_typeET4_jRbjT5_SW_jjP12ihipStream_tbEUlT_E_NS1_11comp_targetILNS1_3genE2ELNS1_11target_archE906ELNS1_3gpuE6ELNS1_3repE0EEENS1_30default_config_static_selectorELNS0_4arch9wavefront6targetE0EEEvSK_,@function
_ZN7rocprim17ROCPRIM_400000_NS6detail17trampoline_kernelINS0_14default_configENS1_36segmented_radix_sort_config_selectorIflEEZNS1_25segmented_radix_sort_implIS3_Lb1EPKfPfPKlPlN2at6native12_GLOBAL__N_18offset_tEEE10hipError_tPvRmT1_PNSt15iterator_traitsISK_E10value_typeET2_T3_PNSL_ISQ_E10value_typeET4_jRbjT5_SW_jjP12ihipStream_tbEUlT_E_NS1_11comp_targetILNS1_3genE2ELNS1_11target_archE906ELNS1_3gpuE6ELNS1_3repE0EEENS1_30default_config_static_selectorELNS0_4arch9wavefront6targetE0EEEvSK_: ; @_ZN7rocprim17ROCPRIM_400000_NS6detail17trampoline_kernelINS0_14default_configENS1_36segmented_radix_sort_config_selectorIflEEZNS1_25segmented_radix_sort_implIS3_Lb1EPKfPfPKlPlN2at6native12_GLOBAL__N_18offset_tEEE10hipError_tPvRmT1_PNSt15iterator_traitsISK_E10value_typeET2_T3_PNSL_ISQ_E10value_typeET4_jRbjT5_SW_jjP12ihipStream_tbEUlT_E_NS1_11comp_targetILNS1_3genE2ELNS1_11target_archE906ELNS1_3gpuE6ELNS1_3repE0EEENS1_30default_config_static_selectorELNS0_4arch9wavefront6targetE0EEEvSK_
; %bb.0:
	.section	.rodata,"a",@progbits
	.p2align	6, 0x0
	.amdhsa_kernel _ZN7rocprim17ROCPRIM_400000_NS6detail17trampoline_kernelINS0_14default_configENS1_36segmented_radix_sort_config_selectorIflEEZNS1_25segmented_radix_sort_implIS3_Lb1EPKfPfPKlPlN2at6native12_GLOBAL__N_18offset_tEEE10hipError_tPvRmT1_PNSt15iterator_traitsISK_E10value_typeET2_T3_PNSL_ISQ_E10value_typeET4_jRbjT5_SW_jjP12ihipStream_tbEUlT_E_NS1_11comp_targetILNS1_3genE2ELNS1_11target_archE906ELNS1_3gpuE6ELNS1_3repE0EEENS1_30default_config_static_selectorELNS0_4arch9wavefront6targetE0EEEvSK_
		.amdhsa_group_segment_fixed_size 0
		.amdhsa_private_segment_fixed_size 0
		.amdhsa_kernarg_size 96
		.amdhsa_user_sgpr_count 2
		.amdhsa_user_sgpr_dispatch_ptr 0
		.amdhsa_user_sgpr_queue_ptr 0
		.amdhsa_user_sgpr_kernarg_segment_ptr 1
		.amdhsa_user_sgpr_dispatch_id 0
		.amdhsa_user_sgpr_private_segment_size 0
		.amdhsa_wavefront_size32 1
		.amdhsa_uses_dynamic_stack 0
		.amdhsa_enable_private_segment 0
		.amdhsa_system_sgpr_workgroup_id_x 1
		.amdhsa_system_sgpr_workgroup_id_y 0
		.amdhsa_system_sgpr_workgroup_id_z 0
		.amdhsa_system_sgpr_workgroup_info 0
		.amdhsa_system_vgpr_workitem_id 0
		.amdhsa_next_free_vgpr 1
		.amdhsa_next_free_sgpr 1
		.amdhsa_reserve_vcc 0
		.amdhsa_float_round_mode_32 0
		.amdhsa_float_round_mode_16_64 0
		.amdhsa_float_denorm_mode_32 3
		.amdhsa_float_denorm_mode_16_64 3
		.amdhsa_fp16_overflow 0
		.amdhsa_workgroup_processor_mode 1
		.amdhsa_memory_ordered 1
		.amdhsa_forward_progress 1
		.amdhsa_inst_pref_size 0
		.amdhsa_round_robin_scheduling 0
		.amdhsa_exception_fp_ieee_invalid_op 0
		.amdhsa_exception_fp_denorm_src 0
		.amdhsa_exception_fp_ieee_div_zero 0
		.amdhsa_exception_fp_ieee_overflow 0
		.amdhsa_exception_fp_ieee_underflow 0
		.amdhsa_exception_fp_ieee_inexact 0
		.amdhsa_exception_int_div_zero 0
	.end_amdhsa_kernel
	.section	.text._ZN7rocprim17ROCPRIM_400000_NS6detail17trampoline_kernelINS0_14default_configENS1_36segmented_radix_sort_config_selectorIflEEZNS1_25segmented_radix_sort_implIS3_Lb1EPKfPfPKlPlN2at6native12_GLOBAL__N_18offset_tEEE10hipError_tPvRmT1_PNSt15iterator_traitsISK_E10value_typeET2_T3_PNSL_ISQ_E10value_typeET4_jRbjT5_SW_jjP12ihipStream_tbEUlT_E_NS1_11comp_targetILNS1_3genE2ELNS1_11target_archE906ELNS1_3gpuE6ELNS1_3repE0EEENS1_30default_config_static_selectorELNS0_4arch9wavefront6targetE0EEEvSK_,"axG",@progbits,_ZN7rocprim17ROCPRIM_400000_NS6detail17trampoline_kernelINS0_14default_configENS1_36segmented_radix_sort_config_selectorIflEEZNS1_25segmented_radix_sort_implIS3_Lb1EPKfPfPKlPlN2at6native12_GLOBAL__N_18offset_tEEE10hipError_tPvRmT1_PNSt15iterator_traitsISK_E10value_typeET2_T3_PNSL_ISQ_E10value_typeET4_jRbjT5_SW_jjP12ihipStream_tbEUlT_E_NS1_11comp_targetILNS1_3genE2ELNS1_11target_archE906ELNS1_3gpuE6ELNS1_3repE0EEENS1_30default_config_static_selectorELNS0_4arch9wavefront6targetE0EEEvSK_,comdat
.Lfunc_end1329:
	.size	_ZN7rocprim17ROCPRIM_400000_NS6detail17trampoline_kernelINS0_14default_configENS1_36segmented_radix_sort_config_selectorIflEEZNS1_25segmented_radix_sort_implIS3_Lb1EPKfPfPKlPlN2at6native12_GLOBAL__N_18offset_tEEE10hipError_tPvRmT1_PNSt15iterator_traitsISK_E10value_typeET2_T3_PNSL_ISQ_E10value_typeET4_jRbjT5_SW_jjP12ihipStream_tbEUlT_E_NS1_11comp_targetILNS1_3genE2ELNS1_11target_archE906ELNS1_3gpuE6ELNS1_3repE0EEENS1_30default_config_static_selectorELNS0_4arch9wavefront6targetE0EEEvSK_, .Lfunc_end1329-_ZN7rocprim17ROCPRIM_400000_NS6detail17trampoline_kernelINS0_14default_configENS1_36segmented_radix_sort_config_selectorIflEEZNS1_25segmented_radix_sort_implIS3_Lb1EPKfPfPKlPlN2at6native12_GLOBAL__N_18offset_tEEE10hipError_tPvRmT1_PNSt15iterator_traitsISK_E10value_typeET2_T3_PNSL_ISQ_E10value_typeET4_jRbjT5_SW_jjP12ihipStream_tbEUlT_E_NS1_11comp_targetILNS1_3genE2ELNS1_11target_archE906ELNS1_3gpuE6ELNS1_3repE0EEENS1_30default_config_static_selectorELNS0_4arch9wavefront6targetE0EEEvSK_
                                        ; -- End function
	.set _ZN7rocprim17ROCPRIM_400000_NS6detail17trampoline_kernelINS0_14default_configENS1_36segmented_radix_sort_config_selectorIflEEZNS1_25segmented_radix_sort_implIS3_Lb1EPKfPfPKlPlN2at6native12_GLOBAL__N_18offset_tEEE10hipError_tPvRmT1_PNSt15iterator_traitsISK_E10value_typeET2_T3_PNSL_ISQ_E10value_typeET4_jRbjT5_SW_jjP12ihipStream_tbEUlT_E_NS1_11comp_targetILNS1_3genE2ELNS1_11target_archE906ELNS1_3gpuE6ELNS1_3repE0EEENS1_30default_config_static_selectorELNS0_4arch9wavefront6targetE0EEEvSK_.num_vgpr, 0
	.set _ZN7rocprim17ROCPRIM_400000_NS6detail17trampoline_kernelINS0_14default_configENS1_36segmented_radix_sort_config_selectorIflEEZNS1_25segmented_radix_sort_implIS3_Lb1EPKfPfPKlPlN2at6native12_GLOBAL__N_18offset_tEEE10hipError_tPvRmT1_PNSt15iterator_traitsISK_E10value_typeET2_T3_PNSL_ISQ_E10value_typeET4_jRbjT5_SW_jjP12ihipStream_tbEUlT_E_NS1_11comp_targetILNS1_3genE2ELNS1_11target_archE906ELNS1_3gpuE6ELNS1_3repE0EEENS1_30default_config_static_selectorELNS0_4arch9wavefront6targetE0EEEvSK_.num_agpr, 0
	.set _ZN7rocprim17ROCPRIM_400000_NS6detail17trampoline_kernelINS0_14default_configENS1_36segmented_radix_sort_config_selectorIflEEZNS1_25segmented_radix_sort_implIS3_Lb1EPKfPfPKlPlN2at6native12_GLOBAL__N_18offset_tEEE10hipError_tPvRmT1_PNSt15iterator_traitsISK_E10value_typeET2_T3_PNSL_ISQ_E10value_typeET4_jRbjT5_SW_jjP12ihipStream_tbEUlT_E_NS1_11comp_targetILNS1_3genE2ELNS1_11target_archE906ELNS1_3gpuE6ELNS1_3repE0EEENS1_30default_config_static_selectorELNS0_4arch9wavefront6targetE0EEEvSK_.numbered_sgpr, 0
	.set _ZN7rocprim17ROCPRIM_400000_NS6detail17trampoline_kernelINS0_14default_configENS1_36segmented_radix_sort_config_selectorIflEEZNS1_25segmented_radix_sort_implIS3_Lb1EPKfPfPKlPlN2at6native12_GLOBAL__N_18offset_tEEE10hipError_tPvRmT1_PNSt15iterator_traitsISK_E10value_typeET2_T3_PNSL_ISQ_E10value_typeET4_jRbjT5_SW_jjP12ihipStream_tbEUlT_E_NS1_11comp_targetILNS1_3genE2ELNS1_11target_archE906ELNS1_3gpuE6ELNS1_3repE0EEENS1_30default_config_static_selectorELNS0_4arch9wavefront6targetE0EEEvSK_.num_named_barrier, 0
	.set _ZN7rocprim17ROCPRIM_400000_NS6detail17trampoline_kernelINS0_14default_configENS1_36segmented_radix_sort_config_selectorIflEEZNS1_25segmented_radix_sort_implIS3_Lb1EPKfPfPKlPlN2at6native12_GLOBAL__N_18offset_tEEE10hipError_tPvRmT1_PNSt15iterator_traitsISK_E10value_typeET2_T3_PNSL_ISQ_E10value_typeET4_jRbjT5_SW_jjP12ihipStream_tbEUlT_E_NS1_11comp_targetILNS1_3genE2ELNS1_11target_archE906ELNS1_3gpuE6ELNS1_3repE0EEENS1_30default_config_static_selectorELNS0_4arch9wavefront6targetE0EEEvSK_.private_seg_size, 0
	.set _ZN7rocprim17ROCPRIM_400000_NS6detail17trampoline_kernelINS0_14default_configENS1_36segmented_radix_sort_config_selectorIflEEZNS1_25segmented_radix_sort_implIS3_Lb1EPKfPfPKlPlN2at6native12_GLOBAL__N_18offset_tEEE10hipError_tPvRmT1_PNSt15iterator_traitsISK_E10value_typeET2_T3_PNSL_ISQ_E10value_typeET4_jRbjT5_SW_jjP12ihipStream_tbEUlT_E_NS1_11comp_targetILNS1_3genE2ELNS1_11target_archE906ELNS1_3gpuE6ELNS1_3repE0EEENS1_30default_config_static_selectorELNS0_4arch9wavefront6targetE0EEEvSK_.uses_vcc, 0
	.set _ZN7rocprim17ROCPRIM_400000_NS6detail17trampoline_kernelINS0_14default_configENS1_36segmented_radix_sort_config_selectorIflEEZNS1_25segmented_radix_sort_implIS3_Lb1EPKfPfPKlPlN2at6native12_GLOBAL__N_18offset_tEEE10hipError_tPvRmT1_PNSt15iterator_traitsISK_E10value_typeET2_T3_PNSL_ISQ_E10value_typeET4_jRbjT5_SW_jjP12ihipStream_tbEUlT_E_NS1_11comp_targetILNS1_3genE2ELNS1_11target_archE906ELNS1_3gpuE6ELNS1_3repE0EEENS1_30default_config_static_selectorELNS0_4arch9wavefront6targetE0EEEvSK_.uses_flat_scratch, 0
	.set _ZN7rocprim17ROCPRIM_400000_NS6detail17trampoline_kernelINS0_14default_configENS1_36segmented_radix_sort_config_selectorIflEEZNS1_25segmented_radix_sort_implIS3_Lb1EPKfPfPKlPlN2at6native12_GLOBAL__N_18offset_tEEE10hipError_tPvRmT1_PNSt15iterator_traitsISK_E10value_typeET2_T3_PNSL_ISQ_E10value_typeET4_jRbjT5_SW_jjP12ihipStream_tbEUlT_E_NS1_11comp_targetILNS1_3genE2ELNS1_11target_archE906ELNS1_3gpuE6ELNS1_3repE0EEENS1_30default_config_static_selectorELNS0_4arch9wavefront6targetE0EEEvSK_.has_dyn_sized_stack, 0
	.set _ZN7rocprim17ROCPRIM_400000_NS6detail17trampoline_kernelINS0_14default_configENS1_36segmented_radix_sort_config_selectorIflEEZNS1_25segmented_radix_sort_implIS3_Lb1EPKfPfPKlPlN2at6native12_GLOBAL__N_18offset_tEEE10hipError_tPvRmT1_PNSt15iterator_traitsISK_E10value_typeET2_T3_PNSL_ISQ_E10value_typeET4_jRbjT5_SW_jjP12ihipStream_tbEUlT_E_NS1_11comp_targetILNS1_3genE2ELNS1_11target_archE906ELNS1_3gpuE6ELNS1_3repE0EEENS1_30default_config_static_selectorELNS0_4arch9wavefront6targetE0EEEvSK_.has_recursion, 0
	.set _ZN7rocprim17ROCPRIM_400000_NS6detail17trampoline_kernelINS0_14default_configENS1_36segmented_radix_sort_config_selectorIflEEZNS1_25segmented_radix_sort_implIS3_Lb1EPKfPfPKlPlN2at6native12_GLOBAL__N_18offset_tEEE10hipError_tPvRmT1_PNSt15iterator_traitsISK_E10value_typeET2_T3_PNSL_ISQ_E10value_typeET4_jRbjT5_SW_jjP12ihipStream_tbEUlT_E_NS1_11comp_targetILNS1_3genE2ELNS1_11target_archE906ELNS1_3gpuE6ELNS1_3repE0EEENS1_30default_config_static_selectorELNS0_4arch9wavefront6targetE0EEEvSK_.has_indirect_call, 0
	.section	.AMDGPU.csdata,"",@progbits
; Kernel info:
; codeLenInByte = 0
; TotalNumSgprs: 0
; NumVgprs: 0
; ScratchSize: 0
; MemoryBound: 0
; FloatMode: 240
; IeeeMode: 1
; LDSByteSize: 0 bytes/workgroup (compile time only)
; SGPRBlocks: 0
; VGPRBlocks: 0
; NumSGPRsForWavesPerEU: 1
; NumVGPRsForWavesPerEU: 1
; Occupancy: 16
; WaveLimiterHint : 0
; COMPUTE_PGM_RSRC2:SCRATCH_EN: 0
; COMPUTE_PGM_RSRC2:USER_SGPR: 2
; COMPUTE_PGM_RSRC2:TRAP_HANDLER: 0
; COMPUTE_PGM_RSRC2:TGID_X_EN: 1
; COMPUTE_PGM_RSRC2:TGID_Y_EN: 0
; COMPUTE_PGM_RSRC2:TGID_Z_EN: 0
; COMPUTE_PGM_RSRC2:TIDIG_COMP_CNT: 0
	.text
	.p2align	2                               ; -- Begin function _ZN7rocprim17ROCPRIM_400000_NS6detail40segmented_radix_sort_single_block_helperIflLj256ELj16ELb1EE4sortIPKfPfPKlPlEEbT_T0_T1_T2_jjjjRNS3_12storage_typeE
	.type	_ZN7rocprim17ROCPRIM_400000_NS6detail40segmented_radix_sort_single_block_helperIflLj256ELj16ELb1EE4sortIPKfPfPKlPlEEbT_T0_T1_T2_jjjjRNS3_12storage_typeE,@function
_ZN7rocprim17ROCPRIM_400000_NS6detail40segmented_radix_sort_single_block_helperIflLj256ELj16ELb1EE4sortIPKfPfPKlPlEEbT_T0_T1_T2_jjjjRNS3_12storage_typeE: ; @_ZN7rocprim17ROCPRIM_400000_NS6detail40segmented_radix_sort_single_block_helperIflLj256ELj16ELb1EE4sortIPKfPfPKlPlEEbT_T0_T1_T2_jjjjRNS3_12storage_typeE
; %bb.0:
	s_wait_loadcnt_dscnt 0x0
	s_wait_expcnt 0x0
	s_wait_samplecnt 0x0
	s_wait_bvhcnt 0x0
	s_wait_kmcnt 0x0
	s_clause 0x17
	scratch_store_b32 off, v40, s32 offset:92
	; meta instruction
	scratch_store_b32 off, v41, s32 offset:88
	; meta instruction
	;; [unrolled: 2-line block ×23, first 2 shown]
	scratch_store_b32 off, v79, s32
	v_sub_nc_u32_e32 v119, v9, v8
	s_mov_b32 s18, exec_lo
	s_delay_alu instid0(VALU_DEP_1)
	v_cmpx_gt_u32_e32 0x1001, v119
	s_cbranch_execz .LBB1330_372
; %bb.1:
	v_bfe_u32 v9, v31, 10, 10
	v_bfe_u32 v13, v31, 20, 10
	v_and_b32_e32 v21, 0x3ff, v31
	v_mbcnt_lo_u32_b32 v114, -1, 0
	s_mov_b32 s0, exec_lo
	v_cmpx_lt_u32_e32 0x800, v119
	s_wait_alu 0xfffe
	s_xor_b32 s19, exec_lo, s0
	s_cbranch_execz .LBB1330_143
; %bb.2:
	s_load_b64 s[0:1], s[8:9], 0x0
	s_and_b32 s2, ttmp7, 0xffff
	s_mov_b32 s3, 0
	v_dual_mov_b32 v15, -1 :: v_dual_lshlrev_b32 v16, 2, v114
	s_wait_kmcnt 0x0
	s_wait_alu 0xfffe
	s_cmp_lt_u32 s2, s1
	s_cselect_b32 s2, 14, 20
	s_cmp_lt_u32 ttmp9, s0
	s_wait_alu 0xfffe
	s_add_nc_u64 s[4:5], s[8:9], s[2:3]
	s_cselect_b32 s2, 12, 18
	s_load_u16 s4, s[4:5], 0x0
	s_add_nc_u64 s[0:1], s[8:9], s[2:3]
	s_load_u16 s0, s[0:1], 0x0
	s_wait_kmcnt 0x0
	v_mad_u32_u24 v9, v13, s4, v9
	s_delay_alu instid0(VALU_DEP_1) | instskip(SKIP_1) | instid1(VALU_DEP_1)
	v_mad_co_u64_u32 v[48:49], null, v9, s0, v[21:22]
	v_mov_b32_e32 v9, 0
	v_lshlrev_b64_e32 v[50:51], 2, v[8:9]
	s_delay_alu instid0(VALU_DEP_3) | instskip(NEXT) | instid1(VALU_DEP_2)
	v_dual_mov_b32 v14, v9 :: v_dual_lshlrev_b32 v13, 4, v48
	v_add_co_u32 v17, vcc_lo, v0, v50
	s_delay_alu instid0(VALU_DEP_2) | instskip(SKIP_1) | instid1(VALU_DEP_4)
	v_and_b32_e32 v13, 0xfffffe00, v13
	s_wait_alu 0xfffd
	v_add_co_ci_u32_e64 v18, null, v1, v51, vcc_lo
	s_delay_alu instid0(VALU_DEP_3) | instskip(NEXT) | instid1(VALU_DEP_3)
	v_add_co_u32 v16, vcc_lo, v17, v16
	v_lshlrev_b64_e32 v[0:1], 2, v[13:14]
	v_or_b32_e32 v32, v13, v114
	s_wait_alu 0xfffd
	v_add_co_ci_u32_e64 v17, null, 0, v18, vcc_lo
	s_delay_alu instid0(VALU_DEP_3) | instskip(NEXT) | instid1(VALU_DEP_3)
	v_add_co_u32 v0, s0, v16, v0
	v_cmp_lt_u32_e32 vcc_lo, v32, v119
	s_wait_alu 0xf1ff
	s_delay_alu instid0(VALU_DEP_3)
	v_add_co_ci_u32_e64 v1, null, v17, v1, s0
	v_mov_b32_e32 v16, -1
	s_and_saveexec_b32 s0, vcc_lo
	s_cbranch_execz .LBB1330_4
; %bb.3:
	flat_load_b32 v16, v[0:1]
.LBB1330_4:
	s_wait_alu 0xfffe
	s_or_b32 exec_lo, exec_lo, s0
	v_or_b32_e32 v17, 32, v32
	s_delay_alu instid0(VALU_DEP_1)
	v_cmp_lt_u32_e64 s0, v17, v119
	s_and_saveexec_b32 s1, s0
	s_cbranch_execz .LBB1330_6
; %bb.5:
	flat_load_b32 v15, v[0:1] offset:128
.LBB1330_6:
	s_wait_alu 0xfffe
	s_or_b32 exec_lo, exec_lo, s1
	v_or_b32_e32 v18, 64, v32
	v_mov_b32_e32 v17, -1
	s_delay_alu instid0(VALU_DEP_2)
	v_cmp_lt_u32_e64 s1, v18, v119
	v_mov_b32_e32 v18, -1
	s_and_saveexec_b32 s2, s1
	s_cbranch_execz .LBB1330_8
; %bb.7:
	flat_load_b32 v18, v[0:1] offset:256
.LBB1330_8:
	s_wait_alu 0xfffe
	s_or_b32 exec_lo, exec_lo, s2
	v_or_b32_e32 v19, 0x60, v32
	s_delay_alu instid0(VALU_DEP_1)
	v_cmp_lt_u32_e64 s2, v19, v119
	s_and_saveexec_b32 s3, s2
	s_cbranch_execz .LBB1330_10
; %bb.9:
	flat_load_b32 v17, v[0:1] offset:384
.LBB1330_10:
	s_wait_alu 0xfffe
	s_or_b32 exec_lo, exec_lo, s3
	v_or_b32_e32 v20, 0x80, v32
	v_mov_b32_e32 v19, -1
	s_delay_alu instid0(VALU_DEP_2)
	v_cmp_lt_u32_e64 s3, v20, v119
	v_mov_b32_e32 v20, -1
	s_and_saveexec_b32 s4, s3
	s_cbranch_execz .LBB1330_12
; %bb.11:
	flat_load_b32 v20, v[0:1] offset:512
.LBB1330_12:
	;; [unrolled: 22-line block ×7, first 2 shown]
	s_wait_alu 0xfffe
	s_or_b32 exec_lo, exec_lo, s16
	v_or_b32_e32 v32, 0x1e0, v32
	s_delay_alu instid0(VALU_DEP_1)
	v_cmp_lt_u32_e64 s16, v32, v119
	s_and_saveexec_b32 s17, s16
	s_cbranch_execz .LBB1330_34
; %bb.33:
	flat_load_b32 v30, v[0:1] offset:1920
.LBB1330_34:
	s_wait_alu 0xfffe
	s_or_b32 exec_lo, exec_lo, s17
	v_lshlrev_b64_e32 v[0:1], 3, v[8:9]
	v_lshlrev_b32_e32 v8, 3, v114
                                        ; implicit-def: $vgpr64_vgpr65
	s_delay_alu instid0(VALU_DEP_2) | instskip(SKIP_1) | instid1(VALU_DEP_3)
	v_add_co_u32 v9, s17, v4, v0
	s_wait_alu 0xf1ff
	v_add_co_ci_u32_e64 v32, null, v5, v1, s17
	v_lshlrev_b64_e32 v[4:5], 3, v[13:14]
	s_delay_alu instid0(VALU_DEP_3) | instskip(SKIP_1) | instid1(VALU_DEP_3)
	v_add_co_u32 v8, s17, v9, v8
	s_wait_alu 0xf1ff
	v_add_co_ci_u32_e64 v9, null, 0, v32, s17
	s_delay_alu instid0(VALU_DEP_2) | instskip(SKIP_1) | instid1(VALU_DEP_2)
	v_add_co_u32 v4, s17, v8, v4
	s_wait_alu 0xf1ff
	v_add_co_ci_u32_e64 v5, null, v9, v5, s17
	s_and_saveexec_b32 s17, vcc_lo
	s_cbranch_execnz .LBB1330_196
; %bb.35:
	s_wait_alu 0xfffe
	s_or_b32 exec_lo, exec_lo, s17
                                        ; implicit-def: $vgpr70_vgpr71
	s_and_saveexec_b32 s17, s0
	s_cbranch_execnz .LBB1330_197
.LBB1330_36:
	s_wait_alu 0xfffe
	s_or_b32 exec_lo, exec_lo, s17
                                        ; implicit-def: $vgpr66_vgpr67
	s_and_saveexec_b32 s0, s1
	s_cbranch_execnz .LBB1330_198
.LBB1330_37:
	s_wait_alu 0xfffe
	s_or_b32 exec_lo, exec_lo, s0
                                        ; implicit-def: $vgpr68_vgpr69
	s_and_saveexec_b32 s0, s2
	s_cbranch_execnz .LBB1330_199
.LBB1330_38:
	s_wait_alu 0xfffe
	s_or_b32 exec_lo, exec_lo, s0
                                        ; implicit-def: $vgpr82_vgpr83
	s_and_saveexec_b32 s0, s3
	s_cbranch_execnz .LBB1330_200
.LBB1330_39:
	s_wait_alu 0xfffe
	s_or_b32 exec_lo, exec_lo, s0
                                        ; implicit-def: $vgpr80_vgpr81
	s_and_saveexec_b32 s0, s4
	s_cbranch_execnz .LBB1330_201
.LBB1330_40:
	s_wait_alu 0xfffe
	s_or_b32 exec_lo, exec_lo, s0
                                        ; implicit-def: $vgpr84_vgpr85
	s_and_saveexec_b32 s0, s5
	s_cbranch_execnz .LBB1330_202
.LBB1330_41:
	s_wait_alu 0xfffe
	s_or_b32 exec_lo, exec_lo, s0
                                        ; implicit-def: $vgpr86_vgpr87
	s_and_saveexec_b32 s0, s6
	s_cbranch_execnz .LBB1330_203
.LBB1330_42:
	s_wait_alu 0xfffe
	s_or_b32 exec_lo, exec_lo, s0
                                        ; implicit-def: $vgpr96_vgpr97
	s_and_saveexec_b32 s0, s7
	s_cbranch_execnz .LBB1330_204
.LBB1330_43:
	s_wait_alu 0xfffe
	s_or_b32 exec_lo, exec_lo, s0
                                        ; implicit-def: $vgpr98_vgpr99
	s_and_saveexec_b32 s0, s10
	s_cbranch_execnz .LBB1330_205
.LBB1330_44:
	s_wait_alu 0xfffe
	s_or_b32 exec_lo, exec_lo, s0
                                        ; implicit-def: $vgpr100_vgpr101
	s_and_saveexec_b32 s0, s11
	s_cbranch_execnz .LBB1330_206
.LBB1330_45:
	s_wait_alu 0xfffe
	s_or_b32 exec_lo, exec_lo, s0
                                        ; implicit-def: $vgpr102_vgpr103
	s_and_saveexec_b32 s0, s12
	s_cbranch_execnz .LBB1330_207
.LBB1330_46:
	s_wait_alu 0xfffe
	s_or_b32 exec_lo, exec_lo, s0
                                        ; implicit-def: $vgpr112_vgpr113
	s_and_saveexec_b32 s0, s13
	s_cbranch_execnz .LBB1330_208
.LBB1330_47:
	s_wait_alu 0xfffe
	s_or_b32 exec_lo, exec_lo, s0
                                        ; implicit-def: $vgpr117_vgpr118
	s_and_saveexec_b32 s0, s14
	s_cbranch_execnz .LBB1330_209
.LBB1330_48:
	s_wait_alu 0xfffe
	s_or_b32 exec_lo, exec_lo, s0
                                        ; implicit-def: $vgpr149_vgpr150
	s_and_saveexec_b32 s0, s15
	s_cbranch_execnz .LBB1330_210
.LBB1330_49:
	s_wait_alu 0xfffe
	s_or_b32 exec_lo, exec_lo, s0
                                        ; implicit-def: $vgpr160_vgpr161
	s_and_saveexec_b32 s0, s16
	s_cbranch_execz .LBB1330_51
.LBB1330_50:
	flat_load_b64 v[160:161], v[4:5] offset:3840
.LBB1330_51:
	s_wait_alu 0xfffe
	s_or_b32 exec_lo, exec_lo, s0
	s_wait_loadcnt_dscnt 0x0
	v_cmp_gt_i32_e32 vcc_lo, 0, v16
	s_getpc_b64 s[0:1]
	s_wait_alu 0xfffe
	s_sext_i32_i16 s1, s1
	s_add_co_u32 s0, s0, _ZN7rocprim17ROCPRIM_400000_NS16block_radix_sortIfLj256ELj16ElLj1ELj1ELj8ELNS0_26block_radix_rank_algorithmE2ELNS0_18block_padding_hintE2ELNS0_4arch9wavefront6targetE0EE19radix_bits_per_passE@rel32@lo+12
	s_wait_alu 0xfffe
	s_add_co_ci_u32 s1, s1, _ZN7rocprim17ROCPRIM_400000_NS16block_radix_sortIfLj256ELj16ElLj1ELj1ELj8ELNS0_26block_radix_rank_algorithmE2ELNS0_18block_padding_hintE2ELNS0_4arch9wavefront6targetE0EE19radix_bits_per_passE@rel32@hi+24
	v_lshrrev_b32_e32 v196, 5, v48
	s_load_b32 s16, s[0:1], 0x0
	v_cmp_lt_u32_e64 s7, 31, v21
	v_cndmask_b32_e64 v4, 0x7fffffff, 0, vcc_lo
	v_cmp_gt_i32_e32 vcc_lo, 0, v15
	v_cmp_eq_u32_e64 s10, 0, v21
	v_sub_nc_u32_e32 v228, v11, v10
	s_mov_b32 s17, 0
	v_xor_b32_e32 v45, v4, v16
	s_wait_alu 0xfffd
	v_cndmask_b32_e64 v5, 0x7fffffff, 0, vcc_lo
	v_cmp_gt_i32_e32 vcc_lo, 0, v18
	s_wait_storecnt 0x0
	s_barrier_signal -1
	s_barrier_wait -1
	v_xor_b32_e32 v115, v5, v15
	s_wait_alu 0xfffd
	v_cndmask_b32_e64 v8, 0x7fffffff, 0, vcc_lo
	v_cmp_gt_i32_e32 vcc_lo, 0, v17
	global_inv scope:SCOPE_SE
	v_xor_b32_e32 v129, v8, v18
	s_wait_alu 0xfffd
	v_cndmask_b32_e64 v4, 0x7fffffff, 0, vcc_lo
	v_cmp_gt_i32_e32 vcc_lo, 0, v20
	s_delay_alu instid0(VALU_DEP_2) | instskip(SKIP_3) | instid1(VALU_DEP_2)
	v_xor_b32_e32 v147, v4, v17
	s_wait_alu 0xfffd
	v_cndmask_b32_e64 v5, 0x7fffffff, 0, vcc_lo
	v_cmp_gt_i32_e32 vcc_lo, 0, v19
	v_xor_b32_e32 v145, v5, v20
	s_wait_alu 0xfffd
	v_cndmask_b32_e64 v8, 0x7fffffff, 0, vcc_lo
	v_cmp_gt_i32_e32 vcc_lo, 0, v23
	s_delay_alu instid0(VALU_DEP_2) | instskip(SKIP_3) | instid1(VALU_DEP_2)
	v_xor_b32_e32 v131, v8, v19
	s_wait_alu 0xfffd
	v_cndmask_b32_e64 v9, 0x7fffffff, 0, vcc_lo
	v_cmp_gt_i32_e32 vcc_lo, 0, v22
	;; [unrolled: 9-line block ×4, first 2 shown]
	v_xor_b32_e32 v179, v8, v27
	s_wait_alu 0xfffd
	v_cndmask_b32_e64 v9, 0x7fffffff, 0, vcc_lo
	v_cmp_gt_i32_e32 vcc_lo, 0, v29
	s_delay_alu instid0(VALU_DEP_2) | instskip(SKIP_4) | instid1(VALU_DEP_3)
	v_xor_b32_e32 v181, v9, v26
	s_wait_alu 0xfffd
	v_cndmask_b32_e64 v13, 0x7fffffff, 0, vcc_lo
	v_cmp_gt_i32_e32 vcc_lo, 0, v28
	v_lshl_add_u32 v9, v21, 5, v12
	v_xor_b32_e32 v163, v13, v29
	s_wait_alu 0xfffd
	v_cndmask_b32_e64 v4, 0x7fffffff, 0, vcc_lo
	v_cmp_gt_i32_e32 vcc_lo, 0, v31
	v_add_nc_u32_e32 v49, 32, v9
	v_add_nc_u32_e32 v151, 36, v9
	;; [unrolled: 1-line block ×3, first 2 shown]
	v_xor_b32_e32 v165, v4, v28
	s_wait_alu 0xfffd
	v_cndmask_b32_e64 v5, 0x7fffffff, 0, vcc_lo
	v_and_b32_e32 v4, 0x3e0, v21
	v_cmp_gt_i32_e32 vcc_lo, 0, v30
	v_add_nc_u32_e32 v183, 44, v9
	v_add_nc_u32_e32 v192, 48, v9
	v_xor_b32_e32 v135, v5, v31
	v_and_b32_e32 v5, 15, v114
	v_min_u32_e32 v4, 0xe0, v4
	s_wait_alu 0xfffd
	v_cndmask_b32_e64 v8, 0x7fffffff, 0, vcc_lo
	v_add_nc_u32_e32 v193, 52, v9
	v_add_nc_u32_e32 v194, 56, v9
	v_cmp_eq_u32_e32 vcc_lo, 0, v5
	v_cmp_lt_u32_e64 s0, 1, v5
	v_cmp_lt_u32_e64 s1, 3, v5
	v_or_b32_e32 v4, 31, v4
	v_cmp_lt_u32_e64 s2, 7, v5
	v_lshlrev_b32_e32 v5, 4, v21
	v_add_nc_u32_e32 v195, 60, v9
	v_sub_co_u32 v9, s3, v114, 1
	v_cmp_eq_u32_e64 s5, v21, v4
	s_delay_alu instid0(VALU_DEP_4)
	v_and_or_b32 v4, 0x3e00, v5, v114
	v_xor_b32_e32 v133, v8, v30
	v_and_b32_e32 v8, 16, v114
	v_cmp_gt_i32_e64 s6, 0, v9
	v_lshrrev_b32_e32 v5, 3, v21
	v_lshlrev_b32_e32 v4, 2, v4
	s_delay_alu instid0(VALU_DEP_4)
	v_cmp_eq_u32_e64 s4, 0, v8
	s_wait_alu 0xf1ff
	v_cndmask_b32_e64 v8, v9, v114, s6
	v_and_b32_e32 v5, 0x7c, v5
	v_add_nc_u32_e32 v199, v12, v4
	v_and_b32_e32 v9, 7, v114
	v_cmp_gt_u32_e64 s6, 8, v21
	v_lshlrev_b32_e32 v198, 2, v8
	v_lshlrev_b32_e32 v8, 2, v21
	v_add_nc_u32_e32 v209, v199, v4
	v_dual_mov_b32 v5, 0 :: v_dual_add_nc_u32 v208, v12, v5
	v_cmp_eq_u32_e64 s11, 0, v9
	s_delay_alu instid0(VALU_DEP_4)
	v_add_co_u32 v197, null, v12, v8
	v_cmp_lt_u32_e64 s12, 1, v9
	v_cmp_lt_u32_e64 s13, 3, v9
	v_add_nc_u32_e32 v210, 0x600, v209
	v_add_nc_u32_e32 v211, 0x700, v209
	;; [unrolled: 1-line block ×10, first 2 shown]
	s_branch .LBB1330_53
.LBB1330_52:                            ;   in Loop: Header=BB1330_53 Depth=1
	s_wait_alu 0xfffe
	s_or_b32 exec_lo, exec_lo, s15
	s_delay_alu instid0(SALU_CYCLE_1)
	s_and_b32 s14, exec_lo, s20
	s_wait_alu 0xfffe
	s_or_b32 s17, s14, s17
	s_wait_alu 0xfffe
	s_and_not1_b32 exec_lo, exec_lo, s17
	s_cbranch_execz .LBB1330_93
.LBB1330_53:                            ; =>This Inner Loop Header: Depth=1
	v_mov_b32_e32 v229, v45
	v_mov_b32_e32 v19, v66
	s_wait_kmcnt 0x0
	v_min_u32_e32 v4, s16, v228
	v_dual_mov_b32 v20, v67 :: v_dual_mov_b32 v15, v82
	v_mov_b32_e32 v54, v80
	v_cmp_ne_u32_e64 s14, 0x80000000, v229
	s_delay_alu instid0(VALU_DEP_4)
	v_lshlrev_b32_e64 v4, v4, -1
	v_dual_mov_b32 v17, v68 :: v_dual_mov_b32 v16, v83
	v_dual_mov_b32 v55, v81 :: v_dual_mov_b32 v34, v84
	s_wait_alu 0xf1ff
	v_cndmask_b32_e64 v22, 0x7fffffff, v229, s14
	v_dual_mov_b32 v18, v69 :: v_dual_mov_b32 v35, v85
	v_mov_b32_e32 v32, v86
	v_not_b32_e32 v68, v4
	s_delay_alu instid0(VALU_DEP_4)
	v_lshrrev_b32_e32 v4, v10, v22
	v_dual_mov_b32 v33, v87 :: v_dual_mov_b32 v52, v96
	v_dual_mov_b32 v53, v97 :: v_dual_mov_b32 v38, v98
	;; [unrolled: 1-line block ×4, first 2 shown]
	v_dual_mov_b32 v23, v103 :: v_dual_and_b32 v4, v4, v68
	v_dual_mov_b32 v13, v64 :: v_dual_mov_b32 v14, v65
	v_mov_b32_e32 v231, v129
	s_delay_alu instid0(VALU_DEP_3) | instskip(SKIP_3) | instid1(VALU_DEP_3)
	v_dual_mov_b32 v245, v47 :: v_dual_lshlrev_b32 v66, 30, v4
	v_and_b32_e32 v64, 1, v4
	v_dual_mov_b32 v242, v167 :: v_dual_lshlrev_b32 v67, 29, v4
	v_dual_mov_b32 v244, v177 :: v_dual_lshlrev_b32 v69, 28, v4
	v_add_co_u32 v64, s14, v64, -1
	s_wait_alu 0xf1ff
	v_cndmask_b32_e64 v65, 0, 1, s14
	v_dual_mov_b32 v8, v70 :: v_dual_mov_b32 v9, v71
	v_dual_mov_b32 v30, v112 :: v_dual_mov_b32 v31, v113
	s_delay_alu instid0(VALU_DEP_3)
	v_cmp_ne_u32_e64 s14, 0, v65
	v_not_b32_e32 v65, v66
	v_dual_mov_b32 v41, v163 :: v_dual_mov_b32 v28, v117
	v_mov_b32_e32 v29, v118
	s_wait_alu 0xf1ff
	v_xor_b32_e32 v64, s14, v64
	v_cmp_gt_i32_e64 s14, 0, v66
	v_ashrrev_i32_e32 v65, 31, v65
	v_not_b32_e32 v66, v67
	v_mov_b32_e32 v40, v181
	v_dual_mov_b32 v43, v135 :: v_dual_and_b32 v64, exec_lo, v64
	s_wait_alu 0xf1ff
	v_xor_b32_e32 v65, s14, v65
	v_cmp_gt_i32_e64 s14, 0, v67
	v_ashrrev_i32_e32 v66, 31, v66
	v_not_b32_e32 v67, v69
	v_dual_mov_b32 v26, v149 :: v_dual_mov_b32 v27, v150
	v_and_b32_e32 v64, v64, v65
	v_lshlrev_b32_e32 v65, 27, v4
	s_wait_alu 0xf1ff
	v_xor_b32_e32 v66, s14, v66
	v_cmp_gt_i32_e64 s14, 0, v69
	v_ashrrev_i32_e32 v67, 31, v67
	v_mov_b32_e32 v42, v165
	v_not_b32_e32 v69, v65
	v_and_b32_e32 v64, v64, v66
	v_lshlrev_b32_e32 v66, 26, v4
	s_wait_alu 0xf1ff
	v_xor_b32_e32 v67, s14, v67
	v_cmp_gt_i32_e64 s14, 0, v65
	v_ashrrev_i32_e32 v65, 31, v69
	v_mov_b32_e32 v44, v133
	v_not_b32_e32 v69, v66
	v_and_b32_e32 v64, v64, v67
	v_lshlrev_b32_e32 v67, 25, v4
	s_wait_alu 0xf1ff
	v_xor_b32_e32 v65, s14, v65
	v_cmp_gt_i32_e64 s14, 0, v66
	v_ashrrev_i32_e32 v66, 31, v69
	v_dual_mov_b32 v24, v160 :: v_dual_mov_b32 v25, v161
	v_not_b32_e32 v69, v67
	v_and_b32_e32 v64, v64, v65
	v_lshlrev_b32_e32 v65, 24, v4
	s_wait_alu 0xf1ff
	v_xor_b32_e32 v66, s14, v66
	v_cmp_gt_i32_e64 s14, 0, v67
	v_ashrrev_i32_e32 v67, 31, v69
	v_lshl_add_u32 v4, v4, 3, v196
	v_not_b32_e32 v69, v65
	v_and_b32_e32 v64, v64, v66
	v_dual_mov_b32 v240, v115 :: v_dual_mov_b32 v241, v145
	s_wait_alu 0xf1ff
	v_xor_b32_e32 v66, s14, v67
	v_cmp_gt_i32_e64 s14, 0, v65
	v_ashrrev_i32_e32 v65, 31, v69
	v_dual_mov_b32 v230, v147 :: v_dual_mov_b32 v243, v131
	s_delay_alu instid0(VALU_DEP_4)
	v_and_b32_e32 v64, v64, v66
	v_lshlrev_b64_e32 v[66:67], 2, v[4:5]
	s_wait_alu 0xf1ff
	v_xor_b32_e32 v65, s14, v65
	v_dual_mov_b32 v246, v46 :: v_dual_mov_b32 v247, v179
	ds_store_b32 v49, v5
	ds_store_b32 v151, v5
	;; [unrolled: 1-line block ×4, first 2 shown]
	v_and_b32_e32 v65, v64, v65
	v_add_co_u32 v64, null, v12, v66
	ds_store_b32 v192, v5
	ds_store_b32 v193, v5
	;; [unrolled: 1-line block ×3, first 2 shown]
	v_mbcnt_lo_u32_b32 v4, v65, 0
	v_cmp_ne_u32_e64 s15, 0, v65
	v_add_co_u32 v64, null, v64, 32
	ds_store_b32 v195, v5
	v_cmp_eq_u32_e64 s14, 0, v4
	s_wait_loadcnt_dscnt 0x0
	s_barrier_signal -1
	s_barrier_wait -1
	global_inv scope:SCOPE_SE
	s_and_b32 s15, s15, s14
	; wave barrier
	s_wait_alu 0xfffe
	s_and_saveexec_b32 s14, s15
; %bb.54:                               ;   in Loop: Header=BB1330_53 Depth=1
	v_bcnt_u32_b32 v65, v65, 0
	ds_store_b32 v64, v65
; %bb.55:                               ;   in Loop: Header=BB1330_53 Depth=1
	s_wait_alu 0xfffe
	s_or_b32 exec_lo, exec_lo, s14
	v_cmp_ne_u32_e64 s14, 0x80000000, v240
	; wave barrier
	s_wait_alu 0xf1ff
	s_delay_alu instid0(VALU_DEP_1) | instskip(NEXT) | instid1(VALU_DEP_1)
	v_cndmask_b32_e64 v65, 0x7fffffff, v240, s14
	v_lshrrev_b32_e32 v65, v10, v65
	s_delay_alu instid0(VALU_DEP_1) | instskip(NEXT) | instid1(VALU_DEP_1)
	v_and_b32_e32 v65, v65, v68
	v_and_b32_e32 v66, 1, v65
	v_lshlrev_b32_e32 v67, 30, v65
	v_lshlrev_b32_e32 v69, 29, v65
	;; [unrolled: 1-line block ×4, first 2 shown]
	v_add_co_u32 v66, s14, v66, -1
	s_wait_alu 0xf1ff
	v_cndmask_b32_e64 v71, 0, 1, s14
	v_not_b32_e32 v83, v67
	v_cmp_gt_i32_e64 s15, 0, v67
	v_not_b32_e32 v67, v69
	v_lshlrev_b32_e32 v81, 26, v65
	v_cmp_ne_u32_e64 s14, 0, v71
	v_ashrrev_i32_e32 v83, 31, v83
	v_lshlrev_b32_e32 v82, 25, v65
	v_ashrrev_i32_e32 v67, 31, v67
	v_lshlrev_b32_e32 v71, 24, v65
	s_wait_alu 0xf1ff
	v_xor_b32_e32 v66, s14, v66
	v_cmp_gt_i32_e64 s14, 0, v69
	v_not_b32_e32 v69, v70
	v_xor_b32_e32 v83, s15, v83
	v_cmp_gt_i32_e64 s15, 0, v70
	v_and_b32_e32 v66, exec_lo, v66
	v_not_b32_e32 v70, v80
	v_ashrrev_i32_e32 v69, 31, v69
	s_wait_alu 0xf1ff
	v_xor_b32_e32 v67, s14, v67
	v_cmp_gt_i32_e64 s14, 0, v80
	v_and_b32_e32 v66, v66, v83
	v_not_b32_e32 v80, v81
	v_ashrrev_i32_e32 v70, 31, v70
	v_xor_b32_e32 v69, s15, v69
	v_cmp_gt_i32_e64 s15, 0, v81
	v_and_b32_e32 v66, v66, v67
	v_not_b32_e32 v67, v82
	v_ashrrev_i32_e32 v80, 31, v80
	s_wait_alu 0xf1ff
	v_xor_b32_e32 v70, s14, v70
	v_cmp_gt_i32_e64 s14, 0, v82
	v_and_b32_e32 v66, v66, v69
	v_not_b32_e32 v69, v71
	v_ashrrev_i32_e32 v67, 31, v67
	v_xor_b32_e32 v80, s15, v80
	v_lshl_add_u32 v65, v65, 3, v196
	v_and_b32_e32 v66, v66, v70
	v_cmp_gt_i32_e64 s15, 0, v71
	v_ashrrev_i32_e32 v69, 31, v69
	s_wait_alu 0xf1ff
	v_xor_b32_e32 v67, s14, v67
	v_lshl_add_u32 v70, v65, 2, v12
	v_and_b32_e32 v66, v66, v80
	v_xor_b32_e32 v69, s15, v69
	ds_load_b32 v65, v70 offset:32
	v_and_b32_e32 v66, v66, v67
	v_add_nc_u32_e32 v67, 32, v70
	; wave barrier
	s_delay_alu instid0(VALU_DEP_2) | instskip(NEXT) | instid1(VALU_DEP_1)
	v_and_b32_e32 v69, v66, v69
	v_mbcnt_lo_u32_b32 v66, v69, 0
	v_cmp_ne_u32_e64 s15, 0, v69
	s_delay_alu instid0(VALU_DEP_2)
	v_cmp_eq_u32_e64 s14, 0, v66
	s_and_b32 s15, s15, s14
	s_wait_alu 0xfffe
	s_and_saveexec_b32 s14, s15
	s_cbranch_execz .LBB1330_57
; %bb.56:                               ;   in Loop: Header=BB1330_53 Depth=1
	s_wait_dscnt 0x0
	v_bcnt_u32_b32 v69, v69, v65
	ds_store_b32 v67, v69
.LBB1330_57:                            ;   in Loop: Header=BB1330_53 Depth=1
	s_wait_alu 0xfffe
	s_or_b32 exec_lo, exec_lo, s14
	v_cmp_ne_u32_e64 s14, 0x80000000, v231
	; wave barrier
	s_wait_alu 0xf1ff
	s_delay_alu instid0(VALU_DEP_1) | instskip(NEXT) | instid1(VALU_DEP_1)
	v_cndmask_b32_e64 v69, 0x7fffffff, v231, s14
	v_lshrrev_b32_e32 v69, v10, v69
	s_delay_alu instid0(VALU_DEP_1) | instskip(NEXT) | instid1(VALU_DEP_1)
	v_and_b32_e32 v69, v69, v68
	v_and_b32_e32 v70, 1, v69
	v_lshlrev_b32_e32 v71, 30, v69
	v_lshlrev_b32_e32 v80, 29, v69
	;; [unrolled: 1-line block ×4, first 2 shown]
	v_add_co_u32 v70, s14, v70, -1
	s_wait_alu 0xf1ff
	v_cndmask_b32_e64 v82, 0, 1, s14
	v_not_b32_e32 v86, v71
	v_cmp_gt_i32_e64 s15, 0, v71
	v_not_b32_e32 v71, v80
	v_lshlrev_b32_e32 v84, 26, v69
	v_cmp_ne_u32_e64 s14, 0, v82
	v_ashrrev_i32_e32 v86, 31, v86
	v_lshlrev_b32_e32 v85, 25, v69
	v_ashrrev_i32_e32 v71, 31, v71
	v_lshlrev_b32_e32 v82, 24, v69
	s_wait_alu 0xf1ff
	v_xor_b32_e32 v70, s14, v70
	v_cmp_gt_i32_e64 s14, 0, v80
	v_not_b32_e32 v80, v81
	v_xor_b32_e32 v86, s15, v86
	v_cmp_gt_i32_e64 s15, 0, v81
	v_and_b32_e32 v70, exec_lo, v70
	v_not_b32_e32 v81, v83
	v_ashrrev_i32_e32 v80, 31, v80
	s_wait_alu 0xf1ff
	v_xor_b32_e32 v71, s14, v71
	v_cmp_gt_i32_e64 s14, 0, v83
	v_and_b32_e32 v70, v70, v86
	v_not_b32_e32 v83, v84
	v_ashrrev_i32_e32 v81, 31, v81
	v_xor_b32_e32 v80, s15, v80
	v_cmp_gt_i32_e64 s15, 0, v84
	v_and_b32_e32 v70, v70, v71
	v_not_b32_e32 v71, v85
	v_ashrrev_i32_e32 v83, 31, v83
	s_wait_alu 0xf1ff
	v_xor_b32_e32 v81, s14, v81
	v_cmp_gt_i32_e64 s14, 0, v85
	v_and_b32_e32 v70, v70, v80
	v_not_b32_e32 v80, v82
	v_ashrrev_i32_e32 v71, 31, v71
	v_xor_b32_e32 v83, s15, v83
	v_lshl_add_u32 v69, v69, 3, v196
	v_and_b32_e32 v70, v70, v81
	v_cmp_gt_i32_e64 s15, 0, v82
	v_ashrrev_i32_e32 v80, 31, v80
	s_wait_alu 0xf1ff
	v_xor_b32_e32 v71, s14, v71
	v_lshl_add_u32 v81, v69, 2, v12
	v_and_b32_e32 v70, v70, v83
	v_xor_b32_e32 v80, s15, v80
	ds_load_b32 v69, v81 offset:32
	v_and_b32_e32 v70, v70, v71
	v_add_nc_u32_e32 v71, 32, v81
	; wave barrier
	s_delay_alu instid0(VALU_DEP_2) | instskip(NEXT) | instid1(VALU_DEP_1)
	v_and_b32_e32 v80, v70, v80
	v_mbcnt_lo_u32_b32 v70, v80, 0
	v_cmp_ne_u32_e64 s15, 0, v80
	s_delay_alu instid0(VALU_DEP_2)
	v_cmp_eq_u32_e64 s14, 0, v70
	s_and_b32 s15, s15, s14
	s_wait_alu 0xfffe
	s_and_saveexec_b32 s14, s15
	s_cbranch_execz .LBB1330_59
; %bb.58:                               ;   in Loop: Header=BB1330_53 Depth=1
	s_wait_dscnt 0x0
	v_bcnt_u32_b32 v80, v80, v69
	ds_store_b32 v71, v80
.LBB1330_59:                            ;   in Loop: Header=BB1330_53 Depth=1
	s_wait_alu 0xfffe
	s_or_b32 exec_lo, exec_lo, s14
	v_cmp_ne_u32_e64 s14, 0x80000000, v230
	; wave barrier
	s_wait_alu 0xf1ff
	s_delay_alu instid0(VALU_DEP_1) | instskip(NEXT) | instid1(VALU_DEP_1)
	v_cndmask_b32_e64 v80, 0x7fffffff, v230, s14
	v_lshrrev_b32_e32 v80, v10, v80
	s_delay_alu instid0(VALU_DEP_1) | instskip(NEXT) | instid1(VALU_DEP_1)
	v_and_b32_e32 v80, v80, v68
	v_and_b32_e32 v81, 1, v80
	v_lshlrev_b32_e32 v82, 30, v80
	v_lshlrev_b32_e32 v83, 29, v80
	;; [unrolled: 1-line block ×4, first 2 shown]
	v_add_co_u32 v81, s14, v81, -1
	s_wait_alu 0xf1ff
	v_cndmask_b32_e64 v85, 0, 1, s14
	v_not_b32_e32 v97, v82
	v_cmp_gt_i32_e64 s15, 0, v82
	v_not_b32_e32 v82, v83
	v_lshlrev_b32_e32 v87, 26, v80
	v_cmp_ne_u32_e64 s14, 0, v85
	v_ashrrev_i32_e32 v97, 31, v97
	v_lshlrev_b32_e32 v96, 25, v80
	v_ashrrev_i32_e32 v82, 31, v82
	v_lshlrev_b32_e32 v85, 24, v80
	s_wait_alu 0xf1ff
	v_xor_b32_e32 v81, s14, v81
	v_cmp_gt_i32_e64 s14, 0, v83
	v_not_b32_e32 v83, v84
	v_xor_b32_e32 v97, s15, v97
	v_cmp_gt_i32_e64 s15, 0, v84
	v_and_b32_e32 v81, exec_lo, v81
	v_not_b32_e32 v84, v86
	v_ashrrev_i32_e32 v83, 31, v83
	s_wait_alu 0xf1ff
	v_xor_b32_e32 v82, s14, v82
	v_cmp_gt_i32_e64 s14, 0, v86
	v_and_b32_e32 v81, v81, v97
	v_not_b32_e32 v86, v87
	v_ashrrev_i32_e32 v84, 31, v84
	v_xor_b32_e32 v83, s15, v83
	v_cmp_gt_i32_e64 s15, 0, v87
	v_and_b32_e32 v81, v81, v82
	v_not_b32_e32 v82, v96
	v_ashrrev_i32_e32 v86, 31, v86
	s_wait_alu 0xf1ff
	v_xor_b32_e32 v84, s14, v84
	v_cmp_gt_i32_e64 s14, 0, v96
	v_and_b32_e32 v81, v81, v83
	v_not_b32_e32 v83, v85
	v_ashrrev_i32_e32 v82, 31, v82
	v_xor_b32_e32 v86, s15, v86
	v_lshl_add_u32 v80, v80, 3, v196
	v_and_b32_e32 v81, v81, v84
	v_cmp_gt_i32_e64 s15, 0, v85
	v_ashrrev_i32_e32 v83, 31, v83
	s_wait_alu 0xf1ff
	v_xor_b32_e32 v82, s14, v82
	v_lshl_add_u32 v84, v80, 2, v12
	v_and_b32_e32 v81, v81, v86
	v_xor_b32_e32 v83, s15, v83
	ds_load_b32 v80, v84 offset:32
	v_and_b32_e32 v81, v81, v82
	v_add_nc_u32_e32 v82, 32, v84
	; wave barrier
	s_delay_alu instid0(VALU_DEP_2) | instskip(NEXT) | instid1(VALU_DEP_1)
	v_and_b32_e32 v83, v81, v83
	v_mbcnt_lo_u32_b32 v81, v83, 0
	v_cmp_ne_u32_e64 s15, 0, v83
	s_delay_alu instid0(VALU_DEP_2)
	v_cmp_eq_u32_e64 s14, 0, v81
	s_and_b32 s15, s15, s14
	s_wait_alu 0xfffe
	s_and_saveexec_b32 s14, s15
	s_cbranch_execz .LBB1330_61
; %bb.60:                               ;   in Loop: Header=BB1330_53 Depth=1
	s_wait_dscnt 0x0
	v_bcnt_u32_b32 v83, v83, v80
	ds_store_b32 v82, v83
.LBB1330_61:                            ;   in Loop: Header=BB1330_53 Depth=1
	s_wait_alu 0xfffe
	s_or_b32 exec_lo, exec_lo, s14
	v_cmp_ne_u32_e64 s14, 0x80000000, v241
	; wave barrier
	s_wait_alu 0xf1ff
	s_delay_alu instid0(VALU_DEP_1) | instskip(NEXT) | instid1(VALU_DEP_1)
	v_cndmask_b32_e64 v83, 0x7fffffff, v241, s14
	v_lshrrev_b32_e32 v83, v10, v83
	s_delay_alu instid0(VALU_DEP_1) | instskip(NEXT) | instid1(VALU_DEP_1)
	v_and_b32_e32 v83, v83, v68
	v_and_b32_e32 v84, 1, v83
	v_lshlrev_b32_e32 v85, 30, v83
	v_lshlrev_b32_e32 v86, 29, v83
	;; [unrolled: 1-line block ×4, first 2 shown]
	v_add_co_u32 v84, s14, v84, -1
	s_wait_alu 0xf1ff
	v_cndmask_b32_e64 v96, 0, 1, s14
	v_not_b32_e32 v100, v85
	v_cmp_gt_i32_e64 s15, 0, v85
	v_not_b32_e32 v85, v86
	v_lshlrev_b32_e32 v98, 26, v83
	v_cmp_ne_u32_e64 s14, 0, v96
	v_ashrrev_i32_e32 v100, 31, v100
	v_lshlrev_b32_e32 v99, 25, v83
	v_ashrrev_i32_e32 v85, 31, v85
	v_lshlrev_b32_e32 v96, 24, v83
	s_wait_alu 0xf1ff
	v_xor_b32_e32 v84, s14, v84
	v_cmp_gt_i32_e64 s14, 0, v86
	v_not_b32_e32 v86, v87
	v_xor_b32_e32 v100, s15, v100
	v_cmp_gt_i32_e64 s15, 0, v87
	v_and_b32_e32 v84, exec_lo, v84
	v_not_b32_e32 v87, v97
	v_ashrrev_i32_e32 v86, 31, v86
	s_wait_alu 0xf1ff
	v_xor_b32_e32 v85, s14, v85
	v_cmp_gt_i32_e64 s14, 0, v97
	v_and_b32_e32 v84, v84, v100
	v_not_b32_e32 v97, v98
	v_ashrrev_i32_e32 v87, 31, v87
	v_xor_b32_e32 v86, s15, v86
	v_cmp_gt_i32_e64 s15, 0, v98
	v_and_b32_e32 v84, v84, v85
	v_not_b32_e32 v85, v99
	v_ashrrev_i32_e32 v97, 31, v97
	s_wait_alu 0xf1ff
	v_xor_b32_e32 v87, s14, v87
	v_cmp_gt_i32_e64 s14, 0, v99
	v_and_b32_e32 v84, v84, v86
	v_not_b32_e32 v86, v96
	v_ashrrev_i32_e32 v85, 31, v85
	v_xor_b32_e32 v97, s15, v97
	v_lshl_add_u32 v83, v83, 3, v196
	v_and_b32_e32 v84, v84, v87
	v_cmp_gt_i32_e64 s15, 0, v96
	v_ashrrev_i32_e32 v86, 31, v86
	s_wait_alu 0xf1ff
	v_xor_b32_e32 v85, s14, v85
	v_lshl_add_u32 v87, v83, 2, v12
	v_and_b32_e32 v84, v84, v97
	v_xor_b32_e32 v86, s15, v86
	ds_load_b32 v83, v87 offset:32
	v_and_b32_e32 v84, v84, v85
	v_add_nc_u32_e32 v85, 32, v87
	; wave barrier
	s_delay_alu instid0(VALU_DEP_2) | instskip(NEXT) | instid1(VALU_DEP_1)
	v_and_b32_e32 v86, v84, v86
	v_mbcnt_lo_u32_b32 v84, v86, 0
	v_cmp_ne_u32_e64 s15, 0, v86
	s_delay_alu instid0(VALU_DEP_2)
	v_cmp_eq_u32_e64 s14, 0, v84
	s_and_b32 s15, s15, s14
	s_wait_alu 0xfffe
	s_and_saveexec_b32 s14, s15
	s_cbranch_execz .LBB1330_63
; %bb.62:                               ;   in Loop: Header=BB1330_53 Depth=1
	s_wait_dscnt 0x0
	v_bcnt_u32_b32 v86, v86, v83
	ds_store_b32 v85, v86
.LBB1330_63:                            ;   in Loop: Header=BB1330_53 Depth=1
	s_wait_alu 0xfffe
	s_or_b32 exec_lo, exec_lo, s14
	v_cmp_ne_u32_e64 s14, 0x80000000, v243
	; wave barrier
	s_wait_alu 0xf1ff
	s_delay_alu instid0(VALU_DEP_1) | instskip(NEXT) | instid1(VALU_DEP_1)
	v_cndmask_b32_e64 v86, 0x7fffffff, v243, s14
	v_lshrrev_b32_e32 v86, v10, v86
	s_delay_alu instid0(VALU_DEP_1) | instskip(NEXT) | instid1(VALU_DEP_1)
	v_and_b32_e32 v86, v86, v68
	v_and_b32_e32 v87, 1, v86
	v_lshlrev_b32_e32 v96, 30, v86
	v_lshlrev_b32_e32 v97, 29, v86
	v_lshlrev_b32_e32 v98, 28, v86
	v_lshlrev_b32_e32 v100, 27, v86
	v_add_co_u32 v87, s14, v87, -1
	s_wait_alu 0xf1ff
	v_cndmask_b32_e64 v99, 0, 1, s14
	v_not_b32_e32 v103, v96
	v_cmp_gt_i32_e64 s15, 0, v96
	v_not_b32_e32 v96, v97
	v_lshlrev_b32_e32 v101, 26, v86
	v_cmp_ne_u32_e64 s14, 0, v99
	v_ashrrev_i32_e32 v103, 31, v103
	v_lshlrev_b32_e32 v102, 25, v86
	v_ashrrev_i32_e32 v96, 31, v96
	v_lshlrev_b32_e32 v99, 24, v86
	s_wait_alu 0xf1ff
	v_xor_b32_e32 v87, s14, v87
	v_cmp_gt_i32_e64 s14, 0, v97
	v_not_b32_e32 v97, v98
	v_xor_b32_e32 v103, s15, v103
	v_cmp_gt_i32_e64 s15, 0, v98
	v_and_b32_e32 v87, exec_lo, v87
	v_not_b32_e32 v98, v100
	v_ashrrev_i32_e32 v97, 31, v97
	s_wait_alu 0xf1ff
	v_xor_b32_e32 v96, s14, v96
	v_cmp_gt_i32_e64 s14, 0, v100
	v_and_b32_e32 v87, v87, v103
	v_not_b32_e32 v100, v101
	v_ashrrev_i32_e32 v98, 31, v98
	v_xor_b32_e32 v97, s15, v97
	v_cmp_gt_i32_e64 s15, 0, v101
	v_and_b32_e32 v87, v87, v96
	v_not_b32_e32 v96, v102
	v_ashrrev_i32_e32 v100, 31, v100
	s_wait_alu 0xf1ff
	v_xor_b32_e32 v98, s14, v98
	v_cmp_gt_i32_e64 s14, 0, v102
	v_and_b32_e32 v87, v87, v97
	v_not_b32_e32 v97, v99
	v_ashrrev_i32_e32 v96, 31, v96
	v_xor_b32_e32 v100, s15, v100
	v_lshl_add_u32 v86, v86, 3, v196
	v_and_b32_e32 v87, v87, v98
	v_cmp_gt_i32_e64 s15, 0, v99
	v_ashrrev_i32_e32 v97, 31, v97
	s_wait_alu 0xf1ff
	v_xor_b32_e32 v96, s14, v96
	v_lshl_add_u32 v98, v86, 2, v12
	v_and_b32_e32 v87, v87, v100
	v_xor_b32_e32 v97, s15, v97
	ds_load_b32 v86, v98 offset:32
	v_and_b32_e32 v87, v87, v96
	v_add_nc_u32_e32 v96, 32, v98
	; wave barrier
	s_delay_alu instid0(VALU_DEP_2) | instskip(NEXT) | instid1(VALU_DEP_1)
	v_and_b32_e32 v97, v87, v97
	v_mbcnt_lo_u32_b32 v87, v97, 0
	v_cmp_ne_u32_e64 s15, 0, v97
	s_delay_alu instid0(VALU_DEP_2)
	v_cmp_eq_u32_e64 s14, 0, v87
	s_and_b32 s15, s15, s14
	s_wait_alu 0xfffe
	s_and_saveexec_b32 s14, s15
	s_cbranch_execz .LBB1330_65
; %bb.64:                               ;   in Loop: Header=BB1330_53 Depth=1
	s_wait_dscnt 0x0
	v_bcnt_u32_b32 v97, v97, v86
	ds_store_b32 v96, v97
.LBB1330_65:                            ;   in Loop: Header=BB1330_53 Depth=1
	s_wait_alu 0xfffe
	s_or_b32 exec_lo, exec_lo, s14
	v_cmp_ne_u32_e64 s14, 0x80000000, v242
	; wave barrier
	s_wait_alu 0xf1ff
	s_delay_alu instid0(VALU_DEP_1) | instskip(NEXT) | instid1(VALU_DEP_1)
	v_cndmask_b32_e64 v97, 0x7fffffff, v242, s14
	v_lshrrev_b32_e32 v97, v10, v97
	s_delay_alu instid0(VALU_DEP_1) | instskip(NEXT) | instid1(VALU_DEP_1)
	v_and_b32_e32 v97, v97, v68
	v_and_b32_e32 v98, 1, v97
	v_lshlrev_b32_e32 v99, 30, v97
	v_lshlrev_b32_e32 v100, 29, v97
	;; [unrolled: 1-line block ×4, first 2 shown]
	v_add_co_u32 v98, s14, v98, -1
	s_wait_alu 0xf1ff
	v_cndmask_b32_e64 v102, 0, 1, s14
	v_not_b32_e32 v114, v99
	v_cmp_gt_i32_e64 s15, 0, v99
	v_not_b32_e32 v99, v100
	v_lshlrev_b32_e32 v112, 26, v97
	v_cmp_ne_u32_e64 s14, 0, v102
	v_ashrrev_i32_e32 v114, 31, v114
	v_lshlrev_b32_e32 v113, 25, v97
	v_ashrrev_i32_e32 v99, 31, v99
	v_lshlrev_b32_e32 v102, 24, v97
	s_wait_alu 0xf1ff
	v_xor_b32_e32 v98, s14, v98
	v_cmp_gt_i32_e64 s14, 0, v100
	v_not_b32_e32 v100, v101
	v_xor_b32_e32 v114, s15, v114
	v_cmp_gt_i32_e64 s15, 0, v101
	v_and_b32_e32 v98, exec_lo, v98
	v_not_b32_e32 v101, v103
	v_ashrrev_i32_e32 v100, 31, v100
	s_wait_alu 0xf1ff
	v_xor_b32_e32 v99, s14, v99
	v_cmp_gt_i32_e64 s14, 0, v103
	v_and_b32_e32 v98, v98, v114
	v_not_b32_e32 v103, v112
	v_ashrrev_i32_e32 v101, 31, v101
	v_xor_b32_e32 v100, s15, v100
	v_cmp_gt_i32_e64 s15, 0, v112
	v_and_b32_e32 v98, v98, v99
	v_not_b32_e32 v99, v113
	v_ashrrev_i32_e32 v103, 31, v103
	s_wait_alu 0xf1ff
	v_xor_b32_e32 v101, s14, v101
	v_cmp_gt_i32_e64 s14, 0, v113
	v_and_b32_e32 v98, v98, v100
	v_not_b32_e32 v100, v102
	v_ashrrev_i32_e32 v99, 31, v99
	v_xor_b32_e32 v103, s15, v103
	v_lshl_add_u32 v97, v97, 3, v196
	v_and_b32_e32 v98, v98, v101
	v_cmp_gt_i32_e64 s15, 0, v102
	v_ashrrev_i32_e32 v100, 31, v100
	s_wait_alu 0xf1ff
	v_xor_b32_e32 v99, s14, v99
	v_lshl_add_u32 v101, v97, 2, v12
	v_and_b32_e32 v98, v98, v103
	v_xor_b32_e32 v100, s15, v100
	ds_load_b32 v97, v101 offset:32
	v_and_b32_e32 v98, v98, v99
	v_add_nc_u32_e32 v99, 32, v101
	; wave barrier
	s_delay_alu instid0(VALU_DEP_2) | instskip(NEXT) | instid1(VALU_DEP_1)
	v_and_b32_e32 v100, v98, v100
	v_mbcnt_lo_u32_b32 v98, v100, 0
	v_cmp_ne_u32_e64 s15, 0, v100
	s_delay_alu instid0(VALU_DEP_2)
	v_cmp_eq_u32_e64 s14, 0, v98
	s_and_b32 s15, s15, s14
	s_wait_alu 0xfffe
	s_and_saveexec_b32 s14, s15
	s_cbranch_execz .LBB1330_67
; %bb.66:                               ;   in Loop: Header=BB1330_53 Depth=1
	s_wait_dscnt 0x0
	v_bcnt_u32_b32 v100, v100, v97
	ds_store_b32 v99, v100
.LBB1330_67:                            ;   in Loop: Header=BB1330_53 Depth=1
	s_wait_alu 0xfffe
	s_or_b32 exec_lo, exec_lo, s14
	v_cmp_ne_u32_e64 s14, 0x80000000, v244
	; wave barrier
	s_wait_alu 0xf1ff
	s_delay_alu instid0(VALU_DEP_1) | instskip(NEXT) | instid1(VALU_DEP_1)
	v_cndmask_b32_e64 v100, 0x7fffffff, v244, s14
	v_lshrrev_b32_e32 v100, v10, v100
	s_delay_alu instid0(VALU_DEP_1) | instskip(NEXT) | instid1(VALU_DEP_1)
	v_and_b32_e32 v100, v100, v68
	v_and_b32_e32 v101, 1, v100
	v_lshlrev_b32_e32 v102, 30, v100
	v_lshlrev_b32_e32 v103, 29, v100
	;; [unrolled: 1-line block ×4, first 2 shown]
	v_add_co_u32 v101, s14, v101, -1
	s_wait_alu 0xf1ff
	v_cndmask_b32_e64 v113, 0, 1, s14
	v_not_b32_e32 v117, v102
	v_cmp_gt_i32_e64 s15, 0, v102
	v_not_b32_e32 v102, v103
	v_lshlrev_b32_e32 v115, 26, v100
	v_cmp_ne_u32_e64 s14, 0, v113
	v_ashrrev_i32_e32 v117, 31, v117
	v_lshlrev_b32_e32 v116, 25, v100
	v_ashrrev_i32_e32 v102, 31, v102
	v_lshlrev_b32_e32 v113, 24, v100
	s_wait_alu 0xf1ff
	v_xor_b32_e32 v101, s14, v101
	v_cmp_gt_i32_e64 s14, 0, v103
	v_not_b32_e32 v103, v112
	v_xor_b32_e32 v117, s15, v117
	v_cmp_gt_i32_e64 s15, 0, v112
	v_and_b32_e32 v101, exec_lo, v101
	v_not_b32_e32 v112, v114
	v_ashrrev_i32_e32 v103, 31, v103
	s_wait_alu 0xf1ff
	v_xor_b32_e32 v102, s14, v102
	v_cmp_gt_i32_e64 s14, 0, v114
	v_and_b32_e32 v101, v101, v117
	v_not_b32_e32 v114, v115
	v_ashrrev_i32_e32 v112, 31, v112
	v_xor_b32_e32 v103, s15, v103
	v_cmp_gt_i32_e64 s15, 0, v115
	v_and_b32_e32 v101, v101, v102
	v_not_b32_e32 v102, v116
	v_ashrrev_i32_e32 v114, 31, v114
	s_wait_alu 0xf1ff
	v_xor_b32_e32 v112, s14, v112
	v_cmp_gt_i32_e64 s14, 0, v116
	v_and_b32_e32 v101, v101, v103
	v_not_b32_e32 v103, v113
	v_ashrrev_i32_e32 v102, 31, v102
	v_xor_b32_e32 v114, s15, v114
	v_lshl_add_u32 v100, v100, 3, v196
	v_and_b32_e32 v101, v101, v112
	v_cmp_gt_i32_e64 s15, 0, v113
	v_ashrrev_i32_e32 v103, 31, v103
	s_wait_alu 0xf1ff
	v_xor_b32_e32 v102, s14, v102
	v_lshl_add_u32 v112, v100, 2, v12
	v_and_b32_e32 v101, v101, v114
	v_xor_b32_e32 v103, s15, v103
	ds_load_b32 v100, v112 offset:32
	v_and_b32_e32 v101, v101, v102
	v_add_nc_u32_e32 v102, 32, v112
	; wave barrier
	s_delay_alu instid0(VALU_DEP_2) | instskip(NEXT) | instid1(VALU_DEP_1)
	v_and_b32_e32 v103, v101, v103
	v_mbcnt_lo_u32_b32 v101, v103, 0
	v_cmp_ne_u32_e64 s15, 0, v103
	s_delay_alu instid0(VALU_DEP_2)
	v_cmp_eq_u32_e64 s14, 0, v101
	s_and_b32 s15, s15, s14
	s_wait_alu 0xfffe
	s_and_saveexec_b32 s14, s15
	s_cbranch_execz .LBB1330_69
; %bb.68:                               ;   in Loop: Header=BB1330_53 Depth=1
	s_wait_dscnt 0x0
	v_bcnt_u32_b32 v103, v103, v100
	ds_store_b32 v102, v103
.LBB1330_69:                            ;   in Loop: Header=BB1330_53 Depth=1
	s_wait_alu 0xfffe
	s_or_b32 exec_lo, exec_lo, s14
	v_cmp_ne_u32_e64 s14, 0x80000000, v245
	; wave barrier
	s_wait_alu 0xf1ff
	s_delay_alu instid0(VALU_DEP_1) | instskip(NEXT) | instid1(VALU_DEP_1)
	v_cndmask_b32_e64 v103, 0x7fffffff, v245, s14
	v_lshrrev_b32_e32 v103, v10, v103
	s_delay_alu instid0(VALU_DEP_1) | instskip(NEXT) | instid1(VALU_DEP_1)
	v_and_b32_e32 v103, v103, v68
	v_and_b32_e32 v112, 1, v103
	v_lshlrev_b32_e32 v113, 30, v103
	v_lshlrev_b32_e32 v114, 29, v103
	;; [unrolled: 1-line block ×4, first 2 shown]
	v_add_co_u32 v112, s14, v112, -1
	s_wait_alu 0xf1ff
	v_cndmask_b32_e64 v116, 0, 1, s14
	v_not_b32_e32 v129, v113
	v_cmp_gt_i32_e64 s15, 0, v113
	v_not_b32_e32 v113, v114
	v_lshlrev_b32_e32 v118, 26, v103
	v_cmp_ne_u32_e64 s14, 0, v116
	v_ashrrev_i32_e32 v129, 31, v129
	v_lshlrev_b32_e32 v128, 25, v103
	v_ashrrev_i32_e32 v113, 31, v113
	v_lshlrev_b32_e32 v116, 24, v103
	s_wait_alu 0xf1ff
	v_xor_b32_e32 v112, s14, v112
	v_cmp_gt_i32_e64 s14, 0, v114
	v_not_b32_e32 v114, v115
	v_xor_b32_e32 v129, s15, v129
	v_cmp_gt_i32_e64 s15, 0, v115
	v_and_b32_e32 v112, exec_lo, v112
	v_not_b32_e32 v115, v117
	v_ashrrev_i32_e32 v114, 31, v114
	s_wait_alu 0xf1ff
	v_xor_b32_e32 v113, s14, v113
	v_cmp_gt_i32_e64 s14, 0, v117
	v_and_b32_e32 v112, v112, v129
	v_not_b32_e32 v117, v118
	v_ashrrev_i32_e32 v115, 31, v115
	v_xor_b32_e32 v114, s15, v114
	v_cmp_gt_i32_e64 s15, 0, v118
	v_and_b32_e32 v112, v112, v113
	v_not_b32_e32 v113, v128
	v_ashrrev_i32_e32 v117, 31, v117
	s_wait_alu 0xf1ff
	v_xor_b32_e32 v115, s14, v115
	v_cmp_gt_i32_e64 s14, 0, v128
	v_and_b32_e32 v112, v112, v114
	v_not_b32_e32 v114, v116
	v_ashrrev_i32_e32 v113, 31, v113
	v_xor_b32_e32 v117, s15, v117
	v_lshl_add_u32 v103, v103, 3, v196
	v_and_b32_e32 v112, v112, v115
	v_cmp_gt_i32_e64 s15, 0, v116
	v_ashrrev_i32_e32 v114, 31, v114
	s_wait_alu 0xf1ff
	v_xor_b32_e32 v113, s14, v113
	v_lshl_add_u32 v115, v103, 2, v12
	v_and_b32_e32 v112, v112, v117
	v_xor_b32_e32 v114, s15, v114
	ds_load_b32 v103, v115 offset:32
	v_and_b32_e32 v112, v112, v113
	v_add_nc_u32_e32 v113, 32, v115
	; wave barrier
	s_delay_alu instid0(VALU_DEP_2) | instskip(NEXT) | instid1(VALU_DEP_1)
	v_and_b32_e32 v114, v112, v114
	v_mbcnt_lo_u32_b32 v112, v114, 0
	v_cmp_ne_u32_e64 s15, 0, v114
	s_delay_alu instid0(VALU_DEP_2)
	v_cmp_eq_u32_e64 s14, 0, v112
	s_and_b32 s15, s15, s14
	s_wait_alu 0xfffe
	s_and_saveexec_b32 s14, s15
	s_cbranch_execz .LBB1330_71
; %bb.70:                               ;   in Loop: Header=BB1330_53 Depth=1
	s_wait_dscnt 0x0
	v_bcnt_u32_b32 v114, v114, v103
	ds_store_b32 v113, v114
.LBB1330_71:                            ;   in Loop: Header=BB1330_53 Depth=1
	s_wait_alu 0xfffe
	s_or_b32 exec_lo, exec_lo, s14
	v_cmp_ne_u32_e64 s14, 0x80000000, v246
	; wave barrier
	s_wait_alu 0xf1ff
	s_delay_alu instid0(VALU_DEP_1) | instskip(NEXT) | instid1(VALU_DEP_1)
	v_cndmask_b32_e64 v114, 0x7fffffff, v246, s14
	v_lshrrev_b32_e32 v114, v10, v114
	s_delay_alu instid0(VALU_DEP_1) | instskip(NEXT) | instid1(VALU_DEP_1)
	v_and_b32_e32 v114, v114, v68
	v_and_b32_e32 v115, 1, v114
	v_lshlrev_b32_e32 v116, 30, v114
	v_lshlrev_b32_e32 v117, 29, v114
	;; [unrolled: 1-line block ×4, first 2 shown]
	v_add_co_u32 v115, s14, v115, -1
	s_wait_alu 0xf1ff
	v_cndmask_b32_e64 v128, 0, 1, s14
	v_not_b32_e32 v132, v116
	v_cmp_gt_i32_e64 s15, 0, v116
	v_not_b32_e32 v116, v117
	v_lshlrev_b32_e32 v130, 26, v114
	v_cmp_ne_u32_e64 s14, 0, v128
	v_ashrrev_i32_e32 v132, 31, v132
	v_lshlrev_b32_e32 v131, 25, v114
	v_ashrrev_i32_e32 v116, 31, v116
	v_lshlrev_b32_e32 v128, 24, v114
	s_wait_alu 0xf1ff
	v_xor_b32_e32 v115, s14, v115
	v_cmp_gt_i32_e64 s14, 0, v117
	v_not_b32_e32 v117, v118
	v_xor_b32_e32 v132, s15, v132
	v_cmp_gt_i32_e64 s15, 0, v118
	v_and_b32_e32 v115, exec_lo, v115
	v_not_b32_e32 v118, v129
	v_ashrrev_i32_e32 v117, 31, v117
	s_wait_alu 0xf1ff
	v_xor_b32_e32 v116, s14, v116
	v_cmp_gt_i32_e64 s14, 0, v129
	v_and_b32_e32 v115, v115, v132
	v_not_b32_e32 v129, v130
	v_ashrrev_i32_e32 v118, 31, v118
	v_xor_b32_e32 v117, s15, v117
	v_cmp_gt_i32_e64 s15, 0, v130
	v_and_b32_e32 v115, v115, v116
	v_not_b32_e32 v116, v131
	v_ashrrev_i32_e32 v129, 31, v129
	s_wait_alu 0xf1ff
	v_xor_b32_e32 v118, s14, v118
	v_cmp_gt_i32_e64 s14, 0, v131
	v_and_b32_e32 v115, v115, v117
	v_not_b32_e32 v117, v128
	v_ashrrev_i32_e32 v116, 31, v116
	v_xor_b32_e32 v129, s15, v129
	v_lshl_add_u32 v114, v114, 3, v196
	v_and_b32_e32 v115, v115, v118
	v_cmp_gt_i32_e64 s15, 0, v128
	v_ashrrev_i32_e32 v117, 31, v117
	s_wait_alu 0xf1ff
	v_xor_b32_e32 v116, s14, v116
	v_lshl_add_u32 v114, v114, 2, v12
	v_and_b32_e32 v115, v115, v129
	v_xor_b32_e32 v117, s15, v117
	ds_load_b32 v118, v114 offset:32
	v_and_b32_e32 v115, v115, v116
	v_add_nc_u32_e32 v114, 32, v114
	; wave barrier
	s_delay_alu instid0(VALU_DEP_2) | instskip(NEXT) | instid1(VALU_DEP_1)
	v_and_b32_e32 v115, v115, v117
	v_mbcnt_lo_u32_b32 v148, v115, 0
	v_cmp_ne_u32_e64 s15, 0, v115
	s_delay_alu instid0(VALU_DEP_2)
	v_cmp_eq_u32_e64 s14, 0, v148
	s_and_b32 s15, s15, s14
	s_wait_alu 0xfffe
	s_and_saveexec_b32 s14, s15
	s_cbranch_execz .LBB1330_73
; %bb.72:                               ;   in Loop: Header=BB1330_53 Depth=1
	s_wait_dscnt 0x0
	v_bcnt_u32_b32 v115, v115, v118
	ds_store_b32 v114, v115
.LBB1330_73:                            ;   in Loop: Header=BB1330_53 Depth=1
	s_wait_alu 0xfffe
	s_or_b32 exec_lo, exec_lo, s14
	v_cmp_ne_u32_e64 s14, 0x80000000, v247
	; wave barrier
	s_wait_alu 0xf1ff
	s_delay_alu instid0(VALU_DEP_1) | instskip(NEXT) | instid1(VALU_DEP_1)
	v_cndmask_b32_e64 v115, 0x7fffffff, v247, s14
	v_lshrrev_b32_e32 v115, v10, v115
	s_delay_alu instid0(VALU_DEP_1) | instskip(NEXT) | instid1(VALU_DEP_1)
	v_and_b32_e32 v115, v115, v68
	v_and_b32_e32 v116, 1, v115
	v_lshlrev_b32_e32 v117, 30, v115
	v_lshlrev_b32_e32 v128, 29, v115
	;; [unrolled: 1-line block ×4, first 2 shown]
	v_add_co_u32 v116, s14, v116, -1
	s_wait_alu 0xf1ff
	v_cndmask_b32_e64 v130, 0, 1, s14
	v_not_b32_e32 v134, v117
	v_cmp_gt_i32_e64 s15, 0, v117
	v_not_b32_e32 v117, v128
	v_lshlrev_b32_e32 v132, 26, v115
	v_cmp_ne_u32_e64 s14, 0, v130
	v_ashrrev_i32_e32 v134, 31, v134
	v_lshlrev_b32_e32 v133, 25, v115
	v_ashrrev_i32_e32 v117, 31, v117
	v_lshlrev_b32_e32 v130, 24, v115
	s_wait_alu 0xf1ff
	v_xor_b32_e32 v116, s14, v116
	v_cmp_gt_i32_e64 s14, 0, v128
	v_not_b32_e32 v128, v129
	v_xor_b32_e32 v134, s15, v134
	v_cmp_gt_i32_e64 s15, 0, v129
	v_and_b32_e32 v116, exec_lo, v116
	v_not_b32_e32 v129, v131
	v_ashrrev_i32_e32 v128, 31, v128
	s_wait_alu 0xf1ff
	v_xor_b32_e32 v117, s14, v117
	v_cmp_gt_i32_e64 s14, 0, v131
	v_and_b32_e32 v116, v116, v134
	v_not_b32_e32 v131, v132
	v_ashrrev_i32_e32 v129, 31, v129
	v_xor_b32_e32 v128, s15, v128
	v_cmp_gt_i32_e64 s15, 0, v132
	v_and_b32_e32 v116, v116, v117
	v_not_b32_e32 v117, v133
	v_ashrrev_i32_e32 v131, 31, v131
	s_wait_alu 0xf1ff
	v_xor_b32_e32 v129, s14, v129
	v_cmp_gt_i32_e64 s14, 0, v133
	v_and_b32_e32 v116, v116, v128
	v_not_b32_e32 v128, v130
	v_ashrrev_i32_e32 v117, 31, v117
	v_xor_b32_e32 v131, s15, v131
	v_lshl_add_u32 v115, v115, 3, v196
	v_and_b32_e32 v116, v116, v129
	v_cmp_gt_i32_e64 s15, 0, v130
	v_ashrrev_i32_e32 v128, 31, v128
	s_wait_alu 0xf1ff
	v_xor_b32_e32 v117, s14, v117
	v_lshl_add_u32 v129, v115, 2, v12
	v_and_b32_e32 v116, v116, v131
	v_xor_b32_e32 v115, s15, v128
	ds_load_b32 v150, v129 offset:32
	v_and_b32_e32 v116, v116, v117
	; wave barrier
	s_delay_alu instid0(VALU_DEP_1) | instskip(SKIP_1) | instid1(VALU_DEP_2)
	v_and_b32_e32 v115, v116, v115
	v_add_nc_u32_e32 v116, 32, v129
	v_mbcnt_lo_u32_b32 v160, v115, 0
	v_cmp_ne_u32_e64 s15, 0, v115
	s_delay_alu instid0(VALU_DEP_2)
	v_cmp_eq_u32_e64 s14, 0, v160
	s_and_b32 s15, s15, s14
	s_wait_alu 0xfffe
	s_and_saveexec_b32 s14, s15
	s_cbranch_execz .LBB1330_75
; %bb.74:                               ;   in Loop: Header=BB1330_53 Depth=1
	s_wait_dscnt 0x0
	v_bcnt_u32_b32 v115, v115, v150
	ds_store_b32 v116, v115
.LBB1330_75:                            ;   in Loop: Header=BB1330_53 Depth=1
	s_wait_alu 0xfffe
	s_or_b32 exec_lo, exec_lo, s14
	v_cmp_ne_u32_e64 s14, 0x80000000, v40
	; wave barrier
	s_wait_alu 0xf1ff
	s_delay_alu instid0(VALU_DEP_1) | instskip(NEXT) | instid1(VALU_DEP_1)
	v_cndmask_b32_e64 v115, 0x7fffffff, v40, s14
	v_lshrrev_b32_e32 v115, v10, v115
	s_delay_alu instid0(VALU_DEP_1) | instskip(NEXT) | instid1(VALU_DEP_1)
	v_and_b32_e32 v115, v115, v68
	v_and_b32_e32 v117, 1, v115
	v_lshlrev_b32_e32 v128, 30, v115
	v_lshlrev_b32_e32 v129, 29, v115
	;; [unrolled: 1-line block ×4, first 2 shown]
	v_add_co_u32 v117, s14, v117, -1
	s_wait_alu 0xf1ff
	v_cndmask_b32_e64 v131, 0, 1, s14
	v_not_b32_e32 v135, v128
	v_cmp_gt_i32_e64 s15, 0, v128
	v_not_b32_e32 v128, v129
	v_lshlrev_b32_e32 v133, 26, v115
	v_cmp_ne_u32_e64 s14, 0, v131
	v_ashrrev_i32_e32 v135, 31, v135
	v_lshlrev_b32_e32 v134, 25, v115
	v_ashrrev_i32_e32 v128, 31, v128
	v_lshlrev_b32_e32 v131, 24, v115
	s_wait_alu 0xf1ff
	v_xor_b32_e32 v117, s14, v117
	v_cmp_gt_i32_e64 s14, 0, v129
	v_not_b32_e32 v129, v130
	v_xor_b32_e32 v135, s15, v135
	v_cmp_gt_i32_e64 s15, 0, v130
	v_and_b32_e32 v117, exec_lo, v117
	v_not_b32_e32 v130, v132
	v_ashrrev_i32_e32 v129, 31, v129
	s_wait_alu 0xf1ff
	v_xor_b32_e32 v128, s14, v128
	v_cmp_gt_i32_e64 s14, 0, v132
	v_and_b32_e32 v117, v117, v135
	v_not_b32_e32 v132, v133
	v_ashrrev_i32_e32 v130, 31, v130
	v_xor_b32_e32 v129, s15, v129
	v_cmp_gt_i32_e64 s15, 0, v133
	v_and_b32_e32 v117, v117, v128
	v_not_b32_e32 v128, v134
	v_ashrrev_i32_e32 v132, 31, v132
	s_wait_alu 0xf1ff
	v_xor_b32_e32 v130, s14, v130
	v_cmp_gt_i32_e64 s14, 0, v134
	v_and_b32_e32 v117, v117, v129
	v_not_b32_e32 v129, v131
	v_ashrrev_i32_e32 v128, 31, v128
	v_xor_b32_e32 v132, s15, v132
	v_lshl_add_u32 v115, v115, 3, v196
	v_and_b32_e32 v117, v117, v130
	v_cmp_gt_i32_e64 s15, 0, v131
	v_ashrrev_i32_e32 v129, 31, v129
	s_wait_alu 0xf1ff
	v_xor_b32_e32 v128, s14, v128
	v_lshl_add_u32 v130, v115, 2, v12
	v_and_b32_e32 v117, v117, v132
	v_xor_b32_e32 v115, s15, v129
	ds_load_b32 v161, v130 offset:32
	v_and_b32_e32 v117, v117, v128
	v_add_nc_u32_e32 v128, 32, v130
	; wave barrier
	s_delay_alu instid0(VALU_DEP_2) | instskip(NEXT) | instid1(VALU_DEP_1)
	v_and_b32_e32 v115, v117, v115
	v_mbcnt_lo_u32_b32 v162, v115, 0
	v_cmp_ne_u32_e64 s15, 0, v115
	s_delay_alu instid0(VALU_DEP_2)
	v_cmp_eq_u32_e64 s14, 0, v162
	s_and_b32 s15, s15, s14
	s_wait_alu 0xfffe
	s_and_saveexec_b32 s14, s15
	s_cbranch_execz .LBB1330_77
; %bb.76:                               ;   in Loop: Header=BB1330_53 Depth=1
	s_wait_dscnt 0x0
	v_bcnt_u32_b32 v115, v115, v161
	ds_store_b32 v128, v115
.LBB1330_77:                            ;   in Loop: Header=BB1330_53 Depth=1
	s_wait_alu 0xfffe
	s_or_b32 exec_lo, exec_lo, s14
	v_cmp_ne_u32_e64 s14, 0x80000000, v41
	; wave barrier
	s_wait_alu 0xf1ff
	s_delay_alu instid0(VALU_DEP_1) | instskip(NEXT) | instid1(VALU_DEP_1)
	v_cndmask_b32_e64 v115, 0x7fffffff, v41, s14
	v_lshrrev_b32_e32 v115, v10, v115
	s_delay_alu instid0(VALU_DEP_1) | instskip(NEXT) | instid1(VALU_DEP_1)
	v_and_b32_e32 v115, v115, v68
	v_and_b32_e32 v117, 1, v115
	v_lshlrev_b32_e32 v129, 30, v115
	v_lshlrev_b32_e32 v130, 29, v115
	;; [unrolled: 1-line block ×4, first 2 shown]
	v_add_co_u32 v117, s14, v117, -1
	s_wait_alu 0xf1ff
	v_cndmask_b32_e64 v132, 0, 1, s14
	v_not_b32_e32 v144, v129
	v_cmp_gt_i32_e64 s15, 0, v129
	v_not_b32_e32 v129, v130
	v_lshlrev_b32_e32 v134, 26, v115
	v_cmp_ne_u32_e64 s14, 0, v132
	v_ashrrev_i32_e32 v144, 31, v144
	v_lshlrev_b32_e32 v135, 25, v115
	v_ashrrev_i32_e32 v129, 31, v129
	v_lshlrev_b32_e32 v132, 24, v115
	s_wait_alu 0xf1ff
	v_xor_b32_e32 v117, s14, v117
	v_cmp_gt_i32_e64 s14, 0, v130
	v_not_b32_e32 v130, v131
	v_xor_b32_e32 v144, s15, v144
	v_cmp_gt_i32_e64 s15, 0, v131
	v_and_b32_e32 v117, exec_lo, v117
	v_not_b32_e32 v131, v133
	v_ashrrev_i32_e32 v130, 31, v130
	s_wait_alu 0xf1ff
	v_xor_b32_e32 v129, s14, v129
	v_cmp_gt_i32_e64 s14, 0, v133
	v_and_b32_e32 v117, v117, v144
	v_not_b32_e32 v133, v134
	v_ashrrev_i32_e32 v131, 31, v131
	v_xor_b32_e32 v130, s15, v130
	v_cmp_gt_i32_e64 s15, 0, v134
	v_and_b32_e32 v117, v117, v129
	v_not_b32_e32 v129, v135
	v_ashrrev_i32_e32 v133, 31, v133
	s_wait_alu 0xf1ff
	v_xor_b32_e32 v131, s14, v131
	v_cmp_gt_i32_e64 s14, 0, v135
	v_and_b32_e32 v117, v117, v130
	v_not_b32_e32 v130, v132
	v_ashrrev_i32_e32 v129, 31, v129
	v_xor_b32_e32 v133, s15, v133
	v_lshl_add_u32 v115, v115, 3, v196
	v_and_b32_e32 v117, v117, v131
	v_cmp_gt_i32_e64 s15, 0, v132
	v_ashrrev_i32_e32 v130, 31, v130
	s_wait_alu 0xf1ff
	v_xor_b32_e32 v129, s14, v129
	v_lshl_add_u32 v131, v115, 2, v12
	v_and_b32_e32 v117, v117, v133
	v_xor_b32_e32 v115, s15, v130
	ds_load_b32 v164, v131 offset:32
	v_and_b32_e32 v117, v117, v129
	v_add_nc_u32_e32 v130, 32, v131
	; wave barrier
	s_delay_alu instid0(VALU_DEP_2) | instskip(NEXT) | instid1(VALU_DEP_1)
	v_and_b32_e32 v115, v117, v115
	v_mbcnt_lo_u32_b32 v176, v115, 0
	v_cmp_ne_u32_e64 s15, 0, v115
	s_delay_alu instid0(VALU_DEP_2)
	v_cmp_eq_u32_e64 s14, 0, v176
	s_and_b32 s15, s15, s14
	s_wait_alu 0xfffe
	s_and_saveexec_b32 s14, s15
	s_cbranch_execz .LBB1330_79
; %bb.78:                               ;   in Loop: Header=BB1330_53 Depth=1
	s_wait_dscnt 0x0
	v_bcnt_u32_b32 v115, v115, v164
	ds_store_b32 v130, v115
.LBB1330_79:                            ;   in Loop: Header=BB1330_53 Depth=1
	s_wait_alu 0xfffe
	s_or_b32 exec_lo, exec_lo, s14
	v_cmp_ne_u32_e64 s14, 0x80000000, v42
	; wave barrier
	s_wait_alu 0xf1ff
	s_delay_alu instid0(VALU_DEP_1) | instskip(NEXT) | instid1(VALU_DEP_1)
	v_cndmask_b32_e64 v115, 0x7fffffff, v42, s14
	v_lshrrev_b32_e32 v115, v10, v115
	s_delay_alu instid0(VALU_DEP_1) | instskip(NEXT) | instid1(VALU_DEP_1)
	v_and_b32_e32 v115, v115, v68
	v_and_b32_e32 v117, 1, v115
	v_lshlrev_b32_e32 v129, 30, v115
	v_lshlrev_b32_e32 v131, 29, v115
	;; [unrolled: 1-line block ×4, first 2 shown]
	v_add_co_u32 v117, s14, v117, -1
	s_wait_alu 0xf1ff
	v_cndmask_b32_e64 v133, 0, 1, s14
	v_not_b32_e32 v145, v129
	v_cmp_gt_i32_e64 s15, 0, v129
	v_not_b32_e32 v129, v131
	v_lshlrev_b32_e32 v135, 26, v115
	v_cmp_ne_u32_e64 s14, 0, v133
	v_ashrrev_i32_e32 v145, 31, v145
	v_lshlrev_b32_e32 v144, 25, v115
	v_ashrrev_i32_e32 v129, 31, v129
	v_lshlrev_b32_e32 v133, 24, v115
	s_wait_alu 0xf1ff
	v_xor_b32_e32 v117, s14, v117
	v_cmp_gt_i32_e64 s14, 0, v131
	v_not_b32_e32 v131, v132
	v_xor_b32_e32 v145, s15, v145
	v_cmp_gt_i32_e64 s15, 0, v132
	v_and_b32_e32 v117, exec_lo, v117
	v_not_b32_e32 v132, v134
	v_ashrrev_i32_e32 v131, 31, v131
	s_wait_alu 0xf1ff
	v_xor_b32_e32 v129, s14, v129
	v_cmp_gt_i32_e64 s14, 0, v134
	v_and_b32_e32 v117, v117, v145
	v_not_b32_e32 v134, v135
	v_ashrrev_i32_e32 v132, 31, v132
	v_xor_b32_e32 v131, s15, v131
	v_cmp_gt_i32_e64 s15, 0, v135
	v_and_b32_e32 v117, v117, v129
	v_not_b32_e32 v129, v144
	v_ashrrev_i32_e32 v134, 31, v134
	s_wait_alu 0xf1ff
	v_xor_b32_e32 v132, s14, v132
	v_cmp_gt_i32_e64 s14, 0, v144
	v_and_b32_e32 v117, v117, v131
	v_not_b32_e32 v131, v133
	v_ashrrev_i32_e32 v129, 31, v129
	v_xor_b32_e32 v134, s15, v134
	v_lshl_add_u32 v115, v115, 3, v196
	v_and_b32_e32 v117, v117, v132
	v_cmp_gt_i32_e64 s15, 0, v133
	v_ashrrev_i32_e32 v131, 31, v131
	s_wait_alu 0xf1ff
	v_xor_b32_e32 v129, s14, v129
	v_lshl_add_u32 v132, v115, 2, v12
	v_and_b32_e32 v117, v117, v134
	v_xor_b32_e32 v115, s15, v131
	ds_load_b32 v177, v132 offset:32
	v_and_b32_e32 v117, v117, v129
	v_add_nc_u32_e32 v132, 32, v132
	; wave barrier
	s_delay_alu instid0(VALU_DEP_2) | instskip(NEXT) | instid1(VALU_DEP_1)
	v_and_b32_e32 v115, v117, v115
	v_mbcnt_lo_u32_b32 v178, v115, 0
	v_cmp_ne_u32_e64 s15, 0, v115
	s_delay_alu instid0(VALU_DEP_2)
	v_cmp_eq_u32_e64 s14, 0, v178
	s_and_b32 s15, s15, s14
	s_wait_alu 0xfffe
	s_and_saveexec_b32 s14, s15
	s_cbranch_execz .LBB1330_81
; %bb.80:                               ;   in Loop: Header=BB1330_53 Depth=1
	s_wait_dscnt 0x0
	v_bcnt_u32_b32 v115, v115, v177
	ds_store_b32 v132, v115
.LBB1330_81:                            ;   in Loop: Header=BB1330_53 Depth=1
	s_wait_alu 0xfffe
	s_or_b32 exec_lo, exec_lo, s14
	v_cmp_ne_u32_e64 s14, 0x80000000, v43
	; wave barrier
	s_wait_alu 0xf1ff
	s_delay_alu instid0(VALU_DEP_1) | instskip(NEXT) | instid1(VALU_DEP_1)
	v_cndmask_b32_e64 v115, 0x7fffffff, v43, s14
	v_lshrrev_b32_e32 v115, v10, v115
	s_delay_alu instid0(VALU_DEP_1) | instskip(NEXT) | instid1(VALU_DEP_1)
	v_and_b32_e32 v115, v115, v68
	v_and_b32_e32 v117, 1, v115
	v_lshlrev_b32_e32 v129, 30, v115
	v_lshlrev_b32_e32 v131, 29, v115
	;; [unrolled: 1-line block ×4, first 2 shown]
	v_add_co_u32 v117, s14, v117, -1
	s_wait_alu 0xf1ff
	v_cndmask_b32_e64 v134, 0, 1, s14
	v_not_b32_e32 v146, v129
	v_cmp_gt_i32_e64 s15, 0, v129
	v_not_b32_e32 v129, v131
	v_lshlrev_b32_e32 v144, 26, v115
	v_cmp_ne_u32_e64 s14, 0, v134
	v_ashrrev_i32_e32 v146, 31, v146
	v_lshlrev_b32_e32 v145, 25, v115
	v_ashrrev_i32_e32 v129, 31, v129
	v_lshlrev_b32_e32 v134, 24, v115
	s_wait_alu 0xf1ff
	v_xor_b32_e32 v117, s14, v117
	v_cmp_gt_i32_e64 s14, 0, v131
	v_not_b32_e32 v131, v133
	v_xor_b32_e32 v146, s15, v146
	v_cmp_gt_i32_e64 s15, 0, v133
	v_and_b32_e32 v117, exec_lo, v117
	v_not_b32_e32 v133, v135
	v_ashrrev_i32_e32 v131, 31, v131
	s_wait_alu 0xf1ff
	v_xor_b32_e32 v129, s14, v129
	v_cmp_gt_i32_e64 s14, 0, v135
	v_and_b32_e32 v117, v117, v146
	v_not_b32_e32 v135, v144
	v_ashrrev_i32_e32 v133, 31, v133
	v_xor_b32_e32 v131, s15, v131
	v_cmp_gt_i32_e64 s15, 0, v144
	v_and_b32_e32 v117, v117, v129
	v_not_b32_e32 v129, v145
	v_ashrrev_i32_e32 v135, 31, v135
	s_wait_alu 0xf1ff
	v_xor_b32_e32 v133, s14, v133
	v_cmp_gt_i32_e64 s14, 0, v145
	v_and_b32_e32 v117, v117, v131
	v_not_b32_e32 v131, v134
	v_ashrrev_i32_e32 v129, 31, v129
	v_xor_b32_e32 v135, s15, v135
	v_lshl_add_u32 v115, v115, 3, v196
	v_and_b32_e32 v117, v117, v133
	v_cmp_gt_i32_e64 s15, 0, v134
	v_ashrrev_i32_e32 v131, 31, v131
	s_wait_alu 0xf1ff
	v_xor_b32_e32 v129, s14, v129
	v_lshl_add_u32 v133, v115, 2, v12
	v_and_b32_e32 v117, v117, v135
	v_xor_b32_e32 v115, s15, v131
	ds_load_b32 v179, v133 offset:32
	v_and_b32_e32 v117, v117, v129
	v_add_nc_u32_e32 v134, 32, v133
	; wave barrier
	s_delay_alu instid0(VALU_DEP_2) | instskip(NEXT) | instid1(VALU_DEP_1)
	v_and_b32_e32 v115, v117, v115
	v_mbcnt_lo_u32_b32 v181, v115, 0
	v_cmp_ne_u32_e64 s15, 0, v115
	s_delay_alu instid0(VALU_DEP_2)
	v_cmp_eq_u32_e64 s14, 0, v181
	s_and_b32 s15, s15, s14
	s_wait_alu 0xfffe
	s_and_saveexec_b32 s14, s15
	s_cbranch_execz .LBB1330_83
; %bb.82:                               ;   in Loop: Header=BB1330_53 Depth=1
	s_wait_dscnt 0x0
	v_bcnt_u32_b32 v115, v115, v179
	ds_store_b32 v134, v115
.LBB1330_83:                            ;   in Loop: Header=BB1330_53 Depth=1
	s_wait_alu 0xfffe
	s_or_b32 exec_lo, exec_lo, s14
	v_cmp_ne_u32_e64 s14, 0x80000000, v44
	; wave barrier
	s_wait_alu 0xf1ff
	s_delay_alu instid0(VALU_DEP_1) | instskip(NEXT) | instid1(VALU_DEP_1)
	v_cndmask_b32_e64 v115, 0x7fffffff, v44, s14
	v_lshrrev_b32_e32 v115, v10, v115
	s_delay_alu instid0(VALU_DEP_1) | instskip(NEXT) | instid1(VALU_DEP_1)
	v_and_b32_e32 v68, v115, v68
	v_and_b32_e32 v115, 1, v68
	v_lshlrev_b32_e32 v117, 30, v68
	v_lshlrev_b32_e32 v129, 29, v68
	;; [unrolled: 1-line block ×4, first 2 shown]
	v_add_co_u32 v115, s14, v115, -1
	s_wait_alu 0xf1ff
	v_cndmask_b32_e64 v133, 0, 1, s14
	v_not_b32_e32 v146, v117
	v_cmp_gt_i32_e64 s15, 0, v117
	v_not_b32_e32 v117, v129
	v_lshlrev_b32_e32 v144, 26, v68
	v_cmp_ne_u32_e64 s14, 0, v133
	v_ashrrev_i32_e32 v146, 31, v146
	v_lshlrev_b32_e32 v145, 25, v68
	v_ashrrev_i32_e32 v117, 31, v117
	v_lshlrev_b32_e32 v133, 24, v68
	s_wait_alu 0xf1ff
	v_xor_b32_e32 v115, s14, v115
	v_cmp_gt_i32_e64 s14, 0, v129
	v_not_b32_e32 v129, v131
	v_xor_b32_e32 v146, s15, v146
	v_cmp_gt_i32_e64 s15, 0, v131
	v_and_b32_e32 v115, exec_lo, v115
	v_not_b32_e32 v131, v135
	v_ashrrev_i32_e32 v129, 31, v129
	s_wait_alu 0xf1ff
	v_xor_b32_e32 v117, s14, v117
	v_cmp_gt_i32_e64 s14, 0, v135
	v_and_b32_e32 v115, v115, v146
	v_not_b32_e32 v135, v144
	v_ashrrev_i32_e32 v131, 31, v131
	v_xor_b32_e32 v129, s15, v129
	v_cmp_gt_i32_e64 s15, 0, v144
	v_and_b32_e32 v115, v115, v117
	v_not_b32_e32 v117, v145
	v_ashrrev_i32_e32 v135, 31, v135
	s_wait_alu 0xf1ff
	v_xor_b32_e32 v131, s14, v131
	v_cmp_gt_i32_e64 s14, 0, v145
	v_and_b32_e32 v115, v115, v129
	v_not_b32_e32 v129, v133
	v_ashrrev_i32_e32 v117, 31, v117
	v_xor_b32_e32 v135, s15, v135
	v_lshl_add_u32 v68, v68, 3, v196
	v_and_b32_e32 v115, v115, v131
	v_cmp_gt_i32_e64 s15, 0, v133
	v_ashrrev_i32_e32 v129, 31, v129
	s_wait_alu 0xf1ff
	v_xor_b32_e32 v117, s14, v117
	v_lshl_add_u32 v131, v68, 2, v12
	v_and_b32_e32 v115, v115, v135
	v_xor_b32_e32 v129, s15, v129
	ds_load_b32 v68, v131 offset:32
	v_and_b32_e32 v115, v115, v117
	v_add_nc_u32_e32 v144, 32, v131
	; wave barrier
	s_delay_alu instid0(VALU_DEP_2) | instskip(NEXT) | instid1(VALU_DEP_1)
	v_and_b32_e32 v115, v115, v129
	v_mbcnt_lo_u32_b32 v45, v115, 0
	v_cmp_ne_u32_e64 s15, 0, v115
	s_delay_alu instid0(VALU_DEP_2)
	v_cmp_eq_u32_e64 s14, 0, v45
	s_and_b32 s15, s15, s14
	s_wait_alu 0xfffe
	s_and_saveexec_b32 s14, s15
	s_cbranch_execz .LBB1330_85
; %bb.84:                               ;   in Loop: Header=BB1330_53 Depth=1
	s_wait_dscnt 0x0
	v_bcnt_u32_b32 v115, v115, v68
	ds_store_b32 v144, v115
.LBB1330_85:                            ;   in Loop: Header=BB1330_53 Depth=1
	s_wait_alu 0xfffe
	s_or_b32 exec_lo, exec_lo, s14
	; wave barrier
	s_wait_loadcnt_dscnt 0x0
	s_barrier_signal -1
	s_barrier_wait -1
	global_inv scope:SCOPE_SE
	ds_load_b32 v117, v49
	ds_load_b32 v129, v151
	;; [unrolled: 1-line block ×8, first 2 shown]
	s_wait_dscnt 0x6
	v_add_nc_u32_e32 v145, v129, v117
	s_wait_dscnt 0x4
	s_delay_alu instid0(VALU_DEP_1) | instskip(SKIP_1) | instid1(VALU_DEP_1)
	v_add3_u32 v145, v145, v131, v115
	s_wait_dscnt 0x2
	v_add3_u32 v145, v145, v133, v149
	s_wait_dscnt 0x0
	s_delay_alu instid0(VALU_DEP_1) | instskip(NEXT) | instid1(VALU_DEP_1)
	v_add3_u32 v135, v145, v146, v135
	v_mov_b32_dpp v145, v135 row_shr:1 row_mask:0xf bank_mask:0xf
	s_wait_alu 0xfffd
	s_delay_alu instid0(VALU_DEP_1) | instskip(NEXT) | instid1(VALU_DEP_1)
	v_cndmask_b32_e64 v145, v145, 0, vcc_lo
	v_add_nc_u32_e32 v135, v145, v135
	s_delay_alu instid0(VALU_DEP_1) | instskip(NEXT) | instid1(VALU_DEP_1)
	v_mov_b32_dpp v145, v135 row_shr:2 row_mask:0xf bank_mask:0xf
	v_cndmask_b32_e64 v145, 0, v145, s0
	s_delay_alu instid0(VALU_DEP_1) | instskip(NEXT) | instid1(VALU_DEP_1)
	v_add_nc_u32_e32 v135, v135, v145
	v_mov_b32_dpp v145, v135 row_shr:4 row_mask:0xf bank_mask:0xf
	s_delay_alu instid0(VALU_DEP_1) | instskip(NEXT) | instid1(VALU_DEP_1)
	v_cndmask_b32_e64 v145, 0, v145, s1
	v_add_nc_u32_e32 v135, v135, v145
	s_delay_alu instid0(VALU_DEP_1) | instskip(NEXT) | instid1(VALU_DEP_1)
	v_mov_b32_dpp v145, v135 row_shr:8 row_mask:0xf bank_mask:0xf
	v_cndmask_b32_e64 v145, 0, v145, s2
	s_delay_alu instid0(VALU_DEP_1) | instskip(SKIP_3) | instid1(VALU_DEP_1)
	v_add_nc_u32_e32 v135, v135, v145
	ds_swizzle_b32 v145, v135 offset:swizzle(BROADCAST,32,15)
	s_wait_dscnt 0x0
	v_cndmask_b32_e64 v145, v145, 0, s4
	v_add_nc_u32_e32 v135, v135, v145
	s_and_saveexec_b32 s14, s5
; %bb.86:                               ;   in Loop: Header=BB1330_53 Depth=1
	ds_store_b32 v208, v135
; %bb.87:                               ;   in Loop: Header=BB1330_53 Depth=1
	s_wait_alu 0xfffe
	s_or_b32 exec_lo, exec_lo, s14
	s_wait_loadcnt_dscnt 0x0
	s_barrier_signal -1
	s_barrier_wait -1
	global_inv scope:SCOPE_SE
	s_and_saveexec_b32 s14, s6
	s_cbranch_execz .LBB1330_89
; %bb.88:                               ;   in Loop: Header=BB1330_53 Depth=1
	ds_load_b32 v145, v197
	s_wait_dscnt 0x0
	v_mov_b32_dpp v147, v145 row_shr:1 row_mask:0xf bank_mask:0xf
	s_delay_alu instid0(VALU_DEP_1) | instskip(NEXT) | instid1(VALU_DEP_1)
	v_cndmask_b32_e64 v147, v147, 0, s11
	v_add_nc_u32_e32 v145, v147, v145
	s_delay_alu instid0(VALU_DEP_1) | instskip(NEXT) | instid1(VALU_DEP_1)
	v_mov_b32_dpp v147, v145 row_shr:2 row_mask:0xf bank_mask:0xf
	v_cndmask_b32_e64 v147, 0, v147, s12
	s_delay_alu instid0(VALU_DEP_1) | instskip(NEXT) | instid1(VALU_DEP_1)
	v_add_nc_u32_e32 v145, v145, v147
	v_mov_b32_dpp v147, v145 row_shr:4 row_mask:0xf bank_mask:0xf
	s_delay_alu instid0(VALU_DEP_1) | instskip(NEXT) | instid1(VALU_DEP_1)
	v_cndmask_b32_e64 v147, 0, v147, s13
	v_add_nc_u32_e32 v145, v145, v147
	ds_store_b32 v197, v145
.LBB1330_89:                            ;   in Loop: Header=BB1330_53 Depth=1
	s_wait_alu 0xfffe
	s_or_b32 exec_lo, exec_lo, s14
	v_mov_b32_e32 v145, 0
	s_wait_loadcnt_dscnt 0x0
	s_barrier_signal -1
	s_barrier_wait -1
	global_inv scope:SCOPE_SE
	s_and_saveexec_b32 s14, s7
; %bb.90:                               ;   in Loop: Header=BB1330_53 Depth=1
	v_add_nc_u32_e32 v145, -4, v208
	ds_load_b32 v145, v145
; %bb.91:                               ;   in Loop: Header=BB1330_53 Depth=1
	s_wait_alu 0xfffe
	s_or_b32 exec_lo, exec_lo, s14
	s_wait_dscnt 0x0
	v_add_nc_u32_e32 v135, v145, v135
	v_dual_mov_b32 v147, v5 :: v_dual_add_nc_u32 v10, 8, v10
	s_mov_b32 s20, -1
	ds_bpermute_b32 v135, v198, v135
	s_wait_dscnt 0x0
	v_cndmask_b32_e64 v135, v135, v145, s3
	s_delay_alu instid0(VALU_DEP_1) | instskip(SKIP_1) | instid1(VALU_DEP_2)
	v_cndmask_b32_e64 v163, v135, 0, s10
	v_mov_b32_e32 v135, v5
	v_add_nc_u32_e32 v165, v163, v117
	v_mov_b32_e32 v117, v5
	s_delay_alu instid0(VALU_DEP_2)
	v_add_nc_u32_e32 v166, v165, v129
	ds_store_b32 v49, v163
	ds_store_b32 v151, v165
	;; [unrolled: 1-line block ×3, first 2 shown]
	v_mov_b32_e32 v165, v5
	v_add_nc_u32_e32 v167, v166, v131
	s_delay_alu instid0(VALU_DEP_1) | instskip(SKIP_3) | instid1(VALU_DEP_4)
	v_dual_mov_b32 v163, v5 :: v_dual_add_nc_u32 v180, v167, v115
	v_mov_b32_e32 v129, v5
	v_mov_b32_e32 v115, v5
	v_cmp_lt_u32_e64 s14, v10, v11
	v_dual_mov_b32 v133, v5 :: v_dual_add_nc_u32 v46, v180, v133
	s_delay_alu instid0(VALU_DEP_1) | instskip(SKIP_1) | instid1(VALU_DEP_2)
	v_add_nc_u32_e32 v47, v46, v149
	v_mov_b32_e32 v131, v5
	v_dual_mov_b32 v149, v5 :: v_dual_add_nc_u32 v146, v47, v146
	ds_store_b32 v183, v167
	ds_store_b32 v192, v180
	;; [unrolled: 1-line block ×5, first 2 shown]
	s_wait_loadcnt_dscnt 0x0
	s_barrier_signal -1
	s_barrier_wait -1
	global_inv scope:SCOPE_SE
	ds_load_b32 v64, v64
	ds_load_b32 v67, v67
	ds_load_b32 v71, v71
	ds_load_b32 v82, v82
	ds_load_b32 v85, v85
	ds_load_b32 v96, v96
	ds_load_b32 v99, v99
	ds_load_b32 v102, v102
	ds_load_b32 v113, v113
	ds_load_b32 v166, v114
	ds_load_b32 v180, v116
	ds_load_b32 v46, v128
	ds_load_b32 v47, v130
	ds_load_b32 v56, v132
	ds_load_b32 v57, v134
	ds_load_b32 v58, v144
	v_mov_b32_e32 v145, v5
	v_mov_b32_e32 v167, v5
	s_wait_loadcnt_dscnt 0x0
	v_add_nc_u32_e32 v4, v64, v4
	v_add3_u32 v114, v66, v65, v67
	v_add3_u32 v116, v70, v69, v71
	;; [unrolled: 1-line block ×4, first 2 shown]
	v_lshlrev_b64_e32 v[64:65], 2, v[4:5]
	v_lshlrev_b64_e32 v[65:66], 2, v[114:115]
	v_add3_u32 v134, v101, v100, v102
	v_add3_u32 v146, v112, v103, v113
	v_lshlrev_b64_e32 v[66:67], 2, v[116:117]
	v_add3_u32 v148, v148, v118, v166
	v_add3_u32 v166, v160, v150, v180
	;; [unrolled: 1-line block ×6, first 2 shown]
	v_lshlrev_b64_e32 v[67:68], 2, v[128:129]
	v_mov_b32_e32 v181, v5
	v_add3_u32 v144, v87, v86, v96
	v_lshlrev_b64_e32 v[68:69], 2, v[130:131]
	v_mov_b32_e32 v179, v5
	v_add3_u32 v132, v98, v97, v99
	v_add3_u32 v162, v162, v161, v46
	v_mov_b32_e32 v177, v5
	v_lshlrev_b64_e32 v[80:81], 2, v[134:135]
	v_lshlrev_b64_e32 v[81:82], 2, v[146:147]
	v_add_co_u32 v79, null, v12, v64
	v_add_co_u32 v78, null, v12, v65
	v_lshlrev_b64_e32 v[64:65], 2, v[164:165]
	v_lshlrev_b64_e32 v[82:83], 2, v[148:149]
	v_add_co_u32 v77, null, v12, v66
	v_lshlrev_b64_e32 v[65:66], 2, v[180:181]
	v_lshlrev_b64_e32 v[69:70], 2, v[144:145]
	v_lshlrev_b64_e32 v[83:84], 2, v[166:167]
	v_add_co_u32 v76, null, v12, v67
	v_lshlrev_b64_e32 v[66:67], 2, v[178:179]
	;; [unrolled: 4-line block ×3, first 2 shown]
	v_add_co_u32 v74, null, v12, v69
	v_add_co_u32 v61, null, v12, v70
	;; [unrolled: 1-line block ×11, first 2 shown]
                                        ; implicit-def: $vgpr64_vgpr65
                                        ; implicit-def: $vgpr70_vgpr71
                                        ; implicit-def: $vgpr66_vgpr67
                                        ; implicit-def: $vgpr68_vgpr69
                                        ; implicit-def: $vgpr82_vgpr83
                                        ; implicit-def: $vgpr80_vgpr81
                                        ; implicit-def: $vgpr84_vgpr85
                                        ; implicit-def: $vgpr86_vgpr87
                                        ; implicit-def: $vgpr96_vgpr97
                                        ; implicit-def: $vgpr98_vgpr99
                                        ; implicit-def: $vgpr100_vgpr101
                                        ; implicit-def: $vgpr102_vgpr103
                                        ; implicit-def: $vgpr112_vgpr113
                                        ; implicit-def: $vgpr117_vgpr118
                                        ; implicit-def: $vgpr149_vgpr150
                                        ; implicit-def: $vgpr160_vgpr161
                                        ; implicit-def: $vgpr45
                                        ; implicit-def: $vgpr115
                                        ; implicit-def: $vgpr129
                                        ; implicit-def: $vgpr147
                                        ; implicit-def: $vgpr145
                                        ; implicit-def: $vgpr131
                                        ; implicit-def: $vgpr167
                                        ; implicit-def: $vgpr177
                                        ; implicit-def: $vgpr47
                                        ; implicit-def: $vgpr46
                                        ; implicit-def: $vgpr179
                                        ; implicit-def: $vgpr181
                                        ; implicit-def: $vgpr163
                                        ; implicit-def: $vgpr165
                                        ; implicit-def: $vgpr135
                                        ; implicit-def: $vgpr133
	s_and_saveexec_b32 s15, s14
	s_cbranch_execz .LBB1330_52
; %bb.92:                               ;   in Loop: Header=BB1330_53 Depth=1
	v_add_nc_u32_e32 v64, 0x80, v199
	v_add_nc_u32_e32 v65, 0x100, v199
	;; [unrolled: 1-line block ×5, first 2 shown]
	s_barrier_signal -1
	s_barrier_wait -1
	global_inv scope:SCOPE_SE
	ds_store_b32 v79, v229
	ds_store_b32 v78, v240
	;; [unrolled: 1-line block ×16, first 2 shown]
	s_wait_loadcnt_dscnt 0x0
	s_barrier_signal -1
	s_barrier_wait -1
	global_inv scope:SCOPE_SE
	ds_load_b32 v45, v199
	ds_load_b32 v115, v64
	;; [unrolled: 1-line block ×6, first 2 shown]
	v_add_nc_u32_e32 v64, 0x300, v199
	v_add_nc_u32_e32 v65, 0x380, v199
	;; [unrolled: 1-line block ×5, first 2 shown]
	ds_load_b32 v167, v64
	ds_load_b32 v177, v65
	;; [unrolled: 1-line block ×5, first 2 shown]
	v_add_nc_u32_e32 v64, 0x580, v199
	v_add_nc_u32_e32 v65, 0x600, v199
	;; [unrolled: 1-line block ×5, first 2 shown]
	ds_load_b32 v181, v64
	ds_load_b32 v163, v65
	;; [unrolled: 1-line block ×5, first 2 shown]
	v_lshl_add_u32 v64, v4, 2, v79
	s_wait_loadcnt_dscnt 0x0
	s_barrier_signal -1
	s_barrier_wait -1
	global_inv scope:SCOPE_SE
	ds_store_b64 v64, v[13:14]
	v_lshl_add_u32 v64, v114, 2, v78
	v_lshl_add_u32 v65, v116, 2, v77
	v_lshl_add_u32 v66, v128, 2, v76
	v_lshl_add_u32 v67, v130, 2, v75
	v_lshl_add_u32 v68, v144, 2, v74
	ds_store_b64 v64, v[8:9]
	ds_store_b64 v65, v[19:20]
	ds_store_b64 v66, v[17:18]
	ds_store_b64 v67, v[15:16]
	ds_store_b64 v68, v[54:55]
	v_lshl_add_u32 v64, v132, 2, v61
	v_lshl_add_u32 v65, v134, 2, v59
	v_lshl_add_u32 v66, v146, 2, v58
	v_lshl_add_u32 v67, v148, 2, v57
	v_lshl_add_u32 v68, v166, 2, v56
	ds_store_b64 v64, v[34:35]
	ds_store_b64 v65, v[32:33]
	ds_store_b64 v66, v[52:53]
	ds_store_b64 v67, v[38:39]
	;; [unrolled: 10-line block ×3, first 2 shown]
	ds_store_b64 v68, v[24:25]
	v_add_nc_u32_e32 v66, 0x100, v209
	v_add_nc_u32_e32 v67, 0x200, v209
	;; [unrolled: 1-line block ×5, first 2 shown]
	s_wait_loadcnt_dscnt 0x0
	s_barrier_signal -1
	s_barrier_wait -1
	global_inv scope:SCOPE_SE
	ds_load_b64 v[64:65], v209
	ds_load_b64 v[70:71], v66
	;; [unrolled: 1-line block ×16, first 2 shown]
	v_add_nc_u32_e32 v228, -8, v228
	s_xor_b32 s20, exec_lo, -1
	s_wait_loadcnt_dscnt 0x0
	s_barrier_signal -1
	s_barrier_wait -1
	global_inv scope:SCOPE_SE
	s_branch .LBB1330_52
.LBB1330_93:
	s_or_b32 exec_lo, exec_lo, s17
	v_lshl_add_u32 v4, v4, 2, v79
	s_barrier_signal -1
	s_barrier_wait -1
	s_wait_loadcnt 0x0
	global_inv scope:SCOPE_SE
	ds_store_b32 v79, v229
	ds_store_b32 v78, v240
	;; [unrolled: 1-line block ×16, first 2 shown]
	s_wait_loadcnt_dscnt 0x0
	s_barrier_signal -1
	s_barrier_wait -1
	global_inv scope:SCOPE_SE
	ds_load_2addr_stride64_b32 v[86:87], v197 offset1:4
	ds_load_2addr_stride64_b32 v[84:85], v197 offset0:8 offset1:12
	ds_load_2addr_stride64_b32 v[82:83], v197 offset0:16 offset1:20
	;; [unrolled: 1-line block ×7, first 2 shown]
	s_wait_loadcnt_dscnt 0x0
	s_barrier_signal -1
	s_barrier_wait -1
	global_inv scope:SCOPE_SE
	ds_store_b64 v4, v[13:14]
	v_lshl_add_u32 v4, v114, 2, v78
	v_lshl_add_u32 v5, v116, 2, v77
	v_lshl_add_u32 v10, v128, 2, v76
	v_lshl_add_u32 v11, v130, 2, v75
	v_lshl_add_u32 v13, v144, 2, v74
	ds_store_b64 v4, v[8:9]
	ds_store_b64 v5, v[19:20]
	ds_store_b64 v10, v[17:18]
	ds_store_b64 v11, v[15:16]
	ds_store_b64 v13, v[54:55]
	v_lshl_add_u32 v4, v132, 2, v61
	v_lshl_add_u32 v5, v134, 2, v59
	v_lshl_add_u32 v8, v146, 2, v58
	v_lshl_add_u32 v9, v148, 2, v57
	v_lshl_add_u32 v10, v166, 2, v56
	ds_store_b64 v4, v[34:35]
	ds_store_b64 v5, v[32:33]
	ds_store_b64 v8, v[52:53]
	ds_store_b64 v9, v[38:39]
	;; [unrolled: 10-line block ×3, first 2 shown]
	ds_store_b64 v10, v[24:25]
	v_lshl_add_u32 v4, v21, 3, v12
	s_wait_loadcnt_dscnt 0x0
	s_barrier_signal -1
	s_barrier_wait -1
	global_inv scope:SCOPE_SE
	ds_load_2addr_stride64_b64 v[36:39], v4 offset1:4
	ds_load_2addr_stride64_b64 v[32:35], v4 offset0:8 offset1:12
	ds_load_2addr_stride64_b64 v[28:31], v4 offset0:16 offset1:20
	;; [unrolled: 1-line block ×7, first 2 shown]
	v_mov_b32_e32 v49, 0
	v_add_co_u32 v2, vcc_lo, v2, v50
	s_wait_alu 0xfffd
	v_add_co_ci_u32_e64 v3, null, v3, v51, vcc_lo
	s_delay_alu instid0(VALU_DEP_3)
	v_lshlrev_b64_e32 v[4:5], 2, v[48:49]
	s_wait_loadcnt_dscnt 0x0
	s_barrier_signal -1
	s_barrier_wait -1
	global_inv scope:SCOPE_SE
	v_add_co_u32 v2, vcc_lo, v2, v4
	s_wait_alu 0xfffd
	v_add_co_ci_u32_e64 v3, null, v3, v5, vcc_lo
	v_cmp_lt_u32_e32 vcc_lo, v48, v119
	s_and_saveexec_b32 s1, vcc_lo
	s_cbranch_execz .LBB1330_95
; %bb.94:
	v_cmp_gt_i32_e64 s0, 0, v86
	s_wait_alu 0xf1ff
	s_delay_alu instid0(VALU_DEP_1) | instskip(NEXT) | instid1(VALU_DEP_1)
	v_cndmask_b32_e64 v4, 0x7fffffff, 0, s0
	v_xor_b32_e32 v4, v4, v86
	flat_store_b32 v[2:3], v4
.LBB1330_95:
	s_wait_alu 0xfffe
	s_or_b32 exec_lo, exec_lo, s1
	v_add_nc_u32_e32 v4, 0x100, v48
	s_delay_alu instid0(VALU_DEP_1)
	v_cmp_lt_u32_e64 s0, v4, v119
	s_and_saveexec_b32 s2, s0
	s_cbranch_execz .LBB1330_97
; %bb.96:
	v_cmp_gt_i32_e64 s1, 0, v87
	s_wait_alu 0xf1ff
	s_delay_alu instid0(VALU_DEP_1) | instskip(NEXT) | instid1(VALU_DEP_1)
	v_cndmask_b32_e64 v4, 0x7fffffff, 0, s1
	v_xor_b32_e32 v4, v4, v87
	flat_store_b32 v[2:3], v4 offset:1024
.LBB1330_97:
	s_wait_alu 0xfffe
	s_or_b32 exec_lo, exec_lo, s2
	v_add_nc_u32_e32 v4, 0x200, v48
	s_delay_alu instid0(VALU_DEP_1)
	v_cmp_lt_u32_e64 s1, v4, v119
	s_and_saveexec_b32 s3, s1
	s_cbranch_execz .LBB1330_99
; %bb.98:
	v_cmp_gt_i32_e64 s2, 0, v84
	s_wait_alu 0xf1ff
	s_delay_alu instid0(VALU_DEP_1) | instskip(NEXT) | instid1(VALU_DEP_1)
	v_cndmask_b32_e64 v4, 0x7fffffff, 0, s2
	v_xor_b32_e32 v4, v4, v84
	flat_store_b32 v[2:3], v4 offset:2048
.LBB1330_99:
	;; [unrolled: 15-line block ×15, first 2 shown]
	s_wait_alu 0xfffe
	s_or_b32 exec_lo, exec_lo, s20
	v_lshlrev_b64_e32 v[2:3], 3, v[48:49]
	v_add_co_u32 v0, s17, v6, v0
	s_wait_alu 0xf1ff
	v_add_co_ci_u32_e64 v1, null, v7, v1, s17
	s_delay_alu instid0(VALU_DEP_2) | instskip(SKIP_1) | instid1(VALU_DEP_2)
	v_add_co_u32 v0, s17, v0, v2
	s_wait_alu 0xf1ff
	v_add_co_ci_u32_e64 v1, null, v1, v3, s17
	s_and_saveexec_b32 s17, vcc_lo
	s_cbranch_execnz .LBB1330_211
; %bb.126:
	s_wait_alu 0xfffe
	s_or_b32 exec_lo, exec_lo, s17
	s_and_saveexec_b32 s17, s0
	s_cbranch_execnz .LBB1330_212
.LBB1330_127:
	s_wait_alu 0xfffe
	s_or_b32 exec_lo, exec_lo, s17
	s_and_saveexec_b32 s0, s1
	s_cbranch_execnz .LBB1330_213
.LBB1330_128:
	s_wait_alu 0xfffe
	s_or_b32 exec_lo, exec_lo, s0
	s_and_saveexec_b32 s0, s2
	s_cbranch_execnz .LBB1330_214
.LBB1330_129:
	s_wait_alu 0xfffe
	s_or_b32 exec_lo, exec_lo, s0
	s_and_saveexec_b32 s0, s3
	s_cbranch_execnz .LBB1330_215
.LBB1330_130:
	s_wait_alu 0xfffe
	s_or_b32 exec_lo, exec_lo, s0
	s_and_saveexec_b32 s0, s4
	s_cbranch_execnz .LBB1330_216
.LBB1330_131:
	s_wait_alu 0xfffe
	s_or_b32 exec_lo, exec_lo, s0
	s_and_saveexec_b32 s0, s5
	s_cbranch_execnz .LBB1330_217
.LBB1330_132:
	s_wait_alu 0xfffe
	s_or_b32 exec_lo, exec_lo, s0
	s_and_saveexec_b32 s0, s6
	s_cbranch_execnz .LBB1330_218
.LBB1330_133:
	s_wait_alu 0xfffe
	s_or_b32 exec_lo, exec_lo, s0
	s_and_saveexec_b32 s0, s7
	s_cbranch_execnz .LBB1330_219
.LBB1330_134:
	s_wait_alu 0xfffe
	s_or_b32 exec_lo, exec_lo, s0
	s_and_saveexec_b32 s0, s10
	s_cbranch_execnz .LBB1330_220
.LBB1330_135:
	s_wait_alu 0xfffe
	s_or_b32 exec_lo, exec_lo, s0
	s_and_saveexec_b32 s0, s11
	s_cbranch_execnz .LBB1330_221
.LBB1330_136:
	s_wait_alu 0xfffe
	s_or_b32 exec_lo, exec_lo, s0
	s_and_saveexec_b32 s0, s12
	s_cbranch_execnz .LBB1330_222
.LBB1330_137:
	s_wait_alu 0xfffe
	s_or_b32 exec_lo, exec_lo, s0
	s_and_saveexec_b32 s0, s13
	s_cbranch_execnz .LBB1330_223
.LBB1330_138:
	s_wait_alu 0xfffe
	s_or_b32 exec_lo, exec_lo, s0
	s_and_saveexec_b32 s0, s14
	s_cbranch_execnz .LBB1330_224
.LBB1330_139:
	s_wait_alu 0xfffe
	s_or_b32 exec_lo, exec_lo, s0
	s_and_saveexec_b32 s0, s15
	s_cbranch_execnz .LBB1330_225
.LBB1330_140:
	s_wait_alu 0xfffe
	s_or_b32 exec_lo, exec_lo, s0
	s_and_saveexec_b32 s0, s16
	s_cbranch_execz .LBB1330_142
.LBB1330_141:
	flat_store_b64 v[0:1], v[10:11] offset:30720
.LBB1330_142:
	s_wait_alu 0xfffe
	s_or_b32 exec_lo, exec_lo, s0
                                        ; implicit-def: $vgpr119
                                        ; implicit-def: $vgpr0
                                        ; implicit-def: $vgpr1
                                        ; implicit-def: $vgpr2
                                        ; implicit-def: $vgpr3
                                        ; implicit-def: $vgpr4
                                        ; implicit-def: $vgpr5
                                        ; implicit-def: $vgpr6
                                        ; implicit-def: $vgpr7
                                        ; implicit-def: $vgpr8
                                        ; implicit-def: $vgpr10
                                        ; implicit-def: $vgpr11
                                        ; implicit-def: $vgpr12
                                        ; implicit-def: $vgpr9
                                        ; implicit-def: $vgpr13
                                        ; implicit-def: $vgpr21
                                        ; implicit-def: $vgpr114
.LBB1330_143:
	s_wait_alu 0xfffe
	s_and_not1_saveexec_b32 s0, s19
	s_cbranch_execz .LBB1330_372
; %bb.144:
	s_mov_b32 s0, exec_lo
	v_cmpx_lt_u32_e32 0x400, v119
	s_wait_alu 0xfffe
	s_xor_b32 s16, exec_lo, s0
	s_cbranch_execz .LBB1330_252
; %bb.145:
	s_load_b64 s[0:1], s[8:9], 0x0
	s_and_b32 s2, ttmp7, 0xffff
	s_mov_b32 s3, 0
	v_lshlrev_b32_e32 v20, 2, v114
	s_wait_kmcnt 0x0
	s_wait_alu 0xfffe
	s_cmp_lt_u32 s2, s1
	s_cselect_b32 s2, 14, 20
	s_cmp_lt_u32 ttmp9, s0
	s_wait_alu 0xfffe
	s_add_nc_u64 s[4:5], s[8:9], s[2:3]
	s_cselect_b32 s2, 12, 18
	s_load_u16 s4, s[4:5], 0x0
	s_add_nc_u64 s[0:1], s[8:9], s[2:3]
	s_load_u16 s0, s[0:1], 0x0
	s_wait_kmcnt 0x0
	v_mad_u32_u24 v13, v13, s4, v9
	v_mov_b32_e32 v9, 0
	s_delay_alu instid0(VALU_DEP_2) | instskip(SKIP_1) | instid1(VALU_DEP_3)
	v_mad_co_u64_u32 v[24:25], null, v13, s0, v[21:22]
	v_mov_b32_e32 v13, -1
	v_lshlrev_b64_e32 v[26:27], 2, v[8:9]
	s_delay_alu instid0(VALU_DEP_3) | instskip(NEXT) | instid1(VALU_DEP_3)
	v_dual_mov_b32 v23, v9 :: v_dual_lshlrev_b32 v22, 3, v24
	v_dual_mov_b32 v14, v13 :: v_dual_mov_b32 v19, v13
	s_delay_alu instid0(VALU_DEP_3) | instskip(NEXT) | instid1(VALU_DEP_3)
	v_add_co_u32 v28, vcc_lo, v0, v26
	v_and_b32_e32 v22, 0xffffff00, v22
	s_wait_alu 0xfffd
	v_add_co_ci_u32_e64 v29, null, v1, v27, vcc_lo
	s_delay_alu instid0(VALU_DEP_3) | instskip(NEXT) | instid1(VALU_DEP_3)
	v_add_co_u32 v20, vcc_lo, v28, v20
	v_lshlrev_b64_e32 v[0:1], 2, v[22:23]
	v_or_b32_e32 v25, v22, v114
	s_wait_alu 0xfffd
	v_add_co_ci_u32_e64 v28, null, 0, v29, vcc_lo
	v_dual_mov_b32 v15, v13 :: v_dual_mov_b32 v16, v13
	s_delay_alu instid0(VALU_DEP_4)
	v_add_co_u32 v0, s0, v20, v0
	v_dual_mov_b32 v17, v13 :: v_dual_mov_b32 v18, v13
	v_cmp_lt_u32_e32 vcc_lo, v25, v119
	s_wait_alu 0xf1ff
	v_add_co_ci_u32_e64 v1, null, v28, v1, s0
	v_mov_b32_e32 v20, v13
	s_and_saveexec_b32 s0, vcc_lo
	s_cbranch_execz .LBB1330_147
; %bb.146:
	flat_load_b32 v28, v[0:1]
	v_dual_mov_b32 v29, v13 :: v_dual_mov_b32 v30, v13
	v_dual_mov_b32 v31, v13 :: v_dual_mov_b32 v32, v13
	;; [unrolled: 1-line block ×3, first 2 shown]
	v_mov_b32_e32 v35, v13
	s_wait_loadcnt_dscnt 0x0
	v_dual_mov_b32 v13, v28 :: v_dual_mov_b32 v14, v29
	v_dual_mov_b32 v15, v30 :: v_dual_mov_b32 v16, v31
	;; [unrolled: 1-line block ×4, first 2 shown]
.LBB1330_147:
	s_wait_alu 0xfffe
	s_or_b32 exec_lo, exec_lo, s0
	v_or_b32_e32 v28, 32, v25
	s_delay_alu instid0(VALU_DEP_1)
	v_cmp_lt_u32_e64 s0, v28, v119
	s_and_saveexec_b32 s1, s0
	s_cbranch_execz .LBB1330_149
; %bb.148:
	flat_load_b32 v14, v[0:1] offset:128
.LBB1330_149:
	s_wait_alu 0xfffe
	s_or_b32 exec_lo, exec_lo, s1
	v_or_b32_e32 v28, 64, v25
	s_delay_alu instid0(VALU_DEP_1)
	v_cmp_lt_u32_e64 s1, v28, v119
	s_and_saveexec_b32 s2, s1
	s_cbranch_execz .LBB1330_151
; %bb.150:
	flat_load_b32 v15, v[0:1] offset:256
.LBB1330_151:
	;; [unrolled: 10-line block ×7, first 2 shown]
	s_wait_alu 0xfffe
	s_or_b32 exec_lo, exec_lo, s7
	v_lshlrev_b64_e32 v[0:1], 3, v[8:9]
	v_lshlrev_b32_e32 v8, 3, v114
                                        ; implicit-def: $vgpr34_vgpr35
	s_delay_alu instid0(VALU_DEP_2) | instskip(SKIP_1) | instid1(VALU_DEP_3)
	v_add_co_u32 v9, s7, v4, v0
	s_wait_alu 0xf1ff
	v_add_co_ci_u32_e64 v25, null, v5, v1, s7
	v_lshlrev_b64_e32 v[4:5], 3, v[22:23]
	s_delay_alu instid0(VALU_DEP_3) | instskip(SKIP_1) | instid1(VALU_DEP_3)
	v_add_co_u32 v8, s7, v9, v8
	s_wait_alu 0xf1ff
	v_add_co_ci_u32_e64 v9, null, 0, v25, s7
	s_delay_alu instid0(VALU_DEP_2) | instskip(SKIP_1) | instid1(VALU_DEP_2)
	v_add_co_u32 v4, s7, v8, v4
	s_wait_alu 0xf1ff
	v_add_co_ci_u32_e64 v5, null, v9, v5, s7
	s_and_saveexec_b32 s7, vcc_lo
	s_cbranch_execnz .LBB1330_285
; %bb.162:
	s_wait_alu 0xfffe
	s_or_b32 exec_lo, exec_lo, s7
                                        ; implicit-def: $vgpr38_vgpr39
	s_and_saveexec_b32 s7, s0
	s_cbranch_execnz .LBB1330_286
.LBB1330_163:
	s_wait_alu 0xfffe
	s_or_b32 exec_lo, exec_lo, s7
                                        ; implicit-def: $vgpr48_vgpr49
	s_and_saveexec_b32 s0, s1
	s_cbranch_execnz .LBB1330_287
.LBB1330_164:
	s_wait_alu 0xfffe
	s_or_b32 exec_lo, exec_lo, s0
                                        ; implicit-def: $vgpr50_vgpr51
	s_and_saveexec_b32 s0, s2
	s_cbranch_execnz .LBB1330_288
.LBB1330_165:
	s_wait_alu 0xfffe
	s_or_b32 exec_lo, exec_lo, s0
                                        ; implicit-def: $vgpr52_vgpr53
	s_and_saveexec_b32 s0, s3
	s_cbranch_execnz .LBB1330_289
.LBB1330_166:
	s_wait_alu 0xfffe
	s_or_b32 exec_lo, exec_lo, s0
                                        ; implicit-def: $vgpr54_vgpr55
	s_and_saveexec_b32 s0, s4
	s_cbranch_execnz .LBB1330_290
.LBB1330_167:
	s_wait_alu 0xfffe
	s_or_b32 exec_lo, exec_lo, s0
                                        ; implicit-def: $vgpr32_vgpr33
	s_and_saveexec_b32 s0, s5
	s_cbranch_execnz .LBB1330_291
.LBB1330_168:
	s_wait_alu 0xfffe
	s_or_b32 exec_lo, exec_lo, s0
                                        ; implicit-def: $vgpr36_vgpr37
	s_and_saveexec_b32 s0, s6
	s_cbranch_execz .LBB1330_170
.LBB1330_169:
	flat_load_b64 v[36:37], v[4:5] offset:1792
.LBB1330_170:
	s_wait_alu 0xfffe
	s_or_b32 exec_lo, exec_lo, s0
	v_cmp_gt_i32_e32 vcc_lo, 0, v13
	s_getpc_b64 s[0:1]
	s_wait_alu 0xfffe
	s_sext_i32_i16 s1, s1
	s_add_co_u32 s0, s0, _ZN7rocprim17ROCPRIM_400000_NS16block_radix_sortIfLj256ELj8ElLj1ELj1ELj8ELNS0_26block_radix_rank_algorithmE2ELNS0_18block_padding_hintE2ELNS0_4arch9wavefront6targetE0EE19radix_bits_per_passE@rel32@lo+12
	s_wait_alu 0xfffe
	s_add_co_ci_u32 s1, s1, _ZN7rocprim17ROCPRIM_400000_NS16block_radix_sortIfLj256ELj8ElLj1ELj1ELj8ELNS0_26block_radix_rank_algorithmE2ELNS0_18block_padding_hintE2ELNS0_4arch9wavefront6targetE0EE19radix_bits_per_passE@rel32@hi+24
	v_lshrrev_b32_e32 v101, 5, v24
	s_load_b32 s17, s[0:1], 0x0
	v_cmp_lt_u32_e64 s7, 31, v21
	v_cndmask_b32_e64 v4, 0x7fffffff, 0, vcc_lo
	s_wait_loadcnt_dscnt 0x0
	v_cmp_gt_i32_e32 vcc_lo, 0, v14
	v_cmp_eq_u32_e64 s10, 0, v21
	v_sub_nc_u32_e32 v147, v11, v10
	s_mov_b32 s19, 0
	v_xor_b32_e32 v83, v4, v13
	s_wait_alu 0xfffd
	v_cndmask_b32_e64 v5, 0x7fffffff, 0, vcc_lo
	v_cmp_gt_i32_e32 vcc_lo, 0, v15
	v_sub_co_u32 v13, s2, v114, 1
	s_wait_storecnt 0x0
	s_delay_alu instid0(VALU_DEP_3)
	v_xor_b32_e32 v65, v5, v14
	s_wait_alu 0xfffd
	v_cndmask_b32_e64 v8, 0x7fffffff, 0, vcc_lo
	v_cmp_gt_i32_e32 vcc_lo, 0, v16
	v_cmp_gt_i32_e64 s6, 0, v13
	s_barrier_signal -1
	s_barrier_wait -1
	v_xor_b32_e32 v67, v8, v15
	s_wait_alu 0xfffd
	v_cndmask_b32_e64 v9, 0x7fffffff, 0, vcc_lo
	v_cmp_gt_i32_e32 vcc_lo, 0, v17
	global_inv scope:SCOPE_SE
	v_xor_b32_e32 v69, v9, v16
	s_wait_alu 0xfffd
	v_cndmask_b32_e64 v22, 0x7fffffff, 0, vcc_lo
	v_cmp_gt_i32_e32 vcc_lo, 0, v18
	v_and_b32_e32 v9, 15, v114
	s_delay_alu instid0(VALU_DEP_3)
	v_xor_b32_e32 v71, v22, v17
	s_wait_alu 0xfffd
	v_cndmask_b32_e64 v4, 0x7fffffff, 0, vcc_lo
	v_cmp_gt_i32_e32 vcc_lo, 0, v19
	v_cmp_lt_u32_e64 s0, 1, v9
	v_cmp_lt_u32_e64 s1, 3, v9
	;; [unrolled: 1-line block ×3, first 2 shown]
	v_xor_b32_e32 v81, v4, v18
	s_wait_alu 0xfffd
	v_cndmask_b32_e64 v5, 0x7fffffff, 0, vcc_lo
	v_cmp_gt_i32_e32 vcc_lo, 0, v20
	v_lshl_add_u32 v4, v21, 5, v12
	s_delay_alu instid0(VALU_DEP_3) | instskip(SKIP_2) | instid1(VALU_DEP_3)
	v_xor_b32_e32 v85, v5, v19
	s_wait_alu 0xfffd
	v_cndmask_b32_e64 v8, 0x7fffffff, 0, vcc_lo
	v_add_nc_u32_e32 v25, 32, v4
	v_add_nc_u32_e32 v86, 36, v4
	;; [unrolled: 1-line block ×4, first 2 shown]
	v_xor_b32_e32 v164, v8, v20
	v_and_b32_e32 v8, 0x3e0, v21
	v_add_nc_u32_e32 v97, 48, v4
	v_add_nc_u32_e32 v98, 52, v4
	;; [unrolled: 1-line block ×4, first 2 shown]
	v_min_u32_e32 v4, 0xe0, v8
	v_and_b32_e32 v8, 16, v114
	v_lshlrev_b32_e32 v5, 3, v21
	v_cmp_eq_u32_e32 vcc_lo, 0, v9
	v_and_b32_e32 v9, 7, v114
	v_or_b32_e32 v4, 31, v4
	v_cmp_eq_u32_e64 s4, 0, v8
	v_lshrrev_b32_e32 v8, 3, v21
	v_and_or_b32 v5, 0x1f00, v5, v114
	v_cmp_eq_u32_e64 s11, 0, v9
	v_cmp_eq_u32_e64 s5, v21, v4
	s_wait_alu 0xf1ff
	v_cndmask_b32_e64 v4, v13, v114, s6
	v_and_b32_e32 v8, 0x7c, v8
	v_cmp_gt_u32_e64 s6, 8, v21
	v_cmp_lt_u32_e64 s12, 1, v9
	v_cmp_lt_u32_e64 s13, 3, v9
	v_lshlrev_b32_e32 v103, 2, v4
	v_add_nc_u32_e32 v112, v12, v8
	v_lshlrev_b32_e32 v8, 2, v5
	v_dual_mov_b32 v5, 0 :: v_dual_lshlrev_b32 v4, 2, v21
	s_delay_alu instid0(VALU_DEP_3) | instskip(NEXT) | instid1(VALU_DEP_3)
	v_add_nc_u32_e32 v114, -4, v112
	v_add_nc_u32_e32 v113, v12, v8
	s_delay_alu instid0(VALU_DEP_3) | instskip(NEXT) | instid1(VALU_DEP_2)
	v_add_co_u32 v102, null, v12, v4
	v_add_nc_u32_e32 v118, v113, v8
	v_add_nc_u32_e32 v115, 0x80, v113
	;; [unrolled: 1-line block ×15, first 2 shown]
	s_branch .LBB1330_172
.LBB1330_171:                           ;   in Loop: Header=BB1330_172 Depth=1
	s_wait_alu 0xfffe
	s_or_b32 exec_lo, exec_lo, s15
	s_delay_alu instid0(SALU_CYCLE_1)
	s_and_b32 s14, exec_lo, s20
	s_wait_alu 0xfffe
	s_or_b32 s19, s14, s19
	s_wait_alu 0xfffe
	s_and_not1_b32 exec_lo, exec_lo, s19
	s_cbranch_execz .LBB1330_226
.LBB1330_172:                           ; =>This Inner Loop Header: Depth=1
	v_dual_mov_b32 v148, v83 :: v_dual_mov_b32 v149, v164
	s_wait_kmcnt 0x0
	v_min_u32_e32 v4, s17, v147
	v_dual_mov_b32 v22, v34 :: v_dual_mov_b32 v19, v38
	s_delay_alu instid0(VALU_DEP_3) | instskip(SKIP_1) | instid1(VALU_DEP_4)
	v_cmp_ne_u32_e64 s14, 0x80000000, v148
	v_dual_mov_b32 v20, v39 :: v_dual_mov_b32 v17, v48
	v_lshlrev_b32_e64 v4, v4, -1
	v_dual_mov_b32 v150, v85 :: v_dual_mov_b32 v151, v81
	s_wait_alu 0xf1ff
	v_cndmask_b32_e64 v8, 0x7fffffff, v148, s14
	v_dual_mov_b32 v160, v71 :: v_dual_mov_b32 v161, v69
	v_not_b32_e32 v64, v4
	v_mov_b32_e32 v15, v52
	s_delay_alu instid0(VALU_DEP_4) | instskip(SKIP_2) | instid1(VALU_DEP_3)
	v_lshrrev_b32_e32 v4, v10, v8
	v_mov_b32_e32 v8, v50
	v_dual_mov_b32 v162, v67 :: v_dual_mov_b32 v163, v65
	v_dual_mov_b32 v23, v35 :: v_dual_and_b32 v4, v4, v64
	v_mov_b32_e32 v16, v53
	v_dual_mov_b32 v18, v49 :: v_dual_mov_b32 v9, v51
	s_delay_alu instid0(VALU_DEP_3) | instskip(SKIP_3) | instid1(VALU_DEP_4)
	v_dual_mov_b32 v13, v54 :: v_dual_and_b32 v28, 1, v4
	v_dual_mov_b32 v14, v55 :: v_dual_lshlrev_b32 v29, 30, v4
	v_lshlrev_b32_e32 v31, 29, v4
	v_lshlrev_b32_e32 v34, 28, v4
	v_add_co_u32 v28, s14, v28, -1
	s_wait_alu 0xf1ff
	v_cndmask_b32_e64 v30, 0, 1, s14
	v_not_b32_e32 v38, v29
	v_cmp_gt_i32_e64 s15, 0, v29
	v_not_b32_e32 v29, v31
	v_lshlrev_b32_e32 v35, 27, v4
	v_cmp_ne_u32_e64 s14, 0, v30
	v_ashrrev_i32_e32 v38, 31, v38
	v_lshlrev_b32_e32 v30, 26, v4
	v_ashrrev_i32_e32 v29, 31, v29
	ds_store_b32 v25, v5
	ds_store_b32 v86, v5
	;; [unrolled: 1-line block ×3, first 2 shown]
	s_wait_alu 0xf1ff
	v_xor_b32_e32 v28, s14, v28
	v_cmp_gt_i32_e64 s14, 0, v31
	v_not_b32_e32 v31, v34
	v_xor_b32_e32 v38, s15, v38
	v_cmp_gt_i32_e64 s15, 0, v34
	v_and_b32_e32 v28, exec_lo, v28
	v_not_b32_e32 v34, v35
	v_ashrrev_i32_e32 v31, 31, v31
	s_wait_alu 0xf1ff
	v_xor_b32_e32 v29, s14, v29
	v_cmp_gt_i32_e64 s14, 0, v35
	v_and_b32_e32 v28, v28, v38
	v_not_b32_e32 v35, v30
	v_ashrrev_i32_e32 v34, 31, v34
	v_xor_b32_e32 v31, s15, v31
	v_cmp_gt_i32_e64 s15, 0, v30
	v_and_b32_e32 v28, v28, v29
	v_lshlrev_b32_e32 v29, 25, v4
	v_ashrrev_i32_e32 v30, 31, v35
	s_wait_alu 0xf1ff
	v_xor_b32_e32 v34, s14, v34
	v_lshlrev_b32_e32 v35, 24, v4
	v_and_b32_e32 v28, v28, v31
	v_not_b32_e32 v31, v29
	v_xor_b32_e32 v38, s15, v30
	v_lshl_add_u32 v4, v4, 3, v101
	ds_store_b32 v96, v5
	v_and_b32_e32 v34, v28, v34
	v_ashrrev_i32_e32 v39, 31, v31
	v_mov_b32_e32 v30, v36
	v_cmp_gt_i32_e64 s14, 0, v29
	v_dual_mov_b32 v28, v32 :: v_dual_mov_b32 v29, v33
	v_not_b32_e32 v32, v35
	v_and_b32_e32 v33, v34, v38
	s_wait_alu 0xf1ff
	v_xor_b32_e32 v34, s14, v39
	v_cmp_gt_i32_e64 s14, 0, v35
	v_mov_b32_e32 v31, v37
	v_ashrrev_i32_e32 v32, 31, v32
	ds_store_b32 v97, v5
	ds_store_b32 v98, v5
	v_and_b32_e32 v33, v33, v34
	v_lshlrev_b64_e32 v[34:35], 2, v[4:5]
	ds_store_b32 v99, v5
	s_wait_alu 0xf1ff
	v_xor_b32_e32 v32, s14, v32
	ds_store_b32 v100, v5
	s_wait_loadcnt_dscnt 0x0
	s_barrier_signal -1
	s_barrier_wait -1
	v_and_b32_e32 v33, v33, v32
	v_add_co_u32 v32, null, v12, v34
	global_inv scope:SCOPE_SE
	v_mbcnt_lo_u32_b32 v4, v33, 0
	v_cmp_ne_u32_e64 s15, 0, v33
	v_add_co_u32 v32, null, v32, 32
	; wave barrier
	s_delay_alu instid0(VALU_DEP_3)
	v_cmp_eq_u32_e64 s14, 0, v4
	s_and_b32 s15, s15, s14
	s_wait_alu 0xfffe
	s_and_saveexec_b32 s14, s15
; %bb.173:                              ;   in Loop: Header=BB1330_172 Depth=1
	v_bcnt_u32_b32 v33, v33, 0
	ds_store_b32 v32, v33
; %bb.174:                              ;   in Loop: Header=BB1330_172 Depth=1
	s_wait_alu 0xfffe
	s_or_b32 exec_lo, exec_lo, s14
	v_cmp_ne_u32_e64 s14, 0x80000000, v163
	; wave barrier
	s_wait_alu 0xf1ff
	s_delay_alu instid0(VALU_DEP_1) | instskip(NEXT) | instid1(VALU_DEP_1)
	v_cndmask_b32_e64 v33, 0x7fffffff, v163, s14
	v_lshrrev_b32_e32 v33, v10, v33
	s_delay_alu instid0(VALU_DEP_1) | instskip(NEXT) | instid1(VALU_DEP_1)
	v_and_b32_e32 v33, v33, v64
	v_and_b32_e32 v34, 1, v33
	v_lshlrev_b32_e32 v35, 30, v33
	v_lshlrev_b32_e32 v36, 29, v33
	;; [unrolled: 1-line block ×4, first 2 shown]
	v_add_co_u32 v34, s14, v34, -1
	s_wait_alu 0xf1ff
	v_cndmask_b32_e64 v38, 0, 1, s14
	v_not_b32_e32 v50, v35
	v_cmp_gt_i32_e64 s15, 0, v35
	v_not_b32_e32 v35, v36
	v_lshlrev_b32_e32 v48, 26, v33
	v_cmp_ne_u32_e64 s14, 0, v38
	v_ashrrev_i32_e32 v50, 31, v50
	v_lshlrev_b32_e32 v49, 25, v33
	v_ashrrev_i32_e32 v35, 31, v35
	v_lshlrev_b32_e32 v38, 24, v33
	s_wait_alu 0xf1ff
	v_xor_b32_e32 v34, s14, v34
	v_cmp_gt_i32_e64 s14, 0, v36
	v_not_b32_e32 v36, v37
	v_xor_b32_e32 v50, s15, v50
	v_cmp_gt_i32_e64 s15, 0, v37
	v_and_b32_e32 v34, exec_lo, v34
	v_not_b32_e32 v37, v39
	v_ashrrev_i32_e32 v36, 31, v36
	s_wait_alu 0xf1ff
	v_xor_b32_e32 v35, s14, v35
	v_cmp_gt_i32_e64 s14, 0, v39
	v_and_b32_e32 v34, v34, v50
	v_not_b32_e32 v39, v48
	v_ashrrev_i32_e32 v37, 31, v37
	v_xor_b32_e32 v36, s15, v36
	v_cmp_gt_i32_e64 s15, 0, v48
	v_and_b32_e32 v34, v34, v35
	v_not_b32_e32 v35, v49
	v_ashrrev_i32_e32 v39, 31, v39
	s_wait_alu 0xf1ff
	v_xor_b32_e32 v37, s14, v37
	v_cmp_gt_i32_e64 s14, 0, v49
	v_and_b32_e32 v34, v34, v36
	v_not_b32_e32 v36, v38
	v_ashrrev_i32_e32 v35, 31, v35
	v_xor_b32_e32 v39, s15, v39
	v_lshl_add_u32 v33, v33, 3, v101
	v_and_b32_e32 v34, v34, v37
	v_cmp_gt_i32_e64 s15, 0, v38
	v_ashrrev_i32_e32 v36, 31, v36
	s_wait_alu 0xf1ff
	v_xor_b32_e32 v35, s14, v35
	v_lshl_add_u32 v37, v33, 2, v12
	v_and_b32_e32 v34, v34, v39
	v_xor_b32_e32 v36, s15, v36
	ds_load_b32 v33, v37 offset:32
	v_and_b32_e32 v34, v34, v35
	v_add_nc_u32_e32 v35, 32, v37
	; wave barrier
	s_delay_alu instid0(VALU_DEP_2) | instskip(NEXT) | instid1(VALU_DEP_1)
	v_and_b32_e32 v36, v34, v36
	v_mbcnt_lo_u32_b32 v34, v36, 0
	v_cmp_ne_u32_e64 s15, 0, v36
	s_delay_alu instid0(VALU_DEP_2)
	v_cmp_eq_u32_e64 s14, 0, v34
	s_and_b32 s15, s15, s14
	s_wait_alu 0xfffe
	s_and_saveexec_b32 s14, s15
	s_cbranch_execz .LBB1330_176
; %bb.175:                              ;   in Loop: Header=BB1330_172 Depth=1
	s_wait_dscnt 0x0
	v_bcnt_u32_b32 v36, v36, v33
	ds_store_b32 v35, v36
.LBB1330_176:                           ;   in Loop: Header=BB1330_172 Depth=1
	s_wait_alu 0xfffe
	s_or_b32 exec_lo, exec_lo, s14
	v_cmp_ne_u32_e64 s14, 0x80000000, v162
	; wave barrier
	s_wait_alu 0xf1ff
	s_delay_alu instid0(VALU_DEP_1) | instskip(NEXT) | instid1(VALU_DEP_1)
	v_cndmask_b32_e64 v36, 0x7fffffff, v162, s14
	v_lshrrev_b32_e32 v36, v10, v36
	s_delay_alu instid0(VALU_DEP_1) | instskip(NEXT) | instid1(VALU_DEP_1)
	v_and_b32_e32 v36, v36, v64
	v_and_b32_e32 v37, 1, v36
	v_lshlrev_b32_e32 v38, 30, v36
	v_lshlrev_b32_e32 v39, 29, v36
	;; [unrolled: 1-line block ×4, first 2 shown]
	v_add_co_u32 v37, s14, v37, -1
	s_wait_alu 0xf1ff
	v_cndmask_b32_e64 v49, 0, 1, s14
	v_not_b32_e32 v53, v38
	v_cmp_gt_i32_e64 s15, 0, v38
	v_not_b32_e32 v38, v39
	v_lshlrev_b32_e32 v51, 26, v36
	v_cmp_ne_u32_e64 s14, 0, v49
	v_ashrrev_i32_e32 v53, 31, v53
	v_lshlrev_b32_e32 v52, 25, v36
	v_ashrrev_i32_e32 v38, 31, v38
	v_lshlrev_b32_e32 v49, 24, v36
	s_wait_alu 0xf1ff
	v_xor_b32_e32 v37, s14, v37
	v_cmp_gt_i32_e64 s14, 0, v39
	v_not_b32_e32 v39, v48
	v_xor_b32_e32 v53, s15, v53
	v_cmp_gt_i32_e64 s15, 0, v48
	v_and_b32_e32 v37, exec_lo, v37
	v_not_b32_e32 v48, v50
	v_ashrrev_i32_e32 v39, 31, v39
	s_wait_alu 0xf1ff
	v_xor_b32_e32 v38, s14, v38
	v_cmp_gt_i32_e64 s14, 0, v50
	v_and_b32_e32 v37, v37, v53
	v_not_b32_e32 v50, v51
	v_ashrrev_i32_e32 v48, 31, v48
	v_xor_b32_e32 v39, s15, v39
	v_cmp_gt_i32_e64 s15, 0, v51
	v_and_b32_e32 v37, v37, v38
	v_not_b32_e32 v38, v52
	v_ashrrev_i32_e32 v50, 31, v50
	s_wait_alu 0xf1ff
	v_xor_b32_e32 v48, s14, v48
	v_cmp_gt_i32_e64 s14, 0, v52
	v_and_b32_e32 v37, v37, v39
	v_not_b32_e32 v39, v49
	v_ashrrev_i32_e32 v38, 31, v38
	v_xor_b32_e32 v50, s15, v50
	v_lshl_add_u32 v36, v36, 3, v101
	v_and_b32_e32 v37, v37, v48
	v_cmp_gt_i32_e64 s15, 0, v49
	v_ashrrev_i32_e32 v39, 31, v39
	s_wait_alu 0xf1ff
	v_xor_b32_e32 v38, s14, v38
	v_lshl_add_u32 v48, v36, 2, v12
	v_and_b32_e32 v37, v37, v50
	v_xor_b32_e32 v39, s15, v39
	ds_load_b32 v36, v48 offset:32
	v_and_b32_e32 v37, v37, v38
	v_add_nc_u32_e32 v38, 32, v48
	; wave barrier
	s_delay_alu instid0(VALU_DEP_2) | instskip(NEXT) | instid1(VALU_DEP_1)
	v_and_b32_e32 v39, v37, v39
	v_mbcnt_lo_u32_b32 v37, v39, 0
	v_cmp_ne_u32_e64 s15, 0, v39
	s_delay_alu instid0(VALU_DEP_2)
	v_cmp_eq_u32_e64 s14, 0, v37
	s_and_b32 s15, s15, s14
	s_wait_alu 0xfffe
	s_and_saveexec_b32 s14, s15
	s_cbranch_execz .LBB1330_178
; %bb.177:                              ;   in Loop: Header=BB1330_172 Depth=1
	s_wait_dscnt 0x0
	v_bcnt_u32_b32 v39, v39, v36
	ds_store_b32 v38, v39
.LBB1330_178:                           ;   in Loop: Header=BB1330_172 Depth=1
	s_wait_alu 0xfffe
	s_or_b32 exec_lo, exec_lo, s14
	v_cmp_ne_u32_e64 s14, 0x80000000, v161
	; wave barrier
	s_wait_alu 0xf1ff
	s_delay_alu instid0(VALU_DEP_1) | instskip(NEXT) | instid1(VALU_DEP_1)
	v_cndmask_b32_e64 v39, 0x7fffffff, v161, s14
	v_lshrrev_b32_e32 v39, v10, v39
	s_delay_alu instid0(VALU_DEP_1) | instskip(NEXT) | instid1(VALU_DEP_1)
	v_and_b32_e32 v39, v39, v64
	v_and_b32_e32 v48, 1, v39
	v_lshlrev_b32_e32 v49, 30, v39
	v_lshlrev_b32_e32 v50, 29, v39
	v_lshlrev_b32_e32 v51, 28, v39
	v_lshlrev_b32_e32 v53, 27, v39
	v_add_co_u32 v48, s14, v48, -1
	s_wait_alu 0xf1ff
	v_cndmask_b32_e64 v52, 0, 1, s14
	v_not_b32_e32 v65, v49
	v_cmp_gt_i32_e64 s15, 0, v49
	v_not_b32_e32 v49, v50
	v_lshlrev_b32_e32 v54, 26, v39
	v_cmp_ne_u32_e64 s14, 0, v52
	v_ashrrev_i32_e32 v65, 31, v65
	v_lshlrev_b32_e32 v55, 25, v39
	v_ashrrev_i32_e32 v49, 31, v49
	v_lshlrev_b32_e32 v52, 24, v39
	s_wait_alu 0xf1ff
	v_xor_b32_e32 v48, s14, v48
	v_cmp_gt_i32_e64 s14, 0, v50
	v_not_b32_e32 v50, v51
	v_xor_b32_e32 v65, s15, v65
	v_cmp_gt_i32_e64 s15, 0, v51
	v_and_b32_e32 v48, exec_lo, v48
	v_not_b32_e32 v51, v53
	v_ashrrev_i32_e32 v50, 31, v50
	s_wait_alu 0xf1ff
	v_xor_b32_e32 v49, s14, v49
	v_cmp_gt_i32_e64 s14, 0, v53
	v_and_b32_e32 v48, v48, v65
	v_not_b32_e32 v53, v54
	v_ashrrev_i32_e32 v51, 31, v51
	v_xor_b32_e32 v50, s15, v50
	v_cmp_gt_i32_e64 s15, 0, v54
	v_and_b32_e32 v48, v48, v49
	v_not_b32_e32 v49, v55
	v_ashrrev_i32_e32 v53, 31, v53
	s_wait_alu 0xf1ff
	v_xor_b32_e32 v51, s14, v51
	v_cmp_gt_i32_e64 s14, 0, v55
	v_and_b32_e32 v48, v48, v50
	v_not_b32_e32 v50, v52
	v_ashrrev_i32_e32 v49, 31, v49
	v_xor_b32_e32 v53, s15, v53
	v_lshl_add_u32 v39, v39, 3, v101
	v_and_b32_e32 v48, v48, v51
	v_cmp_gt_i32_e64 s15, 0, v52
	v_ashrrev_i32_e32 v50, 31, v50
	s_wait_alu 0xf1ff
	v_xor_b32_e32 v49, s14, v49
	v_lshl_add_u32 v51, v39, 2, v12
	v_and_b32_e32 v48, v48, v53
	v_xor_b32_e32 v50, s15, v50
	ds_load_b32 v39, v51 offset:32
	v_and_b32_e32 v48, v48, v49
	v_add_nc_u32_e32 v49, 32, v51
	; wave barrier
	s_delay_alu instid0(VALU_DEP_2) | instskip(NEXT) | instid1(VALU_DEP_1)
	v_and_b32_e32 v50, v48, v50
	v_mbcnt_lo_u32_b32 v48, v50, 0
	v_cmp_ne_u32_e64 s15, 0, v50
	s_delay_alu instid0(VALU_DEP_2)
	v_cmp_eq_u32_e64 s14, 0, v48
	s_and_b32 s15, s15, s14
	s_wait_alu 0xfffe
	s_and_saveexec_b32 s14, s15
	s_cbranch_execz .LBB1330_180
; %bb.179:                              ;   in Loop: Header=BB1330_172 Depth=1
	s_wait_dscnt 0x0
	v_bcnt_u32_b32 v50, v50, v39
	ds_store_b32 v49, v50
.LBB1330_180:                           ;   in Loop: Header=BB1330_172 Depth=1
	s_wait_alu 0xfffe
	s_or_b32 exec_lo, exec_lo, s14
	v_cmp_ne_u32_e64 s14, 0x80000000, v160
	; wave barrier
	s_wait_alu 0xf1ff
	s_delay_alu instid0(VALU_DEP_1) | instskip(NEXT) | instid1(VALU_DEP_1)
	v_cndmask_b32_e64 v50, 0x7fffffff, v160, s14
	v_lshrrev_b32_e32 v50, v10, v50
	s_delay_alu instid0(VALU_DEP_1) | instskip(NEXT) | instid1(VALU_DEP_1)
	v_and_b32_e32 v50, v50, v64
	v_and_b32_e32 v51, 1, v50
	v_lshlrev_b32_e32 v52, 30, v50
	v_lshlrev_b32_e32 v53, 29, v50
	v_lshlrev_b32_e32 v54, 28, v50
	v_lshlrev_b32_e32 v65, 27, v50
	v_add_co_u32 v51, s14, v51, -1
	s_wait_alu 0xf1ff
	v_cndmask_b32_e64 v55, 0, 1, s14
	v_not_b32_e32 v68, v52
	v_cmp_gt_i32_e64 s15, 0, v52
	v_not_b32_e32 v52, v53
	v_lshlrev_b32_e32 v66, 26, v50
	v_cmp_ne_u32_e64 s14, 0, v55
	v_ashrrev_i32_e32 v68, 31, v68
	v_lshlrev_b32_e32 v67, 25, v50
	v_ashrrev_i32_e32 v52, 31, v52
	v_lshlrev_b32_e32 v55, 24, v50
	s_wait_alu 0xf1ff
	v_xor_b32_e32 v51, s14, v51
	v_cmp_gt_i32_e64 s14, 0, v53
	v_not_b32_e32 v53, v54
	v_xor_b32_e32 v68, s15, v68
	v_cmp_gt_i32_e64 s15, 0, v54
	v_and_b32_e32 v51, exec_lo, v51
	v_not_b32_e32 v54, v65
	v_ashrrev_i32_e32 v53, 31, v53
	s_wait_alu 0xf1ff
	v_xor_b32_e32 v52, s14, v52
	v_cmp_gt_i32_e64 s14, 0, v65
	v_and_b32_e32 v51, v51, v68
	v_not_b32_e32 v65, v66
	v_ashrrev_i32_e32 v54, 31, v54
	v_xor_b32_e32 v53, s15, v53
	v_cmp_gt_i32_e64 s15, 0, v66
	v_and_b32_e32 v51, v51, v52
	v_not_b32_e32 v52, v67
	v_ashrrev_i32_e32 v65, 31, v65
	s_wait_alu 0xf1ff
	v_xor_b32_e32 v54, s14, v54
	v_cmp_gt_i32_e64 s14, 0, v67
	v_and_b32_e32 v51, v51, v53
	v_not_b32_e32 v53, v55
	v_ashrrev_i32_e32 v52, 31, v52
	v_xor_b32_e32 v65, s15, v65
	v_lshl_add_u32 v50, v50, 3, v101
	v_and_b32_e32 v51, v51, v54
	v_cmp_gt_i32_e64 s15, 0, v55
	v_ashrrev_i32_e32 v53, 31, v53
	s_wait_alu 0xf1ff
	v_xor_b32_e32 v52, s14, v52
	v_lshl_add_u32 v54, v50, 2, v12
	v_and_b32_e32 v51, v51, v65
	v_xor_b32_e32 v53, s15, v53
	ds_load_b32 v50, v54 offset:32
	v_and_b32_e32 v51, v51, v52
	v_add_nc_u32_e32 v52, 32, v54
	; wave barrier
	s_delay_alu instid0(VALU_DEP_2) | instskip(NEXT) | instid1(VALU_DEP_1)
	v_and_b32_e32 v53, v51, v53
	v_mbcnt_lo_u32_b32 v51, v53, 0
	v_cmp_ne_u32_e64 s15, 0, v53
	s_delay_alu instid0(VALU_DEP_2)
	v_cmp_eq_u32_e64 s14, 0, v51
	s_and_b32 s15, s15, s14
	s_wait_alu 0xfffe
	s_and_saveexec_b32 s14, s15
	s_cbranch_execz .LBB1330_182
; %bb.181:                              ;   in Loop: Header=BB1330_172 Depth=1
	s_wait_dscnt 0x0
	v_bcnt_u32_b32 v53, v53, v50
	ds_store_b32 v52, v53
.LBB1330_182:                           ;   in Loop: Header=BB1330_172 Depth=1
	s_wait_alu 0xfffe
	s_or_b32 exec_lo, exec_lo, s14
	v_cmp_ne_u32_e64 s14, 0x80000000, v151
	; wave barrier
	s_wait_alu 0xf1ff
	s_delay_alu instid0(VALU_DEP_1) | instskip(NEXT) | instid1(VALU_DEP_1)
	v_cndmask_b32_e64 v53, 0x7fffffff, v151, s14
	v_lshrrev_b32_e32 v53, v10, v53
	s_delay_alu instid0(VALU_DEP_1) | instskip(NEXT) | instid1(VALU_DEP_1)
	v_and_b32_e32 v53, v53, v64
	v_and_b32_e32 v54, 1, v53
	v_lshlrev_b32_e32 v55, 30, v53
	v_lshlrev_b32_e32 v65, 29, v53
	;; [unrolled: 1-line block ×4, first 2 shown]
	v_add_co_u32 v54, s14, v54, -1
	s_wait_alu 0xf1ff
	v_cndmask_b32_e64 v67, 0, 1, s14
	v_not_b32_e32 v71, v55
	v_cmp_gt_i32_e64 s15, 0, v55
	v_not_b32_e32 v55, v65
	v_lshlrev_b32_e32 v69, 26, v53
	v_cmp_ne_u32_e64 s14, 0, v67
	v_ashrrev_i32_e32 v71, 31, v71
	v_lshlrev_b32_e32 v70, 25, v53
	v_ashrrev_i32_e32 v55, 31, v55
	v_lshlrev_b32_e32 v67, 24, v53
	s_wait_alu 0xf1ff
	v_xor_b32_e32 v54, s14, v54
	v_cmp_gt_i32_e64 s14, 0, v65
	v_not_b32_e32 v65, v66
	v_xor_b32_e32 v71, s15, v71
	v_cmp_gt_i32_e64 s15, 0, v66
	v_and_b32_e32 v54, exec_lo, v54
	v_not_b32_e32 v66, v68
	v_ashrrev_i32_e32 v65, 31, v65
	s_wait_alu 0xf1ff
	v_xor_b32_e32 v55, s14, v55
	v_cmp_gt_i32_e64 s14, 0, v68
	v_and_b32_e32 v54, v54, v71
	v_not_b32_e32 v68, v69
	v_ashrrev_i32_e32 v66, 31, v66
	v_xor_b32_e32 v65, s15, v65
	v_cmp_gt_i32_e64 s15, 0, v69
	v_and_b32_e32 v54, v54, v55
	v_not_b32_e32 v55, v70
	v_ashrrev_i32_e32 v68, 31, v68
	s_wait_alu 0xf1ff
	v_xor_b32_e32 v66, s14, v66
	v_cmp_gt_i32_e64 s14, 0, v70
	v_and_b32_e32 v54, v54, v65
	v_not_b32_e32 v65, v67
	v_ashrrev_i32_e32 v55, 31, v55
	v_xor_b32_e32 v68, s15, v68
	v_lshl_add_u32 v53, v53, 3, v101
	v_and_b32_e32 v54, v54, v66
	v_cmp_gt_i32_e64 s15, 0, v67
	v_ashrrev_i32_e32 v65, 31, v65
	s_wait_alu 0xf1ff
	v_xor_b32_e32 v55, s14, v55
	v_lshl_add_u32 v66, v53, 2, v12
	v_and_b32_e32 v54, v54, v68
	v_xor_b32_e32 v65, s15, v65
	ds_load_b32 v53, v66 offset:32
	v_and_b32_e32 v54, v54, v55
	v_add_nc_u32_e32 v55, 32, v66
	; wave barrier
	s_delay_alu instid0(VALU_DEP_2) | instskip(NEXT) | instid1(VALU_DEP_1)
	v_and_b32_e32 v65, v54, v65
	v_mbcnt_lo_u32_b32 v54, v65, 0
	v_cmp_ne_u32_e64 s15, 0, v65
	s_delay_alu instid0(VALU_DEP_2)
	v_cmp_eq_u32_e64 s14, 0, v54
	s_and_b32 s15, s15, s14
	s_wait_alu 0xfffe
	s_and_saveexec_b32 s14, s15
	s_cbranch_execz .LBB1330_184
; %bb.183:                              ;   in Loop: Header=BB1330_172 Depth=1
	s_wait_dscnt 0x0
	v_bcnt_u32_b32 v65, v65, v53
	ds_store_b32 v55, v65
.LBB1330_184:                           ;   in Loop: Header=BB1330_172 Depth=1
	s_wait_alu 0xfffe
	s_or_b32 exec_lo, exec_lo, s14
	v_cmp_ne_u32_e64 s14, 0x80000000, v150
	; wave barrier
	s_wait_alu 0xf1ff
	s_delay_alu instid0(VALU_DEP_1) | instskip(NEXT) | instid1(VALU_DEP_1)
	v_cndmask_b32_e64 v65, 0x7fffffff, v150, s14
	v_lshrrev_b32_e32 v65, v10, v65
	s_delay_alu instid0(VALU_DEP_1) | instskip(NEXT) | instid1(VALU_DEP_1)
	v_and_b32_e32 v65, v65, v64
	v_and_b32_e32 v66, 1, v65
	v_lshlrev_b32_e32 v67, 30, v65
	v_lshlrev_b32_e32 v68, 29, v65
	;; [unrolled: 1-line block ×4, first 2 shown]
	v_add_co_u32 v66, s14, v66, -1
	s_wait_alu 0xf1ff
	v_cndmask_b32_e64 v70, 0, 1, s14
	v_not_b32_e32 v82, v67
	v_cmp_gt_i32_e64 s15, 0, v67
	v_not_b32_e32 v67, v68
	v_lshlrev_b32_e32 v80, 26, v65
	v_cmp_ne_u32_e64 s14, 0, v70
	v_ashrrev_i32_e32 v82, 31, v82
	v_lshlrev_b32_e32 v81, 25, v65
	v_ashrrev_i32_e32 v67, 31, v67
	v_lshlrev_b32_e32 v70, 24, v65
	s_wait_alu 0xf1ff
	v_xor_b32_e32 v66, s14, v66
	v_cmp_gt_i32_e64 s14, 0, v68
	v_not_b32_e32 v68, v69
	v_xor_b32_e32 v82, s15, v82
	v_cmp_gt_i32_e64 s15, 0, v69
	v_and_b32_e32 v66, exec_lo, v66
	v_not_b32_e32 v69, v71
	v_ashrrev_i32_e32 v68, 31, v68
	s_wait_alu 0xf1ff
	v_xor_b32_e32 v67, s14, v67
	v_cmp_gt_i32_e64 s14, 0, v71
	v_and_b32_e32 v66, v66, v82
	v_not_b32_e32 v71, v80
	v_ashrrev_i32_e32 v69, 31, v69
	v_xor_b32_e32 v68, s15, v68
	v_cmp_gt_i32_e64 s15, 0, v80
	v_and_b32_e32 v66, v66, v67
	v_not_b32_e32 v67, v81
	v_ashrrev_i32_e32 v71, 31, v71
	s_wait_alu 0xf1ff
	v_xor_b32_e32 v69, s14, v69
	v_cmp_gt_i32_e64 s14, 0, v81
	v_and_b32_e32 v66, v66, v68
	v_not_b32_e32 v68, v70
	v_ashrrev_i32_e32 v67, 31, v67
	v_xor_b32_e32 v71, s15, v71
	v_lshl_add_u32 v65, v65, 3, v101
	v_and_b32_e32 v66, v66, v69
	v_cmp_gt_i32_e64 s15, 0, v70
	v_ashrrev_i32_e32 v68, 31, v68
	s_wait_alu 0xf1ff
	v_xor_b32_e32 v67, s14, v67
	v_lshl_add_u32 v65, v65, 2, v12
	v_and_b32_e32 v66, v66, v71
	v_xor_b32_e32 v68, s15, v68
	ds_load_b32 v82, v65 offset:32
	v_and_b32_e32 v66, v66, v67
	v_add_nc_u32_e32 v65, 32, v65
	; wave barrier
	s_delay_alu instid0(VALU_DEP_2) | instskip(NEXT) | instid1(VALU_DEP_1)
	v_and_b32_e32 v66, v66, v68
	v_mbcnt_lo_u32_b32 v84, v66, 0
	v_cmp_ne_u32_e64 s15, 0, v66
	s_delay_alu instid0(VALU_DEP_2)
	v_cmp_eq_u32_e64 s14, 0, v84
	s_and_b32 s15, s15, s14
	s_wait_alu 0xfffe
	s_and_saveexec_b32 s14, s15
	s_cbranch_execz .LBB1330_186
; %bb.185:                              ;   in Loop: Header=BB1330_172 Depth=1
	s_wait_dscnt 0x0
	v_bcnt_u32_b32 v66, v66, v82
	ds_store_b32 v65, v66
.LBB1330_186:                           ;   in Loop: Header=BB1330_172 Depth=1
	s_wait_alu 0xfffe
	s_or_b32 exec_lo, exec_lo, s14
	v_cmp_ne_u32_e64 s14, 0x80000000, v149
	; wave barrier
	s_wait_alu 0xf1ff
	s_delay_alu instid0(VALU_DEP_1) | instskip(NEXT) | instid1(VALU_DEP_1)
	v_cndmask_b32_e64 v66, 0x7fffffff, v149, s14
	v_lshrrev_b32_e32 v66, v10, v66
	s_delay_alu instid0(VALU_DEP_1) | instskip(NEXT) | instid1(VALU_DEP_1)
	v_and_b32_e32 v64, v66, v64
	v_and_b32_e32 v66, 1, v64
	v_lshlrev_b32_e32 v67, 30, v64
	v_lshlrev_b32_e32 v68, 29, v64
	;; [unrolled: 1-line block ×4, first 2 shown]
	v_add_co_u32 v66, s14, v66, -1
	s_wait_alu 0xf1ff
	v_cndmask_b32_e64 v70, 0, 1, s14
	v_not_b32_e32 v83, v67
	v_cmp_gt_i32_e64 s15, 0, v67
	v_not_b32_e32 v67, v68
	v_lshlrev_b32_e32 v80, 26, v64
	v_cmp_ne_u32_e64 s14, 0, v70
	v_ashrrev_i32_e32 v83, 31, v83
	v_lshlrev_b32_e32 v81, 25, v64
	v_ashrrev_i32_e32 v67, 31, v67
	v_lshlrev_b32_e32 v70, 24, v64
	s_wait_alu 0xf1ff
	v_xor_b32_e32 v66, s14, v66
	v_cmp_gt_i32_e64 s14, 0, v68
	v_not_b32_e32 v68, v69
	v_xor_b32_e32 v83, s15, v83
	v_cmp_gt_i32_e64 s15, 0, v69
	v_and_b32_e32 v66, exec_lo, v66
	v_not_b32_e32 v69, v71
	v_ashrrev_i32_e32 v68, 31, v68
	s_wait_alu 0xf1ff
	v_xor_b32_e32 v67, s14, v67
	v_cmp_gt_i32_e64 s14, 0, v71
	v_and_b32_e32 v66, v66, v83
	v_not_b32_e32 v71, v80
	v_ashrrev_i32_e32 v69, 31, v69
	v_xor_b32_e32 v68, s15, v68
	v_cmp_gt_i32_e64 s15, 0, v80
	v_and_b32_e32 v66, v66, v67
	v_not_b32_e32 v67, v81
	v_ashrrev_i32_e32 v71, 31, v71
	s_wait_alu 0xf1ff
	v_xor_b32_e32 v69, s14, v69
	v_cmp_gt_i32_e64 s14, 0, v81
	v_and_b32_e32 v66, v66, v68
	v_not_b32_e32 v68, v70
	v_ashrrev_i32_e32 v67, 31, v67
	v_xor_b32_e32 v71, s15, v71
	v_lshl_add_u32 v64, v64, 3, v101
	v_and_b32_e32 v66, v66, v69
	v_cmp_gt_i32_e64 s15, 0, v70
	v_ashrrev_i32_e32 v68, 31, v68
	s_wait_alu 0xf1ff
	v_xor_b32_e32 v67, s14, v67
	v_lshl_add_u32 v64, v64, 2, v12
	v_and_b32_e32 v66, v66, v71
	v_xor_b32_e32 v68, s15, v68
	ds_load_b32 v164, v64 offset:32
	v_and_b32_e32 v66, v66, v67
	v_add_nc_u32_e32 v64, 32, v64
	; wave barrier
	s_delay_alu instid0(VALU_DEP_2) | instskip(NEXT) | instid1(VALU_DEP_1)
	v_and_b32_e32 v66, v66, v68
	v_mbcnt_lo_u32_b32 v165, v66, 0
	v_cmp_ne_u32_e64 s15, 0, v66
	s_delay_alu instid0(VALU_DEP_2)
	v_cmp_eq_u32_e64 s14, 0, v165
	s_and_b32 s15, s15, s14
	s_wait_alu 0xfffe
	s_and_saveexec_b32 s14, s15
	s_cbranch_execz .LBB1330_188
; %bb.187:                              ;   in Loop: Header=BB1330_172 Depth=1
	s_wait_dscnt 0x0
	v_bcnt_u32_b32 v66, v66, v164
	ds_store_b32 v64, v66
.LBB1330_188:                           ;   in Loop: Header=BB1330_172 Depth=1
	s_wait_alu 0xfffe
	s_or_b32 exec_lo, exec_lo, s14
	; wave barrier
	s_wait_loadcnt_dscnt 0x0
	s_barrier_signal -1
	s_barrier_wait -1
	global_inv scope:SCOPE_SE
	ds_load_b32 v67, v25
	ds_load_b32 v68, v86
	;; [unrolled: 1-line block ×8, first 2 shown]
	s_wait_dscnt 0x6
	v_add_nc_u32_e32 v83, v68, v67
	s_wait_dscnt 0x4
	s_delay_alu instid0(VALU_DEP_1) | instskip(SKIP_1) | instid1(VALU_DEP_1)
	v_add3_u32 v83, v83, v69, v70
	s_wait_dscnt 0x2
	v_add3_u32 v83, v83, v71, v80
	s_wait_dscnt 0x0
	s_delay_alu instid0(VALU_DEP_1) | instskip(NEXT) | instid1(VALU_DEP_1)
	v_add3_u32 v81, v83, v66, v81
	v_mov_b32_dpp v83, v81 row_shr:1 row_mask:0xf bank_mask:0xf
	s_wait_alu 0xfffd
	s_delay_alu instid0(VALU_DEP_1) | instskip(NEXT) | instid1(VALU_DEP_1)
	v_cndmask_b32_e64 v83, v83, 0, vcc_lo
	v_add_nc_u32_e32 v81, v83, v81
	s_delay_alu instid0(VALU_DEP_1) | instskip(NEXT) | instid1(VALU_DEP_1)
	v_mov_b32_dpp v83, v81 row_shr:2 row_mask:0xf bank_mask:0xf
	v_cndmask_b32_e64 v83, 0, v83, s0
	s_delay_alu instid0(VALU_DEP_1) | instskip(NEXT) | instid1(VALU_DEP_1)
	v_add_nc_u32_e32 v81, v81, v83
	v_mov_b32_dpp v83, v81 row_shr:4 row_mask:0xf bank_mask:0xf
	s_delay_alu instid0(VALU_DEP_1) | instskip(NEXT) | instid1(VALU_DEP_1)
	v_cndmask_b32_e64 v83, 0, v83, s1
	v_add_nc_u32_e32 v81, v81, v83
	s_delay_alu instid0(VALU_DEP_1) | instskip(NEXT) | instid1(VALU_DEP_1)
	v_mov_b32_dpp v83, v81 row_shr:8 row_mask:0xf bank_mask:0xf
	v_cndmask_b32_e64 v83, 0, v83, s3
	s_delay_alu instid0(VALU_DEP_1) | instskip(SKIP_3) | instid1(VALU_DEP_1)
	v_add_nc_u32_e32 v81, v81, v83
	ds_swizzle_b32 v83, v81 offset:swizzle(BROADCAST,32,15)
	s_wait_dscnt 0x0
	v_cndmask_b32_e64 v83, v83, 0, s4
	v_add_nc_u32_e32 v81, v81, v83
	s_and_saveexec_b32 s14, s5
; %bb.189:                              ;   in Loop: Header=BB1330_172 Depth=1
	ds_store_b32 v112, v81
; %bb.190:                              ;   in Loop: Header=BB1330_172 Depth=1
	s_wait_alu 0xfffe
	s_or_b32 exec_lo, exec_lo, s14
	s_wait_loadcnt_dscnt 0x0
	s_barrier_signal -1
	s_barrier_wait -1
	global_inv scope:SCOPE_SE
	s_and_saveexec_b32 s14, s6
	s_cbranch_execz .LBB1330_192
; %bb.191:                              ;   in Loop: Header=BB1330_172 Depth=1
	ds_load_b32 v83, v102
	s_wait_dscnt 0x0
	v_mov_b32_dpp v85, v83 row_shr:1 row_mask:0xf bank_mask:0xf
	s_delay_alu instid0(VALU_DEP_1) | instskip(NEXT) | instid1(VALU_DEP_1)
	v_cndmask_b32_e64 v85, v85, 0, s11
	v_add_nc_u32_e32 v83, v85, v83
	s_delay_alu instid0(VALU_DEP_1) | instskip(NEXT) | instid1(VALU_DEP_1)
	v_mov_b32_dpp v85, v83 row_shr:2 row_mask:0xf bank_mask:0xf
	v_cndmask_b32_e64 v85, 0, v85, s12
	s_delay_alu instid0(VALU_DEP_1) | instskip(NEXT) | instid1(VALU_DEP_1)
	v_add_nc_u32_e32 v83, v83, v85
	v_mov_b32_dpp v85, v83 row_shr:4 row_mask:0xf bank_mask:0xf
	s_delay_alu instid0(VALU_DEP_1) | instskip(NEXT) | instid1(VALU_DEP_1)
	v_cndmask_b32_e64 v85, 0, v85, s13
	v_add_nc_u32_e32 v83, v83, v85
	ds_store_b32 v102, v83
.LBB1330_192:                           ;   in Loop: Header=BB1330_172 Depth=1
	s_wait_alu 0xfffe
	s_or_b32 exec_lo, exec_lo, s14
	v_mov_b32_e32 v83, 0
	s_wait_loadcnt_dscnt 0x0
	s_barrier_signal -1
	s_barrier_wait -1
	global_inv scope:SCOPE_SE
	s_and_saveexec_b32 s14, s7
; %bb.193:                              ;   in Loop: Header=BB1330_172 Depth=1
	ds_load_b32 v83, v114
; %bb.194:                              ;   in Loop: Header=BB1330_172 Depth=1
	s_wait_alu 0xfffe
	s_or_b32 exec_lo, exec_lo, s14
	s_wait_dscnt 0x0
	v_add_nc_u32_e32 v81, v83, v81
	v_dual_mov_b32 v85, v5 :: v_dual_add_nc_u32 v10, 8, v10
	s_mov_b32 s20, -1
	ds_bpermute_b32 v81, v103, v81
	s_wait_dscnt 0x0
	v_cndmask_b32_e64 v81, v81, v83, s2
	v_mov_b32_e32 v83, v5
	s_delay_alu instid0(VALU_DEP_2) | instskip(NEXT) | instid1(VALU_DEP_1)
	v_cndmask_b32_e64 v81, v81, 0, s10
	v_add_nc_u32_e32 v67, v81, v67
	s_delay_alu instid0(VALU_DEP_1)
	v_add_nc_u32_e32 v68, v67, v68
	ds_store_b32 v25, v81
	ds_store_b32 v86, v67
	ds_store_b32 v87, v68
	v_mov_b32_e32 v67, v5
	v_add_nc_u32_e32 v69, v68, v69
	s_delay_alu instid0(VALU_DEP_1) | instskip(NEXT) | instid1(VALU_DEP_1)
	v_add_nc_u32_e32 v70, v69, v70
	v_add_nc_u32_e32 v71, v70, v71
	s_delay_alu instid0(VALU_DEP_1) | instskip(NEXT) | instid1(VALU_DEP_1)
	v_add_nc_u32_e32 v80, v71, v80
	v_add_nc_u32_e32 v66, v80, v66
	ds_store_b32 v96, v69
	ds_store_b32 v97, v70
	;; [unrolled: 1-line block ×5, first 2 shown]
	s_wait_loadcnt_dscnt 0x0
	s_barrier_signal -1
	s_barrier_wait -1
	global_inv scope:SCOPE_SE
	ds_load_b32 v32, v32
	ds_load_b32 v35, v35
	;; [unrolled: 1-line block ×8, first 2 shown]
	v_mov_b32_e32 v81, v5
	v_mov_b32_e32 v71, v5
	;; [unrolled: 1-line block ×4, first 2 shown]
	v_cmp_lt_u32_e64 s14, v10, v11
	s_wait_loadcnt_dscnt 0x0
	v_add_nc_u32_e32 v4, v32, v4
	v_add3_u32 v66, v34, v33, v35
	v_add3_u32 v70, v37, v36, v38
	;; [unrolled: 1-line block ×5, first 2 shown]
	v_lshlrev_b64_e32 v[32:33], 2, v[4:5]
	v_add3_u32 v82, v84, v82, v166
	v_add3_u32 v84, v165, v164, v167
	v_lshlrev_b64_e32 v[33:34], 2, v[66:67]
	v_lshlrev_b64_e32 v[34:35], 2, v[70:71]
	;; [unrolled: 1-line block ×7, first 2 shown]
	v_add_co_u32 v180, null, v12, v32
	v_add_co_u32 v179, null, v12, v33
	;; [unrolled: 1-line block ×8, first 2 shown]
                                        ; implicit-def: $vgpr164
                                        ; implicit-def: $vgpr85
                                        ; implicit-def: $vgpr81
                                        ; implicit-def: $vgpr71
                                        ; implicit-def: $vgpr69
                                        ; implicit-def: $vgpr67
                                        ; implicit-def: $vgpr65
                                        ; implicit-def: $vgpr83
                                        ; implicit-def: $vgpr34_vgpr35
                                        ; implicit-def: $vgpr38_vgpr39
                                        ; implicit-def: $vgpr48_vgpr49
                                        ; implicit-def: $vgpr50_vgpr51
                                        ; implicit-def: $vgpr52_vgpr53
                                        ; implicit-def: $vgpr54_vgpr55
                                        ; implicit-def: $vgpr32_vgpr33
                                        ; implicit-def: $vgpr36_vgpr37
	s_and_saveexec_b32 s15, s14
	s_cbranch_execz .LBB1330_171
; %bb.195:                              ;   in Loop: Header=BB1330_172 Depth=1
	v_lshl_add_u32 v32, v4, 2, v180
	v_lshl_add_u32 v33, v66, 2, v179
	;; [unrolled: 1-line block ×3, first 2 shown]
	s_barrier_signal -1
	s_barrier_wait -1
	global_inv scope:SCOPE_SE
	ds_store_b32 v180, v148
	ds_store_b32 v179, v163
	;; [unrolled: 1-line block ×8, first 2 shown]
	s_wait_loadcnt_dscnt 0x0
	s_barrier_signal -1
	s_barrier_wait -1
	global_inv scope:SCOPE_SE
	ds_load_b32 v83, v113
	ds_load_b32 v65, v115
	ds_load_b32 v67, v116
	ds_load_b32 v69, v117
	ds_load_b32 v71, v128
	ds_load_b32 v81, v129
	ds_load_b32 v85, v130
	ds_load_b32 v164, v131
	s_wait_loadcnt_dscnt 0x0
	s_barrier_signal -1
	s_barrier_wait -1
	global_inv scope:SCOPE_SE
	ds_store_b64 v32, v[22:23]
	ds_store_b64 v33, v[19:20]
	;; [unrolled: 1-line block ×3, first 2 shown]
	v_lshl_add_u32 v32, v64, 2, v177
	v_lshl_add_u32 v33, v68, 2, v176
	;; [unrolled: 1-line block ×5, first 2 shown]
	ds_store_b64 v32, v[8:9]
	ds_store_b64 v33, v[15:16]
	;; [unrolled: 1-line block ×5, first 2 shown]
	s_wait_loadcnt_dscnt 0x0
	s_barrier_signal -1
	s_barrier_wait -1
	global_inv scope:SCOPE_SE
	ds_load_b64 v[34:35], v118
	ds_load_b64 v[38:39], v132
	;; [unrolled: 1-line block ×8, first 2 shown]
	v_add_nc_u32_e32 v147, -8, v147
	s_xor_b32 s20, exec_lo, -1
	s_wait_loadcnt_dscnt 0x0
	s_barrier_signal -1
	s_barrier_wait -1
	global_inv scope:SCOPE_SE
	s_branch .LBB1330_171
.LBB1330_196:
	flat_load_b64 v[64:65], v[4:5]
	s_wait_alu 0xfffe
	s_or_b32 exec_lo, exec_lo, s17
                                        ; implicit-def: $vgpr70_vgpr71
	s_and_saveexec_b32 s17, s0
	s_cbranch_execz .LBB1330_36
.LBB1330_197:
	flat_load_b64 v[70:71], v[4:5] offset:256
	s_wait_alu 0xfffe
	s_or_b32 exec_lo, exec_lo, s17
                                        ; implicit-def: $vgpr66_vgpr67
	s_and_saveexec_b32 s0, s1
	s_cbranch_execz .LBB1330_37
.LBB1330_198:
	flat_load_b64 v[66:67], v[4:5] offset:512
	s_wait_alu 0xfffe
	s_or_b32 exec_lo, exec_lo, s0
                                        ; implicit-def: $vgpr68_vgpr69
	s_and_saveexec_b32 s0, s2
	s_cbranch_execz .LBB1330_38
.LBB1330_199:
	flat_load_b64 v[68:69], v[4:5] offset:768
	s_wait_alu 0xfffe
	s_or_b32 exec_lo, exec_lo, s0
                                        ; implicit-def: $vgpr82_vgpr83
	s_and_saveexec_b32 s0, s3
	s_cbranch_execz .LBB1330_39
.LBB1330_200:
	flat_load_b64 v[82:83], v[4:5] offset:1024
	s_wait_alu 0xfffe
	s_or_b32 exec_lo, exec_lo, s0
                                        ; implicit-def: $vgpr80_vgpr81
	s_and_saveexec_b32 s0, s4
	s_cbranch_execz .LBB1330_40
.LBB1330_201:
	flat_load_b64 v[80:81], v[4:5] offset:1280
	s_wait_alu 0xfffe
	s_or_b32 exec_lo, exec_lo, s0
                                        ; implicit-def: $vgpr84_vgpr85
	s_and_saveexec_b32 s0, s5
	s_cbranch_execz .LBB1330_41
.LBB1330_202:
	flat_load_b64 v[84:85], v[4:5] offset:1536
	s_wait_alu 0xfffe
	s_or_b32 exec_lo, exec_lo, s0
                                        ; implicit-def: $vgpr86_vgpr87
	s_and_saveexec_b32 s0, s6
	s_cbranch_execz .LBB1330_42
.LBB1330_203:
	flat_load_b64 v[86:87], v[4:5] offset:1792
	s_wait_alu 0xfffe
	s_or_b32 exec_lo, exec_lo, s0
                                        ; implicit-def: $vgpr96_vgpr97
	s_and_saveexec_b32 s0, s7
	s_cbranch_execz .LBB1330_43
.LBB1330_204:
	flat_load_b64 v[96:97], v[4:5] offset:2048
	s_wait_alu 0xfffe
	s_or_b32 exec_lo, exec_lo, s0
                                        ; implicit-def: $vgpr98_vgpr99
	s_and_saveexec_b32 s0, s10
	s_cbranch_execz .LBB1330_44
.LBB1330_205:
	flat_load_b64 v[98:99], v[4:5] offset:2304
	s_wait_alu 0xfffe
	s_or_b32 exec_lo, exec_lo, s0
                                        ; implicit-def: $vgpr100_vgpr101
	s_and_saveexec_b32 s0, s11
	s_cbranch_execz .LBB1330_45
.LBB1330_206:
	flat_load_b64 v[100:101], v[4:5] offset:2560
	s_wait_alu 0xfffe
	s_or_b32 exec_lo, exec_lo, s0
                                        ; implicit-def: $vgpr102_vgpr103
	s_and_saveexec_b32 s0, s12
	s_cbranch_execz .LBB1330_46
.LBB1330_207:
	flat_load_b64 v[102:103], v[4:5] offset:2816
	s_wait_alu 0xfffe
	s_or_b32 exec_lo, exec_lo, s0
                                        ; implicit-def: $vgpr112_vgpr113
	s_and_saveexec_b32 s0, s13
	s_cbranch_execz .LBB1330_47
.LBB1330_208:
	flat_load_b64 v[112:113], v[4:5] offset:3072
	s_wait_alu 0xfffe
	s_or_b32 exec_lo, exec_lo, s0
                                        ; implicit-def: $vgpr117_vgpr118
	s_and_saveexec_b32 s0, s14
	s_cbranch_execz .LBB1330_48
.LBB1330_209:
	flat_load_b64 v[117:118], v[4:5] offset:3328
	s_wait_alu 0xfffe
	s_or_b32 exec_lo, exec_lo, s0
                                        ; implicit-def: $vgpr149_vgpr150
	s_and_saveexec_b32 s0, s15
	s_cbranch_execz .LBB1330_49
.LBB1330_210:
	flat_load_b64 v[149:150], v[4:5] offset:3584
	s_wait_alu 0xfffe
	s_or_b32 exec_lo, exec_lo, s0
                                        ; implicit-def: $vgpr160_vgpr161
	s_and_saveexec_b32 s0, s16
	s_cbranch_execnz .LBB1330_50
	s_branch .LBB1330_51
.LBB1330_211:
	flat_store_b64 v[0:1], v[36:37]
	s_wait_alu 0xfffe
	s_or_b32 exec_lo, exec_lo, s17
	s_and_saveexec_b32 s17, s0
	s_cbranch_execz .LBB1330_127
.LBB1330_212:
	flat_store_b64 v[0:1], v[38:39] offset:2048
	s_wait_alu 0xfffe
	s_or_b32 exec_lo, exec_lo, s17
	s_and_saveexec_b32 s0, s1
	s_cbranch_execz .LBB1330_128
.LBB1330_213:
	flat_store_b64 v[0:1], v[32:33] offset:4096
	s_wait_alu 0xfffe
	s_or_b32 exec_lo, exec_lo, s0
	s_and_saveexec_b32 s0, s2
	s_cbranch_execz .LBB1330_129
.LBB1330_214:
	flat_store_b64 v[0:1], v[34:35] offset:6144
	s_wait_alu 0xfffe
	s_or_b32 exec_lo, exec_lo, s0
	s_and_saveexec_b32 s0, s3
	s_cbranch_execz .LBB1330_130
.LBB1330_215:
	flat_store_b64 v[0:1], v[28:29] offset:8192
	s_wait_alu 0xfffe
	s_or_b32 exec_lo, exec_lo, s0
	s_and_saveexec_b32 s0, s4
	s_cbranch_execz .LBB1330_131
.LBB1330_216:
	flat_store_b64 v[0:1], v[30:31] offset:10240
	s_wait_alu 0xfffe
	s_or_b32 exec_lo, exec_lo, s0
	s_and_saveexec_b32 s0, s5
	s_cbranch_execz .LBB1330_132
.LBB1330_217:
	flat_store_b64 v[0:1], v[24:25] offset:12288
	s_wait_alu 0xfffe
	s_or_b32 exec_lo, exec_lo, s0
	s_and_saveexec_b32 s0, s6
	s_cbranch_execz .LBB1330_133
.LBB1330_218:
	flat_store_b64 v[0:1], v[26:27] offset:14336
	s_wait_alu 0xfffe
	s_or_b32 exec_lo, exec_lo, s0
	s_and_saveexec_b32 s0, s7
	s_cbranch_execz .LBB1330_134
.LBB1330_219:
	flat_store_b64 v[0:1], v[20:21] offset:16384
	s_wait_alu 0xfffe
	s_or_b32 exec_lo, exec_lo, s0
	s_and_saveexec_b32 s0, s10
	s_cbranch_execz .LBB1330_135
.LBB1330_220:
	flat_store_b64 v[0:1], v[22:23] offset:18432
	s_wait_alu 0xfffe
	s_or_b32 exec_lo, exec_lo, s0
	s_and_saveexec_b32 s0, s11
	s_cbranch_execz .LBB1330_136
.LBB1330_221:
	flat_store_b64 v[0:1], v[16:17] offset:20480
	s_wait_alu 0xfffe
	s_or_b32 exec_lo, exec_lo, s0
	s_and_saveexec_b32 s0, s12
	s_cbranch_execz .LBB1330_137
.LBB1330_222:
	flat_store_b64 v[0:1], v[18:19] offset:22528
	s_wait_alu 0xfffe
	s_or_b32 exec_lo, exec_lo, s0
	s_and_saveexec_b32 s0, s13
	s_cbranch_execz .LBB1330_138
.LBB1330_223:
	flat_store_b64 v[0:1], v[12:13] offset:24576
	s_wait_alu 0xfffe
	s_or_b32 exec_lo, exec_lo, s0
	s_and_saveexec_b32 s0, s14
	s_cbranch_execz .LBB1330_139
.LBB1330_224:
	flat_store_b64 v[0:1], v[14:15] offset:26624
	s_wait_alu 0xfffe
	s_or_b32 exec_lo, exec_lo, s0
	s_and_saveexec_b32 s0, s15
	s_cbranch_execz .LBB1330_140
.LBB1330_225:
	flat_store_b64 v[0:1], v[8:9] offset:28672
	s_wait_alu 0xfffe
	s_or_b32 exec_lo, exec_lo, s0
	s_and_saveexec_b32 s0, s16
	s_cbranch_execnz .LBB1330_141
	s_branch .LBB1330_142
.LBB1330_226:
	s_or_b32 exec_lo, exec_lo, s19
	v_lshl_add_u32 v4, v4, 2, v180
	v_lshl_add_u32 v5, v66, 2, v179
	;; [unrolled: 1-line block ×3, first 2 shown]
	s_barrier_signal -1
	s_barrier_wait -1
	s_wait_loadcnt 0x0
	global_inv scope:SCOPE_SE
	ds_store_b32 v180, v148
	ds_store_b32 v179, v163
	;; [unrolled: 1-line block ×8, first 2 shown]
	s_wait_loadcnt_dscnt 0x0
	s_barrier_signal -1
	s_barrier_wait -1
	global_inv scope:SCOPE_SE
	ds_load_2addr_stride64_b32 v[38:39], v102 offset1:4
	ds_load_2addr_stride64_b32 v[36:37], v102 offset0:8 offset1:12
	ds_load_2addr_stride64_b32 v[34:35], v102 offset0:16 offset1:20
	;; [unrolled: 1-line block ×3, first 2 shown]
	s_wait_loadcnt_dscnt 0x0
	s_barrier_signal -1
	s_barrier_wait -1
	global_inv scope:SCOPE_SE
	ds_store_b64 v4, v[22:23]
	ds_store_b64 v5, v[19:20]
	;; [unrolled: 1-line block ×3, first 2 shown]
	v_lshl_add_u32 v4, v64, 2, v177
	v_lshl_add_u32 v5, v68, 2, v176
	;; [unrolled: 1-line block ×5, first 2 shown]
	ds_store_b64 v4, v[8:9]
	ds_store_b64 v5, v[15:16]
	;; [unrolled: 1-line block ×5, first 2 shown]
	v_lshl_add_u32 v4, v21, 3, v12
	s_wait_loadcnt_dscnt 0x0
	s_barrier_signal -1
	s_barrier_wait -1
	global_inv scope:SCOPE_SE
	ds_load_2addr_stride64_b64 v[20:23], v4 offset1:4
	ds_load_2addr_stride64_b64 v[16:19], v4 offset0:8 offset1:12
	ds_load_2addr_stride64_b64 v[12:15], v4 offset0:16 offset1:20
	;; [unrolled: 1-line block ×3, first 2 shown]
	v_mov_b32_e32 v25, 0
	v_add_co_u32 v2, vcc_lo, v2, v26
	s_wait_alu 0xfffd
	v_add_co_ci_u32_e64 v3, null, v3, v27, vcc_lo
	s_delay_alu instid0(VALU_DEP_3)
	v_lshlrev_b64_e32 v[4:5], 2, v[24:25]
	s_wait_loadcnt_dscnt 0x0
	s_barrier_signal -1
	s_barrier_wait -1
	global_inv scope:SCOPE_SE
	v_add_co_u32 v2, vcc_lo, v2, v4
	s_wait_alu 0xfffd
	v_add_co_ci_u32_e64 v3, null, v3, v5, vcc_lo
	v_cmp_lt_u32_e32 vcc_lo, v24, v119
	s_and_saveexec_b32 s1, vcc_lo
	s_cbranch_execz .LBB1330_228
; %bb.227:
	v_cmp_gt_i32_e64 s0, 0, v38
	s_wait_alu 0xf1ff
	s_delay_alu instid0(VALU_DEP_1) | instskip(NEXT) | instid1(VALU_DEP_1)
	v_cndmask_b32_e64 v4, 0x7fffffff, 0, s0
	v_xor_b32_e32 v4, v4, v38
	flat_store_b32 v[2:3], v4
.LBB1330_228:
	s_wait_alu 0xfffe
	s_or_b32 exec_lo, exec_lo, s1
	v_add_nc_u32_e32 v4, 0x100, v24
	s_delay_alu instid0(VALU_DEP_1)
	v_cmp_lt_u32_e64 s0, v4, v119
	s_and_saveexec_b32 s2, s0
	s_cbranch_execz .LBB1330_230
; %bb.229:
	v_cmp_gt_i32_e64 s1, 0, v39
	s_wait_alu 0xf1ff
	s_delay_alu instid0(VALU_DEP_1) | instskip(NEXT) | instid1(VALU_DEP_1)
	v_cndmask_b32_e64 v4, 0x7fffffff, 0, s1
	v_xor_b32_e32 v4, v4, v39
	flat_store_b32 v[2:3], v4 offset:1024
.LBB1330_230:
	s_wait_alu 0xfffe
	s_or_b32 exec_lo, exec_lo, s2
	v_add_nc_u32_e32 v4, 0x200, v24
	s_delay_alu instid0(VALU_DEP_1)
	v_cmp_lt_u32_e64 s1, v4, v119
	s_and_saveexec_b32 s3, s1
	s_cbranch_execz .LBB1330_232
; %bb.231:
	v_cmp_gt_i32_e64 s2, 0, v36
	s_wait_alu 0xf1ff
	s_delay_alu instid0(VALU_DEP_1) | instskip(NEXT) | instid1(VALU_DEP_1)
	v_cndmask_b32_e64 v4, 0x7fffffff, 0, s2
	v_xor_b32_e32 v4, v4, v36
	flat_store_b32 v[2:3], v4 offset:2048
.LBB1330_232:
	;; [unrolled: 15-line block ×7, first 2 shown]
	s_wait_alu 0xfffe
	s_or_b32 exec_lo, exec_lo, s10
	v_lshlrev_b64_e32 v[2:3], 3, v[24:25]
	v_add_co_u32 v0, s7, v6, v0
	s_wait_alu 0xf1ff
	v_add_co_ci_u32_e64 v1, null, v7, v1, s7
	s_delay_alu instid0(VALU_DEP_2) | instskip(SKIP_1) | instid1(VALU_DEP_2)
	v_add_co_u32 v0, s7, v0, v2
	s_wait_alu 0xf1ff
	v_add_co_ci_u32_e64 v1, null, v1, v3, s7
	s_and_saveexec_b32 s7, vcc_lo
	s_cbranch_execnz .LBB1330_292
; %bb.243:
	s_wait_alu 0xfffe
	s_or_b32 exec_lo, exec_lo, s7
	s_and_saveexec_b32 s7, s0
	s_cbranch_execnz .LBB1330_293
.LBB1330_244:
	s_wait_alu 0xfffe
	s_or_b32 exec_lo, exec_lo, s7
	s_and_saveexec_b32 s0, s1
	s_cbranch_execnz .LBB1330_294
.LBB1330_245:
	s_wait_alu 0xfffe
	s_or_b32 exec_lo, exec_lo, s0
	s_and_saveexec_b32 s0, s2
	s_cbranch_execnz .LBB1330_295
.LBB1330_246:
	s_wait_alu 0xfffe
	s_or_b32 exec_lo, exec_lo, s0
	s_and_saveexec_b32 s0, s3
	s_cbranch_execnz .LBB1330_296
.LBB1330_247:
	s_wait_alu 0xfffe
	s_or_b32 exec_lo, exec_lo, s0
	s_and_saveexec_b32 s0, s4
	s_cbranch_execnz .LBB1330_297
.LBB1330_248:
	s_wait_alu 0xfffe
	s_or_b32 exec_lo, exec_lo, s0
	s_and_saveexec_b32 s0, s5
	s_cbranch_execnz .LBB1330_298
.LBB1330_249:
	s_wait_alu 0xfffe
	s_or_b32 exec_lo, exec_lo, s0
	s_and_saveexec_b32 s0, s6
	s_cbranch_execz .LBB1330_251
.LBB1330_250:
	flat_store_b64 v[0:1], v[10:11] offset:14336
.LBB1330_251:
	s_wait_alu 0xfffe
	s_or_b32 exec_lo, exec_lo, s0
                                        ; implicit-def: $vgpr119
                                        ; implicit-def: $vgpr0
                                        ; implicit-def: $vgpr1
                                        ; implicit-def: $vgpr2
                                        ; implicit-def: $vgpr3
                                        ; implicit-def: $vgpr4
                                        ; implicit-def: $vgpr5
                                        ; implicit-def: $vgpr6
                                        ; implicit-def: $vgpr7
                                        ; implicit-def: $vgpr8
                                        ; implicit-def: $vgpr10
                                        ; implicit-def: $vgpr11
                                        ; implicit-def: $vgpr12
                                        ; implicit-def: $vgpr9
                                        ; implicit-def: $vgpr13
                                        ; implicit-def: $vgpr21
                                        ; implicit-def: $vgpr114
.LBB1330_252:
	s_wait_alu 0xfffe
	s_and_not1_saveexec_b32 s0, s16
	s_cbranch_execz .LBB1330_372
; %bb.253:
	s_mov_b32 s0, exec_lo
	v_cmpx_lt_u32_e32 0x200, v119
	s_wait_alu 0xfffe
	s_xor_b32 s16, exec_lo, s0
	s_cbranch_execz .LBB1330_313
; %bb.254:
	s_load_b64 s[0:1], s[8:9], 0x0
	s_and_b32 s2, ttmp7, 0xffff
	s_mov_b32 s3, 0
	v_lshlrev_b32_e32 v16, 2, v114
	s_wait_kmcnt 0x0
	s_wait_alu 0xfffe
	s_cmp_lt_u32 s2, s1
	s_cselect_b32 s2, 14, 20
	s_cmp_lt_u32 ttmp9, s0
	s_wait_alu 0xfffe
	s_add_nc_u64 s[4:5], s[8:9], s[2:3]
	s_cselect_b32 s2, 12, 18
	s_load_u16 s4, s[4:5], 0x0
	s_add_nc_u64 s[0:1], s[8:9], s[2:3]
	s_load_u16 s0, s[0:1], 0x0
	s_wait_kmcnt 0x0
	v_mad_u32_u24 v9, v13, s4, v9
	s_delay_alu instid0(VALU_DEP_1) | instskip(SKIP_2) | instid1(VALU_DEP_2)
	v_mad_co_u64_u32 v[17:18], null, v9, s0, v[21:22]
	v_mov_b32_e32 v9, 0
	v_mov_b32_e32 v13, -1
	v_lshlrev_b64_e32 v[19:20], 2, v[8:9]
	s_delay_alu instid0(VALU_DEP_4) | instskip(NEXT) | instid1(VALU_DEP_3)
	v_dual_mov_b32 v23, v9 :: v_dual_lshlrev_b32 v18, 2, v17
	v_dual_mov_b32 v14, v13 :: v_dual_mov_b32 v15, v13
	s_delay_alu instid0(VALU_DEP_2) | instskip(NEXT) | instid1(VALU_DEP_4)
	v_and_b32_e32 v22, 0xffffff80, v18
	v_add_co_u32 v24, vcc_lo, v0, v19
	s_wait_alu 0xfffd
	v_add_co_ci_u32_e64 v25, null, v1, v20, vcc_lo
	s_delay_alu instid0(VALU_DEP_3) | instskip(NEXT) | instid1(VALU_DEP_3)
	v_lshlrev_b64_e32 v[0:1], 2, v[22:23]
	v_add_co_u32 v16, vcc_lo, v24, v16
	v_or_b32_e32 v18, v22, v114
	s_wait_alu 0xfffd
	v_add_co_ci_u32_e64 v24, null, 0, v25, vcc_lo
	s_delay_alu instid0(VALU_DEP_3) | instskip(NEXT) | instid1(VALU_DEP_3)
	v_add_co_u32 v0, s0, v16, v0
	v_cmp_lt_u32_e32 vcc_lo, v18, v119
	s_wait_alu 0xf1ff
	s_delay_alu instid0(VALU_DEP_3)
	v_add_co_ci_u32_e64 v1, null, v24, v1, s0
	v_mov_b32_e32 v16, v13
	s_and_saveexec_b32 s0, vcc_lo
	s_cbranch_execz .LBB1330_256
; %bb.255:
	flat_load_b32 v24, v[0:1]
	v_dual_mov_b32 v25, v13 :: v_dual_mov_b32 v26, v13
	v_mov_b32_e32 v27, v13
	s_wait_loadcnt_dscnt 0x0
	s_delay_alu instid0(VALU_DEP_2) | instskip(NEXT) | instid1(VALU_DEP_2)
	v_dual_mov_b32 v13, v24 :: v_dual_mov_b32 v14, v25
	v_dual_mov_b32 v15, v26 :: v_dual_mov_b32 v16, v27
.LBB1330_256:
	s_wait_alu 0xfffe
	s_or_b32 exec_lo, exec_lo, s0
	v_or_b32_e32 v24, 32, v18
	s_delay_alu instid0(VALU_DEP_1)
	v_cmp_lt_u32_e64 s0, v24, v119
	s_and_saveexec_b32 s1, s0
	s_cbranch_execz .LBB1330_258
; %bb.257:
	flat_load_b32 v14, v[0:1] offset:128
.LBB1330_258:
	s_wait_alu 0xfffe
	s_or_b32 exec_lo, exec_lo, s1
	v_or_b32_e32 v24, 64, v18
	s_delay_alu instid0(VALU_DEP_1)
	v_cmp_lt_u32_e64 s1, v24, v119
	s_and_saveexec_b32 s2, s1
	s_cbranch_execz .LBB1330_260
; %bb.259:
	flat_load_b32 v15, v[0:1] offset:256
.LBB1330_260:
	;; [unrolled: 10-line block ×3, first 2 shown]
	s_wait_alu 0xfffe
	s_or_b32 exec_lo, exec_lo, s3
	v_lshlrev_b64_e32 v[0:1], 3, v[8:9]
	v_lshlrev_b32_e32 v8, 3, v114
                                        ; implicit-def: $vgpr26_vgpr27
	s_delay_alu instid0(VALU_DEP_2) | instskip(SKIP_1) | instid1(VALU_DEP_3)
	v_add_co_u32 v9, s3, v4, v0
	s_wait_alu 0xf1ff
	v_add_co_ci_u32_e64 v18, null, v5, v1, s3
	v_lshlrev_b64_e32 v[4:5], 3, v[22:23]
	s_delay_alu instid0(VALU_DEP_3) | instskip(SKIP_1) | instid1(VALU_DEP_3)
	v_add_co_u32 v8, s3, v9, v8
	s_wait_alu 0xf1ff
	v_add_co_ci_u32_e64 v9, null, 0, v18, s3
	s_delay_alu instid0(VALU_DEP_2) | instskip(SKIP_1) | instid1(VALU_DEP_2)
	v_add_co_u32 v4, s3, v8, v4
	s_wait_alu 0xf1ff
	v_add_co_ci_u32_e64 v5, null, v9, v5, s3
	s_and_saveexec_b32 s3, vcc_lo
	s_cbranch_execnz .LBB1330_337
; %bb.263:
	s_wait_alu 0xfffe
	s_or_b32 exec_lo, exec_lo, s3
                                        ; implicit-def: $vgpr28_vgpr29
	s_and_saveexec_b32 s3, s0
	s_cbranch_execnz .LBB1330_338
.LBB1330_264:
	s_wait_alu 0xfffe
	s_or_b32 exec_lo, exec_lo, s3
                                        ; implicit-def: $vgpr30_vgpr31
	s_and_saveexec_b32 s0, s1
	s_cbranch_execnz .LBB1330_339
.LBB1330_265:
	s_wait_alu 0xfffe
	s_or_b32 exec_lo, exec_lo, s0
                                        ; implicit-def: $vgpr24_vgpr25
	s_and_saveexec_b32 s0, s2
	s_cbranch_execz .LBB1330_267
.LBB1330_266:
	flat_load_b64 v[24:25], v[4:5] offset:768
.LBB1330_267:
	s_wait_alu 0xfffe
	s_or_b32 exec_lo, exec_lo, s0
	v_cmp_gt_i32_e32 vcc_lo, 0, v13
	v_lshl_add_u32 v9, v21, 5, v12
	s_getpc_b64 s[0:1]
	s_wait_alu 0xfffe
	s_sext_i32_i16 s1, s1
	s_add_co_u32 s0, s0, _ZN7rocprim17ROCPRIM_400000_NS16block_radix_sortIfLj256ELj4ElLj1ELj1ELj8ELNS0_26block_radix_rank_algorithmE2ELNS0_18block_padding_hintE2ELNS0_4arch9wavefront6targetE0EE19radix_bits_per_passE@rel32@lo+12
	s_wait_alu 0xfffe
	s_add_co_ci_u32 s1, s1, _ZN7rocprim17ROCPRIM_400000_NS16block_radix_sortIfLj256ELj4ElLj1ELj1ELj8ELNS0_26block_radix_rank_algorithmE2ELNS0_18block_padding_hintE2ELNS0_4arch9wavefront6targetE0EE19radix_bits_per_passE@rel32@hi+24
	v_lshrrev_b32_e32 v53, 5, v17
	s_load_b32 s17, s[0:1], 0x0
	v_cndmask_b32_e64 v4, 0x7fffffff, 0, vcc_lo
	s_wait_loadcnt_dscnt 0x0
	v_cmp_gt_i32_e32 vcc_lo, 0, v14
	v_add_nc_u32_e32 v18, 32, v9
	v_add_nc_u32_e32 v38, 36, v9
	;; [unrolled: 1-line block ×3, first 2 shown]
	v_xor_b32_e32 v87, v4, v13
	s_wait_alu 0xfffd
	v_cndmask_b32_e64 v5, 0x7fffffff, 0, vcc_lo
	v_cmp_gt_i32_e32 vcc_lo, 0, v15
	v_add_nc_u32_e32 v48, 44, v9
	v_add_nc_u32_e32 v49, 48, v9
	v_add_nc_u32_e32 v50, 52, v9
	v_xor_b32_e32 v33, v5, v14
	s_wait_alu 0xfffd
	v_cndmask_b32_e64 v4, 0x7fffffff, 0, vcc_lo
	v_cmp_gt_i32_e32 vcc_lo, 0, v16
	v_and_b32_e32 v5, 0x3e0, v21
	v_add_nc_u32_e32 v51, 56, v9
	v_add_nc_u32_e32 v52, 60, v9
	v_xor_b32_e32 v35, v4, v15
	s_wait_alu 0xfffd
	v_cndmask_b32_e64 v8, 0x7fffffff, 0, vcc_lo
	v_and_b32_e32 v4, 15, v114
	v_min_u32_e32 v5, 0xe0, v5
	v_cmp_lt_u32_e64 s7, 31, v21
	v_cmp_eq_u32_e64 s10, 0, v21
	v_xor_b32_e32 v37, v8, v16
	v_and_b32_e32 v8, 16, v114
	v_cmp_eq_u32_e32 vcc_lo, 0, v4
	v_cmp_lt_u32_e64 s0, 1, v4
	v_cmp_lt_u32_e64 s1, 3, v4
	;; [unrolled: 1-line block ×3, first 2 shown]
	v_cmp_eq_u32_e64 s4, 0, v8
	v_lshlrev_b32_e32 v8, 2, v21
	v_or_b32_e32 v4, 31, v5
	v_sub_co_u32 v5, s3, v114, 1
	v_sub_nc_u32_e32 v82, v11, v10
	s_delay_alu instid0(VALU_DEP_4) | instskip(NEXT) | instid1(VALU_DEP_4)
	v_and_or_b32 v9, 0xf80, v8, v114
	v_cmp_eq_u32_e64 s5, v21, v4
	v_lshrrev_b32_e32 v4, 3, v21
	v_cmp_gt_i32_e64 s6, 0, v5
	v_add_co_u32 v54, null, v12, v8
	v_lshlrev_b32_e32 v9, 2, v9
	s_delay_alu instid0(VALU_DEP_4)
	v_and_b32_e32 v4, 0x7c, v4
	s_wait_alu 0xf1ff
	v_cndmask_b32_e64 v5, v5, v114, s6
	v_cmp_gt_u32_e64 s6, 8, v21
	s_mov_b32 s19, 0
	v_add_nc_u32_e32 v65, v12, v9
	v_add_nc_u32_e32 v64, v12, v4
	v_and_b32_e32 v4, 7, v114
	v_lshlrev_b32_e32 v55, 2, v5
	s_delay_alu instid0(VALU_DEP_4) | instskip(NEXT) | instid1(VALU_DEP_4)
	v_dual_mov_b32 v5, 0 :: v_dual_add_nc_u32 v66, v65, v9
	v_add_nc_u32_e32 v67, -4, v64
	s_delay_alu instid0(VALU_DEP_4)
	v_cmp_eq_u32_e64 s11, 0, v4
	v_cmp_lt_u32_e64 s12, 1, v4
	v_cmp_lt_u32_e64 s13, 3, v4
	v_add_nc_u32_e32 v68, 0x80, v65
	v_add_nc_u32_e32 v69, 0x100, v65
	;; [unrolled: 1-line block ×6, first 2 shown]
	s_wait_storecnt 0x0
	s_barrier_signal -1
	s_barrier_wait -1
	global_inv scope:SCOPE_SE
	s_branch .LBB1330_269
.LBB1330_268:                           ;   in Loop: Header=BB1330_269 Depth=1
	s_wait_alu 0xfffe
	s_or_b32 exec_lo, exec_lo, s15
	s_delay_alu instid0(SALU_CYCLE_1)
	s_and_b32 s14, exec_lo, s20
	s_wait_alu 0xfffe
	s_or_b32 s19, s14, s19
	s_wait_alu 0xfffe
	s_and_not1_b32 exec_lo, exec_lo, s19
	s_cbranch_execz .LBB1330_299
.LBB1330_269:                           ; =>This Inner Loop Header: Depth=1
	v_dual_mov_b32 v83, v87 :: v_dual_mov_b32 v84, v37
	s_wait_kmcnt 0x0
	v_min_u32_e32 v4, s17, v82
	v_dual_mov_b32 v86, v33 :: v_dual_mov_b32 v15, v26
	s_delay_alu instid0(VALU_DEP_3) | instskip(SKIP_1) | instid1(VALU_DEP_4)
	v_cmp_ne_u32_e64 s14, 0x80000000, v83
	v_dual_mov_b32 v16, v27 :: v_dual_mov_b32 v13, v28
	v_lshlrev_b32_e64 v4, v4, -1
	v_mov_b32_e32 v14, v29
	s_wait_alu 0xf1ff
	v_cndmask_b32_e64 v8, 0x7fffffff, v83, s14
	ds_store_b32 v18, v5
	ds_store_b32 v38, v5
	;; [unrolled: 1-line block ×4, first 2 shown]
	v_not_b32_e32 v32, v4
	ds_store_b32 v49, v5
	ds_store_b32 v50, v5
	v_lshrrev_b32_e32 v4, v10, v8
	v_mov_b32_e32 v85, v35
	ds_store_b32 v51, v5
	ds_store_b32 v52, v5
	s_wait_loadcnt_dscnt 0x0
	v_and_b32_e32 v4, v4, v32
	v_dual_mov_b32 v8, v30 :: v_dual_mov_b32 v9, v31
	s_barrier_signal -1
	s_barrier_wait -1
	s_delay_alu instid0(VALU_DEP_2)
	v_and_b32_e32 v22, 1, v4
	v_lshlrev_b32_e32 v23, 30, v4
	v_lshlrev_b32_e32 v26, 29, v4
	;; [unrolled: 1-line block ×4, first 2 shown]
	v_add_co_u32 v22, s14, v22, -1
	s_wait_alu 0xf1ff
	v_cndmask_b32_e64 v28, 0, 1, s14
	v_not_b32_e32 v33, v23
	v_cmp_gt_i32_e64 s15, 0, v23
	v_not_b32_e32 v23, v26
	v_lshlrev_b32_e32 v30, 26, v4
	v_cmp_ne_u32_e64 s14, 0, v28
	v_ashrrev_i32_e32 v33, 31, v33
	v_lshlrev_b32_e32 v31, 25, v4
	v_ashrrev_i32_e32 v23, 31, v23
	v_lshlrev_b32_e32 v28, 24, v4
	s_wait_alu 0xf1ff
	v_xor_b32_e32 v22, s14, v22
	v_cmp_gt_i32_e64 s14, 0, v26
	v_not_b32_e32 v26, v27
	v_xor_b32_e32 v33, s15, v33
	v_cmp_gt_i32_e64 s15, 0, v27
	v_and_b32_e32 v22, exec_lo, v22
	v_not_b32_e32 v27, v29
	v_ashrrev_i32_e32 v26, 31, v26
	s_wait_alu 0xf1ff
	v_xor_b32_e32 v23, s14, v23
	v_cmp_gt_i32_e64 s14, 0, v29
	v_and_b32_e32 v22, v22, v33
	v_not_b32_e32 v29, v30
	v_ashrrev_i32_e32 v27, 31, v27
	v_xor_b32_e32 v26, s15, v26
	v_cmp_gt_i32_e64 s15, 0, v30
	v_and_b32_e32 v22, v22, v23
	v_not_b32_e32 v23, v31
	v_ashrrev_i32_e32 v29, 31, v29
	s_wait_alu 0xf1ff
	v_xor_b32_e32 v27, s14, v27
	v_cmp_gt_i32_e64 s14, 0, v31
	v_and_b32_e32 v22, v22, v26
	v_not_b32_e32 v26, v28
	v_ashrrev_i32_e32 v30, 31, v23
	v_xor_b32_e32 v29, s15, v29
	v_cmp_gt_i32_e64 s15, 0, v28
	v_dual_mov_b32 v22, v24 :: v_dual_and_b32 v27, v22, v27
	v_mov_b32_e32 v23, v25
	v_ashrrev_i32_e32 v24, 31, v26
	s_wait_alu 0xf1ff
	v_xor_b32_e32 v25, s14, v30
	v_and_b32_e32 v26, v27, v29
	v_lshl_add_u32 v4, v4, 3, v53
	global_inv scope:SCOPE_SE
	v_xor_b32_e32 v24, s15, v24
	v_and_b32_e32 v25, v26, v25
	v_lshlrev_b64_e32 v[26:27], 2, v[4:5]
	; wave barrier
	s_delay_alu instid0(VALU_DEP_2) | instskip(NEXT) | instid1(VALU_DEP_2)
	v_and_b32_e32 v25, v25, v24
	v_add_co_u32 v24, null, v12, v26
	s_delay_alu instid0(VALU_DEP_2) | instskip(SKIP_1) | instid1(VALU_DEP_3)
	v_mbcnt_lo_u32_b32 v4, v25, 0
	v_cmp_ne_u32_e64 s15, 0, v25
	v_add_co_u32 v24, null, v24, 32
	s_delay_alu instid0(VALU_DEP_3)
	v_cmp_eq_u32_e64 s14, 0, v4
	s_and_b32 s15, s15, s14
	s_wait_alu 0xfffe
	s_and_saveexec_b32 s14, s15
; %bb.270:                              ;   in Loop: Header=BB1330_269 Depth=1
	v_bcnt_u32_b32 v25, v25, 0
	ds_store_b32 v24, v25
; %bb.271:                              ;   in Loop: Header=BB1330_269 Depth=1
	s_wait_alu 0xfffe
	s_or_b32 exec_lo, exec_lo, s14
	v_cmp_ne_u32_e64 s14, 0x80000000, v86
	; wave barrier
	s_wait_alu 0xf1ff
	s_delay_alu instid0(VALU_DEP_1) | instskip(NEXT) | instid1(VALU_DEP_1)
	v_cndmask_b32_e64 v25, 0x7fffffff, v86, s14
	v_lshrrev_b32_e32 v25, v10, v25
	s_delay_alu instid0(VALU_DEP_1) | instskip(NEXT) | instid1(VALU_DEP_1)
	v_and_b32_e32 v25, v25, v32
	v_and_b32_e32 v26, 1, v25
	v_lshlrev_b32_e32 v27, 30, v25
	v_lshlrev_b32_e32 v28, 29, v25
	;; [unrolled: 1-line block ×4, first 2 shown]
	v_add_co_u32 v26, s14, v26, -1
	s_wait_alu 0xf1ff
	v_cndmask_b32_e64 v30, 0, 1, s14
	v_not_b32_e32 v35, v27
	v_cmp_gt_i32_e64 s15, 0, v27
	v_not_b32_e32 v27, v28
	v_lshlrev_b32_e32 v33, 26, v25
	v_cmp_ne_u32_e64 s14, 0, v30
	v_ashrrev_i32_e32 v35, 31, v35
	v_lshlrev_b32_e32 v34, 25, v25
	v_ashrrev_i32_e32 v27, 31, v27
	v_lshlrev_b32_e32 v30, 24, v25
	s_wait_alu 0xf1ff
	v_xor_b32_e32 v26, s14, v26
	v_cmp_gt_i32_e64 s14, 0, v28
	v_not_b32_e32 v28, v29
	v_xor_b32_e32 v35, s15, v35
	v_cmp_gt_i32_e64 s15, 0, v29
	v_and_b32_e32 v26, exec_lo, v26
	v_not_b32_e32 v29, v31
	v_ashrrev_i32_e32 v28, 31, v28
	s_wait_alu 0xf1ff
	v_xor_b32_e32 v27, s14, v27
	v_cmp_gt_i32_e64 s14, 0, v31
	v_and_b32_e32 v26, v26, v35
	v_not_b32_e32 v31, v33
	v_ashrrev_i32_e32 v29, 31, v29
	v_xor_b32_e32 v28, s15, v28
	v_cmp_gt_i32_e64 s15, 0, v33
	v_and_b32_e32 v26, v26, v27
	v_not_b32_e32 v27, v34
	v_ashrrev_i32_e32 v31, 31, v31
	s_wait_alu 0xf1ff
	v_xor_b32_e32 v29, s14, v29
	v_cmp_gt_i32_e64 s14, 0, v34
	v_and_b32_e32 v26, v26, v28
	v_not_b32_e32 v28, v30
	v_ashrrev_i32_e32 v27, 31, v27
	v_xor_b32_e32 v31, s15, v31
	v_lshl_add_u32 v25, v25, 3, v53
	v_and_b32_e32 v26, v26, v29
	v_cmp_gt_i32_e64 s15, 0, v30
	v_ashrrev_i32_e32 v28, 31, v28
	s_wait_alu 0xf1ff
	v_xor_b32_e32 v27, s14, v27
	v_lshl_add_u32 v29, v25, 2, v12
	v_and_b32_e32 v26, v26, v31
	v_xor_b32_e32 v28, s15, v28
	ds_load_b32 v25, v29 offset:32
	v_and_b32_e32 v26, v26, v27
	v_add_nc_u32_e32 v27, 32, v29
	; wave barrier
	s_delay_alu instid0(VALU_DEP_2) | instskip(NEXT) | instid1(VALU_DEP_1)
	v_and_b32_e32 v28, v26, v28
	v_mbcnt_lo_u32_b32 v26, v28, 0
	v_cmp_ne_u32_e64 s15, 0, v28
	s_delay_alu instid0(VALU_DEP_2)
	v_cmp_eq_u32_e64 s14, 0, v26
	s_and_b32 s15, s15, s14
	s_wait_alu 0xfffe
	s_and_saveexec_b32 s14, s15
	s_cbranch_execz .LBB1330_273
; %bb.272:                              ;   in Loop: Header=BB1330_269 Depth=1
	s_wait_dscnt 0x0
	v_bcnt_u32_b32 v28, v28, v25
	ds_store_b32 v27, v28
.LBB1330_273:                           ;   in Loop: Header=BB1330_269 Depth=1
	s_wait_alu 0xfffe
	s_or_b32 exec_lo, exec_lo, s14
	v_cmp_ne_u32_e64 s14, 0x80000000, v85
	; wave barrier
	s_wait_alu 0xf1ff
	s_delay_alu instid0(VALU_DEP_1) | instskip(NEXT) | instid1(VALU_DEP_1)
	v_cndmask_b32_e64 v28, 0x7fffffff, v85, s14
	v_lshrrev_b32_e32 v28, v10, v28
	s_delay_alu instid0(VALU_DEP_1) | instskip(NEXT) | instid1(VALU_DEP_1)
	v_and_b32_e32 v28, v28, v32
	v_and_b32_e32 v29, 1, v28
	v_lshlrev_b32_e32 v30, 30, v28
	v_lshlrev_b32_e32 v31, 29, v28
	v_lshlrev_b32_e32 v33, 28, v28
	v_lshlrev_b32_e32 v35, 27, v28
	v_add_co_u32 v29, s14, v29, -1
	s_wait_alu 0xf1ff
	v_cndmask_b32_e64 v34, 0, 1, s14
	v_not_b32_e32 v87, v30
	v_cmp_gt_i32_e64 s15, 0, v30
	v_not_b32_e32 v30, v31
	v_lshlrev_b32_e32 v36, 26, v28
	v_cmp_ne_u32_e64 s14, 0, v34
	v_ashrrev_i32_e32 v87, 31, v87
	v_lshlrev_b32_e32 v37, 25, v28
	v_ashrrev_i32_e32 v30, 31, v30
	v_lshlrev_b32_e32 v34, 24, v28
	s_wait_alu 0xf1ff
	v_xor_b32_e32 v29, s14, v29
	v_cmp_gt_i32_e64 s14, 0, v31
	v_not_b32_e32 v31, v33
	v_xor_b32_e32 v87, s15, v87
	v_cmp_gt_i32_e64 s15, 0, v33
	v_and_b32_e32 v29, exec_lo, v29
	v_not_b32_e32 v33, v35
	v_ashrrev_i32_e32 v31, 31, v31
	s_wait_alu 0xf1ff
	v_xor_b32_e32 v30, s14, v30
	v_cmp_gt_i32_e64 s14, 0, v35
	v_and_b32_e32 v29, v29, v87
	v_not_b32_e32 v35, v36
	v_ashrrev_i32_e32 v33, 31, v33
	v_xor_b32_e32 v31, s15, v31
	v_cmp_gt_i32_e64 s15, 0, v36
	v_and_b32_e32 v29, v29, v30
	v_not_b32_e32 v30, v37
	v_ashrrev_i32_e32 v35, 31, v35
	s_wait_alu 0xf1ff
	v_xor_b32_e32 v33, s14, v33
	v_cmp_gt_i32_e64 s14, 0, v37
	v_and_b32_e32 v29, v29, v31
	v_not_b32_e32 v31, v34
	v_ashrrev_i32_e32 v30, 31, v30
	v_xor_b32_e32 v35, s15, v35
	v_lshl_add_u32 v28, v28, 3, v53
	v_and_b32_e32 v29, v29, v33
	v_cmp_gt_i32_e64 s15, 0, v34
	v_ashrrev_i32_e32 v31, 31, v31
	s_wait_alu 0xf1ff
	v_xor_b32_e32 v30, s14, v30
	v_lshl_add_u32 v33, v28, 2, v12
	v_and_b32_e32 v29, v29, v35
	v_xor_b32_e32 v31, s15, v31
	ds_load_b32 v28, v33 offset:32
	v_and_b32_e32 v29, v29, v30
	v_add_nc_u32_e32 v30, 32, v33
	; wave barrier
	s_delay_alu instid0(VALU_DEP_2) | instskip(NEXT) | instid1(VALU_DEP_1)
	v_and_b32_e32 v31, v29, v31
	v_mbcnt_lo_u32_b32 v29, v31, 0
	v_cmp_ne_u32_e64 s15, 0, v31
	s_delay_alu instid0(VALU_DEP_2)
	v_cmp_eq_u32_e64 s14, 0, v29
	s_and_b32 s15, s15, s14
	s_wait_alu 0xfffe
	s_and_saveexec_b32 s14, s15
	s_cbranch_execz .LBB1330_275
; %bb.274:                              ;   in Loop: Header=BB1330_269 Depth=1
	s_wait_dscnt 0x0
	v_bcnt_u32_b32 v31, v31, v28
	ds_store_b32 v30, v31
.LBB1330_275:                           ;   in Loop: Header=BB1330_269 Depth=1
	s_wait_alu 0xfffe
	s_or_b32 exec_lo, exec_lo, s14
	v_cmp_ne_u32_e64 s14, 0x80000000, v84
	; wave barrier
	s_wait_alu 0xf1ff
	s_delay_alu instid0(VALU_DEP_1) | instskip(NEXT) | instid1(VALU_DEP_1)
	v_cndmask_b32_e64 v31, 0x7fffffff, v84, s14
	v_lshrrev_b32_e32 v31, v10, v31
	s_delay_alu instid0(VALU_DEP_1) | instskip(NEXT) | instid1(VALU_DEP_1)
	v_and_b32_e32 v31, v31, v32
	v_and_b32_e32 v32, 1, v31
	v_lshlrev_b32_e32 v33, 30, v31
	v_lshlrev_b32_e32 v34, 29, v31
	;; [unrolled: 1-line block ×4, first 2 shown]
	v_add_co_u32 v32, s14, v32, -1
	s_wait_alu 0xf1ff
	v_cndmask_b32_e64 v36, 0, 1, s14
	v_not_b32_e32 v97, v33
	v_cmp_gt_i32_e64 s15, 0, v33
	v_not_b32_e32 v33, v34
	v_lshlrev_b32_e32 v87, 26, v31
	v_cmp_ne_u32_e64 s14, 0, v36
	v_ashrrev_i32_e32 v97, 31, v97
	v_lshlrev_b32_e32 v96, 25, v31
	v_ashrrev_i32_e32 v33, 31, v33
	v_lshlrev_b32_e32 v36, 24, v31
	s_wait_alu 0xf1ff
	v_xor_b32_e32 v32, s14, v32
	v_cmp_gt_i32_e64 s14, 0, v34
	v_not_b32_e32 v34, v35
	v_xor_b32_e32 v97, s15, v97
	v_cmp_gt_i32_e64 s15, 0, v35
	v_and_b32_e32 v32, exec_lo, v32
	v_not_b32_e32 v35, v37
	v_ashrrev_i32_e32 v34, 31, v34
	s_wait_alu 0xf1ff
	v_xor_b32_e32 v33, s14, v33
	v_cmp_gt_i32_e64 s14, 0, v37
	v_and_b32_e32 v32, v32, v97
	v_not_b32_e32 v37, v87
	v_ashrrev_i32_e32 v35, 31, v35
	v_xor_b32_e32 v34, s15, v34
	v_cmp_gt_i32_e64 s15, 0, v87
	v_and_b32_e32 v32, v32, v33
	v_not_b32_e32 v33, v96
	v_ashrrev_i32_e32 v37, 31, v37
	s_wait_alu 0xf1ff
	v_xor_b32_e32 v35, s14, v35
	v_cmp_gt_i32_e64 s14, 0, v96
	v_and_b32_e32 v32, v32, v34
	v_not_b32_e32 v34, v36
	v_ashrrev_i32_e32 v33, 31, v33
	v_xor_b32_e32 v37, s15, v37
	v_lshl_add_u32 v31, v31, 3, v53
	v_and_b32_e32 v32, v32, v35
	v_cmp_gt_i32_e64 s15, 0, v36
	v_ashrrev_i32_e32 v34, 31, v34
	s_wait_alu 0xf1ff
	v_xor_b32_e32 v33, s14, v33
	v_lshl_add_u32 v35, v31, 2, v12
	v_and_b32_e32 v32, v32, v37
	v_xor_b32_e32 v34, s15, v34
	ds_load_b32 v31, v35 offset:32
	v_and_b32_e32 v32, v32, v33
	; wave barrier
	s_delay_alu instid0(VALU_DEP_1) | instskip(SKIP_1) | instid1(VALU_DEP_2)
	v_and_b32_e32 v33, v32, v34
	v_add_nc_u32_e32 v32, 32, v35
	v_mbcnt_lo_u32_b32 v36, v33, 0
	v_cmp_ne_u32_e64 s15, 0, v33
	s_delay_alu instid0(VALU_DEP_2)
	v_cmp_eq_u32_e64 s14, 0, v36
	s_and_b32 s15, s15, s14
	s_wait_alu 0xfffe
	s_and_saveexec_b32 s14, s15
	s_cbranch_execz .LBB1330_277
; %bb.276:                              ;   in Loop: Header=BB1330_269 Depth=1
	s_wait_dscnt 0x0
	v_bcnt_u32_b32 v33, v33, v31
	ds_store_b32 v32, v33
.LBB1330_277:                           ;   in Loop: Header=BB1330_269 Depth=1
	s_wait_alu 0xfffe
	s_or_b32 exec_lo, exec_lo, s14
	; wave barrier
	s_wait_loadcnt_dscnt 0x0
	s_barrier_signal -1
	s_barrier_wait -1
	global_inv scope:SCOPE_SE
	ds_load_b32 v34, v18
	ds_load_b32 v35, v38
	;; [unrolled: 1-line block ×8, first 2 shown]
	s_wait_dscnt 0x6
	v_add_nc_u32_e32 v99, v35, v34
	s_wait_dscnt 0x4
	s_delay_alu instid0(VALU_DEP_1) | instskip(SKIP_1) | instid1(VALU_DEP_1)
	v_add3_u32 v99, v99, v37, v87
	s_wait_dscnt 0x2
	v_add3_u32 v99, v99, v96, v97
	s_wait_dscnt 0x0
	s_delay_alu instid0(VALU_DEP_1) | instskip(NEXT) | instid1(VALU_DEP_1)
	v_add3_u32 v98, v99, v33, v98
	v_mov_b32_dpp v99, v98 row_shr:1 row_mask:0xf bank_mask:0xf
	s_wait_alu 0xfffd
	s_delay_alu instid0(VALU_DEP_1) | instskip(NEXT) | instid1(VALU_DEP_1)
	v_cndmask_b32_e64 v99, v99, 0, vcc_lo
	v_add_nc_u32_e32 v98, v99, v98
	s_delay_alu instid0(VALU_DEP_1) | instskip(NEXT) | instid1(VALU_DEP_1)
	v_mov_b32_dpp v99, v98 row_shr:2 row_mask:0xf bank_mask:0xf
	v_cndmask_b32_e64 v99, 0, v99, s0
	s_delay_alu instid0(VALU_DEP_1) | instskip(NEXT) | instid1(VALU_DEP_1)
	v_add_nc_u32_e32 v98, v98, v99
	v_mov_b32_dpp v99, v98 row_shr:4 row_mask:0xf bank_mask:0xf
	s_delay_alu instid0(VALU_DEP_1) | instskip(NEXT) | instid1(VALU_DEP_1)
	v_cndmask_b32_e64 v99, 0, v99, s1
	v_add_nc_u32_e32 v98, v98, v99
	s_delay_alu instid0(VALU_DEP_1) | instskip(NEXT) | instid1(VALU_DEP_1)
	v_mov_b32_dpp v99, v98 row_shr:8 row_mask:0xf bank_mask:0xf
	v_cndmask_b32_e64 v99, 0, v99, s2
	s_delay_alu instid0(VALU_DEP_1) | instskip(SKIP_3) | instid1(VALU_DEP_1)
	v_add_nc_u32_e32 v98, v98, v99
	ds_swizzle_b32 v99, v98 offset:swizzle(BROADCAST,32,15)
	s_wait_dscnt 0x0
	v_cndmask_b32_e64 v99, v99, 0, s4
	v_add_nc_u32_e32 v98, v98, v99
	s_and_saveexec_b32 s14, s5
; %bb.278:                              ;   in Loop: Header=BB1330_269 Depth=1
	ds_store_b32 v64, v98
; %bb.279:                              ;   in Loop: Header=BB1330_269 Depth=1
	s_wait_alu 0xfffe
	s_or_b32 exec_lo, exec_lo, s14
	s_wait_loadcnt_dscnt 0x0
	s_barrier_signal -1
	s_barrier_wait -1
	global_inv scope:SCOPE_SE
	s_and_saveexec_b32 s14, s6
	s_cbranch_execz .LBB1330_281
; %bb.280:                              ;   in Loop: Header=BB1330_269 Depth=1
	ds_load_b32 v99, v54
	s_wait_dscnt 0x0
	v_mov_b32_dpp v100, v99 row_shr:1 row_mask:0xf bank_mask:0xf
	s_delay_alu instid0(VALU_DEP_1) | instskip(NEXT) | instid1(VALU_DEP_1)
	v_cndmask_b32_e64 v100, v100, 0, s11
	v_add_nc_u32_e32 v99, v100, v99
	s_delay_alu instid0(VALU_DEP_1) | instskip(NEXT) | instid1(VALU_DEP_1)
	v_mov_b32_dpp v100, v99 row_shr:2 row_mask:0xf bank_mask:0xf
	v_cndmask_b32_e64 v100, 0, v100, s12
	s_delay_alu instid0(VALU_DEP_1) | instskip(NEXT) | instid1(VALU_DEP_1)
	v_add_nc_u32_e32 v99, v99, v100
	v_mov_b32_dpp v100, v99 row_shr:4 row_mask:0xf bank_mask:0xf
	s_delay_alu instid0(VALU_DEP_1) | instskip(NEXT) | instid1(VALU_DEP_1)
	v_cndmask_b32_e64 v100, 0, v100, s13
	v_add_nc_u32_e32 v99, v99, v100
	ds_store_b32 v54, v99
.LBB1330_281:                           ;   in Loop: Header=BB1330_269 Depth=1
	s_wait_alu 0xfffe
	s_or_b32 exec_lo, exec_lo, s14
	v_mov_b32_e32 v99, 0
	s_wait_loadcnt_dscnt 0x0
	s_barrier_signal -1
	s_barrier_wait -1
	global_inv scope:SCOPE_SE
	s_and_saveexec_b32 s14, s7
; %bb.282:                              ;   in Loop: Header=BB1330_269 Depth=1
	ds_load_b32 v99, v67
; %bb.283:                              ;   in Loop: Header=BB1330_269 Depth=1
	s_wait_alu 0xfffe
	s_or_b32 exec_lo, exec_lo, s14
	s_wait_dscnt 0x0
	v_add_nc_u32_e32 v98, v99, v98
	v_add_nc_u32_e32 v10, 8, v10
	s_mov_b32 s20, -1
	s_mov_b32 s15, exec_lo
	ds_bpermute_b32 v98, v55, v98
	s_wait_dscnt 0x0
	v_cndmask_b32_e64 v98, v98, v99, s3
	s_delay_alu instid0(VALU_DEP_1) | instskip(NEXT) | instid1(VALU_DEP_1)
	v_cndmask_b32_e64 v98, v98, 0, s10
	v_add_nc_u32_e32 v34, v98, v34
	s_delay_alu instid0(VALU_DEP_1)
	v_add_nc_u32_e32 v35, v34, v35
	ds_store_b32 v18, v98
	ds_store_b32 v38, v34
	ds_store_b32 v39, v35
	v_add_nc_u32_e32 v37, v35, v37
	v_mov_b32_e32 v35, v5
	s_delay_alu instid0(VALU_DEP_2) | instskip(NEXT) | instid1(VALU_DEP_1)
	v_add_nc_u32_e32 v87, v37, v87
	v_add_nc_u32_e32 v96, v87, v96
	s_delay_alu instid0(VALU_DEP_1) | instskip(NEXT) | instid1(VALU_DEP_1)
	v_add_nc_u32_e32 v97, v96, v97
	v_add_nc_u32_e32 v33, v97, v33
	ds_store_b32 v48, v37
	ds_store_b32 v49, v87
	ds_store_b32 v50, v96
	ds_store_b32 v51, v97
	ds_store_b32 v52, v33
	s_wait_loadcnt_dscnt 0x0
	s_barrier_signal -1
	s_barrier_wait -1
	global_inv scope:SCOPE_SE
	ds_load_b32 v24, v24
	ds_load_b32 v27, v27
	;; [unrolled: 1-line block ×4, first 2 shown]
	v_mov_b32_e32 v33, v5
	v_mov_b32_e32 v37, v5
	s_wait_loadcnt_dscnt 0x0
	v_add_nc_u32_e32 v4, v24, v4
	v_add3_u32 v32, v26, v25, v27
	v_add3_u32 v34, v29, v28, v30
	;; [unrolled: 1-line block ×3, first 2 shown]
                                        ; implicit-def: $vgpr87
                                        ; implicit-def: $vgpr30_vgpr31
	s_delay_alu instid0(VALU_DEP_4) | instskip(NEXT) | instid1(VALU_DEP_4)
	v_lshlrev_b64_e32 v[24:25], 2, v[4:5]
	v_lshlrev_b64_e32 v[25:26], 2, v[32:33]
	s_delay_alu instid0(VALU_DEP_4) | instskip(NEXT) | instid1(VALU_DEP_4)
	v_lshlrev_b64_e32 v[26:27], 2, v[34:35]
	v_lshlrev_b64_e32 v[27:28], 2, v[36:37]
                                        ; implicit-def: $vgpr37
                                        ; implicit-def: $vgpr35
                                        ; implicit-def: $vgpr33
                                        ; implicit-def: $vgpr28_vgpr29
	s_delay_alu instid0(VALU_DEP_4) | instskip(NEXT) | instid1(VALU_DEP_4)
	v_add_co_u32 v99, null, v12, v24
	v_add_co_u32 v98, null, v12, v25
	s_delay_alu instid0(VALU_DEP_4) | instskip(NEXT) | instid1(VALU_DEP_4)
	v_add_co_u32 v97, null, v12, v26
	v_add_co_u32 v96, null, v12, v27
                                        ; implicit-def: $vgpr26_vgpr27
                                        ; implicit-def: $vgpr24_vgpr25
	v_cmpx_lt_u32_e64 v10, v11
	s_cbranch_execz .LBB1330_268
; %bb.284:                              ;   in Loop: Header=BB1330_269 Depth=1
	v_lshl_add_u32 v24, v4, 2, v99
	v_lshl_add_u32 v25, v32, 2, v98
	;; [unrolled: 1-line block ×4, first 2 shown]
	s_barrier_signal -1
	s_barrier_wait -1
	global_inv scope:SCOPE_SE
	ds_store_b32 v99, v83
	ds_store_b32 v98, v86
	;; [unrolled: 1-line block ×4, first 2 shown]
	s_wait_loadcnt_dscnt 0x0
	s_barrier_signal -1
	s_barrier_wait -1
	global_inv scope:SCOPE_SE
	ds_load_b32 v87, v65
	ds_load_b32 v33, v68
	;; [unrolled: 1-line block ×4, first 2 shown]
	s_wait_loadcnt_dscnt 0x0
	s_barrier_signal -1
	s_barrier_wait -1
	global_inv scope:SCOPE_SE
	ds_store_b64 v24, v[15:16]
	ds_store_b64 v25, v[13:14]
	;; [unrolled: 1-line block ×4, first 2 shown]
	s_wait_loadcnt_dscnt 0x0
	s_barrier_signal -1
	s_barrier_wait -1
	global_inv scope:SCOPE_SE
	ds_load_b64 v[26:27], v66
	ds_load_b64 v[28:29], v71
	;; [unrolled: 1-line block ×4, first 2 shown]
	v_add_nc_u32_e32 v82, -8, v82
	s_xor_b32 s20, exec_lo, -1
	s_wait_loadcnt_dscnt 0x0
	s_barrier_signal -1
	s_barrier_wait -1
	global_inv scope:SCOPE_SE
	s_branch .LBB1330_268
.LBB1330_285:
	flat_load_b64 v[34:35], v[4:5]
	s_wait_alu 0xfffe
	s_or_b32 exec_lo, exec_lo, s7
                                        ; implicit-def: $vgpr38_vgpr39
	s_and_saveexec_b32 s7, s0
	s_cbranch_execz .LBB1330_163
.LBB1330_286:
	flat_load_b64 v[38:39], v[4:5] offset:256
	s_wait_alu 0xfffe
	s_or_b32 exec_lo, exec_lo, s7
                                        ; implicit-def: $vgpr48_vgpr49
	s_and_saveexec_b32 s0, s1
	s_cbranch_execz .LBB1330_164
.LBB1330_287:
	flat_load_b64 v[48:49], v[4:5] offset:512
	s_wait_alu 0xfffe
	s_or_b32 exec_lo, exec_lo, s0
                                        ; implicit-def: $vgpr50_vgpr51
	s_and_saveexec_b32 s0, s2
	s_cbranch_execz .LBB1330_165
.LBB1330_288:
	flat_load_b64 v[50:51], v[4:5] offset:768
	s_wait_alu 0xfffe
	s_or_b32 exec_lo, exec_lo, s0
                                        ; implicit-def: $vgpr52_vgpr53
	s_and_saveexec_b32 s0, s3
	s_cbranch_execz .LBB1330_166
.LBB1330_289:
	flat_load_b64 v[52:53], v[4:5] offset:1024
	s_wait_alu 0xfffe
	s_or_b32 exec_lo, exec_lo, s0
                                        ; implicit-def: $vgpr54_vgpr55
	s_and_saveexec_b32 s0, s4
	s_cbranch_execz .LBB1330_167
.LBB1330_290:
	flat_load_b64 v[54:55], v[4:5] offset:1280
	s_wait_alu 0xfffe
	s_or_b32 exec_lo, exec_lo, s0
                                        ; implicit-def: $vgpr32_vgpr33
	s_and_saveexec_b32 s0, s5
	s_cbranch_execz .LBB1330_168
.LBB1330_291:
	flat_load_b64 v[32:33], v[4:5] offset:1536
	s_wait_alu 0xfffe
	s_or_b32 exec_lo, exec_lo, s0
                                        ; implicit-def: $vgpr36_vgpr37
	s_and_saveexec_b32 s0, s6
	s_cbranch_execnz .LBB1330_169
	s_branch .LBB1330_170
.LBB1330_292:
	flat_store_b64 v[0:1], v[20:21]
	s_wait_alu 0xfffe
	s_or_b32 exec_lo, exec_lo, s7
	s_and_saveexec_b32 s7, s0
	s_cbranch_execz .LBB1330_244
.LBB1330_293:
	flat_store_b64 v[0:1], v[22:23] offset:2048
	s_wait_alu 0xfffe
	s_or_b32 exec_lo, exec_lo, s7
	s_and_saveexec_b32 s0, s1
	s_cbranch_execz .LBB1330_245
.LBB1330_294:
	flat_store_b64 v[0:1], v[16:17] offset:4096
	s_wait_alu 0xfffe
	s_or_b32 exec_lo, exec_lo, s0
	s_and_saveexec_b32 s0, s2
	s_cbranch_execz .LBB1330_246
.LBB1330_295:
	flat_store_b64 v[0:1], v[18:19] offset:6144
	s_wait_alu 0xfffe
	s_or_b32 exec_lo, exec_lo, s0
	s_and_saveexec_b32 s0, s3
	s_cbranch_execz .LBB1330_247
.LBB1330_296:
	flat_store_b64 v[0:1], v[12:13] offset:8192
	s_wait_alu 0xfffe
	s_or_b32 exec_lo, exec_lo, s0
	s_and_saveexec_b32 s0, s4
	s_cbranch_execz .LBB1330_248
.LBB1330_297:
	flat_store_b64 v[0:1], v[14:15] offset:10240
	s_wait_alu 0xfffe
	s_or_b32 exec_lo, exec_lo, s0
	s_and_saveexec_b32 s0, s5
	s_cbranch_execz .LBB1330_249
.LBB1330_298:
	flat_store_b64 v[0:1], v[8:9] offset:12288
	s_wait_alu 0xfffe
	s_or_b32 exec_lo, exec_lo, s0
	s_and_saveexec_b32 s0, s6
	s_cbranch_execnz .LBB1330_250
	s_branch .LBB1330_251
.LBB1330_299:
	s_or_b32 exec_lo, exec_lo, s19
	v_lshl_add_u32 v4, v4, 2, v99
	v_lshl_add_u32 v5, v32, 2, v98
	v_lshl_add_u32 v10, v34, 2, v97
	v_lshl_add_u32 v11, v36, 2, v96
	s_barrier_signal -1
	s_barrier_wait -1
	s_wait_loadcnt 0x0
	global_inv scope:SCOPE_SE
	ds_store_b32 v99, v83
	ds_store_b32 v98, v86
	;; [unrolled: 1-line block ×4, first 2 shown]
	s_wait_loadcnt_dscnt 0x0
	s_barrier_signal -1
	s_barrier_wait -1
	global_inv scope:SCOPE_SE
	ds_load_2addr_stride64_b32 v[26:27], v54 offset1:4
	ds_load_2addr_stride64_b32 v[24:25], v54 offset0:8 offset1:12
	s_wait_loadcnt_dscnt 0x0
	s_barrier_signal -1
	s_barrier_wait -1
	global_inv scope:SCOPE_SE
	ds_store_b64 v4, v[15:16]
	ds_store_b64 v5, v[13:14]
	;; [unrolled: 1-line block ×4, first 2 shown]
	v_lshl_add_u32 v4, v21, 3, v12
	s_wait_loadcnt_dscnt 0x0
	s_barrier_signal -1
	s_barrier_wait -1
	global_inv scope:SCOPE_SE
	ds_load_2addr_stride64_b64 v[12:15], v4 offset1:4
	ds_load_2addr_stride64_b64 v[8:11], v4 offset0:8 offset1:12
	v_mov_b32_e32 v18, 0
	v_add_co_u32 v2, vcc_lo, v2, v19
	s_wait_alu 0xfffd
	v_add_co_ci_u32_e64 v3, null, v3, v20, vcc_lo
	s_delay_alu instid0(VALU_DEP_3)
	v_lshlrev_b64_e32 v[4:5], 2, v[17:18]
	s_wait_loadcnt_dscnt 0x0
	s_barrier_signal -1
	s_barrier_wait -1
	global_inv scope:SCOPE_SE
	v_add_co_u32 v2, vcc_lo, v2, v4
	s_wait_alu 0xfffd
	v_add_co_ci_u32_e64 v3, null, v3, v5, vcc_lo
	v_cmp_lt_u32_e32 vcc_lo, v17, v119
	s_and_saveexec_b32 s1, vcc_lo
	s_cbranch_execz .LBB1330_301
; %bb.300:
	v_cmp_gt_i32_e64 s0, 0, v26
	s_wait_alu 0xf1ff
	s_delay_alu instid0(VALU_DEP_1) | instskip(NEXT) | instid1(VALU_DEP_1)
	v_cndmask_b32_e64 v4, 0x7fffffff, 0, s0
	v_xor_b32_e32 v4, v4, v26
	flat_store_b32 v[2:3], v4
.LBB1330_301:
	s_wait_alu 0xfffe
	s_or_b32 exec_lo, exec_lo, s1
	v_add_nc_u32_e32 v4, 0x100, v17
	s_delay_alu instid0(VALU_DEP_1)
	v_cmp_lt_u32_e64 s0, v4, v119
	s_and_saveexec_b32 s2, s0
	s_cbranch_execz .LBB1330_303
; %bb.302:
	v_cmp_gt_i32_e64 s1, 0, v27
	s_wait_alu 0xf1ff
	s_delay_alu instid0(VALU_DEP_1) | instskip(NEXT) | instid1(VALU_DEP_1)
	v_cndmask_b32_e64 v4, 0x7fffffff, 0, s1
	v_xor_b32_e32 v4, v4, v27
	flat_store_b32 v[2:3], v4 offset:1024
.LBB1330_303:
	s_wait_alu 0xfffe
	s_or_b32 exec_lo, exec_lo, s2
	v_add_nc_u32_e32 v4, 0x200, v17
	s_delay_alu instid0(VALU_DEP_1)
	v_cmp_lt_u32_e64 s1, v4, v119
	s_and_saveexec_b32 s3, s1
	s_cbranch_execz .LBB1330_305
; %bb.304:
	v_cmp_gt_i32_e64 s2, 0, v24
	s_wait_alu 0xf1ff
	s_delay_alu instid0(VALU_DEP_1) | instskip(NEXT) | instid1(VALU_DEP_1)
	v_cndmask_b32_e64 v4, 0x7fffffff, 0, s2
	v_xor_b32_e32 v4, v4, v24
	flat_store_b32 v[2:3], v4 offset:2048
.LBB1330_305:
	;; [unrolled: 15-line block ×3, first 2 shown]
	s_wait_alu 0xfffe
	s_or_b32 exec_lo, exec_lo, s4
	v_lshlrev_b64_e32 v[2:3], 3, v[17:18]
	v_add_co_u32 v0, s3, v6, v0
	s_wait_alu 0xf1ff
	v_add_co_ci_u32_e64 v1, null, v7, v1, s3
	s_delay_alu instid0(VALU_DEP_2) | instskip(SKIP_1) | instid1(VALU_DEP_2)
	v_add_co_u32 v0, s3, v0, v2
	s_wait_alu 0xf1ff
	v_add_co_ci_u32_e64 v1, null, v1, v3, s3
	s_and_saveexec_b32 s3, vcc_lo
	s_cbranch_execnz .LBB1330_340
; %bb.308:
	s_wait_alu 0xfffe
	s_or_b32 exec_lo, exec_lo, s3
	s_and_saveexec_b32 s3, s0
	s_cbranch_execnz .LBB1330_341
.LBB1330_309:
	s_wait_alu 0xfffe
	s_or_b32 exec_lo, exec_lo, s3
	s_and_saveexec_b32 s0, s1
	s_cbranch_execnz .LBB1330_342
.LBB1330_310:
	s_wait_alu 0xfffe
	s_or_b32 exec_lo, exec_lo, s0
	s_and_saveexec_b32 s0, s2
	s_cbranch_execz .LBB1330_312
.LBB1330_311:
	flat_store_b64 v[0:1], v[10:11] offset:6144
.LBB1330_312:
	s_wait_alu 0xfffe
	s_or_b32 exec_lo, exec_lo, s0
                                        ; implicit-def: $vgpr119
                                        ; implicit-def: $vgpr0
                                        ; implicit-def: $vgpr1
                                        ; implicit-def: $vgpr2
                                        ; implicit-def: $vgpr3
                                        ; implicit-def: $vgpr4
                                        ; implicit-def: $vgpr5
                                        ; implicit-def: $vgpr6
                                        ; implicit-def: $vgpr7
                                        ; implicit-def: $vgpr8
                                        ; implicit-def: $vgpr10
                                        ; implicit-def: $vgpr11
                                        ; implicit-def: $vgpr12
                                        ; implicit-def: $vgpr9
                                        ; implicit-def: $vgpr13
                                        ; implicit-def: $vgpr21
                                        ; implicit-def: $vgpr114
.LBB1330_313:
	s_wait_alu 0xfffe
	s_and_not1_saveexec_b32 s0, s16
	s_cbranch_execz .LBB1330_372
; %bb.314:
	s_load_b64 s[0:1], s[8:9], 0x0
	s_and_b32 s2, ttmp7, 0xffff
	s_mov_b32 s3, 0
	s_wait_kmcnt 0x0
	s_wait_alu 0xfffe
	s_cmp_lt_u32 s2, s1
	s_cselect_b32 s2, 14, 20
	s_cmp_lt_u32 ttmp9, s0
	s_wait_alu 0xfffe
	s_add_nc_u64 s[4:5], s[8:9], s[2:3]
	s_cselect_b32 s2, 12, 18
	s_load_u16 s4, s[4:5], 0x0
	s_add_nc_u64 s[0:1], s[8:9], s[2:3]
	s_load_u16 s0, s[0:1], 0x0
	s_wait_kmcnt 0x0
	v_mad_u32_u24 v13, v13, s4, v9
	v_mov_b32_e32 v9, 0
	s_delay_alu instid0(VALU_DEP_2) | instskip(NEXT) | instid1(VALU_DEP_2)
	v_mad_co_u64_u32 v[13:14], null, v13, s0, v[21:22]
	v_lshlrev_b64_e32 v[15:16], 2, v[8:9]
	s_mov_b32 s0, exec_lo
	v_cmpx_lt_u32_e32 0x100, v119
	s_wait_alu 0xfffe
	s_xor_b32 s14, exec_lo, s0
	s_cbranch_execz .LBB1330_352
; %bb.315:
	s_delay_alu instid0(VALU_DEP_3) | instskip(SKIP_2) | instid1(VALU_DEP_3)
	v_dual_mov_b32 v17, -1 :: v_dual_lshlrev_b32 v14, 1, v13
	v_mov_b32_e32 v20, v9
	v_lshlrev_b32_e32 v18, 2, v114
	v_and_b32_e32 v19, 0xffffffc0, v14
	v_add_co_u32 v14, vcc_lo, v0, v15
	s_wait_alu 0xfffd
	v_add_co_ci_u32_e64 v22, null, v1, v16, vcc_lo
	s_delay_alu instid0(VALU_DEP_3) | instskip(NEXT) | instid1(VALU_DEP_3)
	v_lshlrev_b64_e32 v[0:1], 2, v[19:20]
	v_add_co_u32 v18, vcc_lo, v14, v18
	s_wait_alu 0xfffd
	s_delay_alu instid0(VALU_DEP_3) | instskip(SKIP_1) | instid1(VALU_DEP_3)
	v_add_co_ci_u32_e64 v22, null, 0, v22, vcc_lo
	v_or_b32_e32 v14, v114, v19
	v_add_co_u32 v0, vcc_lo, v18, v0
	s_wait_alu 0xfffd
	s_delay_alu instid0(VALU_DEP_3) | instskip(NEXT) | instid1(VALU_DEP_3)
	v_add_co_ci_u32_e64 v1, null, v22, v1, vcc_lo
	v_cmp_lt_u32_e32 vcc_lo, v14, v119
	v_mov_b32_e32 v18, v17
	s_and_saveexec_b32 s0, vcc_lo
	s_cbranch_execz .LBB1330_317
; %bb.316:
	flat_load_b32 v22, v[0:1]
	v_mov_b32_e32 v23, v17
	s_wait_loadcnt_dscnt 0x0
	s_delay_alu instid0(VALU_DEP_1)
	v_dual_mov_b32 v17, v22 :: v_dual_mov_b32 v18, v23
.LBB1330_317:
	s_wait_alu 0xfffe
	s_or_b32 exec_lo, exec_lo, s0
	v_or_b32_e32 v14, 32, v14
	s_delay_alu instid0(VALU_DEP_1)
	v_cmp_lt_u32_e64 s0, v14, v119
	s_and_saveexec_b32 s1, s0
	s_cbranch_execz .LBB1330_319
; %bb.318:
	flat_load_b32 v18, v[0:1] offset:128
.LBB1330_319:
	s_wait_alu 0xfffe
	s_or_b32 exec_lo, exec_lo, s1
	v_lshlrev_b64_e32 v[0:1], 3, v[8:9]
	v_lshlrev_b32_e32 v14, 3, v114
	v_lshlrev_b64_e32 v[8:9], 3, v[19:20]
	v_dual_mov_b32 v22, 0 :: v_dual_mov_b32 v19, 0
	v_mov_b32_e32 v23, 0
	v_add_co_u32 v4, s1, v4, v0
	s_wait_alu 0xf1ff
	v_add_co_ci_u32_e64 v5, null, v5, v1, s1
	v_mov_b32_e32 v20, 0
	s_delay_alu instid0(VALU_DEP_3) | instskip(SKIP_1) | instid1(VALU_DEP_3)
	v_add_co_u32 v4, s1, v4, v14
	s_wait_alu 0xf1ff
	v_add_co_ci_u32_e64 v5, null, 0, v5, s1
	s_delay_alu instid0(VALU_DEP_2) | instskip(SKIP_1) | instid1(VALU_DEP_2)
	v_add_co_u32 v4, s1, v4, v8
	s_wait_alu 0xf1ff
	v_add_co_ci_u32_e64 v5, null, v5, v9, s1
	s_and_saveexec_b32 s1, vcc_lo
	s_cbranch_execz .LBB1330_321
; %bb.320:
	flat_load_b64 v[19:20], v[4:5]
.LBB1330_321:
	s_wait_alu 0xfffe
	s_or_b32 exec_lo, exec_lo, s1
	s_and_saveexec_b32 s1, s0
	s_cbranch_execz .LBB1330_323
; %bb.322:
	flat_load_b64 v[22:23], v[4:5] offset:256
.LBB1330_323:
	s_wait_alu 0xfffe
	s_or_b32 exec_lo, exec_lo, s1
	v_cmp_gt_i32_e32 vcc_lo, 0, v17
	v_lshl_add_u32 v8, v21, 5, v12
	s_getpc_b64 s[0:1]
	s_wait_alu 0xfffe
	s_sext_i32_i16 s1, s1
	s_add_co_u32 s0, s0, _ZN7rocprim17ROCPRIM_400000_NS16block_radix_sortIfLj256ELj2ElLj1ELj1ELj8ELNS0_26block_radix_rank_algorithmE2ELNS0_18block_padding_hintE2ELNS0_4arch9wavefront6targetE0EE19radix_bits_per_passE@rel32@lo+12
	s_wait_alu 0xfffe
	s_add_co_ci_u32 s1, s1, _ZN7rocprim17ROCPRIM_400000_NS16block_radix_sortIfLj256ELj2ElLj1ELj1ELj8ELNS0_26block_radix_rank_algorithmE2ELNS0_18block_padding_hintE2ELNS0_4arch9wavefront6targetE0EE19radix_bits_per_passE@rel32@hi+24
	v_and_b32_e32 v9, 7, v114
	s_load_b32 s15, s[0:1], 0x0
	v_cndmask_b32_e64 v4, 0x7fffffff, 0, vcc_lo
	s_wait_loadcnt_dscnt 0x0
	v_cmp_gt_i32_e32 vcc_lo, 0, v18
	v_add_nc_u32_e32 v14, 32, v8
	v_add_nc_u32_e32 v26, 36, v8
	;; [unrolled: 1-line block ×4, first 2 shown]
	s_wait_alu 0xfffd
	v_cndmask_b32_e64 v5, 0x7fffffff, 0, vcc_lo
	v_add_nc_u32_e32 v29, 48, v8
	v_add_nc_u32_e32 v30, 52, v8
	;; [unrolled: 1-line block ×4, first 2 shown]
	v_xor_b32_e32 v25, v5, v18
	v_and_b32_e32 v5, 0x3e0, v21
	v_and_b32_e32 v8, 16, v114
	v_xor_b32_e32 v53, v4, v17
	v_and_b32_e32 v4, 15, v114
	v_lshrrev_b32_e32 v33, 5, v13
	v_min_u32_e32 v5, 0xe0, v5
	v_cmp_eq_u32_e64 s4, 0, v8
	v_lshlrev_b32_e32 v8, 1, v21
	v_cmp_eq_u32_e32 vcc_lo, 0, v4
	v_cmp_lt_u32_e64 s0, 1, v4
	v_cmp_lt_u32_e64 s1, 3, v4
	;; [unrolled: 1-line block ×3, first 2 shown]
	v_or_b32_e32 v4, 31, v5
	v_and_or_b32 v8, 0x7c0, v8, v114
	v_sub_co_u32 v5, s3, v114, 1
	v_cmp_lt_u32_e64 s7, 31, v21
	s_delay_alu instid0(VALU_DEP_4)
	v_cmp_eq_u32_e64 s5, v21, v4
	v_lshrrev_b32_e32 v4, 3, v21
	v_lshlrev_b32_e32 v8, 2, v8
	v_cmp_gt_i32_e64 s6, 0, v5
	v_cmp_eq_u32_e64 s8, 0, v21
	v_cmp_eq_u32_e64 s9, 0, v9
	v_and_b32_e32 v4, 0x7c, v4
	v_add_nc_u32_e32 v37, v12, v8
	s_wait_alu 0xf1ff
	v_cndmask_b32_e64 v5, v5, v114, s6
	v_cmp_gt_u32_e64 s6, 8, v21
	v_cmp_lt_u32_e64 s10, 1, v9
	v_add_nc_u32_e32 v36, v12, v4
	v_lshlrev_b32_e32 v4, 2, v21
	v_add_nc_u32_e32 v38, v37, v8
	v_lshlrev_b32_e32 v35, 2, v5
	v_mov_b32_e32 v5, 0
	v_cmp_lt_u32_e64 s11, 3, v9
	v_add_co_u32 v34, null, v12, v4
	v_add_nc_u32_e32 v39, -4, v36
	v_add_nc_u32_e32 v48, 0x80, v37
	v_add_nc_u32_e32 v49, 0x100, v38
	v_sub_nc_u32_e32 v50, v11, v10
	s_mov_b32 s16, 0
	s_wait_storecnt 0x0
	s_barrier_signal -1
	s_barrier_wait -1
	global_inv scope:SCOPE_SE
	s_branch .LBB1330_325
.LBB1330_324:                           ;   in Loop: Header=BB1330_325 Depth=1
	s_wait_alu 0xfffe
	s_or_b32 exec_lo, exec_lo, s13
	s_delay_alu instid0(SALU_CYCLE_1)
	s_and_b32 s12, exec_lo, s17
	s_wait_alu 0xfffe
	s_or_b32 s16, s12, s16
	s_wait_alu 0xfffe
	s_and_not1_b32 exec_lo, exec_lo, s16
	s_cbranch_execz .LBB1330_343
.LBB1330_325:                           ; =>This Inner Loop Header: Depth=1
	s_wait_kmcnt 0x0
	v_min_u32_e32 v4, s15, v50
	v_mov_b32_e32 v52, v25
	ds_store_b32 v14, v5
	ds_store_b32 v26, v5
	;; [unrolled: 1-line block ×6, first 2 shown]
	v_lshlrev_b32_e64 v4, v4, -1
	ds_store_b32 v31, v5
	ds_store_b32 v32, v5
	s_wait_loadcnt_dscnt 0x0
	s_barrier_signal -1
	v_not_b32_e32 v24, v4
	v_mov_b32_e32 v51, v53
	s_barrier_wait -1
	global_inv scope:SCOPE_SE
	; wave barrier
	v_cmp_ne_u32_e64 s12, 0x80000000, v51
	s_wait_alu 0xf1ff
	s_delay_alu instid0(VALU_DEP_1) | instskip(NEXT) | instid1(VALU_DEP_1)
	v_cndmask_b32_e64 v8, 0x7fffffff, v51, s12
	v_lshrrev_b32_e32 v4, v10, v8
	s_delay_alu instid0(VALU_DEP_1) | instskip(SKIP_1) | instid1(VALU_DEP_2)
	v_and_b32_e32 v4, v4, v24
	v_dual_mov_b32 v8, v22 :: v_dual_mov_b32 v9, v23
	v_and_b32_e32 v17, 1, v4
	v_lshlrev_b32_e32 v18, 30, v4
	v_lshlrev_b32_e32 v22, 29, v4
	;; [unrolled: 1-line block ×4, first 2 shown]
	v_add_co_u32 v17, s12, v17, -1
	s_wait_alu 0xf1ff
	v_cndmask_b32_e64 v25, 0, 1, s12
	v_not_b32_e32 v64, v18
	v_cmp_gt_i32_e64 s13, 0, v18
	v_not_b32_e32 v18, v22
	v_lshlrev_b32_e32 v54, 26, v4
	v_cmp_ne_u32_e64 s12, 0, v25
	v_ashrrev_i32_e32 v64, 31, v64
	v_lshlrev_b32_e32 v55, 25, v4
	v_ashrrev_i32_e32 v18, 31, v18
	v_lshlrev_b32_e32 v25, 24, v4
	s_wait_alu 0xf1ff
	v_xor_b32_e32 v17, s12, v17
	v_cmp_gt_i32_e64 s12, 0, v22
	v_not_b32_e32 v22, v23
	v_xor_b32_e32 v64, s13, v64
	v_cmp_gt_i32_e64 s13, 0, v23
	v_and_b32_e32 v17, exec_lo, v17
	v_not_b32_e32 v23, v53
	v_ashrrev_i32_e32 v22, 31, v22
	s_wait_alu 0xf1ff
	v_xor_b32_e32 v18, s12, v18
	v_cmp_gt_i32_e64 s12, 0, v53
	v_and_b32_e32 v17, v17, v64
	v_not_b32_e32 v53, v54
	v_ashrrev_i32_e32 v23, 31, v23
	v_xor_b32_e32 v22, s13, v22
	v_cmp_gt_i32_e64 s13, 0, v54
	v_and_b32_e32 v17, v17, v18
	v_not_b32_e32 v18, v55
	v_ashrrev_i32_e32 v53, 31, v53
	s_wait_alu 0xf1ff
	v_xor_b32_e32 v23, s12, v23
	v_cmp_gt_i32_e64 s12, 0, v55
	v_and_b32_e32 v17, v17, v22
	v_not_b32_e32 v22, v25
	v_ashrrev_i32_e32 v54, 31, v18
	v_xor_b32_e32 v53, s13, v53
	v_cmp_gt_i32_e64 s13, 0, v25
	v_and_b32_e32 v23, v17, v23
	v_dual_mov_b32 v17, v19 :: v_dual_mov_b32 v18, v20
	v_ashrrev_i32_e32 v19, 31, v22
	s_wait_alu 0xf1ff
	v_xor_b32_e32 v20, s12, v54
	v_and_b32_e32 v22, v23, v53
	v_lshl_add_u32 v4, v4, 3, v33
	v_xor_b32_e32 v19, s13, v19
	s_delay_alu instid0(VALU_DEP_3) | instskip(NEXT) | instid1(VALU_DEP_3)
	v_and_b32_e32 v20, v22, v20
	v_lshlrev_b64_e32 v[22:23], 2, v[4:5]
	s_delay_alu instid0(VALU_DEP_2) | instskip(NEXT) | instid1(VALU_DEP_2)
	v_and_b32_e32 v20, v20, v19
	v_add_co_u32 v19, null, v12, v22
	s_delay_alu instid0(VALU_DEP_2) | instskip(SKIP_1) | instid1(VALU_DEP_3)
	v_mbcnt_lo_u32_b32 v4, v20, 0
	v_cmp_ne_u32_e64 s13, 0, v20
	v_add_co_u32 v19, null, v19, 32
	s_delay_alu instid0(VALU_DEP_3)
	v_cmp_eq_u32_e64 s12, 0, v4
	s_and_b32 s13, s13, s12
	s_wait_alu 0xfffe
	s_and_saveexec_b32 s12, s13
; %bb.326:                              ;   in Loop: Header=BB1330_325 Depth=1
	v_bcnt_u32_b32 v20, v20, 0
	ds_store_b32 v19, v20
; %bb.327:                              ;   in Loop: Header=BB1330_325 Depth=1
	s_wait_alu 0xfffe
	s_or_b32 exec_lo, exec_lo, s12
	v_cmp_ne_u32_e64 s12, 0x80000000, v52
	; wave barrier
	s_wait_alu 0xf1ff
	s_delay_alu instid0(VALU_DEP_1) | instskip(NEXT) | instid1(VALU_DEP_1)
	v_cndmask_b32_e64 v20, 0x7fffffff, v52, s12
	v_lshrrev_b32_e32 v20, v10, v20
	s_delay_alu instid0(VALU_DEP_1) | instskip(NEXT) | instid1(VALU_DEP_1)
	v_and_b32_e32 v20, v20, v24
	v_and_b32_e32 v22, 1, v20
	v_lshlrev_b32_e32 v23, 30, v20
	v_lshlrev_b32_e32 v24, 29, v20
	;; [unrolled: 1-line block ×4, first 2 shown]
	v_add_co_u32 v22, s12, v22, -1
	s_wait_alu 0xf1ff
	v_cndmask_b32_e64 v53, 0, 1, s12
	v_not_b32_e32 v65, v23
	v_cmp_gt_i32_e64 s13, 0, v23
	v_not_b32_e32 v23, v24
	v_lshlrev_b32_e32 v55, 26, v20
	v_cmp_ne_u32_e64 s12, 0, v53
	v_ashrrev_i32_e32 v65, 31, v65
	v_lshlrev_b32_e32 v64, 25, v20
	v_ashrrev_i32_e32 v23, 31, v23
	v_lshlrev_b32_e32 v53, 24, v20
	s_wait_alu 0xf1ff
	v_xor_b32_e32 v22, s12, v22
	v_cmp_gt_i32_e64 s12, 0, v24
	v_not_b32_e32 v24, v25
	v_xor_b32_e32 v65, s13, v65
	v_cmp_gt_i32_e64 s13, 0, v25
	v_and_b32_e32 v22, exec_lo, v22
	v_not_b32_e32 v25, v54
	v_ashrrev_i32_e32 v24, 31, v24
	s_wait_alu 0xf1ff
	v_xor_b32_e32 v23, s12, v23
	v_cmp_gt_i32_e64 s12, 0, v54
	v_and_b32_e32 v22, v22, v65
	v_not_b32_e32 v54, v55
	v_ashrrev_i32_e32 v25, 31, v25
	v_xor_b32_e32 v24, s13, v24
	v_cmp_gt_i32_e64 s13, 0, v55
	v_and_b32_e32 v22, v22, v23
	v_not_b32_e32 v23, v64
	v_ashrrev_i32_e32 v54, 31, v54
	s_wait_alu 0xf1ff
	v_xor_b32_e32 v25, s12, v25
	v_cmp_gt_i32_e64 s12, 0, v64
	v_and_b32_e32 v22, v22, v24
	v_not_b32_e32 v24, v53
	v_ashrrev_i32_e32 v23, 31, v23
	v_xor_b32_e32 v54, s13, v54
	v_lshl_add_u32 v20, v20, 3, v33
	v_and_b32_e32 v22, v22, v25
	v_cmp_gt_i32_e64 s13, 0, v53
	v_ashrrev_i32_e32 v24, 31, v24
	s_wait_alu 0xf1ff
	v_xor_b32_e32 v23, s12, v23
	v_lshl_add_u32 v25, v20, 2, v12
	v_and_b32_e32 v22, v22, v54
	v_xor_b32_e32 v24, s13, v24
	ds_load_b32 v20, v25 offset:32
	v_and_b32_e32 v22, v22, v23
	v_add_nc_u32_e32 v23, 32, v25
	; wave barrier
	s_delay_alu instid0(VALU_DEP_2) | instskip(NEXT) | instid1(VALU_DEP_1)
	v_and_b32_e32 v24, v22, v24
	v_mbcnt_lo_u32_b32 v22, v24, 0
	v_cmp_ne_u32_e64 s13, 0, v24
	s_delay_alu instid0(VALU_DEP_2)
	v_cmp_eq_u32_e64 s12, 0, v22
	s_and_b32 s13, s13, s12
	s_wait_alu 0xfffe
	s_and_saveexec_b32 s12, s13
	s_cbranch_execz .LBB1330_329
; %bb.328:                              ;   in Loop: Header=BB1330_325 Depth=1
	s_wait_dscnt 0x0
	v_bcnt_u32_b32 v24, v24, v20
	ds_store_b32 v23, v24
.LBB1330_329:                           ;   in Loop: Header=BB1330_325 Depth=1
	s_wait_alu 0xfffe
	s_or_b32 exec_lo, exec_lo, s12
	; wave barrier
	s_wait_loadcnt_dscnt 0x0
	s_barrier_signal -1
	s_barrier_wait -1
	global_inv scope:SCOPE_SE
	ds_load_b32 v25, v14
	ds_load_b32 v53, v26
	;; [unrolled: 1-line block ×8, first 2 shown]
	s_wait_dscnt 0x6
	v_add_nc_u32_e32 v67, v53, v25
	s_wait_dscnt 0x4
	s_delay_alu instid0(VALU_DEP_1) | instskip(SKIP_1) | instid1(VALU_DEP_1)
	v_add3_u32 v67, v67, v54, v55
	s_wait_dscnt 0x2
	v_add3_u32 v67, v67, v64, v65
	s_wait_dscnt 0x0
	s_delay_alu instid0(VALU_DEP_1) | instskip(NEXT) | instid1(VALU_DEP_1)
	v_add3_u32 v66, v67, v24, v66
	v_mov_b32_dpp v67, v66 row_shr:1 row_mask:0xf bank_mask:0xf
	s_wait_alu 0xfffd
	s_delay_alu instid0(VALU_DEP_1) | instskip(NEXT) | instid1(VALU_DEP_1)
	v_cndmask_b32_e64 v67, v67, 0, vcc_lo
	v_add_nc_u32_e32 v66, v67, v66
	s_delay_alu instid0(VALU_DEP_1) | instskip(NEXT) | instid1(VALU_DEP_1)
	v_mov_b32_dpp v67, v66 row_shr:2 row_mask:0xf bank_mask:0xf
	v_cndmask_b32_e64 v67, 0, v67, s0
	s_delay_alu instid0(VALU_DEP_1) | instskip(NEXT) | instid1(VALU_DEP_1)
	v_add_nc_u32_e32 v66, v66, v67
	v_mov_b32_dpp v67, v66 row_shr:4 row_mask:0xf bank_mask:0xf
	s_delay_alu instid0(VALU_DEP_1) | instskip(NEXT) | instid1(VALU_DEP_1)
	v_cndmask_b32_e64 v67, 0, v67, s1
	v_add_nc_u32_e32 v66, v66, v67
	s_delay_alu instid0(VALU_DEP_1) | instskip(NEXT) | instid1(VALU_DEP_1)
	v_mov_b32_dpp v67, v66 row_shr:8 row_mask:0xf bank_mask:0xf
	v_cndmask_b32_e64 v67, 0, v67, s2
	s_delay_alu instid0(VALU_DEP_1) | instskip(SKIP_3) | instid1(VALU_DEP_1)
	v_add_nc_u32_e32 v66, v66, v67
	ds_swizzle_b32 v67, v66 offset:swizzle(BROADCAST,32,15)
	s_wait_dscnt 0x0
	v_cndmask_b32_e64 v67, v67, 0, s4
	v_add_nc_u32_e32 v66, v66, v67
	s_and_saveexec_b32 s12, s5
; %bb.330:                              ;   in Loop: Header=BB1330_325 Depth=1
	ds_store_b32 v36, v66
; %bb.331:                              ;   in Loop: Header=BB1330_325 Depth=1
	s_wait_alu 0xfffe
	s_or_b32 exec_lo, exec_lo, s12
	s_wait_loadcnt_dscnt 0x0
	s_barrier_signal -1
	s_barrier_wait -1
	global_inv scope:SCOPE_SE
	s_and_saveexec_b32 s12, s6
	s_cbranch_execz .LBB1330_333
; %bb.332:                              ;   in Loop: Header=BB1330_325 Depth=1
	ds_load_b32 v67, v34
	s_wait_dscnt 0x0
	v_mov_b32_dpp v68, v67 row_shr:1 row_mask:0xf bank_mask:0xf
	s_delay_alu instid0(VALU_DEP_1) | instskip(NEXT) | instid1(VALU_DEP_1)
	v_cndmask_b32_e64 v68, v68, 0, s9
	v_add_nc_u32_e32 v67, v68, v67
	s_delay_alu instid0(VALU_DEP_1) | instskip(NEXT) | instid1(VALU_DEP_1)
	v_mov_b32_dpp v68, v67 row_shr:2 row_mask:0xf bank_mask:0xf
	v_cndmask_b32_e64 v68, 0, v68, s10
	s_delay_alu instid0(VALU_DEP_1) | instskip(NEXT) | instid1(VALU_DEP_1)
	v_add_nc_u32_e32 v67, v67, v68
	v_mov_b32_dpp v68, v67 row_shr:4 row_mask:0xf bank_mask:0xf
	s_delay_alu instid0(VALU_DEP_1) | instskip(NEXT) | instid1(VALU_DEP_1)
	v_cndmask_b32_e64 v68, 0, v68, s11
	v_add_nc_u32_e32 v67, v67, v68
	ds_store_b32 v34, v67
.LBB1330_333:                           ;   in Loop: Header=BB1330_325 Depth=1
	s_wait_alu 0xfffe
	s_or_b32 exec_lo, exec_lo, s12
	v_mov_b32_e32 v67, 0
	s_wait_loadcnt_dscnt 0x0
	s_barrier_signal -1
	s_barrier_wait -1
	global_inv scope:SCOPE_SE
	s_and_saveexec_b32 s12, s7
; %bb.334:                              ;   in Loop: Header=BB1330_325 Depth=1
	ds_load_b32 v67, v39
; %bb.335:                              ;   in Loop: Header=BB1330_325 Depth=1
	s_wait_alu 0xfffe
	s_or_b32 exec_lo, exec_lo, s12
	s_wait_dscnt 0x0
	v_add_nc_u32_e32 v66, v67, v66
	v_add_nc_u32_e32 v10, 8, v10
	s_mov_b32 s17, -1
	s_mov_b32 s13, exec_lo
	ds_bpermute_b32 v66, v35, v66
	s_wait_dscnt 0x0
	v_cndmask_b32_e64 v66, v66, v67, s3
	s_delay_alu instid0(VALU_DEP_1) | instskip(NEXT) | instid1(VALU_DEP_1)
	v_cndmask_b32_e64 v66, v66, 0, s8
	v_add_nc_u32_e32 v25, v66, v25
	s_delay_alu instid0(VALU_DEP_1)
	v_add_nc_u32_e32 v53, v25, v53
	ds_store_b32 v14, v66
	ds_store_b32 v26, v25
	;; [unrolled: 1-line block ×3, first 2 shown]
	v_mov_b32_e32 v25, v5
	v_add_nc_u32_e32 v54, v53, v54
                                        ; implicit-def: $vgpr53
	s_delay_alu instid0(VALU_DEP_1) | instskip(NEXT) | instid1(VALU_DEP_1)
	v_add_nc_u32_e32 v55, v54, v55
	v_add_nc_u32_e32 v64, v55, v64
	s_delay_alu instid0(VALU_DEP_1) | instskip(NEXT) | instid1(VALU_DEP_1)
	v_add_nc_u32_e32 v65, v64, v65
	v_add_nc_u32_e32 v24, v65, v24
	ds_store_b32 v28, v54
	ds_store_b32 v29, v55
	;; [unrolled: 1-line block ×5, first 2 shown]
	s_wait_loadcnt_dscnt 0x0
	s_barrier_signal -1
	s_barrier_wait -1
	global_inv scope:SCOPE_SE
	ds_load_b32 v19, v19
	ds_load_b32 v23, v23
	s_wait_loadcnt_dscnt 0x0
	v_add_nc_u32_e32 v4, v19, v4
	v_add3_u32 v24, v22, v20, v23
	s_delay_alu instid0(VALU_DEP_2) | instskip(NEXT) | instid1(VALU_DEP_2)
	v_lshlrev_b64_e32 v[19:20], 2, v[4:5]
	v_lshlrev_b64_e32 v[22:23], 2, v[24:25]
                                        ; implicit-def: $vgpr25
	s_delay_alu instid0(VALU_DEP_2) | instskip(NEXT) | instid1(VALU_DEP_2)
	v_add_co_u32 v55, null, v12, v19
	v_add_co_u32 v54, null, v12, v22
                                        ; implicit-def: $vgpr22_vgpr23
                                        ; implicit-def: $vgpr19_vgpr20
	v_cmpx_lt_u32_e64 v10, v11
	s_cbranch_execz .LBB1330_324
; %bb.336:                              ;   in Loop: Header=BB1330_325 Depth=1
	s_delay_alu instid0(VALU_DEP_3) | instskip(NEXT) | instid1(VALU_DEP_3)
	v_lshl_add_u32 v19, v4, 2, v55
	v_lshl_add_u32 v20, v24, 2, v54
	s_barrier_signal -1
	s_barrier_wait -1
	global_inv scope:SCOPE_SE
	ds_store_b32 v55, v51
	ds_store_b32 v54, v52
	s_wait_loadcnt_dscnt 0x0
	s_barrier_signal -1
	s_barrier_wait -1
	global_inv scope:SCOPE_SE
	ds_load_b32 v53, v37
	ds_load_b32 v25, v48
	s_wait_loadcnt_dscnt 0x0
	s_barrier_signal -1
	s_barrier_wait -1
	global_inv scope:SCOPE_SE
	ds_store_b64 v19, v[17:18]
	ds_store_b64 v20, v[8:9]
	s_wait_loadcnt_dscnt 0x0
	s_barrier_signal -1
	s_barrier_wait -1
	global_inv scope:SCOPE_SE
	ds_load_b64 v[19:20], v38
	ds_load_b64 v[22:23], v49
	v_add_nc_u32_e32 v50, -8, v50
	s_xor_b32 s17, exec_lo, -1
	s_wait_loadcnt_dscnt 0x0
	s_barrier_signal -1
	s_barrier_wait -1
	global_inv scope:SCOPE_SE
	s_branch .LBB1330_324
.LBB1330_337:
	flat_load_b64 v[26:27], v[4:5]
	s_wait_alu 0xfffe
	s_or_b32 exec_lo, exec_lo, s3
                                        ; implicit-def: $vgpr28_vgpr29
	s_and_saveexec_b32 s3, s0
	s_cbranch_execz .LBB1330_264
.LBB1330_338:
	flat_load_b64 v[28:29], v[4:5] offset:256
	s_wait_alu 0xfffe
	s_or_b32 exec_lo, exec_lo, s3
                                        ; implicit-def: $vgpr30_vgpr31
	s_and_saveexec_b32 s0, s1
	s_cbranch_execz .LBB1330_265
.LBB1330_339:
	flat_load_b64 v[30:31], v[4:5] offset:512
	s_wait_alu 0xfffe
	s_or_b32 exec_lo, exec_lo, s0
                                        ; implicit-def: $vgpr24_vgpr25
	s_and_saveexec_b32 s0, s2
	s_cbranch_execnz .LBB1330_266
	s_branch .LBB1330_267
.LBB1330_340:
	flat_store_b64 v[0:1], v[12:13]
	s_wait_alu 0xfffe
	s_or_b32 exec_lo, exec_lo, s3
	s_and_saveexec_b32 s3, s0
	s_cbranch_execz .LBB1330_309
.LBB1330_341:
	flat_store_b64 v[0:1], v[14:15] offset:2048
	s_wait_alu 0xfffe
	s_or_b32 exec_lo, exec_lo, s3
	s_and_saveexec_b32 s0, s1
	s_cbranch_execz .LBB1330_310
.LBB1330_342:
	flat_store_b64 v[0:1], v[8:9] offset:4096
	s_wait_alu 0xfffe
	s_or_b32 exec_lo, exec_lo, s0
	s_and_saveexec_b32 s0, s2
	s_cbranch_execnz .LBB1330_311
	s_branch .LBB1330_312
.LBB1330_343:
	s_or_b32 exec_lo, exec_lo, s16
	v_lshl_add_u32 v4, v4, 2, v55
	v_lshl_add_u32 v5, v24, 2, v54
	s_barrier_signal -1
	s_barrier_wait -1
	s_wait_loadcnt 0x0
	global_inv scope:SCOPE_SE
	ds_store_b32 v55, v51
	ds_store_b32 v54, v52
	s_wait_loadcnt_dscnt 0x0
	s_barrier_signal -1
	s_barrier_wait -1
	global_inv scope:SCOPE_SE
	ds_load_2addr_stride64_b32 v[19:20], v34 offset1:4
	s_wait_loadcnt_dscnt 0x0
	s_barrier_signal -1
	s_barrier_wait -1
	global_inv scope:SCOPE_SE
	ds_store_b64 v4, v[17:18]
	ds_store_b64 v5, v[8:9]
	v_lshl_add_u32 v4, v21, 3, v12
	s_wait_loadcnt_dscnt 0x0
	s_barrier_signal -1
	s_barrier_wait -1
	global_inv scope:SCOPE_SE
	ds_load_2addr_stride64_b64 v[8:11], v4 offset1:4
	v_mov_b32_e32 v14, 0
	v_add_co_u32 v2, vcc_lo, v2, v15
	s_wait_alu 0xfffd
	v_add_co_ci_u32_e64 v3, null, v3, v16, vcc_lo
	s_delay_alu instid0(VALU_DEP_3)
	v_lshlrev_b64_e32 v[4:5], 2, v[13:14]
	s_wait_loadcnt_dscnt 0x0
	s_barrier_signal -1
	s_barrier_wait -1
	global_inv scope:SCOPE_SE
	v_add_co_u32 v2, vcc_lo, v2, v4
	s_wait_alu 0xfffd
	v_add_co_ci_u32_e64 v3, null, v3, v5, vcc_lo
	v_cmp_lt_u32_e32 vcc_lo, v13, v119
	s_and_saveexec_b32 s1, vcc_lo
	s_cbranch_execz .LBB1330_345
; %bb.344:
	v_cmp_gt_i32_e64 s0, 0, v19
	s_wait_alu 0xf1ff
	s_delay_alu instid0(VALU_DEP_1) | instskip(NEXT) | instid1(VALU_DEP_1)
	v_cndmask_b32_e64 v4, 0x7fffffff, 0, s0
	v_xor_b32_e32 v4, v4, v19
	flat_store_b32 v[2:3], v4
.LBB1330_345:
	s_wait_alu 0xfffe
	s_or_b32 exec_lo, exec_lo, s1
	v_add_nc_u32_e32 v4, 0x100, v13
	s_delay_alu instid0(VALU_DEP_1)
	v_cmp_lt_u32_e64 s0, v4, v119
	s_and_saveexec_b32 s2, s0
	s_cbranch_execz .LBB1330_347
; %bb.346:
	v_cmp_gt_i32_e64 s1, 0, v20
	s_wait_alu 0xf1ff
	s_delay_alu instid0(VALU_DEP_1) | instskip(NEXT) | instid1(VALU_DEP_1)
	v_cndmask_b32_e64 v4, 0x7fffffff, 0, s1
	v_xor_b32_e32 v4, v4, v20
	flat_store_b32 v[2:3], v4 offset:1024
.LBB1330_347:
	s_wait_alu 0xfffe
	s_or_b32 exec_lo, exec_lo, s2
	v_lshlrev_b64_e32 v[2:3], 3, v[13:14]
	v_add_co_u32 v0, s1, v6, v0
	s_wait_alu 0xf1ff
	v_add_co_ci_u32_e64 v1, null, v7, v1, s1
	s_delay_alu instid0(VALU_DEP_2) | instskip(SKIP_1) | instid1(VALU_DEP_2)
	v_add_co_u32 v0, s1, v0, v2
	s_wait_alu 0xf1ff
	v_add_co_ci_u32_e64 v1, null, v1, v3, s1
	s_and_saveexec_b32 s1, vcc_lo
	s_cbranch_execz .LBB1330_349
; %bb.348:
	flat_store_b64 v[0:1], v[8:9]
.LBB1330_349:
	s_wait_alu 0xfffe
	s_or_b32 exec_lo, exec_lo, s1
	s_and_saveexec_b32 s1, s0
	s_cbranch_execz .LBB1330_351
; %bb.350:
	flat_store_b64 v[0:1], v[10:11] offset:2048
.LBB1330_351:
	s_wait_alu 0xfffe
	s_or_b32 exec_lo, exec_lo, s1
                                        ; implicit-def: $vgpr13_vgpr14
                                        ; implicit-def: $vgpr8_vgpr9
                                        ; implicit-def: $vgpr15_vgpr16
                                        ; implicit-def: $vgpr119
                                        ; implicit-def: $vgpr0
                                        ; implicit-def: $vgpr1
                                        ; implicit-def: $vgpr2
                                        ; implicit-def: $vgpr3
                                        ; implicit-def: $vgpr4
                                        ; implicit-def: $vgpr5
                                        ; implicit-def: $vgpr6
                                        ; implicit-def: $vgpr7
                                        ; implicit-def: $vgpr10
                                        ; implicit-def: $vgpr11
                                        ; implicit-def: $vgpr12
                                        ; implicit-def: $vgpr21
                                        ; implicit-def: $vgpr114
.LBB1330_352:
	s_wait_alu 0xfffe
	s_and_not1_saveexec_b32 s0, s14
	s_cbranch_execz .LBB1330_372
; %bb.353:
	v_dual_mov_b32 v14, -1 :: v_dual_and_b32 v17, 0xffffffe0, v13
	s_delay_alu instid0(VALU_DEP_1) | instskip(NEXT) | instid1(VALU_DEP_1)
	v_or_b32_e32 v18, v114, v17
	v_cmp_lt_u32_e32 vcc_lo, v18, v119
	s_and_saveexec_b32 s1, vcc_lo
	s_cbranch_execz .LBB1330_355
; %bb.354:
	v_mov_b32_e32 v18, 0
	v_lshlrev_b32_e32 v14, 2, v114
	v_add_co_u32 v19, s0, v0, v15
	s_wait_alu 0xf1fe
	v_add_co_ci_u32_e64 v20, null, v1, v16, s0
	v_lshlrev_b64_e32 v[0:1], 2, v[17:18]
	s_delay_alu instid0(VALU_DEP_3) | instskip(SKIP_1) | instid1(VALU_DEP_3)
	v_add_co_u32 v14, s0, v19, v14
	s_wait_alu 0xf1ff
	v_add_co_ci_u32_e64 v18, null, 0, v20, s0
	s_delay_alu instid0(VALU_DEP_2) | instskip(SKIP_1) | instid1(VALU_DEP_2)
	v_add_co_u32 v0, s0, v14, v0
	s_wait_alu 0xf1ff
	v_add_co_ci_u32_e64 v1, null, v18, v1, s0
	flat_load_b32 v14, v[0:1]
.LBB1330_355:
	s_wait_alu 0xfffe
	s_or_b32 exec_lo, exec_lo, s1
	v_lshlrev_b64_e32 v[0:1], 3, v[8:9]
                                        ; implicit-def: $vgpr8_vgpr9
	s_and_saveexec_b32 s0, vcc_lo
	s_cbranch_execz .LBB1330_357
; %bb.356:
	v_mov_b32_e32 v18, 0
	v_lshlrev_b32_e32 v8, 3, v114
	s_delay_alu instid0(VALU_DEP_3) | instskip(SKIP_3) | instid1(VALU_DEP_3)
	v_add_co_u32 v9, vcc_lo, v4, v0
	s_wait_alu 0xfffd
	v_add_co_ci_u32_e64 v19, null, v5, v1, vcc_lo
	v_lshlrev_b64_e32 v[4:5], 3, v[17:18]
	v_add_co_u32 v8, vcc_lo, v9, v8
	s_wait_alu 0xfffd
	s_delay_alu instid0(VALU_DEP_3) | instskip(NEXT) | instid1(VALU_DEP_2)
	v_add_co_ci_u32_e64 v9, null, 0, v19, vcc_lo
	v_add_co_u32 v4, vcc_lo, v8, v4
	s_wait_alu 0xfffd
	s_delay_alu instid0(VALU_DEP_2)
	v_add_co_ci_u32_e64 v5, null, v9, v5, vcc_lo
	flat_load_b64 v[8:9], v[4:5]
.LBB1330_357:
	s_wait_alu 0xfffe
	s_or_b32 exec_lo, exec_lo, s0
	s_wait_loadcnt_dscnt 0x0
	v_cmp_gt_i32_e32 vcc_lo, 0, v14
	v_lshl_add_u32 v5, v21, 5, v12
	v_and_b32_e32 v17, 0x3e0, v21
	v_sub_co_u32 v29, s2, v114, 1
	s_wait_alu 0xfffd
	v_cndmask_b32_e64 v4, 0x7fffffff, 0, vcc_lo
	v_add_nc_u32_e32 v19, 36, v5
	v_add_nc_u32_e32 v20, 40, v5
	;; [unrolled: 1-line block ×4, first 2 shown]
	v_xor_b32_e32 v4, v4, v14
	v_add_nc_u32_e32 v14, 32, v5
	v_add_nc_u32_e32 v24, 52, v5
	v_add_nc_u32_e32 v25, 56, v5
	v_add_nc_u32_e32 v26, 60, v5
	v_min_u32_e32 v5, 0xe0, v17
	s_getpc_b64 s[0:1]
	s_wait_alu 0xfffe
	s_sext_i32_i16 s1, s1
	s_add_co_u32 s0, s0, _ZN7rocprim17ROCPRIM_400000_NS16block_radix_sortIfLj256ELj1ElLj1ELj1ELj8ELNS0_26block_radix_rank_algorithmE2ELNS0_18block_padding_hintE2ELNS0_4arch9wavefront6targetE0EE19radix_bits_per_passE@rel32@lo+12
	s_wait_alu 0xfffe
	s_add_co_ci_u32 s1, s1, _ZN7rocprim17ROCPRIM_400000_NS16block_radix_sortIfLj256ELj1ElLj1ELj1ELj8ELNS0_26block_radix_rank_algorithmE2ELNS0_18block_padding_hintE2ELNS0_4arch9wavefront6targetE0EE19radix_bits_per_passE@rel32@hi+24
	v_and_b32_e32 v18, 15, v114
	s_load_b32 s14, s[0:1], 0x0
	v_cmp_gt_i32_e64 s6, 0, v29
	v_or_b32_e32 v5, 31, v5
	v_or_b32_e32 v17, v114, v17
	v_cmp_eq_u32_e32 vcc_lo, 0, v18
	v_cmp_lt_u32_e64 s0, 1, v18
	v_cmp_lt_u32_e64 s1, 3, v18
	v_cmp_eq_u32_e64 s5, v21, v5
	v_lshrrev_b32_e32 v5, 3, v21
	v_cmp_lt_u32_e64 s3, 7, v18
	s_wait_alu 0xf1ff
	v_cndmask_b32_e64 v18, v29, v114, s6
	v_lshlrev_b32_e32 v17, 2, v17
	v_and_b32_e32 v28, 16, v114
	v_and_b32_e32 v5, 0x7c, v5
	v_lshrrev_b32_e32 v27, 5, v13
	v_lshlrev_b32_e32 v29, 2, v18
	v_and_b32_e32 v18, 7, v114
	v_add_nc_u32_e32 v31, v12, v17
	v_add_nc_u32_e32 v30, v12, v5
	v_cmp_eq_u32_e64 s4, 0, v28
	v_cmp_gt_u32_e64 s6, 8, v21
	v_cmp_lt_u32_e64 s7, 31, v21
	v_cmp_eq_u32_e64 s8, 0, v21
	v_mov_b32_e32 v5, 0
	v_lshl_add_u32 v28, v21, 2, v12
	v_cmp_eq_u32_e64 s9, 0, v18
	v_cmp_lt_u32_e64 s10, 1, v18
	v_cmp_lt_u32_e64 s11, 3, v18
	v_add_nc_u32_e32 v32, -4, v30
	v_add_nc_u32_e32 v33, v31, v17
	v_sub_nc_u32_e32 v34, v11, v10
	s_mov_b32 s15, 0
	s_wait_storecnt 0x0
	s_barrier_signal -1
	s_barrier_wait -1
	global_inv scope:SCOPE_SE
	s_branch .LBB1330_359
.LBB1330_358:                           ;   in Loop: Header=BB1330_359 Depth=1
	s_wait_alu 0xfffe
	s_or_b32 exec_lo, exec_lo, s13
	s_delay_alu instid0(SALU_CYCLE_1)
	s_and_b32 s12, exec_lo, s16
	s_wait_alu 0xfffe
	s_or_b32 s15, s12, s15
	s_wait_alu 0xfffe
	s_and_not1_b32 exec_lo, exec_lo, s15
	s_cbranch_execz .LBB1330_369
.LBB1330_359:                           ; =>This Inner Loop Header: Depth=1
	v_mov_b32_e32 v35, v4
	s_wait_kmcnt 0x0
	v_min_u32_e32 v17, s14, v34
	ds_store_b32 v14, v5
	ds_store_b32 v19, v5
	;; [unrolled: 1-line block ×6, first 2 shown]
	v_cmp_ne_u32_e64 s12, 0x80000000, v35
	ds_store_b32 v25, v5
	ds_store_b32 v26, v5
	s_wait_loadcnt_dscnt 0x0
	s_barrier_signal -1
	s_wait_alu 0xf1ff
	v_cndmask_b32_e64 v4, 0x7fffffff, v35, s12
	s_barrier_wait -1
	global_inv scope:SCOPE_SE
	; wave barrier
	v_lshrrev_b32_e32 v4, v10, v4
	s_delay_alu instid0(VALU_DEP_1) | instskip(NEXT) | instid1(VALU_DEP_1)
	v_bfe_u32 v4, v4, 0, v17
	v_and_b32_e32 v17, 1, v4
	v_lshlrev_b32_e32 v18, 30, v4
	v_lshlrev_b32_e32 v36, 29, v4
	v_lshlrev_b32_e32 v37, 28, v4
	v_lshlrev_b32_e32 v39, 27, v4
	v_add_co_u32 v17, s12, v17, -1
	s_wait_alu 0xf1ff
	v_cndmask_b32_e64 v38, 0, 1, s12
	v_not_b32_e32 v50, v18
	v_cmp_gt_i32_e64 s13, 0, v18
	v_not_b32_e32 v18, v36
	v_lshlrev_b32_e32 v48, 26, v4
	v_cmp_ne_u32_e64 s12, 0, v38
	v_ashrrev_i32_e32 v50, 31, v50
	v_lshlrev_b32_e32 v49, 25, v4
	v_ashrrev_i32_e32 v18, 31, v18
	v_lshlrev_b32_e32 v38, 24, v4
	s_wait_alu 0xf1ff
	v_xor_b32_e32 v17, s12, v17
	v_cmp_gt_i32_e64 s12, 0, v36
	v_not_b32_e32 v36, v37
	v_xor_b32_e32 v50, s13, v50
	v_cmp_gt_i32_e64 s13, 0, v37
	v_and_b32_e32 v17, exec_lo, v17
	v_not_b32_e32 v37, v39
	v_ashrrev_i32_e32 v36, 31, v36
	s_wait_alu 0xf1ff
	v_xor_b32_e32 v18, s12, v18
	v_cmp_gt_i32_e64 s12, 0, v39
	v_and_b32_e32 v17, v17, v50
	v_not_b32_e32 v39, v48
	v_ashrrev_i32_e32 v37, 31, v37
	v_xor_b32_e32 v36, s13, v36
	v_cmp_gt_i32_e64 s13, 0, v48
	v_and_b32_e32 v17, v17, v18
	v_not_b32_e32 v18, v49
	v_ashrrev_i32_e32 v39, 31, v39
	s_wait_alu 0xf1ff
	v_xor_b32_e32 v37, s12, v37
	v_cmp_gt_i32_e64 s12, 0, v49
	v_and_b32_e32 v17, v17, v36
	v_not_b32_e32 v36, v38
	v_ashrrev_i32_e32 v48, 31, v18
	v_xor_b32_e32 v39, s13, v39
	v_cmp_gt_i32_e64 s13, 0, v38
	v_and_b32_e32 v37, v17, v37
	v_dual_mov_b32 v18, v9 :: v_dual_mov_b32 v17, v8
	v_ashrrev_i32_e32 v8, 31, v36
	s_wait_alu 0xf1ff
	v_xor_b32_e32 v9, s12, v48
	v_and_b32_e32 v36, v37, v39
	v_lshl_add_u32 v4, v4, 3, v27
	v_xor_b32_e32 v8, s13, v8
	s_delay_alu instid0(VALU_DEP_3) | instskip(NEXT) | instid1(VALU_DEP_3)
	v_and_b32_e32 v9, v36, v9
	v_lshlrev_b64_e32 v[36:37], 2, v[4:5]
	s_delay_alu instid0(VALU_DEP_2) | instskip(NEXT) | instid1(VALU_DEP_2)
	v_and_b32_e32 v9, v9, v8
	v_add_co_u32 v8, null, v12, v36
	s_delay_alu instid0(VALU_DEP_2) | instskip(SKIP_1) | instid1(VALU_DEP_3)
	v_mbcnt_lo_u32_b32 v4, v9, 0
	v_cmp_ne_u32_e64 s13, 0, v9
	v_add_co_u32 v8, null, v8, 32
	s_delay_alu instid0(VALU_DEP_3)
	v_cmp_eq_u32_e64 s12, 0, v4
	s_and_b32 s13, s13, s12
	s_wait_alu 0xfffe
	s_and_saveexec_b32 s12, s13
; %bb.360:                              ;   in Loop: Header=BB1330_359 Depth=1
	v_bcnt_u32_b32 v9, v9, 0
	ds_store_b32 v8, v9
; %bb.361:                              ;   in Loop: Header=BB1330_359 Depth=1
	s_wait_alu 0xfffe
	s_or_b32 exec_lo, exec_lo, s12
	; wave barrier
	s_wait_loadcnt_dscnt 0x0
	s_barrier_signal -1
	s_barrier_wait -1
	global_inv scope:SCOPE_SE
	ds_load_b32 v36, v14
	ds_load_b32 v37, v19
	;; [unrolled: 1-line block ×8, first 2 shown]
	s_wait_dscnt 0x6
	v_add_nc_u32_e32 v51, v37, v36
	s_wait_dscnt 0x4
	s_delay_alu instid0(VALU_DEP_1) | instskip(SKIP_1) | instid1(VALU_DEP_1)
	v_add3_u32 v51, v51, v38, v39
	s_wait_dscnt 0x2
	v_add3_u32 v51, v51, v48, v49
	s_wait_dscnt 0x0
	s_delay_alu instid0(VALU_DEP_1) | instskip(NEXT) | instid1(VALU_DEP_1)
	v_add3_u32 v50, v51, v9, v50
	v_mov_b32_dpp v51, v50 row_shr:1 row_mask:0xf bank_mask:0xf
	s_wait_alu 0xfffd
	s_delay_alu instid0(VALU_DEP_1) | instskip(NEXT) | instid1(VALU_DEP_1)
	v_cndmask_b32_e64 v51, v51, 0, vcc_lo
	v_add_nc_u32_e32 v50, v51, v50
	s_delay_alu instid0(VALU_DEP_1) | instskip(NEXT) | instid1(VALU_DEP_1)
	v_mov_b32_dpp v51, v50 row_shr:2 row_mask:0xf bank_mask:0xf
	v_cndmask_b32_e64 v51, 0, v51, s0
	s_delay_alu instid0(VALU_DEP_1) | instskip(NEXT) | instid1(VALU_DEP_1)
	v_add_nc_u32_e32 v50, v50, v51
	v_mov_b32_dpp v51, v50 row_shr:4 row_mask:0xf bank_mask:0xf
	s_delay_alu instid0(VALU_DEP_1) | instskip(NEXT) | instid1(VALU_DEP_1)
	v_cndmask_b32_e64 v51, 0, v51, s1
	v_add_nc_u32_e32 v50, v50, v51
	s_delay_alu instid0(VALU_DEP_1) | instskip(NEXT) | instid1(VALU_DEP_1)
	v_mov_b32_dpp v51, v50 row_shr:8 row_mask:0xf bank_mask:0xf
	v_cndmask_b32_e64 v51, 0, v51, s3
	s_delay_alu instid0(VALU_DEP_1) | instskip(SKIP_3) | instid1(VALU_DEP_1)
	v_add_nc_u32_e32 v50, v50, v51
	ds_swizzle_b32 v51, v50 offset:swizzle(BROADCAST,32,15)
	s_wait_dscnt 0x0
	v_cndmask_b32_e64 v51, v51, 0, s4
	v_add_nc_u32_e32 v50, v50, v51
	s_and_saveexec_b32 s12, s5
; %bb.362:                              ;   in Loop: Header=BB1330_359 Depth=1
	ds_store_b32 v30, v50
; %bb.363:                              ;   in Loop: Header=BB1330_359 Depth=1
	s_wait_alu 0xfffe
	s_or_b32 exec_lo, exec_lo, s12
	s_wait_loadcnt_dscnt 0x0
	s_barrier_signal -1
	s_barrier_wait -1
	global_inv scope:SCOPE_SE
	s_and_saveexec_b32 s12, s6
	s_cbranch_execz .LBB1330_365
; %bb.364:                              ;   in Loop: Header=BB1330_359 Depth=1
	ds_load_b32 v51, v28
	s_wait_dscnt 0x0
	v_mov_b32_dpp v52, v51 row_shr:1 row_mask:0xf bank_mask:0xf
	s_delay_alu instid0(VALU_DEP_1) | instskip(NEXT) | instid1(VALU_DEP_1)
	v_cndmask_b32_e64 v52, v52, 0, s9
	v_add_nc_u32_e32 v51, v52, v51
	s_delay_alu instid0(VALU_DEP_1) | instskip(NEXT) | instid1(VALU_DEP_1)
	v_mov_b32_dpp v52, v51 row_shr:2 row_mask:0xf bank_mask:0xf
	v_cndmask_b32_e64 v52, 0, v52, s10
	s_delay_alu instid0(VALU_DEP_1) | instskip(NEXT) | instid1(VALU_DEP_1)
	v_add_nc_u32_e32 v51, v51, v52
	v_mov_b32_dpp v52, v51 row_shr:4 row_mask:0xf bank_mask:0xf
	s_delay_alu instid0(VALU_DEP_1) | instskip(NEXT) | instid1(VALU_DEP_1)
	v_cndmask_b32_e64 v52, 0, v52, s11
	v_add_nc_u32_e32 v51, v51, v52
	ds_store_b32 v28, v51
.LBB1330_365:                           ;   in Loop: Header=BB1330_359 Depth=1
	s_wait_alu 0xfffe
	s_or_b32 exec_lo, exec_lo, s12
	v_mov_b32_e32 v51, 0
	s_wait_loadcnt_dscnt 0x0
	s_barrier_signal -1
	s_barrier_wait -1
	global_inv scope:SCOPE_SE
	s_and_saveexec_b32 s12, s7
; %bb.366:                              ;   in Loop: Header=BB1330_359 Depth=1
	ds_load_b32 v51, v32
; %bb.367:                              ;   in Loop: Header=BB1330_359 Depth=1
	s_wait_alu 0xfffe
	s_or_b32 exec_lo, exec_lo, s12
	s_wait_dscnt 0x0
	v_add_nc_u32_e32 v50, v51, v50
	v_add_nc_u32_e32 v10, 8, v10
	s_mov_b32 s16, -1
	s_mov_b32 s13, exec_lo
	ds_bpermute_b32 v50, v29, v50
	s_wait_dscnt 0x0
	v_cndmask_b32_e64 v50, v50, v51, s2
	s_delay_alu instid0(VALU_DEP_1) | instskip(NEXT) | instid1(VALU_DEP_1)
	v_cndmask_b32_e64 v50, v50, 0, s8
	v_add_nc_u32_e32 v36, v50, v36
	s_delay_alu instid0(VALU_DEP_1) | instskip(SKIP_4) | instid1(VALU_DEP_1)
	v_add_nc_u32_e32 v37, v36, v37
	ds_store_b32 v14, v50
	ds_store_b32 v19, v36
	;; [unrolled: 1-line block ×3, first 2 shown]
	v_add_nc_u32_e32 v38, v37, v38
	v_add_nc_u32_e32 v39, v38, v39
	s_delay_alu instid0(VALU_DEP_1) | instskip(NEXT) | instid1(VALU_DEP_1)
	v_add_nc_u32_e32 v48, v39, v48
	v_add_nc_u32_e32 v49, v48, v49
	s_delay_alu instid0(VALU_DEP_1)
	v_add_nc_u32_e32 v9, v49, v9
	ds_store_b32 v22, v38
	ds_store_b32 v23, v39
	;; [unrolled: 1-line block ×5, first 2 shown]
	s_wait_loadcnt_dscnt 0x0
	s_barrier_signal -1
	s_barrier_wait -1
	global_inv scope:SCOPE_SE
	ds_load_b32 v8, v8
	s_wait_loadcnt_dscnt 0x0
	v_add_nc_u32_e32 v4, v8, v4
	s_delay_alu instid0(VALU_DEP_1) | instskip(NEXT) | instid1(VALU_DEP_1)
	v_lshlrev_b64_e32 v[8:9], 2, v[4:5]
                                        ; implicit-def: $vgpr4
	v_add_co_u32 v37, null, v12, v8
	s_delay_alu instid0(VALU_DEP_1)
	v_add_co_u32 v36, null, v37, v8
                                        ; implicit-def: $vgpr8_vgpr9
	v_cmpx_lt_u32_e64 v10, v11
	s_cbranch_execz .LBB1330_358
; %bb.368:                              ;   in Loop: Header=BB1330_359 Depth=1
	s_barrier_signal -1
	s_barrier_wait -1
	global_inv scope:SCOPE_SE
	ds_store_b32 v37, v35
	s_wait_loadcnt_dscnt 0x0
	s_barrier_signal -1
	s_barrier_wait -1
	global_inv scope:SCOPE_SE
	ds_load_b32 v4, v31
	s_wait_loadcnt_dscnt 0x0
	s_barrier_signal -1
	s_barrier_wait -1
	global_inv scope:SCOPE_SE
	ds_store_b64 v36, v[17:18]
	s_wait_loadcnt_dscnt 0x0
	s_barrier_signal -1
	s_barrier_wait -1
	global_inv scope:SCOPE_SE
	ds_load_b64 v[8:9], v33
	v_add_nc_u32_e32 v34, -8, v34
	s_xor_b32 s16, exec_lo, -1
	s_wait_loadcnt_dscnt 0x0
	s_barrier_signal -1
	s_barrier_wait -1
	global_inv scope:SCOPE_SE
	s_branch .LBB1330_358
.LBB1330_369:
	s_or_b32 exec_lo, exec_lo, s15
	v_lshl_add_u32 v4, v21, 3, v12
	s_barrier_signal -1
	s_barrier_wait -1
	s_wait_loadcnt 0x0
	global_inv scope:SCOPE_SE
	ds_store_b32 v37, v35
	s_wait_loadcnt_dscnt 0x0
	s_barrier_signal -1
	s_barrier_wait -1
	global_inv scope:SCOPE_SE
	ds_load_b32 v8, v28
	s_wait_loadcnt_dscnt 0x0
	s_barrier_signal -1
	s_barrier_wait -1
	global_inv scope:SCOPE_SE
	ds_store_b64 v36, v[17:18]
	s_wait_loadcnt_dscnt 0x0
	s_barrier_signal -1
	s_barrier_wait -1
	global_inv scope:SCOPE_SE
	ds_load_b64 v[4:5], v4
	s_mov_b32 s0, exec_lo
	s_wait_loadcnt_dscnt 0x0
	s_barrier_signal -1
	s_barrier_wait -1
	global_inv scope:SCOPE_SE
	v_cmpx_lt_u32_e64 v13, v119
	s_cbranch_execz .LBB1330_371
; %bb.370:
	v_mov_b32_e32 v14, 0
	v_add_co_u32 v2, vcc_lo, v2, v15
	s_wait_alu 0xfffd
	v_add_co_ci_u32_e64 v3, null, v3, v16, vcc_lo
	s_delay_alu instid0(VALU_DEP_3) | instskip(SKIP_3) | instid1(VALU_DEP_3)
	v_lshlrev_b64_e32 v[9:10], 2, v[13:14]
	v_cmp_gt_i32_e32 vcc_lo, 0, v8
	s_wait_alu 0xfffd
	v_cndmask_b32_e64 v11, 0x7fffffff, 0, vcc_lo
	v_add_co_u32 v2, vcc_lo, v2, v9
	s_wait_alu 0xfffd
	v_add_co_ci_u32_e64 v3, null, v3, v10, vcc_lo
	v_lshlrev_b64_e32 v[9:10], 3, v[13:14]
	v_add_co_u32 v0, vcc_lo, v6, v0
	s_wait_alu 0xfffd
	v_add_co_ci_u32_e64 v1, null, v7, v1, vcc_lo
	v_xor_b32_e32 v6, v11, v8
	s_delay_alu instid0(VALU_DEP_3) | instskip(SKIP_1) | instid1(VALU_DEP_3)
	v_add_co_u32 v0, vcc_lo, v0, v9
	s_wait_alu 0xfffd
	v_add_co_ci_u32_e64 v1, null, v1, v10, vcc_lo
	flat_store_b32 v[2:3], v6
	flat_store_b64 v[0:1], v[4:5]
.LBB1330_371:
	s_wait_alu 0xfffe
	s_or_b32 exec_lo, exec_lo, s0
.LBB1330_372:
	s_wait_alu 0xfffe
	s_or_b32 exec_lo, exec_lo, s18
	s_clause 0x17
	scratch_load_b32 v79, off, s32
	scratch_load_b32 v78, off, s32 offset:4
	scratch_load_b32 v77, off, s32 offset:8
	;; [unrolled: 1-line block ×23, first 2 shown]
	s_wait_loadcnt_dscnt 0x0
	s_setpc_b64 s[30:31]
.Lfunc_end1330:
	.size	_ZN7rocprim17ROCPRIM_400000_NS6detail40segmented_radix_sort_single_block_helperIflLj256ELj16ELb1EE4sortIPKfPfPKlPlEEbT_T0_T1_T2_jjjjRNS3_12storage_typeE, .Lfunc_end1330-_ZN7rocprim17ROCPRIM_400000_NS6detail40segmented_radix_sort_single_block_helperIflLj256ELj16ELb1EE4sortIPKfPfPKlPlEEbT_T0_T1_T2_jjjjRNS3_12storage_typeE
                                        ; -- End function
	.set .L_ZN7rocprim17ROCPRIM_400000_NS6detail40segmented_radix_sort_single_block_helperIflLj256ELj16ELb1EE4sortIPKfPfPKlPlEEbT_T0_T1_T2_jjjjRNS3_12storage_typeE.num_vgpr, 248
	.set .L_ZN7rocprim17ROCPRIM_400000_NS6detail40segmented_radix_sort_single_block_helperIflLj256ELj16ELb1EE4sortIPKfPfPKlPlEEbT_T0_T1_T2_jjjjRNS3_12storage_typeE.num_agpr, 0
	.set .L_ZN7rocprim17ROCPRIM_400000_NS6detail40segmented_radix_sort_single_block_helperIflLj256ELj16ELb1EE4sortIPKfPfPKlPlEEbT_T0_T1_T2_jjjjRNS3_12storage_typeE.numbered_sgpr, 33
	.set .L_ZN7rocprim17ROCPRIM_400000_NS6detail40segmented_radix_sort_single_block_helperIflLj256ELj16ELb1EE4sortIPKfPfPKlPlEEbT_T0_T1_T2_jjjjRNS3_12storage_typeE.num_named_barrier, 0
	.set .L_ZN7rocprim17ROCPRIM_400000_NS6detail40segmented_radix_sort_single_block_helperIflLj256ELj16ELb1EE4sortIPKfPfPKlPlEEbT_T0_T1_T2_jjjjRNS3_12storage_typeE.private_seg_size, 100
	.set .L_ZN7rocprim17ROCPRIM_400000_NS6detail40segmented_radix_sort_single_block_helperIflLj256ELj16ELb1EE4sortIPKfPfPKlPlEEbT_T0_T1_T2_jjjjRNS3_12storage_typeE.uses_vcc, 1
	.set .L_ZN7rocprim17ROCPRIM_400000_NS6detail40segmented_radix_sort_single_block_helperIflLj256ELj16ELb1EE4sortIPKfPfPKlPlEEbT_T0_T1_T2_jjjjRNS3_12storage_typeE.uses_flat_scratch, 1
	.set .L_ZN7rocprim17ROCPRIM_400000_NS6detail40segmented_radix_sort_single_block_helperIflLj256ELj16ELb1EE4sortIPKfPfPKlPlEEbT_T0_T1_T2_jjjjRNS3_12storage_typeE.has_dyn_sized_stack, 0
	.set .L_ZN7rocprim17ROCPRIM_400000_NS6detail40segmented_radix_sort_single_block_helperIflLj256ELj16ELb1EE4sortIPKfPfPKlPlEEbT_T0_T1_T2_jjjjRNS3_12storage_typeE.has_recursion, 0
	.set .L_ZN7rocprim17ROCPRIM_400000_NS6detail40segmented_radix_sort_single_block_helperIflLj256ELj16ELb1EE4sortIPKfPfPKlPlEEbT_T0_T1_T2_jjjjRNS3_12storage_typeE.has_indirect_call, 0
	.section	.AMDGPU.csdata,"",@progbits
; Function info:
; codeLenInByte = 33536
; TotalNumSgprs: 35
; NumVgprs: 248
; ScratchSize: 100
; MemoryBound: 1
	.section	.text._ZN7rocprim17ROCPRIM_400000_NS6detail17trampoline_kernelINS0_14default_configENS1_36segmented_radix_sort_config_selectorIflEEZNS1_25segmented_radix_sort_implIS3_Lb1EPKfPfPKlPlN2at6native12_GLOBAL__N_18offset_tEEE10hipError_tPvRmT1_PNSt15iterator_traitsISK_E10value_typeET2_T3_PNSL_ISQ_E10value_typeET4_jRbjT5_SW_jjP12ihipStream_tbEUlT_E_NS1_11comp_targetILNS1_3genE10ELNS1_11target_archE1201ELNS1_3gpuE5ELNS1_3repE0EEENS1_30default_config_static_selectorELNS0_4arch9wavefront6targetE0EEEvSK_,"axG",@progbits,_ZN7rocprim17ROCPRIM_400000_NS6detail17trampoline_kernelINS0_14default_configENS1_36segmented_radix_sort_config_selectorIflEEZNS1_25segmented_radix_sort_implIS3_Lb1EPKfPfPKlPlN2at6native12_GLOBAL__N_18offset_tEEE10hipError_tPvRmT1_PNSt15iterator_traitsISK_E10value_typeET2_T3_PNSL_ISQ_E10value_typeET4_jRbjT5_SW_jjP12ihipStream_tbEUlT_E_NS1_11comp_targetILNS1_3genE10ELNS1_11target_archE1201ELNS1_3gpuE5ELNS1_3repE0EEENS1_30default_config_static_selectorELNS0_4arch9wavefront6targetE0EEEvSK_,comdat
	.globl	_ZN7rocprim17ROCPRIM_400000_NS6detail17trampoline_kernelINS0_14default_configENS1_36segmented_radix_sort_config_selectorIflEEZNS1_25segmented_radix_sort_implIS3_Lb1EPKfPfPKlPlN2at6native12_GLOBAL__N_18offset_tEEE10hipError_tPvRmT1_PNSt15iterator_traitsISK_E10value_typeET2_T3_PNSL_ISQ_E10value_typeET4_jRbjT5_SW_jjP12ihipStream_tbEUlT_E_NS1_11comp_targetILNS1_3genE10ELNS1_11target_archE1201ELNS1_3gpuE5ELNS1_3repE0EEENS1_30default_config_static_selectorELNS0_4arch9wavefront6targetE0EEEvSK_ ; -- Begin function _ZN7rocprim17ROCPRIM_400000_NS6detail17trampoline_kernelINS0_14default_configENS1_36segmented_radix_sort_config_selectorIflEEZNS1_25segmented_radix_sort_implIS3_Lb1EPKfPfPKlPlN2at6native12_GLOBAL__N_18offset_tEEE10hipError_tPvRmT1_PNSt15iterator_traitsISK_E10value_typeET2_T3_PNSL_ISQ_E10value_typeET4_jRbjT5_SW_jjP12ihipStream_tbEUlT_E_NS1_11comp_targetILNS1_3genE10ELNS1_11target_archE1201ELNS1_3gpuE5ELNS1_3repE0EEENS1_30default_config_static_selectorELNS0_4arch9wavefront6targetE0EEEvSK_
	.p2align	8
	.type	_ZN7rocprim17ROCPRIM_400000_NS6detail17trampoline_kernelINS0_14default_configENS1_36segmented_radix_sort_config_selectorIflEEZNS1_25segmented_radix_sort_implIS3_Lb1EPKfPfPKlPlN2at6native12_GLOBAL__N_18offset_tEEE10hipError_tPvRmT1_PNSt15iterator_traitsISK_E10value_typeET2_T3_PNSL_ISQ_E10value_typeET4_jRbjT5_SW_jjP12ihipStream_tbEUlT_E_NS1_11comp_targetILNS1_3genE10ELNS1_11target_archE1201ELNS1_3gpuE5ELNS1_3repE0EEENS1_30default_config_static_selectorELNS0_4arch9wavefront6targetE0EEEvSK_,@function
_ZN7rocprim17ROCPRIM_400000_NS6detail17trampoline_kernelINS0_14default_configENS1_36segmented_radix_sort_config_selectorIflEEZNS1_25segmented_radix_sort_implIS3_Lb1EPKfPfPKlPlN2at6native12_GLOBAL__N_18offset_tEEE10hipError_tPvRmT1_PNSt15iterator_traitsISK_E10value_typeET2_T3_PNSL_ISQ_E10value_typeET4_jRbjT5_SW_jjP12ihipStream_tbEUlT_E_NS1_11comp_targetILNS1_3genE10ELNS1_11target_archE1201ELNS1_3gpuE5ELNS1_3repE0EEENS1_30default_config_static_selectorELNS0_4arch9wavefront6targetE0EEEvSK_: ; @_ZN7rocprim17ROCPRIM_400000_NS6detail17trampoline_kernelINS0_14default_configENS1_36segmented_radix_sort_config_selectorIflEEZNS1_25segmented_radix_sort_implIS3_Lb1EPKfPfPKlPlN2at6native12_GLOBAL__N_18offset_tEEE10hipError_tPvRmT1_PNSt15iterator_traitsISK_E10value_typeET2_T3_PNSL_ISQ_E10value_typeET4_jRbjT5_SW_jjP12ihipStream_tbEUlT_E_NS1_11comp_targetILNS1_3genE10ELNS1_11target_archE1201ELNS1_3gpuE5ELNS1_3repE0EEENS1_30default_config_static_selectorELNS0_4arch9wavefront6targetE0EEEvSK_
; %bb.0:
	s_clause 0x1
	s_load_b64 s[8:9], s[0:1], 0x38
	s_load_b128 s[4:7], s[0:1], 0x40
	s_mov_b32 s2, ttmp9
	s_mov_b32 s3, 0
	s_mov_b32 s32, 0
	s_lshl_b64 s[2:3], s[2:3], 2
	s_wait_kmcnt 0x0
	s_add_nc_u64 s[2:3], s[8:9], s[2:3]
	s_load_b32 s2, s[2:3], 0x0
	s_wait_kmcnt 0x0
	s_add_co_i32 s33, s2, s5
	s_add_co_i32 s51, s2, s7
	s_mul_i32 s33, s33, s4
	s_mul_i32 s51, s51, s6
	s_delay_alu instid0(SALU_CYCLE_1)
	s_cmp_le_u32 s51, s33
	s_cbranch_scc1 .LBB1331_1182
; %bb.1:
	s_clause 0x3
	s_load_b32 s2, s[0:1], 0x30
	s_load_b128 s[44:47], s[0:1], 0x20
	s_load_b96 s[48:50], s[0:1], 0x50
	s_load_b256 s[36:43], s[0:1], 0x0
	s_wait_kmcnt 0x0
	s_bitcmp1_b32 s2, 0
	s_mov_b32 s2, -1
	s_cselect_b32 s52, -1, 0
	s_sub_co_i32 s53, s51, s33
	s_delay_alu instid0(SALU_CYCLE_1)
	s_cmp_lt_u32 s53, 0x1001
	s_cbranch_scc0 .LBB1331_7
; %bb.2:
	v_cndmask_b32_e64 v1, 0, 1, s52
	s_and_b32 s2, s48, 1
	s_delay_alu instid0(VALU_DEP_1) | instid1(SALU_CYCLE_1)
	v_cmp_ne_u32_e32 vcc_lo, s2, v1
	s_mov_b32 s2, -1
	s_cbranch_vccnz .LBB1331_4
; %bb.3:
	s_mov_b64 s[2:3], src_shared_base
	v_dual_mov_b32 v31, v0 :: v_dual_mov_b32 v40, v0
	v_dual_mov_b32 v0, s36 :: v_dual_mov_b32 v1, s37
	;; [unrolled: 1-line block ×7, first 2 shown]
	s_wait_alu 0xfffe
	v_dual_mov_b32 v12, 0 :: v_dual_mov_b32 v13, s3
	s_add_nc_u64 s[8:9], s[0:1], 0x60
	s_getpc_b64 s[4:5]
	s_sext_i32_i16 s5, s5
	s_add_co_u32 s4, s4, _ZN7rocprim17ROCPRIM_400000_NS6detail40segmented_radix_sort_single_block_helperIflLj256ELj16ELb1EE4sortIPKfPfPKlPlEEbT_T0_T1_T2_jjjjRNS3_12storage_typeE@rel32@lo+8
	s_add_co_ci_u32 s5, s5, _ZN7rocprim17ROCPRIM_400000_NS6detail40segmented_radix_sort_single_block_helperIflLj256ELj16ELb1EE4sortIPKfPfPKlPlEEbT_T0_T1_T2_jjjjRNS3_12storage_typeE@rel32@hi+16
	s_mov_b64 s[22:23], s[0:1]
	s_swappc_b64 s[30:31], s[4:5]
	v_mov_b32_e32 v0, v40
	s_mov_b64 s[0:1], s[22:23]
	s_mov_b32 s2, 0
.LBB1331_4:
	s_wait_alu 0xfffe
	s_and_not1_b32 vcc_lo, exec_lo, s2
	s_wait_alu 0xfffe
	s_cbranch_vccnz .LBB1331_6
; %bb.5:
	s_mov_b64 s[2:3], src_shared_base
	v_dual_mov_b32 v31, v0 :: v_dual_mov_b32 v40, v0
	v_dual_mov_b32 v0, s36 :: v_dual_mov_b32 v1, s37
	;; [unrolled: 1-line block ×7, first 2 shown]
	s_wait_alu 0xfffe
	v_dual_mov_b32 v12, 0 :: v_dual_mov_b32 v13, s3
	s_add_nc_u64 s[8:9], s[0:1], 0x60
	s_getpc_b64 s[4:5]
	s_wait_alu 0xfffe
	s_sext_i32_i16 s5, s5
	s_add_co_u32 s4, s4, _ZN7rocprim17ROCPRIM_400000_NS6detail40segmented_radix_sort_single_block_helperIflLj256ELj16ELb1EE4sortIPKfPfPKlPlEEbT_T0_T1_T2_jjjjRNS3_12storage_typeE@rel32@lo+12
	s_wait_alu 0xfffe
	s_add_co_ci_u32 s5, s5, _ZN7rocprim17ROCPRIM_400000_NS6detail40segmented_radix_sort_single_block_helperIflLj256ELj16ELb1EE4sortIPKfPfPKlPlEEbT_T0_T1_T2_jjjjRNS3_12storage_typeE@rel32@hi+24
	s_mov_b64 s[22:23], s[0:1]
	s_wait_alu 0xfffe
	s_swappc_b64 s[30:31], s[4:5]
	v_mov_b32_e32 v0, v40
	s_mov_b64 s[0:1], s[22:23]
.LBB1331_6:
	s_mov_b32 s2, 0
.LBB1331_7:
	s_wait_alu 0xfffe
	s_and_not1_b32 vcc_lo, exec_lo, s2
	s_wait_alu 0xfffe
	s_cbranch_vccnz .LBB1331_1182
; %bb.8:
	s_cmp_ge_u32 s49, s50
	s_cbranch_scc1 .LBB1331_1182
; %bb.9:
	v_dual_mov_b32 v84, 1 :: v_dual_and_b32 v1, 0x3ff, v0
	v_dual_mov_b32 v3, 0 :: v_dual_and_b32 v2, 3, v0
	v_lshrrev_b32_e32 v4, 3, v0
	s_delay_alu instid0(VALU_DEP_3)
	v_lshlrev_b32_e32 v44, 2, v1
	v_mbcnt_lo_u32_b32 v81, -1, 0
	v_or_b32_e32 v45, 0x100, v1
	v_lshlrev_b32_e32 v62, 2, v2
	v_or_b32_e32 v2, 31, v1
	v_and_b32_e32 v63, 28, v4
	v_lshlrev_b32_e32 v4, 4, v1
	v_mad_u32_u24 v64, v1, 12, v44
	v_lshlrev_b32_e32 v91, 3, v81
	v_cmp_eq_u32_e64 s3, v1, v2
	v_lshlrev_b32_e32 v2, 5, v1
	v_and_b32_e32 v4, 0xe00, v4
	v_mad_u32_u24 v67, v1, 20, v64
	v_lshlrev_b32_e32 v107, 2, v81
	v_add_co_u32 v48, s2, s40, v44
	s_delay_alu instid0(VALU_DEP_4) | instskip(NEXT) | instid1(VALU_DEP_4)
	v_lshlrev_b32_e32 v5, 2, v4
	v_sub_nc_u32_e32 v70, v67, v2
	v_lshlrev_b32_e32 v2, 3, v4
	v_or_b32_e32 v88, v81, v4
	v_or_b32_e32 v46, 0x200, v1
	;; [unrolled: 1-line block ×3, first 2 shown]
	s_wait_alu 0xf1ff
	v_add_co_ci_u32_e64 v49, null, s41, 0, s2
	v_add_co_u32 v6, s8, s46, v2
	s_wait_alu 0xf1ff
	v_add_co_ci_u32_e64 v7, null, s47, 0, s8
	v_add_co_u32 v8, s8, s40, v5
	;; [unrolled: 3-line block ×7, first 2 shown]
	v_add_co_u32 v109, vcc_lo, v6, v91
	s_wait_alu 0xf1ff
	v_add_co_ci_u32_e64 v80, null, s43, 0, s8
	v_add_co_u32 v82, s8, s36, v5
	s_wait_alu 0xfffd
	v_add_co_ci_u32_e64 v110, null, 0, v7, vcc_lo
	v_add_co_u32 v111, vcc_lo, v8, v107
	v_or_b32_e32 v50, 0x400, v1
	v_or_b32_e32 v51, 0x500, v1
	;; [unrolled: 1-line block ×12, first 2 shown]
	v_cmp_gt_u32_e64 s2, 0x100, v1
	v_or_b32_e32 v65, 0x8400, v63
	v_cmp_gt_u32_e64 s4, 8, v1
	v_add_nc_u32_e32 v66, 0x8400, v44
	v_cmp_lt_u32_e64 s5, 31, v1
	v_add_nc_u32_e32 v68, 0x83fc, v63
	v_bfe_u32 v69, v0, 20, 10
	v_bfe_u32 v0, v0, 10, 10
	v_cmp_eq_u32_e64 s6, 0, v1
	v_cmp_ne_u32_e64 s7, 0xff, v1
	s_wait_alu 0xf1ff
	v_add_co_ci_u32_e64 v83, null, s37, 0, s8
	v_and_b32_e32 v85, 15, v81
	v_bfe_i32 v86, v81, 4, 1
	v_and_b32_e32 v87, 16, v81
	v_and_b32_e32 v89, 7, v81
	v_sub_co_u32 v90, s8, v81, 1
	v_or_b32_e32 v92, 32, v88
	v_or_b32_e32 v93, 64, v88
	;; [unrolled: 1-line block ×15, first 2 shown]
	v_lshlrev_b32_e32 v108, 2, v1
	s_wait_alu 0xfffd
	v_add_co_ci_u32_e64 v112, null, 0, v9, vcc_lo
	s_add_nc_u64 s[34:35], s[0:1], 0x60
	s_mov_b32 s43, 0
	s_mov_b32 s31, s49
	s_branch .LBB1331_12
.LBB1331_10:                            ;   in Loop: Header=BB1331_12 Depth=1
	s_wait_loadcnt_dscnt 0x0
	s_barrier_signal -1
	s_barrier_wait -1
.LBB1331_11:                            ;   in Loop: Header=BB1331_12 Depth=1
	s_add_co_i32 s31, s31, 8
	global_inv scope:SCOPE_SE
	s_wait_alu 0xfffe
	s_cmp_ge_u32 s31, s50
	s_cbranch_scc1 .LBB1331_1182
.LBB1331_12:                            ; =>This Loop Header: Depth=1
                                        ;     Child Loop BB1331_16 Depth 2
                                        ;     Child Loop BB1331_96 Depth 2
	;; [unrolled: 1-line block ×8, first 2 shown]
	s_wait_alu 0xfffe
	s_sub_co_i32 s0, s50, s31
	s_xor_b32 s52, s52, -1
	s_wait_alu 0xfffe
	s_min_u32 s0, s0, 8
	ds_store_2addr_stride64_b32 v44, v3, v3 offset1:4
	s_wait_alu 0xfffe
	s_lshl_b32 s0, -1, s0
	ds_store_2addr_stride64_b32 v44, v3, v3 offset0:8 offset1:12
	s_wait_alu 0xfffe
	s_not_b32 s48, s0
	s_cmp_lg_u32 s31, s49
	s_mov_b32 s0, -1
	s_wait_storecnt_dscnt 0x0
	s_cbranch_scc0 .LBB1331_598
; %bb.13:                               ;   in Loop: Header=BB1331_12 Depth=1
	s_and_b32 vcc_lo, exec_lo, s52
	s_wait_alu 0xfffe
	s_cbranch_vccz .LBB1331_305
; %bb.14:                               ;   in Loop: Header=BB1331_12 Depth=1
	s_mov_b32 s9, s53
	s_mov_b32 s42, s33
	s_barrier_signal -1
	s_barrier_wait -1
	global_inv scope:SCOPE_SE
                                        ; implicit-def: $vgpr2
                                        ; implicit-def: $vgpr4
                                        ; implicit-def: $vgpr5
                                        ; implicit-def: $vgpr6
                                        ; implicit-def: $vgpr7
                                        ; implicit-def: $vgpr8
                                        ; implicit-def: $vgpr9
                                        ; implicit-def: $vgpr10
                                        ; implicit-def: $vgpr11
                                        ; implicit-def: $vgpr12
                                        ; implicit-def: $vgpr13
                                        ; implicit-def: $vgpr14
                                        ; implicit-def: $vgpr15
                                        ; implicit-def: $vgpr16
                                        ; implicit-def: $vgpr17
                                        ; implicit-def: $vgpr18
	s_branch .LBB1331_16
.LBB1331_15:                            ;   in Loop: Header=BB1331_16 Depth=2
	s_wait_alu 0xfffe
	s_or_b32 exec_lo, exec_lo, s0
	s_addk_co_i32 s9, 0xf000
	s_cmp_ge_u32 s10, s51
	s_mov_b32 s42, s10
	s_cbranch_scc1 .LBB1331_84
.LBB1331_16:                            ;   Parent Loop BB1331_12 Depth=1
                                        ; =>  This Inner Loop Header: Depth=2
	s_wait_alu 0xfffe
	s_add_co_i32 s10, s42, 0x1000
	s_mov_b32 s0, -1
	s_wait_alu 0xfffe
	s_cmp_gt_u32 s10, s51
                                        ; implicit-def: $vgpr19
                                        ; implicit-def: $vgpr20
                                        ; implicit-def: $vgpr21
                                        ; implicit-def: $vgpr22
                                        ; implicit-def: $vgpr23
                                        ; implicit-def: $vgpr24
                                        ; implicit-def: $vgpr25
                                        ; implicit-def: $vgpr26
                                        ; implicit-def: $vgpr27
                                        ; implicit-def: $vgpr28
                                        ; implicit-def: $vgpr29
                                        ; implicit-def: $vgpr30
                                        ; implicit-def: $vgpr31
                                        ; implicit-def: $vgpr32
                                        ; implicit-def: $vgpr33
                                        ; implicit-def: $vgpr34
	s_cbranch_scc1 .LBB1331_18
; %bb.17:                               ;   in Loop: Header=BB1331_16 Depth=2
	s_lshl_b64 s[0:1], s[42:43], 2
	s_wait_alu 0xfffe
	v_add_co_u32 v34, vcc_lo, v48, s0
	s_wait_alu 0xfffd
	v_add_co_ci_u32_e64 v35, null, s1, v49, vcc_lo
	s_mov_b32 s0, 0
	s_clause 0xf
	global_load_b32 v19, v[34:35], off
	global_load_b32 v20, v[34:35], off offset:1024
	global_load_b32 v21, v[34:35], off offset:2048
	;; [unrolled: 1-line block ×15, first 2 shown]
.LBB1331_18:                            ;   in Loop: Header=BB1331_16 Depth=2
	s_wait_alu 0xfffe
	s_and_not1_b32 vcc_lo, exec_lo, s0
	s_movk_i32 s0, 0x1000
	s_wait_alu 0xfffe
	s_cbranch_vccnz .LBB1331_37
; %bb.19:                               ;   in Loop: Header=BB1331_16 Depth=2
	s_lshl_b64 s[0:1], s[42:43], 2
	s_mov_b32 s11, exec_lo
	s_wait_alu 0xfffe
	s_add_nc_u64 s[0:1], s[40:41], s[0:1]
	v_cmpx_gt_u32_e64 s9, v1
	s_cbranch_execnz .LBB1331_69
; %bb.20:                               ;   in Loop: Header=BB1331_16 Depth=2
	s_or_b32 exec_lo, exec_lo, s11
	s_delay_alu instid0(SALU_CYCLE_1)
	s_mov_b32 s11, exec_lo
	v_cmpx_gt_u32_e64 s9, v45
	s_cbranch_execnz .LBB1331_70
.LBB1331_21:                            ;   in Loop: Header=BB1331_16 Depth=2
	s_wait_alu 0xfffe
	s_or_b32 exec_lo, exec_lo, s11
	s_delay_alu instid0(SALU_CYCLE_1)
	s_mov_b32 s11, exec_lo
	v_cmpx_gt_u32_e64 s9, v46
	s_cbranch_execnz .LBB1331_71
.LBB1331_22:                            ;   in Loop: Header=BB1331_16 Depth=2
	s_wait_alu 0xfffe
	s_or_b32 exec_lo, exec_lo, s11
	s_delay_alu instid0(SALU_CYCLE_1)
	s_mov_b32 s11, exec_lo
	v_cmpx_gt_u32_e64 s9, v47
	s_cbranch_execnz .LBB1331_72
.LBB1331_23:                            ;   in Loop: Header=BB1331_16 Depth=2
	s_wait_alu 0xfffe
	s_or_b32 exec_lo, exec_lo, s11
	s_delay_alu instid0(SALU_CYCLE_1)
	s_mov_b32 s11, exec_lo
	v_cmpx_gt_u32_e64 s9, v50
	s_cbranch_execnz .LBB1331_73
.LBB1331_24:                            ;   in Loop: Header=BB1331_16 Depth=2
	s_wait_alu 0xfffe
	s_or_b32 exec_lo, exec_lo, s11
	s_delay_alu instid0(SALU_CYCLE_1)
	s_mov_b32 s11, exec_lo
	v_cmpx_gt_u32_e64 s9, v51
	s_cbranch_execnz .LBB1331_74
.LBB1331_25:                            ;   in Loop: Header=BB1331_16 Depth=2
	s_wait_alu 0xfffe
	s_or_b32 exec_lo, exec_lo, s11
	s_delay_alu instid0(SALU_CYCLE_1)
	s_mov_b32 s11, exec_lo
	v_cmpx_gt_u32_e64 s9, v52
	s_cbranch_execnz .LBB1331_75
.LBB1331_26:                            ;   in Loop: Header=BB1331_16 Depth=2
	s_wait_alu 0xfffe
	s_or_b32 exec_lo, exec_lo, s11
	s_delay_alu instid0(SALU_CYCLE_1)
	s_mov_b32 s11, exec_lo
	v_cmpx_gt_u32_e64 s9, v53
	s_cbranch_execnz .LBB1331_76
.LBB1331_27:                            ;   in Loop: Header=BB1331_16 Depth=2
	s_wait_alu 0xfffe
	s_or_b32 exec_lo, exec_lo, s11
	s_delay_alu instid0(SALU_CYCLE_1)
	s_mov_b32 s11, exec_lo
	v_cmpx_gt_u32_e64 s9, v54
	s_cbranch_execnz .LBB1331_77
.LBB1331_28:                            ;   in Loop: Header=BB1331_16 Depth=2
	s_wait_alu 0xfffe
	s_or_b32 exec_lo, exec_lo, s11
	s_delay_alu instid0(SALU_CYCLE_1)
	s_mov_b32 s11, exec_lo
	v_cmpx_gt_u32_e64 s9, v55
	s_cbranch_execnz .LBB1331_78
.LBB1331_29:                            ;   in Loop: Header=BB1331_16 Depth=2
	s_wait_alu 0xfffe
	s_or_b32 exec_lo, exec_lo, s11
	s_delay_alu instid0(SALU_CYCLE_1)
	s_mov_b32 s11, exec_lo
	v_cmpx_gt_u32_e64 s9, v56
	s_cbranch_execnz .LBB1331_79
.LBB1331_30:                            ;   in Loop: Header=BB1331_16 Depth=2
	s_wait_alu 0xfffe
	s_or_b32 exec_lo, exec_lo, s11
	s_delay_alu instid0(SALU_CYCLE_1)
	s_mov_b32 s11, exec_lo
	v_cmpx_gt_u32_e64 s9, v57
	s_cbranch_execnz .LBB1331_80
.LBB1331_31:                            ;   in Loop: Header=BB1331_16 Depth=2
	s_wait_alu 0xfffe
	s_or_b32 exec_lo, exec_lo, s11
	s_delay_alu instid0(SALU_CYCLE_1)
	s_mov_b32 s11, exec_lo
	v_cmpx_gt_u32_e64 s9, v58
	s_cbranch_execnz .LBB1331_81
.LBB1331_32:                            ;   in Loop: Header=BB1331_16 Depth=2
	s_wait_alu 0xfffe
	s_or_b32 exec_lo, exec_lo, s11
	s_delay_alu instid0(SALU_CYCLE_1)
	s_mov_b32 s11, exec_lo
	v_cmpx_gt_u32_e64 s9, v59
	s_cbranch_execnz .LBB1331_82
.LBB1331_33:                            ;   in Loop: Header=BB1331_16 Depth=2
	s_wait_alu 0xfffe
	s_or_b32 exec_lo, exec_lo, s11
	s_delay_alu instid0(SALU_CYCLE_1)
	s_mov_b32 s11, exec_lo
	v_cmpx_gt_u32_e64 s9, v60
	s_cbranch_execnz .LBB1331_83
.LBB1331_34:                            ;   in Loop: Header=BB1331_16 Depth=2
	s_wait_alu 0xfffe
	s_or_b32 exec_lo, exec_lo, s11
	s_delay_alu instid0(SALU_CYCLE_1)
	s_mov_b32 s11, exec_lo
	v_cmpx_gt_u32_e64 s9, v61
	s_cbranch_execz .LBB1331_36
.LBB1331_35:                            ;   in Loop: Header=BB1331_16 Depth=2
	global_load_b32 v2, v108, s[0:1] offset:15360
.LBB1331_36:                            ;   in Loop: Header=BB1331_16 Depth=2
	s_wait_alu 0xfffe
	s_or_b32 exec_lo, exec_lo, s11
	s_wait_loadcnt 0x0
	v_dual_mov_b32 v19, v18 :: v_dual_mov_b32 v20, v17
	v_dual_mov_b32 v21, v16 :: v_dual_mov_b32 v22, v15
	;; [unrolled: 1-line block ×8, first 2 shown]
	s_mov_b32 s0, s9
.LBB1331_37:                            ;   in Loop: Header=BB1331_16 Depth=2
	s_wait_loadcnt 0x0
	s_delay_alu instid0(VALU_DEP_1) | instskip(NEXT) | instid1(VALU_DEP_2)
	v_dual_mov_b32 v2, v34 :: v_dual_mov_b32 v5, v32
	v_dual_mov_b32 v4, v33 :: v_dual_mov_b32 v7, v30
	;; [unrolled: 1-line block ×7, first 2 shown]
	v_mov_b32_e32 v16, v21
	v_mov_b32_e32 v18, v19
	s_mov_b32 s1, exec_lo
	s_wait_alu 0xfffe
	v_cmpx_gt_u32_e64 s0, v1
	s_cbranch_execnz .LBB1331_53
; %bb.38:                               ;   in Loop: Header=BB1331_16 Depth=2
	s_or_b32 exec_lo, exec_lo, s1
	s_delay_alu instid0(SALU_CYCLE_1)
	s_mov_b32 s1, exec_lo
	v_cmpx_gt_u32_e64 s0, v45
	s_cbranch_execnz .LBB1331_54
.LBB1331_39:                            ;   in Loop: Header=BB1331_16 Depth=2
	s_wait_alu 0xfffe
	s_or_b32 exec_lo, exec_lo, s1
	s_delay_alu instid0(SALU_CYCLE_1)
	s_mov_b32 s1, exec_lo
	v_cmpx_gt_u32_e64 s0, v46
	s_cbranch_execnz .LBB1331_55
.LBB1331_40:                            ;   in Loop: Header=BB1331_16 Depth=2
	s_wait_alu 0xfffe
	s_or_b32 exec_lo, exec_lo, s1
	s_delay_alu instid0(SALU_CYCLE_1)
	s_mov_b32 s1, exec_lo
	v_cmpx_gt_u32_e64 s0, v47
	s_cbranch_execnz .LBB1331_56
.LBB1331_41:                            ;   in Loop: Header=BB1331_16 Depth=2
	s_wait_alu 0xfffe
	s_or_b32 exec_lo, exec_lo, s1
	s_delay_alu instid0(SALU_CYCLE_1)
	s_mov_b32 s1, exec_lo
	v_cmpx_gt_u32_e64 s0, v50
	s_cbranch_execnz .LBB1331_57
.LBB1331_42:                            ;   in Loop: Header=BB1331_16 Depth=2
	s_wait_alu 0xfffe
	s_or_b32 exec_lo, exec_lo, s1
	s_delay_alu instid0(SALU_CYCLE_1)
	s_mov_b32 s1, exec_lo
	v_cmpx_gt_u32_e64 s0, v51
	s_cbranch_execnz .LBB1331_58
.LBB1331_43:                            ;   in Loop: Header=BB1331_16 Depth=2
	s_wait_alu 0xfffe
	s_or_b32 exec_lo, exec_lo, s1
	s_delay_alu instid0(SALU_CYCLE_1)
	s_mov_b32 s1, exec_lo
	v_cmpx_gt_u32_e64 s0, v52
	s_cbranch_execnz .LBB1331_59
.LBB1331_44:                            ;   in Loop: Header=BB1331_16 Depth=2
	s_wait_alu 0xfffe
	s_or_b32 exec_lo, exec_lo, s1
	s_delay_alu instid0(SALU_CYCLE_1)
	s_mov_b32 s1, exec_lo
	v_cmpx_gt_u32_e64 s0, v53
	s_cbranch_execnz .LBB1331_60
.LBB1331_45:                            ;   in Loop: Header=BB1331_16 Depth=2
	s_wait_alu 0xfffe
	s_or_b32 exec_lo, exec_lo, s1
	s_delay_alu instid0(SALU_CYCLE_1)
	s_mov_b32 s1, exec_lo
	v_cmpx_gt_u32_e64 s0, v54
	s_cbranch_execnz .LBB1331_61
.LBB1331_46:                            ;   in Loop: Header=BB1331_16 Depth=2
	s_wait_alu 0xfffe
	s_or_b32 exec_lo, exec_lo, s1
	s_delay_alu instid0(SALU_CYCLE_1)
	s_mov_b32 s1, exec_lo
	v_cmpx_gt_u32_e64 s0, v55
	s_cbranch_execnz .LBB1331_62
.LBB1331_47:                            ;   in Loop: Header=BB1331_16 Depth=2
	s_wait_alu 0xfffe
	s_or_b32 exec_lo, exec_lo, s1
	s_delay_alu instid0(SALU_CYCLE_1)
	s_mov_b32 s1, exec_lo
	v_cmpx_gt_u32_e64 s0, v56
	s_cbranch_execnz .LBB1331_63
.LBB1331_48:                            ;   in Loop: Header=BB1331_16 Depth=2
	s_wait_alu 0xfffe
	s_or_b32 exec_lo, exec_lo, s1
	s_delay_alu instid0(SALU_CYCLE_1)
	s_mov_b32 s1, exec_lo
	v_cmpx_gt_u32_e64 s0, v57
	s_cbranch_execnz .LBB1331_64
.LBB1331_49:                            ;   in Loop: Header=BB1331_16 Depth=2
	s_wait_alu 0xfffe
	s_or_b32 exec_lo, exec_lo, s1
	s_delay_alu instid0(SALU_CYCLE_1)
	s_mov_b32 s1, exec_lo
	v_cmpx_gt_u32_e64 s0, v58
	s_cbranch_execnz .LBB1331_65
.LBB1331_50:                            ;   in Loop: Header=BB1331_16 Depth=2
	s_wait_alu 0xfffe
	s_or_b32 exec_lo, exec_lo, s1
	s_delay_alu instid0(SALU_CYCLE_1)
	s_mov_b32 s1, exec_lo
	v_cmpx_gt_u32_e64 s0, v59
	s_cbranch_execnz .LBB1331_66
.LBB1331_51:                            ;   in Loop: Header=BB1331_16 Depth=2
	s_wait_alu 0xfffe
	s_or_b32 exec_lo, exec_lo, s1
	s_delay_alu instid0(SALU_CYCLE_1)
	s_mov_b32 s1, exec_lo
	v_cmpx_gt_u32_e64 s0, v60
	s_cbranch_execnz .LBB1331_67
.LBB1331_52:                            ;   in Loop: Header=BB1331_16 Depth=2
	s_wait_alu 0xfffe
	s_or_b32 exec_lo, exec_lo, s1
	v_cmp_gt_u32_e32 vcc_lo, s0, v61
	s_and_saveexec_b32 s0, vcc_lo
	s_cbranch_execz .LBB1331_15
	s_branch .LBB1331_68
.LBB1331_53:                            ;   in Loop: Header=BB1331_16 Depth=2
	v_cmp_gt_i32_e32 vcc_lo, 0, v18
	s_wait_alu 0xfffd
	v_cndmask_b32_e64 v19, 0x7fffffff, 0, vcc_lo
	s_delay_alu instid0(VALU_DEP_1) | instskip(NEXT) | instid1(VALU_DEP_1)
	v_xor_b32_e32 v19, v19, v18
	v_cmp_ne_u32_e32 vcc_lo, 0x80000000, v19
	s_wait_alu 0xfffd
	v_cndmask_b32_e32 v19, 0x7fffffff, v19, vcc_lo
	s_delay_alu instid0(VALU_DEP_1) | instskip(NEXT) | instid1(VALU_DEP_1)
	v_lshrrev_b32_e32 v19, s31, v19
	v_and_b32_e32 v19, s48, v19
	s_delay_alu instid0(VALU_DEP_1) | instskip(SKIP_2) | instid1(SALU_CYCLE_1)
	v_lshl_or_b32 v19, v19, 4, v62
	ds_add_u32 v19, v84
	s_or_b32 exec_lo, exec_lo, s1
	s_mov_b32 s1, exec_lo
	v_cmpx_gt_u32_e64 s0, v45
	s_cbranch_execz .LBB1331_39
.LBB1331_54:                            ;   in Loop: Header=BB1331_16 Depth=2
	v_cmp_gt_i32_e32 vcc_lo, 0, v17
	s_wait_alu 0xfffd
	v_cndmask_b32_e64 v19, 0x7fffffff, 0, vcc_lo
	s_delay_alu instid0(VALU_DEP_1) | instskip(NEXT) | instid1(VALU_DEP_1)
	v_xor_b32_e32 v19, v19, v17
	v_cmp_ne_u32_e32 vcc_lo, 0x80000000, v19
	s_wait_alu 0xfffd
	v_cndmask_b32_e32 v19, 0x7fffffff, v19, vcc_lo
	s_delay_alu instid0(VALU_DEP_1) | instskip(NEXT) | instid1(VALU_DEP_1)
	v_lshrrev_b32_e32 v19, s31, v19
	v_and_b32_e32 v19, s48, v19
	s_delay_alu instid0(VALU_DEP_1) | instskip(SKIP_3) | instid1(SALU_CYCLE_1)
	v_lshl_or_b32 v19, v19, 4, v62
	ds_add_u32 v19, v84
	s_wait_alu 0xfffe
	s_or_b32 exec_lo, exec_lo, s1
	s_mov_b32 s1, exec_lo
	v_cmpx_gt_u32_e64 s0, v46
	s_cbranch_execz .LBB1331_40
.LBB1331_55:                            ;   in Loop: Header=BB1331_16 Depth=2
	v_cmp_gt_i32_e32 vcc_lo, 0, v16
	s_wait_alu 0xfffd
	v_cndmask_b32_e64 v19, 0x7fffffff, 0, vcc_lo
	s_delay_alu instid0(VALU_DEP_1) | instskip(NEXT) | instid1(VALU_DEP_1)
	v_xor_b32_e32 v19, v19, v16
	v_cmp_ne_u32_e32 vcc_lo, 0x80000000, v19
	s_wait_alu 0xfffd
	v_cndmask_b32_e32 v19, 0x7fffffff, v19, vcc_lo
	s_delay_alu instid0(VALU_DEP_1) | instskip(NEXT) | instid1(VALU_DEP_1)
	v_lshrrev_b32_e32 v19, s31, v19
	v_and_b32_e32 v19, s48, v19
	s_delay_alu instid0(VALU_DEP_1) | instskip(SKIP_3) | instid1(SALU_CYCLE_1)
	v_lshl_or_b32 v19, v19, 4, v62
	ds_add_u32 v19, v84
	s_wait_alu 0xfffe
	s_or_b32 exec_lo, exec_lo, s1
	s_mov_b32 s1, exec_lo
	v_cmpx_gt_u32_e64 s0, v47
	s_cbranch_execz .LBB1331_41
.LBB1331_56:                            ;   in Loop: Header=BB1331_16 Depth=2
	v_cmp_gt_i32_e32 vcc_lo, 0, v15
	s_wait_alu 0xfffd
	v_cndmask_b32_e64 v19, 0x7fffffff, 0, vcc_lo
	s_delay_alu instid0(VALU_DEP_1) | instskip(NEXT) | instid1(VALU_DEP_1)
	v_xor_b32_e32 v19, v19, v15
	v_cmp_ne_u32_e32 vcc_lo, 0x80000000, v19
	s_wait_alu 0xfffd
	v_cndmask_b32_e32 v19, 0x7fffffff, v19, vcc_lo
	s_delay_alu instid0(VALU_DEP_1) | instskip(NEXT) | instid1(VALU_DEP_1)
	v_lshrrev_b32_e32 v19, s31, v19
	v_and_b32_e32 v19, s48, v19
	s_delay_alu instid0(VALU_DEP_1) | instskip(SKIP_3) | instid1(SALU_CYCLE_1)
	v_lshl_or_b32 v19, v19, 4, v62
	ds_add_u32 v19, v84
	s_wait_alu 0xfffe
	s_or_b32 exec_lo, exec_lo, s1
	s_mov_b32 s1, exec_lo
	v_cmpx_gt_u32_e64 s0, v50
	s_cbranch_execz .LBB1331_42
.LBB1331_57:                            ;   in Loop: Header=BB1331_16 Depth=2
	v_cmp_gt_i32_e32 vcc_lo, 0, v14
	s_wait_alu 0xfffd
	v_cndmask_b32_e64 v19, 0x7fffffff, 0, vcc_lo
	s_delay_alu instid0(VALU_DEP_1) | instskip(NEXT) | instid1(VALU_DEP_1)
	v_xor_b32_e32 v19, v19, v14
	v_cmp_ne_u32_e32 vcc_lo, 0x80000000, v19
	s_wait_alu 0xfffd
	v_cndmask_b32_e32 v19, 0x7fffffff, v19, vcc_lo
	s_delay_alu instid0(VALU_DEP_1) | instskip(NEXT) | instid1(VALU_DEP_1)
	v_lshrrev_b32_e32 v19, s31, v19
	v_and_b32_e32 v19, s48, v19
	s_delay_alu instid0(VALU_DEP_1) | instskip(SKIP_3) | instid1(SALU_CYCLE_1)
	v_lshl_or_b32 v19, v19, 4, v62
	ds_add_u32 v19, v84
	s_wait_alu 0xfffe
	s_or_b32 exec_lo, exec_lo, s1
	s_mov_b32 s1, exec_lo
	v_cmpx_gt_u32_e64 s0, v51
	s_cbranch_execz .LBB1331_43
.LBB1331_58:                            ;   in Loop: Header=BB1331_16 Depth=2
	v_cmp_gt_i32_e32 vcc_lo, 0, v13
	s_wait_alu 0xfffd
	v_cndmask_b32_e64 v19, 0x7fffffff, 0, vcc_lo
	s_delay_alu instid0(VALU_DEP_1) | instskip(NEXT) | instid1(VALU_DEP_1)
	v_xor_b32_e32 v19, v19, v13
	v_cmp_ne_u32_e32 vcc_lo, 0x80000000, v19
	s_wait_alu 0xfffd
	v_cndmask_b32_e32 v19, 0x7fffffff, v19, vcc_lo
	s_delay_alu instid0(VALU_DEP_1) | instskip(NEXT) | instid1(VALU_DEP_1)
	v_lshrrev_b32_e32 v19, s31, v19
	v_and_b32_e32 v19, s48, v19
	s_delay_alu instid0(VALU_DEP_1) | instskip(SKIP_3) | instid1(SALU_CYCLE_1)
	v_lshl_or_b32 v19, v19, 4, v62
	ds_add_u32 v19, v84
	s_wait_alu 0xfffe
	s_or_b32 exec_lo, exec_lo, s1
	s_mov_b32 s1, exec_lo
	v_cmpx_gt_u32_e64 s0, v52
	s_cbranch_execz .LBB1331_44
.LBB1331_59:                            ;   in Loop: Header=BB1331_16 Depth=2
	v_cmp_gt_i32_e32 vcc_lo, 0, v12
	s_wait_alu 0xfffd
	v_cndmask_b32_e64 v19, 0x7fffffff, 0, vcc_lo
	s_delay_alu instid0(VALU_DEP_1) | instskip(NEXT) | instid1(VALU_DEP_1)
	v_xor_b32_e32 v19, v19, v12
	v_cmp_ne_u32_e32 vcc_lo, 0x80000000, v19
	s_wait_alu 0xfffd
	v_cndmask_b32_e32 v19, 0x7fffffff, v19, vcc_lo
	s_delay_alu instid0(VALU_DEP_1) | instskip(NEXT) | instid1(VALU_DEP_1)
	v_lshrrev_b32_e32 v19, s31, v19
	v_and_b32_e32 v19, s48, v19
	s_delay_alu instid0(VALU_DEP_1) | instskip(SKIP_3) | instid1(SALU_CYCLE_1)
	v_lshl_or_b32 v19, v19, 4, v62
	ds_add_u32 v19, v84
	s_wait_alu 0xfffe
	s_or_b32 exec_lo, exec_lo, s1
	s_mov_b32 s1, exec_lo
	v_cmpx_gt_u32_e64 s0, v53
	s_cbranch_execz .LBB1331_45
.LBB1331_60:                            ;   in Loop: Header=BB1331_16 Depth=2
	v_cmp_gt_i32_e32 vcc_lo, 0, v11
	s_wait_alu 0xfffd
	v_cndmask_b32_e64 v19, 0x7fffffff, 0, vcc_lo
	s_delay_alu instid0(VALU_DEP_1) | instskip(NEXT) | instid1(VALU_DEP_1)
	v_xor_b32_e32 v19, v19, v11
	v_cmp_ne_u32_e32 vcc_lo, 0x80000000, v19
	s_wait_alu 0xfffd
	v_cndmask_b32_e32 v19, 0x7fffffff, v19, vcc_lo
	s_delay_alu instid0(VALU_DEP_1) | instskip(NEXT) | instid1(VALU_DEP_1)
	v_lshrrev_b32_e32 v19, s31, v19
	v_and_b32_e32 v19, s48, v19
	s_delay_alu instid0(VALU_DEP_1) | instskip(SKIP_3) | instid1(SALU_CYCLE_1)
	v_lshl_or_b32 v19, v19, 4, v62
	ds_add_u32 v19, v84
	s_wait_alu 0xfffe
	s_or_b32 exec_lo, exec_lo, s1
	s_mov_b32 s1, exec_lo
	v_cmpx_gt_u32_e64 s0, v54
	s_cbranch_execz .LBB1331_46
.LBB1331_61:                            ;   in Loop: Header=BB1331_16 Depth=2
	v_cmp_gt_i32_e32 vcc_lo, 0, v10
	s_wait_alu 0xfffd
	v_cndmask_b32_e64 v19, 0x7fffffff, 0, vcc_lo
	s_delay_alu instid0(VALU_DEP_1) | instskip(NEXT) | instid1(VALU_DEP_1)
	v_xor_b32_e32 v19, v19, v10
	v_cmp_ne_u32_e32 vcc_lo, 0x80000000, v19
	s_wait_alu 0xfffd
	v_cndmask_b32_e32 v19, 0x7fffffff, v19, vcc_lo
	s_delay_alu instid0(VALU_DEP_1) | instskip(NEXT) | instid1(VALU_DEP_1)
	v_lshrrev_b32_e32 v19, s31, v19
	v_and_b32_e32 v19, s48, v19
	s_delay_alu instid0(VALU_DEP_1) | instskip(SKIP_3) | instid1(SALU_CYCLE_1)
	v_lshl_or_b32 v19, v19, 4, v62
	ds_add_u32 v19, v84
	s_wait_alu 0xfffe
	s_or_b32 exec_lo, exec_lo, s1
	s_mov_b32 s1, exec_lo
	v_cmpx_gt_u32_e64 s0, v55
	s_cbranch_execz .LBB1331_47
.LBB1331_62:                            ;   in Loop: Header=BB1331_16 Depth=2
	v_cmp_gt_i32_e32 vcc_lo, 0, v9
	s_wait_alu 0xfffd
	v_cndmask_b32_e64 v19, 0x7fffffff, 0, vcc_lo
	s_delay_alu instid0(VALU_DEP_1) | instskip(NEXT) | instid1(VALU_DEP_1)
	v_xor_b32_e32 v19, v19, v9
	v_cmp_ne_u32_e32 vcc_lo, 0x80000000, v19
	s_wait_alu 0xfffd
	v_cndmask_b32_e32 v19, 0x7fffffff, v19, vcc_lo
	s_delay_alu instid0(VALU_DEP_1) | instskip(NEXT) | instid1(VALU_DEP_1)
	v_lshrrev_b32_e32 v19, s31, v19
	v_and_b32_e32 v19, s48, v19
	s_delay_alu instid0(VALU_DEP_1) | instskip(SKIP_3) | instid1(SALU_CYCLE_1)
	v_lshl_or_b32 v19, v19, 4, v62
	ds_add_u32 v19, v84
	s_wait_alu 0xfffe
	s_or_b32 exec_lo, exec_lo, s1
	s_mov_b32 s1, exec_lo
	v_cmpx_gt_u32_e64 s0, v56
	s_cbranch_execz .LBB1331_48
.LBB1331_63:                            ;   in Loop: Header=BB1331_16 Depth=2
	v_cmp_gt_i32_e32 vcc_lo, 0, v8
	s_wait_alu 0xfffd
	v_cndmask_b32_e64 v19, 0x7fffffff, 0, vcc_lo
	s_delay_alu instid0(VALU_DEP_1) | instskip(NEXT) | instid1(VALU_DEP_1)
	v_xor_b32_e32 v19, v19, v8
	v_cmp_ne_u32_e32 vcc_lo, 0x80000000, v19
	s_wait_alu 0xfffd
	v_cndmask_b32_e32 v19, 0x7fffffff, v19, vcc_lo
	s_delay_alu instid0(VALU_DEP_1) | instskip(NEXT) | instid1(VALU_DEP_1)
	v_lshrrev_b32_e32 v19, s31, v19
	v_and_b32_e32 v19, s48, v19
	s_delay_alu instid0(VALU_DEP_1) | instskip(SKIP_3) | instid1(SALU_CYCLE_1)
	v_lshl_or_b32 v19, v19, 4, v62
	ds_add_u32 v19, v84
	s_wait_alu 0xfffe
	s_or_b32 exec_lo, exec_lo, s1
	s_mov_b32 s1, exec_lo
	v_cmpx_gt_u32_e64 s0, v57
	s_cbranch_execz .LBB1331_49
.LBB1331_64:                            ;   in Loop: Header=BB1331_16 Depth=2
	v_cmp_gt_i32_e32 vcc_lo, 0, v7
	s_wait_alu 0xfffd
	v_cndmask_b32_e64 v19, 0x7fffffff, 0, vcc_lo
	s_delay_alu instid0(VALU_DEP_1) | instskip(NEXT) | instid1(VALU_DEP_1)
	v_xor_b32_e32 v19, v19, v7
	v_cmp_ne_u32_e32 vcc_lo, 0x80000000, v19
	s_wait_alu 0xfffd
	v_cndmask_b32_e32 v19, 0x7fffffff, v19, vcc_lo
	s_delay_alu instid0(VALU_DEP_1) | instskip(NEXT) | instid1(VALU_DEP_1)
	v_lshrrev_b32_e32 v19, s31, v19
	v_and_b32_e32 v19, s48, v19
	s_delay_alu instid0(VALU_DEP_1) | instskip(SKIP_3) | instid1(SALU_CYCLE_1)
	v_lshl_or_b32 v19, v19, 4, v62
	ds_add_u32 v19, v84
	s_wait_alu 0xfffe
	s_or_b32 exec_lo, exec_lo, s1
	s_mov_b32 s1, exec_lo
	v_cmpx_gt_u32_e64 s0, v58
	s_cbranch_execz .LBB1331_50
.LBB1331_65:                            ;   in Loop: Header=BB1331_16 Depth=2
	v_cmp_gt_i32_e32 vcc_lo, 0, v6
	s_wait_alu 0xfffd
	v_cndmask_b32_e64 v19, 0x7fffffff, 0, vcc_lo
	s_delay_alu instid0(VALU_DEP_1) | instskip(NEXT) | instid1(VALU_DEP_1)
	v_xor_b32_e32 v19, v19, v6
	v_cmp_ne_u32_e32 vcc_lo, 0x80000000, v19
	s_wait_alu 0xfffd
	v_cndmask_b32_e32 v19, 0x7fffffff, v19, vcc_lo
	s_delay_alu instid0(VALU_DEP_1) | instskip(NEXT) | instid1(VALU_DEP_1)
	v_lshrrev_b32_e32 v19, s31, v19
	v_and_b32_e32 v19, s48, v19
	s_delay_alu instid0(VALU_DEP_1) | instskip(SKIP_3) | instid1(SALU_CYCLE_1)
	v_lshl_or_b32 v19, v19, 4, v62
	ds_add_u32 v19, v84
	s_wait_alu 0xfffe
	s_or_b32 exec_lo, exec_lo, s1
	s_mov_b32 s1, exec_lo
	v_cmpx_gt_u32_e64 s0, v59
	s_cbranch_execz .LBB1331_51
.LBB1331_66:                            ;   in Loop: Header=BB1331_16 Depth=2
	v_cmp_gt_i32_e32 vcc_lo, 0, v5
	s_wait_alu 0xfffd
	v_cndmask_b32_e64 v19, 0x7fffffff, 0, vcc_lo
	s_delay_alu instid0(VALU_DEP_1) | instskip(NEXT) | instid1(VALU_DEP_1)
	v_xor_b32_e32 v19, v19, v5
	v_cmp_ne_u32_e32 vcc_lo, 0x80000000, v19
	s_wait_alu 0xfffd
	v_cndmask_b32_e32 v19, 0x7fffffff, v19, vcc_lo
	s_delay_alu instid0(VALU_DEP_1) | instskip(NEXT) | instid1(VALU_DEP_1)
	v_lshrrev_b32_e32 v19, s31, v19
	v_and_b32_e32 v19, s48, v19
	s_delay_alu instid0(VALU_DEP_1) | instskip(SKIP_3) | instid1(SALU_CYCLE_1)
	v_lshl_or_b32 v19, v19, 4, v62
	ds_add_u32 v19, v84
	s_wait_alu 0xfffe
	s_or_b32 exec_lo, exec_lo, s1
	s_mov_b32 s1, exec_lo
	v_cmpx_gt_u32_e64 s0, v60
	s_cbranch_execz .LBB1331_52
.LBB1331_67:                            ;   in Loop: Header=BB1331_16 Depth=2
	v_cmp_gt_i32_e32 vcc_lo, 0, v4
	s_wait_alu 0xfffd
	v_cndmask_b32_e64 v19, 0x7fffffff, 0, vcc_lo
	s_delay_alu instid0(VALU_DEP_1) | instskip(NEXT) | instid1(VALU_DEP_1)
	v_xor_b32_e32 v19, v19, v4
	v_cmp_ne_u32_e32 vcc_lo, 0x80000000, v19
	s_wait_alu 0xfffd
	v_cndmask_b32_e32 v19, 0x7fffffff, v19, vcc_lo
	s_delay_alu instid0(VALU_DEP_1) | instskip(NEXT) | instid1(VALU_DEP_1)
	v_lshrrev_b32_e32 v19, s31, v19
	v_and_b32_e32 v19, s48, v19
	s_delay_alu instid0(VALU_DEP_1)
	v_lshl_or_b32 v19, v19, 4, v62
	ds_add_u32 v19, v84
	s_wait_alu 0xfffe
	s_or_b32 exec_lo, exec_lo, s1
	v_cmp_gt_u32_e32 vcc_lo, s0, v61
	s_and_saveexec_b32 s0, vcc_lo
	s_cbranch_execz .LBB1331_15
.LBB1331_68:                            ;   in Loop: Header=BB1331_16 Depth=2
	v_cmp_gt_i32_e32 vcc_lo, 0, v2
	s_wait_alu 0xfffd
	v_cndmask_b32_e64 v19, 0x7fffffff, 0, vcc_lo
	s_delay_alu instid0(VALU_DEP_1) | instskip(NEXT) | instid1(VALU_DEP_1)
	v_xor_b32_e32 v19, v19, v2
	v_cmp_ne_u32_e32 vcc_lo, 0x80000000, v19
	s_wait_alu 0xfffd
	v_cndmask_b32_e32 v19, 0x7fffffff, v19, vcc_lo
	s_delay_alu instid0(VALU_DEP_1) | instskip(NEXT) | instid1(VALU_DEP_1)
	v_lshrrev_b32_e32 v19, s31, v19
	v_and_b32_e32 v19, s48, v19
	s_delay_alu instid0(VALU_DEP_1)
	v_lshl_or_b32 v19, v19, 4, v62
	ds_add_u32 v19, v84
	s_branch .LBB1331_15
.LBB1331_69:                            ;   in Loop: Header=BB1331_16 Depth=2
	global_load_b32 v18, v108, s[0:1]
	s_or_b32 exec_lo, exec_lo, s11
	s_delay_alu instid0(SALU_CYCLE_1)
	s_mov_b32 s11, exec_lo
	v_cmpx_gt_u32_e64 s9, v45
	s_cbranch_execz .LBB1331_21
.LBB1331_70:                            ;   in Loop: Header=BB1331_16 Depth=2
	global_load_b32 v17, v108, s[0:1] offset:1024
	s_wait_alu 0xfffe
	s_or_b32 exec_lo, exec_lo, s11
	s_delay_alu instid0(SALU_CYCLE_1)
	s_mov_b32 s11, exec_lo
	v_cmpx_gt_u32_e64 s9, v46
	s_cbranch_execz .LBB1331_22
.LBB1331_71:                            ;   in Loop: Header=BB1331_16 Depth=2
	global_load_b32 v16, v108, s[0:1] offset:2048
	s_wait_alu 0xfffe
	s_or_b32 exec_lo, exec_lo, s11
	s_delay_alu instid0(SALU_CYCLE_1)
	s_mov_b32 s11, exec_lo
	v_cmpx_gt_u32_e64 s9, v47
	s_cbranch_execz .LBB1331_23
.LBB1331_72:                            ;   in Loop: Header=BB1331_16 Depth=2
	global_load_b32 v15, v108, s[0:1] offset:3072
	s_wait_alu 0xfffe
	s_or_b32 exec_lo, exec_lo, s11
	s_delay_alu instid0(SALU_CYCLE_1)
	s_mov_b32 s11, exec_lo
	v_cmpx_gt_u32_e64 s9, v50
	s_cbranch_execz .LBB1331_24
.LBB1331_73:                            ;   in Loop: Header=BB1331_16 Depth=2
	global_load_b32 v14, v108, s[0:1] offset:4096
	s_wait_alu 0xfffe
	s_or_b32 exec_lo, exec_lo, s11
	s_delay_alu instid0(SALU_CYCLE_1)
	s_mov_b32 s11, exec_lo
	v_cmpx_gt_u32_e64 s9, v51
	s_cbranch_execz .LBB1331_25
.LBB1331_74:                            ;   in Loop: Header=BB1331_16 Depth=2
	global_load_b32 v13, v108, s[0:1] offset:5120
	s_wait_alu 0xfffe
	s_or_b32 exec_lo, exec_lo, s11
	s_delay_alu instid0(SALU_CYCLE_1)
	s_mov_b32 s11, exec_lo
	v_cmpx_gt_u32_e64 s9, v52
	s_cbranch_execz .LBB1331_26
.LBB1331_75:                            ;   in Loop: Header=BB1331_16 Depth=2
	global_load_b32 v12, v108, s[0:1] offset:6144
	s_wait_alu 0xfffe
	s_or_b32 exec_lo, exec_lo, s11
	s_delay_alu instid0(SALU_CYCLE_1)
	s_mov_b32 s11, exec_lo
	v_cmpx_gt_u32_e64 s9, v53
	s_cbranch_execz .LBB1331_27
.LBB1331_76:                            ;   in Loop: Header=BB1331_16 Depth=2
	global_load_b32 v11, v108, s[0:1] offset:7168
	s_wait_alu 0xfffe
	s_or_b32 exec_lo, exec_lo, s11
	s_delay_alu instid0(SALU_CYCLE_1)
	s_mov_b32 s11, exec_lo
	v_cmpx_gt_u32_e64 s9, v54
	s_cbranch_execz .LBB1331_28
.LBB1331_77:                            ;   in Loop: Header=BB1331_16 Depth=2
	global_load_b32 v10, v108, s[0:1] offset:8192
	s_wait_alu 0xfffe
	s_or_b32 exec_lo, exec_lo, s11
	s_delay_alu instid0(SALU_CYCLE_1)
	s_mov_b32 s11, exec_lo
	v_cmpx_gt_u32_e64 s9, v55
	s_cbranch_execz .LBB1331_29
.LBB1331_78:                            ;   in Loop: Header=BB1331_16 Depth=2
	global_load_b32 v9, v108, s[0:1] offset:9216
	s_wait_alu 0xfffe
	s_or_b32 exec_lo, exec_lo, s11
	s_delay_alu instid0(SALU_CYCLE_1)
	s_mov_b32 s11, exec_lo
	v_cmpx_gt_u32_e64 s9, v56
	s_cbranch_execz .LBB1331_30
.LBB1331_79:                            ;   in Loop: Header=BB1331_16 Depth=2
	global_load_b32 v8, v108, s[0:1] offset:10240
	s_wait_alu 0xfffe
	s_or_b32 exec_lo, exec_lo, s11
	s_delay_alu instid0(SALU_CYCLE_1)
	s_mov_b32 s11, exec_lo
	v_cmpx_gt_u32_e64 s9, v57
	s_cbranch_execz .LBB1331_31
.LBB1331_80:                            ;   in Loop: Header=BB1331_16 Depth=2
	global_load_b32 v7, v108, s[0:1] offset:11264
	s_wait_alu 0xfffe
	s_or_b32 exec_lo, exec_lo, s11
	s_delay_alu instid0(SALU_CYCLE_1)
	s_mov_b32 s11, exec_lo
	v_cmpx_gt_u32_e64 s9, v58
	s_cbranch_execz .LBB1331_32
.LBB1331_81:                            ;   in Loop: Header=BB1331_16 Depth=2
	global_load_b32 v6, v108, s[0:1] offset:12288
	s_wait_alu 0xfffe
	s_or_b32 exec_lo, exec_lo, s11
	s_delay_alu instid0(SALU_CYCLE_1)
	s_mov_b32 s11, exec_lo
	v_cmpx_gt_u32_e64 s9, v59
	s_cbranch_execz .LBB1331_33
.LBB1331_82:                            ;   in Loop: Header=BB1331_16 Depth=2
	global_load_b32 v5, v108, s[0:1] offset:13312
	s_wait_alu 0xfffe
	s_or_b32 exec_lo, exec_lo, s11
	s_delay_alu instid0(SALU_CYCLE_1)
	s_mov_b32 s11, exec_lo
	v_cmpx_gt_u32_e64 s9, v60
	s_cbranch_execz .LBB1331_34
.LBB1331_83:                            ;   in Loop: Header=BB1331_16 Depth=2
	global_load_b32 v4, v108, s[0:1] offset:14336
	s_wait_alu 0xfffe
	s_or_b32 exec_lo, exec_lo, s11
	s_delay_alu instid0(SALU_CYCLE_1)
	s_mov_b32 s11, exec_lo
	v_cmpx_gt_u32_e64 s9, v61
	s_cbranch_execnz .LBB1331_35
	s_branch .LBB1331_36
.LBB1331_84:                            ;   in Loop: Header=BB1331_12 Depth=1
	v_mov_b32_e32 v2, 0
	s_wait_dscnt 0x0
	s_barrier_signal -1
	s_barrier_wait -1
	global_inv scope:SCOPE_SE
	s_and_saveexec_b32 s0, s2
	s_cbranch_execz .LBB1331_86
; %bb.85:                               ;   in Loop: Header=BB1331_12 Depth=1
	ds_load_2addr_b64 v[4:7], v64 offset1:1
	s_wait_dscnt 0x0
	v_add_nc_u32_e32 v2, v5, v4
	s_delay_alu instid0(VALU_DEP_1)
	v_add3_u32 v2, v2, v6, v7
.LBB1331_86:                            ;   in Loop: Header=BB1331_12 Depth=1
	s_wait_alu 0xfffe
	s_or_b32 exec_lo, exec_lo, s0
	s_delay_alu instid0(VALU_DEP_1)
	v_mov_b32_dpp v4, v2 row_shr:1 row_mask:0xf bank_mask:0xf
	v_cmp_eq_u32_e64 s0, 0, v85
	v_cmp_lt_u32_e64 s1, 1, v85
	v_cmp_lt_u32_e64 s9, 3, v85
	;; [unrolled: 1-line block ×3, first 2 shown]
	v_cmp_eq_u32_e64 s11, 0, v87
	s_wait_alu 0xf1ff
	v_cndmask_b32_e64 v4, v4, 0, s0
	s_delay_alu instid0(VALU_DEP_1) | instskip(NEXT) | instid1(VALU_DEP_1)
	v_add_nc_u32_e32 v2, v4, v2
	v_mov_b32_dpp v4, v2 row_shr:2 row_mask:0xf bank_mask:0xf
	s_delay_alu instid0(VALU_DEP_1) | instskip(NEXT) | instid1(VALU_DEP_1)
	v_cndmask_b32_e64 v4, 0, v4, s1
	v_add_nc_u32_e32 v2, v2, v4
	s_delay_alu instid0(VALU_DEP_1) | instskip(NEXT) | instid1(VALU_DEP_1)
	v_mov_b32_dpp v4, v2 row_shr:4 row_mask:0xf bank_mask:0xf
	v_cndmask_b32_e64 v4, 0, v4, s9
	s_delay_alu instid0(VALU_DEP_1) | instskip(NEXT) | instid1(VALU_DEP_1)
	v_add_nc_u32_e32 v2, v2, v4
	v_mov_b32_dpp v4, v2 row_shr:8 row_mask:0xf bank_mask:0xf
	s_delay_alu instid0(VALU_DEP_1) | instskip(NEXT) | instid1(VALU_DEP_1)
	v_cndmask_b32_e64 v4, 0, v4, s10
	v_add_nc_u32_e32 v2, v2, v4
	ds_swizzle_b32 v4, v2 offset:swizzle(BROADCAST,32,15)
	s_wait_dscnt 0x0
	v_and_b32_e32 v4, v86, v4
	s_delay_alu instid0(VALU_DEP_1)
	v_add_nc_u32_e32 v2, v2, v4
	s_and_saveexec_b32 s12, s3
; %bb.87:                               ;   in Loop: Header=BB1331_12 Depth=1
	ds_store_b32 v65, v2
; %bb.88:                               ;   in Loop: Header=BB1331_12 Depth=1
	s_wait_alu 0xfffe
	s_or_b32 exec_lo, exec_lo, s12
	s_wait_loadcnt_dscnt 0x0
	s_barrier_signal -1
	s_barrier_wait -1
	global_inv scope:SCOPE_SE
	s_and_saveexec_b32 s12, s4
	s_cbranch_execz .LBB1331_90
; %bb.89:                               ;   in Loop: Header=BB1331_12 Depth=1
	ds_load_b32 v4, v66
	v_cmp_ne_u32_e32 vcc_lo, 0, v89
	s_wait_dscnt 0x0
	v_mov_b32_dpp v5, v4 row_shr:1 row_mask:0xf bank_mask:0xf
	s_wait_alu 0xfffd
	s_delay_alu instid0(VALU_DEP_1) | instskip(SKIP_1) | instid1(VALU_DEP_2)
	v_cndmask_b32_e32 v5, 0, v5, vcc_lo
	v_cmp_lt_u32_e32 vcc_lo, 1, v89
	v_add_nc_u32_e32 v4, v5, v4
	s_delay_alu instid0(VALU_DEP_1) | instskip(SKIP_1) | instid1(VALU_DEP_1)
	v_mov_b32_dpp v5, v4 row_shr:2 row_mask:0xf bank_mask:0xf
	s_wait_alu 0xfffd
	v_cndmask_b32_e32 v5, 0, v5, vcc_lo
	v_cmp_lt_u32_e32 vcc_lo, 3, v89
	s_delay_alu instid0(VALU_DEP_2) | instskip(NEXT) | instid1(VALU_DEP_1)
	v_add_nc_u32_e32 v4, v4, v5
	v_mov_b32_dpp v5, v4 row_shr:4 row_mask:0xf bank_mask:0xf
	s_wait_alu 0xfffd
	s_delay_alu instid0(VALU_DEP_1) | instskip(NEXT) | instid1(VALU_DEP_1)
	v_cndmask_b32_e32 v5, 0, v5, vcc_lo
	v_add_nc_u32_e32 v4, v4, v5
	ds_store_b32 v66, v4
.LBB1331_90:                            ;   in Loop: Header=BB1331_12 Depth=1
	s_wait_alu 0xfffe
	s_or_b32 exec_lo, exec_lo, s12
	v_mov_b32_e32 v4, 0
	s_wait_loadcnt_dscnt 0x0
	s_barrier_signal -1
	s_barrier_wait -1
	global_inv scope:SCOPE_SE
	s_and_saveexec_b32 s12, s5
; %bb.91:                               ;   in Loop: Header=BB1331_12 Depth=1
	ds_load_b32 v4, v68
; %bb.92:                               ;   in Loop: Header=BB1331_12 Depth=1
	s_wait_alu 0xfffe
	s_or_b32 exec_lo, exec_lo, s12
	v_cmp_gt_i32_e32 vcc_lo, 0, v90
	s_wait_loadcnt_dscnt 0x0
	s_barrier_signal -1
	s_barrier_wait -1
	global_inv scope:SCOPE_SE
	s_wait_alu 0xfffd
	v_dual_cndmask_b32 v5, v90, v81 :: v_dual_add_nc_u32 v2, v4, v2
	s_delay_alu instid0(VALU_DEP_1)
	v_lshlrev_b32_e32 v113, 2, v5
	ds_bpermute_b32 v2, v113, v2
	s_and_saveexec_b32 s12, s2
	s_cbranch_execz .LBB1331_94
; %bb.93:                               ;   in Loop: Header=BB1331_12 Depth=1
	s_wait_dscnt 0x0
	v_cndmask_b32_e64 v2, v2, v4, s8
	s_delay_alu instid0(VALU_DEP_1)
	v_add_nc_u32_e32 v2, s33, v2
	ds_store_b32 v44, v2
.LBB1331_94:                            ;   in Loop: Header=BB1331_12 Depth=1
	s_wait_alu 0xfffe
	s_or_b32 exec_lo, exec_lo, s12
	s_clause 0x1
	s_load_b32 s12, s[34:35], 0x4
	s_load_b32 s14, s[34:35], 0xc
	s_mov_b32 s54, s53
                                        ; implicit-def: $vgpr6_vgpr7
                                        ; implicit-def: $vgpr8_vgpr9
                                        ; implicit-def: $vgpr10_vgpr11
                                        ; implicit-def: $vgpr12_vgpr13
                                        ; implicit-def: $vgpr14_vgpr15
                                        ; implicit-def: $vgpr16_vgpr17
                                        ; implicit-def: $vgpr18_vgpr19
                                        ; implicit-def: $vgpr20_vgpr21
                                        ; implicit-def: $vgpr22_vgpr23
                                        ; implicit-def: $vgpr24_vgpr25
                                        ; implicit-def: $vgpr26_vgpr27
                                        ; implicit-def: $vgpr28_vgpr29
                                        ; implicit-def: $vgpr30_vgpr31
                                        ; implicit-def: $vgpr32_vgpr33
                                        ; implicit-def: $vgpr34_vgpr35
                                        ; implicit-def: $vgpr115
                                        ; implicit-def: $vgpr116
                                        ; implicit-def: $vgpr117
                                        ; implicit-def: $vgpr118
                                        ; implicit-def: $vgpr119
                                        ; implicit-def: $vgpr120
                                        ; implicit-def: $vgpr121
                                        ; implicit-def: $vgpr122
                                        ; implicit-def: $vgpr123
                                        ; implicit-def: $vgpr124
                                        ; implicit-def: $vgpr125
                                        ; implicit-def: $vgpr126
                                        ; implicit-def: $vgpr127
                                        ; implicit-def: $vgpr128
                                        ; implicit-def: $vgpr129
                                        ; implicit-def: $vgpr130
	s_wait_kmcnt 0x0
	s_cmp_lt_u32 ttmp7, s12
	s_cselect_b32 s42, 14, 20
	s_wait_alu 0xfffe
	s_add_nc_u64 s[12:13], s[34:35], s[42:43]
	s_mov_b32 s42, s33
	s_load_u16 s12, s[12:13], 0x0
	v_cmp_lt_u32_e64 s13, 1, v89
	s_wait_dscnt 0x0
	s_wait_kmcnt 0x0
	v_mad_u32_u24 v2, v69, s12, v0
	s_and_b32 s12, s14, 0xffff
	v_cmp_lt_u32_e64 s14, 3, v89
	s_wait_alu 0xfffe
	s_delay_alu instid0(VALU_DEP_2) | instskip(SKIP_1) | instid1(VALU_DEP_2)
	v_mad_co_u64_u32 v[4:5], null, v2, s12, v[1:2]
	v_cmp_eq_u32_e64 s12, 0, v89
	v_lshrrev_b32_e32 v2, 3, v4
                                        ; implicit-def: $vgpr4_vgpr5
	s_delay_alu instid0(VALU_DEP_1)
	v_and_b32_e32 v114, 0x1ffffffc, v2
	s_branch .LBB1331_96
.LBB1331_95:                            ;   in Loop: Header=BB1331_96 Depth=2
	s_wait_alu 0xfffe
	s_or_b32 exec_lo, exec_lo, s15
	s_addk_co_i32 s54, 0xf000
	s_cmp_lt_u32 s55, s51
	s_mov_b32 s42, s55
	s_cbranch_scc0 .LBB1331_304
.LBB1331_96:                            ;   Parent Loop BB1331_12 Depth=1
                                        ; =>  This Inner Loop Header: Depth=2
	s_wait_alu 0xfffe
	s_add_co_i32 s55, s42, 0x1000
	s_wait_alu 0xfffe
	s_cmp_gt_u32 s55, s51
	s_cbranch_scc1 .LBB1331_98
; %bb.97:                               ;   in Loop: Header=BB1331_96 Depth=2
	s_lshl_b64 s[16:17], s[42:43], 2
	s_mov_b32 s15, -1
	s_wait_alu 0xfffe
	v_add_co_u32 v36, vcc_lo, v111, s16
	s_wait_alu 0xfffd
	v_add_co_ci_u32_e64 v37, null, s17, v112, vcc_lo
	s_clause 0xe
	global_load_b32 v2, v[36:37], off
	global_load_b32 v132, v[36:37], off offset:128
	global_load_b32 v139, v[36:37], off offset:256
	;; [unrolled: 1-line block ×14, first 2 shown]
	s_movk_i32 s16, 0x1000
	s_cbranch_execz .LBB1331_99
	s_branch .LBB1331_130
.LBB1331_98:                            ;   in Loop: Header=BB1331_96 Depth=2
	s_mov_b32 s15, 0
                                        ; implicit-def: $vgpr2
                                        ; implicit-def: $vgpr132
                                        ; implicit-def: $vgpr139
                                        ; implicit-def: $vgpr143
                                        ; implicit-def: $vgpr147
                                        ; implicit-def: $vgpr151
                                        ; implicit-def: $vgpr155
                                        ; implicit-def: $vgpr159
                                        ; implicit-def: $vgpr162
                                        ; implicit-def: $vgpr43
                                        ; implicit-def: $vgpr42
                                        ; implicit-def: $vgpr41
                                        ; implicit-def: $vgpr40
                                        ; implicit-def: $vgpr39
                                        ; implicit-def: $vgpr38
	s_movk_i32 s16, 0x1000
.LBB1331_99:                            ;   in Loop: Header=BB1331_96 Depth=2
	s_lshl_b64 s[16:17], s[42:43], 2
	s_wait_loadcnt 0xd
	v_mov_b32_e32 v132, -1
	s_wait_alu 0xfffe
	v_add_co_u32 v36, vcc_lo, v111, s16
	s_wait_alu 0xfffd
	v_add_co_ci_u32_e64 v37, null, s17, v112, vcc_lo
	v_mov_b32_e32 v2, -1
	s_mov_b32 s15, exec_lo
	v_cmpx_gt_u32_e64 s54, v88
	s_cbranch_execz .LBB1331_101
; %bb.100:                              ;   in Loop: Header=BB1331_96 Depth=2
	global_load_b32 v2, v[36:37], off
.LBB1331_101:                           ;   in Loop: Header=BB1331_96 Depth=2
	s_wait_alu 0xfffe
	s_or_b32 exec_lo, exec_lo, s15
	s_delay_alu instid0(SALU_CYCLE_1)
	s_mov_b32 s15, exec_lo
	v_cmpx_gt_u32_e64 s54, v92
	s_cbranch_execz .LBB1331_103
; %bb.102:                              ;   in Loop: Header=BB1331_96 Depth=2
	global_load_b32 v132, v[36:37], off offset:128
.LBB1331_103:                           ;   in Loop: Header=BB1331_96 Depth=2
	s_wait_alu 0xfffe
	s_or_b32 exec_lo, exec_lo, s15
	s_wait_loadcnt 0xb
	v_mov_b32_e32 v143, -1
	v_mov_b32_e32 v139, -1
	s_mov_b32 s15, exec_lo
	v_cmpx_gt_u32_e64 s54, v93
	s_cbranch_execz .LBB1331_105
; %bb.104:                              ;   in Loop: Header=BB1331_96 Depth=2
	global_load_b32 v139, v[36:37], off offset:256
.LBB1331_105:                           ;   in Loop: Header=BB1331_96 Depth=2
	s_wait_alu 0xfffe
	s_or_b32 exec_lo, exec_lo, s15
	s_delay_alu instid0(SALU_CYCLE_1)
	s_mov_b32 s15, exec_lo
	v_cmpx_gt_u32_e64 s54, v94
	s_cbranch_execz .LBB1331_107
; %bb.106:                              ;   in Loop: Header=BB1331_96 Depth=2
	global_load_b32 v143, v[36:37], off offset:384
.LBB1331_107:                           ;   in Loop: Header=BB1331_96 Depth=2
	s_wait_alu 0xfffe
	s_or_b32 exec_lo, exec_lo, s15
	s_wait_loadcnt 0x9
	v_mov_b32_e32 v151, -1
	v_mov_b32_e32 v147, -1
	s_mov_b32 s15, exec_lo
	v_cmpx_gt_u32_e64 s54, v95
	s_cbranch_execz .LBB1331_109
; %bb.108:                              ;   in Loop: Header=BB1331_96 Depth=2
	global_load_b32 v147, v[36:37], off offset:512
.LBB1331_109:                           ;   in Loop: Header=BB1331_96 Depth=2
	;; [unrolled: 20-line block ×3, first 2 shown]
	s_wait_alu 0xfffe
	s_or_b32 exec_lo, exec_lo, s15
	s_delay_alu instid0(SALU_CYCLE_1)
	s_mov_b32 s15, exec_lo
	v_cmpx_gt_u32_e64 s54, v98
	s_cbranch_execz .LBB1331_115
; %bb.114:                              ;   in Loop: Header=BB1331_96 Depth=2
	global_load_b32 v159, v[36:37], off offset:896
.LBB1331_115:                           ;   in Loop: Header=BB1331_96 Depth=2
	s_wait_alu 0xfffe
	s_or_b32 exec_lo, exec_lo, s15
	s_wait_loadcnt 0x5
	v_dual_mov_b32 v43, -1 :: v_dual_mov_b32 v162, -1
	s_mov_b32 s15, exec_lo
	v_cmpx_gt_u32_e64 s54, v99
	s_cbranch_execz .LBB1331_117
; %bb.116:                              ;   in Loop: Header=BB1331_96 Depth=2
	global_load_b32 v162, v[36:37], off offset:1024
.LBB1331_117:                           ;   in Loop: Header=BB1331_96 Depth=2
	s_wait_alu 0xfffe
	s_or_b32 exec_lo, exec_lo, s15
	s_delay_alu instid0(SALU_CYCLE_1)
	s_mov_b32 s15, exec_lo
	v_cmpx_gt_u32_e64 s54, v100
	s_cbranch_execz .LBB1331_119
; %bb.118:                              ;   in Loop: Header=BB1331_96 Depth=2
	global_load_b32 v43, v[36:37], off offset:1152
.LBB1331_119:                           ;   in Loop: Header=BB1331_96 Depth=2
	s_wait_alu 0xfffe
	s_or_b32 exec_lo, exec_lo, s15
	s_wait_loadcnt 0x3
	v_dual_mov_b32 v41, -1 :: v_dual_mov_b32 v42, -1
	s_mov_b32 s15, exec_lo
	v_cmpx_gt_u32_e64 s54, v101
	s_cbranch_execz .LBB1331_121
; %bb.120:                              ;   in Loop: Header=BB1331_96 Depth=2
	global_load_b32 v42, v[36:37], off offset:1280
.LBB1331_121:                           ;   in Loop: Header=BB1331_96 Depth=2
	;; [unrolled: 19-line block ×3, first 2 shown]
	s_wait_alu 0xfffe
	s_or_b32 exec_lo, exec_lo, s15
	s_delay_alu instid0(SALU_CYCLE_1)
	s_mov_b32 s15, exec_lo
	v_cmpx_gt_u32_e64 s54, v104
	s_cbranch_execz .LBB1331_127
; %bb.126:                              ;   in Loop: Header=BB1331_96 Depth=2
	global_load_b32 v39, v[36:37], off offset:1664
.LBB1331_127:                           ;   in Loop: Header=BB1331_96 Depth=2
	s_wait_alu 0xfffe
	s_or_b32 exec_lo, exec_lo, s15
	s_wait_loadcnt 0x0
	v_mov_b32_e32 v38, -1
	s_mov_b32 s15, exec_lo
	v_cmpx_gt_u32_e64 s54, v105
	s_cbranch_execz .LBB1331_129
; %bb.128:                              ;   in Loop: Header=BB1331_96 Depth=2
	global_load_b32 v38, v[36:37], off offset:1792
.LBB1331_129:                           ;   in Loop: Header=BB1331_96 Depth=2
	s_wait_alu 0xfffe
	s_or_b32 exec_lo, exec_lo, s15
	v_cmp_gt_u32_e64 s15, s54, v106
	s_sub_co_i32 s16, s51, s42
.LBB1331_130:                           ;   in Loop: Header=BB1331_96 Depth=2
	v_dual_mov_b32 v36, -1 :: v_dual_mov_b32 v131, s54
	s_and_saveexec_b32 s17, s15
	s_cbranch_execz .LBB1331_132
; %bb.131:                              ;   in Loop: Header=BB1331_96 Depth=2
	s_lshl_b64 s[18:19], s[42:43], 2
	s_wait_alu 0xfffe
	v_mov_b32_e32 v131, s16
	v_add_co_u32 v36, vcc_lo, v111, s18
	s_wait_alu 0xfffd
	v_add_co_ci_u32_e64 v37, null, s19, v112, vcc_lo
	global_load_b32 v36, v[36:37], off offset:1920
.LBB1331_132:                           ;   in Loop: Header=BB1331_96 Depth=2
	s_wait_alu 0xfffe
	s_or_b32 exec_lo, exec_lo, s17
	s_wait_loadcnt 0xe
	v_cmp_gt_i32_e32 vcc_lo, 0, v2
	s_wait_alu 0xfffd
	v_cndmask_b32_e64 v37, 0x7fffffff, 0, vcc_lo
	s_delay_alu instid0(VALU_DEP_1) | instskip(NEXT) | instid1(VALU_DEP_1)
	v_xor_b32_e32 v2, v37, v2
	v_cmp_ne_u32_e32 vcc_lo, 0x80000000, v2
	s_wait_alu 0xfffd
	v_cndmask_b32_e32 v37, 0x7fffffff, v2, vcc_lo
	s_delay_alu instid0(VALU_DEP_1) | instskip(NEXT) | instid1(VALU_DEP_1)
	v_lshrrev_b32_e32 v37, s31, v37
	v_and_b32_e32 v138, s48, v37
	s_delay_alu instid0(VALU_DEP_1)
	v_and_b32_e32 v37, 1, v138
	v_lshlrev_b32_e32 v133, 30, v138
	v_lshlrev_b32_e32 v134, 29, v138
	;; [unrolled: 1-line block ×4, first 2 shown]
	v_add_co_u32 v37, s15, v37, -1
	s_wait_alu 0xf1ff
	v_cndmask_b32_e64 v136, 0, 1, s15
	v_not_b32_e32 v142, v133
	v_cmp_gt_i32_e64 s15, 0, v133
	v_not_b32_e32 v133, v134
	v_lshlrev_b32_e32 v140, 26, v138
	v_cmp_ne_u32_e32 vcc_lo, 0, v136
	v_ashrrev_i32_e32 v142, 31, v142
	v_lshlrev_b32_e32 v141, 25, v138
	v_ashrrev_i32_e32 v133, 31, v133
	v_lshlrev_b32_e32 v136, 24, v138
	s_wait_alu 0xfffd
	v_xor_b32_e32 v37, vcc_lo, v37
	v_cmp_gt_i32_e32 vcc_lo, 0, v134
	v_not_b32_e32 v134, v135
	s_wait_alu 0xf1ff
	v_xor_b32_e32 v142, s15, v142
	v_cmp_gt_i32_e64 s15, 0, v135
	v_and_b32_e32 v37, exec_lo, v37
	v_not_b32_e32 v135, v137
	v_ashrrev_i32_e32 v134, 31, v134
	s_wait_alu 0xfffd
	v_xor_b32_e32 v133, vcc_lo, v133
	v_cmp_gt_i32_e32 vcc_lo, 0, v137
	v_and_b32_e32 v37, v37, v142
	v_not_b32_e32 v137, v140
	v_ashrrev_i32_e32 v135, 31, v135
	s_wait_alu 0xf1ff
	v_xor_b32_e32 v134, s15, v134
	v_cmp_gt_i32_e64 s15, 0, v140
	v_and_b32_e32 v37, v37, v133
	v_not_b32_e32 v133, v141
	v_ashrrev_i32_e32 v137, 31, v137
	s_wait_alu 0xfffd
	v_xor_b32_e32 v135, vcc_lo, v135
	v_cmp_gt_i32_e32 vcc_lo, 0, v141
	v_and_b32_e32 v37, v37, v134
	v_not_b32_e32 v134, v136
	v_ashrrev_i32_e32 v133, 31, v133
	s_wait_alu 0xf1ff
	v_xor_b32_e32 v137, s15, v137
	v_cmp_gt_i32_e64 s15, 0, v136
	v_and_b32_e32 v37, v37, v135
	v_ashrrev_i32_e32 v134, 31, v134
	s_wait_alu 0xfffd
	v_xor_b32_e32 v133, vcc_lo, v133
	v_mul_u32_u24_e32 v138, 36, v138
	v_add_nc_u32_e32 v136, 0x428, v67
	v_and_b32_e32 v37, v37, v137
	s_wait_alu 0xf1ff
	v_xor_b32_e32 v135, s15, v134
	v_add_nc_u32_e32 v134, 0x438, v67
	v_add_nc_u32_e32 v137, 0x430, v67
	;; [unrolled: 1-line block ×3, first 2 shown]
	v_and_b32_e32 v37, v37, v133
	ds_store_2addr_b32 v134, v3, v3 offset1:1
	v_and_b32_e32 v37, v37, v135
	v_add_nc_u32_e32 v135, 0x420, v67
	ds_store_2addr_b32 v135, v3, v3 offset1:1
	ds_store_2addr_b32 v136, v3, v3 offset1:1
	ds_store_2addr_b32 v137, v3, v3 offset1:1
	ds_store_b32 v67, v3 offset:1088
	v_mbcnt_lo_u32_b32 v133, v37, 0
	v_cmp_ne_u32_e64 s15, 0, v37
	s_wait_loadcnt_dscnt 0x0
	s_barrier_signal -1
	s_barrier_wait -1
	v_cmp_eq_u32_e32 vcc_lo, 0, v133
	global_inv scope:SCOPE_SE
	; wave barrier
	s_and_b32 s16, s15, vcc_lo
	s_wait_alu 0xfffe
	s_and_saveexec_b32 s15, s16
; %bb.133:                              ;   in Loop: Header=BB1331_96 Depth=2
	v_bcnt_u32_b32 v37, v37, 0
	ds_store_b32 v138, v37 offset:1056
; %bb.134:                              ;   in Loop: Header=BB1331_96 Depth=2
	s_wait_alu 0xfffe
	s_or_b32 exec_lo, exec_lo, s15
	v_cmp_gt_i32_e32 vcc_lo, 0, v132
	; wave barrier
	s_wait_alu 0xfffd
	v_cndmask_b32_e64 v37, 0x7fffffff, 0, vcc_lo
	s_delay_alu instid0(VALU_DEP_1) | instskip(NEXT) | instid1(VALU_DEP_1)
	v_xor_b32_e32 v132, v37, v132
	v_cmp_ne_u32_e32 vcc_lo, 0x80000000, v132
	s_wait_alu 0xfffd
	v_cndmask_b32_e32 v37, 0x7fffffff, v132, vcc_lo
	s_delay_alu instid0(VALU_DEP_1) | instskip(NEXT) | instid1(VALU_DEP_1)
	v_lshrrev_b32_e32 v37, s31, v37
	v_and_b32_e32 v142, s48, v37
	s_delay_alu instid0(VALU_DEP_1)
	v_and_b32_e32 v37, 1, v142
	v_lshlrev_b32_e32 v140, 30, v142
	v_lshlrev_b32_e32 v141, 29, v142
	;; [unrolled: 1-line block ×4, first 2 shown]
	v_add_co_u32 v37, s15, v37, -1
	s_wait_alu 0xf1ff
	v_cndmask_b32_e64 v145, 0, 1, s15
	v_not_b32_e32 v150, v140
	v_cmp_gt_i32_e64 s15, 0, v140
	v_not_b32_e32 v140, v141
	v_lshlrev_b32_e32 v148, 26, v142
	v_cmp_ne_u32_e32 vcc_lo, 0, v145
	v_ashrrev_i32_e32 v150, 31, v150
	v_lshlrev_b32_e32 v149, 25, v142
	v_ashrrev_i32_e32 v140, 31, v140
	v_lshlrev_b32_e32 v145, 24, v142
	s_wait_alu 0xfffd
	v_xor_b32_e32 v37, vcc_lo, v37
	v_cmp_gt_i32_e32 vcc_lo, 0, v141
	v_not_b32_e32 v141, v144
	s_wait_alu 0xf1ff
	v_xor_b32_e32 v150, s15, v150
	v_cmp_gt_i32_e64 s15, 0, v144
	v_and_b32_e32 v37, exec_lo, v37
	v_not_b32_e32 v144, v146
	v_ashrrev_i32_e32 v141, 31, v141
	s_wait_alu 0xfffd
	v_xor_b32_e32 v140, vcc_lo, v140
	v_cmp_gt_i32_e32 vcc_lo, 0, v146
	v_and_b32_e32 v37, v37, v150
	v_not_b32_e32 v146, v148
	v_ashrrev_i32_e32 v144, 31, v144
	s_wait_alu 0xf1ff
	v_xor_b32_e32 v141, s15, v141
	v_cmp_gt_i32_e64 s15, 0, v148
	v_and_b32_e32 v37, v37, v140
	v_not_b32_e32 v140, v149
	v_ashrrev_i32_e32 v146, 31, v146
	s_wait_alu 0xfffd
	v_xor_b32_e32 v144, vcc_lo, v144
	v_cmp_gt_i32_e32 vcc_lo, 0, v149
	v_and_b32_e32 v37, v37, v141
	v_not_b32_e32 v141, v145
	v_ashrrev_i32_e32 v140, 31, v140
	s_wait_alu 0xf1ff
	v_xor_b32_e32 v146, s15, v146
	v_cmp_gt_i32_e64 s15, 0, v145
	v_and_b32_e32 v37, v37, v144
	v_ashrrev_i32_e32 v141, 31, v141
	s_wait_alu 0xfffd
	v_xor_b32_e32 v140, vcc_lo, v140
	v_mad_u32_u24 v144, v142, 36, v114
	v_mul_u32_u24_e32 v142, 36, v142
	v_and_b32_e32 v37, v37, v146
	s_wait_alu 0xf1ff
	v_xor_b32_e32 v141, s15, v141
	s_delay_alu instid0(VALU_DEP_3) | instskip(NEXT) | instid1(VALU_DEP_3)
	v_add_nc_u32_e32 v142, v114, v142
	v_and_b32_e32 v37, v37, v140
	ds_load_b32 v140, v144 offset:1056
	; wave barrier
	v_and_b32_e32 v37, v37, v141
	s_delay_alu instid0(VALU_DEP_1) | instskip(SKIP_1) | instid1(VALU_DEP_2)
	v_mbcnt_lo_u32_b32 v141, v37, 0
	v_cmp_ne_u32_e64 s15, 0, v37
	v_cmp_eq_u32_e32 vcc_lo, 0, v141
	s_and_b32 s16, s15, vcc_lo
	s_wait_alu 0xfffe
	s_and_saveexec_b32 s15, s16
	s_cbranch_execz .LBB1331_136
; %bb.135:                              ;   in Loop: Header=BB1331_96 Depth=2
	s_wait_dscnt 0x0
	v_bcnt_u32_b32 v37, v37, v140
	ds_store_b32 v142, v37 offset:1056
.LBB1331_136:                           ;   in Loop: Header=BB1331_96 Depth=2
	s_wait_alu 0xfffe
	s_or_b32 exec_lo, exec_lo, s15
	v_cmp_gt_i32_e32 vcc_lo, 0, v139
	; wave barrier
	s_wait_alu 0xfffd
	v_cndmask_b32_e64 v37, 0x7fffffff, 0, vcc_lo
	s_delay_alu instid0(VALU_DEP_1) | instskip(NEXT) | instid1(VALU_DEP_1)
	v_xor_b32_e32 v139, v37, v139
	v_cmp_ne_u32_e32 vcc_lo, 0x80000000, v139
	s_wait_alu 0xfffd
	v_cndmask_b32_e32 v37, 0x7fffffff, v139, vcc_lo
	s_delay_alu instid0(VALU_DEP_1) | instskip(NEXT) | instid1(VALU_DEP_1)
	v_lshrrev_b32_e32 v37, s31, v37
	v_and_b32_e32 v146, s48, v37
	s_delay_alu instid0(VALU_DEP_1)
	v_and_b32_e32 v37, 1, v146
	v_lshlrev_b32_e32 v144, 30, v146
	v_lshlrev_b32_e32 v145, 29, v146
	;; [unrolled: 1-line block ×4, first 2 shown]
	v_add_co_u32 v37, s15, v37, -1
	s_wait_alu 0xf1ff
	v_cndmask_b32_e64 v149, 0, 1, s15
	v_not_b32_e32 v154, v144
	v_cmp_gt_i32_e64 s15, 0, v144
	v_not_b32_e32 v144, v145
	v_lshlrev_b32_e32 v152, 26, v146
	v_cmp_ne_u32_e32 vcc_lo, 0, v149
	v_ashrrev_i32_e32 v154, 31, v154
	v_lshlrev_b32_e32 v153, 25, v146
	v_ashrrev_i32_e32 v144, 31, v144
	v_lshlrev_b32_e32 v149, 24, v146
	s_wait_alu 0xfffd
	v_xor_b32_e32 v37, vcc_lo, v37
	v_cmp_gt_i32_e32 vcc_lo, 0, v145
	v_not_b32_e32 v145, v148
	s_wait_alu 0xf1ff
	v_xor_b32_e32 v154, s15, v154
	v_cmp_gt_i32_e64 s15, 0, v148
	v_and_b32_e32 v37, exec_lo, v37
	v_not_b32_e32 v148, v150
	v_ashrrev_i32_e32 v145, 31, v145
	s_wait_alu 0xfffd
	v_xor_b32_e32 v144, vcc_lo, v144
	v_cmp_gt_i32_e32 vcc_lo, 0, v150
	v_and_b32_e32 v37, v37, v154
	v_not_b32_e32 v150, v152
	v_ashrrev_i32_e32 v148, 31, v148
	s_wait_alu 0xf1ff
	v_xor_b32_e32 v145, s15, v145
	v_cmp_gt_i32_e64 s15, 0, v152
	v_and_b32_e32 v37, v37, v144
	v_not_b32_e32 v144, v153
	v_ashrrev_i32_e32 v150, 31, v150
	s_wait_alu 0xfffd
	v_xor_b32_e32 v148, vcc_lo, v148
	v_cmp_gt_i32_e32 vcc_lo, 0, v153
	v_and_b32_e32 v37, v37, v145
	v_not_b32_e32 v145, v149
	v_ashrrev_i32_e32 v144, 31, v144
	s_wait_alu 0xf1ff
	v_xor_b32_e32 v150, s15, v150
	v_cmp_gt_i32_e64 s15, 0, v149
	v_and_b32_e32 v37, v37, v148
	v_ashrrev_i32_e32 v145, 31, v145
	s_wait_alu 0xfffd
	v_xor_b32_e32 v144, vcc_lo, v144
	v_mad_u32_u24 v148, v146, 36, v114
	v_mul_u32_u24_e32 v146, 36, v146
	v_and_b32_e32 v37, v37, v150
	s_wait_alu 0xf1ff
	v_xor_b32_e32 v145, s15, v145
	s_delay_alu instid0(VALU_DEP_3) | instskip(NEXT) | instid1(VALU_DEP_3)
	v_add_nc_u32_e32 v146, v114, v146
	v_and_b32_e32 v37, v37, v144
	ds_load_b32 v144, v148 offset:1056
	; wave barrier
	v_and_b32_e32 v37, v37, v145
	s_delay_alu instid0(VALU_DEP_1) | instskip(SKIP_1) | instid1(VALU_DEP_2)
	v_mbcnt_lo_u32_b32 v145, v37, 0
	v_cmp_ne_u32_e64 s15, 0, v37
	v_cmp_eq_u32_e32 vcc_lo, 0, v145
	s_and_b32 s16, s15, vcc_lo
	s_wait_alu 0xfffe
	s_and_saveexec_b32 s15, s16
	s_cbranch_execz .LBB1331_138
; %bb.137:                              ;   in Loop: Header=BB1331_96 Depth=2
	s_wait_dscnt 0x0
	v_bcnt_u32_b32 v37, v37, v144
	ds_store_b32 v146, v37 offset:1056
.LBB1331_138:                           ;   in Loop: Header=BB1331_96 Depth=2
	s_wait_alu 0xfffe
	s_or_b32 exec_lo, exec_lo, s15
	v_cmp_gt_i32_e32 vcc_lo, 0, v143
	; wave barrier
	s_wait_alu 0xfffd
	v_cndmask_b32_e64 v37, 0x7fffffff, 0, vcc_lo
	s_delay_alu instid0(VALU_DEP_1) | instskip(NEXT) | instid1(VALU_DEP_1)
	v_xor_b32_e32 v143, v37, v143
	v_cmp_ne_u32_e32 vcc_lo, 0x80000000, v143
	s_wait_alu 0xfffd
	v_cndmask_b32_e32 v37, 0x7fffffff, v143, vcc_lo
	s_delay_alu instid0(VALU_DEP_1) | instskip(NEXT) | instid1(VALU_DEP_1)
	v_lshrrev_b32_e32 v37, s31, v37
	v_and_b32_e32 v150, s48, v37
	s_delay_alu instid0(VALU_DEP_1)
	v_and_b32_e32 v37, 1, v150
	v_lshlrev_b32_e32 v148, 30, v150
	v_lshlrev_b32_e32 v149, 29, v150
	;; [unrolled: 1-line block ×4, first 2 shown]
	v_add_co_u32 v37, s15, v37, -1
	s_wait_alu 0xf1ff
	v_cndmask_b32_e64 v153, 0, 1, s15
	v_not_b32_e32 v158, v148
	v_cmp_gt_i32_e64 s15, 0, v148
	v_not_b32_e32 v148, v149
	v_lshlrev_b32_e32 v156, 26, v150
	v_cmp_ne_u32_e32 vcc_lo, 0, v153
	v_ashrrev_i32_e32 v158, 31, v158
	v_lshlrev_b32_e32 v157, 25, v150
	v_ashrrev_i32_e32 v148, 31, v148
	v_lshlrev_b32_e32 v153, 24, v150
	s_wait_alu 0xfffd
	v_xor_b32_e32 v37, vcc_lo, v37
	v_cmp_gt_i32_e32 vcc_lo, 0, v149
	v_not_b32_e32 v149, v152
	s_wait_alu 0xf1ff
	v_xor_b32_e32 v158, s15, v158
	v_cmp_gt_i32_e64 s15, 0, v152
	v_and_b32_e32 v37, exec_lo, v37
	v_not_b32_e32 v152, v154
	v_ashrrev_i32_e32 v149, 31, v149
	s_wait_alu 0xfffd
	v_xor_b32_e32 v148, vcc_lo, v148
	v_cmp_gt_i32_e32 vcc_lo, 0, v154
	v_and_b32_e32 v37, v37, v158
	v_not_b32_e32 v154, v156
	v_ashrrev_i32_e32 v152, 31, v152
	s_wait_alu 0xf1ff
	v_xor_b32_e32 v149, s15, v149
	v_cmp_gt_i32_e64 s15, 0, v156
	v_and_b32_e32 v37, v37, v148
	v_not_b32_e32 v148, v157
	v_ashrrev_i32_e32 v154, 31, v154
	s_wait_alu 0xfffd
	v_xor_b32_e32 v152, vcc_lo, v152
	v_cmp_gt_i32_e32 vcc_lo, 0, v157
	v_and_b32_e32 v37, v37, v149
	v_not_b32_e32 v149, v153
	v_ashrrev_i32_e32 v148, 31, v148
	s_wait_alu 0xf1ff
	v_xor_b32_e32 v154, s15, v154
	v_cmp_gt_i32_e64 s15, 0, v153
	v_and_b32_e32 v37, v37, v152
	v_ashrrev_i32_e32 v149, 31, v149
	s_wait_alu 0xfffd
	v_xor_b32_e32 v148, vcc_lo, v148
	v_mad_u32_u24 v152, v150, 36, v114
	v_mul_u32_u24_e32 v150, 36, v150
	v_and_b32_e32 v37, v37, v154
	s_wait_alu 0xf1ff
	v_xor_b32_e32 v149, s15, v149
	s_delay_alu instid0(VALU_DEP_3) | instskip(NEXT) | instid1(VALU_DEP_3)
	v_add_nc_u32_e32 v150, v114, v150
	v_and_b32_e32 v37, v37, v148
	ds_load_b32 v148, v152 offset:1056
	; wave barrier
	v_and_b32_e32 v37, v37, v149
	s_delay_alu instid0(VALU_DEP_1) | instskip(SKIP_1) | instid1(VALU_DEP_2)
	v_mbcnt_lo_u32_b32 v149, v37, 0
	v_cmp_ne_u32_e64 s15, 0, v37
	v_cmp_eq_u32_e32 vcc_lo, 0, v149
	s_and_b32 s16, s15, vcc_lo
	s_wait_alu 0xfffe
	s_and_saveexec_b32 s15, s16
	s_cbranch_execz .LBB1331_140
; %bb.139:                              ;   in Loop: Header=BB1331_96 Depth=2
	s_wait_dscnt 0x0
	v_bcnt_u32_b32 v37, v37, v148
	ds_store_b32 v150, v37 offset:1056
.LBB1331_140:                           ;   in Loop: Header=BB1331_96 Depth=2
	s_wait_alu 0xfffe
	s_or_b32 exec_lo, exec_lo, s15
	v_cmp_gt_i32_e32 vcc_lo, 0, v147
	; wave barrier
	s_wait_alu 0xfffd
	v_cndmask_b32_e64 v37, 0x7fffffff, 0, vcc_lo
	s_delay_alu instid0(VALU_DEP_1) | instskip(NEXT) | instid1(VALU_DEP_1)
	v_xor_b32_e32 v147, v37, v147
	v_cmp_ne_u32_e32 vcc_lo, 0x80000000, v147
	s_wait_alu 0xfffd
	v_cndmask_b32_e32 v37, 0x7fffffff, v147, vcc_lo
	s_delay_alu instid0(VALU_DEP_1) | instskip(NEXT) | instid1(VALU_DEP_1)
	v_lshrrev_b32_e32 v37, s31, v37
	v_and_b32_e32 v154, s48, v37
	s_delay_alu instid0(VALU_DEP_1)
	v_and_b32_e32 v37, 1, v154
	v_lshlrev_b32_e32 v152, 30, v154
	v_lshlrev_b32_e32 v153, 29, v154
	v_lshlrev_b32_e32 v156, 28, v154
	v_lshlrev_b32_e32 v158, 27, v154
	v_add_co_u32 v37, s15, v37, -1
	s_wait_alu 0xf1ff
	v_cndmask_b32_e64 v157, 0, 1, s15
	v_not_b32_e32 v163, v152
	v_cmp_gt_i32_e64 s15, 0, v152
	v_not_b32_e32 v152, v153
	v_lshlrev_b32_e32 v160, 26, v154
	v_cmp_ne_u32_e32 vcc_lo, 0, v157
	v_ashrrev_i32_e32 v163, 31, v163
	v_lshlrev_b32_e32 v161, 25, v154
	v_ashrrev_i32_e32 v152, 31, v152
	v_lshlrev_b32_e32 v157, 24, v154
	s_wait_alu 0xfffd
	v_xor_b32_e32 v37, vcc_lo, v37
	v_cmp_gt_i32_e32 vcc_lo, 0, v153
	v_not_b32_e32 v153, v156
	s_wait_alu 0xf1ff
	v_xor_b32_e32 v163, s15, v163
	v_cmp_gt_i32_e64 s15, 0, v156
	v_and_b32_e32 v37, exec_lo, v37
	v_not_b32_e32 v156, v158
	v_ashrrev_i32_e32 v153, 31, v153
	s_wait_alu 0xfffd
	v_xor_b32_e32 v152, vcc_lo, v152
	v_cmp_gt_i32_e32 vcc_lo, 0, v158
	v_and_b32_e32 v37, v37, v163
	v_not_b32_e32 v158, v160
	v_ashrrev_i32_e32 v156, 31, v156
	s_wait_alu 0xf1ff
	v_xor_b32_e32 v153, s15, v153
	v_cmp_gt_i32_e64 s15, 0, v160
	v_and_b32_e32 v37, v37, v152
	v_not_b32_e32 v152, v161
	v_ashrrev_i32_e32 v158, 31, v158
	s_wait_alu 0xfffd
	v_xor_b32_e32 v156, vcc_lo, v156
	v_cmp_gt_i32_e32 vcc_lo, 0, v161
	v_and_b32_e32 v37, v37, v153
	v_not_b32_e32 v153, v157
	v_ashrrev_i32_e32 v152, 31, v152
	s_wait_alu 0xf1ff
	v_xor_b32_e32 v158, s15, v158
	v_cmp_gt_i32_e64 s15, 0, v157
	v_and_b32_e32 v37, v37, v156
	v_ashrrev_i32_e32 v153, 31, v153
	s_wait_alu 0xfffd
	v_xor_b32_e32 v152, vcc_lo, v152
	v_mad_u32_u24 v156, v154, 36, v114
	v_mul_u32_u24_e32 v154, 36, v154
	v_and_b32_e32 v37, v37, v158
	s_wait_alu 0xf1ff
	v_xor_b32_e32 v153, s15, v153
	s_delay_alu instid0(VALU_DEP_3) | instskip(NEXT) | instid1(VALU_DEP_3)
	v_add_nc_u32_e32 v154, v114, v154
	v_and_b32_e32 v37, v37, v152
	ds_load_b32 v152, v156 offset:1056
	; wave barrier
	v_and_b32_e32 v37, v37, v153
	s_delay_alu instid0(VALU_DEP_1) | instskip(SKIP_1) | instid1(VALU_DEP_2)
	v_mbcnt_lo_u32_b32 v153, v37, 0
	v_cmp_ne_u32_e64 s15, 0, v37
	v_cmp_eq_u32_e32 vcc_lo, 0, v153
	s_and_b32 s16, s15, vcc_lo
	s_wait_alu 0xfffe
	s_and_saveexec_b32 s15, s16
	s_cbranch_execz .LBB1331_142
; %bb.141:                              ;   in Loop: Header=BB1331_96 Depth=2
	s_wait_dscnt 0x0
	v_bcnt_u32_b32 v37, v37, v152
	ds_store_b32 v154, v37 offset:1056
.LBB1331_142:                           ;   in Loop: Header=BB1331_96 Depth=2
	s_wait_alu 0xfffe
	s_or_b32 exec_lo, exec_lo, s15
	v_cmp_gt_i32_e32 vcc_lo, 0, v151
	; wave barrier
	s_wait_alu 0xfffd
	v_cndmask_b32_e64 v37, 0x7fffffff, 0, vcc_lo
	s_delay_alu instid0(VALU_DEP_1) | instskip(NEXT) | instid1(VALU_DEP_1)
	v_xor_b32_e32 v151, v37, v151
	v_cmp_ne_u32_e32 vcc_lo, 0x80000000, v151
	s_wait_alu 0xfffd
	v_cndmask_b32_e32 v37, 0x7fffffff, v151, vcc_lo
	s_delay_alu instid0(VALU_DEP_1) | instskip(NEXT) | instid1(VALU_DEP_1)
	v_lshrrev_b32_e32 v37, s31, v37
	v_and_b32_e32 v158, s48, v37
	s_delay_alu instid0(VALU_DEP_1)
	v_and_b32_e32 v37, 1, v158
	v_lshlrev_b32_e32 v156, 30, v158
	v_lshlrev_b32_e32 v157, 29, v158
	v_lshlrev_b32_e32 v160, 28, v158
	v_lshlrev_b32_e32 v163, 27, v158
	v_add_co_u32 v37, s15, v37, -1
	s_wait_alu 0xf1ff
	v_cndmask_b32_e64 v161, 0, 1, s15
	v_not_b32_e32 v166, v156
	v_cmp_gt_i32_e64 s15, 0, v156
	v_not_b32_e32 v156, v157
	v_lshlrev_b32_e32 v164, 26, v158
	v_cmp_ne_u32_e32 vcc_lo, 0, v161
	v_ashrrev_i32_e32 v166, 31, v166
	v_lshlrev_b32_e32 v165, 25, v158
	v_ashrrev_i32_e32 v156, 31, v156
	v_lshlrev_b32_e32 v161, 24, v158
	s_wait_alu 0xfffd
	v_xor_b32_e32 v37, vcc_lo, v37
	v_cmp_gt_i32_e32 vcc_lo, 0, v157
	v_not_b32_e32 v157, v160
	s_wait_alu 0xf1ff
	v_xor_b32_e32 v166, s15, v166
	v_cmp_gt_i32_e64 s15, 0, v160
	v_and_b32_e32 v37, exec_lo, v37
	v_not_b32_e32 v160, v163
	v_ashrrev_i32_e32 v157, 31, v157
	s_wait_alu 0xfffd
	v_xor_b32_e32 v156, vcc_lo, v156
	v_cmp_gt_i32_e32 vcc_lo, 0, v163
	v_and_b32_e32 v37, v37, v166
	v_not_b32_e32 v163, v164
	v_ashrrev_i32_e32 v160, 31, v160
	s_wait_alu 0xf1ff
	v_xor_b32_e32 v157, s15, v157
	v_cmp_gt_i32_e64 s15, 0, v164
	v_and_b32_e32 v37, v37, v156
	v_not_b32_e32 v156, v165
	v_ashrrev_i32_e32 v163, 31, v163
	s_wait_alu 0xfffd
	v_xor_b32_e32 v160, vcc_lo, v160
	v_cmp_gt_i32_e32 vcc_lo, 0, v165
	v_and_b32_e32 v37, v37, v157
	v_not_b32_e32 v157, v161
	v_ashrrev_i32_e32 v156, 31, v156
	s_wait_alu 0xf1ff
	v_xor_b32_e32 v163, s15, v163
	v_cmp_gt_i32_e64 s15, 0, v161
	v_and_b32_e32 v37, v37, v160
	v_ashrrev_i32_e32 v157, 31, v157
	s_wait_alu 0xfffd
	v_xor_b32_e32 v156, vcc_lo, v156
	v_mad_u32_u24 v160, v158, 36, v114
	v_mul_u32_u24_e32 v158, 36, v158
	v_and_b32_e32 v37, v37, v163
	s_wait_alu 0xf1ff
	v_xor_b32_e32 v157, s15, v157
	s_delay_alu instid0(VALU_DEP_3) | instskip(NEXT) | instid1(VALU_DEP_3)
	v_add_nc_u32_e32 v158, v114, v158
	v_and_b32_e32 v37, v37, v156
	ds_load_b32 v156, v160 offset:1056
	; wave barrier
	v_and_b32_e32 v37, v37, v157
	s_delay_alu instid0(VALU_DEP_1) | instskip(SKIP_1) | instid1(VALU_DEP_2)
	v_mbcnt_lo_u32_b32 v157, v37, 0
	v_cmp_ne_u32_e64 s15, 0, v37
	v_cmp_eq_u32_e32 vcc_lo, 0, v157
	s_and_b32 s16, s15, vcc_lo
	s_wait_alu 0xfffe
	s_and_saveexec_b32 s15, s16
	s_cbranch_execz .LBB1331_144
; %bb.143:                              ;   in Loop: Header=BB1331_96 Depth=2
	s_wait_dscnt 0x0
	v_bcnt_u32_b32 v37, v37, v156
	ds_store_b32 v158, v37 offset:1056
.LBB1331_144:                           ;   in Loop: Header=BB1331_96 Depth=2
	s_wait_alu 0xfffe
	s_or_b32 exec_lo, exec_lo, s15
	v_cmp_gt_i32_e32 vcc_lo, 0, v155
	; wave barrier
	s_wait_alu 0xfffd
	v_cndmask_b32_e64 v37, 0x7fffffff, 0, vcc_lo
	s_delay_alu instid0(VALU_DEP_1) | instskip(NEXT) | instid1(VALU_DEP_1)
	v_xor_b32_e32 v155, v37, v155
	v_cmp_ne_u32_e32 vcc_lo, 0x80000000, v155
	s_wait_alu 0xfffd
	v_cndmask_b32_e32 v37, 0x7fffffff, v155, vcc_lo
	s_delay_alu instid0(VALU_DEP_1) | instskip(NEXT) | instid1(VALU_DEP_1)
	v_lshrrev_b32_e32 v37, s31, v37
	v_and_b32_e32 v163, s48, v37
	s_delay_alu instid0(VALU_DEP_1)
	v_and_b32_e32 v37, 1, v163
	v_lshlrev_b32_e32 v160, 30, v163
	v_lshlrev_b32_e32 v161, 29, v163
	;; [unrolled: 1-line block ×4, first 2 shown]
	v_add_co_u32 v37, s15, v37, -1
	s_wait_alu 0xf1ff
	v_cndmask_b32_e64 v165, 0, 1, s15
	v_not_b32_e32 v169, v160
	v_cmp_gt_i32_e64 s15, 0, v160
	v_not_b32_e32 v160, v161
	v_lshlrev_b32_e32 v167, 26, v163
	v_cmp_ne_u32_e32 vcc_lo, 0, v165
	v_ashrrev_i32_e32 v169, 31, v169
	v_lshlrev_b32_e32 v168, 25, v163
	v_ashrrev_i32_e32 v160, 31, v160
	v_lshlrev_b32_e32 v165, 24, v163
	s_wait_alu 0xfffd
	v_xor_b32_e32 v37, vcc_lo, v37
	v_cmp_gt_i32_e32 vcc_lo, 0, v161
	v_not_b32_e32 v161, v164
	s_wait_alu 0xf1ff
	v_xor_b32_e32 v169, s15, v169
	v_cmp_gt_i32_e64 s15, 0, v164
	v_and_b32_e32 v37, exec_lo, v37
	v_not_b32_e32 v164, v166
	v_ashrrev_i32_e32 v161, 31, v161
	s_wait_alu 0xfffd
	v_xor_b32_e32 v160, vcc_lo, v160
	v_cmp_gt_i32_e32 vcc_lo, 0, v166
	v_and_b32_e32 v37, v37, v169
	v_not_b32_e32 v166, v167
	v_ashrrev_i32_e32 v164, 31, v164
	s_wait_alu 0xf1ff
	v_xor_b32_e32 v161, s15, v161
	v_cmp_gt_i32_e64 s15, 0, v167
	v_and_b32_e32 v37, v37, v160
	v_not_b32_e32 v160, v168
	v_ashrrev_i32_e32 v166, 31, v166
	s_wait_alu 0xfffd
	v_xor_b32_e32 v164, vcc_lo, v164
	v_cmp_gt_i32_e32 vcc_lo, 0, v168
	v_and_b32_e32 v37, v37, v161
	v_not_b32_e32 v161, v165
	v_ashrrev_i32_e32 v160, 31, v160
	s_wait_alu 0xf1ff
	v_xor_b32_e32 v166, s15, v166
	v_cmp_gt_i32_e64 s15, 0, v165
	v_and_b32_e32 v37, v37, v164
	v_ashrrev_i32_e32 v161, 31, v161
	s_wait_alu 0xfffd
	v_xor_b32_e32 v160, vcc_lo, v160
	v_mad_u32_u24 v164, v163, 36, v114
	v_mul_u32_u24_e32 v163, 36, v163
	v_and_b32_e32 v37, v37, v166
	s_wait_alu 0xf1ff
	v_xor_b32_e32 v161, s15, v161
	s_delay_alu instid0(VALU_DEP_3) | instskip(NEXT) | instid1(VALU_DEP_3)
	v_add_nc_u32_e32 v163, v114, v163
	v_and_b32_e32 v37, v37, v160
	ds_load_b32 v160, v164 offset:1056
	; wave barrier
	v_and_b32_e32 v37, v37, v161
	s_delay_alu instid0(VALU_DEP_1) | instskip(SKIP_1) | instid1(VALU_DEP_2)
	v_mbcnt_lo_u32_b32 v161, v37, 0
	v_cmp_ne_u32_e64 s15, 0, v37
	v_cmp_eq_u32_e32 vcc_lo, 0, v161
	s_and_b32 s16, s15, vcc_lo
	s_wait_alu 0xfffe
	s_and_saveexec_b32 s15, s16
	s_cbranch_execz .LBB1331_146
; %bb.145:                              ;   in Loop: Header=BB1331_96 Depth=2
	s_wait_dscnt 0x0
	v_bcnt_u32_b32 v37, v37, v160
	ds_store_b32 v163, v37 offset:1056
.LBB1331_146:                           ;   in Loop: Header=BB1331_96 Depth=2
	s_wait_alu 0xfffe
	s_or_b32 exec_lo, exec_lo, s15
	v_cmp_gt_i32_e32 vcc_lo, 0, v159
	; wave barrier
	s_wait_alu 0xfffd
	v_cndmask_b32_e64 v37, 0x7fffffff, 0, vcc_lo
	s_delay_alu instid0(VALU_DEP_1) | instskip(NEXT) | instid1(VALU_DEP_1)
	v_xor_b32_e32 v159, v37, v159
	v_cmp_ne_u32_e32 vcc_lo, 0x80000000, v159
	s_wait_alu 0xfffd
	v_cndmask_b32_e32 v37, 0x7fffffff, v159, vcc_lo
	s_delay_alu instid0(VALU_DEP_1) | instskip(NEXT) | instid1(VALU_DEP_1)
	v_lshrrev_b32_e32 v37, s31, v37
	v_and_b32_e32 v166, s48, v37
	s_delay_alu instid0(VALU_DEP_1)
	v_and_b32_e32 v37, 1, v166
	v_lshlrev_b32_e32 v164, 30, v166
	v_lshlrev_b32_e32 v165, 29, v166
	;; [unrolled: 1-line block ×4, first 2 shown]
	v_add_co_u32 v37, s15, v37, -1
	s_wait_alu 0xf1ff
	v_cndmask_b32_e64 v168, 0, 1, s15
	v_not_b32_e32 v172, v164
	v_cmp_gt_i32_e64 s15, 0, v164
	v_not_b32_e32 v164, v165
	v_lshlrev_b32_e32 v170, 26, v166
	v_cmp_ne_u32_e32 vcc_lo, 0, v168
	v_ashrrev_i32_e32 v172, 31, v172
	v_lshlrev_b32_e32 v171, 25, v166
	v_ashrrev_i32_e32 v164, 31, v164
	v_lshlrev_b32_e32 v168, 24, v166
	s_wait_alu 0xfffd
	v_xor_b32_e32 v37, vcc_lo, v37
	v_cmp_gt_i32_e32 vcc_lo, 0, v165
	v_not_b32_e32 v165, v167
	s_wait_alu 0xf1ff
	v_xor_b32_e32 v172, s15, v172
	v_cmp_gt_i32_e64 s15, 0, v167
	v_and_b32_e32 v37, exec_lo, v37
	v_not_b32_e32 v167, v169
	v_ashrrev_i32_e32 v165, 31, v165
	s_wait_alu 0xfffd
	v_xor_b32_e32 v164, vcc_lo, v164
	v_cmp_gt_i32_e32 vcc_lo, 0, v169
	v_and_b32_e32 v37, v37, v172
	v_not_b32_e32 v169, v170
	v_ashrrev_i32_e32 v167, 31, v167
	s_wait_alu 0xf1ff
	v_xor_b32_e32 v165, s15, v165
	v_cmp_gt_i32_e64 s15, 0, v170
	v_and_b32_e32 v37, v37, v164
	v_not_b32_e32 v164, v171
	v_ashrrev_i32_e32 v169, 31, v169
	s_wait_alu 0xfffd
	v_xor_b32_e32 v167, vcc_lo, v167
	v_cmp_gt_i32_e32 vcc_lo, 0, v171
	v_and_b32_e32 v37, v37, v165
	v_not_b32_e32 v165, v168
	v_ashrrev_i32_e32 v164, 31, v164
	s_wait_alu 0xf1ff
	v_xor_b32_e32 v169, s15, v169
	v_cmp_gt_i32_e64 s15, 0, v168
	v_and_b32_e32 v37, v37, v167
	v_ashrrev_i32_e32 v165, 31, v165
	s_wait_alu 0xfffd
	v_xor_b32_e32 v164, vcc_lo, v164
	v_mad_u32_u24 v167, v166, 36, v114
	v_mul_u32_u24_e32 v166, 36, v166
	v_and_b32_e32 v37, v37, v169
	s_wait_alu 0xf1ff
	v_xor_b32_e32 v165, s15, v165
	s_delay_alu instid0(VALU_DEP_3) | instskip(NEXT) | instid1(VALU_DEP_3)
	v_add_nc_u32_e32 v166, v114, v166
	v_and_b32_e32 v37, v37, v164
	ds_load_b32 v164, v167 offset:1056
	; wave barrier
	v_and_b32_e32 v37, v37, v165
	s_delay_alu instid0(VALU_DEP_1) | instskip(SKIP_1) | instid1(VALU_DEP_2)
	v_mbcnt_lo_u32_b32 v165, v37, 0
	v_cmp_ne_u32_e64 s15, 0, v37
	v_cmp_eq_u32_e32 vcc_lo, 0, v165
	s_and_b32 s16, s15, vcc_lo
	s_wait_alu 0xfffe
	s_and_saveexec_b32 s15, s16
	s_cbranch_execz .LBB1331_148
; %bb.147:                              ;   in Loop: Header=BB1331_96 Depth=2
	s_wait_dscnt 0x0
	v_bcnt_u32_b32 v37, v37, v164
	ds_store_b32 v166, v37 offset:1056
.LBB1331_148:                           ;   in Loop: Header=BB1331_96 Depth=2
	s_wait_alu 0xfffe
	s_or_b32 exec_lo, exec_lo, s15
	v_cmp_gt_i32_e32 vcc_lo, 0, v162
	; wave barrier
	s_wait_alu 0xfffd
	v_cndmask_b32_e64 v37, 0x7fffffff, 0, vcc_lo
	s_delay_alu instid0(VALU_DEP_1) | instskip(NEXT) | instid1(VALU_DEP_1)
	v_xor_b32_e32 v162, v37, v162
	v_cmp_ne_u32_e32 vcc_lo, 0x80000000, v162
	s_wait_alu 0xfffd
	v_cndmask_b32_e32 v37, 0x7fffffff, v162, vcc_lo
	s_delay_alu instid0(VALU_DEP_1) | instskip(NEXT) | instid1(VALU_DEP_1)
	v_lshrrev_b32_e32 v37, s31, v37
	v_and_b32_e32 v167, s48, v37
	s_delay_alu instid0(VALU_DEP_1)
	v_and_b32_e32 v37, 1, v167
	v_lshlrev_b32_e32 v168, 30, v167
	v_lshlrev_b32_e32 v169, 29, v167
	;; [unrolled: 1-line block ×4, first 2 shown]
	v_add_co_u32 v37, s15, v37, -1
	s_wait_alu 0xf1ff
	v_cndmask_b32_e64 v171, 0, 1, s15
	v_not_b32_e32 v175, v168
	v_cmp_gt_i32_e64 s15, 0, v168
	v_not_b32_e32 v168, v169
	v_lshlrev_b32_e32 v173, 26, v167
	v_cmp_ne_u32_e32 vcc_lo, 0, v171
	v_ashrrev_i32_e32 v175, 31, v175
	v_lshlrev_b32_e32 v174, 25, v167
	v_ashrrev_i32_e32 v168, 31, v168
	v_lshlrev_b32_e32 v171, 24, v167
	s_wait_alu 0xfffd
	v_xor_b32_e32 v37, vcc_lo, v37
	v_cmp_gt_i32_e32 vcc_lo, 0, v169
	v_not_b32_e32 v169, v170
	s_wait_alu 0xf1ff
	v_xor_b32_e32 v175, s15, v175
	v_cmp_gt_i32_e64 s15, 0, v170
	v_and_b32_e32 v37, exec_lo, v37
	v_not_b32_e32 v170, v172
	v_ashrrev_i32_e32 v169, 31, v169
	s_wait_alu 0xfffd
	v_xor_b32_e32 v168, vcc_lo, v168
	v_cmp_gt_i32_e32 vcc_lo, 0, v172
	v_and_b32_e32 v37, v37, v175
	v_not_b32_e32 v172, v173
	v_ashrrev_i32_e32 v170, 31, v170
	s_wait_alu 0xf1ff
	v_xor_b32_e32 v169, s15, v169
	v_cmp_gt_i32_e64 s15, 0, v173
	v_and_b32_e32 v37, v37, v168
	v_not_b32_e32 v168, v174
	v_ashrrev_i32_e32 v172, 31, v172
	s_wait_alu 0xfffd
	v_xor_b32_e32 v170, vcc_lo, v170
	v_cmp_gt_i32_e32 vcc_lo, 0, v174
	v_and_b32_e32 v37, v37, v169
	v_not_b32_e32 v169, v171
	v_ashrrev_i32_e32 v168, 31, v168
	s_wait_alu 0xf1ff
	v_xor_b32_e32 v172, s15, v172
	v_cmp_gt_i32_e64 s15, 0, v171
	v_and_b32_e32 v37, v37, v170
	v_ashrrev_i32_e32 v169, 31, v169
	s_wait_alu 0xfffd
	v_xor_b32_e32 v168, vcc_lo, v168
	v_mad_u32_u24 v170, v167, 36, v114
	v_mul_u32_u24_e32 v167, 36, v167
	v_and_b32_e32 v37, v37, v172
	s_wait_alu 0xf1ff
	v_xor_b32_e32 v169, s15, v169
	s_delay_alu instid0(VALU_DEP_2) | instskip(SKIP_3) | instid1(VALU_DEP_1)
	v_and_b32_e32 v37, v37, v168
	ds_load_b32 v168, v170 offset:1056
	v_add_nc_u32_e32 v170, v114, v167
	; wave barrier
	v_and_b32_e32 v37, v37, v169
	v_mbcnt_lo_u32_b32 v169, v37, 0
	v_cmp_ne_u32_e64 s15, 0, v37
	s_delay_alu instid0(VALU_DEP_2)
	v_cmp_eq_u32_e32 vcc_lo, 0, v169
	s_and_b32 s16, s15, vcc_lo
	s_wait_alu 0xfffe
	s_and_saveexec_b32 s15, s16
	s_cbranch_execz .LBB1331_150
; %bb.149:                              ;   in Loop: Header=BB1331_96 Depth=2
	s_wait_dscnt 0x0
	v_bcnt_u32_b32 v37, v37, v168
	ds_store_b32 v170, v37 offset:1056
.LBB1331_150:                           ;   in Loop: Header=BB1331_96 Depth=2
	s_wait_alu 0xfffe
	s_or_b32 exec_lo, exec_lo, s15
	v_cmp_gt_i32_e32 vcc_lo, 0, v43
	; wave barrier
	s_wait_alu 0xfffd
	v_cndmask_b32_e64 v37, 0x7fffffff, 0, vcc_lo
	s_delay_alu instid0(VALU_DEP_1) | instskip(NEXT) | instid1(VALU_DEP_1)
	v_xor_b32_e32 v167, v37, v43
	v_cmp_ne_u32_e32 vcc_lo, 0x80000000, v167
	s_wait_alu 0xfffd
	v_cndmask_b32_e32 v37, 0x7fffffff, v167, vcc_lo
	s_delay_alu instid0(VALU_DEP_1) | instskip(NEXT) | instid1(VALU_DEP_1)
	v_lshrrev_b32_e32 v37, s31, v37
	v_and_b32_e32 v43, s48, v37
	s_delay_alu instid0(VALU_DEP_1)
	v_and_b32_e32 v37, 1, v43
	v_lshlrev_b32_e32 v171, 30, v43
	v_lshlrev_b32_e32 v172, 29, v43
	;; [unrolled: 1-line block ×4, first 2 shown]
	v_add_co_u32 v37, s15, v37, -1
	s_wait_alu 0xf1ff
	v_cndmask_b32_e64 v174, 0, 1, s15
	v_not_b32_e32 v178, v171
	v_cmp_gt_i32_e64 s15, 0, v171
	v_not_b32_e32 v171, v172
	v_lshlrev_b32_e32 v176, 26, v43
	v_cmp_ne_u32_e32 vcc_lo, 0, v174
	v_ashrrev_i32_e32 v178, 31, v178
	v_lshlrev_b32_e32 v177, 25, v43
	v_ashrrev_i32_e32 v171, 31, v171
	v_lshlrev_b32_e32 v174, 24, v43
	s_wait_alu 0xfffd
	v_xor_b32_e32 v37, vcc_lo, v37
	v_cmp_gt_i32_e32 vcc_lo, 0, v172
	v_not_b32_e32 v172, v173
	s_wait_alu 0xf1ff
	v_xor_b32_e32 v178, s15, v178
	v_cmp_gt_i32_e64 s15, 0, v173
	v_and_b32_e32 v37, exec_lo, v37
	v_not_b32_e32 v173, v175
	v_ashrrev_i32_e32 v172, 31, v172
	s_wait_alu 0xfffd
	v_xor_b32_e32 v171, vcc_lo, v171
	v_cmp_gt_i32_e32 vcc_lo, 0, v175
	v_and_b32_e32 v37, v37, v178
	v_not_b32_e32 v175, v176
	v_ashrrev_i32_e32 v173, 31, v173
	s_wait_alu 0xf1ff
	v_xor_b32_e32 v172, s15, v172
	v_cmp_gt_i32_e64 s15, 0, v176
	v_and_b32_e32 v37, v37, v171
	v_not_b32_e32 v171, v177
	v_ashrrev_i32_e32 v175, 31, v175
	s_wait_alu 0xfffd
	v_xor_b32_e32 v173, vcc_lo, v173
	v_cmp_gt_i32_e32 vcc_lo, 0, v177
	v_and_b32_e32 v37, v37, v172
	v_not_b32_e32 v172, v174
	v_ashrrev_i32_e32 v171, 31, v171
	s_wait_alu 0xf1ff
	v_xor_b32_e32 v175, s15, v175
	v_cmp_gt_i32_e64 s15, 0, v174
	v_and_b32_e32 v37, v37, v173
	v_ashrrev_i32_e32 v172, 31, v172
	s_wait_alu 0xfffd
	v_xor_b32_e32 v171, vcc_lo, v171
	v_mad_u32_u24 v173, v43, 36, v114
	v_mul_u32_u24_e32 v43, 36, v43
	v_and_b32_e32 v37, v37, v175
	s_wait_alu 0xf1ff
	v_xor_b32_e32 v174, s15, v172
	ds_load_b32 v172, v173 offset:1056
	v_and_b32_e32 v37, v37, v171
	; wave barrier
	s_delay_alu instid0(VALU_DEP_1) | instskip(SKIP_1) | instid1(VALU_DEP_2)
	v_and_b32_e32 v37, v37, v174
	v_add_nc_u32_e32 v174, v114, v43
	v_mbcnt_lo_u32_b32 v173, v37, 0
	v_cmp_ne_u32_e64 s15, 0, v37
	s_delay_alu instid0(VALU_DEP_2)
	v_cmp_eq_u32_e32 vcc_lo, 0, v173
	s_and_b32 s16, s15, vcc_lo
	s_wait_alu 0xfffe
	s_and_saveexec_b32 s15, s16
	s_cbranch_execz .LBB1331_152
; %bb.151:                              ;   in Loop: Header=BB1331_96 Depth=2
	s_wait_dscnt 0x0
	v_bcnt_u32_b32 v37, v37, v172
	ds_store_b32 v174, v37 offset:1056
.LBB1331_152:                           ;   in Loop: Header=BB1331_96 Depth=2
	s_wait_alu 0xfffe
	s_or_b32 exec_lo, exec_lo, s15
	v_cmp_gt_i32_e32 vcc_lo, 0, v42
	; wave barrier
	s_wait_alu 0xfffd
	v_cndmask_b32_e64 v37, 0x7fffffff, 0, vcc_lo
	s_delay_alu instid0(VALU_DEP_1) | instskip(NEXT) | instid1(VALU_DEP_1)
	v_xor_b32_e32 v171, v37, v42
	v_cmp_ne_u32_e32 vcc_lo, 0x80000000, v171
	s_wait_alu 0xfffd
	v_cndmask_b32_e32 v37, 0x7fffffff, v171, vcc_lo
	s_delay_alu instid0(VALU_DEP_1) | instskip(NEXT) | instid1(VALU_DEP_1)
	v_lshrrev_b32_e32 v37, s31, v37
	v_and_b32_e32 v42, s48, v37
	s_delay_alu instid0(VALU_DEP_1)
	v_and_b32_e32 v37, 1, v42
	v_lshlrev_b32_e32 v43, 30, v42
	v_lshlrev_b32_e32 v175, 29, v42
	;; [unrolled: 1-line block ×4, first 2 shown]
	v_add_co_u32 v37, s15, v37, -1
	s_wait_alu 0xf1ff
	v_cndmask_b32_e64 v177, 0, 1, s15
	v_not_b32_e32 v181, v43
	v_cmp_gt_i32_e64 s15, 0, v43
	v_not_b32_e32 v43, v175
	v_lshlrev_b32_e32 v179, 26, v42
	v_cmp_ne_u32_e32 vcc_lo, 0, v177
	v_ashrrev_i32_e32 v181, 31, v181
	v_lshlrev_b32_e32 v180, 25, v42
	v_ashrrev_i32_e32 v43, 31, v43
	v_lshlrev_b32_e32 v177, 24, v42
	s_wait_alu 0xfffd
	v_xor_b32_e32 v37, vcc_lo, v37
	v_cmp_gt_i32_e32 vcc_lo, 0, v175
	v_not_b32_e32 v175, v176
	s_wait_alu 0xf1ff
	v_xor_b32_e32 v181, s15, v181
	v_cmp_gt_i32_e64 s15, 0, v176
	v_and_b32_e32 v37, exec_lo, v37
	v_not_b32_e32 v176, v178
	v_ashrrev_i32_e32 v175, 31, v175
	s_wait_alu 0xfffd
	v_xor_b32_e32 v43, vcc_lo, v43
	v_cmp_gt_i32_e32 vcc_lo, 0, v178
	v_and_b32_e32 v37, v37, v181
	v_not_b32_e32 v178, v179
	v_ashrrev_i32_e32 v176, 31, v176
	s_wait_alu 0xf1ff
	v_xor_b32_e32 v175, s15, v175
	v_cmp_gt_i32_e64 s15, 0, v179
	v_and_b32_e32 v37, v37, v43
	v_not_b32_e32 v43, v180
	v_ashrrev_i32_e32 v178, 31, v178
	s_wait_alu 0xfffd
	v_xor_b32_e32 v176, vcc_lo, v176
	v_cmp_gt_i32_e32 vcc_lo, 0, v180
	v_and_b32_e32 v37, v37, v175
	v_not_b32_e32 v175, v177
	v_ashrrev_i32_e32 v43, 31, v43
	s_wait_alu 0xf1ff
	v_xor_b32_e32 v178, s15, v178
	v_cmp_gt_i32_e64 s15, 0, v177
	v_and_b32_e32 v37, v37, v176
	v_ashrrev_i32_e32 v175, 31, v175
	s_wait_alu 0xfffd
	v_xor_b32_e32 v43, vcc_lo, v43
	v_mad_u32_u24 v176, v42, 36, v114
	v_mul_u32_u24_e32 v42, 36, v42
	v_and_b32_e32 v37, v37, v178
	s_wait_alu 0xf1ff
	v_xor_b32_e32 v175, s15, v175
	ds_load_b32 v176, v176 offset:1056
	v_add_nc_u32_e32 v178, v114, v42
	v_and_b32_e32 v37, v37, v43
	; wave barrier
	s_delay_alu instid0(VALU_DEP_1) | instskip(NEXT) | instid1(VALU_DEP_1)
	v_and_b32_e32 v37, v37, v175
	v_mbcnt_lo_u32_b32 v177, v37, 0
	v_cmp_ne_u32_e64 s15, 0, v37
	s_delay_alu instid0(VALU_DEP_2)
	v_cmp_eq_u32_e32 vcc_lo, 0, v177
	s_and_b32 s16, s15, vcc_lo
	s_wait_alu 0xfffe
	s_and_saveexec_b32 s15, s16
	s_cbranch_execz .LBB1331_154
; %bb.153:                              ;   in Loop: Header=BB1331_96 Depth=2
	s_wait_dscnt 0x0
	v_bcnt_u32_b32 v37, v37, v176
	ds_store_b32 v178, v37 offset:1056
.LBB1331_154:                           ;   in Loop: Header=BB1331_96 Depth=2
	s_wait_alu 0xfffe
	s_or_b32 exec_lo, exec_lo, s15
	v_cmp_gt_i32_e32 vcc_lo, 0, v41
	; wave barrier
	s_wait_alu 0xfffd
	v_cndmask_b32_e64 v37, 0x7fffffff, 0, vcc_lo
	s_delay_alu instid0(VALU_DEP_1) | instskip(NEXT) | instid1(VALU_DEP_1)
	v_xor_b32_e32 v175, v37, v41
	v_cmp_ne_u32_e32 vcc_lo, 0x80000000, v175
	s_wait_alu 0xfffd
	v_cndmask_b32_e32 v37, 0x7fffffff, v175, vcc_lo
	s_delay_alu instid0(VALU_DEP_1) | instskip(NEXT) | instid1(VALU_DEP_1)
	v_lshrrev_b32_e32 v37, s31, v37
	v_and_b32_e32 v41, s48, v37
	s_delay_alu instid0(VALU_DEP_1)
	v_and_b32_e32 v37, 1, v41
	v_lshlrev_b32_e32 v42, 30, v41
	v_lshlrev_b32_e32 v43, 29, v41
	;; [unrolled: 1-line block ×4, first 2 shown]
	v_add_co_u32 v37, s15, v37, -1
	s_wait_alu 0xf1ff
	v_cndmask_b32_e64 v180, 0, 1, s15
	v_not_b32_e32 v184, v42
	v_cmp_gt_i32_e64 s15, 0, v42
	v_not_b32_e32 v42, v43
	v_lshlrev_b32_e32 v182, 26, v41
	v_cmp_ne_u32_e32 vcc_lo, 0, v180
	v_ashrrev_i32_e32 v184, 31, v184
	v_lshlrev_b32_e32 v183, 25, v41
	v_ashrrev_i32_e32 v42, 31, v42
	v_lshlrev_b32_e32 v180, 24, v41
	s_wait_alu 0xfffd
	v_xor_b32_e32 v37, vcc_lo, v37
	v_cmp_gt_i32_e32 vcc_lo, 0, v43
	v_not_b32_e32 v43, v179
	s_wait_alu 0xf1ff
	v_xor_b32_e32 v184, s15, v184
	v_cmp_gt_i32_e64 s15, 0, v179
	v_and_b32_e32 v37, exec_lo, v37
	v_not_b32_e32 v179, v181
	v_ashrrev_i32_e32 v43, 31, v43
	s_wait_alu 0xfffd
	v_xor_b32_e32 v42, vcc_lo, v42
	v_cmp_gt_i32_e32 vcc_lo, 0, v181
	v_and_b32_e32 v37, v37, v184
	v_not_b32_e32 v181, v182
	v_ashrrev_i32_e32 v179, 31, v179
	s_wait_alu 0xf1ff
	v_xor_b32_e32 v43, s15, v43
	v_cmp_gt_i32_e64 s15, 0, v182
	v_and_b32_e32 v37, v37, v42
	v_not_b32_e32 v42, v183
	v_ashrrev_i32_e32 v181, 31, v181
	s_wait_alu 0xfffd
	v_xor_b32_e32 v179, vcc_lo, v179
	v_cmp_gt_i32_e32 vcc_lo, 0, v183
	v_and_b32_e32 v37, v37, v43
	v_not_b32_e32 v43, v180
	v_ashrrev_i32_e32 v42, 31, v42
	s_wait_alu 0xf1ff
	v_xor_b32_e32 v181, s15, v181
	v_cmp_gt_i32_e64 s15, 0, v180
	v_and_b32_e32 v37, v37, v179
	v_ashrrev_i32_e32 v43, 31, v43
	s_wait_alu 0xfffd
	v_xor_b32_e32 v42, vcc_lo, v42
	v_mad_u32_u24 v179, v41, 36, v114
	v_mul_u32_u24_e32 v41, 36, v41
	v_and_b32_e32 v37, v37, v181
	s_wait_alu 0xf1ff
	v_xor_b32_e32 v43, s15, v43
	ds_load_b32 v180, v179 offset:1056
	v_add_nc_u32_e32 v182, v114, v41
	v_and_b32_e32 v37, v37, v42
	; wave barrier
	s_delay_alu instid0(VALU_DEP_1) | instskip(NEXT) | instid1(VALU_DEP_1)
	v_and_b32_e32 v37, v37, v43
	v_mbcnt_lo_u32_b32 v181, v37, 0
	v_cmp_ne_u32_e64 s15, 0, v37
	s_delay_alu instid0(VALU_DEP_2)
	v_cmp_eq_u32_e32 vcc_lo, 0, v181
	s_and_b32 s16, s15, vcc_lo
	s_wait_alu 0xfffe
	s_and_saveexec_b32 s15, s16
	s_cbranch_execz .LBB1331_156
; %bb.155:                              ;   in Loop: Header=BB1331_96 Depth=2
	s_wait_dscnt 0x0
	v_bcnt_u32_b32 v37, v37, v180
	ds_store_b32 v182, v37 offset:1056
.LBB1331_156:                           ;   in Loop: Header=BB1331_96 Depth=2
	s_wait_alu 0xfffe
	s_or_b32 exec_lo, exec_lo, s15
	v_cmp_gt_i32_e32 vcc_lo, 0, v40
	; wave barrier
	s_wait_alu 0xfffd
	v_cndmask_b32_e64 v37, 0x7fffffff, 0, vcc_lo
	s_delay_alu instid0(VALU_DEP_1) | instskip(NEXT) | instid1(VALU_DEP_1)
	v_xor_b32_e32 v179, v37, v40
	v_cmp_ne_u32_e32 vcc_lo, 0x80000000, v179
	s_wait_alu 0xfffd
	v_cndmask_b32_e32 v37, 0x7fffffff, v179, vcc_lo
	s_delay_alu instid0(VALU_DEP_1) | instskip(NEXT) | instid1(VALU_DEP_1)
	v_lshrrev_b32_e32 v37, s31, v37
	v_and_b32_e32 v40, s48, v37
	s_delay_alu instid0(VALU_DEP_1)
	v_and_b32_e32 v37, 1, v40
	v_lshlrev_b32_e32 v41, 30, v40
	v_lshlrev_b32_e32 v42, 29, v40
	;; [unrolled: 1-line block ×4, first 2 shown]
	v_add_co_u32 v37, s15, v37, -1
	s_wait_alu 0xf1ff
	v_cndmask_b32_e64 v183, 0, 1, s15
	v_not_b32_e32 v187, v41
	v_cmp_gt_i32_e64 s15, 0, v41
	v_not_b32_e32 v41, v42
	v_lshlrev_b32_e32 v185, 26, v40
	v_cmp_ne_u32_e32 vcc_lo, 0, v183
	v_ashrrev_i32_e32 v187, 31, v187
	v_lshlrev_b32_e32 v186, 25, v40
	v_ashrrev_i32_e32 v41, 31, v41
	v_lshlrev_b32_e32 v183, 24, v40
	s_wait_alu 0xfffd
	v_xor_b32_e32 v37, vcc_lo, v37
	v_cmp_gt_i32_e32 vcc_lo, 0, v42
	v_not_b32_e32 v42, v43
	s_wait_alu 0xf1ff
	v_xor_b32_e32 v187, s15, v187
	v_cmp_gt_i32_e64 s15, 0, v43
	v_and_b32_e32 v37, exec_lo, v37
	v_not_b32_e32 v43, v184
	v_ashrrev_i32_e32 v42, 31, v42
	s_wait_alu 0xfffd
	v_xor_b32_e32 v41, vcc_lo, v41
	v_cmp_gt_i32_e32 vcc_lo, 0, v184
	v_and_b32_e32 v37, v37, v187
	v_not_b32_e32 v184, v185
	v_ashrrev_i32_e32 v43, 31, v43
	s_wait_alu 0xf1ff
	v_xor_b32_e32 v42, s15, v42
	v_cmp_gt_i32_e64 s15, 0, v185
	v_and_b32_e32 v37, v37, v41
	v_not_b32_e32 v41, v186
	v_ashrrev_i32_e32 v184, 31, v184
	s_wait_alu 0xfffd
	v_xor_b32_e32 v43, vcc_lo, v43
	v_cmp_gt_i32_e32 vcc_lo, 0, v186
	v_and_b32_e32 v37, v37, v42
	v_not_b32_e32 v42, v183
	v_ashrrev_i32_e32 v41, 31, v41
	s_wait_alu 0xf1ff
	v_xor_b32_e32 v184, s15, v184
	v_cmp_gt_i32_e64 s15, 0, v183
	v_and_b32_e32 v37, v37, v43
	v_ashrrev_i32_e32 v42, 31, v42
	s_wait_alu 0xfffd
	v_xor_b32_e32 v41, vcc_lo, v41
	v_mad_u32_u24 v43, v40, 36, v114
	v_mul_u32_u24_e32 v40, 36, v40
	v_and_b32_e32 v37, v37, v184
	s_wait_alu 0xf1ff
	v_xor_b32_e32 v42, s15, v42
	ds_load_b32 v184, v43 offset:1056
	v_add_nc_u32_e32 v186, v114, v40
	v_and_b32_e32 v37, v37, v41
	; wave barrier
	s_delay_alu instid0(VALU_DEP_1) | instskip(NEXT) | instid1(VALU_DEP_1)
	v_and_b32_e32 v37, v37, v42
	v_mbcnt_lo_u32_b32 v185, v37, 0
	v_cmp_ne_u32_e64 s15, 0, v37
	s_delay_alu instid0(VALU_DEP_2)
	v_cmp_eq_u32_e32 vcc_lo, 0, v185
	s_and_b32 s16, s15, vcc_lo
	s_wait_alu 0xfffe
	s_and_saveexec_b32 s15, s16
	s_cbranch_execz .LBB1331_158
; %bb.157:                              ;   in Loop: Header=BB1331_96 Depth=2
	s_wait_dscnt 0x0
	v_bcnt_u32_b32 v37, v37, v184
	ds_store_b32 v186, v37 offset:1056
.LBB1331_158:                           ;   in Loop: Header=BB1331_96 Depth=2
	s_wait_alu 0xfffe
	s_or_b32 exec_lo, exec_lo, s15
	v_cmp_gt_i32_e32 vcc_lo, 0, v39
	; wave barrier
	s_wait_alu 0xfffd
	v_cndmask_b32_e64 v37, 0x7fffffff, 0, vcc_lo
	s_delay_alu instid0(VALU_DEP_1) | instskip(NEXT) | instid1(VALU_DEP_1)
	v_xor_b32_e32 v183, v37, v39
	v_cmp_ne_u32_e32 vcc_lo, 0x80000000, v183
	s_wait_alu 0xfffd
	v_cndmask_b32_e32 v37, 0x7fffffff, v183, vcc_lo
	s_delay_alu instid0(VALU_DEP_1) | instskip(NEXT) | instid1(VALU_DEP_1)
	v_lshrrev_b32_e32 v37, s31, v37
	v_and_b32_e32 v39, s48, v37
	s_delay_alu instid0(VALU_DEP_1)
	v_and_b32_e32 v37, 1, v39
	v_lshlrev_b32_e32 v40, 30, v39
	v_lshlrev_b32_e32 v41, 29, v39
	;; [unrolled: 1-line block ×4, first 2 shown]
	v_add_co_u32 v37, s15, v37, -1
	s_wait_alu 0xf1ff
	v_cndmask_b32_e64 v43, 0, 1, s15
	v_not_b32_e32 v190, v40
	v_cmp_gt_i32_e64 s15, 0, v40
	v_not_b32_e32 v40, v41
	v_lshlrev_b32_e32 v188, 26, v39
	v_cmp_ne_u32_e32 vcc_lo, 0, v43
	v_ashrrev_i32_e32 v190, 31, v190
	v_lshlrev_b32_e32 v189, 25, v39
	v_ashrrev_i32_e32 v40, 31, v40
	v_lshlrev_b32_e32 v43, 24, v39
	s_wait_alu 0xfffd
	v_xor_b32_e32 v37, vcc_lo, v37
	v_cmp_gt_i32_e32 vcc_lo, 0, v41
	v_not_b32_e32 v41, v42
	s_wait_alu 0xf1ff
	v_xor_b32_e32 v190, s15, v190
	v_cmp_gt_i32_e64 s15, 0, v42
	v_and_b32_e32 v37, exec_lo, v37
	v_not_b32_e32 v42, v187
	v_ashrrev_i32_e32 v41, 31, v41
	s_wait_alu 0xfffd
	v_xor_b32_e32 v40, vcc_lo, v40
	v_cmp_gt_i32_e32 vcc_lo, 0, v187
	v_and_b32_e32 v37, v37, v190
	v_not_b32_e32 v187, v188
	v_ashrrev_i32_e32 v42, 31, v42
	s_wait_alu 0xf1ff
	v_xor_b32_e32 v41, s15, v41
	v_cmp_gt_i32_e64 s15, 0, v188
	v_and_b32_e32 v37, v37, v40
	v_not_b32_e32 v40, v189
	v_ashrrev_i32_e32 v187, 31, v187
	s_wait_alu 0xfffd
	v_xor_b32_e32 v42, vcc_lo, v42
	v_cmp_gt_i32_e32 vcc_lo, 0, v189
	v_and_b32_e32 v37, v37, v41
	v_not_b32_e32 v41, v43
	v_ashrrev_i32_e32 v40, 31, v40
	s_wait_alu 0xf1ff
	v_xor_b32_e32 v187, s15, v187
	v_cmp_gt_i32_e64 s15, 0, v43
	v_and_b32_e32 v37, v37, v42
	v_ashrrev_i32_e32 v41, 31, v41
	s_wait_alu 0xfffd
	v_xor_b32_e32 v40, vcc_lo, v40
	v_mad_u32_u24 v42, v39, 36, v114
	v_mul_u32_u24_e32 v39, 36, v39
	v_and_b32_e32 v37, v37, v187
	s_wait_alu 0xf1ff
	v_xor_b32_e32 v41, s15, v41
	ds_load_b32 v188, v42 offset:1056
	v_add_nc_u32_e32 v190, v114, v39
	v_and_b32_e32 v37, v37, v40
	; wave barrier
	s_delay_alu instid0(VALU_DEP_1) | instskip(NEXT) | instid1(VALU_DEP_1)
	v_and_b32_e32 v37, v37, v41
	v_mbcnt_lo_u32_b32 v189, v37, 0
	v_cmp_ne_u32_e64 s15, 0, v37
	s_delay_alu instid0(VALU_DEP_2)
	v_cmp_eq_u32_e32 vcc_lo, 0, v189
	s_and_b32 s16, s15, vcc_lo
	s_wait_alu 0xfffe
	s_and_saveexec_b32 s15, s16
	s_cbranch_execz .LBB1331_160
; %bb.159:                              ;   in Loop: Header=BB1331_96 Depth=2
	s_wait_dscnt 0x0
	v_bcnt_u32_b32 v37, v37, v188
	ds_store_b32 v190, v37 offset:1056
.LBB1331_160:                           ;   in Loop: Header=BB1331_96 Depth=2
	s_wait_alu 0xfffe
	s_or_b32 exec_lo, exec_lo, s15
	v_cmp_gt_i32_e32 vcc_lo, 0, v38
	; wave barrier
	s_wait_alu 0xfffd
	v_cndmask_b32_e64 v37, 0x7fffffff, 0, vcc_lo
	s_delay_alu instid0(VALU_DEP_1) | instskip(NEXT) | instid1(VALU_DEP_1)
	v_xor_b32_e32 v187, v37, v38
	v_cmp_ne_u32_e32 vcc_lo, 0x80000000, v187
	s_wait_alu 0xfffd
	v_cndmask_b32_e32 v37, 0x7fffffff, v187, vcc_lo
	s_delay_alu instid0(VALU_DEP_1) | instskip(NEXT) | instid1(VALU_DEP_1)
	v_lshrrev_b32_e32 v37, s31, v37
	v_and_b32_e32 v38, s48, v37
	s_delay_alu instid0(VALU_DEP_1)
	v_and_b32_e32 v37, 1, v38
	v_lshlrev_b32_e32 v39, 30, v38
	v_lshlrev_b32_e32 v40, 29, v38
	;; [unrolled: 1-line block ×4, first 2 shown]
	v_add_co_u32 v37, s15, v37, -1
	s_wait_alu 0xf1ff
	v_cndmask_b32_e64 v42, 0, 1, s15
	v_not_b32_e32 v193, v39
	v_cmp_gt_i32_e64 s15, 0, v39
	v_not_b32_e32 v39, v40
	v_lshlrev_b32_e32 v191, 26, v38
	v_cmp_ne_u32_e32 vcc_lo, 0, v42
	v_ashrrev_i32_e32 v193, 31, v193
	v_lshlrev_b32_e32 v192, 25, v38
	v_ashrrev_i32_e32 v39, 31, v39
	v_lshlrev_b32_e32 v42, 24, v38
	s_wait_alu 0xfffd
	v_xor_b32_e32 v37, vcc_lo, v37
	v_cmp_gt_i32_e32 vcc_lo, 0, v40
	v_not_b32_e32 v40, v41
	s_wait_alu 0xf1ff
	v_xor_b32_e32 v193, s15, v193
	v_cmp_gt_i32_e64 s15, 0, v41
	v_and_b32_e32 v37, exec_lo, v37
	v_not_b32_e32 v41, v43
	v_ashrrev_i32_e32 v40, 31, v40
	s_wait_alu 0xfffd
	v_xor_b32_e32 v39, vcc_lo, v39
	v_cmp_gt_i32_e32 vcc_lo, 0, v43
	v_and_b32_e32 v37, v37, v193
	v_not_b32_e32 v43, v191
	v_ashrrev_i32_e32 v41, 31, v41
	s_wait_alu 0xf1ff
	v_xor_b32_e32 v40, s15, v40
	v_cmp_gt_i32_e64 s15, 0, v191
	v_and_b32_e32 v37, v37, v39
	v_not_b32_e32 v39, v192
	v_ashrrev_i32_e32 v43, 31, v43
	s_wait_alu 0xfffd
	v_xor_b32_e32 v41, vcc_lo, v41
	v_cmp_gt_i32_e32 vcc_lo, 0, v192
	v_and_b32_e32 v37, v37, v40
	v_not_b32_e32 v40, v42
	v_ashrrev_i32_e32 v39, 31, v39
	s_wait_alu 0xf1ff
	v_xor_b32_e32 v43, s15, v43
	v_cmp_gt_i32_e64 s15, 0, v42
	v_and_b32_e32 v37, v37, v41
	v_ashrrev_i32_e32 v40, 31, v40
	s_wait_alu 0xfffd
	v_xor_b32_e32 v39, vcc_lo, v39
	v_mad_u32_u24 v41, v38, 36, v114
	v_mul_u32_u24_e32 v38, 36, v38
	v_and_b32_e32 v37, v37, v43
	s_wait_alu 0xf1ff
	v_xor_b32_e32 v40, s15, v40
	ds_load_b32 v192, v41 offset:1056
	v_add_nc_u32_e32 v194, v114, v38
	v_and_b32_e32 v37, v37, v39
	; wave barrier
	s_delay_alu instid0(VALU_DEP_1) | instskip(NEXT) | instid1(VALU_DEP_1)
	v_and_b32_e32 v37, v37, v40
	v_mbcnt_lo_u32_b32 v193, v37, 0
	v_cmp_ne_u32_e64 s15, 0, v37
	s_delay_alu instid0(VALU_DEP_2)
	v_cmp_eq_u32_e32 vcc_lo, 0, v193
	s_and_b32 s16, s15, vcc_lo
	s_wait_alu 0xfffe
	s_and_saveexec_b32 s15, s16
	s_cbranch_execz .LBB1331_162
; %bb.161:                              ;   in Loop: Header=BB1331_96 Depth=2
	s_wait_dscnt 0x0
	v_bcnt_u32_b32 v37, v37, v192
	ds_store_b32 v194, v37 offset:1056
.LBB1331_162:                           ;   in Loop: Header=BB1331_96 Depth=2
	s_wait_alu 0xfffe
	s_or_b32 exec_lo, exec_lo, s15
	v_cmp_gt_i32_e32 vcc_lo, 0, v36
	; wave barrier
	s_wait_alu 0xfffd
	v_cndmask_b32_e64 v37, 0x7fffffff, 0, vcc_lo
	s_delay_alu instid0(VALU_DEP_1) | instskip(NEXT) | instid1(VALU_DEP_1)
	v_xor_b32_e32 v191, v37, v36
	v_cmp_ne_u32_e32 vcc_lo, 0x80000000, v191
	s_wait_alu 0xfffd
	v_cndmask_b32_e32 v36, 0x7fffffff, v191, vcc_lo
	s_delay_alu instid0(VALU_DEP_1) | instskip(NEXT) | instid1(VALU_DEP_1)
	v_lshrrev_b32_e32 v36, s31, v36
	v_and_b32_e32 v37, s48, v36
	s_delay_alu instid0(VALU_DEP_1)
	v_and_b32_e32 v36, 1, v37
	v_lshlrev_b32_e32 v38, 30, v37
	v_lshlrev_b32_e32 v39, 29, v37
	;; [unrolled: 1-line block ×4, first 2 shown]
	v_add_co_u32 v36, s15, v36, -1
	s_wait_alu 0xf1ff
	v_cndmask_b32_e64 v41, 0, 1, s15
	v_not_b32_e32 v196, v38
	v_cmp_gt_i32_e64 s15, 0, v38
	v_not_b32_e32 v38, v39
	v_lshlrev_b32_e32 v43, 26, v37
	v_cmp_ne_u32_e32 vcc_lo, 0, v41
	v_ashrrev_i32_e32 v196, 31, v196
	v_lshlrev_b32_e32 v195, 25, v37
	v_ashrrev_i32_e32 v38, 31, v38
	v_lshlrev_b32_e32 v41, 24, v37
	s_wait_alu 0xfffd
	v_xor_b32_e32 v36, vcc_lo, v36
	v_cmp_gt_i32_e32 vcc_lo, 0, v39
	v_not_b32_e32 v39, v40
	s_wait_alu 0xf1ff
	v_xor_b32_e32 v196, s15, v196
	v_cmp_gt_i32_e64 s15, 0, v40
	v_and_b32_e32 v36, exec_lo, v36
	v_not_b32_e32 v40, v42
	v_ashrrev_i32_e32 v39, 31, v39
	s_wait_alu 0xfffd
	v_xor_b32_e32 v38, vcc_lo, v38
	v_cmp_gt_i32_e32 vcc_lo, 0, v42
	v_and_b32_e32 v36, v36, v196
	v_not_b32_e32 v42, v43
	v_ashrrev_i32_e32 v40, 31, v40
	s_wait_alu 0xf1ff
	v_xor_b32_e32 v39, s15, v39
	v_cmp_gt_i32_e64 s15, 0, v43
	v_and_b32_e32 v36, v36, v38
	v_not_b32_e32 v38, v195
	v_ashrrev_i32_e32 v42, 31, v42
	s_wait_alu 0xfffd
	v_xor_b32_e32 v40, vcc_lo, v40
	v_cmp_gt_i32_e32 vcc_lo, 0, v195
	v_and_b32_e32 v36, v36, v39
	v_not_b32_e32 v39, v41
	v_ashrrev_i32_e32 v38, 31, v38
	s_wait_alu 0xf1ff
	v_xor_b32_e32 v42, s15, v42
	v_cmp_gt_i32_e64 s15, 0, v41
	v_and_b32_e32 v36, v36, v40
	v_ashrrev_i32_e32 v39, 31, v39
	s_wait_alu 0xfffd
	v_xor_b32_e32 v38, vcc_lo, v38
	v_mad_u32_u24 v40, v37, 36, v114
	v_mul_u32_u24_e32 v37, 36, v37
	v_and_b32_e32 v36, v36, v42
	s_wait_alu 0xf1ff
	v_xor_b32_e32 v39, s15, v39
	ds_load_b32 v195, v40 offset:1056
	v_add_nc_u32_e32 v197, v114, v37
	v_and_b32_e32 v36, v36, v38
	; wave barrier
	s_delay_alu instid0(VALU_DEP_1) | instskip(NEXT) | instid1(VALU_DEP_1)
	v_and_b32_e32 v36, v36, v39
	v_mbcnt_lo_u32_b32 v196, v36, 0
	v_cmp_ne_u32_e64 s15, 0, v36
	s_delay_alu instid0(VALU_DEP_2)
	v_cmp_eq_u32_e32 vcc_lo, 0, v196
	s_and_b32 s16, s15, vcc_lo
	s_wait_alu 0xfffe
	s_and_saveexec_b32 s15, s16
	s_cbranch_execz .LBB1331_164
; %bb.163:                              ;   in Loop: Header=BB1331_96 Depth=2
	s_wait_dscnt 0x0
	v_bcnt_u32_b32 v36, v36, v195
	ds_store_b32 v197, v36 offset:1056
.LBB1331_164:                           ;   in Loop: Header=BB1331_96 Depth=2
	s_wait_alu 0xfffe
	s_or_b32 exec_lo, exec_lo, s15
	; wave barrier
	s_wait_loadcnt_dscnt 0x0
	s_barrier_signal -1
	s_barrier_wait -1
	global_inv scope:SCOPE_SE
	ds_load_2addr_b32 v[42:43], v135 offset1:1
	ds_load_2addr_b32 v[40:41], v136 offset1:1
	;; [unrolled: 1-line block ×4, first 2 shown]
	ds_load_b32 v198, v67 offset:1088
	s_wait_dscnt 0x3
	v_add3_u32 v199, v43, v42, v40
	s_wait_dscnt 0x2
	s_delay_alu instid0(VALU_DEP_1) | instskip(SKIP_1) | instid1(VALU_DEP_1)
	v_add3_u32 v199, v199, v41, v38
	s_wait_dscnt 0x1
	v_add3_u32 v199, v199, v39, v36
	s_wait_dscnt 0x0
	s_delay_alu instid0(VALU_DEP_1) | instskip(NEXT) | instid1(VALU_DEP_1)
	v_add3_u32 v198, v199, v37, v198
	v_mov_b32_dpp v199, v198 row_shr:1 row_mask:0xf bank_mask:0xf
	s_delay_alu instid0(VALU_DEP_1) | instskip(NEXT) | instid1(VALU_DEP_1)
	v_cndmask_b32_e64 v199, v199, 0, s0
	v_add_nc_u32_e32 v198, v199, v198
	s_delay_alu instid0(VALU_DEP_1) | instskip(NEXT) | instid1(VALU_DEP_1)
	v_mov_b32_dpp v199, v198 row_shr:2 row_mask:0xf bank_mask:0xf
	v_cndmask_b32_e64 v199, 0, v199, s1
	s_delay_alu instid0(VALU_DEP_1) | instskip(NEXT) | instid1(VALU_DEP_1)
	v_add_nc_u32_e32 v198, v198, v199
	v_mov_b32_dpp v199, v198 row_shr:4 row_mask:0xf bank_mask:0xf
	s_delay_alu instid0(VALU_DEP_1) | instskip(NEXT) | instid1(VALU_DEP_1)
	v_cndmask_b32_e64 v199, 0, v199, s9
	v_add_nc_u32_e32 v198, v198, v199
	s_delay_alu instid0(VALU_DEP_1) | instskip(NEXT) | instid1(VALU_DEP_1)
	v_mov_b32_dpp v199, v198 row_shr:8 row_mask:0xf bank_mask:0xf
	v_cndmask_b32_e64 v199, 0, v199, s10
	s_delay_alu instid0(VALU_DEP_1) | instskip(SKIP_3) | instid1(VALU_DEP_1)
	v_add_nc_u32_e32 v198, v198, v199
	ds_swizzle_b32 v199, v198 offset:swizzle(BROADCAST,32,15)
	s_wait_dscnt 0x0
	v_cndmask_b32_e64 v199, v199, 0, s11
	v_add_nc_u32_e32 v198, v198, v199
	s_and_saveexec_b32 s15, s3
; %bb.165:                              ;   in Loop: Header=BB1331_96 Depth=2
	ds_store_b32 v63, v198 offset:1024
; %bb.166:                              ;   in Loop: Header=BB1331_96 Depth=2
	s_wait_alu 0xfffe
	s_or_b32 exec_lo, exec_lo, s15
	s_wait_loadcnt_dscnt 0x0
	s_barrier_signal -1
	s_barrier_wait -1
	global_inv scope:SCOPE_SE
	s_and_saveexec_b32 s15, s4
	s_cbranch_execz .LBB1331_168
; %bb.167:                              ;   in Loop: Header=BB1331_96 Depth=2
	ds_load_b32 v199, v70 offset:1024
	s_wait_dscnt 0x0
	v_mov_b32_dpp v200, v199 row_shr:1 row_mask:0xf bank_mask:0xf
	s_delay_alu instid0(VALU_DEP_1) | instskip(NEXT) | instid1(VALU_DEP_1)
	v_cndmask_b32_e64 v200, v200, 0, s12
	v_add_nc_u32_e32 v199, v200, v199
	s_delay_alu instid0(VALU_DEP_1) | instskip(NEXT) | instid1(VALU_DEP_1)
	v_mov_b32_dpp v200, v199 row_shr:2 row_mask:0xf bank_mask:0xf
	v_cndmask_b32_e64 v200, 0, v200, s13
	s_delay_alu instid0(VALU_DEP_1) | instskip(NEXT) | instid1(VALU_DEP_1)
	v_add_nc_u32_e32 v199, v199, v200
	v_mov_b32_dpp v200, v199 row_shr:4 row_mask:0xf bank_mask:0xf
	s_delay_alu instid0(VALU_DEP_1) | instskip(NEXT) | instid1(VALU_DEP_1)
	v_cndmask_b32_e64 v200, 0, v200, s14
	v_add_nc_u32_e32 v199, v199, v200
	ds_store_b32 v70, v199 offset:1024
.LBB1331_168:                           ;   in Loop: Header=BB1331_96 Depth=2
	s_wait_alu 0xfffe
	s_or_b32 exec_lo, exec_lo, s15
	v_mov_b32_e32 v199, 0
	s_wait_loadcnt_dscnt 0x0
	s_barrier_signal -1
	s_barrier_wait -1
	global_inv scope:SCOPE_SE
	s_and_saveexec_b32 s15, s5
; %bb.169:                              ;   in Loop: Header=BB1331_96 Depth=2
	ds_load_b32 v199, v63 offset:1020
; %bb.170:                              ;   in Loop: Header=BB1331_96 Depth=2
	s_wait_alu 0xfffe
	s_or_b32 exec_lo, exec_lo, s15
	s_wait_dscnt 0x0
	v_add_nc_u32_e32 v198, v199, v198
	ds_bpermute_b32 v198, v113, v198
	s_wait_dscnt 0x0
	v_cndmask_b32_e64 v198, v198, v199, s8
	s_delay_alu instid0(VALU_DEP_1) | instskip(NEXT) | instid1(VALU_DEP_1)
	v_cndmask_b32_e64 v198, v198, 0, s6
	v_add_nc_u32_e32 v42, v198, v42
	s_delay_alu instid0(VALU_DEP_1) | instskip(NEXT) | instid1(VALU_DEP_1)
	v_add_nc_u32_e32 v43, v42, v43
	v_add_nc_u32_e32 v40, v43, v40
	s_delay_alu instid0(VALU_DEP_1) | instskip(NEXT) | instid1(VALU_DEP_1)
	v_add_nc_u32_e32 v41, v40, v41
	;; [unrolled: 3-line block ×3, first 2 shown]
	v_add_nc_u32_e32 v36, v39, v36
	s_delay_alu instid0(VALU_DEP_1)
	v_add_nc_u32_e32 v37, v36, v37
	ds_store_2addr_b32 v134, v39, v36 offset1:1
	ds_store_2addr_b32 v135, v198, v42 offset1:1
	;; [unrolled: 1-line block ×4, first 2 shown]
	ds_store_b32 v67, v37 offset:1088
	s_wait_loadcnt_dscnt 0x0
	s_barrier_signal -1
	s_barrier_wait -1
	global_inv scope:SCOPE_SE
	ds_load_b32 v39, v138 offset:1056
	ds_load_b32 v41, v142 offset:1056
	;; [unrolled: 1-line block ×17, first 2 shown]
	v_mov_b32_e32 v38, 0x1000
	s_and_saveexec_b32 s15, s7
; %bb.171:                              ;   in Loop: Header=BB1331_96 Depth=2
	ds_load_b32 v38, v67 offset:1092
; %bb.172:                              ;   in Loop: Header=BB1331_96 Depth=2
	s_wait_alu 0xfffe
	s_or_b32 exec_lo, exec_lo, s15
	s_wait_loadcnt_dscnt 0x0
	s_barrier_signal -1
	s_barrier_wait -1
	global_inv scope:SCOPE_SE
	s_and_saveexec_b32 s15, s2
	s_cbranch_execz .LBB1331_174
; %bb.173:                              ;   in Loop: Header=BB1331_96 Depth=2
	ds_load_b32 v138, v44
	s_wait_dscnt 0x0
	v_sub_nc_u32_e32 v137, v138, v137
	ds_store_b32 v44, v137
.LBB1331_174:                           ;   in Loop: Header=BB1331_96 Depth=2
	s_wait_alu 0xfffe
	s_or_b32 exec_lo, exec_lo, s15
	v_add_nc_u32_e32 v150, v39, v133
	v_add3_u32 v146, v141, v140, v41
	v_add3_u32 v142, v145, v144, v42
	;; [unrolled: 1-line block ×4, first 2 shown]
	v_lshlrev_b32_e32 v144, 2, v150
	v_add3_u32 v138, v157, v156, v135
	v_add3_u32 v137, v161, v160, v136
	;; [unrolled: 1-line block ×4, first 2 shown]
	ds_store_b32 v144, v2 offset:1024
	v_lshlrev_b32_e32 v2, 2, v146
	v_lshlrev_b32_e32 v36, 2, v142
	v_add3_u32 v135, v169, v168, v163
	v_add3_u32 v42, v189, v188, v37
	v_lshlrev_b32_e32 v37, 2, v141
	v_add3_u32 v134, v173, v172, v166
	v_lshlrev_b32_e32 v144, 2, v140
	;; [unrolled: 2-line block ×3, first 2 shown]
	v_add3_u32 v39, v181, v180, v174
	ds_store_b32 v2, v132 offset:1024
	ds_store_b32 v36, v139 offset:1024
	;; [unrolled: 1-line block ×5, first 2 shown]
	v_lshlrev_b32_e32 v2, 2, v137
	v_lshlrev_b32_e32 v36, 2, v136
	;; [unrolled: 1-line block ×3, first 2 shown]
	v_add3_u32 v41, v193, v192, v40
	v_lshlrev_b32_e32 v132, 2, v134
	v_add3_u32 v40, v196, v195, v154
	v_lshlrev_b32_e32 v139, 2, v133
	ds_store_b32 v2, v155 offset:1024
	ds_store_b32 v36, v159 offset:1024
	;; [unrolled: 1-line block ×5, first 2 shown]
	v_lshlrev_b32_e32 v2, 2, v39
	v_cmp_lt_u32_e32 vcc_lo, v1, v131
	v_lshlrev_b32_e32 v36, 2, v43
	v_lshlrev_b32_e32 v37, 2, v42
	;; [unrolled: 1-line block ×4, first 2 shown]
	ds_store_b32 v2, v175 offset:1024
	ds_store_b32 v36, v179 offset:1024
	ds_store_b32 v37, v183 offset:1024
	ds_store_b32 v132, v187 offset:1024
	ds_store_b32 v139, v191 offset:1024
	s_wait_loadcnt_dscnt 0x0
	s_barrier_signal -1
	s_barrier_wait -1
	global_inv scope:SCOPE_SE
	s_and_saveexec_b32 s16, vcc_lo
	s_cbranch_execnz .LBB1331_243
; %bb.175:                              ;   in Loop: Header=BB1331_96 Depth=2
	s_wait_alu 0xfffe
	s_or_b32 exec_lo, exec_lo, s16
	v_cmp_lt_u32_e64 s15, v45, v131
	s_and_saveexec_b32 s17, s15
	s_cbranch_execnz .LBB1331_244
.LBB1331_176:                           ;   in Loop: Header=BB1331_96 Depth=2
	s_wait_alu 0xfffe
	s_or_b32 exec_lo, exec_lo, s17
	v_cmp_lt_u32_e64 s16, v46, v131
	s_and_saveexec_b32 s18, s16
	s_cbranch_execnz .LBB1331_245
.LBB1331_177:                           ;   in Loop: Header=BB1331_96 Depth=2
	s_wait_alu 0xfffe
	s_or_b32 exec_lo, exec_lo, s18
	v_cmp_lt_u32_e64 s17, v47, v131
	s_and_saveexec_b32 s19, s17
	s_cbranch_execnz .LBB1331_246
.LBB1331_178:                           ;   in Loop: Header=BB1331_96 Depth=2
	s_wait_alu 0xfffe
	s_or_b32 exec_lo, exec_lo, s19
	v_cmp_lt_u32_e64 s18, v50, v131
	s_and_saveexec_b32 s20, s18
	s_cbranch_execnz .LBB1331_247
.LBB1331_179:                           ;   in Loop: Header=BB1331_96 Depth=2
	s_wait_alu 0xfffe
	s_or_b32 exec_lo, exec_lo, s20
	v_cmp_lt_u32_e64 s19, v51, v131
	s_and_saveexec_b32 s21, s19
	s_cbranch_execnz .LBB1331_248
.LBB1331_180:                           ;   in Loop: Header=BB1331_96 Depth=2
	s_wait_alu 0xfffe
	s_or_b32 exec_lo, exec_lo, s21
	v_cmp_lt_u32_e64 s20, v52, v131
	s_and_saveexec_b32 s22, s20
	s_cbranch_execnz .LBB1331_249
.LBB1331_181:                           ;   in Loop: Header=BB1331_96 Depth=2
	s_wait_alu 0xfffe
	s_or_b32 exec_lo, exec_lo, s22
	v_cmp_lt_u32_e64 s21, v53, v131
	s_and_saveexec_b32 s23, s21
	s_cbranch_execnz .LBB1331_250
.LBB1331_182:                           ;   in Loop: Header=BB1331_96 Depth=2
	s_wait_alu 0xfffe
	s_or_b32 exec_lo, exec_lo, s23
	v_cmp_lt_u32_e64 s22, v54, v131
	s_and_saveexec_b32 s24, s22
	s_cbranch_execnz .LBB1331_251
.LBB1331_183:                           ;   in Loop: Header=BB1331_96 Depth=2
	s_wait_alu 0xfffe
	s_or_b32 exec_lo, exec_lo, s24
	v_cmp_lt_u32_e64 s23, v55, v131
	s_and_saveexec_b32 s25, s23
	s_cbranch_execnz .LBB1331_252
.LBB1331_184:                           ;   in Loop: Header=BB1331_96 Depth=2
	s_wait_alu 0xfffe
	s_or_b32 exec_lo, exec_lo, s25
	v_cmp_lt_u32_e64 s24, v56, v131
	s_and_saveexec_b32 s26, s24
	s_cbranch_execnz .LBB1331_253
.LBB1331_185:                           ;   in Loop: Header=BB1331_96 Depth=2
	s_wait_alu 0xfffe
	s_or_b32 exec_lo, exec_lo, s26
	v_cmp_lt_u32_e64 s25, v57, v131
	s_and_saveexec_b32 s27, s25
	s_cbranch_execnz .LBB1331_254
.LBB1331_186:                           ;   in Loop: Header=BB1331_96 Depth=2
	s_wait_alu 0xfffe
	s_or_b32 exec_lo, exec_lo, s27
	v_cmp_lt_u32_e64 s26, v58, v131
	s_and_saveexec_b32 s28, s26
	s_cbranch_execnz .LBB1331_255
.LBB1331_187:                           ;   in Loop: Header=BB1331_96 Depth=2
	s_wait_alu 0xfffe
	s_or_b32 exec_lo, exec_lo, s28
	v_cmp_lt_u32_e64 s27, v59, v131
	s_and_saveexec_b32 s29, s27
	s_cbranch_execnz .LBB1331_256
.LBB1331_188:                           ;   in Loop: Header=BB1331_96 Depth=2
	s_wait_alu 0xfffe
	s_or_b32 exec_lo, exec_lo, s29
	v_cmp_lt_u32_e64 s28, v60, v131
	s_and_saveexec_b32 s30, s28
	s_cbranch_execnz .LBB1331_257
.LBB1331_189:                           ;   in Loop: Header=BB1331_96 Depth=2
	s_wait_alu 0xfffe
	s_or_b32 exec_lo, exec_lo, s30
	v_cmp_lt_u32_e64 s29, v61, v131
	s_and_saveexec_b32 s56, s29
	s_cbranch_execz .LBB1331_191
.LBB1331_190:                           ;   in Loop: Header=BB1331_96 Depth=2
	ds_load_b32 v132, v70 offset:16384
	s_wait_dscnt 0x0
	v_cmp_ne_u32_e64 s30, 0x80000000, v132
	s_wait_alu 0xf1ff
	s_delay_alu instid0(VALU_DEP_1) | instskip(SKIP_1) | instid1(VALU_DEP_2)
	v_cndmask_b32_e64 v2, 0x7fffffff, v132, s30
	v_cmp_gt_i32_e64 s30, 0, v132
	v_lshrrev_b32_e32 v2, s31, v2
	s_wait_alu 0xf1ff
	s_delay_alu instid0(VALU_DEP_2) | instskip(NEXT) | instid1(VALU_DEP_2)
	v_cndmask_b32_e64 v139, 0x7fffffff, 0, s30
	v_and_b32_e32 v2, s48, v2
	s_delay_alu instid0(VALU_DEP_1) | instskip(SKIP_3) | instid1(VALU_DEP_1)
	v_lshlrev_b32_e32 v2, 2, v2
	ds_load_b32 v2, v2
	s_wait_dscnt 0x0
	v_add_nc_u32_e32 v2, v2, v61
	v_lshlrev_b64_e32 v[36:37], 2, v[2:3]
	v_xor_b32_e32 v2, v139, v132
	s_delay_alu instid0(VALU_DEP_2) | instskip(SKIP_1) | instid1(VALU_DEP_3)
	v_add_co_u32 v36, s30, s38, v36
	s_wait_alu 0xf1ff
	v_add_co_ci_u32_e64 v37, null, s39, v37, s30
	global_store_b32 v[36:37], v2, off
.LBB1331_191:                           ;   in Loop: Header=BB1331_96 Depth=2
	s_wait_alu 0xfffe
	s_or_b32 exec_lo, exec_lo, s56
	s_lshl_b64 s[56:57], s[42:43], 3
	s_wait_alu 0xfffe
	v_add_co_u32 v36, s30, v109, s56
	s_wait_alu 0xf1ff
	v_add_co_ci_u32_e64 v37, null, s57, v110, s30
	v_cmp_lt_u32_e64 s30, v88, v131
	s_and_saveexec_b32 s42, s30
	s_wait_alu 0xfffe
	s_xor_b32 s30, exec_lo, s42
	s_cbranch_execnz .LBB1331_258
; %bb.192:                              ;   in Loop: Header=BB1331_96 Depth=2
	s_wait_alu 0xfffe
	s_or_b32 exec_lo, exec_lo, s30
	s_delay_alu instid0(SALU_CYCLE_1)
	s_mov_b32 s42, exec_lo
	v_cmpx_lt_u32_e64 v92, v131
	s_cbranch_execnz .LBB1331_259
.LBB1331_193:                           ;   in Loop: Header=BB1331_96 Depth=2
	s_wait_alu 0xfffe
	s_or_b32 exec_lo, exec_lo, s42
	s_delay_alu instid0(SALU_CYCLE_1)
	s_mov_b32 s42, exec_lo
	v_cmpx_lt_u32_e64 v93, v131
	s_cbranch_execnz .LBB1331_260
.LBB1331_194:                           ;   in Loop: Header=BB1331_96 Depth=2
	s_wait_alu 0xfffe
	s_or_b32 exec_lo, exec_lo, s42
	s_delay_alu instid0(SALU_CYCLE_1)
	s_mov_b32 s42, exec_lo
	v_cmpx_lt_u32_e64 v94, v131
	s_cbranch_execnz .LBB1331_261
.LBB1331_195:                           ;   in Loop: Header=BB1331_96 Depth=2
	s_wait_alu 0xfffe
	s_or_b32 exec_lo, exec_lo, s42
	s_delay_alu instid0(SALU_CYCLE_1)
	s_mov_b32 s42, exec_lo
	v_cmpx_lt_u32_e64 v95, v131
	s_cbranch_execnz .LBB1331_262
.LBB1331_196:                           ;   in Loop: Header=BB1331_96 Depth=2
	s_wait_alu 0xfffe
	s_or_b32 exec_lo, exec_lo, s42
	s_delay_alu instid0(SALU_CYCLE_1)
	s_mov_b32 s42, exec_lo
	v_cmpx_lt_u32_e64 v96, v131
	s_cbranch_execnz .LBB1331_263
.LBB1331_197:                           ;   in Loop: Header=BB1331_96 Depth=2
	s_wait_alu 0xfffe
	s_or_b32 exec_lo, exec_lo, s42
	s_delay_alu instid0(SALU_CYCLE_1)
	s_mov_b32 s42, exec_lo
	v_cmpx_lt_u32_e64 v97, v131
	s_cbranch_execnz .LBB1331_264
.LBB1331_198:                           ;   in Loop: Header=BB1331_96 Depth=2
	s_wait_alu 0xfffe
	s_or_b32 exec_lo, exec_lo, s42
	s_delay_alu instid0(SALU_CYCLE_1)
	s_mov_b32 s42, exec_lo
	v_cmpx_lt_u32_e64 v98, v131
	s_cbranch_execnz .LBB1331_265
.LBB1331_199:                           ;   in Loop: Header=BB1331_96 Depth=2
	s_wait_alu 0xfffe
	s_or_b32 exec_lo, exec_lo, s42
	s_delay_alu instid0(SALU_CYCLE_1)
	s_mov_b32 s42, exec_lo
	v_cmpx_lt_u32_e64 v99, v131
	s_cbranch_execnz .LBB1331_266
.LBB1331_200:                           ;   in Loop: Header=BB1331_96 Depth=2
	s_wait_alu 0xfffe
	s_or_b32 exec_lo, exec_lo, s42
	s_delay_alu instid0(SALU_CYCLE_1)
	s_mov_b32 s42, exec_lo
	v_cmpx_lt_u32_e64 v100, v131
	s_cbranch_execnz .LBB1331_267
.LBB1331_201:                           ;   in Loop: Header=BB1331_96 Depth=2
	s_wait_alu 0xfffe
	s_or_b32 exec_lo, exec_lo, s42
	s_delay_alu instid0(SALU_CYCLE_1)
	s_mov_b32 s42, exec_lo
	v_cmpx_lt_u32_e64 v101, v131
	s_cbranch_execnz .LBB1331_268
.LBB1331_202:                           ;   in Loop: Header=BB1331_96 Depth=2
	s_wait_alu 0xfffe
	s_or_b32 exec_lo, exec_lo, s42
	s_delay_alu instid0(SALU_CYCLE_1)
	s_mov_b32 s42, exec_lo
	v_cmpx_lt_u32_e64 v102, v131
	s_cbranch_execnz .LBB1331_269
.LBB1331_203:                           ;   in Loop: Header=BB1331_96 Depth=2
	s_wait_alu 0xfffe
	s_or_b32 exec_lo, exec_lo, s42
	s_delay_alu instid0(SALU_CYCLE_1)
	s_mov_b32 s42, exec_lo
	v_cmpx_lt_u32_e64 v103, v131
	s_cbranch_execnz .LBB1331_270
.LBB1331_204:                           ;   in Loop: Header=BB1331_96 Depth=2
	s_wait_alu 0xfffe
	s_or_b32 exec_lo, exec_lo, s42
	s_delay_alu instid0(SALU_CYCLE_1)
	s_mov_b32 s42, exec_lo
	v_cmpx_lt_u32_e64 v104, v131
	s_cbranch_execnz .LBB1331_271
.LBB1331_205:                           ;   in Loop: Header=BB1331_96 Depth=2
	s_wait_alu 0xfffe
	s_or_b32 exec_lo, exec_lo, s42
	s_delay_alu instid0(SALU_CYCLE_1)
	s_mov_b32 s42, exec_lo
	v_cmpx_lt_u32_e64 v105, v131
	s_cbranch_execnz .LBB1331_272
.LBB1331_206:                           ;   in Loop: Header=BB1331_96 Depth=2
	s_wait_alu 0xfffe
	s_or_b32 exec_lo, exec_lo, s42
	s_delay_alu instid0(SALU_CYCLE_1)
	s_mov_b32 s42, exec_lo
	v_cmpx_lt_u32_e64 v106, v131
	s_cbranch_execnz .LBB1331_273
.LBB1331_207:                           ;   in Loop: Header=BB1331_96 Depth=2
	s_wait_alu 0xfffe
	s_or_b32 exec_lo, exec_lo, s42
	s_and_saveexec_b32 s42, vcc_lo
	s_cbranch_execnz .LBB1331_274
.LBB1331_208:                           ;   in Loop: Header=BB1331_96 Depth=2
	s_wait_alu 0xfffe
	s_or_b32 exec_lo, exec_lo, s42
	s_and_saveexec_b32 s42, s15
	s_cbranch_execnz .LBB1331_275
.LBB1331_209:                           ;   in Loop: Header=BB1331_96 Depth=2
	s_wait_alu 0xfffe
	s_or_b32 exec_lo, exec_lo, s42
	s_and_saveexec_b32 s42, s16
	s_cbranch_execnz .LBB1331_276
.LBB1331_210:                           ;   in Loop: Header=BB1331_96 Depth=2
	s_wait_alu 0xfffe
	s_or_b32 exec_lo, exec_lo, s42
	s_and_saveexec_b32 s42, s17
	s_cbranch_execnz .LBB1331_277
.LBB1331_211:                           ;   in Loop: Header=BB1331_96 Depth=2
	s_wait_alu 0xfffe
	s_or_b32 exec_lo, exec_lo, s42
	s_and_saveexec_b32 s42, s18
	s_cbranch_execnz .LBB1331_278
.LBB1331_212:                           ;   in Loop: Header=BB1331_96 Depth=2
	s_wait_alu 0xfffe
	s_or_b32 exec_lo, exec_lo, s42
	s_and_saveexec_b32 s42, s19
	s_cbranch_execnz .LBB1331_279
.LBB1331_213:                           ;   in Loop: Header=BB1331_96 Depth=2
	s_wait_alu 0xfffe
	s_or_b32 exec_lo, exec_lo, s42
	s_and_saveexec_b32 s42, s20
	s_cbranch_execnz .LBB1331_280
.LBB1331_214:                           ;   in Loop: Header=BB1331_96 Depth=2
	s_wait_alu 0xfffe
	s_or_b32 exec_lo, exec_lo, s42
	s_and_saveexec_b32 s42, s21
	s_cbranch_execnz .LBB1331_281
.LBB1331_215:                           ;   in Loop: Header=BB1331_96 Depth=2
	s_wait_alu 0xfffe
	s_or_b32 exec_lo, exec_lo, s42
	s_and_saveexec_b32 s42, s22
	s_cbranch_execnz .LBB1331_282
.LBB1331_216:                           ;   in Loop: Header=BB1331_96 Depth=2
	s_wait_alu 0xfffe
	s_or_b32 exec_lo, exec_lo, s42
	s_and_saveexec_b32 s42, s23
	s_cbranch_execnz .LBB1331_283
.LBB1331_217:                           ;   in Loop: Header=BB1331_96 Depth=2
	s_wait_alu 0xfffe
	s_or_b32 exec_lo, exec_lo, s42
	s_and_saveexec_b32 s42, s24
	s_cbranch_execnz .LBB1331_284
.LBB1331_218:                           ;   in Loop: Header=BB1331_96 Depth=2
	s_wait_alu 0xfffe
	s_or_b32 exec_lo, exec_lo, s42
	s_and_saveexec_b32 s42, s25
	s_cbranch_execnz .LBB1331_285
.LBB1331_219:                           ;   in Loop: Header=BB1331_96 Depth=2
	s_wait_alu 0xfffe
	s_or_b32 exec_lo, exec_lo, s42
	s_and_saveexec_b32 s42, s26
	s_cbranch_execnz .LBB1331_286
.LBB1331_220:                           ;   in Loop: Header=BB1331_96 Depth=2
	s_wait_alu 0xfffe
	s_or_b32 exec_lo, exec_lo, s42
	s_and_saveexec_b32 s42, s27
	s_cbranch_execnz .LBB1331_287
.LBB1331_221:                           ;   in Loop: Header=BB1331_96 Depth=2
	s_wait_alu 0xfffe
	s_or_b32 exec_lo, exec_lo, s42
	s_and_saveexec_b32 s42, s28
	s_cbranch_execnz .LBB1331_288
.LBB1331_222:                           ;   in Loop: Header=BB1331_96 Depth=2
	s_wait_alu 0xfffe
	s_or_b32 exec_lo, exec_lo, s42
	s_and_saveexec_b32 s42, s29
	s_cbranch_execz .LBB1331_224
.LBB1331_223:                           ;   in Loop: Header=BB1331_96 Depth=2
	ds_load_b32 v2, v70 offset:16384
	s_wait_dscnt 0x0
	v_cmp_ne_u32_e64 s30, 0x80000000, v2
	s_wait_alu 0xf1ff
	s_delay_alu instid0(VALU_DEP_1) | instskip(NEXT) | instid1(VALU_DEP_1)
	v_cndmask_b32_e64 v2, 0x7fffffff, v2, s30
	v_lshrrev_b32_e32 v2, s31, v2
	s_delay_alu instid0(VALU_DEP_1)
	v_and_b32_e32 v115, s48, v2
.LBB1331_224:                           ;   in Loop: Header=BB1331_96 Depth=2
	s_wait_alu 0xfffe
	s_or_b32 exec_lo, exec_lo, s42
	v_lshlrev_b32_e32 v2, 3, v150
	s_wait_loadcnt 0x0
	s_wait_storecnt 0x0
	s_barrier_signal -1
	s_barrier_wait -1
	global_inv scope:SCOPE_SE
	ds_store_b64 v2, v[34:35] offset:1024
	v_lshlrev_b32_e32 v2, 3, v146
	v_lshlrev_b32_e32 v36, 3, v142
	v_lshlrev_b32_e32 v37, 3, v141
	v_lshlrev_b32_e32 v131, 3, v140
	v_lshlrev_b32_e32 v132, 3, v138
	ds_store_b64 v2, v[32:33] offset:1024
	ds_store_b64 v36, v[30:31] offset:1024
	ds_store_b64 v37, v[28:29] offset:1024
	ds_store_b64 v131, v[26:27] offset:1024
	ds_store_b64 v132, v[24:25] offset:1024
	v_lshlrev_b32_e32 v2, 3, v137
	v_lshlrev_b32_e32 v36, 3, v136
	v_lshlrev_b32_e32 v37, 3, v135
	v_lshlrev_b32_e32 v131, 3, v134
	v_lshlrev_b32_e32 v132, 3, v133
	ds_store_b64 v2, v[22:23] offset:1024
	ds_store_b64 v36, v[20:21] offset:1024
	ds_store_b64 v37, v[18:19] offset:1024
	ds_store_b64 v131, v[16:17] offset:1024
	;; [unrolled: 10-line block ×3, first 2 shown]
	ds_store_b64 v40, v[4:5] offset:1024
	s_wait_loadcnt_dscnt 0x0
	s_barrier_signal -1
	s_barrier_wait -1
	global_inv scope:SCOPE_SE
	s_and_saveexec_b32 s30, vcc_lo
	s_cbranch_execnz .LBB1331_289
; %bb.225:                              ;   in Loop: Header=BB1331_96 Depth=2
	s_wait_alu 0xfffe
	s_or_b32 exec_lo, exec_lo, s30
	s_and_saveexec_b32 s30, s15
	s_cbranch_execnz .LBB1331_290
.LBB1331_226:                           ;   in Loop: Header=BB1331_96 Depth=2
	s_wait_alu 0xfffe
	s_or_b32 exec_lo, exec_lo, s30
	s_and_saveexec_b32 s15, s16
	s_cbranch_execnz .LBB1331_291
.LBB1331_227:                           ;   in Loop: Header=BB1331_96 Depth=2
	s_wait_alu 0xfffe
	s_or_b32 exec_lo, exec_lo, s15
	s_and_saveexec_b32 s15, s17
	s_cbranch_execnz .LBB1331_292
.LBB1331_228:                           ;   in Loop: Header=BB1331_96 Depth=2
	s_wait_alu 0xfffe
	s_or_b32 exec_lo, exec_lo, s15
	s_and_saveexec_b32 s15, s18
	s_cbranch_execnz .LBB1331_293
.LBB1331_229:                           ;   in Loop: Header=BB1331_96 Depth=2
	s_wait_alu 0xfffe
	s_or_b32 exec_lo, exec_lo, s15
	s_and_saveexec_b32 s15, s19
	s_cbranch_execnz .LBB1331_294
.LBB1331_230:                           ;   in Loop: Header=BB1331_96 Depth=2
	s_wait_alu 0xfffe
	s_or_b32 exec_lo, exec_lo, s15
	s_and_saveexec_b32 s15, s20
	s_cbranch_execnz .LBB1331_295
.LBB1331_231:                           ;   in Loop: Header=BB1331_96 Depth=2
	s_wait_alu 0xfffe
	s_or_b32 exec_lo, exec_lo, s15
	s_and_saveexec_b32 s15, s21
	s_cbranch_execnz .LBB1331_296
.LBB1331_232:                           ;   in Loop: Header=BB1331_96 Depth=2
	s_wait_alu 0xfffe
	s_or_b32 exec_lo, exec_lo, s15
	s_and_saveexec_b32 s15, s22
	s_cbranch_execnz .LBB1331_297
.LBB1331_233:                           ;   in Loop: Header=BB1331_96 Depth=2
	s_wait_alu 0xfffe
	s_or_b32 exec_lo, exec_lo, s15
	s_and_saveexec_b32 s15, s23
	s_cbranch_execnz .LBB1331_298
.LBB1331_234:                           ;   in Loop: Header=BB1331_96 Depth=2
	s_wait_alu 0xfffe
	s_or_b32 exec_lo, exec_lo, s15
	s_and_saveexec_b32 s15, s24
	s_cbranch_execnz .LBB1331_299
.LBB1331_235:                           ;   in Loop: Header=BB1331_96 Depth=2
	s_wait_alu 0xfffe
	s_or_b32 exec_lo, exec_lo, s15
	s_and_saveexec_b32 s15, s25
	s_cbranch_execnz .LBB1331_300
.LBB1331_236:                           ;   in Loop: Header=BB1331_96 Depth=2
	s_wait_alu 0xfffe
	s_or_b32 exec_lo, exec_lo, s15
	s_and_saveexec_b32 s15, s26
	s_cbranch_execnz .LBB1331_301
.LBB1331_237:                           ;   in Loop: Header=BB1331_96 Depth=2
	s_wait_alu 0xfffe
	s_or_b32 exec_lo, exec_lo, s15
	s_and_saveexec_b32 s15, s27
	s_cbranch_execnz .LBB1331_302
.LBB1331_238:                           ;   in Loop: Header=BB1331_96 Depth=2
	s_wait_alu 0xfffe
	s_or_b32 exec_lo, exec_lo, s15
	s_and_saveexec_b32 s15, s28
	s_cbranch_execnz .LBB1331_303
.LBB1331_239:                           ;   in Loop: Header=BB1331_96 Depth=2
	s_wait_alu 0xfffe
	s_or_b32 exec_lo, exec_lo, s15
	s_and_saveexec_b32 s15, s29
	s_cbranch_execz .LBB1331_241
.LBB1331_240:                           ;   in Loop: Header=BB1331_96 Depth=2
	v_lshlrev_b32_e32 v2, 2, v115
	v_add_nc_u32_e32 v36, v70, v44
	ds_load_b32 v2, v2
	ds_load_b64 v[36:37], v36 offset:31744
	s_wait_dscnt 0x1
	v_add_nc_u32_e32 v2, v2, v61
	s_delay_alu instid0(VALU_DEP_1) | instskip(NEXT) | instid1(VALU_DEP_1)
	v_lshlrev_b64_e32 v[39:40], 3, v[2:3]
	v_add_co_u32 v39, vcc_lo, s44, v39
	s_wait_alu 0xfffd
	s_delay_alu instid0(VALU_DEP_2)
	v_add_co_ci_u32_e64 v40, null, s45, v40, vcc_lo
	s_wait_dscnt 0x0
	global_store_b64 v[39:40], v[36:37], off
.LBB1331_241:                           ;   in Loop: Header=BB1331_96 Depth=2
	s_wait_alu 0xfffe
	s_or_b32 exec_lo, exec_lo, s15
	s_wait_loadcnt 0x0
	s_wait_storecnt 0x0
	s_barrier_signal -1
	s_barrier_wait -1
	global_inv scope:SCOPE_SE
	s_and_saveexec_b32 s15, s2
	s_cbranch_execz .LBB1331_95
; %bb.242:                              ;   in Loop: Header=BB1331_96 Depth=2
	ds_load_b32 v2, v44
	s_wait_dscnt 0x0
	v_add_nc_u32_e32 v2, v2, v38
	ds_store_b32 v44, v2
	s_branch .LBB1331_95
.LBB1331_243:                           ;   in Loop: Header=BB1331_96 Depth=2
	ds_load_b32 v132, v70 offset:1024
	s_wait_dscnt 0x0
	v_cmp_ne_u32_e64 s15, 0x80000000, v132
	s_wait_alu 0xf1ff
	s_delay_alu instid0(VALU_DEP_1) | instskip(SKIP_1) | instid1(VALU_DEP_2)
	v_cndmask_b32_e64 v2, 0x7fffffff, v132, s15
	v_cmp_gt_i32_e64 s15, 0, v132
	v_lshrrev_b32_e32 v2, s31, v2
	s_wait_alu 0xf1ff
	s_delay_alu instid0(VALU_DEP_2) | instskip(NEXT) | instid1(VALU_DEP_2)
	v_cndmask_b32_e64 v139, 0x7fffffff, 0, s15
	v_and_b32_e32 v2, s48, v2
	s_delay_alu instid0(VALU_DEP_1) | instskip(SKIP_3) | instid1(VALU_DEP_1)
	v_lshlrev_b32_e32 v2, 2, v2
	ds_load_b32 v2, v2
	s_wait_dscnt 0x0
	v_add_nc_u32_e32 v2, v2, v1
	v_lshlrev_b64_e32 v[36:37], 2, v[2:3]
	v_xor_b32_e32 v2, v139, v132
	s_delay_alu instid0(VALU_DEP_2) | instskip(SKIP_1) | instid1(VALU_DEP_3)
	v_add_co_u32 v36, s15, s38, v36
	s_wait_alu 0xf1ff
	v_add_co_ci_u32_e64 v37, null, s39, v37, s15
	global_store_b32 v[36:37], v2, off
	s_wait_alu 0xfffe
	s_or_b32 exec_lo, exec_lo, s16
	v_cmp_lt_u32_e64 s15, v45, v131
	s_and_saveexec_b32 s17, s15
	s_cbranch_execz .LBB1331_176
.LBB1331_244:                           ;   in Loop: Header=BB1331_96 Depth=2
	ds_load_b32 v132, v70 offset:2048
	s_wait_dscnt 0x0
	v_cmp_ne_u32_e64 s16, 0x80000000, v132
	s_wait_alu 0xf1ff
	s_delay_alu instid0(VALU_DEP_1) | instskip(SKIP_1) | instid1(VALU_DEP_2)
	v_cndmask_b32_e64 v2, 0x7fffffff, v132, s16
	v_cmp_gt_i32_e64 s16, 0, v132
	v_lshrrev_b32_e32 v2, s31, v2
	s_wait_alu 0xf1ff
	s_delay_alu instid0(VALU_DEP_2) | instskip(NEXT) | instid1(VALU_DEP_2)
	v_cndmask_b32_e64 v139, 0x7fffffff, 0, s16
	v_and_b32_e32 v2, s48, v2
	s_delay_alu instid0(VALU_DEP_1) | instskip(SKIP_3) | instid1(VALU_DEP_1)
	v_lshlrev_b32_e32 v2, 2, v2
	ds_load_b32 v2, v2
	s_wait_dscnt 0x0
	v_add_nc_u32_e32 v2, v2, v45
	v_lshlrev_b64_e32 v[36:37], 2, v[2:3]
	v_xor_b32_e32 v2, v139, v132
	s_delay_alu instid0(VALU_DEP_2) | instskip(SKIP_1) | instid1(VALU_DEP_3)
	v_add_co_u32 v36, s16, s38, v36
	s_wait_alu 0xf1ff
	v_add_co_ci_u32_e64 v37, null, s39, v37, s16
	global_store_b32 v[36:37], v2, off
	s_wait_alu 0xfffe
	s_or_b32 exec_lo, exec_lo, s17
	v_cmp_lt_u32_e64 s16, v46, v131
	s_and_saveexec_b32 s18, s16
	s_cbranch_execz .LBB1331_177
.LBB1331_245:                           ;   in Loop: Header=BB1331_96 Depth=2
	ds_load_b32 v132, v70 offset:3072
	s_wait_dscnt 0x0
	v_cmp_ne_u32_e64 s17, 0x80000000, v132
	s_wait_alu 0xf1ff
	s_delay_alu instid0(VALU_DEP_1) | instskip(SKIP_1) | instid1(VALU_DEP_2)
	v_cndmask_b32_e64 v2, 0x7fffffff, v132, s17
	v_cmp_gt_i32_e64 s17, 0, v132
	v_lshrrev_b32_e32 v2, s31, v2
	s_wait_alu 0xf1ff
	s_delay_alu instid0(VALU_DEP_2) | instskip(NEXT) | instid1(VALU_DEP_2)
	v_cndmask_b32_e64 v139, 0x7fffffff, 0, s17
	v_and_b32_e32 v2, s48, v2
	s_delay_alu instid0(VALU_DEP_1) | instskip(SKIP_3) | instid1(VALU_DEP_1)
	v_lshlrev_b32_e32 v2, 2, v2
	ds_load_b32 v2, v2
	s_wait_dscnt 0x0
	v_add_nc_u32_e32 v2, v2, v46
	v_lshlrev_b64_e32 v[36:37], 2, v[2:3]
	v_xor_b32_e32 v2, v139, v132
	s_delay_alu instid0(VALU_DEP_2) | instskip(SKIP_1) | instid1(VALU_DEP_3)
	v_add_co_u32 v36, s17, s38, v36
	s_wait_alu 0xf1ff
	v_add_co_ci_u32_e64 v37, null, s39, v37, s17
	global_store_b32 v[36:37], v2, off
	s_wait_alu 0xfffe
	s_or_b32 exec_lo, exec_lo, s18
	v_cmp_lt_u32_e64 s17, v47, v131
	s_and_saveexec_b32 s19, s17
	s_cbranch_execz .LBB1331_178
.LBB1331_246:                           ;   in Loop: Header=BB1331_96 Depth=2
	ds_load_b32 v132, v70 offset:4096
	s_wait_dscnt 0x0
	v_cmp_ne_u32_e64 s18, 0x80000000, v132
	s_wait_alu 0xf1ff
	s_delay_alu instid0(VALU_DEP_1) | instskip(SKIP_1) | instid1(VALU_DEP_2)
	v_cndmask_b32_e64 v2, 0x7fffffff, v132, s18
	v_cmp_gt_i32_e64 s18, 0, v132
	v_lshrrev_b32_e32 v2, s31, v2
	s_wait_alu 0xf1ff
	s_delay_alu instid0(VALU_DEP_2) | instskip(NEXT) | instid1(VALU_DEP_2)
	v_cndmask_b32_e64 v139, 0x7fffffff, 0, s18
	v_and_b32_e32 v2, s48, v2
	s_delay_alu instid0(VALU_DEP_1) | instskip(SKIP_3) | instid1(VALU_DEP_1)
	v_lshlrev_b32_e32 v2, 2, v2
	ds_load_b32 v2, v2
	s_wait_dscnt 0x0
	v_add_nc_u32_e32 v2, v2, v47
	v_lshlrev_b64_e32 v[36:37], 2, v[2:3]
	v_xor_b32_e32 v2, v139, v132
	s_delay_alu instid0(VALU_DEP_2) | instskip(SKIP_1) | instid1(VALU_DEP_3)
	v_add_co_u32 v36, s18, s38, v36
	s_wait_alu 0xf1ff
	v_add_co_ci_u32_e64 v37, null, s39, v37, s18
	global_store_b32 v[36:37], v2, off
	s_wait_alu 0xfffe
	s_or_b32 exec_lo, exec_lo, s19
	v_cmp_lt_u32_e64 s18, v50, v131
	s_and_saveexec_b32 s20, s18
	s_cbranch_execz .LBB1331_179
.LBB1331_247:                           ;   in Loop: Header=BB1331_96 Depth=2
	ds_load_b32 v132, v70 offset:5120
	s_wait_dscnt 0x0
	v_cmp_ne_u32_e64 s19, 0x80000000, v132
	s_wait_alu 0xf1ff
	s_delay_alu instid0(VALU_DEP_1) | instskip(SKIP_1) | instid1(VALU_DEP_2)
	v_cndmask_b32_e64 v2, 0x7fffffff, v132, s19
	v_cmp_gt_i32_e64 s19, 0, v132
	v_lshrrev_b32_e32 v2, s31, v2
	s_wait_alu 0xf1ff
	s_delay_alu instid0(VALU_DEP_2) | instskip(NEXT) | instid1(VALU_DEP_2)
	v_cndmask_b32_e64 v139, 0x7fffffff, 0, s19
	v_and_b32_e32 v2, s48, v2
	s_delay_alu instid0(VALU_DEP_1) | instskip(SKIP_3) | instid1(VALU_DEP_1)
	v_lshlrev_b32_e32 v2, 2, v2
	ds_load_b32 v2, v2
	s_wait_dscnt 0x0
	v_add_nc_u32_e32 v2, v2, v50
	v_lshlrev_b64_e32 v[36:37], 2, v[2:3]
	v_xor_b32_e32 v2, v139, v132
	s_delay_alu instid0(VALU_DEP_2) | instskip(SKIP_1) | instid1(VALU_DEP_3)
	v_add_co_u32 v36, s19, s38, v36
	s_wait_alu 0xf1ff
	v_add_co_ci_u32_e64 v37, null, s39, v37, s19
	global_store_b32 v[36:37], v2, off
	s_wait_alu 0xfffe
	s_or_b32 exec_lo, exec_lo, s20
	v_cmp_lt_u32_e64 s19, v51, v131
	s_and_saveexec_b32 s21, s19
	s_cbranch_execz .LBB1331_180
.LBB1331_248:                           ;   in Loop: Header=BB1331_96 Depth=2
	ds_load_b32 v132, v70 offset:6144
	s_wait_dscnt 0x0
	v_cmp_ne_u32_e64 s20, 0x80000000, v132
	s_wait_alu 0xf1ff
	s_delay_alu instid0(VALU_DEP_1) | instskip(SKIP_1) | instid1(VALU_DEP_2)
	v_cndmask_b32_e64 v2, 0x7fffffff, v132, s20
	v_cmp_gt_i32_e64 s20, 0, v132
	v_lshrrev_b32_e32 v2, s31, v2
	s_wait_alu 0xf1ff
	s_delay_alu instid0(VALU_DEP_2) | instskip(NEXT) | instid1(VALU_DEP_2)
	v_cndmask_b32_e64 v139, 0x7fffffff, 0, s20
	v_and_b32_e32 v2, s48, v2
	s_delay_alu instid0(VALU_DEP_1) | instskip(SKIP_3) | instid1(VALU_DEP_1)
	v_lshlrev_b32_e32 v2, 2, v2
	ds_load_b32 v2, v2
	s_wait_dscnt 0x0
	v_add_nc_u32_e32 v2, v2, v51
	v_lshlrev_b64_e32 v[36:37], 2, v[2:3]
	v_xor_b32_e32 v2, v139, v132
	s_delay_alu instid0(VALU_DEP_2) | instskip(SKIP_1) | instid1(VALU_DEP_3)
	v_add_co_u32 v36, s20, s38, v36
	s_wait_alu 0xf1ff
	v_add_co_ci_u32_e64 v37, null, s39, v37, s20
	global_store_b32 v[36:37], v2, off
	s_wait_alu 0xfffe
	s_or_b32 exec_lo, exec_lo, s21
	v_cmp_lt_u32_e64 s20, v52, v131
	s_and_saveexec_b32 s22, s20
	s_cbranch_execz .LBB1331_181
.LBB1331_249:                           ;   in Loop: Header=BB1331_96 Depth=2
	ds_load_b32 v132, v70 offset:7168
	s_wait_dscnt 0x0
	v_cmp_ne_u32_e64 s21, 0x80000000, v132
	s_wait_alu 0xf1ff
	s_delay_alu instid0(VALU_DEP_1) | instskip(SKIP_1) | instid1(VALU_DEP_2)
	v_cndmask_b32_e64 v2, 0x7fffffff, v132, s21
	v_cmp_gt_i32_e64 s21, 0, v132
	v_lshrrev_b32_e32 v2, s31, v2
	s_wait_alu 0xf1ff
	s_delay_alu instid0(VALU_DEP_2) | instskip(NEXT) | instid1(VALU_DEP_2)
	v_cndmask_b32_e64 v139, 0x7fffffff, 0, s21
	v_and_b32_e32 v2, s48, v2
	s_delay_alu instid0(VALU_DEP_1) | instskip(SKIP_3) | instid1(VALU_DEP_1)
	v_lshlrev_b32_e32 v2, 2, v2
	ds_load_b32 v2, v2
	s_wait_dscnt 0x0
	v_add_nc_u32_e32 v2, v2, v52
	v_lshlrev_b64_e32 v[36:37], 2, v[2:3]
	v_xor_b32_e32 v2, v139, v132
	s_delay_alu instid0(VALU_DEP_2) | instskip(SKIP_1) | instid1(VALU_DEP_3)
	v_add_co_u32 v36, s21, s38, v36
	s_wait_alu 0xf1ff
	v_add_co_ci_u32_e64 v37, null, s39, v37, s21
	global_store_b32 v[36:37], v2, off
	s_wait_alu 0xfffe
	s_or_b32 exec_lo, exec_lo, s22
	v_cmp_lt_u32_e64 s21, v53, v131
	s_and_saveexec_b32 s23, s21
	s_cbranch_execz .LBB1331_182
.LBB1331_250:                           ;   in Loop: Header=BB1331_96 Depth=2
	ds_load_b32 v132, v70 offset:8192
	s_wait_dscnt 0x0
	v_cmp_ne_u32_e64 s22, 0x80000000, v132
	s_wait_alu 0xf1ff
	s_delay_alu instid0(VALU_DEP_1) | instskip(SKIP_1) | instid1(VALU_DEP_2)
	v_cndmask_b32_e64 v2, 0x7fffffff, v132, s22
	v_cmp_gt_i32_e64 s22, 0, v132
	v_lshrrev_b32_e32 v2, s31, v2
	s_wait_alu 0xf1ff
	s_delay_alu instid0(VALU_DEP_2) | instskip(NEXT) | instid1(VALU_DEP_2)
	v_cndmask_b32_e64 v139, 0x7fffffff, 0, s22
	v_and_b32_e32 v2, s48, v2
	s_delay_alu instid0(VALU_DEP_1) | instskip(SKIP_3) | instid1(VALU_DEP_1)
	v_lshlrev_b32_e32 v2, 2, v2
	ds_load_b32 v2, v2
	s_wait_dscnt 0x0
	v_add_nc_u32_e32 v2, v2, v53
	v_lshlrev_b64_e32 v[36:37], 2, v[2:3]
	v_xor_b32_e32 v2, v139, v132
	s_delay_alu instid0(VALU_DEP_2) | instskip(SKIP_1) | instid1(VALU_DEP_3)
	v_add_co_u32 v36, s22, s38, v36
	s_wait_alu 0xf1ff
	v_add_co_ci_u32_e64 v37, null, s39, v37, s22
	global_store_b32 v[36:37], v2, off
	s_wait_alu 0xfffe
	s_or_b32 exec_lo, exec_lo, s23
	v_cmp_lt_u32_e64 s22, v54, v131
	s_and_saveexec_b32 s24, s22
	s_cbranch_execz .LBB1331_183
.LBB1331_251:                           ;   in Loop: Header=BB1331_96 Depth=2
	ds_load_b32 v132, v70 offset:9216
	s_wait_dscnt 0x0
	v_cmp_ne_u32_e64 s23, 0x80000000, v132
	s_wait_alu 0xf1ff
	s_delay_alu instid0(VALU_DEP_1) | instskip(SKIP_1) | instid1(VALU_DEP_2)
	v_cndmask_b32_e64 v2, 0x7fffffff, v132, s23
	v_cmp_gt_i32_e64 s23, 0, v132
	v_lshrrev_b32_e32 v2, s31, v2
	s_wait_alu 0xf1ff
	s_delay_alu instid0(VALU_DEP_2) | instskip(NEXT) | instid1(VALU_DEP_2)
	v_cndmask_b32_e64 v139, 0x7fffffff, 0, s23
	v_and_b32_e32 v2, s48, v2
	s_delay_alu instid0(VALU_DEP_1) | instskip(SKIP_3) | instid1(VALU_DEP_1)
	v_lshlrev_b32_e32 v2, 2, v2
	ds_load_b32 v2, v2
	s_wait_dscnt 0x0
	v_add_nc_u32_e32 v2, v2, v54
	v_lshlrev_b64_e32 v[36:37], 2, v[2:3]
	v_xor_b32_e32 v2, v139, v132
	s_delay_alu instid0(VALU_DEP_2) | instskip(SKIP_1) | instid1(VALU_DEP_3)
	v_add_co_u32 v36, s23, s38, v36
	s_wait_alu 0xf1ff
	v_add_co_ci_u32_e64 v37, null, s39, v37, s23
	global_store_b32 v[36:37], v2, off
	s_wait_alu 0xfffe
	s_or_b32 exec_lo, exec_lo, s24
	v_cmp_lt_u32_e64 s23, v55, v131
	s_and_saveexec_b32 s25, s23
	s_cbranch_execz .LBB1331_184
.LBB1331_252:                           ;   in Loop: Header=BB1331_96 Depth=2
	ds_load_b32 v132, v70 offset:10240
	s_wait_dscnt 0x0
	v_cmp_ne_u32_e64 s24, 0x80000000, v132
	s_wait_alu 0xf1ff
	s_delay_alu instid0(VALU_DEP_1) | instskip(SKIP_1) | instid1(VALU_DEP_2)
	v_cndmask_b32_e64 v2, 0x7fffffff, v132, s24
	v_cmp_gt_i32_e64 s24, 0, v132
	v_lshrrev_b32_e32 v2, s31, v2
	s_wait_alu 0xf1ff
	s_delay_alu instid0(VALU_DEP_2) | instskip(NEXT) | instid1(VALU_DEP_2)
	v_cndmask_b32_e64 v139, 0x7fffffff, 0, s24
	v_and_b32_e32 v2, s48, v2
	s_delay_alu instid0(VALU_DEP_1) | instskip(SKIP_3) | instid1(VALU_DEP_1)
	v_lshlrev_b32_e32 v2, 2, v2
	ds_load_b32 v2, v2
	s_wait_dscnt 0x0
	v_add_nc_u32_e32 v2, v2, v55
	v_lshlrev_b64_e32 v[36:37], 2, v[2:3]
	v_xor_b32_e32 v2, v139, v132
	s_delay_alu instid0(VALU_DEP_2) | instskip(SKIP_1) | instid1(VALU_DEP_3)
	v_add_co_u32 v36, s24, s38, v36
	s_wait_alu 0xf1ff
	v_add_co_ci_u32_e64 v37, null, s39, v37, s24
	global_store_b32 v[36:37], v2, off
	s_wait_alu 0xfffe
	s_or_b32 exec_lo, exec_lo, s25
	v_cmp_lt_u32_e64 s24, v56, v131
	s_and_saveexec_b32 s26, s24
	s_cbranch_execz .LBB1331_185
.LBB1331_253:                           ;   in Loop: Header=BB1331_96 Depth=2
	ds_load_b32 v132, v70 offset:11264
	s_wait_dscnt 0x0
	v_cmp_ne_u32_e64 s25, 0x80000000, v132
	s_wait_alu 0xf1ff
	s_delay_alu instid0(VALU_DEP_1) | instskip(SKIP_1) | instid1(VALU_DEP_2)
	v_cndmask_b32_e64 v2, 0x7fffffff, v132, s25
	v_cmp_gt_i32_e64 s25, 0, v132
	v_lshrrev_b32_e32 v2, s31, v2
	s_wait_alu 0xf1ff
	s_delay_alu instid0(VALU_DEP_2) | instskip(NEXT) | instid1(VALU_DEP_2)
	v_cndmask_b32_e64 v139, 0x7fffffff, 0, s25
	v_and_b32_e32 v2, s48, v2
	s_delay_alu instid0(VALU_DEP_1) | instskip(SKIP_3) | instid1(VALU_DEP_1)
	v_lshlrev_b32_e32 v2, 2, v2
	ds_load_b32 v2, v2
	s_wait_dscnt 0x0
	v_add_nc_u32_e32 v2, v2, v56
	v_lshlrev_b64_e32 v[36:37], 2, v[2:3]
	v_xor_b32_e32 v2, v139, v132
	s_delay_alu instid0(VALU_DEP_2) | instskip(SKIP_1) | instid1(VALU_DEP_3)
	v_add_co_u32 v36, s25, s38, v36
	s_wait_alu 0xf1ff
	v_add_co_ci_u32_e64 v37, null, s39, v37, s25
	global_store_b32 v[36:37], v2, off
	s_wait_alu 0xfffe
	s_or_b32 exec_lo, exec_lo, s26
	v_cmp_lt_u32_e64 s25, v57, v131
	s_and_saveexec_b32 s27, s25
	s_cbranch_execz .LBB1331_186
.LBB1331_254:                           ;   in Loop: Header=BB1331_96 Depth=2
	ds_load_b32 v132, v70 offset:12288
	s_wait_dscnt 0x0
	v_cmp_ne_u32_e64 s26, 0x80000000, v132
	s_wait_alu 0xf1ff
	s_delay_alu instid0(VALU_DEP_1) | instskip(SKIP_1) | instid1(VALU_DEP_2)
	v_cndmask_b32_e64 v2, 0x7fffffff, v132, s26
	v_cmp_gt_i32_e64 s26, 0, v132
	v_lshrrev_b32_e32 v2, s31, v2
	s_wait_alu 0xf1ff
	s_delay_alu instid0(VALU_DEP_2) | instskip(NEXT) | instid1(VALU_DEP_2)
	v_cndmask_b32_e64 v139, 0x7fffffff, 0, s26
	v_and_b32_e32 v2, s48, v2
	s_delay_alu instid0(VALU_DEP_1) | instskip(SKIP_3) | instid1(VALU_DEP_1)
	v_lshlrev_b32_e32 v2, 2, v2
	ds_load_b32 v2, v2
	s_wait_dscnt 0x0
	v_add_nc_u32_e32 v2, v2, v57
	v_lshlrev_b64_e32 v[36:37], 2, v[2:3]
	v_xor_b32_e32 v2, v139, v132
	s_delay_alu instid0(VALU_DEP_2) | instskip(SKIP_1) | instid1(VALU_DEP_3)
	v_add_co_u32 v36, s26, s38, v36
	s_wait_alu 0xf1ff
	v_add_co_ci_u32_e64 v37, null, s39, v37, s26
	global_store_b32 v[36:37], v2, off
	s_wait_alu 0xfffe
	s_or_b32 exec_lo, exec_lo, s27
	v_cmp_lt_u32_e64 s26, v58, v131
	s_and_saveexec_b32 s28, s26
	s_cbranch_execz .LBB1331_187
.LBB1331_255:                           ;   in Loop: Header=BB1331_96 Depth=2
	ds_load_b32 v132, v70 offset:13312
	s_wait_dscnt 0x0
	v_cmp_ne_u32_e64 s27, 0x80000000, v132
	s_wait_alu 0xf1ff
	s_delay_alu instid0(VALU_DEP_1) | instskip(SKIP_1) | instid1(VALU_DEP_2)
	v_cndmask_b32_e64 v2, 0x7fffffff, v132, s27
	v_cmp_gt_i32_e64 s27, 0, v132
	v_lshrrev_b32_e32 v2, s31, v2
	s_wait_alu 0xf1ff
	s_delay_alu instid0(VALU_DEP_2) | instskip(NEXT) | instid1(VALU_DEP_2)
	v_cndmask_b32_e64 v139, 0x7fffffff, 0, s27
	v_and_b32_e32 v2, s48, v2
	s_delay_alu instid0(VALU_DEP_1) | instskip(SKIP_3) | instid1(VALU_DEP_1)
	v_lshlrev_b32_e32 v2, 2, v2
	ds_load_b32 v2, v2
	s_wait_dscnt 0x0
	v_add_nc_u32_e32 v2, v2, v58
	v_lshlrev_b64_e32 v[36:37], 2, v[2:3]
	v_xor_b32_e32 v2, v139, v132
	s_delay_alu instid0(VALU_DEP_2) | instskip(SKIP_1) | instid1(VALU_DEP_3)
	v_add_co_u32 v36, s27, s38, v36
	s_wait_alu 0xf1ff
	v_add_co_ci_u32_e64 v37, null, s39, v37, s27
	global_store_b32 v[36:37], v2, off
	s_wait_alu 0xfffe
	s_or_b32 exec_lo, exec_lo, s28
	v_cmp_lt_u32_e64 s27, v59, v131
	s_and_saveexec_b32 s29, s27
	s_cbranch_execz .LBB1331_188
.LBB1331_256:                           ;   in Loop: Header=BB1331_96 Depth=2
	ds_load_b32 v132, v70 offset:14336
	s_wait_dscnt 0x0
	v_cmp_ne_u32_e64 s28, 0x80000000, v132
	s_wait_alu 0xf1ff
	s_delay_alu instid0(VALU_DEP_1) | instskip(SKIP_1) | instid1(VALU_DEP_2)
	v_cndmask_b32_e64 v2, 0x7fffffff, v132, s28
	v_cmp_gt_i32_e64 s28, 0, v132
	v_lshrrev_b32_e32 v2, s31, v2
	s_wait_alu 0xf1ff
	s_delay_alu instid0(VALU_DEP_2) | instskip(NEXT) | instid1(VALU_DEP_2)
	v_cndmask_b32_e64 v139, 0x7fffffff, 0, s28
	v_and_b32_e32 v2, s48, v2
	s_delay_alu instid0(VALU_DEP_1) | instskip(SKIP_3) | instid1(VALU_DEP_1)
	v_lshlrev_b32_e32 v2, 2, v2
	ds_load_b32 v2, v2
	s_wait_dscnt 0x0
	v_add_nc_u32_e32 v2, v2, v59
	v_lshlrev_b64_e32 v[36:37], 2, v[2:3]
	v_xor_b32_e32 v2, v139, v132
	s_delay_alu instid0(VALU_DEP_2) | instskip(SKIP_1) | instid1(VALU_DEP_3)
	v_add_co_u32 v36, s28, s38, v36
	s_wait_alu 0xf1ff
	v_add_co_ci_u32_e64 v37, null, s39, v37, s28
	global_store_b32 v[36:37], v2, off
	s_wait_alu 0xfffe
	s_or_b32 exec_lo, exec_lo, s29
	v_cmp_lt_u32_e64 s28, v60, v131
	s_and_saveexec_b32 s30, s28
	s_cbranch_execz .LBB1331_189
.LBB1331_257:                           ;   in Loop: Header=BB1331_96 Depth=2
	ds_load_b32 v132, v70 offset:15360
	s_wait_dscnt 0x0
	v_cmp_ne_u32_e64 s29, 0x80000000, v132
	s_wait_alu 0xf1ff
	s_delay_alu instid0(VALU_DEP_1) | instskip(SKIP_1) | instid1(VALU_DEP_2)
	v_cndmask_b32_e64 v2, 0x7fffffff, v132, s29
	v_cmp_gt_i32_e64 s29, 0, v132
	v_lshrrev_b32_e32 v2, s31, v2
	s_wait_alu 0xf1ff
	s_delay_alu instid0(VALU_DEP_2) | instskip(NEXT) | instid1(VALU_DEP_2)
	v_cndmask_b32_e64 v139, 0x7fffffff, 0, s29
	v_and_b32_e32 v2, s48, v2
	s_delay_alu instid0(VALU_DEP_1) | instskip(SKIP_3) | instid1(VALU_DEP_1)
	v_lshlrev_b32_e32 v2, 2, v2
	ds_load_b32 v2, v2
	s_wait_dscnt 0x0
	v_add_nc_u32_e32 v2, v2, v60
	v_lshlrev_b64_e32 v[36:37], 2, v[2:3]
	v_xor_b32_e32 v2, v139, v132
	s_delay_alu instid0(VALU_DEP_2) | instskip(SKIP_1) | instid1(VALU_DEP_3)
	v_add_co_u32 v36, s29, s38, v36
	s_wait_alu 0xf1ff
	v_add_co_ci_u32_e64 v37, null, s39, v37, s29
	global_store_b32 v[36:37], v2, off
	s_wait_alu 0xfffe
	s_or_b32 exec_lo, exec_lo, s30
	v_cmp_lt_u32_e64 s29, v61, v131
	s_and_saveexec_b32 s56, s29
	s_cbranch_execnz .LBB1331_190
	s_branch .LBB1331_191
.LBB1331_258:                           ;   in Loop: Header=BB1331_96 Depth=2
	global_load_b64 v[34:35], v[36:37], off
	s_wait_alu 0xfffe
	s_or_b32 exec_lo, exec_lo, s30
	s_delay_alu instid0(SALU_CYCLE_1)
	s_mov_b32 s42, exec_lo
	v_cmpx_lt_u32_e64 v92, v131
	s_cbranch_execz .LBB1331_193
.LBB1331_259:                           ;   in Loop: Header=BB1331_96 Depth=2
	global_load_b64 v[32:33], v[36:37], off offset:256
	s_wait_alu 0xfffe
	s_or_b32 exec_lo, exec_lo, s42
	s_delay_alu instid0(SALU_CYCLE_1)
	s_mov_b32 s42, exec_lo
	v_cmpx_lt_u32_e64 v93, v131
	s_cbranch_execz .LBB1331_194
.LBB1331_260:                           ;   in Loop: Header=BB1331_96 Depth=2
	global_load_b64 v[30:31], v[36:37], off offset:512
	s_wait_alu 0xfffe
	s_or_b32 exec_lo, exec_lo, s42
	s_delay_alu instid0(SALU_CYCLE_1)
	s_mov_b32 s42, exec_lo
	v_cmpx_lt_u32_e64 v94, v131
	s_cbranch_execz .LBB1331_195
.LBB1331_261:                           ;   in Loop: Header=BB1331_96 Depth=2
	global_load_b64 v[28:29], v[36:37], off offset:768
	s_wait_alu 0xfffe
	s_or_b32 exec_lo, exec_lo, s42
	s_delay_alu instid0(SALU_CYCLE_1)
	s_mov_b32 s42, exec_lo
	v_cmpx_lt_u32_e64 v95, v131
	s_cbranch_execz .LBB1331_196
.LBB1331_262:                           ;   in Loop: Header=BB1331_96 Depth=2
	global_load_b64 v[26:27], v[36:37], off offset:1024
	s_wait_alu 0xfffe
	s_or_b32 exec_lo, exec_lo, s42
	s_delay_alu instid0(SALU_CYCLE_1)
	s_mov_b32 s42, exec_lo
	v_cmpx_lt_u32_e64 v96, v131
	s_cbranch_execz .LBB1331_197
.LBB1331_263:                           ;   in Loop: Header=BB1331_96 Depth=2
	global_load_b64 v[24:25], v[36:37], off offset:1280
	s_wait_alu 0xfffe
	s_or_b32 exec_lo, exec_lo, s42
	s_delay_alu instid0(SALU_CYCLE_1)
	s_mov_b32 s42, exec_lo
	v_cmpx_lt_u32_e64 v97, v131
	s_cbranch_execz .LBB1331_198
.LBB1331_264:                           ;   in Loop: Header=BB1331_96 Depth=2
	global_load_b64 v[22:23], v[36:37], off offset:1536
	s_wait_alu 0xfffe
	s_or_b32 exec_lo, exec_lo, s42
	s_delay_alu instid0(SALU_CYCLE_1)
	s_mov_b32 s42, exec_lo
	v_cmpx_lt_u32_e64 v98, v131
	s_cbranch_execz .LBB1331_199
.LBB1331_265:                           ;   in Loop: Header=BB1331_96 Depth=2
	global_load_b64 v[20:21], v[36:37], off offset:1792
	s_wait_alu 0xfffe
	s_or_b32 exec_lo, exec_lo, s42
	s_delay_alu instid0(SALU_CYCLE_1)
	s_mov_b32 s42, exec_lo
	v_cmpx_lt_u32_e64 v99, v131
	s_cbranch_execz .LBB1331_200
.LBB1331_266:                           ;   in Loop: Header=BB1331_96 Depth=2
	global_load_b64 v[18:19], v[36:37], off offset:2048
	s_wait_alu 0xfffe
	s_or_b32 exec_lo, exec_lo, s42
	s_delay_alu instid0(SALU_CYCLE_1)
	s_mov_b32 s42, exec_lo
	v_cmpx_lt_u32_e64 v100, v131
	s_cbranch_execz .LBB1331_201
.LBB1331_267:                           ;   in Loop: Header=BB1331_96 Depth=2
	global_load_b64 v[16:17], v[36:37], off offset:2304
	s_wait_alu 0xfffe
	s_or_b32 exec_lo, exec_lo, s42
	s_delay_alu instid0(SALU_CYCLE_1)
	s_mov_b32 s42, exec_lo
	v_cmpx_lt_u32_e64 v101, v131
	s_cbranch_execz .LBB1331_202
.LBB1331_268:                           ;   in Loop: Header=BB1331_96 Depth=2
	global_load_b64 v[14:15], v[36:37], off offset:2560
	s_wait_alu 0xfffe
	s_or_b32 exec_lo, exec_lo, s42
	s_delay_alu instid0(SALU_CYCLE_1)
	s_mov_b32 s42, exec_lo
	v_cmpx_lt_u32_e64 v102, v131
	s_cbranch_execz .LBB1331_203
.LBB1331_269:                           ;   in Loop: Header=BB1331_96 Depth=2
	global_load_b64 v[12:13], v[36:37], off offset:2816
	s_wait_alu 0xfffe
	s_or_b32 exec_lo, exec_lo, s42
	s_delay_alu instid0(SALU_CYCLE_1)
	s_mov_b32 s42, exec_lo
	v_cmpx_lt_u32_e64 v103, v131
	s_cbranch_execz .LBB1331_204
.LBB1331_270:                           ;   in Loop: Header=BB1331_96 Depth=2
	global_load_b64 v[10:11], v[36:37], off offset:3072
	s_wait_alu 0xfffe
	s_or_b32 exec_lo, exec_lo, s42
	s_delay_alu instid0(SALU_CYCLE_1)
	s_mov_b32 s42, exec_lo
	v_cmpx_lt_u32_e64 v104, v131
	s_cbranch_execz .LBB1331_205
.LBB1331_271:                           ;   in Loop: Header=BB1331_96 Depth=2
	global_load_b64 v[8:9], v[36:37], off offset:3328
	s_wait_alu 0xfffe
	s_or_b32 exec_lo, exec_lo, s42
	s_delay_alu instid0(SALU_CYCLE_1)
	s_mov_b32 s42, exec_lo
	v_cmpx_lt_u32_e64 v105, v131
	s_cbranch_execz .LBB1331_206
.LBB1331_272:                           ;   in Loop: Header=BB1331_96 Depth=2
	global_load_b64 v[6:7], v[36:37], off offset:3584
	s_wait_alu 0xfffe
	s_or_b32 exec_lo, exec_lo, s42
	s_delay_alu instid0(SALU_CYCLE_1)
	s_mov_b32 s42, exec_lo
	v_cmpx_lt_u32_e64 v106, v131
	s_cbranch_execz .LBB1331_207
.LBB1331_273:                           ;   in Loop: Header=BB1331_96 Depth=2
	global_load_b64 v[4:5], v[36:37], off offset:3840
	s_wait_alu 0xfffe
	s_or_b32 exec_lo, exec_lo, s42
	s_and_saveexec_b32 s42, vcc_lo
	s_cbranch_execz .LBB1331_208
.LBB1331_274:                           ;   in Loop: Header=BB1331_96 Depth=2
	ds_load_b32 v2, v70 offset:1024
	s_wait_dscnt 0x0
	v_cmp_ne_u32_e64 s30, 0x80000000, v2
	s_wait_alu 0xf1ff
	s_delay_alu instid0(VALU_DEP_1) | instskip(NEXT) | instid1(VALU_DEP_1)
	v_cndmask_b32_e64 v2, 0x7fffffff, v2, s30
	v_lshrrev_b32_e32 v2, s31, v2
	s_delay_alu instid0(VALU_DEP_1)
	v_and_b32_e32 v130, s48, v2
	s_wait_alu 0xfffe
	s_or_b32 exec_lo, exec_lo, s42
	s_and_saveexec_b32 s42, s15
	s_cbranch_execz .LBB1331_209
.LBB1331_275:                           ;   in Loop: Header=BB1331_96 Depth=2
	ds_load_b32 v2, v70 offset:2048
	s_wait_dscnt 0x0
	v_cmp_ne_u32_e64 s30, 0x80000000, v2
	s_wait_alu 0xf1ff
	s_delay_alu instid0(VALU_DEP_1) | instskip(NEXT) | instid1(VALU_DEP_1)
	v_cndmask_b32_e64 v2, 0x7fffffff, v2, s30
	v_lshrrev_b32_e32 v2, s31, v2
	s_delay_alu instid0(VALU_DEP_1)
	v_and_b32_e32 v129, s48, v2
	s_wait_alu 0xfffe
	s_or_b32 exec_lo, exec_lo, s42
	s_and_saveexec_b32 s42, s16
	s_cbranch_execz .LBB1331_210
.LBB1331_276:                           ;   in Loop: Header=BB1331_96 Depth=2
	ds_load_b32 v2, v70 offset:3072
	s_wait_dscnt 0x0
	v_cmp_ne_u32_e64 s30, 0x80000000, v2
	s_wait_alu 0xf1ff
	s_delay_alu instid0(VALU_DEP_1) | instskip(NEXT) | instid1(VALU_DEP_1)
	v_cndmask_b32_e64 v2, 0x7fffffff, v2, s30
	v_lshrrev_b32_e32 v2, s31, v2
	s_delay_alu instid0(VALU_DEP_1)
	v_and_b32_e32 v128, s48, v2
	s_wait_alu 0xfffe
	s_or_b32 exec_lo, exec_lo, s42
	s_and_saveexec_b32 s42, s17
	s_cbranch_execz .LBB1331_211
.LBB1331_277:                           ;   in Loop: Header=BB1331_96 Depth=2
	ds_load_b32 v2, v70 offset:4096
	s_wait_dscnt 0x0
	v_cmp_ne_u32_e64 s30, 0x80000000, v2
	s_wait_alu 0xf1ff
	s_delay_alu instid0(VALU_DEP_1) | instskip(NEXT) | instid1(VALU_DEP_1)
	v_cndmask_b32_e64 v2, 0x7fffffff, v2, s30
	v_lshrrev_b32_e32 v2, s31, v2
	s_delay_alu instid0(VALU_DEP_1)
	v_and_b32_e32 v127, s48, v2
	s_wait_alu 0xfffe
	s_or_b32 exec_lo, exec_lo, s42
	s_and_saveexec_b32 s42, s18
	s_cbranch_execz .LBB1331_212
.LBB1331_278:                           ;   in Loop: Header=BB1331_96 Depth=2
	ds_load_b32 v2, v70 offset:5120
	s_wait_dscnt 0x0
	v_cmp_ne_u32_e64 s30, 0x80000000, v2
	s_wait_alu 0xf1ff
	s_delay_alu instid0(VALU_DEP_1) | instskip(NEXT) | instid1(VALU_DEP_1)
	v_cndmask_b32_e64 v2, 0x7fffffff, v2, s30
	v_lshrrev_b32_e32 v2, s31, v2
	s_delay_alu instid0(VALU_DEP_1)
	v_and_b32_e32 v126, s48, v2
	s_wait_alu 0xfffe
	s_or_b32 exec_lo, exec_lo, s42
	s_and_saveexec_b32 s42, s19
	s_cbranch_execz .LBB1331_213
.LBB1331_279:                           ;   in Loop: Header=BB1331_96 Depth=2
	ds_load_b32 v2, v70 offset:6144
	s_wait_dscnt 0x0
	v_cmp_ne_u32_e64 s30, 0x80000000, v2
	s_wait_alu 0xf1ff
	s_delay_alu instid0(VALU_DEP_1) | instskip(NEXT) | instid1(VALU_DEP_1)
	v_cndmask_b32_e64 v2, 0x7fffffff, v2, s30
	v_lshrrev_b32_e32 v2, s31, v2
	s_delay_alu instid0(VALU_DEP_1)
	v_and_b32_e32 v125, s48, v2
	s_wait_alu 0xfffe
	s_or_b32 exec_lo, exec_lo, s42
	s_and_saveexec_b32 s42, s20
	s_cbranch_execz .LBB1331_214
.LBB1331_280:                           ;   in Loop: Header=BB1331_96 Depth=2
	ds_load_b32 v2, v70 offset:7168
	s_wait_dscnt 0x0
	v_cmp_ne_u32_e64 s30, 0x80000000, v2
	s_wait_alu 0xf1ff
	s_delay_alu instid0(VALU_DEP_1) | instskip(NEXT) | instid1(VALU_DEP_1)
	v_cndmask_b32_e64 v2, 0x7fffffff, v2, s30
	v_lshrrev_b32_e32 v2, s31, v2
	s_delay_alu instid0(VALU_DEP_1)
	v_and_b32_e32 v124, s48, v2
	s_wait_alu 0xfffe
	s_or_b32 exec_lo, exec_lo, s42
	s_and_saveexec_b32 s42, s21
	s_cbranch_execz .LBB1331_215
.LBB1331_281:                           ;   in Loop: Header=BB1331_96 Depth=2
	ds_load_b32 v2, v70 offset:8192
	s_wait_dscnt 0x0
	v_cmp_ne_u32_e64 s30, 0x80000000, v2
	s_wait_alu 0xf1ff
	s_delay_alu instid0(VALU_DEP_1) | instskip(NEXT) | instid1(VALU_DEP_1)
	v_cndmask_b32_e64 v2, 0x7fffffff, v2, s30
	v_lshrrev_b32_e32 v2, s31, v2
	s_delay_alu instid0(VALU_DEP_1)
	v_and_b32_e32 v123, s48, v2
	s_wait_alu 0xfffe
	s_or_b32 exec_lo, exec_lo, s42
	s_and_saveexec_b32 s42, s22
	s_cbranch_execz .LBB1331_216
.LBB1331_282:                           ;   in Loop: Header=BB1331_96 Depth=2
	ds_load_b32 v2, v70 offset:9216
	s_wait_dscnt 0x0
	v_cmp_ne_u32_e64 s30, 0x80000000, v2
	s_wait_alu 0xf1ff
	s_delay_alu instid0(VALU_DEP_1) | instskip(NEXT) | instid1(VALU_DEP_1)
	v_cndmask_b32_e64 v2, 0x7fffffff, v2, s30
	v_lshrrev_b32_e32 v2, s31, v2
	s_delay_alu instid0(VALU_DEP_1)
	v_and_b32_e32 v122, s48, v2
	s_wait_alu 0xfffe
	s_or_b32 exec_lo, exec_lo, s42
	s_and_saveexec_b32 s42, s23
	s_cbranch_execz .LBB1331_217
.LBB1331_283:                           ;   in Loop: Header=BB1331_96 Depth=2
	ds_load_b32 v2, v70 offset:10240
	s_wait_dscnt 0x0
	v_cmp_ne_u32_e64 s30, 0x80000000, v2
	s_wait_alu 0xf1ff
	s_delay_alu instid0(VALU_DEP_1) | instskip(NEXT) | instid1(VALU_DEP_1)
	v_cndmask_b32_e64 v2, 0x7fffffff, v2, s30
	v_lshrrev_b32_e32 v2, s31, v2
	s_delay_alu instid0(VALU_DEP_1)
	v_and_b32_e32 v121, s48, v2
	s_wait_alu 0xfffe
	s_or_b32 exec_lo, exec_lo, s42
	s_and_saveexec_b32 s42, s24
	s_cbranch_execz .LBB1331_218
.LBB1331_284:                           ;   in Loop: Header=BB1331_96 Depth=2
	ds_load_b32 v2, v70 offset:11264
	s_wait_dscnt 0x0
	v_cmp_ne_u32_e64 s30, 0x80000000, v2
	s_wait_alu 0xf1ff
	s_delay_alu instid0(VALU_DEP_1) | instskip(NEXT) | instid1(VALU_DEP_1)
	v_cndmask_b32_e64 v2, 0x7fffffff, v2, s30
	v_lshrrev_b32_e32 v2, s31, v2
	s_delay_alu instid0(VALU_DEP_1)
	v_and_b32_e32 v120, s48, v2
	s_wait_alu 0xfffe
	s_or_b32 exec_lo, exec_lo, s42
	s_and_saveexec_b32 s42, s25
	s_cbranch_execz .LBB1331_219
.LBB1331_285:                           ;   in Loop: Header=BB1331_96 Depth=2
	ds_load_b32 v2, v70 offset:12288
	s_wait_dscnt 0x0
	v_cmp_ne_u32_e64 s30, 0x80000000, v2
	s_wait_alu 0xf1ff
	s_delay_alu instid0(VALU_DEP_1) | instskip(NEXT) | instid1(VALU_DEP_1)
	v_cndmask_b32_e64 v2, 0x7fffffff, v2, s30
	v_lshrrev_b32_e32 v2, s31, v2
	s_delay_alu instid0(VALU_DEP_1)
	v_and_b32_e32 v119, s48, v2
	s_wait_alu 0xfffe
	s_or_b32 exec_lo, exec_lo, s42
	s_and_saveexec_b32 s42, s26
	s_cbranch_execz .LBB1331_220
.LBB1331_286:                           ;   in Loop: Header=BB1331_96 Depth=2
	ds_load_b32 v2, v70 offset:13312
	s_wait_dscnt 0x0
	v_cmp_ne_u32_e64 s30, 0x80000000, v2
	s_wait_alu 0xf1ff
	s_delay_alu instid0(VALU_DEP_1) | instskip(NEXT) | instid1(VALU_DEP_1)
	v_cndmask_b32_e64 v2, 0x7fffffff, v2, s30
	v_lshrrev_b32_e32 v2, s31, v2
	s_delay_alu instid0(VALU_DEP_1)
	v_and_b32_e32 v118, s48, v2
	s_wait_alu 0xfffe
	s_or_b32 exec_lo, exec_lo, s42
	s_and_saveexec_b32 s42, s27
	s_cbranch_execz .LBB1331_221
.LBB1331_287:                           ;   in Loop: Header=BB1331_96 Depth=2
	ds_load_b32 v2, v70 offset:14336
	s_wait_dscnt 0x0
	v_cmp_ne_u32_e64 s30, 0x80000000, v2
	s_wait_alu 0xf1ff
	s_delay_alu instid0(VALU_DEP_1) | instskip(NEXT) | instid1(VALU_DEP_1)
	v_cndmask_b32_e64 v2, 0x7fffffff, v2, s30
	v_lshrrev_b32_e32 v2, s31, v2
	s_delay_alu instid0(VALU_DEP_1)
	v_and_b32_e32 v117, s48, v2
	s_wait_alu 0xfffe
	s_or_b32 exec_lo, exec_lo, s42
	s_and_saveexec_b32 s42, s28
	s_cbranch_execz .LBB1331_222
.LBB1331_288:                           ;   in Loop: Header=BB1331_96 Depth=2
	ds_load_b32 v2, v70 offset:15360
	s_wait_dscnt 0x0
	v_cmp_ne_u32_e64 s30, 0x80000000, v2
	s_wait_alu 0xf1ff
	s_delay_alu instid0(VALU_DEP_1) | instskip(NEXT) | instid1(VALU_DEP_1)
	v_cndmask_b32_e64 v2, 0x7fffffff, v2, s30
	v_lshrrev_b32_e32 v2, s31, v2
	s_delay_alu instid0(VALU_DEP_1)
	v_and_b32_e32 v116, s48, v2
	s_wait_alu 0xfffe
	s_or_b32 exec_lo, exec_lo, s42
	s_and_saveexec_b32 s42, s29
	s_cbranch_execnz .LBB1331_223
	s_branch .LBB1331_224
.LBB1331_289:                           ;   in Loop: Header=BB1331_96 Depth=2
	v_lshlrev_b32_e32 v2, 2, v130
	v_add_nc_u32_e32 v36, v70, v44
	ds_load_b32 v2, v2
	ds_load_b64 v[36:37], v36 offset:1024
	s_wait_dscnt 0x1
	v_add_nc_u32_e32 v2, v2, v1
	s_delay_alu instid0(VALU_DEP_1) | instskip(NEXT) | instid1(VALU_DEP_1)
	v_lshlrev_b64_e32 v[39:40], 3, v[2:3]
	v_add_co_u32 v39, vcc_lo, s44, v39
	s_wait_alu 0xfffd
	s_delay_alu instid0(VALU_DEP_2)
	v_add_co_ci_u32_e64 v40, null, s45, v40, vcc_lo
	s_wait_dscnt 0x0
	global_store_b64 v[39:40], v[36:37], off
	s_wait_alu 0xfffe
	s_or_b32 exec_lo, exec_lo, s30
	s_and_saveexec_b32 s30, s15
	s_cbranch_execz .LBB1331_226
.LBB1331_290:                           ;   in Loop: Header=BB1331_96 Depth=2
	v_lshlrev_b32_e32 v2, 2, v129
	v_add_nc_u32_e32 v36, v70, v44
	ds_load_b32 v2, v2
	ds_load_b64 v[36:37], v36 offset:3072
	s_wait_dscnt 0x1
	v_add_nc_u32_e32 v2, v2, v45
	s_delay_alu instid0(VALU_DEP_1) | instskip(NEXT) | instid1(VALU_DEP_1)
	v_lshlrev_b64_e32 v[39:40], 3, v[2:3]
	v_add_co_u32 v39, vcc_lo, s44, v39
	s_wait_alu 0xfffd
	s_delay_alu instid0(VALU_DEP_2)
	v_add_co_ci_u32_e64 v40, null, s45, v40, vcc_lo
	s_wait_dscnt 0x0
	global_store_b64 v[39:40], v[36:37], off
	s_wait_alu 0xfffe
	s_or_b32 exec_lo, exec_lo, s30
	s_and_saveexec_b32 s15, s16
	s_cbranch_execz .LBB1331_227
.LBB1331_291:                           ;   in Loop: Header=BB1331_96 Depth=2
	v_lshlrev_b32_e32 v2, 2, v128
	v_add_nc_u32_e32 v36, v70, v44
	ds_load_b32 v2, v2
	ds_load_b64 v[36:37], v36 offset:5120
	s_wait_dscnt 0x1
	v_add_nc_u32_e32 v2, v2, v46
	s_delay_alu instid0(VALU_DEP_1) | instskip(NEXT) | instid1(VALU_DEP_1)
	v_lshlrev_b64_e32 v[39:40], 3, v[2:3]
	v_add_co_u32 v39, vcc_lo, s44, v39
	s_wait_alu 0xfffd
	s_delay_alu instid0(VALU_DEP_2)
	v_add_co_ci_u32_e64 v40, null, s45, v40, vcc_lo
	s_wait_dscnt 0x0
	global_store_b64 v[39:40], v[36:37], off
	s_wait_alu 0xfffe
	s_or_b32 exec_lo, exec_lo, s15
	s_and_saveexec_b32 s15, s17
	s_cbranch_execz .LBB1331_228
.LBB1331_292:                           ;   in Loop: Header=BB1331_96 Depth=2
	v_lshlrev_b32_e32 v2, 2, v127
	v_add_nc_u32_e32 v36, v70, v44
	ds_load_b32 v2, v2
	ds_load_b64 v[36:37], v36 offset:7168
	s_wait_dscnt 0x1
	v_add_nc_u32_e32 v2, v2, v47
	s_delay_alu instid0(VALU_DEP_1) | instskip(NEXT) | instid1(VALU_DEP_1)
	v_lshlrev_b64_e32 v[39:40], 3, v[2:3]
	v_add_co_u32 v39, vcc_lo, s44, v39
	s_wait_alu 0xfffd
	s_delay_alu instid0(VALU_DEP_2)
	v_add_co_ci_u32_e64 v40, null, s45, v40, vcc_lo
	s_wait_dscnt 0x0
	global_store_b64 v[39:40], v[36:37], off
	s_wait_alu 0xfffe
	s_or_b32 exec_lo, exec_lo, s15
	s_and_saveexec_b32 s15, s18
	s_cbranch_execz .LBB1331_229
.LBB1331_293:                           ;   in Loop: Header=BB1331_96 Depth=2
	v_lshlrev_b32_e32 v2, 2, v126
	v_add_nc_u32_e32 v36, v70, v44
	ds_load_b32 v2, v2
	ds_load_b64 v[36:37], v36 offset:9216
	s_wait_dscnt 0x1
	v_add_nc_u32_e32 v2, v2, v50
	s_delay_alu instid0(VALU_DEP_1) | instskip(NEXT) | instid1(VALU_DEP_1)
	v_lshlrev_b64_e32 v[39:40], 3, v[2:3]
	v_add_co_u32 v39, vcc_lo, s44, v39
	s_wait_alu 0xfffd
	s_delay_alu instid0(VALU_DEP_2)
	v_add_co_ci_u32_e64 v40, null, s45, v40, vcc_lo
	s_wait_dscnt 0x0
	global_store_b64 v[39:40], v[36:37], off
	s_wait_alu 0xfffe
	s_or_b32 exec_lo, exec_lo, s15
	s_and_saveexec_b32 s15, s19
	s_cbranch_execz .LBB1331_230
.LBB1331_294:                           ;   in Loop: Header=BB1331_96 Depth=2
	v_lshlrev_b32_e32 v2, 2, v125
	v_add_nc_u32_e32 v36, v70, v44
	ds_load_b32 v2, v2
	ds_load_b64 v[36:37], v36 offset:11264
	s_wait_dscnt 0x1
	v_add_nc_u32_e32 v2, v2, v51
	s_delay_alu instid0(VALU_DEP_1) | instskip(NEXT) | instid1(VALU_DEP_1)
	v_lshlrev_b64_e32 v[39:40], 3, v[2:3]
	v_add_co_u32 v39, vcc_lo, s44, v39
	s_wait_alu 0xfffd
	s_delay_alu instid0(VALU_DEP_2)
	v_add_co_ci_u32_e64 v40, null, s45, v40, vcc_lo
	s_wait_dscnt 0x0
	global_store_b64 v[39:40], v[36:37], off
	s_wait_alu 0xfffe
	s_or_b32 exec_lo, exec_lo, s15
	s_and_saveexec_b32 s15, s20
	s_cbranch_execz .LBB1331_231
.LBB1331_295:                           ;   in Loop: Header=BB1331_96 Depth=2
	v_lshlrev_b32_e32 v2, 2, v124
	v_add_nc_u32_e32 v36, v70, v44
	ds_load_b32 v2, v2
	ds_load_b64 v[36:37], v36 offset:13312
	s_wait_dscnt 0x1
	v_add_nc_u32_e32 v2, v2, v52
	s_delay_alu instid0(VALU_DEP_1) | instskip(NEXT) | instid1(VALU_DEP_1)
	v_lshlrev_b64_e32 v[39:40], 3, v[2:3]
	v_add_co_u32 v39, vcc_lo, s44, v39
	s_wait_alu 0xfffd
	s_delay_alu instid0(VALU_DEP_2)
	v_add_co_ci_u32_e64 v40, null, s45, v40, vcc_lo
	s_wait_dscnt 0x0
	global_store_b64 v[39:40], v[36:37], off
	s_wait_alu 0xfffe
	s_or_b32 exec_lo, exec_lo, s15
	s_and_saveexec_b32 s15, s21
	s_cbranch_execz .LBB1331_232
.LBB1331_296:                           ;   in Loop: Header=BB1331_96 Depth=2
	v_lshlrev_b32_e32 v2, 2, v123
	v_add_nc_u32_e32 v36, v70, v44
	ds_load_b32 v2, v2
	ds_load_b64 v[36:37], v36 offset:15360
	s_wait_dscnt 0x1
	v_add_nc_u32_e32 v2, v2, v53
	s_delay_alu instid0(VALU_DEP_1) | instskip(NEXT) | instid1(VALU_DEP_1)
	v_lshlrev_b64_e32 v[39:40], 3, v[2:3]
	v_add_co_u32 v39, vcc_lo, s44, v39
	s_wait_alu 0xfffd
	s_delay_alu instid0(VALU_DEP_2)
	v_add_co_ci_u32_e64 v40, null, s45, v40, vcc_lo
	s_wait_dscnt 0x0
	global_store_b64 v[39:40], v[36:37], off
	s_wait_alu 0xfffe
	s_or_b32 exec_lo, exec_lo, s15
	s_and_saveexec_b32 s15, s22
	s_cbranch_execz .LBB1331_233
.LBB1331_297:                           ;   in Loop: Header=BB1331_96 Depth=2
	v_lshlrev_b32_e32 v2, 2, v122
	v_add_nc_u32_e32 v36, v70, v44
	ds_load_b32 v2, v2
	ds_load_b64 v[36:37], v36 offset:17408
	s_wait_dscnt 0x1
	v_add_nc_u32_e32 v2, v2, v54
	s_delay_alu instid0(VALU_DEP_1) | instskip(NEXT) | instid1(VALU_DEP_1)
	v_lshlrev_b64_e32 v[39:40], 3, v[2:3]
	v_add_co_u32 v39, vcc_lo, s44, v39
	s_wait_alu 0xfffd
	s_delay_alu instid0(VALU_DEP_2)
	v_add_co_ci_u32_e64 v40, null, s45, v40, vcc_lo
	s_wait_dscnt 0x0
	global_store_b64 v[39:40], v[36:37], off
	s_wait_alu 0xfffe
	s_or_b32 exec_lo, exec_lo, s15
	s_and_saveexec_b32 s15, s23
	s_cbranch_execz .LBB1331_234
.LBB1331_298:                           ;   in Loop: Header=BB1331_96 Depth=2
	v_lshlrev_b32_e32 v2, 2, v121
	v_add_nc_u32_e32 v36, v70, v44
	ds_load_b32 v2, v2
	ds_load_b64 v[36:37], v36 offset:19456
	s_wait_dscnt 0x1
	v_add_nc_u32_e32 v2, v2, v55
	s_delay_alu instid0(VALU_DEP_1) | instskip(NEXT) | instid1(VALU_DEP_1)
	v_lshlrev_b64_e32 v[39:40], 3, v[2:3]
	v_add_co_u32 v39, vcc_lo, s44, v39
	s_wait_alu 0xfffd
	s_delay_alu instid0(VALU_DEP_2)
	v_add_co_ci_u32_e64 v40, null, s45, v40, vcc_lo
	s_wait_dscnt 0x0
	global_store_b64 v[39:40], v[36:37], off
	s_wait_alu 0xfffe
	s_or_b32 exec_lo, exec_lo, s15
	s_and_saveexec_b32 s15, s24
	s_cbranch_execz .LBB1331_235
.LBB1331_299:                           ;   in Loop: Header=BB1331_96 Depth=2
	v_lshlrev_b32_e32 v2, 2, v120
	v_add_nc_u32_e32 v36, v70, v44
	ds_load_b32 v2, v2
	ds_load_b64 v[36:37], v36 offset:21504
	s_wait_dscnt 0x1
	v_add_nc_u32_e32 v2, v2, v56
	s_delay_alu instid0(VALU_DEP_1) | instskip(NEXT) | instid1(VALU_DEP_1)
	v_lshlrev_b64_e32 v[39:40], 3, v[2:3]
	v_add_co_u32 v39, vcc_lo, s44, v39
	s_wait_alu 0xfffd
	s_delay_alu instid0(VALU_DEP_2)
	v_add_co_ci_u32_e64 v40, null, s45, v40, vcc_lo
	s_wait_dscnt 0x0
	global_store_b64 v[39:40], v[36:37], off
	s_wait_alu 0xfffe
	s_or_b32 exec_lo, exec_lo, s15
	s_and_saveexec_b32 s15, s25
	s_cbranch_execz .LBB1331_236
.LBB1331_300:                           ;   in Loop: Header=BB1331_96 Depth=2
	v_lshlrev_b32_e32 v2, 2, v119
	v_add_nc_u32_e32 v36, v70, v44
	ds_load_b32 v2, v2
	ds_load_b64 v[36:37], v36 offset:23552
	s_wait_dscnt 0x1
	v_add_nc_u32_e32 v2, v2, v57
	s_delay_alu instid0(VALU_DEP_1) | instskip(NEXT) | instid1(VALU_DEP_1)
	v_lshlrev_b64_e32 v[39:40], 3, v[2:3]
	v_add_co_u32 v39, vcc_lo, s44, v39
	s_wait_alu 0xfffd
	s_delay_alu instid0(VALU_DEP_2)
	v_add_co_ci_u32_e64 v40, null, s45, v40, vcc_lo
	s_wait_dscnt 0x0
	global_store_b64 v[39:40], v[36:37], off
	s_wait_alu 0xfffe
	s_or_b32 exec_lo, exec_lo, s15
	s_and_saveexec_b32 s15, s26
	s_cbranch_execz .LBB1331_237
.LBB1331_301:                           ;   in Loop: Header=BB1331_96 Depth=2
	v_lshlrev_b32_e32 v2, 2, v118
	v_add_nc_u32_e32 v36, v70, v44
	ds_load_b32 v2, v2
	ds_load_b64 v[36:37], v36 offset:25600
	s_wait_dscnt 0x1
	v_add_nc_u32_e32 v2, v2, v58
	s_delay_alu instid0(VALU_DEP_1) | instskip(NEXT) | instid1(VALU_DEP_1)
	v_lshlrev_b64_e32 v[39:40], 3, v[2:3]
	v_add_co_u32 v39, vcc_lo, s44, v39
	s_wait_alu 0xfffd
	s_delay_alu instid0(VALU_DEP_2)
	v_add_co_ci_u32_e64 v40, null, s45, v40, vcc_lo
	s_wait_dscnt 0x0
	global_store_b64 v[39:40], v[36:37], off
	s_wait_alu 0xfffe
	s_or_b32 exec_lo, exec_lo, s15
	s_and_saveexec_b32 s15, s27
	s_cbranch_execz .LBB1331_238
.LBB1331_302:                           ;   in Loop: Header=BB1331_96 Depth=2
	v_lshlrev_b32_e32 v2, 2, v117
	v_add_nc_u32_e32 v36, v70, v44
	ds_load_b32 v2, v2
	ds_load_b64 v[36:37], v36 offset:27648
	s_wait_dscnt 0x1
	v_add_nc_u32_e32 v2, v2, v59
	s_delay_alu instid0(VALU_DEP_1) | instskip(NEXT) | instid1(VALU_DEP_1)
	v_lshlrev_b64_e32 v[39:40], 3, v[2:3]
	v_add_co_u32 v39, vcc_lo, s44, v39
	s_wait_alu 0xfffd
	s_delay_alu instid0(VALU_DEP_2)
	v_add_co_ci_u32_e64 v40, null, s45, v40, vcc_lo
	s_wait_dscnt 0x0
	global_store_b64 v[39:40], v[36:37], off
	s_wait_alu 0xfffe
	s_or_b32 exec_lo, exec_lo, s15
	s_and_saveexec_b32 s15, s28
	s_cbranch_execz .LBB1331_239
.LBB1331_303:                           ;   in Loop: Header=BB1331_96 Depth=2
	v_lshlrev_b32_e32 v2, 2, v116
	v_add_nc_u32_e32 v36, v70, v44
	ds_load_b32 v2, v2
	ds_load_b64 v[36:37], v36 offset:29696
	s_wait_dscnt 0x1
	v_add_nc_u32_e32 v2, v2, v60
	s_delay_alu instid0(VALU_DEP_1) | instskip(NEXT) | instid1(VALU_DEP_1)
	v_lshlrev_b64_e32 v[39:40], 3, v[2:3]
	v_add_co_u32 v39, vcc_lo, s44, v39
	s_wait_alu 0xfffd
	s_delay_alu instid0(VALU_DEP_2)
	v_add_co_ci_u32_e64 v40, null, s45, v40, vcc_lo
	s_wait_dscnt 0x0
	global_store_b64 v[39:40], v[36:37], off
	s_wait_alu 0xfffe
	s_or_b32 exec_lo, exec_lo, s15
	s_and_saveexec_b32 s15, s29
	s_cbranch_execnz .LBB1331_240
	s_branch .LBB1331_241
.LBB1331_304:                           ;   in Loop: Header=BB1331_12 Depth=1
	s_wait_loadcnt_dscnt 0x0
	s_barrier_signal -1
	s_mov_b32 s0, 0
	s_barrier_wait -1
.LBB1331_305:                           ;   in Loop: Header=BB1331_12 Depth=1
	s_wait_alu 0xfffe
	s_and_b32 vcc_lo, exec_lo, s0
	s_wait_alu 0xfffe
	s_cbranch_vccz .LBB1331_597
; %bb.306:                              ;   in Loop: Header=BB1331_12 Depth=1
	s_mov_b32 s9, s53
	s_mov_b32 s42, s33
	s_barrier_signal -1
	s_barrier_wait -1
	global_inv scope:SCOPE_SE
                                        ; implicit-def: $vgpr2
                                        ; implicit-def: $vgpr4
                                        ; implicit-def: $vgpr5
                                        ; implicit-def: $vgpr6
                                        ; implicit-def: $vgpr7
                                        ; implicit-def: $vgpr8
                                        ; implicit-def: $vgpr9
                                        ; implicit-def: $vgpr10
                                        ; implicit-def: $vgpr11
                                        ; implicit-def: $vgpr12
                                        ; implicit-def: $vgpr13
                                        ; implicit-def: $vgpr14
                                        ; implicit-def: $vgpr15
                                        ; implicit-def: $vgpr16
                                        ; implicit-def: $vgpr17
                                        ; implicit-def: $vgpr18
	s_branch .LBB1331_308
.LBB1331_307:                           ;   in Loop: Header=BB1331_308 Depth=2
	s_wait_alu 0xfffe
	s_or_b32 exec_lo, exec_lo, s0
	s_addk_co_i32 s9, 0xf000
	s_cmp_ge_u32 s10, s51
	s_mov_b32 s42, s10
	s_cbranch_scc1 .LBB1331_376
.LBB1331_308:                           ;   Parent Loop BB1331_12 Depth=1
                                        ; =>  This Inner Loop Header: Depth=2
	s_wait_alu 0xfffe
	s_add_co_i32 s10, s42, 0x1000
	s_mov_b32 s0, -1
	s_wait_alu 0xfffe
	s_cmp_gt_u32 s10, s51
                                        ; implicit-def: $vgpr19
                                        ; implicit-def: $vgpr20
                                        ; implicit-def: $vgpr21
                                        ; implicit-def: $vgpr22
                                        ; implicit-def: $vgpr23
                                        ; implicit-def: $vgpr24
                                        ; implicit-def: $vgpr25
                                        ; implicit-def: $vgpr26
                                        ; implicit-def: $vgpr27
                                        ; implicit-def: $vgpr28
                                        ; implicit-def: $vgpr29
                                        ; implicit-def: $vgpr30
                                        ; implicit-def: $vgpr31
                                        ; implicit-def: $vgpr32
                                        ; implicit-def: $vgpr33
                                        ; implicit-def: $vgpr34
	s_cbranch_scc1 .LBB1331_310
; %bb.309:                              ;   in Loop: Header=BB1331_308 Depth=2
	s_lshl_b64 s[0:1], s[42:43], 2
	s_wait_alu 0xfffe
	v_add_co_u32 v34, vcc_lo, v71, s0
	s_wait_alu 0xfffd
	v_add_co_ci_u32_e64 v35, null, s1, v72, vcc_lo
	s_mov_b32 s0, 0
	s_clause 0xf
	global_load_b32 v19, v[34:35], off
	global_load_b32 v20, v[34:35], off offset:1024
	global_load_b32 v21, v[34:35], off offset:2048
	global_load_b32 v22, v[34:35], off offset:3072
	global_load_b32 v23, v[34:35], off offset:4096
	global_load_b32 v24, v[34:35], off offset:5120
	global_load_b32 v25, v[34:35], off offset:6144
	global_load_b32 v26, v[34:35], off offset:7168
	global_load_b32 v27, v[34:35], off offset:8192
	global_load_b32 v28, v[34:35], off offset:9216
	global_load_b32 v29, v[34:35], off offset:10240
	global_load_b32 v30, v[34:35], off offset:11264
	global_load_b32 v31, v[34:35], off offset:12288
	global_load_b32 v32, v[34:35], off offset:13312
	global_load_b32 v33, v[34:35], off offset:14336
	global_load_b32 v34, v[34:35], off offset:15360
.LBB1331_310:                           ;   in Loop: Header=BB1331_308 Depth=2
	s_wait_alu 0xfffe
	s_and_not1_b32 vcc_lo, exec_lo, s0
	s_movk_i32 s0, 0x1000
	s_wait_alu 0xfffe
	s_cbranch_vccnz .LBB1331_329
; %bb.311:                              ;   in Loop: Header=BB1331_308 Depth=2
	s_lshl_b64 s[0:1], s[42:43], 2
	s_mov_b32 s11, exec_lo
	s_wait_alu 0xfffe
	s_add_nc_u64 s[0:1], s[38:39], s[0:1]
	v_cmpx_gt_u32_e64 s9, v1
	s_cbranch_execnz .LBB1331_361
; %bb.312:                              ;   in Loop: Header=BB1331_308 Depth=2
	s_or_b32 exec_lo, exec_lo, s11
	s_delay_alu instid0(SALU_CYCLE_1)
	s_mov_b32 s11, exec_lo
	v_cmpx_gt_u32_e64 s9, v45
	s_cbranch_execnz .LBB1331_362
.LBB1331_313:                           ;   in Loop: Header=BB1331_308 Depth=2
	s_wait_alu 0xfffe
	s_or_b32 exec_lo, exec_lo, s11
	s_delay_alu instid0(SALU_CYCLE_1)
	s_mov_b32 s11, exec_lo
	v_cmpx_gt_u32_e64 s9, v46
	s_cbranch_execnz .LBB1331_363
.LBB1331_314:                           ;   in Loop: Header=BB1331_308 Depth=2
	s_wait_alu 0xfffe
	s_or_b32 exec_lo, exec_lo, s11
	s_delay_alu instid0(SALU_CYCLE_1)
	s_mov_b32 s11, exec_lo
	v_cmpx_gt_u32_e64 s9, v47
	s_cbranch_execnz .LBB1331_364
.LBB1331_315:                           ;   in Loop: Header=BB1331_308 Depth=2
	s_wait_alu 0xfffe
	s_or_b32 exec_lo, exec_lo, s11
	s_delay_alu instid0(SALU_CYCLE_1)
	s_mov_b32 s11, exec_lo
	v_cmpx_gt_u32_e64 s9, v50
	s_cbranch_execnz .LBB1331_365
.LBB1331_316:                           ;   in Loop: Header=BB1331_308 Depth=2
	s_wait_alu 0xfffe
	s_or_b32 exec_lo, exec_lo, s11
	s_delay_alu instid0(SALU_CYCLE_1)
	s_mov_b32 s11, exec_lo
	v_cmpx_gt_u32_e64 s9, v51
	s_cbranch_execnz .LBB1331_366
.LBB1331_317:                           ;   in Loop: Header=BB1331_308 Depth=2
	s_wait_alu 0xfffe
	s_or_b32 exec_lo, exec_lo, s11
	s_delay_alu instid0(SALU_CYCLE_1)
	s_mov_b32 s11, exec_lo
	v_cmpx_gt_u32_e64 s9, v52
	s_cbranch_execnz .LBB1331_367
.LBB1331_318:                           ;   in Loop: Header=BB1331_308 Depth=2
	s_wait_alu 0xfffe
	s_or_b32 exec_lo, exec_lo, s11
	s_delay_alu instid0(SALU_CYCLE_1)
	s_mov_b32 s11, exec_lo
	v_cmpx_gt_u32_e64 s9, v53
	s_cbranch_execnz .LBB1331_368
.LBB1331_319:                           ;   in Loop: Header=BB1331_308 Depth=2
	s_wait_alu 0xfffe
	s_or_b32 exec_lo, exec_lo, s11
	s_delay_alu instid0(SALU_CYCLE_1)
	s_mov_b32 s11, exec_lo
	v_cmpx_gt_u32_e64 s9, v54
	s_cbranch_execnz .LBB1331_369
.LBB1331_320:                           ;   in Loop: Header=BB1331_308 Depth=2
	s_wait_alu 0xfffe
	s_or_b32 exec_lo, exec_lo, s11
	s_delay_alu instid0(SALU_CYCLE_1)
	s_mov_b32 s11, exec_lo
	v_cmpx_gt_u32_e64 s9, v55
	s_cbranch_execnz .LBB1331_370
.LBB1331_321:                           ;   in Loop: Header=BB1331_308 Depth=2
	s_wait_alu 0xfffe
	s_or_b32 exec_lo, exec_lo, s11
	s_delay_alu instid0(SALU_CYCLE_1)
	s_mov_b32 s11, exec_lo
	v_cmpx_gt_u32_e64 s9, v56
	s_cbranch_execnz .LBB1331_371
.LBB1331_322:                           ;   in Loop: Header=BB1331_308 Depth=2
	s_wait_alu 0xfffe
	s_or_b32 exec_lo, exec_lo, s11
	s_delay_alu instid0(SALU_CYCLE_1)
	s_mov_b32 s11, exec_lo
	v_cmpx_gt_u32_e64 s9, v57
	s_cbranch_execnz .LBB1331_372
.LBB1331_323:                           ;   in Loop: Header=BB1331_308 Depth=2
	s_wait_alu 0xfffe
	s_or_b32 exec_lo, exec_lo, s11
	s_delay_alu instid0(SALU_CYCLE_1)
	s_mov_b32 s11, exec_lo
	v_cmpx_gt_u32_e64 s9, v58
	s_cbranch_execnz .LBB1331_373
.LBB1331_324:                           ;   in Loop: Header=BB1331_308 Depth=2
	s_wait_alu 0xfffe
	s_or_b32 exec_lo, exec_lo, s11
	s_delay_alu instid0(SALU_CYCLE_1)
	s_mov_b32 s11, exec_lo
	v_cmpx_gt_u32_e64 s9, v59
	s_cbranch_execnz .LBB1331_374
.LBB1331_325:                           ;   in Loop: Header=BB1331_308 Depth=2
	s_wait_alu 0xfffe
	s_or_b32 exec_lo, exec_lo, s11
	s_delay_alu instid0(SALU_CYCLE_1)
	s_mov_b32 s11, exec_lo
	v_cmpx_gt_u32_e64 s9, v60
	s_cbranch_execnz .LBB1331_375
.LBB1331_326:                           ;   in Loop: Header=BB1331_308 Depth=2
	s_wait_alu 0xfffe
	s_or_b32 exec_lo, exec_lo, s11
	s_delay_alu instid0(SALU_CYCLE_1)
	s_mov_b32 s11, exec_lo
	v_cmpx_gt_u32_e64 s9, v61
	s_cbranch_execz .LBB1331_328
.LBB1331_327:                           ;   in Loop: Header=BB1331_308 Depth=2
	global_load_b32 v2, v108, s[0:1] offset:15360
.LBB1331_328:                           ;   in Loop: Header=BB1331_308 Depth=2
	s_wait_alu 0xfffe
	s_or_b32 exec_lo, exec_lo, s11
	s_wait_loadcnt 0x0
	v_dual_mov_b32 v19, v18 :: v_dual_mov_b32 v20, v17
	v_dual_mov_b32 v21, v16 :: v_dual_mov_b32 v22, v15
	v_dual_mov_b32 v23, v14 :: v_dual_mov_b32 v24, v13
	v_dual_mov_b32 v25, v12 :: v_dual_mov_b32 v26, v11
	v_dual_mov_b32 v27, v10 :: v_dual_mov_b32 v28, v9
	v_dual_mov_b32 v29, v8 :: v_dual_mov_b32 v30, v7
	v_dual_mov_b32 v31, v6 :: v_dual_mov_b32 v32, v5
	v_dual_mov_b32 v33, v4 :: v_dual_mov_b32 v34, v2
	s_mov_b32 s0, s9
.LBB1331_329:                           ;   in Loop: Header=BB1331_308 Depth=2
	s_wait_loadcnt 0x0
	s_delay_alu instid0(VALU_DEP_1) | instskip(NEXT) | instid1(VALU_DEP_2)
	v_dual_mov_b32 v2, v34 :: v_dual_mov_b32 v5, v32
	v_dual_mov_b32 v4, v33 :: v_dual_mov_b32 v7, v30
	;; [unrolled: 1-line block ×7, first 2 shown]
	v_mov_b32_e32 v16, v21
	v_mov_b32_e32 v18, v19
	s_mov_b32 s1, exec_lo
	s_wait_alu 0xfffe
	v_cmpx_gt_u32_e64 s0, v1
	s_cbranch_execnz .LBB1331_345
; %bb.330:                              ;   in Loop: Header=BB1331_308 Depth=2
	s_or_b32 exec_lo, exec_lo, s1
	s_delay_alu instid0(SALU_CYCLE_1)
	s_mov_b32 s1, exec_lo
	v_cmpx_gt_u32_e64 s0, v45
	s_cbranch_execnz .LBB1331_346
.LBB1331_331:                           ;   in Loop: Header=BB1331_308 Depth=2
	s_wait_alu 0xfffe
	s_or_b32 exec_lo, exec_lo, s1
	s_delay_alu instid0(SALU_CYCLE_1)
	s_mov_b32 s1, exec_lo
	v_cmpx_gt_u32_e64 s0, v46
	s_cbranch_execnz .LBB1331_347
.LBB1331_332:                           ;   in Loop: Header=BB1331_308 Depth=2
	s_wait_alu 0xfffe
	s_or_b32 exec_lo, exec_lo, s1
	s_delay_alu instid0(SALU_CYCLE_1)
	s_mov_b32 s1, exec_lo
	v_cmpx_gt_u32_e64 s0, v47
	s_cbranch_execnz .LBB1331_348
.LBB1331_333:                           ;   in Loop: Header=BB1331_308 Depth=2
	s_wait_alu 0xfffe
	s_or_b32 exec_lo, exec_lo, s1
	s_delay_alu instid0(SALU_CYCLE_1)
	s_mov_b32 s1, exec_lo
	v_cmpx_gt_u32_e64 s0, v50
	s_cbranch_execnz .LBB1331_349
.LBB1331_334:                           ;   in Loop: Header=BB1331_308 Depth=2
	s_wait_alu 0xfffe
	s_or_b32 exec_lo, exec_lo, s1
	s_delay_alu instid0(SALU_CYCLE_1)
	s_mov_b32 s1, exec_lo
	v_cmpx_gt_u32_e64 s0, v51
	s_cbranch_execnz .LBB1331_350
.LBB1331_335:                           ;   in Loop: Header=BB1331_308 Depth=2
	s_wait_alu 0xfffe
	s_or_b32 exec_lo, exec_lo, s1
	s_delay_alu instid0(SALU_CYCLE_1)
	s_mov_b32 s1, exec_lo
	v_cmpx_gt_u32_e64 s0, v52
	s_cbranch_execnz .LBB1331_351
.LBB1331_336:                           ;   in Loop: Header=BB1331_308 Depth=2
	s_wait_alu 0xfffe
	s_or_b32 exec_lo, exec_lo, s1
	s_delay_alu instid0(SALU_CYCLE_1)
	s_mov_b32 s1, exec_lo
	v_cmpx_gt_u32_e64 s0, v53
	s_cbranch_execnz .LBB1331_352
.LBB1331_337:                           ;   in Loop: Header=BB1331_308 Depth=2
	s_wait_alu 0xfffe
	s_or_b32 exec_lo, exec_lo, s1
	s_delay_alu instid0(SALU_CYCLE_1)
	s_mov_b32 s1, exec_lo
	v_cmpx_gt_u32_e64 s0, v54
	s_cbranch_execnz .LBB1331_353
.LBB1331_338:                           ;   in Loop: Header=BB1331_308 Depth=2
	s_wait_alu 0xfffe
	s_or_b32 exec_lo, exec_lo, s1
	s_delay_alu instid0(SALU_CYCLE_1)
	s_mov_b32 s1, exec_lo
	v_cmpx_gt_u32_e64 s0, v55
	s_cbranch_execnz .LBB1331_354
.LBB1331_339:                           ;   in Loop: Header=BB1331_308 Depth=2
	s_wait_alu 0xfffe
	s_or_b32 exec_lo, exec_lo, s1
	s_delay_alu instid0(SALU_CYCLE_1)
	s_mov_b32 s1, exec_lo
	v_cmpx_gt_u32_e64 s0, v56
	s_cbranch_execnz .LBB1331_355
.LBB1331_340:                           ;   in Loop: Header=BB1331_308 Depth=2
	s_wait_alu 0xfffe
	s_or_b32 exec_lo, exec_lo, s1
	s_delay_alu instid0(SALU_CYCLE_1)
	s_mov_b32 s1, exec_lo
	v_cmpx_gt_u32_e64 s0, v57
	s_cbranch_execnz .LBB1331_356
.LBB1331_341:                           ;   in Loop: Header=BB1331_308 Depth=2
	s_wait_alu 0xfffe
	s_or_b32 exec_lo, exec_lo, s1
	s_delay_alu instid0(SALU_CYCLE_1)
	s_mov_b32 s1, exec_lo
	v_cmpx_gt_u32_e64 s0, v58
	s_cbranch_execnz .LBB1331_357
.LBB1331_342:                           ;   in Loop: Header=BB1331_308 Depth=2
	s_wait_alu 0xfffe
	s_or_b32 exec_lo, exec_lo, s1
	s_delay_alu instid0(SALU_CYCLE_1)
	s_mov_b32 s1, exec_lo
	v_cmpx_gt_u32_e64 s0, v59
	s_cbranch_execnz .LBB1331_358
.LBB1331_343:                           ;   in Loop: Header=BB1331_308 Depth=2
	s_wait_alu 0xfffe
	s_or_b32 exec_lo, exec_lo, s1
	s_delay_alu instid0(SALU_CYCLE_1)
	s_mov_b32 s1, exec_lo
	v_cmpx_gt_u32_e64 s0, v60
	s_cbranch_execnz .LBB1331_359
.LBB1331_344:                           ;   in Loop: Header=BB1331_308 Depth=2
	s_wait_alu 0xfffe
	s_or_b32 exec_lo, exec_lo, s1
	v_cmp_gt_u32_e32 vcc_lo, s0, v61
	s_and_saveexec_b32 s0, vcc_lo
	s_cbranch_execz .LBB1331_307
	s_branch .LBB1331_360
.LBB1331_345:                           ;   in Loop: Header=BB1331_308 Depth=2
	v_cmp_gt_i32_e32 vcc_lo, 0, v18
	s_wait_alu 0xfffd
	v_cndmask_b32_e64 v19, 0x7fffffff, 0, vcc_lo
	s_delay_alu instid0(VALU_DEP_1) | instskip(NEXT) | instid1(VALU_DEP_1)
	v_xor_b32_e32 v19, v19, v18
	v_cmp_ne_u32_e32 vcc_lo, 0x80000000, v19
	s_wait_alu 0xfffd
	v_cndmask_b32_e32 v19, 0x7fffffff, v19, vcc_lo
	s_delay_alu instid0(VALU_DEP_1) | instskip(NEXT) | instid1(VALU_DEP_1)
	v_lshrrev_b32_e32 v19, s31, v19
	v_and_b32_e32 v19, s48, v19
	s_delay_alu instid0(VALU_DEP_1) | instskip(SKIP_2) | instid1(SALU_CYCLE_1)
	v_lshl_or_b32 v19, v19, 4, v62
	ds_add_u32 v19, v84
	s_or_b32 exec_lo, exec_lo, s1
	s_mov_b32 s1, exec_lo
	v_cmpx_gt_u32_e64 s0, v45
	s_cbranch_execz .LBB1331_331
.LBB1331_346:                           ;   in Loop: Header=BB1331_308 Depth=2
	v_cmp_gt_i32_e32 vcc_lo, 0, v17
	s_wait_alu 0xfffd
	v_cndmask_b32_e64 v19, 0x7fffffff, 0, vcc_lo
	s_delay_alu instid0(VALU_DEP_1) | instskip(NEXT) | instid1(VALU_DEP_1)
	v_xor_b32_e32 v19, v19, v17
	v_cmp_ne_u32_e32 vcc_lo, 0x80000000, v19
	s_wait_alu 0xfffd
	v_cndmask_b32_e32 v19, 0x7fffffff, v19, vcc_lo
	s_delay_alu instid0(VALU_DEP_1) | instskip(NEXT) | instid1(VALU_DEP_1)
	v_lshrrev_b32_e32 v19, s31, v19
	v_and_b32_e32 v19, s48, v19
	s_delay_alu instid0(VALU_DEP_1) | instskip(SKIP_3) | instid1(SALU_CYCLE_1)
	v_lshl_or_b32 v19, v19, 4, v62
	ds_add_u32 v19, v84
	s_wait_alu 0xfffe
	s_or_b32 exec_lo, exec_lo, s1
	s_mov_b32 s1, exec_lo
	v_cmpx_gt_u32_e64 s0, v46
	s_cbranch_execz .LBB1331_332
.LBB1331_347:                           ;   in Loop: Header=BB1331_308 Depth=2
	v_cmp_gt_i32_e32 vcc_lo, 0, v16
	s_wait_alu 0xfffd
	v_cndmask_b32_e64 v19, 0x7fffffff, 0, vcc_lo
	s_delay_alu instid0(VALU_DEP_1) | instskip(NEXT) | instid1(VALU_DEP_1)
	v_xor_b32_e32 v19, v19, v16
	v_cmp_ne_u32_e32 vcc_lo, 0x80000000, v19
	s_wait_alu 0xfffd
	v_cndmask_b32_e32 v19, 0x7fffffff, v19, vcc_lo
	s_delay_alu instid0(VALU_DEP_1) | instskip(NEXT) | instid1(VALU_DEP_1)
	v_lshrrev_b32_e32 v19, s31, v19
	v_and_b32_e32 v19, s48, v19
	s_delay_alu instid0(VALU_DEP_1) | instskip(SKIP_3) | instid1(SALU_CYCLE_1)
	v_lshl_or_b32 v19, v19, 4, v62
	ds_add_u32 v19, v84
	s_wait_alu 0xfffe
	s_or_b32 exec_lo, exec_lo, s1
	s_mov_b32 s1, exec_lo
	v_cmpx_gt_u32_e64 s0, v47
	s_cbranch_execz .LBB1331_333
.LBB1331_348:                           ;   in Loop: Header=BB1331_308 Depth=2
	v_cmp_gt_i32_e32 vcc_lo, 0, v15
	s_wait_alu 0xfffd
	v_cndmask_b32_e64 v19, 0x7fffffff, 0, vcc_lo
	s_delay_alu instid0(VALU_DEP_1) | instskip(NEXT) | instid1(VALU_DEP_1)
	v_xor_b32_e32 v19, v19, v15
	v_cmp_ne_u32_e32 vcc_lo, 0x80000000, v19
	s_wait_alu 0xfffd
	v_cndmask_b32_e32 v19, 0x7fffffff, v19, vcc_lo
	s_delay_alu instid0(VALU_DEP_1) | instskip(NEXT) | instid1(VALU_DEP_1)
	v_lshrrev_b32_e32 v19, s31, v19
	v_and_b32_e32 v19, s48, v19
	s_delay_alu instid0(VALU_DEP_1) | instskip(SKIP_3) | instid1(SALU_CYCLE_1)
	v_lshl_or_b32 v19, v19, 4, v62
	ds_add_u32 v19, v84
	s_wait_alu 0xfffe
	s_or_b32 exec_lo, exec_lo, s1
	s_mov_b32 s1, exec_lo
	v_cmpx_gt_u32_e64 s0, v50
	s_cbranch_execz .LBB1331_334
.LBB1331_349:                           ;   in Loop: Header=BB1331_308 Depth=2
	v_cmp_gt_i32_e32 vcc_lo, 0, v14
	s_wait_alu 0xfffd
	v_cndmask_b32_e64 v19, 0x7fffffff, 0, vcc_lo
	s_delay_alu instid0(VALU_DEP_1) | instskip(NEXT) | instid1(VALU_DEP_1)
	v_xor_b32_e32 v19, v19, v14
	v_cmp_ne_u32_e32 vcc_lo, 0x80000000, v19
	s_wait_alu 0xfffd
	v_cndmask_b32_e32 v19, 0x7fffffff, v19, vcc_lo
	s_delay_alu instid0(VALU_DEP_1) | instskip(NEXT) | instid1(VALU_DEP_1)
	v_lshrrev_b32_e32 v19, s31, v19
	v_and_b32_e32 v19, s48, v19
	s_delay_alu instid0(VALU_DEP_1) | instskip(SKIP_3) | instid1(SALU_CYCLE_1)
	v_lshl_or_b32 v19, v19, 4, v62
	ds_add_u32 v19, v84
	s_wait_alu 0xfffe
	s_or_b32 exec_lo, exec_lo, s1
	s_mov_b32 s1, exec_lo
	v_cmpx_gt_u32_e64 s0, v51
	s_cbranch_execz .LBB1331_335
.LBB1331_350:                           ;   in Loop: Header=BB1331_308 Depth=2
	v_cmp_gt_i32_e32 vcc_lo, 0, v13
	s_wait_alu 0xfffd
	v_cndmask_b32_e64 v19, 0x7fffffff, 0, vcc_lo
	s_delay_alu instid0(VALU_DEP_1) | instskip(NEXT) | instid1(VALU_DEP_1)
	v_xor_b32_e32 v19, v19, v13
	v_cmp_ne_u32_e32 vcc_lo, 0x80000000, v19
	s_wait_alu 0xfffd
	v_cndmask_b32_e32 v19, 0x7fffffff, v19, vcc_lo
	s_delay_alu instid0(VALU_DEP_1) | instskip(NEXT) | instid1(VALU_DEP_1)
	v_lshrrev_b32_e32 v19, s31, v19
	v_and_b32_e32 v19, s48, v19
	s_delay_alu instid0(VALU_DEP_1) | instskip(SKIP_3) | instid1(SALU_CYCLE_1)
	v_lshl_or_b32 v19, v19, 4, v62
	ds_add_u32 v19, v84
	s_wait_alu 0xfffe
	s_or_b32 exec_lo, exec_lo, s1
	s_mov_b32 s1, exec_lo
	v_cmpx_gt_u32_e64 s0, v52
	s_cbranch_execz .LBB1331_336
.LBB1331_351:                           ;   in Loop: Header=BB1331_308 Depth=2
	v_cmp_gt_i32_e32 vcc_lo, 0, v12
	s_wait_alu 0xfffd
	v_cndmask_b32_e64 v19, 0x7fffffff, 0, vcc_lo
	s_delay_alu instid0(VALU_DEP_1) | instskip(NEXT) | instid1(VALU_DEP_1)
	v_xor_b32_e32 v19, v19, v12
	v_cmp_ne_u32_e32 vcc_lo, 0x80000000, v19
	s_wait_alu 0xfffd
	v_cndmask_b32_e32 v19, 0x7fffffff, v19, vcc_lo
	s_delay_alu instid0(VALU_DEP_1) | instskip(NEXT) | instid1(VALU_DEP_1)
	v_lshrrev_b32_e32 v19, s31, v19
	v_and_b32_e32 v19, s48, v19
	s_delay_alu instid0(VALU_DEP_1) | instskip(SKIP_3) | instid1(SALU_CYCLE_1)
	v_lshl_or_b32 v19, v19, 4, v62
	ds_add_u32 v19, v84
	s_wait_alu 0xfffe
	s_or_b32 exec_lo, exec_lo, s1
	s_mov_b32 s1, exec_lo
	v_cmpx_gt_u32_e64 s0, v53
	s_cbranch_execz .LBB1331_337
.LBB1331_352:                           ;   in Loop: Header=BB1331_308 Depth=2
	v_cmp_gt_i32_e32 vcc_lo, 0, v11
	s_wait_alu 0xfffd
	v_cndmask_b32_e64 v19, 0x7fffffff, 0, vcc_lo
	s_delay_alu instid0(VALU_DEP_1) | instskip(NEXT) | instid1(VALU_DEP_1)
	v_xor_b32_e32 v19, v19, v11
	v_cmp_ne_u32_e32 vcc_lo, 0x80000000, v19
	s_wait_alu 0xfffd
	v_cndmask_b32_e32 v19, 0x7fffffff, v19, vcc_lo
	s_delay_alu instid0(VALU_DEP_1) | instskip(NEXT) | instid1(VALU_DEP_1)
	v_lshrrev_b32_e32 v19, s31, v19
	v_and_b32_e32 v19, s48, v19
	s_delay_alu instid0(VALU_DEP_1) | instskip(SKIP_3) | instid1(SALU_CYCLE_1)
	v_lshl_or_b32 v19, v19, 4, v62
	ds_add_u32 v19, v84
	s_wait_alu 0xfffe
	s_or_b32 exec_lo, exec_lo, s1
	s_mov_b32 s1, exec_lo
	v_cmpx_gt_u32_e64 s0, v54
	s_cbranch_execz .LBB1331_338
.LBB1331_353:                           ;   in Loop: Header=BB1331_308 Depth=2
	v_cmp_gt_i32_e32 vcc_lo, 0, v10
	s_wait_alu 0xfffd
	v_cndmask_b32_e64 v19, 0x7fffffff, 0, vcc_lo
	s_delay_alu instid0(VALU_DEP_1) | instskip(NEXT) | instid1(VALU_DEP_1)
	v_xor_b32_e32 v19, v19, v10
	v_cmp_ne_u32_e32 vcc_lo, 0x80000000, v19
	s_wait_alu 0xfffd
	v_cndmask_b32_e32 v19, 0x7fffffff, v19, vcc_lo
	s_delay_alu instid0(VALU_DEP_1) | instskip(NEXT) | instid1(VALU_DEP_1)
	v_lshrrev_b32_e32 v19, s31, v19
	v_and_b32_e32 v19, s48, v19
	s_delay_alu instid0(VALU_DEP_1) | instskip(SKIP_3) | instid1(SALU_CYCLE_1)
	v_lshl_or_b32 v19, v19, 4, v62
	ds_add_u32 v19, v84
	s_wait_alu 0xfffe
	s_or_b32 exec_lo, exec_lo, s1
	s_mov_b32 s1, exec_lo
	v_cmpx_gt_u32_e64 s0, v55
	s_cbranch_execz .LBB1331_339
.LBB1331_354:                           ;   in Loop: Header=BB1331_308 Depth=2
	v_cmp_gt_i32_e32 vcc_lo, 0, v9
	s_wait_alu 0xfffd
	v_cndmask_b32_e64 v19, 0x7fffffff, 0, vcc_lo
	s_delay_alu instid0(VALU_DEP_1) | instskip(NEXT) | instid1(VALU_DEP_1)
	v_xor_b32_e32 v19, v19, v9
	v_cmp_ne_u32_e32 vcc_lo, 0x80000000, v19
	s_wait_alu 0xfffd
	v_cndmask_b32_e32 v19, 0x7fffffff, v19, vcc_lo
	s_delay_alu instid0(VALU_DEP_1) | instskip(NEXT) | instid1(VALU_DEP_1)
	v_lshrrev_b32_e32 v19, s31, v19
	v_and_b32_e32 v19, s48, v19
	s_delay_alu instid0(VALU_DEP_1) | instskip(SKIP_3) | instid1(SALU_CYCLE_1)
	v_lshl_or_b32 v19, v19, 4, v62
	ds_add_u32 v19, v84
	s_wait_alu 0xfffe
	s_or_b32 exec_lo, exec_lo, s1
	s_mov_b32 s1, exec_lo
	v_cmpx_gt_u32_e64 s0, v56
	s_cbranch_execz .LBB1331_340
.LBB1331_355:                           ;   in Loop: Header=BB1331_308 Depth=2
	v_cmp_gt_i32_e32 vcc_lo, 0, v8
	s_wait_alu 0xfffd
	v_cndmask_b32_e64 v19, 0x7fffffff, 0, vcc_lo
	s_delay_alu instid0(VALU_DEP_1) | instskip(NEXT) | instid1(VALU_DEP_1)
	v_xor_b32_e32 v19, v19, v8
	v_cmp_ne_u32_e32 vcc_lo, 0x80000000, v19
	s_wait_alu 0xfffd
	v_cndmask_b32_e32 v19, 0x7fffffff, v19, vcc_lo
	s_delay_alu instid0(VALU_DEP_1) | instskip(NEXT) | instid1(VALU_DEP_1)
	v_lshrrev_b32_e32 v19, s31, v19
	v_and_b32_e32 v19, s48, v19
	s_delay_alu instid0(VALU_DEP_1) | instskip(SKIP_3) | instid1(SALU_CYCLE_1)
	v_lshl_or_b32 v19, v19, 4, v62
	ds_add_u32 v19, v84
	s_wait_alu 0xfffe
	s_or_b32 exec_lo, exec_lo, s1
	s_mov_b32 s1, exec_lo
	v_cmpx_gt_u32_e64 s0, v57
	s_cbranch_execz .LBB1331_341
.LBB1331_356:                           ;   in Loop: Header=BB1331_308 Depth=2
	v_cmp_gt_i32_e32 vcc_lo, 0, v7
	s_wait_alu 0xfffd
	v_cndmask_b32_e64 v19, 0x7fffffff, 0, vcc_lo
	s_delay_alu instid0(VALU_DEP_1) | instskip(NEXT) | instid1(VALU_DEP_1)
	v_xor_b32_e32 v19, v19, v7
	v_cmp_ne_u32_e32 vcc_lo, 0x80000000, v19
	s_wait_alu 0xfffd
	v_cndmask_b32_e32 v19, 0x7fffffff, v19, vcc_lo
	s_delay_alu instid0(VALU_DEP_1) | instskip(NEXT) | instid1(VALU_DEP_1)
	v_lshrrev_b32_e32 v19, s31, v19
	v_and_b32_e32 v19, s48, v19
	s_delay_alu instid0(VALU_DEP_1) | instskip(SKIP_3) | instid1(SALU_CYCLE_1)
	v_lshl_or_b32 v19, v19, 4, v62
	ds_add_u32 v19, v84
	s_wait_alu 0xfffe
	s_or_b32 exec_lo, exec_lo, s1
	s_mov_b32 s1, exec_lo
	v_cmpx_gt_u32_e64 s0, v58
	s_cbranch_execz .LBB1331_342
.LBB1331_357:                           ;   in Loop: Header=BB1331_308 Depth=2
	v_cmp_gt_i32_e32 vcc_lo, 0, v6
	s_wait_alu 0xfffd
	v_cndmask_b32_e64 v19, 0x7fffffff, 0, vcc_lo
	s_delay_alu instid0(VALU_DEP_1) | instskip(NEXT) | instid1(VALU_DEP_1)
	v_xor_b32_e32 v19, v19, v6
	v_cmp_ne_u32_e32 vcc_lo, 0x80000000, v19
	s_wait_alu 0xfffd
	v_cndmask_b32_e32 v19, 0x7fffffff, v19, vcc_lo
	s_delay_alu instid0(VALU_DEP_1) | instskip(NEXT) | instid1(VALU_DEP_1)
	v_lshrrev_b32_e32 v19, s31, v19
	v_and_b32_e32 v19, s48, v19
	s_delay_alu instid0(VALU_DEP_1) | instskip(SKIP_3) | instid1(SALU_CYCLE_1)
	v_lshl_or_b32 v19, v19, 4, v62
	ds_add_u32 v19, v84
	s_wait_alu 0xfffe
	s_or_b32 exec_lo, exec_lo, s1
	s_mov_b32 s1, exec_lo
	v_cmpx_gt_u32_e64 s0, v59
	s_cbranch_execz .LBB1331_343
.LBB1331_358:                           ;   in Loop: Header=BB1331_308 Depth=2
	v_cmp_gt_i32_e32 vcc_lo, 0, v5
	s_wait_alu 0xfffd
	v_cndmask_b32_e64 v19, 0x7fffffff, 0, vcc_lo
	s_delay_alu instid0(VALU_DEP_1) | instskip(NEXT) | instid1(VALU_DEP_1)
	v_xor_b32_e32 v19, v19, v5
	v_cmp_ne_u32_e32 vcc_lo, 0x80000000, v19
	s_wait_alu 0xfffd
	v_cndmask_b32_e32 v19, 0x7fffffff, v19, vcc_lo
	s_delay_alu instid0(VALU_DEP_1) | instskip(NEXT) | instid1(VALU_DEP_1)
	v_lshrrev_b32_e32 v19, s31, v19
	v_and_b32_e32 v19, s48, v19
	s_delay_alu instid0(VALU_DEP_1) | instskip(SKIP_3) | instid1(SALU_CYCLE_1)
	v_lshl_or_b32 v19, v19, 4, v62
	ds_add_u32 v19, v84
	s_wait_alu 0xfffe
	s_or_b32 exec_lo, exec_lo, s1
	s_mov_b32 s1, exec_lo
	v_cmpx_gt_u32_e64 s0, v60
	s_cbranch_execz .LBB1331_344
.LBB1331_359:                           ;   in Loop: Header=BB1331_308 Depth=2
	v_cmp_gt_i32_e32 vcc_lo, 0, v4
	s_wait_alu 0xfffd
	v_cndmask_b32_e64 v19, 0x7fffffff, 0, vcc_lo
	s_delay_alu instid0(VALU_DEP_1) | instskip(NEXT) | instid1(VALU_DEP_1)
	v_xor_b32_e32 v19, v19, v4
	v_cmp_ne_u32_e32 vcc_lo, 0x80000000, v19
	s_wait_alu 0xfffd
	v_cndmask_b32_e32 v19, 0x7fffffff, v19, vcc_lo
	s_delay_alu instid0(VALU_DEP_1) | instskip(NEXT) | instid1(VALU_DEP_1)
	v_lshrrev_b32_e32 v19, s31, v19
	v_and_b32_e32 v19, s48, v19
	s_delay_alu instid0(VALU_DEP_1)
	v_lshl_or_b32 v19, v19, 4, v62
	ds_add_u32 v19, v84
	s_wait_alu 0xfffe
	s_or_b32 exec_lo, exec_lo, s1
	v_cmp_gt_u32_e32 vcc_lo, s0, v61
	s_and_saveexec_b32 s0, vcc_lo
	s_cbranch_execz .LBB1331_307
.LBB1331_360:                           ;   in Loop: Header=BB1331_308 Depth=2
	v_cmp_gt_i32_e32 vcc_lo, 0, v2
	s_wait_alu 0xfffd
	v_cndmask_b32_e64 v19, 0x7fffffff, 0, vcc_lo
	s_delay_alu instid0(VALU_DEP_1) | instskip(NEXT) | instid1(VALU_DEP_1)
	v_xor_b32_e32 v19, v19, v2
	v_cmp_ne_u32_e32 vcc_lo, 0x80000000, v19
	s_wait_alu 0xfffd
	v_cndmask_b32_e32 v19, 0x7fffffff, v19, vcc_lo
	s_delay_alu instid0(VALU_DEP_1) | instskip(NEXT) | instid1(VALU_DEP_1)
	v_lshrrev_b32_e32 v19, s31, v19
	v_and_b32_e32 v19, s48, v19
	s_delay_alu instid0(VALU_DEP_1)
	v_lshl_or_b32 v19, v19, 4, v62
	ds_add_u32 v19, v84
	s_branch .LBB1331_307
.LBB1331_361:                           ;   in Loop: Header=BB1331_308 Depth=2
	global_load_b32 v18, v108, s[0:1]
	s_or_b32 exec_lo, exec_lo, s11
	s_delay_alu instid0(SALU_CYCLE_1)
	s_mov_b32 s11, exec_lo
	v_cmpx_gt_u32_e64 s9, v45
	s_cbranch_execz .LBB1331_313
.LBB1331_362:                           ;   in Loop: Header=BB1331_308 Depth=2
	global_load_b32 v17, v108, s[0:1] offset:1024
	s_wait_alu 0xfffe
	s_or_b32 exec_lo, exec_lo, s11
	s_delay_alu instid0(SALU_CYCLE_1)
	s_mov_b32 s11, exec_lo
	v_cmpx_gt_u32_e64 s9, v46
	s_cbranch_execz .LBB1331_314
.LBB1331_363:                           ;   in Loop: Header=BB1331_308 Depth=2
	global_load_b32 v16, v108, s[0:1] offset:2048
	s_wait_alu 0xfffe
	s_or_b32 exec_lo, exec_lo, s11
	s_delay_alu instid0(SALU_CYCLE_1)
	s_mov_b32 s11, exec_lo
	v_cmpx_gt_u32_e64 s9, v47
	s_cbranch_execz .LBB1331_315
.LBB1331_364:                           ;   in Loop: Header=BB1331_308 Depth=2
	global_load_b32 v15, v108, s[0:1] offset:3072
	s_wait_alu 0xfffe
	s_or_b32 exec_lo, exec_lo, s11
	s_delay_alu instid0(SALU_CYCLE_1)
	s_mov_b32 s11, exec_lo
	v_cmpx_gt_u32_e64 s9, v50
	s_cbranch_execz .LBB1331_316
.LBB1331_365:                           ;   in Loop: Header=BB1331_308 Depth=2
	global_load_b32 v14, v108, s[0:1] offset:4096
	s_wait_alu 0xfffe
	s_or_b32 exec_lo, exec_lo, s11
	s_delay_alu instid0(SALU_CYCLE_1)
	s_mov_b32 s11, exec_lo
	v_cmpx_gt_u32_e64 s9, v51
	s_cbranch_execz .LBB1331_317
.LBB1331_366:                           ;   in Loop: Header=BB1331_308 Depth=2
	global_load_b32 v13, v108, s[0:1] offset:5120
	s_wait_alu 0xfffe
	s_or_b32 exec_lo, exec_lo, s11
	s_delay_alu instid0(SALU_CYCLE_1)
	s_mov_b32 s11, exec_lo
	v_cmpx_gt_u32_e64 s9, v52
	s_cbranch_execz .LBB1331_318
.LBB1331_367:                           ;   in Loop: Header=BB1331_308 Depth=2
	global_load_b32 v12, v108, s[0:1] offset:6144
	s_wait_alu 0xfffe
	s_or_b32 exec_lo, exec_lo, s11
	s_delay_alu instid0(SALU_CYCLE_1)
	s_mov_b32 s11, exec_lo
	v_cmpx_gt_u32_e64 s9, v53
	s_cbranch_execz .LBB1331_319
.LBB1331_368:                           ;   in Loop: Header=BB1331_308 Depth=2
	global_load_b32 v11, v108, s[0:1] offset:7168
	s_wait_alu 0xfffe
	s_or_b32 exec_lo, exec_lo, s11
	s_delay_alu instid0(SALU_CYCLE_1)
	s_mov_b32 s11, exec_lo
	v_cmpx_gt_u32_e64 s9, v54
	s_cbranch_execz .LBB1331_320
.LBB1331_369:                           ;   in Loop: Header=BB1331_308 Depth=2
	global_load_b32 v10, v108, s[0:1] offset:8192
	s_wait_alu 0xfffe
	s_or_b32 exec_lo, exec_lo, s11
	s_delay_alu instid0(SALU_CYCLE_1)
	s_mov_b32 s11, exec_lo
	v_cmpx_gt_u32_e64 s9, v55
	s_cbranch_execz .LBB1331_321
.LBB1331_370:                           ;   in Loop: Header=BB1331_308 Depth=2
	global_load_b32 v9, v108, s[0:1] offset:9216
	s_wait_alu 0xfffe
	s_or_b32 exec_lo, exec_lo, s11
	s_delay_alu instid0(SALU_CYCLE_1)
	s_mov_b32 s11, exec_lo
	v_cmpx_gt_u32_e64 s9, v56
	s_cbranch_execz .LBB1331_322
.LBB1331_371:                           ;   in Loop: Header=BB1331_308 Depth=2
	global_load_b32 v8, v108, s[0:1] offset:10240
	s_wait_alu 0xfffe
	s_or_b32 exec_lo, exec_lo, s11
	s_delay_alu instid0(SALU_CYCLE_1)
	s_mov_b32 s11, exec_lo
	v_cmpx_gt_u32_e64 s9, v57
	s_cbranch_execz .LBB1331_323
.LBB1331_372:                           ;   in Loop: Header=BB1331_308 Depth=2
	global_load_b32 v7, v108, s[0:1] offset:11264
	s_wait_alu 0xfffe
	s_or_b32 exec_lo, exec_lo, s11
	s_delay_alu instid0(SALU_CYCLE_1)
	s_mov_b32 s11, exec_lo
	v_cmpx_gt_u32_e64 s9, v58
	s_cbranch_execz .LBB1331_324
.LBB1331_373:                           ;   in Loop: Header=BB1331_308 Depth=2
	global_load_b32 v6, v108, s[0:1] offset:12288
	s_wait_alu 0xfffe
	s_or_b32 exec_lo, exec_lo, s11
	s_delay_alu instid0(SALU_CYCLE_1)
	s_mov_b32 s11, exec_lo
	v_cmpx_gt_u32_e64 s9, v59
	s_cbranch_execz .LBB1331_325
.LBB1331_374:                           ;   in Loop: Header=BB1331_308 Depth=2
	global_load_b32 v5, v108, s[0:1] offset:13312
	s_wait_alu 0xfffe
	s_or_b32 exec_lo, exec_lo, s11
	s_delay_alu instid0(SALU_CYCLE_1)
	s_mov_b32 s11, exec_lo
	v_cmpx_gt_u32_e64 s9, v60
	s_cbranch_execz .LBB1331_326
.LBB1331_375:                           ;   in Loop: Header=BB1331_308 Depth=2
	global_load_b32 v4, v108, s[0:1] offset:14336
	s_wait_alu 0xfffe
	s_or_b32 exec_lo, exec_lo, s11
	s_delay_alu instid0(SALU_CYCLE_1)
	s_mov_b32 s11, exec_lo
	v_cmpx_gt_u32_e64 s9, v61
	s_cbranch_execnz .LBB1331_327
	s_branch .LBB1331_328
.LBB1331_376:                           ;   in Loop: Header=BB1331_12 Depth=1
	v_mov_b32_e32 v2, 0
	s_wait_dscnt 0x0
	s_barrier_signal -1
	s_barrier_wait -1
	global_inv scope:SCOPE_SE
	s_and_saveexec_b32 s0, s2
	s_cbranch_execz .LBB1331_378
; %bb.377:                              ;   in Loop: Header=BB1331_12 Depth=1
	ds_load_2addr_b64 v[4:7], v64 offset1:1
	s_wait_dscnt 0x0
	v_add_nc_u32_e32 v2, v5, v4
	s_delay_alu instid0(VALU_DEP_1)
	v_add3_u32 v2, v2, v6, v7
.LBB1331_378:                           ;   in Loop: Header=BB1331_12 Depth=1
	s_wait_alu 0xfffe
	s_or_b32 exec_lo, exec_lo, s0
	s_delay_alu instid0(VALU_DEP_1)
	v_mov_b32_dpp v4, v2 row_shr:1 row_mask:0xf bank_mask:0xf
	v_cmp_eq_u32_e64 s0, 0, v85
	v_cmp_lt_u32_e64 s1, 1, v85
	v_cmp_lt_u32_e64 s9, 3, v85
	;; [unrolled: 1-line block ×3, first 2 shown]
	v_cmp_eq_u32_e64 s11, 0, v87
	s_wait_alu 0xf1ff
	v_cndmask_b32_e64 v4, v4, 0, s0
	s_delay_alu instid0(VALU_DEP_1) | instskip(NEXT) | instid1(VALU_DEP_1)
	v_add_nc_u32_e32 v2, v4, v2
	v_mov_b32_dpp v4, v2 row_shr:2 row_mask:0xf bank_mask:0xf
	s_delay_alu instid0(VALU_DEP_1) | instskip(NEXT) | instid1(VALU_DEP_1)
	v_cndmask_b32_e64 v4, 0, v4, s1
	v_add_nc_u32_e32 v2, v2, v4
	s_delay_alu instid0(VALU_DEP_1) | instskip(NEXT) | instid1(VALU_DEP_1)
	v_mov_b32_dpp v4, v2 row_shr:4 row_mask:0xf bank_mask:0xf
	v_cndmask_b32_e64 v4, 0, v4, s9
	s_delay_alu instid0(VALU_DEP_1) | instskip(NEXT) | instid1(VALU_DEP_1)
	v_add_nc_u32_e32 v2, v2, v4
	v_mov_b32_dpp v4, v2 row_shr:8 row_mask:0xf bank_mask:0xf
	s_delay_alu instid0(VALU_DEP_1) | instskip(NEXT) | instid1(VALU_DEP_1)
	v_cndmask_b32_e64 v4, 0, v4, s10
	v_add_nc_u32_e32 v2, v2, v4
	ds_swizzle_b32 v4, v2 offset:swizzle(BROADCAST,32,15)
	s_wait_dscnt 0x0
	v_and_b32_e32 v4, v86, v4
	s_delay_alu instid0(VALU_DEP_1)
	v_add_nc_u32_e32 v2, v2, v4
	s_and_saveexec_b32 s12, s3
; %bb.379:                              ;   in Loop: Header=BB1331_12 Depth=1
	ds_store_b32 v65, v2
; %bb.380:                              ;   in Loop: Header=BB1331_12 Depth=1
	s_wait_alu 0xfffe
	s_or_b32 exec_lo, exec_lo, s12
	s_wait_loadcnt_dscnt 0x0
	s_barrier_signal -1
	s_barrier_wait -1
	global_inv scope:SCOPE_SE
	s_and_saveexec_b32 s12, s4
	s_cbranch_execz .LBB1331_382
; %bb.381:                              ;   in Loop: Header=BB1331_12 Depth=1
	ds_load_b32 v4, v66
	v_cmp_ne_u32_e32 vcc_lo, 0, v89
	s_wait_dscnt 0x0
	v_mov_b32_dpp v5, v4 row_shr:1 row_mask:0xf bank_mask:0xf
	s_wait_alu 0xfffd
	s_delay_alu instid0(VALU_DEP_1) | instskip(SKIP_1) | instid1(VALU_DEP_2)
	v_cndmask_b32_e32 v5, 0, v5, vcc_lo
	v_cmp_lt_u32_e32 vcc_lo, 1, v89
	v_add_nc_u32_e32 v4, v5, v4
	s_delay_alu instid0(VALU_DEP_1) | instskip(SKIP_1) | instid1(VALU_DEP_1)
	v_mov_b32_dpp v5, v4 row_shr:2 row_mask:0xf bank_mask:0xf
	s_wait_alu 0xfffd
	v_cndmask_b32_e32 v5, 0, v5, vcc_lo
	v_cmp_lt_u32_e32 vcc_lo, 3, v89
	s_delay_alu instid0(VALU_DEP_2) | instskip(NEXT) | instid1(VALU_DEP_1)
	v_add_nc_u32_e32 v4, v4, v5
	v_mov_b32_dpp v5, v4 row_shr:4 row_mask:0xf bank_mask:0xf
	s_wait_alu 0xfffd
	s_delay_alu instid0(VALU_DEP_1) | instskip(NEXT) | instid1(VALU_DEP_1)
	v_cndmask_b32_e32 v5, 0, v5, vcc_lo
	v_add_nc_u32_e32 v4, v4, v5
	ds_store_b32 v66, v4
.LBB1331_382:                           ;   in Loop: Header=BB1331_12 Depth=1
	s_wait_alu 0xfffe
	s_or_b32 exec_lo, exec_lo, s12
	v_mov_b32_e32 v4, 0
	s_wait_loadcnt_dscnt 0x0
	s_barrier_signal -1
	s_barrier_wait -1
	global_inv scope:SCOPE_SE
	s_and_saveexec_b32 s12, s5
; %bb.383:                              ;   in Loop: Header=BB1331_12 Depth=1
	ds_load_b32 v4, v68
; %bb.384:                              ;   in Loop: Header=BB1331_12 Depth=1
	s_wait_alu 0xfffe
	s_or_b32 exec_lo, exec_lo, s12
	v_cmp_gt_i32_e32 vcc_lo, 0, v90
	s_wait_loadcnt_dscnt 0x0
	s_barrier_signal -1
	s_barrier_wait -1
	global_inv scope:SCOPE_SE
	s_wait_alu 0xfffd
	v_dual_cndmask_b32 v5, v90, v81 :: v_dual_add_nc_u32 v2, v4, v2
	s_delay_alu instid0(VALU_DEP_1)
	v_lshlrev_b32_e32 v113, 2, v5
	ds_bpermute_b32 v2, v113, v2
	s_and_saveexec_b32 s12, s2
	s_cbranch_execz .LBB1331_386
; %bb.385:                              ;   in Loop: Header=BB1331_12 Depth=1
	s_wait_dscnt 0x0
	v_cndmask_b32_e64 v2, v2, v4, s8
	s_delay_alu instid0(VALU_DEP_1)
	v_add_nc_u32_e32 v2, s33, v2
	ds_store_b32 v44, v2
.LBB1331_386:                           ;   in Loop: Header=BB1331_12 Depth=1
	s_wait_alu 0xfffe
	s_or_b32 exec_lo, exec_lo, s12
	s_load_b64 s[12:13], s[34:35], 0x0
	v_add_co_u32 v114, vcc_lo, v73, v91
	s_wait_alu 0xfffd
	v_add_co_ci_u32_e64 v115, null, 0, v74, vcc_lo
	v_add_co_u32 v116, vcc_lo, v75, v107
	s_wait_alu 0xfffd
	v_add_co_ci_u32_e64 v117, null, 0, v76, vcc_lo
	s_mov_b32 s54, s53
                                        ; implicit-def: $vgpr6_vgpr7
                                        ; implicit-def: $vgpr8_vgpr9
                                        ; implicit-def: $vgpr10_vgpr11
                                        ; implicit-def: $vgpr12_vgpr13
                                        ; implicit-def: $vgpr14_vgpr15
                                        ; implicit-def: $vgpr16_vgpr17
                                        ; implicit-def: $vgpr18_vgpr19
                                        ; implicit-def: $vgpr20_vgpr21
                                        ; implicit-def: $vgpr22_vgpr23
                                        ; implicit-def: $vgpr24_vgpr25
                                        ; implicit-def: $vgpr26_vgpr27
                                        ; implicit-def: $vgpr28_vgpr29
                                        ; implicit-def: $vgpr30_vgpr31
                                        ; implicit-def: $vgpr32_vgpr33
                                        ; implicit-def: $vgpr34_vgpr35
                                        ; implicit-def: $vgpr119
                                        ; implicit-def: $vgpr120
                                        ; implicit-def: $vgpr121
                                        ; implicit-def: $vgpr122
                                        ; implicit-def: $vgpr123
                                        ; implicit-def: $vgpr124
                                        ; implicit-def: $vgpr125
                                        ; implicit-def: $vgpr126
                                        ; implicit-def: $vgpr127
                                        ; implicit-def: $vgpr128
                                        ; implicit-def: $vgpr129
                                        ; implicit-def: $vgpr130
                                        ; implicit-def: $vgpr131
                                        ; implicit-def: $vgpr132
                                        ; implicit-def: $vgpr133
                                        ; implicit-def: $vgpr134
	s_wait_kmcnt 0x0
	s_cmp_lt_u32 ttmp7, s13
	s_cselect_b32 s42, 14, 20
	s_cmp_lt_u32 ttmp9, s12
	s_wait_alu 0xfffe
	s_add_nc_u64 s[14:15], s[34:35], s[42:43]
	s_cselect_b32 s42, 12, 18
	s_load_u16 s14, s[14:15], 0x0
	s_add_nc_u64 s[12:13], s[34:35], s[42:43]
	s_mov_b32 s42, s33
	s_load_u16 s12, s[12:13], 0x0
	v_cmp_lt_u32_e64 s13, 1, v89
	s_wait_dscnt 0x0
	s_wait_kmcnt 0x0
	v_mad_u32_u24 v2, v69, s14, v0
	v_cmp_lt_u32_e64 s14, 3, v89
	s_delay_alu instid0(VALU_DEP_2) | instskip(SKIP_1) | instid1(VALU_DEP_2)
	v_mad_co_u64_u32 v[4:5], null, v2, s12, v[1:2]
	v_cmp_eq_u32_e64 s12, 0, v89
	v_lshrrev_b32_e32 v2, 3, v4
                                        ; implicit-def: $vgpr4_vgpr5
	s_delay_alu instid0(VALU_DEP_1)
	v_and_b32_e32 v118, 0x1ffffffc, v2
	s_branch .LBB1331_388
.LBB1331_387:                           ;   in Loop: Header=BB1331_388 Depth=2
	s_wait_alu 0xfffe
	s_or_b32 exec_lo, exec_lo, s15
	s_addk_co_i32 s54, 0xf000
	s_cmp_lt_u32 s55, s51
	s_mov_b32 s42, s55
	s_cbranch_scc0 .LBB1331_596
.LBB1331_388:                           ;   Parent Loop BB1331_12 Depth=1
                                        ; =>  This Inner Loop Header: Depth=2
	s_wait_alu 0xfffe
	s_add_co_i32 s55, s42, 0x1000
	s_wait_alu 0xfffe
	s_cmp_gt_u32 s55, s51
	s_cbranch_scc1 .LBB1331_390
; %bb.389:                              ;   in Loop: Header=BB1331_388 Depth=2
	s_lshl_b64 s[16:17], s[42:43], 2
	s_mov_b32 s15, -1
	s_wait_alu 0xfffe
	v_add_co_u32 v36, vcc_lo, v116, s16
	s_wait_alu 0xfffd
	v_add_co_ci_u32_e64 v37, null, s17, v117, vcc_lo
	s_clause 0xe
	global_load_b32 v2, v[36:37], off
	global_load_b32 v136, v[36:37], off offset:128
	global_load_b32 v143, v[36:37], off offset:256
	;; [unrolled: 1-line block ×14, first 2 shown]
	s_movk_i32 s16, 0x1000
	s_cbranch_execz .LBB1331_391
	s_branch .LBB1331_422
.LBB1331_390:                           ;   in Loop: Header=BB1331_388 Depth=2
	s_mov_b32 s15, 0
                                        ; implicit-def: $vgpr2
                                        ; implicit-def: $vgpr136
                                        ; implicit-def: $vgpr143
                                        ; implicit-def: $vgpr147
                                        ; implicit-def: $vgpr151
                                        ; implicit-def: $vgpr155
                                        ; implicit-def: $vgpr159
                                        ; implicit-def: $vgpr163
                                        ; implicit-def: $vgpr166
                                        ; implicit-def: $vgpr43
                                        ; implicit-def: $vgpr42
                                        ; implicit-def: $vgpr41
                                        ; implicit-def: $vgpr40
                                        ; implicit-def: $vgpr39
                                        ; implicit-def: $vgpr38
	s_movk_i32 s16, 0x1000
.LBB1331_391:                           ;   in Loop: Header=BB1331_388 Depth=2
	s_lshl_b64 s[16:17], s[42:43], 2
	s_wait_loadcnt 0xd
	v_mov_b32_e32 v136, -1
	s_wait_alu 0xfffe
	v_add_co_u32 v36, vcc_lo, v116, s16
	s_wait_alu 0xfffd
	v_add_co_ci_u32_e64 v37, null, s17, v117, vcc_lo
	v_mov_b32_e32 v2, -1
	s_mov_b32 s15, exec_lo
	v_cmpx_gt_u32_e64 s54, v88
	s_cbranch_execz .LBB1331_393
; %bb.392:                              ;   in Loop: Header=BB1331_388 Depth=2
	global_load_b32 v2, v[36:37], off
.LBB1331_393:                           ;   in Loop: Header=BB1331_388 Depth=2
	s_wait_alu 0xfffe
	s_or_b32 exec_lo, exec_lo, s15
	s_delay_alu instid0(SALU_CYCLE_1)
	s_mov_b32 s15, exec_lo
	v_cmpx_gt_u32_e64 s54, v92
	s_cbranch_execz .LBB1331_395
; %bb.394:                              ;   in Loop: Header=BB1331_388 Depth=2
	global_load_b32 v136, v[36:37], off offset:128
.LBB1331_395:                           ;   in Loop: Header=BB1331_388 Depth=2
	s_wait_alu 0xfffe
	s_or_b32 exec_lo, exec_lo, s15
	s_wait_loadcnt 0xb
	v_mov_b32_e32 v147, -1
	v_mov_b32_e32 v143, -1
	s_mov_b32 s15, exec_lo
	v_cmpx_gt_u32_e64 s54, v93
	s_cbranch_execz .LBB1331_397
; %bb.396:                              ;   in Loop: Header=BB1331_388 Depth=2
	global_load_b32 v143, v[36:37], off offset:256
.LBB1331_397:                           ;   in Loop: Header=BB1331_388 Depth=2
	s_wait_alu 0xfffe
	s_or_b32 exec_lo, exec_lo, s15
	s_delay_alu instid0(SALU_CYCLE_1)
	s_mov_b32 s15, exec_lo
	v_cmpx_gt_u32_e64 s54, v94
	s_cbranch_execz .LBB1331_399
; %bb.398:                              ;   in Loop: Header=BB1331_388 Depth=2
	global_load_b32 v147, v[36:37], off offset:384
.LBB1331_399:                           ;   in Loop: Header=BB1331_388 Depth=2
	s_wait_alu 0xfffe
	s_or_b32 exec_lo, exec_lo, s15
	s_wait_loadcnt 0x9
	v_mov_b32_e32 v155, -1
	v_mov_b32_e32 v151, -1
	s_mov_b32 s15, exec_lo
	v_cmpx_gt_u32_e64 s54, v95
	s_cbranch_execz .LBB1331_401
; %bb.400:                              ;   in Loop: Header=BB1331_388 Depth=2
	global_load_b32 v151, v[36:37], off offset:512
.LBB1331_401:                           ;   in Loop: Header=BB1331_388 Depth=2
	;; [unrolled: 20-line block ×3, first 2 shown]
	s_wait_alu 0xfffe
	s_or_b32 exec_lo, exec_lo, s15
	s_delay_alu instid0(SALU_CYCLE_1)
	s_mov_b32 s15, exec_lo
	v_cmpx_gt_u32_e64 s54, v98
	s_cbranch_execz .LBB1331_407
; %bb.406:                              ;   in Loop: Header=BB1331_388 Depth=2
	global_load_b32 v163, v[36:37], off offset:896
.LBB1331_407:                           ;   in Loop: Header=BB1331_388 Depth=2
	s_wait_alu 0xfffe
	s_or_b32 exec_lo, exec_lo, s15
	s_wait_loadcnt 0x5
	v_dual_mov_b32 v43, -1 :: v_dual_mov_b32 v166, -1
	s_mov_b32 s15, exec_lo
	v_cmpx_gt_u32_e64 s54, v99
	s_cbranch_execz .LBB1331_409
; %bb.408:                              ;   in Loop: Header=BB1331_388 Depth=2
	global_load_b32 v166, v[36:37], off offset:1024
.LBB1331_409:                           ;   in Loop: Header=BB1331_388 Depth=2
	s_wait_alu 0xfffe
	s_or_b32 exec_lo, exec_lo, s15
	s_delay_alu instid0(SALU_CYCLE_1)
	s_mov_b32 s15, exec_lo
	v_cmpx_gt_u32_e64 s54, v100
	s_cbranch_execz .LBB1331_411
; %bb.410:                              ;   in Loop: Header=BB1331_388 Depth=2
	global_load_b32 v43, v[36:37], off offset:1152
.LBB1331_411:                           ;   in Loop: Header=BB1331_388 Depth=2
	s_wait_alu 0xfffe
	s_or_b32 exec_lo, exec_lo, s15
	s_wait_loadcnt 0x3
	v_dual_mov_b32 v41, -1 :: v_dual_mov_b32 v42, -1
	s_mov_b32 s15, exec_lo
	v_cmpx_gt_u32_e64 s54, v101
	s_cbranch_execz .LBB1331_413
; %bb.412:                              ;   in Loop: Header=BB1331_388 Depth=2
	global_load_b32 v42, v[36:37], off offset:1280
.LBB1331_413:                           ;   in Loop: Header=BB1331_388 Depth=2
	;; [unrolled: 19-line block ×3, first 2 shown]
	s_wait_alu 0xfffe
	s_or_b32 exec_lo, exec_lo, s15
	s_delay_alu instid0(SALU_CYCLE_1)
	s_mov_b32 s15, exec_lo
	v_cmpx_gt_u32_e64 s54, v104
	s_cbranch_execz .LBB1331_419
; %bb.418:                              ;   in Loop: Header=BB1331_388 Depth=2
	global_load_b32 v39, v[36:37], off offset:1664
.LBB1331_419:                           ;   in Loop: Header=BB1331_388 Depth=2
	s_wait_alu 0xfffe
	s_or_b32 exec_lo, exec_lo, s15
	s_wait_loadcnt 0x0
	v_mov_b32_e32 v38, -1
	s_mov_b32 s15, exec_lo
	v_cmpx_gt_u32_e64 s54, v105
	s_cbranch_execz .LBB1331_421
; %bb.420:                              ;   in Loop: Header=BB1331_388 Depth=2
	global_load_b32 v38, v[36:37], off offset:1792
.LBB1331_421:                           ;   in Loop: Header=BB1331_388 Depth=2
	s_wait_alu 0xfffe
	s_or_b32 exec_lo, exec_lo, s15
	v_cmp_gt_u32_e64 s15, s54, v106
	s_sub_co_i32 s16, s51, s42
.LBB1331_422:                           ;   in Loop: Header=BB1331_388 Depth=2
	v_dual_mov_b32 v36, -1 :: v_dual_mov_b32 v135, s54
	s_and_saveexec_b32 s17, s15
	s_cbranch_execz .LBB1331_424
; %bb.423:                              ;   in Loop: Header=BB1331_388 Depth=2
	s_lshl_b64 s[18:19], s[42:43], 2
	s_wait_alu 0xfffe
	v_mov_b32_e32 v135, s16
	v_add_co_u32 v36, vcc_lo, v116, s18
	s_wait_alu 0xfffd
	v_add_co_ci_u32_e64 v37, null, s19, v117, vcc_lo
	global_load_b32 v36, v[36:37], off offset:1920
.LBB1331_424:                           ;   in Loop: Header=BB1331_388 Depth=2
	s_wait_alu 0xfffe
	s_or_b32 exec_lo, exec_lo, s17
	s_wait_loadcnt 0xe
	v_cmp_gt_i32_e32 vcc_lo, 0, v2
	s_wait_alu 0xfffd
	v_cndmask_b32_e64 v37, 0x7fffffff, 0, vcc_lo
	s_delay_alu instid0(VALU_DEP_1) | instskip(NEXT) | instid1(VALU_DEP_1)
	v_xor_b32_e32 v2, v37, v2
	v_cmp_ne_u32_e32 vcc_lo, 0x80000000, v2
	s_wait_alu 0xfffd
	v_cndmask_b32_e32 v37, 0x7fffffff, v2, vcc_lo
	s_delay_alu instid0(VALU_DEP_1) | instskip(NEXT) | instid1(VALU_DEP_1)
	v_lshrrev_b32_e32 v37, s31, v37
	v_and_b32_e32 v142, s48, v37
	s_delay_alu instid0(VALU_DEP_1)
	v_and_b32_e32 v37, 1, v142
	v_lshlrev_b32_e32 v137, 30, v142
	v_lshlrev_b32_e32 v138, 29, v142
	;; [unrolled: 1-line block ×4, first 2 shown]
	v_add_co_u32 v37, s15, v37, -1
	s_wait_alu 0xf1ff
	v_cndmask_b32_e64 v140, 0, 1, s15
	v_not_b32_e32 v146, v137
	v_cmp_gt_i32_e64 s15, 0, v137
	v_not_b32_e32 v137, v138
	v_lshlrev_b32_e32 v144, 26, v142
	v_cmp_ne_u32_e32 vcc_lo, 0, v140
	v_ashrrev_i32_e32 v146, 31, v146
	v_lshlrev_b32_e32 v145, 25, v142
	v_ashrrev_i32_e32 v137, 31, v137
	v_lshlrev_b32_e32 v140, 24, v142
	s_wait_alu 0xfffd
	v_xor_b32_e32 v37, vcc_lo, v37
	v_cmp_gt_i32_e32 vcc_lo, 0, v138
	v_not_b32_e32 v138, v139
	s_wait_alu 0xf1ff
	v_xor_b32_e32 v146, s15, v146
	v_cmp_gt_i32_e64 s15, 0, v139
	v_and_b32_e32 v37, exec_lo, v37
	v_not_b32_e32 v139, v141
	v_ashrrev_i32_e32 v138, 31, v138
	s_wait_alu 0xfffd
	v_xor_b32_e32 v137, vcc_lo, v137
	v_cmp_gt_i32_e32 vcc_lo, 0, v141
	v_and_b32_e32 v37, v37, v146
	v_not_b32_e32 v141, v144
	v_ashrrev_i32_e32 v139, 31, v139
	s_wait_alu 0xf1ff
	v_xor_b32_e32 v138, s15, v138
	v_cmp_gt_i32_e64 s15, 0, v144
	v_and_b32_e32 v37, v37, v137
	v_not_b32_e32 v137, v145
	v_ashrrev_i32_e32 v141, 31, v141
	s_wait_alu 0xfffd
	v_xor_b32_e32 v139, vcc_lo, v139
	v_cmp_gt_i32_e32 vcc_lo, 0, v145
	v_and_b32_e32 v37, v37, v138
	v_not_b32_e32 v138, v140
	v_ashrrev_i32_e32 v137, 31, v137
	s_wait_alu 0xf1ff
	v_xor_b32_e32 v141, s15, v141
	v_cmp_gt_i32_e64 s15, 0, v140
	v_and_b32_e32 v37, v37, v139
	v_ashrrev_i32_e32 v138, 31, v138
	s_wait_alu 0xfffd
	v_xor_b32_e32 v137, vcc_lo, v137
	v_mul_u32_u24_e32 v142, 36, v142
	v_add_nc_u32_e32 v140, 0x428, v67
	v_and_b32_e32 v37, v37, v141
	s_wait_alu 0xf1ff
	v_xor_b32_e32 v139, s15, v138
	v_add_nc_u32_e32 v138, 0x438, v67
	v_add_nc_u32_e32 v141, 0x430, v67
	;; [unrolled: 1-line block ×3, first 2 shown]
	v_and_b32_e32 v37, v37, v137
	ds_store_2addr_b32 v138, v3, v3 offset1:1
	v_and_b32_e32 v37, v37, v139
	v_add_nc_u32_e32 v139, 0x420, v67
	ds_store_2addr_b32 v139, v3, v3 offset1:1
	ds_store_2addr_b32 v140, v3, v3 offset1:1
	;; [unrolled: 1-line block ×3, first 2 shown]
	ds_store_b32 v67, v3 offset:1088
	v_mbcnt_lo_u32_b32 v137, v37, 0
	v_cmp_ne_u32_e64 s15, 0, v37
	s_wait_loadcnt_dscnt 0x0
	s_barrier_signal -1
	s_barrier_wait -1
	v_cmp_eq_u32_e32 vcc_lo, 0, v137
	global_inv scope:SCOPE_SE
	; wave barrier
	s_and_b32 s16, s15, vcc_lo
	s_wait_alu 0xfffe
	s_and_saveexec_b32 s15, s16
; %bb.425:                              ;   in Loop: Header=BB1331_388 Depth=2
	v_bcnt_u32_b32 v37, v37, 0
	ds_store_b32 v142, v37 offset:1056
; %bb.426:                              ;   in Loop: Header=BB1331_388 Depth=2
	s_wait_alu 0xfffe
	s_or_b32 exec_lo, exec_lo, s15
	v_cmp_gt_i32_e32 vcc_lo, 0, v136
	; wave barrier
	s_wait_alu 0xfffd
	v_cndmask_b32_e64 v37, 0x7fffffff, 0, vcc_lo
	s_delay_alu instid0(VALU_DEP_1) | instskip(NEXT) | instid1(VALU_DEP_1)
	v_xor_b32_e32 v136, v37, v136
	v_cmp_ne_u32_e32 vcc_lo, 0x80000000, v136
	s_wait_alu 0xfffd
	v_cndmask_b32_e32 v37, 0x7fffffff, v136, vcc_lo
	s_delay_alu instid0(VALU_DEP_1) | instskip(NEXT) | instid1(VALU_DEP_1)
	v_lshrrev_b32_e32 v37, s31, v37
	v_and_b32_e32 v146, s48, v37
	s_delay_alu instid0(VALU_DEP_1)
	v_and_b32_e32 v37, 1, v146
	v_lshlrev_b32_e32 v144, 30, v146
	v_lshlrev_b32_e32 v145, 29, v146
	;; [unrolled: 1-line block ×4, first 2 shown]
	v_add_co_u32 v37, s15, v37, -1
	s_wait_alu 0xf1ff
	v_cndmask_b32_e64 v149, 0, 1, s15
	v_not_b32_e32 v154, v144
	v_cmp_gt_i32_e64 s15, 0, v144
	v_not_b32_e32 v144, v145
	v_lshlrev_b32_e32 v152, 26, v146
	v_cmp_ne_u32_e32 vcc_lo, 0, v149
	v_ashrrev_i32_e32 v154, 31, v154
	v_lshlrev_b32_e32 v153, 25, v146
	v_ashrrev_i32_e32 v144, 31, v144
	v_lshlrev_b32_e32 v149, 24, v146
	s_wait_alu 0xfffd
	v_xor_b32_e32 v37, vcc_lo, v37
	v_cmp_gt_i32_e32 vcc_lo, 0, v145
	v_not_b32_e32 v145, v148
	s_wait_alu 0xf1ff
	v_xor_b32_e32 v154, s15, v154
	v_cmp_gt_i32_e64 s15, 0, v148
	v_and_b32_e32 v37, exec_lo, v37
	v_not_b32_e32 v148, v150
	v_ashrrev_i32_e32 v145, 31, v145
	s_wait_alu 0xfffd
	v_xor_b32_e32 v144, vcc_lo, v144
	v_cmp_gt_i32_e32 vcc_lo, 0, v150
	v_and_b32_e32 v37, v37, v154
	v_not_b32_e32 v150, v152
	v_ashrrev_i32_e32 v148, 31, v148
	s_wait_alu 0xf1ff
	v_xor_b32_e32 v145, s15, v145
	v_cmp_gt_i32_e64 s15, 0, v152
	v_and_b32_e32 v37, v37, v144
	v_not_b32_e32 v144, v153
	v_ashrrev_i32_e32 v150, 31, v150
	s_wait_alu 0xfffd
	v_xor_b32_e32 v148, vcc_lo, v148
	v_cmp_gt_i32_e32 vcc_lo, 0, v153
	v_and_b32_e32 v37, v37, v145
	v_not_b32_e32 v145, v149
	v_ashrrev_i32_e32 v144, 31, v144
	s_wait_alu 0xf1ff
	v_xor_b32_e32 v150, s15, v150
	v_cmp_gt_i32_e64 s15, 0, v149
	v_and_b32_e32 v37, v37, v148
	v_ashrrev_i32_e32 v145, 31, v145
	s_wait_alu 0xfffd
	v_xor_b32_e32 v144, vcc_lo, v144
	v_mad_u32_u24 v148, v146, 36, v118
	v_mul_u32_u24_e32 v146, 36, v146
	v_and_b32_e32 v37, v37, v150
	s_wait_alu 0xf1ff
	v_xor_b32_e32 v145, s15, v145
	s_delay_alu instid0(VALU_DEP_3) | instskip(NEXT) | instid1(VALU_DEP_3)
	v_add_nc_u32_e32 v146, v118, v146
	v_and_b32_e32 v37, v37, v144
	ds_load_b32 v144, v148 offset:1056
	; wave barrier
	v_and_b32_e32 v37, v37, v145
	s_delay_alu instid0(VALU_DEP_1) | instskip(SKIP_1) | instid1(VALU_DEP_2)
	v_mbcnt_lo_u32_b32 v145, v37, 0
	v_cmp_ne_u32_e64 s15, 0, v37
	v_cmp_eq_u32_e32 vcc_lo, 0, v145
	s_and_b32 s16, s15, vcc_lo
	s_wait_alu 0xfffe
	s_and_saveexec_b32 s15, s16
	s_cbranch_execz .LBB1331_428
; %bb.427:                              ;   in Loop: Header=BB1331_388 Depth=2
	s_wait_dscnt 0x0
	v_bcnt_u32_b32 v37, v37, v144
	ds_store_b32 v146, v37 offset:1056
.LBB1331_428:                           ;   in Loop: Header=BB1331_388 Depth=2
	s_wait_alu 0xfffe
	s_or_b32 exec_lo, exec_lo, s15
	v_cmp_gt_i32_e32 vcc_lo, 0, v143
	; wave barrier
	s_wait_alu 0xfffd
	v_cndmask_b32_e64 v37, 0x7fffffff, 0, vcc_lo
	s_delay_alu instid0(VALU_DEP_1) | instskip(NEXT) | instid1(VALU_DEP_1)
	v_xor_b32_e32 v143, v37, v143
	v_cmp_ne_u32_e32 vcc_lo, 0x80000000, v143
	s_wait_alu 0xfffd
	v_cndmask_b32_e32 v37, 0x7fffffff, v143, vcc_lo
	s_delay_alu instid0(VALU_DEP_1) | instskip(NEXT) | instid1(VALU_DEP_1)
	v_lshrrev_b32_e32 v37, s31, v37
	v_and_b32_e32 v150, s48, v37
	s_delay_alu instid0(VALU_DEP_1)
	v_and_b32_e32 v37, 1, v150
	v_lshlrev_b32_e32 v148, 30, v150
	v_lshlrev_b32_e32 v149, 29, v150
	;; [unrolled: 1-line block ×4, first 2 shown]
	v_add_co_u32 v37, s15, v37, -1
	s_wait_alu 0xf1ff
	v_cndmask_b32_e64 v153, 0, 1, s15
	v_not_b32_e32 v158, v148
	v_cmp_gt_i32_e64 s15, 0, v148
	v_not_b32_e32 v148, v149
	v_lshlrev_b32_e32 v156, 26, v150
	v_cmp_ne_u32_e32 vcc_lo, 0, v153
	v_ashrrev_i32_e32 v158, 31, v158
	v_lshlrev_b32_e32 v157, 25, v150
	v_ashrrev_i32_e32 v148, 31, v148
	v_lshlrev_b32_e32 v153, 24, v150
	s_wait_alu 0xfffd
	v_xor_b32_e32 v37, vcc_lo, v37
	v_cmp_gt_i32_e32 vcc_lo, 0, v149
	v_not_b32_e32 v149, v152
	s_wait_alu 0xf1ff
	v_xor_b32_e32 v158, s15, v158
	v_cmp_gt_i32_e64 s15, 0, v152
	v_and_b32_e32 v37, exec_lo, v37
	v_not_b32_e32 v152, v154
	v_ashrrev_i32_e32 v149, 31, v149
	s_wait_alu 0xfffd
	v_xor_b32_e32 v148, vcc_lo, v148
	v_cmp_gt_i32_e32 vcc_lo, 0, v154
	v_and_b32_e32 v37, v37, v158
	v_not_b32_e32 v154, v156
	v_ashrrev_i32_e32 v152, 31, v152
	s_wait_alu 0xf1ff
	v_xor_b32_e32 v149, s15, v149
	v_cmp_gt_i32_e64 s15, 0, v156
	v_and_b32_e32 v37, v37, v148
	v_not_b32_e32 v148, v157
	v_ashrrev_i32_e32 v154, 31, v154
	s_wait_alu 0xfffd
	v_xor_b32_e32 v152, vcc_lo, v152
	v_cmp_gt_i32_e32 vcc_lo, 0, v157
	v_and_b32_e32 v37, v37, v149
	v_not_b32_e32 v149, v153
	v_ashrrev_i32_e32 v148, 31, v148
	s_wait_alu 0xf1ff
	v_xor_b32_e32 v154, s15, v154
	v_cmp_gt_i32_e64 s15, 0, v153
	v_and_b32_e32 v37, v37, v152
	v_ashrrev_i32_e32 v149, 31, v149
	s_wait_alu 0xfffd
	v_xor_b32_e32 v148, vcc_lo, v148
	v_mad_u32_u24 v152, v150, 36, v118
	v_mul_u32_u24_e32 v150, 36, v150
	v_and_b32_e32 v37, v37, v154
	s_wait_alu 0xf1ff
	v_xor_b32_e32 v149, s15, v149
	s_delay_alu instid0(VALU_DEP_3) | instskip(NEXT) | instid1(VALU_DEP_3)
	v_add_nc_u32_e32 v150, v118, v150
	v_and_b32_e32 v37, v37, v148
	ds_load_b32 v148, v152 offset:1056
	; wave barrier
	v_and_b32_e32 v37, v37, v149
	s_delay_alu instid0(VALU_DEP_1) | instskip(SKIP_1) | instid1(VALU_DEP_2)
	v_mbcnt_lo_u32_b32 v149, v37, 0
	v_cmp_ne_u32_e64 s15, 0, v37
	v_cmp_eq_u32_e32 vcc_lo, 0, v149
	s_and_b32 s16, s15, vcc_lo
	s_wait_alu 0xfffe
	s_and_saveexec_b32 s15, s16
	s_cbranch_execz .LBB1331_430
; %bb.429:                              ;   in Loop: Header=BB1331_388 Depth=2
	s_wait_dscnt 0x0
	v_bcnt_u32_b32 v37, v37, v148
	ds_store_b32 v150, v37 offset:1056
.LBB1331_430:                           ;   in Loop: Header=BB1331_388 Depth=2
	s_wait_alu 0xfffe
	s_or_b32 exec_lo, exec_lo, s15
	v_cmp_gt_i32_e32 vcc_lo, 0, v147
	; wave barrier
	s_wait_alu 0xfffd
	v_cndmask_b32_e64 v37, 0x7fffffff, 0, vcc_lo
	s_delay_alu instid0(VALU_DEP_1) | instskip(NEXT) | instid1(VALU_DEP_1)
	v_xor_b32_e32 v147, v37, v147
	v_cmp_ne_u32_e32 vcc_lo, 0x80000000, v147
	s_wait_alu 0xfffd
	v_cndmask_b32_e32 v37, 0x7fffffff, v147, vcc_lo
	s_delay_alu instid0(VALU_DEP_1) | instskip(NEXT) | instid1(VALU_DEP_1)
	v_lshrrev_b32_e32 v37, s31, v37
	v_and_b32_e32 v154, s48, v37
	s_delay_alu instid0(VALU_DEP_1)
	v_and_b32_e32 v37, 1, v154
	v_lshlrev_b32_e32 v152, 30, v154
	v_lshlrev_b32_e32 v153, 29, v154
	;; [unrolled: 1-line block ×4, first 2 shown]
	v_add_co_u32 v37, s15, v37, -1
	s_wait_alu 0xf1ff
	v_cndmask_b32_e64 v157, 0, 1, s15
	v_not_b32_e32 v162, v152
	v_cmp_gt_i32_e64 s15, 0, v152
	v_not_b32_e32 v152, v153
	v_lshlrev_b32_e32 v160, 26, v154
	v_cmp_ne_u32_e32 vcc_lo, 0, v157
	v_ashrrev_i32_e32 v162, 31, v162
	v_lshlrev_b32_e32 v161, 25, v154
	v_ashrrev_i32_e32 v152, 31, v152
	v_lshlrev_b32_e32 v157, 24, v154
	s_wait_alu 0xfffd
	v_xor_b32_e32 v37, vcc_lo, v37
	v_cmp_gt_i32_e32 vcc_lo, 0, v153
	v_not_b32_e32 v153, v156
	s_wait_alu 0xf1ff
	v_xor_b32_e32 v162, s15, v162
	v_cmp_gt_i32_e64 s15, 0, v156
	v_and_b32_e32 v37, exec_lo, v37
	v_not_b32_e32 v156, v158
	v_ashrrev_i32_e32 v153, 31, v153
	s_wait_alu 0xfffd
	v_xor_b32_e32 v152, vcc_lo, v152
	v_cmp_gt_i32_e32 vcc_lo, 0, v158
	v_and_b32_e32 v37, v37, v162
	v_not_b32_e32 v158, v160
	v_ashrrev_i32_e32 v156, 31, v156
	s_wait_alu 0xf1ff
	v_xor_b32_e32 v153, s15, v153
	v_cmp_gt_i32_e64 s15, 0, v160
	v_and_b32_e32 v37, v37, v152
	v_not_b32_e32 v152, v161
	v_ashrrev_i32_e32 v158, 31, v158
	s_wait_alu 0xfffd
	v_xor_b32_e32 v156, vcc_lo, v156
	v_cmp_gt_i32_e32 vcc_lo, 0, v161
	v_and_b32_e32 v37, v37, v153
	v_not_b32_e32 v153, v157
	v_ashrrev_i32_e32 v152, 31, v152
	s_wait_alu 0xf1ff
	v_xor_b32_e32 v158, s15, v158
	v_cmp_gt_i32_e64 s15, 0, v157
	v_and_b32_e32 v37, v37, v156
	v_ashrrev_i32_e32 v153, 31, v153
	s_wait_alu 0xfffd
	v_xor_b32_e32 v152, vcc_lo, v152
	v_mad_u32_u24 v156, v154, 36, v118
	v_mul_u32_u24_e32 v154, 36, v154
	v_and_b32_e32 v37, v37, v158
	s_wait_alu 0xf1ff
	v_xor_b32_e32 v153, s15, v153
	s_delay_alu instid0(VALU_DEP_3) | instskip(NEXT) | instid1(VALU_DEP_3)
	v_add_nc_u32_e32 v154, v118, v154
	v_and_b32_e32 v37, v37, v152
	ds_load_b32 v152, v156 offset:1056
	; wave barrier
	v_and_b32_e32 v37, v37, v153
	s_delay_alu instid0(VALU_DEP_1) | instskip(SKIP_1) | instid1(VALU_DEP_2)
	v_mbcnt_lo_u32_b32 v153, v37, 0
	v_cmp_ne_u32_e64 s15, 0, v37
	v_cmp_eq_u32_e32 vcc_lo, 0, v153
	s_and_b32 s16, s15, vcc_lo
	s_wait_alu 0xfffe
	s_and_saveexec_b32 s15, s16
	s_cbranch_execz .LBB1331_432
; %bb.431:                              ;   in Loop: Header=BB1331_388 Depth=2
	s_wait_dscnt 0x0
	v_bcnt_u32_b32 v37, v37, v152
	ds_store_b32 v154, v37 offset:1056
.LBB1331_432:                           ;   in Loop: Header=BB1331_388 Depth=2
	s_wait_alu 0xfffe
	s_or_b32 exec_lo, exec_lo, s15
	v_cmp_gt_i32_e32 vcc_lo, 0, v151
	; wave barrier
	s_wait_alu 0xfffd
	v_cndmask_b32_e64 v37, 0x7fffffff, 0, vcc_lo
	s_delay_alu instid0(VALU_DEP_1) | instskip(NEXT) | instid1(VALU_DEP_1)
	v_xor_b32_e32 v151, v37, v151
	v_cmp_ne_u32_e32 vcc_lo, 0x80000000, v151
	s_wait_alu 0xfffd
	v_cndmask_b32_e32 v37, 0x7fffffff, v151, vcc_lo
	s_delay_alu instid0(VALU_DEP_1) | instskip(NEXT) | instid1(VALU_DEP_1)
	v_lshrrev_b32_e32 v37, s31, v37
	v_and_b32_e32 v158, s48, v37
	s_delay_alu instid0(VALU_DEP_1)
	v_and_b32_e32 v37, 1, v158
	v_lshlrev_b32_e32 v156, 30, v158
	v_lshlrev_b32_e32 v157, 29, v158
	;; [unrolled: 1-line block ×4, first 2 shown]
	v_add_co_u32 v37, s15, v37, -1
	s_wait_alu 0xf1ff
	v_cndmask_b32_e64 v161, 0, 1, s15
	v_not_b32_e32 v167, v156
	v_cmp_gt_i32_e64 s15, 0, v156
	v_not_b32_e32 v156, v157
	v_lshlrev_b32_e32 v164, 26, v158
	v_cmp_ne_u32_e32 vcc_lo, 0, v161
	v_ashrrev_i32_e32 v167, 31, v167
	v_lshlrev_b32_e32 v165, 25, v158
	v_ashrrev_i32_e32 v156, 31, v156
	v_lshlrev_b32_e32 v161, 24, v158
	s_wait_alu 0xfffd
	v_xor_b32_e32 v37, vcc_lo, v37
	v_cmp_gt_i32_e32 vcc_lo, 0, v157
	v_not_b32_e32 v157, v160
	s_wait_alu 0xf1ff
	v_xor_b32_e32 v167, s15, v167
	v_cmp_gt_i32_e64 s15, 0, v160
	v_and_b32_e32 v37, exec_lo, v37
	v_not_b32_e32 v160, v162
	v_ashrrev_i32_e32 v157, 31, v157
	s_wait_alu 0xfffd
	v_xor_b32_e32 v156, vcc_lo, v156
	v_cmp_gt_i32_e32 vcc_lo, 0, v162
	v_and_b32_e32 v37, v37, v167
	v_not_b32_e32 v162, v164
	v_ashrrev_i32_e32 v160, 31, v160
	s_wait_alu 0xf1ff
	v_xor_b32_e32 v157, s15, v157
	v_cmp_gt_i32_e64 s15, 0, v164
	v_and_b32_e32 v37, v37, v156
	v_not_b32_e32 v156, v165
	v_ashrrev_i32_e32 v162, 31, v162
	s_wait_alu 0xfffd
	v_xor_b32_e32 v160, vcc_lo, v160
	v_cmp_gt_i32_e32 vcc_lo, 0, v165
	v_and_b32_e32 v37, v37, v157
	v_not_b32_e32 v157, v161
	v_ashrrev_i32_e32 v156, 31, v156
	s_wait_alu 0xf1ff
	v_xor_b32_e32 v162, s15, v162
	v_cmp_gt_i32_e64 s15, 0, v161
	v_and_b32_e32 v37, v37, v160
	v_ashrrev_i32_e32 v157, 31, v157
	s_wait_alu 0xfffd
	v_xor_b32_e32 v156, vcc_lo, v156
	v_mad_u32_u24 v160, v158, 36, v118
	v_mul_u32_u24_e32 v158, 36, v158
	v_and_b32_e32 v37, v37, v162
	s_wait_alu 0xf1ff
	v_xor_b32_e32 v157, s15, v157
	s_delay_alu instid0(VALU_DEP_3) | instskip(NEXT) | instid1(VALU_DEP_3)
	v_add_nc_u32_e32 v158, v118, v158
	v_and_b32_e32 v37, v37, v156
	ds_load_b32 v156, v160 offset:1056
	; wave barrier
	v_and_b32_e32 v37, v37, v157
	s_delay_alu instid0(VALU_DEP_1) | instskip(SKIP_1) | instid1(VALU_DEP_2)
	v_mbcnt_lo_u32_b32 v157, v37, 0
	v_cmp_ne_u32_e64 s15, 0, v37
	v_cmp_eq_u32_e32 vcc_lo, 0, v157
	s_and_b32 s16, s15, vcc_lo
	s_wait_alu 0xfffe
	s_and_saveexec_b32 s15, s16
	s_cbranch_execz .LBB1331_434
; %bb.433:                              ;   in Loop: Header=BB1331_388 Depth=2
	s_wait_dscnt 0x0
	v_bcnt_u32_b32 v37, v37, v156
	ds_store_b32 v158, v37 offset:1056
.LBB1331_434:                           ;   in Loop: Header=BB1331_388 Depth=2
	s_wait_alu 0xfffe
	s_or_b32 exec_lo, exec_lo, s15
	v_cmp_gt_i32_e32 vcc_lo, 0, v155
	; wave barrier
	s_wait_alu 0xfffd
	v_cndmask_b32_e64 v37, 0x7fffffff, 0, vcc_lo
	s_delay_alu instid0(VALU_DEP_1) | instskip(NEXT) | instid1(VALU_DEP_1)
	v_xor_b32_e32 v155, v37, v155
	v_cmp_ne_u32_e32 vcc_lo, 0x80000000, v155
	s_wait_alu 0xfffd
	v_cndmask_b32_e32 v37, 0x7fffffff, v155, vcc_lo
	s_delay_alu instid0(VALU_DEP_1) | instskip(NEXT) | instid1(VALU_DEP_1)
	v_lshrrev_b32_e32 v37, s31, v37
	v_and_b32_e32 v162, s48, v37
	s_delay_alu instid0(VALU_DEP_1)
	v_and_b32_e32 v37, 1, v162
	v_lshlrev_b32_e32 v160, 30, v162
	v_lshlrev_b32_e32 v161, 29, v162
	;; [unrolled: 1-line block ×4, first 2 shown]
	v_add_co_u32 v37, s15, v37, -1
	s_wait_alu 0xf1ff
	v_cndmask_b32_e64 v165, 0, 1, s15
	v_not_b32_e32 v170, v160
	v_cmp_gt_i32_e64 s15, 0, v160
	v_not_b32_e32 v160, v161
	v_lshlrev_b32_e32 v168, 26, v162
	v_cmp_ne_u32_e32 vcc_lo, 0, v165
	v_ashrrev_i32_e32 v170, 31, v170
	v_lshlrev_b32_e32 v169, 25, v162
	v_ashrrev_i32_e32 v160, 31, v160
	v_lshlrev_b32_e32 v165, 24, v162
	s_wait_alu 0xfffd
	v_xor_b32_e32 v37, vcc_lo, v37
	v_cmp_gt_i32_e32 vcc_lo, 0, v161
	v_not_b32_e32 v161, v164
	s_wait_alu 0xf1ff
	v_xor_b32_e32 v170, s15, v170
	v_cmp_gt_i32_e64 s15, 0, v164
	v_and_b32_e32 v37, exec_lo, v37
	v_not_b32_e32 v164, v167
	v_ashrrev_i32_e32 v161, 31, v161
	s_wait_alu 0xfffd
	v_xor_b32_e32 v160, vcc_lo, v160
	v_cmp_gt_i32_e32 vcc_lo, 0, v167
	v_and_b32_e32 v37, v37, v170
	v_not_b32_e32 v167, v168
	v_ashrrev_i32_e32 v164, 31, v164
	s_wait_alu 0xf1ff
	v_xor_b32_e32 v161, s15, v161
	v_cmp_gt_i32_e64 s15, 0, v168
	v_and_b32_e32 v37, v37, v160
	v_not_b32_e32 v160, v169
	v_ashrrev_i32_e32 v167, 31, v167
	s_wait_alu 0xfffd
	v_xor_b32_e32 v164, vcc_lo, v164
	v_cmp_gt_i32_e32 vcc_lo, 0, v169
	v_and_b32_e32 v37, v37, v161
	v_not_b32_e32 v161, v165
	v_ashrrev_i32_e32 v160, 31, v160
	s_wait_alu 0xf1ff
	v_xor_b32_e32 v167, s15, v167
	v_cmp_gt_i32_e64 s15, 0, v165
	v_and_b32_e32 v37, v37, v164
	v_ashrrev_i32_e32 v161, 31, v161
	s_wait_alu 0xfffd
	v_xor_b32_e32 v160, vcc_lo, v160
	v_mad_u32_u24 v164, v162, 36, v118
	v_mul_u32_u24_e32 v162, 36, v162
	v_and_b32_e32 v37, v37, v167
	s_wait_alu 0xf1ff
	v_xor_b32_e32 v161, s15, v161
	s_delay_alu instid0(VALU_DEP_3) | instskip(NEXT) | instid1(VALU_DEP_3)
	v_add_nc_u32_e32 v162, v118, v162
	v_and_b32_e32 v37, v37, v160
	ds_load_b32 v160, v164 offset:1056
	; wave barrier
	v_and_b32_e32 v37, v37, v161
	s_delay_alu instid0(VALU_DEP_1) | instskip(SKIP_1) | instid1(VALU_DEP_2)
	v_mbcnt_lo_u32_b32 v161, v37, 0
	v_cmp_ne_u32_e64 s15, 0, v37
	v_cmp_eq_u32_e32 vcc_lo, 0, v161
	s_and_b32 s16, s15, vcc_lo
	s_wait_alu 0xfffe
	s_and_saveexec_b32 s15, s16
	s_cbranch_execz .LBB1331_436
; %bb.435:                              ;   in Loop: Header=BB1331_388 Depth=2
	s_wait_dscnt 0x0
	v_bcnt_u32_b32 v37, v37, v160
	ds_store_b32 v162, v37 offset:1056
.LBB1331_436:                           ;   in Loop: Header=BB1331_388 Depth=2
	s_wait_alu 0xfffe
	s_or_b32 exec_lo, exec_lo, s15
	v_cmp_gt_i32_e32 vcc_lo, 0, v159
	; wave barrier
	s_wait_alu 0xfffd
	v_cndmask_b32_e64 v37, 0x7fffffff, 0, vcc_lo
	s_delay_alu instid0(VALU_DEP_1) | instskip(NEXT) | instid1(VALU_DEP_1)
	v_xor_b32_e32 v159, v37, v159
	v_cmp_ne_u32_e32 vcc_lo, 0x80000000, v159
	s_wait_alu 0xfffd
	v_cndmask_b32_e32 v37, 0x7fffffff, v159, vcc_lo
	s_delay_alu instid0(VALU_DEP_1) | instskip(NEXT) | instid1(VALU_DEP_1)
	v_lshrrev_b32_e32 v37, s31, v37
	v_and_b32_e32 v167, s48, v37
	s_delay_alu instid0(VALU_DEP_1)
	v_and_b32_e32 v37, 1, v167
	v_lshlrev_b32_e32 v164, 30, v167
	v_lshlrev_b32_e32 v165, 29, v167
	;; [unrolled: 1-line block ×4, first 2 shown]
	v_add_co_u32 v37, s15, v37, -1
	s_wait_alu 0xf1ff
	v_cndmask_b32_e64 v169, 0, 1, s15
	v_not_b32_e32 v173, v164
	v_cmp_gt_i32_e64 s15, 0, v164
	v_not_b32_e32 v164, v165
	v_lshlrev_b32_e32 v171, 26, v167
	v_cmp_ne_u32_e32 vcc_lo, 0, v169
	v_ashrrev_i32_e32 v173, 31, v173
	v_lshlrev_b32_e32 v172, 25, v167
	v_ashrrev_i32_e32 v164, 31, v164
	v_lshlrev_b32_e32 v169, 24, v167
	s_wait_alu 0xfffd
	v_xor_b32_e32 v37, vcc_lo, v37
	v_cmp_gt_i32_e32 vcc_lo, 0, v165
	v_not_b32_e32 v165, v168
	s_wait_alu 0xf1ff
	v_xor_b32_e32 v173, s15, v173
	v_cmp_gt_i32_e64 s15, 0, v168
	v_and_b32_e32 v37, exec_lo, v37
	v_not_b32_e32 v168, v170
	v_ashrrev_i32_e32 v165, 31, v165
	s_wait_alu 0xfffd
	v_xor_b32_e32 v164, vcc_lo, v164
	v_cmp_gt_i32_e32 vcc_lo, 0, v170
	v_and_b32_e32 v37, v37, v173
	v_not_b32_e32 v170, v171
	v_ashrrev_i32_e32 v168, 31, v168
	s_wait_alu 0xf1ff
	v_xor_b32_e32 v165, s15, v165
	v_cmp_gt_i32_e64 s15, 0, v171
	v_and_b32_e32 v37, v37, v164
	v_not_b32_e32 v164, v172
	v_ashrrev_i32_e32 v170, 31, v170
	s_wait_alu 0xfffd
	v_xor_b32_e32 v168, vcc_lo, v168
	v_cmp_gt_i32_e32 vcc_lo, 0, v172
	v_and_b32_e32 v37, v37, v165
	v_not_b32_e32 v165, v169
	v_ashrrev_i32_e32 v164, 31, v164
	s_wait_alu 0xf1ff
	v_xor_b32_e32 v170, s15, v170
	v_cmp_gt_i32_e64 s15, 0, v169
	v_and_b32_e32 v37, v37, v168
	v_ashrrev_i32_e32 v165, 31, v165
	s_wait_alu 0xfffd
	v_xor_b32_e32 v164, vcc_lo, v164
	v_mad_u32_u24 v168, v167, 36, v118
	v_mul_u32_u24_e32 v167, 36, v167
	v_and_b32_e32 v37, v37, v170
	s_wait_alu 0xf1ff
	v_xor_b32_e32 v165, s15, v165
	s_delay_alu instid0(VALU_DEP_3) | instskip(NEXT) | instid1(VALU_DEP_3)
	v_add_nc_u32_e32 v167, v118, v167
	v_and_b32_e32 v37, v37, v164
	ds_load_b32 v164, v168 offset:1056
	; wave barrier
	v_and_b32_e32 v37, v37, v165
	s_delay_alu instid0(VALU_DEP_1) | instskip(SKIP_1) | instid1(VALU_DEP_2)
	v_mbcnt_lo_u32_b32 v165, v37, 0
	v_cmp_ne_u32_e64 s15, 0, v37
	v_cmp_eq_u32_e32 vcc_lo, 0, v165
	s_and_b32 s16, s15, vcc_lo
	s_wait_alu 0xfffe
	s_and_saveexec_b32 s15, s16
	s_cbranch_execz .LBB1331_438
; %bb.437:                              ;   in Loop: Header=BB1331_388 Depth=2
	s_wait_dscnt 0x0
	v_bcnt_u32_b32 v37, v37, v164
	ds_store_b32 v167, v37 offset:1056
.LBB1331_438:                           ;   in Loop: Header=BB1331_388 Depth=2
	s_wait_alu 0xfffe
	s_or_b32 exec_lo, exec_lo, s15
	v_cmp_gt_i32_e32 vcc_lo, 0, v163
	; wave barrier
	s_wait_alu 0xfffd
	v_cndmask_b32_e64 v37, 0x7fffffff, 0, vcc_lo
	s_delay_alu instid0(VALU_DEP_1) | instskip(NEXT) | instid1(VALU_DEP_1)
	v_xor_b32_e32 v163, v37, v163
	v_cmp_ne_u32_e32 vcc_lo, 0x80000000, v163
	s_wait_alu 0xfffd
	v_cndmask_b32_e32 v37, 0x7fffffff, v163, vcc_lo
	s_delay_alu instid0(VALU_DEP_1) | instskip(NEXT) | instid1(VALU_DEP_1)
	v_lshrrev_b32_e32 v37, s31, v37
	v_and_b32_e32 v170, s48, v37
	s_delay_alu instid0(VALU_DEP_1)
	v_and_b32_e32 v37, 1, v170
	v_lshlrev_b32_e32 v168, 30, v170
	v_lshlrev_b32_e32 v169, 29, v170
	;; [unrolled: 1-line block ×4, first 2 shown]
	v_add_co_u32 v37, s15, v37, -1
	s_wait_alu 0xf1ff
	v_cndmask_b32_e64 v172, 0, 1, s15
	v_not_b32_e32 v176, v168
	v_cmp_gt_i32_e64 s15, 0, v168
	v_not_b32_e32 v168, v169
	v_lshlrev_b32_e32 v174, 26, v170
	v_cmp_ne_u32_e32 vcc_lo, 0, v172
	v_ashrrev_i32_e32 v176, 31, v176
	v_lshlrev_b32_e32 v175, 25, v170
	v_ashrrev_i32_e32 v168, 31, v168
	v_lshlrev_b32_e32 v172, 24, v170
	s_wait_alu 0xfffd
	v_xor_b32_e32 v37, vcc_lo, v37
	v_cmp_gt_i32_e32 vcc_lo, 0, v169
	v_not_b32_e32 v169, v171
	s_wait_alu 0xf1ff
	v_xor_b32_e32 v176, s15, v176
	v_cmp_gt_i32_e64 s15, 0, v171
	v_and_b32_e32 v37, exec_lo, v37
	v_not_b32_e32 v171, v173
	v_ashrrev_i32_e32 v169, 31, v169
	s_wait_alu 0xfffd
	v_xor_b32_e32 v168, vcc_lo, v168
	v_cmp_gt_i32_e32 vcc_lo, 0, v173
	v_and_b32_e32 v37, v37, v176
	v_not_b32_e32 v173, v174
	v_ashrrev_i32_e32 v171, 31, v171
	s_wait_alu 0xf1ff
	v_xor_b32_e32 v169, s15, v169
	v_cmp_gt_i32_e64 s15, 0, v174
	v_and_b32_e32 v37, v37, v168
	v_not_b32_e32 v168, v175
	v_ashrrev_i32_e32 v173, 31, v173
	s_wait_alu 0xfffd
	v_xor_b32_e32 v171, vcc_lo, v171
	v_cmp_gt_i32_e32 vcc_lo, 0, v175
	v_and_b32_e32 v37, v37, v169
	v_not_b32_e32 v169, v172
	v_ashrrev_i32_e32 v168, 31, v168
	s_wait_alu 0xf1ff
	v_xor_b32_e32 v173, s15, v173
	v_cmp_gt_i32_e64 s15, 0, v172
	v_and_b32_e32 v37, v37, v171
	v_ashrrev_i32_e32 v169, 31, v169
	s_wait_alu 0xfffd
	v_xor_b32_e32 v168, vcc_lo, v168
	v_mad_u32_u24 v171, v170, 36, v118
	v_mul_u32_u24_e32 v170, 36, v170
	v_and_b32_e32 v37, v37, v173
	s_wait_alu 0xf1ff
	v_xor_b32_e32 v169, s15, v169
	s_delay_alu instid0(VALU_DEP_3) | instskip(NEXT) | instid1(VALU_DEP_3)
	v_add_nc_u32_e32 v170, v118, v170
	v_and_b32_e32 v37, v37, v168
	ds_load_b32 v168, v171 offset:1056
	; wave barrier
	v_and_b32_e32 v37, v37, v169
	s_delay_alu instid0(VALU_DEP_1) | instskip(SKIP_1) | instid1(VALU_DEP_2)
	v_mbcnt_lo_u32_b32 v169, v37, 0
	v_cmp_ne_u32_e64 s15, 0, v37
	v_cmp_eq_u32_e32 vcc_lo, 0, v169
	s_and_b32 s16, s15, vcc_lo
	s_wait_alu 0xfffe
	s_and_saveexec_b32 s15, s16
	s_cbranch_execz .LBB1331_440
; %bb.439:                              ;   in Loop: Header=BB1331_388 Depth=2
	s_wait_dscnt 0x0
	v_bcnt_u32_b32 v37, v37, v168
	ds_store_b32 v170, v37 offset:1056
.LBB1331_440:                           ;   in Loop: Header=BB1331_388 Depth=2
	s_wait_alu 0xfffe
	s_or_b32 exec_lo, exec_lo, s15
	v_cmp_gt_i32_e32 vcc_lo, 0, v166
	; wave barrier
	s_wait_alu 0xfffd
	v_cndmask_b32_e64 v37, 0x7fffffff, 0, vcc_lo
	s_delay_alu instid0(VALU_DEP_1) | instskip(NEXT) | instid1(VALU_DEP_1)
	v_xor_b32_e32 v166, v37, v166
	v_cmp_ne_u32_e32 vcc_lo, 0x80000000, v166
	s_wait_alu 0xfffd
	v_cndmask_b32_e32 v37, 0x7fffffff, v166, vcc_lo
	s_delay_alu instid0(VALU_DEP_1) | instskip(NEXT) | instid1(VALU_DEP_1)
	v_lshrrev_b32_e32 v37, s31, v37
	v_and_b32_e32 v171, s48, v37
	s_delay_alu instid0(VALU_DEP_1)
	v_and_b32_e32 v37, 1, v171
	v_lshlrev_b32_e32 v172, 30, v171
	v_lshlrev_b32_e32 v173, 29, v171
	;; [unrolled: 1-line block ×4, first 2 shown]
	v_add_co_u32 v37, s15, v37, -1
	s_wait_alu 0xf1ff
	v_cndmask_b32_e64 v175, 0, 1, s15
	v_not_b32_e32 v179, v172
	v_cmp_gt_i32_e64 s15, 0, v172
	v_not_b32_e32 v172, v173
	v_lshlrev_b32_e32 v177, 26, v171
	v_cmp_ne_u32_e32 vcc_lo, 0, v175
	v_ashrrev_i32_e32 v179, 31, v179
	v_lshlrev_b32_e32 v178, 25, v171
	v_ashrrev_i32_e32 v172, 31, v172
	v_lshlrev_b32_e32 v175, 24, v171
	s_wait_alu 0xfffd
	v_xor_b32_e32 v37, vcc_lo, v37
	v_cmp_gt_i32_e32 vcc_lo, 0, v173
	v_not_b32_e32 v173, v174
	s_wait_alu 0xf1ff
	v_xor_b32_e32 v179, s15, v179
	v_cmp_gt_i32_e64 s15, 0, v174
	v_and_b32_e32 v37, exec_lo, v37
	v_not_b32_e32 v174, v176
	v_ashrrev_i32_e32 v173, 31, v173
	s_wait_alu 0xfffd
	v_xor_b32_e32 v172, vcc_lo, v172
	v_cmp_gt_i32_e32 vcc_lo, 0, v176
	v_and_b32_e32 v37, v37, v179
	v_not_b32_e32 v176, v177
	v_ashrrev_i32_e32 v174, 31, v174
	s_wait_alu 0xf1ff
	v_xor_b32_e32 v173, s15, v173
	v_cmp_gt_i32_e64 s15, 0, v177
	v_and_b32_e32 v37, v37, v172
	v_not_b32_e32 v172, v178
	v_ashrrev_i32_e32 v176, 31, v176
	s_wait_alu 0xfffd
	v_xor_b32_e32 v174, vcc_lo, v174
	v_cmp_gt_i32_e32 vcc_lo, 0, v178
	v_and_b32_e32 v37, v37, v173
	v_not_b32_e32 v173, v175
	v_ashrrev_i32_e32 v172, 31, v172
	s_wait_alu 0xf1ff
	v_xor_b32_e32 v176, s15, v176
	v_cmp_gt_i32_e64 s15, 0, v175
	v_and_b32_e32 v37, v37, v174
	v_ashrrev_i32_e32 v173, 31, v173
	s_wait_alu 0xfffd
	v_xor_b32_e32 v172, vcc_lo, v172
	v_mad_u32_u24 v174, v171, 36, v118
	v_mul_u32_u24_e32 v171, 36, v171
	v_and_b32_e32 v37, v37, v176
	s_wait_alu 0xf1ff
	v_xor_b32_e32 v173, s15, v173
	s_delay_alu instid0(VALU_DEP_2) | instskip(SKIP_3) | instid1(VALU_DEP_1)
	v_and_b32_e32 v37, v37, v172
	ds_load_b32 v172, v174 offset:1056
	v_add_nc_u32_e32 v174, v118, v171
	; wave barrier
	v_and_b32_e32 v37, v37, v173
	v_mbcnt_lo_u32_b32 v173, v37, 0
	v_cmp_ne_u32_e64 s15, 0, v37
	s_delay_alu instid0(VALU_DEP_2)
	v_cmp_eq_u32_e32 vcc_lo, 0, v173
	s_and_b32 s16, s15, vcc_lo
	s_wait_alu 0xfffe
	s_and_saveexec_b32 s15, s16
	s_cbranch_execz .LBB1331_442
; %bb.441:                              ;   in Loop: Header=BB1331_388 Depth=2
	s_wait_dscnt 0x0
	v_bcnt_u32_b32 v37, v37, v172
	ds_store_b32 v174, v37 offset:1056
.LBB1331_442:                           ;   in Loop: Header=BB1331_388 Depth=2
	s_wait_alu 0xfffe
	s_or_b32 exec_lo, exec_lo, s15
	v_cmp_gt_i32_e32 vcc_lo, 0, v43
	; wave barrier
	s_wait_alu 0xfffd
	v_cndmask_b32_e64 v37, 0x7fffffff, 0, vcc_lo
	s_delay_alu instid0(VALU_DEP_1) | instskip(NEXT) | instid1(VALU_DEP_1)
	v_xor_b32_e32 v171, v37, v43
	v_cmp_ne_u32_e32 vcc_lo, 0x80000000, v171
	s_wait_alu 0xfffd
	v_cndmask_b32_e32 v37, 0x7fffffff, v171, vcc_lo
	s_delay_alu instid0(VALU_DEP_1) | instskip(NEXT) | instid1(VALU_DEP_1)
	v_lshrrev_b32_e32 v37, s31, v37
	v_and_b32_e32 v43, s48, v37
	s_delay_alu instid0(VALU_DEP_1)
	v_and_b32_e32 v37, 1, v43
	v_lshlrev_b32_e32 v175, 30, v43
	v_lshlrev_b32_e32 v176, 29, v43
	;; [unrolled: 1-line block ×4, first 2 shown]
	v_add_co_u32 v37, s15, v37, -1
	s_wait_alu 0xf1ff
	v_cndmask_b32_e64 v178, 0, 1, s15
	v_not_b32_e32 v182, v175
	v_cmp_gt_i32_e64 s15, 0, v175
	v_not_b32_e32 v175, v176
	v_lshlrev_b32_e32 v180, 26, v43
	v_cmp_ne_u32_e32 vcc_lo, 0, v178
	v_ashrrev_i32_e32 v182, 31, v182
	v_lshlrev_b32_e32 v181, 25, v43
	v_ashrrev_i32_e32 v175, 31, v175
	v_lshlrev_b32_e32 v178, 24, v43
	s_wait_alu 0xfffd
	v_xor_b32_e32 v37, vcc_lo, v37
	v_cmp_gt_i32_e32 vcc_lo, 0, v176
	v_not_b32_e32 v176, v177
	s_wait_alu 0xf1ff
	v_xor_b32_e32 v182, s15, v182
	v_cmp_gt_i32_e64 s15, 0, v177
	v_and_b32_e32 v37, exec_lo, v37
	v_not_b32_e32 v177, v179
	v_ashrrev_i32_e32 v176, 31, v176
	s_wait_alu 0xfffd
	v_xor_b32_e32 v175, vcc_lo, v175
	v_cmp_gt_i32_e32 vcc_lo, 0, v179
	v_and_b32_e32 v37, v37, v182
	v_not_b32_e32 v179, v180
	v_ashrrev_i32_e32 v177, 31, v177
	s_wait_alu 0xf1ff
	v_xor_b32_e32 v176, s15, v176
	v_cmp_gt_i32_e64 s15, 0, v180
	v_and_b32_e32 v37, v37, v175
	v_not_b32_e32 v175, v181
	v_ashrrev_i32_e32 v179, 31, v179
	s_wait_alu 0xfffd
	v_xor_b32_e32 v177, vcc_lo, v177
	v_cmp_gt_i32_e32 vcc_lo, 0, v181
	v_and_b32_e32 v37, v37, v176
	v_not_b32_e32 v176, v178
	v_ashrrev_i32_e32 v175, 31, v175
	s_wait_alu 0xf1ff
	v_xor_b32_e32 v179, s15, v179
	v_cmp_gt_i32_e64 s15, 0, v178
	v_and_b32_e32 v37, v37, v177
	v_ashrrev_i32_e32 v176, 31, v176
	s_wait_alu 0xfffd
	v_xor_b32_e32 v175, vcc_lo, v175
	v_mad_u32_u24 v177, v43, 36, v118
	v_mul_u32_u24_e32 v43, 36, v43
	v_and_b32_e32 v37, v37, v179
	s_wait_alu 0xf1ff
	v_xor_b32_e32 v178, s15, v176
	ds_load_b32 v176, v177 offset:1056
	v_and_b32_e32 v37, v37, v175
	; wave barrier
	s_delay_alu instid0(VALU_DEP_1) | instskip(SKIP_1) | instid1(VALU_DEP_2)
	v_and_b32_e32 v37, v37, v178
	v_add_nc_u32_e32 v178, v118, v43
	v_mbcnt_lo_u32_b32 v177, v37, 0
	v_cmp_ne_u32_e64 s15, 0, v37
	s_delay_alu instid0(VALU_DEP_2)
	v_cmp_eq_u32_e32 vcc_lo, 0, v177
	s_and_b32 s16, s15, vcc_lo
	s_wait_alu 0xfffe
	s_and_saveexec_b32 s15, s16
	s_cbranch_execz .LBB1331_444
; %bb.443:                              ;   in Loop: Header=BB1331_388 Depth=2
	s_wait_dscnt 0x0
	v_bcnt_u32_b32 v37, v37, v176
	ds_store_b32 v178, v37 offset:1056
.LBB1331_444:                           ;   in Loop: Header=BB1331_388 Depth=2
	s_wait_alu 0xfffe
	s_or_b32 exec_lo, exec_lo, s15
	v_cmp_gt_i32_e32 vcc_lo, 0, v42
	; wave barrier
	s_wait_alu 0xfffd
	v_cndmask_b32_e64 v37, 0x7fffffff, 0, vcc_lo
	s_delay_alu instid0(VALU_DEP_1) | instskip(NEXT) | instid1(VALU_DEP_1)
	v_xor_b32_e32 v175, v37, v42
	v_cmp_ne_u32_e32 vcc_lo, 0x80000000, v175
	s_wait_alu 0xfffd
	v_cndmask_b32_e32 v37, 0x7fffffff, v175, vcc_lo
	s_delay_alu instid0(VALU_DEP_1) | instskip(NEXT) | instid1(VALU_DEP_1)
	v_lshrrev_b32_e32 v37, s31, v37
	v_and_b32_e32 v42, s48, v37
	s_delay_alu instid0(VALU_DEP_1)
	v_and_b32_e32 v37, 1, v42
	v_lshlrev_b32_e32 v43, 30, v42
	v_lshlrev_b32_e32 v179, 29, v42
	;; [unrolled: 1-line block ×4, first 2 shown]
	v_add_co_u32 v37, s15, v37, -1
	s_wait_alu 0xf1ff
	v_cndmask_b32_e64 v181, 0, 1, s15
	v_not_b32_e32 v185, v43
	v_cmp_gt_i32_e64 s15, 0, v43
	v_not_b32_e32 v43, v179
	v_lshlrev_b32_e32 v183, 26, v42
	v_cmp_ne_u32_e32 vcc_lo, 0, v181
	v_ashrrev_i32_e32 v185, 31, v185
	v_lshlrev_b32_e32 v184, 25, v42
	v_ashrrev_i32_e32 v43, 31, v43
	v_lshlrev_b32_e32 v181, 24, v42
	s_wait_alu 0xfffd
	v_xor_b32_e32 v37, vcc_lo, v37
	v_cmp_gt_i32_e32 vcc_lo, 0, v179
	v_not_b32_e32 v179, v180
	s_wait_alu 0xf1ff
	v_xor_b32_e32 v185, s15, v185
	v_cmp_gt_i32_e64 s15, 0, v180
	v_and_b32_e32 v37, exec_lo, v37
	v_not_b32_e32 v180, v182
	v_ashrrev_i32_e32 v179, 31, v179
	s_wait_alu 0xfffd
	v_xor_b32_e32 v43, vcc_lo, v43
	v_cmp_gt_i32_e32 vcc_lo, 0, v182
	v_and_b32_e32 v37, v37, v185
	v_not_b32_e32 v182, v183
	v_ashrrev_i32_e32 v180, 31, v180
	s_wait_alu 0xf1ff
	v_xor_b32_e32 v179, s15, v179
	v_cmp_gt_i32_e64 s15, 0, v183
	v_and_b32_e32 v37, v37, v43
	v_not_b32_e32 v43, v184
	v_ashrrev_i32_e32 v182, 31, v182
	s_wait_alu 0xfffd
	v_xor_b32_e32 v180, vcc_lo, v180
	v_cmp_gt_i32_e32 vcc_lo, 0, v184
	v_and_b32_e32 v37, v37, v179
	v_not_b32_e32 v179, v181
	v_ashrrev_i32_e32 v43, 31, v43
	s_wait_alu 0xf1ff
	v_xor_b32_e32 v182, s15, v182
	v_cmp_gt_i32_e64 s15, 0, v181
	v_and_b32_e32 v37, v37, v180
	v_ashrrev_i32_e32 v179, 31, v179
	s_wait_alu 0xfffd
	v_xor_b32_e32 v43, vcc_lo, v43
	v_mad_u32_u24 v180, v42, 36, v118
	v_mul_u32_u24_e32 v42, 36, v42
	v_and_b32_e32 v37, v37, v182
	s_wait_alu 0xf1ff
	v_xor_b32_e32 v179, s15, v179
	ds_load_b32 v180, v180 offset:1056
	v_add_nc_u32_e32 v182, v118, v42
	v_and_b32_e32 v37, v37, v43
	; wave barrier
	s_delay_alu instid0(VALU_DEP_1) | instskip(NEXT) | instid1(VALU_DEP_1)
	v_and_b32_e32 v37, v37, v179
	v_mbcnt_lo_u32_b32 v181, v37, 0
	v_cmp_ne_u32_e64 s15, 0, v37
	s_delay_alu instid0(VALU_DEP_2)
	v_cmp_eq_u32_e32 vcc_lo, 0, v181
	s_and_b32 s16, s15, vcc_lo
	s_wait_alu 0xfffe
	s_and_saveexec_b32 s15, s16
	s_cbranch_execz .LBB1331_446
; %bb.445:                              ;   in Loop: Header=BB1331_388 Depth=2
	s_wait_dscnt 0x0
	v_bcnt_u32_b32 v37, v37, v180
	ds_store_b32 v182, v37 offset:1056
.LBB1331_446:                           ;   in Loop: Header=BB1331_388 Depth=2
	s_wait_alu 0xfffe
	s_or_b32 exec_lo, exec_lo, s15
	v_cmp_gt_i32_e32 vcc_lo, 0, v41
	; wave barrier
	s_wait_alu 0xfffd
	v_cndmask_b32_e64 v37, 0x7fffffff, 0, vcc_lo
	s_delay_alu instid0(VALU_DEP_1) | instskip(NEXT) | instid1(VALU_DEP_1)
	v_xor_b32_e32 v179, v37, v41
	v_cmp_ne_u32_e32 vcc_lo, 0x80000000, v179
	s_wait_alu 0xfffd
	v_cndmask_b32_e32 v37, 0x7fffffff, v179, vcc_lo
	s_delay_alu instid0(VALU_DEP_1) | instskip(NEXT) | instid1(VALU_DEP_1)
	v_lshrrev_b32_e32 v37, s31, v37
	v_and_b32_e32 v41, s48, v37
	s_delay_alu instid0(VALU_DEP_1)
	v_and_b32_e32 v37, 1, v41
	v_lshlrev_b32_e32 v42, 30, v41
	v_lshlrev_b32_e32 v43, 29, v41
	;; [unrolled: 1-line block ×4, first 2 shown]
	v_add_co_u32 v37, s15, v37, -1
	s_wait_alu 0xf1ff
	v_cndmask_b32_e64 v184, 0, 1, s15
	v_not_b32_e32 v188, v42
	v_cmp_gt_i32_e64 s15, 0, v42
	v_not_b32_e32 v42, v43
	v_lshlrev_b32_e32 v186, 26, v41
	v_cmp_ne_u32_e32 vcc_lo, 0, v184
	v_ashrrev_i32_e32 v188, 31, v188
	v_lshlrev_b32_e32 v187, 25, v41
	v_ashrrev_i32_e32 v42, 31, v42
	v_lshlrev_b32_e32 v184, 24, v41
	s_wait_alu 0xfffd
	v_xor_b32_e32 v37, vcc_lo, v37
	v_cmp_gt_i32_e32 vcc_lo, 0, v43
	v_not_b32_e32 v43, v183
	s_wait_alu 0xf1ff
	v_xor_b32_e32 v188, s15, v188
	v_cmp_gt_i32_e64 s15, 0, v183
	v_and_b32_e32 v37, exec_lo, v37
	v_not_b32_e32 v183, v185
	v_ashrrev_i32_e32 v43, 31, v43
	s_wait_alu 0xfffd
	v_xor_b32_e32 v42, vcc_lo, v42
	v_cmp_gt_i32_e32 vcc_lo, 0, v185
	v_and_b32_e32 v37, v37, v188
	v_not_b32_e32 v185, v186
	v_ashrrev_i32_e32 v183, 31, v183
	s_wait_alu 0xf1ff
	v_xor_b32_e32 v43, s15, v43
	v_cmp_gt_i32_e64 s15, 0, v186
	v_and_b32_e32 v37, v37, v42
	v_not_b32_e32 v42, v187
	v_ashrrev_i32_e32 v185, 31, v185
	s_wait_alu 0xfffd
	v_xor_b32_e32 v183, vcc_lo, v183
	v_cmp_gt_i32_e32 vcc_lo, 0, v187
	v_and_b32_e32 v37, v37, v43
	v_not_b32_e32 v43, v184
	v_ashrrev_i32_e32 v42, 31, v42
	s_wait_alu 0xf1ff
	v_xor_b32_e32 v185, s15, v185
	v_cmp_gt_i32_e64 s15, 0, v184
	v_and_b32_e32 v37, v37, v183
	v_ashrrev_i32_e32 v43, 31, v43
	s_wait_alu 0xfffd
	v_xor_b32_e32 v42, vcc_lo, v42
	v_mad_u32_u24 v183, v41, 36, v118
	v_mul_u32_u24_e32 v41, 36, v41
	v_and_b32_e32 v37, v37, v185
	s_wait_alu 0xf1ff
	v_xor_b32_e32 v43, s15, v43
	ds_load_b32 v184, v183 offset:1056
	v_add_nc_u32_e32 v186, v118, v41
	v_and_b32_e32 v37, v37, v42
	; wave barrier
	s_delay_alu instid0(VALU_DEP_1) | instskip(NEXT) | instid1(VALU_DEP_1)
	v_and_b32_e32 v37, v37, v43
	v_mbcnt_lo_u32_b32 v185, v37, 0
	v_cmp_ne_u32_e64 s15, 0, v37
	s_delay_alu instid0(VALU_DEP_2)
	v_cmp_eq_u32_e32 vcc_lo, 0, v185
	s_and_b32 s16, s15, vcc_lo
	s_wait_alu 0xfffe
	s_and_saveexec_b32 s15, s16
	s_cbranch_execz .LBB1331_448
; %bb.447:                              ;   in Loop: Header=BB1331_388 Depth=2
	s_wait_dscnt 0x0
	v_bcnt_u32_b32 v37, v37, v184
	ds_store_b32 v186, v37 offset:1056
.LBB1331_448:                           ;   in Loop: Header=BB1331_388 Depth=2
	s_wait_alu 0xfffe
	s_or_b32 exec_lo, exec_lo, s15
	v_cmp_gt_i32_e32 vcc_lo, 0, v40
	; wave barrier
	s_wait_alu 0xfffd
	v_cndmask_b32_e64 v37, 0x7fffffff, 0, vcc_lo
	s_delay_alu instid0(VALU_DEP_1) | instskip(NEXT) | instid1(VALU_DEP_1)
	v_xor_b32_e32 v183, v37, v40
	v_cmp_ne_u32_e32 vcc_lo, 0x80000000, v183
	s_wait_alu 0xfffd
	v_cndmask_b32_e32 v37, 0x7fffffff, v183, vcc_lo
	s_delay_alu instid0(VALU_DEP_1) | instskip(NEXT) | instid1(VALU_DEP_1)
	v_lshrrev_b32_e32 v37, s31, v37
	v_and_b32_e32 v40, s48, v37
	s_delay_alu instid0(VALU_DEP_1)
	v_and_b32_e32 v37, 1, v40
	v_lshlrev_b32_e32 v41, 30, v40
	v_lshlrev_b32_e32 v42, 29, v40
	;; [unrolled: 1-line block ×4, first 2 shown]
	v_add_co_u32 v37, s15, v37, -1
	s_wait_alu 0xf1ff
	v_cndmask_b32_e64 v187, 0, 1, s15
	v_not_b32_e32 v191, v41
	v_cmp_gt_i32_e64 s15, 0, v41
	v_not_b32_e32 v41, v42
	v_lshlrev_b32_e32 v189, 26, v40
	v_cmp_ne_u32_e32 vcc_lo, 0, v187
	v_ashrrev_i32_e32 v191, 31, v191
	v_lshlrev_b32_e32 v190, 25, v40
	v_ashrrev_i32_e32 v41, 31, v41
	v_lshlrev_b32_e32 v187, 24, v40
	s_wait_alu 0xfffd
	v_xor_b32_e32 v37, vcc_lo, v37
	v_cmp_gt_i32_e32 vcc_lo, 0, v42
	v_not_b32_e32 v42, v43
	s_wait_alu 0xf1ff
	v_xor_b32_e32 v191, s15, v191
	v_cmp_gt_i32_e64 s15, 0, v43
	v_and_b32_e32 v37, exec_lo, v37
	v_not_b32_e32 v43, v188
	v_ashrrev_i32_e32 v42, 31, v42
	s_wait_alu 0xfffd
	v_xor_b32_e32 v41, vcc_lo, v41
	v_cmp_gt_i32_e32 vcc_lo, 0, v188
	v_and_b32_e32 v37, v37, v191
	v_not_b32_e32 v188, v189
	v_ashrrev_i32_e32 v43, 31, v43
	s_wait_alu 0xf1ff
	v_xor_b32_e32 v42, s15, v42
	v_cmp_gt_i32_e64 s15, 0, v189
	v_and_b32_e32 v37, v37, v41
	v_not_b32_e32 v41, v190
	v_ashrrev_i32_e32 v188, 31, v188
	s_wait_alu 0xfffd
	v_xor_b32_e32 v43, vcc_lo, v43
	v_cmp_gt_i32_e32 vcc_lo, 0, v190
	v_and_b32_e32 v37, v37, v42
	v_not_b32_e32 v42, v187
	v_ashrrev_i32_e32 v41, 31, v41
	s_wait_alu 0xf1ff
	v_xor_b32_e32 v188, s15, v188
	v_cmp_gt_i32_e64 s15, 0, v187
	v_and_b32_e32 v37, v37, v43
	v_ashrrev_i32_e32 v42, 31, v42
	s_wait_alu 0xfffd
	v_xor_b32_e32 v41, vcc_lo, v41
	v_mad_u32_u24 v43, v40, 36, v118
	v_mul_u32_u24_e32 v40, 36, v40
	v_and_b32_e32 v37, v37, v188
	s_wait_alu 0xf1ff
	v_xor_b32_e32 v42, s15, v42
	ds_load_b32 v188, v43 offset:1056
	v_add_nc_u32_e32 v190, v118, v40
	v_and_b32_e32 v37, v37, v41
	; wave barrier
	s_delay_alu instid0(VALU_DEP_1) | instskip(NEXT) | instid1(VALU_DEP_1)
	v_and_b32_e32 v37, v37, v42
	v_mbcnt_lo_u32_b32 v189, v37, 0
	v_cmp_ne_u32_e64 s15, 0, v37
	s_delay_alu instid0(VALU_DEP_2)
	v_cmp_eq_u32_e32 vcc_lo, 0, v189
	s_and_b32 s16, s15, vcc_lo
	s_wait_alu 0xfffe
	s_and_saveexec_b32 s15, s16
	s_cbranch_execz .LBB1331_450
; %bb.449:                              ;   in Loop: Header=BB1331_388 Depth=2
	s_wait_dscnt 0x0
	v_bcnt_u32_b32 v37, v37, v188
	ds_store_b32 v190, v37 offset:1056
.LBB1331_450:                           ;   in Loop: Header=BB1331_388 Depth=2
	s_wait_alu 0xfffe
	s_or_b32 exec_lo, exec_lo, s15
	v_cmp_gt_i32_e32 vcc_lo, 0, v39
	; wave barrier
	s_wait_alu 0xfffd
	v_cndmask_b32_e64 v37, 0x7fffffff, 0, vcc_lo
	s_delay_alu instid0(VALU_DEP_1) | instskip(NEXT) | instid1(VALU_DEP_1)
	v_xor_b32_e32 v187, v37, v39
	v_cmp_ne_u32_e32 vcc_lo, 0x80000000, v187
	s_wait_alu 0xfffd
	v_cndmask_b32_e32 v37, 0x7fffffff, v187, vcc_lo
	s_delay_alu instid0(VALU_DEP_1) | instskip(NEXT) | instid1(VALU_DEP_1)
	v_lshrrev_b32_e32 v37, s31, v37
	v_and_b32_e32 v39, s48, v37
	s_delay_alu instid0(VALU_DEP_1)
	v_and_b32_e32 v37, 1, v39
	v_lshlrev_b32_e32 v40, 30, v39
	v_lshlrev_b32_e32 v41, 29, v39
	;; [unrolled: 1-line block ×4, first 2 shown]
	v_add_co_u32 v37, s15, v37, -1
	s_wait_alu 0xf1ff
	v_cndmask_b32_e64 v43, 0, 1, s15
	v_not_b32_e32 v194, v40
	v_cmp_gt_i32_e64 s15, 0, v40
	v_not_b32_e32 v40, v41
	v_lshlrev_b32_e32 v192, 26, v39
	v_cmp_ne_u32_e32 vcc_lo, 0, v43
	v_ashrrev_i32_e32 v194, 31, v194
	v_lshlrev_b32_e32 v193, 25, v39
	v_ashrrev_i32_e32 v40, 31, v40
	v_lshlrev_b32_e32 v43, 24, v39
	s_wait_alu 0xfffd
	v_xor_b32_e32 v37, vcc_lo, v37
	v_cmp_gt_i32_e32 vcc_lo, 0, v41
	v_not_b32_e32 v41, v42
	s_wait_alu 0xf1ff
	v_xor_b32_e32 v194, s15, v194
	v_cmp_gt_i32_e64 s15, 0, v42
	v_and_b32_e32 v37, exec_lo, v37
	v_not_b32_e32 v42, v191
	v_ashrrev_i32_e32 v41, 31, v41
	s_wait_alu 0xfffd
	v_xor_b32_e32 v40, vcc_lo, v40
	v_cmp_gt_i32_e32 vcc_lo, 0, v191
	v_and_b32_e32 v37, v37, v194
	v_not_b32_e32 v191, v192
	v_ashrrev_i32_e32 v42, 31, v42
	s_wait_alu 0xf1ff
	v_xor_b32_e32 v41, s15, v41
	v_cmp_gt_i32_e64 s15, 0, v192
	v_and_b32_e32 v37, v37, v40
	v_not_b32_e32 v40, v193
	v_ashrrev_i32_e32 v191, 31, v191
	s_wait_alu 0xfffd
	v_xor_b32_e32 v42, vcc_lo, v42
	v_cmp_gt_i32_e32 vcc_lo, 0, v193
	v_and_b32_e32 v37, v37, v41
	v_not_b32_e32 v41, v43
	v_ashrrev_i32_e32 v40, 31, v40
	s_wait_alu 0xf1ff
	v_xor_b32_e32 v191, s15, v191
	v_cmp_gt_i32_e64 s15, 0, v43
	v_and_b32_e32 v37, v37, v42
	v_ashrrev_i32_e32 v41, 31, v41
	s_wait_alu 0xfffd
	v_xor_b32_e32 v40, vcc_lo, v40
	v_mad_u32_u24 v42, v39, 36, v118
	v_mul_u32_u24_e32 v39, 36, v39
	v_and_b32_e32 v37, v37, v191
	s_wait_alu 0xf1ff
	v_xor_b32_e32 v41, s15, v41
	ds_load_b32 v192, v42 offset:1056
	v_add_nc_u32_e32 v194, v118, v39
	v_and_b32_e32 v37, v37, v40
	; wave barrier
	s_delay_alu instid0(VALU_DEP_1) | instskip(NEXT) | instid1(VALU_DEP_1)
	v_and_b32_e32 v37, v37, v41
	v_mbcnt_lo_u32_b32 v193, v37, 0
	v_cmp_ne_u32_e64 s15, 0, v37
	s_delay_alu instid0(VALU_DEP_2)
	v_cmp_eq_u32_e32 vcc_lo, 0, v193
	s_and_b32 s16, s15, vcc_lo
	s_wait_alu 0xfffe
	s_and_saveexec_b32 s15, s16
	s_cbranch_execz .LBB1331_452
; %bb.451:                              ;   in Loop: Header=BB1331_388 Depth=2
	s_wait_dscnt 0x0
	v_bcnt_u32_b32 v37, v37, v192
	ds_store_b32 v194, v37 offset:1056
.LBB1331_452:                           ;   in Loop: Header=BB1331_388 Depth=2
	s_wait_alu 0xfffe
	s_or_b32 exec_lo, exec_lo, s15
	v_cmp_gt_i32_e32 vcc_lo, 0, v38
	; wave barrier
	s_wait_alu 0xfffd
	v_cndmask_b32_e64 v37, 0x7fffffff, 0, vcc_lo
	s_delay_alu instid0(VALU_DEP_1) | instskip(NEXT) | instid1(VALU_DEP_1)
	v_xor_b32_e32 v191, v37, v38
	v_cmp_ne_u32_e32 vcc_lo, 0x80000000, v191
	s_wait_alu 0xfffd
	v_cndmask_b32_e32 v37, 0x7fffffff, v191, vcc_lo
	s_delay_alu instid0(VALU_DEP_1) | instskip(NEXT) | instid1(VALU_DEP_1)
	v_lshrrev_b32_e32 v37, s31, v37
	v_and_b32_e32 v38, s48, v37
	s_delay_alu instid0(VALU_DEP_1)
	v_and_b32_e32 v37, 1, v38
	v_lshlrev_b32_e32 v39, 30, v38
	v_lshlrev_b32_e32 v40, 29, v38
	;; [unrolled: 1-line block ×4, first 2 shown]
	v_add_co_u32 v37, s15, v37, -1
	s_wait_alu 0xf1ff
	v_cndmask_b32_e64 v42, 0, 1, s15
	v_not_b32_e32 v197, v39
	v_cmp_gt_i32_e64 s15, 0, v39
	v_not_b32_e32 v39, v40
	v_lshlrev_b32_e32 v195, 26, v38
	v_cmp_ne_u32_e32 vcc_lo, 0, v42
	v_ashrrev_i32_e32 v197, 31, v197
	v_lshlrev_b32_e32 v196, 25, v38
	v_ashrrev_i32_e32 v39, 31, v39
	v_lshlrev_b32_e32 v42, 24, v38
	s_wait_alu 0xfffd
	v_xor_b32_e32 v37, vcc_lo, v37
	v_cmp_gt_i32_e32 vcc_lo, 0, v40
	v_not_b32_e32 v40, v41
	s_wait_alu 0xf1ff
	v_xor_b32_e32 v197, s15, v197
	v_cmp_gt_i32_e64 s15, 0, v41
	v_and_b32_e32 v37, exec_lo, v37
	v_not_b32_e32 v41, v43
	v_ashrrev_i32_e32 v40, 31, v40
	s_wait_alu 0xfffd
	v_xor_b32_e32 v39, vcc_lo, v39
	v_cmp_gt_i32_e32 vcc_lo, 0, v43
	v_and_b32_e32 v37, v37, v197
	v_not_b32_e32 v43, v195
	v_ashrrev_i32_e32 v41, 31, v41
	s_wait_alu 0xf1ff
	v_xor_b32_e32 v40, s15, v40
	v_cmp_gt_i32_e64 s15, 0, v195
	v_and_b32_e32 v37, v37, v39
	v_not_b32_e32 v39, v196
	v_ashrrev_i32_e32 v43, 31, v43
	s_wait_alu 0xfffd
	v_xor_b32_e32 v41, vcc_lo, v41
	v_cmp_gt_i32_e32 vcc_lo, 0, v196
	v_and_b32_e32 v37, v37, v40
	v_not_b32_e32 v40, v42
	v_ashrrev_i32_e32 v39, 31, v39
	s_wait_alu 0xf1ff
	v_xor_b32_e32 v43, s15, v43
	v_cmp_gt_i32_e64 s15, 0, v42
	v_and_b32_e32 v37, v37, v41
	v_ashrrev_i32_e32 v40, 31, v40
	s_wait_alu 0xfffd
	v_xor_b32_e32 v39, vcc_lo, v39
	v_mad_u32_u24 v41, v38, 36, v118
	v_mul_u32_u24_e32 v38, 36, v38
	v_and_b32_e32 v37, v37, v43
	s_wait_alu 0xf1ff
	v_xor_b32_e32 v40, s15, v40
	ds_load_b32 v196, v41 offset:1056
	v_add_nc_u32_e32 v198, v118, v38
	v_and_b32_e32 v37, v37, v39
	; wave barrier
	s_delay_alu instid0(VALU_DEP_1) | instskip(NEXT) | instid1(VALU_DEP_1)
	v_and_b32_e32 v37, v37, v40
	v_mbcnt_lo_u32_b32 v197, v37, 0
	v_cmp_ne_u32_e64 s15, 0, v37
	s_delay_alu instid0(VALU_DEP_2)
	v_cmp_eq_u32_e32 vcc_lo, 0, v197
	s_and_b32 s16, s15, vcc_lo
	s_wait_alu 0xfffe
	s_and_saveexec_b32 s15, s16
	s_cbranch_execz .LBB1331_454
; %bb.453:                              ;   in Loop: Header=BB1331_388 Depth=2
	s_wait_dscnt 0x0
	v_bcnt_u32_b32 v37, v37, v196
	ds_store_b32 v198, v37 offset:1056
.LBB1331_454:                           ;   in Loop: Header=BB1331_388 Depth=2
	s_wait_alu 0xfffe
	s_or_b32 exec_lo, exec_lo, s15
	v_cmp_gt_i32_e32 vcc_lo, 0, v36
	; wave barrier
	s_wait_alu 0xfffd
	v_cndmask_b32_e64 v37, 0x7fffffff, 0, vcc_lo
	s_delay_alu instid0(VALU_DEP_1) | instskip(NEXT) | instid1(VALU_DEP_1)
	v_xor_b32_e32 v195, v37, v36
	v_cmp_ne_u32_e32 vcc_lo, 0x80000000, v195
	s_wait_alu 0xfffd
	v_cndmask_b32_e32 v36, 0x7fffffff, v195, vcc_lo
	s_delay_alu instid0(VALU_DEP_1) | instskip(NEXT) | instid1(VALU_DEP_1)
	v_lshrrev_b32_e32 v36, s31, v36
	v_and_b32_e32 v37, s48, v36
	s_delay_alu instid0(VALU_DEP_1)
	v_and_b32_e32 v36, 1, v37
	v_lshlrev_b32_e32 v38, 30, v37
	v_lshlrev_b32_e32 v39, 29, v37
	;; [unrolled: 1-line block ×4, first 2 shown]
	v_add_co_u32 v36, s15, v36, -1
	s_wait_alu 0xf1ff
	v_cndmask_b32_e64 v41, 0, 1, s15
	v_not_b32_e32 v200, v38
	v_cmp_gt_i32_e64 s15, 0, v38
	v_not_b32_e32 v38, v39
	v_lshlrev_b32_e32 v43, 26, v37
	v_cmp_ne_u32_e32 vcc_lo, 0, v41
	v_ashrrev_i32_e32 v200, 31, v200
	v_lshlrev_b32_e32 v199, 25, v37
	v_ashrrev_i32_e32 v38, 31, v38
	v_lshlrev_b32_e32 v41, 24, v37
	s_wait_alu 0xfffd
	v_xor_b32_e32 v36, vcc_lo, v36
	v_cmp_gt_i32_e32 vcc_lo, 0, v39
	v_not_b32_e32 v39, v40
	s_wait_alu 0xf1ff
	v_xor_b32_e32 v200, s15, v200
	v_cmp_gt_i32_e64 s15, 0, v40
	v_and_b32_e32 v36, exec_lo, v36
	v_not_b32_e32 v40, v42
	v_ashrrev_i32_e32 v39, 31, v39
	s_wait_alu 0xfffd
	v_xor_b32_e32 v38, vcc_lo, v38
	v_cmp_gt_i32_e32 vcc_lo, 0, v42
	v_and_b32_e32 v36, v36, v200
	v_not_b32_e32 v42, v43
	v_ashrrev_i32_e32 v40, 31, v40
	s_wait_alu 0xf1ff
	v_xor_b32_e32 v39, s15, v39
	v_cmp_gt_i32_e64 s15, 0, v43
	v_and_b32_e32 v36, v36, v38
	v_not_b32_e32 v38, v199
	v_ashrrev_i32_e32 v42, 31, v42
	s_wait_alu 0xfffd
	v_xor_b32_e32 v40, vcc_lo, v40
	v_cmp_gt_i32_e32 vcc_lo, 0, v199
	v_and_b32_e32 v36, v36, v39
	v_not_b32_e32 v39, v41
	v_ashrrev_i32_e32 v38, 31, v38
	s_wait_alu 0xf1ff
	v_xor_b32_e32 v42, s15, v42
	v_cmp_gt_i32_e64 s15, 0, v41
	v_and_b32_e32 v36, v36, v40
	v_ashrrev_i32_e32 v39, 31, v39
	s_wait_alu 0xfffd
	v_xor_b32_e32 v38, vcc_lo, v38
	v_mad_u32_u24 v40, v37, 36, v118
	v_mul_u32_u24_e32 v37, 36, v37
	v_and_b32_e32 v36, v36, v42
	s_wait_alu 0xf1ff
	v_xor_b32_e32 v39, s15, v39
	ds_load_b32 v199, v40 offset:1056
	v_add_nc_u32_e32 v201, v118, v37
	v_and_b32_e32 v36, v36, v38
	; wave barrier
	s_delay_alu instid0(VALU_DEP_1) | instskip(NEXT) | instid1(VALU_DEP_1)
	v_and_b32_e32 v36, v36, v39
	v_mbcnt_lo_u32_b32 v200, v36, 0
	v_cmp_ne_u32_e64 s15, 0, v36
	s_delay_alu instid0(VALU_DEP_2)
	v_cmp_eq_u32_e32 vcc_lo, 0, v200
	s_and_b32 s16, s15, vcc_lo
	s_wait_alu 0xfffe
	s_and_saveexec_b32 s15, s16
	s_cbranch_execz .LBB1331_456
; %bb.455:                              ;   in Loop: Header=BB1331_388 Depth=2
	s_wait_dscnt 0x0
	v_bcnt_u32_b32 v36, v36, v199
	ds_store_b32 v201, v36 offset:1056
.LBB1331_456:                           ;   in Loop: Header=BB1331_388 Depth=2
	s_wait_alu 0xfffe
	s_or_b32 exec_lo, exec_lo, s15
	; wave barrier
	s_wait_loadcnt_dscnt 0x0
	s_barrier_signal -1
	s_barrier_wait -1
	global_inv scope:SCOPE_SE
	ds_load_2addr_b32 v[42:43], v139 offset1:1
	ds_load_2addr_b32 v[40:41], v140 offset1:1
	;; [unrolled: 1-line block ×4, first 2 shown]
	ds_load_b32 v202, v67 offset:1088
	s_wait_dscnt 0x3
	v_add3_u32 v203, v43, v42, v40
	s_wait_dscnt 0x2
	s_delay_alu instid0(VALU_DEP_1) | instskip(SKIP_1) | instid1(VALU_DEP_1)
	v_add3_u32 v203, v203, v41, v38
	s_wait_dscnt 0x1
	v_add3_u32 v203, v203, v39, v36
	s_wait_dscnt 0x0
	s_delay_alu instid0(VALU_DEP_1) | instskip(NEXT) | instid1(VALU_DEP_1)
	v_add3_u32 v202, v203, v37, v202
	v_mov_b32_dpp v203, v202 row_shr:1 row_mask:0xf bank_mask:0xf
	s_delay_alu instid0(VALU_DEP_1) | instskip(NEXT) | instid1(VALU_DEP_1)
	v_cndmask_b32_e64 v203, v203, 0, s0
	v_add_nc_u32_e32 v202, v203, v202
	s_delay_alu instid0(VALU_DEP_1) | instskip(NEXT) | instid1(VALU_DEP_1)
	v_mov_b32_dpp v203, v202 row_shr:2 row_mask:0xf bank_mask:0xf
	v_cndmask_b32_e64 v203, 0, v203, s1
	s_delay_alu instid0(VALU_DEP_1) | instskip(NEXT) | instid1(VALU_DEP_1)
	v_add_nc_u32_e32 v202, v202, v203
	v_mov_b32_dpp v203, v202 row_shr:4 row_mask:0xf bank_mask:0xf
	s_delay_alu instid0(VALU_DEP_1) | instskip(NEXT) | instid1(VALU_DEP_1)
	v_cndmask_b32_e64 v203, 0, v203, s9
	v_add_nc_u32_e32 v202, v202, v203
	s_delay_alu instid0(VALU_DEP_1) | instskip(NEXT) | instid1(VALU_DEP_1)
	v_mov_b32_dpp v203, v202 row_shr:8 row_mask:0xf bank_mask:0xf
	v_cndmask_b32_e64 v203, 0, v203, s10
	s_delay_alu instid0(VALU_DEP_1) | instskip(SKIP_3) | instid1(VALU_DEP_1)
	v_add_nc_u32_e32 v202, v202, v203
	ds_swizzle_b32 v203, v202 offset:swizzle(BROADCAST,32,15)
	s_wait_dscnt 0x0
	v_cndmask_b32_e64 v203, v203, 0, s11
	v_add_nc_u32_e32 v202, v202, v203
	s_and_saveexec_b32 s15, s3
; %bb.457:                              ;   in Loop: Header=BB1331_388 Depth=2
	ds_store_b32 v63, v202 offset:1024
; %bb.458:                              ;   in Loop: Header=BB1331_388 Depth=2
	s_wait_alu 0xfffe
	s_or_b32 exec_lo, exec_lo, s15
	s_wait_loadcnt_dscnt 0x0
	s_barrier_signal -1
	s_barrier_wait -1
	global_inv scope:SCOPE_SE
	s_and_saveexec_b32 s15, s4
	s_cbranch_execz .LBB1331_460
; %bb.459:                              ;   in Loop: Header=BB1331_388 Depth=2
	ds_load_b32 v203, v70 offset:1024
	s_wait_dscnt 0x0
	v_mov_b32_dpp v204, v203 row_shr:1 row_mask:0xf bank_mask:0xf
	s_delay_alu instid0(VALU_DEP_1) | instskip(NEXT) | instid1(VALU_DEP_1)
	v_cndmask_b32_e64 v204, v204, 0, s12
	v_add_nc_u32_e32 v203, v204, v203
	s_delay_alu instid0(VALU_DEP_1) | instskip(NEXT) | instid1(VALU_DEP_1)
	v_mov_b32_dpp v204, v203 row_shr:2 row_mask:0xf bank_mask:0xf
	v_cndmask_b32_e64 v204, 0, v204, s13
	s_delay_alu instid0(VALU_DEP_1) | instskip(NEXT) | instid1(VALU_DEP_1)
	v_add_nc_u32_e32 v203, v203, v204
	v_mov_b32_dpp v204, v203 row_shr:4 row_mask:0xf bank_mask:0xf
	s_delay_alu instid0(VALU_DEP_1) | instskip(NEXT) | instid1(VALU_DEP_1)
	v_cndmask_b32_e64 v204, 0, v204, s14
	v_add_nc_u32_e32 v203, v203, v204
	ds_store_b32 v70, v203 offset:1024
.LBB1331_460:                           ;   in Loop: Header=BB1331_388 Depth=2
	s_wait_alu 0xfffe
	s_or_b32 exec_lo, exec_lo, s15
	v_mov_b32_e32 v203, 0
	s_wait_loadcnt_dscnt 0x0
	s_barrier_signal -1
	s_barrier_wait -1
	global_inv scope:SCOPE_SE
	s_and_saveexec_b32 s15, s5
; %bb.461:                              ;   in Loop: Header=BB1331_388 Depth=2
	ds_load_b32 v203, v63 offset:1020
; %bb.462:                              ;   in Loop: Header=BB1331_388 Depth=2
	s_wait_alu 0xfffe
	s_or_b32 exec_lo, exec_lo, s15
	s_wait_dscnt 0x0
	v_add_nc_u32_e32 v202, v203, v202
	ds_bpermute_b32 v202, v113, v202
	s_wait_dscnt 0x0
	v_cndmask_b32_e64 v202, v202, v203, s8
	s_delay_alu instid0(VALU_DEP_1) | instskip(NEXT) | instid1(VALU_DEP_1)
	v_cndmask_b32_e64 v202, v202, 0, s6
	v_add_nc_u32_e32 v42, v202, v42
	s_delay_alu instid0(VALU_DEP_1) | instskip(NEXT) | instid1(VALU_DEP_1)
	v_add_nc_u32_e32 v43, v42, v43
	v_add_nc_u32_e32 v40, v43, v40
	s_delay_alu instid0(VALU_DEP_1) | instskip(NEXT) | instid1(VALU_DEP_1)
	v_add_nc_u32_e32 v41, v40, v41
	;; [unrolled: 3-line block ×3, first 2 shown]
	v_add_nc_u32_e32 v36, v39, v36
	s_delay_alu instid0(VALU_DEP_1)
	v_add_nc_u32_e32 v37, v36, v37
	ds_store_2addr_b32 v138, v39, v36 offset1:1
	ds_store_2addr_b32 v139, v202, v42 offset1:1
	;; [unrolled: 1-line block ×4, first 2 shown]
	ds_store_b32 v67, v37 offset:1088
	s_wait_loadcnt_dscnt 0x0
	s_barrier_signal -1
	s_barrier_wait -1
	global_inv scope:SCOPE_SE
	ds_load_b32 v39, v142 offset:1056
	ds_load_b32 v41, v146 offset:1056
	;; [unrolled: 1-line block ×17, first 2 shown]
	v_mov_b32_e32 v38, 0x1000
	s_and_saveexec_b32 s15, s7
; %bb.463:                              ;   in Loop: Header=BB1331_388 Depth=2
	ds_load_b32 v38, v67 offset:1092
; %bb.464:                              ;   in Loop: Header=BB1331_388 Depth=2
	s_wait_alu 0xfffe
	s_or_b32 exec_lo, exec_lo, s15
	s_wait_loadcnt_dscnt 0x0
	s_barrier_signal -1
	s_barrier_wait -1
	global_inv scope:SCOPE_SE
	s_and_saveexec_b32 s15, s2
	s_cbranch_execz .LBB1331_466
; %bb.465:                              ;   in Loop: Header=BB1331_388 Depth=2
	ds_load_b32 v142, v44
	s_wait_dscnt 0x0
	v_sub_nc_u32_e32 v141, v142, v141
	ds_store_b32 v44, v141
.LBB1331_466:                           ;   in Loop: Header=BB1331_388 Depth=2
	s_wait_alu 0xfffe
	s_or_b32 exec_lo, exec_lo, s15
	v_add_nc_u32_e32 v154, v39, v137
	v_add3_u32 v150, v145, v144, v41
	v_add3_u32 v146, v149, v148, v42
	;; [unrolled: 1-line block ×4, first 2 shown]
	v_lshlrev_b32_e32 v148, 2, v154
	v_add3_u32 v142, v161, v160, v139
	v_add3_u32 v141, v165, v164, v140
	;; [unrolled: 1-line block ×4, first 2 shown]
	ds_store_b32 v148, v2 offset:1024
	v_lshlrev_b32_e32 v2, 2, v150
	v_lshlrev_b32_e32 v36, 2, v146
	v_add3_u32 v139, v173, v172, v167
	v_add3_u32 v42, v193, v192, v37
	v_lshlrev_b32_e32 v37, 2, v145
	v_add3_u32 v138, v177, v176, v170
	v_lshlrev_b32_e32 v148, 2, v144
	;; [unrolled: 2-line block ×3, first 2 shown]
	v_add3_u32 v39, v185, v184, v178
	ds_store_b32 v2, v136 offset:1024
	ds_store_b32 v36, v143 offset:1024
	;; [unrolled: 1-line block ×5, first 2 shown]
	v_lshlrev_b32_e32 v2, 2, v141
	v_lshlrev_b32_e32 v36, 2, v140
	;; [unrolled: 1-line block ×3, first 2 shown]
	v_add3_u32 v41, v197, v196, v40
	v_lshlrev_b32_e32 v136, 2, v138
	v_add3_u32 v40, v200, v199, v158
	v_lshlrev_b32_e32 v143, 2, v137
	ds_store_b32 v2, v159 offset:1024
	ds_store_b32 v36, v163 offset:1024
	;; [unrolled: 1-line block ×5, first 2 shown]
	v_lshlrev_b32_e32 v2, 2, v39
	v_cmp_lt_u32_e32 vcc_lo, v1, v135
	v_lshlrev_b32_e32 v36, 2, v43
	v_lshlrev_b32_e32 v37, 2, v42
	;; [unrolled: 1-line block ×4, first 2 shown]
	ds_store_b32 v2, v179 offset:1024
	ds_store_b32 v36, v183 offset:1024
	;; [unrolled: 1-line block ×5, first 2 shown]
	s_wait_loadcnt_dscnt 0x0
	s_barrier_signal -1
	s_barrier_wait -1
	global_inv scope:SCOPE_SE
	s_and_saveexec_b32 s16, vcc_lo
	s_cbranch_execnz .LBB1331_535
; %bb.467:                              ;   in Loop: Header=BB1331_388 Depth=2
	s_wait_alu 0xfffe
	s_or_b32 exec_lo, exec_lo, s16
	v_cmp_lt_u32_e64 s15, v45, v135
	s_and_saveexec_b32 s17, s15
	s_cbranch_execnz .LBB1331_536
.LBB1331_468:                           ;   in Loop: Header=BB1331_388 Depth=2
	s_wait_alu 0xfffe
	s_or_b32 exec_lo, exec_lo, s17
	v_cmp_lt_u32_e64 s16, v46, v135
	s_and_saveexec_b32 s18, s16
	s_cbranch_execnz .LBB1331_537
.LBB1331_469:                           ;   in Loop: Header=BB1331_388 Depth=2
	s_wait_alu 0xfffe
	s_or_b32 exec_lo, exec_lo, s18
	v_cmp_lt_u32_e64 s17, v47, v135
	s_and_saveexec_b32 s19, s17
	s_cbranch_execnz .LBB1331_538
.LBB1331_470:                           ;   in Loop: Header=BB1331_388 Depth=2
	s_wait_alu 0xfffe
	s_or_b32 exec_lo, exec_lo, s19
	v_cmp_lt_u32_e64 s18, v50, v135
	s_and_saveexec_b32 s20, s18
	s_cbranch_execnz .LBB1331_539
.LBB1331_471:                           ;   in Loop: Header=BB1331_388 Depth=2
	s_wait_alu 0xfffe
	s_or_b32 exec_lo, exec_lo, s20
	v_cmp_lt_u32_e64 s19, v51, v135
	s_and_saveexec_b32 s21, s19
	s_cbranch_execnz .LBB1331_540
.LBB1331_472:                           ;   in Loop: Header=BB1331_388 Depth=2
	s_wait_alu 0xfffe
	s_or_b32 exec_lo, exec_lo, s21
	v_cmp_lt_u32_e64 s20, v52, v135
	s_and_saveexec_b32 s22, s20
	s_cbranch_execnz .LBB1331_541
.LBB1331_473:                           ;   in Loop: Header=BB1331_388 Depth=2
	s_wait_alu 0xfffe
	s_or_b32 exec_lo, exec_lo, s22
	v_cmp_lt_u32_e64 s21, v53, v135
	s_and_saveexec_b32 s23, s21
	s_cbranch_execnz .LBB1331_542
.LBB1331_474:                           ;   in Loop: Header=BB1331_388 Depth=2
	s_wait_alu 0xfffe
	s_or_b32 exec_lo, exec_lo, s23
	v_cmp_lt_u32_e64 s22, v54, v135
	s_and_saveexec_b32 s24, s22
	s_cbranch_execnz .LBB1331_543
.LBB1331_475:                           ;   in Loop: Header=BB1331_388 Depth=2
	s_wait_alu 0xfffe
	s_or_b32 exec_lo, exec_lo, s24
	v_cmp_lt_u32_e64 s23, v55, v135
	s_and_saveexec_b32 s25, s23
	s_cbranch_execnz .LBB1331_544
.LBB1331_476:                           ;   in Loop: Header=BB1331_388 Depth=2
	s_wait_alu 0xfffe
	s_or_b32 exec_lo, exec_lo, s25
	v_cmp_lt_u32_e64 s24, v56, v135
	s_and_saveexec_b32 s26, s24
	s_cbranch_execnz .LBB1331_545
.LBB1331_477:                           ;   in Loop: Header=BB1331_388 Depth=2
	s_wait_alu 0xfffe
	s_or_b32 exec_lo, exec_lo, s26
	v_cmp_lt_u32_e64 s25, v57, v135
	s_and_saveexec_b32 s27, s25
	s_cbranch_execnz .LBB1331_546
.LBB1331_478:                           ;   in Loop: Header=BB1331_388 Depth=2
	s_wait_alu 0xfffe
	s_or_b32 exec_lo, exec_lo, s27
	v_cmp_lt_u32_e64 s26, v58, v135
	s_and_saveexec_b32 s28, s26
	s_cbranch_execnz .LBB1331_547
.LBB1331_479:                           ;   in Loop: Header=BB1331_388 Depth=2
	s_wait_alu 0xfffe
	s_or_b32 exec_lo, exec_lo, s28
	v_cmp_lt_u32_e64 s27, v59, v135
	s_and_saveexec_b32 s29, s27
	s_cbranch_execnz .LBB1331_548
.LBB1331_480:                           ;   in Loop: Header=BB1331_388 Depth=2
	s_wait_alu 0xfffe
	s_or_b32 exec_lo, exec_lo, s29
	v_cmp_lt_u32_e64 s28, v60, v135
	s_and_saveexec_b32 s30, s28
	s_cbranch_execnz .LBB1331_549
.LBB1331_481:                           ;   in Loop: Header=BB1331_388 Depth=2
	s_wait_alu 0xfffe
	s_or_b32 exec_lo, exec_lo, s30
	v_cmp_lt_u32_e64 s29, v61, v135
	s_and_saveexec_b32 s56, s29
	s_cbranch_execz .LBB1331_483
.LBB1331_482:                           ;   in Loop: Header=BB1331_388 Depth=2
	ds_load_b32 v136, v70 offset:16384
	s_wait_dscnt 0x0
	v_cmp_ne_u32_e64 s30, 0x80000000, v136
	s_wait_alu 0xf1ff
	s_delay_alu instid0(VALU_DEP_1) | instskip(SKIP_1) | instid1(VALU_DEP_2)
	v_cndmask_b32_e64 v2, 0x7fffffff, v136, s30
	v_cmp_gt_i32_e64 s30, 0, v136
	v_lshrrev_b32_e32 v2, s31, v2
	s_wait_alu 0xf1ff
	s_delay_alu instid0(VALU_DEP_2) | instskip(NEXT) | instid1(VALU_DEP_2)
	v_cndmask_b32_e64 v143, 0x7fffffff, 0, s30
	v_and_b32_e32 v2, s48, v2
	s_delay_alu instid0(VALU_DEP_1) | instskip(SKIP_3) | instid1(VALU_DEP_1)
	v_lshlrev_b32_e32 v2, 2, v2
	ds_load_b32 v2, v2
	s_wait_dscnt 0x0
	v_add_nc_u32_e32 v2, v2, v61
	v_lshlrev_b64_e32 v[36:37], 2, v[2:3]
	v_xor_b32_e32 v2, v143, v136
	s_delay_alu instid0(VALU_DEP_2) | instskip(SKIP_1) | instid1(VALU_DEP_3)
	v_add_co_u32 v36, s30, s40, v36
	s_wait_alu 0xf1ff
	v_add_co_ci_u32_e64 v37, null, s41, v37, s30
	global_store_b32 v[36:37], v2, off
.LBB1331_483:                           ;   in Loop: Header=BB1331_388 Depth=2
	s_wait_alu 0xfffe
	s_or_b32 exec_lo, exec_lo, s56
	s_lshl_b64 s[56:57], s[42:43], 3
	s_wait_alu 0xfffe
	v_add_co_u32 v36, s30, v114, s56
	s_wait_alu 0xf1ff
	v_add_co_ci_u32_e64 v37, null, s57, v115, s30
	v_cmp_lt_u32_e64 s30, v88, v135
	s_and_saveexec_b32 s42, s30
	s_wait_alu 0xfffe
	s_xor_b32 s30, exec_lo, s42
	s_cbranch_execnz .LBB1331_550
; %bb.484:                              ;   in Loop: Header=BB1331_388 Depth=2
	s_wait_alu 0xfffe
	s_or_b32 exec_lo, exec_lo, s30
	s_delay_alu instid0(SALU_CYCLE_1)
	s_mov_b32 s42, exec_lo
	v_cmpx_lt_u32_e64 v92, v135
	s_cbranch_execnz .LBB1331_551
.LBB1331_485:                           ;   in Loop: Header=BB1331_388 Depth=2
	s_wait_alu 0xfffe
	s_or_b32 exec_lo, exec_lo, s42
	s_delay_alu instid0(SALU_CYCLE_1)
	s_mov_b32 s42, exec_lo
	v_cmpx_lt_u32_e64 v93, v135
	s_cbranch_execnz .LBB1331_552
.LBB1331_486:                           ;   in Loop: Header=BB1331_388 Depth=2
	s_wait_alu 0xfffe
	s_or_b32 exec_lo, exec_lo, s42
	s_delay_alu instid0(SALU_CYCLE_1)
	s_mov_b32 s42, exec_lo
	v_cmpx_lt_u32_e64 v94, v135
	s_cbranch_execnz .LBB1331_553
.LBB1331_487:                           ;   in Loop: Header=BB1331_388 Depth=2
	s_wait_alu 0xfffe
	s_or_b32 exec_lo, exec_lo, s42
	s_delay_alu instid0(SALU_CYCLE_1)
	s_mov_b32 s42, exec_lo
	v_cmpx_lt_u32_e64 v95, v135
	s_cbranch_execnz .LBB1331_554
.LBB1331_488:                           ;   in Loop: Header=BB1331_388 Depth=2
	s_wait_alu 0xfffe
	s_or_b32 exec_lo, exec_lo, s42
	s_delay_alu instid0(SALU_CYCLE_1)
	s_mov_b32 s42, exec_lo
	v_cmpx_lt_u32_e64 v96, v135
	s_cbranch_execnz .LBB1331_555
.LBB1331_489:                           ;   in Loop: Header=BB1331_388 Depth=2
	s_wait_alu 0xfffe
	s_or_b32 exec_lo, exec_lo, s42
	s_delay_alu instid0(SALU_CYCLE_1)
	s_mov_b32 s42, exec_lo
	v_cmpx_lt_u32_e64 v97, v135
	s_cbranch_execnz .LBB1331_556
.LBB1331_490:                           ;   in Loop: Header=BB1331_388 Depth=2
	s_wait_alu 0xfffe
	s_or_b32 exec_lo, exec_lo, s42
	s_delay_alu instid0(SALU_CYCLE_1)
	s_mov_b32 s42, exec_lo
	v_cmpx_lt_u32_e64 v98, v135
	s_cbranch_execnz .LBB1331_557
.LBB1331_491:                           ;   in Loop: Header=BB1331_388 Depth=2
	s_wait_alu 0xfffe
	s_or_b32 exec_lo, exec_lo, s42
	s_delay_alu instid0(SALU_CYCLE_1)
	s_mov_b32 s42, exec_lo
	v_cmpx_lt_u32_e64 v99, v135
	s_cbranch_execnz .LBB1331_558
.LBB1331_492:                           ;   in Loop: Header=BB1331_388 Depth=2
	s_wait_alu 0xfffe
	s_or_b32 exec_lo, exec_lo, s42
	s_delay_alu instid0(SALU_CYCLE_1)
	s_mov_b32 s42, exec_lo
	v_cmpx_lt_u32_e64 v100, v135
	s_cbranch_execnz .LBB1331_559
.LBB1331_493:                           ;   in Loop: Header=BB1331_388 Depth=2
	s_wait_alu 0xfffe
	s_or_b32 exec_lo, exec_lo, s42
	s_delay_alu instid0(SALU_CYCLE_1)
	s_mov_b32 s42, exec_lo
	v_cmpx_lt_u32_e64 v101, v135
	s_cbranch_execnz .LBB1331_560
.LBB1331_494:                           ;   in Loop: Header=BB1331_388 Depth=2
	s_wait_alu 0xfffe
	s_or_b32 exec_lo, exec_lo, s42
	s_delay_alu instid0(SALU_CYCLE_1)
	s_mov_b32 s42, exec_lo
	v_cmpx_lt_u32_e64 v102, v135
	s_cbranch_execnz .LBB1331_561
.LBB1331_495:                           ;   in Loop: Header=BB1331_388 Depth=2
	s_wait_alu 0xfffe
	s_or_b32 exec_lo, exec_lo, s42
	s_delay_alu instid0(SALU_CYCLE_1)
	s_mov_b32 s42, exec_lo
	v_cmpx_lt_u32_e64 v103, v135
	s_cbranch_execnz .LBB1331_562
.LBB1331_496:                           ;   in Loop: Header=BB1331_388 Depth=2
	s_wait_alu 0xfffe
	s_or_b32 exec_lo, exec_lo, s42
	s_delay_alu instid0(SALU_CYCLE_1)
	s_mov_b32 s42, exec_lo
	v_cmpx_lt_u32_e64 v104, v135
	s_cbranch_execnz .LBB1331_563
.LBB1331_497:                           ;   in Loop: Header=BB1331_388 Depth=2
	s_wait_alu 0xfffe
	s_or_b32 exec_lo, exec_lo, s42
	s_delay_alu instid0(SALU_CYCLE_1)
	s_mov_b32 s42, exec_lo
	v_cmpx_lt_u32_e64 v105, v135
	s_cbranch_execnz .LBB1331_564
.LBB1331_498:                           ;   in Loop: Header=BB1331_388 Depth=2
	s_wait_alu 0xfffe
	s_or_b32 exec_lo, exec_lo, s42
	s_delay_alu instid0(SALU_CYCLE_1)
	s_mov_b32 s42, exec_lo
	v_cmpx_lt_u32_e64 v106, v135
	s_cbranch_execnz .LBB1331_565
.LBB1331_499:                           ;   in Loop: Header=BB1331_388 Depth=2
	s_wait_alu 0xfffe
	s_or_b32 exec_lo, exec_lo, s42
	s_and_saveexec_b32 s42, vcc_lo
	s_cbranch_execnz .LBB1331_566
.LBB1331_500:                           ;   in Loop: Header=BB1331_388 Depth=2
	s_wait_alu 0xfffe
	s_or_b32 exec_lo, exec_lo, s42
	s_and_saveexec_b32 s42, s15
	s_cbranch_execnz .LBB1331_567
.LBB1331_501:                           ;   in Loop: Header=BB1331_388 Depth=2
	s_wait_alu 0xfffe
	s_or_b32 exec_lo, exec_lo, s42
	s_and_saveexec_b32 s42, s16
	s_cbranch_execnz .LBB1331_568
.LBB1331_502:                           ;   in Loop: Header=BB1331_388 Depth=2
	s_wait_alu 0xfffe
	s_or_b32 exec_lo, exec_lo, s42
	s_and_saveexec_b32 s42, s17
	s_cbranch_execnz .LBB1331_569
.LBB1331_503:                           ;   in Loop: Header=BB1331_388 Depth=2
	s_wait_alu 0xfffe
	s_or_b32 exec_lo, exec_lo, s42
	s_and_saveexec_b32 s42, s18
	s_cbranch_execnz .LBB1331_570
.LBB1331_504:                           ;   in Loop: Header=BB1331_388 Depth=2
	s_wait_alu 0xfffe
	s_or_b32 exec_lo, exec_lo, s42
	s_and_saveexec_b32 s42, s19
	s_cbranch_execnz .LBB1331_571
.LBB1331_505:                           ;   in Loop: Header=BB1331_388 Depth=2
	s_wait_alu 0xfffe
	s_or_b32 exec_lo, exec_lo, s42
	s_and_saveexec_b32 s42, s20
	s_cbranch_execnz .LBB1331_572
.LBB1331_506:                           ;   in Loop: Header=BB1331_388 Depth=2
	s_wait_alu 0xfffe
	s_or_b32 exec_lo, exec_lo, s42
	s_and_saveexec_b32 s42, s21
	s_cbranch_execnz .LBB1331_573
.LBB1331_507:                           ;   in Loop: Header=BB1331_388 Depth=2
	s_wait_alu 0xfffe
	s_or_b32 exec_lo, exec_lo, s42
	s_and_saveexec_b32 s42, s22
	s_cbranch_execnz .LBB1331_574
.LBB1331_508:                           ;   in Loop: Header=BB1331_388 Depth=2
	s_wait_alu 0xfffe
	s_or_b32 exec_lo, exec_lo, s42
	s_and_saveexec_b32 s42, s23
	s_cbranch_execnz .LBB1331_575
.LBB1331_509:                           ;   in Loop: Header=BB1331_388 Depth=2
	s_wait_alu 0xfffe
	s_or_b32 exec_lo, exec_lo, s42
	s_and_saveexec_b32 s42, s24
	s_cbranch_execnz .LBB1331_576
.LBB1331_510:                           ;   in Loop: Header=BB1331_388 Depth=2
	s_wait_alu 0xfffe
	s_or_b32 exec_lo, exec_lo, s42
	s_and_saveexec_b32 s42, s25
	s_cbranch_execnz .LBB1331_577
.LBB1331_511:                           ;   in Loop: Header=BB1331_388 Depth=2
	s_wait_alu 0xfffe
	s_or_b32 exec_lo, exec_lo, s42
	s_and_saveexec_b32 s42, s26
	s_cbranch_execnz .LBB1331_578
.LBB1331_512:                           ;   in Loop: Header=BB1331_388 Depth=2
	s_wait_alu 0xfffe
	s_or_b32 exec_lo, exec_lo, s42
	s_and_saveexec_b32 s42, s27
	s_cbranch_execnz .LBB1331_579
.LBB1331_513:                           ;   in Loop: Header=BB1331_388 Depth=2
	s_wait_alu 0xfffe
	s_or_b32 exec_lo, exec_lo, s42
	s_and_saveexec_b32 s42, s28
	s_cbranch_execnz .LBB1331_580
.LBB1331_514:                           ;   in Loop: Header=BB1331_388 Depth=2
	s_wait_alu 0xfffe
	s_or_b32 exec_lo, exec_lo, s42
	s_and_saveexec_b32 s42, s29
	s_cbranch_execz .LBB1331_516
.LBB1331_515:                           ;   in Loop: Header=BB1331_388 Depth=2
	ds_load_b32 v2, v70 offset:16384
	s_wait_dscnt 0x0
	v_cmp_ne_u32_e64 s30, 0x80000000, v2
	s_wait_alu 0xf1ff
	s_delay_alu instid0(VALU_DEP_1) | instskip(NEXT) | instid1(VALU_DEP_1)
	v_cndmask_b32_e64 v2, 0x7fffffff, v2, s30
	v_lshrrev_b32_e32 v2, s31, v2
	s_delay_alu instid0(VALU_DEP_1)
	v_and_b32_e32 v119, s48, v2
.LBB1331_516:                           ;   in Loop: Header=BB1331_388 Depth=2
	s_wait_alu 0xfffe
	s_or_b32 exec_lo, exec_lo, s42
	v_lshlrev_b32_e32 v2, 3, v154
	s_wait_loadcnt 0x0
	s_wait_storecnt 0x0
	s_barrier_signal -1
	s_barrier_wait -1
	global_inv scope:SCOPE_SE
	ds_store_b64 v2, v[34:35] offset:1024
	v_lshlrev_b32_e32 v2, 3, v150
	v_lshlrev_b32_e32 v36, 3, v146
	v_lshlrev_b32_e32 v37, 3, v145
	v_lshlrev_b32_e32 v135, 3, v144
	v_lshlrev_b32_e32 v136, 3, v142
	ds_store_b64 v2, v[32:33] offset:1024
	ds_store_b64 v36, v[30:31] offset:1024
	ds_store_b64 v37, v[28:29] offset:1024
	ds_store_b64 v135, v[26:27] offset:1024
	ds_store_b64 v136, v[24:25] offset:1024
	v_lshlrev_b32_e32 v2, 3, v141
	v_lshlrev_b32_e32 v36, 3, v140
	v_lshlrev_b32_e32 v37, 3, v139
	v_lshlrev_b32_e32 v135, 3, v138
	v_lshlrev_b32_e32 v136, 3, v137
	ds_store_b64 v2, v[22:23] offset:1024
	ds_store_b64 v36, v[20:21] offset:1024
	ds_store_b64 v37, v[18:19] offset:1024
	ds_store_b64 v135, v[16:17] offset:1024
	ds_store_b64 v136, v[14:15] offset:1024
	v_lshlrev_b32_e32 v2, 3, v39
	v_lshlrev_b32_e32 v36, 3, v43
	v_lshlrev_b32_e32 v37, 3, v42
	v_lshlrev_b32_e32 v39, 3, v41
	v_lshlrev_b32_e32 v40, 3, v40
	ds_store_b64 v2, v[12:13] offset:1024
	ds_store_b64 v36, v[10:11] offset:1024
	ds_store_b64 v37, v[8:9] offset:1024
	ds_store_b64 v39, v[6:7] offset:1024
	ds_store_b64 v40, v[4:5] offset:1024
	s_wait_loadcnt_dscnt 0x0
	s_barrier_signal -1
	s_barrier_wait -1
	global_inv scope:SCOPE_SE
	s_and_saveexec_b32 s30, vcc_lo
	s_cbranch_execnz .LBB1331_581
; %bb.517:                              ;   in Loop: Header=BB1331_388 Depth=2
	s_wait_alu 0xfffe
	s_or_b32 exec_lo, exec_lo, s30
	s_and_saveexec_b32 s30, s15
	s_cbranch_execnz .LBB1331_582
.LBB1331_518:                           ;   in Loop: Header=BB1331_388 Depth=2
	s_wait_alu 0xfffe
	s_or_b32 exec_lo, exec_lo, s30
	s_and_saveexec_b32 s15, s16
	s_cbranch_execnz .LBB1331_583
.LBB1331_519:                           ;   in Loop: Header=BB1331_388 Depth=2
	s_wait_alu 0xfffe
	s_or_b32 exec_lo, exec_lo, s15
	s_and_saveexec_b32 s15, s17
	s_cbranch_execnz .LBB1331_584
.LBB1331_520:                           ;   in Loop: Header=BB1331_388 Depth=2
	s_wait_alu 0xfffe
	s_or_b32 exec_lo, exec_lo, s15
	s_and_saveexec_b32 s15, s18
	s_cbranch_execnz .LBB1331_585
.LBB1331_521:                           ;   in Loop: Header=BB1331_388 Depth=2
	s_wait_alu 0xfffe
	s_or_b32 exec_lo, exec_lo, s15
	s_and_saveexec_b32 s15, s19
	s_cbranch_execnz .LBB1331_586
.LBB1331_522:                           ;   in Loop: Header=BB1331_388 Depth=2
	s_wait_alu 0xfffe
	s_or_b32 exec_lo, exec_lo, s15
	s_and_saveexec_b32 s15, s20
	s_cbranch_execnz .LBB1331_587
.LBB1331_523:                           ;   in Loop: Header=BB1331_388 Depth=2
	s_wait_alu 0xfffe
	s_or_b32 exec_lo, exec_lo, s15
	s_and_saveexec_b32 s15, s21
	s_cbranch_execnz .LBB1331_588
.LBB1331_524:                           ;   in Loop: Header=BB1331_388 Depth=2
	s_wait_alu 0xfffe
	s_or_b32 exec_lo, exec_lo, s15
	s_and_saveexec_b32 s15, s22
	s_cbranch_execnz .LBB1331_589
.LBB1331_525:                           ;   in Loop: Header=BB1331_388 Depth=2
	s_wait_alu 0xfffe
	s_or_b32 exec_lo, exec_lo, s15
	s_and_saveexec_b32 s15, s23
	s_cbranch_execnz .LBB1331_590
.LBB1331_526:                           ;   in Loop: Header=BB1331_388 Depth=2
	s_wait_alu 0xfffe
	s_or_b32 exec_lo, exec_lo, s15
	s_and_saveexec_b32 s15, s24
	s_cbranch_execnz .LBB1331_591
.LBB1331_527:                           ;   in Loop: Header=BB1331_388 Depth=2
	s_wait_alu 0xfffe
	s_or_b32 exec_lo, exec_lo, s15
	s_and_saveexec_b32 s15, s25
	s_cbranch_execnz .LBB1331_592
.LBB1331_528:                           ;   in Loop: Header=BB1331_388 Depth=2
	s_wait_alu 0xfffe
	s_or_b32 exec_lo, exec_lo, s15
	s_and_saveexec_b32 s15, s26
	s_cbranch_execnz .LBB1331_593
.LBB1331_529:                           ;   in Loop: Header=BB1331_388 Depth=2
	s_wait_alu 0xfffe
	s_or_b32 exec_lo, exec_lo, s15
	s_and_saveexec_b32 s15, s27
	s_cbranch_execnz .LBB1331_594
.LBB1331_530:                           ;   in Loop: Header=BB1331_388 Depth=2
	s_wait_alu 0xfffe
	s_or_b32 exec_lo, exec_lo, s15
	s_and_saveexec_b32 s15, s28
	s_cbranch_execnz .LBB1331_595
.LBB1331_531:                           ;   in Loop: Header=BB1331_388 Depth=2
	s_wait_alu 0xfffe
	s_or_b32 exec_lo, exec_lo, s15
	s_and_saveexec_b32 s15, s29
	s_cbranch_execz .LBB1331_533
.LBB1331_532:                           ;   in Loop: Header=BB1331_388 Depth=2
	v_lshlrev_b32_e32 v2, 2, v119
	v_add_nc_u32_e32 v36, v70, v44
	ds_load_b32 v2, v2
	ds_load_b64 v[36:37], v36 offset:31744
	s_wait_dscnt 0x1
	v_add_nc_u32_e32 v2, v2, v61
	s_delay_alu instid0(VALU_DEP_1) | instskip(NEXT) | instid1(VALU_DEP_1)
	v_lshlrev_b64_e32 v[39:40], 3, v[2:3]
	v_add_co_u32 v39, vcc_lo, s46, v39
	s_wait_alu 0xfffd
	s_delay_alu instid0(VALU_DEP_2)
	v_add_co_ci_u32_e64 v40, null, s47, v40, vcc_lo
	s_wait_dscnt 0x0
	global_store_b64 v[39:40], v[36:37], off
.LBB1331_533:                           ;   in Loop: Header=BB1331_388 Depth=2
	s_wait_alu 0xfffe
	s_or_b32 exec_lo, exec_lo, s15
	s_wait_loadcnt 0x0
	s_wait_storecnt 0x0
	s_barrier_signal -1
	s_barrier_wait -1
	global_inv scope:SCOPE_SE
	s_and_saveexec_b32 s15, s2
	s_cbranch_execz .LBB1331_387
; %bb.534:                              ;   in Loop: Header=BB1331_388 Depth=2
	ds_load_b32 v2, v44
	s_wait_dscnt 0x0
	v_add_nc_u32_e32 v2, v2, v38
	ds_store_b32 v44, v2
	s_branch .LBB1331_387
.LBB1331_535:                           ;   in Loop: Header=BB1331_388 Depth=2
	ds_load_b32 v136, v70 offset:1024
	s_wait_dscnt 0x0
	v_cmp_ne_u32_e64 s15, 0x80000000, v136
	s_wait_alu 0xf1ff
	s_delay_alu instid0(VALU_DEP_1) | instskip(SKIP_1) | instid1(VALU_DEP_2)
	v_cndmask_b32_e64 v2, 0x7fffffff, v136, s15
	v_cmp_gt_i32_e64 s15, 0, v136
	v_lshrrev_b32_e32 v2, s31, v2
	s_wait_alu 0xf1ff
	s_delay_alu instid0(VALU_DEP_2) | instskip(NEXT) | instid1(VALU_DEP_2)
	v_cndmask_b32_e64 v143, 0x7fffffff, 0, s15
	v_and_b32_e32 v2, s48, v2
	s_delay_alu instid0(VALU_DEP_1) | instskip(SKIP_3) | instid1(VALU_DEP_1)
	v_lshlrev_b32_e32 v2, 2, v2
	ds_load_b32 v2, v2
	s_wait_dscnt 0x0
	v_add_nc_u32_e32 v2, v2, v1
	v_lshlrev_b64_e32 v[36:37], 2, v[2:3]
	v_xor_b32_e32 v2, v143, v136
	s_delay_alu instid0(VALU_DEP_2) | instskip(SKIP_1) | instid1(VALU_DEP_3)
	v_add_co_u32 v36, s15, s40, v36
	s_wait_alu 0xf1ff
	v_add_co_ci_u32_e64 v37, null, s41, v37, s15
	global_store_b32 v[36:37], v2, off
	s_wait_alu 0xfffe
	s_or_b32 exec_lo, exec_lo, s16
	v_cmp_lt_u32_e64 s15, v45, v135
	s_and_saveexec_b32 s17, s15
	s_cbranch_execz .LBB1331_468
.LBB1331_536:                           ;   in Loop: Header=BB1331_388 Depth=2
	ds_load_b32 v136, v70 offset:2048
	s_wait_dscnt 0x0
	v_cmp_ne_u32_e64 s16, 0x80000000, v136
	s_wait_alu 0xf1ff
	s_delay_alu instid0(VALU_DEP_1) | instskip(SKIP_1) | instid1(VALU_DEP_2)
	v_cndmask_b32_e64 v2, 0x7fffffff, v136, s16
	v_cmp_gt_i32_e64 s16, 0, v136
	v_lshrrev_b32_e32 v2, s31, v2
	s_wait_alu 0xf1ff
	s_delay_alu instid0(VALU_DEP_2) | instskip(NEXT) | instid1(VALU_DEP_2)
	v_cndmask_b32_e64 v143, 0x7fffffff, 0, s16
	v_and_b32_e32 v2, s48, v2
	s_delay_alu instid0(VALU_DEP_1) | instskip(SKIP_3) | instid1(VALU_DEP_1)
	v_lshlrev_b32_e32 v2, 2, v2
	ds_load_b32 v2, v2
	s_wait_dscnt 0x0
	v_add_nc_u32_e32 v2, v2, v45
	v_lshlrev_b64_e32 v[36:37], 2, v[2:3]
	v_xor_b32_e32 v2, v143, v136
	s_delay_alu instid0(VALU_DEP_2) | instskip(SKIP_1) | instid1(VALU_DEP_3)
	v_add_co_u32 v36, s16, s40, v36
	s_wait_alu 0xf1ff
	v_add_co_ci_u32_e64 v37, null, s41, v37, s16
	global_store_b32 v[36:37], v2, off
	s_wait_alu 0xfffe
	s_or_b32 exec_lo, exec_lo, s17
	v_cmp_lt_u32_e64 s16, v46, v135
	s_and_saveexec_b32 s18, s16
	s_cbranch_execz .LBB1331_469
.LBB1331_537:                           ;   in Loop: Header=BB1331_388 Depth=2
	ds_load_b32 v136, v70 offset:3072
	s_wait_dscnt 0x0
	v_cmp_ne_u32_e64 s17, 0x80000000, v136
	s_wait_alu 0xf1ff
	s_delay_alu instid0(VALU_DEP_1) | instskip(SKIP_1) | instid1(VALU_DEP_2)
	v_cndmask_b32_e64 v2, 0x7fffffff, v136, s17
	v_cmp_gt_i32_e64 s17, 0, v136
	v_lshrrev_b32_e32 v2, s31, v2
	s_wait_alu 0xf1ff
	s_delay_alu instid0(VALU_DEP_2) | instskip(NEXT) | instid1(VALU_DEP_2)
	v_cndmask_b32_e64 v143, 0x7fffffff, 0, s17
	v_and_b32_e32 v2, s48, v2
	s_delay_alu instid0(VALU_DEP_1) | instskip(SKIP_3) | instid1(VALU_DEP_1)
	v_lshlrev_b32_e32 v2, 2, v2
	ds_load_b32 v2, v2
	s_wait_dscnt 0x0
	v_add_nc_u32_e32 v2, v2, v46
	v_lshlrev_b64_e32 v[36:37], 2, v[2:3]
	v_xor_b32_e32 v2, v143, v136
	s_delay_alu instid0(VALU_DEP_2) | instskip(SKIP_1) | instid1(VALU_DEP_3)
	v_add_co_u32 v36, s17, s40, v36
	s_wait_alu 0xf1ff
	v_add_co_ci_u32_e64 v37, null, s41, v37, s17
	global_store_b32 v[36:37], v2, off
	s_wait_alu 0xfffe
	s_or_b32 exec_lo, exec_lo, s18
	v_cmp_lt_u32_e64 s17, v47, v135
	s_and_saveexec_b32 s19, s17
	s_cbranch_execz .LBB1331_470
.LBB1331_538:                           ;   in Loop: Header=BB1331_388 Depth=2
	ds_load_b32 v136, v70 offset:4096
	s_wait_dscnt 0x0
	v_cmp_ne_u32_e64 s18, 0x80000000, v136
	s_wait_alu 0xf1ff
	s_delay_alu instid0(VALU_DEP_1) | instskip(SKIP_1) | instid1(VALU_DEP_2)
	v_cndmask_b32_e64 v2, 0x7fffffff, v136, s18
	v_cmp_gt_i32_e64 s18, 0, v136
	v_lshrrev_b32_e32 v2, s31, v2
	s_wait_alu 0xf1ff
	s_delay_alu instid0(VALU_DEP_2) | instskip(NEXT) | instid1(VALU_DEP_2)
	v_cndmask_b32_e64 v143, 0x7fffffff, 0, s18
	v_and_b32_e32 v2, s48, v2
	s_delay_alu instid0(VALU_DEP_1) | instskip(SKIP_3) | instid1(VALU_DEP_1)
	v_lshlrev_b32_e32 v2, 2, v2
	ds_load_b32 v2, v2
	s_wait_dscnt 0x0
	v_add_nc_u32_e32 v2, v2, v47
	v_lshlrev_b64_e32 v[36:37], 2, v[2:3]
	v_xor_b32_e32 v2, v143, v136
	s_delay_alu instid0(VALU_DEP_2) | instskip(SKIP_1) | instid1(VALU_DEP_3)
	v_add_co_u32 v36, s18, s40, v36
	s_wait_alu 0xf1ff
	v_add_co_ci_u32_e64 v37, null, s41, v37, s18
	global_store_b32 v[36:37], v2, off
	s_wait_alu 0xfffe
	s_or_b32 exec_lo, exec_lo, s19
	v_cmp_lt_u32_e64 s18, v50, v135
	s_and_saveexec_b32 s20, s18
	s_cbranch_execz .LBB1331_471
.LBB1331_539:                           ;   in Loop: Header=BB1331_388 Depth=2
	ds_load_b32 v136, v70 offset:5120
	s_wait_dscnt 0x0
	v_cmp_ne_u32_e64 s19, 0x80000000, v136
	s_wait_alu 0xf1ff
	s_delay_alu instid0(VALU_DEP_1) | instskip(SKIP_1) | instid1(VALU_DEP_2)
	v_cndmask_b32_e64 v2, 0x7fffffff, v136, s19
	v_cmp_gt_i32_e64 s19, 0, v136
	v_lshrrev_b32_e32 v2, s31, v2
	s_wait_alu 0xf1ff
	s_delay_alu instid0(VALU_DEP_2) | instskip(NEXT) | instid1(VALU_DEP_2)
	v_cndmask_b32_e64 v143, 0x7fffffff, 0, s19
	v_and_b32_e32 v2, s48, v2
	s_delay_alu instid0(VALU_DEP_1) | instskip(SKIP_3) | instid1(VALU_DEP_1)
	v_lshlrev_b32_e32 v2, 2, v2
	ds_load_b32 v2, v2
	s_wait_dscnt 0x0
	v_add_nc_u32_e32 v2, v2, v50
	v_lshlrev_b64_e32 v[36:37], 2, v[2:3]
	v_xor_b32_e32 v2, v143, v136
	s_delay_alu instid0(VALU_DEP_2) | instskip(SKIP_1) | instid1(VALU_DEP_3)
	v_add_co_u32 v36, s19, s40, v36
	s_wait_alu 0xf1ff
	v_add_co_ci_u32_e64 v37, null, s41, v37, s19
	global_store_b32 v[36:37], v2, off
	s_wait_alu 0xfffe
	s_or_b32 exec_lo, exec_lo, s20
	v_cmp_lt_u32_e64 s19, v51, v135
	s_and_saveexec_b32 s21, s19
	s_cbranch_execz .LBB1331_472
.LBB1331_540:                           ;   in Loop: Header=BB1331_388 Depth=2
	ds_load_b32 v136, v70 offset:6144
	s_wait_dscnt 0x0
	v_cmp_ne_u32_e64 s20, 0x80000000, v136
	s_wait_alu 0xf1ff
	s_delay_alu instid0(VALU_DEP_1) | instskip(SKIP_1) | instid1(VALU_DEP_2)
	v_cndmask_b32_e64 v2, 0x7fffffff, v136, s20
	v_cmp_gt_i32_e64 s20, 0, v136
	v_lshrrev_b32_e32 v2, s31, v2
	s_wait_alu 0xf1ff
	s_delay_alu instid0(VALU_DEP_2) | instskip(NEXT) | instid1(VALU_DEP_2)
	v_cndmask_b32_e64 v143, 0x7fffffff, 0, s20
	v_and_b32_e32 v2, s48, v2
	s_delay_alu instid0(VALU_DEP_1) | instskip(SKIP_3) | instid1(VALU_DEP_1)
	v_lshlrev_b32_e32 v2, 2, v2
	ds_load_b32 v2, v2
	s_wait_dscnt 0x0
	v_add_nc_u32_e32 v2, v2, v51
	v_lshlrev_b64_e32 v[36:37], 2, v[2:3]
	v_xor_b32_e32 v2, v143, v136
	s_delay_alu instid0(VALU_DEP_2) | instskip(SKIP_1) | instid1(VALU_DEP_3)
	v_add_co_u32 v36, s20, s40, v36
	s_wait_alu 0xf1ff
	v_add_co_ci_u32_e64 v37, null, s41, v37, s20
	global_store_b32 v[36:37], v2, off
	s_wait_alu 0xfffe
	s_or_b32 exec_lo, exec_lo, s21
	v_cmp_lt_u32_e64 s20, v52, v135
	s_and_saveexec_b32 s22, s20
	s_cbranch_execz .LBB1331_473
.LBB1331_541:                           ;   in Loop: Header=BB1331_388 Depth=2
	ds_load_b32 v136, v70 offset:7168
	s_wait_dscnt 0x0
	v_cmp_ne_u32_e64 s21, 0x80000000, v136
	s_wait_alu 0xf1ff
	s_delay_alu instid0(VALU_DEP_1) | instskip(SKIP_1) | instid1(VALU_DEP_2)
	v_cndmask_b32_e64 v2, 0x7fffffff, v136, s21
	v_cmp_gt_i32_e64 s21, 0, v136
	v_lshrrev_b32_e32 v2, s31, v2
	s_wait_alu 0xf1ff
	s_delay_alu instid0(VALU_DEP_2) | instskip(NEXT) | instid1(VALU_DEP_2)
	v_cndmask_b32_e64 v143, 0x7fffffff, 0, s21
	v_and_b32_e32 v2, s48, v2
	s_delay_alu instid0(VALU_DEP_1) | instskip(SKIP_3) | instid1(VALU_DEP_1)
	v_lshlrev_b32_e32 v2, 2, v2
	ds_load_b32 v2, v2
	s_wait_dscnt 0x0
	v_add_nc_u32_e32 v2, v2, v52
	v_lshlrev_b64_e32 v[36:37], 2, v[2:3]
	v_xor_b32_e32 v2, v143, v136
	s_delay_alu instid0(VALU_DEP_2) | instskip(SKIP_1) | instid1(VALU_DEP_3)
	v_add_co_u32 v36, s21, s40, v36
	s_wait_alu 0xf1ff
	v_add_co_ci_u32_e64 v37, null, s41, v37, s21
	global_store_b32 v[36:37], v2, off
	s_wait_alu 0xfffe
	s_or_b32 exec_lo, exec_lo, s22
	v_cmp_lt_u32_e64 s21, v53, v135
	s_and_saveexec_b32 s23, s21
	s_cbranch_execz .LBB1331_474
.LBB1331_542:                           ;   in Loop: Header=BB1331_388 Depth=2
	ds_load_b32 v136, v70 offset:8192
	s_wait_dscnt 0x0
	v_cmp_ne_u32_e64 s22, 0x80000000, v136
	s_wait_alu 0xf1ff
	s_delay_alu instid0(VALU_DEP_1) | instskip(SKIP_1) | instid1(VALU_DEP_2)
	v_cndmask_b32_e64 v2, 0x7fffffff, v136, s22
	v_cmp_gt_i32_e64 s22, 0, v136
	v_lshrrev_b32_e32 v2, s31, v2
	s_wait_alu 0xf1ff
	s_delay_alu instid0(VALU_DEP_2) | instskip(NEXT) | instid1(VALU_DEP_2)
	v_cndmask_b32_e64 v143, 0x7fffffff, 0, s22
	v_and_b32_e32 v2, s48, v2
	s_delay_alu instid0(VALU_DEP_1) | instskip(SKIP_3) | instid1(VALU_DEP_1)
	v_lshlrev_b32_e32 v2, 2, v2
	ds_load_b32 v2, v2
	s_wait_dscnt 0x0
	v_add_nc_u32_e32 v2, v2, v53
	v_lshlrev_b64_e32 v[36:37], 2, v[2:3]
	v_xor_b32_e32 v2, v143, v136
	s_delay_alu instid0(VALU_DEP_2) | instskip(SKIP_1) | instid1(VALU_DEP_3)
	v_add_co_u32 v36, s22, s40, v36
	s_wait_alu 0xf1ff
	v_add_co_ci_u32_e64 v37, null, s41, v37, s22
	global_store_b32 v[36:37], v2, off
	s_wait_alu 0xfffe
	s_or_b32 exec_lo, exec_lo, s23
	v_cmp_lt_u32_e64 s22, v54, v135
	s_and_saveexec_b32 s24, s22
	s_cbranch_execz .LBB1331_475
.LBB1331_543:                           ;   in Loop: Header=BB1331_388 Depth=2
	ds_load_b32 v136, v70 offset:9216
	s_wait_dscnt 0x0
	v_cmp_ne_u32_e64 s23, 0x80000000, v136
	s_wait_alu 0xf1ff
	s_delay_alu instid0(VALU_DEP_1) | instskip(SKIP_1) | instid1(VALU_DEP_2)
	v_cndmask_b32_e64 v2, 0x7fffffff, v136, s23
	v_cmp_gt_i32_e64 s23, 0, v136
	v_lshrrev_b32_e32 v2, s31, v2
	s_wait_alu 0xf1ff
	s_delay_alu instid0(VALU_DEP_2) | instskip(NEXT) | instid1(VALU_DEP_2)
	v_cndmask_b32_e64 v143, 0x7fffffff, 0, s23
	v_and_b32_e32 v2, s48, v2
	s_delay_alu instid0(VALU_DEP_1) | instskip(SKIP_3) | instid1(VALU_DEP_1)
	v_lshlrev_b32_e32 v2, 2, v2
	ds_load_b32 v2, v2
	s_wait_dscnt 0x0
	v_add_nc_u32_e32 v2, v2, v54
	v_lshlrev_b64_e32 v[36:37], 2, v[2:3]
	v_xor_b32_e32 v2, v143, v136
	s_delay_alu instid0(VALU_DEP_2) | instskip(SKIP_1) | instid1(VALU_DEP_3)
	v_add_co_u32 v36, s23, s40, v36
	s_wait_alu 0xf1ff
	v_add_co_ci_u32_e64 v37, null, s41, v37, s23
	global_store_b32 v[36:37], v2, off
	s_wait_alu 0xfffe
	s_or_b32 exec_lo, exec_lo, s24
	v_cmp_lt_u32_e64 s23, v55, v135
	s_and_saveexec_b32 s25, s23
	s_cbranch_execz .LBB1331_476
.LBB1331_544:                           ;   in Loop: Header=BB1331_388 Depth=2
	ds_load_b32 v136, v70 offset:10240
	s_wait_dscnt 0x0
	v_cmp_ne_u32_e64 s24, 0x80000000, v136
	s_wait_alu 0xf1ff
	s_delay_alu instid0(VALU_DEP_1) | instskip(SKIP_1) | instid1(VALU_DEP_2)
	v_cndmask_b32_e64 v2, 0x7fffffff, v136, s24
	v_cmp_gt_i32_e64 s24, 0, v136
	v_lshrrev_b32_e32 v2, s31, v2
	s_wait_alu 0xf1ff
	s_delay_alu instid0(VALU_DEP_2) | instskip(NEXT) | instid1(VALU_DEP_2)
	v_cndmask_b32_e64 v143, 0x7fffffff, 0, s24
	v_and_b32_e32 v2, s48, v2
	s_delay_alu instid0(VALU_DEP_1) | instskip(SKIP_3) | instid1(VALU_DEP_1)
	v_lshlrev_b32_e32 v2, 2, v2
	ds_load_b32 v2, v2
	s_wait_dscnt 0x0
	v_add_nc_u32_e32 v2, v2, v55
	v_lshlrev_b64_e32 v[36:37], 2, v[2:3]
	v_xor_b32_e32 v2, v143, v136
	s_delay_alu instid0(VALU_DEP_2) | instskip(SKIP_1) | instid1(VALU_DEP_3)
	v_add_co_u32 v36, s24, s40, v36
	s_wait_alu 0xf1ff
	v_add_co_ci_u32_e64 v37, null, s41, v37, s24
	global_store_b32 v[36:37], v2, off
	s_wait_alu 0xfffe
	s_or_b32 exec_lo, exec_lo, s25
	v_cmp_lt_u32_e64 s24, v56, v135
	s_and_saveexec_b32 s26, s24
	s_cbranch_execz .LBB1331_477
.LBB1331_545:                           ;   in Loop: Header=BB1331_388 Depth=2
	ds_load_b32 v136, v70 offset:11264
	s_wait_dscnt 0x0
	v_cmp_ne_u32_e64 s25, 0x80000000, v136
	s_wait_alu 0xf1ff
	s_delay_alu instid0(VALU_DEP_1) | instskip(SKIP_1) | instid1(VALU_DEP_2)
	v_cndmask_b32_e64 v2, 0x7fffffff, v136, s25
	v_cmp_gt_i32_e64 s25, 0, v136
	v_lshrrev_b32_e32 v2, s31, v2
	s_wait_alu 0xf1ff
	s_delay_alu instid0(VALU_DEP_2) | instskip(NEXT) | instid1(VALU_DEP_2)
	v_cndmask_b32_e64 v143, 0x7fffffff, 0, s25
	v_and_b32_e32 v2, s48, v2
	s_delay_alu instid0(VALU_DEP_1) | instskip(SKIP_3) | instid1(VALU_DEP_1)
	v_lshlrev_b32_e32 v2, 2, v2
	ds_load_b32 v2, v2
	s_wait_dscnt 0x0
	v_add_nc_u32_e32 v2, v2, v56
	v_lshlrev_b64_e32 v[36:37], 2, v[2:3]
	v_xor_b32_e32 v2, v143, v136
	s_delay_alu instid0(VALU_DEP_2) | instskip(SKIP_1) | instid1(VALU_DEP_3)
	v_add_co_u32 v36, s25, s40, v36
	s_wait_alu 0xf1ff
	v_add_co_ci_u32_e64 v37, null, s41, v37, s25
	global_store_b32 v[36:37], v2, off
	s_wait_alu 0xfffe
	s_or_b32 exec_lo, exec_lo, s26
	v_cmp_lt_u32_e64 s25, v57, v135
	s_and_saveexec_b32 s27, s25
	s_cbranch_execz .LBB1331_478
.LBB1331_546:                           ;   in Loop: Header=BB1331_388 Depth=2
	ds_load_b32 v136, v70 offset:12288
	s_wait_dscnt 0x0
	v_cmp_ne_u32_e64 s26, 0x80000000, v136
	s_wait_alu 0xf1ff
	s_delay_alu instid0(VALU_DEP_1) | instskip(SKIP_1) | instid1(VALU_DEP_2)
	v_cndmask_b32_e64 v2, 0x7fffffff, v136, s26
	v_cmp_gt_i32_e64 s26, 0, v136
	v_lshrrev_b32_e32 v2, s31, v2
	s_wait_alu 0xf1ff
	s_delay_alu instid0(VALU_DEP_2) | instskip(NEXT) | instid1(VALU_DEP_2)
	v_cndmask_b32_e64 v143, 0x7fffffff, 0, s26
	v_and_b32_e32 v2, s48, v2
	s_delay_alu instid0(VALU_DEP_1) | instskip(SKIP_3) | instid1(VALU_DEP_1)
	v_lshlrev_b32_e32 v2, 2, v2
	ds_load_b32 v2, v2
	s_wait_dscnt 0x0
	v_add_nc_u32_e32 v2, v2, v57
	v_lshlrev_b64_e32 v[36:37], 2, v[2:3]
	v_xor_b32_e32 v2, v143, v136
	s_delay_alu instid0(VALU_DEP_2) | instskip(SKIP_1) | instid1(VALU_DEP_3)
	v_add_co_u32 v36, s26, s40, v36
	s_wait_alu 0xf1ff
	v_add_co_ci_u32_e64 v37, null, s41, v37, s26
	global_store_b32 v[36:37], v2, off
	s_wait_alu 0xfffe
	s_or_b32 exec_lo, exec_lo, s27
	v_cmp_lt_u32_e64 s26, v58, v135
	s_and_saveexec_b32 s28, s26
	s_cbranch_execz .LBB1331_479
.LBB1331_547:                           ;   in Loop: Header=BB1331_388 Depth=2
	ds_load_b32 v136, v70 offset:13312
	s_wait_dscnt 0x0
	v_cmp_ne_u32_e64 s27, 0x80000000, v136
	s_wait_alu 0xf1ff
	s_delay_alu instid0(VALU_DEP_1) | instskip(SKIP_1) | instid1(VALU_DEP_2)
	v_cndmask_b32_e64 v2, 0x7fffffff, v136, s27
	v_cmp_gt_i32_e64 s27, 0, v136
	v_lshrrev_b32_e32 v2, s31, v2
	s_wait_alu 0xf1ff
	s_delay_alu instid0(VALU_DEP_2) | instskip(NEXT) | instid1(VALU_DEP_2)
	v_cndmask_b32_e64 v143, 0x7fffffff, 0, s27
	v_and_b32_e32 v2, s48, v2
	s_delay_alu instid0(VALU_DEP_1) | instskip(SKIP_3) | instid1(VALU_DEP_1)
	v_lshlrev_b32_e32 v2, 2, v2
	ds_load_b32 v2, v2
	s_wait_dscnt 0x0
	v_add_nc_u32_e32 v2, v2, v58
	v_lshlrev_b64_e32 v[36:37], 2, v[2:3]
	v_xor_b32_e32 v2, v143, v136
	s_delay_alu instid0(VALU_DEP_2) | instskip(SKIP_1) | instid1(VALU_DEP_3)
	v_add_co_u32 v36, s27, s40, v36
	s_wait_alu 0xf1ff
	v_add_co_ci_u32_e64 v37, null, s41, v37, s27
	global_store_b32 v[36:37], v2, off
	s_wait_alu 0xfffe
	s_or_b32 exec_lo, exec_lo, s28
	v_cmp_lt_u32_e64 s27, v59, v135
	s_and_saveexec_b32 s29, s27
	s_cbranch_execz .LBB1331_480
.LBB1331_548:                           ;   in Loop: Header=BB1331_388 Depth=2
	ds_load_b32 v136, v70 offset:14336
	s_wait_dscnt 0x0
	v_cmp_ne_u32_e64 s28, 0x80000000, v136
	s_wait_alu 0xf1ff
	s_delay_alu instid0(VALU_DEP_1) | instskip(SKIP_1) | instid1(VALU_DEP_2)
	v_cndmask_b32_e64 v2, 0x7fffffff, v136, s28
	v_cmp_gt_i32_e64 s28, 0, v136
	v_lshrrev_b32_e32 v2, s31, v2
	s_wait_alu 0xf1ff
	s_delay_alu instid0(VALU_DEP_2) | instskip(NEXT) | instid1(VALU_DEP_2)
	v_cndmask_b32_e64 v143, 0x7fffffff, 0, s28
	v_and_b32_e32 v2, s48, v2
	s_delay_alu instid0(VALU_DEP_1) | instskip(SKIP_3) | instid1(VALU_DEP_1)
	v_lshlrev_b32_e32 v2, 2, v2
	ds_load_b32 v2, v2
	s_wait_dscnt 0x0
	v_add_nc_u32_e32 v2, v2, v59
	v_lshlrev_b64_e32 v[36:37], 2, v[2:3]
	v_xor_b32_e32 v2, v143, v136
	s_delay_alu instid0(VALU_DEP_2) | instskip(SKIP_1) | instid1(VALU_DEP_3)
	v_add_co_u32 v36, s28, s40, v36
	s_wait_alu 0xf1ff
	v_add_co_ci_u32_e64 v37, null, s41, v37, s28
	global_store_b32 v[36:37], v2, off
	s_wait_alu 0xfffe
	s_or_b32 exec_lo, exec_lo, s29
	v_cmp_lt_u32_e64 s28, v60, v135
	s_and_saveexec_b32 s30, s28
	s_cbranch_execz .LBB1331_481
.LBB1331_549:                           ;   in Loop: Header=BB1331_388 Depth=2
	ds_load_b32 v136, v70 offset:15360
	s_wait_dscnt 0x0
	v_cmp_ne_u32_e64 s29, 0x80000000, v136
	s_wait_alu 0xf1ff
	s_delay_alu instid0(VALU_DEP_1) | instskip(SKIP_1) | instid1(VALU_DEP_2)
	v_cndmask_b32_e64 v2, 0x7fffffff, v136, s29
	v_cmp_gt_i32_e64 s29, 0, v136
	v_lshrrev_b32_e32 v2, s31, v2
	s_wait_alu 0xf1ff
	s_delay_alu instid0(VALU_DEP_2) | instskip(NEXT) | instid1(VALU_DEP_2)
	v_cndmask_b32_e64 v143, 0x7fffffff, 0, s29
	v_and_b32_e32 v2, s48, v2
	s_delay_alu instid0(VALU_DEP_1) | instskip(SKIP_3) | instid1(VALU_DEP_1)
	v_lshlrev_b32_e32 v2, 2, v2
	ds_load_b32 v2, v2
	s_wait_dscnt 0x0
	v_add_nc_u32_e32 v2, v2, v60
	v_lshlrev_b64_e32 v[36:37], 2, v[2:3]
	v_xor_b32_e32 v2, v143, v136
	s_delay_alu instid0(VALU_DEP_2) | instskip(SKIP_1) | instid1(VALU_DEP_3)
	v_add_co_u32 v36, s29, s40, v36
	s_wait_alu 0xf1ff
	v_add_co_ci_u32_e64 v37, null, s41, v37, s29
	global_store_b32 v[36:37], v2, off
	s_wait_alu 0xfffe
	s_or_b32 exec_lo, exec_lo, s30
	v_cmp_lt_u32_e64 s29, v61, v135
	s_and_saveexec_b32 s56, s29
	s_cbranch_execnz .LBB1331_482
	s_branch .LBB1331_483
.LBB1331_550:                           ;   in Loop: Header=BB1331_388 Depth=2
	global_load_b64 v[34:35], v[36:37], off
	s_wait_alu 0xfffe
	s_or_b32 exec_lo, exec_lo, s30
	s_delay_alu instid0(SALU_CYCLE_1)
	s_mov_b32 s42, exec_lo
	v_cmpx_lt_u32_e64 v92, v135
	s_cbranch_execz .LBB1331_485
.LBB1331_551:                           ;   in Loop: Header=BB1331_388 Depth=2
	global_load_b64 v[32:33], v[36:37], off offset:256
	s_wait_alu 0xfffe
	s_or_b32 exec_lo, exec_lo, s42
	s_delay_alu instid0(SALU_CYCLE_1)
	s_mov_b32 s42, exec_lo
	v_cmpx_lt_u32_e64 v93, v135
	s_cbranch_execz .LBB1331_486
.LBB1331_552:                           ;   in Loop: Header=BB1331_388 Depth=2
	global_load_b64 v[30:31], v[36:37], off offset:512
	s_wait_alu 0xfffe
	s_or_b32 exec_lo, exec_lo, s42
	s_delay_alu instid0(SALU_CYCLE_1)
	s_mov_b32 s42, exec_lo
	v_cmpx_lt_u32_e64 v94, v135
	s_cbranch_execz .LBB1331_487
.LBB1331_553:                           ;   in Loop: Header=BB1331_388 Depth=2
	global_load_b64 v[28:29], v[36:37], off offset:768
	s_wait_alu 0xfffe
	s_or_b32 exec_lo, exec_lo, s42
	s_delay_alu instid0(SALU_CYCLE_1)
	s_mov_b32 s42, exec_lo
	v_cmpx_lt_u32_e64 v95, v135
	s_cbranch_execz .LBB1331_488
.LBB1331_554:                           ;   in Loop: Header=BB1331_388 Depth=2
	global_load_b64 v[26:27], v[36:37], off offset:1024
	s_wait_alu 0xfffe
	s_or_b32 exec_lo, exec_lo, s42
	s_delay_alu instid0(SALU_CYCLE_1)
	s_mov_b32 s42, exec_lo
	v_cmpx_lt_u32_e64 v96, v135
	s_cbranch_execz .LBB1331_489
.LBB1331_555:                           ;   in Loop: Header=BB1331_388 Depth=2
	global_load_b64 v[24:25], v[36:37], off offset:1280
	s_wait_alu 0xfffe
	s_or_b32 exec_lo, exec_lo, s42
	s_delay_alu instid0(SALU_CYCLE_1)
	s_mov_b32 s42, exec_lo
	v_cmpx_lt_u32_e64 v97, v135
	s_cbranch_execz .LBB1331_490
.LBB1331_556:                           ;   in Loop: Header=BB1331_388 Depth=2
	global_load_b64 v[22:23], v[36:37], off offset:1536
	s_wait_alu 0xfffe
	s_or_b32 exec_lo, exec_lo, s42
	s_delay_alu instid0(SALU_CYCLE_1)
	s_mov_b32 s42, exec_lo
	v_cmpx_lt_u32_e64 v98, v135
	s_cbranch_execz .LBB1331_491
.LBB1331_557:                           ;   in Loop: Header=BB1331_388 Depth=2
	global_load_b64 v[20:21], v[36:37], off offset:1792
	s_wait_alu 0xfffe
	s_or_b32 exec_lo, exec_lo, s42
	s_delay_alu instid0(SALU_CYCLE_1)
	s_mov_b32 s42, exec_lo
	v_cmpx_lt_u32_e64 v99, v135
	s_cbranch_execz .LBB1331_492
.LBB1331_558:                           ;   in Loop: Header=BB1331_388 Depth=2
	global_load_b64 v[18:19], v[36:37], off offset:2048
	s_wait_alu 0xfffe
	s_or_b32 exec_lo, exec_lo, s42
	s_delay_alu instid0(SALU_CYCLE_1)
	s_mov_b32 s42, exec_lo
	v_cmpx_lt_u32_e64 v100, v135
	s_cbranch_execz .LBB1331_493
.LBB1331_559:                           ;   in Loop: Header=BB1331_388 Depth=2
	global_load_b64 v[16:17], v[36:37], off offset:2304
	s_wait_alu 0xfffe
	s_or_b32 exec_lo, exec_lo, s42
	s_delay_alu instid0(SALU_CYCLE_1)
	s_mov_b32 s42, exec_lo
	v_cmpx_lt_u32_e64 v101, v135
	s_cbranch_execz .LBB1331_494
.LBB1331_560:                           ;   in Loop: Header=BB1331_388 Depth=2
	global_load_b64 v[14:15], v[36:37], off offset:2560
	s_wait_alu 0xfffe
	s_or_b32 exec_lo, exec_lo, s42
	s_delay_alu instid0(SALU_CYCLE_1)
	s_mov_b32 s42, exec_lo
	v_cmpx_lt_u32_e64 v102, v135
	s_cbranch_execz .LBB1331_495
.LBB1331_561:                           ;   in Loop: Header=BB1331_388 Depth=2
	global_load_b64 v[12:13], v[36:37], off offset:2816
	s_wait_alu 0xfffe
	s_or_b32 exec_lo, exec_lo, s42
	s_delay_alu instid0(SALU_CYCLE_1)
	s_mov_b32 s42, exec_lo
	v_cmpx_lt_u32_e64 v103, v135
	s_cbranch_execz .LBB1331_496
.LBB1331_562:                           ;   in Loop: Header=BB1331_388 Depth=2
	global_load_b64 v[10:11], v[36:37], off offset:3072
	s_wait_alu 0xfffe
	s_or_b32 exec_lo, exec_lo, s42
	s_delay_alu instid0(SALU_CYCLE_1)
	s_mov_b32 s42, exec_lo
	v_cmpx_lt_u32_e64 v104, v135
	s_cbranch_execz .LBB1331_497
.LBB1331_563:                           ;   in Loop: Header=BB1331_388 Depth=2
	global_load_b64 v[8:9], v[36:37], off offset:3328
	s_wait_alu 0xfffe
	s_or_b32 exec_lo, exec_lo, s42
	s_delay_alu instid0(SALU_CYCLE_1)
	s_mov_b32 s42, exec_lo
	v_cmpx_lt_u32_e64 v105, v135
	s_cbranch_execz .LBB1331_498
.LBB1331_564:                           ;   in Loop: Header=BB1331_388 Depth=2
	global_load_b64 v[6:7], v[36:37], off offset:3584
	s_wait_alu 0xfffe
	s_or_b32 exec_lo, exec_lo, s42
	s_delay_alu instid0(SALU_CYCLE_1)
	s_mov_b32 s42, exec_lo
	v_cmpx_lt_u32_e64 v106, v135
	s_cbranch_execz .LBB1331_499
.LBB1331_565:                           ;   in Loop: Header=BB1331_388 Depth=2
	global_load_b64 v[4:5], v[36:37], off offset:3840
	s_wait_alu 0xfffe
	s_or_b32 exec_lo, exec_lo, s42
	s_and_saveexec_b32 s42, vcc_lo
	s_cbranch_execz .LBB1331_500
.LBB1331_566:                           ;   in Loop: Header=BB1331_388 Depth=2
	ds_load_b32 v2, v70 offset:1024
	s_wait_dscnt 0x0
	v_cmp_ne_u32_e64 s30, 0x80000000, v2
	s_wait_alu 0xf1ff
	s_delay_alu instid0(VALU_DEP_1) | instskip(NEXT) | instid1(VALU_DEP_1)
	v_cndmask_b32_e64 v2, 0x7fffffff, v2, s30
	v_lshrrev_b32_e32 v2, s31, v2
	s_delay_alu instid0(VALU_DEP_1)
	v_and_b32_e32 v134, s48, v2
	s_wait_alu 0xfffe
	s_or_b32 exec_lo, exec_lo, s42
	s_and_saveexec_b32 s42, s15
	s_cbranch_execz .LBB1331_501
.LBB1331_567:                           ;   in Loop: Header=BB1331_388 Depth=2
	ds_load_b32 v2, v70 offset:2048
	s_wait_dscnt 0x0
	v_cmp_ne_u32_e64 s30, 0x80000000, v2
	s_wait_alu 0xf1ff
	s_delay_alu instid0(VALU_DEP_1) | instskip(NEXT) | instid1(VALU_DEP_1)
	v_cndmask_b32_e64 v2, 0x7fffffff, v2, s30
	v_lshrrev_b32_e32 v2, s31, v2
	s_delay_alu instid0(VALU_DEP_1)
	v_and_b32_e32 v133, s48, v2
	s_wait_alu 0xfffe
	s_or_b32 exec_lo, exec_lo, s42
	s_and_saveexec_b32 s42, s16
	s_cbranch_execz .LBB1331_502
.LBB1331_568:                           ;   in Loop: Header=BB1331_388 Depth=2
	ds_load_b32 v2, v70 offset:3072
	s_wait_dscnt 0x0
	v_cmp_ne_u32_e64 s30, 0x80000000, v2
	s_wait_alu 0xf1ff
	s_delay_alu instid0(VALU_DEP_1) | instskip(NEXT) | instid1(VALU_DEP_1)
	v_cndmask_b32_e64 v2, 0x7fffffff, v2, s30
	v_lshrrev_b32_e32 v2, s31, v2
	s_delay_alu instid0(VALU_DEP_1)
	v_and_b32_e32 v132, s48, v2
	s_wait_alu 0xfffe
	s_or_b32 exec_lo, exec_lo, s42
	s_and_saveexec_b32 s42, s17
	s_cbranch_execz .LBB1331_503
.LBB1331_569:                           ;   in Loop: Header=BB1331_388 Depth=2
	ds_load_b32 v2, v70 offset:4096
	s_wait_dscnt 0x0
	v_cmp_ne_u32_e64 s30, 0x80000000, v2
	s_wait_alu 0xf1ff
	s_delay_alu instid0(VALU_DEP_1) | instskip(NEXT) | instid1(VALU_DEP_1)
	v_cndmask_b32_e64 v2, 0x7fffffff, v2, s30
	v_lshrrev_b32_e32 v2, s31, v2
	s_delay_alu instid0(VALU_DEP_1)
	v_and_b32_e32 v131, s48, v2
	s_wait_alu 0xfffe
	s_or_b32 exec_lo, exec_lo, s42
	s_and_saveexec_b32 s42, s18
	s_cbranch_execz .LBB1331_504
.LBB1331_570:                           ;   in Loop: Header=BB1331_388 Depth=2
	ds_load_b32 v2, v70 offset:5120
	s_wait_dscnt 0x0
	v_cmp_ne_u32_e64 s30, 0x80000000, v2
	s_wait_alu 0xf1ff
	s_delay_alu instid0(VALU_DEP_1) | instskip(NEXT) | instid1(VALU_DEP_1)
	v_cndmask_b32_e64 v2, 0x7fffffff, v2, s30
	v_lshrrev_b32_e32 v2, s31, v2
	s_delay_alu instid0(VALU_DEP_1)
	v_and_b32_e32 v130, s48, v2
	s_wait_alu 0xfffe
	s_or_b32 exec_lo, exec_lo, s42
	s_and_saveexec_b32 s42, s19
	s_cbranch_execz .LBB1331_505
.LBB1331_571:                           ;   in Loop: Header=BB1331_388 Depth=2
	ds_load_b32 v2, v70 offset:6144
	s_wait_dscnt 0x0
	v_cmp_ne_u32_e64 s30, 0x80000000, v2
	s_wait_alu 0xf1ff
	s_delay_alu instid0(VALU_DEP_1) | instskip(NEXT) | instid1(VALU_DEP_1)
	v_cndmask_b32_e64 v2, 0x7fffffff, v2, s30
	v_lshrrev_b32_e32 v2, s31, v2
	s_delay_alu instid0(VALU_DEP_1)
	v_and_b32_e32 v129, s48, v2
	s_wait_alu 0xfffe
	s_or_b32 exec_lo, exec_lo, s42
	s_and_saveexec_b32 s42, s20
	s_cbranch_execz .LBB1331_506
.LBB1331_572:                           ;   in Loop: Header=BB1331_388 Depth=2
	ds_load_b32 v2, v70 offset:7168
	s_wait_dscnt 0x0
	v_cmp_ne_u32_e64 s30, 0x80000000, v2
	s_wait_alu 0xf1ff
	s_delay_alu instid0(VALU_DEP_1) | instskip(NEXT) | instid1(VALU_DEP_1)
	v_cndmask_b32_e64 v2, 0x7fffffff, v2, s30
	v_lshrrev_b32_e32 v2, s31, v2
	s_delay_alu instid0(VALU_DEP_1)
	v_and_b32_e32 v128, s48, v2
	s_wait_alu 0xfffe
	s_or_b32 exec_lo, exec_lo, s42
	s_and_saveexec_b32 s42, s21
	s_cbranch_execz .LBB1331_507
.LBB1331_573:                           ;   in Loop: Header=BB1331_388 Depth=2
	ds_load_b32 v2, v70 offset:8192
	s_wait_dscnt 0x0
	v_cmp_ne_u32_e64 s30, 0x80000000, v2
	s_wait_alu 0xf1ff
	s_delay_alu instid0(VALU_DEP_1) | instskip(NEXT) | instid1(VALU_DEP_1)
	v_cndmask_b32_e64 v2, 0x7fffffff, v2, s30
	v_lshrrev_b32_e32 v2, s31, v2
	s_delay_alu instid0(VALU_DEP_1)
	v_and_b32_e32 v127, s48, v2
	s_wait_alu 0xfffe
	s_or_b32 exec_lo, exec_lo, s42
	s_and_saveexec_b32 s42, s22
	s_cbranch_execz .LBB1331_508
.LBB1331_574:                           ;   in Loop: Header=BB1331_388 Depth=2
	ds_load_b32 v2, v70 offset:9216
	s_wait_dscnt 0x0
	v_cmp_ne_u32_e64 s30, 0x80000000, v2
	s_wait_alu 0xf1ff
	s_delay_alu instid0(VALU_DEP_1) | instskip(NEXT) | instid1(VALU_DEP_1)
	v_cndmask_b32_e64 v2, 0x7fffffff, v2, s30
	v_lshrrev_b32_e32 v2, s31, v2
	s_delay_alu instid0(VALU_DEP_1)
	v_and_b32_e32 v126, s48, v2
	s_wait_alu 0xfffe
	s_or_b32 exec_lo, exec_lo, s42
	s_and_saveexec_b32 s42, s23
	s_cbranch_execz .LBB1331_509
.LBB1331_575:                           ;   in Loop: Header=BB1331_388 Depth=2
	ds_load_b32 v2, v70 offset:10240
	s_wait_dscnt 0x0
	v_cmp_ne_u32_e64 s30, 0x80000000, v2
	s_wait_alu 0xf1ff
	s_delay_alu instid0(VALU_DEP_1) | instskip(NEXT) | instid1(VALU_DEP_1)
	v_cndmask_b32_e64 v2, 0x7fffffff, v2, s30
	v_lshrrev_b32_e32 v2, s31, v2
	s_delay_alu instid0(VALU_DEP_1)
	v_and_b32_e32 v125, s48, v2
	s_wait_alu 0xfffe
	s_or_b32 exec_lo, exec_lo, s42
	s_and_saveexec_b32 s42, s24
	s_cbranch_execz .LBB1331_510
.LBB1331_576:                           ;   in Loop: Header=BB1331_388 Depth=2
	ds_load_b32 v2, v70 offset:11264
	s_wait_dscnt 0x0
	v_cmp_ne_u32_e64 s30, 0x80000000, v2
	s_wait_alu 0xf1ff
	s_delay_alu instid0(VALU_DEP_1) | instskip(NEXT) | instid1(VALU_DEP_1)
	v_cndmask_b32_e64 v2, 0x7fffffff, v2, s30
	v_lshrrev_b32_e32 v2, s31, v2
	s_delay_alu instid0(VALU_DEP_1)
	v_and_b32_e32 v124, s48, v2
	s_wait_alu 0xfffe
	s_or_b32 exec_lo, exec_lo, s42
	s_and_saveexec_b32 s42, s25
	s_cbranch_execz .LBB1331_511
.LBB1331_577:                           ;   in Loop: Header=BB1331_388 Depth=2
	ds_load_b32 v2, v70 offset:12288
	s_wait_dscnt 0x0
	v_cmp_ne_u32_e64 s30, 0x80000000, v2
	s_wait_alu 0xf1ff
	s_delay_alu instid0(VALU_DEP_1) | instskip(NEXT) | instid1(VALU_DEP_1)
	v_cndmask_b32_e64 v2, 0x7fffffff, v2, s30
	v_lshrrev_b32_e32 v2, s31, v2
	s_delay_alu instid0(VALU_DEP_1)
	v_and_b32_e32 v123, s48, v2
	s_wait_alu 0xfffe
	s_or_b32 exec_lo, exec_lo, s42
	s_and_saveexec_b32 s42, s26
	s_cbranch_execz .LBB1331_512
.LBB1331_578:                           ;   in Loop: Header=BB1331_388 Depth=2
	ds_load_b32 v2, v70 offset:13312
	s_wait_dscnt 0x0
	v_cmp_ne_u32_e64 s30, 0x80000000, v2
	s_wait_alu 0xf1ff
	s_delay_alu instid0(VALU_DEP_1) | instskip(NEXT) | instid1(VALU_DEP_1)
	v_cndmask_b32_e64 v2, 0x7fffffff, v2, s30
	v_lshrrev_b32_e32 v2, s31, v2
	s_delay_alu instid0(VALU_DEP_1)
	v_and_b32_e32 v122, s48, v2
	s_wait_alu 0xfffe
	s_or_b32 exec_lo, exec_lo, s42
	s_and_saveexec_b32 s42, s27
	s_cbranch_execz .LBB1331_513
.LBB1331_579:                           ;   in Loop: Header=BB1331_388 Depth=2
	ds_load_b32 v2, v70 offset:14336
	s_wait_dscnt 0x0
	v_cmp_ne_u32_e64 s30, 0x80000000, v2
	s_wait_alu 0xf1ff
	s_delay_alu instid0(VALU_DEP_1) | instskip(NEXT) | instid1(VALU_DEP_1)
	v_cndmask_b32_e64 v2, 0x7fffffff, v2, s30
	v_lshrrev_b32_e32 v2, s31, v2
	s_delay_alu instid0(VALU_DEP_1)
	v_and_b32_e32 v121, s48, v2
	s_wait_alu 0xfffe
	s_or_b32 exec_lo, exec_lo, s42
	s_and_saveexec_b32 s42, s28
	s_cbranch_execz .LBB1331_514
.LBB1331_580:                           ;   in Loop: Header=BB1331_388 Depth=2
	ds_load_b32 v2, v70 offset:15360
	s_wait_dscnt 0x0
	v_cmp_ne_u32_e64 s30, 0x80000000, v2
	s_wait_alu 0xf1ff
	s_delay_alu instid0(VALU_DEP_1) | instskip(NEXT) | instid1(VALU_DEP_1)
	v_cndmask_b32_e64 v2, 0x7fffffff, v2, s30
	v_lshrrev_b32_e32 v2, s31, v2
	s_delay_alu instid0(VALU_DEP_1)
	v_and_b32_e32 v120, s48, v2
	s_wait_alu 0xfffe
	s_or_b32 exec_lo, exec_lo, s42
	s_and_saveexec_b32 s42, s29
	s_cbranch_execnz .LBB1331_515
	s_branch .LBB1331_516
.LBB1331_581:                           ;   in Loop: Header=BB1331_388 Depth=2
	v_lshlrev_b32_e32 v2, 2, v134
	v_add_nc_u32_e32 v36, v70, v44
	ds_load_b32 v2, v2
	ds_load_b64 v[36:37], v36 offset:1024
	s_wait_dscnt 0x1
	v_add_nc_u32_e32 v2, v2, v1
	s_delay_alu instid0(VALU_DEP_1) | instskip(NEXT) | instid1(VALU_DEP_1)
	v_lshlrev_b64_e32 v[39:40], 3, v[2:3]
	v_add_co_u32 v39, vcc_lo, s46, v39
	s_wait_alu 0xfffd
	s_delay_alu instid0(VALU_DEP_2)
	v_add_co_ci_u32_e64 v40, null, s47, v40, vcc_lo
	s_wait_dscnt 0x0
	global_store_b64 v[39:40], v[36:37], off
	s_wait_alu 0xfffe
	s_or_b32 exec_lo, exec_lo, s30
	s_and_saveexec_b32 s30, s15
	s_cbranch_execz .LBB1331_518
.LBB1331_582:                           ;   in Loop: Header=BB1331_388 Depth=2
	v_lshlrev_b32_e32 v2, 2, v133
	v_add_nc_u32_e32 v36, v70, v44
	ds_load_b32 v2, v2
	ds_load_b64 v[36:37], v36 offset:3072
	s_wait_dscnt 0x1
	v_add_nc_u32_e32 v2, v2, v45
	s_delay_alu instid0(VALU_DEP_1) | instskip(NEXT) | instid1(VALU_DEP_1)
	v_lshlrev_b64_e32 v[39:40], 3, v[2:3]
	v_add_co_u32 v39, vcc_lo, s46, v39
	s_wait_alu 0xfffd
	s_delay_alu instid0(VALU_DEP_2)
	v_add_co_ci_u32_e64 v40, null, s47, v40, vcc_lo
	s_wait_dscnt 0x0
	global_store_b64 v[39:40], v[36:37], off
	s_wait_alu 0xfffe
	s_or_b32 exec_lo, exec_lo, s30
	s_and_saveexec_b32 s15, s16
	s_cbranch_execz .LBB1331_519
.LBB1331_583:                           ;   in Loop: Header=BB1331_388 Depth=2
	v_lshlrev_b32_e32 v2, 2, v132
	v_add_nc_u32_e32 v36, v70, v44
	ds_load_b32 v2, v2
	ds_load_b64 v[36:37], v36 offset:5120
	s_wait_dscnt 0x1
	v_add_nc_u32_e32 v2, v2, v46
	s_delay_alu instid0(VALU_DEP_1) | instskip(NEXT) | instid1(VALU_DEP_1)
	v_lshlrev_b64_e32 v[39:40], 3, v[2:3]
	v_add_co_u32 v39, vcc_lo, s46, v39
	s_wait_alu 0xfffd
	s_delay_alu instid0(VALU_DEP_2)
	v_add_co_ci_u32_e64 v40, null, s47, v40, vcc_lo
	s_wait_dscnt 0x0
	global_store_b64 v[39:40], v[36:37], off
	s_wait_alu 0xfffe
	s_or_b32 exec_lo, exec_lo, s15
	s_and_saveexec_b32 s15, s17
	s_cbranch_execz .LBB1331_520
.LBB1331_584:                           ;   in Loop: Header=BB1331_388 Depth=2
	v_lshlrev_b32_e32 v2, 2, v131
	v_add_nc_u32_e32 v36, v70, v44
	ds_load_b32 v2, v2
	ds_load_b64 v[36:37], v36 offset:7168
	s_wait_dscnt 0x1
	v_add_nc_u32_e32 v2, v2, v47
	s_delay_alu instid0(VALU_DEP_1) | instskip(NEXT) | instid1(VALU_DEP_1)
	v_lshlrev_b64_e32 v[39:40], 3, v[2:3]
	v_add_co_u32 v39, vcc_lo, s46, v39
	s_wait_alu 0xfffd
	s_delay_alu instid0(VALU_DEP_2)
	v_add_co_ci_u32_e64 v40, null, s47, v40, vcc_lo
	s_wait_dscnt 0x0
	global_store_b64 v[39:40], v[36:37], off
	s_wait_alu 0xfffe
	s_or_b32 exec_lo, exec_lo, s15
	s_and_saveexec_b32 s15, s18
	s_cbranch_execz .LBB1331_521
.LBB1331_585:                           ;   in Loop: Header=BB1331_388 Depth=2
	v_lshlrev_b32_e32 v2, 2, v130
	v_add_nc_u32_e32 v36, v70, v44
	ds_load_b32 v2, v2
	ds_load_b64 v[36:37], v36 offset:9216
	s_wait_dscnt 0x1
	v_add_nc_u32_e32 v2, v2, v50
	s_delay_alu instid0(VALU_DEP_1) | instskip(NEXT) | instid1(VALU_DEP_1)
	v_lshlrev_b64_e32 v[39:40], 3, v[2:3]
	v_add_co_u32 v39, vcc_lo, s46, v39
	s_wait_alu 0xfffd
	s_delay_alu instid0(VALU_DEP_2)
	v_add_co_ci_u32_e64 v40, null, s47, v40, vcc_lo
	s_wait_dscnt 0x0
	global_store_b64 v[39:40], v[36:37], off
	s_wait_alu 0xfffe
	s_or_b32 exec_lo, exec_lo, s15
	s_and_saveexec_b32 s15, s19
	s_cbranch_execz .LBB1331_522
.LBB1331_586:                           ;   in Loop: Header=BB1331_388 Depth=2
	v_lshlrev_b32_e32 v2, 2, v129
	v_add_nc_u32_e32 v36, v70, v44
	ds_load_b32 v2, v2
	ds_load_b64 v[36:37], v36 offset:11264
	s_wait_dscnt 0x1
	v_add_nc_u32_e32 v2, v2, v51
	s_delay_alu instid0(VALU_DEP_1) | instskip(NEXT) | instid1(VALU_DEP_1)
	v_lshlrev_b64_e32 v[39:40], 3, v[2:3]
	v_add_co_u32 v39, vcc_lo, s46, v39
	s_wait_alu 0xfffd
	s_delay_alu instid0(VALU_DEP_2)
	v_add_co_ci_u32_e64 v40, null, s47, v40, vcc_lo
	s_wait_dscnt 0x0
	global_store_b64 v[39:40], v[36:37], off
	s_wait_alu 0xfffe
	s_or_b32 exec_lo, exec_lo, s15
	s_and_saveexec_b32 s15, s20
	s_cbranch_execz .LBB1331_523
.LBB1331_587:                           ;   in Loop: Header=BB1331_388 Depth=2
	v_lshlrev_b32_e32 v2, 2, v128
	v_add_nc_u32_e32 v36, v70, v44
	ds_load_b32 v2, v2
	ds_load_b64 v[36:37], v36 offset:13312
	s_wait_dscnt 0x1
	v_add_nc_u32_e32 v2, v2, v52
	s_delay_alu instid0(VALU_DEP_1) | instskip(NEXT) | instid1(VALU_DEP_1)
	v_lshlrev_b64_e32 v[39:40], 3, v[2:3]
	v_add_co_u32 v39, vcc_lo, s46, v39
	s_wait_alu 0xfffd
	s_delay_alu instid0(VALU_DEP_2)
	v_add_co_ci_u32_e64 v40, null, s47, v40, vcc_lo
	s_wait_dscnt 0x0
	global_store_b64 v[39:40], v[36:37], off
	s_wait_alu 0xfffe
	s_or_b32 exec_lo, exec_lo, s15
	s_and_saveexec_b32 s15, s21
	s_cbranch_execz .LBB1331_524
.LBB1331_588:                           ;   in Loop: Header=BB1331_388 Depth=2
	v_lshlrev_b32_e32 v2, 2, v127
	v_add_nc_u32_e32 v36, v70, v44
	ds_load_b32 v2, v2
	ds_load_b64 v[36:37], v36 offset:15360
	s_wait_dscnt 0x1
	v_add_nc_u32_e32 v2, v2, v53
	s_delay_alu instid0(VALU_DEP_1) | instskip(NEXT) | instid1(VALU_DEP_1)
	v_lshlrev_b64_e32 v[39:40], 3, v[2:3]
	v_add_co_u32 v39, vcc_lo, s46, v39
	s_wait_alu 0xfffd
	s_delay_alu instid0(VALU_DEP_2)
	v_add_co_ci_u32_e64 v40, null, s47, v40, vcc_lo
	s_wait_dscnt 0x0
	global_store_b64 v[39:40], v[36:37], off
	s_wait_alu 0xfffe
	s_or_b32 exec_lo, exec_lo, s15
	s_and_saveexec_b32 s15, s22
	s_cbranch_execz .LBB1331_525
.LBB1331_589:                           ;   in Loop: Header=BB1331_388 Depth=2
	v_lshlrev_b32_e32 v2, 2, v126
	v_add_nc_u32_e32 v36, v70, v44
	ds_load_b32 v2, v2
	ds_load_b64 v[36:37], v36 offset:17408
	s_wait_dscnt 0x1
	v_add_nc_u32_e32 v2, v2, v54
	s_delay_alu instid0(VALU_DEP_1) | instskip(NEXT) | instid1(VALU_DEP_1)
	v_lshlrev_b64_e32 v[39:40], 3, v[2:3]
	v_add_co_u32 v39, vcc_lo, s46, v39
	s_wait_alu 0xfffd
	s_delay_alu instid0(VALU_DEP_2)
	v_add_co_ci_u32_e64 v40, null, s47, v40, vcc_lo
	s_wait_dscnt 0x0
	global_store_b64 v[39:40], v[36:37], off
	s_wait_alu 0xfffe
	s_or_b32 exec_lo, exec_lo, s15
	s_and_saveexec_b32 s15, s23
	s_cbranch_execz .LBB1331_526
.LBB1331_590:                           ;   in Loop: Header=BB1331_388 Depth=2
	v_lshlrev_b32_e32 v2, 2, v125
	v_add_nc_u32_e32 v36, v70, v44
	ds_load_b32 v2, v2
	ds_load_b64 v[36:37], v36 offset:19456
	s_wait_dscnt 0x1
	v_add_nc_u32_e32 v2, v2, v55
	s_delay_alu instid0(VALU_DEP_1) | instskip(NEXT) | instid1(VALU_DEP_1)
	v_lshlrev_b64_e32 v[39:40], 3, v[2:3]
	v_add_co_u32 v39, vcc_lo, s46, v39
	s_wait_alu 0xfffd
	s_delay_alu instid0(VALU_DEP_2)
	v_add_co_ci_u32_e64 v40, null, s47, v40, vcc_lo
	s_wait_dscnt 0x0
	global_store_b64 v[39:40], v[36:37], off
	s_wait_alu 0xfffe
	s_or_b32 exec_lo, exec_lo, s15
	s_and_saveexec_b32 s15, s24
	s_cbranch_execz .LBB1331_527
.LBB1331_591:                           ;   in Loop: Header=BB1331_388 Depth=2
	v_lshlrev_b32_e32 v2, 2, v124
	v_add_nc_u32_e32 v36, v70, v44
	ds_load_b32 v2, v2
	ds_load_b64 v[36:37], v36 offset:21504
	s_wait_dscnt 0x1
	v_add_nc_u32_e32 v2, v2, v56
	s_delay_alu instid0(VALU_DEP_1) | instskip(NEXT) | instid1(VALU_DEP_1)
	v_lshlrev_b64_e32 v[39:40], 3, v[2:3]
	v_add_co_u32 v39, vcc_lo, s46, v39
	s_wait_alu 0xfffd
	s_delay_alu instid0(VALU_DEP_2)
	v_add_co_ci_u32_e64 v40, null, s47, v40, vcc_lo
	s_wait_dscnt 0x0
	global_store_b64 v[39:40], v[36:37], off
	s_wait_alu 0xfffe
	s_or_b32 exec_lo, exec_lo, s15
	s_and_saveexec_b32 s15, s25
	s_cbranch_execz .LBB1331_528
.LBB1331_592:                           ;   in Loop: Header=BB1331_388 Depth=2
	v_lshlrev_b32_e32 v2, 2, v123
	v_add_nc_u32_e32 v36, v70, v44
	ds_load_b32 v2, v2
	ds_load_b64 v[36:37], v36 offset:23552
	s_wait_dscnt 0x1
	v_add_nc_u32_e32 v2, v2, v57
	s_delay_alu instid0(VALU_DEP_1) | instskip(NEXT) | instid1(VALU_DEP_1)
	v_lshlrev_b64_e32 v[39:40], 3, v[2:3]
	v_add_co_u32 v39, vcc_lo, s46, v39
	s_wait_alu 0xfffd
	s_delay_alu instid0(VALU_DEP_2)
	v_add_co_ci_u32_e64 v40, null, s47, v40, vcc_lo
	s_wait_dscnt 0x0
	global_store_b64 v[39:40], v[36:37], off
	s_wait_alu 0xfffe
	s_or_b32 exec_lo, exec_lo, s15
	s_and_saveexec_b32 s15, s26
	s_cbranch_execz .LBB1331_529
.LBB1331_593:                           ;   in Loop: Header=BB1331_388 Depth=2
	v_lshlrev_b32_e32 v2, 2, v122
	v_add_nc_u32_e32 v36, v70, v44
	ds_load_b32 v2, v2
	ds_load_b64 v[36:37], v36 offset:25600
	s_wait_dscnt 0x1
	v_add_nc_u32_e32 v2, v2, v58
	s_delay_alu instid0(VALU_DEP_1) | instskip(NEXT) | instid1(VALU_DEP_1)
	v_lshlrev_b64_e32 v[39:40], 3, v[2:3]
	v_add_co_u32 v39, vcc_lo, s46, v39
	s_wait_alu 0xfffd
	s_delay_alu instid0(VALU_DEP_2)
	v_add_co_ci_u32_e64 v40, null, s47, v40, vcc_lo
	s_wait_dscnt 0x0
	global_store_b64 v[39:40], v[36:37], off
	s_wait_alu 0xfffe
	s_or_b32 exec_lo, exec_lo, s15
	s_and_saveexec_b32 s15, s27
	s_cbranch_execz .LBB1331_530
.LBB1331_594:                           ;   in Loop: Header=BB1331_388 Depth=2
	v_lshlrev_b32_e32 v2, 2, v121
	v_add_nc_u32_e32 v36, v70, v44
	ds_load_b32 v2, v2
	ds_load_b64 v[36:37], v36 offset:27648
	s_wait_dscnt 0x1
	v_add_nc_u32_e32 v2, v2, v59
	s_delay_alu instid0(VALU_DEP_1) | instskip(NEXT) | instid1(VALU_DEP_1)
	v_lshlrev_b64_e32 v[39:40], 3, v[2:3]
	v_add_co_u32 v39, vcc_lo, s46, v39
	s_wait_alu 0xfffd
	s_delay_alu instid0(VALU_DEP_2)
	v_add_co_ci_u32_e64 v40, null, s47, v40, vcc_lo
	s_wait_dscnt 0x0
	global_store_b64 v[39:40], v[36:37], off
	s_wait_alu 0xfffe
	s_or_b32 exec_lo, exec_lo, s15
	s_and_saveexec_b32 s15, s28
	s_cbranch_execz .LBB1331_531
.LBB1331_595:                           ;   in Loop: Header=BB1331_388 Depth=2
	v_lshlrev_b32_e32 v2, 2, v120
	v_add_nc_u32_e32 v36, v70, v44
	ds_load_b32 v2, v2
	ds_load_b64 v[36:37], v36 offset:29696
	s_wait_dscnt 0x1
	v_add_nc_u32_e32 v2, v2, v60
	s_delay_alu instid0(VALU_DEP_1) | instskip(NEXT) | instid1(VALU_DEP_1)
	v_lshlrev_b64_e32 v[39:40], 3, v[2:3]
	v_add_co_u32 v39, vcc_lo, s46, v39
	s_wait_alu 0xfffd
	s_delay_alu instid0(VALU_DEP_2)
	v_add_co_ci_u32_e64 v40, null, s47, v40, vcc_lo
	s_wait_dscnt 0x0
	global_store_b64 v[39:40], v[36:37], off
	s_wait_alu 0xfffe
	s_or_b32 exec_lo, exec_lo, s15
	s_and_saveexec_b32 s15, s29
	s_cbranch_execnz .LBB1331_532
	s_branch .LBB1331_533
.LBB1331_596:                           ;   in Loop: Header=BB1331_12 Depth=1
	s_wait_loadcnt_dscnt 0x0
	s_barrier_signal -1
	s_barrier_wait -1
.LBB1331_597:                           ;   in Loop: Header=BB1331_12 Depth=1
	s_mov_b32 s0, 0
.LBB1331_598:                           ;   in Loop: Header=BB1331_12 Depth=1
	s_wait_alu 0xfffe
	s_and_not1_b32 vcc_lo, exec_lo, s0
	s_wait_alu 0xfffe
	s_cbranch_vccnz .LBB1331_11
; %bb.599:                              ;   in Loop: Header=BB1331_12 Depth=1
	s_and_b32 vcc_lo, exec_lo, s52
	s_mov_b32 s0, -1
	s_wait_alu 0xfffe
	s_cbranch_vccz .LBB1331_891
; %bb.600:                              ;   in Loop: Header=BB1331_12 Depth=1
	s_mov_b32 s9, s53
	s_mov_b32 s42, s33
	s_barrier_signal -1
	s_barrier_wait -1
	global_inv scope:SCOPE_SE
                                        ; implicit-def: $vgpr2
                                        ; implicit-def: $vgpr4
                                        ; implicit-def: $vgpr5
                                        ; implicit-def: $vgpr6
                                        ; implicit-def: $vgpr7
                                        ; implicit-def: $vgpr8
                                        ; implicit-def: $vgpr9
                                        ; implicit-def: $vgpr10
                                        ; implicit-def: $vgpr11
                                        ; implicit-def: $vgpr12
                                        ; implicit-def: $vgpr13
                                        ; implicit-def: $vgpr14
                                        ; implicit-def: $vgpr15
                                        ; implicit-def: $vgpr16
                                        ; implicit-def: $vgpr17
                                        ; implicit-def: $vgpr18
	s_branch .LBB1331_602
.LBB1331_601:                           ;   in Loop: Header=BB1331_602 Depth=2
	s_wait_alu 0xfffe
	s_or_b32 exec_lo, exec_lo, s0
	s_addk_co_i32 s9, 0xf000
	s_cmp_ge_u32 s10, s51
	s_mov_b32 s42, s10
	s_cbranch_scc1 .LBB1331_670
.LBB1331_602:                           ;   Parent Loop BB1331_12 Depth=1
                                        ; =>  This Inner Loop Header: Depth=2
	s_wait_alu 0xfffe
	s_add_co_i32 s10, s42, 0x1000
	s_mov_b32 s0, -1
	s_wait_alu 0xfffe
	s_cmp_gt_u32 s10, s51
                                        ; implicit-def: $vgpr19
                                        ; implicit-def: $vgpr20
                                        ; implicit-def: $vgpr21
                                        ; implicit-def: $vgpr22
                                        ; implicit-def: $vgpr23
                                        ; implicit-def: $vgpr24
                                        ; implicit-def: $vgpr25
                                        ; implicit-def: $vgpr26
                                        ; implicit-def: $vgpr27
                                        ; implicit-def: $vgpr28
                                        ; implicit-def: $vgpr29
                                        ; implicit-def: $vgpr30
                                        ; implicit-def: $vgpr31
                                        ; implicit-def: $vgpr32
                                        ; implicit-def: $vgpr33
                                        ; implicit-def: $vgpr34
	s_cbranch_scc1 .LBB1331_604
; %bb.603:                              ;   in Loop: Header=BB1331_602 Depth=2
	s_lshl_b64 s[0:1], s[42:43], 2
	s_wait_alu 0xfffe
	v_add_co_u32 v34, vcc_lo, v77, s0
	s_wait_alu 0xfffd
	v_add_co_ci_u32_e64 v35, null, s1, v78, vcc_lo
	s_mov_b32 s0, 0
	s_clause 0xf
	global_load_b32 v19, v[34:35], off
	global_load_b32 v20, v[34:35], off offset:1024
	global_load_b32 v21, v[34:35], off offset:2048
	;; [unrolled: 1-line block ×15, first 2 shown]
.LBB1331_604:                           ;   in Loop: Header=BB1331_602 Depth=2
	s_wait_alu 0xfffe
	s_and_not1_b32 vcc_lo, exec_lo, s0
	s_movk_i32 s0, 0x1000
	s_wait_alu 0xfffe
	s_cbranch_vccnz .LBB1331_623
; %bb.605:                              ;   in Loop: Header=BB1331_602 Depth=2
	s_lshl_b64 s[0:1], s[42:43], 2
	s_mov_b32 s11, exec_lo
	s_wait_alu 0xfffe
	s_add_nc_u64 s[0:1], s[36:37], s[0:1]
	v_cmpx_gt_u32_e64 s9, v1
	s_cbranch_execnz .LBB1331_655
; %bb.606:                              ;   in Loop: Header=BB1331_602 Depth=2
	s_or_b32 exec_lo, exec_lo, s11
	s_delay_alu instid0(SALU_CYCLE_1)
	s_mov_b32 s11, exec_lo
	v_cmpx_gt_u32_e64 s9, v45
	s_cbranch_execnz .LBB1331_656
.LBB1331_607:                           ;   in Loop: Header=BB1331_602 Depth=2
	s_wait_alu 0xfffe
	s_or_b32 exec_lo, exec_lo, s11
	s_delay_alu instid0(SALU_CYCLE_1)
	s_mov_b32 s11, exec_lo
	v_cmpx_gt_u32_e64 s9, v46
	s_cbranch_execnz .LBB1331_657
.LBB1331_608:                           ;   in Loop: Header=BB1331_602 Depth=2
	s_wait_alu 0xfffe
	s_or_b32 exec_lo, exec_lo, s11
	s_delay_alu instid0(SALU_CYCLE_1)
	s_mov_b32 s11, exec_lo
	v_cmpx_gt_u32_e64 s9, v47
	s_cbranch_execnz .LBB1331_658
.LBB1331_609:                           ;   in Loop: Header=BB1331_602 Depth=2
	s_wait_alu 0xfffe
	s_or_b32 exec_lo, exec_lo, s11
	s_delay_alu instid0(SALU_CYCLE_1)
	s_mov_b32 s11, exec_lo
	v_cmpx_gt_u32_e64 s9, v50
	s_cbranch_execnz .LBB1331_659
.LBB1331_610:                           ;   in Loop: Header=BB1331_602 Depth=2
	s_wait_alu 0xfffe
	s_or_b32 exec_lo, exec_lo, s11
	s_delay_alu instid0(SALU_CYCLE_1)
	s_mov_b32 s11, exec_lo
	v_cmpx_gt_u32_e64 s9, v51
	s_cbranch_execnz .LBB1331_660
.LBB1331_611:                           ;   in Loop: Header=BB1331_602 Depth=2
	s_wait_alu 0xfffe
	s_or_b32 exec_lo, exec_lo, s11
	s_delay_alu instid0(SALU_CYCLE_1)
	s_mov_b32 s11, exec_lo
	v_cmpx_gt_u32_e64 s9, v52
	s_cbranch_execnz .LBB1331_661
.LBB1331_612:                           ;   in Loop: Header=BB1331_602 Depth=2
	s_wait_alu 0xfffe
	s_or_b32 exec_lo, exec_lo, s11
	s_delay_alu instid0(SALU_CYCLE_1)
	s_mov_b32 s11, exec_lo
	v_cmpx_gt_u32_e64 s9, v53
	s_cbranch_execnz .LBB1331_662
.LBB1331_613:                           ;   in Loop: Header=BB1331_602 Depth=2
	s_wait_alu 0xfffe
	s_or_b32 exec_lo, exec_lo, s11
	s_delay_alu instid0(SALU_CYCLE_1)
	s_mov_b32 s11, exec_lo
	v_cmpx_gt_u32_e64 s9, v54
	s_cbranch_execnz .LBB1331_663
.LBB1331_614:                           ;   in Loop: Header=BB1331_602 Depth=2
	s_wait_alu 0xfffe
	s_or_b32 exec_lo, exec_lo, s11
	s_delay_alu instid0(SALU_CYCLE_1)
	s_mov_b32 s11, exec_lo
	v_cmpx_gt_u32_e64 s9, v55
	s_cbranch_execnz .LBB1331_664
.LBB1331_615:                           ;   in Loop: Header=BB1331_602 Depth=2
	s_wait_alu 0xfffe
	s_or_b32 exec_lo, exec_lo, s11
	s_delay_alu instid0(SALU_CYCLE_1)
	s_mov_b32 s11, exec_lo
	v_cmpx_gt_u32_e64 s9, v56
	s_cbranch_execnz .LBB1331_665
.LBB1331_616:                           ;   in Loop: Header=BB1331_602 Depth=2
	s_wait_alu 0xfffe
	s_or_b32 exec_lo, exec_lo, s11
	s_delay_alu instid0(SALU_CYCLE_1)
	s_mov_b32 s11, exec_lo
	v_cmpx_gt_u32_e64 s9, v57
	s_cbranch_execnz .LBB1331_666
.LBB1331_617:                           ;   in Loop: Header=BB1331_602 Depth=2
	s_wait_alu 0xfffe
	s_or_b32 exec_lo, exec_lo, s11
	s_delay_alu instid0(SALU_CYCLE_1)
	s_mov_b32 s11, exec_lo
	v_cmpx_gt_u32_e64 s9, v58
	s_cbranch_execnz .LBB1331_667
.LBB1331_618:                           ;   in Loop: Header=BB1331_602 Depth=2
	s_wait_alu 0xfffe
	s_or_b32 exec_lo, exec_lo, s11
	s_delay_alu instid0(SALU_CYCLE_1)
	s_mov_b32 s11, exec_lo
	v_cmpx_gt_u32_e64 s9, v59
	s_cbranch_execnz .LBB1331_668
.LBB1331_619:                           ;   in Loop: Header=BB1331_602 Depth=2
	s_wait_alu 0xfffe
	s_or_b32 exec_lo, exec_lo, s11
	s_delay_alu instid0(SALU_CYCLE_1)
	s_mov_b32 s11, exec_lo
	v_cmpx_gt_u32_e64 s9, v60
	s_cbranch_execnz .LBB1331_669
.LBB1331_620:                           ;   in Loop: Header=BB1331_602 Depth=2
	s_wait_alu 0xfffe
	s_or_b32 exec_lo, exec_lo, s11
	s_delay_alu instid0(SALU_CYCLE_1)
	s_mov_b32 s11, exec_lo
	v_cmpx_gt_u32_e64 s9, v61
	s_cbranch_execz .LBB1331_622
.LBB1331_621:                           ;   in Loop: Header=BB1331_602 Depth=2
	global_load_b32 v2, v108, s[0:1] offset:15360
.LBB1331_622:                           ;   in Loop: Header=BB1331_602 Depth=2
	s_wait_alu 0xfffe
	s_or_b32 exec_lo, exec_lo, s11
	s_wait_loadcnt 0x0
	v_dual_mov_b32 v19, v18 :: v_dual_mov_b32 v20, v17
	v_dual_mov_b32 v21, v16 :: v_dual_mov_b32 v22, v15
	;; [unrolled: 1-line block ×8, first 2 shown]
	s_mov_b32 s0, s9
.LBB1331_623:                           ;   in Loop: Header=BB1331_602 Depth=2
	s_wait_loadcnt 0x0
	s_delay_alu instid0(VALU_DEP_1) | instskip(NEXT) | instid1(VALU_DEP_2)
	v_dual_mov_b32 v2, v34 :: v_dual_mov_b32 v5, v32
	v_dual_mov_b32 v4, v33 :: v_dual_mov_b32 v7, v30
	;; [unrolled: 1-line block ×7, first 2 shown]
	v_mov_b32_e32 v16, v21
	v_mov_b32_e32 v18, v19
	s_mov_b32 s1, exec_lo
	s_wait_alu 0xfffe
	v_cmpx_gt_u32_e64 s0, v1
	s_cbranch_execnz .LBB1331_639
; %bb.624:                              ;   in Loop: Header=BB1331_602 Depth=2
	s_or_b32 exec_lo, exec_lo, s1
	s_delay_alu instid0(SALU_CYCLE_1)
	s_mov_b32 s1, exec_lo
	v_cmpx_gt_u32_e64 s0, v45
	s_cbranch_execnz .LBB1331_640
.LBB1331_625:                           ;   in Loop: Header=BB1331_602 Depth=2
	s_wait_alu 0xfffe
	s_or_b32 exec_lo, exec_lo, s1
	s_delay_alu instid0(SALU_CYCLE_1)
	s_mov_b32 s1, exec_lo
	v_cmpx_gt_u32_e64 s0, v46
	s_cbranch_execnz .LBB1331_641
.LBB1331_626:                           ;   in Loop: Header=BB1331_602 Depth=2
	s_wait_alu 0xfffe
	s_or_b32 exec_lo, exec_lo, s1
	s_delay_alu instid0(SALU_CYCLE_1)
	s_mov_b32 s1, exec_lo
	v_cmpx_gt_u32_e64 s0, v47
	s_cbranch_execnz .LBB1331_642
.LBB1331_627:                           ;   in Loop: Header=BB1331_602 Depth=2
	s_wait_alu 0xfffe
	s_or_b32 exec_lo, exec_lo, s1
	s_delay_alu instid0(SALU_CYCLE_1)
	s_mov_b32 s1, exec_lo
	v_cmpx_gt_u32_e64 s0, v50
	s_cbranch_execnz .LBB1331_643
.LBB1331_628:                           ;   in Loop: Header=BB1331_602 Depth=2
	s_wait_alu 0xfffe
	s_or_b32 exec_lo, exec_lo, s1
	s_delay_alu instid0(SALU_CYCLE_1)
	s_mov_b32 s1, exec_lo
	v_cmpx_gt_u32_e64 s0, v51
	s_cbranch_execnz .LBB1331_644
.LBB1331_629:                           ;   in Loop: Header=BB1331_602 Depth=2
	s_wait_alu 0xfffe
	s_or_b32 exec_lo, exec_lo, s1
	s_delay_alu instid0(SALU_CYCLE_1)
	s_mov_b32 s1, exec_lo
	v_cmpx_gt_u32_e64 s0, v52
	s_cbranch_execnz .LBB1331_645
.LBB1331_630:                           ;   in Loop: Header=BB1331_602 Depth=2
	s_wait_alu 0xfffe
	s_or_b32 exec_lo, exec_lo, s1
	s_delay_alu instid0(SALU_CYCLE_1)
	s_mov_b32 s1, exec_lo
	v_cmpx_gt_u32_e64 s0, v53
	s_cbranch_execnz .LBB1331_646
.LBB1331_631:                           ;   in Loop: Header=BB1331_602 Depth=2
	s_wait_alu 0xfffe
	s_or_b32 exec_lo, exec_lo, s1
	s_delay_alu instid0(SALU_CYCLE_1)
	s_mov_b32 s1, exec_lo
	v_cmpx_gt_u32_e64 s0, v54
	s_cbranch_execnz .LBB1331_647
.LBB1331_632:                           ;   in Loop: Header=BB1331_602 Depth=2
	s_wait_alu 0xfffe
	s_or_b32 exec_lo, exec_lo, s1
	s_delay_alu instid0(SALU_CYCLE_1)
	s_mov_b32 s1, exec_lo
	v_cmpx_gt_u32_e64 s0, v55
	s_cbranch_execnz .LBB1331_648
.LBB1331_633:                           ;   in Loop: Header=BB1331_602 Depth=2
	s_wait_alu 0xfffe
	s_or_b32 exec_lo, exec_lo, s1
	s_delay_alu instid0(SALU_CYCLE_1)
	s_mov_b32 s1, exec_lo
	v_cmpx_gt_u32_e64 s0, v56
	s_cbranch_execnz .LBB1331_649
.LBB1331_634:                           ;   in Loop: Header=BB1331_602 Depth=2
	s_wait_alu 0xfffe
	s_or_b32 exec_lo, exec_lo, s1
	s_delay_alu instid0(SALU_CYCLE_1)
	s_mov_b32 s1, exec_lo
	v_cmpx_gt_u32_e64 s0, v57
	s_cbranch_execnz .LBB1331_650
.LBB1331_635:                           ;   in Loop: Header=BB1331_602 Depth=2
	s_wait_alu 0xfffe
	s_or_b32 exec_lo, exec_lo, s1
	s_delay_alu instid0(SALU_CYCLE_1)
	s_mov_b32 s1, exec_lo
	v_cmpx_gt_u32_e64 s0, v58
	s_cbranch_execnz .LBB1331_651
.LBB1331_636:                           ;   in Loop: Header=BB1331_602 Depth=2
	s_wait_alu 0xfffe
	s_or_b32 exec_lo, exec_lo, s1
	s_delay_alu instid0(SALU_CYCLE_1)
	s_mov_b32 s1, exec_lo
	v_cmpx_gt_u32_e64 s0, v59
	s_cbranch_execnz .LBB1331_652
.LBB1331_637:                           ;   in Loop: Header=BB1331_602 Depth=2
	s_wait_alu 0xfffe
	s_or_b32 exec_lo, exec_lo, s1
	s_delay_alu instid0(SALU_CYCLE_1)
	s_mov_b32 s1, exec_lo
	v_cmpx_gt_u32_e64 s0, v60
	s_cbranch_execnz .LBB1331_653
.LBB1331_638:                           ;   in Loop: Header=BB1331_602 Depth=2
	s_wait_alu 0xfffe
	s_or_b32 exec_lo, exec_lo, s1
	v_cmp_gt_u32_e32 vcc_lo, s0, v61
	s_and_saveexec_b32 s0, vcc_lo
	s_cbranch_execz .LBB1331_601
	s_branch .LBB1331_654
.LBB1331_639:                           ;   in Loop: Header=BB1331_602 Depth=2
	v_cmp_gt_i32_e32 vcc_lo, 0, v18
	s_wait_alu 0xfffd
	v_cndmask_b32_e64 v19, 0x7fffffff, 0, vcc_lo
	s_delay_alu instid0(VALU_DEP_1) | instskip(NEXT) | instid1(VALU_DEP_1)
	v_xor_b32_e32 v19, v19, v18
	v_cmp_ne_u32_e32 vcc_lo, 0x80000000, v19
	s_wait_alu 0xfffd
	v_cndmask_b32_e32 v19, 0x7fffffff, v19, vcc_lo
	s_delay_alu instid0(VALU_DEP_1) | instskip(NEXT) | instid1(VALU_DEP_1)
	v_lshrrev_b32_e32 v19, s49, v19
	v_and_b32_e32 v19, s48, v19
	s_delay_alu instid0(VALU_DEP_1) | instskip(SKIP_2) | instid1(SALU_CYCLE_1)
	v_lshl_or_b32 v19, v19, 4, v62
	ds_add_u32 v19, v84
	s_or_b32 exec_lo, exec_lo, s1
	s_mov_b32 s1, exec_lo
	v_cmpx_gt_u32_e64 s0, v45
	s_cbranch_execz .LBB1331_625
.LBB1331_640:                           ;   in Loop: Header=BB1331_602 Depth=2
	v_cmp_gt_i32_e32 vcc_lo, 0, v17
	s_wait_alu 0xfffd
	v_cndmask_b32_e64 v19, 0x7fffffff, 0, vcc_lo
	s_delay_alu instid0(VALU_DEP_1) | instskip(NEXT) | instid1(VALU_DEP_1)
	v_xor_b32_e32 v19, v19, v17
	v_cmp_ne_u32_e32 vcc_lo, 0x80000000, v19
	s_wait_alu 0xfffd
	v_cndmask_b32_e32 v19, 0x7fffffff, v19, vcc_lo
	s_delay_alu instid0(VALU_DEP_1) | instskip(NEXT) | instid1(VALU_DEP_1)
	v_lshrrev_b32_e32 v19, s49, v19
	v_and_b32_e32 v19, s48, v19
	s_delay_alu instid0(VALU_DEP_1) | instskip(SKIP_3) | instid1(SALU_CYCLE_1)
	v_lshl_or_b32 v19, v19, 4, v62
	ds_add_u32 v19, v84
	s_wait_alu 0xfffe
	s_or_b32 exec_lo, exec_lo, s1
	s_mov_b32 s1, exec_lo
	v_cmpx_gt_u32_e64 s0, v46
	s_cbranch_execz .LBB1331_626
.LBB1331_641:                           ;   in Loop: Header=BB1331_602 Depth=2
	v_cmp_gt_i32_e32 vcc_lo, 0, v16
	s_wait_alu 0xfffd
	v_cndmask_b32_e64 v19, 0x7fffffff, 0, vcc_lo
	s_delay_alu instid0(VALU_DEP_1) | instskip(NEXT) | instid1(VALU_DEP_1)
	v_xor_b32_e32 v19, v19, v16
	v_cmp_ne_u32_e32 vcc_lo, 0x80000000, v19
	s_wait_alu 0xfffd
	v_cndmask_b32_e32 v19, 0x7fffffff, v19, vcc_lo
	s_delay_alu instid0(VALU_DEP_1) | instskip(NEXT) | instid1(VALU_DEP_1)
	v_lshrrev_b32_e32 v19, s49, v19
	v_and_b32_e32 v19, s48, v19
	s_delay_alu instid0(VALU_DEP_1) | instskip(SKIP_3) | instid1(SALU_CYCLE_1)
	v_lshl_or_b32 v19, v19, 4, v62
	ds_add_u32 v19, v84
	s_wait_alu 0xfffe
	s_or_b32 exec_lo, exec_lo, s1
	s_mov_b32 s1, exec_lo
	v_cmpx_gt_u32_e64 s0, v47
	s_cbranch_execz .LBB1331_627
.LBB1331_642:                           ;   in Loop: Header=BB1331_602 Depth=2
	v_cmp_gt_i32_e32 vcc_lo, 0, v15
	s_wait_alu 0xfffd
	v_cndmask_b32_e64 v19, 0x7fffffff, 0, vcc_lo
	s_delay_alu instid0(VALU_DEP_1) | instskip(NEXT) | instid1(VALU_DEP_1)
	v_xor_b32_e32 v19, v19, v15
	v_cmp_ne_u32_e32 vcc_lo, 0x80000000, v19
	s_wait_alu 0xfffd
	v_cndmask_b32_e32 v19, 0x7fffffff, v19, vcc_lo
	s_delay_alu instid0(VALU_DEP_1) | instskip(NEXT) | instid1(VALU_DEP_1)
	v_lshrrev_b32_e32 v19, s49, v19
	v_and_b32_e32 v19, s48, v19
	s_delay_alu instid0(VALU_DEP_1) | instskip(SKIP_3) | instid1(SALU_CYCLE_1)
	v_lshl_or_b32 v19, v19, 4, v62
	ds_add_u32 v19, v84
	s_wait_alu 0xfffe
	s_or_b32 exec_lo, exec_lo, s1
	s_mov_b32 s1, exec_lo
	v_cmpx_gt_u32_e64 s0, v50
	s_cbranch_execz .LBB1331_628
.LBB1331_643:                           ;   in Loop: Header=BB1331_602 Depth=2
	v_cmp_gt_i32_e32 vcc_lo, 0, v14
	s_wait_alu 0xfffd
	v_cndmask_b32_e64 v19, 0x7fffffff, 0, vcc_lo
	s_delay_alu instid0(VALU_DEP_1) | instskip(NEXT) | instid1(VALU_DEP_1)
	v_xor_b32_e32 v19, v19, v14
	v_cmp_ne_u32_e32 vcc_lo, 0x80000000, v19
	s_wait_alu 0xfffd
	v_cndmask_b32_e32 v19, 0x7fffffff, v19, vcc_lo
	s_delay_alu instid0(VALU_DEP_1) | instskip(NEXT) | instid1(VALU_DEP_1)
	v_lshrrev_b32_e32 v19, s49, v19
	v_and_b32_e32 v19, s48, v19
	s_delay_alu instid0(VALU_DEP_1) | instskip(SKIP_3) | instid1(SALU_CYCLE_1)
	v_lshl_or_b32 v19, v19, 4, v62
	ds_add_u32 v19, v84
	s_wait_alu 0xfffe
	s_or_b32 exec_lo, exec_lo, s1
	s_mov_b32 s1, exec_lo
	v_cmpx_gt_u32_e64 s0, v51
	s_cbranch_execz .LBB1331_629
.LBB1331_644:                           ;   in Loop: Header=BB1331_602 Depth=2
	v_cmp_gt_i32_e32 vcc_lo, 0, v13
	s_wait_alu 0xfffd
	v_cndmask_b32_e64 v19, 0x7fffffff, 0, vcc_lo
	s_delay_alu instid0(VALU_DEP_1) | instskip(NEXT) | instid1(VALU_DEP_1)
	v_xor_b32_e32 v19, v19, v13
	v_cmp_ne_u32_e32 vcc_lo, 0x80000000, v19
	s_wait_alu 0xfffd
	v_cndmask_b32_e32 v19, 0x7fffffff, v19, vcc_lo
	s_delay_alu instid0(VALU_DEP_1) | instskip(NEXT) | instid1(VALU_DEP_1)
	v_lshrrev_b32_e32 v19, s49, v19
	v_and_b32_e32 v19, s48, v19
	s_delay_alu instid0(VALU_DEP_1) | instskip(SKIP_3) | instid1(SALU_CYCLE_1)
	v_lshl_or_b32 v19, v19, 4, v62
	ds_add_u32 v19, v84
	s_wait_alu 0xfffe
	s_or_b32 exec_lo, exec_lo, s1
	s_mov_b32 s1, exec_lo
	v_cmpx_gt_u32_e64 s0, v52
	s_cbranch_execz .LBB1331_630
.LBB1331_645:                           ;   in Loop: Header=BB1331_602 Depth=2
	v_cmp_gt_i32_e32 vcc_lo, 0, v12
	s_wait_alu 0xfffd
	v_cndmask_b32_e64 v19, 0x7fffffff, 0, vcc_lo
	s_delay_alu instid0(VALU_DEP_1) | instskip(NEXT) | instid1(VALU_DEP_1)
	v_xor_b32_e32 v19, v19, v12
	v_cmp_ne_u32_e32 vcc_lo, 0x80000000, v19
	s_wait_alu 0xfffd
	v_cndmask_b32_e32 v19, 0x7fffffff, v19, vcc_lo
	s_delay_alu instid0(VALU_DEP_1) | instskip(NEXT) | instid1(VALU_DEP_1)
	v_lshrrev_b32_e32 v19, s49, v19
	v_and_b32_e32 v19, s48, v19
	s_delay_alu instid0(VALU_DEP_1) | instskip(SKIP_3) | instid1(SALU_CYCLE_1)
	v_lshl_or_b32 v19, v19, 4, v62
	ds_add_u32 v19, v84
	s_wait_alu 0xfffe
	s_or_b32 exec_lo, exec_lo, s1
	s_mov_b32 s1, exec_lo
	v_cmpx_gt_u32_e64 s0, v53
	s_cbranch_execz .LBB1331_631
.LBB1331_646:                           ;   in Loop: Header=BB1331_602 Depth=2
	v_cmp_gt_i32_e32 vcc_lo, 0, v11
	s_wait_alu 0xfffd
	v_cndmask_b32_e64 v19, 0x7fffffff, 0, vcc_lo
	s_delay_alu instid0(VALU_DEP_1) | instskip(NEXT) | instid1(VALU_DEP_1)
	v_xor_b32_e32 v19, v19, v11
	v_cmp_ne_u32_e32 vcc_lo, 0x80000000, v19
	s_wait_alu 0xfffd
	v_cndmask_b32_e32 v19, 0x7fffffff, v19, vcc_lo
	s_delay_alu instid0(VALU_DEP_1) | instskip(NEXT) | instid1(VALU_DEP_1)
	v_lshrrev_b32_e32 v19, s49, v19
	v_and_b32_e32 v19, s48, v19
	s_delay_alu instid0(VALU_DEP_1) | instskip(SKIP_3) | instid1(SALU_CYCLE_1)
	v_lshl_or_b32 v19, v19, 4, v62
	ds_add_u32 v19, v84
	s_wait_alu 0xfffe
	s_or_b32 exec_lo, exec_lo, s1
	s_mov_b32 s1, exec_lo
	v_cmpx_gt_u32_e64 s0, v54
	s_cbranch_execz .LBB1331_632
.LBB1331_647:                           ;   in Loop: Header=BB1331_602 Depth=2
	v_cmp_gt_i32_e32 vcc_lo, 0, v10
	s_wait_alu 0xfffd
	v_cndmask_b32_e64 v19, 0x7fffffff, 0, vcc_lo
	s_delay_alu instid0(VALU_DEP_1) | instskip(NEXT) | instid1(VALU_DEP_1)
	v_xor_b32_e32 v19, v19, v10
	v_cmp_ne_u32_e32 vcc_lo, 0x80000000, v19
	s_wait_alu 0xfffd
	v_cndmask_b32_e32 v19, 0x7fffffff, v19, vcc_lo
	s_delay_alu instid0(VALU_DEP_1) | instskip(NEXT) | instid1(VALU_DEP_1)
	v_lshrrev_b32_e32 v19, s49, v19
	v_and_b32_e32 v19, s48, v19
	s_delay_alu instid0(VALU_DEP_1) | instskip(SKIP_3) | instid1(SALU_CYCLE_1)
	v_lshl_or_b32 v19, v19, 4, v62
	ds_add_u32 v19, v84
	s_wait_alu 0xfffe
	s_or_b32 exec_lo, exec_lo, s1
	s_mov_b32 s1, exec_lo
	v_cmpx_gt_u32_e64 s0, v55
	s_cbranch_execz .LBB1331_633
.LBB1331_648:                           ;   in Loop: Header=BB1331_602 Depth=2
	v_cmp_gt_i32_e32 vcc_lo, 0, v9
	s_wait_alu 0xfffd
	v_cndmask_b32_e64 v19, 0x7fffffff, 0, vcc_lo
	s_delay_alu instid0(VALU_DEP_1) | instskip(NEXT) | instid1(VALU_DEP_1)
	v_xor_b32_e32 v19, v19, v9
	v_cmp_ne_u32_e32 vcc_lo, 0x80000000, v19
	s_wait_alu 0xfffd
	v_cndmask_b32_e32 v19, 0x7fffffff, v19, vcc_lo
	s_delay_alu instid0(VALU_DEP_1) | instskip(NEXT) | instid1(VALU_DEP_1)
	v_lshrrev_b32_e32 v19, s49, v19
	v_and_b32_e32 v19, s48, v19
	s_delay_alu instid0(VALU_DEP_1) | instskip(SKIP_3) | instid1(SALU_CYCLE_1)
	v_lshl_or_b32 v19, v19, 4, v62
	ds_add_u32 v19, v84
	s_wait_alu 0xfffe
	s_or_b32 exec_lo, exec_lo, s1
	s_mov_b32 s1, exec_lo
	v_cmpx_gt_u32_e64 s0, v56
	s_cbranch_execz .LBB1331_634
.LBB1331_649:                           ;   in Loop: Header=BB1331_602 Depth=2
	v_cmp_gt_i32_e32 vcc_lo, 0, v8
	s_wait_alu 0xfffd
	v_cndmask_b32_e64 v19, 0x7fffffff, 0, vcc_lo
	s_delay_alu instid0(VALU_DEP_1) | instskip(NEXT) | instid1(VALU_DEP_1)
	v_xor_b32_e32 v19, v19, v8
	v_cmp_ne_u32_e32 vcc_lo, 0x80000000, v19
	s_wait_alu 0xfffd
	v_cndmask_b32_e32 v19, 0x7fffffff, v19, vcc_lo
	s_delay_alu instid0(VALU_DEP_1) | instskip(NEXT) | instid1(VALU_DEP_1)
	v_lshrrev_b32_e32 v19, s49, v19
	v_and_b32_e32 v19, s48, v19
	s_delay_alu instid0(VALU_DEP_1) | instskip(SKIP_3) | instid1(SALU_CYCLE_1)
	v_lshl_or_b32 v19, v19, 4, v62
	ds_add_u32 v19, v84
	s_wait_alu 0xfffe
	s_or_b32 exec_lo, exec_lo, s1
	s_mov_b32 s1, exec_lo
	v_cmpx_gt_u32_e64 s0, v57
	s_cbranch_execz .LBB1331_635
.LBB1331_650:                           ;   in Loop: Header=BB1331_602 Depth=2
	v_cmp_gt_i32_e32 vcc_lo, 0, v7
	s_wait_alu 0xfffd
	v_cndmask_b32_e64 v19, 0x7fffffff, 0, vcc_lo
	s_delay_alu instid0(VALU_DEP_1) | instskip(NEXT) | instid1(VALU_DEP_1)
	v_xor_b32_e32 v19, v19, v7
	v_cmp_ne_u32_e32 vcc_lo, 0x80000000, v19
	s_wait_alu 0xfffd
	v_cndmask_b32_e32 v19, 0x7fffffff, v19, vcc_lo
	s_delay_alu instid0(VALU_DEP_1) | instskip(NEXT) | instid1(VALU_DEP_1)
	v_lshrrev_b32_e32 v19, s49, v19
	v_and_b32_e32 v19, s48, v19
	s_delay_alu instid0(VALU_DEP_1) | instskip(SKIP_3) | instid1(SALU_CYCLE_1)
	v_lshl_or_b32 v19, v19, 4, v62
	ds_add_u32 v19, v84
	s_wait_alu 0xfffe
	s_or_b32 exec_lo, exec_lo, s1
	s_mov_b32 s1, exec_lo
	v_cmpx_gt_u32_e64 s0, v58
	s_cbranch_execz .LBB1331_636
.LBB1331_651:                           ;   in Loop: Header=BB1331_602 Depth=2
	v_cmp_gt_i32_e32 vcc_lo, 0, v6
	s_wait_alu 0xfffd
	v_cndmask_b32_e64 v19, 0x7fffffff, 0, vcc_lo
	s_delay_alu instid0(VALU_DEP_1) | instskip(NEXT) | instid1(VALU_DEP_1)
	v_xor_b32_e32 v19, v19, v6
	v_cmp_ne_u32_e32 vcc_lo, 0x80000000, v19
	s_wait_alu 0xfffd
	v_cndmask_b32_e32 v19, 0x7fffffff, v19, vcc_lo
	s_delay_alu instid0(VALU_DEP_1) | instskip(NEXT) | instid1(VALU_DEP_1)
	v_lshrrev_b32_e32 v19, s49, v19
	v_and_b32_e32 v19, s48, v19
	s_delay_alu instid0(VALU_DEP_1) | instskip(SKIP_3) | instid1(SALU_CYCLE_1)
	v_lshl_or_b32 v19, v19, 4, v62
	ds_add_u32 v19, v84
	s_wait_alu 0xfffe
	s_or_b32 exec_lo, exec_lo, s1
	s_mov_b32 s1, exec_lo
	v_cmpx_gt_u32_e64 s0, v59
	s_cbranch_execz .LBB1331_637
.LBB1331_652:                           ;   in Loop: Header=BB1331_602 Depth=2
	v_cmp_gt_i32_e32 vcc_lo, 0, v5
	s_wait_alu 0xfffd
	v_cndmask_b32_e64 v19, 0x7fffffff, 0, vcc_lo
	s_delay_alu instid0(VALU_DEP_1) | instskip(NEXT) | instid1(VALU_DEP_1)
	v_xor_b32_e32 v19, v19, v5
	v_cmp_ne_u32_e32 vcc_lo, 0x80000000, v19
	s_wait_alu 0xfffd
	v_cndmask_b32_e32 v19, 0x7fffffff, v19, vcc_lo
	s_delay_alu instid0(VALU_DEP_1) | instskip(NEXT) | instid1(VALU_DEP_1)
	v_lshrrev_b32_e32 v19, s49, v19
	v_and_b32_e32 v19, s48, v19
	s_delay_alu instid0(VALU_DEP_1) | instskip(SKIP_3) | instid1(SALU_CYCLE_1)
	v_lshl_or_b32 v19, v19, 4, v62
	ds_add_u32 v19, v84
	s_wait_alu 0xfffe
	s_or_b32 exec_lo, exec_lo, s1
	s_mov_b32 s1, exec_lo
	v_cmpx_gt_u32_e64 s0, v60
	s_cbranch_execz .LBB1331_638
.LBB1331_653:                           ;   in Loop: Header=BB1331_602 Depth=2
	v_cmp_gt_i32_e32 vcc_lo, 0, v4
	s_wait_alu 0xfffd
	v_cndmask_b32_e64 v19, 0x7fffffff, 0, vcc_lo
	s_delay_alu instid0(VALU_DEP_1) | instskip(NEXT) | instid1(VALU_DEP_1)
	v_xor_b32_e32 v19, v19, v4
	v_cmp_ne_u32_e32 vcc_lo, 0x80000000, v19
	s_wait_alu 0xfffd
	v_cndmask_b32_e32 v19, 0x7fffffff, v19, vcc_lo
	s_delay_alu instid0(VALU_DEP_1) | instskip(NEXT) | instid1(VALU_DEP_1)
	v_lshrrev_b32_e32 v19, s49, v19
	v_and_b32_e32 v19, s48, v19
	s_delay_alu instid0(VALU_DEP_1)
	v_lshl_or_b32 v19, v19, 4, v62
	ds_add_u32 v19, v84
	s_wait_alu 0xfffe
	s_or_b32 exec_lo, exec_lo, s1
	v_cmp_gt_u32_e32 vcc_lo, s0, v61
	s_and_saveexec_b32 s0, vcc_lo
	s_cbranch_execz .LBB1331_601
.LBB1331_654:                           ;   in Loop: Header=BB1331_602 Depth=2
	v_cmp_gt_i32_e32 vcc_lo, 0, v2
	s_wait_alu 0xfffd
	v_cndmask_b32_e64 v19, 0x7fffffff, 0, vcc_lo
	s_delay_alu instid0(VALU_DEP_1) | instskip(NEXT) | instid1(VALU_DEP_1)
	v_xor_b32_e32 v19, v19, v2
	v_cmp_ne_u32_e32 vcc_lo, 0x80000000, v19
	s_wait_alu 0xfffd
	v_cndmask_b32_e32 v19, 0x7fffffff, v19, vcc_lo
	s_delay_alu instid0(VALU_DEP_1) | instskip(NEXT) | instid1(VALU_DEP_1)
	v_lshrrev_b32_e32 v19, s49, v19
	v_and_b32_e32 v19, s48, v19
	s_delay_alu instid0(VALU_DEP_1)
	v_lshl_or_b32 v19, v19, 4, v62
	ds_add_u32 v19, v84
	s_branch .LBB1331_601
.LBB1331_655:                           ;   in Loop: Header=BB1331_602 Depth=2
	global_load_b32 v18, v108, s[0:1]
	s_or_b32 exec_lo, exec_lo, s11
	s_delay_alu instid0(SALU_CYCLE_1)
	s_mov_b32 s11, exec_lo
	v_cmpx_gt_u32_e64 s9, v45
	s_cbranch_execz .LBB1331_607
.LBB1331_656:                           ;   in Loop: Header=BB1331_602 Depth=2
	global_load_b32 v17, v108, s[0:1] offset:1024
	s_wait_alu 0xfffe
	s_or_b32 exec_lo, exec_lo, s11
	s_delay_alu instid0(SALU_CYCLE_1)
	s_mov_b32 s11, exec_lo
	v_cmpx_gt_u32_e64 s9, v46
	s_cbranch_execz .LBB1331_608
.LBB1331_657:                           ;   in Loop: Header=BB1331_602 Depth=2
	global_load_b32 v16, v108, s[0:1] offset:2048
	s_wait_alu 0xfffe
	s_or_b32 exec_lo, exec_lo, s11
	s_delay_alu instid0(SALU_CYCLE_1)
	s_mov_b32 s11, exec_lo
	v_cmpx_gt_u32_e64 s9, v47
	s_cbranch_execz .LBB1331_609
.LBB1331_658:                           ;   in Loop: Header=BB1331_602 Depth=2
	global_load_b32 v15, v108, s[0:1] offset:3072
	s_wait_alu 0xfffe
	s_or_b32 exec_lo, exec_lo, s11
	s_delay_alu instid0(SALU_CYCLE_1)
	s_mov_b32 s11, exec_lo
	v_cmpx_gt_u32_e64 s9, v50
	s_cbranch_execz .LBB1331_610
.LBB1331_659:                           ;   in Loop: Header=BB1331_602 Depth=2
	global_load_b32 v14, v108, s[0:1] offset:4096
	s_wait_alu 0xfffe
	s_or_b32 exec_lo, exec_lo, s11
	s_delay_alu instid0(SALU_CYCLE_1)
	s_mov_b32 s11, exec_lo
	v_cmpx_gt_u32_e64 s9, v51
	s_cbranch_execz .LBB1331_611
.LBB1331_660:                           ;   in Loop: Header=BB1331_602 Depth=2
	global_load_b32 v13, v108, s[0:1] offset:5120
	s_wait_alu 0xfffe
	s_or_b32 exec_lo, exec_lo, s11
	s_delay_alu instid0(SALU_CYCLE_1)
	s_mov_b32 s11, exec_lo
	v_cmpx_gt_u32_e64 s9, v52
	s_cbranch_execz .LBB1331_612
.LBB1331_661:                           ;   in Loop: Header=BB1331_602 Depth=2
	global_load_b32 v12, v108, s[0:1] offset:6144
	s_wait_alu 0xfffe
	s_or_b32 exec_lo, exec_lo, s11
	s_delay_alu instid0(SALU_CYCLE_1)
	s_mov_b32 s11, exec_lo
	v_cmpx_gt_u32_e64 s9, v53
	s_cbranch_execz .LBB1331_613
.LBB1331_662:                           ;   in Loop: Header=BB1331_602 Depth=2
	global_load_b32 v11, v108, s[0:1] offset:7168
	s_wait_alu 0xfffe
	s_or_b32 exec_lo, exec_lo, s11
	s_delay_alu instid0(SALU_CYCLE_1)
	s_mov_b32 s11, exec_lo
	v_cmpx_gt_u32_e64 s9, v54
	s_cbranch_execz .LBB1331_614
.LBB1331_663:                           ;   in Loop: Header=BB1331_602 Depth=2
	global_load_b32 v10, v108, s[0:1] offset:8192
	s_wait_alu 0xfffe
	s_or_b32 exec_lo, exec_lo, s11
	s_delay_alu instid0(SALU_CYCLE_1)
	s_mov_b32 s11, exec_lo
	v_cmpx_gt_u32_e64 s9, v55
	s_cbranch_execz .LBB1331_615
.LBB1331_664:                           ;   in Loop: Header=BB1331_602 Depth=2
	global_load_b32 v9, v108, s[0:1] offset:9216
	s_wait_alu 0xfffe
	s_or_b32 exec_lo, exec_lo, s11
	s_delay_alu instid0(SALU_CYCLE_1)
	s_mov_b32 s11, exec_lo
	v_cmpx_gt_u32_e64 s9, v56
	s_cbranch_execz .LBB1331_616
.LBB1331_665:                           ;   in Loop: Header=BB1331_602 Depth=2
	global_load_b32 v8, v108, s[0:1] offset:10240
	s_wait_alu 0xfffe
	s_or_b32 exec_lo, exec_lo, s11
	s_delay_alu instid0(SALU_CYCLE_1)
	s_mov_b32 s11, exec_lo
	v_cmpx_gt_u32_e64 s9, v57
	s_cbranch_execz .LBB1331_617
.LBB1331_666:                           ;   in Loop: Header=BB1331_602 Depth=2
	global_load_b32 v7, v108, s[0:1] offset:11264
	s_wait_alu 0xfffe
	s_or_b32 exec_lo, exec_lo, s11
	s_delay_alu instid0(SALU_CYCLE_1)
	s_mov_b32 s11, exec_lo
	v_cmpx_gt_u32_e64 s9, v58
	s_cbranch_execz .LBB1331_618
.LBB1331_667:                           ;   in Loop: Header=BB1331_602 Depth=2
	global_load_b32 v6, v108, s[0:1] offset:12288
	s_wait_alu 0xfffe
	s_or_b32 exec_lo, exec_lo, s11
	s_delay_alu instid0(SALU_CYCLE_1)
	s_mov_b32 s11, exec_lo
	v_cmpx_gt_u32_e64 s9, v59
	s_cbranch_execz .LBB1331_619
.LBB1331_668:                           ;   in Loop: Header=BB1331_602 Depth=2
	global_load_b32 v5, v108, s[0:1] offset:13312
	s_wait_alu 0xfffe
	s_or_b32 exec_lo, exec_lo, s11
	s_delay_alu instid0(SALU_CYCLE_1)
	s_mov_b32 s11, exec_lo
	v_cmpx_gt_u32_e64 s9, v60
	s_cbranch_execz .LBB1331_620
.LBB1331_669:                           ;   in Loop: Header=BB1331_602 Depth=2
	global_load_b32 v4, v108, s[0:1] offset:14336
	s_wait_alu 0xfffe
	s_or_b32 exec_lo, exec_lo, s11
	s_delay_alu instid0(SALU_CYCLE_1)
	s_mov_b32 s11, exec_lo
	v_cmpx_gt_u32_e64 s9, v61
	s_cbranch_execnz .LBB1331_621
	s_branch .LBB1331_622
.LBB1331_670:                           ;   in Loop: Header=BB1331_12 Depth=1
	v_mov_b32_e32 v2, 0
	s_wait_dscnt 0x0
	s_barrier_signal -1
	s_barrier_wait -1
	global_inv scope:SCOPE_SE
	s_and_saveexec_b32 s0, s2
	s_cbranch_execz .LBB1331_672
; %bb.671:                              ;   in Loop: Header=BB1331_12 Depth=1
	ds_load_2addr_b64 v[4:7], v64 offset1:1
	s_wait_dscnt 0x0
	v_add_nc_u32_e32 v2, v5, v4
	s_delay_alu instid0(VALU_DEP_1)
	v_add3_u32 v2, v2, v6, v7
.LBB1331_672:                           ;   in Loop: Header=BB1331_12 Depth=1
	s_wait_alu 0xfffe
	s_or_b32 exec_lo, exec_lo, s0
	s_delay_alu instid0(VALU_DEP_1)
	v_mov_b32_dpp v4, v2 row_shr:1 row_mask:0xf bank_mask:0xf
	v_cmp_eq_u32_e64 s0, 0, v85
	v_cmp_lt_u32_e64 s1, 1, v85
	v_cmp_lt_u32_e64 s9, 3, v85
	;; [unrolled: 1-line block ×3, first 2 shown]
	v_cmp_eq_u32_e64 s11, 0, v87
	s_wait_alu 0xf1ff
	v_cndmask_b32_e64 v4, v4, 0, s0
	s_delay_alu instid0(VALU_DEP_1) | instskip(NEXT) | instid1(VALU_DEP_1)
	v_add_nc_u32_e32 v2, v4, v2
	v_mov_b32_dpp v4, v2 row_shr:2 row_mask:0xf bank_mask:0xf
	s_delay_alu instid0(VALU_DEP_1) | instskip(NEXT) | instid1(VALU_DEP_1)
	v_cndmask_b32_e64 v4, 0, v4, s1
	v_add_nc_u32_e32 v2, v2, v4
	s_delay_alu instid0(VALU_DEP_1) | instskip(NEXT) | instid1(VALU_DEP_1)
	v_mov_b32_dpp v4, v2 row_shr:4 row_mask:0xf bank_mask:0xf
	v_cndmask_b32_e64 v4, 0, v4, s9
	s_delay_alu instid0(VALU_DEP_1) | instskip(NEXT) | instid1(VALU_DEP_1)
	v_add_nc_u32_e32 v2, v2, v4
	v_mov_b32_dpp v4, v2 row_shr:8 row_mask:0xf bank_mask:0xf
	s_delay_alu instid0(VALU_DEP_1) | instskip(NEXT) | instid1(VALU_DEP_1)
	v_cndmask_b32_e64 v4, 0, v4, s10
	v_add_nc_u32_e32 v2, v2, v4
	ds_swizzle_b32 v4, v2 offset:swizzle(BROADCAST,32,15)
	s_wait_dscnt 0x0
	v_and_b32_e32 v4, v86, v4
	s_delay_alu instid0(VALU_DEP_1)
	v_add_nc_u32_e32 v2, v2, v4
	s_and_saveexec_b32 s12, s3
; %bb.673:                              ;   in Loop: Header=BB1331_12 Depth=1
	ds_store_b32 v65, v2
; %bb.674:                              ;   in Loop: Header=BB1331_12 Depth=1
	s_wait_alu 0xfffe
	s_or_b32 exec_lo, exec_lo, s12
	s_wait_loadcnt_dscnt 0x0
	s_barrier_signal -1
	s_barrier_wait -1
	global_inv scope:SCOPE_SE
	s_and_saveexec_b32 s12, s4
	s_cbranch_execz .LBB1331_676
; %bb.675:                              ;   in Loop: Header=BB1331_12 Depth=1
	ds_load_b32 v4, v66
	v_cmp_ne_u32_e32 vcc_lo, 0, v89
	s_wait_dscnt 0x0
	v_mov_b32_dpp v5, v4 row_shr:1 row_mask:0xf bank_mask:0xf
	s_wait_alu 0xfffd
	s_delay_alu instid0(VALU_DEP_1) | instskip(SKIP_1) | instid1(VALU_DEP_2)
	v_cndmask_b32_e32 v5, 0, v5, vcc_lo
	v_cmp_lt_u32_e32 vcc_lo, 1, v89
	v_add_nc_u32_e32 v4, v5, v4
	s_delay_alu instid0(VALU_DEP_1) | instskip(SKIP_1) | instid1(VALU_DEP_1)
	v_mov_b32_dpp v5, v4 row_shr:2 row_mask:0xf bank_mask:0xf
	s_wait_alu 0xfffd
	v_cndmask_b32_e32 v5, 0, v5, vcc_lo
	v_cmp_lt_u32_e32 vcc_lo, 3, v89
	s_delay_alu instid0(VALU_DEP_2) | instskip(NEXT) | instid1(VALU_DEP_1)
	v_add_nc_u32_e32 v4, v4, v5
	v_mov_b32_dpp v5, v4 row_shr:4 row_mask:0xf bank_mask:0xf
	s_wait_alu 0xfffd
	s_delay_alu instid0(VALU_DEP_1) | instskip(NEXT) | instid1(VALU_DEP_1)
	v_cndmask_b32_e32 v5, 0, v5, vcc_lo
	v_add_nc_u32_e32 v4, v4, v5
	ds_store_b32 v66, v4
.LBB1331_676:                           ;   in Loop: Header=BB1331_12 Depth=1
	s_wait_alu 0xfffe
	s_or_b32 exec_lo, exec_lo, s12
	v_mov_b32_e32 v4, 0
	s_wait_loadcnt_dscnt 0x0
	s_barrier_signal -1
	s_barrier_wait -1
	global_inv scope:SCOPE_SE
	s_and_saveexec_b32 s12, s5
; %bb.677:                              ;   in Loop: Header=BB1331_12 Depth=1
	ds_load_b32 v4, v68
; %bb.678:                              ;   in Loop: Header=BB1331_12 Depth=1
	s_wait_alu 0xfffe
	s_or_b32 exec_lo, exec_lo, s12
	v_cmp_gt_i32_e32 vcc_lo, 0, v90
	s_wait_loadcnt_dscnt 0x0
	s_barrier_signal -1
	s_barrier_wait -1
	global_inv scope:SCOPE_SE
	s_wait_alu 0xfffd
	v_dual_cndmask_b32 v5, v90, v81 :: v_dual_add_nc_u32 v2, v4, v2
	s_delay_alu instid0(VALU_DEP_1)
	v_lshlrev_b32_e32 v113, 2, v5
	ds_bpermute_b32 v2, v113, v2
	s_and_saveexec_b32 s12, s2
	s_cbranch_execz .LBB1331_680
; %bb.679:                              ;   in Loop: Header=BB1331_12 Depth=1
	s_wait_dscnt 0x0
	v_cndmask_b32_e64 v2, v2, v4, s8
	s_delay_alu instid0(VALU_DEP_1)
	v_add_nc_u32_e32 v2, s33, v2
	ds_store_b32 v44, v2
.LBB1331_680:                           ;   in Loop: Header=BB1331_12 Depth=1
	s_wait_alu 0xfffe
	s_or_b32 exec_lo, exec_lo, s12
	s_load_b64 s[12:13], s[34:35], 0x0
	v_add_co_u32 v114, vcc_lo, v79, v91
	s_wait_alu 0xfffd
	v_add_co_ci_u32_e64 v115, null, 0, v80, vcc_lo
	v_add_co_u32 v116, vcc_lo, v82, v107
	s_wait_alu 0xfffd
	v_add_co_ci_u32_e64 v117, null, 0, v83, vcc_lo
	s_mov_b32 s54, s53
                                        ; implicit-def: $vgpr6_vgpr7
                                        ; implicit-def: $vgpr8_vgpr9
                                        ; implicit-def: $vgpr10_vgpr11
                                        ; implicit-def: $vgpr12_vgpr13
                                        ; implicit-def: $vgpr14_vgpr15
                                        ; implicit-def: $vgpr16_vgpr17
                                        ; implicit-def: $vgpr18_vgpr19
                                        ; implicit-def: $vgpr20_vgpr21
                                        ; implicit-def: $vgpr22_vgpr23
                                        ; implicit-def: $vgpr24_vgpr25
                                        ; implicit-def: $vgpr26_vgpr27
                                        ; implicit-def: $vgpr28_vgpr29
                                        ; implicit-def: $vgpr30_vgpr31
                                        ; implicit-def: $vgpr32_vgpr33
                                        ; implicit-def: $vgpr34_vgpr35
                                        ; implicit-def: $vgpr119
                                        ; implicit-def: $vgpr120
                                        ; implicit-def: $vgpr121
                                        ; implicit-def: $vgpr122
                                        ; implicit-def: $vgpr123
                                        ; implicit-def: $vgpr124
                                        ; implicit-def: $vgpr125
                                        ; implicit-def: $vgpr126
                                        ; implicit-def: $vgpr127
                                        ; implicit-def: $vgpr128
                                        ; implicit-def: $vgpr129
                                        ; implicit-def: $vgpr130
                                        ; implicit-def: $vgpr131
                                        ; implicit-def: $vgpr132
                                        ; implicit-def: $vgpr133
                                        ; implicit-def: $vgpr134
	s_wait_kmcnt 0x0
	s_cmp_lt_u32 ttmp7, s13
	s_cselect_b32 s42, 14, 20
	s_cmp_lt_u32 ttmp9, s12
	s_wait_alu 0xfffe
	s_add_nc_u64 s[14:15], s[34:35], s[42:43]
	s_cselect_b32 s42, 12, 18
	s_load_u16 s14, s[14:15], 0x0
	s_add_nc_u64 s[12:13], s[34:35], s[42:43]
	s_mov_b32 s42, s33
	s_load_u16 s12, s[12:13], 0x0
	v_cmp_lt_u32_e64 s13, 1, v89
	s_wait_dscnt 0x0
	s_wait_kmcnt 0x0
	v_mad_u32_u24 v2, v69, s14, v0
	v_cmp_lt_u32_e64 s14, 3, v89
	s_delay_alu instid0(VALU_DEP_2) | instskip(SKIP_1) | instid1(VALU_DEP_2)
	v_mad_co_u64_u32 v[4:5], null, v2, s12, v[1:2]
	v_cmp_eq_u32_e64 s12, 0, v89
	v_lshrrev_b32_e32 v2, 3, v4
                                        ; implicit-def: $vgpr4_vgpr5
	s_delay_alu instid0(VALU_DEP_1)
	v_and_b32_e32 v118, 0x1ffffffc, v2
	s_branch .LBB1331_682
.LBB1331_681:                           ;   in Loop: Header=BB1331_682 Depth=2
	s_wait_alu 0xfffe
	s_or_b32 exec_lo, exec_lo, s15
	s_addk_co_i32 s54, 0xf000
	s_cmp_lt_u32 s55, s51
	s_mov_b32 s42, s55
	s_cbranch_scc0 .LBB1331_890
.LBB1331_682:                           ;   Parent Loop BB1331_12 Depth=1
                                        ; =>  This Inner Loop Header: Depth=2
	s_wait_alu 0xfffe
	s_add_co_i32 s55, s42, 0x1000
	s_wait_alu 0xfffe
	s_cmp_gt_u32 s55, s51
	s_cbranch_scc1 .LBB1331_684
; %bb.683:                              ;   in Loop: Header=BB1331_682 Depth=2
	s_lshl_b64 s[16:17], s[42:43], 2
	s_mov_b32 s15, -1
	s_wait_alu 0xfffe
	v_add_co_u32 v36, vcc_lo, v116, s16
	s_wait_alu 0xfffd
	v_add_co_ci_u32_e64 v37, null, s17, v117, vcc_lo
	s_clause 0xe
	global_load_b32 v2, v[36:37], off
	global_load_b32 v136, v[36:37], off offset:128
	global_load_b32 v143, v[36:37], off offset:256
	;; [unrolled: 1-line block ×14, first 2 shown]
	s_movk_i32 s16, 0x1000
	s_cbranch_execz .LBB1331_685
	s_branch .LBB1331_716
.LBB1331_684:                           ;   in Loop: Header=BB1331_682 Depth=2
	s_mov_b32 s15, 0
                                        ; implicit-def: $vgpr2
                                        ; implicit-def: $vgpr136
                                        ; implicit-def: $vgpr143
                                        ; implicit-def: $vgpr147
                                        ; implicit-def: $vgpr151
                                        ; implicit-def: $vgpr155
                                        ; implicit-def: $vgpr159
                                        ; implicit-def: $vgpr163
                                        ; implicit-def: $vgpr166
                                        ; implicit-def: $vgpr43
                                        ; implicit-def: $vgpr42
                                        ; implicit-def: $vgpr41
                                        ; implicit-def: $vgpr40
                                        ; implicit-def: $vgpr39
                                        ; implicit-def: $vgpr38
	s_movk_i32 s16, 0x1000
.LBB1331_685:                           ;   in Loop: Header=BB1331_682 Depth=2
	s_lshl_b64 s[16:17], s[42:43], 2
	s_wait_loadcnt 0xd
	v_mov_b32_e32 v136, -1
	s_wait_alu 0xfffe
	v_add_co_u32 v36, vcc_lo, v116, s16
	s_wait_alu 0xfffd
	v_add_co_ci_u32_e64 v37, null, s17, v117, vcc_lo
	v_mov_b32_e32 v2, -1
	s_mov_b32 s15, exec_lo
	v_cmpx_gt_u32_e64 s54, v88
	s_cbranch_execz .LBB1331_687
; %bb.686:                              ;   in Loop: Header=BB1331_682 Depth=2
	global_load_b32 v2, v[36:37], off
.LBB1331_687:                           ;   in Loop: Header=BB1331_682 Depth=2
	s_wait_alu 0xfffe
	s_or_b32 exec_lo, exec_lo, s15
	s_delay_alu instid0(SALU_CYCLE_1)
	s_mov_b32 s15, exec_lo
	v_cmpx_gt_u32_e64 s54, v92
	s_cbranch_execz .LBB1331_689
; %bb.688:                              ;   in Loop: Header=BB1331_682 Depth=2
	global_load_b32 v136, v[36:37], off offset:128
.LBB1331_689:                           ;   in Loop: Header=BB1331_682 Depth=2
	s_wait_alu 0xfffe
	s_or_b32 exec_lo, exec_lo, s15
	s_wait_loadcnt 0xb
	v_mov_b32_e32 v147, -1
	v_mov_b32_e32 v143, -1
	s_mov_b32 s15, exec_lo
	v_cmpx_gt_u32_e64 s54, v93
	s_cbranch_execz .LBB1331_691
; %bb.690:                              ;   in Loop: Header=BB1331_682 Depth=2
	global_load_b32 v143, v[36:37], off offset:256
.LBB1331_691:                           ;   in Loop: Header=BB1331_682 Depth=2
	s_wait_alu 0xfffe
	s_or_b32 exec_lo, exec_lo, s15
	s_delay_alu instid0(SALU_CYCLE_1)
	s_mov_b32 s15, exec_lo
	v_cmpx_gt_u32_e64 s54, v94
	s_cbranch_execz .LBB1331_693
; %bb.692:                              ;   in Loop: Header=BB1331_682 Depth=2
	global_load_b32 v147, v[36:37], off offset:384
.LBB1331_693:                           ;   in Loop: Header=BB1331_682 Depth=2
	s_wait_alu 0xfffe
	s_or_b32 exec_lo, exec_lo, s15
	s_wait_loadcnt 0x9
	v_mov_b32_e32 v155, -1
	v_mov_b32_e32 v151, -1
	s_mov_b32 s15, exec_lo
	v_cmpx_gt_u32_e64 s54, v95
	s_cbranch_execz .LBB1331_695
; %bb.694:                              ;   in Loop: Header=BB1331_682 Depth=2
	global_load_b32 v151, v[36:37], off offset:512
.LBB1331_695:                           ;   in Loop: Header=BB1331_682 Depth=2
	;; [unrolled: 20-line block ×3, first 2 shown]
	s_wait_alu 0xfffe
	s_or_b32 exec_lo, exec_lo, s15
	s_delay_alu instid0(SALU_CYCLE_1)
	s_mov_b32 s15, exec_lo
	v_cmpx_gt_u32_e64 s54, v98
	s_cbranch_execz .LBB1331_701
; %bb.700:                              ;   in Loop: Header=BB1331_682 Depth=2
	global_load_b32 v163, v[36:37], off offset:896
.LBB1331_701:                           ;   in Loop: Header=BB1331_682 Depth=2
	s_wait_alu 0xfffe
	s_or_b32 exec_lo, exec_lo, s15
	s_wait_loadcnt 0x5
	v_dual_mov_b32 v43, -1 :: v_dual_mov_b32 v166, -1
	s_mov_b32 s15, exec_lo
	v_cmpx_gt_u32_e64 s54, v99
	s_cbranch_execz .LBB1331_703
; %bb.702:                              ;   in Loop: Header=BB1331_682 Depth=2
	global_load_b32 v166, v[36:37], off offset:1024
.LBB1331_703:                           ;   in Loop: Header=BB1331_682 Depth=2
	s_wait_alu 0xfffe
	s_or_b32 exec_lo, exec_lo, s15
	s_delay_alu instid0(SALU_CYCLE_1)
	s_mov_b32 s15, exec_lo
	v_cmpx_gt_u32_e64 s54, v100
	s_cbranch_execz .LBB1331_705
; %bb.704:                              ;   in Loop: Header=BB1331_682 Depth=2
	global_load_b32 v43, v[36:37], off offset:1152
.LBB1331_705:                           ;   in Loop: Header=BB1331_682 Depth=2
	s_wait_alu 0xfffe
	s_or_b32 exec_lo, exec_lo, s15
	s_wait_loadcnt 0x3
	v_dual_mov_b32 v41, -1 :: v_dual_mov_b32 v42, -1
	s_mov_b32 s15, exec_lo
	v_cmpx_gt_u32_e64 s54, v101
	s_cbranch_execz .LBB1331_707
; %bb.706:                              ;   in Loop: Header=BB1331_682 Depth=2
	global_load_b32 v42, v[36:37], off offset:1280
.LBB1331_707:                           ;   in Loop: Header=BB1331_682 Depth=2
	;; [unrolled: 19-line block ×3, first 2 shown]
	s_wait_alu 0xfffe
	s_or_b32 exec_lo, exec_lo, s15
	s_delay_alu instid0(SALU_CYCLE_1)
	s_mov_b32 s15, exec_lo
	v_cmpx_gt_u32_e64 s54, v104
	s_cbranch_execz .LBB1331_713
; %bb.712:                              ;   in Loop: Header=BB1331_682 Depth=2
	global_load_b32 v39, v[36:37], off offset:1664
.LBB1331_713:                           ;   in Loop: Header=BB1331_682 Depth=2
	s_wait_alu 0xfffe
	s_or_b32 exec_lo, exec_lo, s15
	s_wait_loadcnt 0x0
	v_mov_b32_e32 v38, -1
	s_mov_b32 s15, exec_lo
	v_cmpx_gt_u32_e64 s54, v105
	s_cbranch_execz .LBB1331_715
; %bb.714:                              ;   in Loop: Header=BB1331_682 Depth=2
	global_load_b32 v38, v[36:37], off offset:1792
.LBB1331_715:                           ;   in Loop: Header=BB1331_682 Depth=2
	s_wait_alu 0xfffe
	s_or_b32 exec_lo, exec_lo, s15
	v_cmp_gt_u32_e64 s15, s54, v106
	s_sub_co_i32 s16, s51, s42
.LBB1331_716:                           ;   in Loop: Header=BB1331_682 Depth=2
	v_dual_mov_b32 v36, -1 :: v_dual_mov_b32 v135, s54
	s_and_saveexec_b32 s17, s15
	s_cbranch_execz .LBB1331_718
; %bb.717:                              ;   in Loop: Header=BB1331_682 Depth=2
	s_lshl_b64 s[18:19], s[42:43], 2
	s_wait_alu 0xfffe
	v_mov_b32_e32 v135, s16
	v_add_co_u32 v36, vcc_lo, v116, s18
	s_wait_alu 0xfffd
	v_add_co_ci_u32_e64 v37, null, s19, v117, vcc_lo
	global_load_b32 v36, v[36:37], off offset:1920
.LBB1331_718:                           ;   in Loop: Header=BB1331_682 Depth=2
	s_wait_alu 0xfffe
	s_or_b32 exec_lo, exec_lo, s17
	s_wait_loadcnt 0xe
	v_cmp_gt_i32_e32 vcc_lo, 0, v2
	s_wait_alu 0xfffd
	v_cndmask_b32_e64 v37, 0x7fffffff, 0, vcc_lo
	s_delay_alu instid0(VALU_DEP_1) | instskip(NEXT) | instid1(VALU_DEP_1)
	v_xor_b32_e32 v2, v37, v2
	v_cmp_ne_u32_e32 vcc_lo, 0x80000000, v2
	s_wait_alu 0xfffd
	v_cndmask_b32_e32 v37, 0x7fffffff, v2, vcc_lo
	s_delay_alu instid0(VALU_DEP_1) | instskip(NEXT) | instid1(VALU_DEP_1)
	v_lshrrev_b32_e32 v37, s49, v37
	v_and_b32_e32 v142, s48, v37
	s_delay_alu instid0(VALU_DEP_1)
	v_and_b32_e32 v37, 1, v142
	v_lshlrev_b32_e32 v137, 30, v142
	v_lshlrev_b32_e32 v138, 29, v142
	;; [unrolled: 1-line block ×4, first 2 shown]
	v_add_co_u32 v37, s15, v37, -1
	s_wait_alu 0xf1ff
	v_cndmask_b32_e64 v140, 0, 1, s15
	v_not_b32_e32 v146, v137
	v_cmp_gt_i32_e64 s15, 0, v137
	v_not_b32_e32 v137, v138
	v_lshlrev_b32_e32 v144, 26, v142
	v_cmp_ne_u32_e32 vcc_lo, 0, v140
	v_ashrrev_i32_e32 v146, 31, v146
	v_lshlrev_b32_e32 v145, 25, v142
	v_ashrrev_i32_e32 v137, 31, v137
	v_lshlrev_b32_e32 v140, 24, v142
	s_wait_alu 0xfffd
	v_xor_b32_e32 v37, vcc_lo, v37
	v_cmp_gt_i32_e32 vcc_lo, 0, v138
	v_not_b32_e32 v138, v139
	s_wait_alu 0xf1ff
	v_xor_b32_e32 v146, s15, v146
	v_cmp_gt_i32_e64 s15, 0, v139
	v_and_b32_e32 v37, exec_lo, v37
	v_not_b32_e32 v139, v141
	v_ashrrev_i32_e32 v138, 31, v138
	s_wait_alu 0xfffd
	v_xor_b32_e32 v137, vcc_lo, v137
	v_cmp_gt_i32_e32 vcc_lo, 0, v141
	v_and_b32_e32 v37, v37, v146
	v_not_b32_e32 v141, v144
	v_ashrrev_i32_e32 v139, 31, v139
	s_wait_alu 0xf1ff
	v_xor_b32_e32 v138, s15, v138
	v_cmp_gt_i32_e64 s15, 0, v144
	v_and_b32_e32 v37, v37, v137
	v_not_b32_e32 v137, v145
	v_ashrrev_i32_e32 v141, 31, v141
	s_wait_alu 0xfffd
	v_xor_b32_e32 v139, vcc_lo, v139
	v_cmp_gt_i32_e32 vcc_lo, 0, v145
	v_and_b32_e32 v37, v37, v138
	v_not_b32_e32 v138, v140
	v_ashrrev_i32_e32 v137, 31, v137
	s_wait_alu 0xf1ff
	v_xor_b32_e32 v141, s15, v141
	v_cmp_gt_i32_e64 s15, 0, v140
	v_and_b32_e32 v37, v37, v139
	v_ashrrev_i32_e32 v138, 31, v138
	s_wait_alu 0xfffd
	v_xor_b32_e32 v137, vcc_lo, v137
	v_mul_u32_u24_e32 v142, 36, v142
	v_add_nc_u32_e32 v140, 0x428, v67
	v_and_b32_e32 v37, v37, v141
	s_wait_alu 0xf1ff
	v_xor_b32_e32 v139, s15, v138
	v_add_nc_u32_e32 v138, 0x438, v67
	v_add_nc_u32_e32 v141, 0x430, v67
	;; [unrolled: 1-line block ×3, first 2 shown]
	v_and_b32_e32 v37, v37, v137
	ds_store_2addr_b32 v138, v3, v3 offset1:1
	v_and_b32_e32 v37, v37, v139
	v_add_nc_u32_e32 v139, 0x420, v67
	ds_store_2addr_b32 v139, v3, v3 offset1:1
	ds_store_2addr_b32 v140, v3, v3 offset1:1
	;; [unrolled: 1-line block ×3, first 2 shown]
	ds_store_b32 v67, v3 offset:1088
	v_mbcnt_lo_u32_b32 v137, v37, 0
	v_cmp_ne_u32_e64 s15, 0, v37
	s_wait_loadcnt_dscnt 0x0
	s_barrier_signal -1
	s_barrier_wait -1
	v_cmp_eq_u32_e32 vcc_lo, 0, v137
	global_inv scope:SCOPE_SE
	; wave barrier
	s_and_b32 s16, s15, vcc_lo
	s_wait_alu 0xfffe
	s_and_saveexec_b32 s15, s16
; %bb.719:                              ;   in Loop: Header=BB1331_682 Depth=2
	v_bcnt_u32_b32 v37, v37, 0
	ds_store_b32 v142, v37 offset:1056
; %bb.720:                              ;   in Loop: Header=BB1331_682 Depth=2
	s_wait_alu 0xfffe
	s_or_b32 exec_lo, exec_lo, s15
	v_cmp_gt_i32_e32 vcc_lo, 0, v136
	; wave barrier
	s_wait_alu 0xfffd
	v_cndmask_b32_e64 v37, 0x7fffffff, 0, vcc_lo
	s_delay_alu instid0(VALU_DEP_1) | instskip(NEXT) | instid1(VALU_DEP_1)
	v_xor_b32_e32 v136, v37, v136
	v_cmp_ne_u32_e32 vcc_lo, 0x80000000, v136
	s_wait_alu 0xfffd
	v_cndmask_b32_e32 v37, 0x7fffffff, v136, vcc_lo
	s_delay_alu instid0(VALU_DEP_1) | instskip(NEXT) | instid1(VALU_DEP_1)
	v_lshrrev_b32_e32 v37, s49, v37
	v_and_b32_e32 v146, s48, v37
	s_delay_alu instid0(VALU_DEP_1)
	v_and_b32_e32 v37, 1, v146
	v_lshlrev_b32_e32 v144, 30, v146
	v_lshlrev_b32_e32 v145, 29, v146
	;; [unrolled: 1-line block ×4, first 2 shown]
	v_add_co_u32 v37, s15, v37, -1
	s_wait_alu 0xf1ff
	v_cndmask_b32_e64 v149, 0, 1, s15
	v_not_b32_e32 v154, v144
	v_cmp_gt_i32_e64 s15, 0, v144
	v_not_b32_e32 v144, v145
	v_lshlrev_b32_e32 v152, 26, v146
	v_cmp_ne_u32_e32 vcc_lo, 0, v149
	v_ashrrev_i32_e32 v154, 31, v154
	v_lshlrev_b32_e32 v153, 25, v146
	v_ashrrev_i32_e32 v144, 31, v144
	v_lshlrev_b32_e32 v149, 24, v146
	s_wait_alu 0xfffd
	v_xor_b32_e32 v37, vcc_lo, v37
	v_cmp_gt_i32_e32 vcc_lo, 0, v145
	v_not_b32_e32 v145, v148
	s_wait_alu 0xf1ff
	v_xor_b32_e32 v154, s15, v154
	v_cmp_gt_i32_e64 s15, 0, v148
	v_and_b32_e32 v37, exec_lo, v37
	v_not_b32_e32 v148, v150
	v_ashrrev_i32_e32 v145, 31, v145
	s_wait_alu 0xfffd
	v_xor_b32_e32 v144, vcc_lo, v144
	v_cmp_gt_i32_e32 vcc_lo, 0, v150
	v_and_b32_e32 v37, v37, v154
	v_not_b32_e32 v150, v152
	v_ashrrev_i32_e32 v148, 31, v148
	s_wait_alu 0xf1ff
	v_xor_b32_e32 v145, s15, v145
	v_cmp_gt_i32_e64 s15, 0, v152
	v_and_b32_e32 v37, v37, v144
	v_not_b32_e32 v144, v153
	v_ashrrev_i32_e32 v150, 31, v150
	s_wait_alu 0xfffd
	v_xor_b32_e32 v148, vcc_lo, v148
	v_cmp_gt_i32_e32 vcc_lo, 0, v153
	v_and_b32_e32 v37, v37, v145
	v_not_b32_e32 v145, v149
	v_ashrrev_i32_e32 v144, 31, v144
	s_wait_alu 0xf1ff
	v_xor_b32_e32 v150, s15, v150
	v_cmp_gt_i32_e64 s15, 0, v149
	v_and_b32_e32 v37, v37, v148
	v_ashrrev_i32_e32 v145, 31, v145
	s_wait_alu 0xfffd
	v_xor_b32_e32 v144, vcc_lo, v144
	v_mad_u32_u24 v148, v146, 36, v118
	v_mul_u32_u24_e32 v146, 36, v146
	v_and_b32_e32 v37, v37, v150
	s_wait_alu 0xf1ff
	v_xor_b32_e32 v145, s15, v145
	s_delay_alu instid0(VALU_DEP_3) | instskip(NEXT) | instid1(VALU_DEP_3)
	v_add_nc_u32_e32 v146, v118, v146
	v_and_b32_e32 v37, v37, v144
	ds_load_b32 v144, v148 offset:1056
	; wave barrier
	v_and_b32_e32 v37, v37, v145
	s_delay_alu instid0(VALU_DEP_1) | instskip(SKIP_1) | instid1(VALU_DEP_2)
	v_mbcnt_lo_u32_b32 v145, v37, 0
	v_cmp_ne_u32_e64 s15, 0, v37
	v_cmp_eq_u32_e32 vcc_lo, 0, v145
	s_and_b32 s16, s15, vcc_lo
	s_wait_alu 0xfffe
	s_and_saveexec_b32 s15, s16
	s_cbranch_execz .LBB1331_722
; %bb.721:                              ;   in Loop: Header=BB1331_682 Depth=2
	s_wait_dscnt 0x0
	v_bcnt_u32_b32 v37, v37, v144
	ds_store_b32 v146, v37 offset:1056
.LBB1331_722:                           ;   in Loop: Header=BB1331_682 Depth=2
	s_wait_alu 0xfffe
	s_or_b32 exec_lo, exec_lo, s15
	v_cmp_gt_i32_e32 vcc_lo, 0, v143
	; wave barrier
	s_wait_alu 0xfffd
	v_cndmask_b32_e64 v37, 0x7fffffff, 0, vcc_lo
	s_delay_alu instid0(VALU_DEP_1) | instskip(NEXT) | instid1(VALU_DEP_1)
	v_xor_b32_e32 v143, v37, v143
	v_cmp_ne_u32_e32 vcc_lo, 0x80000000, v143
	s_wait_alu 0xfffd
	v_cndmask_b32_e32 v37, 0x7fffffff, v143, vcc_lo
	s_delay_alu instid0(VALU_DEP_1) | instskip(NEXT) | instid1(VALU_DEP_1)
	v_lshrrev_b32_e32 v37, s49, v37
	v_and_b32_e32 v150, s48, v37
	s_delay_alu instid0(VALU_DEP_1)
	v_and_b32_e32 v37, 1, v150
	v_lshlrev_b32_e32 v148, 30, v150
	v_lshlrev_b32_e32 v149, 29, v150
	;; [unrolled: 1-line block ×4, first 2 shown]
	v_add_co_u32 v37, s15, v37, -1
	s_wait_alu 0xf1ff
	v_cndmask_b32_e64 v153, 0, 1, s15
	v_not_b32_e32 v158, v148
	v_cmp_gt_i32_e64 s15, 0, v148
	v_not_b32_e32 v148, v149
	v_lshlrev_b32_e32 v156, 26, v150
	v_cmp_ne_u32_e32 vcc_lo, 0, v153
	v_ashrrev_i32_e32 v158, 31, v158
	v_lshlrev_b32_e32 v157, 25, v150
	v_ashrrev_i32_e32 v148, 31, v148
	v_lshlrev_b32_e32 v153, 24, v150
	s_wait_alu 0xfffd
	v_xor_b32_e32 v37, vcc_lo, v37
	v_cmp_gt_i32_e32 vcc_lo, 0, v149
	v_not_b32_e32 v149, v152
	s_wait_alu 0xf1ff
	v_xor_b32_e32 v158, s15, v158
	v_cmp_gt_i32_e64 s15, 0, v152
	v_and_b32_e32 v37, exec_lo, v37
	v_not_b32_e32 v152, v154
	v_ashrrev_i32_e32 v149, 31, v149
	s_wait_alu 0xfffd
	v_xor_b32_e32 v148, vcc_lo, v148
	v_cmp_gt_i32_e32 vcc_lo, 0, v154
	v_and_b32_e32 v37, v37, v158
	v_not_b32_e32 v154, v156
	v_ashrrev_i32_e32 v152, 31, v152
	s_wait_alu 0xf1ff
	v_xor_b32_e32 v149, s15, v149
	v_cmp_gt_i32_e64 s15, 0, v156
	v_and_b32_e32 v37, v37, v148
	v_not_b32_e32 v148, v157
	v_ashrrev_i32_e32 v154, 31, v154
	s_wait_alu 0xfffd
	v_xor_b32_e32 v152, vcc_lo, v152
	v_cmp_gt_i32_e32 vcc_lo, 0, v157
	v_and_b32_e32 v37, v37, v149
	v_not_b32_e32 v149, v153
	v_ashrrev_i32_e32 v148, 31, v148
	s_wait_alu 0xf1ff
	v_xor_b32_e32 v154, s15, v154
	v_cmp_gt_i32_e64 s15, 0, v153
	v_and_b32_e32 v37, v37, v152
	v_ashrrev_i32_e32 v149, 31, v149
	s_wait_alu 0xfffd
	v_xor_b32_e32 v148, vcc_lo, v148
	v_mad_u32_u24 v152, v150, 36, v118
	v_mul_u32_u24_e32 v150, 36, v150
	v_and_b32_e32 v37, v37, v154
	s_wait_alu 0xf1ff
	v_xor_b32_e32 v149, s15, v149
	s_delay_alu instid0(VALU_DEP_3) | instskip(NEXT) | instid1(VALU_DEP_3)
	v_add_nc_u32_e32 v150, v118, v150
	v_and_b32_e32 v37, v37, v148
	ds_load_b32 v148, v152 offset:1056
	; wave barrier
	v_and_b32_e32 v37, v37, v149
	s_delay_alu instid0(VALU_DEP_1) | instskip(SKIP_1) | instid1(VALU_DEP_2)
	v_mbcnt_lo_u32_b32 v149, v37, 0
	v_cmp_ne_u32_e64 s15, 0, v37
	v_cmp_eq_u32_e32 vcc_lo, 0, v149
	s_and_b32 s16, s15, vcc_lo
	s_wait_alu 0xfffe
	s_and_saveexec_b32 s15, s16
	s_cbranch_execz .LBB1331_724
; %bb.723:                              ;   in Loop: Header=BB1331_682 Depth=2
	s_wait_dscnt 0x0
	v_bcnt_u32_b32 v37, v37, v148
	ds_store_b32 v150, v37 offset:1056
.LBB1331_724:                           ;   in Loop: Header=BB1331_682 Depth=2
	s_wait_alu 0xfffe
	s_or_b32 exec_lo, exec_lo, s15
	v_cmp_gt_i32_e32 vcc_lo, 0, v147
	; wave barrier
	s_wait_alu 0xfffd
	v_cndmask_b32_e64 v37, 0x7fffffff, 0, vcc_lo
	s_delay_alu instid0(VALU_DEP_1) | instskip(NEXT) | instid1(VALU_DEP_1)
	v_xor_b32_e32 v147, v37, v147
	v_cmp_ne_u32_e32 vcc_lo, 0x80000000, v147
	s_wait_alu 0xfffd
	v_cndmask_b32_e32 v37, 0x7fffffff, v147, vcc_lo
	s_delay_alu instid0(VALU_DEP_1) | instskip(NEXT) | instid1(VALU_DEP_1)
	v_lshrrev_b32_e32 v37, s49, v37
	v_and_b32_e32 v154, s48, v37
	s_delay_alu instid0(VALU_DEP_1)
	v_and_b32_e32 v37, 1, v154
	v_lshlrev_b32_e32 v152, 30, v154
	v_lshlrev_b32_e32 v153, 29, v154
	;; [unrolled: 1-line block ×4, first 2 shown]
	v_add_co_u32 v37, s15, v37, -1
	s_wait_alu 0xf1ff
	v_cndmask_b32_e64 v157, 0, 1, s15
	v_not_b32_e32 v162, v152
	v_cmp_gt_i32_e64 s15, 0, v152
	v_not_b32_e32 v152, v153
	v_lshlrev_b32_e32 v160, 26, v154
	v_cmp_ne_u32_e32 vcc_lo, 0, v157
	v_ashrrev_i32_e32 v162, 31, v162
	v_lshlrev_b32_e32 v161, 25, v154
	v_ashrrev_i32_e32 v152, 31, v152
	v_lshlrev_b32_e32 v157, 24, v154
	s_wait_alu 0xfffd
	v_xor_b32_e32 v37, vcc_lo, v37
	v_cmp_gt_i32_e32 vcc_lo, 0, v153
	v_not_b32_e32 v153, v156
	s_wait_alu 0xf1ff
	v_xor_b32_e32 v162, s15, v162
	v_cmp_gt_i32_e64 s15, 0, v156
	v_and_b32_e32 v37, exec_lo, v37
	v_not_b32_e32 v156, v158
	v_ashrrev_i32_e32 v153, 31, v153
	s_wait_alu 0xfffd
	v_xor_b32_e32 v152, vcc_lo, v152
	v_cmp_gt_i32_e32 vcc_lo, 0, v158
	v_and_b32_e32 v37, v37, v162
	v_not_b32_e32 v158, v160
	v_ashrrev_i32_e32 v156, 31, v156
	s_wait_alu 0xf1ff
	v_xor_b32_e32 v153, s15, v153
	v_cmp_gt_i32_e64 s15, 0, v160
	v_and_b32_e32 v37, v37, v152
	v_not_b32_e32 v152, v161
	v_ashrrev_i32_e32 v158, 31, v158
	s_wait_alu 0xfffd
	v_xor_b32_e32 v156, vcc_lo, v156
	v_cmp_gt_i32_e32 vcc_lo, 0, v161
	v_and_b32_e32 v37, v37, v153
	v_not_b32_e32 v153, v157
	v_ashrrev_i32_e32 v152, 31, v152
	s_wait_alu 0xf1ff
	v_xor_b32_e32 v158, s15, v158
	v_cmp_gt_i32_e64 s15, 0, v157
	v_and_b32_e32 v37, v37, v156
	v_ashrrev_i32_e32 v153, 31, v153
	s_wait_alu 0xfffd
	v_xor_b32_e32 v152, vcc_lo, v152
	v_mad_u32_u24 v156, v154, 36, v118
	v_mul_u32_u24_e32 v154, 36, v154
	v_and_b32_e32 v37, v37, v158
	s_wait_alu 0xf1ff
	v_xor_b32_e32 v153, s15, v153
	s_delay_alu instid0(VALU_DEP_3) | instskip(NEXT) | instid1(VALU_DEP_3)
	v_add_nc_u32_e32 v154, v118, v154
	v_and_b32_e32 v37, v37, v152
	ds_load_b32 v152, v156 offset:1056
	; wave barrier
	v_and_b32_e32 v37, v37, v153
	s_delay_alu instid0(VALU_DEP_1) | instskip(SKIP_1) | instid1(VALU_DEP_2)
	v_mbcnt_lo_u32_b32 v153, v37, 0
	v_cmp_ne_u32_e64 s15, 0, v37
	v_cmp_eq_u32_e32 vcc_lo, 0, v153
	s_and_b32 s16, s15, vcc_lo
	s_wait_alu 0xfffe
	s_and_saveexec_b32 s15, s16
	s_cbranch_execz .LBB1331_726
; %bb.725:                              ;   in Loop: Header=BB1331_682 Depth=2
	s_wait_dscnt 0x0
	v_bcnt_u32_b32 v37, v37, v152
	ds_store_b32 v154, v37 offset:1056
.LBB1331_726:                           ;   in Loop: Header=BB1331_682 Depth=2
	s_wait_alu 0xfffe
	s_or_b32 exec_lo, exec_lo, s15
	v_cmp_gt_i32_e32 vcc_lo, 0, v151
	; wave barrier
	s_wait_alu 0xfffd
	v_cndmask_b32_e64 v37, 0x7fffffff, 0, vcc_lo
	s_delay_alu instid0(VALU_DEP_1) | instskip(NEXT) | instid1(VALU_DEP_1)
	v_xor_b32_e32 v151, v37, v151
	v_cmp_ne_u32_e32 vcc_lo, 0x80000000, v151
	s_wait_alu 0xfffd
	v_cndmask_b32_e32 v37, 0x7fffffff, v151, vcc_lo
	s_delay_alu instid0(VALU_DEP_1) | instskip(NEXT) | instid1(VALU_DEP_1)
	v_lshrrev_b32_e32 v37, s49, v37
	v_and_b32_e32 v158, s48, v37
	s_delay_alu instid0(VALU_DEP_1)
	v_and_b32_e32 v37, 1, v158
	v_lshlrev_b32_e32 v156, 30, v158
	v_lshlrev_b32_e32 v157, 29, v158
	;; [unrolled: 1-line block ×4, first 2 shown]
	v_add_co_u32 v37, s15, v37, -1
	s_wait_alu 0xf1ff
	v_cndmask_b32_e64 v161, 0, 1, s15
	v_not_b32_e32 v167, v156
	v_cmp_gt_i32_e64 s15, 0, v156
	v_not_b32_e32 v156, v157
	v_lshlrev_b32_e32 v164, 26, v158
	v_cmp_ne_u32_e32 vcc_lo, 0, v161
	v_ashrrev_i32_e32 v167, 31, v167
	v_lshlrev_b32_e32 v165, 25, v158
	v_ashrrev_i32_e32 v156, 31, v156
	v_lshlrev_b32_e32 v161, 24, v158
	s_wait_alu 0xfffd
	v_xor_b32_e32 v37, vcc_lo, v37
	v_cmp_gt_i32_e32 vcc_lo, 0, v157
	v_not_b32_e32 v157, v160
	s_wait_alu 0xf1ff
	v_xor_b32_e32 v167, s15, v167
	v_cmp_gt_i32_e64 s15, 0, v160
	v_and_b32_e32 v37, exec_lo, v37
	v_not_b32_e32 v160, v162
	v_ashrrev_i32_e32 v157, 31, v157
	s_wait_alu 0xfffd
	v_xor_b32_e32 v156, vcc_lo, v156
	v_cmp_gt_i32_e32 vcc_lo, 0, v162
	v_and_b32_e32 v37, v37, v167
	v_not_b32_e32 v162, v164
	v_ashrrev_i32_e32 v160, 31, v160
	s_wait_alu 0xf1ff
	v_xor_b32_e32 v157, s15, v157
	v_cmp_gt_i32_e64 s15, 0, v164
	v_and_b32_e32 v37, v37, v156
	v_not_b32_e32 v156, v165
	v_ashrrev_i32_e32 v162, 31, v162
	s_wait_alu 0xfffd
	v_xor_b32_e32 v160, vcc_lo, v160
	v_cmp_gt_i32_e32 vcc_lo, 0, v165
	v_and_b32_e32 v37, v37, v157
	v_not_b32_e32 v157, v161
	v_ashrrev_i32_e32 v156, 31, v156
	s_wait_alu 0xf1ff
	v_xor_b32_e32 v162, s15, v162
	v_cmp_gt_i32_e64 s15, 0, v161
	v_and_b32_e32 v37, v37, v160
	v_ashrrev_i32_e32 v157, 31, v157
	s_wait_alu 0xfffd
	v_xor_b32_e32 v156, vcc_lo, v156
	v_mad_u32_u24 v160, v158, 36, v118
	v_mul_u32_u24_e32 v158, 36, v158
	v_and_b32_e32 v37, v37, v162
	s_wait_alu 0xf1ff
	v_xor_b32_e32 v157, s15, v157
	s_delay_alu instid0(VALU_DEP_3) | instskip(NEXT) | instid1(VALU_DEP_3)
	v_add_nc_u32_e32 v158, v118, v158
	v_and_b32_e32 v37, v37, v156
	ds_load_b32 v156, v160 offset:1056
	; wave barrier
	v_and_b32_e32 v37, v37, v157
	s_delay_alu instid0(VALU_DEP_1) | instskip(SKIP_1) | instid1(VALU_DEP_2)
	v_mbcnt_lo_u32_b32 v157, v37, 0
	v_cmp_ne_u32_e64 s15, 0, v37
	v_cmp_eq_u32_e32 vcc_lo, 0, v157
	s_and_b32 s16, s15, vcc_lo
	s_wait_alu 0xfffe
	s_and_saveexec_b32 s15, s16
	s_cbranch_execz .LBB1331_728
; %bb.727:                              ;   in Loop: Header=BB1331_682 Depth=2
	s_wait_dscnt 0x0
	v_bcnt_u32_b32 v37, v37, v156
	ds_store_b32 v158, v37 offset:1056
.LBB1331_728:                           ;   in Loop: Header=BB1331_682 Depth=2
	s_wait_alu 0xfffe
	s_or_b32 exec_lo, exec_lo, s15
	v_cmp_gt_i32_e32 vcc_lo, 0, v155
	; wave barrier
	s_wait_alu 0xfffd
	v_cndmask_b32_e64 v37, 0x7fffffff, 0, vcc_lo
	s_delay_alu instid0(VALU_DEP_1) | instskip(NEXT) | instid1(VALU_DEP_1)
	v_xor_b32_e32 v155, v37, v155
	v_cmp_ne_u32_e32 vcc_lo, 0x80000000, v155
	s_wait_alu 0xfffd
	v_cndmask_b32_e32 v37, 0x7fffffff, v155, vcc_lo
	s_delay_alu instid0(VALU_DEP_1) | instskip(NEXT) | instid1(VALU_DEP_1)
	v_lshrrev_b32_e32 v37, s49, v37
	v_and_b32_e32 v162, s48, v37
	s_delay_alu instid0(VALU_DEP_1)
	v_and_b32_e32 v37, 1, v162
	v_lshlrev_b32_e32 v160, 30, v162
	v_lshlrev_b32_e32 v161, 29, v162
	v_lshlrev_b32_e32 v164, 28, v162
	v_lshlrev_b32_e32 v167, 27, v162
	v_add_co_u32 v37, s15, v37, -1
	s_wait_alu 0xf1ff
	v_cndmask_b32_e64 v165, 0, 1, s15
	v_not_b32_e32 v170, v160
	v_cmp_gt_i32_e64 s15, 0, v160
	v_not_b32_e32 v160, v161
	v_lshlrev_b32_e32 v168, 26, v162
	v_cmp_ne_u32_e32 vcc_lo, 0, v165
	v_ashrrev_i32_e32 v170, 31, v170
	v_lshlrev_b32_e32 v169, 25, v162
	v_ashrrev_i32_e32 v160, 31, v160
	v_lshlrev_b32_e32 v165, 24, v162
	s_wait_alu 0xfffd
	v_xor_b32_e32 v37, vcc_lo, v37
	v_cmp_gt_i32_e32 vcc_lo, 0, v161
	v_not_b32_e32 v161, v164
	s_wait_alu 0xf1ff
	v_xor_b32_e32 v170, s15, v170
	v_cmp_gt_i32_e64 s15, 0, v164
	v_and_b32_e32 v37, exec_lo, v37
	v_not_b32_e32 v164, v167
	v_ashrrev_i32_e32 v161, 31, v161
	s_wait_alu 0xfffd
	v_xor_b32_e32 v160, vcc_lo, v160
	v_cmp_gt_i32_e32 vcc_lo, 0, v167
	v_and_b32_e32 v37, v37, v170
	v_not_b32_e32 v167, v168
	v_ashrrev_i32_e32 v164, 31, v164
	s_wait_alu 0xf1ff
	v_xor_b32_e32 v161, s15, v161
	v_cmp_gt_i32_e64 s15, 0, v168
	v_and_b32_e32 v37, v37, v160
	v_not_b32_e32 v160, v169
	v_ashrrev_i32_e32 v167, 31, v167
	s_wait_alu 0xfffd
	v_xor_b32_e32 v164, vcc_lo, v164
	v_cmp_gt_i32_e32 vcc_lo, 0, v169
	v_and_b32_e32 v37, v37, v161
	v_not_b32_e32 v161, v165
	v_ashrrev_i32_e32 v160, 31, v160
	s_wait_alu 0xf1ff
	v_xor_b32_e32 v167, s15, v167
	v_cmp_gt_i32_e64 s15, 0, v165
	v_and_b32_e32 v37, v37, v164
	v_ashrrev_i32_e32 v161, 31, v161
	s_wait_alu 0xfffd
	v_xor_b32_e32 v160, vcc_lo, v160
	v_mad_u32_u24 v164, v162, 36, v118
	v_mul_u32_u24_e32 v162, 36, v162
	v_and_b32_e32 v37, v37, v167
	s_wait_alu 0xf1ff
	v_xor_b32_e32 v161, s15, v161
	s_delay_alu instid0(VALU_DEP_3) | instskip(NEXT) | instid1(VALU_DEP_3)
	v_add_nc_u32_e32 v162, v118, v162
	v_and_b32_e32 v37, v37, v160
	ds_load_b32 v160, v164 offset:1056
	; wave barrier
	v_and_b32_e32 v37, v37, v161
	s_delay_alu instid0(VALU_DEP_1) | instskip(SKIP_1) | instid1(VALU_DEP_2)
	v_mbcnt_lo_u32_b32 v161, v37, 0
	v_cmp_ne_u32_e64 s15, 0, v37
	v_cmp_eq_u32_e32 vcc_lo, 0, v161
	s_and_b32 s16, s15, vcc_lo
	s_wait_alu 0xfffe
	s_and_saveexec_b32 s15, s16
	s_cbranch_execz .LBB1331_730
; %bb.729:                              ;   in Loop: Header=BB1331_682 Depth=2
	s_wait_dscnt 0x0
	v_bcnt_u32_b32 v37, v37, v160
	ds_store_b32 v162, v37 offset:1056
.LBB1331_730:                           ;   in Loop: Header=BB1331_682 Depth=2
	s_wait_alu 0xfffe
	s_or_b32 exec_lo, exec_lo, s15
	v_cmp_gt_i32_e32 vcc_lo, 0, v159
	; wave barrier
	s_wait_alu 0xfffd
	v_cndmask_b32_e64 v37, 0x7fffffff, 0, vcc_lo
	s_delay_alu instid0(VALU_DEP_1) | instskip(NEXT) | instid1(VALU_DEP_1)
	v_xor_b32_e32 v159, v37, v159
	v_cmp_ne_u32_e32 vcc_lo, 0x80000000, v159
	s_wait_alu 0xfffd
	v_cndmask_b32_e32 v37, 0x7fffffff, v159, vcc_lo
	s_delay_alu instid0(VALU_DEP_1) | instskip(NEXT) | instid1(VALU_DEP_1)
	v_lshrrev_b32_e32 v37, s49, v37
	v_and_b32_e32 v167, s48, v37
	s_delay_alu instid0(VALU_DEP_1)
	v_and_b32_e32 v37, 1, v167
	v_lshlrev_b32_e32 v164, 30, v167
	v_lshlrev_b32_e32 v165, 29, v167
	;; [unrolled: 1-line block ×4, first 2 shown]
	v_add_co_u32 v37, s15, v37, -1
	s_wait_alu 0xf1ff
	v_cndmask_b32_e64 v169, 0, 1, s15
	v_not_b32_e32 v173, v164
	v_cmp_gt_i32_e64 s15, 0, v164
	v_not_b32_e32 v164, v165
	v_lshlrev_b32_e32 v171, 26, v167
	v_cmp_ne_u32_e32 vcc_lo, 0, v169
	v_ashrrev_i32_e32 v173, 31, v173
	v_lshlrev_b32_e32 v172, 25, v167
	v_ashrrev_i32_e32 v164, 31, v164
	v_lshlrev_b32_e32 v169, 24, v167
	s_wait_alu 0xfffd
	v_xor_b32_e32 v37, vcc_lo, v37
	v_cmp_gt_i32_e32 vcc_lo, 0, v165
	v_not_b32_e32 v165, v168
	s_wait_alu 0xf1ff
	v_xor_b32_e32 v173, s15, v173
	v_cmp_gt_i32_e64 s15, 0, v168
	v_and_b32_e32 v37, exec_lo, v37
	v_not_b32_e32 v168, v170
	v_ashrrev_i32_e32 v165, 31, v165
	s_wait_alu 0xfffd
	v_xor_b32_e32 v164, vcc_lo, v164
	v_cmp_gt_i32_e32 vcc_lo, 0, v170
	v_and_b32_e32 v37, v37, v173
	v_not_b32_e32 v170, v171
	v_ashrrev_i32_e32 v168, 31, v168
	s_wait_alu 0xf1ff
	v_xor_b32_e32 v165, s15, v165
	v_cmp_gt_i32_e64 s15, 0, v171
	v_and_b32_e32 v37, v37, v164
	v_not_b32_e32 v164, v172
	v_ashrrev_i32_e32 v170, 31, v170
	s_wait_alu 0xfffd
	v_xor_b32_e32 v168, vcc_lo, v168
	v_cmp_gt_i32_e32 vcc_lo, 0, v172
	v_and_b32_e32 v37, v37, v165
	v_not_b32_e32 v165, v169
	v_ashrrev_i32_e32 v164, 31, v164
	s_wait_alu 0xf1ff
	v_xor_b32_e32 v170, s15, v170
	v_cmp_gt_i32_e64 s15, 0, v169
	v_and_b32_e32 v37, v37, v168
	v_ashrrev_i32_e32 v165, 31, v165
	s_wait_alu 0xfffd
	v_xor_b32_e32 v164, vcc_lo, v164
	v_mad_u32_u24 v168, v167, 36, v118
	v_mul_u32_u24_e32 v167, 36, v167
	v_and_b32_e32 v37, v37, v170
	s_wait_alu 0xf1ff
	v_xor_b32_e32 v165, s15, v165
	s_delay_alu instid0(VALU_DEP_3) | instskip(NEXT) | instid1(VALU_DEP_3)
	v_add_nc_u32_e32 v167, v118, v167
	v_and_b32_e32 v37, v37, v164
	ds_load_b32 v164, v168 offset:1056
	; wave barrier
	v_and_b32_e32 v37, v37, v165
	s_delay_alu instid0(VALU_DEP_1) | instskip(SKIP_1) | instid1(VALU_DEP_2)
	v_mbcnt_lo_u32_b32 v165, v37, 0
	v_cmp_ne_u32_e64 s15, 0, v37
	v_cmp_eq_u32_e32 vcc_lo, 0, v165
	s_and_b32 s16, s15, vcc_lo
	s_wait_alu 0xfffe
	s_and_saveexec_b32 s15, s16
	s_cbranch_execz .LBB1331_732
; %bb.731:                              ;   in Loop: Header=BB1331_682 Depth=2
	s_wait_dscnt 0x0
	v_bcnt_u32_b32 v37, v37, v164
	ds_store_b32 v167, v37 offset:1056
.LBB1331_732:                           ;   in Loop: Header=BB1331_682 Depth=2
	s_wait_alu 0xfffe
	s_or_b32 exec_lo, exec_lo, s15
	v_cmp_gt_i32_e32 vcc_lo, 0, v163
	; wave barrier
	s_wait_alu 0xfffd
	v_cndmask_b32_e64 v37, 0x7fffffff, 0, vcc_lo
	s_delay_alu instid0(VALU_DEP_1) | instskip(NEXT) | instid1(VALU_DEP_1)
	v_xor_b32_e32 v163, v37, v163
	v_cmp_ne_u32_e32 vcc_lo, 0x80000000, v163
	s_wait_alu 0xfffd
	v_cndmask_b32_e32 v37, 0x7fffffff, v163, vcc_lo
	s_delay_alu instid0(VALU_DEP_1) | instskip(NEXT) | instid1(VALU_DEP_1)
	v_lshrrev_b32_e32 v37, s49, v37
	v_and_b32_e32 v170, s48, v37
	s_delay_alu instid0(VALU_DEP_1)
	v_and_b32_e32 v37, 1, v170
	v_lshlrev_b32_e32 v168, 30, v170
	v_lshlrev_b32_e32 v169, 29, v170
	;; [unrolled: 1-line block ×4, first 2 shown]
	v_add_co_u32 v37, s15, v37, -1
	s_wait_alu 0xf1ff
	v_cndmask_b32_e64 v172, 0, 1, s15
	v_not_b32_e32 v176, v168
	v_cmp_gt_i32_e64 s15, 0, v168
	v_not_b32_e32 v168, v169
	v_lshlrev_b32_e32 v174, 26, v170
	v_cmp_ne_u32_e32 vcc_lo, 0, v172
	v_ashrrev_i32_e32 v176, 31, v176
	v_lshlrev_b32_e32 v175, 25, v170
	v_ashrrev_i32_e32 v168, 31, v168
	v_lshlrev_b32_e32 v172, 24, v170
	s_wait_alu 0xfffd
	v_xor_b32_e32 v37, vcc_lo, v37
	v_cmp_gt_i32_e32 vcc_lo, 0, v169
	v_not_b32_e32 v169, v171
	s_wait_alu 0xf1ff
	v_xor_b32_e32 v176, s15, v176
	v_cmp_gt_i32_e64 s15, 0, v171
	v_and_b32_e32 v37, exec_lo, v37
	v_not_b32_e32 v171, v173
	v_ashrrev_i32_e32 v169, 31, v169
	s_wait_alu 0xfffd
	v_xor_b32_e32 v168, vcc_lo, v168
	v_cmp_gt_i32_e32 vcc_lo, 0, v173
	v_and_b32_e32 v37, v37, v176
	v_not_b32_e32 v173, v174
	v_ashrrev_i32_e32 v171, 31, v171
	s_wait_alu 0xf1ff
	v_xor_b32_e32 v169, s15, v169
	v_cmp_gt_i32_e64 s15, 0, v174
	v_and_b32_e32 v37, v37, v168
	v_not_b32_e32 v168, v175
	v_ashrrev_i32_e32 v173, 31, v173
	s_wait_alu 0xfffd
	v_xor_b32_e32 v171, vcc_lo, v171
	v_cmp_gt_i32_e32 vcc_lo, 0, v175
	v_and_b32_e32 v37, v37, v169
	v_not_b32_e32 v169, v172
	v_ashrrev_i32_e32 v168, 31, v168
	s_wait_alu 0xf1ff
	v_xor_b32_e32 v173, s15, v173
	v_cmp_gt_i32_e64 s15, 0, v172
	v_and_b32_e32 v37, v37, v171
	v_ashrrev_i32_e32 v169, 31, v169
	s_wait_alu 0xfffd
	v_xor_b32_e32 v168, vcc_lo, v168
	v_mad_u32_u24 v171, v170, 36, v118
	v_mul_u32_u24_e32 v170, 36, v170
	v_and_b32_e32 v37, v37, v173
	s_wait_alu 0xf1ff
	v_xor_b32_e32 v169, s15, v169
	s_delay_alu instid0(VALU_DEP_3) | instskip(NEXT) | instid1(VALU_DEP_3)
	v_add_nc_u32_e32 v170, v118, v170
	v_and_b32_e32 v37, v37, v168
	ds_load_b32 v168, v171 offset:1056
	; wave barrier
	v_and_b32_e32 v37, v37, v169
	s_delay_alu instid0(VALU_DEP_1) | instskip(SKIP_1) | instid1(VALU_DEP_2)
	v_mbcnt_lo_u32_b32 v169, v37, 0
	v_cmp_ne_u32_e64 s15, 0, v37
	v_cmp_eq_u32_e32 vcc_lo, 0, v169
	s_and_b32 s16, s15, vcc_lo
	s_wait_alu 0xfffe
	s_and_saveexec_b32 s15, s16
	s_cbranch_execz .LBB1331_734
; %bb.733:                              ;   in Loop: Header=BB1331_682 Depth=2
	s_wait_dscnt 0x0
	v_bcnt_u32_b32 v37, v37, v168
	ds_store_b32 v170, v37 offset:1056
.LBB1331_734:                           ;   in Loop: Header=BB1331_682 Depth=2
	s_wait_alu 0xfffe
	s_or_b32 exec_lo, exec_lo, s15
	v_cmp_gt_i32_e32 vcc_lo, 0, v166
	; wave barrier
	s_wait_alu 0xfffd
	v_cndmask_b32_e64 v37, 0x7fffffff, 0, vcc_lo
	s_delay_alu instid0(VALU_DEP_1) | instskip(NEXT) | instid1(VALU_DEP_1)
	v_xor_b32_e32 v166, v37, v166
	v_cmp_ne_u32_e32 vcc_lo, 0x80000000, v166
	s_wait_alu 0xfffd
	v_cndmask_b32_e32 v37, 0x7fffffff, v166, vcc_lo
	s_delay_alu instid0(VALU_DEP_1) | instskip(NEXT) | instid1(VALU_DEP_1)
	v_lshrrev_b32_e32 v37, s49, v37
	v_and_b32_e32 v171, s48, v37
	s_delay_alu instid0(VALU_DEP_1)
	v_and_b32_e32 v37, 1, v171
	v_lshlrev_b32_e32 v172, 30, v171
	v_lshlrev_b32_e32 v173, 29, v171
	;; [unrolled: 1-line block ×4, first 2 shown]
	v_add_co_u32 v37, s15, v37, -1
	s_wait_alu 0xf1ff
	v_cndmask_b32_e64 v175, 0, 1, s15
	v_not_b32_e32 v179, v172
	v_cmp_gt_i32_e64 s15, 0, v172
	v_not_b32_e32 v172, v173
	v_lshlrev_b32_e32 v177, 26, v171
	v_cmp_ne_u32_e32 vcc_lo, 0, v175
	v_ashrrev_i32_e32 v179, 31, v179
	v_lshlrev_b32_e32 v178, 25, v171
	v_ashrrev_i32_e32 v172, 31, v172
	v_lshlrev_b32_e32 v175, 24, v171
	s_wait_alu 0xfffd
	v_xor_b32_e32 v37, vcc_lo, v37
	v_cmp_gt_i32_e32 vcc_lo, 0, v173
	v_not_b32_e32 v173, v174
	s_wait_alu 0xf1ff
	v_xor_b32_e32 v179, s15, v179
	v_cmp_gt_i32_e64 s15, 0, v174
	v_and_b32_e32 v37, exec_lo, v37
	v_not_b32_e32 v174, v176
	v_ashrrev_i32_e32 v173, 31, v173
	s_wait_alu 0xfffd
	v_xor_b32_e32 v172, vcc_lo, v172
	v_cmp_gt_i32_e32 vcc_lo, 0, v176
	v_and_b32_e32 v37, v37, v179
	v_not_b32_e32 v176, v177
	v_ashrrev_i32_e32 v174, 31, v174
	s_wait_alu 0xf1ff
	v_xor_b32_e32 v173, s15, v173
	v_cmp_gt_i32_e64 s15, 0, v177
	v_and_b32_e32 v37, v37, v172
	v_not_b32_e32 v172, v178
	v_ashrrev_i32_e32 v176, 31, v176
	s_wait_alu 0xfffd
	v_xor_b32_e32 v174, vcc_lo, v174
	v_cmp_gt_i32_e32 vcc_lo, 0, v178
	v_and_b32_e32 v37, v37, v173
	v_not_b32_e32 v173, v175
	v_ashrrev_i32_e32 v172, 31, v172
	s_wait_alu 0xf1ff
	v_xor_b32_e32 v176, s15, v176
	v_cmp_gt_i32_e64 s15, 0, v175
	v_and_b32_e32 v37, v37, v174
	v_ashrrev_i32_e32 v173, 31, v173
	s_wait_alu 0xfffd
	v_xor_b32_e32 v172, vcc_lo, v172
	v_mad_u32_u24 v174, v171, 36, v118
	v_mul_u32_u24_e32 v171, 36, v171
	v_and_b32_e32 v37, v37, v176
	s_wait_alu 0xf1ff
	v_xor_b32_e32 v173, s15, v173
	s_delay_alu instid0(VALU_DEP_2) | instskip(SKIP_3) | instid1(VALU_DEP_1)
	v_and_b32_e32 v37, v37, v172
	ds_load_b32 v172, v174 offset:1056
	v_add_nc_u32_e32 v174, v118, v171
	; wave barrier
	v_and_b32_e32 v37, v37, v173
	v_mbcnt_lo_u32_b32 v173, v37, 0
	v_cmp_ne_u32_e64 s15, 0, v37
	s_delay_alu instid0(VALU_DEP_2)
	v_cmp_eq_u32_e32 vcc_lo, 0, v173
	s_and_b32 s16, s15, vcc_lo
	s_wait_alu 0xfffe
	s_and_saveexec_b32 s15, s16
	s_cbranch_execz .LBB1331_736
; %bb.735:                              ;   in Loop: Header=BB1331_682 Depth=2
	s_wait_dscnt 0x0
	v_bcnt_u32_b32 v37, v37, v172
	ds_store_b32 v174, v37 offset:1056
.LBB1331_736:                           ;   in Loop: Header=BB1331_682 Depth=2
	s_wait_alu 0xfffe
	s_or_b32 exec_lo, exec_lo, s15
	v_cmp_gt_i32_e32 vcc_lo, 0, v43
	; wave barrier
	s_wait_alu 0xfffd
	v_cndmask_b32_e64 v37, 0x7fffffff, 0, vcc_lo
	s_delay_alu instid0(VALU_DEP_1) | instskip(NEXT) | instid1(VALU_DEP_1)
	v_xor_b32_e32 v171, v37, v43
	v_cmp_ne_u32_e32 vcc_lo, 0x80000000, v171
	s_wait_alu 0xfffd
	v_cndmask_b32_e32 v37, 0x7fffffff, v171, vcc_lo
	s_delay_alu instid0(VALU_DEP_1) | instskip(NEXT) | instid1(VALU_DEP_1)
	v_lshrrev_b32_e32 v37, s49, v37
	v_and_b32_e32 v43, s48, v37
	s_delay_alu instid0(VALU_DEP_1)
	v_and_b32_e32 v37, 1, v43
	v_lshlrev_b32_e32 v175, 30, v43
	v_lshlrev_b32_e32 v176, 29, v43
	;; [unrolled: 1-line block ×4, first 2 shown]
	v_add_co_u32 v37, s15, v37, -1
	s_wait_alu 0xf1ff
	v_cndmask_b32_e64 v178, 0, 1, s15
	v_not_b32_e32 v182, v175
	v_cmp_gt_i32_e64 s15, 0, v175
	v_not_b32_e32 v175, v176
	v_lshlrev_b32_e32 v180, 26, v43
	v_cmp_ne_u32_e32 vcc_lo, 0, v178
	v_ashrrev_i32_e32 v182, 31, v182
	v_lshlrev_b32_e32 v181, 25, v43
	v_ashrrev_i32_e32 v175, 31, v175
	v_lshlrev_b32_e32 v178, 24, v43
	s_wait_alu 0xfffd
	v_xor_b32_e32 v37, vcc_lo, v37
	v_cmp_gt_i32_e32 vcc_lo, 0, v176
	v_not_b32_e32 v176, v177
	s_wait_alu 0xf1ff
	v_xor_b32_e32 v182, s15, v182
	v_cmp_gt_i32_e64 s15, 0, v177
	v_and_b32_e32 v37, exec_lo, v37
	v_not_b32_e32 v177, v179
	v_ashrrev_i32_e32 v176, 31, v176
	s_wait_alu 0xfffd
	v_xor_b32_e32 v175, vcc_lo, v175
	v_cmp_gt_i32_e32 vcc_lo, 0, v179
	v_and_b32_e32 v37, v37, v182
	v_not_b32_e32 v179, v180
	v_ashrrev_i32_e32 v177, 31, v177
	s_wait_alu 0xf1ff
	v_xor_b32_e32 v176, s15, v176
	v_cmp_gt_i32_e64 s15, 0, v180
	v_and_b32_e32 v37, v37, v175
	v_not_b32_e32 v175, v181
	v_ashrrev_i32_e32 v179, 31, v179
	s_wait_alu 0xfffd
	v_xor_b32_e32 v177, vcc_lo, v177
	v_cmp_gt_i32_e32 vcc_lo, 0, v181
	v_and_b32_e32 v37, v37, v176
	v_not_b32_e32 v176, v178
	v_ashrrev_i32_e32 v175, 31, v175
	s_wait_alu 0xf1ff
	v_xor_b32_e32 v179, s15, v179
	v_cmp_gt_i32_e64 s15, 0, v178
	v_and_b32_e32 v37, v37, v177
	v_ashrrev_i32_e32 v176, 31, v176
	s_wait_alu 0xfffd
	v_xor_b32_e32 v175, vcc_lo, v175
	v_mad_u32_u24 v177, v43, 36, v118
	v_mul_u32_u24_e32 v43, 36, v43
	v_and_b32_e32 v37, v37, v179
	s_wait_alu 0xf1ff
	v_xor_b32_e32 v178, s15, v176
	ds_load_b32 v176, v177 offset:1056
	v_and_b32_e32 v37, v37, v175
	; wave barrier
	s_delay_alu instid0(VALU_DEP_1) | instskip(SKIP_1) | instid1(VALU_DEP_2)
	v_and_b32_e32 v37, v37, v178
	v_add_nc_u32_e32 v178, v118, v43
	v_mbcnt_lo_u32_b32 v177, v37, 0
	v_cmp_ne_u32_e64 s15, 0, v37
	s_delay_alu instid0(VALU_DEP_2)
	v_cmp_eq_u32_e32 vcc_lo, 0, v177
	s_and_b32 s16, s15, vcc_lo
	s_wait_alu 0xfffe
	s_and_saveexec_b32 s15, s16
	s_cbranch_execz .LBB1331_738
; %bb.737:                              ;   in Loop: Header=BB1331_682 Depth=2
	s_wait_dscnt 0x0
	v_bcnt_u32_b32 v37, v37, v176
	ds_store_b32 v178, v37 offset:1056
.LBB1331_738:                           ;   in Loop: Header=BB1331_682 Depth=2
	s_wait_alu 0xfffe
	s_or_b32 exec_lo, exec_lo, s15
	v_cmp_gt_i32_e32 vcc_lo, 0, v42
	; wave barrier
	s_wait_alu 0xfffd
	v_cndmask_b32_e64 v37, 0x7fffffff, 0, vcc_lo
	s_delay_alu instid0(VALU_DEP_1) | instskip(NEXT) | instid1(VALU_DEP_1)
	v_xor_b32_e32 v175, v37, v42
	v_cmp_ne_u32_e32 vcc_lo, 0x80000000, v175
	s_wait_alu 0xfffd
	v_cndmask_b32_e32 v37, 0x7fffffff, v175, vcc_lo
	s_delay_alu instid0(VALU_DEP_1) | instskip(NEXT) | instid1(VALU_DEP_1)
	v_lshrrev_b32_e32 v37, s49, v37
	v_and_b32_e32 v42, s48, v37
	s_delay_alu instid0(VALU_DEP_1)
	v_and_b32_e32 v37, 1, v42
	v_lshlrev_b32_e32 v43, 30, v42
	v_lshlrev_b32_e32 v179, 29, v42
	;; [unrolled: 1-line block ×4, first 2 shown]
	v_add_co_u32 v37, s15, v37, -1
	s_wait_alu 0xf1ff
	v_cndmask_b32_e64 v181, 0, 1, s15
	v_not_b32_e32 v185, v43
	v_cmp_gt_i32_e64 s15, 0, v43
	v_not_b32_e32 v43, v179
	v_lshlrev_b32_e32 v183, 26, v42
	v_cmp_ne_u32_e32 vcc_lo, 0, v181
	v_ashrrev_i32_e32 v185, 31, v185
	v_lshlrev_b32_e32 v184, 25, v42
	v_ashrrev_i32_e32 v43, 31, v43
	v_lshlrev_b32_e32 v181, 24, v42
	s_wait_alu 0xfffd
	v_xor_b32_e32 v37, vcc_lo, v37
	v_cmp_gt_i32_e32 vcc_lo, 0, v179
	v_not_b32_e32 v179, v180
	s_wait_alu 0xf1ff
	v_xor_b32_e32 v185, s15, v185
	v_cmp_gt_i32_e64 s15, 0, v180
	v_and_b32_e32 v37, exec_lo, v37
	v_not_b32_e32 v180, v182
	v_ashrrev_i32_e32 v179, 31, v179
	s_wait_alu 0xfffd
	v_xor_b32_e32 v43, vcc_lo, v43
	v_cmp_gt_i32_e32 vcc_lo, 0, v182
	v_and_b32_e32 v37, v37, v185
	v_not_b32_e32 v182, v183
	v_ashrrev_i32_e32 v180, 31, v180
	s_wait_alu 0xf1ff
	v_xor_b32_e32 v179, s15, v179
	v_cmp_gt_i32_e64 s15, 0, v183
	v_and_b32_e32 v37, v37, v43
	v_not_b32_e32 v43, v184
	v_ashrrev_i32_e32 v182, 31, v182
	s_wait_alu 0xfffd
	v_xor_b32_e32 v180, vcc_lo, v180
	v_cmp_gt_i32_e32 vcc_lo, 0, v184
	v_and_b32_e32 v37, v37, v179
	v_not_b32_e32 v179, v181
	v_ashrrev_i32_e32 v43, 31, v43
	s_wait_alu 0xf1ff
	v_xor_b32_e32 v182, s15, v182
	v_cmp_gt_i32_e64 s15, 0, v181
	v_and_b32_e32 v37, v37, v180
	v_ashrrev_i32_e32 v179, 31, v179
	s_wait_alu 0xfffd
	v_xor_b32_e32 v43, vcc_lo, v43
	v_mad_u32_u24 v180, v42, 36, v118
	v_mul_u32_u24_e32 v42, 36, v42
	v_and_b32_e32 v37, v37, v182
	s_wait_alu 0xf1ff
	v_xor_b32_e32 v179, s15, v179
	ds_load_b32 v180, v180 offset:1056
	v_add_nc_u32_e32 v182, v118, v42
	v_and_b32_e32 v37, v37, v43
	; wave barrier
	s_delay_alu instid0(VALU_DEP_1) | instskip(NEXT) | instid1(VALU_DEP_1)
	v_and_b32_e32 v37, v37, v179
	v_mbcnt_lo_u32_b32 v181, v37, 0
	v_cmp_ne_u32_e64 s15, 0, v37
	s_delay_alu instid0(VALU_DEP_2)
	v_cmp_eq_u32_e32 vcc_lo, 0, v181
	s_and_b32 s16, s15, vcc_lo
	s_wait_alu 0xfffe
	s_and_saveexec_b32 s15, s16
	s_cbranch_execz .LBB1331_740
; %bb.739:                              ;   in Loop: Header=BB1331_682 Depth=2
	s_wait_dscnt 0x0
	v_bcnt_u32_b32 v37, v37, v180
	ds_store_b32 v182, v37 offset:1056
.LBB1331_740:                           ;   in Loop: Header=BB1331_682 Depth=2
	s_wait_alu 0xfffe
	s_or_b32 exec_lo, exec_lo, s15
	v_cmp_gt_i32_e32 vcc_lo, 0, v41
	; wave barrier
	s_wait_alu 0xfffd
	v_cndmask_b32_e64 v37, 0x7fffffff, 0, vcc_lo
	s_delay_alu instid0(VALU_DEP_1) | instskip(NEXT) | instid1(VALU_DEP_1)
	v_xor_b32_e32 v179, v37, v41
	v_cmp_ne_u32_e32 vcc_lo, 0x80000000, v179
	s_wait_alu 0xfffd
	v_cndmask_b32_e32 v37, 0x7fffffff, v179, vcc_lo
	s_delay_alu instid0(VALU_DEP_1) | instskip(NEXT) | instid1(VALU_DEP_1)
	v_lshrrev_b32_e32 v37, s49, v37
	v_and_b32_e32 v41, s48, v37
	s_delay_alu instid0(VALU_DEP_1)
	v_and_b32_e32 v37, 1, v41
	v_lshlrev_b32_e32 v42, 30, v41
	v_lshlrev_b32_e32 v43, 29, v41
	;; [unrolled: 1-line block ×4, first 2 shown]
	v_add_co_u32 v37, s15, v37, -1
	s_wait_alu 0xf1ff
	v_cndmask_b32_e64 v184, 0, 1, s15
	v_not_b32_e32 v188, v42
	v_cmp_gt_i32_e64 s15, 0, v42
	v_not_b32_e32 v42, v43
	v_lshlrev_b32_e32 v186, 26, v41
	v_cmp_ne_u32_e32 vcc_lo, 0, v184
	v_ashrrev_i32_e32 v188, 31, v188
	v_lshlrev_b32_e32 v187, 25, v41
	v_ashrrev_i32_e32 v42, 31, v42
	v_lshlrev_b32_e32 v184, 24, v41
	s_wait_alu 0xfffd
	v_xor_b32_e32 v37, vcc_lo, v37
	v_cmp_gt_i32_e32 vcc_lo, 0, v43
	v_not_b32_e32 v43, v183
	s_wait_alu 0xf1ff
	v_xor_b32_e32 v188, s15, v188
	v_cmp_gt_i32_e64 s15, 0, v183
	v_and_b32_e32 v37, exec_lo, v37
	v_not_b32_e32 v183, v185
	v_ashrrev_i32_e32 v43, 31, v43
	s_wait_alu 0xfffd
	v_xor_b32_e32 v42, vcc_lo, v42
	v_cmp_gt_i32_e32 vcc_lo, 0, v185
	v_and_b32_e32 v37, v37, v188
	v_not_b32_e32 v185, v186
	v_ashrrev_i32_e32 v183, 31, v183
	s_wait_alu 0xf1ff
	v_xor_b32_e32 v43, s15, v43
	v_cmp_gt_i32_e64 s15, 0, v186
	v_and_b32_e32 v37, v37, v42
	v_not_b32_e32 v42, v187
	v_ashrrev_i32_e32 v185, 31, v185
	s_wait_alu 0xfffd
	v_xor_b32_e32 v183, vcc_lo, v183
	v_cmp_gt_i32_e32 vcc_lo, 0, v187
	v_and_b32_e32 v37, v37, v43
	v_not_b32_e32 v43, v184
	v_ashrrev_i32_e32 v42, 31, v42
	s_wait_alu 0xf1ff
	v_xor_b32_e32 v185, s15, v185
	v_cmp_gt_i32_e64 s15, 0, v184
	v_and_b32_e32 v37, v37, v183
	v_ashrrev_i32_e32 v43, 31, v43
	s_wait_alu 0xfffd
	v_xor_b32_e32 v42, vcc_lo, v42
	v_mad_u32_u24 v183, v41, 36, v118
	v_mul_u32_u24_e32 v41, 36, v41
	v_and_b32_e32 v37, v37, v185
	s_wait_alu 0xf1ff
	v_xor_b32_e32 v43, s15, v43
	ds_load_b32 v184, v183 offset:1056
	v_add_nc_u32_e32 v186, v118, v41
	v_and_b32_e32 v37, v37, v42
	; wave barrier
	s_delay_alu instid0(VALU_DEP_1) | instskip(NEXT) | instid1(VALU_DEP_1)
	v_and_b32_e32 v37, v37, v43
	v_mbcnt_lo_u32_b32 v185, v37, 0
	v_cmp_ne_u32_e64 s15, 0, v37
	s_delay_alu instid0(VALU_DEP_2)
	v_cmp_eq_u32_e32 vcc_lo, 0, v185
	s_and_b32 s16, s15, vcc_lo
	s_wait_alu 0xfffe
	s_and_saveexec_b32 s15, s16
	s_cbranch_execz .LBB1331_742
; %bb.741:                              ;   in Loop: Header=BB1331_682 Depth=2
	s_wait_dscnt 0x0
	v_bcnt_u32_b32 v37, v37, v184
	ds_store_b32 v186, v37 offset:1056
.LBB1331_742:                           ;   in Loop: Header=BB1331_682 Depth=2
	s_wait_alu 0xfffe
	s_or_b32 exec_lo, exec_lo, s15
	v_cmp_gt_i32_e32 vcc_lo, 0, v40
	; wave barrier
	s_wait_alu 0xfffd
	v_cndmask_b32_e64 v37, 0x7fffffff, 0, vcc_lo
	s_delay_alu instid0(VALU_DEP_1) | instskip(NEXT) | instid1(VALU_DEP_1)
	v_xor_b32_e32 v183, v37, v40
	v_cmp_ne_u32_e32 vcc_lo, 0x80000000, v183
	s_wait_alu 0xfffd
	v_cndmask_b32_e32 v37, 0x7fffffff, v183, vcc_lo
	s_delay_alu instid0(VALU_DEP_1) | instskip(NEXT) | instid1(VALU_DEP_1)
	v_lshrrev_b32_e32 v37, s49, v37
	v_and_b32_e32 v40, s48, v37
	s_delay_alu instid0(VALU_DEP_1)
	v_and_b32_e32 v37, 1, v40
	v_lshlrev_b32_e32 v41, 30, v40
	v_lshlrev_b32_e32 v42, 29, v40
	;; [unrolled: 1-line block ×4, first 2 shown]
	v_add_co_u32 v37, s15, v37, -1
	s_wait_alu 0xf1ff
	v_cndmask_b32_e64 v187, 0, 1, s15
	v_not_b32_e32 v191, v41
	v_cmp_gt_i32_e64 s15, 0, v41
	v_not_b32_e32 v41, v42
	v_lshlrev_b32_e32 v189, 26, v40
	v_cmp_ne_u32_e32 vcc_lo, 0, v187
	v_ashrrev_i32_e32 v191, 31, v191
	v_lshlrev_b32_e32 v190, 25, v40
	v_ashrrev_i32_e32 v41, 31, v41
	v_lshlrev_b32_e32 v187, 24, v40
	s_wait_alu 0xfffd
	v_xor_b32_e32 v37, vcc_lo, v37
	v_cmp_gt_i32_e32 vcc_lo, 0, v42
	v_not_b32_e32 v42, v43
	s_wait_alu 0xf1ff
	v_xor_b32_e32 v191, s15, v191
	v_cmp_gt_i32_e64 s15, 0, v43
	v_and_b32_e32 v37, exec_lo, v37
	v_not_b32_e32 v43, v188
	v_ashrrev_i32_e32 v42, 31, v42
	s_wait_alu 0xfffd
	v_xor_b32_e32 v41, vcc_lo, v41
	v_cmp_gt_i32_e32 vcc_lo, 0, v188
	v_and_b32_e32 v37, v37, v191
	v_not_b32_e32 v188, v189
	v_ashrrev_i32_e32 v43, 31, v43
	s_wait_alu 0xf1ff
	v_xor_b32_e32 v42, s15, v42
	v_cmp_gt_i32_e64 s15, 0, v189
	v_and_b32_e32 v37, v37, v41
	v_not_b32_e32 v41, v190
	v_ashrrev_i32_e32 v188, 31, v188
	s_wait_alu 0xfffd
	v_xor_b32_e32 v43, vcc_lo, v43
	v_cmp_gt_i32_e32 vcc_lo, 0, v190
	v_and_b32_e32 v37, v37, v42
	v_not_b32_e32 v42, v187
	v_ashrrev_i32_e32 v41, 31, v41
	s_wait_alu 0xf1ff
	v_xor_b32_e32 v188, s15, v188
	v_cmp_gt_i32_e64 s15, 0, v187
	v_and_b32_e32 v37, v37, v43
	v_ashrrev_i32_e32 v42, 31, v42
	s_wait_alu 0xfffd
	v_xor_b32_e32 v41, vcc_lo, v41
	v_mad_u32_u24 v43, v40, 36, v118
	v_mul_u32_u24_e32 v40, 36, v40
	v_and_b32_e32 v37, v37, v188
	s_wait_alu 0xf1ff
	v_xor_b32_e32 v42, s15, v42
	ds_load_b32 v188, v43 offset:1056
	v_add_nc_u32_e32 v190, v118, v40
	v_and_b32_e32 v37, v37, v41
	; wave barrier
	s_delay_alu instid0(VALU_DEP_1) | instskip(NEXT) | instid1(VALU_DEP_1)
	v_and_b32_e32 v37, v37, v42
	v_mbcnt_lo_u32_b32 v189, v37, 0
	v_cmp_ne_u32_e64 s15, 0, v37
	s_delay_alu instid0(VALU_DEP_2)
	v_cmp_eq_u32_e32 vcc_lo, 0, v189
	s_and_b32 s16, s15, vcc_lo
	s_wait_alu 0xfffe
	s_and_saveexec_b32 s15, s16
	s_cbranch_execz .LBB1331_744
; %bb.743:                              ;   in Loop: Header=BB1331_682 Depth=2
	s_wait_dscnt 0x0
	v_bcnt_u32_b32 v37, v37, v188
	ds_store_b32 v190, v37 offset:1056
.LBB1331_744:                           ;   in Loop: Header=BB1331_682 Depth=2
	s_wait_alu 0xfffe
	s_or_b32 exec_lo, exec_lo, s15
	v_cmp_gt_i32_e32 vcc_lo, 0, v39
	; wave barrier
	s_wait_alu 0xfffd
	v_cndmask_b32_e64 v37, 0x7fffffff, 0, vcc_lo
	s_delay_alu instid0(VALU_DEP_1) | instskip(NEXT) | instid1(VALU_DEP_1)
	v_xor_b32_e32 v187, v37, v39
	v_cmp_ne_u32_e32 vcc_lo, 0x80000000, v187
	s_wait_alu 0xfffd
	v_cndmask_b32_e32 v37, 0x7fffffff, v187, vcc_lo
	s_delay_alu instid0(VALU_DEP_1) | instskip(NEXT) | instid1(VALU_DEP_1)
	v_lshrrev_b32_e32 v37, s49, v37
	v_and_b32_e32 v39, s48, v37
	s_delay_alu instid0(VALU_DEP_1)
	v_and_b32_e32 v37, 1, v39
	v_lshlrev_b32_e32 v40, 30, v39
	v_lshlrev_b32_e32 v41, 29, v39
	;; [unrolled: 1-line block ×4, first 2 shown]
	v_add_co_u32 v37, s15, v37, -1
	s_wait_alu 0xf1ff
	v_cndmask_b32_e64 v43, 0, 1, s15
	v_not_b32_e32 v194, v40
	v_cmp_gt_i32_e64 s15, 0, v40
	v_not_b32_e32 v40, v41
	v_lshlrev_b32_e32 v192, 26, v39
	v_cmp_ne_u32_e32 vcc_lo, 0, v43
	v_ashrrev_i32_e32 v194, 31, v194
	v_lshlrev_b32_e32 v193, 25, v39
	v_ashrrev_i32_e32 v40, 31, v40
	v_lshlrev_b32_e32 v43, 24, v39
	s_wait_alu 0xfffd
	v_xor_b32_e32 v37, vcc_lo, v37
	v_cmp_gt_i32_e32 vcc_lo, 0, v41
	v_not_b32_e32 v41, v42
	s_wait_alu 0xf1ff
	v_xor_b32_e32 v194, s15, v194
	v_cmp_gt_i32_e64 s15, 0, v42
	v_and_b32_e32 v37, exec_lo, v37
	v_not_b32_e32 v42, v191
	v_ashrrev_i32_e32 v41, 31, v41
	s_wait_alu 0xfffd
	v_xor_b32_e32 v40, vcc_lo, v40
	v_cmp_gt_i32_e32 vcc_lo, 0, v191
	v_and_b32_e32 v37, v37, v194
	v_not_b32_e32 v191, v192
	v_ashrrev_i32_e32 v42, 31, v42
	s_wait_alu 0xf1ff
	v_xor_b32_e32 v41, s15, v41
	v_cmp_gt_i32_e64 s15, 0, v192
	v_and_b32_e32 v37, v37, v40
	v_not_b32_e32 v40, v193
	v_ashrrev_i32_e32 v191, 31, v191
	s_wait_alu 0xfffd
	v_xor_b32_e32 v42, vcc_lo, v42
	v_cmp_gt_i32_e32 vcc_lo, 0, v193
	v_and_b32_e32 v37, v37, v41
	v_not_b32_e32 v41, v43
	v_ashrrev_i32_e32 v40, 31, v40
	s_wait_alu 0xf1ff
	v_xor_b32_e32 v191, s15, v191
	v_cmp_gt_i32_e64 s15, 0, v43
	v_and_b32_e32 v37, v37, v42
	v_ashrrev_i32_e32 v41, 31, v41
	s_wait_alu 0xfffd
	v_xor_b32_e32 v40, vcc_lo, v40
	v_mad_u32_u24 v42, v39, 36, v118
	v_mul_u32_u24_e32 v39, 36, v39
	v_and_b32_e32 v37, v37, v191
	s_wait_alu 0xf1ff
	v_xor_b32_e32 v41, s15, v41
	ds_load_b32 v192, v42 offset:1056
	v_add_nc_u32_e32 v194, v118, v39
	v_and_b32_e32 v37, v37, v40
	; wave barrier
	s_delay_alu instid0(VALU_DEP_1) | instskip(NEXT) | instid1(VALU_DEP_1)
	v_and_b32_e32 v37, v37, v41
	v_mbcnt_lo_u32_b32 v193, v37, 0
	v_cmp_ne_u32_e64 s15, 0, v37
	s_delay_alu instid0(VALU_DEP_2)
	v_cmp_eq_u32_e32 vcc_lo, 0, v193
	s_and_b32 s16, s15, vcc_lo
	s_wait_alu 0xfffe
	s_and_saveexec_b32 s15, s16
	s_cbranch_execz .LBB1331_746
; %bb.745:                              ;   in Loop: Header=BB1331_682 Depth=2
	s_wait_dscnt 0x0
	v_bcnt_u32_b32 v37, v37, v192
	ds_store_b32 v194, v37 offset:1056
.LBB1331_746:                           ;   in Loop: Header=BB1331_682 Depth=2
	s_wait_alu 0xfffe
	s_or_b32 exec_lo, exec_lo, s15
	v_cmp_gt_i32_e32 vcc_lo, 0, v38
	; wave barrier
	s_wait_alu 0xfffd
	v_cndmask_b32_e64 v37, 0x7fffffff, 0, vcc_lo
	s_delay_alu instid0(VALU_DEP_1) | instskip(NEXT) | instid1(VALU_DEP_1)
	v_xor_b32_e32 v191, v37, v38
	v_cmp_ne_u32_e32 vcc_lo, 0x80000000, v191
	s_wait_alu 0xfffd
	v_cndmask_b32_e32 v37, 0x7fffffff, v191, vcc_lo
	s_delay_alu instid0(VALU_DEP_1) | instskip(NEXT) | instid1(VALU_DEP_1)
	v_lshrrev_b32_e32 v37, s49, v37
	v_and_b32_e32 v38, s48, v37
	s_delay_alu instid0(VALU_DEP_1)
	v_and_b32_e32 v37, 1, v38
	v_lshlrev_b32_e32 v39, 30, v38
	v_lshlrev_b32_e32 v40, 29, v38
	;; [unrolled: 1-line block ×4, first 2 shown]
	v_add_co_u32 v37, s15, v37, -1
	s_wait_alu 0xf1ff
	v_cndmask_b32_e64 v42, 0, 1, s15
	v_not_b32_e32 v197, v39
	v_cmp_gt_i32_e64 s15, 0, v39
	v_not_b32_e32 v39, v40
	v_lshlrev_b32_e32 v195, 26, v38
	v_cmp_ne_u32_e32 vcc_lo, 0, v42
	v_ashrrev_i32_e32 v197, 31, v197
	v_lshlrev_b32_e32 v196, 25, v38
	v_ashrrev_i32_e32 v39, 31, v39
	v_lshlrev_b32_e32 v42, 24, v38
	s_wait_alu 0xfffd
	v_xor_b32_e32 v37, vcc_lo, v37
	v_cmp_gt_i32_e32 vcc_lo, 0, v40
	v_not_b32_e32 v40, v41
	s_wait_alu 0xf1ff
	v_xor_b32_e32 v197, s15, v197
	v_cmp_gt_i32_e64 s15, 0, v41
	v_and_b32_e32 v37, exec_lo, v37
	v_not_b32_e32 v41, v43
	v_ashrrev_i32_e32 v40, 31, v40
	s_wait_alu 0xfffd
	v_xor_b32_e32 v39, vcc_lo, v39
	v_cmp_gt_i32_e32 vcc_lo, 0, v43
	v_and_b32_e32 v37, v37, v197
	v_not_b32_e32 v43, v195
	v_ashrrev_i32_e32 v41, 31, v41
	s_wait_alu 0xf1ff
	v_xor_b32_e32 v40, s15, v40
	v_cmp_gt_i32_e64 s15, 0, v195
	v_and_b32_e32 v37, v37, v39
	v_not_b32_e32 v39, v196
	v_ashrrev_i32_e32 v43, 31, v43
	s_wait_alu 0xfffd
	v_xor_b32_e32 v41, vcc_lo, v41
	v_cmp_gt_i32_e32 vcc_lo, 0, v196
	v_and_b32_e32 v37, v37, v40
	v_not_b32_e32 v40, v42
	v_ashrrev_i32_e32 v39, 31, v39
	s_wait_alu 0xf1ff
	v_xor_b32_e32 v43, s15, v43
	v_cmp_gt_i32_e64 s15, 0, v42
	v_and_b32_e32 v37, v37, v41
	v_ashrrev_i32_e32 v40, 31, v40
	s_wait_alu 0xfffd
	v_xor_b32_e32 v39, vcc_lo, v39
	v_mad_u32_u24 v41, v38, 36, v118
	v_mul_u32_u24_e32 v38, 36, v38
	v_and_b32_e32 v37, v37, v43
	s_wait_alu 0xf1ff
	v_xor_b32_e32 v40, s15, v40
	ds_load_b32 v196, v41 offset:1056
	v_add_nc_u32_e32 v198, v118, v38
	v_and_b32_e32 v37, v37, v39
	; wave barrier
	s_delay_alu instid0(VALU_DEP_1) | instskip(NEXT) | instid1(VALU_DEP_1)
	v_and_b32_e32 v37, v37, v40
	v_mbcnt_lo_u32_b32 v197, v37, 0
	v_cmp_ne_u32_e64 s15, 0, v37
	s_delay_alu instid0(VALU_DEP_2)
	v_cmp_eq_u32_e32 vcc_lo, 0, v197
	s_and_b32 s16, s15, vcc_lo
	s_wait_alu 0xfffe
	s_and_saveexec_b32 s15, s16
	s_cbranch_execz .LBB1331_748
; %bb.747:                              ;   in Loop: Header=BB1331_682 Depth=2
	s_wait_dscnt 0x0
	v_bcnt_u32_b32 v37, v37, v196
	ds_store_b32 v198, v37 offset:1056
.LBB1331_748:                           ;   in Loop: Header=BB1331_682 Depth=2
	s_wait_alu 0xfffe
	s_or_b32 exec_lo, exec_lo, s15
	v_cmp_gt_i32_e32 vcc_lo, 0, v36
	; wave barrier
	s_wait_alu 0xfffd
	v_cndmask_b32_e64 v37, 0x7fffffff, 0, vcc_lo
	s_delay_alu instid0(VALU_DEP_1) | instskip(NEXT) | instid1(VALU_DEP_1)
	v_xor_b32_e32 v195, v37, v36
	v_cmp_ne_u32_e32 vcc_lo, 0x80000000, v195
	s_wait_alu 0xfffd
	v_cndmask_b32_e32 v36, 0x7fffffff, v195, vcc_lo
	s_delay_alu instid0(VALU_DEP_1) | instskip(NEXT) | instid1(VALU_DEP_1)
	v_lshrrev_b32_e32 v36, s49, v36
	v_and_b32_e32 v37, s48, v36
	s_delay_alu instid0(VALU_DEP_1)
	v_and_b32_e32 v36, 1, v37
	v_lshlrev_b32_e32 v38, 30, v37
	v_lshlrev_b32_e32 v39, 29, v37
	;; [unrolled: 1-line block ×4, first 2 shown]
	v_add_co_u32 v36, s15, v36, -1
	s_wait_alu 0xf1ff
	v_cndmask_b32_e64 v41, 0, 1, s15
	v_not_b32_e32 v200, v38
	v_cmp_gt_i32_e64 s15, 0, v38
	v_not_b32_e32 v38, v39
	v_lshlrev_b32_e32 v43, 26, v37
	v_cmp_ne_u32_e32 vcc_lo, 0, v41
	v_ashrrev_i32_e32 v200, 31, v200
	v_lshlrev_b32_e32 v199, 25, v37
	v_ashrrev_i32_e32 v38, 31, v38
	v_lshlrev_b32_e32 v41, 24, v37
	s_wait_alu 0xfffd
	v_xor_b32_e32 v36, vcc_lo, v36
	v_cmp_gt_i32_e32 vcc_lo, 0, v39
	v_not_b32_e32 v39, v40
	s_wait_alu 0xf1ff
	v_xor_b32_e32 v200, s15, v200
	v_cmp_gt_i32_e64 s15, 0, v40
	v_and_b32_e32 v36, exec_lo, v36
	v_not_b32_e32 v40, v42
	v_ashrrev_i32_e32 v39, 31, v39
	s_wait_alu 0xfffd
	v_xor_b32_e32 v38, vcc_lo, v38
	v_cmp_gt_i32_e32 vcc_lo, 0, v42
	v_and_b32_e32 v36, v36, v200
	v_not_b32_e32 v42, v43
	v_ashrrev_i32_e32 v40, 31, v40
	s_wait_alu 0xf1ff
	v_xor_b32_e32 v39, s15, v39
	v_cmp_gt_i32_e64 s15, 0, v43
	v_and_b32_e32 v36, v36, v38
	v_not_b32_e32 v38, v199
	v_ashrrev_i32_e32 v42, 31, v42
	s_wait_alu 0xfffd
	v_xor_b32_e32 v40, vcc_lo, v40
	v_cmp_gt_i32_e32 vcc_lo, 0, v199
	v_and_b32_e32 v36, v36, v39
	v_not_b32_e32 v39, v41
	v_ashrrev_i32_e32 v38, 31, v38
	s_wait_alu 0xf1ff
	v_xor_b32_e32 v42, s15, v42
	v_cmp_gt_i32_e64 s15, 0, v41
	v_and_b32_e32 v36, v36, v40
	v_ashrrev_i32_e32 v39, 31, v39
	s_wait_alu 0xfffd
	v_xor_b32_e32 v38, vcc_lo, v38
	v_mad_u32_u24 v40, v37, 36, v118
	v_mul_u32_u24_e32 v37, 36, v37
	v_and_b32_e32 v36, v36, v42
	s_wait_alu 0xf1ff
	v_xor_b32_e32 v39, s15, v39
	ds_load_b32 v199, v40 offset:1056
	v_add_nc_u32_e32 v201, v118, v37
	v_and_b32_e32 v36, v36, v38
	; wave barrier
	s_delay_alu instid0(VALU_DEP_1) | instskip(NEXT) | instid1(VALU_DEP_1)
	v_and_b32_e32 v36, v36, v39
	v_mbcnt_lo_u32_b32 v200, v36, 0
	v_cmp_ne_u32_e64 s15, 0, v36
	s_delay_alu instid0(VALU_DEP_2)
	v_cmp_eq_u32_e32 vcc_lo, 0, v200
	s_and_b32 s16, s15, vcc_lo
	s_wait_alu 0xfffe
	s_and_saveexec_b32 s15, s16
	s_cbranch_execz .LBB1331_750
; %bb.749:                              ;   in Loop: Header=BB1331_682 Depth=2
	s_wait_dscnt 0x0
	v_bcnt_u32_b32 v36, v36, v199
	ds_store_b32 v201, v36 offset:1056
.LBB1331_750:                           ;   in Loop: Header=BB1331_682 Depth=2
	s_wait_alu 0xfffe
	s_or_b32 exec_lo, exec_lo, s15
	; wave barrier
	s_wait_loadcnt_dscnt 0x0
	s_barrier_signal -1
	s_barrier_wait -1
	global_inv scope:SCOPE_SE
	ds_load_2addr_b32 v[42:43], v139 offset1:1
	ds_load_2addr_b32 v[40:41], v140 offset1:1
	;; [unrolled: 1-line block ×4, first 2 shown]
	ds_load_b32 v202, v67 offset:1088
	s_wait_dscnt 0x3
	v_add3_u32 v203, v43, v42, v40
	s_wait_dscnt 0x2
	s_delay_alu instid0(VALU_DEP_1) | instskip(SKIP_1) | instid1(VALU_DEP_1)
	v_add3_u32 v203, v203, v41, v38
	s_wait_dscnt 0x1
	v_add3_u32 v203, v203, v39, v36
	s_wait_dscnt 0x0
	s_delay_alu instid0(VALU_DEP_1) | instskip(NEXT) | instid1(VALU_DEP_1)
	v_add3_u32 v202, v203, v37, v202
	v_mov_b32_dpp v203, v202 row_shr:1 row_mask:0xf bank_mask:0xf
	s_delay_alu instid0(VALU_DEP_1) | instskip(NEXT) | instid1(VALU_DEP_1)
	v_cndmask_b32_e64 v203, v203, 0, s0
	v_add_nc_u32_e32 v202, v203, v202
	s_delay_alu instid0(VALU_DEP_1) | instskip(NEXT) | instid1(VALU_DEP_1)
	v_mov_b32_dpp v203, v202 row_shr:2 row_mask:0xf bank_mask:0xf
	v_cndmask_b32_e64 v203, 0, v203, s1
	s_delay_alu instid0(VALU_DEP_1) | instskip(NEXT) | instid1(VALU_DEP_1)
	v_add_nc_u32_e32 v202, v202, v203
	v_mov_b32_dpp v203, v202 row_shr:4 row_mask:0xf bank_mask:0xf
	s_delay_alu instid0(VALU_DEP_1) | instskip(NEXT) | instid1(VALU_DEP_1)
	v_cndmask_b32_e64 v203, 0, v203, s9
	v_add_nc_u32_e32 v202, v202, v203
	s_delay_alu instid0(VALU_DEP_1) | instskip(NEXT) | instid1(VALU_DEP_1)
	v_mov_b32_dpp v203, v202 row_shr:8 row_mask:0xf bank_mask:0xf
	v_cndmask_b32_e64 v203, 0, v203, s10
	s_delay_alu instid0(VALU_DEP_1) | instskip(SKIP_3) | instid1(VALU_DEP_1)
	v_add_nc_u32_e32 v202, v202, v203
	ds_swizzle_b32 v203, v202 offset:swizzle(BROADCAST,32,15)
	s_wait_dscnt 0x0
	v_cndmask_b32_e64 v203, v203, 0, s11
	v_add_nc_u32_e32 v202, v202, v203
	s_and_saveexec_b32 s15, s3
; %bb.751:                              ;   in Loop: Header=BB1331_682 Depth=2
	ds_store_b32 v63, v202 offset:1024
; %bb.752:                              ;   in Loop: Header=BB1331_682 Depth=2
	s_wait_alu 0xfffe
	s_or_b32 exec_lo, exec_lo, s15
	s_wait_loadcnt_dscnt 0x0
	s_barrier_signal -1
	s_barrier_wait -1
	global_inv scope:SCOPE_SE
	s_and_saveexec_b32 s15, s4
	s_cbranch_execz .LBB1331_754
; %bb.753:                              ;   in Loop: Header=BB1331_682 Depth=2
	ds_load_b32 v203, v70 offset:1024
	s_wait_dscnt 0x0
	v_mov_b32_dpp v204, v203 row_shr:1 row_mask:0xf bank_mask:0xf
	s_delay_alu instid0(VALU_DEP_1) | instskip(NEXT) | instid1(VALU_DEP_1)
	v_cndmask_b32_e64 v204, v204, 0, s12
	v_add_nc_u32_e32 v203, v204, v203
	s_delay_alu instid0(VALU_DEP_1) | instskip(NEXT) | instid1(VALU_DEP_1)
	v_mov_b32_dpp v204, v203 row_shr:2 row_mask:0xf bank_mask:0xf
	v_cndmask_b32_e64 v204, 0, v204, s13
	s_delay_alu instid0(VALU_DEP_1) | instskip(NEXT) | instid1(VALU_DEP_1)
	v_add_nc_u32_e32 v203, v203, v204
	v_mov_b32_dpp v204, v203 row_shr:4 row_mask:0xf bank_mask:0xf
	s_delay_alu instid0(VALU_DEP_1) | instskip(NEXT) | instid1(VALU_DEP_1)
	v_cndmask_b32_e64 v204, 0, v204, s14
	v_add_nc_u32_e32 v203, v203, v204
	ds_store_b32 v70, v203 offset:1024
.LBB1331_754:                           ;   in Loop: Header=BB1331_682 Depth=2
	s_wait_alu 0xfffe
	s_or_b32 exec_lo, exec_lo, s15
	v_mov_b32_e32 v203, 0
	s_wait_loadcnt_dscnt 0x0
	s_barrier_signal -1
	s_barrier_wait -1
	global_inv scope:SCOPE_SE
	s_and_saveexec_b32 s15, s5
; %bb.755:                              ;   in Loop: Header=BB1331_682 Depth=2
	ds_load_b32 v203, v63 offset:1020
; %bb.756:                              ;   in Loop: Header=BB1331_682 Depth=2
	s_wait_alu 0xfffe
	s_or_b32 exec_lo, exec_lo, s15
	s_wait_dscnt 0x0
	v_add_nc_u32_e32 v202, v203, v202
	ds_bpermute_b32 v202, v113, v202
	s_wait_dscnt 0x0
	v_cndmask_b32_e64 v202, v202, v203, s8
	s_delay_alu instid0(VALU_DEP_1) | instskip(NEXT) | instid1(VALU_DEP_1)
	v_cndmask_b32_e64 v202, v202, 0, s6
	v_add_nc_u32_e32 v42, v202, v42
	s_delay_alu instid0(VALU_DEP_1) | instskip(NEXT) | instid1(VALU_DEP_1)
	v_add_nc_u32_e32 v43, v42, v43
	v_add_nc_u32_e32 v40, v43, v40
	s_delay_alu instid0(VALU_DEP_1) | instskip(NEXT) | instid1(VALU_DEP_1)
	v_add_nc_u32_e32 v41, v40, v41
	;; [unrolled: 3-line block ×3, first 2 shown]
	v_add_nc_u32_e32 v36, v39, v36
	s_delay_alu instid0(VALU_DEP_1)
	v_add_nc_u32_e32 v37, v36, v37
	ds_store_2addr_b32 v138, v39, v36 offset1:1
	ds_store_2addr_b32 v139, v202, v42 offset1:1
	;; [unrolled: 1-line block ×4, first 2 shown]
	ds_store_b32 v67, v37 offset:1088
	s_wait_loadcnt_dscnt 0x0
	s_barrier_signal -1
	s_barrier_wait -1
	global_inv scope:SCOPE_SE
	ds_load_b32 v39, v142 offset:1056
	ds_load_b32 v41, v146 offset:1056
	;; [unrolled: 1-line block ×17, first 2 shown]
	v_mov_b32_e32 v38, 0x1000
	s_and_saveexec_b32 s15, s7
; %bb.757:                              ;   in Loop: Header=BB1331_682 Depth=2
	ds_load_b32 v38, v67 offset:1092
; %bb.758:                              ;   in Loop: Header=BB1331_682 Depth=2
	s_wait_alu 0xfffe
	s_or_b32 exec_lo, exec_lo, s15
	s_wait_loadcnt_dscnt 0x0
	s_barrier_signal -1
	s_barrier_wait -1
	global_inv scope:SCOPE_SE
	s_and_saveexec_b32 s15, s2
	s_cbranch_execz .LBB1331_760
; %bb.759:                              ;   in Loop: Header=BB1331_682 Depth=2
	ds_load_b32 v142, v44
	s_wait_dscnt 0x0
	v_sub_nc_u32_e32 v141, v142, v141
	ds_store_b32 v44, v141
.LBB1331_760:                           ;   in Loop: Header=BB1331_682 Depth=2
	s_wait_alu 0xfffe
	s_or_b32 exec_lo, exec_lo, s15
	v_add_nc_u32_e32 v154, v39, v137
	v_add3_u32 v150, v145, v144, v41
	v_add3_u32 v146, v149, v148, v42
	;; [unrolled: 1-line block ×4, first 2 shown]
	v_lshlrev_b32_e32 v148, 2, v154
	v_add3_u32 v142, v161, v160, v139
	v_add3_u32 v141, v165, v164, v140
	;; [unrolled: 1-line block ×4, first 2 shown]
	ds_store_b32 v148, v2 offset:1024
	v_lshlrev_b32_e32 v2, 2, v150
	v_lshlrev_b32_e32 v36, 2, v146
	v_add3_u32 v139, v173, v172, v167
	v_add3_u32 v42, v193, v192, v37
	v_lshlrev_b32_e32 v37, 2, v145
	v_add3_u32 v138, v177, v176, v170
	v_lshlrev_b32_e32 v148, 2, v144
	;; [unrolled: 2-line block ×3, first 2 shown]
	v_add3_u32 v39, v185, v184, v178
	ds_store_b32 v2, v136 offset:1024
	ds_store_b32 v36, v143 offset:1024
	;; [unrolled: 1-line block ×5, first 2 shown]
	v_lshlrev_b32_e32 v2, 2, v141
	v_lshlrev_b32_e32 v36, 2, v140
	v_lshlrev_b32_e32 v37, 2, v139
	v_add3_u32 v41, v197, v196, v40
	v_lshlrev_b32_e32 v136, 2, v138
	v_add3_u32 v40, v200, v199, v158
	v_lshlrev_b32_e32 v143, 2, v137
	ds_store_b32 v2, v159 offset:1024
	ds_store_b32 v36, v163 offset:1024
	ds_store_b32 v37, v166 offset:1024
	ds_store_b32 v136, v171 offset:1024
	ds_store_b32 v143, v175 offset:1024
	v_lshlrev_b32_e32 v2, 2, v39
	v_cmp_lt_u32_e32 vcc_lo, v1, v135
	v_lshlrev_b32_e32 v36, 2, v43
	v_lshlrev_b32_e32 v37, 2, v42
	;; [unrolled: 1-line block ×4, first 2 shown]
	ds_store_b32 v2, v179 offset:1024
	ds_store_b32 v36, v183 offset:1024
	;; [unrolled: 1-line block ×5, first 2 shown]
	s_wait_loadcnt_dscnt 0x0
	s_barrier_signal -1
	s_barrier_wait -1
	global_inv scope:SCOPE_SE
	s_and_saveexec_b32 s16, vcc_lo
	s_cbranch_execnz .LBB1331_829
; %bb.761:                              ;   in Loop: Header=BB1331_682 Depth=2
	s_wait_alu 0xfffe
	s_or_b32 exec_lo, exec_lo, s16
	v_cmp_lt_u32_e64 s15, v45, v135
	s_and_saveexec_b32 s17, s15
	s_cbranch_execnz .LBB1331_830
.LBB1331_762:                           ;   in Loop: Header=BB1331_682 Depth=2
	s_wait_alu 0xfffe
	s_or_b32 exec_lo, exec_lo, s17
	v_cmp_lt_u32_e64 s16, v46, v135
	s_and_saveexec_b32 s18, s16
	s_cbranch_execnz .LBB1331_831
.LBB1331_763:                           ;   in Loop: Header=BB1331_682 Depth=2
	s_wait_alu 0xfffe
	s_or_b32 exec_lo, exec_lo, s18
	v_cmp_lt_u32_e64 s17, v47, v135
	s_and_saveexec_b32 s19, s17
	s_cbranch_execnz .LBB1331_832
.LBB1331_764:                           ;   in Loop: Header=BB1331_682 Depth=2
	s_wait_alu 0xfffe
	s_or_b32 exec_lo, exec_lo, s19
	v_cmp_lt_u32_e64 s18, v50, v135
	s_and_saveexec_b32 s20, s18
	s_cbranch_execnz .LBB1331_833
.LBB1331_765:                           ;   in Loop: Header=BB1331_682 Depth=2
	s_wait_alu 0xfffe
	s_or_b32 exec_lo, exec_lo, s20
	v_cmp_lt_u32_e64 s19, v51, v135
	s_and_saveexec_b32 s21, s19
	s_cbranch_execnz .LBB1331_834
.LBB1331_766:                           ;   in Loop: Header=BB1331_682 Depth=2
	s_wait_alu 0xfffe
	s_or_b32 exec_lo, exec_lo, s21
	v_cmp_lt_u32_e64 s20, v52, v135
	s_and_saveexec_b32 s22, s20
	s_cbranch_execnz .LBB1331_835
.LBB1331_767:                           ;   in Loop: Header=BB1331_682 Depth=2
	s_wait_alu 0xfffe
	s_or_b32 exec_lo, exec_lo, s22
	v_cmp_lt_u32_e64 s21, v53, v135
	s_and_saveexec_b32 s23, s21
	s_cbranch_execnz .LBB1331_836
.LBB1331_768:                           ;   in Loop: Header=BB1331_682 Depth=2
	s_wait_alu 0xfffe
	s_or_b32 exec_lo, exec_lo, s23
	v_cmp_lt_u32_e64 s22, v54, v135
	s_and_saveexec_b32 s24, s22
	s_cbranch_execnz .LBB1331_837
.LBB1331_769:                           ;   in Loop: Header=BB1331_682 Depth=2
	s_wait_alu 0xfffe
	s_or_b32 exec_lo, exec_lo, s24
	v_cmp_lt_u32_e64 s23, v55, v135
	s_and_saveexec_b32 s25, s23
	s_cbranch_execnz .LBB1331_838
.LBB1331_770:                           ;   in Loop: Header=BB1331_682 Depth=2
	s_wait_alu 0xfffe
	s_or_b32 exec_lo, exec_lo, s25
	v_cmp_lt_u32_e64 s24, v56, v135
	s_and_saveexec_b32 s26, s24
	s_cbranch_execnz .LBB1331_839
.LBB1331_771:                           ;   in Loop: Header=BB1331_682 Depth=2
	s_wait_alu 0xfffe
	s_or_b32 exec_lo, exec_lo, s26
	v_cmp_lt_u32_e64 s25, v57, v135
	s_and_saveexec_b32 s27, s25
	s_cbranch_execnz .LBB1331_840
.LBB1331_772:                           ;   in Loop: Header=BB1331_682 Depth=2
	s_wait_alu 0xfffe
	s_or_b32 exec_lo, exec_lo, s27
	v_cmp_lt_u32_e64 s26, v58, v135
	s_and_saveexec_b32 s28, s26
	s_cbranch_execnz .LBB1331_841
.LBB1331_773:                           ;   in Loop: Header=BB1331_682 Depth=2
	s_wait_alu 0xfffe
	s_or_b32 exec_lo, exec_lo, s28
	v_cmp_lt_u32_e64 s27, v59, v135
	s_and_saveexec_b32 s29, s27
	s_cbranch_execnz .LBB1331_842
.LBB1331_774:                           ;   in Loop: Header=BB1331_682 Depth=2
	s_wait_alu 0xfffe
	s_or_b32 exec_lo, exec_lo, s29
	v_cmp_lt_u32_e64 s28, v60, v135
	s_and_saveexec_b32 s30, s28
	s_cbranch_execnz .LBB1331_843
.LBB1331_775:                           ;   in Loop: Header=BB1331_682 Depth=2
	s_wait_alu 0xfffe
	s_or_b32 exec_lo, exec_lo, s30
	v_cmp_lt_u32_e64 s29, v61, v135
	s_and_saveexec_b32 s56, s29
	s_cbranch_execz .LBB1331_777
.LBB1331_776:                           ;   in Loop: Header=BB1331_682 Depth=2
	ds_load_b32 v136, v70 offset:16384
	s_wait_dscnt 0x0
	v_cmp_ne_u32_e64 s30, 0x80000000, v136
	s_wait_alu 0xf1ff
	s_delay_alu instid0(VALU_DEP_1) | instskip(SKIP_1) | instid1(VALU_DEP_2)
	v_cndmask_b32_e64 v2, 0x7fffffff, v136, s30
	v_cmp_gt_i32_e64 s30, 0, v136
	v_lshrrev_b32_e32 v2, s49, v2
	s_wait_alu 0xf1ff
	s_delay_alu instid0(VALU_DEP_2) | instskip(NEXT) | instid1(VALU_DEP_2)
	v_cndmask_b32_e64 v143, 0x7fffffff, 0, s30
	v_and_b32_e32 v2, s48, v2
	s_delay_alu instid0(VALU_DEP_1) | instskip(SKIP_3) | instid1(VALU_DEP_1)
	v_lshlrev_b32_e32 v2, 2, v2
	ds_load_b32 v2, v2
	s_wait_dscnt 0x0
	v_add_nc_u32_e32 v2, v2, v61
	v_lshlrev_b64_e32 v[36:37], 2, v[2:3]
	v_xor_b32_e32 v2, v143, v136
	s_delay_alu instid0(VALU_DEP_2) | instskip(SKIP_1) | instid1(VALU_DEP_3)
	v_add_co_u32 v36, s30, s38, v36
	s_wait_alu 0xf1ff
	v_add_co_ci_u32_e64 v37, null, s39, v37, s30
	global_store_b32 v[36:37], v2, off
.LBB1331_777:                           ;   in Loop: Header=BB1331_682 Depth=2
	s_wait_alu 0xfffe
	s_or_b32 exec_lo, exec_lo, s56
	s_lshl_b64 s[56:57], s[42:43], 3
	s_wait_alu 0xfffe
	v_add_co_u32 v36, s30, v114, s56
	s_wait_alu 0xf1ff
	v_add_co_ci_u32_e64 v37, null, s57, v115, s30
	v_cmp_lt_u32_e64 s30, v88, v135
	s_and_saveexec_b32 s42, s30
	s_wait_alu 0xfffe
	s_xor_b32 s30, exec_lo, s42
	s_cbranch_execnz .LBB1331_844
; %bb.778:                              ;   in Loop: Header=BB1331_682 Depth=2
	s_wait_alu 0xfffe
	s_or_b32 exec_lo, exec_lo, s30
	s_delay_alu instid0(SALU_CYCLE_1)
	s_mov_b32 s42, exec_lo
	v_cmpx_lt_u32_e64 v92, v135
	s_cbranch_execnz .LBB1331_845
.LBB1331_779:                           ;   in Loop: Header=BB1331_682 Depth=2
	s_wait_alu 0xfffe
	s_or_b32 exec_lo, exec_lo, s42
	s_delay_alu instid0(SALU_CYCLE_1)
	s_mov_b32 s42, exec_lo
	v_cmpx_lt_u32_e64 v93, v135
	s_cbranch_execnz .LBB1331_846
.LBB1331_780:                           ;   in Loop: Header=BB1331_682 Depth=2
	s_wait_alu 0xfffe
	s_or_b32 exec_lo, exec_lo, s42
	s_delay_alu instid0(SALU_CYCLE_1)
	s_mov_b32 s42, exec_lo
	v_cmpx_lt_u32_e64 v94, v135
	s_cbranch_execnz .LBB1331_847
.LBB1331_781:                           ;   in Loop: Header=BB1331_682 Depth=2
	s_wait_alu 0xfffe
	s_or_b32 exec_lo, exec_lo, s42
	s_delay_alu instid0(SALU_CYCLE_1)
	s_mov_b32 s42, exec_lo
	v_cmpx_lt_u32_e64 v95, v135
	s_cbranch_execnz .LBB1331_848
.LBB1331_782:                           ;   in Loop: Header=BB1331_682 Depth=2
	s_wait_alu 0xfffe
	s_or_b32 exec_lo, exec_lo, s42
	s_delay_alu instid0(SALU_CYCLE_1)
	s_mov_b32 s42, exec_lo
	v_cmpx_lt_u32_e64 v96, v135
	s_cbranch_execnz .LBB1331_849
.LBB1331_783:                           ;   in Loop: Header=BB1331_682 Depth=2
	s_wait_alu 0xfffe
	s_or_b32 exec_lo, exec_lo, s42
	s_delay_alu instid0(SALU_CYCLE_1)
	s_mov_b32 s42, exec_lo
	v_cmpx_lt_u32_e64 v97, v135
	s_cbranch_execnz .LBB1331_850
.LBB1331_784:                           ;   in Loop: Header=BB1331_682 Depth=2
	s_wait_alu 0xfffe
	s_or_b32 exec_lo, exec_lo, s42
	s_delay_alu instid0(SALU_CYCLE_1)
	s_mov_b32 s42, exec_lo
	v_cmpx_lt_u32_e64 v98, v135
	s_cbranch_execnz .LBB1331_851
.LBB1331_785:                           ;   in Loop: Header=BB1331_682 Depth=2
	s_wait_alu 0xfffe
	s_or_b32 exec_lo, exec_lo, s42
	s_delay_alu instid0(SALU_CYCLE_1)
	s_mov_b32 s42, exec_lo
	v_cmpx_lt_u32_e64 v99, v135
	s_cbranch_execnz .LBB1331_852
.LBB1331_786:                           ;   in Loop: Header=BB1331_682 Depth=2
	s_wait_alu 0xfffe
	s_or_b32 exec_lo, exec_lo, s42
	s_delay_alu instid0(SALU_CYCLE_1)
	s_mov_b32 s42, exec_lo
	v_cmpx_lt_u32_e64 v100, v135
	s_cbranch_execnz .LBB1331_853
.LBB1331_787:                           ;   in Loop: Header=BB1331_682 Depth=2
	s_wait_alu 0xfffe
	s_or_b32 exec_lo, exec_lo, s42
	s_delay_alu instid0(SALU_CYCLE_1)
	s_mov_b32 s42, exec_lo
	v_cmpx_lt_u32_e64 v101, v135
	s_cbranch_execnz .LBB1331_854
.LBB1331_788:                           ;   in Loop: Header=BB1331_682 Depth=2
	s_wait_alu 0xfffe
	s_or_b32 exec_lo, exec_lo, s42
	s_delay_alu instid0(SALU_CYCLE_1)
	s_mov_b32 s42, exec_lo
	v_cmpx_lt_u32_e64 v102, v135
	s_cbranch_execnz .LBB1331_855
.LBB1331_789:                           ;   in Loop: Header=BB1331_682 Depth=2
	s_wait_alu 0xfffe
	s_or_b32 exec_lo, exec_lo, s42
	s_delay_alu instid0(SALU_CYCLE_1)
	s_mov_b32 s42, exec_lo
	v_cmpx_lt_u32_e64 v103, v135
	s_cbranch_execnz .LBB1331_856
.LBB1331_790:                           ;   in Loop: Header=BB1331_682 Depth=2
	s_wait_alu 0xfffe
	s_or_b32 exec_lo, exec_lo, s42
	s_delay_alu instid0(SALU_CYCLE_1)
	s_mov_b32 s42, exec_lo
	v_cmpx_lt_u32_e64 v104, v135
	s_cbranch_execnz .LBB1331_857
.LBB1331_791:                           ;   in Loop: Header=BB1331_682 Depth=2
	s_wait_alu 0xfffe
	s_or_b32 exec_lo, exec_lo, s42
	s_delay_alu instid0(SALU_CYCLE_1)
	s_mov_b32 s42, exec_lo
	v_cmpx_lt_u32_e64 v105, v135
	s_cbranch_execnz .LBB1331_858
.LBB1331_792:                           ;   in Loop: Header=BB1331_682 Depth=2
	s_wait_alu 0xfffe
	s_or_b32 exec_lo, exec_lo, s42
	s_delay_alu instid0(SALU_CYCLE_1)
	s_mov_b32 s42, exec_lo
	v_cmpx_lt_u32_e64 v106, v135
	s_cbranch_execnz .LBB1331_859
.LBB1331_793:                           ;   in Loop: Header=BB1331_682 Depth=2
	s_wait_alu 0xfffe
	s_or_b32 exec_lo, exec_lo, s42
	s_and_saveexec_b32 s42, vcc_lo
	s_cbranch_execnz .LBB1331_860
.LBB1331_794:                           ;   in Loop: Header=BB1331_682 Depth=2
	s_wait_alu 0xfffe
	s_or_b32 exec_lo, exec_lo, s42
	s_and_saveexec_b32 s42, s15
	s_cbranch_execnz .LBB1331_861
.LBB1331_795:                           ;   in Loop: Header=BB1331_682 Depth=2
	s_wait_alu 0xfffe
	s_or_b32 exec_lo, exec_lo, s42
	s_and_saveexec_b32 s42, s16
	s_cbranch_execnz .LBB1331_862
.LBB1331_796:                           ;   in Loop: Header=BB1331_682 Depth=2
	s_wait_alu 0xfffe
	s_or_b32 exec_lo, exec_lo, s42
	s_and_saveexec_b32 s42, s17
	s_cbranch_execnz .LBB1331_863
.LBB1331_797:                           ;   in Loop: Header=BB1331_682 Depth=2
	s_wait_alu 0xfffe
	s_or_b32 exec_lo, exec_lo, s42
	s_and_saveexec_b32 s42, s18
	s_cbranch_execnz .LBB1331_864
.LBB1331_798:                           ;   in Loop: Header=BB1331_682 Depth=2
	s_wait_alu 0xfffe
	s_or_b32 exec_lo, exec_lo, s42
	s_and_saveexec_b32 s42, s19
	s_cbranch_execnz .LBB1331_865
.LBB1331_799:                           ;   in Loop: Header=BB1331_682 Depth=2
	s_wait_alu 0xfffe
	s_or_b32 exec_lo, exec_lo, s42
	s_and_saveexec_b32 s42, s20
	s_cbranch_execnz .LBB1331_866
.LBB1331_800:                           ;   in Loop: Header=BB1331_682 Depth=2
	s_wait_alu 0xfffe
	s_or_b32 exec_lo, exec_lo, s42
	s_and_saveexec_b32 s42, s21
	s_cbranch_execnz .LBB1331_867
.LBB1331_801:                           ;   in Loop: Header=BB1331_682 Depth=2
	s_wait_alu 0xfffe
	s_or_b32 exec_lo, exec_lo, s42
	s_and_saveexec_b32 s42, s22
	s_cbranch_execnz .LBB1331_868
.LBB1331_802:                           ;   in Loop: Header=BB1331_682 Depth=2
	s_wait_alu 0xfffe
	s_or_b32 exec_lo, exec_lo, s42
	s_and_saveexec_b32 s42, s23
	s_cbranch_execnz .LBB1331_869
.LBB1331_803:                           ;   in Loop: Header=BB1331_682 Depth=2
	s_wait_alu 0xfffe
	s_or_b32 exec_lo, exec_lo, s42
	s_and_saveexec_b32 s42, s24
	s_cbranch_execnz .LBB1331_870
.LBB1331_804:                           ;   in Loop: Header=BB1331_682 Depth=2
	s_wait_alu 0xfffe
	s_or_b32 exec_lo, exec_lo, s42
	s_and_saveexec_b32 s42, s25
	s_cbranch_execnz .LBB1331_871
.LBB1331_805:                           ;   in Loop: Header=BB1331_682 Depth=2
	s_wait_alu 0xfffe
	s_or_b32 exec_lo, exec_lo, s42
	s_and_saveexec_b32 s42, s26
	s_cbranch_execnz .LBB1331_872
.LBB1331_806:                           ;   in Loop: Header=BB1331_682 Depth=2
	s_wait_alu 0xfffe
	s_or_b32 exec_lo, exec_lo, s42
	s_and_saveexec_b32 s42, s27
	s_cbranch_execnz .LBB1331_873
.LBB1331_807:                           ;   in Loop: Header=BB1331_682 Depth=2
	s_wait_alu 0xfffe
	s_or_b32 exec_lo, exec_lo, s42
	s_and_saveexec_b32 s42, s28
	s_cbranch_execnz .LBB1331_874
.LBB1331_808:                           ;   in Loop: Header=BB1331_682 Depth=2
	s_wait_alu 0xfffe
	s_or_b32 exec_lo, exec_lo, s42
	s_and_saveexec_b32 s42, s29
	s_cbranch_execz .LBB1331_810
.LBB1331_809:                           ;   in Loop: Header=BB1331_682 Depth=2
	ds_load_b32 v2, v70 offset:16384
	s_wait_dscnt 0x0
	v_cmp_ne_u32_e64 s30, 0x80000000, v2
	s_wait_alu 0xf1ff
	s_delay_alu instid0(VALU_DEP_1) | instskip(NEXT) | instid1(VALU_DEP_1)
	v_cndmask_b32_e64 v2, 0x7fffffff, v2, s30
	v_lshrrev_b32_e32 v2, s49, v2
	s_delay_alu instid0(VALU_DEP_1)
	v_and_b32_e32 v119, s48, v2
.LBB1331_810:                           ;   in Loop: Header=BB1331_682 Depth=2
	s_wait_alu 0xfffe
	s_or_b32 exec_lo, exec_lo, s42
	v_lshlrev_b32_e32 v2, 3, v154
	s_wait_loadcnt 0x0
	s_wait_storecnt 0x0
	s_barrier_signal -1
	s_barrier_wait -1
	global_inv scope:SCOPE_SE
	ds_store_b64 v2, v[34:35] offset:1024
	v_lshlrev_b32_e32 v2, 3, v150
	v_lshlrev_b32_e32 v36, 3, v146
	v_lshlrev_b32_e32 v37, 3, v145
	v_lshlrev_b32_e32 v135, 3, v144
	v_lshlrev_b32_e32 v136, 3, v142
	ds_store_b64 v2, v[32:33] offset:1024
	ds_store_b64 v36, v[30:31] offset:1024
	ds_store_b64 v37, v[28:29] offset:1024
	ds_store_b64 v135, v[26:27] offset:1024
	ds_store_b64 v136, v[24:25] offset:1024
	v_lshlrev_b32_e32 v2, 3, v141
	v_lshlrev_b32_e32 v36, 3, v140
	v_lshlrev_b32_e32 v37, 3, v139
	v_lshlrev_b32_e32 v135, 3, v138
	v_lshlrev_b32_e32 v136, 3, v137
	ds_store_b64 v2, v[22:23] offset:1024
	ds_store_b64 v36, v[20:21] offset:1024
	ds_store_b64 v37, v[18:19] offset:1024
	ds_store_b64 v135, v[16:17] offset:1024
	;; [unrolled: 10-line block ×3, first 2 shown]
	ds_store_b64 v40, v[4:5] offset:1024
	s_wait_loadcnt_dscnt 0x0
	s_barrier_signal -1
	s_barrier_wait -1
	global_inv scope:SCOPE_SE
	s_and_saveexec_b32 s30, vcc_lo
	s_cbranch_execnz .LBB1331_875
; %bb.811:                              ;   in Loop: Header=BB1331_682 Depth=2
	s_wait_alu 0xfffe
	s_or_b32 exec_lo, exec_lo, s30
	s_and_saveexec_b32 s30, s15
	s_cbranch_execnz .LBB1331_876
.LBB1331_812:                           ;   in Loop: Header=BB1331_682 Depth=2
	s_wait_alu 0xfffe
	s_or_b32 exec_lo, exec_lo, s30
	s_and_saveexec_b32 s15, s16
	s_cbranch_execnz .LBB1331_877
.LBB1331_813:                           ;   in Loop: Header=BB1331_682 Depth=2
	s_wait_alu 0xfffe
	s_or_b32 exec_lo, exec_lo, s15
	s_and_saveexec_b32 s15, s17
	s_cbranch_execnz .LBB1331_878
.LBB1331_814:                           ;   in Loop: Header=BB1331_682 Depth=2
	s_wait_alu 0xfffe
	s_or_b32 exec_lo, exec_lo, s15
	s_and_saveexec_b32 s15, s18
	s_cbranch_execnz .LBB1331_879
.LBB1331_815:                           ;   in Loop: Header=BB1331_682 Depth=2
	s_wait_alu 0xfffe
	s_or_b32 exec_lo, exec_lo, s15
	s_and_saveexec_b32 s15, s19
	s_cbranch_execnz .LBB1331_880
.LBB1331_816:                           ;   in Loop: Header=BB1331_682 Depth=2
	s_wait_alu 0xfffe
	s_or_b32 exec_lo, exec_lo, s15
	s_and_saveexec_b32 s15, s20
	s_cbranch_execnz .LBB1331_881
.LBB1331_817:                           ;   in Loop: Header=BB1331_682 Depth=2
	s_wait_alu 0xfffe
	s_or_b32 exec_lo, exec_lo, s15
	s_and_saveexec_b32 s15, s21
	s_cbranch_execnz .LBB1331_882
.LBB1331_818:                           ;   in Loop: Header=BB1331_682 Depth=2
	s_wait_alu 0xfffe
	s_or_b32 exec_lo, exec_lo, s15
	s_and_saveexec_b32 s15, s22
	s_cbranch_execnz .LBB1331_883
.LBB1331_819:                           ;   in Loop: Header=BB1331_682 Depth=2
	s_wait_alu 0xfffe
	s_or_b32 exec_lo, exec_lo, s15
	s_and_saveexec_b32 s15, s23
	s_cbranch_execnz .LBB1331_884
.LBB1331_820:                           ;   in Loop: Header=BB1331_682 Depth=2
	s_wait_alu 0xfffe
	s_or_b32 exec_lo, exec_lo, s15
	s_and_saveexec_b32 s15, s24
	s_cbranch_execnz .LBB1331_885
.LBB1331_821:                           ;   in Loop: Header=BB1331_682 Depth=2
	s_wait_alu 0xfffe
	s_or_b32 exec_lo, exec_lo, s15
	s_and_saveexec_b32 s15, s25
	s_cbranch_execnz .LBB1331_886
.LBB1331_822:                           ;   in Loop: Header=BB1331_682 Depth=2
	s_wait_alu 0xfffe
	s_or_b32 exec_lo, exec_lo, s15
	s_and_saveexec_b32 s15, s26
	s_cbranch_execnz .LBB1331_887
.LBB1331_823:                           ;   in Loop: Header=BB1331_682 Depth=2
	s_wait_alu 0xfffe
	s_or_b32 exec_lo, exec_lo, s15
	s_and_saveexec_b32 s15, s27
	s_cbranch_execnz .LBB1331_888
.LBB1331_824:                           ;   in Loop: Header=BB1331_682 Depth=2
	s_wait_alu 0xfffe
	s_or_b32 exec_lo, exec_lo, s15
	s_and_saveexec_b32 s15, s28
	s_cbranch_execnz .LBB1331_889
.LBB1331_825:                           ;   in Loop: Header=BB1331_682 Depth=2
	s_wait_alu 0xfffe
	s_or_b32 exec_lo, exec_lo, s15
	s_and_saveexec_b32 s15, s29
	s_cbranch_execz .LBB1331_827
.LBB1331_826:                           ;   in Loop: Header=BB1331_682 Depth=2
	v_lshlrev_b32_e32 v2, 2, v119
	v_add_nc_u32_e32 v36, v70, v44
	ds_load_b32 v2, v2
	ds_load_b64 v[36:37], v36 offset:31744
	s_wait_dscnt 0x1
	v_add_nc_u32_e32 v2, v2, v61
	s_delay_alu instid0(VALU_DEP_1) | instskip(NEXT) | instid1(VALU_DEP_1)
	v_lshlrev_b64_e32 v[39:40], 3, v[2:3]
	v_add_co_u32 v39, vcc_lo, s44, v39
	s_wait_alu 0xfffd
	s_delay_alu instid0(VALU_DEP_2)
	v_add_co_ci_u32_e64 v40, null, s45, v40, vcc_lo
	s_wait_dscnt 0x0
	global_store_b64 v[39:40], v[36:37], off
.LBB1331_827:                           ;   in Loop: Header=BB1331_682 Depth=2
	s_wait_alu 0xfffe
	s_or_b32 exec_lo, exec_lo, s15
	s_wait_loadcnt 0x0
	s_wait_storecnt 0x0
	s_barrier_signal -1
	s_barrier_wait -1
	global_inv scope:SCOPE_SE
	s_and_saveexec_b32 s15, s2
	s_cbranch_execz .LBB1331_681
; %bb.828:                              ;   in Loop: Header=BB1331_682 Depth=2
	ds_load_b32 v2, v44
	s_wait_dscnt 0x0
	v_add_nc_u32_e32 v2, v2, v38
	ds_store_b32 v44, v2
	s_branch .LBB1331_681
.LBB1331_829:                           ;   in Loop: Header=BB1331_682 Depth=2
	ds_load_b32 v136, v70 offset:1024
	s_wait_dscnt 0x0
	v_cmp_ne_u32_e64 s15, 0x80000000, v136
	s_wait_alu 0xf1ff
	s_delay_alu instid0(VALU_DEP_1) | instskip(SKIP_1) | instid1(VALU_DEP_2)
	v_cndmask_b32_e64 v2, 0x7fffffff, v136, s15
	v_cmp_gt_i32_e64 s15, 0, v136
	v_lshrrev_b32_e32 v2, s49, v2
	s_wait_alu 0xf1ff
	s_delay_alu instid0(VALU_DEP_2) | instskip(NEXT) | instid1(VALU_DEP_2)
	v_cndmask_b32_e64 v143, 0x7fffffff, 0, s15
	v_and_b32_e32 v2, s48, v2
	s_delay_alu instid0(VALU_DEP_1) | instskip(SKIP_3) | instid1(VALU_DEP_1)
	v_lshlrev_b32_e32 v2, 2, v2
	ds_load_b32 v2, v2
	s_wait_dscnt 0x0
	v_add_nc_u32_e32 v2, v2, v1
	v_lshlrev_b64_e32 v[36:37], 2, v[2:3]
	v_xor_b32_e32 v2, v143, v136
	s_delay_alu instid0(VALU_DEP_2) | instskip(SKIP_1) | instid1(VALU_DEP_3)
	v_add_co_u32 v36, s15, s38, v36
	s_wait_alu 0xf1ff
	v_add_co_ci_u32_e64 v37, null, s39, v37, s15
	global_store_b32 v[36:37], v2, off
	s_wait_alu 0xfffe
	s_or_b32 exec_lo, exec_lo, s16
	v_cmp_lt_u32_e64 s15, v45, v135
	s_and_saveexec_b32 s17, s15
	s_cbranch_execz .LBB1331_762
.LBB1331_830:                           ;   in Loop: Header=BB1331_682 Depth=2
	ds_load_b32 v136, v70 offset:2048
	s_wait_dscnt 0x0
	v_cmp_ne_u32_e64 s16, 0x80000000, v136
	s_wait_alu 0xf1ff
	s_delay_alu instid0(VALU_DEP_1) | instskip(SKIP_1) | instid1(VALU_DEP_2)
	v_cndmask_b32_e64 v2, 0x7fffffff, v136, s16
	v_cmp_gt_i32_e64 s16, 0, v136
	v_lshrrev_b32_e32 v2, s49, v2
	s_wait_alu 0xf1ff
	s_delay_alu instid0(VALU_DEP_2) | instskip(NEXT) | instid1(VALU_DEP_2)
	v_cndmask_b32_e64 v143, 0x7fffffff, 0, s16
	v_and_b32_e32 v2, s48, v2
	s_delay_alu instid0(VALU_DEP_1) | instskip(SKIP_3) | instid1(VALU_DEP_1)
	v_lshlrev_b32_e32 v2, 2, v2
	ds_load_b32 v2, v2
	s_wait_dscnt 0x0
	v_add_nc_u32_e32 v2, v2, v45
	v_lshlrev_b64_e32 v[36:37], 2, v[2:3]
	v_xor_b32_e32 v2, v143, v136
	s_delay_alu instid0(VALU_DEP_2) | instskip(SKIP_1) | instid1(VALU_DEP_3)
	v_add_co_u32 v36, s16, s38, v36
	s_wait_alu 0xf1ff
	v_add_co_ci_u32_e64 v37, null, s39, v37, s16
	global_store_b32 v[36:37], v2, off
	s_wait_alu 0xfffe
	s_or_b32 exec_lo, exec_lo, s17
	v_cmp_lt_u32_e64 s16, v46, v135
	s_and_saveexec_b32 s18, s16
	s_cbranch_execz .LBB1331_763
.LBB1331_831:                           ;   in Loop: Header=BB1331_682 Depth=2
	ds_load_b32 v136, v70 offset:3072
	s_wait_dscnt 0x0
	v_cmp_ne_u32_e64 s17, 0x80000000, v136
	s_wait_alu 0xf1ff
	s_delay_alu instid0(VALU_DEP_1) | instskip(SKIP_1) | instid1(VALU_DEP_2)
	v_cndmask_b32_e64 v2, 0x7fffffff, v136, s17
	v_cmp_gt_i32_e64 s17, 0, v136
	v_lshrrev_b32_e32 v2, s49, v2
	s_wait_alu 0xf1ff
	s_delay_alu instid0(VALU_DEP_2) | instskip(NEXT) | instid1(VALU_DEP_2)
	v_cndmask_b32_e64 v143, 0x7fffffff, 0, s17
	v_and_b32_e32 v2, s48, v2
	s_delay_alu instid0(VALU_DEP_1) | instskip(SKIP_3) | instid1(VALU_DEP_1)
	v_lshlrev_b32_e32 v2, 2, v2
	ds_load_b32 v2, v2
	s_wait_dscnt 0x0
	v_add_nc_u32_e32 v2, v2, v46
	v_lshlrev_b64_e32 v[36:37], 2, v[2:3]
	v_xor_b32_e32 v2, v143, v136
	s_delay_alu instid0(VALU_DEP_2) | instskip(SKIP_1) | instid1(VALU_DEP_3)
	v_add_co_u32 v36, s17, s38, v36
	s_wait_alu 0xf1ff
	v_add_co_ci_u32_e64 v37, null, s39, v37, s17
	global_store_b32 v[36:37], v2, off
	s_wait_alu 0xfffe
	s_or_b32 exec_lo, exec_lo, s18
	v_cmp_lt_u32_e64 s17, v47, v135
	s_and_saveexec_b32 s19, s17
	s_cbranch_execz .LBB1331_764
.LBB1331_832:                           ;   in Loop: Header=BB1331_682 Depth=2
	ds_load_b32 v136, v70 offset:4096
	s_wait_dscnt 0x0
	v_cmp_ne_u32_e64 s18, 0x80000000, v136
	s_wait_alu 0xf1ff
	s_delay_alu instid0(VALU_DEP_1) | instskip(SKIP_1) | instid1(VALU_DEP_2)
	v_cndmask_b32_e64 v2, 0x7fffffff, v136, s18
	v_cmp_gt_i32_e64 s18, 0, v136
	v_lshrrev_b32_e32 v2, s49, v2
	s_wait_alu 0xf1ff
	s_delay_alu instid0(VALU_DEP_2) | instskip(NEXT) | instid1(VALU_DEP_2)
	v_cndmask_b32_e64 v143, 0x7fffffff, 0, s18
	v_and_b32_e32 v2, s48, v2
	s_delay_alu instid0(VALU_DEP_1) | instskip(SKIP_3) | instid1(VALU_DEP_1)
	v_lshlrev_b32_e32 v2, 2, v2
	ds_load_b32 v2, v2
	s_wait_dscnt 0x0
	v_add_nc_u32_e32 v2, v2, v47
	v_lshlrev_b64_e32 v[36:37], 2, v[2:3]
	v_xor_b32_e32 v2, v143, v136
	s_delay_alu instid0(VALU_DEP_2) | instskip(SKIP_1) | instid1(VALU_DEP_3)
	v_add_co_u32 v36, s18, s38, v36
	s_wait_alu 0xf1ff
	v_add_co_ci_u32_e64 v37, null, s39, v37, s18
	global_store_b32 v[36:37], v2, off
	s_wait_alu 0xfffe
	s_or_b32 exec_lo, exec_lo, s19
	v_cmp_lt_u32_e64 s18, v50, v135
	s_and_saveexec_b32 s20, s18
	s_cbranch_execz .LBB1331_765
.LBB1331_833:                           ;   in Loop: Header=BB1331_682 Depth=2
	ds_load_b32 v136, v70 offset:5120
	s_wait_dscnt 0x0
	v_cmp_ne_u32_e64 s19, 0x80000000, v136
	s_wait_alu 0xf1ff
	s_delay_alu instid0(VALU_DEP_1) | instskip(SKIP_1) | instid1(VALU_DEP_2)
	v_cndmask_b32_e64 v2, 0x7fffffff, v136, s19
	v_cmp_gt_i32_e64 s19, 0, v136
	v_lshrrev_b32_e32 v2, s49, v2
	s_wait_alu 0xf1ff
	s_delay_alu instid0(VALU_DEP_2) | instskip(NEXT) | instid1(VALU_DEP_2)
	v_cndmask_b32_e64 v143, 0x7fffffff, 0, s19
	v_and_b32_e32 v2, s48, v2
	s_delay_alu instid0(VALU_DEP_1) | instskip(SKIP_3) | instid1(VALU_DEP_1)
	v_lshlrev_b32_e32 v2, 2, v2
	ds_load_b32 v2, v2
	s_wait_dscnt 0x0
	v_add_nc_u32_e32 v2, v2, v50
	v_lshlrev_b64_e32 v[36:37], 2, v[2:3]
	v_xor_b32_e32 v2, v143, v136
	s_delay_alu instid0(VALU_DEP_2) | instskip(SKIP_1) | instid1(VALU_DEP_3)
	v_add_co_u32 v36, s19, s38, v36
	s_wait_alu 0xf1ff
	v_add_co_ci_u32_e64 v37, null, s39, v37, s19
	global_store_b32 v[36:37], v2, off
	s_wait_alu 0xfffe
	s_or_b32 exec_lo, exec_lo, s20
	v_cmp_lt_u32_e64 s19, v51, v135
	s_and_saveexec_b32 s21, s19
	s_cbranch_execz .LBB1331_766
.LBB1331_834:                           ;   in Loop: Header=BB1331_682 Depth=2
	ds_load_b32 v136, v70 offset:6144
	s_wait_dscnt 0x0
	v_cmp_ne_u32_e64 s20, 0x80000000, v136
	s_wait_alu 0xf1ff
	s_delay_alu instid0(VALU_DEP_1) | instskip(SKIP_1) | instid1(VALU_DEP_2)
	v_cndmask_b32_e64 v2, 0x7fffffff, v136, s20
	v_cmp_gt_i32_e64 s20, 0, v136
	v_lshrrev_b32_e32 v2, s49, v2
	s_wait_alu 0xf1ff
	s_delay_alu instid0(VALU_DEP_2) | instskip(NEXT) | instid1(VALU_DEP_2)
	v_cndmask_b32_e64 v143, 0x7fffffff, 0, s20
	v_and_b32_e32 v2, s48, v2
	s_delay_alu instid0(VALU_DEP_1) | instskip(SKIP_3) | instid1(VALU_DEP_1)
	v_lshlrev_b32_e32 v2, 2, v2
	ds_load_b32 v2, v2
	s_wait_dscnt 0x0
	v_add_nc_u32_e32 v2, v2, v51
	v_lshlrev_b64_e32 v[36:37], 2, v[2:3]
	v_xor_b32_e32 v2, v143, v136
	s_delay_alu instid0(VALU_DEP_2) | instskip(SKIP_1) | instid1(VALU_DEP_3)
	v_add_co_u32 v36, s20, s38, v36
	s_wait_alu 0xf1ff
	v_add_co_ci_u32_e64 v37, null, s39, v37, s20
	global_store_b32 v[36:37], v2, off
	s_wait_alu 0xfffe
	s_or_b32 exec_lo, exec_lo, s21
	v_cmp_lt_u32_e64 s20, v52, v135
	s_and_saveexec_b32 s22, s20
	s_cbranch_execz .LBB1331_767
.LBB1331_835:                           ;   in Loop: Header=BB1331_682 Depth=2
	ds_load_b32 v136, v70 offset:7168
	s_wait_dscnt 0x0
	v_cmp_ne_u32_e64 s21, 0x80000000, v136
	s_wait_alu 0xf1ff
	s_delay_alu instid0(VALU_DEP_1) | instskip(SKIP_1) | instid1(VALU_DEP_2)
	v_cndmask_b32_e64 v2, 0x7fffffff, v136, s21
	v_cmp_gt_i32_e64 s21, 0, v136
	v_lshrrev_b32_e32 v2, s49, v2
	s_wait_alu 0xf1ff
	s_delay_alu instid0(VALU_DEP_2) | instskip(NEXT) | instid1(VALU_DEP_2)
	v_cndmask_b32_e64 v143, 0x7fffffff, 0, s21
	v_and_b32_e32 v2, s48, v2
	s_delay_alu instid0(VALU_DEP_1) | instskip(SKIP_3) | instid1(VALU_DEP_1)
	v_lshlrev_b32_e32 v2, 2, v2
	ds_load_b32 v2, v2
	s_wait_dscnt 0x0
	v_add_nc_u32_e32 v2, v2, v52
	v_lshlrev_b64_e32 v[36:37], 2, v[2:3]
	v_xor_b32_e32 v2, v143, v136
	s_delay_alu instid0(VALU_DEP_2) | instskip(SKIP_1) | instid1(VALU_DEP_3)
	v_add_co_u32 v36, s21, s38, v36
	s_wait_alu 0xf1ff
	v_add_co_ci_u32_e64 v37, null, s39, v37, s21
	global_store_b32 v[36:37], v2, off
	s_wait_alu 0xfffe
	s_or_b32 exec_lo, exec_lo, s22
	v_cmp_lt_u32_e64 s21, v53, v135
	s_and_saveexec_b32 s23, s21
	s_cbranch_execz .LBB1331_768
.LBB1331_836:                           ;   in Loop: Header=BB1331_682 Depth=2
	ds_load_b32 v136, v70 offset:8192
	s_wait_dscnt 0x0
	v_cmp_ne_u32_e64 s22, 0x80000000, v136
	s_wait_alu 0xf1ff
	s_delay_alu instid0(VALU_DEP_1) | instskip(SKIP_1) | instid1(VALU_DEP_2)
	v_cndmask_b32_e64 v2, 0x7fffffff, v136, s22
	v_cmp_gt_i32_e64 s22, 0, v136
	v_lshrrev_b32_e32 v2, s49, v2
	s_wait_alu 0xf1ff
	s_delay_alu instid0(VALU_DEP_2) | instskip(NEXT) | instid1(VALU_DEP_2)
	v_cndmask_b32_e64 v143, 0x7fffffff, 0, s22
	v_and_b32_e32 v2, s48, v2
	s_delay_alu instid0(VALU_DEP_1) | instskip(SKIP_3) | instid1(VALU_DEP_1)
	v_lshlrev_b32_e32 v2, 2, v2
	ds_load_b32 v2, v2
	s_wait_dscnt 0x0
	v_add_nc_u32_e32 v2, v2, v53
	v_lshlrev_b64_e32 v[36:37], 2, v[2:3]
	v_xor_b32_e32 v2, v143, v136
	s_delay_alu instid0(VALU_DEP_2) | instskip(SKIP_1) | instid1(VALU_DEP_3)
	v_add_co_u32 v36, s22, s38, v36
	s_wait_alu 0xf1ff
	v_add_co_ci_u32_e64 v37, null, s39, v37, s22
	global_store_b32 v[36:37], v2, off
	s_wait_alu 0xfffe
	s_or_b32 exec_lo, exec_lo, s23
	v_cmp_lt_u32_e64 s22, v54, v135
	s_and_saveexec_b32 s24, s22
	s_cbranch_execz .LBB1331_769
.LBB1331_837:                           ;   in Loop: Header=BB1331_682 Depth=2
	ds_load_b32 v136, v70 offset:9216
	s_wait_dscnt 0x0
	v_cmp_ne_u32_e64 s23, 0x80000000, v136
	s_wait_alu 0xf1ff
	s_delay_alu instid0(VALU_DEP_1) | instskip(SKIP_1) | instid1(VALU_DEP_2)
	v_cndmask_b32_e64 v2, 0x7fffffff, v136, s23
	v_cmp_gt_i32_e64 s23, 0, v136
	v_lshrrev_b32_e32 v2, s49, v2
	s_wait_alu 0xf1ff
	s_delay_alu instid0(VALU_DEP_2) | instskip(NEXT) | instid1(VALU_DEP_2)
	v_cndmask_b32_e64 v143, 0x7fffffff, 0, s23
	v_and_b32_e32 v2, s48, v2
	s_delay_alu instid0(VALU_DEP_1) | instskip(SKIP_3) | instid1(VALU_DEP_1)
	v_lshlrev_b32_e32 v2, 2, v2
	ds_load_b32 v2, v2
	s_wait_dscnt 0x0
	v_add_nc_u32_e32 v2, v2, v54
	v_lshlrev_b64_e32 v[36:37], 2, v[2:3]
	v_xor_b32_e32 v2, v143, v136
	s_delay_alu instid0(VALU_DEP_2) | instskip(SKIP_1) | instid1(VALU_DEP_3)
	v_add_co_u32 v36, s23, s38, v36
	s_wait_alu 0xf1ff
	v_add_co_ci_u32_e64 v37, null, s39, v37, s23
	global_store_b32 v[36:37], v2, off
	s_wait_alu 0xfffe
	s_or_b32 exec_lo, exec_lo, s24
	v_cmp_lt_u32_e64 s23, v55, v135
	s_and_saveexec_b32 s25, s23
	s_cbranch_execz .LBB1331_770
.LBB1331_838:                           ;   in Loop: Header=BB1331_682 Depth=2
	ds_load_b32 v136, v70 offset:10240
	s_wait_dscnt 0x0
	v_cmp_ne_u32_e64 s24, 0x80000000, v136
	s_wait_alu 0xf1ff
	s_delay_alu instid0(VALU_DEP_1) | instskip(SKIP_1) | instid1(VALU_DEP_2)
	v_cndmask_b32_e64 v2, 0x7fffffff, v136, s24
	v_cmp_gt_i32_e64 s24, 0, v136
	v_lshrrev_b32_e32 v2, s49, v2
	s_wait_alu 0xf1ff
	s_delay_alu instid0(VALU_DEP_2) | instskip(NEXT) | instid1(VALU_DEP_2)
	v_cndmask_b32_e64 v143, 0x7fffffff, 0, s24
	v_and_b32_e32 v2, s48, v2
	s_delay_alu instid0(VALU_DEP_1) | instskip(SKIP_3) | instid1(VALU_DEP_1)
	v_lshlrev_b32_e32 v2, 2, v2
	ds_load_b32 v2, v2
	s_wait_dscnt 0x0
	v_add_nc_u32_e32 v2, v2, v55
	v_lshlrev_b64_e32 v[36:37], 2, v[2:3]
	v_xor_b32_e32 v2, v143, v136
	s_delay_alu instid0(VALU_DEP_2) | instskip(SKIP_1) | instid1(VALU_DEP_3)
	v_add_co_u32 v36, s24, s38, v36
	s_wait_alu 0xf1ff
	v_add_co_ci_u32_e64 v37, null, s39, v37, s24
	global_store_b32 v[36:37], v2, off
	s_wait_alu 0xfffe
	s_or_b32 exec_lo, exec_lo, s25
	v_cmp_lt_u32_e64 s24, v56, v135
	s_and_saveexec_b32 s26, s24
	s_cbranch_execz .LBB1331_771
.LBB1331_839:                           ;   in Loop: Header=BB1331_682 Depth=2
	ds_load_b32 v136, v70 offset:11264
	s_wait_dscnt 0x0
	v_cmp_ne_u32_e64 s25, 0x80000000, v136
	s_wait_alu 0xf1ff
	s_delay_alu instid0(VALU_DEP_1) | instskip(SKIP_1) | instid1(VALU_DEP_2)
	v_cndmask_b32_e64 v2, 0x7fffffff, v136, s25
	v_cmp_gt_i32_e64 s25, 0, v136
	v_lshrrev_b32_e32 v2, s49, v2
	s_wait_alu 0xf1ff
	s_delay_alu instid0(VALU_DEP_2) | instskip(NEXT) | instid1(VALU_DEP_2)
	v_cndmask_b32_e64 v143, 0x7fffffff, 0, s25
	v_and_b32_e32 v2, s48, v2
	s_delay_alu instid0(VALU_DEP_1) | instskip(SKIP_3) | instid1(VALU_DEP_1)
	v_lshlrev_b32_e32 v2, 2, v2
	ds_load_b32 v2, v2
	s_wait_dscnt 0x0
	v_add_nc_u32_e32 v2, v2, v56
	v_lshlrev_b64_e32 v[36:37], 2, v[2:3]
	v_xor_b32_e32 v2, v143, v136
	s_delay_alu instid0(VALU_DEP_2) | instskip(SKIP_1) | instid1(VALU_DEP_3)
	v_add_co_u32 v36, s25, s38, v36
	s_wait_alu 0xf1ff
	v_add_co_ci_u32_e64 v37, null, s39, v37, s25
	global_store_b32 v[36:37], v2, off
	s_wait_alu 0xfffe
	s_or_b32 exec_lo, exec_lo, s26
	v_cmp_lt_u32_e64 s25, v57, v135
	s_and_saveexec_b32 s27, s25
	s_cbranch_execz .LBB1331_772
.LBB1331_840:                           ;   in Loop: Header=BB1331_682 Depth=2
	ds_load_b32 v136, v70 offset:12288
	s_wait_dscnt 0x0
	v_cmp_ne_u32_e64 s26, 0x80000000, v136
	s_wait_alu 0xf1ff
	s_delay_alu instid0(VALU_DEP_1) | instskip(SKIP_1) | instid1(VALU_DEP_2)
	v_cndmask_b32_e64 v2, 0x7fffffff, v136, s26
	v_cmp_gt_i32_e64 s26, 0, v136
	v_lshrrev_b32_e32 v2, s49, v2
	s_wait_alu 0xf1ff
	s_delay_alu instid0(VALU_DEP_2) | instskip(NEXT) | instid1(VALU_DEP_2)
	v_cndmask_b32_e64 v143, 0x7fffffff, 0, s26
	v_and_b32_e32 v2, s48, v2
	s_delay_alu instid0(VALU_DEP_1) | instskip(SKIP_3) | instid1(VALU_DEP_1)
	v_lshlrev_b32_e32 v2, 2, v2
	ds_load_b32 v2, v2
	s_wait_dscnt 0x0
	v_add_nc_u32_e32 v2, v2, v57
	v_lshlrev_b64_e32 v[36:37], 2, v[2:3]
	v_xor_b32_e32 v2, v143, v136
	s_delay_alu instid0(VALU_DEP_2) | instskip(SKIP_1) | instid1(VALU_DEP_3)
	v_add_co_u32 v36, s26, s38, v36
	s_wait_alu 0xf1ff
	v_add_co_ci_u32_e64 v37, null, s39, v37, s26
	global_store_b32 v[36:37], v2, off
	s_wait_alu 0xfffe
	s_or_b32 exec_lo, exec_lo, s27
	v_cmp_lt_u32_e64 s26, v58, v135
	s_and_saveexec_b32 s28, s26
	s_cbranch_execz .LBB1331_773
.LBB1331_841:                           ;   in Loop: Header=BB1331_682 Depth=2
	ds_load_b32 v136, v70 offset:13312
	s_wait_dscnt 0x0
	v_cmp_ne_u32_e64 s27, 0x80000000, v136
	s_wait_alu 0xf1ff
	s_delay_alu instid0(VALU_DEP_1) | instskip(SKIP_1) | instid1(VALU_DEP_2)
	v_cndmask_b32_e64 v2, 0x7fffffff, v136, s27
	v_cmp_gt_i32_e64 s27, 0, v136
	v_lshrrev_b32_e32 v2, s49, v2
	s_wait_alu 0xf1ff
	s_delay_alu instid0(VALU_DEP_2) | instskip(NEXT) | instid1(VALU_DEP_2)
	v_cndmask_b32_e64 v143, 0x7fffffff, 0, s27
	v_and_b32_e32 v2, s48, v2
	s_delay_alu instid0(VALU_DEP_1) | instskip(SKIP_3) | instid1(VALU_DEP_1)
	v_lshlrev_b32_e32 v2, 2, v2
	ds_load_b32 v2, v2
	s_wait_dscnt 0x0
	v_add_nc_u32_e32 v2, v2, v58
	v_lshlrev_b64_e32 v[36:37], 2, v[2:3]
	v_xor_b32_e32 v2, v143, v136
	s_delay_alu instid0(VALU_DEP_2) | instskip(SKIP_1) | instid1(VALU_DEP_3)
	v_add_co_u32 v36, s27, s38, v36
	s_wait_alu 0xf1ff
	v_add_co_ci_u32_e64 v37, null, s39, v37, s27
	global_store_b32 v[36:37], v2, off
	s_wait_alu 0xfffe
	s_or_b32 exec_lo, exec_lo, s28
	v_cmp_lt_u32_e64 s27, v59, v135
	s_and_saveexec_b32 s29, s27
	s_cbranch_execz .LBB1331_774
.LBB1331_842:                           ;   in Loop: Header=BB1331_682 Depth=2
	ds_load_b32 v136, v70 offset:14336
	s_wait_dscnt 0x0
	v_cmp_ne_u32_e64 s28, 0x80000000, v136
	s_wait_alu 0xf1ff
	s_delay_alu instid0(VALU_DEP_1) | instskip(SKIP_1) | instid1(VALU_DEP_2)
	v_cndmask_b32_e64 v2, 0x7fffffff, v136, s28
	v_cmp_gt_i32_e64 s28, 0, v136
	v_lshrrev_b32_e32 v2, s49, v2
	s_wait_alu 0xf1ff
	s_delay_alu instid0(VALU_DEP_2) | instskip(NEXT) | instid1(VALU_DEP_2)
	v_cndmask_b32_e64 v143, 0x7fffffff, 0, s28
	v_and_b32_e32 v2, s48, v2
	s_delay_alu instid0(VALU_DEP_1) | instskip(SKIP_3) | instid1(VALU_DEP_1)
	v_lshlrev_b32_e32 v2, 2, v2
	ds_load_b32 v2, v2
	s_wait_dscnt 0x0
	v_add_nc_u32_e32 v2, v2, v59
	v_lshlrev_b64_e32 v[36:37], 2, v[2:3]
	v_xor_b32_e32 v2, v143, v136
	s_delay_alu instid0(VALU_DEP_2) | instskip(SKIP_1) | instid1(VALU_DEP_3)
	v_add_co_u32 v36, s28, s38, v36
	s_wait_alu 0xf1ff
	v_add_co_ci_u32_e64 v37, null, s39, v37, s28
	global_store_b32 v[36:37], v2, off
	s_wait_alu 0xfffe
	s_or_b32 exec_lo, exec_lo, s29
	v_cmp_lt_u32_e64 s28, v60, v135
	s_and_saveexec_b32 s30, s28
	s_cbranch_execz .LBB1331_775
.LBB1331_843:                           ;   in Loop: Header=BB1331_682 Depth=2
	ds_load_b32 v136, v70 offset:15360
	s_wait_dscnt 0x0
	v_cmp_ne_u32_e64 s29, 0x80000000, v136
	s_wait_alu 0xf1ff
	s_delay_alu instid0(VALU_DEP_1) | instskip(SKIP_1) | instid1(VALU_DEP_2)
	v_cndmask_b32_e64 v2, 0x7fffffff, v136, s29
	v_cmp_gt_i32_e64 s29, 0, v136
	v_lshrrev_b32_e32 v2, s49, v2
	s_wait_alu 0xf1ff
	s_delay_alu instid0(VALU_DEP_2) | instskip(NEXT) | instid1(VALU_DEP_2)
	v_cndmask_b32_e64 v143, 0x7fffffff, 0, s29
	v_and_b32_e32 v2, s48, v2
	s_delay_alu instid0(VALU_DEP_1) | instskip(SKIP_3) | instid1(VALU_DEP_1)
	v_lshlrev_b32_e32 v2, 2, v2
	ds_load_b32 v2, v2
	s_wait_dscnt 0x0
	v_add_nc_u32_e32 v2, v2, v60
	v_lshlrev_b64_e32 v[36:37], 2, v[2:3]
	v_xor_b32_e32 v2, v143, v136
	s_delay_alu instid0(VALU_DEP_2) | instskip(SKIP_1) | instid1(VALU_DEP_3)
	v_add_co_u32 v36, s29, s38, v36
	s_wait_alu 0xf1ff
	v_add_co_ci_u32_e64 v37, null, s39, v37, s29
	global_store_b32 v[36:37], v2, off
	s_wait_alu 0xfffe
	s_or_b32 exec_lo, exec_lo, s30
	v_cmp_lt_u32_e64 s29, v61, v135
	s_and_saveexec_b32 s56, s29
	s_cbranch_execnz .LBB1331_776
	s_branch .LBB1331_777
.LBB1331_844:                           ;   in Loop: Header=BB1331_682 Depth=2
	global_load_b64 v[34:35], v[36:37], off
	s_wait_alu 0xfffe
	s_or_b32 exec_lo, exec_lo, s30
	s_delay_alu instid0(SALU_CYCLE_1)
	s_mov_b32 s42, exec_lo
	v_cmpx_lt_u32_e64 v92, v135
	s_cbranch_execz .LBB1331_779
.LBB1331_845:                           ;   in Loop: Header=BB1331_682 Depth=2
	global_load_b64 v[32:33], v[36:37], off offset:256
	s_wait_alu 0xfffe
	s_or_b32 exec_lo, exec_lo, s42
	s_delay_alu instid0(SALU_CYCLE_1)
	s_mov_b32 s42, exec_lo
	v_cmpx_lt_u32_e64 v93, v135
	s_cbranch_execz .LBB1331_780
.LBB1331_846:                           ;   in Loop: Header=BB1331_682 Depth=2
	global_load_b64 v[30:31], v[36:37], off offset:512
	s_wait_alu 0xfffe
	s_or_b32 exec_lo, exec_lo, s42
	s_delay_alu instid0(SALU_CYCLE_1)
	s_mov_b32 s42, exec_lo
	v_cmpx_lt_u32_e64 v94, v135
	s_cbranch_execz .LBB1331_781
.LBB1331_847:                           ;   in Loop: Header=BB1331_682 Depth=2
	global_load_b64 v[28:29], v[36:37], off offset:768
	s_wait_alu 0xfffe
	s_or_b32 exec_lo, exec_lo, s42
	s_delay_alu instid0(SALU_CYCLE_1)
	s_mov_b32 s42, exec_lo
	v_cmpx_lt_u32_e64 v95, v135
	s_cbranch_execz .LBB1331_782
.LBB1331_848:                           ;   in Loop: Header=BB1331_682 Depth=2
	global_load_b64 v[26:27], v[36:37], off offset:1024
	s_wait_alu 0xfffe
	s_or_b32 exec_lo, exec_lo, s42
	s_delay_alu instid0(SALU_CYCLE_1)
	s_mov_b32 s42, exec_lo
	v_cmpx_lt_u32_e64 v96, v135
	s_cbranch_execz .LBB1331_783
.LBB1331_849:                           ;   in Loop: Header=BB1331_682 Depth=2
	global_load_b64 v[24:25], v[36:37], off offset:1280
	s_wait_alu 0xfffe
	s_or_b32 exec_lo, exec_lo, s42
	s_delay_alu instid0(SALU_CYCLE_1)
	s_mov_b32 s42, exec_lo
	v_cmpx_lt_u32_e64 v97, v135
	s_cbranch_execz .LBB1331_784
.LBB1331_850:                           ;   in Loop: Header=BB1331_682 Depth=2
	global_load_b64 v[22:23], v[36:37], off offset:1536
	s_wait_alu 0xfffe
	s_or_b32 exec_lo, exec_lo, s42
	s_delay_alu instid0(SALU_CYCLE_1)
	s_mov_b32 s42, exec_lo
	v_cmpx_lt_u32_e64 v98, v135
	s_cbranch_execz .LBB1331_785
.LBB1331_851:                           ;   in Loop: Header=BB1331_682 Depth=2
	global_load_b64 v[20:21], v[36:37], off offset:1792
	s_wait_alu 0xfffe
	s_or_b32 exec_lo, exec_lo, s42
	s_delay_alu instid0(SALU_CYCLE_1)
	s_mov_b32 s42, exec_lo
	v_cmpx_lt_u32_e64 v99, v135
	s_cbranch_execz .LBB1331_786
.LBB1331_852:                           ;   in Loop: Header=BB1331_682 Depth=2
	global_load_b64 v[18:19], v[36:37], off offset:2048
	s_wait_alu 0xfffe
	s_or_b32 exec_lo, exec_lo, s42
	s_delay_alu instid0(SALU_CYCLE_1)
	s_mov_b32 s42, exec_lo
	v_cmpx_lt_u32_e64 v100, v135
	s_cbranch_execz .LBB1331_787
.LBB1331_853:                           ;   in Loop: Header=BB1331_682 Depth=2
	global_load_b64 v[16:17], v[36:37], off offset:2304
	s_wait_alu 0xfffe
	s_or_b32 exec_lo, exec_lo, s42
	s_delay_alu instid0(SALU_CYCLE_1)
	s_mov_b32 s42, exec_lo
	v_cmpx_lt_u32_e64 v101, v135
	s_cbranch_execz .LBB1331_788
.LBB1331_854:                           ;   in Loop: Header=BB1331_682 Depth=2
	global_load_b64 v[14:15], v[36:37], off offset:2560
	s_wait_alu 0xfffe
	s_or_b32 exec_lo, exec_lo, s42
	s_delay_alu instid0(SALU_CYCLE_1)
	s_mov_b32 s42, exec_lo
	v_cmpx_lt_u32_e64 v102, v135
	s_cbranch_execz .LBB1331_789
.LBB1331_855:                           ;   in Loop: Header=BB1331_682 Depth=2
	global_load_b64 v[12:13], v[36:37], off offset:2816
	s_wait_alu 0xfffe
	s_or_b32 exec_lo, exec_lo, s42
	s_delay_alu instid0(SALU_CYCLE_1)
	s_mov_b32 s42, exec_lo
	v_cmpx_lt_u32_e64 v103, v135
	s_cbranch_execz .LBB1331_790
.LBB1331_856:                           ;   in Loop: Header=BB1331_682 Depth=2
	global_load_b64 v[10:11], v[36:37], off offset:3072
	s_wait_alu 0xfffe
	s_or_b32 exec_lo, exec_lo, s42
	s_delay_alu instid0(SALU_CYCLE_1)
	s_mov_b32 s42, exec_lo
	v_cmpx_lt_u32_e64 v104, v135
	s_cbranch_execz .LBB1331_791
.LBB1331_857:                           ;   in Loop: Header=BB1331_682 Depth=2
	global_load_b64 v[8:9], v[36:37], off offset:3328
	s_wait_alu 0xfffe
	s_or_b32 exec_lo, exec_lo, s42
	s_delay_alu instid0(SALU_CYCLE_1)
	s_mov_b32 s42, exec_lo
	v_cmpx_lt_u32_e64 v105, v135
	s_cbranch_execz .LBB1331_792
.LBB1331_858:                           ;   in Loop: Header=BB1331_682 Depth=2
	global_load_b64 v[6:7], v[36:37], off offset:3584
	s_wait_alu 0xfffe
	s_or_b32 exec_lo, exec_lo, s42
	s_delay_alu instid0(SALU_CYCLE_1)
	s_mov_b32 s42, exec_lo
	v_cmpx_lt_u32_e64 v106, v135
	s_cbranch_execz .LBB1331_793
.LBB1331_859:                           ;   in Loop: Header=BB1331_682 Depth=2
	global_load_b64 v[4:5], v[36:37], off offset:3840
	s_wait_alu 0xfffe
	s_or_b32 exec_lo, exec_lo, s42
	s_and_saveexec_b32 s42, vcc_lo
	s_cbranch_execz .LBB1331_794
.LBB1331_860:                           ;   in Loop: Header=BB1331_682 Depth=2
	ds_load_b32 v2, v70 offset:1024
	s_wait_dscnt 0x0
	v_cmp_ne_u32_e64 s30, 0x80000000, v2
	s_wait_alu 0xf1ff
	s_delay_alu instid0(VALU_DEP_1) | instskip(NEXT) | instid1(VALU_DEP_1)
	v_cndmask_b32_e64 v2, 0x7fffffff, v2, s30
	v_lshrrev_b32_e32 v2, s49, v2
	s_delay_alu instid0(VALU_DEP_1)
	v_and_b32_e32 v134, s48, v2
	s_wait_alu 0xfffe
	s_or_b32 exec_lo, exec_lo, s42
	s_and_saveexec_b32 s42, s15
	s_cbranch_execz .LBB1331_795
.LBB1331_861:                           ;   in Loop: Header=BB1331_682 Depth=2
	ds_load_b32 v2, v70 offset:2048
	s_wait_dscnt 0x0
	v_cmp_ne_u32_e64 s30, 0x80000000, v2
	s_wait_alu 0xf1ff
	s_delay_alu instid0(VALU_DEP_1) | instskip(NEXT) | instid1(VALU_DEP_1)
	v_cndmask_b32_e64 v2, 0x7fffffff, v2, s30
	v_lshrrev_b32_e32 v2, s49, v2
	s_delay_alu instid0(VALU_DEP_1)
	v_and_b32_e32 v133, s48, v2
	s_wait_alu 0xfffe
	s_or_b32 exec_lo, exec_lo, s42
	s_and_saveexec_b32 s42, s16
	s_cbranch_execz .LBB1331_796
.LBB1331_862:                           ;   in Loop: Header=BB1331_682 Depth=2
	ds_load_b32 v2, v70 offset:3072
	s_wait_dscnt 0x0
	v_cmp_ne_u32_e64 s30, 0x80000000, v2
	s_wait_alu 0xf1ff
	s_delay_alu instid0(VALU_DEP_1) | instskip(NEXT) | instid1(VALU_DEP_1)
	v_cndmask_b32_e64 v2, 0x7fffffff, v2, s30
	v_lshrrev_b32_e32 v2, s49, v2
	s_delay_alu instid0(VALU_DEP_1)
	v_and_b32_e32 v132, s48, v2
	s_wait_alu 0xfffe
	s_or_b32 exec_lo, exec_lo, s42
	s_and_saveexec_b32 s42, s17
	s_cbranch_execz .LBB1331_797
.LBB1331_863:                           ;   in Loop: Header=BB1331_682 Depth=2
	ds_load_b32 v2, v70 offset:4096
	s_wait_dscnt 0x0
	v_cmp_ne_u32_e64 s30, 0x80000000, v2
	s_wait_alu 0xf1ff
	s_delay_alu instid0(VALU_DEP_1) | instskip(NEXT) | instid1(VALU_DEP_1)
	v_cndmask_b32_e64 v2, 0x7fffffff, v2, s30
	v_lshrrev_b32_e32 v2, s49, v2
	s_delay_alu instid0(VALU_DEP_1)
	v_and_b32_e32 v131, s48, v2
	s_wait_alu 0xfffe
	s_or_b32 exec_lo, exec_lo, s42
	s_and_saveexec_b32 s42, s18
	s_cbranch_execz .LBB1331_798
.LBB1331_864:                           ;   in Loop: Header=BB1331_682 Depth=2
	ds_load_b32 v2, v70 offset:5120
	s_wait_dscnt 0x0
	v_cmp_ne_u32_e64 s30, 0x80000000, v2
	s_wait_alu 0xf1ff
	s_delay_alu instid0(VALU_DEP_1) | instskip(NEXT) | instid1(VALU_DEP_1)
	v_cndmask_b32_e64 v2, 0x7fffffff, v2, s30
	v_lshrrev_b32_e32 v2, s49, v2
	s_delay_alu instid0(VALU_DEP_1)
	v_and_b32_e32 v130, s48, v2
	s_wait_alu 0xfffe
	s_or_b32 exec_lo, exec_lo, s42
	s_and_saveexec_b32 s42, s19
	s_cbranch_execz .LBB1331_799
.LBB1331_865:                           ;   in Loop: Header=BB1331_682 Depth=2
	ds_load_b32 v2, v70 offset:6144
	s_wait_dscnt 0x0
	v_cmp_ne_u32_e64 s30, 0x80000000, v2
	s_wait_alu 0xf1ff
	s_delay_alu instid0(VALU_DEP_1) | instskip(NEXT) | instid1(VALU_DEP_1)
	v_cndmask_b32_e64 v2, 0x7fffffff, v2, s30
	v_lshrrev_b32_e32 v2, s49, v2
	s_delay_alu instid0(VALU_DEP_1)
	v_and_b32_e32 v129, s48, v2
	s_wait_alu 0xfffe
	s_or_b32 exec_lo, exec_lo, s42
	s_and_saveexec_b32 s42, s20
	s_cbranch_execz .LBB1331_800
.LBB1331_866:                           ;   in Loop: Header=BB1331_682 Depth=2
	ds_load_b32 v2, v70 offset:7168
	s_wait_dscnt 0x0
	v_cmp_ne_u32_e64 s30, 0x80000000, v2
	s_wait_alu 0xf1ff
	s_delay_alu instid0(VALU_DEP_1) | instskip(NEXT) | instid1(VALU_DEP_1)
	v_cndmask_b32_e64 v2, 0x7fffffff, v2, s30
	v_lshrrev_b32_e32 v2, s49, v2
	s_delay_alu instid0(VALU_DEP_1)
	v_and_b32_e32 v128, s48, v2
	s_wait_alu 0xfffe
	s_or_b32 exec_lo, exec_lo, s42
	s_and_saveexec_b32 s42, s21
	s_cbranch_execz .LBB1331_801
.LBB1331_867:                           ;   in Loop: Header=BB1331_682 Depth=2
	ds_load_b32 v2, v70 offset:8192
	s_wait_dscnt 0x0
	v_cmp_ne_u32_e64 s30, 0x80000000, v2
	s_wait_alu 0xf1ff
	s_delay_alu instid0(VALU_DEP_1) | instskip(NEXT) | instid1(VALU_DEP_1)
	v_cndmask_b32_e64 v2, 0x7fffffff, v2, s30
	v_lshrrev_b32_e32 v2, s49, v2
	s_delay_alu instid0(VALU_DEP_1)
	v_and_b32_e32 v127, s48, v2
	s_wait_alu 0xfffe
	s_or_b32 exec_lo, exec_lo, s42
	s_and_saveexec_b32 s42, s22
	s_cbranch_execz .LBB1331_802
.LBB1331_868:                           ;   in Loop: Header=BB1331_682 Depth=2
	ds_load_b32 v2, v70 offset:9216
	s_wait_dscnt 0x0
	v_cmp_ne_u32_e64 s30, 0x80000000, v2
	s_wait_alu 0xf1ff
	s_delay_alu instid0(VALU_DEP_1) | instskip(NEXT) | instid1(VALU_DEP_1)
	v_cndmask_b32_e64 v2, 0x7fffffff, v2, s30
	v_lshrrev_b32_e32 v2, s49, v2
	s_delay_alu instid0(VALU_DEP_1)
	v_and_b32_e32 v126, s48, v2
	s_wait_alu 0xfffe
	s_or_b32 exec_lo, exec_lo, s42
	s_and_saveexec_b32 s42, s23
	s_cbranch_execz .LBB1331_803
.LBB1331_869:                           ;   in Loop: Header=BB1331_682 Depth=2
	ds_load_b32 v2, v70 offset:10240
	s_wait_dscnt 0x0
	v_cmp_ne_u32_e64 s30, 0x80000000, v2
	s_wait_alu 0xf1ff
	s_delay_alu instid0(VALU_DEP_1) | instskip(NEXT) | instid1(VALU_DEP_1)
	v_cndmask_b32_e64 v2, 0x7fffffff, v2, s30
	v_lshrrev_b32_e32 v2, s49, v2
	s_delay_alu instid0(VALU_DEP_1)
	v_and_b32_e32 v125, s48, v2
	s_wait_alu 0xfffe
	s_or_b32 exec_lo, exec_lo, s42
	s_and_saveexec_b32 s42, s24
	s_cbranch_execz .LBB1331_804
.LBB1331_870:                           ;   in Loop: Header=BB1331_682 Depth=2
	ds_load_b32 v2, v70 offset:11264
	s_wait_dscnt 0x0
	v_cmp_ne_u32_e64 s30, 0x80000000, v2
	s_wait_alu 0xf1ff
	s_delay_alu instid0(VALU_DEP_1) | instskip(NEXT) | instid1(VALU_DEP_1)
	v_cndmask_b32_e64 v2, 0x7fffffff, v2, s30
	v_lshrrev_b32_e32 v2, s49, v2
	s_delay_alu instid0(VALU_DEP_1)
	v_and_b32_e32 v124, s48, v2
	s_wait_alu 0xfffe
	s_or_b32 exec_lo, exec_lo, s42
	s_and_saveexec_b32 s42, s25
	s_cbranch_execz .LBB1331_805
.LBB1331_871:                           ;   in Loop: Header=BB1331_682 Depth=2
	ds_load_b32 v2, v70 offset:12288
	s_wait_dscnt 0x0
	v_cmp_ne_u32_e64 s30, 0x80000000, v2
	s_wait_alu 0xf1ff
	s_delay_alu instid0(VALU_DEP_1) | instskip(NEXT) | instid1(VALU_DEP_1)
	v_cndmask_b32_e64 v2, 0x7fffffff, v2, s30
	v_lshrrev_b32_e32 v2, s49, v2
	s_delay_alu instid0(VALU_DEP_1)
	v_and_b32_e32 v123, s48, v2
	s_wait_alu 0xfffe
	s_or_b32 exec_lo, exec_lo, s42
	s_and_saveexec_b32 s42, s26
	s_cbranch_execz .LBB1331_806
.LBB1331_872:                           ;   in Loop: Header=BB1331_682 Depth=2
	ds_load_b32 v2, v70 offset:13312
	s_wait_dscnt 0x0
	v_cmp_ne_u32_e64 s30, 0x80000000, v2
	s_wait_alu 0xf1ff
	s_delay_alu instid0(VALU_DEP_1) | instskip(NEXT) | instid1(VALU_DEP_1)
	v_cndmask_b32_e64 v2, 0x7fffffff, v2, s30
	v_lshrrev_b32_e32 v2, s49, v2
	s_delay_alu instid0(VALU_DEP_1)
	v_and_b32_e32 v122, s48, v2
	s_wait_alu 0xfffe
	s_or_b32 exec_lo, exec_lo, s42
	s_and_saveexec_b32 s42, s27
	s_cbranch_execz .LBB1331_807
.LBB1331_873:                           ;   in Loop: Header=BB1331_682 Depth=2
	ds_load_b32 v2, v70 offset:14336
	s_wait_dscnt 0x0
	v_cmp_ne_u32_e64 s30, 0x80000000, v2
	s_wait_alu 0xf1ff
	s_delay_alu instid0(VALU_DEP_1) | instskip(NEXT) | instid1(VALU_DEP_1)
	v_cndmask_b32_e64 v2, 0x7fffffff, v2, s30
	v_lshrrev_b32_e32 v2, s49, v2
	s_delay_alu instid0(VALU_DEP_1)
	v_and_b32_e32 v121, s48, v2
	s_wait_alu 0xfffe
	s_or_b32 exec_lo, exec_lo, s42
	s_and_saveexec_b32 s42, s28
	s_cbranch_execz .LBB1331_808
.LBB1331_874:                           ;   in Loop: Header=BB1331_682 Depth=2
	ds_load_b32 v2, v70 offset:15360
	s_wait_dscnt 0x0
	v_cmp_ne_u32_e64 s30, 0x80000000, v2
	s_wait_alu 0xf1ff
	s_delay_alu instid0(VALU_DEP_1) | instskip(NEXT) | instid1(VALU_DEP_1)
	v_cndmask_b32_e64 v2, 0x7fffffff, v2, s30
	v_lshrrev_b32_e32 v2, s49, v2
	s_delay_alu instid0(VALU_DEP_1)
	v_and_b32_e32 v120, s48, v2
	s_wait_alu 0xfffe
	s_or_b32 exec_lo, exec_lo, s42
	s_and_saveexec_b32 s42, s29
	s_cbranch_execnz .LBB1331_809
	s_branch .LBB1331_810
.LBB1331_875:                           ;   in Loop: Header=BB1331_682 Depth=2
	v_lshlrev_b32_e32 v2, 2, v134
	v_add_nc_u32_e32 v36, v70, v44
	ds_load_b32 v2, v2
	ds_load_b64 v[36:37], v36 offset:1024
	s_wait_dscnt 0x1
	v_add_nc_u32_e32 v2, v2, v1
	s_delay_alu instid0(VALU_DEP_1) | instskip(NEXT) | instid1(VALU_DEP_1)
	v_lshlrev_b64_e32 v[39:40], 3, v[2:3]
	v_add_co_u32 v39, vcc_lo, s44, v39
	s_wait_alu 0xfffd
	s_delay_alu instid0(VALU_DEP_2)
	v_add_co_ci_u32_e64 v40, null, s45, v40, vcc_lo
	s_wait_dscnt 0x0
	global_store_b64 v[39:40], v[36:37], off
	s_wait_alu 0xfffe
	s_or_b32 exec_lo, exec_lo, s30
	s_and_saveexec_b32 s30, s15
	s_cbranch_execz .LBB1331_812
.LBB1331_876:                           ;   in Loop: Header=BB1331_682 Depth=2
	v_lshlrev_b32_e32 v2, 2, v133
	v_add_nc_u32_e32 v36, v70, v44
	ds_load_b32 v2, v2
	ds_load_b64 v[36:37], v36 offset:3072
	s_wait_dscnt 0x1
	v_add_nc_u32_e32 v2, v2, v45
	s_delay_alu instid0(VALU_DEP_1) | instskip(NEXT) | instid1(VALU_DEP_1)
	v_lshlrev_b64_e32 v[39:40], 3, v[2:3]
	v_add_co_u32 v39, vcc_lo, s44, v39
	s_wait_alu 0xfffd
	s_delay_alu instid0(VALU_DEP_2)
	v_add_co_ci_u32_e64 v40, null, s45, v40, vcc_lo
	s_wait_dscnt 0x0
	global_store_b64 v[39:40], v[36:37], off
	s_wait_alu 0xfffe
	s_or_b32 exec_lo, exec_lo, s30
	s_and_saveexec_b32 s15, s16
	s_cbranch_execz .LBB1331_813
.LBB1331_877:                           ;   in Loop: Header=BB1331_682 Depth=2
	v_lshlrev_b32_e32 v2, 2, v132
	v_add_nc_u32_e32 v36, v70, v44
	ds_load_b32 v2, v2
	ds_load_b64 v[36:37], v36 offset:5120
	s_wait_dscnt 0x1
	v_add_nc_u32_e32 v2, v2, v46
	s_delay_alu instid0(VALU_DEP_1) | instskip(NEXT) | instid1(VALU_DEP_1)
	v_lshlrev_b64_e32 v[39:40], 3, v[2:3]
	v_add_co_u32 v39, vcc_lo, s44, v39
	s_wait_alu 0xfffd
	s_delay_alu instid0(VALU_DEP_2)
	v_add_co_ci_u32_e64 v40, null, s45, v40, vcc_lo
	s_wait_dscnt 0x0
	global_store_b64 v[39:40], v[36:37], off
	s_wait_alu 0xfffe
	s_or_b32 exec_lo, exec_lo, s15
	s_and_saveexec_b32 s15, s17
	s_cbranch_execz .LBB1331_814
.LBB1331_878:                           ;   in Loop: Header=BB1331_682 Depth=2
	v_lshlrev_b32_e32 v2, 2, v131
	v_add_nc_u32_e32 v36, v70, v44
	ds_load_b32 v2, v2
	ds_load_b64 v[36:37], v36 offset:7168
	s_wait_dscnt 0x1
	v_add_nc_u32_e32 v2, v2, v47
	s_delay_alu instid0(VALU_DEP_1) | instskip(NEXT) | instid1(VALU_DEP_1)
	v_lshlrev_b64_e32 v[39:40], 3, v[2:3]
	v_add_co_u32 v39, vcc_lo, s44, v39
	s_wait_alu 0xfffd
	s_delay_alu instid0(VALU_DEP_2)
	v_add_co_ci_u32_e64 v40, null, s45, v40, vcc_lo
	s_wait_dscnt 0x0
	global_store_b64 v[39:40], v[36:37], off
	s_wait_alu 0xfffe
	s_or_b32 exec_lo, exec_lo, s15
	s_and_saveexec_b32 s15, s18
	s_cbranch_execz .LBB1331_815
.LBB1331_879:                           ;   in Loop: Header=BB1331_682 Depth=2
	v_lshlrev_b32_e32 v2, 2, v130
	v_add_nc_u32_e32 v36, v70, v44
	ds_load_b32 v2, v2
	ds_load_b64 v[36:37], v36 offset:9216
	s_wait_dscnt 0x1
	v_add_nc_u32_e32 v2, v2, v50
	s_delay_alu instid0(VALU_DEP_1) | instskip(NEXT) | instid1(VALU_DEP_1)
	v_lshlrev_b64_e32 v[39:40], 3, v[2:3]
	v_add_co_u32 v39, vcc_lo, s44, v39
	s_wait_alu 0xfffd
	s_delay_alu instid0(VALU_DEP_2)
	v_add_co_ci_u32_e64 v40, null, s45, v40, vcc_lo
	s_wait_dscnt 0x0
	global_store_b64 v[39:40], v[36:37], off
	s_wait_alu 0xfffe
	s_or_b32 exec_lo, exec_lo, s15
	s_and_saveexec_b32 s15, s19
	s_cbranch_execz .LBB1331_816
.LBB1331_880:                           ;   in Loop: Header=BB1331_682 Depth=2
	v_lshlrev_b32_e32 v2, 2, v129
	v_add_nc_u32_e32 v36, v70, v44
	ds_load_b32 v2, v2
	ds_load_b64 v[36:37], v36 offset:11264
	s_wait_dscnt 0x1
	v_add_nc_u32_e32 v2, v2, v51
	s_delay_alu instid0(VALU_DEP_1) | instskip(NEXT) | instid1(VALU_DEP_1)
	v_lshlrev_b64_e32 v[39:40], 3, v[2:3]
	v_add_co_u32 v39, vcc_lo, s44, v39
	s_wait_alu 0xfffd
	s_delay_alu instid0(VALU_DEP_2)
	v_add_co_ci_u32_e64 v40, null, s45, v40, vcc_lo
	s_wait_dscnt 0x0
	global_store_b64 v[39:40], v[36:37], off
	s_wait_alu 0xfffe
	s_or_b32 exec_lo, exec_lo, s15
	s_and_saveexec_b32 s15, s20
	s_cbranch_execz .LBB1331_817
.LBB1331_881:                           ;   in Loop: Header=BB1331_682 Depth=2
	v_lshlrev_b32_e32 v2, 2, v128
	v_add_nc_u32_e32 v36, v70, v44
	ds_load_b32 v2, v2
	ds_load_b64 v[36:37], v36 offset:13312
	s_wait_dscnt 0x1
	v_add_nc_u32_e32 v2, v2, v52
	s_delay_alu instid0(VALU_DEP_1) | instskip(NEXT) | instid1(VALU_DEP_1)
	v_lshlrev_b64_e32 v[39:40], 3, v[2:3]
	v_add_co_u32 v39, vcc_lo, s44, v39
	s_wait_alu 0xfffd
	s_delay_alu instid0(VALU_DEP_2)
	v_add_co_ci_u32_e64 v40, null, s45, v40, vcc_lo
	s_wait_dscnt 0x0
	global_store_b64 v[39:40], v[36:37], off
	s_wait_alu 0xfffe
	s_or_b32 exec_lo, exec_lo, s15
	s_and_saveexec_b32 s15, s21
	s_cbranch_execz .LBB1331_818
.LBB1331_882:                           ;   in Loop: Header=BB1331_682 Depth=2
	v_lshlrev_b32_e32 v2, 2, v127
	v_add_nc_u32_e32 v36, v70, v44
	ds_load_b32 v2, v2
	ds_load_b64 v[36:37], v36 offset:15360
	s_wait_dscnt 0x1
	v_add_nc_u32_e32 v2, v2, v53
	s_delay_alu instid0(VALU_DEP_1) | instskip(NEXT) | instid1(VALU_DEP_1)
	v_lshlrev_b64_e32 v[39:40], 3, v[2:3]
	v_add_co_u32 v39, vcc_lo, s44, v39
	s_wait_alu 0xfffd
	s_delay_alu instid0(VALU_DEP_2)
	v_add_co_ci_u32_e64 v40, null, s45, v40, vcc_lo
	s_wait_dscnt 0x0
	global_store_b64 v[39:40], v[36:37], off
	s_wait_alu 0xfffe
	s_or_b32 exec_lo, exec_lo, s15
	s_and_saveexec_b32 s15, s22
	s_cbranch_execz .LBB1331_819
.LBB1331_883:                           ;   in Loop: Header=BB1331_682 Depth=2
	v_lshlrev_b32_e32 v2, 2, v126
	v_add_nc_u32_e32 v36, v70, v44
	ds_load_b32 v2, v2
	ds_load_b64 v[36:37], v36 offset:17408
	s_wait_dscnt 0x1
	v_add_nc_u32_e32 v2, v2, v54
	s_delay_alu instid0(VALU_DEP_1) | instskip(NEXT) | instid1(VALU_DEP_1)
	v_lshlrev_b64_e32 v[39:40], 3, v[2:3]
	v_add_co_u32 v39, vcc_lo, s44, v39
	s_wait_alu 0xfffd
	s_delay_alu instid0(VALU_DEP_2)
	v_add_co_ci_u32_e64 v40, null, s45, v40, vcc_lo
	s_wait_dscnt 0x0
	global_store_b64 v[39:40], v[36:37], off
	s_wait_alu 0xfffe
	s_or_b32 exec_lo, exec_lo, s15
	s_and_saveexec_b32 s15, s23
	s_cbranch_execz .LBB1331_820
.LBB1331_884:                           ;   in Loop: Header=BB1331_682 Depth=2
	v_lshlrev_b32_e32 v2, 2, v125
	v_add_nc_u32_e32 v36, v70, v44
	ds_load_b32 v2, v2
	ds_load_b64 v[36:37], v36 offset:19456
	s_wait_dscnt 0x1
	v_add_nc_u32_e32 v2, v2, v55
	s_delay_alu instid0(VALU_DEP_1) | instskip(NEXT) | instid1(VALU_DEP_1)
	v_lshlrev_b64_e32 v[39:40], 3, v[2:3]
	v_add_co_u32 v39, vcc_lo, s44, v39
	s_wait_alu 0xfffd
	s_delay_alu instid0(VALU_DEP_2)
	v_add_co_ci_u32_e64 v40, null, s45, v40, vcc_lo
	s_wait_dscnt 0x0
	global_store_b64 v[39:40], v[36:37], off
	s_wait_alu 0xfffe
	s_or_b32 exec_lo, exec_lo, s15
	s_and_saveexec_b32 s15, s24
	s_cbranch_execz .LBB1331_821
.LBB1331_885:                           ;   in Loop: Header=BB1331_682 Depth=2
	v_lshlrev_b32_e32 v2, 2, v124
	v_add_nc_u32_e32 v36, v70, v44
	ds_load_b32 v2, v2
	ds_load_b64 v[36:37], v36 offset:21504
	s_wait_dscnt 0x1
	v_add_nc_u32_e32 v2, v2, v56
	s_delay_alu instid0(VALU_DEP_1) | instskip(NEXT) | instid1(VALU_DEP_1)
	v_lshlrev_b64_e32 v[39:40], 3, v[2:3]
	v_add_co_u32 v39, vcc_lo, s44, v39
	s_wait_alu 0xfffd
	s_delay_alu instid0(VALU_DEP_2)
	v_add_co_ci_u32_e64 v40, null, s45, v40, vcc_lo
	s_wait_dscnt 0x0
	global_store_b64 v[39:40], v[36:37], off
	s_wait_alu 0xfffe
	s_or_b32 exec_lo, exec_lo, s15
	s_and_saveexec_b32 s15, s25
	s_cbranch_execz .LBB1331_822
.LBB1331_886:                           ;   in Loop: Header=BB1331_682 Depth=2
	v_lshlrev_b32_e32 v2, 2, v123
	v_add_nc_u32_e32 v36, v70, v44
	ds_load_b32 v2, v2
	ds_load_b64 v[36:37], v36 offset:23552
	s_wait_dscnt 0x1
	v_add_nc_u32_e32 v2, v2, v57
	s_delay_alu instid0(VALU_DEP_1) | instskip(NEXT) | instid1(VALU_DEP_1)
	v_lshlrev_b64_e32 v[39:40], 3, v[2:3]
	v_add_co_u32 v39, vcc_lo, s44, v39
	s_wait_alu 0xfffd
	s_delay_alu instid0(VALU_DEP_2)
	v_add_co_ci_u32_e64 v40, null, s45, v40, vcc_lo
	s_wait_dscnt 0x0
	global_store_b64 v[39:40], v[36:37], off
	s_wait_alu 0xfffe
	s_or_b32 exec_lo, exec_lo, s15
	s_and_saveexec_b32 s15, s26
	s_cbranch_execz .LBB1331_823
.LBB1331_887:                           ;   in Loop: Header=BB1331_682 Depth=2
	v_lshlrev_b32_e32 v2, 2, v122
	v_add_nc_u32_e32 v36, v70, v44
	ds_load_b32 v2, v2
	ds_load_b64 v[36:37], v36 offset:25600
	s_wait_dscnt 0x1
	v_add_nc_u32_e32 v2, v2, v58
	s_delay_alu instid0(VALU_DEP_1) | instskip(NEXT) | instid1(VALU_DEP_1)
	v_lshlrev_b64_e32 v[39:40], 3, v[2:3]
	v_add_co_u32 v39, vcc_lo, s44, v39
	s_wait_alu 0xfffd
	s_delay_alu instid0(VALU_DEP_2)
	v_add_co_ci_u32_e64 v40, null, s45, v40, vcc_lo
	s_wait_dscnt 0x0
	global_store_b64 v[39:40], v[36:37], off
	s_wait_alu 0xfffe
	s_or_b32 exec_lo, exec_lo, s15
	s_and_saveexec_b32 s15, s27
	s_cbranch_execz .LBB1331_824
.LBB1331_888:                           ;   in Loop: Header=BB1331_682 Depth=2
	v_lshlrev_b32_e32 v2, 2, v121
	v_add_nc_u32_e32 v36, v70, v44
	ds_load_b32 v2, v2
	ds_load_b64 v[36:37], v36 offset:27648
	s_wait_dscnt 0x1
	v_add_nc_u32_e32 v2, v2, v59
	s_delay_alu instid0(VALU_DEP_1) | instskip(NEXT) | instid1(VALU_DEP_1)
	v_lshlrev_b64_e32 v[39:40], 3, v[2:3]
	v_add_co_u32 v39, vcc_lo, s44, v39
	s_wait_alu 0xfffd
	s_delay_alu instid0(VALU_DEP_2)
	v_add_co_ci_u32_e64 v40, null, s45, v40, vcc_lo
	s_wait_dscnt 0x0
	global_store_b64 v[39:40], v[36:37], off
	s_wait_alu 0xfffe
	s_or_b32 exec_lo, exec_lo, s15
	s_and_saveexec_b32 s15, s28
	s_cbranch_execz .LBB1331_825
.LBB1331_889:                           ;   in Loop: Header=BB1331_682 Depth=2
	v_lshlrev_b32_e32 v2, 2, v120
	v_add_nc_u32_e32 v36, v70, v44
	ds_load_b32 v2, v2
	ds_load_b64 v[36:37], v36 offset:29696
	s_wait_dscnt 0x1
	v_add_nc_u32_e32 v2, v2, v60
	s_delay_alu instid0(VALU_DEP_1) | instskip(NEXT) | instid1(VALU_DEP_1)
	v_lshlrev_b64_e32 v[39:40], 3, v[2:3]
	v_add_co_u32 v39, vcc_lo, s44, v39
	s_wait_alu 0xfffd
	s_delay_alu instid0(VALU_DEP_2)
	v_add_co_ci_u32_e64 v40, null, s45, v40, vcc_lo
	s_wait_dscnt 0x0
	global_store_b64 v[39:40], v[36:37], off
	s_wait_alu 0xfffe
	s_or_b32 exec_lo, exec_lo, s15
	s_and_saveexec_b32 s15, s29
	s_cbranch_execnz .LBB1331_826
	s_branch .LBB1331_827
.LBB1331_890:                           ;   in Loop: Header=BB1331_12 Depth=1
	s_wait_loadcnt_dscnt 0x0
	s_barrier_signal -1
	s_mov_b32 s0, 0
	s_barrier_wait -1
.LBB1331_891:                           ;   in Loop: Header=BB1331_12 Depth=1
	s_wait_alu 0xfffe
	s_and_b32 vcc_lo, exec_lo, s0
	s_wait_alu 0xfffe
	s_cbranch_vccz .LBB1331_11
; %bb.892:                              ;   in Loop: Header=BB1331_12 Depth=1
	s_mov_b32 s9, s53
	s_mov_b32 s42, s33
	s_barrier_signal -1
	s_barrier_wait -1
	global_inv scope:SCOPE_SE
                                        ; implicit-def: $vgpr2
                                        ; implicit-def: $vgpr4
                                        ; implicit-def: $vgpr5
                                        ; implicit-def: $vgpr6
                                        ; implicit-def: $vgpr7
                                        ; implicit-def: $vgpr8
                                        ; implicit-def: $vgpr9
                                        ; implicit-def: $vgpr10
                                        ; implicit-def: $vgpr11
                                        ; implicit-def: $vgpr12
                                        ; implicit-def: $vgpr13
                                        ; implicit-def: $vgpr14
                                        ; implicit-def: $vgpr15
                                        ; implicit-def: $vgpr16
                                        ; implicit-def: $vgpr17
                                        ; implicit-def: $vgpr18
	s_branch .LBB1331_894
.LBB1331_893:                           ;   in Loop: Header=BB1331_894 Depth=2
	s_wait_alu 0xfffe
	s_or_b32 exec_lo, exec_lo, s0
	s_addk_co_i32 s9, 0xf000
	s_cmp_ge_u32 s10, s51
	s_mov_b32 s42, s10
	s_cbranch_scc1 .LBB1331_962
.LBB1331_894:                           ;   Parent Loop BB1331_12 Depth=1
                                        ; =>  This Inner Loop Header: Depth=2
	s_wait_alu 0xfffe
	s_add_co_i32 s10, s42, 0x1000
	s_mov_b32 s0, -1
	s_wait_alu 0xfffe
	s_cmp_gt_u32 s10, s51
                                        ; implicit-def: $vgpr19
                                        ; implicit-def: $vgpr20
                                        ; implicit-def: $vgpr21
                                        ; implicit-def: $vgpr22
                                        ; implicit-def: $vgpr23
                                        ; implicit-def: $vgpr24
                                        ; implicit-def: $vgpr25
                                        ; implicit-def: $vgpr26
                                        ; implicit-def: $vgpr27
                                        ; implicit-def: $vgpr28
                                        ; implicit-def: $vgpr29
                                        ; implicit-def: $vgpr30
                                        ; implicit-def: $vgpr31
                                        ; implicit-def: $vgpr32
                                        ; implicit-def: $vgpr33
                                        ; implicit-def: $vgpr34
	s_cbranch_scc1 .LBB1331_896
; %bb.895:                              ;   in Loop: Header=BB1331_894 Depth=2
	s_lshl_b64 s[0:1], s[42:43], 2
	s_wait_alu 0xfffe
	v_add_co_u32 v34, vcc_lo, v77, s0
	s_wait_alu 0xfffd
	v_add_co_ci_u32_e64 v35, null, s1, v78, vcc_lo
	s_mov_b32 s0, 0
	s_clause 0xf
	global_load_b32 v19, v[34:35], off
	global_load_b32 v20, v[34:35], off offset:1024
	global_load_b32 v21, v[34:35], off offset:2048
	;; [unrolled: 1-line block ×15, first 2 shown]
.LBB1331_896:                           ;   in Loop: Header=BB1331_894 Depth=2
	s_wait_alu 0xfffe
	s_and_not1_b32 vcc_lo, exec_lo, s0
	s_movk_i32 s0, 0x1000
	s_wait_alu 0xfffe
	s_cbranch_vccnz .LBB1331_915
; %bb.897:                              ;   in Loop: Header=BB1331_894 Depth=2
	s_lshl_b64 s[0:1], s[42:43], 2
	s_mov_b32 s11, exec_lo
	s_wait_alu 0xfffe
	s_add_nc_u64 s[0:1], s[36:37], s[0:1]
	v_cmpx_gt_u32_e64 s9, v1
	s_cbranch_execnz .LBB1331_947
; %bb.898:                              ;   in Loop: Header=BB1331_894 Depth=2
	s_or_b32 exec_lo, exec_lo, s11
	s_delay_alu instid0(SALU_CYCLE_1)
	s_mov_b32 s11, exec_lo
	v_cmpx_gt_u32_e64 s9, v45
	s_cbranch_execnz .LBB1331_948
.LBB1331_899:                           ;   in Loop: Header=BB1331_894 Depth=2
	s_wait_alu 0xfffe
	s_or_b32 exec_lo, exec_lo, s11
	s_delay_alu instid0(SALU_CYCLE_1)
	s_mov_b32 s11, exec_lo
	v_cmpx_gt_u32_e64 s9, v46
	s_cbranch_execnz .LBB1331_949
.LBB1331_900:                           ;   in Loop: Header=BB1331_894 Depth=2
	s_wait_alu 0xfffe
	s_or_b32 exec_lo, exec_lo, s11
	s_delay_alu instid0(SALU_CYCLE_1)
	s_mov_b32 s11, exec_lo
	v_cmpx_gt_u32_e64 s9, v47
	s_cbranch_execnz .LBB1331_950
.LBB1331_901:                           ;   in Loop: Header=BB1331_894 Depth=2
	s_wait_alu 0xfffe
	s_or_b32 exec_lo, exec_lo, s11
	s_delay_alu instid0(SALU_CYCLE_1)
	s_mov_b32 s11, exec_lo
	v_cmpx_gt_u32_e64 s9, v50
	s_cbranch_execnz .LBB1331_951
.LBB1331_902:                           ;   in Loop: Header=BB1331_894 Depth=2
	s_wait_alu 0xfffe
	s_or_b32 exec_lo, exec_lo, s11
	s_delay_alu instid0(SALU_CYCLE_1)
	s_mov_b32 s11, exec_lo
	v_cmpx_gt_u32_e64 s9, v51
	s_cbranch_execnz .LBB1331_952
.LBB1331_903:                           ;   in Loop: Header=BB1331_894 Depth=2
	s_wait_alu 0xfffe
	s_or_b32 exec_lo, exec_lo, s11
	s_delay_alu instid0(SALU_CYCLE_1)
	s_mov_b32 s11, exec_lo
	v_cmpx_gt_u32_e64 s9, v52
	s_cbranch_execnz .LBB1331_953
.LBB1331_904:                           ;   in Loop: Header=BB1331_894 Depth=2
	s_wait_alu 0xfffe
	s_or_b32 exec_lo, exec_lo, s11
	s_delay_alu instid0(SALU_CYCLE_1)
	s_mov_b32 s11, exec_lo
	v_cmpx_gt_u32_e64 s9, v53
	s_cbranch_execnz .LBB1331_954
.LBB1331_905:                           ;   in Loop: Header=BB1331_894 Depth=2
	s_wait_alu 0xfffe
	s_or_b32 exec_lo, exec_lo, s11
	s_delay_alu instid0(SALU_CYCLE_1)
	s_mov_b32 s11, exec_lo
	v_cmpx_gt_u32_e64 s9, v54
	s_cbranch_execnz .LBB1331_955
.LBB1331_906:                           ;   in Loop: Header=BB1331_894 Depth=2
	s_wait_alu 0xfffe
	s_or_b32 exec_lo, exec_lo, s11
	s_delay_alu instid0(SALU_CYCLE_1)
	s_mov_b32 s11, exec_lo
	v_cmpx_gt_u32_e64 s9, v55
	s_cbranch_execnz .LBB1331_956
.LBB1331_907:                           ;   in Loop: Header=BB1331_894 Depth=2
	s_wait_alu 0xfffe
	s_or_b32 exec_lo, exec_lo, s11
	s_delay_alu instid0(SALU_CYCLE_1)
	s_mov_b32 s11, exec_lo
	v_cmpx_gt_u32_e64 s9, v56
	s_cbranch_execnz .LBB1331_957
.LBB1331_908:                           ;   in Loop: Header=BB1331_894 Depth=2
	s_wait_alu 0xfffe
	s_or_b32 exec_lo, exec_lo, s11
	s_delay_alu instid0(SALU_CYCLE_1)
	s_mov_b32 s11, exec_lo
	v_cmpx_gt_u32_e64 s9, v57
	s_cbranch_execnz .LBB1331_958
.LBB1331_909:                           ;   in Loop: Header=BB1331_894 Depth=2
	s_wait_alu 0xfffe
	s_or_b32 exec_lo, exec_lo, s11
	s_delay_alu instid0(SALU_CYCLE_1)
	s_mov_b32 s11, exec_lo
	v_cmpx_gt_u32_e64 s9, v58
	s_cbranch_execnz .LBB1331_959
.LBB1331_910:                           ;   in Loop: Header=BB1331_894 Depth=2
	s_wait_alu 0xfffe
	s_or_b32 exec_lo, exec_lo, s11
	s_delay_alu instid0(SALU_CYCLE_1)
	s_mov_b32 s11, exec_lo
	v_cmpx_gt_u32_e64 s9, v59
	s_cbranch_execnz .LBB1331_960
.LBB1331_911:                           ;   in Loop: Header=BB1331_894 Depth=2
	s_wait_alu 0xfffe
	s_or_b32 exec_lo, exec_lo, s11
	s_delay_alu instid0(SALU_CYCLE_1)
	s_mov_b32 s11, exec_lo
	v_cmpx_gt_u32_e64 s9, v60
	s_cbranch_execnz .LBB1331_961
.LBB1331_912:                           ;   in Loop: Header=BB1331_894 Depth=2
	s_wait_alu 0xfffe
	s_or_b32 exec_lo, exec_lo, s11
	s_delay_alu instid0(SALU_CYCLE_1)
	s_mov_b32 s11, exec_lo
	v_cmpx_gt_u32_e64 s9, v61
	s_cbranch_execz .LBB1331_914
.LBB1331_913:                           ;   in Loop: Header=BB1331_894 Depth=2
	global_load_b32 v2, v108, s[0:1] offset:15360
.LBB1331_914:                           ;   in Loop: Header=BB1331_894 Depth=2
	s_wait_alu 0xfffe
	s_or_b32 exec_lo, exec_lo, s11
	s_wait_loadcnt 0x0
	v_dual_mov_b32 v19, v18 :: v_dual_mov_b32 v20, v17
	v_dual_mov_b32 v21, v16 :: v_dual_mov_b32 v22, v15
	;; [unrolled: 1-line block ×8, first 2 shown]
	s_mov_b32 s0, s9
.LBB1331_915:                           ;   in Loop: Header=BB1331_894 Depth=2
	s_wait_loadcnt 0x0
	s_delay_alu instid0(VALU_DEP_1) | instskip(NEXT) | instid1(VALU_DEP_2)
	v_dual_mov_b32 v2, v34 :: v_dual_mov_b32 v5, v32
	v_dual_mov_b32 v4, v33 :: v_dual_mov_b32 v7, v30
	;; [unrolled: 1-line block ×7, first 2 shown]
	v_mov_b32_e32 v16, v21
	v_mov_b32_e32 v18, v19
	s_mov_b32 s1, exec_lo
	s_wait_alu 0xfffe
	v_cmpx_gt_u32_e64 s0, v1
	s_cbranch_execnz .LBB1331_931
; %bb.916:                              ;   in Loop: Header=BB1331_894 Depth=2
	s_or_b32 exec_lo, exec_lo, s1
	s_delay_alu instid0(SALU_CYCLE_1)
	s_mov_b32 s1, exec_lo
	v_cmpx_gt_u32_e64 s0, v45
	s_cbranch_execnz .LBB1331_932
.LBB1331_917:                           ;   in Loop: Header=BB1331_894 Depth=2
	s_wait_alu 0xfffe
	s_or_b32 exec_lo, exec_lo, s1
	s_delay_alu instid0(SALU_CYCLE_1)
	s_mov_b32 s1, exec_lo
	v_cmpx_gt_u32_e64 s0, v46
	s_cbranch_execnz .LBB1331_933
.LBB1331_918:                           ;   in Loop: Header=BB1331_894 Depth=2
	s_wait_alu 0xfffe
	s_or_b32 exec_lo, exec_lo, s1
	s_delay_alu instid0(SALU_CYCLE_1)
	s_mov_b32 s1, exec_lo
	v_cmpx_gt_u32_e64 s0, v47
	s_cbranch_execnz .LBB1331_934
.LBB1331_919:                           ;   in Loop: Header=BB1331_894 Depth=2
	s_wait_alu 0xfffe
	s_or_b32 exec_lo, exec_lo, s1
	s_delay_alu instid0(SALU_CYCLE_1)
	s_mov_b32 s1, exec_lo
	v_cmpx_gt_u32_e64 s0, v50
	s_cbranch_execnz .LBB1331_935
.LBB1331_920:                           ;   in Loop: Header=BB1331_894 Depth=2
	s_wait_alu 0xfffe
	s_or_b32 exec_lo, exec_lo, s1
	s_delay_alu instid0(SALU_CYCLE_1)
	s_mov_b32 s1, exec_lo
	v_cmpx_gt_u32_e64 s0, v51
	s_cbranch_execnz .LBB1331_936
.LBB1331_921:                           ;   in Loop: Header=BB1331_894 Depth=2
	s_wait_alu 0xfffe
	s_or_b32 exec_lo, exec_lo, s1
	s_delay_alu instid0(SALU_CYCLE_1)
	s_mov_b32 s1, exec_lo
	v_cmpx_gt_u32_e64 s0, v52
	s_cbranch_execnz .LBB1331_937
.LBB1331_922:                           ;   in Loop: Header=BB1331_894 Depth=2
	s_wait_alu 0xfffe
	s_or_b32 exec_lo, exec_lo, s1
	s_delay_alu instid0(SALU_CYCLE_1)
	s_mov_b32 s1, exec_lo
	v_cmpx_gt_u32_e64 s0, v53
	s_cbranch_execnz .LBB1331_938
.LBB1331_923:                           ;   in Loop: Header=BB1331_894 Depth=2
	s_wait_alu 0xfffe
	s_or_b32 exec_lo, exec_lo, s1
	s_delay_alu instid0(SALU_CYCLE_1)
	s_mov_b32 s1, exec_lo
	v_cmpx_gt_u32_e64 s0, v54
	s_cbranch_execnz .LBB1331_939
.LBB1331_924:                           ;   in Loop: Header=BB1331_894 Depth=2
	s_wait_alu 0xfffe
	s_or_b32 exec_lo, exec_lo, s1
	s_delay_alu instid0(SALU_CYCLE_1)
	s_mov_b32 s1, exec_lo
	v_cmpx_gt_u32_e64 s0, v55
	s_cbranch_execnz .LBB1331_940
.LBB1331_925:                           ;   in Loop: Header=BB1331_894 Depth=2
	s_wait_alu 0xfffe
	s_or_b32 exec_lo, exec_lo, s1
	s_delay_alu instid0(SALU_CYCLE_1)
	s_mov_b32 s1, exec_lo
	v_cmpx_gt_u32_e64 s0, v56
	s_cbranch_execnz .LBB1331_941
.LBB1331_926:                           ;   in Loop: Header=BB1331_894 Depth=2
	s_wait_alu 0xfffe
	s_or_b32 exec_lo, exec_lo, s1
	s_delay_alu instid0(SALU_CYCLE_1)
	s_mov_b32 s1, exec_lo
	v_cmpx_gt_u32_e64 s0, v57
	s_cbranch_execnz .LBB1331_942
.LBB1331_927:                           ;   in Loop: Header=BB1331_894 Depth=2
	s_wait_alu 0xfffe
	s_or_b32 exec_lo, exec_lo, s1
	s_delay_alu instid0(SALU_CYCLE_1)
	s_mov_b32 s1, exec_lo
	v_cmpx_gt_u32_e64 s0, v58
	s_cbranch_execnz .LBB1331_943
.LBB1331_928:                           ;   in Loop: Header=BB1331_894 Depth=2
	s_wait_alu 0xfffe
	s_or_b32 exec_lo, exec_lo, s1
	s_delay_alu instid0(SALU_CYCLE_1)
	s_mov_b32 s1, exec_lo
	v_cmpx_gt_u32_e64 s0, v59
	s_cbranch_execnz .LBB1331_944
.LBB1331_929:                           ;   in Loop: Header=BB1331_894 Depth=2
	s_wait_alu 0xfffe
	s_or_b32 exec_lo, exec_lo, s1
	s_delay_alu instid0(SALU_CYCLE_1)
	s_mov_b32 s1, exec_lo
	v_cmpx_gt_u32_e64 s0, v60
	s_cbranch_execnz .LBB1331_945
.LBB1331_930:                           ;   in Loop: Header=BB1331_894 Depth=2
	s_wait_alu 0xfffe
	s_or_b32 exec_lo, exec_lo, s1
	v_cmp_gt_u32_e32 vcc_lo, s0, v61
	s_and_saveexec_b32 s0, vcc_lo
	s_cbranch_execz .LBB1331_893
	s_branch .LBB1331_946
.LBB1331_931:                           ;   in Loop: Header=BB1331_894 Depth=2
	v_cmp_gt_i32_e32 vcc_lo, 0, v18
	s_wait_alu 0xfffd
	v_cndmask_b32_e64 v19, 0x7fffffff, 0, vcc_lo
	s_delay_alu instid0(VALU_DEP_1) | instskip(NEXT) | instid1(VALU_DEP_1)
	v_xor_b32_e32 v19, v19, v18
	v_cmp_ne_u32_e32 vcc_lo, 0x80000000, v19
	s_wait_alu 0xfffd
	v_cndmask_b32_e32 v19, 0x7fffffff, v19, vcc_lo
	s_delay_alu instid0(VALU_DEP_1) | instskip(NEXT) | instid1(VALU_DEP_1)
	v_lshrrev_b32_e32 v19, s49, v19
	v_and_b32_e32 v19, s48, v19
	s_delay_alu instid0(VALU_DEP_1) | instskip(SKIP_2) | instid1(SALU_CYCLE_1)
	v_lshl_or_b32 v19, v19, 4, v62
	ds_add_u32 v19, v84
	s_or_b32 exec_lo, exec_lo, s1
	s_mov_b32 s1, exec_lo
	v_cmpx_gt_u32_e64 s0, v45
	s_cbranch_execz .LBB1331_917
.LBB1331_932:                           ;   in Loop: Header=BB1331_894 Depth=2
	v_cmp_gt_i32_e32 vcc_lo, 0, v17
	s_wait_alu 0xfffd
	v_cndmask_b32_e64 v19, 0x7fffffff, 0, vcc_lo
	s_delay_alu instid0(VALU_DEP_1) | instskip(NEXT) | instid1(VALU_DEP_1)
	v_xor_b32_e32 v19, v19, v17
	v_cmp_ne_u32_e32 vcc_lo, 0x80000000, v19
	s_wait_alu 0xfffd
	v_cndmask_b32_e32 v19, 0x7fffffff, v19, vcc_lo
	s_delay_alu instid0(VALU_DEP_1) | instskip(NEXT) | instid1(VALU_DEP_1)
	v_lshrrev_b32_e32 v19, s49, v19
	v_and_b32_e32 v19, s48, v19
	s_delay_alu instid0(VALU_DEP_1) | instskip(SKIP_3) | instid1(SALU_CYCLE_1)
	v_lshl_or_b32 v19, v19, 4, v62
	ds_add_u32 v19, v84
	s_wait_alu 0xfffe
	s_or_b32 exec_lo, exec_lo, s1
	s_mov_b32 s1, exec_lo
	v_cmpx_gt_u32_e64 s0, v46
	s_cbranch_execz .LBB1331_918
.LBB1331_933:                           ;   in Loop: Header=BB1331_894 Depth=2
	v_cmp_gt_i32_e32 vcc_lo, 0, v16
	s_wait_alu 0xfffd
	v_cndmask_b32_e64 v19, 0x7fffffff, 0, vcc_lo
	s_delay_alu instid0(VALU_DEP_1) | instskip(NEXT) | instid1(VALU_DEP_1)
	v_xor_b32_e32 v19, v19, v16
	v_cmp_ne_u32_e32 vcc_lo, 0x80000000, v19
	s_wait_alu 0xfffd
	v_cndmask_b32_e32 v19, 0x7fffffff, v19, vcc_lo
	s_delay_alu instid0(VALU_DEP_1) | instskip(NEXT) | instid1(VALU_DEP_1)
	v_lshrrev_b32_e32 v19, s49, v19
	v_and_b32_e32 v19, s48, v19
	s_delay_alu instid0(VALU_DEP_1) | instskip(SKIP_3) | instid1(SALU_CYCLE_1)
	v_lshl_or_b32 v19, v19, 4, v62
	ds_add_u32 v19, v84
	s_wait_alu 0xfffe
	s_or_b32 exec_lo, exec_lo, s1
	s_mov_b32 s1, exec_lo
	v_cmpx_gt_u32_e64 s0, v47
	s_cbranch_execz .LBB1331_919
.LBB1331_934:                           ;   in Loop: Header=BB1331_894 Depth=2
	v_cmp_gt_i32_e32 vcc_lo, 0, v15
	s_wait_alu 0xfffd
	v_cndmask_b32_e64 v19, 0x7fffffff, 0, vcc_lo
	s_delay_alu instid0(VALU_DEP_1) | instskip(NEXT) | instid1(VALU_DEP_1)
	v_xor_b32_e32 v19, v19, v15
	v_cmp_ne_u32_e32 vcc_lo, 0x80000000, v19
	s_wait_alu 0xfffd
	v_cndmask_b32_e32 v19, 0x7fffffff, v19, vcc_lo
	s_delay_alu instid0(VALU_DEP_1) | instskip(NEXT) | instid1(VALU_DEP_1)
	v_lshrrev_b32_e32 v19, s49, v19
	v_and_b32_e32 v19, s48, v19
	s_delay_alu instid0(VALU_DEP_1) | instskip(SKIP_3) | instid1(SALU_CYCLE_1)
	v_lshl_or_b32 v19, v19, 4, v62
	ds_add_u32 v19, v84
	s_wait_alu 0xfffe
	s_or_b32 exec_lo, exec_lo, s1
	s_mov_b32 s1, exec_lo
	v_cmpx_gt_u32_e64 s0, v50
	s_cbranch_execz .LBB1331_920
.LBB1331_935:                           ;   in Loop: Header=BB1331_894 Depth=2
	v_cmp_gt_i32_e32 vcc_lo, 0, v14
	s_wait_alu 0xfffd
	v_cndmask_b32_e64 v19, 0x7fffffff, 0, vcc_lo
	s_delay_alu instid0(VALU_DEP_1) | instskip(NEXT) | instid1(VALU_DEP_1)
	v_xor_b32_e32 v19, v19, v14
	v_cmp_ne_u32_e32 vcc_lo, 0x80000000, v19
	s_wait_alu 0xfffd
	v_cndmask_b32_e32 v19, 0x7fffffff, v19, vcc_lo
	s_delay_alu instid0(VALU_DEP_1) | instskip(NEXT) | instid1(VALU_DEP_1)
	v_lshrrev_b32_e32 v19, s49, v19
	v_and_b32_e32 v19, s48, v19
	s_delay_alu instid0(VALU_DEP_1) | instskip(SKIP_3) | instid1(SALU_CYCLE_1)
	v_lshl_or_b32 v19, v19, 4, v62
	ds_add_u32 v19, v84
	s_wait_alu 0xfffe
	s_or_b32 exec_lo, exec_lo, s1
	s_mov_b32 s1, exec_lo
	v_cmpx_gt_u32_e64 s0, v51
	s_cbranch_execz .LBB1331_921
.LBB1331_936:                           ;   in Loop: Header=BB1331_894 Depth=2
	v_cmp_gt_i32_e32 vcc_lo, 0, v13
	s_wait_alu 0xfffd
	v_cndmask_b32_e64 v19, 0x7fffffff, 0, vcc_lo
	s_delay_alu instid0(VALU_DEP_1) | instskip(NEXT) | instid1(VALU_DEP_1)
	v_xor_b32_e32 v19, v19, v13
	v_cmp_ne_u32_e32 vcc_lo, 0x80000000, v19
	s_wait_alu 0xfffd
	v_cndmask_b32_e32 v19, 0x7fffffff, v19, vcc_lo
	s_delay_alu instid0(VALU_DEP_1) | instskip(NEXT) | instid1(VALU_DEP_1)
	v_lshrrev_b32_e32 v19, s49, v19
	v_and_b32_e32 v19, s48, v19
	s_delay_alu instid0(VALU_DEP_1) | instskip(SKIP_3) | instid1(SALU_CYCLE_1)
	v_lshl_or_b32 v19, v19, 4, v62
	ds_add_u32 v19, v84
	s_wait_alu 0xfffe
	s_or_b32 exec_lo, exec_lo, s1
	s_mov_b32 s1, exec_lo
	v_cmpx_gt_u32_e64 s0, v52
	s_cbranch_execz .LBB1331_922
.LBB1331_937:                           ;   in Loop: Header=BB1331_894 Depth=2
	v_cmp_gt_i32_e32 vcc_lo, 0, v12
	s_wait_alu 0xfffd
	v_cndmask_b32_e64 v19, 0x7fffffff, 0, vcc_lo
	s_delay_alu instid0(VALU_DEP_1) | instskip(NEXT) | instid1(VALU_DEP_1)
	v_xor_b32_e32 v19, v19, v12
	v_cmp_ne_u32_e32 vcc_lo, 0x80000000, v19
	s_wait_alu 0xfffd
	v_cndmask_b32_e32 v19, 0x7fffffff, v19, vcc_lo
	s_delay_alu instid0(VALU_DEP_1) | instskip(NEXT) | instid1(VALU_DEP_1)
	v_lshrrev_b32_e32 v19, s49, v19
	v_and_b32_e32 v19, s48, v19
	s_delay_alu instid0(VALU_DEP_1) | instskip(SKIP_3) | instid1(SALU_CYCLE_1)
	v_lshl_or_b32 v19, v19, 4, v62
	ds_add_u32 v19, v84
	s_wait_alu 0xfffe
	s_or_b32 exec_lo, exec_lo, s1
	s_mov_b32 s1, exec_lo
	v_cmpx_gt_u32_e64 s0, v53
	s_cbranch_execz .LBB1331_923
.LBB1331_938:                           ;   in Loop: Header=BB1331_894 Depth=2
	v_cmp_gt_i32_e32 vcc_lo, 0, v11
	s_wait_alu 0xfffd
	v_cndmask_b32_e64 v19, 0x7fffffff, 0, vcc_lo
	s_delay_alu instid0(VALU_DEP_1) | instskip(NEXT) | instid1(VALU_DEP_1)
	v_xor_b32_e32 v19, v19, v11
	v_cmp_ne_u32_e32 vcc_lo, 0x80000000, v19
	s_wait_alu 0xfffd
	v_cndmask_b32_e32 v19, 0x7fffffff, v19, vcc_lo
	s_delay_alu instid0(VALU_DEP_1) | instskip(NEXT) | instid1(VALU_DEP_1)
	v_lshrrev_b32_e32 v19, s49, v19
	v_and_b32_e32 v19, s48, v19
	s_delay_alu instid0(VALU_DEP_1) | instskip(SKIP_3) | instid1(SALU_CYCLE_1)
	v_lshl_or_b32 v19, v19, 4, v62
	ds_add_u32 v19, v84
	s_wait_alu 0xfffe
	s_or_b32 exec_lo, exec_lo, s1
	s_mov_b32 s1, exec_lo
	v_cmpx_gt_u32_e64 s0, v54
	s_cbranch_execz .LBB1331_924
.LBB1331_939:                           ;   in Loop: Header=BB1331_894 Depth=2
	v_cmp_gt_i32_e32 vcc_lo, 0, v10
	s_wait_alu 0xfffd
	v_cndmask_b32_e64 v19, 0x7fffffff, 0, vcc_lo
	s_delay_alu instid0(VALU_DEP_1) | instskip(NEXT) | instid1(VALU_DEP_1)
	v_xor_b32_e32 v19, v19, v10
	v_cmp_ne_u32_e32 vcc_lo, 0x80000000, v19
	s_wait_alu 0xfffd
	v_cndmask_b32_e32 v19, 0x7fffffff, v19, vcc_lo
	s_delay_alu instid0(VALU_DEP_1) | instskip(NEXT) | instid1(VALU_DEP_1)
	v_lshrrev_b32_e32 v19, s49, v19
	v_and_b32_e32 v19, s48, v19
	s_delay_alu instid0(VALU_DEP_1) | instskip(SKIP_3) | instid1(SALU_CYCLE_1)
	v_lshl_or_b32 v19, v19, 4, v62
	ds_add_u32 v19, v84
	s_wait_alu 0xfffe
	s_or_b32 exec_lo, exec_lo, s1
	s_mov_b32 s1, exec_lo
	v_cmpx_gt_u32_e64 s0, v55
	s_cbranch_execz .LBB1331_925
.LBB1331_940:                           ;   in Loop: Header=BB1331_894 Depth=2
	v_cmp_gt_i32_e32 vcc_lo, 0, v9
	s_wait_alu 0xfffd
	v_cndmask_b32_e64 v19, 0x7fffffff, 0, vcc_lo
	s_delay_alu instid0(VALU_DEP_1) | instskip(NEXT) | instid1(VALU_DEP_1)
	v_xor_b32_e32 v19, v19, v9
	v_cmp_ne_u32_e32 vcc_lo, 0x80000000, v19
	s_wait_alu 0xfffd
	v_cndmask_b32_e32 v19, 0x7fffffff, v19, vcc_lo
	s_delay_alu instid0(VALU_DEP_1) | instskip(NEXT) | instid1(VALU_DEP_1)
	v_lshrrev_b32_e32 v19, s49, v19
	v_and_b32_e32 v19, s48, v19
	s_delay_alu instid0(VALU_DEP_1) | instskip(SKIP_3) | instid1(SALU_CYCLE_1)
	v_lshl_or_b32 v19, v19, 4, v62
	ds_add_u32 v19, v84
	s_wait_alu 0xfffe
	s_or_b32 exec_lo, exec_lo, s1
	s_mov_b32 s1, exec_lo
	v_cmpx_gt_u32_e64 s0, v56
	s_cbranch_execz .LBB1331_926
.LBB1331_941:                           ;   in Loop: Header=BB1331_894 Depth=2
	v_cmp_gt_i32_e32 vcc_lo, 0, v8
	s_wait_alu 0xfffd
	v_cndmask_b32_e64 v19, 0x7fffffff, 0, vcc_lo
	s_delay_alu instid0(VALU_DEP_1) | instskip(NEXT) | instid1(VALU_DEP_1)
	v_xor_b32_e32 v19, v19, v8
	v_cmp_ne_u32_e32 vcc_lo, 0x80000000, v19
	s_wait_alu 0xfffd
	v_cndmask_b32_e32 v19, 0x7fffffff, v19, vcc_lo
	s_delay_alu instid0(VALU_DEP_1) | instskip(NEXT) | instid1(VALU_DEP_1)
	v_lshrrev_b32_e32 v19, s49, v19
	v_and_b32_e32 v19, s48, v19
	s_delay_alu instid0(VALU_DEP_1) | instskip(SKIP_3) | instid1(SALU_CYCLE_1)
	v_lshl_or_b32 v19, v19, 4, v62
	ds_add_u32 v19, v84
	s_wait_alu 0xfffe
	s_or_b32 exec_lo, exec_lo, s1
	s_mov_b32 s1, exec_lo
	v_cmpx_gt_u32_e64 s0, v57
	s_cbranch_execz .LBB1331_927
.LBB1331_942:                           ;   in Loop: Header=BB1331_894 Depth=2
	v_cmp_gt_i32_e32 vcc_lo, 0, v7
	s_wait_alu 0xfffd
	v_cndmask_b32_e64 v19, 0x7fffffff, 0, vcc_lo
	s_delay_alu instid0(VALU_DEP_1) | instskip(NEXT) | instid1(VALU_DEP_1)
	v_xor_b32_e32 v19, v19, v7
	v_cmp_ne_u32_e32 vcc_lo, 0x80000000, v19
	s_wait_alu 0xfffd
	v_cndmask_b32_e32 v19, 0x7fffffff, v19, vcc_lo
	s_delay_alu instid0(VALU_DEP_1) | instskip(NEXT) | instid1(VALU_DEP_1)
	v_lshrrev_b32_e32 v19, s49, v19
	v_and_b32_e32 v19, s48, v19
	s_delay_alu instid0(VALU_DEP_1) | instskip(SKIP_3) | instid1(SALU_CYCLE_1)
	v_lshl_or_b32 v19, v19, 4, v62
	ds_add_u32 v19, v84
	s_wait_alu 0xfffe
	s_or_b32 exec_lo, exec_lo, s1
	s_mov_b32 s1, exec_lo
	v_cmpx_gt_u32_e64 s0, v58
	s_cbranch_execz .LBB1331_928
.LBB1331_943:                           ;   in Loop: Header=BB1331_894 Depth=2
	v_cmp_gt_i32_e32 vcc_lo, 0, v6
	s_wait_alu 0xfffd
	v_cndmask_b32_e64 v19, 0x7fffffff, 0, vcc_lo
	s_delay_alu instid0(VALU_DEP_1) | instskip(NEXT) | instid1(VALU_DEP_1)
	v_xor_b32_e32 v19, v19, v6
	v_cmp_ne_u32_e32 vcc_lo, 0x80000000, v19
	s_wait_alu 0xfffd
	v_cndmask_b32_e32 v19, 0x7fffffff, v19, vcc_lo
	s_delay_alu instid0(VALU_DEP_1) | instskip(NEXT) | instid1(VALU_DEP_1)
	v_lshrrev_b32_e32 v19, s49, v19
	v_and_b32_e32 v19, s48, v19
	s_delay_alu instid0(VALU_DEP_1) | instskip(SKIP_3) | instid1(SALU_CYCLE_1)
	v_lshl_or_b32 v19, v19, 4, v62
	ds_add_u32 v19, v84
	s_wait_alu 0xfffe
	s_or_b32 exec_lo, exec_lo, s1
	s_mov_b32 s1, exec_lo
	v_cmpx_gt_u32_e64 s0, v59
	s_cbranch_execz .LBB1331_929
.LBB1331_944:                           ;   in Loop: Header=BB1331_894 Depth=2
	v_cmp_gt_i32_e32 vcc_lo, 0, v5
	s_wait_alu 0xfffd
	v_cndmask_b32_e64 v19, 0x7fffffff, 0, vcc_lo
	s_delay_alu instid0(VALU_DEP_1) | instskip(NEXT) | instid1(VALU_DEP_1)
	v_xor_b32_e32 v19, v19, v5
	v_cmp_ne_u32_e32 vcc_lo, 0x80000000, v19
	s_wait_alu 0xfffd
	v_cndmask_b32_e32 v19, 0x7fffffff, v19, vcc_lo
	s_delay_alu instid0(VALU_DEP_1) | instskip(NEXT) | instid1(VALU_DEP_1)
	v_lshrrev_b32_e32 v19, s49, v19
	v_and_b32_e32 v19, s48, v19
	s_delay_alu instid0(VALU_DEP_1) | instskip(SKIP_3) | instid1(SALU_CYCLE_1)
	v_lshl_or_b32 v19, v19, 4, v62
	ds_add_u32 v19, v84
	s_wait_alu 0xfffe
	s_or_b32 exec_lo, exec_lo, s1
	s_mov_b32 s1, exec_lo
	v_cmpx_gt_u32_e64 s0, v60
	s_cbranch_execz .LBB1331_930
.LBB1331_945:                           ;   in Loop: Header=BB1331_894 Depth=2
	v_cmp_gt_i32_e32 vcc_lo, 0, v4
	s_wait_alu 0xfffd
	v_cndmask_b32_e64 v19, 0x7fffffff, 0, vcc_lo
	s_delay_alu instid0(VALU_DEP_1) | instskip(NEXT) | instid1(VALU_DEP_1)
	v_xor_b32_e32 v19, v19, v4
	v_cmp_ne_u32_e32 vcc_lo, 0x80000000, v19
	s_wait_alu 0xfffd
	v_cndmask_b32_e32 v19, 0x7fffffff, v19, vcc_lo
	s_delay_alu instid0(VALU_DEP_1) | instskip(NEXT) | instid1(VALU_DEP_1)
	v_lshrrev_b32_e32 v19, s49, v19
	v_and_b32_e32 v19, s48, v19
	s_delay_alu instid0(VALU_DEP_1)
	v_lshl_or_b32 v19, v19, 4, v62
	ds_add_u32 v19, v84
	s_wait_alu 0xfffe
	s_or_b32 exec_lo, exec_lo, s1
	v_cmp_gt_u32_e32 vcc_lo, s0, v61
	s_and_saveexec_b32 s0, vcc_lo
	s_cbranch_execz .LBB1331_893
.LBB1331_946:                           ;   in Loop: Header=BB1331_894 Depth=2
	v_cmp_gt_i32_e32 vcc_lo, 0, v2
	s_wait_alu 0xfffd
	v_cndmask_b32_e64 v19, 0x7fffffff, 0, vcc_lo
	s_delay_alu instid0(VALU_DEP_1) | instskip(NEXT) | instid1(VALU_DEP_1)
	v_xor_b32_e32 v19, v19, v2
	v_cmp_ne_u32_e32 vcc_lo, 0x80000000, v19
	s_wait_alu 0xfffd
	v_cndmask_b32_e32 v19, 0x7fffffff, v19, vcc_lo
	s_delay_alu instid0(VALU_DEP_1) | instskip(NEXT) | instid1(VALU_DEP_1)
	v_lshrrev_b32_e32 v19, s49, v19
	v_and_b32_e32 v19, s48, v19
	s_delay_alu instid0(VALU_DEP_1)
	v_lshl_or_b32 v19, v19, 4, v62
	ds_add_u32 v19, v84
	s_branch .LBB1331_893
.LBB1331_947:                           ;   in Loop: Header=BB1331_894 Depth=2
	global_load_b32 v18, v108, s[0:1]
	s_or_b32 exec_lo, exec_lo, s11
	s_delay_alu instid0(SALU_CYCLE_1)
	s_mov_b32 s11, exec_lo
	v_cmpx_gt_u32_e64 s9, v45
	s_cbranch_execz .LBB1331_899
.LBB1331_948:                           ;   in Loop: Header=BB1331_894 Depth=2
	global_load_b32 v17, v108, s[0:1] offset:1024
	s_wait_alu 0xfffe
	s_or_b32 exec_lo, exec_lo, s11
	s_delay_alu instid0(SALU_CYCLE_1)
	s_mov_b32 s11, exec_lo
	v_cmpx_gt_u32_e64 s9, v46
	s_cbranch_execz .LBB1331_900
.LBB1331_949:                           ;   in Loop: Header=BB1331_894 Depth=2
	global_load_b32 v16, v108, s[0:1] offset:2048
	s_wait_alu 0xfffe
	s_or_b32 exec_lo, exec_lo, s11
	s_delay_alu instid0(SALU_CYCLE_1)
	s_mov_b32 s11, exec_lo
	v_cmpx_gt_u32_e64 s9, v47
	s_cbranch_execz .LBB1331_901
.LBB1331_950:                           ;   in Loop: Header=BB1331_894 Depth=2
	global_load_b32 v15, v108, s[0:1] offset:3072
	s_wait_alu 0xfffe
	s_or_b32 exec_lo, exec_lo, s11
	s_delay_alu instid0(SALU_CYCLE_1)
	s_mov_b32 s11, exec_lo
	v_cmpx_gt_u32_e64 s9, v50
	s_cbranch_execz .LBB1331_902
.LBB1331_951:                           ;   in Loop: Header=BB1331_894 Depth=2
	global_load_b32 v14, v108, s[0:1] offset:4096
	s_wait_alu 0xfffe
	s_or_b32 exec_lo, exec_lo, s11
	s_delay_alu instid0(SALU_CYCLE_1)
	s_mov_b32 s11, exec_lo
	v_cmpx_gt_u32_e64 s9, v51
	s_cbranch_execz .LBB1331_903
.LBB1331_952:                           ;   in Loop: Header=BB1331_894 Depth=2
	global_load_b32 v13, v108, s[0:1] offset:5120
	s_wait_alu 0xfffe
	s_or_b32 exec_lo, exec_lo, s11
	s_delay_alu instid0(SALU_CYCLE_1)
	s_mov_b32 s11, exec_lo
	v_cmpx_gt_u32_e64 s9, v52
	s_cbranch_execz .LBB1331_904
.LBB1331_953:                           ;   in Loop: Header=BB1331_894 Depth=2
	global_load_b32 v12, v108, s[0:1] offset:6144
	s_wait_alu 0xfffe
	s_or_b32 exec_lo, exec_lo, s11
	s_delay_alu instid0(SALU_CYCLE_1)
	s_mov_b32 s11, exec_lo
	v_cmpx_gt_u32_e64 s9, v53
	s_cbranch_execz .LBB1331_905
.LBB1331_954:                           ;   in Loop: Header=BB1331_894 Depth=2
	global_load_b32 v11, v108, s[0:1] offset:7168
	s_wait_alu 0xfffe
	s_or_b32 exec_lo, exec_lo, s11
	s_delay_alu instid0(SALU_CYCLE_1)
	s_mov_b32 s11, exec_lo
	v_cmpx_gt_u32_e64 s9, v54
	s_cbranch_execz .LBB1331_906
.LBB1331_955:                           ;   in Loop: Header=BB1331_894 Depth=2
	global_load_b32 v10, v108, s[0:1] offset:8192
	s_wait_alu 0xfffe
	s_or_b32 exec_lo, exec_lo, s11
	s_delay_alu instid0(SALU_CYCLE_1)
	s_mov_b32 s11, exec_lo
	v_cmpx_gt_u32_e64 s9, v55
	s_cbranch_execz .LBB1331_907
.LBB1331_956:                           ;   in Loop: Header=BB1331_894 Depth=2
	global_load_b32 v9, v108, s[0:1] offset:9216
	s_wait_alu 0xfffe
	s_or_b32 exec_lo, exec_lo, s11
	s_delay_alu instid0(SALU_CYCLE_1)
	s_mov_b32 s11, exec_lo
	v_cmpx_gt_u32_e64 s9, v56
	s_cbranch_execz .LBB1331_908
.LBB1331_957:                           ;   in Loop: Header=BB1331_894 Depth=2
	global_load_b32 v8, v108, s[0:1] offset:10240
	s_wait_alu 0xfffe
	s_or_b32 exec_lo, exec_lo, s11
	s_delay_alu instid0(SALU_CYCLE_1)
	s_mov_b32 s11, exec_lo
	v_cmpx_gt_u32_e64 s9, v57
	s_cbranch_execz .LBB1331_909
.LBB1331_958:                           ;   in Loop: Header=BB1331_894 Depth=2
	global_load_b32 v7, v108, s[0:1] offset:11264
	s_wait_alu 0xfffe
	s_or_b32 exec_lo, exec_lo, s11
	s_delay_alu instid0(SALU_CYCLE_1)
	s_mov_b32 s11, exec_lo
	v_cmpx_gt_u32_e64 s9, v58
	s_cbranch_execz .LBB1331_910
.LBB1331_959:                           ;   in Loop: Header=BB1331_894 Depth=2
	global_load_b32 v6, v108, s[0:1] offset:12288
	s_wait_alu 0xfffe
	s_or_b32 exec_lo, exec_lo, s11
	s_delay_alu instid0(SALU_CYCLE_1)
	s_mov_b32 s11, exec_lo
	v_cmpx_gt_u32_e64 s9, v59
	s_cbranch_execz .LBB1331_911
.LBB1331_960:                           ;   in Loop: Header=BB1331_894 Depth=2
	global_load_b32 v5, v108, s[0:1] offset:13312
	s_wait_alu 0xfffe
	s_or_b32 exec_lo, exec_lo, s11
	s_delay_alu instid0(SALU_CYCLE_1)
	s_mov_b32 s11, exec_lo
	v_cmpx_gt_u32_e64 s9, v60
	s_cbranch_execz .LBB1331_912
.LBB1331_961:                           ;   in Loop: Header=BB1331_894 Depth=2
	global_load_b32 v4, v108, s[0:1] offset:14336
	s_wait_alu 0xfffe
	s_or_b32 exec_lo, exec_lo, s11
	s_delay_alu instid0(SALU_CYCLE_1)
	s_mov_b32 s11, exec_lo
	v_cmpx_gt_u32_e64 s9, v61
	s_cbranch_execnz .LBB1331_913
	s_branch .LBB1331_914
.LBB1331_962:                           ;   in Loop: Header=BB1331_12 Depth=1
	v_mov_b32_e32 v2, 0
	s_wait_dscnt 0x0
	s_barrier_signal -1
	s_barrier_wait -1
	global_inv scope:SCOPE_SE
	s_and_saveexec_b32 s0, s2
	s_cbranch_execz .LBB1331_964
; %bb.963:                              ;   in Loop: Header=BB1331_12 Depth=1
	ds_load_2addr_b64 v[4:7], v64 offset1:1
	s_wait_dscnt 0x0
	v_add_nc_u32_e32 v2, v5, v4
	s_delay_alu instid0(VALU_DEP_1)
	v_add3_u32 v2, v2, v6, v7
.LBB1331_964:                           ;   in Loop: Header=BB1331_12 Depth=1
	s_wait_alu 0xfffe
	s_or_b32 exec_lo, exec_lo, s0
	s_delay_alu instid0(VALU_DEP_1)
	v_mov_b32_dpp v4, v2 row_shr:1 row_mask:0xf bank_mask:0xf
	v_cmp_eq_u32_e64 s0, 0, v85
	v_cmp_lt_u32_e64 s1, 1, v85
	v_cmp_lt_u32_e64 s9, 3, v85
	;; [unrolled: 1-line block ×3, first 2 shown]
	v_cmp_eq_u32_e64 s11, 0, v87
	s_wait_alu 0xf1ff
	v_cndmask_b32_e64 v4, v4, 0, s0
	s_delay_alu instid0(VALU_DEP_1) | instskip(NEXT) | instid1(VALU_DEP_1)
	v_add_nc_u32_e32 v2, v4, v2
	v_mov_b32_dpp v4, v2 row_shr:2 row_mask:0xf bank_mask:0xf
	s_delay_alu instid0(VALU_DEP_1) | instskip(NEXT) | instid1(VALU_DEP_1)
	v_cndmask_b32_e64 v4, 0, v4, s1
	v_add_nc_u32_e32 v2, v2, v4
	s_delay_alu instid0(VALU_DEP_1) | instskip(NEXT) | instid1(VALU_DEP_1)
	v_mov_b32_dpp v4, v2 row_shr:4 row_mask:0xf bank_mask:0xf
	v_cndmask_b32_e64 v4, 0, v4, s9
	s_delay_alu instid0(VALU_DEP_1) | instskip(NEXT) | instid1(VALU_DEP_1)
	v_add_nc_u32_e32 v2, v2, v4
	v_mov_b32_dpp v4, v2 row_shr:8 row_mask:0xf bank_mask:0xf
	s_delay_alu instid0(VALU_DEP_1) | instskip(NEXT) | instid1(VALU_DEP_1)
	v_cndmask_b32_e64 v4, 0, v4, s10
	v_add_nc_u32_e32 v2, v2, v4
	ds_swizzle_b32 v4, v2 offset:swizzle(BROADCAST,32,15)
	s_wait_dscnt 0x0
	v_and_b32_e32 v4, v86, v4
	s_delay_alu instid0(VALU_DEP_1)
	v_add_nc_u32_e32 v2, v2, v4
	s_and_saveexec_b32 s12, s3
; %bb.965:                              ;   in Loop: Header=BB1331_12 Depth=1
	ds_store_b32 v65, v2
; %bb.966:                              ;   in Loop: Header=BB1331_12 Depth=1
	s_wait_alu 0xfffe
	s_or_b32 exec_lo, exec_lo, s12
	s_wait_loadcnt_dscnt 0x0
	s_barrier_signal -1
	s_barrier_wait -1
	global_inv scope:SCOPE_SE
	s_and_saveexec_b32 s12, s4
	s_cbranch_execz .LBB1331_968
; %bb.967:                              ;   in Loop: Header=BB1331_12 Depth=1
	ds_load_b32 v4, v66
	v_cmp_ne_u32_e32 vcc_lo, 0, v89
	s_wait_dscnt 0x0
	v_mov_b32_dpp v5, v4 row_shr:1 row_mask:0xf bank_mask:0xf
	s_wait_alu 0xfffd
	s_delay_alu instid0(VALU_DEP_1) | instskip(SKIP_1) | instid1(VALU_DEP_2)
	v_cndmask_b32_e32 v5, 0, v5, vcc_lo
	v_cmp_lt_u32_e32 vcc_lo, 1, v89
	v_add_nc_u32_e32 v4, v5, v4
	s_delay_alu instid0(VALU_DEP_1) | instskip(SKIP_1) | instid1(VALU_DEP_1)
	v_mov_b32_dpp v5, v4 row_shr:2 row_mask:0xf bank_mask:0xf
	s_wait_alu 0xfffd
	v_cndmask_b32_e32 v5, 0, v5, vcc_lo
	v_cmp_lt_u32_e32 vcc_lo, 3, v89
	s_delay_alu instid0(VALU_DEP_2) | instskip(NEXT) | instid1(VALU_DEP_1)
	v_add_nc_u32_e32 v4, v4, v5
	v_mov_b32_dpp v5, v4 row_shr:4 row_mask:0xf bank_mask:0xf
	s_wait_alu 0xfffd
	s_delay_alu instid0(VALU_DEP_1) | instskip(NEXT) | instid1(VALU_DEP_1)
	v_cndmask_b32_e32 v5, 0, v5, vcc_lo
	v_add_nc_u32_e32 v4, v4, v5
	ds_store_b32 v66, v4
.LBB1331_968:                           ;   in Loop: Header=BB1331_12 Depth=1
	s_wait_alu 0xfffe
	s_or_b32 exec_lo, exec_lo, s12
	v_mov_b32_e32 v4, 0
	s_wait_loadcnt_dscnt 0x0
	s_barrier_signal -1
	s_barrier_wait -1
	global_inv scope:SCOPE_SE
	s_and_saveexec_b32 s12, s5
; %bb.969:                              ;   in Loop: Header=BB1331_12 Depth=1
	ds_load_b32 v4, v68
; %bb.970:                              ;   in Loop: Header=BB1331_12 Depth=1
	s_wait_alu 0xfffe
	s_or_b32 exec_lo, exec_lo, s12
	v_cmp_gt_i32_e32 vcc_lo, 0, v90
	s_wait_loadcnt_dscnt 0x0
	s_barrier_signal -1
	s_barrier_wait -1
	global_inv scope:SCOPE_SE
	s_wait_alu 0xfffd
	v_dual_cndmask_b32 v5, v90, v81 :: v_dual_add_nc_u32 v2, v4, v2
	s_delay_alu instid0(VALU_DEP_1)
	v_lshlrev_b32_e32 v113, 2, v5
	ds_bpermute_b32 v2, v113, v2
	s_and_saveexec_b32 s12, s2
	s_cbranch_execz .LBB1331_972
; %bb.971:                              ;   in Loop: Header=BB1331_12 Depth=1
	s_wait_dscnt 0x0
	v_cndmask_b32_e64 v2, v2, v4, s8
	s_delay_alu instid0(VALU_DEP_1)
	v_add_nc_u32_e32 v2, s33, v2
	ds_store_b32 v44, v2
.LBB1331_972:                           ;   in Loop: Header=BB1331_12 Depth=1
	s_wait_alu 0xfffe
	s_or_b32 exec_lo, exec_lo, s12
	s_load_b64 s[12:13], s[34:35], 0x0
	v_add_co_u32 v114, vcc_lo, v79, v91
	s_wait_alu 0xfffd
	v_add_co_ci_u32_e64 v115, null, 0, v80, vcc_lo
	v_add_co_u32 v116, vcc_lo, v82, v107
	s_wait_alu 0xfffd
	v_add_co_ci_u32_e64 v117, null, 0, v83, vcc_lo
	s_mov_b32 s54, s53
                                        ; implicit-def: $vgpr6_vgpr7
                                        ; implicit-def: $vgpr8_vgpr9
                                        ; implicit-def: $vgpr10_vgpr11
                                        ; implicit-def: $vgpr12_vgpr13
                                        ; implicit-def: $vgpr14_vgpr15
                                        ; implicit-def: $vgpr16_vgpr17
                                        ; implicit-def: $vgpr18_vgpr19
                                        ; implicit-def: $vgpr20_vgpr21
                                        ; implicit-def: $vgpr22_vgpr23
                                        ; implicit-def: $vgpr24_vgpr25
                                        ; implicit-def: $vgpr26_vgpr27
                                        ; implicit-def: $vgpr28_vgpr29
                                        ; implicit-def: $vgpr30_vgpr31
                                        ; implicit-def: $vgpr32_vgpr33
                                        ; implicit-def: $vgpr34_vgpr35
                                        ; implicit-def: $vgpr119
                                        ; implicit-def: $vgpr120
                                        ; implicit-def: $vgpr121
                                        ; implicit-def: $vgpr122
                                        ; implicit-def: $vgpr123
                                        ; implicit-def: $vgpr124
                                        ; implicit-def: $vgpr125
                                        ; implicit-def: $vgpr126
                                        ; implicit-def: $vgpr127
                                        ; implicit-def: $vgpr128
                                        ; implicit-def: $vgpr129
                                        ; implicit-def: $vgpr130
                                        ; implicit-def: $vgpr131
                                        ; implicit-def: $vgpr132
                                        ; implicit-def: $vgpr133
                                        ; implicit-def: $vgpr134
	s_wait_kmcnt 0x0
	s_cmp_lt_u32 ttmp7, s13
	s_cselect_b32 s42, 14, 20
	s_cmp_lt_u32 ttmp9, s12
	s_wait_alu 0xfffe
	s_add_nc_u64 s[14:15], s[34:35], s[42:43]
	s_cselect_b32 s42, 12, 18
	s_load_u16 s14, s[14:15], 0x0
	s_add_nc_u64 s[12:13], s[34:35], s[42:43]
	s_mov_b32 s42, s33
	s_load_u16 s12, s[12:13], 0x0
	v_cmp_lt_u32_e64 s13, 1, v89
	s_wait_dscnt 0x0
	s_wait_kmcnt 0x0
	v_mad_u32_u24 v2, v69, s14, v0
	v_cmp_lt_u32_e64 s14, 3, v89
	s_delay_alu instid0(VALU_DEP_2) | instskip(SKIP_1) | instid1(VALU_DEP_2)
	v_mad_co_u64_u32 v[4:5], null, v2, s12, v[1:2]
	v_cmp_eq_u32_e64 s12, 0, v89
	v_lshrrev_b32_e32 v2, 3, v4
                                        ; implicit-def: $vgpr4_vgpr5
	s_delay_alu instid0(VALU_DEP_1)
	v_and_b32_e32 v118, 0x1ffffffc, v2
	s_branch .LBB1331_974
.LBB1331_973:                           ;   in Loop: Header=BB1331_974 Depth=2
	s_wait_alu 0xfffe
	s_or_b32 exec_lo, exec_lo, s15
	s_addk_co_i32 s54, 0xf000
	s_cmp_lt_u32 s55, s51
	s_mov_b32 s42, s55
	s_cbranch_scc0 .LBB1331_10
.LBB1331_974:                           ;   Parent Loop BB1331_12 Depth=1
                                        ; =>  This Inner Loop Header: Depth=2
	s_wait_alu 0xfffe
	s_add_co_i32 s55, s42, 0x1000
	s_wait_alu 0xfffe
	s_cmp_gt_u32 s55, s51
	s_cbranch_scc1 .LBB1331_976
; %bb.975:                              ;   in Loop: Header=BB1331_974 Depth=2
	s_lshl_b64 s[16:17], s[42:43], 2
	s_mov_b32 s15, -1
	s_wait_alu 0xfffe
	v_add_co_u32 v36, vcc_lo, v116, s16
	s_wait_alu 0xfffd
	v_add_co_ci_u32_e64 v37, null, s17, v117, vcc_lo
	s_clause 0xe
	global_load_b32 v2, v[36:37], off
	global_load_b32 v136, v[36:37], off offset:128
	global_load_b32 v143, v[36:37], off offset:256
	;; [unrolled: 1-line block ×14, first 2 shown]
	s_movk_i32 s16, 0x1000
	s_cbranch_execz .LBB1331_977
	s_branch .LBB1331_1008
.LBB1331_976:                           ;   in Loop: Header=BB1331_974 Depth=2
	s_mov_b32 s15, 0
                                        ; implicit-def: $vgpr2
                                        ; implicit-def: $vgpr136
                                        ; implicit-def: $vgpr143
                                        ; implicit-def: $vgpr147
                                        ; implicit-def: $vgpr151
                                        ; implicit-def: $vgpr155
                                        ; implicit-def: $vgpr159
                                        ; implicit-def: $vgpr163
                                        ; implicit-def: $vgpr166
                                        ; implicit-def: $vgpr43
                                        ; implicit-def: $vgpr42
                                        ; implicit-def: $vgpr41
                                        ; implicit-def: $vgpr40
                                        ; implicit-def: $vgpr39
                                        ; implicit-def: $vgpr38
	s_movk_i32 s16, 0x1000
.LBB1331_977:                           ;   in Loop: Header=BB1331_974 Depth=2
	s_lshl_b64 s[16:17], s[42:43], 2
	s_wait_loadcnt 0xd
	v_mov_b32_e32 v136, -1
	s_wait_alu 0xfffe
	v_add_co_u32 v36, vcc_lo, v116, s16
	s_wait_alu 0xfffd
	v_add_co_ci_u32_e64 v37, null, s17, v117, vcc_lo
	v_mov_b32_e32 v2, -1
	s_mov_b32 s15, exec_lo
	v_cmpx_gt_u32_e64 s54, v88
	s_cbranch_execz .LBB1331_979
; %bb.978:                              ;   in Loop: Header=BB1331_974 Depth=2
	global_load_b32 v2, v[36:37], off
.LBB1331_979:                           ;   in Loop: Header=BB1331_974 Depth=2
	s_wait_alu 0xfffe
	s_or_b32 exec_lo, exec_lo, s15
	s_delay_alu instid0(SALU_CYCLE_1)
	s_mov_b32 s15, exec_lo
	v_cmpx_gt_u32_e64 s54, v92
	s_cbranch_execz .LBB1331_981
; %bb.980:                              ;   in Loop: Header=BB1331_974 Depth=2
	global_load_b32 v136, v[36:37], off offset:128
.LBB1331_981:                           ;   in Loop: Header=BB1331_974 Depth=2
	s_wait_alu 0xfffe
	s_or_b32 exec_lo, exec_lo, s15
	s_wait_loadcnt 0xb
	v_mov_b32_e32 v147, -1
	v_mov_b32_e32 v143, -1
	s_mov_b32 s15, exec_lo
	v_cmpx_gt_u32_e64 s54, v93
	s_cbranch_execz .LBB1331_983
; %bb.982:                              ;   in Loop: Header=BB1331_974 Depth=2
	global_load_b32 v143, v[36:37], off offset:256
.LBB1331_983:                           ;   in Loop: Header=BB1331_974 Depth=2
	s_wait_alu 0xfffe
	s_or_b32 exec_lo, exec_lo, s15
	s_delay_alu instid0(SALU_CYCLE_1)
	s_mov_b32 s15, exec_lo
	v_cmpx_gt_u32_e64 s54, v94
	s_cbranch_execz .LBB1331_985
; %bb.984:                              ;   in Loop: Header=BB1331_974 Depth=2
	global_load_b32 v147, v[36:37], off offset:384
.LBB1331_985:                           ;   in Loop: Header=BB1331_974 Depth=2
	s_wait_alu 0xfffe
	s_or_b32 exec_lo, exec_lo, s15
	s_wait_loadcnt 0x9
	v_mov_b32_e32 v155, -1
	v_mov_b32_e32 v151, -1
	s_mov_b32 s15, exec_lo
	v_cmpx_gt_u32_e64 s54, v95
	s_cbranch_execz .LBB1331_987
; %bb.986:                              ;   in Loop: Header=BB1331_974 Depth=2
	global_load_b32 v151, v[36:37], off offset:512
.LBB1331_987:                           ;   in Loop: Header=BB1331_974 Depth=2
	;; [unrolled: 20-line block ×3, first 2 shown]
	s_wait_alu 0xfffe
	s_or_b32 exec_lo, exec_lo, s15
	s_delay_alu instid0(SALU_CYCLE_1)
	s_mov_b32 s15, exec_lo
	v_cmpx_gt_u32_e64 s54, v98
	s_cbranch_execz .LBB1331_993
; %bb.992:                              ;   in Loop: Header=BB1331_974 Depth=2
	global_load_b32 v163, v[36:37], off offset:896
.LBB1331_993:                           ;   in Loop: Header=BB1331_974 Depth=2
	s_wait_alu 0xfffe
	s_or_b32 exec_lo, exec_lo, s15
	s_wait_loadcnt 0x5
	v_dual_mov_b32 v43, -1 :: v_dual_mov_b32 v166, -1
	s_mov_b32 s15, exec_lo
	v_cmpx_gt_u32_e64 s54, v99
	s_cbranch_execz .LBB1331_995
; %bb.994:                              ;   in Loop: Header=BB1331_974 Depth=2
	global_load_b32 v166, v[36:37], off offset:1024
.LBB1331_995:                           ;   in Loop: Header=BB1331_974 Depth=2
	s_wait_alu 0xfffe
	s_or_b32 exec_lo, exec_lo, s15
	s_delay_alu instid0(SALU_CYCLE_1)
	s_mov_b32 s15, exec_lo
	v_cmpx_gt_u32_e64 s54, v100
	s_cbranch_execz .LBB1331_997
; %bb.996:                              ;   in Loop: Header=BB1331_974 Depth=2
	global_load_b32 v43, v[36:37], off offset:1152
.LBB1331_997:                           ;   in Loop: Header=BB1331_974 Depth=2
	s_wait_alu 0xfffe
	s_or_b32 exec_lo, exec_lo, s15
	s_wait_loadcnt 0x3
	v_dual_mov_b32 v41, -1 :: v_dual_mov_b32 v42, -1
	s_mov_b32 s15, exec_lo
	v_cmpx_gt_u32_e64 s54, v101
	s_cbranch_execz .LBB1331_999
; %bb.998:                              ;   in Loop: Header=BB1331_974 Depth=2
	global_load_b32 v42, v[36:37], off offset:1280
.LBB1331_999:                           ;   in Loop: Header=BB1331_974 Depth=2
	s_wait_alu 0xfffe
	s_or_b32 exec_lo, exec_lo, s15
	s_delay_alu instid0(SALU_CYCLE_1)
	s_mov_b32 s15, exec_lo
	v_cmpx_gt_u32_e64 s54, v102
	s_cbranch_execz .LBB1331_1001
; %bb.1000:                             ;   in Loop: Header=BB1331_974 Depth=2
	global_load_b32 v41, v[36:37], off offset:1408
.LBB1331_1001:                          ;   in Loop: Header=BB1331_974 Depth=2
	s_wait_alu 0xfffe
	s_or_b32 exec_lo, exec_lo, s15
	s_wait_loadcnt 0x1
	v_dual_mov_b32 v39, -1 :: v_dual_mov_b32 v40, -1
	s_mov_b32 s15, exec_lo
	v_cmpx_gt_u32_e64 s54, v103
	s_cbranch_execz .LBB1331_1003
; %bb.1002:                             ;   in Loop: Header=BB1331_974 Depth=2
	global_load_b32 v40, v[36:37], off offset:1536
.LBB1331_1003:                          ;   in Loop: Header=BB1331_974 Depth=2
	s_wait_alu 0xfffe
	s_or_b32 exec_lo, exec_lo, s15
	s_delay_alu instid0(SALU_CYCLE_1)
	s_mov_b32 s15, exec_lo
	v_cmpx_gt_u32_e64 s54, v104
	s_cbranch_execz .LBB1331_1005
; %bb.1004:                             ;   in Loop: Header=BB1331_974 Depth=2
	global_load_b32 v39, v[36:37], off offset:1664
.LBB1331_1005:                          ;   in Loop: Header=BB1331_974 Depth=2
	s_wait_alu 0xfffe
	s_or_b32 exec_lo, exec_lo, s15
	s_wait_loadcnt 0x0
	v_mov_b32_e32 v38, -1
	s_mov_b32 s15, exec_lo
	v_cmpx_gt_u32_e64 s54, v105
	s_cbranch_execz .LBB1331_1007
; %bb.1006:                             ;   in Loop: Header=BB1331_974 Depth=2
	global_load_b32 v38, v[36:37], off offset:1792
.LBB1331_1007:                          ;   in Loop: Header=BB1331_974 Depth=2
	s_wait_alu 0xfffe
	s_or_b32 exec_lo, exec_lo, s15
	v_cmp_gt_u32_e64 s15, s54, v106
	s_sub_co_i32 s16, s51, s42
.LBB1331_1008:                          ;   in Loop: Header=BB1331_974 Depth=2
	v_dual_mov_b32 v36, -1 :: v_dual_mov_b32 v135, s54
	s_and_saveexec_b32 s17, s15
	s_cbranch_execz .LBB1331_1010
; %bb.1009:                             ;   in Loop: Header=BB1331_974 Depth=2
	s_lshl_b64 s[18:19], s[42:43], 2
	s_wait_alu 0xfffe
	v_mov_b32_e32 v135, s16
	v_add_co_u32 v36, vcc_lo, v116, s18
	s_wait_alu 0xfffd
	v_add_co_ci_u32_e64 v37, null, s19, v117, vcc_lo
	global_load_b32 v36, v[36:37], off offset:1920
.LBB1331_1010:                          ;   in Loop: Header=BB1331_974 Depth=2
	s_wait_alu 0xfffe
	s_or_b32 exec_lo, exec_lo, s17
	s_wait_loadcnt 0xe
	v_cmp_gt_i32_e32 vcc_lo, 0, v2
	s_wait_alu 0xfffd
	v_cndmask_b32_e64 v37, 0x7fffffff, 0, vcc_lo
	s_delay_alu instid0(VALU_DEP_1) | instskip(NEXT) | instid1(VALU_DEP_1)
	v_xor_b32_e32 v2, v37, v2
	v_cmp_ne_u32_e32 vcc_lo, 0x80000000, v2
	s_wait_alu 0xfffd
	v_cndmask_b32_e32 v37, 0x7fffffff, v2, vcc_lo
	s_delay_alu instid0(VALU_DEP_1) | instskip(NEXT) | instid1(VALU_DEP_1)
	v_lshrrev_b32_e32 v37, s49, v37
	v_and_b32_e32 v142, s48, v37
	s_delay_alu instid0(VALU_DEP_1)
	v_and_b32_e32 v37, 1, v142
	v_lshlrev_b32_e32 v137, 30, v142
	v_lshlrev_b32_e32 v138, 29, v142
	;; [unrolled: 1-line block ×4, first 2 shown]
	v_add_co_u32 v37, s15, v37, -1
	s_wait_alu 0xf1ff
	v_cndmask_b32_e64 v140, 0, 1, s15
	v_not_b32_e32 v146, v137
	v_cmp_gt_i32_e64 s15, 0, v137
	v_not_b32_e32 v137, v138
	v_lshlrev_b32_e32 v144, 26, v142
	v_cmp_ne_u32_e32 vcc_lo, 0, v140
	v_ashrrev_i32_e32 v146, 31, v146
	v_lshlrev_b32_e32 v145, 25, v142
	v_ashrrev_i32_e32 v137, 31, v137
	v_lshlrev_b32_e32 v140, 24, v142
	s_wait_alu 0xfffd
	v_xor_b32_e32 v37, vcc_lo, v37
	v_cmp_gt_i32_e32 vcc_lo, 0, v138
	v_not_b32_e32 v138, v139
	s_wait_alu 0xf1ff
	v_xor_b32_e32 v146, s15, v146
	v_cmp_gt_i32_e64 s15, 0, v139
	v_and_b32_e32 v37, exec_lo, v37
	v_not_b32_e32 v139, v141
	v_ashrrev_i32_e32 v138, 31, v138
	s_wait_alu 0xfffd
	v_xor_b32_e32 v137, vcc_lo, v137
	v_cmp_gt_i32_e32 vcc_lo, 0, v141
	v_and_b32_e32 v37, v37, v146
	v_not_b32_e32 v141, v144
	v_ashrrev_i32_e32 v139, 31, v139
	s_wait_alu 0xf1ff
	v_xor_b32_e32 v138, s15, v138
	v_cmp_gt_i32_e64 s15, 0, v144
	v_and_b32_e32 v37, v37, v137
	v_not_b32_e32 v137, v145
	v_ashrrev_i32_e32 v141, 31, v141
	s_wait_alu 0xfffd
	v_xor_b32_e32 v139, vcc_lo, v139
	v_cmp_gt_i32_e32 vcc_lo, 0, v145
	v_and_b32_e32 v37, v37, v138
	v_not_b32_e32 v138, v140
	v_ashrrev_i32_e32 v137, 31, v137
	s_wait_alu 0xf1ff
	v_xor_b32_e32 v141, s15, v141
	v_cmp_gt_i32_e64 s15, 0, v140
	v_and_b32_e32 v37, v37, v139
	v_ashrrev_i32_e32 v138, 31, v138
	s_wait_alu 0xfffd
	v_xor_b32_e32 v137, vcc_lo, v137
	v_mul_u32_u24_e32 v142, 36, v142
	v_add_nc_u32_e32 v140, 0x428, v67
	v_and_b32_e32 v37, v37, v141
	s_wait_alu 0xf1ff
	v_xor_b32_e32 v139, s15, v138
	v_add_nc_u32_e32 v138, 0x438, v67
	v_add_nc_u32_e32 v141, 0x430, v67
	;; [unrolled: 1-line block ×3, first 2 shown]
	v_and_b32_e32 v37, v37, v137
	ds_store_2addr_b32 v138, v3, v3 offset1:1
	v_and_b32_e32 v37, v37, v139
	v_add_nc_u32_e32 v139, 0x420, v67
	ds_store_2addr_b32 v139, v3, v3 offset1:1
	ds_store_2addr_b32 v140, v3, v3 offset1:1
	;; [unrolled: 1-line block ×3, first 2 shown]
	ds_store_b32 v67, v3 offset:1088
	v_mbcnt_lo_u32_b32 v137, v37, 0
	v_cmp_ne_u32_e64 s15, 0, v37
	s_wait_loadcnt_dscnt 0x0
	s_barrier_signal -1
	s_barrier_wait -1
	v_cmp_eq_u32_e32 vcc_lo, 0, v137
	global_inv scope:SCOPE_SE
	; wave barrier
	s_and_b32 s16, s15, vcc_lo
	s_wait_alu 0xfffe
	s_and_saveexec_b32 s15, s16
; %bb.1011:                             ;   in Loop: Header=BB1331_974 Depth=2
	v_bcnt_u32_b32 v37, v37, 0
	ds_store_b32 v142, v37 offset:1056
; %bb.1012:                             ;   in Loop: Header=BB1331_974 Depth=2
	s_wait_alu 0xfffe
	s_or_b32 exec_lo, exec_lo, s15
	v_cmp_gt_i32_e32 vcc_lo, 0, v136
	; wave barrier
	s_wait_alu 0xfffd
	v_cndmask_b32_e64 v37, 0x7fffffff, 0, vcc_lo
	s_delay_alu instid0(VALU_DEP_1) | instskip(NEXT) | instid1(VALU_DEP_1)
	v_xor_b32_e32 v136, v37, v136
	v_cmp_ne_u32_e32 vcc_lo, 0x80000000, v136
	s_wait_alu 0xfffd
	v_cndmask_b32_e32 v37, 0x7fffffff, v136, vcc_lo
	s_delay_alu instid0(VALU_DEP_1) | instskip(NEXT) | instid1(VALU_DEP_1)
	v_lshrrev_b32_e32 v37, s49, v37
	v_and_b32_e32 v146, s48, v37
	s_delay_alu instid0(VALU_DEP_1)
	v_and_b32_e32 v37, 1, v146
	v_lshlrev_b32_e32 v144, 30, v146
	v_lshlrev_b32_e32 v145, 29, v146
	;; [unrolled: 1-line block ×4, first 2 shown]
	v_add_co_u32 v37, s15, v37, -1
	s_wait_alu 0xf1ff
	v_cndmask_b32_e64 v149, 0, 1, s15
	v_not_b32_e32 v154, v144
	v_cmp_gt_i32_e64 s15, 0, v144
	v_not_b32_e32 v144, v145
	v_lshlrev_b32_e32 v152, 26, v146
	v_cmp_ne_u32_e32 vcc_lo, 0, v149
	v_ashrrev_i32_e32 v154, 31, v154
	v_lshlrev_b32_e32 v153, 25, v146
	v_ashrrev_i32_e32 v144, 31, v144
	v_lshlrev_b32_e32 v149, 24, v146
	s_wait_alu 0xfffd
	v_xor_b32_e32 v37, vcc_lo, v37
	v_cmp_gt_i32_e32 vcc_lo, 0, v145
	v_not_b32_e32 v145, v148
	s_wait_alu 0xf1ff
	v_xor_b32_e32 v154, s15, v154
	v_cmp_gt_i32_e64 s15, 0, v148
	v_and_b32_e32 v37, exec_lo, v37
	v_not_b32_e32 v148, v150
	v_ashrrev_i32_e32 v145, 31, v145
	s_wait_alu 0xfffd
	v_xor_b32_e32 v144, vcc_lo, v144
	v_cmp_gt_i32_e32 vcc_lo, 0, v150
	v_and_b32_e32 v37, v37, v154
	v_not_b32_e32 v150, v152
	v_ashrrev_i32_e32 v148, 31, v148
	s_wait_alu 0xf1ff
	v_xor_b32_e32 v145, s15, v145
	v_cmp_gt_i32_e64 s15, 0, v152
	v_and_b32_e32 v37, v37, v144
	v_not_b32_e32 v144, v153
	v_ashrrev_i32_e32 v150, 31, v150
	s_wait_alu 0xfffd
	v_xor_b32_e32 v148, vcc_lo, v148
	v_cmp_gt_i32_e32 vcc_lo, 0, v153
	v_and_b32_e32 v37, v37, v145
	v_not_b32_e32 v145, v149
	v_ashrrev_i32_e32 v144, 31, v144
	s_wait_alu 0xf1ff
	v_xor_b32_e32 v150, s15, v150
	v_cmp_gt_i32_e64 s15, 0, v149
	v_and_b32_e32 v37, v37, v148
	v_ashrrev_i32_e32 v145, 31, v145
	s_wait_alu 0xfffd
	v_xor_b32_e32 v144, vcc_lo, v144
	v_mad_u32_u24 v148, v146, 36, v118
	v_mul_u32_u24_e32 v146, 36, v146
	v_and_b32_e32 v37, v37, v150
	s_wait_alu 0xf1ff
	v_xor_b32_e32 v145, s15, v145
	s_delay_alu instid0(VALU_DEP_3) | instskip(NEXT) | instid1(VALU_DEP_3)
	v_add_nc_u32_e32 v146, v118, v146
	v_and_b32_e32 v37, v37, v144
	ds_load_b32 v144, v148 offset:1056
	; wave barrier
	v_and_b32_e32 v37, v37, v145
	s_delay_alu instid0(VALU_DEP_1) | instskip(SKIP_1) | instid1(VALU_DEP_2)
	v_mbcnt_lo_u32_b32 v145, v37, 0
	v_cmp_ne_u32_e64 s15, 0, v37
	v_cmp_eq_u32_e32 vcc_lo, 0, v145
	s_and_b32 s16, s15, vcc_lo
	s_wait_alu 0xfffe
	s_and_saveexec_b32 s15, s16
	s_cbranch_execz .LBB1331_1014
; %bb.1013:                             ;   in Loop: Header=BB1331_974 Depth=2
	s_wait_dscnt 0x0
	v_bcnt_u32_b32 v37, v37, v144
	ds_store_b32 v146, v37 offset:1056
.LBB1331_1014:                          ;   in Loop: Header=BB1331_974 Depth=2
	s_wait_alu 0xfffe
	s_or_b32 exec_lo, exec_lo, s15
	v_cmp_gt_i32_e32 vcc_lo, 0, v143
	; wave barrier
	s_wait_alu 0xfffd
	v_cndmask_b32_e64 v37, 0x7fffffff, 0, vcc_lo
	s_delay_alu instid0(VALU_DEP_1) | instskip(NEXT) | instid1(VALU_DEP_1)
	v_xor_b32_e32 v143, v37, v143
	v_cmp_ne_u32_e32 vcc_lo, 0x80000000, v143
	s_wait_alu 0xfffd
	v_cndmask_b32_e32 v37, 0x7fffffff, v143, vcc_lo
	s_delay_alu instid0(VALU_DEP_1) | instskip(NEXT) | instid1(VALU_DEP_1)
	v_lshrrev_b32_e32 v37, s49, v37
	v_and_b32_e32 v150, s48, v37
	s_delay_alu instid0(VALU_DEP_1)
	v_and_b32_e32 v37, 1, v150
	v_lshlrev_b32_e32 v148, 30, v150
	v_lshlrev_b32_e32 v149, 29, v150
	;; [unrolled: 1-line block ×4, first 2 shown]
	v_add_co_u32 v37, s15, v37, -1
	s_wait_alu 0xf1ff
	v_cndmask_b32_e64 v153, 0, 1, s15
	v_not_b32_e32 v158, v148
	v_cmp_gt_i32_e64 s15, 0, v148
	v_not_b32_e32 v148, v149
	v_lshlrev_b32_e32 v156, 26, v150
	v_cmp_ne_u32_e32 vcc_lo, 0, v153
	v_ashrrev_i32_e32 v158, 31, v158
	v_lshlrev_b32_e32 v157, 25, v150
	v_ashrrev_i32_e32 v148, 31, v148
	v_lshlrev_b32_e32 v153, 24, v150
	s_wait_alu 0xfffd
	v_xor_b32_e32 v37, vcc_lo, v37
	v_cmp_gt_i32_e32 vcc_lo, 0, v149
	v_not_b32_e32 v149, v152
	s_wait_alu 0xf1ff
	v_xor_b32_e32 v158, s15, v158
	v_cmp_gt_i32_e64 s15, 0, v152
	v_and_b32_e32 v37, exec_lo, v37
	v_not_b32_e32 v152, v154
	v_ashrrev_i32_e32 v149, 31, v149
	s_wait_alu 0xfffd
	v_xor_b32_e32 v148, vcc_lo, v148
	v_cmp_gt_i32_e32 vcc_lo, 0, v154
	v_and_b32_e32 v37, v37, v158
	v_not_b32_e32 v154, v156
	v_ashrrev_i32_e32 v152, 31, v152
	s_wait_alu 0xf1ff
	v_xor_b32_e32 v149, s15, v149
	v_cmp_gt_i32_e64 s15, 0, v156
	v_and_b32_e32 v37, v37, v148
	v_not_b32_e32 v148, v157
	v_ashrrev_i32_e32 v154, 31, v154
	s_wait_alu 0xfffd
	v_xor_b32_e32 v152, vcc_lo, v152
	v_cmp_gt_i32_e32 vcc_lo, 0, v157
	v_and_b32_e32 v37, v37, v149
	v_not_b32_e32 v149, v153
	v_ashrrev_i32_e32 v148, 31, v148
	s_wait_alu 0xf1ff
	v_xor_b32_e32 v154, s15, v154
	v_cmp_gt_i32_e64 s15, 0, v153
	v_and_b32_e32 v37, v37, v152
	v_ashrrev_i32_e32 v149, 31, v149
	s_wait_alu 0xfffd
	v_xor_b32_e32 v148, vcc_lo, v148
	v_mad_u32_u24 v152, v150, 36, v118
	v_mul_u32_u24_e32 v150, 36, v150
	v_and_b32_e32 v37, v37, v154
	s_wait_alu 0xf1ff
	v_xor_b32_e32 v149, s15, v149
	s_delay_alu instid0(VALU_DEP_3) | instskip(NEXT) | instid1(VALU_DEP_3)
	v_add_nc_u32_e32 v150, v118, v150
	v_and_b32_e32 v37, v37, v148
	ds_load_b32 v148, v152 offset:1056
	; wave barrier
	v_and_b32_e32 v37, v37, v149
	s_delay_alu instid0(VALU_DEP_1) | instskip(SKIP_1) | instid1(VALU_DEP_2)
	v_mbcnt_lo_u32_b32 v149, v37, 0
	v_cmp_ne_u32_e64 s15, 0, v37
	v_cmp_eq_u32_e32 vcc_lo, 0, v149
	s_and_b32 s16, s15, vcc_lo
	s_wait_alu 0xfffe
	s_and_saveexec_b32 s15, s16
	s_cbranch_execz .LBB1331_1016
; %bb.1015:                             ;   in Loop: Header=BB1331_974 Depth=2
	s_wait_dscnt 0x0
	v_bcnt_u32_b32 v37, v37, v148
	ds_store_b32 v150, v37 offset:1056
.LBB1331_1016:                          ;   in Loop: Header=BB1331_974 Depth=2
	s_wait_alu 0xfffe
	s_or_b32 exec_lo, exec_lo, s15
	v_cmp_gt_i32_e32 vcc_lo, 0, v147
	; wave barrier
	s_wait_alu 0xfffd
	v_cndmask_b32_e64 v37, 0x7fffffff, 0, vcc_lo
	s_delay_alu instid0(VALU_DEP_1) | instskip(NEXT) | instid1(VALU_DEP_1)
	v_xor_b32_e32 v147, v37, v147
	v_cmp_ne_u32_e32 vcc_lo, 0x80000000, v147
	s_wait_alu 0xfffd
	v_cndmask_b32_e32 v37, 0x7fffffff, v147, vcc_lo
	s_delay_alu instid0(VALU_DEP_1) | instskip(NEXT) | instid1(VALU_DEP_1)
	v_lshrrev_b32_e32 v37, s49, v37
	v_and_b32_e32 v154, s48, v37
	s_delay_alu instid0(VALU_DEP_1)
	v_and_b32_e32 v37, 1, v154
	v_lshlrev_b32_e32 v152, 30, v154
	v_lshlrev_b32_e32 v153, 29, v154
	;; [unrolled: 1-line block ×4, first 2 shown]
	v_add_co_u32 v37, s15, v37, -1
	s_wait_alu 0xf1ff
	v_cndmask_b32_e64 v157, 0, 1, s15
	v_not_b32_e32 v162, v152
	v_cmp_gt_i32_e64 s15, 0, v152
	v_not_b32_e32 v152, v153
	v_lshlrev_b32_e32 v160, 26, v154
	v_cmp_ne_u32_e32 vcc_lo, 0, v157
	v_ashrrev_i32_e32 v162, 31, v162
	v_lshlrev_b32_e32 v161, 25, v154
	v_ashrrev_i32_e32 v152, 31, v152
	v_lshlrev_b32_e32 v157, 24, v154
	s_wait_alu 0xfffd
	v_xor_b32_e32 v37, vcc_lo, v37
	v_cmp_gt_i32_e32 vcc_lo, 0, v153
	v_not_b32_e32 v153, v156
	s_wait_alu 0xf1ff
	v_xor_b32_e32 v162, s15, v162
	v_cmp_gt_i32_e64 s15, 0, v156
	v_and_b32_e32 v37, exec_lo, v37
	v_not_b32_e32 v156, v158
	v_ashrrev_i32_e32 v153, 31, v153
	s_wait_alu 0xfffd
	v_xor_b32_e32 v152, vcc_lo, v152
	v_cmp_gt_i32_e32 vcc_lo, 0, v158
	v_and_b32_e32 v37, v37, v162
	v_not_b32_e32 v158, v160
	v_ashrrev_i32_e32 v156, 31, v156
	s_wait_alu 0xf1ff
	v_xor_b32_e32 v153, s15, v153
	v_cmp_gt_i32_e64 s15, 0, v160
	v_and_b32_e32 v37, v37, v152
	v_not_b32_e32 v152, v161
	v_ashrrev_i32_e32 v158, 31, v158
	s_wait_alu 0xfffd
	v_xor_b32_e32 v156, vcc_lo, v156
	v_cmp_gt_i32_e32 vcc_lo, 0, v161
	v_and_b32_e32 v37, v37, v153
	v_not_b32_e32 v153, v157
	v_ashrrev_i32_e32 v152, 31, v152
	s_wait_alu 0xf1ff
	v_xor_b32_e32 v158, s15, v158
	v_cmp_gt_i32_e64 s15, 0, v157
	v_and_b32_e32 v37, v37, v156
	v_ashrrev_i32_e32 v153, 31, v153
	s_wait_alu 0xfffd
	v_xor_b32_e32 v152, vcc_lo, v152
	v_mad_u32_u24 v156, v154, 36, v118
	v_mul_u32_u24_e32 v154, 36, v154
	v_and_b32_e32 v37, v37, v158
	s_wait_alu 0xf1ff
	v_xor_b32_e32 v153, s15, v153
	s_delay_alu instid0(VALU_DEP_3) | instskip(NEXT) | instid1(VALU_DEP_3)
	v_add_nc_u32_e32 v154, v118, v154
	v_and_b32_e32 v37, v37, v152
	ds_load_b32 v152, v156 offset:1056
	; wave barrier
	v_and_b32_e32 v37, v37, v153
	s_delay_alu instid0(VALU_DEP_1) | instskip(SKIP_1) | instid1(VALU_DEP_2)
	v_mbcnt_lo_u32_b32 v153, v37, 0
	v_cmp_ne_u32_e64 s15, 0, v37
	v_cmp_eq_u32_e32 vcc_lo, 0, v153
	s_and_b32 s16, s15, vcc_lo
	s_wait_alu 0xfffe
	s_and_saveexec_b32 s15, s16
	s_cbranch_execz .LBB1331_1018
; %bb.1017:                             ;   in Loop: Header=BB1331_974 Depth=2
	s_wait_dscnt 0x0
	v_bcnt_u32_b32 v37, v37, v152
	ds_store_b32 v154, v37 offset:1056
.LBB1331_1018:                          ;   in Loop: Header=BB1331_974 Depth=2
	s_wait_alu 0xfffe
	s_or_b32 exec_lo, exec_lo, s15
	v_cmp_gt_i32_e32 vcc_lo, 0, v151
	; wave barrier
	s_wait_alu 0xfffd
	v_cndmask_b32_e64 v37, 0x7fffffff, 0, vcc_lo
	s_delay_alu instid0(VALU_DEP_1) | instskip(NEXT) | instid1(VALU_DEP_1)
	v_xor_b32_e32 v151, v37, v151
	v_cmp_ne_u32_e32 vcc_lo, 0x80000000, v151
	s_wait_alu 0xfffd
	v_cndmask_b32_e32 v37, 0x7fffffff, v151, vcc_lo
	s_delay_alu instid0(VALU_DEP_1) | instskip(NEXT) | instid1(VALU_DEP_1)
	v_lshrrev_b32_e32 v37, s49, v37
	v_and_b32_e32 v158, s48, v37
	s_delay_alu instid0(VALU_DEP_1)
	v_and_b32_e32 v37, 1, v158
	v_lshlrev_b32_e32 v156, 30, v158
	v_lshlrev_b32_e32 v157, 29, v158
	;; [unrolled: 1-line block ×4, first 2 shown]
	v_add_co_u32 v37, s15, v37, -1
	s_wait_alu 0xf1ff
	v_cndmask_b32_e64 v161, 0, 1, s15
	v_not_b32_e32 v167, v156
	v_cmp_gt_i32_e64 s15, 0, v156
	v_not_b32_e32 v156, v157
	v_lshlrev_b32_e32 v164, 26, v158
	v_cmp_ne_u32_e32 vcc_lo, 0, v161
	v_ashrrev_i32_e32 v167, 31, v167
	v_lshlrev_b32_e32 v165, 25, v158
	v_ashrrev_i32_e32 v156, 31, v156
	v_lshlrev_b32_e32 v161, 24, v158
	s_wait_alu 0xfffd
	v_xor_b32_e32 v37, vcc_lo, v37
	v_cmp_gt_i32_e32 vcc_lo, 0, v157
	v_not_b32_e32 v157, v160
	s_wait_alu 0xf1ff
	v_xor_b32_e32 v167, s15, v167
	v_cmp_gt_i32_e64 s15, 0, v160
	v_and_b32_e32 v37, exec_lo, v37
	v_not_b32_e32 v160, v162
	v_ashrrev_i32_e32 v157, 31, v157
	s_wait_alu 0xfffd
	v_xor_b32_e32 v156, vcc_lo, v156
	v_cmp_gt_i32_e32 vcc_lo, 0, v162
	v_and_b32_e32 v37, v37, v167
	v_not_b32_e32 v162, v164
	v_ashrrev_i32_e32 v160, 31, v160
	s_wait_alu 0xf1ff
	v_xor_b32_e32 v157, s15, v157
	v_cmp_gt_i32_e64 s15, 0, v164
	v_and_b32_e32 v37, v37, v156
	v_not_b32_e32 v156, v165
	v_ashrrev_i32_e32 v162, 31, v162
	s_wait_alu 0xfffd
	v_xor_b32_e32 v160, vcc_lo, v160
	v_cmp_gt_i32_e32 vcc_lo, 0, v165
	v_and_b32_e32 v37, v37, v157
	v_not_b32_e32 v157, v161
	v_ashrrev_i32_e32 v156, 31, v156
	s_wait_alu 0xf1ff
	v_xor_b32_e32 v162, s15, v162
	v_cmp_gt_i32_e64 s15, 0, v161
	v_and_b32_e32 v37, v37, v160
	v_ashrrev_i32_e32 v157, 31, v157
	s_wait_alu 0xfffd
	v_xor_b32_e32 v156, vcc_lo, v156
	v_mad_u32_u24 v160, v158, 36, v118
	v_mul_u32_u24_e32 v158, 36, v158
	v_and_b32_e32 v37, v37, v162
	s_wait_alu 0xf1ff
	v_xor_b32_e32 v157, s15, v157
	s_delay_alu instid0(VALU_DEP_3) | instskip(NEXT) | instid1(VALU_DEP_3)
	v_add_nc_u32_e32 v158, v118, v158
	v_and_b32_e32 v37, v37, v156
	ds_load_b32 v156, v160 offset:1056
	; wave barrier
	v_and_b32_e32 v37, v37, v157
	s_delay_alu instid0(VALU_DEP_1) | instskip(SKIP_1) | instid1(VALU_DEP_2)
	v_mbcnt_lo_u32_b32 v157, v37, 0
	v_cmp_ne_u32_e64 s15, 0, v37
	v_cmp_eq_u32_e32 vcc_lo, 0, v157
	s_and_b32 s16, s15, vcc_lo
	s_wait_alu 0xfffe
	s_and_saveexec_b32 s15, s16
	s_cbranch_execz .LBB1331_1020
; %bb.1019:                             ;   in Loop: Header=BB1331_974 Depth=2
	s_wait_dscnt 0x0
	v_bcnt_u32_b32 v37, v37, v156
	ds_store_b32 v158, v37 offset:1056
.LBB1331_1020:                          ;   in Loop: Header=BB1331_974 Depth=2
	s_wait_alu 0xfffe
	s_or_b32 exec_lo, exec_lo, s15
	v_cmp_gt_i32_e32 vcc_lo, 0, v155
	; wave barrier
	s_wait_alu 0xfffd
	v_cndmask_b32_e64 v37, 0x7fffffff, 0, vcc_lo
	s_delay_alu instid0(VALU_DEP_1) | instskip(NEXT) | instid1(VALU_DEP_1)
	v_xor_b32_e32 v155, v37, v155
	v_cmp_ne_u32_e32 vcc_lo, 0x80000000, v155
	s_wait_alu 0xfffd
	v_cndmask_b32_e32 v37, 0x7fffffff, v155, vcc_lo
	s_delay_alu instid0(VALU_DEP_1) | instskip(NEXT) | instid1(VALU_DEP_1)
	v_lshrrev_b32_e32 v37, s49, v37
	v_and_b32_e32 v162, s48, v37
	s_delay_alu instid0(VALU_DEP_1)
	v_and_b32_e32 v37, 1, v162
	v_lshlrev_b32_e32 v160, 30, v162
	v_lshlrev_b32_e32 v161, 29, v162
	;; [unrolled: 1-line block ×4, first 2 shown]
	v_add_co_u32 v37, s15, v37, -1
	s_wait_alu 0xf1ff
	v_cndmask_b32_e64 v165, 0, 1, s15
	v_not_b32_e32 v170, v160
	v_cmp_gt_i32_e64 s15, 0, v160
	v_not_b32_e32 v160, v161
	v_lshlrev_b32_e32 v168, 26, v162
	v_cmp_ne_u32_e32 vcc_lo, 0, v165
	v_ashrrev_i32_e32 v170, 31, v170
	v_lshlrev_b32_e32 v169, 25, v162
	v_ashrrev_i32_e32 v160, 31, v160
	v_lshlrev_b32_e32 v165, 24, v162
	s_wait_alu 0xfffd
	v_xor_b32_e32 v37, vcc_lo, v37
	v_cmp_gt_i32_e32 vcc_lo, 0, v161
	v_not_b32_e32 v161, v164
	s_wait_alu 0xf1ff
	v_xor_b32_e32 v170, s15, v170
	v_cmp_gt_i32_e64 s15, 0, v164
	v_and_b32_e32 v37, exec_lo, v37
	v_not_b32_e32 v164, v167
	v_ashrrev_i32_e32 v161, 31, v161
	s_wait_alu 0xfffd
	v_xor_b32_e32 v160, vcc_lo, v160
	v_cmp_gt_i32_e32 vcc_lo, 0, v167
	v_and_b32_e32 v37, v37, v170
	v_not_b32_e32 v167, v168
	v_ashrrev_i32_e32 v164, 31, v164
	s_wait_alu 0xf1ff
	v_xor_b32_e32 v161, s15, v161
	v_cmp_gt_i32_e64 s15, 0, v168
	v_and_b32_e32 v37, v37, v160
	v_not_b32_e32 v160, v169
	v_ashrrev_i32_e32 v167, 31, v167
	s_wait_alu 0xfffd
	v_xor_b32_e32 v164, vcc_lo, v164
	v_cmp_gt_i32_e32 vcc_lo, 0, v169
	v_and_b32_e32 v37, v37, v161
	v_not_b32_e32 v161, v165
	v_ashrrev_i32_e32 v160, 31, v160
	s_wait_alu 0xf1ff
	v_xor_b32_e32 v167, s15, v167
	v_cmp_gt_i32_e64 s15, 0, v165
	v_and_b32_e32 v37, v37, v164
	v_ashrrev_i32_e32 v161, 31, v161
	s_wait_alu 0xfffd
	v_xor_b32_e32 v160, vcc_lo, v160
	v_mad_u32_u24 v164, v162, 36, v118
	v_mul_u32_u24_e32 v162, 36, v162
	v_and_b32_e32 v37, v37, v167
	s_wait_alu 0xf1ff
	v_xor_b32_e32 v161, s15, v161
	s_delay_alu instid0(VALU_DEP_3) | instskip(NEXT) | instid1(VALU_DEP_3)
	v_add_nc_u32_e32 v162, v118, v162
	v_and_b32_e32 v37, v37, v160
	ds_load_b32 v160, v164 offset:1056
	; wave barrier
	v_and_b32_e32 v37, v37, v161
	s_delay_alu instid0(VALU_DEP_1) | instskip(SKIP_1) | instid1(VALU_DEP_2)
	v_mbcnt_lo_u32_b32 v161, v37, 0
	v_cmp_ne_u32_e64 s15, 0, v37
	v_cmp_eq_u32_e32 vcc_lo, 0, v161
	s_and_b32 s16, s15, vcc_lo
	s_wait_alu 0xfffe
	s_and_saveexec_b32 s15, s16
	s_cbranch_execz .LBB1331_1022
; %bb.1021:                             ;   in Loop: Header=BB1331_974 Depth=2
	s_wait_dscnt 0x0
	v_bcnt_u32_b32 v37, v37, v160
	ds_store_b32 v162, v37 offset:1056
.LBB1331_1022:                          ;   in Loop: Header=BB1331_974 Depth=2
	s_wait_alu 0xfffe
	s_or_b32 exec_lo, exec_lo, s15
	v_cmp_gt_i32_e32 vcc_lo, 0, v159
	; wave barrier
	s_wait_alu 0xfffd
	v_cndmask_b32_e64 v37, 0x7fffffff, 0, vcc_lo
	s_delay_alu instid0(VALU_DEP_1) | instskip(NEXT) | instid1(VALU_DEP_1)
	v_xor_b32_e32 v159, v37, v159
	v_cmp_ne_u32_e32 vcc_lo, 0x80000000, v159
	s_wait_alu 0xfffd
	v_cndmask_b32_e32 v37, 0x7fffffff, v159, vcc_lo
	s_delay_alu instid0(VALU_DEP_1) | instskip(NEXT) | instid1(VALU_DEP_1)
	v_lshrrev_b32_e32 v37, s49, v37
	v_and_b32_e32 v167, s48, v37
	s_delay_alu instid0(VALU_DEP_1)
	v_and_b32_e32 v37, 1, v167
	v_lshlrev_b32_e32 v164, 30, v167
	v_lshlrev_b32_e32 v165, 29, v167
	;; [unrolled: 1-line block ×4, first 2 shown]
	v_add_co_u32 v37, s15, v37, -1
	s_wait_alu 0xf1ff
	v_cndmask_b32_e64 v169, 0, 1, s15
	v_not_b32_e32 v173, v164
	v_cmp_gt_i32_e64 s15, 0, v164
	v_not_b32_e32 v164, v165
	v_lshlrev_b32_e32 v171, 26, v167
	v_cmp_ne_u32_e32 vcc_lo, 0, v169
	v_ashrrev_i32_e32 v173, 31, v173
	v_lshlrev_b32_e32 v172, 25, v167
	v_ashrrev_i32_e32 v164, 31, v164
	v_lshlrev_b32_e32 v169, 24, v167
	s_wait_alu 0xfffd
	v_xor_b32_e32 v37, vcc_lo, v37
	v_cmp_gt_i32_e32 vcc_lo, 0, v165
	v_not_b32_e32 v165, v168
	s_wait_alu 0xf1ff
	v_xor_b32_e32 v173, s15, v173
	v_cmp_gt_i32_e64 s15, 0, v168
	v_and_b32_e32 v37, exec_lo, v37
	v_not_b32_e32 v168, v170
	v_ashrrev_i32_e32 v165, 31, v165
	s_wait_alu 0xfffd
	v_xor_b32_e32 v164, vcc_lo, v164
	v_cmp_gt_i32_e32 vcc_lo, 0, v170
	v_and_b32_e32 v37, v37, v173
	v_not_b32_e32 v170, v171
	v_ashrrev_i32_e32 v168, 31, v168
	s_wait_alu 0xf1ff
	v_xor_b32_e32 v165, s15, v165
	v_cmp_gt_i32_e64 s15, 0, v171
	v_and_b32_e32 v37, v37, v164
	v_not_b32_e32 v164, v172
	v_ashrrev_i32_e32 v170, 31, v170
	s_wait_alu 0xfffd
	v_xor_b32_e32 v168, vcc_lo, v168
	v_cmp_gt_i32_e32 vcc_lo, 0, v172
	v_and_b32_e32 v37, v37, v165
	v_not_b32_e32 v165, v169
	v_ashrrev_i32_e32 v164, 31, v164
	s_wait_alu 0xf1ff
	v_xor_b32_e32 v170, s15, v170
	v_cmp_gt_i32_e64 s15, 0, v169
	v_and_b32_e32 v37, v37, v168
	v_ashrrev_i32_e32 v165, 31, v165
	s_wait_alu 0xfffd
	v_xor_b32_e32 v164, vcc_lo, v164
	v_mad_u32_u24 v168, v167, 36, v118
	v_mul_u32_u24_e32 v167, 36, v167
	v_and_b32_e32 v37, v37, v170
	s_wait_alu 0xf1ff
	v_xor_b32_e32 v165, s15, v165
	s_delay_alu instid0(VALU_DEP_3) | instskip(NEXT) | instid1(VALU_DEP_3)
	v_add_nc_u32_e32 v167, v118, v167
	v_and_b32_e32 v37, v37, v164
	ds_load_b32 v164, v168 offset:1056
	; wave barrier
	v_and_b32_e32 v37, v37, v165
	s_delay_alu instid0(VALU_DEP_1) | instskip(SKIP_1) | instid1(VALU_DEP_2)
	v_mbcnt_lo_u32_b32 v165, v37, 0
	v_cmp_ne_u32_e64 s15, 0, v37
	v_cmp_eq_u32_e32 vcc_lo, 0, v165
	s_and_b32 s16, s15, vcc_lo
	s_wait_alu 0xfffe
	s_and_saveexec_b32 s15, s16
	s_cbranch_execz .LBB1331_1024
; %bb.1023:                             ;   in Loop: Header=BB1331_974 Depth=2
	s_wait_dscnt 0x0
	v_bcnt_u32_b32 v37, v37, v164
	ds_store_b32 v167, v37 offset:1056
.LBB1331_1024:                          ;   in Loop: Header=BB1331_974 Depth=2
	s_wait_alu 0xfffe
	s_or_b32 exec_lo, exec_lo, s15
	v_cmp_gt_i32_e32 vcc_lo, 0, v163
	; wave barrier
	s_wait_alu 0xfffd
	v_cndmask_b32_e64 v37, 0x7fffffff, 0, vcc_lo
	s_delay_alu instid0(VALU_DEP_1) | instskip(NEXT) | instid1(VALU_DEP_1)
	v_xor_b32_e32 v163, v37, v163
	v_cmp_ne_u32_e32 vcc_lo, 0x80000000, v163
	s_wait_alu 0xfffd
	v_cndmask_b32_e32 v37, 0x7fffffff, v163, vcc_lo
	s_delay_alu instid0(VALU_DEP_1) | instskip(NEXT) | instid1(VALU_DEP_1)
	v_lshrrev_b32_e32 v37, s49, v37
	v_and_b32_e32 v170, s48, v37
	s_delay_alu instid0(VALU_DEP_1)
	v_and_b32_e32 v37, 1, v170
	v_lshlrev_b32_e32 v168, 30, v170
	v_lshlrev_b32_e32 v169, 29, v170
	;; [unrolled: 1-line block ×4, first 2 shown]
	v_add_co_u32 v37, s15, v37, -1
	s_wait_alu 0xf1ff
	v_cndmask_b32_e64 v172, 0, 1, s15
	v_not_b32_e32 v176, v168
	v_cmp_gt_i32_e64 s15, 0, v168
	v_not_b32_e32 v168, v169
	v_lshlrev_b32_e32 v174, 26, v170
	v_cmp_ne_u32_e32 vcc_lo, 0, v172
	v_ashrrev_i32_e32 v176, 31, v176
	v_lshlrev_b32_e32 v175, 25, v170
	v_ashrrev_i32_e32 v168, 31, v168
	v_lshlrev_b32_e32 v172, 24, v170
	s_wait_alu 0xfffd
	v_xor_b32_e32 v37, vcc_lo, v37
	v_cmp_gt_i32_e32 vcc_lo, 0, v169
	v_not_b32_e32 v169, v171
	s_wait_alu 0xf1ff
	v_xor_b32_e32 v176, s15, v176
	v_cmp_gt_i32_e64 s15, 0, v171
	v_and_b32_e32 v37, exec_lo, v37
	v_not_b32_e32 v171, v173
	v_ashrrev_i32_e32 v169, 31, v169
	s_wait_alu 0xfffd
	v_xor_b32_e32 v168, vcc_lo, v168
	v_cmp_gt_i32_e32 vcc_lo, 0, v173
	v_and_b32_e32 v37, v37, v176
	v_not_b32_e32 v173, v174
	v_ashrrev_i32_e32 v171, 31, v171
	s_wait_alu 0xf1ff
	v_xor_b32_e32 v169, s15, v169
	v_cmp_gt_i32_e64 s15, 0, v174
	v_and_b32_e32 v37, v37, v168
	v_not_b32_e32 v168, v175
	v_ashrrev_i32_e32 v173, 31, v173
	s_wait_alu 0xfffd
	v_xor_b32_e32 v171, vcc_lo, v171
	v_cmp_gt_i32_e32 vcc_lo, 0, v175
	v_and_b32_e32 v37, v37, v169
	v_not_b32_e32 v169, v172
	v_ashrrev_i32_e32 v168, 31, v168
	s_wait_alu 0xf1ff
	v_xor_b32_e32 v173, s15, v173
	v_cmp_gt_i32_e64 s15, 0, v172
	v_and_b32_e32 v37, v37, v171
	v_ashrrev_i32_e32 v169, 31, v169
	s_wait_alu 0xfffd
	v_xor_b32_e32 v168, vcc_lo, v168
	v_mad_u32_u24 v171, v170, 36, v118
	v_mul_u32_u24_e32 v170, 36, v170
	v_and_b32_e32 v37, v37, v173
	s_wait_alu 0xf1ff
	v_xor_b32_e32 v169, s15, v169
	s_delay_alu instid0(VALU_DEP_3) | instskip(NEXT) | instid1(VALU_DEP_3)
	v_add_nc_u32_e32 v170, v118, v170
	v_and_b32_e32 v37, v37, v168
	ds_load_b32 v168, v171 offset:1056
	; wave barrier
	v_and_b32_e32 v37, v37, v169
	s_delay_alu instid0(VALU_DEP_1) | instskip(SKIP_1) | instid1(VALU_DEP_2)
	v_mbcnt_lo_u32_b32 v169, v37, 0
	v_cmp_ne_u32_e64 s15, 0, v37
	v_cmp_eq_u32_e32 vcc_lo, 0, v169
	s_and_b32 s16, s15, vcc_lo
	s_wait_alu 0xfffe
	s_and_saveexec_b32 s15, s16
	s_cbranch_execz .LBB1331_1026
; %bb.1025:                             ;   in Loop: Header=BB1331_974 Depth=2
	s_wait_dscnt 0x0
	v_bcnt_u32_b32 v37, v37, v168
	ds_store_b32 v170, v37 offset:1056
.LBB1331_1026:                          ;   in Loop: Header=BB1331_974 Depth=2
	s_wait_alu 0xfffe
	s_or_b32 exec_lo, exec_lo, s15
	v_cmp_gt_i32_e32 vcc_lo, 0, v166
	; wave barrier
	s_wait_alu 0xfffd
	v_cndmask_b32_e64 v37, 0x7fffffff, 0, vcc_lo
	s_delay_alu instid0(VALU_DEP_1) | instskip(NEXT) | instid1(VALU_DEP_1)
	v_xor_b32_e32 v166, v37, v166
	v_cmp_ne_u32_e32 vcc_lo, 0x80000000, v166
	s_wait_alu 0xfffd
	v_cndmask_b32_e32 v37, 0x7fffffff, v166, vcc_lo
	s_delay_alu instid0(VALU_DEP_1) | instskip(NEXT) | instid1(VALU_DEP_1)
	v_lshrrev_b32_e32 v37, s49, v37
	v_and_b32_e32 v171, s48, v37
	s_delay_alu instid0(VALU_DEP_1)
	v_and_b32_e32 v37, 1, v171
	v_lshlrev_b32_e32 v172, 30, v171
	v_lshlrev_b32_e32 v173, 29, v171
	;; [unrolled: 1-line block ×4, first 2 shown]
	v_add_co_u32 v37, s15, v37, -1
	s_wait_alu 0xf1ff
	v_cndmask_b32_e64 v175, 0, 1, s15
	v_not_b32_e32 v179, v172
	v_cmp_gt_i32_e64 s15, 0, v172
	v_not_b32_e32 v172, v173
	v_lshlrev_b32_e32 v177, 26, v171
	v_cmp_ne_u32_e32 vcc_lo, 0, v175
	v_ashrrev_i32_e32 v179, 31, v179
	v_lshlrev_b32_e32 v178, 25, v171
	v_ashrrev_i32_e32 v172, 31, v172
	v_lshlrev_b32_e32 v175, 24, v171
	s_wait_alu 0xfffd
	v_xor_b32_e32 v37, vcc_lo, v37
	v_cmp_gt_i32_e32 vcc_lo, 0, v173
	v_not_b32_e32 v173, v174
	s_wait_alu 0xf1ff
	v_xor_b32_e32 v179, s15, v179
	v_cmp_gt_i32_e64 s15, 0, v174
	v_and_b32_e32 v37, exec_lo, v37
	v_not_b32_e32 v174, v176
	v_ashrrev_i32_e32 v173, 31, v173
	s_wait_alu 0xfffd
	v_xor_b32_e32 v172, vcc_lo, v172
	v_cmp_gt_i32_e32 vcc_lo, 0, v176
	v_and_b32_e32 v37, v37, v179
	v_not_b32_e32 v176, v177
	v_ashrrev_i32_e32 v174, 31, v174
	s_wait_alu 0xf1ff
	v_xor_b32_e32 v173, s15, v173
	v_cmp_gt_i32_e64 s15, 0, v177
	v_and_b32_e32 v37, v37, v172
	v_not_b32_e32 v172, v178
	v_ashrrev_i32_e32 v176, 31, v176
	s_wait_alu 0xfffd
	v_xor_b32_e32 v174, vcc_lo, v174
	v_cmp_gt_i32_e32 vcc_lo, 0, v178
	v_and_b32_e32 v37, v37, v173
	v_not_b32_e32 v173, v175
	v_ashrrev_i32_e32 v172, 31, v172
	s_wait_alu 0xf1ff
	v_xor_b32_e32 v176, s15, v176
	v_cmp_gt_i32_e64 s15, 0, v175
	v_and_b32_e32 v37, v37, v174
	v_ashrrev_i32_e32 v173, 31, v173
	s_wait_alu 0xfffd
	v_xor_b32_e32 v172, vcc_lo, v172
	v_mad_u32_u24 v174, v171, 36, v118
	v_mul_u32_u24_e32 v171, 36, v171
	v_and_b32_e32 v37, v37, v176
	s_wait_alu 0xf1ff
	v_xor_b32_e32 v173, s15, v173
	s_delay_alu instid0(VALU_DEP_2) | instskip(SKIP_3) | instid1(VALU_DEP_1)
	v_and_b32_e32 v37, v37, v172
	ds_load_b32 v172, v174 offset:1056
	v_add_nc_u32_e32 v174, v118, v171
	; wave barrier
	v_and_b32_e32 v37, v37, v173
	v_mbcnt_lo_u32_b32 v173, v37, 0
	v_cmp_ne_u32_e64 s15, 0, v37
	s_delay_alu instid0(VALU_DEP_2)
	v_cmp_eq_u32_e32 vcc_lo, 0, v173
	s_and_b32 s16, s15, vcc_lo
	s_wait_alu 0xfffe
	s_and_saveexec_b32 s15, s16
	s_cbranch_execz .LBB1331_1028
; %bb.1027:                             ;   in Loop: Header=BB1331_974 Depth=2
	s_wait_dscnt 0x0
	v_bcnt_u32_b32 v37, v37, v172
	ds_store_b32 v174, v37 offset:1056
.LBB1331_1028:                          ;   in Loop: Header=BB1331_974 Depth=2
	s_wait_alu 0xfffe
	s_or_b32 exec_lo, exec_lo, s15
	v_cmp_gt_i32_e32 vcc_lo, 0, v43
	; wave barrier
	s_wait_alu 0xfffd
	v_cndmask_b32_e64 v37, 0x7fffffff, 0, vcc_lo
	s_delay_alu instid0(VALU_DEP_1) | instskip(NEXT) | instid1(VALU_DEP_1)
	v_xor_b32_e32 v171, v37, v43
	v_cmp_ne_u32_e32 vcc_lo, 0x80000000, v171
	s_wait_alu 0xfffd
	v_cndmask_b32_e32 v37, 0x7fffffff, v171, vcc_lo
	s_delay_alu instid0(VALU_DEP_1) | instskip(NEXT) | instid1(VALU_DEP_1)
	v_lshrrev_b32_e32 v37, s49, v37
	v_and_b32_e32 v43, s48, v37
	s_delay_alu instid0(VALU_DEP_1)
	v_and_b32_e32 v37, 1, v43
	v_lshlrev_b32_e32 v175, 30, v43
	v_lshlrev_b32_e32 v176, 29, v43
	;; [unrolled: 1-line block ×4, first 2 shown]
	v_add_co_u32 v37, s15, v37, -1
	s_wait_alu 0xf1ff
	v_cndmask_b32_e64 v178, 0, 1, s15
	v_not_b32_e32 v182, v175
	v_cmp_gt_i32_e64 s15, 0, v175
	v_not_b32_e32 v175, v176
	v_lshlrev_b32_e32 v180, 26, v43
	v_cmp_ne_u32_e32 vcc_lo, 0, v178
	v_ashrrev_i32_e32 v182, 31, v182
	v_lshlrev_b32_e32 v181, 25, v43
	v_ashrrev_i32_e32 v175, 31, v175
	v_lshlrev_b32_e32 v178, 24, v43
	s_wait_alu 0xfffd
	v_xor_b32_e32 v37, vcc_lo, v37
	v_cmp_gt_i32_e32 vcc_lo, 0, v176
	v_not_b32_e32 v176, v177
	s_wait_alu 0xf1ff
	v_xor_b32_e32 v182, s15, v182
	v_cmp_gt_i32_e64 s15, 0, v177
	v_and_b32_e32 v37, exec_lo, v37
	v_not_b32_e32 v177, v179
	v_ashrrev_i32_e32 v176, 31, v176
	s_wait_alu 0xfffd
	v_xor_b32_e32 v175, vcc_lo, v175
	v_cmp_gt_i32_e32 vcc_lo, 0, v179
	v_and_b32_e32 v37, v37, v182
	v_not_b32_e32 v179, v180
	v_ashrrev_i32_e32 v177, 31, v177
	s_wait_alu 0xf1ff
	v_xor_b32_e32 v176, s15, v176
	v_cmp_gt_i32_e64 s15, 0, v180
	v_and_b32_e32 v37, v37, v175
	v_not_b32_e32 v175, v181
	v_ashrrev_i32_e32 v179, 31, v179
	s_wait_alu 0xfffd
	v_xor_b32_e32 v177, vcc_lo, v177
	v_cmp_gt_i32_e32 vcc_lo, 0, v181
	v_and_b32_e32 v37, v37, v176
	v_not_b32_e32 v176, v178
	v_ashrrev_i32_e32 v175, 31, v175
	s_wait_alu 0xf1ff
	v_xor_b32_e32 v179, s15, v179
	v_cmp_gt_i32_e64 s15, 0, v178
	v_and_b32_e32 v37, v37, v177
	v_ashrrev_i32_e32 v176, 31, v176
	s_wait_alu 0xfffd
	v_xor_b32_e32 v175, vcc_lo, v175
	v_mad_u32_u24 v177, v43, 36, v118
	v_mul_u32_u24_e32 v43, 36, v43
	v_and_b32_e32 v37, v37, v179
	s_wait_alu 0xf1ff
	v_xor_b32_e32 v178, s15, v176
	ds_load_b32 v176, v177 offset:1056
	v_and_b32_e32 v37, v37, v175
	; wave barrier
	s_delay_alu instid0(VALU_DEP_1) | instskip(SKIP_1) | instid1(VALU_DEP_2)
	v_and_b32_e32 v37, v37, v178
	v_add_nc_u32_e32 v178, v118, v43
	v_mbcnt_lo_u32_b32 v177, v37, 0
	v_cmp_ne_u32_e64 s15, 0, v37
	s_delay_alu instid0(VALU_DEP_2)
	v_cmp_eq_u32_e32 vcc_lo, 0, v177
	s_and_b32 s16, s15, vcc_lo
	s_wait_alu 0xfffe
	s_and_saveexec_b32 s15, s16
	s_cbranch_execz .LBB1331_1030
; %bb.1029:                             ;   in Loop: Header=BB1331_974 Depth=2
	s_wait_dscnt 0x0
	v_bcnt_u32_b32 v37, v37, v176
	ds_store_b32 v178, v37 offset:1056
.LBB1331_1030:                          ;   in Loop: Header=BB1331_974 Depth=2
	s_wait_alu 0xfffe
	s_or_b32 exec_lo, exec_lo, s15
	v_cmp_gt_i32_e32 vcc_lo, 0, v42
	; wave barrier
	s_wait_alu 0xfffd
	v_cndmask_b32_e64 v37, 0x7fffffff, 0, vcc_lo
	s_delay_alu instid0(VALU_DEP_1) | instskip(NEXT) | instid1(VALU_DEP_1)
	v_xor_b32_e32 v175, v37, v42
	v_cmp_ne_u32_e32 vcc_lo, 0x80000000, v175
	s_wait_alu 0xfffd
	v_cndmask_b32_e32 v37, 0x7fffffff, v175, vcc_lo
	s_delay_alu instid0(VALU_DEP_1) | instskip(NEXT) | instid1(VALU_DEP_1)
	v_lshrrev_b32_e32 v37, s49, v37
	v_and_b32_e32 v42, s48, v37
	s_delay_alu instid0(VALU_DEP_1)
	v_and_b32_e32 v37, 1, v42
	v_lshlrev_b32_e32 v43, 30, v42
	v_lshlrev_b32_e32 v179, 29, v42
	;; [unrolled: 1-line block ×4, first 2 shown]
	v_add_co_u32 v37, s15, v37, -1
	s_wait_alu 0xf1ff
	v_cndmask_b32_e64 v181, 0, 1, s15
	v_not_b32_e32 v185, v43
	v_cmp_gt_i32_e64 s15, 0, v43
	v_not_b32_e32 v43, v179
	v_lshlrev_b32_e32 v183, 26, v42
	v_cmp_ne_u32_e32 vcc_lo, 0, v181
	v_ashrrev_i32_e32 v185, 31, v185
	v_lshlrev_b32_e32 v184, 25, v42
	v_ashrrev_i32_e32 v43, 31, v43
	v_lshlrev_b32_e32 v181, 24, v42
	s_wait_alu 0xfffd
	v_xor_b32_e32 v37, vcc_lo, v37
	v_cmp_gt_i32_e32 vcc_lo, 0, v179
	v_not_b32_e32 v179, v180
	s_wait_alu 0xf1ff
	v_xor_b32_e32 v185, s15, v185
	v_cmp_gt_i32_e64 s15, 0, v180
	v_and_b32_e32 v37, exec_lo, v37
	v_not_b32_e32 v180, v182
	v_ashrrev_i32_e32 v179, 31, v179
	s_wait_alu 0xfffd
	v_xor_b32_e32 v43, vcc_lo, v43
	v_cmp_gt_i32_e32 vcc_lo, 0, v182
	v_and_b32_e32 v37, v37, v185
	v_not_b32_e32 v182, v183
	v_ashrrev_i32_e32 v180, 31, v180
	s_wait_alu 0xf1ff
	v_xor_b32_e32 v179, s15, v179
	v_cmp_gt_i32_e64 s15, 0, v183
	v_and_b32_e32 v37, v37, v43
	v_not_b32_e32 v43, v184
	v_ashrrev_i32_e32 v182, 31, v182
	s_wait_alu 0xfffd
	v_xor_b32_e32 v180, vcc_lo, v180
	v_cmp_gt_i32_e32 vcc_lo, 0, v184
	v_and_b32_e32 v37, v37, v179
	v_not_b32_e32 v179, v181
	v_ashrrev_i32_e32 v43, 31, v43
	s_wait_alu 0xf1ff
	v_xor_b32_e32 v182, s15, v182
	v_cmp_gt_i32_e64 s15, 0, v181
	v_and_b32_e32 v37, v37, v180
	v_ashrrev_i32_e32 v179, 31, v179
	s_wait_alu 0xfffd
	v_xor_b32_e32 v43, vcc_lo, v43
	v_mad_u32_u24 v180, v42, 36, v118
	v_mul_u32_u24_e32 v42, 36, v42
	v_and_b32_e32 v37, v37, v182
	s_wait_alu 0xf1ff
	v_xor_b32_e32 v179, s15, v179
	ds_load_b32 v180, v180 offset:1056
	v_add_nc_u32_e32 v182, v118, v42
	v_and_b32_e32 v37, v37, v43
	; wave barrier
	s_delay_alu instid0(VALU_DEP_1) | instskip(NEXT) | instid1(VALU_DEP_1)
	v_and_b32_e32 v37, v37, v179
	v_mbcnt_lo_u32_b32 v181, v37, 0
	v_cmp_ne_u32_e64 s15, 0, v37
	s_delay_alu instid0(VALU_DEP_2)
	v_cmp_eq_u32_e32 vcc_lo, 0, v181
	s_and_b32 s16, s15, vcc_lo
	s_wait_alu 0xfffe
	s_and_saveexec_b32 s15, s16
	s_cbranch_execz .LBB1331_1032
; %bb.1031:                             ;   in Loop: Header=BB1331_974 Depth=2
	s_wait_dscnt 0x0
	v_bcnt_u32_b32 v37, v37, v180
	ds_store_b32 v182, v37 offset:1056
.LBB1331_1032:                          ;   in Loop: Header=BB1331_974 Depth=2
	s_wait_alu 0xfffe
	s_or_b32 exec_lo, exec_lo, s15
	v_cmp_gt_i32_e32 vcc_lo, 0, v41
	; wave barrier
	s_wait_alu 0xfffd
	v_cndmask_b32_e64 v37, 0x7fffffff, 0, vcc_lo
	s_delay_alu instid0(VALU_DEP_1) | instskip(NEXT) | instid1(VALU_DEP_1)
	v_xor_b32_e32 v179, v37, v41
	v_cmp_ne_u32_e32 vcc_lo, 0x80000000, v179
	s_wait_alu 0xfffd
	v_cndmask_b32_e32 v37, 0x7fffffff, v179, vcc_lo
	s_delay_alu instid0(VALU_DEP_1) | instskip(NEXT) | instid1(VALU_DEP_1)
	v_lshrrev_b32_e32 v37, s49, v37
	v_and_b32_e32 v41, s48, v37
	s_delay_alu instid0(VALU_DEP_1)
	v_and_b32_e32 v37, 1, v41
	v_lshlrev_b32_e32 v42, 30, v41
	v_lshlrev_b32_e32 v43, 29, v41
	;; [unrolled: 1-line block ×4, first 2 shown]
	v_add_co_u32 v37, s15, v37, -1
	s_wait_alu 0xf1ff
	v_cndmask_b32_e64 v184, 0, 1, s15
	v_not_b32_e32 v188, v42
	v_cmp_gt_i32_e64 s15, 0, v42
	v_not_b32_e32 v42, v43
	v_lshlrev_b32_e32 v186, 26, v41
	v_cmp_ne_u32_e32 vcc_lo, 0, v184
	v_ashrrev_i32_e32 v188, 31, v188
	v_lshlrev_b32_e32 v187, 25, v41
	v_ashrrev_i32_e32 v42, 31, v42
	v_lshlrev_b32_e32 v184, 24, v41
	s_wait_alu 0xfffd
	v_xor_b32_e32 v37, vcc_lo, v37
	v_cmp_gt_i32_e32 vcc_lo, 0, v43
	v_not_b32_e32 v43, v183
	s_wait_alu 0xf1ff
	v_xor_b32_e32 v188, s15, v188
	v_cmp_gt_i32_e64 s15, 0, v183
	v_and_b32_e32 v37, exec_lo, v37
	v_not_b32_e32 v183, v185
	v_ashrrev_i32_e32 v43, 31, v43
	s_wait_alu 0xfffd
	v_xor_b32_e32 v42, vcc_lo, v42
	v_cmp_gt_i32_e32 vcc_lo, 0, v185
	v_and_b32_e32 v37, v37, v188
	v_not_b32_e32 v185, v186
	v_ashrrev_i32_e32 v183, 31, v183
	s_wait_alu 0xf1ff
	v_xor_b32_e32 v43, s15, v43
	v_cmp_gt_i32_e64 s15, 0, v186
	v_and_b32_e32 v37, v37, v42
	v_not_b32_e32 v42, v187
	v_ashrrev_i32_e32 v185, 31, v185
	s_wait_alu 0xfffd
	v_xor_b32_e32 v183, vcc_lo, v183
	v_cmp_gt_i32_e32 vcc_lo, 0, v187
	v_and_b32_e32 v37, v37, v43
	v_not_b32_e32 v43, v184
	v_ashrrev_i32_e32 v42, 31, v42
	s_wait_alu 0xf1ff
	v_xor_b32_e32 v185, s15, v185
	v_cmp_gt_i32_e64 s15, 0, v184
	v_and_b32_e32 v37, v37, v183
	v_ashrrev_i32_e32 v43, 31, v43
	s_wait_alu 0xfffd
	v_xor_b32_e32 v42, vcc_lo, v42
	v_mad_u32_u24 v183, v41, 36, v118
	v_mul_u32_u24_e32 v41, 36, v41
	v_and_b32_e32 v37, v37, v185
	s_wait_alu 0xf1ff
	v_xor_b32_e32 v43, s15, v43
	ds_load_b32 v184, v183 offset:1056
	v_add_nc_u32_e32 v186, v118, v41
	v_and_b32_e32 v37, v37, v42
	; wave barrier
	s_delay_alu instid0(VALU_DEP_1) | instskip(NEXT) | instid1(VALU_DEP_1)
	v_and_b32_e32 v37, v37, v43
	v_mbcnt_lo_u32_b32 v185, v37, 0
	v_cmp_ne_u32_e64 s15, 0, v37
	s_delay_alu instid0(VALU_DEP_2)
	v_cmp_eq_u32_e32 vcc_lo, 0, v185
	s_and_b32 s16, s15, vcc_lo
	s_wait_alu 0xfffe
	s_and_saveexec_b32 s15, s16
	s_cbranch_execz .LBB1331_1034
; %bb.1033:                             ;   in Loop: Header=BB1331_974 Depth=2
	s_wait_dscnt 0x0
	v_bcnt_u32_b32 v37, v37, v184
	ds_store_b32 v186, v37 offset:1056
.LBB1331_1034:                          ;   in Loop: Header=BB1331_974 Depth=2
	s_wait_alu 0xfffe
	s_or_b32 exec_lo, exec_lo, s15
	v_cmp_gt_i32_e32 vcc_lo, 0, v40
	; wave barrier
	s_wait_alu 0xfffd
	v_cndmask_b32_e64 v37, 0x7fffffff, 0, vcc_lo
	s_delay_alu instid0(VALU_DEP_1) | instskip(NEXT) | instid1(VALU_DEP_1)
	v_xor_b32_e32 v183, v37, v40
	v_cmp_ne_u32_e32 vcc_lo, 0x80000000, v183
	s_wait_alu 0xfffd
	v_cndmask_b32_e32 v37, 0x7fffffff, v183, vcc_lo
	s_delay_alu instid0(VALU_DEP_1) | instskip(NEXT) | instid1(VALU_DEP_1)
	v_lshrrev_b32_e32 v37, s49, v37
	v_and_b32_e32 v40, s48, v37
	s_delay_alu instid0(VALU_DEP_1)
	v_and_b32_e32 v37, 1, v40
	v_lshlrev_b32_e32 v41, 30, v40
	v_lshlrev_b32_e32 v42, 29, v40
	;; [unrolled: 1-line block ×4, first 2 shown]
	v_add_co_u32 v37, s15, v37, -1
	s_wait_alu 0xf1ff
	v_cndmask_b32_e64 v187, 0, 1, s15
	v_not_b32_e32 v191, v41
	v_cmp_gt_i32_e64 s15, 0, v41
	v_not_b32_e32 v41, v42
	v_lshlrev_b32_e32 v189, 26, v40
	v_cmp_ne_u32_e32 vcc_lo, 0, v187
	v_ashrrev_i32_e32 v191, 31, v191
	v_lshlrev_b32_e32 v190, 25, v40
	v_ashrrev_i32_e32 v41, 31, v41
	v_lshlrev_b32_e32 v187, 24, v40
	s_wait_alu 0xfffd
	v_xor_b32_e32 v37, vcc_lo, v37
	v_cmp_gt_i32_e32 vcc_lo, 0, v42
	v_not_b32_e32 v42, v43
	s_wait_alu 0xf1ff
	v_xor_b32_e32 v191, s15, v191
	v_cmp_gt_i32_e64 s15, 0, v43
	v_and_b32_e32 v37, exec_lo, v37
	v_not_b32_e32 v43, v188
	v_ashrrev_i32_e32 v42, 31, v42
	s_wait_alu 0xfffd
	v_xor_b32_e32 v41, vcc_lo, v41
	v_cmp_gt_i32_e32 vcc_lo, 0, v188
	v_and_b32_e32 v37, v37, v191
	v_not_b32_e32 v188, v189
	v_ashrrev_i32_e32 v43, 31, v43
	s_wait_alu 0xf1ff
	v_xor_b32_e32 v42, s15, v42
	v_cmp_gt_i32_e64 s15, 0, v189
	v_and_b32_e32 v37, v37, v41
	v_not_b32_e32 v41, v190
	v_ashrrev_i32_e32 v188, 31, v188
	s_wait_alu 0xfffd
	v_xor_b32_e32 v43, vcc_lo, v43
	v_cmp_gt_i32_e32 vcc_lo, 0, v190
	v_and_b32_e32 v37, v37, v42
	v_not_b32_e32 v42, v187
	v_ashrrev_i32_e32 v41, 31, v41
	s_wait_alu 0xf1ff
	v_xor_b32_e32 v188, s15, v188
	v_cmp_gt_i32_e64 s15, 0, v187
	v_and_b32_e32 v37, v37, v43
	v_ashrrev_i32_e32 v42, 31, v42
	s_wait_alu 0xfffd
	v_xor_b32_e32 v41, vcc_lo, v41
	v_mad_u32_u24 v43, v40, 36, v118
	v_mul_u32_u24_e32 v40, 36, v40
	v_and_b32_e32 v37, v37, v188
	s_wait_alu 0xf1ff
	v_xor_b32_e32 v42, s15, v42
	ds_load_b32 v188, v43 offset:1056
	v_add_nc_u32_e32 v190, v118, v40
	v_and_b32_e32 v37, v37, v41
	; wave barrier
	s_delay_alu instid0(VALU_DEP_1) | instskip(NEXT) | instid1(VALU_DEP_1)
	v_and_b32_e32 v37, v37, v42
	v_mbcnt_lo_u32_b32 v189, v37, 0
	v_cmp_ne_u32_e64 s15, 0, v37
	s_delay_alu instid0(VALU_DEP_2)
	v_cmp_eq_u32_e32 vcc_lo, 0, v189
	s_and_b32 s16, s15, vcc_lo
	s_wait_alu 0xfffe
	s_and_saveexec_b32 s15, s16
	s_cbranch_execz .LBB1331_1036
; %bb.1035:                             ;   in Loop: Header=BB1331_974 Depth=2
	s_wait_dscnt 0x0
	v_bcnt_u32_b32 v37, v37, v188
	ds_store_b32 v190, v37 offset:1056
.LBB1331_1036:                          ;   in Loop: Header=BB1331_974 Depth=2
	s_wait_alu 0xfffe
	s_or_b32 exec_lo, exec_lo, s15
	v_cmp_gt_i32_e32 vcc_lo, 0, v39
	; wave barrier
	s_wait_alu 0xfffd
	v_cndmask_b32_e64 v37, 0x7fffffff, 0, vcc_lo
	s_delay_alu instid0(VALU_DEP_1) | instskip(NEXT) | instid1(VALU_DEP_1)
	v_xor_b32_e32 v187, v37, v39
	v_cmp_ne_u32_e32 vcc_lo, 0x80000000, v187
	s_wait_alu 0xfffd
	v_cndmask_b32_e32 v37, 0x7fffffff, v187, vcc_lo
	s_delay_alu instid0(VALU_DEP_1) | instskip(NEXT) | instid1(VALU_DEP_1)
	v_lshrrev_b32_e32 v37, s49, v37
	v_and_b32_e32 v39, s48, v37
	s_delay_alu instid0(VALU_DEP_1)
	v_and_b32_e32 v37, 1, v39
	v_lshlrev_b32_e32 v40, 30, v39
	v_lshlrev_b32_e32 v41, 29, v39
	;; [unrolled: 1-line block ×4, first 2 shown]
	v_add_co_u32 v37, s15, v37, -1
	s_wait_alu 0xf1ff
	v_cndmask_b32_e64 v43, 0, 1, s15
	v_not_b32_e32 v194, v40
	v_cmp_gt_i32_e64 s15, 0, v40
	v_not_b32_e32 v40, v41
	v_lshlrev_b32_e32 v192, 26, v39
	v_cmp_ne_u32_e32 vcc_lo, 0, v43
	v_ashrrev_i32_e32 v194, 31, v194
	v_lshlrev_b32_e32 v193, 25, v39
	v_ashrrev_i32_e32 v40, 31, v40
	v_lshlrev_b32_e32 v43, 24, v39
	s_wait_alu 0xfffd
	v_xor_b32_e32 v37, vcc_lo, v37
	v_cmp_gt_i32_e32 vcc_lo, 0, v41
	v_not_b32_e32 v41, v42
	s_wait_alu 0xf1ff
	v_xor_b32_e32 v194, s15, v194
	v_cmp_gt_i32_e64 s15, 0, v42
	v_and_b32_e32 v37, exec_lo, v37
	v_not_b32_e32 v42, v191
	v_ashrrev_i32_e32 v41, 31, v41
	s_wait_alu 0xfffd
	v_xor_b32_e32 v40, vcc_lo, v40
	v_cmp_gt_i32_e32 vcc_lo, 0, v191
	v_and_b32_e32 v37, v37, v194
	v_not_b32_e32 v191, v192
	v_ashrrev_i32_e32 v42, 31, v42
	s_wait_alu 0xf1ff
	v_xor_b32_e32 v41, s15, v41
	v_cmp_gt_i32_e64 s15, 0, v192
	v_and_b32_e32 v37, v37, v40
	v_not_b32_e32 v40, v193
	v_ashrrev_i32_e32 v191, 31, v191
	s_wait_alu 0xfffd
	v_xor_b32_e32 v42, vcc_lo, v42
	v_cmp_gt_i32_e32 vcc_lo, 0, v193
	v_and_b32_e32 v37, v37, v41
	v_not_b32_e32 v41, v43
	v_ashrrev_i32_e32 v40, 31, v40
	s_wait_alu 0xf1ff
	v_xor_b32_e32 v191, s15, v191
	v_cmp_gt_i32_e64 s15, 0, v43
	v_and_b32_e32 v37, v37, v42
	v_ashrrev_i32_e32 v41, 31, v41
	s_wait_alu 0xfffd
	v_xor_b32_e32 v40, vcc_lo, v40
	v_mad_u32_u24 v42, v39, 36, v118
	v_mul_u32_u24_e32 v39, 36, v39
	v_and_b32_e32 v37, v37, v191
	s_wait_alu 0xf1ff
	v_xor_b32_e32 v41, s15, v41
	ds_load_b32 v192, v42 offset:1056
	v_add_nc_u32_e32 v194, v118, v39
	v_and_b32_e32 v37, v37, v40
	; wave barrier
	s_delay_alu instid0(VALU_DEP_1) | instskip(NEXT) | instid1(VALU_DEP_1)
	v_and_b32_e32 v37, v37, v41
	v_mbcnt_lo_u32_b32 v193, v37, 0
	v_cmp_ne_u32_e64 s15, 0, v37
	s_delay_alu instid0(VALU_DEP_2)
	v_cmp_eq_u32_e32 vcc_lo, 0, v193
	s_and_b32 s16, s15, vcc_lo
	s_wait_alu 0xfffe
	s_and_saveexec_b32 s15, s16
	s_cbranch_execz .LBB1331_1038
; %bb.1037:                             ;   in Loop: Header=BB1331_974 Depth=2
	s_wait_dscnt 0x0
	v_bcnt_u32_b32 v37, v37, v192
	ds_store_b32 v194, v37 offset:1056
.LBB1331_1038:                          ;   in Loop: Header=BB1331_974 Depth=2
	s_wait_alu 0xfffe
	s_or_b32 exec_lo, exec_lo, s15
	v_cmp_gt_i32_e32 vcc_lo, 0, v38
	; wave barrier
	s_wait_alu 0xfffd
	v_cndmask_b32_e64 v37, 0x7fffffff, 0, vcc_lo
	s_delay_alu instid0(VALU_DEP_1) | instskip(NEXT) | instid1(VALU_DEP_1)
	v_xor_b32_e32 v191, v37, v38
	v_cmp_ne_u32_e32 vcc_lo, 0x80000000, v191
	s_wait_alu 0xfffd
	v_cndmask_b32_e32 v37, 0x7fffffff, v191, vcc_lo
	s_delay_alu instid0(VALU_DEP_1) | instskip(NEXT) | instid1(VALU_DEP_1)
	v_lshrrev_b32_e32 v37, s49, v37
	v_and_b32_e32 v38, s48, v37
	s_delay_alu instid0(VALU_DEP_1)
	v_and_b32_e32 v37, 1, v38
	v_lshlrev_b32_e32 v39, 30, v38
	v_lshlrev_b32_e32 v40, 29, v38
	;; [unrolled: 1-line block ×4, first 2 shown]
	v_add_co_u32 v37, s15, v37, -1
	s_wait_alu 0xf1ff
	v_cndmask_b32_e64 v42, 0, 1, s15
	v_not_b32_e32 v197, v39
	v_cmp_gt_i32_e64 s15, 0, v39
	v_not_b32_e32 v39, v40
	v_lshlrev_b32_e32 v195, 26, v38
	v_cmp_ne_u32_e32 vcc_lo, 0, v42
	v_ashrrev_i32_e32 v197, 31, v197
	v_lshlrev_b32_e32 v196, 25, v38
	v_ashrrev_i32_e32 v39, 31, v39
	v_lshlrev_b32_e32 v42, 24, v38
	s_wait_alu 0xfffd
	v_xor_b32_e32 v37, vcc_lo, v37
	v_cmp_gt_i32_e32 vcc_lo, 0, v40
	v_not_b32_e32 v40, v41
	s_wait_alu 0xf1ff
	v_xor_b32_e32 v197, s15, v197
	v_cmp_gt_i32_e64 s15, 0, v41
	v_and_b32_e32 v37, exec_lo, v37
	v_not_b32_e32 v41, v43
	v_ashrrev_i32_e32 v40, 31, v40
	s_wait_alu 0xfffd
	v_xor_b32_e32 v39, vcc_lo, v39
	v_cmp_gt_i32_e32 vcc_lo, 0, v43
	v_and_b32_e32 v37, v37, v197
	v_not_b32_e32 v43, v195
	v_ashrrev_i32_e32 v41, 31, v41
	s_wait_alu 0xf1ff
	v_xor_b32_e32 v40, s15, v40
	v_cmp_gt_i32_e64 s15, 0, v195
	v_and_b32_e32 v37, v37, v39
	v_not_b32_e32 v39, v196
	v_ashrrev_i32_e32 v43, 31, v43
	s_wait_alu 0xfffd
	v_xor_b32_e32 v41, vcc_lo, v41
	v_cmp_gt_i32_e32 vcc_lo, 0, v196
	v_and_b32_e32 v37, v37, v40
	v_not_b32_e32 v40, v42
	v_ashrrev_i32_e32 v39, 31, v39
	s_wait_alu 0xf1ff
	v_xor_b32_e32 v43, s15, v43
	v_cmp_gt_i32_e64 s15, 0, v42
	v_and_b32_e32 v37, v37, v41
	v_ashrrev_i32_e32 v40, 31, v40
	s_wait_alu 0xfffd
	v_xor_b32_e32 v39, vcc_lo, v39
	v_mad_u32_u24 v41, v38, 36, v118
	v_mul_u32_u24_e32 v38, 36, v38
	v_and_b32_e32 v37, v37, v43
	s_wait_alu 0xf1ff
	v_xor_b32_e32 v40, s15, v40
	ds_load_b32 v196, v41 offset:1056
	v_add_nc_u32_e32 v198, v118, v38
	v_and_b32_e32 v37, v37, v39
	; wave barrier
	s_delay_alu instid0(VALU_DEP_1) | instskip(NEXT) | instid1(VALU_DEP_1)
	v_and_b32_e32 v37, v37, v40
	v_mbcnt_lo_u32_b32 v197, v37, 0
	v_cmp_ne_u32_e64 s15, 0, v37
	s_delay_alu instid0(VALU_DEP_2)
	v_cmp_eq_u32_e32 vcc_lo, 0, v197
	s_and_b32 s16, s15, vcc_lo
	s_wait_alu 0xfffe
	s_and_saveexec_b32 s15, s16
	s_cbranch_execz .LBB1331_1040
; %bb.1039:                             ;   in Loop: Header=BB1331_974 Depth=2
	s_wait_dscnt 0x0
	v_bcnt_u32_b32 v37, v37, v196
	ds_store_b32 v198, v37 offset:1056
.LBB1331_1040:                          ;   in Loop: Header=BB1331_974 Depth=2
	s_wait_alu 0xfffe
	s_or_b32 exec_lo, exec_lo, s15
	v_cmp_gt_i32_e32 vcc_lo, 0, v36
	; wave barrier
	s_wait_alu 0xfffd
	v_cndmask_b32_e64 v37, 0x7fffffff, 0, vcc_lo
	s_delay_alu instid0(VALU_DEP_1) | instskip(NEXT) | instid1(VALU_DEP_1)
	v_xor_b32_e32 v195, v37, v36
	v_cmp_ne_u32_e32 vcc_lo, 0x80000000, v195
	s_wait_alu 0xfffd
	v_cndmask_b32_e32 v36, 0x7fffffff, v195, vcc_lo
	s_delay_alu instid0(VALU_DEP_1) | instskip(NEXT) | instid1(VALU_DEP_1)
	v_lshrrev_b32_e32 v36, s49, v36
	v_and_b32_e32 v37, s48, v36
	s_delay_alu instid0(VALU_DEP_1)
	v_and_b32_e32 v36, 1, v37
	v_lshlrev_b32_e32 v38, 30, v37
	v_lshlrev_b32_e32 v39, 29, v37
	;; [unrolled: 1-line block ×4, first 2 shown]
	v_add_co_u32 v36, s15, v36, -1
	s_wait_alu 0xf1ff
	v_cndmask_b32_e64 v41, 0, 1, s15
	v_not_b32_e32 v200, v38
	v_cmp_gt_i32_e64 s15, 0, v38
	v_not_b32_e32 v38, v39
	v_lshlrev_b32_e32 v43, 26, v37
	v_cmp_ne_u32_e32 vcc_lo, 0, v41
	v_ashrrev_i32_e32 v200, 31, v200
	v_lshlrev_b32_e32 v199, 25, v37
	v_ashrrev_i32_e32 v38, 31, v38
	v_lshlrev_b32_e32 v41, 24, v37
	s_wait_alu 0xfffd
	v_xor_b32_e32 v36, vcc_lo, v36
	v_cmp_gt_i32_e32 vcc_lo, 0, v39
	v_not_b32_e32 v39, v40
	s_wait_alu 0xf1ff
	v_xor_b32_e32 v200, s15, v200
	v_cmp_gt_i32_e64 s15, 0, v40
	v_and_b32_e32 v36, exec_lo, v36
	v_not_b32_e32 v40, v42
	v_ashrrev_i32_e32 v39, 31, v39
	s_wait_alu 0xfffd
	v_xor_b32_e32 v38, vcc_lo, v38
	v_cmp_gt_i32_e32 vcc_lo, 0, v42
	v_and_b32_e32 v36, v36, v200
	v_not_b32_e32 v42, v43
	v_ashrrev_i32_e32 v40, 31, v40
	s_wait_alu 0xf1ff
	v_xor_b32_e32 v39, s15, v39
	v_cmp_gt_i32_e64 s15, 0, v43
	v_and_b32_e32 v36, v36, v38
	v_not_b32_e32 v38, v199
	v_ashrrev_i32_e32 v42, 31, v42
	s_wait_alu 0xfffd
	v_xor_b32_e32 v40, vcc_lo, v40
	v_cmp_gt_i32_e32 vcc_lo, 0, v199
	v_and_b32_e32 v36, v36, v39
	v_not_b32_e32 v39, v41
	v_ashrrev_i32_e32 v38, 31, v38
	s_wait_alu 0xf1ff
	v_xor_b32_e32 v42, s15, v42
	v_cmp_gt_i32_e64 s15, 0, v41
	v_and_b32_e32 v36, v36, v40
	v_ashrrev_i32_e32 v39, 31, v39
	s_wait_alu 0xfffd
	v_xor_b32_e32 v38, vcc_lo, v38
	v_mad_u32_u24 v40, v37, 36, v118
	v_mul_u32_u24_e32 v37, 36, v37
	v_and_b32_e32 v36, v36, v42
	s_wait_alu 0xf1ff
	v_xor_b32_e32 v39, s15, v39
	ds_load_b32 v199, v40 offset:1056
	v_add_nc_u32_e32 v201, v118, v37
	v_and_b32_e32 v36, v36, v38
	; wave barrier
	s_delay_alu instid0(VALU_DEP_1) | instskip(NEXT) | instid1(VALU_DEP_1)
	v_and_b32_e32 v36, v36, v39
	v_mbcnt_lo_u32_b32 v200, v36, 0
	v_cmp_ne_u32_e64 s15, 0, v36
	s_delay_alu instid0(VALU_DEP_2)
	v_cmp_eq_u32_e32 vcc_lo, 0, v200
	s_and_b32 s16, s15, vcc_lo
	s_wait_alu 0xfffe
	s_and_saveexec_b32 s15, s16
	s_cbranch_execz .LBB1331_1042
; %bb.1041:                             ;   in Loop: Header=BB1331_974 Depth=2
	s_wait_dscnt 0x0
	v_bcnt_u32_b32 v36, v36, v199
	ds_store_b32 v201, v36 offset:1056
.LBB1331_1042:                          ;   in Loop: Header=BB1331_974 Depth=2
	s_wait_alu 0xfffe
	s_or_b32 exec_lo, exec_lo, s15
	; wave barrier
	s_wait_loadcnt_dscnt 0x0
	s_barrier_signal -1
	s_barrier_wait -1
	global_inv scope:SCOPE_SE
	ds_load_2addr_b32 v[42:43], v139 offset1:1
	ds_load_2addr_b32 v[40:41], v140 offset1:1
	;; [unrolled: 1-line block ×4, first 2 shown]
	ds_load_b32 v202, v67 offset:1088
	s_wait_dscnt 0x3
	v_add3_u32 v203, v43, v42, v40
	s_wait_dscnt 0x2
	s_delay_alu instid0(VALU_DEP_1) | instskip(SKIP_1) | instid1(VALU_DEP_1)
	v_add3_u32 v203, v203, v41, v38
	s_wait_dscnt 0x1
	v_add3_u32 v203, v203, v39, v36
	s_wait_dscnt 0x0
	s_delay_alu instid0(VALU_DEP_1) | instskip(NEXT) | instid1(VALU_DEP_1)
	v_add3_u32 v202, v203, v37, v202
	v_mov_b32_dpp v203, v202 row_shr:1 row_mask:0xf bank_mask:0xf
	s_delay_alu instid0(VALU_DEP_1) | instskip(NEXT) | instid1(VALU_DEP_1)
	v_cndmask_b32_e64 v203, v203, 0, s0
	v_add_nc_u32_e32 v202, v203, v202
	s_delay_alu instid0(VALU_DEP_1) | instskip(NEXT) | instid1(VALU_DEP_1)
	v_mov_b32_dpp v203, v202 row_shr:2 row_mask:0xf bank_mask:0xf
	v_cndmask_b32_e64 v203, 0, v203, s1
	s_delay_alu instid0(VALU_DEP_1) | instskip(NEXT) | instid1(VALU_DEP_1)
	v_add_nc_u32_e32 v202, v202, v203
	v_mov_b32_dpp v203, v202 row_shr:4 row_mask:0xf bank_mask:0xf
	s_delay_alu instid0(VALU_DEP_1) | instskip(NEXT) | instid1(VALU_DEP_1)
	v_cndmask_b32_e64 v203, 0, v203, s9
	v_add_nc_u32_e32 v202, v202, v203
	s_delay_alu instid0(VALU_DEP_1) | instskip(NEXT) | instid1(VALU_DEP_1)
	v_mov_b32_dpp v203, v202 row_shr:8 row_mask:0xf bank_mask:0xf
	v_cndmask_b32_e64 v203, 0, v203, s10
	s_delay_alu instid0(VALU_DEP_1) | instskip(SKIP_3) | instid1(VALU_DEP_1)
	v_add_nc_u32_e32 v202, v202, v203
	ds_swizzle_b32 v203, v202 offset:swizzle(BROADCAST,32,15)
	s_wait_dscnt 0x0
	v_cndmask_b32_e64 v203, v203, 0, s11
	v_add_nc_u32_e32 v202, v202, v203
	s_and_saveexec_b32 s15, s3
; %bb.1043:                             ;   in Loop: Header=BB1331_974 Depth=2
	ds_store_b32 v63, v202 offset:1024
; %bb.1044:                             ;   in Loop: Header=BB1331_974 Depth=2
	s_wait_alu 0xfffe
	s_or_b32 exec_lo, exec_lo, s15
	s_wait_loadcnt_dscnt 0x0
	s_barrier_signal -1
	s_barrier_wait -1
	global_inv scope:SCOPE_SE
	s_and_saveexec_b32 s15, s4
	s_cbranch_execz .LBB1331_1046
; %bb.1045:                             ;   in Loop: Header=BB1331_974 Depth=2
	ds_load_b32 v203, v70 offset:1024
	s_wait_dscnt 0x0
	v_mov_b32_dpp v204, v203 row_shr:1 row_mask:0xf bank_mask:0xf
	s_delay_alu instid0(VALU_DEP_1) | instskip(NEXT) | instid1(VALU_DEP_1)
	v_cndmask_b32_e64 v204, v204, 0, s12
	v_add_nc_u32_e32 v203, v204, v203
	s_delay_alu instid0(VALU_DEP_1) | instskip(NEXT) | instid1(VALU_DEP_1)
	v_mov_b32_dpp v204, v203 row_shr:2 row_mask:0xf bank_mask:0xf
	v_cndmask_b32_e64 v204, 0, v204, s13
	s_delay_alu instid0(VALU_DEP_1) | instskip(NEXT) | instid1(VALU_DEP_1)
	v_add_nc_u32_e32 v203, v203, v204
	v_mov_b32_dpp v204, v203 row_shr:4 row_mask:0xf bank_mask:0xf
	s_delay_alu instid0(VALU_DEP_1) | instskip(NEXT) | instid1(VALU_DEP_1)
	v_cndmask_b32_e64 v204, 0, v204, s14
	v_add_nc_u32_e32 v203, v203, v204
	ds_store_b32 v70, v203 offset:1024
.LBB1331_1046:                          ;   in Loop: Header=BB1331_974 Depth=2
	s_wait_alu 0xfffe
	s_or_b32 exec_lo, exec_lo, s15
	v_mov_b32_e32 v203, 0
	s_wait_loadcnt_dscnt 0x0
	s_barrier_signal -1
	s_barrier_wait -1
	global_inv scope:SCOPE_SE
	s_and_saveexec_b32 s15, s5
; %bb.1047:                             ;   in Loop: Header=BB1331_974 Depth=2
	ds_load_b32 v203, v63 offset:1020
; %bb.1048:                             ;   in Loop: Header=BB1331_974 Depth=2
	s_wait_alu 0xfffe
	s_or_b32 exec_lo, exec_lo, s15
	s_wait_dscnt 0x0
	v_add_nc_u32_e32 v202, v203, v202
	ds_bpermute_b32 v202, v113, v202
	s_wait_dscnt 0x0
	v_cndmask_b32_e64 v202, v202, v203, s8
	s_delay_alu instid0(VALU_DEP_1) | instskip(NEXT) | instid1(VALU_DEP_1)
	v_cndmask_b32_e64 v202, v202, 0, s6
	v_add_nc_u32_e32 v42, v202, v42
	s_delay_alu instid0(VALU_DEP_1) | instskip(NEXT) | instid1(VALU_DEP_1)
	v_add_nc_u32_e32 v43, v42, v43
	v_add_nc_u32_e32 v40, v43, v40
	s_delay_alu instid0(VALU_DEP_1) | instskip(NEXT) | instid1(VALU_DEP_1)
	v_add_nc_u32_e32 v41, v40, v41
	;; [unrolled: 3-line block ×3, first 2 shown]
	v_add_nc_u32_e32 v36, v39, v36
	s_delay_alu instid0(VALU_DEP_1)
	v_add_nc_u32_e32 v37, v36, v37
	ds_store_2addr_b32 v138, v39, v36 offset1:1
	ds_store_2addr_b32 v139, v202, v42 offset1:1
	;; [unrolled: 1-line block ×4, first 2 shown]
	ds_store_b32 v67, v37 offset:1088
	s_wait_loadcnt_dscnt 0x0
	s_barrier_signal -1
	s_barrier_wait -1
	global_inv scope:SCOPE_SE
	ds_load_b32 v39, v142 offset:1056
	ds_load_b32 v41, v146 offset:1056
	;; [unrolled: 1-line block ×17, first 2 shown]
	v_mov_b32_e32 v38, 0x1000
	s_and_saveexec_b32 s15, s7
; %bb.1049:                             ;   in Loop: Header=BB1331_974 Depth=2
	ds_load_b32 v38, v67 offset:1092
; %bb.1050:                             ;   in Loop: Header=BB1331_974 Depth=2
	s_wait_alu 0xfffe
	s_or_b32 exec_lo, exec_lo, s15
	s_wait_loadcnt_dscnt 0x0
	s_barrier_signal -1
	s_barrier_wait -1
	global_inv scope:SCOPE_SE
	s_and_saveexec_b32 s15, s2
	s_cbranch_execz .LBB1331_1052
; %bb.1051:                             ;   in Loop: Header=BB1331_974 Depth=2
	ds_load_b32 v142, v44
	s_wait_dscnt 0x0
	v_sub_nc_u32_e32 v141, v142, v141
	ds_store_b32 v44, v141
.LBB1331_1052:                          ;   in Loop: Header=BB1331_974 Depth=2
	s_wait_alu 0xfffe
	s_or_b32 exec_lo, exec_lo, s15
	v_add_nc_u32_e32 v154, v39, v137
	v_add3_u32 v150, v145, v144, v41
	v_add3_u32 v146, v149, v148, v42
	;; [unrolled: 1-line block ×4, first 2 shown]
	v_lshlrev_b32_e32 v148, 2, v154
	v_add3_u32 v142, v161, v160, v139
	v_add3_u32 v141, v165, v164, v140
	;; [unrolled: 1-line block ×4, first 2 shown]
	ds_store_b32 v148, v2 offset:1024
	v_lshlrev_b32_e32 v2, 2, v150
	v_lshlrev_b32_e32 v36, 2, v146
	v_add3_u32 v139, v173, v172, v167
	v_add3_u32 v42, v193, v192, v37
	v_lshlrev_b32_e32 v37, 2, v145
	v_add3_u32 v138, v177, v176, v170
	v_lshlrev_b32_e32 v148, 2, v144
	;; [unrolled: 2-line block ×3, first 2 shown]
	v_add3_u32 v39, v185, v184, v178
	ds_store_b32 v2, v136 offset:1024
	ds_store_b32 v36, v143 offset:1024
	ds_store_b32 v37, v147 offset:1024
	ds_store_b32 v148, v151 offset:1024
	ds_store_b32 v149, v155 offset:1024
	v_lshlrev_b32_e32 v2, 2, v141
	v_lshlrev_b32_e32 v36, 2, v140
	v_lshlrev_b32_e32 v37, 2, v139
	v_add3_u32 v41, v197, v196, v40
	v_lshlrev_b32_e32 v136, 2, v138
	v_add3_u32 v40, v200, v199, v158
	v_lshlrev_b32_e32 v143, 2, v137
	ds_store_b32 v2, v159 offset:1024
	ds_store_b32 v36, v163 offset:1024
	;; [unrolled: 1-line block ×5, first 2 shown]
	v_lshlrev_b32_e32 v2, 2, v39
	v_cmp_lt_u32_e32 vcc_lo, v1, v135
	v_lshlrev_b32_e32 v36, 2, v43
	v_lshlrev_b32_e32 v37, 2, v42
	;; [unrolled: 1-line block ×4, first 2 shown]
	ds_store_b32 v2, v179 offset:1024
	ds_store_b32 v36, v183 offset:1024
	;; [unrolled: 1-line block ×5, first 2 shown]
	s_wait_loadcnt_dscnt 0x0
	s_barrier_signal -1
	s_barrier_wait -1
	global_inv scope:SCOPE_SE
	s_and_saveexec_b32 s16, vcc_lo
	s_cbranch_execnz .LBB1331_1121
; %bb.1053:                             ;   in Loop: Header=BB1331_974 Depth=2
	s_wait_alu 0xfffe
	s_or_b32 exec_lo, exec_lo, s16
	v_cmp_lt_u32_e64 s15, v45, v135
	s_and_saveexec_b32 s17, s15
	s_cbranch_execnz .LBB1331_1122
.LBB1331_1054:                          ;   in Loop: Header=BB1331_974 Depth=2
	s_wait_alu 0xfffe
	s_or_b32 exec_lo, exec_lo, s17
	v_cmp_lt_u32_e64 s16, v46, v135
	s_and_saveexec_b32 s18, s16
	s_cbranch_execnz .LBB1331_1123
.LBB1331_1055:                          ;   in Loop: Header=BB1331_974 Depth=2
	s_wait_alu 0xfffe
	s_or_b32 exec_lo, exec_lo, s18
	v_cmp_lt_u32_e64 s17, v47, v135
	s_and_saveexec_b32 s19, s17
	s_cbranch_execnz .LBB1331_1124
.LBB1331_1056:                          ;   in Loop: Header=BB1331_974 Depth=2
	s_wait_alu 0xfffe
	s_or_b32 exec_lo, exec_lo, s19
	v_cmp_lt_u32_e64 s18, v50, v135
	s_and_saveexec_b32 s20, s18
	s_cbranch_execnz .LBB1331_1125
.LBB1331_1057:                          ;   in Loop: Header=BB1331_974 Depth=2
	s_wait_alu 0xfffe
	s_or_b32 exec_lo, exec_lo, s20
	v_cmp_lt_u32_e64 s19, v51, v135
	s_and_saveexec_b32 s21, s19
	s_cbranch_execnz .LBB1331_1126
.LBB1331_1058:                          ;   in Loop: Header=BB1331_974 Depth=2
	s_wait_alu 0xfffe
	s_or_b32 exec_lo, exec_lo, s21
	v_cmp_lt_u32_e64 s20, v52, v135
	s_and_saveexec_b32 s22, s20
	s_cbranch_execnz .LBB1331_1127
.LBB1331_1059:                          ;   in Loop: Header=BB1331_974 Depth=2
	s_wait_alu 0xfffe
	s_or_b32 exec_lo, exec_lo, s22
	v_cmp_lt_u32_e64 s21, v53, v135
	s_and_saveexec_b32 s23, s21
	s_cbranch_execnz .LBB1331_1128
.LBB1331_1060:                          ;   in Loop: Header=BB1331_974 Depth=2
	s_wait_alu 0xfffe
	s_or_b32 exec_lo, exec_lo, s23
	v_cmp_lt_u32_e64 s22, v54, v135
	s_and_saveexec_b32 s24, s22
	s_cbranch_execnz .LBB1331_1129
.LBB1331_1061:                          ;   in Loop: Header=BB1331_974 Depth=2
	s_wait_alu 0xfffe
	s_or_b32 exec_lo, exec_lo, s24
	v_cmp_lt_u32_e64 s23, v55, v135
	s_and_saveexec_b32 s25, s23
	s_cbranch_execnz .LBB1331_1130
.LBB1331_1062:                          ;   in Loop: Header=BB1331_974 Depth=2
	s_wait_alu 0xfffe
	s_or_b32 exec_lo, exec_lo, s25
	v_cmp_lt_u32_e64 s24, v56, v135
	s_and_saveexec_b32 s26, s24
	s_cbranch_execnz .LBB1331_1131
.LBB1331_1063:                          ;   in Loop: Header=BB1331_974 Depth=2
	s_wait_alu 0xfffe
	s_or_b32 exec_lo, exec_lo, s26
	v_cmp_lt_u32_e64 s25, v57, v135
	s_and_saveexec_b32 s27, s25
	s_cbranch_execnz .LBB1331_1132
.LBB1331_1064:                          ;   in Loop: Header=BB1331_974 Depth=2
	s_wait_alu 0xfffe
	s_or_b32 exec_lo, exec_lo, s27
	v_cmp_lt_u32_e64 s26, v58, v135
	s_and_saveexec_b32 s28, s26
	s_cbranch_execnz .LBB1331_1133
.LBB1331_1065:                          ;   in Loop: Header=BB1331_974 Depth=2
	s_wait_alu 0xfffe
	s_or_b32 exec_lo, exec_lo, s28
	v_cmp_lt_u32_e64 s27, v59, v135
	s_and_saveexec_b32 s29, s27
	s_cbranch_execnz .LBB1331_1134
.LBB1331_1066:                          ;   in Loop: Header=BB1331_974 Depth=2
	s_wait_alu 0xfffe
	s_or_b32 exec_lo, exec_lo, s29
	v_cmp_lt_u32_e64 s28, v60, v135
	s_and_saveexec_b32 s30, s28
	s_cbranch_execnz .LBB1331_1135
.LBB1331_1067:                          ;   in Loop: Header=BB1331_974 Depth=2
	s_wait_alu 0xfffe
	s_or_b32 exec_lo, exec_lo, s30
	v_cmp_lt_u32_e64 s29, v61, v135
	s_and_saveexec_b32 s56, s29
	s_cbranch_execz .LBB1331_1069
.LBB1331_1068:                          ;   in Loop: Header=BB1331_974 Depth=2
	ds_load_b32 v136, v70 offset:16384
	s_wait_dscnt 0x0
	v_cmp_ne_u32_e64 s30, 0x80000000, v136
	s_wait_alu 0xf1ff
	s_delay_alu instid0(VALU_DEP_1) | instskip(SKIP_1) | instid1(VALU_DEP_2)
	v_cndmask_b32_e64 v2, 0x7fffffff, v136, s30
	v_cmp_gt_i32_e64 s30, 0, v136
	v_lshrrev_b32_e32 v2, s49, v2
	s_wait_alu 0xf1ff
	s_delay_alu instid0(VALU_DEP_2) | instskip(NEXT) | instid1(VALU_DEP_2)
	v_cndmask_b32_e64 v143, 0x7fffffff, 0, s30
	v_and_b32_e32 v2, s48, v2
	s_delay_alu instid0(VALU_DEP_1) | instskip(SKIP_3) | instid1(VALU_DEP_1)
	v_lshlrev_b32_e32 v2, 2, v2
	ds_load_b32 v2, v2
	s_wait_dscnt 0x0
	v_add_nc_u32_e32 v2, v2, v61
	v_lshlrev_b64_e32 v[36:37], 2, v[2:3]
	v_xor_b32_e32 v2, v143, v136
	s_delay_alu instid0(VALU_DEP_2) | instskip(SKIP_1) | instid1(VALU_DEP_3)
	v_add_co_u32 v36, s30, s40, v36
	s_wait_alu 0xf1ff
	v_add_co_ci_u32_e64 v37, null, s41, v37, s30
	global_store_b32 v[36:37], v2, off
.LBB1331_1069:                          ;   in Loop: Header=BB1331_974 Depth=2
	s_wait_alu 0xfffe
	s_or_b32 exec_lo, exec_lo, s56
	s_lshl_b64 s[56:57], s[42:43], 3
	s_wait_alu 0xfffe
	v_add_co_u32 v36, s30, v114, s56
	s_wait_alu 0xf1ff
	v_add_co_ci_u32_e64 v37, null, s57, v115, s30
	v_cmp_lt_u32_e64 s30, v88, v135
	s_and_saveexec_b32 s42, s30
	s_wait_alu 0xfffe
	s_xor_b32 s30, exec_lo, s42
	s_cbranch_execnz .LBB1331_1136
; %bb.1070:                             ;   in Loop: Header=BB1331_974 Depth=2
	s_wait_alu 0xfffe
	s_or_b32 exec_lo, exec_lo, s30
	s_delay_alu instid0(SALU_CYCLE_1)
	s_mov_b32 s42, exec_lo
	v_cmpx_lt_u32_e64 v92, v135
	s_cbranch_execnz .LBB1331_1137
.LBB1331_1071:                          ;   in Loop: Header=BB1331_974 Depth=2
	s_wait_alu 0xfffe
	s_or_b32 exec_lo, exec_lo, s42
	s_delay_alu instid0(SALU_CYCLE_1)
	s_mov_b32 s42, exec_lo
	v_cmpx_lt_u32_e64 v93, v135
	s_cbranch_execnz .LBB1331_1138
.LBB1331_1072:                          ;   in Loop: Header=BB1331_974 Depth=2
	s_wait_alu 0xfffe
	s_or_b32 exec_lo, exec_lo, s42
	s_delay_alu instid0(SALU_CYCLE_1)
	s_mov_b32 s42, exec_lo
	v_cmpx_lt_u32_e64 v94, v135
	s_cbranch_execnz .LBB1331_1139
.LBB1331_1073:                          ;   in Loop: Header=BB1331_974 Depth=2
	s_wait_alu 0xfffe
	s_or_b32 exec_lo, exec_lo, s42
	s_delay_alu instid0(SALU_CYCLE_1)
	s_mov_b32 s42, exec_lo
	v_cmpx_lt_u32_e64 v95, v135
	s_cbranch_execnz .LBB1331_1140
.LBB1331_1074:                          ;   in Loop: Header=BB1331_974 Depth=2
	s_wait_alu 0xfffe
	s_or_b32 exec_lo, exec_lo, s42
	s_delay_alu instid0(SALU_CYCLE_1)
	s_mov_b32 s42, exec_lo
	v_cmpx_lt_u32_e64 v96, v135
	s_cbranch_execnz .LBB1331_1141
.LBB1331_1075:                          ;   in Loop: Header=BB1331_974 Depth=2
	s_wait_alu 0xfffe
	s_or_b32 exec_lo, exec_lo, s42
	s_delay_alu instid0(SALU_CYCLE_1)
	s_mov_b32 s42, exec_lo
	v_cmpx_lt_u32_e64 v97, v135
	s_cbranch_execnz .LBB1331_1142
.LBB1331_1076:                          ;   in Loop: Header=BB1331_974 Depth=2
	s_wait_alu 0xfffe
	s_or_b32 exec_lo, exec_lo, s42
	s_delay_alu instid0(SALU_CYCLE_1)
	s_mov_b32 s42, exec_lo
	v_cmpx_lt_u32_e64 v98, v135
	s_cbranch_execnz .LBB1331_1143
.LBB1331_1077:                          ;   in Loop: Header=BB1331_974 Depth=2
	s_wait_alu 0xfffe
	s_or_b32 exec_lo, exec_lo, s42
	s_delay_alu instid0(SALU_CYCLE_1)
	s_mov_b32 s42, exec_lo
	v_cmpx_lt_u32_e64 v99, v135
	s_cbranch_execnz .LBB1331_1144
.LBB1331_1078:                          ;   in Loop: Header=BB1331_974 Depth=2
	s_wait_alu 0xfffe
	s_or_b32 exec_lo, exec_lo, s42
	s_delay_alu instid0(SALU_CYCLE_1)
	s_mov_b32 s42, exec_lo
	v_cmpx_lt_u32_e64 v100, v135
	s_cbranch_execnz .LBB1331_1145
.LBB1331_1079:                          ;   in Loop: Header=BB1331_974 Depth=2
	s_wait_alu 0xfffe
	s_or_b32 exec_lo, exec_lo, s42
	s_delay_alu instid0(SALU_CYCLE_1)
	s_mov_b32 s42, exec_lo
	v_cmpx_lt_u32_e64 v101, v135
	s_cbranch_execnz .LBB1331_1146
.LBB1331_1080:                          ;   in Loop: Header=BB1331_974 Depth=2
	s_wait_alu 0xfffe
	s_or_b32 exec_lo, exec_lo, s42
	s_delay_alu instid0(SALU_CYCLE_1)
	s_mov_b32 s42, exec_lo
	v_cmpx_lt_u32_e64 v102, v135
	s_cbranch_execnz .LBB1331_1147
.LBB1331_1081:                          ;   in Loop: Header=BB1331_974 Depth=2
	s_wait_alu 0xfffe
	s_or_b32 exec_lo, exec_lo, s42
	s_delay_alu instid0(SALU_CYCLE_1)
	s_mov_b32 s42, exec_lo
	v_cmpx_lt_u32_e64 v103, v135
	s_cbranch_execnz .LBB1331_1148
.LBB1331_1082:                          ;   in Loop: Header=BB1331_974 Depth=2
	s_wait_alu 0xfffe
	s_or_b32 exec_lo, exec_lo, s42
	s_delay_alu instid0(SALU_CYCLE_1)
	s_mov_b32 s42, exec_lo
	v_cmpx_lt_u32_e64 v104, v135
	s_cbranch_execnz .LBB1331_1149
.LBB1331_1083:                          ;   in Loop: Header=BB1331_974 Depth=2
	s_wait_alu 0xfffe
	s_or_b32 exec_lo, exec_lo, s42
	s_delay_alu instid0(SALU_CYCLE_1)
	s_mov_b32 s42, exec_lo
	v_cmpx_lt_u32_e64 v105, v135
	s_cbranch_execnz .LBB1331_1150
.LBB1331_1084:                          ;   in Loop: Header=BB1331_974 Depth=2
	s_wait_alu 0xfffe
	s_or_b32 exec_lo, exec_lo, s42
	s_delay_alu instid0(SALU_CYCLE_1)
	s_mov_b32 s42, exec_lo
	v_cmpx_lt_u32_e64 v106, v135
	s_cbranch_execnz .LBB1331_1151
.LBB1331_1085:                          ;   in Loop: Header=BB1331_974 Depth=2
	s_wait_alu 0xfffe
	s_or_b32 exec_lo, exec_lo, s42
	s_and_saveexec_b32 s42, vcc_lo
	s_cbranch_execnz .LBB1331_1152
.LBB1331_1086:                          ;   in Loop: Header=BB1331_974 Depth=2
	s_wait_alu 0xfffe
	s_or_b32 exec_lo, exec_lo, s42
	s_and_saveexec_b32 s42, s15
	s_cbranch_execnz .LBB1331_1153
.LBB1331_1087:                          ;   in Loop: Header=BB1331_974 Depth=2
	s_wait_alu 0xfffe
	s_or_b32 exec_lo, exec_lo, s42
	s_and_saveexec_b32 s42, s16
	s_cbranch_execnz .LBB1331_1154
.LBB1331_1088:                          ;   in Loop: Header=BB1331_974 Depth=2
	s_wait_alu 0xfffe
	s_or_b32 exec_lo, exec_lo, s42
	s_and_saveexec_b32 s42, s17
	s_cbranch_execnz .LBB1331_1155
.LBB1331_1089:                          ;   in Loop: Header=BB1331_974 Depth=2
	s_wait_alu 0xfffe
	s_or_b32 exec_lo, exec_lo, s42
	s_and_saveexec_b32 s42, s18
	s_cbranch_execnz .LBB1331_1156
.LBB1331_1090:                          ;   in Loop: Header=BB1331_974 Depth=2
	s_wait_alu 0xfffe
	s_or_b32 exec_lo, exec_lo, s42
	s_and_saveexec_b32 s42, s19
	s_cbranch_execnz .LBB1331_1157
.LBB1331_1091:                          ;   in Loop: Header=BB1331_974 Depth=2
	s_wait_alu 0xfffe
	s_or_b32 exec_lo, exec_lo, s42
	s_and_saveexec_b32 s42, s20
	s_cbranch_execnz .LBB1331_1158
.LBB1331_1092:                          ;   in Loop: Header=BB1331_974 Depth=2
	s_wait_alu 0xfffe
	s_or_b32 exec_lo, exec_lo, s42
	s_and_saveexec_b32 s42, s21
	s_cbranch_execnz .LBB1331_1159
.LBB1331_1093:                          ;   in Loop: Header=BB1331_974 Depth=2
	s_wait_alu 0xfffe
	s_or_b32 exec_lo, exec_lo, s42
	s_and_saveexec_b32 s42, s22
	s_cbranch_execnz .LBB1331_1160
.LBB1331_1094:                          ;   in Loop: Header=BB1331_974 Depth=2
	s_wait_alu 0xfffe
	s_or_b32 exec_lo, exec_lo, s42
	s_and_saveexec_b32 s42, s23
	s_cbranch_execnz .LBB1331_1161
.LBB1331_1095:                          ;   in Loop: Header=BB1331_974 Depth=2
	s_wait_alu 0xfffe
	s_or_b32 exec_lo, exec_lo, s42
	s_and_saveexec_b32 s42, s24
	s_cbranch_execnz .LBB1331_1162
.LBB1331_1096:                          ;   in Loop: Header=BB1331_974 Depth=2
	s_wait_alu 0xfffe
	s_or_b32 exec_lo, exec_lo, s42
	s_and_saveexec_b32 s42, s25
	s_cbranch_execnz .LBB1331_1163
.LBB1331_1097:                          ;   in Loop: Header=BB1331_974 Depth=2
	s_wait_alu 0xfffe
	s_or_b32 exec_lo, exec_lo, s42
	s_and_saveexec_b32 s42, s26
	s_cbranch_execnz .LBB1331_1164
.LBB1331_1098:                          ;   in Loop: Header=BB1331_974 Depth=2
	s_wait_alu 0xfffe
	s_or_b32 exec_lo, exec_lo, s42
	s_and_saveexec_b32 s42, s27
	s_cbranch_execnz .LBB1331_1165
.LBB1331_1099:                          ;   in Loop: Header=BB1331_974 Depth=2
	s_wait_alu 0xfffe
	s_or_b32 exec_lo, exec_lo, s42
	s_and_saveexec_b32 s42, s28
	s_cbranch_execnz .LBB1331_1166
.LBB1331_1100:                          ;   in Loop: Header=BB1331_974 Depth=2
	s_wait_alu 0xfffe
	s_or_b32 exec_lo, exec_lo, s42
	s_and_saveexec_b32 s42, s29
	s_cbranch_execz .LBB1331_1102
.LBB1331_1101:                          ;   in Loop: Header=BB1331_974 Depth=2
	ds_load_b32 v2, v70 offset:16384
	s_wait_dscnt 0x0
	v_cmp_ne_u32_e64 s30, 0x80000000, v2
	s_wait_alu 0xf1ff
	s_delay_alu instid0(VALU_DEP_1) | instskip(NEXT) | instid1(VALU_DEP_1)
	v_cndmask_b32_e64 v2, 0x7fffffff, v2, s30
	v_lshrrev_b32_e32 v2, s49, v2
	s_delay_alu instid0(VALU_DEP_1)
	v_and_b32_e32 v119, s48, v2
.LBB1331_1102:                          ;   in Loop: Header=BB1331_974 Depth=2
	s_wait_alu 0xfffe
	s_or_b32 exec_lo, exec_lo, s42
	v_lshlrev_b32_e32 v2, 3, v154
	s_wait_loadcnt 0x0
	s_wait_storecnt 0x0
	s_barrier_signal -1
	s_barrier_wait -1
	global_inv scope:SCOPE_SE
	ds_store_b64 v2, v[34:35] offset:1024
	v_lshlrev_b32_e32 v2, 3, v150
	v_lshlrev_b32_e32 v36, 3, v146
	v_lshlrev_b32_e32 v37, 3, v145
	v_lshlrev_b32_e32 v135, 3, v144
	v_lshlrev_b32_e32 v136, 3, v142
	ds_store_b64 v2, v[32:33] offset:1024
	ds_store_b64 v36, v[30:31] offset:1024
	ds_store_b64 v37, v[28:29] offset:1024
	ds_store_b64 v135, v[26:27] offset:1024
	ds_store_b64 v136, v[24:25] offset:1024
	v_lshlrev_b32_e32 v2, 3, v141
	v_lshlrev_b32_e32 v36, 3, v140
	v_lshlrev_b32_e32 v37, 3, v139
	v_lshlrev_b32_e32 v135, 3, v138
	v_lshlrev_b32_e32 v136, 3, v137
	ds_store_b64 v2, v[22:23] offset:1024
	ds_store_b64 v36, v[20:21] offset:1024
	ds_store_b64 v37, v[18:19] offset:1024
	ds_store_b64 v135, v[16:17] offset:1024
	ds_store_b64 v136, v[14:15] offset:1024
	v_lshlrev_b32_e32 v2, 3, v39
	v_lshlrev_b32_e32 v36, 3, v43
	v_lshlrev_b32_e32 v37, 3, v42
	v_lshlrev_b32_e32 v39, 3, v41
	v_lshlrev_b32_e32 v40, 3, v40
	ds_store_b64 v2, v[12:13] offset:1024
	ds_store_b64 v36, v[10:11] offset:1024
	ds_store_b64 v37, v[8:9] offset:1024
	ds_store_b64 v39, v[6:7] offset:1024
	ds_store_b64 v40, v[4:5] offset:1024
	v_add_nc_u32_e32 v36, v70, v44
	s_wait_loadcnt_dscnt 0x0
	s_barrier_signal -1
	s_barrier_wait -1
	global_inv scope:SCOPE_SE
	s_and_saveexec_b32 s30, vcc_lo
	s_cbranch_execnz .LBB1331_1167
; %bb.1103:                             ;   in Loop: Header=BB1331_974 Depth=2
	s_wait_alu 0xfffe
	s_or_b32 exec_lo, exec_lo, s30
	s_and_saveexec_b32 s30, s15
	s_cbranch_execnz .LBB1331_1168
.LBB1331_1104:                          ;   in Loop: Header=BB1331_974 Depth=2
	s_wait_alu 0xfffe
	s_or_b32 exec_lo, exec_lo, s30
	s_and_saveexec_b32 s15, s16
	s_cbranch_execnz .LBB1331_1169
.LBB1331_1105:                          ;   in Loop: Header=BB1331_974 Depth=2
	s_wait_alu 0xfffe
	s_or_b32 exec_lo, exec_lo, s15
	s_and_saveexec_b32 s15, s17
	s_cbranch_execnz .LBB1331_1170
.LBB1331_1106:                          ;   in Loop: Header=BB1331_974 Depth=2
	s_wait_alu 0xfffe
	s_or_b32 exec_lo, exec_lo, s15
	s_and_saveexec_b32 s15, s18
	s_cbranch_execnz .LBB1331_1171
.LBB1331_1107:                          ;   in Loop: Header=BB1331_974 Depth=2
	s_wait_alu 0xfffe
	s_or_b32 exec_lo, exec_lo, s15
	s_and_saveexec_b32 s15, s19
	s_cbranch_execnz .LBB1331_1172
.LBB1331_1108:                          ;   in Loop: Header=BB1331_974 Depth=2
	s_wait_alu 0xfffe
	s_or_b32 exec_lo, exec_lo, s15
	s_and_saveexec_b32 s15, s20
	s_cbranch_execnz .LBB1331_1173
.LBB1331_1109:                          ;   in Loop: Header=BB1331_974 Depth=2
	s_wait_alu 0xfffe
	s_or_b32 exec_lo, exec_lo, s15
	s_and_saveexec_b32 s15, s21
	s_cbranch_execnz .LBB1331_1174
.LBB1331_1110:                          ;   in Loop: Header=BB1331_974 Depth=2
	s_wait_alu 0xfffe
	s_or_b32 exec_lo, exec_lo, s15
	s_and_saveexec_b32 s15, s22
	s_cbranch_execnz .LBB1331_1175
.LBB1331_1111:                          ;   in Loop: Header=BB1331_974 Depth=2
	s_wait_alu 0xfffe
	s_or_b32 exec_lo, exec_lo, s15
	s_and_saveexec_b32 s15, s23
	s_cbranch_execnz .LBB1331_1176
.LBB1331_1112:                          ;   in Loop: Header=BB1331_974 Depth=2
	s_wait_alu 0xfffe
	s_or_b32 exec_lo, exec_lo, s15
	s_and_saveexec_b32 s15, s24
	s_cbranch_execnz .LBB1331_1177
.LBB1331_1113:                          ;   in Loop: Header=BB1331_974 Depth=2
	s_wait_alu 0xfffe
	s_or_b32 exec_lo, exec_lo, s15
	s_and_saveexec_b32 s15, s25
	s_cbranch_execnz .LBB1331_1178
.LBB1331_1114:                          ;   in Loop: Header=BB1331_974 Depth=2
	s_wait_alu 0xfffe
	s_or_b32 exec_lo, exec_lo, s15
	s_and_saveexec_b32 s15, s26
	s_cbranch_execnz .LBB1331_1179
.LBB1331_1115:                          ;   in Loop: Header=BB1331_974 Depth=2
	s_wait_alu 0xfffe
	s_or_b32 exec_lo, exec_lo, s15
	s_and_saveexec_b32 s15, s27
	s_cbranch_execnz .LBB1331_1180
.LBB1331_1116:                          ;   in Loop: Header=BB1331_974 Depth=2
	s_wait_alu 0xfffe
	s_or_b32 exec_lo, exec_lo, s15
	s_and_saveexec_b32 s15, s28
	s_cbranch_execnz .LBB1331_1181
.LBB1331_1117:                          ;   in Loop: Header=BB1331_974 Depth=2
	s_wait_alu 0xfffe
	s_or_b32 exec_lo, exec_lo, s15
	s_and_saveexec_b32 s15, s29
	s_cbranch_execz .LBB1331_1119
.LBB1331_1118:                          ;   in Loop: Header=BB1331_974 Depth=2
	v_lshlrev_b32_e32 v2, 2, v119
	ds_load_b32 v2, v2
	ds_load_b64 v[36:37], v36 offset:31744
	s_wait_dscnt 0x1
	v_add_nc_u32_e32 v2, v2, v61
	s_delay_alu instid0(VALU_DEP_1) | instskip(NEXT) | instid1(VALU_DEP_1)
	v_lshlrev_b64_e32 v[39:40], 3, v[2:3]
	v_add_co_u32 v39, vcc_lo, s46, v39
	s_wait_alu 0xfffd
	s_delay_alu instid0(VALU_DEP_2)
	v_add_co_ci_u32_e64 v40, null, s47, v40, vcc_lo
	s_wait_dscnt 0x0
	global_store_b64 v[39:40], v[36:37], off
.LBB1331_1119:                          ;   in Loop: Header=BB1331_974 Depth=2
	s_wait_alu 0xfffe
	s_or_b32 exec_lo, exec_lo, s15
	s_wait_loadcnt 0x0
	s_wait_storecnt 0x0
	s_barrier_signal -1
	s_barrier_wait -1
	global_inv scope:SCOPE_SE
	s_and_saveexec_b32 s15, s2
	s_cbranch_execz .LBB1331_973
; %bb.1120:                             ;   in Loop: Header=BB1331_974 Depth=2
	ds_load_b32 v2, v44
	s_wait_dscnt 0x0
	v_add_nc_u32_e32 v2, v2, v38
	ds_store_b32 v44, v2
	s_branch .LBB1331_973
.LBB1331_1121:                          ;   in Loop: Header=BB1331_974 Depth=2
	ds_load_b32 v136, v70 offset:1024
	s_wait_dscnt 0x0
	v_cmp_ne_u32_e64 s15, 0x80000000, v136
	s_wait_alu 0xf1ff
	s_delay_alu instid0(VALU_DEP_1) | instskip(SKIP_1) | instid1(VALU_DEP_2)
	v_cndmask_b32_e64 v2, 0x7fffffff, v136, s15
	v_cmp_gt_i32_e64 s15, 0, v136
	v_lshrrev_b32_e32 v2, s49, v2
	s_wait_alu 0xf1ff
	s_delay_alu instid0(VALU_DEP_2) | instskip(NEXT) | instid1(VALU_DEP_2)
	v_cndmask_b32_e64 v143, 0x7fffffff, 0, s15
	v_and_b32_e32 v2, s48, v2
	s_delay_alu instid0(VALU_DEP_1) | instskip(SKIP_3) | instid1(VALU_DEP_1)
	v_lshlrev_b32_e32 v2, 2, v2
	ds_load_b32 v2, v2
	s_wait_dscnt 0x0
	v_add_nc_u32_e32 v2, v2, v1
	v_lshlrev_b64_e32 v[36:37], 2, v[2:3]
	v_xor_b32_e32 v2, v143, v136
	s_delay_alu instid0(VALU_DEP_2) | instskip(SKIP_1) | instid1(VALU_DEP_3)
	v_add_co_u32 v36, s15, s40, v36
	s_wait_alu 0xf1ff
	v_add_co_ci_u32_e64 v37, null, s41, v37, s15
	global_store_b32 v[36:37], v2, off
	s_wait_alu 0xfffe
	s_or_b32 exec_lo, exec_lo, s16
	v_cmp_lt_u32_e64 s15, v45, v135
	s_and_saveexec_b32 s17, s15
	s_cbranch_execz .LBB1331_1054
.LBB1331_1122:                          ;   in Loop: Header=BB1331_974 Depth=2
	ds_load_b32 v136, v70 offset:2048
	s_wait_dscnt 0x0
	v_cmp_ne_u32_e64 s16, 0x80000000, v136
	s_wait_alu 0xf1ff
	s_delay_alu instid0(VALU_DEP_1) | instskip(SKIP_1) | instid1(VALU_DEP_2)
	v_cndmask_b32_e64 v2, 0x7fffffff, v136, s16
	v_cmp_gt_i32_e64 s16, 0, v136
	v_lshrrev_b32_e32 v2, s49, v2
	s_wait_alu 0xf1ff
	s_delay_alu instid0(VALU_DEP_2) | instskip(NEXT) | instid1(VALU_DEP_2)
	v_cndmask_b32_e64 v143, 0x7fffffff, 0, s16
	v_and_b32_e32 v2, s48, v2
	s_delay_alu instid0(VALU_DEP_1) | instskip(SKIP_3) | instid1(VALU_DEP_1)
	v_lshlrev_b32_e32 v2, 2, v2
	ds_load_b32 v2, v2
	s_wait_dscnt 0x0
	v_add_nc_u32_e32 v2, v2, v45
	v_lshlrev_b64_e32 v[36:37], 2, v[2:3]
	v_xor_b32_e32 v2, v143, v136
	s_delay_alu instid0(VALU_DEP_2) | instskip(SKIP_1) | instid1(VALU_DEP_3)
	v_add_co_u32 v36, s16, s40, v36
	s_wait_alu 0xf1ff
	v_add_co_ci_u32_e64 v37, null, s41, v37, s16
	global_store_b32 v[36:37], v2, off
	s_wait_alu 0xfffe
	s_or_b32 exec_lo, exec_lo, s17
	v_cmp_lt_u32_e64 s16, v46, v135
	s_and_saveexec_b32 s18, s16
	s_cbranch_execz .LBB1331_1055
.LBB1331_1123:                          ;   in Loop: Header=BB1331_974 Depth=2
	ds_load_b32 v136, v70 offset:3072
	s_wait_dscnt 0x0
	v_cmp_ne_u32_e64 s17, 0x80000000, v136
	s_wait_alu 0xf1ff
	s_delay_alu instid0(VALU_DEP_1) | instskip(SKIP_1) | instid1(VALU_DEP_2)
	v_cndmask_b32_e64 v2, 0x7fffffff, v136, s17
	v_cmp_gt_i32_e64 s17, 0, v136
	v_lshrrev_b32_e32 v2, s49, v2
	s_wait_alu 0xf1ff
	s_delay_alu instid0(VALU_DEP_2) | instskip(NEXT) | instid1(VALU_DEP_2)
	v_cndmask_b32_e64 v143, 0x7fffffff, 0, s17
	v_and_b32_e32 v2, s48, v2
	s_delay_alu instid0(VALU_DEP_1) | instskip(SKIP_3) | instid1(VALU_DEP_1)
	v_lshlrev_b32_e32 v2, 2, v2
	ds_load_b32 v2, v2
	s_wait_dscnt 0x0
	v_add_nc_u32_e32 v2, v2, v46
	v_lshlrev_b64_e32 v[36:37], 2, v[2:3]
	v_xor_b32_e32 v2, v143, v136
	s_delay_alu instid0(VALU_DEP_2) | instskip(SKIP_1) | instid1(VALU_DEP_3)
	v_add_co_u32 v36, s17, s40, v36
	s_wait_alu 0xf1ff
	v_add_co_ci_u32_e64 v37, null, s41, v37, s17
	global_store_b32 v[36:37], v2, off
	s_wait_alu 0xfffe
	s_or_b32 exec_lo, exec_lo, s18
	v_cmp_lt_u32_e64 s17, v47, v135
	s_and_saveexec_b32 s19, s17
	s_cbranch_execz .LBB1331_1056
.LBB1331_1124:                          ;   in Loop: Header=BB1331_974 Depth=2
	ds_load_b32 v136, v70 offset:4096
	s_wait_dscnt 0x0
	v_cmp_ne_u32_e64 s18, 0x80000000, v136
	s_wait_alu 0xf1ff
	s_delay_alu instid0(VALU_DEP_1) | instskip(SKIP_1) | instid1(VALU_DEP_2)
	v_cndmask_b32_e64 v2, 0x7fffffff, v136, s18
	v_cmp_gt_i32_e64 s18, 0, v136
	v_lshrrev_b32_e32 v2, s49, v2
	s_wait_alu 0xf1ff
	s_delay_alu instid0(VALU_DEP_2) | instskip(NEXT) | instid1(VALU_DEP_2)
	v_cndmask_b32_e64 v143, 0x7fffffff, 0, s18
	v_and_b32_e32 v2, s48, v2
	s_delay_alu instid0(VALU_DEP_1) | instskip(SKIP_3) | instid1(VALU_DEP_1)
	v_lshlrev_b32_e32 v2, 2, v2
	ds_load_b32 v2, v2
	s_wait_dscnt 0x0
	v_add_nc_u32_e32 v2, v2, v47
	v_lshlrev_b64_e32 v[36:37], 2, v[2:3]
	v_xor_b32_e32 v2, v143, v136
	s_delay_alu instid0(VALU_DEP_2) | instskip(SKIP_1) | instid1(VALU_DEP_3)
	v_add_co_u32 v36, s18, s40, v36
	s_wait_alu 0xf1ff
	v_add_co_ci_u32_e64 v37, null, s41, v37, s18
	global_store_b32 v[36:37], v2, off
	s_wait_alu 0xfffe
	s_or_b32 exec_lo, exec_lo, s19
	v_cmp_lt_u32_e64 s18, v50, v135
	s_and_saveexec_b32 s20, s18
	s_cbranch_execz .LBB1331_1057
.LBB1331_1125:                          ;   in Loop: Header=BB1331_974 Depth=2
	ds_load_b32 v136, v70 offset:5120
	s_wait_dscnt 0x0
	v_cmp_ne_u32_e64 s19, 0x80000000, v136
	s_wait_alu 0xf1ff
	s_delay_alu instid0(VALU_DEP_1) | instskip(SKIP_1) | instid1(VALU_DEP_2)
	v_cndmask_b32_e64 v2, 0x7fffffff, v136, s19
	v_cmp_gt_i32_e64 s19, 0, v136
	v_lshrrev_b32_e32 v2, s49, v2
	s_wait_alu 0xf1ff
	s_delay_alu instid0(VALU_DEP_2) | instskip(NEXT) | instid1(VALU_DEP_2)
	v_cndmask_b32_e64 v143, 0x7fffffff, 0, s19
	v_and_b32_e32 v2, s48, v2
	s_delay_alu instid0(VALU_DEP_1) | instskip(SKIP_3) | instid1(VALU_DEP_1)
	v_lshlrev_b32_e32 v2, 2, v2
	ds_load_b32 v2, v2
	s_wait_dscnt 0x0
	v_add_nc_u32_e32 v2, v2, v50
	v_lshlrev_b64_e32 v[36:37], 2, v[2:3]
	v_xor_b32_e32 v2, v143, v136
	s_delay_alu instid0(VALU_DEP_2) | instskip(SKIP_1) | instid1(VALU_DEP_3)
	v_add_co_u32 v36, s19, s40, v36
	s_wait_alu 0xf1ff
	v_add_co_ci_u32_e64 v37, null, s41, v37, s19
	global_store_b32 v[36:37], v2, off
	s_wait_alu 0xfffe
	s_or_b32 exec_lo, exec_lo, s20
	v_cmp_lt_u32_e64 s19, v51, v135
	s_and_saveexec_b32 s21, s19
	s_cbranch_execz .LBB1331_1058
.LBB1331_1126:                          ;   in Loop: Header=BB1331_974 Depth=2
	ds_load_b32 v136, v70 offset:6144
	s_wait_dscnt 0x0
	v_cmp_ne_u32_e64 s20, 0x80000000, v136
	s_wait_alu 0xf1ff
	s_delay_alu instid0(VALU_DEP_1) | instskip(SKIP_1) | instid1(VALU_DEP_2)
	v_cndmask_b32_e64 v2, 0x7fffffff, v136, s20
	v_cmp_gt_i32_e64 s20, 0, v136
	v_lshrrev_b32_e32 v2, s49, v2
	s_wait_alu 0xf1ff
	s_delay_alu instid0(VALU_DEP_2) | instskip(NEXT) | instid1(VALU_DEP_2)
	v_cndmask_b32_e64 v143, 0x7fffffff, 0, s20
	v_and_b32_e32 v2, s48, v2
	s_delay_alu instid0(VALU_DEP_1) | instskip(SKIP_3) | instid1(VALU_DEP_1)
	v_lshlrev_b32_e32 v2, 2, v2
	ds_load_b32 v2, v2
	s_wait_dscnt 0x0
	v_add_nc_u32_e32 v2, v2, v51
	v_lshlrev_b64_e32 v[36:37], 2, v[2:3]
	v_xor_b32_e32 v2, v143, v136
	s_delay_alu instid0(VALU_DEP_2) | instskip(SKIP_1) | instid1(VALU_DEP_3)
	v_add_co_u32 v36, s20, s40, v36
	s_wait_alu 0xf1ff
	v_add_co_ci_u32_e64 v37, null, s41, v37, s20
	global_store_b32 v[36:37], v2, off
	s_wait_alu 0xfffe
	s_or_b32 exec_lo, exec_lo, s21
	v_cmp_lt_u32_e64 s20, v52, v135
	s_and_saveexec_b32 s22, s20
	s_cbranch_execz .LBB1331_1059
.LBB1331_1127:                          ;   in Loop: Header=BB1331_974 Depth=2
	ds_load_b32 v136, v70 offset:7168
	s_wait_dscnt 0x0
	v_cmp_ne_u32_e64 s21, 0x80000000, v136
	s_wait_alu 0xf1ff
	s_delay_alu instid0(VALU_DEP_1) | instskip(SKIP_1) | instid1(VALU_DEP_2)
	v_cndmask_b32_e64 v2, 0x7fffffff, v136, s21
	v_cmp_gt_i32_e64 s21, 0, v136
	v_lshrrev_b32_e32 v2, s49, v2
	s_wait_alu 0xf1ff
	s_delay_alu instid0(VALU_DEP_2) | instskip(NEXT) | instid1(VALU_DEP_2)
	v_cndmask_b32_e64 v143, 0x7fffffff, 0, s21
	v_and_b32_e32 v2, s48, v2
	s_delay_alu instid0(VALU_DEP_1) | instskip(SKIP_3) | instid1(VALU_DEP_1)
	v_lshlrev_b32_e32 v2, 2, v2
	ds_load_b32 v2, v2
	s_wait_dscnt 0x0
	v_add_nc_u32_e32 v2, v2, v52
	v_lshlrev_b64_e32 v[36:37], 2, v[2:3]
	v_xor_b32_e32 v2, v143, v136
	s_delay_alu instid0(VALU_DEP_2) | instskip(SKIP_1) | instid1(VALU_DEP_3)
	v_add_co_u32 v36, s21, s40, v36
	s_wait_alu 0xf1ff
	v_add_co_ci_u32_e64 v37, null, s41, v37, s21
	global_store_b32 v[36:37], v2, off
	s_wait_alu 0xfffe
	s_or_b32 exec_lo, exec_lo, s22
	v_cmp_lt_u32_e64 s21, v53, v135
	s_and_saveexec_b32 s23, s21
	s_cbranch_execz .LBB1331_1060
.LBB1331_1128:                          ;   in Loop: Header=BB1331_974 Depth=2
	ds_load_b32 v136, v70 offset:8192
	s_wait_dscnt 0x0
	v_cmp_ne_u32_e64 s22, 0x80000000, v136
	s_wait_alu 0xf1ff
	s_delay_alu instid0(VALU_DEP_1) | instskip(SKIP_1) | instid1(VALU_DEP_2)
	v_cndmask_b32_e64 v2, 0x7fffffff, v136, s22
	v_cmp_gt_i32_e64 s22, 0, v136
	v_lshrrev_b32_e32 v2, s49, v2
	s_wait_alu 0xf1ff
	s_delay_alu instid0(VALU_DEP_2) | instskip(NEXT) | instid1(VALU_DEP_2)
	v_cndmask_b32_e64 v143, 0x7fffffff, 0, s22
	v_and_b32_e32 v2, s48, v2
	s_delay_alu instid0(VALU_DEP_1) | instskip(SKIP_3) | instid1(VALU_DEP_1)
	v_lshlrev_b32_e32 v2, 2, v2
	ds_load_b32 v2, v2
	s_wait_dscnt 0x0
	v_add_nc_u32_e32 v2, v2, v53
	v_lshlrev_b64_e32 v[36:37], 2, v[2:3]
	v_xor_b32_e32 v2, v143, v136
	s_delay_alu instid0(VALU_DEP_2) | instskip(SKIP_1) | instid1(VALU_DEP_3)
	v_add_co_u32 v36, s22, s40, v36
	s_wait_alu 0xf1ff
	v_add_co_ci_u32_e64 v37, null, s41, v37, s22
	global_store_b32 v[36:37], v2, off
	s_wait_alu 0xfffe
	s_or_b32 exec_lo, exec_lo, s23
	v_cmp_lt_u32_e64 s22, v54, v135
	s_and_saveexec_b32 s24, s22
	s_cbranch_execz .LBB1331_1061
.LBB1331_1129:                          ;   in Loop: Header=BB1331_974 Depth=2
	ds_load_b32 v136, v70 offset:9216
	s_wait_dscnt 0x0
	v_cmp_ne_u32_e64 s23, 0x80000000, v136
	s_wait_alu 0xf1ff
	s_delay_alu instid0(VALU_DEP_1) | instskip(SKIP_1) | instid1(VALU_DEP_2)
	v_cndmask_b32_e64 v2, 0x7fffffff, v136, s23
	v_cmp_gt_i32_e64 s23, 0, v136
	v_lshrrev_b32_e32 v2, s49, v2
	s_wait_alu 0xf1ff
	s_delay_alu instid0(VALU_DEP_2) | instskip(NEXT) | instid1(VALU_DEP_2)
	v_cndmask_b32_e64 v143, 0x7fffffff, 0, s23
	v_and_b32_e32 v2, s48, v2
	s_delay_alu instid0(VALU_DEP_1) | instskip(SKIP_3) | instid1(VALU_DEP_1)
	v_lshlrev_b32_e32 v2, 2, v2
	ds_load_b32 v2, v2
	s_wait_dscnt 0x0
	v_add_nc_u32_e32 v2, v2, v54
	v_lshlrev_b64_e32 v[36:37], 2, v[2:3]
	v_xor_b32_e32 v2, v143, v136
	s_delay_alu instid0(VALU_DEP_2) | instskip(SKIP_1) | instid1(VALU_DEP_3)
	v_add_co_u32 v36, s23, s40, v36
	s_wait_alu 0xf1ff
	v_add_co_ci_u32_e64 v37, null, s41, v37, s23
	global_store_b32 v[36:37], v2, off
	s_wait_alu 0xfffe
	s_or_b32 exec_lo, exec_lo, s24
	v_cmp_lt_u32_e64 s23, v55, v135
	s_and_saveexec_b32 s25, s23
	s_cbranch_execz .LBB1331_1062
.LBB1331_1130:                          ;   in Loop: Header=BB1331_974 Depth=2
	ds_load_b32 v136, v70 offset:10240
	s_wait_dscnt 0x0
	v_cmp_ne_u32_e64 s24, 0x80000000, v136
	s_wait_alu 0xf1ff
	s_delay_alu instid0(VALU_DEP_1) | instskip(SKIP_1) | instid1(VALU_DEP_2)
	v_cndmask_b32_e64 v2, 0x7fffffff, v136, s24
	v_cmp_gt_i32_e64 s24, 0, v136
	v_lshrrev_b32_e32 v2, s49, v2
	s_wait_alu 0xf1ff
	s_delay_alu instid0(VALU_DEP_2) | instskip(NEXT) | instid1(VALU_DEP_2)
	v_cndmask_b32_e64 v143, 0x7fffffff, 0, s24
	v_and_b32_e32 v2, s48, v2
	s_delay_alu instid0(VALU_DEP_1) | instskip(SKIP_3) | instid1(VALU_DEP_1)
	v_lshlrev_b32_e32 v2, 2, v2
	ds_load_b32 v2, v2
	s_wait_dscnt 0x0
	v_add_nc_u32_e32 v2, v2, v55
	v_lshlrev_b64_e32 v[36:37], 2, v[2:3]
	v_xor_b32_e32 v2, v143, v136
	s_delay_alu instid0(VALU_DEP_2) | instskip(SKIP_1) | instid1(VALU_DEP_3)
	v_add_co_u32 v36, s24, s40, v36
	s_wait_alu 0xf1ff
	v_add_co_ci_u32_e64 v37, null, s41, v37, s24
	global_store_b32 v[36:37], v2, off
	s_wait_alu 0xfffe
	s_or_b32 exec_lo, exec_lo, s25
	v_cmp_lt_u32_e64 s24, v56, v135
	s_and_saveexec_b32 s26, s24
	s_cbranch_execz .LBB1331_1063
.LBB1331_1131:                          ;   in Loop: Header=BB1331_974 Depth=2
	ds_load_b32 v136, v70 offset:11264
	s_wait_dscnt 0x0
	v_cmp_ne_u32_e64 s25, 0x80000000, v136
	s_wait_alu 0xf1ff
	s_delay_alu instid0(VALU_DEP_1) | instskip(SKIP_1) | instid1(VALU_DEP_2)
	v_cndmask_b32_e64 v2, 0x7fffffff, v136, s25
	v_cmp_gt_i32_e64 s25, 0, v136
	v_lshrrev_b32_e32 v2, s49, v2
	s_wait_alu 0xf1ff
	s_delay_alu instid0(VALU_DEP_2) | instskip(NEXT) | instid1(VALU_DEP_2)
	v_cndmask_b32_e64 v143, 0x7fffffff, 0, s25
	v_and_b32_e32 v2, s48, v2
	s_delay_alu instid0(VALU_DEP_1) | instskip(SKIP_3) | instid1(VALU_DEP_1)
	v_lshlrev_b32_e32 v2, 2, v2
	ds_load_b32 v2, v2
	s_wait_dscnt 0x0
	v_add_nc_u32_e32 v2, v2, v56
	v_lshlrev_b64_e32 v[36:37], 2, v[2:3]
	v_xor_b32_e32 v2, v143, v136
	s_delay_alu instid0(VALU_DEP_2) | instskip(SKIP_1) | instid1(VALU_DEP_3)
	v_add_co_u32 v36, s25, s40, v36
	s_wait_alu 0xf1ff
	v_add_co_ci_u32_e64 v37, null, s41, v37, s25
	global_store_b32 v[36:37], v2, off
	s_wait_alu 0xfffe
	s_or_b32 exec_lo, exec_lo, s26
	v_cmp_lt_u32_e64 s25, v57, v135
	s_and_saveexec_b32 s27, s25
	s_cbranch_execz .LBB1331_1064
.LBB1331_1132:                          ;   in Loop: Header=BB1331_974 Depth=2
	ds_load_b32 v136, v70 offset:12288
	s_wait_dscnt 0x0
	v_cmp_ne_u32_e64 s26, 0x80000000, v136
	s_wait_alu 0xf1ff
	s_delay_alu instid0(VALU_DEP_1) | instskip(SKIP_1) | instid1(VALU_DEP_2)
	v_cndmask_b32_e64 v2, 0x7fffffff, v136, s26
	v_cmp_gt_i32_e64 s26, 0, v136
	v_lshrrev_b32_e32 v2, s49, v2
	s_wait_alu 0xf1ff
	s_delay_alu instid0(VALU_DEP_2) | instskip(NEXT) | instid1(VALU_DEP_2)
	v_cndmask_b32_e64 v143, 0x7fffffff, 0, s26
	v_and_b32_e32 v2, s48, v2
	s_delay_alu instid0(VALU_DEP_1) | instskip(SKIP_3) | instid1(VALU_DEP_1)
	v_lshlrev_b32_e32 v2, 2, v2
	ds_load_b32 v2, v2
	s_wait_dscnt 0x0
	v_add_nc_u32_e32 v2, v2, v57
	v_lshlrev_b64_e32 v[36:37], 2, v[2:3]
	v_xor_b32_e32 v2, v143, v136
	s_delay_alu instid0(VALU_DEP_2) | instskip(SKIP_1) | instid1(VALU_DEP_3)
	v_add_co_u32 v36, s26, s40, v36
	s_wait_alu 0xf1ff
	v_add_co_ci_u32_e64 v37, null, s41, v37, s26
	global_store_b32 v[36:37], v2, off
	s_wait_alu 0xfffe
	s_or_b32 exec_lo, exec_lo, s27
	v_cmp_lt_u32_e64 s26, v58, v135
	s_and_saveexec_b32 s28, s26
	s_cbranch_execz .LBB1331_1065
.LBB1331_1133:                          ;   in Loop: Header=BB1331_974 Depth=2
	ds_load_b32 v136, v70 offset:13312
	s_wait_dscnt 0x0
	v_cmp_ne_u32_e64 s27, 0x80000000, v136
	s_wait_alu 0xf1ff
	s_delay_alu instid0(VALU_DEP_1) | instskip(SKIP_1) | instid1(VALU_DEP_2)
	v_cndmask_b32_e64 v2, 0x7fffffff, v136, s27
	v_cmp_gt_i32_e64 s27, 0, v136
	v_lshrrev_b32_e32 v2, s49, v2
	s_wait_alu 0xf1ff
	s_delay_alu instid0(VALU_DEP_2) | instskip(NEXT) | instid1(VALU_DEP_2)
	v_cndmask_b32_e64 v143, 0x7fffffff, 0, s27
	v_and_b32_e32 v2, s48, v2
	s_delay_alu instid0(VALU_DEP_1) | instskip(SKIP_3) | instid1(VALU_DEP_1)
	v_lshlrev_b32_e32 v2, 2, v2
	ds_load_b32 v2, v2
	s_wait_dscnt 0x0
	v_add_nc_u32_e32 v2, v2, v58
	v_lshlrev_b64_e32 v[36:37], 2, v[2:3]
	v_xor_b32_e32 v2, v143, v136
	s_delay_alu instid0(VALU_DEP_2) | instskip(SKIP_1) | instid1(VALU_DEP_3)
	v_add_co_u32 v36, s27, s40, v36
	s_wait_alu 0xf1ff
	v_add_co_ci_u32_e64 v37, null, s41, v37, s27
	global_store_b32 v[36:37], v2, off
	s_wait_alu 0xfffe
	s_or_b32 exec_lo, exec_lo, s28
	v_cmp_lt_u32_e64 s27, v59, v135
	s_and_saveexec_b32 s29, s27
	s_cbranch_execz .LBB1331_1066
.LBB1331_1134:                          ;   in Loop: Header=BB1331_974 Depth=2
	ds_load_b32 v136, v70 offset:14336
	s_wait_dscnt 0x0
	v_cmp_ne_u32_e64 s28, 0x80000000, v136
	s_wait_alu 0xf1ff
	s_delay_alu instid0(VALU_DEP_1) | instskip(SKIP_1) | instid1(VALU_DEP_2)
	v_cndmask_b32_e64 v2, 0x7fffffff, v136, s28
	v_cmp_gt_i32_e64 s28, 0, v136
	v_lshrrev_b32_e32 v2, s49, v2
	s_wait_alu 0xf1ff
	s_delay_alu instid0(VALU_DEP_2) | instskip(NEXT) | instid1(VALU_DEP_2)
	v_cndmask_b32_e64 v143, 0x7fffffff, 0, s28
	v_and_b32_e32 v2, s48, v2
	s_delay_alu instid0(VALU_DEP_1) | instskip(SKIP_3) | instid1(VALU_DEP_1)
	v_lshlrev_b32_e32 v2, 2, v2
	ds_load_b32 v2, v2
	s_wait_dscnt 0x0
	v_add_nc_u32_e32 v2, v2, v59
	v_lshlrev_b64_e32 v[36:37], 2, v[2:3]
	v_xor_b32_e32 v2, v143, v136
	s_delay_alu instid0(VALU_DEP_2) | instskip(SKIP_1) | instid1(VALU_DEP_3)
	v_add_co_u32 v36, s28, s40, v36
	s_wait_alu 0xf1ff
	v_add_co_ci_u32_e64 v37, null, s41, v37, s28
	global_store_b32 v[36:37], v2, off
	s_wait_alu 0xfffe
	s_or_b32 exec_lo, exec_lo, s29
	v_cmp_lt_u32_e64 s28, v60, v135
	s_and_saveexec_b32 s30, s28
	s_cbranch_execz .LBB1331_1067
.LBB1331_1135:                          ;   in Loop: Header=BB1331_974 Depth=2
	ds_load_b32 v136, v70 offset:15360
	s_wait_dscnt 0x0
	v_cmp_ne_u32_e64 s29, 0x80000000, v136
	s_wait_alu 0xf1ff
	s_delay_alu instid0(VALU_DEP_1) | instskip(SKIP_1) | instid1(VALU_DEP_2)
	v_cndmask_b32_e64 v2, 0x7fffffff, v136, s29
	v_cmp_gt_i32_e64 s29, 0, v136
	v_lshrrev_b32_e32 v2, s49, v2
	s_wait_alu 0xf1ff
	s_delay_alu instid0(VALU_DEP_2) | instskip(NEXT) | instid1(VALU_DEP_2)
	v_cndmask_b32_e64 v143, 0x7fffffff, 0, s29
	v_and_b32_e32 v2, s48, v2
	s_delay_alu instid0(VALU_DEP_1) | instskip(SKIP_3) | instid1(VALU_DEP_1)
	v_lshlrev_b32_e32 v2, 2, v2
	ds_load_b32 v2, v2
	s_wait_dscnt 0x0
	v_add_nc_u32_e32 v2, v2, v60
	v_lshlrev_b64_e32 v[36:37], 2, v[2:3]
	v_xor_b32_e32 v2, v143, v136
	s_delay_alu instid0(VALU_DEP_2) | instskip(SKIP_1) | instid1(VALU_DEP_3)
	v_add_co_u32 v36, s29, s40, v36
	s_wait_alu 0xf1ff
	v_add_co_ci_u32_e64 v37, null, s41, v37, s29
	global_store_b32 v[36:37], v2, off
	s_wait_alu 0xfffe
	s_or_b32 exec_lo, exec_lo, s30
	v_cmp_lt_u32_e64 s29, v61, v135
	s_and_saveexec_b32 s56, s29
	s_cbranch_execnz .LBB1331_1068
	s_branch .LBB1331_1069
.LBB1331_1136:                          ;   in Loop: Header=BB1331_974 Depth=2
	global_load_b64 v[34:35], v[36:37], off
	s_wait_alu 0xfffe
	s_or_b32 exec_lo, exec_lo, s30
	s_delay_alu instid0(SALU_CYCLE_1)
	s_mov_b32 s42, exec_lo
	v_cmpx_lt_u32_e64 v92, v135
	s_cbranch_execz .LBB1331_1071
.LBB1331_1137:                          ;   in Loop: Header=BB1331_974 Depth=2
	global_load_b64 v[32:33], v[36:37], off offset:256
	s_wait_alu 0xfffe
	s_or_b32 exec_lo, exec_lo, s42
	s_delay_alu instid0(SALU_CYCLE_1)
	s_mov_b32 s42, exec_lo
	v_cmpx_lt_u32_e64 v93, v135
	s_cbranch_execz .LBB1331_1072
.LBB1331_1138:                          ;   in Loop: Header=BB1331_974 Depth=2
	global_load_b64 v[30:31], v[36:37], off offset:512
	s_wait_alu 0xfffe
	s_or_b32 exec_lo, exec_lo, s42
	s_delay_alu instid0(SALU_CYCLE_1)
	s_mov_b32 s42, exec_lo
	v_cmpx_lt_u32_e64 v94, v135
	s_cbranch_execz .LBB1331_1073
.LBB1331_1139:                          ;   in Loop: Header=BB1331_974 Depth=2
	global_load_b64 v[28:29], v[36:37], off offset:768
	s_wait_alu 0xfffe
	s_or_b32 exec_lo, exec_lo, s42
	s_delay_alu instid0(SALU_CYCLE_1)
	s_mov_b32 s42, exec_lo
	v_cmpx_lt_u32_e64 v95, v135
	s_cbranch_execz .LBB1331_1074
.LBB1331_1140:                          ;   in Loop: Header=BB1331_974 Depth=2
	global_load_b64 v[26:27], v[36:37], off offset:1024
	s_wait_alu 0xfffe
	s_or_b32 exec_lo, exec_lo, s42
	s_delay_alu instid0(SALU_CYCLE_1)
	s_mov_b32 s42, exec_lo
	v_cmpx_lt_u32_e64 v96, v135
	s_cbranch_execz .LBB1331_1075
.LBB1331_1141:                          ;   in Loop: Header=BB1331_974 Depth=2
	global_load_b64 v[24:25], v[36:37], off offset:1280
	s_wait_alu 0xfffe
	s_or_b32 exec_lo, exec_lo, s42
	s_delay_alu instid0(SALU_CYCLE_1)
	s_mov_b32 s42, exec_lo
	v_cmpx_lt_u32_e64 v97, v135
	s_cbranch_execz .LBB1331_1076
.LBB1331_1142:                          ;   in Loop: Header=BB1331_974 Depth=2
	global_load_b64 v[22:23], v[36:37], off offset:1536
	s_wait_alu 0xfffe
	s_or_b32 exec_lo, exec_lo, s42
	s_delay_alu instid0(SALU_CYCLE_1)
	s_mov_b32 s42, exec_lo
	v_cmpx_lt_u32_e64 v98, v135
	s_cbranch_execz .LBB1331_1077
.LBB1331_1143:                          ;   in Loop: Header=BB1331_974 Depth=2
	global_load_b64 v[20:21], v[36:37], off offset:1792
	s_wait_alu 0xfffe
	s_or_b32 exec_lo, exec_lo, s42
	s_delay_alu instid0(SALU_CYCLE_1)
	s_mov_b32 s42, exec_lo
	v_cmpx_lt_u32_e64 v99, v135
	s_cbranch_execz .LBB1331_1078
.LBB1331_1144:                          ;   in Loop: Header=BB1331_974 Depth=2
	global_load_b64 v[18:19], v[36:37], off offset:2048
	s_wait_alu 0xfffe
	s_or_b32 exec_lo, exec_lo, s42
	s_delay_alu instid0(SALU_CYCLE_1)
	s_mov_b32 s42, exec_lo
	v_cmpx_lt_u32_e64 v100, v135
	s_cbranch_execz .LBB1331_1079
.LBB1331_1145:                          ;   in Loop: Header=BB1331_974 Depth=2
	global_load_b64 v[16:17], v[36:37], off offset:2304
	s_wait_alu 0xfffe
	s_or_b32 exec_lo, exec_lo, s42
	s_delay_alu instid0(SALU_CYCLE_1)
	s_mov_b32 s42, exec_lo
	v_cmpx_lt_u32_e64 v101, v135
	s_cbranch_execz .LBB1331_1080
.LBB1331_1146:                          ;   in Loop: Header=BB1331_974 Depth=2
	global_load_b64 v[14:15], v[36:37], off offset:2560
	s_wait_alu 0xfffe
	s_or_b32 exec_lo, exec_lo, s42
	s_delay_alu instid0(SALU_CYCLE_1)
	s_mov_b32 s42, exec_lo
	v_cmpx_lt_u32_e64 v102, v135
	s_cbranch_execz .LBB1331_1081
.LBB1331_1147:                          ;   in Loop: Header=BB1331_974 Depth=2
	global_load_b64 v[12:13], v[36:37], off offset:2816
	s_wait_alu 0xfffe
	s_or_b32 exec_lo, exec_lo, s42
	s_delay_alu instid0(SALU_CYCLE_1)
	s_mov_b32 s42, exec_lo
	v_cmpx_lt_u32_e64 v103, v135
	s_cbranch_execz .LBB1331_1082
.LBB1331_1148:                          ;   in Loop: Header=BB1331_974 Depth=2
	global_load_b64 v[10:11], v[36:37], off offset:3072
	s_wait_alu 0xfffe
	s_or_b32 exec_lo, exec_lo, s42
	s_delay_alu instid0(SALU_CYCLE_1)
	s_mov_b32 s42, exec_lo
	v_cmpx_lt_u32_e64 v104, v135
	s_cbranch_execz .LBB1331_1083
.LBB1331_1149:                          ;   in Loop: Header=BB1331_974 Depth=2
	global_load_b64 v[8:9], v[36:37], off offset:3328
	s_wait_alu 0xfffe
	s_or_b32 exec_lo, exec_lo, s42
	s_delay_alu instid0(SALU_CYCLE_1)
	s_mov_b32 s42, exec_lo
	v_cmpx_lt_u32_e64 v105, v135
	s_cbranch_execz .LBB1331_1084
.LBB1331_1150:                          ;   in Loop: Header=BB1331_974 Depth=2
	global_load_b64 v[6:7], v[36:37], off offset:3584
	s_wait_alu 0xfffe
	s_or_b32 exec_lo, exec_lo, s42
	s_delay_alu instid0(SALU_CYCLE_1)
	s_mov_b32 s42, exec_lo
	v_cmpx_lt_u32_e64 v106, v135
	s_cbranch_execz .LBB1331_1085
.LBB1331_1151:                          ;   in Loop: Header=BB1331_974 Depth=2
	global_load_b64 v[4:5], v[36:37], off offset:3840
	s_wait_alu 0xfffe
	s_or_b32 exec_lo, exec_lo, s42
	s_and_saveexec_b32 s42, vcc_lo
	s_cbranch_execz .LBB1331_1086
.LBB1331_1152:                          ;   in Loop: Header=BB1331_974 Depth=2
	ds_load_b32 v2, v70 offset:1024
	s_wait_dscnt 0x0
	v_cmp_ne_u32_e64 s30, 0x80000000, v2
	s_wait_alu 0xf1ff
	s_delay_alu instid0(VALU_DEP_1) | instskip(NEXT) | instid1(VALU_DEP_1)
	v_cndmask_b32_e64 v2, 0x7fffffff, v2, s30
	v_lshrrev_b32_e32 v2, s49, v2
	s_delay_alu instid0(VALU_DEP_1)
	v_and_b32_e32 v134, s48, v2
	s_wait_alu 0xfffe
	s_or_b32 exec_lo, exec_lo, s42
	s_and_saveexec_b32 s42, s15
	s_cbranch_execz .LBB1331_1087
.LBB1331_1153:                          ;   in Loop: Header=BB1331_974 Depth=2
	ds_load_b32 v2, v70 offset:2048
	s_wait_dscnt 0x0
	v_cmp_ne_u32_e64 s30, 0x80000000, v2
	s_wait_alu 0xf1ff
	s_delay_alu instid0(VALU_DEP_1) | instskip(NEXT) | instid1(VALU_DEP_1)
	v_cndmask_b32_e64 v2, 0x7fffffff, v2, s30
	v_lshrrev_b32_e32 v2, s49, v2
	s_delay_alu instid0(VALU_DEP_1)
	v_and_b32_e32 v133, s48, v2
	s_wait_alu 0xfffe
	s_or_b32 exec_lo, exec_lo, s42
	s_and_saveexec_b32 s42, s16
	s_cbranch_execz .LBB1331_1088
.LBB1331_1154:                          ;   in Loop: Header=BB1331_974 Depth=2
	ds_load_b32 v2, v70 offset:3072
	s_wait_dscnt 0x0
	v_cmp_ne_u32_e64 s30, 0x80000000, v2
	s_wait_alu 0xf1ff
	s_delay_alu instid0(VALU_DEP_1) | instskip(NEXT) | instid1(VALU_DEP_1)
	v_cndmask_b32_e64 v2, 0x7fffffff, v2, s30
	v_lshrrev_b32_e32 v2, s49, v2
	s_delay_alu instid0(VALU_DEP_1)
	v_and_b32_e32 v132, s48, v2
	s_wait_alu 0xfffe
	s_or_b32 exec_lo, exec_lo, s42
	s_and_saveexec_b32 s42, s17
	s_cbranch_execz .LBB1331_1089
.LBB1331_1155:                          ;   in Loop: Header=BB1331_974 Depth=2
	ds_load_b32 v2, v70 offset:4096
	s_wait_dscnt 0x0
	v_cmp_ne_u32_e64 s30, 0x80000000, v2
	s_wait_alu 0xf1ff
	s_delay_alu instid0(VALU_DEP_1) | instskip(NEXT) | instid1(VALU_DEP_1)
	v_cndmask_b32_e64 v2, 0x7fffffff, v2, s30
	v_lshrrev_b32_e32 v2, s49, v2
	s_delay_alu instid0(VALU_DEP_1)
	v_and_b32_e32 v131, s48, v2
	s_wait_alu 0xfffe
	s_or_b32 exec_lo, exec_lo, s42
	s_and_saveexec_b32 s42, s18
	s_cbranch_execz .LBB1331_1090
.LBB1331_1156:                          ;   in Loop: Header=BB1331_974 Depth=2
	ds_load_b32 v2, v70 offset:5120
	s_wait_dscnt 0x0
	v_cmp_ne_u32_e64 s30, 0x80000000, v2
	s_wait_alu 0xf1ff
	s_delay_alu instid0(VALU_DEP_1) | instskip(NEXT) | instid1(VALU_DEP_1)
	v_cndmask_b32_e64 v2, 0x7fffffff, v2, s30
	v_lshrrev_b32_e32 v2, s49, v2
	s_delay_alu instid0(VALU_DEP_1)
	v_and_b32_e32 v130, s48, v2
	s_wait_alu 0xfffe
	s_or_b32 exec_lo, exec_lo, s42
	s_and_saveexec_b32 s42, s19
	s_cbranch_execz .LBB1331_1091
.LBB1331_1157:                          ;   in Loop: Header=BB1331_974 Depth=2
	ds_load_b32 v2, v70 offset:6144
	s_wait_dscnt 0x0
	v_cmp_ne_u32_e64 s30, 0x80000000, v2
	s_wait_alu 0xf1ff
	s_delay_alu instid0(VALU_DEP_1) | instskip(NEXT) | instid1(VALU_DEP_1)
	v_cndmask_b32_e64 v2, 0x7fffffff, v2, s30
	v_lshrrev_b32_e32 v2, s49, v2
	s_delay_alu instid0(VALU_DEP_1)
	v_and_b32_e32 v129, s48, v2
	s_wait_alu 0xfffe
	s_or_b32 exec_lo, exec_lo, s42
	s_and_saveexec_b32 s42, s20
	s_cbranch_execz .LBB1331_1092
.LBB1331_1158:                          ;   in Loop: Header=BB1331_974 Depth=2
	ds_load_b32 v2, v70 offset:7168
	s_wait_dscnt 0x0
	v_cmp_ne_u32_e64 s30, 0x80000000, v2
	s_wait_alu 0xf1ff
	s_delay_alu instid0(VALU_DEP_1) | instskip(NEXT) | instid1(VALU_DEP_1)
	v_cndmask_b32_e64 v2, 0x7fffffff, v2, s30
	v_lshrrev_b32_e32 v2, s49, v2
	s_delay_alu instid0(VALU_DEP_1)
	v_and_b32_e32 v128, s48, v2
	s_wait_alu 0xfffe
	s_or_b32 exec_lo, exec_lo, s42
	s_and_saveexec_b32 s42, s21
	s_cbranch_execz .LBB1331_1093
.LBB1331_1159:                          ;   in Loop: Header=BB1331_974 Depth=2
	ds_load_b32 v2, v70 offset:8192
	s_wait_dscnt 0x0
	v_cmp_ne_u32_e64 s30, 0x80000000, v2
	s_wait_alu 0xf1ff
	s_delay_alu instid0(VALU_DEP_1) | instskip(NEXT) | instid1(VALU_DEP_1)
	v_cndmask_b32_e64 v2, 0x7fffffff, v2, s30
	v_lshrrev_b32_e32 v2, s49, v2
	s_delay_alu instid0(VALU_DEP_1)
	v_and_b32_e32 v127, s48, v2
	s_wait_alu 0xfffe
	s_or_b32 exec_lo, exec_lo, s42
	s_and_saveexec_b32 s42, s22
	s_cbranch_execz .LBB1331_1094
.LBB1331_1160:                          ;   in Loop: Header=BB1331_974 Depth=2
	ds_load_b32 v2, v70 offset:9216
	s_wait_dscnt 0x0
	v_cmp_ne_u32_e64 s30, 0x80000000, v2
	s_wait_alu 0xf1ff
	s_delay_alu instid0(VALU_DEP_1) | instskip(NEXT) | instid1(VALU_DEP_1)
	v_cndmask_b32_e64 v2, 0x7fffffff, v2, s30
	v_lshrrev_b32_e32 v2, s49, v2
	s_delay_alu instid0(VALU_DEP_1)
	v_and_b32_e32 v126, s48, v2
	s_wait_alu 0xfffe
	s_or_b32 exec_lo, exec_lo, s42
	s_and_saveexec_b32 s42, s23
	s_cbranch_execz .LBB1331_1095
.LBB1331_1161:                          ;   in Loop: Header=BB1331_974 Depth=2
	ds_load_b32 v2, v70 offset:10240
	s_wait_dscnt 0x0
	v_cmp_ne_u32_e64 s30, 0x80000000, v2
	s_wait_alu 0xf1ff
	s_delay_alu instid0(VALU_DEP_1) | instskip(NEXT) | instid1(VALU_DEP_1)
	v_cndmask_b32_e64 v2, 0x7fffffff, v2, s30
	v_lshrrev_b32_e32 v2, s49, v2
	s_delay_alu instid0(VALU_DEP_1)
	v_and_b32_e32 v125, s48, v2
	s_wait_alu 0xfffe
	s_or_b32 exec_lo, exec_lo, s42
	s_and_saveexec_b32 s42, s24
	s_cbranch_execz .LBB1331_1096
.LBB1331_1162:                          ;   in Loop: Header=BB1331_974 Depth=2
	ds_load_b32 v2, v70 offset:11264
	s_wait_dscnt 0x0
	v_cmp_ne_u32_e64 s30, 0x80000000, v2
	s_wait_alu 0xf1ff
	s_delay_alu instid0(VALU_DEP_1) | instskip(NEXT) | instid1(VALU_DEP_1)
	v_cndmask_b32_e64 v2, 0x7fffffff, v2, s30
	v_lshrrev_b32_e32 v2, s49, v2
	s_delay_alu instid0(VALU_DEP_1)
	v_and_b32_e32 v124, s48, v2
	s_wait_alu 0xfffe
	s_or_b32 exec_lo, exec_lo, s42
	s_and_saveexec_b32 s42, s25
	s_cbranch_execz .LBB1331_1097
.LBB1331_1163:                          ;   in Loop: Header=BB1331_974 Depth=2
	ds_load_b32 v2, v70 offset:12288
	s_wait_dscnt 0x0
	v_cmp_ne_u32_e64 s30, 0x80000000, v2
	s_wait_alu 0xf1ff
	s_delay_alu instid0(VALU_DEP_1) | instskip(NEXT) | instid1(VALU_DEP_1)
	v_cndmask_b32_e64 v2, 0x7fffffff, v2, s30
	v_lshrrev_b32_e32 v2, s49, v2
	s_delay_alu instid0(VALU_DEP_1)
	v_and_b32_e32 v123, s48, v2
	s_wait_alu 0xfffe
	s_or_b32 exec_lo, exec_lo, s42
	s_and_saveexec_b32 s42, s26
	s_cbranch_execz .LBB1331_1098
.LBB1331_1164:                          ;   in Loop: Header=BB1331_974 Depth=2
	ds_load_b32 v2, v70 offset:13312
	s_wait_dscnt 0x0
	v_cmp_ne_u32_e64 s30, 0x80000000, v2
	s_wait_alu 0xf1ff
	s_delay_alu instid0(VALU_DEP_1) | instskip(NEXT) | instid1(VALU_DEP_1)
	v_cndmask_b32_e64 v2, 0x7fffffff, v2, s30
	v_lshrrev_b32_e32 v2, s49, v2
	s_delay_alu instid0(VALU_DEP_1)
	v_and_b32_e32 v122, s48, v2
	s_wait_alu 0xfffe
	s_or_b32 exec_lo, exec_lo, s42
	s_and_saveexec_b32 s42, s27
	s_cbranch_execz .LBB1331_1099
.LBB1331_1165:                          ;   in Loop: Header=BB1331_974 Depth=2
	ds_load_b32 v2, v70 offset:14336
	s_wait_dscnt 0x0
	v_cmp_ne_u32_e64 s30, 0x80000000, v2
	s_wait_alu 0xf1ff
	s_delay_alu instid0(VALU_DEP_1) | instskip(NEXT) | instid1(VALU_DEP_1)
	v_cndmask_b32_e64 v2, 0x7fffffff, v2, s30
	v_lshrrev_b32_e32 v2, s49, v2
	s_delay_alu instid0(VALU_DEP_1)
	v_and_b32_e32 v121, s48, v2
	s_wait_alu 0xfffe
	s_or_b32 exec_lo, exec_lo, s42
	s_and_saveexec_b32 s42, s28
	s_cbranch_execz .LBB1331_1100
.LBB1331_1166:                          ;   in Loop: Header=BB1331_974 Depth=2
	ds_load_b32 v2, v70 offset:15360
	s_wait_dscnt 0x0
	v_cmp_ne_u32_e64 s30, 0x80000000, v2
	s_wait_alu 0xf1ff
	s_delay_alu instid0(VALU_DEP_1) | instskip(NEXT) | instid1(VALU_DEP_1)
	v_cndmask_b32_e64 v2, 0x7fffffff, v2, s30
	v_lshrrev_b32_e32 v2, s49, v2
	s_delay_alu instid0(VALU_DEP_1)
	v_and_b32_e32 v120, s48, v2
	s_wait_alu 0xfffe
	s_or_b32 exec_lo, exec_lo, s42
	s_and_saveexec_b32 s42, s29
	s_cbranch_execnz .LBB1331_1101
	s_branch .LBB1331_1102
.LBB1331_1167:                          ;   in Loop: Header=BB1331_974 Depth=2
	v_lshlrev_b32_e32 v2, 2, v134
	ds_load_b32 v2, v2
	ds_load_b64 v[39:40], v36 offset:1024
	s_wait_dscnt 0x1
	v_add_nc_u32_e32 v2, v2, v1
	s_delay_alu instid0(VALU_DEP_1) | instskip(NEXT) | instid1(VALU_DEP_1)
	v_lshlrev_b64_e32 v[41:42], 3, v[2:3]
	v_add_co_u32 v41, vcc_lo, s46, v41
	s_wait_alu 0xfffd
	s_delay_alu instid0(VALU_DEP_2)
	v_add_co_ci_u32_e64 v42, null, s47, v42, vcc_lo
	s_wait_dscnt 0x0
	global_store_b64 v[41:42], v[39:40], off
	s_wait_alu 0xfffe
	s_or_b32 exec_lo, exec_lo, s30
	s_and_saveexec_b32 s30, s15
	s_cbranch_execz .LBB1331_1104
.LBB1331_1168:                          ;   in Loop: Header=BB1331_974 Depth=2
	v_lshlrev_b32_e32 v2, 2, v133
	ds_load_b32 v2, v2
	ds_load_b64 v[39:40], v36 offset:3072
	s_wait_dscnt 0x1
	v_add_nc_u32_e32 v2, v2, v45
	s_delay_alu instid0(VALU_DEP_1) | instskip(NEXT) | instid1(VALU_DEP_1)
	v_lshlrev_b64_e32 v[41:42], 3, v[2:3]
	v_add_co_u32 v41, vcc_lo, s46, v41
	s_wait_alu 0xfffd
	s_delay_alu instid0(VALU_DEP_2)
	v_add_co_ci_u32_e64 v42, null, s47, v42, vcc_lo
	s_wait_dscnt 0x0
	global_store_b64 v[41:42], v[39:40], off
	s_wait_alu 0xfffe
	s_or_b32 exec_lo, exec_lo, s30
	s_and_saveexec_b32 s15, s16
	s_cbranch_execz .LBB1331_1105
.LBB1331_1169:                          ;   in Loop: Header=BB1331_974 Depth=2
	v_lshlrev_b32_e32 v2, 2, v132
	ds_load_b32 v2, v2
	ds_load_b64 v[39:40], v36 offset:5120
	s_wait_dscnt 0x1
	v_add_nc_u32_e32 v2, v2, v46
	s_delay_alu instid0(VALU_DEP_1) | instskip(NEXT) | instid1(VALU_DEP_1)
	v_lshlrev_b64_e32 v[41:42], 3, v[2:3]
	v_add_co_u32 v41, vcc_lo, s46, v41
	s_wait_alu 0xfffd
	s_delay_alu instid0(VALU_DEP_2)
	v_add_co_ci_u32_e64 v42, null, s47, v42, vcc_lo
	s_wait_dscnt 0x0
	global_store_b64 v[41:42], v[39:40], off
	s_wait_alu 0xfffe
	s_or_b32 exec_lo, exec_lo, s15
	s_and_saveexec_b32 s15, s17
	s_cbranch_execz .LBB1331_1106
.LBB1331_1170:                          ;   in Loop: Header=BB1331_974 Depth=2
	v_lshlrev_b32_e32 v2, 2, v131
	ds_load_b32 v2, v2
	ds_load_b64 v[39:40], v36 offset:7168
	s_wait_dscnt 0x1
	v_add_nc_u32_e32 v2, v2, v47
	s_delay_alu instid0(VALU_DEP_1) | instskip(NEXT) | instid1(VALU_DEP_1)
	v_lshlrev_b64_e32 v[41:42], 3, v[2:3]
	v_add_co_u32 v41, vcc_lo, s46, v41
	s_wait_alu 0xfffd
	s_delay_alu instid0(VALU_DEP_2)
	v_add_co_ci_u32_e64 v42, null, s47, v42, vcc_lo
	s_wait_dscnt 0x0
	global_store_b64 v[41:42], v[39:40], off
	s_wait_alu 0xfffe
	s_or_b32 exec_lo, exec_lo, s15
	s_and_saveexec_b32 s15, s18
	s_cbranch_execz .LBB1331_1107
.LBB1331_1171:                          ;   in Loop: Header=BB1331_974 Depth=2
	v_lshlrev_b32_e32 v2, 2, v130
	ds_load_b32 v2, v2
	ds_load_b64 v[39:40], v36 offset:9216
	s_wait_dscnt 0x1
	v_add_nc_u32_e32 v2, v2, v50
	s_delay_alu instid0(VALU_DEP_1) | instskip(NEXT) | instid1(VALU_DEP_1)
	v_lshlrev_b64_e32 v[41:42], 3, v[2:3]
	v_add_co_u32 v41, vcc_lo, s46, v41
	s_wait_alu 0xfffd
	s_delay_alu instid0(VALU_DEP_2)
	v_add_co_ci_u32_e64 v42, null, s47, v42, vcc_lo
	s_wait_dscnt 0x0
	global_store_b64 v[41:42], v[39:40], off
	s_wait_alu 0xfffe
	s_or_b32 exec_lo, exec_lo, s15
	s_and_saveexec_b32 s15, s19
	s_cbranch_execz .LBB1331_1108
.LBB1331_1172:                          ;   in Loop: Header=BB1331_974 Depth=2
	v_lshlrev_b32_e32 v2, 2, v129
	ds_load_b32 v2, v2
	ds_load_b64 v[39:40], v36 offset:11264
	s_wait_dscnt 0x1
	v_add_nc_u32_e32 v2, v2, v51
	s_delay_alu instid0(VALU_DEP_1) | instskip(NEXT) | instid1(VALU_DEP_1)
	v_lshlrev_b64_e32 v[41:42], 3, v[2:3]
	v_add_co_u32 v41, vcc_lo, s46, v41
	s_wait_alu 0xfffd
	s_delay_alu instid0(VALU_DEP_2)
	v_add_co_ci_u32_e64 v42, null, s47, v42, vcc_lo
	s_wait_dscnt 0x0
	global_store_b64 v[41:42], v[39:40], off
	s_wait_alu 0xfffe
	s_or_b32 exec_lo, exec_lo, s15
	s_and_saveexec_b32 s15, s20
	s_cbranch_execz .LBB1331_1109
.LBB1331_1173:                          ;   in Loop: Header=BB1331_974 Depth=2
	v_lshlrev_b32_e32 v2, 2, v128
	ds_load_b32 v2, v2
	ds_load_b64 v[39:40], v36 offset:13312
	s_wait_dscnt 0x1
	v_add_nc_u32_e32 v2, v2, v52
	s_delay_alu instid0(VALU_DEP_1) | instskip(NEXT) | instid1(VALU_DEP_1)
	v_lshlrev_b64_e32 v[41:42], 3, v[2:3]
	v_add_co_u32 v41, vcc_lo, s46, v41
	s_wait_alu 0xfffd
	s_delay_alu instid0(VALU_DEP_2)
	v_add_co_ci_u32_e64 v42, null, s47, v42, vcc_lo
	s_wait_dscnt 0x0
	global_store_b64 v[41:42], v[39:40], off
	s_wait_alu 0xfffe
	s_or_b32 exec_lo, exec_lo, s15
	s_and_saveexec_b32 s15, s21
	s_cbranch_execz .LBB1331_1110
.LBB1331_1174:                          ;   in Loop: Header=BB1331_974 Depth=2
	v_lshlrev_b32_e32 v2, 2, v127
	ds_load_b32 v2, v2
	ds_load_b64 v[39:40], v36 offset:15360
	s_wait_dscnt 0x1
	v_add_nc_u32_e32 v2, v2, v53
	s_delay_alu instid0(VALU_DEP_1) | instskip(NEXT) | instid1(VALU_DEP_1)
	v_lshlrev_b64_e32 v[41:42], 3, v[2:3]
	v_add_co_u32 v41, vcc_lo, s46, v41
	s_wait_alu 0xfffd
	s_delay_alu instid0(VALU_DEP_2)
	v_add_co_ci_u32_e64 v42, null, s47, v42, vcc_lo
	s_wait_dscnt 0x0
	global_store_b64 v[41:42], v[39:40], off
	s_wait_alu 0xfffe
	s_or_b32 exec_lo, exec_lo, s15
	s_and_saveexec_b32 s15, s22
	s_cbranch_execz .LBB1331_1111
.LBB1331_1175:                          ;   in Loop: Header=BB1331_974 Depth=2
	v_lshlrev_b32_e32 v2, 2, v126
	ds_load_b32 v2, v2
	ds_load_b64 v[39:40], v36 offset:17408
	s_wait_dscnt 0x1
	v_add_nc_u32_e32 v2, v2, v54
	s_delay_alu instid0(VALU_DEP_1) | instskip(NEXT) | instid1(VALU_DEP_1)
	v_lshlrev_b64_e32 v[41:42], 3, v[2:3]
	v_add_co_u32 v41, vcc_lo, s46, v41
	s_wait_alu 0xfffd
	s_delay_alu instid0(VALU_DEP_2)
	v_add_co_ci_u32_e64 v42, null, s47, v42, vcc_lo
	s_wait_dscnt 0x0
	global_store_b64 v[41:42], v[39:40], off
	s_wait_alu 0xfffe
	s_or_b32 exec_lo, exec_lo, s15
	s_and_saveexec_b32 s15, s23
	s_cbranch_execz .LBB1331_1112
.LBB1331_1176:                          ;   in Loop: Header=BB1331_974 Depth=2
	v_lshlrev_b32_e32 v2, 2, v125
	ds_load_b32 v2, v2
	ds_load_b64 v[39:40], v36 offset:19456
	s_wait_dscnt 0x1
	v_add_nc_u32_e32 v2, v2, v55
	s_delay_alu instid0(VALU_DEP_1) | instskip(NEXT) | instid1(VALU_DEP_1)
	v_lshlrev_b64_e32 v[41:42], 3, v[2:3]
	v_add_co_u32 v41, vcc_lo, s46, v41
	s_wait_alu 0xfffd
	s_delay_alu instid0(VALU_DEP_2)
	v_add_co_ci_u32_e64 v42, null, s47, v42, vcc_lo
	s_wait_dscnt 0x0
	global_store_b64 v[41:42], v[39:40], off
	s_wait_alu 0xfffe
	s_or_b32 exec_lo, exec_lo, s15
	s_and_saveexec_b32 s15, s24
	s_cbranch_execz .LBB1331_1113
.LBB1331_1177:                          ;   in Loop: Header=BB1331_974 Depth=2
	v_lshlrev_b32_e32 v2, 2, v124
	ds_load_b32 v2, v2
	ds_load_b64 v[39:40], v36 offset:21504
	s_wait_dscnt 0x1
	v_add_nc_u32_e32 v2, v2, v56
	s_delay_alu instid0(VALU_DEP_1) | instskip(NEXT) | instid1(VALU_DEP_1)
	v_lshlrev_b64_e32 v[41:42], 3, v[2:3]
	v_add_co_u32 v41, vcc_lo, s46, v41
	s_wait_alu 0xfffd
	s_delay_alu instid0(VALU_DEP_2)
	v_add_co_ci_u32_e64 v42, null, s47, v42, vcc_lo
	s_wait_dscnt 0x0
	global_store_b64 v[41:42], v[39:40], off
	s_wait_alu 0xfffe
	s_or_b32 exec_lo, exec_lo, s15
	s_and_saveexec_b32 s15, s25
	s_cbranch_execz .LBB1331_1114
.LBB1331_1178:                          ;   in Loop: Header=BB1331_974 Depth=2
	v_lshlrev_b32_e32 v2, 2, v123
	ds_load_b32 v2, v2
	ds_load_b64 v[39:40], v36 offset:23552
	s_wait_dscnt 0x1
	v_add_nc_u32_e32 v2, v2, v57
	s_delay_alu instid0(VALU_DEP_1) | instskip(NEXT) | instid1(VALU_DEP_1)
	v_lshlrev_b64_e32 v[41:42], 3, v[2:3]
	v_add_co_u32 v41, vcc_lo, s46, v41
	s_wait_alu 0xfffd
	s_delay_alu instid0(VALU_DEP_2)
	v_add_co_ci_u32_e64 v42, null, s47, v42, vcc_lo
	s_wait_dscnt 0x0
	global_store_b64 v[41:42], v[39:40], off
	s_wait_alu 0xfffe
	s_or_b32 exec_lo, exec_lo, s15
	s_and_saveexec_b32 s15, s26
	s_cbranch_execz .LBB1331_1115
.LBB1331_1179:                          ;   in Loop: Header=BB1331_974 Depth=2
	v_lshlrev_b32_e32 v2, 2, v122
	ds_load_b32 v2, v2
	ds_load_b64 v[39:40], v36 offset:25600
	s_wait_dscnt 0x1
	v_add_nc_u32_e32 v2, v2, v58
	s_delay_alu instid0(VALU_DEP_1) | instskip(NEXT) | instid1(VALU_DEP_1)
	v_lshlrev_b64_e32 v[41:42], 3, v[2:3]
	v_add_co_u32 v41, vcc_lo, s46, v41
	s_wait_alu 0xfffd
	s_delay_alu instid0(VALU_DEP_2)
	v_add_co_ci_u32_e64 v42, null, s47, v42, vcc_lo
	s_wait_dscnt 0x0
	global_store_b64 v[41:42], v[39:40], off
	s_wait_alu 0xfffe
	s_or_b32 exec_lo, exec_lo, s15
	s_and_saveexec_b32 s15, s27
	s_cbranch_execz .LBB1331_1116
.LBB1331_1180:                          ;   in Loop: Header=BB1331_974 Depth=2
	v_lshlrev_b32_e32 v2, 2, v121
	ds_load_b32 v2, v2
	ds_load_b64 v[39:40], v36 offset:27648
	s_wait_dscnt 0x1
	v_add_nc_u32_e32 v2, v2, v59
	s_delay_alu instid0(VALU_DEP_1) | instskip(NEXT) | instid1(VALU_DEP_1)
	v_lshlrev_b64_e32 v[41:42], 3, v[2:3]
	v_add_co_u32 v41, vcc_lo, s46, v41
	s_wait_alu 0xfffd
	s_delay_alu instid0(VALU_DEP_2)
	v_add_co_ci_u32_e64 v42, null, s47, v42, vcc_lo
	s_wait_dscnt 0x0
	global_store_b64 v[41:42], v[39:40], off
	s_wait_alu 0xfffe
	s_or_b32 exec_lo, exec_lo, s15
	s_and_saveexec_b32 s15, s28
	s_cbranch_execz .LBB1331_1117
.LBB1331_1181:                          ;   in Loop: Header=BB1331_974 Depth=2
	v_lshlrev_b32_e32 v2, 2, v120
	ds_load_b32 v2, v2
	ds_load_b64 v[39:40], v36 offset:29696
	s_wait_dscnt 0x1
	v_add_nc_u32_e32 v2, v2, v60
	s_delay_alu instid0(VALU_DEP_1) | instskip(NEXT) | instid1(VALU_DEP_1)
	v_lshlrev_b64_e32 v[41:42], 3, v[2:3]
	v_add_co_u32 v41, vcc_lo, s46, v41
	s_wait_alu 0xfffd
	s_delay_alu instid0(VALU_DEP_2)
	v_add_co_ci_u32_e64 v42, null, s47, v42, vcc_lo
	s_wait_dscnt 0x0
	global_store_b64 v[41:42], v[39:40], off
	s_wait_alu 0xfffe
	s_or_b32 exec_lo, exec_lo, s15
	s_and_saveexec_b32 s15, s29
	s_cbranch_execnz .LBB1331_1118
	s_branch .LBB1331_1119
.LBB1331_1182:
	s_endpgm
	.section	.rodata,"a",@progbits
	.p2align	6, 0x0
	.amdhsa_kernel _ZN7rocprim17ROCPRIM_400000_NS6detail17trampoline_kernelINS0_14default_configENS1_36segmented_radix_sort_config_selectorIflEEZNS1_25segmented_radix_sort_implIS3_Lb1EPKfPfPKlPlN2at6native12_GLOBAL__N_18offset_tEEE10hipError_tPvRmT1_PNSt15iterator_traitsISK_E10value_typeET2_T3_PNSL_ISQ_E10value_typeET4_jRbjT5_SW_jjP12ihipStream_tbEUlT_E_NS1_11comp_targetILNS1_3genE10ELNS1_11target_archE1201ELNS1_3gpuE5ELNS1_3repE0EEENS1_30default_config_static_selectorELNS0_4arch9wavefront6targetE0EEEvSK_
		.amdhsa_group_segment_fixed_size 33824
		.amdhsa_private_segment_fixed_size 100
		.amdhsa_kernarg_size 352
		.amdhsa_user_sgpr_count 2
		.amdhsa_user_sgpr_dispatch_ptr 0
		.amdhsa_user_sgpr_queue_ptr 0
		.amdhsa_user_sgpr_kernarg_segment_ptr 1
		.amdhsa_user_sgpr_dispatch_id 0
		.amdhsa_user_sgpr_private_segment_size 0
		.amdhsa_wavefront_size32 1
		.amdhsa_uses_dynamic_stack 0
		.amdhsa_enable_private_segment 1
		.amdhsa_system_sgpr_workgroup_id_x 1
		.amdhsa_system_sgpr_workgroup_id_y 1
		.amdhsa_system_sgpr_workgroup_id_z 0
		.amdhsa_system_sgpr_workgroup_info 0
		.amdhsa_system_vgpr_workitem_id 2
		.amdhsa_next_free_vgpr 248
		.amdhsa_next_free_sgpr 58
		.amdhsa_reserve_vcc 1
		.amdhsa_float_round_mode_32 0
		.amdhsa_float_round_mode_16_64 0
		.amdhsa_float_denorm_mode_32 3
		.amdhsa_float_denorm_mode_16_64 3
		.amdhsa_fp16_overflow 0
		.amdhsa_workgroup_processor_mode 1
		.amdhsa_memory_ordered 1
		.amdhsa_forward_progress 1
		.amdhsa_inst_pref_size 255
		.amdhsa_round_robin_scheduling 0
		.amdhsa_exception_fp_ieee_invalid_op 0
		.amdhsa_exception_fp_denorm_src 0
		.amdhsa_exception_fp_ieee_div_zero 0
		.amdhsa_exception_fp_ieee_overflow 0
		.amdhsa_exception_fp_ieee_underflow 0
		.amdhsa_exception_fp_ieee_inexact 0
		.amdhsa_exception_int_div_zero 0
	.end_amdhsa_kernel
	.section	.text._ZN7rocprim17ROCPRIM_400000_NS6detail17trampoline_kernelINS0_14default_configENS1_36segmented_radix_sort_config_selectorIflEEZNS1_25segmented_radix_sort_implIS3_Lb1EPKfPfPKlPlN2at6native12_GLOBAL__N_18offset_tEEE10hipError_tPvRmT1_PNSt15iterator_traitsISK_E10value_typeET2_T3_PNSL_ISQ_E10value_typeET4_jRbjT5_SW_jjP12ihipStream_tbEUlT_E_NS1_11comp_targetILNS1_3genE10ELNS1_11target_archE1201ELNS1_3gpuE5ELNS1_3repE0EEENS1_30default_config_static_selectorELNS0_4arch9wavefront6targetE0EEEvSK_,"axG",@progbits,_ZN7rocprim17ROCPRIM_400000_NS6detail17trampoline_kernelINS0_14default_configENS1_36segmented_radix_sort_config_selectorIflEEZNS1_25segmented_radix_sort_implIS3_Lb1EPKfPfPKlPlN2at6native12_GLOBAL__N_18offset_tEEE10hipError_tPvRmT1_PNSt15iterator_traitsISK_E10value_typeET2_T3_PNSL_ISQ_E10value_typeET4_jRbjT5_SW_jjP12ihipStream_tbEUlT_E_NS1_11comp_targetILNS1_3genE10ELNS1_11target_archE1201ELNS1_3gpuE5ELNS1_3repE0EEENS1_30default_config_static_selectorELNS0_4arch9wavefront6targetE0EEEvSK_,comdat
.Lfunc_end1331:
	.size	_ZN7rocprim17ROCPRIM_400000_NS6detail17trampoline_kernelINS0_14default_configENS1_36segmented_radix_sort_config_selectorIflEEZNS1_25segmented_radix_sort_implIS3_Lb1EPKfPfPKlPlN2at6native12_GLOBAL__N_18offset_tEEE10hipError_tPvRmT1_PNSt15iterator_traitsISK_E10value_typeET2_T3_PNSL_ISQ_E10value_typeET4_jRbjT5_SW_jjP12ihipStream_tbEUlT_E_NS1_11comp_targetILNS1_3genE10ELNS1_11target_archE1201ELNS1_3gpuE5ELNS1_3repE0EEENS1_30default_config_static_selectorELNS0_4arch9wavefront6targetE0EEEvSK_, .Lfunc_end1331-_ZN7rocprim17ROCPRIM_400000_NS6detail17trampoline_kernelINS0_14default_configENS1_36segmented_radix_sort_config_selectorIflEEZNS1_25segmented_radix_sort_implIS3_Lb1EPKfPfPKlPlN2at6native12_GLOBAL__N_18offset_tEEE10hipError_tPvRmT1_PNSt15iterator_traitsISK_E10value_typeET2_T3_PNSL_ISQ_E10value_typeET4_jRbjT5_SW_jjP12ihipStream_tbEUlT_E_NS1_11comp_targetILNS1_3genE10ELNS1_11target_archE1201ELNS1_3gpuE5ELNS1_3repE0EEENS1_30default_config_static_selectorELNS0_4arch9wavefront6targetE0EEEvSK_
                                        ; -- End function
	.set _ZN7rocprim17ROCPRIM_400000_NS6detail17trampoline_kernelINS0_14default_configENS1_36segmented_radix_sort_config_selectorIflEEZNS1_25segmented_radix_sort_implIS3_Lb1EPKfPfPKlPlN2at6native12_GLOBAL__N_18offset_tEEE10hipError_tPvRmT1_PNSt15iterator_traitsISK_E10value_typeET2_T3_PNSL_ISQ_E10value_typeET4_jRbjT5_SW_jjP12ihipStream_tbEUlT_E_NS1_11comp_targetILNS1_3genE10ELNS1_11target_archE1201ELNS1_3gpuE5ELNS1_3repE0EEENS1_30default_config_static_selectorELNS0_4arch9wavefront6targetE0EEEvSK_.num_vgpr, max(205, .L_ZN7rocprim17ROCPRIM_400000_NS6detail40segmented_radix_sort_single_block_helperIflLj256ELj16ELb1EE4sortIPKfPfPKlPlEEbT_T0_T1_T2_jjjjRNS3_12storage_typeE.num_vgpr)
	.set _ZN7rocprim17ROCPRIM_400000_NS6detail17trampoline_kernelINS0_14default_configENS1_36segmented_radix_sort_config_selectorIflEEZNS1_25segmented_radix_sort_implIS3_Lb1EPKfPfPKlPlN2at6native12_GLOBAL__N_18offset_tEEE10hipError_tPvRmT1_PNSt15iterator_traitsISK_E10value_typeET2_T3_PNSL_ISQ_E10value_typeET4_jRbjT5_SW_jjP12ihipStream_tbEUlT_E_NS1_11comp_targetILNS1_3genE10ELNS1_11target_archE1201ELNS1_3gpuE5ELNS1_3repE0EEENS1_30default_config_static_selectorELNS0_4arch9wavefront6targetE0EEEvSK_.num_agpr, max(0, .L_ZN7rocprim17ROCPRIM_400000_NS6detail40segmented_radix_sort_single_block_helperIflLj256ELj16ELb1EE4sortIPKfPfPKlPlEEbT_T0_T1_T2_jjjjRNS3_12storage_typeE.num_agpr)
	.set _ZN7rocprim17ROCPRIM_400000_NS6detail17trampoline_kernelINS0_14default_configENS1_36segmented_radix_sort_config_selectorIflEEZNS1_25segmented_radix_sort_implIS3_Lb1EPKfPfPKlPlN2at6native12_GLOBAL__N_18offset_tEEE10hipError_tPvRmT1_PNSt15iterator_traitsISK_E10value_typeET2_T3_PNSL_ISQ_E10value_typeET4_jRbjT5_SW_jjP12ihipStream_tbEUlT_E_NS1_11comp_targetILNS1_3genE10ELNS1_11target_archE1201ELNS1_3gpuE5ELNS1_3repE0EEENS1_30default_config_static_selectorELNS0_4arch9wavefront6targetE0EEEvSK_.numbered_sgpr, max(58, .L_ZN7rocprim17ROCPRIM_400000_NS6detail40segmented_radix_sort_single_block_helperIflLj256ELj16ELb1EE4sortIPKfPfPKlPlEEbT_T0_T1_T2_jjjjRNS3_12storage_typeE.numbered_sgpr)
	.set _ZN7rocprim17ROCPRIM_400000_NS6detail17trampoline_kernelINS0_14default_configENS1_36segmented_radix_sort_config_selectorIflEEZNS1_25segmented_radix_sort_implIS3_Lb1EPKfPfPKlPlN2at6native12_GLOBAL__N_18offset_tEEE10hipError_tPvRmT1_PNSt15iterator_traitsISK_E10value_typeET2_T3_PNSL_ISQ_E10value_typeET4_jRbjT5_SW_jjP12ihipStream_tbEUlT_E_NS1_11comp_targetILNS1_3genE10ELNS1_11target_archE1201ELNS1_3gpuE5ELNS1_3repE0EEENS1_30default_config_static_selectorELNS0_4arch9wavefront6targetE0EEEvSK_.num_named_barrier, max(0, .L_ZN7rocprim17ROCPRIM_400000_NS6detail40segmented_radix_sort_single_block_helperIflLj256ELj16ELb1EE4sortIPKfPfPKlPlEEbT_T0_T1_T2_jjjjRNS3_12storage_typeE.num_named_barrier)
	.set _ZN7rocprim17ROCPRIM_400000_NS6detail17trampoline_kernelINS0_14default_configENS1_36segmented_radix_sort_config_selectorIflEEZNS1_25segmented_radix_sort_implIS3_Lb1EPKfPfPKlPlN2at6native12_GLOBAL__N_18offset_tEEE10hipError_tPvRmT1_PNSt15iterator_traitsISK_E10value_typeET2_T3_PNSL_ISQ_E10value_typeET4_jRbjT5_SW_jjP12ihipStream_tbEUlT_E_NS1_11comp_targetILNS1_3genE10ELNS1_11target_archE1201ELNS1_3gpuE5ELNS1_3repE0EEENS1_30default_config_static_selectorELNS0_4arch9wavefront6targetE0EEEvSK_.private_seg_size, 0+max(.L_ZN7rocprim17ROCPRIM_400000_NS6detail40segmented_radix_sort_single_block_helperIflLj256ELj16ELb1EE4sortIPKfPfPKlPlEEbT_T0_T1_T2_jjjjRNS3_12storage_typeE.private_seg_size)
	.set _ZN7rocprim17ROCPRIM_400000_NS6detail17trampoline_kernelINS0_14default_configENS1_36segmented_radix_sort_config_selectorIflEEZNS1_25segmented_radix_sort_implIS3_Lb1EPKfPfPKlPlN2at6native12_GLOBAL__N_18offset_tEEE10hipError_tPvRmT1_PNSt15iterator_traitsISK_E10value_typeET2_T3_PNSL_ISQ_E10value_typeET4_jRbjT5_SW_jjP12ihipStream_tbEUlT_E_NS1_11comp_targetILNS1_3genE10ELNS1_11target_archE1201ELNS1_3gpuE5ELNS1_3repE0EEENS1_30default_config_static_selectorELNS0_4arch9wavefront6targetE0EEEvSK_.uses_vcc, or(1, .L_ZN7rocprim17ROCPRIM_400000_NS6detail40segmented_radix_sort_single_block_helperIflLj256ELj16ELb1EE4sortIPKfPfPKlPlEEbT_T0_T1_T2_jjjjRNS3_12storage_typeE.uses_vcc)
	.set _ZN7rocprim17ROCPRIM_400000_NS6detail17trampoline_kernelINS0_14default_configENS1_36segmented_radix_sort_config_selectorIflEEZNS1_25segmented_radix_sort_implIS3_Lb1EPKfPfPKlPlN2at6native12_GLOBAL__N_18offset_tEEE10hipError_tPvRmT1_PNSt15iterator_traitsISK_E10value_typeET2_T3_PNSL_ISQ_E10value_typeET4_jRbjT5_SW_jjP12ihipStream_tbEUlT_E_NS1_11comp_targetILNS1_3genE10ELNS1_11target_archE1201ELNS1_3gpuE5ELNS1_3repE0EEENS1_30default_config_static_selectorELNS0_4arch9wavefront6targetE0EEEvSK_.uses_flat_scratch, or(0, .L_ZN7rocprim17ROCPRIM_400000_NS6detail40segmented_radix_sort_single_block_helperIflLj256ELj16ELb1EE4sortIPKfPfPKlPlEEbT_T0_T1_T2_jjjjRNS3_12storage_typeE.uses_flat_scratch)
	.set _ZN7rocprim17ROCPRIM_400000_NS6detail17trampoline_kernelINS0_14default_configENS1_36segmented_radix_sort_config_selectorIflEEZNS1_25segmented_radix_sort_implIS3_Lb1EPKfPfPKlPlN2at6native12_GLOBAL__N_18offset_tEEE10hipError_tPvRmT1_PNSt15iterator_traitsISK_E10value_typeET2_T3_PNSL_ISQ_E10value_typeET4_jRbjT5_SW_jjP12ihipStream_tbEUlT_E_NS1_11comp_targetILNS1_3genE10ELNS1_11target_archE1201ELNS1_3gpuE5ELNS1_3repE0EEENS1_30default_config_static_selectorELNS0_4arch9wavefront6targetE0EEEvSK_.has_dyn_sized_stack, or(0, .L_ZN7rocprim17ROCPRIM_400000_NS6detail40segmented_radix_sort_single_block_helperIflLj256ELj16ELb1EE4sortIPKfPfPKlPlEEbT_T0_T1_T2_jjjjRNS3_12storage_typeE.has_dyn_sized_stack)
	.set _ZN7rocprim17ROCPRIM_400000_NS6detail17trampoline_kernelINS0_14default_configENS1_36segmented_radix_sort_config_selectorIflEEZNS1_25segmented_radix_sort_implIS3_Lb1EPKfPfPKlPlN2at6native12_GLOBAL__N_18offset_tEEE10hipError_tPvRmT1_PNSt15iterator_traitsISK_E10value_typeET2_T3_PNSL_ISQ_E10value_typeET4_jRbjT5_SW_jjP12ihipStream_tbEUlT_E_NS1_11comp_targetILNS1_3genE10ELNS1_11target_archE1201ELNS1_3gpuE5ELNS1_3repE0EEENS1_30default_config_static_selectorELNS0_4arch9wavefront6targetE0EEEvSK_.has_recursion, or(0, .L_ZN7rocprim17ROCPRIM_400000_NS6detail40segmented_radix_sort_single_block_helperIflLj256ELj16ELb1EE4sortIPKfPfPKlPlEEbT_T0_T1_T2_jjjjRNS3_12storage_typeE.has_recursion)
	.set _ZN7rocprim17ROCPRIM_400000_NS6detail17trampoline_kernelINS0_14default_configENS1_36segmented_radix_sort_config_selectorIflEEZNS1_25segmented_radix_sort_implIS3_Lb1EPKfPfPKlPlN2at6native12_GLOBAL__N_18offset_tEEE10hipError_tPvRmT1_PNSt15iterator_traitsISK_E10value_typeET2_T3_PNSL_ISQ_E10value_typeET4_jRbjT5_SW_jjP12ihipStream_tbEUlT_E_NS1_11comp_targetILNS1_3genE10ELNS1_11target_archE1201ELNS1_3gpuE5ELNS1_3repE0EEENS1_30default_config_static_selectorELNS0_4arch9wavefront6targetE0EEEvSK_.has_indirect_call, or(0, .L_ZN7rocprim17ROCPRIM_400000_NS6detail40segmented_radix_sort_single_block_helperIflLj256ELj16ELb1EE4sortIPKfPfPKlPlEEbT_T0_T1_T2_jjjjRNS3_12storage_typeE.has_indirect_call)
	.section	.AMDGPU.csdata,"",@progbits
; Kernel info:
; codeLenInByte = 85064
; TotalNumSgprs: 60
; NumVgprs: 248
; ScratchSize: 100
; MemoryBound: 0
; FloatMode: 240
; IeeeMode: 1
; LDSByteSize: 33824 bytes/workgroup (compile time only)
; SGPRBlocks: 0
; VGPRBlocks: 30
; NumSGPRsForWavesPerEU: 60
; NumVGPRsForWavesPerEU: 248
; Occupancy: 5
; WaveLimiterHint : 1
; COMPUTE_PGM_RSRC2:SCRATCH_EN: 1
; COMPUTE_PGM_RSRC2:USER_SGPR: 2
; COMPUTE_PGM_RSRC2:TRAP_HANDLER: 0
; COMPUTE_PGM_RSRC2:TGID_X_EN: 1
; COMPUTE_PGM_RSRC2:TGID_Y_EN: 1
; COMPUTE_PGM_RSRC2:TGID_Z_EN: 0
; COMPUTE_PGM_RSRC2:TIDIG_COMP_CNT: 2
	.section	.text._ZN7rocprim17ROCPRIM_400000_NS6detail17trampoline_kernelINS0_14default_configENS1_36segmented_radix_sort_config_selectorIflEEZNS1_25segmented_radix_sort_implIS3_Lb1EPKfPfPKlPlN2at6native12_GLOBAL__N_18offset_tEEE10hipError_tPvRmT1_PNSt15iterator_traitsISK_E10value_typeET2_T3_PNSL_ISQ_E10value_typeET4_jRbjT5_SW_jjP12ihipStream_tbEUlT_E_NS1_11comp_targetILNS1_3genE10ELNS1_11target_archE1200ELNS1_3gpuE4ELNS1_3repE0EEENS1_30default_config_static_selectorELNS0_4arch9wavefront6targetE0EEEvSK_,"axG",@progbits,_ZN7rocprim17ROCPRIM_400000_NS6detail17trampoline_kernelINS0_14default_configENS1_36segmented_radix_sort_config_selectorIflEEZNS1_25segmented_radix_sort_implIS3_Lb1EPKfPfPKlPlN2at6native12_GLOBAL__N_18offset_tEEE10hipError_tPvRmT1_PNSt15iterator_traitsISK_E10value_typeET2_T3_PNSL_ISQ_E10value_typeET4_jRbjT5_SW_jjP12ihipStream_tbEUlT_E_NS1_11comp_targetILNS1_3genE10ELNS1_11target_archE1200ELNS1_3gpuE4ELNS1_3repE0EEENS1_30default_config_static_selectorELNS0_4arch9wavefront6targetE0EEEvSK_,comdat
	.globl	_ZN7rocprim17ROCPRIM_400000_NS6detail17trampoline_kernelINS0_14default_configENS1_36segmented_radix_sort_config_selectorIflEEZNS1_25segmented_radix_sort_implIS3_Lb1EPKfPfPKlPlN2at6native12_GLOBAL__N_18offset_tEEE10hipError_tPvRmT1_PNSt15iterator_traitsISK_E10value_typeET2_T3_PNSL_ISQ_E10value_typeET4_jRbjT5_SW_jjP12ihipStream_tbEUlT_E_NS1_11comp_targetILNS1_3genE10ELNS1_11target_archE1200ELNS1_3gpuE4ELNS1_3repE0EEENS1_30default_config_static_selectorELNS0_4arch9wavefront6targetE0EEEvSK_ ; -- Begin function _ZN7rocprim17ROCPRIM_400000_NS6detail17trampoline_kernelINS0_14default_configENS1_36segmented_radix_sort_config_selectorIflEEZNS1_25segmented_radix_sort_implIS3_Lb1EPKfPfPKlPlN2at6native12_GLOBAL__N_18offset_tEEE10hipError_tPvRmT1_PNSt15iterator_traitsISK_E10value_typeET2_T3_PNSL_ISQ_E10value_typeET4_jRbjT5_SW_jjP12ihipStream_tbEUlT_E_NS1_11comp_targetILNS1_3genE10ELNS1_11target_archE1200ELNS1_3gpuE4ELNS1_3repE0EEENS1_30default_config_static_selectorELNS0_4arch9wavefront6targetE0EEEvSK_
	.p2align	8
	.type	_ZN7rocprim17ROCPRIM_400000_NS6detail17trampoline_kernelINS0_14default_configENS1_36segmented_radix_sort_config_selectorIflEEZNS1_25segmented_radix_sort_implIS3_Lb1EPKfPfPKlPlN2at6native12_GLOBAL__N_18offset_tEEE10hipError_tPvRmT1_PNSt15iterator_traitsISK_E10value_typeET2_T3_PNSL_ISQ_E10value_typeET4_jRbjT5_SW_jjP12ihipStream_tbEUlT_E_NS1_11comp_targetILNS1_3genE10ELNS1_11target_archE1200ELNS1_3gpuE4ELNS1_3repE0EEENS1_30default_config_static_selectorELNS0_4arch9wavefront6targetE0EEEvSK_,@function
_ZN7rocprim17ROCPRIM_400000_NS6detail17trampoline_kernelINS0_14default_configENS1_36segmented_radix_sort_config_selectorIflEEZNS1_25segmented_radix_sort_implIS3_Lb1EPKfPfPKlPlN2at6native12_GLOBAL__N_18offset_tEEE10hipError_tPvRmT1_PNSt15iterator_traitsISK_E10value_typeET2_T3_PNSL_ISQ_E10value_typeET4_jRbjT5_SW_jjP12ihipStream_tbEUlT_E_NS1_11comp_targetILNS1_3genE10ELNS1_11target_archE1200ELNS1_3gpuE4ELNS1_3repE0EEENS1_30default_config_static_selectorELNS0_4arch9wavefront6targetE0EEEvSK_: ; @_ZN7rocprim17ROCPRIM_400000_NS6detail17trampoline_kernelINS0_14default_configENS1_36segmented_radix_sort_config_selectorIflEEZNS1_25segmented_radix_sort_implIS3_Lb1EPKfPfPKlPlN2at6native12_GLOBAL__N_18offset_tEEE10hipError_tPvRmT1_PNSt15iterator_traitsISK_E10value_typeET2_T3_PNSL_ISQ_E10value_typeET4_jRbjT5_SW_jjP12ihipStream_tbEUlT_E_NS1_11comp_targetILNS1_3genE10ELNS1_11target_archE1200ELNS1_3gpuE4ELNS1_3repE0EEENS1_30default_config_static_selectorELNS0_4arch9wavefront6targetE0EEEvSK_
; %bb.0:
	.section	.rodata,"a",@progbits
	.p2align	6, 0x0
	.amdhsa_kernel _ZN7rocprim17ROCPRIM_400000_NS6detail17trampoline_kernelINS0_14default_configENS1_36segmented_radix_sort_config_selectorIflEEZNS1_25segmented_radix_sort_implIS3_Lb1EPKfPfPKlPlN2at6native12_GLOBAL__N_18offset_tEEE10hipError_tPvRmT1_PNSt15iterator_traitsISK_E10value_typeET2_T3_PNSL_ISQ_E10value_typeET4_jRbjT5_SW_jjP12ihipStream_tbEUlT_E_NS1_11comp_targetILNS1_3genE10ELNS1_11target_archE1200ELNS1_3gpuE4ELNS1_3repE0EEENS1_30default_config_static_selectorELNS0_4arch9wavefront6targetE0EEEvSK_
		.amdhsa_group_segment_fixed_size 0
		.amdhsa_private_segment_fixed_size 0
		.amdhsa_kernarg_size 96
		.amdhsa_user_sgpr_count 2
		.amdhsa_user_sgpr_dispatch_ptr 0
		.amdhsa_user_sgpr_queue_ptr 0
		.amdhsa_user_sgpr_kernarg_segment_ptr 1
		.amdhsa_user_sgpr_dispatch_id 0
		.amdhsa_user_sgpr_private_segment_size 0
		.amdhsa_wavefront_size32 1
		.amdhsa_uses_dynamic_stack 0
		.amdhsa_enable_private_segment 0
		.amdhsa_system_sgpr_workgroup_id_x 1
		.amdhsa_system_sgpr_workgroup_id_y 0
		.amdhsa_system_sgpr_workgroup_id_z 0
		.amdhsa_system_sgpr_workgroup_info 0
		.amdhsa_system_vgpr_workitem_id 0
		.amdhsa_next_free_vgpr 1
		.amdhsa_next_free_sgpr 1
		.amdhsa_reserve_vcc 0
		.amdhsa_float_round_mode_32 0
		.amdhsa_float_round_mode_16_64 0
		.amdhsa_float_denorm_mode_32 3
		.amdhsa_float_denorm_mode_16_64 3
		.amdhsa_fp16_overflow 0
		.amdhsa_workgroup_processor_mode 1
		.amdhsa_memory_ordered 1
		.amdhsa_forward_progress 1
		.amdhsa_inst_pref_size 0
		.amdhsa_round_robin_scheduling 0
		.amdhsa_exception_fp_ieee_invalid_op 0
		.amdhsa_exception_fp_denorm_src 0
		.amdhsa_exception_fp_ieee_div_zero 0
		.amdhsa_exception_fp_ieee_overflow 0
		.amdhsa_exception_fp_ieee_underflow 0
		.amdhsa_exception_fp_ieee_inexact 0
		.amdhsa_exception_int_div_zero 0
	.end_amdhsa_kernel
	.section	.text._ZN7rocprim17ROCPRIM_400000_NS6detail17trampoline_kernelINS0_14default_configENS1_36segmented_radix_sort_config_selectorIflEEZNS1_25segmented_radix_sort_implIS3_Lb1EPKfPfPKlPlN2at6native12_GLOBAL__N_18offset_tEEE10hipError_tPvRmT1_PNSt15iterator_traitsISK_E10value_typeET2_T3_PNSL_ISQ_E10value_typeET4_jRbjT5_SW_jjP12ihipStream_tbEUlT_E_NS1_11comp_targetILNS1_3genE10ELNS1_11target_archE1200ELNS1_3gpuE4ELNS1_3repE0EEENS1_30default_config_static_selectorELNS0_4arch9wavefront6targetE0EEEvSK_,"axG",@progbits,_ZN7rocprim17ROCPRIM_400000_NS6detail17trampoline_kernelINS0_14default_configENS1_36segmented_radix_sort_config_selectorIflEEZNS1_25segmented_radix_sort_implIS3_Lb1EPKfPfPKlPlN2at6native12_GLOBAL__N_18offset_tEEE10hipError_tPvRmT1_PNSt15iterator_traitsISK_E10value_typeET2_T3_PNSL_ISQ_E10value_typeET4_jRbjT5_SW_jjP12ihipStream_tbEUlT_E_NS1_11comp_targetILNS1_3genE10ELNS1_11target_archE1200ELNS1_3gpuE4ELNS1_3repE0EEENS1_30default_config_static_selectorELNS0_4arch9wavefront6targetE0EEEvSK_,comdat
.Lfunc_end1332:
	.size	_ZN7rocprim17ROCPRIM_400000_NS6detail17trampoline_kernelINS0_14default_configENS1_36segmented_radix_sort_config_selectorIflEEZNS1_25segmented_radix_sort_implIS3_Lb1EPKfPfPKlPlN2at6native12_GLOBAL__N_18offset_tEEE10hipError_tPvRmT1_PNSt15iterator_traitsISK_E10value_typeET2_T3_PNSL_ISQ_E10value_typeET4_jRbjT5_SW_jjP12ihipStream_tbEUlT_E_NS1_11comp_targetILNS1_3genE10ELNS1_11target_archE1200ELNS1_3gpuE4ELNS1_3repE0EEENS1_30default_config_static_selectorELNS0_4arch9wavefront6targetE0EEEvSK_, .Lfunc_end1332-_ZN7rocprim17ROCPRIM_400000_NS6detail17trampoline_kernelINS0_14default_configENS1_36segmented_radix_sort_config_selectorIflEEZNS1_25segmented_radix_sort_implIS3_Lb1EPKfPfPKlPlN2at6native12_GLOBAL__N_18offset_tEEE10hipError_tPvRmT1_PNSt15iterator_traitsISK_E10value_typeET2_T3_PNSL_ISQ_E10value_typeET4_jRbjT5_SW_jjP12ihipStream_tbEUlT_E_NS1_11comp_targetILNS1_3genE10ELNS1_11target_archE1200ELNS1_3gpuE4ELNS1_3repE0EEENS1_30default_config_static_selectorELNS0_4arch9wavefront6targetE0EEEvSK_
                                        ; -- End function
	.set _ZN7rocprim17ROCPRIM_400000_NS6detail17trampoline_kernelINS0_14default_configENS1_36segmented_radix_sort_config_selectorIflEEZNS1_25segmented_radix_sort_implIS3_Lb1EPKfPfPKlPlN2at6native12_GLOBAL__N_18offset_tEEE10hipError_tPvRmT1_PNSt15iterator_traitsISK_E10value_typeET2_T3_PNSL_ISQ_E10value_typeET4_jRbjT5_SW_jjP12ihipStream_tbEUlT_E_NS1_11comp_targetILNS1_3genE10ELNS1_11target_archE1200ELNS1_3gpuE4ELNS1_3repE0EEENS1_30default_config_static_selectorELNS0_4arch9wavefront6targetE0EEEvSK_.num_vgpr, 0
	.set _ZN7rocprim17ROCPRIM_400000_NS6detail17trampoline_kernelINS0_14default_configENS1_36segmented_radix_sort_config_selectorIflEEZNS1_25segmented_radix_sort_implIS3_Lb1EPKfPfPKlPlN2at6native12_GLOBAL__N_18offset_tEEE10hipError_tPvRmT1_PNSt15iterator_traitsISK_E10value_typeET2_T3_PNSL_ISQ_E10value_typeET4_jRbjT5_SW_jjP12ihipStream_tbEUlT_E_NS1_11comp_targetILNS1_3genE10ELNS1_11target_archE1200ELNS1_3gpuE4ELNS1_3repE0EEENS1_30default_config_static_selectorELNS0_4arch9wavefront6targetE0EEEvSK_.num_agpr, 0
	.set _ZN7rocprim17ROCPRIM_400000_NS6detail17trampoline_kernelINS0_14default_configENS1_36segmented_radix_sort_config_selectorIflEEZNS1_25segmented_radix_sort_implIS3_Lb1EPKfPfPKlPlN2at6native12_GLOBAL__N_18offset_tEEE10hipError_tPvRmT1_PNSt15iterator_traitsISK_E10value_typeET2_T3_PNSL_ISQ_E10value_typeET4_jRbjT5_SW_jjP12ihipStream_tbEUlT_E_NS1_11comp_targetILNS1_3genE10ELNS1_11target_archE1200ELNS1_3gpuE4ELNS1_3repE0EEENS1_30default_config_static_selectorELNS0_4arch9wavefront6targetE0EEEvSK_.numbered_sgpr, 0
	.set _ZN7rocprim17ROCPRIM_400000_NS6detail17trampoline_kernelINS0_14default_configENS1_36segmented_radix_sort_config_selectorIflEEZNS1_25segmented_radix_sort_implIS3_Lb1EPKfPfPKlPlN2at6native12_GLOBAL__N_18offset_tEEE10hipError_tPvRmT1_PNSt15iterator_traitsISK_E10value_typeET2_T3_PNSL_ISQ_E10value_typeET4_jRbjT5_SW_jjP12ihipStream_tbEUlT_E_NS1_11comp_targetILNS1_3genE10ELNS1_11target_archE1200ELNS1_3gpuE4ELNS1_3repE0EEENS1_30default_config_static_selectorELNS0_4arch9wavefront6targetE0EEEvSK_.num_named_barrier, 0
	.set _ZN7rocprim17ROCPRIM_400000_NS6detail17trampoline_kernelINS0_14default_configENS1_36segmented_radix_sort_config_selectorIflEEZNS1_25segmented_radix_sort_implIS3_Lb1EPKfPfPKlPlN2at6native12_GLOBAL__N_18offset_tEEE10hipError_tPvRmT1_PNSt15iterator_traitsISK_E10value_typeET2_T3_PNSL_ISQ_E10value_typeET4_jRbjT5_SW_jjP12ihipStream_tbEUlT_E_NS1_11comp_targetILNS1_3genE10ELNS1_11target_archE1200ELNS1_3gpuE4ELNS1_3repE0EEENS1_30default_config_static_selectorELNS0_4arch9wavefront6targetE0EEEvSK_.private_seg_size, 0
	.set _ZN7rocprim17ROCPRIM_400000_NS6detail17trampoline_kernelINS0_14default_configENS1_36segmented_radix_sort_config_selectorIflEEZNS1_25segmented_radix_sort_implIS3_Lb1EPKfPfPKlPlN2at6native12_GLOBAL__N_18offset_tEEE10hipError_tPvRmT1_PNSt15iterator_traitsISK_E10value_typeET2_T3_PNSL_ISQ_E10value_typeET4_jRbjT5_SW_jjP12ihipStream_tbEUlT_E_NS1_11comp_targetILNS1_3genE10ELNS1_11target_archE1200ELNS1_3gpuE4ELNS1_3repE0EEENS1_30default_config_static_selectorELNS0_4arch9wavefront6targetE0EEEvSK_.uses_vcc, 0
	.set _ZN7rocprim17ROCPRIM_400000_NS6detail17trampoline_kernelINS0_14default_configENS1_36segmented_radix_sort_config_selectorIflEEZNS1_25segmented_radix_sort_implIS3_Lb1EPKfPfPKlPlN2at6native12_GLOBAL__N_18offset_tEEE10hipError_tPvRmT1_PNSt15iterator_traitsISK_E10value_typeET2_T3_PNSL_ISQ_E10value_typeET4_jRbjT5_SW_jjP12ihipStream_tbEUlT_E_NS1_11comp_targetILNS1_3genE10ELNS1_11target_archE1200ELNS1_3gpuE4ELNS1_3repE0EEENS1_30default_config_static_selectorELNS0_4arch9wavefront6targetE0EEEvSK_.uses_flat_scratch, 0
	.set _ZN7rocprim17ROCPRIM_400000_NS6detail17trampoline_kernelINS0_14default_configENS1_36segmented_radix_sort_config_selectorIflEEZNS1_25segmented_radix_sort_implIS3_Lb1EPKfPfPKlPlN2at6native12_GLOBAL__N_18offset_tEEE10hipError_tPvRmT1_PNSt15iterator_traitsISK_E10value_typeET2_T3_PNSL_ISQ_E10value_typeET4_jRbjT5_SW_jjP12ihipStream_tbEUlT_E_NS1_11comp_targetILNS1_3genE10ELNS1_11target_archE1200ELNS1_3gpuE4ELNS1_3repE0EEENS1_30default_config_static_selectorELNS0_4arch9wavefront6targetE0EEEvSK_.has_dyn_sized_stack, 0
	.set _ZN7rocprim17ROCPRIM_400000_NS6detail17trampoline_kernelINS0_14default_configENS1_36segmented_radix_sort_config_selectorIflEEZNS1_25segmented_radix_sort_implIS3_Lb1EPKfPfPKlPlN2at6native12_GLOBAL__N_18offset_tEEE10hipError_tPvRmT1_PNSt15iterator_traitsISK_E10value_typeET2_T3_PNSL_ISQ_E10value_typeET4_jRbjT5_SW_jjP12ihipStream_tbEUlT_E_NS1_11comp_targetILNS1_3genE10ELNS1_11target_archE1200ELNS1_3gpuE4ELNS1_3repE0EEENS1_30default_config_static_selectorELNS0_4arch9wavefront6targetE0EEEvSK_.has_recursion, 0
	.set _ZN7rocprim17ROCPRIM_400000_NS6detail17trampoline_kernelINS0_14default_configENS1_36segmented_radix_sort_config_selectorIflEEZNS1_25segmented_radix_sort_implIS3_Lb1EPKfPfPKlPlN2at6native12_GLOBAL__N_18offset_tEEE10hipError_tPvRmT1_PNSt15iterator_traitsISK_E10value_typeET2_T3_PNSL_ISQ_E10value_typeET4_jRbjT5_SW_jjP12ihipStream_tbEUlT_E_NS1_11comp_targetILNS1_3genE10ELNS1_11target_archE1200ELNS1_3gpuE4ELNS1_3repE0EEENS1_30default_config_static_selectorELNS0_4arch9wavefront6targetE0EEEvSK_.has_indirect_call, 0
	.section	.AMDGPU.csdata,"",@progbits
; Kernel info:
; codeLenInByte = 0
; TotalNumSgprs: 0
; NumVgprs: 0
; ScratchSize: 0
; MemoryBound: 0
; FloatMode: 240
; IeeeMode: 1
; LDSByteSize: 0 bytes/workgroup (compile time only)
; SGPRBlocks: 0
; VGPRBlocks: 0
; NumSGPRsForWavesPerEU: 1
; NumVGPRsForWavesPerEU: 1
; Occupancy: 16
; WaveLimiterHint : 0
; COMPUTE_PGM_RSRC2:SCRATCH_EN: 0
; COMPUTE_PGM_RSRC2:USER_SGPR: 2
; COMPUTE_PGM_RSRC2:TRAP_HANDLER: 0
; COMPUTE_PGM_RSRC2:TGID_X_EN: 1
; COMPUTE_PGM_RSRC2:TGID_Y_EN: 0
; COMPUTE_PGM_RSRC2:TGID_Z_EN: 0
; COMPUTE_PGM_RSRC2:TIDIG_COMP_CNT: 0
	.section	.text._ZN7rocprim17ROCPRIM_400000_NS6detail17trampoline_kernelINS0_14default_configENS1_36segmented_radix_sort_config_selectorIflEEZNS1_25segmented_radix_sort_implIS3_Lb1EPKfPfPKlPlN2at6native12_GLOBAL__N_18offset_tEEE10hipError_tPvRmT1_PNSt15iterator_traitsISK_E10value_typeET2_T3_PNSL_ISQ_E10value_typeET4_jRbjT5_SW_jjP12ihipStream_tbEUlT_E_NS1_11comp_targetILNS1_3genE9ELNS1_11target_archE1100ELNS1_3gpuE3ELNS1_3repE0EEENS1_30default_config_static_selectorELNS0_4arch9wavefront6targetE0EEEvSK_,"axG",@progbits,_ZN7rocprim17ROCPRIM_400000_NS6detail17trampoline_kernelINS0_14default_configENS1_36segmented_radix_sort_config_selectorIflEEZNS1_25segmented_radix_sort_implIS3_Lb1EPKfPfPKlPlN2at6native12_GLOBAL__N_18offset_tEEE10hipError_tPvRmT1_PNSt15iterator_traitsISK_E10value_typeET2_T3_PNSL_ISQ_E10value_typeET4_jRbjT5_SW_jjP12ihipStream_tbEUlT_E_NS1_11comp_targetILNS1_3genE9ELNS1_11target_archE1100ELNS1_3gpuE3ELNS1_3repE0EEENS1_30default_config_static_selectorELNS0_4arch9wavefront6targetE0EEEvSK_,comdat
	.globl	_ZN7rocprim17ROCPRIM_400000_NS6detail17trampoline_kernelINS0_14default_configENS1_36segmented_radix_sort_config_selectorIflEEZNS1_25segmented_radix_sort_implIS3_Lb1EPKfPfPKlPlN2at6native12_GLOBAL__N_18offset_tEEE10hipError_tPvRmT1_PNSt15iterator_traitsISK_E10value_typeET2_T3_PNSL_ISQ_E10value_typeET4_jRbjT5_SW_jjP12ihipStream_tbEUlT_E_NS1_11comp_targetILNS1_3genE9ELNS1_11target_archE1100ELNS1_3gpuE3ELNS1_3repE0EEENS1_30default_config_static_selectorELNS0_4arch9wavefront6targetE0EEEvSK_ ; -- Begin function _ZN7rocprim17ROCPRIM_400000_NS6detail17trampoline_kernelINS0_14default_configENS1_36segmented_radix_sort_config_selectorIflEEZNS1_25segmented_radix_sort_implIS3_Lb1EPKfPfPKlPlN2at6native12_GLOBAL__N_18offset_tEEE10hipError_tPvRmT1_PNSt15iterator_traitsISK_E10value_typeET2_T3_PNSL_ISQ_E10value_typeET4_jRbjT5_SW_jjP12ihipStream_tbEUlT_E_NS1_11comp_targetILNS1_3genE9ELNS1_11target_archE1100ELNS1_3gpuE3ELNS1_3repE0EEENS1_30default_config_static_selectorELNS0_4arch9wavefront6targetE0EEEvSK_
	.p2align	8
	.type	_ZN7rocprim17ROCPRIM_400000_NS6detail17trampoline_kernelINS0_14default_configENS1_36segmented_radix_sort_config_selectorIflEEZNS1_25segmented_radix_sort_implIS3_Lb1EPKfPfPKlPlN2at6native12_GLOBAL__N_18offset_tEEE10hipError_tPvRmT1_PNSt15iterator_traitsISK_E10value_typeET2_T3_PNSL_ISQ_E10value_typeET4_jRbjT5_SW_jjP12ihipStream_tbEUlT_E_NS1_11comp_targetILNS1_3genE9ELNS1_11target_archE1100ELNS1_3gpuE3ELNS1_3repE0EEENS1_30default_config_static_selectorELNS0_4arch9wavefront6targetE0EEEvSK_,@function
_ZN7rocprim17ROCPRIM_400000_NS6detail17trampoline_kernelINS0_14default_configENS1_36segmented_radix_sort_config_selectorIflEEZNS1_25segmented_radix_sort_implIS3_Lb1EPKfPfPKlPlN2at6native12_GLOBAL__N_18offset_tEEE10hipError_tPvRmT1_PNSt15iterator_traitsISK_E10value_typeET2_T3_PNSL_ISQ_E10value_typeET4_jRbjT5_SW_jjP12ihipStream_tbEUlT_E_NS1_11comp_targetILNS1_3genE9ELNS1_11target_archE1100ELNS1_3gpuE3ELNS1_3repE0EEENS1_30default_config_static_selectorELNS0_4arch9wavefront6targetE0EEEvSK_: ; @_ZN7rocprim17ROCPRIM_400000_NS6detail17trampoline_kernelINS0_14default_configENS1_36segmented_radix_sort_config_selectorIflEEZNS1_25segmented_radix_sort_implIS3_Lb1EPKfPfPKlPlN2at6native12_GLOBAL__N_18offset_tEEE10hipError_tPvRmT1_PNSt15iterator_traitsISK_E10value_typeET2_T3_PNSL_ISQ_E10value_typeET4_jRbjT5_SW_jjP12ihipStream_tbEUlT_E_NS1_11comp_targetILNS1_3genE9ELNS1_11target_archE1100ELNS1_3gpuE3ELNS1_3repE0EEENS1_30default_config_static_selectorELNS0_4arch9wavefront6targetE0EEEvSK_
; %bb.0:
	.section	.rodata,"a",@progbits
	.p2align	6, 0x0
	.amdhsa_kernel _ZN7rocprim17ROCPRIM_400000_NS6detail17trampoline_kernelINS0_14default_configENS1_36segmented_radix_sort_config_selectorIflEEZNS1_25segmented_radix_sort_implIS3_Lb1EPKfPfPKlPlN2at6native12_GLOBAL__N_18offset_tEEE10hipError_tPvRmT1_PNSt15iterator_traitsISK_E10value_typeET2_T3_PNSL_ISQ_E10value_typeET4_jRbjT5_SW_jjP12ihipStream_tbEUlT_E_NS1_11comp_targetILNS1_3genE9ELNS1_11target_archE1100ELNS1_3gpuE3ELNS1_3repE0EEENS1_30default_config_static_selectorELNS0_4arch9wavefront6targetE0EEEvSK_
		.amdhsa_group_segment_fixed_size 0
		.amdhsa_private_segment_fixed_size 0
		.amdhsa_kernarg_size 96
		.amdhsa_user_sgpr_count 2
		.amdhsa_user_sgpr_dispatch_ptr 0
		.amdhsa_user_sgpr_queue_ptr 0
		.amdhsa_user_sgpr_kernarg_segment_ptr 1
		.amdhsa_user_sgpr_dispatch_id 0
		.amdhsa_user_sgpr_private_segment_size 0
		.amdhsa_wavefront_size32 1
		.amdhsa_uses_dynamic_stack 0
		.amdhsa_enable_private_segment 0
		.amdhsa_system_sgpr_workgroup_id_x 1
		.amdhsa_system_sgpr_workgroup_id_y 0
		.amdhsa_system_sgpr_workgroup_id_z 0
		.amdhsa_system_sgpr_workgroup_info 0
		.amdhsa_system_vgpr_workitem_id 0
		.amdhsa_next_free_vgpr 1
		.amdhsa_next_free_sgpr 1
		.amdhsa_reserve_vcc 0
		.amdhsa_float_round_mode_32 0
		.amdhsa_float_round_mode_16_64 0
		.amdhsa_float_denorm_mode_32 3
		.amdhsa_float_denorm_mode_16_64 3
		.amdhsa_fp16_overflow 0
		.amdhsa_workgroup_processor_mode 1
		.amdhsa_memory_ordered 1
		.amdhsa_forward_progress 1
		.amdhsa_inst_pref_size 0
		.amdhsa_round_robin_scheduling 0
		.amdhsa_exception_fp_ieee_invalid_op 0
		.amdhsa_exception_fp_denorm_src 0
		.amdhsa_exception_fp_ieee_div_zero 0
		.amdhsa_exception_fp_ieee_overflow 0
		.amdhsa_exception_fp_ieee_underflow 0
		.amdhsa_exception_fp_ieee_inexact 0
		.amdhsa_exception_int_div_zero 0
	.end_amdhsa_kernel
	.section	.text._ZN7rocprim17ROCPRIM_400000_NS6detail17trampoline_kernelINS0_14default_configENS1_36segmented_radix_sort_config_selectorIflEEZNS1_25segmented_radix_sort_implIS3_Lb1EPKfPfPKlPlN2at6native12_GLOBAL__N_18offset_tEEE10hipError_tPvRmT1_PNSt15iterator_traitsISK_E10value_typeET2_T3_PNSL_ISQ_E10value_typeET4_jRbjT5_SW_jjP12ihipStream_tbEUlT_E_NS1_11comp_targetILNS1_3genE9ELNS1_11target_archE1100ELNS1_3gpuE3ELNS1_3repE0EEENS1_30default_config_static_selectorELNS0_4arch9wavefront6targetE0EEEvSK_,"axG",@progbits,_ZN7rocprim17ROCPRIM_400000_NS6detail17trampoline_kernelINS0_14default_configENS1_36segmented_radix_sort_config_selectorIflEEZNS1_25segmented_radix_sort_implIS3_Lb1EPKfPfPKlPlN2at6native12_GLOBAL__N_18offset_tEEE10hipError_tPvRmT1_PNSt15iterator_traitsISK_E10value_typeET2_T3_PNSL_ISQ_E10value_typeET4_jRbjT5_SW_jjP12ihipStream_tbEUlT_E_NS1_11comp_targetILNS1_3genE9ELNS1_11target_archE1100ELNS1_3gpuE3ELNS1_3repE0EEENS1_30default_config_static_selectorELNS0_4arch9wavefront6targetE0EEEvSK_,comdat
.Lfunc_end1333:
	.size	_ZN7rocprim17ROCPRIM_400000_NS6detail17trampoline_kernelINS0_14default_configENS1_36segmented_radix_sort_config_selectorIflEEZNS1_25segmented_radix_sort_implIS3_Lb1EPKfPfPKlPlN2at6native12_GLOBAL__N_18offset_tEEE10hipError_tPvRmT1_PNSt15iterator_traitsISK_E10value_typeET2_T3_PNSL_ISQ_E10value_typeET4_jRbjT5_SW_jjP12ihipStream_tbEUlT_E_NS1_11comp_targetILNS1_3genE9ELNS1_11target_archE1100ELNS1_3gpuE3ELNS1_3repE0EEENS1_30default_config_static_selectorELNS0_4arch9wavefront6targetE0EEEvSK_, .Lfunc_end1333-_ZN7rocprim17ROCPRIM_400000_NS6detail17trampoline_kernelINS0_14default_configENS1_36segmented_radix_sort_config_selectorIflEEZNS1_25segmented_radix_sort_implIS3_Lb1EPKfPfPKlPlN2at6native12_GLOBAL__N_18offset_tEEE10hipError_tPvRmT1_PNSt15iterator_traitsISK_E10value_typeET2_T3_PNSL_ISQ_E10value_typeET4_jRbjT5_SW_jjP12ihipStream_tbEUlT_E_NS1_11comp_targetILNS1_3genE9ELNS1_11target_archE1100ELNS1_3gpuE3ELNS1_3repE0EEENS1_30default_config_static_selectorELNS0_4arch9wavefront6targetE0EEEvSK_
                                        ; -- End function
	.set _ZN7rocprim17ROCPRIM_400000_NS6detail17trampoline_kernelINS0_14default_configENS1_36segmented_radix_sort_config_selectorIflEEZNS1_25segmented_radix_sort_implIS3_Lb1EPKfPfPKlPlN2at6native12_GLOBAL__N_18offset_tEEE10hipError_tPvRmT1_PNSt15iterator_traitsISK_E10value_typeET2_T3_PNSL_ISQ_E10value_typeET4_jRbjT5_SW_jjP12ihipStream_tbEUlT_E_NS1_11comp_targetILNS1_3genE9ELNS1_11target_archE1100ELNS1_3gpuE3ELNS1_3repE0EEENS1_30default_config_static_selectorELNS0_4arch9wavefront6targetE0EEEvSK_.num_vgpr, 0
	.set _ZN7rocprim17ROCPRIM_400000_NS6detail17trampoline_kernelINS0_14default_configENS1_36segmented_radix_sort_config_selectorIflEEZNS1_25segmented_radix_sort_implIS3_Lb1EPKfPfPKlPlN2at6native12_GLOBAL__N_18offset_tEEE10hipError_tPvRmT1_PNSt15iterator_traitsISK_E10value_typeET2_T3_PNSL_ISQ_E10value_typeET4_jRbjT5_SW_jjP12ihipStream_tbEUlT_E_NS1_11comp_targetILNS1_3genE9ELNS1_11target_archE1100ELNS1_3gpuE3ELNS1_3repE0EEENS1_30default_config_static_selectorELNS0_4arch9wavefront6targetE0EEEvSK_.num_agpr, 0
	.set _ZN7rocprim17ROCPRIM_400000_NS6detail17trampoline_kernelINS0_14default_configENS1_36segmented_radix_sort_config_selectorIflEEZNS1_25segmented_radix_sort_implIS3_Lb1EPKfPfPKlPlN2at6native12_GLOBAL__N_18offset_tEEE10hipError_tPvRmT1_PNSt15iterator_traitsISK_E10value_typeET2_T3_PNSL_ISQ_E10value_typeET4_jRbjT5_SW_jjP12ihipStream_tbEUlT_E_NS1_11comp_targetILNS1_3genE9ELNS1_11target_archE1100ELNS1_3gpuE3ELNS1_3repE0EEENS1_30default_config_static_selectorELNS0_4arch9wavefront6targetE0EEEvSK_.numbered_sgpr, 0
	.set _ZN7rocprim17ROCPRIM_400000_NS6detail17trampoline_kernelINS0_14default_configENS1_36segmented_radix_sort_config_selectorIflEEZNS1_25segmented_radix_sort_implIS3_Lb1EPKfPfPKlPlN2at6native12_GLOBAL__N_18offset_tEEE10hipError_tPvRmT1_PNSt15iterator_traitsISK_E10value_typeET2_T3_PNSL_ISQ_E10value_typeET4_jRbjT5_SW_jjP12ihipStream_tbEUlT_E_NS1_11comp_targetILNS1_3genE9ELNS1_11target_archE1100ELNS1_3gpuE3ELNS1_3repE0EEENS1_30default_config_static_selectorELNS0_4arch9wavefront6targetE0EEEvSK_.num_named_barrier, 0
	.set _ZN7rocprim17ROCPRIM_400000_NS6detail17trampoline_kernelINS0_14default_configENS1_36segmented_radix_sort_config_selectorIflEEZNS1_25segmented_radix_sort_implIS3_Lb1EPKfPfPKlPlN2at6native12_GLOBAL__N_18offset_tEEE10hipError_tPvRmT1_PNSt15iterator_traitsISK_E10value_typeET2_T3_PNSL_ISQ_E10value_typeET4_jRbjT5_SW_jjP12ihipStream_tbEUlT_E_NS1_11comp_targetILNS1_3genE9ELNS1_11target_archE1100ELNS1_3gpuE3ELNS1_3repE0EEENS1_30default_config_static_selectorELNS0_4arch9wavefront6targetE0EEEvSK_.private_seg_size, 0
	.set _ZN7rocprim17ROCPRIM_400000_NS6detail17trampoline_kernelINS0_14default_configENS1_36segmented_radix_sort_config_selectorIflEEZNS1_25segmented_radix_sort_implIS3_Lb1EPKfPfPKlPlN2at6native12_GLOBAL__N_18offset_tEEE10hipError_tPvRmT1_PNSt15iterator_traitsISK_E10value_typeET2_T3_PNSL_ISQ_E10value_typeET4_jRbjT5_SW_jjP12ihipStream_tbEUlT_E_NS1_11comp_targetILNS1_3genE9ELNS1_11target_archE1100ELNS1_3gpuE3ELNS1_3repE0EEENS1_30default_config_static_selectorELNS0_4arch9wavefront6targetE0EEEvSK_.uses_vcc, 0
	.set _ZN7rocprim17ROCPRIM_400000_NS6detail17trampoline_kernelINS0_14default_configENS1_36segmented_radix_sort_config_selectorIflEEZNS1_25segmented_radix_sort_implIS3_Lb1EPKfPfPKlPlN2at6native12_GLOBAL__N_18offset_tEEE10hipError_tPvRmT1_PNSt15iterator_traitsISK_E10value_typeET2_T3_PNSL_ISQ_E10value_typeET4_jRbjT5_SW_jjP12ihipStream_tbEUlT_E_NS1_11comp_targetILNS1_3genE9ELNS1_11target_archE1100ELNS1_3gpuE3ELNS1_3repE0EEENS1_30default_config_static_selectorELNS0_4arch9wavefront6targetE0EEEvSK_.uses_flat_scratch, 0
	.set _ZN7rocprim17ROCPRIM_400000_NS6detail17trampoline_kernelINS0_14default_configENS1_36segmented_radix_sort_config_selectorIflEEZNS1_25segmented_radix_sort_implIS3_Lb1EPKfPfPKlPlN2at6native12_GLOBAL__N_18offset_tEEE10hipError_tPvRmT1_PNSt15iterator_traitsISK_E10value_typeET2_T3_PNSL_ISQ_E10value_typeET4_jRbjT5_SW_jjP12ihipStream_tbEUlT_E_NS1_11comp_targetILNS1_3genE9ELNS1_11target_archE1100ELNS1_3gpuE3ELNS1_3repE0EEENS1_30default_config_static_selectorELNS0_4arch9wavefront6targetE0EEEvSK_.has_dyn_sized_stack, 0
	.set _ZN7rocprim17ROCPRIM_400000_NS6detail17trampoline_kernelINS0_14default_configENS1_36segmented_radix_sort_config_selectorIflEEZNS1_25segmented_radix_sort_implIS3_Lb1EPKfPfPKlPlN2at6native12_GLOBAL__N_18offset_tEEE10hipError_tPvRmT1_PNSt15iterator_traitsISK_E10value_typeET2_T3_PNSL_ISQ_E10value_typeET4_jRbjT5_SW_jjP12ihipStream_tbEUlT_E_NS1_11comp_targetILNS1_3genE9ELNS1_11target_archE1100ELNS1_3gpuE3ELNS1_3repE0EEENS1_30default_config_static_selectorELNS0_4arch9wavefront6targetE0EEEvSK_.has_recursion, 0
	.set _ZN7rocprim17ROCPRIM_400000_NS6detail17trampoline_kernelINS0_14default_configENS1_36segmented_radix_sort_config_selectorIflEEZNS1_25segmented_radix_sort_implIS3_Lb1EPKfPfPKlPlN2at6native12_GLOBAL__N_18offset_tEEE10hipError_tPvRmT1_PNSt15iterator_traitsISK_E10value_typeET2_T3_PNSL_ISQ_E10value_typeET4_jRbjT5_SW_jjP12ihipStream_tbEUlT_E_NS1_11comp_targetILNS1_3genE9ELNS1_11target_archE1100ELNS1_3gpuE3ELNS1_3repE0EEENS1_30default_config_static_selectorELNS0_4arch9wavefront6targetE0EEEvSK_.has_indirect_call, 0
	.section	.AMDGPU.csdata,"",@progbits
; Kernel info:
; codeLenInByte = 0
; TotalNumSgprs: 0
; NumVgprs: 0
; ScratchSize: 0
; MemoryBound: 0
; FloatMode: 240
; IeeeMode: 1
; LDSByteSize: 0 bytes/workgroup (compile time only)
; SGPRBlocks: 0
; VGPRBlocks: 0
; NumSGPRsForWavesPerEU: 1
; NumVGPRsForWavesPerEU: 1
; Occupancy: 16
; WaveLimiterHint : 0
; COMPUTE_PGM_RSRC2:SCRATCH_EN: 0
; COMPUTE_PGM_RSRC2:USER_SGPR: 2
; COMPUTE_PGM_RSRC2:TRAP_HANDLER: 0
; COMPUTE_PGM_RSRC2:TGID_X_EN: 1
; COMPUTE_PGM_RSRC2:TGID_Y_EN: 0
; COMPUTE_PGM_RSRC2:TGID_Z_EN: 0
; COMPUTE_PGM_RSRC2:TIDIG_COMP_CNT: 0
	.section	.text._ZN7rocprim17ROCPRIM_400000_NS6detail17trampoline_kernelINS0_14default_configENS1_36segmented_radix_sort_config_selectorIflEEZNS1_25segmented_radix_sort_implIS3_Lb1EPKfPfPKlPlN2at6native12_GLOBAL__N_18offset_tEEE10hipError_tPvRmT1_PNSt15iterator_traitsISK_E10value_typeET2_T3_PNSL_ISQ_E10value_typeET4_jRbjT5_SW_jjP12ihipStream_tbEUlT_E_NS1_11comp_targetILNS1_3genE8ELNS1_11target_archE1030ELNS1_3gpuE2ELNS1_3repE0EEENS1_30default_config_static_selectorELNS0_4arch9wavefront6targetE0EEEvSK_,"axG",@progbits,_ZN7rocprim17ROCPRIM_400000_NS6detail17trampoline_kernelINS0_14default_configENS1_36segmented_radix_sort_config_selectorIflEEZNS1_25segmented_radix_sort_implIS3_Lb1EPKfPfPKlPlN2at6native12_GLOBAL__N_18offset_tEEE10hipError_tPvRmT1_PNSt15iterator_traitsISK_E10value_typeET2_T3_PNSL_ISQ_E10value_typeET4_jRbjT5_SW_jjP12ihipStream_tbEUlT_E_NS1_11comp_targetILNS1_3genE8ELNS1_11target_archE1030ELNS1_3gpuE2ELNS1_3repE0EEENS1_30default_config_static_selectorELNS0_4arch9wavefront6targetE0EEEvSK_,comdat
	.globl	_ZN7rocprim17ROCPRIM_400000_NS6detail17trampoline_kernelINS0_14default_configENS1_36segmented_radix_sort_config_selectorIflEEZNS1_25segmented_radix_sort_implIS3_Lb1EPKfPfPKlPlN2at6native12_GLOBAL__N_18offset_tEEE10hipError_tPvRmT1_PNSt15iterator_traitsISK_E10value_typeET2_T3_PNSL_ISQ_E10value_typeET4_jRbjT5_SW_jjP12ihipStream_tbEUlT_E_NS1_11comp_targetILNS1_3genE8ELNS1_11target_archE1030ELNS1_3gpuE2ELNS1_3repE0EEENS1_30default_config_static_selectorELNS0_4arch9wavefront6targetE0EEEvSK_ ; -- Begin function _ZN7rocprim17ROCPRIM_400000_NS6detail17trampoline_kernelINS0_14default_configENS1_36segmented_radix_sort_config_selectorIflEEZNS1_25segmented_radix_sort_implIS3_Lb1EPKfPfPKlPlN2at6native12_GLOBAL__N_18offset_tEEE10hipError_tPvRmT1_PNSt15iterator_traitsISK_E10value_typeET2_T3_PNSL_ISQ_E10value_typeET4_jRbjT5_SW_jjP12ihipStream_tbEUlT_E_NS1_11comp_targetILNS1_3genE8ELNS1_11target_archE1030ELNS1_3gpuE2ELNS1_3repE0EEENS1_30default_config_static_selectorELNS0_4arch9wavefront6targetE0EEEvSK_
	.p2align	8
	.type	_ZN7rocprim17ROCPRIM_400000_NS6detail17trampoline_kernelINS0_14default_configENS1_36segmented_radix_sort_config_selectorIflEEZNS1_25segmented_radix_sort_implIS3_Lb1EPKfPfPKlPlN2at6native12_GLOBAL__N_18offset_tEEE10hipError_tPvRmT1_PNSt15iterator_traitsISK_E10value_typeET2_T3_PNSL_ISQ_E10value_typeET4_jRbjT5_SW_jjP12ihipStream_tbEUlT_E_NS1_11comp_targetILNS1_3genE8ELNS1_11target_archE1030ELNS1_3gpuE2ELNS1_3repE0EEENS1_30default_config_static_selectorELNS0_4arch9wavefront6targetE0EEEvSK_,@function
_ZN7rocprim17ROCPRIM_400000_NS6detail17trampoline_kernelINS0_14default_configENS1_36segmented_radix_sort_config_selectorIflEEZNS1_25segmented_radix_sort_implIS3_Lb1EPKfPfPKlPlN2at6native12_GLOBAL__N_18offset_tEEE10hipError_tPvRmT1_PNSt15iterator_traitsISK_E10value_typeET2_T3_PNSL_ISQ_E10value_typeET4_jRbjT5_SW_jjP12ihipStream_tbEUlT_E_NS1_11comp_targetILNS1_3genE8ELNS1_11target_archE1030ELNS1_3gpuE2ELNS1_3repE0EEENS1_30default_config_static_selectorELNS0_4arch9wavefront6targetE0EEEvSK_: ; @_ZN7rocprim17ROCPRIM_400000_NS6detail17trampoline_kernelINS0_14default_configENS1_36segmented_radix_sort_config_selectorIflEEZNS1_25segmented_radix_sort_implIS3_Lb1EPKfPfPKlPlN2at6native12_GLOBAL__N_18offset_tEEE10hipError_tPvRmT1_PNSt15iterator_traitsISK_E10value_typeET2_T3_PNSL_ISQ_E10value_typeET4_jRbjT5_SW_jjP12ihipStream_tbEUlT_E_NS1_11comp_targetILNS1_3genE8ELNS1_11target_archE1030ELNS1_3gpuE2ELNS1_3repE0EEENS1_30default_config_static_selectorELNS0_4arch9wavefront6targetE0EEEvSK_
; %bb.0:
	.section	.rodata,"a",@progbits
	.p2align	6, 0x0
	.amdhsa_kernel _ZN7rocprim17ROCPRIM_400000_NS6detail17trampoline_kernelINS0_14default_configENS1_36segmented_radix_sort_config_selectorIflEEZNS1_25segmented_radix_sort_implIS3_Lb1EPKfPfPKlPlN2at6native12_GLOBAL__N_18offset_tEEE10hipError_tPvRmT1_PNSt15iterator_traitsISK_E10value_typeET2_T3_PNSL_ISQ_E10value_typeET4_jRbjT5_SW_jjP12ihipStream_tbEUlT_E_NS1_11comp_targetILNS1_3genE8ELNS1_11target_archE1030ELNS1_3gpuE2ELNS1_3repE0EEENS1_30default_config_static_selectorELNS0_4arch9wavefront6targetE0EEEvSK_
		.amdhsa_group_segment_fixed_size 0
		.amdhsa_private_segment_fixed_size 0
		.amdhsa_kernarg_size 96
		.amdhsa_user_sgpr_count 2
		.amdhsa_user_sgpr_dispatch_ptr 0
		.amdhsa_user_sgpr_queue_ptr 0
		.amdhsa_user_sgpr_kernarg_segment_ptr 1
		.amdhsa_user_sgpr_dispatch_id 0
		.amdhsa_user_sgpr_private_segment_size 0
		.amdhsa_wavefront_size32 1
		.amdhsa_uses_dynamic_stack 0
		.amdhsa_enable_private_segment 0
		.amdhsa_system_sgpr_workgroup_id_x 1
		.amdhsa_system_sgpr_workgroup_id_y 0
		.amdhsa_system_sgpr_workgroup_id_z 0
		.amdhsa_system_sgpr_workgroup_info 0
		.amdhsa_system_vgpr_workitem_id 0
		.amdhsa_next_free_vgpr 1
		.amdhsa_next_free_sgpr 1
		.amdhsa_reserve_vcc 0
		.amdhsa_float_round_mode_32 0
		.amdhsa_float_round_mode_16_64 0
		.amdhsa_float_denorm_mode_32 3
		.amdhsa_float_denorm_mode_16_64 3
		.amdhsa_fp16_overflow 0
		.amdhsa_workgroup_processor_mode 1
		.amdhsa_memory_ordered 1
		.amdhsa_forward_progress 1
		.amdhsa_inst_pref_size 0
		.amdhsa_round_robin_scheduling 0
		.amdhsa_exception_fp_ieee_invalid_op 0
		.amdhsa_exception_fp_denorm_src 0
		.amdhsa_exception_fp_ieee_div_zero 0
		.amdhsa_exception_fp_ieee_overflow 0
		.amdhsa_exception_fp_ieee_underflow 0
		.amdhsa_exception_fp_ieee_inexact 0
		.amdhsa_exception_int_div_zero 0
	.end_amdhsa_kernel
	.section	.text._ZN7rocprim17ROCPRIM_400000_NS6detail17trampoline_kernelINS0_14default_configENS1_36segmented_radix_sort_config_selectorIflEEZNS1_25segmented_radix_sort_implIS3_Lb1EPKfPfPKlPlN2at6native12_GLOBAL__N_18offset_tEEE10hipError_tPvRmT1_PNSt15iterator_traitsISK_E10value_typeET2_T3_PNSL_ISQ_E10value_typeET4_jRbjT5_SW_jjP12ihipStream_tbEUlT_E_NS1_11comp_targetILNS1_3genE8ELNS1_11target_archE1030ELNS1_3gpuE2ELNS1_3repE0EEENS1_30default_config_static_selectorELNS0_4arch9wavefront6targetE0EEEvSK_,"axG",@progbits,_ZN7rocprim17ROCPRIM_400000_NS6detail17trampoline_kernelINS0_14default_configENS1_36segmented_radix_sort_config_selectorIflEEZNS1_25segmented_radix_sort_implIS3_Lb1EPKfPfPKlPlN2at6native12_GLOBAL__N_18offset_tEEE10hipError_tPvRmT1_PNSt15iterator_traitsISK_E10value_typeET2_T3_PNSL_ISQ_E10value_typeET4_jRbjT5_SW_jjP12ihipStream_tbEUlT_E_NS1_11comp_targetILNS1_3genE8ELNS1_11target_archE1030ELNS1_3gpuE2ELNS1_3repE0EEENS1_30default_config_static_selectorELNS0_4arch9wavefront6targetE0EEEvSK_,comdat
.Lfunc_end1334:
	.size	_ZN7rocprim17ROCPRIM_400000_NS6detail17trampoline_kernelINS0_14default_configENS1_36segmented_radix_sort_config_selectorIflEEZNS1_25segmented_radix_sort_implIS3_Lb1EPKfPfPKlPlN2at6native12_GLOBAL__N_18offset_tEEE10hipError_tPvRmT1_PNSt15iterator_traitsISK_E10value_typeET2_T3_PNSL_ISQ_E10value_typeET4_jRbjT5_SW_jjP12ihipStream_tbEUlT_E_NS1_11comp_targetILNS1_3genE8ELNS1_11target_archE1030ELNS1_3gpuE2ELNS1_3repE0EEENS1_30default_config_static_selectorELNS0_4arch9wavefront6targetE0EEEvSK_, .Lfunc_end1334-_ZN7rocprim17ROCPRIM_400000_NS6detail17trampoline_kernelINS0_14default_configENS1_36segmented_radix_sort_config_selectorIflEEZNS1_25segmented_radix_sort_implIS3_Lb1EPKfPfPKlPlN2at6native12_GLOBAL__N_18offset_tEEE10hipError_tPvRmT1_PNSt15iterator_traitsISK_E10value_typeET2_T3_PNSL_ISQ_E10value_typeET4_jRbjT5_SW_jjP12ihipStream_tbEUlT_E_NS1_11comp_targetILNS1_3genE8ELNS1_11target_archE1030ELNS1_3gpuE2ELNS1_3repE0EEENS1_30default_config_static_selectorELNS0_4arch9wavefront6targetE0EEEvSK_
                                        ; -- End function
	.set _ZN7rocprim17ROCPRIM_400000_NS6detail17trampoline_kernelINS0_14default_configENS1_36segmented_radix_sort_config_selectorIflEEZNS1_25segmented_radix_sort_implIS3_Lb1EPKfPfPKlPlN2at6native12_GLOBAL__N_18offset_tEEE10hipError_tPvRmT1_PNSt15iterator_traitsISK_E10value_typeET2_T3_PNSL_ISQ_E10value_typeET4_jRbjT5_SW_jjP12ihipStream_tbEUlT_E_NS1_11comp_targetILNS1_3genE8ELNS1_11target_archE1030ELNS1_3gpuE2ELNS1_3repE0EEENS1_30default_config_static_selectorELNS0_4arch9wavefront6targetE0EEEvSK_.num_vgpr, 0
	.set _ZN7rocprim17ROCPRIM_400000_NS6detail17trampoline_kernelINS0_14default_configENS1_36segmented_radix_sort_config_selectorIflEEZNS1_25segmented_radix_sort_implIS3_Lb1EPKfPfPKlPlN2at6native12_GLOBAL__N_18offset_tEEE10hipError_tPvRmT1_PNSt15iterator_traitsISK_E10value_typeET2_T3_PNSL_ISQ_E10value_typeET4_jRbjT5_SW_jjP12ihipStream_tbEUlT_E_NS1_11comp_targetILNS1_3genE8ELNS1_11target_archE1030ELNS1_3gpuE2ELNS1_3repE0EEENS1_30default_config_static_selectorELNS0_4arch9wavefront6targetE0EEEvSK_.num_agpr, 0
	.set _ZN7rocprim17ROCPRIM_400000_NS6detail17trampoline_kernelINS0_14default_configENS1_36segmented_radix_sort_config_selectorIflEEZNS1_25segmented_radix_sort_implIS3_Lb1EPKfPfPKlPlN2at6native12_GLOBAL__N_18offset_tEEE10hipError_tPvRmT1_PNSt15iterator_traitsISK_E10value_typeET2_T3_PNSL_ISQ_E10value_typeET4_jRbjT5_SW_jjP12ihipStream_tbEUlT_E_NS1_11comp_targetILNS1_3genE8ELNS1_11target_archE1030ELNS1_3gpuE2ELNS1_3repE0EEENS1_30default_config_static_selectorELNS0_4arch9wavefront6targetE0EEEvSK_.numbered_sgpr, 0
	.set _ZN7rocprim17ROCPRIM_400000_NS6detail17trampoline_kernelINS0_14default_configENS1_36segmented_radix_sort_config_selectorIflEEZNS1_25segmented_radix_sort_implIS3_Lb1EPKfPfPKlPlN2at6native12_GLOBAL__N_18offset_tEEE10hipError_tPvRmT1_PNSt15iterator_traitsISK_E10value_typeET2_T3_PNSL_ISQ_E10value_typeET4_jRbjT5_SW_jjP12ihipStream_tbEUlT_E_NS1_11comp_targetILNS1_3genE8ELNS1_11target_archE1030ELNS1_3gpuE2ELNS1_3repE0EEENS1_30default_config_static_selectorELNS0_4arch9wavefront6targetE0EEEvSK_.num_named_barrier, 0
	.set _ZN7rocprim17ROCPRIM_400000_NS6detail17trampoline_kernelINS0_14default_configENS1_36segmented_radix_sort_config_selectorIflEEZNS1_25segmented_radix_sort_implIS3_Lb1EPKfPfPKlPlN2at6native12_GLOBAL__N_18offset_tEEE10hipError_tPvRmT1_PNSt15iterator_traitsISK_E10value_typeET2_T3_PNSL_ISQ_E10value_typeET4_jRbjT5_SW_jjP12ihipStream_tbEUlT_E_NS1_11comp_targetILNS1_3genE8ELNS1_11target_archE1030ELNS1_3gpuE2ELNS1_3repE0EEENS1_30default_config_static_selectorELNS0_4arch9wavefront6targetE0EEEvSK_.private_seg_size, 0
	.set _ZN7rocprim17ROCPRIM_400000_NS6detail17trampoline_kernelINS0_14default_configENS1_36segmented_radix_sort_config_selectorIflEEZNS1_25segmented_radix_sort_implIS3_Lb1EPKfPfPKlPlN2at6native12_GLOBAL__N_18offset_tEEE10hipError_tPvRmT1_PNSt15iterator_traitsISK_E10value_typeET2_T3_PNSL_ISQ_E10value_typeET4_jRbjT5_SW_jjP12ihipStream_tbEUlT_E_NS1_11comp_targetILNS1_3genE8ELNS1_11target_archE1030ELNS1_3gpuE2ELNS1_3repE0EEENS1_30default_config_static_selectorELNS0_4arch9wavefront6targetE0EEEvSK_.uses_vcc, 0
	.set _ZN7rocprim17ROCPRIM_400000_NS6detail17trampoline_kernelINS0_14default_configENS1_36segmented_radix_sort_config_selectorIflEEZNS1_25segmented_radix_sort_implIS3_Lb1EPKfPfPKlPlN2at6native12_GLOBAL__N_18offset_tEEE10hipError_tPvRmT1_PNSt15iterator_traitsISK_E10value_typeET2_T3_PNSL_ISQ_E10value_typeET4_jRbjT5_SW_jjP12ihipStream_tbEUlT_E_NS1_11comp_targetILNS1_3genE8ELNS1_11target_archE1030ELNS1_3gpuE2ELNS1_3repE0EEENS1_30default_config_static_selectorELNS0_4arch9wavefront6targetE0EEEvSK_.uses_flat_scratch, 0
	.set _ZN7rocprim17ROCPRIM_400000_NS6detail17trampoline_kernelINS0_14default_configENS1_36segmented_radix_sort_config_selectorIflEEZNS1_25segmented_radix_sort_implIS3_Lb1EPKfPfPKlPlN2at6native12_GLOBAL__N_18offset_tEEE10hipError_tPvRmT1_PNSt15iterator_traitsISK_E10value_typeET2_T3_PNSL_ISQ_E10value_typeET4_jRbjT5_SW_jjP12ihipStream_tbEUlT_E_NS1_11comp_targetILNS1_3genE8ELNS1_11target_archE1030ELNS1_3gpuE2ELNS1_3repE0EEENS1_30default_config_static_selectorELNS0_4arch9wavefront6targetE0EEEvSK_.has_dyn_sized_stack, 0
	.set _ZN7rocprim17ROCPRIM_400000_NS6detail17trampoline_kernelINS0_14default_configENS1_36segmented_radix_sort_config_selectorIflEEZNS1_25segmented_radix_sort_implIS3_Lb1EPKfPfPKlPlN2at6native12_GLOBAL__N_18offset_tEEE10hipError_tPvRmT1_PNSt15iterator_traitsISK_E10value_typeET2_T3_PNSL_ISQ_E10value_typeET4_jRbjT5_SW_jjP12ihipStream_tbEUlT_E_NS1_11comp_targetILNS1_3genE8ELNS1_11target_archE1030ELNS1_3gpuE2ELNS1_3repE0EEENS1_30default_config_static_selectorELNS0_4arch9wavefront6targetE0EEEvSK_.has_recursion, 0
	.set _ZN7rocprim17ROCPRIM_400000_NS6detail17trampoline_kernelINS0_14default_configENS1_36segmented_radix_sort_config_selectorIflEEZNS1_25segmented_radix_sort_implIS3_Lb1EPKfPfPKlPlN2at6native12_GLOBAL__N_18offset_tEEE10hipError_tPvRmT1_PNSt15iterator_traitsISK_E10value_typeET2_T3_PNSL_ISQ_E10value_typeET4_jRbjT5_SW_jjP12ihipStream_tbEUlT_E_NS1_11comp_targetILNS1_3genE8ELNS1_11target_archE1030ELNS1_3gpuE2ELNS1_3repE0EEENS1_30default_config_static_selectorELNS0_4arch9wavefront6targetE0EEEvSK_.has_indirect_call, 0
	.section	.AMDGPU.csdata,"",@progbits
; Kernel info:
; codeLenInByte = 0
; TotalNumSgprs: 0
; NumVgprs: 0
; ScratchSize: 0
; MemoryBound: 0
; FloatMode: 240
; IeeeMode: 1
; LDSByteSize: 0 bytes/workgroup (compile time only)
; SGPRBlocks: 0
; VGPRBlocks: 0
; NumSGPRsForWavesPerEU: 1
; NumVGPRsForWavesPerEU: 1
; Occupancy: 16
; WaveLimiterHint : 0
; COMPUTE_PGM_RSRC2:SCRATCH_EN: 0
; COMPUTE_PGM_RSRC2:USER_SGPR: 2
; COMPUTE_PGM_RSRC2:TRAP_HANDLER: 0
; COMPUTE_PGM_RSRC2:TGID_X_EN: 1
; COMPUTE_PGM_RSRC2:TGID_Y_EN: 0
; COMPUTE_PGM_RSRC2:TGID_Z_EN: 0
; COMPUTE_PGM_RSRC2:TIDIG_COMP_CNT: 0
	.section	.text._ZN7rocprim17ROCPRIM_400000_NS6detail17trampoline_kernelINS0_14default_configENS1_36segmented_radix_sort_config_selectorIflEEZNS1_25segmented_radix_sort_implIS3_Lb1EPKfPfPKlPlN2at6native12_GLOBAL__N_18offset_tEEE10hipError_tPvRmT1_PNSt15iterator_traitsISK_E10value_typeET2_T3_PNSL_ISQ_E10value_typeET4_jRbjT5_SW_jjP12ihipStream_tbEUlT_E0_NS1_11comp_targetILNS1_3genE0ELNS1_11target_archE4294967295ELNS1_3gpuE0ELNS1_3repE0EEENS1_60segmented_radix_sort_warp_sort_medium_config_static_selectorELNS0_4arch9wavefront6targetE0EEEvSK_,"axG",@progbits,_ZN7rocprim17ROCPRIM_400000_NS6detail17trampoline_kernelINS0_14default_configENS1_36segmented_radix_sort_config_selectorIflEEZNS1_25segmented_radix_sort_implIS3_Lb1EPKfPfPKlPlN2at6native12_GLOBAL__N_18offset_tEEE10hipError_tPvRmT1_PNSt15iterator_traitsISK_E10value_typeET2_T3_PNSL_ISQ_E10value_typeET4_jRbjT5_SW_jjP12ihipStream_tbEUlT_E0_NS1_11comp_targetILNS1_3genE0ELNS1_11target_archE4294967295ELNS1_3gpuE0ELNS1_3repE0EEENS1_60segmented_radix_sort_warp_sort_medium_config_static_selectorELNS0_4arch9wavefront6targetE0EEEvSK_,comdat
	.globl	_ZN7rocprim17ROCPRIM_400000_NS6detail17trampoline_kernelINS0_14default_configENS1_36segmented_radix_sort_config_selectorIflEEZNS1_25segmented_radix_sort_implIS3_Lb1EPKfPfPKlPlN2at6native12_GLOBAL__N_18offset_tEEE10hipError_tPvRmT1_PNSt15iterator_traitsISK_E10value_typeET2_T3_PNSL_ISQ_E10value_typeET4_jRbjT5_SW_jjP12ihipStream_tbEUlT_E0_NS1_11comp_targetILNS1_3genE0ELNS1_11target_archE4294967295ELNS1_3gpuE0ELNS1_3repE0EEENS1_60segmented_radix_sort_warp_sort_medium_config_static_selectorELNS0_4arch9wavefront6targetE0EEEvSK_ ; -- Begin function _ZN7rocprim17ROCPRIM_400000_NS6detail17trampoline_kernelINS0_14default_configENS1_36segmented_radix_sort_config_selectorIflEEZNS1_25segmented_radix_sort_implIS3_Lb1EPKfPfPKlPlN2at6native12_GLOBAL__N_18offset_tEEE10hipError_tPvRmT1_PNSt15iterator_traitsISK_E10value_typeET2_T3_PNSL_ISQ_E10value_typeET4_jRbjT5_SW_jjP12ihipStream_tbEUlT_E0_NS1_11comp_targetILNS1_3genE0ELNS1_11target_archE4294967295ELNS1_3gpuE0ELNS1_3repE0EEENS1_60segmented_radix_sort_warp_sort_medium_config_static_selectorELNS0_4arch9wavefront6targetE0EEEvSK_
	.p2align	8
	.type	_ZN7rocprim17ROCPRIM_400000_NS6detail17trampoline_kernelINS0_14default_configENS1_36segmented_radix_sort_config_selectorIflEEZNS1_25segmented_radix_sort_implIS3_Lb1EPKfPfPKlPlN2at6native12_GLOBAL__N_18offset_tEEE10hipError_tPvRmT1_PNSt15iterator_traitsISK_E10value_typeET2_T3_PNSL_ISQ_E10value_typeET4_jRbjT5_SW_jjP12ihipStream_tbEUlT_E0_NS1_11comp_targetILNS1_3genE0ELNS1_11target_archE4294967295ELNS1_3gpuE0ELNS1_3repE0EEENS1_60segmented_radix_sort_warp_sort_medium_config_static_selectorELNS0_4arch9wavefront6targetE0EEEvSK_,@function
_ZN7rocprim17ROCPRIM_400000_NS6detail17trampoline_kernelINS0_14default_configENS1_36segmented_radix_sort_config_selectorIflEEZNS1_25segmented_radix_sort_implIS3_Lb1EPKfPfPKlPlN2at6native12_GLOBAL__N_18offset_tEEE10hipError_tPvRmT1_PNSt15iterator_traitsISK_E10value_typeET2_T3_PNSL_ISQ_E10value_typeET4_jRbjT5_SW_jjP12ihipStream_tbEUlT_E0_NS1_11comp_targetILNS1_3genE0ELNS1_11target_archE4294967295ELNS1_3gpuE0ELNS1_3repE0EEENS1_60segmented_radix_sort_warp_sort_medium_config_static_selectorELNS0_4arch9wavefront6targetE0EEEvSK_: ; @_ZN7rocprim17ROCPRIM_400000_NS6detail17trampoline_kernelINS0_14default_configENS1_36segmented_radix_sort_config_selectorIflEEZNS1_25segmented_radix_sort_implIS3_Lb1EPKfPfPKlPlN2at6native12_GLOBAL__N_18offset_tEEE10hipError_tPvRmT1_PNSt15iterator_traitsISK_E10value_typeET2_T3_PNSL_ISQ_E10value_typeET4_jRbjT5_SW_jjP12ihipStream_tbEUlT_E0_NS1_11comp_targetILNS1_3genE0ELNS1_11target_archE4294967295ELNS1_3gpuE0ELNS1_3repE0EEENS1_60segmented_radix_sort_warp_sort_medium_config_static_selectorELNS0_4arch9wavefront6targetE0EEEvSK_
; %bb.0:
	.section	.rodata,"a",@progbits
	.p2align	6, 0x0
	.amdhsa_kernel _ZN7rocprim17ROCPRIM_400000_NS6detail17trampoline_kernelINS0_14default_configENS1_36segmented_radix_sort_config_selectorIflEEZNS1_25segmented_radix_sort_implIS3_Lb1EPKfPfPKlPlN2at6native12_GLOBAL__N_18offset_tEEE10hipError_tPvRmT1_PNSt15iterator_traitsISK_E10value_typeET2_T3_PNSL_ISQ_E10value_typeET4_jRbjT5_SW_jjP12ihipStream_tbEUlT_E0_NS1_11comp_targetILNS1_3genE0ELNS1_11target_archE4294967295ELNS1_3gpuE0ELNS1_3repE0EEENS1_60segmented_radix_sort_warp_sort_medium_config_static_selectorELNS0_4arch9wavefront6targetE0EEEvSK_
		.amdhsa_group_segment_fixed_size 0
		.amdhsa_private_segment_fixed_size 0
		.amdhsa_kernarg_size 88
		.amdhsa_user_sgpr_count 2
		.amdhsa_user_sgpr_dispatch_ptr 0
		.amdhsa_user_sgpr_queue_ptr 0
		.amdhsa_user_sgpr_kernarg_segment_ptr 1
		.amdhsa_user_sgpr_dispatch_id 0
		.amdhsa_user_sgpr_private_segment_size 0
		.amdhsa_wavefront_size32 1
		.amdhsa_uses_dynamic_stack 0
		.amdhsa_enable_private_segment 0
		.amdhsa_system_sgpr_workgroup_id_x 1
		.amdhsa_system_sgpr_workgroup_id_y 0
		.amdhsa_system_sgpr_workgroup_id_z 0
		.amdhsa_system_sgpr_workgroup_info 0
		.amdhsa_system_vgpr_workitem_id 0
		.amdhsa_next_free_vgpr 1
		.amdhsa_next_free_sgpr 1
		.amdhsa_reserve_vcc 0
		.amdhsa_float_round_mode_32 0
		.amdhsa_float_round_mode_16_64 0
		.amdhsa_float_denorm_mode_32 3
		.amdhsa_float_denorm_mode_16_64 3
		.amdhsa_fp16_overflow 0
		.amdhsa_workgroup_processor_mode 1
		.amdhsa_memory_ordered 1
		.amdhsa_forward_progress 1
		.amdhsa_inst_pref_size 0
		.amdhsa_round_robin_scheduling 0
		.amdhsa_exception_fp_ieee_invalid_op 0
		.amdhsa_exception_fp_denorm_src 0
		.amdhsa_exception_fp_ieee_div_zero 0
		.amdhsa_exception_fp_ieee_overflow 0
		.amdhsa_exception_fp_ieee_underflow 0
		.amdhsa_exception_fp_ieee_inexact 0
		.amdhsa_exception_int_div_zero 0
	.end_amdhsa_kernel
	.section	.text._ZN7rocprim17ROCPRIM_400000_NS6detail17trampoline_kernelINS0_14default_configENS1_36segmented_radix_sort_config_selectorIflEEZNS1_25segmented_radix_sort_implIS3_Lb1EPKfPfPKlPlN2at6native12_GLOBAL__N_18offset_tEEE10hipError_tPvRmT1_PNSt15iterator_traitsISK_E10value_typeET2_T3_PNSL_ISQ_E10value_typeET4_jRbjT5_SW_jjP12ihipStream_tbEUlT_E0_NS1_11comp_targetILNS1_3genE0ELNS1_11target_archE4294967295ELNS1_3gpuE0ELNS1_3repE0EEENS1_60segmented_radix_sort_warp_sort_medium_config_static_selectorELNS0_4arch9wavefront6targetE0EEEvSK_,"axG",@progbits,_ZN7rocprim17ROCPRIM_400000_NS6detail17trampoline_kernelINS0_14default_configENS1_36segmented_radix_sort_config_selectorIflEEZNS1_25segmented_radix_sort_implIS3_Lb1EPKfPfPKlPlN2at6native12_GLOBAL__N_18offset_tEEE10hipError_tPvRmT1_PNSt15iterator_traitsISK_E10value_typeET2_T3_PNSL_ISQ_E10value_typeET4_jRbjT5_SW_jjP12ihipStream_tbEUlT_E0_NS1_11comp_targetILNS1_3genE0ELNS1_11target_archE4294967295ELNS1_3gpuE0ELNS1_3repE0EEENS1_60segmented_radix_sort_warp_sort_medium_config_static_selectorELNS0_4arch9wavefront6targetE0EEEvSK_,comdat
.Lfunc_end1335:
	.size	_ZN7rocprim17ROCPRIM_400000_NS6detail17trampoline_kernelINS0_14default_configENS1_36segmented_radix_sort_config_selectorIflEEZNS1_25segmented_radix_sort_implIS3_Lb1EPKfPfPKlPlN2at6native12_GLOBAL__N_18offset_tEEE10hipError_tPvRmT1_PNSt15iterator_traitsISK_E10value_typeET2_T3_PNSL_ISQ_E10value_typeET4_jRbjT5_SW_jjP12ihipStream_tbEUlT_E0_NS1_11comp_targetILNS1_3genE0ELNS1_11target_archE4294967295ELNS1_3gpuE0ELNS1_3repE0EEENS1_60segmented_radix_sort_warp_sort_medium_config_static_selectorELNS0_4arch9wavefront6targetE0EEEvSK_, .Lfunc_end1335-_ZN7rocprim17ROCPRIM_400000_NS6detail17trampoline_kernelINS0_14default_configENS1_36segmented_radix_sort_config_selectorIflEEZNS1_25segmented_radix_sort_implIS3_Lb1EPKfPfPKlPlN2at6native12_GLOBAL__N_18offset_tEEE10hipError_tPvRmT1_PNSt15iterator_traitsISK_E10value_typeET2_T3_PNSL_ISQ_E10value_typeET4_jRbjT5_SW_jjP12ihipStream_tbEUlT_E0_NS1_11comp_targetILNS1_3genE0ELNS1_11target_archE4294967295ELNS1_3gpuE0ELNS1_3repE0EEENS1_60segmented_radix_sort_warp_sort_medium_config_static_selectorELNS0_4arch9wavefront6targetE0EEEvSK_
                                        ; -- End function
	.set _ZN7rocprim17ROCPRIM_400000_NS6detail17trampoline_kernelINS0_14default_configENS1_36segmented_radix_sort_config_selectorIflEEZNS1_25segmented_radix_sort_implIS3_Lb1EPKfPfPKlPlN2at6native12_GLOBAL__N_18offset_tEEE10hipError_tPvRmT1_PNSt15iterator_traitsISK_E10value_typeET2_T3_PNSL_ISQ_E10value_typeET4_jRbjT5_SW_jjP12ihipStream_tbEUlT_E0_NS1_11comp_targetILNS1_3genE0ELNS1_11target_archE4294967295ELNS1_3gpuE0ELNS1_3repE0EEENS1_60segmented_radix_sort_warp_sort_medium_config_static_selectorELNS0_4arch9wavefront6targetE0EEEvSK_.num_vgpr, 0
	.set _ZN7rocprim17ROCPRIM_400000_NS6detail17trampoline_kernelINS0_14default_configENS1_36segmented_radix_sort_config_selectorIflEEZNS1_25segmented_radix_sort_implIS3_Lb1EPKfPfPKlPlN2at6native12_GLOBAL__N_18offset_tEEE10hipError_tPvRmT1_PNSt15iterator_traitsISK_E10value_typeET2_T3_PNSL_ISQ_E10value_typeET4_jRbjT5_SW_jjP12ihipStream_tbEUlT_E0_NS1_11comp_targetILNS1_3genE0ELNS1_11target_archE4294967295ELNS1_3gpuE0ELNS1_3repE0EEENS1_60segmented_radix_sort_warp_sort_medium_config_static_selectorELNS0_4arch9wavefront6targetE0EEEvSK_.num_agpr, 0
	.set _ZN7rocprim17ROCPRIM_400000_NS6detail17trampoline_kernelINS0_14default_configENS1_36segmented_radix_sort_config_selectorIflEEZNS1_25segmented_radix_sort_implIS3_Lb1EPKfPfPKlPlN2at6native12_GLOBAL__N_18offset_tEEE10hipError_tPvRmT1_PNSt15iterator_traitsISK_E10value_typeET2_T3_PNSL_ISQ_E10value_typeET4_jRbjT5_SW_jjP12ihipStream_tbEUlT_E0_NS1_11comp_targetILNS1_3genE0ELNS1_11target_archE4294967295ELNS1_3gpuE0ELNS1_3repE0EEENS1_60segmented_radix_sort_warp_sort_medium_config_static_selectorELNS0_4arch9wavefront6targetE0EEEvSK_.numbered_sgpr, 0
	.set _ZN7rocprim17ROCPRIM_400000_NS6detail17trampoline_kernelINS0_14default_configENS1_36segmented_radix_sort_config_selectorIflEEZNS1_25segmented_radix_sort_implIS3_Lb1EPKfPfPKlPlN2at6native12_GLOBAL__N_18offset_tEEE10hipError_tPvRmT1_PNSt15iterator_traitsISK_E10value_typeET2_T3_PNSL_ISQ_E10value_typeET4_jRbjT5_SW_jjP12ihipStream_tbEUlT_E0_NS1_11comp_targetILNS1_3genE0ELNS1_11target_archE4294967295ELNS1_3gpuE0ELNS1_3repE0EEENS1_60segmented_radix_sort_warp_sort_medium_config_static_selectorELNS0_4arch9wavefront6targetE0EEEvSK_.num_named_barrier, 0
	.set _ZN7rocprim17ROCPRIM_400000_NS6detail17trampoline_kernelINS0_14default_configENS1_36segmented_radix_sort_config_selectorIflEEZNS1_25segmented_radix_sort_implIS3_Lb1EPKfPfPKlPlN2at6native12_GLOBAL__N_18offset_tEEE10hipError_tPvRmT1_PNSt15iterator_traitsISK_E10value_typeET2_T3_PNSL_ISQ_E10value_typeET4_jRbjT5_SW_jjP12ihipStream_tbEUlT_E0_NS1_11comp_targetILNS1_3genE0ELNS1_11target_archE4294967295ELNS1_3gpuE0ELNS1_3repE0EEENS1_60segmented_radix_sort_warp_sort_medium_config_static_selectorELNS0_4arch9wavefront6targetE0EEEvSK_.private_seg_size, 0
	.set _ZN7rocprim17ROCPRIM_400000_NS6detail17trampoline_kernelINS0_14default_configENS1_36segmented_radix_sort_config_selectorIflEEZNS1_25segmented_radix_sort_implIS3_Lb1EPKfPfPKlPlN2at6native12_GLOBAL__N_18offset_tEEE10hipError_tPvRmT1_PNSt15iterator_traitsISK_E10value_typeET2_T3_PNSL_ISQ_E10value_typeET4_jRbjT5_SW_jjP12ihipStream_tbEUlT_E0_NS1_11comp_targetILNS1_3genE0ELNS1_11target_archE4294967295ELNS1_3gpuE0ELNS1_3repE0EEENS1_60segmented_radix_sort_warp_sort_medium_config_static_selectorELNS0_4arch9wavefront6targetE0EEEvSK_.uses_vcc, 0
	.set _ZN7rocprim17ROCPRIM_400000_NS6detail17trampoline_kernelINS0_14default_configENS1_36segmented_radix_sort_config_selectorIflEEZNS1_25segmented_radix_sort_implIS3_Lb1EPKfPfPKlPlN2at6native12_GLOBAL__N_18offset_tEEE10hipError_tPvRmT1_PNSt15iterator_traitsISK_E10value_typeET2_T3_PNSL_ISQ_E10value_typeET4_jRbjT5_SW_jjP12ihipStream_tbEUlT_E0_NS1_11comp_targetILNS1_3genE0ELNS1_11target_archE4294967295ELNS1_3gpuE0ELNS1_3repE0EEENS1_60segmented_radix_sort_warp_sort_medium_config_static_selectorELNS0_4arch9wavefront6targetE0EEEvSK_.uses_flat_scratch, 0
	.set _ZN7rocprim17ROCPRIM_400000_NS6detail17trampoline_kernelINS0_14default_configENS1_36segmented_radix_sort_config_selectorIflEEZNS1_25segmented_radix_sort_implIS3_Lb1EPKfPfPKlPlN2at6native12_GLOBAL__N_18offset_tEEE10hipError_tPvRmT1_PNSt15iterator_traitsISK_E10value_typeET2_T3_PNSL_ISQ_E10value_typeET4_jRbjT5_SW_jjP12ihipStream_tbEUlT_E0_NS1_11comp_targetILNS1_3genE0ELNS1_11target_archE4294967295ELNS1_3gpuE0ELNS1_3repE0EEENS1_60segmented_radix_sort_warp_sort_medium_config_static_selectorELNS0_4arch9wavefront6targetE0EEEvSK_.has_dyn_sized_stack, 0
	.set _ZN7rocprim17ROCPRIM_400000_NS6detail17trampoline_kernelINS0_14default_configENS1_36segmented_radix_sort_config_selectorIflEEZNS1_25segmented_radix_sort_implIS3_Lb1EPKfPfPKlPlN2at6native12_GLOBAL__N_18offset_tEEE10hipError_tPvRmT1_PNSt15iterator_traitsISK_E10value_typeET2_T3_PNSL_ISQ_E10value_typeET4_jRbjT5_SW_jjP12ihipStream_tbEUlT_E0_NS1_11comp_targetILNS1_3genE0ELNS1_11target_archE4294967295ELNS1_3gpuE0ELNS1_3repE0EEENS1_60segmented_radix_sort_warp_sort_medium_config_static_selectorELNS0_4arch9wavefront6targetE0EEEvSK_.has_recursion, 0
	.set _ZN7rocprim17ROCPRIM_400000_NS6detail17trampoline_kernelINS0_14default_configENS1_36segmented_radix_sort_config_selectorIflEEZNS1_25segmented_radix_sort_implIS3_Lb1EPKfPfPKlPlN2at6native12_GLOBAL__N_18offset_tEEE10hipError_tPvRmT1_PNSt15iterator_traitsISK_E10value_typeET2_T3_PNSL_ISQ_E10value_typeET4_jRbjT5_SW_jjP12ihipStream_tbEUlT_E0_NS1_11comp_targetILNS1_3genE0ELNS1_11target_archE4294967295ELNS1_3gpuE0ELNS1_3repE0EEENS1_60segmented_radix_sort_warp_sort_medium_config_static_selectorELNS0_4arch9wavefront6targetE0EEEvSK_.has_indirect_call, 0
	.section	.AMDGPU.csdata,"",@progbits
; Kernel info:
; codeLenInByte = 0
; TotalNumSgprs: 0
; NumVgprs: 0
; ScratchSize: 0
; MemoryBound: 0
; FloatMode: 240
; IeeeMode: 1
; LDSByteSize: 0 bytes/workgroup (compile time only)
; SGPRBlocks: 0
; VGPRBlocks: 0
; NumSGPRsForWavesPerEU: 1
; NumVGPRsForWavesPerEU: 1
; Occupancy: 16
; WaveLimiterHint : 0
; COMPUTE_PGM_RSRC2:SCRATCH_EN: 0
; COMPUTE_PGM_RSRC2:USER_SGPR: 2
; COMPUTE_PGM_RSRC2:TRAP_HANDLER: 0
; COMPUTE_PGM_RSRC2:TGID_X_EN: 1
; COMPUTE_PGM_RSRC2:TGID_Y_EN: 0
; COMPUTE_PGM_RSRC2:TGID_Z_EN: 0
; COMPUTE_PGM_RSRC2:TIDIG_COMP_CNT: 0
	.section	.text._ZN7rocprim17ROCPRIM_400000_NS6detail17trampoline_kernelINS0_14default_configENS1_36segmented_radix_sort_config_selectorIflEEZNS1_25segmented_radix_sort_implIS3_Lb1EPKfPfPKlPlN2at6native12_GLOBAL__N_18offset_tEEE10hipError_tPvRmT1_PNSt15iterator_traitsISK_E10value_typeET2_T3_PNSL_ISQ_E10value_typeET4_jRbjT5_SW_jjP12ihipStream_tbEUlT_E0_NS1_11comp_targetILNS1_3genE5ELNS1_11target_archE942ELNS1_3gpuE9ELNS1_3repE0EEENS1_60segmented_radix_sort_warp_sort_medium_config_static_selectorELNS0_4arch9wavefront6targetE0EEEvSK_,"axG",@progbits,_ZN7rocprim17ROCPRIM_400000_NS6detail17trampoline_kernelINS0_14default_configENS1_36segmented_radix_sort_config_selectorIflEEZNS1_25segmented_radix_sort_implIS3_Lb1EPKfPfPKlPlN2at6native12_GLOBAL__N_18offset_tEEE10hipError_tPvRmT1_PNSt15iterator_traitsISK_E10value_typeET2_T3_PNSL_ISQ_E10value_typeET4_jRbjT5_SW_jjP12ihipStream_tbEUlT_E0_NS1_11comp_targetILNS1_3genE5ELNS1_11target_archE942ELNS1_3gpuE9ELNS1_3repE0EEENS1_60segmented_radix_sort_warp_sort_medium_config_static_selectorELNS0_4arch9wavefront6targetE0EEEvSK_,comdat
	.globl	_ZN7rocprim17ROCPRIM_400000_NS6detail17trampoline_kernelINS0_14default_configENS1_36segmented_radix_sort_config_selectorIflEEZNS1_25segmented_radix_sort_implIS3_Lb1EPKfPfPKlPlN2at6native12_GLOBAL__N_18offset_tEEE10hipError_tPvRmT1_PNSt15iterator_traitsISK_E10value_typeET2_T3_PNSL_ISQ_E10value_typeET4_jRbjT5_SW_jjP12ihipStream_tbEUlT_E0_NS1_11comp_targetILNS1_3genE5ELNS1_11target_archE942ELNS1_3gpuE9ELNS1_3repE0EEENS1_60segmented_radix_sort_warp_sort_medium_config_static_selectorELNS0_4arch9wavefront6targetE0EEEvSK_ ; -- Begin function _ZN7rocprim17ROCPRIM_400000_NS6detail17trampoline_kernelINS0_14default_configENS1_36segmented_radix_sort_config_selectorIflEEZNS1_25segmented_radix_sort_implIS3_Lb1EPKfPfPKlPlN2at6native12_GLOBAL__N_18offset_tEEE10hipError_tPvRmT1_PNSt15iterator_traitsISK_E10value_typeET2_T3_PNSL_ISQ_E10value_typeET4_jRbjT5_SW_jjP12ihipStream_tbEUlT_E0_NS1_11comp_targetILNS1_3genE5ELNS1_11target_archE942ELNS1_3gpuE9ELNS1_3repE0EEENS1_60segmented_radix_sort_warp_sort_medium_config_static_selectorELNS0_4arch9wavefront6targetE0EEEvSK_
	.p2align	8
	.type	_ZN7rocprim17ROCPRIM_400000_NS6detail17trampoline_kernelINS0_14default_configENS1_36segmented_radix_sort_config_selectorIflEEZNS1_25segmented_radix_sort_implIS3_Lb1EPKfPfPKlPlN2at6native12_GLOBAL__N_18offset_tEEE10hipError_tPvRmT1_PNSt15iterator_traitsISK_E10value_typeET2_T3_PNSL_ISQ_E10value_typeET4_jRbjT5_SW_jjP12ihipStream_tbEUlT_E0_NS1_11comp_targetILNS1_3genE5ELNS1_11target_archE942ELNS1_3gpuE9ELNS1_3repE0EEENS1_60segmented_radix_sort_warp_sort_medium_config_static_selectorELNS0_4arch9wavefront6targetE0EEEvSK_,@function
_ZN7rocprim17ROCPRIM_400000_NS6detail17trampoline_kernelINS0_14default_configENS1_36segmented_radix_sort_config_selectorIflEEZNS1_25segmented_radix_sort_implIS3_Lb1EPKfPfPKlPlN2at6native12_GLOBAL__N_18offset_tEEE10hipError_tPvRmT1_PNSt15iterator_traitsISK_E10value_typeET2_T3_PNSL_ISQ_E10value_typeET4_jRbjT5_SW_jjP12ihipStream_tbEUlT_E0_NS1_11comp_targetILNS1_3genE5ELNS1_11target_archE942ELNS1_3gpuE9ELNS1_3repE0EEENS1_60segmented_radix_sort_warp_sort_medium_config_static_selectorELNS0_4arch9wavefront6targetE0EEEvSK_: ; @_ZN7rocprim17ROCPRIM_400000_NS6detail17trampoline_kernelINS0_14default_configENS1_36segmented_radix_sort_config_selectorIflEEZNS1_25segmented_radix_sort_implIS3_Lb1EPKfPfPKlPlN2at6native12_GLOBAL__N_18offset_tEEE10hipError_tPvRmT1_PNSt15iterator_traitsISK_E10value_typeET2_T3_PNSL_ISQ_E10value_typeET4_jRbjT5_SW_jjP12ihipStream_tbEUlT_E0_NS1_11comp_targetILNS1_3genE5ELNS1_11target_archE942ELNS1_3gpuE9ELNS1_3repE0EEENS1_60segmented_radix_sort_warp_sort_medium_config_static_selectorELNS0_4arch9wavefront6targetE0EEEvSK_
; %bb.0:
	.section	.rodata,"a",@progbits
	.p2align	6, 0x0
	.amdhsa_kernel _ZN7rocprim17ROCPRIM_400000_NS6detail17trampoline_kernelINS0_14default_configENS1_36segmented_radix_sort_config_selectorIflEEZNS1_25segmented_radix_sort_implIS3_Lb1EPKfPfPKlPlN2at6native12_GLOBAL__N_18offset_tEEE10hipError_tPvRmT1_PNSt15iterator_traitsISK_E10value_typeET2_T3_PNSL_ISQ_E10value_typeET4_jRbjT5_SW_jjP12ihipStream_tbEUlT_E0_NS1_11comp_targetILNS1_3genE5ELNS1_11target_archE942ELNS1_3gpuE9ELNS1_3repE0EEENS1_60segmented_radix_sort_warp_sort_medium_config_static_selectorELNS0_4arch9wavefront6targetE0EEEvSK_
		.amdhsa_group_segment_fixed_size 0
		.amdhsa_private_segment_fixed_size 0
		.amdhsa_kernarg_size 88
		.amdhsa_user_sgpr_count 2
		.amdhsa_user_sgpr_dispatch_ptr 0
		.amdhsa_user_sgpr_queue_ptr 0
		.amdhsa_user_sgpr_kernarg_segment_ptr 1
		.amdhsa_user_sgpr_dispatch_id 0
		.amdhsa_user_sgpr_private_segment_size 0
		.amdhsa_wavefront_size32 1
		.amdhsa_uses_dynamic_stack 0
		.amdhsa_enable_private_segment 0
		.amdhsa_system_sgpr_workgroup_id_x 1
		.amdhsa_system_sgpr_workgroup_id_y 0
		.amdhsa_system_sgpr_workgroup_id_z 0
		.amdhsa_system_sgpr_workgroup_info 0
		.amdhsa_system_vgpr_workitem_id 0
		.amdhsa_next_free_vgpr 1
		.amdhsa_next_free_sgpr 1
		.amdhsa_reserve_vcc 0
		.amdhsa_float_round_mode_32 0
		.amdhsa_float_round_mode_16_64 0
		.amdhsa_float_denorm_mode_32 3
		.amdhsa_float_denorm_mode_16_64 3
		.amdhsa_fp16_overflow 0
		.amdhsa_workgroup_processor_mode 1
		.amdhsa_memory_ordered 1
		.amdhsa_forward_progress 1
		.amdhsa_inst_pref_size 0
		.amdhsa_round_robin_scheduling 0
		.amdhsa_exception_fp_ieee_invalid_op 0
		.amdhsa_exception_fp_denorm_src 0
		.amdhsa_exception_fp_ieee_div_zero 0
		.amdhsa_exception_fp_ieee_overflow 0
		.amdhsa_exception_fp_ieee_underflow 0
		.amdhsa_exception_fp_ieee_inexact 0
		.amdhsa_exception_int_div_zero 0
	.end_amdhsa_kernel
	.section	.text._ZN7rocprim17ROCPRIM_400000_NS6detail17trampoline_kernelINS0_14default_configENS1_36segmented_radix_sort_config_selectorIflEEZNS1_25segmented_radix_sort_implIS3_Lb1EPKfPfPKlPlN2at6native12_GLOBAL__N_18offset_tEEE10hipError_tPvRmT1_PNSt15iterator_traitsISK_E10value_typeET2_T3_PNSL_ISQ_E10value_typeET4_jRbjT5_SW_jjP12ihipStream_tbEUlT_E0_NS1_11comp_targetILNS1_3genE5ELNS1_11target_archE942ELNS1_3gpuE9ELNS1_3repE0EEENS1_60segmented_radix_sort_warp_sort_medium_config_static_selectorELNS0_4arch9wavefront6targetE0EEEvSK_,"axG",@progbits,_ZN7rocprim17ROCPRIM_400000_NS6detail17trampoline_kernelINS0_14default_configENS1_36segmented_radix_sort_config_selectorIflEEZNS1_25segmented_radix_sort_implIS3_Lb1EPKfPfPKlPlN2at6native12_GLOBAL__N_18offset_tEEE10hipError_tPvRmT1_PNSt15iterator_traitsISK_E10value_typeET2_T3_PNSL_ISQ_E10value_typeET4_jRbjT5_SW_jjP12ihipStream_tbEUlT_E0_NS1_11comp_targetILNS1_3genE5ELNS1_11target_archE942ELNS1_3gpuE9ELNS1_3repE0EEENS1_60segmented_radix_sort_warp_sort_medium_config_static_selectorELNS0_4arch9wavefront6targetE0EEEvSK_,comdat
.Lfunc_end1336:
	.size	_ZN7rocprim17ROCPRIM_400000_NS6detail17trampoline_kernelINS0_14default_configENS1_36segmented_radix_sort_config_selectorIflEEZNS1_25segmented_radix_sort_implIS3_Lb1EPKfPfPKlPlN2at6native12_GLOBAL__N_18offset_tEEE10hipError_tPvRmT1_PNSt15iterator_traitsISK_E10value_typeET2_T3_PNSL_ISQ_E10value_typeET4_jRbjT5_SW_jjP12ihipStream_tbEUlT_E0_NS1_11comp_targetILNS1_3genE5ELNS1_11target_archE942ELNS1_3gpuE9ELNS1_3repE0EEENS1_60segmented_radix_sort_warp_sort_medium_config_static_selectorELNS0_4arch9wavefront6targetE0EEEvSK_, .Lfunc_end1336-_ZN7rocprim17ROCPRIM_400000_NS6detail17trampoline_kernelINS0_14default_configENS1_36segmented_radix_sort_config_selectorIflEEZNS1_25segmented_radix_sort_implIS3_Lb1EPKfPfPKlPlN2at6native12_GLOBAL__N_18offset_tEEE10hipError_tPvRmT1_PNSt15iterator_traitsISK_E10value_typeET2_T3_PNSL_ISQ_E10value_typeET4_jRbjT5_SW_jjP12ihipStream_tbEUlT_E0_NS1_11comp_targetILNS1_3genE5ELNS1_11target_archE942ELNS1_3gpuE9ELNS1_3repE0EEENS1_60segmented_radix_sort_warp_sort_medium_config_static_selectorELNS0_4arch9wavefront6targetE0EEEvSK_
                                        ; -- End function
	.set _ZN7rocprim17ROCPRIM_400000_NS6detail17trampoline_kernelINS0_14default_configENS1_36segmented_radix_sort_config_selectorIflEEZNS1_25segmented_radix_sort_implIS3_Lb1EPKfPfPKlPlN2at6native12_GLOBAL__N_18offset_tEEE10hipError_tPvRmT1_PNSt15iterator_traitsISK_E10value_typeET2_T3_PNSL_ISQ_E10value_typeET4_jRbjT5_SW_jjP12ihipStream_tbEUlT_E0_NS1_11comp_targetILNS1_3genE5ELNS1_11target_archE942ELNS1_3gpuE9ELNS1_3repE0EEENS1_60segmented_radix_sort_warp_sort_medium_config_static_selectorELNS0_4arch9wavefront6targetE0EEEvSK_.num_vgpr, 0
	.set _ZN7rocprim17ROCPRIM_400000_NS6detail17trampoline_kernelINS0_14default_configENS1_36segmented_radix_sort_config_selectorIflEEZNS1_25segmented_radix_sort_implIS3_Lb1EPKfPfPKlPlN2at6native12_GLOBAL__N_18offset_tEEE10hipError_tPvRmT1_PNSt15iterator_traitsISK_E10value_typeET2_T3_PNSL_ISQ_E10value_typeET4_jRbjT5_SW_jjP12ihipStream_tbEUlT_E0_NS1_11comp_targetILNS1_3genE5ELNS1_11target_archE942ELNS1_3gpuE9ELNS1_3repE0EEENS1_60segmented_radix_sort_warp_sort_medium_config_static_selectorELNS0_4arch9wavefront6targetE0EEEvSK_.num_agpr, 0
	.set _ZN7rocprim17ROCPRIM_400000_NS6detail17trampoline_kernelINS0_14default_configENS1_36segmented_radix_sort_config_selectorIflEEZNS1_25segmented_radix_sort_implIS3_Lb1EPKfPfPKlPlN2at6native12_GLOBAL__N_18offset_tEEE10hipError_tPvRmT1_PNSt15iterator_traitsISK_E10value_typeET2_T3_PNSL_ISQ_E10value_typeET4_jRbjT5_SW_jjP12ihipStream_tbEUlT_E0_NS1_11comp_targetILNS1_3genE5ELNS1_11target_archE942ELNS1_3gpuE9ELNS1_3repE0EEENS1_60segmented_radix_sort_warp_sort_medium_config_static_selectorELNS0_4arch9wavefront6targetE0EEEvSK_.numbered_sgpr, 0
	.set _ZN7rocprim17ROCPRIM_400000_NS6detail17trampoline_kernelINS0_14default_configENS1_36segmented_radix_sort_config_selectorIflEEZNS1_25segmented_radix_sort_implIS3_Lb1EPKfPfPKlPlN2at6native12_GLOBAL__N_18offset_tEEE10hipError_tPvRmT1_PNSt15iterator_traitsISK_E10value_typeET2_T3_PNSL_ISQ_E10value_typeET4_jRbjT5_SW_jjP12ihipStream_tbEUlT_E0_NS1_11comp_targetILNS1_3genE5ELNS1_11target_archE942ELNS1_3gpuE9ELNS1_3repE0EEENS1_60segmented_radix_sort_warp_sort_medium_config_static_selectorELNS0_4arch9wavefront6targetE0EEEvSK_.num_named_barrier, 0
	.set _ZN7rocprim17ROCPRIM_400000_NS6detail17trampoline_kernelINS0_14default_configENS1_36segmented_radix_sort_config_selectorIflEEZNS1_25segmented_radix_sort_implIS3_Lb1EPKfPfPKlPlN2at6native12_GLOBAL__N_18offset_tEEE10hipError_tPvRmT1_PNSt15iterator_traitsISK_E10value_typeET2_T3_PNSL_ISQ_E10value_typeET4_jRbjT5_SW_jjP12ihipStream_tbEUlT_E0_NS1_11comp_targetILNS1_3genE5ELNS1_11target_archE942ELNS1_3gpuE9ELNS1_3repE0EEENS1_60segmented_radix_sort_warp_sort_medium_config_static_selectorELNS0_4arch9wavefront6targetE0EEEvSK_.private_seg_size, 0
	.set _ZN7rocprim17ROCPRIM_400000_NS6detail17trampoline_kernelINS0_14default_configENS1_36segmented_radix_sort_config_selectorIflEEZNS1_25segmented_radix_sort_implIS3_Lb1EPKfPfPKlPlN2at6native12_GLOBAL__N_18offset_tEEE10hipError_tPvRmT1_PNSt15iterator_traitsISK_E10value_typeET2_T3_PNSL_ISQ_E10value_typeET4_jRbjT5_SW_jjP12ihipStream_tbEUlT_E0_NS1_11comp_targetILNS1_3genE5ELNS1_11target_archE942ELNS1_3gpuE9ELNS1_3repE0EEENS1_60segmented_radix_sort_warp_sort_medium_config_static_selectorELNS0_4arch9wavefront6targetE0EEEvSK_.uses_vcc, 0
	.set _ZN7rocprim17ROCPRIM_400000_NS6detail17trampoline_kernelINS0_14default_configENS1_36segmented_radix_sort_config_selectorIflEEZNS1_25segmented_radix_sort_implIS3_Lb1EPKfPfPKlPlN2at6native12_GLOBAL__N_18offset_tEEE10hipError_tPvRmT1_PNSt15iterator_traitsISK_E10value_typeET2_T3_PNSL_ISQ_E10value_typeET4_jRbjT5_SW_jjP12ihipStream_tbEUlT_E0_NS1_11comp_targetILNS1_3genE5ELNS1_11target_archE942ELNS1_3gpuE9ELNS1_3repE0EEENS1_60segmented_radix_sort_warp_sort_medium_config_static_selectorELNS0_4arch9wavefront6targetE0EEEvSK_.uses_flat_scratch, 0
	.set _ZN7rocprim17ROCPRIM_400000_NS6detail17trampoline_kernelINS0_14default_configENS1_36segmented_radix_sort_config_selectorIflEEZNS1_25segmented_radix_sort_implIS3_Lb1EPKfPfPKlPlN2at6native12_GLOBAL__N_18offset_tEEE10hipError_tPvRmT1_PNSt15iterator_traitsISK_E10value_typeET2_T3_PNSL_ISQ_E10value_typeET4_jRbjT5_SW_jjP12ihipStream_tbEUlT_E0_NS1_11comp_targetILNS1_3genE5ELNS1_11target_archE942ELNS1_3gpuE9ELNS1_3repE0EEENS1_60segmented_radix_sort_warp_sort_medium_config_static_selectorELNS0_4arch9wavefront6targetE0EEEvSK_.has_dyn_sized_stack, 0
	.set _ZN7rocprim17ROCPRIM_400000_NS6detail17trampoline_kernelINS0_14default_configENS1_36segmented_radix_sort_config_selectorIflEEZNS1_25segmented_radix_sort_implIS3_Lb1EPKfPfPKlPlN2at6native12_GLOBAL__N_18offset_tEEE10hipError_tPvRmT1_PNSt15iterator_traitsISK_E10value_typeET2_T3_PNSL_ISQ_E10value_typeET4_jRbjT5_SW_jjP12ihipStream_tbEUlT_E0_NS1_11comp_targetILNS1_3genE5ELNS1_11target_archE942ELNS1_3gpuE9ELNS1_3repE0EEENS1_60segmented_radix_sort_warp_sort_medium_config_static_selectorELNS0_4arch9wavefront6targetE0EEEvSK_.has_recursion, 0
	.set _ZN7rocprim17ROCPRIM_400000_NS6detail17trampoline_kernelINS0_14default_configENS1_36segmented_radix_sort_config_selectorIflEEZNS1_25segmented_radix_sort_implIS3_Lb1EPKfPfPKlPlN2at6native12_GLOBAL__N_18offset_tEEE10hipError_tPvRmT1_PNSt15iterator_traitsISK_E10value_typeET2_T3_PNSL_ISQ_E10value_typeET4_jRbjT5_SW_jjP12ihipStream_tbEUlT_E0_NS1_11comp_targetILNS1_3genE5ELNS1_11target_archE942ELNS1_3gpuE9ELNS1_3repE0EEENS1_60segmented_radix_sort_warp_sort_medium_config_static_selectorELNS0_4arch9wavefront6targetE0EEEvSK_.has_indirect_call, 0
	.section	.AMDGPU.csdata,"",@progbits
; Kernel info:
; codeLenInByte = 0
; TotalNumSgprs: 0
; NumVgprs: 0
; ScratchSize: 0
; MemoryBound: 0
; FloatMode: 240
; IeeeMode: 1
; LDSByteSize: 0 bytes/workgroup (compile time only)
; SGPRBlocks: 0
; VGPRBlocks: 0
; NumSGPRsForWavesPerEU: 1
; NumVGPRsForWavesPerEU: 1
; Occupancy: 16
; WaveLimiterHint : 0
; COMPUTE_PGM_RSRC2:SCRATCH_EN: 0
; COMPUTE_PGM_RSRC2:USER_SGPR: 2
; COMPUTE_PGM_RSRC2:TRAP_HANDLER: 0
; COMPUTE_PGM_RSRC2:TGID_X_EN: 1
; COMPUTE_PGM_RSRC2:TGID_Y_EN: 0
; COMPUTE_PGM_RSRC2:TGID_Z_EN: 0
; COMPUTE_PGM_RSRC2:TIDIG_COMP_CNT: 0
	.section	.text._ZN7rocprim17ROCPRIM_400000_NS6detail17trampoline_kernelINS0_14default_configENS1_36segmented_radix_sort_config_selectorIflEEZNS1_25segmented_radix_sort_implIS3_Lb1EPKfPfPKlPlN2at6native12_GLOBAL__N_18offset_tEEE10hipError_tPvRmT1_PNSt15iterator_traitsISK_E10value_typeET2_T3_PNSL_ISQ_E10value_typeET4_jRbjT5_SW_jjP12ihipStream_tbEUlT_E0_NS1_11comp_targetILNS1_3genE4ELNS1_11target_archE910ELNS1_3gpuE8ELNS1_3repE0EEENS1_60segmented_radix_sort_warp_sort_medium_config_static_selectorELNS0_4arch9wavefront6targetE0EEEvSK_,"axG",@progbits,_ZN7rocprim17ROCPRIM_400000_NS6detail17trampoline_kernelINS0_14default_configENS1_36segmented_radix_sort_config_selectorIflEEZNS1_25segmented_radix_sort_implIS3_Lb1EPKfPfPKlPlN2at6native12_GLOBAL__N_18offset_tEEE10hipError_tPvRmT1_PNSt15iterator_traitsISK_E10value_typeET2_T3_PNSL_ISQ_E10value_typeET4_jRbjT5_SW_jjP12ihipStream_tbEUlT_E0_NS1_11comp_targetILNS1_3genE4ELNS1_11target_archE910ELNS1_3gpuE8ELNS1_3repE0EEENS1_60segmented_radix_sort_warp_sort_medium_config_static_selectorELNS0_4arch9wavefront6targetE0EEEvSK_,comdat
	.globl	_ZN7rocprim17ROCPRIM_400000_NS6detail17trampoline_kernelINS0_14default_configENS1_36segmented_radix_sort_config_selectorIflEEZNS1_25segmented_radix_sort_implIS3_Lb1EPKfPfPKlPlN2at6native12_GLOBAL__N_18offset_tEEE10hipError_tPvRmT1_PNSt15iterator_traitsISK_E10value_typeET2_T3_PNSL_ISQ_E10value_typeET4_jRbjT5_SW_jjP12ihipStream_tbEUlT_E0_NS1_11comp_targetILNS1_3genE4ELNS1_11target_archE910ELNS1_3gpuE8ELNS1_3repE0EEENS1_60segmented_radix_sort_warp_sort_medium_config_static_selectorELNS0_4arch9wavefront6targetE0EEEvSK_ ; -- Begin function _ZN7rocprim17ROCPRIM_400000_NS6detail17trampoline_kernelINS0_14default_configENS1_36segmented_radix_sort_config_selectorIflEEZNS1_25segmented_radix_sort_implIS3_Lb1EPKfPfPKlPlN2at6native12_GLOBAL__N_18offset_tEEE10hipError_tPvRmT1_PNSt15iterator_traitsISK_E10value_typeET2_T3_PNSL_ISQ_E10value_typeET4_jRbjT5_SW_jjP12ihipStream_tbEUlT_E0_NS1_11comp_targetILNS1_3genE4ELNS1_11target_archE910ELNS1_3gpuE8ELNS1_3repE0EEENS1_60segmented_radix_sort_warp_sort_medium_config_static_selectorELNS0_4arch9wavefront6targetE0EEEvSK_
	.p2align	8
	.type	_ZN7rocprim17ROCPRIM_400000_NS6detail17trampoline_kernelINS0_14default_configENS1_36segmented_radix_sort_config_selectorIflEEZNS1_25segmented_radix_sort_implIS3_Lb1EPKfPfPKlPlN2at6native12_GLOBAL__N_18offset_tEEE10hipError_tPvRmT1_PNSt15iterator_traitsISK_E10value_typeET2_T3_PNSL_ISQ_E10value_typeET4_jRbjT5_SW_jjP12ihipStream_tbEUlT_E0_NS1_11comp_targetILNS1_3genE4ELNS1_11target_archE910ELNS1_3gpuE8ELNS1_3repE0EEENS1_60segmented_radix_sort_warp_sort_medium_config_static_selectorELNS0_4arch9wavefront6targetE0EEEvSK_,@function
_ZN7rocprim17ROCPRIM_400000_NS6detail17trampoline_kernelINS0_14default_configENS1_36segmented_radix_sort_config_selectorIflEEZNS1_25segmented_radix_sort_implIS3_Lb1EPKfPfPKlPlN2at6native12_GLOBAL__N_18offset_tEEE10hipError_tPvRmT1_PNSt15iterator_traitsISK_E10value_typeET2_T3_PNSL_ISQ_E10value_typeET4_jRbjT5_SW_jjP12ihipStream_tbEUlT_E0_NS1_11comp_targetILNS1_3genE4ELNS1_11target_archE910ELNS1_3gpuE8ELNS1_3repE0EEENS1_60segmented_radix_sort_warp_sort_medium_config_static_selectorELNS0_4arch9wavefront6targetE0EEEvSK_: ; @_ZN7rocprim17ROCPRIM_400000_NS6detail17trampoline_kernelINS0_14default_configENS1_36segmented_radix_sort_config_selectorIflEEZNS1_25segmented_radix_sort_implIS3_Lb1EPKfPfPKlPlN2at6native12_GLOBAL__N_18offset_tEEE10hipError_tPvRmT1_PNSt15iterator_traitsISK_E10value_typeET2_T3_PNSL_ISQ_E10value_typeET4_jRbjT5_SW_jjP12ihipStream_tbEUlT_E0_NS1_11comp_targetILNS1_3genE4ELNS1_11target_archE910ELNS1_3gpuE8ELNS1_3repE0EEENS1_60segmented_radix_sort_warp_sort_medium_config_static_selectorELNS0_4arch9wavefront6targetE0EEEvSK_
; %bb.0:
	.section	.rodata,"a",@progbits
	.p2align	6, 0x0
	.amdhsa_kernel _ZN7rocprim17ROCPRIM_400000_NS6detail17trampoline_kernelINS0_14default_configENS1_36segmented_radix_sort_config_selectorIflEEZNS1_25segmented_radix_sort_implIS3_Lb1EPKfPfPKlPlN2at6native12_GLOBAL__N_18offset_tEEE10hipError_tPvRmT1_PNSt15iterator_traitsISK_E10value_typeET2_T3_PNSL_ISQ_E10value_typeET4_jRbjT5_SW_jjP12ihipStream_tbEUlT_E0_NS1_11comp_targetILNS1_3genE4ELNS1_11target_archE910ELNS1_3gpuE8ELNS1_3repE0EEENS1_60segmented_radix_sort_warp_sort_medium_config_static_selectorELNS0_4arch9wavefront6targetE0EEEvSK_
		.amdhsa_group_segment_fixed_size 0
		.amdhsa_private_segment_fixed_size 0
		.amdhsa_kernarg_size 88
		.amdhsa_user_sgpr_count 2
		.amdhsa_user_sgpr_dispatch_ptr 0
		.amdhsa_user_sgpr_queue_ptr 0
		.amdhsa_user_sgpr_kernarg_segment_ptr 1
		.amdhsa_user_sgpr_dispatch_id 0
		.amdhsa_user_sgpr_private_segment_size 0
		.amdhsa_wavefront_size32 1
		.amdhsa_uses_dynamic_stack 0
		.amdhsa_enable_private_segment 0
		.amdhsa_system_sgpr_workgroup_id_x 1
		.amdhsa_system_sgpr_workgroup_id_y 0
		.amdhsa_system_sgpr_workgroup_id_z 0
		.amdhsa_system_sgpr_workgroup_info 0
		.amdhsa_system_vgpr_workitem_id 0
		.amdhsa_next_free_vgpr 1
		.amdhsa_next_free_sgpr 1
		.amdhsa_reserve_vcc 0
		.amdhsa_float_round_mode_32 0
		.amdhsa_float_round_mode_16_64 0
		.amdhsa_float_denorm_mode_32 3
		.amdhsa_float_denorm_mode_16_64 3
		.amdhsa_fp16_overflow 0
		.amdhsa_workgroup_processor_mode 1
		.amdhsa_memory_ordered 1
		.amdhsa_forward_progress 1
		.amdhsa_inst_pref_size 0
		.amdhsa_round_robin_scheduling 0
		.amdhsa_exception_fp_ieee_invalid_op 0
		.amdhsa_exception_fp_denorm_src 0
		.amdhsa_exception_fp_ieee_div_zero 0
		.amdhsa_exception_fp_ieee_overflow 0
		.amdhsa_exception_fp_ieee_underflow 0
		.amdhsa_exception_fp_ieee_inexact 0
		.amdhsa_exception_int_div_zero 0
	.end_amdhsa_kernel
	.section	.text._ZN7rocprim17ROCPRIM_400000_NS6detail17trampoline_kernelINS0_14default_configENS1_36segmented_radix_sort_config_selectorIflEEZNS1_25segmented_radix_sort_implIS3_Lb1EPKfPfPKlPlN2at6native12_GLOBAL__N_18offset_tEEE10hipError_tPvRmT1_PNSt15iterator_traitsISK_E10value_typeET2_T3_PNSL_ISQ_E10value_typeET4_jRbjT5_SW_jjP12ihipStream_tbEUlT_E0_NS1_11comp_targetILNS1_3genE4ELNS1_11target_archE910ELNS1_3gpuE8ELNS1_3repE0EEENS1_60segmented_radix_sort_warp_sort_medium_config_static_selectorELNS0_4arch9wavefront6targetE0EEEvSK_,"axG",@progbits,_ZN7rocprim17ROCPRIM_400000_NS6detail17trampoline_kernelINS0_14default_configENS1_36segmented_radix_sort_config_selectorIflEEZNS1_25segmented_radix_sort_implIS3_Lb1EPKfPfPKlPlN2at6native12_GLOBAL__N_18offset_tEEE10hipError_tPvRmT1_PNSt15iterator_traitsISK_E10value_typeET2_T3_PNSL_ISQ_E10value_typeET4_jRbjT5_SW_jjP12ihipStream_tbEUlT_E0_NS1_11comp_targetILNS1_3genE4ELNS1_11target_archE910ELNS1_3gpuE8ELNS1_3repE0EEENS1_60segmented_radix_sort_warp_sort_medium_config_static_selectorELNS0_4arch9wavefront6targetE0EEEvSK_,comdat
.Lfunc_end1337:
	.size	_ZN7rocprim17ROCPRIM_400000_NS6detail17trampoline_kernelINS0_14default_configENS1_36segmented_radix_sort_config_selectorIflEEZNS1_25segmented_radix_sort_implIS3_Lb1EPKfPfPKlPlN2at6native12_GLOBAL__N_18offset_tEEE10hipError_tPvRmT1_PNSt15iterator_traitsISK_E10value_typeET2_T3_PNSL_ISQ_E10value_typeET4_jRbjT5_SW_jjP12ihipStream_tbEUlT_E0_NS1_11comp_targetILNS1_3genE4ELNS1_11target_archE910ELNS1_3gpuE8ELNS1_3repE0EEENS1_60segmented_radix_sort_warp_sort_medium_config_static_selectorELNS0_4arch9wavefront6targetE0EEEvSK_, .Lfunc_end1337-_ZN7rocprim17ROCPRIM_400000_NS6detail17trampoline_kernelINS0_14default_configENS1_36segmented_radix_sort_config_selectorIflEEZNS1_25segmented_radix_sort_implIS3_Lb1EPKfPfPKlPlN2at6native12_GLOBAL__N_18offset_tEEE10hipError_tPvRmT1_PNSt15iterator_traitsISK_E10value_typeET2_T3_PNSL_ISQ_E10value_typeET4_jRbjT5_SW_jjP12ihipStream_tbEUlT_E0_NS1_11comp_targetILNS1_3genE4ELNS1_11target_archE910ELNS1_3gpuE8ELNS1_3repE0EEENS1_60segmented_radix_sort_warp_sort_medium_config_static_selectorELNS0_4arch9wavefront6targetE0EEEvSK_
                                        ; -- End function
	.set _ZN7rocprim17ROCPRIM_400000_NS6detail17trampoline_kernelINS0_14default_configENS1_36segmented_radix_sort_config_selectorIflEEZNS1_25segmented_radix_sort_implIS3_Lb1EPKfPfPKlPlN2at6native12_GLOBAL__N_18offset_tEEE10hipError_tPvRmT1_PNSt15iterator_traitsISK_E10value_typeET2_T3_PNSL_ISQ_E10value_typeET4_jRbjT5_SW_jjP12ihipStream_tbEUlT_E0_NS1_11comp_targetILNS1_3genE4ELNS1_11target_archE910ELNS1_3gpuE8ELNS1_3repE0EEENS1_60segmented_radix_sort_warp_sort_medium_config_static_selectorELNS0_4arch9wavefront6targetE0EEEvSK_.num_vgpr, 0
	.set _ZN7rocprim17ROCPRIM_400000_NS6detail17trampoline_kernelINS0_14default_configENS1_36segmented_radix_sort_config_selectorIflEEZNS1_25segmented_radix_sort_implIS3_Lb1EPKfPfPKlPlN2at6native12_GLOBAL__N_18offset_tEEE10hipError_tPvRmT1_PNSt15iterator_traitsISK_E10value_typeET2_T3_PNSL_ISQ_E10value_typeET4_jRbjT5_SW_jjP12ihipStream_tbEUlT_E0_NS1_11comp_targetILNS1_3genE4ELNS1_11target_archE910ELNS1_3gpuE8ELNS1_3repE0EEENS1_60segmented_radix_sort_warp_sort_medium_config_static_selectorELNS0_4arch9wavefront6targetE0EEEvSK_.num_agpr, 0
	.set _ZN7rocprim17ROCPRIM_400000_NS6detail17trampoline_kernelINS0_14default_configENS1_36segmented_radix_sort_config_selectorIflEEZNS1_25segmented_radix_sort_implIS3_Lb1EPKfPfPKlPlN2at6native12_GLOBAL__N_18offset_tEEE10hipError_tPvRmT1_PNSt15iterator_traitsISK_E10value_typeET2_T3_PNSL_ISQ_E10value_typeET4_jRbjT5_SW_jjP12ihipStream_tbEUlT_E0_NS1_11comp_targetILNS1_3genE4ELNS1_11target_archE910ELNS1_3gpuE8ELNS1_3repE0EEENS1_60segmented_radix_sort_warp_sort_medium_config_static_selectorELNS0_4arch9wavefront6targetE0EEEvSK_.numbered_sgpr, 0
	.set _ZN7rocprim17ROCPRIM_400000_NS6detail17trampoline_kernelINS0_14default_configENS1_36segmented_radix_sort_config_selectorIflEEZNS1_25segmented_radix_sort_implIS3_Lb1EPKfPfPKlPlN2at6native12_GLOBAL__N_18offset_tEEE10hipError_tPvRmT1_PNSt15iterator_traitsISK_E10value_typeET2_T3_PNSL_ISQ_E10value_typeET4_jRbjT5_SW_jjP12ihipStream_tbEUlT_E0_NS1_11comp_targetILNS1_3genE4ELNS1_11target_archE910ELNS1_3gpuE8ELNS1_3repE0EEENS1_60segmented_radix_sort_warp_sort_medium_config_static_selectorELNS0_4arch9wavefront6targetE0EEEvSK_.num_named_barrier, 0
	.set _ZN7rocprim17ROCPRIM_400000_NS6detail17trampoline_kernelINS0_14default_configENS1_36segmented_radix_sort_config_selectorIflEEZNS1_25segmented_radix_sort_implIS3_Lb1EPKfPfPKlPlN2at6native12_GLOBAL__N_18offset_tEEE10hipError_tPvRmT1_PNSt15iterator_traitsISK_E10value_typeET2_T3_PNSL_ISQ_E10value_typeET4_jRbjT5_SW_jjP12ihipStream_tbEUlT_E0_NS1_11comp_targetILNS1_3genE4ELNS1_11target_archE910ELNS1_3gpuE8ELNS1_3repE0EEENS1_60segmented_radix_sort_warp_sort_medium_config_static_selectorELNS0_4arch9wavefront6targetE0EEEvSK_.private_seg_size, 0
	.set _ZN7rocprim17ROCPRIM_400000_NS6detail17trampoline_kernelINS0_14default_configENS1_36segmented_radix_sort_config_selectorIflEEZNS1_25segmented_radix_sort_implIS3_Lb1EPKfPfPKlPlN2at6native12_GLOBAL__N_18offset_tEEE10hipError_tPvRmT1_PNSt15iterator_traitsISK_E10value_typeET2_T3_PNSL_ISQ_E10value_typeET4_jRbjT5_SW_jjP12ihipStream_tbEUlT_E0_NS1_11comp_targetILNS1_3genE4ELNS1_11target_archE910ELNS1_3gpuE8ELNS1_3repE0EEENS1_60segmented_radix_sort_warp_sort_medium_config_static_selectorELNS0_4arch9wavefront6targetE0EEEvSK_.uses_vcc, 0
	.set _ZN7rocprim17ROCPRIM_400000_NS6detail17trampoline_kernelINS0_14default_configENS1_36segmented_radix_sort_config_selectorIflEEZNS1_25segmented_radix_sort_implIS3_Lb1EPKfPfPKlPlN2at6native12_GLOBAL__N_18offset_tEEE10hipError_tPvRmT1_PNSt15iterator_traitsISK_E10value_typeET2_T3_PNSL_ISQ_E10value_typeET4_jRbjT5_SW_jjP12ihipStream_tbEUlT_E0_NS1_11comp_targetILNS1_3genE4ELNS1_11target_archE910ELNS1_3gpuE8ELNS1_3repE0EEENS1_60segmented_radix_sort_warp_sort_medium_config_static_selectorELNS0_4arch9wavefront6targetE0EEEvSK_.uses_flat_scratch, 0
	.set _ZN7rocprim17ROCPRIM_400000_NS6detail17trampoline_kernelINS0_14default_configENS1_36segmented_radix_sort_config_selectorIflEEZNS1_25segmented_radix_sort_implIS3_Lb1EPKfPfPKlPlN2at6native12_GLOBAL__N_18offset_tEEE10hipError_tPvRmT1_PNSt15iterator_traitsISK_E10value_typeET2_T3_PNSL_ISQ_E10value_typeET4_jRbjT5_SW_jjP12ihipStream_tbEUlT_E0_NS1_11comp_targetILNS1_3genE4ELNS1_11target_archE910ELNS1_3gpuE8ELNS1_3repE0EEENS1_60segmented_radix_sort_warp_sort_medium_config_static_selectorELNS0_4arch9wavefront6targetE0EEEvSK_.has_dyn_sized_stack, 0
	.set _ZN7rocprim17ROCPRIM_400000_NS6detail17trampoline_kernelINS0_14default_configENS1_36segmented_radix_sort_config_selectorIflEEZNS1_25segmented_radix_sort_implIS3_Lb1EPKfPfPKlPlN2at6native12_GLOBAL__N_18offset_tEEE10hipError_tPvRmT1_PNSt15iterator_traitsISK_E10value_typeET2_T3_PNSL_ISQ_E10value_typeET4_jRbjT5_SW_jjP12ihipStream_tbEUlT_E0_NS1_11comp_targetILNS1_3genE4ELNS1_11target_archE910ELNS1_3gpuE8ELNS1_3repE0EEENS1_60segmented_radix_sort_warp_sort_medium_config_static_selectorELNS0_4arch9wavefront6targetE0EEEvSK_.has_recursion, 0
	.set _ZN7rocprim17ROCPRIM_400000_NS6detail17trampoline_kernelINS0_14default_configENS1_36segmented_radix_sort_config_selectorIflEEZNS1_25segmented_radix_sort_implIS3_Lb1EPKfPfPKlPlN2at6native12_GLOBAL__N_18offset_tEEE10hipError_tPvRmT1_PNSt15iterator_traitsISK_E10value_typeET2_T3_PNSL_ISQ_E10value_typeET4_jRbjT5_SW_jjP12ihipStream_tbEUlT_E0_NS1_11comp_targetILNS1_3genE4ELNS1_11target_archE910ELNS1_3gpuE8ELNS1_3repE0EEENS1_60segmented_radix_sort_warp_sort_medium_config_static_selectorELNS0_4arch9wavefront6targetE0EEEvSK_.has_indirect_call, 0
	.section	.AMDGPU.csdata,"",@progbits
; Kernel info:
; codeLenInByte = 0
; TotalNumSgprs: 0
; NumVgprs: 0
; ScratchSize: 0
; MemoryBound: 0
; FloatMode: 240
; IeeeMode: 1
; LDSByteSize: 0 bytes/workgroup (compile time only)
; SGPRBlocks: 0
; VGPRBlocks: 0
; NumSGPRsForWavesPerEU: 1
; NumVGPRsForWavesPerEU: 1
; Occupancy: 16
; WaveLimiterHint : 0
; COMPUTE_PGM_RSRC2:SCRATCH_EN: 0
; COMPUTE_PGM_RSRC2:USER_SGPR: 2
; COMPUTE_PGM_RSRC2:TRAP_HANDLER: 0
; COMPUTE_PGM_RSRC2:TGID_X_EN: 1
; COMPUTE_PGM_RSRC2:TGID_Y_EN: 0
; COMPUTE_PGM_RSRC2:TGID_Z_EN: 0
; COMPUTE_PGM_RSRC2:TIDIG_COMP_CNT: 0
	.section	.text._ZN7rocprim17ROCPRIM_400000_NS6detail17trampoline_kernelINS0_14default_configENS1_36segmented_radix_sort_config_selectorIflEEZNS1_25segmented_radix_sort_implIS3_Lb1EPKfPfPKlPlN2at6native12_GLOBAL__N_18offset_tEEE10hipError_tPvRmT1_PNSt15iterator_traitsISK_E10value_typeET2_T3_PNSL_ISQ_E10value_typeET4_jRbjT5_SW_jjP12ihipStream_tbEUlT_E0_NS1_11comp_targetILNS1_3genE3ELNS1_11target_archE908ELNS1_3gpuE7ELNS1_3repE0EEENS1_60segmented_radix_sort_warp_sort_medium_config_static_selectorELNS0_4arch9wavefront6targetE0EEEvSK_,"axG",@progbits,_ZN7rocprim17ROCPRIM_400000_NS6detail17trampoline_kernelINS0_14default_configENS1_36segmented_radix_sort_config_selectorIflEEZNS1_25segmented_radix_sort_implIS3_Lb1EPKfPfPKlPlN2at6native12_GLOBAL__N_18offset_tEEE10hipError_tPvRmT1_PNSt15iterator_traitsISK_E10value_typeET2_T3_PNSL_ISQ_E10value_typeET4_jRbjT5_SW_jjP12ihipStream_tbEUlT_E0_NS1_11comp_targetILNS1_3genE3ELNS1_11target_archE908ELNS1_3gpuE7ELNS1_3repE0EEENS1_60segmented_radix_sort_warp_sort_medium_config_static_selectorELNS0_4arch9wavefront6targetE0EEEvSK_,comdat
	.globl	_ZN7rocprim17ROCPRIM_400000_NS6detail17trampoline_kernelINS0_14default_configENS1_36segmented_radix_sort_config_selectorIflEEZNS1_25segmented_radix_sort_implIS3_Lb1EPKfPfPKlPlN2at6native12_GLOBAL__N_18offset_tEEE10hipError_tPvRmT1_PNSt15iterator_traitsISK_E10value_typeET2_T3_PNSL_ISQ_E10value_typeET4_jRbjT5_SW_jjP12ihipStream_tbEUlT_E0_NS1_11comp_targetILNS1_3genE3ELNS1_11target_archE908ELNS1_3gpuE7ELNS1_3repE0EEENS1_60segmented_radix_sort_warp_sort_medium_config_static_selectorELNS0_4arch9wavefront6targetE0EEEvSK_ ; -- Begin function _ZN7rocprim17ROCPRIM_400000_NS6detail17trampoline_kernelINS0_14default_configENS1_36segmented_radix_sort_config_selectorIflEEZNS1_25segmented_radix_sort_implIS3_Lb1EPKfPfPKlPlN2at6native12_GLOBAL__N_18offset_tEEE10hipError_tPvRmT1_PNSt15iterator_traitsISK_E10value_typeET2_T3_PNSL_ISQ_E10value_typeET4_jRbjT5_SW_jjP12ihipStream_tbEUlT_E0_NS1_11comp_targetILNS1_3genE3ELNS1_11target_archE908ELNS1_3gpuE7ELNS1_3repE0EEENS1_60segmented_radix_sort_warp_sort_medium_config_static_selectorELNS0_4arch9wavefront6targetE0EEEvSK_
	.p2align	8
	.type	_ZN7rocprim17ROCPRIM_400000_NS6detail17trampoline_kernelINS0_14default_configENS1_36segmented_radix_sort_config_selectorIflEEZNS1_25segmented_radix_sort_implIS3_Lb1EPKfPfPKlPlN2at6native12_GLOBAL__N_18offset_tEEE10hipError_tPvRmT1_PNSt15iterator_traitsISK_E10value_typeET2_T3_PNSL_ISQ_E10value_typeET4_jRbjT5_SW_jjP12ihipStream_tbEUlT_E0_NS1_11comp_targetILNS1_3genE3ELNS1_11target_archE908ELNS1_3gpuE7ELNS1_3repE0EEENS1_60segmented_radix_sort_warp_sort_medium_config_static_selectorELNS0_4arch9wavefront6targetE0EEEvSK_,@function
_ZN7rocprim17ROCPRIM_400000_NS6detail17trampoline_kernelINS0_14default_configENS1_36segmented_radix_sort_config_selectorIflEEZNS1_25segmented_radix_sort_implIS3_Lb1EPKfPfPKlPlN2at6native12_GLOBAL__N_18offset_tEEE10hipError_tPvRmT1_PNSt15iterator_traitsISK_E10value_typeET2_T3_PNSL_ISQ_E10value_typeET4_jRbjT5_SW_jjP12ihipStream_tbEUlT_E0_NS1_11comp_targetILNS1_3genE3ELNS1_11target_archE908ELNS1_3gpuE7ELNS1_3repE0EEENS1_60segmented_radix_sort_warp_sort_medium_config_static_selectorELNS0_4arch9wavefront6targetE0EEEvSK_: ; @_ZN7rocprim17ROCPRIM_400000_NS6detail17trampoline_kernelINS0_14default_configENS1_36segmented_radix_sort_config_selectorIflEEZNS1_25segmented_radix_sort_implIS3_Lb1EPKfPfPKlPlN2at6native12_GLOBAL__N_18offset_tEEE10hipError_tPvRmT1_PNSt15iterator_traitsISK_E10value_typeET2_T3_PNSL_ISQ_E10value_typeET4_jRbjT5_SW_jjP12ihipStream_tbEUlT_E0_NS1_11comp_targetILNS1_3genE3ELNS1_11target_archE908ELNS1_3gpuE7ELNS1_3repE0EEENS1_60segmented_radix_sort_warp_sort_medium_config_static_selectorELNS0_4arch9wavefront6targetE0EEEvSK_
; %bb.0:
	.section	.rodata,"a",@progbits
	.p2align	6, 0x0
	.amdhsa_kernel _ZN7rocprim17ROCPRIM_400000_NS6detail17trampoline_kernelINS0_14default_configENS1_36segmented_radix_sort_config_selectorIflEEZNS1_25segmented_radix_sort_implIS3_Lb1EPKfPfPKlPlN2at6native12_GLOBAL__N_18offset_tEEE10hipError_tPvRmT1_PNSt15iterator_traitsISK_E10value_typeET2_T3_PNSL_ISQ_E10value_typeET4_jRbjT5_SW_jjP12ihipStream_tbEUlT_E0_NS1_11comp_targetILNS1_3genE3ELNS1_11target_archE908ELNS1_3gpuE7ELNS1_3repE0EEENS1_60segmented_radix_sort_warp_sort_medium_config_static_selectorELNS0_4arch9wavefront6targetE0EEEvSK_
		.amdhsa_group_segment_fixed_size 0
		.amdhsa_private_segment_fixed_size 0
		.amdhsa_kernarg_size 88
		.amdhsa_user_sgpr_count 2
		.amdhsa_user_sgpr_dispatch_ptr 0
		.amdhsa_user_sgpr_queue_ptr 0
		.amdhsa_user_sgpr_kernarg_segment_ptr 1
		.amdhsa_user_sgpr_dispatch_id 0
		.amdhsa_user_sgpr_private_segment_size 0
		.amdhsa_wavefront_size32 1
		.amdhsa_uses_dynamic_stack 0
		.amdhsa_enable_private_segment 0
		.amdhsa_system_sgpr_workgroup_id_x 1
		.amdhsa_system_sgpr_workgroup_id_y 0
		.amdhsa_system_sgpr_workgroup_id_z 0
		.amdhsa_system_sgpr_workgroup_info 0
		.amdhsa_system_vgpr_workitem_id 0
		.amdhsa_next_free_vgpr 1
		.amdhsa_next_free_sgpr 1
		.amdhsa_reserve_vcc 0
		.amdhsa_float_round_mode_32 0
		.amdhsa_float_round_mode_16_64 0
		.amdhsa_float_denorm_mode_32 3
		.amdhsa_float_denorm_mode_16_64 3
		.amdhsa_fp16_overflow 0
		.amdhsa_workgroup_processor_mode 1
		.amdhsa_memory_ordered 1
		.amdhsa_forward_progress 1
		.amdhsa_inst_pref_size 0
		.amdhsa_round_robin_scheduling 0
		.amdhsa_exception_fp_ieee_invalid_op 0
		.amdhsa_exception_fp_denorm_src 0
		.amdhsa_exception_fp_ieee_div_zero 0
		.amdhsa_exception_fp_ieee_overflow 0
		.amdhsa_exception_fp_ieee_underflow 0
		.amdhsa_exception_fp_ieee_inexact 0
		.amdhsa_exception_int_div_zero 0
	.end_amdhsa_kernel
	.section	.text._ZN7rocprim17ROCPRIM_400000_NS6detail17trampoline_kernelINS0_14default_configENS1_36segmented_radix_sort_config_selectorIflEEZNS1_25segmented_radix_sort_implIS3_Lb1EPKfPfPKlPlN2at6native12_GLOBAL__N_18offset_tEEE10hipError_tPvRmT1_PNSt15iterator_traitsISK_E10value_typeET2_T3_PNSL_ISQ_E10value_typeET4_jRbjT5_SW_jjP12ihipStream_tbEUlT_E0_NS1_11comp_targetILNS1_3genE3ELNS1_11target_archE908ELNS1_3gpuE7ELNS1_3repE0EEENS1_60segmented_radix_sort_warp_sort_medium_config_static_selectorELNS0_4arch9wavefront6targetE0EEEvSK_,"axG",@progbits,_ZN7rocprim17ROCPRIM_400000_NS6detail17trampoline_kernelINS0_14default_configENS1_36segmented_radix_sort_config_selectorIflEEZNS1_25segmented_radix_sort_implIS3_Lb1EPKfPfPKlPlN2at6native12_GLOBAL__N_18offset_tEEE10hipError_tPvRmT1_PNSt15iterator_traitsISK_E10value_typeET2_T3_PNSL_ISQ_E10value_typeET4_jRbjT5_SW_jjP12ihipStream_tbEUlT_E0_NS1_11comp_targetILNS1_3genE3ELNS1_11target_archE908ELNS1_3gpuE7ELNS1_3repE0EEENS1_60segmented_radix_sort_warp_sort_medium_config_static_selectorELNS0_4arch9wavefront6targetE0EEEvSK_,comdat
.Lfunc_end1338:
	.size	_ZN7rocprim17ROCPRIM_400000_NS6detail17trampoline_kernelINS0_14default_configENS1_36segmented_radix_sort_config_selectorIflEEZNS1_25segmented_radix_sort_implIS3_Lb1EPKfPfPKlPlN2at6native12_GLOBAL__N_18offset_tEEE10hipError_tPvRmT1_PNSt15iterator_traitsISK_E10value_typeET2_T3_PNSL_ISQ_E10value_typeET4_jRbjT5_SW_jjP12ihipStream_tbEUlT_E0_NS1_11comp_targetILNS1_3genE3ELNS1_11target_archE908ELNS1_3gpuE7ELNS1_3repE0EEENS1_60segmented_radix_sort_warp_sort_medium_config_static_selectorELNS0_4arch9wavefront6targetE0EEEvSK_, .Lfunc_end1338-_ZN7rocprim17ROCPRIM_400000_NS6detail17trampoline_kernelINS0_14default_configENS1_36segmented_radix_sort_config_selectorIflEEZNS1_25segmented_radix_sort_implIS3_Lb1EPKfPfPKlPlN2at6native12_GLOBAL__N_18offset_tEEE10hipError_tPvRmT1_PNSt15iterator_traitsISK_E10value_typeET2_T3_PNSL_ISQ_E10value_typeET4_jRbjT5_SW_jjP12ihipStream_tbEUlT_E0_NS1_11comp_targetILNS1_3genE3ELNS1_11target_archE908ELNS1_3gpuE7ELNS1_3repE0EEENS1_60segmented_radix_sort_warp_sort_medium_config_static_selectorELNS0_4arch9wavefront6targetE0EEEvSK_
                                        ; -- End function
	.set _ZN7rocprim17ROCPRIM_400000_NS6detail17trampoline_kernelINS0_14default_configENS1_36segmented_radix_sort_config_selectorIflEEZNS1_25segmented_radix_sort_implIS3_Lb1EPKfPfPKlPlN2at6native12_GLOBAL__N_18offset_tEEE10hipError_tPvRmT1_PNSt15iterator_traitsISK_E10value_typeET2_T3_PNSL_ISQ_E10value_typeET4_jRbjT5_SW_jjP12ihipStream_tbEUlT_E0_NS1_11comp_targetILNS1_3genE3ELNS1_11target_archE908ELNS1_3gpuE7ELNS1_3repE0EEENS1_60segmented_radix_sort_warp_sort_medium_config_static_selectorELNS0_4arch9wavefront6targetE0EEEvSK_.num_vgpr, 0
	.set _ZN7rocprim17ROCPRIM_400000_NS6detail17trampoline_kernelINS0_14default_configENS1_36segmented_radix_sort_config_selectorIflEEZNS1_25segmented_radix_sort_implIS3_Lb1EPKfPfPKlPlN2at6native12_GLOBAL__N_18offset_tEEE10hipError_tPvRmT1_PNSt15iterator_traitsISK_E10value_typeET2_T3_PNSL_ISQ_E10value_typeET4_jRbjT5_SW_jjP12ihipStream_tbEUlT_E0_NS1_11comp_targetILNS1_3genE3ELNS1_11target_archE908ELNS1_3gpuE7ELNS1_3repE0EEENS1_60segmented_radix_sort_warp_sort_medium_config_static_selectorELNS0_4arch9wavefront6targetE0EEEvSK_.num_agpr, 0
	.set _ZN7rocprim17ROCPRIM_400000_NS6detail17trampoline_kernelINS0_14default_configENS1_36segmented_radix_sort_config_selectorIflEEZNS1_25segmented_radix_sort_implIS3_Lb1EPKfPfPKlPlN2at6native12_GLOBAL__N_18offset_tEEE10hipError_tPvRmT1_PNSt15iterator_traitsISK_E10value_typeET2_T3_PNSL_ISQ_E10value_typeET4_jRbjT5_SW_jjP12ihipStream_tbEUlT_E0_NS1_11comp_targetILNS1_3genE3ELNS1_11target_archE908ELNS1_3gpuE7ELNS1_3repE0EEENS1_60segmented_radix_sort_warp_sort_medium_config_static_selectorELNS0_4arch9wavefront6targetE0EEEvSK_.numbered_sgpr, 0
	.set _ZN7rocprim17ROCPRIM_400000_NS6detail17trampoline_kernelINS0_14default_configENS1_36segmented_radix_sort_config_selectorIflEEZNS1_25segmented_radix_sort_implIS3_Lb1EPKfPfPKlPlN2at6native12_GLOBAL__N_18offset_tEEE10hipError_tPvRmT1_PNSt15iterator_traitsISK_E10value_typeET2_T3_PNSL_ISQ_E10value_typeET4_jRbjT5_SW_jjP12ihipStream_tbEUlT_E0_NS1_11comp_targetILNS1_3genE3ELNS1_11target_archE908ELNS1_3gpuE7ELNS1_3repE0EEENS1_60segmented_radix_sort_warp_sort_medium_config_static_selectorELNS0_4arch9wavefront6targetE0EEEvSK_.num_named_barrier, 0
	.set _ZN7rocprim17ROCPRIM_400000_NS6detail17trampoline_kernelINS0_14default_configENS1_36segmented_radix_sort_config_selectorIflEEZNS1_25segmented_radix_sort_implIS3_Lb1EPKfPfPKlPlN2at6native12_GLOBAL__N_18offset_tEEE10hipError_tPvRmT1_PNSt15iterator_traitsISK_E10value_typeET2_T3_PNSL_ISQ_E10value_typeET4_jRbjT5_SW_jjP12ihipStream_tbEUlT_E0_NS1_11comp_targetILNS1_3genE3ELNS1_11target_archE908ELNS1_3gpuE7ELNS1_3repE0EEENS1_60segmented_radix_sort_warp_sort_medium_config_static_selectorELNS0_4arch9wavefront6targetE0EEEvSK_.private_seg_size, 0
	.set _ZN7rocprim17ROCPRIM_400000_NS6detail17trampoline_kernelINS0_14default_configENS1_36segmented_radix_sort_config_selectorIflEEZNS1_25segmented_radix_sort_implIS3_Lb1EPKfPfPKlPlN2at6native12_GLOBAL__N_18offset_tEEE10hipError_tPvRmT1_PNSt15iterator_traitsISK_E10value_typeET2_T3_PNSL_ISQ_E10value_typeET4_jRbjT5_SW_jjP12ihipStream_tbEUlT_E0_NS1_11comp_targetILNS1_3genE3ELNS1_11target_archE908ELNS1_3gpuE7ELNS1_3repE0EEENS1_60segmented_radix_sort_warp_sort_medium_config_static_selectorELNS0_4arch9wavefront6targetE0EEEvSK_.uses_vcc, 0
	.set _ZN7rocprim17ROCPRIM_400000_NS6detail17trampoline_kernelINS0_14default_configENS1_36segmented_radix_sort_config_selectorIflEEZNS1_25segmented_radix_sort_implIS3_Lb1EPKfPfPKlPlN2at6native12_GLOBAL__N_18offset_tEEE10hipError_tPvRmT1_PNSt15iterator_traitsISK_E10value_typeET2_T3_PNSL_ISQ_E10value_typeET4_jRbjT5_SW_jjP12ihipStream_tbEUlT_E0_NS1_11comp_targetILNS1_3genE3ELNS1_11target_archE908ELNS1_3gpuE7ELNS1_3repE0EEENS1_60segmented_radix_sort_warp_sort_medium_config_static_selectorELNS0_4arch9wavefront6targetE0EEEvSK_.uses_flat_scratch, 0
	.set _ZN7rocprim17ROCPRIM_400000_NS6detail17trampoline_kernelINS0_14default_configENS1_36segmented_radix_sort_config_selectorIflEEZNS1_25segmented_radix_sort_implIS3_Lb1EPKfPfPKlPlN2at6native12_GLOBAL__N_18offset_tEEE10hipError_tPvRmT1_PNSt15iterator_traitsISK_E10value_typeET2_T3_PNSL_ISQ_E10value_typeET4_jRbjT5_SW_jjP12ihipStream_tbEUlT_E0_NS1_11comp_targetILNS1_3genE3ELNS1_11target_archE908ELNS1_3gpuE7ELNS1_3repE0EEENS1_60segmented_radix_sort_warp_sort_medium_config_static_selectorELNS0_4arch9wavefront6targetE0EEEvSK_.has_dyn_sized_stack, 0
	.set _ZN7rocprim17ROCPRIM_400000_NS6detail17trampoline_kernelINS0_14default_configENS1_36segmented_radix_sort_config_selectorIflEEZNS1_25segmented_radix_sort_implIS3_Lb1EPKfPfPKlPlN2at6native12_GLOBAL__N_18offset_tEEE10hipError_tPvRmT1_PNSt15iterator_traitsISK_E10value_typeET2_T3_PNSL_ISQ_E10value_typeET4_jRbjT5_SW_jjP12ihipStream_tbEUlT_E0_NS1_11comp_targetILNS1_3genE3ELNS1_11target_archE908ELNS1_3gpuE7ELNS1_3repE0EEENS1_60segmented_radix_sort_warp_sort_medium_config_static_selectorELNS0_4arch9wavefront6targetE0EEEvSK_.has_recursion, 0
	.set _ZN7rocprim17ROCPRIM_400000_NS6detail17trampoline_kernelINS0_14default_configENS1_36segmented_radix_sort_config_selectorIflEEZNS1_25segmented_radix_sort_implIS3_Lb1EPKfPfPKlPlN2at6native12_GLOBAL__N_18offset_tEEE10hipError_tPvRmT1_PNSt15iterator_traitsISK_E10value_typeET2_T3_PNSL_ISQ_E10value_typeET4_jRbjT5_SW_jjP12ihipStream_tbEUlT_E0_NS1_11comp_targetILNS1_3genE3ELNS1_11target_archE908ELNS1_3gpuE7ELNS1_3repE0EEENS1_60segmented_radix_sort_warp_sort_medium_config_static_selectorELNS0_4arch9wavefront6targetE0EEEvSK_.has_indirect_call, 0
	.section	.AMDGPU.csdata,"",@progbits
; Kernel info:
; codeLenInByte = 0
; TotalNumSgprs: 0
; NumVgprs: 0
; ScratchSize: 0
; MemoryBound: 0
; FloatMode: 240
; IeeeMode: 1
; LDSByteSize: 0 bytes/workgroup (compile time only)
; SGPRBlocks: 0
; VGPRBlocks: 0
; NumSGPRsForWavesPerEU: 1
; NumVGPRsForWavesPerEU: 1
; Occupancy: 16
; WaveLimiterHint : 0
; COMPUTE_PGM_RSRC2:SCRATCH_EN: 0
; COMPUTE_PGM_RSRC2:USER_SGPR: 2
; COMPUTE_PGM_RSRC2:TRAP_HANDLER: 0
; COMPUTE_PGM_RSRC2:TGID_X_EN: 1
; COMPUTE_PGM_RSRC2:TGID_Y_EN: 0
; COMPUTE_PGM_RSRC2:TGID_Z_EN: 0
; COMPUTE_PGM_RSRC2:TIDIG_COMP_CNT: 0
	.section	.text._ZN7rocprim17ROCPRIM_400000_NS6detail17trampoline_kernelINS0_14default_configENS1_36segmented_radix_sort_config_selectorIflEEZNS1_25segmented_radix_sort_implIS3_Lb1EPKfPfPKlPlN2at6native12_GLOBAL__N_18offset_tEEE10hipError_tPvRmT1_PNSt15iterator_traitsISK_E10value_typeET2_T3_PNSL_ISQ_E10value_typeET4_jRbjT5_SW_jjP12ihipStream_tbEUlT_E0_NS1_11comp_targetILNS1_3genE2ELNS1_11target_archE906ELNS1_3gpuE6ELNS1_3repE0EEENS1_60segmented_radix_sort_warp_sort_medium_config_static_selectorELNS0_4arch9wavefront6targetE0EEEvSK_,"axG",@progbits,_ZN7rocprim17ROCPRIM_400000_NS6detail17trampoline_kernelINS0_14default_configENS1_36segmented_radix_sort_config_selectorIflEEZNS1_25segmented_radix_sort_implIS3_Lb1EPKfPfPKlPlN2at6native12_GLOBAL__N_18offset_tEEE10hipError_tPvRmT1_PNSt15iterator_traitsISK_E10value_typeET2_T3_PNSL_ISQ_E10value_typeET4_jRbjT5_SW_jjP12ihipStream_tbEUlT_E0_NS1_11comp_targetILNS1_3genE2ELNS1_11target_archE906ELNS1_3gpuE6ELNS1_3repE0EEENS1_60segmented_radix_sort_warp_sort_medium_config_static_selectorELNS0_4arch9wavefront6targetE0EEEvSK_,comdat
	.globl	_ZN7rocprim17ROCPRIM_400000_NS6detail17trampoline_kernelINS0_14default_configENS1_36segmented_radix_sort_config_selectorIflEEZNS1_25segmented_radix_sort_implIS3_Lb1EPKfPfPKlPlN2at6native12_GLOBAL__N_18offset_tEEE10hipError_tPvRmT1_PNSt15iterator_traitsISK_E10value_typeET2_T3_PNSL_ISQ_E10value_typeET4_jRbjT5_SW_jjP12ihipStream_tbEUlT_E0_NS1_11comp_targetILNS1_3genE2ELNS1_11target_archE906ELNS1_3gpuE6ELNS1_3repE0EEENS1_60segmented_radix_sort_warp_sort_medium_config_static_selectorELNS0_4arch9wavefront6targetE0EEEvSK_ ; -- Begin function _ZN7rocprim17ROCPRIM_400000_NS6detail17trampoline_kernelINS0_14default_configENS1_36segmented_radix_sort_config_selectorIflEEZNS1_25segmented_radix_sort_implIS3_Lb1EPKfPfPKlPlN2at6native12_GLOBAL__N_18offset_tEEE10hipError_tPvRmT1_PNSt15iterator_traitsISK_E10value_typeET2_T3_PNSL_ISQ_E10value_typeET4_jRbjT5_SW_jjP12ihipStream_tbEUlT_E0_NS1_11comp_targetILNS1_3genE2ELNS1_11target_archE906ELNS1_3gpuE6ELNS1_3repE0EEENS1_60segmented_radix_sort_warp_sort_medium_config_static_selectorELNS0_4arch9wavefront6targetE0EEEvSK_
	.p2align	8
	.type	_ZN7rocprim17ROCPRIM_400000_NS6detail17trampoline_kernelINS0_14default_configENS1_36segmented_radix_sort_config_selectorIflEEZNS1_25segmented_radix_sort_implIS3_Lb1EPKfPfPKlPlN2at6native12_GLOBAL__N_18offset_tEEE10hipError_tPvRmT1_PNSt15iterator_traitsISK_E10value_typeET2_T3_PNSL_ISQ_E10value_typeET4_jRbjT5_SW_jjP12ihipStream_tbEUlT_E0_NS1_11comp_targetILNS1_3genE2ELNS1_11target_archE906ELNS1_3gpuE6ELNS1_3repE0EEENS1_60segmented_radix_sort_warp_sort_medium_config_static_selectorELNS0_4arch9wavefront6targetE0EEEvSK_,@function
_ZN7rocprim17ROCPRIM_400000_NS6detail17trampoline_kernelINS0_14default_configENS1_36segmented_radix_sort_config_selectorIflEEZNS1_25segmented_radix_sort_implIS3_Lb1EPKfPfPKlPlN2at6native12_GLOBAL__N_18offset_tEEE10hipError_tPvRmT1_PNSt15iterator_traitsISK_E10value_typeET2_T3_PNSL_ISQ_E10value_typeET4_jRbjT5_SW_jjP12ihipStream_tbEUlT_E0_NS1_11comp_targetILNS1_3genE2ELNS1_11target_archE906ELNS1_3gpuE6ELNS1_3repE0EEENS1_60segmented_radix_sort_warp_sort_medium_config_static_selectorELNS0_4arch9wavefront6targetE0EEEvSK_: ; @_ZN7rocprim17ROCPRIM_400000_NS6detail17trampoline_kernelINS0_14default_configENS1_36segmented_radix_sort_config_selectorIflEEZNS1_25segmented_radix_sort_implIS3_Lb1EPKfPfPKlPlN2at6native12_GLOBAL__N_18offset_tEEE10hipError_tPvRmT1_PNSt15iterator_traitsISK_E10value_typeET2_T3_PNSL_ISQ_E10value_typeET4_jRbjT5_SW_jjP12ihipStream_tbEUlT_E0_NS1_11comp_targetILNS1_3genE2ELNS1_11target_archE906ELNS1_3gpuE6ELNS1_3repE0EEENS1_60segmented_radix_sort_warp_sort_medium_config_static_selectorELNS0_4arch9wavefront6targetE0EEEvSK_
; %bb.0:
	.section	.rodata,"a",@progbits
	.p2align	6, 0x0
	.amdhsa_kernel _ZN7rocprim17ROCPRIM_400000_NS6detail17trampoline_kernelINS0_14default_configENS1_36segmented_radix_sort_config_selectorIflEEZNS1_25segmented_radix_sort_implIS3_Lb1EPKfPfPKlPlN2at6native12_GLOBAL__N_18offset_tEEE10hipError_tPvRmT1_PNSt15iterator_traitsISK_E10value_typeET2_T3_PNSL_ISQ_E10value_typeET4_jRbjT5_SW_jjP12ihipStream_tbEUlT_E0_NS1_11comp_targetILNS1_3genE2ELNS1_11target_archE906ELNS1_3gpuE6ELNS1_3repE0EEENS1_60segmented_radix_sort_warp_sort_medium_config_static_selectorELNS0_4arch9wavefront6targetE0EEEvSK_
		.amdhsa_group_segment_fixed_size 0
		.amdhsa_private_segment_fixed_size 0
		.amdhsa_kernarg_size 88
		.amdhsa_user_sgpr_count 2
		.amdhsa_user_sgpr_dispatch_ptr 0
		.amdhsa_user_sgpr_queue_ptr 0
		.amdhsa_user_sgpr_kernarg_segment_ptr 1
		.amdhsa_user_sgpr_dispatch_id 0
		.amdhsa_user_sgpr_private_segment_size 0
		.amdhsa_wavefront_size32 1
		.amdhsa_uses_dynamic_stack 0
		.amdhsa_enable_private_segment 0
		.amdhsa_system_sgpr_workgroup_id_x 1
		.amdhsa_system_sgpr_workgroup_id_y 0
		.amdhsa_system_sgpr_workgroup_id_z 0
		.amdhsa_system_sgpr_workgroup_info 0
		.amdhsa_system_vgpr_workitem_id 0
		.amdhsa_next_free_vgpr 1
		.amdhsa_next_free_sgpr 1
		.amdhsa_reserve_vcc 0
		.amdhsa_float_round_mode_32 0
		.amdhsa_float_round_mode_16_64 0
		.amdhsa_float_denorm_mode_32 3
		.amdhsa_float_denorm_mode_16_64 3
		.amdhsa_fp16_overflow 0
		.amdhsa_workgroup_processor_mode 1
		.amdhsa_memory_ordered 1
		.amdhsa_forward_progress 1
		.amdhsa_inst_pref_size 0
		.amdhsa_round_robin_scheduling 0
		.amdhsa_exception_fp_ieee_invalid_op 0
		.amdhsa_exception_fp_denorm_src 0
		.amdhsa_exception_fp_ieee_div_zero 0
		.amdhsa_exception_fp_ieee_overflow 0
		.amdhsa_exception_fp_ieee_underflow 0
		.amdhsa_exception_fp_ieee_inexact 0
		.amdhsa_exception_int_div_zero 0
	.end_amdhsa_kernel
	.section	.text._ZN7rocprim17ROCPRIM_400000_NS6detail17trampoline_kernelINS0_14default_configENS1_36segmented_radix_sort_config_selectorIflEEZNS1_25segmented_radix_sort_implIS3_Lb1EPKfPfPKlPlN2at6native12_GLOBAL__N_18offset_tEEE10hipError_tPvRmT1_PNSt15iterator_traitsISK_E10value_typeET2_T3_PNSL_ISQ_E10value_typeET4_jRbjT5_SW_jjP12ihipStream_tbEUlT_E0_NS1_11comp_targetILNS1_3genE2ELNS1_11target_archE906ELNS1_3gpuE6ELNS1_3repE0EEENS1_60segmented_radix_sort_warp_sort_medium_config_static_selectorELNS0_4arch9wavefront6targetE0EEEvSK_,"axG",@progbits,_ZN7rocprim17ROCPRIM_400000_NS6detail17trampoline_kernelINS0_14default_configENS1_36segmented_radix_sort_config_selectorIflEEZNS1_25segmented_radix_sort_implIS3_Lb1EPKfPfPKlPlN2at6native12_GLOBAL__N_18offset_tEEE10hipError_tPvRmT1_PNSt15iterator_traitsISK_E10value_typeET2_T3_PNSL_ISQ_E10value_typeET4_jRbjT5_SW_jjP12ihipStream_tbEUlT_E0_NS1_11comp_targetILNS1_3genE2ELNS1_11target_archE906ELNS1_3gpuE6ELNS1_3repE0EEENS1_60segmented_radix_sort_warp_sort_medium_config_static_selectorELNS0_4arch9wavefront6targetE0EEEvSK_,comdat
.Lfunc_end1339:
	.size	_ZN7rocprim17ROCPRIM_400000_NS6detail17trampoline_kernelINS0_14default_configENS1_36segmented_radix_sort_config_selectorIflEEZNS1_25segmented_radix_sort_implIS3_Lb1EPKfPfPKlPlN2at6native12_GLOBAL__N_18offset_tEEE10hipError_tPvRmT1_PNSt15iterator_traitsISK_E10value_typeET2_T3_PNSL_ISQ_E10value_typeET4_jRbjT5_SW_jjP12ihipStream_tbEUlT_E0_NS1_11comp_targetILNS1_3genE2ELNS1_11target_archE906ELNS1_3gpuE6ELNS1_3repE0EEENS1_60segmented_radix_sort_warp_sort_medium_config_static_selectorELNS0_4arch9wavefront6targetE0EEEvSK_, .Lfunc_end1339-_ZN7rocprim17ROCPRIM_400000_NS6detail17trampoline_kernelINS0_14default_configENS1_36segmented_radix_sort_config_selectorIflEEZNS1_25segmented_radix_sort_implIS3_Lb1EPKfPfPKlPlN2at6native12_GLOBAL__N_18offset_tEEE10hipError_tPvRmT1_PNSt15iterator_traitsISK_E10value_typeET2_T3_PNSL_ISQ_E10value_typeET4_jRbjT5_SW_jjP12ihipStream_tbEUlT_E0_NS1_11comp_targetILNS1_3genE2ELNS1_11target_archE906ELNS1_3gpuE6ELNS1_3repE0EEENS1_60segmented_radix_sort_warp_sort_medium_config_static_selectorELNS0_4arch9wavefront6targetE0EEEvSK_
                                        ; -- End function
	.set _ZN7rocprim17ROCPRIM_400000_NS6detail17trampoline_kernelINS0_14default_configENS1_36segmented_radix_sort_config_selectorIflEEZNS1_25segmented_radix_sort_implIS3_Lb1EPKfPfPKlPlN2at6native12_GLOBAL__N_18offset_tEEE10hipError_tPvRmT1_PNSt15iterator_traitsISK_E10value_typeET2_T3_PNSL_ISQ_E10value_typeET4_jRbjT5_SW_jjP12ihipStream_tbEUlT_E0_NS1_11comp_targetILNS1_3genE2ELNS1_11target_archE906ELNS1_3gpuE6ELNS1_3repE0EEENS1_60segmented_radix_sort_warp_sort_medium_config_static_selectorELNS0_4arch9wavefront6targetE0EEEvSK_.num_vgpr, 0
	.set _ZN7rocprim17ROCPRIM_400000_NS6detail17trampoline_kernelINS0_14default_configENS1_36segmented_radix_sort_config_selectorIflEEZNS1_25segmented_radix_sort_implIS3_Lb1EPKfPfPKlPlN2at6native12_GLOBAL__N_18offset_tEEE10hipError_tPvRmT1_PNSt15iterator_traitsISK_E10value_typeET2_T3_PNSL_ISQ_E10value_typeET4_jRbjT5_SW_jjP12ihipStream_tbEUlT_E0_NS1_11comp_targetILNS1_3genE2ELNS1_11target_archE906ELNS1_3gpuE6ELNS1_3repE0EEENS1_60segmented_radix_sort_warp_sort_medium_config_static_selectorELNS0_4arch9wavefront6targetE0EEEvSK_.num_agpr, 0
	.set _ZN7rocprim17ROCPRIM_400000_NS6detail17trampoline_kernelINS0_14default_configENS1_36segmented_radix_sort_config_selectorIflEEZNS1_25segmented_radix_sort_implIS3_Lb1EPKfPfPKlPlN2at6native12_GLOBAL__N_18offset_tEEE10hipError_tPvRmT1_PNSt15iterator_traitsISK_E10value_typeET2_T3_PNSL_ISQ_E10value_typeET4_jRbjT5_SW_jjP12ihipStream_tbEUlT_E0_NS1_11comp_targetILNS1_3genE2ELNS1_11target_archE906ELNS1_3gpuE6ELNS1_3repE0EEENS1_60segmented_radix_sort_warp_sort_medium_config_static_selectorELNS0_4arch9wavefront6targetE0EEEvSK_.numbered_sgpr, 0
	.set _ZN7rocprim17ROCPRIM_400000_NS6detail17trampoline_kernelINS0_14default_configENS1_36segmented_radix_sort_config_selectorIflEEZNS1_25segmented_radix_sort_implIS3_Lb1EPKfPfPKlPlN2at6native12_GLOBAL__N_18offset_tEEE10hipError_tPvRmT1_PNSt15iterator_traitsISK_E10value_typeET2_T3_PNSL_ISQ_E10value_typeET4_jRbjT5_SW_jjP12ihipStream_tbEUlT_E0_NS1_11comp_targetILNS1_3genE2ELNS1_11target_archE906ELNS1_3gpuE6ELNS1_3repE0EEENS1_60segmented_radix_sort_warp_sort_medium_config_static_selectorELNS0_4arch9wavefront6targetE0EEEvSK_.num_named_barrier, 0
	.set _ZN7rocprim17ROCPRIM_400000_NS6detail17trampoline_kernelINS0_14default_configENS1_36segmented_radix_sort_config_selectorIflEEZNS1_25segmented_radix_sort_implIS3_Lb1EPKfPfPKlPlN2at6native12_GLOBAL__N_18offset_tEEE10hipError_tPvRmT1_PNSt15iterator_traitsISK_E10value_typeET2_T3_PNSL_ISQ_E10value_typeET4_jRbjT5_SW_jjP12ihipStream_tbEUlT_E0_NS1_11comp_targetILNS1_3genE2ELNS1_11target_archE906ELNS1_3gpuE6ELNS1_3repE0EEENS1_60segmented_radix_sort_warp_sort_medium_config_static_selectorELNS0_4arch9wavefront6targetE0EEEvSK_.private_seg_size, 0
	.set _ZN7rocprim17ROCPRIM_400000_NS6detail17trampoline_kernelINS0_14default_configENS1_36segmented_radix_sort_config_selectorIflEEZNS1_25segmented_radix_sort_implIS3_Lb1EPKfPfPKlPlN2at6native12_GLOBAL__N_18offset_tEEE10hipError_tPvRmT1_PNSt15iterator_traitsISK_E10value_typeET2_T3_PNSL_ISQ_E10value_typeET4_jRbjT5_SW_jjP12ihipStream_tbEUlT_E0_NS1_11comp_targetILNS1_3genE2ELNS1_11target_archE906ELNS1_3gpuE6ELNS1_3repE0EEENS1_60segmented_radix_sort_warp_sort_medium_config_static_selectorELNS0_4arch9wavefront6targetE0EEEvSK_.uses_vcc, 0
	.set _ZN7rocprim17ROCPRIM_400000_NS6detail17trampoline_kernelINS0_14default_configENS1_36segmented_radix_sort_config_selectorIflEEZNS1_25segmented_radix_sort_implIS3_Lb1EPKfPfPKlPlN2at6native12_GLOBAL__N_18offset_tEEE10hipError_tPvRmT1_PNSt15iterator_traitsISK_E10value_typeET2_T3_PNSL_ISQ_E10value_typeET4_jRbjT5_SW_jjP12ihipStream_tbEUlT_E0_NS1_11comp_targetILNS1_3genE2ELNS1_11target_archE906ELNS1_3gpuE6ELNS1_3repE0EEENS1_60segmented_radix_sort_warp_sort_medium_config_static_selectorELNS0_4arch9wavefront6targetE0EEEvSK_.uses_flat_scratch, 0
	.set _ZN7rocprim17ROCPRIM_400000_NS6detail17trampoline_kernelINS0_14default_configENS1_36segmented_radix_sort_config_selectorIflEEZNS1_25segmented_radix_sort_implIS3_Lb1EPKfPfPKlPlN2at6native12_GLOBAL__N_18offset_tEEE10hipError_tPvRmT1_PNSt15iterator_traitsISK_E10value_typeET2_T3_PNSL_ISQ_E10value_typeET4_jRbjT5_SW_jjP12ihipStream_tbEUlT_E0_NS1_11comp_targetILNS1_3genE2ELNS1_11target_archE906ELNS1_3gpuE6ELNS1_3repE0EEENS1_60segmented_radix_sort_warp_sort_medium_config_static_selectorELNS0_4arch9wavefront6targetE0EEEvSK_.has_dyn_sized_stack, 0
	.set _ZN7rocprim17ROCPRIM_400000_NS6detail17trampoline_kernelINS0_14default_configENS1_36segmented_radix_sort_config_selectorIflEEZNS1_25segmented_radix_sort_implIS3_Lb1EPKfPfPKlPlN2at6native12_GLOBAL__N_18offset_tEEE10hipError_tPvRmT1_PNSt15iterator_traitsISK_E10value_typeET2_T3_PNSL_ISQ_E10value_typeET4_jRbjT5_SW_jjP12ihipStream_tbEUlT_E0_NS1_11comp_targetILNS1_3genE2ELNS1_11target_archE906ELNS1_3gpuE6ELNS1_3repE0EEENS1_60segmented_radix_sort_warp_sort_medium_config_static_selectorELNS0_4arch9wavefront6targetE0EEEvSK_.has_recursion, 0
	.set _ZN7rocprim17ROCPRIM_400000_NS6detail17trampoline_kernelINS0_14default_configENS1_36segmented_radix_sort_config_selectorIflEEZNS1_25segmented_radix_sort_implIS3_Lb1EPKfPfPKlPlN2at6native12_GLOBAL__N_18offset_tEEE10hipError_tPvRmT1_PNSt15iterator_traitsISK_E10value_typeET2_T3_PNSL_ISQ_E10value_typeET4_jRbjT5_SW_jjP12ihipStream_tbEUlT_E0_NS1_11comp_targetILNS1_3genE2ELNS1_11target_archE906ELNS1_3gpuE6ELNS1_3repE0EEENS1_60segmented_radix_sort_warp_sort_medium_config_static_selectorELNS0_4arch9wavefront6targetE0EEEvSK_.has_indirect_call, 0
	.section	.AMDGPU.csdata,"",@progbits
; Kernel info:
; codeLenInByte = 0
; TotalNumSgprs: 0
; NumVgprs: 0
; ScratchSize: 0
; MemoryBound: 0
; FloatMode: 240
; IeeeMode: 1
; LDSByteSize: 0 bytes/workgroup (compile time only)
; SGPRBlocks: 0
; VGPRBlocks: 0
; NumSGPRsForWavesPerEU: 1
; NumVGPRsForWavesPerEU: 1
; Occupancy: 16
; WaveLimiterHint : 0
; COMPUTE_PGM_RSRC2:SCRATCH_EN: 0
; COMPUTE_PGM_RSRC2:USER_SGPR: 2
; COMPUTE_PGM_RSRC2:TRAP_HANDLER: 0
; COMPUTE_PGM_RSRC2:TGID_X_EN: 1
; COMPUTE_PGM_RSRC2:TGID_Y_EN: 0
; COMPUTE_PGM_RSRC2:TGID_Z_EN: 0
; COMPUTE_PGM_RSRC2:TIDIG_COMP_CNT: 0
	.text
	.p2align	2                               ; -- Begin function _ZN7rocprim17ROCPRIM_400000_NS6detail26segmented_warp_sort_helperINS1_20WarpSortHelperConfigILj16ELj8ELj256EEEflLi256ELb1EvE4sortIPKfPfPKlPlEEvT_T0_T1_T2_jjjjRNS5_12storage_typeE
	.type	_ZN7rocprim17ROCPRIM_400000_NS6detail26segmented_warp_sort_helperINS1_20WarpSortHelperConfigILj16ELj8ELj256EEEflLi256ELb1EvE4sortIPKfPfPKlPlEEvT_T0_T1_T2_jjjjRNS5_12storage_typeE,@function
_ZN7rocprim17ROCPRIM_400000_NS6detail26segmented_warp_sort_helperINS1_20WarpSortHelperConfigILj16ELj8ELj256EEEflLi256ELb1EvE4sortIPKfPfPKlPlEEvT_T0_T1_T2_jjjjRNS5_12storage_typeE: ; @_ZN7rocprim17ROCPRIM_400000_NS6detail26segmented_warp_sort_helperINS1_20WarpSortHelperConfigILj16ELj8ELj256EEEflLi256ELb1EvE4sortIPKfPfPKlPlEEvT_T0_T1_T2_jjjjRNS5_12storage_typeE
; %bb.0:
	s_wait_loadcnt_dscnt 0x0
	s_wait_expcnt 0x0
	s_wait_samplecnt 0x0
	s_wait_bvhcnt 0x0
	s_wait_kmcnt 0x0
	v_mov_b32_e32 v10, v9
	v_mbcnt_lo_u32_b32 v9, -1, 0
	v_dual_mov_b32 v17, -1 :: v_dual_mov_b32 v18, -1
	s_delay_alu instid0(VALU_DEP_2) | instskip(NEXT) | instid1(VALU_DEP_4)
	v_dual_mov_b32 v9, 0 :: v_dual_lshlrev_b32 v50, 3, v9
	v_sub_nc_u32_e32 v10, v10, v8
	s_delay_alu instid0(VALU_DEP_2) | instskip(NEXT) | instid1(VALU_DEP_3)
	v_and_b32_e32 v49, 0x78, v50
	v_lshlrev_b64_e32 v[11:12], 2, v[8:9]
	s_delay_alu instid0(VALU_DEP_2) | instskip(NEXT) | instid1(VALU_DEP_2)
	v_lshlrev_b32_e32 v48, 2, v49
	v_add_co_u32 v0, vcc_lo, v0, v11
	s_wait_alu 0xfffd
	s_delay_alu instid0(VALU_DEP_3) | instskip(NEXT) | instid1(VALU_DEP_2)
	v_add_co_ci_u32_e64 v1, null, v1, v12, vcc_lo
	v_add_co_u32 v0, vcc_lo, v0, v48
	s_wait_alu 0xfffd
	s_delay_alu instid0(VALU_DEP_2)
	v_add_co_ci_u32_e64 v1, null, 0, v1, vcc_lo
	v_cmp_lt_u32_e32 vcc_lo, v49, v10
	s_and_saveexec_b32 s0, vcc_lo
	s_cbranch_execz .LBB1340_2
; %bb.1:
	flat_load_b32 v17, v[0:1]
.LBB1340_2:
	s_wait_alu 0xfffe
	s_or_b32 exec_lo, exec_lo, s0
	v_or_b32_e32 v13, 1, v49
	s_delay_alu instid0(VALU_DEP_1)
	v_cmp_lt_u32_e64 s0, v13, v10
	s_and_saveexec_b32 s1, s0
	s_cbranch_execz .LBB1340_4
; %bb.3:
	flat_load_b32 v18, v[0:1] offset:4
.LBB1340_4:
	s_wait_alu 0xfffe
	s_or_b32 exec_lo, exec_lo, s1
	v_or_b32_e32 v13, 2, v49
	v_dual_mov_b32 v30, -1 :: v_dual_mov_b32 v29, -1
	s_delay_alu instid0(VALU_DEP_2)
	v_cmp_lt_u32_e64 s1, v13, v10
	s_and_saveexec_b32 s2, s1
	s_cbranch_execz .LBB1340_6
; %bb.5:
	flat_load_b32 v29, v[0:1] offset:8
.LBB1340_6:
	s_wait_alu 0xfffe
	s_or_b32 exec_lo, exec_lo, s2
	v_or_b32_e32 v13, 3, v49
	s_delay_alu instid0(VALU_DEP_1)
	v_cmp_lt_u32_e64 s2, v13, v10
	s_and_saveexec_b32 s3, s2
	s_cbranch_execz .LBB1340_8
; %bb.7:
	flat_load_b32 v30, v[0:1] offset:12
.LBB1340_8:
	s_wait_alu 0xfffe
	s_or_b32 exec_lo, exec_lo, s3
	v_or_b32_e32 v13, 4, v49
	v_dual_mov_b32 v28, -1 :: v_dual_mov_b32 v27, -1
	s_delay_alu instid0(VALU_DEP_2)
	v_cmp_lt_u32_e64 s3, v13, v10
	s_and_saveexec_b32 s4, s3
	s_cbranch_execz .LBB1340_10
; %bb.9:
	flat_load_b32 v27, v[0:1] offset:16
.LBB1340_10:
	;; [unrolled: 21-line block ×3, first 2 shown]
	s_wait_alu 0xfffe
	s_or_b32 exec_lo, exec_lo, s6
	v_or_b32_e32 v13, 7, v49
	s_delay_alu instid0(VALU_DEP_1)
	v_cmp_lt_u32_e64 s6, v13, v10
	s_and_saveexec_b32 s7, s6
	s_cbranch_execz .LBB1340_16
; %bb.15:
	flat_load_b32 v20, v[0:1] offset:28
.LBB1340_16:
	s_wait_alu 0xfffe
	s_or_b32 exec_lo, exec_lo, s7
	v_lshlrev_b64_e32 v[0:1], 3, v[8:9]
	v_lshlrev_b32_e32 v10, 3, v49
	; wave barrier
	s_delay_alu instid0(VALU_DEP_2) | instskip(SKIP_1) | instid1(VALU_DEP_3)
	v_add_co_u32 v4, s7, v4, v0
	s_wait_alu 0xf1ff
	v_add_co_ci_u32_e64 v5, null, v5, v1, s7
	s_delay_alu instid0(VALU_DEP_2) | instskip(SKIP_1) | instid1(VALU_DEP_2)
	v_add_co_u32 v34, s7, v4, v10
	s_wait_alu 0xf1ff
	v_add_co_ci_u32_e64 v35, null, 0, v5, s7
                                        ; implicit-def: $vgpr4_vgpr5
	s_and_saveexec_b32 s7, vcc_lo
	s_cbranch_execnz .LBB1340_261
; %bb.17:
	s_wait_alu 0xfffe
	s_or_b32 exec_lo, exec_lo, s7
	s_and_saveexec_b32 s7, s0
                                        ; implicit-def: $vgpr8_vgpr9
	s_cbranch_execnz .LBB1340_262
.LBB1340_18:
	s_wait_alu 0xfffe
	s_or_b32 exec_lo, exec_lo, s7
                                        ; implicit-def: $vgpr13_vgpr14
	s_and_saveexec_b32 s7, s1
	s_cbranch_execnz .LBB1340_263
.LBB1340_19:
	s_wait_alu 0xfffe
	s_or_b32 exec_lo, exec_lo, s7
	s_and_saveexec_b32 s7, s2
                                        ; implicit-def: $vgpr15_vgpr16
	s_cbranch_execnz .LBB1340_264
.LBB1340_20:
	s_wait_alu 0xfffe
	s_or_b32 exec_lo, exec_lo, s7
                                        ; implicit-def: $vgpr21_vgpr22
	s_and_saveexec_b32 s7, s3
	s_cbranch_execnz .LBB1340_265
.LBB1340_21:
	s_wait_alu 0xfffe
	s_or_b32 exec_lo, exec_lo, s7
	s_and_saveexec_b32 s7, s4
                                        ; implicit-def: $vgpr25_vgpr26
	s_cbranch_execnz .LBB1340_266
.LBB1340_22:
	s_wait_alu 0xfffe
	s_or_b32 exec_lo, exec_lo, s7
                                        ; implicit-def: $vgpr23_vgpr24
	s_and_saveexec_b32 s7, s5
	s_cbranch_execnz .LBB1340_267
.LBB1340_23:
	s_wait_alu 0xfffe
	s_or_b32 exec_lo, exec_lo, s7
	s_and_saveexec_b32 s7, s6
                                        ; implicit-def: $vgpr32_vgpr33
	s_cbranch_execz .LBB1340_25
.LBB1340_24:
	flat_load_b64 v[32:33], v[34:35] offset:56
.LBB1340_25:
	s_wait_alu 0xfffe
	s_or_b32 exec_lo, exec_lo, s7
	; wave barrier
	s_load_b64 s[10:11], s[8:9], 0x0
	s_and_b32 s7, ttmp7, 0xffff
	s_mov_b32 s13, 0
	v_bfe_u32 v34, v31, 10, 10
	v_bfe_u32 v35, v31, 20, 10
	v_and_b32_e32 v31, 0x3ff, v31
	s_wait_kmcnt 0x0
	s_wait_alu 0xfffe
	s_cmp_lt_u32 s7, s11
	s_cselect_b32 s12, 14, 20
	s_cmp_lt_u32 ttmp9, s10
	s_wait_alu 0xfffe
	s_add_nc_u64 s[14:15], s[8:9], s[12:13]
	s_cselect_b32 s12, 12, 18
	s_load_u16 s7, s[14:15], 0x0
	s_add_nc_u64 s[8:9], s[8:9], s[12:13]
	s_load_u16 s8, s[8:9], 0x0
	s_wait_kmcnt 0x0
	v_mad_u32_u24 v34, v35, s7, v34
	s_delay_alu instid0(VALU_DEP_1) | instskip(SKIP_1) | instid1(VALU_DEP_1)
	v_mul_lo_u32 v34, v34, s8
	s_mov_b32 s8, exec_lo
	v_add_lshl_u32 v51, v34, v31, 3
	s_delay_alu instid0(VALU_DEP_1)
	v_cmpx_gt_u32_e32 0x800, v51
	s_cbranch_execz .LBB1340_83
; %bb.26:
	s_wait_loadcnt_dscnt 0x0
	v_dual_add_f32 v31, 0, v18 :: v_dual_add_f32 v34, 0, v17
	s_delay_alu instid0(VALU_DEP_1) | instskip(NEXT) | instid1(VALU_DEP_2)
	v_ashrrev_i32_e32 v35, 31, v31
	v_ashrrev_i32_e32 v36, 31, v34
	s_delay_alu instid0(VALU_DEP_2) | instskip(NEXT) | instid1(VALU_DEP_2)
	v_or_b32_e32 v35, 0x80000000, v35
	v_or_b32_e32 v36, 0x80000000, v36
	s_delay_alu instid0(VALU_DEP_2) | instskip(NEXT) | instid1(VALU_DEP_2)
	v_xor_b32_e32 v35, v35, v31
	v_xor_b32_e32 v34, v36, v34
	v_mov_b32_e32 v31, v18
	s_delay_alu instid0(VALU_DEP_2)
	v_cmp_gt_u32_e64 s7, v35, v34
	v_dual_mov_b32 v35, v9 :: v_dual_mov_b32 v34, v8
	s_and_saveexec_b32 s9, s7
; %bb.27:
	v_mov_b32_e32 v35, v5
	v_dual_mov_b32 v31, v17 :: v_dual_mov_b32 v34, v4
	v_dual_mov_b32 v17, v18 :: v_dual_mov_b32 v4, v8
	v_mov_b32_e32 v5, v9
; %bb.28:
	s_wait_alu 0xfffe
	s_or_b32 exec_lo, exec_lo, s9
	v_dual_add_f32 v8, 0, v30 :: v_dual_add_f32 v9, 0, v29
	s_mov_b32 s9, exec_lo
	s_delay_alu instid0(VALU_DEP_1) | instskip(NEXT) | instid1(VALU_DEP_2)
	v_ashrrev_i32_e32 v18, 31, v8
	v_ashrrev_i32_e32 v36, 31, v9
	s_delay_alu instid0(VALU_DEP_2) | instskip(NEXT) | instid1(VALU_DEP_2)
	v_or_b32_e32 v18, 0x80000000, v18
	v_or_b32_e32 v36, 0x80000000, v36
	s_delay_alu instid0(VALU_DEP_2) | instskip(NEXT) | instid1(VALU_DEP_2)
	v_xor_b32_e32 v8, v18, v8
	v_xor_b32_e32 v9, v36, v9
	v_dual_mov_b32 v18, v30 :: v_dual_mov_b32 v37, v16
	v_mov_b32_e32 v36, v15
	s_delay_alu instid0(VALU_DEP_3)
	v_cmpx_gt_u32_e64 v8, v9
; %bb.29:
	v_dual_mov_b32 v18, v29 :: v_dual_mov_b32 v29, v30
	v_dual_mov_b32 v37, v14 :: v_dual_mov_b32 v36, v13
	;; [unrolled: 1-line block ×3, first 2 shown]
; %bb.30:
	s_wait_alu 0xfffe
	s_or_b32 exec_lo, exec_lo, s9
	v_dual_add_f32 v8, 0, v28 :: v_dual_add_f32 v9, 0, v27
	v_mov_b32_e32 v53, v27
	s_mov_b32 s9, exec_lo
	s_delay_alu instid0(VALU_DEP_2) | instskip(NEXT) | instid1(VALU_DEP_3)
	v_ashrrev_i32_e32 v15, 31, v8
	v_ashrrev_i32_e32 v16, 31, v9
	s_delay_alu instid0(VALU_DEP_2) | instskip(NEXT) | instid1(VALU_DEP_2)
	v_or_b32_e32 v15, 0x80000000, v15
	v_or_b32_e32 v16, 0x80000000, v16
	s_delay_alu instid0(VALU_DEP_2) | instskip(NEXT) | instid1(VALU_DEP_2)
	v_xor_b32_e32 v8, v15, v8
	v_xor_b32_e32 v9, v16, v9
	v_dual_mov_b32 v15, v25 :: v_dual_mov_b32 v16, v26
	s_delay_alu instid0(VALU_DEP_2)
	v_cmpx_gt_u32_e64 v8, v9
; %bb.31:
	v_dual_mov_b32 v15, v21 :: v_dual_mov_b32 v16, v22
	v_dual_mov_b32 v21, v25 :: v_dual_mov_b32 v22, v26
	;; [unrolled: 1-line block ×3, first 2 shown]
; %bb.32:
	s_wait_alu 0xfffe
	s_or_b32 exec_lo, exec_lo, s9
	v_dual_add_f32 v8, 0, v20 :: v_dual_add_f32 v9, 0, v19
	v_mov_b32_e32 v39, v19
	s_mov_b32 s9, exec_lo
	s_delay_alu instid0(VALU_DEP_2) | instskip(NEXT) | instid1(VALU_DEP_3)
	v_ashrrev_i32_e32 v25, 31, v8
	v_ashrrev_i32_e32 v26, 31, v9
	s_delay_alu instid0(VALU_DEP_2) | instskip(NEXT) | instid1(VALU_DEP_2)
	v_or_b32_e32 v25, 0x80000000, v25
	v_or_b32_e32 v26, 0x80000000, v26
	s_delay_alu instid0(VALU_DEP_2) | instskip(NEXT) | instid1(VALU_DEP_2)
	v_xor_b32_e32 v25, v25, v8
	v_xor_b32_e32 v26, v26, v9
	v_dual_mov_b32 v8, v32 :: v_dual_mov_b32 v9, v33
	s_delay_alu instid0(VALU_DEP_2)
	v_cmpx_gt_u32_e64 v25, v26
; %bb.33:
	v_dual_mov_b32 v8, v23 :: v_dual_mov_b32 v9, v24
	v_dual_mov_b32 v23, v32 :: v_dual_mov_b32 v24, v33
	;; [unrolled: 1-line block ×3, first 2 shown]
; %bb.34:
	s_wait_alu 0xfffe
	s_or_b32 exec_lo, exec_lo, s9
	v_add_f32_e32 v19, 0, v29
	v_add_f32_e32 v25, 0, v31
	v_mov_b32_e32 v33, v29
	s_delay_alu instid0(VALU_DEP_3) | instskip(NEXT) | instid1(VALU_DEP_3)
	v_ashrrev_i32_e32 v26, 31, v19
	v_ashrrev_i32_e32 v27, 31, v25
	s_delay_alu instid0(VALU_DEP_2) | instskip(NEXT) | instid1(VALU_DEP_2)
	v_or_b32_e32 v26, 0x80000000, v26
	v_or_b32_e32 v27, 0x80000000, v27
	s_delay_alu instid0(VALU_DEP_2) | instskip(NEXT) | instid1(VALU_DEP_2)
	v_xor_b32_e32 v19, v26, v19
	v_xor_b32_e32 v25, v27, v25
	s_delay_alu instid0(VALU_DEP_1)
	v_cmp_gt_u32_e64 s7, v19, v25
	v_dual_mov_b32 v26, v14 :: v_dual_mov_b32 v25, v13
	s_and_saveexec_b32 s9, s7
	s_wait_alu 0xfffe
	s_xor_b32 s7, exec_lo, s9
; %bb.35:
	v_mov_b32_e32 v25, v34
	v_dual_mov_b32 v33, v31 :: v_dual_mov_b32 v26, v35
	v_mov_b32_e32 v35, v14
	v_dual_mov_b32 v31, v29 :: v_dual_mov_b32 v34, v13
; %bb.36:
	s_wait_alu 0xfffe
	s_or_b32 exec_lo, exec_lo, s7
	v_dual_add_f32 v13, 0, v53 :: v_dual_add_f32 v14, 0, v18
	s_mov_b32 s9, exec_lo
	v_dual_mov_b32 v30, v22 :: v_dual_mov_b32 v29, v21
	s_delay_alu instid0(VALU_DEP_2) | instskip(NEXT) | instid1(VALU_DEP_3)
	v_ashrrev_i32_e32 v19, 31, v13
	v_ashrrev_i32_e32 v27, 31, v14
	s_delay_alu instid0(VALU_DEP_2) | instskip(NEXT) | instid1(VALU_DEP_2)
	v_or_b32_e32 v19, 0x80000000, v19
	v_or_b32_e32 v27, 0x80000000, v27
	s_delay_alu instid0(VALU_DEP_2) | instskip(SKIP_1) | instid1(VALU_DEP_3)
	v_xor_b32_e32 v19, v19, v13
	v_mov_b32_e32 v13, v18
	v_xor_b32_e32 v14, v27, v14
	s_delay_alu instid0(VALU_DEP_1)
	v_cmpx_gt_u32_e64 v19, v14
; %bb.37:
	v_mov_b32_e32 v29, v36
	v_dual_mov_b32 v13, v53 :: v_dual_mov_b32 v30, v37
	v_dual_mov_b32 v37, v22 :: v_dual_mov_b32 v36, v21
	v_mov_b32_e32 v53, v18
; %bb.38:
	s_wait_alu 0xfffe
	s_or_b32 exec_lo, exec_lo, s9
	v_add_f32_e32 v14, 0, v39
	v_add_f32_e32 v18, 0, v28
	v_mov_b32_e32 v52, v28
	s_mov_b32 s9, exec_lo
	s_delay_alu instid0(VALU_DEP_3) | instskip(NEXT) | instid1(VALU_DEP_3)
	v_ashrrev_i32_e32 v19, 31, v14
	v_ashrrev_i32_e32 v21, 31, v18
	s_delay_alu instid0(VALU_DEP_2) | instskip(NEXT) | instid1(VALU_DEP_2)
	v_or_b32_e32 v19, 0x80000000, v19
	v_or_b32_e32 v21, 0x80000000, v21
	s_delay_alu instid0(VALU_DEP_2) | instskip(NEXT) | instid1(VALU_DEP_2)
	v_xor_b32_e32 v14, v19, v14
	v_xor_b32_e32 v21, v21, v18
	v_dual_mov_b32 v18, v23 :: v_dual_mov_b32 v19, v24
	s_delay_alu instid0(VALU_DEP_2)
	v_cmpx_gt_u32_e64 v14, v21
; %bb.39:
	v_dual_mov_b32 v19, v16 :: v_dual_mov_b32 v18, v15
	v_dual_mov_b32 v15, v23 :: v_dual_mov_b32 v16, v24
	;; [unrolled: 1-line block ×3, first 2 shown]
; %bb.40:
	s_wait_alu 0xfffe
	s_or_b32 exec_lo, exec_lo, s9
	v_dual_add_f32 v14, 0, v31 :: v_dual_add_f32 v21, 0, v17
	v_mov_b32_e32 v38, v31
	s_mov_b32 s9, exec_lo
	s_delay_alu instid0(VALU_DEP_2) | instskip(NEXT) | instid1(VALU_DEP_3)
	v_ashrrev_i32_e32 v22, 31, v14
	v_ashrrev_i32_e32 v23, 31, v21
	s_delay_alu instid0(VALU_DEP_2) | instskip(NEXT) | instid1(VALU_DEP_2)
	v_or_b32_e32 v22, 0x80000000, v22
	v_or_b32_e32 v23, 0x80000000, v23
	s_delay_alu instid0(VALU_DEP_2) | instskip(NEXT) | instid1(VALU_DEP_2)
	v_xor_b32_e32 v14, v22, v14
	v_xor_b32_e32 v21, v23, v21
	v_dual_mov_b32 v23, v34 :: v_dual_mov_b32 v24, v35
	s_delay_alu instid0(VALU_DEP_2)
	v_cmpx_gt_u32_e64 v14, v21
; %bb.41:
	v_dual_mov_b32 v38, v17 :: v_dual_mov_b32 v17, v31
	v_dual_mov_b32 v24, v5 :: v_dual_mov_b32 v23, v4
	;; [unrolled: 1-line block ×3, first 2 shown]
; %bb.42:
	s_wait_alu 0xfffe
	s_or_b32 exec_lo, exec_lo, s9
	v_add_f32_e32 v21, 0, v33
	v_dual_add_f32 v14, 0, v13 :: v_dual_mov_b32 v55, v13
	s_mov_b32 s9, exec_lo
	s_delay_alu instid0(VALU_DEP_2) | instskip(NEXT) | instid1(VALU_DEP_2)
	v_ashrrev_i32_e32 v27, 31, v21
	v_ashrrev_i32_e32 v22, 31, v14
	s_delay_alu instid0(VALU_DEP_2) | instskip(NEXT) | instid1(VALU_DEP_2)
	v_or_b32_e32 v27, 0x80000000, v27
	v_or_b32_e32 v22, 0x80000000, v22
	s_delay_alu instid0(VALU_DEP_2) | instskip(SKIP_1) | instid1(VALU_DEP_3)
	v_xor_b32_e32 v21, v27, v21
	v_mov_b32_e32 v27, v36
	v_xor_b32_e32 v14, v22, v14
	v_mov_b32_e32 v28, v37
	s_delay_alu instid0(VALU_DEP_2)
	v_cmpx_gt_u32_e64 v14, v21
; %bb.43:
	v_dual_mov_b32 v55, v33 :: v_dual_mov_b32 v28, v26
	v_mov_b32_e32 v27, v25
	v_mov_b32_e32 v25, v36
	v_dual_mov_b32 v33, v13 :: v_dual_mov_b32 v26, v37
; %bb.44:
	s_wait_alu 0xfffe
	s_or_b32 exec_lo, exec_lo, s9
	v_dual_add_f32 v13, 0, v52 :: v_dual_add_f32 v14, 0, v53
	v_mov_b32_e32 v54, v53
	s_mov_b32 s9, exec_lo
	s_delay_alu instid0(VALU_DEP_2) | instskip(NEXT) | instid1(VALU_DEP_3)
	v_ashrrev_i32_e32 v21, 31, v13
	v_ashrrev_i32_e32 v22, 31, v14
	s_delay_alu instid0(VALU_DEP_2) | instskip(NEXT) | instid1(VALU_DEP_2)
	v_or_b32_e32 v21, 0x80000000, v21
	v_or_b32_e32 v22, 0x80000000, v22
	s_delay_alu instid0(VALU_DEP_2) | instskip(NEXT) | instid1(VALU_DEP_2)
	v_xor_b32_e32 v13, v21, v13
	v_xor_b32_e32 v14, v22, v14
	v_dual_mov_b32 v22, v16 :: v_dual_mov_b32 v21, v15
	s_delay_alu instid0(VALU_DEP_2)
	v_cmpx_gt_u32_e64 v13, v14
; %bb.45:
	v_dual_mov_b32 v21, v29 :: v_dual_mov_b32 v22, v30
	v_dual_mov_b32 v30, v16 :: v_dual_mov_b32 v29, v15
	v_mov_b32_e32 v54, v52
	v_mov_b32_e32 v52, v53
; %bb.46:
	s_wait_alu 0xfffe
	s_or_b32 exec_lo, exec_lo, s9
	v_dual_add_f32 v13, 0, v20 :: v_dual_add_f32 v14, 0, v39
	v_mov_b32_e32 v35, v39
	s_mov_b32 s9, exec_lo
	s_delay_alu instid0(VALU_DEP_2) | instskip(NEXT) | instid1(VALU_DEP_3)
	v_ashrrev_i32_e32 v15, 31, v13
	v_ashrrev_i32_e32 v16, 31, v14
	s_delay_alu instid0(VALU_DEP_2) | instskip(NEXT) | instid1(VALU_DEP_2)
	v_or_b32_e32 v15, 0x80000000, v15
	v_or_b32_e32 v16, 0x80000000, v16
	s_delay_alu instid0(VALU_DEP_2) | instskip(NEXT) | instid1(VALU_DEP_2)
	v_xor_b32_e32 v15, v15, v13
	v_xor_b32_e32 v16, v16, v14
	v_dual_mov_b32 v14, v9 :: v_dual_mov_b32 v13, v8
	s_delay_alu instid0(VALU_DEP_2)
	v_cmpx_gt_u32_e64 v15, v16
; %bb.47:
	v_dual_mov_b32 v13, v18 :: v_dual_mov_b32 v14, v19
	v_dual_mov_b32 v19, v9 :: v_dual_mov_b32 v18, v8
	;; [unrolled: 1-line block ×3, first 2 shown]
; %bb.48:
	s_wait_alu 0xfffe
	s_or_b32 exec_lo, exec_lo, s9
	v_dual_add_f32 v8, 0, v33 :: v_dual_add_f32 v9, 0, v38
	v_mov_b32_e32 v32, v26
	v_dual_mov_b32 v34, v33 :: v_dual_mov_b32 v31, v25
	s_delay_alu instid0(VALU_DEP_3) | instskip(NEXT) | instid1(VALU_DEP_4)
	v_ashrrev_i32_e32 v15, 31, v8
	v_ashrrev_i32_e32 v16, 31, v9
	s_mov_b32 s9, exec_lo
	s_delay_alu instid0(VALU_DEP_2) | instskip(NEXT) | instid1(VALU_DEP_2)
	v_or_b32_e32 v15, 0x80000000, v15
	v_or_b32_e32 v16, 0x80000000, v16
	s_delay_alu instid0(VALU_DEP_2) | instskip(NEXT) | instid1(VALU_DEP_2)
	v_xor_b32_e32 v8, v15, v8
	v_xor_b32_e32 v9, v16, v9
	s_delay_alu instid0(VALU_DEP_1)
	v_cmpx_gt_u32_e64 v8, v9
; %bb.49:
	v_mov_b32_e32 v32, v24
	v_dual_mov_b32 v34, v38 :: v_dual_mov_b32 v31, v23
	v_dual_mov_b32 v38, v33 :: v_dual_mov_b32 v23, v25
	v_mov_b32_e32 v24, v26
; %bb.50:
	s_wait_alu 0xfffe
	s_or_b32 exec_lo, exec_lo, s9
	v_dual_add_f32 v8, 0, v54 :: v_dual_add_f32 v9, 0, v55
	v_mov_b32_e32 v25, v55
	s_mov_b32 s9, exec_lo
	s_delay_alu instid0(VALU_DEP_2) | instskip(NEXT) | instid1(VALU_DEP_3)
	v_ashrrev_i32_e32 v15, 31, v8
	v_ashrrev_i32_e32 v16, 31, v9
	s_delay_alu instid0(VALU_DEP_2) | instskip(NEXT) | instid1(VALU_DEP_2)
	v_or_b32_e32 v15, 0x80000000, v15
	v_or_b32_e32 v16, 0x80000000, v16
	s_delay_alu instid0(VALU_DEP_2) | instskip(NEXT) | instid1(VALU_DEP_2)
	v_xor_b32_e32 v8, v15, v8
	v_xor_b32_e32 v9, v16, v9
	v_dual_mov_b32 v15, v29 :: v_dual_mov_b32 v16, v30
	s_delay_alu instid0(VALU_DEP_2)
	v_cmpx_gt_u32_e64 v8, v9
; %bb.51:
	v_mov_b32_e32 v15, v27
	v_dual_mov_b32 v25, v54 :: v_dual_mov_b32 v16, v28
	v_dual_mov_b32 v27, v29 :: v_dual_mov_b32 v54, v55
	v_mov_b32_e32 v28, v30
; %bb.52:
	s_wait_alu 0xfffe
	s_or_b32 exec_lo, exec_lo, s9
	v_dual_add_f32 v8, 0, v35 :: v_dual_add_f32 v9, 0, v52
	v_mov_b32_e32 v33, v52
	s_mov_b32 s9, exec_lo
	s_delay_alu instid0(VALU_DEP_2) | instskip(NEXT) | instid1(VALU_DEP_3)
	v_ashrrev_i32_e32 v26, 31, v8
	v_ashrrev_i32_e32 v29, 31, v9
	s_delay_alu instid0(VALU_DEP_2) | instskip(NEXT) | instid1(VALU_DEP_2)
	v_or_b32_e32 v26, 0x80000000, v26
	v_or_b32_e32 v29, 0x80000000, v29
	s_delay_alu instid0(VALU_DEP_2) | instskip(NEXT) | instid1(VALU_DEP_2)
	v_xor_b32_e32 v26, v26, v8
	v_xor_b32_e32 v29, v29, v9
	v_dual_mov_b32 v8, v18 :: v_dual_mov_b32 v9, v19
	s_delay_alu instid0(VALU_DEP_2)
	v_cmpx_gt_u32_e64 v26, v29
; %bb.53:
	v_dual_mov_b32 v8, v21 :: v_dual_mov_b32 v9, v22
	v_dual_mov_b32 v22, v19 :: v_dual_mov_b32 v21, v18
	v_mov_b32_e32 v33, v35
	v_mov_b32_e32 v35, v52
; %bb.54:
	s_wait_alu 0xfffe
	s_or_b32 exec_lo, exec_lo, s9
	v_dual_add_f32 v18, 0, v38 :: v_dual_add_f32 v19, 0, v17
	s_mov_b32 s9, exec_lo
	s_delay_alu instid0(VALU_DEP_1) | instskip(NEXT) | instid1(VALU_DEP_2)
	v_ashrrev_i32_e32 v26, 31, v18
	v_ashrrev_i32_e32 v29, 31, v19
	s_delay_alu instid0(VALU_DEP_2) | instskip(NEXT) | instid1(VALU_DEP_2)
	v_or_b32_e32 v26, 0x80000000, v26
	v_or_b32_e32 v29, 0x80000000, v29
	s_delay_alu instid0(VALU_DEP_2) | instskip(NEXT) | instid1(VALU_DEP_2)
	v_xor_b32_e32 v18, v26, v18
	v_xor_b32_e32 v26, v29, v19
	v_dual_mov_b32 v19, v38 :: v_dual_mov_b32 v30, v24
	v_mov_b32_e32 v29, v23
	s_delay_alu instid0(VALU_DEP_3)
	v_cmpx_gt_u32_e64 v18, v26
; %bb.55:
	v_dual_mov_b32 v19, v17 :: v_dual_mov_b32 v30, v5
	v_mov_b32_e32 v17, v38
	v_dual_mov_b32 v29, v4 :: v_dual_mov_b32 v4, v23
	v_mov_b32_e32 v5, v24
; %bb.56:
	s_wait_alu 0xfffe
	s_or_b32 exec_lo, exec_lo, s9
	v_dual_add_f32 v18, 0, v25 :: v_dual_add_f32 v23, 0, v34
	s_mov_b32 s9, exec_lo
	v_dual_mov_b32 v37, v28 :: v_dual_mov_b32 v36, v27
	s_delay_alu instid0(VALU_DEP_2) | instskip(NEXT) | instid1(VALU_DEP_3)
	v_ashrrev_i32_e32 v24, 31, v18
	v_ashrrev_i32_e32 v26, 31, v23
	s_delay_alu instid0(VALU_DEP_2) | instskip(NEXT) | instid1(VALU_DEP_2)
	v_or_b32_e32 v24, 0x80000000, v24
	v_or_b32_e32 v26, 0x80000000, v26
	s_delay_alu instid0(VALU_DEP_2) | instskip(SKIP_1) | instid1(VALU_DEP_3)
	v_xor_b32_e32 v24, v24, v18
	v_mov_b32_e32 v18, v25
	v_xor_b32_e32 v23, v26, v23
	s_delay_alu instid0(VALU_DEP_1)
	v_cmpx_gt_u32_e64 v24, v23
; %bb.57:
	v_dual_mov_b32 v18, v34 :: v_dual_mov_b32 v37, v32
	v_mov_b32_e32 v36, v31
	v_mov_b32_e32 v32, v28
	v_dual_mov_b32 v34, v25 :: v_dual_mov_b32 v31, v27
; %bb.58:
	s_wait_alu 0xfffe
	s_or_b32 exec_lo, exec_lo, s9
	v_dual_add_f32 v23, 0, v33 :: v_dual_add_f32 v24, 0, v54
	v_mov_b32_e32 v55, v54
	s_mov_b32 s9, exec_lo
	s_delay_alu instid0(VALU_DEP_2) | instskip(NEXT) | instid1(VALU_DEP_3)
	v_ashrrev_i32_e32 v25, 31, v23
	v_ashrrev_i32_e32 v26, 31, v24
	s_delay_alu instid0(VALU_DEP_2) | instskip(NEXT) | instid1(VALU_DEP_2)
	v_or_b32_e32 v25, 0x80000000, v25
	v_or_b32_e32 v26, 0x80000000, v26
	s_delay_alu instid0(VALU_DEP_2) | instskip(NEXT) | instid1(VALU_DEP_2)
	v_xor_b32_e32 v23, v25, v23
	v_xor_b32_e32 v24, v26, v24
	v_dual_mov_b32 v26, v22 :: v_dual_mov_b32 v25, v21
	s_delay_alu instid0(VALU_DEP_2)
	v_cmpx_gt_u32_e64 v23, v24
; %bb.59:
	v_dual_mov_b32 v26, v16 :: v_dual_mov_b32 v25, v15
	v_dual_mov_b32 v15, v21 :: v_dual_mov_b32 v16, v22
	v_mov_b32_e32 v55, v33
	v_mov_b32_e32 v33, v54
; %bb.60:
	s_wait_alu 0xfffe
	s_or_b32 exec_lo, exec_lo, s9
	v_dual_add_f32 v21, 0, v20 :: v_dual_add_f32 v22, 0, v35
	v_mov_b32_e32 v53, v35
	s_mov_b32 s9, exec_lo
	s_delay_alu instid0(VALU_DEP_2) | instskip(NEXT) | instid1(VALU_DEP_3)
	v_ashrrev_i32_e32 v23, 31, v21
	v_ashrrev_i32_e32 v24, 31, v22
	s_delay_alu instid0(VALU_DEP_2) | instskip(NEXT) | instid1(VALU_DEP_2)
	v_or_b32_e32 v23, 0x80000000, v23
	v_or_b32_e32 v24, 0x80000000, v24
	s_delay_alu instid0(VALU_DEP_2) | instskip(NEXT) | instid1(VALU_DEP_2)
	v_xor_b32_e32 v23, v23, v21
	v_xor_b32_e32 v24, v24, v22
	v_dual_mov_b32 v22, v14 :: v_dual_mov_b32 v21, v13
	s_delay_alu instid0(VALU_DEP_2)
	v_cmpx_gt_u32_e64 v23, v24
; %bb.61:
	v_dual_mov_b32 v22, v9 :: v_dual_mov_b32 v21, v8
	v_dual_mov_b32 v8, v13 :: v_dual_mov_b32 v9, v14
	;; [unrolled: 1-line block ×3, first 2 shown]
; %bb.62:
	s_wait_alu 0xfffe
	s_or_b32 exec_lo, exec_lo, s9
	v_dual_add_f32 v13, 0, v34 :: v_dual_add_f32 v14, 0, v19
	v_dual_mov_b32 v52, v34 :: v_dual_mov_b32 v39, v32
	v_mov_b32_e32 v38, v31
	s_delay_alu instid0(VALU_DEP_3) | instskip(NEXT) | instid1(VALU_DEP_4)
	v_ashrrev_i32_e32 v23, 31, v13
	v_ashrrev_i32_e32 v24, 31, v14
	s_mov_b32 s9, exec_lo
	s_delay_alu instid0(VALU_DEP_2) | instskip(NEXT) | instid1(VALU_DEP_2)
	v_or_b32_e32 v23, 0x80000000, v23
	v_or_b32_e32 v24, 0x80000000, v24
	s_delay_alu instid0(VALU_DEP_2) | instskip(NEXT) | instid1(VALU_DEP_2)
	v_xor_b32_e32 v13, v23, v13
	v_xor_b32_e32 v14, v24, v14
	s_delay_alu instid0(VALU_DEP_1)
	v_cmpx_gt_u32_e64 v13, v14
; %bb.63:
	v_dual_mov_b32 v52, v19 :: v_dual_mov_b32 v19, v34
	v_dual_mov_b32 v39, v30 :: v_dual_mov_b32 v38, v29
	;; [unrolled: 1-line block ×3, first 2 shown]
; %bb.64:
	s_wait_alu 0xfffe
	s_or_b32 exec_lo, exec_lo, s9
	v_dual_add_f32 v13, 0, v55 :: v_dual_add_f32 v14, 0, v18
	v_mov_b32_e32 v35, v16
	s_mov_b32 s9, exec_lo
	v_mov_b32_e32 v34, v15
	s_delay_alu instid0(VALU_DEP_3) | instskip(SKIP_1) | instid1(VALU_DEP_2)
	v_ashrrev_i32_e32 v23, 31, v13
	v_ashrrev_i32_e32 v24, 31, v14
	v_or_b32_e32 v23, 0x80000000, v23
	s_delay_alu instid0(VALU_DEP_2) | instskip(NEXT) | instid1(VALU_DEP_2)
	v_or_b32_e32 v24, 0x80000000, v24
	v_xor_b32_e32 v23, v23, v13
	s_delay_alu instid0(VALU_DEP_2) | instskip(SKIP_1) | instid1(VALU_DEP_2)
	v_xor_b32_e32 v14, v24, v14
	v_mov_b32_e32 v13, v18
	v_cmpx_gt_u32_e64 v23, v14
; %bb.65:
	v_dual_mov_b32 v13, v55 :: v_dual_mov_b32 v34, v36
	v_mov_b32_e32 v35, v37
	v_dual_mov_b32 v37, v16 :: v_dual_mov_b32 v36, v15
	v_mov_b32_e32 v55, v18
; %bb.66:
	s_wait_alu 0xfffe
	s_or_b32 exec_lo, exec_lo, s9
	v_add_f32_e32 v14, 0, v53
	v_dual_add_f32 v15, 0, v33 :: v_dual_mov_b32 v24, v9
	v_dual_mov_b32 v23, v8 :: v_dual_mov_b32 v28, v33
	s_delay_alu instid0(VALU_DEP_3) | instskip(NEXT) | instid1(VALU_DEP_3)
	v_ashrrev_i32_e32 v16, 31, v14
	v_ashrrev_i32_e32 v18, 31, v15
	s_mov_b32 s9, exec_lo
	s_delay_alu instid0(VALU_DEP_2) | instskip(NEXT) | instid1(VALU_DEP_2)
	v_or_b32_e32 v16, 0x80000000, v16
	v_or_b32_e32 v18, 0x80000000, v18
	s_delay_alu instid0(VALU_DEP_2) | instskip(NEXT) | instid1(VALU_DEP_2)
	v_xor_b32_e32 v14, v16, v14
	v_xor_b32_e32 v15, v18, v15
	s_delay_alu instid0(VALU_DEP_1)
	v_cmpx_gt_u32_e64 v14, v15
; %bb.67:
	v_dual_mov_b32 v23, v25 :: v_dual_mov_b32 v24, v26
	v_dual_mov_b32 v26, v9 :: v_dual_mov_b32 v25, v8
	;; [unrolled: 1-line block ×3, first 2 shown]
; %bb.68:
	s_wait_alu 0xfffe
	s_or_b32 exec_lo, exec_lo, s9
	v_dual_add_f32 v8, 0, v19 :: v_dual_add_f32 v9, 0, v17
	v_mov_b32_e32 v18, v19
	s_delay_alu instid0(VALU_DEP_2) | instskip(NEXT) | instid1(VALU_DEP_3)
	v_ashrrev_i32_e32 v14, 31, v8
	v_ashrrev_i32_e32 v15, 31, v9
	s_delay_alu instid0(VALU_DEP_2) | instskip(NEXT) | instid1(VALU_DEP_2)
	v_or_b32_e32 v14, 0x80000000, v14
	v_or_b32_e32 v15, 0x80000000, v15
	s_delay_alu instid0(VALU_DEP_2) | instskip(NEXT) | instid1(VALU_DEP_2)
	v_xor_b32_e32 v8, v14, v8
	v_xor_b32_e32 v9, v15, v9
	s_delay_alu instid0(VALU_DEP_1)
	v_cmp_gt_u32_e64 s7, v8, v9
	v_dual_mov_b32 v8, v29 :: v_dual_mov_b32 v9, v30
	s_and_saveexec_b32 s9, s7
; %bb.69:
	v_dual_mov_b32 v18, v17 :: v_dual_mov_b32 v17, v19
	v_dual_mov_b32 v9, v5 :: v_dual_mov_b32 v8, v4
	;; [unrolled: 1-line block ×3, first 2 shown]
; %bb.70:
	s_wait_alu 0xfffe
	s_or_b32 exec_lo, exec_lo, s9
	v_dual_add_f32 v14, 0, v13 :: v_dual_add_f32 v15, 0, v52
	s_delay_alu instid0(VALU_DEP_1) | instskip(NEXT) | instid1(VALU_DEP_2)
	v_ashrrev_i32_e32 v16, 31, v14
	v_ashrrev_i32_e32 v19, 31, v15
	s_delay_alu instid0(VALU_DEP_2) | instskip(NEXT) | instid1(VALU_DEP_2)
	v_or_b32_e32 v16, 0x80000000, v16
	v_or_b32_e32 v19, 0x80000000, v19
	s_delay_alu instid0(VALU_DEP_2) | instskip(NEXT) | instid1(VALU_DEP_2)
	v_xor_b32_e32 v14, v16, v14
	v_xor_b32_e32 v15, v19, v15
	v_mov_b32_e32 v19, v13
	s_delay_alu instid0(VALU_DEP_2)
	v_cmp_gt_u32_e64 s7, v14, v15
	v_dual_mov_b32 v15, v36 :: v_dual_mov_b32 v16, v37
	s_and_saveexec_b32 s9, s7
; %bb.71:
	v_dual_mov_b32 v19, v52 :: v_dual_mov_b32 v52, v13
	v_dual_mov_b32 v15, v38 :: v_dual_mov_b32 v16, v39
	;; [unrolled: 1-line block ×3, first 2 shown]
; %bb.72:
	s_wait_alu 0xfffe
	s_or_b32 exec_lo, exec_lo, s9
	v_dual_add_f32 v13, 0, v28 :: v_dual_add_f32 v14, 0, v55
	v_dual_mov_b32 v37, v26 :: v_dual_mov_b32 v36, v25
	s_mov_b32 s9, exec_lo
	s_delay_alu instid0(VALU_DEP_2) | instskip(NEXT) | instid1(VALU_DEP_3)
	v_ashrrev_i32_e32 v27, 31, v13
	v_ashrrev_i32_e32 v29, 31, v14
	s_delay_alu instid0(VALU_DEP_2) | instskip(NEXT) | instid1(VALU_DEP_2)
	v_or_b32_e32 v27, 0x80000000, v27
	v_or_b32_e32 v29, 0x80000000, v29
	s_delay_alu instid0(VALU_DEP_2) | instskip(NEXT) | instid1(VALU_DEP_2)
	v_xor_b32_e32 v13, v27, v13
	v_xor_b32_e32 v14, v29, v14
	v_mov_b32_e32 v27, v55
	s_delay_alu instid0(VALU_DEP_2)
	v_cmpx_gt_u32_e64 v13, v14
; %bb.73:
	v_dual_mov_b32 v37, v35 :: v_dual_mov_b32 v36, v34
	v_dual_mov_b32 v35, v26 :: v_dual_mov_b32 v34, v25
	;; [unrolled: 1-line block ×3, first 2 shown]
; %bb.74:
	s_wait_alu 0xfffe
	s_or_b32 exec_lo, exec_lo, s9
	v_dual_add_f32 v13, 0, v20 :: v_dual_add_f32 v14, 0, v53
	v_dual_mov_b32 v33, v22 :: v_dual_mov_b32 v32, v21
	v_mov_b32_e32 v31, v53
	s_delay_alu instid0(VALU_DEP_3) | instskip(NEXT) | instid1(VALU_DEP_4)
	v_ashrrev_i32_e32 v25, 31, v13
	v_ashrrev_i32_e32 v26, 31, v14
	s_mov_b32 s9, exec_lo
	s_delay_alu instid0(VALU_DEP_2) | instskip(NEXT) | instid1(VALU_DEP_2)
	v_or_b32_e32 v25, 0x80000000, v25
	v_or_b32_e32 v26, 0x80000000, v26
	s_delay_alu instid0(VALU_DEP_2) | instskip(NEXT) | instid1(VALU_DEP_2)
	v_xor_b32_e32 v13, v25, v13
	v_xor_b32_e32 v14, v26, v14
	s_delay_alu instid0(VALU_DEP_1)
	v_cmpx_gt_u32_e64 v13, v14
; %bb.75:
	v_dual_mov_b32 v33, v24 :: v_dual_mov_b32 v32, v23
	v_dual_mov_b32 v24, v22 :: v_dual_mov_b32 v23, v21
	;; [unrolled: 1-line block ×3, first 2 shown]
; %bb.76:
	s_wait_alu 0xfffe
	s_or_b32 exec_lo, exec_lo, s9
	v_dual_add_f32 v13, 0, v52 :: v_dual_add_f32 v14, 0, v18
	v_mov_b32_e32 v29, v52
	s_delay_alu instid0(VALU_DEP_2) | instskip(NEXT) | instid1(VALU_DEP_3)
	v_ashrrev_i32_e32 v21, 31, v13
	v_ashrrev_i32_e32 v22, 31, v14
	s_delay_alu instid0(VALU_DEP_2) | instskip(NEXT) | instid1(VALU_DEP_2)
	v_or_b32_e32 v21, 0x80000000, v21
	v_or_b32_e32 v22, 0x80000000, v22
	s_delay_alu instid0(VALU_DEP_2) | instskip(NEXT) | instid1(VALU_DEP_2)
	v_xor_b32_e32 v13, v21, v13
	v_xor_b32_e32 v14, v22, v14
	s_delay_alu instid0(VALU_DEP_1)
	v_cmp_gt_u32_e64 s7, v13, v14
	v_dual_mov_b32 v13, v38 :: v_dual_mov_b32 v14, v39
	s_and_saveexec_b32 s9, s7
; %bb.77:
	v_dual_mov_b32 v29, v18 :: v_dual_mov_b32 v18, v52
	v_dual_mov_b32 v14, v9 :: v_dual_mov_b32 v13, v8
	;; [unrolled: 1-line block ×3, first 2 shown]
; %bb.78:
	s_wait_alu 0xfffe
	s_or_b32 exec_lo, exec_lo, s9
	v_dual_add_f32 v21, 0, v27 :: v_dual_mov_b32 v30, v19
	v_add_f32_e32 v22, 0, v19
	s_delay_alu instid0(VALU_DEP_2) | instskip(NEXT) | instid1(VALU_DEP_2)
	v_ashrrev_i32_e32 v25, 31, v21
	v_ashrrev_i32_e32 v26, 31, v22
	s_delay_alu instid0(VALU_DEP_2) | instskip(NEXT) | instid1(VALU_DEP_2)
	v_or_b32_e32 v25, 0x80000000, v25
	v_or_b32_e32 v26, 0x80000000, v26
	s_delay_alu instid0(VALU_DEP_2) | instskip(NEXT) | instid1(VALU_DEP_2)
	v_xor_b32_e32 v21, v25, v21
	v_xor_b32_e32 v22, v26, v22
	s_delay_alu instid0(VALU_DEP_1)
	v_cmp_gt_u32_e64 s7, v21, v22
	v_dual_mov_b32 v21, v34 :: v_dual_mov_b32 v22, v35
	s_and_saveexec_b32 s9, s7
; %bb.79:
	v_mov_b32_e32 v22, v16
	v_dual_mov_b32 v30, v27 :: v_dual_mov_b32 v21, v15
	v_dual_mov_b32 v15, v34 :: v_dual_mov_b32 v16, v35
	v_mov_b32_e32 v27, v19
; %bb.80:
	s_wait_alu 0xfffe
	s_or_b32 exec_lo, exec_lo, s9
	v_add_f32_e32 v19, 0, v31
	v_add_f32_e32 v25, 0, v28
	s_delay_alu instid0(VALU_DEP_2) | instskip(NEXT) | instid1(VALU_DEP_2)
	v_ashrrev_i32_e32 v26, 31, v19
	v_ashrrev_i32_e32 v34, 31, v25
	s_delay_alu instid0(VALU_DEP_2) | instskip(NEXT) | instid1(VALU_DEP_2)
	v_or_b32_e32 v26, 0x80000000, v26
	v_or_b32_e32 v34, 0x80000000, v34
	s_delay_alu instid0(VALU_DEP_2) | instskip(NEXT) | instid1(VALU_DEP_2)
	v_xor_b32_e32 v26, v26, v19
	v_xor_b32_e32 v25, v34, v25
	v_mov_b32_e32 v19, v31
	s_delay_alu instid0(VALU_DEP_2)
	v_cmp_gt_u32_e64 s7, v26, v25
	v_dual_mov_b32 v25, v36 :: v_dual_mov_b32 v26, v37
	s_and_saveexec_b32 s9, s7
; %bb.81:
	v_dual_mov_b32 v19, v28 :: v_dual_mov_b32 v28, v31
	v_dual_mov_b32 v26, v24 :: v_dual_mov_b32 v25, v23
	;; [unrolled: 1-line block ×3, first 2 shown]
; %bb.82:
	s_wait_alu 0xfffe
	s_or_b32 exec_lo, exec_lo, s9
.LBB1340_83:
	s_wait_alu 0xfffe
	s_or_b32 exec_lo, exec_lo, s8
	v_and_b32_e32 v31, 0xffffff00, v51
	v_or_b32_e32 v35, 8, v50
	v_and_b32_e32 v37, 8, v50
	v_and_b32_e32 v64, 0xf0, v50
	s_mov_b32 s8, exec_lo
	v_sub_nc_u32_e64 v36, 0x800, v31 clamp
	v_lshlrev_b32_e32 v34, 2, v31
	s_delay_alu instid0(VALU_DEP_2) | instskip(NEXT) | instid1(VALU_DEP_2)
	v_min_u32_e32 v52, v36, v35
	v_add_nc_u32_e32 v31, v34, v34
	v_min_u32_e32 v65, v36, v37
	s_delay_alu instid0(VALU_DEP_3) | instskip(NEXT) | instid1(VALU_DEP_3)
	v_add_nc_u32_e32 v35, 8, v52
	v_lshl_add_u32 v51, v50, 3, v31
	v_sub_nc_u32_e32 v55, v52, v64
	s_delay_alu instid0(VALU_DEP_3) | instskip(SKIP_1) | instid1(VALU_DEP_4)
	v_min_u32_e32 v53, v36, v35
	v_lshl_or_b32 v35, v50, 2, v34
	v_add_nc_u32_e32 v37, 0x2000, v51
	v_add_nc_u32_e32 v38, 0x2010, v51
	;; [unrolled: 1-line block ×3, first 2 shown]
	v_sub_nc_u32_e32 v54, v53, v52
	v_min_u32_e32 v66, v65, v55
	v_add_nc_u32_e32 v51, 0x2030, v51
	v_lshl_or_b32 v55, v64, 2, v34
	s_wait_loadcnt_dscnt 0x0
	ds_store_2addr_b64 v37, v[4:5], v[8:9] offset1:1
	ds_store_2addr_b64 v38, v[13:14], v[15:16] offset1:1
	v_sub_nc_u32_e64 v54, v65, v54 clamp
	ds_store_2addr_b64 v35, v[17:18], v[29:30] offset1:1
	ds_store_2addr_b64 v35, v[27:28], v[19:20] offset0:2 offset1:3
	ds_store_2addr_b64 v39, v[21:22], v[25:26] offset1:1
	ds_store_2addr_b64 v51, v[23:24], v[32:33] offset1:1
	; wave barrier
	v_cmpx_lt_u32_e64 v54, v66
	s_cbranch_execz .LBB1340_87
; %bb.84:
	v_lshlrev_b32_e32 v67, 2, v52
	v_lshlrev_b32_e32 v68, 2, v65
	s_mov_b32 s9, 0
	s_delay_alu instid0(VALU_DEP_1)
	v_add3_u32 v67, v34, v67, v68
.LBB1340_85:                            ; =>This Inner Loop Header: Depth=1
	v_add_nc_u32_e32 v68, v66, v54
	s_delay_alu instid0(VALU_DEP_1) | instskip(NEXT) | instid1(VALU_DEP_1)
	v_lshrrev_b32_e32 v68, 1, v68
	v_not_b32_e32 v69, v68
	v_lshl_add_u32 v70, v68, 2, v55
	s_delay_alu instid0(VALU_DEP_2) | instskip(SKIP_4) | instid1(VALU_DEP_1)
	v_lshl_add_u32 v69, v69, 2, v67
	ds_load_b32 v70, v70
	ds_load_b32 v69, v69
	s_wait_dscnt 0x0
	v_dual_add_f32 v70, 0, v70 :: v_dual_add_f32 v69, 0, v69
	v_ashrrev_i32_e32 v71, 31, v70
	s_delay_alu instid0(VALU_DEP_2) | instskip(NEXT) | instid1(VALU_DEP_2)
	v_ashrrev_i32_e32 v80, 31, v69
	v_or_b32_e32 v71, 0x80000000, v71
	s_delay_alu instid0(VALU_DEP_2) | instskip(NEXT) | instid1(VALU_DEP_2)
	v_or_b32_e32 v80, 0x80000000, v80
	v_xor_b32_e32 v70, v71, v70
	s_delay_alu instid0(VALU_DEP_2) | instskip(SKIP_1) | instid1(VALU_DEP_2)
	v_xor_b32_e32 v69, v80, v69
	v_add_nc_u32_e32 v71, 1, v68
	v_cmp_gt_u32_e64 s7, v69, v70
	s_wait_alu 0xf1ff
	s_delay_alu instid0(VALU_DEP_1) | instskip(NEXT) | instid1(VALU_DEP_3)
	v_cndmask_b32_e64 v66, v66, v68, s7
	v_cndmask_b32_e64 v54, v71, v54, s7
	s_delay_alu instid0(VALU_DEP_1)
	v_cmp_ge_u32_e64 s7, v54, v66
	s_wait_alu 0xfffe
	s_or_b32 s9, s7, s9
	s_wait_alu 0xfffe
	s_and_not1_b32 exec_lo, exec_lo, s9
	s_cbranch_execnz .LBB1340_85
; %bb.86:
	s_or_b32 exec_lo, exec_lo, s9
.LBB1340_87:
	s_wait_alu 0xfffe
	s_or_b32 exec_lo, exec_lo, s8
	v_add_nc_u32_e32 v65, v52, v65
	v_add_nc_u32_e32 v64, v54, v64
	s_delay_alu instid0(VALU_DEP_2) | instskip(NEXT) | instid1(VALU_DEP_2)
	v_sub_nc_u32_e32 v65, v65, v54
	v_cmp_le_u32_e64 s7, v64, v52
	s_delay_alu instid0(VALU_DEP_2)
	v_cmp_le_u32_e64 s8, v65, v53
	s_or_b32 s7, s7, s8
	s_wait_alu 0xfffe
	s_and_saveexec_b32 s9, s7
	s_cbranch_execz .LBB1340_123
; %bb.88:
	v_cmp_ge_u32_e64 s7, v64, v52
	s_mov_b32 s10, exec_lo
                                        ; implicit-def: $vgpr17
	v_cmpx_lt_u32_e64 v64, v52
; %bb.89:
	v_lshl_add_u32 v4, v54, 2, v55
	ds_load_b32 v17, v4
; %bb.90:
	s_wait_alu 0xfffe
	s_or_b32 exec_lo, exec_lo, s10
	v_cmp_ge_u32_e64 s10, v65, v53
	s_mov_b32 s11, exec_lo
                                        ; implicit-def: $vgpr20
	v_cmpx_lt_u32_e64 v65, v53
; %bb.91:
	v_lshl_add_u32 v4, v65, 2, v34
	ds_load_b32 v20, v4
; %bb.92:
	s_wait_alu 0xfffe
	s_or_b32 exec_lo, exec_lo, s11
	s_nor_b32 s7, s7, s10
	s_wait_alu 0xfffe
	s_and_saveexec_b32 s8, s7
	s_cbranch_execz .LBB1340_94
; %bb.93:
	s_wait_dscnt 0x0
	v_dual_add_f32 v4, 0, v20 :: v_dual_add_f32 v5, 0, v17
	s_and_not1_b32 s10, s10, exec_lo
	s_delay_alu instid0(VALU_DEP_1) | instskip(NEXT) | instid1(VALU_DEP_2)
	v_ashrrev_i32_e32 v8, 31, v4
	v_ashrrev_i32_e32 v9, 31, v5
	s_delay_alu instid0(VALU_DEP_2) | instskip(NEXT) | instid1(VALU_DEP_2)
	v_or_b32_e32 v8, 0x80000000, v8
	v_or_b32_e32 v9, 0x80000000, v9
	s_delay_alu instid0(VALU_DEP_2) | instskip(NEXT) | instid1(VALU_DEP_2)
	v_xor_b32_e32 v4, v8, v4
	v_xor_b32_e32 v5, v9, v5
	s_delay_alu instid0(VALU_DEP_1)
	v_cmp_le_u32_e64 s7, v4, v5
	s_and_b32 s7, s7, exec_lo
	s_wait_alu 0xfffe
	s_or_b32 s10, s10, s7
.LBB1340_94:
	s_wait_alu 0xfffe
	s_or_b32 exec_lo, exec_lo, s8
	v_cndmask_b32_e64 v4, v65, v64, s10
	v_cndmask_b32_e64 v5, v53, v52, s10
	s_mov_b32 s11, -1
	s_mov_b32 s8, -1
	s_mov_b32 s12, exec_lo
	v_add_nc_u32_e32 v8, 1, v4
	v_add_nc_u32_e32 v5, -1, v5
	v_lshl_add_u32 v4, v4, 3, v31
	s_delay_alu instid0(VALU_DEP_3) | instskip(NEXT) | instid1(VALU_DEP_3)
	v_cndmask_b32_e64 v13, v8, v65, s10
	v_min_u32_e32 v5, v8, v5
	v_cndmask_b32_e64 v14, v64, v8, s10
	s_delay_alu instid0(VALU_DEP_2)
	v_lshl_add_u32 v5, v5, 2, v34
	ds_load_b32 v9, v5
	ds_load_b64 v[4:5], v4 offset:8192
	s_wait_dscnt 0x1
	v_cndmask_b32_e64 v18, v9, v20, s10
	v_cndmask_b32_e64 v54, v17, v9, s10
	v_cmpx_lt_u32_e64 v13, v53
	s_cbranch_execz .LBB1340_98
; %bb.95:
	s_mov_b32 s13, 0
	s_mov_b32 s8, exec_lo
	v_cmpx_lt_u32_e64 v14, v52
	s_cbranch_execz .LBB1340_97
; %bb.96:
	v_add_f32_e32 v8, 0, v18
	v_add_f32_e32 v9, 0, v54
	s_delay_alu instid0(VALU_DEP_2) | instskip(NEXT) | instid1(VALU_DEP_2)
	v_ashrrev_i32_e32 v15, 31, v8
	v_ashrrev_i32_e32 v16, 31, v9
	s_delay_alu instid0(VALU_DEP_2) | instskip(NEXT) | instid1(VALU_DEP_2)
	v_or_b32_e32 v15, 0x80000000, v15
	v_or_b32_e32 v16, 0x80000000, v16
	s_delay_alu instid0(VALU_DEP_2) | instskip(NEXT) | instid1(VALU_DEP_2)
	v_xor_b32_e32 v8, v15, v8
	v_xor_b32_e32 v9, v16, v9
	s_delay_alu instid0(VALU_DEP_1)
	v_cmp_le_u32_e64 s7, v8, v9
	s_and_b32 s13, s7, exec_lo
.LBB1340_97:
	s_wait_alu 0xfffe
	s_or_b32 exec_lo, exec_lo, s8
	s_delay_alu instid0(SALU_CYCLE_1)
	s_or_not1_b32 s8, s13, exec_lo
.LBB1340_98:
	s_wait_alu 0xfffe
	s_or_b32 exec_lo, exec_lo, s12
	v_cndmask_b32_e64 v8, v13, v14, s8
	v_cndmask_b32_e64 v9, v53, v52, s8
	s_mov_b32 s12, exec_lo
	s_delay_alu instid0(VALU_DEP_2) | instskip(NEXT) | instid1(VALU_DEP_2)
	v_add_nc_u32_e32 v16, 1, v8
	v_add_nc_u32_e32 v9, -1, v9
	v_lshl_add_u32 v8, v8, 3, v31
	s_delay_alu instid0(VALU_DEP_3) | instskip(NEXT) | instid1(VALU_DEP_3)
	v_cndmask_b32_e64 v15, v16, v13, s8
	v_min_u32_e32 v9, v16, v9
	v_cndmask_b32_e64 v16, v14, v16, s8
	s_delay_alu instid0(VALU_DEP_2)
	v_lshl_add_u32 v9, v9, 2, v34
	ds_load_b32 v19, v9
	ds_load_b64 v[8:9], v8 offset:8192
	s_wait_dscnt 0x1
	v_cndmask_b32_e64 v29, v19, v18, s8
	v_cndmask_b32_e64 v55, v54, v19, s8
	v_cmpx_lt_u32_e64 v15, v53
	s_cbranch_execz .LBB1340_102
; %bb.99:
	s_mov_b32 s13, 0
	s_mov_b32 s11, exec_lo
	v_cmpx_lt_u32_e64 v16, v52
	s_cbranch_execz .LBB1340_101
; %bb.100:
	v_dual_add_f32 v13, 0, v29 :: v_dual_add_f32 v14, 0, v55
	s_delay_alu instid0(VALU_DEP_1) | instskip(NEXT) | instid1(VALU_DEP_2)
	v_ashrrev_i32_e32 v19, 31, v13
	v_ashrrev_i32_e32 v21, 31, v14
	s_delay_alu instid0(VALU_DEP_2) | instskip(NEXT) | instid1(VALU_DEP_2)
	v_or_b32_e32 v19, 0x80000000, v19
	v_or_b32_e32 v21, 0x80000000, v21
	s_delay_alu instid0(VALU_DEP_2) | instskip(NEXT) | instid1(VALU_DEP_2)
	v_xor_b32_e32 v13, v19, v13
	v_xor_b32_e32 v14, v21, v14
	s_delay_alu instid0(VALU_DEP_1)
	v_cmp_le_u32_e64 s7, v13, v14
	s_and_b32 s13, s7, exec_lo
.LBB1340_101:
	s_wait_alu 0xfffe
	s_or_b32 exec_lo, exec_lo, s11
	s_delay_alu instid0(SALU_CYCLE_1)
	s_or_not1_b32 s11, s13, exec_lo
.LBB1340_102:
	s_wait_alu 0xfffe
	s_or_b32 exec_lo, exec_lo, s12
	v_cndmask_b32_e64 v13, v15, v16, s11
	v_cndmask_b32_e64 v14, v53, v52, s11
	s_mov_b32 s13, -1
	s_mov_b32 s12, -1
	s_mov_b32 s14, exec_lo
	v_add_nc_u32_e32 v21, 1, v13
	v_add_nc_u32_e32 v14, -1, v14
	v_lshl_add_u32 v13, v13, 3, v31
	s_delay_alu instid0(VALU_DEP_3) | instskip(NEXT) | instid1(VALU_DEP_3)
	v_cndmask_b32_e64 v19, v21, v15, s11
	v_min_u32_e32 v14, v21, v14
	v_cndmask_b32_e64 v21, v16, v21, s11
	s_delay_alu instid0(VALU_DEP_2)
	v_lshl_add_u32 v14, v14, 2, v34
	ds_load_b32 v22, v14
	ds_load_b64 v[13:14], v13 offset:8192
	s_wait_dscnt 0x1
	v_cndmask_b32_e64 v30, v22, v29, s11
	v_cndmask_b32_e64 v64, v55, v22, s11
	v_cmpx_lt_u32_e64 v19, v53
	s_cbranch_execz .LBB1340_106
; %bb.103:
	s_mov_b32 s15, 0
	s_mov_b32 s12, exec_lo
	v_cmpx_lt_u32_e64 v21, v52
	s_cbranch_execz .LBB1340_105
; %bb.104:
	v_dual_add_f32 v15, 0, v30 :: v_dual_add_f32 v16, 0, v64
	s_delay_alu instid0(VALU_DEP_1) | instskip(NEXT) | instid1(VALU_DEP_2)
	v_ashrrev_i32_e32 v22, 31, v15
	v_ashrrev_i32_e32 v23, 31, v16
	s_delay_alu instid0(VALU_DEP_2) | instskip(NEXT) | instid1(VALU_DEP_2)
	v_or_b32_e32 v22, 0x80000000, v22
	v_or_b32_e32 v23, 0x80000000, v23
	s_delay_alu instid0(VALU_DEP_2) | instskip(NEXT) | instid1(VALU_DEP_2)
	v_xor_b32_e32 v15, v22, v15
	v_xor_b32_e32 v16, v23, v16
	s_delay_alu instid0(VALU_DEP_1)
	v_cmp_le_u32_e64 s7, v15, v16
	s_and_b32 s15, s7, exec_lo
.LBB1340_105:
	s_wait_alu 0xfffe
	s_or_b32 exec_lo, exec_lo, s12
	s_delay_alu instid0(SALU_CYCLE_1)
	s_or_not1_b32 s12, s15, exec_lo
.LBB1340_106:
	s_wait_alu 0xfffe
	s_or_b32 exec_lo, exec_lo, s14
	v_cndmask_b32_e64 v15, v19, v21, s12
	v_cndmask_b32_e64 v16, v53, v52, s12
	s_mov_b32 s14, exec_lo
	s_delay_alu instid0(VALU_DEP_2) | instskip(NEXT) | instid1(VALU_DEP_2)
	v_add_nc_u32_e32 v22, 1, v15
	v_add_nc_u32_e32 v16, -1, v16
	v_lshl_add_u32 v15, v15, 3, v31
	s_delay_alu instid0(VALU_DEP_3) | instskip(NEXT) | instid1(VALU_DEP_3)
	v_cndmask_b32_e64 v19, v22, v19, s12
	v_min_u32_e32 v16, v22, v16
	v_cndmask_b32_e64 v23, v21, v22, s12
	s_delay_alu instid0(VALU_DEP_2)
	v_lshl_add_u32 v16, v16, 2, v34
	ds_load_b32 v24, v16
	ds_load_b64 v[15:16], v15 offset:8192
	s_wait_dscnt 0x1
	v_cndmask_b32_e64 v27, v24, v30, s12
	v_cndmask_b32_e64 v65, v64, v24, s12
	v_cmpx_lt_u32_e64 v19, v53
	s_cbranch_execz .LBB1340_110
; %bb.107:
	s_mov_b32 s15, 0
	s_mov_b32 s13, exec_lo
	v_cmpx_lt_u32_e64 v23, v52
	s_cbranch_execz .LBB1340_109
; %bb.108:
	v_dual_add_f32 v21, 0, v27 :: v_dual_add_f32 v22, 0, v65
	s_delay_alu instid0(VALU_DEP_1) | instskip(NEXT) | instid1(VALU_DEP_2)
	v_ashrrev_i32_e32 v24, 31, v21
	v_ashrrev_i32_e32 v25, 31, v22
	s_delay_alu instid0(VALU_DEP_2) | instskip(NEXT) | instid1(VALU_DEP_2)
	v_or_b32_e32 v24, 0x80000000, v24
	v_or_b32_e32 v25, 0x80000000, v25
	s_delay_alu instid0(VALU_DEP_2) | instskip(NEXT) | instid1(VALU_DEP_2)
	v_xor_b32_e32 v21, v24, v21
	v_xor_b32_e32 v22, v25, v22
	s_delay_alu instid0(VALU_DEP_1)
	v_cmp_le_u32_e64 s7, v21, v22
	s_and_b32 s15, s7, exec_lo
.LBB1340_109:
	s_wait_alu 0xfffe
	s_or_b32 exec_lo, exec_lo, s13
	s_delay_alu instid0(SALU_CYCLE_1)
	s_or_not1_b32 s13, s15, exec_lo
.LBB1340_110:
	s_wait_alu 0xfffe
	s_or_b32 exec_lo, exec_lo, s14
	v_cndmask_b32_e64 v21, v19, v23, s13
	v_cndmask_b32_e64 v22, v53, v52, s13
	s_mov_b32 s15, -1
	s_mov_b32 s14, -1
	s_mov_b32 s16, exec_lo
	v_add_nc_u32_e32 v24, 1, v21
	v_add_nc_u32_e32 v22, -1, v22
	v_lshl_add_u32 v21, v21, 3, v31
	s_delay_alu instid0(VALU_DEP_3) | instskip(NEXT) | instid1(VALU_DEP_3)
	v_cndmask_b32_e64 v19, v24, v19, s13
	v_min_u32_e32 v22, v24, v22
	v_cndmask_b32_e64 v23, v23, v24, s13
	s_delay_alu instid0(VALU_DEP_2)
	v_lshl_add_u32 v22, v22, 2, v34
	ds_load_b32 v25, v22
	ds_load_b64 v[21:22], v21 offset:8192
	s_wait_dscnt 0x1
	v_cndmask_b32_e64 v28, v25, v27, s13
	v_cndmask_b32_e64 v66, v65, v25, s13
	v_cmpx_lt_u32_e64 v19, v53
	s_cbranch_execz .LBB1340_114
; %bb.111:
	s_mov_b32 s17, 0
	s_mov_b32 s14, exec_lo
	v_cmpx_lt_u32_e64 v23, v52
	s_cbranch_execz .LBB1340_113
; %bb.112:
	v_dual_add_f32 v24, 0, v28 :: v_dual_add_f32 v25, 0, v66
	s_delay_alu instid0(VALU_DEP_1) | instskip(NEXT) | instid1(VALU_DEP_2)
	v_ashrrev_i32_e32 v26, 31, v24
	v_ashrrev_i32_e32 v32, 31, v25
	s_delay_alu instid0(VALU_DEP_2) | instskip(NEXT) | instid1(VALU_DEP_2)
	v_or_b32_e32 v26, 0x80000000, v26
	v_or_b32_e32 v32, 0x80000000, v32
	s_delay_alu instid0(VALU_DEP_2) | instskip(NEXT) | instid1(VALU_DEP_2)
	v_xor_b32_e32 v24, v26, v24
	v_xor_b32_e32 v25, v32, v25
	s_delay_alu instid0(VALU_DEP_1)
	v_cmp_le_u32_e64 s7, v24, v25
	s_and_b32 s17, s7, exec_lo
.LBB1340_113:
	s_wait_alu 0xfffe
	s_or_b32 exec_lo, exec_lo, s14
	s_delay_alu instid0(SALU_CYCLE_1)
	s_or_not1_b32 s14, s17, exec_lo
.LBB1340_114:
	s_wait_alu 0xfffe
	s_or_b32 exec_lo, exec_lo, s16
	v_cndmask_b32_e64 v24, v19, v23, s14
	v_cndmask_b32_e64 v25, v53, v52, s14
	s_mov_b32 s16, exec_lo
	s_delay_alu instid0(VALU_DEP_2) | instskip(NEXT) | instid1(VALU_DEP_2)
	v_add_nc_u32_e32 v33, 1, v24
	v_add_nc_u32_e32 v25, -1, v25
	v_lshl_add_u32 v24, v24, 3, v31
	s_delay_alu instid0(VALU_DEP_3) | instskip(NEXT) | instid1(VALU_DEP_3)
	v_cndmask_b32_e64 v32, v33, v19, s14
	v_min_u32_e32 v25, v33, v25
	v_cndmask_b32_e64 v33, v23, v33, s14
	s_delay_alu instid0(VALU_DEP_2)
	v_lshl_add_u32 v25, v25, 2, v34
	ds_load_b32 v67, v25
	ds_load_b64 v[25:26], v24 offset:8192
	s_wait_dscnt 0x1
	v_cndmask_b32_e64 v19, v67, v28, s14
	v_cndmask_b32_e64 v67, v66, v67, s14
	v_cmpx_lt_u32_e64 v32, v53
	s_cbranch_execz .LBB1340_118
; %bb.115:
	s_mov_b32 s17, 0
	s_mov_b32 s15, exec_lo
	v_cmpx_lt_u32_e64 v33, v52
	s_cbranch_execz .LBB1340_117
; %bb.116:
	v_add_f32_e32 v23, 0, v19
	v_add_f32_e32 v24, 0, v67
	s_delay_alu instid0(VALU_DEP_2) | instskip(NEXT) | instid1(VALU_DEP_2)
	v_ashrrev_i32_e32 v68, 31, v23
	v_ashrrev_i32_e32 v69, 31, v24
	s_delay_alu instid0(VALU_DEP_2) | instskip(NEXT) | instid1(VALU_DEP_2)
	v_or_b32_e32 v68, 0x80000000, v68
	v_or_b32_e32 v69, 0x80000000, v69
	s_delay_alu instid0(VALU_DEP_2) | instskip(NEXT) | instid1(VALU_DEP_2)
	v_xor_b32_e32 v23, v68, v23
	v_xor_b32_e32 v24, v69, v24
	s_delay_alu instid0(VALU_DEP_1)
	v_cmp_le_u32_e64 s7, v23, v24
	s_and_b32 s17, s7, exec_lo
.LBB1340_117:
	s_wait_alu 0xfffe
	s_or_b32 exec_lo, exec_lo, s15
	s_delay_alu instid0(SALU_CYCLE_1)
	s_or_not1_b32 s15, s17, exec_lo
.LBB1340_118:
	s_wait_alu 0xfffe
	s_or_b32 exec_lo, exec_lo, s16
	v_cndmask_b32_e64 v23, v32, v33, s15
	v_cndmask_b32_e64 v24, v53, v52, s15
	s_mov_b32 s17, -1
	s_mov_b32 s16, exec_lo
	s_delay_alu instid0(VALU_DEP_2) | instskip(NEXT) | instid1(VALU_DEP_2)
	v_add_nc_u32_e32 v68, 1, v23
	v_add_nc_u32_e32 v24, -1, v24
	v_lshl_add_u32 v23, v23, 3, v31
	s_delay_alu instid0(VALU_DEP_3) | instskip(NEXT) | instid1(VALU_DEP_3)
	v_cndmask_b32_e64 v32, v68, v32, s15
	v_min_u32_e32 v24, v68, v24
	v_cndmask_b32_e64 v33, v33, v68, s15
	s_delay_alu instid0(VALU_DEP_2)
	v_lshl_add_u32 v24, v24, 2, v34
	ds_load_b32 v69, v24
	ds_load_b64 v[23:24], v23 offset:8192
	s_wait_dscnt 0x1
	v_cndmask_b32_e64 v68, v69, v19, s15
	v_cndmask_b32_e64 v69, v67, v69, s15
	v_cmpx_lt_u32_e64 v32, v53
	s_cbranch_execz .LBB1340_122
; %bb.119:
	s_mov_b32 s18, 0
	s_mov_b32 s17, exec_lo
	v_cmpx_lt_u32_e64 v33, v52
	s_cbranch_execz .LBB1340_121
; %bb.120:
	v_dual_add_f32 v52, 0, v68 :: v_dual_add_f32 v53, 0, v69
	s_delay_alu instid0(VALU_DEP_1) | instskip(NEXT) | instid1(VALU_DEP_2)
	v_ashrrev_i32_e32 v70, 31, v52
	v_ashrrev_i32_e32 v71, 31, v53
	s_delay_alu instid0(VALU_DEP_2) | instskip(NEXT) | instid1(VALU_DEP_2)
	v_or_b32_e32 v70, 0x80000000, v70
	v_or_b32_e32 v71, 0x80000000, v71
	s_delay_alu instid0(VALU_DEP_2) | instskip(NEXT) | instid1(VALU_DEP_2)
	v_xor_b32_e32 v52, v70, v52
	v_xor_b32_e32 v53, v71, v53
	s_delay_alu instid0(VALU_DEP_1)
	v_cmp_le_u32_e64 s7, v52, v53
	s_and_b32 s18, s7, exec_lo
.LBB1340_121:
	s_wait_alu 0xfffe
	s_or_b32 exec_lo, exec_lo, s17
	s_delay_alu instid0(SALU_CYCLE_1)
	s_or_not1_b32 s17, s18, exec_lo
.LBB1340_122:
	s_wait_alu 0xfffe
	s_or_b32 exec_lo, exec_lo, s16
	v_cndmask_b32_e64 v32, v32, v33, s17
	v_cndmask_b32_e64 v19, v19, v67, s15
	;; [unrolled: 1-line block ×5, first 2 shown]
	v_lshl_add_u32 v32, v32, 3, v31
	v_cndmask_b32_e64 v29, v29, v55, s11
	v_cndmask_b32_e64 v18, v18, v54, s8
	;; [unrolled: 1-line block ×4, first 2 shown]
	ds_load_b64 v[32:33], v32 offset:8192
.LBB1340_123:
	s_wait_alu 0xfffe
	s_or_b32 exec_lo, exec_lo, s9
	v_and_b32_e32 v64, 0xe0, v50
	v_and_b32_e32 v54, 24, v50
	s_mov_b32 s8, exec_lo
	; wave barrier
	s_delay_alu instid0(VALU_DEP_2) | instskip(NEXT) | instid1(VALU_DEP_2)
	v_or_b32_e32 v52, 16, v64
	v_min_u32_e32 v65, v36, v54
	ds_store_2addr_b64 v37, v[4:5], v[8:9] offset1:1
	ds_store_2addr_b64 v38, v[13:14], v[15:16] offset1:1
	;; [unrolled: 1-line block ×3, first 2 shown]
	ds_store_2addr_b64 v35, v[27:28], v[19:20] offset0:2 offset1:3
	ds_store_2addr_b64 v39, v[21:22], v[25:26] offset1:1
	s_wait_dscnt 0x5
	ds_store_2addr_b64 v51, v[23:24], v[32:33] offset1:1
	v_min_u32_e32 v52, v36, v52
	; wave barrier
	s_delay_alu instid0(VALU_DEP_1) | instskip(SKIP_1) | instid1(VALU_DEP_2)
	v_add_nc_u32_e32 v53, 16, v52
	v_sub_nc_u32_e32 v54, v52, v64
	v_min_u32_e32 v53, v36, v53
	s_delay_alu instid0(VALU_DEP_2) | instskip(NEXT) | instid1(VALU_DEP_2)
	v_min_u32_e32 v66, v65, v54
	v_sub_nc_u32_e32 v55, v53, v52
	s_delay_alu instid0(VALU_DEP_1) | instskip(SKIP_1) | instid1(VALU_DEP_2)
	v_sub_nc_u32_e64 v54, v65, v55 clamp
	v_lshl_add_u32 v55, v64, 2, v34
	v_cmpx_lt_u32_e64 v54, v66
	s_cbranch_execz .LBB1340_127
; %bb.124:
	v_lshlrev_b32_e32 v67, 2, v52
	v_lshlrev_b32_e32 v68, 2, v65
	s_mov_b32 s9, 0
	s_delay_alu instid0(VALU_DEP_1)
	v_add3_u32 v67, v34, v67, v68
.LBB1340_125:                           ; =>This Inner Loop Header: Depth=1
	v_add_nc_u32_e32 v68, v66, v54
	s_delay_alu instid0(VALU_DEP_1) | instskip(NEXT) | instid1(VALU_DEP_1)
	v_lshrrev_b32_e32 v68, 1, v68
	v_not_b32_e32 v69, v68
	v_lshl_add_u32 v70, v68, 2, v55
	s_delay_alu instid0(VALU_DEP_2) | instskip(SKIP_4) | instid1(VALU_DEP_1)
	v_lshl_add_u32 v69, v69, 2, v67
	ds_load_b32 v70, v70
	ds_load_b32 v69, v69
	s_wait_dscnt 0x0
	v_dual_add_f32 v70, 0, v70 :: v_dual_add_f32 v69, 0, v69
	v_ashrrev_i32_e32 v71, 31, v70
	s_delay_alu instid0(VALU_DEP_2) | instskip(NEXT) | instid1(VALU_DEP_2)
	v_ashrrev_i32_e32 v80, 31, v69
	v_or_b32_e32 v71, 0x80000000, v71
	s_delay_alu instid0(VALU_DEP_2) | instskip(NEXT) | instid1(VALU_DEP_2)
	v_or_b32_e32 v80, 0x80000000, v80
	v_xor_b32_e32 v70, v71, v70
	s_delay_alu instid0(VALU_DEP_2) | instskip(SKIP_1) | instid1(VALU_DEP_2)
	v_xor_b32_e32 v69, v80, v69
	v_add_nc_u32_e32 v71, 1, v68
	v_cmp_gt_u32_e64 s7, v69, v70
	s_wait_alu 0xf1ff
	s_delay_alu instid0(VALU_DEP_1) | instskip(NEXT) | instid1(VALU_DEP_3)
	v_cndmask_b32_e64 v66, v66, v68, s7
	v_cndmask_b32_e64 v54, v71, v54, s7
	s_delay_alu instid0(VALU_DEP_1)
	v_cmp_ge_u32_e64 s7, v54, v66
	s_wait_alu 0xfffe
	s_or_b32 s9, s7, s9
	s_wait_alu 0xfffe
	s_and_not1_b32 exec_lo, exec_lo, s9
	s_cbranch_execnz .LBB1340_125
; %bb.126:
	s_or_b32 exec_lo, exec_lo, s9
.LBB1340_127:
	s_wait_alu 0xfffe
	s_or_b32 exec_lo, exec_lo, s8
	v_add_nc_u32_e32 v65, v52, v65
	v_add_nc_u32_e32 v64, v54, v64
	s_delay_alu instid0(VALU_DEP_2) | instskip(NEXT) | instid1(VALU_DEP_2)
	v_sub_nc_u32_e32 v65, v65, v54
	v_cmp_le_u32_e64 s7, v64, v52
	s_delay_alu instid0(VALU_DEP_2)
	v_cmp_le_u32_e64 s8, v65, v53
	s_or_b32 s7, s7, s8
	s_wait_alu 0xfffe
	s_and_saveexec_b32 s9, s7
	s_cbranch_execz .LBB1340_163
; %bb.128:
	v_cmp_ge_u32_e64 s7, v64, v52
	s_mov_b32 s10, exec_lo
                                        ; implicit-def: $vgpr17
	v_cmpx_lt_u32_e64 v64, v52
; %bb.129:
	v_lshl_add_u32 v4, v54, 2, v55
	ds_load_b32 v17, v4
; %bb.130:
	s_wait_alu 0xfffe
	s_or_b32 exec_lo, exec_lo, s10
	v_cmp_ge_u32_e64 s10, v65, v53
	s_mov_b32 s11, exec_lo
                                        ; implicit-def: $vgpr20
	v_cmpx_lt_u32_e64 v65, v53
; %bb.131:
	v_lshl_add_u32 v4, v65, 2, v34
	ds_load_b32 v20, v4
; %bb.132:
	s_wait_alu 0xfffe
	s_or_b32 exec_lo, exec_lo, s11
	s_nor_b32 s7, s7, s10
	s_wait_alu 0xfffe
	s_and_saveexec_b32 s8, s7
	s_cbranch_execz .LBB1340_134
; %bb.133:
	s_wait_dscnt 0x0
	v_dual_add_f32 v4, 0, v20 :: v_dual_add_f32 v5, 0, v17
	s_and_not1_b32 s10, s10, exec_lo
	s_delay_alu instid0(VALU_DEP_1) | instskip(NEXT) | instid1(VALU_DEP_2)
	v_ashrrev_i32_e32 v8, 31, v4
	v_ashrrev_i32_e32 v9, 31, v5
	s_delay_alu instid0(VALU_DEP_2) | instskip(NEXT) | instid1(VALU_DEP_2)
	v_or_b32_e32 v8, 0x80000000, v8
	v_or_b32_e32 v9, 0x80000000, v9
	s_delay_alu instid0(VALU_DEP_2) | instskip(NEXT) | instid1(VALU_DEP_2)
	v_xor_b32_e32 v4, v8, v4
	v_xor_b32_e32 v5, v9, v5
	s_delay_alu instid0(VALU_DEP_1)
	v_cmp_le_u32_e64 s7, v4, v5
	s_and_b32 s7, s7, exec_lo
	s_wait_alu 0xfffe
	s_or_b32 s10, s10, s7
.LBB1340_134:
	s_wait_alu 0xfffe
	s_or_b32 exec_lo, exec_lo, s8
	v_cndmask_b32_e64 v4, v65, v64, s10
	v_cndmask_b32_e64 v5, v53, v52, s10
	s_mov_b32 s11, -1
	s_mov_b32 s8, -1
	s_mov_b32 s12, exec_lo
	v_add_nc_u32_e32 v8, 1, v4
	v_add_nc_u32_e32 v5, -1, v5
	v_lshl_add_u32 v4, v4, 3, v31
	s_delay_alu instid0(VALU_DEP_3) | instskip(NEXT) | instid1(VALU_DEP_3)
	v_cndmask_b32_e64 v13, v8, v65, s10
	v_min_u32_e32 v5, v8, v5
	v_cndmask_b32_e64 v14, v64, v8, s10
	s_delay_alu instid0(VALU_DEP_2)
	v_lshl_add_u32 v5, v5, 2, v34
	ds_load_b32 v9, v5
	ds_load_b64 v[4:5], v4 offset:8192
	s_wait_dscnt 0x1
	v_cndmask_b32_e64 v18, v9, v20, s10
	v_cndmask_b32_e64 v54, v17, v9, s10
	v_cmpx_lt_u32_e64 v13, v53
	s_cbranch_execz .LBB1340_138
; %bb.135:
	s_mov_b32 s13, 0
	s_mov_b32 s8, exec_lo
	v_cmpx_lt_u32_e64 v14, v52
	s_cbranch_execz .LBB1340_137
; %bb.136:
	v_add_f32_e32 v8, 0, v18
	v_add_f32_e32 v9, 0, v54
	s_delay_alu instid0(VALU_DEP_2) | instskip(NEXT) | instid1(VALU_DEP_2)
	v_ashrrev_i32_e32 v15, 31, v8
	v_ashrrev_i32_e32 v16, 31, v9
	s_delay_alu instid0(VALU_DEP_2) | instskip(NEXT) | instid1(VALU_DEP_2)
	v_or_b32_e32 v15, 0x80000000, v15
	v_or_b32_e32 v16, 0x80000000, v16
	s_delay_alu instid0(VALU_DEP_2) | instskip(NEXT) | instid1(VALU_DEP_2)
	v_xor_b32_e32 v8, v15, v8
	v_xor_b32_e32 v9, v16, v9
	s_delay_alu instid0(VALU_DEP_1)
	v_cmp_le_u32_e64 s7, v8, v9
	s_and_b32 s13, s7, exec_lo
.LBB1340_137:
	s_wait_alu 0xfffe
	s_or_b32 exec_lo, exec_lo, s8
	s_delay_alu instid0(SALU_CYCLE_1)
	s_or_not1_b32 s8, s13, exec_lo
.LBB1340_138:
	s_wait_alu 0xfffe
	s_or_b32 exec_lo, exec_lo, s12
	v_cndmask_b32_e64 v8, v13, v14, s8
	v_cndmask_b32_e64 v9, v53, v52, s8
	s_mov_b32 s12, exec_lo
	s_delay_alu instid0(VALU_DEP_2) | instskip(NEXT) | instid1(VALU_DEP_2)
	v_add_nc_u32_e32 v16, 1, v8
	v_add_nc_u32_e32 v9, -1, v9
	v_lshl_add_u32 v8, v8, 3, v31
	s_delay_alu instid0(VALU_DEP_3) | instskip(NEXT) | instid1(VALU_DEP_3)
	v_cndmask_b32_e64 v15, v16, v13, s8
	v_min_u32_e32 v9, v16, v9
	v_cndmask_b32_e64 v16, v14, v16, s8
	s_delay_alu instid0(VALU_DEP_2)
	v_lshl_add_u32 v9, v9, 2, v34
	ds_load_b32 v19, v9
	ds_load_b64 v[8:9], v8 offset:8192
	s_wait_dscnt 0x1
	v_cndmask_b32_e64 v29, v19, v18, s8
	v_cndmask_b32_e64 v55, v54, v19, s8
	v_cmpx_lt_u32_e64 v15, v53
	s_cbranch_execz .LBB1340_142
; %bb.139:
	s_mov_b32 s13, 0
	s_mov_b32 s11, exec_lo
	v_cmpx_lt_u32_e64 v16, v52
	s_cbranch_execz .LBB1340_141
; %bb.140:
	v_dual_add_f32 v13, 0, v29 :: v_dual_add_f32 v14, 0, v55
	s_delay_alu instid0(VALU_DEP_1) | instskip(NEXT) | instid1(VALU_DEP_2)
	v_ashrrev_i32_e32 v19, 31, v13
	v_ashrrev_i32_e32 v21, 31, v14
	s_delay_alu instid0(VALU_DEP_2) | instskip(NEXT) | instid1(VALU_DEP_2)
	v_or_b32_e32 v19, 0x80000000, v19
	v_or_b32_e32 v21, 0x80000000, v21
	s_delay_alu instid0(VALU_DEP_2) | instskip(NEXT) | instid1(VALU_DEP_2)
	v_xor_b32_e32 v13, v19, v13
	v_xor_b32_e32 v14, v21, v14
	s_delay_alu instid0(VALU_DEP_1)
	v_cmp_le_u32_e64 s7, v13, v14
	s_and_b32 s13, s7, exec_lo
.LBB1340_141:
	s_wait_alu 0xfffe
	s_or_b32 exec_lo, exec_lo, s11
	s_delay_alu instid0(SALU_CYCLE_1)
	s_or_not1_b32 s11, s13, exec_lo
.LBB1340_142:
	s_wait_alu 0xfffe
	s_or_b32 exec_lo, exec_lo, s12
	v_cndmask_b32_e64 v13, v15, v16, s11
	v_cndmask_b32_e64 v14, v53, v52, s11
	s_mov_b32 s13, -1
	s_mov_b32 s12, -1
	s_mov_b32 s14, exec_lo
	v_add_nc_u32_e32 v21, 1, v13
	v_add_nc_u32_e32 v14, -1, v14
	v_lshl_add_u32 v13, v13, 3, v31
	s_delay_alu instid0(VALU_DEP_3) | instskip(NEXT) | instid1(VALU_DEP_3)
	v_cndmask_b32_e64 v19, v21, v15, s11
	v_min_u32_e32 v14, v21, v14
	v_cndmask_b32_e64 v21, v16, v21, s11
	s_delay_alu instid0(VALU_DEP_2)
	v_lshl_add_u32 v14, v14, 2, v34
	ds_load_b32 v22, v14
	ds_load_b64 v[13:14], v13 offset:8192
	s_wait_dscnt 0x1
	v_cndmask_b32_e64 v30, v22, v29, s11
	v_cndmask_b32_e64 v64, v55, v22, s11
	v_cmpx_lt_u32_e64 v19, v53
	s_cbranch_execz .LBB1340_146
; %bb.143:
	s_mov_b32 s15, 0
	s_mov_b32 s12, exec_lo
	v_cmpx_lt_u32_e64 v21, v52
	s_cbranch_execz .LBB1340_145
; %bb.144:
	v_dual_add_f32 v15, 0, v30 :: v_dual_add_f32 v16, 0, v64
	s_delay_alu instid0(VALU_DEP_1) | instskip(NEXT) | instid1(VALU_DEP_2)
	v_ashrrev_i32_e32 v22, 31, v15
	v_ashrrev_i32_e32 v23, 31, v16
	s_delay_alu instid0(VALU_DEP_2) | instskip(NEXT) | instid1(VALU_DEP_2)
	v_or_b32_e32 v22, 0x80000000, v22
	v_or_b32_e32 v23, 0x80000000, v23
	s_delay_alu instid0(VALU_DEP_2) | instskip(NEXT) | instid1(VALU_DEP_2)
	v_xor_b32_e32 v15, v22, v15
	v_xor_b32_e32 v16, v23, v16
	s_delay_alu instid0(VALU_DEP_1)
	v_cmp_le_u32_e64 s7, v15, v16
	s_and_b32 s15, s7, exec_lo
.LBB1340_145:
	s_wait_alu 0xfffe
	s_or_b32 exec_lo, exec_lo, s12
	s_delay_alu instid0(SALU_CYCLE_1)
	s_or_not1_b32 s12, s15, exec_lo
.LBB1340_146:
	s_wait_alu 0xfffe
	s_or_b32 exec_lo, exec_lo, s14
	v_cndmask_b32_e64 v15, v19, v21, s12
	v_cndmask_b32_e64 v16, v53, v52, s12
	s_mov_b32 s14, exec_lo
	s_delay_alu instid0(VALU_DEP_2) | instskip(NEXT) | instid1(VALU_DEP_2)
	v_add_nc_u32_e32 v22, 1, v15
	v_add_nc_u32_e32 v16, -1, v16
	v_lshl_add_u32 v15, v15, 3, v31
	s_delay_alu instid0(VALU_DEP_3) | instskip(NEXT) | instid1(VALU_DEP_3)
	v_cndmask_b32_e64 v19, v22, v19, s12
	v_min_u32_e32 v16, v22, v16
	v_cndmask_b32_e64 v23, v21, v22, s12
	s_delay_alu instid0(VALU_DEP_2)
	v_lshl_add_u32 v16, v16, 2, v34
	ds_load_b32 v24, v16
	ds_load_b64 v[15:16], v15 offset:8192
	s_wait_dscnt 0x1
	v_cndmask_b32_e64 v27, v24, v30, s12
	v_cndmask_b32_e64 v65, v64, v24, s12
	v_cmpx_lt_u32_e64 v19, v53
	s_cbranch_execz .LBB1340_150
; %bb.147:
	s_mov_b32 s15, 0
	s_mov_b32 s13, exec_lo
	v_cmpx_lt_u32_e64 v23, v52
	s_cbranch_execz .LBB1340_149
; %bb.148:
	v_dual_add_f32 v21, 0, v27 :: v_dual_add_f32 v22, 0, v65
	s_delay_alu instid0(VALU_DEP_1) | instskip(NEXT) | instid1(VALU_DEP_2)
	v_ashrrev_i32_e32 v24, 31, v21
	v_ashrrev_i32_e32 v25, 31, v22
	s_delay_alu instid0(VALU_DEP_2) | instskip(NEXT) | instid1(VALU_DEP_2)
	v_or_b32_e32 v24, 0x80000000, v24
	v_or_b32_e32 v25, 0x80000000, v25
	s_delay_alu instid0(VALU_DEP_2) | instskip(NEXT) | instid1(VALU_DEP_2)
	v_xor_b32_e32 v21, v24, v21
	v_xor_b32_e32 v22, v25, v22
	s_delay_alu instid0(VALU_DEP_1)
	v_cmp_le_u32_e64 s7, v21, v22
	s_and_b32 s15, s7, exec_lo
.LBB1340_149:
	s_wait_alu 0xfffe
	s_or_b32 exec_lo, exec_lo, s13
	s_delay_alu instid0(SALU_CYCLE_1)
	s_or_not1_b32 s13, s15, exec_lo
.LBB1340_150:
	s_wait_alu 0xfffe
	s_or_b32 exec_lo, exec_lo, s14
	v_cndmask_b32_e64 v21, v19, v23, s13
	v_cndmask_b32_e64 v22, v53, v52, s13
	s_mov_b32 s15, -1
	s_mov_b32 s14, -1
	s_mov_b32 s16, exec_lo
	v_add_nc_u32_e32 v24, 1, v21
	v_add_nc_u32_e32 v22, -1, v22
	v_lshl_add_u32 v21, v21, 3, v31
	s_delay_alu instid0(VALU_DEP_3) | instskip(NEXT) | instid1(VALU_DEP_3)
	v_cndmask_b32_e64 v19, v24, v19, s13
	v_min_u32_e32 v22, v24, v22
	v_cndmask_b32_e64 v23, v23, v24, s13
	s_delay_alu instid0(VALU_DEP_2)
	v_lshl_add_u32 v22, v22, 2, v34
	ds_load_b32 v25, v22
	ds_load_b64 v[21:22], v21 offset:8192
	s_wait_dscnt 0x1
	v_cndmask_b32_e64 v28, v25, v27, s13
	v_cndmask_b32_e64 v66, v65, v25, s13
	v_cmpx_lt_u32_e64 v19, v53
	s_cbranch_execz .LBB1340_154
; %bb.151:
	s_mov_b32 s17, 0
	s_mov_b32 s14, exec_lo
	v_cmpx_lt_u32_e64 v23, v52
	s_cbranch_execz .LBB1340_153
; %bb.152:
	v_dual_add_f32 v24, 0, v28 :: v_dual_add_f32 v25, 0, v66
	s_delay_alu instid0(VALU_DEP_1) | instskip(NEXT) | instid1(VALU_DEP_2)
	v_ashrrev_i32_e32 v26, 31, v24
	v_ashrrev_i32_e32 v32, 31, v25
	s_delay_alu instid0(VALU_DEP_2) | instskip(NEXT) | instid1(VALU_DEP_2)
	v_or_b32_e32 v26, 0x80000000, v26
	v_or_b32_e32 v32, 0x80000000, v32
	s_delay_alu instid0(VALU_DEP_2) | instskip(NEXT) | instid1(VALU_DEP_2)
	v_xor_b32_e32 v24, v26, v24
	v_xor_b32_e32 v25, v32, v25
	s_delay_alu instid0(VALU_DEP_1)
	v_cmp_le_u32_e64 s7, v24, v25
	s_and_b32 s17, s7, exec_lo
.LBB1340_153:
	s_wait_alu 0xfffe
	s_or_b32 exec_lo, exec_lo, s14
	s_delay_alu instid0(SALU_CYCLE_1)
	s_or_not1_b32 s14, s17, exec_lo
.LBB1340_154:
	s_wait_alu 0xfffe
	s_or_b32 exec_lo, exec_lo, s16
	v_cndmask_b32_e64 v24, v19, v23, s14
	v_cndmask_b32_e64 v25, v53, v52, s14
	s_mov_b32 s16, exec_lo
	s_delay_alu instid0(VALU_DEP_2) | instskip(NEXT) | instid1(VALU_DEP_2)
	v_add_nc_u32_e32 v33, 1, v24
	v_add_nc_u32_e32 v25, -1, v25
	v_lshl_add_u32 v24, v24, 3, v31
	s_delay_alu instid0(VALU_DEP_3) | instskip(NEXT) | instid1(VALU_DEP_3)
	v_cndmask_b32_e64 v32, v33, v19, s14
	v_min_u32_e32 v25, v33, v25
	v_cndmask_b32_e64 v33, v23, v33, s14
	s_delay_alu instid0(VALU_DEP_2)
	v_lshl_add_u32 v25, v25, 2, v34
	ds_load_b32 v67, v25
	ds_load_b64 v[25:26], v24 offset:8192
	s_wait_dscnt 0x1
	v_cndmask_b32_e64 v19, v67, v28, s14
	v_cndmask_b32_e64 v67, v66, v67, s14
	v_cmpx_lt_u32_e64 v32, v53
	s_cbranch_execz .LBB1340_158
; %bb.155:
	s_mov_b32 s17, 0
	s_mov_b32 s15, exec_lo
	v_cmpx_lt_u32_e64 v33, v52
	s_cbranch_execz .LBB1340_157
; %bb.156:
	v_add_f32_e32 v23, 0, v19
	v_add_f32_e32 v24, 0, v67
	s_delay_alu instid0(VALU_DEP_2) | instskip(NEXT) | instid1(VALU_DEP_2)
	v_ashrrev_i32_e32 v68, 31, v23
	v_ashrrev_i32_e32 v69, 31, v24
	s_delay_alu instid0(VALU_DEP_2) | instskip(NEXT) | instid1(VALU_DEP_2)
	v_or_b32_e32 v68, 0x80000000, v68
	v_or_b32_e32 v69, 0x80000000, v69
	s_delay_alu instid0(VALU_DEP_2) | instskip(NEXT) | instid1(VALU_DEP_2)
	v_xor_b32_e32 v23, v68, v23
	v_xor_b32_e32 v24, v69, v24
	s_delay_alu instid0(VALU_DEP_1)
	v_cmp_le_u32_e64 s7, v23, v24
	s_and_b32 s17, s7, exec_lo
.LBB1340_157:
	s_wait_alu 0xfffe
	s_or_b32 exec_lo, exec_lo, s15
	s_delay_alu instid0(SALU_CYCLE_1)
	s_or_not1_b32 s15, s17, exec_lo
.LBB1340_158:
	s_wait_alu 0xfffe
	s_or_b32 exec_lo, exec_lo, s16
	v_cndmask_b32_e64 v23, v32, v33, s15
	v_cndmask_b32_e64 v24, v53, v52, s15
	s_mov_b32 s17, -1
	s_mov_b32 s16, exec_lo
	s_delay_alu instid0(VALU_DEP_2) | instskip(NEXT) | instid1(VALU_DEP_2)
	v_add_nc_u32_e32 v68, 1, v23
	v_add_nc_u32_e32 v24, -1, v24
	v_lshl_add_u32 v23, v23, 3, v31
	s_delay_alu instid0(VALU_DEP_3) | instskip(NEXT) | instid1(VALU_DEP_3)
	v_cndmask_b32_e64 v32, v68, v32, s15
	v_min_u32_e32 v24, v68, v24
	v_cndmask_b32_e64 v33, v33, v68, s15
	s_delay_alu instid0(VALU_DEP_2)
	v_lshl_add_u32 v24, v24, 2, v34
	ds_load_b32 v69, v24
	ds_load_b64 v[23:24], v23 offset:8192
	s_wait_dscnt 0x1
	v_cndmask_b32_e64 v68, v69, v19, s15
	v_cndmask_b32_e64 v69, v67, v69, s15
	v_cmpx_lt_u32_e64 v32, v53
	s_cbranch_execz .LBB1340_162
; %bb.159:
	s_mov_b32 s18, 0
	s_mov_b32 s17, exec_lo
	v_cmpx_lt_u32_e64 v33, v52
	s_cbranch_execz .LBB1340_161
; %bb.160:
	v_dual_add_f32 v52, 0, v68 :: v_dual_add_f32 v53, 0, v69
	s_delay_alu instid0(VALU_DEP_1) | instskip(NEXT) | instid1(VALU_DEP_2)
	v_ashrrev_i32_e32 v70, 31, v52
	v_ashrrev_i32_e32 v71, 31, v53
	s_delay_alu instid0(VALU_DEP_2) | instskip(NEXT) | instid1(VALU_DEP_2)
	v_or_b32_e32 v70, 0x80000000, v70
	v_or_b32_e32 v71, 0x80000000, v71
	s_delay_alu instid0(VALU_DEP_2) | instskip(NEXT) | instid1(VALU_DEP_2)
	v_xor_b32_e32 v52, v70, v52
	v_xor_b32_e32 v53, v71, v53
	s_delay_alu instid0(VALU_DEP_1)
	v_cmp_le_u32_e64 s7, v52, v53
	s_and_b32 s18, s7, exec_lo
.LBB1340_161:
	s_wait_alu 0xfffe
	s_or_b32 exec_lo, exec_lo, s17
	s_delay_alu instid0(SALU_CYCLE_1)
	s_or_not1_b32 s17, s18, exec_lo
.LBB1340_162:
	s_wait_alu 0xfffe
	s_or_b32 exec_lo, exec_lo, s16
	v_cndmask_b32_e64 v32, v32, v33, s17
	v_cndmask_b32_e64 v19, v19, v67, s15
	;; [unrolled: 1-line block ×5, first 2 shown]
	v_lshl_add_u32 v32, v32, 3, v31
	v_cndmask_b32_e64 v29, v29, v55, s11
	v_cndmask_b32_e64 v18, v18, v54, s8
	;; [unrolled: 1-line block ×4, first 2 shown]
	ds_load_b64 v[32:33], v32 offset:8192
.LBB1340_163:
	s_wait_alu 0xfffe
	s_or_b32 exec_lo, exec_lo, s9
	v_and_b32_e32 v64, 0xc0, v50
	v_and_b32_e32 v54, 56, v50
	s_mov_b32 s8, exec_lo
	; wave barrier
	s_delay_alu instid0(VALU_DEP_2) | instskip(NEXT) | instid1(VALU_DEP_2)
	v_or_b32_e32 v52, 32, v64
	v_min_u32_e32 v65, v36, v54
	ds_store_2addr_b64 v37, v[4:5], v[8:9] offset1:1
	ds_store_2addr_b64 v38, v[13:14], v[15:16] offset1:1
	;; [unrolled: 1-line block ×3, first 2 shown]
	ds_store_2addr_b64 v35, v[27:28], v[19:20] offset0:2 offset1:3
	ds_store_2addr_b64 v39, v[21:22], v[25:26] offset1:1
	s_wait_dscnt 0x5
	ds_store_2addr_b64 v51, v[23:24], v[32:33] offset1:1
	v_min_u32_e32 v52, v36, v52
	; wave barrier
	s_delay_alu instid0(VALU_DEP_1) | instskip(SKIP_1) | instid1(VALU_DEP_2)
	v_add_nc_u32_e32 v53, 32, v52
	v_sub_nc_u32_e32 v54, v52, v64
	v_min_u32_e32 v53, v36, v53
	s_delay_alu instid0(VALU_DEP_2) | instskip(NEXT) | instid1(VALU_DEP_2)
	v_min_u32_e32 v66, v65, v54
	v_sub_nc_u32_e32 v55, v53, v52
	s_delay_alu instid0(VALU_DEP_1) | instskip(SKIP_1) | instid1(VALU_DEP_2)
	v_sub_nc_u32_e64 v54, v65, v55 clamp
	v_lshl_add_u32 v55, v64, 2, v34
	v_cmpx_lt_u32_e64 v54, v66
	s_cbranch_execz .LBB1340_167
; %bb.164:
	v_lshlrev_b32_e32 v67, 2, v52
	v_lshlrev_b32_e32 v68, 2, v65
	s_mov_b32 s9, 0
	s_delay_alu instid0(VALU_DEP_1)
	v_add3_u32 v67, v34, v67, v68
.LBB1340_165:                           ; =>This Inner Loop Header: Depth=1
	v_add_nc_u32_e32 v68, v66, v54
	s_delay_alu instid0(VALU_DEP_1) | instskip(NEXT) | instid1(VALU_DEP_1)
	v_lshrrev_b32_e32 v68, 1, v68
	v_not_b32_e32 v69, v68
	v_lshl_add_u32 v70, v68, 2, v55
	s_delay_alu instid0(VALU_DEP_2) | instskip(SKIP_4) | instid1(VALU_DEP_1)
	v_lshl_add_u32 v69, v69, 2, v67
	ds_load_b32 v70, v70
	ds_load_b32 v69, v69
	s_wait_dscnt 0x0
	v_dual_add_f32 v70, 0, v70 :: v_dual_add_f32 v69, 0, v69
	v_ashrrev_i32_e32 v71, 31, v70
	s_delay_alu instid0(VALU_DEP_2) | instskip(NEXT) | instid1(VALU_DEP_2)
	v_ashrrev_i32_e32 v80, 31, v69
	v_or_b32_e32 v71, 0x80000000, v71
	s_delay_alu instid0(VALU_DEP_2) | instskip(NEXT) | instid1(VALU_DEP_2)
	v_or_b32_e32 v80, 0x80000000, v80
	v_xor_b32_e32 v70, v71, v70
	s_delay_alu instid0(VALU_DEP_2) | instskip(SKIP_1) | instid1(VALU_DEP_2)
	v_xor_b32_e32 v69, v80, v69
	v_add_nc_u32_e32 v71, 1, v68
	v_cmp_gt_u32_e64 s7, v69, v70
	s_wait_alu 0xf1ff
	s_delay_alu instid0(VALU_DEP_1) | instskip(NEXT) | instid1(VALU_DEP_3)
	v_cndmask_b32_e64 v66, v66, v68, s7
	v_cndmask_b32_e64 v54, v71, v54, s7
	s_delay_alu instid0(VALU_DEP_1)
	v_cmp_ge_u32_e64 s7, v54, v66
	s_wait_alu 0xfffe
	s_or_b32 s9, s7, s9
	s_wait_alu 0xfffe
	s_and_not1_b32 exec_lo, exec_lo, s9
	s_cbranch_execnz .LBB1340_165
; %bb.166:
	s_or_b32 exec_lo, exec_lo, s9
.LBB1340_167:
	s_wait_alu 0xfffe
	s_or_b32 exec_lo, exec_lo, s8
	v_add_nc_u32_e32 v65, v52, v65
	v_add_nc_u32_e32 v64, v54, v64
	s_delay_alu instid0(VALU_DEP_2) | instskip(NEXT) | instid1(VALU_DEP_2)
	v_sub_nc_u32_e32 v65, v65, v54
	v_cmp_le_u32_e64 s7, v64, v52
	s_delay_alu instid0(VALU_DEP_2)
	v_cmp_le_u32_e64 s8, v65, v53
	s_or_b32 s7, s7, s8
	s_wait_alu 0xfffe
	s_and_saveexec_b32 s9, s7
	s_cbranch_execz .LBB1340_203
; %bb.168:
	v_cmp_ge_u32_e64 s7, v64, v52
	s_mov_b32 s10, exec_lo
                                        ; implicit-def: $vgpr17
	v_cmpx_lt_u32_e64 v64, v52
; %bb.169:
	v_lshl_add_u32 v4, v54, 2, v55
	ds_load_b32 v17, v4
; %bb.170:
	s_wait_alu 0xfffe
	s_or_b32 exec_lo, exec_lo, s10
	v_cmp_ge_u32_e64 s10, v65, v53
	s_mov_b32 s11, exec_lo
                                        ; implicit-def: $vgpr20
	v_cmpx_lt_u32_e64 v65, v53
; %bb.171:
	v_lshl_add_u32 v4, v65, 2, v34
	ds_load_b32 v20, v4
; %bb.172:
	s_wait_alu 0xfffe
	s_or_b32 exec_lo, exec_lo, s11
	s_nor_b32 s7, s7, s10
	s_wait_alu 0xfffe
	s_and_saveexec_b32 s8, s7
	s_cbranch_execz .LBB1340_174
; %bb.173:
	s_wait_dscnt 0x0
	v_dual_add_f32 v4, 0, v20 :: v_dual_add_f32 v5, 0, v17
	s_and_not1_b32 s10, s10, exec_lo
	s_delay_alu instid0(VALU_DEP_1) | instskip(NEXT) | instid1(VALU_DEP_2)
	v_ashrrev_i32_e32 v8, 31, v4
	v_ashrrev_i32_e32 v9, 31, v5
	s_delay_alu instid0(VALU_DEP_2) | instskip(NEXT) | instid1(VALU_DEP_2)
	v_or_b32_e32 v8, 0x80000000, v8
	v_or_b32_e32 v9, 0x80000000, v9
	s_delay_alu instid0(VALU_DEP_2) | instskip(NEXT) | instid1(VALU_DEP_2)
	v_xor_b32_e32 v4, v8, v4
	v_xor_b32_e32 v5, v9, v5
	s_delay_alu instid0(VALU_DEP_1)
	v_cmp_le_u32_e64 s7, v4, v5
	s_and_b32 s7, s7, exec_lo
	s_wait_alu 0xfffe
	s_or_b32 s10, s10, s7
.LBB1340_174:
	s_wait_alu 0xfffe
	s_or_b32 exec_lo, exec_lo, s8
	v_cndmask_b32_e64 v4, v65, v64, s10
	v_cndmask_b32_e64 v5, v53, v52, s10
	s_mov_b32 s11, -1
	s_mov_b32 s8, -1
	s_mov_b32 s12, exec_lo
	v_add_nc_u32_e32 v8, 1, v4
	v_add_nc_u32_e32 v5, -1, v5
	v_lshl_add_u32 v4, v4, 3, v31
	s_delay_alu instid0(VALU_DEP_3) | instskip(NEXT) | instid1(VALU_DEP_3)
	v_cndmask_b32_e64 v13, v8, v65, s10
	v_min_u32_e32 v5, v8, v5
	v_cndmask_b32_e64 v14, v64, v8, s10
	s_delay_alu instid0(VALU_DEP_2)
	v_lshl_add_u32 v5, v5, 2, v34
	ds_load_b32 v9, v5
	ds_load_b64 v[4:5], v4 offset:8192
	s_wait_dscnt 0x1
	v_cndmask_b32_e64 v18, v9, v20, s10
	v_cndmask_b32_e64 v54, v17, v9, s10
	v_cmpx_lt_u32_e64 v13, v53
	s_cbranch_execz .LBB1340_178
; %bb.175:
	s_mov_b32 s13, 0
	s_mov_b32 s8, exec_lo
	v_cmpx_lt_u32_e64 v14, v52
	s_cbranch_execz .LBB1340_177
; %bb.176:
	v_add_f32_e32 v8, 0, v18
	v_add_f32_e32 v9, 0, v54
	s_delay_alu instid0(VALU_DEP_2) | instskip(NEXT) | instid1(VALU_DEP_2)
	v_ashrrev_i32_e32 v15, 31, v8
	v_ashrrev_i32_e32 v16, 31, v9
	s_delay_alu instid0(VALU_DEP_2) | instskip(NEXT) | instid1(VALU_DEP_2)
	v_or_b32_e32 v15, 0x80000000, v15
	v_or_b32_e32 v16, 0x80000000, v16
	s_delay_alu instid0(VALU_DEP_2) | instskip(NEXT) | instid1(VALU_DEP_2)
	v_xor_b32_e32 v8, v15, v8
	v_xor_b32_e32 v9, v16, v9
	s_delay_alu instid0(VALU_DEP_1)
	v_cmp_le_u32_e64 s7, v8, v9
	s_and_b32 s13, s7, exec_lo
.LBB1340_177:
	s_wait_alu 0xfffe
	s_or_b32 exec_lo, exec_lo, s8
	s_delay_alu instid0(SALU_CYCLE_1)
	s_or_not1_b32 s8, s13, exec_lo
.LBB1340_178:
	s_wait_alu 0xfffe
	s_or_b32 exec_lo, exec_lo, s12
	v_cndmask_b32_e64 v8, v13, v14, s8
	v_cndmask_b32_e64 v9, v53, v52, s8
	s_mov_b32 s12, exec_lo
	s_delay_alu instid0(VALU_DEP_2) | instskip(NEXT) | instid1(VALU_DEP_2)
	v_add_nc_u32_e32 v16, 1, v8
	v_add_nc_u32_e32 v9, -1, v9
	v_lshl_add_u32 v8, v8, 3, v31
	s_delay_alu instid0(VALU_DEP_3) | instskip(NEXT) | instid1(VALU_DEP_3)
	v_cndmask_b32_e64 v15, v16, v13, s8
	v_min_u32_e32 v9, v16, v9
	v_cndmask_b32_e64 v16, v14, v16, s8
	s_delay_alu instid0(VALU_DEP_2)
	v_lshl_add_u32 v9, v9, 2, v34
	ds_load_b32 v19, v9
	ds_load_b64 v[8:9], v8 offset:8192
	s_wait_dscnt 0x1
	v_cndmask_b32_e64 v29, v19, v18, s8
	v_cndmask_b32_e64 v55, v54, v19, s8
	v_cmpx_lt_u32_e64 v15, v53
	s_cbranch_execz .LBB1340_182
; %bb.179:
	s_mov_b32 s13, 0
	s_mov_b32 s11, exec_lo
	v_cmpx_lt_u32_e64 v16, v52
	s_cbranch_execz .LBB1340_181
; %bb.180:
	v_dual_add_f32 v13, 0, v29 :: v_dual_add_f32 v14, 0, v55
	s_delay_alu instid0(VALU_DEP_1) | instskip(NEXT) | instid1(VALU_DEP_2)
	v_ashrrev_i32_e32 v19, 31, v13
	v_ashrrev_i32_e32 v21, 31, v14
	s_delay_alu instid0(VALU_DEP_2) | instskip(NEXT) | instid1(VALU_DEP_2)
	v_or_b32_e32 v19, 0x80000000, v19
	v_or_b32_e32 v21, 0x80000000, v21
	s_delay_alu instid0(VALU_DEP_2) | instskip(NEXT) | instid1(VALU_DEP_2)
	v_xor_b32_e32 v13, v19, v13
	v_xor_b32_e32 v14, v21, v14
	s_delay_alu instid0(VALU_DEP_1)
	v_cmp_le_u32_e64 s7, v13, v14
	s_and_b32 s13, s7, exec_lo
.LBB1340_181:
	s_wait_alu 0xfffe
	s_or_b32 exec_lo, exec_lo, s11
	s_delay_alu instid0(SALU_CYCLE_1)
	s_or_not1_b32 s11, s13, exec_lo
.LBB1340_182:
	s_wait_alu 0xfffe
	s_or_b32 exec_lo, exec_lo, s12
	v_cndmask_b32_e64 v13, v15, v16, s11
	v_cndmask_b32_e64 v14, v53, v52, s11
	s_mov_b32 s13, -1
	s_mov_b32 s12, -1
	s_mov_b32 s14, exec_lo
	v_add_nc_u32_e32 v21, 1, v13
	v_add_nc_u32_e32 v14, -1, v14
	v_lshl_add_u32 v13, v13, 3, v31
	s_delay_alu instid0(VALU_DEP_3) | instskip(NEXT) | instid1(VALU_DEP_3)
	v_cndmask_b32_e64 v19, v21, v15, s11
	v_min_u32_e32 v14, v21, v14
	v_cndmask_b32_e64 v21, v16, v21, s11
	s_delay_alu instid0(VALU_DEP_2)
	v_lshl_add_u32 v14, v14, 2, v34
	ds_load_b32 v22, v14
	ds_load_b64 v[13:14], v13 offset:8192
	s_wait_dscnt 0x1
	v_cndmask_b32_e64 v30, v22, v29, s11
	v_cndmask_b32_e64 v64, v55, v22, s11
	v_cmpx_lt_u32_e64 v19, v53
	s_cbranch_execz .LBB1340_186
; %bb.183:
	s_mov_b32 s15, 0
	s_mov_b32 s12, exec_lo
	v_cmpx_lt_u32_e64 v21, v52
	s_cbranch_execz .LBB1340_185
; %bb.184:
	v_dual_add_f32 v15, 0, v30 :: v_dual_add_f32 v16, 0, v64
	s_delay_alu instid0(VALU_DEP_1) | instskip(NEXT) | instid1(VALU_DEP_2)
	v_ashrrev_i32_e32 v22, 31, v15
	v_ashrrev_i32_e32 v23, 31, v16
	s_delay_alu instid0(VALU_DEP_2) | instskip(NEXT) | instid1(VALU_DEP_2)
	v_or_b32_e32 v22, 0x80000000, v22
	v_or_b32_e32 v23, 0x80000000, v23
	s_delay_alu instid0(VALU_DEP_2) | instskip(NEXT) | instid1(VALU_DEP_2)
	v_xor_b32_e32 v15, v22, v15
	v_xor_b32_e32 v16, v23, v16
	s_delay_alu instid0(VALU_DEP_1)
	v_cmp_le_u32_e64 s7, v15, v16
	s_and_b32 s15, s7, exec_lo
.LBB1340_185:
	s_wait_alu 0xfffe
	s_or_b32 exec_lo, exec_lo, s12
	s_delay_alu instid0(SALU_CYCLE_1)
	s_or_not1_b32 s12, s15, exec_lo
.LBB1340_186:
	s_wait_alu 0xfffe
	s_or_b32 exec_lo, exec_lo, s14
	v_cndmask_b32_e64 v15, v19, v21, s12
	v_cndmask_b32_e64 v16, v53, v52, s12
	s_mov_b32 s14, exec_lo
	s_delay_alu instid0(VALU_DEP_2) | instskip(NEXT) | instid1(VALU_DEP_2)
	v_add_nc_u32_e32 v22, 1, v15
	v_add_nc_u32_e32 v16, -1, v16
	v_lshl_add_u32 v15, v15, 3, v31
	s_delay_alu instid0(VALU_DEP_3) | instskip(NEXT) | instid1(VALU_DEP_3)
	v_cndmask_b32_e64 v19, v22, v19, s12
	v_min_u32_e32 v16, v22, v16
	v_cndmask_b32_e64 v23, v21, v22, s12
	s_delay_alu instid0(VALU_DEP_2)
	v_lshl_add_u32 v16, v16, 2, v34
	ds_load_b32 v24, v16
	ds_load_b64 v[15:16], v15 offset:8192
	s_wait_dscnt 0x1
	v_cndmask_b32_e64 v27, v24, v30, s12
	v_cndmask_b32_e64 v65, v64, v24, s12
	v_cmpx_lt_u32_e64 v19, v53
	s_cbranch_execz .LBB1340_190
; %bb.187:
	s_mov_b32 s15, 0
	s_mov_b32 s13, exec_lo
	v_cmpx_lt_u32_e64 v23, v52
	s_cbranch_execz .LBB1340_189
; %bb.188:
	v_dual_add_f32 v21, 0, v27 :: v_dual_add_f32 v22, 0, v65
	s_delay_alu instid0(VALU_DEP_1) | instskip(NEXT) | instid1(VALU_DEP_2)
	v_ashrrev_i32_e32 v24, 31, v21
	v_ashrrev_i32_e32 v25, 31, v22
	s_delay_alu instid0(VALU_DEP_2) | instskip(NEXT) | instid1(VALU_DEP_2)
	v_or_b32_e32 v24, 0x80000000, v24
	v_or_b32_e32 v25, 0x80000000, v25
	s_delay_alu instid0(VALU_DEP_2) | instskip(NEXT) | instid1(VALU_DEP_2)
	v_xor_b32_e32 v21, v24, v21
	v_xor_b32_e32 v22, v25, v22
	s_delay_alu instid0(VALU_DEP_1)
	v_cmp_le_u32_e64 s7, v21, v22
	s_and_b32 s15, s7, exec_lo
.LBB1340_189:
	s_wait_alu 0xfffe
	s_or_b32 exec_lo, exec_lo, s13
	s_delay_alu instid0(SALU_CYCLE_1)
	s_or_not1_b32 s13, s15, exec_lo
.LBB1340_190:
	s_wait_alu 0xfffe
	s_or_b32 exec_lo, exec_lo, s14
	v_cndmask_b32_e64 v21, v19, v23, s13
	v_cndmask_b32_e64 v22, v53, v52, s13
	s_mov_b32 s15, -1
	s_mov_b32 s14, -1
	s_mov_b32 s16, exec_lo
	v_add_nc_u32_e32 v24, 1, v21
	v_add_nc_u32_e32 v22, -1, v22
	v_lshl_add_u32 v21, v21, 3, v31
	s_delay_alu instid0(VALU_DEP_3) | instskip(NEXT) | instid1(VALU_DEP_3)
	v_cndmask_b32_e64 v19, v24, v19, s13
	v_min_u32_e32 v22, v24, v22
	v_cndmask_b32_e64 v23, v23, v24, s13
	s_delay_alu instid0(VALU_DEP_2)
	v_lshl_add_u32 v22, v22, 2, v34
	ds_load_b32 v25, v22
	ds_load_b64 v[21:22], v21 offset:8192
	s_wait_dscnt 0x1
	v_cndmask_b32_e64 v28, v25, v27, s13
	v_cndmask_b32_e64 v66, v65, v25, s13
	v_cmpx_lt_u32_e64 v19, v53
	s_cbranch_execz .LBB1340_194
; %bb.191:
	s_mov_b32 s17, 0
	s_mov_b32 s14, exec_lo
	v_cmpx_lt_u32_e64 v23, v52
	s_cbranch_execz .LBB1340_193
; %bb.192:
	v_dual_add_f32 v24, 0, v28 :: v_dual_add_f32 v25, 0, v66
	s_delay_alu instid0(VALU_DEP_1) | instskip(NEXT) | instid1(VALU_DEP_2)
	v_ashrrev_i32_e32 v26, 31, v24
	v_ashrrev_i32_e32 v32, 31, v25
	s_delay_alu instid0(VALU_DEP_2) | instskip(NEXT) | instid1(VALU_DEP_2)
	v_or_b32_e32 v26, 0x80000000, v26
	v_or_b32_e32 v32, 0x80000000, v32
	s_delay_alu instid0(VALU_DEP_2) | instskip(NEXT) | instid1(VALU_DEP_2)
	v_xor_b32_e32 v24, v26, v24
	v_xor_b32_e32 v25, v32, v25
	s_delay_alu instid0(VALU_DEP_1)
	v_cmp_le_u32_e64 s7, v24, v25
	s_and_b32 s17, s7, exec_lo
.LBB1340_193:
	s_wait_alu 0xfffe
	s_or_b32 exec_lo, exec_lo, s14
	s_delay_alu instid0(SALU_CYCLE_1)
	s_or_not1_b32 s14, s17, exec_lo
.LBB1340_194:
	s_wait_alu 0xfffe
	s_or_b32 exec_lo, exec_lo, s16
	v_cndmask_b32_e64 v24, v19, v23, s14
	v_cndmask_b32_e64 v25, v53, v52, s14
	s_mov_b32 s16, exec_lo
	s_delay_alu instid0(VALU_DEP_2) | instskip(NEXT) | instid1(VALU_DEP_2)
	v_add_nc_u32_e32 v33, 1, v24
	v_add_nc_u32_e32 v25, -1, v25
	v_lshl_add_u32 v24, v24, 3, v31
	s_delay_alu instid0(VALU_DEP_3) | instskip(NEXT) | instid1(VALU_DEP_3)
	v_cndmask_b32_e64 v32, v33, v19, s14
	v_min_u32_e32 v25, v33, v25
	v_cndmask_b32_e64 v33, v23, v33, s14
	s_delay_alu instid0(VALU_DEP_2)
	v_lshl_add_u32 v25, v25, 2, v34
	ds_load_b32 v67, v25
	ds_load_b64 v[25:26], v24 offset:8192
	s_wait_dscnt 0x1
	v_cndmask_b32_e64 v19, v67, v28, s14
	v_cndmask_b32_e64 v67, v66, v67, s14
	v_cmpx_lt_u32_e64 v32, v53
	s_cbranch_execz .LBB1340_198
; %bb.195:
	s_mov_b32 s17, 0
	s_mov_b32 s15, exec_lo
	v_cmpx_lt_u32_e64 v33, v52
	s_cbranch_execz .LBB1340_197
; %bb.196:
	v_add_f32_e32 v23, 0, v19
	v_add_f32_e32 v24, 0, v67
	s_delay_alu instid0(VALU_DEP_2) | instskip(NEXT) | instid1(VALU_DEP_2)
	v_ashrrev_i32_e32 v68, 31, v23
	v_ashrrev_i32_e32 v69, 31, v24
	s_delay_alu instid0(VALU_DEP_2) | instskip(NEXT) | instid1(VALU_DEP_2)
	v_or_b32_e32 v68, 0x80000000, v68
	v_or_b32_e32 v69, 0x80000000, v69
	s_delay_alu instid0(VALU_DEP_2) | instskip(NEXT) | instid1(VALU_DEP_2)
	v_xor_b32_e32 v23, v68, v23
	v_xor_b32_e32 v24, v69, v24
	s_delay_alu instid0(VALU_DEP_1)
	v_cmp_le_u32_e64 s7, v23, v24
	s_and_b32 s17, s7, exec_lo
.LBB1340_197:
	s_wait_alu 0xfffe
	s_or_b32 exec_lo, exec_lo, s15
	s_delay_alu instid0(SALU_CYCLE_1)
	s_or_not1_b32 s15, s17, exec_lo
.LBB1340_198:
	s_wait_alu 0xfffe
	s_or_b32 exec_lo, exec_lo, s16
	v_cndmask_b32_e64 v23, v32, v33, s15
	v_cndmask_b32_e64 v24, v53, v52, s15
	s_mov_b32 s17, -1
	s_mov_b32 s16, exec_lo
	s_delay_alu instid0(VALU_DEP_2) | instskip(NEXT) | instid1(VALU_DEP_2)
	v_add_nc_u32_e32 v68, 1, v23
	v_add_nc_u32_e32 v24, -1, v24
	v_lshl_add_u32 v23, v23, 3, v31
	s_delay_alu instid0(VALU_DEP_3) | instskip(NEXT) | instid1(VALU_DEP_3)
	v_cndmask_b32_e64 v32, v68, v32, s15
	v_min_u32_e32 v24, v68, v24
	v_cndmask_b32_e64 v33, v33, v68, s15
	s_delay_alu instid0(VALU_DEP_2)
	v_lshl_add_u32 v24, v24, 2, v34
	ds_load_b32 v69, v24
	ds_load_b64 v[23:24], v23 offset:8192
	s_wait_dscnt 0x1
	v_cndmask_b32_e64 v68, v69, v19, s15
	v_cndmask_b32_e64 v69, v67, v69, s15
	v_cmpx_lt_u32_e64 v32, v53
	s_cbranch_execz .LBB1340_202
; %bb.199:
	s_mov_b32 s18, 0
	s_mov_b32 s17, exec_lo
	v_cmpx_lt_u32_e64 v33, v52
	s_cbranch_execz .LBB1340_201
; %bb.200:
	v_dual_add_f32 v52, 0, v68 :: v_dual_add_f32 v53, 0, v69
	s_delay_alu instid0(VALU_DEP_1) | instskip(NEXT) | instid1(VALU_DEP_2)
	v_ashrrev_i32_e32 v70, 31, v52
	v_ashrrev_i32_e32 v71, 31, v53
	s_delay_alu instid0(VALU_DEP_2) | instskip(NEXT) | instid1(VALU_DEP_2)
	v_or_b32_e32 v70, 0x80000000, v70
	v_or_b32_e32 v71, 0x80000000, v71
	s_delay_alu instid0(VALU_DEP_2) | instskip(NEXT) | instid1(VALU_DEP_2)
	v_xor_b32_e32 v52, v70, v52
	v_xor_b32_e32 v53, v71, v53
	s_delay_alu instid0(VALU_DEP_1)
	v_cmp_le_u32_e64 s7, v52, v53
	s_and_b32 s18, s7, exec_lo
.LBB1340_201:
	s_wait_alu 0xfffe
	s_or_b32 exec_lo, exec_lo, s17
	s_delay_alu instid0(SALU_CYCLE_1)
	s_or_not1_b32 s17, s18, exec_lo
.LBB1340_202:
	s_wait_alu 0xfffe
	s_or_b32 exec_lo, exec_lo, s16
	v_cndmask_b32_e64 v32, v32, v33, s17
	v_cndmask_b32_e64 v19, v19, v67, s15
	;; [unrolled: 1-line block ×5, first 2 shown]
	v_lshl_add_u32 v32, v32, 3, v31
	v_cndmask_b32_e64 v29, v29, v55, s11
	v_cndmask_b32_e64 v18, v18, v54, s8
	;; [unrolled: 1-line block ×4, first 2 shown]
	ds_load_b64 v[32:33], v32 offset:8192
.LBB1340_203:
	s_wait_alu 0xfffe
	s_or_b32 exec_lo, exec_lo, s9
	v_and_b32_e32 v53, 0x80, v50
	v_min_u32_e32 v49, v36, v49
	; wave barrier
	ds_store_2addr_b64 v37, v[4:5], v[8:9] offset1:1
	ds_store_2addr_b64 v38, v[13:14], v[15:16] offset1:1
	;; [unrolled: 1-line block ×3, first 2 shown]
	ds_store_2addr_b64 v35, v[27:28], v[19:20] offset0:2 offset1:3
	v_or_b32_e32 v50, 64, v53
	v_lshl_add_u32 v35, v53, 2, v34
	s_mov_b32 s8, exec_lo
	ds_store_2addr_b64 v39, v[21:22], v[25:26] offset1:1
	s_wait_dscnt 0x5
	ds_store_2addr_b64 v51, v[23:24], v[32:33] offset1:1
	v_min_u32_e32 v50, v36, v50
	; wave barrier
	s_delay_alu instid0(VALU_DEP_1) | instskip(NEXT) | instid1(VALU_DEP_1)
	v_add_nc_u32_e32 v52, 64, v50
	v_min_u32_e32 v52, v36, v52
	v_sub_nc_u32_e32 v36, v50, v53
	s_delay_alu instid0(VALU_DEP_2) | instskip(NEXT) | instid1(VALU_DEP_2)
	v_sub_nc_u32_e32 v55, v52, v50
	v_min_u32_e32 v54, v49, v36
	s_delay_alu instid0(VALU_DEP_2) | instskip(NEXT) | instid1(VALU_DEP_1)
	v_sub_nc_u32_e64 v36, v49, v55 clamp
	v_cmpx_lt_u32_e64 v36, v54
	s_cbranch_execz .LBB1340_207
; %bb.204:
	v_lshlrev_b32_e32 v37, 2, v50
	v_lshlrev_b32_e32 v38, 2, v49
	s_mov_b32 s9, 0
	s_delay_alu instid0(VALU_DEP_1)
	v_add3_u32 v37, v34, v37, v38
.LBB1340_205:                           ; =>This Inner Loop Header: Depth=1
	v_add_nc_u32_e32 v38, v54, v36
	s_delay_alu instid0(VALU_DEP_1) | instskip(NEXT) | instid1(VALU_DEP_1)
	v_lshrrev_b32_e32 v38, 1, v38
	v_not_b32_e32 v39, v38
	v_lshl_add_u32 v51, v38, 2, v35
	s_delay_alu instid0(VALU_DEP_2)
	v_lshl_add_u32 v39, v39, 2, v37
	ds_load_b32 v51, v51
	ds_load_b32 v39, v39
	s_wait_dscnt 0x1
	v_add_f32_e32 v51, 0, v51
	s_wait_dscnt 0x0
	v_add_f32_e32 v39, 0, v39
	s_delay_alu instid0(VALU_DEP_2) | instskip(NEXT) | instid1(VALU_DEP_2)
	v_ashrrev_i32_e32 v55, 31, v51
	v_ashrrev_i32_e32 v64, 31, v39
	s_delay_alu instid0(VALU_DEP_2) | instskip(NEXT) | instid1(VALU_DEP_2)
	v_or_b32_e32 v55, 0x80000000, v55
	v_or_b32_e32 v64, 0x80000000, v64
	s_delay_alu instid0(VALU_DEP_2) | instskip(NEXT) | instid1(VALU_DEP_2)
	v_xor_b32_e32 v51, v55, v51
	v_xor_b32_e32 v39, v64, v39
	v_add_nc_u32_e32 v55, 1, v38
	s_delay_alu instid0(VALU_DEP_2) | instskip(SKIP_1) | instid1(VALU_DEP_1)
	v_cmp_gt_u32_e64 s7, v39, v51
	s_wait_alu 0xf1ff
	v_cndmask_b32_e64 v54, v54, v38, s7
	s_delay_alu instid0(VALU_DEP_3) | instskip(NEXT) | instid1(VALU_DEP_1)
	v_cndmask_b32_e64 v36, v55, v36, s7
	v_cmp_ge_u32_e64 s7, v36, v54
	s_wait_alu 0xfffe
	s_or_b32 s9, s7, s9
	s_wait_alu 0xfffe
	s_and_not1_b32 exec_lo, exec_lo, s9
	s_cbranch_execnz .LBB1340_205
; %bb.206:
	s_or_b32 exec_lo, exec_lo, s9
.LBB1340_207:
	s_wait_alu 0xfffe
	s_or_b32 exec_lo, exec_lo, s8
	v_add_nc_u32_e32 v38, v50, v49
	v_add_nc_u32_e32 v37, v36, v53
	s_delay_alu instid0(VALU_DEP_2) | instskip(NEXT) | instid1(VALU_DEP_2)
	v_sub_nc_u32_e32 v38, v38, v36
	v_cmp_le_u32_e64 s7, v37, v50
	s_delay_alu instid0(VALU_DEP_2)
	v_cmp_le_u32_e64 s8, v38, v52
	s_or_b32 s7, s7, s8
	s_wait_alu 0xfffe
	s_and_saveexec_b32 s9, s7
	s_cbranch_execz .LBB1340_243
; %bb.208:
	v_cmp_ge_u32_e64 s7, v37, v50
	s_mov_b32 s10, exec_lo
                                        ; implicit-def: $vgpr17
	v_cmpx_lt_u32_e64 v37, v50
; %bb.209:
	v_lshl_add_u32 v4, v36, 2, v35
	ds_load_b32 v17, v4
; %bb.210:
	s_wait_alu 0xfffe
	s_or_b32 exec_lo, exec_lo, s10
	v_cmp_ge_u32_e64 s10, v38, v52
	s_mov_b32 s11, exec_lo
                                        ; implicit-def: $vgpr20
	v_cmpx_lt_u32_e64 v38, v52
; %bb.211:
	v_lshl_add_u32 v4, v38, 2, v34
	ds_load_b32 v20, v4
; %bb.212:
	s_wait_alu 0xfffe
	s_or_b32 exec_lo, exec_lo, s11
	s_nor_b32 s7, s7, s10
	s_wait_alu 0xfffe
	s_and_saveexec_b32 s8, s7
	s_cbranch_execz .LBB1340_214
; %bb.213:
	s_wait_dscnt 0x0
	v_dual_add_f32 v4, 0, v20 :: v_dual_add_f32 v5, 0, v17
	s_and_not1_b32 s10, s10, exec_lo
	s_delay_alu instid0(VALU_DEP_1) | instskip(NEXT) | instid1(VALU_DEP_2)
	v_ashrrev_i32_e32 v8, 31, v4
	v_ashrrev_i32_e32 v9, 31, v5
	s_delay_alu instid0(VALU_DEP_2) | instskip(NEXT) | instid1(VALU_DEP_2)
	v_or_b32_e32 v8, 0x80000000, v8
	v_or_b32_e32 v9, 0x80000000, v9
	s_delay_alu instid0(VALU_DEP_2) | instskip(NEXT) | instid1(VALU_DEP_2)
	v_xor_b32_e32 v4, v8, v4
	v_xor_b32_e32 v5, v9, v5
	s_delay_alu instid0(VALU_DEP_1)
	v_cmp_le_u32_e64 s7, v4, v5
	s_and_b32 s7, s7, exec_lo
	s_wait_alu 0xfffe
	s_or_b32 s10, s10, s7
.LBB1340_214:
	s_wait_alu 0xfffe
	s_or_b32 exec_lo, exec_lo, s8
	v_cndmask_b32_e64 v4, v38, v37, s10
	v_cndmask_b32_e64 v5, v52, v50, s10
	s_mov_b32 s11, -1
	s_mov_b32 s8, -1
	s_mov_b32 s12, exec_lo
	v_add_nc_u32_e32 v8, 1, v4
	v_add_nc_u32_e32 v5, -1, v5
	v_lshl_add_u32 v4, v4, 3, v31
	s_delay_alu instid0(VALU_DEP_3) | instskip(NEXT) | instid1(VALU_DEP_3)
	v_cndmask_b32_e64 v13, v8, v38, s10
	v_min_u32_e32 v5, v8, v5
	v_cndmask_b32_e64 v14, v37, v8, s10
	s_delay_alu instid0(VALU_DEP_2)
	v_lshl_add_u32 v5, v5, 2, v34
	ds_load_b32 v9, v5
	ds_load_b64 v[4:5], v4 offset:8192
	s_wait_dscnt 0x1
	v_cndmask_b32_e64 v18, v9, v20, s10
	v_cndmask_b32_e64 v35, v17, v9, s10
	v_cmpx_lt_u32_e64 v13, v52
	s_cbranch_execz .LBB1340_218
; %bb.215:
	s_mov_b32 s13, 0
	s_mov_b32 s8, exec_lo
	v_cmpx_lt_u32_e64 v14, v50
	s_cbranch_execz .LBB1340_217
; %bb.216:
	v_dual_add_f32 v8, 0, v18 :: v_dual_add_f32 v9, 0, v35
	s_delay_alu instid0(VALU_DEP_1) | instskip(NEXT) | instid1(VALU_DEP_2)
	v_ashrrev_i32_e32 v15, 31, v8
	v_ashrrev_i32_e32 v16, 31, v9
	s_delay_alu instid0(VALU_DEP_2) | instskip(NEXT) | instid1(VALU_DEP_2)
	v_or_b32_e32 v15, 0x80000000, v15
	v_or_b32_e32 v16, 0x80000000, v16
	s_delay_alu instid0(VALU_DEP_2) | instskip(NEXT) | instid1(VALU_DEP_2)
	v_xor_b32_e32 v8, v15, v8
	v_xor_b32_e32 v9, v16, v9
	s_delay_alu instid0(VALU_DEP_1)
	v_cmp_le_u32_e64 s7, v8, v9
	s_and_b32 s13, s7, exec_lo
.LBB1340_217:
	s_wait_alu 0xfffe
	s_or_b32 exec_lo, exec_lo, s8
	s_delay_alu instid0(SALU_CYCLE_1)
	s_or_not1_b32 s8, s13, exec_lo
.LBB1340_218:
	s_wait_alu 0xfffe
	s_or_b32 exec_lo, exec_lo, s12
	v_cndmask_b32_e64 v8, v13, v14, s8
	v_cndmask_b32_e64 v9, v52, v50, s8
	s_mov_b32 s12, exec_lo
	s_delay_alu instid0(VALU_DEP_2) | instskip(NEXT) | instid1(VALU_DEP_2)
	v_add_nc_u32_e32 v16, 1, v8
	v_add_nc_u32_e32 v9, -1, v9
	v_lshl_add_u32 v8, v8, 3, v31
	s_delay_alu instid0(VALU_DEP_3) | instskip(NEXT) | instid1(VALU_DEP_3)
	v_cndmask_b32_e64 v15, v16, v13, s8
	v_min_u32_e32 v9, v16, v9
	v_cndmask_b32_e64 v16, v14, v16, s8
	s_delay_alu instid0(VALU_DEP_2)
	v_lshl_add_u32 v9, v9, 2, v34
	ds_load_b32 v19, v9
	ds_load_b64 v[8:9], v8 offset:8192
	s_wait_dscnt 0x1
	v_cndmask_b32_e64 v29, v19, v18, s8
	v_cndmask_b32_e64 v36, v35, v19, s8
	v_cmpx_lt_u32_e64 v15, v52
	s_cbranch_execz .LBB1340_222
; %bb.219:
	s_mov_b32 s13, 0
	s_mov_b32 s11, exec_lo
	v_cmpx_lt_u32_e64 v16, v50
	s_cbranch_execz .LBB1340_221
; %bb.220:
	v_dual_add_f32 v13, 0, v29 :: v_dual_add_f32 v14, 0, v36
	s_delay_alu instid0(VALU_DEP_1) | instskip(NEXT) | instid1(VALU_DEP_2)
	v_ashrrev_i32_e32 v19, 31, v13
	v_ashrrev_i32_e32 v21, 31, v14
	s_delay_alu instid0(VALU_DEP_2) | instskip(NEXT) | instid1(VALU_DEP_2)
	v_or_b32_e32 v19, 0x80000000, v19
	v_or_b32_e32 v21, 0x80000000, v21
	s_delay_alu instid0(VALU_DEP_2) | instskip(NEXT) | instid1(VALU_DEP_2)
	v_xor_b32_e32 v13, v19, v13
	v_xor_b32_e32 v14, v21, v14
	s_delay_alu instid0(VALU_DEP_1)
	v_cmp_le_u32_e64 s7, v13, v14
	s_and_b32 s13, s7, exec_lo
.LBB1340_221:
	s_wait_alu 0xfffe
	s_or_b32 exec_lo, exec_lo, s11
	s_delay_alu instid0(SALU_CYCLE_1)
	s_or_not1_b32 s11, s13, exec_lo
.LBB1340_222:
	s_wait_alu 0xfffe
	s_or_b32 exec_lo, exec_lo, s12
	v_cndmask_b32_e64 v13, v15, v16, s11
	v_cndmask_b32_e64 v14, v52, v50, s11
	s_mov_b32 s13, -1
	s_mov_b32 s12, -1
	s_mov_b32 s14, exec_lo
	v_add_nc_u32_e32 v21, 1, v13
	v_add_nc_u32_e32 v14, -1, v14
	v_lshl_add_u32 v13, v13, 3, v31
	s_delay_alu instid0(VALU_DEP_3) | instskip(NEXT) | instid1(VALU_DEP_3)
	v_cndmask_b32_e64 v19, v21, v15, s11
	v_min_u32_e32 v14, v21, v14
	v_cndmask_b32_e64 v21, v16, v21, s11
	s_delay_alu instid0(VALU_DEP_2)
	v_lshl_add_u32 v14, v14, 2, v34
	ds_load_b32 v22, v14
	ds_load_b64 v[13:14], v13 offset:8192
	s_wait_dscnt 0x1
	v_cndmask_b32_e64 v30, v22, v29, s11
	v_cndmask_b32_e64 v37, v36, v22, s11
	v_cmpx_lt_u32_e64 v19, v52
	s_cbranch_execz .LBB1340_226
; %bb.223:
	s_mov_b32 s15, 0
	s_mov_b32 s12, exec_lo
	v_cmpx_lt_u32_e64 v21, v50
	s_cbranch_execz .LBB1340_225
; %bb.224:
	v_dual_add_f32 v15, 0, v30 :: v_dual_add_f32 v16, 0, v37
	s_delay_alu instid0(VALU_DEP_1) | instskip(NEXT) | instid1(VALU_DEP_2)
	v_ashrrev_i32_e32 v22, 31, v15
	v_ashrrev_i32_e32 v23, 31, v16
	s_delay_alu instid0(VALU_DEP_2) | instskip(NEXT) | instid1(VALU_DEP_2)
	v_or_b32_e32 v22, 0x80000000, v22
	v_or_b32_e32 v23, 0x80000000, v23
	s_delay_alu instid0(VALU_DEP_2) | instskip(NEXT) | instid1(VALU_DEP_2)
	v_xor_b32_e32 v15, v22, v15
	v_xor_b32_e32 v16, v23, v16
	s_delay_alu instid0(VALU_DEP_1)
	v_cmp_le_u32_e64 s7, v15, v16
	s_and_b32 s15, s7, exec_lo
.LBB1340_225:
	s_wait_alu 0xfffe
	s_or_b32 exec_lo, exec_lo, s12
	s_delay_alu instid0(SALU_CYCLE_1)
	s_or_not1_b32 s12, s15, exec_lo
.LBB1340_226:
	s_wait_alu 0xfffe
	s_or_b32 exec_lo, exec_lo, s14
	v_cndmask_b32_e64 v15, v19, v21, s12
	v_cndmask_b32_e64 v16, v52, v50, s12
	s_mov_b32 s14, exec_lo
	s_delay_alu instid0(VALU_DEP_2) | instskip(NEXT) | instid1(VALU_DEP_2)
	v_add_nc_u32_e32 v22, 1, v15
	v_add_nc_u32_e32 v16, -1, v16
	v_lshl_add_u32 v15, v15, 3, v31
	s_delay_alu instid0(VALU_DEP_3) | instskip(NEXT) | instid1(VALU_DEP_3)
	v_cndmask_b32_e64 v19, v22, v19, s12
	v_min_u32_e32 v16, v22, v16
	v_cndmask_b32_e64 v23, v21, v22, s12
	s_delay_alu instid0(VALU_DEP_2)
	v_lshl_add_u32 v16, v16, 2, v34
	ds_load_b32 v24, v16
	ds_load_b64 v[15:16], v15 offset:8192
	s_wait_dscnt 0x1
	v_cndmask_b32_e64 v27, v24, v30, s12
	v_cndmask_b32_e64 v38, v37, v24, s12
	v_cmpx_lt_u32_e64 v19, v52
	s_cbranch_execz .LBB1340_230
; %bb.227:
	s_mov_b32 s15, 0
	s_mov_b32 s13, exec_lo
	v_cmpx_lt_u32_e64 v23, v50
	s_cbranch_execz .LBB1340_229
; %bb.228:
	v_dual_add_f32 v21, 0, v27 :: v_dual_add_f32 v22, 0, v38
	s_delay_alu instid0(VALU_DEP_1) | instskip(NEXT) | instid1(VALU_DEP_2)
	v_ashrrev_i32_e32 v24, 31, v21
	v_ashrrev_i32_e32 v25, 31, v22
	s_delay_alu instid0(VALU_DEP_2) | instskip(NEXT) | instid1(VALU_DEP_2)
	v_or_b32_e32 v24, 0x80000000, v24
	v_or_b32_e32 v25, 0x80000000, v25
	s_delay_alu instid0(VALU_DEP_2) | instskip(NEXT) | instid1(VALU_DEP_2)
	v_xor_b32_e32 v21, v24, v21
	v_xor_b32_e32 v22, v25, v22
	s_delay_alu instid0(VALU_DEP_1)
	v_cmp_le_u32_e64 s7, v21, v22
	s_and_b32 s15, s7, exec_lo
.LBB1340_229:
	s_wait_alu 0xfffe
	s_or_b32 exec_lo, exec_lo, s13
	s_delay_alu instid0(SALU_CYCLE_1)
	s_or_not1_b32 s13, s15, exec_lo
.LBB1340_230:
	s_wait_alu 0xfffe
	s_or_b32 exec_lo, exec_lo, s14
	v_cndmask_b32_e64 v21, v19, v23, s13
	v_cndmask_b32_e64 v22, v52, v50, s13
	s_mov_b32 s15, -1
	s_mov_b32 s14, -1
	s_mov_b32 s16, exec_lo
	v_add_nc_u32_e32 v24, 1, v21
	v_add_nc_u32_e32 v22, -1, v22
	v_lshl_add_u32 v21, v21, 3, v31
	s_delay_alu instid0(VALU_DEP_3) | instskip(NEXT) | instid1(VALU_DEP_3)
	v_cndmask_b32_e64 v19, v24, v19, s13
	v_min_u32_e32 v22, v24, v22
	v_cndmask_b32_e64 v23, v23, v24, s13
	s_delay_alu instid0(VALU_DEP_2)
	v_lshl_add_u32 v22, v22, 2, v34
	ds_load_b32 v25, v22
	ds_load_b64 v[21:22], v21 offset:8192
	s_wait_dscnt 0x1
	v_cndmask_b32_e64 v28, v25, v27, s13
	v_cndmask_b32_e64 v39, v38, v25, s13
	v_cmpx_lt_u32_e64 v19, v52
	s_cbranch_execz .LBB1340_234
; %bb.231:
	s_mov_b32 s17, 0
	s_mov_b32 s14, exec_lo
	v_cmpx_lt_u32_e64 v23, v50
	s_cbranch_execz .LBB1340_233
; %bb.232:
	v_dual_add_f32 v24, 0, v28 :: v_dual_add_f32 v25, 0, v39
	s_delay_alu instid0(VALU_DEP_1) | instskip(NEXT) | instid1(VALU_DEP_2)
	v_ashrrev_i32_e32 v26, 31, v24
	v_ashrrev_i32_e32 v32, 31, v25
	s_delay_alu instid0(VALU_DEP_2) | instskip(NEXT) | instid1(VALU_DEP_2)
	v_or_b32_e32 v26, 0x80000000, v26
	v_or_b32_e32 v32, 0x80000000, v32
	s_delay_alu instid0(VALU_DEP_2) | instskip(NEXT) | instid1(VALU_DEP_2)
	v_xor_b32_e32 v24, v26, v24
	v_xor_b32_e32 v25, v32, v25
	s_delay_alu instid0(VALU_DEP_1)
	v_cmp_le_u32_e64 s7, v24, v25
	s_and_b32 s17, s7, exec_lo
.LBB1340_233:
	s_wait_alu 0xfffe
	s_or_b32 exec_lo, exec_lo, s14
	s_delay_alu instid0(SALU_CYCLE_1)
	s_or_not1_b32 s14, s17, exec_lo
.LBB1340_234:
	s_wait_alu 0xfffe
	s_or_b32 exec_lo, exec_lo, s16
	v_cndmask_b32_e64 v24, v19, v23, s14
	v_cndmask_b32_e64 v25, v52, v50, s14
	s_mov_b32 s16, exec_lo
	s_delay_alu instid0(VALU_DEP_2) | instskip(NEXT) | instid1(VALU_DEP_2)
	v_add_nc_u32_e32 v33, 1, v24
	v_add_nc_u32_e32 v25, -1, v25
	v_lshl_add_u32 v24, v24, 3, v31
	s_delay_alu instid0(VALU_DEP_3) | instskip(NEXT) | instid1(VALU_DEP_3)
	v_cndmask_b32_e64 v32, v33, v19, s14
	v_min_u32_e32 v25, v33, v25
	v_cndmask_b32_e64 v33, v23, v33, s14
	s_delay_alu instid0(VALU_DEP_2)
	v_lshl_add_u32 v25, v25, 2, v34
	ds_load_b32 v49, v25
	ds_load_b64 v[25:26], v24 offset:8192
	s_wait_dscnt 0x1
	v_cndmask_b32_e64 v19, v49, v28, s14
	v_cndmask_b32_e64 v49, v39, v49, s14
	v_cmpx_lt_u32_e64 v32, v52
	s_cbranch_execz .LBB1340_238
; %bb.235:
	s_mov_b32 s17, 0
	s_mov_b32 s15, exec_lo
	v_cmpx_lt_u32_e64 v33, v50
	s_cbranch_execz .LBB1340_237
; %bb.236:
	v_dual_add_f32 v23, 0, v19 :: v_dual_add_f32 v24, 0, v49
	s_delay_alu instid0(VALU_DEP_1) | instskip(NEXT) | instid1(VALU_DEP_2)
	v_ashrrev_i32_e32 v51, 31, v23
	v_ashrrev_i32_e32 v53, 31, v24
	s_delay_alu instid0(VALU_DEP_2) | instskip(NEXT) | instid1(VALU_DEP_2)
	v_or_b32_e32 v51, 0x80000000, v51
	v_or_b32_e32 v53, 0x80000000, v53
	s_delay_alu instid0(VALU_DEP_2) | instskip(NEXT) | instid1(VALU_DEP_2)
	v_xor_b32_e32 v23, v51, v23
	v_xor_b32_e32 v24, v53, v24
	s_delay_alu instid0(VALU_DEP_1)
	v_cmp_le_u32_e64 s7, v23, v24
	s_and_b32 s17, s7, exec_lo
.LBB1340_237:
	s_wait_alu 0xfffe
	s_or_b32 exec_lo, exec_lo, s15
	s_delay_alu instid0(SALU_CYCLE_1)
	s_or_not1_b32 s15, s17, exec_lo
.LBB1340_238:
	s_wait_alu 0xfffe
	s_or_b32 exec_lo, exec_lo, s16
	v_cndmask_b32_e64 v23, v32, v33, s15
	v_cndmask_b32_e64 v24, v52, v50, s15
	s_mov_b32 s17, -1
	s_mov_b32 s16, exec_lo
	s_delay_alu instid0(VALU_DEP_2) | instskip(NEXT) | instid1(VALU_DEP_2)
	v_add_nc_u32_e32 v51, 1, v23
	v_add_nc_u32_e32 v24, -1, v24
	v_lshl_add_u32 v23, v23, 3, v31
	s_delay_alu instid0(VALU_DEP_3) | instskip(NEXT) | instid1(VALU_DEP_3)
	v_cndmask_b32_e64 v32, v51, v32, s15
	v_min_u32_e32 v24, v51, v24
	v_cndmask_b32_e64 v33, v33, v51, s15
	s_delay_alu instid0(VALU_DEP_2)
	v_lshl_add_u32 v24, v24, 2, v34
	ds_load_b32 v53, v24
	ds_load_b64 v[23:24], v23 offset:8192
	s_wait_dscnt 0x1
	v_cndmask_b32_e64 v34, v53, v19, s15
	v_cndmask_b32_e64 v51, v49, v53, s15
	v_cmpx_lt_u32_e64 v32, v52
	s_cbranch_execz .LBB1340_242
; %bb.239:
	s_mov_b32 s18, 0
	s_mov_b32 s17, exec_lo
	v_cmpx_lt_u32_e64 v33, v50
	s_cbranch_execz .LBB1340_241
; %bb.240:
	v_add_f32_e32 v50, 0, v34
	v_add_f32_e32 v52, 0, v51
	s_delay_alu instid0(VALU_DEP_2) | instskip(NEXT) | instid1(VALU_DEP_2)
	v_ashrrev_i32_e32 v53, 31, v50
	v_ashrrev_i32_e32 v54, 31, v52
	s_delay_alu instid0(VALU_DEP_2) | instskip(NEXT) | instid1(VALU_DEP_2)
	v_or_b32_e32 v53, 0x80000000, v53
	v_or_b32_e32 v54, 0x80000000, v54
	s_delay_alu instid0(VALU_DEP_2) | instskip(NEXT) | instid1(VALU_DEP_2)
	v_xor_b32_e32 v50, v53, v50
	v_xor_b32_e32 v52, v54, v52
	s_delay_alu instid0(VALU_DEP_1)
	v_cmp_le_u32_e64 s7, v50, v52
	s_and_b32 s18, s7, exec_lo
.LBB1340_241:
	s_wait_alu 0xfffe
	s_or_b32 exec_lo, exec_lo, s17
	s_delay_alu instid0(SALU_CYCLE_1)
	s_or_not1_b32 s17, s18, exec_lo
.LBB1340_242:
	s_wait_alu 0xfffe
	s_or_b32 exec_lo, exec_lo, s16
	v_cndmask_b32_e64 v32, v32, v33, s17
	v_cndmask_b32_e64 v19, v19, v49, s15
	;; [unrolled: 1-line block ×5, first 2 shown]
	v_lshl_add_u32 v31, v32, 3, v31
	v_cndmask_b32_e64 v29, v29, v36, s11
	v_cndmask_b32_e64 v18, v18, v35, s8
	;; [unrolled: 1-line block ×4, first 2 shown]
	ds_load_b64 v[32:33], v31 offset:8192
.LBB1340_243:
	s_wait_alu 0xfffe
	s_or_b32 exec_lo, exec_lo, s9
	v_add_co_u32 v2, s7, v2, v11
	s_wait_alu 0xf1ff
	v_add_co_ci_u32_e64 v3, null, v3, v12, s7
	s_delay_alu instid0(VALU_DEP_2) | instskip(SKIP_1) | instid1(VALU_DEP_2)
	v_add_co_u32 v2, s7, v2, v48
	s_wait_alu 0xf1ff
	v_add_co_ci_u32_e64 v3, null, 0, v3, s7
	; wave barrier
	s_wait_storecnt_dscnt 0x0
	s_barrier_signal -1
	s_barrier_wait -1
	global_inv scope:SCOPE_SE
	; wave barrier
	s_and_saveexec_b32 s7, vcc_lo
	s_cbranch_execnz .LBB1340_268
; %bb.244:
	s_wait_alu 0xfffe
	s_or_b32 exec_lo, exec_lo, s7
	s_and_saveexec_b32 s7, s0
	s_cbranch_execnz .LBB1340_269
.LBB1340_245:
	s_wait_alu 0xfffe
	s_or_b32 exec_lo, exec_lo, s7
	s_and_saveexec_b32 s7, s1
	s_cbranch_execnz .LBB1340_270
.LBB1340_246:
	s_wait_alu 0xfffe
	s_or_b32 exec_lo, exec_lo, s7
	s_and_saveexec_b32 s7, s2
	s_cbranch_execnz .LBB1340_271
.LBB1340_247:
	s_wait_alu 0xfffe
	s_or_b32 exec_lo, exec_lo, s7
	s_and_saveexec_b32 s7, s3
	s_cbranch_execnz .LBB1340_272
.LBB1340_248:
	s_wait_alu 0xfffe
	s_or_b32 exec_lo, exec_lo, s7
	s_and_saveexec_b32 s7, s4
	s_cbranch_execnz .LBB1340_273
.LBB1340_249:
	s_wait_alu 0xfffe
	s_or_b32 exec_lo, exec_lo, s7
	s_and_saveexec_b32 s7, s5
	s_cbranch_execnz .LBB1340_274
.LBB1340_250:
	s_wait_alu 0xfffe
	s_or_b32 exec_lo, exec_lo, s7
	s_and_saveexec_b32 s7, s6
	s_cbranch_execz .LBB1340_252
.LBB1340_251:
	flat_store_b32 v[2:3], v20 offset:28
.LBB1340_252:
	s_wait_alu 0xfffe
	s_or_b32 exec_lo, exec_lo, s7
	v_add_co_u32 v0, s7, v6, v0
	s_wait_alu 0xf1ff
	v_add_co_ci_u32_e64 v1, null, v7, v1, s7
	s_delay_alu instid0(VALU_DEP_2) | instskip(SKIP_1) | instid1(VALU_DEP_2)
	v_add_co_u32 v0, s7, v0, v10
	s_wait_alu 0xf1ff
	v_add_co_ci_u32_e64 v1, null, 0, v1, s7
	; wave barrier
	s_and_saveexec_b32 s7, vcc_lo
	s_cbranch_execnz .LBB1340_275
; %bb.253:
	s_wait_alu 0xfffe
	s_or_b32 exec_lo, exec_lo, s7
	s_and_saveexec_b32 s7, s0
	s_cbranch_execnz .LBB1340_276
.LBB1340_254:
	s_wait_alu 0xfffe
	s_or_b32 exec_lo, exec_lo, s7
	s_and_saveexec_b32 s0, s1
	s_cbranch_execnz .LBB1340_277
.LBB1340_255:
	s_wait_alu 0xfffe
	s_or_b32 exec_lo, exec_lo, s0
	s_and_saveexec_b32 s0, s2
	s_cbranch_execnz .LBB1340_278
.LBB1340_256:
	s_wait_alu 0xfffe
	s_or_b32 exec_lo, exec_lo, s0
	s_and_saveexec_b32 s0, s3
	s_cbranch_execnz .LBB1340_279
.LBB1340_257:
	s_wait_alu 0xfffe
	s_or_b32 exec_lo, exec_lo, s0
	s_and_saveexec_b32 s0, s4
	s_cbranch_execnz .LBB1340_280
.LBB1340_258:
	s_wait_alu 0xfffe
	s_or_b32 exec_lo, exec_lo, s0
	s_and_saveexec_b32 s0, s5
	s_cbranch_execnz .LBB1340_281
.LBB1340_259:
	s_wait_alu 0xfffe
	s_or_b32 exec_lo, exec_lo, s0
	s_and_saveexec_b32 s0, s6
	s_cbranch_execnz .LBB1340_282
.LBB1340_260:
	s_wait_alu 0xfffe
	s_or_b32 exec_lo, exec_lo, s0
	s_wait_loadcnt_dscnt 0x0
	s_setpc_b64 s[30:31]
.LBB1340_261:
	flat_load_b64 v[4:5], v[34:35]
	s_wait_alu 0xfffe
	s_or_b32 exec_lo, exec_lo, s7
	s_and_saveexec_b32 s7, s0
                                        ; implicit-def: $vgpr8_vgpr9
	s_cbranch_execz .LBB1340_18
.LBB1340_262:
	flat_load_b64 v[8:9], v[34:35] offset:8
	s_wait_alu 0xfffe
	s_or_b32 exec_lo, exec_lo, s7
                                        ; implicit-def: $vgpr13_vgpr14
	s_and_saveexec_b32 s7, s1
	s_cbranch_execz .LBB1340_19
.LBB1340_263:
	flat_load_b64 v[13:14], v[34:35] offset:16
	s_wait_alu 0xfffe
	s_or_b32 exec_lo, exec_lo, s7
	s_and_saveexec_b32 s7, s2
                                        ; implicit-def: $vgpr15_vgpr16
	s_cbranch_execz .LBB1340_20
.LBB1340_264:
	flat_load_b64 v[15:16], v[34:35] offset:24
	s_wait_alu 0xfffe
	s_or_b32 exec_lo, exec_lo, s7
                                        ; implicit-def: $vgpr21_vgpr22
	s_and_saveexec_b32 s7, s3
	s_cbranch_execz .LBB1340_21
.LBB1340_265:
	flat_load_b64 v[21:22], v[34:35] offset:32
	s_wait_alu 0xfffe
	s_or_b32 exec_lo, exec_lo, s7
	s_and_saveexec_b32 s7, s4
                                        ; implicit-def: $vgpr25_vgpr26
	s_cbranch_execz .LBB1340_22
.LBB1340_266:
	flat_load_b64 v[25:26], v[34:35] offset:40
	s_wait_alu 0xfffe
	s_or_b32 exec_lo, exec_lo, s7
                                        ; implicit-def: $vgpr23_vgpr24
	s_and_saveexec_b32 s7, s5
	s_cbranch_execz .LBB1340_23
.LBB1340_267:
	flat_load_b64 v[23:24], v[34:35] offset:48
	s_wait_alu 0xfffe
	s_or_b32 exec_lo, exec_lo, s7
	s_and_saveexec_b32 s7, s6
                                        ; implicit-def: $vgpr32_vgpr33
	s_cbranch_execnz .LBB1340_24
	s_branch .LBB1340_25
.LBB1340_268:
	flat_store_b32 v[2:3], v17
	s_wait_alu 0xfffe
	s_or_b32 exec_lo, exec_lo, s7
	s_and_saveexec_b32 s7, s0
	s_cbranch_execz .LBB1340_245
.LBB1340_269:
	flat_store_b32 v[2:3], v18 offset:4
	s_wait_alu 0xfffe
	s_or_b32 exec_lo, exec_lo, s7
	s_and_saveexec_b32 s7, s1
	s_cbranch_execz .LBB1340_246
.LBB1340_270:
	flat_store_b32 v[2:3], v29 offset:8
	s_wait_alu 0xfffe
	s_or_b32 exec_lo, exec_lo, s7
	s_and_saveexec_b32 s7, s2
	s_cbranch_execz .LBB1340_247
.LBB1340_271:
	flat_store_b32 v[2:3], v30 offset:12
	s_wait_alu 0xfffe
	s_or_b32 exec_lo, exec_lo, s7
	s_and_saveexec_b32 s7, s3
	s_cbranch_execz .LBB1340_248
.LBB1340_272:
	flat_store_b32 v[2:3], v27 offset:16
	s_wait_alu 0xfffe
	s_or_b32 exec_lo, exec_lo, s7
	s_and_saveexec_b32 s7, s4
	s_cbranch_execz .LBB1340_249
.LBB1340_273:
	flat_store_b32 v[2:3], v28 offset:20
	s_wait_alu 0xfffe
	s_or_b32 exec_lo, exec_lo, s7
	s_and_saveexec_b32 s7, s5
	s_cbranch_execz .LBB1340_250
.LBB1340_274:
	flat_store_b32 v[2:3], v19 offset:24
	s_wait_alu 0xfffe
	s_or_b32 exec_lo, exec_lo, s7
	s_and_saveexec_b32 s7, s6
	s_cbranch_execnz .LBB1340_251
	s_branch .LBB1340_252
.LBB1340_275:
	flat_store_b64 v[0:1], v[4:5]
	s_wait_alu 0xfffe
	s_or_b32 exec_lo, exec_lo, s7
	s_and_saveexec_b32 s7, s0
	s_cbranch_execz .LBB1340_254
.LBB1340_276:
	flat_store_b64 v[0:1], v[8:9] offset:8
	s_wait_alu 0xfffe
	s_or_b32 exec_lo, exec_lo, s7
	s_and_saveexec_b32 s0, s1
	s_cbranch_execz .LBB1340_255
.LBB1340_277:
	flat_store_b64 v[0:1], v[13:14] offset:16
	s_wait_alu 0xfffe
	s_or_b32 exec_lo, exec_lo, s0
	s_and_saveexec_b32 s0, s2
	s_cbranch_execz .LBB1340_256
.LBB1340_278:
	flat_store_b64 v[0:1], v[15:16] offset:24
	s_wait_alu 0xfffe
	s_or_b32 exec_lo, exec_lo, s0
	s_and_saveexec_b32 s0, s3
	s_cbranch_execz .LBB1340_257
.LBB1340_279:
	flat_store_b64 v[0:1], v[21:22] offset:32
	s_wait_alu 0xfffe
	s_or_b32 exec_lo, exec_lo, s0
	s_and_saveexec_b32 s0, s4
	s_cbranch_execz .LBB1340_258
.LBB1340_280:
	flat_store_b64 v[0:1], v[25:26] offset:40
	s_wait_alu 0xfffe
	s_or_b32 exec_lo, exec_lo, s0
	s_and_saveexec_b32 s0, s5
	s_cbranch_execz .LBB1340_259
.LBB1340_281:
	flat_store_b64 v[0:1], v[23:24] offset:48
	s_wait_alu 0xfffe
	s_or_b32 exec_lo, exec_lo, s0
	s_and_saveexec_b32 s0, s6
	s_cbranch_execz .LBB1340_260
.LBB1340_282:
	flat_store_b64 v[0:1], v[32:33] offset:56
	s_wait_alu 0xfffe
	s_or_b32 exec_lo, exec_lo, s0
	s_wait_loadcnt_dscnt 0x0
	s_setpc_b64 s[30:31]
.Lfunc_end1340:
	.size	_ZN7rocprim17ROCPRIM_400000_NS6detail26segmented_warp_sort_helperINS1_20WarpSortHelperConfigILj16ELj8ELj256EEEflLi256ELb1EvE4sortIPKfPfPKlPlEEvT_T0_T1_T2_jjjjRNS5_12storage_typeE, .Lfunc_end1340-_ZN7rocprim17ROCPRIM_400000_NS6detail26segmented_warp_sort_helperINS1_20WarpSortHelperConfigILj16ELj8ELj256EEEflLi256ELb1EvE4sortIPKfPfPKlPlEEvT_T0_T1_T2_jjjjRNS5_12storage_typeE
                                        ; -- End function
	.set .L_ZN7rocprim17ROCPRIM_400000_NS6detail26segmented_warp_sort_helperINS1_20WarpSortHelperConfigILj16ELj8ELj256EEEflLi256ELb1EvE4sortIPKfPfPKlPlEEvT_T0_T1_T2_jjjjRNS5_12storage_typeE.num_vgpr, 81
	.set .L_ZN7rocprim17ROCPRIM_400000_NS6detail26segmented_warp_sort_helperINS1_20WarpSortHelperConfigILj16ELj8ELj256EEEflLi256ELb1EvE4sortIPKfPfPKlPlEEvT_T0_T1_T2_jjjjRNS5_12storage_typeE.num_agpr, 0
	.set .L_ZN7rocprim17ROCPRIM_400000_NS6detail26segmented_warp_sort_helperINS1_20WarpSortHelperConfigILj16ELj8ELj256EEEflLi256ELb1EvE4sortIPKfPfPKlPlEEvT_T0_T1_T2_jjjjRNS5_12storage_typeE.numbered_sgpr, 32
	.set .L_ZN7rocprim17ROCPRIM_400000_NS6detail26segmented_warp_sort_helperINS1_20WarpSortHelperConfigILj16ELj8ELj256EEEflLi256ELb1EvE4sortIPKfPfPKlPlEEvT_T0_T1_T2_jjjjRNS5_12storage_typeE.num_named_barrier, 0
	.set .L_ZN7rocprim17ROCPRIM_400000_NS6detail26segmented_warp_sort_helperINS1_20WarpSortHelperConfigILj16ELj8ELj256EEEflLi256ELb1EvE4sortIPKfPfPKlPlEEvT_T0_T1_T2_jjjjRNS5_12storage_typeE.private_seg_size, 0
	.set .L_ZN7rocprim17ROCPRIM_400000_NS6detail26segmented_warp_sort_helperINS1_20WarpSortHelperConfigILj16ELj8ELj256EEEflLi256ELb1EvE4sortIPKfPfPKlPlEEvT_T0_T1_T2_jjjjRNS5_12storage_typeE.uses_vcc, 1
	.set .L_ZN7rocprim17ROCPRIM_400000_NS6detail26segmented_warp_sort_helperINS1_20WarpSortHelperConfigILj16ELj8ELj256EEEflLi256ELb1EvE4sortIPKfPfPKlPlEEvT_T0_T1_T2_jjjjRNS5_12storage_typeE.uses_flat_scratch, 0
	.set .L_ZN7rocprim17ROCPRIM_400000_NS6detail26segmented_warp_sort_helperINS1_20WarpSortHelperConfigILj16ELj8ELj256EEEflLi256ELb1EvE4sortIPKfPfPKlPlEEvT_T0_T1_T2_jjjjRNS5_12storage_typeE.has_dyn_sized_stack, 0
	.set .L_ZN7rocprim17ROCPRIM_400000_NS6detail26segmented_warp_sort_helperINS1_20WarpSortHelperConfigILj16ELj8ELj256EEEflLi256ELb1EvE4sortIPKfPfPKlPlEEvT_T0_T1_T2_jjjjRNS5_12storage_typeE.has_recursion, 0
	.set .L_ZN7rocprim17ROCPRIM_400000_NS6detail26segmented_warp_sort_helperINS1_20WarpSortHelperConfigILj16ELj8ELj256EEEflLi256ELb1EvE4sortIPKfPfPKlPlEEvT_T0_T1_T2_jjjjRNS5_12storage_typeE.has_indirect_call, 0
	.section	.AMDGPU.csdata,"",@progbits
; Function info:
; codeLenInByte = 14540
; TotalNumSgprs: 34
; NumVgprs: 81
; ScratchSize: 0
; MemoryBound: 0
	.section	.text._ZN7rocprim17ROCPRIM_400000_NS6detail17trampoline_kernelINS0_14default_configENS1_36segmented_radix_sort_config_selectorIflEEZNS1_25segmented_radix_sort_implIS3_Lb1EPKfPfPKlPlN2at6native12_GLOBAL__N_18offset_tEEE10hipError_tPvRmT1_PNSt15iterator_traitsISK_E10value_typeET2_T3_PNSL_ISQ_E10value_typeET4_jRbjT5_SW_jjP12ihipStream_tbEUlT_E0_NS1_11comp_targetILNS1_3genE10ELNS1_11target_archE1201ELNS1_3gpuE5ELNS1_3repE0EEENS1_60segmented_radix_sort_warp_sort_medium_config_static_selectorELNS0_4arch9wavefront6targetE0EEEvSK_,"axG",@progbits,_ZN7rocprim17ROCPRIM_400000_NS6detail17trampoline_kernelINS0_14default_configENS1_36segmented_radix_sort_config_selectorIflEEZNS1_25segmented_radix_sort_implIS3_Lb1EPKfPfPKlPlN2at6native12_GLOBAL__N_18offset_tEEE10hipError_tPvRmT1_PNSt15iterator_traitsISK_E10value_typeET2_T3_PNSL_ISQ_E10value_typeET4_jRbjT5_SW_jjP12ihipStream_tbEUlT_E0_NS1_11comp_targetILNS1_3genE10ELNS1_11target_archE1201ELNS1_3gpuE5ELNS1_3repE0EEENS1_60segmented_radix_sort_warp_sort_medium_config_static_selectorELNS0_4arch9wavefront6targetE0EEEvSK_,comdat
	.globl	_ZN7rocprim17ROCPRIM_400000_NS6detail17trampoline_kernelINS0_14default_configENS1_36segmented_radix_sort_config_selectorIflEEZNS1_25segmented_radix_sort_implIS3_Lb1EPKfPfPKlPlN2at6native12_GLOBAL__N_18offset_tEEE10hipError_tPvRmT1_PNSt15iterator_traitsISK_E10value_typeET2_T3_PNSL_ISQ_E10value_typeET4_jRbjT5_SW_jjP12ihipStream_tbEUlT_E0_NS1_11comp_targetILNS1_3genE10ELNS1_11target_archE1201ELNS1_3gpuE5ELNS1_3repE0EEENS1_60segmented_radix_sort_warp_sort_medium_config_static_selectorELNS0_4arch9wavefront6targetE0EEEvSK_ ; -- Begin function _ZN7rocprim17ROCPRIM_400000_NS6detail17trampoline_kernelINS0_14default_configENS1_36segmented_radix_sort_config_selectorIflEEZNS1_25segmented_radix_sort_implIS3_Lb1EPKfPfPKlPlN2at6native12_GLOBAL__N_18offset_tEEE10hipError_tPvRmT1_PNSt15iterator_traitsISK_E10value_typeET2_T3_PNSL_ISQ_E10value_typeET4_jRbjT5_SW_jjP12ihipStream_tbEUlT_E0_NS1_11comp_targetILNS1_3genE10ELNS1_11target_archE1201ELNS1_3gpuE5ELNS1_3repE0EEENS1_60segmented_radix_sort_warp_sort_medium_config_static_selectorELNS0_4arch9wavefront6targetE0EEEvSK_
	.p2align	8
	.type	_ZN7rocprim17ROCPRIM_400000_NS6detail17trampoline_kernelINS0_14default_configENS1_36segmented_radix_sort_config_selectorIflEEZNS1_25segmented_radix_sort_implIS3_Lb1EPKfPfPKlPlN2at6native12_GLOBAL__N_18offset_tEEE10hipError_tPvRmT1_PNSt15iterator_traitsISK_E10value_typeET2_T3_PNSL_ISQ_E10value_typeET4_jRbjT5_SW_jjP12ihipStream_tbEUlT_E0_NS1_11comp_targetILNS1_3genE10ELNS1_11target_archE1201ELNS1_3gpuE5ELNS1_3repE0EEENS1_60segmented_radix_sort_warp_sort_medium_config_static_selectorELNS0_4arch9wavefront6targetE0EEEvSK_,@function
_ZN7rocprim17ROCPRIM_400000_NS6detail17trampoline_kernelINS0_14default_configENS1_36segmented_radix_sort_config_selectorIflEEZNS1_25segmented_radix_sort_implIS3_Lb1EPKfPfPKlPlN2at6native12_GLOBAL__N_18offset_tEEE10hipError_tPvRmT1_PNSt15iterator_traitsISK_E10value_typeET2_T3_PNSL_ISQ_E10value_typeET4_jRbjT5_SW_jjP12ihipStream_tbEUlT_E0_NS1_11comp_targetILNS1_3genE10ELNS1_11target_archE1201ELNS1_3gpuE5ELNS1_3repE0EEENS1_60segmented_radix_sort_warp_sort_medium_config_static_selectorELNS0_4arch9wavefront6targetE0EEEvSK_: ; @_ZN7rocprim17ROCPRIM_400000_NS6detail17trampoline_kernelINS0_14default_configENS1_36segmented_radix_sort_config_selectorIflEEZNS1_25segmented_radix_sort_implIS3_Lb1EPKfPfPKlPlN2at6native12_GLOBAL__N_18offset_tEEE10hipError_tPvRmT1_PNSt15iterator_traitsISK_E10value_typeET2_T3_PNSL_ISQ_E10value_typeET4_jRbjT5_SW_jjP12ihipStream_tbEUlT_E0_NS1_11comp_targetILNS1_3genE10ELNS1_11target_archE1201ELNS1_3gpuE5ELNS1_3repE0EEENS1_60segmented_radix_sort_warp_sort_medium_config_static_selectorELNS0_4arch9wavefront6targetE0EEEvSK_
; %bb.0:
	s_load_b32 s2, s[0:1], 0x64
	v_bfe_u32 v1, v0, 10, 10
	v_bfe_u32 v2, v0, 20, 10
	s_mov_b32 s32, 0
	s_wait_kmcnt 0x0
	s_lshr_b32 s3, s2, 16
	s_and_b32 s2, s2, 0xffff
	v_mad_u32_u24 v2, v2, s3, v1
	v_and_b32_e32 v1, 0x3ff, v0
	s_load_b32 s3, s[0:1], 0x34
	s_delay_alu instid0(VALU_DEP_1) | instskip(SKIP_2) | instid1(VALU_DEP_1)
	v_mad_co_u64_u32 v[1:2], null, v2, s2, v[1:2]
	s_mov_b32 s2, exec_lo
	v_lshrrev_b32_e32 v1, 4, v1
	v_lshl_add_u32 v1, ttmp9, 4, v1
	s_wait_kmcnt 0x0
	s_delay_alu instid0(VALU_DEP_1)
	v_cmpx_gt_u32_e64 s3, v1
	s_cbranch_execz .LBB1341_6
; %bb.1:
	s_clause 0x1
	s_load_b64 s[2:3], s[0:1], 0x38
	s_load_b128 s[4:7], s[0:1], 0x40
	v_mov_b32_e32 v2, 0
	s_delay_alu instid0(VALU_DEP_1) | instskip(SKIP_1) | instid1(VALU_DEP_1)
	v_lshlrev_b64_e32 v[1:2], 2, v[1:2]
	s_wait_kmcnt 0x0
	v_add_co_u32 v1, vcc_lo, s2, v1
	s_delay_alu instid0(VALU_DEP_1) | instskip(SKIP_4) | instid1(VALU_DEP_2)
	v_add_co_ci_u32_e64 v2, null, s3, v2, vcc_lo
	global_load_b32 v1, v[1:2], off
	s_wait_loadcnt 0x0
	v_add_nc_u32_e32 v2, s5, v1
	v_add_nc_u32_e32 v1, s7, v1
	v_mul_lo_u32 v40, v2, s4
	s_delay_alu instid0(VALU_DEP_2) | instskip(NEXT) | instid1(VALU_DEP_1)
	v_mul_lo_u32 v41, v1, s6
	v_cmp_gt_u32_e32 vcc_lo, v41, v40
	s_and_b32 exec_lo, exec_lo, vcc_lo
	s_cbranch_execz .LBB1341_6
; %bb.2:
	s_clause 0x2
	s_load_b32 s2, s[0:1], 0x30
	s_load_b128 s[24:27], s[0:1], 0x20
	s_load_b256 s[36:43], s[0:1], 0x0
	s_add_nc_u64 s[20:21], s[0:1], 0x58
	s_wait_kmcnt 0x0
	s_bitcmp0_b32 s2, 0
	s_mov_b32 s2, -1
	s_cbranch_scc0 .LBB1341_4
; %bb.3:
	v_dual_mov_b32 v31, v0 :: v_dual_mov_b32 v42, v0
	v_dual_mov_b32 v0, s36 :: v_dual_mov_b32 v1, s37
	;; [unrolled: 1-line block ×6, first 2 shown]
	s_getpc_b64 s[0:1]
	s_wait_alu 0xfffe
	s_sext_i32_i16 s1, s1
	s_add_co_u32 s0, s0, _ZN7rocprim17ROCPRIM_400000_NS6detail26segmented_warp_sort_helperINS1_20WarpSortHelperConfigILj16ELj8ELj256EEEflLi256ELb1EvE4sortIPKfPfPKlPlEEvT_T0_T1_T2_jjjjRNS5_12storage_typeE@rel32@lo+12
	s_wait_alu 0xfffe
	s_add_co_ci_u32 s1, s1, _ZN7rocprim17ROCPRIM_400000_NS6detail26segmented_warp_sort_helperINS1_20WarpSortHelperConfigILj16ELj8ELj256EEEflLi256ELb1EvE4sortIPKfPfPKlPlEEvT_T0_T1_T2_jjjjRNS5_12storage_typeE@rel32@hi+24
	s_mov_b64 s[8:9], s[20:21]
	s_wait_alu 0xfffe
	s_swappc_b64 s[30:31], s[0:1]
	v_mov_b32_e32 v0, v42
	s_mov_b32 s2, 0
.LBB1341_4:
	s_wait_alu 0xfffe
	s_and_not1_b32 vcc_lo, exec_lo, s2
	s_wait_alu 0xfffe
	s_cbranch_vccnz .LBB1341_6
; %bb.5:
	v_dual_mov_b32 v31, v0 :: v_dual_mov_b32 v0, s36
	v_dual_mov_b32 v1, s37 :: v_dual_mov_b32 v2, s40
	;; [unrolled: 1-line block ×5, first 2 shown]
	v_mov_b32_e32 v9, v41
	s_getpc_b64 s[0:1]
	s_wait_alu 0xfffe
	s_sext_i32_i16 s1, s1
	s_add_co_u32 s0, s0, _ZN7rocprim17ROCPRIM_400000_NS6detail26segmented_warp_sort_helperINS1_20WarpSortHelperConfigILj16ELj8ELj256EEEflLi256ELb1EvE4sortIPKfPfPKlPlEEvT_T0_T1_T2_jjjjRNS5_12storage_typeE@rel32@lo+12
	s_wait_alu 0xfffe
	s_add_co_ci_u32 s1, s1, _ZN7rocprim17ROCPRIM_400000_NS6detail26segmented_warp_sort_helperINS1_20WarpSortHelperConfigILj16ELj8ELj256EEEflLi256ELb1EvE4sortIPKfPfPKlPlEEvT_T0_T1_T2_jjjjRNS5_12storage_typeE@rel32@hi+24
	s_mov_b64 s[8:9], s[20:21]
	s_wait_alu 0xfffe
	s_swappc_b64 s[30:31], s[0:1]
.LBB1341_6:
	s_endpgm
	.section	.rodata,"a",@progbits
	.p2align	6, 0x0
	.amdhsa_kernel _ZN7rocprim17ROCPRIM_400000_NS6detail17trampoline_kernelINS0_14default_configENS1_36segmented_radix_sort_config_selectorIflEEZNS1_25segmented_radix_sort_implIS3_Lb1EPKfPfPKlPlN2at6native12_GLOBAL__N_18offset_tEEE10hipError_tPvRmT1_PNSt15iterator_traitsISK_E10value_typeET2_T3_PNSL_ISQ_E10value_typeET4_jRbjT5_SW_jjP12ihipStream_tbEUlT_E0_NS1_11comp_targetILNS1_3genE10ELNS1_11target_archE1201ELNS1_3gpuE5ELNS1_3repE0EEENS1_60segmented_radix_sort_warp_sort_medium_config_static_selectorELNS0_4arch9wavefront6targetE0EEEvSK_
		.amdhsa_group_segment_fixed_size 24576
		.amdhsa_private_segment_fixed_size 0
		.amdhsa_kernarg_size 344
		.amdhsa_user_sgpr_count 2
		.amdhsa_user_sgpr_dispatch_ptr 0
		.amdhsa_user_sgpr_queue_ptr 0
		.amdhsa_user_sgpr_kernarg_segment_ptr 1
		.amdhsa_user_sgpr_dispatch_id 0
		.amdhsa_user_sgpr_private_segment_size 0
		.amdhsa_wavefront_size32 1
		.amdhsa_uses_dynamic_stack 0
		.amdhsa_enable_private_segment 0
		.amdhsa_system_sgpr_workgroup_id_x 1
		.amdhsa_system_sgpr_workgroup_id_y 1
		.amdhsa_system_sgpr_workgroup_id_z 0
		.amdhsa_system_sgpr_workgroup_info 0
		.amdhsa_system_vgpr_workitem_id 2
		.amdhsa_next_free_vgpr 121
		.amdhsa_next_free_sgpr 44
		.amdhsa_reserve_vcc 1
		.amdhsa_float_round_mode_32 0
		.amdhsa_float_round_mode_16_64 0
		.amdhsa_float_denorm_mode_32 3
		.amdhsa_float_denorm_mode_16_64 3
		.amdhsa_fp16_overflow 0
		.amdhsa_workgroup_processor_mode 1
		.amdhsa_memory_ordered 1
		.amdhsa_forward_progress 1
		.amdhsa_inst_pref_size 4
		.amdhsa_round_robin_scheduling 0
		.amdhsa_exception_fp_ieee_invalid_op 0
		.amdhsa_exception_fp_denorm_src 0
		.amdhsa_exception_fp_ieee_div_zero 0
		.amdhsa_exception_fp_ieee_overflow 0
		.amdhsa_exception_fp_ieee_underflow 0
		.amdhsa_exception_fp_ieee_inexact 0
		.amdhsa_exception_int_div_zero 0
	.end_amdhsa_kernel
	.section	.text._ZN7rocprim17ROCPRIM_400000_NS6detail17trampoline_kernelINS0_14default_configENS1_36segmented_radix_sort_config_selectorIflEEZNS1_25segmented_radix_sort_implIS3_Lb1EPKfPfPKlPlN2at6native12_GLOBAL__N_18offset_tEEE10hipError_tPvRmT1_PNSt15iterator_traitsISK_E10value_typeET2_T3_PNSL_ISQ_E10value_typeET4_jRbjT5_SW_jjP12ihipStream_tbEUlT_E0_NS1_11comp_targetILNS1_3genE10ELNS1_11target_archE1201ELNS1_3gpuE5ELNS1_3repE0EEENS1_60segmented_radix_sort_warp_sort_medium_config_static_selectorELNS0_4arch9wavefront6targetE0EEEvSK_,"axG",@progbits,_ZN7rocprim17ROCPRIM_400000_NS6detail17trampoline_kernelINS0_14default_configENS1_36segmented_radix_sort_config_selectorIflEEZNS1_25segmented_radix_sort_implIS3_Lb1EPKfPfPKlPlN2at6native12_GLOBAL__N_18offset_tEEE10hipError_tPvRmT1_PNSt15iterator_traitsISK_E10value_typeET2_T3_PNSL_ISQ_E10value_typeET4_jRbjT5_SW_jjP12ihipStream_tbEUlT_E0_NS1_11comp_targetILNS1_3genE10ELNS1_11target_archE1201ELNS1_3gpuE5ELNS1_3repE0EEENS1_60segmented_radix_sort_warp_sort_medium_config_static_selectorELNS0_4arch9wavefront6targetE0EEEvSK_,comdat
.Lfunc_end1341:
	.size	_ZN7rocprim17ROCPRIM_400000_NS6detail17trampoline_kernelINS0_14default_configENS1_36segmented_radix_sort_config_selectorIflEEZNS1_25segmented_radix_sort_implIS3_Lb1EPKfPfPKlPlN2at6native12_GLOBAL__N_18offset_tEEE10hipError_tPvRmT1_PNSt15iterator_traitsISK_E10value_typeET2_T3_PNSL_ISQ_E10value_typeET4_jRbjT5_SW_jjP12ihipStream_tbEUlT_E0_NS1_11comp_targetILNS1_3genE10ELNS1_11target_archE1201ELNS1_3gpuE5ELNS1_3repE0EEENS1_60segmented_radix_sort_warp_sort_medium_config_static_selectorELNS0_4arch9wavefront6targetE0EEEvSK_, .Lfunc_end1341-_ZN7rocprim17ROCPRIM_400000_NS6detail17trampoline_kernelINS0_14default_configENS1_36segmented_radix_sort_config_selectorIflEEZNS1_25segmented_radix_sort_implIS3_Lb1EPKfPfPKlPlN2at6native12_GLOBAL__N_18offset_tEEE10hipError_tPvRmT1_PNSt15iterator_traitsISK_E10value_typeET2_T3_PNSL_ISQ_E10value_typeET4_jRbjT5_SW_jjP12ihipStream_tbEUlT_E0_NS1_11comp_targetILNS1_3genE10ELNS1_11target_archE1201ELNS1_3gpuE5ELNS1_3repE0EEENS1_60segmented_radix_sort_warp_sort_medium_config_static_selectorELNS0_4arch9wavefront6targetE0EEEvSK_
                                        ; -- End function
	.set _ZN7rocprim17ROCPRIM_400000_NS6detail17trampoline_kernelINS0_14default_configENS1_36segmented_radix_sort_config_selectorIflEEZNS1_25segmented_radix_sort_implIS3_Lb1EPKfPfPKlPlN2at6native12_GLOBAL__N_18offset_tEEE10hipError_tPvRmT1_PNSt15iterator_traitsISK_E10value_typeET2_T3_PNSL_ISQ_E10value_typeET4_jRbjT5_SW_jjP12ihipStream_tbEUlT_E0_NS1_11comp_targetILNS1_3genE10ELNS1_11target_archE1201ELNS1_3gpuE5ELNS1_3repE0EEENS1_60segmented_radix_sort_warp_sort_medium_config_static_selectorELNS0_4arch9wavefront6targetE0EEEvSK_.num_vgpr, max(43, .L_ZN7rocprim17ROCPRIM_400000_NS6detail26segmented_warp_sort_helperINS1_20WarpSortHelperConfigILj16ELj8ELj256EEEflLi256ELb1EvE4sortIPKfPfPKlPlEEvT_T0_T1_T2_jjjjRNS5_12storage_typeE.num_vgpr)
	.set _ZN7rocprim17ROCPRIM_400000_NS6detail17trampoline_kernelINS0_14default_configENS1_36segmented_radix_sort_config_selectorIflEEZNS1_25segmented_radix_sort_implIS3_Lb1EPKfPfPKlPlN2at6native12_GLOBAL__N_18offset_tEEE10hipError_tPvRmT1_PNSt15iterator_traitsISK_E10value_typeET2_T3_PNSL_ISQ_E10value_typeET4_jRbjT5_SW_jjP12ihipStream_tbEUlT_E0_NS1_11comp_targetILNS1_3genE10ELNS1_11target_archE1201ELNS1_3gpuE5ELNS1_3repE0EEENS1_60segmented_radix_sort_warp_sort_medium_config_static_selectorELNS0_4arch9wavefront6targetE0EEEvSK_.num_agpr, max(0, .L_ZN7rocprim17ROCPRIM_400000_NS6detail26segmented_warp_sort_helperINS1_20WarpSortHelperConfigILj16ELj8ELj256EEEflLi256ELb1EvE4sortIPKfPfPKlPlEEvT_T0_T1_T2_jjjjRNS5_12storage_typeE.num_agpr)
	.set _ZN7rocprim17ROCPRIM_400000_NS6detail17trampoline_kernelINS0_14default_configENS1_36segmented_radix_sort_config_selectorIflEEZNS1_25segmented_radix_sort_implIS3_Lb1EPKfPfPKlPlN2at6native12_GLOBAL__N_18offset_tEEE10hipError_tPvRmT1_PNSt15iterator_traitsISK_E10value_typeET2_T3_PNSL_ISQ_E10value_typeET4_jRbjT5_SW_jjP12ihipStream_tbEUlT_E0_NS1_11comp_targetILNS1_3genE10ELNS1_11target_archE1201ELNS1_3gpuE5ELNS1_3repE0EEENS1_60segmented_radix_sort_warp_sort_medium_config_static_selectorELNS0_4arch9wavefront6targetE0EEEvSK_.numbered_sgpr, max(44, .L_ZN7rocprim17ROCPRIM_400000_NS6detail26segmented_warp_sort_helperINS1_20WarpSortHelperConfigILj16ELj8ELj256EEEflLi256ELb1EvE4sortIPKfPfPKlPlEEvT_T0_T1_T2_jjjjRNS5_12storage_typeE.numbered_sgpr)
	.set _ZN7rocprim17ROCPRIM_400000_NS6detail17trampoline_kernelINS0_14default_configENS1_36segmented_radix_sort_config_selectorIflEEZNS1_25segmented_radix_sort_implIS3_Lb1EPKfPfPKlPlN2at6native12_GLOBAL__N_18offset_tEEE10hipError_tPvRmT1_PNSt15iterator_traitsISK_E10value_typeET2_T3_PNSL_ISQ_E10value_typeET4_jRbjT5_SW_jjP12ihipStream_tbEUlT_E0_NS1_11comp_targetILNS1_3genE10ELNS1_11target_archE1201ELNS1_3gpuE5ELNS1_3repE0EEENS1_60segmented_radix_sort_warp_sort_medium_config_static_selectorELNS0_4arch9wavefront6targetE0EEEvSK_.num_named_barrier, max(0, .L_ZN7rocprim17ROCPRIM_400000_NS6detail26segmented_warp_sort_helperINS1_20WarpSortHelperConfigILj16ELj8ELj256EEEflLi256ELb1EvE4sortIPKfPfPKlPlEEvT_T0_T1_T2_jjjjRNS5_12storage_typeE.num_named_barrier)
	.set _ZN7rocprim17ROCPRIM_400000_NS6detail17trampoline_kernelINS0_14default_configENS1_36segmented_radix_sort_config_selectorIflEEZNS1_25segmented_radix_sort_implIS3_Lb1EPKfPfPKlPlN2at6native12_GLOBAL__N_18offset_tEEE10hipError_tPvRmT1_PNSt15iterator_traitsISK_E10value_typeET2_T3_PNSL_ISQ_E10value_typeET4_jRbjT5_SW_jjP12ihipStream_tbEUlT_E0_NS1_11comp_targetILNS1_3genE10ELNS1_11target_archE1201ELNS1_3gpuE5ELNS1_3repE0EEENS1_60segmented_radix_sort_warp_sort_medium_config_static_selectorELNS0_4arch9wavefront6targetE0EEEvSK_.private_seg_size, 0+max(.L_ZN7rocprim17ROCPRIM_400000_NS6detail26segmented_warp_sort_helperINS1_20WarpSortHelperConfigILj16ELj8ELj256EEEflLi256ELb1EvE4sortIPKfPfPKlPlEEvT_T0_T1_T2_jjjjRNS5_12storage_typeE.private_seg_size)
	.set _ZN7rocprim17ROCPRIM_400000_NS6detail17trampoline_kernelINS0_14default_configENS1_36segmented_radix_sort_config_selectorIflEEZNS1_25segmented_radix_sort_implIS3_Lb1EPKfPfPKlPlN2at6native12_GLOBAL__N_18offset_tEEE10hipError_tPvRmT1_PNSt15iterator_traitsISK_E10value_typeET2_T3_PNSL_ISQ_E10value_typeET4_jRbjT5_SW_jjP12ihipStream_tbEUlT_E0_NS1_11comp_targetILNS1_3genE10ELNS1_11target_archE1201ELNS1_3gpuE5ELNS1_3repE0EEENS1_60segmented_radix_sort_warp_sort_medium_config_static_selectorELNS0_4arch9wavefront6targetE0EEEvSK_.uses_vcc, or(1, .L_ZN7rocprim17ROCPRIM_400000_NS6detail26segmented_warp_sort_helperINS1_20WarpSortHelperConfigILj16ELj8ELj256EEEflLi256ELb1EvE4sortIPKfPfPKlPlEEvT_T0_T1_T2_jjjjRNS5_12storage_typeE.uses_vcc)
	.set _ZN7rocprim17ROCPRIM_400000_NS6detail17trampoline_kernelINS0_14default_configENS1_36segmented_radix_sort_config_selectorIflEEZNS1_25segmented_radix_sort_implIS3_Lb1EPKfPfPKlPlN2at6native12_GLOBAL__N_18offset_tEEE10hipError_tPvRmT1_PNSt15iterator_traitsISK_E10value_typeET2_T3_PNSL_ISQ_E10value_typeET4_jRbjT5_SW_jjP12ihipStream_tbEUlT_E0_NS1_11comp_targetILNS1_3genE10ELNS1_11target_archE1201ELNS1_3gpuE5ELNS1_3repE0EEENS1_60segmented_radix_sort_warp_sort_medium_config_static_selectorELNS0_4arch9wavefront6targetE0EEEvSK_.uses_flat_scratch, or(0, .L_ZN7rocprim17ROCPRIM_400000_NS6detail26segmented_warp_sort_helperINS1_20WarpSortHelperConfigILj16ELj8ELj256EEEflLi256ELb1EvE4sortIPKfPfPKlPlEEvT_T0_T1_T2_jjjjRNS5_12storage_typeE.uses_flat_scratch)
	.set _ZN7rocprim17ROCPRIM_400000_NS6detail17trampoline_kernelINS0_14default_configENS1_36segmented_radix_sort_config_selectorIflEEZNS1_25segmented_radix_sort_implIS3_Lb1EPKfPfPKlPlN2at6native12_GLOBAL__N_18offset_tEEE10hipError_tPvRmT1_PNSt15iterator_traitsISK_E10value_typeET2_T3_PNSL_ISQ_E10value_typeET4_jRbjT5_SW_jjP12ihipStream_tbEUlT_E0_NS1_11comp_targetILNS1_3genE10ELNS1_11target_archE1201ELNS1_3gpuE5ELNS1_3repE0EEENS1_60segmented_radix_sort_warp_sort_medium_config_static_selectorELNS0_4arch9wavefront6targetE0EEEvSK_.has_dyn_sized_stack, or(0, .L_ZN7rocprim17ROCPRIM_400000_NS6detail26segmented_warp_sort_helperINS1_20WarpSortHelperConfigILj16ELj8ELj256EEEflLi256ELb1EvE4sortIPKfPfPKlPlEEvT_T0_T1_T2_jjjjRNS5_12storage_typeE.has_dyn_sized_stack)
	.set _ZN7rocprim17ROCPRIM_400000_NS6detail17trampoline_kernelINS0_14default_configENS1_36segmented_radix_sort_config_selectorIflEEZNS1_25segmented_radix_sort_implIS3_Lb1EPKfPfPKlPlN2at6native12_GLOBAL__N_18offset_tEEE10hipError_tPvRmT1_PNSt15iterator_traitsISK_E10value_typeET2_T3_PNSL_ISQ_E10value_typeET4_jRbjT5_SW_jjP12ihipStream_tbEUlT_E0_NS1_11comp_targetILNS1_3genE10ELNS1_11target_archE1201ELNS1_3gpuE5ELNS1_3repE0EEENS1_60segmented_radix_sort_warp_sort_medium_config_static_selectorELNS0_4arch9wavefront6targetE0EEEvSK_.has_recursion, or(0, .L_ZN7rocprim17ROCPRIM_400000_NS6detail26segmented_warp_sort_helperINS1_20WarpSortHelperConfigILj16ELj8ELj256EEEflLi256ELb1EvE4sortIPKfPfPKlPlEEvT_T0_T1_T2_jjjjRNS5_12storage_typeE.has_recursion)
	.set _ZN7rocprim17ROCPRIM_400000_NS6detail17trampoline_kernelINS0_14default_configENS1_36segmented_radix_sort_config_selectorIflEEZNS1_25segmented_radix_sort_implIS3_Lb1EPKfPfPKlPlN2at6native12_GLOBAL__N_18offset_tEEE10hipError_tPvRmT1_PNSt15iterator_traitsISK_E10value_typeET2_T3_PNSL_ISQ_E10value_typeET4_jRbjT5_SW_jjP12ihipStream_tbEUlT_E0_NS1_11comp_targetILNS1_3genE10ELNS1_11target_archE1201ELNS1_3gpuE5ELNS1_3repE0EEENS1_60segmented_radix_sort_warp_sort_medium_config_static_selectorELNS0_4arch9wavefront6targetE0EEEvSK_.has_indirect_call, or(0, .L_ZN7rocprim17ROCPRIM_400000_NS6detail26segmented_warp_sort_helperINS1_20WarpSortHelperConfigILj16ELj8ELj256EEEflLi256ELb1EvE4sortIPKfPfPKlPlEEvT_T0_T1_T2_jjjjRNS5_12storage_typeE.has_indirect_call)
	.section	.AMDGPU.csdata,"",@progbits
; Kernel info:
; codeLenInByte = 488
; TotalNumSgprs: 46
; NumVgprs: 81
; ScratchSize: 0
; MemoryBound: 0
; FloatMode: 240
; IeeeMode: 1
; LDSByteSize: 24576 bytes/workgroup (compile time only)
; SGPRBlocks: 0
; VGPRBlocks: 15
; NumSGPRsForWavesPerEU: 46
; NumVGPRsForWavesPerEU: 121
; Occupancy: 10
; WaveLimiterHint : 0
; COMPUTE_PGM_RSRC2:SCRATCH_EN: 0
; COMPUTE_PGM_RSRC2:USER_SGPR: 2
; COMPUTE_PGM_RSRC2:TRAP_HANDLER: 0
; COMPUTE_PGM_RSRC2:TGID_X_EN: 1
; COMPUTE_PGM_RSRC2:TGID_Y_EN: 1
; COMPUTE_PGM_RSRC2:TGID_Z_EN: 0
; COMPUTE_PGM_RSRC2:TIDIG_COMP_CNT: 2
	.section	.text._ZN7rocprim17ROCPRIM_400000_NS6detail17trampoline_kernelINS0_14default_configENS1_36segmented_radix_sort_config_selectorIflEEZNS1_25segmented_radix_sort_implIS3_Lb1EPKfPfPKlPlN2at6native12_GLOBAL__N_18offset_tEEE10hipError_tPvRmT1_PNSt15iterator_traitsISK_E10value_typeET2_T3_PNSL_ISQ_E10value_typeET4_jRbjT5_SW_jjP12ihipStream_tbEUlT_E0_NS1_11comp_targetILNS1_3genE10ELNS1_11target_archE1200ELNS1_3gpuE4ELNS1_3repE0EEENS1_60segmented_radix_sort_warp_sort_medium_config_static_selectorELNS0_4arch9wavefront6targetE0EEEvSK_,"axG",@progbits,_ZN7rocprim17ROCPRIM_400000_NS6detail17trampoline_kernelINS0_14default_configENS1_36segmented_radix_sort_config_selectorIflEEZNS1_25segmented_radix_sort_implIS3_Lb1EPKfPfPKlPlN2at6native12_GLOBAL__N_18offset_tEEE10hipError_tPvRmT1_PNSt15iterator_traitsISK_E10value_typeET2_T3_PNSL_ISQ_E10value_typeET4_jRbjT5_SW_jjP12ihipStream_tbEUlT_E0_NS1_11comp_targetILNS1_3genE10ELNS1_11target_archE1200ELNS1_3gpuE4ELNS1_3repE0EEENS1_60segmented_radix_sort_warp_sort_medium_config_static_selectorELNS0_4arch9wavefront6targetE0EEEvSK_,comdat
	.globl	_ZN7rocprim17ROCPRIM_400000_NS6detail17trampoline_kernelINS0_14default_configENS1_36segmented_radix_sort_config_selectorIflEEZNS1_25segmented_radix_sort_implIS3_Lb1EPKfPfPKlPlN2at6native12_GLOBAL__N_18offset_tEEE10hipError_tPvRmT1_PNSt15iterator_traitsISK_E10value_typeET2_T3_PNSL_ISQ_E10value_typeET4_jRbjT5_SW_jjP12ihipStream_tbEUlT_E0_NS1_11comp_targetILNS1_3genE10ELNS1_11target_archE1200ELNS1_3gpuE4ELNS1_3repE0EEENS1_60segmented_radix_sort_warp_sort_medium_config_static_selectorELNS0_4arch9wavefront6targetE0EEEvSK_ ; -- Begin function _ZN7rocprim17ROCPRIM_400000_NS6detail17trampoline_kernelINS0_14default_configENS1_36segmented_radix_sort_config_selectorIflEEZNS1_25segmented_radix_sort_implIS3_Lb1EPKfPfPKlPlN2at6native12_GLOBAL__N_18offset_tEEE10hipError_tPvRmT1_PNSt15iterator_traitsISK_E10value_typeET2_T3_PNSL_ISQ_E10value_typeET4_jRbjT5_SW_jjP12ihipStream_tbEUlT_E0_NS1_11comp_targetILNS1_3genE10ELNS1_11target_archE1200ELNS1_3gpuE4ELNS1_3repE0EEENS1_60segmented_radix_sort_warp_sort_medium_config_static_selectorELNS0_4arch9wavefront6targetE0EEEvSK_
	.p2align	8
	.type	_ZN7rocprim17ROCPRIM_400000_NS6detail17trampoline_kernelINS0_14default_configENS1_36segmented_radix_sort_config_selectorIflEEZNS1_25segmented_radix_sort_implIS3_Lb1EPKfPfPKlPlN2at6native12_GLOBAL__N_18offset_tEEE10hipError_tPvRmT1_PNSt15iterator_traitsISK_E10value_typeET2_T3_PNSL_ISQ_E10value_typeET4_jRbjT5_SW_jjP12ihipStream_tbEUlT_E0_NS1_11comp_targetILNS1_3genE10ELNS1_11target_archE1200ELNS1_3gpuE4ELNS1_3repE0EEENS1_60segmented_radix_sort_warp_sort_medium_config_static_selectorELNS0_4arch9wavefront6targetE0EEEvSK_,@function
_ZN7rocprim17ROCPRIM_400000_NS6detail17trampoline_kernelINS0_14default_configENS1_36segmented_radix_sort_config_selectorIflEEZNS1_25segmented_radix_sort_implIS3_Lb1EPKfPfPKlPlN2at6native12_GLOBAL__N_18offset_tEEE10hipError_tPvRmT1_PNSt15iterator_traitsISK_E10value_typeET2_T3_PNSL_ISQ_E10value_typeET4_jRbjT5_SW_jjP12ihipStream_tbEUlT_E0_NS1_11comp_targetILNS1_3genE10ELNS1_11target_archE1200ELNS1_3gpuE4ELNS1_3repE0EEENS1_60segmented_radix_sort_warp_sort_medium_config_static_selectorELNS0_4arch9wavefront6targetE0EEEvSK_: ; @_ZN7rocprim17ROCPRIM_400000_NS6detail17trampoline_kernelINS0_14default_configENS1_36segmented_radix_sort_config_selectorIflEEZNS1_25segmented_radix_sort_implIS3_Lb1EPKfPfPKlPlN2at6native12_GLOBAL__N_18offset_tEEE10hipError_tPvRmT1_PNSt15iterator_traitsISK_E10value_typeET2_T3_PNSL_ISQ_E10value_typeET4_jRbjT5_SW_jjP12ihipStream_tbEUlT_E0_NS1_11comp_targetILNS1_3genE10ELNS1_11target_archE1200ELNS1_3gpuE4ELNS1_3repE0EEENS1_60segmented_radix_sort_warp_sort_medium_config_static_selectorELNS0_4arch9wavefront6targetE0EEEvSK_
; %bb.0:
	.section	.rodata,"a",@progbits
	.p2align	6, 0x0
	.amdhsa_kernel _ZN7rocprim17ROCPRIM_400000_NS6detail17trampoline_kernelINS0_14default_configENS1_36segmented_radix_sort_config_selectorIflEEZNS1_25segmented_radix_sort_implIS3_Lb1EPKfPfPKlPlN2at6native12_GLOBAL__N_18offset_tEEE10hipError_tPvRmT1_PNSt15iterator_traitsISK_E10value_typeET2_T3_PNSL_ISQ_E10value_typeET4_jRbjT5_SW_jjP12ihipStream_tbEUlT_E0_NS1_11comp_targetILNS1_3genE10ELNS1_11target_archE1200ELNS1_3gpuE4ELNS1_3repE0EEENS1_60segmented_radix_sort_warp_sort_medium_config_static_selectorELNS0_4arch9wavefront6targetE0EEEvSK_
		.amdhsa_group_segment_fixed_size 0
		.amdhsa_private_segment_fixed_size 0
		.amdhsa_kernarg_size 88
		.amdhsa_user_sgpr_count 2
		.amdhsa_user_sgpr_dispatch_ptr 0
		.amdhsa_user_sgpr_queue_ptr 0
		.amdhsa_user_sgpr_kernarg_segment_ptr 1
		.amdhsa_user_sgpr_dispatch_id 0
		.amdhsa_user_sgpr_private_segment_size 0
		.amdhsa_wavefront_size32 1
		.amdhsa_uses_dynamic_stack 0
		.amdhsa_enable_private_segment 0
		.amdhsa_system_sgpr_workgroup_id_x 1
		.amdhsa_system_sgpr_workgroup_id_y 0
		.amdhsa_system_sgpr_workgroup_id_z 0
		.amdhsa_system_sgpr_workgroup_info 0
		.amdhsa_system_vgpr_workitem_id 0
		.amdhsa_next_free_vgpr 1
		.amdhsa_next_free_sgpr 1
		.amdhsa_reserve_vcc 0
		.amdhsa_float_round_mode_32 0
		.amdhsa_float_round_mode_16_64 0
		.amdhsa_float_denorm_mode_32 3
		.amdhsa_float_denorm_mode_16_64 3
		.amdhsa_fp16_overflow 0
		.amdhsa_workgroup_processor_mode 1
		.amdhsa_memory_ordered 1
		.amdhsa_forward_progress 1
		.amdhsa_inst_pref_size 0
		.amdhsa_round_robin_scheduling 0
		.amdhsa_exception_fp_ieee_invalid_op 0
		.amdhsa_exception_fp_denorm_src 0
		.amdhsa_exception_fp_ieee_div_zero 0
		.amdhsa_exception_fp_ieee_overflow 0
		.amdhsa_exception_fp_ieee_underflow 0
		.amdhsa_exception_fp_ieee_inexact 0
		.amdhsa_exception_int_div_zero 0
	.end_amdhsa_kernel
	.section	.text._ZN7rocprim17ROCPRIM_400000_NS6detail17trampoline_kernelINS0_14default_configENS1_36segmented_radix_sort_config_selectorIflEEZNS1_25segmented_radix_sort_implIS3_Lb1EPKfPfPKlPlN2at6native12_GLOBAL__N_18offset_tEEE10hipError_tPvRmT1_PNSt15iterator_traitsISK_E10value_typeET2_T3_PNSL_ISQ_E10value_typeET4_jRbjT5_SW_jjP12ihipStream_tbEUlT_E0_NS1_11comp_targetILNS1_3genE10ELNS1_11target_archE1200ELNS1_3gpuE4ELNS1_3repE0EEENS1_60segmented_radix_sort_warp_sort_medium_config_static_selectorELNS0_4arch9wavefront6targetE0EEEvSK_,"axG",@progbits,_ZN7rocprim17ROCPRIM_400000_NS6detail17trampoline_kernelINS0_14default_configENS1_36segmented_radix_sort_config_selectorIflEEZNS1_25segmented_radix_sort_implIS3_Lb1EPKfPfPKlPlN2at6native12_GLOBAL__N_18offset_tEEE10hipError_tPvRmT1_PNSt15iterator_traitsISK_E10value_typeET2_T3_PNSL_ISQ_E10value_typeET4_jRbjT5_SW_jjP12ihipStream_tbEUlT_E0_NS1_11comp_targetILNS1_3genE10ELNS1_11target_archE1200ELNS1_3gpuE4ELNS1_3repE0EEENS1_60segmented_radix_sort_warp_sort_medium_config_static_selectorELNS0_4arch9wavefront6targetE0EEEvSK_,comdat
.Lfunc_end1342:
	.size	_ZN7rocprim17ROCPRIM_400000_NS6detail17trampoline_kernelINS0_14default_configENS1_36segmented_radix_sort_config_selectorIflEEZNS1_25segmented_radix_sort_implIS3_Lb1EPKfPfPKlPlN2at6native12_GLOBAL__N_18offset_tEEE10hipError_tPvRmT1_PNSt15iterator_traitsISK_E10value_typeET2_T3_PNSL_ISQ_E10value_typeET4_jRbjT5_SW_jjP12ihipStream_tbEUlT_E0_NS1_11comp_targetILNS1_3genE10ELNS1_11target_archE1200ELNS1_3gpuE4ELNS1_3repE0EEENS1_60segmented_radix_sort_warp_sort_medium_config_static_selectorELNS0_4arch9wavefront6targetE0EEEvSK_, .Lfunc_end1342-_ZN7rocprim17ROCPRIM_400000_NS6detail17trampoline_kernelINS0_14default_configENS1_36segmented_radix_sort_config_selectorIflEEZNS1_25segmented_radix_sort_implIS3_Lb1EPKfPfPKlPlN2at6native12_GLOBAL__N_18offset_tEEE10hipError_tPvRmT1_PNSt15iterator_traitsISK_E10value_typeET2_T3_PNSL_ISQ_E10value_typeET4_jRbjT5_SW_jjP12ihipStream_tbEUlT_E0_NS1_11comp_targetILNS1_3genE10ELNS1_11target_archE1200ELNS1_3gpuE4ELNS1_3repE0EEENS1_60segmented_radix_sort_warp_sort_medium_config_static_selectorELNS0_4arch9wavefront6targetE0EEEvSK_
                                        ; -- End function
	.set _ZN7rocprim17ROCPRIM_400000_NS6detail17trampoline_kernelINS0_14default_configENS1_36segmented_radix_sort_config_selectorIflEEZNS1_25segmented_radix_sort_implIS3_Lb1EPKfPfPKlPlN2at6native12_GLOBAL__N_18offset_tEEE10hipError_tPvRmT1_PNSt15iterator_traitsISK_E10value_typeET2_T3_PNSL_ISQ_E10value_typeET4_jRbjT5_SW_jjP12ihipStream_tbEUlT_E0_NS1_11comp_targetILNS1_3genE10ELNS1_11target_archE1200ELNS1_3gpuE4ELNS1_3repE0EEENS1_60segmented_radix_sort_warp_sort_medium_config_static_selectorELNS0_4arch9wavefront6targetE0EEEvSK_.num_vgpr, 0
	.set _ZN7rocprim17ROCPRIM_400000_NS6detail17trampoline_kernelINS0_14default_configENS1_36segmented_radix_sort_config_selectorIflEEZNS1_25segmented_radix_sort_implIS3_Lb1EPKfPfPKlPlN2at6native12_GLOBAL__N_18offset_tEEE10hipError_tPvRmT1_PNSt15iterator_traitsISK_E10value_typeET2_T3_PNSL_ISQ_E10value_typeET4_jRbjT5_SW_jjP12ihipStream_tbEUlT_E0_NS1_11comp_targetILNS1_3genE10ELNS1_11target_archE1200ELNS1_3gpuE4ELNS1_3repE0EEENS1_60segmented_radix_sort_warp_sort_medium_config_static_selectorELNS0_4arch9wavefront6targetE0EEEvSK_.num_agpr, 0
	.set _ZN7rocprim17ROCPRIM_400000_NS6detail17trampoline_kernelINS0_14default_configENS1_36segmented_radix_sort_config_selectorIflEEZNS1_25segmented_radix_sort_implIS3_Lb1EPKfPfPKlPlN2at6native12_GLOBAL__N_18offset_tEEE10hipError_tPvRmT1_PNSt15iterator_traitsISK_E10value_typeET2_T3_PNSL_ISQ_E10value_typeET4_jRbjT5_SW_jjP12ihipStream_tbEUlT_E0_NS1_11comp_targetILNS1_3genE10ELNS1_11target_archE1200ELNS1_3gpuE4ELNS1_3repE0EEENS1_60segmented_radix_sort_warp_sort_medium_config_static_selectorELNS0_4arch9wavefront6targetE0EEEvSK_.numbered_sgpr, 0
	.set _ZN7rocprim17ROCPRIM_400000_NS6detail17trampoline_kernelINS0_14default_configENS1_36segmented_radix_sort_config_selectorIflEEZNS1_25segmented_radix_sort_implIS3_Lb1EPKfPfPKlPlN2at6native12_GLOBAL__N_18offset_tEEE10hipError_tPvRmT1_PNSt15iterator_traitsISK_E10value_typeET2_T3_PNSL_ISQ_E10value_typeET4_jRbjT5_SW_jjP12ihipStream_tbEUlT_E0_NS1_11comp_targetILNS1_3genE10ELNS1_11target_archE1200ELNS1_3gpuE4ELNS1_3repE0EEENS1_60segmented_radix_sort_warp_sort_medium_config_static_selectorELNS0_4arch9wavefront6targetE0EEEvSK_.num_named_barrier, 0
	.set _ZN7rocprim17ROCPRIM_400000_NS6detail17trampoline_kernelINS0_14default_configENS1_36segmented_radix_sort_config_selectorIflEEZNS1_25segmented_radix_sort_implIS3_Lb1EPKfPfPKlPlN2at6native12_GLOBAL__N_18offset_tEEE10hipError_tPvRmT1_PNSt15iterator_traitsISK_E10value_typeET2_T3_PNSL_ISQ_E10value_typeET4_jRbjT5_SW_jjP12ihipStream_tbEUlT_E0_NS1_11comp_targetILNS1_3genE10ELNS1_11target_archE1200ELNS1_3gpuE4ELNS1_3repE0EEENS1_60segmented_radix_sort_warp_sort_medium_config_static_selectorELNS0_4arch9wavefront6targetE0EEEvSK_.private_seg_size, 0
	.set _ZN7rocprim17ROCPRIM_400000_NS6detail17trampoline_kernelINS0_14default_configENS1_36segmented_radix_sort_config_selectorIflEEZNS1_25segmented_radix_sort_implIS3_Lb1EPKfPfPKlPlN2at6native12_GLOBAL__N_18offset_tEEE10hipError_tPvRmT1_PNSt15iterator_traitsISK_E10value_typeET2_T3_PNSL_ISQ_E10value_typeET4_jRbjT5_SW_jjP12ihipStream_tbEUlT_E0_NS1_11comp_targetILNS1_3genE10ELNS1_11target_archE1200ELNS1_3gpuE4ELNS1_3repE0EEENS1_60segmented_radix_sort_warp_sort_medium_config_static_selectorELNS0_4arch9wavefront6targetE0EEEvSK_.uses_vcc, 0
	.set _ZN7rocprim17ROCPRIM_400000_NS6detail17trampoline_kernelINS0_14default_configENS1_36segmented_radix_sort_config_selectorIflEEZNS1_25segmented_radix_sort_implIS3_Lb1EPKfPfPKlPlN2at6native12_GLOBAL__N_18offset_tEEE10hipError_tPvRmT1_PNSt15iterator_traitsISK_E10value_typeET2_T3_PNSL_ISQ_E10value_typeET4_jRbjT5_SW_jjP12ihipStream_tbEUlT_E0_NS1_11comp_targetILNS1_3genE10ELNS1_11target_archE1200ELNS1_3gpuE4ELNS1_3repE0EEENS1_60segmented_radix_sort_warp_sort_medium_config_static_selectorELNS0_4arch9wavefront6targetE0EEEvSK_.uses_flat_scratch, 0
	.set _ZN7rocprim17ROCPRIM_400000_NS6detail17trampoline_kernelINS0_14default_configENS1_36segmented_radix_sort_config_selectorIflEEZNS1_25segmented_radix_sort_implIS3_Lb1EPKfPfPKlPlN2at6native12_GLOBAL__N_18offset_tEEE10hipError_tPvRmT1_PNSt15iterator_traitsISK_E10value_typeET2_T3_PNSL_ISQ_E10value_typeET4_jRbjT5_SW_jjP12ihipStream_tbEUlT_E0_NS1_11comp_targetILNS1_3genE10ELNS1_11target_archE1200ELNS1_3gpuE4ELNS1_3repE0EEENS1_60segmented_radix_sort_warp_sort_medium_config_static_selectorELNS0_4arch9wavefront6targetE0EEEvSK_.has_dyn_sized_stack, 0
	.set _ZN7rocprim17ROCPRIM_400000_NS6detail17trampoline_kernelINS0_14default_configENS1_36segmented_radix_sort_config_selectorIflEEZNS1_25segmented_radix_sort_implIS3_Lb1EPKfPfPKlPlN2at6native12_GLOBAL__N_18offset_tEEE10hipError_tPvRmT1_PNSt15iterator_traitsISK_E10value_typeET2_T3_PNSL_ISQ_E10value_typeET4_jRbjT5_SW_jjP12ihipStream_tbEUlT_E0_NS1_11comp_targetILNS1_3genE10ELNS1_11target_archE1200ELNS1_3gpuE4ELNS1_3repE0EEENS1_60segmented_radix_sort_warp_sort_medium_config_static_selectorELNS0_4arch9wavefront6targetE0EEEvSK_.has_recursion, 0
	.set _ZN7rocprim17ROCPRIM_400000_NS6detail17trampoline_kernelINS0_14default_configENS1_36segmented_radix_sort_config_selectorIflEEZNS1_25segmented_radix_sort_implIS3_Lb1EPKfPfPKlPlN2at6native12_GLOBAL__N_18offset_tEEE10hipError_tPvRmT1_PNSt15iterator_traitsISK_E10value_typeET2_T3_PNSL_ISQ_E10value_typeET4_jRbjT5_SW_jjP12ihipStream_tbEUlT_E0_NS1_11comp_targetILNS1_3genE10ELNS1_11target_archE1200ELNS1_3gpuE4ELNS1_3repE0EEENS1_60segmented_radix_sort_warp_sort_medium_config_static_selectorELNS0_4arch9wavefront6targetE0EEEvSK_.has_indirect_call, 0
	.section	.AMDGPU.csdata,"",@progbits
; Kernel info:
; codeLenInByte = 0
; TotalNumSgprs: 0
; NumVgprs: 0
; ScratchSize: 0
; MemoryBound: 0
; FloatMode: 240
; IeeeMode: 1
; LDSByteSize: 0 bytes/workgroup (compile time only)
; SGPRBlocks: 0
; VGPRBlocks: 0
; NumSGPRsForWavesPerEU: 1
; NumVGPRsForWavesPerEU: 1
; Occupancy: 16
; WaveLimiterHint : 0
; COMPUTE_PGM_RSRC2:SCRATCH_EN: 0
; COMPUTE_PGM_RSRC2:USER_SGPR: 2
; COMPUTE_PGM_RSRC2:TRAP_HANDLER: 0
; COMPUTE_PGM_RSRC2:TGID_X_EN: 1
; COMPUTE_PGM_RSRC2:TGID_Y_EN: 0
; COMPUTE_PGM_RSRC2:TGID_Z_EN: 0
; COMPUTE_PGM_RSRC2:TIDIG_COMP_CNT: 0
	.section	.text._ZN7rocprim17ROCPRIM_400000_NS6detail17trampoline_kernelINS0_14default_configENS1_36segmented_radix_sort_config_selectorIflEEZNS1_25segmented_radix_sort_implIS3_Lb1EPKfPfPKlPlN2at6native12_GLOBAL__N_18offset_tEEE10hipError_tPvRmT1_PNSt15iterator_traitsISK_E10value_typeET2_T3_PNSL_ISQ_E10value_typeET4_jRbjT5_SW_jjP12ihipStream_tbEUlT_E0_NS1_11comp_targetILNS1_3genE9ELNS1_11target_archE1100ELNS1_3gpuE3ELNS1_3repE0EEENS1_60segmented_radix_sort_warp_sort_medium_config_static_selectorELNS0_4arch9wavefront6targetE0EEEvSK_,"axG",@progbits,_ZN7rocprim17ROCPRIM_400000_NS6detail17trampoline_kernelINS0_14default_configENS1_36segmented_radix_sort_config_selectorIflEEZNS1_25segmented_radix_sort_implIS3_Lb1EPKfPfPKlPlN2at6native12_GLOBAL__N_18offset_tEEE10hipError_tPvRmT1_PNSt15iterator_traitsISK_E10value_typeET2_T3_PNSL_ISQ_E10value_typeET4_jRbjT5_SW_jjP12ihipStream_tbEUlT_E0_NS1_11comp_targetILNS1_3genE9ELNS1_11target_archE1100ELNS1_3gpuE3ELNS1_3repE0EEENS1_60segmented_radix_sort_warp_sort_medium_config_static_selectorELNS0_4arch9wavefront6targetE0EEEvSK_,comdat
	.globl	_ZN7rocprim17ROCPRIM_400000_NS6detail17trampoline_kernelINS0_14default_configENS1_36segmented_radix_sort_config_selectorIflEEZNS1_25segmented_radix_sort_implIS3_Lb1EPKfPfPKlPlN2at6native12_GLOBAL__N_18offset_tEEE10hipError_tPvRmT1_PNSt15iterator_traitsISK_E10value_typeET2_T3_PNSL_ISQ_E10value_typeET4_jRbjT5_SW_jjP12ihipStream_tbEUlT_E0_NS1_11comp_targetILNS1_3genE9ELNS1_11target_archE1100ELNS1_3gpuE3ELNS1_3repE0EEENS1_60segmented_radix_sort_warp_sort_medium_config_static_selectorELNS0_4arch9wavefront6targetE0EEEvSK_ ; -- Begin function _ZN7rocprim17ROCPRIM_400000_NS6detail17trampoline_kernelINS0_14default_configENS1_36segmented_radix_sort_config_selectorIflEEZNS1_25segmented_radix_sort_implIS3_Lb1EPKfPfPKlPlN2at6native12_GLOBAL__N_18offset_tEEE10hipError_tPvRmT1_PNSt15iterator_traitsISK_E10value_typeET2_T3_PNSL_ISQ_E10value_typeET4_jRbjT5_SW_jjP12ihipStream_tbEUlT_E0_NS1_11comp_targetILNS1_3genE9ELNS1_11target_archE1100ELNS1_3gpuE3ELNS1_3repE0EEENS1_60segmented_radix_sort_warp_sort_medium_config_static_selectorELNS0_4arch9wavefront6targetE0EEEvSK_
	.p2align	8
	.type	_ZN7rocprim17ROCPRIM_400000_NS6detail17trampoline_kernelINS0_14default_configENS1_36segmented_radix_sort_config_selectorIflEEZNS1_25segmented_radix_sort_implIS3_Lb1EPKfPfPKlPlN2at6native12_GLOBAL__N_18offset_tEEE10hipError_tPvRmT1_PNSt15iterator_traitsISK_E10value_typeET2_T3_PNSL_ISQ_E10value_typeET4_jRbjT5_SW_jjP12ihipStream_tbEUlT_E0_NS1_11comp_targetILNS1_3genE9ELNS1_11target_archE1100ELNS1_3gpuE3ELNS1_3repE0EEENS1_60segmented_radix_sort_warp_sort_medium_config_static_selectorELNS0_4arch9wavefront6targetE0EEEvSK_,@function
_ZN7rocprim17ROCPRIM_400000_NS6detail17trampoline_kernelINS0_14default_configENS1_36segmented_radix_sort_config_selectorIflEEZNS1_25segmented_radix_sort_implIS3_Lb1EPKfPfPKlPlN2at6native12_GLOBAL__N_18offset_tEEE10hipError_tPvRmT1_PNSt15iterator_traitsISK_E10value_typeET2_T3_PNSL_ISQ_E10value_typeET4_jRbjT5_SW_jjP12ihipStream_tbEUlT_E0_NS1_11comp_targetILNS1_3genE9ELNS1_11target_archE1100ELNS1_3gpuE3ELNS1_3repE0EEENS1_60segmented_radix_sort_warp_sort_medium_config_static_selectorELNS0_4arch9wavefront6targetE0EEEvSK_: ; @_ZN7rocprim17ROCPRIM_400000_NS6detail17trampoline_kernelINS0_14default_configENS1_36segmented_radix_sort_config_selectorIflEEZNS1_25segmented_radix_sort_implIS3_Lb1EPKfPfPKlPlN2at6native12_GLOBAL__N_18offset_tEEE10hipError_tPvRmT1_PNSt15iterator_traitsISK_E10value_typeET2_T3_PNSL_ISQ_E10value_typeET4_jRbjT5_SW_jjP12ihipStream_tbEUlT_E0_NS1_11comp_targetILNS1_3genE9ELNS1_11target_archE1100ELNS1_3gpuE3ELNS1_3repE0EEENS1_60segmented_radix_sort_warp_sort_medium_config_static_selectorELNS0_4arch9wavefront6targetE0EEEvSK_
; %bb.0:
	.section	.rodata,"a",@progbits
	.p2align	6, 0x0
	.amdhsa_kernel _ZN7rocprim17ROCPRIM_400000_NS6detail17trampoline_kernelINS0_14default_configENS1_36segmented_radix_sort_config_selectorIflEEZNS1_25segmented_radix_sort_implIS3_Lb1EPKfPfPKlPlN2at6native12_GLOBAL__N_18offset_tEEE10hipError_tPvRmT1_PNSt15iterator_traitsISK_E10value_typeET2_T3_PNSL_ISQ_E10value_typeET4_jRbjT5_SW_jjP12ihipStream_tbEUlT_E0_NS1_11comp_targetILNS1_3genE9ELNS1_11target_archE1100ELNS1_3gpuE3ELNS1_3repE0EEENS1_60segmented_radix_sort_warp_sort_medium_config_static_selectorELNS0_4arch9wavefront6targetE0EEEvSK_
		.amdhsa_group_segment_fixed_size 0
		.amdhsa_private_segment_fixed_size 0
		.amdhsa_kernarg_size 88
		.amdhsa_user_sgpr_count 2
		.amdhsa_user_sgpr_dispatch_ptr 0
		.amdhsa_user_sgpr_queue_ptr 0
		.amdhsa_user_sgpr_kernarg_segment_ptr 1
		.amdhsa_user_sgpr_dispatch_id 0
		.amdhsa_user_sgpr_private_segment_size 0
		.amdhsa_wavefront_size32 1
		.amdhsa_uses_dynamic_stack 0
		.amdhsa_enable_private_segment 0
		.amdhsa_system_sgpr_workgroup_id_x 1
		.amdhsa_system_sgpr_workgroup_id_y 0
		.amdhsa_system_sgpr_workgroup_id_z 0
		.amdhsa_system_sgpr_workgroup_info 0
		.amdhsa_system_vgpr_workitem_id 0
		.amdhsa_next_free_vgpr 1
		.amdhsa_next_free_sgpr 1
		.amdhsa_reserve_vcc 0
		.amdhsa_float_round_mode_32 0
		.amdhsa_float_round_mode_16_64 0
		.amdhsa_float_denorm_mode_32 3
		.amdhsa_float_denorm_mode_16_64 3
		.amdhsa_fp16_overflow 0
		.amdhsa_workgroup_processor_mode 1
		.amdhsa_memory_ordered 1
		.amdhsa_forward_progress 1
		.amdhsa_inst_pref_size 0
		.amdhsa_round_robin_scheduling 0
		.amdhsa_exception_fp_ieee_invalid_op 0
		.amdhsa_exception_fp_denorm_src 0
		.amdhsa_exception_fp_ieee_div_zero 0
		.amdhsa_exception_fp_ieee_overflow 0
		.amdhsa_exception_fp_ieee_underflow 0
		.amdhsa_exception_fp_ieee_inexact 0
		.amdhsa_exception_int_div_zero 0
	.end_amdhsa_kernel
	.section	.text._ZN7rocprim17ROCPRIM_400000_NS6detail17trampoline_kernelINS0_14default_configENS1_36segmented_radix_sort_config_selectorIflEEZNS1_25segmented_radix_sort_implIS3_Lb1EPKfPfPKlPlN2at6native12_GLOBAL__N_18offset_tEEE10hipError_tPvRmT1_PNSt15iterator_traitsISK_E10value_typeET2_T3_PNSL_ISQ_E10value_typeET4_jRbjT5_SW_jjP12ihipStream_tbEUlT_E0_NS1_11comp_targetILNS1_3genE9ELNS1_11target_archE1100ELNS1_3gpuE3ELNS1_3repE0EEENS1_60segmented_radix_sort_warp_sort_medium_config_static_selectorELNS0_4arch9wavefront6targetE0EEEvSK_,"axG",@progbits,_ZN7rocprim17ROCPRIM_400000_NS6detail17trampoline_kernelINS0_14default_configENS1_36segmented_radix_sort_config_selectorIflEEZNS1_25segmented_radix_sort_implIS3_Lb1EPKfPfPKlPlN2at6native12_GLOBAL__N_18offset_tEEE10hipError_tPvRmT1_PNSt15iterator_traitsISK_E10value_typeET2_T3_PNSL_ISQ_E10value_typeET4_jRbjT5_SW_jjP12ihipStream_tbEUlT_E0_NS1_11comp_targetILNS1_3genE9ELNS1_11target_archE1100ELNS1_3gpuE3ELNS1_3repE0EEENS1_60segmented_radix_sort_warp_sort_medium_config_static_selectorELNS0_4arch9wavefront6targetE0EEEvSK_,comdat
.Lfunc_end1343:
	.size	_ZN7rocprim17ROCPRIM_400000_NS6detail17trampoline_kernelINS0_14default_configENS1_36segmented_radix_sort_config_selectorIflEEZNS1_25segmented_radix_sort_implIS3_Lb1EPKfPfPKlPlN2at6native12_GLOBAL__N_18offset_tEEE10hipError_tPvRmT1_PNSt15iterator_traitsISK_E10value_typeET2_T3_PNSL_ISQ_E10value_typeET4_jRbjT5_SW_jjP12ihipStream_tbEUlT_E0_NS1_11comp_targetILNS1_3genE9ELNS1_11target_archE1100ELNS1_3gpuE3ELNS1_3repE0EEENS1_60segmented_radix_sort_warp_sort_medium_config_static_selectorELNS0_4arch9wavefront6targetE0EEEvSK_, .Lfunc_end1343-_ZN7rocprim17ROCPRIM_400000_NS6detail17trampoline_kernelINS0_14default_configENS1_36segmented_radix_sort_config_selectorIflEEZNS1_25segmented_radix_sort_implIS3_Lb1EPKfPfPKlPlN2at6native12_GLOBAL__N_18offset_tEEE10hipError_tPvRmT1_PNSt15iterator_traitsISK_E10value_typeET2_T3_PNSL_ISQ_E10value_typeET4_jRbjT5_SW_jjP12ihipStream_tbEUlT_E0_NS1_11comp_targetILNS1_3genE9ELNS1_11target_archE1100ELNS1_3gpuE3ELNS1_3repE0EEENS1_60segmented_radix_sort_warp_sort_medium_config_static_selectorELNS0_4arch9wavefront6targetE0EEEvSK_
                                        ; -- End function
	.set _ZN7rocprim17ROCPRIM_400000_NS6detail17trampoline_kernelINS0_14default_configENS1_36segmented_radix_sort_config_selectorIflEEZNS1_25segmented_radix_sort_implIS3_Lb1EPKfPfPKlPlN2at6native12_GLOBAL__N_18offset_tEEE10hipError_tPvRmT1_PNSt15iterator_traitsISK_E10value_typeET2_T3_PNSL_ISQ_E10value_typeET4_jRbjT5_SW_jjP12ihipStream_tbEUlT_E0_NS1_11comp_targetILNS1_3genE9ELNS1_11target_archE1100ELNS1_3gpuE3ELNS1_3repE0EEENS1_60segmented_radix_sort_warp_sort_medium_config_static_selectorELNS0_4arch9wavefront6targetE0EEEvSK_.num_vgpr, 0
	.set _ZN7rocprim17ROCPRIM_400000_NS6detail17trampoline_kernelINS0_14default_configENS1_36segmented_radix_sort_config_selectorIflEEZNS1_25segmented_radix_sort_implIS3_Lb1EPKfPfPKlPlN2at6native12_GLOBAL__N_18offset_tEEE10hipError_tPvRmT1_PNSt15iterator_traitsISK_E10value_typeET2_T3_PNSL_ISQ_E10value_typeET4_jRbjT5_SW_jjP12ihipStream_tbEUlT_E0_NS1_11comp_targetILNS1_3genE9ELNS1_11target_archE1100ELNS1_3gpuE3ELNS1_3repE0EEENS1_60segmented_radix_sort_warp_sort_medium_config_static_selectorELNS0_4arch9wavefront6targetE0EEEvSK_.num_agpr, 0
	.set _ZN7rocprim17ROCPRIM_400000_NS6detail17trampoline_kernelINS0_14default_configENS1_36segmented_radix_sort_config_selectorIflEEZNS1_25segmented_radix_sort_implIS3_Lb1EPKfPfPKlPlN2at6native12_GLOBAL__N_18offset_tEEE10hipError_tPvRmT1_PNSt15iterator_traitsISK_E10value_typeET2_T3_PNSL_ISQ_E10value_typeET4_jRbjT5_SW_jjP12ihipStream_tbEUlT_E0_NS1_11comp_targetILNS1_3genE9ELNS1_11target_archE1100ELNS1_3gpuE3ELNS1_3repE0EEENS1_60segmented_radix_sort_warp_sort_medium_config_static_selectorELNS0_4arch9wavefront6targetE0EEEvSK_.numbered_sgpr, 0
	.set _ZN7rocprim17ROCPRIM_400000_NS6detail17trampoline_kernelINS0_14default_configENS1_36segmented_radix_sort_config_selectorIflEEZNS1_25segmented_radix_sort_implIS3_Lb1EPKfPfPKlPlN2at6native12_GLOBAL__N_18offset_tEEE10hipError_tPvRmT1_PNSt15iterator_traitsISK_E10value_typeET2_T3_PNSL_ISQ_E10value_typeET4_jRbjT5_SW_jjP12ihipStream_tbEUlT_E0_NS1_11comp_targetILNS1_3genE9ELNS1_11target_archE1100ELNS1_3gpuE3ELNS1_3repE0EEENS1_60segmented_radix_sort_warp_sort_medium_config_static_selectorELNS0_4arch9wavefront6targetE0EEEvSK_.num_named_barrier, 0
	.set _ZN7rocprim17ROCPRIM_400000_NS6detail17trampoline_kernelINS0_14default_configENS1_36segmented_radix_sort_config_selectorIflEEZNS1_25segmented_radix_sort_implIS3_Lb1EPKfPfPKlPlN2at6native12_GLOBAL__N_18offset_tEEE10hipError_tPvRmT1_PNSt15iterator_traitsISK_E10value_typeET2_T3_PNSL_ISQ_E10value_typeET4_jRbjT5_SW_jjP12ihipStream_tbEUlT_E0_NS1_11comp_targetILNS1_3genE9ELNS1_11target_archE1100ELNS1_3gpuE3ELNS1_3repE0EEENS1_60segmented_radix_sort_warp_sort_medium_config_static_selectorELNS0_4arch9wavefront6targetE0EEEvSK_.private_seg_size, 0
	.set _ZN7rocprim17ROCPRIM_400000_NS6detail17trampoline_kernelINS0_14default_configENS1_36segmented_radix_sort_config_selectorIflEEZNS1_25segmented_radix_sort_implIS3_Lb1EPKfPfPKlPlN2at6native12_GLOBAL__N_18offset_tEEE10hipError_tPvRmT1_PNSt15iterator_traitsISK_E10value_typeET2_T3_PNSL_ISQ_E10value_typeET4_jRbjT5_SW_jjP12ihipStream_tbEUlT_E0_NS1_11comp_targetILNS1_3genE9ELNS1_11target_archE1100ELNS1_3gpuE3ELNS1_3repE0EEENS1_60segmented_radix_sort_warp_sort_medium_config_static_selectorELNS0_4arch9wavefront6targetE0EEEvSK_.uses_vcc, 0
	.set _ZN7rocprim17ROCPRIM_400000_NS6detail17trampoline_kernelINS0_14default_configENS1_36segmented_radix_sort_config_selectorIflEEZNS1_25segmented_radix_sort_implIS3_Lb1EPKfPfPKlPlN2at6native12_GLOBAL__N_18offset_tEEE10hipError_tPvRmT1_PNSt15iterator_traitsISK_E10value_typeET2_T3_PNSL_ISQ_E10value_typeET4_jRbjT5_SW_jjP12ihipStream_tbEUlT_E0_NS1_11comp_targetILNS1_3genE9ELNS1_11target_archE1100ELNS1_3gpuE3ELNS1_3repE0EEENS1_60segmented_radix_sort_warp_sort_medium_config_static_selectorELNS0_4arch9wavefront6targetE0EEEvSK_.uses_flat_scratch, 0
	.set _ZN7rocprim17ROCPRIM_400000_NS6detail17trampoline_kernelINS0_14default_configENS1_36segmented_radix_sort_config_selectorIflEEZNS1_25segmented_radix_sort_implIS3_Lb1EPKfPfPKlPlN2at6native12_GLOBAL__N_18offset_tEEE10hipError_tPvRmT1_PNSt15iterator_traitsISK_E10value_typeET2_T3_PNSL_ISQ_E10value_typeET4_jRbjT5_SW_jjP12ihipStream_tbEUlT_E0_NS1_11comp_targetILNS1_3genE9ELNS1_11target_archE1100ELNS1_3gpuE3ELNS1_3repE0EEENS1_60segmented_radix_sort_warp_sort_medium_config_static_selectorELNS0_4arch9wavefront6targetE0EEEvSK_.has_dyn_sized_stack, 0
	.set _ZN7rocprim17ROCPRIM_400000_NS6detail17trampoline_kernelINS0_14default_configENS1_36segmented_radix_sort_config_selectorIflEEZNS1_25segmented_radix_sort_implIS3_Lb1EPKfPfPKlPlN2at6native12_GLOBAL__N_18offset_tEEE10hipError_tPvRmT1_PNSt15iterator_traitsISK_E10value_typeET2_T3_PNSL_ISQ_E10value_typeET4_jRbjT5_SW_jjP12ihipStream_tbEUlT_E0_NS1_11comp_targetILNS1_3genE9ELNS1_11target_archE1100ELNS1_3gpuE3ELNS1_3repE0EEENS1_60segmented_radix_sort_warp_sort_medium_config_static_selectorELNS0_4arch9wavefront6targetE0EEEvSK_.has_recursion, 0
	.set _ZN7rocprim17ROCPRIM_400000_NS6detail17trampoline_kernelINS0_14default_configENS1_36segmented_radix_sort_config_selectorIflEEZNS1_25segmented_radix_sort_implIS3_Lb1EPKfPfPKlPlN2at6native12_GLOBAL__N_18offset_tEEE10hipError_tPvRmT1_PNSt15iterator_traitsISK_E10value_typeET2_T3_PNSL_ISQ_E10value_typeET4_jRbjT5_SW_jjP12ihipStream_tbEUlT_E0_NS1_11comp_targetILNS1_3genE9ELNS1_11target_archE1100ELNS1_3gpuE3ELNS1_3repE0EEENS1_60segmented_radix_sort_warp_sort_medium_config_static_selectorELNS0_4arch9wavefront6targetE0EEEvSK_.has_indirect_call, 0
	.section	.AMDGPU.csdata,"",@progbits
; Kernel info:
; codeLenInByte = 0
; TotalNumSgprs: 0
; NumVgprs: 0
; ScratchSize: 0
; MemoryBound: 0
; FloatMode: 240
; IeeeMode: 1
; LDSByteSize: 0 bytes/workgroup (compile time only)
; SGPRBlocks: 0
; VGPRBlocks: 0
; NumSGPRsForWavesPerEU: 1
; NumVGPRsForWavesPerEU: 1
; Occupancy: 16
; WaveLimiterHint : 0
; COMPUTE_PGM_RSRC2:SCRATCH_EN: 0
; COMPUTE_PGM_RSRC2:USER_SGPR: 2
; COMPUTE_PGM_RSRC2:TRAP_HANDLER: 0
; COMPUTE_PGM_RSRC2:TGID_X_EN: 1
; COMPUTE_PGM_RSRC2:TGID_Y_EN: 0
; COMPUTE_PGM_RSRC2:TGID_Z_EN: 0
; COMPUTE_PGM_RSRC2:TIDIG_COMP_CNT: 0
	.section	.text._ZN7rocprim17ROCPRIM_400000_NS6detail17trampoline_kernelINS0_14default_configENS1_36segmented_radix_sort_config_selectorIflEEZNS1_25segmented_radix_sort_implIS3_Lb1EPKfPfPKlPlN2at6native12_GLOBAL__N_18offset_tEEE10hipError_tPvRmT1_PNSt15iterator_traitsISK_E10value_typeET2_T3_PNSL_ISQ_E10value_typeET4_jRbjT5_SW_jjP12ihipStream_tbEUlT_E0_NS1_11comp_targetILNS1_3genE8ELNS1_11target_archE1030ELNS1_3gpuE2ELNS1_3repE0EEENS1_60segmented_radix_sort_warp_sort_medium_config_static_selectorELNS0_4arch9wavefront6targetE0EEEvSK_,"axG",@progbits,_ZN7rocprim17ROCPRIM_400000_NS6detail17trampoline_kernelINS0_14default_configENS1_36segmented_radix_sort_config_selectorIflEEZNS1_25segmented_radix_sort_implIS3_Lb1EPKfPfPKlPlN2at6native12_GLOBAL__N_18offset_tEEE10hipError_tPvRmT1_PNSt15iterator_traitsISK_E10value_typeET2_T3_PNSL_ISQ_E10value_typeET4_jRbjT5_SW_jjP12ihipStream_tbEUlT_E0_NS1_11comp_targetILNS1_3genE8ELNS1_11target_archE1030ELNS1_3gpuE2ELNS1_3repE0EEENS1_60segmented_radix_sort_warp_sort_medium_config_static_selectorELNS0_4arch9wavefront6targetE0EEEvSK_,comdat
	.globl	_ZN7rocprim17ROCPRIM_400000_NS6detail17trampoline_kernelINS0_14default_configENS1_36segmented_radix_sort_config_selectorIflEEZNS1_25segmented_radix_sort_implIS3_Lb1EPKfPfPKlPlN2at6native12_GLOBAL__N_18offset_tEEE10hipError_tPvRmT1_PNSt15iterator_traitsISK_E10value_typeET2_T3_PNSL_ISQ_E10value_typeET4_jRbjT5_SW_jjP12ihipStream_tbEUlT_E0_NS1_11comp_targetILNS1_3genE8ELNS1_11target_archE1030ELNS1_3gpuE2ELNS1_3repE0EEENS1_60segmented_radix_sort_warp_sort_medium_config_static_selectorELNS0_4arch9wavefront6targetE0EEEvSK_ ; -- Begin function _ZN7rocprim17ROCPRIM_400000_NS6detail17trampoline_kernelINS0_14default_configENS1_36segmented_radix_sort_config_selectorIflEEZNS1_25segmented_radix_sort_implIS3_Lb1EPKfPfPKlPlN2at6native12_GLOBAL__N_18offset_tEEE10hipError_tPvRmT1_PNSt15iterator_traitsISK_E10value_typeET2_T3_PNSL_ISQ_E10value_typeET4_jRbjT5_SW_jjP12ihipStream_tbEUlT_E0_NS1_11comp_targetILNS1_3genE8ELNS1_11target_archE1030ELNS1_3gpuE2ELNS1_3repE0EEENS1_60segmented_radix_sort_warp_sort_medium_config_static_selectorELNS0_4arch9wavefront6targetE0EEEvSK_
	.p2align	8
	.type	_ZN7rocprim17ROCPRIM_400000_NS6detail17trampoline_kernelINS0_14default_configENS1_36segmented_radix_sort_config_selectorIflEEZNS1_25segmented_radix_sort_implIS3_Lb1EPKfPfPKlPlN2at6native12_GLOBAL__N_18offset_tEEE10hipError_tPvRmT1_PNSt15iterator_traitsISK_E10value_typeET2_T3_PNSL_ISQ_E10value_typeET4_jRbjT5_SW_jjP12ihipStream_tbEUlT_E0_NS1_11comp_targetILNS1_3genE8ELNS1_11target_archE1030ELNS1_3gpuE2ELNS1_3repE0EEENS1_60segmented_radix_sort_warp_sort_medium_config_static_selectorELNS0_4arch9wavefront6targetE0EEEvSK_,@function
_ZN7rocprim17ROCPRIM_400000_NS6detail17trampoline_kernelINS0_14default_configENS1_36segmented_radix_sort_config_selectorIflEEZNS1_25segmented_radix_sort_implIS3_Lb1EPKfPfPKlPlN2at6native12_GLOBAL__N_18offset_tEEE10hipError_tPvRmT1_PNSt15iterator_traitsISK_E10value_typeET2_T3_PNSL_ISQ_E10value_typeET4_jRbjT5_SW_jjP12ihipStream_tbEUlT_E0_NS1_11comp_targetILNS1_3genE8ELNS1_11target_archE1030ELNS1_3gpuE2ELNS1_3repE0EEENS1_60segmented_radix_sort_warp_sort_medium_config_static_selectorELNS0_4arch9wavefront6targetE0EEEvSK_: ; @_ZN7rocprim17ROCPRIM_400000_NS6detail17trampoline_kernelINS0_14default_configENS1_36segmented_radix_sort_config_selectorIflEEZNS1_25segmented_radix_sort_implIS3_Lb1EPKfPfPKlPlN2at6native12_GLOBAL__N_18offset_tEEE10hipError_tPvRmT1_PNSt15iterator_traitsISK_E10value_typeET2_T3_PNSL_ISQ_E10value_typeET4_jRbjT5_SW_jjP12ihipStream_tbEUlT_E0_NS1_11comp_targetILNS1_3genE8ELNS1_11target_archE1030ELNS1_3gpuE2ELNS1_3repE0EEENS1_60segmented_radix_sort_warp_sort_medium_config_static_selectorELNS0_4arch9wavefront6targetE0EEEvSK_
; %bb.0:
	.section	.rodata,"a",@progbits
	.p2align	6, 0x0
	.amdhsa_kernel _ZN7rocprim17ROCPRIM_400000_NS6detail17trampoline_kernelINS0_14default_configENS1_36segmented_radix_sort_config_selectorIflEEZNS1_25segmented_radix_sort_implIS3_Lb1EPKfPfPKlPlN2at6native12_GLOBAL__N_18offset_tEEE10hipError_tPvRmT1_PNSt15iterator_traitsISK_E10value_typeET2_T3_PNSL_ISQ_E10value_typeET4_jRbjT5_SW_jjP12ihipStream_tbEUlT_E0_NS1_11comp_targetILNS1_3genE8ELNS1_11target_archE1030ELNS1_3gpuE2ELNS1_3repE0EEENS1_60segmented_radix_sort_warp_sort_medium_config_static_selectorELNS0_4arch9wavefront6targetE0EEEvSK_
		.amdhsa_group_segment_fixed_size 0
		.amdhsa_private_segment_fixed_size 0
		.amdhsa_kernarg_size 88
		.amdhsa_user_sgpr_count 2
		.amdhsa_user_sgpr_dispatch_ptr 0
		.amdhsa_user_sgpr_queue_ptr 0
		.amdhsa_user_sgpr_kernarg_segment_ptr 1
		.amdhsa_user_sgpr_dispatch_id 0
		.amdhsa_user_sgpr_private_segment_size 0
		.amdhsa_wavefront_size32 1
		.amdhsa_uses_dynamic_stack 0
		.amdhsa_enable_private_segment 0
		.amdhsa_system_sgpr_workgroup_id_x 1
		.amdhsa_system_sgpr_workgroup_id_y 0
		.amdhsa_system_sgpr_workgroup_id_z 0
		.amdhsa_system_sgpr_workgroup_info 0
		.amdhsa_system_vgpr_workitem_id 0
		.amdhsa_next_free_vgpr 1
		.amdhsa_next_free_sgpr 1
		.amdhsa_reserve_vcc 0
		.amdhsa_float_round_mode_32 0
		.amdhsa_float_round_mode_16_64 0
		.amdhsa_float_denorm_mode_32 3
		.amdhsa_float_denorm_mode_16_64 3
		.amdhsa_fp16_overflow 0
		.amdhsa_workgroup_processor_mode 1
		.amdhsa_memory_ordered 1
		.amdhsa_forward_progress 1
		.amdhsa_inst_pref_size 0
		.amdhsa_round_robin_scheduling 0
		.amdhsa_exception_fp_ieee_invalid_op 0
		.amdhsa_exception_fp_denorm_src 0
		.amdhsa_exception_fp_ieee_div_zero 0
		.amdhsa_exception_fp_ieee_overflow 0
		.amdhsa_exception_fp_ieee_underflow 0
		.amdhsa_exception_fp_ieee_inexact 0
		.amdhsa_exception_int_div_zero 0
	.end_amdhsa_kernel
	.section	.text._ZN7rocprim17ROCPRIM_400000_NS6detail17trampoline_kernelINS0_14default_configENS1_36segmented_radix_sort_config_selectorIflEEZNS1_25segmented_radix_sort_implIS3_Lb1EPKfPfPKlPlN2at6native12_GLOBAL__N_18offset_tEEE10hipError_tPvRmT1_PNSt15iterator_traitsISK_E10value_typeET2_T3_PNSL_ISQ_E10value_typeET4_jRbjT5_SW_jjP12ihipStream_tbEUlT_E0_NS1_11comp_targetILNS1_3genE8ELNS1_11target_archE1030ELNS1_3gpuE2ELNS1_3repE0EEENS1_60segmented_radix_sort_warp_sort_medium_config_static_selectorELNS0_4arch9wavefront6targetE0EEEvSK_,"axG",@progbits,_ZN7rocprim17ROCPRIM_400000_NS6detail17trampoline_kernelINS0_14default_configENS1_36segmented_radix_sort_config_selectorIflEEZNS1_25segmented_radix_sort_implIS3_Lb1EPKfPfPKlPlN2at6native12_GLOBAL__N_18offset_tEEE10hipError_tPvRmT1_PNSt15iterator_traitsISK_E10value_typeET2_T3_PNSL_ISQ_E10value_typeET4_jRbjT5_SW_jjP12ihipStream_tbEUlT_E0_NS1_11comp_targetILNS1_3genE8ELNS1_11target_archE1030ELNS1_3gpuE2ELNS1_3repE0EEENS1_60segmented_radix_sort_warp_sort_medium_config_static_selectorELNS0_4arch9wavefront6targetE0EEEvSK_,comdat
.Lfunc_end1344:
	.size	_ZN7rocprim17ROCPRIM_400000_NS6detail17trampoline_kernelINS0_14default_configENS1_36segmented_radix_sort_config_selectorIflEEZNS1_25segmented_radix_sort_implIS3_Lb1EPKfPfPKlPlN2at6native12_GLOBAL__N_18offset_tEEE10hipError_tPvRmT1_PNSt15iterator_traitsISK_E10value_typeET2_T3_PNSL_ISQ_E10value_typeET4_jRbjT5_SW_jjP12ihipStream_tbEUlT_E0_NS1_11comp_targetILNS1_3genE8ELNS1_11target_archE1030ELNS1_3gpuE2ELNS1_3repE0EEENS1_60segmented_radix_sort_warp_sort_medium_config_static_selectorELNS0_4arch9wavefront6targetE0EEEvSK_, .Lfunc_end1344-_ZN7rocprim17ROCPRIM_400000_NS6detail17trampoline_kernelINS0_14default_configENS1_36segmented_radix_sort_config_selectorIflEEZNS1_25segmented_radix_sort_implIS3_Lb1EPKfPfPKlPlN2at6native12_GLOBAL__N_18offset_tEEE10hipError_tPvRmT1_PNSt15iterator_traitsISK_E10value_typeET2_T3_PNSL_ISQ_E10value_typeET4_jRbjT5_SW_jjP12ihipStream_tbEUlT_E0_NS1_11comp_targetILNS1_3genE8ELNS1_11target_archE1030ELNS1_3gpuE2ELNS1_3repE0EEENS1_60segmented_radix_sort_warp_sort_medium_config_static_selectorELNS0_4arch9wavefront6targetE0EEEvSK_
                                        ; -- End function
	.set _ZN7rocprim17ROCPRIM_400000_NS6detail17trampoline_kernelINS0_14default_configENS1_36segmented_radix_sort_config_selectorIflEEZNS1_25segmented_radix_sort_implIS3_Lb1EPKfPfPKlPlN2at6native12_GLOBAL__N_18offset_tEEE10hipError_tPvRmT1_PNSt15iterator_traitsISK_E10value_typeET2_T3_PNSL_ISQ_E10value_typeET4_jRbjT5_SW_jjP12ihipStream_tbEUlT_E0_NS1_11comp_targetILNS1_3genE8ELNS1_11target_archE1030ELNS1_3gpuE2ELNS1_3repE0EEENS1_60segmented_radix_sort_warp_sort_medium_config_static_selectorELNS0_4arch9wavefront6targetE0EEEvSK_.num_vgpr, 0
	.set _ZN7rocprim17ROCPRIM_400000_NS6detail17trampoline_kernelINS0_14default_configENS1_36segmented_radix_sort_config_selectorIflEEZNS1_25segmented_radix_sort_implIS3_Lb1EPKfPfPKlPlN2at6native12_GLOBAL__N_18offset_tEEE10hipError_tPvRmT1_PNSt15iterator_traitsISK_E10value_typeET2_T3_PNSL_ISQ_E10value_typeET4_jRbjT5_SW_jjP12ihipStream_tbEUlT_E0_NS1_11comp_targetILNS1_3genE8ELNS1_11target_archE1030ELNS1_3gpuE2ELNS1_3repE0EEENS1_60segmented_radix_sort_warp_sort_medium_config_static_selectorELNS0_4arch9wavefront6targetE0EEEvSK_.num_agpr, 0
	.set _ZN7rocprim17ROCPRIM_400000_NS6detail17trampoline_kernelINS0_14default_configENS1_36segmented_radix_sort_config_selectorIflEEZNS1_25segmented_radix_sort_implIS3_Lb1EPKfPfPKlPlN2at6native12_GLOBAL__N_18offset_tEEE10hipError_tPvRmT1_PNSt15iterator_traitsISK_E10value_typeET2_T3_PNSL_ISQ_E10value_typeET4_jRbjT5_SW_jjP12ihipStream_tbEUlT_E0_NS1_11comp_targetILNS1_3genE8ELNS1_11target_archE1030ELNS1_3gpuE2ELNS1_3repE0EEENS1_60segmented_radix_sort_warp_sort_medium_config_static_selectorELNS0_4arch9wavefront6targetE0EEEvSK_.numbered_sgpr, 0
	.set _ZN7rocprim17ROCPRIM_400000_NS6detail17trampoline_kernelINS0_14default_configENS1_36segmented_radix_sort_config_selectorIflEEZNS1_25segmented_radix_sort_implIS3_Lb1EPKfPfPKlPlN2at6native12_GLOBAL__N_18offset_tEEE10hipError_tPvRmT1_PNSt15iterator_traitsISK_E10value_typeET2_T3_PNSL_ISQ_E10value_typeET4_jRbjT5_SW_jjP12ihipStream_tbEUlT_E0_NS1_11comp_targetILNS1_3genE8ELNS1_11target_archE1030ELNS1_3gpuE2ELNS1_3repE0EEENS1_60segmented_radix_sort_warp_sort_medium_config_static_selectorELNS0_4arch9wavefront6targetE0EEEvSK_.num_named_barrier, 0
	.set _ZN7rocprim17ROCPRIM_400000_NS6detail17trampoline_kernelINS0_14default_configENS1_36segmented_radix_sort_config_selectorIflEEZNS1_25segmented_radix_sort_implIS3_Lb1EPKfPfPKlPlN2at6native12_GLOBAL__N_18offset_tEEE10hipError_tPvRmT1_PNSt15iterator_traitsISK_E10value_typeET2_T3_PNSL_ISQ_E10value_typeET4_jRbjT5_SW_jjP12ihipStream_tbEUlT_E0_NS1_11comp_targetILNS1_3genE8ELNS1_11target_archE1030ELNS1_3gpuE2ELNS1_3repE0EEENS1_60segmented_radix_sort_warp_sort_medium_config_static_selectorELNS0_4arch9wavefront6targetE0EEEvSK_.private_seg_size, 0
	.set _ZN7rocprim17ROCPRIM_400000_NS6detail17trampoline_kernelINS0_14default_configENS1_36segmented_radix_sort_config_selectorIflEEZNS1_25segmented_radix_sort_implIS3_Lb1EPKfPfPKlPlN2at6native12_GLOBAL__N_18offset_tEEE10hipError_tPvRmT1_PNSt15iterator_traitsISK_E10value_typeET2_T3_PNSL_ISQ_E10value_typeET4_jRbjT5_SW_jjP12ihipStream_tbEUlT_E0_NS1_11comp_targetILNS1_3genE8ELNS1_11target_archE1030ELNS1_3gpuE2ELNS1_3repE0EEENS1_60segmented_radix_sort_warp_sort_medium_config_static_selectorELNS0_4arch9wavefront6targetE0EEEvSK_.uses_vcc, 0
	.set _ZN7rocprim17ROCPRIM_400000_NS6detail17trampoline_kernelINS0_14default_configENS1_36segmented_radix_sort_config_selectorIflEEZNS1_25segmented_radix_sort_implIS3_Lb1EPKfPfPKlPlN2at6native12_GLOBAL__N_18offset_tEEE10hipError_tPvRmT1_PNSt15iterator_traitsISK_E10value_typeET2_T3_PNSL_ISQ_E10value_typeET4_jRbjT5_SW_jjP12ihipStream_tbEUlT_E0_NS1_11comp_targetILNS1_3genE8ELNS1_11target_archE1030ELNS1_3gpuE2ELNS1_3repE0EEENS1_60segmented_radix_sort_warp_sort_medium_config_static_selectorELNS0_4arch9wavefront6targetE0EEEvSK_.uses_flat_scratch, 0
	.set _ZN7rocprim17ROCPRIM_400000_NS6detail17trampoline_kernelINS0_14default_configENS1_36segmented_radix_sort_config_selectorIflEEZNS1_25segmented_radix_sort_implIS3_Lb1EPKfPfPKlPlN2at6native12_GLOBAL__N_18offset_tEEE10hipError_tPvRmT1_PNSt15iterator_traitsISK_E10value_typeET2_T3_PNSL_ISQ_E10value_typeET4_jRbjT5_SW_jjP12ihipStream_tbEUlT_E0_NS1_11comp_targetILNS1_3genE8ELNS1_11target_archE1030ELNS1_3gpuE2ELNS1_3repE0EEENS1_60segmented_radix_sort_warp_sort_medium_config_static_selectorELNS0_4arch9wavefront6targetE0EEEvSK_.has_dyn_sized_stack, 0
	.set _ZN7rocprim17ROCPRIM_400000_NS6detail17trampoline_kernelINS0_14default_configENS1_36segmented_radix_sort_config_selectorIflEEZNS1_25segmented_radix_sort_implIS3_Lb1EPKfPfPKlPlN2at6native12_GLOBAL__N_18offset_tEEE10hipError_tPvRmT1_PNSt15iterator_traitsISK_E10value_typeET2_T3_PNSL_ISQ_E10value_typeET4_jRbjT5_SW_jjP12ihipStream_tbEUlT_E0_NS1_11comp_targetILNS1_3genE8ELNS1_11target_archE1030ELNS1_3gpuE2ELNS1_3repE0EEENS1_60segmented_radix_sort_warp_sort_medium_config_static_selectorELNS0_4arch9wavefront6targetE0EEEvSK_.has_recursion, 0
	.set _ZN7rocprim17ROCPRIM_400000_NS6detail17trampoline_kernelINS0_14default_configENS1_36segmented_radix_sort_config_selectorIflEEZNS1_25segmented_radix_sort_implIS3_Lb1EPKfPfPKlPlN2at6native12_GLOBAL__N_18offset_tEEE10hipError_tPvRmT1_PNSt15iterator_traitsISK_E10value_typeET2_T3_PNSL_ISQ_E10value_typeET4_jRbjT5_SW_jjP12ihipStream_tbEUlT_E0_NS1_11comp_targetILNS1_3genE8ELNS1_11target_archE1030ELNS1_3gpuE2ELNS1_3repE0EEENS1_60segmented_radix_sort_warp_sort_medium_config_static_selectorELNS0_4arch9wavefront6targetE0EEEvSK_.has_indirect_call, 0
	.section	.AMDGPU.csdata,"",@progbits
; Kernel info:
; codeLenInByte = 0
; TotalNumSgprs: 0
; NumVgprs: 0
; ScratchSize: 0
; MemoryBound: 0
; FloatMode: 240
; IeeeMode: 1
; LDSByteSize: 0 bytes/workgroup (compile time only)
; SGPRBlocks: 0
; VGPRBlocks: 0
; NumSGPRsForWavesPerEU: 1
; NumVGPRsForWavesPerEU: 1
; Occupancy: 16
; WaveLimiterHint : 0
; COMPUTE_PGM_RSRC2:SCRATCH_EN: 0
; COMPUTE_PGM_RSRC2:USER_SGPR: 2
; COMPUTE_PGM_RSRC2:TRAP_HANDLER: 0
; COMPUTE_PGM_RSRC2:TGID_X_EN: 1
; COMPUTE_PGM_RSRC2:TGID_Y_EN: 0
; COMPUTE_PGM_RSRC2:TGID_Z_EN: 0
; COMPUTE_PGM_RSRC2:TIDIG_COMP_CNT: 0
	.section	.text._ZN7rocprim17ROCPRIM_400000_NS6detail17trampoline_kernelINS0_14default_configENS1_36segmented_radix_sort_config_selectorIflEEZNS1_25segmented_radix_sort_implIS3_Lb1EPKfPfPKlPlN2at6native12_GLOBAL__N_18offset_tEEE10hipError_tPvRmT1_PNSt15iterator_traitsISK_E10value_typeET2_T3_PNSL_ISQ_E10value_typeET4_jRbjT5_SW_jjP12ihipStream_tbEUlT_E1_NS1_11comp_targetILNS1_3genE0ELNS1_11target_archE4294967295ELNS1_3gpuE0ELNS1_3repE0EEENS1_59segmented_radix_sort_warp_sort_small_config_static_selectorELNS0_4arch9wavefront6targetE0EEEvSK_,"axG",@progbits,_ZN7rocprim17ROCPRIM_400000_NS6detail17trampoline_kernelINS0_14default_configENS1_36segmented_radix_sort_config_selectorIflEEZNS1_25segmented_radix_sort_implIS3_Lb1EPKfPfPKlPlN2at6native12_GLOBAL__N_18offset_tEEE10hipError_tPvRmT1_PNSt15iterator_traitsISK_E10value_typeET2_T3_PNSL_ISQ_E10value_typeET4_jRbjT5_SW_jjP12ihipStream_tbEUlT_E1_NS1_11comp_targetILNS1_3genE0ELNS1_11target_archE4294967295ELNS1_3gpuE0ELNS1_3repE0EEENS1_59segmented_radix_sort_warp_sort_small_config_static_selectorELNS0_4arch9wavefront6targetE0EEEvSK_,comdat
	.globl	_ZN7rocprim17ROCPRIM_400000_NS6detail17trampoline_kernelINS0_14default_configENS1_36segmented_radix_sort_config_selectorIflEEZNS1_25segmented_radix_sort_implIS3_Lb1EPKfPfPKlPlN2at6native12_GLOBAL__N_18offset_tEEE10hipError_tPvRmT1_PNSt15iterator_traitsISK_E10value_typeET2_T3_PNSL_ISQ_E10value_typeET4_jRbjT5_SW_jjP12ihipStream_tbEUlT_E1_NS1_11comp_targetILNS1_3genE0ELNS1_11target_archE4294967295ELNS1_3gpuE0ELNS1_3repE0EEENS1_59segmented_radix_sort_warp_sort_small_config_static_selectorELNS0_4arch9wavefront6targetE0EEEvSK_ ; -- Begin function _ZN7rocprim17ROCPRIM_400000_NS6detail17trampoline_kernelINS0_14default_configENS1_36segmented_radix_sort_config_selectorIflEEZNS1_25segmented_radix_sort_implIS3_Lb1EPKfPfPKlPlN2at6native12_GLOBAL__N_18offset_tEEE10hipError_tPvRmT1_PNSt15iterator_traitsISK_E10value_typeET2_T3_PNSL_ISQ_E10value_typeET4_jRbjT5_SW_jjP12ihipStream_tbEUlT_E1_NS1_11comp_targetILNS1_3genE0ELNS1_11target_archE4294967295ELNS1_3gpuE0ELNS1_3repE0EEENS1_59segmented_radix_sort_warp_sort_small_config_static_selectorELNS0_4arch9wavefront6targetE0EEEvSK_
	.p2align	8
	.type	_ZN7rocprim17ROCPRIM_400000_NS6detail17trampoline_kernelINS0_14default_configENS1_36segmented_radix_sort_config_selectorIflEEZNS1_25segmented_radix_sort_implIS3_Lb1EPKfPfPKlPlN2at6native12_GLOBAL__N_18offset_tEEE10hipError_tPvRmT1_PNSt15iterator_traitsISK_E10value_typeET2_T3_PNSL_ISQ_E10value_typeET4_jRbjT5_SW_jjP12ihipStream_tbEUlT_E1_NS1_11comp_targetILNS1_3genE0ELNS1_11target_archE4294967295ELNS1_3gpuE0ELNS1_3repE0EEENS1_59segmented_radix_sort_warp_sort_small_config_static_selectorELNS0_4arch9wavefront6targetE0EEEvSK_,@function
_ZN7rocprim17ROCPRIM_400000_NS6detail17trampoline_kernelINS0_14default_configENS1_36segmented_radix_sort_config_selectorIflEEZNS1_25segmented_radix_sort_implIS3_Lb1EPKfPfPKlPlN2at6native12_GLOBAL__N_18offset_tEEE10hipError_tPvRmT1_PNSt15iterator_traitsISK_E10value_typeET2_T3_PNSL_ISQ_E10value_typeET4_jRbjT5_SW_jjP12ihipStream_tbEUlT_E1_NS1_11comp_targetILNS1_3genE0ELNS1_11target_archE4294967295ELNS1_3gpuE0ELNS1_3repE0EEENS1_59segmented_radix_sort_warp_sort_small_config_static_selectorELNS0_4arch9wavefront6targetE0EEEvSK_: ; @_ZN7rocprim17ROCPRIM_400000_NS6detail17trampoline_kernelINS0_14default_configENS1_36segmented_radix_sort_config_selectorIflEEZNS1_25segmented_radix_sort_implIS3_Lb1EPKfPfPKlPlN2at6native12_GLOBAL__N_18offset_tEEE10hipError_tPvRmT1_PNSt15iterator_traitsISK_E10value_typeET2_T3_PNSL_ISQ_E10value_typeET4_jRbjT5_SW_jjP12ihipStream_tbEUlT_E1_NS1_11comp_targetILNS1_3genE0ELNS1_11target_archE4294967295ELNS1_3gpuE0ELNS1_3repE0EEENS1_59segmented_radix_sort_warp_sort_small_config_static_selectorELNS0_4arch9wavefront6targetE0EEEvSK_
; %bb.0:
	.section	.rodata,"a",@progbits
	.p2align	6, 0x0
	.amdhsa_kernel _ZN7rocprim17ROCPRIM_400000_NS6detail17trampoline_kernelINS0_14default_configENS1_36segmented_radix_sort_config_selectorIflEEZNS1_25segmented_radix_sort_implIS3_Lb1EPKfPfPKlPlN2at6native12_GLOBAL__N_18offset_tEEE10hipError_tPvRmT1_PNSt15iterator_traitsISK_E10value_typeET2_T3_PNSL_ISQ_E10value_typeET4_jRbjT5_SW_jjP12ihipStream_tbEUlT_E1_NS1_11comp_targetILNS1_3genE0ELNS1_11target_archE4294967295ELNS1_3gpuE0ELNS1_3repE0EEENS1_59segmented_radix_sort_warp_sort_small_config_static_selectorELNS0_4arch9wavefront6targetE0EEEvSK_
		.amdhsa_group_segment_fixed_size 0
		.amdhsa_private_segment_fixed_size 0
		.amdhsa_kernarg_size 88
		.amdhsa_user_sgpr_count 2
		.amdhsa_user_sgpr_dispatch_ptr 0
		.amdhsa_user_sgpr_queue_ptr 0
		.amdhsa_user_sgpr_kernarg_segment_ptr 1
		.amdhsa_user_sgpr_dispatch_id 0
		.amdhsa_user_sgpr_private_segment_size 0
		.amdhsa_wavefront_size32 1
		.amdhsa_uses_dynamic_stack 0
		.amdhsa_enable_private_segment 0
		.amdhsa_system_sgpr_workgroup_id_x 1
		.amdhsa_system_sgpr_workgroup_id_y 0
		.amdhsa_system_sgpr_workgroup_id_z 0
		.amdhsa_system_sgpr_workgroup_info 0
		.amdhsa_system_vgpr_workitem_id 0
		.amdhsa_next_free_vgpr 1
		.amdhsa_next_free_sgpr 1
		.amdhsa_reserve_vcc 0
		.amdhsa_float_round_mode_32 0
		.amdhsa_float_round_mode_16_64 0
		.amdhsa_float_denorm_mode_32 3
		.amdhsa_float_denorm_mode_16_64 3
		.amdhsa_fp16_overflow 0
		.amdhsa_workgroup_processor_mode 1
		.amdhsa_memory_ordered 1
		.amdhsa_forward_progress 1
		.amdhsa_inst_pref_size 0
		.amdhsa_round_robin_scheduling 0
		.amdhsa_exception_fp_ieee_invalid_op 0
		.amdhsa_exception_fp_denorm_src 0
		.amdhsa_exception_fp_ieee_div_zero 0
		.amdhsa_exception_fp_ieee_overflow 0
		.amdhsa_exception_fp_ieee_underflow 0
		.amdhsa_exception_fp_ieee_inexact 0
		.amdhsa_exception_int_div_zero 0
	.end_amdhsa_kernel
	.section	.text._ZN7rocprim17ROCPRIM_400000_NS6detail17trampoline_kernelINS0_14default_configENS1_36segmented_radix_sort_config_selectorIflEEZNS1_25segmented_radix_sort_implIS3_Lb1EPKfPfPKlPlN2at6native12_GLOBAL__N_18offset_tEEE10hipError_tPvRmT1_PNSt15iterator_traitsISK_E10value_typeET2_T3_PNSL_ISQ_E10value_typeET4_jRbjT5_SW_jjP12ihipStream_tbEUlT_E1_NS1_11comp_targetILNS1_3genE0ELNS1_11target_archE4294967295ELNS1_3gpuE0ELNS1_3repE0EEENS1_59segmented_radix_sort_warp_sort_small_config_static_selectorELNS0_4arch9wavefront6targetE0EEEvSK_,"axG",@progbits,_ZN7rocprim17ROCPRIM_400000_NS6detail17trampoline_kernelINS0_14default_configENS1_36segmented_radix_sort_config_selectorIflEEZNS1_25segmented_radix_sort_implIS3_Lb1EPKfPfPKlPlN2at6native12_GLOBAL__N_18offset_tEEE10hipError_tPvRmT1_PNSt15iterator_traitsISK_E10value_typeET2_T3_PNSL_ISQ_E10value_typeET4_jRbjT5_SW_jjP12ihipStream_tbEUlT_E1_NS1_11comp_targetILNS1_3genE0ELNS1_11target_archE4294967295ELNS1_3gpuE0ELNS1_3repE0EEENS1_59segmented_radix_sort_warp_sort_small_config_static_selectorELNS0_4arch9wavefront6targetE0EEEvSK_,comdat
.Lfunc_end1345:
	.size	_ZN7rocprim17ROCPRIM_400000_NS6detail17trampoline_kernelINS0_14default_configENS1_36segmented_radix_sort_config_selectorIflEEZNS1_25segmented_radix_sort_implIS3_Lb1EPKfPfPKlPlN2at6native12_GLOBAL__N_18offset_tEEE10hipError_tPvRmT1_PNSt15iterator_traitsISK_E10value_typeET2_T3_PNSL_ISQ_E10value_typeET4_jRbjT5_SW_jjP12ihipStream_tbEUlT_E1_NS1_11comp_targetILNS1_3genE0ELNS1_11target_archE4294967295ELNS1_3gpuE0ELNS1_3repE0EEENS1_59segmented_radix_sort_warp_sort_small_config_static_selectorELNS0_4arch9wavefront6targetE0EEEvSK_, .Lfunc_end1345-_ZN7rocprim17ROCPRIM_400000_NS6detail17trampoline_kernelINS0_14default_configENS1_36segmented_radix_sort_config_selectorIflEEZNS1_25segmented_radix_sort_implIS3_Lb1EPKfPfPKlPlN2at6native12_GLOBAL__N_18offset_tEEE10hipError_tPvRmT1_PNSt15iterator_traitsISK_E10value_typeET2_T3_PNSL_ISQ_E10value_typeET4_jRbjT5_SW_jjP12ihipStream_tbEUlT_E1_NS1_11comp_targetILNS1_3genE0ELNS1_11target_archE4294967295ELNS1_3gpuE0ELNS1_3repE0EEENS1_59segmented_radix_sort_warp_sort_small_config_static_selectorELNS0_4arch9wavefront6targetE0EEEvSK_
                                        ; -- End function
	.set _ZN7rocprim17ROCPRIM_400000_NS6detail17trampoline_kernelINS0_14default_configENS1_36segmented_radix_sort_config_selectorIflEEZNS1_25segmented_radix_sort_implIS3_Lb1EPKfPfPKlPlN2at6native12_GLOBAL__N_18offset_tEEE10hipError_tPvRmT1_PNSt15iterator_traitsISK_E10value_typeET2_T3_PNSL_ISQ_E10value_typeET4_jRbjT5_SW_jjP12ihipStream_tbEUlT_E1_NS1_11comp_targetILNS1_3genE0ELNS1_11target_archE4294967295ELNS1_3gpuE0ELNS1_3repE0EEENS1_59segmented_radix_sort_warp_sort_small_config_static_selectorELNS0_4arch9wavefront6targetE0EEEvSK_.num_vgpr, 0
	.set _ZN7rocprim17ROCPRIM_400000_NS6detail17trampoline_kernelINS0_14default_configENS1_36segmented_radix_sort_config_selectorIflEEZNS1_25segmented_radix_sort_implIS3_Lb1EPKfPfPKlPlN2at6native12_GLOBAL__N_18offset_tEEE10hipError_tPvRmT1_PNSt15iterator_traitsISK_E10value_typeET2_T3_PNSL_ISQ_E10value_typeET4_jRbjT5_SW_jjP12ihipStream_tbEUlT_E1_NS1_11comp_targetILNS1_3genE0ELNS1_11target_archE4294967295ELNS1_3gpuE0ELNS1_3repE0EEENS1_59segmented_radix_sort_warp_sort_small_config_static_selectorELNS0_4arch9wavefront6targetE0EEEvSK_.num_agpr, 0
	.set _ZN7rocprim17ROCPRIM_400000_NS6detail17trampoline_kernelINS0_14default_configENS1_36segmented_radix_sort_config_selectorIflEEZNS1_25segmented_radix_sort_implIS3_Lb1EPKfPfPKlPlN2at6native12_GLOBAL__N_18offset_tEEE10hipError_tPvRmT1_PNSt15iterator_traitsISK_E10value_typeET2_T3_PNSL_ISQ_E10value_typeET4_jRbjT5_SW_jjP12ihipStream_tbEUlT_E1_NS1_11comp_targetILNS1_3genE0ELNS1_11target_archE4294967295ELNS1_3gpuE0ELNS1_3repE0EEENS1_59segmented_radix_sort_warp_sort_small_config_static_selectorELNS0_4arch9wavefront6targetE0EEEvSK_.numbered_sgpr, 0
	.set _ZN7rocprim17ROCPRIM_400000_NS6detail17trampoline_kernelINS0_14default_configENS1_36segmented_radix_sort_config_selectorIflEEZNS1_25segmented_radix_sort_implIS3_Lb1EPKfPfPKlPlN2at6native12_GLOBAL__N_18offset_tEEE10hipError_tPvRmT1_PNSt15iterator_traitsISK_E10value_typeET2_T3_PNSL_ISQ_E10value_typeET4_jRbjT5_SW_jjP12ihipStream_tbEUlT_E1_NS1_11comp_targetILNS1_3genE0ELNS1_11target_archE4294967295ELNS1_3gpuE0ELNS1_3repE0EEENS1_59segmented_radix_sort_warp_sort_small_config_static_selectorELNS0_4arch9wavefront6targetE0EEEvSK_.num_named_barrier, 0
	.set _ZN7rocprim17ROCPRIM_400000_NS6detail17trampoline_kernelINS0_14default_configENS1_36segmented_radix_sort_config_selectorIflEEZNS1_25segmented_radix_sort_implIS3_Lb1EPKfPfPKlPlN2at6native12_GLOBAL__N_18offset_tEEE10hipError_tPvRmT1_PNSt15iterator_traitsISK_E10value_typeET2_T3_PNSL_ISQ_E10value_typeET4_jRbjT5_SW_jjP12ihipStream_tbEUlT_E1_NS1_11comp_targetILNS1_3genE0ELNS1_11target_archE4294967295ELNS1_3gpuE0ELNS1_3repE0EEENS1_59segmented_radix_sort_warp_sort_small_config_static_selectorELNS0_4arch9wavefront6targetE0EEEvSK_.private_seg_size, 0
	.set _ZN7rocprim17ROCPRIM_400000_NS6detail17trampoline_kernelINS0_14default_configENS1_36segmented_radix_sort_config_selectorIflEEZNS1_25segmented_radix_sort_implIS3_Lb1EPKfPfPKlPlN2at6native12_GLOBAL__N_18offset_tEEE10hipError_tPvRmT1_PNSt15iterator_traitsISK_E10value_typeET2_T3_PNSL_ISQ_E10value_typeET4_jRbjT5_SW_jjP12ihipStream_tbEUlT_E1_NS1_11comp_targetILNS1_3genE0ELNS1_11target_archE4294967295ELNS1_3gpuE0ELNS1_3repE0EEENS1_59segmented_radix_sort_warp_sort_small_config_static_selectorELNS0_4arch9wavefront6targetE0EEEvSK_.uses_vcc, 0
	.set _ZN7rocprim17ROCPRIM_400000_NS6detail17trampoline_kernelINS0_14default_configENS1_36segmented_radix_sort_config_selectorIflEEZNS1_25segmented_radix_sort_implIS3_Lb1EPKfPfPKlPlN2at6native12_GLOBAL__N_18offset_tEEE10hipError_tPvRmT1_PNSt15iterator_traitsISK_E10value_typeET2_T3_PNSL_ISQ_E10value_typeET4_jRbjT5_SW_jjP12ihipStream_tbEUlT_E1_NS1_11comp_targetILNS1_3genE0ELNS1_11target_archE4294967295ELNS1_3gpuE0ELNS1_3repE0EEENS1_59segmented_radix_sort_warp_sort_small_config_static_selectorELNS0_4arch9wavefront6targetE0EEEvSK_.uses_flat_scratch, 0
	.set _ZN7rocprim17ROCPRIM_400000_NS6detail17trampoline_kernelINS0_14default_configENS1_36segmented_radix_sort_config_selectorIflEEZNS1_25segmented_radix_sort_implIS3_Lb1EPKfPfPKlPlN2at6native12_GLOBAL__N_18offset_tEEE10hipError_tPvRmT1_PNSt15iterator_traitsISK_E10value_typeET2_T3_PNSL_ISQ_E10value_typeET4_jRbjT5_SW_jjP12ihipStream_tbEUlT_E1_NS1_11comp_targetILNS1_3genE0ELNS1_11target_archE4294967295ELNS1_3gpuE0ELNS1_3repE0EEENS1_59segmented_radix_sort_warp_sort_small_config_static_selectorELNS0_4arch9wavefront6targetE0EEEvSK_.has_dyn_sized_stack, 0
	.set _ZN7rocprim17ROCPRIM_400000_NS6detail17trampoline_kernelINS0_14default_configENS1_36segmented_radix_sort_config_selectorIflEEZNS1_25segmented_radix_sort_implIS3_Lb1EPKfPfPKlPlN2at6native12_GLOBAL__N_18offset_tEEE10hipError_tPvRmT1_PNSt15iterator_traitsISK_E10value_typeET2_T3_PNSL_ISQ_E10value_typeET4_jRbjT5_SW_jjP12ihipStream_tbEUlT_E1_NS1_11comp_targetILNS1_3genE0ELNS1_11target_archE4294967295ELNS1_3gpuE0ELNS1_3repE0EEENS1_59segmented_radix_sort_warp_sort_small_config_static_selectorELNS0_4arch9wavefront6targetE0EEEvSK_.has_recursion, 0
	.set _ZN7rocprim17ROCPRIM_400000_NS6detail17trampoline_kernelINS0_14default_configENS1_36segmented_radix_sort_config_selectorIflEEZNS1_25segmented_radix_sort_implIS3_Lb1EPKfPfPKlPlN2at6native12_GLOBAL__N_18offset_tEEE10hipError_tPvRmT1_PNSt15iterator_traitsISK_E10value_typeET2_T3_PNSL_ISQ_E10value_typeET4_jRbjT5_SW_jjP12ihipStream_tbEUlT_E1_NS1_11comp_targetILNS1_3genE0ELNS1_11target_archE4294967295ELNS1_3gpuE0ELNS1_3repE0EEENS1_59segmented_radix_sort_warp_sort_small_config_static_selectorELNS0_4arch9wavefront6targetE0EEEvSK_.has_indirect_call, 0
	.section	.AMDGPU.csdata,"",@progbits
; Kernel info:
; codeLenInByte = 0
; TotalNumSgprs: 0
; NumVgprs: 0
; ScratchSize: 0
; MemoryBound: 0
; FloatMode: 240
; IeeeMode: 1
; LDSByteSize: 0 bytes/workgroup (compile time only)
; SGPRBlocks: 0
; VGPRBlocks: 0
; NumSGPRsForWavesPerEU: 1
; NumVGPRsForWavesPerEU: 1
; Occupancy: 16
; WaveLimiterHint : 0
; COMPUTE_PGM_RSRC2:SCRATCH_EN: 0
; COMPUTE_PGM_RSRC2:USER_SGPR: 2
; COMPUTE_PGM_RSRC2:TRAP_HANDLER: 0
; COMPUTE_PGM_RSRC2:TGID_X_EN: 1
; COMPUTE_PGM_RSRC2:TGID_Y_EN: 0
; COMPUTE_PGM_RSRC2:TGID_Z_EN: 0
; COMPUTE_PGM_RSRC2:TIDIG_COMP_CNT: 0
	.section	.text._ZN7rocprim17ROCPRIM_400000_NS6detail17trampoline_kernelINS0_14default_configENS1_36segmented_radix_sort_config_selectorIflEEZNS1_25segmented_radix_sort_implIS3_Lb1EPKfPfPKlPlN2at6native12_GLOBAL__N_18offset_tEEE10hipError_tPvRmT1_PNSt15iterator_traitsISK_E10value_typeET2_T3_PNSL_ISQ_E10value_typeET4_jRbjT5_SW_jjP12ihipStream_tbEUlT_E1_NS1_11comp_targetILNS1_3genE5ELNS1_11target_archE942ELNS1_3gpuE9ELNS1_3repE0EEENS1_59segmented_radix_sort_warp_sort_small_config_static_selectorELNS0_4arch9wavefront6targetE0EEEvSK_,"axG",@progbits,_ZN7rocprim17ROCPRIM_400000_NS6detail17trampoline_kernelINS0_14default_configENS1_36segmented_radix_sort_config_selectorIflEEZNS1_25segmented_radix_sort_implIS3_Lb1EPKfPfPKlPlN2at6native12_GLOBAL__N_18offset_tEEE10hipError_tPvRmT1_PNSt15iterator_traitsISK_E10value_typeET2_T3_PNSL_ISQ_E10value_typeET4_jRbjT5_SW_jjP12ihipStream_tbEUlT_E1_NS1_11comp_targetILNS1_3genE5ELNS1_11target_archE942ELNS1_3gpuE9ELNS1_3repE0EEENS1_59segmented_radix_sort_warp_sort_small_config_static_selectorELNS0_4arch9wavefront6targetE0EEEvSK_,comdat
	.globl	_ZN7rocprim17ROCPRIM_400000_NS6detail17trampoline_kernelINS0_14default_configENS1_36segmented_radix_sort_config_selectorIflEEZNS1_25segmented_radix_sort_implIS3_Lb1EPKfPfPKlPlN2at6native12_GLOBAL__N_18offset_tEEE10hipError_tPvRmT1_PNSt15iterator_traitsISK_E10value_typeET2_T3_PNSL_ISQ_E10value_typeET4_jRbjT5_SW_jjP12ihipStream_tbEUlT_E1_NS1_11comp_targetILNS1_3genE5ELNS1_11target_archE942ELNS1_3gpuE9ELNS1_3repE0EEENS1_59segmented_radix_sort_warp_sort_small_config_static_selectorELNS0_4arch9wavefront6targetE0EEEvSK_ ; -- Begin function _ZN7rocprim17ROCPRIM_400000_NS6detail17trampoline_kernelINS0_14default_configENS1_36segmented_radix_sort_config_selectorIflEEZNS1_25segmented_radix_sort_implIS3_Lb1EPKfPfPKlPlN2at6native12_GLOBAL__N_18offset_tEEE10hipError_tPvRmT1_PNSt15iterator_traitsISK_E10value_typeET2_T3_PNSL_ISQ_E10value_typeET4_jRbjT5_SW_jjP12ihipStream_tbEUlT_E1_NS1_11comp_targetILNS1_3genE5ELNS1_11target_archE942ELNS1_3gpuE9ELNS1_3repE0EEENS1_59segmented_radix_sort_warp_sort_small_config_static_selectorELNS0_4arch9wavefront6targetE0EEEvSK_
	.p2align	8
	.type	_ZN7rocprim17ROCPRIM_400000_NS6detail17trampoline_kernelINS0_14default_configENS1_36segmented_radix_sort_config_selectorIflEEZNS1_25segmented_radix_sort_implIS3_Lb1EPKfPfPKlPlN2at6native12_GLOBAL__N_18offset_tEEE10hipError_tPvRmT1_PNSt15iterator_traitsISK_E10value_typeET2_T3_PNSL_ISQ_E10value_typeET4_jRbjT5_SW_jjP12ihipStream_tbEUlT_E1_NS1_11comp_targetILNS1_3genE5ELNS1_11target_archE942ELNS1_3gpuE9ELNS1_3repE0EEENS1_59segmented_radix_sort_warp_sort_small_config_static_selectorELNS0_4arch9wavefront6targetE0EEEvSK_,@function
_ZN7rocprim17ROCPRIM_400000_NS6detail17trampoline_kernelINS0_14default_configENS1_36segmented_radix_sort_config_selectorIflEEZNS1_25segmented_radix_sort_implIS3_Lb1EPKfPfPKlPlN2at6native12_GLOBAL__N_18offset_tEEE10hipError_tPvRmT1_PNSt15iterator_traitsISK_E10value_typeET2_T3_PNSL_ISQ_E10value_typeET4_jRbjT5_SW_jjP12ihipStream_tbEUlT_E1_NS1_11comp_targetILNS1_3genE5ELNS1_11target_archE942ELNS1_3gpuE9ELNS1_3repE0EEENS1_59segmented_radix_sort_warp_sort_small_config_static_selectorELNS0_4arch9wavefront6targetE0EEEvSK_: ; @_ZN7rocprim17ROCPRIM_400000_NS6detail17trampoline_kernelINS0_14default_configENS1_36segmented_radix_sort_config_selectorIflEEZNS1_25segmented_radix_sort_implIS3_Lb1EPKfPfPKlPlN2at6native12_GLOBAL__N_18offset_tEEE10hipError_tPvRmT1_PNSt15iterator_traitsISK_E10value_typeET2_T3_PNSL_ISQ_E10value_typeET4_jRbjT5_SW_jjP12ihipStream_tbEUlT_E1_NS1_11comp_targetILNS1_3genE5ELNS1_11target_archE942ELNS1_3gpuE9ELNS1_3repE0EEENS1_59segmented_radix_sort_warp_sort_small_config_static_selectorELNS0_4arch9wavefront6targetE0EEEvSK_
; %bb.0:
	.section	.rodata,"a",@progbits
	.p2align	6, 0x0
	.amdhsa_kernel _ZN7rocprim17ROCPRIM_400000_NS6detail17trampoline_kernelINS0_14default_configENS1_36segmented_radix_sort_config_selectorIflEEZNS1_25segmented_radix_sort_implIS3_Lb1EPKfPfPKlPlN2at6native12_GLOBAL__N_18offset_tEEE10hipError_tPvRmT1_PNSt15iterator_traitsISK_E10value_typeET2_T3_PNSL_ISQ_E10value_typeET4_jRbjT5_SW_jjP12ihipStream_tbEUlT_E1_NS1_11comp_targetILNS1_3genE5ELNS1_11target_archE942ELNS1_3gpuE9ELNS1_3repE0EEENS1_59segmented_radix_sort_warp_sort_small_config_static_selectorELNS0_4arch9wavefront6targetE0EEEvSK_
		.amdhsa_group_segment_fixed_size 0
		.amdhsa_private_segment_fixed_size 0
		.amdhsa_kernarg_size 88
		.amdhsa_user_sgpr_count 2
		.amdhsa_user_sgpr_dispatch_ptr 0
		.amdhsa_user_sgpr_queue_ptr 0
		.amdhsa_user_sgpr_kernarg_segment_ptr 1
		.amdhsa_user_sgpr_dispatch_id 0
		.amdhsa_user_sgpr_private_segment_size 0
		.amdhsa_wavefront_size32 1
		.amdhsa_uses_dynamic_stack 0
		.amdhsa_enable_private_segment 0
		.amdhsa_system_sgpr_workgroup_id_x 1
		.amdhsa_system_sgpr_workgroup_id_y 0
		.amdhsa_system_sgpr_workgroup_id_z 0
		.amdhsa_system_sgpr_workgroup_info 0
		.amdhsa_system_vgpr_workitem_id 0
		.amdhsa_next_free_vgpr 1
		.amdhsa_next_free_sgpr 1
		.amdhsa_reserve_vcc 0
		.amdhsa_float_round_mode_32 0
		.amdhsa_float_round_mode_16_64 0
		.amdhsa_float_denorm_mode_32 3
		.amdhsa_float_denorm_mode_16_64 3
		.amdhsa_fp16_overflow 0
		.amdhsa_workgroup_processor_mode 1
		.amdhsa_memory_ordered 1
		.amdhsa_forward_progress 1
		.amdhsa_inst_pref_size 0
		.amdhsa_round_robin_scheduling 0
		.amdhsa_exception_fp_ieee_invalid_op 0
		.amdhsa_exception_fp_denorm_src 0
		.amdhsa_exception_fp_ieee_div_zero 0
		.amdhsa_exception_fp_ieee_overflow 0
		.amdhsa_exception_fp_ieee_underflow 0
		.amdhsa_exception_fp_ieee_inexact 0
		.amdhsa_exception_int_div_zero 0
	.end_amdhsa_kernel
	.section	.text._ZN7rocprim17ROCPRIM_400000_NS6detail17trampoline_kernelINS0_14default_configENS1_36segmented_radix_sort_config_selectorIflEEZNS1_25segmented_radix_sort_implIS3_Lb1EPKfPfPKlPlN2at6native12_GLOBAL__N_18offset_tEEE10hipError_tPvRmT1_PNSt15iterator_traitsISK_E10value_typeET2_T3_PNSL_ISQ_E10value_typeET4_jRbjT5_SW_jjP12ihipStream_tbEUlT_E1_NS1_11comp_targetILNS1_3genE5ELNS1_11target_archE942ELNS1_3gpuE9ELNS1_3repE0EEENS1_59segmented_radix_sort_warp_sort_small_config_static_selectorELNS0_4arch9wavefront6targetE0EEEvSK_,"axG",@progbits,_ZN7rocprim17ROCPRIM_400000_NS6detail17trampoline_kernelINS0_14default_configENS1_36segmented_radix_sort_config_selectorIflEEZNS1_25segmented_radix_sort_implIS3_Lb1EPKfPfPKlPlN2at6native12_GLOBAL__N_18offset_tEEE10hipError_tPvRmT1_PNSt15iterator_traitsISK_E10value_typeET2_T3_PNSL_ISQ_E10value_typeET4_jRbjT5_SW_jjP12ihipStream_tbEUlT_E1_NS1_11comp_targetILNS1_3genE5ELNS1_11target_archE942ELNS1_3gpuE9ELNS1_3repE0EEENS1_59segmented_radix_sort_warp_sort_small_config_static_selectorELNS0_4arch9wavefront6targetE0EEEvSK_,comdat
.Lfunc_end1346:
	.size	_ZN7rocprim17ROCPRIM_400000_NS6detail17trampoline_kernelINS0_14default_configENS1_36segmented_radix_sort_config_selectorIflEEZNS1_25segmented_radix_sort_implIS3_Lb1EPKfPfPKlPlN2at6native12_GLOBAL__N_18offset_tEEE10hipError_tPvRmT1_PNSt15iterator_traitsISK_E10value_typeET2_T3_PNSL_ISQ_E10value_typeET4_jRbjT5_SW_jjP12ihipStream_tbEUlT_E1_NS1_11comp_targetILNS1_3genE5ELNS1_11target_archE942ELNS1_3gpuE9ELNS1_3repE0EEENS1_59segmented_radix_sort_warp_sort_small_config_static_selectorELNS0_4arch9wavefront6targetE0EEEvSK_, .Lfunc_end1346-_ZN7rocprim17ROCPRIM_400000_NS6detail17trampoline_kernelINS0_14default_configENS1_36segmented_radix_sort_config_selectorIflEEZNS1_25segmented_radix_sort_implIS3_Lb1EPKfPfPKlPlN2at6native12_GLOBAL__N_18offset_tEEE10hipError_tPvRmT1_PNSt15iterator_traitsISK_E10value_typeET2_T3_PNSL_ISQ_E10value_typeET4_jRbjT5_SW_jjP12ihipStream_tbEUlT_E1_NS1_11comp_targetILNS1_3genE5ELNS1_11target_archE942ELNS1_3gpuE9ELNS1_3repE0EEENS1_59segmented_radix_sort_warp_sort_small_config_static_selectorELNS0_4arch9wavefront6targetE0EEEvSK_
                                        ; -- End function
	.set _ZN7rocprim17ROCPRIM_400000_NS6detail17trampoline_kernelINS0_14default_configENS1_36segmented_radix_sort_config_selectorIflEEZNS1_25segmented_radix_sort_implIS3_Lb1EPKfPfPKlPlN2at6native12_GLOBAL__N_18offset_tEEE10hipError_tPvRmT1_PNSt15iterator_traitsISK_E10value_typeET2_T3_PNSL_ISQ_E10value_typeET4_jRbjT5_SW_jjP12ihipStream_tbEUlT_E1_NS1_11comp_targetILNS1_3genE5ELNS1_11target_archE942ELNS1_3gpuE9ELNS1_3repE0EEENS1_59segmented_radix_sort_warp_sort_small_config_static_selectorELNS0_4arch9wavefront6targetE0EEEvSK_.num_vgpr, 0
	.set _ZN7rocprim17ROCPRIM_400000_NS6detail17trampoline_kernelINS0_14default_configENS1_36segmented_radix_sort_config_selectorIflEEZNS1_25segmented_radix_sort_implIS3_Lb1EPKfPfPKlPlN2at6native12_GLOBAL__N_18offset_tEEE10hipError_tPvRmT1_PNSt15iterator_traitsISK_E10value_typeET2_T3_PNSL_ISQ_E10value_typeET4_jRbjT5_SW_jjP12ihipStream_tbEUlT_E1_NS1_11comp_targetILNS1_3genE5ELNS1_11target_archE942ELNS1_3gpuE9ELNS1_3repE0EEENS1_59segmented_radix_sort_warp_sort_small_config_static_selectorELNS0_4arch9wavefront6targetE0EEEvSK_.num_agpr, 0
	.set _ZN7rocprim17ROCPRIM_400000_NS6detail17trampoline_kernelINS0_14default_configENS1_36segmented_radix_sort_config_selectorIflEEZNS1_25segmented_radix_sort_implIS3_Lb1EPKfPfPKlPlN2at6native12_GLOBAL__N_18offset_tEEE10hipError_tPvRmT1_PNSt15iterator_traitsISK_E10value_typeET2_T3_PNSL_ISQ_E10value_typeET4_jRbjT5_SW_jjP12ihipStream_tbEUlT_E1_NS1_11comp_targetILNS1_3genE5ELNS1_11target_archE942ELNS1_3gpuE9ELNS1_3repE0EEENS1_59segmented_radix_sort_warp_sort_small_config_static_selectorELNS0_4arch9wavefront6targetE0EEEvSK_.numbered_sgpr, 0
	.set _ZN7rocprim17ROCPRIM_400000_NS6detail17trampoline_kernelINS0_14default_configENS1_36segmented_radix_sort_config_selectorIflEEZNS1_25segmented_radix_sort_implIS3_Lb1EPKfPfPKlPlN2at6native12_GLOBAL__N_18offset_tEEE10hipError_tPvRmT1_PNSt15iterator_traitsISK_E10value_typeET2_T3_PNSL_ISQ_E10value_typeET4_jRbjT5_SW_jjP12ihipStream_tbEUlT_E1_NS1_11comp_targetILNS1_3genE5ELNS1_11target_archE942ELNS1_3gpuE9ELNS1_3repE0EEENS1_59segmented_radix_sort_warp_sort_small_config_static_selectorELNS0_4arch9wavefront6targetE0EEEvSK_.num_named_barrier, 0
	.set _ZN7rocprim17ROCPRIM_400000_NS6detail17trampoline_kernelINS0_14default_configENS1_36segmented_radix_sort_config_selectorIflEEZNS1_25segmented_radix_sort_implIS3_Lb1EPKfPfPKlPlN2at6native12_GLOBAL__N_18offset_tEEE10hipError_tPvRmT1_PNSt15iterator_traitsISK_E10value_typeET2_T3_PNSL_ISQ_E10value_typeET4_jRbjT5_SW_jjP12ihipStream_tbEUlT_E1_NS1_11comp_targetILNS1_3genE5ELNS1_11target_archE942ELNS1_3gpuE9ELNS1_3repE0EEENS1_59segmented_radix_sort_warp_sort_small_config_static_selectorELNS0_4arch9wavefront6targetE0EEEvSK_.private_seg_size, 0
	.set _ZN7rocprim17ROCPRIM_400000_NS6detail17trampoline_kernelINS0_14default_configENS1_36segmented_radix_sort_config_selectorIflEEZNS1_25segmented_radix_sort_implIS3_Lb1EPKfPfPKlPlN2at6native12_GLOBAL__N_18offset_tEEE10hipError_tPvRmT1_PNSt15iterator_traitsISK_E10value_typeET2_T3_PNSL_ISQ_E10value_typeET4_jRbjT5_SW_jjP12ihipStream_tbEUlT_E1_NS1_11comp_targetILNS1_3genE5ELNS1_11target_archE942ELNS1_3gpuE9ELNS1_3repE0EEENS1_59segmented_radix_sort_warp_sort_small_config_static_selectorELNS0_4arch9wavefront6targetE0EEEvSK_.uses_vcc, 0
	.set _ZN7rocprim17ROCPRIM_400000_NS6detail17trampoline_kernelINS0_14default_configENS1_36segmented_radix_sort_config_selectorIflEEZNS1_25segmented_radix_sort_implIS3_Lb1EPKfPfPKlPlN2at6native12_GLOBAL__N_18offset_tEEE10hipError_tPvRmT1_PNSt15iterator_traitsISK_E10value_typeET2_T3_PNSL_ISQ_E10value_typeET4_jRbjT5_SW_jjP12ihipStream_tbEUlT_E1_NS1_11comp_targetILNS1_3genE5ELNS1_11target_archE942ELNS1_3gpuE9ELNS1_3repE0EEENS1_59segmented_radix_sort_warp_sort_small_config_static_selectorELNS0_4arch9wavefront6targetE0EEEvSK_.uses_flat_scratch, 0
	.set _ZN7rocprim17ROCPRIM_400000_NS6detail17trampoline_kernelINS0_14default_configENS1_36segmented_radix_sort_config_selectorIflEEZNS1_25segmented_radix_sort_implIS3_Lb1EPKfPfPKlPlN2at6native12_GLOBAL__N_18offset_tEEE10hipError_tPvRmT1_PNSt15iterator_traitsISK_E10value_typeET2_T3_PNSL_ISQ_E10value_typeET4_jRbjT5_SW_jjP12ihipStream_tbEUlT_E1_NS1_11comp_targetILNS1_3genE5ELNS1_11target_archE942ELNS1_3gpuE9ELNS1_3repE0EEENS1_59segmented_radix_sort_warp_sort_small_config_static_selectorELNS0_4arch9wavefront6targetE0EEEvSK_.has_dyn_sized_stack, 0
	.set _ZN7rocprim17ROCPRIM_400000_NS6detail17trampoline_kernelINS0_14default_configENS1_36segmented_radix_sort_config_selectorIflEEZNS1_25segmented_radix_sort_implIS3_Lb1EPKfPfPKlPlN2at6native12_GLOBAL__N_18offset_tEEE10hipError_tPvRmT1_PNSt15iterator_traitsISK_E10value_typeET2_T3_PNSL_ISQ_E10value_typeET4_jRbjT5_SW_jjP12ihipStream_tbEUlT_E1_NS1_11comp_targetILNS1_3genE5ELNS1_11target_archE942ELNS1_3gpuE9ELNS1_3repE0EEENS1_59segmented_radix_sort_warp_sort_small_config_static_selectorELNS0_4arch9wavefront6targetE0EEEvSK_.has_recursion, 0
	.set _ZN7rocprim17ROCPRIM_400000_NS6detail17trampoline_kernelINS0_14default_configENS1_36segmented_radix_sort_config_selectorIflEEZNS1_25segmented_radix_sort_implIS3_Lb1EPKfPfPKlPlN2at6native12_GLOBAL__N_18offset_tEEE10hipError_tPvRmT1_PNSt15iterator_traitsISK_E10value_typeET2_T3_PNSL_ISQ_E10value_typeET4_jRbjT5_SW_jjP12ihipStream_tbEUlT_E1_NS1_11comp_targetILNS1_3genE5ELNS1_11target_archE942ELNS1_3gpuE9ELNS1_3repE0EEENS1_59segmented_radix_sort_warp_sort_small_config_static_selectorELNS0_4arch9wavefront6targetE0EEEvSK_.has_indirect_call, 0
	.section	.AMDGPU.csdata,"",@progbits
; Kernel info:
; codeLenInByte = 0
; TotalNumSgprs: 0
; NumVgprs: 0
; ScratchSize: 0
; MemoryBound: 0
; FloatMode: 240
; IeeeMode: 1
; LDSByteSize: 0 bytes/workgroup (compile time only)
; SGPRBlocks: 0
; VGPRBlocks: 0
; NumSGPRsForWavesPerEU: 1
; NumVGPRsForWavesPerEU: 1
; Occupancy: 16
; WaveLimiterHint : 0
; COMPUTE_PGM_RSRC2:SCRATCH_EN: 0
; COMPUTE_PGM_RSRC2:USER_SGPR: 2
; COMPUTE_PGM_RSRC2:TRAP_HANDLER: 0
; COMPUTE_PGM_RSRC2:TGID_X_EN: 1
; COMPUTE_PGM_RSRC2:TGID_Y_EN: 0
; COMPUTE_PGM_RSRC2:TGID_Z_EN: 0
; COMPUTE_PGM_RSRC2:TIDIG_COMP_CNT: 0
	.section	.text._ZN7rocprim17ROCPRIM_400000_NS6detail17trampoline_kernelINS0_14default_configENS1_36segmented_radix_sort_config_selectorIflEEZNS1_25segmented_radix_sort_implIS3_Lb1EPKfPfPKlPlN2at6native12_GLOBAL__N_18offset_tEEE10hipError_tPvRmT1_PNSt15iterator_traitsISK_E10value_typeET2_T3_PNSL_ISQ_E10value_typeET4_jRbjT5_SW_jjP12ihipStream_tbEUlT_E1_NS1_11comp_targetILNS1_3genE4ELNS1_11target_archE910ELNS1_3gpuE8ELNS1_3repE0EEENS1_59segmented_radix_sort_warp_sort_small_config_static_selectorELNS0_4arch9wavefront6targetE0EEEvSK_,"axG",@progbits,_ZN7rocprim17ROCPRIM_400000_NS6detail17trampoline_kernelINS0_14default_configENS1_36segmented_radix_sort_config_selectorIflEEZNS1_25segmented_radix_sort_implIS3_Lb1EPKfPfPKlPlN2at6native12_GLOBAL__N_18offset_tEEE10hipError_tPvRmT1_PNSt15iterator_traitsISK_E10value_typeET2_T3_PNSL_ISQ_E10value_typeET4_jRbjT5_SW_jjP12ihipStream_tbEUlT_E1_NS1_11comp_targetILNS1_3genE4ELNS1_11target_archE910ELNS1_3gpuE8ELNS1_3repE0EEENS1_59segmented_radix_sort_warp_sort_small_config_static_selectorELNS0_4arch9wavefront6targetE0EEEvSK_,comdat
	.globl	_ZN7rocprim17ROCPRIM_400000_NS6detail17trampoline_kernelINS0_14default_configENS1_36segmented_radix_sort_config_selectorIflEEZNS1_25segmented_radix_sort_implIS3_Lb1EPKfPfPKlPlN2at6native12_GLOBAL__N_18offset_tEEE10hipError_tPvRmT1_PNSt15iterator_traitsISK_E10value_typeET2_T3_PNSL_ISQ_E10value_typeET4_jRbjT5_SW_jjP12ihipStream_tbEUlT_E1_NS1_11comp_targetILNS1_3genE4ELNS1_11target_archE910ELNS1_3gpuE8ELNS1_3repE0EEENS1_59segmented_radix_sort_warp_sort_small_config_static_selectorELNS0_4arch9wavefront6targetE0EEEvSK_ ; -- Begin function _ZN7rocprim17ROCPRIM_400000_NS6detail17trampoline_kernelINS0_14default_configENS1_36segmented_radix_sort_config_selectorIflEEZNS1_25segmented_radix_sort_implIS3_Lb1EPKfPfPKlPlN2at6native12_GLOBAL__N_18offset_tEEE10hipError_tPvRmT1_PNSt15iterator_traitsISK_E10value_typeET2_T3_PNSL_ISQ_E10value_typeET4_jRbjT5_SW_jjP12ihipStream_tbEUlT_E1_NS1_11comp_targetILNS1_3genE4ELNS1_11target_archE910ELNS1_3gpuE8ELNS1_3repE0EEENS1_59segmented_radix_sort_warp_sort_small_config_static_selectorELNS0_4arch9wavefront6targetE0EEEvSK_
	.p2align	8
	.type	_ZN7rocprim17ROCPRIM_400000_NS6detail17trampoline_kernelINS0_14default_configENS1_36segmented_radix_sort_config_selectorIflEEZNS1_25segmented_radix_sort_implIS3_Lb1EPKfPfPKlPlN2at6native12_GLOBAL__N_18offset_tEEE10hipError_tPvRmT1_PNSt15iterator_traitsISK_E10value_typeET2_T3_PNSL_ISQ_E10value_typeET4_jRbjT5_SW_jjP12ihipStream_tbEUlT_E1_NS1_11comp_targetILNS1_3genE4ELNS1_11target_archE910ELNS1_3gpuE8ELNS1_3repE0EEENS1_59segmented_radix_sort_warp_sort_small_config_static_selectorELNS0_4arch9wavefront6targetE0EEEvSK_,@function
_ZN7rocprim17ROCPRIM_400000_NS6detail17trampoline_kernelINS0_14default_configENS1_36segmented_radix_sort_config_selectorIflEEZNS1_25segmented_radix_sort_implIS3_Lb1EPKfPfPKlPlN2at6native12_GLOBAL__N_18offset_tEEE10hipError_tPvRmT1_PNSt15iterator_traitsISK_E10value_typeET2_T3_PNSL_ISQ_E10value_typeET4_jRbjT5_SW_jjP12ihipStream_tbEUlT_E1_NS1_11comp_targetILNS1_3genE4ELNS1_11target_archE910ELNS1_3gpuE8ELNS1_3repE0EEENS1_59segmented_radix_sort_warp_sort_small_config_static_selectorELNS0_4arch9wavefront6targetE0EEEvSK_: ; @_ZN7rocprim17ROCPRIM_400000_NS6detail17trampoline_kernelINS0_14default_configENS1_36segmented_radix_sort_config_selectorIflEEZNS1_25segmented_radix_sort_implIS3_Lb1EPKfPfPKlPlN2at6native12_GLOBAL__N_18offset_tEEE10hipError_tPvRmT1_PNSt15iterator_traitsISK_E10value_typeET2_T3_PNSL_ISQ_E10value_typeET4_jRbjT5_SW_jjP12ihipStream_tbEUlT_E1_NS1_11comp_targetILNS1_3genE4ELNS1_11target_archE910ELNS1_3gpuE8ELNS1_3repE0EEENS1_59segmented_radix_sort_warp_sort_small_config_static_selectorELNS0_4arch9wavefront6targetE0EEEvSK_
; %bb.0:
	.section	.rodata,"a",@progbits
	.p2align	6, 0x0
	.amdhsa_kernel _ZN7rocprim17ROCPRIM_400000_NS6detail17trampoline_kernelINS0_14default_configENS1_36segmented_radix_sort_config_selectorIflEEZNS1_25segmented_radix_sort_implIS3_Lb1EPKfPfPKlPlN2at6native12_GLOBAL__N_18offset_tEEE10hipError_tPvRmT1_PNSt15iterator_traitsISK_E10value_typeET2_T3_PNSL_ISQ_E10value_typeET4_jRbjT5_SW_jjP12ihipStream_tbEUlT_E1_NS1_11comp_targetILNS1_3genE4ELNS1_11target_archE910ELNS1_3gpuE8ELNS1_3repE0EEENS1_59segmented_radix_sort_warp_sort_small_config_static_selectorELNS0_4arch9wavefront6targetE0EEEvSK_
		.amdhsa_group_segment_fixed_size 0
		.amdhsa_private_segment_fixed_size 0
		.amdhsa_kernarg_size 88
		.amdhsa_user_sgpr_count 2
		.amdhsa_user_sgpr_dispatch_ptr 0
		.amdhsa_user_sgpr_queue_ptr 0
		.amdhsa_user_sgpr_kernarg_segment_ptr 1
		.amdhsa_user_sgpr_dispatch_id 0
		.amdhsa_user_sgpr_private_segment_size 0
		.amdhsa_wavefront_size32 1
		.amdhsa_uses_dynamic_stack 0
		.amdhsa_enable_private_segment 0
		.amdhsa_system_sgpr_workgroup_id_x 1
		.amdhsa_system_sgpr_workgroup_id_y 0
		.amdhsa_system_sgpr_workgroup_id_z 0
		.amdhsa_system_sgpr_workgroup_info 0
		.amdhsa_system_vgpr_workitem_id 0
		.amdhsa_next_free_vgpr 1
		.amdhsa_next_free_sgpr 1
		.amdhsa_reserve_vcc 0
		.amdhsa_float_round_mode_32 0
		.amdhsa_float_round_mode_16_64 0
		.amdhsa_float_denorm_mode_32 3
		.amdhsa_float_denorm_mode_16_64 3
		.amdhsa_fp16_overflow 0
		.amdhsa_workgroup_processor_mode 1
		.amdhsa_memory_ordered 1
		.amdhsa_forward_progress 1
		.amdhsa_inst_pref_size 0
		.amdhsa_round_robin_scheduling 0
		.amdhsa_exception_fp_ieee_invalid_op 0
		.amdhsa_exception_fp_denorm_src 0
		.amdhsa_exception_fp_ieee_div_zero 0
		.amdhsa_exception_fp_ieee_overflow 0
		.amdhsa_exception_fp_ieee_underflow 0
		.amdhsa_exception_fp_ieee_inexact 0
		.amdhsa_exception_int_div_zero 0
	.end_amdhsa_kernel
	.section	.text._ZN7rocprim17ROCPRIM_400000_NS6detail17trampoline_kernelINS0_14default_configENS1_36segmented_radix_sort_config_selectorIflEEZNS1_25segmented_radix_sort_implIS3_Lb1EPKfPfPKlPlN2at6native12_GLOBAL__N_18offset_tEEE10hipError_tPvRmT1_PNSt15iterator_traitsISK_E10value_typeET2_T3_PNSL_ISQ_E10value_typeET4_jRbjT5_SW_jjP12ihipStream_tbEUlT_E1_NS1_11comp_targetILNS1_3genE4ELNS1_11target_archE910ELNS1_3gpuE8ELNS1_3repE0EEENS1_59segmented_radix_sort_warp_sort_small_config_static_selectorELNS0_4arch9wavefront6targetE0EEEvSK_,"axG",@progbits,_ZN7rocprim17ROCPRIM_400000_NS6detail17trampoline_kernelINS0_14default_configENS1_36segmented_radix_sort_config_selectorIflEEZNS1_25segmented_radix_sort_implIS3_Lb1EPKfPfPKlPlN2at6native12_GLOBAL__N_18offset_tEEE10hipError_tPvRmT1_PNSt15iterator_traitsISK_E10value_typeET2_T3_PNSL_ISQ_E10value_typeET4_jRbjT5_SW_jjP12ihipStream_tbEUlT_E1_NS1_11comp_targetILNS1_3genE4ELNS1_11target_archE910ELNS1_3gpuE8ELNS1_3repE0EEENS1_59segmented_radix_sort_warp_sort_small_config_static_selectorELNS0_4arch9wavefront6targetE0EEEvSK_,comdat
.Lfunc_end1347:
	.size	_ZN7rocprim17ROCPRIM_400000_NS6detail17trampoline_kernelINS0_14default_configENS1_36segmented_radix_sort_config_selectorIflEEZNS1_25segmented_radix_sort_implIS3_Lb1EPKfPfPKlPlN2at6native12_GLOBAL__N_18offset_tEEE10hipError_tPvRmT1_PNSt15iterator_traitsISK_E10value_typeET2_T3_PNSL_ISQ_E10value_typeET4_jRbjT5_SW_jjP12ihipStream_tbEUlT_E1_NS1_11comp_targetILNS1_3genE4ELNS1_11target_archE910ELNS1_3gpuE8ELNS1_3repE0EEENS1_59segmented_radix_sort_warp_sort_small_config_static_selectorELNS0_4arch9wavefront6targetE0EEEvSK_, .Lfunc_end1347-_ZN7rocprim17ROCPRIM_400000_NS6detail17trampoline_kernelINS0_14default_configENS1_36segmented_radix_sort_config_selectorIflEEZNS1_25segmented_radix_sort_implIS3_Lb1EPKfPfPKlPlN2at6native12_GLOBAL__N_18offset_tEEE10hipError_tPvRmT1_PNSt15iterator_traitsISK_E10value_typeET2_T3_PNSL_ISQ_E10value_typeET4_jRbjT5_SW_jjP12ihipStream_tbEUlT_E1_NS1_11comp_targetILNS1_3genE4ELNS1_11target_archE910ELNS1_3gpuE8ELNS1_3repE0EEENS1_59segmented_radix_sort_warp_sort_small_config_static_selectorELNS0_4arch9wavefront6targetE0EEEvSK_
                                        ; -- End function
	.set _ZN7rocprim17ROCPRIM_400000_NS6detail17trampoline_kernelINS0_14default_configENS1_36segmented_radix_sort_config_selectorIflEEZNS1_25segmented_radix_sort_implIS3_Lb1EPKfPfPKlPlN2at6native12_GLOBAL__N_18offset_tEEE10hipError_tPvRmT1_PNSt15iterator_traitsISK_E10value_typeET2_T3_PNSL_ISQ_E10value_typeET4_jRbjT5_SW_jjP12ihipStream_tbEUlT_E1_NS1_11comp_targetILNS1_3genE4ELNS1_11target_archE910ELNS1_3gpuE8ELNS1_3repE0EEENS1_59segmented_radix_sort_warp_sort_small_config_static_selectorELNS0_4arch9wavefront6targetE0EEEvSK_.num_vgpr, 0
	.set _ZN7rocprim17ROCPRIM_400000_NS6detail17trampoline_kernelINS0_14default_configENS1_36segmented_radix_sort_config_selectorIflEEZNS1_25segmented_radix_sort_implIS3_Lb1EPKfPfPKlPlN2at6native12_GLOBAL__N_18offset_tEEE10hipError_tPvRmT1_PNSt15iterator_traitsISK_E10value_typeET2_T3_PNSL_ISQ_E10value_typeET4_jRbjT5_SW_jjP12ihipStream_tbEUlT_E1_NS1_11comp_targetILNS1_3genE4ELNS1_11target_archE910ELNS1_3gpuE8ELNS1_3repE0EEENS1_59segmented_radix_sort_warp_sort_small_config_static_selectorELNS0_4arch9wavefront6targetE0EEEvSK_.num_agpr, 0
	.set _ZN7rocprim17ROCPRIM_400000_NS6detail17trampoline_kernelINS0_14default_configENS1_36segmented_radix_sort_config_selectorIflEEZNS1_25segmented_radix_sort_implIS3_Lb1EPKfPfPKlPlN2at6native12_GLOBAL__N_18offset_tEEE10hipError_tPvRmT1_PNSt15iterator_traitsISK_E10value_typeET2_T3_PNSL_ISQ_E10value_typeET4_jRbjT5_SW_jjP12ihipStream_tbEUlT_E1_NS1_11comp_targetILNS1_3genE4ELNS1_11target_archE910ELNS1_3gpuE8ELNS1_3repE0EEENS1_59segmented_radix_sort_warp_sort_small_config_static_selectorELNS0_4arch9wavefront6targetE0EEEvSK_.numbered_sgpr, 0
	.set _ZN7rocprim17ROCPRIM_400000_NS6detail17trampoline_kernelINS0_14default_configENS1_36segmented_radix_sort_config_selectorIflEEZNS1_25segmented_radix_sort_implIS3_Lb1EPKfPfPKlPlN2at6native12_GLOBAL__N_18offset_tEEE10hipError_tPvRmT1_PNSt15iterator_traitsISK_E10value_typeET2_T3_PNSL_ISQ_E10value_typeET4_jRbjT5_SW_jjP12ihipStream_tbEUlT_E1_NS1_11comp_targetILNS1_3genE4ELNS1_11target_archE910ELNS1_3gpuE8ELNS1_3repE0EEENS1_59segmented_radix_sort_warp_sort_small_config_static_selectorELNS0_4arch9wavefront6targetE0EEEvSK_.num_named_barrier, 0
	.set _ZN7rocprim17ROCPRIM_400000_NS6detail17trampoline_kernelINS0_14default_configENS1_36segmented_radix_sort_config_selectorIflEEZNS1_25segmented_radix_sort_implIS3_Lb1EPKfPfPKlPlN2at6native12_GLOBAL__N_18offset_tEEE10hipError_tPvRmT1_PNSt15iterator_traitsISK_E10value_typeET2_T3_PNSL_ISQ_E10value_typeET4_jRbjT5_SW_jjP12ihipStream_tbEUlT_E1_NS1_11comp_targetILNS1_3genE4ELNS1_11target_archE910ELNS1_3gpuE8ELNS1_3repE0EEENS1_59segmented_radix_sort_warp_sort_small_config_static_selectorELNS0_4arch9wavefront6targetE0EEEvSK_.private_seg_size, 0
	.set _ZN7rocprim17ROCPRIM_400000_NS6detail17trampoline_kernelINS0_14default_configENS1_36segmented_radix_sort_config_selectorIflEEZNS1_25segmented_radix_sort_implIS3_Lb1EPKfPfPKlPlN2at6native12_GLOBAL__N_18offset_tEEE10hipError_tPvRmT1_PNSt15iterator_traitsISK_E10value_typeET2_T3_PNSL_ISQ_E10value_typeET4_jRbjT5_SW_jjP12ihipStream_tbEUlT_E1_NS1_11comp_targetILNS1_3genE4ELNS1_11target_archE910ELNS1_3gpuE8ELNS1_3repE0EEENS1_59segmented_radix_sort_warp_sort_small_config_static_selectorELNS0_4arch9wavefront6targetE0EEEvSK_.uses_vcc, 0
	.set _ZN7rocprim17ROCPRIM_400000_NS6detail17trampoline_kernelINS0_14default_configENS1_36segmented_radix_sort_config_selectorIflEEZNS1_25segmented_radix_sort_implIS3_Lb1EPKfPfPKlPlN2at6native12_GLOBAL__N_18offset_tEEE10hipError_tPvRmT1_PNSt15iterator_traitsISK_E10value_typeET2_T3_PNSL_ISQ_E10value_typeET4_jRbjT5_SW_jjP12ihipStream_tbEUlT_E1_NS1_11comp_targetILNS1_3genE4ELNS1_11target_archE910ELNS1_3gpuE8ELNS1_3repE0EEENS1_59segmented_radix_sort_warp_sort_small_config_static_selectorELNS0_4arch9wavefront6targetE0EEEvSK_.uses_flat_scratch, 0
	.set _ZN7rocprim17ROCPRIM_400000_NS6detail17trampoline_kernelINS0_14default_configENS1_36segmented_radix_sort_config_selectorIflEEZNS1_25segmented_radix_sort_implIS3_Lb1EPKfPfPKlPlN2at6native12_GLOBAL__N_18offset_tEEE10hipError_tPvRmT1_PNSt15iterator_traitsISK_E10value_typeET2_T3_PNSL_ISQ_E10value_typeET4_jRbjT5_SW_jjP12ihipStream_tbEUlT_E1_NS1_11comp_targetILNS1_3genE4ELNS1_11target_archE910ELNS1_3gpuE8ELNS1_3repE0EEENS1_59segmented_radix_sort_warp_sort_small_config_static_selectorELNS0_4arch9wavefront6targetE0EEEvSK_.has_dyn_sized_stack, 0
	.set _ZN7rocprim17ROCPRIM_400000_NS6detail17trampoline_kernelINS0_14default_configENS1_36segmented_radix_sort_config_selectorIflEEZNS1_25segmented_radix_sort_implIS3_Lb1EPKfPfPKlPlN2at6native12_GLOBAL__N_18offset_tEEE10hipError_tPvRmT1_PNSt15iterator_traitsISK_E10value_typeET2_T3_PNSL_ISQ_E10value_typeET4_jRbjT5_SW_jjP12ihipStream_tbEUlT_E1_NS1_11comp_targetILNS1_3genE4ELNS1_11target_archE910ELNS1_3gpuE8ELNS1_3repE0EEENS1_59segmented_radix_sort_warp_sort_small_config_static_selectorELNS0_4arch9wavefront6targetE0EEEvSK_.has_recursion, 0
	.set _ZN7rocprim17ROCPRIM_400000_NS6detail17trampoline_kernelINS0_14default_configENS1_36segmented_radix_sort_config_selectorIflEEZNS1_25segmented_radix_sort_implIS3_Lb1EPKfPfPKlPlN2at6native12_GLOBAL__N_18offset_tEEE10hipError_tPvRmT1_PNSt15iterator_traitsISK_E10value_typeET2_T3_PNSL_ISQ_E10value_typeET4_jRbjT5_SW_jjP12ihipStream_tbEUlT_E1_NS1_11comp_targetILNS1_3genE4ELNS1_11target_archE910ELNS1_3gpuE8ELNS1_3repE0EEENS1_59segmented_radix_sort_warp_sort_small_config_static_selectorELNS0_4arch9wavefront6targetE0EEEvSK_.has_indirect_call, 0
	.section	.AMDGPU.csdata,"",@progbits
; Kernel info:
; codeLenInByte = 0
; TotalNumSgprs: 0
; NumVgprs: 0
; ScratchSize: 0
; MemoryBound: 0
; FloatMode: 240
; IeeeMode: 1
; LDSByteSize: 0 bytes/workgroup (compile time only)
; SGPRBlocks: 0
; VGPRBlocks: 0
; NumSGPRsForWavesPerEU: 1
; NumVGPRsForWavesPerEU: 1
; Occupancy: 16
; WaveLimiterHint : 0
; COMPUTE_PGM_RSRC2:SCRATCH_EN: 0
; COMPUTE_PGM_RSRC2:USER_SGPR: 2
; COMPUTE_PGM_RSRC2:TRAP_HANDLER: 0
; COMPUTE_PGM_RSRC2:TGID_X_EN: 1
; COMPUTE_PGM_RSRC2:TGID_Y_EN: 0
; COMPUTE_PGM_RSRC2:TGID_Z_EN: 0
; COMPUTE_PGM_RSRC2:TIDIG_COMP_CNT: 0
	.section	.text._ZN7rocprim17ROCPRIM_400000_NS6detail17trampoline_kernelINS0_14default_configENS1_36segmented_radix_sort_config_selectorIflEEZNS1_25segmented_radix_sort_implIS3_Lb1EPKfPfPKlPlN2at6native12_GLOBAL__N_18offset_tEEE10hipError_tPvRmT1_PNSt15iterator_traitsISK_E10value_typeET2_T3_PNSL_ISQ_E10value_typeET4_jRbjT5_SW_jjP12ihipStream_tbEUlT_E1_NS1_11comp_targetILNS1_3genE3ELNS1_11target_archE908ELNS1_3gpuE7ELNS1_3repE0EEENS1_59segmented_radix_sort_warp_sort_small_config_static_selectorELNS0_4arch9wavefront6targetE0EEEvSK_,"axG",@progbits,_ZN7rocprim17ROCPRIM_400000_NS6detail17trampoline_kernelINS0_14default_configENS1_36segmented_radix_sort_config_selectorIflEEZNS1_25segmented_radix_sort_implIS3_Lb1EPKfPfPKlPlN2at6native12_GLOBAL__N_18offset_tEEE10hipError_tPvRmT1_PNSt15iterator_traitsISK_E10value_typeET2_T3_PNSL_ISQ_E10value_typeET4_jRbjT5_SW_jjP12ihipStream_tbEUlT_E1_NS1_11comp_targetILNS1_3genE3ELNS1_11target_archE908ELNS1_3gpuE7ELNS1_3repE0EEENS1_59segmented_radix_sort_warp_sort_small_config_static_selectorELNS0_4arch9wavefront6targetE0EEEvSK_,comdat
	.globl	_ZN7rocprim17ROCPRIM_400000_NS6detail17trampoline_kernelINS0_14default_configENS1_36segmented_radix_sort_config_selectorIflEEZNS1_25segmented_radix_sort_implIS3_Lb1EPKfPfPKlPlN2at6native12_GLOBAL__N_18offset_tEEE10hipError_tPvRmT1_PNSt15iterator_traitsISK_E10value_typeET2_T3_PNSL_ISQ_E10value_typeET4_jRbjT5_SW_jjP12ihipStream_tbEUlT_E1_NS1_11comp_targetILNS1_3genE3ELNS1_11target_archE908ELNS1_3gpuE7ELNS1_3repE0EEENS1_59segmented_radix_sort_warp_sort_small_config_static_selectorELNS0_4arch9wavefront6targetE0EEEvSK_ ; -- Begin function _ZN7rocprim17ROCPRIM_400000_NS6detail17trampoline_kernelINS0_14default_configENS1_36segmented_radix_sort_config_selectorIflEEZNS1_25segmented_radix_sort_implIS3_Lb1EPKfPfPKlPlN2at6native12_GLOBAL__N_18offset_tEEE10hipError_tPvRmT1_PNSt15iterator_traitsISK_E10value_typeET2_T3_PNSL_ISQ_E10value_typeET4_jRbjT5_SW_jjP12ihipStream_tbEUlT_E1_NS1_11comp_targetILNS1_3genE3ELNS1_11target_archE908ELNS1_3gpuE7ELNS1_3repE0EEENS1_59segmented_radix_sort_warp_sort_small_config_static_selectorELNS0_4arch9wavefront6targetE0EEEvSK_
	.p2align	8
	.type	_ZN7rocprim17ROCPRIM_400000_NS6detail17trampoline_kernelINS0_14default_configENS1_36segmented_radix_sort_config_selectorIflEEZNS1_25segmented_radix_sort_implIS3_Lb1EPKfPfPKlPlN2at6native12_GLOBAL__N_18offset_tEEE10hipError_tPvRmT1_PNSt15iterator_traitsISK_E10value_typeET2_T3_PNSL_ISQ_E10value_typeET4_jRbjT5_SW_jjP12ihipStream_tbEUlT_E1_NS1_11comp_targetILNS1_3genE3ELNS1_11target_archE908ELNS1_3gpuE7ELNS1_3repE0EEENS1_59segmented_radix_sort_warp_sort_small_config_static_selectorELNS0_4arch9wavefront6targetE0EEEvSK_,@function
_ZN7rocprim17ROCPRIM_400000_NS6detail17trampoline_kernelINS0_14default_configENS1_36segmented_radix_sort_config_selectorIflEEZNS1_25segmented_radix_sort_implIS3_Lb1EPKfPfPKlPlN2at6native12_GLOBAL__N_18offset_tEEE10hipError_tPvRmT1_PNSt15iterator_traitsISK_E10value_typeET2_T3_PNSL_ISQ_E10value_typeET4_jRbjT5_SW_jjP12ihipStream_tbEUlT_E1_NS1_11comp_targetILNS1_3genE3ELNS1_11target_archE908ELNS1_3gpuE7ELNS1_3repE0EEENS1_59segmented_radix_sort_warp_sort_small_config_static_selectorELNS0_4arch9wavefront6targetE0EEEvSK_: ; @_ZN7rocprim17ROCPRIM_400000_NS6detail17trampoline_kernelINS0_14default_configENS1_36segmented_radix_sort_config_selectorIflEEZNS1_25segmented_radix_sort_implIS3_Lb1EPKfPfPKlPlN2at6native12_GLOBAL__N_18offset_tEEE10hipError_tPvRmT1_PNSt15iterator_traitsISK_E10value_typeET2_T3_PNSL_ISQ_E10value_typeET4_jRbjT5_SW_jjP12ihipStream_tbEUlT_E1_NS1_11comp_targetILNS1_3genE3ELNS1_11target_archE908ELNS1_3gpuE7ELNS1_3repE0EEENS1_59segmented_radix_sort_warp_sort_small_config_static_selectorELNS0_4arch9wavefront6targetE0EEEvSK_
; %bb.0:
	.section	.rodata,"a",@progbits
	.p2align	6, 0x0
	.amdhsa_kernel _ZN7rocprim17ROCPRIM_400000_NS6detail17trampoline_kernelINS0_14default_configENS1_36segmented_radix_sort_config_selectorIflEEZNS1_25segmented_radix_sort_implIS3_Lb1EPKfPfPKlPlN2at6native12_GLOBAL__N_18offset_tEEE10hipError_tPvRmT1_PNSt15iterator_traitsISK_E10value_typeET2_T3_PNSL_ISQ_E10value_typeET4_jRbjT5_SW_jjP12ihipStream_tbEUlT_E1_NS1_11comp_targetILNS1_3genE3ELNS1_11target_archE908ELNS1_3gpuE7ELNS1_3repE0EEENS1_59segmented_radix_sort_warp_sort_small_config_static_selectorELNS0_4arch9wavefront6targetE0EEEvSK_
		.amdhsa_group_segment_fixed_size 0
		.amdhsa_private_segment_fixed_size 0
		.amdhsa_kernarg_size 88
		.amdhsa_user_sgpr_count 2
		.amdhsa_user_sgpr_dispatch_ptr 0
		.amdhsa_user_sgpr_queue_ptr 0
		.amdhsa_user_sgpr_kernarg_segment_ptr 1
		.amdhsa_user_sgpr_dispatch_id 0
		.amdhsa_user_sgpr_private_segment_size 0
		.amdhsa_wavefront_size32 1
		.amdhsa_uses_dynamic_stack 0
		.amdhsa_enable_private_segment 0
		.amdhsa_system_sgpr_workgroup_id_x 1
		.amdhsa_system_sgpr_workgroup_id_y 0
		.amdhsa_system_sgpr_workgroup_id_z 0
		.amdhsa_system_sgpr_workgroup_info 0
		.amdhsa_system_vgpr_workitem_id 0
		.amdhsa_next_free_vgpr 1
		.amdhsa_next_free_sgpr 1
		.amdhsa_reserve_vcc 0
		.amdhsa_float_round_mode_32 0
		.amdhsa_float_round_mode_16_64 0
		.amdhsa_float_denorm_mode_32 3
		.amdhsa_float_denorm_mode_16_64 3
		.amdhsa_fp16_overflow 0
		.amdhsa_workgroup_processor_mode 1
		.amdhsa_memory_ordered 1
		.amdhsa_forward_progress 1
		.amdhsa_inst_pref_size 0
		.amdhsa_round_robin_scheduling 0
		.amdhsa_exception_fp_ieee_invalid_op 0
		.amdhsa_exception_fp_denorm_src 0
		.amdhsa_exception_fp_ieee_div_zero 0
		.amdhsa_exception_fp_ieee_overflow 0
		.amdhsa_exception_fp_ieee_underflow 0
		.amdhsa_exception_fp_ieee_inexact 0
		.amdhsa_exception_int_div_zero 0
	.end_amdhsa_kernel
	.section	.text._ZN7rocprim17ROCPRIM_400000_NS6detail17trampoline_kernelINS0_14default_configENS1_36segmented_radix_sort_config_selectorIflEEZNS1_25segmented_radix_sort_implIS3_Lb1EPKfPfPKlPlN2at6native12_GLOBAL__N_18offset_tEEE10hipError_tPvRmT1_PNSt15iterator_traitsISK_E10value_typeET2_T3_PNSL_ISQ_E10value_typeET4_jRbjT5_SW_jjP12ihipStream_tbEUlT_E1_NS1_11comp_targetILNS1_3genE3ELNS1_11target_archE908ELNS1_3gpuE7ELNS1_3repE0EEENS1_59segmented_radix_sort_warp_sort_small_config_static_selectorELNS0_4arch9wavefront6targetE0EEEvSK_,"axG",@progbits,_ZN7rocprim17ROCPRIM_400000_NS6detail17trampoline_kernelINS0_14default_configENS1_36segmented_radix_sort_config_selectorIflEEZNS1_25segmented_radix_sort_implIS3_Lb1EPKfPfPKlPlN2at6native12_GLOBAL__N_18offset_tEEE10hipError_tPvRmT1_PNSt15iterator_traitsISK_E10value_typeET2_T3_PNSL_ISQ_E10value_typeET4_jRbjT5_SW_jjP12ihipStream_tbEUlT_E1_NS1_11comp_targetILNS1_3genE3ELNS1_11target_archE908ELNS1_3gpuE7ELNS1_3repE0EEENS1_59segmented_radix_sort_warp_sort_small_config_static_selectorELNS0_4arch9wavefront6targetE0EEEvSK_,comdat
.Lfunc_end1348:
	.size	_ZN7rocprim17ROCPRIM_400000_NS6detail17trampoline_kernelINS0_14default_configENS1_36segmented_radix_sort_config_selectorIflEEZNS1_25segmented_radix_sort_implIS3_Lb1EPKfPfPKlPlN2at6native12_GLOBAL__N_18offset_tEEE10hipError_tPvRmT1_PNSt15iterator_traitsISK_E10value_typeET2_T3_PNSL_ISQ_E10value_typeET4_jRbjT5_SW_jjP12ihipStream_tbEUlT_E1_NS1_11comp_targetILNS1_3genE3ELNS1_11target_archE908ELNS1_3gpuE7ELNS1_3repE0EEENS1_59segmented_radix_sort_warp_sort_small_config_static_selectorELNS0_4arch9wavefront6targetE0EEEvSK_, .Lfunc_end1348-_ZN7rocprim17ROCPRIM_400000_NS6detail17trampoline_kernelINS0_14default_configENS1_36segmented_radix_sort_config_selectorIflEEZNS1_25segmented_radix_sort_implIS3_Lb1EPKfPfPKlPlN2at6native12_GLOBAL__N_18offset_tEEE10hipError_tPvRmT1_PNSt15iterator_traitsISK_E10value_typeET2_T3_PNSL_ISQ_E10value_typeET4_jRbjT5_SW_jjP12ihipStream_tbEUlT_E1_NS1_11comp_targetILNS1_3genE3ELNS1_11target_archE908ELNS1_3gpuE7ELNS1_3repE0EEENS1_59segmented_radix_sort_warp_sort_small_config_static_selectorELNS0_4arch9wavefront6targetE0EEEvSK_
                                        ; -- End function
	.set _ZN7rocprim17ROCPRIM_400000_NS6detail17trampoline_kernelINS0_14default_configENS1_36segmented_radix_sort_config_selectorIflEEZNS1_25segmented_radix_sort_implIS3_Lb1EPKfPfPKlPlN2at6native12_GLOBAL__N_18offset_tEEE10hipError_tPvRmT1_PNSt15iterator_traitsISK_E10value_typeET2_T3_PNSL_ISQ_E10value_typeET4_jRbjT5_SW_jjP12ihipStream_tbEUlT_E1_NS1_11comp_targetILNS1_3genE3ELNS1_11target_archE908ELNS1_3gpuE7ELNS1_3repE0EEENS1_59segmented_radix_sort_warp_sort_small_config_static_selectorELNS0_4arch9wavefront6targetE0EEEvSK_.num_vgpr, 0
	.set _ZN7rocprim17ROCPRIM_400000_NS6detail17trampoline_kernelINS0_14default_configENS1_36segmented_radix_sort_config_selectorIflEEZNS1_25segmented_radix_sort_implIS3_Lb1EPKfPfPKlPlN2at6native12_GLOBAL__N_18offset_tEEE10hipError_tPvRmT1_PNSt15iterator_traitsISK_E10value_typeET2_T3_PNSL_ISQ_E10value_typeET4_jRbjT5_SW_jjP12ihipStream_tbEUlT_E1_NS1_11comp_targetILNS1_3genE3ELNS1_11target_archE908ELNS1_3gpuE7ELNS1_3repE0EEENS1_59segmented_radix_sort_warp_sort_small_config_static_selectorELNS0_4arch9wavefront6targetE0EEEvSK_.num_agpr, 0
	.set _ZN7rocprim17ROCPRIM_400000_NS6detail17trampoline_kernelINS0_14default_configENS1_36segmented_radix_sort_config_selectorIflEEZNS1_25segmented_radix_sort_implIS3_Lb1EPKfPfPKlPlN2at6native12_GLOBAL__N_18offset_tEEE10hipError_tPvRmT1_PNSt15iterator_traitsISK_E10value_typeET2_T3_PNSL_ISQ_E10value_typeET4_jRbjT5_SW_jjP12ihipStream_tbEUlT_E1_NS1_11comp_targetILNS1_3genE3ELNS1_11target_archE908ELNS1_3gpuE7ELNS1_3repE0EEENS1_59segmented_radix_sort_warp_sort_small_config_static_selectorELNS0_4arch9wavefront6targetE0EEEvSK_.numbered_sgpr, 0
	.set _ZN7rocprim17ROCPRIM_400000_NS6detail17trampoline_kernelINS0_14default_configENS1_36segmented_radix_sort_config_selectorIflEEZNS1_25segmented_radix_sort_implIS3_Lb1EPKfPfPKlPlN2at6native12_GLOBAL__N_18offset_tEEE10hipError_tPvRmT1_PNSt15iterator_traitsISK_E10value_typeET2_T3_PNSL_ISQ_E10value_typeET4_jRbjT5_SW_jjP12ihipStream_tbEUlT_E1_NS1_11comp_targetILNS1_3genE3ELNS1_11target_archE908ELNS1_3gpuE7ELNS1_3repE0EEENS1_59segmented_radix_sort_warp_sort_small_config_static_selectorELNS0_4arch9wavefront6targetE0EEEvSK_.num_named_barrier, 0
	.set _ZN7rocprim17ROCPRIM_400000_NS6detail17trampoline_kernelINS0_14default_configENS1_36segmented_radix_sort_config_selectorIflEEZNS1_25segmented_radix_sort_implIS3_Lb1EPKfPfPKlPlN2at6native12_GLOBAL__N_18offset_tEEE10hipError_tPvRmT1_PNSt15iterator_traitsISK_E10value_typeET2_T3_PNSL_ISQ_E10value_typeET4_jRbjT5_SW_jjP12ihipStream_tbEUlT_E1_NS1_11comp_targetILNS1_3genE3ELNS1_11target_archE908ELNS1_3gpuE7ELNS1_3repE0EEENS1_59segmented_radix_sort_warp_sort_small_config_static_selectorELNS0_4arch9wavefront6targetE0EEEvSK_.private_seg_size, 0
	.set _ZN7rocprim17ROCPRIM_400000_NS6detail17trampoline_kernelINS0_14default_configENS1_36segmented_radix_sort_config_selectorIflEEZNS1_25segmented_radix_sort_implIS3_Lb1EPKfPfPKlPlN2at6native12_GLOBAL__N_18offset_tEEE10hipError_tPvRmT1_PNSt15iterator_traitsISK_E10value_typeET2_T3_PNSL_ISQ_E10value_typeET4_jRbjT5_SW_jjP12ihipStream_tbEUlT_E1_NS1_11comp_targetILNS1_3genE3ELNS1_11target_archE908ELNS1_3gpuE7ELNS1_3repE0EEENS1_59segmented_radix_sort_warp_sort_small_config_static_selectorELNS0_4arch9wavefront6targetE0EEEvSK_.uses_vcc, 0
	.set _ZN7rocprim17ROCPRIM_400000_NS6detail17trampoline_kernelINS0_14default_configENS1_36segmented_radix_sort_config_selectorIflEEZNS1_25segmented_radix_sort_implIS3_Lb1EPKfPfPKlPlN2at6native12_GLOBAL__N_18offset_tEEE10hipError_tPvRmT1_PNSt15iterator_traitsISK_E10value_typeET2_T3_PNSL_ISQ_E10value_typeET4_jRbjT5_SW_jjP12ihipStream_tbEUlT_E1_NS1_11comp_targetILNS1_3genE3ELNS1_11target_archE908ELNS1_3gpuE7ELNS1_3repE0EEENS1_59segmented_radix_sort_warp_sort_small_config_static_selectorELNS0_4arch9wavefront6targetE0EEEvSK_.uses_flat_scratch, 0
	.set _ZN7rocprim17ROCPRIM_400000_NS6detail17trampoline_kernelINS0_14default_configENS1_36segmented_radix_sort_config_selectorIflEEZNS1_25segmented_radix_sort_implIS3_Lb1EPKfPfPKlPlN2at6native12_GLOBAL__N_18offset_tEEE10hipError_tPvRmT1_PNSt15iterator_traitsISK_E10value_typeET2_T3_PNSL_ISQ_E10value_typeET4_jRbjT5_SW_jjP12ihipStream_tbEUlT_E1_NS1_11comp_targetILNS1_3genE3ELNS1_11target_archE908ELNS1_3gpuE7ELNS1_3repE0EEENS1_59segmented_radix_sort_warp_sort_small_config_static_selectorELNS0_4arch9wavefront6targetE0EEEvSK_.has_dyn_sized_stack, 0
	.set _ZN7rocprim17ROCPRIM_400000_NS6detail17trampoline_kernelINS0_14default_configENS1_36segmented_radix_sort_config_selectorIflEEZNS1_25segmented_radix_sort_implIS3_Lb1EPKfPfPKlPlN2at6native12_GLOBAL__N_18offset_tEEE10hipError_tPvRmT1_PNSt15iterator_traitsISK_E10value_typeET2_T3_PNSL_ISQ_E10value_typeET4_jRbjT5_SW_jjP12ihipStream_tbEUlT_E1_NS1_11comp_targetILNS1_3genE3ELNS1_11target_archE908ELNS1_3gpuE7ELNS1_3repE0EEENS1_59segmented_radix_sort_warp_sort_small_config_static_selectorELNS0_4arch9wavefront6targetE0EEEvSK_.has_recursion, 0
	.set _ZN7rocprim17ROCPRIM_400000_NS6detail17trampoline_kernelINS0_14default_configENS1_36segmented_radix_sort_config_selectorIflEEZNS1_25segmented_radix_sort_implIS3_Lb1EPKfPfPKlPlN2at6native12_GLOBAL__N_18offset_tEEE10hipError_tPvRmT1_PNSt15iterator_traitsISK_E10value_typeET2_T3_PNSL_ISQ_E10value_typeET4_jRbjT5_SW_jjP12ihipStream_tbEUlT_E1_NS1_11comp_targetILNS1_3genE3ELNS1_11target_archE908ELNS1_3gpuE7ELNS1_3repE0EEENS1_59segmented_radix_sort_warp_sort_small_config_static_selectorELNS0_4arch9wavefront6targetE0EEEvSK_.has_indirect_call, 0
	.section	.AMDGPU.csdata,"",@progbits
; Kernel info:
; codeLenInByte = 0
; TotalNumSgprs: 0
; NumVgprs: 0
; ScratchSize: 0
; MemoryBound: 0
; FloatMode: 240
; IeeeMode: 1
; LDSByteSize: 0 bytes/workgroup (compile time only)
; SGPRBlocks: 0
; VGPRBlocks: 0
; NumSGPRsForWavesPerEU: 1
; NumVGPRsForWavesPerEU: 1
; Occupancy: 16
; WaveLimiterHint : 0
; COMPUTE_PGM_RSRC2:SCRATCH_EN: 0
; COMPUTE_PGM_RSRC2:USER_SGPR: 2
; COMPUTE_PGM_RSRC2:TRAP_HANDLER: 0
; COMPUTE_PGM_RSRC2:TGID_X_EN: 1
; COMPUTE_PGM_RSRC2:TGID_Y_EN: 0
; COMPUTE_PGM_RSRC2:TGID_Z_EN: 0
; COMPUTE_PGM_RSRC2:TIDIG_COMP_CNT: 0
	.section	.text._ZN7rocprim17ROCPRIM_400000_NS6detail17trampoline_kernelINS0_14default_configENS1_36segmented_radix_sort_config_selectorIflEEZNS1_25segmented_radix_sort_implIS3_Lb1EPKfPfPKlPlN2at6native12_GLOBAL__N_18offset_tEEE10hipError_tPvRmT1_PNSt15iterator_traitsISK_E10value_typeET2_T3_PNSL_ISQ_E10value_typeET4_jRbjT5_SW_jjP12ihipStream_tbEUlT_E1_NS1_11comp_targetILNS1_3genE2ELNS1_11target_archE906ELNS1_3gpuE6ELNS1_3repE0EEENS1_59segmented_radix_sort_warp_sort_small_config_static_selectorELNS0_4arch9wavefront6targetE0EEEvSK_,"axG",@progbits,_ZN7rocprim17ROCPRIM_400000_NS6detail17trampoline_kernelINS0_14default_configENS1_36segmented_radix_sort_config_selectorIflEEZNS1_25segmented_radix_sort_implIS3_Lb1EPKfPfPKlPlN2at6native12_GLOBAL__N_18offset_tEEE10hipError_tPvRmT1_PNSt15iterator_traitsISK_E10value_typeET2_T3_PNSL_ISQ_E10value_typeET4_jRbjT5_SW_jjP12ihipStream_tbEUlT_E1_NS1_11comp_targetILNS1_3genE2ELNS1_11target_archE906ELNS1_3gpuE6ELNS1_3repE0EEENS1_59segmented_radix_sort_warp_sort_small_config_static_selectorELNS0_4arch9wavefront6targetE0EEEvSK_,comdat
	.globl	_ZN7rocprim17ROCPRIM_400000_NS6detail17trampoline_kernelINS0_14default_configENS1_36segmented_radix_sort_config_selectorIflEEZNS1_25segmented_radix_sort_implIS3_Lb1EPKfPfPKlPlN2at6native12_GLOBAL__N_18offset_tEEE10hipError_tPvRmT1_PNSt15iterator_traitsISK_E10value_typeET2_T3_PNSL_ISQ_E10value_typeET4_jRbjT5_SW_jjP12ihipStream_tbEUlT_E1_NS1_11comp_targetILNS1_3genE2ELNS1_11target_archE906ELNS1_3gpuE6ELNS1_3repE0EEENS1_59segmented_radix_sort_warp_sort_small_config_static_selectorELNS0_4arch9wavefront6targetE0EEEvSK_ ; -- Begin function _ZN7rocprim17ROCPRIM_400000_NS6detail17trampoline_kernelINS0_14default_configENS1_36segmented_radix_sort_config_selectorIflEEZNS1_25segmented_radix_sort_implIS3_Lb1EPKfPfPKlPlN2at6native12_GLOBAL__N_18offset_tEEE10hipError_tPvRmT1_PNSt15iterator_traitsISK_E10value_typeET2_T3_PNSL_ISQ_E10value_typeET4_jRbjT5_SW_jjP12ihipStream_tbEUlT_E1_NS1_11comp_targetILNS1_3genE2ELNS1_11target_archE906ELNS1_3gpuE6ELNS1_3repE0EEENS1_59segmented_radix_sort_warp_sort_small_config_static_selectorELNS0_4arch9wavefront6targetE0EEEvSK_
	.p2align	8
	.type	_ZN7rocprim17ROCPRIM_400000_NS6detail17trampoline_kernelINS0_14default_configENS1_36segmented_radix_sort_config_selectorIflEEZNS1_25segmented_radix_sort_implIS3_Lb1EPKfPfPKlPlN2at6native12_GLOBAL__N_18offset_tEEE10hipError_tPvRmT1_PNSt15iterator_traitsISK_E10value_typeET2_T3_PNSL_ISQ_E10value_typeET4_jRbjT5_SW_jjP12ihipStream_tbEUlT_E1_NS1_11comp_targetILNS1_3genE2ELNS1_11target_archE906ELNS1_3gpuE6ELNS1_3repE0EEENS1_59segmented_radix_sort_warp_sort_small_config_static_selectorELNS0_4arch9wavefront6targetE0EEEvSK_,@function
_ZN7rocprim17ROCPRIM_400000_NS6detail17trampoline_kernelINS0_14default_configENS1_36segmented_radix_sort_config_selectorIflEEZNS1_25segmented_radix_sort_implIS3_Lb1EPKfPfPKlPlN2at6native12_GLOBAL__N_18offset_tEEE10hipError_tPvRmT1_PNSt15iterator_traitsISK_E10value_typeET2_T3_PNSL_ISQ_E10value_typeET4_jRbjT5_SW_jjP12ihipStream_tbEUlT_E1_NS1_11comp_targetILNS1_3genE2ELNS1_11target_archE906ELNS1_3gpuE6ELNS1_3repE0EEENS1_59segmented_radix_sort_warp_sort_small_config_static_selectorELNS0_4arch9wavefront6targetE0EEEvSK_: ; @_ZN7rocprim17ROCPRIM_400000_NS6detail17trampoline_kernelINS0_14default_configENS1_36segmented_radix_sort_config_selectorIflEEZNS1_25segmented_radix_sort_implIS3_Lb1EPKfPfPKlPlN2at6native12_GLOBAL__N_18offset_tEEE10hipError_tPvRmT1_PNSt15iterator_traitsISK_E10value_typeET2_T3_PNSL_ISQ_E10value_typeET4_jRbjT5_SW_jjP12ihipStream_tbEUlT_E1_NS1_11comp_targetILNS1_3genE2ELNS1_11target_archE906ELNS1_3gpuE6ELNS1_3repE0EEENS1_59segmented_radix_sort_warp_sort_small_config_static_selectorELNS0_4arch9wavefront6targetE0EEEvSK_
; %bb.0:
	.section	.rodata,"a",@progbits
	.p2align	6, 0x0
	.amdhsa_kernel _ZN7rocprim17ROCPRIM_400000_NS6detail17trampoline_kernelINS0_14default_configENS1_36segmented_radix_sort_config_selectorIflEEZNS1_25segmented_radix_sort_implIS3_Lb1EPKfPfPKlPlN2at6native12_GLOBAL__N_18offset_tEEE10hipError_tPvRmT1_PNSt15iterator_traitsISK_E10value_typeET2_T3_PNSL_ISQ_E10value_typeET4_jRbjT5_SW_jjP12ihipStream_tbEUlT_E1_NS1_11comp_targetILNS1_3genE2ELNS1_11target_archE906ELNS1_3gpuE6ELNS1_3repE0EEENS1_59segmented_radix_sort_warp_sort_small_config_static_selectorELNS0_4arch9wavefront6targetE0EEEvSK_
		.amdhsa_group_segment_fixed_size 0
		.amdhsa_private_segment_fixed_size 0
		.amdhsa_kernarg_size 88
		.amdhsa_user_sgpr_count 2
		.amdhsa_user_sgpr_dispatch_ptr 0
		.amdhsa_user_sgpr_queue_ptr 0
		.amdhsa_user_sgpr_kernarg_segment_ptr 1
		.amdhsa_user_sgpr_dispatch_id 0
		.amdhsa_user_sgpr_private_segment_size 0
		.amdhsa_wavefront_size32 1
		.amdhsa_uses_dynamic_stack 0
		.amdhsa_enable_private_segment 0
		.amdhsa_system_sgpr_workgroup_id_x 1
		.amdhsa_system_sgpr_workgroup_id_y 0
		.amdhsa_system_sgpr_workgroup_id_z 0
		.amdhsa_system_sgpr_workgroup_info 0
		.amdhsa_system_vgpr_workitem_id 0
		.amdhsa_next_free_vgpr 1
		.amdhsa_next_free_sgpr 1
		.amdhsa_reserve_vcc 0
		.amdhsa_float_round_mode_32 0
		.amdhsa_float_round_mode_16_64 0
		.amdhsa_float_denorm_mode_32 3
		.amdhsa_float_denorm_mode_16_64 3
		.amdhsa_fp16_overflow 0
		.amdhsa_workgroup_processor_mode 1
		.amdhsa_memory_ordered 1
		.amdhsa_forward_progress 1
		.amdhsa_inst_pref_size 0
		.amdhsa_round_robin_scheduling 0
		.amdhsa_exception_fp_ieee_invalid_op 0
		.amdhsa_exception_fp_denorm_src 0
		.amdhsa_exception_fp_ieee_div_zero 0
		.amdhsa_exception_fp_ieee_overflow 0
		.amdhsa_exception_fp_ieee_underflow 0
		.amdhsa_exception_fp_ieee_inexact 0
		.amdhsa_exception_int_div_zero 0
	.end_amdhsa_kernel
	.section	.text._ZN7rocprim17ROCPRIM_400000_NS6detail17trampoline_kernelINS0_14default_configENS1_36segmented_radix_sort_config_selectorIflEEZNS1_25segmented_radix_sort_implIS3_Lb1EPKfPfPKlPlN2at6native12_GLOBAL__N_18offset_tEEE10hipError_tPvRmT1_PNSt15iterator_traitsISK_E10value_typeET2_T3_PNSL_ISQ_E10value_typeET4_jRbjT5_SW_jjP12ihipStream_tbEUlT_E1_NS1_11comp_targetILNS1_3genE2ELNS1_11target_archE906ELNS1_3gpuE6ELNS1_3repE0EEENS1_59segmented_radix_sort_warp_sort_small_config_static_selectorELNS0_4arch9wavefront6targetE0EEEvSK_,"axG",@progbits,_ZN7rocprim17ROCPRIM_400000_NS6detail17trampoline_kernelINS0_14default_configENS1_36segmented_radix_sort_config_selectorIflEEZNS1_25segmented_radix_sort_implIS3_Lb1EPKfPfPKlPlN2at6native12_GLOBAL__N_18offset_tEEE10hipError_tPvRmT1_PNSt15iterator_traitsISK_E10value_typeET2_T3_PNSL_ISQ_E10value_typeET4_jRbjT5_SW_jjP12ihipStream_tbEUlT_E1_NS1_11comp_targetILNS1_3genE2ELNS1_11target_archE906ELNS1_3gpuE6ELNS1_3repE0EEENS1_59segmented_radix_sort_warp_sort_small_config_static_selectorELNS0_4arch9wavefront6targetE0EEEvSK_,comdat
.Lfunc_end1349:
	.size	_ZN7rocprim17ROCPRIM_400000_NS6detail17trampoline_kernelINS0_14default_configENS1_36segmented_radix_sort_config_selectorIflEEZNS1_25segmented_radix_sort_implIS3_Lb1EPKfPfPKlPlN2at6native12_GLOBAL__N_18offset_tEEE10hipError_tPvRmT1_PNSt15iterator_traitsISK_E10value_typeET2_T3_PNSL_ISQ_E10value_typeET4_jRbjT5_SW_jjP12ihipStream_tbEUlT_E1_NS1_11comp_targetILNS1_3genE2ELNS1_11target_archE906ELNS1_3gpuE6ELNS1_3repE0EEENS1_59segmented_radix_sort_warp_sort_small_config_static_selectorELNS0_4arch9wavefront6targetE0EEEvSK_, .Lfunc_end1349-_ZN7rocprim17ROCPRIM_400000_NS6detail17trampoline_kernelINS0_14default_configENS1_36segmented_radix_sort_config_selectorIflEEZNS1_25segmented_radix_sort_implIS3_Lb1EPKfPfPKlPlN2at6native12_GLOBAL__N_18offset_tEEE10hipError_tPvRmT1_PNSt15iterator_traitsISK_E10value_typeET2_T3_PNSL_ISQ_E10value_typeET4_jRbjT5_SW_jjP12ihipStream_tbEUlT_E1_NS1_11comp_targetILNS1_3genE2ELNS1_11target_archE906ELNS1_3gpuE6ELNS1_3repE0EEENS1_59segmented_radix_sort_warp_sort_small_config_static_selectorELNS0_4arch9wavefront6targetE0EEEvSK_
                                        ; -- End function
	.set _ZN7rocprim17ROCPRIM_400000_NS6detail17trampoline_kernelINS0_14default_configENS1_36segmented_radix_sort_config_selectorIflEEZNS1_25segmented_radix_sort_implIS3_Lb1EPKfPfPKlPlN2at6native12_GLOBAL__N_18offset_tEEE10hipError_tPvRmT1_PNSt15iterator_traitsISK_E10value_typeET2_T3_PNSL_ISQ_E10value_typeET4_jRbjT5_SW_jjP12ihipStream_tbEUlT_E1_NS1_11comp_targetILNS1_3genE2ELNS1_11target_archE906ELNS1_3gpuE6ELNS1_3repE0EEENS1_59segmented_radix_sort_warp_sort_small_config_static_selectorELNS0_4arch9wavefront6targetE0EEEvSK_.num_vgpr, 0
	.set _ZN7rocprim17ROCPRIM_400000_NS6detail17trampoline_kernelINS0_14default_configENS1_36segmented_radix_sort_config_selectorIflEEZNS1_25segmented_radix_sort_implIS3_Lb1EPKfPfPKlPlN2at6native12_GLOBAL__N_18offset_tEEE10hipError_tPvRmT1_PNSt15iterator_traitsISK_E10value_typeET2_T3_PNSL_ISQ_E10value_typeET4_jRbjT5_SW_jjP12ihipStream_tbEUlT_E1_NS1_11comp_targetILNS1_3genE2ELNS1_11target_archE906ELNS1_3gpuE6ELNS1_3repE0EEENS1_59segmented_radix_sort_warp_sort_small_config_static_selectorELNS0_4arch9wavefront6targetE0EEEvSK_.num_agpr, 0
	.set _ZN7rocprim17ROCPRIM_400000_NS6detail17trampoline_kernelINS0_14default_configENS1_36segmented_radix_sort_config_selectorIflEEZNS1_25segmented_radix_sort_implIS3_Lb1EPKfPfPKlPlN2at6native12_GLOBAL__N_18offset_tEEE10hipError_tPvRmT1_PNSt15iterator_traitsISK_E10value_typeET2_T3_PNSL_ISQ_E10value_typeET4_jRbjT5_SW_jjP12ihipStream_tbEUlT_E1_NS1_11comp_targetILNS1_3genE2ELNS1_11target_archE906ELNS1_3gpuE6ELNS1_3repE0EEENS1_59segmented_radix_sort_warp_sort_small_config_static_selectorELNS0_4arch9wavefront6targetE0EEEvSK_.numbered_sgpr, 0
	.set _ZN7rocprim17ROCPRIM_400000_NS6detail17trampoline_kernelINS0_14default_configENS1_36segmented_radix_sort_config_selectorIflEEZNS1_25segmented_radix_sort_implIS3_Lb1EPKfPfPKlPlN2at6native12_GLOBAL__N_18offset_tEEE10hipError_tPvRmT1_PNSt15iterator_traitsISK_E10value_typeET2_T3_PNSL_ISQ_E10value_typeET4_jRbjT5_SW_jjP12ihipStream_tbEUlT_E1_NS1_11comp_targetILNS1_3genE2ELNS1_11target_archE906ELNS1_3gpuE6ELNS1_3repE0EEENS1_59segmented_radix_sort_warp_sort_small_config_static_selectorELNS0_4arch9wavefront6targetE0EEEvSK_.num_named_barrier, 0
	.set _ZN7rocprim17ROCPRIM_400000_NS6detail17trampoline_kernelINS0_14default_configENS1_36segmented_radix_sort_config_selectorIflEEZNS1_25segmented_radix_sort_implIS3_Lb1EPKfPfPKlPlN2at6native12_GLOBAL__N_18offset_tEEE10hipError_tPvRmT1_PNSt15iterator_traitsISK_E10value_typeET2_T3_PNSL_ISQ_E10value_typeET4_jRbjT5_SW_jjP12ihipStream_tbEUlT_E1_NS1_11comp_targetILNS1_3genE2ELNS1_11target_archE906ELNS1_3gpuE6ELNS1_3repE0EEENS1_59segmented_radix_sort_warp_sort_small_config_static_selectorELNS0_4arch9wavefront6targetE0EEEvSK_.private_seg_size, 0
	.set _ZN7rocprim17ROCPRIM_400000_NS6detail17trampoline_kernelINS0_14default_configENS1_36segmented_radix_sort_config_selectorIflEEZNS1_25segmented_radix_sort_implIS3_Lb1EPKfPfPKlPlN2at6native12_GLOBAL__N_18offset_tEEE10hipError_tPvRmT1_PNSt15iterator_traitsISK_E10value_typeET2_T3_PNSL_ISQ_E10value_typeET4_jRbjT5_SW_jjP12ihipStream_tbEUlT_E1_NS1_11comp_targetILNS1_3genE2ELNS1_11target_archE906ELNS1_3gpuE6ELNS1_3repE0EEENS1_59segmented_radix_sort_warp_sort_small_config_static_selectorELNS0_4arch9wavefront6targetE0EEEvSK_.uses_vcc, 0
	.set _ZN7rocprim17ROCPRIM_400000_NS6detail17trampoline_kernelINS0_14default_configENS1_36segmented_radix_sort_config_selectorIflEEZNS1_25segmented_radix_sort_implIS3_Lb1EPKfPfPKlPlN2at6native12_GLOBAL__N_18offset_tEEE10hipError_tPvRmT1_PNSt15iterator_traitsISK_E10value_typeET2_T3_PNSL_ISQ_E10value_typeET4_jRbjT5_SW_jjP12ihipStream_tbEUlT_E1_NS1_11comp_targetILNS1_3genE2ELNS1_11target_archE906ELNS1_3gpuE6ELNS1_3repE0EEENS1_59segmented_radix_sort_warp_sort_small_config_static_selectorELNS0_4arch9wavefront6targetE0EEEvSK_.uses_flat_scratch, 0
	.set _ZN7rocprim17ROCPRIM_400000_NS6detail17trampoline_kernelINS0_14default_configENS1_36segmented_radix_sort_config_selectorIflEEZNS1_25segmented_radix_sort_implIS3_Lb1EPKfPfPKlPlN2at6native12_GLOBAL__N_18offset_tEEE10hipError_tPvRmT1_PNSt15iterator_traitsISK_E10value_typeET2_T3_PNSL_ISQ_E10value_typeET4_jRbjT5_SW_jjP12ihipStream_tbEUlT_E1_NS1_11comp_targetILNS1_3genE2ELNS1_11target_archE906ELNS1_3gpuE6ELNS1_3repE0EEENS1_59segmented_radix_sort_warp_sort_small_config_static_selectorELNS0_4arch9wavefront6targetE0EEEvSK_.has_dyn_sized_stack, 0
	.set _ZN7rocprim17ROCPRIM_400000_NS6detail17trampoline_kernelINS0_14default_configENS1_36segmented_radix_sort_config_selectorIflEEZNS1_25segmented_radix_sort_implIS3_Lb1EPKfPfPKlPlN2at6native12_GLOBAL__N_18offset_tEEE10hipError_tPvRmT1_PNSt15iterator_traitsISK_E10value_typeET2_T3_PNSL_ISQ_E10value_typeET4_jRbjT5_SW_jjP12ihipStream_tbEUlT_E1_NS1_11comp_targetILNS1_3genE2ELNS1_11target_archE906ELNS1_3gpuE6ELNS1_3repE0EEENS1_59segmented_radix_sort_warp_sort_small_config_static_selectorELNS0_4arch9wavefront6targetE0EEEvSK_.has_recursion, 0
	.set _ZN7rocprim17ROCPRIM_400000_NS6detail17trampoline_kernelINS0_14default_configENS1_36segmented_radix_sort_config_selectorIflEEZNS1_25segmented_radix_sort_implIS3_Lb1EPKfPfPKlPlN2at6native12_GLOBAL__N_18offset_tEEE10hipError_tPvRmT1_PNSt15iterator_traitsISK_E10value_typeET2_T3_PNSL_ISQ_E10value_typeET4_jRbjT5_SW_jjP12ihipStream_tbEUlT_E1_NS1_11comp_targetILNS1_3genE2ELNS1_11target_archE906ELNS1_3gpuE6ELNS1_3repE0EEENS1_59segmented_radix_sort_warp_sort_small_config_static_selectorELNS0_4arch9wavefront6targetE0EEEvSK_.has_indirect_call, 0
	.section	.AMDGPU.csdata,"",@progbits
; Kernel info:
; codeLenInByte = 0
; TotalNumSgprs: 0
; NumVgprs: 0
; ScratchSize: 0
; MemoryBound: 0
; FloatMode: 240
; IeeeMode: 1
; LDSByteSize: 0 bytes/workgroup (compile time only)
; SGPRBlocks: 0
; VGPRBlocks: 0
; NumSGPRsForWavesPerEU: 1
; NumVGPRsForWavesPerEU: 1
; Occupancy: 16
; WaveLimiterHint : 0
; COMPUTE_PGM_RSRC2:SCRATCH_EN: 0
; COMPUTE_PGM_RSRC2:USER_SGPR: 2
; COMPUTE_PGM_RSRC2:TRAP_HANDLER: 0
; COMPUTE_PGM_RSRC2:TGID_X_EN: 1
; COMPUTE_PGM_RSRC2:TGID_Y_EN: 0
; COMPUTE_PGM_RSRC2:TGID_Z_EN: 0
; COMPUTE_PGM_RSRC2:TIDIG_COMP_CNT: 0
	.text
	.p2align	2                               ; -- Begin function _ZN7rocprim17ROCPRIM_400000_NS6detail26segmented_warp_sort_helperINS1_20WarpSortHelperConfigILj8ELj4ELj256EEEflLi256ELb1EvE4sortIPKfPfPKlPlEEvT_S9_T0_T1_SC_T2_bjjjjRNS5_12storage_typeE
	.type	_ZN7rocprim17ROCPRIM_400000_NS6detail26segmented_warp_sort_helperINS1_20WarpSortHelperConfigILj8ELj4ELj256EEEflLi256ELb1EvE4sortIPKfPfPKlPlEEvT_S9_T0_T1_SC_T2_bjjjjRNS5_12storage_typeE,@function
_ZN7rocprim17ROCPRIM_400000_NS6detail26segmented_warp_sort_helperINS1_20WarpSortHelperConfigILj8ELj4ELj256EEEflLi256ELb1EvE4sortIPKfPfPKlPlEEvT_S9_T0_T1_SC_T2_bjjjjRNS5_12storage_typeE: ; @_ZN7rocprim17ROCPRIM_400000_NS6detail26segmented_warp_sort_helperINS1_20WarpSortHelperConfigILj8ELj4ELj256EEEflLi256ELb1EvE4sortIPKfPfPKlPlEEvT_S9_T0_T1_SC_T2_bjjjjRNS5_12storage_typeE
; %bb.0:
	s_wait_loadcnt_dscnt 0x0
	s_wait_expcnt 0x0
	s_wait_samplecnt 0x0
	s_wait_bvhcnt 0x0
	s_wait_kmcnt 0x0
	v_mov_b32_e32 v16, v14
	v_mbcnt_lo_u32_b32 v14, -1, 0
	s_mov_b32 s5, 0
	v_and_b32_e32 v17, 1, v12
	s_delay_alu instid0(VALU_DEP_2) | instskip(SKIP_1) | instid1(VALU_DEP_3)
	v_dual_mov_b32 v14, 0 :: v_dual_lshlrev_b32 v51, 2, v14
	v_sub_nc_u32_e32 v24, v16, v13
	v_cmp_ne_u32_e64 s0, 1, v17
                                        ; implicit-def: $vgpr16_vgpr17_vgpr18_vgpr19_vgpr20_vgpr21_vgpr22_vgpr23
	s_delay_alu instid0(VALU_DEP_3) | instskip(NEXT) | instid1(VALU_DEP_4)
	v_and_b32_e32 v12, 28, v51
	v_lshlrev_b64_e32 v[48:49], 2, v[13:14]
	s_delay_alu instid0(VALU_DEP_2) | instskip(NEXT) | instid1(VALU_DEP_2)
	v_lshlrev_b32_e32 v50, 2, v12
	v_add_co_u32 v0, vcc_lo, v0, v48
	s_wait_alu 0xfffd
	s_delay_alu instid0(VALU_DEP_3) | instskip(NEXT) | instid1(VALU_DEP_2)
	v_add_co_ci_u32_e64 v1, null, v1, v49, vcc_lo
	v_add_co_u32 v0, vcc_lo, v0, v50
	s_wait_alu 0xfffd
	s_delay_alu instid0(VALU_DEP_2)
	v_add_co_ci_u32_e64 v1, null, 0, v1, vcc_lo
	v_cmp_lt_u32_e32 vcc_lo, v12, v24
	s_and_saveexec_b32 s1, s0
	s_wait_alu 0xfffe
	s_xor_b32 s6, exec_lo, s1
	s_cbranch_execnz .LBB1350_4
; %bb.1:
	s_wait_alu 0xfffe
	s_and_not1_saveexec_b32 s6, s6
	s_cbranch_execnz .LBB1350_111
.LBB1350_2:
	s_wait_alu 0xfffe
	s_or_b32 exec_lo, exec_lo, s6
	s_and_saveexec_b32 s0, s5
	s_cbranch_execnz .LBB1350_218
.LBB1350_3:
	s_wait_alu 0xfffe
	s_or_b32 exec_lo, exec_lo, s0
	s_wait_loadcnt_dscnt 0x0
	s_wait_alu 0xfffd
	s_setpc_b64 s[30:31]
.LBB1350_4:
	v_dual_mov_b32 v52, -1 :: v_dual_mov_b32 v53, -1
	s_and_saveexec_b32 s0, vcc_lo
	s_cbranch_execz .LBB1350_6
; %bb.5:
	flat_load_b32 v53, v[0:1]
.LBB1350_6:
	s_wait_alu 0xfffe
	s_or_b32 exec_lo, exec_lo, s0
	v_or_b32_e32 v4, 1, v12
	s_delay_alu instid0(VALU_DEP_1)
	v_cmp_lt_u32_e64 s0, v4, v24
	s_and_saveexec_b32 s1, s0
	s_cbranch_execz .LBB1350_8
; %bb.7:
	flat_load_b32 v52, v[0:1] offset:4
.LBB1350_8:
	s_wait_alu 0xfffe
	s_or_b32 exec_lo, exec_lo, s1
	v_or_b32_e32 v4, 2, v12
	v_dual_mov_b32 v11, -1 :: v_dual_mov_b32 v30, -1
	s_delay_alu instid0(VALU_DEP_2)
	v_cmp_lt_u32_e64 s1, v4, v24
	s_and_saveexec_b32 s2, s1
	s_cbranch_execz .LBB1350_10
; %bb.9:
	flat_load_b32 v30, v[0:1] offset:8
.LBB1350_10:
	s_wait_alu 0xfffe
	s_or_b32 exec_lo, exec_lo, s2
	v_or_b32_e32 v4, 3, v12
	s_delay_alu instid0(VALU_DEP_1)
	v_cmp_lt_u32_e64 s2, v4, v24
	s_and_saveexec_b32 s3, s2
	s_cbranch_execz .LBB1350_12
; %bb.11:
	flat_load_b32 v11, v[0:1] offset:12
.LBB1350_12:
	s_wait_alu 0xfffe
	s_or_b32 exec_lo, exec_lo, s3
	v_lshlrev_b64_e32 v[0:1], 3, v[13:14]
	v_mov_b32_e32 v16, 0
	v_lshlrev_b32_e32 v10, 3, v12
	; wave barrier
	s_delay_alu instid0(VALU_DEP_2) | instskip(NEXT) | instid1(VALU_DEP_4)
	v_mov_b32_e32 v17, v16
	v_add_co_u32 v4, s3, v6, v0
	s_wait_alu 0xf1ff
	v_add_co_ci_u32_e64 v5, null, v7, v1, s3
	v_dual_mov_b32 v18, v16 :: v_dual_mov_b32 v19, v16
	s_delay_alu instid0(VALU_DEP_3) | instskip(SKIP_1) | instid1(VALU_DEP_3)
	v_add_co_u32 v4, s3, v4, v10
	s_wait_alu 0xf1ff
	v_add_co_ci_u32_e64 v5, null, 0, v5, s3
	v_dual_mov_b32 v20, v16 :: v_dual_mov_b32 v21, v16
	v_dual_mov_b32 v22, v16 :: v_dual_mov_b32 v23, v16
	s_and_saveexec_b32 s3, vcc_lo
	s_cbranch_execnz .LBB1350_219
; %bb.13:
	s_wait_alu 0xfffe
	s_or_b32 exec_lo, exec_lo, s3
	s_and_saveexec_b32 s3, s0
	s_cbranch_execnz .LBB1350_220
.LBB1350_14:
	s_wait_alu 0xfffe
	s_or_b32 exec_lo, exec_lo, s3
	s_and_saveexec_b32 s3, s1
	s_cbranch_execnz .LBB1350_221
.LBB1350_15:
	s_wait_alu 0xfffe
	s_or_b32 exec_lo, exec_lo, s3
	s_and_saveexec_b32 s3, s2
	s_cbranch_execz .LBB1350_17
.LBB1350_16:
	flat_load_b64 v[22:23], v[4:5] offset:24
.LBB1350_17:
	s_wait_alu 0xfffe
	s_or_b32 exec_lo, exec_lo, s3
	; wave barrier
	s_load_b64 s[4:5], s[8:9], 0x0
	s_and_b32 s3, ttmp7, 0xffff
	s_mov_b32 s11, 0
	v_bfe_u32 v4, v31, 10, 10
	v_bfe_u32 v5, v31, 20, 10
	s_wait_kmcnt 0x0
	s_wait_alu 0xfffe
	s_cmp_lt_u32 s3, s5
	s_cselect_b32 s10, 14, 20
	s_cmp_lt_u32 ttmp9, s4
	s_wait_alu 0xfffe
	s_add_nc_u64 s[12:13], s[8:9], s[10:11]
	s_cselect_b32 s10, 12, 18
	s_load_u16 s3, s[12:13], 0x0
	s_add_nc_u64 s[4:5], s[8:9], s[10:11]
	s_load_u16 s4, s[4:5], 0x0
	s_mov_b32 s5, exec_lo
	s_wait_kmcnt 0x0
	v_mad_u32_u24 v4, v5, s3, v4
	v_and_b32_e32 v5, 0x3ff, v31
	s_delay_alu instid0(VALU_DEP_2) | instskip(NEXT) | instid1(VALU_DEP_1)
	v_mul_lo_u32 v4, v4, s4
	v_add_lshl_u32 v4, v4, v5, 2
	s_delay_alu instid0(VALU_DEP_1)
	v_cmpx_gt_u32_e32 0x400, v4
	s_cbranch_execz .LBB1350_29
; %bb.18:
	s_wait_loadcnt_dscnt 0x0
	v_dual_add_f32 v5, 0, v52 :: v_dual_add_f32 v6, 0, v53
	v_dual_add_f32 v7, 0, v11 :: v_dual_add_f32 v24, 0, v30
	s_mov_b32 s7, exec_lo
	s_delay_alu instid0(VALU_DEP_2) | instskip(NEXT) | instid1(VALU_DEP_3)
	v_ashrrev_i32_e32 v25, 31, v5
	v_ashrrev_i32_e32 v26, 31, v6
	s_delay_alu instid0(VALU_DEP_3) | instskip(SKIP_1) | instid1(VALU_DEP_4)
	v_ashrrev_i32_e32 v27, 31, v7
	v_ashrrev_i32_e32 v28, 31, v24
	v_or_b32_e32 v25, 0x80000000, v25
	s_delay_alu instid0(VALU_DEP_4) | instskip(NEXT) | instid1(VALU_DEP_4)
	v_or_b32_e32 v26, 0x80000000, v26
	v_or_b32_e32 v27, 0x80000000, v27
	s_delay_alu instid0(VALU_DEP_4) | instskip(NEXT) | instid1(VALU_DEP_4)
	v_or_b32_e32 v28, 0x80000000, v28
	v_xor_b32_e32 v5, v25, v5
	s_delay_alu instid0(VALU_DEP_4) | instskip(NEXT) | instid1(VALU_DEP_4)
	v_xor_b32_e32 v25, v26, v6
	v_xor_b32_e32 v6, v27, v7
	s_delay_alu instid0(VALU_DEP_4) | instskip(SKIP_1) | instid1(VALU_DEP_4)
	v_xor_b32_e32 v7, v28, v24
	v_dual_mov_b32 v29, v21 :: v_dual_mov_b32 v28, v20
	v_cmp_gt_u32_e64 s3, v5, v25
	v_mov_b32_e32 v5, v30
	s_wait_alu 0xf1ff
	s_delay_alu instid0(VALU_DEP_2)
	v_cndmask_b32_e64 v27, v19, v17, s3
	v_cndmask_b32_e64 v26, v18, v16, s3
	;; [unrolled: 1-line block ×4, first 2 shown]
	v_cmpx_gt_u32_e64 v6, v7
; %bb.19:
	v_mov_b32_e32 v29, v23
	v_dual_mov_b32 v5, v11 :: v_dual_mov_b32 v28, v22
	v_mov_b32_e32 v23, v21
	v_dual_mov_b32 v11, v30 :: v_dual_mov_b32 v22, v20
	v_mov_b32_e32 v7, v6
; %bb.20:
	s_wait_alu 0xfffe
	s_or_b32 exec_lo, exec_lo, s7
	v_cndmask_b32_e64 v17, v52, v53, s3
	v_mov_b32_e32 v30, v22
                                        ; implicit-def: $vgpr54
	v_dual_mov_b32 v39, v31 :: v_dual_mov_b32 v34, v26
	s_delay_alu instid0(VALU_DEP_3) | instskip(SKIP_1) | instid1(VALU_DEP_4)
	v_dual_mov_b32 v33, v25 :: v_dual_add_f32 v6, 0, v17
	v_mov_b32_e32 v32, v24
	v_dual_mov_b32 v38, v30 :: v_dual_mov_b32 v37, v29
	v_dual_mov_b32 v36, v28 :: v_dual_mov_b32 v35, v27
	s_delay_alu instid0(VALU_DEP_4) | instskip(NEXT) | instid1(VALU_DEP_1)
	v_ashrrev_i32_e32 v16, 31, v6
	v_or_b32_e32 v16, 0x80000000, v16
	s_delay_alu instid0(VALU_DEP_1) | instskip(NEXT) | instid1(VALU_DEP_1)
	v_xor_b32_e32 v16, v16, v6
	v_cmp_le_u32_e64 s4, v7, v16
	s_and_saveexec_b32 s7, s4
	s_wait_alu 0xfffe
	s_xor_b32 s4, exec_lo, s7
; %bb.21:
	v_add_f32_e32 v6, 0, v5
                                        ; implicit-def: $vgpr32_vgpr33_vgpr34_vgpr35_vgpr36_vgpr37_vgpr38_vgpr39
	s_delay_alu instid0(VALU_DEP_1) | instskip(NEXT) | instid1(VALU_DEP_1)
	v_ashrrev_i32_e32 v7, 31, v6
	v_or_b32_e32 v7, 0x80000000, v7
	s_delay_alu instid0(VALU_DEP_1)
	v_xor_b32_e32 v54, v7, v6
                                        ; implicit-def: $vgpr7
; %bb.22:
	s_wait_alu 0xfffe
	s_or_saveexec_b32 s4, s4
	v_dual_mov_b32 v31, v23 :: v_dual_mov_b32 v6, v17
	s_wait_alu 0xfffe
	s_xor_b32 exec_lo, exec_lo, s4
	s_cbranch_execz .LBB1350_24
; %bb.23:
	v_dual_mov_b32 v34, v28 :: v_dual_mov_b32 v35, v29
	v_dual_mov_b32 v36, v26 :: v_dual_mov_b32 v37, v27
	;; [unrolled: 1-line block ×4, first 2 shown]
	s_delay_alu instid0(VALU_DEP_4) | instskip(NEXT) | instid1(VALU_DEP_4)
	v_dual_mov_b32 v26, v34 :: v_dual_mov_b32 v27, v35
	v_dual_mov_b32 v28, v36 :: v_dual_mov_b32 v29, v37
	s_delay_alu instid0(VALU_DEP_4)
	v_dual_mov_b32 v30, v38 :: v_dual_mov_b32 v31, v39
	v_mov_b32_e32 v54, v16
	v_dual_mov_b32 v6, v5 :: v_dual_mov_b32 v5, v17
	v_mov_b32_e32 v16, v7
.LBB1350_24:
	s_or_b32 exec_lo, exec_lo, s4
	v_cndmask_b32_e64 v7, v53, v52, s3
	v_add_f32_e32 v18, 0, v11
	v_dual_mov_b32 v22, v30 :: v_dual_mov_b32 v23, v31
	s_mov_b32 s7, exec_lo
	s_delay_alu instid0(VALU_DEP_3) | instskip(NEXT) | instid1(VALU_DEP_3)
	v_add_f32_e32 v17, 0, v7
	v_ashrrev_i32_e32 v20, 31, v18
	s_delay_alu instid0(VALU_DEP_1) | instskip(SKIP_1) | instid1(VALU_DEP_4)
	v_or_b32_e32 v21, 0x80000000, v20
	v_mov_b32_e32 v20, v28
	v_ashrrev_i32_e32 v19, 31, v17
	s_delay_alu instid0(VALU_DEP_3) | instskip(SKIP_1) | instid1(VALU_DEP_3)
	v_xor_b32_e32 v32, v21, v18
	v_mov_b32_e32 v21, v29
	v_or_b32_e32 v19, 0x80000000, v19
	s_delay_alu instid0(VALU_DEP_1) | instskip(NEXT) | instid1(VALU_DEP_1)
	v_xor_b32_e32 v17, v19, v17
	v_cmp_gt_u32_e64 s3, v16, v17
	s_wait_alu 0xf1ff
	s_delay_alu instid0(VALU_DEP_1)
	v_cndmask_b32_e64 v19, v27, v25, s3
	v_cndmask_b32_e64 v18, v26, v24, s3
	;; [unrolled: 1-line block ×4, first 2 shown]
	v_mov_b32_e32 v24, v5
	v_cmpx_gt_u32_e64 v32, v54
; %bb.25:
	v_dual_mov_b32 v20, v30 :: v_dual_mov_b32 v21, v31
	v_dual_mov_b32 v22, v28 :: v_dual_mov_b32 v23, v29
	;; [unrolled: 1-line block ×3, first 2 shown]
	v_mov_b32_e32 v54, v32
; %bb.26:
	s_wait_alu 0xfffe
	s_or_b32 exec_lo, exec_lo, s7
	v_cndmask_b32_e64 v52, v6, v7, s3
	s_mov_b32 s7, exec_lo
	s_delay_alu instid0(VALU_DEP_1) | instskip(NEXT) | instid1(VALU_DEP_1)
	v_dual_mov_b32 v30, v24 :: v_dual_add_f32 v5, 0, v52
	v_ashrrev_i32_e32 v25, 31, v5
	s_delay_alu instid0(VALU_DEP_1) | instskip(NEXT) | instid1(VALU_DEP_1)
	v_or_b32_e32 v25, 0x80000000, v25
	v_xor_b32_e32 v5, v25, v5
	s_delay_alu instid0(VALU_DEP_1)
	v_cmpx_gt_u32_e64 v54, v5
	s_cbranch_execz .LBB1350_28
; %bb.27:
	v_dual_mov_b32 v25, v16 :: v_dual_mov_b32 v26, v17
	v_dual_mov_b32 v27, v20 :: v_dual_mov_b32 v28, v21
	v_dual_mov_b32 v29, v18 :: v_dual_mov_b32 v30, v19
	v_dual_mov_b32 v31, v22 :: v_dual_mov_b32 v32, v23
	s_delay_alu instid0(VALU_DEP_4) | instskip(NEXT) | instid1(VALU_DEP_4)
	v_dual_mov_b32 v16, v25 :: v_dual_mov_b32 v17, v26
	v_dual_mov_b32 v18, v27 :: v_dual_mov_b32 v19, v28
	s_delay_alu instid0(VALU_DEP_4) | instskip(NEXT) | instid1(VALU_DEP_4)
	v_dual_mov_b32 v20, v29 :: v_dual_mov_b32 v21, v30
	v_dual_mov_b32 v22, v31 :: v_dual_mov_b32 v23, v32
	v_mov_b32_e32 v30, v52
	v_mov_b32_e32 v52, v24
.LBB1350_28:
	s_wait_alu 0xfffe
	s_or_b32 exec_lo, exec_lo, s7
	v_cndmask_b32_e64 v53, v7, v6, s3
.LBB1350_29:
	s_wait_alu 0xfffe
	s_or_b32 exec_lo, exec_lo, s5
	v_dual_mov_b32 v5, 0 :: v_dual_and_b32 v4, 0xffffff80, v4
	v_or_b32_e32 v7, 4, v51
	v_and_b32_e32 v33, 0x78, v51
	s_mov_b32 s4, exec_lo
	s_delay_alu instid0(VALU_DEP_3) | instskip(SKIP_1) | instid1(VALU_DEP_2)
	v_sub_nc_u32_e64 v6, 0x400, v4 clamp
	v_lshlrev_b64_e32 v[4:5], 2, v[4:5]
	v_min_u32_e32 v31, v6, v7
	s_delay_alu instid0(VALU_DEP_2) | instskip(SKIP_1) | instid1(VALU_DEP_3)
	v_add_co_u32 v5, null, v15, v4
	v_and_b32_e32 v15, 4, v51
	v_add_nc_u32_e32 v7, 4, v31
	v_sub_nc_u32_e32 v24, v31, v33
	s_delay_alu instid0(VALU_DEP_4) | instskip(NEXT) | instid1(VALU_DEP_4)
	v_add_co_u32 v4, null, v5, v4
	v_min_u32_e32 v34, v6, v15
	s_delay_alu instid0(VALU_DEP_4) | instskip(SKIP_1) | instid1(VALU_DEP_4)
	v_min_u32_e32 v32, v6, v7
	v_lshl_add_u32 v7, v51, 2, v5
	v_lshl_add_u32 v29, v51, 3, v4
	s_delay_alu instid0(VALU_DEP_3) | instskip(NEXT) | instid1(VALU_DEP_2)
	v_sub_nc_u32_e32 v15, v32, v31
	v_add_nc_u32_e32 v25, 0x1000, v29
	s_wait_loadcnt_dscnt 0x0
	ds_store_2addr_b32 v7, v53, v52 offset1:1
	ds_store_2addr_b64 v25, v[16:17], v[18:19] offset1:1
	ds_store_2addr_b32 v7, v30, v11 offset0:2 offset1:3
	ds_store_2addr_b64 v25, v[20:21], v[22:23] offset0:2 offset1:3
	v_sub_nc_u32_e64 v35, v34, v15 clamp
	v_min_u32_e32 v15, v34, v24
	; wave barrier
	s_delay_alu instid0(VALU_DEP_1)
	v_cmpx_lt_u32_e64 v35, v15
	s_cbranch_execz .LBB1350_33
; %bb.30:
	v_lshlrev_b32_e32 v24, 2, v33
	v_lshlrev_b32_e32 v25, 2, v31
	s_mov_b32 s5, 0
	s_delay_alu instid0(VALU_DEP_2) | instskip(NEXT) | instid1(VALU_DEP_2)
	v_add_co_u32 v24, null, v5, v24
	v_add_co_u32 v25, null, v5, v25
.LBB1350_31:                            ; =>This Inner Loop Header: Depth=1
	v_add_nc_u32_e32 v26, v15, v35
	s_delay_alu instid0(VALU_DEP_1) | instskip(NEXT) | instid1(VALU_DEP_1)
	v_lshrrev_b32_e32 v26, 1, v26
	v_xad_u32 v27, v26, -1, v34
	v_lshl_add_u32 v28, v26, 2, v24
	s_delay_alu instid0(VALU_DEP_2) | instskip(SKIP_4) | instid1(VALU_DEP_1)
	v_lshl_add_u32 v27, v27, 2, v25
	ds_load_b32 v28, v28
	ds_load_b32 v27, v27
	s_wait_dscnt 0x0
	v_dual_add_f32 v28, 0, v28 :: v_dual_add_f32 v27, 0, v27
	v_ashrrev_i32_e32 v36, 31, v28
	s_delay_alu instid0(VALU_DEP_2) | instskip(NEXT) | instid1(VALU_DEP_2)
	v_ashrrev_i32_e32 v37, 31, v27
	v_or_b32_e32 v36, 0x80000000, v36
	s_delay_alu instid0(VALU_DEP_2) | instskip(NEXT) | instid1(VALU_DEP_2)
	v_or_b32_e32 v37, 0x80000000, v37
	v_xor_b32_e32 v28, v36, v28
	s_delay_alu instid0(VALU_DEP_2) | instskip(SKIP_1) | instid1(VALU_DEP_2)
	v_xor_b32_e32 v27, v37, v27
	v_add_nc_u32_e32 v36, 1, v26
	v_cmp_gt_u32_e64 s3, v27, v28
	s_wait_alu 0xf1ff
	s_delay_alu instid0(VALU_DEP_1) | instskip(NEXT) | instid1(VALU_DEP_3)
	v_cndmask_b32_e64 v15, v15, v26, s3
	v_cndmask_b32_e64 v35, v36, v35, s3
	s_delay_alu instid0(VALU_DEP_1)
	v_cmp_ge_u32_e64 s3, v35, v15
	s_wait_alu 0xfffe
	s_or_b32 s5, s3, s5
	s_wait_alu 0xfffe
	s_and_not1_b32 exec_lo, exec_lo, s5
	s_cbranch_execnz .LBB1350_31
; %bb.32:
	s_or_b32 exec_lo, exec_lo, s5
.LBB1350_33:
	s_wait_alu 0xfffe
	s_or_b32 exec_lo, exec_lo, s4
	v_add_nc_u32_e32 v36, v31, v34
	v_add_nc_u32_e32 v34, v35, v33
	;; [unrolled: 1-line block ×5, first 2 shown]
	v_sub_nc_u32_e32 v35, v36, v35
	v_cmp_le_u32_e64 s3, v34, v31
	v_add_nc_u32_e32 v25, 8, v7
	v_add_nc_u32_e32 v28, 0x1010, v29
	;; [unrolled: 1-line block ×3, first 2 shown]
	v_cmp_le_u32_e64 s4, v35, v32
	v_add_nc_u32_e32 v29, 0x1018, v29
	s_or_b32 s3, s3, s4
	s_wait_alu 0xfffe
	s_and_saveexec_b32 s5, s3
	s_cbranch_execz .LBB1350_53
; %bb.34:
	v_cmp_ge_u32_e64 s3, v34, v31
	s_mov_b32 s7, exec_lo
                                        ; implicit-def: $vgpr11
	v_cmpx_lt_u32_e64 v34, v31
; %bb.35:
	v_lshl_add_u32 v11, v34, 2, v5
	ds_load_b32 v11, v11
; %bb.36:
	s_wait_alu 0xfffe
	s_or_b32 exec_lo, exec_lo, s7
	v_cmp_ge_u32_e64 s7, v35, v32
	s_mov_b32 s10, exec_lo
                                        ; implicit-def: $vgpr33
	v_cmpx_lt_u32_e64 v35, v32
; %bb.37:
	v_lshl_add_u32 v16, v35, 2, v5
	ds_load_b32 v33, v16
; %bb.38:
	s_wait_alu 0xfffe
	s_or_b32 exec_lo, exec_lo, s10
	s_nor_b32 s3, s3, s7
	s_wait_alu 0xfffe
	s_and_saveexec_b32 s4, s3
	s_cbranch_execz .LBB1350_40
; %bb.39:
	s_wait_dscnt 0x0
	v_dual_add_f32 v16, 0, v33 :: v_dual_add_f32 v17, 0, v11
	s_and_not1_b32 s7, s7, exec_lo
	s_delay_alu instid0(VALU_DEP_1) | instskip(NEXT) | instid1(VALU_DEP_2)
	v_ashrrev_i32_e32 v18, 31, v16
	v_ashrrev_i32_e32 v19, 31, v17
	s_delay_alu instid0(VALU_DEP_2) | instskip(NEXT) | instid1(VALU_DEP_2)
	v_or_b32_e32 v18, 0x80000000, v18
	v_or_b32_e32 v19, 0x80000000, v19
	s_delay_alu instid0(VALU_DEP_2) | instskip(NEXT) | instid1(VALU_DEP_2)
	v_xor_b32_e32 v16, v18, v16
	v_xor_b32_e32 v17, v19, v17
	s_delay_alu instid0(VALU_DEP_1)
	v_cmp_le_u32_e64 s3, v16, v17
	s_and_b32 s3, s3, exec_lo
	s_wait_alu 0xfffe
	s_or_b32 s7, s7, s3
.LBB1350_40:
	s_wait_alu 0xfffe
	s_or_b32 exec_lo, exec_lo, s4
	v_cndmask_b32_e64 v16, v35, v34, s7
	v_cndmask_b32_e64 v17, v32, v31, s7
	s_mov_b32 s10, -1
	s_mov_b32 s4, -1
	s_mov_b32 s11, exec_lo
	v_add_nc_u32_e32 v18, 1, v16
	v_add_nc_u32_e32 v17, -1, v17
	v_lshl_add_u32 v16, v16, 3, v4
	s_delay_alu instid0(VALU_DEP_3) | instskip(NEXT) | instid1(VALU_DEP_3)
	v_cndmask_b32_e64 v20, v18, v35, s7
	v_min_u32_e32 v17, v18, v17
	v_cndmask_b32_e64 v21, v34, v18, s7
	s_delay_alu instid0(VALU_DEP_2)
	v_lshl_add_u32 v17, v17, 2, v5
	ds_load_b32 v19, v17
	ds_load_b64 v[16:17], v16 offset:4096
	s_wait_dscnt 0x1
	v_cndmask_b32_e64 v34, v19, v33, s7
	v_cndmask_b32_e64 v35, v11, v19, s7
	v_cmpx_lt_u32_e64 v20, v32
	s_cbranch_execz .LBB1350_44
; %bb.41:
	s_mov_b32 s12, 0
	s_mov_b32 s4, exec_lo
	v_cmpx_lt_u32_e64 v21, v31
	s_cbranch_execz .LBB1350_43
; %bb.42:
	v_dual_add_f32 v18, 0, v34 :: v_dual_add_f32 v19, 0, v35
	s_delay_alu instid0(VALU_DEP_1) | instskip(NEXT) | instid1(VALU_DEP_2)
	v_ashrrev_i32_e32 v22, 31, v18
	v_ashrrev_i32_e32 v23, 31, v19
	s_delay_alu instid0(VALU_DEP_2) | instskip(NEXT) | instid1(VALU_DEP_2)
	v_or_b32_e32 v22, 0x80000000, v22
	v_or_b32_e32 v23, 0x80000000, v23
	s_delay_alu instid0(VALU_DEP_2) | instskip(NEXT) | instid1(VALU_DEP_2)
	v_xor_b32_e32 v18, v22, v18
	v_xor_b32_e32 v19, v23, v19
	s_delay_alu instid0(VALU_DEP_1)
	v_cmp_le_u32_e64 s3, v18, v19
	s_and_b32 s12, s3, exec_lo
.LBB1350_43:
	s_wait_alu 0xfffe
	s_or_b32 exec_lo, exec_lo, s4
	s_delay_alu instid0(SALU_CYCLE_1)
	s_or_not1_b32 s4, s12, exec_lo
.LBB1350_44:
	s_wait_alu 0xfffe
	s_or_b32 exec_lo, exec_lo, s11
	v_cndmask_b32_e64 v18, v20, v21, s4
	v_cndmask_b32_e64 v19, v32, v31, s4
	s_mov_b32 s11, exec_lo
	s_delay_alu instid0(VALU_DEP_2) | instskip(NEXT) | instid1(VALU_DEP_2)
	v_add_nc_u32_e32 v23, 1, v18
	v_add_nc_u32_e32 v19, -1, v19
	v_lshl_add_u32 v18, v18, 3, v4
	s_delay_alu instid0(VALU_DEP_3) | instskip(NEXT) | instid1(VALU_DEP_3)
	v_cndmask_b32_e64 v22, v23, v20, s4
	v_min_u32_e32 v19, v23, v19
	v_cndmask_b32_e64 v23, v21, v23, s4
	s_delay_alu instid0(VALU_DEP_2)
	v_lshl_add_u32 v19, v19, 2, v5
	ds_load_b32 v36, v19
	ds_load_b64 v[18:19], v18 offset:4096
	s_wait_dscnt 0x1
	v_cndmask_b32_e64 v30, v36, v34, s4
	v_cndmask_b32_e64 v36, v35, v36, s4
	v_cmpx_lt_u32_e64 v22, v32
	s_cbranch_execz .LBB1350_48
; %bb.45:
	s_mov_b32 s12, 0
	s_mov_b32 s10, exec_lo
	v_cmpx_lt_u32_e64 v23, v31
	s_cbranch_execz .LBB1350_47
; %bb.46:
	v_dual_add_f32 v20, 0, v30 :: v_dual_add_f32 v21, 0, v36
	s_delay_alu instid0(VALU_DEP_1) | instskip(NEXT) | instid1(VALU_DEP_2)
	v_ashrrev_i32_e32 v37, 31, v20
	v_ashrrev_i32_e32 v38, 31, v21
	s_delay_alu instid0(VALU_DEP_2) | instskip(NEXT) | instid1(VALU_DEP_2)
	v_or_b32_e32 v37, 0x80000000, v37
	v_or_b32_e32 v38, 0x80000000, v38
	s_delay_alu instid0(VALU_DEP_2) | instskip(NEXT) | instid1(VALU_DEP_2)
	v_xor_b32_e32 v20, v37, v20
	v_xor_b32_e32 v21, v38, v21
	s_delay_alu instid0(VALU_DEP_1)
	v_cmp_le_u32_e64 s3, v20, v21
	s_and_b32 s12, s3, exec_lo
.LBB1350_47:
	s_wait_alu 0xfffe
	s_or_b32 exec_lo, exec_lo, s10
	s_delay_alu instid0(SALU_CYCLE_1)
	s_or_not1_b32 s10, s12, exec_lo
.LBB1350_48:
	s_wait_alu 0xfffe
	s_or_b32 exec_lo, exec_lo, s11
	v_cndmask_b32_e64 v20, v22, v23, s10
	v_cndmask_b32_e64 v21, v32, v31, s10
	s_mov_b32 s12, -1
	s_mov_b32 s11, exec_lo
	s_delay_alu instid0(VALU_DEP_2) | instskip(NEXT) | instid1(VALU_DEP_2)
	v_add_nc_u32_e32 v37, 1, v20
	v_add_nc_u32_e32 v21, -1, v21
	v_lshl_add_u32 v20, v20, 3, v4
	s_delay_alu instid0(VALU_DEP_3) | instskip(NEXT) | instid1(VALU_DEP_3)
	v_cndmask_b32_e64 v22, v37, v22, s10
	v_min_u32_e32 v21, v37, v21
	v_cndmask_b32_e64 v23, v23, v37, s10
	s_delay_alu instid0(VALU_DEP_2)
	v_lshl_add_u32 v21, v21, 2, v5
	ds_load_b32 v38, v21
	ds_load_b64 v[20:21], v20 offset:4096
	s_wait_dscnt 0x1
	v_cndmask_b32_e64 v37, v38, v30, s10
	v_cndmask_b32_e64 v38, v36, v38, s10
	v_cmpx_lt_u32_e64 v22, v32
	s_cbranch_execz .LBB1350_52
; %bb.49:
	s_mov_b32 s13, 0
	s_mov_b32 s12, exec_lo
	v_cmpx_lt_u32_e64 v23, v31
	s_cbranch_execz .LBB1350_51
; %bb.50:
	v_dual_add_f32 v31, 0, v37 :: v_dual_add_f32 v32, 0, v38
	s_delay_alu instid0(VALU_DEP_1) | instskip(NEXT) | instid1(VALU_DEP_2)
	v_ashrrev_i32_e32 v39, 31, v31
	v_ashrrev_i32_e32 v52, 31, v32
	s_delay_alu instid0(VALU_DEP_2) | instskip(NEXT) | instid1(VALU_DEP_2)
	v_or_b32_e32 v39, 0x80000000, v39
	v_or_b32_e32 v52, 0x80000000, v52
	s_delay_alu instid0(VALU_DEP_2) | instskip(NEXT) | instid1(VALU_DEP_2)
	v_xor_b32_e32 v31, v39, v31
	v_xor_b32_e32 v32, v52, v32
	s_delay_alu instid0(VALU_DEP_1)
	v_cmp_le_u32_e64 s3, v31, v32
	s_and_b32 s13, s3, exec_lo
.LBB1350_51:
	s_wait_alu 0xfffe
	s_or_b32 exec_lo, exec_lo, s12
	s_delay_alu instid0(SALU_CYCLE_1)
	s_or_not1_b32 s12, s13, exec_lo
.LBB1350_52:
	s_wait_alu 0xfffe
	s_or_b32 exec_lo, exec_lo, s11
	v_cndmask_b32_e64 v22, v22, v23, s12
	v_cndmask_b32_e64 v30, v30, v36, s10
	;; [unrolled: 1-line block ×5, first 2 shown]
	v_lshl_add_u32 v22, v22, 3, v4
	ds_load_b64 v[22:23], v22 offset:4096
.LBB1350_53:
	s_wait_alu 0xfffe
	s_or_b32 exec_lo, exec_lo, s5
	v_and_b32_e32 v33, 0x70, v51
	v_and_b32_e32 v34, 12, v51
	s_mov_b32 s4, exec_lo
	; wave barrier
	s_delay_alu instid0(VALU_DEP_2) | instskip(NEXT) | instid1(VALU_DEP_2)
	v_or_b32_e32 v31, 8, v33
	v_min_u32_e32 v34, v6, v34
	ds_store_b32 v7, v53
	ds_store_b64 v27, v[16:17]
	ds_store_b32 v15, v52
	ds_store_b64 v24, v[18:19]
	ds_store_b32 v25, v30
	s_wait_dscnt 0x6
	ds_store_b64 v28, v[20:21]
	ds_store_b32 v26, v11
	s_wait_dscnt 0x7
	ds_store_b64 v29, v[22:23]
	v_min_u32_e32 v31, v6, v31
	; wave barrier
	s_delay_alu instid0(VALU_DEP_1) | instskip(SKIP_1) | instid1(VALU_DEP_2)
	v_add_nc_u32_e32 v32, 8, v31
	v_sub_nc_u32_e32 v36, v31, v33
	v_min_u32_e32 v32, v6, v32
	s_delay_alu instid0(VALU_DEP_2) | instskip(NEXT) | instid1(VALU_DEP_2)
	v_min_u32_e32 v36, v34, v36
	v_sub_nc_u32_e32 v35, v32, v31
	s_delay_alu instid0(VALU_DEP_1) | instskip(NEXT) | instid1(VALU_DEP_1)
	v_sub_nc_u32_e64 v35, v34, v35 clamp
	v_cmpx_lt_u32_e64 v35, v36
	s_cbranch_execz .LBB1350_57
; %bb.54:
	v_lshlrev_b32_e32 v37, 2, v33
	v_lshlrev_b32_e32 v38, 2, v31
	s_mov_b32 s5, 0
	s_delay_alu instid0(VALU_DEP_2) | instskip(NEXT) | instid1(VALU_DEP_2)
	v_add_co_u32 v37, null, v5, v37
	v_add_co_u32 v38, null, v5, v38
.LBB1350_55:                            ; =>This Inner Loop Header: Depth=1
	v_add_nc_u32_e32 v39, v36, v35
	s_delay_alu instid0(VALU_DEP_1) | instskip(NEXT) | instid1(VALU_DEP_1)
	v_lshrrev_b32_e32 v39, 1, v39
	v_xad_u32 v54, v39, -1, v34
	v_lshl_add_u32 v55, v39, 2, v37
	s_delay_alu instid0(VALU_DEP_2) | instskip(SKIP_4) | instid1(VALU_DEP_1)
	v_lshl_add_u32 v54, v54, 2, v38
	ds_load_b32 v55, v55
	ds_load_b32 v54, v54
	s_wait_dscnt 0x0
	v_dual_add_f32 v55, 0, v55 :: v_dual_add_f32 v54, 0, v54
	v_ashrrev_i32_e32 v64, 31, v55
	s_delay_alu instid0(VALU_DEP_2) | instskip(NEXT) | instid1(VALU_DEP_2)
	v_ashrrev_i32_e32 v65, 31, v54
	v_or_b32_e32 v64, 0x80000000, v64
	s_delay_alu instid0(VALU_DEP_2) | instskip(NEXT) | instid1(VALU_DEP_2)
	v_or_b32_e32 v65, 0x80000000, v65
	v_xor_b32_e32 v55, v64, v55
	s_delay_alu instid0(VALU_DEP_2) | instskip(SKIP_1) | instid1(VALU_DEP_2)
	v_xor_b32_e32 v54, v65, v54
	v_add_nc_u32_e32 v64, 1, v39
	v_cmp_gt_u32_e64 s3, v54, v55
	s_wait_alu 0xf1ff
	s_delay_alu instid0(VALU_DEP_1) | instskip(NEXT) | instid1(VALU_DEP_3)
	v_cndmask_b32_e64 v36, v36, v39, s3
	v_cndmask_b32_e64 v35, v64, v35, s3
	s_delay_alu instid0(VALU_DEP_1)
	v_cmp_ge_u32_e64 s3, v35, v36
	s_wait_alu 0xfffe
	s_or_b32 s5, s3, s5
	s_wait_alu 0xfffe
	s_and_not1_b32 exec_lo, exec_lo, s5
	s_cbranch_execnz .LBB1350_55
; %bb.56:
	s_or_b32 exec_lo, exec_lo, s5
.LBB1350_57:
	s_wait_alu 0xfffe
	s_or_b32 exec_lo, exec_lo, s4
	v_add_nc_u32_e32 v36, v31, v34
	v_add_nc_u32_e32 v34, v35, v33
	s_delay_alu instid0(VALU_DEP_2) | instskip(NEXT) | instid1(VALU_DEP_2)
	v_sub_nc_u32_e32 v35, v36, v35
	v_cmp_le_u32_e64 s3, v34, v31
	s_delay_alu instid0(VALU_DEP_2)
	v_cmp_le_u32_e64 s4, v35, v32
	s_or_b32 s3, s3, s4
	s_wait_alu 0xfffe
	s_and_saveexec_b32 s5, s3
	s_cbranch_execz .LBB1350_77
; %bb.58:
	v_cmp_ge_u32_e64 s3, v34, v31
	s_mov_b32 s7, exec_lo
                                        ; implicit-def: $vgpr11
	v_cmpx_lt_u32_e64 v34, v31
; %bb.59:
	v_lshl_add_u32 v11, v34, 2, v5
	ds_load_b32 v11, v11
; %bb.60:
	s_wait_alu 0xfffe
	s_or_b32 exec_lo, exec_lo, s7
	v_cmp_ge_u32_e64 s7, v35, v32
	s_mov_b32 s10, exec_lo
                                        ; implicit-def: $vgpr33
	v_cmpx_lt_u32_e64 v35, v32
; %bb.61:
	v_lshl_add_u32 v16, v35, 2, v5
	ds_load_b32 v33, v16
; %bb.62:
	s_wait_alu 0xfffe
	s_or_b32 exec_lo, exec_lo, s10
	s_nor_b32 s3, s3, s7
	s_wait_alu 0xfffe
	s_and_saveexec_b32 s4, s3
	s_cbranch_execz .LBB1350_64
; %bb.63:
	s_wait_dscnt 0x0
	v_dual_add_f32 v16, 0, v33 :: v_dual_add_f32 v17, 0, v11
	s_and_not1_b32 s7, s7, exec_lo
	s_delay_alu instid0(VALU_DEP_1) | instskip(NEXT) | instid1(VALU_DEP_2)
	v_ashrrev_i32_e32 v18, 31, v16
	v_ashrrev_i32_e32 v19, 31, v17
	s_delay_alu instid0(VALU_DEP_2) | instskip(NEXT) | instid1(VALU_DEP_2)
	v_or_b32_e32 v18, 0x80000000, v18
	v_or_b32_e32 v19, 0x80000000, v19
	s_delay_alu instid0(VALU_DEP_2) | instskip(NEXT) | instid1(VALU_DEP_2)
	v_xor_b32_e32 v16, v18, v16
	v_xor_b32_e32 v17, v19, v17
	s_delay_alu instid0(VALU_DEP_1)
	v_cmp_le_u32_e64 s3, v16, v17
	s_and_b32 s3, s3, exec_lo
	s_wait_alu 0xfffe
	s_or_b32 s7, s7, s3
.LBB1350_64:
	s_wait_alu 0xfffe
	s_or_b32 exec_lo, exec_lo, s4
	v_cndmask_b32_e64 v16, v35, v34, s7
	v_cndmask_b32_e64 v17, v32, v31, s7
	s_mov_b32 s10, -1
	s_mov_b32 s4, -1
	s_mov_b32 s11, exec_lo
	v_add_nc_u32_e32 v18, 1, v16
	v_add_nc_u32_e32 v17, -1, v17
	v_lshl_add_u32 v16, v16, 3, v4
	s_delay_alu instid0(VALU_DEP_3) | instskip(NEXT) | instid1(VALU_DEP_3)
	v_cndmask_b32_e64 v20, v18, v35, s7
	v_min_u32_e32 v17, v18, v17
	v_cndmask_b32_e64 v21, v34, v18, s7
	s_delay_alu instid0(VALU_DEP_2)
	v_lshl_add_u32 v17, v17, 2, v5
	ds_load_b32 v19, v17
	ds_load_b64 v[16:17], v16 offset:4096
	s_wait_dscnt 0x1
	v_cndmask_b32_e64 v34, v19, v33, s7
	v_cndmask_b32_e64 v35, v11, v19, s7
	v_cmpx_lt_u32_e64 v20, v32
	s_cbranch_execz .LBB1350_68
; %bb.65:
	s_mov_b32 s12, 0
	s_mov_b32 s4, exec_lo
	v_cmpx_lt_u32_e64 v21, v31
	s_cbranch_execz .LBB1350_67
; %bb.66:
	v_dual_add_f32 v18, 0, v34 :: v_dual_add_f32 v19, 0, v35
	s_delay_alu instid0(VALU_DEP_1) | instskip(NEXT) | instid1(VALU_DEP_2)
	v_ashrrev_i32_e32 v22, 31, v18
	v_ashrrev_i32_e32 v23, 31, v19
	s_delay_alu instid0(VALU_DEP_2) | instskip(NEXT) | instid1(VALU_DEP_2)
	v_or_b32_e32 v22, 0x80000000, v22
	v_or_b32_e32 v23, 0x80000000, v23
	s_delay_alu instid0(VALU_DEP_2) | instskip(NEXT) | instid1(VALU_DEP_2)
	v_xor_b32_e32 v18, v22, v18
	v_xor_b32_e32 v19, v23, v19
	s_delay_alu instid0(VALU_DEP_1)
	v_cmp_le_u32_e64 s3, v18, v19
	s_and_b32 s12, s3, exec_lo
.LBB1350_67:
	s_wait_alu 0xfffe
	s_or_b32 exec_lo, exec_lo, s4
	s_delay_alu instid0(SALU_CYCLE_1)
	s_or_not1_b32 s4, s12, exec_lo
.LBB1350_68:
	s_wait_alu 0xfffe
	s_or_b32 exec_lo, exec_lo, s11
	v_cndmask_b32_e64 v18, v20, v21, s4
	v_cndmask_b32_e64 v19, v32, v31, s4
	s_mov_b32 s11, exec_lo
	s_delay_alu instid0(VALU_DEP_2) | instskip(NEXT) | instid1(VALU_DEP_2)
	v_add_nc_u32_e32 v23, 1, v18
	v_add_nc_u32_e32 v19, -1, v19
	v_lshl_add_u32 v18, v18, 3, v4
	s_delay_alu instid0(VALU_DEP_3) | instskip(NEXT) | instid1(VALU_DEP_3)
	v_cndmask_b32_e64 v22, v23, v20, s4
	v_min_u32_e32 v19, v23, v19
	v_cndmask_b32_e64 v23, v21, v23, s4
	s_delay_alu instid0(VALU_DEP_2)
	v_lshl_add_u32 v19, v19, 2, v5
	ds_load_b32 v36, v19
	ds_load_b64 v[18:19], v18 offset:4096
	s_wait_dscnt 0x1
	v_cndmask_b32_e64 v30, v36, v34, s4
	v_cndmask_b32_e64 v36, v35, v36, s4
	v_cmpx_lt_u32_e64 v22, v32
	s_cbranch_execz .LBB1350_72
; %bb.69:
	s_mov_b32 s12, 0
	s_mov_b32 s10, exec_lo
	v_cmpx_lt_u32_e64 v23, v31
	s_cbranch_execz .LBB1350_71
; %bb.70:
	v_dual_add_f32 v20, 0, v30 :: v_dual_add_f32 v21, 0, v36
	s_delay_alu instid0(VALU_DEP_1) | instskip(NEXT) | instid1(VALU_DEP_2)
	v_ashrrev_i32_e32 v37, 31, v20
	v_ashrrev_i32_e32 v38, 31, v21
	s_delay_alu instid0(VALU_DEP_2) | instskip(NEXT) | instid1(VALU_DEP_2)
	v_or_b32_e32 v37, 0x80000000, v37
	v_or_b32_e32 v38, 0x80000000, v38
	s_delay_alu instid0(VALU_DEP_2) | instskip(NEXT) | instid1(VALU_DEP_2)
	v_xor_b32_e32 v20, v37, v20
	v_xor_b32_e32 v21, v38, v21
	s_delay_alu instid0(VALU_DEP_1)
	v_cmp_le_u32_e64 s3, v20, v21
	s_and_b32 s12, s3, exec_lo
.LBB1350_71:
	s_wait_alu 0xfffe
	s_or_b32 exec_lo, exec_lo, s10
	s_delay_alu instid0(SALU_CYCLE_1)
	s_or_not1_b32 s10, s12, exec_lo
.LBB1350_72:
	s_wait_alu 0xfffe
	s_or_b32 exec_lo, exec_lo, s11
	v_cndmask_b32_e64 v20, v22, v23, s10
	v_cndmask_b32_e64 v21, v32, v31, s10
	s_mov_b32 s12, -1
	s_mov_b32 s11, exec_lo
	s_delay_alu instid0(VALU_DEP_2) | instskip(NEXT) | instid1(VALU_DEP_2)
	v_add_nc_u32_e32 v37, 1, v20
	v_add_nc_u32_e32 v21, -1, v21
	v_lshl_add_u32 v20, v20, 3, v4
	s_delay_alu instid0(VALU_DEP_3) | instskip(NEXT) | instid1(VALU_DEP_3)
	v_cndmask_b32_e64 v22, v37, v22, s10
	v_min_u32_e32 v21, v37, v21
	v_cndmask_b32_e64 v23, v23, v37, s10
	s_delay_alu instid0(VALU_DEP_2)
	v_lshl_add_u32 v21, v21, 2, v5
	ds_load_b32 v38, v21
	ds_load_b64 v[20:21], v20 offset:4096
	s_wait_dscnt 0x1
	v_cndmask_b32_e64 v37, v38, v30, s10
	v_cndmask_b32_e64 v38, v36, v38, s10
	v_cmpx_lt_u32_e64 v22, v32
	s_cbranch_execz .LBB1350_76
; %bb.73:
	s_mov_b32 s13, 0
	s_mov_b32 s12, exec_lo
	v_cmpx_lt_u32_e64 v23, v31
	s_cbranch_execz .LBB1350_75
; %bb.74:
	v_dual_add_f32 v31, 0, v37 :: v_dual_add_f32 v32, 0, v38
	s_delay_alu instid0(VALU_DEP_1) | instskip(NEXT) | instid1(VALU_DEP_2)
	v_ashrrev_i32_e32 v39, 31, v31
	v_ashrrev_i32_e32 v52, 31, v32
	s_delay_alu instid0(VALU_DEP_2) | instskip(NEXT) | instid1(VALU_DEP_2)
	v_or_b32_e32 v39, 0x80000000, v39
	v_or_b32_e32 v52, 0x80000000, v52
	s_delay_alu instid0(VALU_DEP_2) | instskip(NEXT) | instid1(VALU_DEP_2)
	v_xor_b32_e32 v31, v39, v31
	v_xor_b32_e32 v32, v52, v32
	s_delay_alu instid0(VALU_DEP_1)
	v_cmp_le_u32_e64 s3, v31, v32
	s_and_b32 s13, s3, exec_lo
.LBB1350_75:
	s_wait_alu 0xfffe
	s_or_b32 exec_lo, exec_lo, s12
	s_delay_alu instid0(SALU_CYCLE_1)
	s_or_not1_b32 s12, s13, exec_lo
.LBB1350_76:
	s_wait_alu 0xfffe
	s_or_b32 exec_lo, exec_lo, s11
	v_cndmask_b32_e64 v22, v22, v23, s12
	v_cndmask_b32_e64 v30, v30, v36, s10
	;; [unrolled: 1-line block ×5, first 2 shown]
	v_lshl_add_u32 v22, v22, 3, v4
	ds_load_b64 v[22:23], v22 offset:4096
.LBB1350_77:
	s_wait_alu 0xfffe
	s_or_b32 exec_lo, exec_lo, s5
	v_and_b32_e32 v33, 0x60, v51
	; wave barrier
	ds_store_b32 v7, v53
	ds_store_b64 v27, v[16:17]
	s_mov_b32 s4, exec_lo
	v_or_b32_e32 v31, 16, v33
	ds_store_b32 v15, v52
	ds_store_b64 v24, v[18:19]
	ds_store_b32 v25, v30
	s_wait_dscnt 0x6
	ds_store_b64 v28, v[20:21]
	ds_store_b32 v26, v11
	s_wait_dscnt 0x7
	ds_store_b64 v29, v[22:23]
	; wave barrier
	v_min_u32_e32 v31, v6, v31
	s_delay_alu instid0(VALU_DEP_1) | instskip(SKIP_1) | instid1(VALU_DEP_2)
	v_add_nc_u32_e32 v32, 16, v31
	v_sub_nc_u32_e32 v35, v31, v33
	v_min_u32_e32 v32, v6, v32
	v_min_u32_e32 v6, v6, v12
	s_delay_alu instid0(VALU_DEP_2) | instskip(NEXT) | instid1(VALU_DEP_2)
	v_sub_nc_u32_e32 v34, v32, v31
	v_min_u32_e32 v27, v6, v35
	s_delay_alu instid0(VALU_DEP_2) | instskip(NEXT) | instid1(VALU_DEP_1)
	v_sub_nc_u32_e64 v7, v6, v34 clamp
	v_cmpx_lt_u32_e64 v7, v27
	s_cbranch_execz .LBB1350_81
; %bb.78:
	v_lshlrev_b32_e32 v15, 2, v33
	v_lshlrev_b32_e32 v24, 2, v31
	s_mov_b32 s5, 0
	s_delay_alu instid0(VALU_DEP_2) | instskip(NEXT) | instid1(VALU_DEP_2)
	v_add_co_u32 v15, null, v5, v15
	v_add_co_u32 v24, null, v5, v24
.LBB1350_79:                            ; =>This Inner Loop Header: Depth=1
	v_add_nc_u32_e32 v25, v27, v7
	s_delay_alu instid0(VALU_DEP_1) | instskip(NEXT) | instid1(VALU_DEP_1)
	v_lshrrev_b32_e32 v25, 1, v25
	v_xad_u32 v26, v25, -1, v6
	v_lshl_add_u32 v28, v25, 2, v15
	s_delay_alu instid0(VALU_DEP_2)
	v_lshl_add_u32 v26, v26, 2, v24
	ds_load_b32 v28, v28
	ds_load_b32 v26, v26
	s_wait_dscnt 0x1
	v_add_f32_e32 v28, 0, v28
	s_wait_dscnt 0x0
	v_add_f32_e32 v26, 0, v26
	s_delay_alu instid0(VALU_DEP_2) | instskip(NEXT) | instid1(VALU_DEP_1)
	v_ashrrev_i32_e32 v29, 31, v28
	v_or_b32_e32 v29, 0x80000000, v29
	s_delay_alu instid0(VALU_DEP_1) | instskip(SKIP_2) | instid1(VALU_DEP_1)
	v_xor_b32_e32 v28, v29, v28
	v_add_nc_u32_e32 v29, 1, v25
	v_ashrrev_i32_e32 v34, 31, v26
	v_or_b32_e32 v34, 0x80000000, v34
	s_delay_alu instid0(VALU_DEP_1) | instskip(NEXT) | instid1(VALU_DEP_1)
	v_xor_b32_e32 v26, v34, v26
	v_cmp_gt_u32_e64 s3, v26, v28
	s_wait_alu 0xf1ff
	s_delay_alu instid0(VALU_DEP_1) | instskip(SKIP_1) | instid1(VALU_DEP_1)
	v_cndmask_b32_e64 v27, v27, v25, s3
	v_cndmask_b32_e64 v7, v29, v7, s3
	v_cmp_ge_u32_e64 s3, v7, v27
	s_wait_alu 0xfffe
	s_or_b32 s5, s3, s5
	s_wait_alu 0xfffe
	s_and_not1_b32 exec_lo, exec_lo, s5
	s_cbranch_execnz .LBB1350_79
; %bb.80:
	s_or_b32 exec_lo, exec_lo, s5
.LBB1350_81:
	s_wait_alu 0xfffe
	s_or_b32 exec_lo, exec_lo, s4
	v_add_nc_u32_e32 v6, v31, v6
	v_add_nc_u32_e32 v15, v7, v33
	s_delay_alu instid0(VALU_DEP_2) | instskip(NEXT) | instid1(VALU_DEP_2)
	v_sub_nc_u32_e32 v24, v6, v7
	v_cmp_le_u32_e64 s3, v15, v31
	s_delay_alu instid0(VALU_DEP_2)
	v_cmp_le_u32_e64 s4, v24, v32
	s_or_b32 s3, s3, s4
	s_wait_alu 0xfffe
	s_and_saveexec_b32 s5, s3
	s_cbranch_execz .LBB1350_101
; %bb.82:
	v_cmp_ge_u32_e64 s3, v15, v31
	s_mov_b32 s7, exec_lo
                                        ; implicit-def: $vgpr6
	v_cmpx_lt_u32_e64 v15, v31
; %bb.83:
	v_lshl_add_u32 v6, v15, 2, v5
	ds_load_b32 v6, v6
; %bb.84:
	s_wait_alu 0xfffe
	s_or_b32 exec_lo, exec_lo, s7
	v_cmp_ge_u32_e64 s7, v24, v32
	s_mov_b32 s10, exec_lo
                                        ; implicit-def: $vgpr7
	v_cmpx_lt_u32_e64 v24, v32
; %bb.85:
	v_lshl_add_u32 v7, v24, 2, v5
	ds_load_b32 v7, v7
; %bb.86:
	s_wait_alu 0xfffe
	s_or_b32 exec_lo, exec_lo, s10
	s_nor_b32 s3, s3, s7
	s_wait_alu 0xfffe
	s_and_saveexec_b32 s4, s3
	s_cbranch_execz .LBB1350_88
; %bb.87:
	s_wait_dscnt 0x0
	v_dual_add_f32 v11, 0, v7 :: v_dual_add_f32 v16, 0, v6
	s_and_not1_b32 s7, s7, exec_lo
	s_delay_alu instid0(VALU_DEP_1) | instskip(NEXT) | instid1(VALU_DEP_2)
	v_ashrrev_i32_e32 v17, 31, v11
	v_ashrrev_i32_e32 v18, 31, v16
	s_delay_alu instid0(VALU_DEP_2) | instskip(NEXT) | instid1(VALU_DEP_2)
	v_or_b32_e32 v17, 0x80000000, v17
	v_or_b32_e32 v18, 0x80000000, v18
	s_delay_alu instid0(VALU_DEP_2) | instskip(NEXT) | instid1(VALU_DEP_2)
	v_xor_b32_e32 v11, v17, v11
	v_xor_b32_e32 v16, v18, v16
	s_delay_alu instid0(VALU_DEP_1)
	v_cmp_le_u32_e64 s3, v11, v16
	s_and_b32 s3, s3, exec_lo
	s_wait_alu 0xfffe
	s_or_b32 s7, s7, s3
.LBB1350_88:
	s_wait_alu 0xfffe
	s_or_b32 exec_lo, exec_lo, s4
	v_cndmask_b32_e64 v11, v24, v15, s7
	v_cndmask_b32_e64 v16, v32, v31, s7
	s_mov_b32 s10, -1
	s_mov_b32 s4, -1
	s_mov_b32 s11, exec_lo
	v_add_nc_u32_e32 v18, 1, v11
	v_add_nc_u32_e32 v16, -1, v16
	v_lshl_add_u32 v11, v11, 3, v4
	s_delay_alu instid0(VALU_DEP_3) | instskip(NEXT) | instid1(VALU_DEP_3)
	v_cndmask_b32_e64 v20, v18, v24, s7
	v_min_u32_e32 v16, v18, v16
	v_cndmask_b32_e64 v21, v15, v18, s7
	s_delay_alu instid0(VALU_DEP_2)
	v_lshl_add_u32 v16, v16, 2, v5
	ds_load_b32 v19, v16
	ds_load_b64 v[16:17], v11 offset:4096
	s_wait_dscnt 0x1
	v_cndmask_b32_e64 v11, v19, v7, s7
	v_cndmask_b32_e64 v15, v6, v19, s7
	v_cmpx_lt_u32_e64 v20, v32
	s_cbranch_execz .LBB1350_92
; %bb.89:
	s_mov_b32 s12, 0
	s_mov_b32 s4, exec_lo
	v_cmpx_lt_u32_e64 v21, v31
	s_cbranch_execz .LBB1350_91
; %bb.90:
	v_add_f32_e32 v18, 0, v11
	v_add_f32_e32 v19, 0, v15
	s_delay_alu instid0(VALU_DEP_2) | instskip(NEXT) | instid1(VALU_DEP_2)
	v_ashrrev_i32_e32 v22, 31, v18
	v_ashrrev_i32_e32 v23, 31, v19
	s_delay_alu instid0(VALU_DEP_2) | instskip(NEXT) | instid1(VALU_DEP_2)
	v_or_b32_e32 v22, 0x80000000, v22
	v_or_b32_e32 v23, 0x80000000, v23
	s_delay_alu instid0(VALU_DEP_2) | instskip(NEXT) | instid1(VALU_DEP_2)
	v_xor_b32_e32 v18, v22, v18
	v_xor_b32_e32 v19, v23, v19
	s_delay_alu instid0(VALU_DEP_1)
	v_cmp_le_u32_e64 s3, v18, v19
	s_and_b32 s12, s3, exec_lo
.LBB1350_91:
	s_wait_alu 0xfffe
	s_or_b32 exec_lo, exec_lo, s4
	s_delay_alu instid0(SALU_CYCLE_1)
	s_or_not1_b32 s4, s12, exec_lo
.LBB1350_92:
	s_wait_alu 0xfffe
	s_or_b32 exec_lo, exec_lo, s11
	v_cndmask_b32_e64 v18, v20, v21, s4
	v_cndmask_b32_e64 v19, v32, v31, s4
	s_mov_b32 s11, exec_lo
	s_delay_alu instid0(VALU_DEP_2) | instskip(NEXT) | instid1(VALU_DEP_2)
	v_add_nc_u32_e32 v23, 1, v18
	v_add_nc_u32_e32 v19, -1, v19
	v_lshl_add_u32 v18, v18, 3, v4
	s_delay_alu instid0(VALU_DEP_3) | instskip(NEXT) | instid1(VALU_DEP_3)
	v_cndmask_b32_e64 v22, v23, v20, s4
	v_min_u32_e32 v19, v23, v19
	v_cndmask_b32_e64 v23, v21, v23, s4
	s_delay_alu instid0(VALU_DEP_2)
	v_lshl_add_u32 v19, v19, 2, v5
	ds_load_b32 v25, v19
	ds_load_b64 v[18:19], v18 offset:4096
	s_wait_dscnt 0x1
	v_cndmask_b32_e64 v24, v25, v11, s4
	v_cndmask_b32_e64 v25, v15, v25, s4
	v_cmpx_lt_u32_e64 v22, v32
	s_cbranch_execz .LBB1350_96
; %bb.93:
	s_mov_b32 s12, 0
	s_mov_b32 s10, exec_lo
	v_cmpx_lt_u32_e64 v23, v31
	s_cbranch_execz .LBB1350_95
; %bb.94:
	v_dual_add_f32 v20, 0, v24 :: v_dual_add_f32 v21, 0, v25
	s_delay_alu instid0(VALU_DEP_1) | instskip(NEXT) | instid1(VALU_DEP_2)
	v_ashrrev_i32_e32 v26, 31, v20
	v_ashrrev_i32_e32 v27, 31, v21
	s_delay_alu instid0(VALU_DEP_2) | instskip(NEXT) | instid1(VALU_DEP_2)
	v_or_b32_e32 v26, 0x80000000, v26
	v_or_b32_e32 v27, 0x80000000, v27
	s_delay_alu instid0(VALU_DEP_2) | instskip(NEXT) | instid1(VALU_DEP_2)
	v_xor_b32_e32 v20, v26, v20
	v_xor_b32_e32 v21, v27, v21
	s_delay_alu instid0(VALU_DEP_1)
	v_cmp_le_u32_e64 s3, v20, v21
	s_and_b32 s12, s3, exec_lo
.LBB1350_95:
	s_wait_alu 0xfffe
	s_or_b32 exec_lo, exec_lo, s10
	s_delay_alu instid0(SALU_CYCLE_1)
	s_or_not1_b32 s10, s12, exec_lo
.LBB1350_96:
	s_wait_alu 0xfffe
	s_or_b32 exec_lo, exec_lo, s11
	v_cndmask_b32_e64 v20, v22, v23, s10
	v_cndmask_b32_e64 v21, v32, v31, s10
	s_mov_b32 s12, -1
	s_mov_b32 s11, exec_lo
	s_delay_alu instid0(VALU_DEP_2) | instskip(NEXT) | instid1(VALU_DEP_2)
	v_add_nc_u32_e32 v26, 1, v20
	v_add_nc_u32_e32 v21, -1, v21
	s_delay_alu instid0(VALU_DEP_2) | instskip(NEXT) | instid1(VALU_DEP_2)
	v_cndmask_b32_e64 v22, v26, v22, s10
	v_min_u32_e32 v21, v26, v21
	v_cndmask_b32_e64 v23, v23, v26, s10
	s_delay_alu instid0(VALU_DEP_2)
	v_lshl_add_u32 v5, v21, 2, v5
	ds_load_b32 v27, v5
	v_lshl_add_u32 v5, v20, 3, v4
	ds_load_b64 v[20:21], v5 offset:4096
	s_wait_dscnt 0x1
	v_cndmask_b32_e64 v5, v27, v24, s10
	v_cndmask_b32_e64 v26, v25, v27, s10
	v_cmpx_lt_u32_e64 v22, v32
	s_cbranch_execz .LBB1350_100
; %bb.97:
	s_mov_b32 s13, 0
	s_mov_b32 s12, exec_lo
	v_cmpx_lt_u32_e64 v23, v31
	s_cbranch_execz .LBB1350_99
; %bb.98:
	v_dual_add_f32 v27, 0, v5 :: v_dual_add_f32 v28, 0, v26
	s_delay_alu instid0(VALU_DEP_1) | instskip(NEXT) | instid1(VALU_DEP_2)
	v_ashrrev_i32_e32 v29, 31, v27
	v_ashrrev_i32_e32 v30, 31, v28
	s_delay_alu instid0(VALU_DEP_2) | instskip(NEXT) | instid1(VALU_DEP_2)
	v_or_b32_e32 v29, 0x80000000, v29
	v_or_b32_e32 v30, 0x80000000, v30
	s_delay_alu instid0(VALU_DEP_2) | instskip(NEXT) | instid1(VALU_DEP_2)
	v_xor_b32_e32 v27, v29, v27
	v_xor_b32_e32 v28, v30, v28
	s_delay_alu instid0(VALU_DEP_1)
	v_cmp_le_u32_e64 s3, v27, v28
	s_and_b32 s13, s3, exec_lo
.LBB1350_99:
	s_wait_alu 0xfffe
	s_or_b32 exec_lo, exec_lo, s12
	s_delay_alu instid0(SALU_CYCLE_1)
	s_or_not1_b32 s12, s13, exec_lo
.LBB1350_100:
	s_wait_alu 0xfffe
	s_or_b32 exec_lo, exec_lo, s11
	v_cndmask_b32_e64 v22, v22, v23, s12
	v_cndmask_b32_e64 v30, v24, v25, s10
	;; [unrolled: 1-line block ×5, first 2 shown]
	v_lshl_add_u32 v4, v22, 3, v4
	ds_load_b64 v[22:23], v4 offset:4096
.LBB1350_101:
	s_wait_alu 0xfffe
	s_or_b32 exec_lo, exec_lo, s5
	v_add_co_u32 v2, s3, v2, v48
	s_wait_alu 0xf1ff
	v_add_co_ci_u32_e64 v3, null, v3, v49, s3
	s_delay_alu instid0(VALU_DEP_2) | instskip(SKIP_1) | instid1(VALU_DEP_2)
	v_add_co_u32 v2, s3, v2, v50
	s_wait_alu 0xf1ff
	v_add_co_ci_u32_e64 v3, null, 0, v3, s3
	; wave barrier
	s_wait_storecnt_dscnt 0x0
	s_barrier_signal -1
	s_barrier_wait -1
	global_inv scope:SCOPE_SE
	; wave barrier
	s_and_saveexec_b32 s3, vcc_lo
	s_cbranch_execnz .LBB1350_222
; %bb.102:
	s_wait_alu 0xfffe
	s_or_b32 exec_lo, exec_lo, s3
	s_and_saveexec_b32 s3, s0
	s_cbranch_execnz .LBB1350_223
.LBB1350_103:
	s_wait_alu 0xfffe
	s_or_b32 exec_lo, exec_lo, s3
	s_and_saveexec_b32 s3, s1
	s_cbranch_execnz .LBB1350_224
.LBB1350_104:
	s_wait_alu 0xfffe
	s_or_b32 exec_lo, exec_lo, s3
	s_and_saveexec_b32 s3, s2
	s_cbranch_execz .LBB1350_106
.LBB1350_105:
	flat_store_b32 v[2:3], v11 offset:12
.LBB1350_106:
	s_wait_alu 0xfffe
	s_or_b32 exec_lo, exec_lo, s3
	v_add_co_u32 v0, s3, v8, v0
	s_wait_alu 0xf1ff
	v_add_co_ci_u32_e64 v1, null, v9, v1, s3
	s_delay_alu instid0(VALU_DEP_2) | instskip(SKIP_1) | instid1(VALU_DEP_2)
	v_add_co_u32 v0, s3, v0, v10
	s_wait_alu 0xf1ff
	v_add_co_ci_u32_e64 v1, null, 0, v1, s3
	; wave barrier
	s_and_saveexec_b32 s3, vcc_lo
	s_cbranch_execnz .LBB1350_225
; %bb.107:
	s_wait_alu 0xfffe
	s_or_b32 exec_lo, exec_lo, s3
	s_and_saveexec_b32 s3, s0
	s_cbranch_execnz .LBB1350_226
.LBB1350_108:
	s_wait_alu 0xfffe
	s_or_b32 exec_lo, exec_lo, s3
	s_and_saveexec_b32 s0, s1
	s_cbranch_execz .LBB1350_110
.LBB1350_109:
	flat_store_b64 v[0:1], v[20:21] offset:16
.LBB1350_110:
	s_wait_alu 0xfffe
	s_or_b32 exec_lo, exec_lo, s0
	s_delay_alu instid0(SALU_CYCLE_1)
	s_and_b32 s5, s2, exec_lo
                                        ; implicit-def: $vgpr24
                                        ; implicit-def: $vgpr51
                                        ; implicit-def: $vgpr0_vgpr1
                                        ; implicit-def: $vgpr4
                                        ; implicit-def: $vgpr5
                                        ; implicit-def: $vgpr6
                                        ; implicit-def: $vgpr7
                                        ; implicit-def: $vgpr10
                                        ; implicit-def: $vgpr15
                                        ; implicit-def: $vgpr48_vgpr49
                                        ; implicit-def: $vgpr50
                                        ; implicit-def: $vgpr31
	s_and_not1_saveexec_b32 s6, s6
	s_cbranch_execz .LBB1350_2
.LBB1350_111:
	v_dual_mov_b32 v52, -1 :: v_dual_mov_b32 v53, -1
	s_and_saveexec_b32 s0, vcc_lo
	s_cbranch_execz .LBB1350_113
; %bb.112:
	flat_load_b32 v53, v[0:1]
.LBB1350_113:
	s_wait_alu 0xfffe
	s_or_b32 exec_lo, exec_lo, s0
	v_or_b32_e32 v2, 1, v12
	s_delay_alu instid0(VALU_DEP_1)
	v_cmp_lt_u32_e64 s0, v2, v24
	s_and_saveexec_b32 s1, s0
	s_cbranch_execz .LBB1350_115
; %bb.114:
	flat_load_b32 v52, v[0:1] offset:4
.LBB1350_115:
	s_wait_alu 0xfffe
	s_or_b32 exec_lo, exec_lo, s1
	v_or_b32_e32 v2, 2, v12
	v_dual_mov_b32 v9, -1 :: v_dual_mov_b32 v30, -1
	s_delay_alu instid0(VALU_DEP_2)
	v_cmp_lt_u32_e64 s2, v2, v24
	s_and_saveexec_b32 s1, s2
	s_cbranch_execz .LBB1350_117
; %bb.116:
	flat_load_b32 v30, v[0:1] offset:8
.LBB1350_117:
	s_wait_alu 0xfffe
	s_or_b32 exec_lo, exec_lo, s1
	v_or_b32_e32 v2, 3, v12
	s_delay_alu instid0(VALU_DEP_1)
	v_cmp_lt_u32_e64 s1, v2, v24
	s_and_saveexec_b32 s3, s1
	s_cbranch_execz .LBB1350_119
; %bb.118:
	flat_load_b32 v9, v[0:1] offset:12
.LBB1350_119:
	s_wait_alu 0xfffe
	s_or_b32 exec_lo, exec_lo, s3
	v_lshlrev_b64_e32 v[0:1], 3, v[13:14]
	v_mov_b32_e32 v16, 0
	v_lshlrev_b32_e32 v8, 3, v12
	; wave barrier
	s_delay_alu instid0(VALU_DEP_2) | instskip(NEXT) | instid1(VALU_DEP_4)
	v_mov_b32_e32 v17, v16
	v_add_co_u32 v2, s3, v6, v0
	s_wait_alu 0xf1ff
	v_add_co_ci_u32_e64 v3, null, v7, v1, s3
	v_dual_mov_b32 v18, v16 :: v_dual_mov_b32 v19, v16
	s_delay_alu instid0(VALU_DEP_3) | instskip(SKIP_1) | instid1(VALU_DEP_3)
	v_add_co_u32 v2, s3, v2, v8
	s_wait_alu 0xf1ff
	v_add_co_ci_u32_e64 v3, null, 0, v3, s3
	v_dual_mov_b32 v20, v16 :: v_dual_mov_b32 v21, v16
	v_dual_mov_b32 v22, v16 :: v_dual_mov_b32 v23, v16
	s_and_saveexec_b32 s3, vcc_lo
	s_cbranch_execnz .LBB1350_227
; %bb.120:
	s_wait_alu 0xfffe
	s_or_b32 exec_lo, exec_lo, s3
	s_and_saveexec_b32 s3, s0
	s_cbranch_execnz .LBB1350_228
.LBB1350_121:
	s_wait_alu 0xfffe
	s_or_b32 exec_lo, exec_lo, s3
	s_and_saveexec_b32 s3, s2
	s_cbranch_execnz .LBB1350_229
.LBB1350_122:
	s_wait_alu 0xfffe
	s_or_b32 exec_lo, exec_lo, s3
	s_and_saveexec_b32 s3, s1
	s_cbranch_execz .LBB1350_124
.LBB1350_123:
	flat_load_b64 v[22:23], v[2:3] offset:24
.LBB1350_124:
	s_wait_alu 0xfffe
	s_or_b32 exec_lo, exec_lo, s3
	; wave barrier
	s_load_b64 s[10:11], s[8:9], 0x0
	s_and_b32 s3, ttmp7, 0xffff
	s_mov_b32 s13, 0
	v_bfe_u32 v2, v31, 10, 10
	v_bfe_u32 v3, v31, 20, 10
	s_mov_b32 s7, exec_lo
	s_wait_kmcnt 0x0
	s_wait_alu 0xfffe
	s_cmp_lt_u32 s3, s11
	s_cselect_b32 s12, 14, 20
	s_cmp_lt_u32 ttmp9, s10
	s_wait_alu 0xfffe
	s_add_nc_u64 s[14:15], s[8:9], s[12:13]
	s_cselect_b32 s12, 12, 18
	s_load_u16 s3, s[14:15], 0x0
	s_add_nc_u64 s[8:9], s[8:9], s[12:13]
	s_load_u16 s4, s[8:9], 0x0
	s_wait_kmcnt 0x0
	v_mad_u32_u24 v2, v3, s3, v2
	v_and_b32_e32 v3, 0x3ff, v31
	s_delay_alu instid0(VALU_DEP_2) | instskip(NEXT) | instid1(VALU_DEP_1)
	v_mul_lo_u32 v2, v2, s4
	v_add_lshl_u32 v2, v2, v3, 2
	s_delay_alu instid0(VALU_DEP_1)
	v_cmpx_gt_u32_e32 0x400, v2
	s_cbranch_execz .LBB1350_136
; %bb.125:
	s_wait_loadcnt_dscnt 0x0
	v_dual_add_f32 v3, 0, v52 :: v_dual_add_f32 v6, 0, v53
	v_dual_add_f32 v7, 0, v9 :: v_dual_add_f32 v24, 0, v30
	s_mov_b32 s8, exec_lo
	s_delay_alu instid0(VALU_DEP_2) | instskip(NEXT) | instid1(VALU_DEP_3)
	v_ashrrev_i32_e32 v25, 31, v3
	v_ashrrev_i32_e32 v26, 31, v6
	s_delay_alu instid0(VALU_DEP_3) | instskip(SKIP_1) | instid1(VALU_DEP_4)
	v_ashrrev_i32_e32 v27, 31, v7
	v_ashrrev_i32_e32 v28, 31, v24
	v_or_b32_e32 v25, 0x80000000, v25
	s_delay_alu instid0(VALU_DEP_4) | instskip(NEXT) | instid1(VALU_DEP_4)
	v_or_b32_e32 v26, 0x80000000, v26
	v_or_b32_e32 v27, 0x80000000, v27
	s_delay_alu instid0(VALU_DEP_4) | instskip(NEXT) | instid1(VALU_DEP_4)
	v_or_b32_e32 v28, 0x80000000, v28
	v_xor_b32_e32 v3, v25, v3
	s_delay_alu instid0(VALU_DEP_4) | instskip(NEXT) | instid1(VALU_DEP_4)
	v_xor_b32_e32 v25, v26, v6
	v_xor_b32_e32 v6, v27, v7
	s_delay_alu instid0(VALU_DEP_4) | instskip(SKIP_1) | instid1(VALU_DEP_4)
	v_xor_b32_e32 v7, v28, v24
	v_dual_mov_b32 v29, v21 :: v_dual_mov_b32 v28, v20
	v_cmp_gt_u32_e64 s3, v3, v25
	v_mov_b32_e32 v3, v30
	s_wait_alu 0xf1ff
	s_delay_alu instid0(VALU_DEP_2)
	v_cndmask_b32_e64 v27, v19, v17, s3
	v_cndmask_b32_e64 v26, v18, v16, s3
	v_cndmask_b32_e64 v25, v17, v19, s3
	v_cndmask_b32_e64 v24, v16, v18, s3
	v_cmpx_gt_u32_e64 v6, v7
; %bb.126:
	v_mov_b32_e32 v29, v23
	v_dual_mov_b32 v3, v9 :: v_dual_mov_b32 v28, v22
	v_mov_b32_e32 v23, v21
	v_dual_mov_b32 v9, v30 :: v_dual_mov_b32 v22, v20
	v_mov_b32_e32 v7, v6
; %bb.127:
	s_wait_alu 0xfffe
	s_or_b32 exec_lo, exec_lo, s8
	v_cndmask_b32_e64 v17, v52, v53, s3
	v_mov_b32_e32 v30, v22
                                        ; implicit-def: $vgpr54
	v_dual_mov_b32 v39, v31 :: v_dual_mov_b32 v34, v26
	s_delay_alu instid0(VALU_DEP_3) | instskip(SKIP_1) | instid1(VALU_DEP_4)
	v_dual_mov_b32 v33, v25 :: v_dual_add_f32 v6, 0, v17
	v_mov_b32_e32 v32, v24
	v_dual_mov_b32 v38, v30 :: v_dual_mov_b32 v37, v29
	v_dual_mov_b32 v36, v28 :: v_dual_mov_b32 v35, v27
	s_delay_alu instid0(VALU_DEP_4) | instskip(NEXT) | instid1(VALU_DEP_1)
	v_ashrrev_i32_e32 v16, 31, v6
	v_or_b32_e32 v16, 0x80000000, v16
	s_delay_alu instid0(VALU_DEP_1) | instskip(NEXT) | instid1(VALU_DEP_1)
	v_xor_b32_e32 v16, v16, v6
	v_cmp_le_u32_e64 s4, v7, v16
	s_and_saveexec_b32 s8, s4
	s_wait_alu 0xfffe
	s_xor_b32 s4, exec_lo, s8
; %bb.128:
	v_add_f32_e32 v6, 0, v3
                                        ; implicit-def: $vgpr32_vgpr33_vgpr34_vgpr35_vgpr36_vgpr37_vgpr38_vgpr39
	s_delay_alu instid0(VALU_DEP_1) | instskip(NEXT) | instid1(VALU_DEP_1)
	v_ashrrev_i32_e32 v7, 31, v6
	v_or_b32_e32 v7, 0x80000000, v7
	s_delay_alu instid0(VALU_DEP_1)
	v_xor_b32_e32 v54, v7, v6
                                        ; implicit-def: $vgpr7
; %bb.129:
	s_wait_alu 0xfffe
	s_or_saveexec_b32 s4, s4
	v_dual_mov_b32 v31, v23 :: v_dual_mov_b32 v6, v17
	s_wait_alu 0xfffe
	s_xor_b32 exec_lo, exec_lo, s4
	s_cbranch_execz .LBB1350_131
; %bb.130:
	v_dual_mov_b32 v34, v28 :: v_dual_mov_b32 v35, v29
	v_dual_mov_b32 v36, v26 :: v_dual_mov_b32 v37, v27
	;; [unrolled: 1-line block ×4, first 2 shown]
	s_delay_alu instid0(VALU_DEP_4) | instskip(NEXT) | instid1(VALU_DEP_4)
	v_dual_mov_b32 v26, v34 :: v_dual_mov_b32 v27, v35
	v_dual_mov_b32 v28, v36 :: v_dual_mov_b32 v29, v37
	s_delay_alu instid0(VALU_DEP_4)
	v_dual_mov_b32 v30, v38 :: v_dual_mov_b32 v31, v39
	v_mov_b32_e32 v54, v16
	v_dual_mov_b32 v6, v3 :: v_dual_mov_b32 v3, v17
	v_mov_b32_e32 v16, v7
.LBB1350_131:
	s_or_b32 exec_lo, exec_lo, s4
	v_cndmask_b32_e64 v7, v53, v52, s3
	v_dual_mov_b32 v22, v30 :: v_dual_mov_b32 v23, v31
	s_mov_b32 s8, exec_lo
	s_delay_alu instid0(VALU_DEP_2) | instskip(NEXT) | instid1(VALU_DEP_1)
	v_dual_add_f32 v18, 0, v9 :: v_dual_add_f32 v17, 0, v7
	v_ashrrev_i32_e32 v20, 31, v18
	s_delay_alu instid0(VALU_DEP_2) | instskip(NEXT) | instid1(VALU_DEP_2)
	v_ashrrev_i32_e32 v19, 31, v17
	v_or_b32_e32 v21, 0x80000000, v20
	s_delay_alu instid0(VALU_DEP_2) | instskip(SKIP_1) | instid1(VALU_DEP_3)
	v_or_b32_e32 v19, 0x80000000, v19
	v_mov_b32_e32 v20, v28
	v_xor_b32_e32 v32, v21, v18
	s_delay_alu instid0(VALU_DEP_3) | instskip(SKIP_1) | instid1(VALU_DEP_2)
	v_xor_b32_e32 v17, v19, v17
	v_mov_b32_e32 v21, v29
	v_cmp_gt_u32_e64 s3, v16, v17
	s_wait_alu 0xf1ff
	s_delay_alu instid0(VALU_DEP_1)
	v_cndmask_b32_e64 v19, v27, v25, s3
	v_cndmask_b32_e64 v18, v26, v24, s3
	;; [unrolled: 1-line block ×4, first 2 shown]
	v_mov_b32_e32 v24, v3
	v_cmpx_gt_u32_e64 v32, v54
; %bb.132:
	v_dual_mov_b32 v20, v30 :: v_dual_mov_b32 v21, v31
	v_dual_mov_b32 v22, v28 :: v_dual_mov_b32 v23, v29
	;; [unrolled: 1-line block ×3, first 2 shown]
	v_mov_b32_e32 v54, v32
; %bb.133:
	s_wait_alu 0xfffe
	s_or_b32 exec_lo, exec_lo, s8
	v_cndmask_b32_e64 v52, v6, v7, s3
	s_mov_b32 s8, exec_lo
	s_delay_alu instid0(VALU_DEP_1) | instskip(NEXT) | instid1(VALU_DEP_1)
	v_dual_mov_b32 v30, v24 :: v_dual_add_f32 v3, 0, v52
	v_ashrrev_i32_e32 v25, 31, v3
	s_delay_alu instid0(VALU_DEP_1) | instskip(NEXT) | instid1(VALU_DEP_1)
	v_or_b32_e32 v25, 0x80000000, v25
	v_xor_b32_e32 v3, v25, v3
	s_delay_alu instid0(VALU_DEP_1)
	v_cmpx_gt_u32_e64 v54, v3
	s_cbranch_execz .LBB1350_135
; %bb.134:
	v_dual_mov_b32 v25, v16 :: v_dual_mov_b32 v26, v17
	v_dual_mov_b32 v27, v20 :: v_dual_mov_b32 v28, v21
	;; [unrolled: 1-line block ×4, first 2 shown]
	s_delay_alu instid0(VALU_DEP_4) | instskip(NEXT) | instid1(VALU_DEP_4)
	v_dual_mov_b32 v16, v25 :: v_dual_mov_b32 v17, v26
	v_dual_mov_b32 v18, v27 :: v_dual_mov_b32 v19, v28
	s_delay_alu instid0(VALU_DEP_4) | instskip(NEXT) | instid1(VALU_DEP_4)
	v_dual_mov_b32 v20, v29 :: v_dual_mov_b32 v21, v30
	v_dual_mov_b32 v22, v31 :: v_dual_mov_b32 v23, v32
	v_mov_b32_e32 v30, v52
	v_mov_b32_e32 v52, v24
.LBB1350_135:
	s_wait_alu 0xfffe
	s_or_b32 exec_lo, exec_lo, s8
	v_cndmask_b32_e64 v53, v7, v6, s3
.LBB1350_136:
	s_or_b32 exec_lo, exec_lo, s7
	v_dual_mov_b32 v3, 0 :: v_dual_and_b32 v2, 0xffffff80, v2
	v_or_b32_e32 v7, 4, v51
	v_and_b32_e32 v33, 0x78, v51
	s_mov_b32 s4, exec_lo
	s_delay_alu instid0(VALU_DEP_3) | instskip(SKIP_1) | instid1(VALU_DEP_2)
	v_sub_nc_u32_e64 v6, 0x400, v2 clamp
	v_lshlrev_b64_e32 v[2:3], 2, v[2:3]
	v_min_u32_e32 v31, v6, v7
	s_delay_alu instid0(VALU_DEP_2) | instskip(SKIP_1) | instid1(VALU_DEP_3)
	v_add_co_u32 v3, null, v15, v2
	v_and_b32_e32 v15, 4, v51
	v_add_nc_u32_e32 v7, 4, v31
	v_sub_nc_u32_e32 v24, v31, v33
	s_delay_alu instid0(VALU_DEP_4) | instskip(NEXT) | instid1(VALU_DEP_4)
	v_add_co_u32 v2, null, v3, v2
	v_min_u32_e32 v34, v6, v15
	s_delay_alu instid0(VALU_DEP_4) | instskip(SKIP_1) | instid1(VALU_DEP_4)
	v_min_u32_e32 v32, v6, v7
	v_lshl_add_u32 v7, v51, 2, v3
	v_lshl_add_u32 v29, v51, 3, v2
	s_delay_alu instid0(VALU_DEP_3) | instskip(NEXT) | instid1(VALU_DEP_2)
	v_sub_nc_u32_e32 v15, v32, v31
	v_add_nc_u32_e32 v25, 0x1000, v29
	s_wait_loadcnt_dscnt 0x0
	ds_store_2addr_b32 v7, v53, v52 offset1:1
	ds_store_2addr_b64 v25, v[16:17], v[18:19] offset1:1
	ds_store_2addr_b32 v7, v30, v9 offset0:2 offset1:3
	ds_store_2addr_b64 v25, v[20:21], v[22:23] offset0:2 offset1:3
	v_sub_nc_u32_e64 v35, v34, v15 clamp
	v_min_u32_e32 v15, v34, v24
	; wave barrier
	s_delay_alu instid0(VALU_DEP_1)
	v_cmpx_lt_u32_e64 v35, v15
	s_cbranch_execz .LBB1350_140
; %bb.137:
	v_lshlrev_b32_e32 v24, 2, v33
	v_lshlrev_b32_e32 v25, 2, v31
	s_mov_b32 s7, 0
	s_delay_alu instid0(VALU_DEP_2) | instskip(NEXT) | instid1(VALU_DEP_2)
	v_add_co_u32 v24, null, v3, v24
	v_add_co_u32 v25, null, v3, v25
.LBB1350_138:                           ; =>This Inner Loop Header: Depth=1
	v_add_nc_u32_e32 v26, v15, v35
	s_delay_alu instid0(VALU_DEP_1) | instskip(NEXT) | instid1(VALU_DEP_1)
	v_lshrrev_b32_e32 v26, 1, v26
	v_xad_u32 v27, v26, -1, v34
	v_lshl_add_u32 v28, v26, 2, v24
	s_delay_alu instid0(VALU_DEP_2) | instskip(SKIP_4) | instid1(VALU_DEP_1)
	v_lshl_add_u32 v27, v27, 2, v25
	ds_load_b32 v28, v28
	ds_load_b32 v27, v27
	s_wait_dscnt 0x0
	v_dual_add_f32 v28, 0, v28 :: v_dual_add_f32 v27, 0, v27
	v_ashrrev_i32_e32 v36, 31, v28
	s_delay_alu instid0(VALU_DEP_2) | instskip(NEXT) | instid1(VALU_DEP_2)
	v_ashrrev_i32_e32 v37, 31, v27
	v_or_b32_e32 v36, 0x80000000, v36
	s_delay_alu instid0(VALU_DEP_2) | instskip(NEXT) | instid1(VALU_DEP_2)
	v_or_b32_e32 v37, 0x80000000, v37
	v_xor_b32_e32 v28, v36, v28
	s_delay_alu instid0(VALU_DEP_2) | instskip(SKIP_1) | instid1(VALU_DEP_2)
	v_xor_b32_e32 v27, v37, v27
	v_add_nc_u32_e32 v36, 1, v26
	v_cmp_gt_u32_e64 s3, v27, v28
	s_wait_alu 0xf1ff
	s_delay_alu instid0(VALU_DEP_1) | instskip(NEXT) | instid1(VALU_DEP_3)
	v_cndmask_b32_e64 v15, v15, v26, s3
	v_cndmask_b32_e64 v35, v36, v35, s3
	s_delay_alu instid0(VALU_DEP_1)
	v_cmp_ge_u32_e64 s3, v35, v15
	s_wait_alu 0xfffe
	s_or_b32 s7, s3, s7
	s_wait_alu 0xfffe
	s_and_not1_b32 exec_lo, exec_lo, s7
	s_cbranch_execnz .LBB1350_138
; %bb.139:
	s_or_b32 exec_lo, exec_lo, s7
.LBB1350_140:
	s_wait_alu 0xfffe
	s_or_b32 exec_lo, exec_lo, s4
	v_add_nc_u32_e32 v36, v31, v34
	v_add_nc_u32_e32 v34, v35, v33
	;; [unrolled: 1-line block ×5, first 2 shown]
	v_sub_nc_u32_e32 v35, v36, v35
	v_cmp_le_u32_e64 s3, v34, v31
	v_add_nc_u32_e32 v25, 8, v7
	v_add_nc_u32_e32 v28, 0x1010, v29
	;; [unrolled: 1-line block ×3, first 2 shown]
	v_cmp_le_u32_e64 s4, v35, v32
	v_add_nc_u32_e32 v29, 0x1018, v29
	s_or_b32 s3, s3, s4
	s_wait_alu 0xfffe
	s_and_saveexec_b32 s7, s3
	s_cbranch_execz .LBB1350_160
; %bb.141:
	v_cmp_ge_u32_e64 s3, v34, v31
	s_mov_b32 s8, exec_lo
                                        ; implicit-def: $vgpr9
	v_cmpx_lt_u32_e64 v34, v31
; %bb.142:
	v_lshl_add_u32 v9, v34, 2, v3
	ds_load_b32 v9, v9
; %bb.143:
	s_wait_alu 0xfffe
	s_or_b32 exec_lo, exec_lo, s8
	v_cmp_ge_u32_e64 s8, v35, v32
	s_mov_b32 s9, exec_lo
                                        ; implicit-def: $vgpr33
	v_cmpx_lt_u32_e64 v35, v32
; %bb.144:
	v_lshl_add_u32 v16, v35, 2, v3
	ds_load_b32 v33, v16
; %bb.145:
	s_wait_alu 0xfffe
	s_or_b32 exec_lo, exec_lo, s9
	s_nor_b32 s3, s3, s8
	s_wait_alu 0xfffe
	s_and_saveexec_b32 s4, s3
	s_cbranch_execz .LBB1350_147
; %bb.146:
	s_wait_dscnt 0x0
	v_add_f32_e32 v16, 0, v33
	v_add_f32_e32 v17, 0, v9
	s_and_not1_b32 s8, s8, exec_lo
	s_delay_alu instid0(VALU_DEP_2) | instskip(NEXT) | instid1(VALU_DEP_2)
	v_ashrrev_i32_e32 v18, 31, v16
	v_ashrrev_i32_e32 v19, 31, v17
	s_delay_alu instid0(VALU_DEP_2) | instskip(NEXT) | instid1(VALU_DEP_2)
	v_or_b32_e32 v18, 0x80000000, v18
	v_or_b32_e32 v19, 0x80000000, v19
	s_delay_alu instid0(VALU_DEP_2) | instskip(NEXT) | instid1(VALU_DEP_2)
	v_xor_b32_e32 v16, v18, v16
	v_xor_b32_e32 v17, v19, v17
	s_delay_alu instid0(VALU_DEP_1)
	v_cmp_le_u32_e64 s3, v16, v17
	s_and_b32 s3, s3, exec_lo
	s_wait_alu 0xfffe
	s_or_b32 s8, s8, s3
.LBB1350_147:
	s_wait_alu 0xfffe
	s_or_b32 exec_lo, exec_lo, s4
	v_cndmask_b32_e64 v16, v35, v34, s8
	v_cndmask_b32_e64 v17, v32, v31, s8
	s_mov_b32 s9, -1
	s_mov_b32 s4, -1
	s_mov_b32 s10, exec_lo
	v_add_nc_u32_e32 v18, 1, v16
	v_add_nc_u32_e32 v17, -1, v17
	v_lshl_add_u32 v16, v16, 3, v2
	s_delay_alu instid0(VALU_DEP_3) | instskip(NEXT) | instid1(VALU_DEP_3)
	v_cndmask_b32_e64 v20, v18, v35, s8
	v_min_u32_e32 v17, v18, v17
	v_cndmask_b32_e64 v21, v34, v18, s8
	s_delay_alu instid0(VALU_DEP_2)
	v_lshl_add_u32 v17, v17, 2, v3
	ds_load_b32 v19, v17
	ds_load_b64 v[16:17], v16 offset:4096
	s_wait_dscnt 0x1
	v_cndmask_b32_e64 v34, v19, v33, s8
	v_cndmask_b32_e64 v35, v9, v19, s8
	v_cmpx_lt_u32_e64 v20, v32
	s_cbranch_execz .LBB1350_151
; %bb.148:
	s_mov_b32 s11, 0
	s_mov_b32 s4, exec_lo
	v_cmpx_lt_u32_e64 v21, v31
	s_cbranch_execz .LBB1350_150
; %bb.149:
	v_dual_add_f32 v18, 0, v34 :: v_dual_add_f32 v19, 0, v35
	s_delay_alu instid0(VALU_DEP_1) | instskip(NEXT) | instid1(VALU_DEP_2)
	v_ashrrev_i32_e32 v22, 31, v18
	v_ashrrev_i32_e32 v23, 31, v19
	s_delay_alu instid0(VALU_DEP_2) | instskip(NEXT) | instid1(VALU_DEP_2)
	v_or_b32_e32 v22, 0x80000000, v22
	v_or_b32_e32 v23, 0x80000000, v23
	s_delay_alu instid0(VALU_DEP_2) | instskip(NEXT) | instid1(VALU_DEP_2)
	v_xor_b32_e32 v18, v22, v18
	v_xor_b32_e32 v19, v23, v19
	s_delay_alu instid0(VALU_DEP_1)
	v_cmp_le_u32_e64 s3, v18, v19
	s_and_b32 s11, s3, exec_lo
.LBB1350_150:
	s_wait_alu 0xfffe
	s_or_b32 exec_lo, exec_lo, s4
	s_delay_alu instid0(SALU_CYCLE_1)
	s_or_not1_b32 s4, s11, exec_lo
.LBB1350_151:
	s_wait_alu 0xfffe
	s_or_b32 exec_lo, exec_lo, s10
	v_cndmask_b32_e64 v18, v20, v21, s4
	v_cndmask_b32_e64 v19, v32, v31, s4
	s_mov_b32 s10, exec_lo
	s_delay_alu instid0(VALU_DEP_2) | instskip(NEXT) | instid1(VALU_DEP_2)
	v_add_nc_u32_e32 v23, 1, v18
	v_add_nc_u32_e32 v19, -1, v19
	v_lshl_add_u32 v18, v18, 3, v2
	s_delay_alu instid0(VALU_DEP_3) | instskip(NEXT) | instid1(VALU_DEP_3)
	v_cndmask_b32_e64 v22, v23, v20, s4
	v_min_u32_e32 v19, v23, v19
	v_cndmask_b32_e64 v23, v21, v23, s4
	s_delay_alu instid0(VALU_DEP_2)
	v_lshl_add_u32 v19, v19, 2, v3
	ds_load_b32 v36, v19
	ds_load_b64 v[18:19], v18 offset:4096
	s_wait_dscnt 0x1
	v_cndmask_b32_e64 v30, v36, v34, s4
	v_cndmask_b32_e64 v36, v35, v36, s4
	v_cmpx_lt_u32_e64 v22, v32
	s_cbranch_execz .LBB1350_155
; %bb.152:
	s_mov_b32 s11, 0
	s_mov_b32 s9, exec_lo
	v_cmpx_lt_u32_e64 v23, v31
	s_cbranch_execz .LBB1350_154
; %bb.153:
	v_dual_add_f32 v20, 0, v30 :: v_dual_add_f32 v21, 0, v36
	s_delay_alu instid0(VALU_DEP_1) | instskip(NEXT) | instid1(VALU_DEP_2)
	v_ashrrev_i32_e32 v37, 31, v20
	v_ashrrev_i32_e32 v38, 31, v21
	s_delay_alu instid0(VALU_DEP_2) | instskip(NEXT) | instid1(VALU_DEP_2)
	v_or_b32_e32 v37, 0x80000000, v37
	v_or_b32_e32 v38, 0x80000000, v38
	s_delay_alu instid0(VALU_DEP_2) | instskip(NEXT) | instid1(VALU_DEP_2)
	v_xor_b32_e32 v20, v37, v20
	v_xor_b32_e32 v21, v38, v21
	s_delay_alu instid0(VALU_DEP_1)
	v_cmp_le_u32_e64 s3, v20, v21
	s_and_b32 s11, s3, exec_lo
.LBB1350_154:
	s_wait_alu 0xfffe
	s_or_b32 exec_lo, exec_lo, s9
	s_delay_alu instid0(SALU_CYCLE_1)
	s_or_not1_b32 s9, s11, exec_lo
.LBB1350_155:
	s_wait_alu 0xfffe
	s_or_b32 exec_lo, exec_lo, s10
	v_cndmask_b32_e64 v20, v22, v23, s9
	v_cndmask_b32_e64 v21, v32, v31, s9
	s_mov_b32 s11, -1
	s_mov_b32 s10, exec_lo
	s_delay_alu instid0(VALU_DEP_2) | instskip(NEXT) | instid1(VALU_DEP_2)
	v_add_nc_u32_e32 v37, 1, v20
	v_add_nc_u32_e32 v21, -1, v21
	v_lshl_add_u32 v20, v20, 3, v2
	s_delay_alu instid0(VALU_DEP_3) | instskip(NEXT) | instid1(VALU_DEP_3)
	v_cndmask_b32_e64 v22, v37, v22, s9
	v_min_u32_e32 v21, v37, v21
	v_cndmask_b32_e64 v23, v23, v37, s9
	s_delay_alu instid0(VALU_DEP_2)
	v_lshl_add_u32 v21, v21, 2, v3
	ds_load_b32 v38, v21
	ds_load_b64 v[20:21], v20 offset:4096
	s_wait_dscnt 0x1
	v_cndmask_b32_e64 v37, v38, v30, s9
	v_cndmask_b32_e64 v38, v36, v38, s9
	v_cmpx_lt_u32_e64 v22, v32
	s_cbranch_execz .LBB1350_159
; %bb.156:
	s_mov_b32 s12, 0
	s_mov_b32 s11, exec_lo
	v_cmpx_lt_u32_e64 v23, v31
	s_cbranch_execz .LBB1350_158
; %bb.157:
	v_dual_add_f32 v31, 0, v37 :: v_dual_add_f32 v32, 0, v38
	s_delay_alu instid0(VALU_DEP_1) | instskip(NEXT) | instid1(VALU_DEP_2)
	v_ashrrev_i32_e32 v39, 31, v31
	v_ashrrev_i32_e32 v52, 31, v32
	s_delay_alu instid0(VALU_DEP_2) | instskip(NEXT) | instid1(VALU_DEP_2)
	v_or_b32_e32 v39, 0x80000000, v39
	v_or_b32_e32 v52, 0x80000000, v52
	s_delay_alu instid0(VALU_DEP_2) | instskip(NEXT) | instid1(VALU_DEP_2)
	v_xor_b32_e32 v31, v39, v31
	v_xor_b32_e32 v32, v52, v32
	s_delay_alu instid0(VALU_DEP_1)
	v_cmp_le_u32_e64 s3, v31, v32
	s_and_b32 s12, s3, exec_lo
.LBB1350_158:
	s_wait_alu 0xfffe
	s_or_b32 exec_lo, exec_lo, s11
	s_delay_alu instid0(SALU_CYCLE_1)
	s_or_not1_b32 s11, s12, exec_lo
.LBB1350_159:
	s_wait_alu 0xfffe
	s_or_b32 exec_lo, exec_lo, s10
	v_cndmask_b32_e64 v22, v22, v23, s11
	v_cndmask_b32_e64 v30, v30, v36, s9
	;; [unrolled: 1-line block ×5, first 2 shown]
	v_lshl_add_u32 v22, v22, 3, v2
	ds_load_b64 v[22:23], v22 offset:4096
.LBB1350_160:
	s_wait_alu 0xfffe
	s_or_b32 exec_lo, exec_lo, s7
	v_and_b32_e32 v33, 0x70, v51
	v_and_b32_e32 v34, 12, v51
	s_mov_b32 s4, exec_lo
	; wave barrier
	s_delay_alu instid0(VALU_DEP_2) | instskip(NEXT) | instid1(VALU_DEP_2)
	v_or_b32_e32 v31, 8, v33
	v_min_u32_e32 v34, v6, v34
	ds_store_b32 v7, v53
	ds_store_b64 v27, v[16:17]
	ds_store_b32 v15, v52
	ds_store_b64 v24, v[18:19]
	ds_store_b32 v25, v30
	s_wait_dscnt 0x6
	ds_store_b64 v28, v[20:21]
	ds_store_b32 v26, v9
	s_wait_dscnt 0x7
	ds_store_b64 v29, v[22:23]
	v_min_u32_e32 v31, v6, v31
	; wave barrier
	s_delay_alu instid0(VALU_DEP_1) | instskip(SKIP_1) | instid1(VALU_DEP_2)
	v_add_nc_u32_e32 v32, 8, v31
	v_sub_nc_u32_e32 v36, v31, v33
	v_min_u32_e32 v32, v6, v32
	s_delay_alu instid0(VALU_DEP_2) | instskip(NEXT) | instid1(VALU_DEP_2)
	v_min_u32_e32 v36, v34, v36
	v_sub_nc_u32_e32 v35, v32, v31
	s_delay_alu instid0(VALU_DEP_1) | instskip(NEXT) | instid1(VALU_DEP_1)
	v_sub_nc_u32_e64 v35, v34, v35 clamp
	v_cmpx_lt_u32_e64 v35, v36
	s_cbranch_execz .LBB1350_164
; %bb.161:
	v_lshlrev_b32_e32 v37, 2, v33
	v_lshlrev_b32_e32 v38, 2, v31
	s_mov_b32 s7, 0
	s_delay_alu instid0(VALU_DEP_2) | instskip(NEXT) | instid1(VALU_DEP_2)
	v_add_co_u32 v37, null, v3, v37
	v_add_co_u32 v38, null, v3, v38
.LBB1350_162:                           ; =>This Inner Loop Header: Depth=1
	v_add_nc_u32_e32 v39, v36, v35
	s_delay_alu instid0(VALU_DEP_1) | instskip(NEXT) | instid1(VALU_DEP_1)
	v_lshrrev_b32_e32 v39, 1, v39
	v_xad_u32 v54, v39, -1, v34
	v_lshl_add_u32 v55, v39, 2, v37
	s_delay_alu instid0(VALU_DEP_2) | instskip(SKIP_4) | instid1(VALU_DEP_1)
	v_lshl_add_u32 v54, v54, 2, v38
	ds_load_b32 v55, v55
	ds_load_b32 v54, v54
	s_wait_dscnt 0x0
	v_dual_add_f32 v55, 0, v55 :: v_dual_add_f32 v54, 0, v54
	v_ashrrev_i32_e32 v64, 31, v55
	s_delay_alu instid0(VALU_DEP_2) | instskip(NEXT) | instid1(VALU_DEP_2)
	v_ashrrev_i32_e32 v65, 31, v54
	v_or_b32_e32 v64, 0x80000000, v64
	s_delay_alu instid0(VALU_DEP_2) | instskip(NEXT) | instid1(VALU_DEP_2)
	v_or_b32_e32 v65, 0x80000000, v65
	v_xor_b32_e32 v55, v64, v55
	s_delay_alu instid0(VALU_DEP_2) | instskip(SKIP_1) | instid1(VALU_DEP_2)
	v_xor_b32_e32 v54, v65, v54
	v_add_nc_u32_e32 v64, 1, v39
	v_cmp_gt_u32_e64 s3, v54, v55
	s_wait_alu 0xf1ff
	s_delay_alu instid0(VALU_DEP_1) | instskip(NEXT) | instid1(VALU_DEP_3)
	v_cndmask_b32_e64 v36, v36, v39, s3
	v_cndmask_b32_e64 v35, v64, v35, s3
	s_delay_alu instid0(VALU_DEP_1)
	v_cmp_ge_u32_e64 s3, v35, v36
	s_wait_alu 0xfffe
	s_or_b32 s7, s3, s7
	s_wait_alu 0xfffe
	s_and_not1_b32 exec_lo, exec_lo, s7
	s_cbranch_execnz .LBB1350_162
; %bb.163:
	s_or_b32 exec_lo, exec_lo, s7
.LBB1350_164:
	s_wait_alu 0xfffe
	s_or_b32 exec_lo, exec_lo, s4
	v_add_nc_u32_e32 v36, v31, v34
	v_add_nc_u32_e32 v34, v35, v33
	s_delay_alu instid0(VALU_DEP_2) | instskip(NEXT) | instid1(VALU_DEP_2)
	v_sub_nc_u32_e32 v35, v36, v35
	v_cmp_le_u32_e64 s3, v34, v31
	s_delay_alu instid0(VALU_DEP_2)
	v_cmp_le_u32_e64 s4, v35, v32
	s_or_b32 s3, s3, s4
	s_wait_alu 0xfffe
	s_and_saveexec_b32 s7, s3
	s_cbranch_execz .LBB1350_184
; %bb.165:
	v_cmp_ge_u32_e64 s3, v34, v31
	s_mov_b32 s8, exec_lo
                                        ; implicit-def: $vgpr9
	v_cmpx_lt_u32_e64 v34, v31
; %bb.166:
	v_lshl_add_u32 v9, v34, 2, v3
	ds_load_b32 v9, v9
; %bb.167:
	s_wait_alu 0xfffe
	s_or_b32 exec_lo, exec_lo, s8
	v_cmp_ge_u32_e64 s8, v35, v32
	s_mov_b32 s9, exec_lo
                                        ; implicit-def: $vgpr33
	v_cmpx_lt_u32_e64 v35, v32
; %bb.168:
	v_lshl_add_u32 v16, v35, 2, v3
	ds_load_b32 v33, v16
; %bb.169:
	s_wait_alu 0xfffe
	s_or_b32 exec_lo, exec_lo, s9
	s_nor_b32 s3, s3, s8
	s_wait_alu 0xfffe
	s_and_saveexec_b32 s4, s3
	s_cbranch_execz .LBB1350_171
; %bb.170:
	s_wait_dscnt 0x0
	v_add_f32_e32 v16, 0, v33
	v_add_f32_e32 v17, 0, v9
	s_and_not1_b32 s8, s8, exec_lo
	s_delay_alu instid0(VALU_DEP_2) | instskip(NEXT) | instid1(VALU_DEP_2)
	v_ashrrev_i32_e32 v18, 31, v16
	v_ashrrev_i32_e32 v19, 31, v17
	s_delay_alu instid0(VALU_DEP_2) | instskip(NEXT) | instid1(VALU_DEP_2)
	v_or_b32_e32 v18, 0x80000000, v18
	v_or_b32_e32 v19, 0x80000000, v19
	s_delay_alu instid0(VALU_DEP_2) | instskip(NEXT) | instid1(VALU_DEP_2)
	v_xor_b32_e32 v16, v18, v16
	v_xor_b32_e32 v17, v19, v17
	s_delay_alu instid0(VALU_DEP_1)
	v_cmp_le_u32_e64 s3, v16, v17
	s_and_b32 s3, s3, exec_lo
	s_wait_alu 0xfffe
	s_or_b32 s8, s8, s3
.LBB1350_171:
	s_wait_alu 0xfffe
	s_or_b32 exec_lo, exec_lo, s4
	v_cndmask_b32_e64 v16, v35, v34, s8
	v_cndmask_b32_e64 v17, v32, v31, s8
	s_mov_b32 s9, -1
	s_mov_b32 s4, -1
	s_mov_b32 s10, exec_lo
	v_add_nc_u32_e32 v18, 1, v16
	v_add_nc_u32_e32 v17, -1, v17
	v_lshl_add_u32 v16, v16, 3, v2
	s_delay_alu instid0(VALU_DEP_3) | instskip(NEXT) | instid1(VALU_DEP_3)
	v_cndmask_b32_e64 v20, v18, v35, s8
	v_min_u32_e32 v17, v18, v17
	v_cndmask_b32_e64 v21, v34, v18, s8
	s_delay_alu instid0(VALU_DEP_2)
	v_lshl_add_u32 v17, v17, 2, v3
	ds_load_b32 v19, v17
	ds_load_b64 v[16:17], v16 offset:4096
	s_wait_dscnt 0x1
	v_cndmask_b32_e64 v34, v19, v33, s8
	v_cndmask_b32_e64 v35, v9, v19, s8
	v_cmpx_lt_u32_e64 v20, v32
	s_cbranch_execz .LBB1350_175
; %bb.172:
	s_mov_b32 s11, 0
	s_mov_b32 s4, exec_lo
	v_cmpx_lt_u32_e64 v21, v31
	s_cbranch_execz .LBB1350_174
; %bb.173:
	v_dual_add_f32 v18, 0, v34 :: v_dual_add_f32 v19, 0, v35
	s_delay_alu instid0(VALU_DEP_1) | instskip(NEXT) | instid1(VALU_DEP_2)
	v_ashrrev_i32_e32 v22, 31, v18
	v_ashrrev_i32_e32 v23, 31, v19
	s_delay_alu instid0(VALU_DEP_2) | instskip(NEXT) | instid1(VALU_DEP_2)
	v_or_b32_e32 v22, 0x80000000, v22
	v_or_b32_e32 v23, 0x80000000, v23
	s_delay_alu instid0(VALU_DEP_2) | instskip(NEXT) | instid1(VALU_DEP_2)
	v_xor_b32_e32 v18, v22, v18
	v_xor_b32_e32 v19, v23, v19
	s_delay_alu instid0(VALU_DEP_1)
	v_cmp_le_u32_e64 s3, v18, v19
	s_and_b32 s11, s3, exec_lo
.LBB1350_174:
	s_wait_alu 0xfffe
	s_or_b32 exec_lo, exec_lo, s4
	s_delay_alu instid0(SALU_CYCLE_1)
	s_or_not1_b32 s4, s11, exec_lo
.LBB1350_175:
	s_wait_alu 0xfffe
	s_or_b32 exec_lo, exec_lo, s10
	v_cndmask_b32_e64 v18, v20, v21, s4
	v_cndmask_b32_e64 v19, v32, v31, s4
	s_mov_b32 s10, exec_lo
	s_delay_alu instid0(VALU_DEP_2) | instskip(NEXT) | instid1(VALU_DEP_2)
	v_add_nc_u32_e32 v23, 1, v18
	v_add_nc_u32_e32 v19, -1, v19
	v_lshl_add_u32 v18, v18, 3, v2
	s_delay_alu instid0(VALU_DEP_3) | instskip(NEXT) | instid1(VALU_DEP_3)
	v_cndmask_b32_e64 v22, v23, v20, s4
	v_min_u32_e32 v19, v23, v19
	v_cndmask_b32_e64 v23, v21, v23, s4
	s_delay_alu instid0(VALU_DEP_2)
	v_lshl_add_u32 v19, v19, 2, v3
	ds_load_b32 v36, v19
	ds_load_b64 v[18:19], v18 offset:4096
	s_wait_dscnt 0x1
	v_cndmask_b32_e64 v30, v36, v34, s4
	v_cndmask_b32_e64 v36, v35, v36, s4
	v_cmpx_lt_u32_e64 v22, v32
	s_cbranch_execz .LBB1350_179
; %bb.176:
	s_mov_b32 s11, 0
	s_mov_b32 s9, exec_lo
	v_cmpx_lt_u32_e64 v23, v31
	s_cbranch_execz .LBB1350_178
; %bb.177:
	v_dual_add_f32 v20, 0, v30 :: v_dual_add_f32 v21, 0, v36
	s_delay_alu instid0(VALU_DEP_1) | instskip(NEXT) | instid1(VALU_DEP_2)
	v_ashrrev_i32_e32 v37, 31, v20
	v_ashrrev_i32_e32 v38, 31, v21
	s_delay_alu instid0(VALU_DEP_2) | instskip(NEXT) | instid1(VALU_DEP_2)
	v_or_b32_e32 v37, 0x80000000, v37
	v_or_b32_e32 v38, 0x80000000, v38
	s_delay_alu instid0(VALU_DEP_2) | instskip(NEXT) | instid1(VALU_DEP_2)
	v_xor_b32_e32 v20, v37, v20
	v_xor_b32_e32 v21, v38, v21
	s_delay_alu instid0(VALU_DEP_1)
	v_cmp_le_u32_e64 s3, v20, v21
	s_and_b32 s11, s3, exec_lo
.LBB1350_178:
	s_wait_alu 0xfffe
	s_or_b32 exec_lo, exec_lo, s9
	s_delay_alu instid0(SALU_CYCLE_1)
	s_or_not1_b32 s9, s11, exec_lo
.LBB1350_179:
	s_wait_alu 0xfffe
	s_or_b32 exec_lo, exec_lo, s10
	v_cndmask_b32_e64 v20, v22, v23, s9
	v_cndmask_b32_e64 v21, v32, v31, s9
	s_mov_b32 s11, -1
	s_mov_b32 s10, exec_lo
	s_delay_alu instid0(VALU_DEP_2) | instskip(NEXT) | instid1(VALU_DEP_2)
	v_add_nc_u32_e32 v37, 1, v20
	v_add_nc_u32_e32 v21, -1, v21
	v_lshl_add_u32 v20, v20, 3, v2
	s_delay_alu instid0(VALU_DEP_3) | instskip(NEXT) | instid1(VALU_DEP_3)
	v_cndmask_b32_e64 v22, v37, v22, s9
	v_min_u32_e32 v21, v37, v21
	v_cndmask_b32_e64 v23, v23, v37, s9
	s_delay_alu instid0(VALU_DEP_2)
	v_lshl_add_u32 v21, v21, 2, v3
	ds_load_b32 v38, v21
	ds_load_b64 v[20:21], v20 offset:4096
	s_wait_dscnt 0x1
	v_cndmask_b32_e64 v37, v38, v30, s9
	v_cndmask_b32_e64 v38, v36, v38, s9
	v_cmpx_lt_u32_e64 v22, v32
	s_cbranch_execz .LBB1350_183
; %bb.180:
	s_mov_b32 s12, 0
	s_mov_b32 s11, exec_lo
	v_cmpx_lt_u32_e64 v23, v31
	s_cbranch_execz .LBB1350_182
; %bb.181:
	v_dual_add_f32 v31, 0, v37 :: v_dual_add_f32 v32, 0, v38
	s_delay_alu instid0(VALU_DEP_1) | instskip(NEXT) | instid1(VALU_DEP_2)
	v_ashrrev_i32_e32 v39, 31, v31
	v_ashrrev_i32_e32 v52, 31, v32
	s_delay_alu instid0(VALU_DEP_2) | instskip(NEXT) | instid1(VALU_DEP_2)
	v_or_b32_e32 v39, 0x80000000, v39
	v_or_b32_e32 v52, 0x80000000, v52
	s_delay_alu instid0(VALU_DEP_2) | instskip(NEXT) | instid1(VALU_DEP_2)
	v_xor_b32_e32 v31, v39, v31
	v_xor_b32_e32 v32, v52, v32
	s_delay_alu instid0(VALU_DEP_1)
	v_cmp_le_u32_e64 s3, v31, v32
	s_and_b32 s12, s3, exec_lo
.LBB1350_182:
	s_wait_alu 0xfffe
	s_or_b32 exec_lo, exec_lo, s11
	s_delay_alu instid0(SALU_CYCLE_1)
	s_or_not1_b32 s11, s12, exec_lo
.LBB1350_183:
	s_wait_alu 0xfffe
	s_or_b32 exec_lo, exec_lo, s10
	v_cndmask_b32_e64 v22, v22, v23, s11
	v_cndmask_b32_e64 v30, v30, v36, s9
	;; [unrolled: 1-line block ×5, first 2 shown]
	v_lshl_add_u32 v22, v22, 3, v2
	ds_load_b64 v[22:23], v22 offset:4096
.LBB1350_184:
	s_wait_alu 0xfffe
	s_or_b32 exec_lo, exec_lo, s7
	v_and_b32_e32 v33, 0x60, v51
	; wave barrier
	ds_store_b32 v7, v53
	ds_store_b64 v27, v[16:17]
	s_mov_b32 s4, exec_lo
	v_or_b32_e32 v31, 16, v33
	ds_store_b32 v15, v52
	ds_store_b64 v24, v[18:19]
	ds_store_b32 v25, v30
	s_wait_dscnt 0x6
	ds_store_b64 v28, v[20:21]
	ds_store_b32 v26, v9
	s_wait_dscnt 0x7
	ds_store_b64 v29, v[22:23]
	; wave barrier
	v_min_u32_e32 v31, v6, v31
	s_delay_alu instid0(VALU_DEP_1) | instskip(SKIP_1) | instid1(VALU_DEP_2)
	v_add_nc_u32_e32 v32, 16, v31
	v_sub_nc_u32_e32 v35, v31, v33
	v_min_u32_e32 v32, v6, v32
	v_min_u32_e32 v6, v6, v12
	s_delay_alu instid0(VALU_DEP_2) | instskip(NEXT) | instid1(VALU_DEP_2)
	v_sub_nc_u32_e32 v34, v32, v31
	v_min_u32_e32 v27, v6, v35
	s_delay_alu instid0(VALU_DEP_2) | instskip(NEXT) | instid1(VALU_DEP_1)
	v_sub_nc_u32_e64 v7, v6, v34 clamp
	v_cmpx_lt_u32_e64 v7, v27
	s_cbranch_execz .LBB1350_188
; %bb.185:
	v_lshlrev_b32_e32 v15, 2, v33
	v_lshlrev_b32_e32 v24, 2, v31
	s_mov_b32 s7, 0
	s_delay_alu instid0(VALU_DEP_2) | instskip(NEXT) | instid1(VALU_DEP_2)
	v_add_co_u32 v15, null, v3, v15
	v_add_co_u32 v24, null, v3, v24
.LBB1350_186:                           ; =>This Inner Loop Header: Depth=1
	v_add_nc_u32_e32 v25, v27, v7
	s_delay_alu instid0(VALU_DEP_1) | instskip(NEXT) | instid1(VALU_DEP_1)
	v_lshrrev_b32_e32 v25, 1, v25
	v_xad_u32 v26, v25, -1, v6
	v_lshl_add_u32 v28, v25, 2, v15
	s_delay_alu instid0(VALU_DEP_2)
	v_lshl_add_u32 v26, v26, 2, v24
	ds_load_b32 v28, v28
	ds_load_b32 v26, v26
	s_wait_dscnt 0x1
	v_add_f32_e32 v28, 0, v28
	s_wait_dscnt 0x0
	v_add_f32_e32 v26, 0, v26
	s_delay_alu instid0(VALU_DEP_2) | instskip(NEXT) | instid1(VALU_DEP_1)
	v_ashrrev_i32_e32 v29, 31, v28
	v_or_b32_e32 v29, 0x80000000, v29
	s_delay_alu instid0(VALU_DEP_1) | instskip(SKIP_2) | instid1(VALU_DEP_1)
	v_xor_b32_e32 v28, v29, v28
	v_add_nc_u32_e32 v29, 1, v25
	v_ashrrev_i32_e32 v34, 31, v26
	v_or_b32_e32 v34, 0x80000000, v34
	s_delay_alu instid0(VALU_DEP_1) | instskip(NEXT) | instid1(VALU_DEP_1)
	v_xor_b32_e32 v26, v34, v26
	v_cmp_gt_u32_e64 s3, v26, v28
	s_wait_alu 0xf1ff
	s_delay_alu instid0(VALU_DEP_1) | instskip(SKIP_1) | instid1(VALU_DEP_1)
	v_cndmask_b32_e64 v27, v27, v25, s3
	v_cndmask_b32_e64 v7, v29, v7, s3
	v_cmp_ge_u32_e64 s3, v7, v27
	s_wait_alu 0xfffe
	s_or_b32 s7, s3, s7
	s_wait_alu 0xfffe
	s_and_not1_b32 exec_lo, exec_lo, s7
	s_cbranch_execnz .LBB1350_186
; %bb.187:
	s_or_b32 exec_lo, exec_lo, s7
.LBB1350_188:
	s_wait_alu 0xfffe
	s_or_b32 exec_lo, exec_lo, s4
	v_add_nc_u32_e32 v6, v31, v6
	v_add_nc_u32_e32 v15, v7, v33
	s_delay_alu instid0(VALU_DEP_2) | instskip(NEXT) | instid1(VALU_DEP_2)
	v_sub_nc_u32_e32 v24, v6, v7
	v_cmp_le_u32_e64 s3, v15, v31
	s_delay_alu instid0(VALU_DEP_2)
	v_cmp_le_u32_e64 s4, v24, v32
	s_or_b32 s3, s3, s4
	s_wait_alu 0xfffe
	s_and_saveexec_b32 s7, s3
	s_cbranch_execz .LBB1350_208
; %bb.189:
	v_cmp_ge_u32_e64 s3, v15, v31
	s_mov_b32 s8, exec_lo
                                        ; implicit-def: $vgpr6
	v_cmpx_lt_u32_e64 v15, v31
; %bb.190:
	v_lshl_add_u32 v6, v15, 2, v3
	ds_load_b32 v6, v6
; %bb.191:
	s_wait_alu 0xfffe
	s_or_b32 exec_lo, exec_lo, s8
	v_cmp_ge_u32_e64 s8, v24, v32
	s_mov_b32 s9, exec_lo
                                        ; implicit-def: $vgpr7
	v_cmpx_lt_u32_e64 v24, v32
; %bb.192:
	v_lshl_add_u32 v7, v24, 2, v3
	ds_load_b32 v7, v7
; %bb.193:
	s_wait_alu 0xfffe
	s_or_b32 exec_lo, exec_lo, s9
	s_nor_b32 s3, s3, s8
	s_wait_alu 0xfffe
	s_and_saveexec_b32 s4, s3
	s_cbranch_execz .LBB1350_195
; %bb.194:
	s_wait_dscnt 0x0
	v_dual_add_f32 v9, 0, v7 :: v_dual_add_f32 v16, 0, v6
	s_and_not1_b32 s8, s8, exec_lo
	s_delay_alu instid0(VALU_DEP_1) | instskip(NEXT) | instid1(VALU_DEP_2)
	v_ashrrev_i32_e32 v17, 31, v9
	v_ashrrev_i32_e32 v18, 31, v16
	s_delay_alu instid0(VALU_DEP_2) | instskip(NEXT) | instid1(VALU_DEP_2)
	v_or_b32_e32 v17, 0x80000000, v17
	v_or_b32_e32 v18, 0x80000000, v18
	s_delay_alu instid0(VALU_DEP_2) | instskip(NEXT) | instid1(VALU_DEP_2)
	v_xor_b32_e32 v9, v17, v9
	v_xor_b32_e32 v16, v18, v16
	s_delay_alu instid0(VALU_DEP_1)
	v_cmp_le_u32_e64 s3, v9, v16
	s_and_b32 s3, s3, exec_lo
	s_wait_alu 0xfffe
	s_or_b32 s8, s8, s3
.LBB1350_195:
	s_wait_alu 0xfffe
	s_or_b32 exec_lo, exec_lo, s4
	v_cndmask_b32_e64 v9, v24, v15, s8
	v_cndmask_b32_e64 v16, v32, v31, s8
	s_mov_b32 s9, -1
	s_mov_b32 s4, -1
	s_mov_b32 s10, exec_lo
	v_add_nc_u32_e32 v18, 1, v9
	v_add_nc_u32_e32 v16, -1, v16
	v_lshl_add_u32 v9, v9, 3, v2
	s_delay_alu instid0(VALU_DEP_3) | instskip(NEXT) | instid1(VALU_DEP_3)
	v_cndmask_b32_e64 v20, v18, v24, s8
	v_min_u32_e32 v16, v18, v16
	v_cndmask_b32_e64 v21, v15, v18, s8
	s_delay_alu instid0(VALU_DEP_2)
	v_lshl_add_u32 v16, v16, 2, v3
	ds_load_b32 v19, v16
	ds_load_b64 v[16:17], v9 offset:4096
	s_wait_dscnt 0x1
	v_cndmask_b32_e64 v9, v19, v7, s8
	v_cndmask_b32_e64 v15, v6, v19, s8
	v_cmpx_lt_u32_e64 v20, v32
	s_cbranch_execz .LBB1350_199
; %bb.196:
	s_mov_b32 s11, 0
	s_mov_b32 s4, exec_lo
	v_cmpx_lt_u32_e64 v21, v31
	s_cbranch_execz .LBB1350_198
; %bb.197:
	v_dual_add_f32 v18, 0, v9 :: v_dual_add_f32 v19, 0, v15
	s_delay_alu instid0(VALU_DEP_1) | instskip(NEXT) | instid1(VALU_DEP_2)
	v_ashrrev_i32_e32 v22, 31, v18
	v_ashrrev_i32_e32 v23, 31, v19
	s_delay_alu instid0(VALU_DEP_2) | instskip(NEXT) | instid1(VALU_DEP_2)
	v_or_b32_e32 v22, 0x80000000, v22
	v_or_b32_e32 v23, 0x80000000, v23
	s_delay_alu instid0(VALU_DEP_2) | instskip(NEXT) | instid1(VALU_DEP_2)
	v_xor_b32_e32 v18, v22, v18
	v_xor_b32_e32 v19, v23, v19
	s_delay_alu instid0(VALU_DEP_1)
	v_cmp_le_u32_e64 s3, v18, v19
	s_and_b32 s11, s3, exec_lo
.LBB1350_198:
	s_wait_alu 0xfffe
	s_or_b32 exec_lo, exec_lo, s4
	s_delay_alu instid0(SALU_CYCLE_1)
	s_or_not1_b32 s4, s11, exec_lo
.LBB1350_199:
	s_wait_alu 0xfffe
	s_or_b32 exec_lo, exec_lo, s10
	v_cndmask_b32_e64 v18, v20, v21, s4
	v_cndmask_b32_e64 v19, v32, v31, s4
	s_mov_b32 s10, exec_lo
	s_delay_alu instid0(VALU_DEP_2) | instskip(NEXT) | instid1(VALU_DEP_2)
	v_add_nc_u32_e32 v23, 1, v18
	v_add_nc_u32_e32 v19, -1, v19
	v_lshl_add_u32 v18, v18, 3, v2
	s_delay_alu instid0(VALU_DEP_3) | instskip(NEXT) | instid1(VALU_DEP_3)
	v_cndmask_b32_e64 v22, v23, v20, s4
	v_min_u32_e32 v19, v23, v19
	v_cndmask_b32_e64 v23, v21, v23, s4
	s_delay_alu instid0(VALU_DEP_2)
	v_lshl_add_u32 v19, v19, 2, v3
	ds_load_b32 v25, v19
	ds_load_b64 v[18:19], v18 offset:4096
	s_wait_dscnt 0x1
	v_cndmask_b32_e64 v24, v25, v9, s4
	v_cndmask_b32_e64 v25, v15, v25, s4
	v_cmpx_lt_u32_e64 v22, v32
	s_cbranch_execz .LBB1350_203
; %bb.200:
	s_mov_b32 s11, 0
	s_mov_b32 s9, exec_lo
	v_cmpx_lt_u32_e64 v23, v31
	s_cbranch_execz .LBB1350_202
; %bb.201:
	v_dual_add_f32 v20, 0, v24 :: v_dual_add_f32 v21, 0, v25
	s_delay_alu instid0(VALU_DEP_1) | instskip(NEXT) | instid1(VALU_DEP_2)
	v_ashrrev_i32_e32 v26, 31, v20
	v_ashrrev_i32_e32 v27, 31, v21
	s_delay_alu instid0(VALU_DEP_2) | instskip(NEXT) | instid1(VALU_DEP_2)
	v_or_b32_e32 v26, 0x80000000, v26
	v_or_b32_e32 v27, 0x80000000, v27
	s_delay_alu instid0(VALU_DEP_2) | instskip(NEXT) | instid1(VALU_DEP_2)
	v_xor_b32_e32 v20, v26, v20
	v_xor_b32_e32 v21, v27, v21
	s_delay_alu instid0(VALU_DEP_1)
	v_cmp_le_u32_e64 s3, v20, v21
	s_and_b32 s11, s3, exec_lo
.LBB1350_202:
	s_wait_alu 0xfffe
	s_or_b32 exec_lo, exec_lo, s9
	s_delay_alu instid0(SALU_CYCLE_1)
	s_or_not1_b32 s9, s11, exec_lo
.LBB1350_203:
	s_wait_alu 0xfffe
	s_or_b32 exec_lo, exec_lo, s10
	v_cndmask_b32_e64 v20, v22, v23, s9
	v_cndmask_b32_e64 v21, v32, v31, s9
	s_mov_b32 s11, -1
	s_mov_b32 s10, exec_lo
	s_delay_alu instid0(VALU_DEP_2) | instskip(NEXT) | instid1(VALU_DEP_2)
	v_add_nc_u32_e32 v26, 1, v20
	v_add_nc_u32_e32 v21, -1, v21
	s_delay_alu instid0(VALU_DEP_2) | instskip(NEXT) | instid1(VALU_DEP_2)
	v_cndmask_b32_e64 v22, v26, v22, s9
	v_min_u32_e32 v21, v26, v21
	v_cndmask_b32_e64 v23, v23, v26, s9
	s_delay_alu instid0(VALU_DEP_2)
	v_lshl_add_u32 v3, v21, 2, v3
	ds_load_b32 v27, v3
	v_lshl_add_u32 v3, v20, 3, v2
	ds_load_b64 v[20:21], v3 offset:4096
	s_wait_dscnt 0x1
	v_cndmask_b32_e64 v3, v27, v24, s9
	v_cndmask_b32_e64 v26, v25, v27, s9
	v_cmpx_lt_u32_e64 v22, v32
	s_cbranch_execz .LBB1350_207
; %bb.204:
	s_mov_b32 s12, 0
	s_mov_b32 s11, exec_lo
	v_cmpx_lt_u32_e64 v23, v31
	s_cbranch_execz .LBB1350_206
; %bb.205:
	v_dual_add_f32 v27, 0, v3 :: v_dual_add_f32 v28, 0, v26
	s_delay_alu instid0(VALU_DEP_1) | instskip(NEXT) | instid1(VALU_DEP_2)
	v_ashrrev_i32_e32 v29, 31, v27
	v_ashrrev_i32_e32 v30, 31, v28
	s_delay_alu instid0(VALU_DEP_2) | instskip(NEXT) | instid1(VALU_DEP_2)
	v_or_b32_e32 v29, 0x80000000, v29
	v_or_b32_e32 v30, 0x80000000, v30
	s_delay_alu instid0(VALU_DEP_2) | instskip(NEXT) | instid1(VALU_DEP_2)
	v_xor_b32_e32 v27, v29, v27
	v_xor_b32_e32 v28, v30, v28
	s_delay_alu instid0(VALU_DEP_1)
	v_cmp_le_u32_e64 s3, v27, v28
	s_and_b32 s12, s3, exec_lo
.LBB1350_206:
	s_wait_alu 0xfffe
	s_or_b32 exec_lo, exec_lo, s11
	s_delay_alu instid0(SALU_CYCLE_1)
	s_or_not1_b32 s11, s12, exec_lo
.LBB1350_207:
	s_wait_alu 0xfffe
	s_or_b32 exec_lo, exec_lo, s10
	v_cndmask_b32_e64 v22, v22, v23, s11
	v_cndmask_b32_e64 v30, v24, v25, s9
	;; [unrolled: 1-line block ×5, first 2 shown]
	v_lshl_add_u32 v2, v22, 3, v2
	ds_load_b64 v[22:23], v2 offset:4096
.LBB1350_208:
	s_wait_alu 0xfffe
	s_or_b32 exec_lo, exec_lo, s7
	v_add_co_u32 v2, s3, v4, v48
	s_wait_alu 0xf1ff
	v_add_co_ci_u32_e64 v3, null, v5, v49, s3
	s_delay_alu instid0(VALU_DEP_2) | instskip(SKIP_1) | instid1(VALU_DEP_2)
	v_add_co_u32 v2, s3, v2, v50
	s_wait_alu 0xf1ff
	v_add_co_ci_u32_e64 v3, null, 0, v3, s3
	; wave barrier
	s_wait_storecnt_dscnt 0x0
	s_barrier_signal -1
	s_barrier_wait -1
	global_inv scope:SCOPE_SE
	; wave barrier
	s_and_saveexec_b32 s3, vcc_lo
	s_cbranch_execnz .LBB1350_230
; %bb.209:
	s_wait_alu 0xfffe
	s_or_b32 exec_lo, exec_lo, s3
	s_and_saveexec_b32 s3, s0
	s_cbranch_execnz .LBB1350_231
.LBB1350_210:
	s_wait_alu 0xfffe
	s_or_b32 exec_lo, exec_lo, s3
	s_and_saveexec_b32 s3, s2
	s_cbranch_execnz .LBB1350_232
.LBB1350_211:
	s_wait_alu 0xfffe
	s_or_b32 exec_lo, exec_lo, s3
	s_and_saveexec_b32 s3, s1
	s_cbranch_execz .LBB1350_213
.LBB1350_212:
	flat_store_b32 v[2:3], v9 offset:12
.LBB1350_213:
	s_wait_alu 0xfffe
	s_or_b32 exec_lo, exec_lo, s3
	v_add_co_u32 v0, s3, v10, v0
	s_wait_alu 0xf1ff
	v_add_co_ci_u32_e64 v1, null, v11, v1, s3
	s_delay_alu instid0(VALU_DEP_2) | instskip(SKIP_1) | instid1(VALU_DEP_2)
	v_add_co_u32 v0, s3, v0, v8
	s_wait_alu 0xf1ff
	v_add_co_ci_u32_e64 v1, null, 0, v1, s3
	; wave barrier
	s_and_saveexec_b32 s3, vcc_lo
	s_cbranch_execnz .LBB1350_233
; %bb.214:
	s_wait_alu 0xfffe
	s_or_b32 exec_lo, exec_lo, s3
	s_and_saveexec_b32 s3, s0
	s_cbranch_execnz .LBB1350_234
.LBB1350_215:
	s_wait_alu 0xfffe
	s_or_b32 exec_lo, exec_lo, s3
	s_and_saveexec_b32 s0, s2
	s_cbranch_execz .LBB1350_217
.LBB1350_216:
	flat_store_b64 v[0:1], v[20:21] offset:16
.LBB1350_217:
	s_wait_alu 0xfffe
	s_or_b32 exec_lo, exec_lo, s0
	v_dual_mov_b32 v8, v10 :: v_dual_mov_b32 v9, v11
	s_and_not1_b32 s0, s5, exec_lo
	s_and_b32 s1, s1, exec_lo
	s_wait_alu 0xfffe
	s_or_b32 s5, s0, s1
	s_or_b32 exec_lo, exec_lo, s6
	s_wait_alu 0xfffe
	s_and_saveexec_b32 s0, s5
	s_cbranch_execz .LBB1350_3
.LBB1350_218:
	v_lshlrev_b64_e32 v[0:1], 3, v[13:14]
	v_lshlrev_b32_e32 v2, 3, v12
	s_delay_alu instid0(VALU_DEP_2) | instskip(SKIP_1) | instid1(VALU_DEP_3)
	v_add_co_u32 v0, vcc_lo, v8, v0
	s_wait_alu 0xfffd
	v_add_co_ci_u32_e64 v1, null, v9, v1, vcc_lo
	s_delay_alu instid0(VALU_DEP_2) | instskip(SKIP_1) | instid1(VALU_DEP_2)
	v_add_co_u32 v0, vcc_lo, v0, v2
	s_wait_alu 0xfffd
	v_add_co_ci_u32_e64 v1, null, 0, v1, vcc_lo
	flat_store_b64 v[0:1], v[22:23] offset:24
	s_wait_alu 0xfffe
	s_or_b32 exec_lo, exec_lo, s0
	s_wait_loadcnt_dscnt 0x0
	s_setpc_b64 s[30:31]
.LBB1350_219:
	flat_load_b64 v[17:18], v[4:5]
	v_dual_mov_b32 v23, v16 :: v_dual_mov_b32 v24, v16
	v_dual_mov_b32 v19, v16 :: v_dual_mov_b32 v20, v16
	v_dual_mov_b32 v21, v16 :: v_dual_mov_b32 v22, v16
	s_wait_loadcnt_dscnt 0x0
	v_mov_b32_e32 v16, v17
	v_mov_b32_e32 v17, v18
	v_mov_b32_e32 v18, v19
	v_mov_b32_e32 v19, v20
	v_mov_b32_e32 v20, v21
	v_mov_b32_e32 v21, v22
	v_mov_b32_e32 v22, v23
	v_mov_b32_e32 v23, v24
	s_wait_alu 0xfffe
	s_or_b32 exec_lo, exec_lo, s3
	s_and_saveexec_b32 s3, s0
	s_cbranch_execz .LBB1350_14
.LBB1350_220:
	flat_load_b64 v[18:19], v[4:5] offset:8
	s_wait_alu 0xfffe
	s_or_b32 exec_lo, exec_lo, s3
	s_and_saveexec_b32 s3, s1
	s_cbranch_execz .LBB1350_15
.LBB1350_221:
	flat_load_b64 v[20:21], v[4:5] offset:16
	s_wait_alu 0xfffe
	s_or_b32 exec_lo, exec_lo, s3
	s_and_saveexec_b32 s3, s2
	s_cbranch_execnz .LBB1350_16
	s_branch .LBB1350_17
.LBB1350_222:
	flat_store_b32 v[2:3], v53
	s_wait_alu 0xfffe
	s_or_b32 exec_lo, exec_lo, s3
	s_and_saveexec_b32 s3, s0
	s_cbranch_execz .LBB1350_103
.LBB1350_223:
	flat_store_b32 v[2:3], v52 offset:4
	s_wait_alu 0xfffe
	s_or_b32 exec_lo, exec_lo, s3
	s_and_saveexec_b32 s3, s1
	s_cbranch_execz .LBB1350_104
.LBB1350_224:
	flat_store_b32 v[2:3], v30 offset:8
	s_wait_alu 0xfffe
	s_or_b32 exec_lo, exec_lo, s3
	s_and_saveexec_b32 s3, s2
	s_cbranch_execnz .LBB1350_105
	s_branch .LBB1350_106
.LBB1350_225:
	flat_store_b64 v[0:1], v[16:17]
	s_wait_alu 0xfffe
	s_or_b32 exec_lo, exec_lo, s3
	s_and_saveexec_b32 s3, s0
	s_cbranch_execz .LBB1350_108
.LBB1350_226:
	flat_store_b64 v[0:1], v[18:19] offset:8
	s_wait_alu 0xfffe
	s_or_b32 exec_lo, exec_lo, s3
	s_and_saveexec_b32 s0, s1
	s_cbranch_execnz .LBB1350_109
	s_branch .LBB1350_110
.LBB1350_227:
	flat_load_b64 v[17:18], v[2:3]
	v_dual_mov_b32 v23, v16 :: v_dual_mov_b32 v24, v16
	v_dual_mov_b32 v19, v16 :: v_dual_mov_b32 v20, v16
	;; [unrolled: 1-line block ×3, first 2 shown]
	s_wait_loadcnt_dscnt 0x0
	v_mov_b32_e32 v16, v17
	v_mov_b32_e32 v17, v18
	;; [unrolled: 1-line block ×8, first 2 shown]
	s_wait_alu 0xfffe
	s_or_b32 exec_lo, exec_lo, s3
	s_and_saveexec_b32 s3, s0
	s_cbranch_execz .LBB1350_121
.LBB1350_228:
	flat_load_b64 v[18:19], v[2:3] offset:8
	s_wait_alu 0xfffe
	s_or_b32 exec_lo, exec_lo, s3
	s_and_saveexec_b32 s3, s2
	s_cbranch_execz .LBB1350_122
.LBB1350_229:
	flat_load_b64 v[20:21], v[2:3] offset:16
	s_wait_alu 0xfffe
	s_or_b32 exec_lo, exec_lo, s3
	s_and_saveexec_b32 s3, s1
	s_cbranch_execnz .LBB1350_123
	s_branch .LBB1350_124
.LBB1350_230:
	flat_store_b32 v[2:3], v53
	s_wait_alu 0xfffe
	s_or_b32 exec_lo, exec_lo, s3
	s_and_saveexec_b32 s3, s0
	s_cbranch_execz .LBB1350_210
.LBB1350_231:
	flat_store_b32 v[2:3], v52 offset:4
	s_wait_alu 0xfffe
	s_or_b32 exec_lo, exec_lo, s3
	s_and_saveexec_b32 s3, s2
	s_cbranch_execz .LBB1350_211
.LBB1350_232:
	flat_store_b32 v[2:3], v30 offset:8
	s_wait_alu 0xfffe
	s_or_b32 exec_lo, exec_lo, s3
	s_and_saveexec_b32 s3, s1
	s_cbranch_execnz .LBB1350_212
	s_branch .LBB1350_213
.LBB1350_233:
	flat_store_b64 v[0:1], v[16:17]
	s_wait_alu 0xfffe
	s_or_b32 exec_lo, exec_lo, s3
	s_and_saveexec_b32 s3, s0
	s_cbranch_execz .LBB1350_215
.LBB1350_234:
	flat_store_b64 v[0:1], v[18:19] offset:8
	s_wait_alu 0xfffe
	s_or_b32 exec_lo, exec_lo, s3
	s_and_saveexec_b32 s0, s2
	s_cbranch_execnz .LBB1350_216
	s_branch .LBB1350_217
.Lfunc_end1350:
	.size	_ZN7rocprim17ROCPRIM_400000_NS6detail26segmented_warp_sort_helperINS1_20WarpSortHelperConfigILj8ELj4ELj256EEEflLi256ELb1EvE4sortIPKfPfPKlPlEEvT_S9_T0_T1_SC_T2_bjjjjRNS5_12storage_typeE, .Lfunc_end1350-_ZN7rocprim17ROCPRIM_400000_NS6detail26segmented_warp_sort_helperINS1_20WarpSortHelperConfigILj8ELj4ELj256EEEflLi256ELb1EvE4sortIPKfPfPKlPlEEvT_S9_T0_T1_SC_T2_bjjjjRNS5_12storage_typeE
                                        ; -- End function
	.set .L_ZN7rocprim17ROCPRIM_400000_NS6detail26segmented_warp_sort_helperINS1_20WarpSortHelperConfigILj8ELj4ELj256EEEflLi256ELb1EvE4sortIPKfPfPKlPlEEvT_S9_T0_T1_SC_T2_bjjjjRNS5_12storage_typeE.num_vgpr, 66
	.set .L_ZN7rocprim17ROCPRIM_400000_NS6detail26segmented_warp_sort_helperINS1_20WarpSortHelperConfigILj8ELj4ELj256EEEflLi256ELb1EvE4sortIPKfPfPKlPlEEvT_S9_T0_T1_SC_T2_bjjjjRNS5_12storage_typeE.num_agpr, 0
	.set .L_ZN7rocprim17ROCPRIM_400000_NS6detail26segmented_warp_sort_helperINS1_20WarpSortHelperConfigILj8ELj4ELj256EEEflLi256ELb1EvE4sortIPKfPfPKlPlEEvT_S9_T0_T1_SC_T2_bjjjjRNS5_12storage_typeE.numbered_sgpr, 32
	.set .L_ZN7rocprim17ROCPRIM_400000_NS6detail26segmented_warp_sort_helperINS1_20WarpSortHelperConfigILj8ELj4ELj256EEEflLi256ELb1EvE4sortIPKfPfPKlPlEEvT_S9_T0_T1_SC_T2_bjjjjRNS5_12storage_typeE.num_named_barrier, 0
	.set .L_ZN7rocprim17ROCPRIM_400000_NS6detail26segmented_warp_sort_helperINS1_20WarpSortHelperConfigILj8ELj4ELj256EEEflLi256ELb1EvE4sortIPKfPfPKlPlEEvT_S9_T0_T1_SC_T2_bjjjjRNS5_12storage_typeE.private_seg_size, 0
	.set .L_ZN7rocprim17ROCPRIM_400000_NS6detail26segmented_warp_sort_helperINS1_20WarpSortHelperConfigILj8ELj4ELj256EEEflLi256ELb1EvE4sortIPKfPfPKlPlEEvT_S9_T0_T1_SC_T2_bjjjjRNS5_12storage_typeE.uses_vcc, 1
	.set .L_ZN7rocprim17ROCPRIM_400000_NS6detail26segmented_warp_sort_helperINS1_20WarpSortHelperConfigILj8ELj4ELj256EEEflLi256ELb1EvE4sortIPKfPfPKlPlEEvT_S9_T0_T1_SC_T2_bjjjjRNS5_12storage_typeE.uses_flat_scratch, 0
	.set .L_ZN7rocprim17ROCPRIM_400000_NS6detail26segmented_warp_sort_helperINS1_20WarpSortHelperConfigILj8ELj4ELj256EEEflLi256ELb1EvE4sortIPKfPfPKlPlEEvT_S9_T0_T1_SC_T2_bjjjjRNS5_12storage_typeE.has_dyn_sized_stack, 0
	.set .L_ZN7rocprim17ROCPRIM_400000_NS6detail26segmented_warp_sort_helperINS1_20WarpSortHelperConfigILj8ELj4ELj256EEEflLi256ELb1EvE4sortIPKfPfPKlPlEEvT_S9_T0_T1_SC_T2_bjjjjRNS5_12storage_typeE.has_recursion, 0
	.set .L_ZN7rocprim17ROCPRIM_400000_NS6detail26segmented_warp_sort_helperINS1_20WarpSortHelperConfigILj8ELj4ELj256EEEflLi256ELb1EvE4sortIPKfPfPKlPlEEvT_S9_T0_T1_SC_T2_bjjjjRNS5_12storage_typeE.has_indirect_call, 0
	.section	.AMDGPU.csdata,"",@progbits
; Function info:
; codeLenInByte = 12576
; TotalNumSgprs: 34
; NumVgprs: 66
; ScratchSize: 0
; MemoryBound: 1
	.section	.text._ZN7rocprim17ROCPRIM_400000_NS6detail17trampoline_kernelINS0_14default_configENS1_36segmented_radix_sort_config_selectorIflEEZNS1_25segmented_radix_sort_implIS3_Lb1EPKfPfPKlPlN2at6native12_GLOBAL__N_18offset_tEEE10hipError_tPvRmT1_PNSt15iterator_traitsISK_E10value_typeET2_T3_PNSL_ISQ_E10value_typeET4_jRbjT5_SW_jjP12ihipStream_tbEUlT_E1_NS1_11comp_targetILNS1_3genE10ELNS1_11target_archE1201ELNS1_3gpuE5ELNS1_3repE0EEENS1_59segmented_radix_sort_warp_sort_small_config_static_selectorELNS0_4arch9wavefront6targetE0EEEvSK_,"axG",@progbits,_ZN7rocprim17ROCPRIM_400000_NS6detail17trampoline_kernelINS0_14default_configENS1_36segmented_radix_sort_config_selectorIflEEZNS1_25segmented_radix_sort_implIS3_Lb1EPKfPfPKlPlN2at6native12_GLOBAL__N_18offset_tEEE10hipError_tPvRmT1_PNSt15iterator_traitsISK_E10value_typeET2_T3_PNSL_ISQ_E10value_typeET4_jRbjT5_SW_jjP12ihipStream_tbEUlT_E1_NS1_11comp_targetILNS1_3genE10ELNS1_11target_archE1201ELNS1_3gpuE5ELNS1_3repE0EEENS1_59segmented_radix_sort_warp_sort_small_config_static_selectorELNS0_4arch9wavefront6targetE0EEEvSK_,comdat
	.globl	_ZN7rocprim17ROCPRIM_400000_NS6detail17trampoline_kernelINS0_14default_configENS1_36segmented_radix_sort_config_selectorIflEEZNS1_25segmented_radix_sort_implIS3_Lb1EPKfPfPKlPlN2at6native12_GLOBAL__N_18offset_tEEE10hipError_tPvRmT1_PNSt15iterator_traitsISK_E10value_typeET2_T3_PNSL_ISQ_E10value_typeET4_jRbjT5_SW_jjP12ihipStream_tbEUlT_E1_NS1_11comp_targetILNS1_3genE10ELNS1_11target_archE1201ELNS1_3gpuE5ELNS1_3repE0EEENS1_59segmented_radix_sort_warp_sort_small_config_static_selectorELNS0_4arch9wavefront6targetE0EEEvSK_ ; -- Begin function _ZN7rocprim17ROCPRIM_400000_NS6detail17trampoline_kernelINS0_14default_configENS1_36segmented_radix_sort_config_selectorIflEEZNS1_25segmented_radix_sort_implIS3_Lb1EPKfPfPKlPlN2at6native12_GLOBAL__N_18offset_tEEE10hipError_tPvRmT1_PNSt15iterator_traitsISK_E10value_typeET2_T3_PNSL_ISQ_E10value_typeET4_jRbjT5_SW_jjP12ihipStream_tbEUlT_E1_NS1_11comp_targetILNS1_3genE10ELNS1_11target_archE1201ELNS1_3gpuE5ELNS1_3repE0EEENS1_59segmented_radix_sort_warp_sort_small_config_static_selectorELNS0_4arch9wavefront6targetE0EEEvSK_
	.p2align	8
	.type	_ZN7rocprim17ROCPRIM_400000_NS6detail17trampoline_kernelINS0_14default_configENS1_36segmented_radix_sort_config_selectorIflEEZNS1_25segmented_radix_sort_implIS3_Lb1EPKfPfPKlPlN2at6native12_GLOBAL__N_18offset_tEEE10hipError_tPvRmT1_PNSt15iterator_traitsISK_E10value_typeET2_T3_PNSL_ISQ_E10value_typeET4_jRbjT5_SW_jjP12ihipStream_tbEUlT_E1_NS1_11comp_targetILNS1_3genE10ELNS1_11target_archE1201ELNS1_3gpuE5ELNS1_3repE0EEENS1_59segmented_radix_sort_warp_sort_small_config_static_selectorELNS0_4arch9wavefront6targetE0EEEvSK_,@function
_ZN7rocprim17ROCPRIM_400000_NS6detail17trampoline_kernelINS0_14default_configENS1_36segmented_radix_sort_config_selectorIflEEZNS1_25segmented_radix_sort_implIS3_Lb1EPKfPfPKlPlN2at6native12_GLOBAL__N_18offset_tEEE10hipError_tPvRmT1_PNSt15iterator_traitsISK_E10value_typeET2_T3_PNSL_ISQ_E10value_typeET4_jRbjT5_SW_jjP12ihipStream_tbEUlT_E1_NS1_11comp_targetILNS1_3genE10ELNS1_11target_archE1201ELNS1_3gpuE5ELNS1_3repE0EEENS1_59segmented_radix_sort_warp_sort_small_config_static_selectorELNS0_4arch9wavefront6targetE0EEEvSK_: ; @_ZN7rocprim17ROCPRIM_400000_NS6detail17trampoline_kernelINS0_14default_configENS1_36segmented_radix_sort_config_selectorIflEEZNS1_25segmented_radix_sort_implIS3_Lb1EPKfPfPKlPlN2at6native12_GLOBAL__N_18offset_tEEE10hipError_tPvRmT1_PNSt15iterator_traitsISK_E10value_typeET2_T3_PNSL_ISQ_E10value_typeET4_jRbjT5_SW_jjP12ihipStream_tbEUlT_E1_NS1_11comp_targetILNS1_3genE10ELNS1_11target_archE1201ELNS1_3gpuE5ELNS1_3repE0EEENS1_59segmented_radix_sort_warp_sort_small_config_static_selectorELNS0_4arch9wavefront6targetE0EEEvSK_
; %bb.0:
	s_load_b32 s2, s[0:1], 0x64
	v_bfe_u32 v1, v0, 10, 10
	v_bfe_u32 v2, v0, 20, 10
	s_mov_b32 s32, 0
	s_wait_kmcnt 0x0
	s_lshr_b32 s3, s2, 16
	s_and_b32 s2, s2, 0xffff
	v_mad_u32_u24 v2, v2, s3, v1
	v_and_b32_e32 v1, 0x3ff, v0
	s_load_b32 s3, s[0:1], 0x34
	s_delay_alu instid0(VALU_DEP_1) | instskip(SKIP_2) | instid1(VALU_DEP_1)
	v_mad_co_u64_u32 v[1:2], null, v2, s2, v[1:2]
	s_mov_b32 s2, exec_lo
	v_lshrrev_b32_e32 v1, 3, v1
	v_lshl_add_u32 v1, ttmp9, 5, v1
	s_wait_kmcnt 0x0
	s_delay_alu instid0(VALU_DEP_1)
	v_cmpx_gt_u32_e64 s3, v1
	s_cbranch_execz .LBB1351_3
; %bb.1:
	s_clause 0x1
	s_load_b64 s[2:3], s[0:1], 0x38
	s_load_b128 s[4:7], s[0:1], 0x40
	v_mov_b32_e32 v2, 0
	s_delay_alu instid0(VALU_DEP_1) | instskip(SKIP_1) | instid1(VALU_DEP_1)
	v_lshlrev_b64_e32 v[1:2], 2, v[1:2]
	s_wait_kmcnt 0x0
	v_sub_co_u32 v1, vcc_lo, s2, v1
	s_delay_alu instid0(VALU_DEP_1) | instskip(SKIP_4) | instid1(VALU_DEP_2)
	v_sub_co_ci_u32_e64 v2, null, s3, v2, vcc_lo
	global_load_b32 v1, v[1:2], off offset:-4
	s_wait_loadcnt 0x0
	v_add_nc_u32_e32 v2, s5, v1
	v_add_nc_u32_e32 v1, s7, v1
	v_mul_lo_u32 v13, v2, s4
	s_delay_alu instid0(VALU_DEP_2) | instskip(NEXT) | instid1(VALU_DEP_1)
	v_mul_lo_u32 v14, v1, s6
	v_cmp_gt_u32_e32 vcc_lo, v14, v13
	s_and_b32 exec_lo, exec_lo, vcc_lo
	s_cbranch_execz .LBB1351_3
; %bb.2:
	s_mov_b64 s[2:3], src_shared_base
	s_clause 0x2
	s_load_b32 s2, s[0:1], 0x30
	s_load_b256 s[12:19], s[0:1], 0x0
	s_load_b128 s[4:7], s[0:1], 0x20
	s_add_nc_u64 s[8:9], s[0:1], 0x58
	s_getpc_b64 s[0:1]
	s_wait_alu 0xfffe
	s_sext_i32_i16 s1, s1
	s_add_co_u32 s0, s0, _ZN7rocprim17ROCPRIM_400000_NS6detail26segmented_warp_sort_helperINS1_20WarpSortHelperConfigILj8ELj4ELj256EEEflLi256ELb1EvE4sortIPKfPfPKlPlEEvT_S9_T0_T1_SC_T2_bjjjjRNS5_12storage_typeE@rel32@lo+12
	s_wait_alu 0xfffe
	s_add_co_ci_u32 s1, s1, _ZN7rocprim17ROCPRIM_400000_NS6detail26segmented_warp_sort_helperINS1_20WarpSortHelperConfigILj8ELj4ELj256EEEflLi256ELb1EvE4sortIPKfPfPKlPlEEvT_S9_T0_T1_SC_T2_bjjjjRNS5_12storage_typeE@rel32@hi+24
	v_mov_b32_e32 v31, v0
	v_dual_mov_b32 v15, 0 :: v_dual_mov_b32 v16, s3
	s_wait_kmcnt 0x0
	s_and_b32 s2, s2, 0xff
	v_dual_mov_b32 v0, s12 :: v_dual_mov_b32 v1, s13
	v_dual_mov_b32 v2, s14 :: v_dual_mov_b32 v3, s15
	;; [unrolled: 1-line block ×6, first 2 shown]
	s_wait_alu 0xfffe
	v_mov_b32_e32 v12, s2
	s_swappc_b64 s[30:31], s[0:1]
.LBB1351_3:
	s_endpgm
	.section	.rodata,"a",@progbits
	.p2align	6, 0x0
	.amdhsa_kernel _ZN7rocprim17ROCPRIM_400000_NS6detail17trampoline_kernelINS0_14default_configENS1_36segmented_radix_sort_config_selectorIflEEZNS1_25segmented_radix_sort_implIS3_Lb1EPKfPfPKlPlN2at6native12_GLOBAL__N_18offset_tEEE10hipError_tPvRmT1_PNSt15iterator_traitsISK_E10value_typeET2_T3_PNSL_ISQ_E10value_typeET4_jRbjT5_SW_jjP12ihipStream_tbEUlT_E1_NS1_11comp_targetILNS1_3genE10ELNS1_11target_archE1201ELNS1_3gpuE5ELNS1_3repE0EEENS1_59segmented_radix_sort_warp_sort_small_config_static_selectorELNS0_4arch9wavefront6targetE0EEEvSK_
		.amdhsa_group_segment_fixed_size 12288
		.amdhsa_private_segment_fixed_size 0
		.amdhsa_kernarg_size 344
		.amdhsa_user_sgpr_count 2
		.amdhsa_user_sgpr_dispatch_ptr 0
		.amdhsa_user_sgpr_queue_ptr 0
		.amdhsa_user_sgpr_kernarg_segment_ptr 1
		.amdhsa_user_sgpr_dispatch_id 0
		.amdhsa_user_sgpr_private_segment_size 0
		.amdhsa_wavefront_size32 1
		.amdhsa_uses_dynamic_stack 0
		.amdhsa_enable_private_segment 0
		.amdhsa_system_sgpr_workgroup_id_x 1
		.amdhsa_system_sgpr_workgroup_id_y 1
		.amdhsa_system_sgpr_workgroup_id_z 0
		.amdhsa_system_sgpr_workgroup_info 0
		.amdhsa_system_vgpr_workitem_id 2
		.amdhsa_next_free_vgpr 66
		.amdhsa_next_free_sgpr 33
		.amdhsa_reserve_vcc 1
		.amdhsa_float_round_mode_32 0
		.amdhsa_float_round_mode_16_64 0
		.amdhsa_float_denorm_mode_32 3
		.amdhsa_float_denorm_mode_16_64 3
		.amdhsa_fp16_overflow 0
		.amdhsa_workgroup_processor_mode 1
		.amdhsa_memory_ordered 1
		.amdhsa_forward_progress 1
		.amdhsa_inst_pref_size 4
		.amdhsa_round_robin_scheduling 0
		.amdhsa_exception_fp_ieee_invalid_op 0
		.amdhsa_exception_fp_denorm_src 0
		.amdhsa_exception_fp_ieee_div_zero 0
		.amdhsa_exception_fp_ieee_overflow 0
		.amdhsa_exception_fp_ieee_underflow 0
		.amdhsa_exception_fp_ieee_inexact 0
		.amdhsa_exception_int_div_zero 0
	.end_amdhsa_kernel
	.section	.text._ZN7rocprim17ROCPRIM_400000_NS6detail17trampoline_kernelINS0_14default_configENS1_36segmented_radix_sort_config_selectorIflEEZNS1_25segmented_radix_sort_implIS3_Lb1EPKfPfPKlPlN2at6native12_GLOBAL__N_18offset_tEEE10hipError_tPvRmT1_PNSt15iterator_traitsISK_E10value_typeET2_T3_PNSL_ISQ_E10value_typeET4_jRbjT5_SW_jjP12ihipStream_tbEUlT_E1_NS1_11comp_targetILNS1_3genE10ELNS1_11target_archE1201ELNS1_3gpuE5ELNS1_3repE0EEENS1_59segmented_radix_sort_warp_sort_small_config_static_selectorELNS0_4arch9wavefront6targetE0EEEvSK_,"axG",@progbits,_ZN7rocprim17ROCPRIM_400000_NS6detail17trampoline_kernelINS0_14default_configENS1_36segmented_radix_sort_config_selectorIflEEZNS1_25segmented_radix_sort_implIS3_Lb1EPKfPfPKlPlN2at6native12_GLOBAL__N_18offset_tEEE10hipError_tPvRmT1_PNSt15iterator_traitsISK_E10value_typeET2_T3_PNSL_ISQ_E10value_typeET4_jRbjT5_SW_jjP12ihipStream_tbEUlT_E1_NS1_11comp_targetILNS1_3genE10ELNS1_11target_archE1201ELNS1_3gpuE5ELNS1_3repE0EEENS1_59segmented_radix_sort_warp_sort_small_config_static_selectorELNS0_4arch9wavefront6targetE0EEEvSK_,comdat
.Lfunc_end1351:
	.size	_ZN7rocprim17ROCPRIM_400000_NS6detail17trampoline_kernelINS0_14default_configENS1_36segmented_radix_sort_config_selectorIflEEZNS1_25segmented_radix_sort_implIS3_Lb1EPKfPfPKlPlN2at6native12_GLOBAL__N_18offset_tEEE10hipError_tPvRmT1_PNSt15iterator_traitsISK_E10value_typeET2_T3_PNSL_ISQ_E10value_typeET4_jRbjT5_SW_jjP12ihipStream_tbEUlT_E1_NS1_11comp_targetILNS1_3genE10ELNS1_11target_archE1201ELNS1_3gpuE5ELNS1_3repE0EEENS1_59segmented_radix_sort_warp_sort_small_config_static_selectorELNS0_4arch9wavefront6targetE0EEEvSK_, .Lfunc_end1351-_ZN7rocprim17ROCPRIM_400000_NS6detail17trampoline_kernelINS0_14default_configENS1_36segmented_radix_sort_config_selectorIflEEZNS1_25segmented_radix_sort_implIS3_Lb1EPKfPfPKlPlN2at6native12_GLOBAL__N_18offset_tEEE10hipError_tPvRmT1_PNSt15iterator_traitsISK_E10value_typeET2_T3_PNSL_ISQ_E10value_typeET4_jRbjT5_SW_jjP12ihipStream_tbEUlT_E1_NS1_11comp_targetILNS1_3genE10ELNS1_11target_archE1201ELNS1_3gpuE5ELNS1_3repE0EEENS1_59segmented_radix_sort_warp_sort_small_config_static_selectorELNS0_4arch9wavefront6targetE0EEEvSK_
                                        ; -- End function
	.set _ZN7rocprim17ROCPRIM_400000_NS6detail17trampoline_kernelINS0_14default_configENS1_36segmented_radix_sort_config_selectorIflEEZNS1_25segmented_radix_sort_implIS3_Lb1EPKfPfPKlPlN2at6native12_GLOBAL__N_18offset_tEEE10hipError_tPvRmT1_PNSt15iterator_traitsISK_E10value_typeET2_T3_PNSL_ISQ_E10value_typeET4_jRbjT5_SW_jjP12ihipStream_tbEUlT_E1_NS1_11comp_targetILNS1_3genE10ELNS1_11target_archE1201ELNS1_3gpuE5ELNS1_3repE0EEENS1_59segmented_radix_sort_warp_sort_small_config_static_selectorELNS0_4arch9wavefront6targetE0EEEvSK_.num_vgpr, max(32, .L_ZN7rocprim17ROCPRIM_400000_NS6detail26segmented_warp_sort_helperINS1_20WarpSortHelperConfigILj8ELj4ELj256EEEflLi256ELb1EvE4sortIPKfPfPKlPlEEvT_S9_T0_T1_SC_T2_bjjjjRNS5_12storage_typeE.num_vgpr)
	.set _ZN7rocprim17ROCPRIM_400000_NS6detail17trampoline_kernelINS0_14default_configENS1_36segmented_radix_sort_config_selectorIflEEZNS1_25segmented_radix_sort_implIS3_Lb1EPKfPfPKlPlN2at6native12_GLOBAL__N_18offset_tEEE10hipError_tPvRmT1_PNSt15iterator_traitsISK_E10value_typeET2_T3_PNSL_ISQ_E10value_typeET4_jRbjT5_SW_jjP12ihipStream_tbEUlT_E1_NS1_11comp_targetILNS1_3genE10ELNS1_11target_archE1201ELNS1_3gpuE5ELNS1_3repE0EEENS1_59segmented_radix_sort_warp_sort_small_config_static_selectorELNS0_4arch9wavefront6targetE0EEEvSK_.num_agpr, max(0, .L_ZN7rocprim17ROCPRIM_400000_NS6detail26segmented_warp_sort_helperINS1_20WarpSortHelperConfigILj8ELj4ELj256EEEflLi256ELb1EvE4sortIPKfPfPKlPlEEvT_S9_T0_T1_SC_T2_bjjjjRNS5_12storage_typeE.num_agpr)
	.set _ZN7rocprim17ROCPRIM_400000_NS6detail17trampoline_kernelINS0_14default_configENS1_36segmented_radix_sort_config_selectorIflEEZNS1_25segmented_radix_sort_implIS3_Lb1EPKfPfPKlPlN2at6native12_GLOBAL__N_18offset_tEEE10hipError_tPvRmT1_PNSt15iterator_traitsISK_E10value_typeET2_T3_PNSL_ISQ_E10value_typeET4_jRbjT5_SW_jjP12ihipStream_tbEUlT_E1_NS1_11comp_targetILNS1_3genE10ELNS1_11target_archE1201ELNS1_3gpuE5ELNS1_3repE0EEENS1_59segmented_radix_sort_warp_sort_small_config_static_selectorELNS0_4arch9wavefront6targetE0EEEvSK_.numbered_sgpr, max(33, .L_ZN7rocprim17ROCPRIM_400000_NS6detail26segmented_warp_sort_helperINS1_20WarpSortHelperConfigILj8ELj4ELj256EEEflLi256ELb1EvE4sortIPKfPfPKlPlEEvT_S9_T0_T1_SC_T2_bjjjjRNS5_12storage_typeE.numbered_sgpr)
	.set _ZN7rocprim17ROCPRIM_400000_NS6detail17trampoline_kernelINS0_14default_configENS1_36segmented_radix_sort_config_selectorIflEEZNS1_25segmented_radix_sort_implIS3_Lb1EPKfPfPKlPlN2at6native12_GLOBAL__N_18offset_tEEE10hipError_tPvRmT1_PNSt15iterator_traitsISK_E10value_typeET2_T3_PNSL_ISQ_E10value_typeET4_jRbjT5_SW_jjP12ihipStream_tbEUlT_E1_NS1_11comp_targetILNS1_3genE10ELNS1_11target_archE1201ELNS1_3gpuE5ELNS1_3repE0EEENS1_59segmented_radix_sort_warp_sort_small_config_static_selectorELNS0_4arch9wavefront6targetE0EEEvSK_.num_named_barrier, max(0, .L_ZN7rocprim17ROCPRIM_400000_NS6detail26segmented_warp_sort_helperINS1_20WarpSortHelperConfigILj8ELj4ELj256EEEflLi256ELb1EvE4sortIPKfPfPKlPlEEvT_S9_T0_T1_SC_T2_bjjjjRNS5_12storage_typeE.num_named_barrier)
	.set _ZN7rocprim17ROCPRIM_400000_NS6detail17trampoline_kernelINS0_14default_configENS1_36segmented_radix_sort_config_selectorIflEEZNS1_25segmented_radix_sort_implIS3_Lb1EPKfPfPKlPlN2at6native12_GLOBAL__N_18offset_tEEE10hipError_tPvRmT1_PNSt15iterator_traitsISK_E10value_typeET2_T3_PNSL_ISQ_E10value_typeET4_jRbjT5_SW_jjP12ihipStream_tbEUlT_E1_NS1_11comp_targetILNS1_3genE10ELNS1_11target_archE1201ELNS1_3gpuE5ELNS1_3repE0EEENS1_59segmented_radix_sort_warp_sort_small_config_static_selectorELNS0_4arch9wavefront6targetE0EEEvSK_.private_seg_size, 0+max(.L_ZN7rocprim17ROCPRIM_400000_NS6detail26segmented_warp_sort_helperINS1_20WarpSortHelperConfigILj8ELj4ELj256EEEflLi256ELb1EvE4sortIPKfPfPKlPlEEvT_S9_T0_T1_SC_T2_bjjjjRNS5_12storage_typeE.private_seg_size)
	.set _ZN7rocprim17ROCPRIM_400000_NS6detail17trampoline_kernelINS0_14default_configENS1_36segmented_radix_sort_config_selectorIflEEZNS1_25segmented_radix_sort_implIS3_Lb1EPKfPfPKlPlN2at6native12_GLOBAL__N_18offset_tEEE10hipError_tPvRmT1_PNSt15iterator_traitsISK_E10value_typeET2_T3_PNSL_ISQ_E10value_typeET4_jRbjT5_SW_jjP12ihipStream_tbEUlT_E1_NS1_11comp_targetILNS1_3genE10ELNS1_11target_archE1201ELNS1_3gpuE5ELNS1_3repE0EEENS1_59segmented_radix_sort_warp_sort_small_config_static_selectorELNS0_4arch9wavefront6targetE0EEEvSK_.uses_vcc, or(1, .L_ZN7rocprim17ROCPRIM_400000_NS6detail26segmented_warp_sort_helperINS1_20WarpSortHelperConfigILj8ELj4ELj256EEEflLi256ELb1EvE4sortIPKfPfPKlPlEEvT_S9_T0_T1_SC_T2_bjjjjRNS5_12storage_typeE.uses_vcc)
	.set _ZN7rocprim17ROCPRIM_400000_NS6detail17trampoline_kernelINS0_14default_configENS1_36segmented_radix_sort_config_selectorIflEEZNS1_25segmented_radix_sort_implIS3_Lb1EPKfPfPKlPlN2at6native12_GLOBAL__N_18offset_tEEE10hipError_tPvRmT1_PNSt15iterator_traitsISK_E10value_typeET2_T3_PNSL_ISQ_E10value_typeET4_jRbjT5_SW_jjP12ihipStream_tbEUlT_E1_NS1_11comp_targetILNS1_3genE10ELNS1_11target_archE1201ELNS1_3gpuE5ELNS1_3repE0EEENS1_59segmented_radix_sort_warp_sort_small_config_static_selectorELNS0_4arch9wavefront6targetE0EEEvSK_.uses_flat_scratch, or(0, .L_ZN7rocprim17ROCPRIM_400000_NS6detail26segmented_warp_sort_helperINS1_20WarpSortHelperConfigILj8ELj4ELj256EEEflLi256ELb1EvE4sortIPKfPfPKlPlEEvT_S9_T0_T1_SC_T2_bjjjjRNS5_12storage_typeE.uses_flat_scratch)
	.set _ZN7rocprim17ROCPRIM_400000_NS6detail17trampoline_kernelINS0_14default_configENS1_36segmented_radix_sort_config_selectorIflEEZNS1_25segmented_radix_sort_implIS3_Lb1EPKfPfPKlPlN2at6native12_GLOBAL__N_18offset_tEEE10hipError_tPvRmT1_PNSt15iterator_traitsISK_E10value_typeET2_T3_PNSL_ISQ_E10value_typeET4_jRbjT5_SW_jjP12ihipStream_tbEUlT_E1_NS1_11comp_targetILNS1_3genE10ELNS1_11target_archE1201ELNS1_3gpuE5ELNS1_3repE0EEENS1_59segmented_radix_sort_warp_sort_small_config_static_selectorELNS0_4arch9wavefront6targetE0EEEvSK_.has_dyn_sized_stack, or(0, .L_ZN7rocprim17ROCPRIM_400000_NS6detail26segmented_warp_sort_helperINS1_20WarpSortHelperConfigILj8ELj4ELj256EEEflLi256ELb1EvE4sortIPKfPfPKlPlEEvT_S9_T0_T1_SC_T2_bjjjjRNS5_12storage_typeE.has_dyn_sized_stack)
	.set _ZN7rocprim17ROCPRIM_400000_NS6detail17trampoline_kernelINS0_14default_configENS1_36segmented_radix_sort_config_selectorIflEEZNS1_25segmented_radix_sort_implIS3_Lb1EPKfPfPKlPlN2at6native12_GLOBAL__N_18offset_tEEE10hipError_tPvRmT1_PNSt15iterator_traitsISK_E10value_typeET2_T3_PNSL_ISQ_E10value_typeET4_jRbjT5_SW_jjP12ihipStream_tbEUlT_E1_NS1_11comp_targetILNS1_3genE10ELNS1_11target_archE1201ELNS1_3gpuE5ELNS1_3repE0EEENS1_59segmented_radix_sort_warp_sort_small_config_static_selectorELNS0_4arch9wavefront6targetE0EEEvSK_.has_recursion, or(0, .L_ZN7rocprim17ROCPRIM_400000_NS6detail26segmented_warp_sort_helperINS1_20WarpSortHelperConfigILj8ELj4ELj256EEEflLi256ELb1EvE4sortIPKfPfPKlPlEEvT_S9_T0_T1_SC_T2_bjjjjRNS5_12storage_typeE.has_recursion)
	.set _ZN7rocprim17ROCPRIM_400000_NS6detail17trampoline_kernelINS0_14default_configENS1_36segmented_radix_sort_config_selectorIflEEZNS1_25segmented_radix_sort_implIS3_Lb1EPKfPfPKlPlN2at6native12_GLOBAL__N_18offset_tEEE10hipError_tPvRmT1_PNSt15iterator_traitsISK_E10value_typeET2_T3_PNSL_ISQ_E10value_typeET4_jRbjT5_SW_jjP12ihipStream_tbEUlT_E1_NS1_11comp_targetILNS1_3genE10ELNS1_11target_archE1201ELNS1_3gpuE5ELNS1_3repE0EEENS1_59segmented_radix_sort_warp_sort_small_config_static_selectorELNS0_4arch9wavefront6targetE0EEEvSK_.has_indirect_call, or(0, .L_ZN7rocprim17ROCPRIM_400000_NS6detail26segmented_warp_sort_helperINS1_20WarpSortHelperConfigILj8ELj4ELj256EEEflLi256ELb1EvE4sortIPKfPfPKlPlEEvT_S9_T0_T1_SC_T2_bjjjjRNS5_12storage_typeE.has_indirect_call)
	.section	.AMDGPU.csdata,"",@progbits
; Kernel info:
; codeLenInByte = 388
; TotalNumSgprs: 35
; NumVgprs: 66
; ScratchSize: 0
; MemoryBound: 0
; FloatMode: 240
; IeeeMode: 1
; LDSByteSize: 12288 bytes/workgroup (compile time only)
; SGPRBlocks: 0
; VGPRBlocks: 8
; NumSGPRsForWavesPerEU: 35
; NumVGPRsForWavesPerEU: 66
; Occupancy: 16
; WaveLimiterHint : 0
; COMPUTE_PGM_RSRC2:SCRATCH_EN: 0
; COMPUTE_PGM_RSRC2:USER_SGPR: 2
; COMPUTE_PGM_RSRC2:TRAP_HANDLER: 0
; COMPUTE_PGM_RSRC2:TGID_X_EN: 1
; COMPUTE_PGM_RSRC2:TGID_Y_EN: 1
; COMPUTE_PGM_RSRC2:TGID_Z_EN: 0
; COMPUTE_PGM_RSRC2:TIDIG_COMP_CNT: 2
	.section	.text._ZN7rocprim17ROCPRIM_400000_NS6detail17trampoline_kernelINS0_14default_configENS1_36segmented_radix_sort_config_selectorIflEEZNS1_25segmented_radix_sort_implIS3_Lb1EPKfPfPKlPlN2at6native12_GLOBAL__N_18offset_tEEE10hipError_tPvRmT1_PNSt15iterator_traitsISK_E10value_typeET2_T3_PNSL_ISQ_E10value_typeET4_jRbjT5_SW_jjP12ihipStream_tbEUlT_E1_NS1_11comp_targetILNS1_3genE10ELNS1_11target_archE1200ELNS1_3gpuE4ELNS1_3repE0EEENS1_59segmented_radix_sort_warp_sort_small_config_static_selectorELNS0_4arch9wavefront6targetE0EEEvSK_,"axG",@progbits,_ZN7rocprim17ROCPRIM_400000_NS6detail17trampoline_kernelINS0_14default_configENS1_36segmented_radix_sort_config_selectorIflEEZNS1_25segmented_radix_sort_implIS3_Lb1EPKfPfPKlPlN2at6native12_GLOBAL__N_18offset_tEEE10hipError_tPvRmT1_PNSt15iterator_traitsISK_E10value_typeET2_T3_PNSL_ISQ_E10value_typeET4_jRbjT5_SW_jjP12ihipStream_tbEUlT_E1_NS1_11comp_targetILNS1_3genE10ELNS1_11target_archE1200ELNS1_3gpuE4ELNS1_3repE0EEENS1_59segmented_radix_sort_warp_sort_small_config_static_selectorELNS0_4arch9wavefront6targetE0EEEvSK_,comdat
	.globl	_ZN7rocprim17ROCPRIM_400000_NS6detail17trampoline_kernelINS0_14default_configENS1_36segmented_radix_sort_config_selectorIflEEZNS1_25segmented_radix_sort_implIS3_Lb1EPKfPfPKlPlN2at6native12_GLOBAL__N_18offset_tEEE10hipError_tPvRmT1_PNSt15iterator_traitsISK_E10value_typeET2_T3_PNSL_ISQ_E10value_typeET4_jRbjT5_SW_jjP12ihipStream_tbEUlT_E1_NS1_11comp_targetILNS1_3genE10ELNS1_11target_archE1200ELNS1_3gpuE4ELNS1_3repE0EEENS1_59segmented_radix_sort_warp_sort_small_config_static_selectorELNS0_4arch9wavefront6targetE0EEEvSK_ ; -- Begin function _ZN7rocprim17ROCPRIM_400000_NS6detail17trampoline_kernelINS0_14default_configENS1_36segmented_radix_sort_config_selectorIflEEZNS1_25segmented_radix_sort_implIS3_Lb1EPKfPfPKlPlN2at6native12_GLOBAL__N_18offset_tEEE10hipError_tPvRmT1_PNSt15iterator_traitsISK_E10value_typeET2_T3_PNSL_ISQ_E10value_typeET4_jRbjT5_SW_jjP12ihipStream_tbEUlT_E1_NS1_11comp_targetILNS1_3genE10ELNS1_11target_archE1200ELNS1_3gpuE4ELNS1_3repE0EEENS1_59segmented_radix_sort_warp_sort_small_config_static_selectorELNS0_4arch9wavefront6targetE0EEEvSK_
	.p2align	8
	.type	_ZN7rocprim17ROCPRIM_400000_NS6detail17trampoline_kernelINS0_14default_configENS1_36segmented_radix_sort_config_selectorIflEEZNS1_25segmented_radix_sort_implIS3_Lb1EPKfPfPKlPlN2at6native12_GLOBAL__N_18offset_tEEE10hipError_tPvRmT1_PNSt15iterator_traitsISK_E10value_typeET2_T3_PNSL_ISQ_E10value_typeET4_jRbjT5_SW_jjP12ihipStream_tbEUlT_E1_NS1_11comp_targetILNS1_3genE10ELNS1_11target_archE1200ELNS1_3gpuE4ELNS1_3repE0EEENS1_59segmented_radix_sort_warp_sort_small_config_static_selectorELNS0_4arch9wavefront6targetE0EEEvSK_,@function
_ZN7rocprim17ROCPRIM_400000_NS6detail17trampoline_kernelINS0_14default_configENS1_36segmented_radix_sort_config_selectorIflEEZNS1_25segmented_radix_sort_implIS3_Lb1EPKfPfPKlPlN2at6native12_GLOBAL__N_18offset_tEEE10hipError_tPvRmT1_PNSt15iterator_traitsISK_E10value_typeET2_T3_PNSL_ISQ_E10value_typeET4_jRbjT5_SW_jjP12ihipStream_tbEUlT_E1_NS1_11comp_targetILNS1_3genE10ELNS1_11target_archE1200ELNS1_3gpuE4ELNS1_3repE0EEENS1_59segmented_radix_sort_warp_sort_small_config_static_selectorELNS0_4arch9wavefront6targetE0EEEvSK_: ; @_ZN7rocprim17ROCPRIM_400000_NS6detail17trampoline_kernelINS0_14default_configENS1_36segmented_radix_sort_config_selectorIflEEZNS1_25segmented_radix_sort_implIS3_Lb1EPKfPfPKlPlN2at6native12_GLOBAL__N_18offset_tEEE10hipError_tPvRmT1_PNSt15iterator_traitsISK_E10value_typeET2_T3_PNSL_ISQ_E10value_typeET4_jRbjT5_SW_jjP12ihipStream_tbEUlT_E1_NS1_11comp_targetILNS1_3genE10ELNS1_11target_archE1200ELNS1_3gpuE4ELNS1_3repE0EEENS1_59segmented_radix_sort_warp_sort_small_config_static_selectorELNS0_4arch9wavefront6targetE0EEEvSK_
; %bb.0:
	.section	.rodata,"a",@progbits
	.p2align	6, 0x0
	.amdhsa_kernel _ZN7rocprim17ROCPRIM_400000_NS6detail17trampoline_kernelINS0_14default_configENS1_36segmented_radix_sort_config_selectorIflEEZNS1_25segmented_radix_sort_implIS3_Lb1EPKfPfPKlPlN2at6native12_GLOBAL__N_18offset_tEEE10hipError_tPvRmT1_PNSt15iterator_traitsISK_E10value_typeET2_T3_PNSL_ISQ_E10value_typeET4_jRbjT5_SW_jjP12ihipStream_tbEUlT_E1_NS1_11comp_targetILNS1_3genE10ELNS1_11target_archE1200ELNS1_3gpuE4ELNS1_3repE0EEENS1_59segmented_radix_sort_warp_sort_small_config_static_selectorELNS0_4arch9wavefront6targetE0EEEvSK_
		.amdhsa_group_segment_fixed_size 0
		.amdhsa_private_segment_fixed_size 0
		.amdhsa_kernarg_size 88
		.amdhsa_user_sgpr_count 2
		.amdhsa_user_sgpr_dispatch_ptr 0
		.amdhsa_user_sgpr_queue_ptr 0
		.amdhsa_user_sgpr_kernarg_segment_ptr 1
		.amdhsa_user_sgpr_dispatch_id 0
		.amdhsa_user_sgpr_private_segment_size 0
		.amdhsa_wavefront_size32 1
		.amdhsa_uses_dynamic_stack 0
		.amdhsa_enable_private_segment 0
		.amdhsa_system_sgpr_workgroup_id_x 1
		.amdhsa_system_sgpr_workgroup_id_y 0
		.amdhsa_system_sgpr_workgroup_id_z 0
		.amdhsa_system_sgpr_workgroup_info 0
		.amdhsa_system_vgpr_workitem_id 0
		.amdhsa_next_free_vgpr 1
		.amdhsa_next_free_sgpr 1
		.amdhsa_reserve_vcc 0
		.amdhsa_float_round_mode_32 0
		.amdhsa_float_round_mode_16_64 0
		.amdhsa_float_denorm_mode_32 3
		.amdhsa_float_denorm_mode_16_64 3
		.amdhsa_fp16_overflow 0
		.amdhsa_workgroup_processor_mode 1
		.amdhsa_memory_ordered 1
		.amdhsa_forward_progress 1
		.amdhsa_inst_pref_size 0
		.amdhsa_round_robin_scheduling 0
		.amdhsa_exception_fp_ieee_invalid_op 0
		.amdhsa_exception_fp_denorm_src 0
		.amdhsa_exception_fp_ieee_div_zero 0
		.amdhsa_exception_fp_ieee_overflow 0
		.amdhsa_exception_fp_ieee_underflow 0
		.amdhsa_exception_fp_ieee_inexact 0
		.amdhsa_exception_int_div_zero 0
	.end_amdhsa_kernel
	.section	.text._ZN7rocprim17ROCPRIM_400000_NS6detail17trampoline_kernelINS0_14default_configENS1_36segmented_radix_sort_config_selectorIflEEZNS1_25segmented_radix_sort_implIS3_Lb1EPKfPfPKlPlN2at6native12_GLOBAL__N_18offset_tEEE10hipError_tPvRmT1_PNSt15iterator_traitsISK_E10value_typeET2_T3_PNSL_ISQ_E10value_typeET4_jRbjT5_SW_jjP12ihipStream_tbEUlT_E1_NS1_11comp_targetILNS1_3genE10ELNS1_11target_archE1200ELNS1_3gpuE4ELNS1_3repE0EEENS1_59segmented_radix_sort_warp_sort_small_config_static_selectorELNS0_4arch9wavefront6targetE0EEEvSK_,"axG",@progbits,_ZN7rocprim17ROCPRIM_400000_NS6detail17trampoline_kernelINS0_14default_configENS1_36segmented_radix_sort_config_selectorIflEEZNS1_25segmented_radix_sort_implIS3_Lb1EPKfPfPKlPlN2at6native12_GLOBAL__N_18offset_tEEE10hipError_tPvRmT1_PNSt15iterator_traitsISK_E10value_typeET2_T3_PNSL_ISQ_E10value_typeET4_jRbjT5_SW_jjP12ihipStream_tbEUlT_E1_NS1_11comp_targetILNS1_3genE10ELNS1_11target_archE1200ELNS1_3gpuE4ELNS1_3repE0EEENS1_59segmented_radix_sort_warp_sort_small_config_static_selectorELNS0_4arch9wavefront6targetE0EEEvSK_,comdat
.Lfunc_end1352:
	.size	_ZN7rocprim17ROCPRIM_400000_NS6detail17trampoline_kernelINS0_14default_configENS1_36segmented_radix_sort_config_selectorIflEEZNS1_25segmented_radix_sort_implIS3_Lb1EPKfPfPKlPlN2at6native12_GLOBAL__N_18offset_tEEE10hipError_tPvRmT1_PNSt15iterator_traitsISK_E10value_typeET2_T3_PNSL_ISQ_E10value_typeET4_jRbjT5_SW_jjP12ihipStream_tbEUlT_E1_NS1_11comp_targetILNS1_3genE10ELNS1_11target_archE1200ELNS1_3gpuE4ELNS1_3repE0EEENS1_59segmented_radix_sort_warp_sort_small_config_static_selectorELNS0_4arch9wavefront6targetE0EEEvSK_, .Lfunc_end1352-_ZN7rocprim17ROCPRIM_400000_NS6detail17trampoline_kernelINS0_14default_configENS1_36segmented_radix_sort_config_selectorIflEEZNS1_25segmented_radix_sort_implIS3_Lb1EPKfPfPKlPlN2at6native12_GLOBAL__N_18offset_tEEE10hipError_tPvRmT1_PNSt15iterator_traitsISK_E10value_typeET2_T3_PNSL_ISQ_E10value_typeET4_jRbjT5_SW_jjP12ihipStream_tbEUlT_E1_NS1_11comp_targetILNS1_3genE10ELNS1_11target_archE1200ELNS1_3gpuE4ELNS1_3repE0EEENS1_59segmented_radix_sort_warp_sort_small_config_static_selectorELNS0_4arch9wavefront6targetE0EEEvSK_
                                        ; -- End function
	.set _ZN7rocprim17ROCPRIM_400000_NS6detail17trampoline_kernelINS0_14default_configENS1_36segmented_radix_sort_config_selectorIflEEZNS1_25segmented_radix_sort_implIS3_Lb1EPKfPfPKlPlN2at6native12_GLOBAL__N_18offset_tEEE10hipError_tPvRmT1_PNSt15iterator_traitsISK_E10value_typeET2_T3_PNSL_ISQ_E10value_typeET4_jRbjT5_SW_jjP12ihipStream_tbEUlT_E1_NS1_11comp_targetILNS1_3genE10ELNS1_11target_archE1200ELNS1_3gpuE4ELNS1_3repE0EEENS1_59segmented_radix_sort_warp_sort_small_config_static_selectorELNS0_4arch9wavefront6targetE0EEEvSK_.num_vgpr, 0
	.set _ZN7rocprim17ROCPRIM_400000_NS6detail17trampoline_kernelINS0_14default_configENS1_36segmented_radix_sort_config_selectorIflEEZNS1_25segmented_radix_sort_implIS3_Lb1EPKfPfPKlPlN2at6native12_GLOBAL__N_18offset_tEEE10hipError_tPvRmT1_PNSt15iterator_traitsISK_E10value_typeET2_T3_PNSL_ISQ_E10value_typeET4_jRbjT5_SW_jjP12ihipStream_tbEUlT_E1_NS1_11comp_targetILNS1_3genE10ELNS1_11target_archE1200ELNS1_3gpuE4ELNS1_3repE0EEENS1_59segmented_radix_sort_warp_sort_small_config_static_selectorELNS0_4arch9wavefront6targetE0EEEvSK_.num_agpr, 0
	.set _ZN7rocprim17ROCPRIM_400000_NS6detail17trampoline_kernelINS0_14default_configENS1_36segmented_radix_sort_config_selectorIflEEZNS1_25segmented_radix_sort_implIS3_Lb1EPKfPfPKlPlN2at6native12_GLOBAL__N_18offset_tEEE10hipError_tPvRmT1_PNSt15iterator_traitsISK_E10value_typeET2_T3_PNSL_ISQ_E10value_typeET4_jRbjT5_SW_jjP12ihipStream_tbEUlT_E1_NS1_11comp_targetILNS1_3genE10ELNS1_11target_archE1200ELNS1_3gpuE4ELNS1_3repE0EEENS1_59segmented_radix_sort_warp_sort_small_config_static_selectorELNS0_4arch9wavefront6targetE0EEEvSK_.numbered_sgpr, 0
	.set _ZN7rocprim17ROCPRIM_400000_NS6detail17trampoline_kernelINS0_14default_configENS1_36segmented_radix_sort_config_selectorIflEEZNS1_25segmented_radix_sort_implIS3_Lb1EPKfPfPKlPlN2at6native12_GLOBAL__N_18offset_tEEE10hipError_tPvRmT1_PNSt15iterator_traitsISK_E10value_typeET2_T3_PNSL_ISQ_E10value_typeET4_jRbjT5_SW_jjP12ihipStream_tbEUlT_E1_NS1_11comp_targetILNS1_3genE10ELNS1_11target_archE1200ELNS1_3gpuE4ELNS1_3repE0EEENS1_59segmented_radix_sort_warp_sort_small_config_static_selectorELNS0_4arch9wavefront6targetE0EEEvSK_.num_named_barrier, 0
	.set _ZN7rocprim17ROCPRIM_400000_NS6detail17trampoline_kernelINS0_14default_configENS1_36segmented_radix_sort_config_selectorIflEEZNS1_25segmented_radix_sort_implIS3_Lb1EPKfPfPKlPlN2at6native12_GLOBAL__N_18offset_tEEE10hipError_tPvRmT1_PNSt15iterator_traitsISK_E10value_typeET2_T3_PNSL_ISQ_E10value_typeET4_jRbjT5_SW_jjP12ihipStream_tbEUlT_E1_NS1_11comp_targetILNS1_3genE10ELNS1_11target_archE1200ELNS1_3gpuE4ELNS1_3repE0EEENS1_59segmented_radix_sort_warp_sort_small_config_static_selectorELNS0_4arch9wavefront6targetE0EEEvSK_.private_seg_size, 0
	.set _ZN7rocprim17ROCPRIM_400000_NS6detail17trampoline_kernelINS0_14default_configENS1_36segmented_radix_sort_config_selectorIflEEZNS1_25segmented_radix_sort_implIS3_Lb1EPKfPfPKlPlN2at6native12_GLOBAL__N_18offset_tEEE10hipError_tPvRmT1_PNSt15iterator_traitsISK_E10value_typeET2_T3_PNSL_ISQ_E10value_typeET4_jRbjT5_SW_jjP12ihipStream_tbEUlT_E1_NS1_11comp_targetILNS1_3genE10ELNS1_11target_archE1200ELNS1_3gpuE4ELNS1_3repE0EEENS1_59segmented_radix_sort_warp_sort_small_config_static_selectorELNS0_4arch9wavefront6targetE0EEEvSK_.uses_vcc, 0
	.set _ZN7rocprim17ROCPRIM_400000_NS6detail17trampoline_kernelINS0_14default_configENS1_36segmented_radix_sort_config_selectorIflEEZNS1_25segmented_radix_sort_implIS3_Lb1EPKfPfPKlPlN2at6native12_GLOBAL__N_18offset_tEEE10hipError_tPvRmT1_PNSt15iterator_traitsISK_E10value_typeET2_T3_PNSL_ISQ_E10value_typeET4_jRbjT5_SW_jjP12ihipStream_tbEUlT_E1_NS1_11comp_targetILNS1_3genE10ELNS1_11target_archE1200ELNS1_3gpuE4ELNS1_3repE0EEENS1_59segmented_radix_sort_warp_sort_small_config_static_selectorELNS0_4arch9wavefront6targetE0EEEvSK_.uses_flat_scratch, 0
	.set _ZN7rocprim17ROCPRIM_400000_NS6detail17trampoline_kernelINS0_14default_configENS1_36segmented_radix_sort_config_selectorIflEEZNS1_25segmented_radix_sort_implIS3_Lb1EPKfPfPKlPlN2at6native12_GLOBAL__N_18offset_tEEE10hipError_tPvRmT1_PNSt15iterator_traitsISK_E10value_typeET2_T3_PNSL_ISQ_E10value_typeET4_jRbjT5_SW_jjP12ihipStream_tbEUlT_E1_NS1_11comp_targetILNS1_3genE10ELNS1_11target_archE1200ELNS1_3gpuE4ELNS1_3repE0EEENS1_59segmented_radix_sort_warp_sort_small_config_static_selectorELNS0_4arch9wavefront6targetE0EEEvSK_.has_dyn_sized_stack, 0
	.set _ZN7rocprim17ROCPRIM_400000_NS6detail17trampoline_kernelINS0_14default_configENS1_36segmented_radix_sort_config_selectorIflEEZNS1_25segmented_radix_sort_implIS3_Lb1EPKfPfPKlPlN2at6native12_GLOBAL__N_18offset_tEEE10hipError_tPvRmT1_PNSt15iterator_traitsISK_E10value_typeET2_T3_PNSL_ISQ_E10value_typeET4_jRbjT5_SW_jjP12ihipStream_tbEUlT_E1_NS1_11comp_targetILNS1_3genE10ELNS1_11target_archE1200ELNS1_3gpuE4ELNS1_3repE0EEENS1_59segmented_radix_sort_warp_sort_small_config_static_selectorELNS0_4arch9wavefront6targetE0EEEvSK_.has_recursion, 0
	.set _ZN7rocprim17ROCPRIM_400000_NS6detail17trampoline_kernelINS0_14default_configENS1_36segmented_radix_sort_config_selectorIflEEZNS1_25segmented_radix_sort_implIS3_Lb1EPKfPfPKlPlN2at6native12_GLOBAL__N_18offset_tEEE10hipError_tPvRmT1_PNSt15iterator_traitsISK_E10value_typeET2_T3_PNSL_ISQ_E10value_typeET4_jRbjT5_SW_jjP12ihipStream_tbEUlT_E1_NS1_11comp_targetILNS1_3genE10ELNS1_11target_archE1200ELNS1_3gpuE4ELNS1_3repE0EEENS1_59segmented_radix_sort_warp_sort_small_config_static_selectorELNS0_4arch9wavefront6targetE0EEEvSK_.has_indirect_call, 0
	.section	.AMDGPU.csdata,"",@progbits
; Kernel info:
; codeLenInByte = 0
; TotalNumSgprs: 0
; NumVgprs: 0
; ScratchSize: 0
; MemoryBound: 0
; FloatMode: 240
; IeeeMode: 1
; LDSByteSize: 0 bytes/workgroup (compile time only)
; SGPRBlocks: 0
; VGPRBlocks: 0
; NumSGPRsForWavesPerEU: 1
; NumVGPRsForWavesPerEU: 1
; Occupancy: 16
; WaveLimiterHint : 0
; COMPUTE_PGM_RSRC2:SCRATCH_EN: 0
; COMPUTE_PGM_RSRC2:USER_SGPR: 2
; COMPUTE_PGM_RSRC2:TRAP_HANDLER: 0
; COMPUTE_PGM_RSRC2:TGID_X_EN: 1
; COMPUTE_PGM_RSRC2:TGID_Y_EN: 0
; COMPUTE_PGM_RSRC2:TGID_Z_EN: 0
; COMPUTE_PGM_RSRC2:TIDIG_COMP_CNT: 0
	.section	.text._ZN7rocprim17ROCPRIM_400000_NS6detail17trampoline_kernelINS0_14default_configENS1_36segmented_radix_sort_config_selectorIflEEZNS1_25segmented_radix_sort_implIS3_Lb1EPKfPfPKlPlN2at6native12_GLOBAL__N_18offset_tEEE10hipError_tPvRmT1_PNSt15iterator_traitsISK_E10value_typeET2_T3_PNSL_ISQ_E10value_typeET4_jRbjT5_SW_jjP12ihipStream_tbEUlT_E1_NS1_11comp_targetILNS1_3genE9ELNS1_11target_archE1100ELNS1_3gpuE3ELNS1_3repE0EEENS1_59segmented_radix_sort_warp_sort_small_config_static_selectorELNS0_4arch9wavefront6targetE0EEEvSK_,"axG",@progbits,_ZN7rocprim17ROCPRIM_400000_NS6detail17trampoline_kernelINS0_14default_configENS1_36segmented_radix_sort_config_selectorIflEEZNS1_25segmented_radix_sort_implIS3_Lb1EPKfPfPKlPlN2at6native12_GLOBAL__N_18offset_tEEE10hipError_tPvRmT1_PNSt15iterator_traitsISK_E10value_typeET2_T3_PNSL_ISQ_E10value_typeET4_jRbjT5_SW_jjP12ihipStream_tbEUlT_E1_NS1_11comp_targetILNS1_3genE9ELNS1_11target_archE1100ELNS1_3gpuE3ELNS1_3repE0EEENS1_59segmented_radix_sort_warp_sort_small_config_static_selectorELNS0_4arch9wavefront6targetE0EEEvSK_,comdat
	.globl	_ZN7rocprim17ROCPRIM_400000_NS6detail17trampoline_kernelINS0_14default_configENS1_36segmented_radix_sort_config_selectorIflEEZNS1_25segmented_radix_sort_implIS3_Lb1EPKfPfPKlPlN2at6native12_GLOBAL__N_18offset_tEEE10hipError_tPvRmT1_PNSt15iterator_traitsISK_E10value_typeET2_T3_PNSL_ISQ_E10value_typeET4_jRbjT5_SW_jjP12ihipStream_tbEUlT_E1_NS1_11comp_targetILNS1_3genE9ELNS1_11target_archE1100ELNS1_3gpuE3ELNS1_3repE0EEENS1_59segmented_radix_sort_warp_sort_small_config_static_selectorELNS0_4arch9wavefront6targetE0EEEvSK_ ; -- Begin function _ZN7rocprim17ROCPRIM_400000_NS6detail17trampoline_kernelINS0_14default_configENS1_36segmented_radix_sort_config_selectorIflEEZNS1_25segmented_radix_sort_implIS3_Lb1EPKfPfPKlPlN2at6native12_GLOBAL__N_18offset_tEEE10hipError_tPvRmT1_PNSt15iterator_traitsISK_E10value_typeET2_T3_PNSL_ISQ_E10value_typeET4_jRbjT5_SW_jjP12ihipStream_tbEUlT_E1_NS1_11comp_targetILNS1_3genE9ELNS1_11target_archE1100ELNS1_3gpuE3ELNS1_3repE0EEENS1_59segmented_radix_sort_warp_sort_small_config_static_selectorELNS0_4arch9wavefront6targetE0EEEvSK_
	.p2align	8
	.type	_ZN7rocprim17ROCPRIM_400000_NS6detail17trampoline_kernelINS0_14default_configENS1_36segmented_radix_sort_config_selectorIflEEZNS1_25segmented_radix_sort_implIS3_Lb1EPKfPfPKlPlN2at6native12_GLOBAL__N_18offset_tEEE10hipError_tPvRmT1_PNSt15iterator_traitsISK_E10value_typeET2_T3_PNSL_ISQ_E10value_typeET4_jRbjT5_SW_jjP12ihipStream_tbEUlT_E1_NS1_11comp_targetILNS1_3genE9ELNS1_11target_archE1100ELNS1_3gpuE3ELNS1_3repE0EEENS1_59segmented_radix_sort_warp_sort_small_config_static_selectorELNS0_4arch9wavefront6targetE0EEEvSK_,@function
_ZN7rocprim17ROCPRIM_400000_NS6detail17trampoline_kernelINS0_14default_configENS1_36segmented_radix_sort_config_selectorIflEEZNS1_25segmented_radix_sort_implIS3_Lb1EPKfPfPKlPlN2at6native12_GLOBAL__N_18offset_tEEE10hipError_tPvRmT1_PNSt15iterator_traitsISK_E10value_typeET2_T3_PNSL_ISQ_E10value_typeET4_jRbjT5_SW_jjP12ihipStream_tbEUlT_E1_NS1_11comp_targetILNS1_3genE9ELNS1_11target_archE1100ELNS1_3gpuE3ELNS1_3repE0EEENS1_59segmented_radix_sort_warp_sort_small_config_static_selectorELNS0_4arch9wavefront6targetE0EEEvSK_: ; @_ZN7rocprim17ROCPRIM_400000_NS6detail17trampoline_kernelINS0_14default_configENS1_36segmented_radix_sort_config_selectorIflEEZNS1_25segmented_radix_sort_implIS3_Lb1EPKfPfPKlPlN2at6native12_GLOBAL__N_18offset_tEEE10hipError_tPvRmT1_PNSt15iterator_traitsISK_E10value_typeET2_T3_PNSL_ISQ_E10value_typeET4_jRbjT5_SW_jjP12ihipStream_tbEUlT_E1_NS1_11comp_targetILNS1_3genE9ELNS1_11target_archE1100ELNS1_3gpuE3ELNS1_3repE0EEENS1_59segmented_radix_sort_warp_sort_small_config_static_selectorELNS0_4arch9wavefront6targetE0EEEvSK_
; %bb.0:
	.section	.rodata,"a",@progbits
	.p2align	6, 0x0
	.amdhsa_kernel _ZN7rocprim17ROCPRIM_400000_NS6detail17trampoline_kernelINS0_14default_configENS1_36segmented_radix_sort_config_selectorIflEEZNS1_25segmented_radix_sort_implIS3_Lb1EPKfPfPKlPlN2at6native12_GLOBAL__N_18offset_tEEE10hipError_tPvRmT1_PNSt15iterator_traitsISK_E10value_typeET2_T3_PNSL_ISQ_E10value_typeET4_jRbjT5_SW_jjP12ihipStream_tbEUlT_E1_NS1_11comp_targetILNS1_3genE9ELNS1_11target_archE1100ELNS1_3gpuE3ELNS1_3repE0EEENS1_59segmented_radix_sort_warp_sort_small_config_static_selectorELNS0_4arch9wavefront6targetE0EEEvSK_
		.amdhsa_group_segment_fixed_size 0
		.amdhsa_private_segment_fixed_size 0
		.amdhsa_kernarg_size 88
		.amdhsa_user_sgpr_count 2
		.amdhsa_user_sgpr_dispatch_ptr 0
		.amdhsa_user_sgpr_queue_ptr 0
		.amdhsa_user_sgpr_kernarg_segment_ptr 1
		.amdhsa_user_sgpr_dispatch_id 0
		.amdhsa_user_sgpr_private_segment_size 0
		.amdhsa_wavefront_size32 1
		.amdhsa_uses_dynamic_stack 0
		.amdhsa_enable_private_segment 0
		.amdhsa_system_sgpr_workgroup_id_x 1
		.amdhsa_system_sgpr_workgroup_id_y 0
		.amdhsa_system_sgpr_workgroup_id_z 0
		.amdhsa_system_sgpr_workgroup_info 0
		.amdhsa_system_vgpr_workitem_id 0
		.amdhsa_next_free_vgpr 1
		.amdhsa_next_free_sgpr 1
		.amdhsa_reserve_vcc 0
		.amdhsa_float_round_mode_32 0
		.amdhsa_float_round_mode_16_64 0
		.amdhsa_float_denorm_mode_32 3
		.amdhsa_float_denorm_mode_16_64 3
		.amdhsa_fp16_overflow 0
		.amdhsa_workgroup_processor_mode 1
		.amdhsa_memory_ordered 1
		.amdhsa_forward_progress 1
		.amdhsa_inst_pref_size 0
		.amdhsa_round_robin_scheduling 0
		.amdhsa_exception_fp_ieee_invalid_op 0
		.amdhsa_exception_fp_denorm_src 0
		.amdhsa_exception_fp_ieee_div_zero 0
		.amdhsa_exception_fp_ieee_overflow 0
		.amdhsa_exception_fp_ieee_underflow 0
		.amdhsa_exception_fp_ieee_inexact 0
		.amdhsa_exception_int_div_zero 0
	.end_amdhsa_kernel
	.section	.text._ZN7rocprim17ROCPRIM_400000_NS6detail17trampoline_kernelINS0_14default_configENS1_36segmented_radix_sort_config_selectorIflEEZNS1_25segmented_radix_sort_implIS3_Lb1EPKfPfPKlPlN2at6native12_GLOBAL__N_18offset_tEEE10hipError_tPvRmT1_PNSt15iterator_traitsISK_E10value_typeET2_T3_PNSL_ISQ_E10value_typeET4_jRbjT5_SW_jjP12ihipStream_tbEUlT_E1_NS1_11comp_targetILNS1_3genE9ELNS1_11target_archE1100ELNS1_3gpuE3ELNS1_3repE0EEENS1_59segmented_radix_sort_warp_sort_small_config_static_selectorELNS0_4arch9wavefront6targetE0EEEvSK_,"axG",@progbits,_ZN7rocprim17ROCPRIM_400000_NS6detail17trampoline_kernelINS0_14default_configENS1_36segmented_radix_sort_config_selectorIflEEZNS1_25segmented_radix_sort_implIS3_Lb1EPKfPfPKlPlN2at6native12_GLOBAL__N_18offset_tEEE10hipError_tPvRmT1_PNSt15iterator_traitsISK_E10value_typeET2_T3_PNSL_ISQ_E10value_typeET4_jRbjT5_SW_jjP12ihipStream_tbEUlT_E1_NS1_11comp_targetILNS1_3genE9ELNS1_11target_archE1100ELNS1_3gpuE3ELNS1_3repE0EEENS1_59segmented_radix_sort_warp_sort_small_config_static_selectorELNS0_4arch9wavefront6targetE0EEEvSK_,comdat
.Lfunc_end1353:
	.size	_ZN7rocprim17ROCPRIM_400000_NS6detail17trampoline_kernelINS0_14default_configENS1_36segmented_radix_sort_config_selectorIflEEZNS1_25segmented_radix_sort_implIS3_Lb1EPKfPfPKlPlN2at6native12_GLOBAL__N_18offset_tEEE10hipError_tPvRmT1_PNSt15iterator_traitsISK_E10value_typeET2_T3_PNSL_ISQ_E10value_typeET4_jRbjT5_SW_jjP12ihipStream_tbEUlT_E1_NS1_11comp_targetILNS1_3genE9ELNS1_11target_archE1100ELNS1_3gpuE3ELNS1_3repE0EEENS1_59segmented_radix_sort_warp_sort_small_config_static_selectorELNS0_4arch9wavefront6targetE0EEEvSK_, .Lfunc_end1353-_ZN7rocprim17ROCPRIM_400000_NS6detail17trampoline_kernelINS0_14default_configENS1_36segmented_radix_sort_config_selectorIflEEZNS1_25segmented_radix_sort_implIS3_Lb1EPKfPfPKlPlN2at6native12_GLOBAL__N_18offset_tEEE10hipError_tPvRmT1_PNSt15iterator_traitsISK_E10value_typeET2_T3_PNSL_ISQ_E10value_typeET4_jRbjT5_SW_jjP12ihipStream_tbEUlT_E1_NS1_11comp_targetILNS1_3genE9ELNS1_11target_archE1100ELNS1_3gpuE3ELNS1_3repE0EEENS1_59segmented_radix_sort_warp_sort_small_config_static_selectorELNS0_4arch9wavefront6targetE0EEEvSK_
                                        ; -- End function
	.set _ZN7rocprim17ROCPRIM_400000_NS6detail17trampoline_kernelINS0_14default_configENS1_36segmented_radix_sort_config_selectorIflEEZNS1_25segmented_radix_sort_implIS3_Lb1EPKfPfPKlPlN2at6native12_GLOBAL__N_18offset_tEEE10hipError_tPvRmT1_PNSt15iterator_traitsISK_E10value_typeET2_T3_PNSL_ISQ_E10value_typeET4_jRbjT5_SW_jjP12ihipStream_tbEUlT_E1_NS1_11comp_targetILNS1_3genE9ELNS1_11target_archE1100ELNS1_3gpuE3ELNS1_3repE0EEENS1_59segmented_radix_sort_warp_sort_small_config_static_selectorELNS0_4arch9wavefront6targetE0EEEvSK_.num_vgpr, 0
	.set _ZN7rocprim17ROCPRIM_400000_NS6detail17trampoline_kernelINS0_14default_configENS1_36segmented_radix_sort_config_selectorIflEEZNS1_25segmented_radix_sort_implIS3_Lb1EPKfPfPKlPlN2at6native12_GLOBAL__N_18offset_tEEE10hipError_tPvRmT1_PNSt15iterator_traitsISK_E10value_typeET2_T3_PNSL_ISQ_E10value_typeET4_jRbjT5_SW_jjP12ihipStream_tbEUlT_E1_NS1_11comp_targetILNS1_3genE9ELNS1_11target_archE1100ELNS1_3gpuE3ELNS1_3repE0EEENS1_59segmented_radix_sort_warp_sort_small_config_static_selectorELNS0_4arch9wavefront6targetE0EEEvSK_.num_agpr, 0
	.set _ZN7rocprim17ROCPRIM_400000_NS6detail17trampoline_kernelINS0_14default_configENS1_36segmented_radix_sort_config_selectorIflEEZNS1_25segmented_radix_sort_implIS3_Lb1EPKfPfPKlPlN2at6native12_GLOBAL__N_18offset_tEEE10hipError_tPvRmT1_PNSt15iterator_traitsISK_E10value_typeET2_T3_PNSL_ISQ_E10value_typeET4_jRbjT5_SW_jjP12ihipStream_tbEUlT_E1_NS1_11comp_targetILNS1_3genE9ELNS1_11target_archE1100ELNS1_3gpuE3ELNS1_3repE0EEENS1_59segmented_radix_sort_warp_sort_small_config_static_selectorELNS0_4arch9wavefront6targetE0EEEvSK_.numbered_sgpr, 0
	.set _ZN7rocprim17ROCPRIM_400000_NS6detail17trampoline_kernelINS0_14default_configENS1_36segmented_radix_sort_config_selectorIflEEZNS1_25segmented_radix_sort_implIS3_Lb1EPKfPfPKlPlN2at6native12_GLOBAL__N_18offset_tEEE10hipError_tPvRmT1_PNSt15iterator_traitsISK_E10value_typeET2_T3_PNSL_ISQ_E10value_typeET4_jRbjT5_SW_jjP12ihipStream_tbEUlT_E1_NS1_11comp_targetILNS1_3genE9ELNS1_11target_archE1100ELNS1_3gpuE3ELNS1_3repE0EEENS1_59segmented_radix_sort_warp_sort_small_config_static_selectorELNS0_4arch9wavefront6targetE0EEEvSK_.num_named_barrier, 0
	.set _ZN7rocprim17ROCPRIM_400000_NS6detail17trampoline_kernelINS0_14default_configENS1_36segmented_radix_sort_config_selectorIflEEZNS1_25segmented_radix_sort_implIS3_Lb1EPKfPfPKlPlN2at6native12_GLOBAL__N_18offset_tEEE10hipError_tPvRmT1_PNSt15iterator_traitsISK_E10value_typeET2_T3_PNSL_ISQ_E10value_typeET4_jRbjT5_SW_jjP12ihipStream_tbEUlT_E1_NS1_11comp_targetILNS1_3genE9ELNS1_11target_archE1100ELNS1_3gpuE3ELNS1_3repE0EEENS1_59segmented_radix_sort_warp_sort_small_config_static_selectorELNS0_4arch9wavefront6targetE0EEEvSK_.private_seg_size, 0
	.set _ZN7rocprim17ROCPRIM_400000_NS6detail17trampoline_kernelINS0_14default_configENS1_36segmented_radix_sort_config_selectorIflEEZNS1_25segmented_radix_sort_implIS3_Lb1EPKfPfPKlPlN2at6native12_GLOBAL__N_18offset_tEEE10hipError_tPvRmT1_PNSt15iterator_traitsISK_E10value_typeET2_T3_PNSL_ISQ_E10value_typeET4_jRbjT5_SW_jjP12ihipStream_tbEUlT_E1_NS1_11comp_targetILNS1_3genE9ELNS1_11target_archE1100ELNS1_3gpuE3ELNS1_3repE0EEENS1_59segmented_radix_sort_warp_sort_small_config_static_selectorELNS0_4arch9wavefront6targetE0EEEvSK_.uses_vcc, 0
	.set _ZN7rocprim17ROCPRIM_400000_NS6detail17trampoline_kernelINS0_14default_configENS1_36segmented_radix_sort_config_selectorIflEEZNS1_25segmented_radix_sort_implIS3_Lb1EPKfPfPKlPlN2at6native12_GLOBAL__N_18offset_tEEE10hipError_tPvRmT1_PNSt15iterator_traitsISK_E10value_typeET2_T3_PNSL_ISQ_E10value_typeET4_jRbjT5_SW_jjP12ihipStream_tbEUlT_E1_NS1_11comp_targetILNS1_3genE9ELNS1_11target_archE1100ELNS1_3gpuE3ELNS1_3repE0EEENS1_59segmented_radix_sort_warp_sort_small_config_static_selectorELNS0_4arch9wavefront6targetE0EEEvSK_.uses_flat_scratch, 0
	.set _ZN7rocprim17ROCPRIM_400000_NS6detail17trampoline_kernelINS0_14default_configENS1_36segmented_radix_sort_config_selectorIflEEZNS1_25segmented_radix_sort_implIS3_Lb1EPKfPfPKlPlN2at6native12_GLOBAL__N_18offset_tEEE10hipError_tPvRmT1_PNSt15iterator_traitsISK_E10value_typeET2_T3_PNSL_ISQ_E10value_typeET4_jRbjT5_SW_jjP12ihipStream_tbEUlT_E1_NS1_11comp_targetILNS1_3genE9ELNS1_11target_archE1100ELNS1_3gpuE3ELNS1_3repE0EEENS1_59segmented_radix_sort_warp_sort_small_config_static_selectorELNS0_4arch9wavefront6targetE0EEEvSK_.has_dyn_sized_stack, 0
	.set _ZN7rocprim17ROCPRIM_400000_NS6detail17trampoline_kernelINS0_14default_configENS1_36segmented_radix_sort_config_selectorIflEEZNS1_25segmented_radix_sort_implIS3_Lb1EPKfPfPKlPlN2at6native12_GLOBAL__N_18offset_tEEE10hipError_tPvRmT1_PNSt15iterator_traitsISK_E10value_typeET2_T3_PNSL_ISQ_E10value_typeET4_jRbjT5_SW_jjP12ihipStream_tbEUlT_E1_NS1_11comp_targetILNS1_3genE9ELNS1_11target_archE1100ELNS1_3gpuE3ELNS1_3repE0EEENS1_59segmented_radix_sort_warp_sort_small_config_static_selectorELNS0_4arch9wavefront6targetE0EEEvSK_.has_recursion, 0
	.set _ZN7rocprim17ROCPRIM_400000_NS6detail17trampoline_kernelINS0_14default_configENS1_36segmented_radix_sort_config_selectorIflEEZNS1_25segmented_radix_sort_implIS3_Lb1EPKfPfPKlPlN2at6native12_GLOBAL__N_18offset_tEEE10hipError_tPvRmT1_PNSt15iterator_traitsISK_E10value_typeET2_T3_PNSL_ISQ_E10value_typeET4_jRbjT5_SW_jjP12ihipStream_tbEUlT_E1_NS1_11comp_targetILNS1_3genE9ELNS1_11target_archE1100ELNS1_3gpuE3ELNS1_3repE0EEENS1_59segmented_radix_sort_warp_sort_small_config_static_selectorELNS0_4arch9wavefront6targetE0EEEvSK_.has_indirect_call, 0
	.section	.AMDGPU.csdata,"",@progbits
; Kernel info:
; codeLenInByte = 0
; TotalNumSgprs: 0
; NumVgprs: 0
; ScratchSize: 0
; MemoryBound: 0
; FloatMode: 240
; IeeeMode: 1
; LDSByteSize: 0 bytes/workgroup (compile time only)
; SGPRBlocks: 0
; VGPRBlocks: 0
; NumSGPRsForWavesPerEU: 1
; NumVGPRsForWavesPerEU: 1
; Occupancy: 16
; WaveLimiterHint : 0
; COMPUTE_PGM_RSRC2:SCRATCH_EN: 0
; COMPUTE_PGM_RSRC2:USER_SGPR: 2
; COMPUTE_PGM_RSRC2:TRAP_HANDLER: 0
; COMPUTE_PGM_RSRC2:TGID_X_EN: 1
; COMPUTE_PGM_RSRC2:TGID_Y_EN: 0
; COMPUTE_PGM_RSRC2:TGID_Z_EN: 0
; COMPUTE_PGM_RSRC2:TIDIG_COMP_CNT: 0
	.section	.text._ZN7rocprim17ROCPRIM_400000_NS6detail17trampoline_kernelINS0_14default_configENS1_36segmented_radix_sort_config_selectorIflEEZNS1_25segmented_radix_sort_implIS3_Lb1EPKfPfPKlPlN2at6native12_GLOBAL__N_18offset_tEEE10hipError_tPvRmT1_PNSt15iterator_traitsISK_E10value_typeET2_T3_PNSL_ISQ_E10value_typeET4_jRbjT5_SW_jjP12ihipStream_tbEUlT_E1_NS1_11comp_targetILNS1_3genE8ELNS1_11target_archE1030ELNS1_3gpuE2ELNS1_3repE0EEENS1_59segmented_radix_sort_warp_sort_small_config_static_selectorELNS0_4arch9wavefront6targetE0EEEvSK_,"axG",@progbits,_ZN7rocprim17ROCPRIM_400000_NS6detail17trampoline_kernelINS0_14default_configENS1_36segmented_radix_sort_config_selectorIflEEZNS1_25segmented_radix_sort_implIS3_Lb1EPKfPfPKlPlN2at6native12_GLOBAL__N_18offset_tEEE10hipError_tPvRmT1_PNSt15iterator_traitsISK_E10value_typeET2_T3_PNSL_ISQ_E10value_typeET4_jRbjT5_SW_jjP12ihipStream_tbEUlT_E1_NS1_11comp_targetILNS1_3genE8ELNS1_11target_archE1030ELNS1_3gpuE2ELNS1_3repE0EEENS1_59segmented_radix_sort_warp_sort_small_config_static_selectorELNS0_4arch9wavefront6targetE0EEEvSK_,comdat
	.globl	_ZN7rocprim17ROCPRIM_400000_NS6detail17trampoline_kernelINS0_14default_configENS1_36segmented_radix_sort_config_selectorIflEEZNS1_25segmented_radix_sort_implIS3_Lb1EPKfPfPKlPlN2at6native12_GLOBAL__N_18offset_tEEE10hipError_tPvRmT1_PNSt15iterator_traitsISK_E10value_typeET2_T3_PNSL_ISQ_E10value_typeET4_jRbjT5_SW_jjP12ihipStream_tbEUlT_E1_NS1_11comp_targetILNS1_3genE8ELNS1_11target_archE1030ELNS1_3gpuE2ELNS1_3repE0EEENS1_59segmented_radix_sort_warp_sort_small_config_static_selectorELNS0_4arch9wavefront6targetE0EEEvSK_ ; -- Begin function _ZN7rocprim17ROCPRIM_400000_NS6detail17trampoline_kernelINS0_14default_configENS1_36segmented_radix_sort_config_selectorIflEEZNS1_25segmented_radix_sort_implIS3_Lb1EPKfPfPKlPlN2at6native12_GLOBAL__N_18offset_tEEE10hipError_tPvRmT1_PNSt15iterator_traitsISK_E10value_typeET2_T3_PNSL_ISQ_E10value_typeET4_jRbjT5_SW_jjP12ihipStream_tbEUlT_E1_NS1_11comp_targetILNS1_3genE8ELNS1_11target_archE1030ELNS1_3gpuE2ELNS1_3repE0EEENS1_59segmented_radix_sort_warp_sort_small_config_static_selectorELNS0_4arch9wavefront6targetE0EEEvSK_
	.p2align	8
	.type	_ZN7rocprim17ROCPRIM_400000_NS6detail17trampoline_kernelINS0_14default_configENS1_36segmented_radix_sort_config_selectorIflEEZNS1_25segmented_radix_sort_implIS3_Lb1EPKfPfPKlPlN2at6native12_GLOBAL__N_18offset_tEEE10hipError_tPvRmT1_PNSt15iterator_traitsISK_E10value_typeET2_T3_PNSL_ISQ_E10value_typeET4_jRbjT5_SW_jjP12ihipStream_tbEUlT_E1_NS1_11comp_targetILNS1_3genE8ELNS1_11target_archE1030ELNS1_3gpuE2ELNS1_3repE0EEENS1_59segmented_radix_sort_warp_sort_small_config_static_selectorELNS0_4arch9wavefront6targetE0EEEvSK_,@function
_ZN7rocprim17ROCPRIM_400000_NS6detail17trampoline_kernelINS0_14default_configENS1_36segmented_radix_sort_config_selectorIflEEZNS1_25segmented_radix_sort_implIS3_Lb1EPKfPfPKlPlN2at6native12_GLOBAL__N_18offset_tEEE10hipError_tPvRmT1_PNSt15iterator_traitsISK_E10value_typeET2_T3_PNSL_ISQ_E10value_typeET4_jRbjT5_SW_jjP12ihipStream_tbEUlT_E1_NS1_11comp_targetILNS1_3genE8ELNS1_11target_archE1030ELNS1_3gpuE2ELNS1_3repE0EEENS1_59segmented_radix_sort_warp_sort_small_config_static_selectorELNS0_4arch9wavefront6targetE0EEEvSK_: ; @_ZN7rocprim17ROCPRIM_400000_NS6detail17trampoline_kernelINS0_14default_configENS1_36segmented_radix_sort_config_selectorIflEEZNS1_25segmented_radix_sort_implIS3_Lb1EPKfPfPKlPlN2at6native12_GLOBAL__N_18offset_tEEE10hipError_tPvRmT1_PNSt15iterator_traitsISK_E10value_typeET2_T3_PNSL_ISQ_E10value_typeET4_jRbjT5_SW_jjP12ihipStream_tbEUlT_E1_NS1_11comp_targetILNS1_3genE8ELNS1_11target_archE1030ELNS1_3gpuE2ELNS1_3repE0EEENS1_59segmented_radix_sort_warp_sort_small_config_static_selectorELNS0_4arch9wavefront6targetE0EEEvSK_
; %bb.0:
	.section	.rodata,"a",@progbits
	.p2align	6, 0x0
	.amdhsa_kernel _ZN7rocprim17ROCPRIM_400000_NS6detail17trampoline_kernelINS0_14default_configENS1_36segmented_radix_sort_config_selectorIflEEZNS1_25segmented_radix_sort_implIS3_Lb1EPKfPfPKlPlN2at6native12_GLOBAL__N_18offset_tEEE10hipError_tPvRmT1_PNSt15iterator_traitsISK_E10value_typeET2_T3_PNSL_ISQ_E10value_typeET4_jRbjT5_SW_jjP12ihipStream_tbEUlT_E1_NS1_11comp_targetILNS1_3genE8ELNS1_11target_archE1030ELNS1_3gpuE2ELNS1_3repE0EEENS1_59segmented_radix_sort_warp_sort_small_config_static_selectorELNS0_4arch9wavefront6targetE0EEEvSK_
		.amdhsa_group_segment_fixed_size 0
		.amdhsa_private_segment_fixed_size 0
		.amdhsa_kernarg_size 88
		.amdhsa_user_sgpr_count 2
		.amdhsa_user_sgpr_dispatch_ptr 0
		.amdhsa_user_sgpr_queue_ptr 0
		.amdhsa_user_sgpr_kernarg_segment_ptr 1
		.amdhsa_user_sgpr_dispatch_id 0
		.amdhsa_user_sgpr_private_segment_size 0
		.amdhsa_wavefront_size32 1
		.amdhsa_uses_dynamic_stack 0
		.amdhsa_enable_private_segment 0
		.amdhsa_system_sgpr_workgroup_id_x 1
		.amdhsa_system_sgpr_workgroup_id_y 0
		.amdhsa_system_sgpr_workgroup_id_z 0
		.amdhsa_system_sgpr_workgroup_info 0
		.amdhsa_system_vgpr_workitem_id 0
		.amdhsa_next_free_vgpr 1
		.amdhsa_next_free_sgpr 1
		.amdhsa_reserve_vcc 0
		.amdhsa_float_round_mode_32 0
		.amdhsa_float_round_mode_16_64 0
		.amdhsa_float_denorm_mode_32 3
		.amdhsa_float_denorm_mode_16_64 3
		.amdhsa_fp16_overflow 0
		.amdhsa_workgroup_processor_mode 1
		.amdhsa_memory_ordered 1
		.amdhsa_forward_progress 1
		.amdhsa_inst_pref_size 0
		.amdhsa_round_robin_scheduling 0
		.amdhsa_exception_fp_ieee_invalid_op 0
		.amdhsa_exception_fp_denorm_src 0
		.amdhsa_exception_fp_ieee_div_zero 0
		.amdhsa_exception_fp_ieee_overflow 0
		.amdhsa_exception_fp_ieee_underflow 0
		.amdhsa_exception_fp_ieee_inexact 0
		.amdhsa_exception_int_div_zero 0
	.end_amdhsa_kernel
	.section	.text._ZN7rocprim17ROCPRIM_400000_NS6detail17trampoline_kernelINS0_14default_configENS1_36segmented_radix_sort_config_selectorIflEEZNS1_25segmented_radix_sort_implIS3_Lb1EPKfPfPKlPlN2at6native12_GLOBAL__N_18offset_tEEE10hipError_tPvRmT1_PNSt15iterator_traitsISK_E10value_typeET2_T3_PNSL_ISQ_E10value_typeET4_jRbjT5_SW_jjP12ihipStream_tbEUlT_E1_NS1_11comp_targetILNS1_3genE8ELNS1_11target_archE1030ELNS1_3gpuE2ELNS1_3repE0EEENS1_59segmented_radix_sort_warp_sort_small_config_static_selectorELNS0_4arch9wavefront6targetE0EEEvSK_,"axG",@progbits,_ZN7rocprim17ROCPRIM_400000_NS6detail17trampoline_kernelINS0_14default_configENS1_36segmented_radix_sort_config_selectorIflEEZNS1_25segmented_radix_sort_implIS3_Lb1EPKfPfPKlPlN2at6native12_GLOBAL__N_18offset_tEEE10hipError_tPvRmT1_PNSt15iterator_traitsISK_E10value_typeET2_T3_PNSL_ISQ_E10value_typeET4_jRbjT5_SW_jjP12ihipStream_tbEUlT_E1_NS1_11comp_targetILNS1_3genE8ELNS1_11target_archE1030ELNS1_3gpuE2ELNS1_3repE0EEENS1_59segmented_radix_sort_warp_sort_small_config_static_selectorELNS0_4arch9wavefront6targetE0EEEvSK_,comdat
.Lfunc_end1354:
	.size	_ZN7rocprim17ROCPRIM_400000_NS6detail17trampoline_kernelINS0_14default_configENS1_36segmented_radix_sort_config_selectorIflEEZNS1_25segmented_radix_sort_implIS3_Lb1EPKfPfPKlPlN2at6native12_GLOBAL__N_18offset_tEEE10hipError_tPvRmT1_PNSt15iterator_traitsISK_E10value_typeET2_T3_PNSL_ISQ_E10value_typeET4_jRbjT5_SW_jjP12ihipStream_tbEUlT_E1_NS1_11comp_targetILNS1_3genE8ELNS1_11target_archE1030ELNS1_3gpuE2ELNS1_3repE0EEENS1_59segmented_radix_sort_warp_sort_small_config_static_selectorELNS0_4arch9wavefront6targetE0EEEvSK_, .Lfunc_end1354-_ZN7rocprim17ROCPRIM_400000_NS6detail17trampoline_kernelINS0_14default_configENS1_36segmented_radix_sort_config_selectorIflEEZNS1_25segmented_radix_sort_implIS3_Lb1EPKfPfPKlPlN2at6native12_GLOBAL__N_18offset_tEEE10hipError_tPvRmT1_PNSt15iterator_traitsISK_E10value_typeET2_T3_PNSL_ISQ_E10value_typeET4_jRbjT5_SW_jjP12ihipStream_tbEUlT_E1_NS1_11comp_targetILNS1_3genE8ELNS1_11target_archE1030ELNS1_3gpuE2ELNS1_3repE0EEENS1_59segmented_radix_sort_warp_sort_small_config_static_selectorELNS0_4arch9wavefront6targetE0EEEvSK_
                                        ; -- End function
	.set _ZN7rocprim17ROCPRIM_400000_NS6detail17trampoline_kernelINS0_14default_configENS1_36segmented_radix_sort_config_selectorIflEEZNS1_25segmented_radix_sort_implIS3_Lb1EPKfPfPKlPlN2at6native12_GLOBAL__N_18offset_tEEE10hipError_tPvRmT1_PNSt15iterator_traitsISK_E10value_typeET2_T3_PNSL_ISQ_E10value_typeET4_jRbjT5_SW_jjP12ihipStream_tbEUlT_E1_NS1_11comp_targetILNS1_3genE8ELNS1_11target_archE1030ELNS1_3gpuE2ELNS1_3repE0EEENS1_59segmented_radix_sort_warp_sort_small_config_static_selectorELNS0_4arch9wavefront6targetE0EEEvSK_.num_vgpr, 0
	.set _ZN7rocprim17ROCPRIM_400000_NS6detail17trampoline_kernelINS0_14default_configENS1_36segmented_radix_sort_config_selectorIflEEZNS1_25segmented_radix_sort_implIS3_Lb1EPKfPfPKlPlN2at6native12_GLOBAL__N_18offset_tEEE10hipError_tPvRmT1_PNSt15iterator_traitsISK_E10value_typeET2_T3_PNSL_ISQ_E10value_typeET4_jRbjT5_SW_jjP12ihipStream_tbEUlT_E1_NS1_11comp_targetILNS1_3genE8ELNS1_11target_archE1030ELNS1_3gpuE2ELNS1_3repE0EEENS1_59segmented_radix_sort_warp_sort_small_config_static_selectorELNS0_4arch9wavefront6targetE0EEEvSK_.num_agpr, 0
	.set _ZN7rocprim17ROCPRIM_400000_NS6detail17trampoline_kernelINS0_14default_configENS1_36segmented_radix_sort_config_selectorIflEEZNS1_25segmented_radix_sort_implIS3_Lb1EPKfPfPKlPlN2at6native12_GLOBAL__N_18offset_tEEE10hipError_tPvRmT1_PNSt15iterator_traitsISK_E10value_typeET2_T3_PNSL_ISQ_E10value_typeET4_jRbjT5_SW_jjP12ihipStream_tbEUlT_E1_NS1_11comp_targetILNS1_3genE8ELNS1_11target_archE1030ELNS1_3gpuE2ELNS1_3repE0EEENS1_59segmented_radix_sort_warp_sort_small_config_static_selectorELNS0_4arch9wavefront6targetE0EEEvSK_.numbered_sgpr, 0
	.set _ZN7rocprim17ROCPRIM_400000_NS6detail17trampoline_kernelINS0_14default_configENS1_36segmented_radix_sort_config_selectorIflEEZNS1_25segmented_radix_sort_implIS3_Lb1EPKfPfPKlPlN2at6native12_GLOBAL__N_18offset_tEEE10hipError_tPvRmT1_PNSt15iterator_traitsISK_E10value_typeET2_T3_PNSL_ISQ_E10value_typeET4_jRbjT5_SW_jjP12ihipStream_tbEUlT_E1_NS1_11comp_targetILNS1_3genE8ELNS1_11target_archE1030ELNS1_3gpuE2ELNS1_3repE0EEENS1_59segmented_radix_sort_warp_sort_small_config_static_selectorELNS0_4arch9wavefront6targetE0EEEvSK_.num_named_barrier, 0
	.set _ZN7rocprim17ROCPRIM_400000_NS6detail17trampoline_kernelINS0_14default_configENS1_36segmented_radix_sort_config_selectorIflEEZNS1_25segmented_radix_sort_implIS3_Lb1EPKfPfPKlPlN2at6native12_GLOBAL__N_18offset_tEEE10hipError_tPvRmT1_PNSt15iterator_traitsISK_E10value_typeET2_T3_PNSL_ISQ_E10value_typeET4_jRbjT5_SW_jjP12ihipStream_tbEUlT_E1_NS1_11comp_targetILNS1_3genE8ELNS1_11target_archE1030ELNS1_3gpuE2ELNS1_3repE0EEENS1_59segmented_radix_sort_warp_sort_small_config_static_selectorELNS0_4arch9wavefront6targetE0EEEvSK_.private_seg_size, 0
	.set _ZN7rocprim17ROCPRIM_400000_NS6detail17trampoline_kernelINS0_14default_configENS1_36segmented_radix_sort_config_selectorIflEEZNS1_25segmented_radix_sort_implIS3_Lb1EPKfPfPKlPlN2at6native12_GLOBAL__N_18offset_tEEE10hipError_tPvRmT1_PNSt15iterator_traitsISK_E10value_typeET2_T3_PNSL_ISQ_E10value_typeET4_jRbjT5_SW_jjP12ihipStream_tbEUlT_E1_NS1_11comp_targetILNS1_3genE8ELNS1_11target_archE1030ELNS1_3gpuE2ELNS1_3repE0EEENS1_59segmented_radix_sort_warp_sort_small_config_static_selectorELNS0_4arch9wavefront6targetE0EEEvSK_.uses_vcc, 0
	.set _ZN7rocprim17ROCPRIM_400000_NS6detail17trampoline_kernelINS0_14default_configENS1_36segmented_radix_sort_config_selectorIflEEZNS1_25segmented_radix_sort_implIS3_Lb1EPKfPfPKlPlN2at6native12_GLOBAL__N_18offset_tEEE10hipError_tPvRmT1_PNSt15iterator_traitsISK_E10value_typeET2_T3_PNSL_ISQ_E10value_typeET4_jRbjT5_SW_jjP12ihipStream_tbEUlT_E1_NS1_11comp_targetILNS1_3genE8ELNS1_11target_archE1030ELNS1_3gpuE2ELNS1_3repE0EEENS1_59segmented_radix_sort_warp_sort_small_config_static_selectorELNS0_4arch9wavefront6targetE0EEEvSK_.uses_flat_scratch, 0
	.set _ZN7rocprim17ROCPRIM_400000_NS6detail17trampoline_kernelINS0_14default_configENS1_36segmented_radix_sort_config_selectorIflEEZNS1_25segmented_radix_sort_implIS3_Lb1EPKfPfPKlPlN2at6native12_GLOBAL__N_18offset_tEEE10hipError_tPvRmT1_PNSt15iterator_traitsISK_E10value_typeET2_T3_PNSL_ISQ_E10value_typeET4_jRbjT5_SW_jjP12ihipStream_tbEUlT_E1_NS1_11comp_targetILNS1_3genE8ELNS1_11target_archE1030ELNS1_3gpuE2ELNS1_3repE0EEENS1_59segmented_radix_sort_warp_sort_small_config_static_selectorELNS0_4arch9wavefront6targetE0EEEvSK_.has_dyn_sized_stack, 0
	.set _ZN7rocprim17ROCPRIM_400000_NS6detail17trampoline_kernelINS0_14default_configENS1_36segmented_radix_sort_config_selectorIflEEZNS1_25segmented_radix_sort_implIS3_Lb1EPKfPfPKlPlN2at6native12_GLOBAL__N_18offset_tEEE10hipError_tPvRmT1_PNSt15iterator_traitsISK_E10value_typeET2_T3_PNSL_ISQ_E10value_typeET4_jRbjT5_SW_jjP12ihipStream_tbEUlT_E1_NS1_11comp_targetILNS1_3genE8ELNS1_11target_archE1030ELNS1_3gpuE2ELNS1_3repE0EEENS1_59segmented_radix_sort_warp_sort_small_config_static_selectorELNS0_4arch9wavefront6targetE0EEEvSK_.has_recursion, 0
	.set _ZN7rocprim17ROCPRIM_400000_NS6detail17trampoline_kernelINS0_14default_configENS1_36segmented_radix_sort_config_selectorIflEEZNS1_25segmented_radix_sort_implIS3_Lb1EPKfPfPKlPlN2at6native12_GLOBAL__N_18offset_tEEE10hipError_tPvRmT1_PNSt15iterator_traitsISK_E10value_typeET2_T3_PNSL_ISQ_E10value_typeET4_jRbjT5_SW_jjP12ihipStream_tbEUlT_E1_NS1_11comp_targetILNS1_3genE8ELNS1_11target_archE1030ELNS1_3gpuE2ELNS1_3repE0EEENS1_59segmented_radix_sort_warp_sort_small_config_static_selectorELNS0_4arch9wavefront6targetE0EEEvSK_.has_indirect_call, 0
	.section	.AMDGPU.csdata,"",@progbits
; Kernel info:
; codeLenInByte = 0
; TotalNumSgprs: 0
; NumVgprs: 0
; ScratchSize: 0
; MemoryBound: 0
; FloatMode: 240
; IeeeMode: 1
; LDSByteSize: 0 bytes/workgroup (compile time only)
; SGPRBlocks: 0
; VGPRBlocks: 0
; NumSGPRsForWavesPerEU: 1
; NumVGPRsForWavesPerEU: 1
; Occupancy: 16
; WaveLimiterHint : 0
; COMPUTE_PGM_RSRC2:SCRATCH_EN: 0
; COMPUTE_PGM_RSRC2:USER_SGPR: 2
; COMPUTE_PGM_RSRC2:TRAP_HANDLER: 0
; COMPUTE_PGM_RSRC2:TGID_X_EN: 1
; COMPUTE_PGM_RSRC2:TGID_Y_EN: 0
; COMPUTE_PGM_RSRC2:TGID_Z_EN: 0
; COMPUTE_PGM_RSRC2:TIDIG_COMP_CNT: 0
	.section	.text._ZN7rocprim17ROCPRIM_400000_NS6detail17trampoline_kernelINS0_14default_configENS1_36segmented_radix_sort_config_selectorIflEEZNS1_25segmented_radix_sort_implIS3_Lb1EPKfPfPKlPlN2at6native12_GLOBAL__N_18offset_tEEE10hipError_tPvRmT1_PNSt15iterator_traitsISK_E10value_typeET2_T3_PNSL_ISQ_E10value_typeET4_jRbjT5_SW_jjP12ihipStream_tbEUlT_E2_NS1_11comp_targetILNS1_3genE0ELNS1_11target_archE4294967295ELNS1_3gpuE0ELNS1_3repE0EEENS1_30default_config_static_selectorELNS0_4arch9wavefront6targetE0EEEvSK_,"axG",@progbits,_ZN7rocprim17ROCPRIM_400000_NS6detail17trampoline_kernelINS0_14default_configENS1_36segmented_radix_sort_config_selectorIflEEZNS1_25segmented_radix_sort_implIS3_Lb1EPKfPfPKlPlN2at6native12_GLOBAL__N_18offset_tEEE10hipError_tPvRmT1_PNSt15iterator_traitsISK_E10value_typeET2_T3_PNSL_ISQ_E10value_typeET4_jRbjT5_SW_jjP12ihipStream_tbEUlT_E2_NS1_11comp_targetILNS1_3genE0ELNS1_11target_archE4294967295ELNS1_3gpuE0ELNS1_3repE0EEENS1_30default_config_static_selectorELNS0_4arch9wavefront6targetE0EEEvSK_,comdat
	.globl	_ZN7rocprim17ROCPRIM_400000_NS6detail17trampoline_kernelINS0_14default_configENS1_36segmented_radix_sort_config_selectorIflEEZNS1_25segmented_radix_sort_implIS3_Lb1EPKfPfPKlPlN2at6native12_GLOBAL__N_18offset_tEEE10hipError_tPvRmT1_PNSt15iterator_traitsISK_E10value_typeET2_T3_PNSL_ISQ_E10value_typeET4_jRbjT5_SW_jjP12ihipStream_tbEUlT_E2_NS1_11comp_targetILNS1_3genE0ELNS1_11target_archE4294967295ELNS1_3gpuE0ELNS1_3repE0EEENS1_30default_config_static_selectorELNS0_4arch9wavefront6targetE0EEEvSK_ ; -- Begin function _ZN7rocprim17ROCPRIM_400000_NS6detail17trampoline_kernelINS0_14default_configENS1_36segmented_radix_sort_config_selectorIflEEZNS1_25segmented_radix_sort_implIS3_Lb1EPKfPfPKlPlN2at6native12_GLOBAL__N_18offset_tEEE10hipError_tPvRmT1_PNSt15iterator_traitsISK_E10value_typeET2_T3_PNSL_ISQ_E10value_typeET4_jRbjT5_SW_jjP12ihipStream_tbEUlT_E2_NS1_11comp_targetILNS1_3genE0ELNS1_11target_archE4294967295ELNS1_3gpuE0ELNS1_3repE0EEENS1_30default_config_static_selectorELNS0_4arch9wavefront6targetE0EEEvSK_
	.p2align	8
	.type	_ZN7rocprim17ROCPRIM_400000_NS6detail17trampoline_kernelINS0_14default_configENS1_36segmented_radix_sort_config_selectorIflEEZNS1_25segmented_radix_sort_implIS3_Lb1EPKfPfPKlPlN2at6native12_GLOBAL__N_18offset_tEEE10hipError_tPvRmT1_PNSt15iterator_traitsISK_E10value_typeET2_T3_PNSL_ISQ_E10value_typeET4_jRbjT5_SW_jjP12ihipStream_tbEUlT_E2_NS1_11comp_targetILNS1_3genE0ELNS1_11target_archE4294967295ELNS1_3gpuE0ELNS1_3repE0EEENS1_30default_config_static_selectorELNS0_4arch9wavefront6targetE0EEEvSK_,@function
_ZN7rocprim17ROCPRIM_400000_NS6detail17trampoline_kernelINS0_14default_configENS1_36segmented_radix_sort_config_selectorIflEEZNS1_25segmented_radix_sort_implIS3_Lb1EPKfPfPKlPlN2at6native12_GLOBAL__N_18offset_tEEE10hipError_tPvRmT1_PNSt15iterator_traitsISK_E10value_typeET2_T3_PNSL_ISQ_E10value_typeET4_jRbjT5_SW_jjP12ihipStream_tbEUlT_E2_NS1_11comp_targetILNS1_3genE0ELNS1_11target_archE4294967295ELNS1_3gpuE0ELNS1_3repE0EEENS1_30default_config_static_selectorELNS0_4arch9wavefront6targetE0EEEvSK_: ; @_ZN7rocprim17ROCPRIM_400000_NS6detail17trampoline_kernelINS0_14default_configENS1_36segmented_radix_sort_config_selectorIflEEZNS1_25segmented_radix_sort_implIS3_Lb1EPKfPfPKlPlN2at6native12_GLOBAL__N_18offset_tEEE10hipError_tPvRmT1_PNSt15iterator_traitsISK_E10value_typeET2_T3_PNSL_ISQ_E10value_typeET4_jRbjT5_SW_jjP12ihipStream_tbEUlT_E2_NS1_11comp_targetILNS1_3genE0ELNS1_11target_archE4294967295ELNS1_3gpuE0ELNS1_3repE0EEENS1_30default_config_static_selectorELNS0_4arch9wavefront6targetE0EEEvSK_
; %bb.0:
	.section	.rodata,"a",@progbits
	.p2align	6, 0x0
	.amdhsa_kernel _ZN7rocprim17ROCPRIM_400000_NS6detail17trampoline_kernelINS0_14default_configENS1_36segmented_radix_sort_config_selectorIflEEZNS1_25segmented_radix_sort_implIS3_Lb1EPKfPfPKlPlN2at6native12_GLOBAL__N_18offset_tEEE10hipError_tPvRmT1_PNSt15iterator_traitsISK_E10value_typeET2_T3_PNSL_ISQ_E10value_typeET4_jRbjT5_SW_jjP12ihipStream_tbEUlT_E2_NS1_11comp_targetILNS1_3genE0ELNS1_11target_archE4294967295ELNS1_3gpuE0ELNS1_3repE0EEENS1_30default_config_static_selectorELNS0_4arch9wavefront6targetE0EEEvSK_
		.amdhsa_group_segment_fixed_size 0
		.amdhsa_private_segment_fixed_size 0
		.amdhsa_kernarg_size 80
		.amdhsa_user_sgpr_count 2
		.amdhsa_user_sgpr_dispatch_ptr 0
		.amdhsa_user_sgpr_queue_ptr 0
		.amdhsa_user_sgpr_kernarg_segment_ptr 1
		.amdhsa_user_sgpr_dispatch_id 0
		.amdhsa_user_sgpr_private_segment_size 0
		.amdhsa_wavefront_size32 1
		.amdhsa_uses_dynamic_stack 0
		.amdhsa_enable_private_segment 0
		.amdhsa_system_sgpr_workgroup_id_x 1
		.amdhsa_system_sgpr_workgroup_id_y 0
		.amdhsa_system_sgpr_workgroup_id_z 0
		.amdhsa_system_sgpr_workgroup_info 0
		.amdhsa_system_vgpr_workitem_id 0
		.amdhsa_next_free_vgpr 1
		.amdhsa_next_free_sgpr 1
		.amdhsa_reserve_vcc 0
		.amdhsa_float_round_mode_32 0
		.amdhsa_float_round_mode_16_64 0
		.amdhsa_float_denorm_mode_32 3
		.amdhsa_float_denorm_mode_16_64 3
		.amdhsa_fp16_overflow 0
		.amdhsa_workgroup_processor_mode 1
		.amdhsa_memory_ordered 1
		.amdhsa_forward_progress 1
		.amdhsa_inst_pref_size 0
		.amdhsa_round_robin_scheduling 0
		.amdhsa_exception_fp_ieee_invalid_op 0
		.amdhsa_exception_fp_denorm_src 0
		.amdhsa_exception_fp_ieee_div_zero 0
		.amdhsa_exception_fp_ieee_overflow 0
		.amdhsa_exception_fp_ieee_underflow 0
		.amdhsa_exception_fp_ieee_inexact 0
		.amdhsa_exception_int_div_zero 0
	.end_amdhsa_kernel
	.section	.text._ZN7rocprim17ROCPRIM_400000_NS6detail17trampoline_kernelINS0_14default_configENS1_36segmented_radix_sort_config_selectorIflEEZNS1_25segmented_radix_sort_implIS3_Lb1EPKfPfPKlPlN2at6native12_GLOBAL__N_18offset_tEEE10hipError_tPvRmT1_PNSt15iterator_traitsISK_E10value_typeET2_T3_PNSL_ISQ_E10value_typeET4_jRbjT5_SW_jjP12ihipStream_tbEUlT_E2_NS1_11comp_targetILNS1_3genE0ELNS1_11target_archE4294967295ELNS1_3gpuE0ELNS1_3repE0EEENS1_30default_config_static_selectorELNS0_4arch9wavefront6targetE0EEEvSK_,"axG",@progbits,_ZN7rocprim17ROCPRIM_400000_NS6detail17trampoline_kernelINS0_14default_configENS1_36segmented_radix_sort_config_selectorIflEEZNS1_25segmented_radix_sort_implIS3_Lb1EPKfPfPKlPlN2at6native12_GLOBAL__N_18offset_tEEE10hipError_tPvRmT1_PNSt15iterator_traitsISK_E10value_typeET2_T3_PNSL_ISQ_E10value_typeET4_jRbjT5_SW_jjP12ihipStream_tbEUlT_E2_NS1_11comp_targetILNS1_3genE0ELNS1_11target_archE4294967295ELNS1_3gpuE0ELNS1_3repE0EEENS1_30default_config_static_selectorELNS0_4arch9wavefront6targetE0EEEvSK_,comdat
.Lfunc_end1355:
	.size	_ZN7rocprim17ROCPRIM_400000_NS6detail17trampoline_kernelINS0_14default_configENS1_36segmented_radix_sort_config_selectorIflEEZNS1_25segmented_radix_sort_implIS3_Lb1EPKfPfPKlPlN2at6native12_GLOBAL__N_18offset_tEEE10hipError_tPvRmT1_PNSt15iterator_traitsISK_E10value_typeET2_T3_PNSL_ISQ_E10value_typeET4_jRbjT5_SW_jjP12ihipStream_tbEUlT_E2_NS1_11comp_targetILNS1_3genE0ELNS1_11target_archE4294967295ELNS1_3gpuE0ELNS1_3repE0EEENS1_30default_config_static_selectorELNS0_4arch9wavefront6targetE0EEEvSK_, .Lfunc_end1355-_ZN7rocprim17ROCPRIM_400000_NS6detail17trampoline_kernelINS0_14default_configENS1_36segmented_radix_sort_config_selectorIflEEZNS1_25segmented_radix_sort_implIS3_Lb1EPKfPfPKlPlN2at6native12_GLOBAL__N_18offset_tEEE10hipError_tPvRmT1_PNSt15iterator_traitsISK_E10value_typeET2_T3_PNSL_ISQ_E10value_typeET4_jRbjT5_SW_jjP12ihipStream_tbEUlT_E2_NS1_11comp_targetILNS1_3genE0ELNS1_11target_archE4294967295ELNS1_3gpuE0ELNS1_3repE0EEENS1_30default_config_static_selectorELNS0_4arch9wavefront6targetE0EEEvSK_
                                        ; -- End function
	.set _ZN7rocprim17ROCPRIM_400000_NS6detail17trampoline_kernelINS0_14default_configENS1_36segmented_radix_sort_config_selectorIflEEZNS1_25segmented_radix_sort_implIS3_Lb1EPKfPfPKlPlN2at6native12_GLOBAL__N_18offset_tEEE10hipError_tPvRmT1_PNSt15iterator_traitsISK_E10value_typeET2_T3_PNSL_ISQ_E10value_typeET4_jRbjT5_SW_jjP12ihipStream_tbEUlT_E2_NS1_11comp_targetILNS1_3genE0ELNS1_11target_archE4294967295ELNS1_3gpuE0ELNS1_3repE0EEENS1_30default_config_static_selectorELNS0_4arch9wavefront6targetE0EEEvSK_.num_vgpr, 0
	.set _ZN7rocprim17ROCPRIM_400000_NS6detail17trampoline_kernelINS0_14default_configENS1_36segmented_radix_sort_config_selectorIflEEZNS1_25segmented_radix_sort_implIS3_Lb1EPKfPfPKlPlN2at6native12_GLOBAL__N_18offset_tEEE10hipError_tPvRmT1_PNSt15iterator_traitsISK_E10value_typeET2_T3_PNSL_ISQ_E10value_typeET4_jRbjT5_SW_jjP12ihipStream_tbEUlT_E2_NS1_11comp_targetILNS1_3genE0ELNS1_11target_archE4294967295ELNS1_3gpuE0ELNS1_3repE0EEENS1_30default_config_static_selectorELNS0_4arch9wavefront6targetE0EEEvSK_.num_agpr, 0
	.set _ZN7rocprim17ROCPRIM_400000_NS6detail17trampoline_kernelINS0_14default_configENS1_36segmented_radix_sort_config_selectorIflEEZNS1_25segmented_radix_sort_implIS3_Lb1EPKfPfPKlPlN2at6native12_GLOBAL__N_18offset_tEEE10hipError_tPvRmT1_PNSt15iterator_traitsISK_E10value_typeET2_T3_PNSL_ISQ_E10value_typeET4_jRbjT5_SW_jjP12ihipStream_tbEUlT_E2_NS1_11comp_targetILNS1_3genE0ELNS1_11target_archE4294967295ELNS1_3gpuE0ELNS1_3repE0EEENS1_30default_config_static_selectorELNS0_4arch9wavefront6targetE0EEEvSK_.numbered_sgpr, 0
	.set _ZN7rocprim17ROCPRIM_400000_NS6detail17trampoline_kernelINS0_14default_configENS1_36segmented_radix_sort_config_selectorIflEEZNS1_25segmented_radix_sort_implIS3_Lb1EPKfPfPKlPlN2at6native12_GLOBAL__N_18offset_tEEE10hipError_tPvRmT1_PNSt15iterator_traitsISK_E10value_typeET2_T3_PNSL_ISQ_E10value_typeET4_jRbjT5_SW_jjP12ihipStream_tbEUlT_E2_NS1_11comp_targetILNS1_3genE0ELNS1_11target_archE4294967295ELNS1_3gpuE0ELNS1_3repE0EEENS1_30default_config_static_selectorELNS0_4arch9wavefront6targetE0EEEvSK_.num_named_barrier, 0
	.set _ZN7rocprim17ROCPRIM_400000_NS6detail17trampoline_kernelINS0_14default_configENS1_36segmented_radix_sort_config_selectorIflEEZNS1_25segmented_radix_sort_implIS3_Lb1EPKfPfPKlPlN2at6native12_GLOBAL__N_18offset_tEEE10hipError_tPvRmT1_PNSt15iterator_traitsISK_E10value_typeET2_T3_PNSL_ISQ_E10value_typeET4_jRbjT5_SW_jjP12ihipStream_tbEUlT_E2_NS1_11comp_targetILNS1_3genE0ELNS1_11target_archE4294967295ELNS1_3gpuE0ELNS1_3repE0EEENS1_30default_config_static_selectorELNS0_4arch9wavefront6targetE0EEEvSK_.private_seg_size, 0
	.set _ZN7rocprim17ROCPRIM_400000_NS6detail17trampoline_kernelINS0_14default_configENS1_36segmented_radix_sort_config_selectorIflEEZNS1_25segmented_radix_sort_implIS3_Lb1EPKfPfPKlPlN2at6native12_GLOBAL__N_18offset_tEEE10hipError_tPvRmT1_PNSt15iterator_traitsISK_E10value_typeET2_T3_PNSL_ISQ_E10value_typeET4_jRbjT5_SW_jjP12ihipStream_tbEUlT_E2_NS1_11comp_targetILNS1_3genE0ELNS1_11target_archE4294967295ELNS1_3gpuE0ELNS1_3repE0EEENS1_30default_config_static_selectorELNS0_4arch9wavefront6targetE0EEEvSK_.uses_vcc, 0
	.set _ZN7rocprim17ROCPRIM_400000_NS6detail17trampoline_kernelINS0_14default_configENS1_36segmented_radix_sort_config_selectorIflEEZNS1_25segmented_radix_sort_implIS3_Lb1EPKfPfPKlPlN2at6native12_GLOBAL__N_18offset_tEEE10hipError_tPvRmT1_PNSt15iterator_traitsISK_E10value_typeET2_T3_PNSL_ISQ_E10value_typeET4_jRbjT5_SW_jjP12ihipStream_tbEUlT_E2_NS1_11comp_targetILNS1_3genE0ELNS1_11target_archE4294967295ELNS1_3gpuE0ELNS1_3repE0EEENS1_30default_config_static_selectorELNS0_4arch9wavefront6targetE0EEEvSK_.uses_flat_scratch, 0
	.set _ZN7rocprim17ROCPRIM_400000_NS6detail17trampoline_kernelINS0_14default_configENS1_36segmented_radix_sort_config_selectorIflEEZNS1_25segmented_radix_sort_implIS3_Lb1EPKfPfPKlPlN2at6native12_GLOBAL__N_18offset_tEEE10hipError_tPvRmT1_PNSt15iterator_traitsISK_E10value_typeET2_T3_PNSL_ISQ_E10value_typeET4_jRbjT5_SW_jjP12ihipStream_tbEUlT_E2_NS1_11comp_targetILNS1_3genE0ELNS1_11target_archE4294967295ELNS1_3gpuE0ELNS1_3repE0EEENS1_30default_config_static_selectorELNS0_4arch9wavefront6targetE0EEEvSK_.has_dyn_sized_stack, 0
	.set _ZN7rocprim17ROCPRIM_400000_NS6detail17trampoline_kernelINS0_14default_configENS1_36segmented_radix_sort_config_selectorIflEEZNS1_25segmented_radix_sort_implIS3_Lb1EPKfPfPKlPlN2at6native12_GLOBAL__N_18offset_tEEE10hipError_tPvRmT1_PNSt15iterator_traitsISK_E10value_typeET2_T3_PNSL_ISQ_E10value_typeET4_jRbjT5_SW_jjP12ihipStream_tbEUlT_E2_NS1_11comp_targetILNS1_3genE0ELNS1_11target_archE4294967295ELNS1_3gpuE0ELNS1_3repE0EEENS1_30default_config_static_selectorELNS0_4arch9wavefront6targetE0EEEvSK_.has_recursion, 0
	.set _ZN7rocprim17ROCPRIM_400000_NS6detail17trampoline_kernelINS0_14default_configENS1_36segmented_radix_sort_config_selectorIflEEZNS1_25segmented_radix_sort_implIS3_Lb1EPKfPfPKlPlN2at6native12_GLOBAL__N_18offset_tEEE10hipError_tPvRmT1_PNSt15iterator_traitsISK_E10value_typeET2_T3_PNSL_ISQ_E10value_typeET4_jRbjT5_SW_jjP12ihipStream_tbEUlT_E2_NS1_11comp_targetILNS1_3genE0ELNS1_11target_archE4294967295ELNS1_3gpuE0ELNS1_3repE0EEENS1_30default_config_static_selectorELNS0_4arch9wavefront6targetE0EEEvSK_.has_indirect_call, 0
	.section	.AMDGPU.csdata,"",@progbits
; Kernel info:
; codeLenInByte = 0
; TotalNumSgprs: 0
; NumVgprs: 0
; ScratchSize: 0
; MemoryBound: 0
; FloatMode: 240
; IeeeMode: 1
; LDSByteSize: 0 bytes/workgroup (compile time only)
; SGPRBlocks: 0
; VGPRBlocks: 0
; NumSGPRsForWavesPerEU: 1
; NumVGPRsForWavesPerEU: 1
; Occupancy: 16
; WaveLimiterHint : 0
; COMPUTE_PGM_RSRC2:SCRATCH_EN: 0
; COMPUTE_PGM_RSRC2:USER_SGPR: 2
; COMPUTE_PGM_RSRC2:TRAP_HANDLER: 0
; COMPUTE_PGM_RSRC2:TGID_X_EN: 1
; COMPUTE_PGM_RSRC2:TGID_Y_EN: 0
; COMPUTE_PGM_RSRC2:TGID_Z_EN: 0
; COMPUTE_PGM_RSRC2:TIDIG_COMP_CNT: 0
	.section	.text._ZN7rocprim17ROCPRIM_400000_NS6detail17trampoline_kernelINS0_14default_configENS1_36segmented_radix_sort_config_selectorIflEEZNS1_25segmented_radix_sort_implIS3_Lb1EPKfPfPKlPlN2at6native12_GLOBAL__N_18offset_tEEE10hipError_tPvRmT1_PNSt15iterator_traitsISK_E10value_typeET2_T3_PNSL_ISQ_E10value_typeET4_jRbjT5_SW_jjP12ihipStream_tbEUlT_E2_NS1_11comp_targetILNS1_3genE5ELNS1_11target_archE942ELNS1_3gpuE9ELNS1_3repE0EEENS1_30default_config_static_selectorELNS0_4arch9wavefront6targetE0EEEvSK_,"axG",@progbits,_ZN7rocprim17ROCPRIM_400000_NS6detail17trampoline_kernelINS0_14default_configENS1_36segmented_radix_sort_config_selectorIflEEZNS1_25segmented_radix_sort_implIS3_Lb1EPKfPfPKlPlN2at6native12_GLOBAL__N_18offset_tEEE10hipError_tPvRmT1_PNSt15iterator_traitsISK_E10value_typeET2_T3_PNSL_ISQ_E10value_typeET4_jRbjT5_SW_jjP12ihipStream_tbEUlT_E2_NS1_11comp_targetILNS1_3genE5ELNS1_11target_archE942ELNS1_3gpuE9ELNS1_3repE0EEENS1_30default_config_static_selectorELNS0_4arch9wavefront6targetE0EEEvSK_,comdat
	.globl	_ZN7rocprim17ROCPRIM_400000_NS6detail17trampoline_kernelINS0_14default_configENS1_36segmented_radix_sort_config_selectorIflEEZNS1_25segmented_radix_sort_implIS3_Lb1EPKfPfPKlPlN2at6native12_GLOBAL__N_18offset_tEEE10hipError_tPvRmT1_PNSt15iterator_traitsISK_E10value_typeET2_T3_PNSL_ISQ_E10value_typeET4_jRbjT5_SW_jjP12ihipStream_tbEUlT_E2_NS1_11comp_targetILNS1_3genE5ELNS1_11target_archE942ELNS1_3gpuE9ELNS1_3repE0EEENS1_30default_config_static_selectorELNS0_4arch9wavefront6targetE0EEEvSK_ ; -- Begin function _ZN7rocprim17ROCPRIM_400000_NS6detail17trampoline_kernelINS0_14default_configENS1_36segmented_radix_sort_config_selectorIflEEZNS1_25segmented_radix_sort_implIS3_Lb1EPKfPfPKlPlN2at6native12_GLOBAL__N_18offset_tEEE10hipError_tPvRmT1_PNSt15iterator_traitsISK_E10value_typeET2_T3_PNSL_ISQ_E10value_typeET4_jRbjT5_SW_jjP12ihipStream_tbEUlT_E2_NS1_11comp_targetILNS1_3genE5ELNS1_11target_archE942ELNS1_3gpuE9ELNS1_3repE0EEENS1_30default_config_static_selectorELNS0_4arch9wavefront6targetE0EEEvSK_
	.p2align	8
	.type	_ZN7rocprim17ROCPRIM_400000_NS6detail17trampoline_kernelINS0_14default_configENS1_36segmented_radix_sort_config_selectorIflEEZNS1_25segmented_radix_sort_implIS3_Lb1EPKfPfPKlPlN2at6native12_GLOBAL__N_18offset_tEEE10hipError_tPvRmT1_PNSt15iterator_traitsISK_E10value_typeET2_T3_PNSL_ISQ_E10value_typeET4_jRbjT5_SW_jjP12ihipStream_tbEUlT_E2_NS1_11comp_targetILNS1_3genE5ELNS1_11target_archE942ELNS1_3gpuE9ELNS1_3repE0EEENS1_30default_config_static_selectorELNS0_4arch9wavefront6targetE0EEEvSK_,@function
_ZN7rocprim17ROCPRIM_400000_NS6detail17trampoline_kernelINS0_14default_configENS1_36segmented_radix_sort_config_selectorIflEEZNS1_25segmented_radix_sort_implIS3_Lb1EPKfPfPKlPlN2at6native12_GLOBAL__N_18offset_tEEE10hipError_tPvRmT1_PNSt15iterator_traitsISK_E10value_typeET2_T3_PNSL_ISQ_E10value_typeET4_jRbjT5_SW_jjP12ihipStream_tbEUlT_E2_NS1_11comp_targetILNS1_3genE5ELNS1_11target_archE942ELNS1_3gpuE9ELNS1_3repE0EEENS1_30default_config_static_selectorELNS0_4arch9wavefront6targetE0EEEvSK_: ; @_ZN7rocprim17ROCPRIM_400000_NS6detail17trampoline_kernelINS0_14default_configENS1_36segmented_radix_sort_config_selectorIflEEZNS1_25segmented_radix_sort_implIS3_Lb1EPKfPfPKlPlN2at6native12_GLOBAL__N_18offset_tEEE10hipError_tPvRmT1_PNSt15iterator_traitsISK_E10value_typeET2_T3_PNSL_ISQ_E10value_typeET4_jRbjT5_SW_jjP12ihipStream_tbEUlT_E2_NS1_11comp_targetILNS1_3genE5ELNS1_11target_archE942ELNS1_3gpuE9ELNS1_3repE0EEENS1_30default_config_static_selectorELNS0_4arch9wavefront6targetE0EEEvSK_
; %bb.0:
	.section	.rodata,"a",@progbits
	.p2align	6, 0x0
	.amdhsa_kernel _ZN7rocprim17ROCPRIM_400000_NS6detail17trampoline_kernelINS0_14default_configENS1_36segmented_radix_sort_config_selectorIflEEZNS1_25segmented_radix_sort_implIS3_Lb1EPKfPfPKlPlN2at6native12_GLOBAL__N_18offset_tEEE10hipError_tPvRmT1_PNSt15iterator_traitsISK_E10value_typeET2_T3_PNSL_ISQ_E10value_typeET4_jRbjT5_SW_jjP12ihipStream_tbEUlT_E2_NS1_11comp_targetILNS1_3genE5ELNS1_11target_archE942ELNS1_3gpuE9ELNS1_3repE0EEENS1_30default_config_static_selectorELNS0_4arch9wavefront6targetE0EEEvSK_
		.amdhsa_group_segment_fixed_size 0
		.amdhsa_private_segment_fixed_size 0
		.amdhsa_kernarg_size 80
		.amdhsa_user_sgpr_count 2
		.amdhsa_user_sgpr_dispatch_ptr 0
		.amdhsa_user_sgpr_queue_ptr 0
		.amdhsa_user_sgpr_kernarg_segment_ptr 1
		.amdhsa_user_sgpr_dispatch_id 0
		.amdhsa_user_sgpr_private_segment_size 0
		.amdhsa_wavefront_size32 1
		.amdhsa_uses_dynamic_stack 0
		.amdhsa_enable_private_segment 0
		.amdhsa_system_sgpr_workgroup_id_x 1
		.amdhsa_system_sgpr_workgroup_id_y 0
		.amdhsa_system_sgpr_workgroup_id_z 0
		.amdhsa_system_sgpr_workgroup_info 0
		.amdhsa_system_vgpr_workitem_id 0
		.amdhsa_next_free_vgpr 1
		.amdhsa_next_free_sgpr 1
		.amdhsa_reserve_vcc 0
		.amdhsa_float_round_mode_32 0
		.amdhsa_float_round_mode_16_64 0
		.amdhsa_float_denorm_mode_32 3
		.amdhsa_float_denorm_mode_16_64 3
		.amdhsa_fp16_overflow 0
		.amdhsa_workgroup_processor_mode 1
		.amdhsa_memory_ordered 1
		.amdhsa_forward_progress 1
		.amdhsa_inst_pref_size 0
		.amdhsa_round_robin_scheduling 0
		.amdhsa_exception_fp_ieee_invalid_op 0
		.amdhsa_exception_fp_denorm_src 0
		.amdhsa_exception_fp_ieee_div_zero 0
		.amdhsa_exception_fp_ieee_overflow 0
		.amdhsa_exception_fp_ieee_underflow 0
		.amdhsa_exception_fp_ieee_inexact 0
		.amdhsa_exception_int_div_zero 0
	.end_amdhsa_kernel
	.section	.text._ZN7rocprim17ROCPRIM_400000_NS6detail17trampoline_kernelINS0_14default_configENS1_36segmented_radix_sort_config_selectorIflEEZNS1_25segmented_radix_sort_implIS3_Lb1EPKfPfPKlPlN2at6native12_GLOBAL__N_18offset_tEEE10hipError_tPvRmT1_PNSt15iterator_traitsISK_E10value_typeET2_T3_PNSL_ISQ_E10value_typeET4_jRbjT5_SW_jjP12ihipStream_tbEUlT_E2_NS1_11comp_targetILNS1_3genE5ELNS1_11target_archE942ELNS1_3gpuE9ELNS1_3repE0EEENS1_30default_config_static_selectorELNS0_4arch9wavefront6targetE0EEEvSK_,"axG",@progbits,_ZN7rocprim17ROCPRIM_400000_NS6detail17trampoline_kernelINS0_14default_configENS1_36segmented_radix_sort_config_selectorIflEEZNS1_25segmented_radix_sort_implIS3_Lb1EPKfPfPKlPlN2at6native12_GLOBAL__N_18offset_tEEE10hipError_tPvRmT1_PNSt15iterator_traitsISK_E10value_typeET2_T3_PNSL_ISQ_E10value_typeET4_jRbjT5_SW_jjP12ihipStream_tbEUlT_E2_NS1_11comp_targetILNS1_3genE5ELNS1_11target_archE942ELNS1_3gpuE9ELNS1_3repE0EEENS1_30default_config_static_selectorELNS0_4arch9wavefront6targetE0EEEvSK_,comdat
.Lfunc_end1356:
	.size	_ZN7rocprim17ROCPRIM_400000_NS6detail17trampoline_kernelINS0_14default_configENS1_36segmented_radix_sort_config_selectorIflEEZNS1_25segmented_radix_sort_implIS3_Lb1EPKfPfPKlPlN2at6native12_GLOBAL__N_18offset_tEEE10hipError_tPvRmT1_PNSt15iterator_traitsISK_E10value_typeET2_T3_PNSL_ISQ_E10value_typeET4_jRbjT5_SW_jjP12ihipStream_tbEUlT_E2_NS1_11comp_targetILNS1_3genE5ELNS1_11target_archE942ELNS1_3gpuE9ELNS1_3repE0EEENS1_30default_config_static_selectorELNS0_4arch9wavefront6targetE0EEEvSK_, .Lfunc_end1356-_ZN7rocprim17ROCPRIM_400000_NS6detail17trampoline_kernelINS0_14default_configENS1_36segmented_radix_sort_config_selectorIflEEZNS1_25segmented_radix_sort_implIS3_Lb1EPKfPfPKlPlN2at6native12_GLOBAL__N_18offset_tEEE10hipError_tPvRmT1_PNSt15iterator_traitsISK_E10value_typeET2_T3_PNSL_ISQ_E10value_typeET4_jRbjT5_SW_jjP12ihipStream_tbEUlT_E2_NS1_11comp_targetILNS1_3genE5ELNS1_11target_archE942ELNS1_3gpuE9ELNS1_3repE0EEENS1_30default_config_static_selectorELNS0_4arch9wavefront6targetE0EEEvSK_
                                        ; -- End function
	.set _ZN7rocprim17ROCPRIM_400000_NS6detail17trampoline_kernelINS0_14default_configENS1_36segmented_radix_sort_config_selectorIflEEZNS1_25segmented_radix_sort_implIS3_Lb1EPKfPfPKlPlN2at6native12_GLOBAL__N_18offset_tEEE10hipError_tPvRmT1_PNSt15iterator_traitsISK_E10value_typeET2_T3_PNSL_ISQ_E10value_typeET4_jRbjT5_SW_jjP12ihipStream_tbEUlT_E2_NS1_11comp_targetILNS1_3genE5ELNS1_11target_archE942ELNS1_3gpuE9ELNS1_3repE0EEENS1_30default_config_static_selectorELNS0_4arch9wavefront6targetE0EEEvSK_.num_vgpr, 0
	.set _ZN7rocprim17ROCPRIM_400000_NS6detail17trampoline_kernelINS0_14default_configENS1_36segmented_radix_sort_config_selectorIflEEZNS1_25segmented_radix_sort_implIS3_Lb1EPKfPfPKlPlN2at6native12_GLOBAL__N_18offset_tEEE10hipError_tPvRmT1_PNSt15iterator_traitsISK_E10value_typeET2_T3_PNSL_ISQ_E10value_typeET4_jRbjT5_SW_jjP12ihipStream_tbEUlT_E2_NS1_11comp_targetILNS1_3genE5ELNS1_11target_archE942ELNS1_3gpuE9ELNS1_3repE0EEENS1_30default_config_static_selectorELNS0_4arch9wavefront6targetE0EEEvSK_.num_agpr, 0
	.set _ZN7rocprim17ROCPRIM_400000_NS6detail17trampoline_kernelINS0_14default_configENS1_36segmented_radix_sort_config_selectorIflEEZNS1_25segmented_radix_sort_implIS3_Lb1EPKfPfPKlPlN2at6native12_GLOBAL__N_18offset_tEEE10hipError_tPvRmT1_PNSt15iterator_traitsISK_E10value_typeET2_T3_PNSL_ISQ_E10value_typeET4_jRbjT5_SW_jjP12ihipStream_tbEUlT_E2_NS1_11comp_targetILNS1_3genE5ELNS1_11target_archE942ELNS1_3gpuE9ELNS1_3repE0EEENS1_30default_config_static_selectorELNS0_4arch9wavefront6targetE0EEEvSK_.numbered_sgpr, 0
	.set _ZN7rocprim17ROCPRIM_400000_NS6detail17trampoline_kernelINS0_14default_configENS1_36segmented_radix_sort_config_selectorIflEEZNS1_25segmented_radix_sort_implIS3_Lb1EPKfPfPKlPlN2at6native12_GLOBAL__N_18offset_tEEE10hipError_tPvRmT1_PNSt15iterator_traitsISK_E10value_typeET2_T3_PNSL_ISQ_E10value_typeET4_jRbjT5_SW_jjP12ihipStream_tbEUlT_E2_NS1_11comp_targetILNS1_3genE5ELNS1_11target_archE942ELNS1_3gpuE9ELNS1_3repE0EEENS1_30default_config_static_selectorELNS0_4arch9wavefront6targetE0EEEvSK_.num_named_barrier, 0
	.set _ZN7rocprim17ROCPRIM_400000_NS6detail17trampoline_kernelINS0_14default_configENS1_36segmented_radix_sort_config_selectorIflEEZNS1_25segmented_radix_sort_implIS3_Lb1EPKfPfPKlPlN2at6native12_GLOBAL__N_18offset_tEEE10hipError_tPvRmT1_PNSt15iterator_traitsISK_E10value_typeET2_T3_PNSL_ISQ_E10value_typeET4_jRbjT5_SW_jjP12ihipStream_tbEUlT_E2_NS1_11comp_targetILNS1_3genE5ELNS1_11target_archE942ELNS1_3gpuE9ELNS1_3repE0EEENS1_30default_config_static_selectorELNS0_4arch9wavefront6targetE0EEEvSK_.private_seg_size, 0
	.set _ZN7rocprim17ROCPRIM_400000_NS6detail17trampoline_kernelINS0_14default_configENS1_36segmented_radix_sort_config_selectorIflEEZNS1_25segmented_radix_sort_implIS3_Lb1EPKfPfPKlPlN2at6native12_GLOBAL__N_18offset_tEEE10hipError_tPvRmT1_PNSt15iterator_traitsISK_E10value_typeET2_T3_PNSL_ISQ_E10value_typeET4_jRbjT5_SW_jjP12ihipStream_tbEUlT_E2_NS1_11comp_targetILNS1_3genE5ELNS1_11target_archE942ELNS1_3gpuE9ELNS1_3repE0EEENS1_30default_config_static_selectorELNS0_4arch9wavefront6targetE0EEEvSK_.uses_vcc, 0
	.set _ZN7rocprim17ROCPRIM_400000_NS6detail17trampoline_kernelINS0_14default_configENS1_36segmented_radix_sort_config_selectorIflEEZNS1_25segmented_radix_sort_implIS3_Lb1EPKfPfPKlPlN2at6native12_GLOBAL__N_18offset_tEEE10hipError_tPvRmT1_PNSt15iterator_traitsISK_E10value_typeET2_T3_PNSL_ISQ_E10value_typeET4_jRbjT5_SW_jjP12ihipStream_tbEUlT_E2_NS1_11comp_targetILNS1_3genE5ELNS1_11target_archE942ELNS1_3gpuE9ELNS1_3repE0EEENS1_30default_config_static_selectorELNS0_4arch9wavefront6targetE0EEEvSK_.uses_flat_scratch, 0
	.set _ZN7rocprim17ROCPRIM_400000_NS6detail17trampoline_kernelINS0_14default_configENS1_36segmented_radix_sort_config_selectorIflEEZNS1_25segmented_radix_sort_implIS3_Lb1EPKfPfPKlPlN2at6native12_GLOBAL__N_18offset_tEEE10hipError_tPvRmT1_PNSt15iterator_traitsISK_E10value_typeET2_T3_PNSL_ISQ_E10value_typeET4_jRbjT5_SW_jjP12ihipStream_tbEUlT_E2_NS1_11comp_targetILNS1_3genE5ELNS1_11target_archE942ELNS1_3gpuE9ELNS1_3repE0EEENS1_30default_config_static_selectorELNS0_4arch9wavefront6targetE0EEEvSK_.has_dyn_sized_stack, 0
	.set _ZN7rocprim17ROCPRIM_400000_NS6detail17trampoline_kernelINS0_14default_configENS1_36segmented_radix_sort_config_selectorIflEEZNS1_25segmented_radix_sort_implIS3_Lb1EPKfPfPKlPlN2at6native12_GLOBAL__N_18offset_tEEE10hipError_tPvRmT1_PNSt15iterator_traitsISK_E10value_typeET2_T3_PNSL_ISQ_E10value_typeET4_jRbjT5_SW_jjP12ihipStream_tbEUlT_E2_NS1_11comp_targetILNS1_3genE5ELNS1_11target_archE942ELNS1_3gpuE9ELNS1_3repE0EEENS1_30default_config_static_selectorELNS0_4arch9wavefront6targetE0EEEvSK_.has_recursion, 0
	.set _ZN7rocprim17ROCPRIM_400000_NS6detail17trampoline_kernelINS0_14default_configENS1_36segmented_radix_sort_config_selectorIflEEZNS1_25segmented_radix_sort_implIS3_Lb1EPKfPfPKlPlN2at6native12_GLOBAL__N_18offset_tEEE10hipError_tPvRmT1_PNSt15iterator_traitsISK_E10value_typeET2_T3_PNSL_ISQ_E10value_typeET4_jRbjT5_SW_jjP12ihipStream_tbEUlT_E2_NS1_11comp_targetILNS1_3genE5ELNS1_11target_archE942ELNS1_3gpuE9ELNS1_3repE0EEENS1_30default_config_static_selectorELNS0_4arch9wavefront6targetE0EEEvSK_.has_indirect_call, 0
	.section	.AMDGPU.csdata,"",@progbits
; Kernel info:
; codeLenInByte = 0
; TotalNumSgprs: 0
; NumVgprs: 0
; ScratchSize: 0
; MemoryBound: 0
; FloatMode: 240
; IeeeMode: 1
; LDSByteSize: 0 bytes/workgroup (compile time only)
; SGPRBlocks: 0
; VGPRBlocks: 0
; NumSGPRsForWavesPerEU: 1
; NumVGPRsForWavesPerEU: 1
; Occupancy: 16
; WaveLimiterHint : 0
; COMPUTE_PGM_RSRC2:SCRATCH_EN: 0
; COMPUTE_PGM_RSRC2:USER_SGPR: 2
; COMPUTE_PGM_RSRC2:TRAP_HANDLER: 0
; COMPUTE_PGM_RSRC2:TGID_X_EN: 1
; COMPUTE_PGM_RSRC2:TGID_Y_EN: 0
; COMPUTE_PGM_RSRC2:TGID_Z_EN: 0
; COMPUTE_PGM_RSRC2:TIDIG_COMP_CNT: 0
	.section	.text._ZN7rocprim17ROCPRIM_400000_NS6detail17trampoline_kernelINS0_14default_configENS1_36segmented_radix_sort_config_selectorIflEEZNS1_25segmented_radix_sort_implIS3_Lb1EPKfPfPKlPlN2at6native12_GLOBAL__N_18offset_tEEE10hipError_tPvRmT1_PNSt15iterator_traitsISK_E10value_typeET2_T3_PNSL_ISQ_E10value_typeET4_jRbjT5_SW_jjP12ihipStream_tbEUlT_E2_NS1_11comp_targetILNS1_3genE4ELNS1_11target_archE910ELNS1_3gpuE8ELNS1_3repE0EEENS1_30default_config_static_selectorELNS0_4arch9wavefront6targetE0EEEvSK_,"axG",@progbits,_ZN7rocprim17ROCPRIM_400000_NS6detail17trampoline_kernelINS0_14default_configENS1_36segmented_radix_sort_config_selectorIflEEZNS1_25segmented_radix_sort_implIS3_Lb1EPKfPfPKlPlN2at6native12_GLOBAL__N_18offset_tEEE10hipError_tPvRmT1_PNSt15iterator_traitsISK_E10value_typeET2_T3_PNSL_ISQ_E10value_typeET4_jRbjT5_SW_jjP12ihipStream_tbEUlT_E2_NS1_11comp_targetILNS1_3genE4ELNS1_11target_archE910ELNS1_3gpuE8ELNS1_3repE0EEENS1_30default_config_static_selectorELNS0_4arch9wavefront6targetE0EEEvSK_,comdat
	.globl	_ZN7rocprim17ROCPRIM_400000_NS6detail17trampoline_kernelINS0_14default_configENS1_36segmented_radix_sort_config_selectorIflEEZNS1_25segmented_radix_sort_implIS3_Lb1EPKfPfPKlPlN2at6native12_GLOBAL__N_18offset_tEEE10hipError_tPvRmT1_PNSt15iterator_traitsISK_E10value_typeET2_T3_PNSL_ISQ_E10value_typeET4_jRbjT5_SW_jjP12ihipStream_tbEUlT_E2_NS1_11comp_targetILNS1_3genE4ELNS1_11target_archE910ELNS1_3gpuE8ELNS1_3repE0EEENS1_30default_config_static_selectorELNS0_4arch9wavefront6targetE0EEEvSK_ ; -- Begin function _ZN7rocprim17ROCPRIM_400000_NS6detail17trampoline_kernelINS0_14default_configENS1_36segmented_radix_sort_config_selectorIflEEZNS1_25segmented_radix_sort_implIS3_Lb1EPKfPfPKlPlN2at6native12_GLOBAL__N_18offset_tEEE10hipError_tPvRmT1_PNSt15iterator_traitsISK_E10value_typeET2_T3_PNSL_ISQ_E10value_typeET4_jRbjT5_SW_jjP12ihipStream_tbEUlT_E2_NS1_11comp_targetILNS1_3genE4ELNS1_11target_archE910ELNS1_3gpuE8ELNS1_3repE0EEENS1_30default_config_static_selectorELNS0_4arch9wavefront6targetE0EEEvSK_
	.p2align	8
	.type	_ZN7rocprim17ROCPRIM_400000_NS6detail17trampoline_kernelINS0_14default_configENS1_36segmented_radix_sort_config_selectorIflEEZNS1_25segmented_radix_sort_implIS3_Lb1EPKfPfPKlPlN2at6native12_GLOBAL__N_18offset_tEEE10hipError_tPvRmT1_PNSt15iterator_traitsISK_E10value_typeET2_T3_PNSL_ISQ_E10value_typeET4_jRbjT5_SW_jjP12ihipStream_tbEUlT_E2_NS1_11comp_targetILNS1_3genE4ELNS1_11target_archE910ELNS1_3gpuE8ELNS1_3repE0EEENS1_30default_config_static_selectorELNS0_4arch9wavefront6targetE0EEEvSK_,@function
_ZN7rocprim17ROCPRIM_400000_NS6detail17trampoline_kernelINS0_14default_configENS1_36segmented_radix_sort_config_selectorIflEEZNS1_25segmented_radix_sort_implIS3_Lb1EPKfPfPKlPlN2at6native12_GLOBAL__N_18offset_tEEE10hipError_tPvRmT1_PNSt15iterator_traitsISK_E10value_typeET2_T3_PNSL_ISQ_E10value_typeET4_jRbjT5_SW_jjP12ihipStream_tbEUlT_E2_NS1_11comp_targetILNS1_3genE4ELNS1_11target_archE910ELNS1_3gpuE8ELNS1_3repE0EEENS1_30default_config_static_selectorELNS0_4arch9wavefront6targetE0EEEvSK_: ; @_ZN7rocprim17ROCPRIM_400000_NS6detail17trampoline_kernelINS0_14default_configENS1_36segmented_radix_sort_config_selectorIflEEZNS1_25segmented_radix_sort_implIS3_Lb1EPKfPfPKlPlN2at6native12_GLOBAL__N_18offset_tEEE10hipError_tPvRmT1_PNSt15iterator_traitsISK_E10value_typeET2_T3_PNSL_ISQ_E10value_typeET4_jRbjT5_SW_jjP12ihipStream_tbEUlT_E2_NS1_11comp_targetILNS1_3genE4ELNS1_11target_archE910ELNS1_3gpuE8ELNS1_3repE0EEENS1_30default_config_static_selectorELNS0_4arch9wavefront6targetE0EEEvSK_
; %bb.0:
	.section	.rodata,"a",@progbits
	.p2align	6, 0x0
	.amdhsa_kernel _ZN7rocprim17ROCPRIM_400000_NS6detail17trampoline_kernelINS0_14default_configENS1_36segmented_radix_sort_config_selectorIflEEZNS1_25segmented_radix_sort_implIS3_Lb1EPKfPfPKlPlN2at6native12_GLOBAL__N_18offset_tEEE10hipError_tPvRmT1_PNSt15iterator_traitsISK_E10value_typeET2_T3_PNSL_ISQ_E10value_typeET4_jRbjT5_SW_jjP12ihipStream_tbEUlT_E2_NS1_11comp_targetILNS1_3genE4ELNS1_11target_archE910ELNS1_3gpuE8ELNS1_3repE0EEENS1_30default_config_static_selectorELNS0_4arch9wavefront6targetE0EEEvSK_
		.amdhsa_group_segment_fixed_size 0
		.amdhsa_private_segment_fixed_size 0
		.amdhsa_kernarg_size 80
		.amdhsa_user_sgpr_count 2
		.amdhsa_user_sgpr_dispatch_ptr 0
		.amdhsa_user_sgpr_queue_ptr 0
		.amdhsa_user_sgpr_kernarg_segment_ptr 1
		.amdhsa_user_sgpr_dispatch_id 0
		.amdhsa_user_sgpr_private_segment_size 0
		.amdhsa_wavefront_size32 1
		.amdhsa_uses_dynamic_stack 0
		.amdhsa_enable_private_segment 0
		.amdhsa_system_sgpr_workgroup_id_x 1
		.amdhsa_system_sgpr_workgroup_id_y 0
		.amdhsa_system_sgpr_workgroup_id_z 0
		.amdhsa_system_sgpr_workgroup_info 0
		.amdhsa_system_vgpr_workitem_id 0
		.amdhsa_next_free_vgpr 1
		.amdhsa_next_free_sgpr 1
		.amdhsa_reserve_vcc 0
		.amdhsa_float_round_mode_32 0
		.amdhsa_float_round_mode_16_64 0
		.amdhsa_float_denorm_mode_32 3
		.amdhsa_float_denorm_mode_16_64 3
		.amdhsa_fp16_overflow 0
		.amdhsa_workgroup_processor_mode 1
		.amdhsa_memory_ordered 1
		.amdhsa_forward_progress 1
		.amdhsa_inst_pref_size 0
		.amdhsa_round_robin_scheduling 0
		.amdhsa_exception_fp_ieee_invalid_op 0
		.amdhsa_exception_fp_denorm_src 0
		.amdhsa_exception_fp_ieee_div_zero 0
		.amdhsa_exception_fp_ieee_overflow 0
		.amdhsa_exception_fp_ieee_underflow 0
		.amdhsa_exception_fp_ieee_inexact 0
		.amdhsa_exception_int_div_zero 0
	.end_amdhsa_kernel
	.section	.text._ZN7rocprim17ROCPRIM_400000_NS6detail17trampoline_kernelINS0_14default_configENS1_36segmented_radix_sort_config_selectorIflEEZNS1_25segmented_radix_sort_implIS3_Lb1EPKfPfPKlPlN2at6native12_GLOBAL__N_18offset_tEEE10hipError_tPvRmT1_PNSt15iterator_traitsISK_E10value_typeET2_T3_PNSL_ISQ_E10value_typeET4_jRbjT5_SW_jjP12ihipStream_tbEUlT_E2_NS1_11comp_targetILNS1_3genE4ELNS1_11target_archE910ELNS1_3gpuE8ELNS1_3repE0EEENS1_30default_config_static_selectorELNS0_4arch9wavefront6targetE0EEEvSK_,"axG",@progbits,_ZN7rocprim17ROCPRIM_400000_NS6detail17trampoline_kernelINS0_14default_configENS1_36segmented_radix_sort_config_selectorIflEEZNS1_25segmented_radix_sort_implIS3_Lb1EPKfPfPKlPlN2at6native12_GLOBAL__N_18offset_tEEE10hipError_tPvRmT1_PNSt15iterator_traitsISK_E10value_typeET2_T3_PNSL_ISQ_E10value_typeET4_jRbjT5_SW_jjP12ihipStream_tbEUlT_E2_NS1_11comp_targetILNS1_3genE4ELNS1_11target_archE910ELNS1_3gpuE8ELNS1_3repE0EEENS1_30default_config_static_selectorELNS0_4arch9wavefront6targetE0EEEvSK_,comdat
.Lfunc_end1357:
	.size	_ZN7rocprim17ROCPRIM_400000_NS6detail17trampoline_kernelINS0_14default_configENS1_36segmented_radix_sort_config_selectorIflEEZNS1_25segmented_radix_sort_implIS3_Lb1EPKfPfPKlPlN2at6native12_GLOBAL__N_18offset_tEEE10hipError_tPvRmT1_PNSt15iterator_traitsISK_E10value_typeET2_T3_PNSL_ISQ_E10value_typeET4_jRbjT5_SW_jjP12ihipStream_tbEUlT_E2_NS1_11comp_targetILNS1_3genE4ELNS1_11target_archE910ELNS1_3gpuE8ELNS1_3repE0EEENS1_30default_config_static_selectorELNS0_4arch9wavefront6targetE0EEEvSK_, .Lfunc_end1357-_ZN7rocprim17ROCPRIM_400000_NS6detail17trampoline_kernelINS0_14default_configENS1_36segmented_radix_sort_config_selectorIflEEZNS1_25segmented_radix_sort_implIS3_Lb1EPKfPfPKlPlN2at6native12_GLOBAL__N_18offset_tEEE10hipError_tPvRmT1_PNSt15iterator_traitsISK_E10value_typeET2_T3_PNSL_ISQ_E10value_typeET4_jRbjT5_SW_jjP12ihipStream_tbEUlT_E2_NS1_11comp_targetILNS1_3genE4ELNS1_11target_archE910ELNS1_3gpuE8ELNS1_3repE0EEENS1_30default_config_static_selectorELNS0_4arch9wavefront6targetE0EEEvSK_
                                        ; -- End function
	.set _ZN7rocprim17ROCPRIM_400000_NS6detail17trampoline_kernelINS0_14default_configENS1_36segmented_radix_sort_config_selectorIflEEZNS1_25segmented_radix_sort_implIS3_Lb1EPKfPfPKlPlN2at6native12_GLOBAL__N_18offset_tEEE10hipError_tPvRmT1_PNSt15iterator_traitsISK_E10value_typeET2_T3_PNSL_ISQ_E10value_typeET4_jRbjT5_SW_jjP12ihipStream_tbEUlT_E2_NS1_11comp_targetILNS1_3genE4ELNS1_11target_archE910ELNS1_3gpuE8ELNS1_3repE0EEENS1_30default_config_static_selectorELNS0_4arch9wavefront6targetE0EEEvSK_.num_vgpr, 0
	.set _ZN7rocprim17ROCPRIM_400000_NS6detail17trampoline_kernelINS0_14default_configENS1_36segmented_radix_sort_config_selectorIflEEZNS1_25segmented_radix_sort_implIS3_Lb1EPKfPfPKlPlN2at6native12_GLOBAL__N_18offset_tEEE10hipError_tPvRmT1_PNSt15iterator_traitsISK_E10value_typeET2_T3_PNSL_ISQ_E10value_typeET4_jRbjT5_SW_jjP12ihipStream_tbEUlT_E2_NS1_11comp_targetILNS1_3genE4ELNS1_11target_archE910ELNS1_3gpuE8ELNS1_3repE0EEENS1_30default_config_static_selectorELNS0_4arch9wavefront6targetE0EEEvSK_.num_agpr, 0
	.set _ZN7rocprim17ROCPRIM_400000_NS6detail17trampoline_kernelINS0_14default_configENS1_36segmented_radix_sort_config_selectorIflEEZNS1_25segmented_radix_sort_implIS3_Lb1EPKfPfPKlPlN2at6native12_GLOBAL__N_18offset_tEEE10hipError_tPvRmT1_PNSt15iterator_traitsISK_E10value_typeET2_T3_PNSL_ISQ_E10value_typeET4_jRbjT5_SW_jjP12ihipStream_tbEUlT_E2_NS1_11comp_targetILNS1_3genE4ELNS1_11target_archE910ELNS1_3gpuE8ELNS1_3repE0EEENS1_30default_config_static_selectorELNS0_4arch9wavefront6targetE0EEEvSK_.numbered_sgpr, 0
	.set _ZN7rocprim17ROCPRIM_400000_NS6detail17trampoline_kernelINS0_14default_configENS1_36segmented_radix_sort_config_selectorIflEEZNS1_25segmented_radix_sort_implIS3_Lb1EPKfPfPKlPlN2at6native12_GLOBAL__N_18offset_tEEE10hipError_tPvRmT1_PNSt15iterator_traitsISK_E10value_typeET2_T3_PNSL_ISQ_E10value_typeET4_jRbjT5_SW_jjP12ihipStream_tbEUlT_E2_NS1_11comp_targetILNS1_3genE4ELNS1_11target_archE910ELNS1_3gpuE8ELNS1_3repE0EEENS1_30default_config_static_selectorELNS0_4arch9wavefront6targetE0EEEvSK_.num_named_barrier, 0
	.set _ZN7rocprim17ROCPRIM_400000_NS6detail17trampoline_kernelINS0_14default_configENS1_36segmented_radix_sort_config_selectorIflEEZNS1_25segmented_radix_sort_implIS3_Lb1EPKfPfPKlPlN2at6native12_GLOBAL__N_18offset_tEEE10hipError_tPvRmT1_PNSt15iterator_traitsISK_E10value_typeET2_T3_PNSL_ISQ_E10value_typeET4_jRbjT5_SW_jjP12ihipStream_tbEUlT_E2_NS1_11comp_targetILNS1_3genE4ELNS1_11target_archE910ELNS1_3gpuE8ELNS1_3repE0EEENS1_30default_config_static_selectorELNS0_4arch9wavefront6targetE0EEEvSK_.private_seg_size, 0
	.set _ZN7rocprim17ROCPRIM_400000_NS6detail17trampoline_kernelINS0_14default_configENS1_36segmented_radix_sort_config_selectorIflEEZNS1_25segmented_radix_sort_implIS3_Lb1EPKfPfPKlPlN2at6native12_GLOBAL__N_18offset_tEEE10hipError_tPvRmT1_PNSt15iterator_traitsISK_E10value_typeET2_T3_PNSL_ISQ_E10value_typeET4_jRbjT5_SW_jjP12ihipStream_tbEUlT_E2_NS1_11comp_targetILNS1_3genE4ELNS1_11target_archE910ELNS1_3gpuE8ELNS1_3repE0EEENS1_30default_config_static_selectorELNS0_4arch9wavefront6targetE0EEEvSK_.uses_vcc, 0
	.set _ZN7rocprim17ROCPRIM_400000_NS6detail17trampoline_kernelINS0_14default_configENS1_36segmented_radix_sort_config_selectorIflEEZNS1_25segmented_radix_sort_implIS3_Lb1EPKfPfPKlPlN2at6native12_GLOBAL__N_18offset_tEEE10hipError_tPvRmT1_PNSt15iterator_traitsISK_E10value_typeET2_T3_PNSL_ISQ_E10value_typeET4_jRbjT5_SW_jjP12ihipStream_tbEUlT_E2_NS1_11comp_targetILNS1_3genE4ELNS1_11target_archE910ELNS1_3gpuE8ELNS1_3repE0EEENS1_30default_config_static_selectorELNS0_4arch9wavefront6targetE0EEEvSK_.uses_flat_scratch, 0
	.set _ZN7rocprim17ROCPRIM_400000_NS6detail17trampoline_kernelINS0_14default_configENS1_36segmented_radix_sort_config_selectorIflEEZNS1_25segmented_radix_sort_implIS3_Lb1EPKfPfPKlPlN2at6native12_GLOBAL__N_18offset_tEEE10hipError_tPvRmT1_PNSt15iterator_traitsISK_E10value_typeET2_T3_PNSL_ISQ_E10value_typeET4_jRbjT5_SW_jjP12ihipStream_tbEUlT_E2_NS1_11comp_targetILNS1_3genE4ELNS1_11target_archE910ELNS1_3gpuE8ELNS1_3repE0EEENS1_30default_config_static_selectorELNS0_4arch9wavefront6targetE0EEEvSK_.has_dyn_sized_stack, 0
	.set _ZN7rocprim17ROCPRIM_400000_NS6detail17trampoline_kernelINS0_14default_configENS1_36segmented_radix_sort_config_selectorIflEEZNS1_25segmented_radix_sort_implIS3_Lb1EPKfPfPKlPlN2at6native12_GLOBAL__N_18offset_tEEE10hipError_tPvRmT1_PNSt15iterator_traitsISK_E10value_typeET2_T3_PNSL_ISQ_E10value_typeET4_jRbjT5_SW_jjP12ihipStream_tbEUlT_E2_NS1_11comp_targetILNS1_3genE4ELNS1_11target_archE910ELNS1_3gpuE8ELNS1_3repE0EEENS1_30default_config_static_selectorELNS0_4arch9wavefront6targetE0EEEvSK_.has_recursion, 0
	.set _ZN7rocprim17ROCPRIM_400000_NS6detail17trampoline_kernelINS0_14default_configENS1_36segmented_radix_sort_config_selectorIflEEZNS1_25segmented_radix_sort_implIS3_Lb1EPKfPfPKlPlN2at6native12_GLOBAL__N_18offset_tEEE10hipError_tPvRmT1_PNSt15iterator_traitsISK_E10value_typeET2_T3_PNSL_ISQ_E10value_typeET4_jRbjT5_SW_jjP12ihipStream_tbEUlT_E2_NS1_11comp_targetILNS1_3genE4ELNS1_11target_archE910ELNS1_3gpuE8ELNS1_3repE0EEENS1_30default_config_static_selectorELNS0_4arch9wavefront6targetE0EEEvSK_.has_indirect_call, 0
	.section	.AMDGPU.csdata,"",@progbits
; Kernel info:
; codeLenInByte = 0
; TotalNumSgprs: 0
; NumVgprs: 0
; ScratchSize: 0
; MemoryBound: 0
; FloatMode: 240
; IeeeMode: 1
; LDSByteSize: 0 bytes/workgroup (compile time only)
; SGPRBlocks: 0
; VGPRBlocks: 0
; NumSGPRsForWavesPerEU: 1
; NumVGPRsForWavesPerEU: 1
; Occupancy: 16
; WaveLimiterHint : 0
; COMPUTE_PGM_RSRC2:SCRATCH_EN: 0
; COMPUTE_PGM_RSRC2:USER_SGPR: 2
; COMPUTE_PGM_RSRC2:TRAP_HANDLER: 0
; COMPUTE_PGM_RSRC2:TGID_X_EN: 1
; COMPUTE_PGM_RSRC2:TGID_Y_EN: 0
; COMPUTE_PGM_RSRC2:TGID_Z_EN: 0
; COMPUTE_PGM_RSRC2:TIDIG_COMP_CNT: 0
	.section	.text._ZN7rocprim17ROCPRIM_400000_NS6detail17trampoline_kernelINS0_14default_configENS1_36segmented_radix_sort_config_selectorIflEEZNS1_25segmented_radix_sort_implIS3_Lb1EPKfPfPKlPlN2at6native12_GLOBAL__N_18offset_tEEE10hipError_tPvRmT1_PNSt15iterator_traitsISK_E10value_typeET2_T3_PNSL_ISQ_E10value_typeET4_jRbjT5_SW_jjP12ihipStream_tbEUlT_E2_NS1_11comp_targetILNS1_3genE3ELNS1_11target_archE908ELNS1_3gpuE7ELNS1_3repE0EEENS1_30default_config_static_selectorELNS0_4arch9wavefront6targetE0EEEvSK_,"axG",@progbits,_ZN7rocprim17ROCPRIM_400000_NS6detail17trampoline_kernelINS0_14default_configENS1_36segmented_radix_sort_config_selectorIflEEZNS1_25segmented_radix_sort_implIS3_Lb1EPKfPfPKlPlN2at6native12_GLOBAL__N_18offset_tEEE10hipError_tPvRmT1_PNSt15iterator_traitsISK_E10value_typeET2_T3_PNSL_ISQ_E10value_typeET4_jRbjT5_SW_jjP12ihipStream_tbEUlT_E2_NS1_11comp_targetILNS1_3genE3ELNS1_11target_archE908ELNS1_3gpuE7ELNS1_3repE0EEENS1_30default_config_static_selectorELNS0_4arch9wavefront6targetE0EEEvSK_,comdat
	.globl	_ZN7rocprim17ROCPRIM_400000_NS6detail17trampoline_kernelINS0_14default_configENS1_36segmented_radix_sort_config_selectorIflEEZNS1_25segmented_radix_sort_implIS3_Lb1EPKfPfPKlPlN2at6native12_GLOBAL__N_18offset_tEEE10hipError_tPvRmT1_PNSt15iterator_traitsISK_E10value_typeET2_T3_PNSL_ISQ_E10value_typeET4_jRbjT5_SW_jjP12ihipStream_tbEUlT_E2_NS1_11comp_targetILNS1_3genE3ELNS1_11target_archE908ELNS1_3gpuE7ELNS1_3repE0EEENS1_30default_config_static_selectorELNS0_4arch9wavefront6targetE0EEEvSK_ ; -- Begin function _ZN7rocprim17ROCPRIM_400000_NS6detail17trampoline_kernelINS0_14default_configENS1_36segmented_radix_sort_config_selectorIflEEZNS1_25segmented_radix_sort_implIS3_Lb1EPKfPfPKlPlN2at6native12_GLOBAL__N_18offset_tEEE10hipError_tPvRmT1_PNSt15iterator_traitsISK_E10value_typeET2_T3_PNSL_ISQ_E10value_typeET4_jRbjT5_SW_jjP12ihipStream_tbEUlT_E2_NS1_11comp_targetILNS1_3genE3ELNS1_11target_archE908ELNS1_3gpuE7ELNS1_3repE0EEENS1_30default_config_static_selectorELNS0_4arch9wavefront6targetE0EEEvSK_
	.p2align	8
	.type	_ZN7rocprim17ROCPRIM_400000_NS6detail17trampoline_kernelINS0_14default_configENS1_36segmented_radix_sort_config_selectorIflEEZNS1_25segmented_radix_sort_implIS3_Lb1EPKfPfPKlPlN2at6native12_GLOBAL__N_18offset_tEEE10hipError_tPvRmT1_PNSt15iterator_traitsISK_E10value_typeET2_T3_PNSL_ISQ_E10value_typeET4_jRbjT5_SW_jjP12ihipStream_tbEUlT_E2_NS1_11comp_targetILNS1_3genE3ELNS1_11target_archE908ELNS1_3gpuE7ELNS1_3repE0EEENS1_30default_config_static_selectorELNS0_4arch9wavefront6targetE0EEEvSK_,@function
_ZN7rocprim17ROCPRIM_400000_NS6detail17trampoline_kernelINS0_14default_configENS1_36segmented_radix_sort_config_selectorIflEEZNS1_25segmented_radix_sort_implIS3_Lb1EPKfPfPKlPlN2at6native12_GLOBAL__N_18offset_tEEE10hipError_tPvRmT1_PNSt15iterator_traitsISK_E10value_typeET2_T3_PNSL_ISQ_E10value_typeET4_jRbjT5_SW_jjP12ihipStream_tbEUlT_E2_NS1_11comp_targetILNS1_3genE3ELNS1_11target_archE908ELNS1_3gpuE7ELNS1_3repE0EEENS1_30default_config_static_selectorELNS0_4arch9wavefront6targetE0EEEvSK_: ; @_ZN7rocprim17ROCPRIM_400000_NS6detail17trampoline_kernelINS0_14default_configENS1_36segmented_radix_sort_config_selectorIflEEZNS1_25segmented_radix_sort_implIS3_Lb1EPKfPfPKlPlN2at6native12_GLOBAL__N_18offset_tEEE10hipError_tPvRmT1_PNSt15iterator_traitsISK_E10value_typeET2_T3_PNSL_ISQ_E10value_typeET4_jRbjT5_SW_jjP12ihipStream_tbEUlT_E2_NS1_11comp_targetILNS1_3genE3ELNS1_11target_archE908ELNS1_3gpuE7ELNS1_3repE0EEENS1_30default_config_static_selectorELNS0_4arch9wavefront6targetE0EEEvSK_
; %bb.0:
	.section	.rodata,"a",@progbits
	.p2align	6, 0x0
	.amdhsa_kernel _ZN7rocprim17ROCPRIM_400000_NS6detail17trampoline_kernelINS0_14default_configENS1_36segmented_radix_sort_config_selectorIflEEZNS1_25segmented_radix_sort_implIS3_Lb1EPKfPfPKlPlN2at6native12_GLOBAL__N_18offset_tEEE10hipError_tPvRmT1_PNSt15iterator_traitsISK_E10value_typeET2_T3_PNSL_ISQ_E10value_typeET4_jRbjT5_SW_jjP12ihipStream_tbEUlT_E2_NS1_11comp_targetILNS1_3genE3ELNS1_11target_archE908ELNS1_3gpuE7ELNS1_3repE0EEENS1_30default_config_static_selectorELNS0_4arch9wavefront6targetE0EEEvSK_
		.amdhsa_group_segment_fixed_size 0
		.amdhsa_private_segment_fixed_size 0
		.amdhsa_kernarg_size 80
		.amdhsa_user_sgpr_count 2
		.amdhsa_user_sgpr_dispatch_ptr 0
		.amdhsa_user_sgpr_queue_ptr 0
		.amdhsa_user_sgpr_kernarg_segment_ptr 1
		.amdhsa_user_sgpr_dispatch_id 0
		.amdhsa_user_sgpr_private_segment_size 0
		.amdhsa_wavefront_size32 1
		.amdhsa_uses_dynamic_stack 0
		.amdhsa_enable_private_segment 0
		.amdhsa_system_sgpr_workgroup_id_x 1
		.amdhsa_system_sgpr_workgroup_id_y 0
		.amdhsa_system_sgpr_workgroup_id_z 0
		.amdhsa_system_sgpr_workgroup_info 0
		.amdhsa_system_vgpr_workitem_id 0
		.amdhsa_next_free_vgpr 1
		.amdhsa_next_free_sgpr 1
		.amdhsa_reserve_vcc 0
		.amdhsa_float_round_mode_32 0
		.amdhsa_float_round_mode_16_64 0
		.amdhsa_float_denorm_mode_32 3
		.amdhsa_float_denorm_mode_16_64 3
		.amdhsa_fp16_overflow 0
		.amdhsa_workgroup_processor_mode 1
		.amdhsa_memory_ordered 1
		.amdhsa_forward_progress 1
		.amdhsa_inst_pref_size 0
		.amdhsa_round_robin_scheduling 0
		.amdhsa_exception_fp_ieee_invalid_op 0
		.amdhsa_exception_fp_denorm_src 0
		.amdhsa_exception_fp_ieee_div_zero 0
		.amdhsa_exception_fp_ieee_overflow 0
		.amdhsa_exception_fp_ieee_underflow 0
		.amdhsa_exception_fp_ieee_inexact 0
		.amdhsa_exception_int_div_zero 0
	.end_amdhsa_kernel
	.section	.text._ZN7rocprim17ROCPRIM_400000_NS6detail17trampoline_kernelINS0_14default_configENS1_36segmented_radix_sort_config_selectorIflEEZNS1_25segmented_radix_sort_implIS3_Lb1EPKfPfPKlPlN2at6native12_GLOBAL__N_18offset_tEEE10hipError_tPvRmT1_PNSt15iterator_traitsISK_E10value_typeET2_T3_PNSL_ISQ_E10value_typeET4_jRbjT5_SW_jjP12ihipStream_tbEUlT_E2_NS1_11comp_targetILNS1_3genE3ELNS1_11target_archE908ELNS1_3gpuE7ELNS1_3repE0EEENS1_30default_config_static_selectorELNS0_4arch9wavefront6targetE0EEEvSK_,"axG",@progbits,_ZN7rocprim17ROCPRIM_400000_NS6detail17trampoline_kernelINS0_14default_configENS1_36segmented_radix_sort_config_selectorIflEEZNS1_25segmented_radix_sort_implIS3_Lb1EPKfPfPKlPlN2at6native12_GLOBAL__N_18offset_tEEE10hipError_tPvRmT1_PNSt15iterator_traitsISK_E10value_typeET2_T3_PNSL_ISQ_E10value_typeET4_jRbjT5_SW_jjP12ihipStream_tbEUlT_E2_NS1_11comp_targetILNS1_3genE3ELNS1_11target_archE908ELNS1_3gpuE7ELNS1_3repE0EEENS1_30default_config_static_selectorELNS0_4arch9wavefront6targetE0EEEvSK_,comdat
.Lfunc_end1358:
	.size	_ZN7rocprim17ROCPRIM_400000_NS6detail17trampoline_kernelINS0_14default_configENS1_36segmented_radix_sort_config_selectorIflEEZNS1_25segmented_radix_sort_implIS3_Lb1EPKfPfPKlPlN2at6native12_GLOBAL__N_18offset_tEEE10hipError_tPvRmT1_PNSt15iterator_traitsISK_E10value_typeET2_T3_PNSL_ISQ_E10value_typeET4_jRbjT5_SW_jjP12ihipStream_tbEUlT_E2_NS1_11comp_targetILNS1_3genE3ELNS1_11target_archE908ELNS1_3gpuE7ELNS1_3repE0EEENS1_30default_config_static_selectorELNS0_4arch9wavefront6targetE0EEEvSK_, .Lfunc_end1358-_ZN7rocprim17ROCPRIM_400000_NS6detail17trampoline_kernelINS0_14default_configENS1_36segmented_radix_sort_config_selectorIflEEZNS1_25segmented_radix_sort_implIS3_Lb1EPKfPfPKlPlN2at6native12_GLOBAL__N_18offset_tEEE10hipError_tPvRmT1_PNSt15iterator_traitsISK_E10value_typeET2_T3_PNSL_ISQ_E10value_typeET4_jRbjT5_SW_jjP12ihipStream_tbEUlT_E2_NS1_11comp_targetILNS1_3genE3ELNS1_11target_archE908ELNS1_3gpuE7ELNS1_3repE0EEENS1_30default_config_static_selectorELNS0_4arch9wavefront6targetE0EEEvSK_
                                        ; -- End function
	.set _ZN7rocprim17ROCPRIM_400000_NS6detail17trampoline_kernelINS0_14default_configENS1_36segmented_radix_sort_config_selectorIflEEZNS1_25segmented_radix_sort_implIS3_Lb1EPKfPfPKlPlN2at6native12_GLOBAL__N_18offset_tEEE10hipError_tPvRmT1_PNSt15iterator_traitsISK_E10value_typeET2_T3_PNSL_ISQ_E10value_typeET4_jRbjT5_SW_jjP12ihipStream_tbEUlT_E2_NS1_11comp_targetILNS1_3genE3ELNS1_11target_archE908ELNS1_3gpuE7ELNS1_3repE0EEENS1_30default_config_static_selectorELNS0_4arch9wavefront6targetE0EEEvSK_.num_vgpr, 0
	.set _ZN7rocprim17ROCPRIM_400000_NS6detail17trampoline_kernelINS0_14default_configENS1_36segmented_radix_sort_config_selectorIflEEZNS1_25segmented_radix_sort_implIS3_Lb1EPKfPfPKlPlN2at6native12_GLOBAL__N_18offset_tEEE10hipError_tPvRmT1_PNSt15iterator_traitsISK_E10value_typeET2_T3_PNSL_ISQ_E10value_typeET4_jRbjT5_SW_jjP12ihipStream_tbEUlT_E2_NS1_11comp_targetILNS1_3genE3ELNS1_11target_archE908ELNS1_3gpuE7ELNS1_3repE0EEENS1_30default_config_static_selectorELNS0_4arch9wavefront6targetE0EEEvSK_.num_agpr, 0
	.set _ZN7rocprim17ROCPRIM_400000_NS6detail17trampoline_kernelINS0_14default_configENS1_36segmented_radix_sort_config_selectorIflEEZNS1_25segmented_radix_sort_implIS3_Lb1EPKfPfPKlPlN2at6native12_GLOBAL__N_18offset_tEEE10hipError_tPvRmT1_PNSt15iterator_traitsISK_E10value_typeET2_T3_PNSL_ISQ_E10value_typeET4_jRbjT5_SW_jjP12ihipStream_tbEUlT_E2_NS1_11comp_targetILNS1_3genE3ELNS1_11target_archE908ELNS1_3gpuE7ELNS1_3repE0EEENS1_30default_config_static_selectorELNS0_4arch9wavefront6targetE0EEEvSK_.numbered_sgpr, 0
	.set _ZN7rocprim17ROCPRIM_400000_NS6detail17trampoline_kernelINS0_14default_configENS1_36segmented_radix_sort_config_selectorIflEEZNS1_25segmented_radix_sort_implIS3_Lb1EPKfPfPKlPlN2at6native12_GLOBAL__N_18offset_tEEE10hipError_tPvRmT1_PNSt15iterator_traitsISK_E10value_typeET2_T3_PNSL_ISQ_E10value_typeET4_jRbjT5_SW_jjP12ihipStream_tbEUlT_E2_NS1_11comp_targetILNS1_3genE3ELNS1_11target_archE908ELNS1_3gpuE7ELNS1_3repE0EEENS1_30default_config_static_selectorELNS0_4arch9wavefront6targetE0EEEvSK_.num_named_barrier, 0
	.set _ZN7rocprim17ROCPRIM_400000_NS6detail17trampoline_kernelINS0_14default_configENS1_36segmented_radix_sort_config_selectorIflEEZNS1_25segmented_radix_sort_implIS3_Lb1EPKfPfPKlPlN2at6native12_GLOBAL__N_18offset_tEEE10hipError_tPvRmT1_PNSt15iterator_traitsISK_E10value_typeET2_T3_PNSL_ISQ_E10value_typeET4_jRbjT5_SW_jjP12ihipStream_tbEUlT_E2_NS1_11comp_targetILNS1_3genE3ELNS1_11target_archE908ELNS1_3gpuE7ELNS1_3repE0EEENS1_30default_config_static_selectorELNS0_4arch9wavefront6targetE0EEEvSK_.private_seg_size, 0
	.set _ZN7rocprim17ROCPRIM_400000_NS6detail17trampoline_kernelINS0_14default_configENS1_36segmented_radix_sort_config_selectorIflEEZNS1_25segmented_radix_sort_implIS3_Lb1EPKfPfPKlPlN2at6native12_GLOBAL__N_18offset_tEEE10hipError_tPvRmT1_PNSt15iterator_traitsISK_E10value_typeET2_T3_PNSL_ISQ_E10value_typeET4_jRbjT5_SW_jjP12ihipStream_tbEUlT_E2_NS1_11comp_targetILNS1_3genE3ELNS1_11target_archE908ELNS1_3gpuE7ELNS1_3repE0EEENS1_30default_config_static_selectorELNS0_4arch9wavefront6targetE0EEEvSK_.uses_vcc, 0
	.set _ZN7rocprim17ROCPRIM_400000_NS6detail17trampoline_kernelINS0_14default_configENS1_36segmented_radix_sort_config_selectorIflEEZNS1_25segmented_radix_sort_implIS3_Lb1EPKfPfPKlPlN2at6native12_GLOBAL__N_18offset_tEEE10hipError_tPvRmT1_PNSt15iterator_traitsISK_E10value_typeET2_T3_PNSL_ISQ_E10value_typeET4_jRbjT5_SW_jjP12ihipStream_tbEUlT_E2_NS1_11comp_targetILNS1_3genE3ELNS1_11target_archE908ELNS1_3gpuE7ELNS1_3repE0EEENS1_30default_config_static_selectorELNS0_4arch9wavefront6targetE0EEEvSK_.uses_flat_scratch, 0
	.set _ZN7rocprim17ROCPRIM_400000_NS6detail17trampoline_kernelINS0_14default_configENS1_36segmented_radix_sort_config_selectorIflEEZNS1_25segmented_radix_sort_implIS3_Lb1EPKfPfPKlPlN2at6native12_GLOBAL__N_18offset_tEEE10hipError_tPvRmT1_PNSt15iterator_traitsISK_E10value_typeET2_T3_PNSL_ISQ_E10value_typeET4_jRbjT5_SW_jjP12ihipStream_tbEUlT_E2_NS1_11comp_targetILNS1_3genE3ELNS1_11target_archE908ELNS1_3gpuE7ELNS1_3repE0EEENS1_30default_config_static_selectorELNS0_4arch9wavefront6targetE0EEEvSK_.has_dyn_sized_stack, 0
	.set _ZN7rocprim17ROCPRIM_400000_NS6detail17trampoline_kernelINS0_14default_configENS1_36segmented_radix_sort_config_selectorIflEEZNS1_25segmented_radix_sort_implIS3_Lb1EPKfPfPKlPlN2at6native12_GLOBAL__N_18offset_tEEE10hipError_tPvRmT1_PNSt15iterator_traitsISK_E10value_typeET2_T3_PNSL_ISQ_E10value_typeET4_jRbjT5_SW_jjP12ihipStream_tbEUlT_E2_NS1_11comp_targetILNS1_3genE3ELNS1_11target_archE908ELNS1_3gpuE7ELNS1_3repE0EEENS1_30default_config_static_selectorELNS0_4arch9wavefront6targetE0EEEvSK_.has_recursion, 0
	.set _ZN7rocprim17ROCPRIM_400000_NS6detail17trampoline_kernelINS0_14default_configENS1_36segmented_radix_sort_config_selectorIflEEZNS1_25segmented_radix_sort_implIS3_Lb1EPKfPfPKlPlN2at6native12_GLOBAL__N_18offset_tEEE10hipError_tPvRmT1_PNSt15iterator_traitsISK_E10value_typeET2_T3_PNSL_ISQ_E10value_typeET4_jRbjT5_SW_jjP12ihipStream_tbEUlT_E2_NS1_11comp_targetILNS1_3genE3ELNS1_11target_archE908ELNS1_3gpuE7ELNS1_3repE0EEENS1_30default_config_static_selectorELNS0_4arch9wavefront6targetE0EEEvSK_.has_indirect_call, 0
	.section	.AMDGPU.csdata,"",@progbits
; Kernel info:
; codeLenInByte = 0
; TotalNumSgprs: 0
; NumVgprs: 0
; ScratchSize: 0
; MemoryBound: 0
; FloatMode: 240
; IeeeMode: 1
; LDSByteSize: 0 bytes/workgroup (compile time only)
; SGPRBlocks: 0
; VGPRBlocks: 0
; NumSGPRsForWavesPerEU: 1
; NumVGPRsForWavesPerEU: 1
; Occupancy: 16
; WaveLimiterHint : 0
; COMPUTE_PGM_RSRC2:SCRATCH_EN: 0
; COMPUTE_PGM_RSRC2:USER_SGPR: 2
; COMPUTE_PGM_RSRC2:TRAP_HANDLER: 0
; COMPUTE_PGM_RSRC2:TGID_X_EN: 1
; COMPUTE_PGM_RSRC2:TGID_Y_EN: 0
; COMPUTE_PGM_RSRC2:TGID_Z_EN: 0
; COMPUTE_PGM_RSRC2:TIDIG_COMP_CNT: 0
	.section	.text._ZN7rocprim17ROCPRIM_400000_NS6detail17trampoline_kernelINS0_14default_configENS1_36segmented_radix_sort_config_selectorIflEEZNS1_25segmented_radix_sort_implIS3_Lb1EPKfPfPKlPlN2at6native12_GLOBAL__N_18offset_tEEE10hipError_tPvRmT1_PNSt15iterator_traitsISK_E10value_typeET2_T3_PNSL_ISQ_E10value_typeET4_jRbjT5_SW_jjP12ihipStream_tbEUlT_E2_NS1_11comp_targetILNS1_3genE2ELNS1_11target_archE906ELNS1_3gpuE6ELNS1_3repE0EEENS1_30default_config_static_selectorELNS0_4arch9wavefront6targetE0EEEvSK_,"axG",@progbits,_ZN7rocprim17ROCPRIM_400000_NS6detail17trampoline_kernelINS0_14default_configENS1_36segmented_radix_sort_config_selectorIflEEZNS1_25segmented_radix_sort_implIS3_Lb1EPKfPfPKlPlN2at6native12_GLOBAL__N_18offset_tEEE10hipError_tPvRmT1_PNSt15iterator_traitsISK_E10value_typeET2_T3_PNSL_ISQ_E10value_typeET4_jRbjT5_SW_jjP12ihipStream_tbEUlT_E2_NS1_11comp_targetILNS1_3genE2ELNS1_11target_archE906ELNS1_3gpuE6ELNS1_3repE0EEENS1_30default_config_static_selectorELNS0_4arch9wavefront6targetE0EEEvSK_,comdat
	.globl	_ZN7rocprim17ROCPRIM_400000_NS6detail17trampoline_kernelINS0_14default_configENS1_36segmented_radix_sort_config_selectorIflEEZNS1_25segmented_radix_sort_implIS3_Lb1EPKfPfPKlPlN2at6native12_GLOBAL__N_18offset_tEEE10hipError_tPvRmT1_PNSt15iterator_traitsISK_E10value_typeET2_T3_PNSL_ISQ_E10value_typeET4_jRbjT5_SW_jjP12ihipStream_tbEUlT_E2_NS1_11comp_targetILNS1_3genE2ELNS1_11target_archE906ELNS1_3gpuE6ELNS1_3repE0EEENS1_30default_config_static_selectorELNS0_4arch9wavefront6targetE0EEEvSK_ ; -- Begin function _ZN7rocprim17ROCPRIM_400000_NS6detail17trampoline_kernelINS0_14default_configENS1_36segmented_radix_sort_config_selectorIflEEZNS1_25segmented_radix_sort_implIS3_Lb1EPKfPfPKlPlN2at6native12_GLOBAL__N_18offset_tEEE10hipError_tPvRmT1_PNSt15iterator_traitsISK_E10value_typeET2_T3_PNSL_ISQ_E10value_typeET4_jRbjT5_SW_jjP12ihipStream_tbEUlT_E2_NS1_11comp_targetILNS1_3genE2ELNS1_11target_archE906ELNS1_3gpuE6ELNS1_3repE0EEENS1_30default_config_static_selectorELNS0_4arch9wavefront6targetE0EEEvSK_
	.p2align	8
	.type	_ZN7rocprim17ROCPRIM_400000_NS6detail17trampoline_kernelINS0_14default_configENS1_36segmented_radix_sort_config_selectorIflEEZNS1_25segmented_radix_sort_implIS3_Lb1EPKfPfPKlPlN2at6native12_GLOBAL__N_18offset_tEEE10hipError_tPvRmT1_PNSt15iterator_traitsISK_E10value_typeET2_T3_PNSL_ISQ_E10value_typeET4_jRbjT5_SW_jjP12ihipStream_tbEUlT_E2_NS1_11comp_targetILNS1_3genE2ELNS1_11target_archE906ELNS1_3gpuE6ELNS1_3repE0EEENS1_30default_config_static_selectorELNS0_4arch9wavefront6targetE0EEEvSK_,@function
_ZN7rocprim17ROCPRIM_400000_NS6detail17trampoline_kernelINS0_14default_configENS1_36segmented_radix_sort_config_selectorIflEEZNS1_25segmented_radix_sort_implIS3_Lb1EPKfPfPKlPlN2at6native12_GLOBAL__N_18offset_tEEE10hipError_tPvRmT1_PNSt15iterator_traitsISK_E10value_typeET2_T3_PNSL_ISQ_E10value_typeET4_jRbjT5_SW_jjP12ihipStream_tbEUlT_E2_NS1_11comp_targetILNS1_3genE2ELNS1_11target_archE906ELNS1_3gpuE6ELNS1_3repE0EEENS1_30default_config_static_selectorELNS0_4arch9wavefront6targetE0EEEvSK_: ; @_ZN7rocprim17ROCPRIM_400000_NS6detail17trampoline_kernelINS0_14default_configENS1_36segmented_radix_sort_config_selectorIflEEZNS1_25segmented_radix_sort_implIS3_Lb1EPKfPfPKlPlN2at6native12_GLOBAL__N_18offset_tEEE10hipError_tPvRmT1_PNSt15iterator_traitsISK_E10value_typeET2_T3_PNSL_ISQ_E10value_typeET4_jRbjT5_SW_jjP12ihipStream_tbEUlT_E2_NS1_11comp_targetILNS1_3genE2ELNS1_11target_archE906ELNS1_3gpuE6ELNS1_3repE0EEENS1_30default_config_static_selectorELNS0_4arch9wavefront6targetE0EEEvSK_
; %bb.0:
	.section	.rodata,"a",@progbits
	.p2align	6, 0x0
	.amdhsa_kernel _ZN7rocprim17ROCPRIM_400000_NS6detail17trampoline_kernelINS0_14default_configENS1_36segmented_radix_sort_config_selectorIflEEZNS1_25segmented_radix_sort_implIS3_Lb1EPKfPfPKlPlN2at6native12_GLOBAL__N_18offset_tEEE10hipError_tPvRmT1_PNSt15iterator_traitsISK_E10value_typeET2_T3_PNSL_ISQ_E10value_typeET4_jRbjT5_SW_jjP12ihipStream_tbEUlT_E2_NS1_11comp_targetILNS1_3genE2ELNS1_11target_archE906ELNS1_3gpuE6ELNS1_3repE0EEENS1_30default_config_static_selectorELNS0_4arch9wavefront6targetE0EEEvSK_
		.amdhsa_group_segment_fixed_size 0
		.amdhsa_private_segment_fixed_size 0
		.amdhsa_kernarg_size 80
		.amdhsa_user_sgpr_count 2
		.amdhsa_user_sgpr_dispatch_ptr 0
		.amdhsa_user_sgpr_queue_ptr 0
		.amdhsa_user_sgpr_kernarg_segment_ptr 1
		.amdhsa_user_sgpr_dispatch_id 0
		.amdhsa_user_sgpr_private_segment_size 0
		.amdhsa_wavefront_size32 1
		.amdhsa_uses_dynamic_stack 0
		.amdhsa_enable_private_segment 0
		.amdhsa_system_sgpr_workgroup_id_x 1
		.amdhsa_system_sgpr_workgroup_id_y 0
		.amdhsa_system_sgpr_workgroup_id_z 0
		.amdhsa_system_sgpr_workgroup_info 0
		.amdhsa_system_vgpr_workitem_id 0
		.amdhsa_next_free_vgpr 1
		.amdhsa_next_free_sgpr 1
		.amdhsa_reserve_vcc 0
		.amdhsa_float_round_mode_32 0
		.amdhsa_float_round_mode_16_64 0
		.amdhsa_float_denorm_mode_32 3
		.amdhsa_float_denorm_mode_16_64 3
		.amdhsa_fp16_overflow 0
		.amdhsa_workgroup_processor_mode 1
		.amdhsa_memory_ordered 1
		.amdhsa_forward_progress 1
		.amdhsa_inst_pref_size 0
		.amdhsa_round_robin_scheduling 0
		.amdhsa_exception_fp_ieee_invalid_op 0
		.amdhsa_exception_fp_denorm_src 0
		.amdhsa_exception_fp_ieee_div_zero 0
		.amdhsa_exception_fp_ieee_overflow 0
		.amdhsa_exception_fp_ieee_underflow 0
		.amdhsa_exception_fp_ieee_inexact 0
		.amdhsa_exception_int_div_zero 0
	.end_amdhsa_kernel
	.section	.text._ZN7rocprim17ROCPRIM_400000_NS6detail17trampoline_kernelINS0_14default_configENS1_36segmented_radix_sort_config_selectorIflEEZNS1_25segmented_radix_sort_implIS3_Lb1EPKfPfPKlPlN2at6native12_GLOBAL__N_18offset_tEEE10hipError_tPvRmT1_PNSt15iterator_traitsISK_E10value_typeET2_T3_PNSL_ISQ_E10value_typeET4_jRbjT5_SW_jjP12ihipStream_tbEUlT_E2_NS1_11comp_targetILNS1_3genE2ELNS1_11target_archE906ELNS1_3gpuE6ELNS1_3repE0EEENS1_30default_config_static_selectorELNS0_4arch9wavefront6targetE0EEEvSK_,"axG",@progbits,_ZN7rocprim17ROCPRIM_400000_NS6detail17trampoline_kernelINS0_14default_configENS1_36segmented_radix_sort_config_selectorIflEEZNS1_25segmented_radix_sort_implIS3_Lb1EPKfPfPKlPlN2at6native12_GLOBAL__N_18offset_tEEE10hipError_tPvRmT1_PNSt15iterator_traitsISK_E10value_typeET2_T3_PNSL_ISQ_E10value_typeET4_jRbjT5_SW_jjP12ihipStream_tbEUlT_E2_NS1_11comp_targetILNS1_3genE2ELNS1_11target_archE906ELNS1_3gpuE6ELNS1_3repE0EEENS1_30default_config_static_selectorELNS0_4arch9wavefront6targetE0EEEvSK_,comdat
.Lfunc_end1359:
	.size	_ZN7rocprim17ROCPRIM_400000_NS6detail17trampoline_kernelINS0_14default_configENS1_36segmented_radix_sort_config_selectorIflEEZNS1_25segmented_radix_sort_implIS3_Lb1EPKfPfPKlPlN2at6native12_GLOBAL__N_18offset_tEEE10hipError_tPvRmT1_PNSt15iterator_traitsISK_E10value_typeET2_T3_PNSL_ISQ_E10value_typeET4_jRbjT5_SW_jjP12ihipStream_tbEUlT_E2_NS1_11comp_targetILNS1_3genE2ELNS1_11target_archE906ELNS1_3gpuE6ELNS1_3repE0EEENS1_30default_config_static_selectorELNS0_4arch9wavefront6targetE0EEEvSK_, .Lfunc_end1359-_ZN7rocprim17ROCPRIM_400000_NS6detail17trampoline_kernelINS0_14default_configENS1_36segmented_radix_sort_config_selectorIflEEZNS1_25segmented_radix_sort_implIS3_Lb1EPKfPfPKlPlN2at6native12_GLOBAL__N_18offset_tEEE10hipError_tPvRmT1_PNSt15iterator_traitsISK_E10value_typeET2_T3_PNSL_ISQ_E10value_typeET4_jRbjT5_SW_jjP12ihipStream_tbEUlT_E2_NS1_11comp_targetILNS1_3genE2ELNS1_11target_archE906ELNS1_3gpuE6ELNS1_3repE0EEENS1_30default_config_static_selectorELNS0_4arch9wavefront6targetE0EEEvSK_
                                        ; -- End function
	.set _ZN7rocprim17ROCPRIM_400000_NS6detail17trampoline_kernelINS0_14default_configENS1_36segmented_radix_sort_config_selectorIflEEZNS1_25segmented_radix_sort_implIS3_Lb1EPKfPfPKlPlN2at6native12_GLOBAL__N_18offset_tEEE10hipError_tPvRmT1_PNSt15iterator_traitsISK_E10value_typeET2_T3_PNSL_ISQ_E10value_typeET4_jRbjT5_SW_jjP12ihipStream_tbEUlT_E2_NS1_11comp_targetILNS1_3genE2ELNS1_11target_archE906ELNS1_3gpuE6ELNS1_3repE0EEENS1_30default_config_static_selectorELNS0_4arch9wavefront6targetE0EEEvSK_.num_vgpr, 0
	.set _ZN7rocprim17ROCPRIM_400000_NS6detail17trampoline_kernelINS0_14default_configENS1_36segmented_radix_sort_config_selectorIflEEZNS1_25segmented_radix_sort_implIS3_Lb1EPKfPfPKlPlN2at6native12_GLOBAL__N_18offset_tEEE10hipError_tPvRmT1_PNSt15iterator_traitsISK_E10value_typeET2_T3_PNSL_ISQ_E10value_typeET4_jRbjT5_SW_jjP12ihipStream_tbEUlT_E2_NS1_11comp_targetILNS1_3genE2ELNS1_11target_archE906ELNS1_3gpuE6ELNS1_3repE0EEENS1_30default_config_static_selectorELNS0_4arch9wavefront6targetE0EEEvSK_.num_agpr, 0
	.set _ZN7rocprim17ROCPRIM_400000_NS6detail17trampoline_kernelINS0_14default_configENS1_36segmented_radix_sort_config_selectorIflEEZNS1_25segmented_radix_sort_implIS3_Lb1EPKfPfPKlPlN2at6native12_GLOBAL__N_18offset_tEEE10hipError_tPvRmT1_PNSt15iterator_traitsISK_E10value_typeET2_T3_PNSL_ISQ_E10value_typeET4_jRbjT5_SW_jjP12ihipStream_tbEUlT_E2_NS1_11comp_targetILNS1_3genE2ELNS1_11target_archE906ELNS1_3gpuE6ELNS1_3repE0EEENS1_30default_config_static_selectorELNS0_4arch9wavefront6targetE0EEEvSK_.numbered_sgpr, 0
	.set _ZN7rocprim17ROCPRIM_400000_NS6detail17trampoline_kernelINS0_14default_configENS1_36segmented_radix_sort_config_selectorIflEEZNS1_25segmented_radix_sort_implIS3_Lb1EPKfPfPKlPlN2at6native12_GLOBAL__N_18offset_tEEE10hipError_tPvRmT1_PNSt15iterator_traitsISK_E10value_typeET2_T3_PNSL_ISQ_E10value_typeET4_jRbjT5_SW_jjP12ihipStream_tbEUlT_E2_NS1_11comp_targetILNS1_3genE2ELNS1_11target_archE906ELNS1_3gpuE6ELNS1_3repE0EEENS1_30default_config_static_selectorELNS0_4arch9wavefront6targetE0EEEvSK_.num_named_barrier, 0
	.set _ZN7rocprim17ROCPRIM_400000_NS6detail17trampoline_kernelINS0_14default_configENS1_36segmented_radix_sort_config_selectorIflEEZNS1_25segmented_radix_sort_implIS3_Lb1EPKfPfPKlPlN2at6native12_GLOBAL__N_18offset_tEEE10hipError_tPvRmT1_PNSt15iterator_traitsISK_E10value_typeET2_T3_PNSL_ISQ_E10value_typeET4_jRbjT5_SW_jjP12ihipStream_tbEUlT_E2_NS1_11comp_targetILNS1_3genE2ELNS1_11target_archE906ELNS1_3gpuE6ELNS1_3repE0EEENS1_30default_config_static_selectorELNS0_4arch9wavefront6targetE0EEEvSK_.private_seg_size, 0
	.set _ZN7rocprim17ROCPRIM_400000_NS6detail17trampoline_kernelINS0_14default_configENS1_36segmented_radix_sort_config_selectorIflEEZNS1_25segmented_radix_sort_implIS3_Lb1EPKfPfPKlPlN2at6native12_GLOBAL__N_18offset_tEEE10hipError_tPvRmT1_PNSt15iterator_traitsISK_E10value_typeET2_T3_PNSL_ISQ_E10value_typeET4_jRbjT5_SW_jjP12ihipStream_tbEUlT_E2_NS1_11comp_targetILNS1_3genE2ELNS1_11target_archE906ELNS1_3gpuE6ELNS1_3repE0EEENS1_30default_config_static_selectorELNS0_4arch9wavefront6targetE0EEEvSK_.uses_vcc, 0
	.set _ZN7rocprim17ROCPRIM_400000_NS6detail17trampoline_kernelINS0_14default_configENS1_36segmented_radix_sort_config_selectorIflEEZNS1_25segmented_radix_sort_implIS3_Lb1EPKfPfPKlPlN2at6native12_GLOBAL__N_18offset_tEEE10hipError_tPvRmT1_PNSt15iterator_traitsISK_E10value_typeET2_T3_PNSL_ISQ_E10value_typeET4_jRbjT5_SW_jjP12ihipStream_tbEUlT_E2_NS1_11comp_targetILNS1_3genE2ELNS1_11target_archE906ELNS1_3gpuE6ELNS1_3repE0EEENS1_30default_config_static_selectorELNS0_4arch9wavefront6targetE0EEEvSK_.uses_flat_scratch, 0
	.set _ZN7rocprim17ROCPRIM_400000_NS6detail17trampoline_kernelINS0_14default_configENS1_36segmented_radix_sort_config_selectorIflEEZNS1_25segmented_radix_sort_implIS3_Lb1EPKfPfPKlPlN2at6native12_GLOBAL__N_18offset_tEEE10hipError_tPvRmT1_PNSt15iterator_traitsISK_E10value_typeET2_T3_PNSL_ISQ_E10value_typeET4_jRbjT5_SW_jjP12ihipStream_tbEUlT_E2_NS1_11comp_targetILNS1_3genE2ELNS1_11target_archE906ELNS1_3gpuE6ELNS1_3repE0EEENS1_30default_config_static_selectorELNS0_4arch9wavefront6targetE0EEEvSK_.has_dyn_sized_stack, 0
	.set _ZN7rocprim17ROCPRIM_400000_NS6detail17trampoline_kernelINS0_14default_configENS1_36segmented_radix_sort_config_selectorIflEEZNS1_25segmented_radix_sort_implIS3_Lb1EPKfPfPKlPlN2at6native12_GLOBAL__N_18offset_tEEE10hipError_tPvRmT1_PNSt15iterator_traitsISK_E10value_typeET2_T3_PNSL_ISQ_E10value_typeET4_jRbjT5_SW_jjP12ihipStream_tbEUlT_E2_NS1_11comp_targetILNS1_3genE2ELNS1_11target_archE906ELNS1_3gpuE6ELNS1_3repE0EEENS1_30default_config_static_selectorELNS0_4arch9wavefront6targetE0EEEvSK_.has_recursion, 0
	.set _ZN7rocprim17ROCPRIM_400000_NS6detail17trampoline_kernelINS0_14default_configENS1_36segmented_radix_sort_config_selectorIflEEZNS1_25segmented_radix_sort_implIS3_Lb1EPKfPfPKlPlN2at6native12_GLOBAL__N_18offset_tEEE10hipError_tPvRmT1_PNSt15iterator_traitsISK_E10value_typeET2_T3_PNSL_ISQ_E10value_typeET4_jRbjT5_SW_jjP12ihipStream_tbEUlT_E2_NS1_11comp_targetILNS1_3genE2ELNS1_11target_archE906ELNS1_3gpuE6ELNS1_3repE0EEENS1_30default_config_static_selectorELNS0_4arch9wavefront6targetE0EEEvSK_.has_indirect_call, 0
	.section	.AMDGPU.csdata,"",@progbits
; Kernel info:
; codeLenInByte = 0
; TotalNumSgprs: 0
; NumVgprs: 0
; ScratchSize: 0
; MemoryBound: 0
; FloatMode: 240
; IeeeMode: 1
; LDSByteSize: 0 bytes/workgroup (compile time only)
; SGPRBlocks: 0
; VGPRBlocks: 0
; NumSGPRsForWavesPerEU: 1
; NumVGPRsForWavesPerEU: 1
; Occupancy: 16
; WaveLimiterHint : 0
; COMPUTE_PGM_RSRC2:SCRATCH_EN: 0
; COMPUTE_PGM_RSRC2:USER_SGPR: 2
; COMPUTE_PGM_RSRC2:TRAP_HANDLER: 0
; COMPUTE_PGM_RSRC2:TGID_X_EN: 1
; COMPUTE_PGM_RSRC2:TGID_Y_EN: 0
; COMPUTE_PGM_RSRC2:TGID_Z_EN: 0
; COMPUTE_PGM_RSRC2:TIDIG_COMP_CNT: 0
	.section	.text._ZN7rocprim17ROCPRIM_400000_NS6detail17trampoline_kernelINS0_14default_configENS1_36segmented_radix_sort_config_selectorIflEEZNS1_25segmented_radix_sort_implIS3_Lb1EPKfPfPKlPlN2at6native12_GLOBAL__N_18offset_tEEE10hipError_tPvRmT1_PNSt15iterator_traitsISK_E10value_typeET2_T3_PNSL_ISQ_E10value_typeET4_jRbjT5_SW_jjP12ihipStream_tbEUlT_E2_NS1_11comp_targetILNS1_3genE10ELNS1_11target_archE1201ELNS1_3gpuE5ELNS1_3repE0EEENS1_30default_config_static_selectorELNS0_4arch9wavefront6targetE0EEEvSK_,"axG",@progbits,_ZN7rocprim17ROCPRIM_400000_NS6detail17trampoline_kernelINS0_14default_configENS1_36segmented_radix_sort_config_selectorIflEEZNS1_25segmented_radix_sort_implIS3_Lb1EPKfPfPKlPlN2at6native12_GLOBAL__N_18offset_tEEE10hipError_tPvRmT1_PNSt15iterator_traitsISK_E10value_typeET2_T3_PNSL_ISQ_E10value_typeET4_jRbjT5_SW_jjP12ihipStream_tbEUlT_E2_NS1_11comp_targetILNS1_3genE10ELNS1_11target_archE1201ELNS1_3gpuE5ELNS1_3repE0EEENS1_30default_config_static_selectorELNS0_4arch9wavefront6targetE0EEEvSK_,comdat
	.globl	_ZN7rocprim17ROCPRIM_400000_NS6detail17trampoline_kernelINS0_14default_configENS1_36segmented_radix_sort_config_selectorIflEEZNS1_25segmented_radix_sort_implIS3_Lb1EPKfPfPKlPlN2at6native12_GLOBAL__N_18offset_tEEE10hipError_tPvRmT1_PNSt15iterator_traitsISK_E10value_typeET2_T3_PNSL_ISQ_E10value_typeET4_jRbjT5_SW_jjP12ihipStream_tbEUlT_E2_NS1_11comp_targetILNS1_3genE10ELNS1_11target_archE1201ELNS1_3gpuE5ELNS1_3repE0EEENS1_30default_config_static_selectorELNS0_4arch9wavefront6targetE0EEEvSK_ ; -- Begin function _ZN7rocprim17ROCPRIM_400000_NS6detail17trampoline_kernelINS0_14default_configENS1_36segmented_radix_sort_config_selectorIflEEZNS1_25segmented_radix_sort_implIS3_Lb1EPKfPfPKlPlN2at6native12_GLOBAL__N_18offset_tEEE10hipError_tPvRmT1_PNSt15iterator_traitsISK_E10value_typeET2_T3_PNSL_ISQ_E10value_typeET4_jRbjT5_SW_jjP12ihipStream_tbEUlT_E2_NS1_11comp_targetILNS1_3genE10ELNS1_11target_archE1201ELNS1_3gpuE5ELNS1_3repE0EEENS1_30default_config_static_selectorELNS0_4arch9wavefront6targetE0EEEvSK_
	.p2align	8
	.type	_ZN7rocprim17ROCPRIM_400000_NS6detail17trampoline_kernelINS0_14default_configENS1_36segmented_radix_sort_config_selectorIflEEZNS1_25segmented_radix_sort_implIS3_Lb1EPKfPfPKlPlN2at6native12_GLOBAL__N_18offset_tEEE10hipError_tPvRmT1_PNSt15iterator_traitsISK_E10value_typeET2_T3_PNSL_ISQ_E10value_typeET4_jRbjT5_SW_jjP12ihipStream_tbEUlT_E2_NS1_11comp_targetILNS1_3genE10ELNS1_11target_archE1201ELNS1_3gpuE5ELNS1_3repE0EEENS1_30default_config_static_selectorELNS0_4arch9wavefront6targetE0EEEvSK_,@function
_ZN7rocprim17ROCPRIM_400000_NS6detail17trampoline_kernelINS0_14default_configENS1_36segmented_radix_sort_config_selectorIflEEZNS1_25segmented_radix_sort_implIS3_Lb1EPKfPfPKlPlN2at6native12_GLOBAL__N_18offset_tEEE10hipError_tPvRmT1_PNSt15iterator_traitsISK_E10value_typeET2_T3_PNSL_ISQ_E10value_typeET4_jRbjT5_SW_jjP12ihipStream_tbEUlT_E2_NS1_11comp_targetILNS1_3genE10ELNS1_11target_archE1201ELNS1_3gpuE5ELNS1_3repE0EEENS1_30default_config_static_selectorELNS0_4arch9wavefront6targetE0EEEvSK_: ; @_ZN7rocprim17ROCPRIM_400000_NS6detail17trampoline_kernelINS0_14default_configENS1_36segmented_radix_sort_config_selectorIflEEZNS1_25segmented_radix_sort_implIS3_Lb1EPKfPfPKlPlN2at6native12_GLOBAL__N_18offset_tEEE10hipError_tPvRmT1_PNSt15iterator_traitsISK_E10value_typeET2_T3_PNSL_ISQ_E10value_typeET4_jRbjT5_SW_jjP12ihipStream_tbEUlT_E2_NS1_11comp_targetILNS1_3genE10ELNS1_11target_archE1201ELNS1_3gpuE5ELNS1_3repE0EEENS1_30default_config_static_selectorELNS0_4arch9wavefront6targetE0EEEvSK_
; %bb.0:
	s_load_b128 s[4:7], s[0:1], 0x34
	s_mov_b32 s32, 0
	s_wait_kmcnt 0x0
	s_add_co_i32 s33, s5, ttmp9
	s_add_co_i32 s51, s7, ttmp9
	s_mul_i32 s33, s33, s4
	s_mul_i32 s51, s51, s6
	s_delay_alu instid0(SALU_CYCLE_1)
	s_cmp_le_u32 s51, s33
	s_cbranch_scc1 .LBB1360_1187
; %bb.1:
	s_clause 0x3
	s_load_b32 s2, s[0:1], 0x30
	s_load_b128 s[44:47], s[0:1], 0x20
	s_load_b96 s[48:50], s[0:1], 0x44
	s_load_b256 s[36:43], s[0:1], 0x0
	s_wait_kmcnt 0x0
	s_bitcmp1_b32 s2, 0
	s_mov_b32 s2, -1
	s_cselect_b32 s52, -1, 0
	s_sub_co_i32 s53, s51, s33
	s_delay_alu instid0(SALU_CYCLE_1)
	s_cmp_lt_u32 s53, 0x1001
	s_cbranch_scc0 .LBB1360_12
; %bb.2:
	s_cmp_lt_u32 s53, 33
	s_cbranch_scc0 .LBB1360_6
; %bb.3:
	s_load_b32 s2, s[0:1], 0x5c
	v_bfe_u32 v1, v0, 10, 10
	v_bfe_u32 v2, v0, 20, 10
	s_mov_b32 s18, exec_lo
	s_wait_kmcnt 0x0
	s_lshr_b32 s3, s2, 16
	s_and_b32 s2, s2, 0xffff
	v_mad_u32_u24 v2, v2, s3, v1
	v_and_b32_e32 v1, 0x3ff, v0
	s_delay_alu instid0(VALU_DEP_1) | instskip(NEXT) | instid1(VALU_DEP_1)
	v_mad_co_u64_u32 v[1:2], null, v2, s2, v[1:2]
	v_cmpx_gt_u32_e32 8, v1
	s_cbranch_execz .LBB1360_5
; %bb.4:
	s_bitcmp1_b32 s48, 0
	s_mov_b64 s[2:3], src_shared_base
	s_cselect_b32 s2, -1, 0
	v_dual_mov_b32 v31, v0 :: v_dual_mov_b32 v40, v0
	s_wait_alu 0xfffe
	s_xor_b32 s2, s52, s2
	v_dual_mov_b32 v0, s36 :: v_dual_mov_b32 v1, s37
	s_wait_alu 0xfffe
	s_xor_b32 s2, s2, -1
	v_dual_mov_b32 v2, s38 :: v_dual_mov_b32 v3, s39
	s_wait_alu 0xfffe
	v_cndmask_b32_e64 v12, 0, 1, s2
	v_dual_mov_b32 v4, s40 :: v_dual_mov_b32 v5, s41
	v_dual_mov_b32 v6, s42 :: v_dual_mov_b32 v7, s43
	;; [unrolled: 1-line block ×6, first 2 shown]
	s_add_nc_u64 s[8:9], s[0:1], 0x50
	s_getpc_b64 s[4:5]
	s_sext_i32_i16 s5, s5
	s_add_co_u32 s4, s4, _ZN7rocprim17ROCPRIM_400000_NS6detail26segmented_warp_sort_helperINS1_20WarpSortHelperConfigILj8ELj4ELj256EEEflLi256ELb1EvE4sortIPKfPfPKlPlEEvT_S9_T0_T1_SC_T2_bjjjjRNS5_12storage_typeE@rel32@lo+8
	s_add_co_ci_u32 s5, s5, _ZN7rocprim17ROCPRIM_400000_NS6detail26segmented_warp_sort_helperINS1_20WarpSortHelperConfigILj8ELj4ELj256EEEflLi256ELb1EvE4sortIPKfPfPKlPlEEvT_S9_T0_T1_SC_T2_bjjjjRNS5_12storage_typeE@rel32@hi+16
	s_mov_b64 s[16:17], s[0:1]
	s_swappc_b64 s[30:31], s[4:5]
	v_mov_b32_e32 v0, v40
	s_mov_b64 s[0:1], s[16:17]
.LBB1360_5:
	s_or_b32 exec_lo, exec_lo, s18
	s_mov_b32 s2, 0
.LBB1360_6:
	s_wait_alu 0xfffe
	s_and_not1_b32 vcc_lo, exec_lo, s2
	s_wait_alu 0xfffe
	s_cbranch_vccnz .LBB1360_11
; %bb.7:
	v_cndmask_b32_e64 v1, 0, 1, s52
	s_and_b32 s2, s48, 1
	s_wait_alu 0xfffe
	s_delay_alu instid0(VALU_DEP_1)
	v_cmp_ne_u32_e32 vcc_lo, s2, v1
	s_mov_b32 s2, -1
	s_cbranch_vccnz .LBB1360_9
; %bb.8:
	s_mov_b64 s[2:3], src_shared_base
	v_dual_mov_b32 v31, v0 :: v_dual_mov_b32 v40, v0
	v_dual_mov_b32 v0, s36 :: v_dual_mov_b32 v1, s37
	;; [unrolled: 1-line block ×7, first 2 shown]
	s_wait_alu 0xfffe
	v_dual_mov_b32 v12, 0 :: v_dual_mov_b32 v13, s3
	s_add_nc_u64 s[8:9], s[0:1], 0x50
	s_getpc_b64 s[4:5]
	s_wait_alu 0xfffe
	s_sext_i32_i16 s5, s5
	s_add_co_u32 s4, s4, _ZN7rocprim17ROCPRIM_400000_NS6detail40segmented_radix_sort_single_block_helperIflLj256ELj16ELb1EE4sortIPKfPfPKlPlEEbT_T0_T1_T2_jjjjRNS3_12storage_typeE@rel32@lo+12
	s_wait_alu 0xfffe
	s_add_co_ci_u32 s5, s5, _ZN7rocprim17ROCPRIM_400000_NS6detail40segmented_radix_sort_single_block_helperIflLj256ELj16ELb1EE4sortIPKfPfPKlPlEEbT_T0_T1_T2_jjjjRNS3_12storage_typeE@rel32@hi+24
	s_mov_b64 s[22:23], s[0:1]
	s_wait_alu 0xfffe
	s_swappc_b64 s[30:31], s[4:5]
	v_mov_b32_e32 v0, v40
	s_mov_b64 s[0:1], s[22:23]
	s_mov_b32 s2, 0
.LBB1360_9:
	s_wait_alu 0xfffe
	s_and_not1_b32 vcc_lo, exec_lo, s2
	s_wait_alu 0xfffe
	s_cbranch_vccnz .LBB1360_11
; %bb.10:
	s_mov_b64 s[2:3], src_shared_base
	v_dual_mov_b32 v31, v0 :: v_dual_mov_b32 v40, v0
	v_dual_mov_b32 v0, s36 :: v_dual_mov_b32 v1, s37
	;; [unrolled: 1-line block ×7, first 2 shown]
	s_wait_alu 0xfffe
	v_dual_mov_b32 v12, 0 :: v_dual_mov_b32 v13, s3
	s_add_nc_u64 s[8:9], s[0:1], 0x50
	s_getpc_b64 s[4:5]
	s_wait_alu 0xfffe
	s_sext_i32_i16 s5, s5
	s_add_co_u32 s4, s4, _ZN7rocprim17ROCPRIM_400000_NS6detail40segmented_radix_sort_single_block_helperIflLj256ELj16ELb1EE4sortIPKfPfPKlPlEEbT_T0_T1_T2_jjjjRNS3_12storage_typeE@rel32@lo+12
	s_wait_alu 0xfffe
	s_add_co_ci_u32 s5, s5, _ZN7rocprim17ROCPRIM_400000_NS6detail40segmented_radix_sort_single_block_helperIflLj256ELj16ELb1EE4sortIPKfPfPKlPlEEbT_T0_T1_T2_jjjjRNS3_12storage_typeE@rel32@hi+24
	s_mov_b64 s[22:23], s[0:1]
	s_wait_alu 0xfffe
	s_swappc_b64 s[30:31], s[4:5]
	v_mov_b32_e32 v0, v40
	s_mov_b64 s[0:1], s[22:23]
.LBB1360_11:
	s_mov_b32 s2, 0
.LBB1360_12:
	s_wait_alu 0xfffe
	s_and_not1_b32 vcc_lo, exec_lo, s2
	s_wait_alu 0xfffe
	s_cbranch_vccnz .LBB1360_1187
; %bb.13:
	s_cmp_ge_u32 s49, s50
	s_cbranch_scc1 .LBB1360_1187
; %bb.14:
	v_dual_mov_b32 v84, 1 :: v_dual_and_b32 v1, 0x3ff, v0
	v_dual_mov_b32 v3, 0 :: v_dual_and_b32 v2, 3, v0
	v_lshrrev_b32_e32 v4, 3, v0
	s_delay_alu instid0(VALU_DEP_3)
	v_lshlrev_b32_e32 v44, 2, v1
	v_mbcnt_lo_u32_b32 v81, -1, 0
	v_or_b32_e32 v45, 0x100, v1
	v_lshlrev_b32_e32 v62, 2, v2
	v_or_b32_e32 v2, 31, v1
	v_and_b32_e32 v63, 28, v4
	v_lshlrev_b32_e32 v4, 4, v1
	v_mad_u32_u24 v64, v1, 12, v44
	v_lshlrev_b32_e32 v91, 3, v81
	v_cmp_eq_u32_e64 s3, v1, v2
	v_lshlrev_b32_e32 v2, 5, v1
	v_and_b32_e32 v4, 0xe00, v4
	v_mad_u32_u24 v67, v1, 20, v64
	v_lshlrev_b32_e32 v107, 2, v81
	v_add_co_u32 v48, s2, s40, v44
	s_delay_alu instid0(VALU_DEP_4) | instskip(NEXT) | instid1(VALU_DEP_4)
	v_lshlrev_b32_e32 v5, 2, v4
	v_sub_nc_u32_e32 v70, v67, v2
	v_lshlrev_b32_e32 v2, 3, v4
	v_or_b32_e32 v88, v81, v4
	v_or_b32_e32 v46, 0x200, v1
	v_or_b32_e32 v47, 0x300, v1
	s_wait_alu 0xf1ff
	v_add_co_ci_u32_e64 v49, null, s41, 0, s2
	v_add_co_u32 v6, s8, s46, v2
	s_wait_alu 0xf1ff
	v_add_co_ci_u32_e64 v7, null, s47, 0, s8
	v_add_co_u32 v8, s8, s40, v5
	;; [unrolled: 3-line block ×7, first 2 shown]
	v_add_co_u32 v109, vcc_lo, v6, v91
	s_wait_alu 0xf1ff
	v_add_co_ci_u32_e64 v80, null, s43, 0, s8
	v_add_co_u32 v82, s8, s36, v5
	s_wait_alu 0xfffd
	v_add_co_ci_u32_e64 v110, null, 0, v7, vcc_lo
	v_add_co_u32 v111, vcc_lo, v8, v107
	v_or_b32_e32 v50, 0x400, v1
	v_or_b32_e32 v51, 0x500, v1
	;; [unrolled: 1-line block ×12, first 2 shown]
	v_cmp_gt_u32_e64 s2, 0x100, v1
	v_or_b32_e32 v65, 0x8400, v63
	v_cmp_gt_u32_e64 s4, 8, v1
	v_add_nc_u32_e32 v66, 0x8400, v44
	v_cmp_lt_u32_e64 s5, 31, v1
	v_add_nc_u32_e32 v68, 0x83fc, v63
	v_bfe_u32 v69, v0, 20, 10
	v_bfe_u32 v0, v0, 10, 10
	v_cmp_eq_u32_e64 s6, 0, v1
	v_cmp_ne_u32_e64 s7, 0xff, v1
	s_wait_alu 0xf1ff
	v_add_co_ci_u32_e64 v83, null, s37, 0, s8
	v_and_b32_e32 v85, 15, v81
	v_bfe_i32 v86, v81, 4, 1
	v_and_b32_e32 v87, 16, v81
	v_and_b32_e32 v89, 7, v81
	v_sub_co_u32 v90, s8, v81, 1
	v_or_b32_e32 v92, 32, v88
	v_or_b32_e32 v93, 64, v88
	;; [unrolled: 1-line block ×15, first 2 shown]
	v_lshlrev_b32_e32 v108, 2, v1
	s_wait_alu 0xfffd
	v_add_co_ci_u32_e64 v112, null, 0, v9, vcc_lo
	s_add_nc_u64 s[34:35], s[0:1], 0x50
	s_mov_b32 s43, 0
	s_mov_b32 s31, s49
	s_branch .LBB1360_17
.LBB1360_15:                            ;   in Loop: Header=BB1360_17 Depth=1
	s_wait_loadcnt_dscnt 0x0
	s_barrier_signal -1
	s_barrier_wait -1
.LBB1360_16:                            ;   in Loop: Header=BB1360_17 Depth=1
	s_add_co_i32 s31, s31, 8
	global_inv scope:SCOPE_SE
	s_wait_alu 0xfffe
	s_cmp_ge_u32 s31, s50
	s_cbranch_scc1 .LBB1360_1187
.LBB1360_17:                            ; =>This Loop Header: Depth=1
                                        ;     Child Loop BB1360_21 Depth 2
                                        ;     Child Loop BB1360_101 Depth 2
	;; [unrolled: 1-line block ×8, first 2 shown]
	s_wait_alu 0xfffe
	s_sub_co_i32 s0, s50, s31
	s_xor_b32 s52, s52, -1
	s_wait_alu 0xfffe
	s_min_u32 s0, s0, 8
	ds_store_2addr_stride64_b32 v44, v3, v3 offset1:4
	s_wait_alu 0xfffe
	s_lshl_b32 s0, -1, s0
	ds_store_2addr_stride64_b32 v44, v3, v3 offset0:8 offset1:12
	s_wait_alu 0xfffe
	s_not_b32 s48, s0
	s_cmp_lg_u32 s31, s49
	s_mov_b32 s0, -1
	s_wait_storecnt_dscnt 0x0
	s_cbranch_scc0 .LBB1360_603
; %bb.18:                               ;   in Loop: Header=BB1360_17 Depth=1
	s_and_b32 vcc_lo, exec_lo, s52
	s_wait_alu 0xfffe
	s_cbranch_vccz .LBB1360_310
; %bb.19:                               ;   in Loop: Header=BB1360_17 Depth=1
	s_mov_b32 s9, s53
	s_mov_b32 s42, s33
	s_barrier_signal -1
	s_barrier_wait -1
	global_inv scope:SCOPE_SE
                                        ; implicit-def: $vgpr2
                                        ; implicit-def: $vgpr4
                                        ; implicit-def: $vgpr5
                                        ; implicit-def: $vgpr6
                                        ; implicit-def: $vgpr7
                                        ; implicit-def: $vgpr8
                                        ; implicit-def: $vgpr9
                                        ; implicit-def: $vgpr10
                                        ; implicit-def: $vgpr11
                                        ; implicit-def: $vgpr12
                                        ; implicit-def: $vgpr13
                                        ; implicit-def: $vgpr14
                                        ; implicit-def: $vgpr15
                                        ; implicit-def: $vgpr16
                                        ; implicit-def: $vgpr17
                                        ; implicit-def: $vgpr18
	s_branch .LBB1360_21
.LBB1360_20:                            ;   in Loop: Header=BB1360_21 Depth=2
	s_wait_alu 0xfffe
	s_or_b32 exec_lo, exec_lo, s0
	s_addk_co_i32 s9, 0xf000
	s_cmp_ge_u32 s10, s51
	s_mov_b32 s42, s10
	s_cbranch_scc1 .LBB1360_89
.LBB1360_21:                            ;   Parent Loop BB1360_17 Depth=1
                                        ; =>  This Inner Loop Header: Depth=2
	s_wait_alu 0xfffe
	s_add_co_i32 s10, s42, 0x1000
	s_mov_b32 s0, -1
	s_wait_alu 0xfffe
	s_cmp_gt_u32 s10, s51
                                        ; implicit-def: $vgpr19
                                        ; implicit-def: $vgpr20
                                        ; implicit-def: $vgpr21
                                        ; implicit-def: $vgpr22
                                        ; implicit-def: $vgpr23
                                        ; implicit-def: $vgpr24
                                        ; implicit-def: $vgpr25
                                        ; implicit-def: $vgpr26
                                        ; implicit-def: $vgpr27
                                        ; implicit-def: $vgpr28
                                        ; implicit-def: $vgpr29
                                        ; implicit-def: $vgpr30
                                        ; implicit-def: $vgpr31
                                        ; implicit-def: $vgpr32
                                        ; implicit-def: $vgpr33
                                        ; implicit-def: $vgpr34
	s_cbranch_scc1 .LBB1360_23
; %bb.22:                               ;   in Loop: Header=BB1360_21 Depth=2
	s_lshl_b64 s[0:1], s[42:43], 2
	s_wait_alu 0xfffe
	v_add_co_u32 v34, vcc_lo, v48, s0
	s_wait_alu 0xfffd
	v_add_co_ci_u32_e64 v35, null, s1, v49, vcc_lo
	s_mov_b32 s0, 0
	s_clause 0xf
	global_load_b32 v19, v[34:35], off
	global_load_b32 v20, v[34:35], off offset:1024
	global_load_b32 v21, v[34:35], off offset:2048
	;; [unrolled: 1-line block ×15, first 2 shown]
.LBB1360_23:                            ;   in Loop: Header=BB1360_21 Depth=2
	s_wait_alu 0xfffe
	s_and_not1_b32 vcc_lo, exec_lo, s0
	s_movk_i32 s0, 0x1000
	s_wait_alu 0xfffe
	s_cbranch_vccnz .LBB1360_42
; %bb.24:                               ;   in Loop: Header=BB1360_21 Depth=2
	s_lshl_b64 s[0:1], s[42:43], 2
	s_mov_b32 s11, exec_lo
	s_wait_alu 0xfffe
	s_add_nc_u64 s[0:1], s[40:41], s[0:1]
	v_cmpx_gt_u32_e64 s9, v1
	s_cbranch_execnz .LBB1360_74
; %bb.25:                               ;   in Loop: Header=BB1360_21 Depth=2
	s_or_b32 exec_lo, exec_lo, s11
	s_delay_alu instid0(SALU_CYCLE_1)
	s_mov_b32 s11, exec_lo
	v_cmpx_gt_u32_e64 s9, v45
	s_cbranch_execnz .LBB1360_75
.LBB1360_26:                            ;   in Loop: Header=BB1360_21 Depth=2
	s_wait_alu 0xfffe
	s_or_b32 exec_lo, exec_lo, s11
	s_delay_alu instid0(SALU_CYCLE_1)
	s_mov_b32 s11, exec_lo
	v_cmpx_gt_u32_e64 s9, v46
	s_cbranch_execnz .LBB1360_76
.LBB1360_27:                            ;   in Loop: Header=BB1360_21 Depth=2
	s_wait_alu 0xfffe
	s_or_b32 exec_lo, exec_lo, s11
	s_delay_alu instid0(SALU_CYCLE_1)
	s_mov_b32 s11, exec_lo
	v_cmpx_gt_u32_e64 s9, v47
	s_cbranch_execnz .LBB1360_77
.LBB1360_28:                            ;   in Loop: Header=BB1360_21 Depth=2
	s_wait_alu 0xfffe
	s_or_b32 exec_lo, exec_lo, s11
	s_delay_alu instid0(SALU_CYCLE_1)
	s_mov_b32 s11, exec_lo
	v_cmpx_gt_u32_e64 s9, v50
	s_cbranch_execnz .LBB1360_78
.LBB1360_29:                            ;   in Loop: Header=BB1360_21 Depth=2
	s_wait_alu 0xfffe
	s_or_b32 exec_lo, exec_lo, s11
	s_delay_alu instid0(SALU_CYCLE_1)
	s_mov_b32 s11, exec_lo
	v_cmpx_gt_u32_e64 s9, v51
	s_cbranch_execnz .LBB1360_79
.LBB1360_30:                            ;   in Loop: Header=BB1360_21 Depth=2
	s_wait_alu 0xfffe
	s_or_b32 exec_lo, exec_lo, s11
	s_delay_alu instid0(SALU_CYCLE_1)
	s_mov_b32 s11, exec_lo
	v_cmpx_gt_u32_e64 s9, v52
	s_cbranch_execnz .LBB1360_80
.LBB1360_31:                            ;   in Loop: Header=BB1360_21 Depth=2
	s_wait_alu 0xfffe
	s_or_b32 exec_lo, exec_lo, s11
	s_delay_alu instid0(SALU_CYCLE_1)
	s_mov_b32 s11, exec_lo
	v_cmpx_gt_u32_e64 s9, v53
	s_cbranch_execnz .LBB1360_81
.LBB1360_32:                            ;   in Loop: Header=BB1360_21 Depth=2
	s_wait_alu 0xfffe
	s_or_b32 exec_lo, exec_lo, s11
	s_delay_alu instid0(SALU_CYCLE_1)
	s_mov_b32 s11, exec_lo
	v_cmpx_gt_u32_e64 s9, v54
	s_cbranch_execnz .LBB1360_82
.LBB1360_33:                            ;   in Loop: Header=BB1360_21 Depth=2
	s_wait_alu 0xfffe
	s_or_b32 exec_lo, exec_lo, s11
	s_delay_alu instid0(SALU_CYCLE_1)
	s_mov_b32 s11, exec_lo
	v_cmpx_gt_u32_e64 s9, v55
	s_cbranch_execnz .LBB1360_83
.LBB1360_34:                            ;   in Loop: Header=BB1360_21 Depth=2
	s_wait_alu 0xfffe
	s_or_b32 exec_lo, exec_lo, s11
	s_delay_alu instid0(SALU_CYCLE_1)
	s_mov_b32 s11, exec_lo
	v_cmpx_gt_u32_e64 s9, v56
	s_cbranch_execnz .LBB1360_84
.LBB1360_35:                            ;   in Loop: Header=BB1360_21 Depth=2
	s_wait_alu 0xfffe
	s_or_b32 exec_lo, exec_lo, s11
	s_delay_alu instid0(SALU_CYCLE_1)
	s_mov_b32 s11, exec_lo
	v_cmpx_gt_u32_e64 s9, v57
	s_cbranch_execnz .LBB1360_85
.LBB1360_36:                            ;   in Loop: Header=BB1360_21 Depth=2
	s_wait_alu 0xfffe
	s_or_b32 exec_lo, exec_lo, s11
	s_delay_alu instid0(SALU_CYCLE_1)
	s_mov_b32 s11, exec_lo
	v_cmpx_gt_u32_e64 s9, v58
	s_cbranch_execnz .LBB1360_86
.LBB1360_37:                            ;   in Loop: Header=BB1360_21 Depth=2
	s_wait_alu 0xfffe
	s_or_b32 exec_lo, exec_lo, s11
	s_delay_alu instid0(SALU_CYCLE_1)
	s_mov_b32 s11, exec_lo
	v_cmpx_gt_u32_e64 s9, v59
	s_cbranch_execnz .LBB1360_87
.LBB1360_38:                            ;   in Loop: Header=BB1360_21 Depth=2
	s_wait_alu 0xfffe
	s_or_b32 exec_lo, exec_lo, s11
	s_delay_alu instid0(SALU_CYCLE_1)
	s_mov_b32 s11, exec_lo
	v_cmpx_gt_u32_e64 s9, v60
	s_cbranch_execnz .LBB1360_88
.LBB1360_39:                            ;   in Loop: Header=BB1360_21 Depth=2
	s_wait_alu 0xfffe
	s_or_b32 exec_lo, exec_lo, s11
	s_delay_alu instid0(SALU_CYCLE_1)
	s_mov_b32 s11, exec_lo
	v_cmpx_gt_u32_e64 s9, v61
	s_cbranch_execz .LBB1360_41
.LBB1360_40:                            ;   in Loop: Header=BB1360_21 Depth=2
	global_load_b32 v2, v108, s[0:1] offset:15360
.LBB1360_41:                            ;   in Loop: Header=BB1360_21 Depth=2
	s_wait_alu 0xfffe
	s_or_b32 exec_lo, exec_lo, s11
	s_wait_loadcnt 0x0
	v_dual_mov_b32 v19, v18 :: v_dual_mov_b32 v20, v17
	v_dual_mov_b32 v21, v16 :: v_dual_mov_b32 v22, v15
	;; [unrolled: 1-line block ×8, first 2 shown]
	s_mov_b32 s0, s9
.LBB1360_42:                            ;   in Loop: Header=BB1360_21 Depth=2
	s_wait_loadcnt 0x0
	s_delay_alu instid0(VALU_DEP_1) | instskip(NEXT) | instid1(VALU_DEP_2)
	v_dual_mov_b32 v2, v34 :: v_dual_mov_b32 v5, v32
	v_dual_mov_b32 v4, v33 :: v_dual_mov_b32 v7, v30
	;; [unrolled: 1-line block ×7, first 2 shown]
	v_mov_b32_e32 v16, v21
	v_mov_b32_e32 v18, v19
	s_mov_b32 s1, exec_lo
	s_wait_alu 0xfffe
	v_cmpx_gt_u32_e64 s0, v1
	s_cbranch_execnz .LBB1360_58
; %bb.43:                               ;   in Loop: Header=BB1360_21 Depth=2
	s_or_b32 exec_lo, exec_lo, s1
	s_delay_alu instid0(SALU_CYCLE_1)
	s_mov_b32 s1, exec_lo
	v_cmpx_gt_u32_e64 s0, v45
	s_cbranch_execnz .LBB1360_59
.LBB1360_44:                            ;   in Loop: Header=BB1360_21 Depth=2
	s_wait_alu 0xfffe
	s_or_b32 exec_lo, exec_lo, s1
	s_delay_alu instid0(SALU_CYCLE_1)
	s_mov_b32 s1, exec_lo
	v_cmpx_gt_u32_e64 s0, v46
	s_cbranch_execnz .LBB1360_60
.LBB1360_45:                            ;   in Loop: Header=BB1360_21 Depth=2
	s_wait_alu 0xfffe
	s_or_b32 exec_lo, exec_lo, s1
	s_delay_alu instid0(SALU_CYCLE_1)
	s_mov_b32 s1, exec_lo
	v_cmpx_gt_u32_e64 s0, v47
	s_cbranch_execnz .LBB1360_61
.LBB1360_46:                            ;   in Loop: Header=BB1360_21 Depth=2
	s_wait_alu 0xfffe
	s_or_b32 exec_lo, exec_lo, s1
	s_delay_alu instid0(SALU_CYCLE_1)
	s_mov_b32 s1, exec_lo
	v_cmpx_gt_u32_e64 s0, v50
	s_cbranch_execnz .LBB1360_62
.LBB1360_47:                            ;   in Loop: Header=BB1360_21 Depth=2
	s_wait_alu 0xfffe
	s_or_b32 exec_lo, exec_lo, s1
	s_delay_alu instid0(SALU_CYCLE_1)
	s_mov_b32 s1, exec_lo
	v_cmpx_gt_u32_e64 s0, v51
	s_cbranch_execnz .LBB1360_63
.LBB1360_48:                            ;   in Loop: Header=BB1360_21 Depth=2
	s_wait_alu 0xfffe
	s_or_b32 exec_lo, exec_lo, s1
	s_delay_alu instid0(SALU_CYCLE_1)
	s_mov_b32 s1, exec_lo
	v_cmpx_gt_u32_e64 s0, v52
	s_cbranch_execnz .LBB1360_64
.LBB1360_49:                            ;   in Loop: Header=BB1360_21 Depth=2
	s_wait_alu 0xfffe
	s_or_b32 exec_lo, exec_lo, s1
	s_delay_alu instid0(SALU_CYCLE_1)
	s_mov_b32 s1, exec_lo
	v_cmpx_gt_u32_e64 s0, v53
	s_cbranch_execnz .LBB1360_65
.LBB1360_50:                            ;   in Loop: Header=BB1360_21 Depth=2
	s_wait_alu 0xfffe
	s_or_b32 exec_lo, exec_lo, s1
	s_delay_alu instid0(SALU_CYCLE_1)
	s_mov_b32 s1, exec_lo
	v_cmpx_gt_u32_e64 s0, v54
	s_cbranch_execnz .LBB1360_66
.LBB1360_51:                            ;   in Loop: Header=BB1360_21 Depth=2
	s_wait_alu 0xfffe
	s_or_b32 exec_lo, exec_lo, s1
	s_delay_alu instid0(SALU_CYCLE_1)
	s_mov_b32 s1, exec_lo
	v_cmpx_gt_u32_e64 s0, v55
	s_cbranch_execnz .LBB1360_67
.LBB1360_52:                            ;   in Loop: Header=BB1360_21 Depth=2
	s_wait_alu 0xfffe
	s_or_b32 exec_lo, exec_lo, s1
	s_delay_alu instid0(SALU_CYCLE_1)
	s_mov_b32 s1, exec_lo
	v_cmpx_gt_u32_e64 s0, v56
	s_cbranch_execnz .LBB1360_68
.LBB1360_53:                            ;   in Loop: Header=BB1360_21 Depth=2
	s_wait_alu 0xfffe
	s_or_b32 exec_lo, exec_lo, s1
	s_delay_alu instid0(SALU_CYCLE_1)
	s_mov_b32 s1, exec_lo
	v_cmpx_gt_u32_e64 s0, v57
	s_cbranch_execnz .LBB1360_69
.LBB1360_54:                            ;   in Loop: Header=BB1360_21 Depth=2
	s_wait_alu 0xfffe
	s_or_b32 exec_lo, exec_lo, s1
	s_delay_alu instid0(SALU_CYCLE_1)
	s_mov_b32 s1, exec_lo
	v_cmpx_gt_u32_e64 s0, v58
	s_cbranch_execnz .LBB1360_70
.LBB1360_55:                            ;   in Loop: Header=BB1360_21 Depth=2
	s_wait_alu 0xfffe
	s_or_b32 exec_lo, exec_lo, s1
	s_delay_alu instid0(SALU_CYCLE_1)
	s_mov_b32 s1, exec_lo
	v_cmpx_gt_u32_e64 s0, v59
	s_cbranch_execnz .LBB1360_71
.LBB1360_56:                            ;   in Loop: Header=BB1360_21 Depth=2
	s_wait_alu 0xfffe
	s_or_b32 exec_lo, exec_lo, s1
	s_delay_alu instid0(SALU_CYCLE_1)
	s_mov_b32 s1, exec_lo
	v_cmpx_gt_u32_e64 s0, v60
	s_cbranch_execnz .LBB1360_72
.LBB1360_57:                            ;   in Loop: Header=BB1360_21 Depth=2
	s_wait_alu 0xfffe
	s_or_b32 exec_lo, exec_lo, s1
	v_cmp_gt_u32_e32 vcc_lo, s0, v61
	s_and_saveexec_b32 s0, vcc_lo
	s_cbranch_execz .LBB1360_20
	s_branch .LBB1360_73
.LBB1360_58:                            ;   in Loop: Header=BB1360_21 Depth=2
	v_cmp_gt_i32_e32 vcc_lo, 0, v18
	s_wait_alu 0xfffd
	v_cndmask_b32_e64 v19, 0x7fffffff, 0, vcc_lo
	s_delay_alu instid0(VALU_DEP_1) | instskip(NEXT) | instid1(VALU_DEP_1)
	v_xor_b32_e32 v19, v19, v18
	v_cmp_ne_u32_e32 vcc_lo, 0x80000000, v19
	s_wait_alu 0xfffd
	v_cndmask_b32_e32 v19, 0x7fffffff, v19, vcc_lo
	s_delay_alu instid0(VALU_DEP_1) | instskip(NEXT) | instid1(VALU_DEP_1)
	v_lshrrev_b32_e32 v19, s31, v19
	v_and_b32_e32 v19, s48, v19
	s_delay_alu instid0(VALU_DEP_1) | instskip(SKIP_2) | instid1(SALU_CYCLE_1)
	v_lshl_or_b32 v19, v19, 4, v62
	ds_add_u32 v19, v84
	s_or_b32 exec_lo, exec_lo, s1
	s_mov_b32 s1, exec_lo
	v_cmpx_gt_u32_e64 s0, v45
	s_cbranch_execz .LBB1360_44
.LBB1360_59:                            ;   in Loop: Header=BB1360_21 Depth=2
	v_cmp_gt_i32_e32 vcc_lo, 0, v17
	s_wait_alu 0xfffd
	v_cndmask_b32_e64 v19, 0x7fffffff, 0, vcc_lo
	s_delay_alu instid0(VALU_DEP_1) | instskip(NEXT) | instid1(VALU_DEP_1)
	v_xor_b32_e32 v19, v19, v17
	v_cmp_ne_u32_e32 vcc_lo, 0x80000000, v19
	s_wait_alu 0xfffd
	v_cndmask_b32_e32 v19, 0x7fffffff, v19, vcc_lo
	s_delay_alu instid0(VALU_DEP_1) | instskip(NEXT) | instid1(VALU_DEP_1)
	v_lshrrev_b32_e32 v19, s31, v19
	v_and_b32_e32 v19, s48, v19
	s_delay_alu instid0(VALU_DEP_1) | instskip(SKIP_3) | instid1(SALU_CYCLE_1)
	v_lshl_or_b32 v19, v19, 4, v62
	ds_add_u32 v19, v84
	s_wait_alu 0xfffe
	s_or_b32 exec_lo, exec_lo, s1
	s_mov_b32 s1, exec_lo
	v_cmpx_gt_u32_e64 s0, v46
	s_cbranch_execz .LBB1360_45
.LBB1360_60:                            ;   in Loop: Header=BB1360_21 Depth=2
	v_cmp_gt_i32_e32 vcc_lo, 0, v16
	s_wait_alu 0xfffd
	v_cndmask_b32_e64 v19, 0x7fffffff, 0, vcc_lo
	s_delay_alu instid0(VALU_DEP_1) | instskip(NEXT) | instid1(VALU_DEP_1)
	v_xor_b32_e32 v19, v19, v16
	v_cmp_ne_u32_e32 vcc_lo, 0x80000000, v19
	s_wait_alu 0xfffd
	v_cndmask_b32_e32 v19, 0x7fffffff, v19, vcc_lo
	s_delay_alu instid0(VALU_DEP_1) | instskip(NEXT) | instid1(VALU_DEP_1)
	v_lshrrev_b32_e32 v19, s31, v19
	v_and_b32_e32 v19, s48, v19
	s_delay_alu instid0(VALU_DEP_1) | instskip(SKIP_3) | instid1(SALU_CYCLE_1)
	v_lshl_or_b32 v19, v19, 4, v62
	ds_add_u32 v19, v84
	s_wait_alu 0xfffe
	s_or_b32 exec_lo, exec_lo, s1
	s_mov_b32 s1, exec_lo
	v_cmpx_gt_u32_e64 s0, v47
	s_cbranch_execz .LBB1360_46
.LBB1360_61:                            ;   in Loop: Header=BB1360_21 Depth=2
	v_cmp_gt_i32_e32 vcc_lo, 0, v15
	s_wait_alu 0xfffd
	v_cndmask_b32_e64 v19, 0x7fffffff, 0, vcc_lo
	s_delay_alu instid0(VALU_DEP_1) | instskip(NEXT) | instid1(VALU_DEP_1)
	v_xor_b32_e32 v19, v19, v15
	v_cmp_ne_u32_e32 vcc_lo, 0x80000000, v19
	s_wait_alu 0xfffd
	v_cndmask_b32_e32 v19, 0x7fffffff, v19, vcc_lo
	s_delay_alu instid0(VALU_DEP_1) | instskip(NEXT) | instid1(VALU_DEP_1)
	v_lshrrev_b32_e32 v19, s31, v19
	v_and_b32_e32 v19, s48, v19
	s_delay_alu instid0(VALU_DEP_1) | instskip(SKIP_3) | instid1(SALU_CYCLE_1)
	v_lshl_or_b32 v19, v19, 4, v62
	ds_add_u32 v19, v84
	s_wait_alu 0xfffe
	s_or_b32 exec_lo, exec_lo, s1
	s_mov_b32 s1, exec_lo
	v_cmpx_gt_u32_e64 s0, v50
	s_cbranch_execz .LBB1360_47
.LBB1360_62:                            ;   in Loop: Header=BB1360_21 Depth=2
	v_cmp_gt_i32_e32 vcc_lo, 0, v14
	s_wait_alu 0xfffd
	v_cndmask_b32_e64 v19, 0x7fffffff, 0, vcc_lo
	s_delay_alu instid0(VALU_DEP_1) | instskip(NEXT) | instid1(VALU_DEP_1)
	v_xor_b32_e32 v19, v19, v14
	v_cmp_ne_u32_e32 vcc_lo, 0x80000000, v19
	s_wait_alu 0xfffd
	v_cndmask_b32_e32 v19, 0x7fffffff, v19, vcc_lo
	s_delay_alu instid0(VALU_DEP_1) | instskip(NEXT) | instid1(VALU_DEP_1)
	v_lshrrev_b32_e32 v19, s31, v19
	v_and_b32_e32 v19, s48, v19
	s_delay_alu instid0(VALU_DEP_1) | instskip(SKIP_3) | instid1(SALU_CYCLE_1)
	v_lshl_or_b32 v19, v19, 4, v62
	ds_add_u32 v19, v84
	s_wait_alu 0xfffe
	s_or_b32 exec_lo, exec_lo, s1
	s_mov_b32 s1, exec_lo
	v_cmpx_gt_u32_e64 s0, v51
	s_cbranch_execz .LBB1360_48
.LBB1360_63:                            ;   in Loop: Header=BB1360_21 Depth=2
	v_cmp_gt_i32_e32 vcc_lo, 0, v13
	s_wait_alu 0xfffd
	v_cndmask_b32_e64 v19, 0x7fffffff, 0, vcc_lo
	s_delay_alu instid0(VALU_DEP_1) | instskip(NEXT) | instid1(VALU_DEP_1)
	v_xor_b32_e32 v19, v19, v13
	v_cmp_ne_u32_e32 vcc_lo, 0x80000000, v19
	s_wait_alu 0xfffd
	v_cndmask_b32_e32 v19, 0x7fffffff, v19, vcc_lo
	s_delay_alu instid0(VALU_DEP_1) | instskip(NEXT) | instid1(VALU_DEP_1)
	v_lshrrev_b32_e32 v19, s31, v19
	v_and_b32_e32 v19, s48, v19
	s_delay_alu instid0(VALU_DEP_1) | instskip(SKIP_3) | instid1(SALU_CYCLE_1)
	v_lshl_or_b32 v19, v19, 4, v62
	ds_add_u32 v19, v84
	s_wait_alu 0xfffe
	s_or_b32 exec_lo, exec_lo, s1
	s_mov_b32 s1, exec_lo
	v_cmpx_gt_u32_e64 s0, v52
	s_cbranch_execz .LBB1360_49
.LBB1360_64:                            ;   in Loop: Header=BB1360_21 Depth=2
	v_cmp_gt_i32_e32 vcc_lo, 0, v12
	s_wait_alu 0xfffd
	v_cndmask_b32_e64 v19, 0x7fffffff, 0, vcc_lo
	s_delay_alu instid0(VALU_DEP_1) | instskip(NEXT) | instid1(VALU_DEP_1)
	v_xor_b32_e32 v19, v19, v12
	v_cmp_ne_u32_e32 vcc_lo, 0x80000000, v19
	s_wait_alu 0xfffd
	v_cndmask_b32_e32 v19, 0x7fffffff, v19, vcc_lo
	s_delay_alu instid0(VALU_DEP_1) | instskip(NEXT) | instid1(VALU_DEP_1)
	v_lshrrev_b32_e32 v19, s31, v19
	v_and_b32_e32 v19, s48, v19
	s_delay_alu instid0(VALU_DEP_1) | instskip(SKIP_3) | instid1(SALU_CYCLE_1)
	v_lshl_or_b32 v19, v19, 4, v62
	ds_add_u32 v19, v84
	s_wait_alu 0xfffe
	s_or_b32 exec_lo, exec_lo, s1
	s_mov_b32 s1, exec_lo
	v_cmpx_gt_u32_e64 s0, v53
	s_cbranch_execz .LBB1360_50
.LBB1360_65:                            ;   in Loop: Header=BB1360_21 Depth=2
	v_cmp_gt_i32_e32 vcc_lo, 0, v11
	s_wait_alu 0xfffd
	v_cndmask_b32_e64 v19, 0x7fffffff, 0, vcc_lo
	s_delay_alu instid0(VALU_DEP_1) | instskip(NEXT) | instid1(VALU_DEP_1)
	v_xor_b32_e32 v19, v19, v11
	v_cmp_ne_u32_e32 vcc_lo, 0x80000000, v19
	s_wait_alu 0xfffd
	v_cndmask_b32_e32 v19, 0x7fffffff, v19, vcc_lo
	s_delay_alu instid0(VALU_DEP_1) | instskip(NEXT) | instid1(VALU_DEP_1)
	v_lshrrev_b32_e32 v19, s31, v19
	v_and_b32_e32 v19, s48, v19
	s_delay_alu instid0(VALU_DEP_1) | instskip(SKIP_3) | instid1(SALU_CYCLE_1)
	v_lshl_or_b32 v19, v19, 4, v62
	ds_add_u32 v19, v84
	s_wait_alu 0xfffe
	s_or_b32 exec_lo, exec_lo, s1
	s_mov_b32 s1, exec_lo
	v_cmpx_gt_u32_e64 s0, v54
	s_cbranch_execz .LBB1360_51
.LBB1360_66:                            ;   in Loop: Header=BB1360_21 Depth=2
	v_cmp_gt_i32_e32 vcc_lo, 0, v10
	s_wait_alu 0xfffd
	v_cndmask_b32_e64 v19, 0x7fffffff, 0, vcc_lo
	s_delay_alu instid0(VALU_DEP_1) | instskip(NEXT) | instid1(VALU_DEP_1)
	v_xor_b32_e32 v19, v19, v10
	v_cmp_ne_u32_e32 vcc_lo, 0x80000000, v19
	s_wait_alu 0xfffd
	v_cndmask_b32_e32 v19, 0x7fffffff, v19, vcc_lo
	s_delay_alu instid0(VALU_DEP_1) | instskip(NEXT) | instid1(VALU_DEP_1)
	v_lshrrev_b32_e32 v19, s31, v19
	v_and_b32_e32 v19, s48, v19
	s_delay_alu instid0(VALU_DEP_1) | instskip(SKIP_3) | instid1(SALU_CYCLE_1)
	v_lshl_or_b32 v19, v19, 4, v62
	ds_add_u32 v19, v84
	s_wait_alu 0xfffe
	s_or_b32 exec_lo, exec_lo, s1
	s_mov_b32 s1, exec_lo
	v_cmpx_gt_u32_e64 s0, v55
	s_cbranch_execz .LBB1360_52
.LBB1360_67:                            ;   in Loop: Header=BB1360_21 Depth=2
	v_cmp_gt_i32_e32 vcc_lo, 0, v9
	s_wait_alu 0xfffd
	v_cndmask_b32_e64 v19, 0x7fffffff, 0, vcc_lo
	s_delay_alu instid0(VALU_DEP_1) | instskip(NEXT) | instid1(VALU_DEP_1)
	v_xor_b32_e32 v19, v19, v9
	v_cmp_ne_u32_e32 vcc_lo, 0x80000000, v19
	s_wait_alu 0xfffd
	v_cndmask_b32_e32 v19, 0x7fffffff, v19, vcc_lo
	s_delay_alu instid0(VALU_DEP_1) | instskip(NEXT) | instid1(VALU_DEP_1)
	v_lshrrev_b32_e32 v19, s31, v19
	v_and_b32_e32 v19, s48, v19
	s_delay_alu instid0(VALU_DEP_1) | instskip(SKIP_3) | instid1(SALU_CYCLE_1)
	v_lshl_or_b32 v19, v19, 4, v62
	ds_add_u32 v19, v84
	s_wait_alu 0xfffe
	s_or_b32 exec_lo, exec_lo, s1
	s_mov_b32 s1, exec_lo
	v_cmpx_gt_u32_e64 s0, v56
	s_cbranch_execz .LBB1360_53
.LBB1360_68:                            ;   in Loop: Header=BB1360_21 Depth=2
	v_cmp_gt_i32_e32 vcc_lo, 0, v8
	s_wait_alu 0xfffd
	v_cndmask_b32_e64 v19, 0x7fffffff, 0, vcc_lo
	s_delay_alu instid0(VALU_DEP_1) | instskip(NEXT) | instid1(VALU_DEP_1)
	v_xor_b32_e32 v19, v19, v8
	v_cmp_ne_u32_e32 vcc_lo, 0x80000000, v19
	s_wait_alu 0xfffd
	v_cndmask_b32_e32 v19, 0x7fffffff, v19, vcc_lo
	s_delay_alu instid0(VALU_DEP_1) | instskip(NEXT) | instid1(VALU_DEP_1)
	v_lshrrev_b32_e32 v19, s31, v19
	v_and_b32_e32 v19, s48, v19
	s_delay_alu instid0(VALU_DEP_1) | instskip(SKIP_3) | instid1(SALU_CYCLE_1)
	v_lshl_or_b32 v19, v19, 4, v62
	ds_add_u32 v19, v84
	s_wait_alu 0xfffe
	s_or_b32 exec_lo, exec_lo, s1
	s_mov_b32 s1, exec_lo
	v_cmpx_gt_u32_e64 s0, v57
	s_cbranch_execz .LBB1360_54
.LBB1360_69:                            ;   in Loop: Header=BB1360_21 Depth=2
	v_cmp_gt_i32_e32 vcc_lo, 0, v7
	s_wait_alu 0xfffd
	v_cndmask_b32_e64 v19, 0x7fffffff, 0, vcc_lo
	s_delay_alu instid0(VALU_DEP_1) | instskip(NEXT) | instid1(VALU_DEP_1)
	v_xor_b32_e32 v19, v19, v7
	v_cmp_ne_u32_e32 vcc_lo, 0x80000000, v19
	s_wait_alu 0xfffd
	v_cndmask_b32_e32 v19, 0x7fffffff, v19, vcc_lo
	s_delay_alu instid0(VALU_DEP_1) | instskip(NEXT) | instid1(VALU_DEP_1)
	v_lshrrev_b32_e32 v19, s31, v19
	v_and_b32_e32 v19, s48, v19
	s_delay_alu instid0(VALU_DEP_1) | instskip(SKIP_3) | instid1(SALU_CYCLE_1)
	v_lshl_or_b32 v19, v19, 4, v62
	ds_add_u32 v19, v84
	s_wait_alu 0xfffe
	s_or_b32 exec_lo, exec_lo, s1
	s_mov_b32 s1, exec_lo
	v_cmpx_gt_u32_e64 s0, v58
	s_cbranch_execz .LBB1360_55
.LBB1360_70:                            ;   in Loop: Header=BB1360_21 Depth=2
	v_cmp_gt_i32_e32 vcc_lo, 0, v6
	s_wait_alu 0xfffd
	v_cndmask_b32_e64 v19, 0x7fffffff, 0, vcc_lo
	s_delay_alu instid0(VALU_DEP_1) | instskip(NEXT) | instid1(VALU_DEP_1)
	v_xor_b32_e32 v19, v19, v6
	v_cmp_ne_u32_e32 vcc_lo, 0x80000000, v19
	s_wait_alu 0xfffd
	v_cndmask_b32_e32 v19, 0x7fffffff, v19, vcc_lo
	s_delay_alu instid0(VALU_DEP_1) | instskip(NEXT) | instid1(VALU_DEP_1)
	v_lshrrev_b32_e32 v19, s31, v19
	v_and_b32_e32 v19, s48, v19
	s_delay_alu instid0(VALU_DEP_1) | instskip(SKIP_3) | instid1(SALU_CYCLE_1)
	v_lshl_or_b32 v19, v19, 4, v62
	ds_add_u32 v19, v84
	s_wait_alu 0xfffe
	s_or_b32 exec_lo, exec_lo, s1
	s_mov_b32 s1, exec_lo
	v_cmpx_gt_u32_e64 s0, v59
	s_cbranch_execz .LBB1360_56
.LBB1360_71:                            ;   in Loop: Header=BB1360_21 Depth=2
	v_cmp_gt_i32_e32 vcc_lo, 0, v5
	s_wait_alu 0xfffd
	v_cndmask_b32_e64 v19, 0x7fffffff, 0, vcc_lo
	s_delay_alu instid0(VALU_DEP_1) | instskip(NEXT) | instid1(VALU_DEP_1)
	v_xor_b32_e32 v19, v19, v5
	v_cmp_ne_u32_e32 vcc_lo, 0x80000000, v19
	s_wait_alu 0xfffd
	v_cndmask_b32_e32 v19, 0x7fffffff, v19, vcc_lo
	s_delay_alu instid0(VALU_DEP_1) | instskip(NEXT) | instid1(VALU_DEP_1)
	v_lshrrev_b32_e32 v19, s31, v19
	v_and_b32_e32 v19, s48, v19
	s_delay_alu instid0(VALU_DEP_1) | instskip(SKIP_3) | instid1(SALU_CYCLE_1)
	v_lshl_or_b32 v19, v19, 4, v62
	ds_add_u32 v19, v84
	s_wait_alu 0xfffe
	s_or_b32 exec_lo, exec_lo, s1
	s_mov_b32 s1, exec_lo
	v_cmpx_gt_u32_e64 s0, v60
	s_cbranch_execz .LBB1360_57
.LBB1360_72:                            ;   in Loop: Header=BB1360_21 Depth=2
	v_cmp_gt_i32_e32 vcc_lo, 0, v4
	s_wait_alu 0xfffd
	v_cndmask_b32_e64 v19, 0x7fffffff, 0, vcc_lo
	s_delay_alu instid0(VALU_DEP_1) | instskip(NEXT) | instid1(VALU_DEP_1)
	v_xor_b32_e32 v19, v19, v4
	v_cmp_ne_u32_e32 vcc_lo, 0x80000000, v19
	s_wait_alu 0xfffd
	v_cndmask_b32_e32 v19, 0x7fffffff, v19, vcc_lo
	s_delay_alu instid0(VALU_DEP_1) | instskip(NEXT) | instid1(VALU_DEP_1)
	v_lshrrev_b32_e32 v19, s31, v19
	v_and_b32_e32 v19, s48, v19
	s_delay_alu instid0(VALU_DEP_1)
	v_lshl_or_b32 v19, v19, 4, v62
	ds_add_u32 v19, v84
	s_wait_alu 0xfffe
	s_or_b32 exec_lo, exec_lo, s1
	v_cmp_gt_u32_e32 vcc_lo, s0, v61
	s_and_saveexec_b32 s0, vcc_lo
	s_cbranch_execz .LBB1360_20
.LBB1360_73:                            ;   in Loop: Header=BB1360_21 Depth=2
	v_cmp_gt_i32_e32 vcc_lo, 0, v2
	s_wait_alu 0xfffd
	v_cndmask_b32_e64 v19, 0x7fffffff, 0, vcc_lo
	s_delay_alu instid0(VALU_DEP_1) | instskip(NEXT) | instid1(VALU_DEP_1)
	v_xor_b32_e32 v19, v19, v2
	v_cmp_ne_u32_e32 vcc_lo, 0x80000000, v19
	s_wait_alu 0xfffd
	v_cndmask_b32_e32 v19, 0x7fffffff, v19, vcc_lo
	s_delay_alu instid0(VALU_DEP_1) | instskip(NEXT) | instid1(VALU_DEP_1)
	v_lshrrev_b32_e32 v19, s31, v19
	v_and_b32_e32 v19, s48, v19
	s_delay_alu instid0(VALU_DEP_1)
	v_lshl_or_b32 v19, v19, 4, v62
	ds_add_u32 v19, v84
	s_branch .LBB1360_20
.LBB1360_74:                            ;   in Loop: Header=BB1360_21 Depth=2
	global_load_b32 v18, v108, s[0:1]
	s_or_b32 exec_lo, exec_lo, s11
	s_delay_alu instid0(SALU_CYCLE_1)
	s_mov_b32 s11, exec_lo
	v_cmpx_gt_u32_e64 s9, v45
	s_cbranch_execz .LBB1360_26
.LBB1360_75:                            ;   in Loop: Header=BB1360_21 Depth=2
	global_load_b32 v17, v108, s[0:1] offset:1024
	s_wait_alu 0xfffe
	s_or_b32 exec_lo, exec_lo, s11
	s_delay_alu instid0(SALU_CYCLE_1)
	s_mov_b32 s11, exec_lo
	v_cmpx_gt_u32_e64 s9, v46
	s_cbranch_execz .LBB1360_27
.LBB1360_76:                            ;   in Loop: Header=BB1360_21 Depth=2
	global_load_b32 v16, v108, s[0:1] offset:2048
	s_wait_alu 0xfffe
	s_or_b32 exec_lo, exec_lo, s11
	s_delay_alu instid0(SALU_CYCLE_1)
	s_mov_b32 s11, exec_lo
	v_cmpx_gt_u32_e64 s9, v47
	s_cbranch_execz .LBB1360_28
.LBB1360_77:                            ;   in Loop: Header=BB1360_21 Depth=2
	global_load_b32 v15, v108, s[0:1] offset:3072
	s_wait_alu 0xfffe
	s_or_b32 exec_lo, exec_lo, s11
	s_delay_alu instid0(SALU_CYCLE_1)
	s_mov_b32 s11, exec_lo
	v_cmpx_gt_u32_e64 s9, v50
	s_cbranch_execz .LBB1360_29
.LBB1360_78:                            ;   in Loop: Header=BB1360_21 Depth=2
	global_load_b32 v14, v108, s[0:1] offset:4096
	s_wait_alu 0xfffe
	s_or_b32 exec_lo, exec_lo, s11
	s_delay_alu instid0(SALU_CYCLE_1)
	s_mov_b32 s11, exec_lo
	v_cmpx_gt_u32_e64 s9, v51
	s_cbranch_execz .LBB1360_30
.LBB1360_79:                            ;   in Loop: Header=BB1360_21 Depth=2
	global_load_b32 v13, v108, s[0:1] offset:5120
	s_wait_alu 0xfffe
	s_or_b32 exec_lo, exec_lo, s11
	s_delay_alu instid0(SALU_CYCLE_1)
	s_mov_b32 s11, exec_lo
	v_cmpx_gt_u32_e64 s9, v52
	s_cbranch_execz .LBB1360_31
.LBB1360_80:                            ;   in Loop: Header=BB1360_21 Depth=2
	global_load_b32 v12, v108, s[0:1] offset:6144
	s_wait_alu 0xfffe
	s_or_b32 exec_lo, exec_lo, s11
	s_delay_alu instid0(SALU_CYCLE_1)
	s_mov_b32 s11, exec_lo
	v_cmpx_gt_u32_e64 s9, v53
	s_cbranch_execz .LBB1360_32
.LBB1360_81:                            ;   in Loop: Header=BB1360_21 Depth=2
	global_load_b32 v11, v108, s[0:1] offset:7168
	s_wait_alu 0xfffe
	s_or_b32 exec_lo, exec_lo, s11
	s_delay_alu instid0(SALU_CYCLE_1)
	s_mov_b32 s11, exec_lo
	v_cmpx_gt_u32_e64 s9, v54
	s_cbranch_execz .LBB1360_33
.LBB1360_82:                            ;   in Loop: Header=BB1360_21 Depth=2
	global_load_b32 v10, v108, s[0:1] offset:8192
	s_wait_alu 0xfffe
	s_or_b32 exec_lo, exec_lo, s11
	s_delay_alu instid0(SALU_CYCLE_1)
	s_mov_b32 s11, exec_lo
	v_cmpx_gt_u32_e64 s9, v55
	s_cbranch_execz .LBB1360_34
.LBB1360_83:                            ;   in Loop: Header=BB1360_21 Depth=2
	global_load_b32 v9, v108, s[0:1] offset:9216
	s_wait_alu 0xfffe
	s_or_b32 exec_lo, exec_lo, s11
	s_delay_alu instid0(SALU_CYCLE_1)
	s_mov_b32 s11, exec_lo
	v_cmpx_gt_u32_e64 s9, v56
	s_cbranch_execz .LBB1360_35
.LBB1360_84:                            ;   in Loop: Header=BB1360_21 Depth=2
	global_load_b32 v8, v108, s[0:1] offset:10240
	s_wait_alu 0xfffe
	s_or_b32 exec_lo, exec_lo, s11
	s_delay_alu instid0(SALU_CYCLE_1)
	s_mov_b32 s11, exec_lo
	v_cmpx_gt_u32_e64 s9, v57
	s_cbranch_execz .LBB1360_36
.LBB1360_85:                            ;   in Loop: Header=BB1360_21 Depth=2
	global_load_b32 v7, v108, s[0:1] offset:11264
	s_wait_alu 0xfffe
	s_or_b32 exec_lo, exec_lo, s11
	s_delay_alu instid0(SALU_CYCLE_1)
	s_mov_b32 s11, exec_lo
	v_cmpx_gt_u32_e64 s9, v58
	s_cbranch_execz .LBB1360_37
.LBB1360_86:                            ;   in Loop: Header=BB1360_21 Depth=2
	global_load_b32 v6, v108, s[0:1] offset:12288
	s_wait_alu 0xfffe
	s_or_b32 exec_lo, exec_lo, s11
	s_delay_alu instid0(SALU_CYCLE_1)
	s_mov_b32 s11, exec_lo
	v_cmpx_gt_u32_e64 s9, v59
	s_cbranch_execz .LBB1360_38
.LBB1360_87:                            ;   in Loop: Header=BB1360_21 Depth=2
	global_load_b32 v5, v108, s[0:1] offset:13312
	s_wait_alu 0xfffe
	s_or_b32 exec_lo, exec_lo, s11
	s_delay_alu instid0(SALU_CYCLE_1)
	s_mov_b32 s11, exec_lo
	v_cmpx_gt_u32_e64 s9, v60
	s_cbranch_execz .LBB1360_39
.LBB1360_88:                            ;   in Loop: Header=BB1360_21 Depth=2
	global_load_b32 v4, v108, s[0:1] offset:14336
	s_wait_alu 0xfffe
	s_or_b32 exec_lo, exec_lo, s11
	s_delay_alu instid0(SALU_CYCLE_1)
	s_mov_b32 s11, exec_lo
	v_cmpx_gt_u32_e64 s9, v61
	s_cbranch_execnz .LBB1360_40
	s_branch .LBB1360_41
.LBB1360_89:                            ;   in Loop: Header=BB1360_17 Depth=1
	v_mov_b32_e32 v2, 0
	s_wait_dscnt 0x0
	s_barrier_signal -1
	s_barrier_wait -1
	global_inv scope:SCOPE_SE
	s_and_saveexec_b32 s0, s2
	s_cbranch_execz .LBB1360_91
; %bb.90:                               ;   in Loop: Header=BB1360_17 Depth=1
	ds_load_2addr_b64 v[4:7], v64 offset1:1
	s_wait_dscnt 0x0
	v_add_nc_u32_e32 v2, v5, v4
	s_delay_alu instid0(VALU_DEP_1)
	v_add3_u32 v2, v2, v6, v7
.LBB1360_91:                            ;   in Loop: Header=BB1360_17 Depth=1
	s_wait_alu 0xfffe
	s_or_b32 exec_lo, exec_lo, s0
	s_delay_alu instid0(VALU_DEP_1)
	v_mov_b32_dpp v4, v2 row_shr:1 row_mask:0xf bank_mask:0xf
	v_cmp_eq_u32_e64 s0, 0, v85
	v_cmp_lt_u32_e64 s1, 1, v85
	v_cmp_lt_u32_e64 s9, 3, v85
	;; [unrolled: 1-line block ×3, first 2 shown]
	v_cmp_eq_u32_e64 s11, 0, v87
	s_wait_alu 0xf1ff
	v_cndmask_b32_e64 v4, v4, 0, s0
	s_delay_alu instid0(VALU_DEP_1) | instskip(NEXT) | instid1(VALU_DEP_1)
	v_add_nc_u32_e32 v2, v4, v2
	v_mov_b32_dpp v4, v2 row_shr:2 row_mask:0xf bank_mask:0xf
	s_delay_alu instid0(VALU_DEP_1) | instskip(NEXT) | instid1(VALU_DEP_1)
	v_cndmask_b32_e64 v4, 0, v4, s1
	v_add_nc_u32_e32 v2, v2, v4
	s_delay_alu instid0(VALU_DEP_1) | instskip(NEXT) | instid1(VALU_DEP_1)
	v_mov_b32_dpp v4, v2 row_shr:4 row_mask:0xf bank_mask:0xf
	v_cndmask_b32_e64 v4, 0, v4, s9
	s_delay_alu instid0(VALU_DEP_1) | instskip(NEXT) | instid1(VALU_DEP_1)
	v_add_nc_u32_e32 v2, v2, v4
	v_mov_b32_dpp v4, v2 row_shr:8 row_mask:0xf bank_mask:0xf
	s_delay_alu instid0(VALU_DEP_1) | instskip(NEXT) | instid1(VALU_DEP_1)
	v_cndmask_b32_e64 v4, 0, v4, s10
	v_add_nc_u32_e32 v2, v2, v4
	ds_swizzle_b32 v4, v2 offset:swizzle(BROADCAST,32,15)
	s_wait_dscnt 0x0
	v_and_b32_e32 v4, v86, v4
	s_delay_alu instid0(VALU_DEP_1)
	v_add_nc_u32_e32 v2, v2, v4
	s_and_saveexec_b32 s12, s3
; %bb.92:                               ;   in Loop: Header=BB1360_17 Depth=1
	ds_store_b32 v65, v2
; %bb.93:                               ;   in Loop: Header=BB1360_17 Depth=1
	s_wait_alu 0xfffe
	s_or_b32 exec_lo, exec_lo, s12
	s_wait_loadcnt_dscnt 0x0
	s_barrier_signal -1
	s_barrier_wait -1
	global_inv scope:SCOPE_SE
	s_and_saveexec_b32 s12, s4
	s_cbranch_execz .LBB1360_95
; %bb.94:                               ;   in Loop: Header=BB1360_17 Depth=1
	ds_load_b32 v4, v66
	v_cmp_ne_u32_e32 vcc_lo, 0, v89
	s_wait_dscnt 0x0
	v_mov_b32_dpp v5, v4 row_shr:1 row_mask:0xf bank_mask:0xf
	s_wait_alu 0xfffd
	s_delay_alu instid0(VALU_DEP_1) | instskip(SKIP_1) | instid1(VALU_DEP_2)
	v_cndmask_b32_e32 v5, 0, v5, vcc_lo
	v_cmp_lt_u32_e32 vcc_lo, 1, v89
	v_add_nc_u32_e32 v4, v5, v4
	s_delay_alu instid0(VALU_DEP_1) | instskip(SKIP_1) | instid1(VALU_DEP_1)
	v_mov_b32_dpp v5, v4 row_shr:2 row_mask:0xf bank_mask:0xf
	s_wait_alu 0xfffd
	v_cndmask_b32_e32 v5, 0, v5, vcc_lo
	v_cmp_lt_u32_e32 vcc_lo, 3, v89
	s_delay_alu instid0(VALU_DEP_2) | instskip(NEXT) | instid1(VALU_DEP_1)
	v_add_nc_u32_e32 v4, v4, v5
	v_mov_b32_dpp v5, v4 row_shr:4 row_mask:0xf bank_mask:0xf
	s_wait_alu 0xfffd
	s_delay_alu instid0(VALU_DEP_1) | instskip(NEXT) | instid1(VALU_DEP_1)
	v_cndmask_b32_e32 v5, 0, v5, vcc_lo
	v_add_nc_u32_e32 v4, v4, v5
	ds_store_b32 v66, v4
.LBB1360_95:                            ;   in Loop: Header=BB1360_17 Depth=1
	s_wait_alu 0xfffe
	s_or_b32 exec_lo, exec_lo, s12
	v_mov_b32_e32 v4, 0
	s_wait_loadcnt_dscnt 0x0
	s_barrier_signal -1
	s_barrier_wait -1
	global_inv scope:SCOPE_SE
	s_and_saveexec_b32 s12, s5
; %bb.96:                               ;   in Loop: Header=BB1360_17 Depth=1
	ds_load_b32 v4, v68
; %bb.97:                               ;   in Loop: Header=BB1360_17 Depth=1
	s_wait_alu 0xfffe
	s_or_b32 exec_lo, exec_lo, s12
	v_cmp_gt_i32_e32 vcc_lo, 0, v90
	s_wait_loadcnt_dscnt 0x0
	s_barrier_signal -1
	s_barrier_wait -1
	global_inv scope:SCOPE_SE
	s_wait_alu 0xfffd
	v_dual_cndmask_b32 v5, v90, v81 :: v_dual_add_nc_u32 v2, v4, v2
	s_delay_alu instid0(VALU_DEP_1)
	v_lshlrev_b32_e32 v113, 2, v5
	ds_bpermute_b32 v2, v113, v2
	s_and_saveexec_b32 s12, s2
	s_cbranch_execz .LBB1360_99
; %bb.98:                               ;   in Loop: Header=BB1360_17 Depth=1
	s_wait_dscnt 0x0
	v_cndmask_b32_e64 v2, v2, v4, s8
	s_delay_alu instid0(VALU_DEP_1)
	v_add_nc_u32_e32 v2, s33, v2
	ds_store_b32 v44, v2
.LBB1360_99:                            ;   in Loop: Header=BB1360_17 Depth=1
	s_wait_alu 0xfffe
	s_or_b32 exec_lo, exec_lo, s12
	s_clause 0x1
	s_load_b32 s12, s[34:35], 0x4
	s_load_b32 s14, s[34:35], 0xc
	s_mov_b32 s54, s53
                                        ; implicit-def: $vgpr6_vgpr7
                                        ; implicit-def: $vgpr8_vgpr9
                                        ; implicit-def: $vgpr10_vgpr11
                                        ; implicit-def: $vgpr12_vgpr13
                                        ; implicit-def: $vgpr14_vgpr15
                                        ; implicit-def: $vgpr16_vgpr17
                                        ; implicit-def: $vgpr18_vgpr19
                                        ; implicit-def: $vgpr20_vgpr21
                                        ; implicit-def: $vgpr22_vgpr23
                                        ; implicit-def: $vgpr24_vgpr25
                                        ; implicit-def: $vgpr26_vgpr27
                                        ; implicit-def: $vgpr28_vgpr29
                                        ; implicit-def: $vgpr30_vgpr31
                                        ; implicit-def: $vgpr32_vgpr33
                                        ; implicit-def: $vgpr34_vgpr35
                                        ; implicit-def: $vgpr115
                                        ; implicit-def: $vgpr116
                                        ; implicit-def: $vgpr117
                                        ; implicit-def: $vgpr118
                                        ; implicit-def: $vgpr119
                                        ; implicit-def: $vgpr120
                                        ; implicit-def: $vgpr121
                                        ; implicit-def: $vgpr122
                                        ; implicit-def: $vgpr123
                                        ; implicit-def: $vgpr124
                                        ; implicit-def: $vgpr125
                                        ; implicit-def: $vgpr126
                                        ; implicit-def: $vgpr127
                                        ; implicit-def: $vgpr128
                                        ; implicit-def: $vgpr129
                                        ; implicit-def: $vgpr130
	s_wait_kmcnt 0x0
	s_cmp_lt_u32 ttmp7, s12
	s_cselect_b32 s42, 14, 20
	s_wait_alu 0xfffe
	s_add_nc_u64 s[12:13], s[34:35], s[42:43]
	s_mov_b32 s42, s33
	s_load_u16 s12, s[12:13], 0x0
	v_cmp_lt_u32_e64 s13, 1, v89
	s_wait_dscnt 0x0
	s_wait_kmcnt 0x0
	v_mad_u32_u24 v2, v69, s12, v0
	s_and_b32 s12, s14, 0xffff
	v_cmp_lt_u32_e64 s14, 3, v89
	s_wait_alu 0xfffe
	s_delay_alu instid0(VALU_DEP_2) | instskip(SKIP_1) | instid1(VALU_DEP_2)
	v_mad_co_u64_u32 v[4:5], null, v2, s12, v[1:2]
	v_cmp_eq_u32_e64 s12, 0, v89
	v_lshrrev_b32_e32 v2, 3, v4
                                        ; implicit-def: $vgpr4_vgpr5
	s_delay_alu instid0(VALU_DEP_1)
	v_and_b32_e32 v114, 0x1ffffffc, v2
	s_branch .LBB1360_101
.LBB1360_100:                           ;   in Loop: Header=BB1360_101 Depth=2
	s_wait_alu 0xfffe
	s_or_b32 exec_lo, exec_lo, s15
	s_addk_co_i32 s54, 0xf000
	s_cmp_lt_u32 s55, s51
	s_mov_b32 s42, s55
	s_cbranch_scc0 .LBB1360_309
.LBB1360_101:                           ;   Parent Loop BB1360_17 Depth=1
                                        ; =>  This Inner Loop Header: Depth=2
	s_wait_alu 0xfffe
	s_add_co_i32 s55, s42, 0x1000
	s_wait_alu 0xfffe
	s_cmp_gt_u32 s55, s51
	s_cbranch_scc1 .LBB1360_103
; %bb.102:                              ;   in Loop: Header=BB1360_101 Depth=2
	s_lshl_b64 s[16:17], s[42:43], 2
	s_mov_b32 s15, -1
	s_wait_alu 0xfffe
	v_add_co_u32 v36, vcc_lo, v111, s16
	s_wait_alu 0xfffd
	v_add_co_ci_u32_e64 v37, null, s17, v112, vcc_lo
	s_clause 0xe
	global_load_b32 v2, v[36:37], off
	global_load_b32 v132, v[36:37], off offset:128
	global_load_b32 v139, v[36:37], off offset:256
	;; [unrolled: 1-line block ×14, first 2 shown]
	s_movk_i32 s16, 0x1000
	s_cbranch_execz .LBB1360_104
	s_branch .LBB1360_135
.LBB1360_103:                           ;   in Loop: Header=BB1360_101 Depth=2
	s_mov_b32 s15, 0
                                        ; implicit-def: $vgpr2
                                        ; implicit-def: $vgpr132
                                        ; implicit-def: $vgpr139
                                        ; implicit-def: $vgpr143
                                        ; implicit-def: $vgpr147
                                        ; implicit-def: $vgpr151
                                        ; implicit-def: $vgpr155
                                        ; implicit-def: $vgpr159
                                        ; implicit-def: $vgpr162
                                        ; implicit-def: $vgpr43
                                        ; implicit-def: $vgpr42
                                        ; implicit-def: $vgpr41
                                        ; implicit-def: $vgpr40
                                        ; implicit-def: $vgpr39
                                        ; implicit-def: $vgpr38
	s_movk_i32 s16, 0x1000
.LBB1360_104:                           ;   in Loop: Header=BB1360_101 Depth=2
	s_lshl_b64 s[16:17], s[42:43], 2
	s_wait_loadcnt 0xd
	v_mov_b32_e32 v132, -1
	s_wait_alu 0xfffe
	v_add_co_u32 v36, vcc_lo, v111, s16
	s_wait_alu 0xfffd
	v_add_co_ci_u32_e64 v37, null, s17, v112, vcc_lo
	v_mov_b32_e32 v2, -1
	s_mov_b32 s15, exec_lo
	v_cmpx_gt_u32_e64 s54, v88
	s_cbranch_execz .LBB1360_106
; %bb.105:                              ;   in Loop: Header=BB1360_101 Depth=2
	global_load_b32 v2, v[36:37], off
.LBB1360_106:                           ;   in Loop: Header=BB1360_101 Depth=2
	s_wait_alu 0xfffe
	s_or_b32 exec_lo, exec_lo, s15
	s_delay_alu instid0(SALU_CYCLE_1)
	s_mov_b32 s15, exec_lo
	v_cmpx_gt_u32_e64 s54, v92
	s_cbranch_execz .LBB1360_108
; %bb.107:                              ;   in Loop: Header=BB1360_101 Depth=2
	global_load_b32 v132, v[36:37], off offset:128
.LBB1360_108:                           ;   in Loop: Header=BB1360_101 Depth=2
	s_wait_alu 0xfffe
	s_or_b32 exec_lo, exec_lo, s15
	s_wait_loadcnt 0xb
	v_mov_b32_e32 v143, -1
	v_mov_b32_e32 v139, -1
	s_mov_b32 s15, exec_lo
	v_cmpx_gt_u32_e64 s54, v93
	s_cbranch_execz .LBB1360_110
; %bb.109:                              ;   in Loop: Header=BB1360_101 Depth=2
	global_load_b32 v139, v[36:37], off offset:256
.LBB1360_110:                           ;   in Loop: Header=BB1360_101 Depth=2
	s_wait_alu 0xfffe
	s_or_b32 exec_lo, exec_lo, s15
	s_delay_alu instid0(SALU_CYCLE_1)
	s_mov_b32 s15, exec_lo
	v_cmpx_gt_u32_e64 s54, v94
	s_cbranch_execz .LBB1360_112
; %bb.111:                              ;   in Loop: Header=BB1360_101 Depth=2
	global_load_b32 v143, v[36:37], off offset:384
.LBB1360_112:                           ;   in Loop: Header=BB1360_101 Depth=2
	s_wait_alu 0xfffe
	s_or_b32 exec_lo, exec_lo, s15
	s_wait_loadcnt 0x9
	v_mov_b32_e32 v151, -1
	v_mov_b32_e32 v147, -1
	s_mov_b32 s15, exec_lo
	v_cmpx_gt_u32_e64 s54, v95
	s_cbranch_execz .LBB1360_114
; %bb.113:                              ;   in Loop: Header=BB1360_101 Depth=2
	global_load_b32 v147, v[36:37], off offset:512
.LBB1360_114:                           ;   in Loop: Header=BB1360_101 Depth=2
	;; [unrolled: 20-line block ×3, first 2 shown]
	s_wait_alu 0xfffe
	s_or_b32 exec_lo, exec_lo, s15
	s_delay_alu instid0(SALU_CYCLE_1)
	s_mov_b32 s15, exec_lo
	v_cmpx_gt_u32_e64 s54, v98
	s_cbranch_execz .LBB1360_120
; %bb.119:                              ;   in Loop: Header=BB1360_101 Depth=2
	global_load_b32 v159, v[36:37], off offset:896
.LBB1360_120:                           ;   in Loop: Header=BB1360_101 Depth=2
	s_wait_alu 0xfffe
	s_or_b32 exec_lo, exec_lo, s15
	s_wait_loadcnt 0x5
	v_dual_mov_b32 v43, -1 :: v_dual_mov_b32 v162, -1
	s_mov_b32 s15, exec_lo
	v_cmpx_gt_u32_e64 s54, v99
	s_cbranch_execz .LBB1360_122
; %bb.121:                              ;   in Loop: Header=BB1360_101 Depth=2
	global_load_b32 v162, v[36:37], off offset:1024
.LBB1360_122:                           ;   in Loop: Header=BB1360_101 Depth=2
	s_wait_alu 0xfffe
	s_or_b32 exec_lo, exec_lo, s15
	s_delay_alu instid0(SALU_CYCLE_1)
	s_mov_b32 s15, exec_lo
	v_cmpx_gt_u32_e64 s54, v100
	s_cbranch_execz .LBB1360_124
; %bb.123:                              ;   in Loop: Header=BB1360_101 Depth=2
	global_load_b32 v43, v[36:37], off offset:1152
.LBB1360_124:                           ;   in Loop: Header=BB1360_101 Depth=2
	s_wait_alu 0xfffe
	s_or_b32 exec_lo, exec_lo, s15
	s_wait_loadcnt 0x3
	v_dual_mov_b32 v41, -1 :: v_dual_mov_b32 v42, -1
	s_mov_b32 s15, exec_lo
	v_cmpx_gt_u32_e64 s54, v101
	s_cbranch_execz .LBB1360_126
; %bb.125:                              ;   in Loop: Header=BB1360_101 Depth=2
	global_load_b32 v42, v[36:37], off offset:1280
.LBB1360_126:                           ;   in Loop: Header=BB1360_101 Depth=2
	s_wait_alu 0xfffe
	s_or_b32 exec_lo, exec_lo, s15
	s_delay_alu instid0(SALU_CYCLE_1)
	s_mov_b32 s15, exec_lo
	v_cmpx_gt_u32_e64 s54, v102
	s_cbranch_execz .LBB1360_128
; %bb.127:                              ;   in Loop: Header=BB1360_101 Depth=2
	global_load_b32 v41, v[36:37], off offset:1408
.LBB1360_128:                           ;   in Loop: Header=BB1360_101 Depth=2
	s_wait_alu 0xfffe
	s_or_b32 exec_lo, exec_lo, s15
	s_wait_loadcnt 0x1
	v_dual_mov_b32 v39, -1 :: v_dual_mov_b32 v40, -1
	s_mov_b32 s15, exec_lo
	v_cmpx_gt_u32_e64 s54, v103
	s_cbranch_execz .LBB1360_130
; %bb.129:                              ;   in Loop: Header=BB1360_101 Depth=2
	global_load_b32 v40, v[36:37], off offset:1536
.LBB1360_130:                           ;   in Loop: Header=BB1360_101 Depth=2
	s_wait_alu 0xfffe
	s_or_b32 exec_lo, exec_lo, s15
	s_delay_alu instid0(SALU_CYCLE_1)
	s_mov_b32 s15, exec_lo
	v_cmpx_gt_u32_e64 s54, v104
	s_cbranch_execz .LBB1360_132
; %bb.131:                              ;   in Loop: Header=BB1360_101 Depth=2
	global_load_b32 v39, v[36:37], off offset:1664
.LBB1360_132:                           ;   in Loop: Header=BB1360_101 Depth=2
	s_wait_alu 0xfffe
	s_or_b32 exec_lo, exec_lo, s15
	s_wait_loadcnt 0x0
	v_mov_b32_e32 v38, -1
	s_mov_b32 s15, exec_lo
	v_cmpx_gt_u32_e64 s54, v105
	s_cbranch_execz .LBB1360_134
; %bb.133:                              ;   in Loop: Header=BB1360_101 Depth=2
	global_load_b32 v38, v[36:37], off offset:1792
.LBB1360_134:                           ;   in Loop: Header=BB1360_101 Depth=2
	s_wait_alu 0xfffe
	s_or_b32 exec_lo, exec_lo, s15
	v_cmp_gt_u32_e64 s15, s54, v106
	s_sub_co_i32 s16, s51, s42
.LBB1360_135:                           ;   in Loop: Header=BB1360_101 Depth=2
	v_dual_mov_b32 v36, -1 :: v_dual_mov_b32 v131, s54
	s_and_saveexec_b32 s17, s15
	s_cbranch_execz .LBB1360_137
; %bb.136:                              ;   in Loop: Header=BB1360_101 Depth=2
	s_lshl_b64 s[18:19], s[42:43], 2
	s_wait_alu 0xfffe
	v_mov_b32_e32 v131, s16
	v_add_co_u32 v36, vcc_lo, v111, s18
	s_wait_alu 0xfffd
	v_add_co_ci_u32_e64 v37, null, s19, v112, vcc_lo
	global_load_b32 v36, v[36:37], off offset:1920
.LBB1360_137:                           ;   in Loop: Header=BB1360_101 Depth=2
	s_wait_alu 0xfffe
	s_or_b32 exec_lo, exec_lo, s17
	s_wait_loadcnt 0xe
	v_cmp_gt_i32_e32 vcc_lo, 0, v2
	s_wait_alu 0xfffd
	v_cndmask_b32_e64 v37, 0x7fffffff, 0, vcc_lo
	s_delay_alu instid0(VALU_DEP_1) | instskip(NEXT) | instid1(VALU_DEP_1)
	v_xor_b32_e32 v2, v37, v2
	v_cmp_ne_u32_e32 vcc_lo, 0x80000000, v2
	s_wait_alu 0xfffd
	v_cndmask_b32_e32 v37, 0x7fffffff, v2, vcc_lo
	s_delay_alu instid0(VALU_DEP_1) | instskip(NEXT) | instid1(VALU_DEP_1)
	v_lshrrev_b32_e32 v37, s31, v37
	v_and_b32_e32 v138, s48, v37
	s_delay_alu instid0(VALU_DEP_1)
	v_and_b32_e32 v37, 1, v138
	v_lshlrev_b32_e32 v133, 30, v138
	v_lshlrev_b32_e32 v134, 29, v138
	;; [unrolled: 1-line block ×4, first 2 shown]
	v_add_co_u32 v37, s15, v37, -1
	s_wait_alu 0xf1ff
	v_cndmask_b32_e64 v136, 0, 1, s15
	v_not_b32_e32 v142, v133
	v_cmp_gt_i32_e64 s15, 0, v133
	v_not_b32_e32 v133, v134
	v_lshlrev_b32_e32 v140, 26, v138
	v_cmp_ne_u32_e32 vcc_lo, 0, v136
	v_ashrrev_i32_e32 v142, 31, v142
	v_lshlrev_b32_e32 v141, 25, v138
	v_ashrrev_i32_e32 v133, 31, v133
	v_lshlrev_b32_e32 v136, 24, v138
	s_wait_alu 0xfffd
	v_xor_b32_e32 v37, vcc_lo, v37
	v_cmp_gt_i32_e32 vcc_lo, 0, v134
	v_not_b32_e32 v134, v135
	s_wait_alu 0xf1ff
	v_xor_b32_e32 v142, s15, v142
	v_cmp_gt_i32_e64 s15, 0, v135
	v_and_b32_e32 v37, exec_lo, v37
	v_not_b32_e32 v135, v137
	v_ashrrev_i32_e32 v134, 31, v134
	s_wait_alu 0xfffd
	v_xor_b32_e32 v133, vcc_lo, v133
	v_cmp_gt_i32_e32 vcc_lo, 0, v137
	v_and_b32_e32 v37, v37, v142
	v_not_b32_e32 v137, v140
	v_ashrrev_i32_e32 v135, 31, v135
	s_wait_alu 0xf1ff
	v_xor_b32_e32 v134, s15, v134
	v_cmp_gt_i32_e64 s15, 0, v140
	v_and_b32_e32 v37, v37, v133
	v_not_b32_e32 v133, v141
	v_ashrrev_i32_e32 v137, 31, v137
	s_wait_alu 0xfffd
	v_xor_b32_e32 v135, vcc_lo, v135
	v_cmp_gt_i32_e32 vcc_lo, 0, v141
	v_and_b32_e32 v37, v37, v134
	v_not_b32_e32 v134, v136
	v_ashrrev_i32_e32 v133, 31, v133
	s_wait_alu 0xf1ff
	v_xor_b32_e32 v137, s15, v137
	v_cmp_gt_i32_e64 s15, 0, v136
	v_and_b32_e32 v37, v37, v135
	v_ashrrev_i32_e32 v134, 31, v134
	s_wait_alu 0xfffd
	v_xor_b32_e32 v133, vcc_lo, v133
	v_mul_u32_u24_e32 v138, 36, v138
	v_add_nc_u32_e32 v136, 0x428, v67
	v_and_b32_e32 v37, v37, v137
	s_wait_alu 0xf1ff
	v_xor_b32_e32 v135, s15, v134
	v_add_nc_u32_e32 v134, 0x438, v67
	v_add_nc_u32_e32 v137, 0x430, v67
	;; [unrolled: 1-line block ×3, first 2 shown]
	v_and_b32_e32 v37, v37, v133
	ds_store_2addr_b32 v134, v3, v3 offset1:1
	v_and_b32_e32 v37, v37, v135
	v_add_nc_u32_e32 v135, 0x420, v67
	ds_store_2addr_b32 v135, v3, v3 offset1:1
	ds_store_2addr_b32 v136, v3, v3 offset1:1
	;; [unrolled: 1-line block ×3, first 2 shown]
	ds_store_b32 v67, v3 offset:1088
	v_mbcnt_lo_u32_b32 v133, v37, 0
	v_cmp_ne_u32_e64 s15, 0, v37
	s_wait_loadcnt_dscnt 0x0
	s_barrier_signal -1
	s_barrier_wait -1
	v_cmp_eq_u32_e32 vcc_lo, 0, v133
	global_inv scope:SCOPE_SE
	; wave barrier
	s_and_b32 s16, s15, vcc_lo
	s_wait_alu 0xfffe
	s_and_saveexec_b32 s15, s16
; %bb.138:                              ;   in Loop: Header=BB1360_101 Depth=2
	v_bcnt_u32_b32 v37, v37, 0
	ds_store_b32 v138, v37 offset:1056
; %bb.139:                              ;   in Loop: Header=BB1360_101 Depth=2
	s_wait_alu 0xfffe
	s_or_b32 exec_lo, exec_lo, s15
	v_cmp_gt_i32_e32 vcc_lo, 0, v132
	; wave barrier
	s_wait_alu 0xfffd
	v_cndmask_b32_e64 v37, 0x7fffffff, 0, vcc_lo
	s_delay_alu instid0(VALU_DEP_1) | instskip(NEXT) | instid1(VALU_DEP_1)
	v_xor_b32_e32 v132, v37, v132
	v_cmp_ne_u32_e32 vcc_lo, 0x80000000, v132
	s_wait_alu 0xfffd
	v_cndmask_b32_e32 v37, 0x7fffffff, v132, vcc_lo
	s_delay_alu instid0(VALU_DEP_1) | instskip(NEXT) | instid1(VALU_DEP_1)
	v_lshrrev_b32_e32 v37, s31, v37
	v_and_b32_e32 v142, s48, v37
	s_delay_alu instid0(VALU_DEP_1)
	v_and_b32_e32 v37, 1, v142
	v_lshlrev_b32_e32 v140, 30, v142
	v_lshlrev_b32_e32 v141, 29, v142
	;; [unrolled: 1-line block ×4, first 2 shown]
	v_add_co_u32 v37, s15, v37, -1
	s_wait_alu 0xf1ff
	v_cndmask_b32_e64 v145, 0, 1, s15
	v_not_b32_e32 v150, v140
	v_cmp_gt_i32_e64 s15, 0, v140
	v_not_b32_e32 v140, v141
	v_lshlrev_b32_e32 v148, 26, v142
	v_cmp_ne_u32_e32 vcc_lo, 0, v145
	v_ashrrev_i32_e32 v150, 31, v150
	v_lshlrev_b32_e32 v149, 25, v142
	v_ashrrev_i32_e32 v140, 31, v140
	v_lshlrev_b32_e32 v145, 24, v142
	s_wait_alu 0xfffd
	v_xor_b32_e32 v37, vcc_lo, v37
	v_cmp_gt_i32_e32 vcc_lo, 0, v141
	v_not_b32_e32 v141, v144
	s_wait_alu 0xf1ff
	v_xor_b32_e32 v150, s15, v150
	v_cmp_gt_i32_e64 s15, 0, v144
	v_and_b32_e32 v37, exec_lo, v37
	v_not_b32_e32 v144, v146
	v_ashrrev_i32_e32 v141, 31, v141
	s_wait_alu 0xfffd
	v_xor_b32_e32 v140, vcc_lo, v140
	v_cmp_gt_i32_e32 vcc_lo, 0, v146
	v_and_b32_e32 v37, v37, v150
	v_not_b32_e32 v146, v148
	v_ashrrev_i32_e32 v144, 31, v144
	s_wait_alu 0xf1ff
	v_xor_b32_e32 v141, s15, v141
	v_cmp_gt_i32_e64 s15, 0, v148
	v_and_b32_e32 v37, v37, v140
	v_not_b32_e32 v140, v149
	v_ashrrev_i32_e32 v146, 31, v146
	s_wait_alu 0xfffd
	v_xor_b32_e32 v144, vcc_lo, v144
	v_cmp_gt_i32_e32 vcc_lo, 0, v149
	v_and_b32_e32 v37, v37, v141
	v_not_b32_e32 v141, v145
	v_ashrrev_i32_e32 v140, 31, v140
	s_wait_alu 0xf1ff
	v_xor_b32_e32 v146, s15, v146
	v_cmp_gt_i32_e64 s15, 0, v145
	v_and_b32_e32 v37, v37, v144
	v_ashrrev_i32_e32 v141, 31, v141
	s_wait_alu 0xfffd
	v_xor_b32_e32 v140, vcc_lo, v140
	v_mad_u32_u24 v144, v142, 36, v114
	v_mul_u32_u24_e32 v142, 36, v142
	v_and_b32_e32 v37, v37, v146
	s_wait_alu 0xf1ff
	v_xor_b32_e32 v141, s15, v141
	s_delay_alu instid0(VALU_DEP_3) | instskip(NEXT) | instid1(VALU_DEP_3)
	v_add_nc_u32_e32 v142, v114, v142
	v_and_b32_e32 v37, v37, v140
	ds_load_b32 v140, v144 offset:1056
	; wave barrier
	v_and_b32_e32 v37, v37, v141
	s_delay_alu instid0(VALU_DEP_1) | instskip(SKIP_1) | instid1(VALU_DEP_2)
	v_mbcnt_lo_u32_b32 v141, v37, 0
	v_cmp_ne_u32_e64 s15, 0, v37
	v_cmp_eq_u32_e32 vcc_lo, 0, v141
	s_and_b32 s16, s15, vcc_lo
	s_wait_alu 0xfffe
	s_and_saveexec_b32 s15, s16
	s_cbranch_execz .LBB1360_141
; %bb.140:                              ;   in Loop: Header=BB1360_101 Depth=2
	s_wait_dscnt 0x0
	v_bcnt_u32_b32 v37, v37, v140
	ds_store_b32 v142, v37 offset:1056
.LBB1360_141:                           ;   in Loop: Header=BB1360_101 Depth=2
	s_wait_alu 0xfffe
	s_or_b32 exec_lo, exec_lo, s15
	v_cmp_gt_i32_e32 vcc_lo, 0, v139
	; wave barrier
	s_wait_alu 0xfffd
	v_cndmask_b32_e64 v37, 0x7fffffff, 0, vcc_lo
	s_delay_alu instid0(VALU_DEP_1) | instskip(NEXT) | instid1(VALU_DEP_1)
	v_xor_b32_e32 v139, v37, v139
	v_cmp_ne_u32_e32 vcc_lo, 0x80000000, v139
	s_wait_alu 0xfffd
	v_cndmask_b32_e32 v37, 0x7fffffff, v139, vcc_lo
	s_delay_alu instid0(VALU_DEP_1) | instskip(NEXT) | instid1(VALU_DEP_1)
	v_lshrrev_b32_e32 v37, s31, v37
	v_and_b32_e32 v146, s48, v37
	s_delay_alu instid0(VALU_DEP_1)
	v_and_b32_e32 v37, 1, v146
	v_lshlrev_b32_e32 v144, 30, v146
	v_lshlrev_b32_e32 v145, 29, v146
	;; [unrolled: 1-line block ×4, first 2 shown]
	v_add_co_u32 v37, s15, v37, -1
	s_wait_alu 0xf1ff
	v_cndmask_b32_e64 v149, 0, 1, s15
	v_not_b32_e32 v154, v144
	v_cmp_gt_i32_e64 s15, 0, v144
	v_not_b32_e32 v144, v145
	v_lshlrev_b32_e32 v152, 26, v146
	v_cmp_ne_u32_e32 vcc_lo, 0, v149
	v_ashrrev_i32_e32 v154, 31, v154
	v_lshlrev_b32_e32 v153, 25, v146
	v_ashrrev_i32_e32 v144, 31, v144
	v_lshlrev_b32_e32 v149, 24, v146
	s_wait_alu 0xfffd
	v_xor_b32_e32 v37, vcc_lo, v37
	v_cmp_gt_i32_e32 vcc_lo, 0, v145
	v_not_b32_e32 v145, v148
	s_wait_alu 0xf1ff
	v_xor_b32_e32 v154, s15, v154
	v_cmp_gt_i32_e64 s15, 0, v148
	v_and_b32_e32 v37, exec_lo, v37
	v_not_b32_e32 v148, v150
	v_ashrrev_i32_e32 v145, 31, v145
	s_wait_alu 0xfffd
	v_xor_b32_e32 v144, vcc_lo, v144
	v_cmp_gt_i32_e32 vcc_lo, 0, v150
	v_and_b32_e32 v37, v37, v154
	v_not_b32_e32 v150, v152
	v_ashrrev_i32_e32 v148, 31, v148
	s_wait_alu 0xf1ff
	v_xor_b32_e32 v145, s15, v145
	v_cmp_gt_i32_e64 s15, 0, v152
	v_and_b32_e32 v37, v37, v144
	v_not_b32_e32 v144, v153
	v_ashrrev_i32_e32 v150, 31, v150
	s_wait_alu 0xfffd
	v_xor_b32_e32 v148, vcc_lo, v148
	v_cmp_gt_i32_e32 vcc_lo, 0, v153
	v_and_b32_e32 v37, v37, v145
	v_not_b32_e32 v145, v149
	v_ashrrev_i32_e32 v144, 31, v144
	s_wait_alu 0xf1ff
	v_xor_b32_e32 v150, s15, v150
	v_cmp_gt_i32_e64 s15, 0, v149
	v_and_b32_e32 v37, v37, v148
	v_ashrrev_i32_e32 v145, 31, v145
	s_wait_alu 0xfffd
	v_xor_b32_e32 v144, vcc_lo, v144
	v_mad_u32_u24 v148, v146, 36, v114
	v_mul_u32_u24_e32 v146, 36, v146
	v_and_b32_e32 v37, v37, v150
	s_wait_alu 0xf1ff
	v_xor_b32_e32 v145, s15, v145
	s_delay_alu instid0(VALU_DEP_3) | instskip(NEXT) | instid1(VALU_DEP_3)
	v_add_nc_u32_e32 v146, v114, v146
	v_and_b32_e32 v37, v37, v144
	ds_load_b32 v144, v148 offset:1056
	; wave barrier
	v_and_b32_e32 v37, v37, v145
	s_delay_alu instid0(VALU_DEP_1) | instskip(SKIP_1) | instid1(VALU_DEP_2)
	v_mbcnt_lo_u32_b32 v145, v37, 0
	v_cmp_ne_u32_e64 s15, 0, v37
	v_cmp_eq_u32_e32 vcc_lo, 0, v145
	s_and_b32 s16, s15, vcc_lo
	s_wait_alu 0xfffe
	s_and_saveexec_b32 s15, s16
	s_cbranch_execz .LBB1360_143
; %bb.142:                              ;   in Loop: Header=BB1360_101 Depth=2
	s_wait_dscnt 0x0
	v_bcnt_u32_b32 v37, v37, v144
	ds_store_b32 v146, v37 offset:1056
.LBB1360_143:                           ;   in Loop: Header=BB1360_101 Depth=2
	s_wait_alu 0xfffe
	s_or_b32 exec_lo, exec_lo, s15
	v_cmp_gt_i32_e32 vcc_lo, 0, v143
	; wave barrier
	s_wait_alu 0xfffd
	v_cndmask_b32_e64 v37, 0x7fffffff, 0, vcc_lo
	s_delay_alu instid0(VALU_DEP_1) | instskip(NEXT) | instid1(VALU_DEP_1)
	v_xor_b32_e32 v143, v37, v143
	v_cmp_ne_u32_e32 vcc_lo, 0x80000000, v143
	s_wait_alu 0xfffd
	v_cndmask_b32_e32 v37, 0x7fffffff, v143, vcc_lo
	s_delay_alu instid0(VALU_DEP_1) | instskip(NEXT) | instid1(VALU_DEP_1)
	v_lshrrev_b32_e32 v37, s31, v37
	v_and_b32_e32 v150, s48, v37
	s_delay_alu instid0(VALU_DEP_1)
	v_and_b32_e32 v37, 1, v150
	v_lshlrev_b32_e32 v148, 30, v150
	v_lshlrev_b32_e32 v149, 29, v150
	;; [unrolled: 1-line block ×4, first 2 shown]
	v_add_co_u32 v37, s15, v37, -1
	s_wait_alu 0xf1ff
	v_cndmask_b32_e64 v153, 0, 1, s15
	v_not_b32_e32 v158, v148
	v_cmp_gt_i32_e64 s15, 0, v148
	v_not_b32_e32 v148, v149
	v_lshlrev_b32_e32 v156, 26, v150
	v_cmp_ne_u32_e32 vcc_lo, 0, v153
	v_ashrrev_i32_e32 v158, 31, v158
	v_lshlrev_b32_e32 v157, 25, v150
	v_ashrrev_i32_e32 v148, 31, v148
	v_lshlrev_b32_e32 v153, 24, v150
	s_wait_alu 0xfffd
	v_xor_b32_e32 v37, vcc_lo, v37
	v_cmp_gt_i32_e32 vcc_lo, 0, v149
	v_not_b32_e32 v149, v152
	s_wait_alu 0xf1ff
	v_xor_b32_e32 v158, s15, v158
	v_cmp_gt_i32_e64 s15, 0, v152
	v_and_b32_e32 v37, exec_lo, v37
	v_not_b32_e32 v152, v154
	v_ashrrev_i32_e32 v149, 31, v149
	s_wait_alu 0xfffd
	v_xor_b32_e32 v148, vcc_lo, v148
	v_cmp_gt_i32_e32 vcc_lo, 0, v154
	v_and_b32_e32 v37, v37, v158
	v_not_b32_e32 v154, v156
	v_ashrrev_i32_e32 v152, 31, v152
	s_wait_alu 0xf1ff
	v_xor_b32_e32 v149, s15, v149
	v_cmp_gt_i32_e64 s15, 0, v156
	v_and_b32_e32 v37, v37, v148
	v_not_b32_e32 v148, v157
	v_ashrrev_i32_e32 v154, 31, v154
	s_wait_alu 0xfffd
	v_xor_b32_e32 v152, vcc_lo, v152
	v_cmp_gt_i32_e32 vcc_lo, 0, v157
	v_and_b32_e32 v37, v37, v149
	v_not_b32_e32 v149, v153
	v_ashrrev_i32_e32 v148, 31, v148
	s_wait_alu 0xf1ff
	v_xor_b32_e32 v154, s15, v154
	v_cmp_gt_i32_e64 s15, 0, v153
	v_and_b32_e32 v37, v37, v152
	v_ashrrev_i32_e32 v149, 31, v149
	s_wait_alu 0xfffd
	v_xor_b32_e32 v148, vcc_lo, v148
	v_mad_u32_u24 v152, v150, 36, v114
	v_mul_u32_u24_e32 v150, 36, v150
	v_and_b32_e32 v37, v37, v154
	s_wait_alu 0xf1ff
	v_xor_b32_e32 v149, s15, v149
	s_delay_alu instid0(VALU_DEP_3) | instskip(NEXT) | instid1(VALU_DEP_3)
	v_add_nc_u32_e32 v150, v114, v150
	v_and_b32_e32 v37, v37, v148
	ds_load_b32 v148, v152 offset:1056
	; wave barrier
	v_and_b32_e32 v37, v37, v149
	s_delay_alu instid0(VALU_DEP_1) | instskip(SKIP_1) | instid1(VALU_DEP_2)
	v_mbcnt_lo_u32_b32 v149, v37, 0
	v_cmp_ne_u32_e64 s15, 0, v37
	v_cmp_eq_u32_e32 vcc_lo, 0, v149
	s_and_b32 s16, s15, vcc_lo
	s_wait_alu 0xfffe
	s_and_saveexec_b32 s15, s16
	s_cbranch_execz .LBB1360_145
; %bb.144:                              ;   in Loop: Header=BB1360_101 Depth=2
	s_wait_dscnt 0x0
	v_bcnt_u32_b32 v37, v37, v148
	ds_store_b32 v150, v37 offset:1056
.LBB1360_145:                           ;   in Loop: Header=BB1360_101 Depth=2
	s_wait_alu 0xfffe
	s_or_b32 exec_lo, exec_lo, s15
	v_cmp_gt_i32_e32 vcc_lo, 0, v147
	; wave barrier
	s_wait_alu 0xfffd
	v_cndmask_b32_e64 v37, 0x7fffffff, 0, vcc_lo
	s_delay_alu instid0(VALU_DEP_1) | instskip(NEXT) | instid1(VALU_DEP_1)
	v_xor_b32_e32 v147, v37, v147
	v_cmp_ne_u32_e32 vcc_lo, 0x80000000, v147
	s_wait_alu 0xfffd
	v_cndmask_b32_e32 v37, 0x7fffffff, v147, vcc_lo
	s_delay_alu instid0(VALU_DEP_1) | instskip(NEXT) | instid1(VALU_DEP_1)
	v_lshrrev_b32_e32 v37, s31, v37
	v_and_b32_e32 v154, s48, v37
	s_delay_alu instid0(VALU_DEP_1)
	v_and_b32_e32 v37, 1, v154
	v_lshlrev_b32_e32 v152, 30, v154
	v_lshlrev_b32_e32 v153, 29, v154
	;; [unrolled: 1-line block ×4, first 2 shown]
	v_add_co_u32 v37, s15, v37, -1
	s_wait_alu 0xf1ff
	v_cndmask_b32_e64 v157, 0, 1, s15
	v_not_b32_e32 v163, v152
	v_cmp_gt_i32_e64 s15, 0, v152
	v_not_b32_e32 v152, v153
	v_lshlrev_b32_e32 v160, 26, v154
	v_cmp_ne_u32_e32 vcc_lo, 0, v157
	v_ashrrev_i32_e32 v163, 31, v163
	v_lshlrev_b32_e32 v161, 25, v154
	v_ashrrev_i32_e32 v152, 31, v152
	v_lshlrev_b32_e32 v157, 24, v154
	s_wait_alu 0xfffd
	v_xor_b32_e32 v37, vcc_lo, v37
	v_cmp_gt_i32_e32 vcc_lo, 0, v153
	v_not_b32_e32 v153, v156
	s_wait_alu 0xf1ff
	v_xor_b32_e32 v163, s15, v163
	v_cmp_gt_i32_e64 s15, 0, v156
	v_and_b32_e32 v37, exec_lo, v37
	v_not_b32_e32 v156, v158
	v_ashrrev_i32_e32 v153, 31, v153
	s_wait_alu 0xfffd
	v_xor_b32_e32 v152, vcc_lo, v152
	v_cmp_gt_i32_e32 vcc_lo, 0, v158
	v_and_b32_e32 v37, v37, v163
	v_not_b32_e32 v158, v160
	v_ashrrev_i32_e32 v156, 31, v156
	s_wait_alu 0xf1ff
	v_xor_b32_e32 v153, s15, v153
	v_cmp_gt_i32_e64 s15, 0, v160
	v_and_b32_e32 v37, v37, v152
	v_not_b32_e32 v152, v161
	v_ashrrev_i32_e32 v158, 31, v158
	s_wait_alu 0xfffd
	v_xor_b32_e32 v156, vcc_lo, v156
	v_cmp_gt_i32_e32 vcc_lo, 0, v161
	v_and_b32_e32 v37, v37, v153
	v_not_b32_e32 v153, v157
	v_ashrrev_i32_e32 v152, 31, v152
	s_wait_alu 0xf1ff
	v_xor_b32_e32 v158, s15, v158
	v_cmp_gt_i32_e64 s15, 0, v157
	v_and_b32_e32 v37, v37, v156
	v_ashrrev_i32_e32 v153, 31, v153
	s_wait_alu 0xfffd
	v_xor_b32_e32 v152, vcc_lo, v152
	v_mad_u32_u24 v156, v154, 36, v114
	v_mul_u32_u24_e32 v154, 36, v154
	v_and_b32_e32 v37, v37, v158
	s_wait_alu 0xf1ff
	v_xor_b32_e32 v153, s15, v153
	s_delay_alu instid0(VALU_DEP_3) | instskip(NEXT) | instid1(VALU_DEP_3)
	v_add_nc_u32_e32 v154, v114, v154
	v_and_b32_e32 v37, v37, v152
	ds_load_b32 v152, v156 offset:1056
	; wave barrier
	v_and_b32_e32 v37, v37, v153
	s_delay_alu instid0(VALU_DEP_1) | instskip(SKIP_1) | instid1(VALU_DEP_2)
	v_mbcnt_lo_u32_b32 v153, v37, 0
	v_cmp_ne_u32_e64 s15, 0, v37
	v_cmp_eq_u32_e32 vcc_lo, 0, v153
	s_and_b32 s16, s15, vcc_lo
	s_wait_alu 0xfffe
	s_and_saveexec_b32 s15, s16
	s_cbranch_execz .LBB1360_147
; %bb.146:                              ;   in Loop: Header=BB1360_101 Depth=2
	s_wait_dscnt 0x0
	v_bcnt_u32_b32 v37, v37, v152
	ds_store_b32 v154, v37 offset:1056
.LBB1360_147:                           ;   in Loop: Header=BB1360_101 Depth=2
	s_wait_alu 0xfffe
	s_or_b32 exec_lo, exec_lo, s15
	v_cmp_gt_i32_e32 vcc_lo, 0, v151
	; wave barrier
	s_wait_alu 0xfffd
	v_cndmask_b32_e64 v37, 0x7fffffff, 0, vcc_lo
	s_delay_alu instid0(VALU_DEP_1) | instskip(NEXT) | instid1(VALU_DEP_1)
	v_xor_b32_e32 v151, v37, v151
	v_cmp_ne_u32_e32 vcc_lo, 0x80000000, v151
	s_wait_alu 0xfffd
	v_cndmask_b32_e32 v37, 0x7fffffff, v151, vcc_lo
	s_delay_alu instid0(VALU_DEP_1) | instskip(NEXT) | instid1(VALU_DEP_1)
	v_lshrrev_b32_e32 v37, s31, v37
	v_and_b32_e32 v158, s48, v37
	s_delay_alu instid0(VALU_DEP_1)
	v_and_b32_e32 v37, 1, v158
	v_lshlrev_b32_e32 v156, 30, v158
	v_lshlrev_b32_e32 v157, 29, v158
	;; [unrolled: 1-line block ×4, first 2 shown]
	v_add_co_u32 v37, s15, v37, -1
	s_wait_alu 0xf1ff
	v_cndmask_b32_e64 v161, 0, 1, s15
	v_not_b32_e32 v166, v156
	v_cmp_gt_i32_e64 s15, 0, v156
	v_not_b32_e32 v156, v157
	v_lshlrev_b32_e32 v164, 26, v158
	v_cmp_ne_u32_e32 vcc_lo, 0, v161
	v_ashrrev_i32_e32 v166, 31, v166
	v_lshlrev_b32_e32 v165, 25, v158
	v_ashrrev_i32_e32 v156, 31, v156
	v_lshlrev_b32_e32 v161, 24, v158
	s_wait_alu 0xfffd
	v_xor_b32_e32 v37, vcc_lo, v37
	v_cmp_gt_i32_e32 vcc_lo, 0, v157
	v_not_b32_e32 v157, v160
	s_wait_alu 0xf1ff
	v_xor_b32_e32 v166, s15, v166
	v_cmp_gt_i32_e64 s15, 0, v160
	v_and_b32_e32 v37, exec_lo, v37
	v_not_b32_e32 v160, v163
	v_ashrrev_i32_e32 v157, 31, v157
	s_wait_alu 0xfffd
	v_xor_b32_e32 v156, vcc_lo, v156
	v_cmp_gt_i32_e32 vcc_lo, 0, v163
	v_and_b32_e32 v37, v37, v166
	v_not_b32_e32 v163, v164
	v_ashrrev_i32_e32 v160, 31, v160
	s_wait_alu 0xf1ff
	v_xor_b32_e32 v157, s15, v157
	v_cmp_gt_i32_e64 s15, 0, v164
	v_and_b32_e32 v37, v37, v156
	v_not_b32_e32 v156, v165
	v_ashrrev_i32_e32 v163, 31, v163
	s_wait_alu 0xfffd
	v_xor_b32_e32 v160, vcc_lo, v160
	v_cmp_gt_i32_e32 vcc_lo, 0, v165
	v_and_b32_e32 v37, v37, v157
	v_not_b32_e32 v157, v161
	v_ashrrev_i32_e32 v156, 31, v156
	s_wait_alu 0xf1ff
	v_xor_b32_e32 v163, s15, v163
	v_cmp_gt_i32_e64 s15, 0, v161
	v_and_b32_e32 v37, v37, v160
	v_ashrrev_i32_e32 v157, 31, v157
	s_wait_alu 0xfffd
	v_xor_b32_e32 v156, vcc_lo, v156
	v_mad_u32_u24 v160, v158, 36, v114
	v_mul_u32_u24_e32 v158, 36, v158
	v_and_b32_e32 v37, v37, v163
	s_wait_alu 0xf1ff
	v_xor_b32_e32 v157, s15, v157
	s_delay_alu instid0(VALU_DEP_3) | instskip(NEXT) | instid1(VALU_DEP_3)
	v_add_nc_u32_e32 v158, v114, v158
	v_and_b32_e32 v37, v37, v156
	ds_load_b32 v156, v160 offset:1056
	; wave barrier
	v_and_b32_e32 v37, v37, v157
	s_delay_alu instid0(VALU_DEP_1) | instskip(SKIP_1) | instid1(VALU_DEP_2)
	v_mbcnt_lo_u32_b32 v157, v37, 0
	v_cmp_ne_u32_e64 s15, 0, v37
	v_cmp_eq_u32_e32 vcc_lo, 0, v157
	s_and_b32 s16, s15, vcc_lo
	s_wait_alu 0xfffe
	s_and_saveexec_b32 s15, s16
	s_cbranch_execz .LBB1360_149
; %bb.148:                              ;   in Loop: Header=BB1360_101 Depth=2
	s_wait_dscnt 0x0
	v_bcnt_u32_b32 v37, v37, v156
	ds_store_b32 v158, v37 offset:1056
.LBB1360_149:                           ;   in Loop: Header=BB1360_101 Depth=2
	s_wait_alu 0xfffe
	s_or_b32 exec_lo, exec_lo, s15
	v_cmp_gt_i32_e32 vcc_lo, 0, v155
	; wave barrier
	s_wait_alu 0xfffd
	v_cndmask_b32_e64 v37, 0x7fffffff, 0, vcc_lo
	s_delay_alu instid0(VALU_DEP_1) | instskip(NEXT) | instid1(VALU_DEP_1)
	v_xor_b32_e32 v155, v37, v155
	v_cmp_ne_u32_e32 vcc_lo, 0x80000000, v155
	s_wait_alu 0xfffd
	v_cndmask_b32_e32 v37, 0x7fffffff, v155, vcc_lo
	s_delay_alu instid0(VALU_DEP_1) | instskip(NEXT) | instid1(VALU_DEP_1)
	v_lshrrev_b32_e32 v37, s31, v37
	v_and_b32_e32 v163, s48, v37
	s_delay_alu instid0(VALU_DEP_1)
	v_and_b32_e32 v37, 1, v163
	v_lshlrev_b32_e32 v160, 30, v163
	v_lshlrev_b32_e32 v161, 29, v163
	v_lshlrev_b32_e32 v164, 28, v163
	v_lshlrev_b32_e32 v166, 27, v163
	v_add_co_u32 v37, s15, v37, -1
	s_wait_alu 0xf1ff
	v_cndmask_b32_e64 v165, 0, 1, s15
	v_not_b32_e32 v169, v160
	v_cmp_gt_i32_e64 s15, 0, v160
	v_not_b32_e32 v160, v161
	v_lshlrev_b32_e32 v167, 26, v163
	v_cmp_ne_u32_e32 vcc_lo, 0, v165
	v_ashrrev_i32_e32 v169, 31, v169
	v_lshlrev_b32_e32 v168, 25, v163
	v_ashrrev_i32_e32 v160, 31, v160
	v_lshlrev_b32_e32 v165, 24, v163
	s_wait_alu 0xfffd
	v_xor_b32_e32 v37, vcc_lo, v37
	v_cmp_gt_i32_e32 vcc_lo, 0, v161
	v_not_b32_e32 v161, v164
	s_wait_alu 0xf1ff
	v_xor_b32_e32 v169, s15, v169
	v_cmp_gt_i32_e64 s15, 0, v164
	v_and_b32_e32 v37, exec_lo, v37
	v_not_b32_e32 v164, v166
	v_ashrrev_i32_e32 v161, 31, v161
	s_wait_alu 0xfffd
	v_xor_b32_e32 v160, vcc_lo, v160
	v_cmp_gt_i32_e32 vcc_lo, 0, v166
	v_and_b32_e32 v37, v37, v169
	v_not_b32_e32 v166, v167
	v_ashrrev_i32_e32 v164, 31, v164
	s_wait_alu 0xf1ff
	v_xor_b32_e32 v161, s15, v161
	v_cmp_gt_i32_e64 s15, 0, v167
	v_and_b32_e32 v37, v37, v160
	v_not_b32_e32 v160, v168
	v_ashrrev_i32_e32 v166, 31, v166
	s_wait_alu 0xfffd
	v_xor_b32_e32 v164, vcc_lo, v164
	v_cmp_gt_i32_e32 vcc_lo, 0, v168
	v_and_b32_e32 v37, v37, v161
	v_not_b32_e32 v161, v165
	v_ashrrev_i32_e32 v160, 31, v160
	s_wait_alu 0xf1ff
	v_xor_b32_e32 v166, s15, v166
	v_cmp_gt_i32_e64 s15, 0, v165
	v_and_b32_e32 v37, v37, v164
	v_ashrrev_i32_e32 v161, 31, v161
	s_wait_alu 0xfffd
	v_xor_b32_e32 v160, vcc_lo, v160
	v_mad_u32_u24 v164, v163, 36, v114
	v_mul_u32_u24_e32 v163, 36, v163
	v_and_b32_e32 v37, v37, v166
	s_wait_alu 0xf1ff
	v_xor_b32_e32 v161, s15, v161
	s_delay_alu instid0(VALU_DEP_3) | instskip(NEXT) | instid1(VALU_DEP_3)
	v_add_nc_u32_e32 v163, v114, v163
	v_and_b32_e32 v37, v37, v160
	ds_load_b32 v160, v164 offset:1056
	; wave barrier
	v_and_b32_e32 v37, v37, v161
	s_delay_alu instid0(VALU_DEP_1) | instskip(SKIP_1) | instid1(VALU_DEP_2)
	v_mbcnt_lo_u32_b32 v161, v37, 0
	v_cmp_ne_u32_e64 s15, 0, v37
	v_cmp_eq_u32_e32 vcc_lo, 0, v161
	s_and_b32 s16, s15, vcc_lo
	s_wait_alu 0xfffe
	s_and_saveexec_b32 s15, s16
	s_cbranch_execz .LBB1360_151
; %bb.150:                              ;   in Loop: Header=BB1360_101 Depth=2
	s_wait_dscnt 0x0
	v_bcnt_u32_b32 v37, v37, v160
	ds_store_b32 v163, v37 offset:1056
.LBB1360_151:                           ;   in Loop: Header=BB1360_101 Depth=2
	s_wait_alu 0xfffe
	s_or_b32 exec_lo, exec_lo, s15
	v_cmp_gt_i32_e32 vcc_lo, 0, v159
	; wave barrier
	s_wait_alu 0xfffd
	v_cndmask_b32_e64 v37, 0x7fffffff, 0, vcc_lo
	s_delay_alu instid0(VALU_DEP_1) | instskip(NEXT) | instid1(VALU_DEP_1)
	v_xor_b32_e32 v159, v37, v159
	v_cmp_ne_u32_e32 vcc_lo, 0x80000000, v159
	s_wait_alu 0xfffd
	v_cndmask_b32_e32 v37, 0x7fffffff, v159, vcc_lo
	s_delay_alu instid0(VALU_DEP_1) | instskip(NEXT) | instid1(VALU_DEP_1)
	v_lshrrev_b32_e32 v37, s31, v37
	v_and_b32_e32 v166, s48, v37
	s_delay_alu instid0(VALU_DEP_1)
	v_and_b32_e32 v37, 1, v166
	v_lshlrev_b32_e32 v164, 30, v166
	v_lshlrev_b32_e32 v165, 29, v166
	;; [unrolled: 1-line block ×4, first 2 shown]
	v_add_co_u32 v37, s15, v37, -1
	s_wait_alu 0xf1ff
	v_cndmask_b32_e64 v168, 0, 1, s15
	v_not_b32_e32 v172, v164
	v_cmp_gt_i32_e64 s15, 0, v164
	v_not_b32_e32 v164, v165
	v_lshlrev_b32_e32 v170, 26, v166
	v_cmp_ne_u32_e32 vcc_lo, 0, v168
	v_ashrrev_i32_e32 v172, 31, v172
	v_lshlrev_b32_e32 v171, 25, v166
	v_ashrrev_i32_e32 v164, 31, v164
	v_lshlrev_b32_e32 v168, 24, v166
	s_wait_alu 0xfffd
	v_xor_b32_e32 v37, vcc_lo, v37
	v_cmp_gt_i32_e32 vcc_lo, 0, v165
	v_not_b32_e32 v165, v167
	s_wait_alu 0xf1ff
	v_xor_b32_e32 v172, s15, v172
	v_cmp_gt_i32_e64 s15, 0, v167
	v_and_b32_e32 v37, exec_lo, v37
	v_not_b32_e32 v167, v169
	v_ashrrev_i32_e32 v165, 31, v165
	s_wait_alu 0xfffd
	v_xor_b32_e32 v164, vcc_lo, v164
	v_cmp_gt_i32_e32 vcc_lo, 0, v169
	v_and_b32_e32 v37, v37, v172
	v_not_b32_e32 v169, v170
	v_ashrrev_i32_e32 v167, 31, v167
	s_wait_alu 0xf1ff
	v_xor_b32_e32 v165, s15, v165
	v_cmp_gt_i32_e64 s15, 0, v170
	v_and_b32_e32 v37, v37, v164
	v_not_b32_e32 v164, v171
	v_ashrrev_i32_e32 v169, 31, v169
	s_wait_alu 0xfffd
	v_xor_b32_e32 v167, vcc_lo, v167
	v_cmp_gt_i32_e32 vcc_lo, 0, v171
	v_and_b32_e32 v37, v37, v165
	v_not_b32_e32 v165, v168
	v_ashrrev_i32_e32 v164, 31, v164
	s_wait_alu 0xf1ff
	v_xor_b32_e32 v169, s15, v169
	v_cmp_gt_i32_e64 s15, 0, v168
	v_and_b32_e32 v37, v37, v167
	v_ashrrev_i32_e32 v165, 31, v165
	s_wait_alu 0xfffd
	v_xor_b32_e32 v164, vcc_lo, v164
	v_mad_u32_u24 v167, v166, 36, v114
	v_mul_u32_u24_e32 v166, 36, v166
	v_and_b32_e32 v37, v37, v169
	s_wait_alu 0xf1ff
	v_xor_b32_e32 v165, s15, v165
	s_delay_alu instid0(VALU_DEP_3) | instskip(NEXT) | instid1(VALU_DEP_3)
	v_add_nc_u32_e32 v166, v114, v166
	v_and_b32_e32 v37, v37, v164
	ds_load_b32 v164, v167 offset:1056
	; wave barrier
	v_and_b32_e32 v37, v37, v165
	s_delay_alu instid0(VALU_DEP_1) | instskip(SKIP_1) | instid1(VALU_DEP_2)
	v_mbcnt_lo_u32_b32 v165, v37, 0
	v_cmp_ne_u32_e64 s15, 0, v37
	v_cmp_eq_u32_e32 vcc_lo, 0, v165
	s_and_b32 s16, s15, vcc_lo
	s_wait_alu 0xfffe
	s_and_saveexec_b32 s15, s16
	s_cbranch_execz .LBB1360_153
; %bb.152:                              ;   in Loop: Header=BB1360_101 Depth=2
	s_wait_dscnt 0x0
	v_bcnt_u32_b32 v37, v37, v164
	ds_store_b32 v166, v37 offset:1056
.LBB1360_153:                           ;   in Loop: Header=BB1360_101 Depth=2
	s_wait_alu 0xfffe
	s_or_b32 exec_lo, exec_lo, s15
	v_cmp_gt_i32_e32 vcc_lo, 0, v162
	; wave barrier
	s_wait_alu 0xfffd
	v_cndmask_b32_e64 v37, 0x7fffffff, 0, vcc_lo
	s_delay_alu instid0(VALU_DEP_1) | instskip(NEXT) | instid1(VALU_DEP_1)
	v_xor_b32_e32 v162, v37, v162
	v_cmp_ne_u32_e32 vcc_lo, 0x80000000, v162
	s_wait_alu 0xfffd
	v_cndmask_b32_e32 v37, 0x7fffffff, v162, vcc_lo
	s_delay_alu instid0(VALU_DEP_1) | instskip(NEXT) | instid1(VALU_DEP_1)
	v_lshrrev_b32_e32 v37, s31, v37
	v_and_b32_e32 v167, s48, v37
	s_delay_alu instid0(VALU_DEP_1)
	v_and_b32_e32 v37, 1, v167
	v_lshlrev_b32_e32 v168, 30, v167
	v_lshlrev_b32_e32 v169, 29, v167
	;; [unrolled: 1-line block ×4, first 2 shown]
	v_add_co_u32 v37, s15, v37, -1
	s_wait_alu 0xf1ff
	v_cndmask_b32_e64 v171, 0, 1, s15
	v_not_b32_e32 v175, v168
	v_cmp_gt_i32_e64 s15, 0, v168
	v_not_b32_e32 v168, v169
	v_lshlrev_b32_e32 v173, 26, v167
	v_cmp_ne_u32_e32 vcc_lo, 0, v171
	v_ashrrev_i32_e32 v175, 31, v175
	v_lshlrev_b32_e32 v174, 25, v167
	v_ashrrev_i32_e32 v168, 31, v168
	v_lshlrev_b32_e32 v171, 24, v167
	s_wait_alu 0xfffd
	v_xor_b32_e32 v37, vcc_lo, v37
	v_cmp_gt_i32_e32 vcc_lo, 0, v169
	v_not_b32_e32 v169, v170
	s_wait_alu 0xf1ff
	v_xor_b32_e32 v175, s15, v175
	v_cmp_gt_i32_e64 s15, 0, v170
	v_and_b32_e32 v37, exec_lo, v37
	v_not_b32_e32 v170, v172
	v_ashrrev_i32_e32 v169, 31, v169
	s_wait_alu 0xfffd
	v_xor_b32_e32 v168, vcc_lo, v168
	v_cmp_gt_i32_e32 vcc_lo, 0, v172
	v_and_b32_e32 v37, v37, v175
	v_not_b32_e32 v172, v173
	v_ashrrev_i32_e32 v170, 31, v170
	s_wait_alu 0xf1ff
	v_xor_b32_e32 v169, s15, v169
	v_cmp_gt_i32_e64 s15, 0, v173
	v_and_b32_e32 v37, v37, v168
	v_not_b32_e32 v168, v174
	v_ashrrev_i32_e32 v172, 31, v172
	s_wait_alu 0xfffd
	v_xor_b32_e32 v170, vcc_lo, v170
	v_cmp_gt_i32_e32 vcc_lo, 0, v174
	v_and_b32_e32 v37, v37, v169
	v_not_b32_e32 v169, v171
	v_ashrrev_i32_e32 v168, 31, v168
	s_wait_alu 0xf1ff
	v_xor_b32_e32 v172, s15, v172
	v_cmp_gt_i32_e64 s15, 0, v171
	v_and_b32_e32 v37, v37, v170
	v_ashrrev_i32_e32 v169, 31, v169
	s_wait_alu 0xfffd
	v_xor_b32_e32 v168, vcc_lo, v168
	v_mad_u32_u24 v170, v167, 36, v114
	v_mul_u32_u24_e32 v167, 36, v167
	v_and_b32_e32 v37, v37, v172
	s_wait_alu 0xf1ff
	v_xor_b32_e32 v169, s15, v169
	s_delay_alu instid0(VALU_DEP_2) | instskip(SKIP_3) | instid1(VALU_DEP_1)
	v_and_b32_e32 v37, v37, v168
	ds_load_b32 v168, v170 offset:1056
	v_add_nc_u32_e32 v170, v114, v167
	; wave barrier
	v_and_b32_e32 v37, v37, v169
	v_mbcnt_lo_u32_b32 v169, v37, 0
	v_cmp_ne_u32_e64 s15, 0, v37
	s_delay_alu instid0(VALU_DEP_2)
	v_cmp_eq_u32_e32 vcc_lo, 0, v169
	s_and_b32 s16, s15, vcc_lo
	s_wait_alu 0xfffe
	s_and_saveexec_b32 s15, s16
	s_cbranch_execz .LBB1360_155
; %bb.154:                              ;   in Loop: Header=BB1360_101 Depth=2
	s_wait_dscnt 0x0
	v_bcnt_u32_b32 v37, v37, v168
	ds_store_b32 v170, v37 offset:1056
.LBB1360_155:                           ;   in Loop: Header=BB1360_101 Depth=2
	s_wait_alu 0xfffe
	s_or_b32 exec_lo, exec_lo, s15
	v_cmp_gt_i32_e32 vcc_lo, 0, v43
	; wave barrier
	s_wait_alu 0xfffd
	v_cndmask_b32_e64 v37, 0x7fffffff, 0, vcc_lo
	s_delay_alu instid0(VALU_DEP_1) | instskip(NEXT) | instid1(VALU_DEP_1)
	v_xor_b32_e32 v167, v37, v43
	v_cmp_ne_u32_e32 vcc_lo, 0x80000000, v167
	s_wait_alu 0xfffd
	v_cndmask_b32_e32 v37, 0x7fffffff, v167, vcc_lo
	s_delay_alu instid0(VALU_DEP_1) | instskip(NEXT) | instid1(VALU_DEP_1)
	v_lshrrev_b32_e32 v37, s31, v37
	v_and_b32_e32 v43, s48, v37
	s_delay_alu instid0(VALU_DEP_1)
	v_and_b32_e32 v37, 1, v43
	v_lshlrev_b32_e32 v171, 30, v43
	v_lshlrev_b32_e32 v172, 29, v43
	;; [unrolled: 1-line block ×4, first 2 shown]
	v_add_co_u32 v37, s15, v37, -1
	s_wait_alu 0xf1ff
	v_cndmask_b32_e64 v174, 0, 1, s15
	v_not_b32_e32 v178, v171
	v_cmp_gt_i32_e64 s15, 0, v171
	v_not_b32_e32 v171, v172
	v_lshlrev_b32_e32 v176, 26, v43
	v_cmp_ne_u32_e32 vcc_lo, 0, v174
	v_ashrrev_i32_e32 v178, 31, v178
	v_lshlrev_b32_e32 v177, 25, v43
	v_ashrrev_i32_e32 v171, 31, v171
	v_lshlrev_b32_e32 v174, 24, v43
	s_wait_alu 0xfffd
	v_xor_b32_e32 v37, vcc_lo, v37
	v_cmp_gt_i32_e32 vcc_lo, 0, v172
	v_not_b32_e32 v172, v173
	s_wait_alu 0xf1ff
	v_xor_b32_e32 v178, s15, v178
	v_cmp_gt_i32_e64 s15, 0, v173
	v_and_b32_e32 v37, exec_lo, v37
	v_not_b32_e32 v173, v175
	v_ashrrev_i32_e32 v172, 31, v172
	s_wait_alu 0xfffd
	v_xor_b32_e32 v171, vcc_lo, v171
	v_cmp_gt_i32_e32 vcc_lo, 0, v175
	v_and_b32_e32 v37, v37, v178
	v_not_b32_e32 v175, v176
	v_ashrrev_i32_e32 v173, 31, v173
	s_wait_alu 0xf1ff
	v_xor_b32_e32 v172, s15, v172
	v_cmp_gt_i32_e64 s15, 0, v176
	v_and_b32_e32 v37, v37, v171
	v_not_b32_e32 v171, v177
	v_ashrrev_i32_e32 v175, 31, v175
	s_wait_alu 0xfffd
	v_xor_b32_e32 v173, vcc_lo, v173
	v_cmp_gt_i32_e32 vcc_lo, 0, v177
	v_and_b32_e32 v37, v37, v172
	v_not_b32_e32 v172, v174
	v_ashrrev_i32_e32 v171, 31, v171
	s_wait_alu 0xf1ff
	v_xor_b32_e32 v175, s15, v175
	v_cmp_gt_i32_e64 s15, 0, v174
	v_and_b32_e32 v37, v37, v173
	v_ashrrev_i32_e32 v172, 31, v172
	s_wait_alu 0xfffd
	v_xor_b32_e32 v171, vcc_lo, v171
	v_mad_u32_u24 v173, v43, 36, v114
	v_mul_u32_u24_e32 v43, 36, v43
	v_and_b32_e32 v37, v37, v175
	s_wait_alu 0xf1ff
	v_xor_b32_e32 v174, s15, v172
	ds_load_b32 v172, v173 offset:1056
	v_and_b32_e32 v37, v37, v171
	; wave barrier
	s_delay_alu instid0(VALU_DEP_1) | instskip(SKIP_1) | instid1(VALU_DEP_2)
	v_and_b32_e32 v37, v37, v174
	v_add_nc_u32_e32 v174, v114, v43
	v_mbcnt_lo_u32_b32 v173, v37, 0
	v_cmp_ne_u32_e64 s15, 0, v37
	s_delay_alu instid0(VALU_DEP_2)
	v_cmp_eq_u32_e32 vcc_lo, 0, v173
	s_and_b32 s16, s15, vcc_lo
	s_wait_alu 0xfffe
	s_and_saveexec_b32 s15, s16
	s_cbranch_execz .LBB1360_157
; %bb.156:                              ;   in Loop: Header=BB1360_101 Depth=2
	s_wait_dscnt 0x0
	v_bcnt_u32_b32 v37, v37, v172
	ds_store_b32 v174, v37 offset:1056
.LBB1360_157:                           ;   in Loop: Header=BB1360_101 Depth=2
	s_wait_alu 0xfffe
	s_or_b32 exec_lo, exec_lo, s15
	v_cmp_gt_i32_e32 vcc_lo, 0, v42
	; wave barrier
	s_wait_alu 0xfffd
	v_cndmask_b32_e64 v37, 0x7fffffff, 0, vcc_lo
	s_delay_alu instid0(VALU_DEP_1) | instskip(NEXT) | instid1(VALU_DEP_1)
	v_xor_b32_e32 v171, v37, v42
	v_cmp_ne_u32_e32 vcc_lo, 0x80000000, v171
	s_wait_alu 0xfffd
	v_cndmask_b32_e32 v37, 0x7fffffff, v171, vcc_lo
	s_delay_alu instid0(VALU_DEP_1) | instskip(NEXT) | instid1(VALU_DEP_1)
	v_lshrrev_b32_e32 v37, s31, v37
	v_and_b32_e32 v42, s48, v37
	s_delay_alu instid0(VALU_DEP_1)
	v_and_b32_e32 v37, 1, v42
	v_lshlrev_b32_e32 v43, 30, v42
	v_lshlrev_b32_e32 v175, 29, v42
	;; [unrolled: 1-line block ×4, first 2 shown]
	v_add_co_u32 v37, s15, v37, -1
	s_wait_alu 0xf1ff
	v_cndmask_b32_e64 v177, 0, 1, s15
	v_not_b32_e32 v181, v43
	v_cmp_gt_i32_e64 s15, 0, v43
	v_not_b32_e32 v43, v175
	v_lshlrev_b32_e32 v179, 26, v42
	v_cmp_ne_u32_e32 vcc_lo, 0, v177
	v_ashrrev_i32_e32 v181, 31, v181
	v_lshlrev_b32_e32 v180, 25, v42
	v_ashrrev_i32_e32 v43, 31, v43
	v_lshlrev_b32_e32 v177, 24, v42
	s_wait_alu 0xfffd
	v_xor_b32_e32 v37, vcc_lo, v37
	v_cmp_gt_i32_e32 vcc_lo, 0, v175
	v_not_b32_e32 v175, v176
	s_wait_alu 0xf1ff
	v_xor_b32_e32 v181, s15, v181
	v_cmp_gt_i32_e64 s15, 0, v176
	v_and_b32_e32 v37, exec_lo, v37
	v_not_b32_e32 v176, v178
	v_ashrrev_i32_e32 v175, 31, v175
	s_wait_alu 0xfffd
	v_xor_b32_e32 v43, vcc_lo, v43
	v_cmp_gt_i32_e32 vcc_lo, 0, v178
	v_and_b32_e32 v37, v37, v181
	v_not_b32_e32 v178, v179
	v_ashrrev_i32_e32 v176, 31, v176
	s_wait_alu 0xf1ff
	v_xor_b32_e32 v175, s15, v175
	v_cmp_gt_i32_e64 s15, 0, v179
	v_and_b32_e32 v37, v37, v43
	v_not_b32_e32 v43, v180
	v_ashrrev_i32_e32 v178, 31, v178
	s_wait_alu 0xfffd
	v_xor_b32_e32 v176, vcc_lo, v176
	v_cmp_gt_i32_e32 vcc_lo, 0, v180
	v_and_b32_e32 v37, v37, v175
	v_not_b32_e32 v175, v177
	v_ashrrev_i32_e32 v43, 31, v43
	s_wait_alu 0xf1ff
	v_xor_b32_e32 v178, s15, v178
	v_cmp_gt_i32_e64 s15, 0, v177
	v_and_b32_e32 v37, v37, v176
	v_ashrrev_i32_e32 v175, 31, v175
	s_wait_alu 0xfffd
	v_xor_b32_e32 v43, vcc_lo, v43
	v_mad_u32_u24 v176, v42, 36, v114
	v_mul_u32_u24_e32 v42, 36, v42
	v_and_b32_e32 v37, v37, v178
	s_wait_alu 0xf1ff
	v_xor_b32_e32 v175, s15, v175
	ds_load_b32 v176, v176 offset:1056
	v_add_nc_u32_e32 v178, v114, v42
	v_and_b32_e32 v37, v37, v43
	; wave barrier
	s_delay_alu instid0(VALU_DEP_1) | instskip(NEXT) | instid1(VALU_DEP_1)
	v_and_b32_e32 v37, v37, v175
	v_mbcnt_lo_u32_b32 v177, v37, 0
	v_cmp_ne_u32_e64 s15, 0, v37
	s_delay_alu instid0(VALU_DEP_2)
	v_cmp_eq_u32_e32 vcc_lo, 0, v177
	s_and_b32 s16, s15, vcc_lo
	s_wait_alu 0xfffe
	s_and_saveexec_b32 s15, s16
	s_cbranch_execz .LBB1360_159
; %bb.158:                              ;   in Loop: Header=BB1360_101 Depth=2
	s_wait_dscnt 0x0
	v_bcnt_u32_b32 v37, v37, v176
	ds_store_b32 v178, v37 offset:1056
.LBB1360_159:                           ;   in Loop: Header=BB1360_101 Depth=2
	s_wait_alu 0xfffe
	s_or_b32 exec_lo, exec_lo, s15
	v_cmp_gt_i32_e32 vcc_lo, 0, v41
	; wave barrier
	s_wait_alu 0xfffd
	v_cndmask_b32_e64 v37, 0x7fffffff, 0, vcc_lo
	s_delay_alu instid0(VALU_DEP_1) | instskip(NEXT) | instid1(VALU_DEP_1)
	v_xor_b32_e32 v175, v37, v41
	v_cmp_ne_u32_e32 vcc_lo, 0x80000000, v175
	s_wait_alu 0xfffd
	v_cndmask_b32_e32 v37, 0x7fffffff, v175, vcc_lo
	s_delay_alu instid0(VALU_DEP_1) | instskip(NEXT) | instid1(VALU_DEP_1)
	v_lshrrev_b32_e32 v37, s31, v37
	v_and_b32_e32 v41, s48, v37
	s_delay_alu instid0(VALU_DEP_1)
	v_and_b32_e32 v37, 1, v41
	v_lshlrev_b32_e32 v42, 30, v41
	v_lshlrev_b32_e32 v43, 29, v41
	;; [unrolled: 1-line block ×4, first 2 shown]
	v_add_co_u32 v37, s15, v37, -1
	s_wait_alu 0xf1ff
	v_cndmask_b32_e64 v180, 0, 1, s15
	v_not_b32_e32 v184, v42
	v_cmp_gt_i32_e64 s15, 0, v42
	v_not_b32_e32 v42, v43
	v_lshlrev_b32_e32 v182, 26, v41
	v_cmp_ne_u32_e32 vcc_lo, 0, v180
	v_ashrrev_i32_e32 v184, 31, v184
	v_lshlrev_b32_e32 v183, 25, v41
	v_ashrrev_i32_e32 v42, 31, v42
	v_lshlrev_b32_e32 v180, 24, v41
	s_wait_alu 0xfffd
	v_xor_b32_e32 v37, vcc_lo, v37
	v_cmp_gt_i32_e32 vcc_lo, 0, v43
	v_not_b32_e32 v43, v179
	s_wait_alu 0xf1ff
	v_xor_b32_e32 v184, s15, v184
	v_cmp_gt_i32_e64 s15, 0, v179
	v_and_b32_e32 v37, exec_lo, v37
	v_not_b32_e32 v179, v181
	v_ashrrev_i32_e32 v43, 31, v43
	s_wait_alu 0xfffd
	v_xor_b32_e32 v42, vcc_lo, v42
	v_cmp_gt_i32_e32 vcc_lo, 0, v181
	v_and_b32_e32 v37, v37, v184
	v_not_b32_e32 v181, v182
	v_ashrrev_i32_e32 v179, 31, v179
	s_wait_alu 0xf1ff
	v_xor_b32_e32 v43, s15, v43
	v_cmp_gt_i32_e64 s15, 0, v182
	v_and_b32_e32 v37, v37, v42
	v_not_b32_e32 v42, v183
	v_ashrrev_i32_e32 v181, 31, v181
	s_wait_alu 0xfffd
	v_xor_b32_e32 v179, vcc_lo, v179
	v_cmp_gt_i32_e32 vcc_lo, 0, v183
	v_and_b32_e32 v37, v37, v43
	v_not_b32_e32 v43, v180
	v_ashrrev_i32_e32 v42, 31, v42
	s_wait_alu 0xf1ff
	v_xor_b32_e32 v181, s15, v181
	v_cmp_gt_i32_e64 s15, 0, v180
	v_and_b32_e32 v37, v37, v179
	v_ashrrev_i32_e32 v43, 31, v43
	s_wait_alu 0xfffd
	v_xor_b32_e32 v42, vcc_lo, v42
	v_mad_u32_u24 v179, v41, 36, v114
	v_mul_u32_u24_e32 v41, 36, v41
	v_and_b32_e32 v37, v37, v181
	s_wait_alu 0xf1ff
	v_xor_b32_e32 v43, s15, v43
	ds_load_b32 v180, v179 offset:1056
	v_add_nc_u32_e32 v182, v114, v41
	v_and_b32_e32 v37, v37, v42
	; wave barrier
	s_delay_alu instid0(VALU_DEP_1) | instskip(NEXT) | instid1(VALU_DEP_1)
	v_and_b32_e32 v37, v37, v43
	v_mbcnt_lo_u32_b32 v181, v37, 0
	v_cmp_ne_u32_e64 s15, 0, v37
	s_delay_alu instid0(VALU_DEP_2)
	v_cmp_eq_u32_e32 vcc_lo, 0, v181
	s_and_b32 s16, s15, vcc_lo
	s_wait_alu 0xfffe
	s_and_saveexec_b32 s15, s16
	s_cbranch_execz .LBB1360_161
; %bb.160:                              ;   in Loop: Header=BB1360_101 Depth=2
	s_wait_dscnt 0x0
	v_bcnt_u32_b32 v37, v37, v180
	ds_store_b32 v182, v37 offset:1056
.LBB1360_161:                           ;   in Loop: Header=BB1360_101 Depth=2
	s_wait_alu 0xfffe
	s_or_b32 exec_lo, exec_lo, s15
	v_cmp_gt_i32_e32 vcc_lo, 0, v40
	; wave barrier
	s_wait_alu 0xfffd
	v_cndmask_b32_e64 v37, 0x7fffffff, 0, vcc_lo
	s_delay_alu instid0(VALU_DEP_1) | instskip(NEXT) | instid1(VALU_DEP_1)
	v_xor_b32_e32 v179, v37, v40
	v_cmp_ne_u32_e32 vcc_lo, 0x80000000, v179
	s_wait_alu 0xfffd
	v_cndmask_b32_e32 v37, 0x7fffffff, v179, vcc_lo
	s_delay_alu instid0(VALU_DEP_1) | instskip(NEXT) | instid1(VALU_DEP_1)
	v_lshrrev_b32_e32 v37, s31, v37
	v_and_b32_e32 v40, s48, v37
	s_delay_alu instid0(VALU_DEP_1)
	v_and_b32_e32 v37, 1, v40
	v_lshlrev_b32_e32 v41, 30, v40
	v_lshlrev_b32_e32 v42, 29, v40
	;; [unrolled: 1-line block ×4, first 2 shown]
	v_add_co_u32 v37, s15, v37, -1
	s_wait_alu 0xf1ff
	v_cndmask_b32_e64 v183, 0, 1, s15
	v_not_b32_e32 v187, v41
	v_cmp_gt_i32_e64 s15, 0, v41
	v_not_b32_e32 v41, v42
	v_lshlrev_b32_e32 v185, 26, v40
	v_cmp_ne_u32_e32 vcc_lo, 0, v183
	v_ashrrev_i32_e32 v187, 31, v187
	v_lshlrev_b32_e32 v186, 25, v40
	v_ashrrev_i32_e32 v41, 31, v41
	v_lshlrev_b32_e32 v183, 24, v40
	s_wait_alu 0xfffd
	v_xor_b32_e32 v37, vcc_lo, v37
	v_cmp_gt_i32_e32 vcc_lo, 0, v42
	v_not_b32_e32 v42, v43
	s_wait_alu 0xf1ff
	v_xor_b32_e32 v187, s15, v187
	v_cmp_gt_i32_e64 s15, 0, v43
	v_and_b32_e32 v37, exec_lo, v37
	v_not_b32_e32 v43, v184
	v_ashrrev_i32_e32 v42, 31, v42
	s_wait_alu 0xfffd
	v_xor_b32_e32 v41, vcc_lo, v41
	v_cmp_gt_i32_e32 vcc_lo, 0, v184
	v_and_b32_e32 v37, v37, v187
	v_not_b32_e32 v184, v185
	v_ashrrev_i32_e32 v43, 31, v43
	s_wait_alu 0xf1ff
	v_xor_b32_e32 v42, s15, v42
	v_cmp_gt_i32_e64 s15, 0, v185
	v_and_b32_e32 v37, v37, v41
	v_not_b32_e32 v41, v186
	v_ashrrev_i32_e32 v184, 31, v184
	s_wait_alu 0xfffd
	v_xor_b32_e32 v43, vcc_lo, v43
	v_cmp_gt_i32_e32 vcc_lo, 0, v186
	v_and_b32_e32 v37, v37, v42
	v_not_b32_e32 v42, v183
	v_ashrrev_i32_e32 v41, 31, v41
	s_wait_alu 0xf1ff
	v_xor_b32_e32 v184, s15, v184
	v_cmp_gt_i32_e64 s15, 0, v183
	v_and_b32_e32 v37, v37, v43
	v_ashrrev_i32_e32 v42, 31, v42
	s_wait_alu 0xfffd
	v_xor_b32_e32 v41, vcc_lo, v41
	v_mad_u32_u24 v43, v40, 36, v114
	v_mul_u32_u24_e32 v40, 36, v40
	v_and_b32_e32 v37, v37, v184
	s_wait_alu 0xf1ff
	v_xor_b32_e32 v42, s15, v42
	ds_load_b32 v184, v43 offset:1056
	v_add_nc_u32_e32 v186, v114, v40
	v_and_b32_e32 v37, v37, v41
	; wave barrier
	s_delay_alu instid0(VALU_DEP_1) | instskip(NEXT) | instid1(VALU_DEP_1)
	v_and_b32_e32 v37, v37, v42
	v_mbcnt_lo_u32_b32 v185, v37, 0
	v_cmp_ne_u32_e64 s15, 0, v37
	s_delay_alu instid0(VALU_DEP_2)
	v_cmp_eq_u32_e32 vcc_lo, 0, v185
	s_and_b32 s16, s15, vcc_lo
	s_wait_alu 0xfffe
	s_and_saveexec_b32 s15, s16
	s_cbranch_execz .LBB1360_163
; %bb.162:                              ;   in Loop: Header=BB1360_101 Depth=2
	s_wait_dscnt 0x0
	v_bcnt_u32_b32 v37, v37, v184
	ds_store_b32 v186, v37 offset:1056
.LBB1360_163:                           ;   in Loop: Header=BB1360_101 Depth=2
	s_wait_alu 0xfffe
	s_or_b32 exec_lo, exec_lo, s15
	v_cmp_gt_i32_e32 vcc_lo, 0, v39
	; wave barrier
	s_wait_alu 0xfffd
	v_cndmask_b32_e64 v37, 0x7fffffff, 0, vcc_lo
	s_delay_alu instid0(VALU_DEP_1) | instskip(NEXT) | instid1(VALU_DEP_1)
	v_xor_b32_e32 v183, v37, v39
	v_cmp_ne_u32_e32 vcc_lo, 0x80000000, v183
	s_wait_alu 0xfffd
	v_cndmask_b32_e32 v37, 0x7fffffff, v183, vcc_lo
	s_delay_alu instid0(VALU_DEP_1) | instskip(NEXT) | instid1(VALU_DEP_1)
	v_lshrrev_b32_e32 v37, s31, v37
	v_and_b32_e32 v39, s48, v37
	s_delay_alu instid0(VALU_DEP_1)
	v_and_b32_e32 v37, 1, v39
	v_lshlrev_b32_e32 v40, 30, v39
	v_lshlrev_b32_e32 v41, 29, v39
	;; [unrolled: 1-line block ×4, first 2 shown]
	v_add_co_u32 v37, s15, v37, -1
	s_wait_alu 0xf1ff
	v_cndmask_b32_e64 v43, 0, 1, s15
	v_not_b32_e32 v190, v40
	v_cmp_gt_i32_e64 s15, 0, v40
	v_not_b32_e32 v40, v41
	v_lshlrev_b32_e32 v188, 26, v39
	v_cmp_ne_u32_e32 vcc_lo, 0, v43
	v_ashrrev_i32_e32 v190, 31, v190
	v_lshlrev_b32_e32 v189, 25, v39
	v_ashrrev_i32_e32 v40, 31, v40
	v_lshlrev_b32_e32 v43, 24, v39
	s_wait_alu 0xfffd
	v_xor_b32_e32 v37, vcc_lo, v37
	v_cmp_gt_i32_e32 vcc_lo, 0, v41
	v_not_b32_e32 v41, v42
	s_wait_alu 0xf1ff
	v_xor_b32_e32 v190, s15, v190
	v_cmp_gt_i32_e64 s15, 0, v42
	v_and_b32_e32 v37, exec_lo, v37
	v_not_b32_e32 v42, v187
	v_ashrrev_i32_e32 v41, 31, v41
	s_wait_alu 0xfffd
	v_xor_b32_e32 v40, vcc_lo, v40
	v_cmp_gt_i32_e32 vcc_lo, 0, v187
	v_and_b32_e32 v37, v37, v190
	v_not_b32_e32 v187, v188
	v_ashrrev_i32_e32 v42, 31, v42
	s_wait_alu 0xf1ff
	v_xor_b32_e32 v41, s15, v41
	v_cmp_gt_i32_e64 s15, 0, v188
	v_and_b32_e32 v37, v37, v40
	v_not_b32_e32 v40, v189
	v_ashrrev_i32_e32 v187, 31, v187
	s_wait_alu 0xfffd
	v_xor_b32_e32 v42, vcc_lo, v42
	v_cmp_gt_i32_e32 vcc_lo, 0, v189
	v_and_b32_e32 v37, v37, v41
	v_not_b32_e32 v41, v43
	v_ashrrev_i32_e32 v40, 31, v40
	s_wait_alu 0xf1ff
	v_xor_b32_e32 v187, s15, v187
	v_cmp_gt_i32_e64 s15, 0, v43
	v_and_b32_e32 v37, v37, v42
	v_ashrrev_i32_e32 v41, 31, v41
	s_wait_alu 0xfffd
	v_xor_b32_e32 v40, vcc_lo, v40
	v_mad_u32_u24 v42, v39, 36, v114
	v_mul_u32_u24_e32 v39, 36, v39
	v_and_b32_e32 v37, v37, v187
	s_wait_alu 0xf1ff
	v_xor_b32_e32 v41, s15, v41
	ds_load_b32 v188, v42 offset:1056
	v_add_nc_u32_e32 v190, v114, v39
	v_and_b32_e32 v37, v37, v40
	; wave barrier
	s_delay_alu instid0(VALU_DEP_1) | instskip(NEXT) | instid1(VALU_DEP_1)
	v_and_b32_e32 v37, v37, v41
	v_mbcnt_lo_u32_b32 v189, v37, 0
	v_cmp_ne_u32_e64 s15, 0, v37
	s_delay_alu instid0(VALU_DEP_2)
	v_cmp_eq_u32_e32 vcc_lo, 0, v189
	s_and_b32 s16, s15, vcc_lo
	s_wait_alu 0xfffe
	s_and_saveexec_b32 s15, s16
	s_cbranch_execz .LBB1360_165
; %bb.164:                              ;   in Loop: Header=BB1360_101 Depth=2
	s_wait_dscnt 0x0
	v_bcnt_u32_b32 v37, v37, v188
	ds_store_b32 v190, v37 offset:1056
.LBB1360_165:                           ;   in Loop: Header=BB1360_101 Depth=2
	s_wait_alu 0xfffe
	s_or_b32 exec_lo, exec_lo, s15
	v_cmp_gt_i32_e32 vcc_lo, 0, v38
	; wave barrier
	s_wait_alu 0xfffd
	v_cndmask_b32_e64 v37, 0x7fffffff, 0, vcc_lo
	s_delay_alu instid0(VALU_DEP_1) | instskip(NEXT) | instid1(VALU_DEP_1)
	v_xor_b32_e32 v187, v37, v38
	v_cmp_ne_u32_e32 vcc_lo, 0x80000000, v187
	s_wait_alu 0xfffd
	v_cndmask_b32_e32 v37, 0x7fffffff, v187, vcc_lo
	s_delay_alu instid0(VALU_DEP_1) | instskip(NEXT) | instid1(VALU_DEP_1)
	v_lshrrev_b32_e32 v37, s31, v37
	v_and_b32_e32 v38, s48, v37
	s_delay_alu instid0(VALU_DEP_1)
	v_and_b32_e32 v37, 1, v38
	v_lshlrev_b32_e32 v39, 30, v38
	v_lshlrev_b32_e32 v40, 29, v38
	;; [unrolled: 1-line block ×4, first 2 shown]
	v_add_co_u32 v37, s15, v37, -1
	s_wait_alu 0xf1ff
	v_cndmask_b32_e64 v42, 0, 1, s15
	v_not_b32_e32 v193, v39
	v_cmp_gt_i32_e64 s15, 0, v39
	v_not_b32_e32 v39, v40
	v_lshlrev_b32_e32 v191, 26, v38
	v_cmp_ne_u32_e32 vcc_lo, 0, v42
	v_ashrrev_i32_e32 v193, 31, v193
	v_lshlrev_b32_e32 v192, 25, v38
	v_ashrrev_i32_e32 v39, 31, v39
	v_lshlrev_b32_e32 v42, 24, v38
	s_wait_alu 0xfffd
	v_xor_b32_e32 v37, vcc_lo, v37
	v_cmp_gt_i32_e32 vcc_lo, 0, v40
	v_not_b32_e32 v40, v41
	s_wait_alu 0xf1ff
	v_xor_b32_e32 v193, s15, v193
	v_cmp_gt_i32_e64 s15, 0, v41
	v_and_b32_e32 v37, exec_lo, v37
	v_not_b32_e32 v41, v43
	v_ashrrev_i32_e32 v40, 31, v40
	s_wait_alu 0xfffd
	v_xor_b32_e32 v39, vcc_lo, v39
	v_cmp_gt_i32_e32 vcc_lo, 0, v43
	v_and_b32_e32 v37, v37, v193
	v_not_b32_e32 v43, v191
	v_ashrrev_i32_e32 v41, 31, v41
	s_wait_alu 0xf1ff
	v_xor_b32_e32 v40, s15, v40
	v_cmp_gt_i32_e64 s15, 0, v191
	v_and_b32_e32 v37, v37, v39
	v_not_b32_e32 v39, v192
	v_ashrrev_i32_e32 v43, 31, v43
	s_wait_alu 0xfffd
	v_xor_b32_e32 v41, vcc_lo, v41
	v_cmp_gt_i32_e32 vcc_lo, 0, v192
	v_and_b32_e32 v37, v37, v40
	v_not_b32_e32 v40, v42
	v_ashrrev_i32_e32 v39, 31, v39
	s_wait_alu 0xf1ff
	v_xor_b32_e32 v43, s15, v43
	v_cmp_gt_i32_e64 s15, 0, v42
	v_and_b32_e32 v37, v37, v41
	v_ashrrev_i32_e32 v40, 31, v40
	s_wait_alu 0xfffd
	v_xor_b32_e32 v39, vcc_lo, v39
	v_mad_u32_u24 v41, v38, 36, v114
	v_mul_u32_u24_e32 v38, 36, v38
	v_and_b32_e32 v37, v37, v43
	s_wait_alu 0xf1ff
	v_xor_b32_e32 v40, s15, v40
	ds_load_b32 v192, v41 offset:1056
	v_add_nc_u32_e32 v194, v114, v38
	v_and_b32_e32 v37, v37, v39
	; wave barrier
	s_delay_alu instid0(VALU_DEP_1) | instskip(NEXT) | instid1(VALU_DEP_1)
	v_and_b32_e32 v37, v37, v40
	v_mbcnt_lo_u32_b32 v193, v37, 0
	v_cmp_ne_u32_e64 s15, 0, v37
	s_delay_alu instid0(VALU_DEP_2)
	v_cmp_eq_u32_e32 vcc_lo, 0, v193
	s_and_b32 s16, s15, vcc_lo
	s_wait_alu 0xfffe
	s_and_saveexec_b32 s15, s16
	s_cbranch_execz .LBB1360_167
; %bb.166:                              ;   in Loop: Header=BB1360_101 Depth=2
	s_wait_dscnt 0x0
	v_bcnt_u32_b32 v37, v37, v192
	ds_store_b32 v194, v37 offset:1056
.LBB1360_167:                           ;   in Loop: Header=BB1360_101 Depth=2
	s_wait_alu 0xfffe
	s_or_b32 exec_lo, exec_lo, s15
	v_cmp_gt_i32_e32 vcc_lo, 0, v36
	; wave barrier
	s_wait_alu 0xfffd
	v_cndmask_b32_e64 v37, 0x7fffffff, 0, vcc_lo
	s_delay_alu instid0(VALU_DEP_1) | instskip(NEXT) | instid1(VALU_DEP_1)
	v_xor_b32_e32 v191, v37, v36
	v_cmp_ne_u32_e32 vcc_lo, 0x80000000, v191
	s_wait_alu 0xfffd
	v_cndmask_b32_e32 v36, 0x7fffffff, v191, vcc_lo
	s_delay_alu instid0(VALU_DEP_1) | instskip(NEXT) | instid1(VALU_DEP_1)
	v_lshrrev_b32_e32 v36, s31, v36
	v_and_b32_e32 v37, s48, v36
	s_delay_alu instid0(VALU_DEP_1)
	v_and_b32_e32 v36, 1, v37
	v_lshlrev_b32_e32 v38, 30, v37
	v_lshlrev_b32_e32 v39, 29, v37
	;; [unrolled: 1-line block ×4, first 2 shown]
	v_add_co_u32 v36, s15, v36, -1
	s_wait_alu 0xf1ff
	v_cndmask_b32_e64 v41, 0, 1, s15
	v_not_b32_e32 v196, v38
	v_cmp_gt_i32_e64 s15, 0, v38
	v_not_b32_e32 v38, v39
	v_lshlrev_b32_e32 v43, 26, v37
	v_cmp_ne_u32_e32 vcc_lo, 0, v41
	v_ashrrev_i32_e32 v196, 31, v196
	v_lshlrev_b32_e32 v195, 25, v37
	v_ashrrev_i32_e32 v38, 31, v38
	v_lshlrev_b32_e32 v41, 24, v37
	s_wait_alu 0xfffd
	v_xor_b32_e32 v36, vcc_lo, v36
	v_cmp_gt_i32_e32 vcc_lo, 0, v39
	v_not_b32_e32 v39, v40
	s_wait_alu 0xf1ff
	v_xor_b32_e32 v196, s15, v196
	v_cmp_gt_i32_e64 s15, 0, v40
	v_and_b32_e32 v36, exec_lo, v36
	v_not_b32_e32 v40, v42
	v_ashrrev_i32_e32 v39, 31, v39
	s_wait_alu 0xfffd
	v_xor_b32_e32 v38, vcc_lo, v38
	v_cmp_gt_i32_e32 vcc_lo, 0, v42
	v_and_b32_e32 v36, v36, v196
	v_not_b32_e32 v42, v43
	v_ashrrev_i32_e32 v40, 31, v40
	s_wait_alu 0xf1ff
	v_xor_b32_e32 v39, s15, v39
	v_cmp_gt_i32_e64 s15, 0, v43
	v_and_b32_e32 v36, v36, v38
	v_not_b32_e32 v38, v195
	v_ashrrev_i32_e32 v42, 31, v42
	s_wait_alu 0xfffd
	v_xor_b32_e32 v40, vcc_lo, v40
	v_cmp_gt_i32_e32 vcc_lo, 0, v195
	v_and_b32_e32 v36, v36, v39
	v_not_b32_e32 v39, v41
	v_ashrrev_i32_e32 v38, 31, v38
	s_wait_alu 0xf1ff
	v_xor_b32_e32 v42, s15, v42
	v_cmp_gt_i32_e64 s15, 0, v41
	v_and_b32_e32 v36, v36, v40
	v_ashrrev_i32_e32 v39, 31, v39
	s_wait_alu 0xfffd
	v_xor_b32_e32 v38, vcc_lo, v38
	v_mad_u32_u24 v40, v37, 36, v114
	v_mul_u32_u24_e32 v37, 36, v37
	v_and_b32_e32 v36, v36, v42
	s_wait_alu 0xf1ff
	v_xor_b32_e32 v39, s15, v39
	ds_load_b32 v195, v40 offset:1056
	v_add_nc_u32_e32 v197, v114, v37
	v_and_b32_e32 v36, v36, v38
	; wave barrier
	s_delay_alu instid0(VALU_DEP_1) | instskip(NEXT) | instid1(VALU_DEP_1)
	v_and_b32_e32 v36, v36, v39
	v_mbcnt_lo_u32_b32 v196, v36, 0
	v_cmp_ne_u32_e64 s15, 0, v36
	s_delay_alu instid0(VALU_DEP_2)
	v_cmp_eq_u32_e32 vcc_lo, 0, v196
	s_and_b32 s16, s15, vcc_lo
	s_wait_alu 0xfffe
	s_and_saveexec_b32 s15, s16
	s_cbranch_execz .LBB1360_169
; %bb.168:                              ;   in Loop: Header=BB1360_101 Depth=2
	s_wait_dscnt 0x0
	v_bcnt_u32_b32 v36, v36, v195
	ds_store_b32 v197, v36 offset:1056
.LBB1360_169:                           ;   in Loop: Header=BB1360_101 Depth=2
	s_wait_alu 0xfffe
	s_or_b32 exec_lo, exec_lo, s15
	; wave barrier
	s_wait_loadcnt_dscnt 0x0
	s_barrier_signal -1
	s_barrier_wait -1
	global_inv scope:SCOPE_SE
	ds_load_2addr_b32 v[42:43], v135 offset1:1
	ds_load_2addr_b32 v[40:41], v136 offset1:1
	;; [unrolled: 1-line block ×4, first 2 shown]
	ds_load_b32 v198, v67 offset:1088
	s_wait_dscnt 0x3
	v_add3_u32 v199, v43, v42, v40
	s_wait_dscnt 0x2
	s_delay_alu instid0(VALU_DEP_1) | instskip(SKIP_1) | instid1(VALU_DEP_1)
	v_add3_u32 v199, v199, v41, v38
	s_wait_dscnt 0x1
	v_add3_u32 v199, v199, v39, v36
	s_wait_dscnt 0x0
	s_delay_alu instid0(VALU_DEP_1) | instskip(NEXT) | instid1(VALU_DEP_1)
	v_add3_u32 v198, v199, v37, v198
	v_mov_b32_dpp v199, v198 row_shr:1 row_mask:0xf bank_mask:0xf
	s_delay_alu instid0(VALU_DEP_1) | instskip(NEXT) | instid1(VALU_DEP_1)
	v_cndmask_b32_e64 v199, v199, 0, s0
	v_add_nc_u32_e32 v198, v199, v198
	s_delay_alu instid0(VALU_DEP_1) | instskip(NEXT) | instid1(VALU_DEP_1)
	v_mov_b32_dpp v199, v198 row_shr:2 row_mask:0xf bank_mask:0xf
	v_cndmask_b32_e64 v199, 0, v199, s1
	s_delay_alu instid0(VALU_DEP_1) | instskip(NEXT) | instid1(VALU_DEP_1)
	v_add_nc_u32_e32 v198, v198, v199
	v_mov_b32_dpp v199, v198 row_shr:4 row_mask:0xf bank_mask:0xf
	s_delay_alu instid0(VALU_DEP_1) | instskip(NEXT) | instid1(VALU_DEP_1)
	v_cndmask_b32_e64 v199, 0, v199, s9
	v_add_nc_u32_e32 v198, v198, v199
	s_delay_alu instid0(VALU_DEP_1) | instskip(NEXT) | instid1(VALU_DEP_1)
	v_mov_b32_dpp v199, v198 row_shr:8 row_mask:0xf bank_mask:0xf
	v_cndmask_b32_e64 v199, 0, v199, s10
	s_delay_alu instid0(VALU_DEP_1) | instskip(SKIP_3) | instid1(VALU_DEP_1)
	v_add_nc_u32_e32 v198, v198, v199
	ds_swizzle_b32 v199, v198 offset:swizzle(BROADCAST,32,15)
	s_wait_dscnt 0x0
	v_cndmask_b32_e64 v199, v199, 0, s11
	v_add_nc_u32_e32 v198, v198, v199
	s_and_saveexec_b32 s15, s3
; %bb.170:                              ;   in Loop: Header=BB1360_101 Depth=2
	ds_store_b32 v63, v198 offset:1024
; %bb.171:                              ;   in Loop: Header=BB1360_101 Depth=2
	s_wait_alu 0xfffe
	s_or_b32 exec_lo, exec_lo, s15
	s_wait_loadcnt_dscnt 0x0
	s_barrier_signal -1
	s_barrier_wait -1
	global_inv scope:SCOPE_SE
	s_and_saveexec_b32 s15, s4
	s_cbranch_execz .LBB1360_173
; %bb.172:                              ;   in Loop: Header=BB1360_101 Depth=2
	ds_load_b32 v199, v70 offset:1024
	s_wait_dscnt 0x0
	v_mov_b32_dpp v200, v199 row_shr:1 row_mask:0xf bank_mask:0xf
	s_delay_alu instid0(VALU_DEP_1) | instskip(NEXT) | instid1(VALU_DEP_1)
	v_cndmask_b32_e64 v200, v200, 0, s12
	v_add_nc_u32_e32 v199, v200, v199
	s_delay_alu instid0(VALU_DEP_1) | instskip(NEXT) | instid1(VALU_DEP_1)
	v_mov_b32_dpp v200, v199 row_shr:2 row_mask:0xf bank_mask:0xf
	v_cndmask_b32_e64 v200, 0, v200, s13
	s_delay_alu instid0(VALU_DEP_1) | instskip(NEXT) | instid1(VALU_DEP_1)
	v_add_nc_u32_e32 v199, v199, v200
	v_mov_b32_dpp v200, v199 row_shr:4 row_mask:0xf bank_mask:0xf
	s_delay_alu instid0(VALU_DEP_1) | instskip(NEXT) | instid1(VALU_DEP_1)
	v_cndmask_b32_e64 v200, 0, v200, s14
	v_add_nc_u32_e32 v199, v199, v200
	ds_store_b32 v70, v199 offset:1024
.LBB1360_173:                           ;   in Loop: Header=BB1360_101 Depth=2
	s_wait_alu 0xfffe
	s_or_b32 exec_lo, exec_lo, s15
	v_mov_b32_e32 v199, 0
	s_wait_loadcnt_dscnt 0x0
	s_barrier_signal -1
	s_barrier_wait -1
	global_inv scope:SCOPE_SE
	s_and_saveexec_b32 s15, s5
; %bb.174:                              ;   in Loop: Header=BB1360_101 Depth=2
	ds_load_b32 v199, v63 offset:1020
; %bb.175:                              ;   in Loop: Header=BB1360_101 Depth=2
	s_wait_alu 0xfffe
	s_or_b32 exec_lo, exec_lo, s15
	s_wait_dscnt 0x0
	v_add_nc_u32_e32 v198, v199, v198
	ds_bpermute_b32 v198, v113, v198
	s_wait_dscnt 0x0
	v_cndmask_b32_e64 v198, v198, v199, s8
	s_delay_alu instid0(VALU_DEP_1) | instskip(NEXT) | instid1(VALU_DEP_1)
	v_cndmask_b32_e64 v198, v198, 0, s6
	v_add_nc_u32_e32 v42, v198, v42
	s_delay_alu instid0(VALU_DEP_1) | instskip(NEXT) | instid1(VALU_DEP_1)
	v_add_nc_u32_e32 v43, v42, v43
	v_add_nc_u32_e32 v40, v43, v40
	s_delay_alu instid0(VALU_DEP_1) | instskip(NEXT) | instid1(VALU_DEP_1)
	v_add_nc_u32_e32 v41, v40, v41
	;; [unrolled: 3-line block ×3, first 2 shown]
	v_add_nc_u32_e32 v36, v39, v36
	s_delay_alu instid0(VALU_DEP_1)
	v_add_nc_u32_e32 v37, v36, v37
	ds_store_2addr_b32 v134, v39, v36 offset1:1
	ds_store_2addr_b32 v135, v198, v42 offset1:1
	;; [unrolled: 1-line block ×4, first 2 shown]
	ds_store_b32 v67, v37 offset:1088
	s_wait_loadcnt_dscnt 0x0
	s_barrier_signal -1
	s_barrier_wait -1
	global_inv scope:SCOPE_SE
	ds_load_b32 v39, v138 offset:1056
	ds_load_b32 v41, v142 offset:1056
	ds_load_b32 v42, v146 offset:1056
	ds_load_b32 v43, v150 offset:1056
	ds_load_b32 v134, v154 offset:1056
	ds_load_b32 v135, v158 offset:1056
	ds_load_b32 v136, v163 offset:1056
	ds_load_b32 v158, v166 offset:1056
	ds_load_b32 v163, v170 offset:1056
	ds_load_b32 v166, v174 offset:1056
	ds_load_b32 v170, v178 offset:1056
	ds_load_b32 v174, v182 offset:1056
	ds_load_b32 v36, v186 offset:1056
	ds_load_b32 v37, v190 offset:1056
	ds_load_b32 v40, v194 offset:1056
	ds_load_b32 v154, v197 offset:1056
	ds_load_b32 v137, v67 offset:1056
	v_mov_b32_e32 v38, 0x1000
	s_and_saveexec_b32 s15, s7
; %bb.176:                              ;   in Loop: Header=BB1360_101 Depth=2
	ds_load_b32 v38, v67 offset:1092
; %bb.177:                              ;   in Loop: Header=BB1360_101 Depth=2
	s_wait_alu 0xfffe
	s_or_b32 exec_lo, exec_lo, s15
	s_wait_loadcnt_dscnt 0x0
	s_barrier_signal -1
	s_barrier_wait -1
	global_inv scope:SCOPE_SE
	s_and_saveexec_b32 s15, s2
	s_cbranch_execz .LBB1360_179
; %bb.178:                              ;   in Loop: Header=BB1360_101 Depth=2
	ds_load_b32 v138, v44
	s_wait_dscnt 0x0
	v_sub_nc_u32_e32 v137, v138, v137
	ds_store_b32 v44, v137
.LBB1360_179:                           ;   in Loop: Header=BB1360_101 Depth=2
	s_wait_alu 0xfffe
	s_or_b32 exec_lo, exec_lo, s15
	v_add_nc_u32_e32 v150, v39, v133
	v_add3_u32 v146, v141, v140, v41
	v_add3_u32 v142, v145, v144, v42
	;; [unrolled: 1-line block ×4, first 2 shown]
	v_lshlrev_b32_e32 v144, 2, v150
	v_add3_u32 v138, v157, v156, v135
	v_add3_u32 v137, v161, v160, v136
	;; [unrolled: 1-line block ×4, first 2 shown]
	ds_store_b32 v144, v2 offset:1024
	v_lshlrev_b32_e32 v2, 2, v146
	v_lshlrev_b32_e32 v36, 2, v142
	v_add3_u32 v135, v169, v168, v163
	v_add3_u32 v42, v189, v188, v37
	v_lshlrev_b32_e32 v37, 2, v141
	v_add3_u32 v134, v173, v172, v166
	v_lshlrev_b32_e32 v144, 2, v140
	;; [unrolled: 2-line block ×3, first 2 shown]
	v_add3_u32 v39, v181, v180, v174
	ds_store_b32 v2, v132 offset:1024
	ds_store_b32 v36, v139 offset:1024
	;; [unrolled: 1-line block ×5, first 2 shown]
	v_lshlrev_b32_e32 v2, 2, v137
	v_lshlrev_b32_e32 v36, 2, v136
	;; [unrolled: 1-line block ×3, first 2 shown]
	v_add3_u32 v41, v193, v192, v40
	v_lshlrev_b32_e32 v132, 2, v134
	v_add3_u32 v40, v196, v195, v154
	v_lshlrev_b32_e32 v139, 2, v133
	ds_store_b32 v2, v155 offset:1024
	ds_store_b32 v36, v159 offset:1024
	;; [unrolled: 1-line block ×5, first 2 shown]
	v_lshlrev_b32_e32 v2, 2, v39
	v_cmp_lt_u32_e32 vcc_lo, v1, v131
	v_lshlrev_b32_e32 v36, 2, v43
	v_lshlrev_b32_e32 v37, 2, v42
	;; [unrolled: 1-line block ×4, first 2 shown]
	ds_store_b32 v2, v175 offset:1024
	ds_store_b32 v36, v179 offset:1024
	;; [unrolled: 1-line block ×5, first 2 shown]
	s_wait_loadcnt_dscnt 0x0
	s_barrier_signal -1
	s_barrier_wait -1
	global_inv scope:SCOPE_SE
	s_and_saveexec_b32 s16, vcc_lo
	s_cbranch_execnz .LBB1360_248
; %bb.180:                              ;   in Loop: Header=BB1360_101 Depth=2
	s_wait_alu 0xfffe
	s_or_b32 exec_lo, exec_lo, s16
	v_cmp_lt_u32_e64 s15, v45, v131
	s_and_saveexec_b32 s17, s15
	s_cbranch_execnz .LBB1360_249
.LBB1360_181:                           ;   in Loop: Header=BB1360_101 Depth=2
	s_wait_alu 0xfffe
	s_or_b32 exec_lo, exec_lo, s17
	v_cmp_lt_u32_e64 s16, v46, v131
	s_and_saveexec_b32 s18, s16
	s_cbranch_execnz .LBB1360_250
.LBB1360_182:                           ;   in Loop: Header=BB1360_101 Depth=2
	s_wait_alu 0xfffe
	s_or_b32 exec_lo, exec_lo, s18
	v_cmp_lt_u32_e64 s17, v47, v131
	s_and_saveexec_b32 s19, s17
	s_cbranch_execnz .LBB1360_251
.LBB1360_183:                           ;   in Loop: Header=BB1360_101 Depth=2
	s_wait_alu 0xfffe
	s_or_b32 exec_lo, exec_lo, s19
	v_cmp_lt_u32_e64 s18, v50, v131
	s_and_saveexec_b32 s20, s18
	s_cbranch_execnz .LBB1360_252
.LBB1360_184:                           ;   in Loop: Header=BB1360_101 Depth=2
	s_wait_alu 0xfffe
	s_or_b32 exec_lo, exec_lo, s20
	v_cmp_lt_u32_e64 s19, v51, v131
	s_and_saveexec_b32 s21, s19
	s_cbranch_execnz .LBB1360_253
.LBB1360_185:                           ;   in Loop: Header=BB1360_101 Depth=2
	s_wait_alu 0xfffe
	s_or_b32 exec_lo, exec_lo, s21
	v_cmp_lt_u32_e64 s20, v52, v131
	s_and_saveexec_b32 s22, s20
	s_cbranch_execnz .LBB1360_254
.LBB1360_186:                           ;   in Loop: Header=BB1360_101 Depth=2
	s_wait_alu 0xfffe
	s_or_b32 exec_lo, exec_lo, s22
	v_cmp_lt_u32_e64 s21, v53, v131
	s_and_saveexec_b32 s23, s21
	s_cbranch_execnz .LBB1360_255
.LBB1360_187:                           ;   in Loop: Header=BB1360_101 Depth=2
	s_wait_alu 0xfffe
	s_or_b32 exec_lo, exec_lo, s23
	v_cmp_lt_u32_e64 s22, v54, v131
	s_and_saveexec_b32 s24, s22
	s_cbranch_execnz .LBB1360_256
.LBB1360_188:                           ;   in Loop: Header=BB1360_101 Depth=2
	s_wait_alu 0xfffe
	s_or_b32 exec_lo, exec_lo, s24
	v_cmp_lt_u32_e64 s23, v55, v131
	s_and_saveexec_b32 s25, s23
	s_cbranch_execnz .LBB1360_257
.LBB1360_189:                           ;   in Loop: Header=BB1360_101 Depth=2
	s_wait_alu 0xfffe
	s_or_b32 exec_lo, exec_lo, s25
	v_cmp_lt_u32_e64 s24, v56, v131
	s_and_saveexec_b32 s26, s24
	s_cbranch_execnz .LBB1360_258
.LBB1360_190:                           ;   in Loop: Header=BB1360_101 Depth=2
	s_wait_alu 0xfffe
	s_or_b32 exec_lo, exec_lo, s26
	v_cmp_lt_u32_e64 s25, v57, v131
	s_and_saveexec_b32 s27, s25
	s_cbranch_execnz .LBB1360_259
.LBB1360_191:                           ;   in Loop: Header=BB1360_101 Depth=2
	s_wait_alu 0xfffe
	s_or_b32 exec_lo, exec_lo, s27
	v_cmp_lt_u32_e64 s26, v58, v131
	s_and_saveexec_b32 s28, s26
	s_cbranch_execnz .LBB1360_260
.LBB1360_192:                           ;   in Loop: Header=BB1360_101 Depth=2
	s_wait_alu 0xfffe
	s_or_b32 exec_lo, exec_lo, s28
	v_cmp_lt_u32_e64 s27, v59, v131
	s_and_saveexec_b32 s29, s27
	s_cbranch_execnz .LBB1360_261
.LBB1360_193:                           ;   in Loop: Header=BB1360_101 Depth=2
	s_wait_alu 0xfffe
	s_or_b32 exec_lo, exec_lo, s29
	v_cmp_lt_u32_e64 s28, v60, v131
	s_and_saveexec_b32 s30, s28
	s_cbranch_execnz .LBB1360_262
.LBB1360_194:                           ;   in Loop: Header=BB1360_101 Depth=2
	s_wait_alu 0xfffe
	s_or_b32 exec_lo, exec_lo, s30
	v_cmp_lt_u32_e64 s29, v61, v131
	s_and_saveexec_b32 s56, s29
	s_cbranch_execz .LBB1360_196
.LBB1360_195:                           ;   in Loop: Header=BB1360_101 Depth=2
	ds_load_b32 v132, v70 offset:16384
	s_wait_dscnt 0x0
	v_cmp_ne_u32_e64 s30, 0x80000000, v132
	s_wait_alu 0xf1ff
	s_delay_alu instid0(VALU_DEP_1) | instskip(SKIP_1) | instid1(VALU_DEP_2)
	v_cndmask_b32_e64 v2, 0x7fffffff, v132, s30
	v_cmp_gt_i32_e64 s30, 0, v132
	v_lshrrev_b32_e32 v2, s31, v2
	s_wait_alu 0xf1ff
	s_delay_alu instid0(VALU_DEP_2) | instskip(NEXT) | instid1(VALU_DEP_2)
	v_cndmask_b32_e64 v139, 0x7fffffff, 0, s30
	v_and_b32_e32 v2, s48, v2
	s_delay_alu instid0(VALU_DEP_1) | instskip(SKIP_3) | instid1(VALU_DEP_1)
	v_lshlrev_b32_e32 v2, 2, v2
	ds_load_b32 v2, v2
	s_wait_dscnt 0x0
	v_add_nc_u32_e32 v2, v2, v61
	v_lshlrev_b64_e32 v[36:37], 2, v[2:3]
	v_xor_b32_e32 v2, v139, v132
	s_delay_alu instid0(VALU_DEP_2) | instskip(SKIP_1) | instid1(VALU_DEP_3)
	v_add_co_u32 v36, s30, s38, v36
	s_wait_alu 0xf1ff
	v_add_co_ci_u32_e64 v37, null, s39, v37, s30
	global_store_b32 v[36:37], v2, off
.LBB1360_196:                           ;   in Loop: Header=BB1360_101 Depth=2
	s_wait_alu 0xfffe
	s_or_b32 exec_lo, exec_lo, s56
	s_lshl_b64 s[56:57], s[42:43], 3
	s_wait_alu 0xfffe
	v_add_co_u32 v36, s30, v109, s56
	s_wait_alu 0xf1ff
	v_add_co_ci_u32_e64 v37, null, s57, v110, s30
	v_cmp_lt_u32_e64 s30, v88, v131
	s_and_saveexec_b32 s42, s30
	s_wait_alu 0xfffe
	s_xor_b32 s30, exec_lo, s42
	s_cbranch_execnz .LBB1360_263
; %bb.197:                              ;   in Loop: Header=BB1360_101 Depth=2
	s_wait_alu 0xfffe
	s_or_b32 exec_lo, exec_lo, s30
	s_delay_alu instid0(SALU_CYCLE_1)
	s_mov_b32 s42, exec_lo
	v_cmpx_lt_u32_e64 v92, v131
	s_cbranch_execnz .LBB1360_264
.LBB1360_198:                           ;   in Loop: Header=BB1360_101 Depth=2
	s_wait_alu 0xfffe
	s_or_b32 exec_lo, exec_lo, s42
	s_delay_alu instid0(SALU_CYCLE_1)
	s_mov_b32 s42, exec_lo
	v_cmpx_lt_u32_e64 v93, v131
	s_cbranch_execnz .LBB1360_265
.LBB1360_199:                           ;   in Loop: Header=BB1360_101 Depth=2
	s_wait_alu 0xfffe
	s_or_b32 exec_lo, exec_lo, s42
	s_delay_alu instid0(SALU_CYCLE_1)
	s_mov_b32 s42, exec_lo
	v_cmpx_lt_u32_e64 v94, v131
	s_cbranch_execnz .LBB1360_266
.LBB1360_200:                           ;   in Loop: Header=BB1360_101 Depth=2
	s_wait_alu 0xfffe
	s_or_b32 exec_lo, exec_lo, s42
	s_delay_alu instid0(SALU_CYCLE_1)
	s_mov_b32 s42, exec_lo
	v_cmpx_lt_u32_e64 v95, v131
	s_cbranch_execnz .LBB1360_267
.LBB1360_201:                           ;   in Loop: Header=BB1360_101 Depth=2
	s_wait_alu 0xfffe
	s_or_b32 exec_lo, exec_lo, s42
	s_delay_alu instid0(SALU_CYCLE_1)
	s_mov_b32 s42, exec_lo
	v_cmpx_lt_u32_e64 v96, v131
	s_cbranch_execnz .LBB1360_268
.LBB1360_202:                           ;   in Loop: Header=BB1360_101 Depth=2
	s_wait_alu 0xfffe
	s_or_b32 exec_lo, exec_lo, s42
	s_delay_alu instid0(SALU_CYCLE_1)
	s_mov_b32 s42, exec_lo
	v_cmpx_lt_u32_e64 v97, v131
	s_cbranch_execnz .LBB1360_269
.LBB1360_203:                           ;   in Loop: Header=BB1360_101 Depth=2
	s_wait_alu 0xfffe
	s_or_b32 exec_lo, exec_lo, s42
	s_delay_alu instid0(SALU_CYCLE_1)
	s_mov_b32 s42, exec_lo
	v_cmpx_lt_u32_e64 v98, v131
	s_cbranch_execnz .LBB1360_270
.LBB1360_204:                           ;   in Loop: Header=BB1360_101 Depth=2
	s_wait_alu 0xfffe
	s_or_b32 exec_lo, exec_lo, s42
	s_delay_alu instid0(SALU_CYCLE_1)
	s_mov_b32 s42, exec_lo
	v_cmpx_lt_u32_e64 v99, v131
	s_cbranch_execnz .LBB1360_271
.LBB1360_205:                           ;   in Loop: Header=BB1360_101 Depth=2
	s_wait_alu 0xfffe
	s_or_b32 exec_lo, exec_lo, s42
	s_delay_alu instid0(SALU_CYCLE_1)
	s_mov_b32 s42, exec_lo
	v_cmpx_lt_u32_e64 v100, v131
	s_cbranch_execnz .LBB1360_272
.LBB1360_206:                           ;   in Loop: Header=BB1360_101 Depth=2
	s_wait_alu 0xfffe
	s_or_b32 exec_lo, exec_lo, s42
	s_delay_alu instid0(SALU_CYCLE_1)
	s_mov_b32 s42, exec_lo
	v_cmpx_lt_u32_e64 v101, v131
	s_cbranch_execnz .LBB1360_273
.LBB1360_207:                           ;   in Loop: Header=BB1360_101 Depth=2
	s_wait_alu 0xfffe
	s_or_b32 exec_lo, exec_lo, s42
	s_delay_alu instid0(SALU_CYCLE_1)
	s_mov_b32 s42, exec_lo
	v_cmpx_lt_u32_e64 v102, v131
	s_cbranch_execnz .LBB1360_274
.LBB1360_208:                           ;   in Loop: Header=BB1360_101 Depth=2
	s_wait_alu 0xfffe
	s_or_b32 exec_lo, exec_lo, s42
	s_delay_alu instid0(SALU_CYCLE_1)
	s_mov_b32 s42, exec_lo
	v_cmpx_lt_u32_e64 v103, v131
	s_cbranch_execnz .LBB1360_275
.LBB1360_209:                           ;   in Loop: Header=BB1360_101 Depth=2
	s_wait_alu 0xfffe
	s_or_b32 exec_lo, exec_lo, s42
	s_delay_alu instid0(SALU_CYCLE_1)
	s_mov_b32 s42, exec_lo
	v_cmpx_lt_u32_e64 v104, v131
	s_cbranch_execnz .LBB1360_276
.LBB1360_210:                           ;   in Loop: Header=BB1360_101 Depth=2
	s_wait_alu 0xfffe
	s_or_b32 exec_lo, exec_lo, s42
	s_delay_alu instid0(SALU_CYCLE_1)
	s_mov_b32 s42, exec_lo
	v_cmpx_lt_u32_e64 v105, v131
	s_cbranch_execnz .LBB1360_277
.LBB1360_211:                           ;   in Loop: Header=BB1360_101 Depth=2
	s_wait_alu 0xfffe
	s_or_b32 exec_lo, exec_lo, s42
	s_delay_alu instid0(SALU_CYCLE_1)
	s_mov_b32 s42, exec_lo
	v_cmpx_lt_u32_e64 v106, v131
	s_cbranch_execnz .LBB1360_278
.LBB1360_212:                           ;   in Loop: Header=BB1360_101 Depth=2
	s_wait_alu 0xfffe
	s_or_b32 exec_lo, exec_lo, s42
	s_and_saveexec_b32 s42, vcc_lo
	s_cbranch_execnz .LBB1360_279
.LBB1360_213:                           ;   in Loop: Header=BB1360_101 Depth=2
	s_wait_alu 0xfffe
	s_or_b32 exec_lo, exec_lo, s42
	s_and_saveexec_b32 s42, s15
	s_cbranch_execnz .LBB1360_280
.LBB1360_214:                           ;   in Loop: Header=BB1360_101 Depth=2
	s_wait_alu 0xfffe
	s_or_b32 exec_lo, exec_lo, s42
	s_and_saveexec_b32 s42, s16
	s_cbranch_execnz .LBB1360_281
.LBB1360_215:                           ;   in Loop: Header=BB1360_101 Depth=2
	s_wait_alu 0xfffe
	s_or_b32 exec_lo, exec_lo, s42
	s_and_saveexec_b32 s42, s17
	s_cbranch_execnz .LBB1360_282
.LBB1360_216:                           ;   in Loop: Header=BB1360_101 Depth=2
	s_wait_alu 0xfffe
	s_or_b32 exec_lo, exec_lo, s42
	s_and_saveexec_b32 s42, s18
	s_cbranch_execnz .LBB1360_283
.LBB1360_217:                           ;   in Loop: Header=BB1360_101 Depth=2
	s_wait_alu 0xfffe
	s_or_b32 exec_lo, exec_lo, s42
	s_and_saveexec_b32 s42, s19
	s_cbranch_execnz .LBB1360_284
.LBB1360_218:                           ;   in Loop: Header=BB1360_101 Depth=2
	s_wait_alu 0xfffe
	s_or_b32 exec_lo, exec_lo, s42
	s_and_saveexec_b32 s42, s20
	s_cbranch_execnz .LBB1360_285
.LBB1360_219:                           ;   in Loop: Header=BB1360_101 Depth=2
	s_wait_alu 0xfffe
	s_or_b32 exec_lo, exec_lo, s42
	s_and_saveexec_b32 s42, s21
	s_cbranch_execnz .LBB1360_286
.LBB1360_220:                           ;   in Loop: Header=BB1360_101 Depth=2
	s_wait_alu 0xfffe
	s_or_b32 exec_lo, exec_lo, s42
	s_and_saveexec_b32 s42, s22
	s_cbranch_execnz .LBB1360_287
.LBB1360_221:                           ;   in Loop: Header=BB1360_101 Depth=2
	s_wait_alu 0xfffe
	s_or_b32 exec_lo, exec_lo, s42
	s_and_saveexec_b32 s42, s23
	s_cbranch_execnz .LBB1360_288
.LBB1360_222:                           ;   in Loop: Header=BB1360_101 Depth=2
	s_wait_alu 0xfffe
	s_or_b32 exec_lo, exec_lo, s42
	s_and_saveexec_b32 s42, s24
	s_cbranch_execnz .LBB1360_289
.LBB1360_223:                           ;   in Loop: Header=BB1360_101 Depth=2
	s_wait_alu 0xfffe
	s_or_b32 exec_lo, exec_lo, s42
	s_and_saveexec_b32 s42, s25
	s_cbranch_execnz .LBB1360_290
.LBB1360_224:                           ;   in Loop: Header=BB1360_101 Depth=2
	s_wait_alu 0xfffe
	s_or_b32 exec_lo, exec_lo, s42
	s_and_saveexec_b32 s42, s26
	s_cbranch_execnz .LBB1360_291
.LBB1360_225:                           ;   in Loop: Header=BB1360_101 Depth=2
	s_wait_alu 0xfffe
	s_or_b32 exec_lo, exec_lo, s42
	s_and_saveexec_b32 s42, s27
	s_cbranch_execnz .LBB1360_292
.LBB1360_226:                           ;   in Loop: Header=BB1360_101 Depth=2
	s_wait_alu 0xfffe
	s_or_b32 exec_lo, exec_lo, s42
	s_and_saveexec_b32 s42, s28
	s_cbranch_execnz .LBB1360_293
.LBB1360_227:                           ;   in Loop: Header=BB1360_101 Depth=2
	s_wait_alu 0xfffe
	s_or_b32 exec_lo, exec_lo, s42
	s_and_saveexec_b32 s42, s29
	s_cbranch_execz .LBB1360_229
.LBB1360_228:                           ;   in Loop: Header=BB1360_101 Depth=2
	ds_load_b32 v2, v70 offset:16384
	s_wait_dscnt 0x0
	v_cmp_ne_u32_e64 s30, 0x80000000, v2
	s_wait_alu 0xf1ff
	s_delay_alu instid0(VALU_DEP_1) | instskip(NEXT) | instid1(VALU_DEP_1)
	v_cndmask_b32_e64 v2, 0x7fffffff, v2, s30
	v_lshrrev_b32_e32 v2, s31, v2
	s_delay_alu instid0(VALU_DEP_1)
	v_and_b32_e32 v115, s48, v2
.LBB1360_229:                           ;   in Loop: Header=BB1360_101 Depth=2
	s_wait_alu 0xfffe
	s_or_b32 exec_lo, exec_lo, s42
	v_lshlrev_b32_e32 v2, 3, v150
	s_wait_loadcnt 0x0
	s_wait_storecnt 0x0
	s_barrier_signal -1
	s_barrier_wait -1
	global_inv scope:SCOPE_SE
	ds_store_b64 v2, v[34:35] offset:1024
	v_lshlrev_b32_e32 v2, 3, v146
	v_lshlrev_b32_e32 v36, 3, v142
	v_lshlrev_b32_e32 v37, 3, v141
	v_lshlrev_b32_e32 v131, 3, v140
	v_lshlrev_b32_e32 v132, 3, v138
	ds_store_b64 v2, v[32:33] offset:1024
	ds_store_b64 v36, v[30:31] offset:1024
	ds_store_b64 v37, v[28:29] offset:1024
	ds_store_b64 v131, v[26:27] offset:1024
	ds_store_b64 v132, v[24:25] offset:1024
	v_lshlrev_b32_e32 v2, 3, v137
	v_lshlrev_b32_e32 v36, 3, v136
	v_lshlrev_b32_e32 v37, 3, v135
	v_lshlrev_b32_e32 v131, 3, v134
	v_lshlrev_b32_e32 v132, 3, v133
	ds_store_b64 v2, v[22:23] offset:1024
	ds_store_b64 v36, v[20:21] offset:1024
	ds_store_b64 v37, v[18:19] offset:1024
	ds_store_b64 v131, v[16:17] offset:1024
	;; [unrolled: 10-line block ×3, first 2 shown]
	ds_store_b64 v40, v[4:5] offset:1024
	s_wait_loadcnt_dscnt 0x0
	s_barrier_signal -1
	s_barrier_wait -1
	global_inv scope:SCOPE_SE
	s_and_saveexec_b32 s30, vcc_lo
	s_cbranch_execnz .LBB1360_294
; %bb.230:                              ;   in Loop: Header=BB1360_101 Depth=2
	s_wait_alu 0xfffe
	s_or_b32 exec_lo, exec_lo, s30
	s_and_saveexec_b32 s30, s15
	s_cbranch_execnz .LBB1360_295
.LBB1360_231:                           ;   in Loop: Header=BB1360_101 Depth=2
	s_wait_alu 0xfffe
	s_or_b32 exec_lo, exec_lo, s30
	s_and_saveexec_b32 s15, s16
	s_cbranch_execnz .LBB1360_296
.LBB1360_232:                           ;   in Loop: Header=BB1360_101 Depth=2
	s_wait_alu 0xfffe
	s_or_b32 exec_lo, exec_lo, s15
	s_and_saveexec_b32 s15, s17
	s_cbranch_execnz .LBB1360_297
.LBB1360_233:                           ;   in Loop: Header=BB1360_101 Depth=2
	s_wait_alu 0xfffe
	s_or_b32 exec_lo, exec_lo, s15
	s_and_saveexec_b32 s15, s18
	s_cbranch_execnz .LBB1360_298
.LBB1360_234:                           ;   in Loop: Header=BB1360_101 Depth=2
	s_wait_alu 0xfffe
	s_or_b32 exec_lo, exec_lo, s15
	s_and_saveexec_b32 s15, s19
	s_cbranch_execnz .LBB1360_299
.LBB1360_235:                           ;   in Loop: Header=BB1360_101 Depth=2
	s_wait_alu 0xfffe
	s_or_b32 exec_lo, exec_lo, s15
	s_and_saveexec_b32 s15, s20
	s_cbranch_execnz .LBB1360_300
.LBB1360_236:                           ;   in Loop: Header=BB1360_101 Depth=2
	s_wait_alu 0xfffe
	s_or_b32 exec_lo, exec_lo, s15
	s_and_saveexec_b32 s15, s21
	s_cbranch_execnz .LBB1360_301
.LBB1360_237:                           ;   in Loop: Header=BB1360_101 Depth=2
	s_wait_alu 0xfffe
	s_or_b32 exec_lo, exec_lo, s15
	s_and_saveexec_b32 s15, s22
	s_cbranch_execnz .LBB1360_302
.LBB1360_238:                           ;   in Loop: Header=BB1360_101 Depth=2
	s_wait_alu 0xfffe
	s_or_b32 exec_lo, exec_lo, s15
	s_and_saveexec_b32 s15, s23
	s_cbranch_execnz .LBB1360_303
.LBB1360_239:                           ;   in Loop: Header=BB1360_101 Depth=2
	s_wait_alu 0xfffe
	s_or_b32 exec_lo, exec_lo, s15
	s_and_saveexec_b32 s15, s24
	s_cbranch_execnz .LBB1360_304
.LBB1360_240:                           ;   in Loop: Header=BB1360_101 Depth=2
	s_wait_alu 0xfffe
	s_or_b32 exec_lo, exec_lo, s15
	s_and_saveexec_b32 s15, s25
	s_cbranch_execnz .LBB1360_305
.LBB1360_241:                           ;   in Loop: Header=BB1360_101 Depth=2
	s_wait_alu 0xfffe
	s_or_b32 exec_lo, exec_lo, s15
	s_and_saveexec_b32 s15, s26
	s_cbranch_execnz .LBB1360_306
.LBB1360_242:                           ;   in Loop: Header=BB1360_101 Depth=2
	s_wait_alu 0xfffe
	s_or_b32 exec_lo, exec_lo, s15
	s_and_saveexec_b32 s15, s27
	s_cbranch_execnz .LBB1360_307
.LBB1360_243:                           ;   in Loop: Header=BB1360_101 Depth=2
	s_wait_alu 0xfffe
	s_or_b32 exec_lo, exec_lo, s15
	s_and_saveexec_b32 s15, s28
	s_cbranch_execnz .LBB1360_308
.LBB1360_244:                           ;   in Loop: Header=BB1360_101 Depth=2
	s_wait_alu 0xfffe
	s_or_b32 exec_lo, exec_lo, s15
	s_and_saveexec_b32 s15, s29
	s_cbranch_execz .LBB1360_246
.LBB1360_245:                           ;   in Loop: Header=BB1360_101 Depth=2
	v_lshlrev_b32_e32 v2, 2, v115
	v_add_nc_u32_e32 v36, v70, v44
	ds_load_b32 v2, v2
	ds_load_b64 v[36:37], v36 offset:31744
	s_wait_dscnt 0x1
	v_add_nc_u32_e32 v2, v2, v61
	s_delay_alu instid0(VALU_DEP_1) | instskip(NEXT) | instid1(VALU_DEP_1)
	v_lshlrev_b64_e32 v[39:40], 3, v[2:3]
	v_add_co_u32 v39, vcc_lo, s44, v39
	s_wait_alu 0xfffd
	s_delay_alu instid0(VALU_DEP_2)
	v_add_co_ci_u32_e64 v40, null, s45, v40, vcc_lo
	s_wait_dscnt 0x0
	global_store_b64 v[39:40], v[36:37], off
.LBB1360_246:                           ;   in Loop: Header=BB1360_101 Depth=2
	s_wait_alu 0xfffe
	s_or_b32 exec_lo, exec_lo, s15
	s_wait_loadcnt 0x0
	s_wait_storecnt 0x0
	s_barrier_signal -1
	s_barrier_wait -1
	global_inv scope:SCOPE_SE
	s_and_saveexec_b32 s15, s2
	s_cbranch_execz .LBB1360_100
; %bb.247:                              ;   in Loop: Header=BB1360_101 Depth=2
	ds_load_b32 v2, v44
	s_wait_dscnt 0x0
	v_add_nc_u32_e32 v2, v2, v38
	ds_store_b32 v44, v2
	s_branch .LBB1360_100
.LBB1360_248:                           ;   in Loop: Header=BB1360_101 Depth=2
	ds_load_b32 v132, v70 offset:1024
	s_wait_dscnt 0x0
	v_cmp_ne_u32_e64 s15, 0x80000000, v132
	s_wait_alu 0xf1ff
	s_delay_alu instid0(VALU_DEP_1) | instskip(SKIP_1) | instid1(VALU_DEP_2)
	v_cndmask_b32_e64 v2, 0x7fffffff, v132, s15
	v_cmp_gt_i32_e64 s15, 0, v132
	v_lshrrev_b32_e32 v2, s31, v2
	s_wait_alu 0xf1ff
	s_delay_alu instid0(VALU_DEP_2) | instskip(NEXT) | instid1(VALU_DEP_2)
	v_cndmask_b32_e64 v139, 0x7fffffff, 0, s15
	v_and_b32_e32 v2, s48, v2
	s_delay_alu instid0(VALU_DEP_1) | instskip(SKIP_3) | instid1(VALU_DEP_1)
	v_lshlrev_b32_e32 v2, 2, v2
	ds_load_b32 v2, v2
	s_wait_dscnt 0x0
	v_add_nc_u32_e32 v2, v2, v1
	v_lshlrev_b64_e32 v[36:37], 2, v[2:3]
	v_xor_b32_e32 v2, v139, v132
	s_delay_alu instid0(VALU_DEP_2) | instskip(SKIP_1) | instid1(VALU_DEP_3)
	v_add_co_u32 v36, s15, s38, v36
	s_wait_alu 0xf1ff
	v_add_co_ci_u32_e64 v37, null, s39, v37, s15
	global_store_b32 v[36:37], v2, off
	s_wait_alu 0xfffe
	s_or_b32 exec_lo, exec_lo, s16
	v_cmp_lt_u32_e64 s15, v45, v131
	s_and_saveexec_b32 s17, s15
	s_cbranch_execz .LBB1360_181
.LBB1360_249:                           ;   in Loop: Header=BB1360_101 Depth=2
	ds_load_b32 v132, v70 offset:2048
	s_wait_dscnt 0x0
	v_cmp_ne_u32_e64 s16, 0x80000000, v132
	s_wait_alu 0xf1ff
	s_delay_alu instid0(VALU_DEP_1) | instskip(SKIP_1) | instid1(VALU_DEP_2)
	v_cndmask_b32_e64 v2, 0x7fffffff, v132, s16
	v_cmp_gt_i32_e64 s16, 0, v132
	v_lshrrev_b32_e32 v2, s31, v2
	s_wait_alu 0xf1ff
	s_delay_alu instid0(VALU_DEP_2) | instskip(NEXT) | instid1(VALU_DEP_2)
	v_cndmask_b32_e64 v139, 0x7fffffff, 0, s16
	v_and_b32_e32 v2, s48, v2
	s_delay_alu instid0(VALU_DEP_1) | instskip(SKIP_3) | instid1(VALU_DEP_1)
	v_lshlrev_b32_e32 v2, 2, v2
	ds_load_b32 v2, v2
	s_wait_dscnt 0x0
	v_add_nc_u32_e32 v2, v2, v45
	v_lshlrev_b64_e32 v[36:37], 2, v[2:3]
	v_xor_b32_e32 v2, v139, v132
	s_delay_alu instid0(VALU_DEP_2) | instskip(SKIP_1) | instid1(VALU_DEP_3)
	v_add_co_u32 v36, s16, s38, v36
	s_wait_alu 0xf1ff
	v_add_co_ci_u32_e64 v37, null, s39, v37, s16
	global_store_b32 v[36:37], v2, off
	s_wait_alu 0xfffe
	s_or_b32 exec_lo, exec_lo, s17
	v_cmp_lt_u32_e64 s16, v46, v131
	s_and_saveexec_b32 s18, s16
	s_cbranch_execz .LBB1360_182
.LBB1360_250:                           ;   in Loop: Header=BB1360_101 Depth=2
	ds_load_b32 v132, v70 offset:3072
	s_wait_dscnt 0x0
	v_cmp_ne_u32_e64 s17, 0x80000000, v132
	s_wait_alu 0xf1ff
	s_delay_alu instid0(VALU_DEP_1) | instskip(SKIP_1) | instid1(VALU_DEP_2)
	v_cndmask_b32_e64 v2, 0x7fffffff, v132, s17
	v_cmp_gt_i32_e64 s17, 0, v132
	v_lshrrev_b32_e32 v2, s31, v2
	s_wait_alu 0xf1ff
	s_delay_alu instid0(VALU_DEP_2) | instskip(NEXT) | instid1(VALU_DEP_2)
	v_cndmask_b32_e64 v139, 0x7fffffff, 0, s17
	v_and_b32_e32 v2, s48, v2
	s_delay_alu instid0(VALU_DEP_1) | instskip(SKIP_3) | instid1(VALU_DEP_1)
	v_lshlrev_b32_e32 v2, 2, v2
	ds_load_b32 v2, v2
	s_wait_dscnt 0x0
	v_add_nc_u32_e32 v2, v2, v46
	v_lshlrev_b64_e32 v[36:37], 2, v[2:3]
	v_xor_b32_e32 v2, v139, v132
	s_delay_alu instid0(VALU_DEP_2) | instskip(SKIP_1) | instid1(VALU_DEP_3)
	v_add_co_u32 v36, s17, s38, v36
	s_wait_alu 0xf1ff
	v_add_co_ci_u32_e64 v37, null, s39, v37, s17
	global_store_b32 v[36:37], v2, off
	s_wait_alu 0xfffe
	s_or_b32 exec_lo, exec_lo, s18
	v_cmp_lt_u32_e64 s17, v47, v131
	s_and_saveexec_b32 s19, s17
	s_cbranch_execz .LBB1360_183
.LBB1360_251:                           ;   in Loop: Header=BB1360_101 Depth=2
	ds_load_b32 v132, v70 offset:4096
	s_wait_dscnt 0x0
	v_cmp_ne_u32_e64 s18, 0x80000000, v132
	s_wait_alu 0xf1ff
	s_delay_alu instid0(VALU_DEP_1) | instskip(SKIP_1) | instid1(VALU_DEP_2)
	v_cndmask_b32_e64 v2, 0x7fffffff, v132, s18
	v_cmp_gt_i32_e64 s18, 0, v132
	v_lshrrev_b32_e32 v2, s31, v2
	s_wait_alu 0xf1ff
	s_delay_alu instid0(VALU_DEP_2) | instskip(NEXT) | instid1(VALU_DEP_2)
	v_cndmask_b32_e64 v139, 0x7fffffff, 0, s18
	v_and_b32_e32 v2, s48, v2
	s_delay_alu instid0(VALU_DEP_1) | instskip(SKIP_3) | instid1(VALU_DEP_1)
	v_lshlrev_b32_e32 v2, 2, v2
	ds_load_b32 v2, v2
	s_wait_dscnt 0x0
	v_add_nc_u32_e32 v2, v2, v47
	v_lshlrev_b64_e32 v[36:37], 2, v[2:3]
	v_xor_b32_e32 v2, v139, v132
	s_delay_alu instid0(VALU_DEP_2) | instskip(SKIP_1) | instid1(VALU_DEP_3)
	v_add_co_u32 v36, s18, s38, v36
	s_wait_alu 0xf1ff
	v_add_co_ci_u32_e64 v37, null, s39, v37, s18
	global_store_b32 v[36:37], v2, off
	s_wait_alu 0xfffe
	s_or_b32 exec_lo, exec_lo, s19
	v_cmp_lt_u32_e64 s18, v50, v131
	s_and_saveexec_b32 s20, s18
	s_cbranch_execz .LBB1360_184
.LBB1360_252:                           ;   in Loop: Header=BB1360_101 Depth=2
	ds_load_b32 v132, v70 offset:5120
	s_wait_dscnt 0x0
	v_cmp_ne_u32_e64 s19, 0x80000000, v132
	s_wait_alu 0xf1ff
	s_delay_alu instid0(VALU_DEP_1) | instskip(SKIP_1) | instid1(VALU_DEP_2)
	v_cndmask_b32_e64 v2, 0x7fffffff, v132, s19
	v_cmp_gt_i32_e64 s19, 0, v132
	v_lshrrev_b32_e32 v2, s31, v2
	s_wait_alu 0xf1ff
	s_delay_alu instid0(VALU_DEP_2) | instskip(NEXT) | instid1(VALU_DEP_2)
	v_cndmask_b32_e64 v139, 0x7fffffff, 0, s19
	v_and_b32_e32 v2, s48, v2
	s_delay_alu instid0(VALU_DEP_1) | instskip(SKIP_3) | instid1(VALU_DEP_1)
	v_lshlrev_b32_e32 v2, 2, v2
	ds_load_b32 v2, v2
	s_wait_dscnt 0x0
	v_add_nc_u32_e32 v2, v2, v50
	v_lshlrev_b64_e32 v[36:37], 2, v[2:3]
	v_xor_b32_e32 v2, v139, v132
	s_delay_alu instid0(VALU_DEP_2) | instskip(SKIP_1) | instid1(VALU_DEP_3)
	v_add_co_u32 v36, s19, s38, v36
	s_wait_alu 0xf1ff
	v_add_co_ci_u32_e64 v37, null, s39, v37, s19
	global_store_b32 v[36:37], v2, off
	s_wait_alu 0xfffe
	s_or_b32 exec_lo, exec_lo, s20
	v_cmp_lt_u32_e64 s19, v51, v131
	s_and_saveexec_b32 s21, s19
	s_cbranch_execz .LBB1360_185
.LBB1360_253:                           ;   in Loop: Header=BB1360_101 Depth=2
	ds_load_b32 v132, v70 offset:6144
	s_wait_dscnt 0x0
	v_cmp_ne_u32_e64 s20, 0x80000000, v132
	s_wait_alu 0xf1ff
	s_delay_alu instid0(VALU_DEP_1) | instskip(SKIP_1) | instid1(VALU_DEP_2)
	v_cndmask_b32_e64 v2, 0x7fffffff, v132, s20
	v_cmp_gt_i32_e64 s20, 0, v132
	v_lshrrev_b32_e32 v2, s31, v2
	s_wait_alu 0xf1ff
	s_delay_alu instid0(VALU_DEP_2) | instskip(NEXT) | instid1(VALU_DEP_2)
	v_cndmask_b32_e64 v139, 0x7fffffff, 0, s20
	v_and_b32_e32 v2, s48, v2
	s_delay_alu instid0(VALU_DEP_1) | instskip(SKIP_3) | instid1(VALU_DEP_1)
	v_lshlrev_b32_e32 v2, 2, v2
	ds_load_b32 v2, v2
	s_wait_dscnt 0x0
	v_add_nc_u32_e32 v2, v2, v51
	v_lshlrev_b64_e32 v[36:37], 2, v[2:3]
	v_xor_b32_e32 v2, v139, v132
	s_delay_alu instid0(VALU_DEP_2) | instskip(SKIP_1) | instid1(VALU_DEP_3)
	v_add_co_u32 v36, s20, s38, v36
	s_wait_alu 0xf1ff
	v_add_co_ci_u32_e64 v37, null, s39, v37, s20
	global_store_b32 v[36:37], v2, off
	s_wait_alu 0xfffe
	s_or_b32 exec_lo, exec_lo, s21
	v_cmp_lt_u32_e64 s20, v52, v131
	s_and_saveexec_b32 s22, s20
	s_cbranch_execz .LBB1360_186
.LBB1360_254:                           ;   in Loop: Header=BB1360_101 Depth=2
	ds_load_b32 v132, v70 offset:7168
	s_wait_dscnt 0x0
	v_cmp_ne_u32_e64 s21, 0x80000000, v132
	s_wait_alu 0xf1ff
	s_delay_alu instid0(VALU_DEP_1) | instskip(SKIP_1) | instid1(VALU_DEP_2)
	v_cndmask_b32_e64 v2, 0x7fffffff, v132, s21
	v_cmp_gt_i32_e64 s21, 0, v132
	v_lshrrev_b32_e32 v2, s31, v2
	s_wait_alu 0xf1ff
	s_delay_alu instid0(VALU_DEP_2) | instskip(NEXT) | instid1(VALU_DEP_2)
	v_cndmask_b32_e64 v139, 0x7fffffff, 0, s21
	v_and_b32_e32 v2, s48, v2
	s_delay_alu instid0(VALU_DEP_1) | instskip(SKIP_3) | instid1(VALU_DEP_1)
	v_lshlrev_b32_e32 v2, 2, v2
	ds_load_b32 v2, v2
	s_wait_dscnt 0x0
	v_add_nc_u32_e32 v2, v2, v52
	v_lshlrev_b64_e32 v[36:37], 2, v[2:3]
	v_xor_b32_e32 v2, v139, v132
	s_delay_alu instid0(VALU_DEP_2) | instskip(SKIP_1) | instid1(VALU_DEP_3)
	v_add_co_u32 v36, s21, s38, v36
	s_wait_alu 0xf1ff
	v_add_co_ci_u32_e64 v37, null, s39, v37, s21
	global_store_b32 v[36:37], v2, off
	s_wait_alu 0xfffe
	s_or_b32 exec_lo, exec_lo, s22
	v_cmp_lt_u32_e64 s21, v53, v131
	s_and_saveexec_b32 s23, s21
	s_cbranch_execz .LBB1360_187
.LBB1360_255:                           ;   in Loop: Header=BB1360_101 Depth=2
	ds_load_b32 v132, v70 offset:8192
	s_wait_dscnt 0x0
	v_cmp_ne_u32_e64 s22, 0x80000000, v132
	s_wait_alu 0xf1ff
	s_delay_alu instid0(VALU_DEP_1) | instskip(SKIP_1) | instid1(VALU_DEP_2)
	v_cndmask_b32_e64 v2, 0x7fffffff, v132, s22
	v_cmp_gt_i32_e64 s22, 0, v132
	v_lshrrev_b32_e32 v2, s31, v2
	s_wait_alu 0xf1ff
	s_delay_alu instid0(VALU_DEP_2) | instskip(NEXT) | instid1(VALU_DEP_2)
	v_cndmask_b32_e64 v139, 0x7fffffff, 0, s22
	v_and_b32_e32 v2, s48, v2
	s_delay_alu instid0(VALU_DEP_1) | instskip(SKIP_3) | instid1(VALU_DEP_1)
	v_lshlrev_b32_e32 v2, 2, v2
	ds_load_b32 v2, v2
	s_wait_dscnt 0x0
	v_add_nc_u32_e32 v2, v2, v53
	v_lshlrev_b64_e32 v[36:37], 2, v[2:3]
	v_xor_b32_e32 v2, v139, v132
	s_delay_alu instid0(VALU_DEP_2) | instskip(SKIP_1) | instid1(VALU_DEP_3)
	v_add_co_u32 v36, s22, s38, v36
	s_wait_alu 0xf1ff
	v_add_co_ci_u32_e64 v37, null, s39, v37, s22
	global_store_b32 v[36:37], v2, off
	s_wait_alu 0xfffe
	s_or_b32 exec_lo, exec_lo, s23
	v_cmp_lt_u32_e64 s22, v54, v131
	s_and_saveexec_b32 s24, s22
	s_cbranch_execz .LBB1360_188
.LBB1360_256:                           ;   in Loop: Header=BB1360_101 Depth=2
	ds_load_b32 v132, v70 offset:9216
	s_wait_dscnt 0x0
	v_cmp_ne_u32_e64 s23, 0x80000000, v132
	s_wait_alu 0xf1ff
	s_delay_alu instid0(VALU_DEP_1) | instskip(SKIP_1) | instid1(VALU_DEP_2)
	v_cndmask_b32_e64 v2, 0x7fffffff, v132, s23
	v_cmp_gt_i32_e64 s23, 0, v132
	v_lshrrev_b32_e32 v2, s31, v2
	s_wait_alu 0xf1ff
	s_delay_alu instid0(VALU_DEP_2) | instskip(NEXT) | instid1(VALU_DEP_2)
	v_cndmask_b32_e64 v139, 0x7fffffff, 0, s23
	v_and_b32_e32 v2, s48, v2
	s_delay_alu instid0(VALU_DEP_1) | instskip(SKIP_3) | instid1(VALU_DEP_1)
	v_lshlrev_b32_e32 v2, 2, v2
	ds_load_b32 v2, v2
	s_wait_dscnt 0x0
	v_add_nc_u32_e32 v2, v2, v54
	v_lshlrev_b64_e32 v[36:37], 2, v[2:3]
	v_xor_b32_e32 v2, v139, v132
	s_delay_alu instid0(VALU_DEP_2) | instskip(SKIP_1) | instid1(VALU_DEP_3)
	v_add_co_u32 v36, s23, s38, v36
	s_wait_alu 0xf1ff
	v_add_co_ci_u32_e64 v37, null, s39, v37, s23
	global_store_b32 v[36:37], v2, off
	s_wait_alu 0xfffe
	s_or_b32 exec_lo, exec_lo, s24
	v_cmp_lt_u32_e64 s23, v55, v131
	s_and_saveexec_b32 s25, s23
	s_cbranch_execz .LBB1360_189
.LBB1360_257:                           ;   in Loop: Header=BB1360_101 Depth=2
	ds_load_b32 v132, v70 offset:10240
	s_wait_dscnt 0x0
	v_cmp_ne_u32_e64 s24, 0x80000000, v132
	s_wait_alu 0xf1ff
	s_delay_alu instid0(VALU_DEP_1) | instskip(SKIP_1) | instid1(VALU_DEP_2)
	v_cndmask_b32_e64 v2, 0x7fffffff, v132, s24
	v_cmp_gt_i32_e64 s24, 0, v132
	v_lshrrev_b32_e32 v2, s31, v2
	s_wait_alu 0xf1ff
	s_delay_alu instid0(VALU_DEP_2) | instskip(NEXT) | instid1(VALU_DEP_2)
	v_cndmask_b32_e64 v139, 0x7fffffff, 0, s24
	v_and_b32_e32 v2, s48, v2
	s_delay_alu instid0(VALU_DEP_1) | instskip(SKIP_3) | instid1(VALU_DEP_1)
	v_lshlrev_b32_e32 v2, 2, v2
	ds_load_b32 v2, v2
	s_wait_dscnt 0x0
	v_add_nc_u32_e32 v2, v2, v55
	v_lshlrev_b64_e32 v[36:37], 2, v[2:3]
	v_xor_b32_e32 v2, v139, v132
	s_delay_alu instid0(VALU_DEP_2) | instskip(SKIP_1) | instid1(VALU_DEP_3)
	v_add_co_u32 v36, s24, s38, v36
	s_wait_alu 0xf1ff
	v_add_co_ci_u32_e64 v37, null, s39, v37, s24
	global_store_b32 v[36:37], v2, off
	s_wait_alu 0xfffe
	s_or_b32 exec_lo, exec_lo, s25
	v_cmp_lt_u32_e64 s24, v56, v131
	s_and_saveexec_b32 s26, s24
	s_cbranch_execz .LBB1360_190
.LBB1360_258:                           ;   in Loop: Header=BB1360_101 Depth=2
	ds_load_b32 v132, v70 offset:11264
	s_wait_dscnt 0x0
	v_cmp_ne_u32_e64 s25, 0x80000000, v132
	s_wait_alu 0xf1ff
	s_delay_alu instid0(VALU_DEP_1) | instskip(SKIP_1) | instid1(VALU_DEP_2)
	v_cndmask_b32_e64 v2, 0x7fffffff, v132, s25
	v_cmp_gt_i32_e64 s25, 0, v132
	v_lshrrev_b32_e32 v2, s31, v2
	s_wait_alu 0xf1ff
	s_delay_alu instid0(VALU_DEP_2) | instskip(NEXT) | instid1(VALU_DEP_2)
	v_cndmask_b32_e64 v139, 0x7fffffff, 0, s25
	v_and_b32_e32 v2, s48, v2
	s_delay_alu instid0(VALU_DEP_1) | instskip(SKIP_3) | instid1(VALU_DEP_1)
	v_lshlrev_b32_e32 v2, 2, v2
	ds_load_b32 v2, v2
	s_wait_dscnt 0x0
	v_add_nc_u32_e32 v2, v2, v56
	v_lshlrev_b64_e32 v[36:37], 2, v[2:3]
	v_xor_b32_e32 v2, v139, v132
	s_delay_alu instid0(VALU_DEP_2) | instskip(SKIP_1) | instid1(VALU_DEP_3)
	v_add_co_u32 v36, s25, s38, v36
	s_wait_alu 0xf1ff
	v_add_co_ci_u32_e64 v37, null, s39, v37, s25
	global_store_b32 v[36:37], v2, off
	s_wait_alu 0xfffe
	s_or_b32 exec_lo, exec_lo, s26
	v_cmp_lt_u32_e64 s25, v57, v131
	s_and_saveexec_b32 s27, s25
	s_cbranch_execz .LBB1360_191
.LBB1360_259:                           ;   in Loop: Header=BB1360_101 Depth=2
	ds_load_b32 v132, v70 offset:12288
	s_wait_dscnt 0x0
	v_cmp_ne_u32_e64 s26, 0x80000000, v132
	s_wait_alu 0xf1ff
	s_delay_alu instid0(VALU_DEP_1) | instskip(SKIP_1) | instid1(VALU_DEP_2)
	v_cndmask_b32_e64 v2, 0x7fffffff, v132, s26
	v_cmp_gt_i32_e64 s26, 0, v132
	v_lshrrev_b32_e32 v2, s31, v2
	s_wait_alu 0xf1ff
	s_delay_alu instid0(VALU_DEP_2) | instskip(NEXT) | instid1(VALU_DEP_2)
	v_cndmask_b32_e64 v139, 0x7fffffff, 0, s26
	v_and_b32_e32 v2, s48, v2
	s_delay_alu instid0(VALU_DEP_1) | instskip(SKIP_3) | instid1(VALU_DEP_1)
	v_lshlrev_b32_e32 v2, 2, v2
	ds_load_b32 v2, v2
	s_wait_dscnt 0x0
	v_add_nc_u32_e32 v2, v2, v57
	v_lshlrev_b64_e32 v[36:37], 2, v[2:3]
	v_xor_b32_e32 v2, v139, v132
	s_delay_alu instid0(VALU_DEP_2) | instskip(SKIP_1) | instid1(VALU_DEP_3)
	v_add_co_u32 v36, s26, s38, v36
	s_wait_alu 0xf1ff
	v_add_co_ci_u32_e64 v37, null, s39, v37, s26
	global_store_b32 v[36:37], v2, off
	s_wait_alu 0xfffe
	s_or_b32 exec_lo, exec_lo, s27
	v_cmp_lt_u32_e64 s26, v58, v131
	s_and_saveexec_b32 s28, s26
	s_cbranch_execz .LBB1360_192
.LBB1360_260:                           ;   in Loop: Header=BB1360_101 Depth=2
	ds_load_b32 v132, v70 offset:13312
	s_wait_dscnt 0x0
	v_cmp_ne_u32_e64 s27, 0x80000000, v132
	s_wait_alu 0xf1ff
	s_delay_alu instid0(VALU_DEP_1) | instskip(SKIP_1) | instid1(VALU_DEP_2)
	v_cndmask_b32_e64 v2, 0x7fffffff, v132, s27
	v_cmp_gt_i32_e64 s27, 0, v132
	v_lshrrev_b32_e32 v2, s31, v2
	s_wait_alu 0xf1ff
	s_delay_alu instid0(VALU_DEP_2) | instskip(NEXT) | instid1(VALU_DEP_2)
	v_cndmask_b32_e64 v139, 0x7fffffff, 0, s27
	v_and_b32_e32 v2, s48, v2
	s_delay_alu instid0(VALU_DEP_1) | instskip(SKIP_3) | instid1(VALU_DEP_1)
	v_lshlrev_b32_e32 v2, 2, v2
	ds_load_b32 v2, v2
	s_wait_dscnt 0x0
	v_add_nc_u32_e32 v2, v2, v58
	v_lshlrev_b64_e32 v[36:37], 2, v[2:3]
	v_xor_b32_e32 v2, v139, v132
	s_delay_alu instid0(VALU_DEP_2) | instskip(SKIP_1) | instid1(VALU_DEP_3)
	v_add_co_u32 v36, s27, s38, v36
	s_wait_alu 0xf1ff
	v_add_co_ci_u32_e64 v37, null, s39, v37, s27
	global_store_b32 v[36:37], v2, off
	s_wait_alu 0xfffe
	s_or_b32 exec_lo, exec_lo, s28
	v_cmp_lt_u32_e64 s27, v59, v131
	s_and_saveexec_b32 s29, s27
	s_cbranch_execz .LBB1360_193
.LBB1360_261:                           ;   in Loop: Header=BB1360_101 Depth=2
	ds_load_b32 v132, v70 offset:14336
	s_wait_dscnt 0x0
	v_cmp_ne_u32_e64 s28, 0x80000000, v132
	s_wait_alu 0xf1ff
	s_delay_alu instid0(VALU_DEP_1) | instskip(SKIP_1) | instid1(VALU_DEP_2)
	v_cndmask_b32_e64 v2, 0x7fffffff, v132, s28
	v_cmp_gt_i32_e64 s28, 0, v132
	v_lshrrev_b32_e32 v2, s31, v2
	s_wait_alu 0xf1ff
	s_delay_alu instid0(VALU_DEP_2) | instskip(NEXT) | instid1(VALU_DEP_2)
	v_cndmask_b32_e64 v139, 0x7fffffff, 0, s28
	v_and_b32_e32 v2, s48, v2
	s_delay_alu instid0(VALU_DEP_1) | instskip(SKIP_3) | instid1(VALU_DEP_1)
	v_lshlrev_b32_e32 v2, 2, v2
	ds_load_b32 v2, v2
	s_wait_dscnt 0x0
	v_add_nc_u32_e32 v2, v2, v59
	v_lshlrev_b64_e32 v[36:37], 2, v[2:3]
	v_xor_b32_e32 v2, v139, v132
	s_delay_alu instid0(VALU_DEP_2) | instskip(SKIP_1) | instid1(VALU_DEP_3)
	v_add_co_u32 v36, s28, s38, v36
	s_wait_alu 0xf1ff
	v_add_co_ci_u32_e64 v37, null, s39, v37, s28
	global_store_b32 v[36:37], v2, off
	s_wait_alu 0xfffe
	s_or_b32 exec_lo, exec_lo, s29
	v_cmp_lt_u32_e64 s28, v60, v131
	s_and_saveexec_b32 s30, s28
	s_cbranch_execz .LBB1360_194
.LBB1360_262:                           ;   in Loop: Header=BB1360_101 Depth=2
	ds_load_b32 v132, v70 offset:15360
	s_wait_dscnt 0x0
	v_cmp_ne_u32_e64 s29, 0x80000000, v132
	s_wait_alu 0xf1ff
	s_delay_alu instid0(VALU_DEP_1) | instskip(SKIP_1) | instid1(VALU_DEP_2)
	v_cndmask_b32_e64 v2, 0x7fffffff, v132, s29
	v_cmp_gt_i32_e64 s29, 0, v132
	v_lshrrev_b32_e32 v2, s31, v2
	s_wait_alu 0xf1ff
	s_delay_alu instid0(VALU_DEP_2) | instskip(NEXT) | instid1(VALU_DEP_2)
	v_cndmask_b32_e64 v139, 0x7fffffff, 0, s29
	v_and_b32_e32 v2, s48, v2
	s_delay_alu instid0(VALU_DEP_1) | instskip(SKIP_3) | instid1(VALU_DEP_1)
	v_lshlrev_b32_e32 v2, 2, v2
	ds_load_b32 v2, v2
	s_wait_dscnt 0x0
	v_add_nc_u32_e32 v2, v2, v60
	v_lshlrev_b64_e32 v[36:37], 2, v[2:3]
	v_xor_b32_e32 v2, v139, v132
	s_delay_alu instid0(VALU_DEP_2) | instskip(SKIP_1) | instid1(VALU_DEP_3)
	v_add_co_u32 v36, s29, s38, v36
	s_wait_alu 0xf1ff
	v_add_co_ci_u32_e64 v37, null, s39, v37, s29
	global_store_b32 v[36:37], v2, off
	s_wait_alu 0xfffe
	s_or_b32 exec_lo, exec_lo, s30
	v_cmp_lt_u32_e64 s29, v61, v131
	s_and_saveexec_b32 s56, s29
	s_cbranch_execnz .LBB1360_195
	s_branch .LBB1360_196
.LBB1360_263:                           ;   in Loop: Header=BB1360_101 Depth=2
	global_load_b64 v[34:35], v[36:37], off
	s_wait_alu 0xfffe
	s_or_b32 exec_lo, exec_lo, s30
	s_delay_alu instid0(SALU_CYCLE_1)
	s_mov_b32 s42, exec_lo
	v_cmpx_lt_u32_e64 v92, v131
	s_cbranch_execz .LBB1360_198
.LBB1360_264:                           ;   in Loop: Header=BB1360_101 Depth=2
	global_load_b64 v[32:33], v[36:37], off offset:256
	s_wait_alu 0xfffe
	s_or_b32 exec_lo, exec_lo, s42
	s_delay_alu instid0(SALU_CYCLE_1)
	s_mov_b32 s42, exec_lo
	v_cmpx_lt_u32_e64 v93, v131
	s_cbranch_execz .LBB1360_199
.LBB1360_265:                           ;   in Loop: Header=BB1360_101 Depth=2
	global_load_b64 v[30:31], v[36:37], off offset:512
	s_wait_alu 0xfffe
	s_or_b32 exec_lo, exec_lo, s42
	s_delay_alu instid0(SALU_CYCLE_1)
	s_mov_b32 s42, exec_lo
	v_cmpx_lt_u32_e64 v94, v131
	s_cbranch_execz .LBB1360_200
.LBB1360_266:                           ;   in Loop: Header=BB1360_101 Depth=2
	global_load_b64 v[28:29], v[36:37], off offset:768
	s_wait_alu 0xfffe
	s_or_b32 exec_lo, exec_lo, s42
	s_delay_alu instid0(SALU_CYCLE_1)
	s_mov_b32 s42, exec_lo
	v_cmpx_lt_u32_e64 v95, v131
	s_cbranch_execz .LBB1360_201
.LBB1360_267:                           ;   in Loop: Header=BB1360_101 Depth=2
	global_load_b64 v[26:27], v[36:37], off offset:1024
	s_wait_alu 0xfffe
	s_or_b32 exec_lo, exec_lo, s42
	s_delay_alu instid0(SALU_CYCLE_1)
	s_mov_b32 s42, exec_lo
	v_cmpx_lt_u32_e64 v96, v131
	s_cbranch_execz .LBB1360_202
.LBB1360_268:                           ;   in Loop: Header=BB1360_101 Depth=2
	global_load_b64 v[24:25], v[36:37], off offset:1280
	s_wait_alu 0xfffe
	s_or_b32 exec_lo, exec_lo, s42
	s_delay_alu instid0(SALU_CYCLE_1)
	s_mov_b32 s42, exec_lo
	v_cmpx_lt_u32_e64 v97, v131
	s_cbranch_execz .LBB1360_203
.LBB1360_269:                           ;   in Loop: Header=BB1360_101 Depth=2
	global_load_b64 v[22:23], v[36:37], off offset:1536
	s_wait_alu 0xfffe
	s_or_b32 exec_lo, exec_lo, s42
	s_delay_alu instid0(SALU_CYCLE_1)
	s_mov_b32 s42, exec_lo
	v_cmpx_lt_u32_e64 v98, v131
	s_cbranch_execz .LBB1360_204
.LBB1360_270:                           ;   in Loop: Header=BB1360_101 Depth=2
	global_load_b64 v[20:21], v[36:37], off offset:1792
	s_wait_alu 0xfffe
	s_or_b32 exec_lo, exec_lo, s42
	s_delay_alu instid0(SALU_CYCLE_1)
	s_mov_b32 s42, exec_lo
	v_cmpx_lt_u32_e64 v99, v131
	s_cbranch_execz .LBB1360_205
.LBB1360_271:                           ;   in Loop: Header=BB1360_101 Depth=2
	global_load_b64 v[18:19], v[36:37], off offset:2048
	s_wait_alu 0xfffe
	s_or_b32 exec_lo, exec_lo, s42
	s_delay_alu instid0(SALU_CYCLE_1)
	s_mov_b32 s42, exec_lo
	v_cmpx_lt_u32_e64 v100, v131
	s_cbranch_execz .LBB1360_206
.LBB1360_272:                           ;   in Loop: Header=BB1360_101 Depth=2
	global_load_b64 v[16:17], v[36:37], off offset:2304
	s_wait_alu 0xfffe
	s_or_b32 exec_lo, exec_lo, s42
	s_delay_alu instid0(SALU_CYCLE_1)
	s_mov_b32 s42, exec_lo
	v_cmpx_lt_u32_e64 v101, v131
	s_cbranch_execz .LBB1360_207
.LBB1360_273:                           ;   in Loop: Header=BB1360_101 Depth=2
	global_load_b64 v[14:15], v[36:37], off offset:2560
	s_wait_alu 0xfffe
	s_or_b32 exec_lo, exec_lo, s42
	s_delay_alu instid0(SALU_CYCLE_1)
	s_mov_b32 s42, exec_lo
	v_cmpx_lt_u32_e64 v102, v131
	s_cbranch_execz .LBB1360_208
.LBB1360_274:                           ;   in Loop: Header=BB1360_101 Depth=2
	global_load_b64 v[12:13], v[36:37], off offset:2816
	s_wait_alu 0xfffe
	s_or_b32 exec_lo, exec_lo, s42
	s_delay_alu instid0(SALU_CYCLE_1)
	s_mov_b32 s42, exec_lo
	v_cmpx_lt_u32_e64 v103, v131
	s_cbranch_execz .LBB1360_209
.LBB1360_275:                           ;   in Loop: Header=BB1360_101 Depth=2
	global_load_b64 v[10:11], v[36:37], off offset:3072
	s_wait_alu 0xfffe
	s_or_b32 exec_lo, exec_lo, s42
	s_delay_alu instid0(SALU_CYCLE_1)
	s_mov_b32 s42, exec_lo
	v_cmpx_lt_u32_e64 v104, v131
	s_cbranch_execz .LBB1360_210
.LBB1360_276:                           ;   in Loop: Header=BB1360_101 Depth=2
	global_load_b64 v[8:9], v[36:37], off offset:3328
	s_wait_alu 0xfffe
	s_or_b32 exec_lo, exec_lo, s42
	s_delay_alu instid0(SALU_CYCLE_1)
	s_mov_b32 s42, exec_lo
	v_cmpx_lt_u32_e64 v105, v131
	s_cbranch_execz .LBB1360_211
.LBB1360_277:                           ;   in Loop: Header=BB1360_101 Depth=2
	global_load_b64 v[6:7], v[36:37], off offset:3584
	s_wait_alu 0xfffe
	s_or_b32 exec_lo, exec_lo, s42
	s_delay_alu instid0(SALU_CYCLE_1)
	s_mov_b32 s42, exec_lo
	v_cmpx_lt_u32_e64 v106, v131
	s_cbranch_execz .LBB1360_212
.LBB1360_278:                           ;   in Loop: Header=BB1360_101 Depth=2
	global_load_b64 v[4:5], v[36:37], off offset:3840
	s_wait_alu 0xfffe
	s_or_b32 exec_lo, exec_lo, s42
	s_and_saveexec_b32 s42, vcc_lo
	s_cbranch_execz .LBB1360_213
.LBB1360_279:                           ;   in Loop: Header=BB1360_101 Depth=2
	ds_load_b32 v2, v70 offset:1024
	s_wait_dscnt 0x0
	v_cmp_ne_u32_e64 s30, 0x80000000, v2
	s_wait_alu 0xf1ff
	s_delay_alu instid0(VALU_DEP_1) | instskip(NEXT) | instid1(VALU_DEP_1)
	v_cndmask_b32_e64 v2, 0x7fffffff, v2, s30
	v_lshrrev_b32_e32 v2, s31, v2
	s_delay_alu instid0(VALU_DEP_1)
	v_and_b32_e32 v130, s48, v2
	s_wait_alu 0xfffe
	s_or_b32 exec_lo, exec_lo, s42
	s_and_saveexec_b32 s42, s15
	s_cbranch_execz .LBB1360_214
.LBB1360_280:                           ;   in Loop: Header=BB1360_101 Depth=2
	ds_load_b32 v2, v70 offset:2048
	s_wait_dscnt 0x0
	v_cmp_ne_u32_e64 s30, 0x80000000, v2
	s_wait_alu 0xf1ff
	s_delay_alu instid0(VALU_DEP_1) | instskip(NEXT) | instid1(VALU_DEP_1)
	v_cndmask_b32_e64 v2, 0x7fffffff, v2, s30
	v_lshrrev_b32_e32 v2, s31, v2
	s_delay_alu instid0(VALU_DEP_1)
	v_and_b32_e32 v129, s48, v2
	s_wait_alu 0xfffe
	s_or_b32 exec_lo, exec_lo, s42
	s_and_saveexec_b32 s42, s16
	s_cbranch_execz .LBB1360_215
.LBB1360_281:                           ;   in Loop: Header=BB1360_101 Depth=2
	ds_load_b32 v2, v70 offset:3072
	s_wait_dscnt 0x0
	v_cmp_ne_u32_e64 s30, 0x80000000, v2
	s_wait_alu 0xf1ff
	s_delay_alu instid0(VALU_DEP_1) | instskip(NEXT) | instid1(VALU_DEP_1)
	v_cndmask_b32_e64 v2, 0x7fffffff, v2, s30
	v_lshrrev_b32_e32 v2, s31, v2
	s_delay_alu instid0(VALU_DEP_1)
	v_and_b32_e32 v128, s48, v2
	s_wait_alu 0xfffe
	s_or_b32 exec_lo, exec_lo, s42
	s_and_saveexec_b32 s42, s17
	s_cbranch_execz .LBB1360_216
.LBB1360_282:                           ;   in Loop: Header=BB1360_101 Depth=2
	ds_load_b32 v2, v70 offset:4096
	s_wait_dscnt 0x0
	v_cmp_ne_u32_e64 s30, 0x80000000, v2
	s_wait_alu 0xf1ff
	s_delay_alu instid0(VALU_DEP_1) | instskip(NEXT) | instid1(VALU_DEP_1)
	v_cndmask_b32_e64 v2, 0x7fffffff, v2, s30
	v_lshrrev_b32_e32 v2, s31, v2
	s_delay_alu instid0(VALU_DEP_1)
	v_and_b32_e32 v127, s48, v2
	s_wait_alu 0xfffe
	s_or_b32 exec_lo, exec_lo, s42
	s_and_saveexec_b32 s42, s18
	s_cbranch_execz .LBB1360_217
.LBB1360_283:                           ;   in Loop: Header=BB1360_101 Depth=2
	ds_load_b32 v2, v70 offset:5120
	s_wait_dscnt 0x0
	v_cmp_ne_u32_e64 s30, 0x80000000, v2
	s_wait_alu 0xf1ff
	s_delay_alu instid0(VALU_DEP_1) | instskip(NEXT) | instid1(VALU_DEP_1)
	v_cndmask_b32_e64 v2, 0x7fffffff, v2, s30
	v_lshrrev_b32_e32 v2, s31, v2
	s_delay_alu instid0(VALU_DEP_1)
	v_and_b32_e32 v126, s48, v2
	s_wait_alu 0xfffe
	s_or_b32 exec_lo, exec_lo, s42
	s_and_saveexec_b32 s42, s19
	s_cbranch_execz .LBB1360_218
.LBB1360_284:                           ;   in Loop: Header=BB1360_101 Depth=2
	ds_load_b32 v2, v70 offset:6144
	s_wait_dscnt 0x0
	v_cmp_ne_u32_e64 s30, 0x80000000, v2
	s_wait_alu 0xf1ff
	s_delay_alu instid0(VALU_DEP_1) | instskip(NEXT) | instid1(VALU_DEP_1)
	v_cndmask_b32_e64 v2, 0x7fffffff, v2, s30
	v_lshrrev_b32_e32 v2, s31, v2
	s_delay_alu instid0(VALU_DEP_1)
	v_and_b32_e32 v125, s48, v2
	s_wait_alu 0xfffe
	s_or_b32 exec_lo, exec_lo, s42
	s_and_saveexec_b32 s42, s20
	s_cbranch_execz .LBB1360_219
.LBB1360_285:                           ;   in Loop: Header=BB1360_101 Depth=2
	ds_load_b32 v2, v70 offset:7168
	s_wait_dscnt 0x0
	v_cmp_ne_u32_e64 s30, 0x80000000, v2
	s_wait_alu 0xf1ff
	s_delay_alu instid0(VALU_DEP_1) | instskip(NEXT) | instid1(VALU_DEP_1)
	v_cndmask_b32_e64 v2, 0x7fffffff, v2, s30
	v_lshrrev_b32_e32 v2, s31, v2
	s_delay_alu instid0(VALU_DEP_1)
	v_and_b32_e32 v124, s48, v2
	s_wait_alu 0xfffe
	s_or_b32 exec_lo, exec_lo, s42
	s_and_saveexec_b32 s42, s21
	s_cbranch_execz .LBB1360_220
.LBB1360_286:                           ;   in Loop: Header=BB1360_101 Depth=2
	ds_load_b32 v2, v70 offset:8192
	s_wait_dscnt 0x0
	v_cmp_ne_u32_e64 s30, 0x80000000, v2
	s_wait_alu 0xf1ff
	s_delay_alu instid0(VALU_DEP_1) | instskip(NEXT) | instid1(VALU_DEP_1)
	v_cndmask_b32_e64 v2, 0x7fffffff, v2, s30
	v_lshrrev_b32_e32 v2, s31, v2
	s_delay_alu instid0(VALU_DEP_1)
	v_and_b32_e32 v123, s48, v2
	s_wait_alu 0xfffe
	s_or_b32 exec_lo, exec_lo, s42
	s_and_saveexec_b32 s42, s22
	s_cbranch_execz .LBB1360_221
.LBB1360_287:                           ;   in Loop: Header=BB1360_101 Depth=2
	ds_load_b32 v2, v70 offset:9216
	s_wait_dscnt 0x0
	v_cmp_ne_u32_e64 s30, 0x80000000, v2
	s_wait_alu 0xf1ff
	s_delay_alu instid0(VALU_DEP_1) | instskip(NEXT) | instid1(VALU_DEP_1)
	v_cndmask_b32_e64 v2, 0x7fffffff, v2, s30
	v_lshrrev_b32_e32 v2, s31, v2
	s_delay_alu instid0(VALU_DEP_1)
	v_and_b32_e32 v122, s48, v2
	s_wait_alu 0xfffe
	s_or_b32 exec_lo, exec_lo, s42
	s_and_saveexec_b32 s42, s23
	s_cbranch_execz .LBB1360_222
.LBB1360_288:                           ;   in Loop: Header=BB1360_101 Depth=2
	ds_load_b32 v2, v70 offset:10240
	s_wait_dscnt 0x0
	v_cmp_ne_u32_e64 s30, 0x80000000, v2
	s_wait_alu 0xf1ff
	s_delay_alu instid0(VALU_DEP_1) | instskip(NEXT) | instid1(VALU_DEP_1)
	v_cndmask_b32_e64 v2, 0x7fffffff, v2, s30
	v_lshrrev_b32_e32 v2, s31, v2
	s_delay_alu instid0(VALU_DEP_1)
	v_and_b32_e32 v121, s48, v2
	s_wait_alu 0xfffe
	s_or_b32 exec_lo, exec_lo, s42
	s_and_saveexec_b32 s42, s24
	s_cbranch_execz .LBB1360_223
.LBB1360_289:                           ;   in Loop: Header=BB1360_101 Depth=2
	ds_load_b32 v2, v70 offset:11264
	s_wait_dscnt 0x0
	v_cmp_ne_u32_e64 s30, 0x80000000, v2
	s_wait_alu 0xf1ff
	s_delay_alu instid0(VALU_DEP_1) | instskip(NEXT) | instid1(VALU_DEP_1)
	v_cndmask_b32_e64 v2, 0x7fffffff, v2, s30
	v_lshrrev_b32_e32 v2, s31, v2
	s_delay_alu instid0(VALU_DEP_1)
	v_and_b32_e32 v120, s48, v2
	s_wait_alu 0xfffe
	s_or_b32 exec_lo, exec_lo, s42
	s_and_saveexec_b32 s42, s25
	s_cbranch_execz .LBB1360_224
.LBB1360_290:                           ;   in Loop: Header=BB1360_101 Depth=2
	ds_load_b32 v2, v70 offset:12288
	s_wait_dscnt 0x0
	v_cmp_ne_u32_e64 s30, 0x80000000, v2
	s_wait_alu 0xf1ff
	s_delay_alu instid0(VALU_DEP_1) | instskip(NEXT) | instid1(VALU_DEP_1)
	v_cndmask_b32_e64 v2, 0x7fffffff, v2, s30
	v_lshrrev_b32_e32 v2, s31, v2
	s_delay_alu instid0(VALU_DEP_1)
	v_and_b32_e32 v119, s48, v2
	s_wait_alu 0xfffe
	s_or_b32 exec_lo, exec_lo, s42
	s_and_saveexec_b32 s42, s26
	s_cbranch_execz .LBB1360_225
.LBB1360_291:                           ;   in Loop: Header=BB1360_101 Depth=2
	ds_load_b32 v2, v70 offset:13312
	s_wait_dscnt 0x0
	v_cmp_ne_u32_e64 s30, 0x80000000, v2
	s_wait_alu 0xf1ff
	s_delay_alu instid0(VALU_DEP_1) | instskip(NEXT) | instid1(VALU_DEP_1)
	v_cndmask_b32_e64 v2, 0x7fffffff, v2, s30
	v_lshrrev_b32_e32 v2, s31, v2
	s_delay_alu instid0(VALU_DEP_1)
	v_and_b32_e32 v118, s48, v2
	s_wait_alu 0xfffe
	s_or_b32 exec_lo, exec_lo, s42
	s_and_saveexec_b32 s42, s27
	s_cbranch_execz .LBB1360_226
.LBB1360_292:                           ;   in Loop: Header=BB1360_101 Depth=2
	ds_load_b32 v2, v70 offset:14336
	s_wait_dscnt 0x0
	v_cmp_ne_u32_e64 s30, 0x80000000, v2
	s_wait_alu 0xf1ff
	s_delay_alu instid0(VALU_DEP_1) | instskip(NEXT) | instid1(VALU_DEP_1)
	v_cndmask_b32_e64 v2, 0x7fffffff, v2, s30
	v_lshrrev_b32_e32 v2, s31, v2
	s_delay_alu instid0(VALU_DEP_1)
	v_and_b32_e32 v117, s48, v2
	s_wait_alu 0xfffe
	s_or_b32 exec_lo, exec_lo, s42
	s_and_saveexec_b32 s42, s28
	s_cbranch_execz .LBB1360_227
.LBB1360_293:                           ;   in Loop: Header=BB1360_101 Depth=2
	ds_load_b32 v2, v70 offset:15360
	s_wait_dscnt 0x0
	v_cmp_ne_u32_e64 s30, 0x80000000, v2
	s_wait_alu 0xf1ff
	s_delay_alu instid0(VALU_DEP_1) | instskip(NEXT) | instid1(VALU_DEP_1)
	v_cndmask_b32_e64 v2, 0x7fffffff, v2, s30
	v_lshrrev_b32_e32 v2, s31, v2
	s_delay_alu instid0(VALU_DEP_1)
	v_and_b32_e32 v116, s48, v2
	s_wait_alu 0xfffe
	s_or_b32 exec_lo, exec_lo, s42
	s_and_saveexec_b32 s42, s29
	s_cbranch_execnz .LBB1360_228
	s_branch .LBB1360_229
.LBB1360_294:                           ;   in Loop: Header=BB1360_101 Depth=2
	v_lshlrev_b32_e32 v2, 2, v130
	v_add_nc_u32_e32 v36, v70, v44
	ds_load_b32 v2, v2
	ds_load_b64 v[36:37], v36 offset:1024
	s_wait_dscnt 0x1
	v_add_nc_u32_e32 v2, v2, v1
	s_delay_alu instid0(VALU_DEP_1) | instskip(NEXT) | instid1(VALU_DEP_1)
	v_lshlrev_b64_e32 v[39:40], 3, v[2:3]
	v_add_co_u32 v39, vcc_lo, s44, v39
	s_wait_alu 0xfffd
	s_delay_alu instid0(VALU_DEP_2)
	v_add_co_ci_u32_e64 v40, null, s45, v40, vcc_lo
	s_wait_dscnt 0x0
	global_store_b64 v[39:40], v[36:37], off
	s_wait_alu 0xfffe
	s_or_b32 exec_lo, exec_lo, s30
	s_and_saveexec_b32 s30, s15
	s_cbranch_execz .LBB1360_231
.LBB1360_295:                           ;   in Loop: Header=BB1360_101 Depth=2
	v_lshlrev_b32_e32 v2, 2, v129
	v_add_nc_u32_e32 v36, v70, v44
	ds_load_b32 v2, v2
	ds_load_b64 v[36:37], v36 offset:3072
	s_wait_dscnt 0x1
	v_add_nc_u32_e32 v2, v2, v45
	s_delay_alu instid0(VALU_DEP_1) | instskip(NEXT) | instid1(VALU_DEP_1)
	v_lshlrev_b64_e32 v[39:40], 3, v[2:3]
	v_add_co_u32 v39, vcc_lo, s44, v39
	s_wait_alu 0xfffd
	s_delay_alu instid0(VALU_DEP_2)
	v_add_co_ci_u32_e64 v40, null, s45, v40, vcc_lo
	s_wait_dscnt 0x0
	global_store_b64 v[39:40], v[36:37], off
	s_wait_alu 0xfffe
	s_or_b32 exec_lo, exec_lo, s30
	s_and_saveexec_b32 s15, s16
	s_cbranch_execz .LBB1360_232
.LBB1360_296:                           ;   in Loop: Header=BB1360_101 Depth=2
	v_lshlrev_b32_e32 v2, 2, v128
	v_add_nc_u32_e32 v36, v70, v44
	ds_load_b32 v2, v2
	ds_load_b64 v[36:37], v36 offset:5120
	s_wait_dscnt 0x1
	v_add_nc_u32_e32 v2, v2, v46
	s_delay_alu instid0(VALU_DEP_1) | instskip(NEXT) | instid1(VALU_DEP_1)
	v_lshlrev_b64_e32 v[39:40], 3, v[2:3]
	v_add_co_u32 v39, vcc_lo, s44, v39
	s_wait_alu 0xfffd
	s_delay_alu instid0(VALU_DEP_2)
	v_add_co_ci_u32_e64 v40, null, s45, v40, vcc_lo
	s_wait_dscnt 0x0
	global_store_b64 v[39:40], v[36:37], off
	s_wait_alu 0xfffe
	s_or_b32 exec_lo, exec_lo, s15
	s_and_saveexec_b32 s15, s17
	s_cbranch_execz .LBB1360_233
.LBB1360_297:                           ;   in Loop: Header=BB1360_101 Depth=2
	v_lshlrev_b32_e32 v2, 2, v127
	v_add_nc_u32_e32 v36, v70, v44
	ds_load_b32 v2, v2
	ds_load_b64 v[36:37], v36 offset:7168
	s_wait_dscnt 0x1
	v_add_nc_u32_e32 v2, v2, v47
	s_delay_alu instid0(VALU_DEP_1) | instskip(NEXT) | instid1(VALU_DEP_1)
	v_lshlrev_b64_e32 v[39:40], 3, v[2:3]
	v_add_co_u32 v39, vcc_lo, s44, v39
	s_wait_alu 0xfffd
	s_delay_alu instid0(VALU_DEP_2)
	v_add_co_ci_u32_e64 v40, null, s45, v40, vcc_lo
	s_wait_dscnt 0x0
	global_store_b64 v[39:40], v[36:37], off
	s_wait_alu 0xfffe
	s_or_b32 exec_lo, exec_lo, s15
	s_and_saveexec_b32 s15, s18
	s_cbranch_execz .LBB1360_234
.LBB1360_298:                           ;   in Loop: Header=BB1360_101 Depth=2
	v_lshlrev_b32_e32 v2, 2, v126
	v_add_nc_u32_e32 v36, v70, v44
	ds_load_b32 v2, v2
	ds_load_b64 v[36:37], v36 offset:9216
	s_wait_dscnt 0x1
	v_add_nc_u32_e32 v2, v2, v50
	s_delay_alu instid0(VALU_DEP_1) | instskip(NEXT) | instid1(VALU_DEP_1)
	v_lshlrev_b64_e32 v[39:40], 3, v[2:3]
	v_add_co_u32 v39, vcc_lo, s44, v39
	s_wait_alu 0xfffd
	s_delay_alu instid0(VALU_DEP_2)
	v_add_co_ci_u32_e64 v40, null, s45, v40, vcc_lo
	s_wait_dscnt 0x0
	global_store_b64 v[39:40], v[36:37], off
	s_wait_alu 0xfffe
	s_or_b32 exec_lo, exec_lo, s15
	s_and_saveexec_b32 s15, s19
	s_cbranch_execz .LBB1360_235
.LBB1360_299:                           ;   in Loop: Header=BB1360_101 Depth=2
	v_lshlrev_b32_e32 v2, 2, v125
	v_add_nc_u32_e32 v36, v70, v44
	ds_load_b32 v2, v2
	ds_load_b64 v[36:37], v36 offset:11264
	s_wait_dscnt 0x1
	v_add_nc_u32_e32 v2, v2, v51
	s_delay_alu instid0(VALU_DEP_1) | instskip(NEXT) | instid1(VALU_DEP_1)
	v_lshlrev_b64_e32 v[39:40], 3, v[2:3]
	v_add_co_u32 v39, vcc_lo, s44, v39
	s_wait_alu 0xfffd
	s_delay_alu instid0(VALU_DEP_2)
	v_add_co_ci_u32_e64 v40, null, s45, v40, vcc_lo
	s_wait_dscnt 0x0
	global_store_b64 v[39:40], v[36:37], off
	s_wait_alu 0xfffe
	s_or_b32 exec_lo, exec_lo, s15
	s_and_saveexec_b32 s15, s20
	s_cbranch_execz .LBB1360_236
.LBB1360_300:                           ;   in Loop: Header=BB1360_101 Depth=2
	v_lshlrev_b32_e32 v2, 2, v124
	v_add_nc_u32_e32 v36, v70, v44
	ds_load_b32 v2, v2
	ds_load_b64 v[36:37], v36 offset:13312
	s_wait_dscnt 0x1
	v_add_nc_u32_e32 v2, v2, v52
	s_delay_alu instid0(VALU_DEP_1) | instskip(NEXT) | instid1(VALU_DEP_1)
	v_lshlrev_b64_e32 v[39:40], 3, v[2:3]
	v_add_co_u32 v39, vcc_lo, s44, v39
	s_wait_alu 0xfffd
	s_delay_alu instid0(VALU_DEP_2)
	v_add_co_ci_u32_e64 v40, null, s45, v40, vcc_lo
	s_wait_dscnt 0x0
	global_store_b64 v[39:40], v[36:37], off
	s_wait_alu 0xfffe
	s_or_b32 exec_lo, exec_lo, s15
	s_and_saveexec_b32 s15, s21
	s_cbranch_execz .LBB1360_237
.LBB1360_301:                           ;   in Loop: Header=BB1360_101 Depth=2
	v_lshlrev_b32_e32 v2, 2, v123
	v_add_nc_u32_e32 v36, v70, v44
	ds_load_b32 v2, v2
	ds_load_b64 v[36:37], v36 offset:15360
	s_wait_dscnt 0x1
	v_add_nc_u32_e32 v2, v2, v53
	s_delay_alu instid0(VALU_DEP_1) | instskip(NEXT) | instid1(VALU_DEP_1)
	v_lshlrev_b64_e32 v[39:40], 3, v[2:3]
	v_add_co_u32 v39, vcc_lo, s44, v39
	s_wait_alu 0xfffd
	s_delay_alu instid0(VALU_DEP_2)
	v_add_co_ci_u32_e64 v40, null, s45, v40, vcc_lo
	s_wait_dscnt 0x0
	global_store_b64 v[39:40], v[36:37], off
	s_wait_alu 0xfffe
	s_or_b32 exec_lo, exec_lo, s15
	s_and_saveexec_b32 s15, s22
	s_cbranch_execz .LBB1360_238
.LBB1360_302:                           ;   in Loop: Header=BB1360_101 Depth=2
	v_lshlrev_b32_e32 v2, 2, v122
	v_add_nc_u32_e32 v36, v70, v44
	ds_load_b32 v2, v2
	ds_load_b64 v[36:37], v36 offset:17408
	s_wait_dscnt 0x1
	v_add_nc_u32_e32 v2, v2, v54
	s_delay_alu instid0(VALU_DEP_1) | instskip(NEXT) | instid1(VALU_DEP_1)
	v_lshlrev_b64_e32 v[39:40], 3, v[2:3]
	v_add_co_u32 v39, vcc_lo, s44, v39
	s_wait_alu 0xfffd
	s_delay_alu instid0(VALU_DEP_2)
	v_add_co_ci_u32_e64 v40, null, s45, v40, vcc_lo
	s_wait_dscnt 0x0
	global_store_b64 v[39:40], v[36:37], off
	s_wait_alu 0xfffe
	s_or_b32 exec_lo, exec_lo, s15
	s_and_saveexec_b32 s15, s23
	s_cbranch_execz .LBB1360_239
.LBB1360_303:                           ;   in Loop: Header=BB1360_101 Depth=2
	v_lshlrev_b32_e32 v2, 2, v121
	v_add_nc_u32_e32 v36, v70, v44
	ds_load_b32 v2, v2
	ds_load_b64 v[36:37], v36 offset:19456
	s_wait_dscnt 0x1
	v_add_nc_u32_e32 v2, v2, v55
	s_delay_alu instid0(VALU_DEP_1) | instskip(NEXT) | instid1(VALU_DEP_1)
	v_lshlrev_b64_e32 v[39:40], 3, v[2:3]
	v_add_co_u32 v39, vcc_lo, s44, v39
	s_wait_alu 0xfffd
	s_delay_alu instid0(VALU_DEP_2)
	v_add_co_ci_u32_e64 v40, null, s45, v40, vcc_lo
	s_wait_dscnt 0x0
	global_store_b64 v[39:40], v[36:37], off
	s_wait_alu 0xfffe
	s_or_b32 exec_lo, exec_lo, s15
	s_and_saveexec_b32 s15, s24
	s_cbranch_execz .LBB1360_240
.LBB1360_304:                           ;   in Loop: Header=BB1360_101 Depth=2
	v_lshlrev_b32_e32 v2, 2, v120
	v_add_nc_u32_e32 v36, v70, v44
	ds_load_b32 v2, v2
	ds_load_b64 v[36:37], v36 offset:21504
	s_wait_dscnt 0x1
	v_add_nc_u32_e32 v2, v2, v56
	s_delay_alu instid0(VALU_DEP_1) | instskip(NEXT) | instid1(VALU_DEP_1)
	v_lshlrev_b64_e32 v[39:40], 3, v[2:3]
	v_add_co_u32 v39, vcc_lo, s44, v39
	s_wait_alu 0xfffd
	s_delay_alu instid0(VALU_DEP_2)
	v_add_co_ci_u32_e64 v40, null, s45, v40, vcc_lo
	s_wait_dscnt 0x0
	global_store_b64 v[39:40], v[36:37], off
	s_wait_alu 0xfffe
	s_or_b32 exec_lo, exec_lo, s15
	s_and_saveexec_b32 s15, s25
	s_cbranch_execz .LBB1360_241
.LBB1360_305:                           ;   in Loop: Header=BB1360_101 Depth=2
	v_lshlrev_b32_e32 v2, 2, v119
	v_add_nc_u32_e32 v36, v70, v44
	ds_load_b32 v2, v2
	ds_load_b64 v[36:37], v36 offset:23552
	s_wait_dscnt 0x1
	v_add_nc_u32_e32 v2, v2, v57
	s_delay_alu instid0(VALU_DEP_1) | instskip(NEXT) | instid1(VALU_DEP_1)
	v_lshlrev_b64_e32 v[39:40], 3, v[2:3]
	v_add_co_u32 v39, vcc_lo, s44, v39
	s_wait_alu 0xfffd
	s_delay_alu instid0(VALU_DEP_2)
	v_add_co_ci_u32_e64 v40, null, s45, v40, vcc_lo
	s_wait_dscnt 0x0
	global_store_b64 v[39:40], v[36:37], off
	s_wait_alu 0xfffe
	s_or_b32 exec_lo, exec_lo, s15
	s_and_saveexec_b32 s15, s26
	s_cbranch_execz .LBB1360_242
.LBB1360_306:                           ;   in Loop: Header=BB1360_101 Depth=2
	v_lshlrev_b32_e32 v2, 2, v118
	v_add_nc_u32_e32 v36, v70, v44
	ds_load_b32 v2, v2
	ds_load_b64 v[36:37], v36 offset:25600
	s_wait_dscnt 0x1
	v_add_nc_u32_e32 v2, v2, v58
	s_delay_alu instid0(VALU_DEP_1) | instskip(NEXT) | instid1(VALU_DEP_1)
	v_lshlrev_b64_e32 v[39:40], 3, v[2:3]
	v_add_co_u32 v39, vcc_lo, s44, v39
	s_wait_alu 0xfffd
	s_delay_alu instid0(VALU_DEP_2)
	v_add_co_ci_u32_e64 v40, null, s45, v40, vcc_lo
	s_wait_dscnt 0x0
	global_store_b64 v[39:40], v[36:37], off
	s_wait_alu 0xfffe
	s_or_b32 exec_lo, exec_lo, s15
	s_and_saveexec_b32 s15, s27
	s_cbranch_execz .LBB1360_243
.LBB1360_307:                           ;   in Loop: Header=BB1360_101 Depth=2
	v_lshlrev_b32_e32 v2, 2, v117
	v_add_nc_u32_e32 v36, v70, v44
	ds_load_b32 v2, v2
	ds_load_b64 v[36:37], v36 offset:27648
	s_wait_dscnt 0x1
	v_add_nc_u32_e32 v2, v2, v59
	s_delay_alu instid0(VALU_DEP_1) | instskip(NEXT) | instid1(VALU_DEP_1)
	v_lshlrev_b64_e32 v[39:40], 3, v[2:3]
	v_add_co_u32 v39, vcc_lo, s44, v39
	s_wait_alu 0xfffd
	s_delay_alu instid0(VALU_DEP_2)
	v_add_co_ci_u32_e64 v40, null, s45, v40, vcc_lo
	s_wait_dscnt 0x0
	global_store_b64 v[39:40], v[36:37], off
	s_wait_alu 0xfffe
	s_or_b32 exec_lo, exec_lo, s15
	s_and_saveexec_b32 s15, s28
	s_cbranch_execz .LBB1360_244
.LBB1360_308:                           ;   in Loop: Header=BB1360_101 Depth=2
	v_lshlrev_b32_e32 v2, 2, v116
	v_add_nc_u32_e32 v36, v70, v44
	ds_load_b32 v2, v2
	ds_load_b64 v[36:37], v36 offset:29696
	s_wait_dscnt 0x1
	v_add_nc_u32_e32 v2, v2, v60
	s_delay_alu instid0(VALU_DEP_1) | instskip(NEXT) | instid1(VALU_DEP_1)
	v_lshlrev_b64_e32 v[39:40], 3, v[2:3]
	v_add_co_u32 v39, vcc_lo, s44, v39
	s_wait_alu 0xfffd
	s_delay_alu instid0(VALU_DEP_2)
	v_add_co_ci_u32_e64 v40, null, s45, v40, vcc_lo
	s_wait_dscnt 0x0
	global_store_b64 v[39:40], v[36:37], off
	s_wait_alu 0xfffe
	s_or_b32 exec_lo, exec_lo, s15
	s_and_saveexec_b32 s15, s29
	s_cbranch_execnz .LBB1360_245
	s_branch .LBB1360_246
.LBB1360_309:                           ;   in Loop: Header=BB1360_17 Depth=1
	s_wait_loadcnt_dscnt 0x0
	s_barrier_signal -1
	s_mov_b32 s0, 0
	s_barrier_wait -1
.LBB1360_310:                           ;   in Loop: Header=BB1360_17 Depth=1
	s_wait_alu 0xfffe
	s_and_b32 vcc_lo, exec_lo, s0
	s_wait_alu 0xfffe
	s_cbranch_vccz .LBB1360_602
; %bb.311:                              ;   in Loop: Header=BB1360_17 Depth=1
	s_mov_b32 s9, s53
	s_mov_b32 s42, s33
	s_barrier_signal -1
	s_barrier_wait -1
	global_inv scope:SCOPE_SE
                                        ; implicit-def: $vgpr2
                                        ; implicit-def: $vgpr4
                                        ; implicit-def: $vgpr5
                                        ; implicit-def: $vgpr6
                                        ; implicit-def: $vgpr7
                                        ; implicit-def: $vgpr8
                                        ; implicit-def: $vgpr9
                                        ; implicit-def: $vgpr10
                                        ; implicit-def: $vgpr11
                                        ; implicit-def: $vgpr12
                                        ; implicit-def: $vgpr13
                                        ; implicit-def: $vgpr14
                                        ; implicit-def: $vgpr15
                                        ; implicit-def: $vgpr16
                                        ; implicit-def: $vgpr17
                                        ; implicit-def: $vgpr18
	s_branch .LBB1360_313
.LBB1360_312:                           ;   in Loop: Header=BB1360_313 Depth=2
	s_wait_alu 0xfffe
	s_or_b32 exec_lo, exec_lo, s0
	s_addk_co_i32 s9, 0xf000
	s_cmp_ge_u32 s10, s51
	s_mov_b32 s42, s10
	s_cbranch_scc1 .LBB1360_381
.LBB1360_313:                           ;   Parent Loop BB1360_17 Depth=1
                                        ; =>  This Inner Loop Header: Depth=2
	s_wait_alu 0xfffe
	s_add_co_i32 s10, s42, 0x1000
	s_mov_b32 s0, -1
	s_wait_alu 0xfffe
	s_cmp_gt_u32 s10, s51
                                        ; implicit-def: $vgpr19
                                        ; implicit-def: $vgpr20
                                        ; implicit-def: $vgpr21
                                        ; implicit-def: $vgpr22
                                        ; implicit-def: $vgpr23
                                        ; implicit-def: $vgpr24
                                        ; implicit-def: $vgpr25
                                        ; implicit-def: $vgpr26
                                        ; implicit-def: $vgpr27
                                        ; implicit-def: $vgpr28
                                        ; implicit-def: $vgpr29
                                        ; implicit-def: $vgpr30
                                        ; implicit-def: $vgpr31
                                        ; implicit-def: $vgpr32
                                        ; implicit-def: $vgpr33
                                        ; implicit-def: $vgpr34
	s_cbranch_scc1 .LBB1360_315
; %bb.314:                              ;   in Loop: Header=BB1360_313 Depth=2
	s_lshl_b64 s[0:1], s[42:43], 2
	s_wait_alu 0xfffe
	v_add_co_u32 v34, vcc_lo, v71, s0
	s_wait_alu 0xfffd
	v_add_co_ci_u32_e64 v35, null, s1, v72, vcc_lo
	s_mov_b32 s0, 0
	s_clause 0xf
	global_load_b32 v19, v[34:35], off
	global_load_b32 v20, v[34:35], off offset:1024
	global_load_b32 v21, v[34:35], off offset:2048
	;; [unrolled: 1-line block ×15, first 2 shown]
.LBB1360_315:                           ;   in Loop: Header=BB1360_313 Depth=2
	s_wait_alu 0xfffe
	s_and_not1_b32 vcc_lo, exec_lo, s0
	s_movk_i32 s0, 0x1000
	s_wait_alu 0xfffe
	s_cbranch_vccnz .LBB1360_334
; %bb.316:                              ;   in Loop: Header=BB1360_313 Depth=2
	s_lshl_b64 s[0:1], s[42:43], 2
	s_mov_b32 s11, exec_lo
	s_wait_alu 0xfffe
	s_add_nc_u64 s[0:1], s[38:39], s[0:1]
	v_cmpx_gt_u32_e64 s9, v1
	s_cbranch_execnz .LBB1360_366
; %bb.317:                              ;   in Loop: Header=BB1360_313 Depth=2
	s_or_b32 exec_lo, exec_lo, s11
	s_delay_alu instid0(SALU_CYCLE_1)
	s_mov_b32 s11, exec_lo
	v_cmpx_gt_u32_e64 s9, v45
	s_cbranch_execnz .LBB1360_367
.LBB1360_318:                           ;   in Loop: Header=BB1360_313 Depth=2
	s_wait_alu 0xfffe
	s_or_b32 exec_lo, exec_lo, s11
	s_delay_alu instid0(SALU_CYCLE_1)
	s_mov_b32 s11, exec_lo
	v_cmpx_gt_u32_e64 s9, v46
	s_cbranch_execnz .LBB1360_368
.LBB1360_319:                           ;   in Loop: Header=BB1360_313 Depth=2
	s_wait_alu 0xfffe
	s_or_b32 exec_lo, exec_lo, s11
	s_delay_alu instid0(SALU_CYCLE_1)
	s_mov_b32 s11, exec_lo
	v_cmpx_gt_u32_e64 s9, v47
	s_cbranch_execnz .LBB1360_369
.LBB1360_320:                           ;   in Loop: Header=BB1360_313 Depth=2
	s_wait_alu 0xfffe
	s_or_b32 exec_lo, exec_lo, s11
	s_delay_alu instid0(SALU_CYCLE_1)
	s_mov_b32 s11, exec_lo
	v_cmpx_gt_u32_e64 s9, v50
	s_cbranch_execnz .LBB1360_370
.LBB1360_321:                           ;   in Loop: Header=BB1360_313 Depth=2
	s_wait_alu 0xfffe
	s_or_b32 exec_lo, exec_lo, s11
	s_delay_alu instid0(SALU_CYCLE_1)
	s_mov_b32 s11, exec_lo
	v_cmpx_gt_u32_e64 s9, v51
	s_cbranch_execnz .LBB1360_371
.LBB1360_322:                           ;   in Loop: Header=BB1360_313 Depth=2
	s_wait_alu 0xfffe
	s_or_b32 exec_lo, exec_lo, s11
	s_delay_alu instid0(SALU_CYCLE_1)
	s_mov_b32 s11, exec_lo
	v_cmpx_gt_u32_e64 s9, v52
	s_cbranch_execnz .LBB1360_372
.LBB1360_323:                           ;   in Loop: Header=BB1360_313 Depth=2
	s_wait_alu 0xfffe
	s_or_b32 exec_lo, exec_lo, s11
	s_delay_alu instid0(SALU_CYCLE_1)
	s_mov_b32 s11, exec_lo
	v_cmpx_gt_u32_e64 s9, v53
	s_cbranch_execnz .LBB1360_373
.LBB1360_324:                           ;   in Loop: Header=BB1360_313 Depth=2
	s_wait_alu 0xfffe
	s_or_b32 exec_lo, exec_lo, s11
	s_delay_alu instid0(SALU_CYCLE_1)
	s_mov_b32 s11, exec_lo
	v_cmpx_gt_u32_e64 s9, v54
	s_cbranch_execnz .LBB1360_374
.LBB1360_325:                           ;   in Loop: Header=BB1360_313 Depth=2
	s_wait_alu 0xfffe
	s_or_b32 exec_lo, exec_lo, s11
	s_delay_alu instid0(SALU_CYCLE_1)
	s_mov_b32 s11, exec_lo
	v_cmpx_gt_u32_e64 s9, v55
	s_cbranch_execnz .LBB1360_375
.LBB1360_326:                           ;   in Loop: Header=BB1360_313 Depth=2
	s_wait_alu 0xfffe
	s_or_b32 exec_lo, exec_lo, s11
	s_delay_alu instid0(SALU_CYCLE_1)
	s_mov_b32 s11, exec_lo
	v_cmpx_gt_u32_e64 s9, v56
	s_cbranch_execnz .LBB1360_376
.LBB1360_327:                           ;   in Loop: Header=BB1360_313 Depth=2
	s_wait_alu 0xfffe
	s_or_b32 exec_lo, exec_lo, s11
	s_delay_alu instid0(SALU_CYCLE_1)
	s_mov_b32 s11, exec_lo
	v_cmpx_gt_u32_e64 s9, v57
	s_cbranch_execnz .LBB1360_377
.LBB1360_328:                           ;   in Loop: Header=BB1360_313 Depth=2
	s_wait_alu 0xfffe
	s_or_b32 exec_lo, exec_lo, s11
	s_delay_alu instid0(SALU_CYCLE_1)
	s_mov_b32 s11, exec_lo
	v_cmpx_gt_u32_e64 s9, v58
	s_cbranch_execnz .LBB1360_378
.LBB1360_329:                           ;   in Loop: Header=BB1360_313 Depth=2
	s_wait_alu 0xfffe
	s_or_b32 exec_lo, exec_lo, s11
	s_delay_alu instid0(SALU_CYCLE_1)
	s_mov_b32 s11, exec_lo
	v_cmpx_gt_u32_e64 s9, v59
	s_cbranch_execnz .LBB1360_379
.LBB1360_330:                           ;   in Loop: Header=BB1360_313 Depth=2
	s_wait_alu 0xfffe
	s_or_b32 exec_lo, exec_lo, s11
	s_delay_alu instid0(SALU_CYCLE_1)
	s_mov_b32 s11, exec_lo
	v_cmpx_gt_u32_e64 s9, v60
	s_cbranch_execnz .LBB1360_380
.LBB1360_331:                           ;   in Loop: Header=BB1360_313 Depth=2
	s_wait_alu 0xfffe
	s_or_b32 exec_lo, exec_lo, s11
	s_delay_alu instid0(SALU_CYCLE_1)
	s_mov_b32 s11, exec_lo
	v_cmpx_gt_u32_e64 s9, v61
	s_cbranch_execz .LBB1360_333
.LBB1360_332:                           ;   in Loop: Header=BB1360_313 Depth=2
	global_load_b32 v2, v108, s[0:1] offset:15360
.LBB1360_333:                           ;   in Loop: Header=BB1360_313 Depth=2
	s_wait_alu 0xfffe
	s_or_b32 exec_lo, exec_lo, s11
	s_wait_loadcnt 0x0
	v_dual_mov_b32 v19, v18 :: v_dual_mov_b32 v20, v17
	v_dual_mov_b32 v21, v16 :: v_dual_mov_b32 v22, v15
	;; [unrolled: 1-line block ×8, first 2 shown]
	s_mov_b32 s0, s9
.LBB1360_334:                           ;   in Loop: Header=BB1360_313 Depth=2
	s_wait_loadcnt 0x0
	s_delay_alu instid0(VALU_DEP_1) | instskip(NEXT) | instid1(VALU_DEP_2)
	v_dual_mov_b32 v2, v34 :: v_dual_mov_b32 v5, v32
	v_dual_mov_b32 v4, v33 :: v_dual_mov_b32 v7, v30
	;; [unrolled: 1-line block ×7, first 2 shown]
	v_mov_b32_e32 v16, v21
	v_mov_b32_e32 v18, v19
	s_mov_b32 s1, exec_lo
	s_wait_alu 0xfffe
	v_cmpx_gt_u32_e64 s0, v1
	s_cbranch_execnz .LBB1360_350
; %bb.335:                              ;   in Loop: Header=BB1360_313 Depth=2
	s_or_b32 exec_lo, exec_lo, s1
	s_delay_alu instid0(SALU_CYCLE_1)
	s_mov_b32 s1, exec_lo
	v_cmpx_gt_u32_e64 s0, v45
	s_cbranch_execnz .LBB1360_351
.LBB1360_336:                           ;   in Loop: Header=BB1360_313 Depth=2
	s_wait_alu 0xfffe
	s_or_b32 exec_lo, exec_lo, s1
	s_delay_alu instid0(SALU_CYCLE_1)
	s_mov_b32 s1, exec_lo
	v_cmpx_gt_u32_e64 s0, v46
	s_cbranch_execnz .LBB1360_352
.LBB1360_337:                           ;   in Loop: Header=BB1360_313 Depth=2
	s_wait_alu 0xfffe
	s_or_b32 exec_lo, exec_lo, s1
	s_delay_alu instid0(SALU_CYCLE_1)
	s_mov_b32 s1, exec_lo
	v_cmpx_gt_u32_e64 s0, v47
	s_cbranch_execnz .LBB1360_353
.LBB1360_338:                           ;   in Loop: Header=BB1360_313 Depth=2
	s_wait_alu 0xfffe
	s_or_b32 exec_lo, exec_lo, s1
	s_delay_alu instid0(SALU_CYCLE_1)
	s_mov_b32 s1, exec_lo
	v_cmpx_gt_u32_e64 s0, v50
	s_cbranch_execnz .LBB1360_354
.LBB1360_339:                           ;   in Loop: Header=BB1360_313 Depth=2
	s_wait_alu 0xfffe
	s_or_b32 exec_lo, exec_lo, s1
	s_delay_alu instid0(SALU_CYCLE_1)
	s_mov_b32 s1, exec_lo
	v_cmpx_gt_u32_e64 s0, v51
	s_cbranch_execnz .LBB1360_355
.LBB1360_340:                           ;   in Loop: Header=BB1360_313 Depth=2
	s_wait_alu 0xfffe
	s_or_b32 exec_lo, exec_lo, s1
	s_delay_alu instid0(SALU_CYCLE_1)
	s_mov_b32 s1, exec_lo
	v_cmpx_gt_u32_e64 s0, v52
	s_cbranch_execnz .LBB1360_356
.LBB1360_341:                           ;   in Loop: Header=BB1360_313 Depth=2
	s_wait_alu 0xfffe
	s_or_b32 exec_lo, exec_lo, s1
	s_delay_alu instid0(SALU_CYCLE_1)
	s_mov_b32 s1, exec_lo
	v_cmpx_gt_u32_e64 s0, v53
	s_cbranch_execnz .LBB1360_357
.LBB1360_342:                           ;   in Loop: Header=BB1360_313 Depth=2
	s_wait_alu 0xfffe
	s_or_b32 exec_lo, exec_lo, s1
	s_delay_alu instid0(SALU_CYCLE_1)
	s_mov_b32 s1, exec_lo
	v_cmpx_gt_u32_e64 s0, v54
	s_cbranch_execnz .LBB1360_358
.LBB1360_343:                           ;   in Loop: Header=BB1360_313 Depth=2
	s_wait_alu 0xfffe
	s_or_b32 exec_lo, exec_lo, s1
	s_delay_alu instid0(SALU_CYCLE_1)
	s_mov_b32 s1, exec_lo
	v_cmpx_gt_u32_e64 s0, v55
	s_cbranch_execnz .LBB1360_359
.LBB1360_344:                           ;   in Loop: Header=BB1360_313 Depth=2
	s_wait_alu 0xfffe
	s_or_b32 exec_lo, exec_lo, s1
	s_delay_alu instid0(SALU_CYCLE_1)
	s_mov_b32 s1, exec_lo
	v_cmpx_gt_u32_e64 s0, v56
	s_cbranch_execnz .LBB1360_360
.LBB1360_345:                           ;   in Loop: Header=BB1360_313 Depth=2
	s_wait_alu 0xfffe
	s_or_b32 exec_lo, exec_lo, s1
	s_delay_alu instid0(SALU_CYCLE_1)
	s_mov_b32 s1, exec_lo
	v_cmpx_gt_u32_e64 s0, v57
	s_cbranch_execnz .LBB1360_361
.LBB1360_346:                           ;   in Loop: Header=BB1360_313 Depth=2
	s_wait_alu 0xfffe
	s_or_b32 exec_lo, exec_lo, s1
	s_delay_alu instid0(SALU_CYCLE_1)
	s_mov_b32 s1, exec_lo
	v_cmpx_gt_u32_e64 s0, v58
	s_cbranch_execnz .LBB1360_362
.LBB1360_347:                           ;   in Loop: Header=BB1360_313 Depth=2
	s_wait_alu 0xfffe
	s_or_b32 exec_lo, exec_lo, s1
	s_delay_alu instid0(SALU_CYCLE_1)
	s_mov_b32 s1, exec_lo
	v_cmpx_gt_u32_e64 s0, v59
	s_cbranch_execnz .LBB1360_363
.LBB1360_348:                           ;   in Loop: Header=BB1360_313 Depth=2
	s_wait_alu 0xfffe
	s_or_b32 exec_lo, exec_lo, s1
	s_delay_alu instid0(SALU_CYCLE_1)
	s_mov_b32 s1, exec_lo
	v_cmpx_gt_u32_e64 s0, v60
	s_cbranch_execnz .LBB1360_364
.LBB1360_349:                           ;   in Loop: Header=BB1360_313 Depth=2
	s_wait_alu 0xfffe
	s_or_b32 exec_lo, exec_lo, s1
	v_cmp_gt_u32_e32 vcc_lo, s0, v61
	s_and_saveexec_b32 s0, vcc_lo
	s_cbranch_execz .LBB1360_312
	s_branch .LBB1360_365
.LBB1360_350:                           ;   in Loop: Header=BB1360_313 Depth=2
	v_cmp_gt_i32_e32 vcc_lo, 0, v18
	s_wait_alu 0xfffd
	v_cndmask_b32_e64 v19, 0x7fffffff, 0, vcc_lo
	s_delay_alu instid0(VALU_DEP_1) | instskip(NEXT) | instid1(VALU_DEP_1)
	v_xor_b32_e32 v19, v19, v18
	v_cmp_ne_u32_e32 vcc_lo, 0x80000000, v19
	s_wait_alu 0xfffd
	v_cndmask_b32_e32 v19, 0x7fffffff, v19, vcc_lo
	s_delay_alu instid0(VALU_DEP_1) | instskip(NEXT) | instid1(VALU_DEP_1)
	v_lshrrev_b32_e32 v19, s31, v19
	v_and_b32_e32 v19, s48, v19
	s_delay_alu instid0(VALU_DEP_1) | instskip(SKIP_2) | instid1(SALU_CYCLE_1)
	v_lshl_or_b32 v19, v19, 4, v62
	ds_add_u32 v19, v84
	s_or_b32 exec_lo, exec_lo, s1
	s_mov_b32 s1, exec_lo
	v_cmpx_gt_u32_e64 s0, v45
	s_cbranch_execz .LBB1360_336
.LBB1360_351:                           ;   in Loop: Header=BB1360_313 Depth=2
	v_cmp_gt_i32_e32 vcc_lo, 0, v17
	s_wait_alu 0xfffd
	v_cndmask_b32_e64 v19, 0x7fffffff, 0, vcc_lo
	s_delay_alu instid0(VALU_DEP_1) | instskip(NEXT) | instid1(VALU_DEP_1)
	v_xor_b32_e32 v19, v19, v17
	v_cmp_ne_u32_e32 vcc_lo, 0x80000000, v19
	s_wait_alu 0xfffd
	v_cndmask_b32_e32 v19, 0x7fffffff, v19, vcc_lo
	s_delay_alu instid0(VALU_DEP_1) | instskip(NEXT) | instid1(VALU_DEP_1)
	v_lshrrev_b32_e32 v19, s31, v19
	v_and_b32_e32 v19, s48, v19
	s_delay_alu instid0(VALU_DEP_1) | instskip(SKIP_3) | instid1(SALU_CYCLE_1)
	v_lshl_or_b32 v19, v19, 4, v62
	ds_add_u32 v19, v84
	s_wait_alu 0xfffe
	s_or_b32 exec_lo, exec_lo, s1
	s_mov_b32 s1, exec_lo
	v_cmpx_gt_u32_e64 s0, v46
	s_cbranch_execz .LBB1360_337
.LBB1360_352:                           ;   in Loop: Header=BB1360_313 Depth=2
	v_cmp_gt_i32_e32 vcc_lo, 0, v16
	s_wait_alu 0xfffd
	v_cndmask_b32_e64 v19, 0x7fffffff, 0, vcc_lo
	s_delay_alu instid0(VALU_DEP_1) | instskip(NEXT) | instid1(VALU_DEP_1)
	v_xor_b32_e32 v19, v19, v16
	v_cmp_ne_u32_e32 vcc_lo, 0x80000000, v19
	s_wait_alu 0xfffd
	v_cndmask_b32_e32 v19, 0x7fffffff, v19, vcc_lo
	s_delay_alu instid0(VALU_DEP_1) | instskip(NEXT) | instid1(VALU_DEP_1)
	v_lshrrev_b32_e32 v19, s31, v19
	v_and_b32_e32 v19, s48, v19
	s_delay_alu instid0(VALU_DEP_1) | instskip(SKIP_3) | instid1(SALU_CYCLE_1)
	v_lshl_or_b32 v19, v19, 4, v62
	ds_add_u32 v19, v84
	s_wait_alu 0xfffe
	s_or_b32 exec_lo, exec_lo, s1
	s_mov_b32 s1, exec_lo
	v_cmpx_gt_u32_e64 s0, v47
	s_cbranch_execz .LBB1360_338
.LBB1360_353:                           ;   in Loop: Header=BB1360_313 Depth=2
	v_cmp_gt_i32_e32 vcc_lo, 0, v15
	s_wait_alu 0xfffd
	v_cndmask_b32_e64 v19, 0x7fffffff, 0, vcc_lo
	s_delay_alu instid0(VALU_DEP_1) | instskip(NEXT) | instid1(VALU_DEP_1)
	v_xor_b32_e32 v19, v19, v15
	v_cmp_ne_u32_e32 vcc_lo, 0x80000000, v19
	s_wait_alu 0xfffd
	v_cndmask_b32_e32 v19, 0x7fffffff, v19, vcc_lo
	s_delay_alu instid0(VALU_DEP_1) | instskip(NEXT) | instid1(VALU_DEP_1)
	v_lshrrev_b32_e32 v19, s31, v19
	v_and_b32_e32 v19, s48, v19
	s_delay_alu instid0(VALU_DEP_1) | instskip(SKIP_3) | instid1(SALU_CYCLE_1)
	v_lshl_or_b32 v19, v19, 4, v62
	ds_add_u32 v19, v84
	s_wait_alu 0xfffe
	s_or_b32 exec_lo, exec_lo, s1
	s_mov_b32 s1, exec_lo
	v_cmpx_gt_u32_e64 s0, v50
	s_cbranch_execz .LBB1360_339
.LBB1360_354:                           ;   in Loop: Header=BB1360_313 Depth=2
	v_cmp_gt_i32_e32 vcc_lo, 0, v14
	s_wait_alu 0xfffd
	v_cndmask_b32_e64 v19, 0x7fffffff, 0, vcc_lo
	s_delay_alu instid0(VALU_DEP_1) | instskip(NEXT) | instid1(VALU_DEP_1)
	v_xor_b32_e32 v19, v19, v14
	v_cmp_ne_u32_e32 vcc_lo, 0x80000000, v19
	s_wait_alu 0xfffd
	v_cndmask_b32_e32 v19, 0x7fffffff, v19, vcc_lo
	s_delay_alu instid0(VALU_DEP_1) | instskip(NEXT) | instid1(VALU_DEP_1)
	v_lshrrev_b32_e32 v19, s31, v19
	v_and_b32_e32 v19, s48, v19
	s_delay_alu instid0(VALU_DEP_1) | instskip(SKIP_3) | instid1(SALU_CYCLE_1)
	v_lshl_or_b32 v19, v19, 4, v62
	ds_add_u32 v19, v84
	s_wait_alu 0xfffe
	s_or_b32 exec_lo, exec_lo, s1
	s_mov_b32 s1, exec_lo
	v_cmpx_gt_u32_e64 s0, v51
	s_cbranch_execz .LBB1360_340
.LBB1360_355:                           ;   in Loop: Header=BB1360_313 Depth=2
	v_cmp_gt_i32_e32 vcc_lo, 0, v13
	s_wait_alu 0xfffd
	v_cndmask_b32_e64 v19, 0x7fffffff, 0, vcc_lo
	s_delay_alu instid0(VALU_DEP_1) | instskip(NEXT) | instid1(VALU_DEP_1)
	v_xor_b32_e32 v19, v19, v13
	v_cmp_ne_u32_e32 vcc_lo, 0x80000000, v19
	s_wait_alu 0xfffd
	v_cndmask_b32_e32 v19, 0x7fffffff, v19, vcc_lo
	s_delay_alu instid0(VALU_DEP_1) | instskip(NEXT) | instid1(VALU_DEP_1)
	v_lshrrev_b32_e32 v19, s31, v19
	v_and_b32_e32 v19, s48, v19
	s_delay_alu instid0(VALU_DEP_1) | instskip(SKIP_3) | instid1(SALU_CYCLE_1)
	v_lshl_or_b32 v19, v19, 4, v62
	ds_add_u32 v19, v84
	s_wait_alu 0xfffe
	s_or_b32 exec_lo, exec_lo, s1
	s_mov_b32 s1, exec_lo
	v_cmpx_gt_u32_e64 s0, v52
	s_cbranch_execz .LBB1360_341
.LBB1360_356:                           ;   in Loop: Header=BB1360_313 Depth=2
	v_cmp_gt_i32_e32 vcc_lo, 0, v12
	s_wait_alu 0xfffd
	v_cndmask_b32_e64 v19, 0x7fffffff, 0, vcc_lo
	s_delay_alu instid0(VALU_DEP_1) | instskip(NEXT) | instid1(VALU_DEP_1)
	v_xor_b32_e32 v19, v19, v12
	v_cmp_ne_u32_e32 vcc_lo, 0x80000000, v19
	s_wait_alu 0xfffd
	v_cndmask_b32_e32 v19, 0x7fffffff, v19, vcc_lo
	s_delay_alu instid0(VALU_DEP_1) | instskip(NEXT) | instid1(VALU_DEP_1)
	v_lshrrev_b32_e32 v19, s31, v19
	v_and_b32_e32 v19, s48, v19
	s_delay_alu instid0(VALU_DEP_1) | instskip(SKIP_3) | instid1(SALU_CYCLE_1)
	v_lshl_or_b32 v19, v19, 4, v62
	ds_add_u32 v19, v84
	s_wait_alu 0xfffe
	s_or_b32 exec_lo, exec_lo, s1
	s_mov_b32 s1, exec_lo
	v_cmpx_gt_u32_e64 s0, v53
	s_cbranch_execz .LBB1360_342
.LBB1360_357:                           ;   in Loop: Header=BB1360_313 Depth=2
	v_cmp_gt_i32_e32 vcc_lo, 0, v11
	s_wait_alu 0xfffd
	v_cndmask_b32_e64 v19, 0x7fffffff, 0, vcc_lo
	s_delay_alu instid0(VALU_DEP_1) | instskip(NEXT) | instid1(VALU_DEP_1)
	v_xor_b32_e32 v19, v19, v11
	v_cmp_ne_u32_e32 vcc_lo, 0x80000000, v19
	s_wait_alu 0xfffd
	v_cndmask_b32_e32 v19, 0x7fffffff, v19, vcc_lo
	s_delay_alu instid0(VALU_DEP_1) | instskip(NEXT) | instid1(VALU_DEP_1)
	v_lshrrev_b32_e32 v19, s31, v19
	v_and_b32_e32 v19, s48, v19
	s_delay_alu instid0(VALU_DEP_1) | instskip(SKIP_3) | instid1(SALU_CYCLE_1)
	v_lshl_or_b32 v19, v19, 4, v62
	ds_add_u32 v19, v84
	s_wait_alu 0xfffe
	s_or_b32 exec_lo, exec_lo, s1
	s_mov_b32 s1, exec_lo
	v_cmpx_gt_u32_e64 s0, v54
	s_cbranch_execz .LBB1360_343
.LBB1360_358:                           ;   in Loop: Header=BB1360_313 Depth=2
	v_cmp_gt_i32_e32 vcc_lo, 0, v10
	s_wait_alu 0xfffd
	v_cndmask_b32_e64 v19, 0x7fffffff, 0, vcc_lo
	s_delay_alu instid0(VALU_DEP_1) | instskip(NEXT) | instid1(VALU_DEP_1)
	v_xor_b32_e32 v19, v19, v10
	v_cmp_ne_u32_e32 vcc_lo, 0x80000000, v19
	s_wait_alu 0xfffd
	v_cndmask_b32_e32 v19, 0x7fffffff, v19, vcc_lo
	s_delay_alu instid0(VALU_DEP_1) | instskip(NEXT) | instid1(VALU_DEP_1)
	v_lshrrev_b32_e32 v19, s31, v19
	v_and_b32_e32 v19, s48, v19
	s_delay_alu instid0(VALU_DEP_1) | instskip(SKIP_3) | instid1(SALU_CYCLE_1)
	v_lshl_or_b32 v19, v19, 4, v62
	ds_add_u32 v19, v84
	s_wait_alu 0xfffe
	s_or_b32 exec_lo, exec_lo, s1
	s_mov_b32 s1, exec_lo
	v_cmpx_gt_u32_e64 s0, v55
	s_cbranch_execz .LBB1360_344
.LBB1360_359:                           ;   in Loop: Header=BB1360_313 Depth=2
	v_cmp_gt_i32_e32 vcc_lo, 0, v9
	s_wait_alu 0xfffd
	v_cndmask_b32_e64 v19, 0x7fffffff, 0, vcc_lo
	s_delay_alu instid0(VALU_DEP_1) | instskip(NEXT) | instid1(VALU_DEP_1)
	v_xor_b32_e32 v19, v19, v9
	v_cmp_ne_u32_e32 vcc_lo, 0x80000000, v19
	s_wait_alu 0xfffd
	v_cndmask_b32_e32 v19, 0x7fffffff, v19, vcc_lo
	s_delay_alu instid0(VALU_DEP_1) | instskip(NEXT) | instid1(VALU_DEP_1)
	v_lshrrev_b32_e32 v19, s31, v19
	v_and_b32_e32 v19, s48, v19
	s_delay_alu instid0(VALU_DEP_1) | instskip(SKIP_3) | instid1(SALU_CYCLE_1)
	v_lshl_or_b32 v19, v19, 4, v62
	ds_add_u32 v19, v84
	s_wait_alu 0xfffe
	s_or_b32 exec_lo, exec_lo, s1
	s_mov_b32 s1, exec_lo
	v_cmpx_gt_u32_e64 s0, v56
	s_cbranch_execz .LBB1360_345
.LBB1360_360:                           ;   in Loop: Header=BB1360_313 Depth=2
	v_cmp_gt_i32_e32 vcc_lo, 0, v8
	s_wait_alu 0xfffd
	v_cndmask_b32_e64 v19, 0x7fffffff, 0, vcc_lo
	s_delay_alu instid0(VALU_DEP_1) | instskip(NEXT) | instid1(VALU_DEP_1)
	v_xor_b32_e32 v19, v19, v8
	v_cmp_ne_u32_e32 vcc_lo, 0x80000000, v19
	s_wait_alu 0xfffd
	v_cndmask_b32_e32 v19, 0x7fffffff, v19, vcc_lo
	s_delay_alu instid0(VALU_DEP_1) | instskip(NEXT) | instid1(VALU_DEP_1)
	v_lshrrev_b32_e32 v19, s31, v19
	v_and_b32_e32 v19, s48, v19
	s_delay_alu instid0(VALU_DEP_1) | instskip(SKIP_3) | instid1(SALU_CYCLE_1)
	v_lshl_or_b32 v19, v19, 4, v62
	ds_add_u32 v19, v84
	s_wait_alu 0xfffe
	s_or_b32 exec_lo, exec_lo, s1
	s_mov_b32 s1, exec_lo
	v_cmpx_gt_u32_e64 s0, v57
	s_cbranch_execz .LBB1360_346
.LBB1360_361:                           ;   in Loop: Header=BB1360_313 Depth=2
	v_cmp_gt_i32_e32 vcc_lo, 0, v7
	s_wait_alu 0xfffd
	v_cndmask_b32_e64 v19, 0x7fffffff, 0, vcc_lo
	s_delay_alu instid0(VALU_DEP_1) | instskip(NEXT) | instid1(VALU_DEP_1)
	v_xor_b32_e32 v19, v19, v7
	v_cmp_ne_u32_e32 vcc_lo, 0x80000000, v19
	s_wait_alu 0xfffd
	v_cndmask_b32_e32 v19, 0x7fffffff, v19, vcc_lo
	s_delay_alu instid0(VALU_DEP_1) | instskip(NEXT) | instid1(VALU_DEP_1)
	v_lshrrev_b32_e32 v19, s31, v19
	v_and_b32_e32 v19, s48, v19
	s_delay_alu instid0(VALU_DEP_1) | instskip(SKIP_3) | instid1(SALU_CYCLE_1)
	v_lshl_or_b32 v19, v19, 4, v62
	ds_add_u32 v19, v84
	s_wait_alu 0xfffe
	s_or_b32 exec_lo, exec_lo, s1
	s_mov_b32 s1, exec_lo
	v_cmpx_gt_u32_e64 s0, v58
	s_cbranch_execz .LBB1360_347
.LBB1360_362:                           ;   in Loop: Header=BB1360_313 Depth=2
	v_cmp_gt_i32_e32 vcc_lo, 0, v6
	s_wait_alu 0xfffd
	v_cndmask_b32_e64 v19, 0x7fffffff, 0, vcc_lo
	s_delay_alu instid0(VALU_DEP_1) | instskip(NEXT) | instid1(VALU_DEP_1)
	v_xor_b32_e32 v19, v19, v6
	v_cmp_ne_u32_e32 vcc_lo, 0x80000000, v19
	s_wait_alu 0xfffd
	v_cndmask_b32_e32 v19, 0x7fffffff, v19, vcc_lo
	s_delay_alu instid0(VALU_DEP_1) | instskip(NEXT) | instid1(VALU_DEP_1)
	v_lshrrev_b32_e32 v19, s31, v19
	v_and_b32_e32 v19, s48, v19
	s_delay_alu instid0(VALU_DEP_1) | instskip(SKIP_3) | instid1(SALU_CYCLE_1)
	v_lshl_or_b32 v19, v19, 4, v62
	ds_add_u32 v19, v84
	s_wait_alu 0xfffe
	s_or_b32 exec_lo, exec_lo, s1
	s_mov_b32 s1, exec_lo
	v_cmpx_gt_u32_e64 s0, v59
	s_cbranch_execz .LBB1360_348
.LBB1360_363:                           ;   in Loop: Header=BB1360_313 Depth=2
	v_cmp_gt_i32_e32 vcc_lo, 0, v5
	s_wait_alu 0xfffd
	v_cndmask_b32_e64 v19, 0x7fffffff, 0, vcc_lo
	s_delay_alu instid0(VALU_DEP_1) | instskip(NEXT) | instid1(VALU_DEP_1)
	v_xor_b32_e32 v19, v19, v5
	v_cmp_ne_u32_e32 vcc_lo, 0x80000000, v19
	s_wait_alu 0xfffd
	v_cndmask_b32_e32 v19, 0x7fffffff, v19, vcc_lo
	s_delay_alu instid0(VALU_DEP_1) | instskip(NEXT) | instid1(VALU_DEP_1)
	v_lshrrev_b32_e32 v19, s31, v19
	v_and_b32_e32 v19, s48, v19
	s_delay_alu instid0(VALU_DEP_1) | instskip(SKIP_3) | instid1(SALU_CYCLE_1)
	v_lshl_or_b32 v19, v19, 4, v62
	ds_add_u32 v19, v84
	s_wait_alu 0xfffe
	s_or_b32 exec_lo, exec_lo, s1
	s_mov_b32 s1, exec_lo
	v_cmpx_gt_u32_e64 s0, v60
	s_cbranch_execz .LBB1360_349
.LBB1360_364:                           ;   in Loop: Header=BB1360_313 Depth=2
	v_cmp_gt_i32_e32 vcc_lo, 0, v4
	s_wait_alu 0xfffd
	v_cndmask_b32_e64 v19, 0x7fffffff, 0, vcc_lo
	s_delay_alu instid0(VALU_DEP_1) | instskip(NEXT) | instid1(VALU_DEP_1)
	v_xor_b32_e32 v19, v19, v4
	v_cmp_ne_u32_e32 vcc_lo, 0x80000000, v19
	s_wait_alu 0xfffd
	v_cndmask_b32_e32 v19, 0x7fffffff, v19, vcc_lo
	s_delay_alu instid0(VALU_DEP_1) | instskip(NEXT) | instid1(VALU_DEP_1)
	v_lshrrev_b32_e32 v19, s31, v19
	v_and_b32_e32 v19, s48, v19
	s_delay_alu instid0(VALU_DEP_1)
	v_lshl_or_b32 v19, v19, 4, v62
	ds_add_u32 v19, v84
	s_wait_alu 0xfffe
	s_or_b32 exec_lo, exec_lo, s1
	v_cmp_gt_u32_e32 vcc_lo, s0, v61
	s_and_saveexec_b32 s0, vcc_lo
	s_cbranch_execz .LBB1360_312
.LBB1360_365:                           ;   in Loop: Header=BB1360_313 Depth=2
	v_cmp_gt_i32_e32 vcc_lo, 0, v2
	s_wait_alu 0xfffd
	v_cndmask_b32_e64 v19, 0x7fffffff, 0, vcc_lo
	s_delay_alu instid0(VALU_DEP_1) | instskip(NEXT) | instid1(VALU_DEP_1)
	v_xor_b32_e32 v19, v19, v2
	v_cmp_ne_u32_e32 vcc_lo, 0x80000000, v19
	s_wait_alu 0xfffd
	v_cndmask_b32_e32 v19, 0x7fffffff, v19, vcc_lo
	s_delay_alu instid0(VALU_DEP_1) | instskip(NEXT) | instid1(VALU_DEP_1)
	v_lshrrev_b32_e32 v19, s31, v19
	v_and_b32_e32 v19, s48, v19
	s_delay_alu instid0(VALU_DEP_1)
	v_lshl_or_b32 v19, v19, 4, v62
	ds_add_u32 v19, v84
	s_branch .LBB1360_312
.LBB1360_366:                           ;   in Loop: Header=BB1360_313 Depth=2
	global_load_b32 v18, v108, s[0:1]
	s_or_b32 exec_lo, exec_lo, s11
	s_delay_alu instid0(SALU_CYCLE_1)
	s_mov_b32 s11, exec_lo
	v_cmpx_gt_u32_e64 s9, v45
	s_cbranch_execz .LBB1360_318
.LBB1360_367:                           ;   in Loop: Header=BB1360_313 Depth=2
	global_load_b32 v17, v108, s[0:1] offset:1024
	s_wait_alu 0xfffe
	s_or_b32 exec_lo, exec_lo, s11
	s_delay_alu instid0(SALU_CYCLE_1)
	s_mov_b32 s11, exec_lo
	v_cmpx_gt_u32_e64 s9, v46
	s_cbranch_execz .LBB1360_319
.LBB1360_368:                           ;   in Loop: Header=BB1360_313 Depth=2
	global_load_b32 v16, v108, s[0:1] offset:2048
	s_wait_alu 0xfffe
	s_or_b32 exec_lo, exec_lo, s11
	s_delay_alu instid0(SALU_CYCLE_1)
	s_mov_b32 s11, exec_lo
	v_cmpx_gt_u32_e64 s9, v47
	s_cbranch_execz .LBB1360_320
.LBB1360_369:                           ;   in Loop: Header=BB1360_313 Depth=2
	global_load_b32 v15, v108, s[0:1] offset:3072
	s_wait_alu 0xfffe
	s_or_b32 exec_lo, exec_lo, s11
	s_delay_alu instid0(SALU_CYCLE_1)
	s_mov_b32 s11, exec_lo
	v_cmpx_gt_u32_e64 s9, v50
	s_cbranch_execz .LBB1360_321
.LBB1360_370:                           ;   in Loop: Header=BB1360_313 Depth=2
	global_load_b32 v14, v108, s[0:1] offset:4096
	s_wait_alu 0xfffe
	s_or_b32 exec_lo, exec_lo, s11
	s_delay_alu instid0(SALU_CYCLE_1)
	s_mov_b32 s11, exec_lo
	v_cmpx_gt_u32_e64 s9, v51
	s_cbranch_execz .LBB1360_322
.LBB1360_371:                           ;   in Loop: Header=BB1360_313 Depth=2
	global_load_b32 v13, v108, s[0:1] offset:5120
	s_wait_alu 0xfffe
	s_or_b32 exec_lo, exec_lo, s11
	s_delay_alu instid0(SALU_CYCLE_1)
	s_mov_b32 s11, exec_lo
	v_cmpx_gt_u32_e64 s9, v52
	s_cbranch_execz .LBB1360_323
.LBB1360_372:                           ;   in Loop: Header=BB1360_313 Depth=2
	global_load_b32 v12, v108, s[0:1] offset:6144
	s_wait_alu 0xfffe
	s_or_b32 exec_lo, exec_lo, s11
	s_delay_alu instid0(SALU_CYCLE_1)
	s_mov_b32 s11, exec_lo
	v_cmpx_gt_u32_e64 s9, v53
	s_cbranch_execz .LBB1360_324
.LBB1360_373:                           ;   in Loop: Header=BB1360_313 Depth=2
	global_load_b32 v11, v108, s[0:1] offset:7168
	s_wait_alu 0xfffe
	s_or_b32 exec_lo, exec_lo, s11
	s_delay_alu instid0(SALU_CYCLE_1)
	s_mov_b32 s11, exec_lo
	v_cmpx_gt_u32_e64 s9, v54
	s_cbranch_execz .LBB1360_325
.LBB1360_374:                           ;   in Loop: Header=BB1360_313 Depth=2
	global_load_b32 v10, v108, s[0:1] offset:8192
	s_wait_alu 0xfffe
	s_or_b32 exec_lo, exec_lo, s11
	s_delay_alu instid0(SALU_CYCLE_1)
	s_mov_b32 s11, exec_lo
	v_cmpx_gt_u32_e64 s9, v55
	s_cbranch_execz .LBB1360_326
.LBB1360_375:                           ;   in Loop: Header=BB1360_313 Depth=2
	global_load_b32 v9, v108, s[0:1] offset:9216
	s_wait_alu 0xfffe
	s_or_b32 exec_lo, exec_lo, s11
	s_delay_alu instid0(SALU_CYCLE_1)
	s_mov_b32 s11, exec_lo
	v_cmpx_gt_u32_e64 s9, v56
	s_cbranch_execz .LBB1360_327
.LBB1360_376:                           ;   in Loop: Header=BB1360_313 Depth=2
	global_load_b32 v8, v108, s[0:1] offset:10240
	s_wait_alu 0xfffe
	s_or_b32 exec_lo, exec_lo, s11
	s_delay_alu instid0(SALU_CYCLE_1)
	s_mov_b32 s11, exec_lo
	v_cmpx_gt_u32_e64 s9, v57
	s_cbranch_execz .LBB1360_328
.LBB1360_377:                           ;   in Loop: Header=BB1360_313 Depth=2
	global_load_b32 v7, v108, s[0:1] offset:11264
	s_wait_alu 0xfffe
	s_or_b32 exec_lo, exec_lo, s11
	s_delay_alu instid0(SALU_CYCLE_1)
	s_mov_b32 s11, exec_lo
	v_cmpx_gt_u32_e64 s9, v58
	s_cbranch_execz .LBB1360_329
.LBB1360_378:                           ;   in Loop: Header=BB1360_313 Depth=2
	global_load_b32 v6, v108, s[0:1] offset:12288
	s_wait_alu 0xfffe
	s_or_b32 exec_lo, exec_lo, s11
	s_delay_alu instid0(SALU_CYCLE_1)
	s_mov_b32 s11, exec_lo
	v_cmpx_gt_u32_e64 s9, v59
	s_cbranch_execz .LBB1360_330
.LBB1360_379:                           ;   in Loop: Header=BB1360_313 Depth=2
	global_load_b32 v5, v108, s[0:1] offset:13312
	s_wait_alu 0xfffe
	s_or_b32 exec_lo, exec_lo, s11
	s_delay_alu instid0(SALU_CYCLE_1)
	s_mov_b32 s11, exec_lo
	v_cmpx_gt_u32_e64 s9, v60
	s_cbranch_execz .LBB1360_331
.LBB1360_380:                           ;   in Loop: Header=BB1360_313 Depth=2
	global_load_b32 v4, v108, s[0:1] offset:14336
	s_wait_alu 0xfffe
	s_or_b32 exec_lo, exec_lo, s11
	s_delay_alu instid0(SALU_CYCLE_1)
	s_mov_b32 s11, exec_lo
	v_cmpx_gt_u32_e64 s9, v61
	s_cbranch_execnz .LBB1360_332
	s_branch .LBB1360_333
.LBB1360_381:                           ;   in Loop: Header=BB1360_17 Depth=1
	v_mov_b32_e32 v2, 0
	s_wait_dscnt 0x0
	s_barrier_signal -1
	s_barrier_wait -1
	global_inv scope:SCOPE_SE
	s_and_saveexec_b32 s0, s2
	s_cbranch_execz .LBB1360_383
; %bb.382:                              ;   in Loop: Header=BB1360_17 Depth=1
	ds_load_2addr_b64 v[4:7], v64 offset1:1
	s_wait_dscnt 0x0
	v_add_nc_u32_e32 v2, v5, v4
	s_delay_alu instid0(VALU_DEP_1)
	v_add3_u32 v2, v2, v6, v7
.LBB1360_383:                           ;   in Loop: Header=BB1360_17 Depth=1
	s_wait_alu 0xfffe
	s_or_b32 exec_lo, exec_lo, s0
	s_delay_alu instid0(VALU_DEP_1)
	v_mov_b32_dpp v4, v2 row_shr:1 row_mask:0xf bank_mask:0xf
	v_cmp_eq_u32_e64 s0, 0, v85
	v_cmp_lt_u32_e64 s1, 1, v85
	v_cmp_lt_u32_e64 s9, 3, v85
	;; [unrolled: 1-line block ×3, first 2 shown]
	v_cmp_eq_u32_e64 s11, 0, v87
	s_wait_alu 0xf1ff
	v_cndmask_b32_e64 v4, v4, 0, s0
	s_delay_alu instid0(VALU_DEP_1) | instskip(NEXT) | instid1(VALU_DEP_1)
	v_add_nc_u32_e32 v2, v4, v2
	v_mov_b32_dpp v4, v2 row_shr:2 row_mask:0xf bank_mask:0xf
	s_delay_alu instid0(VALU_DEP_1) | instskip(NEXT) | instid1(VALU_DEP_1)
	v_cndmask_b32_e64 v4, 0, v4, s1
	v_add_nc_u32_e32 v2, v2, v4
	s_delay_alu instid0(VALU_DEP_1) | instskip(NEXT) | instid1(VALU_DEP_1)
	v_mov_b32_dpp v4, v2 row_shr:4 row_mask:0xf bank_mask:0xf
	v_cndmask_b32_e64 v4, 0, v4, s9
	s_delay_alu instid0(VALU_DEP_1) | instskip(NEXT) | instid1(VALU_DEP_1)
	v_add_nc_u32_e32 v2, v2, v4
	v_mov_b32_dpp v4, v2 row_shr:8 row_mask:0xf bank_mask:0xf
	s_delay_alu instid0(VALU_DEP_1) | instskip(NEXT) | instid1(VALU_DEP_1)
	v_cndmask_b32_e64 v4, 0, v4, s10
	v_add_nc_u32_e32 v2, v2, v4
	ds_swizzle_b32 v4, v2 offset:swizzle(BROADCAST,32,15)
	s_wait_dscnt 0x0
	v_and_b32_e32 v4, v86, v4
	s_delay_alu instid0(VALU_DEP_1)
	v_add_nc_u32_e32 v2, v2, v4
	s_and_saveexec_b32 s12, s3
; %bb.384:                              ;   in Loop: Header=BB1360_17 Depth=1
	ds_store_b32 v65, v2
; %bb.385:                              ;   in Loop: Header=BB1360_17 Depth=1
	s_wait_alu 0xfffe
	s_or_b32 exec_lo, exec_lo, s12
	s_wait_loadcnt_dscnt 0x0
	s_barrier_signal -1
	s_barrier_wait -1
	global_inv scope:SCOPE_SE
	s_and_saveexec_b32 s12, s4
	s_cbranch_execz .LBB1360_387
; %bb.386:                              ;   in Loop: Header=BB1360_17 Depth=1
	ds_load_b32 v4, v66
	v_cmp_ne_u32_e32 vcc_lo, 0, v89
	s_wait_dscnt 0x0
	v_mov_b32_dpp v5, v4 row_shr:1 row_mask:0xf bank_mask:0xf
	s_wait_alu 0xfffd
	s_delay_alu instid0(VALU_DEP_1) | instskip(SKIP_1) | instid1(VALU_DEP_2)
	v_cndmask_b32_e32 v5, 0, v5, vcc_lo
	v_cmp_lt_u32_e32 vcc_lo, 1, v89
	v_add_nc_u32_e32 v4, v5, v4
	s_delay_alu instid0(VALU_DEP_1) | instskip(SKIP_1) | instid1(VALU_DEP_1)
	v_mov_b32_dpp v5, v4 row_shr:2 row_mask:0xf bank_mask:0xf
	s_wait_alu 0xfffd
	v_cndmask_b32_e32 v5, 0, v5, vcc_lo
	v_cmp_lt_u32_e32 vcc_lo, 3, v89
	s_delay_alu instid0(VALU_DEP_2) | instskip(NEXT) | instid1(VALU_DEP_1)
	v_add_nc_u32_e32 v4, v4, v5
	v_mov_b32_dpp v5, v4 row_shr:4 row_mask:0xf bank_mask:0xf
	s_wait_alu 0xfffd
	s_delay_alu instid0(VALU_DEP_1) | instskip(NEXT) | instid1(VALU_DEP_1)
	v_cndmask_b32_e32 v5, 0, v5, vcc_lo
	v_add_nc_u32_e32 v4, v4, v5
	ds_store_b32 v66, v4
.LBB1360_387:                           ;   in Loop: Header=BB1360_17 Depth=1
	s_wait_alu 0xfffe
	s_or_b32 exec_lo, exec_lo, s12
	v_mov_b32_e32 v4, 0
	s_wait_loadcnt_dscnt 0x0
	s_barrier_signal -1
	s_barrier_wait -1
	global_inv scope:SCOPE_SE
	s_and_saveexec_b32 s12, s5
; %bb.388:                              ;   in Loop: Header=BB1360_17 Depth=1
	ds_load_b32 v4, v68
; %bb.389:                              ;   in Loop: Header=BB1360_17 Depth=1
	s_wait_alu 0xfffe
	s_or_b32 exec_lo, exec_lo, s12
	v_cmp_gt_i32_e32 vcc_lo, 0, v90
	s_wait_loadcnt_dscnt 0x0
	s_barrier_signal -1
	s_barrier_wait -1
	global_inv scope:SCOPE_SE
	s_wait_alu 0xfffd
	v_dual_cndmask_b32 v5, v90, v81 :: v_dual_add_nc_u32 v2, v4, v2
	s_delay_alu instid0(VALU_DEP_1)
	v_lshlrev_b32_e32 v113, 2, v5
	ds_bpermute_b32 v2, v113, v2
	s_and_saveexec_b32 s12, s2
	s_cbranch_execz .LBB1360_391
; %bb.390:                              ;   in Loop: Header=BB1360_17 Depth=1
	s_wait_dscnt 0x0
	v_cndmask_b32_e64 v2, v2, v4, s8
	s_delay_alu instid0(VALU_DEP_1)
	v_add_nc_u32_e32 v2, s33, v2
	ds_store_b32 v44, v2
.LBB1360_391:                           ;   in Loop: Header=BB1360_17 Depth=1
	s_wait_alu 0xfffe
	s_or_b32 exec_lo, exec_lo, s12
	s_load_b64 s[12:13], s[34:35], 0x0
	v_add_co_u32 v114, vcc_lo, v73, v91
	s_wait_alu 0xfffd
	v_add_co_ci_u32_e64 v115, null, 0, v74, vcc_lo
	v_add_co_u32 v116, vcc_lo, v75, v107
	s_wait_alu 0xfffd
	v_add_co_ci_u32_e64 v117, null, 0, v76, vcc_lo
	s_mov_b32 s54, s53
                                        ; implicit-def: $vgpr6_vgpr7
                                        ; implicit-def: $vgpr8_vgpr9
                                        ; implicit-def: $vgpr10_vgpr11
                                        ; implicit-def: $vgpr12_vgpr13
                                        ; implicit-def: $vgpr14_vgpr15
                                        ; implicit-def: $vgpr16_vgpr17
                                        ; implicit-def: $vgpr18_vgpr19
                                        ; implicit-def: $vgpr20_vgpr21
                                        ; implicit-def: $vgpr22_vgpr23
                                        ; implicit-def: $vgpr24_vgpr25
                                        ; implicit-def: $vgpr26_vgpr27
                                        ; implicit-def: $vgpr28_vgpr29
                                        ; implicit-def: $vgpr30_vgpr31
                                        ; implicit-def: $vgpr32_vgpr33
                                        ; implicit-def: $vgpr34_vgpr35
                                        ; implicit-def: $vgpr119
                                        ; implicit-def: $vgpr120
                                        ; implicit-def: $vgpr121
                                        ; implicit-def: $vgpr122
                                        ; implicit-def: $vgpr123
                                        ; implicit-def: $vgpr124
                                        ; implicit-def: $vgpr125
                                        ; implicit-def: $vgpr126
                                        ; implicit-def: $vgpr127
                                        ; implicit-def: $vgpr128
                                        ; implicit-def: $vgpr129
                                        ; implicit-def: $vgpr130
                                        ; implicit-def: $vgpr131
                                        ; implicit-def: $vgpr132
                                        ; implicit-def: $vgpr133
                                        ; implicit-def: $vgpr134
	s_wait_kmcnt 0x0
	s_cmp_lt_u32 ttmp7, s13
	s_cselect_b32 s42, 14, 20
	s_cmp_lt_u32 ttmp9, s12
	s_wait_alu 0xfffe
	s_add_nc_u64 s[14:15], s[34:35], s[42:43]
	s_cselect_b32 s42, 12, 18
	s_load_u16 s14, s[14:15], 0x0
	s_add_nc_u64 s[12:13], s[34:35], s[42:43]
	s_mov_b32 s42, s33
	s_load_u16 s12, s[12:13], 0x0
	v_cmp_lt_u32_e64 s13, 1, v89
	s_wait_dscnt 0x0
	s_wait_kmcnt 0x0
	v_mad_u32_u24 v2, v69, s14, v0
	v_cmp_lt_u32_e64 s14, 3, v89
	s_delay_alu instid0(VALU_DEP_2) | instskip(SKIP_1) | instid1(VALU_DEP_2)
	v_mad_co_u64_u32 v[4:5], null, v2, s12, v[1:2]
	v_cmp_eq_u32_e64 s12, 0, v89
	v_lshrrev_b32_e32 v2, 3, v4
                                        ; implicit-def: $vgpr4_vgpr5
	s_delay_alu instid0(VALU_DEP_1)
	v_and_b32_e32 v118, 0x1ffffffc, v2
	s_branch .LBB1360_393
.LBB1360_392:                           ;   in Loop: Header=BB1360_393 Depth=2
	s_wait_alu 0xfffe
	s_or_b32 exec_lo, exec_lo, s15
	s_addk_co_i32 s54, 0xf000
	s_cmp_lt_u32 s55, s51
	s_mov_b32 s42, s55
	s_cbranch_scc0 .LBB1360_601
.LBB1360_393:                           ;   Parent Loop BB1360_17 Depth=1
                                        ; =>  This Inner Loop Header: Depth=2
	s_wait_alu 0xfffe
	s_add_co_i32 s55, s42, 0x1000
	s_wait_alu 0xfffe
	s_cmp_gt_u32 s55, s51
	s_cbranch_scc1 .LBB1360_395
; %bb.394:                              ;   in Loop: Header=BB1360_393 Depth=2
	s_lshl_b64 s[16:17], s[42:43], 2
	s_mov_b32 s15, -1
	s_wait_alu 0xfffe
	v_add_co_u32 v36, vcc_lo, v116, s16
	s_wait_alu 0xfffd
	v_add_co_ci_u32_e64 v37, null, s17, v117, vcc_lo
	s_clause 0xe
	global_load_b32 v2, v[36:37], off
	global_load_b32 v136, v[36:37], off offset:128
	global_load_b32 v143, v[36:37], off offset:256
	global_load_b32 v147, v[36:37], off offset:384
	global_load_b32 v151, v[36:37], off offset:512
	global_load_b32 v155, v[36:37], off offset:640
	global_load_b32 v159, v[36:37], off offset:768
	global_load_b32 v163, v[36:37], off offset:896
	global_load_b32 v166, v[36:37], off offset:1024
	global_load_b32 v43, v[36:37], off offset:1152
	global_load_b32 v42, v[36:37], off offset:1280
	global_load_b32 v41, v[36:37], off offset:1408
	global_load_b32 v40, v[36:37], off offset:1536
	global_load_b32 v39, v[36:37], off offset:1664
	global_load_b32 v38, v[36:37], off offset:1792
	s_movk_i32 s16, 0x1000
	s_cbranch_execz .LBB1360_396
	s_branch .LBB1360_427
.LBB1360_395:                           ;   in Loop: Header=BB1360_393 Depth=2
	s_mov_b32 s15, 0
                                        ; implicit-def: $vgpr2
                                        ; implicit-def: $vgpr136
                                        ; implicit-def: $vgpr143
                                        ; implicit-def: $vgpr147
                                        ; implicit-def: $vgpr151
                                        ; implicit-def: $vgpr155
                                        ; implicit-def: $vgpr159
                                        ; implicit-def: $vgpr163
                                        ; implicit-def: $vgpr166
                                        ; implicit-def: $vgpr43
                                        ; implicit-def: $vgpr42
                                        ; implicit-def: $vgpr41
                                        ; implicit-def: $vgpr40
                                        ; implicit-def: $vgpr39
                                        ; implicit-def: $vgpr38
	s_movk_i32 s16, 0x1000
.LBB1360_396:                           ;   in Loop: Header=BB1360_393 Depth=2
	s_lshl_b64 s[16:17], s[42:43], 2
	s_wait_loadcnt 0xd
	v_mov_b32_e32 v136, -1
	s_wait_alu 0xfffe
	v_add_co_u32 v36, vcc_lo, v116, s16
	s_wait_alu 0xfffd
	v_add_co_ci_u32_e64 v37, null, s17, v117, vcc_lo
	v_mov_b32_e32 v2, -1
	s_mov_b32 s15, exec_lo
	v_cmpx_gt_u32_e64 s54, v88
	s_cbranch_execz .LBB1360_398
; %bb.397:                              ;   in Loop: Header=BB1360_393 Depth=2
	global_load_b32 v2, v[36:37], off
.LBB1360_398:                           ;   in Loop: Header=BB1360_393 Depth=2
	s_wait_alu 0xfffe
	s_or_b32 exec_lo, exec_lo, s15
	s_delay_alu instid0(SALU_CYCLE_1)
	s_mov_b32 s15, exec_lo
	v_cmpx_gt_u32_e64 s54, v92
	s_cbranch_execz .LBB1360_400
; %bb.399:                              ;   in Loop: Header=BB1360_393 Depth=2
	global_load_b32 v136, v[36:37], off offset:128
.LBB1360_400:                           ;   in Loop: Header=BB1360_393 Depth=2
	s_wait_alu 0xfffe
	s_or_b32 exec_lo, exec_lo, s15
	s_wait_loadcnt 0xb
	v_mov_b32_e32 v147, -1
	v_mov_b32_e32 v143, -1
	s_mov_b32 s15, exec_lo
	v_cmpx_gt_u32_e64 s54, v93
	s_cbranch_execz .LBB1360_402
; %bb.401:                              ;   in Loop: Header=BB1360_393 Depth=2
	global_load_b32 v143, v[36:37], off offset:256
.LBB1360_402:                           ;   in Loop: Header=BB1360_393 Depth=2
	s_wait_alu 0xfffe
	s_or_b32 exec_lo, exec_lo, s15
	s_delay_alu instid0(SALU_CYCLE_1)
	s_mov_b32 s15, exec_lo
	v_cmpx_gt_u32_e64 s54, v94
	s_cbranch_execz .LBB1360_404
; %bb.403:                              ;   in Loop: Header=BB1360_393 Depth=2
	global_load_b32 v147, v[36:37], off offset:384
.LBB1360_404:                           ;   in Loop: Header=BB1360_393 Depth=2
	s_wait_alu 0xfffe
	s_or_b32 exec_lo, exec_lo, s15
	s_wait_loadcnt 0x9
	v_mov_b32_e32 v155, -1
	v_mov_b32_e32 v151, -1
	s_mov_b32 s15, exec_lo
	v_cmpx_gt_u32_e64 s54, v95
	s_cbranch_execz .LBB1360_406
; %bb.405:                              ;   in Loop: Header=BB1360_393 Depth=2
	global_load_b32 v151, v[36:37], off offset:512
.LBB1360_406:                           ;   in Loop: Header=BB1360_393 Depth=2
	;; [unrolled: 20-line block ×3, first 2 shown]
	s_wait_alu 0xfffe
	s_or_b32 exec_lo, exec_lo, s15
	s_delay_alu instid0(SALU_CYCLE_1)
	s_mov_b32 s15, exec_lo
	v_cmpx_gt_u32_e64 s54, v98
	s_cbranch_execz .LBB1360_412
; %bb.411:                              ;   in Loop: Header=BB1360_393 Depth=2
	global_load_b32 v163, v[36:37], off offset:896
.LBB1360_412:                           ;   in Loop: Header=BB1360_393 Depth=2
	s_wait_alu 0xfffe
	s_or_b32 exec_lo, exec_lo, s15
	s_wait_loadcnt 0x5
	v_dual_mov_b32 v43, -1 :: v_dual_mov_b32 v166, -1
	s_mov_b32 s15, exec_lo
	v_cmpx_gt_u32_e64 s54, v99
	s_cbranch_execz .LBB1360_414
; %bb.413:                              ;   in Loop: Header=BB1360_393 Depth=2
	global_load_b32 v166, v[36:37], off offset:1024
.LBB1360_414:                           ;   in Loop: Header=BB1360_393 Depth=2
	s_wait_alu 0xfffe
	s_or_b32 exec_lo, exec_lo, s15
	s_delay_alu instid0(SALU_CYCLE_1)
	s_mov_b32 s15, exec_lo
	v_cmpx_gt_u32_e64 s54, v100
	s_cbranch_execz .LBB1360_416
; %bb.415:                              ;   in Loop: Header=BB1360_393 Depth=2
	global_load_b32 v43, v[36:37], off offset:1152
.LBB1360_416:                           ;   in Loop: Header=BB1360_393 Depth=2
	s_wait_alu 0xfffe
	s_or_b32 exec_lo, exec_lo, s15
	s_wait_loadcnt 0x3
	v_dual_mov_b32 v41, -1 :: v_dual_mov_b32 v42, -1
	s_mov_b32 s15, exec_lo
	v_cmpx_gt_u32_e64 s54, v101
	s_cbranch_execz .LBB1360_418
; %bb.417:                              ;   in Loop: Header=BB1360_393 Depth=2
	global_load_b32 v42, v[36:37], off offset:1280
.LBB1360_418:                           ;   in Loop: Header=BB1360_393 Depth=2
	;; [unrolled: 19-line block ×3, first 2 shown]
	s_wait_alu 0xfffe
	s_or_b32 exec_lo, exec_lo, s15
	s_delay_alu instid0(SALU_CYCLE_1)
	s_mov_b32 s15, exec_lo
	v_cmpx_gt_u32_e64 s54, v104
	s_cbranch_execz .LBB1360_424
; %bb.423:                              ;   in Loop: Header=BB1360_393 Depth=2
	global_load_b32 v39, v[36:37], off offset:1664
.LBB1360_424:                           ;   in Loop: Header=BB1360_393 Depth=2
	s_wait_alu 0xfffe
	s_or_b32 exec_lo, exec_lo, s15
	s_wait_loadcnt 0x0
	v_mov_b32_e32 v38, -1
	s_mov_b32 s15, exec_lo
	v_cmpx_gt_u32_e64 s54, v105
	s_cbranch_execz .LBB1360_426
; %bb.425:                              ;   in Loop: Header=BB1360_393 Depth=2
	global_load_b32 v38, v[36:37], off offset:1792
.LBB1360_426:                           ;   in Loop: Header=BB1360_393 Depth=2
	s_wait_alu 0xfffe
	s_or_b32 exec_lo, exec_lo, s15
	v_cmp_gt_u32_e64 s15, s54, v106
	s_sub_co_i32 s16, s51, s42
.LBB1360_427:                           ;   in Loop: Header=BB1360_393 Depth=2
	v_dual_mov_b32 v36, -1 :: v_dual_mov_b32 v135, s54
	s_and_saveexec_b32 s17, s15
	s_cbranch_execz .LBB1360_429
; %bb.428:                              ;   in Loop: Header=BB1360_393 Depth=2
	s_lshl_b64 s[18:19], s[42:43], 2
	s_wait_alu 0xfffe
	v_mov_b32_e32 v135, s16
	v_add_co_u32 v36, vcc_lo, v116, s18
	s_wait_alu 0xfffd
	v_add_co_ci_u32_e64 v37, null, s19, v117, vcc_lo
	global_load_b32 v36, v[36:37], off offset:1920
.LBB1360_429:                           ;   in Loop: Header=BB1360_393 Depth=2
	s_wait_alu 0xfffe
	s_or_b32 exec_lo, exec_lo, s17
	s_wait_loadcnt 0xe
	v_cmp_gt_i32_e32 vcc_lo, 0, v2
	s_wait_alu 0xfffd
	v_cndmask_b32_e64 v37, 0x7fffffff, 0, vcc_lo
	s_delay_alu instid0(VALU_DEP_1) | instskip(NEXT) | instid1(VALU_DEP_1)
	v_xor_b32_e32 v2, v37, v2
	v_cmp_ne_u32_e32 vcc_lo, 0x80000000, v2
	s_wait_alu 0xfffd
	v_cndmask_b32_e32 v37, 0x7fffffff, v2, vcc_lo
	s_delay_alu instid0(VALU_DEP_1) | instskip(NEXT) | instid1(VALU_DEP_1)
	v_lshrrev_b32_e32 v37, s31, v37
	v_and_b32_e32 v142, s48, v37
	s_delay_alu instid0(VALU_DEP_1)
	v_and_b32_e32 v37, 1, v142
	v_lshlrev_b32_e32 v137, 30, v142
	v_lshlrev_b32_e32 v138, 29, v142
	v_lshlrev_b32_e32 v139, 28, v142
	v_lshlrev_b32_e32 v141, 27, v142
	v_add_co_u32 v37, s15, v37, -1
	s_wait_alu 0xf1ff
	v_cndmask_b32_e64 v140, 0, 1, s15
	v_not_b32_e32 v146, v137
	v_cmp_gt_i32_e64 s15, 0, v137
	v_not_b32_e32 v137, v138
	v_lshlrev_b32_e32 v144, 26, v142
	v_cmp_ne_u32_e32 vcc_lo, 0, v140
	v_ashrrev_i32_e32 v146, 31, v146
	v_lshlrev_b32_e32 v145, 25, v142
	v_ashrrev_i32_e32 v137, 31, v137
	v_lshlrev_b32_e32 v140, 24, v142
	s_wait_alu 0xfffd
	v_xor_b32_e32 v37, vcc_lo, v37
	v_cmp_gt_i32_e32 vcc_lo, 0, v138
	v_not_b32_e32 v138, v139
	s_wait_alu 0xf1ff
	v_xor_b32_e32 v146, s15, v146
	v_cmp_gt_i32_e64 s15, 0, v139
	v_and_b32_e32 v37, exec_lo, v37
	v_not_b32_e32 v139, v141
	v_ashrrev_i32_e32 v138, 31, v138
	s_wait_alu 0xfffd
	v_xor_b32_e32 v137, vcc_lo, v137
	v_cmp_gt_i32_e32 vcc_lo, 0, v141
	v_and_b32_e32 v37, v37, v146
	v_not_b32_e32 v141, v144
	v_ashrrev_i32_e32 v139, 31, v139
	s_wait_alu 0xf1ff
	v_xor_b32_e32 v138, s15, v138
	v_cmp_gt_i32_e64 s15, 0, v144
	v_and_b32_e32 v37, v37, v137
	v_not_b32_e32 v137, v145
	v_ashrrev_i32_e32 v141, 31, v141
	s_wait_alu 0xfffd
	v_xor_b32_e32 v139, vcc_lo, v139
	v_cmp_gt_i32_e32 vcc_lo, 0, v145
	v_and_b32_e32 v37, v37, v138
	v_not_b32_e32 v138, v140
	v_ashrrev_i32_e32 v137, 31, v137
	s_wait_alu 0xf1ff
	v_xor_b32_e32 v141, s15, v141
	v_cmp_gt_i32_e64 s15, 0, v140
	v_and_b32_e32 v37, v37, v139
	v_ashrrev_i32_e32 v138, 31, v138
	s_wait_alu 0xfffd
	v_xor_b32_e32 v137, vcc_lo, v137
	v_mul_u32_u24_e32 v142, 36, v142
	v_add_nc_u32_e32 v140, 0x428, v67
	v_and_b32_e32 v37, v37, v141
	s_wait_alu 0xf1ff
	v_xor_b32_e32 v139, s15, v138
	v_add_nc_u32_e32 v138, 0x438, v67
	v_add_nc_u32_e32 v141, 0x430, v67
	;; [unrolled: 1-line block ×3, first 2 shown]
	v_and_b32_e32 v37, v37, v137
	ds_store_2addr_b32 v138, v3, v3 offset1:1
	v_and_b32_e32 v37, v37, v139
	v_add_nc_u32_e32 v139, 0x420, v67
	ds_store_2addr_b32 v139, v3, v3 offset1:1
	ds_store_2addr_b32 v140, v3, v3 offset1:1
	;; [unrolled: 1-line block ×3, first 2 shown]
	ds_store_b32 v67, v3 offset:1088
	v_mbcnt_lo_u32_b32 v137, v37, 0
	v_cmp_ne_u32_e64 s15, 0, v37
	s_wait_loadcnt_dscnt 0x0
	s_barrier_signal -1
	s_barrier_wait -1
	v_cmp_eq_u32_e32 vcc_lo, 0, v137
	global_inv scope:SCOPE_SE
	; wave barrier
	s_and_b32 s16, s15, vcc_lo
	s_wait_alu 0xfffe
	s_and_saveexec_b32 s15, s16
; %bb.430:                              ;   in Loop: Header=BB1360_393 Depth=2
	v_bcnt_u32_b32 v37, v37, 0
	ds_store_b32 v142, v37 offset:1056
; %bb.431:                              ;   in Loop: Header=BB1360_393 Depth=2
	s_wait_alu 0xfffe
	s_or_b32 exec_lo, exec_lo, s15
	v_cmp_gt_i32_e32 vcc_lo, 0, v136
	; wave barrier
	s_wait_alu 0xfffd
	v_cndmask_b32_e64 v37, 0x7fffffff, 0, vcc_lo
	s_delay_alu instid0(VALU_DEP_1) | instskip(NEXT) | instid1(VALU_DEP_1)
	v_xor_b32_e32 v136, v37, v136
	v_cmp_ne_u32_e32 vcc_lo, 0x80000000, v136
	s_wait_alu 0xfffd
	v_cndmask_b32_e32 v37, 0x7fffffff, v136, vcc_lo
	s_delay_alu instid0(VALU_DEP_1) | instskip(NEXT) | instid1(VALU_DEP_1)
	v_lshrrev_b32_e32 v37, s31, v37
	v_and_b32_e32 v146, s48, v37
	s_delay_alu instid0(VALU_DEP_1)
	v_and_b32_e32 v37, 1, v146
	v_lshlrev_b32_e32 v144, 30, v146
	v_lshlrev_b32_e32 v145, 29, v146
	;; [unrolled: 1-line block ×4, first 2 shown]
	v_add_co_u32 v37, s15, v37, -1
	s_wait_alu 0xf1ff
	v_cndmask_b32_e64 v149, 0, 1, s15
	v_not_b32_e32 v154, v144
	v_cmp_gt_i32_e64 s15, 0, v144
	v_not_b32_e32 v144, v145
	v_lshlrev_b32_e32 v152, 26, v146
	v_cmp_ne_u32_e32 vcc_lo, 0, v149
	v_ashrrev_i32_e32 v154, 31, v154
	v_lshlrev_b32_e32 v153, 25, v146
	v_ashrrev_i32_e32 v144, 31, v144
	v_lshlrev_b32_e32 v149, 24, v146
	s_wait_alu 0xfffd
	v_xor_b32_e32 v37, vcc_lo, v37
	v_cmp_gt_i32_e32 vcc_lo, 0, v145
	v_not_b32_e32 v145, v148
	s_wait_alu 0xf1ff
	v_xor_b32_e32 v154, s15, v154
	v_cmp_gt_i32_e64 s15, 0, v148
	v_and_b32_e32 v37, exec_lo, v37
	v_not_b32_e32 v148, v150
	v_ashrrev_i32_e32 v145, 31, v145
	s_wait_alu 0xfffd
	v_xor_b32_e32 v144, vcc_lo, v144
	v_cmp_gt_i32_e32 vcc_lo, 0, v150
	v_and_b32_e32 v37, v37, v154
	v_not_b32_e32 v150, v152
	v_ashrrev_i32_e32 v148, 31, v148
	s_wait_alu 0xf1ff
	v_xor_b32_e32 v145, s15, v145
	v_cmp_gt_i32_e64 s15, 0, v152
	v_and_b32_e32 v37, v37, v144
	v_not_b32_e32 v144, v153
	v_ashrrev_i32_e32 v150, 31, v150
	s_wait_alu 0xfffd
	v_xor_b32_e32 v148, vcc_lo, v148
	v_cmp_gt_i32_e32 vcc_lo, 0, v153
	v_and_b32_e32 v37, v37, v145
	v_not_b32_e32 v145, v149
	v_ashrrev_i32_e32 v144, 31, v144
	s_wait_alu 0xf1ff
	v_xor_b32_e32 v150, s15, v150
	v_cmp_gt_i32_e64 s15, 0, v149
	v_and_b32_e32 v37, v37, v148
	v_ashrrev_i32_e32 v145, 31, v145
	s_wait_alu 0xfffd
	v_xor_b32_e32 v144, vcc_lo, v144
	v_mad_u32_u24 v148, v146, 36, v118
	v_mul_u32_u24_e32 v146, 36, v146
	v_and_b32_e32 v37, v37, v150
	s_wait_alu 0xf1ff
	v_xor_b32_e32 v145, s15, v145
	s_delay_alu instid0(VALU_DEP_3) | instskip(NEXT) | instid1(VALU_DEP_3)
	v_add_nc_u32_e32 v146, v118, v146
	v_and_b32_e32 v37, v37, v144
	ds_load_b32 v144, v148 offset:1056
	; wave barrier
	v_and_b32_e32 v37, v37, v145
	s_delay_alu instid0(VALU_DEP_1) | instskip(SKIP_1) | instid1(VALU_DEP_2)
	v_mbcnt_lo_u32_b32 v145, v37, 0
	v_cmp_ne_u32_e64 s15, 0, v37
	v_cmp_eq_u32_e32 vcc_lo, 0, v145
	s_and_b32 s16, s15, vcc_lo
	s_wait_alu 0xfffe
	s_and_saveexec_b32 s15, s16
	s_cbranch_execz .LBB1360_433
; %bb.432:                              ;   in Loop: Header=BB1360_393 Depth=2
	s_wait_dscnt 0x0
	v_bcnt_u32_b32 v37, v37, v144
	ds_store_b32 v146, v37 offset:1056
.LBB1360_433:                           ;   in Loop: Header=BB1360_393 Depth=2
	s_wait_alu 0xfffe
	s_or_b32 exec_lo, exec_lo, s15
	v_cmp_gt_i32_e32 vcc_lo, 0, v143
	; wave barrier
	s_wait_alu 0xfffd
	v_cndmask_b32_e64 v37, 0x7fffffff, 0, vcc_lo
	s_delay_alu instid0(VALU_DEP_1) | instskip(NEXT) | instid1(VALU_DEP_1)
	v_xor_b32_e32 v143, v37, v143
	v_cmp_ne_u32_e32 vcc_lo, 0x80000000, v143
	s_wait_alu 0xfffd
	v_cndmask_b32_e32 v37, 0x7fffffff, v143, vcc_lo
	s_delay_alu instid0(VALU_DEP_1) | instskip(NEXT) | instid1(VALU_DEP_1)
	v_lshrrev_b32_e32 v37, s31, v37
	v_and_b32_e32 v150, s48, v37
	s_delay_alu instid0(VALU_DEP_1)
	v_and_b32_e32 v37, 1, v150
	v_lshlrev_b32_e32 v148, 30, v150
	v_lshlrev_b32_e32 v149, 29, v150
	;; [unrolled: 1-line block ×4, first 2 shown]
	v_add_co_u32 v37, s15, v37, -1
	s_wait_alu 0xf1ff
	v_cndmask_b32_e64 v153, 0, 1, s15
	v_not_b32_e32 v158, v148
	v_cmp_gt_i32_e64 s15, 0, v148
	v_not_b32_e32 v148, v149
	v_lshlrev_b32_e32 v156, 26, v150
	v_cmp_ne_u32_e32 vcc_lo, 0, v153
	v_ashrrev_i32_e32 v158, 31, v158
	v_lshlrev_b32_e32 v157, 25, v150
	v_ashrrev_i32_e32 v148, 31, v148
	v_lshlrev_b32_e32 v153, 24, v150
	s_wait_alu 0xfffd
	v_xor_b32_e32 v37, vcc_lo, v37
	v_cmp_gt_i32_e32 vcc_lo, 0, v149
	v_not_b32_e32 v149, v152
	s_wait_alu 0xf1ff
	v_xor_b32_e32 v158, s15, v158
	v_cmp_gt_i32_e64 s15, 0, v152
	v_and_b32_e32 v37, exec_lo, v37
	v_not_b32_e32 v152, v154
	v_ashrrev_i32_e32 v149, 31, v149
	s_wait_alu 0xfffd
	v_xor_b32_e32 v148, vcc_lo, v148
	v_cmp_gt_i32_e32 vcc_lo, 0, v154
	v_and_b32_e32 v37, v37, v158
	v_not_b32_e32 v154, v156
	v_ashrrev_i32_e32 v152, 31, v152
	s_wait_alu 0xf1ff
	v_xor_b32_e32 v149, s15, v149
	v_cmp_gt_i32_e64 s15, 0, v156
	v_and_b32_e32 v37, v37, v148
	v_not_b32_e32 v148, v157
	v_ashrrev_i32_e32 v154, 31, v154
	s_wait_alu 0xfffd
	v_xor_b32_e32 v152, vcc_lo, v152
	v_cmp_gt_i32_e32 vcc_lo, 0, v157
	v_and_b32_e32 v37, v37, v149
	v_not_b32_e32 v149, v153
	v_ashrrev_i32_e32 v148, 31, v148
	s_wait_alu 0xf1ff
	v_xor_b32_e32 v154, s15, v154
	v_cmp_gt_i32_e64 s15, 0, v153
	v_and_b32_e32 v37, v37, v152
	v_ashrrev_i32_e32 v149, 31, v149
	s_wait_alu 0xfffd
	v_xor_b32_e32 v148, vcc_lo, v148
	v_mad_u32_u24 v152, v150, 36, v118
	v_mul_u32_u24_e32 v150, 36, v150
	v_and_b32_e32 v37, v37, v154
	s_wait_alu 0xf1ff
	v_xor_b32_e32 v149, s15, v149
	s_delay_alu instid0(VALU_DEP_3) | instskip(NEXT) | instid1(VALU_DEP_3)
	v_add_nc_u32_e32 v150, v118, v150
	v_and_b32_e32 v37, v37, v148
	ds_load_b32 v148, v152 offset:1056
	; wave barrier
	v_and_b32_e32 v37, v37, v149
	s_delay_alu instid0(VALU_DEP_1) | instskip(SKIP_1) | instid1(VALU_DEP_2)
	v_mbcnt_lo_u32_b32 v149, v37, 0
	v_cmp_ne_u32_e64 s15, 0, v37
	v_cmp_eq_u32_e32 vcc_lo, 0, v149
	s_and_b32 s16, s15, vcc_lo
	s_wait_alu 0xfffe
	s_and_saveexec_b32 s15, s16
	s_cbranch_execz .LBB1360_435
; %bb.434:                              ;   in Loop: Header=BB1360_393 Depth=2
	s_wait_dscnt 0x0
	v_bcnt_u32_b32 v37, v37, v148
	ds_store_b32 v150, v37 offset:1056
.LBB1360_435:                           ;   in Loop: Header=BB1360_393 Depth=2
	s_wait_alu 0xfffe
	s_or_b32 exec_lo, exec_lo, s15
	v_cmp_gt_i32_e32 vcc_lo, 0, v147
	; wave barrier
	s_wait_alu 0xfffd
	v_cndmask_b32_e64 v37, 0x7fffffff, 0, vcc_lo
	s_delay_alu instid0(VALU_DEP_1) | instskip(NEXT) | instid1(VALU_DEP_1)
	v_xor_b32_e32 v147, v37, v147
	v_cmp_ne_u32_e32 vcc_lo, 0x80000000, v147
	s_wait_alu 0xfffd
	v_cndmask_b32_e32 v37, 0x7fffffff, v147, vcc_lo
	s_delay_alu instid0(VALU_DEP_1) | instskip(NEXT) | instid1(VALU_DEP_1)
	v_lshrrev_b32_e32 v37, s31, v37
	v_and_b32_e32 v154, s48, v37
	s_delay_alu instid0(VALU_DEP_1)
	v_and_b32_e32 v37, 1, v154
	v_lshlrev_b32_e32 v152, 30, v154
	v_lshlrev_b32_e32 v153, 29, v154
	;; [unrolled: 1-line block ×4, first 2 shown]
	v_add_co_u32 v37, s15, v37, -1
	s_wait_alu 0xf1ff
	v_cndmask_b32_e64 v157, 0, 1, s15
	v_not_b32_e32 v162, v152
	v_cmp_gt_i32_e64 s15, 0, v152
	v_not_b32_e32 v152, v153
	v_lshlrev_b32_e32 v160, 26, v154
	v_cmp_ne_u32_e32 vcc_lo, 0, v157
	v_ashrrev_i32_e32 v162, 31, v162
	v_lshlrev_b32_e32 v161, 25, v154
	v_ashrrev_i32_e32 v152, 31, v152
	v_lshlrev_b32_e32 v157, 24, v154
	s_wait_alu 0xfffd
	v_xor_b32_e32 v37, vcc_lo, v37
	v_cmp_gt_i32_e32 vcc_lo, 0, v153
	v_not_b32_e32 v153, v156
	s_wait_alu 0xf1ff
	v_xor_b32_e32 v162, s15, v162
	v_cmp_gt_i32_e64 s15, 0, v156
	v_and_b32_e32 v37, exec_lo, v37
	v_not_b32_e32 v156, v158
	v_ashrrev_i32_e32 v153, 31, v153
	s_wait_alu 0xfffd
	v_xor_b32_e32 v152, vcc_lo, v152
	v_cmp_gt_i32_e32 vcc_lo, 0, v158
	v_and_b32_e32 v37, v37, v162
	v_not_b32_e32 v158, v160
	v_ashrrev_i32_e32 v156, 31, v156
	s_wait_alu 0xf1ff
	v_xor_b32_e32 v153, s15, v153
	v_cmp_gt_i32_e64 s15, 0, v160
	v_and_b32_e32 v37, v37, v152
	v_not_b32_e32 v152, v161
	v_ashrrev_i32_e32 v158, 31, v158
	s_wait_alu 0xfffd
	v_xor_b32_e32 v156, vcc_lo, v156
	v_cmp_gt_i32_e32 vcc_lo, 0, v161
	v_and_b32_e32 v37, v37, v153
	v_not_b32_e32 v153, v157
	v_ashrrev_i32_e32 v152, 31, v152
	s_wait_alu 0xf1ff
	v_xor_b32_e32 v158, s15, v158
	v_cmp_gt_i32_e64 s15, 0, v157
	v_and_b32_e32 v37, v37, v156
	v_ashrrev_i32_e32 v153, 31, v153
	s_wait_alu 0xfffd
	v_xor_b32_e32 v152, vcc_lo, v152
	v_mad_u32_u24 v156, v154, 36, v118
	v_mul_u32_u24_e32 v154, 36, v154
	v_and_b32_e32 v37, v37, v158
	s_wait_alu 0xf1ff
	v_xor_b32_e32 v153, s15, v153
	s_delay_alu instid0(VALU_DEP_3) | instskip(NEXT) | instid1(VALU_DEP_3)
	v_add_nc_u32_e32 v154, v118, v154
	v_and_b32_e32 v37, v37, v152
	ds_load_b32 v152, v156 offset:1056
	; wave barrier
	v_and_b32_e32 v37, v37, v153
	s_delay_alu instid0(VALU_DEP_1) | instskip(SKIP_1) | instid1(VALU_DEP_2)
	v_mbcnt_lo_u32_b32 v153, v37, 0
	v_cmp_ne_u32_e64 s15, 0, v37
	v_cmp_eq_u32_e32 vcc_lo, 0, v153
	s_and_b32 s16, s15, vcc_lo
	s_wait_alu 0xfffe
	s_and_saveexec_b32 s15, s16
	s_cbranch_execz .LBB1360_437
; %bb.436:                              ;   in Loop: Header=BB1360_393 Depth=2
	s_wait_dscnt 0x0
	v_bcnt_u32_b32 v37, v37, v152
	ds_store_b32 v154, v37 offset:1056
.LBB1360_437:                           ;   in Loop: Header=BB1360_393 Depth=2
	s_wait_alu 0xfffe
	s_or_b32 exec_lo, exec_lo, s15
	v_cmp_gt_i32_e32 vcc_lo, 0, v151
	; wave barrier
	s_wait_alu 0xfffd
	v_cndmask_b32_e64 v37, 0x7fffffff, 0, vcc_lo
	s_delay_alu instid0(VALU_DEP_1) | instskip(NEXT) | instid1(VALU_DEP_1)
	v_xor_b32_e32 v151, v37, v151
	v_cmp_ne_u32_e32 vcc_lo, 0x80000000, v151
	s_wait_alu 0xfffd
	v_cndmask_b32_e32 v37, 0x7fffffff, v151, vcc_lo
	s_delay_alu instid0(VALU_DEP_1) | instskip(NEXT) | instid1(VALU_DEP_1)
	v_lshrrev_b32_e32 v37, s31, v37
	v_and_b32_e32 v158, s48, v37
	s_delay_alu instid0(VALU_DEP_1)
	v_and_b32_e32 v37, 1, v158
	v_lshlrev_b32_e32 v156, 30, v158
	v_lshlrev_b32_e32 v157, 29, v158
	;; [unrolled: 1-line block ×4, first 2 shown]
	v_add_co_u32 v37, s15, v37, -1
	s_wait_alu 0xf1ff
	v_cndmask_b32_e64 v161, 0, 1, s15
	v_not_b32_e32 v167, v156
	v_cmp_gt_i32_e64 s15, 0, v156
	v_not_b32_e32 v156, v157
	v_lshlrev_b32_e32 v164, 26, v158
	v_cmp_ne_u32_e32 vcc_lo, 0, v161
	v_ashrrev_i32_e32 v167, 31, v167
	v_lshlrev_b32_e32 v165, 25, v158
	v_ashrrev_i32_e32 v156, 31, v156
	v_lshlrev_b32_e32 v161, 24, v158
	s_wait_alu 0xfffd
	v_xor_b32_e32 v37, vcc_lo, v37
	v_cmp_gt_i32_e32 vcc_lo, 0, v157
	v_not_b32_e32 v157, v160
	s_wait_alu 0xf1ff
	v_xor_b32_e32 v167, s15, v167
	v_cmp_gt_i32_e64 s15, 0, v160
	v_and_b32_e32 v37, exec_lo, v37
	v_not_b32_e32 v160, v162
	v_ashrrev_i32_e32 v157, 31, v157
	s_wait_alu 0xfffd
	v_xor_b32_e32 v156, vcc_lo, v156
	v_cmp_gt_i32_e32 vcc_lo, 0, v162
	v_and_b32_e32 v37, v37, v167
	v_not_b32_e32 v162, v164
	v_ashrrev_i32_e32 v160, 31, v160
	s_wait_alu 0xf1ff
	v_xor_b32_e32 v157, s15, v157
	v_cmp_gt_i32_e64 s15, 0, v164
	v_and_b32_e32 v37, v37, v156
	v_not_b32_e32 v156, v165
	v_ashrrev_i32_e32 v162, 31, v162
	s_wait_alu 0xfffd
	v_xor_b32_e32 v160, vcc_lo, v160
	v_cmp_gt_i32_e32 vcc_lo, 0, v165
	v_and_b32_e32 v37, v37, v157
	v_not_b32_e32 v157, v161
	v_ashrrev_i32_e32 v156, 31, v156
	s_wait_alu 0xf1ff
	v_xor_b32_e32 v162, s15, v162
	v_cmp_gt_i32_e64 s15, 0, v161
	v_and_b32_e32 v37, v37, v160
	v_ashrrev_i32_e32 v157, 31, v157
	s_wait_alu 0xfffd
	v_xor_b32_e32 v156, vcc_lo, v156
	v_mad_u32_u24 v160, v158, 36, v118
	v_mul_u32_u24_e32 v158, 36, v158
	v_and_b32_e32 v37, v37, v162
	s_wait_alu 0xf1ff
	v_xor_b32_e32 v157, s15, v157
	s_delay_alu instid0(VALU_DEP_3) | instskip(NEXT) | instid1(VALU_DEP_3)
	v_add_nc_u32_e32 v158, v118, v158
	v_and_b32_e32 v37, v37, v156
	ds_load_b32 v156, v160 offset:1056
	; wave barrier
	v_and_b32_e32 v37, v37, v157
	s_delay_alu instid0(VALU_DEP_1) | instskip(SKIP_1) | instid1(VALU_DEP_2)
	v_mbcnt_lo_u32_b32 v157, v37, 0
	v_cmp_ne_u32_e64 s15, 0, v37
	v_cmp_eq_u32_e32 vcc_lo, 0, v157
	s_and_b32 s16, s15, vcc_lo
	s_wait_alu 0xfffe
	s_and_saveexec_b32 s15, s16
	s_cbranch_execz .LBB1360_439
; %bb.438:                              ;   in Loop: Header=BB1360_393 Depth=2
	s_wait_dscnt 0x0
	v_bcnt_u32_b32 v37, v37, v156
	ds_store_b32 v158, v37 offset:1056
.LBB1360_439:                           ;   in Loop: Header=BB1360_393 Depth=2
	s_wait_alu 0xfffe
	s_or_b32 exec_lo, exec_lo, s15
	v_cmp_gt_i32_e32 vcc_lo, 0, v155
	; wave barrier
	s_wait_alu 0xfffd
	v_cndmask_b32_e64 v37, 0x7fffffff, 0, vcc_lo
	s_delay_alu instid0(VALU_DEP_1) | instskip(NEXT) | instid1(VALU_DEP_1)
	v_xor_b32_e32 v155, v37, v155
	v_cmp_ne_u32_e32 vcc_lo, 0x80000000, v155
	s_wait_alu 0xfffd
	v_cndmask_b32_e32 v37, 0x7fffffff, v155, vcc_lo
	s_delay_alu instid0(VALU_DEP_1) | instskip(NEXT) | instid1(VALU_DEP_1)
	v_lshrrev_b32_e32 v37, s31, v37
	v_and_b32_e32 v162, s48, v37
	s_delay_alu instid0(VALU_DEP_1)
	v_and_b32_e32 v37, 1, v162
	v_lshlrev_b32_e32 v160, 30, v162
	v_lshlrev_b32_e32 v161, 29, v162
	;; [unrolled: 1-line block ×4, first 2 shown]
	v_add_co_u32 v37, s15, v37, -1
	s_wait_alu 0xf1ff
	v_cndmask_b32_e64 v165, 0, 1, s15
	v_not_b32_e32 v170, v160
	v_cmp_gt_i32_e64 s15, 0, v160
	v_not_b32_e32 v160, v161
	v_lshlrev_b32_e32 v168, 26, v162
	v_cmp_ne_u32_e32 vcc_lo, 0, v165
	v_ashrrev_i32_e32 v170, 31, v170
	v_lshlrev_b32_e32 v169, 25, v162
	v_ashrrev_i32_e32 v160, 31, v160
	v_lshlrev_b32_e32 v165, 24, v162
	s_wait_alu 0xfffd
	v_xor_b32_e32 v37, vcc_lo, v37
	v_cmp_gt_i32_e32 vcc_lo, 0, v161
	v_not_b32_e32 v161, v164
	s_wait_alu 0xf1ff
	v_xor_b32_e32 v170, s15, v170
	v_cmp_gt_i32_e64 s15, 0, v164
	v_and_b32_e32 v37, exec_lo, v37
	v_not_b32_e32 v164, v167
	v_ashrrev_i32_e32 v161, 31, v161
	s_wait_alu 0xfffd
	v_xor_b32_e32 v160, vcc_lo, v160
	v_cmp_gt_i32_e32 vcc_lo, 0, v167
	v_and_b32_e32 v37, v37, v170
	v_not_b32_e32 v167, v168
	v_ashrrev_i32_e32 v164, 31, v164
	s_wait_alu 0xf1ff
	v_xor_b32_e32 v161, s15, v161
	v_cmp_gt_i32_e64 s15, 0, v168
	v_and_b32_e32 v37, v37, v160
	v_not_b32_e32 v160, v169
	v_ashrrev_i32_e32 v167, 31, v167
	s_wait_alu 0xfffd
	v_xor_b32_e32 v164, vcc_lo, v164
	v_cmp_gt_i32_e32 vcc_lo, 0, v169
	v_and_b32_e32 v37, v37, v161
	v_not_b32_e32 v161, v165
	v_ashrrev_i32_e32 v160, 31, v160
	s_wait_alu 0xf1ff
	v_xor_b32_e32 v167, s15, v167
	v_cmp_gt_i32_e64 s15, 0, v165
	v_and_b32_e32 v37, v37, v164
	v_ashrrev_i32_e32 v161, 31, v161
	s_wait_alu 0xfffd
	v_xor_b32_e32 v160, vcc_lo, v160
	v_mad_u32_u24 v164, v162, 36, v118
	v_mul_u32_u24_e32 v162, 36, v162
	v_and_b32_e32 v37, v37, v167
	s_wait_alu 0xf1ff
	v_xor_b32_e32 v161, s15, v161
	s_delay_alu instid0(VALU_DEP_3) | instskip(NEXT) | instid1(VALU_DEP_3)
	v_add_nc_u32_e32 v162, v118, v162
	v_and_b32_e32 v37, v37, v160
	ds_load_b32 v160, v164 offset:1056
	; wave barrier
	v_and_b32_e32 v37, v37, v161
	s_delay_alu instid0(VALU_DEP_1) | instskip(SKIP_1) | instid1(VALU_DEP_2)
	v_mbcnt_lo_u32_b32 v161, v37, 0
	v_cmp_ne_u32_e64 s15, 0, v37
	v_cmp_eq_u32_e32 vcc_lo, 0, v161
	s_and_b32 s16, s15, vcc_lo
	s_wait_alu 0xfffe
	s_and_saveexec_b32 s15, s16
	s_cbranch_execz .LBB1360_441
; %bb.440:                              ;   in Loop: Header=BB1360_393 Depth=2
	s_wait_dscnt 0x0
	v_bcnt_u32_b32 v37, v37, v160
	ds_store_b32 v162, v37 offset:1056
.LBB1360_441:                           ;   in Loop: Header=BB1360_393 Depth=2
	s_wait_alu 0xfffe
	s_or_b32 exec_lo, exec_lo, s15
	v_cmp_gt_i32_e32 vcc_lo, 0, v159
	; wave barrier
	s_wait_alu 0xfffd
	v_cndmask_b32_e64 v37, 0x7fffffff, 0, vcc_lo
	s_delay_alu instid0(VALU_DEP_1) | instskip(NEXT) | instid1(VALU_DEP_1)
	v_xor_b32_e32 v159, v37, v159
	v_cmp_ne_u32_e32 vcc_lo, 0x80000000, v159
	s_wait_alu 0xfffd
	v_cndmask_b32_e32 v37, 0x7fffffff, v159, vcc_lo
	s_delay_alu instid0(VALU_DEP_1) | instskip(NEXT) | instid1(VALU_DEP_1)
	v_lshrrev_b32_e32 v37, s31, v37
	v_and_b32_e32 v167, s48, v37
	s_delay_alu instid0(VALU_DEP_1)
	v_and_b32_e32 v37, 1, v167
	v_lshlrev_b32_e32 v164, 30, v167
	v_lshlrev_b32_e32 v165, 29, v167
	;; [unrolled: 1-line block ×4, first 2 shown]
	v_add_co_u32 v37, s15, v37, -1
	s_wait_alu 0xf1ff
	v_cndmask_b32_e64 v169, 0, 1, s15
	v_not_b32_e32 v173, v164
	v_cmp_gt_i32_e64 s15, 0, v164
	v_not_b32_e32 v164, v165
	v_lshlrev_b32_e32 v171, 26, v167
	v_cmp_ne_u32_e32 vcc_lo, 0, v169
	v_ashrrev_i32_e32 v173, 31, v173
	v_lshlrev_b32_e32 v172, 25, v167
	v_ashrrev_i32_e32 v164, 31, v164
	v_lshlrev_b32_e32 v169, 24, v167
	s_wait_alu 0xfffd
	v_xor_b32_e32 v37, vcc_lo, v37
	v_cmp_gt_i32_e32 vcc_lo, 0, v165
	v_not_b32_e32 v165, v168
	s_wait_alu 0xf1ff
	v_xor_b32_e32 v173, s15, v173
	v_cmp_gt_i32_e64 s15, 0, v168
	v_and_b32_e32 v37, exec_lo, v37
	v_not_b32_e32 v168, v170
	v_ashrrev_i32_e32 v165, 31, v165
	s_wait_alu 0xfffd
	v_xor_b32_e32 v164, vcc_lo, v164
	v_cmp_gt_i32_e32 vcc_lo, 0, v170
	v_and_b32_e32 v37, v37, v173
	v_not_b32_e32 v170, v171
	v_ashrrev_i32_e32 v168, 31, v168
	s_wait_alu 0xf1ff
	v_xor_b32_e32 v165, s15, v165
	v_cmp_gt_i32_e64 s15, 0, v171
	v_and_b32_e32 v37, v37, v164
	v_not_b32_e32 v164, v172
	v_ashrrev_i32_e32 v170, 31, v170
	s_wait_alu 0xfffd
	v_xor_b32_e32 v168, vcc_lo, v168
	v_cmp_gt_i32_e32 vcc_lo, 0, v172
	v_and_b32_e32 v37, v37, v165
	v_not_b32_e32 v165, v169
	v_ashrrev_i32_e32 v164, 31, v164
	s_wait_alu 0xf1ff
	v_xor_b32_e32 v170, s15, v170
	v_cmp_gt_i32_e64 s15, 0, v169
	v_and_b32_e32 v37, v37, v168
	v_ashrrev_i32_e32 v165, 31, v165
	s_wait_alu 0xfffd
	v_xor_b32_e32 v164, vcc_lo, v164
	v_mad_u32_u24 v168, v167, 36, v118
	v_mul_u32_u24_e32 v167, 36, v167
	v_and_b32_e32 v37, v37, v170
	s_wait_alu 0xf1ff
	v_xor_b32_e32 v165, s15, v165
	s_delay_alu instid0(VALU_DEP_3) | instskip(NEXT) | instid1(VALU_DEP_3)
	v_add_nc_u32_e32 v167, v118, v167
	v_and_b32_e32 v37, v37, v164
	ds_load_b32 v164, v168 offset:1056
	; wave barrier
	v_and_b32_e32 v37, v37, v165
	s_delay_alu instid0(VALU_DEP_1) | instskip(SKIP_1) | instid1(VALU_DEP_2)
	v_mbcnt_lo_u32_b32 v165, v37, 0
	v_cmp_ne_u32_e64 s15, 0, v37
	v_cmp_eq_u32_e32 vcc_lo, 0, v165
	s_and_b32 s16, s15, vcc_lo
	s_wait_alu 0xfffe
	s_and_saveexec_b32 s15, s16
	s_cbranch_execz .LBB1360_443
; %bb.442:                              ;   in Loop: Header=BB1360_393 Depth=2
	s_wait_dscnt 0x0
	v_bcnt_u32_b32 v37, v37, v164
	ds_store_b32 v167, v37 offset:1056
.LBB1360_443:                           ;   in Loop: Header=BB1360_393 Depth=2
	s_wait_alu 0xfffe
	s_or_b32 exec_lo, exec_lo, s15
	v_cmp_gt_i32_e32 vcc_lo, 0, v163
	; wave barrier
	s_wait_alu 0xfffd
	v_cndmask_b32_e64 v37, 0x7fffffff, 0, vcc_lo
	s_delay_alu instid0(VALU_DEP_1) | instskip(NEXT) | instid1(VALU_DEP_1)
	v_xor_b32_e32 v163, v37, v163
	v_cmp_ne_u32_e32 vcc_lo, 0x80000000, v163
	s_wait_alu 0xfffd
	v_cndmask_b32_e32 v37, 0x7fffffff, v163, vcc_lo
	s_delay_alu instid0(VALU_DEP_1) | instskip(NEXT) | instid1(VALU_DEP_1)
	v_lshrrev_b32_e32 v37, s31, v37
	v_and_b32_e32 v170, s48, v37
	s_delay_alu instid0(VALU_DEP_1)
	v_and_b32_e32 v37, 1, v170
	v_lshlrev_b32_e32 v168, 30, v170
	v_lshlrev_b32_e32 v169, 29, v170
	;; [unrolled: 1-line block ×4, first 2 shown]
	v_add_co_u32 v37, s15, v37, -1
	s_wait_alu 0xf1ff
	v_cndmask_b32_e64 v172, 0, 1, s15
	v_not_b32_e32 v176, v168
	v_cmp_gt_i32_e64 s15, 0, v168
	v_not_b32_e32 v168, v169
	v_lshlrev_b32_e32 v174, 26, v170
	v_cmp_ne_u32_e32 vcc_lo, 0, v172
	v_ashrrev_i32_e32 v176, 31, v176
	v_lshlrev_b32_e32 v175, 25, v170
	v_ashrrev_i32_e32 v168, 31, v168
	v_lshlrev_b32_e32 v172, 24, v170
	s_wait_alu 0xfffd
	v_xor_b32_e32 v37, vcc_lo, v37
	v_cmp_gt_i32_e32 vcc_lo, 0, v169
	v_not_b32_e32 v169, v171
	s_wait_alu 0xf1ff
	v_xor_b32_e32 v176, s15, v176
	v_cmp_gt_i32_e64 s15, 0, v171
	v_and_b32_e32 v37, exec_lo, v37
	v_not_b32_e32 v171, v173
	v_ashrrev_i32_e32 v169, 31, v169
	s_wait_alu 0xfffd
	v_xor_b32_e32 v168, vcc_lo, v168
	v_cmp_gt_i32_e32 vcc_lo, 0, v173
	v_and_b32_e32 v37, v37, v176
	v_not_b32_e32 v173, v174
	v_ashrrev_i32_e32 v171, 31, v171
	s_wait_alu 0xf1ff
	v_xor_b32_e32 v169, s15, v169
	v_cmp_gt_i32_e64 s15, 0, v174
	v_and_b32_e32 v37, v37, v168
	v_not_b32_e32 v168, v175
	v_ashrrev_i32_e32 v173, 31, v173
	s_wait_alu 0xfffd
	v_xor_b32_e32 v171, vcc_lo, v171
	v_cmp_gt_i32_e32 vcc_lo, 0, v175
	v_and_b32_e32 v37, v37, v169
	v_not_b32_e32 v169, v172
	v_ashrrev_i32_e32 v168, 31, v168
	s_wait_alu 0xf1ff
	v_xor_b32_e32 v173, s15, v173
	v_cmp_gt_i32_e64 s15, 0, v172
	v_and_b32_e32 v37, v37, v171
	v_ashrrev_i32_e32 v169, 31, v169
	s_wait_alu 0xfffd
	v_xor_b32_e32 v168, vcc_lo, v168
	v_mad_u32_u24 v171, v170, 36, v118
	v_mul_u32_u24_e32 v170, 36, v170
	v_and_b32_e32 v37, v37, v173
	s_wait_alu 0xf1ff
	v_xor_b32_e32 v169, s15, v169
	s_delay_alu instid0(VALU_DEP_3) | instskip(NEXT) | instid1(VALU_DEP_3)
	v_add_nc_u32_e32 v170, v118, v170
	v_and_b32_e32 v37, v37, v168
	ds_load_b32 v168, v171 offset:1056
	; wave barrier
	v_and_b32_e32 v37, v37, v169
	s_delay_alu instid0(VALU_DEP_1) | instskip(SKIP_1) | instid1(VALU_DEP_2)
	v_mbcnt_lo_u32_b32 v169, v37, 0
	v_cmp_ne_u32_e64 s15, 0, v37
	v_cmp_eq_u32_e32 vcc_lo, 0, v169
	s_and_b32 s16, s15, vcc_lo
	s_wait_alu 0xfffe
	s_and_saveexec_b32 s15, s16
	s_cbranch_execz .LBB1360_445
; %bb.444:                              ;   in Loop: Header=BB1360_393 Depth=2
	s_wait_dscnt 0x0
	v_bcnt_u32_b32 v37, v37, v168
	ds_store_b32 v170, v37 offset:1056
.LBB1360_445:                           ;   in Loop: Header=BB1360_393 Depth=2
	s_wait_alu 0xfffe
	s_or_b32 exec_lo, exec_lo, s15
	v_cmp_gt_i32_e32 vcc_lo, 0, v166
	; wave barrier
	s_wait_alu 0xfffd
	v_cndmask_b32_e64 v37, 0x7fffffff, 0, vcc_lo
	s_delay_alu instid0(VALU_DEP_1) | instskip(NEXT) | instid1(VALU_DEP_1)
	v_xor_b32_e32 v166, v37, v166
	v_cmp_ne_u32_e32 vcc_lo, 0x80000000, v166
	s_wait_alu 0xfffd
	v_cndmask_b32_e32 v37, 0x7fffffff, v166, vcc_lo
	s_delay_alu instid0(VALU_DEP_1) | instskip(NEXT) | instid1(VALU_DEP_1)
	v_lshrrev_b32_e32 v37, s31, v37
	v_and_b32_e32 v171, s48, v37
	s_delay_alu instid0(VALU_DEP_1)
	v_and_b32_e32 v37, 1, v171
	v_lshlrev_b32_e32 v172, 30, v171
	v_lshlrev_b32_e32 v173, 29, v171
	;; [unrolled: 1-line block ×4, first 2 shown]
	v_add_co_u32 v37, s15, v37, -1
	s_wait_alu 0xf1ff
	v_cndmask_b32_e64 v175, 0, 1, s15
	v_not_b32_e32 v179, v172
	v_cmp_gt_i32_e64 s15, 0, v172
	v_not_b32_e32 v172, v173
	v_lshlrev_b32_e32 v177, 26, v171
	v_cmp_ne_u32_e32 vcc_lo, 0, v175
	v_ashrrev_i32_e32 v179, 31, v179
	v_lshlrev_b32_e32 v178, 25, v171
	v_ashrrev_i32_e32 v172, 31, v172
	v_lshlrev_b32_e32 v175, 24, v171
	s_wait_alu 0xfffd
	v_xor_b32_e32 v37, vcc_lo, v37
	v_cmp_gt_i32_e32 vcc_lo, 0, v173
	v_not_b32_e32 v173, v174
	s_wait_alu 0xf1ff
	v_xor_b32_e32 v179, s15, v179
	v_cmp_gt_i32_e64 s15, 0, v174
	v_and_b32_e32 v37, exec_lo, v37
	v_not_b32_e32 v174, v176
	v_ashrrev_i32_e32 v173, 31, v173
	s_wait_alu 0xfffd
	v_xor_b32_e32 v172, vcc_lo, v172
	v_cmp_gt_i32_e32 vcc_lo, 0, v176
	v_and_b32_e32 v37, v37, v179
	v_not_b32_e32 v176, v177
	v_ashrrev_i32_e32 v174, 31, v174
	s_wait_alu 0xf1ff
	v_xor_b32_e32 v173, s15, v173
	v_cmp_gt_i32_e64 s15, 0, v177
	v_and_b32_e32 v37, v37, v172
	v_not_b32_e32 v172, v178
	v_ashrrev_i32_e32 v176, 31, v176
	s_wait_alu 0xfffd
	v_xor_b32_e32 v174, vcc_lo, v174
	v_cmp_gt_i32_e32 vcc_lo, 0, v178
	v_and_b32_e32 v37, v37, v173
	v_not_b32_e32 v173, v175
	v_ashrrev_i32_e32 v172, 31, v172
	s_wait_alu 0xf1ff
	v_xor_b32_e32 v176, s15, v176
	v_cmp_gt_i32_e64 s15, 0, v175
	v_and_b32_e32 v37, v37, v174
	v_ashrrev_i32_e32 v173, 31, v173
	s_wait_alu 0xfffd
	v_xor_b32_e32 v172, vcc_lo, v172
	v_mad_u32_u24 v174, v171, 36, v118
	v_mul_u32_u24_e32 v171, 36, v171
	v_and_b32_e32 v37, v37, v176
	s_wait_alu 0xf1ff
	v_xor_b32_e32 v173, s15, v173
	s_delay_alu instid0(VALU_DEP_2) | instskip(SKIP_3) | instid1(VALU_DEP_1)
	v_and_b32_e32 v37, v37, v172
	ds_load_b32 v172, v174 offset:1056
	v_add_nc_u32_e32 v174, v118, v171
	; wave barrier
	v_and_b32_e32 v37, v37, v173
	v_mbcnt_lo_u32_b32 v173, v37, 0
	v_cmp_ne_u32_e64 s15, 0, v37
	s_delay_alu instid0(VALU_DEP_2)
	v_cmp_eq_u32_e32 vcc_lo, 0, v173
	s_and_b32 s16, s15, vcc_lo
	s_wait_alu 0xfffe
	s_and_saveexec_b32 s15, s16
	s_cbranch_execz .LBB1360_447
; %bb.446:                              ;   in Loop: Header=BB1360_393 Depth=2
	s_wait_dscnt 0x0
	v_bcnt_u32_b32 v37, v37, v172
	ds_store_b32 v174, v37 offset:1056
.LBB1360_447:                           ;   in Loop: Header=BB1360_393 Depth=2
	s_wait_alu 0xfffe
	s_or_b32 exec_lo, exec_lo, s15
	v_cmp_gt_i32_e32 vcc_lo, 0, v43
	; wave barrier
	s_wait_alu 0xfffd
	v_cndmask_b32_e64 v37, 0x7fffffff, 0, vcc_lo
	s_delay_alu instid0(VALU_DEP_1) | instskip(NEXT) | instid1(VALU_DEP_1)
	v_xor_b32_e32 v171, v37, v43
	v_cmp_ne_u32_e32 vcc_lo, 0x80000000, v171
	s_wait_alu 0xfffd
	v_cndmask_b32_e32 v37, 0x7fffffff, v171, vcc_lo
	s_delay_alu instid0(VALU_DEP_1) | instskip(NEXT) | instid1(VALU_DEP_1)
	v_lshrrev_b32_e32 v37, s31, v37
	v_and_b32_e32 v43, s48, v37
	s_delay_alu instid0(VALU_DEP_1)
	v_and_b32_e32 v37, 1, v43
	v_lshlrev_b32_e32 v175, 30, v43
	v_lshlrev_b32_e32 v176, 29, v43
	;; [unrolled: 1-line block ×4, first 2 shown]
	v_add_co_u32 v37, s15, v37, -1
	s_wait_alu 0xf1ff
	v_cndmask_b32_e64 v178, 0, 1, s15
	v_not_b32_e32 v182, v175
	v_cmp_gt_i32_e64 s15, 0, v175
	v_not_b32_e32 v175, v176
	v_lshlrev_b32_e32 v180, 26, v43
	v_cmp_ne_u32_e32 vcc_lo, 0, v178
	v_ashrrev_i32_e32 v182, 31, v182
	v_lshlrev_b32_e32 v181, 25, v43
	v_ashrrev_i32_e32 v175, 31, v175
	v_lshlrev_b32_e32 v178, 24, v43
	s_wait_alu 0xfffd
	v_xor_b32_e32 v37, vcc_lo, v37
	v_cmp_gt_i32_e32 vcc_lo, 0, v176
	v_not_b32_e32 v176, v177
	s_wait_alu 0xf1ff
	v_xor_b32_e32 v182, s15, v182
	v_cmp_gt_i32_e64 s15, 0, v177
	v_and_b32_e32 v37, exec_lo, v37
	v_not_b32_e32 v177, v179
	v_ashrrev_i32_e32 v176, 31, v176
	s_wait_alu 0xfffd
	v_xor_b32_e32 v175, vcc_lo, v175
	v_cmp_gt_i32_e32 vcc_lo, 0, v179
	v_and_b32_e32 v37, v37, v182
	v_not_b32_e32 v179, v180
	v_ashrrev_i32_e32 v177, 31, v177
	s_wait_alu 0xf1ff
	v_xor_b32_e32 v176, s15, v176
	v_cmp_gt_i32_e64 s15, 0, v180
	v_and_b32_e32 v37, v37, v175
	v_not_b32_e32 v175, v181
	v_ashrrev_i32_e32 v179, 31, v179
	s_wait_alu 0xfffd
	v_xor_b32_e32 v177, vcc_lo, v177
	v_cmp_gt_i32_e32 vcc_lo, 0, v181
	v_and_b32_e32 v37, v37, v176
	v_not_b32_e32 v176, v178
	v_ashrrev_i32_e32 v175, 31, v175
	s_wait_alu 0xf1ff
	v_xor_b32_e32 v179, s15, v179
	v_cmp_gt_i32_e64 s15, 0, v178
	v_and_b32_e32 v37, v37, v177
	v_ashrrev_i32_e32 v176, 31, v176
	s_wait_alu 0xfffd
	v_xor_b32_e32 v175, vcc_lo, v175
	v_mad_u32_u24 v177, v43, 36, v118
	v_mul_u32_u24_e32 v43, 36, v43
	v_and_b32_e32 v37, v37, v179
	s_wait_alu 0xf1ff
	v_xor_b32_e32 v178, s15, v176
	ds_load_b32 v176, v177 offset:1056
	v_and_b32_e32 v37, v37, v175
	; wave barrier
	s_delay_alu instid0(VALU_DEP_1) | instskip(SKIP_1) | instid1(VALU_DEP_2)
	v_and_b32_e32 v37, v37, v178
	v_add_nc_u32_e32 v178, v118, v43
	v_mbcnt_lo_u32_b32 v177, v37, 0
	v_cmp_ne_u32_e64 s15, 0, v37
	s_delay_alu instid0(VALU_DEP_2)
	v_cmp_eq_u32_e32 vcc_lo, 0, v177
	s_and_b32 s16, s15, vcc_lo
	s_wait_alu 0xfffe
	s_and_saveexec_b32 s15, s16
	s_cbranch_execz .LBB1360_449
; %bb.448:                              ;   in Loop: Header=BB1360_393 Depth=2
	s_wait_dscnt 0x0
	v_bcnt_u32_b32 v37, v37, v176
	ds_store_b32 v178, v37 offset:1056
.LBB1360_449:                           ;   in Loop: Header=BB1360_393 Depth=2
	s_wait_alu 0xfffe
	s_or_b32 exec_lo, exec_lo, s15
	v_cmp_gt_i32_e32 vcc_lo, 0, v42
	; wave barrier
	s_wait_alu 0xfffd
	v_cndmask_b32_e64 v37, 0x7fffffff, 0, vcc_lo
	s_delay_alu instid0(VALU_DEP_1) | instskip(NEXT) | instid1(VALU_DEP_1)
	v_xor_b32_e32 v175, v37, v42
	v_cmp_ne_u32_e32 vcc_lo, 0x80000000, v175
	s_wait_alu 0xfffd
	v_cndmask_b32_e32 v37, 0x7fffffff, v175, vcc_lo
	s_delay_alu instid0(VALU_DEP_1) | instskip(NEXT) | instid1(VALU_DEP_1)
	v_lshrrev_b32_e32 v37, s31, v37
	v_and_b32_e32 v42, s48, v37
	s_delay_alu instid0(VALU_DEP_1)
	v_and_b32_e32 v37, 1, v42
	v_lshlrev_b32_e32 v43, 30, v42
	v_lshlrev_b32_e32 v179, 29, v42
	;; [unrolled: 1-line block ×4, first 2 shown]
	v_add_co_u32 v37, s15, v37, -1
	s_wait_alu 0xf1ff
	v_cndmask_b32_e64 v181, 0, 1, s15
	v_not_b32_e32 v185, v43
	v_cmp_gt_i32_e64 s15, 0, v43
	v_not_b32_e32 v43, v179
	v_lshlrev_b32_e32 v183, 26, v42
	v_cmp_ne_u32_e32 vcc_lo, 0, v181
	v_ashrrev_i32_e32 v185, 31, v185
	v_lshlrev_b32_e32 v184, 25, v42
	v_ashrrev_i32_e32 v43, 31, v43
	v_lshlrev_b32_e32 v181, 24, v42
	s_wait_alu 0xfffd
	v_xor_b32_e32 v37, vcc_lo, v37
	v_cmp_gt_i32_e32 vcc_lo, 0, v179
	v_not_b32_e32 v179, v180
	s_wait_alu 0xf1ff
	v_xor_b32_e32 v185, s15, v185
	v_cmp_gt_i32_e64 s15, 0, v180
	v_and_b32_e32 v37, exec_lo, v37
	v_not_b32_e32 v180, v182
	v_ashrrev_i32_e32 v179, 31, v179
	s_wait_alu 0xfffd
	v_xor_b32_e32 v43, vcc_lo, v43
	v_cmp_gt_i32_e32 vcc_lo, 0, v182
	v_and_b32_e32 v37, v37, v185
	v_not_b32_e32 v182, v183
	v_ashrrev_i32_e32 v180, 31, v180
	s_wait_alu 0xf1ff
	v_xor_b32_e32 v179, s15, v179
	v_cmp_gt_i32_e64 s15, 0, v183
	v_and_b32_e32 v37, v37, v43
	v_not_b32_e32 v43, v184
	v_ashrrev_i32_e32 v182, 31, v182
	s_wait_alu 0xfffd
	v_xor_b32_e32 v180, vcc_lo, v180
	v_cmp_gt_i32_e32 vcc_lo, 0, v184
	v_and_b32_e32 v37, v37, v179
	v_not_b32_e32 v179, v181
	v_ashrrev_i32_e32 v43, 31, v43
	s_wait_alu 0xf1ff
	v_xor_b32_e32 v182, s15, v182
	v_cmp_gt_i32_e64 s15, 0, v181
	v_and_b32_e32 v37, v37, v180
	v_ashrrev_i32_e32 v179, 31, v179
	s_wait_alu 0xfffd
	v_xor_b32_e32 v43, vcc_lo, v43
	v_mad_u32_u24 v180, v42, 36, v118
	v_mul_u32_u24_e32 v42, 36, v42
	v_and_b32_e32 v37, v37, v182
	s_wait_alu 0xf1ff
	v_xor_b32_e32 v179, s15, v179
	ds_load_b32 v180, v180 offset:1056
	v_add_nc_u32_e32 v182, v118, v42
	v_and_b32_e32 v37, v37, v43
	; wave barrier
	s_delay_alu instid0(VALU_DEP_1) | instskip(NEXT) | instid1(VALU_DEP_1)
	v_and_b32_e32 v37, v37, v179
	v_mbcnt_lo_u32_b32 v181, v37, 0
	v_cmp_ne_u32_e64 s15, 0, v37
	s_delay_alu instid0(VALU_DEP_2)
	v_cmp_eq_u32_e32 vcc_lo, 0, v181
	s_and_b32 s16, s15, vcc_lo
	s_wait_alu 0xfffe
	s_and_saveexec_b32 s15, s16
	s_cbranch_execz .LBB1360_451
; %bb.450:                              ;   in Loop: Header=BB1360_393 Depth=2
	s_wait_dscnt 0x0
	v_bcnt_u32_b32 v37, v37, v180
	ds_store_b32 v182, v37 offset:1056
.LBB1360_451:                           ;   in Loop: Header=BB1360_393 Depth=2
	s_wait_alu 0xfffe
	s_or_b32 exec_lo, exec_lo, s15
	v_cmp_gt_i32_e32 vcc_lo, 0, v41
	; wave barrier
	s_wait_alu 0xfffd
	v_cndmask_b32_e64 v37, 0x7fffffff, 0, vcc_lo
	s_delay_alu instid0(VALU_DEP_1) | instskip(NEXT) | instid1(VALU_DEP_1)
	v_xor_b32_e32 v179, v37, v41
	v_cmp_ne_u32_e32 vcc_lo, 0x80000000, v179
	s_wait_alu 0xfffd
	v_cndmask_b32_e32 v37, 0x7fffffff, v179, vcc_lo
	s_delay_alu instid0(VALU_DEP_1) | instskip(NEXT) | instid1(VALU_DEP_1)
	v_lshrrev_b32_e32 v37, s31, v37
	v_and_b32_e32 v41, s48, v37
	s_delay_alu instid0(VALU_DEP_1)
	v_and_b32_e32 v37, 1, v41
	v_lshlrev_b32_e32 v42, 30, v41
	v_lshlrev_b32_e32 v43, 29, v41
	;; [unrolled: 1-line block ×4, first 2 shown]
	v_add_co_u32 v37, s15, v37, -1
	s_wait_alu 0xf1ff
	v_cndmask_b32_e64 v184, 0, 1, s15
	v_not_b32_e32 v188, v42
	v_cmp_gt_i32_e64 s15, 0, v42
	v_not_b32_e32 v42, v43
	v_lshlrev_b32_e32 v186, 26, v41
	v_cmp_ne_u32_e32 vcc_lo, 0, v184
	v_ashrrev_i32_e32 v188, 31, v188
	v_lshlrev_b32_e32 v187, 25, v41
	v_ashrrev_i32_e32 v42, 31, v42
	v_lshlrev_b32_e32 v184, 24, v41
	s_wait_alu 0xfffd
	v_xor_b32_e32 v37, vcc_lo, v37
	v_cmp_gt_i32_e32 vcc_lo, 0, v43
	v_not_b32_e32 v43, v183
	s_wait_alu 0xf1ff
	v_xor_b32_e32 v188, s15, v188
	v_cmp_gt_i32_e64 s15, 0, v183
	v_and_b32_e32 v37, exec_lo, v37
	v_not_b32_e32 v183, v185
	v_ashrrev_i32_e32 v43, 31, v43
	s_wait_alu 0xfffd
	v_xor_b32_e32 v42, vcc_lo, v42
	v_cmp_gt_i32_e32 vcc_lo, 0, v185
	v_and_b32_e32 v37, v37, v188
	v_not_b32_e32 v185, v186
	v_ashrrev_i32_e32 v183, 31, v183
	s_wait_alu 0xf1ff
	v_xor_b32_e32 v43, s15, v43
	v_cmp_gt_i32_e64 s15, 0, v186
	v_and_b32_e32 v37, v37, v42
	v_not_b32_e32 v42, v187
	v_ashrrev_i32_e32 v185, 31, v185
	s_wait_alu 0xfffd
	v_xor_b32_e32 v183, vcc_lo, v183
	v_cmp_gt_i32_e32 vcc_lo, 0, v187
	v_and_b32_e32 v37, v37, v43
	v_not_b32_e32 v43, v184
	v_ashrrev_i32_e32 v42, 31, v42
	s_wait_alu 0xf1ff
	v_xor_b32_e32 v185, s15, v185
	v_cmp_gt_i32_e64 s15, 0, v184
	v_and_b32_e32 v37, v37, v183
	v_ashrrev_i32_e32 v43, 31, v43
	s_wait_alu 0xfffd
	v_xor_b32_e32 v42, vcc_lo, v42
	v_mad_u32_u24 v183, v41, 36, v118
	v_mul_u32_u24_e32 v41, 36, v41
	v_and_b32_e32 v37, v37, v185
	s_wait_alu 0xf1ff
	v_xor_b32_e32 v43, s15, v43
	ds_load_b32 v184, v183 offset:1056
	v_add_nc_u32_e32 v186, v118, v41
	v_and_b32_e32 v37, v37, v42
	; wave barrier
	s_delay_alu instid0(VALU_DEP_1) | instskip(NEXT) | instid1(VALU_DEP_1)
	v_and_b32_e32 v37, v37, v43
	v_mbcnt_lo_u32_b32 v185, v37, 0
	v_cmp_ne_u32_e64 s15, 0, v37
	s_delay_alu instid0(VALU_DEP_2)
	v_cmp_eq_u32_e32 vcc_lo, 0, v185
	s_and_b32 s16, s15, vcc_lo
	s_wait_alu 0xfffe
	s_and_saveexec_b32 s15, s16
	s_cbranch_execz .LBB1360_453
; %bb.452:                              ;   in Loop: Header=BB1360_393 Depth=2
	s_wait_dscnt 0x0
	v_bcnt_u32_b32 v37, v37, v184
	ds_store_b32 v186, v37 offset:1056
.LBB1360_453:                           ;   in Loop: Header=BB1360_393 Depth=2
	s_wait_alu 0xfffe
	s_or_b32 exec_lo, exec_lo, s15
	v_cmp_gt_i32_e32 vcc_lo, 0, v40
	; wave barrier
	s_wait_alu 0xfffd
	v_cndmask_b32_e64 v37, 0x7fffffff, 0, vcc_lo
	s_delay_alu instid0(VALU_DEP_1) | instskip(NEXT) | instid1(VALU_DEP_1)
	v_xor_b32_e32 v183, v37, v40
	v_cmp_ne_u32_e32 vcc_lo, 0x80000000, v183
	s_wait_alu 0xfffd
	v_cndmask_b32_e32 v37, 0x7fffffff, v183, vcc_lo
	s_delay_alu instid0(VALU_DEP_1) | instskip(NEXT) | instid1(VALU_DEP_1)
	v_lshrrev_b32_e32 v37, s31, v37
	v_and_b32_e32 v40, s48, v37
	s_delay_alu instid0(VALU_DEP_1)
	v_and_b32_e32 v37, 1, v40
	v_lshlrev_b32_e32 v41, 30, v40
	v_lshlrev_b32_e32 v42, 29, v40
	;; [unrolled: 1-line block ×4, first 2 shown]
	v_add_co_u32 v37, s15, v37, -1
	s_wait_alu 0xf1ff
	v_cndmask_b32_e64 v187, 0, 1, s15
	v_not_b32_e32 v191, v41
	v_cmp_gt_i32_e64 s15, 0, v41
	v_not_b32_e32 v41, v42
	v_lshlrev_b32_e32 v189, 26, v40
	v_cmp_ne_u32_e32 vcc_lo, 0, v187
	v_ashrrev_i32_e32 v191, 31, v191
	v_lshlrev_b32_e32 v190, 25, v40
	v_ashrrev_i32_e32 v41, 31, v41
	v_lshlrev_b32_e32 v187, 24, v40
	s_wait_alu 0xfffd
	v_xor_b32_e32 v37, vcc_lo, v37
	v_cmp_gt_i32_e32 vcc_lo, 0, v42
	v_not_b32_e32 v42, v43
	s_wait_alu 0xf1ff
	v_xor_b32_e32 v191, s15, v191
	v_cmp_gt_i32_e64 s15, 0, v43
	v_and_b32_e32 v37, exec_lo, v37
	v_not_b32_e32 v43, v188
	v_ashrrev_i32_e32 v42, 31, v42
	s_wait_alu 0xfffd
	v_xor_b32_e32 v41, vcc_lo, v41
	v_cmp_gt_i32_e32 vcc_lo, 0, v188
	v_and_b32_e32 v37, v37, v191
	v_not_b32_e32 v188, v189
	v_ashrrev_i32_e32 v43, 31, v43
	s_wait_alu 0xf1ff
	v_xor_b32_e32 v42, s15, v42
	v_cmp_gt_i32_e64 s15, 0, v189
	v_and_b32_e32 v37, v37, v41
	v_not_b32_e32 v41, v190
	v_ashrrev_i32_e32 v188, 31, v188
	s_wait_alu 0xfffd
	v_xor_b32_e32 v43, vcc_lo, v43
	v_cmp_gt_i32_e32 vcc_lo, 0, v190
	v_and_b32_e32 v37, v37, v42
	v_not_b32_e32 v42, v187
	v_ashrrev_i32_e32 v41, 31, v41
	s_wait_alu 0xf1ff
	v_xor_b32_e32 v188, s15, v188
	v_cmp_gt_i32_e64 s15, 0, v187
	v_and_b32_e32 v37, v37, v43
	v_ashrrev_i32_e32 v42, 31, v42
	s_wait_alu 0xfffd
	v_xor_b32_e32 v41, vcc_lo, v41
	v_mad_u32_u24 v43, v40, 36, v118
	v_mul_u32_u24_e32 v40, 36, v40
	v_and_b32_e32 v37, v37, v188
	s_wait_alu 0xf1ff
	v_xor_b32_e32 v42, s15, v42
	ds_load_b32 v188, v43 offset:1056
	v_add_nc_u32_e32 v190, v118, v40
	v_and_b32_e32 v37, v37, v41
	; wave barrier
	s_delay_alu instid0(VALU_DEP_1) | instskip(NEXT) | instid1(VALU_DEP_1)
	v_and_b32_e32 v37, v37, v42
	v_mbcnt_lo_u32_b32 v189, v37, 0
	v_cmp_ne_u32_e64 s15, 0, v37
	s_delay_alu instid0(VALU_DEP_2)
	v_cmp_eq_u32_e32 vcc_lo, 0, v189
	s_and_b32 s16, s15, vcc_lo
	s_wait_alu 0xfffe
	s_and_saveexec_b32 s15, s16
	s_cbranch_execz .LBB1360_455
; %bb.454:                              ;   in Loop: Header=BB1360_393 Depth=2
	s_wait_dscnt 0x0
	v_bcnt_u32_b32 v37, v37, v188
	ds_store_b32 v190, v37 offset:1056
.LBB1360_455:                           ;   in Loop: Header=BB1360_393 Depth=2
	s_wait_alu 0xfffe
	s_or_b32 exec_lo, exec_lo, s15
	v_cmp_gt_i32_e32 vcc_lo, 0, v39
	; wave barrier
	s_wait_alu 0xfffd
	v_cndmask_b32_e64 v37, 0x7fffffff, 0, vcc_lo
	s_delay_alu instid0(VALU_DEP_1) | instskip(NEXT) | instid1(VALU_DEP_1)
	v_xor_b32_e32 v187, v37, v39
	v_cmp_ne_u32_e32 vcc_lo, 0x80000000, v187
	s_wait_alu 0xfffd
	v_cndmask_b32_e32 v37, 0x7fffffff, v187, vcc_lo
	s_delay_alu instid0(VALU_DEP_1) | instskip(NEXT) | instid1(VALU_DEP_1)
	v_lshrrev_b32_e32 v37, s31, v37
	v_and_b32_e32 v39, s48, v37
	s_delay_alu instid0(VALU_DEP_1)
	v_and_b32_e32 v37, 1, v39
	v_lshlrev_b32_e32 v40, 30, v39
	v_lshlrev_b32_e32 v41, 29, v39
	;; [unrolled: 1-line block ×4, first 2 shown]
	v_add_co_u32 v37, s15, v37, -1
	s_wait_alu 0xf1ff
	v_cndmask_b32_e64 v43, 0, 1, s15
	v_not_b32_e32 v194, v40
	v_cmp_gt_i32_e64 s15, 0, v40
	v_not_b32_e32 v40, v41
	v_lshlrev_b32_e32 v192, 26, v39
	v_cmp_ne_u32_e32 vcc_lo, 0, v43
	v_ashrrev_i32_e32 v194, 31, v194
	v_lshlrev_b32_e32 v193, 25, v39
	v_ashrrev_i32_e32 v40, 31, v40
	v_lshlrev_b32_e32 v43, 24, v39
	s_wait_alu 0xfffd
	v_xor_b32_e32 v37, vcc_lo, v37
	v_cmp_gt_i32_e32 vcc_lo, 0, v41
	v_not_b32_e32 v41, v42
	s_wait_alu 0xf1ff
	v_xor_b32_e32 v194, s15, v194
	v_cmp_gt_i32_e64 s15, 0, v42
	v_and_b32_e32 v37, exec_lo, v37
	v_not_b32_e32 v42, v191
	v_ashrrev_i32_e32 v41, 31, v41
	s_wait_alu 0xfffd
	v_xor_b32_e32 v40, vcc_lo, v40
	v_cmp_gt_i32_e32 vcc_lo, 0, v191
	v_and_b32_e32 v37, v37, v194
	v_not_b32_e32 v191, v192
	v_ashrrev_i32_e32 v42, 31, v42
	s_wait_alu 0xf1ff
	v_xor_b32_e32 v41, s15, v41
	v_cmp_gt_i32_e64 s15, 0, v192
	v_and_b32_e32 v37, v37, v40
	v_not_b32_e32 v40, v193
	v_ashrrev_i32_e32 v191, 31, v191
	s_wait_alu 0xfffd
	v_xor_b32_e32 v42, vcc_lo, v42
	v_cmp_gt_i32_e32 vcc_lo, 0, v193
	v_and_b32_e32 v37, v37, v41
	v_not_b32_e32 v41, v43
	v_ashrrev_i32_e32 v40, 31, v40
	s_wait_alu 0xf1ff
	v_xor_b32_e32 v191, s15, v191
	v_cmp_gt_i32_e64 s15, 0, v43
	v_and_b32_e32 v37, v37, v42
	v_ashrrev_i32_e32 v41, 31, v41
	s_wait_alu 0xfffd
	v_xor_b32_e32 v40, vcc_lo, v40
	v_mad_u32_u24 v42, v39, 36, v118
	v_mul_u32_u24_e32 v39, 36, v39
	v_and_b32_e32 v37, v37, v191
	s_wait_alu 0xf1ff
	v_xor_b32_e32 v41, s15, v41
	ds_load_b32 v192, v42 offset:1056
	v_add_nc_u32_e32 v194, v118, v39
	v_and_b32_e32 v37, v37, v40
	; wave barrier
	s_delay_alu instid0(VALU_DEP_1) | instskip(NEXT) | instid1(VALU_DEP_1)
	v_and_b32_e32 v37, v37, v41
	v_mbcnt_lo_u32_b32 v193, v37, 0
	v_cmp_ne_u32_e64 s15, 0, v37
	s_delay_alu instid0(VALU_DEP_2)
	v_cmp_eq_u32_e32 vcc_lo, 0, v193
	s_and_b32 s16, s15, vcc_lo
	s_wait_alu 0xfffe
	s_and_saveexec_b32 s15, s16
	s_cbranch_execz .LBB1360_457
; %bb.456:                              ;   in Loop: Header=BB1360_393 Depth=2
	s_wait_dscnt 0x0
	v_bcnt_u32_b32 v37, v37, v192
	ds_store_b32 v194, v37 offset:1056
.LBB1360_457:                           ;   in Loop: Header=BB1360_393 Depth=2
	s_wait_alu 0xfffe
	s_or_b32 exec_lo, exec_lo, s15
	v_cmp_gt_i32_e32 vcc_lo, 0, v38
	; wave barrier
	s_wait_alu 0xfffd
	v_cndmask_b32_e64 v37, 0x7fffffff, 0, vcc_lo
	s_delay_alu instid0(VALU_DEP_1) | instskip(NEXT) | instid1(VALU_DEP_1)
	v_xor_b32_e32 v191, v37, v38
	v_cmp_ne_u32_e32 vcc_lo, 0x80000000, v191
	s_wait_alu 0xfffd
	v_cndmask_b32_e32 v37, 0x7fffffff, v191, vcc_lo
	s_delay_alu instid0(VALU_DEP_1) | instskip(NEXT) | instid1(VALU_DEP_1)
	v_lshrrev_b32_e32 v37, s31, v37
	v_and_b32_e32 v38, s48, v37
	s_delay_alu instid0(VALU_DEP_1)
	v_and_b32_e32 v37, 1, v38
	v_lshlrev_b32_e32 v39, 30, v38
	v_lshlrev_b32_e32 v40, 29, v38
	;; [unrolled: 1-line block ×4, first 2 shown]
	v_add_co_u32 v37, s15, v37, -1
	s_wait_alu 0xf1ff
	v_cndmask_b32_e64 v42, 0, 1, s15
	v_not_b32_e32 v197, v39
	v_cmp_gt_i32_e64 s15, 0, v39
	v_not_b32_e32 v39, v40
	v_lshlrev_b32_e32 v195, 26, v38
	v_cmp_ne_u32_e32 vcc_lo, 0, v42
	v_ashrrev_i32_e32 v197, 31, v197
	v_lshlrev_b32_e32 v196, 25, v38
	v_ashrrev_i32_e32 v39, 31, v39
	v_lshlrev_b32_e32 v42, 24, v38
	s_wait_alu 0xfffd
	v_xor_b32_e32 v37, vcc_lo, v37
	v_cmp_gt_i32_e32 vcc_lo, 0, v40
	v_not_b32_e32 v40, v41
	s_wait_alu 0xf1ff
	v_xor_b32_e32 v197, s15, v197
	v_cmp_gt_i32_e64 s15, 0, v41
	v_and_b32_e32 v37, exec_lo, v37
	v_not_b32_e32 v41, v43
	v_ashrrev_i32_e32 v40, 31, v40
	s_wait_alu 0xfffd
	v_xor_b32_e32 v39, vcc_lo, v39
	v_cmp_gt_i32_e32 vcc_lo, 0, v43
	v_and_b32_e32 v37, v37, v197
	v_not_b32_e32 v43, v195
	v_ashrrev_i32_e32 v41, 31, v41
	s_wait_alu 0xf1ff
	v_xor_b32_e32 v40, s15, v40
	v_cmp_gt_i32_e64 s15, 0, v195
	v_and_b32_e32 v37, v37, v39
	v_not_b32_e32 v39, v196
	v_ashrrev_i32_e32 v43, 31, v43
	s_wait_alu 0xfffd
	v_xor_b32_e32 v41, vcc_lo, v41
	v_cmp_gt_i32_e32 vcc_lo, 0, v196
	v_and_b32_e32 v37, v37, v40
	v_not_b32_e32 v40, v42
	v_ashrrev_i32_e32 v39, 31, v39
	s_wait_alu 0xf1ff
	v_xor_b32_e32 v43, s15, v43
	v_cmp_gt_i32_e64 s15, 0, v42
	v_and_b32_e32 v37, v37, v41
	v_ashrrev_i32_e32 v40, 31, v40
	s_wait_alu 0xfffd
	v_xor_b32_e32 v39, vcc_lo, v39
	v_mad_u32_u24 v41, v38, 36, v118
	v_mul_u32_u24_e32 v38, 36, v38
	v_and_b32_e32 v37, v37, v43
	s_wait_alu 0xf1ff
	v_xor_b32_e32 v40, s15, v40
	ds_load_b32 v196, v41 offset:1056
	v_add_nc_u32_e32 v198, v118, v38
	v_and_b32_e32 v37, v37, v39
	; wave barrier
	s_delay_alu instid0(VALU_DEP_1) | instskip(NEXT) | instid1(VALU_DEP_1)
	v_and_b32_e32 v37, v37, v40
	v_mbcnt_lo_u32_b32 v197, v37, 0
	v_cmp_ne_u32_e64 s15, 0, v37
	s_delay_alu instid0(VALU_DEP_2)
	v_cmp_eq_u32_e32 vcc_lo, 0, v197
	s_and_b32 s16, s15, vcc_lo
	s_wait_alu 0xfffe
	s_and_saveexec_b32 s15, s16
	s_cbranch_execz .LBB1360_459
; %bb.458:                              ;   in Loop: Header=BB1360_393 Depth=2
	s_wait_dscnt 0x0
	v_bcnt_u32_b32 v37, v37, v196
	ds_store_b32 v198, v37 offset:1056
.LBB1360_459:                           ;   in Loop: Header=BB1360_393 Depth=2
	s_wait_alu 0xfffe
	s_or_b32 exec_lo, exec_lo, s15
	v_cmp_gt_i32_e32 vcc_lo, 0, v36
	; wave barrier
	s_wait_alu 0xfffd
	v_cndmask_b32_e64 v37, 0x7fffffff, 0, vcc_lo
	s_delay_alu instid0(VALU_DEP_1) | instskip(NEXT) | instid1(VALU_DEP_1)
	v_xor_b32_e32 v195, v37, v36
	v_cmp_ne_u32_e32 vcc_lo, 0x80000000, v195
	s_wait_alu 0xfffd
	v_cndmask_b32_e32 v36, 0x7fffffff, v195, vcc_lo
	s_delay_alu instid0(VALU_DEP_1) | instskip(NEXT) | instid1(VALU_DEP_1)
	v_lshrrev_b32_e32 v36, s31, v36
	v_and_b32_e32 v37, s48, v36
	s_delay_alu instid0(VALU_DEP_1)
	v_and_b32_e32 v36, 1, v37
	v_lshlrev_b32_e32 v38, 30, v37
	v_lshlrev_b32_e32 v39, 29, v37
	;; [unrolled: 1-line block ×4, first 2 shown]
	v_add_co_u32 v36, s15, v36, -1
	s_wait_alu 0xf1ff
	v_cndmask_b32_e64 v41, 0, 1, s15
	v_not_b32_e32 v200, v38
	v_cmp_gt_i32_e64 s15, 0, v38
	v_not_b32_e32 v38, v39
	v_lshlrev_b32_e32 v43, 26, v37
	v_cmp_ne_u32_e32 vcc_lo, 0, v41
	v_ashrrev_i32_e32 v200, 31, v200
	v_lshlrev_b32_e32 v199, 25, v37
	v_ashrrev_i32_e32 v38, 31, v38
	v_lshlrev_b32_e32 v41, 24, v37
	s_wait_alu 0xfffd
	v_xor_b32_e32 v36, vcc_lo, v36
	v_cmp_gt_i32_e32 vcc_lo, 0, v39
	v_not_b32_e32 v39, v40
	s_wait_alu 0xf1ff
	v_xor_b32_e32 v200, s15, v200
	v_cmp_gt_i32_e64 s15, 0, v40
	v_and_b32_e32 v36, exec_lo, v36
	v_not_b32_e32 v40, v42
	v_ashrrev_i32_e32 v39, 31, v39
	s_wait_alu 0xfffd
	v_xor_b32_e32 v38, vcc_lo, v38
	v_cmp_gt_i32_e32 vcc_lo, 0, v42
	v_and_b32_e32 v36, v36, v200
	v_not_b32_e32 v42, v43
	v_ashrrev_i32_e32 v40, 31, v40
	s_wait_alu 0xf1ff
	v_xor_b32_e32 v39, s15, v39
	v_cmp_gt_i32_e64 s15, 0, v43
	v_and_b32_e32 v36, v36, v38
	v_not_b32_e32 v38, v199
	v_ashrrev_i32_e32 v42, 31, v42
	s_wait_alu 0xfffd
	v_xor_b32_e32 v40, vcc_lo, v40
	v_cmp_gt_i32_e32 vcc_lo, 0, v199
	v_and_b32_e32 v36, v36, v39
	v_not_b32_e32 v39, v41
	v_ashrrev_i32_e32 v38, 31, v38
	s_wait_alu 0xf1ff
	v_xor_b32_e32 v42, s15, v42
	v_cmp_gt_i32_e64 s15, 0, v41
	v_and_b32_e32 v36, v36, v40
	v_ashrrev_i32_e32 v39, 31, v39
	s_wait_alu 0xfffd
	v_xor_b32_e32 v38, vcc_lo, v38
	v_mad_u32_u24 v40, v37, 36, v118
	v_mul_u32_u24_e32 v37, 36, v37
	v_and_b32_e32 v36, v36, v42
	s_wait_alu 0xf1ff
	v_xor_b32_e32 v39, s15, v39
	ds_load_b32 v199, v40 offset:1056
	v_add_nc_u32_e32 v201, v118, v37
	v_and_b32_e32 v36, v36, v38
	; wave barrier
	s_delay_alu instid0(VALU_DEP_1) | instskip(NEXT) | instid1(VALU_DEP_1)
	v_and_b32_e32 v36, v36, v39
	v_mbcnt_lo_u32_b32 v200, v36, 0
	v_cmp_ne_u32_e64 s15, 0, v36
	s_delay_alu instid0(VALU_DEP_2)
	v_cmp_eq_u32_e32 vcc_lo, 0, v200
	s_and_b32 s16, s15, vcc_lo
	s_wait_alu 0xfffe
	s_and_saveexec_b32 s15, s16
	s_cbranch_execz .LBB1360_461
; %bb.460:                              ;   in Loop: Header=BB1360_393 Depth=2
	s_wait_dscnt 0x0
	v_bcnt_u32_b32 v36, v36, v199
	ds_store_b32 v201, v36 offset:1056
.LBB1360_461:                           ;   in Loop: Header=BB1360_393 Depth=2
	s_wait_alu 0xfffe
	s_or_b32 exec_lo, exec_lo, s15
	; wave barrier
	s_wait_loadcnt_dscnt 0x0
	s_barrier_signal -1
	s_barrier_wait -1
	global_inv scope:SCOPE_SE
	ds_load_2addr_b32 v[42:43], v139 offset1:1
	ds_load_2addr_b32 v[40:41], v140 offset1:1
	;; [unrolled: 1-line block ×4, first 2 shown]
	ds_load_b32 v202, v67 offset:1088
	s_wait_dscnt 0x3
	v_add3_u32 v203, v43, v42, v40
	s_wait_dscnt 0x2
	s_delay_alu instid0(VALU_DEP_1) | instskip(SKIP_1) | instid1(VALU_DEP_1)
	v_add3_u32 v203, v203, v41, v38
	s_wait_dscnt 0x1
	v_add3_u32 v203, v203, v39, v36
	s_wait_dscnt 0x0
	s_delay_alu instid0(VALU_DEP_1) | instskip(NEXT) | instid1(VALU_DEP_1)
	v_add3_u32 v202, v203, v37, v202
	v_mov_b32_dpp v203, v202 row_shr:1 row_mask:0xf bank_mask:0xf
	s_delay_alu instid0(VALU_DEP_1) | instskip(NEXT) | instid1(VALU_DEP_1)
	v_cndmask_b32_e64 v203, v203, 0, s0
	v_add_nc_u32_e32 v202, v203, v202
	s_delay_alu instid0(VALU_DEP_1) | instskip(NEXT) | instid1(VALU_DEP_1)
	v_mov_b32_dpp v203, v202 row_shr:2 row_mask:0xf bank_mask:0xf
	v_cndmask_b32_e64 v203, 0, v203, s1
	s_delay_alu instid0(VALU_DEP_1) | instskip(NEXT) | instid1(VALU_DEP_1)
	v_add_nc_u32_e32 v202, v202, v203
	v_mov_b32_dpp v203, v202 row_shr:4 row_mask:0xf bank_mask:0xf
	s_delay_alu instid0(VALU_DEP_1) | instskip(NEXT) | instid1(VALU_DEP_1)
	v_cndmask_b32_e64 v203, 0, v203, s9
	v_add_nc_u32_e32 v202, v202, v203
	s_delay_alu instid0(VALU_DEP_1) | instskip(NEXT) | instid1(VALU_DEP_1)
	v_mov_b32_dpp v203, v202 row_shr:8 row_mask:0xf bank_mask:0xf
	v_cndmask_b32_e64 v203, 0, v203, s10
	s_delay_alu instid0(VALU_DEP_1) | instskip(SKIP_3) | instid1(VALU_DEP_1)
	v_add_nc_u32_e32 v202, v202, v203
	ds_swizzle_b32 v203, v202 offset:swizzle(BROADCAST,32,15)
	s_wait_dscnt 0x0
	v_cndmask_b32_e64 v203, v203, 0, s11
	v_add_nc_u32_e32 v202, v202, v203
	s_and_saveexec_b32 s15, s3
; %bb.462:                              ;   in Loop: Header=BB1360_393 Depth=2
	ds_store_b32 v63, v202 offset:1024
; %bb.463:                              ;   in Loop: Header=BB1360_393 Depth=2
	s_wait_alu 0xfffe
	s_or_b32 exec_lo, exec_lo, s15
	s_wait_loadcnt_dscnt 0x0
	s_barrier_signal -1
	s_barrier_wait -1
	global_inv scope:SCOPE_SE
	s_and_saveexec_b32 s15, s4
	s_cbranch_execz .LBB1360_465
; %bb.464:                              ;   in Loop: Header=BB1360_393 Depth=2
	ds_load_b32 v203, v70 offset:1024
	s_wait_dscnt 0x0
	v_mov_b32_dpp v204, v203 row_shr:1 row_mask:0xf bank_mask:0xf
	s_delay_alu instid0(VALU_DEP_1) | instskip(NEXT) | instid1(VALU_DEP_1)
	v_cndmask_b32_e64 v204, v204, 0, s12
	v_add_nc_u32_e32 v203, v204, v203
	s_delay_alu instid0(VALU_DEP_1) | instskip(NEXT) | instid1(VALU_DEP_1)
	v_mov_b32_dpp v204, v203 row_shr:2 row_mask:0xf bank_mask:0xf
	v_cndmask_b32_e64 v204, 0, v204, s13
	s_delay_alu instid0(VALU_DEP_1) | instskip(NEXT) | instid1(VALU_DEP_1)
	v_add_nc_u32_e32 v203, v203, v204
	v_mov_b32_dpp v204, v203 row_shr:4 row_mask:0xf bank_mask:0xf
	s_delay_alu instid0(VALU_DEP_1) | instskip(NEXT) | instid1(VALU_DEP_1)
	v_cndmask_b32_e64 v204, 0, v204, s14
	v_add_nc_u32_e32 v203, v203, v204
	ds_store_b32 v70, v203 offset:1024
.LBB1360_465:                           ;   in Loop: Header=BB1360_393 Depth=2
	s_wait_alu 0xfffe
	s_or_b32 exec_lo, exec_lo, s15
	v_mov_b32_e32 v203, 0
	s_wait_loadcnt_dscnt 0x0
	s_barrier_signal -1
	s_barrier_wait -1
	global_inv scope:SCOPE_SE
	s_and_saveexec_b32 s15, s5
; %bb.466:                              ;   in Loop: Header=BB1360_393 Depth=2
	ds_load_b32 v203, v63 offset:1020
; %bb.467:                              ;   in Loop: Header=BB1360_393 Depth=2
	s_wait_alu 0xfffe
	s_or_b32 exec_lo, exec_lo, s15
	s_wait_dscnt 0x0
	v_add_nc_u32_e32 v202, v203, v202
	ds_bpermute_b32 v202, v113, v202
	s_wait_dscnt 0x0
	v_cndmask_b32_e64 v202, v202, v203, s8
	s_delay_alu instid0(VALU_DEP_1) | instskip(NEXT) | instid1(VALU_DEP_1)
	v_cndmask_b32_e64 v202, v202, 0, s6
	v_add_nc_u32_e32 v42, v202, v42
	s_delay_alu instid0(VALU_DEP_1) | instskip(NEXT) | instid1(VALU_DEP_1)
	v_add_nc_u32_e32 v43, v42, v43
	v_add_nc_u32_e32 v40, v43, v40
	s_delay_alu instid0(VALU_DEP_1) | instskip(NEXT) | instid1(VALU_DEP_1)
	v_add_nc_u32_e32 v41, v40, v41
	v_add_nc_u32_e32 v38, v41, v38
	s_delay_alu instid0(VALU_DEP_1) | instskip(NEXT) | instid1(VALU_DEP_1)
	v_add_nc_u32_e32 v39, v38, v39
	v_add_nc_u32_e32 v36, v39, v36
	s_delay_alu instid0(VALU_DEP_1)
	v_add_nc_u32_e32 v37, v36, v37
	ds_store_2addr_b32 v138, v39, v36 offset1:1
	ds_store_2addr_b32 v139, v202, v42 offset1:1
	ds_store_2addr_b32 v140, v43, v40 offset1:1
	ds_store_2addr_b32 v141, v41, v38 offset1:1
	ds_store_b32 v67, v37 offset:1088
	s_wait_loadcnt_dscnt 0x0
	s_barrier_signal -1
	s_barrier_wait -1
	global_inv scope:SCOPE_SE
	ds_load_b32 v39, v142 offset:1056
	ds_load_b32 v41, v146 offset:1056
	;; [unrolled: 1-line block ×17, first 2 shown]
	v_mov_b32_e32 v38, 0x1000
	s_and_saveexec_b32 s15, s7
; %bb.468:                              ;   in Loop: Header=BB1360_393 Depth=2
	ds_load_b32 v38, v67 offset:1092
; %bb.469:                              ;   in Loop: Header=BB1360_393 Depth=2
	s_wait_alu 0xfffe
	s_or_b32 exec_lo, exec_lo, s15
	s_wait_loadcnt_dscnt 0x0
	s_barrier_signal -1
	s_barrier_wait -1
	global_inv scope:SCOPE_SE
	s_and_saveexec_b32 s15, s2
	s_cbranch_execz .LBB1360_471
; %bb.470:                              ;   in Loop: Header=BB1360_393 Depth=2
	ds_load_b32 v142, v44
	s_wait_dscnt 0x0
	v_sub_nc_u32_e32 v141, v142, v141
	ds_store_b32 v44, v141
.LBB1360_471:                           ;   in Loop: Header=BB1360_393 Depth=2
	s_wait_alu 0xfffe
	s_or_b32 exec_lo, exec_lo, s15
	v_add_nc_u32_e32 v154, v39, v137
	v_add3_u32 v150, v145, v144, v41
	v_add3_u32 v146, v149, v148, v42
	;; [unrolled: 1-line block ×4, first 2 shown]
	v_lshlrev_b32_e32 v148, 2, v154
	v_add3_u32 v142, v161, v160, v139
	v_add3_u32 v141, v165, v164, v140
	;; [unrolled: 1-line block ×4, first 2 shown]
	ds_store_b32 v148, v2 offset:1024
	v_lshlrev_b32_e32 v2, 2, v150
	v_lshlrev_b32_e32 v36, 2, v146
	v_add3_u32 v139, v173, v172, v167
	v_add3_u32 v42, v193, v192, v37
	v_lshlrev_b32_e32 v37, 2, v145
	v_add3_u32 v138, v177, v176, v170
	v_lshlrev_b32_e32 v148, 2, v144
	;; [unrolled: 2-line block ×3, first 2 shown]
	v_add3_u32 v39, v185, v184, v178
	ds_store_b32 v2, v136 offset:1024
	ds_store_b32 v36, v143 offset:1024
	;; [unrolled: 1-line block ×5, first 2 shown]
	v_lshlrev_b32_e32 v2, 2, v141
	v_lshlrev_b32_e32 v36, 2, v140
	;; [unrolled: 1-line block ×3, first 2 shown]
	v_add3_u32 v41, v197, v196, v40
	v_lshlrev_b32_e32 v136, 2, v138
	v_add3_u32 v40, v200, v199, v158
	v_lshlrev_b32_e32 v143, 2, v137
	ds_store_b32 v2, v159 offset:1024
	ds_store_b32 v36, v163 offset:1024
	;; [unrolled: 1-line block ×5, first 2 shown]
	v_lshlrev_b32_e32 v2, 2, v39
	v_cmp_lt_u32_e32 vcc_lo, v1, v135
	v_lshlrev_b32_e32 v36, 2, v43
	v_lshlrev_b32_e32 v37, 2, v42
	;; [unrolled: 1-line block ×4, first 2 shown]
	ds_store_b32 v2, v179 offset:1024
	ds_store_b32 v36, v183 offset:1024
	;; [unrolled: 1-line block ×5, first 2 shown]
	s_wait_loadcnt_dscnt 0x0
	s_barrier_signal -1
	s_barrier_wait -1
	global_inv scope:SCOPE_SE
	s_and_saveexec_b32 s16, vcc_lo
	s_cbranch_execnz .LBB1360_540
; %bb.472:                              ;   in Loop: Header=BB1360_393 Depth=2
	s_wait_alu 0xfffe
	s_or_b32 exec_lo, exec_lo, s16
	v_cmp_lt_u32_e64 s15, v45, v135
	s_and_saveexec_b32 s17, s15
	s_cbranch_execnz .LBB1360_541
.LBB1360_473:                           ;   in Loop: Header=BB1360_393 Depth=2
	s_wait_alu 0xfffe
	s_or_b32 exec_lo, exec_lo, s17
	v_cmp_lt_u32_e64 s16, v46, v135
	s_and_saveexec_b32 s18, s16
	s_cbranch_execnz .LBB1360_542
.LBB1360_474:                           ;   in Loop: Header=BB1360_393 Depth=2
	s_wait_alu 0xfffe
	s_or_b32 exec_lo, exec_lo, s18
	v_cmp_lt_u32_e64 s17, v47, v135
	s_and_saveexec_b32 s19, s17
	s_cbranch_execnz .LBB1360_543
.LBB1360_475:                           ;   in Loop: Header=BB1360_393 Depth=2
	s_wait_alu 0xfffe
	s_or_b32 exec_lo, exec_lo, s19
	v_cmp_lt_u32_e64 s18, v50, v135
	s_and_saveexec_b32 s20, s18
	s_cbranch_execnz .LBB1360_544
.LBB1360_476:                           ;   in Loop: Header=BB1360_393 Depth=2
	s_wait_alu 0xfffe
	s_or_b32 exec_lo, exec_lo, s20
	v_cmp_lt_u32_e64 s19, v51, v135
	s_and_saveexec_b32 s21, s19
	s_cbranch_execnz .LBB1360_545
.LBB1360_477:                           ;   in Loop: Header=BB1360_393 Depth=2
	s_wait_alu 0xfffe
	s_or_b32 exec_lo, exec_lo, s21
	v_cmp_lt_u32_e64 s20, v52, v135
	s_and_saveexec_b32 s22, s20
	s_cbranch_execnz .LBB1360_546
.LBB1360_478:                           ;   in Loop: Header=BB1360_393 Depth=2
	s_wait_alu 0xfffe
	s_or_b32 exec_lo, exec_lo, s22
	v_cmp_lt_u32_e64 s21, v53, v135
	s_and_saveexec_b32 s23, s21
	s_cbranch_execnz .LBB1360_547
.LBB1360_479:                           ;   in Loop: Header=BB1360_393 Depth=2
	s_wait_alu 0xfffe
	s_or_b32 exec_lo, exec_lo, s23
	v_cmp_lt_u32_e64 s22, v54, v135
	s_and_saveexec_b32 s24, s22
	s_cbranch_execnz .LBB1360_548
.LBB1360_480:                           ;   in Loop: Header=BB1360_393 Depth=2
	s_wait_alu 0xfffe
	s_or_b32 exec_lo, exec_lo, s24
	v_cmp_lt_u32_e64 s23, v55, v135
	s_and_saveexec_b32 s25, s23
	s_cbranch_execnz .LBB1360_549
.LBB1360_481:                           ;   in Loop: Header=BB1360_393 Depth=2
	s_wait_alu 0xfffe
	s_or_b32 exec_lo, exec_lo, s25
	v_cmp_lt_u32_e64 s24, v56, v135
	s_and_saveexec_b32 s26, s24
	s_cbranch_execnz .LBB1360_550
.LBB1360_482:                           ;   in Loop: Header=BB1360_393 Depth=2
	s_wait_alu 0xfffe
	s_or_b32 exec_lo, exec_lo, s26
	v_cmp_lt_u32_e64 s25, v57, v135
	s_and_saveexec_b32 s27, s25
	s_cbranch_execnz .LBB1360_551
.LBB1360_483:                           ;   in Loop: Header=BB1360_393 Depth=2
	s_wait_alu 0xfffe
	s_or_b32 exec_lo, exec_lo, s27
	v_cmp_lt_u32_e64 s26, v58, v135
	s_and_saveexec_b32 s28, s26
	s_cbranch_execnz .LBB1360_552
.LBB1360_484:                           ;   in Loop: Header=BB1360_393 Depth=2
	s_wait_alu 0xfffe
	s_or_b32 exec_lo, exec_lo, s28
	v_cmp_lt_u32_e64 s27, v59, v135
	s_and_saveexec_b32 s29, s27
	s_cbranch_execnz .LBB1360_553
.LBB1360_485:                           ;   in Loop: Header=BB1360_393 Depth=2
	s_wait_alu 0xfffe
	s_or_b32 exec_lo, exec_lo, s29
	v_cmp_lt_u32_e64 s28, v60, v135
	s_and_saveexec_b32 s30, s28
	s_cbranch_execnz .LBB1360_554
.LBB1360_486:                           ;   in Loop: Header=BB1360_393 Depth=2
	s_wait_alu 0xfffe
	s_or_b32 exec_lo, exec_lo, s30
	v_cmp_lt_u32_e64 s29, v61, v135
	s_and_saveexec_b32 s56, s29
	s_cbranch_execz .LBB1360_488
.LBB1360_487:                           ;   in Loop: Header=BB1360_393 Depth=2
	ds_load_b32 v136, v70 offset:16384
	s_wait_dscnt 0x0
	v_cmp_ne_u32_e64 s30, 0x80000000, v136
	s_wait_alu 0xf1ff
	s_delay_alu instid0(VALU_DEP_1) | instskip(SKIP_1) | instid1(VALU_DEP_2)
	v_cndmask_b32_e64 v2, 0x7fffffff, v136, s30
	v_cmp_gt_i32_e64 s30, 0, v136
	v_lshrrev_b32_e32 v2, s31, v2
	s_wait_alu 0xf1ff
	s_delay_alu instid0(VALU_DEP_2) | instskip(NEXT) | instid1(VALU_DEP_2)
	v_cndmask_b32_e64 v143, 0x7fffffff, 0, s30
	v_and_b32_e32 v2, s48, v2
	s_delay_alu instid0(VALU_DEP_1) | instskip(SKIP_3) | instid1(VALU_DEP_1)
	v_lshlrev_b32_e32 v2, 2, v2
	ds_load_b32 v2, v2
	s_wait_dscnt 0x0
	v_add_nc_u32_e32 v2, v2, v61
	v_lshlrev_b64_e32 v[36:37], 2, v[2:3]
	v_xor_b32_e32 v2, v143, v136
	s_delay_alu instid0(VALU_DEP_2) | instskip(SKIP_1) | instid1(VALU_DEP_3)
	v_add_co_u32 v36, s30, s40, v36
	s_wait_alu 0xf1ff
	v_add_co_ci_u32_e64 v37, null, s41, v37, s30
	global_store_b32 v[36:37], v2, off
.LBB1360_488:                           ;   in Loop: Header=BB1360_393 Depth=2
	s_wait_alu 0xfffe
	s_or_b32 exec_lo, exec_lo, s56
	s_lshl_b64 s[56:57], s[42:43], 3
	s_wait_alu 0xfffe
	v_add_co_u32 v36, s30, v114, s56
	s_wait_alu 0xf1ff
	v_add_co_ci_u32_e64 v37, null, s57, v115, s30
	v_cmp_lt_u32_e64 s30, v88, v135
	s_and_saveexec_b32 s42, s30
	s_wait_alu 0xfffe
	s_xor_b32 s30, exec_lo, s42
	s_cbranch_execnz .LBB1360_555
; %bb.489:                              ;   in Loop: Header=BB1360_393 Depth=2
	s_wait_alu 0xfffe
	s_or_b32 exec_lo, exec_lo, s30
	s_delay_alu instid0(SALU_CYCLE_1)
	s_mov_b32 s42, exec_lo
	v_cmpx_lt_u32_e64 v92, v135
	s_cbranch_execnz .LBB1360_556
.LBB1360_490:                           ;   in Loop: Header=BB1360_393 Depth=2
	s_wait_alu 0xfffe
	s_or_b32 exec_lo, exec_lo, s42
	s_delay_alu instid0(SALU_CYCLE_1)
	s_mov_b32 s42, exec_lo
	v_cmpx_lt_u32_e64 v93, v135
	s_cbranch_execnz .LBB1360_557
.LBB1360_491:                           ;   in Loop: Header=BB1360_393 Depth=2
	s_wait_alu 0xfffe
	s_or_b32 exec_lo, exec_lo, s42
	s_delay_alu instid0(SALU_CYCLE_1)
	s_mov_b32 s42, exec_lo
	v_cmpx_lt_u32_e64 v94, v135
	s_cbranch_execnz .LBB1360_558
.LBB1360_492:                           ;   in Loop: Header=BB1360_393 Depth=2
	s_wait_alu 0xfffe
	s_or_b32 exec_lo, exec_lo, s42
	s_delay_alu instid0(SALU_CYCLE_1)
	s_mov_b32 s42, exec_lo
	v_cmpx_lt_u32_e64 v95, v135
	s_cbranch_execnz .LBB1360_559
.LBB1360_493:                           ;   in Loop: Header=BB1360_393 Depth=2
	s_wait_alu 0xfffe
	s_or_b32 exec_lo, exec_lo, s42
	s_delay_alu instid0(SALU_CYCLE_1)
	s_mov_b32 s42, exec_lo
	v_cmpx_lt_u32_e64 v96, v135
	s_cbranch_execnz .LBB1360_560
.LBB1360_494:                           ;   in Loop: Header=BB1360_393 Depth=2
	s_wait_alu 0xfffe
	s_or_b32 exec_lo, exec_lo, s42
	s_delay_alu instid0(SALU_CYCLE_1)
	s_mov_b32 s42, exec_lo
	v_cmpx_lt_u32_e64 v97, v135
	s_cbranch_execnz .LBB1360_561
.LBB1360_495:                           ;   in Loop: Header=BB1360_393 Depth=2
	s_wait_alu 0xfffe
	s_or_b32 exec_lo, exec_lo, s42
	s_delay_alu instid0(SALU_CYCLE_1)
	s_mov_b32 s42, exec_lo
	v_cmpx_lt_u32_e64 v98, v135
	s_cbranch_execnz .LBB1360_562
.LBB1360_496:                           ;   in Loop: Header=BB1360_393 Depth=2
	s_wait_alu 0xfffe
	s_or_b32 exec_lo, exec_lo, s42
	s_delay_alu instid0(SALU_CYCLE_1)
	s_mov_b32 s42, exec_lo
	v_cmpx_lt_u32_e64 v99, v135
	s_cbranch_execnz .LBB1360_563
.LBB1360_497:                           ;   in Loop: Header=BB1360_393 Depth=2
	s_wait_alu 0xfffe
	s_or_b32 exec_lo, exec_lo, s42
	s_delay_alu instid0(SALU_CYCLE_1)
	s_mov_b32 s42, exec_lo
	v_cmpx_lt_u32_e64 v100, v135
	s_cbranch_execnz .LBB1360_564
.LBB1360_498:                           ;   in Loop: Header=BB1360_393 Depth=2
	s_wait_alu 0xfffe
	s_or_b32 exec_lo, exec_lo, s42
	s_delay_alu instid0(SALU_CYCLE_1)
	s_mov_b32 s42, exec_lo
	v_cmpx_lt_u32_e64 v101, v135
	s_cbranch_execnz .LBB1360_565
.LBB1360_499:                           ;   in Loop: Header=BB1360_393 Depth=2
	s_wait_alu 0xfffe
	s_or_b32 exec_lo, exec_lo, s42
	s_delay_alu instid0(SALU_CYCLE_1)
	s_mov_b32 s42, exec_lo
	v_cmpx_lt_u32_e64 v102, v135
	s_cbranch_execnz .LBB1360_566
.LBB1360_500:                           ;   in Loop: Header=BB1360_393 Depth=2
	s_wait_alu 0xfffe
	s_or_b32 exec_lo, exec_lo, s42
	s_delay_alu instid0(SALU_CYCLE_1)
	s_mov_b32 s42, exec_lo
	v_cmpx_lt_u32_e64 v103, v135
	s_cbranch_execnz .LBB1360_567
.LBB1360_501:                           ;   in Loop: Header=BB1360_393 Depth=2
	s_wait_alu 0xfffe
	s_or_b32 exec_lo, exec_lo, s42
	s_delay_alu instid0(SALU_CYCLE_1)
	s_mov_b32 s42, exec_lo
	v_cmpx_lt_u32_e64 v104, v135
	s_cbranch_execnz .LBB1360_568
.LBB1360_502:                           ;   in Loop: Header=BB1360_393 Depth=2
	s_wait_alu 0xfffe
	s_or_b32 exec_lo, exec_lo, s42
	s_delay_alu instid0(SALU_CYCLE_1)
	s_mov_b32 s42, exec_lo
	v_cmpx_lt_u32_e64 v105, v135
	s_cbranch_execnz .LBB1360_569
.LBB1360_503:                           ;   in Loop: Header=BB1360_393 Depth=2
	s_wait_alu 0xfffe
	s_or_b32 exec_lo, exec_lo, s42
	s_delay_alu instid0(SALU_CYCLE_1)
	s_mov_b32 s42, exec_lo
	v_cmpx_lt_u32_e64 v106, v135
	s_cbranch_execnz .LBB1360_570
.LBB1360_504:                           ;   in Loop: Header=BB1360_393 Depth=2
	s_wait_alu 0xfffe
	s_or_b32 exec_lo, exec_lo, s42
	s_and_saveexec_b32 s42, vcc_lo
	s_cbranch_execnz .LBB1360_571
.LBB1360_505:                           ;   in Loop: Header=BB1360_393 Depth=2
	s_wait_alu 0xfffe
	s_or_b32 exec_lo, exec_lo, s42
	s_and_saveexec_b32 s42, s15
	s_cbranch_execnz .LBB1360_572
.LBB1360_506:                           ;   in Loop: Header=BB1360_393 Depth=2
	s_wait_alu 0xfffe
	s_or_b32 exec_lo, exec_lo, s42
	s_and_saveexec_b32 s42, s16
	s_cbranch_execnz .LBB1360_573
.LBB1360_507:                           ;   in Loop: Header=BB1360_393 Depth=2
	s_wait_alu 0xfffe
	s_or_b32 exec_lo, exec_lo, s42
	s_and_saveexec_b32 s42, s17
	s_cbranch_execnz .LBB1360_574
.LBB1360_508:                           ;   in Loop: Header=BB1360_393 Depth=2
	s_wait_alu 0xfffe
	s_or_b32 exec_lo, exec_lo, s42
	s_and_saveexec_b32 s42, s18
	s_cbranch_execnz .LBB1360_575
.LBB1360_509:                           ;   in Loop: Header=BB1360_393 Depth=2
	s_wait_alu 0xfffe
	s_or_b32 exec_lo, exec_lo, s42
	s_and_saveexec_b32 s42, s19
	s_cbranch_execnz .LBB1360_576
.LBB1360_510:                           ;   in Loop: Header=BB1360_393 Depth=2
	s_wait_alu 0xfffe
	s_or_b32 exec_lo, exec_lo, s42
	s_and_saveexec_b32 s42, s20
	s_cbranch_execnz .LBB1360_577
.LBB1360_511:                           ;   in Loop: Header=BB1360_393 Depth=2
	s_wait_alu 0xfffe
	s_or_b32 exec_lo, exec_lo, s42
	s_and_saveexec_b32 s42, s21
	s_cbranch_execnz .LBB1360_578
.LBB1360_512:                           ;   in Loop: Header=BB1360_393 Depth=2
	s_wait_alu 0xfffe
	s_or_b32 exec_lo, exec_lo, s42
	s_and_saveexec_b32 s42, s22
	s_cbranch_execnz .LBB1360_579
.LBB1360_513:                           ;   in Loop: Header=BB1360_393 Depth=2
	s_wait_alu 0xfffe
	s_or_b32 exec_lo, exec_lo, s42
	s_and_saveexec_b32 s42, s23
	s_cbranch_execnz .LBB1360_580
.LBB1360_514:                           ;   in Loop: Header=BB1360_393 Depth=2
	s_wait_alu 0xfffe
	s_or_b32 exec_lo, exec_lo, s42
	s_and_saveexec_b32 s42, s24
	s_cbranch_execnz .LBB1360_581
.LBB1360_515:                           ;   in Loop: Header=BB1360_393 Depth=2
	s_wait_alu 0xfffe
	s_or_b32 exec_lo, exec_lo, s42
	s_and_saveexec_b32 s42, s25
	s_cbranch_execnz .LBB1360_582
.LBB1360_516:                           ;   in Loop: Header=BB1360_393 Depth=2
	s_wait_alu 0xfffe
	s_or_b32 exec_lo, exec_lo, s42
	s_and_saveexec_b32 s42, s26
	s_cbranch_execnz .LBB1360_583
.LBB1360_517:                           ;   in Loop: Header=BB1360_393 Depth=2
	s_wait_alu 0xfffe
	s_or_b32 exec_lo, exec_lo, s42
	s_and_saveexec_b32 s42, s27
	s_cbranch_execnz .LBB1360_584
.LBB1360_518:                           ;   in Loop: Header=BB1360_393 Depth=2
	s_wait_alu 0xfffe
	s_or_b32 exec_lo, exec_lo, s42
	s_and_saveexec_b32 s42, s28
	s_cbranch_execnz .LBB1360_585
.LBB1360_519:                           ;   in Loop: Header=BB1360_393 Depth=2
	s_wait_alu 0xfffe
	s_or_b32 exec_lo, exec_lo, s42
	s_and_saveexec_b32 s42, s29
	s_cbranch_execz .LBB1360_521
.LBB1360_520:                           ;   in Loop: Header=BB1360_393 Depth=2
	ds_load_b32 v2, v70 offset:16384
	s_wait_dscnt 0x0
	v_cmp_ne_u32_e64 s30, 0x80000000, v2
	s_wait_alu 0xf1ff
	s_delay_alu instid0(VALU_DEP_1) | instskip(NEXT) | instid1(VALU_DEP_1)
	v_cndmask_b32_e64 v2, 0x7fffffff, v2, s30
	v_lshrrev_b32_e32 v2, s31, v2
	s_delay_alu instid0(VALU_DEP_1)
	v_and_b32_e32 v119, s48, v2
.LBB1360_521:                           ;   in Loop: Header=BB1360_393 Depth=2
	s_wait_alu 0xfffe
	s_or_b32 exec_lo, exec_lo, s42
	v_lshlrev_b32_e32 v2, 3, v154
	s_wait_loadcnt 0x0
	s_wait_storecnt 0x0
	s_barrier_signal -1
	s_barrier_wait -1
	global_inv scope:SCOPE_SE
	ds_store_b64 v2, v[34:35] offset:1024
	v_lshlrev_b32_e32 v2, 3, v150
	v_lshlrev_b32_e32 v36, 3, v146
	v_lshlrev_b32_e32 v37, 3, v145
	v_lshlrev_b32_e32 v135, 3, v144
	v_lshlrev_b32_e32 v136, 3, v142
	ds_store_b64 v2, v[32:33] offset:1024
	ds_store_b64 v36, v[30:31] offset:1024
	ds_store_b64 v37, v[28:29] offset:1024
	ds_store_b64 v135, v[26:27] offset:1024
	ds_store_b64 v136, v[24:25] offset:1024
	v_lshlrev_b32_e32 v2, 3, v141
	v_lshlrev_b32_e32 v36, 3, v140
	v_lshlrev_b32_e32 v37, 3, v139
	v_lshlrev_b32_e32 v135, 3, v138
	v_lshlrev_b32_e32 v136, 3, v137
	ds_store_b64 v2, v[22:23] offset:1024
	ds_store_b64 v36, v[20:21] offset:1024
	ds_store_b64 v37, v[18:19] offset:1024
	ds_store_b64 v135, v[16:17] offset:1024
	;; [unrolled: 10-line block ×3, first 2 shown]
	ds_store_b64 v40, v[4:5] offset:1024
	s_wait_loadcnt_dscnt 0x0
	s_barrier_signal -1
	s_barrier_wait -1
	global_inv scope:SCOPE_SE
	s_and_saveexec_b32 s30, vcc_lo
	s_cbranch_execnz .LBB1360_586
; %bb.522:                              ;   in Loop: Header=BB1360_393 Depth=2
	s_wait_alu 0xfffe
	s_or_b32 exec_lo, exec_lo, s30
	s_and_saveexec_b32 s30, s15
	s_cbranch_execnz .LBB1360_587
.LBB1360_523:                           ;   in Loop: Header=BB1360_393 Depth=2
	s_wait_alu 0xfffe
	s_or_b32 exec_lo, exec_lo, s30
	s_and_saveexec_b32 s15, s16
	s_cbranch_execnz .LBB1360_588
.LBB1360_524:                           ;   in Loop: Header=BB1360_393 Depth=2
	s_wait_alu 0xfffe
	s_or_b32 exec_lo, exec_lo, s15
	s_and_saveexec_b32 s15, s17
	s_cbranch_execnz .LBB1360_589
.LBB1360_525:                           ;   in Loop: Header=BB1360_393 Depth=2
	s_wait_alu 0xfffe
	s_or_b32 exec_lo, exec_lo, s15
	s_and_saveexec_b32 s15, s18
	s_cbranch_execnz .LBB1360_590
.LBB1360_526:                           ;   in Loop: Header=BB1360_393 Depth=2
	s_wait_alu 0xfffe
	s_or_b32 exec_lo, exec_lo, s15
	s_and_saveexec_b32 s15, s19
	s_cbranch_execnz .LBB1360_591
.LBB1360_527:                           ;   in Loop: Header=BB1360_393 Depth=2
	s_wait_alu 0xfffe
	s_or_b32 exec_lo, exec_lo, s15
	s_and_saveexec_b32 s15, s20
	s_cbranch_execnz .LBB1360_592
.LBB1360_528:                           ;   in Loop: Header=BB1360_393 Depth=2
	s_wait_alu 0xfffe
	s_or_b32 exec_lo, exec_lo, s15
	s_and_saveexec_b32 s15, s21
	s_cbranch_execnz .LBB1360_593
.LBB1360_529:                           ;   in Loop: Header=BB1360_393 Depth=2
	s_wait_alu 0xfffe
	s_or_b32 exec_lo, exec_lo, s15
	s_and_saveexec_b32 s15, s22
	s_cbranch_execnz .LBB1360_594
.LBB1360_530:                           ;   in Loop: Header=BB1360_393 Depth=2
	s_wait_alu 0xfffe
	s_or_b32 exec_lo, exec_lo, s15
	s_and_saveexec_b32 s15, s23
	s_cbranch_execnz .LBB1360_595
.LBB1360_531:                           ;   in Loop: Header=BB1360_393 Depth=2
	s_wait_alu 0xfffe
	s_or_b32 exec_lo, exec_lo, s15
	s_and_saveexec_b32 s15, s24
	s_cbranch_execnz .LBB1360_596
.LBB1360_532:                           ;   in Loop: Header=BB1360_393 Depth=2
	s_wait_alu 0xfffe
	s_or_b32 exec_lo, exec_lo, s15
	s_and_saveexec_b32 s15, s25
	s_cbranch_execnz .LBB1360_597
.LBB1360_533:                           ;   in Loop: Header=BB1360_393 Depth=2
	s_wait_alu 0xfffe
	s_or_b32 exec_lo, exec_lo, s15
	s_and_saveexec_b32 s15, s26
	s_cbranch_execnz .LBB1360_598
.LBB1360_534:                           ;   in Loop: Header=BB1360_393 Depth=2
	s_wait_alu 0xfffe
	s_or_b32 exec_lo, exec_lo, s15
	s_and_saveexec_b32 s15, s27
	s_cbranch_execnz .LBB1360_599
.LBB1360_535:                           ;   in Loop: Header=BB1360_393 Depth=2
	s_wait_alu 0xfffe
	s_or_b32 exec_lo, exec_lo, s15
	s_and_saveexec_b32 s15, s28
	s_cbranch_execnz .LBB1360_600
.LBB1360_536:                           ;   in Loop: Header=BB1360_393 Depth=2
	s_wait_alu 0xfffe
	s_or_b32 exec_lo, exec_lo, s15
	s_and_saveexec_b32 s15, s29
	s_cbranch_execz .LBB1360_538
.LBB1360_537:                           ;   in Loop: Header=BB1360_393 Depth=2
	v_lshlrev_b32_e32 v2, 2, v119
	v_add_nc_u32_e32 v36, v70, v44
	ds_load_b32 v2, v2
	ds_load_b64 v[36:37], v36 offset:31744
	s_wait_dscnt 0x1
	v_add_nc_u32_e32 v2, v2, v61
	s_delay_alu instid0(VALU_DEP_1) | instskip(NEXT) | instid1(VALU_DEP_1)
	v_lshlrev_b64_e32 v[39:40], 3, v[2:3]
	v_add_co_u32 v39, vcc_lo, s46, v39
	s_wait_alu 0xfffd
	s_delay_alu instid0(VALU_DEP_2)
	v_add_co_ci_u32_e64 v40, null, s47, v40, vcc_lo
	s_wait_dscnt 0x0
	global_store_b64 v[39:40], v[36:37], off
.LBB1360_538:                           ;   in Loop: Header=BB1360_393 Depth=2
	s_wait_alu 0xfffe
	s_or_b32 exec_lo, exec_lo, s15
	s_wait_loadcnt 0x0
	s_wait_storecnt 0x0
	s_barrier_signal -1
	s_barrier_wait -1
	global_inv scope:SCOPE_SE
	s_and_saveexec_b32 s15, s2
	s_cbranch_execz .LBB1360_392
; %bb.539:                              ;   in Loop: Header=BB1360_393 Depth=2
	ds_load_b32 v2, v44
	s_wait_dscnt 0x0
	v_add_nc_u32_e32 v2, v2, v38
	ds_store_b32 v44, v2
	s_branch .LBB1360_392
.LBB1360_540:                           ;   in Loop: Header=BB1360_393 Depth=2
	ds_load_b32 v136, v70 offset:1024
	s_wait_dscnt 0x0
	v_cmp_ne_u32_e64 s15, 0x80000000, v136
	s_wait_alu 0xf1ff
	s_delay_alu instid0(VALU_DEP_1) | instskip(SKIP_1) | instid1(VALU_DEP_2)
	v_cndmask_b32_e64 v2, 0x7fffffff, v136, s15
	v_cmp_gt_i32_e64 s15, 0, v136
	v_lshrrev_b32_e32 v2, s31, v2
	s_wait_alu 0xf1ff
	s_delay_alu instid0(VALU_DEP_2) | instskip(NEXT) | instid1(VALU_DEP_2)
	v_cndmask_b32_e64 v143, 0x7fffffff, 0, s15
	v_and_b32_e32 v2, s48, v2
	s_delay_alu instid0(VALU_DEP_1) | instskip(SKIP_3) | instid1(VALU_DEP_1)
	v_lshlrev_b32_e32 v2, 2, v2
	ds_load_b32 v2, v2
	s_wait_dscnt 0x0
	v_add_nc_u32_e32 v2, v2, v1
	v_lshlrev_b64_e32 v[36:37], 2, v[2:3]
	v_xor_b32_e32 v2, v143, v136
	s_delay_alu instid0(VALU_DEP_2) | instskip(SKIP_1) | instid1(VALU_DEP_3)
	v_add_co_u32 v36, s15, s40, v36
	s_wait_alu 0xf1ff
	v_add_co_ci_u32_e64 v37, null, s41, v37, s15
	global_store_b32 v[36:37], v2, off
	s_wait_alu 0xfffe
	s_or_b32 exec_lo, exec_lo, s16
	v_cmp_lt_u32_e64 s15, v45, v135
	s_and_saveexec_b32 s17, s15
	s_cbranch_execz .LBB1360_473
.LBB1360_541:                           ;   in Loop: Header=BB1360_393 Depth=2
	ds_load_b32 v136, v70 offset:2048
	s_wait_dscnt 0x0
	v_cmp_ne_u32_e64 s16, 0x80000000, v136
	s_wait_alu 0xf1ff
	s_delay_alu instid0(VALU_DEP_1) | instskip(SKIP_1) | instid1(VALU_DEP_2)
	v_cndmask_b32_e64 v2, 0x7fffffff, v136, s16
	v_cmp_gt_i32_e64 s16, 0, v136
	v_lshrrev_b32_e32 v2, s31, v2
	s_wait_alu 0xf1ff
	s_delay_alu instid0(VALU_DEP_2) | instskip(NEXT) | instid1(VALU_DEP_2)
	v_cndmask_b32_e64 v143, 0x7fffffff, 0, s16
	v_and_b32_e32 v2, s48, v2
	s_delay_alu instid0(VALU_DEP_1) | instskip(SKIP_3) | instid1(VALU_DEP_1)
	v_lshlrev_b32_e32 v2, 2, v2
	ds_load_b32 v2, v2
	s_wait_dscnt 0x0
	v_add_nc_u32_e32 v2, v2, v45
	v_lshlrev_b64_e32 v[36:37], 2, v[2:3]
	v_xor_b32_e32 v2, v143, v136
	s_delay_alu instid0(VALU_DEP_2) | instskip(SKIP_1) | instid1(VALU_DEP_3)
	v_add_co_u32 v36, s16, s40, v36
	s_wait_alu 0xf1ff
	v_add_co_ci_u32_e64 v37, null, s41, v37, s16
	global_store_b32 v[36:37], v2, off
	s_wait_alu 0xfffe
	s_or_b32 exec_lo, exec_lo, s17
	v_cmp_lt_u32_e64 s16, v46, v135
	s_and_saveexec_b32 s18, s16
	s_cbranch_execz .LBB1360_474
.LBB1360_542:                           ;   in Loop: Header=BB1360_393 Depth=2
	ds_load_b32 v136, v70 offset:3072
	s_wait_dscnt 0x0
	v_cmp_ne_u32_e64 s17, 0x80000000, v136
	s_wait_alu 0xf1ff
	s_delay_alu instid0(VALU_DEP_1) | instskip(SKIP_1) | instid1(VALU_DEP_2)
	v_cndmask_b32_e64 v2, 0x7fffffff, v136, s17
	v_cmp_gt_i32_e64 s17, 0, v136
	v_lshrrev_b32_e32 v2, s31, v2
	s_wait_alu 0xf1ff
	s_delay_alu instid0(VALU_DEP_2) | instskip(NEXT) | instid1(VALU_DEP_2)
	v_cndmask_b32_e64 v143, 0x7fffffff, 0, s17
	v_and_b32_e32 v2, s48, v2
	s_delay_alu instid0(VALU_DEP_1) | instskip(SKIP_3) | instid1(VALU_DEP_1)
	v_lshlrev_b32_e32 v2, 2, v2
	ds_load_b32 v2, v2
	s_wait_dscnt 0x0
	v_add_nc_u32_e32 v2, v2, v46
	v_lshlrev_b64_e32 v[36:37], 2, v[2:3]
	v_xor_b32_e32 v2, v143, v136
	s_delay_alu instid0(VALU_DEP_2) | instskip(SKIP_1) | instid1(VALU_DEP_3)
	v_add_co_u32 v36, s17, s40, v36
	s_wait_alu 0xf1ff
	v_add_co_ci_u32_e64 v37, null, s41, v37, s17
	global_store_b32 v[36:37], v2, off
	s_wait_alu 0xfffe
	s_or_b32 exec_lo, exec_lo, s18
	v_cmp_lt_u32_e64 s17, v47, v135
	s_and_saveexec_b32 s19, s17
	s_cbranch_execz .LBB1360_475
.LBB1360_543:                           ;   in Loop: Header=BB1360_393 Depth=2
	ds_load_b32 v136, v70 offset:4096
	s_wait_dscnt 0x0
	v_cmp_ne_u32_e64 s18, 0x80000000, v136
	s_wait_alu 0xf1ff
	s_delay_alu instid0(VALU_DEP_1) | instskip(SKIP_1) | instid1(VALU_DEP_2)
	v_cndmask_b32_e64 v2, 0x7fffffff, v136, s18
	v_cmp_gt_i32_e64 s18, 0, v136
	v_lshrrev_b32_e32 v2, s31, v2
	s_wait_alu 0xf1ff
	s_delay_alu instid0(VALU_DEP_2) | instskip(NEXT) | instid1(VALU_DEP_2)
	v_cndmask_b32_e64 v143, 0x7fffffff, 0, s18
	v_and_b32_e32 v2, s48, v2
	s_delay_alu instid0(VALU_DEP_1) | instskip(SKIP_3) | instid1(VALU_DEP_1)
	v_lshlrev_b32_e32 v2, 2, v2
	ds_load_b32 v2, v2
	s_wait_dscnt 0x0
	v_add_nc_u32_e32 v2, v2, v47
	v_lshlrev_b64_e32 v[36:37], 2, v[2:3]
	v_xor_b32_e32 v2, v143, v136
	s_delay_alu instid0(VALU_DEP_2) | instskip(SKIP_1) | instid1(VALU_DEP_3)
	v_add_co_u32 v36, s18, s40, v36
	s_wait_alu 0xf1ff
	v_add_co_ci_u32_e64 v37, null, s41, v37, s18
	global_store_b32 v[36:37], v2, off
	s_wait_alu 0xfffe
	s_or_b32 exec_lo, exec_lo, s19
	v_cmp_lt_u32_e64 s18, v50, v135
	s_and_saveexec_b32 s20, s18
	s_cbranch_execz .LBB1360_476
.LBB1360_544:                           ;   in Loop: Header=BB1360_393 Depth=2
	ds_load_b32 v136, v70 offset:5120
	s_wait_dscnt 0x0
	v_cmp_ne_u32_e64 s19, 0x80000000, v136
	s_wait_alu 0xf1ff
	s_delay_alu instid0(VALU_DEP_1) | instskip(SKIP_1) | instid1(VALU_DEP_2)
	v_cndmask_b32_e64 v2, 0x7fffffff, v136, s19
	v_cmp_gt_i32_e64 s19, 0, v136
	v_lshrrev_b32_e32 v2, s31, v2
	s_wait_alu 0xf1ff
	s_delay_alu instid0(VALU_DEP_2) | instskip(NEXT) | instid1(VALU_DEP_2)
	v_cndmask_b32_e64 v143, 0x7fffffff, 0, s19
	v_and_b32_e32 v2, s48, v2
	s_delay_alu instid0(VALU_DEP_1) | instskip(SKIP_3) | instid1(VALU_DEP_1)
	v_lshlrev_b32_e32 v2, 2, v2
	ds_load_b32 v2, v2
	s_wait_dscnt 0x0
	v_add_nc_u32_e32 v2, v2, v50
	v_lshlrev_b64_e32 v[36:37], 2, v[2:3]
	v_xor_b32_e32 v2, v143, v136
	s_delay_alu instid0(VALU_DEP_2) | instskip(SKIP_1) | instid1(VALU_DEP_3)
	v_add_co_u32 v36, s19, s40, v36
	s_wait_alu 0xf1ff
	v_add_co_ci_u32_e64 v37, null, s41, v37, s19
	global_store_b32 v[36:37], v2, off
	s_wait_alu 0xfffe
	s_or_b32 exec_lo, exec_lo, s20
	v_cmp_lt_u32_e64 s19, v51, v135
	s_and_saveexec_b32 s21, s19
	s_cbranch_execz .LBB1360_477
.LBB1360_545:                           ;   in Loop: Header=BB1360_393 Depth=2
	ds_load_b32 v136, v70 offset:6144
	s_wait_dscnt 0x0
	v_cmp_ne_u32_e64 s20, 0x80000000, v136
	s_wait_alu 0xf1ff
	s_delay_alu instid0(VALU_DEP_1) | instskip(SKIP_1) | instid1(VALU_DEP_2)
	v_cndmask_b32_e64 v2, 0x7fffffff, v136, s20
	v_cmp_gt_i32_e64 s20, 0, v136
	v_lshrrev_b32_e32 v2, s31, v2
	s_wait_alu 0xf1ff
	s_delay_alu instid0(VALU_DEP_2) | instskip(NEXT) | instid1(VALU_DEP_2)
	v_cndmask_b32_e64 v143, 0x7fffffff, 0, s20
	v_and_b32_e32 v2, s48, v2
	s_delay_alu instid0(VALU_DEP_1) | instskip(SKIP_3) | instid1(VALU_DEP_1)
	v_lshlrev_b32_e32 v2, 2, v2
	ds_load_b32 v2, v2
	s_wait_dscnt 0x0
	v_add_nc_u32_e32 v2, v2, v51
	v_lshlrev_b64_e32 v[36:37], 2, v[2:3]
	v_xor_b32_e32 v2, v143, v136
	s_delay_alu instid0(VALU_DEP_2) | instskip(SKIP_1) | instid1(VALU_DEP_3)
	v_add_co_u32 v36, s20, s40, v36
	s_wait_alu 0xf1ff
	v_add_co_ci_u32_e64 v37, null, s41, v37, s20
	global_store_b32 v[36:37], v2, off
	s_wait_alu 0xfffe
	s_or_b32 exec_lo, exec_lo, s21
	v_cmp_lt_u32_e64 s20, v52, v135
	s_and_saveexec_b32 s22, s20
	s_cbranch_execz .LBB1360_478
.LBB1360_546:                           ;   in Loop: Header=BB1360_393 Depth=2
	ds_load_b32 v136, v70 offset:7168
	s_wait_dscnt 0x0
	v_cmp_ne_u32_e64 s21, 0x80000000, v136
	s_wait_alu 0xf1ff
	s_delay_alu instid0(VALU_DEP_1) | instskip(SKIP_1) | instid1(VALU_DEP_2)
	v_cndmask_b32_e64 v2, 0x7fffffff, v136, s21
	v_cmp_gt_i32_e64 s21, 0, v136
	v_lshrrev_b32_e32 v2, s31, v2
	s_wait_alu 0xf1ff
	s_delay_alu instid0(VALU_DEP_2) | instskip(NEXT) | instid1(VALU_DEP_2)
	v_cndmask_b32_e64 v143, 0x7fffffff, 0, s21
	v_and_b32_e32 v2, s48, v2
	s_delay_alu instid0(VALU_DEP_1) | instskip(SKIP_3) | instid1(VALU_DEP_1)
	v_lshlrev_b32_e32 v2, 2, v2
	ds_load_b32 v2, v2
	s_wait_dscnt 0x0
	v_add_nc_u32_e32 v2, v2, v52
	v_lshlrev_b64_e32 v[36:37], 2, v[2:3]
	v_xor_b32_e32 v2, v143, v136
	s_delay_alu instid0(VALU_DEP_2) | instskip(SKIP_1) | instid1(VALU_DEP_3)
	v_add_co_u32 v36, s21, s40, v36
	s_wait_alu 0xf1ff
	v_add_co_ci_u32_e64 v37, null, s41, v37, s21
	global_store_b32 v[36:37], v2, off
	s_wait_alu 0xfffe
	s_or_b32 exec_lo, exec_lo, s22
	v_cmp_lt_u32_e64 s21, v53, v135
	s_and_saveexec_b32 s23, s21
	s_cbranch_execz .LBB1360_479
.LBB1360_547:                           ;   in Loop: Header=BB1360_393 Depth=2
	ds_load_b32 v136, v70 offset:8192
	s_wait_dscnt 0x0
	v_cmp_ne_u32_e64 s22, 0x80000000, v136
	s_wait_alu 0xf1ff
	s_delay_alu instid0(VALU_DEP_1) | instskip(SKIP_1) | instid1(VALU_DEP_2)
	v_cndmask_b32_e64 v2, 0x7fffffff, v136, s22
	v_cmp_gt_i32_e64 s22, 0, v136
	v_lshrrev_b32_e32 v2, s31, v2
	s_wait_alu 0xf1ff
	s_delay_alu instid0(VALU_DEP_2) | instskip(NEXT) | instid1(VALU_DEP_2)
	v_cndmask_b32_e64 v143, 0x7fffffff, 0, s22
	v_and_b32_e32 v2, s48, v2
	s_delay_alu instid0(VALU_DEP_1) | instskip(SKIP_3) | instid1(VALU_DEP_1)
	v_lshlrev_b32_e32 v2, 2, v2
	ds_load_b32 v2, v2
	s_wait_dscnt 0x0
	v_add_nc_u32_e32 v2, v2, v53
	v_lshlrev_b64_e32 v[36:37], 2, v[2:3]
	v_xor_b32_e32 v2, v143, v136
	s_delay_alu instid0(VALU_DEP_2) | instskip(SKIP_1) | instid1(VALU_DEP_3)
	v_add_co_u32 v36, s22, s40, v36
	s_wait_alu 0xf1ff
	v_add_co_ci_u32_e64 v37, null, s41, v37, s22
	global_store_b32 v[36:37], v2, off
	s_wait_alu 0xfffe
	s_or_b32 exec_lo, exec_lo, s23
	v_cmp_lt_u32_e64 s22, v54, v135
	s_and_saveexec_b32 s24, s22
	s_cbranch_execz .LBB1360_480
.LBB1360_548:                           ;   in Loop: Header=BB1360_393 Depth=2
	ds_load_b32 v136, v70 offset:9216
	s_wait_dscnt 0x0
	v_cmp_ne_u32_e64 s23, 0x80000000, v136
	s_wait_alu 0xf1ff
	s_delay_alu instid0(VALU_DEP_1) | instskip(SKIP_1) | instid1(VALU_DEP_2)
	v_cndmask_b32_e64 v2, 0x7fffffff, v136, s23
	v_cmp_gt_i32_e64 s23, 0, v136
	v_lshrrev_b32_e32 v2, s31, v2
	s_wait_alu 0xf1ff
	s_delay_alu instid0(VALU_DEP_2) | instskip(NEXT) | instid1(VALU_DEP_2)
	v_cndmask_b32_e64 v143, 0x7fffffff, 0, s23
	v_and_b32_e32 v2, s48, v2
	s_delay_alu instid0(VALU_DEP_1) | instskip(SKIP_3) | instid1(VALU_DEP_1)
	v_lshlrev_b32_e32 v2, 2, v2
	ds_load_b32 v2, v2
	s_wait_dscnt 0x0
	v_add_nc_u32_e32 v2, v2, v54
	v_lshlrev_b64_e32 v[36:37], 2, v[2:3]
	v_xor_b32_e32 v2, v143, v136
	s_delay_alu instid0(VALU_DEP_2) | instskip(SKIP_1) | instid1(VALU_DEP_3)
	v_add_co_u32 v36, s23, s40, v36
	s_wait_alu 0xf1ff
	v_add_co_ci_u32_e64 v37, null, s41, v37, s23
	global_store_b32 v[36:37], v2, off
	s_wait_alu 0xfffe
	s_or_b32 exec_lo, exec_lo, s24
	v_cmp_lt_u32_e64 s23, v55, v135
	s_and_saveexec_b32 s25, s23
	s_cbranch_execz .LBB1360_481
.LBB1360_549:                           ;   in Loop: Header=BB1360_393 Depth=2
	ds_load_b32 v136, v70 offset:10240
	s_wait_dscnt 0x0
	v_cmp_ne_u32_e64 s24, 0x80000000, v136
	s_wait_alu 0xf1ff
	s_delay_alu instid0(VALU_DEP_1) | instskip(SKIP_1) | instid1(VALU_DEP_2)
	v_cndmask_b32_e64 v2, 0x7fffffff, v136, s24
	v_cmp_gt_i32_e64 s24, 0, v136
	v_lshrrev_b32_e32 v2, s31, v2
	s_wait_alu 0xf1ff
	s_delay_alu instid0(VALU_DEP_2) | instskip(NEXT) | instid1(VALU_DEP_2)
	v_cndmask_b32_e64 v143, 0x7fffffff, 0, s24
	v_and_b32_e32 v2, s48, v2
	s_delay_alu instid0(VALU_DEP_1) | instskip(SKIP_3) | instid1(VALU_DEP_1)
	v_lshlrev_b32_e32 v2, 2, v2
	ds_load_b32 v2, v2
	s_wait_dscnt 0x0
	v_add_nc_u32_e32 v2, v2, v55
	v_lshlrev_b64_e32 v[36:37], 2, v[2:3]
	v_xor_b32_e32 v2, v143, v136
	s_delay_alu instid0(VALU_DEP_2) | instskip(SKIP_1) | instid1(VALU_DEP_3)
	v_add_co_u32 v36, s24, s40, v36
	s_wait_alu 0xf1ff
	v_add_co_ci_u32_e64 v37, null, s41, v37, s24
	global_store_b32 v[36:37], v2, off
	s_wait_alu 0xfffe
	s_or_b32 exec_lo, exec_lo, s25
	v_cmp_lt_u32_e64 s24, v56, v135
	s_and_saveexec_b32 s26, s24
	s_cbranch_execz .LBB1360_482
.LBB1360_550:                           ;   in Loop: Header=BB1360_393 Depth=2
	ds_load_b32 v136, v70 offset:11264
	s_wait_dscnt 0x0
	v_cmp_ne_u32_e64 s25, 0x80000000, v136
	s_wait_alu 0xf1ff
	s_delay_alu instid0(VALU_DEP_1) | instskip(SKIP_1) | instid1(VALU_DEP_2)
	v_cndmask_b32_e64 v2, 0x7fffffff, v136, s25
	v_cmp_gt_i32_e64 s25, 0, v136
	v_lshrrev_b32_e32 v2, s31, v2
	s_wait_alu 0xf1ff
	s_delay_alu instid0(VALU_DEP_2) | instskip(NEXT) | instid1(VALU_DEP_2)
	v_cndmask_b32_e64 v143, 0x7fffffff, 0, s25
	v_and_b32_e32 v2, s48, v2
	s_delay_alu instid0(VALU_DEP_1) | instskip(SKIP_3) | instid1(VALU_DEP_1)
	v_lshlrev_b32_e32 v2, 2, v2
	ds_load_b32 v2, v2
	s_wait_dscnt 0x0
	v_add_nc_u32_e32 v2, v2, v56
	v_lshlrev_b64_e32 v[36:37], 2, v[2:3]
	v_xor_b32_e32 v2, v143, v136
	s_delay_alu instid0(VALU_DEP_2) | instskip(SKIP_1) | instid1(VALU_DEP_3)
	v_add_co_u32 v36, s25, s40, v36
	s_wait_alu 0xf1ff
	v_add_co_ci_u32_e64 v37, null, s41, v37, s25
	global_store_b32 v[36:37], v2, off
	s_wait_alu 0xfffe
	s_or_b32 exec_lo, exec_lo, s26
	v_cmp_lt_u32_e64 s25, v57, v135
	s_and_saveexec_b32 s27, s25
	s_cbranch_execz .LBB1360_483
.LBB1360_551:                           ;   in Loop: Header=BB1360_393 Depth=2
	ds_load_b32 v136, v70 offset:12288
	s_wait_dscnt 0x0
	v_cmp_ne_u32_e64 s26, 0x80000000, v136
	s_wait_alu 0xf1ff
	s_delay_alu instid0(VALU_DEP_1) | instskip(SKIP_1) | instid1(VALU_DEP_2)
	v_cndmask_b32_e64 v2, 0x7fffffff, v136, s26
	v_cmp_gt_i32_e64 s26, 0, v136
	v_lshrrev_b32_e32 v2, s31, v2
	s_wait_alu 0xf1ff
	s_delay_alu instid0(VALU_DEP_2) | instskip(NEXT) | instid1(VALU_DEP_2)
	v_cndmask_b32_e64 v143, 0x7fffffff, 0, s26
	v_and_b32_e32 v2, s48, v2
	s_delay_alu instid0(VALU_DEP_1) | instskip(SKIP_3) | instid1(VALU_DEP_1)
	v_lshlrev_b32_e32 v2, 2, v2
	ds_load_b32 v2, v2
	s_wait_dscnt 0x0
	v_add_nc_u32_e32 v2, v2, v57
	v_lshlrev_b64_e32 v[36:37], 2, v[2:3]
	v_xor_b32_e32 v2, v143, v136
	s_delay_alu instid0(VALU_DEP_2) | instskip(SKIP_1) | instid1(VALU_DEP_3)
	v_add_co_u32 v36, s26, s40, v36
	s_wait_alu 0xf1ff
	v_add_co_ci_u32_e64 v37, null, s41, v37, s26
	global_store_b32 v[36:37], v2, off
	s_wait_alu 0xfffe
	s_or_b32 exec_lo, exec_lo, s27
	v_cmp_lt_u32_e64 s26, v58, v135
	s_and_saveexec_b32 s28, s26
	s_cbranch_execz .LBB1360_484
.LBB1360_552:                           ;   in Loop: Header=BB1360_393 Depth=2
	ds_load_b32 v136, v70 offset:13312
	s_wait_dscnt 0x0
	v_cmp_ne_u32_e64 s27, 0x80000000, v136
	s_wait_alu 0xf1ff
	s_delay_alu instid0(VALU_DEP_1) | instskip(SKIP_1) | instid1(VALU_DEP_2)
	v_cndmask_b32_e64 v2, 0x7fffffff, v136, s27
	v_cmp_gt_i32_e64 s27, 0, v136
	v_lshrrev_b32_e32 v2, s31, v2
	s_wait_alu 0xf1ff
	s_delay_alu instid0(VALU_DEP_2) | instskip(NEXT) | instid1(VALU_DEP_2)
	v_cndmask_b32_e64 v143, 0x7fffffff, 0, s27
	v_and_b32_e32 v2, s48, v2
	s_delay_alu instid0(VALU_DEP_1) | instskip(SKIP_3) | instid1(VALU_DEP_1)
	v_lshlrev_b32_e32 v2, 2, v2
	ds_load_b32 v2, v2
	s_wait_dscnt 0x0
	v_add_nc_u32_e32 v2, v2, v58
	v_lshlrev_b64_e32 v[36:37], 2, v[2:3]
	v_xor_b32_e32 v2, v143, v136
	s_delay_alu instid0(VALU_DEP_2) | instskip(SKIP_1) | instid1(VALU_DEP_3)
	v_add_co_u32 v36, s27, s40, v36
	s_wait_alu 0xf1ff
	v_add_co_ci_u32_e64 v37, null, s41, v37, s27
	global_store_b32 v[36:37], v2, off
	s_wait_alu 0xfffe
	s_or_b32 exec_lo, exec_lo, s28
	v_cmp_lt_u32_e64 s27, v59, v135
	s_and_saveexec_b32 s29, s27
	s_cbranch_execz .LBB1360_485
.LBB1360_553:                           ;   in Loop: Header=BB1360_393 Depth=2
	ds_load_b32 v136, v70 offset:14336
	s_wait_dscnt 0x0
	v_cmp_ne_u32_e64 s28, 0x80000000, v136
	s_wait_alu 0xf1ff
	s_delay_alu instid0(VALU_DEP_1) | instskip(SKIP_1) | instid1(VALU_DEP_2)
	v_cndmask_b32_e64 v2, 0x7fffffff, v136, s28
	v_cmp_gt_i32_e64 s28, 0, v136
	v_lshrrev_b32_e32 v2, s31, v2
	s_wait_alu 0xf1ff
	s_delay_alu instid0(VALU_DEP_2) | instskip(NEXT) | instid1(VALU_DEP_2)
	v_cndmask_b32_e64 v143, 0x7fffffff, 0, s28
	v_and_b32_e32 v2, s48, v2
	s_delay_alu instid0(VALU_DEP_1) | instskip(SKIP_3) | instid1(VALU_DEP_1)
	v_lshlrev_b32_e32 v2, 2, v2
	ds_load_b32 v2, v2
	s_wait_dscnt 0x0
	v_add_nc_u32_e32 v2, v2, v59
	v_lshlrev_b64_e32 v[36:37], 2, v[2:3]
	v_xor_b32_e32 v2, v143, v136
	s_delay_alu instid0(VALU_DEP_2) | instskip(SKIP_1) | instid1(VALU_DEP_3)
	v_add_co_u32 v36, s28, s40, v36
	s_wait_alu 0xf1ff
	v_add_co_ci_u32_e64 v37, null, s41, v37, s28
	global_store_b32 v[36:37], v2, off
	s_wait_alu 0xfffe
	s_or_b32 exec_lo, exec_lo, s29
	v_cmp_lt_u32_e64 s28, v60, v135
	s_and_saveexec_b32 s30, s28
	s_cbranch_execz .LBB1360_486
.LBB1360_554:                           ;   in Loop: Header=BB1360_393 Depth=2
	ds_load_b32 v136, v70 offset:15360
	s_wait_dscnt 0x0
	v_cmp_ne_u32_e64 s29, 0x80000000, v136
	s_wait_alu 0xf1ff
	s_delay_alu instid0(VALU_DEP_1) | instskip(SKIP_1) | instid1(VALU_DEP_2)
	v_cndmask_b32_e64 v2, 0x7fffffff, v136, s29
	v_cmp_gt_i32_e64 s29, 0, v136
	v_lshrrev_b32_e32 v2, s31, v2
	s_wait_alu 0xf1ff
	s_delay_alu instid0(VALU_DEP_2) | instskip(NEXT) | instid1(VALU_DEP_2)
	v_cndmask_b32_e64 v143, 0x7fffffff, 0, s29
	v_and_b32_e32 v2, s48, v2
	s_delay_alu instid0(VALU_DEP_1) | instskip(SKIP_3) | instid1(VALU_DEP_1)
	v_lshlrev_b32_e32 v2, 2, v2
	ds_load_b32 v2, v2
	s_wait_dscnt 0x0
	v_add_nc_u32_e32 v2, v2, v60
	v_lshlrev_b64_e32 v[36:37], 2, v[2:3]
	v_xor_b32_e32 v2, v143, v136
	s_delay_alu instid0(VALU_DEP_2) | instskip(SKIP_1) | instid1(VALU_DEP_3)
	v_add_co_u32 v36, s29, s40, v36
	s_wait_alu 0xf1ff
	v_add_co_ci_u32_e64 v37, null, s41, v37, s29
	global_store_b32 v[36:37], v2, off
	s_wait_alu 0xfffe
	s_or_b32 exec_lo, exec_lo, s30
	v_cmp_lt_u32_e64 s29, v61, v135
	s_and_saveexec_b32 s56, s29
	s_cbranch_execnz .LBB1360_487
	s_branch .LBB1360_488
.LBB1360_555:                           ;   in Loop: Header=BB1360_393 Depth=2
	global_load_b64 v[34:35], v[36:37], off
	s_wait_alu 0xfffe
	s_or_b32 exec_lo, exec_lo, s30
	s_delay_alu instid0(SALU_CYCLE_1)
	s_mov_b32 s42, exec_lo
	v_cmpx_lt_u32_e64 v92, v135
	s_cbranch_execz .LBB1360_490
.LBB1360_556:                           ;   in Loop: Header=BB1360_393 Depth=2
	global_load_b64 v[32:33], v[36:37], off offset:256
	s_wait_alu 0xfffe
	s_or_b32 exec_lo, exec_lo, s42
	s_delay_alu instid0(SALU_CYCLE_1)
	s_mov_b32 s42, exec_lo
	v_cmpx_lt_u32_e64 v93, v135
	s_cbranch_execz .LBB1360_491
.LBB1360_557:                           ;   in Loop: Header=BB1360_393 Depth=2
	global_load_b64 v[30:31], v[36:37], off offset:512
	s_wait_alu 0xfffe
	s_or_b32 exec_lo, exec_lo, s42
	s_delay_alu instid0(SALU_CYCLE_1)
	s_mov_b32 s42, exec_lo
	v_cmpx_lt_u32_e64 v94, v135
	s_cbranch_execz .LBB1360_492
.LBB1360_558:                           ;   in Loop: Header=BB1360_393 Depth=2
	global_load_b64 v[28:29], v[36:37], off offset:768
	s_wait_alu 0xfffe
	s_or_b32 exec_lo, exec_lo, s42
	s_delay_alu instid0(SALU_CYCLE_1)
	s_mov_b32 s42, exec_lo
	v_cmpx_lt_u32_e64 v95, v135
	s_cbranch_execz .LBB1360_493
.LBB1360_559:                           ;   in Loop: Header=BB1360_393 Depth=2
	global_load_b64 v[26:27], v[36:37], off offset:1024
	s_wait_alu 0xfffe
	s_or_b32 exec_lo, exec_lo, s42
	s_delay_alu instid0(SALU_CYCLE_1)
	s_mov_b32 s42, exec_lo
	v_cmpx_lt_u32_e64 v96, v135
	s_cbranch_execz .LBB1360_494
.LBB1360_560:                           ;   in Loop: Header=BB1360_393 Depth=2
	global_load_b64 v[24:25], v[36:37], off offset:1280
	s_wait_alu 0xfffe
	s_or_b32 exec_lo, exec_lo, s42
	s_delay_alu instid0(SALU_CYCLE_1)
	s_mov_b32 s42, exec_lo
	v_cmpx_lt_u32_e64 v97, v135
	s_cbranch_execz .LBB1360_495
.LBB1360_561:                           ;   in Loop: Header=BB1360_393 Depth=2
	global_load_b64 v[22:23], v[36:37], off offset:1536
	s_wait_alu 0xfffe
	s_or_b32 exec_lo, exec_lo, s42
	s_delay_alu instid0(SALU_CYCLE_1)
	s_mov_b32 s42, exec_lo
	v_cmpx_lt_u32_e64 v98, v135
	s_cbranch_execz .LBB1360_496
.LBB1360_562:                           ;   in Loop: Header=BB1360_393 Depth=2
	global_load_b64 v[20:21], v[36:37], off offset:1792
	s_wait_alu 0xfffe
	s_or_b32 exec_lo, exec_lo, s42
	s_delay_alu instid0(SALU_CYCLE_1)
	s_mov_b32 s42, exec_lo
	v_cmpx_lt_u32_e64 v99, v135
	s_cbranch_execz .LBB1360_497
.LBB1360_563:                           ;   in Loop: Header=BB1360_393 Depth=2
	global_load_b64 v[18:19], v[36:37], off offset:2048
	s_wait_alu 0xfffe
	s_or_b32 exec_lo, exec_lo, s42
	s_delay_alu instid0(SALU_CYCLE_1)
	s_mov_b32 s42, exec_lo
	v_cmpx_lt_u32_e64 v100, v135
	s_cbranch_execz .LBB1360_498
.LBB1360_564:                           ;   in Loop: Header=BB1360_393 Depth=2
	global_load_b64 v[16:17], v[36:37], off offset:2304
	s_wait_alu 0xfffe
	s_or_b32 exec_lo, exec_lo, s42
	s_delay_alu instid0(SALU_CYCLE_1)
	s_mov_b32 s42, exec_lo
	v_cmpx_lt_u32_e64 v101, v135
	s_cbranch_execz .LBB1360_499
.LBB1360_565:                           ;   in Loop: Header=BB1360_393 Depth=2
	global_load_b64 v[14:15], v[36:37], off offset:2560
	s_wait_alu 0xfffe
	s_or_b32 exec_lo, exec_lo, s42
	s_delay_alu instid0(SALU_CYCLE_1)
	s_mov_b32 s42, exec_lo
	v_cmpx_lt_u32_e64 v102, v135
	s_cbranch_execz .LBB1360_500
.LBB1360_566:                           ;   in Loop: Header=BB1360_393 Depth=2
	global_load_b64 v[12:13], v[36:37], off offset:2816
	s_wait_alu 0xfffe
	s_or_b32 exec_lo, exec_lo, s42
	s_delay_alu instid0(SALU_CYCLE_1)
	s_mov_b32 s42, exec_lo
	v_cmpx_lt_u32_e64 v103, v135
	s_cbranch_execz .LBB1360_501
.LBB1360_567:                           ;   in Loop: Header=BB1360_393 Depth=2
	global_load_b64 v[10:11], v[36:37], off offset:3072
	s_wait_alu 0xfffe
	s_or_b32 exec_lo, exec_lo, s42
	s_delay_alu instid0(SALU_CYCLE_1)
	s_mov_b32 s42, exec_lo
	v_cmpx_lt_u32_e64 v104, v135
	s_cbranch_execz .LBB1360_502
.LBB1360_568:                           ;   in Loop: Header=BB1360_393 Depth=2
	global_load_b64 v[8:9], v[36:37], off offset:3328
	s_wait_alu 0xfffe
	s_or_b32 exec_lo, exec_lo, s42
	s_delay_alu instid0(SALU_CYCLE_1)
	s_mov_b32 s42, exec_lo
	v_cmpx_lt_u32_e64 v105, v135
	s_cbranch_execz .LBB1360_503
.LBB1360_569:                           ;   in Loop: Header=BB1360_393 Depth=2
	global_load_b64 v[6:7], v[36:37], off offset:3584
	s_wait_alu 0xfffe
	s_or_b32 exec_lo, exec_lo, s42
	s_delay_alu instid0(SALU_CYCLE_1)
	s_mov_b32 s42, exec_lo
	v_cmpx_lt_u32_e64 v106, v135
	s_cbranch_execz .LBB1360_504
.LBB1360_570:                           ;   in Loop: Header=BB1360_393 Depth=2
	global_load_b64 v[4:5], v[36:37], off offset:3840
	s_wait_alu 0xfffe
	s_or_b32 exec_lo, exec_lo, s42
	s_and_saveexec_b32 s42, vcc_lo
	s_cbranch_execz .LBB1360_505
.LBB1360_571:                           ;   in Loop: Header=BB1360_393 Depth=2
	ds_load_b32 v2, v70 offset:1024
	s_wait_dscnt 0x0
	v_cmp_ne_u32_e64 s30, 0x80000000, v2
	s_wait_alu 0xf1ff
	s_delay_alu instid0(VALU_DEP_1) | instskip(NEXT) | instid1(VALU_DEP_1)
	v_cndmask_b32_e64 v2, 0x7fffffff, v2, s30
	v_lshrrev_b32_e32 v2, s31, v2
	s_delay_alu instid0(VALU_DEP_1)
	v_and_b32_e32 v134, s48, v2
	s_wait_alu 0xfffe
	s_or_b32 exec_lo, exec_lo, s42
	s_and_saveexec_b32 s42, s15
	s_cbranch_execz .LBB1360_506
.LBB1360_572:                           ;   in Loop: Header=BB1360_393 Depth=2
	ds_load_b32 v2, v70 offset:2048
	s_wait_dscnt 0x0
	v_cmp_ne_u32_e64 s30, 0x80000000, v2
	s_wait_alu 0xf1ff
	s_delay_alu instid0(VALU_DEP_1) | instskip(NEXT) | instid1(VALU_DEP_1)
	v_cndmask_b32_e64 v2, 0x7fffffff, v2, s30
	v_lshrrev_b32_e32 v2, s31, v2
	s_delay_alu instid0(VALU_DEP_1)
	v_and_b32_e32 v133, s48, v2
	s_wait_alu 0xfffe
	s_or_b32 exec_lo, exec_lo, s42
	s_and_saveexec_b32 s42, s16
	s_cbranch_execz .LBB1360_507
.LBB1360_573:                           ;   in Loop: Header=BB1360_393 Depth=2
	ds_load_b32 v2, v70 offset:3072
	s_wait_dscnt 0x0
	v_cmp_ne_u32_e64 s30, 0x80000000, v2
	s_wait_alu 0xf1ff
	s_delay_alu instid0(VALU_DEP_1) | instskip(NEXT) | instid1(VALU_DEP_1)
	v_cndmask_b32_e64 v2, 0x7fffffff, v2, s30
	v_lshrrev_b32_e32 v2, s31, v2
	s_delay_alu instid0(VALU_DEP_1)
	v_and_b32_e32 v132, s48, v2
	s_wait_alu 0xfffe
	s_or_b32 exec_lo, exec_lo, s42
	s_and_saveexec_b32 s42, s17
	s_cbranch_execz .LBB1360_508
.LBB1360_574:                           ;   in Loop: Header=BB1360_393 Depth=2
	ds_load_b32 v2, v70 offset:4096
	s_wait_dscnt 0x0
	v_cmp_ne_u32_e64 s30, 0x80000000, v2
	s_wait_alu 0xf1ff
	s_delay_alu instid0(VALU_DEP_1) | instskip(NEXT) | instid1(VALU_DEP_1)
	v_cndmask_b32_e64 v2, 0x7fffffff, v2, s30
	v_lshrrev_b32_e32 v2, s31, v2
	s_delay_alu instid0(VALU_DEP_1)
	v_and_b32_e32 v131, s48, v2
	s_wait_alu 0xfffe
	s_or_b32 exec_lo, exec_lo, s42
	s_and_saveexec_b32 s42, s18
	s_cbranch_execz .LBB1360_509
.LBB1360_575:                           ;   in Loop: Header=BB1360_393 Depth=2
	ds_load_b32 v2, v70 offset:5120
	s_wait_dscnt 0x0
	v_cmp_ne_u32_e64 s30, 0x80000000, v2
	s_wait_alu 0xf1ff
	s_delay_alu instid0(VALU_DEP_1) | instskip(NEXT) | instid1(VALU_DEP_1)
	v_cndmask_b32_e64 v2, 0x7fffffff, v2, s30
	v_lshrrev_b32_e32 v2, s31, v2
	s_delay_alu instid0(VALU_DEP_1)
	v_and_b32_e32 v130, s48, v2
	s_wait_alu 0xfffe
	s_or_b32 exec_lo, exec_lo, s42
	s_and_saveexec_b32 s42, s19
	s_cbranch_execz .LBB1360_510
.LBB1360_576:                           ;   in Loop: Header=BB1360_393 Depth=2
	ds_load_b32 v2, v70 offset:6144
	s_wait_dscnt 0x0
	v_cmp_ne_u32_e64 s30, 0x80000000, v2
	s_wait_alu 0xf1ff
	s_delay_alu instid0(VALU_DEP_1) | instskip(NEXT) | instid1(VALU_DEP_1)
	v_cndmask_b32_e64 v2, 0x7fffffff, v2, s30
	v_lshrrev_b32_e32 v2, s31, v2
	s_delay_alu instid0(VALU_DEP_1)
	v_and_b32_e32 v129, s48, v2
	s_wait_alu 0xfffe
	s_or_b32 exec_lo, exec_lo, s42
	s_and_saveexec_b32 s42, s20
	s_cbranch_execz .LBB1360_511
.LBB1360_577:                           ;   in Loop: Header=BB1360_393 Depth=2
	ds_load_b32 v2, v70 offset:7168
	s_wait_dscnt 0x0
	v_cmp_ne_u32_e64 s30, 0x80000000, v2
	s_wait_alu 0xf1ff
	s_delay_alu instid0(VALU_DEP_1) | instskip(NEXT) | instid1(VALU_DEP_1)
	v_cndmask_b32_e64 v2, 0x7fffffff, v2, s30
	v_lshrrev_b32_e32 v2, s31, v2
	s_delay_alu instid0(VALU_DEP_1)
	v_and_b32_e32 v128, s48, v2
	s_wait_alu 0xfffe
	s_or_b32 exec_lo, exec_lo, s42
	s_and_saveexec_b32 s42, s21
	s_cbranch_execz .LBB1360_512
.LBB1360_578:                           ;   in Loop: Header=BB1360_393 Depth=2
	ds_load_b32 v2, v70 offset:8192
	s_wait_dscnt 0x0
	v_cmp_ne_u32_e64 s30, 0x80000000, v2
	s_wait_alu 0xf1ff
	s_delay_alu instid0(VALU_DEP_1) | instskip(NEXT) | instid1(VALU_DEP_1)
	v_cndmask_b32_e64 v2, 0x7fffffff, v2, s30
	v_lshrrev_b32_e32 v2, s31, v2
	s_delay_alu instid0(VALU_DEP_1)
	v_and_b32_e32 v127, s48, v2
	s_wait_alu 0xfffe
	s_or_b32 exec_lo, exec_lo, s42
	s_and_saveexec_b32 s42, s22
	s_cbranch_execz .LBB1360_513
.LBB1360_579:                           ;   in Loop: Header=BB1360_393 Depth=2
	ds_load_b32 v2, v70 offset:9216
	s_wait_dscnt 0x0
	v_cmp_ne_u32_e64 s30, 0x80000000, v2
	s_wait_alu 0xf1ff
	s_delay_alu instid0(VALU_DEP_1) | instskip(NEXT) | instid1(VALU_DEP_1)
	v_cndmask_b32_e64 v2, 0x7fffffff, v2, s30
	v_lshrrev_b32_e32 v2, s31, v2
	s_delay_alu instid0(VALU_DEP_1)
	v_and_b32_e32 v126, s48, v2
	s_wait_alu 0xfffe
	s_or_b32 exec_lo, exec_lo, s42
	s_and_saveexec_b32 s42, s23
	s_cbranch_execz .LBB1360_514
.LBB1360_580:                           ;   in Loop: Header=BB1360_393 Depth=2
	ds_load_b32 v2, v70 offset:10240
	s_wait_dscnt 0x0
	v_cmp_ne_u32_e64 s30, 0x80000000, v2
	s_wait_alu 0xf1ff
	s_delay_alu instid0(VALU_DEP_1) | instskip(NEXT) | instid1(VALU_DEP_1)
	v_cndmask_b32_e64 v2, 0x7fffffff, v2, s30
	v_lshrrev_b32_e32 v2, s31, v2
	s_delay_alu instid0(VALU_DEP_1)
	v_and_b32_e32 v125, s48, v2
	s_wait_alu 0xfffe
	s_or_b32 exec_lo, exec_lo, s42
	s_and_saveexec_b32 s42, s24
	s_cbranch_execz .LBB1360_515
.LBB1360_581:                           ;   in Loop: Header=BB1360_393 Depth=2
	ds_load_b32 v2, v70 offset:11264
	s_wait_dscnt 0x0
	v_cmp_ne_u32_e64 s30, 0x80000000, v2
	s_wait_alu 0xf1ff
	s_delay_alu instid0(VALU_DEP_1) | instskip(NEXT) | instid1(VALU_DEP_1)
	v_cndmask_b32_e64 v2, 0x7fffffff, v2, s30
	v_lshrrev_b32_e32 v2, s31, v2
	s_delay_alu instid0(VALU_DEP_1)
	v_and_b32_e32 v124, s48, v2
	s_wait_alu 0xfffe
	s_or_b32 exec_lo, exec_lo, s42
	s_and_saveexec_b32 s42, s25
	s_cbranch_execz .LBB1360_516
.LBB1360_582:                           ;   in Loop: Header=BB1360_393 Depth=2
	ds_load_b32 v2, v70 offset:12288
	s_wait_dscnt 0x0
	v_cmp_ne_u32_e64 s30, 0x80000000, v2
	s_wait_alu 0xf1ff
	s_delay_alu instid0(VALU_DEP_1) | instskip(NEXT) | instid1(VALU_DEP_1)
	v_cndmask_b32_e64 v2, 0x7fffffff, v2, s30
	v_lshrrev_b32_e32 v2, s31, v2
	s_delay_alu instid0(VALU_DEP_1)
	v_and_b32_e32 v123, s48, v2
	s_wait_alu 0xfffe
	s_or_b32 exec_lo, exec_lo, s42
	s_and_saveexec_b32 s42, s26
	s_cbranch_execz .LBB1360_517
.LBB1360_583:                           ;   in Loop: Header=BB1360_393 Depth=2
	ds_load_b32 v2, v70 offset:13312
	s_wait_dscnt 0x0
	v_cmp_ne_u32_e64 s30, 0x80000000, v2
	s_wait_alu 0xf1ff
	s_delay_alu instid0(VALU_DEP_1) | instskip(NEXT) | instid1(VALU_DEP_1)
	v_cndmask_b32_e64 v2, 0x7fffffff, v2, s30
	v_lshrrev_b32_e32 v2, s31, v2
	s_delay_alu instid0(VALU_DEP_1)
	v_and_b32_e32 v122, s48, v2
	s_wait_alu 0xfffe
	s_or_b32 exec_lo, exec_lo, s42
	s_and_saveexec_b32 s42, s27
	s_cbranch_execz .LBB1360_518
.LBB1360_584:                           ;   in Loop: Header=BB1360_393 Depth=2
	ds_load_b32 v2, v70 offset:14336
	s_wait_dscnt 0x0
	v_cmp_ne_u32_e64 s30, 0x80000000, v2
	s_wait_alu 0xf1ff
	s_delay_alu instid0(VALU_DEP_1) | instskip(NEXT) | instid1(VALU_DEP_1)
	v_cndmask_b32_e64 v2, 0x7fffffff, v2, s30
	v_lshrrev_b32_e32 v2, s31, v2
	s_delay_alu instid0(VALU_DEP_1)
	v_and_b32_e32 v121, s48, v2
	s_wait_alu 0xfffe
	s_or_b32 exec_lo, exec_lo, s42
	s_and_saveexec_b32 s42, s28
	s_cbranch_execz .LBB1360_519
.LBB1360_585:                           ;   in Loop: Header=BB1360_393 Depth=2
	ds_load_b32 v2, v70 offset:15360
	s_wait_dscnt 0x0
	v_cmp_ne_u32_e64 s30, 0x80000000, v2
	s_wait_alu 0xf1ff
	s_delay_alu instid0(VALU_DEP_1) | instskip(NEXT) | instid1(VALU_DEP_1)
	v_cndmask_b32_e64 v2, 0x7fffffff, v2, s30
	v_lshrrev_b32_e32 v2, s31, v2
	s_delay_alu instid0(VALU_DEP_1)
	v_and_b32_e32 v120, s48, v2
	s_wait_alu 0xfffe
	s_or_b32 exec_lo, exec_lo, s42
	s_and_saveexec_b32 s42, s29
	s_cbranch_execnz .LBB1360_520
	s_branch .LBB1360_521
.LBB1360_586:                           ;   in Loop: Header=BB1360_393 Depth=2
	v_lshlrev_b32_e32 v2, 2, v134
	v_add_nc_u32_e32 v36, v70, v44
	ds_load_b32 v2, v2
	ds_load_b64 v[36:37], v36 offset:1024
	s_wait_dscnt 0x1
	v_add_nc_u32_e32 v2, v2, v1
	s_delay_alu instid0(VALU_DEP_1) | instskip(NEXT) | instid1(VALU_DEP_1)
	v_lshlrev_b64_e32 v[39:40], 3, v[2:3]
	v_add_co_u32 v39, vcc_lo, s46, v39
	s_wait_alu 0xfffd
	s_delay_alu instid0(VALU_DEP_2)
	v_add_co_ci_u32_e64 v40, null, s47, v40, vcc_lo
	s_wait_dscnt 0x0
	global_store_b64 v[39:40], v[36:37], off
	s_wait_alu 0xfffe
	s_or_b32 exec_lo, exec_lo, s30
	s_and_saveexec_b32 s30, s15
	s_cbranch_execz .LBB1360_523
.LBB1360_587:                           ;   in Loop: Header=BB1360_393 Depth=2
	v_lshlrev_b32_e32 v2, 2, v133
	v_add_nc_u32_e32 v36, v70, v44
	ds_load_b32 v2, v2
	ds_load_b64 v[36:37], v36 offset:3072
	s_wait_dscnt 0x1
	v_add_nc_u32_e32 v2, v2, v45
	s_delay_alu instid0(VALU_DEP_1) | instskip(NEXT) | instid1(VALU_DEP_1)
	v_lshlrev_b64_e32 v[39:40], 3, v[2:3]
	v_add_co_u32 v39, vcc_lo, s46, v39
	s_wait_alu 0xfffd
	s_delay_alu instid0(VALU_DEP_2)
	v_add_co_ci_u32_e64 v40, null, s47, v40, vcc_lo
	s_wait_dscnt 0x0
	global_store_b64 v[39:40], v[36:37], off
	s_wait_alu 0xfffe
	s_or_b32 exec_lo, exec_lo, s30
	s_and_saveexec_b32 s15, s16
	s_cbranch_execz .LBB1360_524
.LBB1360_588:                           ;   in Loop: Header=BB1360_393 Depth=2
	v_lshlrev_b32_e32 v2, 2, v132
	v_add_nc_u32_e32 v36, v70, v44
	ds_load_b32 v2, v2
	ds_load_b64 v[36:37], v36 offset:5120
	s_wait_dscnt 0x1
	v_add_nc_u32_e32 v2, v2, v46
	s_delay_alu instid0(VALU_DEP_1) | instskip(NEXT) | instid1(VALU_DEP_1)
	v_lshlrev_b64_e32 v[39:40], 3, v[2:3]
	v_add_co_u32 v39, vcc_lo, s46, v39
	s_wait_alu 0xfffd
	s_delay_alu instid0(VALU_DEP_2)
	v_add_co_ci_u32_e64 v40, null, s47, v40, vcc_lo
	s_wait_dscnt 0x0
	global_store_b64 v[39:40], v[36:37], off
	s_wait_alu 0xfffe
	s_or_b32 exec_lo, exec_lo, s15
	s_and_saveexec_b32 s15, s17
	s_cbranch_execz .LBB1360_525
.LBB1360_589:                           ;   in Loop: Header=BB1360_393 Depth=2
	v_lshlrev_b32_e32 v2, 2, v131
	v_add_nc_u32_e32 v36, v70, v44
	ds_load_b32 v2, v2
	ds_load_b64 v[36:37], v36 offset:7168
	s_wait_dscnt 0x1
	v_add_nc_u32_e32 v2, v2, v47
	s_delay_alu instid0(VALU_DEP_1) | instskip(NEXT) | instid1(VALU_DEP_1)
	v_lshlrev_b64_e32 v[39:40], 3, v[2:3]
	v_add_co_u32 v39, vcc_lo, s46, v39
	s_wait_alu 0xfffd
	s_delay_alu instid0(VALU_DEP_2)
	v_add_co_ci_u32_e64 v40, null, s47, v40, vcc_lo
	s_wait_dscnt 0x0
	global_store_b64 v[39:40], v[36:37], off
	s_wait_alu 0xfffe
	s_or_b32 exec_lo, exec_lo, s15
	s_and_saveexec_b32 s15, s18
	s_cbranch_execz .LBB1360_526
.LBB1360_590:                           ;   in Loop: Header=BB1360_393 Depth=2
	v_lshlrev_b32_e32 v2, 2, v130
	v_add_nc_u32_e32 v36, v70, v44
	ds_load_b32 v2, v2
	ds_load_b64 v[36:37], v36 offset:9216
	s_wait_dscnt 0x1
	v_add_nc_u32_e32 v2, v2, v50
	s_delay_alu instid0(VALU_DEP_1) | instskip(NEXT) | instid1(VALU_DEP_1)
	v_lshlrev_b64_e32 v[39:40], 3, v[2:3]
	v_add_co_u32 v39, vcc_lo, s46, v39
	s_wait_alu 0xfffd
	s_delay_alu instid0(VALU_DEP_2)
	v_add_co_ci_u32_e64 v40, null, s47, v40, vcc_lo
	s_wait_dscnt 0x0
	global_store_b64 v[39:40], v[36:37], off
	s_wait_alu 0xfffe
	s_or_b32 exec_lo, exec_lo, s15
	s_and_saveexec_b32 s15, s19
	s_cbranch_execz .LBB1360_527
.LBB1360_591:                           ;   in Loop: Header=BB1360_393 Depth=2
	v_lshlrev_b32_e32 v2, 2, v129
	v_add_nc_u32_e32 v36, v70, v44
	ds_load_b32 v2, v2
	ds_load_b64 v[36:37], v36 offset:11264
	s_wait_dscnt 0x1
	v_add_nc_u32_e32 v2, v2, v51
	s_delay_alu instid0(VALU_DEP_1) | instskip(NEXT) | instid1(VALU_DEP_1)
	v_lshlrev_b64_e32 v[39:40], 3, v[2:3]
	v_add_co_u32 v39, vcc_lo, s46, v39
	s_wait_alu 0xfffd
	s_delay_alu instid0(VALU_DEP_2)
	v_add_co_ci_u32_e64 v40, null, s47, v40, vcc_lo
	s_wait_dscnt 0x0
	global_store_b64 v[39:40], v[36:37], off
	s_wait_alu 0xfffe
	s_or_b32 exec_lo, exec_lo, s15
	s_and_saveexec_b32 s15, s20
	s_cbranch_execz .LBB1360_528
.LBB1360_592:                           ;   in Loop: Header=BB1360_393 Depth=2
	v_lshlrev_b32_e32 v2, 2, v128
	v_add_nc_u32_e32 v36, v70, v44
	ds_load_b32 v2, v2
	ds_load_b64 v[36:37], v36 offset:13312
	s_wait_dscnt 0x1
	v_add_nc_u32_e32 v2, v2, v52
	s_delay_alu instid0(VALU_DEP_1) | instskip(NEXT) | instid1(VALU_DEP_1)
	v_lshlrev_b64_e32 v[39:40], 3, v[2:3]
	v_add_co_u32 v39, vcc_lo, s46, v39
	s_wait_alu 0xfffd
	s_delay_alu instid0(VALU_DEP_2)
	v_add_co_ci_u32_e64 v40, null, s47, v40, vcc_lo
	s_wait_dscnt 0x0
	global_store_b64 v[39:40], v[36:37], off
	s_wait_alu 0xfffe
	s_or_b32 exec_lo, exec_lo, s15
	s_and_saveexec_b32 s15, s21
	s_cbranch_execz .LBB1360_529
.LBB1360_593:                           ;   in Loop: Header=BB1360_393 Depth=2
	v_lshlrev_b32_e32 v2, 2, v127
	v_add_nc_u32_e32 v36, v70, v44
	ds_load_b32 v2, v2
	ds_load_b64 v[36:37], v36 offset:15360
	s_wait_dscnt 0x1
	v_add_nc_u32_e32 v2, v2, v53
	s_delay_alu instid0(VALU_DEP_1) | instskip(NEXT) | instid1(VALU_DEP_1)
	v_lshlrev_b64_e32 v[39:40], 3, v[2:3]
	v_add_co_u32 v39, vcc_lo, s46, v39
	s_wait_alu 0xfffd
	s_delay_alu instid0(VALU_DEP_2)
	v_add_co_ci_u32_e64 v40, null, s47, v40, vcc_lo
	s_wait_dscnt 0x0
	global_store_b64 v[39:40], v[36:37], off
	s_wait_alu 0xfffe
	s_or_b32 exec_lo, exec_lo, s15
	s_and_saveexec_b32 s15, s22
	s_cbranch_execz .LBB1360_530
.LBB1360_594:                           ;   in Loop: Header=BB1360_393 Depth=2
	v_lshlrev_b32_e32 v2, 2, v126
	v_add_nc_u32_e32 v36, v70, v44
	ds_load_b32 v2, v2
	ds_load_b64 v[36:37], v36 offset:17408
	s_wait_dscnt 0x1
	v_add_nc_u32_e32 v2, v2, v54
	s_delay_alu instid0(VALU_DEP_1) | instskip(NEXT) | instid1(VALU_DEP_1)
	v_lshlrev_b64_e32 v[39:40], 3, v[2:3]
	v_add_co_u32 v39, vcc_lo, s46, v39
	s_wait_alu 0xfffd
	s_delay_alu instid0(VALU_DEP_2)
	v_add_co_ci_u32_e64 v40, null, s47, v40, vcc_lo
	s_wait_dscnt 0x0
	global_store_b64 v[39:40], v[36:37], off
	s_wait_alu 0xfffe
	s_or_b32 exec_lo, exec_lo, s15
	s_and_saveexec_b32 s15, s23
	s_cbranch_execz .LBB1360_531
.LBB1360_595:                           ;   in Loop: Header=BB1360_393 Depth=2
	v_lshlrev_b32_e32 v2, 2, v125
	v_add_nc_u32_e32 v36, v70, v44
	ds_load_b32 v2, v2
	ds_load_b64 v[36:37], v36 offset:19456
	s_wait_dscnt 0x1
	v_add_nc_u32_e32 v2, v2, v55
	s_delay_alu instid0(VALU_DEP_1) | instskip(NEXT) | instid1(VALU_DEP_1)
	v_lshlrev_b64_e32 v[39:40], 3, v[2:3]
	v_add_co_u32 v39, vcc_lo, s46, v39
	s_wait_alu 0xfffd
	s_delay_alu instid0(VALU_DEP_2)
	v_add_co_ci_u32_e64 v40, null, s47, v40, vcc_lo
	s_wait_dscnt 0x0
	global_store_b64 v[39:40], v[36:37], off
	s_wait_alu 0xfffe
	s_or_b32 exec_lo, exec_lo, s15
	s_and_saveexec_b32 s15, s24
	s_cbranch_execz .LBB1360_532
.LBB1360_596:                           ;   in Loop: Header=BB1360_393 Depth=2
	v_lshlrev_b32_e32 v2, 2, v124
	v_add_nc_u32_e32 v36, v70, v44
	ds_load_b32 v2, v2
	ds_load_b64 v[36:37], v36 offset:21504
	s_wait_dscnt 0x1
	v_add_nc_u32_e32 v2, v2, v56
	s_delay_alu instid0(VALU_DEP_1) | instskip(NEXT) | instid1(VALU_DEP_1)
	v_lshlrev_b64_e32 v[39:40], 3, v[2:3]
	v_add_co_u32 v39, vcc_lo, s46, v39
	s_wait_alu 0xfffd
	s_delay_alu instid0(VALU_DEP_2)
	v_add_co_ci_u32_e64 v40, null, s47, v40, vcc_lo
	s_wait_dscnt 0x0
	global_store_b64 v[39:40], v[36:37], off
	s_wait_alu 0xfffe
	s_or_b32 exec_lo, exec_lo, s15
	s_and_saveexec_b32 s15, s25
	s_cbranch_execz .LBB1360_533
.LBB1360_597:                           ;   in Loop: Header=BB1360_393 Depth=2
	v_lshlrev_b32_e32 v2, 2, v123
	v_add_nc_u32_e32 v36, v70, v44
	ds_load_b32 v2, v2
	ds_load_b64 v[36:37], v36 offset:23552
	s_wait_dscnt 0x1
	v_add_nc_u32_e32 v2, v2, v57
	s_delay_alu instid0(VALU_DEP_1) | instskip(NEXT) | instid1(VALU_DEP_1)
	v_lshlrev_b64_e32 v[39:40], 3, v[2:3]
	v_add_co_u32 v39, vcc_lo, s46, v39
	s_wait_alu 0xfffd
	s_delay_alu instid0(VALU_DEP_2)
	v_add_co_ci_u32_e64 v40, null, s47, v40, vcc_lo
	s_wait_dscnt 0x0
	global_store_b64 v[39:40], v[36:37], off
	s_wait_alu 0xfffe
	s_or_b32 exec_lo, exec_lo, s15
	s_and_saveexec_b32 s15, s26
	s_cbranch_execz .LBB1360_534
.LBB1360_598:                           ;   in Loop: Header=BB1360_393 Depth=2
	v_lshlrev_b32_e32 v2, 2, v122
	v_add_nc_u32_e32 v36, v70, v44
	ds_load_b32 v2, v2
	ds_load_b64 v[36:37], v36 offset:25600
	s_wait_dscnt 0x1
	v_add_nc_u32_e32 v2, v2, v58
	s_delay_alu instid0(VALU_DEP_1) | instskip(NEXT) | instid1(VALU_DEP_1)
	v_lshlrev_b64_e32 v[39:40], 3, v[2:3]
	v_add_co_u32 v39, vcc_lo, s46, v39
	s_wait_alu 0xfffd
	s_delay_alu instid0(VALU_DEP_2)
	v_add_co_ci_u32_e64 v40, null, s47, v40, vcc_lo
	s_wait_dscnt 0x0
	global_store_b64 v[39:40], v[36:37], off
	s_wait_alu 0xfffe
	s_or_b32 exec_lo, exec_lo, s15
	s_and_saveexec_b32 s15, s27
	s_cbranch_execz .LBB1360_535
.LBB1360_599:                           ;   in Loop: Header=BB1360_393 Depth=2
	v_lshlrev_b32_e32 v2, 2, v121
	v_add_nc_u32_e32 v36, v70, v44
	ds_load_b32 v2, v2
	ds_load_b64 v[36:37], v36 offset:27648
	s_wait_dscnt 0x1
	v_add_nc_u32_e32 v2, v2, v59
	s_delay_alu instid0(VALU_DEP_1) | instskip(NEXT) | instid1(VALU_DEP_1)
	v_lshlrev_b64_e32 v[39:40], 3, v[2:3]
	v_add_co_u32 v39, vcc_lo, s46, v39
	s_wait_alu 0xfffd
	s_delay_alu instid0(VALU_DEP_2)
	v_add_co_ci_u32_e64 v40, null, s47, v40, vcc_lo
	s_wait_dscnt 0x0
	global_store_b64 v[39:40], v[36:37], off
	s_wait_alu 0xfffe
	s_or_b32 exec_lo, exec_lo, s15
	s_and_saveexec_b32 s15, s28
	s_cbranch_execz .LBB1360_536
.LBB1360_600:                           ;   in Loop: Header=BB1360_393 Depth=2
	v_lshlrev_b32_e32 v2, 2, v120
	v_add_nc_u32_e32 v36, v70, v44
	ds_load_b32 v2, v2
	ds_load_b64 v[36:37], v36 offset:29696
	s_wait_dscnt 0x1
	v_add_nc_u32_e32 v2, v2, v60
	s_delay_alu instid0(VALU_DEP_1) | instskip(NEXT) | instid1(VALU_DEP_1)
	v_lshlrev_b64_e32 v[39:40], 3, v[2:3]
	v_add_co_u32 v39, vcc_lo, s46, v39
	s_wait_alu 0xfffd
	s_delay_alu instid0(VALU_DEP_2)
	v_add_co_ci_u32_e64 v40, null, s47, v40, vcc_lo
	s_wait_dscnt 0x0
	global_store_b64 v[39:40], v[36:37], off
	s_wait_alu 0xfffe
	s_or_b32 exec_lo, exec_lo, s15
	s_and_saveexec_b32 s15, s29
	s_cbranch_execnz .LBB1360_537
	s_branch .LBB1360_538
.LBB1360_601:                           ;   in Loop: Header=BB1360_17 Depth=1
	s_wait_loadcnt_dscnt 0x0
	s_barrier_signal -1
	s_barrier_wait -1
.LBB1360_602:                           ;   in Loop: Header=BB1360_17 Depth=1
	s_mov_b32 s0, 0
.LBB1360_603:                           ;   in Loop: Header=BB1360_17 Depth=1
	s_wait_alu 0xfffe
	s_and_not1_b32 vcc_lo, exec_lo, s0
	s_wait_alu 0xfffe
	s_cbranch_vccnz .LBB1360_16
; %bb.604:                              ;   in Loop: Header=BB1360_17 Depth=1
	s_and_b32 vcc_lo, exec_lo, s52
	s_mov_b32 s0, -1
	s_wait_alu 0xfffe
	s_cbranch_vccz .LBB1360_896
; %bb.605:                              ;   in Loop: Header=BB1360_17 Depth=1
	s_mov_b32 s9, s53
	s_mov_b32 s42, s33
	s_barrier_signal -1
	s_barrier_wait -1
	global_inv scope:SCOPE_SE
                                        ; implicit-def: $vgpr2
                                        ; implicit-def: $vgpr4
                                        ; implicit-def: $vgpr5
                                        ; implicit-def: $vgpr6
                                        ; implicit-def: $vgpr7
                                        ; implicit-def: $vgpr8
                                        ; implicit-def: $vgpr9
                                        ; implicit-def: $vgpr10
                                        ; implicit-def: $vgpr11
                                        ; implicit-def: $vgpr12
                                        ; implicit-def: $vgpr13
                                        ; implicit-def: $vgpr14
                                        ; implicit-def: $vgpr15
                                        ; implicit-def: $vgpr16
                                        ; implicit-def: $vgpr17
                                        ; implicit-def: $vgpr18
	s_branch .LBB1360_607
.LBB1360_606:                           ;   in Loop: Header=BB1360_607 Depth=2
	s_wait_alu 0xfffe
	s_or_b32 exec_lo, exec_lo, s0
	s_addk_co_i32 s9, 0xf000
	s_cmp_ge_u32 s10, s51
	s_mov_b32 s42, s10
	s_cbranch_scc1 .LBB1360_675
.LBB1360_607:                           ;   Parent Loop BB1360_17 Depth=1
                                        ; =>  This Inner Loop Header: Depth=2
	s_wait_alu 0xfffe
	s_add_co_i32 s10, s42, 0x1000
	s_mov_b32 s0, -1
	s_wait_alu 0xfffe
	s_cmp_gt_u32 s10, s51
                                        ; implicit-def: $vgpr19
                                        ; implicit-def: $vgpr20
                                        ; implicit-def: $vgpr21
                                        ; implicit-def: $vgpr22
                                        ; implicit-def: $vgpr23
                                        ; implicit-def: $vgpr24
                                        ; implicit-def: $vgpr25
                                        ; implicit-def: $vgpr26
                                        ; implicit-def: $vgpr27
                                        ; implicit-def: $vgpr28
                                        ; implicit-def: $vgpr29
                                        ; implicit-def: $vgpr30
                                        ; implicit-def: $vgpr31
                                        ; implicit-def: $vgpr32
                                        ; implicit-def: $vgpr33
                                        ; implicit-def: $vgpr34
	s_cbranch_scc1 .LBB1360_609
; %bb.608:                              ;   in Loop: Header=BB1360_607 Depth=2
	s_lshl_b64 s[0:1], s[42:43], 2
	s_wait_alu 0xfffe
	v_add_co_u32 v34, vcc_lo, v77, s0
	s_wait_alu 0xfffd
	v_add_co_ci_u32_e64 v35, null, s1, v78, vcc_lo
	s_mov_b32 s0, 0
	s_clause 0xf
	global_load_b32 v19, v[34:35], off
	global_load_b32 v20, v[34:35], off offset:1024
	global_load_b32 v21, v[34:35], off offset:2048
	;; [unrolled: 1-line block ×15, first 2 shown]
.LBB1360_609:                           ;   in Loop: Header=BB1360_607 Depth=2
	s_wait_alu 0xfffe
	s_and_not1_b32 vcc_lo, exec_lo, s0
	s_movk_i32 s0, 0x1000
	s_wait_alu 0xfffe
	s_cbranch_vccnz .LBB1360_628
; %bb.610:                              ;   in Loop: Header=BB1360_607 Depth=2
	s_lshl_b64 s[0:1], s[42:43], 2
	s_mov_b32 s11, exec_lo
	s_wait_alu 0xfffe
	s_add_nc_u64 s[0:1], s[36:37], s[0:1]
	v_cmpx_gt_u32_e64 s9, v1
	s_cbranch_execnz .LBB1360_660
; %bb.611:                              ;   in Loop: Header=BB1360_607 Depth=2
	s_or_b32 exec_lo, exec_lo, s11
	s_delay_alu instid0(SALU_CYCLE_1)
	s_mov_b32 s11, exec_lo
	v_cmpx_gt_u32_e64 s9, v45
	s_cbranch_execnz .LBB1360_661
.LBB1360_612:                           ;   in Loop: Header=BB1360_607 Depth=2
	s_wait_alu 0xfffe
	s_or_b32 exec_lo, exec_lo, s11
	s_delay_alu instid0(SALU_CYCLE_1)
	s_mov_b32 s11, exec_lo
	v_cmpx_gt_u32_e64 s9, v46
	s_cbranch_execnz .LBB1360_662
.LBB1360_613:                           ;   in Loop: Header=BB1360_607 Depth=2
	s_wait_alu 0xfffe
	s_or_b32 exec_lo, exec_lo, s11
	s_delay_alu instid0(SALU_CYCLE_1)
	s_mov_b32 s11, exec_lo
	v_cmpx_gt_u32_e64 s9, v47
	s_cbranch_execnz .LBB1360_663
.LBB1360_614:                           ;   in Loop: Header=BB1360_607 Depth=2
	s_wait_alu 0xfffe
	s_or_b32 exec_lo, exec_lo, s11
	s_delay_alu instid0(SALU_CYCLE_1)
	s_mov_b32 s11, exec_lo
	v_cmpx_gt_u32_e64 s9, v50
	s_cbranch_execnz .LBB1360_664
.LBB1360_615:                           ;   in Loop: Header=BB1360_607 Depth=2
	s_wait_alu 0xfffe
	s_or_b32 exec_lo, exec_lo, s11
	s_delay_alu instid0(SALU_CYCLE_1)
	s_mov_b32 s11, exec_lo
	v_cmpx_gt_u32_e64 s9, v51
	s_cbranch_execnz .LBB1360_665
.LBB1360_616:                           ;   in Loop: Header=BB1360_607 Depth=2
	s_wait_alu 0xfffe
	s_or_b32 exec_lo, exec_lo, s11
	s_delay_alu instid0(SALU_CYCLE_1)
	s_mov_b32 s11, exec_lo
	v_cmpx_gt_u32_e64 s9, v52
	s_cbranch_execnz .LBB1360_666
.LBB1360_617:                           ;   in Loop: Header=BB1360_607 Depth=2
	s_wait_alu 0xfffe
	s_or_b32 exec_lo, exec_lo, s11
	s_delay_alu instid0(SALU_CYCLE_1)
	s_mov_b32 s11, exec_lo
	v_cmpx_gt_u32_e64 s9, v53
	s_cbranch_execnz .LBB1360_667
.LBB1360_618:                           ;   in Loop: Header=BB1360_607 Depth=2
	s_wait_alu 0xfffe
	s_or_b32 exec_lo, exec_lo, s11
	s_delay_alu instid0(SALU_CYCLE_1)
	s_mov_b32 s11, exec_lo
	v_cmpx_gt_u32_e64 s9, v54
	s_cbranch_execnz .LBB1360_668
.LBB1360_619:                           ;   in Loop: Header=BB1360_607 Depth=2
	s_wait_alu 0xfffe
	s_or_b32 exec_lo, exec_lo, s11
	s_delay_alu instid0(SALU_CYCLE_1)
	s_mov_b32 s11, exec_lo
	v_cmpx_gt_u32_e64 s9, v55
	s_cbranch_execnz .LBB1360_669
.LBB1360_620:                           ;   in Loop: Header=BB1360_607 Depth=2
	s_wait_alu 0xfffe
	s_or_b32 exec_lo, exec_lo, s11
	s_delay_alu instid0(SALU_CYCLE_1)
	s_mov_b32 s11, exec_lo
	v_cmpx_gt_u32_e64 s9, v56
	s_cbranch_execnz .LBB1360_670
.LBB1360_621:                           ;   in Loop: Header=BB1360_607 Depth=2
	s_wait_alu 0xfffe
	s_or_b32 exec_lo, exec_lo, s11
	s_delay_alu instid0(SALU_CYCLE_1)
	s_mov_b32 s11, exec_lo
	v_cmpx_gt_u32_e64 s9, v57
	s_cbranch_execnz .LBB1360_671
.LBB1360_622:                           ;   in Loop: Header=BB1360_607 Depth=2
	s_wait_alu 0xfffe
	s_or_b32 exec_lo, exec_lo, s11
	s_delay_alu instid0(SALU_CYCLE_1)
	s_mov_b32 s11, exec_lo
	v_cmpx_gt_u32_e64 s9, v58
	s_cbranch_execnz .LBB1360_672
.LBB1360_623:                           ;   in Loop: Header=BB1360_607 Depth=2
	s_wait_alu 0xfffe
	s_or_b32 exec_lo, exec_lo, s11
	s_delay_alu instid0(SALU_CYCLE_1)
	s_mov_b32 s11, exec_lo
	v_cmpx_gt_u32_e64 s9, v59
	s_cbranch_execnz .LBB1360_673
.LBB1360_624:                           ;   in Loop: Header=BB1360_607 Depth=2
	s_wait_alu 0xfffe
	s_or_b32 exec_lo, exec_lo, s11
	s_delay_alu instid0(SALU_CYCLE_1)
	s_mov_b32 s11, exec_lo
	v_cmpx_gt_u32_e64 s9, v60
	s_cbranch_execnz .LBB1360_674
.LBB1360_625:                           ;   in Loop: Header=BB1360_607 Depth=2
	s_wait_alu 0xfffe
	s_or_b32 exec_lo, exec_lo, s11
	s_delay_alu instid0(SALU_CYCLE_1)
	s_mov_b32 s11, exec_lo
	v_cmpx_gt_u32_e64 s9, v61
	s_cbranch_execz .LBB1360_627
.LBB1360_626:                           ;   in Loop: Header=BB1360_607 Depth=2
	global_load_b32 v2, v108, s[0:1] offset:15360
.LBB1360_627:                           ;   in Loop: Header=BB1360_607 Depth=2
	s_wait_alu 0xfffe
	s_or_b32 exec_lo, exec_lo, s11
	s_wait_loadcnt 0x0
	v_dual_mov_b32 v19, v18 :: v_dual_mov_b32 v20, v17
	v_dual_mov_b32 v21, v16 :: v_dual_mov_b32 v22, v15
	v_dual_mov_b32 v23, v14 :: v_dual_mov_b32 v24, v13
	v_dual_mov_b32 v25, v12 :: v_dual_mov_b32 v26, v11
	v_dual_mov_b32 v27, v10 :: v_dual_mov_b32 v28, v9
	v_dual_mov_b32 v29, v8 :: v_dual_mov_b32 v30, v7
	v_dual_mov_b32 v31, v6 :: v_dual_mov_b32 v32, v5
	v_dual_mov_b32 v33, v4 :: v_dual_mov_b32 v34, v2
	s_mov_b32 s0, s9
.LBB1360_628:                           ;   in Loop: Header=BB1360_607 Depth=2
	s_wait_loadcnt 0x0
	s_delay_alu instid0(VALU_DEP_1) | instskip(NEXT) | instid1(VALU_DEP_2)
	v_dual_mov_b32 v2, v34 :: v_dual_mov_b32 v5, v32
	v_dual_mov_b32 v4, v33 :: v_dual_mov_b32 v7, v30
	;; [unrolled: 1-line block ×7, first 2 shown]
	v_mov_b32_e32 v16, v21
	v_mov_b32_e32 v18, v19
	s_mov_b32 s1, exec_lo
	s_wait_alu 0xfffe
	v_cmpx_gt_u32_e64 s0, v1
	s_cbranch_execnz .LBB1360_644
; %bb.629:                              ;   in Loop: Header=BB1360_607 Depth=2
	s_or_b32 exec_lo, exec_lo, s1
	s_delay_alu instid0(SALU_CYCLE_1)
	s_mov_b32 s1, exec_lo
	v_cmpx_gt_u32_e64 s0, v45
	s_cbranch_execnz .LBB1360_645
.LBB1360_630:                           ;   in Loop: Header=BB1360_607 Depth=2
	s_wait_alu 0xfffe
	s_or_b32 exec_lo, exec_lo, s1
	s_delay_alu instid0(SALU_CYCLE_1)
	s_mov_b32 s1, exec_lo
	v_cmpx_gt_u32_e64 s0, v46
	s_cbranch_execnz .LBB1360_646
.LBB1360_631:                           ;   in Loop: Header=BB1360_607 Depth=2
	s_wait_alu 0xfffe
	s_or_b32 exec_lo, exec_lo, s1
	s_delay_alu instid0(SALU_CYCLE_1)
	s_mov_b32 s1, exec_lo
	v_cmpx_gt_u32_e64 s0, v47
	s_cbranch_execnz .LBB1360_647
.LBB1360_632:                           ;   in Loop: Header=BB1360_607 Depth=2
	s_wait_alu 0xfffe
	s_or_b32 exec_lo, exec_lo, s1
	s_delay_alu instid0(SALU_CYCLE_1)
	s_mov_b32 s1, exec_lo
	v_cmpx_gt_u32_e64 s0, v50
	s_cbranch_execnz .LBB1360_648
.LBB1360_633:                           ;   in Loop: Header=BB1360_607 Depth=2
	s_wait_alu 0xfffe
	s_or_b32 exec_lo, exec_lo, s1
	s_delay_alu instid0(SALU_CYCLE_1)
	s_mov_b32 s1, exec_lo
	v_cmpx_gt_u32_e64 s0, v51
	s_cbranch_execnz .LBB1360_649
.LBB1360_634:                           ;   in Loop: Header=BB1360_607 Depth=2
	s_wait_alu 0xfffe
	s_or_b32 exec_lo, exec_lo, s1
	s_delay_alu instid0(SALU_CYCLE_1)
	s_mov_b32 s1, exec_lo
	v_cmpx_gt_u32_e64 s0, v52
	s_cbranch_execnz .LBB1360_650
.LBB1360_635:                           ;   in Loop: Header=BB1360_607 Depth=2
	s_wait_alu 0xfffe
	s_or_b32 exec_lo, exec_lo, s1
	s_delay_alu instid0(SALU_CYCLE_1)
	s_mov_b32 s1, exec_lo
	v_cmpx_gt_u32_e64 s0, v53
	s_cbranch_execnz .LBB1360_651
.LBB1360_636:                           ;   in Loop: Header=BB1360_607 Depth=2
	s_wait_alu 0xfffe
	s_or_b32 exec_lo, exec_lo, s1
	s_delay_alu instid0(SALU_CYCLE_1)
	s_mov_b32 s1, exec_lo
	v_cmpx_gt_u32_e64 s0, v54
	s_cbranch_execnz .LBB1360_652
.LBB1360_637:                           ;   in Loop: Header=BB1360_607 Depth=2
	s_wait_alu 0xfffe
	s_or_b32 exec_lo, exec_lo, s1
	s_delay_alu instid0(SALU_CYCLE_1)
	s_mov_b32 s1, exec_lo
	v_cmpx_gt_u32_e64 s0, v55
	s_cbranch_execnz .LBB1360_653
.LBB1360_638:                           ;   in Loop: Header=BB1360_607 Depth=2
	s_wait_alu 0xfffe
	s_or_b32 exec_lo, exec_lo, s1
	s_delay_alu instid0(SALU_CYCLE_1)
	s_mov_b32 s1, exec_lo
	v_cmpx_gt_u32_e64 s0, v56
	s_cbranch_execnz .LBB1360_654
.LBB1360_639:                           ;   in Loop: Header=BB1360_607 Depth=2
	s_wait_alu 0xfffe
	s_or_b32 exec_lo, exec_lo, s1
	s_delay_alu instid0(SALU_CYCLE_1)
	s_mov_b32 s1, exec_lo
	v_cmpx_gt_u32_e64 s0, v57
	s_cbranch_execnz .LBB1360_655
.LBB1360_640:                           ;   in Loop: Header=BB1360_607 Depth=2
	s_wait_alu 0xfffe
	s_or_b32 exec_lo, exec_lo, s1
	s_delay_alu instid0(SALU_CYCLE_1)
	s_mov_b32 s1, exec_lo
	v_cmpx_gt_u32_e64 s0, v58
	s_cbranch_execnz .LBB1360_656
.LBB1360_641:                           ;   in Loop: Header=BB1360_607 Depth=2
	s_wait_alu 0xfffe
	s_or_b32 exec_lo, exec_lo, s1
	s_delay_alu instid0(SALU_CYCLE_1)
	s_mov_b32 s1, exec_lo
	v_cmpx_gt_u32_e64 s0, v59
	s_cbranch_execnz .LBB1360_657
.LBB1360_642:                           ;   in Loop: Header=BB1360_607 Depth=2
	s_wait_alu 0xfffe
	s_or_b32 exec_lo, exec_lo, s1
	s_delay_alu instid0(SALU_CYCLE_1)
	s_mov_b32 s1, exec_lo
	v_cmpx_gt_u32_e64 s0, v60
	s_cbranch_execnz .LBB1360_658
.LBB1360_643:                           ;   in Loop: Header=BB1360_607 Depth=2
	s_wait_alu 0xfffe
	s_or_b32 exec_lo, exec_lo, s1
	v_cmp_gt_u32_e32 vcc_lo, s0, v61
	s_and_saveexec_b32 s0, vcc_lo
	s_cbranch_execz .LBB1360_606
	s_branch .LBB1360_659
.LBB1360_644:                           ;   in Loop: Header=BB1360_607 Depth=2
	v_cmp_gt_i32_e32 vcc_lo, 0, v18
	s_wait_alu 0xfffd
	v_cndmask_b32_e64 v19, 0x7fffffff, 0, vcc_lo
	s_delay_alu instid0(VALU_DEP_1) | instskip(NEXT) | instid1(VALU_DEP_1)
	v_xor_b32_e32 v19, v19, v18
	v_cmp_ne_u32_e32 vcc_lo, 0x80000000, v19
	s_wait_alu 0xfffd
	v_cndmask_b32_e32 v19, 0x7fffffff, v19, vcc_lo
	s_delay_alu instid0(VALU_DEP_1) | instskip(NEXT) | instid1(VALU_DEP_1)
	v_lshrrev_b32_e32 v19, s49, v19
	v_and_b32_e32 v19, s48, v19
	s_delay_alu instid0(VALU_DEP_1) | instskip(SKIP_2) | instid1(SALU_CYCLE_1)
	v_lshl_or_b32 v19, v19, 4, v62
	ds_add_u32 v19, v84
	s_or_b32 exec_lo, exec_lo, s1
	s_mov_b32 s1, exec_lo
	v_cmpx_gt_u32_e64 s0, v45
	s_cbranch_execz .LBB1360_630
.LBB1360_645:                           ;   in Loop: Header=BB1360_607 Depth=2
	v_cmp_gt_i32_e32 vcc_lo, 0, v17
	s_wait_alu 0xfffd
	v_cndmask_b32_e64 v19, 0x7fffffff, 0, vcc_lo
	s_delay_alu instid0(VALU_DEP_1) | instskip(NEXT) | instid1(VALU_DEP_1)
	v_xor_b32_e32 v19, v19, v17
	v_cmp_ne_u32_e32 vcc_lo, 0x80000000, v19
	s_wait_alu 0xfffd
	v_cndmask_b32_e32 v19, 0x7fffffff, v19, vcc_lo
	s_delay_alu instid0(VALU_DEP_1) | instskip(NEXT) | instid1(VALU_DEP_1)
	v_lshrrev_b32_e32 v19, s49, v19
	v_and_b32_e32 v19, s48, v19
	s_delay_alu instid0(VALU_DEP_1) | instskip(SKIP_3) | instid1(SALU_CYCLE_1)
	v_lshl_or_b32 v19, v19, 4, v62
	ds_add_u32 v19, v84
	s_wait_alu 0xfffe
	s_or_b32 exec_lo, exec_lo, s1
	s_mov_b32 s1, exec_lo
	v_cmpx_gt_u32_e64 s0, v46
	s_cbranch_execz .LBB1360_631
.LBB1360_646:                           ;   in Loop: Header=BB1360_607 Depth=2
	v_cmp_gt_i32_e32 vcc_lo, 0, v16
	s_wait_alu 0xfffd
	v_cndmask_b32_e64 v19, 0x7fffffff, 0, vcc_lo
	s_delay_alu instid0(VALU_DEP_1) | instskip(NEXT) | instid1(VALU_DEP_1)
	v_xor_b32_e32 v19, v19, v16
	v_cmp_ne_u32_e32 vcc_lo, 0x80000000, v19
	s_wait_alu 0xfffd
	v_cndmask_b32_e32 v19, 0x7fffffff, v19, vcc_lo
	s_delay_alu instid0(VALU_DEP_1) | instskip(NEXT) | instid1(VALU_DEP_1)
	v_lshrrev_b32_e32 v19, s49, v19
	v_and_b32_e32 v19, s48, v19
	s_delay_alu instid0(VALU_DEP_1) | instskip(SKIP_3) | instid1(SALU_CYCLE_1)
	v_lshl_or_b32 v19, v19, 4, v62
	ds_add_u32 v19, v84
	s_wait_alu 0xfffe
	s_or_b32 exec_lo, exec_lo, s1
	s_mov_b32 s1, exec_lo
	v_cmpx_gt_u32_e64 s0, v47
	s_cbranch_execz .LBB1360_632
.LBB1360_647:                           ;   in Loop: Header=BB1360_607 Depth=2
	v_cmp_gt_i32_e32 vcc_lo, 0, v15
	s_wait_alu 0xfffd
	v_cndmask_b32_e64 v19, 0x7fffffff, 0, vcc_lo
	s_delay_alu instid0(VALU_DEP_1) | instskip(NEXT) | instid1(VALU_DEP_1)
	v_xor_b32_e32 v19, v19, v15
	v_cmp_ne_u32_e32 vcc_lo, 0x80000000, v19
	s_wait_alu 0xfffd
	v_cndmask_b32_e32 v19, 0x7fffffff, v19, vcc_lo
	s_delay_alu instid0(VALU_DEP_1) | instskip(NEXT) | instid1(VALU_DEP_1)
	v_lshrrev_b32_e32 v19, s49, v19
	v_and_b32_e32 v19, s48, v19
	s_delay_alu instid0(VALU_DEP_1) | instskip(SKIP_3) | instid1(SALU_CYCLE_1)
	v_lshl_or_b32 v19, v19, 4, v62
	ds_add_u32 v19, v84
	s_wait_alu 0xfffe
	s_or_b32 exec_lo, exec_lo, s1
	s_mov_b32 s1, exec_lo
	v_cmpx_gt_u32_e64 s0, v50
	s_cbranch_execz .LBB1360_633
.LBB1360_648:                           ;   in Loop: Header=BB1360_607 Depth=2
	v_cmp_gt_i32_e32 vcc_lo, 0, v14
	s_wait_alu 0xfffd
	v_cndmask_b32_e64 v19, 0x7fffffff, 0, vcc_lo
	s_delay_alu instid0(VALU_DEP_1) | instskip(NEXT) | instid1(VALU_DEP_1)
	v_xor_b32_e32 v19, v19, v14
	v_cmp_ne_u32_e32 vcc_lo, 0x80000000, v19
	s_wait_alu 0xfffd
	v_cndmask_b32_e32 v19, 0x7fffffff, v19, vcc_lo
	s_delay_alu instid0(VALU_DEP_1) | instskip(NEXT) | instid1(VALU_DEP_1)
	v_lshrrev_b32_e32 v19, s49, v19
	v_and_b32_e32 v19, s48, v19
	s_delay_alu instid0(VALU_DEP_1) | instskip(SKIP_3) | instid1(SALU_CYCLE_1)
	v_lshl_or_b32 v19, v19, 4, v62
	ds_add_u32 v19, v84
	s_wait_alu 0xfffe
	s_or_b32 exec_lo, exec_lo, s1
	s_mov_b32 s1, exec_lo
	v_cmpx_gt_u32_e64 s0, v51
	s_cbranch_execz .LBB1360_634
.LBB1360_649:                           ;   in Loop: Header=BB1360_607 Depth=2
	v_cmp_gt_i32_e32 vcc_lo, 0, v13
	s_wait_alu 0xfffd
	v_cndmask_b32_e64 v19, 0x7fffffff, 0, vcc_lo
	s_delay_alu instid0(VALU_DEP_1) | instskip(NEXT) | instid1(VALU_DEP_1)
	v_xor_b32_e32 v19, v19, v13
	v_cmp_ne_u32_e32 vcc_lo, 0x80000000, v19
	s_wait_alu 0xfffd
	v_cndmask_b32_e32 v19, 0x7fffffff, v19, vcc_lo
	s_delay_alu instid0(VALU_DEP_1) | instskip(NEXT) | instid1(VALU_DEP_1)
	v_lshrrev_b32_e32 v19, s49, v19
	v_and_b32_e32 v19, s48, v19
	s_delay_alu instid0(VALU_DEP_1) | instskip(SKIP_3) | instid1(SALU_CYCLE_1)
	v_lshl_or_b32 v19, v19, 4, v62
	ds_add_u32 v19, v84
	s_wait_alu 0xfffe
	s_or_b32 exec_lo, exec_lo, s1
	s_mov_b32 s1, exec_lo
	v_cmpx_gt_u32_e64 s0, v52
	s_cbranch_execz .LBB1360_635
.LBB1360_650:                           ;   in Loop: Header=BB1360_607 Depth=2
	v_cmp_gt_i32_e32 vcc_lo, 0, v12
	s_wait_alu 0xfffd
	v_cndmask_b32_e64 v19, 0x7fffffff, 0, vcc_lo
	s_delay_alu instid0(VALU_DEP_1) | instskip(NEXT) | instid1(VALU_DEP_1)
	v_xor_b32_e32 v19, v19, v12
	v_cmp_ne_u32_e32 vcc_lo, 0x80000000, v19
	s_wait_alu 0xfffd
	v_cndmask_b32_e32 v19, 0x7fffffff, v19, vcc_lo
	s_delay_alu instid0(VALU_DEP_1) | instskip(NEXT) | instid1(VALU_DEP_1)
	v_lshrrev_b32_e32 v19, s49, v19
	v_and_b32_e32 v19, s48, v19
	s_delay_alu instid0(VALU_DEP_1) | instskip(SKIP_3) | instid1(SALU_CYCLE_1)
	v_lshl_or_b32 v19, v19, 4, v62
	ds_add_u32 v19, v84
	s_wait_alu 0xfffe
	s_or_b32 exec_lo, exec_lo, s1
	s_mov_b32 s1, exec_lo
	v_cmpx_gt_u32_e64 s0, v53
	s_cbranch_execz .LBB1360_636
.LBB1360_651:                           ;   in Loop: Header=BB1360_607 Depth=2
	v_cmp_gt_i32_e32 vcc_lo, 0, v11
	s_wait_alu 0xfffd
	v_cndmask_b32_e64 v19, 0x7fffffff, 0, vcc_lo
	s_delay_alu instid0(VALU_DEP_1) | instskip(NEXT) | instid1(VALU_DEP_1)
	v_xor_b32_e32 v19, v19, v11
	v_cmp_ne_u32_e32 vcc_lo, 0x80000000, v19
	s_wait_alu 0xfffd
	v_cndmask_b32_e32 v19, 0x7fffffff, v19, vcc_lo
	s_delay_alu instid0(VALU_DEP_1) | instskip(NEXT) | instid1(VALU_DEP_1)
	v_lshrrev_b32_e32 v19, s49, v19
	v_and_b32_e32 v19, s48, v19
	s_delay_alu instid0(VALU_DEP_1) | instskip(SKIP_3) | instid1(SALU_CYCLE_1)
	v_lshl_or_b32 v19, v19, 4, v62
	ds_add_u32 v19, v84
	s_wait_alu 0xfffe
	s_or_b32 exec_lo, exec_lo, s1
	s_mov_b32 s1, exec_lo
	v_cmpx_gt_u32_e64 s0, v54
	s_cbranch_execz .LBB1360_637
.LBB1360_652:                           ;   in Loop: Header=BB1360_607 Depth=2
	v_cmp_gt_i32_e32 vcc_lo, 0, v10
	s_wait_alu 0xfffd
	v_cndmask_b32_e64 v19, 0x7fffffff, 0, vcc_lo
	s_delay_alu instid0(VALU_DEP_1) | instskip(NEXT) | instid1(VALU_DEP_1)
	v_xor_b32_e32 v19, v19, v10
	v_cmp_ne_u32_e32 vcc_lo, 0x80000000, v19
	s_wait_alu 0xfffd
	v_cndmask_b32_e32 v19, 0x7fffffff, v19, vcc_lo
	s_delay_alu instid0(VALU_DEP_1) | instskip(NEXT) | instid1(VALU_DEP_1)
	v_lshrrev_b32_e32 v19, s49, v19
	v_and_b32_e32 v19, s48, v19
	s_delay_alu instid0(VALU_DEP_1) | instskip(SKIP_3) | instid1(SALU_CYCLE_1)
	v_lshl_or_b32 v19, v19, 4, v62
	ds_add_u32 v19, v84
	s_wait_alu 0xfffe
	s_or_b32 exec_lo, exec_lo, s1
	s_mov_b32 s1, exec_lo
	v_cmpx_gt_u32_e64 s0, v55
	s_cbranch_execz .LBB1360_638
.LBB1360_653:                           ;   in Loop: Header=BB1360_607 Depth=2
	v_cmp_gt_i32_e32 vcc_lo, 0, v9
	s_wait_alu 0xfffd
	v_cndmask_b32_e64 v19, 0x7fffffff, 0, vcc_lo
	s_delay_alu instid0(VALU_DEP_1) | instskip(NEXT) | instid1(VALU_DEP_1)
	v_xor_b32_e32 v19, v19, v9
	v_cmp_ne_u32_e32 vcc_lo, 0x80000000, v19
	s_wait_alu 0xfffd
	v_cndmask_b32_e32 v19, 0x7fffffff, v19, vcc_lo
	s_delay_alu instid0(VALU_DEP_1) | instskip(NEXT) | instid1(VALU_DEP_1)
	v_lshrrev_b32_e32 v19, s49, v19
	v_and_b32_e32 v19, s48, v19
	s_delay_alu instid0(VALU_DEP_1) | instskip(SKIP_3) | instid1(SALU_CYCLE_1)
	v_lshl_or_b32 v19, v19, 4, v62
	ds_add_u32 v19, v84
	s_wait_alu 0xfffe
	s_or_b32 exec_lo, exec_lo, s1
	s_mov_b32 s1, exec_lo
	v_cmpx_gt_u32_e64 s0, v56
	s_cbranch_execz .LBB1360_639
.LBB1360_654:                           ;   in Loop: Header=BB1360_607 Depth=2
	v_cmp_gt_i32_e32 vcc_lo, 0, v8
	s_wait_alu 0xfffd
	v_cndmask_b32_e64 v19, 0x7fffffff, 0, vcc_lo
	s_delay_alu instid0(VALU_DEP_1) | instskip(NEXT) | instid1(VALU_DEP_1)
	v_xor_b32_e32 v19, v19, v8
	v_cmp_ne_u32_e32 vcc_lo, 0x80000000, v19
	s_wait_alu 0xfffd
	v_cndmask_b32_e32 v19, 0x7fffffff, v19, vcc_lo
	s_delay_alu instid0(VALU_DEP_1) | instskip(NEXT) | instid1(VALU_DEP_1)
	v_lshrrev_b32_e32 v19, s49, v19
	v_and_b32_e32 v19, s48, v19
	s_delay_alu instid0(VALU_DEP_1) | instskip(SKIP_3) | instid1(SALU_CYCLE_1)
	v_lshl_or_b32 v19, v19, 4, v62
	ds_add_u32 v19, v84
	s_wait_alu 0xfffe
	s_or_b32 exec_lo, exec_lo, s1
	s_mov_b32 s1, exec_lo
	v_cmpx_gt_u32_e64 s0, v57
	s_cbranch_execz .LBB1360_640
.LBB1360_655:                           ;   in Loop: Header=BB1360_607 Depth=2
	v_cmp_gt_i32_e32 vcc_lo, 0, v7
	s_wait_alu 0xfffd
	v_cndmask_b32_e64 v19, 0x7fffffff, 0, vcc_lo
	s_delay_alu instid0(VALU_DEP_1) | instskip(NEXT) | instid1(VALU_DEP_1)
	v_xor_b32_e32 v19, v19, v7
	v_cmp_ne_u32_e32 vcc_lo, 0x80000000, v19
	s_wait_alu 0xfffd
	v_cndmask_b32_e32 v19, 0x7fffffff, v19, vcc_lo
	s_delay_alu instid0(VALU_DEP_1) | instskip(NEXT) | instid1(VALU_DEP_1)
	v_lshrrev_b32_e32 v19, s49, v19
	v_and_b32_e32 v19, s48, v19
	s_delay_alu instid0(VALU_DEP_1) | instskip(SKIP_3) | instid1(SALU_CYCLE_1)
	v_lshl_or_b32 v19, v19, 4, v62
	ds_add_u32 v19, v84
	s_wait_alu 0xfffe
	s_or_b32 exec_lo, exec_lo, s1
	s_mov_b32 s1, exec_lo
	v_cmpx_gt_u32_e64 s0, v58
	s_cbranch_execz .LBB1360_641
.LBB1360_656:                           ;   in Loop: Header=BB1360_607 Depth=2
	v_cmp_gt_i32_e32 vcc_lo, 0, v6
	s_wait_alu 0xfffd
	v_cndmask_b32_e64 v19, 0x7fffffff, 0, vcc_lo
	s_delay_alu instid0(VALU_DEP_1) | instskip(NEXT) | instid1(VALU_DEP_1)
	v_xor_b32_e32 v19, v19, v6
	v_cmp_ne_u32_e32 vcc_lo, 0x80000000, v19
	s_wait_alu 0xfffd
	v_cndmask_b32_e32 v19, 0x7fffffff, v19, vcc_lo
	s_delay_alu instid0(VALU_DEP_1) | instskip(NEXT) | instid1(VALU_DEP_1)
	v_lshrrev_b32_e32 v19, s49, v19
	v_and_b32_e32 v19, s48, v19
	s_delay_alu instid0(VALU_DEP_1) | instskip(SKIP_3) | instid1(SALU_CYCLE_1)
	v_lshl_or_b32 v19, v19, 4, v62
	ds_add_u32 v19, v84
	s_wait_alu 0xfffe
	s_or_b32 exec_lo, exec_lo, s1
	s_mov_b32 s1, exec_lo
	v_cmpx_gt_u32_e64 s0, v59
	s_cbranch_execz .LBB1360_642
.LBB1360_657:                           ;   in Loop: Header=BB1360_607 Depth=2
	v_cmp_gt_i32_e32 vcc_lo, 0, v5
	s_wait_alu 0xfffd
	v_cndmask_b32_e64 v19, 0x7fffffff, 0, vcc_lo
	s_delay_alu instid0(VALU_DEP_1) | instskip(NEXT) | instid1(VALU_DEP_1)
	v_xor_b32_e32 v19, v19, v5
	v_cmp_ne_u32_e32 vcc_lo, 0x80000000, v19
	s_wait_alu 0xfffd
	v_cndmask_b32_e32 v19, 0x7fffffff, v19, vcc_lo
	s_delay_alu instid0(VALU_DEP_1) | instskip(NEXT) | instid1(VALU_DEP_1)
	v_lshrrev_b32_e32 v19, s49, v19
	v_and_b32_e32 v19, s48, v19
	s_delay_alu instid0(VALU_DEP_1) | instskip(SKIP_3) | instid1(SALU_CYCLE_1)
	v_lshl_or_b32 v19, v19, 4, v62
	ds_add_u32 v19, v84
	s_wait_alu 0xfffe
	s_or_b32 exec_lo, exec_lo, s1
	s_mov_b32 s1, exec_lo
	v_cmpx_gt_u32_e64 s0, v60
	s_cbranch_execz .LBB1360_643
.LBB1360_658:                           ;   in Loop: Header=BB1360_607 Depth=2
	v_cmp_gt_i32_e32 vcc_lo, 0, v4
	s_wait_alu 0xfffd
	v_cndmask_b32_e64 v19, 0x7fffffff, 0, vcc_lo
	s_delay_alu instid0(VALU_DEP_1) | instskip(NEXT) | instid1(VALU_DEP_1)
	v_xor_b32_e32 v19, v19, v4
	v_cmp_ne_u32_e32 vcc_lo, 0x80000000, v19
	s_wait_alu 0xfffd
	v_cndmask_b32_e32 v19, 0x7fffffff, v19, vcc_lo
	s_delay_alu instid0(VALU_DEP_1) | instskip(NEXT) | instid1(VALU_DEP_1)
	v_lshrrev_b32_e32 v19, s49, v19
	v_and_b32_e32 v19, s48, v19
	s_delay_alu instid0(VALU_DEP_1)
	v_lshl_or_b32 v19, v19, 4, v62
	ds_add_u32 v19, v84
	s_wait_alu 0xfffe
	s_or_b32 exec_lo, exec_lo, s1
	v_cmp_gt_u32_e32 vcc_lo, s0, v61
	s_and_saveexec_b32 s0, vcc_lo
	s_cbranch_execz .LBB1360_606
.LBB1360_659:                           ;   in Loop: Header=BB1360_607 Depth=2
	v_cmp_gt_i32_e32 vcc_lo, 0, v2
	s_wait_alu 0xfffd
	v_cndmask_b32_e64 v19, 0x7fffffff, 0, vcc_lo
	s_delay_alu instid0(VALU_DEP_1) | instskip(NEXT) | instid1(VALU_DEP_1)
	v_xor_b32_e32 v19, v19, v2
	v_cmp_ne_u32_e32 vcc_lo, 0x80000000, v19
	s_wait_alu 0xfffd
	v_cndmask_b32_e32 v19, 0x7fffffff, v19, vcc_lo
	s_delay_alu instid0(VALU_DEP_1) | instskip(NEXT) | instid1(VALU_DEP_1)
	v_lshrrev_b32_e32 v19, s49, v19
	v_and_b32_e32 v19, s48, v19
	s_delay_alu instid0(VALU_DEP_1)
	v_lshl_or_b32 v19, v19, 4, v62
	ds_add_u32 v19, v84
	s_branch .LBB1360_606
.LBB1360_660:                           ;   in Loop: Header=BB1360_607 Depth=2
	global_load_b32 v18, v108, s[0:1]
	s_or_b32 exec_lo, exec_lo, s11
	s_delay_alu instid0(SALU_CYCLE_1)
	s_mov_b32 s11, exec_lo
	v_cmpx_gt_u32_e64 s9, v45
	s_cbranch_execz .LBB1360_612
.LBB1360_661:                           ;   in Loop: Header=BB1360_607 Depth=2
	global_load_b32 v17, v108, s[0:1] offset:1024
	s_wait_alu 0xfffe
	s_or_b32 exec_lo, exec_lo, s11
	s_delay_alu instid0(SALU_CYCLE_1)
	s_mov_b32 s11, exec_lo
	v_cmpx_gt_u32_e64 s9, v46
	s_cbranch_execz .LBB1360_613
.LBB1360_662:                           ;   in Loop: Header=BB1360_607 Depth=2
	global_load_b32 v16, v108, s[0:1] offset:2048
	s_wait_alu 0xfffe
	s_or_b32 exec_lo, exec_lo, s11
	s_delay_alu instid0(SALU_CYCLE_1)
	s_mov_b32 s11, exec_lo
	v_cmpx_gt_u32_e64 s9, v47
	s_cbranch_execz .LBB1360_614
.LBB1360_663:                           ;   in Loop: Header=BB1360_607 Depth=2
	global_load_b32 v15, v108, s[0:1] offset:3072
	s_wait_alu 0xfffe
	s_or_b32 exec_lo, exec_lo, s11
	s_delay_alu instid0(SALU_CYCLE_1)
	s_mov_b32 s11, exec_lo
	v_cmpx_gt_u32_e64 s9, v50
	s_cbranch_execz .LBB1360_615
.LBB1360_664:                           ;   in Loop: Header=BB1360_607 Depth=2
	global_load_b32 v14, v108, s[0:1] offset:4096
	s_wait_alu 0xfffe
	s_or_b32 exec_lo, exec_lo, s11
	s_delay_alu instid0(SALU_CYCLE_1)
	s_mov_b32 s11, exec_lo
	v_cmpx_gt_u32_e64 s9, v51
	s_cbranch_execz .LBB1360_616
.LBB1360_665:                           ;   in Loop: Header=BB1360_607 Depth=2
	global_load_b32 v13, v108, s[0:1] offset:5120
	s_wait_alu 0xfffe
	s_or_b32 exec_lo, exec_lo, s11
	s_delay_alu instid0(SALU_CYCLE_1)
	s_mov_b32 s11, exec_lo
	v_cmpx_gt_u32_e64 s9, v52
	s_cbranch_execz .LBB1360_617
.LBB1360_666:                           ;   in Loop: Header=BB1360_607 Depth=2
	global_load_b32 v12, v108, s[0:1] offset:6144
	s_wait_alu 0xfffe
	s_or_b32 exec_lo, exec_lo, s11
	s_delay_alu instid0(SALU_CYCLE_1)
	s_mov_b32 s11, exec_lo
	v_cmpx_gt_u32_e64 s9, v53
	s_cbranch_execz .LBB1360_618
.LBB1360_667:                           ;   in Loop: Header=BB1360_607 Depth=2
	global_load_b32 v11, v108, s[0:1] offset:7168
	s_wait_alu 0xfffe
	s_or_b32 exec_lo, exec_lo, s11
	s_delay_alu instid0(SALU_CYCLE_1)
	s_mov_b32 s11, exec_lo
	v_cmpx_gt_u32_e64 s9, v54
	s_cbranch_execz .LBB1360_619
.LBB1360_668:                           ;   in Loop: Header=BB1360_607 Depth=2
	global_load_b32 v10, v108, s[0:1] offset:8192
	s_wait_alu 0xfffe
	s_or_b32 exec_lo, exec_lo, s11
	s_delay_alu instid0(SALU_CYCLE_1)
	s_mov_b32 s11, exec_lo
	v_cmpx_gt_u32_e64 s9, v55
	s_cbranch_execz .LBB1360_620
.LBB1360_669:                           ;   in Loop: Header=BB1360_607 Depth=2
	global_load_b32 v9, v108, s[0:1] offset:9216
	s_wait_alu 0xfffe
	s_or_b32 exec_lo, exec_lo, s11
	s_delay_alu instid0(SALU_CYCLE_1)
	s_mov_b32 s11, exec_lo
	v_cmpx_gt_u32_e64 s9, v56
	s_cbranch_execz .LBB1360_621
.LBB1360_670:                           ;   in Loop: Header=BB1360_607 Depth=2
	global_load_b32 v8, v108, s[0:1] offset:10240
	s_wait_alu 0xfffe
	s_or_b32 exec_lo, exec_lo, s11
	s_delay_alu instid0(SALU_CYCLE_1)
	s_mov_b32 s11, exec_lo
	v_cmpx_gt_u32_e64 s9, v57
	s_cbranch_execz .LBB1360_622
.LBB1360_671:                           ;   in Loop: Header=BB1360_607 Depth=2
	global_load_b32 v7, v108, s[0:1] offset:11264
	s_wait_alu 0xfffe
	s_or_b32 exec_lo, exec_lo, s11
	s_delay_alu instid0(SALU_CYCLE_1)
	s_mov_b32 s11, exec_lo
	v_cmpx_gt_u32_e64 s9, v58
	s_cbranch_execz .LBB1360_623
.LBB1360_672:                           ;   in Loop: Header=BB1360_607 Depth=2
	global_load_b32 v6, v108, s[0:1] offset:12288
	s_wait_alu 0xfffe
	s_or_b32 exec_lo, exec_lo, s11
	s_delay_alu instid0(SALU_CYCLE_1)
	s_mov_b32 s11, exec_lo
	v_cmpx_gt_u32_e64 s9, v59
	s_cbranch_execz .LBB1360_624
.LBB1360_673:                           ;   in Loop: Header=BB1360_607 Depth=2
	global_load_b32 v5, v108, s[0:1] offset:13312
	s_wait_alu 0xfffe
	s_or_b32 exec_lo, exec_lo, s11
	s_delay_alu instid0(SALU_CYCLE_1)
	s_mov_b32 s11, exec_lo
	v_cmpx_gt_u32_e64 s9, v60
	s_cbranch_execz .LBB1360_625
.LBB1360_674:                           ;   in Loop: Header=BB1360_607 Depth=2
	global_load_b32 v4, v108, s[0:1] offset:14336
	s_wait_alu 0xfffe
	s_or_b32 exec_lo, exec_lo, s11
	s_delay_alu instid0(SALU_CYCLE_1)
	s_mov_b32 s11, exec_lo
	v_cmpx_gt_u32_e64 s9, v61
	s_cbranch_execnz .LBB1360_626
	s_branch .LBB1360_627
.LBB1360_675:                           ;   in Loop: Header=BB1360_17 Depth=1
	v_mov_b32_e32 v2, 0
	s_wait_dscnt 0x0
	s_barrier_signal -1
	s_barrier_wait -1
	global_inv scope:SCOPE_SE
	s_and_saveexec_b32 s0, s2
	s_cbranch_execz .LBB1360_677
; %bb.676:                              ;   in Loop: Header=BB1360_17 Depth=1
	ds_load_2addr_b64 v[4:7], v64 offset1:1
	s_wait_dscnt 0x0
	v_add_nc_u32_e32 v2, v5, v4
	s_delay_alu instid0(VALU_DEP_1)
	v_add3_u32 v2, v2, v6, v7
.LBB1360_677:                           ;   in Loop: Header=BB1360_17 Depth=1
	s_wait_alu 0xfffe
	s_or_b32 exec_lo, exec_lo, s0
	s_delay_alu instid0(VALU_DEP_1)
	v_mov_b32_dpp v4, v2 row_shr:1 row_mask:0xf bank_mask:0xf
	v_cmp_eq_u32_e64 s0, 0, v85
	v_cmp_lt_u32_e64 s1, 1, v85
	v_cmp_lt_u32_e64 s9, 3, v85
	;; [unrolled: 1-line block ×3, first 2 shown]
	v_cmp_eq_u32_e64 s11, 0, v87
	s_wait_alu 0xf1ff
	v_cndmask_b32_e64 v4, v4, 0, s0
	s_delay_alu instid0(VALU_DEP_1) | instskip(NEXT) | instid1(VALU_DEP_1)
	v_add_nc_u32_e32 v2, v4, v2
	v_mov_b32_dpp v4, v2 row_shr:2 row_mask:0xf bank_mask:0xf
	s_delay_alu instid0(VALU_DEP_1) | instskip(NEXT) | instid1(VALU_DEP_1)
	v_cndmask_b32_e64 v4, 0, v4, s1
	v_add_nc_u32_e32 v2, v2, v4
	s_delay_alu instid0(VALU_DEP_1) | instskip(NEXT) | instid1(VALU_DEP_1)
	v_mov_b32_dpp v4, v2 row_shr:4 row_mask:0xf bank_mask:0xf
	v_cndmask_b32_e64 v4, 0, v4, s9
	s_delay_alu instid0(VALU_DEP_1) | instskip(NEXT) | instid1(VALU_DEP_1)
	v_add_nc_u32_e32 v2, v2, v4
	v_mov_b32_dpp v4, v2 row_shr:8 row_mask:0xf bank_mask:0xf
	s_delay_alu instid0(VALU_DEP_1) | instskip(NEXT) | instid1(VALU_DEP_1)
	v_cndmask_b32_e64 v4, 0, v4, s10
	v_add_nc_u32_e32 v2, v2, v4
	ds_swizzle_b32 v4, v2 offset:swizzle(BROADCAST,32,15)
	s_wait_dscnt 0x0
	v_and_b32_e32 v4, v86, v4
	s_delay_alu instid0(VALU_DEP_1)
	v_add_nc_u32_e32 v2, v2, v4
	s_and_saveexec_b32 s12, s3
; %bb.678:                              ;   in Loop: Header=BB1360_17 Depth=1
	ds_store_b32 v65, v2
; %bb.679:                              ;   in Loop: Header=BB1360_17 Depth=1
	s_wait_alu 0xfffe
	s_or_b32 exec_lo, exec_lo, s12
	s_wait_loadcnt_dscnt 0x0
	s_barrier_signal -1
	s_barrier_wait -1
	global_inv scope:SCOPE_SE
	s_and_saveexec_b32 s12, s4
	s_cbranch_execz .LBB1360_681
; %bb.680:                              ;   in Loop: Header=BB1360_17 Depth=1
	ds_load_b32 v4, v66
	v_cmp_ne_u32_e32 vcc_lo, 0, v89
	s_wait_dscnt 0x0
	v_mov_b32_dpp v5, v4 row_shr:1 row_mask:0xf bank_mask:0xf
	s_wait_alu 0xfffd
	s_delay_alu instid0(VALU_DEP_1) | instskip(SKIP_1) | instid1(VALU_DEP_2)
	v_cndmask_b32_e32 v5, 0, v5, vcc_lo
	v_cmp_lt_u32_e32 vcc_lo, 1, v89
	v_add_nc_u32_e32 v4, v5, v4
	s_delay_alu instid0(VALU_DEP_1) | instskip(SKIP_1) | instid1(VALU_DEP_1)
	v_mov_b32_dpp v5, v4 row_shr:2 row_mask:0xf bank_mask:0xf
	s_wait_alu 0xfffd
	v_cndmask_b32_e32 v5, 0, v5, vcc_lo
	v_cmp_lt_u32_e32 vcc_lo, 3, v89
	s_delay_alu instid0(VALU_DEP_2) | instskip(NEXT) | instid1(VALU_DEP_1)
	v_add_nc_u32_e32 v4, v4, v5
	v_mov_b32_dpp v5, v4 row_shr:4 row_mask:0xf bank_mask:0xf
	s_wait_alu 0xfffd
	s_delay_alu instid0(VALU_DEP_1) | instskip(NEXT) | instid1(VALU_DEP_1)
	v_cndmask_b32_e32 v5, 0, v5, vcc_lo
	v_add_nc_u32_e32 v4, v4, v5
	ds_store_b32 v66, v4
.LBB1360_681:                           ;   in Loop: Header=BB1360_17 Depth=1
	s_wait_alu 0xfffe
	s_or_b32 exec_lo, exec_lo, s12
	v_mov_b32_e32 v4, 0
	s_wait_loadcnt_dscnt 0x0
	s_barrier_signal -1
	s_barrier_wait -1
	global_inv scope:SCOPE_SE
	s_and_saveexec_b32 s12, s5
; %bb.682:                              ;   in Loop: Header=BB1360_17 Depth=1
	ds_load_b32 v4, v68
; %bb.683:                              ;   in Loop: Header=BB1360_17 Depth=1
	s_wait_alu 0xfffe
	s_or_b32 exec_lo, exec_lo, s12
	v_cmp_gt_i32_e32 vcc_lo, 0, v90
	s_wait_loadcnt_dscnt 0x0
	s_barrier_signal -1
	s_barrier_wait -1
	global_inv scope:SCOPE_SE
	s_wait_alu 0xfffd
	v_dual_cndmask_b32 v5, v90, v81 :: v_dual_add_nc_u32 v2, v4, v2
	s_delay_alu instid0(VALU_DEP_1)
	v_lshlrev_b32_e32 v113, 2, v5
	ds_bpermute_b32 v2, v113, v2
	s_and_saveexec_b32 s12, s2
	s_cbranch_execz .LBB1360_685
; %bb.684:                              ;   in Loop: Header=BB1360_17 Depth=1
	s_wait_dscnt 0x0
	v_cndmask_b32_e64 v2, v2, v4, s8
	s_delay_alu instid0(VALU_DEP_1)
	v_add_nc_u32_e32 v2, s33, v2
	ds_store_b32 v44, v2
.LBB1360_685:                           ;   in Loop: Header=BB1360_17 Depth=1
	s_wait_alu 0xfffe
	s_or_b32 exec_lo, exec_lo, s12
	s_load_b64 s[12:13], s[34:35], 0x0
	v_add_co_u32 v114, vcc_lo, v79, v91
	s_wait_alu 0xfffd
	v_add_co_ci_u32_e64 v115, null, 0, v80, vcc_lo
	v_add_co_u32 v116, vcc_lo, v82, v107
	s_wait_alu 0xfffd
	v_add_co_ci_u32_e64 v117, null, 0, v83, vcc_lo
	s_mov_b32 s54, s53
                                        ; implicit-def: $vgpr6_vgpr7
                                        ; implicit-def: $vgpr8_vgpr9
                                        ; implicit-def: $vgpr10_vgpr11
                                        ; implicit-def: $vgpr12_vgpr13
                                        ; implicit-def: $vgpr14_vgpr15
                                        ; implicit-def: $vgpr16_vgpr17
                                        ; implicit-def: $vgpr18_vgpr19
                                        ; implicit-def: $vgpr20_vgpr21
                                        ; implicit-def: $vgpr22_vgpr23
                                        ; implicit-def: $vgpr24_vgpr25
                                        ; implicit-def: $vgpr26_vgpr27
                                        ; implicit-def: $vgpr28_vgpr29
                                        ; implicit-def: $vgpr30_vgpr31
                                        ; implicit-def: $vgpr32_vgpr33
                                        ; implicit-def: $vgpr34_vgpr35
                                        ; implicit-def: $vgpr119
                                        ; implicit-def: $vgpr120
                                        ; implicit-def: $vgpr121
                                        ; implicit-def: $vgpr122
                                        ; implicit-def: $vgpr123
                                        ; implicit-def: $vgpr124
                                        ; implicit-def: $vgpr125
                                        ; implicit-def: $vgpr126
                                        ; implicit-def: $vgpr127
                                        ; implicit-def: $vgpr128
                                        ; implicit-def: $vgpr129
                                        ; implicit-def: $vgpr130
                                        ; implicit-def: $vgpr131
                                        ; implicit-def: $vgpr132
                                        ; implicit-def: $vgpr133
                                        ; implicit-def: $vgpr134
	s_wait_kmcnt 0x0
	s_cmp_lt_u32 ttmp7, s13
	s_cselect_b32 s42, 14, 20
	s_cmp_lt_u32 ttmp9, s12
	s_wait_alu 0xfffe
	s_add_nc_u64 s[14:15], s[34:35], s[42:43]
	s_cselect_b32 s42, 12, 18
	s_load_u16 s14, s[14:15], 0x0
	s_add_nc_u64 s[12:13], s[34:35], s[42:43]
	s_mov_b32 s42, s33
	s_load_u16 s12, s[12:13], 0x0
	v_cmp_lt_u32_e64 s13, 1, v89
	s_wait_dscnt 0x0
	s_wait_kmcnt 0x0
	v_mad_u32_u24 v2, v69, s14, v0
	v_cmp_lt_u32_e64 s14, 3, v89
	s_delay_alu instid0(VALU_DEP_2) | instskip(SKIP_1) | instid1(VALU_DEP_2)
	v_mad_co_u64_u32 v[4:5], null, v2, s12, v[1:2]
	v_cmp_eq_u32_e64 s12, 0, v89
	v_lshrrev_b32_e32 v2, 3, v4
                                        ; implicit-def: $vgpr4_vgpr5
	s_delay_alu instid0(VALU_DEP_1)
	v_and_b32_e32 v118, 0x1ffffffc, v2
	s_branch .LBB1360_687
.LBB1360_686:                           ;   in Loop: Header=BB1360_687 Depth=2
	s_wait_alu 0xfffe
	s_or_b32 exec_lo, exec_lo, s15
	s_addk_co_i32 s54, 0xf000
	s_cmp_lt_u32 s55, s51
	s_mov_b32 s42, s55
	s_cbranch_scc0 .LBB1360_895
.LBB1360_687:                           ;   Parent Loop BB1360_17 Depth=1
                                        ; =>  This Inner Loop Header: Depth=2
	s_wait_alu 0xfffe
	s_add_co_i32 s55, s42, 0x1000
	s_wait_alu 0xfffe
	s_cmp_gt_u32 s55, s51
	s_cbranch_scc1 .LBB1360_689
; %bb.688:                              ;   in Loop: Header=BB1360_687 Depth=2
	s_lshl_b64 s[16:17], s[42:43], 2
	s_mov_b32 s15, -1
	s_wait_alu 0xfffe
	v_add_co_u32 v36, vcc_lo, v116, s16
	s_wait_alu 0xfffd
	v_add_co_ci_u32_e64 v37, null, s17, v117, vcc_lo
	s_clause 0xe
	global_load_b32 v2, v[36:37], off
	global_load_b32 v136, v[36:37], off offset:128
	global_load_b32 v143, v[36:37], off offset:256
	;; [unrolled: 1-line block ×14, first 2 shown]
	s_movk_i32 s16, 0x1000
	s_cbranch_execz .LBB1360_690
	s_branch .LBB1360_721
.LBB1360_689:                           ;   in Loop: Header=BB1360_687 Depth=2
	s_mov_b32 s15, 0
                                        ; implicit-def: $vgpr2
                                        ; implicit-def: $vgpr136
                                        ; implicit-def: $vgpr143
                                        ; implicit-def: $vgpr147
                                        ; implicit-def: $vgpr151
                                        ; implicit-def: $vgpr155
                                        ; implicit-def: $vgpr159
                                        ; implicit-def: $vgpr163
                                        ; implicit-def: $vgpr166
                                        ; implicit-def: $vgpr43
                                        ; implicit-def: $vgpr42
                                        ; implicit-def: $vgpr41
                                        ; implicit-def: $vgpr40
                                        ; implicit-def: $vgpr39
                                        ; implicit-def: $vgpr38
	s_movk_i32 s16, 0x1000
.LBB1360_690:                           ;   in Loop: Header=BB1360_687 Depth=2
	s_lshl_b64 s[16:17], s[42:43], 2
	s_wait_loadcnt 0xd
	v_mov_b32_e32 v136, -1
	s_wait_alu 0xfffe
	v_add_co_u32 v36, vcc_lo, v116, s16
	s_wait_alu 0xfffd
	v_add_co_ci_u32_e64 v37, null, s17, v117, vcc_lo
	v_mov_b32_e32 v2, -1
	s_mov_b32 s15, exec_lo
	v_cmpx_gt_u32_e64 s54, v88
	s_cbranch_execz .LBB1360_692
; %bb.691:                              ;   in Loop: Header=BB1360_687 Depth=2
	global_load_b32 v2, v[36:37], off
.LBB1360_692:                           ;   in Loop: Header=BB1360_687 Depth=2
	s_wait_alu 0xfffe
	s_or_b32 exec_lo, exec_lo, s15
	s_delay_alu instid0(SALU_CYCLE_1)
	s_mov_b32 s15, exec_lo
	v_cmpx_gt_u32_e64 s54, v92
	s_cbranch_execz .LBB1360_694
; %bb.693:                              ;   in Loop: Header=BB1360_687 Depth=2
	global_load_b32 v136, v[36:37], off offset:128
.LBB1360_694:                           ;   in Loop: Header=BB1360_687 Depth=2
	s_wait_alu 0xfffe
	s_or_b32 exec_lo, exec_lo, s15
	s_wait_loadcnt 0xb
	v_mov_b32_e32 v147, -1
	v_mov_b32_e32 v143, -1
	s_mov_b32 s15, exec_lo
	v_cmpx_gt_u32_e64 s54, v93
	s_cbranch_execz .LBB1360_696
; %bb.695:                              ;   in Loop: Header=BB1360_687 Depth=2
	global_load_b32 v143, v[36:37], off offset:256
.LBB1360_696:                           ;   in Loop: Header=BB1360_687 Depth=2
	s_wait_alu 0xfffe
	s_or_b32 exec_lo, exec_lo, s15
	s_delay_alu instid0(SALU_CYCLE_1)
	s_mov_b32 s15, exec_lo
	v_cmpx_gt_u32_e64 s54, v94
	s_cbranch_execz .LBB1360_698
; %bb.697:                              ;   in Loop: Header=BB1360_687 Depth=2
	global_load_b32 v147, v[36:37], off offset:384
.LBB1360_698:                           ;   in Loop: Header=BB1360_687 Depth=2
	s_wait_alu 0xfffe
	s_or_b32 exec_lo, exec_lo, s15
	s_wait_loadcnt 0x9
	v_mov_b32_e32 v155, -1
	v_mov_b32_e32 v151, -1
	s_mov_b32 s15, exec_lo
	v_cmpx_gt_u32_e64 s54, v95
	s_cbranch_execz .LBB1360_700
; %bb.699:                              ;   in Loop: Header=BB1360_687 Depth=2
	global_load_b32 v151, v[36:37], off offset:512
.LBB1360_700:                           ;   in Loop: Header=BB1360_687 Depth=2
	;; [unrolled: 20-line block ×3, first 2 shown]
	s_wait_alu 0xfffe
	s_or_b32 exec_lo, exec_lo, s15
	s_delay_alu instid0(SALU_CYCLE_1)
	s_mov_b32 s15, exec_lo
	v_cmpx_gt_u32_e64 s54, v98
	s_cbranch_execz .LBB1360_706
; %bb.705:                              ;   in Loop: Header=BB1360_687 Depth=2
	global_load_b32 v163, v[36:37], off offset:896
.LBB1360_706:                           ;   in Loop: Header=BB1360_687 Depth=2
	s_wait_alu 0xfffe
	s_or_b32 exec_lo, exec_lo, s15
	s_wait_loadcnt 0x5
	v_dual_mov_b32 v43, -1 :: v_dual_mov_b32 v166, -1
	s_mov_b32 s15, exec_lo
	v_cmpx_gt_u32_e64 s54, v99
	s_cbranch_execz .LBB1360_708
; %bb.707:                              ;   in Loop: Header=BB1360_687 Depth=2
	global_load_b32 v166, v[36:37], off offset:1024
.LBB1360_708:                           ;   in Loop: Header=BB1360_687 Depth=2
	s_wait_alu 0xfffe
	s_or_b32 exec_lo, exec_lo, s15
	s_delay_alu instid0(SALU_CYCLE_1)
	s_mov_b32 s15, exec_lo
	v_cmpx_gt_u32_e64 s54, v100
	s_cbranch_execz .LBB1360_710
; %bb.709:                              ;   in Loop: Header=BB1360_687 Depth=2
	global_load_b32 v43, v[36:37], off offset:1152
.LBB1360_710:                           ;   in Loop: Header=BB1360_687 Depth=2
	s_wait_alu 0xfffe
	s_or_b32 exec_lo, exec_lo, s15
	s_wait_loadcnt 0x3
	v_dual_mov_b32 v41, -1 :: v_dual_mov_b32 v42, -1
	s_mov_b32 s15, exec_lo
	v_cmpx_gt_u32_e64 s54, v101
	s_cbranch_execz .LBB1360_712
; %bb.711:                              ;   in Loop: Header=BB1360_687 Depth=2
	global_load_b32 v42, v[36:37], off offset:1280
.LBB1360_712:                           ;   in Loop: Header=BB1360_687 Depth=2
	;; [unrolled: 19-line block ×3, first 2 shown]
	s_wait_alu 0xfffe
	s_or_b32 exec_lo, exec_lo, s15
	s_delay_alu instid0(SALU_CYCLE_1)
	s_mov_b32 s15, exec_lo
	v_cmpx_gt_u32_e64 s54, v104
	s_cbranch_execz .LBB1360_718
; %bb.717:                              ;   in Loop: Header=BB1360_687 Depth=2
	global_load_b32 v39, v[36:37], off offset:1664
.LBB1360_718:                           ;   in Loop: Header=BB1360_687 Depth=2
	s_wait_alu 0xfffe
	s_or_b32 exec_lo, exec_lo, s15
	s_wait_loadcnt 0x0
	v_mov_b32_e32 v38, -1
	s_mov_b32 s15, exec_lo
	v_cmpx_gt_u32_e64 s54, v105
	s_cbranch_execz .LBB1360_720
; %bb.719:                              ;   in Loop: Header=BB1360_687 Depth=2
	global_load_b32 v38, v[36:37], off offset:1792
.LBB1360_720:                           ;   in Loop: Header=BB1360_687 Depth=2
	s_wait_alu 0xfffe
	s_or_b32 exec_lo, exec_lo, s15
	v_cmp_gt_u32_e64 s15, s54, v106
	s_sub_co_i32 s16, s51, s42
.LBB1360_721:                           ;   in Loop: Header=BB1360_687 Depth=2
	v_dual_mov_b32 v36, -1 :: v_dual_mov_b32 v135, s54
	s_and_saveexec_b32 s17, s15
	s_cbranch_execz .LBB1360_723
; %bb.722:                              ;   in Loop: Header=BB1360_687 Depth=2
	s_lshl_b64 s[18:19], s[42:43], 2
	s_wait_alu 0xfffe
	v_mov_b32_e32 v135, s16
	v_add_co_u32 v36, vcc_lo, v116, s18
	s_wait_alu 0xfffd
	v_add_co_ci_u32_e64 v37, null, s19, v117, vcc_lo
	global_load_b32 v36, v[36:37], off offset:1920
.LBB1360_723:                           ;   in Loop: Header=BB1360_687 Depth=2
	s_wait_alu 0xfffe
	s_or_b32 exec_lo, exec_lo, s17
	s_wait_loadcnt 0xe
	v_cmp_gt_i32_e32 vcc_lo, 0, v2
	s_wait_alu 0xfffd
	v_cndmask_b32_e64 v37, 0x7fffffff, 0, vcc_lo
	s_delay_alu instid0(VALU_DEP_1) | instskip(NEXT) | instid1(VALU_DEP_1)
	v_xor_b32_e32 v2, v37, v2
	v_cmp_ne_u32_e32 vcc_lo, 0x80000000, v2
	s_wait_alu 0xfffd
	v_cndmask_b32_e32 v37, 0x7fffffff, v2, vcc_lo
	s_delay_alu instid0(VALU_DEP_1) | instskip(NEXT) | instid1(VALU_DEP_1)
	v_lshrrev_b32_e32 v37, s49, v37
	v_and_b32_e32 v142, s48, v37
	s_delay_alu instid0(VALU_DEP_1)
	v_and_b32_e32 v37, 1, v142
	v_lshlrev_b32_e32 v137, 30, v142
	v_lshlrev_b32_e32 v138, 29, v142
	;; [unrolled: 1-line block ×4, first 2 shown]
	v_add_co_u32 v37, s15, v37, -1
	s_wait_alu 0xf1ff
	v_cndmask_b32_e64 v140, 0, 1, s15
	v_not_b32_e32 v146, v137
	v_cmp_gt_i32_e64 s15, 0, v137
	v_not_b32_e32 v137, v138
	v_lshlrev_b32_e32 v144, 26, v142
	v_cmp_ne_u32_e32 vcc_lo, 0, v140
	v_ashrrev_i32_e32 v146, 31, v146
	v_lshlrev_b32_e32 v145, 25, v142
	v_ashrrev_i32_e32 v137, 31, v137
	v_lshlrev_b32_e32 v140, 24, v142
	s_wait_alu 0xfffd
	v_xor_b32_e32 v37, vcc_lo, v37
	v_cmp_gt_i32_e32 vcc_lo, 0, v138
	v_not_b32_e32 v138, v139
	s_wait_alu 0xf1ff
	v_xor_b32_e32 v146, s15, v146
	v_cmp_gt_i32_e64 s15, 0, v139
	v_and_b32_e32 v37, exec_lo, v37
	v_not_b32_e32 v139, v141
	v_ashrrev_i32_e32 v138, 31, v138
	s_wait_alu 0xfffd
	v_xor_b32_e32 v137, vcc_lo, v137
	v_cmp_gt_i32_e32 vcc_lo, 0, v141
	v_and_b32_e32 v37, v37, v146
	v_not_b32_e32 v141, v144
	v_ashrrev_i32_e32 v139, 31, v139
	s_wait_alu 0xf1ff
	v_xor_b32_e32 v138, s15, v138
	v_cmp_gt_i32_e64 s15, 0, v144
	v_and_b32_e32 v37, v37, v137
	v_not_b32_e32 v137, v145
	v_ashrrev_i32_e32 v141, 31, v141
	s_wait_alu 0xfffd
	v_xor_b32_e32 v139, vcc_lo, v139
	v_cmp_gt_i32_e32 vcc_lo, 0, v145
	v_and_b32_e32 v37, v37, v138
	v_not_b32_e32 v138, v140
	v_ashrrev_i32_e32 v137, 31, v137
	s_wait_alu 0xf1ff
	v_xor_b32_e32 v141, s15, v141
	v_cmp_gt_i32_e64 s15, 0, v140
	v_and_b32_e32 v37, v37, v139
	v_ashrrev_i32_e32 v138, 31, v138
	s_wait_alu 0xfffd
	v_xor_b32_e32 v137, vcc_lo, v137
	v_mul_u32_u24_e32 v142, 36, v142
	v_add_nc_u32_e32 v140, 0x428, v67
	v_and_b32_e32 v37, v37, v141
	s_wait_alu 0xf1ff
	v_xor_b32_e32 v139, s15, v138
	v_add_nc_u32_e32 v138, 0x438, v67
	v_add_nc_u32_e32 v141, 0x430, v67
	;; [unrolled: 1-line block ×3, first 2 shown]
	v_and_b32_e32 v37, v37, v137
	ds_store_2addr_b32 v138, v3, v3 offset1:1
	v_and_b32_e32 v37, v37, v139
	v_add_nc_u32_e32 v139, 0x420, v67
	ds_store_2addr_b32 v139, v3, v3 offset1:1
	ds_store_2addr_b32 v140, v3, v3 offset1:1
	;; [unrolled: 1-line block ×3, first 2 shown]
	ds_store_b32 v67, v3 offset:1088
	v_mbcnt_lo_u32_b32 v137, v37, 0
	v_cmp_ne_u32_e64 s15, 0, v37
	s_wait_loadcnt_dscnt 0x0
	s_barrier_signal -1
	s_barrier_wait -1
	v_cmp_eq_u32_e32 vcc_lo, 0, v137
	global_inv scope:SCOPE_SE
	; wave barrier
	s_and_b32 s16, s15, vcc_lo
	s_wait_alu 0xfffe
	s_and_saveexec_b32 s15, s16
; %bb.724:                              ;   in Loop: Header=BB1360_687 Depth=2
	v_bcnt_u32_b32 v37, v37, 0
	ds_store_b32 v142, v37 offset:1056
; %bb.725:                              ;   in Loop: Header=BB1360_687 Depth=2
	s_wait_alu 0xfffe
	s_or_b32 exec_lo, exec_lo, s15
	v_cmp_gt_i32_e32 vcc_lo, 0, v136
	; wave barrier
	s_wait_alu 0xfffd
	v_cndmask_b32_e64 v37, 0x7fffffff, 0, vcc_lo
	s_delay_alu instid0(VALU_DEP_1) | instskip(NEXT) | instid1(VALU_DEP_1)
	v_xor_b32_e32 v136, v37, v136
	v_cmp_ne_u32_e32 vcc_lo, 0x80000000, v136
	s_wait_alu 0xfffd
	v_cndmask_b32_e32 v37, 0x7fffffff, v136, vcc_lo
	s_delay_alu instid0(VALU_DEP_1) | instskip(NEXT) | instid1(VALU_DEP_1)
	v_lshrrev_b32_e32 v37, s49, v37
	v_and_b32_e32 v146, s48, v37
	s_delay_alu instid0(VALU_DEP_1)
	v_and_b32_e32 v37, 1, v146
	v_lshlrev_b32_e32 v144, 30, v146
	v_lshlrev_b32_e32 v145, 29, v146
	;; [unrolled: 1-line block ×4, first 2 shown]
	v_add_co_u32 v37, s15, v37, -1
	s_wait_alu 0xf1ff
	v_cndmask_b32_e64 v149, 0, 1, s15
	v_not_b32_e32 v154, v144
	v_cmp_gt_i32_e64 s15, 0, v144
	v_not_b32_e32 v144, v145
	v_lshlrev_b32_e32 v152, 26, v146
	v_cmp_ne_u32_e32 vcc_lo, 0, v149
	v_ashrrev_i32_e32 v154, 31, v154
	v_lshlrev_b32_e32 v153, 25, v146
	v_ashrrev_i32_e32 v144, 31, v144
	v_lshlrev_b32_e32 v149, 24, v146
	s_wait_alu 0xfffd
	v_xor_b32_e32 v37, vcc_lo, v37
	v_cmp_gt_i32_e32 vcc_lo, 0, v145
	v_not_b32_e32 v145, v148
	s_wait_alu 0xf1ff
	v_xor_b32_e32 v154, s15, v154
	v_cmp_gt_i32_e64 s15, 0, v148
	v_and_b32_e32 v37, exec_lo, v37
	v_not_b32_e32 v148, v150
	v_ashrrev_i32_e32 v145, 31, v145
	s_wait_alu 0xfffd
	v_xor_b32_e32 v144, vcc_lo, v144
	v_cmp_gt_i32_e32 vcc_lo, 0, v150
	v_and_b32_e32 v37, v37, v154
	v_not_b32_e32 v150, v152
	v_ashrrev_i32_e32 v148, 31, v148
	s_wait_alu 0xf1ff
	v_xor_b32_e32 v145, s15, v145
	v_cmp_gt_i32_e64 s15, 0, v152
	v_and_b32_e32 v37, v37, v144
	v_not_b32_e32 v144, v153
	v_ashrrev_i32_e32 v150, 31, v150
	s_wait_alu 0xfffd
	v_xor_b32_e32 v148, vcc_lo, v148
	v_cmp_gt_i32_e32 vcc_lo, 0, v153
	v_and_b32_e32 v37, v37, v145
	v_not_b32_e32 v145, v149
	v_ashrrev_i32_e32 v144, 31, v144
	s_wait_alu 0xf1ff
	v_xor_b32_e32 v150, s15, v150
	v_cmp_gt_i32_e64 s15, 0, v149
	v_and_b32_e32 v37, v37, v148
	v_ashrrev_i32_e32 v145, 31, v145
	s_wait_alu 0xfffd
	v_xor_b32_e32 v144, vcc_lo, v144
	v_mad_u32_u24 v148, v146, 36, v118
	v_mul_u32_u24_e32 v146, 36, v146
	v_and_b32_e32 v37, v37, v150
	s_wait_alu 0xf1ff
	v_xor_b32_e32 v145, s15, v145
	s_delay_alu instid0(VALU_DEP_3) | instskip(NEXT) | instid1(VALU_DEP_3)
	v_add_nc_u32_e32 v146, v118, v146
	v_and_b32_e32 v37, v37, v144
	ds_load_b32 v144, v148 offset:1056
	; wave barrier
	v_and_b32_e32 v37, v37, v145
	s_delay_alu instid0(VALU_DEP_1) | instskip(SKIP_1) | instid1(VALU_DEP_2)
	v_mbcnt_lo_u32_b32 v145, v37, 0
	v_cmp_ne_u32_e64 s15, 0, v37
	v_cmp_eq_u32_e32 vcc_lo, 0, v145
	s_and_b32 s16, s15, vcc_lo
	s_wait_alu 0xfffe
	s_and_saveexec_b32 s15, s16
	s_cbranch_execz .LBB1360_727
; %bb.726:                              ;   in Loop: Header=BB1360_687 Depth=2
	s_wait_dscnt 0x0
	v_bcnt_u32_b32 v37, v37, v144
	ds_store_b32 v146, v37 offset:1056
.LBB1360_727:                           ;   in Loop: Header=BB1360_687 Depth=2
	s_wait_alu 0xfffe
	s_or_b32 exec_lo, exec_lo, s15
	v_cmp_gt_i32_e32 vcc_lo, 0, v143
	; wave barrier
	s_wait_alu 0xfffd
	v_cndmask_b32_e64 v37, 0x7fffffff, 0, vcc_lo
	s_delay_alu instid0(VALU_DEP_1) | instskip(NEXT) | instid1(VALU_DEP_1)
	v_xor_b32_e32 v143, v37, v143
	v_cmp_ne_u32_e32 vcc_lo, 0x80000000, v143
	s_wait_alu 0xfffd
	v_cndmask_b32_e32 v37, 0x7fffffff, v143, vcc_lo
	s_delay_alu instid0(VALU_DEP_1) | instskip(NEXT) | instid1(VALU_DEP_1)
	v_lshrrev_b32_e32 v37, s49, v37
	v_and_b32_e32 v150, s48, v37
	s_delay_alu instid0(VALU_DEP_1)
	v_and_b32_e32 v37, 1, v150
	v_lshlrev_b32_e32 v148, 30, v150
	v_lshlrev_b32_e32 v149, 29, v150
	;; [unrolled: 1-line block ×4, first 2 shown]
	v_add_co_u32 v37, s15, v37, -1
	s_wait_alu 0xf1ff
	v_cndmask_b32_e64 v153, 0, 1, s15
	v_not_b32_e32 v158, v148
	v_cmp_gt_i32_e64 s15, 0, v148
	v_not_b32_e32 v148, v149
	v_lshlrev_b32_e32 v156, 26, v150
	v_cmp_ne_u32_e32 vcc_lo, 0, v153
	v_ashrrev_i32_e32 v158, 31, v158
	v_lshlrev_b32_e32 v157, 25, v150
	v_ashrrev_i32_e32 v148, 31, v148
	v_lshlrev_b32_e32 v153, 24, v150
	s_wait_alu 0xfffd
	v_xor_b32_e32 v37, vcc_lo, v37
	v_cmp_gt_i32_e32 vcc_lo, 0, v149
	v_not_b32_e32 v149, v152
	s_wait_alu 0xf1ff
	v_xor_b32_e32 v158, s15, v158
	v_cmp_gt_i32_e64 s15, 0, v152
	v_and_b32_e32 v37, exec_lo, v37
	v_not_b32_e32 v152, v154
	v_ashrrev_i32_e32 v149, 31, v149
	s_wait_alu 0xfffd
	v_xor_b32_e32 v148, vcc_lo, v148
	v_cmp_gt_i32_e32 vcc_lo, 0, v154
	v_and_b32_e32 v37, v37, v158
	v_not_b32_e32 v154, v156
	v_ashrrev_i32_e32 v152, 31, v152
	s_wait_alu 0xf1ff
	v_xor_b32_e32 v149, s15, v149
	v_cmp_gt_i32_e64 s15, 0, v156
	v_and_b32_e32 v37, v37, v148
	v_not_b32_e32 v148, v157
	v_ashrrev_i32_e32 v154, 31, v154
	s_wait_alu 0xfffd
	v_xor_b32_e32 v152, vcc_lo, v152
	v_cmp_gt_i32_e32 vcc_lo, 0, v157
	v_and_b32_e32 v37, v37, v149
	v_not_b32_e32 v149, v153
	v_ashrrev_i32_e32 v148, 31, v148
	s_wait_alu 0xf1ff
	v_xor_b32_e32 v154, s15, v154
	v_cmp_gt_i32_e64 s15, 0, v153
	v_and_b32_e32 v37, v37, v152
	v_ashrrev_i32_e32 v149, 31, v149
	s_wait_alu 0xfffd
	v_xor_b32_e32 v148, vcc_lo, v148
	v_mad_u32_u24 v152, v150, 36, v118
	v_mul_u32_u24_e32 v150, 36, v150
	v_and_b32_e32 v37, v37, v154
	s_wait_alu 0xf1ff
	v_xor_b32_e32 v149, s15, v149
	s_delay_alu instid0(VALU_DEP_3) | instskip(NEXT) | instid1(VALU_DEP_3)
	v_add_nc_u32_e32 v150, v118, v150
	v_and_b32_e32 v37, v37, v148
	ds_load_b32 v148, v152 offset:1056
	; wave barrier
	v_and_b32_e32 v37, v37, v149
	s_delay_alu instid0(VALU_DEP_1) | instskip(SKIP_1) | instid1(VALU_DEP_2)
	v_mbcnt_lo_u32_b32 v149, v37, 0
	v_cmp_ne_u32_e64 s15, 0, v37
	v_cmp_eq_u32_e32 vcc_lo, 0, v149
	s_and_b32 s16, s15, vcc_lo
	s_wait_alu 0xfffe
	s_and_saveexec_b32 s15, s16
	s_cbranch_execz .LBB1360_729
; %bb.728:                              ;   in Loop: Header=BB1360_687 Depth=2
	s_wait_dscnt 0x0
	v_bcnt_u32_b32 v37, v37, v148
	ds_store_b32 v150, v37 offset:1056
.LBB1360_729:                           ;   in Loop: Header=BB1360_687 Depth=2
	s_wait_alu 0xfffe
	s_or_b32 exec_lo, exec_lo, s15
	v_cmp_gt_i32_e32 vcc_lo, 0, v147
	; wave barrier
	s_wait_alu 0xfffd
	v_cndmask_b32_e64 v37, 0x7fffffff, 0, vcc_lo
	s_delay_alu instid0(VALU_DEP_1) | instskip(NEXT) | instid1(VALU_DEP_1)
	v_xor_b32_e32 v147, v37, v147
	v_cmp_ne_u32_e32 vcc_lo, 0x80000000, v147
	s_wait_alu 0xfffd
	v_cndmask_b32_e32 v37, 0x7fffffff, v147, vcc_lo
	s_delay_alu instid0(VALU_DEP_1) | instskip(NEXT) | instid1(VALU_DEP_1)
	v_lshrrev_b32_e32 v37, s49, v37
	v_and_b32_e32 v154, s48, v37
	s_delay_alu instid0(VALU_DEP_1)
	v_and_b32_e32 v37, 1, v154
	v_lshlrev_b32_e32 v152, 30, v154
	v_lshlrev_b32_e32 v153, 29, v154
	;; [unrolled: 1-line block ×4, first 2 shown]
	v_add_co_u32 v37, s15, v37, -1
	s_wait_alu 0xf1ff
	v_cndmask_b32_e64 v157, 0, 1, s15
	v_not_b32_e32 v162, v152
	v_cmp_gt_i32_e64 s15, 0, v152
	v_not_b32_e32 v152, v153
	v_lshlrev_b32_e32 v160, 26, v154
	v_cmp_ne_u32_e32 vcc_lo, 0, v157
	v_ashrrev_i32_e32 v162, 31, v162
	v_lshlrev_b32_e32 v161, 25, v154
	v_ashrrev_i32_e32 v152, 31, v152
	v_lshlrev_b32_e32 v157, 24, v154
	s_wait_alu 0xfffd
	v_xor_b32_e32 v37, vcc_lo, v37
	v_cmp_gt_i32_e32 vcc_lo, 0, v153
	v_not_b32_e32 v153, v156
	s_wait_alu 0xf1ff
	v_xor_b32_e32 v162, s15, v162
	v_cmp_gt_i32_e64 s15, 0, v156
	v_and_b32_e32 v37, exec_lo, v37
	v_not_b32_e32 v156, v158
	v_ashrrev_i32_e32 v153, 31, v153
	s_wait_alu 0xfffd
	v_xor_b32_e32 v152, vcc_lo, v152
	v_cmp_gt_i32_e32 vcc_lo, 0, v158
	v_and_b32_e32 v37, v37, v162
	v_not_b32_e32 v158, v160
	v_ashrrev_i32_e32 v156, 31, v156
	s_wait_alu 0xf1ff
	v_xor_b32_e32 v153, s15, v153
	v_cmp_gt_i32_e64 s15, 0, v160
	v_and_b32_e32 v37, v37, v152
	v_not_b32_e32 v152, v161
	v_ashrrev_i32_e32 v158, 31, v158
	s_wait_alu 0xfffd
	v_xor_b32_e32 v156, vcc_lo, v156
	v_cmp_gt_i32_e32 vcc_lo, 0, v161
	v_and_b32_e32 v37, v37, v153
	v_not_b32_e32 v153, v157
	v_ashrrev_i32_e32 v152, 31, v152
	s_wait_alu 0xf1ff
	v_xor_b32_e32 v158, s15, v158
	v_cmp_gt_i32_e64 s15, 0, v157
	v_and_b32_e32 v37, v37, v156
	v_ashrrev_i32_e32 v153, 31, v153
	s_wait_alu 0xfffd
	v_xor_b32_e32 v152, vcc_lo, v152
	v_mad_u32_u24 v156, v154, 36, v118
	v_mul_u32_u24_e32 v154, 36, v154
	v_and_b32_e32 v37, v37, v158
	s_wait_alu 0xf1ff
	v_xor_b32_e32 v153, s15, v153
	s_delay_alu instid0(VALU_DEP_3) | instskip(NEXT) | instid1(VALU_DEP_3)
	v_add_nc_u32_e32 v154, v118, v154
	v_and_b32_e32 v37, v37, v152
	ds_load_b32 v152, v156 offset:1056
	; wave barrier
	v_and_b32_e32 v37, v37, v153
	s_delay_alu instid0(VALU_DEP_1) | instskip(SKIP_1) | instid1(VALU_DEP_2)
	v_mbcnt_lo_u32_b32 v153, v37, 0
	v_cmp_ne_u32_e64 s15, 0, v37
	v_cmp_eq_u32_e32 vcc_lo, 0, v153
	s_and_b32 s16, s15, vcc_lo
	s_wait_alu 0xfffe
	s_and_saveexec_b32 s15, s16
	s_cbranch_execz .LBB1360_731
; %bb.730:                              ;   in Loop: Header=BB1360_687 Depth=2
	s_wait_dscnt 0x0
	v_bcnt_u32_b32 v37, v37, v152
	ds_store_b32 v154, v37 offset:1056
.LBB1360_731:                           ;   in Loop: Header=BB1360_687 Depth=2
	s_wait_alu 0xfffe
	s_or_b32 exec_lo, exec_lo, s15
	v_cmp_gt_i32_e32 vcc_lo, 0, v151
	; wave barrier
	s_wait_alu 0xfffd
	v_cndmask_b32_e64 v37, 0x7fffffff, 0, vcc_lo
	s_delay_alu instid0(VALU_DEP_1) | instskip(NEXT) | instid1(VALU_DEP_1)
	v_xor_b32_e32 v151, v37, v151
	v_cmp_ne_u32_e32 vcc_lo, 0x80000000, v151
	s_wait_alu 0xfffd
	v_cndmask_b32_e32 v37, 0x7fffffff, v151, vcc_lo
	s_delay_alu instid0(VALU_DEP_1) | instskip(NEXT) | instid1(VALU_DEP_1)
	v_lshrrev_b32_e32 v37, s49, v37
	v_and_b32_e32 v158, s48, v37
	s_delay_alu instid0(VALU_DEP_1)
	v_and_b32_e32 v37, 1, v158
	v_lshlrev_b32_e32 v156, 30, v158
	v_lshlrev_b32_e32 v157, 29, v158
	;; [unrolled: 1-line block ×4, first 2 shown]
	v_add_co_u32 v37, s15, v37, -1
	s_wait_alu 0xf1ff
	v_cndmask_b32_e64 v161, 0, 1, s15
	v_not_b32_e32 v167, v156
	v_cmp_gt_i32_e64 s15, 0, v156
	v_not_b32_e32 v156, v157
	v_lshlrev_b32_e32 v164, 26, v158
	v_cmp_ne_u32_e32 vcc_lo, 0, v161
	v_ashrrev_i32_e32 v167, 31, v167
	v_lshlrev_b32_e32 v165, 25, v158
	v_ashrrev_i32_e32 v156, 31, v156
	v_lshlrev_b32_e32 v161, 24, v158
	s_wait_alu 0xfffd
	v_xor_b32_e32 v37, vcc_lo, v37
	v_cmp_gt_i32_e32 vcc_lo, 0, v157
	v_not_b32_e32 v157, v160
	s_wait_alu 0xf1ff
	v_xor_b32_e32 v167, s15, v167
	v_cmp_gt_i32_e64 s15, 0, v160
	v_and_b32_e32 v37, exec_lo, v37
	v_not_b32_e32 v160, v162
	v_ashrrev_i32_e32 v157, 31, v157
	s_wait_alu 0xfffd
	v_xor_b32_e32 v156, vcc_lo, v156
	v_cmp_gt_i32_e32 vcc_lo, 0, v162
	v_and_b32_e32 v37, v37, v167
	v_not_b32_e32 v162, v164
	v_ashrrev_i32_e32 v160, 31, v160
	s_wait_alu 0xf1ff
	v_xor_b32_e32 v157, s15, v157
	v_cmp_gt_i32_e64 s15, 0, v164
	v_and_b32_e32 v37, v37, v156
	v_not_b32_e32 v156, v165
	v_ashrrev_i32_e32 v162, 31, v162
	s_wait_alu 0xfffd
	v_xor_b32_e32 v160, vcc_lo, v160
	v_cmp_gt_i32_e32 vcc_lo, 0, v165
	v_and_b32_e32 v37, v37, v157
	v_not_b32_e32 v157, v161
	v_ashrrev_i32_e32 v156, 31, v156
	s_wait_alu 0xf1ff
	v_xor_b32_e32 v162, s15, v162
	v_cmp_gt_i32_e64 s15, 0, v161
	v_and_b32_e32 v37, v37, v160
	v_ashrrev_i32_e32 v157, 31, v157
	s_wait_alu 0xfffd
	v_xor_b32_e32 v156, vcc_lo, v156
	v_mad_u32_u24 v160, v158, 36, v118
	v_mul_u32_u24_e32 v158, 36, v158
	v_and_b32_e32 v37, v37, v162
	s_wait_alu 0xf1ff
	v_xor_b32_e32 v157, s15, v157
	s_delay_alu instid0(VALU_DEP_3) | instskip(NEXT) | instid1(VALU_DEP_3)
	v_add_nc_u32_e32 v158, v118, v158
	v_and_b32_e32 v37, v37, v156
	ds_load_b32 v156, v160 offset:1056
	; wave barrier
	v_and_b32_e32 v37, v37, v157
	s_delay_alu instid0(VALU_DEP_1) | instskip(SKIP_1) | instid1(VALU_DEP_2)
	v_mbcnt_lo_u32_b32 v157, v37, 0
	v_cmp_ne_u32_e64 s15, 0, v37
	v_cmp_eq_u32_e32 vcc_lo, 0, v157
	s_and_b32 s16, s15, vcc_lo
	s_wait_alu 0xfffe
	s_and_saveexec_b32 s15, s16
	s_cbranch_execz .LBB1360_733
; %bb.732:                              ;   in Loop: Header=BB1360_687 Depth=2
	s_wait_dscnt 0x0
	v_bcnt_u32_b32 v37, v37, v156
	ds_store_b32 v158, v37 offset:1056
.LBB1360_733:                           ;   in Loop: Header=BB1360_687 Depth=2
	s_wait_alu 0xfffe
	s_or_b32 exec_lo, exec_lo, s15
	v_cmp_gt_i32_e32 vcc_lo, 0, v155
	; wave barrier
	s_wait_alu 0xfffd
	v_cndmask_b32_e64 v37, 0x7fffffff, 0, vcc_lo
	s_delay_alu instid0(VALU_DEP_1) | instskip(NEXT) | instid1(VALU_DEP_1)
	v_xor_b32_e32 v155, v37, v155
	v_cmp_ne_u32_e32 vcc_lo, 0x80000000, v155
	s_wait_alu 0xfffd
	v_cndmask_b32_e32 v37, 0x7fffffff, v155, vcc_lo
	s_delay_alu instid0(VALU_DEP_1) | instskip(NEXT) | instid1(VALU_DEP_1)
	v_lshrrev_b32_e32 v37, s49, v37
	v_and_b32_e32 v162, s48, v37
	s_delay_alu instid0(VALU_DEP_1)
	v_and_b32_e32 v37, 1, v162
	v_lshlrev_b32_e32 v160, 30, v162
	v_lshlrev_b32_e32 v161, 29, v162
	;; [unrolled: 1-line block ×4, first 2 shown]
	v_add_co_u32 v37, s15, v37, -1
	s_wait_alu 0xf1ff
	v_cndmask_b32_e64 v165, 0, 1, s15
	v_not_b32_e32 v170, v160
	v_cmp_gt_i32_e64 s15, 0, v160
	v_not_b32_e32 v160, v161
	v_lshlrev_b32_e32 v168, 26, v162
	v_cmp_ne_u32_e32 vcc_lo, 0, v165
	v_ashrrev_i32_e32 v170, 31, v170
	v_lshlrev_b32_e32 v169, 25, v162
	v_ashrrev_i32_e32 v160, 31, v160
	v_lshlrev_b32_e32 v165, 24, v162
	s_wait_alu 0xfffd
	v_xor_b32_e32 v37, vcc_lo, v37
	v_cmp_gt_i32_e32 vcc_lo, 0, v161
	v_not_b32_e32 v161, v164
	s_wait_alu 0xf1ff
	v_xor_b32_e32 v170, s15, v170
	v_cmp_gt_i32_e64 s15, 0, v164
	v_and_b32_e32 v37, exec_lo, v37
	v_not_b32_e32 v164, v167
	v_ashrrev_i32_e32 v161, 31, v161
	s_wait_alu 0xfffd
	v_xor_b32_e32 v160, vcc_lo, v160
	v_cmp_gt_i32_e32 vcc_lo, 0, v167
	v_and_b32_e32 v37, v37, v170
	v_not_b32_e32 v167, v168
	v_ashrrev_i32_e32 v164, 31, v164
	s_wait_alu 0xf1ff
	v_xor_b32_e32 v161, s15, v161
	v_cmp_gt_i32_e64 s15, 0, v168
	v_and_b32_e32 v37, v37, v160
	v_not_b32_e32 v160, v169
	v_ashrrev_i32_e32 v167, 31, v167
	s_wait_alu 0xfffd
	v_xor_b32_e32 v164, vcc_lo, v164
	v_cmp_gt_i32_e32 vcc_lo, 0, v169
	v_and_b32_e32 v37, v37, v161
	v_not_b32_e32 v161, v165
	v_ashrrev_i32_e32 v160, 31, v160
	s_wait_alu 0xf1ff
	v_xor_b32_e32 v167, s15, v167
	v_cmp_gt_i32_e64 s15, 0, v165
	v_and_b32_e32 v37, v37, v164
	v_ashrrev_i32_e32 v161, 31, v161
	s_wait_alu 0xfffd
	v_xor_b32_e32 v160, vcc_lo, v160
	v_mad_u32_u24 v164, v162, 36, v118
	v_mul_u32_u24_e32 v162, 36, v162
	v_and_b32_e32 v37, v37, v167
	s_wait_alu 0xf1ff
	v_xor_b32_e32 v161, s15, v161
	s_delay_alu instid0(VALU_DEP_3) | instskip(NEXT) | instid1(VALU_DEP_3)
	v_add_nc_u32_e32 v162, v118, v162
	v_and_b32_e32 v37, v37, v160
	ds_load_b32 v160, v164 offset:1056
	; wave barrier
	v_and_b32_e32 v37, v37, v161
	s_delay_alu instid0(VALU_DEP_1) | instskip(SKIP_1) | instid1(VALU_DEP_2)
	v_mbcnt_lo_u32_b32 v161, v37, 0
	v_cmp_ne_u32_e64 s15, 0, v37
	v_cmp_eq_u32_e32 vcc_lo, 0, v161
	s_and_b32 s16, s15, vcc_lo
	s_wait_alu 0xfffe
	s_and_saveexec_b32 s15, s16
	s_cbranch_execz .LBB1360_735
; %bb.734:                              ;   in Loop: Header=BB1360_687 Depth=2
	s_wait_dscnt 0x0
	v_bcnt_u32_b32 v37, v37, v160
	ds_store_b32 v162, v37 offset:1056
.LBB1360_735:                           ;   in Loop: Header=BB1360_687 Depth=2
	s_wait_alu 0xfffe
	s_or_b32 exec_lo, exec_lo, s15
	v_cmp_gt_i32_e32 vcc_lo, 0, v159
	; wave barrier
	s_wait_alu 0xfffd
	v_cndmask_b32_e64 v37, 0x7fffffff, 0, vcc_lo
	s_delay_alu instid0(VALU_DEP_1) | instskip(NEXT) | instid1(VALU_DEP_1)
	v_xor_b32_e32 v159, v37, v159
	v_cmp_ne_u32_e32 vcc_lo, 0x80000000, v159
	s_wait_alu 0xfffd
	v_cndmask_b32_e32 v37, 0x7fffffff, v159, vcc_lo
	s_delay_alu instid0(VALU_DEP_1) | instskip(NEXT) | instid1(VALU_DEP_1)
	v_lshrrev_b32_e32 v37, s49, v37
	v_and_b32_e32 v167, s48, v37
	s_delay_alu instid0(VALU_DEP_1)
	v_and_b32_e32 v37, 1, v167
	v_lshlrev_b32_e32 v164, 30, v167
	v_lshlrev_b32_e32 v165, 29, v167
	;; [unrolled: 1-line block ×4, first 2 shown]
	v_add_co_u32 v37, s15, v37, -1
	s_wait_alu 0xf1ff
	v_cndmask_b32_e64 v169, 0, 1, s15
	v_not_b32_e32 v173, v164
	v_cmp_gt_i32_e64 s15, 0, v164
	v_not_b32_e32 v164, v165
	v_lshlrev_b32_e32 v171, 26, v167
	v_cmp_ne_u32_e32 vcc_lo, 0, v169
	v_ashrrev_i32_e32 v173, 31, v173
	v_lshlrev_b32_e32 v172, 25, v167
	v_ashrrev_i32_e32 v164, 31, v164
	v_lshlrev_b32_e32 v169, 24, v167
	s_wait_alu 0xfffd
	v_xor_b32_e32 v37, vcc_lo, v37
	v_cmp_gt_i32_e32 vcc_lo, 0, v165
	v_not_b32_e32 v165, v168
	s_wait_alu 0xf1ff
	v_xor_b32_e32 v173, s15, v173
	v_cmp_gt_i32_e64 s15, 0, v168
	v_and_b32_e32 v37, exec_lo, v37
	v_not_b32_e32 v168, v170
	v_ashrrev_i32_e32 v165, 31, v165
	s_wait_alu 0xfffd
	v_xor_b32_e32 v164, vcc_lo, v164
	v_cmp_gt_i32_e32 vcc_lo, 0, v170
	v_and_b32_e32 v37, v37, v173
	v_not_b32_e32 v170, v171
	v_ashrrev_i32_e32 v168, 31, v168
	s_wait_alu 0xf1ff
	v_xor_b32_e32 v165, s15, v165
	v_cmp_gt_i32_e64 s15, 0, v171
	v_and_b32_e32 v37, v37, v164
	v_not_b32_e32 v164, v172
	v_ashrrev_i32_e32 v170, 31, v170
	s_wait_alu 0xfffd
	v_xor_b32_e32 v168, vcc_lo, v168
	v_cmp_gt_i32_e32 vcc_lo, 0, v172
	v_and_b32_e32 v37, v37, v165
	v_not_b32_e32 v165, v169
	v_ashrrev_i32_e32 v164, 31, v164
	s_wait_alu 0xf1ff
	v_xor_b32_e32 v170, s15, v170
	v_cmp_gt_i32_e64 s15, 0, v169
	v_and_b32_e32 v37, v37, v168
	v_ashrrev_i32_e32 v165, 31, v165
	s_wait_alu 0xfffd
	v_xor_b32_e32 v164, vcc_lo, v164
	v_mad_u32_u24 v168, v167, 36, v118
	v_mul_u32_u24_e32 v167, 36, v167
	v_and_b32_e32 v37, v37, v170
	s_wait_alu 0xf1ff
	v_xor_b32_e32 v165, s15, v165
	s_delay_alu instid0(VALU_DEP_3) | instskip(NEXT) | instid1(VALU_DEP_3)
	v_add_nc_u32_e32 v167, v118, v167
	v_and_b32_e32 v37, v37, v164
	ds_load_b32 v164, v168 offset:1056
	; wave barrier
	v_and_b32_e32 v37, v37, v165
	s_delay_alu instid0(VALU_DEP_1) | instskip(SKIP_1) | instid1(VALU_DEP_2)
	v_mbcnt_lo_u32_b32 v165, v37, 0
	v_cmp_ne_u32_e64 s15, 0, v37
	v_cmp_eq_u32_e32 vcc_lo, 0, v165
	s_and_b32 s16, s15, vcc_lo
	s_wait_alu 0xfffe
	s_and_saveexec_b32 s15, s16
	s_cbranch_execz .LBB1360_737
; %bb.736:                              ;   in Loop: Header=BB1360_687 Depth=2
	s_wait_dscnt 0x0
	v_bcnt_u32_b32 v37, v37, v164
	ds_store_b32 v167, v37 offset:1056
.LBB1360_737:                           ;   in Loop: Header=BB1360_687 Depth=2
	s_wait_alu 0xfffe
	s_or_b32 exec_lo, exec_lo, s15
	v_cmp_gt_i32_e32 vcc_lo, 0, v163
	; wave barrier
	s_wait_alu 0xfffd
	v_cndmask_b32_e64 v37, 0x7fffffff, 0, vcc_lo
	s_delay_alu instid0(VALU_DEP_1) | instskip(NEXT) | instid1(VALU_DEP_1)
	v_xor_b32_e32 v163, v37, v163
	v_cmp_ne_u32_e32 vcc_lo, 0x80000000, v163
	s_wait_alu 0xfffd
	v_cndmask_b32_e32 v37, 0x7fffffff, v163, vcc_lo
	s_delay_alu instid0(VALU_DEP_1) | instskip(NEXT) | instid1(VALU_DEP_1)
	v_lshrrev_b32_e32 v37, s49, v37
	v_and_b32_e32 v170, s48, v37
	s_delay_alu instid0(VALU_DEP_1)
	v_and_b32_e32 v37, 1, v170
	v_lshlrev_b32_e32 v168, 30, v170
	v_lshlrev_b32_e32 v169, 29, v170
	;; [unrolled: 1-line block ×4, first 2 shown]
	v_add_co_u32 v37, s15, v37, -1
	s_wait_alu 0xf1ff
	v_cndmask_b32_e64 v172, 0, 1, s15
	v_not_b32_e32 v176, v168
	v_cmp_gt_i32_e64 s15, 0, v168
	v_not_b32_e32 v168, v169
	v_lshlrev_b32_e32 v174, 26, v170
	v_cmp_ne_u32_e32 vcc_lo, 0, v172
	v_ashrrev_i32_e32 v176, 31, v176
	v_lshlrev_b32_e32 v175, 25, v170
	v_ashrrev_i32_e32 v168, 31, v168
	v_lshlrev_b32_e32 v172, 24, v170
	s_wait_alu 0xfffd
	v_xor_b32_e32 v37, vcc_lo, v37
	v_cmp_gt_i32_e32 vcc_lo, 0, v169
	v_not_b32_e32 v169, v171
	s_wait_alu 0xf1ff
	v_xor_b32_e32 v176, s15, v176
	v_cmp_gt_i32_e64 s15, 0, v171
	v_and_b32_e32 v37, exec_lo, v37
	v_not_b32_e32 v171, v173
	v_ashrrev_i32_e32 v169, 31, v169
	s_wait_alu 0xfffd
	v_xor_b32_e32 v168, vcc_lo, v168
	v_cmp_gt_i32_e32 vcc_lo, 0, v173
	v_and_b32_e32 v37, v37, v176
	v_not_b32_e32 v173, v174
	v_ashrrev_i32_e32 v171, 31, v171
	s_wait_alu 0xf1ff
	v_xor_b32_e32 v169, s15, v169
	v_cmp_gt_i32_e64 s15, 0, v174
	v_and_b32_e32 v37, v37, v168
	v_not_b32_e32 v168, v175
	v_ashrrev_i32_e32 v173, 31, v173
	s_wait_alu 0xfffd
	v_xor_b32_e32 v171, vcc_lo, v171
	v_cmp_gt_i32_e32 vcc_lo, 0, v175
	v_and_b32_e32 v37, v37, v169
	v_not_b32_e32 v169, v172
	v_ashrrev_i32_e32 v168, 31, v168
	s_wait_alu 0xf1ff
	v_xor_b32_e32 v173, s15, v173
	v_cmp_gt_i32_e64 s15, 0, v172
	v_and_b32_e32 v37, v37, v171
	v_ashrrev_i32_e32 v169, 31, v169
	s_wait_alu 0xfffd
	v_xor_b32_e32 v168, vcc_lo, v168
	v_mad_u32_u24 v171, v170, 36, v118
	v_mul_u32_u24_e32 v170, 36, v170
	v_and_b32_e32 v37, v37, v173
	s_wait_alu 0xf1ff
	v_xor_b32_e32 v169, s15, v169
	s_delay_alu instid0(VALU_DEP_3) | instskip(NEXT) | instid1(VALU_DEP_3)
	v_add_nc_u32_e32 v170, v118, v170
	v_and_b32_e32 v37, v37, v168
	ds_load_b32 v168, v171 offset:1056
	; wave barrier
	v_and_b32_e32 v37, v37, v169
	s_delay_alu instid0(VALU_DEP_1) | instskip(SKIP_1) | instid1(VALU_DEP_2)
	v_mbcnt_lo_u32_b32 v169, v37, 0
	v_cmp_ne_u32_e64 s15, 0, v37
	v_cmp_eq_u32_e32 vcc_lo, 0, v169
	s_and_b32 s16, s15, vcc_lo
	s_wait_alu 0xfffe
	s_and_saveexec_b32 s15, s16
	s_cbranch_execz .LBB1360_739
; %bb.738:                              ;   in Loop: Header=BB1360_687 Depth=2
	s_wait_dscnt 0x0
	v_bcnt_u32_b32 v37, v37, v168
	ds_store_b32 v170, v37 offset:1056
.LBB1360_739:                           ;   in Loop: Header=BB1360_687 Depth=2
	s_wait_alu 0xfffe
	s_or_b32 exec_lo, exec_lo, s15
	v_cmp_gt_i32_e32 vcc_lo, 0, v166
	; wave barrier
	s_wait_alu 0xfffd
	v_cndmask_b32_e64 v37, 0x7fffffff, 0, vcc_lo
	s_delay_alu instid0(VALU_DEP_1) | instskip(NEXT) | instid1(VALU_DEP_1)
	v_xor_b32_e32 v166, v37, v166
	v_cmp_ne_u32_e32 vcc_lo, 0x80000000, v166
	s_wait_alu 0xfffd
	v_cndmask_b32_e32 v37, 0x7fffffff, v166, vcc_lo
	s_delay_alu instid0(VALU_DEP_1) | instskip(NEXT) | instid1(VALU_DEP_1)
	v_lshrrev_b32_e32 v37, s49, v37
	v_and_b32_e32 v171, s48, v37
	s_delay_alu instid0(VALU_DEP_1)
	v_and_b32_e32 v37, 1, v171
	v_lshlrev_b32_e32 v172, 30, v171
	v_lshlrev_b32_e32 v173, 29, v171
	v_lshlrev_b32_e32 v174, 28, v171
	v_lshlrev_b32_e32 v176, 27, v171
	v_add_co_u32 v37, s15, v37, -1
	s_wait_alu 0xf1ff
	v_cndmask_b32_e64 v175, 0, 1, s15
	v_not_b32_e32 v179, v172
	v_cmp_gt_i32_e64 s15, 0, v172
	v_not_b32_e32 v172, v173
	v_lshlrev_b32_e32 v177, 26, v171
	v_cmp_ne_u32_e32 vcc_lo, 0, v175
	v_ashrrev_i32_e32 v179, 31, v179
	v_lshlrev_b32_e32 v178, 25, v171
	v_ashrrev_i32_e32 v172, 31, v172
	v_lshlrev_b32_e32 v175, 24, v171
	s_wait_alu 0xfffd
	v_xor_b32_e32 v37, vcc_lo, v37
	v_cmp_gt_i32_e32 vcc_lo, 0, v173
	v_not_b32_e32 v173, v174
	s_wait_alu 0xf1ff
	v_xor_b32_e32 v179, s15, v179
	v_cmp_gt_i32_e64 s15, 0, v174
	v_and_b32_e32 v37, exec_lo, v37
	v_not_b32_e32 v174, v176
	v_ashrrev_i32_e32 v173, 31, v173
	s_wait_alu 0xfffd
	v_xor_b32_e32 v172, vcc_lo, v172
	v_cmp_gt_i32_e32 vcc_lo, 0, v176
	v_and_b32_e32 v37, v37, v179
	v_not_b32_e32 v176, v177
	v_ashrrev_i32_e32 v174, 31, v174
	s_wait_alu 0xf1ff
	v_xor_b32_e32 v173, s15, v173
	v_cmp_gt_i32_e64 s15, 0, v177
	v_and_b32_e32 v37, v37, v172
	v_not_b32_e32 v172, v178
	v_ashrrev_i32_e32 v176, 31, v176
	s_wait_alu 0xfffd
	v_xor_b32_e32 v174, vcc_lo, v174
	v_cmp_gt_i32_e32 vcc_lo, 0, v178
	v_and_b32_e32 v37, v37, v173
	v_not_b32_e32 v173, v175
	v_ashrrev_i32_e32 v172, 31, v172
	s_wait_alu 0xf1ff
	v_xor_b32_e32 v176, s15, v176
	v_cmp_gt_i32_e64 s15, 0, v175
	v_and_b32_e32 v37, v37, v174
	v_ashrrev_i32_e32 v173, 31, v173
	s_wait_alu 0xfffd
	v_xor_b32_e32 v172, vcc_lo, v172
	v_mad_u32_u24 v174, v171, 36, v118
	v_mul_u32_u24_e32 v171, 36, v171
	v_and_b32_e32 v37, v37, v176
	s_wait_alu 0xf1ff
	v_xor_b32_e32 v173, s15, v173
	s_delay_alu instid0(VALU_DEP_2) | instskip(SKIP_3) | instid1(VALU_DEP_1)
	v_and_b32_e32 v37, v37, v172
	ds_load_b32 v172, v174 offset:1056
	v_add_nc_u32_e32 v174, v118, v171
	; wave barrier
	v_and_b32_e32 v37, v37, v173
	v_mbcnt_lo_u32_b32 v173, v37, 0
	v_cmp_ne_u32_e64 s15, 0, v37
	s_delay_alu instid0(VALU_DEP_2)
	v_cmp_eq_u32_e32 vcc_lo, 0, v173
	s_and_b32 s16, s15, vcc_lo
	s_wait_alu 0xfffe
	s_and_saveexec_b32 s15, s16
	s_cbranch_execz .LBB1360_741
; %bb.740:                              ;   in Loop: Header=BB1360_687 Depth=2
	s_wait_dscnt 0x0
	v_bcnt_u32_b32 v37, v37, v172
	ds_store_b32 v174, v37 offset:1056
.LBB1360_741:                           ;   in Loop: Header=BB1360_687 Depth=2
	s_wait_alu 0xfffe
	s_or_b32 exec_lo, exec_lo, s15
	v_cmp_gt_i32_e32 vcc_lo, 0, v43
	; wave barrier
	s_wait_alu 0xfffd
	v_cndmask_b32_e64 v37, 0x7fffffff, 0, vcc_lo
	s_delay_alu instid0(VALU_DEP_1) | instskip(NEXT) | instid1(VALU_DEP_1)
	v_xor_b32_e32 v171, v37, v43
	v_cmp_ne_u32_e32 vcc_lo, 0x80000000, v171
	s_wait_alu 0xfffd
	v_cndmask_b32_e32 v37, 0x7fffffff, v171, vcc_lo
	s_delay_alu instid0(VALU_DEP_1) | instskip(NEXT) | instid1(VALU_DEP_1)
	v_lshrrev_b32_e32 v37, s49, v37
	v_and_b32_e32 v43, s48, v37
	s_delay_alu instid0(VALU_DEP_1)
	v_and_b32_e32 v37, 1, v43
	v_lshlrev_b32_e32 v175, 30, v43
	v_lshlrev_b32_e32 v176, 29, v43
	;; [unrolled: 1-line block ×4, first 2 shown]
	v_add_co_u32 v37, s15, v37, -1
	s_wait_alu 0xf1ff
	v_cndmask_b32_e64 v178, 0, 1, s15
	v_not_b32_e32 v182, v175
	v_cmp_gt_i32_e64 s15, 0, v175
	v_not_b32_e32 v175, v176
	v_lshlrev_b32_e32 v180, 26, v43
	v_cmp_ne_u32_e32 vcc_lo, 0, v178
	v_ashrrev_i32_e32 v182, 31, v182
	v_lshlrev_b32_e32 v181, 25, v43
	v_ashrrev_i32_e32 v175, 31, v175
	v_lshlrev_b32_e32 v178, 24, v43
	s_wait_alu 0xfffd
	v_xor_b32_e32 v37, vcc_lo, v37
	v_cmp_gt_i32_e32 vcc_lo, 0, v176
	v_not_b32_e32 v176, v177
	s_wait_alu 0xf1ff
	v_xor_b32_e32 v182, s15, v182
	v_cmp_gt_i32_e64 s15, 0, v177
	v_and_b32_e32 v37, exec_lo, v37
	v_not_b32_e32 v177, v179
	v_ashrrev_i32_e32 v176, 31, v176
	s_wait_alu 0xfffd
	v_xor_b32_e32 v175, vcc_lo, v175
	v_cmp_gt_i32_e32 vcc_lo, 0, v179
	v_and_b32_e32 v37, v37, v182
	v_not_b32_e32 v179, v180
	v_ashrrev_i32_e32 v177, 31, v177
	s_wait_alu 0xf1ff
	v_xor_b32_e32 v176, s15, v176
	v_cmp_gt_i32_e64 s15, 0, v180
	v_and_b32_e32 v37, v37, v175
	v_not_b32_e32 v175, v181
	v_ashrrev_i32_e32 v179, 31, v179
	s_wait_alu 0xfffd
	v_xor_b32_e32 v177, vcc_lo, v177
	v_cmp_gt_i32_e32 vcc_lo, 0, v181
	v_and_b32_e32 v37, v37, v176
	v_not_b32_e32 v176, v178
	v_ashrrev_i32_e32 v175, 31, v175
	s_wait_alu 0xf1ff
	v_xor_b32_e32 v179, s15, v179
	v_cmp_gt_i32_e64 s15, 0, v178
	v_and_b32_e32 v37, v37, v177
	v_ashrrev_i32_e32 v176, 31, v176
	s_wait_alu 0xfffd
	v_xor_b32_e32 v175, vcc_lo, v175
	v_mad_u32_u24 v177, v43, 36, v118
	v_mul_u32_u24_e32 v43, 36, v43
	v_and_b32_e32 v37, v37, v179
	s_wait_alu 0xf1ff
	v_xor_b32_e32 v178, s15, v176
	ds_load_b32 v176, v177 offset:1056
	v_and_b32_e32 v37, v37, v175
	; wave barrier
	s_delay_alu instid0(VALU_DEP_1) | instskip(SKIP_1) | instid1(VALU_DEP_2)
	v_and_b32_e32 v37, v37, v178
	v_add_nc_u32_e32 v178, v118, v43
	v_mbcnt_lo_u32_b32 v177, v37, 0
	v_cmp_ne_u32_e64 s15, 0, v37
	s_delay_alu instid0(VALU_DEP_2)
	v_cmp_eq_u32_e32 vcc_lo, 0, v177
	s_and_b32 s16, s15, vcc_lo
	s_wait_alu 0xfffe
	s_and_saveexec_b32 s15, s16
	s_cbranch_execz .LBB1360_743
; %bb.742:                              ;   in Loop: Header=BB1360_687 Depth=2
	s_wait_dscnt 0x0
	v_bcnt_u32_b32 v37, v37, v176
	ds_store_b32 v178, v37 offset:1056
.LBB1360_743:                           ;   in Loop: Header=BB1360_687 Depth=2
	s_wait_alu 0xfffe
	s_or_b32 exec_lo, exec_lo, s15
	v_cmp_gt_i32_e32 vcc_lo, 0, v42
	; wave barrier
	s_wait_alu 0xfffd
	v_cndmask_b32_e64 v37, 0x7fffffff, 0, vcc_lo
	s_delay_alu instid0(VALU_DEP_1) | instskip(NEXT) | instid1(VALU_DEP_1)
	v_xor_b32_e32 v175, v37, v42
	v_cmp_ne_u32_e32 vcc_lo, 0x80000000, v175
	s_wait_alu 0xfffd
	v_cndmask_b32_e32 v37, 0x7fffffff, v175, vcc_lo
	s_delay_alu instid0(VALU_DEP_1) | instskip(NEXT) | instid1(VALU_DEP_1)
	v_lshrrev_b32_e32 v37, s49, v37
	v_and_b32_e32 v42, s48, v37
	s_delay_alu instid0(VALU_DEP_1)
	v_and_b32_e32 v37, 1, v42
	v_lshlrev_b32_e32 v43, 30, v42
	v_lshlrev_b32_e32 v179, 29, v42
	v_lshlrev_b32_e32 v180, 28, v42
	v_lshlrev_b32_e32 v182, 27, v42
	v_add_co_u32 v37, s15, v37, -1
	s_wait_alu 0xf1ff
	v_cndmask_b32_e64 v181, 0, 1, s15
	v_not_b32_e32 v185, v43
	v_cmp_gt_i32_e64 s15, 0, v43
	v_not_b32_e32 v43, v179
	v_lshlrev_b32_e32 v183, 26, v42
	v_cmp_ne_u32_e32 vcc_lo, 0, v181
	v_ashrrev_i32_e32 v185, 31, v185
	v_lshlrev_b32_e32 v184, 25, v42
	v_ashrrev_i32_e32 v43, 31, v43
	v_lshlrev_b32_e32 v181, 24, v42
	s_wait_alu 0xfffd
	v_xor_b32_e32 v37, vcc_lo, v37
	v_cmp_gt_i32_e32 vcc_lo, 0, v179
	v_not_b32_e32 v179, v180
	s_wait_alu 0xf1ff
	v_xor_b32_e32 v185, s15, v185
	v_cmp_gt_i32_e64 s15, 0, v180
	v_and_b32_e32 v37, exec_lo, v37
	v_not_b32_e32 v180, v182
	v_ashrrev_i32_e32 v179, 31, v179
	s_wait_alu 0xfffd
	v_xor_b32_e32 v43, vcc_lo, v43
	v_cmp_gt_i32_e32 vcc_lo, 0, v182
	v_and_b32_e32 v37, v37, v185
	v_not_b32_e32 v182, v183
	v_ashrrev_i32_e32 v180, 31, v180
	s_wait_alu 0xf1ff
	v_xor_b32_e32 v179, s15, v179
	v_cmp_gt_i32_e64 s15, 0, v183
	v_and_b32_e32 v37, v37, v43
	v_not_b32_e32 v43, v184
	v_ashrrev_i32_e32 v182, 31, v182
	s_wait_alu 0xfffd
	v_xor_b32_e32 v180, vcc_lo, v180
	v_cmp_gt_i32_e32 vcc_lo, 0, v184
	v_and_b32_e32 v37, v37, v179
	v_not_b32_e32 v179, v181
	v_ashrrev_i32_e32 v43, 31, v43
	s_wait_alu 0xf1ff
	v_xor_b32_e32 v182, s15, v182
	v_cmp_gt_i32_e64 s15, 0, v181
	v_and_b32_e32 v37, v37, v180
	v_ashrrev_i32_e32 v179, 31, v179
	s_wait_alu 0xfffd
	v_xor_b32_e32 v43, vcc_lo, v43
	v_mad_u32_u24 v180, v42, 36, v118
	v_mul_u32_u24_e32 v42, 36, v42
	v_and_b32_e32 v37, v37, v182
	s_wait_alu 0xf1ff
	v_xor_b32_e32 v179, s15, v179
	ds_load_b32 v180, v180 offset:1056
	v_add_nc_u32_e32 v182, v118, v42
	v_and_b32_e32 v37, v37, v43
	; wave barrier
	s_delay_alu instid0(VALU_DEP_1) | instskip(NEXT) | instid1(VALU_DEP_1)
	v_and_b32_e32 v37, v37, v179
	v_mbcnt_lo_u32_b32 v181, v37, 0
	v_cmp_ne_u32_e64 s15, 0, v37
	s_delay_alu instid0(VALU_DEP_2)
	v_cmp_eq_u32_e32 vcc_lo, 0, v181
	s_and_b32 s16, s15, vcc_lo
	s_wait_alu 0xfffe
	s_and_saveexec_b32 s15, s16
	s_cbranch_execz .LBB1360_745
; %bb.744:                              ;   in Loop: Header=BB1360_687 Depth=2
	s_wait_dscnt 0x0
	v_bcnt_u32_b32 v37, v37, v180
	ds_store_b32 v182, v37 offset:1056
.LBB1360_745:                           ;   in Loop: Header=BB1360_687 Depth=2
	s_wait_alu 0xfffe
	s_or_b32 exec_lo, exec_lo, s15
	v_cmp_gt_i32_e32 vcc_lo, 0, v41
	; wave barrier
	s_wait_alu 0xfffd
	v_cndmask_b32_e64 v37, 0x7fffffff, 0, vcc_lo
	s_delay_alu instid0(VALU_DEP_1) | instskip(NEXT) | instid1(VALU_DEP_1)
	v_xor_b32_e32 v179, v37, v41
	v_cmp_ne_u32_e32 vcc_lo, 0x80000000, v179
	s_wait_alu 0xfffd
	v_cndmask_b32_e32 v37, 0x7fffffff, v179, vcc_lo
	s_delay_alu instid0(VALU_DEP_1) | instskip(NEXT) | instid1(VALU_DEP_1)
	v_lshrrev_b32_e32 v37, s49, v37
	v_and_b32_e32 v41, s48, v37
	s_delay_alu instid0(VALU_DEP_1)
	v_and_b32_e32 v37, 1, v41
	v_lshlrev_b32_e32 v42, 30, v41
	v_lshlrev_b32_e32 v43, 29, v41
	;; [unrolled: 1-line block ×4, first 2 shown]
	v_add_co_u32 v37, s15, v37, -1
	s_wait_alu 0xf1ff
	v_cndmask_b32_e64 v184, 0, 1, s15
	v_not_b32_e32 v188, v42
	v_cmp_gt_i32_e64 s15, 0, v42
	v_not_b32_e32 v42, v43
	v_lshlrev_b32_e32 v186, 26, v41
	v_cmp_ne_u32_e32 vcc_lo, 0, v184
	v_ashrrev_i32_e32 v188, 31, v188
	v_lshlrev_b32_e32 v187, 25, v41
	v_ashrrev_i32_e32 v42, 31, v42
	v_lshlrev_b32_e32 v184, 24, v41
	s_wait_alu 0xfffd
	v_xor_b32_e32 v37, vcc_lo, v37
	v_cmp_gt_i32_e32 vcc_lo, 0, v43
	v_not_b32_e32 v43, v183
	s_wait_alu 0xf1ff
	v_xor_b32_e32 v188, s15, v188
	v_cmp_gt_i32_e64 s15, 0, v183
	v_and_b32_e32 v37, exec_lo, v37
	v_not_b32_e32 v183, v185
	v_ashrrev_i32_e32 v43, 31, v43
	s_wait_alu 0xfffd
	v_xor_b32_e32 v42, vcc_lo, v42
	v_cmp_gt_i32_e32 vcc_lo, 0, v185
	v_and_b32_e32 v37, v37, v188
	v_not_b32_e32 v185, v186
	v_ashrrev_i32_e32 v183, 31, v183
	s_wait_alu 0xf1ff
	v_xor_b32_e32 v43, s15, v43
	v_cmp_gt_i32_e64 s15, 0, v186
	v_and_b32_e32 v37, v37, v42
	v_not_b32_e32 v42, v187
	v_ashrrev_i32_e32 v185, 31, v185
	s_wait_alu 0xfffd
	v_xor_b32_e32 v183, vcc_lo, v183
	v_cmp_gt_i32_e32 vcc_lo, 0, v187
	v_and_b32_e32 v37, v37, v43
	v_not_b32_e32 v43, v184
	v_ashrrev_i32_e32 v42, 31, v42
	s_wait_alu 0xf1ff
	v_xor_b32_e32 v185, s15, v185
	v_cmp_gt_i32_e64 s15, 0, v184
	v_and_b32_e32 v37, v37, v183
	v_ashrrev_i32_e32 v43, 31, v43
	s_wait_alu 0xfffd
	v_xor_b32_e32 v42, vcc_lo, v42
	v_mad_u32_u24 v183, v41, 36, v118
	v_mul_u32_u24_e32 v41, 36, v41
	v_and_b32_e32 v37, v37, v185
	s_wait_alu 0xf1ff
	v_xor_b32_e32 v43, s15, v43
	ds_load_b32 v184, v183 offset:1056
	v_add_nc_u32_e32 v186, v118, v41
	v_and_b32_e32 v37, v37, v42
	; wave barrier
	s_delay_alu instid0(VALU_DEP_1) | instskip(NEXT) | instid1(VALU_DEP_1)
	v_and_b32_e32 v37, v37, v43
	v_mbcnt_lo_u32_b32 v185, v37, 0
	v_cmp_ne_u32_e64 s15, 0, v37
	s_delay_alu instid0(VALU_DEP_2)
	v_cmp_eq_u32_e32 vcc_lo, 0, v185
	s_and_b32 s16, s15, vcc_lo
	s_wait_alu 0xfffe
	s_and_saveexec_b32 s15, s16
	s_cbranch_execz .LBB1360_747
; %bb.746:                              ;   in Loop: Header=BB1360_687 Depth=2
	s_wait_dscnt 0x0
	v_bcnt_u32_b32 v37, v37, v184
	ds_store_b32 v186, v37 offset:1056
.LBB1360_747:                           ;   in Loop: Header=BB1360_687 Depth=2
	s_wait_alu 0xfffe
	s_or_b32 exec_lo, exec_lo, s15
	v_cmp_gt_i32_e32 vcc_lo, 0, v40
	; wave barrier
	s_wait_alu 0xfffd
	v_cndmask_b32_e64 v37, 0x7fffffff, 0, vcc_lo
	s_delay_alu instid0(VALU_DEP_1) | instskip(NEXT) | instid1(VALU_DEP_1)
	v_xor_b32_e32 v183, v37, v40
	v_cmp_ne_u32_e32 vcc_lo, 0x80000000, v183
	s_wait_alu 0xfffd
	v_cndmask_b32_e32 v37, 0x7fffffff, v183, vcc_lo
	s_delay_alu instid0(VALU_DEP_1) | instskip(NEXT) | instid1(VALU_DEP_1)
	v_lshrrev_b32_e32 v37, s49, v37
	v_and_b32_e32 v40, s48, v37
	s_delay_alu instid0(VALU_DEP_1)
	v_and_b32_e32 v37, 1, v40
	v_lshlrev_b32_e32 v41, 30, v40
	v_lshlrev_b32_e32 v42, 29, v40
	;; [unrolled: 1-line block ×4, first 2 shown]
	v_add_co_u32 v37, s15, v37, -1
	s_wait_alu 0xf1ff
	v_cndmask_b32_e64 v187, 0, 1, s15
	v_not_b32_e32 v191, v41
	v_cmp_gt_i32_e64 s15, 0, v41
	v_not_b32_e32 v41, v42
	v_lshlrev_b32_e32 v189, 26, v40
	v_cmp_ne_u32_e32 vcc_lo, 0, v187
	v_ashrrev_i32_e32 v191, 31, v191
	v_lshlrev_b32_e32 v190, 25, v40
	v_ashrrev_i32_e32 v41, 31, v41
	v_lshlrev_b32_e32 v187, 24, v40
	s_wait_alu 0xfffd
	v_xor_b32_e32 v37, vcc_lo, v37
	v_cmp_gt_i32_e32 vcc_lo, 0, v42
	v_not_b32_e32 v42, v43
	s_wait_alu 0xf1ff
	v_xor_b32_e32 v191, s15, v191
	v_cmp_gt_i32_e64 s15, 0, v43
	v_and_b32_e32 v37, exec_lo, v37
	v_not_b32_e32 v43, v188
	v_ashrrev_i32_e32 v42, 31, v42
	s_wait_alu 0xfffd
	v_xor_b32_e32 v41, vcc_lo, v41
	v_cmp_gt_i32_e32 vcc_lo, 0, v188
	v_and_b32_e32 v37, v37, v191
	v_not_b32_e32 v188, v189
	v_ashrrev_i32_e32 v43, 31, v43
	s_wait_alu 0xf1ff
	v_xor_b32_e32 v42, s15, v42
	v_cmp_gt_i32_e64 s15, 0, v189
	v_and_b32_e32 v37, v37, v41
	v_not_b32_e32 v41, v190
	v_ashrrev_i32_e32 v188, 31, v188
	s_wait_alu 0xfffd
	v_xor_b32_e32 v43, vcc_lo, v43
	v_cmp_gt_i32_e32 vcc_lo, 0, v190
	v_and_b32_e32 v37, v37, v42
	v_not_b32_e32 v42, v187
	v_ashrrev_i32_e32 v41, 31, v41
	s_wait_alu 0xf1ff
	v_xor_b32_e32 v188, s15, v188
	v_cmp_gt_i32_e64 s15, 0, v187
	v_and_b32_e32 v37, v37, v43
	v_ashrrev_i32_e32 v42, 31, v42
	s_wait_alu 0xfffd
	v_xor_b32_e32 v41, vcc_lo, v41
	v_mad_u32_u24 v43, v40, 36, v118
	v_mul_u32_u24_e32 v40, 36, v40
	v_and_b32_e32 v37, v37, v188
	s_wait_alu 0xf1ff
	v_xor_b32_e32 v42, s15, v42
	ds_load_b32 v188, v43 offset:1056
	v_add_nc_u32_e32 v190, v118, v40
	v_and_b32_e32 v37, v37, v41
	; wave barrier
	s_delay_alu instid0(VALU_DEP_1) | instskip(NEXT) | instid1(VALU_DEP_1)
	v_and_b32_e32 v37, v37, v42
	v_mbcnt_lo_u32_b32 v189, v37, 0
	v_cmp_ne_u32_e64 s15, 0, v37
	s_delay_alu instid0(VALU_DEP_2)
	v_cmp_eq_u32_e32 vcc_lo, 0, v189
	s_and_b32 s16, s15, vcc_lo
	s_wait_alu 0xfffe
	s_and_saveexec_b32 s15, s16
	s_cbranch_execz .LBB1360_749
; %bb.748:                              ;   in Loop: Header=BB1360_687 Depth=2
	s_wait_dscnt 0x0
	v_bcnt_u32_b32 v37, v37, v188
	ds_store_b32 v190, v37 offset:1056
.LBB1360_749:                           ;   in Loop: Header=BB1360_687 Depth=2
	s_wait_alu 0xfffe
	s_or_b32 exec_lo, exec_lo, s15
	v_cmp_gt_i32_e32 vcc_lo, 0, v39
	; wave barrier
	s_wait_alu 0xfffd
	v_cndmask_b32_e64 v37, 0x7fffffff, 0, vcc_lo
	s_delay_alu instid0(VALU_DEP_1) | instskip(NEXT) | instid1(VALU_DEP_1)
	v_xor_b32_e32 v187, v37, v39
	v_cmp_ne_u32_e32 vcc_lo, 0x80000000, v187
	s_wait_alu 0xfffd
	v_cndmask_b32_e32 v37, 0x7fffffff, v187, vcc_lo
	s_delay_alu instid0(VALU_DEP_1) | instskip(NEXT) | instid1(VALU_DEP_1)
	v_lshrrev_b32_e32 v37, s49, v37
	v_and_b32_e32 v39, s48, v37
	s_delay_alu instid0(VALU_DEP_1)
	v_and_b32_e32 v37, 1, v39
	v_lshlrev_b32_e32 v40, 30, v39
	v_lshlrev_b32_e32 v41, 29, v39
	;; [unrolled: 1-line block ×4, first 2 shown]
	v_add_co_u32 v37, s15, v37, -1
	s_wait_alu 0xf1ff
	v_cndmask_b32_e64 v43, 0, 1, s15
	v_not_b32_e32 v194, v40
	v_cmp_gt_i32_e64 s15, 0, v40
	v_not_b32_e32 v40, v41
	v_lshlrev_b32_e32 v192, 26, v39
	v_cmp_ne_u32_e32 vcc_lo, 0, v43
	v_ashrrev_i32_e32 v194, 31, v194
	v_lshlrev_b32_e32 v193, 25, v39
	v_ashrrev_i32_e32 v40, 31, v40
	v_lshlrev_b32_e32 v43, 24, v39
	s_wait_alu 0xfffd
	v_xor_b32_e32 v37, vcc_lo, v37
	v_cmp_gt_i32_e32 vcc_lo, 0, v41
	v_not_b32_e32 v41, v42
	s_wait_alu 0xf1ff
	v_xor_b32_e32 v194, s15, v194
	v_cmp_gt_i32_e64 s15, 0, v42
	v_and_b32_e32 v37, exec_lo, v37
	v_not_b32_e32 v42, v191
	v_ashrrev_i32_e32 v41, 31, v41
	s_wait_alu 0xfffd
	v_xor_b32_e32 v40, vcc_lo, v40
	v_cmp_gt_i32_e32 vcc_lo, 0, v191
	v_and_b32_e32 v37, v37, v194
	v_not_b32_e32 v191, v192
	v_ashrrev_i32_e32 v42, 31, v42
	s_wait_alu 0xf1ff
	v_xor_b32_e32 v41, s15, v41
	v_cmp_gt_i32_e64 s15, 0, v192
	v_and_b32_e32 v37, v37, v40
	v_not_b32_e32 v40, v193
	v_ashrrev_i32_e32 v191, 31, v191
	s_wait_alu 0xfffd
	v_xor_b32_e32 v42, vcc_lo, v42
	v_cmp_gt_i32_e32 vcc_lo, 0, v193
	v_and_b32_e32 v37, v37, v41
	v_not_b32_e32 v41, v43
	v_ashrrev_i32_e32 v40, 31, v40
	s_wait_alu 0xf1ff
	v_xor_b32_e32 v191, s15, v191
	v_cmp_gt_i32_e64 s15, 0, v43
	v_and_b32_e32 v37, v37, v42
	v_ashrrev_i32_e32 v41, 31, v41
	s_wait_alu 0xfffd
	v_xor_b32_e32 v40, vcc_lo, v40
	v_mad_u32_u24 v42, v39, 36, v118
	v_mul_u32_u24_e32 v39, 36, v39
	v_and_b32_e32 v37, v37, v191
	s_wait_alu 0xf1ff
	v_xor_b32_e32 v41, s15, v41
	ds_load_b32 v192, v42 offset:1056
	v_add_nc_u32_e32 v194, v118, v39
	v_and_b32_e32 v37, v37, v40
	; wave barrier
	s_delay_alu instid0(VALU_DEP_1) | instskip(NEXT) | instid1(VALU_DEP_1)
	v_and_b32_e32 v37, v37, v41
	v_mbcnt_lo_u32_b32 v193, v37, 0
	v_cmp_ne_u32_e64 s15, 0, v37
	s_delay_alu instid0(VALU_DEP_2)
	v_cmp_eq_u32_e32 vcc_lo, 0, v193
	s_and_b32 s16, s15, vcc_lo
	s_wait_alu 0xfffe
	s_and_saveexec_b32 s15, s16
	s_cbranch_execz .LBB1360_751
; %bb.750:                              ;   in Loop: Header=BB1360_687 Depth=2
	s_wait_dscnt 0x0
	v_bcnt_u32_b32 v37, v37, v192
	ds_store_b32 v194, v37 offset:1056
.LBB1360_751:                           ;   in Loop: Header=BB1360_687 Depth=2
	s_wait_alu 0xfffe
	s_or_b32 exec_lo, exec_lo, s15
	v_cmp_gt_i32_e32 vcc_lo, 0, v38
	; wave barrier
	s_wait_alu 0xfffd
	v_cndmask_b32_e64 v37, 0x7fffffff, 0, vcc_lo
	s_delay_alu instid0(VALU_DEP_1) | instskip(NEXT) | instid1(VALU_DEP_1)
	v_xor_b32_e32 v191, v37, v38
	v_cmp_ne_u32_e32 vcc_lo, 0x80000000, v191
	s_wait_alu 0xfffd
	v_cndmask_b32_e32 v37, 0x7fffffff, v191, vcc_lo
	s_delay_alu instid0(VALU_DEP_1) | instskip(NEXT) | instid1(VALU_DEP_1)
	v_lshrrev_b32_e32 v37, s49, v37
	v_and_b32_e32 v38, s48, v37
	s_delay_alu instid0(VALU_DEP_1)
	v_and_b32_e32 v37, 1, v38
	v_lshlrev_b32_e32 v39, 30, v38
	v_lshlrev_b32_e32 v40, 29, v38
	;; [unrolled: 1-line block ×4, first 2 shown]
	v_add_co_u32 v37, s15, v37, -1
	s_wait_alu 0xf1ff
	v_cndmask_b32_e64 v42, 0, 1, s15
	v_not_b32_e32 v197, v39
	v_cmp_gt_i32_e64 s15, 0, v39
	v_not_b32_e32 v39, v40
	v_lshlrev_b32_e32 v195, 26, v38
	v_cmp_ne_u32_e32 vcc_lo, 0, v42
	v_ashrrev_i32_e32 v197, 31, v197
	v_lshlrev_b32_e32 v196, 25, v38
	v_ashrrev_i32_e32 v39, 31, v39
	v_lshlrev_b32_e32 v42, 24, v38
	s_wait_alu 0xfffd
	v_xor_b32_e32 v37, vcc_lo, v37
	v_cmp_gt_i32_e32 vcc_lo, 0, v40
	v_not_b32_e32 v40, v41
	s_wait_alu 0xf1ff
	v_xor_b32_e32 v197, s15, v197
	v_cmp_gt_i32_e64 s15, 0, v41
	v_and_b32_e32 v37, exec_lo, v37
	v_not_b32_e32 v41, v43
	v_ashrrev_i32_e32 v40, 31, v40
	s_wait_alu 0xfffd
	v_xor_b32_e32 v39, vcc_lo, v39
	v_cmp_gt_i32_e32 vcc_lo, 0, v43
	v_and_b32_e32 v37, v37, v197
	v_not_b32_e32 v43, v195
	v_ashrrev_i32_e32 v41, 31, v41
	s_wait_alu 0xf1ff
	v_xor_b32_e32 v40, s15, v40
	v_cmp_gt_i32_e64 s15, 0, v195
	v_and_b32_e32 v37, v37, v39
	v_not_b32_e32 v39, v196
	v_ashrrev_i32_e32 v43, 31, v43
	s_wait_alu 0xfffd
	v_xor_b32_e32 v41, vcc_lo, v41
	v_cmp_gt_i32_e32 vcc_lo, 0, v196
	v_and_b32_e32 v37, v37, v40
	v_not_b32_e32 v40, v42
	v_ashrrev_i32_e32 v39, 31, v39
	s_wait_alu 0xf1ff
	v_xor_b32_e32 v43, s15, v43
	v_cmp_gt_i32_e64 s15, 0, v42
	v_and_b32_e32 v37, v37, v41
	v_ashrrev_i32_e32 v40, 31, v40
	s_wait_alu 0xfffd
	v_xor_b32_e32 v39, vcc_lo, v39
	v_mad_u32_u24 v41, v38, 36, v118
	v_mul_u32_u24_e32 v38, 36, v38
	v_and_b32_e32 v37, v37, v43
	s_wait_alu 0xf1ff
	v_xor_b32_e32 v40, s15, v40
	ds_load_b32 v196, v41 offset:1056
	v_add_nc_u32_e32 v198, v118, v38
	v_and_b32_e32 v37, v37, v39
	; wave barrier
	s_delay_alu instid0(VALU_DEP_1) | instskip(NEXT) | instid1(VALU_DEP_1)
	v_and_b32_e32 v37, v37, v40
	v_mbcnt_lo_u32_b32 v197, v37, 0
	v_cmp_ne_u32_e64 s15, 0, v37
	s_delay_alu instid0(VALU_DEP_2)
	v_cmp_eq_u32_e32 vcc_lo, 0, v197
	s_and_b32 s16, s15, vcc_lo
	s_wait_alu 0xfffe
	s_and_saveexec_b32 s15, s16
	s_cbranch_execz .LBB1360_753
; %bb.752:                              ;   in Loop: Header=BB1360_687 Depth=2
	s_wait_dscnt 0x0
	v_bcnt_u32_b32 v37, v37, v196
	ds_store_b32 v198, v37 offset:1056
.LBB1360_753:                           ;   in Loop: Header=BB1360_687 Depth=2
	s_wait_alu 0xfffe
	s_or_b32 exec_lo, exec_lo, s15
	v_cmp_gt_i32_e32 vcc_lo, 0, v36
	; wave barrier
	s_wait_alu 0xfffd
	v_cndmask_b32_e64 v37, 0x7fffffff, 0, vcc_lo
	s_delay_alu instid0(VALU_DEP_1) | instskip(NEXT) | instid1(VALU_DEP_1)
	v_xor_b32_e32 v195, v37, v36
	v_cmp_ne_u32_e32 vcc_lo, 0x80000000, v195
	s_wait_alu 0xfffd
	v_cndmask_b32_e32 v36, 0x7fffffff, v195, vcc_lo
	s_delay_alu instid0(VALU_DEP_1) | instskip(NEXT) | instid1(VALU_DEP_1)
	v_lshrrev_b32_e32 v36, s49, v36
	v_and_b32_e32 v37, s48, v36
	s_delay_alu instid0(VALU_DEP_1)
	v_and_b32_e32 v36, 1, v37
	v_lshlrev_b32_e32 v38, 30, v37
	v_lshlrev_b32_e32 v39, 29, v37
	;; [unrolled: 1-line block ×4, first 2 shown]
	v_add_co_u32 v36, s15, v36, -1
	s_wait_alu 0xf1ff
	v_cndmask_b32_e64 v41, 0, 1, s15
	v_not_b32_e32 v200, v38
	v_cmp_gt_i32_e64 s15, 0, v38
	v_not_b32_e32 v38, v39
	v_lshlrev_b32_e32 v43, 26, v37
	v_cmp_ne_u32_e32 vcc_lo, 0, v41
	v_ashrrev_i32_e32 v200, 31, v200
	v_lshlrev_b32_e32 v199, 25, v37
	v_ashrrev_i32_e32 v38, 31, v38
	v_lshlrev_b32_e32 v41, 24, v37
	s_wait_alu 0xfffd
	v_xor_b32_e32 v36, vcc_lo, v36
	v_cmp_gt_i32_e32 vcc_lo, 0, v39
	v_not_b32_e32 v39, v40
	s_wait_alu 0xf1ff
	v_xor_b32_e32 v200, s15, v200
	v_cmp_gt_i32_e64 s15, 0, v40
	v_and_b32_e32 v36, exec_lo, v36
	v_not_b32_e32 v40, v42
	v_ashrrev_i32_e32 v39, 31, v39
	s_wait_alu 0xfffd
	v_xor_b32_e32 v38, vcc_lo, v38
	v_cmp_gt_i32_e32 vcc_lo, 0, v42
	v_and_b32_e32 v36, v36, v200
	v_not_b32_e32 v42, v43
	v_ashrrev_i32_e32 v40, 31, v40
	s_wait_alu 0xf1ff
	v_xor_b32_e32 v39, s15, v39
	v_cmp_gt_i32_e64 s15, 0, v43
	v_and_b32_e32 v36, v36, v38
	v_not_b32_e32 v38, v199
	v_ashrrev_i32_e32 v42, 31, v42
	s_wait_alu 0xfffd
	v_xor_b32_e32 v40, vcc_lo, v40
	v_cmp_gt_i32_e32 vcc_lo, 0, v199
	v_and_b32_e32 v36, v36, v39
	v_not_b32_e32 v39, v41
	v_ashrrev_i32_e32 v38, 31, v38
	s_wait_alu 0xf1ff
	v_xor_b32_e32 v42, s15, v42
	v_cmp_gt_i32_e64 s15, 0, v41
	v_and_b32_e32 v36, v36, v40
	v_ashrrev_i32_e32 v39, 31, v39
	s_wait_alu 0xfffd
	v_xor_b32_e32 v38, vcc_lo, v38
	v_mad_u32_u24 v40, v37, 36, v118
	v_mul_u32_u24_e32 v37, 36, v37
	v_and_b32_e32 v36, v36, v42
	s_wait_alu 0xf1ff
	v_xor_b32_e32 v39, s15, v39
	ds_load_b32 v199, v40 offset:1056
	v_add_nc_u32_e32 v201, v118, v37
	v_and_b32_e32 v36, v36, v38
	; wave barrier
	s_delay_alu instid0(VALU_DEP_1) | instskip(NEXT) | instid1(VALU_DEP_1)
	v_and_b32_e32 v36, v36, v39
	v_mbcnt_lo_u32_b32 v200, v36, 0
	v_cmp_ne_u32_e64 s15, 0, v36
	s_delay_alu instid0(VALU_DEP_2)
	v_cmp_eq_u32_e32 vcc_lo, 0, v200
	s_and_b32 s16, s15, vcc_lo
	s_wait_alu 0xfffe
	s_and_saveexec_b32 s15, s16
	s_cbranch_execz .LBB1360_755
; %bb.754:                              ;   in Loop: Header=BB1360_687 Depth=2
	s_wait_dscnt 0x0
	v_bcnt_u32_b32 v36, v36, v199
	ds_store_b32 v201, v36 offset:1056
.LBB1360_755:                           ;   in Loop: Header=BB1360_687 Depth=2
	s_wait_alu 0xfffe
	s_or_b32 exec_lo, exec_lo, s15
	; wave barrier
	s_wait_loadcnt_dscnt 0x0
	s_barrier_signal -1
	s_barrier_wait -1
	global_inv scope:SCOPE_SE
	ds_load_2addr_b32 v[42:43], v139 offset1:1
	ds_load_2addr_b32 v[40:41], v140 offset1:1
	;; [unrolled: 1-line block ×4, first 2 shown]
	ds_load_b32 v202, v67 offset:1088
	s_wait_dscnt 0x3
	v_add3_u32 v203, v43, v42, v40
	s_wait_dscnt 0x2
	s_delay_alu instid0(VALU_DEP_1) | instskip(SKIP_1) | instid1(VALU_DEP_1)
	v_add3_u32 v203, v203, v41, v38
	s_wait_dscnt 0x1
	v_add3_u32 v203, v203, v39, v36
	s_wait_dscnt 0x0
	s_delay_alu instid0(VALU_DEP_1) | instskip(NEXT) | instid1(VALU_DEP_1)
	v_add3_u32 v202, v203, v37, v202
	v_mov_b32_dpp v203, v202 row_shr:1 row_mask:0xf bank_mask:0xf
	s_delay_alu instid0(VALU_DEP_1) | instskip(NEXT) | instid1(VALU_DEP_1)
	v_cndmask_b32_e64 v203, v203, 0, s0
	v_add_nc_u32_e32 v202, v203, v202
	s_delay_alu instid0(VALU_DEP_1) | instskip(NEXT) | instid1(VALU_DEP_1)
	v_mov_b32_dpp v203, v202 row_shr:2 row_mask:0xf bank_mask:0xf
	v_cndmask_b32_e64 v203, 0, v203, s1
	s_delay_alu instid0(VALU_DEP_1) | instskip(NEXT) | instid1(VALU_DEP_1)
	v_add_nc_u32_e32 v202, v202, v203
	v_mov_b32_dpp v203, v202 row_shr:4 row_mask:0xf bank_mask:0xf
	s_delay_alu instid0(VALU_DEP_1) | instskip(NEXT) | instid1(VALU_DEP_1)
	v_cndmask_b32_e64 v203, 0, v203, s9
	v_add_nc_u32_e32 v202, v202, v203
	s_delay_alu instid0(VALU_DEP_1) | instskip(NEXT) | instid1(VALU_DEP_1)
	v_mov_b32_dpp v203, v202 row_shr:8 row_mask:0xf bank_mask:0xf
	v_cndmask_b32_e64 v203, 0, v203, s10
	s_delay_alu instid0(VALU_DEP_1) | instskip(SKIP_3) | instid1(VALU_DEP_1)
	v_add_nc_u32_e32 v202, v202, v203
	ds_swizzle_b32 v203, v202 offset:swizzle(BROADCAST,32,15)
	s_wait_dscnt 0x0
	v_cndmask_b32_e64 v203, v203, 0, s11
	v_add_nc_u32_e32 v202, v202, v203
	s_and_saveexec_b32 s15, s3
; %bb.756:                              ;   in Loop: Header=BB1360_687 Depth=2
	ds_store_b32 v63, v202 offset:1024
; %bb.757:                              ;   in Loop: Header=BB1360_687 Depth=2
	s_wait_alu 0xfffe
	s_or_b32 exec_lo, exec_lo, s15
	s_wait_loadcnt_dscnt 0x0
	s_barrier_signal -1
	s_barrier_wait -1
	global_inv scope:SCOPE_SE
	s_and_saveexec_b32 s15, s4
	s_cbranch_execz .LBB1360_759
; %bb.758:                              ;   in Loop: Header=BB1360_687 Depth=2
	ds_load_b32 v203, v70 offset:1024
	s_wait_dscnt 0x0
	v_mov_b32_dpp v204, v203 row_shr:1 row_mask:0xf bank_mask:0xf
	s_delay_alu instid0(VALU_DEP_1) | instskip(NEXT) | instid1(VALU_DEP_1)
	v_cndmask_b32_e64 v204, v204, 0, s12
	v_add_nc_u32_e32 v203, v204, v203
	s_delay_alu instid0(VALU_DEP_1) | instskip(NEXT) | instid1(VALU_DEP_1)
	v_mov_b32_dpp v204, v203 row_shr:2 row_mask:0xf bank_mask:0xf
	v_cndmask_b32_e64 v204, 0, v204, s13
	s_delay_alu instid0(VALU_DEP_1) | instskip(NEXT) | instid1(VALU_DEP_1)
	v_add_nc_u32_e32 v203, v203, v204
	v_mov_b32_dpp v204, v203 row_shr:4 row_mask:0xf bank_mask:0xf
	s_delay_alu instid0(VALU_DEP_1) | instskip(NEXT) | instid1(VALU_DEP_1)
	v_cndmask_b32_e64 v204, 0, v204, s14
	v_add_nc_u32_e32 v203, v203, v204
	ds_store_b32 v70, v203 offset:1024
.LBB1360_759:                           ;   in Loop: Header=BB1360_687 Depth=2
	s_wait_alu 0xfffe
	s_or_b32 exec_lo, exec_lo, s15
	v_mov_b32_e32 v203, 0
	s_wait_loadcnt_dscnt 0x0
	s_barrier_signal -1
	s_barrier_wait -1
	global_inv scope:SCOPE_SE
	s_and_saveexec_b32 s15, s5
; %bb.760:                              ;   in Loop: Header=BB1360_687 Depth=2
	ds_load_b32 v203, v63 offset:1020
; %bb.761:                              ;   in Loop: Header=BB1360_687 Depth=2
	s_wait_alu 0xfffe
	s_or_b32 exec_lo, exec_lo, s15
	s_wait_dscnt 0x0
	v_add_nc_u32_e32 v202, v203, v202
	ds_bpermute_b32 v202, v113, v202
	s_wait_dscnt 0x0
	v_cndmask_b32_e64 v202, v202, v203, s8
	s_delay_alu instid0(VALU_DEP_1) | instskip(NEXT) | instid1(VALU_DEP_1)
	v_cndmask_b32_e64 v202, v202, 0, s6
	v_add_nc_u32_e32 v42, v202, v42
	s_delay_alu instid0(VALU_DEP_1) | instskip(NEXT) | instid1(VALU_DEP_1)
	v_add_nc_u32_e32 v43, v42, v43
	v_add_nc_u32_e32 v40, v43, v40
	s_delay_alu instid0(VALU_DEP_1) | instskip(NEXT) | instid1(VALU_DEP_1)
	v_add_nc_u32_e32 v41, v40, v41
	;; [unrolled: 3-line block ×3, first 2 shown]
	v_add_nc_u32_e32 v36, v39, v36
	s_delay_alu instid0(VALU_DEP_1)
	v_add_nc_u32_e32 v37, v36, v37
	ds_store_2addr_b32 v138, v39, v36 offset1:1
	ds_store_2addr_b32 v139, v202, v42 offset1:1
	;; [unrolled: 1-line block ×4, first 2 shown]
	ds_store_b32 v67, v37 offset:1088
	s_wait_loadcnt_dscnt 0x0
	s_barrier_signal -1
	s_barrier_wait -1
	global_inv scope:SCOPE_SE
	ds_load_b32 v39, v142 offset:1056
	ds_load_b32 v41, v146 offset:1056
	;; [unrolled: 1-line block ×17, first 2 shown]
	v_mov_b32_e32 v38, 0x1000
	s_and_saveexec_b32 s15, s7
; %bb.762:                              ;   in Loop: Header=BB1360_687 Depth=2
	ds_load_b32 v38, v67 offset:1092
; %bb.763:                              ;   in Loop: Header=BB1360_687 Depth=2
	s_wait_alu 0xfffe
	s_or_b32 exec_lo, exec_lo, s15
	s_wait_loadcnt_dscnt 0x0
	s_barrier_signal -1
	s_barrier_wait -1
	global_inv scope:SCOPE_SE
	s_and_saveexec_b32 s15, s2
	s_cbranch_execz .LBB1360_765
; %bb.764:                              ;   in Loop: Header=BB1360_687 Depth=2
	ds_load_b32 v142, v44
	s_wait_dscnt 0x0
	v_sub_nc_u32_e32 v141, v142, v141
	ds_store_b32 v44, v141
.LBB1360_765:                           ;   in Loop: Header=BB1360_687 Depth=2
	s_wait_alu 0xfffe
	s_or_b32 exec_lo, exec_lo, s15
	v_add_nc_u32_e32 v154, v39, v137
	v_add3_u32 v150, v145, v144, v41
	v_add3_u32 v146, v149, v148, v42
	v_add3_u32 v145, v153, v152, v43
	v_add3_u32 v144, v157, v156, v138
	v_lshlrev_b32_e32 v148, 2, v154
	v_add3_u32 v142, v161, v160, v139
	v_add3_u32 v141, v165, v164, v140
	;; [unrolled: 1-line block ×4, first 2 shown]
	ds_store_b32 v148, v2 offset:1024
	v_lshlrev_b32_e32 v2, 2, v150
	v_lshlrev_b32_e32 v36, 2, v146
	v_add3_u32 v139, v173, v172, v167
	v_add3_u32 v42, v193, v192, v37
	v_lshlrev_b32_e32 v37, 2, v145
	v_add3_u32 v138, v177, v176, v170
	v_lshlrev_b32_e32 v148, 2, v144
	;; [unrolled: 2-line block ×3, first 2 shown]
	v_add3_u32 v39, v185, v184, v178
	ds_store_b32 v2, v136 offset:1024
	ds_store_b32 v36, v143 offset:1024
	;; [unrolled: 1-line block ×5, first 2 shown]
	v_lshlrev_b32_e32 v2, 2, v141
	v_lshlrev_b32_e32 v36, 2, v140
	;; [unrolled: 1-line block ×3, first 2 shown]
	v_add3_u32 v41, v197, v196, v40
	v_lshlrev_b32_e32 v136, 2, v138
	v_add3_u32 v40, v200, v199, v158
	v_lshlrev_b32_e32 v143, 2, v137
	ds_store_b32 v2, v159 offset:1024
	ds_store_b32 v36, v163 offset:1024
	;; [unrolled: 1-line block ×5, first 2 shown]
	v_lshlrev_b32_e32 v2, 2, v39
	v_cmp_lt_u32_e32 vcc_lo, v1, v135
	v_lshlrev_b32_e32 v36, 2, v43
	v_lshlrev_b32_e32 v37, 2, v42
	;; [unrolled: 1-line block ×4, first 2 shown]
	ds_store_b32 v2, v179 offset:1024
	ds_store_b32 v36, v183 offset:1024
	;; [unrolled: 1-line block ×5, first 2 shown]
	s_wait_loadcnt_dscnt 0x0
	s_barrier_signal -1
	s_barrier_wait -1
	global_inv scope:SCOPE_SE
	s_and_saveexec_b32 s16, vcc_lo
	s_cbranch_execnz .LBB1360_834
; %bb.766:                              ;   in Loop: Header=BB1360_687 Depth=2
	s_wait_alu 0xfffe
	s_or_b32 exec_lo, exec_lo, s16
	v_cmp_lt_u32_e64 s15, v45, v135
	s_and_saveexec_b32 s17, s15
	s_cbranch_execnz .LBB1360_835
.LBB1360_767:                           ;   in Loop: Header=BB1360_687 Depth=2
	s_wait_alu 0xfffe
	s_or_b32 exec_lo, exec_lo, s17
	v_cmp_lt_u32_e64 s16, v46, v135
	s_and_saveexec_b32 s18, s16
	s_cbranch_execnz .LBB1360_836
.LBB1360_768:                           ;   in Loop: Header=BB1360_687 Depth=2
	s_wait_alu 0xfffe
	s_or_b32 exec_lo, exec_lo, s18
	v_cmp_lt_u32_e64 s17, v47, v135
	s_and_saveexec_b32 s19, s17
	s_cbranch_execnz .LBB1360_837
.LBB1360_769:                           ;   in Loop: Header=BB1360_687 Depth=2
	s_wait_alu 0xfffe
	s_or_b32 exec_lo, exec_lo, s19
	v_cmp_lt_u32_e64 s18, v50, v135
	s_and_saveexec_b32 s20, s18
	s_cbranch_execnz .LBB1360_838
.LBB1360_770:                           ;   in Loop: Header=BB1360_687 Depth=2
	s_wait_alu 0xfffe
	s_or_b32 exec_lo, exec_lo, s20
	v_cmp_lt_u32_e64 s19, v51, v135
	s_and_saveexec_b32 s21, s19
	s_cbranch_execnz .LBB1360_839
.LBB1360_771:                           ;   in Loop: Header=BB1360_687 Depth=2
	s_wait_alu 0xfffe
	s_or_b32 exec_lo, exec_lo, s21
	v_cmp_lt_u32_e64 s20, v52, v135
	s_and_saveexec_b32 s22, s20
	s_cbranch_execnz .LBB1360_840
.LBB1360_772:                           ;   in Loop: Header=BB1360_687 Depth=2
	s_wait_alu 0xfffe
	s_or_b32 exec_lo, exec_lo, s22
	v_cmp_lt_u32_e64 s21, v53, v135
	s_and_saveexec_b32 s23, s21
	s_cbranch_execnz .LBB1360_841
.LBB1360_773:                           ;   in Loop: Header=BB1360_687 Depth=2
	s_wait_alu 0xfffe
	s_or_b32 exec_lo, exec_lo, s23
	v_cmp_lt_u32_e64 s22, v54, v135
	s_and_saveexec_b32 s24, s22
	s_cbranch_execnz .LBB1360_842
.LBB1360_774:                           ;   in Loop: Header=BB1360_687 Depth=2
	s_wait_alu 0xfffe
	s_or_b32 exec_lo, exec_lo, s24
	v_cmp_lt_u32_e64 s23, v55, v135
	s_and_saveexec_b32 s25, s23
	s_cbranch_execnz .LBB1360_843
.LBB1360_775:                           ;   in Loop: Header=BB1360_687 Depth=2
	s_wait_alu 0xfffe
	s_or_b32 exec_lo, exec_lo, s25
	v_cmp_lt_u32_e64 s24, v56, v135
	s_and_saveexec_b32 s26, s24
	s_cbranch_execnz .LBB1360_844
.LBB1360_776:                           ;   in Loop: Header=BB1360_687 Depth=2
	s_wait_alu 0xfffe
	s_or_b32 exec_lo, exec_lo, s26
	v_cmp_lt_u32_e64 s25, v57, v135
	s_and_saveexec_b32 s27, s25
	s_cbranch_execnz .LBB1360_845
.LBB1360_777:                           ;   in Loop: Header=BB1360_687 Depth=2
	s_wait_alu 0xfffe
	s_or_b32 exec_lo, exec_lo, s27
	v_cmp_lt_u32_e64 s26, v58, v135
	s_and_saveexec_b32 s28, s26
	s_cbranch_execnz .LBB1360_846
.LBB1360_778:                           ;   in Loop: Header=BB1360_687 Depth=2
	s_wait_alu 0xfffe
	s_or_b32 exec_lo, exec_lo, s28
	v_cmp_lt_u32_e64 s27, v59, v135
	s_and_saveexec_b32 s29, s27
	s_cbranch_execnz .LBB1360_847
.LBB1360_779:                           ;   in Loop: Header=BB1360_687 Depth=2
	s_wait_alu 0xfffe
	s_or_b32 exec_lo, exec_lo, s29
	v_cmp_lt_u32_e64 s28, v60, v135
	s_and_saveexec_b32 s30, s28
	s_cbranch_execnz .LBB1360_848
.LBB1360_780:                           ;   in Loop: Header=BB1360_687 Depth=2
	s_wait_alu 0xfffe
	s_or_b32 exec_lo, exec_lo, s30
	v_cmp_lt_u32_e64 s29, v61, v135
	s_and_saveexec_b32 s56, s29
	s_cbranch_execz .LBB1360_782
.LBB1360_781:                           ;   in Loop: Header=BB1360_687 Depth=2
	ds_load_b32 v136, v70 offset:16384
	s_wait_dscnt 0x0
	v_cmp_ne_u32_e64 s30, 0x80000000, v136
	s_wait_alu 0xf1ff
	s_delay_alu instid0(VALU_DEP_1) | instskip(SKIP_1) | instid1(VALU_DEP_2)
	v_cndmask_b32_e64 v2, 0x7fffffff, v136, s30
	v_cmp_gt_i32_e64 s30, 0, v136
	v_lshrrev_b32_e32 v2, s49, v2
	s_wait_alu 0xf1ff
	s_delay_alu instid0(VALU_DEP_2) | instskip(NEXT) | instid1(VALU_DEP_2)
	v_cndmask_b32_e64 v143, 0x7fffffff, 0, s30
	v_and_b32_e32 v2, s48, v2
	s_delay_alu instid0(VALU_DEP_1) | instskip(SKIP_3) | instid1(VALU_DEP_1)
	v_lshlrev_b32_e32 v2, 2, v2
	ds_load_b32 v2, v2
	s_wait_dscnt 0x0
	v_add_nc_u32_e32 v2, v2, v61
	v_lshlrev_b64_e32 v[36:37], 2, v[2:3]
	v_xor_b32_e32 v2, v143, v136
	s_delay_alu instid0(VALU_DEP_2) | instskip(SKIP_1) | instid1(VALU_DEP_3)
	v_add_co_u32 v36, s30, s38, v36
	s_wait_alu 0xf1ff
	v_add_co_ci_u32_e64 v37, null, s39, v37, s30
	global_store_b32 v[36:37], v2, off
.LBB1360_782:                           ;   in Loop: Header=BB1360_687 Depth=2
	s_wait_alu 0xfffe
	s_or_b32 exec_lo, exec_lo, s56
	s_lshl_b64 s[56:57], s[42:43], 3
	s_wait_alu 0xfffe
	v_add_co_u32 v36, s30, v114, s56
	s_wait_alu 0xf1ff
	v_add_co_ci_u32_e64 v37, null, s57, v115, s30
	v_cmp_lt_u32_e64 s30, v88, v135
	s_and_saveexec_b32 s42, s30
	s_wait_alu 0xfffe
	s_xor_b32 s30, exec_lo, s42
	s_cbranch_execnz .LBB1360_849
; %bb.783:                              ;   in Loop: Header=BB1360_687 Depth=2
	s_wait_alu 0xfffe
	s_or_b32 exec_lo, exec_lo, s30
	s_delay_alu instid0(SALU_CYCLE_1)
	s_mov_b32 s42, exec_lo
	v_cmpx_lt_u32_e64 v92, v135
	s_cbranch_execnz .LBB1360_850
.LBB1360_784:                           ;   in Loop: Header=BB1360_687 Depth=2
	s_wait_alu 0xfffe
	s_or_b32 exec_lo, exec_lo, s42
	s_delay_alu instid0(SALU_CYCLE_1)
	s_mov_b32 s42, exec_lo
	v_cmpx_lt_u32_e64 v93, v135
	s_cbranch_execnz .LBB1360_851
.LBB1360_785:                           ;   in Loop: Header=BB1360_687 Depth=2
	s_wait_alu 0xfffe
	s_or_b32 exec_lo, exec_lo, s42
	s_delay_alu instid0(SALU_CYCLE_1)
	s_mov_b32 s42, exec_lo
	v_cmpx_lt_u32_e64 v94, v135
	s_cbranch_execnz .LBB1360_852
.LBB1360_786:                           ;   in Loop: Header=BB1360_687 Depth=2
	s_wait_alu 0xfffe
	s_or_b32 exec_lo, exec_lo, s42
	s_delay_alu instid0(SALU_CYCLE_1)
	s_mov_b32 s42, exec_lo
	v_cmpx_lt_u32_e64 v95, v135
	s_cbranch_execnz .LBB1360_853
.LBB1360_787:                           ;   in Loop: Header=BB1360_687 Depth=2
	s_wait_alu 0xfffe
	s_or_b32 exec_lo, exec_lo, s42
	s_delay_alu instid0(SALU_CYCLE_1)
	s_mov_b32 s42, exec_lo
	v_cmpx_lt_u32_e64 v96, v135
	s_cbranch_execnz .LBB1360_854
.LBB1360_788:                           ;   in Loop: Header=BB1360_687 Depth=2
	s_wait_alu 0xfffe
	s_or_b32 exec_lo, exec_lo, s42
	s_delay_alu instid0(SALU_CYCLE_1)
	s_mov_b32 s42, exec_lo
	v_cmpx_lt_u32_e64 v97, v135
	s_cbranch_execnz .LBB1360_855
.LBB1360_789:                           ;   in Loop: Header=BB1360_687 Depth=2
	s_wait_alu 0xfffe
	s_or_b32 exec_lo, exec_lo, s42
	s_delay_alu instid0(SALU_CYCLE_1)
	s_mov_b32 s42, exec_lo
	v_cmpx_lt_u32_e64 v98, v135
	s_cbranch_execnz .LBB1360_856
.LBB1360_790:                           ;   in Loop: Header=BB1360_687 Depth=2
	s_wait_alu 0xfffe
	s_or_b32 exec_lo, exec_lo, s42
	s_delay_alu instid0(SALU_CYCLE_1)
	s_mov_b32 s42, exec_lo
	v_cmpx_lt_u32_e64 v99, v135
	s_cbranch_execnz .LBB1360_857
.LBB1360_791:                           ;   in Loop: Header=BB1360_687 Depth=2
	s_wait_alu 0xfffe
	s_or_b32 exec_lo, exec_lo, s42
	s_delay_alu instid0(SALU_CYCLE_1)
	s_mov_b32 s42, exec_lo
	v_cmpx_lt_u32_e64 v100, v135
	s_cbranch_execnz .LBB1360_858
.LBB1360_792:                           ;   in Loop: Header=BB1360_687 Depth=2
	s_wait_alu 0xfffe
	s_or_b32 exec_lo, exec_lo, s42
	s_delay_alu instid0(SALU_CYCLE_1)
	s_mov_b32 s42, exec_lo
	v_cmpx_lt_u32_e64 v101, v135
	s_cbranch_execnz .LBB1360_859
.LBB1360_793:                           ;   in Loop: Header=BB1360_687 Depth=2
	s_wait_alu 0xfffe
	s_or_b32 exec_lo, exec_lo, s42
	s_delay_alu instid0(SALU_CYCLE_1)
	s_mov_b32 s42, exec_lo
	v_cmpx_lt_u32_e64 v102, v135
	s_cbranch_execnz .LBB1360_860
.LBB1360_794:                           ;   in Loop: Header=BB1360_687 Depth=2
	s_wait_alu 0xfffe
	s_or_b32 exec_lo, exec_lo, s42
	s_delay_alu instid0(SALU_CYCLE_1)
	s_mov_b32 s42, exec_lo
	v_cmpx_lt_u32_e64 v103, v135
	s_cbranch_execnz .LBB1360_861
.LBB1360_795:                           ;   in Loop: Header=BB1360_687 Depth=2
	s_wait_alu 0xfffe
	s_or_b32 exec_lo, exec_lo, s42
	s_delay_alu instid0(SALU_CYCLE_1)
	s_mov_b32 s42, exec_lo
	v_cmpx_lt_u32_e64 v104, v135
	s_cbranch_execnz .LBB1360_862
.LBB1360_796:                           ;   in Loop: Header=BB1360_687 Depth=2
	s_wait_alu 0xfffe
	s_or_b32 exec_lo, exec_lo, s42
	s_delay_alu instid0(SALU_CYCLE_1)
	s_mov_b32 s42, exec_lo
	v_cmpx_lt_u32_e64 v105, v135
	s_cbranch_execnz .LBB1360_863
.LBB1360_797:                           ;   in Loop: Header=BB1360_687 Depth=2
	s_wait_alu 0xfffe
	s_or_b32 exec_lo, exec_lo, s42
	s_delay_alu instid0(SALU_CYCLE_1)
	s_mov_b32 s42, exec_lo
	v_cmpx_lt_u32_e64 v106, v135
	s_cbranch_execnz .LBB1360_864
.LBB1360_798:                           ;   in Loop: Header=BB1360_687 Depth=2
	s_wait_alu 0xfffe
	s_or_b32 exec_lo, exec_lo, s42
	s_and_saveexec_b32 s42, vcc_lo
	s_cbranch_execnz .LBB1360_865
.LBB1360_799:                           ;   in Loop: Header=BB1360_687 Depth=2
	s_wait_alu 0xfffe
	s_or_b32 exec_lo, exec_lo, s42
	s_and_saveexec_b32 s42, s15
	s_cbranch_execnz .LBB1360_866
.LBB1360_800:                           ;   in Loop: Header=BB1360_687 Depth=2
	s_wait_alu 0xfffe
	s_or_b32 exec_lo, exec_lo, s42
	s_and_saveexec_b32 s42, s16
	s_cbranch_execnz .LBB1360_867
.LBB1360_801:                           ;   in Loop: Header=BB1360_687 Depth=2
	s_wait_alu 0xfffe
	s_or_b32 exec_lo, exec_lo, s42
	s_and_saveexec_b32 s42, s17
	s_cbranch_execnz .LBB1360_868
.LBB1360_802:                           ;   in Loop: Header=BB1360_687 Depth=2
	s_wait_alu 0xfffe
	s_or_b32 exec_lo, exec_lo, s42
	s_and_saveexec_b32 s42, s18
	s_cbranch_execnz .LBB1360_869
.LBB1360_803:                           ;   in Loop: Header=BB1360_687 Depth=2
	s_wait_alu 0xfffe
	s_or_b32 exec_lo, exec_lo, s42
	s_and_saveexec_b32 s42, s19
	s_cbranch_execnz .LBB1360_870
.LBB1360_804:                           ;   in Loop: Header=BB1360_687 Depth=2
	s_wait_alu 0xfffe
	s_or_b32 exec_lo, exec_lo, s42
	s_and_saveexec_b32 s42, s20
	s_cbranch_execnz .LBB1360_871
.LBB1360_805:                           ;   in Loop: Header=BB1360_687 Depth=2
	s_wait_alu 0xfffe
	s_or_b32 exec_lo, exec_lo, s42
	s_and_saveexec_b32 s42, s21
	s_cbranch_execnz .LBB1360_872
.LBB1360_806:                           ;   in Loop: Header=BB1360_687 Depth=2
	s_wait_alu 0xfffe
	s_or_b32 exec_lo, exec_lo, s42
	s_and_saveexec_b32 s42, s22
	s_cbranch_execnz .LBB1360_873
.LBB1360_807:                           ;   in Loop: Header=BB1360_687 Depth=2
	s_wait_alu 0xfffe
	s_or_b32 exec_lo, exec_lo, s42
	s_and_saveexec_b32 s42, s23
	s_cbranch_execnz .LBB1360_874
.LBB1360_808:                           ;   in Loop: Header=BB1360_687 Depth=2
	s_wait_alu 0xfffe
	s_or_b32 exec_lo, exec_lo, s42
	s_and_saveexec_b32 s42, s24
	s_cbranch_execnz .LBB1360_875
.LBB1360_809:                           ;   in Loop: Header=BB1360_687 Depth=2
	s_wait_alu 0xfffe
	s_or_b32 exec_lo, exec_lo, s42
	s_and_saveexec_b32 s42, s25
	s_cbranch_execnz .LBB1360_876
.LBB1360_810:                           ;   in Loop: Header=BB1360_687 Depth=2
	s_wait_alu 0xfffe
	s_or_b32 exec_lo, exec_lo, s42
	s_and_saveexec_b32 s42, s26
	s_cbranch_execnz .LBB1360_877
.LBB1360_811:                           ;   in Loop: Header=BB1360_687 Depth=2
	s_wait_alu 0xfffe
	s_or_b32 exec_lo, exec_lo, s42
	s_and_saveexec_b32 s42, s27
	s_cbranch_execnz .LBB1360_878
.LBB1360_812:                           ;   in Loop: Header=BB1360_687 Depth=2
	s_wait_alu 0xfffe
	s_or_b32 exec_lo, exec_lo, s42
	s_and_saveexec_b32 s42, s28
	s_cbranch_execnz .LBB1360_879
.LBB1360_813:                           ;   in Loop: Header=BB1360_687 Depth=2
	s_wait_alu 0xfffe
	s_or_b32 exec_lo, exec_lo, s42
	s_and_saveexec_b32 s42, s29
	s_cbranch_execz .LBB1360_815
.LBB1360_814:                           ;   in Loop: Header=BB1360_687 Depth=2
	ds_load_b32 v2, v70 offset:16384
	s_wait_dscnt 0x0
	v_cmp_ne_u32_e64 s30, 0x80000000, v2
	s_wait_alu 0xf1ff
	s_delay_alu instid0(VALU_DEP_1) | instskip(NEXT) | instid1(VALU_DEP_1)
	v_cndmask_b32_e64 v2, 0x7fffffff, v2, s30
	v_lshrrev_b32_e32 v2, s49, v2
	s_delay_alu instid0(VALU_DEP_1)
	v_and_b32_e32 v119, s48, v2
.LBB1360_815:                           ;   in Loop: Header=BB1360_687 Depth=2
	s_wait_alu 0xfffe
	s_or_b32 exec_lo, exec_lo, s42
	v_lshlrev_b32_e32 v2, 3, v154
	s_wait_loadcnt 0x0
	s_wait_storecnt 0x0
	s_barrier_signal -1
	s_barrier_wait -1
	global_inv scope:SCOPE_SE
	ds_store_b64 v2, v[34:35] offset:1024
	v_lshlrev_b32_e32 v2, 3, v150
	v_lshlrev_b32_e32 v36, 3, v146
	v_lshlrev_b32_e32 v37, 3, v145
	v_lshlrev_b32_e32 v135, 3, v144
	v_lshlrev_b32_e32 v136, 3, v142
	ds_store_b64 v2, v[32:33] offset:1024
	ds_store_b64 v36, v[30:31] offset:1024
	ds_store_b64 v37, v[28:29] offset:1024
	ds_store_b64 v135, v[26:27] offset:1024
	ds_store_b64 v136, v[24:25] offset:1024
	v_lshlrev_b32_e32 v2, 3, v141
	v_lshlrev_b32_e32 v36, 3, v140
	v_lshlrev_b32_e32 v37, 3, v139
	v_lshlrev_b32_e32 v135, 3, v138
	v_lshlrev_b32_e32 v136, 3, v137
	ds_store_b64 v2, v[22:23] offset:1024
	ds_store_b64 v36, v[20:21] offset:1024
	ds_store_b64 v37, v[18:19] offset:1024
	ds_store_b64 v135, v[16:17] offset:1024
	;; [unrolled: 10-line block ×3, first 2 shown]
	ds_store_b64 v40, v[4:5] offset:1024
	s_wait_loadcnt_dscnt 0x0
	s_barrier_signal -1
	s_barrier_wait -1
	global_inv scope:SCOPE_SE
	s_and_saveexec_b32 s30, vcc_lo
	s_cbranch_execnz .LBB1360_880
; %bb.816:                              ;   in Loop: Header=BB1360_687 Depth=2
	s_wait_alu 0xfffe
	s_or_b32 exec_lo, exec_lo, s30
	s_and_saveexec_b32 s30, s15
	s_cbranch_execnz .LBB1360_881
.LBB1360_817:                           ;   in Loop: Header=BB1360_687 Depth=2
	s_wait_alu 0xfffe
	s_or_b32 exec_lo, exec_lo, s30
	s_and_saveexec_b32 s15, s16
	s_cbranch_execnz .LBB1360_882
.LBB1360_818:                           ;   in Loop: Header=BB1360_687 Depth=2
	s_wait_alu 0xfffe
	s_or_b32 exec_lo, exec_lo, s15
	s_and_saveexec_b32 s15, s17
	s_cbranch_execnz .LBB1360_883
.LBB1360_819:                           ;   in Loop: Header=BB1360_687 Depth=2
	s_wait_alu 0xfffe
	s_or_b32 exec_lo, exec_lo, s15
	s_and_saveexec_b32 s15, s18
	s_cbranch_execnz .LBB1360_884
.LBB1360_820:                           ;   in Loop: Header=BB1360_687 Depth=2
	s_wait_alu 0xfffe
	s_or_b32 exec_lo, exec_lo, s15
	s_and_saveexec_b32 s15, s19
	s_cbranch_execnz .LBB1360_885
.LBB1360_821:                           ;   in Loop: Header=BB1360_687 Depth=2
	s_wait_alu 0xfffe
	s_or_b32 exec_lo, exec_lo, s15
	s_and_saveexec_b32 s15, s20
	s_cbranch_execnz .LBB1360_886
.LBB1360_822:                           ;   in Loop: Header=BB1360_687 Depth=2
	s_wait_alu 0xfffe
	s_or_b32 exec_lo, exec_lo, s15
	s_and_saveexec_b32 s15, s21
	s_cbranch_execnz .LBB1360_887
.LBB1360_823:                           ;   in Loop: Header=BB1360_687 Depth=2
	s_wait_alu 0xfffe
	s_or_b32 exec_lo, exec_lo, s15
	s_and_saveexec_b32 s15, s22
	s_cbranch_execnz .LBB1360_888
.LBB1360_824:                           ;   in Loop: Header=BB1360_687 Depth=2
	s_wait_alu 0xfffe
	s_or_b32 exec_lo, exec_lo, s15
	s_and_saveexec_b32 s15, s23
	s_cbranch_execnz .LBB1360_889
.LBB1360_825:                           ;   in Loop: Header=BB1360_687 Depth=2
	s_wait_alu 0xfffe
	s_or_b32 exec_lo, exec_lo, s15
	s_and_saveexec_b32 s15, s24
	s_cbranch_execnz .LBB1360_890
.LBB1360_826:                           ;   in Loop: Header=BB1360_687 Depth=2
	s_wait_alu 0xfffe
	s_or_b32 exec_lo, exec_lo, s15
	s_and_saveexec_b32 s15, s25
	s_cbranch_execnz .LBB1360_891
.LBB1360_827:                           ;   in Loop: Header=BB1360_687 Depth=2
	s_wait_alu 0xfffe
	s_or_b32 exec_lo, exec_lo, s15
	s_and_saveexec_b32 s15, s26
	s_cbranch_execnz .LBB1360_892
.LBB1360_828:                           ;   in Loop: Header=BB1360_687 Depth=2
	s_wait_alu 0xfffe
	s_or_b32 exec_lo, exec_lo, s15
	s_and_saveexec_b32 s15, s27
	s_cbranch_execnz .LBB1360_893
.LBB1360_829:                           ;   in Loop: Header=BB1360_687 Depth=2
	s_wait_alu 0xfffe
	s_or_b32 exec_lo, exec_lo, s15
	s_and_saveexec_b32 s15, s28
	s_cbranch_execnz .LBB1360_894
.LBB1360_830:                           ;   in Loop: Header=BB1360_687 Depth=2
	s_wait_alu 0xfffe
	s_or_b32 exec_lo, exec_lo, s15
	s_and_saveexec_b32 s15, s29
	s_cbranch_execz .LBB1360_832
.LBB1360_831:                           ;   in Loop: Header=BB1360_687 Depth=2
	v_lshlrev_b32_e32 v2, 2, v119
	v_add_nc_u32_e32 v36, v70, v44
	ds_load_b32 v2, v2
	ds_load_b64 v[36:37], v36 offset:31744
	s_wait_dscnt 0x1
	v_add_nc_u32_e32 v2, v2, v61
	s_delay_alu instid0(VALU_DEP_1) | instskip(NEXT) | instid1(VALU_DEP_1)
	v_lshlrev_b64_e32 v[39:40], 3, v[2:3]
	v_add_co_u32 v39, vcc_lo, s44, v39
	s_wait_alu 0xfffd
	s_delay_alu instid0(VALU_DEP_2)
	v_add_co_ci_u32_e64 v40, null, s45, v40, vcc_lo
	s_wait_dscnt 0x0
	global_store_b64 v[39:40], v[36:37], off
.LBB1360_832:                           ;   in Loop: Header=BB1360_687 Depth=2
	s_wait_alu 0xfffe
	s_or_b32 exec_lo, exec_lo, s15
	s_wait_loadcnt 0x0
	s_wait_storecnt 0x0
	s_barrier_signal -1
	s_barrier_wait -1
	global_inv scope:SCOPE_SE
	s_and_saveexec_b32 s15, s2
	s_cbranch_execz .LBB1360_686
; %bb.833:                              ;   in Loop: Header=BB1360_687 Depth=2
	ds_load_b32 v2, v44
	s_wait_dscnt 0x0
	v_add_nc_u32_e32 v2, v2, v38
	ds_store_b32 v44, v2
	s_branch .LBB1360_686
.LBB1360_834:                           ;   in Loop: Header=BB1360_687 Depth=2
	ds_load_b32 v136, v70 offset:1024
	s_wait_dscnt 0x0
	v_cmp_ne_u32_e64 s15, 0x80000000, v136
	s_wait_alu 0xf1ff
	s_delay_alu instid0(VALU_DEP_1) | instskip(SKIP_1) | instid1(VALU_DEP_2)
	v_cndmask_b32_e64 v2, 0x7fffffff, v136, s15
	v_cmp_gt_i32_e64 s15, 0, v136
	v_lshrrev_b32_e32 v2, s49, v2
	s_wait_alu 0xf1ff
	s_delay_alu instid0(VALU_DEP_2) | instskip(NEXT) | instid1(VALU_DEP_2)
	v_cndmask_b32_e64 v143, 0x7fffffff, 0, s15
	v_and_b32_e32 v2, s48, v2
	s_delay_alu instid0(VALU_DEP_1) | instskip(SKIP_3) | instid1(VALU_DEP_1)
	v_lshlrev_b32_e32 v2, 2, v2
	ds_load_b32 v2, v2
	s_wait_dscnt 0x0
	v_add_nc_u32_e32 v2, v2, v1
	v_lshlrev_b64_e32 v[36:37], 2, v[2:3]
	v_xor_b32_e32 v2, v143, v136
	s_delay_alu instid0(VALU_DEP_2) | instskip(SKIP_1) | instid1(VALU_DEP_3)
	v_add_co_u32 v36, s15, s38, v36
	s_wait_alu 0xf1ff
	v_add_co_ci_u32_e64 v37, null, s39, v37, s15
	global_store_b32 v[36:37], v2, off
	s_wait_alu 0xfffe
	s_or_b32 exec_lo, exec_lo, s16
	v_cmp_lt_u32_e64 s15, v45, v135
	s_and_saveexec_b32 s17, s15
	s_cbranch_execz .LBB1360_767
.LBB1360_835:                           ;   in Loop: Header=BB1360_687 Depth=2
	ds_load_b32 v136, v70 offset:2048
	s_wait_dscnt 0x0
	v_cmp_ne_u32_e64 s16, 0x80000000, v136
	s_wait_alu 0xf1ff
	s_delay_alu instid0(VALU_DEP_1) | instskip(SKIP_1) | instid1(VALU_DEP_2)
	v_cndmask_b32_e64 v2, 0x7fffffff, v136, s16
	v_cmp_gt_i32_e64 s16, 0, v136
	v_lshrrev_b32_e32 v2, s49, v2
	s_wait_alu 0xf1ff
	s_delay_alu instid0(VALU_DEP_2) | instskip(NEXT) | instid1(VALU_DEP_2)
	v_cndmask_b32_e64 v143, 0x7fffffff, 0, s16
	v_and_b32_e32 v2, s48, v2
	s_delay_alu instid0(VALU_DEP_1) | instskip(SKIP_3) | instid1(VALU_DEP_1)
	v_lshlrev_b32_e32 v2, 2, v2
	ds_load_b32 v2, v2
	s_wait_dscnt 0x0
	v_add_nc_u32_e32 v2, v2, v45
	v_lshlrev_b64_e32 v[36:37], 2, v[2:3]
	v_xor_b32_e32 v2, v143, v136
	s_delay_alu instid0(VALU_DEP_2) | instskip(SKIP_1) | instid1(VALU_DEP_3)
	v_add_co_u32 v36, s16, s38, v36
	s_wait_alu 0xf1ff
	v_add_co_ci_u32_e64 v37, null, s39, v37, s16
	global_store_b32 v[36:37], v2, off
	s_wait_alu 0xfffe
	s_or_b32 exec_lo, exec_lo, s17
	v_cmp_lt_u32_e64 s16, v46, v135
	s_and_saveexec_b32 s18, s16
	s_cbranch_execz .LBB1360_768
.LBB1360_836:                           ;   in Loop: Header=BB1360_687 Depth=2
	ds_load_b32 v136, v70 offset:3072
	s_wait_dscnt 0x0
	v_cmp_ne_u32_e64 s17, 0x80000000, v136
	s_wait_alu 0xf1ff
	s_delay_alu instid0(VALU_DEP_1) | instskip(SKIP_1) | instid1(VALU_DEP_2)
	v_cndmask_b32_e64 v2, 0x7fffffff, v136, s17
	v_cmp_gt_i32_e64 s17, 0, v136
	v_lshrrev_b32_e32 v2, s49, v2
	s_wait_alu 0xf1ff
	s_delay_alu instid0(VALU_DEP_2) | instskip(NEXT) | instid1(VALU_DEP_2)
	v_cndmask_b32_e64 v143, 0x7fffffff, 0, s17
	v_and_b32_e32 v2, s48, v2
	s_delay_alu instid0(VALU_DEP_1) | instskip(SKIP_3) | instid1(VALU_DEP_1)
	v_lshlrev_b32_e32 v2, 2, v2
	ds_load_b32 v2, v2
	s_wait_dscnt 0x0
	v_add_nc_u32_e32 v2, v2, v46
	v_lshlrev_b64_e32 v[36:37], 2, v[2:3]
	v_xor_b32_e32 v2, v143, v136
	s_delay_alu instid0(VALU_DEP_2) | instskip(SKIP_1) | instid1(VALU_DEP_3)
	v_add_co_u32 v36, s17, s38, v36
	s_wait_alu 0xf1ff
	v_add_co_ci_u32_e64 v37, null, s39, v37, s17
	global_store_b32 v[36:37], v2, off
	s_wait_alu 0xfffe
	s_or_b32 exec_lo, exec_lo, s18
	v_cmp_lt_u32_e64 s17, v47, v135
	s_and_saveexec_b32 s19, s17
	s_cbranch_execz .LBB1360_769
.LBB1360_837:                           ;   in Loop: Header=BB1360_687 Depth=2
	ds_load_b32 v136, v70 offset:4096
	s_wait_dscnt 0x0
	v_cmp_ne_u32_e64 s18, 0x80000000, v136
	s_wait_alu 0xf1ff
	s_delay_alu instid0(VALU_DEP_1) | instskip(SKIP_1) | instid1(VALU_DEP_2)
	v_cndmask_b32_e64 v2, 0x7fffffff, v136, s18
	v_cmp_gt_i32_e64 s18, 0, v136
	v_lshrrev_b32_e32 v2, s49, v2
	s_wait_alu 0xf1ff
	s_delay_alu instid0(VALU_DEP_2) | instskip(NEXT) | instid1(VALU_DEP_2)
	v_cndmask_b32_e64 v143, 0x7fffffff, 0, s18
	v_and_b32_e32 v2, s48, v2
	s_delay_alu instid0(VALU_DEP_1) | instskip(SKIP_3) | instid1(VALU_DEP_1)
	v_lshlrev_b32_e32 v2, 2, v2
	ds_load_b32 v2, v2
	s_wait_dscnt 0x0
	v_add_nc_u32_e32 v2, v2, v47
	v_lshlrev_b64_e32 v[36:37], 2, v[2:3]
	v_xor_b32_e32 v2, v143, v136
	s_delay_alu instid0(VALU_DEP_2) | instskip(SKIP_1) | instid1(VALU_DEP_3)
	v_add_co_u32 v36, s18, s38, v36
	s_wait_alu 0xf1ff
	v_add_co_ci_u32_e64 v37, null, s39, v37, s18
	global_store_b32 v[36:37], v2, off
	s_wait_alu 0xfffe
	s_or_b32 exec_lo, exec_lo, s19
	v_cmp_lt_u32_e64 s18, v50, v135
	s_and_saveexec_b32 s20, s18
	s_cbranch_execz .LBB1360_770
.LBB1360_838:                           ;   in Loop: Header=BB1360_687 Depth=2
	ds_load_b32 v136, v70 offset:5120
	s_wait_dscnt 0x0
	v_cmp_ne_u32_e64 s19, 0x80000000, v136
	s_wait_alu 0xf1ff
	s_delay_alu instid0(VALU_DEP_1) | instskip(SKIP_1) | instid1(VALU_DEP_2)
	v_cndmask_b32_e64 v2, 0x7fffffff, v136, s19
	v_cmp_gt_i32_e64 s19, 0, v136
	v_lshrrev_b32_e32 v2, s49, v2
	s_wait_alu 0xf1ff
	s_delay_alu instid0(VALU_DEP_2) | instskip(NEXT) | instid1(VALU_DEP_2)
	v_cndmask_b32_e64 v143, 0x7fffffff, 0, s19
	v_and_b32_e32 v2, s48, v2
	s_delay_alu instid0(VALU_DEP_1) | instskip(SKIP_3) | instid1(VALU_DEP_1)
	v_lshlrev_b32_e32 v2, 2, v2
	ds_load_b32 v2, v2
	s_wait_dscnt 0x0
	v_add_nc_u32_e32 v2, v2, v50
	v_lshlrev_b64_e32 v[36:37], 2, v[2:3]
	v_xor_b32_e32 v2, v143, v136
	s_delay_alu instid0(VALU_DEP_2) | instskip(SKIP_1) | instid1(VALU_DEP_3)
	v_add_co_u32 v36, s19, s38, v36
	s_wait_alu 0xf1ff
	v_add_co_ci_u32_e64 v37, null, s39, v37, s19
	global_store_b32 v[36:37], v2, off
	s_wait_alu 0xfffe
	s_or_b32 exec_lo, exec_lo, s20
	v_cmp_lt_u32_e64 s19, v51, v135
	s_and_saveexec_b32 s21, s19
	s_cbranch_execz .LBB1360_771
.LBB1360_839:                           ;   in Loop: Header=BB1360_687 Depth=2
	ds_load_b32 v136, v70 offset:6144
	s_wait_dscnt 0x0
	v_cmp_ne_u32_e64 s20, 0x80000000, v136
	s_wait_alu 0xf1ff
	s_delay_alu instid0(VALU_DEP_1) | instskip(SKIP_1) | instid1(VALU_DEP_2)
	v_cndmask_b32_e64 v2, 0x7fffffff, v136, s20
	v_cmp_gt_i32_e64 s20, 0, v136
	v_lshrrev_b32_e32 v2, s49, v2
	s_wait_alu 0xf1ff
	s_delay_alu instid0(VALU_DEP_2) | instskip(NEXT) | instid1(VALU_DEP_2)
	v_cndmask_b32_e64 v143, 0x7fffffff, 0, s20
	v_and_b32_e32 v2, s48, v2
	s_delay_alu instid0(VALU_DEP_1) | instskip(SKIP_3) | instid1(VALU_DEP_1)
	v_lshlrev_b32_e32 v2, 2, v2
	ds_load_b32 v2, v2
	s_wait_dscnt 0x0
	v_add_nc_u32_e32 v2, v2, v51
	v_lshlrev_b64_e32 v[36:37], 2, v[2:3]
	v_xor_b32_e32 v2, v143, v136
	s_delay_alu instid0(VALU_DEP_2) | instskip(SKIP_1) | instid1(VALU_DEP_3)
	v_add_co_u32 v36, s20, s38, v36
	s_wait_alu 0xf1ff
	v_add_co_ci_u32_e64 v37, null, s39, v37, s20
	global_store_b32 v[36:37], v2, off
	s_wait_alu 0xfffe
	s_or_b32 exec_lo, exec_lo, s21
	v_cmp_lt_u32_e64 s20, v52, v135
	s_and_saveexec_b32 s22, s20
	s_cbranch_execz .LBB1360_772
.LBB1360_840:                           ;   in Loop: Header=BB1360_687 Depth=2
	ds_load_b32 v136, v70 offset:7168
	s_wait_dscnt 0x0
	v_cmp_ne_u32_e64 s21, 0x80000000, v136
	s_wait_alu 0xf1ff
	s_delay_alu instid0(VALU_DEP_1) | instskip(SKIP_1) | instid1(VALU_DEP_2)
	v_cndmask_b32_e64 v2, 0x7fffffff, v136, s21
	v_cmp_gt_i32_e64 s21, 0, v136
	v_lshrrev_b32_e32 v2, s49, v2
	s_wait_alu 0xf1ff
	s_delay_alu instid0(VALU_DEP_2) | instskip(NEXT) | instid1(VALU_DEP_2)
	v_cndmask_b32_e64 v143, 0x7fffffff, 0, s21
	v_and_b32_e32 v2, s48, v2
	s_delay_alu instid0(VALU_DEP_1) | instskip(SKIP_3) | instid1(VALU_DEP_1)
	v_lshlrev_b32_e32 v2, 2, v2
	ds_load_b32 v2, v2
	s_wait_dscnt 0x0
	v_add_nc_u32_e32 v2, v2, v52
	v_lshlrev_b64_e32 v[36:37], 2, v[2:3]
	v_xor_b32_e32 v2, v143, v136
	s_delay_alu instid0(VALU_DEP_2) | instskip(SKIP_1) | instid1(VALU_DEP_3)
	v_add_co_u32 v36, s21, s38, v36
	s_wait_alu 0xf1ff
	v_add_co_ci_u32_e64 v37, null, s39, v37, s21
	global_store_b32 v[36:37], v2, off
	s_wait_alu 0xfffe
	s_or_b32 exec_lo, exec_lo, s22
	v_cmp_lt_u32_e64 s21, v53, v135
	s_and_saveexec_b32 s23, s21
	s_cbranch_execz .LBB1360_773
.LBB1360_841:                           ;   in Loop: Header=BB1360_687 Depth=2
	ds_load_b32 v136, v70 offset:8192
	s_wait_dscnt 0x0
	v_cmp_ne_u32_e64 s22, 0x80000000, v136
	s_wait_alu 0xf1ff
	s_delay_alu instid0(VALU_DEP_1) | instskip(SKIP_1) | instid1(VALU_DEP_2)
	v_cndmask_b32_e64 v2, 0x7fffffff, v136, s22
	v_cmp_gt_i32_e64 s22, 0, v136
	v_lshrrev_b32_e32 v2, s49, v2
	s_wait_alu 0xf1ff
	s_delay_alu instid0(VALU_DEP_2) | instskip(NEXT) | instid1(VALU_DEP_2)
	v_cndmask_b32_e64 v143, 0x7fffffff, 0, s22
	v_and_b32_e32 v2, s48, v2
	s_delay_alu instid0(VALU_DEP_1) | instskip(SKIP_3) | instid1(VALU_DEP_1)
	v_lshlrev_b32_e32 v2, 2, v2
	ds_load_b32 v2, v2
	s_wait_dscnt 0x0
	v_add_nc_u32_e32 v2, v2, v53
	v_lshlrev_b64_e32 v[36:37], 2, v[2:3]
	v_xor_b32_e32 v2, v143, v136
	s_delay_alu instid0(VALU_DEP_2) | instskip(SKIP_1) | instid1(VALU_DEP_3)
	v_add_co_u32 v36, s22, s38, v36
	s_wait_alu 0xf1ff
	v_add_co_ci_u32_e64 v37, null, s39, v37, s22
	global_store_b32 v[36:37], v2, off
	s_wait_alu 0xfffe
	s_or_b32 exec_lo, exec_lo, s23
	v_cmp_lt_u32_e64 s22, v54, v135
	s_and_saveexec_b32 s24, s22
	s_cbranch_execz .LBB1360_774
.LBB1360_842:                           ;   in Loop: Header=BB1360_687 Depth=2
	ds_load_b32 v136, v70 offset:9216
	s_wait_dscnt 0x0
	v_cmp_ne_u32_e64 s23, 0x80000000, v136
	s_wait_alu 0xf1ff
	s_delay_alu instid0(VALU_DEP_1) | instskip(SKIP_1) | instid1(VALU_DEP_2)
	v_cndmask_b32_e64 v2, 0x7fffffff, v136, s23
	v_cmp_gt_i32_e64 s23, 0, v136
	v_lshrrev_b32_e32 v2, s49, v2
	s_wait_alu 0xf1ff
	s_delay_alu instid0(VALU_DEP_2) | instskip(NEXT) | instid1(VALU_DEP_2)
	v_cndmask_b32_e64 v143, 0x7fffffff, 0, s23
	v_and_b32_e32 v2, s48, v2
	s_delay_alu instid0(VALU_DEP_1) | instskip(SKIP_3) | instid1(VALU_DEP_1)
	v_lshlrev_b32_e32 v2, 2, v2
	ds_load_b32 v2, v2
	s_wait_dscnt 0x0
	v_add_nc_u32_e32 v2, v2, v54
	v_lshlrev_b64_e32 v[36:37], 2, v[2:3]
	v_xor_b32_e32 v2, v143, v136
	s_delay_alu instid0(VALU_DEP_2) | instskip(SKIP_1) | instid1(VALU_DEP_3)
	v_add_co_u32 v36, s23, s38, v36
	s_wait_alu 0xf1ff
	v_add_co_ci_u32_e64 v37, null, s39, v37, s23
	global_store_b32 v[36:37], v2, off
	s_wait_alu 0xfffe
	s_or_b32 exec_lo, exec_lo, s24
	v_cmp_lt_u32_e64 s23, v55, v135
	s_and_saveexec_b32 s25, s23
	s_cbranch_execz .LBB1360_775
.LBB1360_843:                           ;   in Loop: Header=BB1360_687 Depth=2
	ds_load_b32 v136, v70 offset:10240
	s_wait_dscnt 0x0
	v_cmp_ne_u32_e64 s24, 0x80000000, v136
	s_wait_alu 0xf1ff
	s_delay_alu instid0(VALU_DEP_1) | instskip(SKIP_1) | instid1(VALU_DEP_2)
	v_cndmask_b32_e64 v2, 0x7fffffff, v136, s24
	v_cmp_gt_i32_e64 s24, 0, v136
	v_lshrrev_b32_e32 v2, s49, v2
	s_wait_alu 0xf1ff
	s_delay_alu instid0(VALU_DEP_2) | instskip(NEXT) | instid1(VALU_DEP_2)
	v_cndmask_b32_e64 v143, 0x7fffffff, 0, s24
	v_and_b32_e32 v2, s48, v2
	s_delay_alu instid0(VALU_DEP_1) | instskip(SKIP_3) | instid1(VALU_DEP_1)
	v_lshlrev_b32_e32 v2, 2, v2
	ds_load_b32 v2, v2
	s_wait_dscnt 0x0
	v_add_nc_u32_e32 v2, v2, v55
	v_lshlrev_b64_e32 v[36:37], 2, v[2:3]
	v_xor_b32_e32 v2, v143, v136
	s_delay_alu instid0(VALU_DEP_2) | instskip(SKIP_1) | instid1(VALU_DEP_3)
	v_add_co_u32 v36, s24, s38, v36
	s_wait_alu 0xf1ff
	v_add_co_ci_u32_e64 v37, null, s39, v37, s24
	global_store_b32 v[36:37], v2, off
	s_wait_alu 0xfffe
	s_or_b32 exec_lo, exec_lo, s25
	v_cmp_lt_u32_e64 s24, v56, v135
	s_and_saveexec_b32 s26, s24
	s_cbranch_execz .LBB1360_776
.LBB1360_844:                           ;   in Loop: Header=BB1360_687 Depth=2
	ds_load_b32 v136, v70 offset:11264
	s_wait_dscnt 0x0
	v_cmp_ne_u32_e64 s25, 0x80000000, v136
	s_wait_alu 0xf1ff
	s_delay_alu instid0(VALU_DEP_1) | instskip(SKIP_1) | instid1(VALU_DEP_2)
	v_cndmask_b32_e64 v2, 0x7fffffff, v136, s25
	v_cmp_gt_i32_e64 s25, 0, v136
	v_lshrrev_b32_e32 v2, s49, v2
	s_wait_alu 0xf1ff
	s_delay_alu instid0(VALU_DEP_2) | instskip(NEXT) | instid1(VALU_DEP_2)
	v_cndmask_b32_e64 v143, 0x7fffffff, 0, s25
	v_and_b32_e32 v2, s48, v2
	s_delay_alu instid0(VALU_DEP_1) | instskip(SKIP_3) | instid1(VALU_DEP_1)
	v_lshlrev_b32_e32 v2, 2, v2
	ds_load_b32 v2, v2
	s_wait_dscnt 0x0
	v_add_nc_u32_e32 v2, v2, v56
	v_lshlrev_b64_e32 v[36:37], 2, v[2:3]
	v_xor_b32_e32 v2, v143, v136
	s_delay_alu instid0(VALU_DEP_2) | instskip(SKIP_1) | instid1(VALU_DEP_3)
	v_add_co_u32 v36, s25, s38, v36
	s_wait_alu 0xf1ff
	v_add_co_ci_u32_e64 v37, null, s39, v37, s25
	global_store_b32 v[36:37], v2, off
	s_wait_alu 0xfffe
	s_or_b32 exec_lo, exec_lo, s26
	v_cmp_lt_u32_e64 s25, v57, v135
	s_and_saveexec_b32 s27, s25
	s_cbranch_execz .LBB1360_777
.LBB1360_845:                           ;   in Loop: Header=BB1360_687 Depth=2
	ds_load_b32 v136, v70 offset:12288
	s_wait_dscnt 0x0
	v_cmp_ne_u32_e64 s26, 0x80000000, v136
	s_wait_alu 0xf1ff
	s_delay_alu instid0(VALU_DEP_1) | instskip(SKIP_1) | instid1(VALU_DEP_2)
	v_cndmask_b32_e64 v2, 0x7fffffff, v136, s26
	v_cmp_gt_i32_e64 s26, 0, v136
	v_lshrrev_b32_e32 v2, s49, v2
	s_wait_alu 0xf1ff
	s_delay_alu instid0(VALU_DEP_2) | instskip(NEXT) | instid1(VALU_DEP_2)
	v_cndmask_b32_e64 v143, 0x7fffffff, 0, s26
	v_and_b32_e32 v2, s48, v2
	s_delay_alu instid0(VALU_DEP_1) | instskip(SKIP_3) | instid1(VALU_DEP_1)
	v_lshlrev_b32_e32 v2, 2, v2
	ds_load_b32 v2, v2
	s_wait_dscnt 0x0
	v_add_nc_u32_e32 v2, v2, v57
	v_lshlrev_b64_e32 v[36:37], 2, v[2:3]
	v_xor_b32_e32 v2, v143, v136
	s_delay_alu instid0(VALU_DEP_2) | instskip(SKIP_1) | instid1(VALU_DEP_3)
	v_add_co_u32 v36, s26, s38, v36
	s_wait_alu 0xf1ff
	v_add_co_ci_u32_e64 v37, null, s39, v37, s26
	global_store_b32 v[36:37], v2, off
	s_wait_alu 0xfffe
	s_or_b32 exec_lo, exec_lo, s27
	v_cmp_lt_u32_e64 s26, v58, v135
	s_and_saveexec_b32 s28, s26
	s_cbranch_execz .LBB1360_778
.LBB1360_846:                           ;   in Loop: Header=BB1360_687 Depth=2
	ds_load_b32 v136, v70 offset:13312
	s_wait_dscnt 0x0
	v_cmp_ne_u32_e64 s27, 0x80000000, v136
	s_wait_alu 0xf1ff
	s_delay_alu instid0(VALU_DEP_1) | instskip(SKIP_1) | instid1(VALU_DEP_2)
	v_cndmask_b32_e64 v2, 0x7fffffff, v136, s27
	v_cmp_gt_i32_e64 s27, 0, v136
	v_lshrrev_b32_e32 v2, s49, v2
	s_wait_alu 0xf1ff
	s_delay_alu instid0(VALU_DEP_2) | instskip(NEXT) | instid1(VALU_DEP_2)
	v_cndmask_b32_e64 v143, 0x7fffffff, 0, s27
	v_and_b32_e32 v2, s48, v2
	s_delay_alu instid0(VALU_DEP_1) | instskip(SKIP_3) | instid1(VALU_DEP_1)
	v_lshlrev_b32_e32 v2, 2, v2
	ds_load_b32 v2, v2
	s_wait_dscnt 0x0
	v_add_nc_u32_e32 v2, v2, v58
	v_lshlrev_b64_e32 v[36:37], 2, v[2:3]
	v_xor_b32_e32 v2, v143, v136
	s_delay_alu instid0(VALU_DEP_2) | instskip(SKIP_1) | instid1(VALU_DEP_3)
	v_add_co_u32 v36, s27, s38, v36
	s_wait_alu 0xf1ff
	v_add_co_ci_u32_e64 v37, null, s39, v37, s27
	global_store_b32 v[36:37], v2, off
	s_wait_alu 0xfffe
	s_or_b32 exec_lo, exec_lo, s28
	v_cmp_lt_u32_e64 s27, v59, v135
	s_and_saveexec_b32 s29, s27
	s_cbranch_execz .LBB1360_779
.LBB1360_847:                           ;   in Loop: Header=BB1360_687 Depth=2
	ds_load_b32 v136, v70 offset:14336
	s_wait_dscnt 0x0
	v_cmp_ne_u32_e64 s28, 0x80000000, v136
	s_wait_alu 0xf1ff
	s_delay_alu instid0(VALU_DEP_1) | instskip(SKIP_1) | instid1(VALU_DEP_2)
	v_cndmask_b32_e64 v2, 0x7fffffff, v136, s28
	v_cmp_gt_i32_e64 s28, 0, v136
	v_lshrrev_b32_e32 v2, s49, v2
	s_wait_alu 0xf1ff
	s_delay_alu instid0(VALU_DEP_2) | instskip(NEXT) | instid1(VALU_DEP_2)
	v_cndmask_b32_e64 v143, 0x7fffffff, 0, s28
	v_and_b32_e32 v2, s48, v2
	s_delay_alu instid0(VALU_DEP_1) | instskip(SKIP_3) | instid1(VALU_DEP_1)
	v_lshlrev_b32_e32 v2, 2, v2
	ds_load_b32 v2, v2
	s_wait_dscnt 0x0
	v_add_nc_u32_e32 v2, v2, v59
	v_lshlrev_b64_e32 v[36:37], 2, v[2:3]
	v_xor_b32_e32 v2, v143, v136
	s_delay_alu instid0(VALU_DEP_2) | instskip(SKIP_1) | instid1(VALU_DEP_3)
	v_add_co_u32 v36, s28, s38, v36
	s_wait_alu 0xf1ff
	v_add_co_ci_u32_e64 v37, null, s39, v37, s28
	global_store_b32 v[36:37], v2, off
	s_wait_alu 0xfffe
	s_or_b32 exec_lo, exec_lo, s29
	v_cmp_lt_u32_e64 s28, v60, v135
	s_and_saveexec_b32 s30, s28
	s_cbranch_execz .LBB1360_780
.LBB1360_848:                           ;   in Loop: Header=BB1360_687 Depth=2
	ds_load_b32 v136, v70 offset:15360
	s_wait_dscnt 0x0
	v_cmp_ne_u32_e64 s29, 0x80000000, v136
	s_wait_alu 0xf1ff
	s_delay_alu instid0(VALU_DEP_1) | instskip(SKIP_1) | instid1(VALU_DEP_2)
	v_cndmask_b32_e64 v2, 0x7fffffff, v136, s29
	v_cmp_gt_i32_e64 s29, 0, v136
	v_lshrrev_b32_e32 v2, s49, v2
	s_wait_alu 0xf1ff
	s_delay_alu instid0(VALU_DEP_2) | instskip(NEXT) | instid1(VALU_DEP_2)
	v_cndmask_b32_e64 v143, 0x7fffffff, 0, s29
	v_and_b32_e32 v2, s48, v2
	s_delay_alu instid0(VALU_DEP_1) | instskip(SKIP_3) | instid1(VALU_DEP_1)
	v_lshlrev_b32_e32 v2, 2, v2
	ds_load_b32 v2, v2
	s_wait_dscnt 0x0
	v_add_nc_u32_e32 v2, v2, v60
	v_lshlrev_b64_e32 v[36:37], 2, v[2:3]
	v_xor_b32_e32 v2, v143, v136
	s_delay_alu instid0(VALU_DEP_2) | instskip(SKIP_1) | instid1(VALU_DEP_3)
	v_add_co_u32 v36, s29, s38, v36
	s_wait_alu 0xf1ff
	v_add_co_ci_u32_e64 v37, null, s39, v37, s29
	global_store_b32 v[36:37], v2, off
	s_wait_alu 0xfffe
	s_or_b32 exec_lo, exec_lo, s30
	v_cmp_lt_u32_e64 s29, v61, v135
	s_and_saveexec_b32 s56, s29
	s_cbranch_execnz .LBB1360_781
	s_branch .LBB1360_782
.LBB1360_849:                           ;   in Loop: Header=BB1360_687 Depth=2
	global_load_b64 v[34:35], v[36:37], off
	s_wait_alu 0xfffe
	s_or_b32 exec_lo, exec_lo, s30
	s_delay_alu instid0(SALU_CYCLE_1)
	s_mov_b32 s42, exec_lo
	v_cmpx_lt_u32_e64 v92, v135
	s_cbranch_execz .LBB1360_784
.LBB1360_850:                           ;   in Loop: Header=BB1360_687 Depth=2
	global_load_b64 v[32:33], v[36:37], off offset:256
	s_wait_alu 0xfffe
	s_or_b32 exec_lo, exec_lo, s42
	s_delay_alu instid0(SALU_CYCLE_1)
	s_mov_b32 s42, exec_lo
	v_cmpx_lt_u32_e64 v93, v135
	s_cbranch_execz .LBB1360_785
.LBB1360_851:                           ;   in Loop: Header=BB1360_687 Depth=2
	global_load_b64 v[30:31], v[36:37], off offset:512
	s_wait_alu 0xfffe
	s_or_b32 exec_lo, exec_lo, s42
	s_delay_alu instid0(SALU_CYCLE_1)
	s_mov_b32 s42, exec_lo
	v_cmpx_lt_u32_e64 v94, v135
	s_cbranch_execz .LBB1360_786
.LBB1360_852:                           ;   in Loop: Header=BB1360_687 Depth=2
	global_load_b64 v[28:29], v[36:37], off offset:768
	s_wait_alu 0xfffe
	s_or_b32 exec_lo, exec_lo, s42
	s_delay_alu instid0(SALU_CYCLE_1)
	s_mov_b32 s42, exec_lo
	v_cmpx_lt_u32_e64 v95, v135
	s_cbranch_execz .LBB1360_787
.LBB1360_853:                           ;   in Loop: Header=BB1360_687 Depth=2
	global_load_b64 v[26:27], v[36:37], off offset:1024
	s_wait_alu 0xfffe
	s_or_b32 exec_lo, exec_lo, s42
	s_delay_alu instid0(SALU_CYCLE_1)
	s_mov_b32 s42, exec_lo
	v_cmpx_lt_u32_e64 v96, v135
	s_cbranch_execz .LBB1360_788
.LBB1360_854:                           ;   in Loop: Header=BB1360_687 Depth=2
	global_load_b64 v[24:25], v[36:37], off offset:1280
	s_wait_alu 0xfffe
	s_or_b32 exec_lo, exec_lo, s42
	s_delay_alu instid0(SALU_CYCLE_1)
	s_mov_b32 s42, exec_lo
	v_cmpx_lt_u32_e64 v97, v135
	s_cbranch_execz .LBB1360_789
.LBB1360_855:                           ;   in Loop: Header=BB1360_687 Depth=2
	global_load_b64 v[22:23], v[36:37], off offset:1536
	s_wait_alu 0xfffe
	s_or_b32 exec_lo, exec_lo, s42
	s_delay_alu instid0(SALU_CYCLE_1)
	s_mov_b32 s42, exec_lo
	v_cmpx_lt_u32_e64 v98, v135
	s_cbranch_execz .LBB1360_790
.LBB1360_856:                           ;   in Loop: Header=BB1360_687 Depth=2
	global_load_b64 v[20:21], v[36:37], off offset:1792
	s_wait_alu 0xfffe
	s_or_b32 exec_lo, exec_lo, s42
	s_delay_alu instid0(SALU_CYCLE_1)
	s_mov_b32 s42, exec_lo
	v_cmpx_lt_u32_e64 v99, v135
	s_cbranch_execz .LBB1360_791
.LBB1360_857:                           ;   in Loop: Header=BB1360_687 Depth=2
	global_load_b64 v[18:19], v[36:37], off offset:2048
	s_wait_alu 0xfffe
	s_or_b32 exec_lo, exec_lo, s42
	s_delay_alu instid0(SALU_CYCLE_1)
	s_mov_b32 s42, exec_lo
	v_cmpx_lt_u32_e64 v100, v135
	s_cbranch_execz .LBB1360_792
.LBB1360_858:                           ;   in Loop: Header=BB1360_687 Depth=2
	global_load_b64 v[16:17], v[36:37], off offset:2304
	s_wait_alu 0xfffe
	s_or_b32 exec_lo, exec_lo, s42
	s_delay_alu instid0(SALU_CYCLE_1)
	s_mov_b32 s42, exec_lo
	v_cmpx_lt_u32_e64 v101, v135
	s_cbranch_execz .LBB1360_793
.LBB1360_859:                           ;   in Loop: Header=BB1360_687 Depth=2
	global_load_b64 v[14:15], v[36:37], off offset:2560
	s_wait_alu 0xfffe
	s_or_b32 exec_lo, exec_lo, s42
	s_delay_alu instid0(SALU_CYCLE_1)
	s_mov_b32 s42, exec_lo
	v_cmpx_lt_u32_e64 v102, v135
	s_cbranch_execz .LBB1360_794
.LBB1360_860:                           ;   in Loop: Header=BB1360_687 Depth=2
	global_load_b64 v[12:13], v[36:37], off offset:2816
	s_wait_alu 0xfffe
	s_or_b32 exec_lo, exec_lo, s42
	s_delay_alu instid0(SALU_CYCLE_1)
	s_mov_b32 s42, exec_lo
	v_cmpx_lt_u32_e64 v103, v135
	s_cbranch_execz .LBB1360_795
.LBB1360_861:                           ;   in Loop: Header=BB1360_687 Depth=2
	global_load_b64 v[10:11], v[36:37], off offset:3072
	s_wait_alu 0xfffe
	s_or_b32 exec_lo, exec_lo, s42
	s_delay_alu instid0(SALU_CYCLE_1)
	s_mov_b32 s42, exec_lo
	v_cmpx_lt_u32_e64 v104, v135
	s_cbranch_execz .LBB1360_796
.LBB1360_862:                           ;   in Loop: Header=BB1360_687 Depth=2
	global_load_b64 v[8:9], v[36:37], off offset:3328
	s_wait_alu 0xfffe
	s_or_b32 exec_lo, exec_lo, s42
	s_delay_alu instid0(SALU_CYCLE_1)
	s_mov_b32 s42, exec_lo
	v_cmpx_lt_u32_e64 v105, v135
	s_cbranch_execz .LBB1360_797
.LBB1360_863:                           ;   in Loop: Header=BB1360_687 Depth=2
	global_load_b64 v[6:7], v[36:37], off offset:3584
	s_wait_alu 0xfffe
	s_or_b32 exec_lo, exec_lo, s42
	s_delay_alu instid0(SALU_CYCLE_1)
	s_mov_b32 s42, exec_lo
	v_cmpx_lt_u32_e64 v106, v135
	s_cbranch_execz .LBB1360_798
.LBB1360_864:                           ;   in Loop: Header=BB1360_687 Depth=2
	global_load_b64 v[4:5], v[36:37], off offset:3840
	s_wait_alu 0xfffe
	s_or_b32 exec_lo, exec_lo, s42
	s_and_saveexec_b32 s42, vcc_lo
	s_cbranch_execz .LBB1360_799
.LBB1360_865:                           ;   in Loop: Header=BB1360_687 Depth=2
	ds_load_b32 v2, v70 offset:1024
	s_wait_dscnt 0x0
	v_cmp_ne_u32_e64 s30, 0x80000000, v2
	s_wait_alu 0xf1ff
	s_delay_alu instid0(VALU_DEP_1) | instskip(NEXT) | instid1(VALU_DEP_1)
	v_cndmask_b32_e64 v2, 0x7fffffff, v2, s30
	v_lshrrev_b32_e32 v2, s49, v2
	s_delay_alu instid0(VALU_DEP_1)
	v_and_b32_e32 v134, s48, v2
	s_wait_alu 0xfffe
	s_or_b32 exec_lo, exec_lo, s42
	s_and_saveexec_b32 s42, s15
	s_cbranch_execz .LBB1360_800
.LBB1360_866:                           ;   in Loop: Header=BB1360_687 Depth=2
	ds_load_b32 v2, v70 offset:2048
	s_wait_dscnt 0x0
	v_cmp_ne_u32_e64 s30, 0x80000000, v2
	s_wait_alu 0xf1ff
	s_delay_alu instid0(VALU_DEP_1) | instskip(NEXT) | instid1(VALU_DEP_1)
	v_cndmask_b32_e64 v2, 0x7fffffff, v2, s30
	v_lshrrev_b32_e32 v2, s49, v2
	s_delay_alu instid0(VALU_DEP_1)
	v_and_b32_e32 v133, s48, v2
	s_wait_alu 0xfffe
	s_or_b32 exec_lo, exec_lo, s42
	s_and_saveexec_b32 s42, s16
	s_cbranch_execz .LBB1360_801
.LBB1360_867:                           ;   in Loop: Header=BB1360_687 Depth=2
	ds_load_b32 v2, v70 offset:3072
	s_wait_dscnt 0x0
	v_cmp_ne_u32_e64 s30, 0x80000000, v2
	s_wait_alu 0xf1ff
	s_delay_alu instid0(VALU_DEP_1) | instskip(NEXT) | instid1(VALU_DEP_1)
	v_cndmask_b32_e64 v2, 0x7fffffff, v2, s30
	v_lshrrev_b32_e32 v2, s49, v2
	s_delay_alu instid0(VALU_DEP_1)
	v_and_b32_e32 v132, s48, v2
	s_wait_alu 0xfffe
	s_or_b32 exec_lo, exec_lo, s42
	s_and_saveexec_b32 s42, s17
	s_cbranch_execz .LBB1360_802
.LBB1360_868:                           ;   in Loop: Header=BB1360_687 Depth=2
	ds_load_b32 v2, v70 offset:4096
	s_wait_dscnt 0x0
	v_cmp_ne_u32_e64 s30, 0x80000000, v2
	s_wait_alu 0xf1ff
	s_delay_alu instid0(VALU_DEP_1) | instskip(NEXT) | instid1(VALU_DEP_1)
	v_cndmask_b32_e64 v2, 0x7fffffff, v2, s30
	v_lshrrev_b32_e32 v2, s49, v2
	s_delay_alu instid0(VALU_DEP_1)
	v_and_b32_e32 v131, s48, v2
	s_wait_alu 0xfffe
	s_or_b32 exec_lo, exec_lo, s42
	s_and_saveexec_b32 s42, s18
	s_cbranch_execz .LBB1360_803
.LBB1360_869:                           ;   in Loop: Header=BB1360_687 Depth=2
	ds_load_b32 v2, v70 offset:5120
	s_wait_dscnt 0x0
	v_cmp_ne_u32_e64 s30, 0x80000000, v2
	s_wait_alu 0xf1ff
	s_delay_alu instid0(VALU_DEP_1) | instskip(NEXT) | instid1(VALU_DEP_1)
	v_cndmask_b32_e64 v2, 0x7fffffff, v2, s30
	v_lshrrev_b32_e32 v2, s49, v2
	s_delay_alu instid0(VALU_DEP_1)
	v_and_b32_e32 v130, s48, v2
	s_wait_alu 0xfffe
	s_or_b32 exec_lo, exec_lo, s42
	s_and_saveexec_b32 s42, s19
	s_cbranch_execz .LBB1360_804
.LBB1360_870:                           ;   in Loop: Header=BB1360_687 Depth=2
	ds_load_b32 v2, v70 offset:6144
	s_wait_dscnt 0x0
	v_cmp_ne_u32_e64 s30, 0x80000000, v2
	s_wait_alu 0xf1ff
	s_delay_alu instid0(VALU_DEP_1) | instskip(NEXT) | instid1(VALU_DEP_1)
	v_cndmask_b32_e64 v2, 0x7fffffff, v2, s30
	v_lshrrev_b32_e32 v2, s49, v2
	s_delay_alu instid0(VALU_DEP_1)
	v_and_b32_e32 v129, s48, v2
	s_wait_alu 0xfffe
	s_or_b32 exec_lo, exec_lo, s42
	s_and_saveexec_b32 s42, s20
	s_cbranch_execz .LBB1360_805
.LBB1360_871:                           ;   in Loop: Header=BB1360_687 Depth=2
	ds_load_b32 v2, v70 offset:7168
	s_wait_dscnt 0x0
	v_cmp_ne_u32_e64 s30, 0x80000000, v2
	s_wait_alu 0xf1ff
	s_delay_alu instid0(VALU_DEP_1) | instskip(NEXT) | instid1(VALU_DEP_1)
	v_cndmask_b32_e64 v2, 0x7fffffff, v2, s30
	v_lshrrev_b32_e32 v2, s49, v2
	s_delay_alu instid0(VALU_DEP_1)
	v_and_b32_e32 v128, s48, v2
	s_wait_alu 0xfffe
	s_or_b32 exec_lo, exec_lo, s42
	s_and_saveexec_b32 s42, s21
	s_cbranch_execz .LBB1360_806
.LBB1360_872:                           ;   in Loop: Header=BB1360_687 Depth=2
	ds_load_b32 v2, v70 offset:8192
	s_wait_dscnt 0x0
	v_cmp_ne_u32_e64 s30, 0x80000000, v2
	s_wait_alu 0xf1ff
	s_delay_alu instid0(VALU_DEP_1) | instskip(NEXT) | instid1(VALU_DEP_1)
	v_cndmask_b32_e64 v2, 0x7fffffff, v2, s30
	v_lshrrev_b32_e32 v2, s49, v2
	s_delay_alu instid0(VALU_DEP_1)
	v_and_b32_e32 v127, s48, v2
	s_wait_alu 0xfffe
	s_or_b32 exec_lo, exec_lo, s42
	s_and_saveexec_b32 s42, s22
	s_cbranch_execz .LBB1360_807
.LBB1360_873:                           ;   in Loop: Header=BB1360_687 Depth=2
	ds_load_b32 v2, v70 offset:9216
	s_wait_dscnt 0x0
	v_cmp_ne_u32_e64 s30, 0x80000000, v2
	s_wait_alu 0xf1ff
	s_delay_alu instid0(VALU_DEP_1) | instskip(NEXT) | instid1(VALU_DEP_1)
	v_cndmask_b32_e64 v2, 0x7fffffff, v2, s30
	v_lshrrev_b32_e32 v2, s49, v2
	s_delay_alu instid0(VALU_DEP_1)
	v_and_b32_e32 v126, s48, v2
	s_wait_alu 0xfffe
	s_or_b32 exec_lo, exec_lo, s42
	s_and_saveexec_b32 s42, s23
	s_cbranch_execz .LBB1360_808
.LBB1360_874:                           ;   in Loop: Header=BB1360_687 Depth=2
	ds_load_b32 v2, v70 offset:10240
	s_wait_dscnt 0x0
	v_cmp_ne_u32_e64 s30, 0x80000000, v2
	s_wait_alu 0xf1ff
	s_delay_alu instid0(VALU_DEP_1) | instskip(NEXT) | instid1(VALU_DEP_1)
	v_cndmask_b32_e64 v2, 0x7fffffff, v2, s30
	v_lshrrev_b32_e32 v2, s49, v2
	s_delay_alu instid0(VALU_DEP_1)
	v_and_b32_e32 v125, s48, v2
	s_wait_alu 0xfffe
	s_or_b32 exec_lo, exec_lo, s42
	s_and_saveexec_b32 s42, s24
	s_cbranch_execz .LBB1360_809
.LBB1360_875:                           ;   in Loop: Header=BB1360_687 Depth=2
	ds_load_b32 v2, v70 offset:11264
	s_wait_dscnt 0x0
	v_cmp_ne_u32_e64 s30, 0x80000000, v2
	s_wait_alu 0xf1ff
	s_delay_alu instid0(VALU_DEP_1) | instskip(NEXT) | instid1(VALU_DEP_1)
	v_cndmask_b32_e64 v2, 0x7fffffff, v2, s30
	v_lshrrev_b32_e32 v2, s49, v2
	s_delay_alu instid0(VALU_DEP_1)
	v_and_b32_e32 v124, s48, v2
	s_wait_alu 0xfffe
	s_or_b32 exec_lo, exec_lo, s42
	s_and_saveexec_b32 s42, s25
	s_cbranch_execz .LBB1360_810
.LBB1360_876:                           ;   in Loop: Header=BB1360_687 Depth=2
	ds_load_b32 v2, v70 offset:12288
	s_wait_dscnt 0x0
	v_cmp_ne_u32_e64 s30, 0x80000000, v2
	s_wait_alu 0xf1ff
	s_delay_alu instid0(VALU_DEP_1) | instskip(NEXT) | instid1(VALU_DEP_1)
	v_cndmask_b32_e64 v2, 0x7fffffff, v2, s30
	v_lshrrev_b32_e32 v2, s49, v2
	s_delay_alu instid0(VALU_DEP_1)
	v_and_b32_e32 v123, s48, v2
	s_wait_alu 0xfffe
	s_or_b32 exec_lo, exec_lo, s42
	s_and_saveexec_b32 s42, s26
	s_cbranch_execz .LBB1360_811
.LBB1360_877:                           ;   in Loop: Header=BB1360_687 Depth=2
	ds_load_b32 v2, v70 offset:13312
	s_wait_dscnt 0x0
	v_cmp_ne_u32_e64 s30, 0x80000000, v2
	s_wait_alu 0xf1ff
	s_delay_alu instid0(VALU_DEP_1) | instskip(NEXT) | instid1(VALU_DEP_1)
	v_cndmask_b32_e64 v2, 0x7fffffff, v2, s30
	v_lshrrev_b32_e32 v2, s49, v2
	s_delay_alu instid0(VALU_DEP_1)
	v_and_b32_e32 v122, s48, v2
	s_wait_alu 0xfffe
	s_or_b32 exec_lo, exec_lo, s42
	s_and_saveexec_b32 s42, s27
	s_cbranch_execz .LBB1360_812
.LBB1360_878:                           ;   in Loop: Header=BB1360_687 Depth=2
	ds_load_b32 v2, v70 offset:14336
	s_wait_dscnt 0x0
	v_cmp_ne_u32_e64 s30, 0x80000000, v2
	s_wait_alu 0xf1ff
	s_delay_alu instid0(VALU_DEP_1) | instskip(NEXT) | instid1(VALU_DEP_1)
	v_cndmask_b32_e64 v2, 0x7fffffff, v2, s30
	v_lshrrev_b32_e32 v2, s49, v2
	s_delay_alu instid0(VALU_DEP_1)
	v_and_b32_e32 v121, s48, v2
	s_wait_alu 0xfffe
	s_or_b32 exec_lo, exec_lo, s42
	s_and_saveexec_b32 s42, s28
	s_cbranch_execz .LBB1360_813
.LBB1360_879:                           ;   in Loop: Header=BB1360_687 Depth=2
	ds_load_b32 v2, v70 offset:15360
	s_wait_dscnt 0x0
	v_cmp_ne_u32_e64 s30, 0x80000000, v2
	s_wait_alu 0xf1ff
	s_delay_alu instid0(VALU_DEP_1) | instskip(NEXT) | instid1(VALU_DEP_1)
	v_cndmask_b32_e64 v2, 0x7fffffff, v2, s30
	v_lshrrev_b32_e32 v2, s49, v2
	s_delay_alu instid0(VALU_DEP_1)
	v_and_b32_e32 v120, s48, v2
	s_wait_alu 0xfffe
	s_or_b32 exec_lo, exec_lo, s42
	s_and_saveexec_b32 s42, s29
	s_cbranch_execnz .LBB1360_814
	s_branch .LBB1360_815
.LBB1360_880:                           ;   in Loop: Header=BB1360_687 Depth=2
	v_lshlrev_b32_e32 v2, 2, v134
	v_add_nc_u32_e32 v36, v70, v44
	ds_load_b32 v2, v2
	ds_load_b64 v[36:37], v36 offset:1024
	s_wait_dscnt 0x1
	v_add_nc_u32_e32 v2, v2, v1
	s_delay_alu instid0(VALU_DEP_1) | instskip(NEXT) | instid1(VALU_DEP_1)
	v_lshlrev_b64_e32 v[39:40], 3, v[2:3]
	v_add_co_u32 v39, vcc_lo, s44, v39
	s_wait_alu 0xfffd
	s_delay_alu instid0(VALU_DEP_2)
	v_add_co_ci_u32_e64 v40, null, s45, v40, vcc_lo
	s_wait_dscnt 0x0
	global_store_b64 v[39:40], v[36:37], off
	s_wait_alu 0xfffe
	s_or_b32 exec_lo, exec_lo, s30
	s_and_saveexec_b32 s30, s15
	s_cbranch_execz .LBB1360_817
.LBB1360_881:                           ;   in Loop: Header=BB1360_687 Depth=2
	v_lshlrev_b32_e32 v2, 2, v133
	v_add_nc_u32_e32 v36, v70, v44
	ds_load_b32 v2, v2
	ds_load_b64 v[36:37], v36 offset:3072
	s_wait_dscnt 0x1
	v_add_nc_u32_e32 v2, v2, v45
	s_delay_alu instid0(VALU_DEP_1) | instskip(NEXT) | instid1(VALU_DEP_1)
	v_lshlrev_b64_e32 v[39:40], 3, v[2:3]
	v_add_co_u32 v39, vcc_lo, s44, v39
	s_wait_alu 0xfffd
	s_delay_alu instid0(VALU_DEP_2)
	v_add_co_ci_u32_e64 v40, null, s45, v40, vcc_lo
	s_wait_dscnt 0x0
	global_store_b64 v[39:40], v[36:37], off
	s_wait_alu 0xfffe
	s_or_b32 exec_lo, exec_lo, s30
	s_and_saveexec_b32 s15, s16
	s_cbranch_execz .LBB1360_818
.LBB1360_882:                           ;   in Loop: Header=BB1360_687 Depth=2
	v_lshlrev_b32_e32 v2, 2, v132
	v_add_nc_u32_e32 v36, v70, v44
	ds_load_b32 v2, v2
	ds_load_b64 v[36:37], v36 offset:5120
	s_wait_dscnt 0x1
	v_add_nc_u32_e32 v2, v2, v46
	s_delay_alu instid0(VALU_DEP_1) | instskip(NEXT) | instid1(VALU_DEP_1)
	v_lshlrev_b64_e32 v[39:40], 3, v[2:3]
	v_add_co_u32 v39, vcc_lo, s44, v39
	s_wait_alu 0xfffd
	s_delay_alu instid0(VALU_DEP_2)
	v_add_co_ci_u32_e64 v40, null, s45, v40, vcc_lo
	s_wait_dscnt 0x0
	global_store_b64 v[39:40], v[36:37], off
	s_wait_alu 0xfffe
	s_or_b32 exec_lo, exec_lo, s15
	s_and_saveexec_b32 s15, s17
	s_cbranch_execz .LBB1360_819
.LBB1360_883:                           ;   in Loop: Header=BB1360_687 Depth=2
	v_lshlrev_b32_e32 v2, 2, v131
	v_add_nc_u32_e32 v36, v70, v44
	ds_load_b32 v2, v2
	ds_load_b64 v[36:37], v36 offset:7168
	s_wait_dscnt 0x1
	v_add_nc_u32_e32 v2, v2, v47
	s_delay_alu instid0(VALU_DEP_1) | instskip(NEXT) | instid1(VALU_DEP_1)
	v_lshlrev_b64_e32 v[39:40], 3, v[2:3]
	v_add_co_u32 v39, vcc_lo, s44, v39
	s_wait_alu 0xfffd
	s_delay_alu instid0(VALU_DEP_2)
	v_add_co_ci_u32_e64 v40, null, s45, v40, vcc_lo
	s_wait_dscnt 0x0
	global_store_b64 v[39:40], v[36:37], off
	s_wait_alu 0xfffe
	s_or_b32 exec_lo, exec_lo, s15
	s_and_saveexec_b32 s15, s18
	s_cbranch_execz .LBB1360_820
.LBB1360_884:                           ;   in Loop: Header=BB1360_687 Depth=2
	v_lshlrev_b32_e32 v2, 2, v130
	v_add_nc_u32_e32 v36, v70, v44
	ds_load_b32 v2, v2
	ds_load_b64 v[36:37], v36 offset:9216
	s_wait_dscnt 0x1
	v_add_nc_u32_e32 v2, v2, v50
	s_delay_alu instid0(VALU_DEP_1) | instskip(NEXT) | instid1(VALU_DEP_1)
	v_lshlrev_b64_e32 v[39:40], 3, v[2:3]
	v_add_co_u32 v39, vcc_lo, s44, v39
	s_wait_alu 0xfffd
	s_delay_alu instid0(VALU_DEP_2)
	v_add_co_ci_u32_e64 v40, null, s45, v40, vcc_lo
	s_wait_dscnt 0x0
	global_store_b64 v[39:40], v[36:37], off
	s_wait_alu 0xfffe
	s_or_b32 exec_lo, exec_lo, s15
	s_and_saveexec_b32 s15, s19
	s_cbranch_execz .LBB1360_821
.LBB1360_885:                           ;   in Loop: Header=BB1360_687 Depth=2
	v_lshlrev_b32_e32 v2, 2, v129
	v_add_nc_u32_e32 v36, v70, v44
	ds_load_b32 v2, v2
	ds_load_b64 v[36:37], v36 offset:11264
	s_wait_dscnt 0x1
	v_add_nc_u32_e32 v2, v2, v51
	s_delay_alu instid0(VALU_DEP_1) | instskip(NEXT) | instid1(VALU_DEP_1)
	v_lshlrev_b64_e32 v[39:40], 3, v[2:3]
	v_add_co_u32 v39, vcc_lo, s44, v39
	s_wait_alu 0xfffd
	s_delay_alu instid0(VALU_DEP_2)
	v_add_co_ci_u32_e64 v40, null, s45, v40, vcc_lo
	s_wait_dscnt 0x0
	global_store_b64 v[39:40], v[36:37], off
	s_wait_alu 0xfffe
	s_or_b32 exec_lo, exec_lo, s15
	s_and_saveexec_b32 s15, s20
	s_cbranch_execz .LBB1360_822
.LBB1360_886:                           ;   in Loop: Header=BB1360_687 Depth=2
	v_lshlrev_b32_e32 v2, 2, v128
	v_add_nc_u32_e32 v36, v70, v44
	ds_load_b32 v2, v2
	ds_load_b64 v[36:37], v36 offset:13312
	s_wait_dscnt 0x1
	v_add_nc_u32_e32 v2, v2, v52
	s_delay_alu instid0(VALU_DEP_1) | instskip(NEXT) | instid1(VALU_DEP_1)
	v_lshlrev_b64_e32 v[39:40], 3, v[2:3]
	v_add_co_u32 v39, vcc_lo, s44, v39
	s_wait_alu 0xfffd
	s_delay_alu instid0(VALU_DEP_2)
	v_add_co_ci_u32_e64 v40, null, s45, v40, vcc_lo
	s_wait_dscnt 0x0
	global_store_b64 v[39:40], v[36:37], off
	s_wait_alu 0xfffe
	s_or_b32 exec_lo, exec_lo, s15
	s_and_saveexec_b32 s15, s21
	s_cbranch_execz .LBB1360_823
.LBB1360_887:                           ;   in Loop: Header=BB1360_687 Depth=2
	v_lshlrev_b32_e32 v2, 2, v127
	v_add_nc_u32_e32 v36, v70, v44
	ds_load_b32 v2, v2
	ds_load_b64 v[36:37], v36 offset:15360
	s_wait_dscnt 0x1
	v_add_nc_u32_e32 v2, v2, v53
	s_delay_alu instid0(VALU_DEP_1) | instskip(NEXT) | instid1(VALU_DEP_1)
	v_lshlrev_b64_e32 v[39:40], 3, v[2:3]
	v_add_co_u32 v39, vcc_lo, s44, v39
	s_wait_alu 0xfffd
	s_delay_alu instid0(VALU_DEP_2)
	v_add_co_ci_u32_e64 v40, null, s45, v40, vcc_lo
	s_wait_dscnt 0x0
	global_store_b64 v[39:40], v[36:37], off
	s_wait_alu 0xfffe
	s_or_b32 exec_lo, exec_lo, s15
	s_and_saveexec_b32 s15, s22
	s_cbranch_execz .LBB1360_824
.LBB1360_888:                           ;   in Loop: Header=BB1360_687 Depth=2
	v_lshlrev_b32_e32 v2, 2, v126
	v_add_nc_u32_e32 v36, v70, v44
	ds_load_b32 v2, v2
	ds_load_b64 v[36:37], v36 offset:17408
	s_wait_dscnt 0x1
	v_add_nc_u32_e32 v2, v2, v54
	s_delay_alu instid0(VALU_DEP_1) | instskip(NEXT) | instid1(VALU_DEP_1)
	v_lshlrev_b64_e32 v[39:40], 3, v[2:3]
	v_add_co_u32 v39, vcc_lo, s44, v39
	s_wait_alu 0xfffd
	s_delay_alu instid0(VALU_DEP_2)
	v_add_co_ci_u32_e64 v40, null, s45, v40, vcc_lo
	s_wait_dscnt 0x0
	global_store_b64 v[39:40], v[36:37], off
	s_wait_alu 0xfffe
	s_or_b32 exec_lo, exec_lo, s15
	s_and_saveexec_b32 s15, s23
	s_cbranch_execz .LBB1360_825
.LBB1360_889:                           ;   in Loop: Header=BB1360_687 Depth=2
	v_lshlrev_b32_e32 v2, 2, v125
	v_add_nc_u32_e32 v36, v70, v44
	ds_load_b32 v2, v2
	ds_load_b64 v[36:37], v36 offset:19456
	s_wait_dscnt 0x1
	v_add_nc_u32_e32 v2, v2, v55
	s_delay_alu instid0(VALU_DEP_1) | instskip(NEXT) | instid1(VALU_DEP_1)
	v_lshlrev_b64_e32 v[39:40], 3, v[2:3]
	v_add_co_u32 v39, vcc_lo, s44, v39
	s_wait_alu 0xfffd
	s_delay_alu instid0(VALU_DEP_2)
	v_add_co_ci_u32_e64 v40, null, s45, v40, vcc_lo
	s_wait_dscnt 0x0
	global_store_b64 v[39:40], v[36:37], off
	s_wait_alu 0xfffe
	s_or_b32 exec_lo, exec_lo, s15
	s_and_saveexec_b32 s15, s24
	s_cbranch_execz .LBB1360_826
.LBB1360_890:                           ;   in Loop: Header=BB1360_687 Depth=2
	v_lshlrev_b32_e32 v2, 2, v124
	v_add_nc_u32_e32 v36, v70, v44
	ds_load_b32 v2, v2
	ds_load_b64 v[36:37], v36 offset:21504
	s_wait_dscnt 0x1
	v_add_nc_u32_e32 v2, v2, v56
	s_delay_alu instid0(VALU_DEP_1) | instskip(NEXT) | instid1(VALU_DEP_1)
	v_lshlrev_b64_e32 v[39:40], 3, v[2:3]
	v_add_co_u32 v39, vcc_lo, s44, v39
	s_wait_alu 0xfffd
	s_delay_alu instid0(VALU_DEP_2)
	v_add_co_ci_u32_e64 v40, null, s45, v40, vcc_lo
	s_wait_dscnt 0x0
	global_store_b64 v[39:40], v[36:37], off
	s_wait_alu 0xfffe
	s_or_b32 exec_lo, exec_lo, s15
	s_and_saveexec_b32 s15, s25
	s_cbranch_execz .LBB1360_827
.LBB1360_891:                           ;   in Loop: Header=BB1360_687 Depth=2
	v_lshlrev_b32_e32 v2, 2, v123
	v_add_nc_u32_e32 v36, v70, v44
	ds_load_b32 v2, v2
	ds_load_b64 v[36:37], v36 offset:23552
	s_wait_dscnt 0x1
	v_add_nc_u32_e32 v2, v2, v57
	s_delay_alu instid0(VALU_DEP_1) | instskip(NEXT) | instid1(VALU_DEP_1)
	v_lshlrev_b64_e32 v[39:40], 3, v[2:3]
	v_add_co_u32 v39, vcc_lo, s44, v39
	s_wait_alu 0xfffd
	s_delay_alu instid0(VALU_DEP_2)
	v_add_co_ci_u32_e64 v40, null, s45, v40, vcc_lo
	s_wait_dscnt 0x0
	global_store_b64 v[39:40], v[36:37], off
	s_wait_alu 0xfffe
	s_or_b32 exec_lo, exec_lo, s15
	s_and_saveexec_b32 s15, s26
	s_cbranch_execz .LBB1360_828
.LBB1360_892:                           ;   in Loop: Header=BB1360_687 Depth=2
	v_lshlrev_b32_e32 v2, 2, v122
	v_add_nc_u32_e32 v36, v70, v44
	ds_load_b32 v2, v2
	ds_load_b64 v[36:37], v36 offset:25600
	s_wait_dscnt 0x1
	v_add_nc_u32_e32 v2, v2, v58
	s_delay_alu instid0(VALU_DEP_1) | instskip(NEXT) | instid1(VALU_DEP_1)
	v_lshlrev_b64_e32 v[39:40], 3, v[2:3]
	v_add_co_u32 v39, vcc_lo, s44, v39
	s_wait_alu 0xfffd
	s_delay_alu instid0(VALU_DEP_2)
	v_add_co_ci_u32_e64 v40, null, s45, v40, vcc_lo
	s_wait_dscnt 0x0
	global_store_b64 v[39:40], v[36:37], off
	s_wait_alu 0xfffe
	s_or_b32 exec_lo, exec_lo, s15
	s_and_saveexec_b32 s15, s27
	s_cbranch_execz .LBB1360_829
.LBB1360_893:                           ;   in Loop: Header=BB1360_687 Depth=2
	v_lshlrev_b32_e32 v2, 2, v121
	v_add_nc_u32_e32 v36, v70, v44
	ds_load_b32 v2, v2
	ds_load_b64 v[36:37], v36 offset:27648
	s_wait_dscnt 0x1
	v_add_nc_u32_e32 v2, v2, v59
	s_delay_alu instid0(VALU_DEP_1) | instskip(NEXT) | instid1(VALU_DEP_1)
	v_lshlrev_b64_e32 v[39:40], 3, v[2:3]
	v_add_co_u32 v39, vcc_lo, s44, v39
	s_wait_alu 0xfffd
	s_delay_alu instid0(VALU_DEP_2)
	v_add_co_ci_u32_e64 v40, null, s45, v40, vcc_lo
	s_wait_dscnt 0x0
	global_store_b64 v[39:40], v[36:37], off
	s_wait_alu 0xfffe
	s_or_b32 exec_lo, exec_lo, s15
	s_and_saveexec_b32 s15, s28
	s_cbranch_execz .LBB1360_830
.LBB1360_894:                           ;   in Loop: Header=BB1360_687 Depth=2
	v_lshlrev_b32_e32 v2, 2, v120
	v_add_nc_u32_e32 v36, v70, v44
	ds_load_b32 v2, v2
	ds_load_b64 v[36:37], v36 offset:29696
	s_wait_dscnt 0x1
	v_add_nc_u32_e32 v2, v2, v60
	s_delay_alu instid0(VALU_DEP_1) | instskip(NEXT) | instid1(VALU_DEP_1)
	v_lshlrev_b64_e32 v[39:40], 3, v[2:3]
	v_add_co_u32 v39, vcc_lo, s44, v39
	s_wait_alu 0xfffd
	s_delay_alu instid0(VALU_DEP_2)
	v_add_co_ci_u32_e64 v40, null, s45, v40, vcc_lo
	s_wait_dscnt 0x0
	global_store_b64 v[39:40], v[36:37], off
	s_wait_alu 0xfffe
	s_or_b32 exec_lo, exec_lo, s15
	s_and_saveexec_b32 s15, s29
	s_cbranch_execnz .LBB1360_831
	s_branch .LBB1360_832
.LBB1360_895:                           ;   in Loop: Header=BB1360_17 Depth=1
	s_wait_loadcnt_dscnt 0x0
	s_barrier_signal -1
	s_mov_b32 s0, 0
	s_barrier_wait -1
.LBB1360_896:                           ;   in Loop: Header=BB1360_17 Depth=1
	s_wait_alu 0xfffe
	s_and_b32 vcc_lo, exec_lo, s0
	s_wait_alu 0xfffe
	s_cbranch_vccz .LBB1360_16
; %bb.897:                              ;   in Loop: Header=BB1360_17 Depth=1
	s_mov_b32 s9, s53
	s_mov_b32 s42, s33
	s_barrier_signal -1
	s_barrier_wait -1
	global_inv scope:SCOPE_SE
                                        ; implicit-def: $vgpr2
                                        ; implicit-def: $vgpr4
                                        ; implicit-def: $vgpr5
                                        ; implicit-def: $vgpr6
                                        ; implicit-def: $vgpr7
                                        ; implicit-def: $vgpr8
                                        ; implicit-def: $vgpr9
                                        ; implicit-def: $vgpr10
                                        ; implicit-def: $vgpr11
                                        ; implicit-def: $vgpr12
                                        ; implicit-def: $vgpr13
                                        ; implicit-def: $vgpr14
                                        ; implicit-def: $vgpr15
                                        ; implicit-def: $vgpr16
                                        ; implicit-def: $vgpr17
                                        ; implicit-def: $vgpr18
	s_branch .LBB1360_899
.LBB1360_898:                           ;   in Loop: Header=BB1360_899 Depth=2
	s_wait_alu 0xfffe
	s_or_b32 exec_lo, exec_lo, s0
	s_addk_co_i32 s9, 0xf000
	s_cmp_ge_u32 s10, s51
	s_mov_b32 s42, s10
	s_cbranch_scc1 .LBB1360_967
.LBB1360_899:                           ;   Parent Loop BB1360_17 Depth=1
                                        ; =>  This Inner Loop Header: Depth=2
	s_wait_alu 0xfffe
	s_add_co_i32 s10, s42, 0x1000
	s_mov_b32 s0, -1
	s_wait_alu 0xfffe
	s_cmp_gt_u32 s10, s51
                                        ; implicit-def: $vgpr19
                                        ; implicit-def: $vgpr20
                                        ; implicit-def: $vgpr21
                                        ; implicit-def: $vgpr22
                                        ; implicit-def: $vgpr23
                                        ; implicit-def: $vgpr24
                                        ; implicit-def: $vgpr25
                                        ; implicit-def: $vgpr26
                                        ; implicit-def: $vgpr27
                                        ; implicit-def: $vgpr28
                                        ; implicit-def: $vgpr29
                                        ; implicit-def: $vgpr30
                                        ; implicit-def: $vgpr31
                                        ; implicit-def: $vgpr32
                                        ; implicit-def: $vgpr33
                                        ; implicit-def: $vgpr34
	s_cbranch_scc1 .LBB1360_901
; %bb.900:                              ;   in Loop: Header=BB1360_899 Depth=2
	s_lshl_b64 s[0:1], s[42:43], 2
	s_wait_alu 0xfffe
	v_add_co_u32 v34, vcc_lo, v77, s0
	s_wait_alu 0xfffd
	v_add_co_ci_u32_e64 v35, null, s1, v78, vcc_lo
	s_mov_b32 s0, 0
	s_clause 0xf
	global_load_b32 v19, v[34:35], off
	global_load_b32 v20, v[34:35], off offset:1024
	global_load_b32 v21, v[34:35], off offset:2048
	;; [unrolled: 1-line block ×15, first 2 shown]
.LBB1360_901:                           ;   in Loop: Header=BB1360_899 Depth=2
	s_wait_alu 0xfffe
	s_and_not1_b32 vcc_lo, exec_lo, s0
	s_movk_i32 s0, 0x1000
	s_wait_alu 0xfffe
	s_cbranch_vccnz .LBB1360_920
; %bb.902:                              ;   in Loop: Header=BB1360_899 Depth=2
	s_lshl_b64 s[0:1], s[42:43], 2
	s_mov_b32 s11, exec_lo
	s_wait_alu 0xfffe
	s_add_nc_u64 s[0:1], s[36:37], s[0:1]
	v_cmpx_gt_u32_e64 s9, v1
	s_cbranch_execnz .LBB1360_952
; %bb.903:                              ;   in Loop: Header=BB1360_899 Depth=2
	s_or_b32 exec_lo, exec_lo, s11
	s_delay_alu instid0(SALU_CYCLE_1)
	s_mov_b32 s11, exec_lo
	v_cmpx_gt_u32_e64 s9, v45
	s_cbranch_execnz .LBB1360_953
.LBB1360_904:                           ;   in Loop: Header=BB1360_899 Depth=2
	s_wait_alu 0xfffe
	s_or_b32 exec_lo, exec_lo, s11
	s_delay_alu instid0(SALU_CYCLE_1)
	s_mov_b32 s11, exec_lo
	v_cmpx_gt_u32_e64 s9, v46
	s_cbranch_execnz .LBB1360_954
.LBB1360_905:                           ;   in Loop: Header=BB1360_899 Depth=2
	s_wait_alu 0xfffe
	s_or_b32 exec_lo, exec_lo, s11
	s_delay_alu instid0(SALU_CYCLE_1)
	s_mov_b32 s11, exec_lo
	v_cmpx_gt_u32_e64 s9, v47
	s_cbranch_execnz .LBB1360_955
.LBB1360_906:                           ;   in Loop: Header=BB1360_899 Depth=2
	s_wait_alu 0xfffe
	s_or_b32 exec_lo, exec_lo, s11
	s_delay_alu instid0(SALU_CYCLE_1)
	s_mov_b32 s11, exec_lo
	v_cmpx_gt_u32_e64 s9, v50
	s_cbranch_execnz .LBB1360_956
.LBB1360_907:                           ;   in Loop: Header=BB1360_899 Depth=2
	s_wait_alu 0xfffe
	s_or_b32 exec_lo, exec_lo, s11
	s_delay_alu instid0(SALU_CYCLE_1)
	s_mov_b32 s11, exec_lo
	v_cmpx_gt_u32_e64 s9, v51
	s_cbranch_execnz .LBB1360_957
.LBB1360_908:                           ;   in Loop: Header=BB1360_899 Depth=2
	s_wait_alu 0xfffe
	s_or_b32 exec_lo, exec_lo, s11
	s_delay_alu instid0(SALU_CYCLE_1)
	s_mov_b32 s11, exec_lo
	v_cmpx_gt_u32_e64 s9, v52
	s_cbranch_execnz .LBB1360_958
.LBB1360_909:                           ;   in Loop: Header=BB1360_899 Depth=2
	s_wait_alu 0xfffe
	s_or_b32 exec_lo, exec_lo, s11
	s_delay_alu instid0(SALU_CYCLE_1)
	s_mov_b32 s11, exec_lo
	v_cmpx_gt_u32_e64 s9, v53
	s_cbranch_execnz .LBB1360_959
.LBB1360_910:                           ;   in Loop: Header=BB1360_899 Depth=2
	s_wait_alu 0xfffe
	s_or_b32 exec_lo, exec_lo, s11
	s_delay_alu instid0(SALU_CYCLE_1)
	s_mov_b32 s11, exec_lo
	v_cmpx_gt_u32_e64 s9, v54
	s_cbranch_execnz .LBB1360_960
.LBB1360_911:                           ;   in Loop: Header=BB1360_899 Depth=2
	s_wait_alu 0xfffe
	s_or_b32 exec_lo, exec_lo, s11
	s_delay_alu instid0(SALU_CYCLE_1)
	s_mov_b32 s11, exec_lo
	v_cmpx_gt_u32_e64 s9, v55
	s_cbranch_execnz .LBB1360_961
.LBB1360_912:                           ;   in Loop: Header=BB1360_899 Depth=2
	s_wait_alu 0xfffe
	s_or_b32 exec_lo, exec_lo, s11
	s_delay_alu instid0(SALU_CYCLE_1)
	s_mov_b32 s11, exec_lo
	v_cmpx_gt_u32_e64 s9, v56
	s_cbranch_execnz .LBB1360_962
.LBB1360_913:                           ;   in Loop: Header=BB1360_899 Depth=2
	s_wait_alu 0xfffe
	s_or_b32 exec_lo, exec_lo, s11
	s_delay_alu instid0(SALU_CYCLE_1)
	s_mov_b32 s11, exec_lo
	v_cmpx_gt_u32_e64 s9, v57
	s_cbranch_execnz .LBB1360_963
.LBB1360_914:                           ;   in Loop: Header=BB1360_899 Depth=2
	s_wait_alu 0xfffe
	s_or_b32 exec_lo, exec_lo, s11
	s_delay_alu instid0(SALU_CYCLE_1)
	s_mov_b32 s11, exec_lo
	v_cmpx_gt_u32_e64 s9, v58
	s_cbranch_execnz .LBB1360_964
.LBB1360_915:                           ;   in Loop: Header=BB1360_899 Depth=2
	s_wait_alu 0xfffe
	s_or_b32 exec_lo, exec_lo, s11
	s_delay_alu instid0(SALU_CYCLE_1)
	s_mov_b32 s11, exec_lo
	v_cmpx_gt_u32_e64 s9, v59
	s_cbranch_execnz .LBB1360_965
.LBB1360_916:                           ;   in Loop: Header=BB1360_899 Depth=2
	s_wait_alu 0xfffe
	s_or_b32 exec_lo, exec_lo, s11
	s_delay_alu instid0(SALU_CYCLE_1)
	s_mov_b32 s11, exec_lo
	v_cmpx_gt_u32_e64 s9, v60
	s_cbranch_execnz .LBB1360_966
.LBB1360_917:                           ;   in Loop: Header=BB1360_899 Depth=2
	s_wait_alu 0xfffe
	s_or_b32 exec_lo, exec_lo, s11
	s_delay_alu instid0(SALU_CYCLE_1)
	s_mov_b32 s11, exec_lo
	v_cmpx_gt_u32_e64 s9, v61
	s_cbranch_execz .LBB1360_919
.LBB1360_918:                           ;   in Loop: Header=BB1360_899 Depth=2
	global_load_b32 v2, v108, s[0:1] offset:15360
.LBB1360_919:                           ;   in Loop: Header=BB1360_899 Depth=2
	s_wait_alu 0xfffe
	s_or_b32 exec_lo, exec_lo, s11
	s_wait_loadcnt 0x0
	v_dual_mov_b32 v19, v18 :: v_dual_mov_b32 v20, v17
	v_dual_mov_b32 v21, v16 :: v_dual_mov_b32 v22, v15
	;; [unrolled: 1-line block ×8, first 2 shown]
	s_mov_b32 s0, s9
.LBB1360_920:                           ;   in Loop: Header=BB1360_899 Depth=2
	s_wait_loadcnt 0x0
	s_delay_alu instid0(VALU_DEP_1) | instskip(NEXT) | instid1(VALU_DEP_2)
	v_dual_mov_b32 v2, v34 :: v_dual_mov_b32 v5, v32
	v_dual_mov_b32 v4, v33 :: v_dual_mov_b32 v7, v30
	;; [unrolled: 1-line block ×7, first 2 shown]
	v_mov_b32_e32 v16, v21
	v_mov_b32_e32 v18, v19
	s_mov_b32 s1, exec_lo
	s_wait_alu 0xfffe
	v_cmpx_gt_u32_e64 s0, v1
	s_cbranch_execnz .LBB1360_936
; %bb.921:                              ;   in Loop: Header=BB1360_899 Depth=2
	s_or_b32 exec_lo, exec_lo, s1
	s_delay_alu instid0(SALU_CYCLE_1)
	s_mov_b32 s1, exec_lo
	v_cmpx_gt_u32_e64 s0, v45
	s_cbranch_execnz .LBB1360_937
.LBB1360_922:                           ;   in Loop: Header=BB1360_899 Depth=2
	s_wait_alu 0xfffe
	s_or_b32 exec_lo, exec_lo, s1
	s_delay_alu instid0(SALU_CYCLE_1)
	s_mov_b32 s1, exec_lo
	v_cmpx_gt_u32_e64 s0, v46
	s_cbranch_execnz .LBB1360_938
.LBB1360_923:                           ;   in Loop: Header=BB1360_899 Depth=2
	s_wait_alu 0xfffe
	s_or_b32 exec_lo, exec_lo, s1
	s_delay_alu instid0(SALU_CYCLE_1)
	s_mov_b32 s1, exec_lo
	v_cmpx_gt_u32_e64 s0, v47
	s_cbranch_execnz .LBB1360_939
.LBB1360_924:                           ;   in Loop: Header=BB1360_899 Depth=2
	s_wait_alu 0xfffe
	s_or_b32 exec_lo, exec_lo, s1
	s_delay_alu instid0(SALU_CYCLE_1)
	s_mov_b32 s1, exec_lo
	v_cmpx_gt_u32_e64 s0, v50
	s_cbranch_execnz .LBB1360_940
.LBB1360_925:                           ;   in Loop: Header=BB1360_899 Depth=2
	s_wait_alu 0xfffe
	s_or_b32 exec_lo, exec_lo, s1
	s_delay_alu instid0(SALU_CYCLE_1)
	s_mov_b32 s1, exec_lo
	v_cmpx_gt_u32_e64 s0, v51
	s_cbranch_execnz .LBB1360_941
.LBB1360_926:                           ;   in Loop: Header=BB1360_899 Depth=2
	s_wait_alu 0xfffe
	s_or_b32 exec_lo, exec_lo, s1
	s_delay_alu instid0(SALU_CYCLE_1)
	s_mov_b32 s1, exec_lo
	v_cmpx_gt_u32_e64 s0, v52
	s_cbranch_execnz .LBB1360_942
.LBB1360_927:                           ;   in Loop: Header=BB1360_899 Depth=2
	s_wait_alu 0xfffe
	s_or_b32 exec_lo, exec_lo, s1
	s_delay_alu instid0(SALU_CYCLE_1)
	s_mov_b32 s1, exec_lo
	v_cmpx_gt_u32_e64 s0, v53
	s_cbranch_execnz .LBB1360_943
.LBB1360_928:                           ;   in Loop: Header=BB1360_899 Depth=2
	s_wait_alu 0xfffe
	s_or_b32 exec_lo, exec_lo, s1
	s_delay_alu instid0(SALU_CYCLE_1)
	s_mov_b32 s1, exec_lo
	v_cmpx_gt_u32_e64 s0, v54
	s_cbranch_execnz .LBB1360_944
.LBB1360_929:                           ;   in Loop: Header=BB1360_899 Depth=2
	s_wait_alu 0xfffe
	s_or_b32 exec_lo, exec_lo, s1
	s_delay_alu instid0(SALU_CYCLE_1)
	s_mov_b32 s1, exec_lo
	v_cmpx_gt_u32_e64 s0, v55
	s_cbranch_execnz .LBB1360_945
.LBB1360_930:                           ;   in Loop: Header=BB1360_899 Depth=2
	s_wait_alu 0xfffe
	s_or_b32 exec_lo, exec_lo, s1
	s_delay_alu instid0(SALU_CYCLE_1)
	s_mov_b32 s1, exec_lo
	v_cmpx_gt_u32_e64 s0, v56
	s_cbranch_execnz .LBB1360_946
.LBB1360_931:                           ;   in Loop: Header=BB1360_899 Depth=2
	s_wait_alu 0xfffe
	s_or_b32 exec_lo, exec_lo, s1
	s_delay_alu instid0(SALU_CYCLE_1)
	s_mov_b32 s1, exec_lo
	v_cmpx_gt_u32_e64 s0, v57
	s_cbranch_execnz .LBB1360_947
.LBB1360_932:                           ;   in Loop: Header=BB1360_899 Depth=2
	s_wait_alu 0xfffe
	s_or_b32 exec_lo, exec_lo, s1
	s_delay_alu instid0(SALU_CYCLE_1)
	s_mov_b32 s1, exec_lo
	v_cmpx_gt_u32_e64 s0, v58
	s_cbranch_execnz .LBB1360_948
.LBB1360_933:                           ;   in Loop: Header=BB1360_899 Depth=2
	s_wait_alu 0xfffe
	s_or_b32 exec_lo, exec_lo, s1
	s_delay_alu instid0(SALU_CYCLE_1)
	s_mov_b32 s1, exec_lo
	v_cmpx_gt_u32_e64 s0, v59
	s_cbranch_execnz .LBB1360_949
.LBB1360_934:                           ;   in Loop: Header=BB1360_899 Depth=2
	s_wait_alu 0xfffe
	s_or_b32 exec_lo, exec_lo, s1
	s_delay_alu instid0(SALU_CYCLE_1)
	s_mov_b32 s1, exec_lo
	v_cmpx_gt_u32_e64 s0, v60
	s_cbranch_execnz .LBB1360_950
.LBB1360_935:                           ;   in Loop: Header=BB1360_899 Depth=2
	s_wait_alu 0xfffe
	s_or_b32 exec_lo, exec_lo, s1
	v_cmp_gt_u32_e32 vcc_lo, s0, v61
	s_and_saveexec_b32 s0, vcc_lo
	s_cbranch_execz .LBB1360_898
	s_branch .LBB1360_951
.LBB1360_936:                           ;   in Loop: Header=BB1360_899 Depth=2
	v_cmp_gt_i32_e32 vcc_lo, 0, v18
	s_wait_alu 0xfffd
	v_cndmask_b32_e64 v19, 0x7fffffff, 0, vcc_lo
	s_delay_alu instid0(VALU_DEP_1) | instskip(NEXT) | instid1(VALU_DEP_1)
	v_xor_b32_e32 v19, v19, v18
	v_cmp_ne_u32_e32 vcc_lo, 0x80000000, v19
	s_wait_alu 0xfffd
	v_cndmask_b32_e32 v19, 0x7fffffff, v19, vcc_lo
	s_delay_alu instid0(VALU_DEP_1) | instskip(NEXT) | instid1(VALU_DEP_1)
	v_lshrrev_b32_e32 v19, s49, v19
	v_and_b32_e32 v19, s48, v19
	s_delay_alu instid0(VALU_DEP_1) | instskip(SKIP_2) | instid1(SALU_CYCLE_1)
	v_lshl_or_b32 v19, v19, 4, v62
	ds_add_u32 v19, v84
	s_or_b32 exec_lo, exec_lo, s1
	s_mov_b32 s1, exec_lo
	v_cmpx_gt_u32_e64 s0, v45
	s_cbranch_execz .LBB1360_922
.LBB1360_937:                           ;   in Loop: Header=BB1360_899 Depth=2
	v_cmp_gt_i32_e32 vcc_lo, 0, v17
	s_wait_alu 0xfffd
	v_cndmask_b32_e64 v19, 0x7fffffff, 0, vcc_lo
	s_delay_alu instid0(VALU_DEP_1) | instskip(NEXT) | instid1(VALU_DEP_1)
	v_xor_b32_e32 v19, v19, v17
	v_cmp_ne_u32_e32 vcc_lo, 0x80000000, v19
	s_wait_alu 0xfffd
	v_cndmask_b32_e32 v19, 0x7fffffff, v19, vcc_lo
	s_delay_alu instid0(VALU_DEP_1) | instskip(NEXT) | instid1(VALU_DEP_1)
	v_lshrrev_b32_e32 v19, s49, v19
	v_and_b32_e32 v19, s48, v19
	s_delay_alu instid0(VALU_DEP_1) | instskip(SKIP_3) | instid1(SALU_CYCLE_1)
	v_lshl_or_b32 v19, v19, 4, v62
	ds_add_u32 v19, v84
	s_wait_alu 0xfffe
	s_or_b32 exec_lo, exec_lo, s1
	s_mov_b32 s1, exec_lo
	v_cmpx_gt_u32_e64 s0, v46
	s_cbranch_execz .LBB1360_923
.LBB1360_938:                           ;   in Loop: Header=BB1360_899 Depth=2
	v_cmp_gt_i32_e32 vcc_lo, 0, v16
	s_wait_alu 0xfffd
	v_cndmask_b32_e64 v19, 0x7fffffff, 0, vcc_lo
	s_delay_alu instid0(VALU_DEP_1) | instskip(NEXT) | instid1(VALU_DEP_1)
	v_xor_b32_e32 v19, v19, v16
	v_cmp_ne_u32_e32 vcc_lo, 0x80000000, v19
	s_wait_alu 0xfffd
	v_cndmask_b32_e32 v19, 0x7fffffff, v19, vcc_lo
	s_delay_alu instid0(VALU_DEP_1) | instskip(NEXT) | instid1(VALU_DEP_1)
	v_lshrrev_b32_e32 v19, s49, v19
	v_and_b32_e32 v19, s48, v19
	s_delay_alu instid0(VALU_DEP_1) | instskip(SKIP_3) | instid1(SALU_CYCLE_1)
	v_lshl_or_b32 v19, v19, 4, v62
	ds_add_u32 v19, v84
	s_wait_alu 0xfffe
	s_or_b32 exec_lo, exec_lo, s1
	s_mov_b32 s1, exec_lo
	v_cmpx_gt_u32_e64 s0, v47
	s_cbranch_execz .LBB1360_924
.LBB1360_939:                           ;   in Loop: Header=BB1360_899 Depth=2
	v_cmp_gt_i32_e32 vcc_lo, 0, v15
	s_wait_alu 0xfffd
	v_cndmask_b32_e64 v19, 0x7fffffff, 0, vcc_lo
	s_delay_alu instid0(VALU_DEP_1) | instskip(NEXT) | instid1(VALU_DEP_1)
	v_xor_b32_e32 v19, v19, v15
	v_cmp_ne_u32_e32 vcc_lo, 0x80000000, v19
	s_wait_alu 0xfffd
	v_cndmask_b32_e32 v19, 0x7fffffff, v19, vcc_lo
	s_delay_alu instid0(VALU_DEP_1) | instskip(NEXT) | instid1(VALU_DEP_1)
	v_lshrrev_b32_e32 v19, s49, v19
	v_and_b32_e32 v19, s48, v19
	s_delay_alu instid0(VALU_DEP_1) | instskip(SKIP_3) | instid1(SALU_CYCLE_1)
	v_lshl_or_b32 v19, v19, 4, v62
	ds_add_u32 v19, v84
	s_wait_alu 0xfffe
	s_or_b32 exec_lo, exec_lo, s1
	s_mov_b32 s1, exec_lo
	v_cmpx_gt_u32_e64 s0, v50
	s_cbranch_execz .LBB1360_925
.LBB1360_940:                           ;   in Loop: Header=BB1360_899 Depth=2
	v_cmp_gt_i32_e32 vcc_lo, 0, v14
	s_wait_alu 0xfffd
	v_cndmask_b32_e64 v19, 0x7fffffff, 0, vcc_lo
	s_delay_alu instid0(VALU_DEP_1) | instskip(NEXT) | instid1(VALU_DEP_1)
	v_xor_b32_e32 v19, v19, v14
	v_cmp_ne_u32_e32 vcc_lo, 0x80000000, v19
	s_wait_alu 0xfffd
	v_cndmask_b32_e32 v19, 0x7fffffff, v19, vcc_lo
	s_delay_alu instid0(VALU_DEP_1) | instskip(NEXT) | instid1(VALU_DEP_1)
	v_lshrrev_b32_e32 v19, s49, v19
	v_and_b32_e32 v19, s48, v19
	s_delay_alu instid0(VALU_DEP_1) | instskip(SKIP_3) | instid1(SALU_CYCLE_1)
	v_lshl_or_b32 v19, v19, 4, v62
	ds_add_u32 v19, v84
	s_wait_alu 0xfffe
	s_or_b32 exec_lo, exec_lo, s1
	s_mov_b32 s1, exec_lo
	v_cmpx_gt_u32_e64 s0, v51
	s_cbranch_execz .LBB1360_926
.LBB1360_941:                           ;   in Loop: Header=BB1360_899 Depth=2
	v_cmp_gt_i32_e32 vcc_lo, 0, v13
	s_wait_alu 0xfffd
	v_cndmask_b32_e64 v19, 0x7fffffff, 0, vcc_lo
	s_delay_alu instid0(VALU_DEP_1) | instskip(NEXT) | instid1(VALU_DEP_1)
	v_xor_b32_e32 v19, v19, v13
	v_cmp_ne_u32_e32 vcc_lo, 0x80000000, v19
	s_wait_alu 0xfffd
	v_cndmask_b32_e32 v19, 0x7fffffff, v19, vcc_lo
	s_delay_alu instid0(VALU_DEP_1) | instskip(NEXT) | instid1(VALU_DEP_1)
	v_lshrrev_b32_e32 v19, s49, v19
	v_and_b32_e32 v19, s48, v19
	s_delay_alu instid0(VALU_DEP_1) | instskip(SKIP_3) | instid1(SALU_CYCLE_1)
	v_lshl_or_b32 v19, v19, 4, v62
	ds_add_u32 v19, v84
	s_wait_alu 0xfffe
	s_or_b32 exec_lo, exec_lo, s1
	s_mov_b32 s1, exec_lo
	v_cmpx_gt_u32_e64 s0, v52
	s_cbranch_execz .LBB1360_927
.LBB1360_942:                           ;   in Loop: Header=BB1360_899 Depth=2
	v_cmp_gt_i32_e32 vcc_lo, 0, v12
	s_wait_alu 0xfffd
	v_cndmask_b32_e64 v19, 0x7fffffff, 0, vcc_lo
	s_delay_alu instid0(VALU_DEP_1) | instskip(NEXT) | instid1(VALU_DEP_1)
	v_xor_b32_e32 v19, v19, v12
	v_cmp_ne_u32_e32 vcc_lo, 0x80000000, v19
	s_wait_alu 0xfffd
	v_cndmask_b32_e32 v19, 0x7fffffff, v19, vcc_lo
	s_delay_alu instid0(VALU_DEP_1) | instskip(NEXT) | instid1(VALU_DEP_1)
	v_lshrrev_b32_e32 v19, s49, v19
	v_and_b32_e32 v19, s48, v19
	s_delay_alu instid0(VALU_DEP_1) | instskip(SKIP_3) | instid1(SALU_CYCLE_1)
	v_lshl_or_b32 v19, v19, 4, v62
	ds_add_u32 v19, v84
	s_wait_alu 0xfffe
	s_or_b32 exec_lo, exec_lo, s1
	s_mov_b32 s1, exec_lo
	v_cmpx_gt_u32_e64 s0, v53
	s_cbranch_execz .LBB1360_928
.LBB1360_943:                           ;   in Loop: Header=BB1360_899 Depth=2
	v_cmp_gt_i32_e32 vcc_lo, 0, v11
	s_wait_alu 0xfffd
	v_cndmask_b32_e64 v19, 0x7fffffff, 0, vcc_lo
	s_delay_alu instid0(VALU_DEP_1) | instskip(NEXT) | instid1(VALU_DEP_1)
	v_xor_b32_e32 v19, v19, v11
	v_cmp_ne_u32_e32 vcc_lo, 0x80000000, v19
	s_wait_alu 0xfffd
	v_cndmask_b32_e32 v19, 0x7fffffff, v19, vcc_lo
	s_delay_alu instid0(VALU_DEP_1) | instskip(NEXT) | instid1(VALU_DEP_1)
	v_lshrrev_b32_e32 v19, s49, v19
	v_and_b32_e32 v19, s48, v19
	s_delay_alu instid0(VALU_DEP_1) | instskip(SKIP_3) | instid1(SALU_CYCLE_1)
	v_lshl_or_b32 v19, v19, 4, v62
	ds_add_u32 v19, v84
	s_wait_alu 0xfffe
	s_or_b32 exec_lo, exec_lo, s1
	s_mov_b32 s1, exec_lo
	v_cmpx_gt_u32_e64 s0, v54
	s_cbranch_execz .LBB1360_929
.LBB1360_944:                           ;   in Loop: Header=BB1360_899 Depth=2
	v_cmp_gt_i32_e32 vcc_lo, 0, v10
	s_wait_alu 0xfffd
	v_cndmask_b32_e64 v19, 0x7fffffff, 0, vcc_lo
	s_delay_alu instid0(VALU_DEP_1) | instskip(NEXT) | instid1(VALU_DEP_1)
	v_xor_b32_e32 v19, v19, v10
	v_cmp_ne_u32_e32 vcc_lo, 0x80000000, v19
	s_wait_alu 0xfffd
	v_cndmask_b32_e32 v19, 0x7fffffff, v19, vcc_lo
	s_delay_alu instid0(VALU_DEP_1) | instskip(NEXT) | instid1(VALU_DEP_1)
	v_lshrrev_b32_e32 v19, s49, v19
	v_and_b32_e32 v19, s48, v19
	s_delay_alu instid0(VALU_DEP_1) | instskip(SKIP_3) | instid1(SALU_CYCLE_1)
	v_lshl_or_b32 v19, v19, 4, v62
	ds_add_u32 v19, v84
	s_wait_alu 0xfffe
	s_or_b32 exec_lo, exec_lo, s1
	s_mov_b32 s1, exec_lo
	v_cmpx_gt_u32_e64 s0, v55
	s_cbranch_execz .LBB1360_930
.LBB1360_945:                           ;   in Loop: Header=BB1360_899 Depth=2
	v_cmp_gt_i32_e32 vcc_lo, 0, v9
	s_wait_alu 0xfffd
	v_cndmask_b32_e64 v19, 0x7fffffff, 0, vcc_lo
	s_delay_alu instid0(VALU_DEP_1) | instskip(NEXT) | instid1(VALU_DEP_1)
	v_xor_b32_e32 v19, v19, v9
	v_cmp_ne_u32_e32 vcc_lo, 0x80000000, v19
	s_wait_alu 0xfffd
	v_cndmask_b32_e32 v19, 0x7fffffff, v19, vcc_lo
	s_delay_alu instid0(VALU_DEP_1) | instskip(NEXT) | instid1(VALU_DEP_1)
	v_lshrrev_b32_e32 v19, s49, v19
	v_and_b32_e32 v19, s48, v19
	s_delay_alu instid0(VALU_DEP_1) | instskip(SKIP_3) | instid1(SALU_CYCLE_1)
	v_lshl_or_b32 v19, v19, 4, v62
	ds_add_u32 v19, v84
	s_wait_alu 0xfffe
	s_or_b32 exec_lo, exec_lo, s1
	s_mov_b32 s1, exec_lo
	v_cmpx_gt_u32_e64 s0, v56
	s_cbranch_execz .LBB1360_931
.LBB1360_946:                           ;   in Loop: Header=BB1360_899 Depth=2
	v_cmp_gt_i32_e32 vcc_lo, 0, v8
	s_wait_alu 0xfffd
	v_cndmask_b32_e64 v19, 0x7fffffff, 0, vcc_lo
	s_delay_alu instid0(VALU_DEP_1) | instskip(NEXT) | instid1(VALU_DEP_1)
	v_xor_b32_e32 v19, v19, v8
	v_cmp_ne_u32_e32 vcc_lo, 0x80000000, v19
	s_wait_alu 0xfffd
	v_cndmask_b32_e32 v19, 0x7fffffff, v19, vcc_lo
	s_delay_alu instid0(VALU_DEP_1) | instskip(NEXT) | instid1(VALU_DEP_1)
	v_lshrrev_b32_e32 v19, s49, v19
	v_and_b32_e32 v19, s48, v19
	s_delay_alu instid0(VALU_DEP_1) | instskip(SKIP_3) | instid1(SALU_CYCLE_1)
	v_lshl_or_b32 v19, v19, 4, v62
	ds_add_u32 v19, v84
	s_wait_alu 0xfffe
	s_or_b32 exec_lo, exec_lo, s1
	s_mov_b32 s1, exec_lo
	v_cmpx_gt_u32_e64 s0, v57
	s_cbranch_execz .LBB1360_932
.LBB1360_947:                           ;   in Loop: Header=BB1360_899 Depth=2
	v_cmp_gt_i32_e32 vcc_lo, 0, v7
	s_wait_alu 0xfffd
	v_cndmask_b32_e64 v19, 0x7fffffff, 0, vcc_lo
	s_delay_alu instid0(VALU_DEP_1) | instskip(NEXT) | instid1(VALU_DEP_1)
	v_xor_b32_e32 v19, v19, v7
	v_cmp_ne_u32_e32 vcc_lo, 0x80000000, v19
	s_wait_alu 0xfffd
	v_cndmask_b32_e32 v19, 0x7fffffff, v19, vcc_lo
	s_delay_alu instid0(VALU_DEP_1) | instskip(NEXT) | instid1(VALU_DEP_1)
	v_lshrrev_b32_e32 v19, s49, v19
	v_and_b32_e32 v19, s48, v19
	s_delay_alu instid0(VALU_DEP_1) | instskip(SKIP_3) | instid1(SALU_CYCLE_1)
	v_lshl_or_b32 v19, v19, 4, v62
	ds_add_u32 v19, v84
	s_wait_alu 0xfffe
	s_or_b32 exec_lo, exec_lo, s1
	s_mov_b32 s1, exec_lo
	v_cmpx_gt_u32_e64 s0, v58
	s_cbranch_execz .LBB1360_933
.LBB1360_948:                           ;   in Loop: Header=BB1360_899 Depth=2
	v_cmp_gt_i32_e32 vcc_lo, 0, v6
	s_wait_alu 0xfffd
	v_cndmask_b32_e64 v19, 0x7fffffff, 0, vcc_lo
	s_delay_alu instid0(VALU_DEP_1) | instskip(NEXT) | instid1(VALU_DEP_1)
	v_xor_b32_e32 v19, v19, v6
	v_cmp_ne_u32_e32 vcc_lo, 0x80000000, v19
	s_wait_alu 0xfffd
	v_cndmask_b32_e32 v19, 0x7fffffff, v19, vcc_lo
	s_delay_alu instid0(VALU_DEP_1) | instskip(NEXT) | instid1(VALU_DEP_1)
	v_lshrrev_b32_e32 v19, s49, v19
	v_and_b32_e32 v19, s48, v19
	s_delay_alu instid0(VALU_DEP_1) | instskip(SKIP_3) | instid1(SALU_CYCLE_1)
	v_lshl_or_b32 v19, v19, 4, v62
	ds_add_u32 v19, v84
	s_wait_alu 0xfffe
	s_or_b32 exec_lo, exec_lo, s1
	s_mov_b32 s1, exec_lo
	v_cmpx_gt_u32_e64 s0, v59
	s_cbranch_execz .LBB1360_934
.LBB1360_949:                           ;   in Loop: Header=BB1360_899 Depth=2
	v_cmp_gt_i32_e32 vcc_lo, 0, v5
	s_wait_alu 0xfffd
	v_cndmask_b32_e64 v19, 0x7fffffff, 0, vcc_lo
	s_delay_alu instid0(VALU_DEP_1) | instskip(NEXT) | instid1(VALU_DEP_1)
	v_xor_b32_e32 v19, v19, v5
	v_cmp_ne_u32_e32 vcc_lo, 0x80000000, v19
	s_wait_alu 0xfffd
	v_cndmask_b32_e32 v19, 0x7fffffff, v19, vcc_lo
	s_delay_alu instid0(VALU_DEP_1) | instskip(NEXT) | instid1(VALU_DEP_1)
	v_lshrrev_b32_e32 v19, s49, v19
	v_and_b32_e32 v19, s48, v19
	s_delay_alu instid0(VALU_DEP_1) | instskip(SKIP_3) | instid1(SALU_CYCLE_1)
	v_lshl_or_b32 v19, v19, 4, v62
	ds_add_u32 v19, v84
	s_wait_alu 0xfffe
	s_or_b32 exec_lo, exec_lo, s1
	s_mov_b32 s1, exec_lo
	v_cmpx_gt_u32_e64 s0, v60
	s_cbranch_execz .LBB1360_935
.LBB1360_950:                           ;   in Loop: Header=BB1360_899 Depth=2
	v_cmp_gt_i32_e32 vcc_lo, 0, v4
	s_wait_alu 0xfffd
	v_cndmask_b32_e64 v19, 0x7fffffff, 0, vcc_lo
	s_delay_alu instid0(VALU_DEP_1) | instskip(NEXT) | instid1(VALU_DEP_1)
	v_xor_b32_e32 v19, v19, v4
	v_cmp_ne_u32_e32 vcc_lo, 0x80000000, v19
	s_wait_alu 0xfffd
	v_cndmask_b32_e32 v19, 0x7fffffff, v19, vcc_lo
	s_delay_alu instid0(VALU_DEP_1) | instskip(NEXT) | instid1(VALU_DEP_1)
	v_lshrrev_b32_e32 v19, s49, v19
	v_and_b32_e32 v19, s48, v19
	s_delay_alu instid0(VALU_DEP_1)
	v_lshl_or_b32 v19, v19, 4, v62
	ds_add_u32 v19, v84
	s_wait_alu 0xfffe
	s_or_b32 exec_lo, exec_lo, s1
	v_cmp_gt_u32_e32 vcc_lo, s0, v61
	s_and_saveexec_b32 s0, vcc_lo
	s_cbranch_execz .LBB1360_898
.LBB1360_951:                           ;   in Loop: Header=BB1360_899 Depth=2
	v_cmp_gt_i32_e32 vcc_lo, 0, v2
	s_wait_alu 0xfffd
	v_cndmask_b32_e64 v19, 0x7fffffff, 0, vcc_lo
	s_delay_alu instid0(VALU_DEP_1) | instskip(NEXT) | instid1(VALU_DEP_1)
	v_xor_b32_e32 v19, v19, v2
	v_cmp_ne_u32_e32 vcc_lo, 0x80000000, v19
	s_wait_alu 0xfffd
	v_cndmask_b32_e32 v19, 0x7fffffff, v19, vcc_lo
	s_delay_alu instid0(VALU_DEP_1) | instskip(NEXT) | instid1(VALU_DEP_1)
	v_lshrrev_b32_e32 v19, s49, v19
	v_and_b32_e32 v19, s48, v19
	s_delay_alu instid0(VALU_DEP_1)
	v_lshl_or_b32 v19, v19, 4, v62
	ds_add_u32 v19, v84
	s_branch .LBB1360_898
.LBB1360_952:                           ;   in Loop: Header=BB1360_899 Depth=2
	global_load_b32 v18, v108, s[0:1]
	s_or_b32 exec_lo, exec_lo, s11
	s_delay_alu instid0(SALU_CYCLE_1)
	s_mov_b32 s11, exec_lo
	v_cmpx_gt_u32_e64 s9, v45
	s_cbranch_execz .LBB1360_904
.LBB1360_953:                           ;   in Loop: Header=BB1360_899 Depth=2
	global_load_b32 v17, v108, s[0:1] offset:1024
	s_wait_alu 0xfffe
	s_or_b32 exec_lo, exec_lo, s11
	s_delay_alu instid0(SALU_CYCLE_1)
	s_mov_b32 s11, exec_lo
	v_cmpx_gt_u32_e64 s9, v46
	s_cbranch_execz .LBB1360_905
.LBB1360_954:                           ;   in Loop: Header=BB1360_899 Depth=2
	global_load_b32 v16, v108, s[0:1] offset:2048
	s_wait_alu 0xfffe
	s_or_b32 exec_lo, exec_lo, s11
	s_delay_alu instid0(SALU_CYCLE_1)
	s_mov_b32 s11, exec_lo
	v_cmpx_gt_u32_e64 s9, v47
	s_cbranch_execz .LBB1360_906
.LBB1360_955:                           ;   in Loop: Header=BB1360_899 Depth=2
	global_load_b32 v15, v108, s[0:1] offset:3072
	s_wait_alu 0xfffe
	s_or_b32 exec_lo, exec_lo, s11
	s_delay_alu instid0(SALU_CYCLE_1)
	s_mov_b32 s11, exec_lo
	v_cmpx_gt_u32_e64 s9, v50
	s_cbranch_execz .LBB1360_907
.LBB1360_956:                           ;   in Loop: Header=BB1360_899 Depth=2
	global_load_b32 v14, v108, s[0:1] offset:4096
	s_wait_alu 0xfffe
	s_or_b32 exec_lo, exec_lo, s11
	s_delay_alu instid0(SALU_CYCLE_1)
	s_mov_b32 s11, exec_lo
	v_cmpx_gt_u32_e64 s9, v51
	s_cbranch_execz .LBB1360_908
.LBB1360_957:                           ;   in Loop: Header=BB1360_899 Depth=2
	global_load_b32 v13, v108, s[0:1] offset:5120
	s_wait_alu 0xfffe
	s_or_b32 exec_lo, exec_lo, s11
	s_delay_alu instid0(SALU_CYCLE_1)
	s_mov_b32 s11, exec_lo
	v_cmpx_gt_u32_e64 s9, v52
	s_cbranch_execz .LBB1360_909
.LBB1360_958:                           ;   in Loop: Header=BB1360_899 Depth=2
	global_load_b32 v12, v108, s[0:1] offset:6144
	s_wait_alu 0xfffe
	s_or_b32 exec_lo, exec_lo, s11
	s_delay_alu instid0(SALU_CYCLE_1)
	s_mov_b32 s11, exec_lo
	v_cmpx_gt_u32_e64 s9, v53
	s_cbranch_execz .LBB1360_910
.LBB1360_959:                           ;   in Loop: Header=BB1360_899 Depth=2
	global_load_b32 v11, v108, s[0:1] offset:7168
	s_wait_alu 0xfffe
	s_or_b32 exec_lo, exec_lo, s11
	s_delay_alu instid0(SALU_CYCLE_1)
	s_mov_b32 s11, exec_lo
	v_cmpx_gt_u32_e64 s9, v54
	s_cbranch_execz .LBB1360_911
.LBB1360_960:                           ;   in Loop: Header=BB1360_899 Depth=2
	global_load_b32 v10, v108, s[0:1] offset:8192
	s_wait_alu 0xfffe
	s_or_b32 exec_lo, exec_lo, s11
	s_delay_alu instid0(SALU_CYCLE_1)
	s_mov_b32 s11, exec_lo
	v_cmpx_gt_u32_e64 s9, v55
	s_cbranch_execz .LBB1360_912
.LBB1360_961:                           ;   in Loop: Header=BB1360_899 Depth=2
	global_load_b32 v9, v108, s[0:1] offset:9216
	s_wait_alu 0xfffe
	s_or_b32 exec_lo, exec_lo, s11
	s_delay_alu instid0(SALU_CYCLE_1)
	s_mov_b32 s11, exec_lo
	v_cmpx_gt_u32_e64 s9, v56
	s_cbranch_execz .LBB1360_913
.LBB1360_962:                           ;   in Loop: Header=BB1360_899 Depth=2
	global_load_b32 v8, v108, s[0:1] offset:10240
	s_wait_alu 0xfffe
	s_or_b32 exec_lo, exec_lo, s11
	s_delay_alu instid0(SALU_CYCLE_1)
	s_mov_b32 s11, exec_lo
	v_cmpx_gt_u32_e64 s9, v57
	s_cbranch_execz .LBB1360_914
.LBB1360_963:                           ;   in Loop: Header=BB1360_899 Depth=2
	global_load_b32 v7, v108, s[0:1] offset:11264
	s_wait_alu 0xfffe
	s_or_b32 exec_lo, exec_lo, s11
	s_delay_alu instid0(SALU_CYCLE_1)
	s_mov_b32 s11, exec_lo
	v_cmpx_gt_u32_e64 s9, v58
	s_cbranch_execz .LBB1360_915
.LBB1360_964:                           ;   in Loop: Header=BB1360_899 Depth=2
	global_load_b32 v6, v108, s[0:1] offset:12288
	s_wait_alu 0xfffe
	s_or_b32 exec_lo, exec_lo, s11
	s_delay_alu instid0(SALU_CYCLE_1)
	s_mov_b32 s11, exec_lo
	v_cmpx_gt_u32_e64 s9, v59
	s_cbranch_execz .LBB1360_916
.LBB1360_965:                           ;   in Loop: Header=BB1360_899 Depth=2
	global_load_b32 v5, v108, s[0:1] offset:13312
	s_wait_alu 0xfffe
	s_or_b32 exec_lo, exec_lo, s11
	s_delay_alu instid0(SALU_CYCLE_1)
	s_mov_b32 s11, exec_lo
	v_cmpx_gt_u32_e64 s9, v60
	s_cbranch_execz .LBB1360_917
.LBB1360_966:                           ;   in Loop: Header=BB1360_899 Depth=2
	global_load_b32 v4, v108, s[0:1] offset:14336
	s_wait_alu 0xfffe
	s_or_b32 exec_lo, exec_lo, s11
	s_delay_alu instid0(SALU_CYCLE_1)
	s_mov_b32 s11, exec_lo
	v_cmpx_gt_u32_e64 s9, v61
	s_cbranch_execnz .LBB1360_918
	s_branch .LBB1360_919
.LBB1360_967:                           ;   in Loop: Header=BB1360_17 Depth=1
	v_mov_b32_e32 v2, 0
	s_wait_dscnt 0x0
	s_barrier_signal -1
	s_barrier_wait -1
	global_inv scope:SCOPE_SE
	s_and_saveexec_b32 s0, s2
	s_cbranch_execz .LBB1360_969
; %bb.968:                              ;   in Loop: Header=BB1360_17 Depth=1
	ds_load_2addr_b64 v[4:7], v64 offset1:1
	s_wait_dscnt 0x0
	v_add_nc_u32_e32 v2, v5, v4
	s_delay_alu instid0(VALU_DEP_1)
	v_add3_u32 v2, v2, v6, v7
.LBB1360_969:                           ;   in Loop: Header=BB1360_17 Depth=1
	s_wait_alu 0xfffe
	s_or_b32 exec_lo, exec_lo, s0
	s_delay_alu instid0(VALU_DEP_1)
	v_mov_b32_dpp v4, v2 row_shr:1 row_mask:0xf bank_mask:0xf
	v_cmp_eq_u32_e64 s0, 0, v85
	v_cmp_lt_u32_e64 s1, 1, v85
	v_cmp_lt_u32_e64 s9, 3, v85
	v_cmp_lt_u32_e64 s10, 7, v85
	v_cmp_eq_u32_e64 s11, 0, v87
	s_wait_alu 0xf1ff
	v_cndmask_b32_e64 v4, v4, 0, s0
	s_delay_alu instid0(VALU_DEP_1) | instskip(NEXT) | instid1(VALU_DEP_1)
	v_add_nc_u32_e32 v2, v4, v2
	v_mov_b32_dpp v4, v2 row_shr:2 row_mask:0xf bank_mask:0xf
	s_delay_alu instid0(VALU_DEP_1) | instskip(NEXT) | instid1(VALU_DEP_1)
	v_cndmask_b32_e64 v4, 0, v4, s1
	v_add_nc_u32_e32 v2, v2, v4
	s_delay_alu instid0(VALU_DEP_1) | instskip(NEXT) | instid1(VALU_DEP_1)
	v_mov_b32_dpp v4, v2 row_shr:4 row_mask:0xf bank_mask:0xf
	v_cndmask_b32_e64 v4, 0, v4, s9
	s_delay_alu instid0(VALU_DEP_1) | instskip(NEXT) | instid1(VALU_DEP_1)
	v_add_nc_u32_e32 v2, v2, v4
	v_mov_b32_dpp v4, v2 row_shr:8 row_mask:0xf bank_mask:0xf
	s_delay_alu instid0(VALU_DEP_1) | instskip(NEXT) | instid1(VALU_DEP_1)
	v_cndmask_b32_e64 v4, 0, v4, s10
	v_add_nc_u32_e32 v2, v2, v4
	ds_swizzle_b32 v4, v2 offset:swizzle(BROADCAST,32,15)
	s_wait_dscnt 0x0
	v_and_b32_e32 v4, v86, v4
	s_delay_alu instid0(VALU_DEP_1)
	v_add_nc_u32_e32 v2, v2, v4
	s_and_saveexec_b32 s12, s3
; %bb.970:                              ;   in Loop: Header=BB1360_17 Depth=1
	ds_store_b32 v65, v2
; %bb.971:                              ;   in Loop: Header=BB1360_17 Depth=1
	s_wait_alu 0xfffe
	s_or_b32 exec_lo, exec_lo, s12
	s_wait_loadcnt_dscnt 0x0
	s_barrier_signal -1
	s_barrier_wait -1
	global_inv scope:SCOPE_SE
	s_and_saveexec_b32 s12, s4
	s_cbranch_execz .LBB1360_973
; %bb.972:                              ;   in Loop: Header=BB1360_17 Depth=1
	ds_load_b32 v4, v66
	v_cmp_ne_u32_e32 vcc_lo, 0, v89
	s_wait_dscnt 0x0
	v_mov_b32_dpp v5, v4 row_shr:1 row_mask:0xf bank_mask:0xf
	s_wait_alu 0xfffd
	s_delay_alu instid0(VALU_DEP_1) | instskip(SKIP_1) | instid1(VALU_DEP_2)
	v_cndmask_b32_e32 v5, 0, v5, vcc_lo
	v_cmp_lt_u32_e32 vcc_lo, 1, v89
	v_add_nc_u32_e32 v4, v5, v4
	s_delay_alu instid0(VALU_DEP_1) | instskip(SKIP_1) | instid1(VALU_DEP_1)
	v_mov_b32_dpp v5, v4 row_shr:2 row_mask:0xf bank_mask:0xf
	s_wait_alu 0xfffd
	v_cndmask_b32_e32 v5, 0, v5, vcc_lo
	v_cmp_lt_u32_e32 vcc_lo, 3, v89
	s_delay_alu instid0(VALU_DEP_2) | instskip(NEXT) | instid1(VALU_DEP_1)
	v_add_nc_u32_e32 v4, v4, v5
	v_mov_b32_dpp v5, v4 row_shr:4 row_mask:0xf bank_mask:0xf
	s_wait_alu 0xfffd
	s_delay_alu instid0(VALU_DEP_1) | instskip(NEXT) | instid1(VALU_DEP_1)
	v_cndmask_b32_e32 v5, 0, v5, vcc_lo
	v_add_nc_u32_e32 v4, v4, v5
	ds_store_b32 v66, v4
.LBB1360_973:                           ;   in Loop: Header=BB1360_17 Depth=1
	s_wait_alu 0xfffe
	s_or_b32 exec_lo, exec_lo, s12
	v_mov_b32_e32 v4, 0
	s_wait_loadcnt_dscnt 0x0
	s_barrier_signal -1
	s_barrier_wait -1
	global_inv scope:SCOPE_SE
	s_and_saveexec_b32 s12, s5
; %bb.974:                              ;   in Loop: Header=BB1360_17 Depth=1
	ds_load_b32 v4, v68
; %bb.975:                              ;   in Loop: Header=BB1360_17 Depth=1
	s_wait_alu 0xfffe
	s_or_b32 exec_lo, exec_lo, s12
	v_cmp_gt_i32_e32 vcc_lo, 0, v90
	s_wait_loadcnt_dscnt 0x0
	s_barrier_signal -1
	s_barrier_wait -1
	global_inv scope:SCOPE_SE
	s_wait_alu 0xfffd
	v_dual_cndmask_b32 v5, v90, v81 :: v_dual_add_nc_u32 v2, v4, v2
	s_delay_alu instid0(VALU_DEP_1)
	v_lshlrev_b32_e32 v113, 2, v5
	ds_bpermute_b32 v2, v113, v2
	s_and_saveexec_b32 s12, s2
	s_cbranch_execz .LBB1360_977
; %bb.976:                              ;   in Loop: Header=BB1360_17 Depth=1
	s_wait_dscnt 0x0
	v_cndmask_b32_e64 v2, v2, v4, s8
	s_delay_alu instid0(VALU_DEP_1)
	v_add_nc_u32_e32 v2, s33, v2
	ds_store_b32 v44, v2
.LBB1360_977:                           ;   in Loop: Header=BB1360_17 Depth=1
	s_wait_alu 0xfffe
	s_or_b32 exec_lo, exec_lo, s12
	s_load_b64 s[12:13], s[34:35], 0x0
	v_add_co_u32 v114, vcc_lo, v79, v91
	s_wait_alu 0xfffd
	v_add_co_ci_u32_e64 v115, null, 0, v80, vcc_lo
	v_add_co_u32 v116, vcc_lo, v82, v107
	s_wait_alu 0xfffd
	v_add_co_ci_u32_e64 v117, null, 0, v83, vcc_lo
	s_mov_b32 s54, s53
                                        ; implicit-def: $vgpr6_vgpr7
                                        ; implicit-def: $vgpr8_vgpr9
                                        ; implicit-def: $vgpr10_vgpr11
                                        ; implicit-def: $vgpr12_vgpr13
                                        ; implicit-def: $vgpr14_vgpr15
                                        ; implicit-def: $vgpr16_vgpr17
                                        ; implicit-def: $vgpr18_vgpr19
                                        ; implicit-def: $vgpr20_vgpr21
                                        ; implicit-def: $vgpr22_vgpr23
                                        ; implicit-def: $vgpr24_vgpr25
                                        ; implicit-def: $vgpr26_vgpr27
                                        ; implicit-def: $vgpr28_vgpr29
                                        ; implicit-def: $vgpr30_vgpr31
                                        ; implicit-def: $vgpr32_vgpr33
                                        ; implicit-def: $vgpr34_vgpr35
                                        ; implicit-def: $vgpr119
                                        ; implicit-def: $vgpr120
                                        ; implicit-def: $vgpr121
                                        ; implicit-def: $vgpr122
                                        ; implicit-def: $vgpr123
                                        ; implicit-def: $vgpr124
                                        ; implicit-def: $vgpr125
                                        ; implicit-def: $vgpr126
                                        ; implicit-def: $vgpr127
                                        ; implicit-def: $vgpr128
                                        ; implicit-def: $vgpr129
                                        ; implicit-def: $vgpr130
                                        ; implicit-def: $vgpr131
                                        ; implicit-def: $vgpr132
                                        ; implicit-def: $vgpr133
                                        ; implicit-def: $vgpr134
	s_wait_kmcnt 0x0
	s_cmp_lt_u32 ttmp7, s13
	s_cselect_b32 s42, 14, 20
	s_cmp_lt_u32 ttmp9, s12
	s_wait_alu 0xfffe
	s_add_nc_u64 s[14:15], s[34:35], s[42:43]
	s_cselect_b32 s42, 12, 18
	s_load_u16 s14, s[14:15], 0x0
	s_add_nc_u64 s[12:13], s[34:35], s[42:43]
	s_mov_b32 s42, s33
	s_load_u16 s12, s[12:13], 0x0
	v_cmp_lt_u32_e64 s13, 1, v89
	s_wait_dscnt 0x0
	s_wait_kmcnt 0x0
	v_mad_u32_u24 v2, v69, s14, v0
	v_cmp_lt_u32_e64 s14, 3, v89
	s_delay_alu instid0(VALU_DEP_2) | instskip(SKIP_1) | instid1(VALU_DEP_2)
	v_mad_co_u64_u32 v[4:5], null, v2, s12, v[1:2]
	v_cmp_eq_u32_e64 s12, 0, v89
	v_lshrrev_b32_e32 v2, 3, v4
                                        ; implicit-def: $vgpr4_vgpr5
	s_delay_alu instid0(VALU_DEP_1)
	v_and_b32_e32 v118, 0x1ffffffc, v2
	s_branch .LBB1360_979
.LBB1360_978:                           ;   in Loop: Header=BB1360_979 Depth=2
	s_wait_alu 0xfffe
	s_or_b32 exec_lo, exec_lo, s15
	s_addk_co_i32 s54, 0xf000
	s_cmp_lt_u32 s55, s51
	s_mov_b32 s42, s55
	s_cbranch_scc0 .LBB1360_15
.LBB1360_979:                           ;   Parent Loop BB1360_17 Depth=1
                                        ; =>  This Inner Loop Header: Depth=2
	s_wait_alu 0xfffe
	s_add_co_i32 s55, s42, 0x1000
	s_wait_alu 0xfffe
	s_cmp_gt_u32 s55, s51
	s_cbranch_scc1 .LBB1360_981
; %bb.980:                              ;   in Loop: Header=BB1360_979 Depth=2
	s_lshl_b64 s[16:17], s[42:43], 2
	s_mov_b32 s15, -1
	s_wait_alu 0xfffe
	v_add_co_u32 v36, vcc_lo, v116, s16
	s_wait_alu 0xfffd
	v_add_co_ci_u32_e64 v37, null, s17, v117, vcc_lo
	s_clause 0xe
	global_load_b32 v2, v[36:37], off
	global_load_b32 v136, v[36:37], off offset:128
	global_load_b32 v143, v[36:37], off offset:256
	;; [unrolled: 1-line block ×14, first 2 shown]
	s_movk_i32 s16, 0x1000
	s_cbranch_execz .LBB1360_982
	s_branch .LBB1360_1013
.LBB1360_981:                           ;   in Loop: Header=BB1360_979 Depth=2
	s_mov_b32 s15, 0
                                        ; implicit-def: $vgpr2
                                        ; implicit-def: $vgpr136
                                        ; implicit-def: $vgpr143
                                        ; implicit-def: $vgpr147
                                        ; implicit-def: $vgpr151
                                        ; implicit-def: $vgpr155
                                        ; implicit-def: $vgpr159
                                        ; implicit-def: $vgpr163
                                        ; implicit-def: $vgpr166
                                        ; implicit-def: $vgpr43
                                        ; implicit-def: $vgpr42
                                        ; implicit-def: $vgpr41
                                        ; implicit-def: $vgpr40
                                        ; implicit-def: $vgpr39
                                        ; implicit-def: $vgpr38
	s_movk_i32 s16, 0x1000
.LBB1360_982:                           ;   in Loop: Header=BB1360_979 Depth=2
	s_lshl_b64 s[16:17], s[42:43], 2
	s_wait_loadcnt 0xd
	v_mov_b32_e32 v136, -1
	s_wait_alu 0xfffe
	v_add_co_u32 v36, vcc_lo, v116, s16
	s_wait_alu 0xfffd
	v_add_co_ci_u32_e64 v37, null, s17, v117, vcc_lo
	v_mov_b32_e32 v2, -1
	s_mov_b32 s15, exec_lo
	v_cmpx_gt_u32_e64 s54, v88
	s_cbranch_execz .LBB1360_984
; %bb.983:                              ;   in Loop: Header=BB1360_979 Depth=2
	global_load_b32 v2, v[36:37], off
.LBB1360_984:                           ;   in Loop: Header=BB1360_979 Depth=2
	s_wait_alu 0xfffe
	s_or_b32 exec_lo, exec_lo, s15
	s_delay_alu instid0(SALU_CYCLE_1)
	s_mov_b32 s15, exec_lo
	v_cmpx_gt_u32_e64 s54, v92
	s_cbranch_execz .LBB1360_986
; %bb.985:                              ;   in Loop: Header=BB1360_979 Depth=2
	global_load_b32 v136, v[36:37], off offset:128
.LBB1360_986:                           ;   in Loop: Header=BB1360_979 Depth=2
	s_wait_alu 0xfffe
	s_or_b32 exec_lo, exec_lo, s15
	s_wait_loadcnt 0xb
	v_mov_b32_e32 v147, -1
	v_mov_b32_e32 v143, -1
	s_mov_b32 s15, exec_lo
	v_cmpx_gt_u32_e64 s54, v93
	s_cbranch_execz .LBB1360_988
; %bb.987:                              ;   in Loop: Header=BB1360_979 Depth=2
	global_load_b32 v143, v[36:37], off offset:256
.LBB1360_988:                           ;   in Loop: Header=BB1360_979 Depth=2
	s_wait_alu 0xfffe
	s_or_b32 exec_lo, exec_lo, s15
	s_delay_alu instid0(SALU_CYCLE_1)
	s_mov_b32 s15, exec_lo
	v_cmpx_gt_u32_e64 s54, v94
	s_cbranch_execz .LBB1360_990
; %bb.989:                              ;   in Loop: Header=BB1360_979 Depth=2
	global_load_b32 v147, v[36:37], off offset:384
.LBB1360_990:                           ;   in Loop: Header=BB1360_979 Depth=2
	s_wait_alu 0xfffe
	s_or_b32 exec_lo, exec_lo, s15
	s_wait_loadcnt 0x9
	v_mov_b32_e32 v155, -1
	v_mov_b32_e32 v151, -1
	s_mov_b32 s15, exec_lo
	v_cmpx_gt_u32_e64 s54, v95
	s_cbranch_execz .LBB1360_992
; %bb.991:                              ;   in Loop: Header=BB1360_979 Depth=2
	global_load_b32 v151, v[36:37], off offset:512
.LBB1360_992:                           ;   in Loop: Header=BB1360_979 Depth=2
	s_wait_alu 0xfffe
	s_or_b32 exec_lo, exec_lo, s15
	s_delay_alu instid0(SALU_CYCLE_1)
	s_mov_b32 s15, exec_lo
	v_cmpx_gt_u32_e64 s54, v96
	s_cbranch_execz .LBB1360_994
; %bb.993:                              ;   in Loop: Header=BB1360_979 Depth=2
	global_load_b32 v155, v[36:37], off offset:640
.LBB1360_994:                           ;   in Loop: Header=BB1360_979 Depth=2
	s_wait_alu 0xfffe
	s_or_b32 exec_lo, exec_lo, s15
	s_wait_loadcnt 0x7
	v_mov_b32_e32 v163, -1
	v_mov_b32_e32 v159, -1
	s_mov_b32 s15, exec_lo
	v_cmpx_gt_u32_e64 s54, v97
	s_cbranch_execz .LBB1360_996
; %bb.995:                              ;   in Loop: Header=BB1360_979 Depth=2
	global_load_b32 v159, v[36:37], off offset:768
.LBB1360_996:                           ;   in Loop: Header=BB1360_979 Depth=2
	s_wait_alu 0xfffe
	s_or_b32 exec_lo, exec_lo, s15
	s_delay_alu instid0(SALU_CYCLE_1)
	s_mov_b32 s15, exec_lo
	v_cmpx_gt_u32_e64 s54, v98
	s_cbranch_execz .LBB1360_998
; %bb.997:                              ;   in Loop: Header=BB1360_979 Depth=2
	global_load_b32 v163, v[36:37], off offset:896
.LBB1360_998:                           ;   in Loop: Header=BB1360_979 Depth=2
	s_wait_alu 0xfffe
	s_or_b32 exec_lo, exec_lo, s15
	s_wait_loadcnt 0x5
	v_dual_mov_b32 v43, -1 :: v_dual_mov_b32 v166, -1
	s_mov_b32 s15, exec_lo
	v_cmpx_gt_u32_e64 s54, v99
	s_cbranch_execz .LBB1360_1000
; %bb.999:                              ;   in Loop: Header=BB1360_979 Depth=2
	global_load_b32 v166, v[36:37], off offset:1024
.LBB1360_1000:                          ;   in Loop: Header=BB1360_979 Depth=2
	s_wait_alu 0xfffe
	s_or_b32 exec_lo, exec_lo, s15
	s_delay_alu instid0(SALU_CYCLE_1)
	s_mov_b32 s15, exec_lo
	v_cmpx_gt_u32_e64 s54, v100
	s_cbranch_execz .LBB1360_1002
; %bb.1001:                             ;   in Loop: Header=BB1360_979 Depth=2
	global_load_b32 v43, v[36:37], off offset:1152
.LBB1360_1002:                          ;   in Loop: Header=BB1360_979 Depth=2
	s_wait_alu 0xfffe
	s_or_b32 exec_lo, exec_lo, s15
	s_wait_loadcnt 0x3
	v_dual_mov_b32 v41, -1 :: v_dual_mov_b32 v42, -1
	s_mov_b32 s15, exec_lo
	v_cmpx_gt_u32_e64 s54, v101
	s_cbranch_execz .LBB1360_1004
; %bb.1003:                             ;   in Loop: Header=BB1360_979 Depth=2
	global_load_b32 v42, v[36:37], off offset:1280
.LBB1360_1004:                          ;   in Loop: Header=BB1360_979 Depth=2
	s_wait_alu 0xfffe
	s_or_b32 exec_lo, exec_lo, s15
	s_delay_alu instid0(SALU_CYCLE_1)
	s_mov_b32 s15, exec_lo
	v_cmpx_gt_u32_e64 s54, v102
	s_cbranch_execz .LBB1360_1006
; %bb.1005:                             ;   in Loop: Header=BB1360_979 Depth=2
	global_load_b32 v41, v[36:37], off offset:1408
.LBB1360_1006:                          ;   in Loop: Header=BB1360_979 Depth=2
	s_wait_alu 0xfffe
	s_or_b32 exec_lo, exec_lo, s15
	s_wait_loadcnt 0x1
	v_dual_mov_b32 v39, -1 :: v_dual_mov_b32 v40, -1
	s_mov_b32 s15, exec_lo
	v_cmpx_gt_u32_e64 s54, v103
	s_cbranch_execz .LBB1360_1008
; %bb.1007:                             ;   in Loop: Header=BB1360_979 Depth=2
	global_load_b32 v40, v[36:37], off offset:1536
.LBB1360_1008:                          ;   in Loop: Header=BB1360_979 Depth=2
	s_wait_alu 0xfffe
	s_or_b32 exec_lo, exec_lo, s15
	s_delay_alu instid0(SALU_CYCLE_1)
	s_mov_b32 s15, exec_lo
	v_cmpx_gt_u32_e64 s54, v104
	s_cbranch_execz .LBB1360_1010
; %bb.1009:                             ;   in Loop: Header=BB1360_979 Depth=2
	global_load_b32 v39, v[36:37], off offset:1664
.LBB1360_1010:                          ;   in Loop: Header=BB1360_979 Depth=2
	s_wait_alu 0xfffe
	s_or_b32 exec_lo, exec_lo, s15
	s_wait_loadcnt 0x0
	v_mov_b32_e32 v38, -1
	s_mov_b32 s15, exec_lo
	v_cmpx_gt_u32_e64 s54, v105
	s_cbranch_execz .LBB1360_1012
; %bb.1011:                             ;   in Loop: Header=BB1360_979 Depth=2
	global_load_b32 v38, v[36:37], off offset:1792
.LBB1360_1012:                          ;   in Loop: Header=BB1360_979 Depth=2
	s_wait_alu 0xfffe
	s_or_b32 exec_lo, exec_lo, s15
	v_cmp_gt_u32_e64 s15, s54, v106
	s_sub_co_i32 s16, s51, s42
.LBB1360_1013:                          ;   in Loop: Header=BB1360_979 Depth=2
	v_dual_mov_b32 v36, -1 :: v_dual_mov_b32 v135, s54
	s_and_saveexec_b32 s17, s15
	s_cbranch_execz .LBB1360_1015
; %bb.1014:                             ;   in Loop: Header=BB1360_979 Depth=2
	s_lshl_b64 s[18:19], s[42:43], 2
	s_wait_alu 0xfffe
	v_mov_b32_e32 v135, s16
	v_add_co_u32 v36, vcc_lo, v116, s18
	s_wait_alu 0xfffd
	v_add_co_ci_u32_e64 v37, null, s19, v117, vcc_lo
	global_load_b32 v36, v[36:37], off offset:1920
.LBB1360_1015:                          ;   in Loop: Header=BB1360_979 Depth=2
	s_wait_alu 0xfffe
	s_or_b32 exec_lo, exec_lo, s17
	s_wait_loadcnt 0xe
	v_cmp_gt_i32_e32 vcc_lo, 0, v2
	s_wait_alu 0xfffd
	v_cndmask_b32_e64 v37, 0x7fffffff, 0, vcc_lo
	s_delay_alu instid0(VALU_DEP_1) | instskip(NEXT) | instid1(VALU_DEP_1)
	v_xor_b32_e32 v2, v37, v2
	v_cmp_ne_u32_e32 vcc_lo, 0x80000000, v2
	s_wait_alu 0xfffd
	v_cndmask_b32_e32 v37, 0x7fffffff, v2, vcc_lo
	s_delay_alu instid0(VALU_DEP_1) | instskip(NEXT) | instid1(VALU_DEP_1)
	v_lshrrev_b32_e32 v37, s49, v37
	v_and_b32_e32 v142, s48, v37
	s_delay_alu instid0(VALU_DEP_1)
	v_and_b32_e32 v37, 1, v142
	v_lshlrev_b32_e32 v137, 30, v142
	v_lshlrev_b32_e32 v138, 29, v142
	v_lshlrev_b32_e32 v139, 28, v142
	v_lshlrev_b32_e32 v141, 27, v142
	v_add_co_u32 v37, s15, v37, -1
	s_wait_alu 0xf1ff
	v_cndmask_b32_e64 v140, 0, 1, s15
	v_not_b32_e32 v146, v137
	v_cmp_gt_i32_e64 s15, 0, v137
	v_not_b32_e32 v137, v138
	v_lshlrev_b32_e32 v144, 26, v142
	v_cmp_ne_u32_e32 vcc_lo, 0, v140
	v_ashrrev_i32_e32 v146, 31, v146
	v_lshlrev_b32_e32 v145, 25, v142
	v_ashrrev_i32_e32 v137, 31, v137
	v_lshlrev_b32_e32 v140, 24, v142
	s_wait_alu 0xfffd
	v_xor_b32_e32 v37, vcc_lo, v37
	v_cmp_gt_i32_e32 vcc_lo, 0, v138
	v_not_b32_e32 v138, v139
	s_wait_alu 0xf1ff
	v_xor_b32_e32 v146, s15, v146
	v_cmp_gt_i32_e64 s15, 0, v139
	v_and_b32_e32 v37, exec_lo, v37
	v_not_b32_e32 v139, v141
	v_ashrrev_i32_e32 v138, 31, v138
	s_wait_alu 0xfffd
	v_xor_b32_e32 v137, vcc_lo, v137
	v_cmp_gt_i32_e32 vcc_lo, 0, v141
	v_and_b32_e32 v37, v37, v146
	v_not_b32_e32 v141, v144
	v_ashrrev_i32_e32 v139, 31, v139
	s_wait_alu 0xf1ff
	v_xor_b32_e32 v138, s15, v138
	v_cmp_gt_i32_e64 s15, 0, v144
	v_and_b32_e32 v37, v37, v137
	v_not_b32_e32 v137, v145
	v_ashrrev_i32_e32 v141, 31, v141
	s_wait_alu 0xfffd
	v_xor_b32_e32 v139, vcc_lo, v139
	v_cmp_gt_i32_e32 vcc_lo, 0, v145
	v_and_b32_e32 v37, v37, v138
	v_not_b32_e32 v138, v140
	v_ashrrev_i32_e32 v137, 31, v137
	s_wait_alu 0xf1ff
	v_xor_b32_e32 v141, s15, v141
	v_cmp_gt_i32_e64 s15, 0, v140
	v_and_b32_e32 v37, v37, v139
	v_ashrrev_i32_e32 v138, 31, v138
	s_wait_alu 0xfffd
	v_xor_b32_e32 v137, vcc_lo, v137
	v_mul_u32_u24_e32 v142, 36, v142
	v_add_nc_u32_e32 v140, 0x428, v67
	v_and_b32_e32 v37, v37, v141
	s_wait_alu 0xf1ff
	v_xor_b32_e32 v139, s15, v138
	v_add_nc_u32_e32 v138, 0x438, v67
	v_add_nc_u32_e32 v141, 0x430, v67
	;; [unrolled: 1-line block ×3, first 2 shown]
	v_and_b32_e32 v37, v37, v137
	ds_store_2addr_b32 v138, v3, v3 offset1:1
	v_and_b32_e32 v37, v37, v139
	v_add_nc_u32_e32 v139, 0x420, v67
	ds_store_2addr_b32 v139, v3, v3 offset1:1
	ds_store_2addr_b32 v140, v3, v3 offset1:1
	;; [unrolled: 1-line block ×3, first 2 shown]
	ds_store_b32 v67, v3 offset:1088
	v_mbcnt_lo_u32_b32 v137, v37, 0
	v_cmp_ne_u32_e64 s15, 0, v37
	s_wait_loadcnt_dscnt 0x0
	s_barrier_signal -1
	s_barrier_wait -1
	v_cmp_eq_u32_e32 vcc_lo, 0, v137
	global_inv scope:SCOPE_SE
	; wave barrier
	s_and_b32 s16, s15, vcc_lo
	s_wait_alu 0xfffe
	s_and_saveexec_b32 s15, s16
; %bb.1016:                             ;   in Loop: Header=BB1360_979 Depth=2
	v_bcnt_u32_b32 v37, v37, 0
	ds_store_b32 v142, v37 offset:1056
; %bb.1017:                             ;   in Loop: Header=BB1360_979 Depth=2
	s_wait_alu 0xfffe
	s_or_b32 exec_lo, exec_lo, s15
	v_cmp_gt_i32_e32 vcc_lo, 0, v136
	; wave barrier
	s_wait_alu 0xfffd
	v_cndmask_b32_e64 v37, 0x7fffffff, 0, vcc_lo
	s_delay_alu instid0(VALU_DEP_1) | instskip(NEXT) | instid1(VALU_DEP_1)
	v_xor_b32_e32 v136, v37, v136
	v_cmp_ne_u32_e32 vcc_lo, 0x80000000, v136
	s_wait_alu 0xfffd
	v_cndmask_b32_e32 v37, 0x7fffffff, v136, vcc_lo
	s_delay_alu instid0(VALU_DEP_1) | instskip(NEXT) | instid1(VALU_DEP_1)
	v_lshrrev_b32_e32 v37, s49, v37
	v_and_b32_e32 v146, s48, v37
	s_delay_alu instid0(VALU_DEP_1)
	v_and_b32_e32 v37, 1, v146
	v_lshlrev_b32_e32 v144, 30, v146
	v_lshlrev_b32_e32 v145, 29, v146
	;; [unrolled: 1-line block ×4, first 2 shown]
	v_add_co_u32 v37, s15, v37, -1
	s_wait_alu 0xf1ff
	v_cndmask_b32_e64 v149, 0, 1, s15
	v_not_b32_e32 v154, v144
	v_cmp_gt_i32_e64 s15, 0, v144
	v_not_b32_e32 v144, v145
	v_lshlrev_b32_e32 v152, 26, v146
	v_cmp_ne_u32_e32 vcc_lo, 0, v149
	v_ashrrev_i32_e32 v154, 31, v154
	v_lshlrev_b32_e32 v153, 25, v146
	v_ashrrev_i32_e32 v144, 31, v144
	v_lshlrev_b32_e32 v149, 24, v146
	s_wait_alu 0xfffd
	v_xor_b32_e32 v37, vcc_lo, v37
	v_cmp_gt_i32_e32 vcc_lo, 0, v145
	v_not_b32_e32 v145, v148
	s_wait_alu 0xf1ff
	v_xor_b32_e32 v154, s15, v154
	v_cmp_gt_i32_e64 s15, 0, v148
	v_and_b32_e32 v37, exec_lo, v37
	v_not_b32_e32 v148, v150
	v_ashrrev_i32_e32 v145, 31, v145
	s_wait_alu 0xfffd
	v_xor_b32_e32 v144, vcc_lo, v144
	v_cmp_gt_i32_e32 vcc_lo, 0, v150
	v_and_b32_e32 v37, v37, v154
	v_not_b32_e32 v150, v152
	v_ashrrev_i32_e32 v148, 31, v148
	s_wait_alu 0xf1ff
	v_xor_b32_e32 v145, s15, v145
	v_cmp_gt_i32_e64 s15, 0, v152
	v_and_b32_e32 v37, v37, v144
	v_not_b32_e32 v144, v153
	v_ashrrev_i32_e32 v150, 31, v150
	s_wait_alu 0xfffd
	v_xor_b32_e32 v148, vcc_lo, v148
	v_cmp_gt_i32_e32 vcc_lo, 0, v153
	v_and_b32_e32 v37, v37, v145
	v_not_b32_e32 v145, v149
	v_ashrrev_i32_e32 v144, 31, v144
	s_wait_alu 0xf1ff
	v_xor_b32_e32 v150, s15, v150
	v_cmp_gt_i32_e64 s15, 0, v149
	v_and_b32_e32 v37, v37, v148
	v_ashrrev_i32_e32 v145, 31, v145
	s_wait_alu 0xfffd
	v_xor_b32_e32 v144, vcc_lo, v144
	v_mad_u32_u24 v148, v146, 36, v118
	v_mul_u32_u24_e32 v146, 36, v146
	v_and_b32_e32 v37, v37, v150
	s_wait_alu 0xf1ff
	v_xor_b32_e32 v145, s15, v145
	s_delay_alu instid0(VALU_DEP_3) | instskip(NEXT) | instid1(VALU_DEP_3)
	v_add_nc_u32_e32 v146, v118, v146
	v_and_b32_e32 v37, v37, v144
	ds_load_b32 v144, v148 offset:1056
	; wave barrier
	v_and_b32_e32 v37, v37, v145
	s_delay_alu instid0(VALU_DEP_1) | instskip(SKIP_1) | instid1(VALU_DEP_2)
	v_mbcnt_lo_u32_b32 v145, v37, 0
	v_cmp_ne_u32_e64 s15, 0, v37
	v_cmp_eq_u32_e32 vcc_lo, 0, v145
	s_and_b32 s16, s15, vcc_lo
	s_wait_alu 0xfffe
	s_and_saveexec_b32 s15, s16
	s_cbranch_execz .LBB1360_1019
; %bb.1018:                             ;   in Loop: Header=BB1360_979 Depth=2
	s_wait_dscnt 0x0
	v_bcnt_u32_b32 v37, v37, v144
	ds_store_b32 v146, v37 offset:1056
.LBB1360_1019:                          ;   in Loop: Header=BB1360_979 Depth=2
	s_wait_alu 0xfffe
	s_or_b32 exec_lo, exec_lo, s15
	v_cmp_gt_i32_e32 vcc_lo, 0, v143
	; wave barrier
	s_wait_alu 0xfffd
	v_cndmask_b32_e64 v37, 0x7fffffff, 0, vcc_lo
	s_delay_alu instid0(VALU_DEP_1) | instskip(NEXT) | instid1(VALU_DEP_1)
	v_xor_b32_e32 v143, v37, v143
	v_cmp_ne_u32_e32 vcc_lo, 0x80000000, v143
	s_wait_alu 0xfffd
	v_cndmask_b32_e32 v37, 0x7fffffff, v143, vcc_lo
	s_delay_alu instid0(VALU_DEP_1) | instskip(NEXT) | instid1(VALU_DEP_1)
	v_lshrrev_b32_e32 v37, s49, v37
	v_and_b32_e32 v150, s48, v37
	s_delay_alu instid0(VALU_DEP_1)
	v_and_b32_e32 v37, 1, v150
	v_lshlrev_b32_e32 v148, 30, v150
	v_lshlrev_b32_e32 v149, 29, v150
	;; [unrolled: 1-line block ×4, first 2 shown]
	v_add_co_u32 v37, s15, v37, -1
	s_wait_alu 0xf1ff
	v_cndmask_b32_e64 v153, 0, 1, s15
	v_not_b32_e32 v158, v148
	v_cmp_gt_i32_e64 s15, 0, v148
	v_not_b32_e32 v148, v149
	v_lshlrev_b32_e32 v156, 26, v150
	v_cmp_ne_u32_e32 vcc_lo, 0, v153
	v_ashrrev_i32_e32 v158, 31, v158
	v_lshlrev_b32_e32 v157, 25, v150
	v_ashrrev_i32_e32 v148, 31, v148
	v_lshlrev_b32_e32 v153, 24, v150
	s_wait_alu 0xfffd
	v_xor_b32_e32 v37, vcc_lo, v37
	v_cmp_gt_i32_e32 vcc_lo, 0, v149
	v_not_b32_e32 v149, v152
	s_wait_alu 0xf1ff
	v_xor_b32_e32 v158, s15, v158
	v_cmp_gt_i32_e64 s15, 0, v152
	v_and_b32_e32 v37, exec_lo, v37
	v_not_b32_e32 v152, v154
	v_ashrrev_i32_e32 v149, 31, v149
	s_wait_alu 0xfffd
	v_xor_b32_e32 v148, vcc_lo, v148
	v_cmp_gt_i32_e32 vcc_lo, 0, v154
	v_and_b32_e32 v37, v37, v158
	v_not_b32_e32 v154, v156
	v_ashrrev_i32_e32 v152, 31, v152
	s_wait_alu 0xf1ff
	v_xor_b32_e32 v149, s15, v149
	v_cmp_gt_i32_e64 s15, 0, v156
	v_and_b32_e32 v37, v37, v148
	v_not_b32_e32 v148, v157
	v_ashrrev_i32_e32 v154, 31, v154
	s_wait_alu 0xfffd
	v_xor_b32_e32 v152, vcc_lo, v152
	v_cmp_gt_i32_e32 vcc_lo, 0, v157
	v_and_b32_e32 v37, v37, v149
	v_not_b32_e32 v149, v153
	v_ashrrev_i32_e32 v148, 31, v148
	s_wait_alu 0xf1ff
	v_xor_b32_e32 v154, s15, v154
	v_cmp_gt_i32_e64 s15, 0, v153
	v_and_b32_e32 v37, v37, v152
	v_ashrrev_i32_e32 v149, 31, v149
	s_wait_alu 0xfffd
	v_xor_b32_e32 v148, vcc_lo, v148
	v_mad_u32_u24 v152, v150, 36, v118
	v_mul_u32_u24_e32 v150, 36, v150
	v_and_b32_e32 v37, v37, v154
	s_wait_alu 0xf1ff
	v_xor_b32_e32 v149, s15, v149
	s_delay_alu instid0(VALU_DEP_3) | instskip(NEXT) | instid1(VALU_DEP_3)
	v_add_nc_u32_e32 v150, v118, v150
	v_and_b32_e32 v37, v37, v148
	ds_load_b32 v148, v152 offset:1056
	; wave barrier
	v_and_b32_e32 v37, v37, v149
	s_delay_alu instid0(VALU_DEP_1) | instskip(SKIP_1) | instid1(VALU_DEP_2)
	v_mbcnt_lo_u32_b32 v149, v37, 0
	v_cmp_ne_u32_e64 s15, 0, v37
	v_cmp_eq_u32_e32 vcc_lo, 0, v149
	s_and_b32 s16, s15, vcc_lo
	s_wait_alu 0xfffe
	s_and_saveexec_b32 s15, s16
	s_cbranch_execz .LBB1360_1021
; %bb.1020:                             ;   in Loop: Header=BB1360_979 Depth=2
	s_wait_dscnt 0x0
	v_bcnt_u32_b32 v37, v37, v148
	ds_store_b32 v150, v37 offset:1056
.LBB1360_1021:                          ;   in Loop: Header=BB1360_979 Depth=2
	s_wait_alu 0xfffe
	s_or_b32 exec_lo, exec_lo, s15
	v_cmp_gt_i32_e32 vcc_lo, 0, v147
	; wave barrier
	s_wait_alu 0xfffd
	v_cndmask_b32_e64 v37, 0x7fffffff, 0, vcc_lo
	s_delay_alu instid0(VALU_DEP_1) | instskip(NEXT) | instid1(VALU_DEP_1)
	v_xor_b32_e32 v147, v37, v147
	v_cmp_ne_u32_e32 vcc_lo, 0x80000000, v147
	s_wait_alu 0xfffd
	v_cndmask_b32_e32 v37, 0x7fffffff, v147, vcc_lo
	s_delay_alu instid0(VALU_DEP_1) | instskip(NEXT) | instid1(VALU_DEP_1)
	v_lshrrev_b32_e32 v37, s49, v37
	v_and_b32_e32 v154, s48, v37
	s_delay_alu instid0(VALU_DEP_1)
	v_and_b32_e32 v37, 1, v154
	v_lshlrev_b32_e32 v152, 30, v154
	v_lshlrev_b32_e32 v153, 29, v154
	;; [unrolled: 1-line block ×4, first 2 shown]
	v_add_co_u32 v37, s15, v37, -1
	s_wait_alu 0xf1ff
	v_cndmask_b32_e64 v157, 0, 1, s15
	v_not_b32_e32 v162, v152
	v_cmp_gt_i32_e64 s15, 0, v152
	v_not_b32_e32 v152, v153
	v_lshlrev_b32_e32 v160, 26, v154
	v_cmp_ne_u32_e32 vcc_lo, 0, v157
	v_ashrrev_i32_e32 v162, 31, v162
	v_lshlrev_b32_e32 v161, 25, v154
	v_ashrrev_i32_e32 v152, 31, v152
	v_lshlrev_b32_e32 v157, 24, v154
	s_wait_alu 0xfffd
	v_xor_b32_e32 v37, vcc_lo, v37
	v_cmp_gt_i32_e32 vcc_lo, 0, v153
	v_not_b32_e32 v153, v156
	s_wait_alu 0xf1ff
	v_xor_b32_e32 v162, s15, v162
	v_cmp_gt_i32_e64 s15, 0, v156
	v_and_b32_e32 v37, exec_lo, v37
	v_not_b32_e32 v156, v158
	v_ashrrev_i32_e32 v153, 31, v153
	s_wait_alu 0xfffd
	v_xor_b32_e32 v152, vcc_lo, v152
	v_cmp_gt_i32_e32 vcc_lo, 0, v158
	v_and_b32_e32 v37, v37, v162
	v_not_b32_e32 v158, v160
	v_ashrrev_i32_e32 v156, 31, v156
	s_wait_alu 0xf1ff
	v_xor_b32_e32 v153, s15, v153
	v_cmp_gt_i32_e64 s15, 0, v160
	v_and_b32_e32 v37, v37, v152
	v_not_b32_e32 v152, v161
	v_ashrrev_i32_e32 v158, 31, v158
	s_wait_alu 0xfffd
	v_xor_b32_e32 v156, vcc_lo, v156
	v_cmp_gt_i32_e32 vcc_lo, 0, v161
	v_and_b32_e32 v37, v37, v153
	v_not_b32_e32 v153, v157
	v_ashrrev_i32_e32 v152, 31, v152
	s_wait_alu 0xf1ff
	v_xor_b32_e32 v158, s15, v158
	v_cmp_gt_i32_e64 s15, 0, v157
	v_and_b32_e32 v37, v37, v156
	v_ashrrev_i32_e32 v153, 31, v153
	s_wait_alu 0xfffd
	v_xor_b32_e32 v152, vcc_lo, v152
	v_mad_u32_u24 v156, v154, 36, v118
	v_mul_u32_u24_e32 v154, 36, v154
	v_and_b32_e32 v37, v37, v158
	s_wait_alu 0xf1ff
	v_xor_b32_e32 v153, s15, v153
	s_delay_alu instid0(VALU_DEP_3) | instskip(NEXT) | instid1(VALU_DEP_3)
	v_add_nc_u32_e32 v154, v118, v154
	v_and_b32_e32 v37, v37, v152
	ds_load_b32 v152, v156 offset:1056
	; wave barrier
	v_and_b32_e32 v37, v37, v153
	s_delay_alu instid0(VALU_DEP_1) | instskip(SKIP_1) | instid1(VALU_DEP_2)
	v_mbcnt_lo_u32_b32 v153, v37, 0
	v_cmp_ne_u32_e64 s15, 0, v37
	v_cmp_eq_u32_e32 vcc_lo, 0, v153
	s_and_b32 s16, s15, vcc_lo
	s_wait_alu 0xfffe
	s_and_saveexec_b32 s15, s16
	s_cbranch_execz .LBB1360_1023
; %bb.1022:                             ;   in Loop: Header=BB1360_979 Depth=2
	s_wait_dscnt 0x0
	v_bcnt_u32_b32 v37, v37, v152
	ds_store_b32 v154, v37 offset:1056
.LBB1360_1023:                          ;   in Loop: Header=BB1360_979 Depth=2
	s_wait_alu 0xfffe
	s_or_b32 exec_lo, exec_lo, s15
	v_cmp_gt_i32_e32 vcc_lo, 0, v151
	; wave barrier
	s_wait_alu 0xfffd
	v_cndmask_b32_e64 v37, 0x7fffffff, 0, vcc_lo
	s_delay_alu instid0(VALU_DEP_1) | instskip(NEXT) | instid1(VALU_DEP_1)
	v_xor_b32_e32 v151, v37, v151
	v_cmp_ne_u32_e32 vcc_lo, 0x80000000, v151
	s_wait_alu 0xfffd
	v_cndmask_b32_e32 v37, 0x7fffffff, v151, vcc_lo
	s_delay_alu instid0(VALU_DEP_1) | instskip(NEXT) | instid1(VALU_DEP_1)
	v_lshrrev_b32_e32 v37, s49, v37
	v_and_b32_e32 v158, s48, v37
	s_delay_alu instid0(VALU_DEP_1)
	v_and_b32_e32 v37, 1, v158
	v_lshlrev_b32_e32 v156, 30, v158
	v_lshlrev_b32_e32 v157, 29, v158
	;; [unrolled: 1-line block ×4, first 2 shown]
	v_add_co_u32 v37, s15, v37, -1
	s_wait_alu 0xf1ff
	v_cndmask_b32_e64 v161, 0, 1, s15
	v_not_b32_e32 v167, v156
	v_cmp_gt_i32_e64 s15, 0, v156
	v_not_b32_e32 v156, v157
	v_lshlrev_b32_e32 v164, 26, v158
	v_cmp_ne_u32_e32 vcc_lo, 0, v161
	v_ashrrev_i32_e32 v167, 31, v167
	v_lshlrev_b32_e32 v165, 25, v158
	v_ashrrev_i32_e32 v156, 31, v156
	v_lshlrev_b32_e32 v161, 24, v158
	s_wait_alu 0xfffd
	v_xor_b32_e32 v37, vcc_lo, v37
	v_cmp_gt_i32_e32 vcc_lo, 0, v157
	v_not_b32_e32 v157, v160
	s_wait_alu 0xf1ff
	v_xor_b32_e32 v167, s15, v167
	v_cmp_gt_i32_e64 s15, 0, v160
	v_and_b32_e32 v37, exec_lo, v37
	v_not_b32_e32 v160, v162
	v_ashrrev_i32_e32 v157, 31, v157
	s_wait_alu 0xfffd
	v_xor_b32_e32 v156, vcc_lo, v156
	v_cmp_gt_i32_e32 vcc_lo, 0, v162
	v_and_b32_e32 v37, v37, v167
	v_not_b32_e32 v162, v164
	v_ashrrev_i32_e32 v160, 31, v160
	s_wait_alu 0xf1ff
	v_xor_b32_e32 v157, s15, v157
	v_cmp_gt_i32_e64 s15, 0, v164
	v_and_b32_e32 v37, v37, v156
	v_not_b32_e32 v156, v165
	v_ashrrev_i32_e32 v162, 31, v162
	s_wait_alu 0xfffd
	v_xor_b32_e32 v160, vcc_lo, v160
	v_cmp_gt_i32_e32 vcc_lo, 0, v165
	v_and_b32_e32 v37, v37, v157
	v_not_b32_e32 v157, v161
	v_ashrrev_i32_e32 v156, 31, v156
	s_wait_alu 0xf1ff
	v_xor_b32_e32 v162, s15, v162
	v_cmp_gt_i32_e64 s15, 0, v161
	v_and_b32_e32 v37, v37, v160
	v_ashrrev_i32_e32 v157, 31, v157
	s_wait_alu 0xfffd
	v_xor_b32_e32 v156, vcc_lo, v156
	v_mad_u32_u24 v160, v158, 36, v118
	v_mul_u32_u24_e32 v158, 36, v158
	v_and_b32_e32 v37, v37, v162
	s_wait_alu 0xf1ff
	v_xor_b32_e32 v157, s15, v157
	s_delay_alu instid0(VALU_DEP_3) | instskip(NEXT) | instid1(VALU_DEP_3)
	v_add_nc_u32_e32 v158, v118, v158
	v_and_b32_e32 v37, v37, v156
	ds_load_b32 v156, v160 offset:1056
	; wave barrier
	v_and_b32_e32 v37, v37, v157
	s_delay_alu instid0(VALU_DEP_1) | instskip(SKIP_1) | instid1(VALU_DEP_2)
	v_mbcnt_lo_u32_b32 v157, v37, 0
	v_cmp_ne_u32_e64 s15, 0, v37
	v_cmp_eq_u32_e32 vcc_lo, 0, v157
	s_and_b32 s16, s15, vcc_lo
	s_wait_alu 0xfffe
	s_and_saveexec_b32 s15, s16
	s_cbranch_execz .LBB1360_1025
; %bb.1024:                             ;   in Loop: Header=BB1360_979 Depth=2
	s_wait_dscnt 0x0
	v_bcnt_u32_b32 v37, v37, v156
	ds_store_b32 v158, v37 offset:1056
.LBB1360_1025:                          ;   in Loop: Header=BB1360_979 Depth=2
	s_wait_alu 0xfffe
	s_or_b32 exec_lo, exec_lo, s15
	v_cmp_gt_i32_e32 vcc_lo, 0, v155
	; wave barrier
	s_wait_alu 0xfffd
	v_cndmask_b32_e64 v37, 0x7fffffff, 0, vcc_lo
	s_delay_alu instid0(VALU_DEP_1) | instskip(NEXT) | instid1(VALU_DEP_1)
	v_xor_b32_e32 v155, v37, v155
	v_cmp_ne_u32_e32 vcc_lo, 0x80000000, v155
	s_wait_alu 0xfffd
	v_cndmask_b32_e32 v37, 0x7fffffff, v155, vcc_lo
	s_delay_alu instid0(VALU_DEP_1) | instskip(NEXT) | instid1(VALU_DEP_1)
	v_lshrrev_b32_e32 v37, s49, v37
	v_and_b32_e32 v162, s48, v37
	s_delay_alu instid0(VALU_DEP_1)
	v_and_b32_e32 v37, 1, v162
	v_lshlrev_b32_e32 v160, 30, v162
	v_lshlrev_b32_e32 v161, 29, v162
	v_lshlrev_b32_e32 v164, 28, v162
	v_lshlrev_b32_e32 v167, 27, v162
	v_add_co_u32 v37, s15, v37, -1
	s_wait_alu 0xf1ff
	v_cndmask_b32_e64 v165, 0, 1, s15
	v_not_b32_e32 v170, v160
	v_cmp_gt_i32_e64 s15, 0, v160
	v_not_b32_e32 v160, v161
	v_lshlrev_b32_e32 v168, 26, v162
	v_cmp_ne_u32_e32 vcc_lo, 0, v165
	v_ashrrev_i32_e32 v170, 31, v170
	v_lshlrev_b32_e32 v169, 25, v162
	v_ashrrev_i32_e32 v160, 31, v160
	v_lshlrev_b32_e32 v165, 24, v162
	s_wait_alu 0xfffd
	v_xor_b32_e32 v37, vcc_lo, v37
	v_cmp_gt_i32_e32 vcc_lo, 0, v161
	v_not_b32_e32 v161, v164
	s_wait_alu 0xf1ff
	v_xor_b32_e32 v170, s15, v170
	v_cmp_gt_i32_e64 s15, 0, v164
	v_and_b32_e32 v37, exec_lo, v37
	v_not_b32_e32 v164, v167
	v_ashrrev_i32_e32 v161, 31, v161
	s_wait_alu 0xfffd
	v_xor_b32_e32 v160, vcc_lo, v160
	v_cmp_gt_i32_e32 vcc_lo, 0, v167
	v_and_b32_e32 v37, v37, v170
	v_not_b32_e32 v167, v168
	v_ashrrev_i32_e32 v164, 31, v164
	s_wait_alu 0xf1ff
	v_xor_b32_e32 v161, s15, v161
	v_cmp_gt_i32_e64 s15, 0, v168
	v_and_b32_e32 v37, v37, v160
	v_not_b32_e32 v160, v169
	v_ashrrev_i32_e32 v167, 31, v167
	s_wait_alu 0xfffd
	v_xor_b32_e32 v164, vcc_lo, v164
	v_cmp_gt_i32_e32 vcc_lo, 0, v169
	v_and_b32_e32 v37, v37, v161
	v_not_b32_e32 v161, v165
	v_ashrrev_i32_e32 v160, 31, v160
	s_wait_alu 0xf1ff
	v_xor_b32_e32 v167, s15, v167
	v_cmp_gt_i32_e64 s15, 0, v165
	v_and_b32_e32 v37, v37, v164
	v_ashrrev_i32_e32 v161, 31, v161
	s_wait_alu 0xfffd
	v_xor_b32_e32 v160, vcc_lo, v160
	v_mad_u32_u24 v164, v162, 36, v118
	v_mul_u32_u24_e32 v162, 36, v162
	v_and_b32_e32 v37, v37, v167
	s_wait_alu 0xf1ff
	v_xor_b32_e32 v161, s15, v161
	s_delay_alu instid0(VALU_DEP_3) | instskip(NEXT) | instid1(VALU_DEP_3)
	v_add_nc_u32_e32 v162, v118, v162
	v_and_b32_e32 v37, v37, v160
	ds_load_b32 v160, v164 offset:1056
	; wave barrier
	v_and_b32_e32 v37, v37, v161
	s_delay_alu instid0(VALU_DEP_1) | instskip(SKIP_1) | instid1(VALU_DEP_2)
	v_mbcnt_lo_u32_b32 v161, v37, 0
	v_cmp_ne_u32_e64 s15, 0, v37
	v_cmp_eq_u32_e32 vcc_lo, 0, v161
	s_and_b32 s16, s15, vcc_lo
	s_wait_alu 0xfffe
	s_and_saveexec_b32 s15, s16
	s_cbranch_execz .LBB1360_1027
; %bb.1026:                             ;   in Loop: Header=BB1360_979 Depth=2
	s_wait_dscnt 0x0
	v_bcnt_u32_b32 v37, v37, v160
	ds_store_b32 v162, v37 offset:1056
.LBB1360_1027:                          ;   in Loop: Header=BB1360_979 Depth=2
	s_wait_alu 0xfffe
	s_or_b32 exec_lo, exec_lo, s15
	v_cmp_gt_i32_e32 vcc_lo, 0, v159
	; wave barrier
	s_wait_alu 0xfffd
	v_cndmask_b32_e64 v37, 0x7fffffff, 0, vcc_lo
	s_delay_alu instid0(VALU_DEP_1) | instskip(NEXT) | instid1(VALU_DEP_1)
	v_xor_b32_e32 v159, v37, v159
	v_cmp_ne_u32_e32 vcc_lo, 0x80000000, v159
	s_wait_alu 0xfffd
	v_cndmask_b32_e32 v37, 0x7fffffff, v159, vcc_lo
	s_delay_alu instid0(VALU_DEP_1) | instskip(NEXT) | instid1(VALU_DEP_1)
	v_lshrrev_b32_e32 v37, s49, v37
	v_and_b32_e32 v167, s48, v37
	s_delay_alu instid0(VALU_DEP_1)
	v_and_b32_e32 v37, 1, v167
	v_lshlrev_b32_e32 v164, 30, v167
	v_lshlrev_b32_e32 v165, 29, v167
	;; [unrolled: 1-line block ×4, first 2 shown]
	v_add_co_u32 v37, s15, v37, -1
	s_wait_alu 0xf1ff
	v_cndmask_b32_e64 v169, 0, 1, s15
	v_not_b32_e32 v173, v164
	v_cmp_gt_i32_e64 s15, 0, v164
	v_not_b32_e32 v164, v165
	v_lshlrev_b32_e32 v171, 26, v167
	v_cmp_ne_u32_e32 vcc_lo, 0, v169
	v_ashrrev_i32_e32 v173, 31, v173
	v_lshlrev_b32_e32 v172, 25, v167
	v_ashrrev_i32_e32 v164, 31, v164
	v_lshlrev_b32_e32 v169, 24, v167
	s_wait_alu 0xfffd
	v_xor_b32_e32 v37, vcc_lo, v37
	v_cmp_gt_i32_e32 vcc_lo, 0, v165
	v_not_b32_e32 v165, v168
	s_wait_alu 0xf1ff
	v_xor_b32_e32 v173, s15, v173
	v_cmp_gt_i32_e64 s15, 0, v168
	v_and_b32_e32 v37, exec_lo, v37
	v_not_b32_e32 v168, v170
	v_ashrrev_i32_e32 v165, 31, v165
	s_wait_alu 0xfffd
	v_xor_b32_e32 v164, vcc_lo, v164
	v_cmp_gt_i32_e32 vcc_lo, 0, v170
	v_and_b32_e32 v37, v37, v173
	v_not_b32_e32 v170, v171
	v_ashrrev_i32_e32 v168, 31, v168
	s_wait_alu 0xf1ff
	v_xor_b32_e32 v165, s15, v165
	v_cmp_gt_i32_e64 s15, 0, v171
	v_and_b32_e32 v37, v37, v164
	v_not_b32_e32 v164, v172
	v_ashrrev_i32_e32 v170, 31, v170
	s_wait_alu 0xfffd
	v_xor_b32_e32 v168, vcc_lo, v168
	v_cmp_gt_i32_e32 vcc_lo, 0, v172
	v_and_b32_e32 v37, v37, v165
	v_not_b32_e32 v165, v169
	v_ashrrev_i32_e32 v164, 31, v164
	s_wait_alu 0xf1ff
	v_xor_b32_e32 v170, s15, v170
	v_cmp_gt_i32_e64 s15, 0, v169
	v_and_b32_e32 v37, v37, v168
	v_ashrrev_i32_e32 v165, 31, v165
	s_wait_alu 0xfffd
	v_xor_b32_e32 v164, vcc_lo, v164
	v_mad_u32_u24 v168, v167, 36, v118
	v_mul_u32_u24_e32 v167, 36, v167
	v_and_b32_e32 v37, v37, v170
	s_wait_alu 0xf1ff
	v_xor_b32_e32 v165, s15, v165
	s_delay_alu instid0(VALU_DEP_3) | instskip(NEXT) | instid1(VALU_DEP_3)
	v_add_nc_u32_e32 v167, v118, v167
	v_and_b32_e32 v37, v37, v164
	ds_load_b32 v164, v168 offset:1056
	; wave barrier
	v_and_b32_e32 v37, v37, v165
	s_delay_alu instid0(VALU_DEP_1) | instskip(SKIP_1) | instid1(VALU_DEP_2)
	v_mbcnt_lo_u32_b32 v165, v37, 0
	v_cmp_ne_u32_e64 s15, 0, v37
	v_cmp_eq_u32_e32 vcc_lo, 0, v165
	s_and_b32 s16, s15, vcc_lo
	s_wait_alu 0xfffe
	s_and_saveexec_b32 s15, s16
	s_cbranch_execz .LBB1360_1029
; %bb.1028:                             ;   in Loop: Header=BB1360_979 Depth=2
	s_wait_dscnt 0x0
	v_bcnt_u32_b32 v37, v37, v164
	ds_store_b32 v167, v37 offset:1056
.LBB1360_1029:                          ;   in Loop: Header=BB1360_979 Depth=2
	s_wait_alu 0xfffe
	s_or_b32 exec_lo, exec_lo, s15
	v_cmp_gt_i32_e32 vcc_lo, 0, v163
	; wave barrier
	s_wait_alu 0xfffd
	v_cndmask_b32_e64 v37, 0x7fffffff, 0, vcc_lo
	s_delay_alu instid0(VALU_DEP_1) | instskip(NEXT) | instid1(VALU_DEP_1)
	v_xor_b32_e32 v163, v37, v163
	v_cmp_ne_u32_e32 vcc_lo, 0x80000000, v163
	s_wait_alu 0xfffd
	v_cndmask_b32_e32 v37, 0x7fffffff, v163, vcc_lo
	s_delay_alu instid0(VALU_DEP_1) | instskip(NEXT) | instid1(VALU_DEP_1)
	v_lshrrev_b32_e32 v37, s49, v37
	v_and_b32_e32 v170, s48, v37
	s_delay_alu instid0(VALU_DEP_1)
	v_and_b32_e32 v37, 1, v170
	v_lshlrev_b32_e32 v168, 30, v170
	v_lshlrev_b32_e32 v169, 29, v170
	;; [unrolled: 1-line block ×4, first 2 shown]
	v_add_co_u32 v37, s15, v37, -1
	s_wait_alu 0xf1ff
	v_cndmask_b32_e64 v172, 0, 1, s15
	v_not_b32_e32 v176, v168
	v_cmp_gt_i32_e64 s15, 0, v168
	v_not_b32_e32 v168, v169
	v_lshlrev_b32_e32 v174, 26, v170
	v_cmp_ne_u32_e32 vcc_lo, 0, v172
	v_ashrrev_i32_e32 v176, 31, v176
	v_lshlrev_b32_e32 v175, 25, v170
	v_ashrrev_i32_e32 v168, 31, v168
	v_lshlrev_b32_e32 v172, 24, v170
	s_wait_alu 0xfffd
	v_xor_b32_e32 v37, vcc_lo, v37
	v_cmp_gt_i32_e32 vcc_lo, 0, v169
	v_not_b32_e32 v169, v171
	s_wait_alu 0xf1ff
	v_xor_b32_e32 v176, s15, v176
	v_cmp_gt_i32_e64 s15, 0, v171
	v_and_b32_e32 v37, exec_lo, v37
	v_not_b32_e32 v171, v173
	v_ashrrev_i32_e32 v169, 31, v169
	s_wait_alu 0xfffd
	v_xor_b32_e32 v168, vcc_lo, v168
	v_cmp_gt_i32_e32 vcc_lo, 0, v173
	v_and_b32_e32 v37, v37, v176
	v_not_b32_e32 v173, v174
	v_ashrrev_i32_e32 v171, 31, v171
	s_wait_alu 0xf1ff
	v_xor_b32_e32 v169, s15, v169
	v_cmp_gt_i32_e64 s15, 0, v174
	v_and_b32_e32 v37, v37, v168
	v_not_b32_e32 v168, v175
	v_ashrrev_i32_e32 v173, 31, v173
	s_wait_alu 0xfffd
	v_xor_b32_e32 v171, vcc_lo, v171
	v_cmp_gt_i32_e32 vcc_lo, 0, v175
	v_and_b32_e32 v37, v37, v169
	v_not_b32_e32 v169, v172
	v_ashrrev_i32_e32 v168, 31, v168
	s_wait_alu 0xf1ff
	v_xor_b32_e32 v173, s15, v173
	v_cmp_gt_i32_e64 s15, 0, v172
	v_and_b32_e32 v37, v37, v171
	v_ashrrev_i32_e32 v169, 31, v169
	s_wait_alu 0xfffd
	v_xor_b32_e32 v168, vcc_lo, v168
	v_mad_u32_u24 v171, v170, 36, v118
	v_mul_u32_u24_e32 v170, 36, v170
	v_and_b32_e32 v37, v37, v173
	s_wait_alu 0xf1ff
	v_xor_b32_e32 v169, s15, v169
	s_delay_alu instid0(VALU_DEP_3) | instskip(NEXT) | instid1(VALU_DEP_3)
	v_add_nc_u32_e32 v170, v118, v170
	v_and_b32_e32 v37, v37, v168
	ds_load_b32 v168, v171 offset:1056
	; wave barrier
	v_and_b32_e32 v37, v37, v169
	s_delay_alu instid0(VALU_DEP_1) | instskip(SKIP_1) | instid1(VALU_DEP_2)
	v_mbcnt_lo_u32_b32 v169, v37, 0
	v_cmp_ne_u32_e64 s15, 0, v37
	v_cmp_eq_u32_e32 vcc_lo, 0, v169
	s_and_b32 s16, s15, vcc_lo
	s_wait_alu 0xfffe
	s_and_saveexec_b32 s15, s16
	s_cbranch_execz .LBB1360_1031
; %bb.1030:                             ;   in Loop: Header=BB1360_979 Depth=2
	s_wait_dscnt 0x0
	v_bcnt_u32_b32 v37, v37, v168
	ds_store_b32 v170, v37 offset:1056
.LBB1360_1031:                          ;   in Loop: Header=BB1360_979 Depth=2
	s_wait_alu 0xfffe
	s_or_b32 exec_lo, exec_lo, s15
	v_cmp_gt_i32_e32 vcc_lo, 0, v166
	; wave barrier
	s_wait_alu 0xfffd
	v_cndmask_b32_e64 v37, 0x7fffffff, 0, vcc_lo
	s_delay_alu instid0(VALU_DEP_1) | instskip(NEXT) | instid1(VALU_DEP_1)
	v_xor_b32_e32 v166, v37, v166
	v_cmp_ne_u32_e32 vcc_lo, 0x80000000, v166
	s_wait_alu 0xfffd
	v_cndmask_b32_e32 v37, 0x7fffffff, v166, vcc_lo
	s_delay_alu instid0(VALU_DEP_1) | instskip(NEXT) | instid1(VALU_DEP_1)
	v_lshrrev_b32_e32 v37, s49, v37
	v_and_b32_e32 v171, s48, v37
	s_delay_alu instid0(VALU_DEP_1)
	v_and_b32_e32 v37, 1, v171
	v_lshlrev_b32_e32 v172, 30, v171
	v_lshlrev_b32_e32 v173, 29, v171
	;; [unrolled: 1-line block ×4, first 2 shown]
	v_add_co_u32 v37, s15, v37, -1
	s_wait_alu 0xf1ff
	v_cndmask_b32_e64 v175, 0, 1, s15
	v_not_b32_e32 v179, v172
	v_cmp_gt_i32_e64 s15, 0, v172
	v_not_b32_e32 v172, v173
	v_lshlrev_b32_e32 v177, 26, v171
	v_cmp_ne_u32_e32 vcc_lo, 0, v175
	v_ashrrev_i32_e32 v179, 31, v179
	v_lshlrev_b32_e32 v178, 25, v171
	v_ashrrev_i32_e32 v172, 31, v172
	v_lshlrev_b32_e32 v175, 24, v171
	s_wait_alu 0xfffd
	v_xor_b32_e32 v37, vcc_lo, v37
	v_cmp_gt_i32_e32 vcc_lo, 0, v173
	v_not_b32_e32 v173, v174
	s_wait_alu 0xf1ff
	v_xor_b32_e32 v179, s15, v179
	v_cmp_gt_i32_e64 s15, 0, v174
	v_and_b32_e32 v37, exec_lo, v37
	v_not_b32_e32 v174, v176
	v_ashrrev_i32_e32 v173, 31, v173
	s_wait_alu 0xfffd
	v_xor_b32_e32 v172, vcc_lo, v172
	v_cmp_gt_i32_e32 vcc_lo, 0, v176
	v_and_b32_e32 v37, v37, v179
	v_not_b32_e32 v176, v177
	v_ashrrev_i32_e32 v174, 31, v174
	s_wait_alu 0xf1ff
	v_xor_b32_e32 v173, s15, v173
	v_cmp_gt_i32_e64 s15, 0, v177
	v_and_b32_e32 v37, v37, v172
	v_not_b32_e32 v172, v178
	v_ashrrev_i32_e32 v176, 31, v176
	s_wait_alu 0xfffd
	v_xor_b32_e32 v174, vcc_lo, v174
	v_cmp_gt_i32_e32 vcc_lo, 0, v178
	v_and_b32_e32 v37, v37, v173
	v_not_b32_e32 v173, v175
	v_ashrrev_i32_e32 v172, 31, v172
	s_wait_alu 0xf1ff
	v_xor_b32_e32 v176, s15, v176
	v_cmp_gt_i32_e64 s15, 0, v175
	v_and_b32_e32 v37, v37, v174
	v_ashrrev_i32_e32 v173, 31, v173
	s_wait_alu 0xfffd
	v_xor_b32_e32 v172, vcc_lo, v172
	v_mad_u32_u24 v174, v171, 36, v118
	v_mul_u32_u24_e32 v171, 36, v171
	v_and_b32_e32 v37, v37, v176
	s_wait_alu 0xf1ff
	v_xor_b32_e32 v173, s15, v173
	s_delay_alu instid0(VALU_DEP_2) | instskip(SKIP_3) | instid1(VALU_DEP_1)
	v_and_b32_e32 v37, v37, v172
	ds_load_b32 v172, v174 offset:1056
	v_add_nc_u32_e32 v174, v118, v171
	; wave barrier
	v_and_b32_e32 v37, v37, v173
	v_mbcnt_lo_u32_b32 v173, v37, 0
	v_cmp_ne_u32_e64 s15, 0, v37
	s_delay_alu instid0(VALU_DEP_2)
	v_cmp_eq_u32_e32 vcc_lo, 0, v173
	s_and_b32 s16, s15, vcc_lo
	s_wait_alu 0xfffe
	s_and_saveexec_b32 s15, s16
	s_cbranch_execz .LBB1360_1033
; %bb.1032:                             ;   in Loop: Header=BB1360_979 Depth=2
	s_wait_dscnt 0x0
	v_bcnt_u32_b32 v37, v37, v172
	ds_store_b32 v174, v37 offset:1056
.LBB1360_1033:                          ;   in Loop: Header=BB1360_979 Depth=2
	s_wait_alu 0xfffe
	s_or_b32 exec_lo, exec_lo, s15
	v_cmp_gt_i32_e32 vcc_lo, 0, v43
	; wave barrier
	s_wait_alu 0xfffd
	v_cndmask_b32_e64 v37, 0x7fffffff, 0, vcc_lo
	s_delay_alu instid0(VALU_DEP_1) | instskip(NEXT) | instid1(VALU_DEP_1)
	v_xor_b32_e32 v171, v37, v43
	v_cmp_ne_u32_e32 vcc_lo, 0x80000000, v171
	s_wait_alu 0xfffd
	v_cndmask_b32_e32 v37, 0x7fffffff, v171, vcc_lo
	s_delay_alu instid0(VALU_DEP_1) | instskip(NEXT) | instid1(VALU_DEP_1)
	v_lshrrev_b32_e32 v37, s49, v37
	v_and_b32_e32 v43, s48, v37
	s_delay_alu instid0(VALU_DEP_1)
	v_and_b32_e32 v37, 1, v43
	v_lshlrev_b32_e32 v175, 30, v43
	v_lshlrev_b32_e32 v176, 29, v43
	v_lshlrev_b32_e32 v177, 28, v43
	v_lshlrev_b32_e32 v179, 27, v43
	v_add_co_u32 v37, s15, v37, -1
	s_wait_alu 0xf1ff
	v_cndmask_b32_e64 v178, 0, 1, s15
	v_not_b32_e32 v182, v175
	v_cmp_gt_i32_e64 s15, 0, v175
	v_not_b32_e32 v175, v176
	v_lshlrev_b32_e32 v180, 26, v43
	v_cmp_ne_u32_e32 vcc_lo, 0, v178
	v_ashrrev_i32_e32 v182, 31, v182
	v_lshlrev_b32_e32 v181, 25, v43
	v_ashrrev_i32_e32 v175, 31, v175
	v_lshlrev_b32_e32 v178, 24, v43
	s_wait_alu 0xfffd
	v_xor_b32_e32 v37, vcc_lo, v37
	v_cmp_gt_i32_e32 vcc_lo, 0, v176
	v_not_b32_e32 v176, v177
	s_wait_alu 0xf1ff
	v_xor_b32_e32 v182, s15, v182
	v_cmp_gt_i32_e64 s15, 0, v177
	v_and_b32_e32 v37, exec_lo, v37
	v_not_b32_e32 v177, v179
	v_ashrrev_i32_e32 v176, 31, v176
	s_wait_alu 0xfffd
	v_xor_b32_e32 v175, vcc_lo, v175
	v_cmp_gt_i32_e32 vcc_lo, 0, v179
	v_and_b32_e32 v37, v37, v182
	v_not_b32_e32 v179, v180
	v_ashrrev_i32_e32 v177, 31, v177
	s_wait_alu 0xf1ff
	v_xor_b32_e32 v176, s15, v176
	v_cmp_gt_i32_e64 s15, 0, v180
	v_and_b32_e32 v37, v37, v175
	v_not_b32_e32 v175, v181
	v_ashrrev_i32_e32 v179, 31, v179
	s_wait_alu 0xfffd
	v_xor_b32_e32 v177, vcc_lo, v177
	v_cmp_gt_i32_e32 vcc_lo, 0, v181
	v_and_b32_e32 v37, v37, v176
	v_not_b32_e32 v176, v178
	v_ashrrev_i32_e32 v175, 31, v175
	s_wait_alu 0xf1ff
	v_xor_b32_e32 v179, s15, v179
	v_cmp_gt_i32_e64 s15, 0, v178
	v_and_b32_e32 v37, v37, v177
	v_ashrrev_i32_e32 v176, 31, v176
	s_wait_alu 0xfffd
	v_xor_b32_e32 v175, vcc_lo, v175
	v_mad_u32_u24 v177, v43, 36, v118
	v_mul_u32_u24_e32 v43, 36, v43
	v_and_b32_e32 v37, v37, v179
	s_wait_alu 0xf1ff
	v_xor_b32_e32 v178, s15, v176
	ds_load_b32 v176, v177 offset:1056
	v_and_b32_e32 v37, v37, v175
	; wave barrier
	s_delay_alu instid0(VALU_DEP_1) | instskip(SKIP_1) | instid1(VALU_DEP_2)
	v_and_b32_e32 v37, v37, v178
	v_add_nc_u32_e32 v178, v118, v43
	v_mbcnt_lo_u32_b32 v177, v37, 0
	v_cmp_ne_u32_e64 s15, 0, v37
	s_delay_alu instid0(VALU_DEP_2)
	v_cmp_eq_u32_e32 vcc_lo, 0, v177
	s_and_b32 s16, s15, vcc_lo
	s_wait_alu 0xfffe
	s_and_saveexec_b32 s15, s16
	s_cbranch_execz .LBB1360_1035
; %bb.1034:                             ;   in Loop: Header=BB1360_979 Depth=2
	s_wait_dscnt 0x0
	v_bcnt_u32_b32 v37, v37, v176
	ds_store_b32 v178, v37 offset:1056
.LBB1360_1035:                          ;   in Loop: Header=BB1360_979 Depth=2
	s_wait_alu 0xfffe
	s_or_b32 exec_lo, exec_lo, s15
	v_cmp_gt_i32_e32 vcc_lo, 0, v42
	; wave barrier
	s_wait_alu 0xfffd
	v_cndmask_b32_e64 v37, 0x7fffffff, 0, vcc_lo
	s_delay_alu instid0(VALU_DEP_1) | instskip(NEXT) | instid1(VALU_DEP_1)
	v_xor_b32_e32 v175, v37, v42
	v_cmp_ne_u32_e32 vcc_lo, 0x80000000, v175
	s_wait_alu 0xfffd
	v_cndmask_b32_e32 v37, 0x7fffffff, v175, vcc_lo
	s_delay_alu instid0(VALU_DEP_1) | instskip(NEXT) | instid1(VALU_DEP_1)
	v_lshrrev_b32_e32 v37, s49, v37
	v_and_b32_e32 v42, s48, v37
	s_delay_alu instid0(VALU_DEP_1)
	v_and_b32_e32 v37, 1, v42
	v_lshlrev_b32_e32 v43, 30, v42
	v_lshlrev_b32_e32 v179, 29, v42
	;; [unrolled: 1-line block ×4, first 2 shown]
	v_add_co_u32 v37, s15, v37, -1
	s_wait_alu 0xf1ff
	v_cndmask_b32_e64 v181, 0, 1, s15
	v_not_b32_e32 v185, v43
	v_cmp_gt_i32_e64 s15, 0, v43
	v_not_b32_e32 v43, v179
	v_lshlrev_b32_e32 v183, 26, v42
	v_cmp_ne_u32_e32 vcc_lo, 0, v181
	v_ashrrev_i32_e32 v185, 31, v185
	v_lshlrev_b32_e32 v184, 25, v42
	v_ashrrev_i32_e32 v43, 31, v43
	v_lshlrev_b32_e32 v181, 24, v42
	s_wait_alu 0xfffd
	v_xor_b32_e32 v37, vcc_lo, v37
	v_cmp_gt_i32_e32 vcc_lo, 0, v179
	v_not_b32_e32 v179, v180
	s_wait_alu 0xf1ff
	v_xor_b32_e32 v185, s15, v185
	v_cmp_gt_i32_e64 s15, 0, v180
	v_and_b32_e32 v37, exec_lo, v37
	v_not_b32_e32 v180, v182
	v_ashrrev_i32_e32 v179, 31, v179
	s_wait_alu 0xfffd
	v_xor_b32_e32 v43, vcc_lo, v43
	v_cmp_gt_i32_e32 vcc_lo, 0, v182
	v_and_b32_e32 v37, v37, v185
	v_not_b32_e32 v182, v183
	v_ashrrev_i32_e32 v180, 31, v180
	s_wait_alu 0xf1ff
	v_xor_b32_e32 v179, s15, v179
	v_cmp_gt_i32_e64 s15, 0, v183
	v_and_b32_e32 v37, v37, v43
	v_not_b32_e32 v43, v184
	v_ashrrev_i32_e32 v182, 31, v182
	s_wait_alu 0xfffd
	v_xor_b32_e32 v180, vcc_lo, v180
	v_cmp_gt_i32_e32 vcc_lo, 0, v184
	v_and_b32_e32 v37, v37, v179
	v_not_b32_e32 v179, v181
	v_ashrrev_i32_e32 v43, 31, v43
	s_wait_alu 0xf1ff
	v_xor_b32_e32 v182, s15, v182
	v_cmp_gt_i32_e64 s15, 0, v181
	v_and_b32_e32 v37, v37, v180
	v_ashrrev_i32_e32 v179, 31, v179
	s_wait_alu 0xfffd
	v_xor_b32_e32 v43, vcc_lo, v43
	v_mad_u32_u24 v180, v42, 36, v118
	v_mul_u32_u24_e32 v42, 36, v42
	v_and_b32_e32 v37, v37, v182
	s_wait_alu 0xf1ff
	v_xor_b32_e32 v179, s15, v179
	ds_load_b32 v180, v180 offset:1056
	v_add_nc_u32_e32 v182, v118, v42
	v_and_b32_e32 v37, v37, v43
	; wave barrier
	s_delay_alu instid0(VALU_DEP_1) | instskip(NEXT) | instid1(VALU_DEP_1)
	v_and_b32_e32 v37, v37, v179
	v_mbcnt_lo_u32_b32 v181, v37, 0
	v_cmp_ne_u32_e64 s15, 0, v37
	s_delay_alu instid0(VALU_DEP_2)
	v_cmp_eq_u32_e32 vcc_lo, 0, v181
	s_and_b32 s16, s15, vcc_lo
	s_wait_alu 0xfffe
	s_and_saveexec_b32 s15, s16
	s_cbranch_execz .LBB1360_1037
; %bb.1036:                             ;   in Loop: Header=BB1360_979 Depth=2
	s_wait_dscnt 0x0
	v_bcnt_u32_b32 v37, v37, v180
	ds_store_b32 v182, v37 offset:1056
.LBB1360_1037:                          ;   in Loop: Header=BB1360_979 Depth=2
	s_wait_alu 0xfffe
	s_or_b32 exec_lo, exec_lo, s15
	v_cmp_gt_i32_e32 vcc_lo, 0, v41
	; wave barrier
	s_wait_alu 0xfffd
	v_cndmask_b32_e64 v37, 0x7fffffff, 0, vcc_lo
	s_delay_alu instid0(VALU_DEP_1) | instskip(NEXT) | instid1(VALU_DEP_1)
	v_xor_b32_e32 v179, v37, v41
	v_cmp_ne_u32_e32 vcc_lo, 0x80000000, v179
	s_wait_alu 0xfffd
	v_cndmask_b32_e32 v37, 0x7fffffff, v179, vcc_lo
	s_delay_alu instid0(VALU_DEP_1) | instskip(NEXT) | instid1(VALU_DEP_1)
	v_lshrrev_b32_e32 v37, s49, v37
	v_and_b32_e32 v41, s48, v37
	s_delay_alu instid0(VALU_DEP_1)
	v_and_b32_e32 v37, 1, v41
	v_lshlrev_b32_e32 v42, 30, v41
	v_lshlrev_b32_e32 v43, 29, v41
	;; [unrolled: 1-line block ×4, first 2 shown]
	v_add_co_u32 v37, s15, v37, -1
	s_wait_alu 0xf1ff
	v_cndmask_b32_e64 v184, 0, 1, s15
	v_not_b32_e32 v188, v42
	v_cmp_gt_i32_e64 s15, 0, v42
	v_not_b32_e32 v42, v43
	v_lshlrev_b32_e32 v186, 26, v41
	v_cmp_ne_u32_e32 vcc_lo, 0, v184
	v_ashrrev_i32_e32 v188, 31, v188
	v_lshlrev_b32_e32 v187, 25, v41
	v_ashrrev_i32_e32 v42, 31, v42
	v_lshlrev_b32_e32 v184, 24, v41
	s_wait_alu 0xfffd
	v_xor_b32_e32 v37, vcc_lo, v37
	v_cmp_gt_i32_e32 vcc_lo, 0, v43
	v_not_b32_e32 v43, v183
	s_wait_alu 0xf1ff
	v_xor_b32_e32 v188, s15, v188
	v_cmp_gt_i32_e64 s15, 0, v183
	v_and_b32_e32 v37, exec_lo, v37
	v_not_b32_e32 v183, v185
	v_ashrrev_i32_e32 v43, 31, v43
	s_wait_alu 0xfffd
	v_xor_b32_e32 v42, vcc_lo, v42
	v_cmp_gt_i32_e32 vcc_lo, 0, v185
	v_and_b32_e32 v37, v37, v188
	v_not_b32_e32 v185, v186
	v_ashrrev_i32_e32 v183, 31, v183
	s_wait_alu 0xf1ff
	v_xor_b32_e32 v43, s15, v43
	v_cmp_gt_i32_e64 s15, 0, v186
	v_and_b32_e32 v37, v37, v42
	v_not_b32_e32 v42, v187
	v_ashrrev_i32_e32 v185, 31, v185
	s_wait_alu 0xfffd
	v_xor_b32_e32 v183, vcc_lo, v183
	v_cmp_gt_i32_e32 vcc_lo, 0, v187
	v_and_b32_e32 v37, v37, v43
	v_not_b32_e32 v43, v184
	v_ashrrev_i32_e32 v42, 31, v42
	s_wait_alu 0xf1ff
	v_xor_b32_e32 v185, s15, v185
	v_cmp_gt_i32_e64 s15, 0, v184
	v_and_b32_e32 v37, v37, v183
	v_ashrrev_i32_e32 v43, 31, v43
	s_wait_alu 0xfffd
	v_xor_b32_e32 v42, vcc_lo, v42
	v_mad_u32_u24 v183, v41, 36, v118
	v_mul_u32_u24_e32 v41, 36, v41
	v_and_b32_e32 v37, v37, v185
	s_wait_alu 0xf1ff
	v_xor_b32_e32 v43, s15, v43
	ds_load_b32 v184, v183 offset:1056
	v_add_nc_u32_e32 v186, v118, v41
	v_and_b32_e32 v37, v37, v42
	; wave barrier
	s_delay_alu instid0(VALU_DEP_1) | instskip(NEXT) | instid1(VALU_DEP_1)
	v_and_b32_e32 v37, v37, v43
	v_mbcnt_lo_u32_b32 v185, v37, 0
	v_cmp_ne_u32_e64 s15, 0, v37
	s_delay_alu instid0(VALU_DEP_2)
	v_cmp_eq_u32_e32 vcc_lo, 0, v185
	s_and_b32 s16, s15, vcc_lo
	s_wait_alu 0xfffe
	s_and_saveexec_b32 s15, s16
	s_cbranch_execz .LBB1360_1039
; %bb.1038:                             ;   in Loop: Header=BB1360_979 Depth=2
	s_wait_dscnt 0x0
	v_bcnt_u32_b32 v37, v37, v184
	ds_store_b32 v186, v37 offset:1056
.LBB1360_1039:                          ;   in Loop: Header=BB1360_979 Depth=2
	s_wait_alu 0xfffe
	s_or_b32 exec_lo, exec_lo, s15
	v_cmp_gt_i32_e32 vcc_lo, 0, v40
	; wave barrier
	s_wait_alu 0xfffd
	v_cndmask_b32_e64 v37, 0x7fffffff, 0, vcc_lo
	s_delay_alu instid0(VALU_DEP_1) | instskip(NEXT) | instid1(VALU_DEP_1)
	v_xor_b32_e32 v183, v37, v40
	v_cmp_ne_u32_e32 vcc_lo, 0x80000000, v183
	s_wait_alu 0xfffd
	v_cndmask_b32_e32 v37, 0x7fffffff, v183, vcc_lo
	s_delay_alu instid0(VALU_DEP_1) | instskip(NEXT) | instid1(VALU_DEP_1)
	v_lshrrev_b32_e32 v37, s49, v37
	v_and_b32_e32 v40, s48, v37
	s_delay_alu instid0(VALU_DEP_1)
	v_and_b32_e32 v37, 1, v40
	v_lshlrev_b32_e32 v41, 30, v40
	v_lshlrev_b32_e32 v42, 29, v40
	;; [unrolled: 1-line block ×4, first 2 shown]
	v_add_co_u32 v37, s15, v37, -1
	s_wait_alu 0xf1ff
	v_cndmask_b32_e64 v187, 0, 1, s15
	v_not_b32_e32 v191, v41
	v_cmp_gt_i32_e64 s15, 0, v41
	v_not_b32_e32 v41, v42
	v_lshlrev_b32_e32 v189, 26, v40
	v_cmp_ne_u32_e32 vcc_lo, 0, v187
	v_ashrrev_i32_e32 v191, 31, v191
	v_lshlrev_b32_e32 v190, 25, v40
	v_ashrrev_i32_e32 v41, 31, v41
	v_lshlrev_b32_e32 v187, 24, v40
	s_wait_alu 0xfffd
	v_xor_b32_e32 v37, vcc_lo, v37
	v_cmp_gt_i32_e32 vcc_lo, 0, v42
	v_not_b32_e32 v42, v43
	s_wait_alu 0xf1ff
	v_xor_b32_e32 v191, s15, v191
	v_cmp_gt_i32_e64 s15, 0, v43
	v_and_b32_e32 v37, exec_lo, v37
	v_not_b32_e32 v43, v188
	v_ashrrev_i32_e32 v42, 31, v42
	s_wait_alu 0xfffd
	v_xor_b32_e32 v41, vcc_lo, v41
	v_cmp_gt_i32_e32 vcc_lo, 0, v188
	v_and_b32_e32 v37, v37, v191
	v_not_b32_e32 v188, v189
	v_ashrrev_i32_e32 v43, 31, v43
	s_wait_alu 0xf1ff
	v_xor_b32_e32 v42, s15, v42
	v_cmp_gt_i32_e64 s15, 0, v189
	v_and_b32_e32 v37, v37, v41
	v_not_b32_e32 v41, v190
	v_ashrrev_i32_e32 v188, 31, v188
	s_wait_alu 0xfffd
	v_xor_b32_e32 v43, vcc_lo, v43
	v_cmp_gt_i32_e32 vcc_lo, 0, v190
	v_and_b32_e32 v37, v37, v42
	v_not_b32_e32 v42, v187
	v_ashrrev_i32_e32 v41, 31, v41
	s_wait_alu 0xf1ff
	v_xor_b32_e32 v188, s15, v188
	v_cmp_gt_i32_e64 s15, 0, v187
	v_and_b32_e32 v37, v37, v43
	v_ashrrev_i32_e32 v42, 31, v42
	s_wait_alu 0xfffd
	v_xor_b32_e32 v41, vcc_lo, v41
	v_mad_u32_u24 v43, v40, 36, v118
	v_mul_u32_u24_e32 v40, 36, v40
	v_and_b32_e32 v37, v37, v188
	s_wait_alu 0xf1ff
	v_xor_b32_e32 v42, s15, v42
	ds_load_b32 v188, v43 offset:1056
	v_add_nc_u32_e32 v190, v118, v40
	v_and_b32_e32 v37, v37, v41
	; wave barrier
	s_delay_alu instid0(VALU_DEP_1) | instskip(NEXT) | instid1(VALU_DEP_1)
	v_and_b32_e32 v37, v37, v42
	v_mbcnt_lo_u32_b32 v189, v37, 0
	v_cmp_ne_u32_e64 s15, 0, v37
	s_delay_alu instid0(VALU_DEP_2)
	v_cmp_eq_u32_e32 vcc_lo, 0, v189
	s_and_b32 s16, s15, vcc_lo
	s_wait_alu 0xfffe
	s_and_saveexec_b32 s15, s16
	s_cbranch_execz .LBB1360_1041
; %bb.1040:                             ;   in Loop: Header=BB1360_979 Depth=2
	s_wait_dscnt 0x0
	v_bcnt_u32_b32 v37, v37, v188
	ds_store_b32 v190, v37 offset:1056
.LBB1360_1041:                          ;   in Loop: Header=BB1360_979 Depth=2
	s_wait_alu 0xfffe
	s_or_b32 exec_lo, exec_lo, s15
	v_cmp_gt_i32_e32 vcc_lo, 0, v39
	; wave barrier
	s_wait_alu 0xfffd
	v_cndmask_b32_e64 v37, 0x7fffffff, 0, vcc_lo
	s_delay_alu instid0(VALU_DEP_1) | instskip(NEXT) | instid1(VALU_DEP_1)
	v_xor_b32_e32 v187, v37, v39
	v_cmp_ne_u32_e32 vcc_lo, 0x80000000, v187
	s_wait_alu 0xfffd
	v_cndmask_b32_e32 v37, 0x7fffffff, v187, vcc_lo
	s_delay_alu instid0(VALU_DEP_1) | instskip(NEXT) | instid1(VALU_DEP_1)
	v_lshrrev_b32_e32 v37, s49, v37
	v_and_b32_e32 v39, s48, v37
	s_delay_alu instid0(VALU_DEP_1)
	v_and_b32_e32 v37, 1, v39
	v_lshlrev_b32_e32 v40, 30, v39
	v_lshlrev_b32_e32 v41, 29, v39
	;; [unrolled: 1-line block ×4, first 2 shown]
	v_add_co_u32 v37, s15, v37, -1
	s_wait_alu 0xf1ff
	v_cndmask_b32_e64 v43, 0, 1, s15
	v_not_b32_e32 v194, v40
	v_cmp_gt_i32_e64 s15, 0, v40
	v_not_b32_e32 v40, v41
	v_lshlrev_b32_e32 v192, 26, v39
	v_cmp_ne_u32_e32 vcc_lo, 0, v43
	v_ashrrev_i32_e32 v194, 31, v194
	v_lshlrev_b32_e32 v193, 25, v39
	v_ashrrev_i32_e32 v40, 31, v40
	v_lshlrev_b32_e32 v43, 24, v39
	s_wait_alu 0xfffd
	v_xor_b32_e32 v37, vcc_lo, v37
	v_cmp_gt_i32_e32 vcc_lo, 0, v41
	v_not_b32_e32 v41, v42
	s_wait_alu 0xf1ff
	v_xor_b32_e32 v194, s15, v194
	v_cmp_gt_i32_e64 s15, 0, v42
	v_and_b32_e32 v37, exec_lo, v37
	v_not_b32_e32 v42, v191
	v_ashrrev_i32_e32 v41, 31, v41
	s_wait_alu 0xfffd
	v_xor_b32_e32 v40, vcc_lo, v40
	v_cmp_gt_i32_e32 vcc_lo, 0, v191
	v_and_b32_e32 v37, v37, v194
	v_not_b32_e32 v191, v192
	v_ashrrev_i32_e32 v42, 31, v42
	s_wait_alu 0xf1ff
	v_xor_b32_e32 v41, s15, v41
	v_cmp_gt_i32_e64 s15, 0, v192
	v_and_b32_e32 v37, v37, v40
	v_not_b32_e32 v40, v193
	v_ashrrev_i32_e32 v191, 31, v191
	s_wait_alu 0xfffd
	v_xor_b32_e32 v42, vcc_lo, v42
	v_cmp_gt_i32_e32 vcc_lo, 0, v193
	v_and_b32_e32 v37, v37, v41
	v_not_b32_e32 v41, v43
	v_ashrrev_i32_e32 v40, 31, v40
	s_wait_alu 0xf1ff
	v_xor_b32_e32 v191, s15, v191
	v_cmp_gt_i32_e64 s15, 0, v43
	v_and_b32_e32 v37, v37, v42
	v_ashrrev_i32_e32 v41, 31, v41
	s_wait_alu 0xfffd
	v_xor_b32_e32 v40, vcc_lo, v40
	v_mad_u32_u24 v42, v39, 36, v118
	v_mul_u32_u24_e32 v39, 36, v39
	v_and_b32_e32 v37, v37, v191
	s_wait_alu 0xf1ff
	v_xor_b32_e32 v41, s15, v41
	ds_load_b32 v192, v42 offset:1056
	v_add_nc_u32_e32 v194, v118, v39
	v_and_b32_e32 v37, v37, v40
	; wave barrier
	s_delay_alu instid0(VALU_DEP_1) | instskip(NEXT) | instid1(VALU_DEP_1)
	v_and_b32_e32 v37, v37, v41
	v_mbcnt_lo_u32_b32 v193, v37, 0
	v_cmp_ne_u32_e64 s15, 0, v37
	s_delay_alu instid0(VALU_DEP_2)
	v_cmp_eq_u32_e32 vcc_lo, 0, v193
	s_and_b32 s16, s15, vcc_lo
	s_wait_alu 0xfffe
	s_and_saveexec_b32 s15, s16
	s_cbranch_execz .LBB1360_1043
; %bb.1042:                             ;   in Loop: Header=BB1360_979 Depth=2
	s_wait_dscnt 0x0
	v_bcnt_u32_b32 v37, v37, v192
	ds_store_b32 v194, v37 offset:1056
.LBB1360_1043:                          ;   in Loop: Header=BB1360_979 Depth=2
	s_wait_alu 0xfffe
	s_or_b32 exec_lo, exec_lo, s15
	v_cmp_gt_i32_e32 vcc_lo, 0, v38
	; wave barrier
	s_wait_alu 0xfffd
	v_cndmask_b32_e64 v37, 0x7fffffff, 0, vcc_lo
	s_delay_alu instid0(VALU_DEP_1) | instskip(NEXT) | instid1(VALU_DEP_1)
	v_xor_b32_e32 v191, v37, v38
	v_cmp_ne_u32_e32 vcc_lo, 0x80000000, v191
	s_wait_alu 0xfffd
	v_cndmask_b32_e32 v37, 0x7fffffff, v191, vcc_lo
	s_delay_alu instid0(VALU_DEP_1) | instskip(NEXT) | instid1(VALU_DEP_1)
	v_lshrrev_b32_e32 v37, s49, v37
	v_and_b32_e32 v38, s48, v37
	s_delay_alu instid0(VALU_DEP_1)
	v_and_b32_e32 v37, 1, v38
	v_lshlrev_b32_e32 v39, 30, v38
	v_lshlrev_b32_e32 v40, 29, v38
	;; [unrolled: 1-line block ×4, first 2 shown]
	v_add_co_u32 v37, s15, v37, -1
	s_wait_alu 0xf1ff
	v_cndmask_b32_e64 v42, 0, 1, s15
	v_not_b32_e32 v197, v39
	v_cmp_gt_i32_e64 s15, 0, v39
	v_not_b32_e32 v39, v40
	v_lshlrev_b32_e32 v195, 26, v38
	v_cmp_ne_u32_e32 vcc_lo, 0, v42
	v_ashrrev_i32_e32 v197, 31, v197
	v_lshlrev_b32_e32 v196, 25, v38
	v_ashrrev_i32_e32 v39, 31, v39
	v_lshlrev_b32_e32 v42, 24, v38
	s_wait_alu 0xfffd
	v_xor_b32_e32 v37, vcc_lo, v37
	v_cmp_gt_i32_e32 vcc_lo, 0, v40
	v_not_b32_e32 v40, v41
	s_wait_alu 0xf1ff
	v_xor_b32_e32 v197, s15, v197
	v_cmp_gt_i32_e64 s15, 0, v41
	v_and_b32_e32 v37, exec_lo, v37
	v_not_b32_e32 v41, v43
	v_ashrrev_i32_e32 v40, 31, v40
	s_wait_alu 0xfffd
	v_xor_b32_e32 v39, vcc_lo, v39
	v_cmp_gt_i32_e32 vcc_lo, 0, v43
	v_and_b32_e32 v37, v37, v197
	v_not_b32_e32 v43, v195
	v_ashrrev_i32_e32 v41, 31, v41
	s_wait_alu 0xf1ff
	v_xor_b32_e32 v40, s15, v40
	v_cmp_gt_i32_e64 s15, 0, v195
	v_and_b32_e32 v37, v37, v39
	v_not_b32_e32 v39, v196
	v_ashrrev_i32_e32 v43, 31, v43
	s_wait_alu 0xfffd
	v_xor_b32_e32 v41, vcc_lo, v41
	v_cmp_gt_i32_e32 vcc_lo, 0, v196
	v_and_b32_e32 v37, v37, v40
	v_not_b32_e32 v40, v42
	v_ashrrev_i32_e32 v39, 31, v39
	s_wait_alu 0xf1ff
	v_xor_b32_e32 v43, s15, v43
	v_cmp_gt_i32_e64 s15, 0, v42
	v_and_b32_e32 v37, v37, v41
	v_ashrrev_i32_e32 v40, 31, v40
	s_wait_alu 0xfffd
	v_xor_b32_e32 v39, vcc_lo, v39
	v_mad_u32_u24 v41, v38, 36, v118
	v_mul_u32_u24_e32 v38, 36, v38
	v_and_b32_e32 v37, v37, v43
	s_wait_alu 0xf1ff
	v_xor_b32_e32 v40, s15, v40
	ds_load_b32 v196, v41 offset:1056
	v_add_nc_u32_e32 v198, v118, v38
	v_and_b32_e32 v37, v37, v39
	; wave barrier
	s_delay_alu instid0(VALU_DEP_1) | instskip(NEXT) | instid1(VALU_DEP_1)
	v_and_b32_e32 v37, v37, v40
	v_mbcnt_lo_u32_b32 v197, v37, 0
	v_cmp_ne_u32_e64 s15, 0, v37
	s_delay_alu instid0(VALU_DEP_2)
	v_cmp_eq_u32_e32 vcc_lo, 0, v197
	s_and_b32 s16, s15, vcc_lo
	s_wait_alu 0xfffe
	s_and_saveexec_b32 s15, s16
	s_cbranch_execz .LBB1360_1045
; %bb.1044:                             ;   in Loop: Header=BB1360_979 Depth=2
	s_wait_dscnt 0x0
	v_bcnt_u32_b32 v37, v37, v196
	ds_store_b32 v198, v37 offset:1056
.LBB1360_1045:                          ;   in Loop: Header=BB1360_979 Depth=2
	s_wait_alu 0xfffe
	s_or_b32 exec_lo, exec_lo, s15
	v_cmp_gt_i32_e32 vcc_lo, 0, v36
	; wave barrier
	s_wait_alu 0xfffd
	v_cndmask_b32_e64 v37, 0x7fffffff, 0, vcc_lo
	s_delay_alu instid0(VALU_DEP_1) | instskip(NEXT) | instid1(VALU_DEP_1)
	v_xor_b32_e32 v195, v37, v36
	v_cmp_ne_u32_e32 vcc_lo, 0x80000000, v195
	s_wait_alu 0xfffd
	v_cndmask_b32_e32 v36, 0x7fffffff, v195, vcc_lo
	s_delay_alu instid0(VALU_DEP_1) | instskip(NEXT) | instid1(VALU_DEP_1)
	v_lshrrev_b32_e32 v36, s49, v36
	v_and_b32_e32 v37, s48, v36
	s_delay_alu instid0(VALU_DEP_1)
	v_and_b32_e32 v36, 1, v37
	v_lshlrev_b32_e32 v38, 30, v37
	v_lshlrev_b32_e32 v39, 29, v37
	;; [unrolled: 1-line block ×4, first 2 shown]
	v_add_co_u32 v36, s15, v36, -1
	s_wait_alu 0xf1ff
	v_cndmask_b32_e64 v41, 0, 1, s15
	v_not_b32_e32 v200, v38
	v_cmp_gt_i32_e64 s15, 0, v38
	v_not_b32_e32 v38, v39
	v_lshlrev_b32_e32 v43, 26, v37
	v_cmp_ne_u32_e32 vcc_lo, 0, v41
	v_ashrrev_i32_e32 v200, 31, v200
	v_lshlrev_b32_e32 v199, 25, v37
	v_ashrrev_i32_e32 v38, 31, v38
	v_lshlrev_b32_e32 v41, 24, v37
	s_wait_alu 0xfffd
	v_xor_b32_e32 v36, vcc_lo, v36
	v_cmp_gt_i32_e32 vcc_lo, 0, v39
	v_not_b32_e32 v39, v40
	s_wait_alu 0xf1ff
	v_xor_b32_e32 v200, s15, v200
	v_cmp_gt_i32_e64 s15, 0, v40
	v_and_b32_e32 v36, exec_lo, v36
	v_not_b32_e32 v40, v42
	v_ashrrev_i32_e32 v39, 31, v39
	s_wait_alu 0xfffd
	v_xor_b32_e32 v38, vcc_lo, v38
	v_cmp_gt_i32_e32 vcc_lo, 0, v42
	v_and_b32_e32 v36, v36, v200
	v_not_b32_e32 v42, v43
	v_ashrrev_i32_e32 v40, 31, v40
	s_wait_alu 0xf1ff
	v_xor_b32_e32 v39, s15, v39
	v_cmp_gt_i32_e64 s15, 0, v43
	v_and_b32_e32 v36, v36, v38
	v_not_b32_e32 v38, v199
	v_ashrrev_i32_e32 v42, 31, v42
	s_wait_alu 0xfffd
	v_xor_b32_e32 v40, vcc_lo, v40
	v_cmp_gt_i32_e32 vcc_lo, 0, v199
	v_and_b32_e32 v36, v36, v39
	v_not_b32_e32 v39, v41
	v_ashrrev_i32_e32 v38, 31, v38
	s_wait_alu 0xf1ff
	v_xor_b32_e32 v42, s15, v42
	v_cmp_gt_i32_e64 s15, 0, v41
	v_and_b32_e32 v36, v36, v40
	v_ashrrev_i32_e32 v39, 31, v39
	s_wait_alu 0xfffd
	v_xor_b32_e32 v38, vcc_lo, v38
	v_mad_u32_u24 v40, v37, 36, v118
	v_mul_u32_u24_e32 v37, 36, v37
	v_and_b32_e32 v36, v36, v42
	s_wait_alu 0xf1ff
	v_xor_b32_e32 v39, s15, v39
	ds_load_b32 v199, v40 offset:1056
	v_add_nc_u32_e32 v201, v118, v37
	v_and_b32_e32 v36, v36, v38
	; wave barrier
	s_delay_alu instid0(VALU_DEP_1) | instskip(NEXT) | instid1(VALU_DEP_1)
	v_and_b32_e32 v36, v36, v39
	v_mbcnt_lo_u32_b32 v200, v36, 0
	v_cmp_ne_u32_e64 s15, 0, v36
	s_delay_alu instid0(VALU_DEP_2)
	v_cmp_eq_u32_e32 vcc_lo, 0, v200
	s_and_b32 s16, s15, vcc_lo
	s_wait_alu 0xfffe
	s_and_saveexec_b32 s15, s16
	s_cbranch_execz .LBB1360_1047
; %bb.1046:                             ;   in Loop: Header=BB1360_979 Depth=2
	s_wait_dscnt 0x0
	v_bcnt_u32_b32 v36, v36, v199
	ds_store_b32 v201, v36 offset:1056
.LBB1360_1047:                          ;   in Loop: Header=BB1360_979 Depth=2
	s_wait_alu 0xfffe
	s_or_b32 exec_lo, exec_lo, s15
	; wave barrier
	s_wait_loadcnt_dscnt 0x0
	s_barrier_signal -1
	s_barrier_wait -1
	global_inv scope:SCOPE_SE
	ds_load_2addr_b32 v[42:43], v139 offset1:1
	ds_load_2addr_b32 v[40:41], v140 offset1:1
	;; [unrolled: 1-line block ×4, first 2 shown]
	ds_load_b32 v202, v67 offset:1088
	s_wait_dscnt 0x3
	v_add3_u32 v203, v43, v42, v40
	s_wait_dscnt 0x2
	s_delay_alu instid0(VALU_DEP_1) | instskip(SKIP_1) | instid1(VALU_DEP_1)
	v_add3_u32 v203, v203, v41, v38
	s_wait_dscnt 0x1
	v_add3_u32 v203, v203, v39, v36
	s_wait_dscnt 0x0
	s_delay_alu instid0(VALU_DEP_1) | instskip(NEXT) | instid1(VALU_DEP_1)
	v_add3_u32 v202, v203, v37, v202
	v_mov_b32_dpp v203, v202 row_shr:1 row_mask:0xf bank_mask:0xf
	s_delay_alu instid0(VALU_DEP_1) | instskip(NEXT) | instid1(VALU_DEP_1)
	v_cndmask_b32_e64 v203, v203, 0, s0
	v_add_nc_u32_e32 v202, v203, v202
	s_delay_alu instid0(VALU_DEP_1) | instskip(NEXT) | instid1(VALU_DEP_1)
	v_mov_b32_dpp v203, v202 row_shr:2 row_mask:0xf bank_mask:0xf
	v_cndmask_b32_e64 v203, 0, v203, s1
	s_delay_alu instid0(VALU_DEP_1) | instskip(NEXT) | instid1(VALU_DEP_1)
	v_add_nc_u32_e32 v202, v202, v203
	v_mov_b32_dpp v203, v202 row_shr:4 row_mask:0xf bank_mask:0xf
	s_delay_alu instid0(VALU_DEP_1) | instskip(NEXT) | instid1(VALU_DEP_1)
	v_cndmask_b32_e64 v203, 0, v203, s9
	v_add_nc_u32_e32 v202, v202, v203
	s_delay_alu instid0(VALU_DEP_1) | instskip(NEXT) | instid1(VALU_DEP_1)
	v_mov_b32_dpp v203, v202 row_shr:8 row_mask:0xf bank_mask:0xf
	v_cndmask_b32_e64 v203, 0, v203, s10
	s_delay_alu instid0(VALU_DEP_1) | instskip(SKIP_3) | instid1(VALU_DEP_1)
	v_add_nc_u32_e32 v202, v202, v203
	ds_swizzle_b32 v203, v202 offset:swizzle(BROADCAST,32,15)
	s_wait_dscnt 0x0
	v_cndmask_b32_e64 v203, v203, 0, s11
	v_add_nc_u32_e32 v202, v202, v203
	s_and_saveexec_b32 s15, s3
; %bb.1048:                             ;   in Loop: Header=BB1360_979 Depth=2
	ds_store_b32 v63, v202 offset:1024
; %bb.1049:                             ;   in Loop: Header=BB1360_979 Depth=2
	s_wait_alu 0xfffe
	s_or_b32 exec_lo, exec_lo, s15
	s_wait_loadcnt_dscnt 0x0
	s_barrier_signal -1
	s_barrier_wait -1
	global_inv scope:SCOPE_SE
	s_and_saveexec_b32 s15, s4
	s_cbranch_execz .LBB1360_1051
; %bb.1050:                             ;   in Loop: Header=BB1360_979 Depth=2
	ds_load_b32 v203, v70 offset:1024
	s_wait_dscnt 0x0
	v_mov_b32_dpp v204, v203 row_shr:1 row_mask:0xf bank_mask:0xf
	s_delay_alu instid0(VALU_DEP_1) | instskip(NEXT) | instid1(VALU_DEP_1)
	v_cndmask_b32_e64 v204, v204, 0, s12
	v_add_nc_u32_e32 v203, v204, v203
	s_delay_alu instid0(VALU_DEP_1) | instskip(NEXT) | instid1(VALU_DEP_1)
	v_mov_b32_dpp v204, v203 row_shr:2 row_mask:0xf bank_mask:0xf
	v_cndmask_b32_e64 v204, 0, v204, s13
	s_delay_alu instid0(VALU_DEP_1) | instskip(NEXT) | instid1(VALU_DEP_1)
	v_add_nc_u32_e32 v203, v203, v204
	v_mov_b32_dpp v204, v203 row_shr:4 row_mask:0xf bank_mask:0xf
	s_delay_alu instid0(VALU_DEP_1) | instskip(NEXT) | instid1(VALU_DEP_1)
	v_cndmask_b32_e64 v204, 0, v204, s14
	v_add_nc_u32_e32 v203, v203, v204
	ds_store_b32 v70, v203 offset:1024
.LBB1360_1051:                          ;   in Loop: Header=BB1360_979 Depth=2
	s_wait_alu 0xfffe
	s_or_b32 exec_lo, exec_lo, s15
	v_mov_b32_e32 v203, 0
	s_wait_loadcnt_dscnt 0x0
	s_barrier_signal -1
	s_barrier_wait -1
	global_inv scope:SCOPE_SE
	s_and_saveexec_b32 s15, s5
; %bb.1052:                             ;   in Loop: Header=BB1360_979 Depth=2
	ds_load_b32 v203, v63 offset:1020
; %bb.1053:                             ;   in Loop: Header=BB1360_979 Depth=2
	s_wait_alu 0xfffe
	s_or_b32 exec_lo, exec_lo, s15
	s_wait_dscnt 0x0
	v_add_nc_u32_e32 v202, v203, v202
	ds_bpermute_b32 v202, v113, v202
	s_wait_dscnt 0x0
	v_cndmask_b32_e64 v202, v202, v203, s8
	s_delay_alu instid0(VALU_DEP_1) | instskip(NEXT) | instid1(VALU_DEP_1)
	v_cndmask_b32_e64 v202, v202, 0, s6
	v_add_nc_u32_e32 v42, v202, v42
	s_delay_alu instid0(VALU_DEP_1) | instskip(NEXT) | instid1(VALU_DEP_1)
	v_add_nc_u32_e32 v43, v42, v43
	v_add_nc_u32_e32 v40, v43, v40
	s_delay_alu instid0(VALU_DEP_1) | instskip(NEXT) | instid1(VALU_DEP_1)
	v_add_nc_u32_e32 v41, v40, v41
	;; [unrolled: 3-line block ×3, first 2 shown]
	v_add_nc_u32_e32 v36, v39, v36
	s_delay_alu instid0(VALU_DEP_1)
	v_add_nc_u32_e32 v37, v36, v37
	ds_store_2addr_b32 v138, v39, v36 offset1:1
	ds_store_2addr_b32 v139, v202, v42 offset1:1
	;; [unrolled: 1-line block ×4, first 2 shown]
	ds_store_b32 v67, v37 offset:1088
	s_wait_loadcnt_dscnt 0x0
	s_barrier_signal -1
	s_barrier_wait -1
	global_inv scope:SCOPE_SE
	ds_load_b32 v39, v142 offset:1056
	ds_load_b32 v41, v146 offset:1056
	ds_load_b32 v42, v150 offset:1056
	ds_load_b32 v43, v154 offset:1056
	ds_load_b32 v138, v158 offset:1056
	ds_load_b32 v139, v162 offset:1056
	ds_load_b32 v140, v167 offset:1056
	ds_load_b32 v162, v170 offset:1056
	ds_load_b32 v167, v174 offset:1056
	ds_load_b32 v170, v178 offset:1056
	ds_load_b32 v174, v182 offset:1056
	ds_load_b32 v178, v186 offset:1056
	ds_load_b32 v36, v190 offset:1056
	ds_load_b32 v37, v194 offset:1056
	ds_load_b32 v40, v198 offset:1056
	ds_load_b32 v158, v201 offset:1056
	ds_load_b32 v141, v67 offset:1056
	v_mov_b32_e32 v38, 0x1000
	s_and_saveexec_b32 s15, s7
; %bb.1054:                             ;   in Loop: Header=BB1360_979 Depth=2
	ds_load_b32 v38, v67 offset:1092
; %bb.1055:                             ;   in Loop: Header=BB1360_979 Depth=2
	s_wait_alu 0xfffe
	s_or_b32 exec_lo, exec_lo, s15
	s_wait_loadcnt_dscnt 0x0
	s_barrier_signal -1
	s_barrier_wait -1
	global_inv scope:SCOPE_SE
	s_and_saveexec_b32 s15, s2
	s_cbranch_execz .LBB1360_1057
; %bb.1056:                             ;   in Loop: Header=BB1360_979 Depth=2
	ds_load_b32 v142, v44
	s_wait_dscnt 0x0
	v_sub_nc_u32_e32 v141, v142, v141
	ds_store_b32 v44, v141
.LBB1360_1057:                          ;   in Loop: Header=BB1360_979 Depth=2
	s_wait_alu 0xfffe
	s_or_b32 exec_lo, exec_lo, s15
	v_add_nc_u32_e32 v154, v39, v137
	v_add3_u32 v150, v145, v144, v41
	v_add3_u32 v146, v149, v148, v42
	;; [unrolled: 1-line block ×4, first 2 shown]
	v_lshlrev_b32_e32 v148, 2, v154
	v_add3_u32 v142, v161, v160, v139
	v_add3_u32 v141, v165, v164, v140
	v_add3_u32 v140, v169, v168, v162
	v_add3_u32 v43, v189, v188, v36
	ds_store_b32 v148, v2 offset:1024
	v_lshlrev_b32_e32 v2, 2, v150
	v_lshlrev_b32_e32 v36, 2, v146
	v_add3_u32 v139, v173, v172, v167
	v_add3_u32 v42, v193, v192, v37
	v_lshlrev_b32_e32 v37, 2, v145
	v_add3_u32 v138, v177, v176, v170
	v_lshlrev_b32_e32 v148, 2, v144
	v_add3_u32 v137, v181, v180, v174
	v_lshlrev_b32_e32 v149, 2, v142
	v_add3_u32 v39, v185, v184, v178
	ds_store_b32 v2, v136 offset:1024
	ds_store_b32 v36, v143 offset:1024
	;; [unrolled: 1-line block ×5, first 2 shown]
	v_lshlrev_b32_e32 v2, 2, v141
	v_lshlrev_b32_e32 v36, 2, v140
	v_lshlrev_b32_e32 v37, 2, v139
	v_add3_u32 v41, v197, v196, v40
	v_lshlrev_b32_e32 v136, 2, v138
	v_add3_u32 v40, v200, v199, v158
	v_lshlrev_b32_e32 v143, 2, v137
	ds_store_b32 v2, v159 offset:1024
	ds_store_b32 v36, v163 offset:1024
	;; [unrolled: 1-line block ×5, first 2 shown]
	v_lshlrev_b32_e32 v2, 2, v39
	v_cmp_lt_u32_e32 vcc_lo, v1, v135
	v_lshlrev_b32_e32 v36, 2, v43
	v_lshlrev_b32_e32 v37, 2, v42
	;; [unrolled: 1-line block ×4, first 2 shown]
	ds_store_b32 v2, v179 offset:1024
	ds_store_b32 v36, v183 offset:1024
	;; [unrolled: 1-line block ×5, first 2 shown]
	s_wait_loadcnt_dscnt 0x0
	s_barrier_signal -1
	s_barrier_wait -1
	global_inv scope:SCOPE_SE
	s_and_saveexec_b32 s16, vcc_lo
	s_cbranch_execnz .LBB1360_1126
; %bb.1058:                             ;   in Loop: Header=BB1360_979 Depth=2
	s_wait_alu 0xfffe
	s_or_b32 exec_lo, exec_lo, s16
	v_cmp_lt_u32_e64 s15, v45, v135
	s_and_saveexec_b32 s17, s15
	s_cbranch_execnz .LBB1360_1127
.LBB1360_1059:                          ;   in Loop: Header=BB1360_979 Depth=2
	s_wait_alu 0xfffe
	s_or_b32 exec_lo, exec_lo, s17
	v_cmp_lt_u32_e64 s16, v46, v135
	s_and_saveexec_b32 s18, s16
	s_cbranch_execnz .LBB1360_1128
.LBB1360_1060:                          ;   in Loop: Header=BB1360_979 Depth=2
	s_wait_alu 0xfffe
	s_or_b32 exec_lo, exec_lo, s18
	v_cmp_lt_u32_e64 s17, v47, v135
	s_and_saveexec_b32 s19, s17
	s_cbranch_execnz .LBB1360_1129
.LBB1360_1061:                          ;   in Loop: Header=BB1360_979 Depth=2
	s_wait_alu 0xfffe
	s_or_b32 exec_lo, exec_lo, s19
	v_cmp_lt_u32_e64 s18, v50, v135
	s_and_saveexec_b32 s20, s18
	s_cbranch_execnz .LBB1360_1130
.LBB1360_1062:                          ;   in Loop: Header=BB1360_979 Depth=2
	s_wait_alu 0xfffe
	s_or_b32 exec_lo, exec_lo, s20
	v_cmp_lt_u32_e64 s19, v51, v135
	s_and_saveexec_b32 s21, s19
	s_cbranch_execnz .LBB1360_1131
.LBB1360_1063:                          ;   in Loop: Header=BB1360_979 Depth=2
	s_wait_alu 0xfffe
	s_or_b32 exec_lo, exec_lo, s21
	v_cmp_lt_u32_e64 s20, v52, v135
	s_and_saveexec_b32 s22, s20
	s_cbranch_execnz .LBB1360_1132
.LBB1360_1064:                          ;   in Loop: Header=BB1360_979 Depth=2
	s_wait_alu 0xfffe
	s_or_b32 exec_lo, exec_lo, s22
	v_cmp_lt_u32_e64 s21, v53, v135
	s_and_saveexec_b32 s23, s21
	s_cbranch_execnz .LBB1360_1133
.LBB1360_1065:                          ;   in Loop: Header=BB1360_979 Depth=2
	s_wait_alu 0xfffe
	s_or_b32 exec_lo, exec_lo, s23
	v_cmp_lt_u32_e64 s22, v54, v135
	s_and_saveexec_b32 s24, s22
	s_cbranch_execnz .LBB1360_1134
.LBB1360_1066:                          ;   in Loop: Header=BB1360_979 Depth=2
	s_wait_alu 0xfffe
	s_or_b32 exec_lo, exec_lo, s24
	v_cmp_lt_u32_e64 s23, v55, v135
	s_and_saveexec_b32 s25, s23
	s_cbranch_execnz .LBB1360_1135
.LBB1360_1067:                          ;   in Loop: Header=BB1360_979 Depth=2
	s_wait_alu 0xfffe
	s_or_b32 exec_lo, exec_lo, s25
	v_cmp_lt_u32_e64 s24, v56, v135
	s_and_saveexec_b32 s26, s24
	s_cbranch_execnz .LBB1360_1136
.LBB1360_1068:                          ;   in Loop: Header=BB1360_979 Depth=2
	s_wait_alu 0xfffe
	s_or_b32 exec_lo, exec_lo, s26
	v_cmp_lt_u32_e64 s25, v57, v135
	s_and_saveexec_b32 s27, s25
	s_cbranch_execnz .LBB1360_1137
.LBB1360_1069:                          ;   in Loop: Header=BB1360_979 Depth=2
	s_wait_alu 0xfffe
	s_or_b32 exec_lo, exec_lo, s27
	v_cmp_lt_u32_e64 s26, v58, v135
	s_and_saveexec_b32 s28, s26
	s_cbranch_execnz .LBB1360_1138
.LBB1360_1070:                          ;   in Loop: Header=BB1360_979 Depth=2
	s_wait_alu 0xfffe
	s_or_b32 exec_lo, exec_lo, s28
	v_cmp_lt_u32_e64 s27, v59, v135
	s_and_saveexec_b32 s29, s27
	s_cbranch_execnz .LBB1360_1139
.LBB1360_1071:                          ;   in Loop: Header=BB1360_979 Depth=2
	s_wait_alu 0xfffe
	s_or_b32 exec_lo, exec_lo, s29
	v_cmp_lt_u32_e64 s28, v60, v135
	s_and_saveexec_b32 s30, s28
	s_cbranch_execnz .LBB1360_1140
.LBB1360_1072:                          ;   in Loop: Header=BB1360_979 Depth=2
	s_wait_alu 0xfffe
	s_or_b32 exec_lo, exec_lo, s30
	v_cmp_lt_u32_e64 s29, v61, v135
	s_and_saveexec_b32 s56, s29
	s_cbranch_execz .LBB1360_1074
.LBB1360_1073:                          ;   in Loop: Header=BB1360_979 Depth=2
	ds_load_b32 v136, v70 offset:16384
	s_wait_dscnt 0x0
	v_cmp_ne_u32_e64 s30, 0x80000000, v136
	s_wait_alu 0xf1ff
	s_delay_alu instid0(VALU_DEP_1) | instskip(SKIP_1) | instid1(VALU_DEP_2)
	v_cndmask_b32_e64 v2, 0x7fffffff, v136, s30
	v_cmp_gt_i32_e64 s30, 0, v136
	v_lshrrev_b32_e32 v2, s49, v2
	s_wait_alu 0xf1ff
	s_delay_alu instid0(VALU_DEP_2) | instskip(NEXT) | instid1(VALU_DEP_2)
	v_cndmask_b32_e64 v143, 0x7fffffff, 0, s30
	v_and_b32_e32 v2, s48, v2
	s_delay_alu instid0(VALU_DEP_1) | instskip(SKIP_3) | instid1(VALU_DEP_1)
	v_lshlrev_b32_e32 v2, 2, v2
	ds_load_b32 v2, v2
	s_wait_dscnt 0x0
	v_add_nc_u32_e32 v2, v2, v61
	v_lshlrev_b64_e32 v[36:37], 2, v[2:3]
	v_xor_b32_e32 v2, v143, v136
	s_delay_alu instid0(VALU_DEP_2) | instskip(SKIP_1) | instid1(VALU_DEP_3)
	v_add_co_u32 v36, s30, s40, v36
	s_wait_alu 0xf1ff
	v_add_co_ci_u32_e64 v37, null, s41, v37, s30
	global_store_b32 v[36:37], v2, off
.LBB1360_1074:                          ;   in Loop: Header=BB1360_979 Depth=2
	s_wait_alu 0xfffe
	s_or_b32 exec_lo, exec_lo, s56
	s_lshl_b64 s[56:57], s[42:43], 3
	s_wait_alu 0xfffe
	v_add_co_u32 v36, s30, v114, s56
	s_wait_alu 0xf1ff
	v_add_co_ci_u32_e64 v37, null, s57, v115, s30
	v_cmp_lt_u32_e64 s30, v88, v135
	s_and_saveexec_b32 s42, s30
	s_wait_alu 0xfffe
	s_xor_b32 s30, exec_lo, s42
	s_cbranch_execnz .LBB1360_1141
; %bb.1075:                             ;   in Loop: Header=BB1360_979 Depth=2
	s_wait_alu 0xfffe
	s_or_b32 exec_lo, exec_lo, s30
	s_delay_alu instid0(SALU_CYCLE_1)
	s_mov_b32 s42, exec_lo
	v_cmpx_lt_u32_e64 v92, v135
	s_cbranch_execnz .LBB1360_1142
.LBB1360_1076:                          ;   in Loop: Header=BB1360_979 Depth=2
	s_wait_alu 0xfffe
	s_or_b32 exec_lo, exec_lo, s42
	s_delay_alu instid0(SALU_CYCLE_1)
	s_mov_b32 s42, exec_lo
	v_cmpx_lt_u32_e64 v93, v135
	s_cbranch_execnz .LBB1360_1143
.LBB1360_1077:                          ;   in Loop: Header=BB1360_979 Depth=2
	s_wait_alu 0xfffe
	s_or_b32 exec_lo, exec_lo, s42
	s_delay_alu instid0(SALU_CYCLE_1)
	s_mov_b32 s42, exec_lo
	v_cmpx_lt_u32_e64 v94, v135
	s_cbranch_execnz .LBB1360_1144
.LBB1360_1078:                          ;   in Loop: Header=BB1360_979 Depth=2
	s_wait_alu 0xfffe
	s_or_b32 exec_lo, exec_lo, s42
	s_delay_alu instid0(SALU_CYCLE_1)
	s_mov_b32 s42, exec_lo
	v_cmpx_lt_u32_e64 v95, v135
	s_cbranch_execnz .LBB1360_1145
.LBB1360_1079:                          ;   in Loop: Header=BB1360_979 Depth=2
	s_wait_alu 0xfffe
	s_or_b32 exec_lo, exec_lo, s42
	s_delay_alu instid0(SALU_CYCLE_1)
	s_mov_b32 s42, exec_lo
	v_cmpx_lt_u32_e64 v96, v135
	s_cbranch_execnz .LBB1360_1146
.LBB1360_1080:                          ;   in Loop: Header=BB1360_979 Depth=2
	s_wait_alu 0xfffe
	s_or_b32 exec_lo, exec_lo, s42
	s_delay_alu instid0(SALU_CYCLE_1)
	s_mov_b32 s42, exec_lo
	v_cmpx_lt_u32_e64 v97, v135
	s_cbranch_execnz .LBB1360_1147
.LBB1360_1081:                          ;   in Loop: Header=BB1360_979 Depth=2
	s_wait_alu 0xfffe
	s_or_b32 exec_lo, exec_lo, s42
	s_delay_alu instid0(SALU_CYCLE_1)
	s_mov_b32 s42, exec_lo
	v_cmpx_lt_u32_e64 v98, v135
	s_cbranch_execnz .LBB1360_1148
.LBB1360_1082:                          ;   in Loop: Header=BB1360_979 Depth=2
	s_wait_alu 0xfffe
	s_or_b32 exec_lo, exec_lo, s42
	s_delay_alu instid0(SALU_CYCLE_1)
	s_mov_b32 s42, exec_lo
	v_cmpx_lt_u32_e64 v99, v135
	s_cbranch_execnz .LBB1360_1149
.LBB1360_1083:                          ;   in Loop: Header=BB1360_979 Depth=2
	s_wait_alu 0xfffe
	s_or_b32 exec_lo, exec_lo, s42
	s_delay_alu instid0(SALU_CYCLE_1)
	s_mov_b32 s42, exec_lo
	v_cmpx_lt_u32_e64 v100, v135
	s_cbranch_execnz .LBB1360_1150
.LBB1360_1084:                          ;   in Loop: Header=BB1360_979 Depth=2
	s_wait_alu 0xfffe
	s_or_b32 exec_lo, exec_lo, s42
	s_delay_alu instid0(SALU_CYCLE_1)
	s_mov_b32 s42, exec_lo
	v_cmpx_lt_u32_e64 v101, v135
	s_cbranch_execnz .LBB1360_1151
.LBB1360_1085:                          ;   in Loop: Header=BB1360_979 Depth=2
	s_wait_alu 0xfffe
	s_or_b32 exec_lo, exec_lo, s42
	s_delay_alu instid0(SALU_CYCLE_1)
	s_mov_b32 s42, exec_lo
	v_cmpx_lt_u32_e64 v102, v135
	s_cbranch_execnz .LBB1360_1152
.LBB1360_1086:                          ;   in Loop: Header=BB1360_979 Depth=2
	s_wait_alu 0xfffe
	s_or_b32 exec_lo, exec_lo, s42
	s_delay_alu instid0(SALU_CYCLE_1)
	s_mov_b32 s42, exec_lo
	v_cmpx_lt_u32_e64 v103, v135
	s_cbranch_execnz .LBB1360_1153
.LBB1360_1087:                          ;   in Loop: Header=BB1360_979 Depth=2
	s_wait_alu 0xfffe
	s_or_b32 exec_lo, exec_lo, s42
	s_delay_alu instid0(SALU_CYCLE_1)
	s_mov_b32 s42, exec_lo
	v_cmpx_lt_u32_e64 v104, v135
	s_cbranch_execnz .LBB1360_1154
.LBB1360_1088:                          ;   in Loop: Header=BB1360_979 Depth=2
	s_wait_alu 0xfffe
	s_or_b32 exec_lo, exec_lo, s42
	s_delay_alu instid0(SALU_CYCLE_1)
	s_mov_b32 s42, exec_lo
	v_cmpx_lt_u32_e64 v105, v135
	s_cbranch_execnz .LBB1360_1155
.LBB1360_1089:                          ;   in Loop: Header=BB1360_979 Depth=2
	s_wait_alu 0xfffe
	s_or_b32 exec_lo, exec_lo, s42
	s_delay_alu instid0(SALU_CYCLE_1)
	s_mov_b32 s42, exec_lo
	v_cmpx_lt_u32_e64 v106, v135
	s_cbranch_execnz .LBB1360_1156
.LBB1360_1090:                          ;   in Loop: Header=BB1360_979 Depth=2
	s_wait_alu 0xfffe
	s_or_b32 exec_lo, exec_lo, s42
	s_and_saveexec_b32 s42, vcc_lo
	s_cbranch_execnz .LBB1360_1157
.LBB1360_1091:                          ;   in Loop: Header=BB1360_979 Depth=2
	s_wait_alu 0xfffe
	s_or_b32 exec_lo, exec_lo, s42
	s_and_saveexec_b32 s42, s15
	s_cbranch_execnz .LBB1360_1158
.LBB1360_1092:                          ;   in Loop: Header=BB1360_979 Depth=2
	s_wait_alu 0xfffe
	s_or_b32 exec_lo, exec_lo, s42
	s_and_saveexec_b32 s42, s16
	s_cbranch_execnz .LBB1360_1159
.LBB1360_1093:                          ;   in Loop: Header=BB1360_979 Depth=2
	s_wait_alu 0xfffe
	s_or_b32 exec_lo, exec_lo, s42
	s_and_saveexec_b32 s42, s17
	s_cbranch_execnz .LBB1360_1160
.LBB1360_1094:                          ;   in Loop: Header=BB1360_979 Depth=2
	s_wait_alu 0xfffe
	s_or_b32 exec_lo, exec_lo, s42
	s_and_saveexec_b32 s42, s18
	s_cbranch_execnz .LBB1360_1161
.LBB1360_1095:                          ;   in Loop: Header=BB1360_979 Depth=2
	s_wait_alu 0xfffe
	s_or_b32 exec_lo, exec_lo, s42
	s_and_saveexec_b32 s42, s19
	s_cbranch_execnz .LBB1360_1162
.LBB1360_1096:                          ;   in Loop: Header=BB1360_979 Depth=2
	s_wait_alu 0xfffe
	s_or_b32 exec_lo, exec_lo, s42
	s_and_saveexec_b32 s42, s20
	s_cbranch_execnz .LBB1360_1163
.LBB1360_1097:                          ;   in Loop: Header=BB1360_979 Depth=2
	s_wait_alu 0xfffe
	s_or_b32 exec_lo, exec_lo, s42
	s_and_saveexec_b32 s42, s21
	s_cbranch_execnz .LBB1360_1164
.LBB1360_1098:                          ;   in Loop: Header=BB1360_979 Depth=2
	s_wait_alu 0xfffe
	s_or_b32 exec_lo, exec_lo, s42
	s_and_saveexec_b32 s42, s22
	s_cbranch_execnz .LBB1360_1165
.LBB1360_1099:                          ;   in Loop: Header=BB1360_979 Depth=2
	s_wait_alu 0xfffe
	s_or_b32 exec_lo, exec_lo, s42
	s_and_saveexec_b32 s42, s23
	s_cbranch_execnz .LBB1360_1166
.LBB1360_1100:                          ;   in Loop: Header=BB1360_979 Depth=2
	s_wait_alu 0xfffe
	s_or_b32 exec_lo, exec_lo, s42
	s_and_saveexec_b32 s42, s24
	s_cbranch_execnz .LBB1360_1167
.LBB1360_1101:                          ;   in Loop: Header=BB1360_979 Depth=2
	s_wait_alu 0xfffe
	s_or_b32 exec_lo, exec_lo, s42
	s_and_saveexec_b32 s42, s25
	s_cbranch_execnz .LBB1360_1168
.LBB1360_1102:                          ;   in Loop: Header=BB1360_979 Depth=2
	s_wait_alu 0xfffe
	s_or_b32 exec_lo, exec_lo, s42
	s_and_saveexec_b32 s42, s26
	s_cbranch_execnz .LBB1360_1169
.LBB1360_1103:                          ;   in Loop: Header=BB1360_979 Depth=2
	s_wait_alu 0xfffe
	s_or_b32 exec_lo, exec_lo, s42
	s_and_saveexec_b32 s42, s27
	s_cbranch_execnz .LBB1360_1170
.LBB1360_1104:                          ;   in Loop: Header=BB1360_979 Depth=2
	s_wait_alu 0xfffe
	s_or_b32 exec_lo, exec_lo, s42
	s_and_saveexec_b32 s42, s28
	s_cbranch_execnz .LBB1360_1171
.LBB1360_1105:                          ;   in Loop: Header=BB1360_979 Depth=2
	s_wait_alu 0xfffe
	s_or_b32 exec_lo, exec_lo, s42
	s_and_saveexec_b32 s42, s29
	s_cbranch_execz .LBB1360_1107
.LBB1360_1106:                          ;   in Loop: Header=BB1360_979 Depth=2
	ds_load_b32 v2, v70 offset:16384
	s_wait_dscnt 0x0
	v_cmp_ne_u32_e64 s30, 0x80000000, v2
	s_wait_alu 0xf1ff
	s_delay_alu instid0(VALU_DEP_1) | instskip(NEXT) | instid1(VALU_DEP_1)
	v_cndmask_b32_e64 v2, 0x7fffffff, v2, s30
	v_lshrrev_b32_e32 v2, s49, v2
	s_delay_alu instid0(VALU_DEP_1)
	v_and_b32_e32 v119, s48, v2
.LBB1360_1107:                          ;   in Loop: Header=BB1360_979 Depth=2
	s_wait_alu 0xfffe
	s_or_b32 exec_lo, exec_lo, s42
	v_lshlrev_b32_e32 v2, 3, v154
	s_wait_loadcnt 0x0
	s_wait_storecnt 0x0
	s_barrier_signal -1
	s_barrier_wait -1
	global_inv scope:SCOPE_SE
	ds_store_b64 v2, v[34:35] offset:1024
	v_lshlrev_b32_e32 v2, 3, v150
	v_lshlrev_b32_e32 v36, 3, v146
	v_lshlrev_b32_e32 v37, 3, v145
	v_lshlrev_b32_e32 v135, 3, v144
	v_lshlrev_b32_e32 v136, 3, v142
	ds_store_b64 v2, v[32:33] offset:1024
	ds_store_b64 v36, v[30:31] offset:1024
	ds_store_b64 v37, v[28:29] offset:1024
	ds_store_b64 v135, v[26:27] offset:1024
	ds_store_b64 v136, v[24:25] offset:1024
	v_lshlrev_b32_e32 v2, 3, v141
	v_lshlrev_b32_e32 v36, 3, v140
	v_lshlrev_b32_e32 v37, 3, v139
	v_lshlrev_b32_e32 v135, 3, v138
	v_lshlrev_b32_e32 v136, 3, v137
	ds_store_b64 v2, v[22:23] offset:1024
	ds_store_b64 v36, v[20:21] offset:1024
	ds_store_b64 v37, v[18:19] offset:1024
	ds_store_b64 v135, v[16:17] offset:1024
	;; [unrolled: 10-line block ×3, first 2 shown]
	ds_store_b64 v40, v[4:5] offset:1024
	v_add_nc_u32_e32 v36, v70, v44
	s_wait_loadcnt_dscnt 0x0
	s_barrier_signal -1
	s_barrier_wait -1
	global_inv scope:SCOPE_SE
	s_and_saveexec_b32 s30, vcc_lo
	s_cbranch_execnz .LBB1360_1172
; %bb.1108:                             ;   in Loop: Header=BB1360_979 Depth=2
	s_wait_alu 0xfffe
	s_or_b32 exec_lo, exec_lo, s30
	s_and_saveexec_b32 s30, s15
	s_cbranch_execnz .LBB1360_1173
.LBB1360_1109:                          ;   in Loop: Header=BB1360_979 Depth=2
	s_wait_alu 0xfffe
	s_or_b32 exec_lo, exec_lo, s30
	s_and_saveexec_b32 s15, s16
	s_cbranch_execnz .LBB1360_1174
.LBB1360_1110:                          ;   in Loop: Header=BB1360_979 Depth=2
	s_wait_alu 0xfffe
	s_or_b32 exec_lo, exec_lo, s15
	s_and_saveexec_b32 s15, s17
	s_cbranch_execnz .LBB1360_1175
.LBB1360_1111:                          ;   in Loop: Header=BB1360_979 Depth=2
	s_wait_alu 0xfffe
	s_or_b32 exec_lo, exec_lo, s15
	s_and_saveexec_b32 s15, s18
	s_cbranch_execnz .LBB1360_1176
.LBB1360_1112:                          ;   in Loop: Header=BB1360_979 Depth=2
	s_wait_alu 0xfffe
	s_or_b32 exec_lo, exec_lo, s15
	s_and_saveexec_b32 s15, s19
	s_cbranch_execnz .LBB1360_1177
.LBB1360_1113:                          ;   in Loop: Header=BB1360_979 Depth=2
	s_wait_alu 0xfffe
	s_or_b32 exec_lo, exec_lo, s15
	s_and_saveexec_b32 s15, s20
	s_cbranch_execnz .LBB1360_1178
.LBB1360_1114:                          ;   in Loop: Header=BB1360_979 Depth=2
	s_wait_alu 0xfffe
	s_or_b32 exec_lo, exec_lo, s15
	s_and_saveexec_b32 s15, s21
	s_cbranch_execnz .LBB1360_1179
.LBB1360_1115:                          ;   in Loop: Header=BB1360_979 Depth=2
	s_wait_alu 0xfffe
	s_or_b32 exec_lo, exec_lo, s15
	s_and_saveexec_b32 s15, s22
	s_cbranch_execnz .LBB1360_1180
.LBB1360_1116:                          ;   in Loop: Header=BB1360_979 Depth=2
	s_wait_alu 0xfffe
	s_or_b32 exec_lo, exec_lo, s15
	s_and_saveexec_b32 s15, s23
	s_cbranch_execnz .LBB1360_1181
.LBB1360_1117:                          ;   in Loop: Header=BB1360_979 Depth=2
	s_wait_alu 0xfffe
	s_or_b32 exec_lo, exec_lo, s15
	s_and_saveexec_b32 s15, s24
	s_cbranch_execnz .LBB1360_1182
.LBB1360_1118:                          ;   in Loop: Header=BB1360_979 Depth=2
	s_wait_alu 0xfffe
	s_or_b32 exec_lo, exec_lo, s15
	s_and_saveexec_b32 s15, s25
	s_cbranch_execnz .LBB1360_1183
.LBB1360_1119:                          ;   in Loop: Header=BB1360_979 Depth=2
	s_wait_alu 0xfffe
	s_or_b32 exec_lo, exec_lo, s15
	s_and_saveexec_b32 s15, s26
	s_cbranch_execnz .LBB1360_1184
.LBB1360_1120:                          ;   in Loop: Header=BB1360_979 Depth=2
	s_wait_alu 0xfffe
	s_or_b32 exec_lo, exec_lo, s15
	s_and_saveexec_b32 s15, s27
	s_cbranch_execnz .LBB1360_1185
.LBB1360_1121:                          ;   in Loop: Header=BB1360_979 Depth=2
	s_wait_alu 0xfffe
	s_or_b32 exec_lo, exec_lo, s15
	s_and_saveexec_b32 s15, s28
	s_cbranch_execnz .LBB1360_1186
.LBB1360_1122:                          ;   in Loop: Header=BB1360_979 Depth=2
	s_wait_alu 0xfffe
	s_or_b32 exec_lo, exec_lo, s15
	s_and_saveexec_b32 s15, s29
	s_cbranch_execz .LBB1360_1124
.LBB1360_1123:                          ;   in Loop: Header=BB1360_979 Depth=2
	v_lshlrev_b32_e32 v2, 2, v119
	ds_load_b32 v2, v2
	ds_load_b64 v[36:37], v36 offset:31744
	s_wait_dscnt 0x1
	v_add_nc_u32_e32 v2, v2, v61
	s_delay_alu instid0(VALU_DEP_1) | instskip(NEXT) | instid1(VALU_DEP_1)
	v_lshlrev_b64_e32 v[39:40], 3, v[2:3]
	v_add_co_u32 v39, vcc_lo, s46, v39
	s_wait_alu 0xfffd
	s_delay_alu instid0(VALU_DEP_2)
	v_add_co_ci_u32_e64 v40, null, s47, v40, vcc_lo
	s_wait_dscnt 0x0
	global_store_b64 v[39:40], v[36:37], off
.LBB1360_1124:                          ;   in Loop: Header=BB1360_979 Depth=2
	s_wait_alu 0xfffe
	s_or_b32 exec_lo, exec_lo, s15
	s_wait_loadcnt 0x0
	s_wait_storecnt 0x0
	s_barrier_signal -1
	s_barrier_wait -1
	global_inv scope:SCOPE_SE
	s_and_saveexec_b32 s15, s2
	s_cbranch_execz .LBB1360_978
; %bb.1125:                             ;   in Loop: Header=BB1360_979 Depth=2
	ds_load_b32 v2, v44
	s_wait_dscnt 0x0
	v_add_nc_u32_e32 v2, v2, v38
	ds_store_b32 v44, v2
	s_branch .LBB1360_978
.LBB1360_1126:                          ;   in Loop: Header=BB1360_979 Depth=2
	ds_load_b32 v136, v70 offset:1024
	s_wait_dscnt 0x0
	v_cmp_ne_u32_e64 s15, 0x80000000, v136
	s_wait_alu 0xf1ff
	s_delay_alu instid0(VALU_DEP_1) | instskip(SKIP_1) | instid1(VALU_DEP_2)
	v_cndmask_b32_e64 v2, 0x7fffffff, v136, s15
	v_cmp_gt_i32_e64 s15, 0, v136
	v_lshrrev_b32_e32 v2, s49, v2
	s_wait_alu 0xf1ff
	s_delay_alu instid0(VALU_DEP_2) | instskip(NEXT) | instid1(VALU_DEP_2)
	v_cndmask_b32_e64 v143, 0x7fffffff, 0, s15
	v_and_b32_e32 v2, s48, v2
	s_delay_alu instid0(VALU_DEP_1) | instskip(SKIP_3) | instid1(VALU_DEP_1)
	v_lshlrev_b32_e32 v2, 2, v2
	ds_load_b32 v2, v2
	s_wait_dscnt 0x0
	v_add_nc_u32_e32 v2, v2, v1
	v_lshlrev_b64_e32 v[36:37], 2, v[2:3]
	v_xor_b32_e32 v2, v143, v136
	s_delay_alu instid0(VALU_DEP_2) | instskip(SKIP_1) | instid1(VALU_DEP_3)
	v_add_co_u32 v36, s15, s40, v36
	s_wait_alu 0xf1ff
	v_add_co_ci_u32_e64 v37, null, s41, v37, s15
	global_store_b32 v[36:37], v2, off
	s_wait_alu 0xfffe
	s_or_b32 exec_lo, exec_lo, s16
	v_cmp_lt_u32_e64 s15, v45, v135
	s_and_saveexec_b32 s17, s15
	s_cbranch_execz .LBB1360_1059
.LBB1360_1127:                          ;   in Loop: Header=BB1360_979 Depth=2
	ds_load_b32 v136, v70 offset:2048
	s_wait_dscnt 0x0
	v_cmp_ne_u32_e64 s16, 0x80000000, v136
	s_wait_alu 0xf1ff
	s_delay_alu instid0(VALU_DEP_1) | instskip(SKIP_1) | instid1(VALU_DEP_2)
	v_cndmask_b32_e64 v2, 0x7fffffff, v136, s16
	v_cmp_gt_i32_e64 s16, 0, v136
	v_lshrrev_b32_e32 v2, s49, v2
	s_wait_alu 0xf1ff
	s_delay_alu instid0(VALU_DEP_2) | instskip(NEXT) | instid1(VALU_DEP_2)
	v_cndmask_b32_e64 v143, 0x7fffffff, 0, s16
	v_and_b32_e32 v2, s48, v2
	s_delay_alu instid0(VALU_DEP_1) | instskip(SKIP_3) | instid1(VALU_DEP_1)
	v_lshlrev_b32_e32 v2, 2, v2
	ds_load_b32 v2, v2
	s_wait_dscnt 0x0
	v_add_nc_u32_e32 v2, v2, v45
	v_lshlrev_b64_e32 v[36:37], 2, v[2:3]
	v_xor_b32_e32 v2, v143, v136
	s_delay_alu instid0(VALU_DEP_2) | instskip(SKIP_1) | instid1(VALU_DEP_3)
	v_add_co_u32 v36, s16, s40, v36
	s_wait_alu 0xf1ff
	v_add_co_ci_u32_e64 v37, null, s41, v37, s16
	global_store_b32 v[36:37], v2, off
	s_wait_alu 0xfffe
	s_or_b32 exec_lo, exec_lo, s17
	v_cmp_lt_u32_e64 s16, v46, v135
	s_and_saveexec_b32 s18, s16
	s_cbranch_execz .LBB1360_1060
.LBB1360_1128:                          ;   in Loop: Header=BB1360_979 Depth=2
	ds_load_b32 v136, v70 offset:3072
	s_wait_dscnt 0x0
	v_cmp_ne_u32_e64 s17, 0x80000000, v136
	s_wait_alu 0xf1ff
	s_delay_alu instid0(VALU_DEP_1) | instskip(SKIP_1) | instid1(VALU_DEP_2)
	v_cndmask_b32_e64 v2, 0x7fffffff, v136, s17
	v_cmp_gt_i32_e64 s17, 0, v136
	v_lshrrev_b32_e32 v2, s49, v2
	s_wait_alu 0xf1ff
	s_delay_alu instid0(VALU_DEP_2) | instskip(NEXT) | instid1(VALU_DEP_2)
	v_cndmask_b32_e64 v143, 0x7fffffff, 0, s17
	v_and_b32_e32 v2, s48, v2
	s_delay_alu instid0(VALU_DEP_1) | instskip(SKIP_3) | instid1(VALU_DEP_1)
	v_lshlrev_b32_e32 v2, 2, v2
	ds_load_b32 v2, v2
	s_wait_dscnt 0x0
	v_add_nc_u32_e32 v2, v2, v46
	v_lshlrev_b64_e32 v[36:37], 2, v[2:3]
	v_xor_b32_e32 v2, v143, v136
	s_delay_alu instid0(VALU_DEP_2) | instskip(SKIP_1) | instid1(VALU_DEP_3)
	v_add_co_u32 v36, s17, s40, v36
	s_wait_alu 0xf1ff
	v_add_co_ci_u32_e64 v37, null, s41, v37, s17
	global_store_b32 v[36:37], v2, off
	s_wait_alu 0xfffe
	s_or_b32 exec_lo, exec_lo, s18
	v_cmp_lt_u32_e64 s17, v47, v135
	s_and_saveexec_b32 s19, s17
	s_cbranch_execz .LBB1360_1061
.LBB1360_1129:                          ;   in Loop: Header=BB1360_979 Depth=2
	ds_load_b32 v136, v70 offset:4096
	s_wait_dscnt 0x0
	v_cmp_ne_u32_e64 s18, 0x80000000, v136
	s_wait_alu 0xf1ff
	s_delay_alu instid0(VALU_DEP_1) | instskip(SKIP_1) | instid1(VALU_DEP_2)
	v_cndmask_b32_e64 v2, 0x7fffffff, v136, s18
	v_cmp_gt_i32_e64 s18, 0, v136
	v_lshrrev_b32_e32 v2, s49, v2
	s_wait_alu 0xf1ff
	s_delay_alu instid0(VALU_DEP_2) | instskip(NEXT) | instid1(VALU_DEP_2)
	v_cndmask_b32_e64 v143, 0x7fffffff, 0, s18
	v_and_b32_e32 v2, s48, v2
	s_delay_alu instid0(VALU_DEP_1) | instskip(SKIP_3) | instid1(VALU_DEP_1)
	v_lshlrev_b32_e32 v2, 2, v2
	ds_load_b32 v2, v2
	s_wait_dscnt 0x0
	v_add_nc_u32_e32 v2, v2, v47
	v_lshlrev_b64_e32 v[36:37], 2, v[2:3]
	v_xor_b32_e32 v2, v143, v136
	s_delay_alu instid0(VALU_DEP_2) | instskip(SKIP_1) | instid1(VALU_DEP_3)
	v_add_co_u32 v36, s18, s40, v36
	s_wait_alu 0xf1ff
	v_add_co_ci_u32_e64 v37, null, s41, v37, s18
	global_store_b32 v[36:37], v2, off
	s_wait_alu 0xfffe
	s_or_b32 exec_lo, exec_lo, s19
	v_cmp_lt_u32_e64 s18, v50, v135
	s_and_saveexec_b32 s20, s18
	s_cbranch_execz .LBB1360_1062
.LBB1360_1130:                          ;   in Loop: Header=BB1360_979 Depth=2
	ds_load_b32 v136, v70 offset:5120
	s_wait_dscnt 0x0
	v_cmp_ne_u32_e64 s19, 0x80000000, v136
	s_wait_alu 0xf1ff
	s_delay_alu instid0(VALU_DEP_1) | instskip(SKIP_1) | instid1(VALU_DEP_2)
	v_cndmask_b32_e64 v2, 0x7fffffff, v136, s19
	v_cmp_gt_i32_e64 s19, 0, v136
	v_lshrrev_b32_e32 v2, s49, v2
	s_wait_alu 0xf1ff
	s_delay_alu instid0(VALU_DEP_2) | instskip(NEXT) | instid1(VALU_DEP_2)
	v_cndmask_b32_e64 v143, 0x7fffffff, 0, s19
	v_and_b32_e32 v2, s48, v2
	s_delay_alu instid0(VALU_DEP_1) | instskip(SKIP_3) | instid1(VALU_DEP_1)
	v_lshlrev_b32_e32 v2, 2, v2
	ds_load_b32 v2, v2
	s_wait_dscnt 0x0
	v_add_nc_u32_e32 v2, v2, v50
	v_lshlrev_b64_e32 v[36:37], 2, v[2:3]
	v_xor_b32_e32 v2, v143, v136
	s_delay_alu instid0(VALU_DEP_2) | instskip(SKIP_1) | instid1(VALU_DEP_3)
	v_add_co_u32 v36, s19, s40, v36
	s_wait_alu 0xf1ff
	v_add_co_ci_u32_e64 v37, null, s41, v37, s19
	global_store_b32 v[36:37], v2, off
	s_wait_alu 0xfffe
	s_or_b32 exec_lo, exec_lo, s20
	v_cmp_lt_u32_e64 s19, v51, v135
	s_and_saveexec_b32 s21, s19
	s_cbranch_execz .LBB1360_1063
.LBB1360_1131:                          ;   in Loop: Header=BB1360_979 Depth=2
	ds_load_b32 v136, v70 offset:6144
	s_wait_dscnt 0x0
	v_cmp_ne_u32_e64 s20, 0x80000000, v136
	s_wait_alu 0xf1ff
	s_delay_alu instid0(VALU_DEP_1) | instskip(SKIP_1) | instid1(VALU_DEP_2)
	v_cndmask_b32_e64 v2, 0x7fffffff, v136, s20
	v_cmp_gt_i32_e64 s20, 0, v136
	v_lshrrev_b32_e32 v2, s49, v2
	s_wait_alu 0xf1ff
	s_delay_alu instid0(VALU_DEP_2) | instskip(NEXT) | instid1(VALU_DEP_2)
	v_cndmask_b32_e64 v143, 0x7fffffff, 0, s20
	v_and_b32_e32 v2, s48, v2
	s_delay_alu instid0(VALU_DEP_1) | instskip(SKIP_3) | instid1(VALU_DEP_1)
	v_lshlrev_b32_e32 v2, 2, v2
	ds_load_b32 v2, v2
	s_wait_dscnt 0x0
	v_add_nc_u32_e32 v2, v2, v51
	v_lshlrev_b64_e32 v[36:37], 2, v[2:3]
	v_xor_b32_e32 v2, v143, v136
	s_delay_alu instid0(VALU_DEP_2) | instskip(SKIP_1) | instid1(VALU_DEP_3)
	v_add_co_u32 v36, s20, s40, v36
	s_wait_alu 0xf1ff
	v_add_co_ci_u32_e64 v37, null, s41, v37, s20
	global_store_b32 v[36:37], v2, off
	s_wait_alu 0xfffe
	s_or_b32 exec_lo, exec_lo, s21
	v_cmp_lt_u32_e64 s20, v52, v135
	s_and_saveexec_b32 s22, s20
	s_cbranch_execz .LBB1360_1064
.LBB1360_1132:                          ;   in Loop: Header=BB1360_979 Depth=2
	ds_load_b32 v136, v70 offset:7168
	s_wait_dscnt 0x0
	v_cmp_ne_u32_e64 s21, 0x80000000, v136
	s_wait_alu 0xf1ff
	s_delay_alu instid0(VALU_DEP_1) | instskip(SKIP_1) | instid1(VALU_DEP_2)
	v_cndmask_b32_e64 v2, 0x7fffffff, v136, s21
	v_cmp_gt_i32_e64 s21, 0, v136
	v_lshrrev_b32_e32 v2, s49, v2
	s_wait_alu 0xf1ff
	s_delay_alu instid0(VALU_DEP_2) | instskip(NEXT) | instid1(VALU_DEP_2)
	v_cndmask_b32_e64 v143, 0x7fffffff, 0, s21
	v_and_b32_e32 v2, s48, v2
	s_delay_alu instid0(VALU_DEP_1) | instskip(SKIP_3) | instid1(VALU_DEP_1)
	v_lshlrev_b32_e32 v2, 2, v2
	ds_load_b32 v2, v2
	s_wait_dscnt 0x0
	v_add_nc_u32_e32 v2, v2, v52
	v_lshlrev_b64_e32 v[36:37], 2, v[2:3]
	v_xor_b32_e32 v2, v143, v136
	s_delay_alu instid0(VALU_DEP_2) | instskip(SKIP_1) | instid1(VALU_DEP_3)
	v_add_co_u32 v36, s21, s40, v36
	s_wait_alu 0xf1ff
	v_add_co_ci_u32_e64 v37, null, s41, v37, s21
	global_store_b32 v[36:37], v2, off
	s_wait_alu 0xfffe
	s_or_b32 exec_lo, exec_lo, s22
	v_cmp_lt_u32_e64 s21, v53, v135
	s_and_saveexec_b32 s23, s21
	s_cbranch_execz .LBB1360_1065
.LBB1360_1133:                          ;   in Loop: Header=BB1360_979 Depth=2
	ds_load_b32 v136, v70 offset:8192
	s_wait_dscnt 0x0
	v_cmp_ne_u32_e64 s22, 0x80000000, v136
	s_wait_alu 0xf1ff
	s_delay_alu instid0(VALU_DEP_1) | instskip(SKIP_1) | instid1(VALU_DEP_2)
	v_cndmask_b32_e64 v2, 0x7fffffff, v136, s22
	v_cmp_gt_i32_e64 s22, 0, v136
	v_lshrrev_b32_e32 v2, s49, v2
	s_wait_alu 0xf1ff
	s_delay_alu instid0(VALU_DEP_2) | instskip(NEXT) | instid1(VALU_DEP_2)
	v_cndmask_b32_e64 v143, 0x7fffffff, 0, s22
	v_and_b32_e32 v2, s48, v2
	s_delay_alu instid0(VALU_DEP_1) | instskip(SKIP_3) | instid1(VALU_DEP_1)
	v_lshlrev_b32_e32 v2, 2, v2
	ds_load_b32 v2, v2
	s_wait_dscnt 0x0
	v_add_nc_u32_e32 v2, v2, v53
	v_lshlrev_b64_e32 v[36:37], 2, v[2:3]
	v_xor_b32_e32 v2, v143, v136
	s_delay_alu instid0(VALU_DEP_2) | instskip(SKIP_1) | instid1(VALU_DEP_3)
	v_add_co_u32 v36, s22, s40, v36
	s_wait_alu 0xf1ff
	v_add_co_ci_u32_e64 v37, null, s41, v37, s22
	global_store_b32 v[36:37], v2, off
	s_wait_alu 0xfffe
	s_or_b32 exec_lo, exec_lo, s23
	v_cmp_lt_u32_e64 s22, v54, v135
	s_and_saveexec_b32 s24, s22
	s_cbranch_execz .LBB1360_1066
.LBB1360_1134:                          ;   in Loop: Header=BB1360_979 Depth=2
	ds_load_b32 v136, v70 offset:9216
	s_wait_dscnt 0x0
	v_cmp_ne_u32_e64 s23, 0x80000000, v136
	s_wait_alu 0xf1ff
	s_delay_alu instid0(VALU_DEP_1) | instskip(SKIP_1) | instid1(VALU_DEP_2)
	v_cndmask_b32_e64 v2, 0x7fffffff, v136, s23
	v_cmp_gt_i32_e64 s23, 0, v136
	v_lshrrev_b32_e32 v2, s49, v2
	s_wait_alu 0xf1ff
	s_delay_alu instid0(VALU_DEP_2) | instskip(NEXT) | instid1(VALU_DEP_2)
	v_cndmask_b32_e64 v143, 0x7fffffff, 0, s23
	v_and_b32_e32 v2, s48, v2
	s_delay_alu instid0(VALU_DEP_1) | instskip(SKIP_3) | instid1(VALU_DEP_1)
	v_lshlrev_b32_e32 v2, 2, v2
	ds_load_b32 v2, v2
	s_wait_dscnt 0x0
	v_add_nc_u32_e32 v2, v2, v54
	v_lshlrev_b64_e32 v[36:37], 2, v[2:3]
	v_xor_b32_e32 v2, v143, v136
	s_delay_alu instid0(VALU_DEP_2) | instskip(SKIP_1) | instid1(VALU_DEP_3)
	v_add_co_u32 v36, s23, s40, v36
	s_wait_alu 0xf1ff
	v_add_co_ci_u32_e64 v37, null, s41, v37, s23
	global_store_b32 v[36:37], v2, off
	s_wait_alu 0xfffe
	s_or_b32 exec_lo, exec_lo, s24
	v_cmp_lt_u32_e64 s23, v55, v135
	s_and_saveexec_b32 s25, s23
	s_cbranch_execz .LBB1360_1067
.LBB1360_1135:                          ;   in Loop: Header=BB1360_979 Depth=2
	ds_load_b32 v136, v70 offset:10240
	s_wait_dscnt 0x0
	v_cmp_ne_u32_e64 s24, 0x80000000, v136
	s_wait_alu 0xf1ff
	s_delay_alu instid0(VALU_DEP_1) | instskip(SKIP_1) | instid1(VALU_DEP_2)
	v_cndmask_b32_e64 v2, 0x7fffffff, v136, s24
	v_cmp_gt_i32_e64 s24, 0, v136
	v_lshrrev_b32_e32 v2, s49, v2
	s_wait_alu 0xf1ff
	s_delay_alu instid0(VALU_DEP_2) | instskip(NEXT) | instid1(VALU_DEP_2)
	v_cndmask_b32_e64 v143, 0x7fffffff, 0, s24
	v_and_b32_e32 v2, s48, v2
	s_delay_alu instid0(VALU_DEP_1) | instskip(SKIP_3) | instid1(VALU_DEP_1)
	v_lshlrev_b32_e32 v2, 2, v2
	ds_load_b32 v2, v2
	s_wait_dscnt 0x0
	v_add_nc_u32_e32 v2, v2, v55
	v_lshlrev_b64_e32 v[36:37], 2, v[2:3]
	v_xor_b32_e32 v2, v143, v136
	s_delay_alu instid0(VALU_DEP_2) | instskip(SKIP_1) | instid1(VALU_DEP_3)
	v_add_co_u32 v36, s24, s40, v36
	s_wait_alu 0xf1ff
	v_add_co_ci_u32_e64 v37, null, s41, v37, s24
	global_store_b32 v[36:37], v2, off
	s_wait_alu 0xfffe
	s_or_b32 exec_lo, exec_lo, s25
	v_cmp_lt_u32_e64 s24, v56, v135
	s_and_saveexec_b32 s26, s24
	s_cbranch_execz .LBB1360_1068
.LBB1360_1136:                          ;   in Loop: Header=BB1360_979 Depth=2
	ds_load_b32 v136, v70 offset:11264
	s_wait_dscnt 0x0
	v_cmp_ne_u32_e64 s25, 0x80000000, v136
	s_wait_alu 0xf1ff
	s_delay_alu instid0(VALU_DEP_1) | instskip(SKIP_1) | instid1(VALU_DEP_2)
	v_cndmask_b32_e64 v2, 0x7fffffff, v136, s25
	v_cmp_gt_i32_e64 s25, 0, v136
	v_lshrrev_b32_e32 v2, s49, v2
	s_wait_alu 0xf1ff
	s_delay_alu instid0(VALU_DEP_2) | instskip(NEXT) | instid1(VALU_DEP_2)
	v_cndmask_b32_e64 v143, 0x7fffffff, 0, s25
	v_and_b32_e32 v2, s48, v2
	s_delay_alu instid0(VALU_DEP_1) | instskip(SKIP_3) | instid1(VALU_DEP_1)
	v_lshlrev_b32_e32 v2, 2, v2
	ds_load_b32 v2, v2
	s_wait_dscnt 0x0
	v_add_nc_u32_e32 v2, v2, v56
	v_lshlrev_b64_e32 v[36:37], 2, v[2:3]
	v_xor_b32_e32 v2, v143, v136
	s_delay_alu instid0(VALU_DEP_2) | instskip(SKIP_1) | instid1(VALU_DEP_3)
	v_add_co_u32 v36, s25, s40, v36
	s_wait_alu 0xf1ff
	v_add_co_ci_u32_e64 v37, null, s41, v37, s25
	global_store_b32 v[36:37], v2, off
	s_wait_alu 0xfffe
	s_or_b32 exec_lo, exec_lo, s26
	v_cmp_lt_u32_e64 s25, v57, v135
	s_and_saveexec_b32 s27, s25
	s_cbranch_execz .LBB1360_1069
.LBB1360_1137:                          ;   in Loop: Header=BB1360_979 Depth=2
	ds_load_b32 v136, v70 offset:12288
	s_wait_dscnt 0x0
	v_cmp_ne_u32_e64 s26, 0x80000000, v136
	s_wait_alu 0xf1ff
	s_delay_alu instid0(VALU_DEP_1) | instskip(SKIP_1) | instid1(VALU_DEP_2)
	v_cndmask_b32_e64 v2, 0x7fffffff, v136, s26
	v_cmp_gt_i32_e64 s26, 0, v136
	v_lshrrev_b32_e32 v2, s49, v2
	s_wait_alu 0xf1ff
	s_delay_alu instid0(VALU_DEP_2) | instskip(NEXT) | instid1(VALU_DEP_2)
	v_cndmask_b32_e64 v143, 0x7fffffff, 0, s26
	v_and_b32_e32 v2, s48, v2
	s_delay_alu instid0(VALU_DEP_1) | instskip(SKIP_3) | instid1(VALU_DEP_1)
	v_lshlrev_b32_e32 v2, 2, v2
	ds_load_b32 v2, v2
	s_wait_dscnt 0x0
	v_add_nc_u32_e32 v2, v2, v57
	v_lshlrev_b64_e32 v[36:37], 2, v[2:3]
	v_xor_b32_e32 v2, v143, v136
	s_delay_alu instid0(VALU_DEP_2) | instskip(SKIP_1) | instid1(VALU_DEP_3)
	v_add_co_u32 v36, s26, s40, v36
	s_wait_alu 0xf1ff
	v_add_co_ci_u32_e64 v37, null, s41, v37, s26
	global_store_b32 v[36:37], v2, off
	s_wait_alu 0xfffe
	s_or_b32 exec_lo, exec_lo, s27
	v_cmp_lt_u32_e64 s26, v58, v135
	s_and_saveexec_b32 s28, s26
	s_cbranch_execz .LBB1360_1070
.LBB1360_1138:                          ;   in Loop: Header=BB1360_979 Depth=2
	ds_load_b32 v136, v70 offset:13312
	s_wait_dscnt 0x0
	v_cmp_ne_u32_e64 s27, 0x80000000, v136
	s_wait_alu 0xf1ff
	s_delay_alu instid0(VALU_DEP_1) | instskip(SKIP_1) | instid1(VALU_DEP_2)
	v_cndmask_b32_e64 v2, 0x7fffffff, v136, s27
	v_cmp_gt_i32_e64 s27, 0, v136
	v_lshrrev_b32_e32 v2, s49, v2
	s_wait_alu 0xf1ff
	s_delay_alu instid0(VALU_DEP_2) | instskip(NEXT) | instid1(VALU_DEP_2)
	v_cndmask_b32_e64 v143, 0x7fffffff, 0, s27
	v_and_b32_e32 v2, s48, v2
	s_delay_alu instid0(VALU_DEP_1) | instskip(SKIP_3) | instid1(VALU_DEP_1)
	v_lshlrev_b32_e32 v2, 2, v2
	ds_load_b32 v2, v2
	s_wait_dscnt 0x0
	v_add_nc_u32_e32 v2, v2, v58
	v_lshlrev_b64_e32 v[36:37], 2, v[2:3]
	v_xor_b32_e32 v2, v143, v136
	s_delay_alu instid0(VALU_DEP_2) | instskip(SKIP_1) | instid1(VALU_DEP_3)
	v_add_co_u32 v36, s27, s40, v36
	s_wait_alu 0xf1ff
	v_add_co_ci_u32_e64 v37, null, s41, v37, s27
	global_store_b32 v[36:37], v2, off
	s_wait_alu 0xfffe
	s_or_b32 exec_lo, exec_lo, s28
	v_cmp_lt_u32_e64 s27, v59, v135
	s_and_saveexec_b32 s29, s27
	s_cbranch_execz .LBB1360_1071
.LBB1360_1139:                          ;   in Loop: Header=BB1360_979 Depth=2
	ds_load_b32 v136, v70 offset:14336
	s_wait_dscnt 0x0
	v_cmp_ne_u32_e64 s28, 0x80000000, v136
	s_wait_alu 0xf1ff
	s_delay_alu instid0(VALU_DEP_1) | instskip(SKIP_1) | instid1(VALU_DEP_2)
	v_cndmask_b32_e64 v2, 0x7fffffff, v136, s28
	v_cmp_gt_i32_e64 s28, 0, v136
	v_lshrrev_b32_e32 v2, s49, v2
	s_wait_alu 0xf1ff
	s_delay_alu instid0(VALU_DEP_2) | instskip(NEXT) | instid1(VALU_DEP_2)
	v_cndmask_b32_e64 v143, 0x7fffffff, 0, s28
	v_and_b32_e32 v2, s48, v2
	s_delay_alu instid0(VALU_DEP_1) | instskip(SKIP_3) | instid1(VALU_DEP_1)
	v_lshlrev_b32_e32 v2, 2, v2
	ds_load_b32 v2, v2
	s_wait_dscnt 0x0
	v_add_nc_u32_e32 v2, v2, v59
	v_lshlrev_b64_e32 v[36:37], 2, v[2:3]
	v_xor_b32_e32 v2, v143, v136
	s_delay_alu instid0(VALU_DEP_2) | instskip(SKIP_1) | instid1(VALU_DEP_3)
	v_add_co_u32 v36, s28, s40, v36
	s_wait_alu 0xf1ff
	v_add_co_ci_u32_e64 v37, null, s41, v37, s28
	global_store_b32 v[36:37], v2, off
	s_wait_alu 0xfffe
	s_or_b32 exec_lo, exec_lo, s29
	v_cmp_lt_u32_e64 s28, v60, v135
	s_and_saveexec_b32 s30, s28
	s_cbranch_execz .LBB1360_1072
.LBB1360_1140:                          ;   in Loop: Header=BB1360_979 Depth=2
	ds_load_b32 v136, v70 offset:15360
	s_wait_dscnt 0x0
	v_cmp_ne_u32_e64 s29, 0x80000000, v136
	s_wait_alu 0xf1ff
	s_delay_alu instid0(VALU_DEP_1) | instskip(SKIP_1) | instid1(VALU_DEP_2)
	v_cndmask_b32_e64 v2, 0x7fffffff, v136, s29
	v_cmp_gt_i32_e64 s29, 0, v136
	v_lshrrev_b32_e32 v2, s49, v2
	s_wait_alu 0xf1ff
	s_delay_alu instid0(VALU_DEP_2) | instskip(NEXT) | instid1(VALU_DEP_2)
	v_cndmask_b32_e64 v143, 0x7fffffff, 0, s29
	v_and_b32_e32 v2, s48, v2
	s_delay_alu instid0(VALU_DEP_1) | instskip(SKIP_3) | instid1(VALU_DEP_1)
	v_lshlrev_b32_e32 v2, 2, v2
	ds_load_b32 v2, v2
	s_wait_dscnt 0x0
	v_add_nc_u32_e32 v2, v2, v60
	v_lshlrev_b64_e32 v[36:37], 2, v[2:3]
	v_xor_b32_e32 v2, v143, v136
	s_delay_alu instid0(VALU_DEP_2) | instskip(SKIP_1) | instid1(VALU_DEP_3)
	v_add_co_u32 v36, s29, s40, v36
	s_wait_alu 0xf1ff
	v_add_co_ci_u32_e64 v37, null, s41, v37, s29
	global_store_b32 v[36:37], v2, off
	s_wait_alu 0xfffe
	s_or_b32 exec_lo, exec_lo, s30
	v_cmp_lt_u32_e64 s29, v61, v135
	s_and_saveexec_b32 s56, s29
	s_cbranch_execnz .LBB1360_1073
	s_branch .LBB1360_1074
.LBB1360_1141:                          ;   in Loop: Header=BB1360_979 Depth=2
	global_load_b64 v[34:35], v[36:37], off
	s_wait_alu 0xfffe
	s_or_b32 exec_lo, exec_lo, s30
	s_delay_alu instid0(SALU_CYCLE_1)
	s_mov_b32 s42, exec_lo
	v_cmpx_lt_u32_e64 v92, v135
	s_cbranch_execz .LBB1360_1076
.LBB1360_1142:                          ;   in Loop: Header=BB1360_979 Depth=2
	global_load_b64 v[32:33], v[36:37], off offset:256
	s_wait_alu 0xfffe
	s_or_b32 exec_lo, exec_lo, s42
	s_delay_alu instid0(SALU_CYCLE_1)
	s_mov_b32 s42, exec_lo
	v_cmpx_lt_u32_e64 v93, v135
	s_cbranch_execz .LBB1360_1077
.LBB1360_1143:                          ;   in Loop: Header=BB1360_979 Depth=2
	global_load_b64 v[30:31], v[36:37], off offset:512
	s_wait_alu 0xfffe
	s_or_b32 exec_lo, exec_lo, s42
	s_delay_alu instid0(SALU_CYCLE_1)
	s_mov_b32 s42, exec_lo
	v_cmpx_lt_u32_e64 v94, v135
	s_cbranch_execz .LBB1360_1078
.LBB1360_1144:                          ;   in Loop: Header=BB1360_979 Depth=2
	global_load_b64 v[28:29], v[36:37], off offset:768
	s_wait_alu 0xfffe
	s_or_b32 exec_lo, exec_lo, s42
	s_delay_alu instid0(SALU_CYCLE_1)
	s_mov_b32 s42, exec_lo
	v_cmpx_lt_u32_e64 v95, v135
	s_cbranch_execz .LBB1360_1079
.LBB1360_1145:                          ;   in Loop: Header=BB1360_979 Depth=2
	global_load_b64 v[26:27], v[36:37], off offset:1024
	s_wait_alu 0xfffe
	s_or_b32 exec_lo, exec_lo, s42
	s_delay_alu instid0(SALU_CYCLE_1)
	s_mov_b32 s42, exec_lo
	v_cmpx_lt_u32_e64 v96, v135
	s_cbranch_execz .LBB1360_1080
.LBB1360_1146:                          ;   in Loop: Header=BB1360_979 Depth=2
	global_load_b64 v[24:25], v[36:37], off offset:1280
	s_wait_alu 0xfffe
	s_or_b32 exec_lo, exec_lo, s42
	s_delay_alu instid0(SALU_CYCLE_1)
	s_mov_b32 s42, exec_lo
	v_cmpx_lt_u32_e64 v97, v135
	s_cbranch_execz .LBB1360_1081
.LBB1360_1147:                          ;   in Loop: Header=BB1360_979 Depth=2
	global_load_b64 v[22:23], v[36:37], off offset:1536
	s_wait_alu 0xfffe
	s_or_b32 exec_lo, exec_lo, s42
	s_delay_alu instid0(SALU_CYCLE_1)
	s_mov_b32 s42, exec_lo
	v_cmpx_lt_u32_e64 v98, v135
	s_cbranch_execz .LBB1360_1082
.LBB1360_1148:                          ;   in Loop: Header=BB1360_979 Depth=2
	global_load_b64 v[20:21], v[36:37], off offset:1792
	s_wait_alu 0xfffe
	s_or_b32 exec_lo, exec_lo, s42
	s_delay_alu instid0(SALU_CYCLE_1)
	s_mov_b32 s42, exec_lo
	v_cmpx_lt_u32_e64 v99, v135
	s_cbranch_execz .LBB1360_1083
.LBB1360_1149:                          ;   in Loop: Header=BB1360_979 Depth=2
	global_load_b64 v[18:19], v[36:37], off offset:2048
	s_wait_alu 0xfffe
	s_or_b32 exec_lo, exec_lo, s42
	s_delay_alu instid0(SALU_CYCLE_1)
	s_mov_b32 s42, exec_lo
	v_cmpx_lt_u32_e64 v100, v135
	s_cbranch_execz .LBB1360_1084
.LBB1360_1150:                          ;   in Loop: Header=BB1360_979 Depth=2
	global_load_b64 v[16:17], v[36:37], off offset:2304
	s_wait_alu 0xfffe
	s_or_b32 exec_lo, exec_lo, s42
	s_delay_alu instid0(SALU_CYCLE_1)
	s_mov_b32 s42, exec_lo
	v_cmpx_lt_u32_e64 v101, v135
	s_cbranch_execz .LBB1360_1085
.LBB1360_1151:                          ;   in Loop: Header=BB1360_979 Depth=2
	global_load_b64 v[14:15], v[36:37], off offset:2560
	s_wait_alu 0xfffe
	s_or_b32 exec_lo, exec_lo, s42
	s_delay_alu instid0(SALU_CYCLE_1)
	s_mov_b32 s42, exec_lo
	v_cmpx_lt_u32_e64 v102, v135
	s_cbranch_execz .LBB1360_1086
.LBB1360_1152:                          ;   in Loop: Header=BB1360_979 Depth=2
	global_load_b64 v[12:13], v[36:37], off offset:2816
	s_wait_alu 0xfffe
	s_or_b32 exec_lo, exec_lo, s42
	s_delay_alu instid0(SALU_CYCLE_1)
	s_mov_b32 s42, exec_lo
	v_cmpx_lt_u32_e64 v103, v135
	s_cbranch_execz .LBB1360_1087
.LBB1360_1153:                          ;   in Loop: Header=BB1360_979 Depth=2
	global_load_b64 v[10:11], v[36:37], off offset:3072
	s_wait_alu 0xfffe
	s_or_b32 exec_lo, exec_lo, s42
	s_delay_alu instid0(SALU_CYCLE_1)
	s_mov_b32 s42, exec_lo
	v_cmpx_lt_u32_e64 v104, v135
	s_cbranch_execz .LBB1360_1088
.LBB1360_1154:                          ;   in Loop: Header=BB1360_979 Depth=2
	global_load_b64 v[8:9], v[36:37], off offset:3328
	s_wait_alu 0xfffe
	s_or_b32 exec_lo, exec_lo, s42
	s_delay_alu instid0(SALU_CYCLE_1)
	s_mov_b32 s42, exec_lo
	v_cmpx_lt_u32_e64 v105, v135
	s_cbranch_execz .LBB1360_1089
.LBB1360_1155:                          ;   in Loop: Header=BB1360_979 Depth=2
	global_load_b64 v[6:7], v[36:37], off offset:3584
	s_wait_alu 0xfffe
	s_or_b32 exec_lo, exec_lo, s42
	s_delay_alu instid0(SALU_CYCLE_1)
	s_mov_b32 s42, exec_lo
	v_cmpx_lt_u32_e64 v106, v135
	s_cbranch_execz .LBB1360_1090
.LBB1360_1156:                          ;   in Loop: Header=BB1360_979 Depth=2
	global_load_b64 v[4:5], v[36:37], off offset:3840
	s_wait_alu 0xfffe
	s_or_b32 exec_lo, exec_lo, s42
	s_and_saveexec_b32 s42, vcc_lo
	s_cbranch_execz .LBB1360_1091
.LBB1360_1157:                          ;   in Loop: Header=BB1360_979 Depth=2
	ds_load_b32 v2, v70 offset:1024
	s_wait_dscnt 0x0
	v_cmp_ne_u32_e64 s30, 0x80000000, v2
	s_wait_alu 0xf1ff
	s_delay_alu instid0(VALU_DEP_1) | instskip(NEXT) | instid1(VALU_DEP_1)
	v_cndmask_b32_e64 v2, 0x7fffffff, v2, s30
	v_lshrrev_b32_e32 v2, s49, v2
	s_delay_alu instid0(VALU_DEP_1)
	v_and_b32_e32 v134, s48, v2
	s_wait_alu 0xfffe
	s_or_b32 exec_lo, exec_lo, s42
	s_and_saveexec_b32 s42, s15
	s_cbranch_execz .LBB1360_1092
.LBB1360_1158:                          ;   in Loop: Header=BB1360_979 Depth=2
	ds_load_b32 v2, v70 offset:2048
	s_wait_dscnt 0x0
	v_cmp_ne_u32_e64 s30, 0x80000000, v2
	s_wait_alu 0xf1ff
	s_delay_alu instid0(VALU_DEP_1) | instskip(NEXT) | instid1(VALU_DEP_1)
	v_cndmask_b32_e64 v2, 0x7fffffff, v2, s30
	v_lshrrev_b32_e32 v2, s49, v2
	s_delay_alu instid0(VALU_DEP_1)
	v_and_b32_e32 v133, s48, v2
	s_wait_alu 0xfffe
	s_or_b32 exec_lo, exec_lo, s42
	s_and_saveexec_b32 s42, s16
	s_cbranch_execz .LBB1360_1093
.LBB1360_1159:                          ;   in Loop: Header=BB1360_979 Depth=2
	ds_load_b32 v2, v70 offset:3072
	s_wait_dscnt 0x0
	v_cmp_ne_u32_e64 s30, 0x80000000, v2
	s_wait_alu 0xf1ff
	s_delay_alu instid0(VALU_DEP_1) | instskip(NEXT) | instid1(VALU_DEP_1)
	v_cndmask_b32_e64 v2, 0x7fffffff, v2, s30
	v_lshrrev_b32_e32 v2, s49, v2
	s_delay_alu instid0(VALU_DEP_1)
	v_and_b32_e32 v132, s48, v2
	s_wait_alu 0xfffe
	s_or_b32 exec_lo, exec_lo, s42
	s_and_saveexec_b32 s42, s17
	s_cbranch_execz .LBB1360_1094
.LBB1360_1160:                          ;   in Loop: Header=BB1360_979 Depth=2
	ds_load_b32 v2, v70 offset:4096
	s_wait_dscnt 0x0
	v_cmp_ne_u32_e64 s30, 0x80000000, v2
	s_wait_alu 0xf1ff
	s_delay_alu instid0(VALU_DEP_1) | instskip(NEXT) | instid1(VALU_DEP_1)
	v_cndmask_b32_e64 v2, 0x7fffffff, v2, s30
	v_lshrrev_b32_e32 v2, s49, v2
	s_delay_alu instid0(VALU_DEP_1)
	v_and_b32_e32 v131, s48, v2
	s_wait_alu 0xfffe
	s_or_b32 exec_lo, exec_lo, s42
	s_and_saveexec_b32 s42, s18
	s_cbranch_execz .LBB1360_1095
.LBB1360_1161:                          ;   in Loop: Header=BB1360_979 Depth=2
	ds_load_b32 v2, v70 offset:5120
	s_wait_dscnt 0x0
	v_cmp_ne_u32_e64 s30, 0x80000000, v2
	s_wait_alu 0xf1ff
	s_delay_alu instid0(VALU_DEP_1) | instskip(NEXT) | instid1(VALU_DEP_1)
	v_cndmask_b32_e64 v2, 0x7fffffff, v2, s30
	v_lshrrev_b32_e32 v2, s49, v2
	s_delay_alu instid0(VALU_DEP_1)
	v_and_b32_e32 v130, s48, v2
	s_wait_alu 0xfffe
	s_or_b32 exec_lo, exec_lo, s42
	s_and_saveexec_b32 s42, s19
	s_cbranch_execz .LBB1360_1096
.LBB1360_1162:                          ;   in Loop: Header=BB1360_979 Depth=2
	ds_load_b32 v2, v70 offset:6144
	s_wait_dscnt 0x0
	v_cmp_ne_u32_e64 s30, 0x80000000, v2
	s_wait_alu 0xf1ff
	s_delay_alu instid0(VALU_DEP_1) | instskip(NEXT) | instid1(VALU_DEP_1)
	v_cndmask_b32_e64 v2, 0x7fffffff, v2, s30
	v_lshrrev_b32_e32 v2, s49, v2
	s_delay_alu instid0(VALU_DEP_1)
	v_and_b32_e32 v129, s48, v2
	s_wait_alu 0xfffe
	s_or_b32 exec_lo, exec_lo, s42
	s_and_saveexec_b32 s42, s20
	s_cbranch_execz .LBB1360_1097
.LBB1360_1163:                          ;   in Loop: Header=BB1360_979 Depth=2
	ds_load_b32 v2, v70 offset:7168
	s_wait_dscnt 0x0
	v_cmp_ne_u32_e64 s30, 0x80000000, v2
	s_wait_alu 0xf1ff
	s_delay_alu instid0(VALU_DEP_1) | instskip(NEXT) | instid1(VALU_DEP_1)
	v_cndmask_b32_e64 v2, 0x7fffffff, v2, s30
	v_lshrrev_b32_e32 v2, s49, v2
	s_delay_alu instid0(VALU_DEP_1)
	v_and_b32_e32 v128, s48, v2
	s_wait_alu 0xfffe
	s_or_b32 exec_lo, exec_lo, s42
	s_and_saveexec_b32 s42, s21
	s_cbranch_execz .LBB1360_1098
.LBB1360_1164:                          ;   in Loop: Header=BB1360_979 Depth=2
	ds_load_b32 v2, v70 offset:8192
	s_wait_dscnt 0x0
	v_cmp_ne_u32_e64 s30, 0x80000000, v2
	s_wait_alu 0xf1ff
	s_delay_alu instid0(VALU_DEP_1) | instskip(NEXT) | instid1(VALU_DEP_1)
	v_cndmask_b32_e64 v2, 0x7fffffff, v2, s30
	v_lshrrev_b32_e32 v2, s49, v2
	s_delay_alu instid0(VALU_DEP_1)
	v_and_b32_e32 v127, s48, v2
	s_wait_alu 0xfffe
	s_or_b32 exec_lo, exec_lo, s42
	s_and_saveexec_b32 s42, s22
	s_cbranch_execz .LBB1360_1099
.LBB1360_1165:                          ;   in Loop: Header=BB1360_979 Depth=2
	ds_load_b32 v2, v70 offset:9216
	s_wait_dscnt 0x0
	v_cmp_ne_u32_e64 s30, 0x80000000, v2
	s_wait_alu 0xf1ff
	s_delay_alu instid0(VALU_DEP_1) | instskip(NEXT) | instid1(VALU_DEP_1)
	v_cndmask_b32_e64 v2, 0x7fffffff, v2, s30
	v_lshrrev_b32_e32 v2, s49, v2
	s_delay_alu instid0(VALU_DEP_1)
	v_and_b32_e32 v126, s48, v2
	s_wait_alu 0xfffe
	s_or_b32 exec_lo, exec_lo, s42
	s_and_saveexec_b32 s42, s23
	s_cbranch_execz .LBB1360_1100
.LBB1360_1166:                          ;   in Loop: Header=BB1360_979 Depth=2
	ds_load_b32 v2, v70 offset:10240
	s_wait_dscnt 0x0
	v_cmp_ne_u32_e64 s30, 0x80000000, v2
	s_wait_alu 0xf1ff
	s_delay_alu instid0(VALU_DEP_1) | instskip(NEXT) | instid1(VALU_DEP_1)
	v_cndmask_b32_e64 v2, 0x7fffffff, v2, s30
	v_lshrrev_b32_e32 v2, s49, v2
	s_delay_alu instid0(VALU_DEP_1)
	v_and_b32_e32 v125, s48, v2
	s_wait_alu 0xfffe
	s_or_b32 exec_lo, exec_lo, s42
	s_and_saveexec_b32 s42, s24
	s_cbranch_execz .LBB1360_1101
.LBB1360_1167:                          ;   in Loop: Header=BB1360_979 Depth=2
	ds_load_b32 v2, v70 offset:11264
	s_wait_dscnt 0x0
	v_cmp_ne_u32_e64 s30, 0x80000000, v2
	s_wait_alu 0xf1ff
	s_delay_alu instid0(VALU_DEP_1) | instskip(NEXT) | instid1(VALU_DEP_1)
	v_cndmask_b32_e64 v2, 0x7fffffff, v2, s30
	v_lshrrev_b32_e32 v2, s49, v2
	s_delay_alu instid0(VALU_DEP_1)
	v_and_b32_e32 v124, s48, v2
	s_wait_alu 0xfffe
	s_or_b32 exec_lo, exec_lo, s42
	s_and_saveexec_b32 s42, s25
	s_cbranch_execz .LBB1360_1102
.LBB1360_1168:                          ;   in Loop: Header=BB1360_979 Depth=2
	ds_load_b32 v2, v70 offset:12288
	s_wait_dscnt 0x0
	v_cmp_ne_u32_e64 s30, 0x80000000, v2
	s_wait_alu 0xf1ff
	s_delay_alu instid0(VALU_DEP_1) | instskip(NEXT) | instid1(VALU_DEP_1)
	v_cndmask_b32_e64 v2, 0x7fffffff, v2, s30
	v_lshrrev_b32_e32 v2, s49, v2
	s_delay_alu instid0(VALU_DEP_1)
	v_and_b32_e32 v123, s48, v2
	s_wait_alu 0xfffe
	s_or_b32 exec_lo, exec_lo, s42
	s_and_saveexec_b32 s42, s26
	s_cbranch_execz .LBB1360_1103
.LBB1360_1169:                          ;   in Loop: Header=BB1360_979 Depth=2
	ds_load_b32 v2, v70 offset:13312
	s_wait_dscnt 0x0
	v_cmp_ne_u32_e64 s30, 0x80000000, v2
	s_wait_alu 0xf1ff
	s_delay_alu instid0(VALU_DEP_1) | instskip(NEXT) | instid1(VALU_DEP_1)
	v_cndmask_b32_e64 v2, 0x7fffffff, v2, s30
	v_lshrrev_b32_e32 v2, s49, v2
	s_delay_alu instid0(VALU_DEP_1)
	v_and_b32_e32 v122, s48, v2
	s_wait_alu 0xfffe
	s_or_b32 exec_lo, exec_lo, s42
	s_and_saveexec_b32 s42, s27
	s_cbranch_execz .LBB1360_1104
.LBB1360_1170:                          ;   in Loop: Header=BB1360_979 Depth=2
	ds_load_b32 v2, v70 offset:14336
	s_wait_dscnt 0x0
	v_cmp_ne_u32_e64 s30, 0x80000000, v2
	s_wait_alu 0xf1ff
	s_delay_alu instid0(VALU_DEP_1) | instskip(NEXT) | instid1(VALU_DEP_1)
	v_cndmask_b32_e64 v2, 0x7fffffff, v2, s30
	v_lshrrev_b32_e32 v2, s49, v2
	s_delay_alu instid0(VALU_DEP_1)
	v_and_b32_e32 v121, s48, v2
	s_wait_alu 0xfffe
	s_or_b32 exec_lo, exec_lo, s42
	s_and_saveexec_b32 s42, s28
	s_cbranch_execz .LBB1360_1105
.LBB1360_1171:                          ;   in Loop: Header=BB1360_979 Depth=2
	ds_load_b32 v2, v70 offset:15360
	s_wait_dscnt 0x0
	v_cmp_ne_u32_e64 s30, 0x80000000, v2
	s_wait_alu 0xf1ff
	s_delay_alu instid0(VALU_DEP_1) | instskip(NEXT) | instid1(VALU_DEP_1)
	v_cndmask_b32_e64 v2, 0x7fffffff, v2, s30
	v_lshrrev_b32_e32 v2, s49, v2
	s_delay_alu instid0(VALU_DEP_1)
	v_and_b32_e32 v120, s48, v2
	s_wait_alu 0xfffe
	s_or_b32 exec_lo, exec_lo, s42
	s_and_saveexec_b32 s42, s29
	s_cbranch_execnz .LBB1360_1106
	s_branch .LBB1360_1107
.LBB1360_1172:                          ;   in Loop: Header=BB1360_979 Depth=2
	v_lshlrev_b32_e32 v2, 2, v134
	ds_load_b32 v2, v2
	ds_load_b64 v[39:40], v36 offset:1024
	s_wait_dscnt 0x1
	v_add_nc_u32_e32 v2, v2, v1
	s_delay_alu instid0(VALU_DEP_1) | instskip(NEXT) | instid1(VALU_DEP_1)
	v_lshlrev_b64_e32 v[41:42], 3, v[2:3]
	v_add_co_u32 v41, vcc_lo, s46, v41
	s_wait_alu 0xfffd
	s_delay_alu instid0(VALU_DEP_2)
	v_add_co_ci_u32_e64 v42, null, s47, v42, vcc_lo
	s_wait_dscnt 0x0
	global_store_b64 v[41:42], v[39:40], off
	s_wait_alu 0xfffe
	s_or_b32 exec_lo, exec_lo, s30
	s_and_saveexec_b32 s30, s15
	s_cbranch_execz .LBB1360_1109
.LBB1360_1173:                          ;   in Loop: Header=BB1360_979 Depth=2
	v_lshlrev_b32_e32 v2, 2, v133
	ds_load_b32 v2, v2
	ds_load_b64 v[39:40], v36 offset:3072
	s_wait_dscnt 0x1
	v_add_nc_u32_e32 v2, v2, v45
	s_delay_alu instid0(VALU_DEP_1) | instskip(NEXT) | instid1(VALU_DEP_1)
	v_lshlrev_b64_e32 v[41:42], 3, v[2:3]
	v_add_co_u32 v41, vcc_lo, s46, v41
	s_wait_alu 0xfffd
	s_delay_alu instid0(VALU_DEP_2)
	v_add_co_ci_u32_e64 v42, null, s47, v42, vcc_lo
	s_wait_dscnt 0x0
	global_store_b64 v[41:42], v[39:40], off
	s_wait_alu 0xfffe
	s_or_b32 exec_lo, exec_lo, s30
	s_and_saveexec_b32 s15, s16
	s_cbranch_execz .LBB1360_1110
.LBB1360_1174:                          ;   in Loop: Header=BB1360_979 Depth=2
	v_lshlrev_b32_e32 v2, 2, v132
	ds_load_b32 v2, v2
	ds_load_b64 v[39:40], v36 offset:5120
	s_wait_dscnt 0x1
	v_add_nc_u32_e32 v2, v2, v46
	s_delay_alu instid0(VALU_DEP_1) | instskip(NEXT) | instid1(VALU_DEP_1)
	v_lshlrev_b64_e32 v[41:42], 3, v[2:3]
	v_add_co_u32 v41, vcc_lo, s46, v41
	s_wait_alu 0xfffd
	s_delay_alu instid0(VALU_DEP_2)
	v_add_co_ci_u32_e64 v42, null, s47, v42, vcc_lo
	s_wait_dscnt 0x0
	global_store_b64 v[41:42], v[39:40], off
	s_wait_alu 0xfffe
	s_or_b32 exec_lo, exec_lo, s15
	s_and_saveexec_b32 s15, s17
	s_cbranch_execz .LBB1360_1111
.LBB1360_1175:                          ;   in Loop: Header=BB1360_979 Depth=2
	v_lshlrev_b32_e32 v2, 2, v131
	ds_load_b32 v2, v2
	ds_load_b64 v[39:40], v36 offset:7168
	s_wait_dscnt 0x1
	v_add_nc_u32_e32 v2, v2, v47
	s_delay_alu instid0(VALU_DEP_1) | instskip(NEXT) | instid1(VALU_DEP_1)
	v_lshlrev_b64_e32 v[41:42], 3, v[2:3]
	v_add_co_u32 v41, vcc_lo, s46, v41
	s_wait_alu 0xfffd
	s_delay_alu instid0(VALU_DEP_2)
	v_add_co_ci_u32_e64 v42, null, s47, v42, vcc_lo
	s_wait_dscnt 0x0
	global_store_b64 v[41:42], v[39:40], off
	s_wait_alu 0xfffe
	s_or_b32 exec_lo, exec_lo, s15
	s_and_saveexec_b32 s15, s18
	s_cbranch_execz .LBB1360_1112
.LBB1360_1176:                          ;   in Loop: Header=BB1360_979 Depth=2
	v_lshlrev_b32_e32 v2, 2, v130
	ds_load_b32 v2, v2
	ds_load_b64 v[39:40], v36 offset:9216
	s_wait_dscnt 0x1
	v_add_nc_u32_e32 v2, v2, v50
	s_delay_alu instid0(VALU_DEP_1) | instskip(NEXT) | instid1(VALU_DEP_1)
	v_lshlrev_b64_e32 v[41:42], 3, v[2:3]
	v_add_co_u32 v41, vcc_lo, s46, v41
	s_wait_alu 0xfffd
	s_delay_alu instid0(VALU_DEP_2)
	v_add_co_ci_u32_e64 v42, null, s47, v42, vcc_lo
	s_wait_dscnt 0x0
	global_store_b64 v[41:42], v[39:40], off
	s_wait_alu 0xfffe
	s_or_b32 exec_lo, exec_lo, s15
	s_and_saveexec_b32 s15, s19
	s_cbranch_execz .LBB1360_1113
.LBB1360_1177:                          ;   in Loop: Header=BB1360_979 Depth=2
	v_lshlrev_b32_e32 v2, 2, v129
	ds_load_b32 v2, v2
	ds_load_b64 v[39:40], v36 offset:11264
	s_wait_dscnt 0x1
	v_add_nc_u32_e32 v2, v2, v51
	s_delay_alu instid0(VALU_DEP_1) | instskip(NEXT) | instid1(VALU_DEP_1)
	v_lshlrev_b64_e32 v[41:42], 3, v[2:3]
	v_add_co_u32 v41, vcc_lo, s46, v41
	s_wait_alu 0xfffd
	s_delay_alu instid0(VALU_DEP_2)
	v_add_co_ci_u32_e64 v42, null, s47, v42, vcc_lo
	s_wait_dscnt 0x0
	global_store_b64 v[41:42], v[39:40], off
	s_wait_alu 0xfffe
	s_or_b32 exec_lo, exec_lo, s15
	s_and_saveexec_b32 s15, s20
	s_cbranch_execz .LBB1360_1114
.LBB1360_1178:                          ;   in Loop: Header=BB1360_979 Depth=2
	v_lshlrev_b32_e32 v2, 2, v128
	ds_load_b32 v2, v2
	ds_load_b64 v[39:40], v36 offset:13312
	s_wait_dscnt 0x1
	v_add_nc_u32_e32 v2, v2, v52
	s_delay_alu instid0(VALU_DEP_1) | instskip(NEXT) | instid1(VALU_DEP_1)
	v_lshlrev_b64_e32 v[41:42], 3, v[2:3]
	v_add_co_u32 v41, vcc_lo, s46, v41
	s_wait_alu 0xfffd
	s_delay_alu instid0(VALU_DEP_2)
	v_add_co_ci_u32_e64 v42, null, s47, v42, vcc_lo
	s_wait_dscnt 0x0
	global_store_b64 v[41:42], v[39:40], off
	s_wait_alu 0xfffe
	s_or_b32 exec_lo, exec_lo, s15
	s_and_saveexec_b32 s15, s21
	s_cbranch_execz .LBB1360_1115
.LBB1360_1179:                          ;   in Loop: Header=BB1360_979 Depth=2
	v_lshlrev_b32_e32 v2, 2, v127
	ds_load_b32 v2, v2
	ds_load_b64 v[39:40], v36 offset:15360
	s_wait_dscnt 0x1
	v_add_nc_u32_e32 v2, v2, v53
	s_delay_alu instid0(VALU_DEP_1) | instskip(NEXT) | instid1(VALU_DEP_1)
	v_lshlrev_b64_e32 v[41:42], 3, v[2:3]
	v_add_co_u32 v41, vcc_lo, s46, v41
	s_wait_alu 0xfffd
	s_delay_alu instid0(VALU_DEP_2)
	v_add_co_ci_u32_e64 v42, null, s47, v42, vcc_lo
	s_wait_dscnt 0x0
	global_store_b64 v[41:42], v[39:40], off
	s_wait_alu 0xfffe
	s_or_b32 exec_lo, exec_lo, s15
	s_and_saveexec_b32 s15, s22
	s_cbranch_execz .LBB1360_1116
.LBB1360_1180:                          ;   in Loop: Header=BB1360_979 Depth=2
	v_lshlrev_b32_e32 v2, 2, v126
	ds_load_b32 v2, v2
	ds_load_b64 v[39:40], v36 offset:17408
	s_wait_dscnt 0x1
	v_add_nc_u32_e32 v2, v2, v54
	s_delay_alu instid0(VALU_DEP_1) | instskip(NEXT) | instid1(VALU_DEP_1)
	v_lshlrev_b64_e32 v[41:42], 3, v[2:3]
	v_add_co_u32 v41, vcc_lo, s46, v41
	s_wait_alu 0xfffd
	s_delay_alu instid0(VALU_DEP_2)
	v_add_co_ci_u32_e64 v42, null, s47, v42, vcc_lo
	s_wait_dscnt 0x0
	global_store_b64 v[41:42], v[39:40], off
	s_wait_alu 0xfffe
	s_or_b32 exec_lo, exec_lo, s15
	s_and_saveexec_b32 s15, s23
	s_cbranch_execz .LBB1360_1117
.LBB1360_1181:                          ;   in Loop: Header=BB1360_979 Depth=2
	v_lshlrev_b32_e32 v2, 2, v125
	ds_load_b32 v2, v2
	ds_load_b64 v[39:40], v36 offset:19456
	s_wait_dscnt 0x1
	v_add_nc_u32_e32 v2, v2, v55
	s_delay_alu instid0(VALU_DEP_1) | instskip(NEXT) | instid1(VALU_DEP_1)
	v_lshlrev_b64_e32 v[41:42], 3, v[2:3]
	v_add_co_u32 v41, vcc_lo, s46, v41
	s_wait_alu 0xfffd
	s_delay_alu instid0(VALU_DEP_2)
	v_add_co_ci_u32_e64 v42, null, s47, v42, vcc_lo
	s_wait_dscnt 0x0
	global_store_b64 v[41:42], v[39:40], off
	s_wait_alu 0xfffe
	s_or_b32 exec_lo, exec_lo, s15
	s_and_saveexec_b32 s15, s24
	s_cbranch_execz .LBB1360_1118
.LBB1360_1182:                          ;   in Loop: Header=BB1360_979 Depth=2
	v_lshlrev_b32_e32 v2, 2, v124
	ds_load_b32 v2, v2
	ds_load_b64 v[39:40], v36 offset:21504
	s_wait_dscnt 0x1
	v_add_nc_u32_e32 v2, v2, v56
	s_delay_alu instid0(VALU_DEP_1) | instskip(NEXT) | instid1(VALU_DEP_1)
	v_lshlrev_b64_e32 v[41:42], 3, v[2:3]
	v_add_co_u32 v41, vcc_lo, s46, v41
	s_wait_alu 0xfffd
	s_delay_alu instid0(VALU_DEP_2)
	v_add_co_ci_u32_e64 v42, null, s47, v42, vcc_lo
	s_wait_dscnt 0x0
	global_store_b64 v[41:42], v[39:40], off
	s_wait_alu 0xfffe
	s_or_b32 exec_lo, exec_lo, s15
	s_and_saveexec_b32 s15, s25
	s_cbranch_execz .LBB1360_1119
.LBB1360_1183:                          ;   in Loop: Header=BB1360_979 Depth=2
	v_lshlrev_b32_e32 v2, 2, v123
	ds_load_b32 v2, v2
	ds_load_b64 v[39:40], v36 offset:23552
	s_wait_dscnt 0x1
	v_add_nc_u32_e32 v2, v2, v57
	s_delay_alu instid0(VALU_DEP_1) | instskip(NEXT) | instid1(VALU_DEP_1)
	v_lshlrev_b64_e32 v[41:42], 3, v[2:3]
	v_add_co_u32 v41, vcc_lo, s46, v41
	s_wait_alu 0xfffd
	s_delay_alu instid0(VALU_DEP_2)
	v_add_co_ci_u32_e64 v42, null, s47, v42, vcc_lo
	s_wait_dscnt 0x0
	global_store_b64 v[41:42], v[39:40], off
	s_wait_alu 0xfffe
	s_or_b32 exec_lo, exec_lo, s15
	s_and_saveexec_b32 s15, s26
	s_cbranch_execz .LBB1360_1120
.LBB1360_1184:                          ;   in Loop: Header=BB1360_979 Depth=2
	v_lshlrev_b32_e32 v2, 2, v122
	ds_load_b32 v2, v2
	ds_load_b64 v[39:40], v36 offset:25600
	s_wait_dscnt 0x1
	v_add_nc_u32_e32 v2, v2, v58
	s_delay_alu instid0(VALU_DEP_1) | instskip(NEXT) | instid1(VALU_DEP_1)
	v_lshlrev_b64_e32 v[41:42], 3, v[2:3]
	v_add_co_u32 v41, vcc_lo, s46, v41
	s_wait_alu 0xfffd
	s_delay_alu instid0(VALU_DEP_2)
	v_add_co_ci_u32_e64 v42, null, s47, v42, vcc_lo
	s_wait_dscnt 0x0
	global_store_b64 v[41:42], v[39:40], off
	s_wait_alu 0xfffe
	s_or_b32 exec_lo, exec_lo, s15
	s_and_saveexec_b32 s15, s27
	s_cbranch_execz .LBB1360_1121
.LBB1360_1185:                          ;   in Loop: Header=BB1360_979 Depth=2
	v_lshlrev_b32_e32 v2, 2, v121
	ds_load_b32 v2, v2
	ds_load_b64 v[39:40], v36 offset:27648
	s_wait_dscnt 0x1
	v_add_nc_u32_e32 v2, v2, v59
	s_delay_alu instid0(VALU_DEP_1) | instskip(NEXT) | instid1(VALU_DEP_1)
	v_lshlrev_b64_e32 v[41:42], 3, v[2:3]
	v_add_co_u32 v41, vcc_lo, s46, v41
	s_wait_alu 0xfffd
	s_delay_alu instid0(VALU_DEP_2)
	v_add_co_ci_u32_e64 v42, null, s47, v42, vcc_lo
	s_wait_dscnt 0x0
	global_store_b64 v[41:42], v[39:40], off
	s_wait_alu 0xfffe
	s_or_b32 exec_lo, exec_lo, s15
	s_and_saveexec_b32 s15, s28
	s_cbranch_execz .LBB1360_1122
.LBB1360_1186:                          ;   in Loop: Header=BB1360_979 Depth=2
	v_lshlrev_b32_e32 v2, 2, v120
	ds_load_b32 v2, v2
	ds_load_b64 v[39:40], v36 offset:29696
	s_wait_dscnt 0x1
	v_add_nc_u32_e32 v2, v2, v60
	s_delay_alu instid0(VALU_DEP_1) | instskip(NEXT) | instid1(VALU_DEP_1)
	v_lshlrev_b64_e32 v[41:42], 3, v[2:3]
	v_add_co_u32 v41, vcc_lo, s46, v41
	s_wait_alu 0xfffd
	s_delay_alu instid0(VALU_DEP_2)
	v_add_co_ci_u32_e64 v42, null, s47, v42, vcc_lo
	s_wait_dscnt 0x0
	global_store_b64 v[41:42], v[39:40], off
	s_wait_alu 0xfffe
	s_or_b32 exec_lo, exec_lo, s15
	s_and_saveexec_b32 s15, s29
	s_cbranch_execnz .LBB1360_1123
	s_branch .LBB1360_1124
.LBB1360_1187:
	s_endpgm
	.section	.rodata,"a",@progbits
	.p2align	6, 0x0
	.amdhsa_kernel _ZN7rocprim17ROCPRIM_400000_NS6detail17trampoline_kernelINS0_14default_configENS1_36segmented_radix_sort_config_selectorIflEEZNS1_25segmented_radix_sort_implIS3_Lb1EPKfPfPKlPlN2at6native12_GLOBAL__N_18offset_tEEE10hipError_tPvRmT1_PNSt15iterator_traitsISK_E10value_typeET2_T3_PNSL_ISQ_E10value_typeET4_jRbjT5_SW_jjP12ihipStream_tbEUlT_E2_NS1_11comp_targetILNS1_3genE10ELNS1_11target_archE1201ELNS1_3gpuE5ELNS1_3repE0EEENS1_30default_config_static_selectorELNS0_4arch9wavefront6targetE0EEEvSK_
		.amdhsa_group_segment_fixed_size 33824
		.amdhsa_private_segment_fixed_size 100
		.amdhsa_kernarg_size 336
		.amdhsa_user_sgpr_count 2
		.amdhsa_user_sgpr_dispatch_ptr 0
		.amdhsa_user_sgpr_queue_ptr 0
		.amdhsa_user_sgpr_kernarg_segment_ptr 1
		.amdhsa_user_sgpr_dispatch_id 0
		.amdhsa_user_sgpr_private_segment_size 0
		.amdhsa_wavefront_size32 1
		.amdhsa_uses_dynamic_stack 0
		.amdhsa_enable_private_segment 1
		.amdhsa_system_sgpr_workgroup_id_x 1
		.amdhsa_system_sgpr_workgroup_id_y 1
		.amdhsa_system_sgpr_workgroup_id_z 0
		.amdhsa_system_sgpr_workgroup_info 0
		.amdhsa_system_vgpr_workitem_id 2
		.amdhsa_next_free_vgpr 248
		.amdhsa_next_free_sgpr 58
		.amdhsa_reserve_vcc 1
		.amdhsa_float_round_mode_32 0
		.amdhsa_float_round_mode_16_64 0
		.amdhsa_float_denorm_mode_32 3
		.amdhsa_float_denorm_mode_16_64 3
		.amdhsa_fp16_overflow 0
		.amdhsa_workgroup_processor_mode 1
		.amdhsa_memory_ordered 1
		.amdhsa_forward_progress 1
		.amdhsa_inst_pref_size 255
		.amdhsa_round_robin_scheduling 0
		.amdhsa_exception_fp_ieee_invalid_op 0
		.amdhsa_exception_fp_denorm_src 0
		.amdhsa_exception_fp_ieee_div_zero 0
		.amdhsa_exception_fp_ieee_overflow 0
		.amdhsa_exception_fp_ieee_underflow 0
		.amdhsa_exception_fp_ieee_inexact 0
		.amdhsa_exception_int_div_zero 0
	.end_amdhsa_kernel
	.section	.text._ZN7rocprim17ROCPRIM_400000_NS6detail17trampoline_kernelINS0_14default_configENS1_36segmented_radix_sort_config_selectorIflEEZNS1_25segmented_radix_sort_implIS3_Lb1EPKfPfPKlPlN2at6native12_GLOBAL__N_18offset_tEEE10hipError_tPvRmT1_PNSt15iterator_traitsISK_E10value_typeET2_T3_PNSL_ISQ_E10value_typeET4_jRbjT5_SW_jjP12ihipStream_tbEUlT_E2_NS1_11comp_targetILNS1_3genE10ELNS1_11target_archE1201ELNS1_3gpuE5ELNS1_3repE0EEENS1_30default_config_static_selectorELNS0_4arch9wavefront6targetE0EEEvSK_,"axG",@progbits,_ZN7rocprim17ROCPRIM_400000_NS6detail17trampoline_kernelINS0_14default_configENS1_36segmented_radix_sort_config_selectorIflEEZNS1_25segmented_radix_sort_implIS3_Lb1EPKfPfPKlPlN2at6native12_GLOBAL__N_18offset_tEEE10hipError_tPvRmT1_PNSt15iterator_traitsISK_E10value_typeET2_T3_PNSL_ISQ_E10value_typeET4_jRbjT5_SW_jjP12ihipStream_tbEUlT_E2_NS1_11comp_targetILNS1_3genE10ELNS1_11target_archE1201ELNS1_3gpuE5ELNS1_3repE0EEENS1_30default_config_static_selectorELNS0_4arch9wavefront6targetE0EEEvSK_,comdat
.Lfunc_end1360:
	.size	_ZN7rocprim17ROCPRIM_400000_NS6detail17trampoline_kernelINS0_14default_configENS1_36segmented_radix_sort_config_selectorIflEEZNS1_25segmented_radix_sort_implIS3_Lb1EPKfPfPKlPlN2at6native12_GLOBAL__N_18offset_tEEE10hipError_tPvRmT1_PNSt15iterator_traitsISK_E10value_typeET2_T3_PNSL_ISQ_E10value_typeET4_jRbjT5_SW_jjP12ihipStream_tbEUlT_E2_NS1_11comp_targetILNS1_3genE10ELNS1_11target_archE1201ELNS1_3gpuE5ELNS1_3repE0EEENS1_30default_config_static_selectorELNS0_4arch9wavefront6targetE0EEEvSK_, .Lfunc_end1360-_ZN7rocprim17ROCPRIM_400000_NS6detail17trampoline_kernelINS0_14default_configENS1_36segmented_radix_sort_config_selectorIflEEZNS1_25segmented_radix_sort_implIS3_Lb1EPKfPfPKlPlN2at6native12_GLOBAL__N_18offset_tEEE10hipError_tPvRmT1_PNSt15iterator_traitsISK_E10value_typeET2_T3_PNSL_ISQ_E10value_typeET4_jRbjT5_SW_jjP12ihipStream_tbEUlT_E2_NS1_11comp_targetILNS1_3genE10ELNS1_11target_archE1201ELNS1_3gpuE5ELNS1_3repE0EEENS1_30default_config_static_selectorELNS0_4arch9wavefront6targetE0EEEvSK_
                                        ; -- End function
	.set _ZN7rocprim17ROCPRIM_400000_NS6detail17trampoline_kernelINS0_14default_configENS1_36segmented_radix_sort_config_selectorIflEEZNS1_25segmented_radix_sort_implIS3_Lb1EPKfPfPKlPlN2at6native12_GLOBAL__N_18offset_tEEE10hipError_tPvRmT1_PNSt15iterator_traitsISK_E10value_typeET2_T3_PNSL_ISQ_E10value_typeET4_jRbjT5_SW_jjP12ihipStream_tbEUlT_E2_NS1_11comp_targetILNS1_3genE10ELNS1_11target_archE1201ELNS1_3gpuE5ELNS1_3repE0EEENS1_30default_config_static_selectorELNS0_4arch9wavefront6targetE0EEEvSK_.num_vgpr, max(205, .L_ZN7rocprim17ROCPRIM_400000_NS6detail26segmented_warp_sort_helperINS1_20WarpSortHelperConfigILj8ELj4ELj256EEEflLi256ELb1EvE4sortIPKfPfPKlPlEEvT_S9_T0_T1_SC_T2_bjjjjRNS5_12storage_typeE.num_vgpr, .L_ZN7rocprim17ROCPRIM_400000_NS6detail40segmented_radix_sort_single_block_helperIflLj256ELj16ELb1EE4sortIPKfPfPKlPlEEbT_T0_T1_T2_jjjjRNS3_12storage_typeE.num_vgpr)
	.set _ZN7rocprim17ROCPRIM_400000_NS6detail17trampoline_kernelINS0_14default_configENS1_36segmented_radix_sort_config_selectorIflEEZNS1_25segmented_radix_sort_implIS3_Lb1EPKfPfPKlPlN2at6native12_GLOBAL__N_18offset_tEEE10hipError_tPvRmT1_PNSt15iterator_traitsISK_E10value_typeET2_T3_PNSL_ISQ_E10value_typeET4_jRbjT5_SW_jjP12ihipStream_tbEUlT_E2_NS1_11comp_targetILNS1_3genE10ELNS1_11target_archE1201ELNS1_3gpuE5ELNS1_3repE0EEENS1_30default_config_static_selectorELNS0_4arch9wavefront6targetE0EEEvSK_.num_agpr, max(0, .L_ZN7rocprim17ROCPRIM_400000_NS6detail26segmented_warp_sort_helperINS1_20WarpSortHelperConfigILj8ELj4ELj256EEEflLi256ELb1EvE4sortIPKfPfPKlPlEEvT_S9_T0_T1_SC_T2_bjjjjRNS5_12storage_typeE.num_agpr, .L_ZN7rocprim17ROCPRIM_400000_NS6detail40segmented_radix_sort_single_block_helperIflLj256ELj16ELb1EE4sortIPKfPfPKlPlEEbT_T0_T1_T2_jjjjRNS3_12storage_typeE.num_agpr)
	.set _ZN7rocprim17ROCPRIM_400000_NS6detail17trampoline_kernelINS0_14default_configENS1_36segmented_radix_sort_config_selectorIflEEZNS1_25segmented_radix_sort_implIS3_Lb1EPKfPfPKlPlN2at6native12_GLOBAL__N_18offset_tEEE10hipError_tPvRmT1_PNSt15iterator_traitsISK_E10value_typeET2_T3_PNSL_ISQ_E10value_typeET4_jRbjT5_SW_jjP12ihipStream_tbEUlT_E2_NS1_11comp_targetILNS1_3genE10ELNS1_11target_archE1201ELNS1_3gpuE5ELNS1_3repE0EEENS1_30default_config_static_selectorELNS0_4arch9wavefront6targetE0EEEvSK_.numbered_sgpr, max(58, .L_ZN7rocprim17ROCPRIM_400000_NS6detail26segmented_warp_sort_helperINS1_20WarpSortHelperConfigILj8ELj4ELj256EEEflLi256ELb1EvE4sortIPKfPfPKlPlEEvT_S9_T0_T1_SC_T2_bjjjjRNS5_12storage_typeE.numbered_sgpr, .L_ZN7rocprim17ROCPRIM_400000_NS6detail40segmented_radix_sort_single_block_helperIflLj256ELj16ELb1EE4sortIPKfPfPKlPlEEbT_T0_T1_T2_jjjjRNS3_12storage_typeE.numbered_sgpr)
	.set _ZN7rocprim17ROCPRIM_400000_NS6detail17trampoline_kernelINS0_14default_configENS1_36segmented_radix_sort_config_selectorIflEEZNS1_25segmented_radix_sort_implIS3_Lb1EPKfPfPKlPlN2at6native12_GLOBAL__N_18offset_tEEE10hipError_tPvRmT1_PNSt15iterator_traitsISK_E10value_typeET2_T3_PNSL_ISQ_E10value_typeET4_jRbjT5_SW_jjP12ihipStream_tbEUlT_E2_NS1_11comp_targetILNS1_3genE10ELNS1_11target_archE1201ELNS1_3gpuE5ELNS1_3repE0EEENS1_30default_config_static_selectorELNS0_4arch9wavefront6targetE0EEEvSK_.num_named_barrier, max(0, .L_ZN7rocprim17ROCPRIM_400000_NS6detail26segmented_warp_sort_helperINS1_20WarpSortHelperConfigILj8ELj4ELj256EEEflLi256ELb1EvE4sortIPKfPfPKlPlEEvT_S9_T0_T1_SC_T2_bjjjjRNS5_12storage_typeE.num_named_barrier, .L_ZN7rocprim17ROCPRIM_400000_NS6detail40segmented_radix_sort_single_block_helperIflLj256ELj16ELb1EE4sortIPKfPfPKlPlEEbT_T0_T1_T2_jjjjRNS3_12storage_typeE.num_named_barrier)
	.set _ZN7rocprim17ROCPRIM_400000_NS6detail17trampoline_kernelINS0_14default_configENS1_36segmented_radix_sort_config_selectorIflEEZNS1_25segmented_radix_sort_implIS3_Lb1EPKfPfPKlPlN2at6native12_GLOBAL__N_18offset_tEEE10hipError_tPvRmT1_PNSt15iterator_traitsISK_E10value_typeET2_T3_PNSL_ISQ_E10value_typeET4_jRbjT5_SW_jjP12ihipStream_tbEUlT_E2_NS1_11comp_targetILNS1_3genE10ELNS1_11target_archE1201ELNS1_3gpuE5ELNS1_3repE0EEENS1_30default_config_static_selectorELNS0_4arch9wavefront6targetE0EEEvSK_.private_seg_size, 0+max(.L_ZN7rocprim17ROCPRIM_400000_NS6detail26segmented_warp_sort_helperINS1_20WarpSortHelperConfigILj8ELj4ELj256EEEflLi256ELb1EvE4sortIPKfPfPKlPlEEvT_S9_T0_T1_SC_T2_bjjjjRNS5_12storage_typeE.private_seg_size, .L_ZN7rocprim17ROCPRIM_400000_NS6detail40segmented_radix_sort_single_block_helperIflLj256ELj16ELb1EE4sortIPKfPfPKlPlEEbT_T0_T1_T2_jjjjRNS3_12storage_typeE.private_seg_size)
	.set _ZN7rocprim17ROCPRIM_400000_NS6detail17trampoline_kernelINS0_14default_configENS1_36segmented_radix_sort_config_selectorIflEEZNS1_25segmented_radix_sort_implIS3_Lb1EPKfPfPKlPlN2at6native12_GLOBAL__N_18offset_tEEE10hipError_tPvRmT1_PNSt15iterator_traitsISK_E10value_typeET2_T3_PNSL_ISQ_E10value_typeET4_jRbjT5_SW_jjP12ihipStream_tbEUlT_E2_NS1_11comp_targetILNS1_3genE10ELNS1_11target_archE1201ELNS1_3gpuE5ELNS1_3repE0EEENS1_30default_config_static_selectorELNS0_4arch9wavefront6targetE0EEEvSK_.uses_vcc, or(1, .L_ZN7rocprim17ROCPRIM_400000_NS6detail26segmented_warp_sort_helperINS1_20WarpSortHelperConfigILj8ELj4ELj256EEEflLi256ELb1EvE4sortIPKfPfPKlPlEEvT_S9_T0_T1_SC_T2_bjjjjRNS5_12storage_typeE.uses_vcc, .L_ZN7rocprim17ROCPRIM_400000_NS6detail40segmented_radix_sort_single_block_helperIflLj256ELj16ELb1EE4sortIPKfPfPKlPlEEbT_T0_T1_T2_jjjjRNS3_12storage_typeE.uses_vcc)
	.set _ZN7rocprim17ROCPRIM_400000_NS6detail17trampoline_kernelINS0_14default_configENS1_36segmented_radix_sort_config_selectorIflEEZNS1_25segmented_radix_sort_implIS3_Lb1EPKfPfPKlPlN2at6native12_GLOBAL__N_18offset_tEEE10hipError_tPvRmT1_PNSt15iterator_traitsISK_E10value_typeET2_T3_PNSL_ISQ_E10value_typeET4_jRbjT5_SW_jjP12ihipStream_tbEUlT_E2_NS1_11comp_targetILNS1_3genE10ELNS1_11target_archE1201ELNS1_3gpuE5ELNS1_3repE0EEENS1_30default_config_static_selectorELNS0_4arch9wavefront6targetE0EEEvSK_.uses_flat_scratch, or(0, .L_ZN7rocprim17ROCPRIM_400000_NS6detail26segmented_warp_sort_helperINS1_20WarpSortHelperConfigILj8ELj4ELj256EEEflLi256ELb1EvE4sortIPKfPfPKlPlEEvT_S9_T0_T1_SC_T2_bjjjjRNS5_12storage_typeE.uses_flat_scratch, .L_ZN7rocprim17ROCPRIM_400000_NS6detail40segmented_radix_sort_single_block_helperIflLj256ELj16ELb1EE4sortIPKfPfPKlPlEEbT_T0_T1_T2_jjjjRNS3_12storage_typeE.uses_flat_scratch)
	.set _ZN7rocprim17ROCPRIM_400000_NS6detail17trampoline_kernelINS0_14default_configENS1_36segmented_radix_sort_config_selectorIflEEZNS1_25segmented_radix_sort_implIS3_Lb1EPKfPfPKlPlN2at6native12_GLOBAL__N_18offset_tEEE10hipError_tPvRmT1_PNSt15iterator_traitsISK_E10value_typeET2_T3_PNSL_ISQ_E10value_typeET4_jRbjT5_SW_jjP12ihipStream_tbEUlT_E2_NS1_11comp_targetILNS1_3genE10ELNS1_11target_archE1201ELNS1_3gpuE5ELNS1_3repE0EEENS1_30default_config_static_selectorELNS0_4arch9wavefront6targetE0EEEvSK_.has_dyn_sized_stack, or(0, .L_ZN7rocprim17ROCPRIM_400000_NS6detail26segmented_warp_sort_helperINS1_20WarpSortHelperConfigILj8ELj4ELj256EEEflLi256ELb1EvE4sortIPKfPfPKlPlEEvT_S9_T0_T1_SC_T2_bjjjjRNS5_12storage_typeE.has_dyn_sized_stack, .L_ZN7rocprim17ROCPRIM_400000_NS6detail40segmented_radix_sort_single_block_helperIflLj256ELj16ELb1EE4sortIPKfPfPKlPlEEbT_T0_T1_T2_jjjjRNS3_12storage_typeE.has_dyn_sized_stack)
	.set _ZN7rocprim17ROCPRIM_400000_NS6detail17trampoline_kernelINS0_14default_configENS1_36segmented_radix_sort_config_selectorIflEEZNS1_25segmented_radix_sort_implIS3_Lb1EPKfPfPKlPlN2at6native12_GLOBAL__N_18offset_tEEE10hipError_tPvRmT1_PNSt15iterator_traitsISK_E10value_typeET2_T3_PNSL_ISQ_E10value_typeET4_jRbjT5_SW_jjP12ihipStream_tbEUlT_E2_NS1_11comp_targetILNS1_3genE10ELNS1_11target_archE1201ELNS1_3gpuE5ELNS1_3repE0EEENS1_30default_config_static_selectorELNS0_4arch9wavefront6targetE0EEEvSK_.has_recursion, or(0, .L_ZN7rocprim17ROCPRIM_400000_NS6detail26segmented_warp_sort_helperINS1_20WarpSortHelperConfigILj8ELj4ELj256EEEflLi256ELb1EvE4sortIPKfPfPKlPlEEvT_S9_T0_T1_SC_T2_bjjjjRNS5_12storage_typeE.has_recursion, .L_ZN7rocprim17ROCPRIM_400000_NS6detail40segmented_radix_sort_single_block_helperIflLj256ELj16ELb1EE4sortIPKfPfPKlPlEEbT_T0_T1_T2_jjjjRNS3_12storage_typeE.has_recursion)
	.set _ZN7rocprim17ROCPRIM_400000_NS6detail17trampoline_kernelINS0_14default_configENS1_36segmented_radix_sort_config_selectorIflEEZNS1_25segmented_radix_sort_implIS3_Lb1EPKfPfPKlPlN2at6native12_GLOBAL__N_18offset_tEEE10hipError_tPvRmT1_PNSt15iterator_traitsISK_E10value_typeET2_T3_PNSL_ISQ_E10value_typeET4_jRbjT5_SW_jjP12ihipStream_tbEUlT_E2_NS1_11comp_targetILNS1_3genE10ELNS1_11target_archE1201ELNS1_3gpuE5ELNS1_3repE0EEENS1_30default_config_static_selectorELNS0_4arch9wavefront6targetE0EEEvSK_.has_indirect_call, or(0, .L_ZN7rocprim17ROCPRIM_400000_NS6detail26segmented_warp_sort_helperINS1_20WarpSortHelperConfigILj8ELj4ELj256EEEflLi256ELb1EvE4sortIPKfPfPKlPlEEvT_S9_T0_T1_SC_T2_bjjjjRNS5_12storage_typeE.has_indirect_call, .L_ZN7rocprim17ROCPRIM_400000_NS6detail40segmented_radix_sort_single_block_helperIflLj256ELj16ELb1EE4sortIPKfPfPKlPlEEbT_T0_T1_T2_jjjjRNS3_12storage_typeE.has_indirect_call)
	.section	.AMDGPU.csdata,"",@progbits
; Kernel info:
; codeLenInByte = 85312
; TotalNumSgprs: 60
; NumVgprs: 248
; ScratchSize: 100
; MemoryBound: 0
; FloatMode: 240
; IeeeMode: 1
; LDSByteSize: 33824 bytes/workgroup (compile time only)
; SGPRBlocks: 0
; VGPRBlocks: 30
; NumSGPRsForWavesPerEU: 60
; NumVGPRsForWavesPerEU: 248
; Occupancy: 5
; WaveLimiterHint : 1
; COMPUTE_PGM_RSRC2:SCRATCH_EN: 1
; COMPUTE_PGM_RSRC2:USER_SGPR: 2
; COMPUTE_PGM_RSRC2:TRAP_HANDLER: 0
; COMPUTE_PGM_RSRC2:TGID_X_EN: 1
; COMPUTE_PGM_RSRC2:TGID_Y_EN: 1
; COMPUTE_PGM_RSRC2:TGID_Z_EN: 0
; COMPUTE_PGM_RSRC2:TIDIG_COMP_CNT: 2
	.section	.text._ZN7rocprim17ROCPRIM_400000_NS6detail17trampoline_kernelINS0_14default_configENS1_36segmented_radix_sort_config_selectorIflEEZNS1_25segmented_radix_sort_implIS3_Lb1EPKfPfPKlPlN2at6native12_GLOBAL__N_18offset_tEEE10hipError_tPvRmT1_PNSt15iterator_traitsISK_E10value_typeET2_T3_PNSL_ISQ_E10value_typeET4_jRbjT5_SW_jjP12ihipStream_tbEUlT_E2_NS1_11comp_targetILNS1_3genE10ELNS1_11target_archE1200ELNS1_3gpuE4ELNS1_3repE0EEENS1_30default_config_static_selectorELNS0_4arch9wavefront6targetE0EEEvSK_,"axG",@progbits,_ZN7rocprim17ROCPRIM_400000_NS6detail17trampoline_kernelINS0_14default_configENS1_36segmented_radix_sort_config_selectorIflEEZNS1_25segmented_radix_sort_implIS3_Lb1EPKfPfPKlPlN2at6native12_GLOBAL__N_18offset_tEEE10hipError_tPvRmT1_PNSt15iterator_traitsISK_E10value_typeET2_T3_PNSL_ISQ_E10value_typeET4_jRbjT5_SW_jjP12ihipStream_tbEUlT_E2_NS1_11comp_targetILNS1_3genE10ELNS1_11target_archE1200ELNS1_3gpuE4ELNS1_3repE0EEENS1_30default_config_static_selectorELNS0_4arch9wavefront6targetE0EEEvSK_,comdat
	.globl	_ZN7rocprim17ROCPRIM_400000_NS6detail17trampoline_kernelINS0_14default_configENS1_36segmented_radix_sort_config_selectorIflEEZNS1_25segmented_radix_sort_implIS3_Lb1EPKfPfPKlPlN2at6native12_GLOBAL__N_18offset_tEEE10hipError_tPvRmT1_PNSt15iterator_traitsISK_E10value_typeET2_T3_PNSL_ISQ_E10value_typeET4_jRbjT5_SW_jjP12ihipStream_tbEUlT_E2_NS1_11comp_targetILNS1_3genE10ELNS1_11target_archE1200ELNS1_3gpuE4ELNS1_3repE0EEENS1_30default_config_static_selectorELNS0_4arch9wavefront6targetE0EEEvSK_ ; -- Begin function _ZN7rocprim17ROCPRIM_400000_NS6detail17trampoline_kernelINS0_14default_configENS1_36segmented_radix_sort_config_selectorIflEEZNS1_25segmented_radix_sort_implIS3_Lb1EPKfPfPKlPlN2at6native12_GLOBAL__N_18offset_tEEE10hipError_tPvRmT1_PNSt15iterator_traitsISK_E10value_typeET2_T3_PNSL_ISQ_E10value_typeET4_jRbjT5_SW_jjP12ihipStream_tbEUlT_E2_NS1_11comp_targetILNS1_3genE10ELNS1_11target_archE1200ELNS1_3gpuE4ELNS1_3repE0EEENS1_30default_config_static_selectorELNS0_4arch9wavefront6targetE0EEEvSK_
	.p2align	8
	.type	_ZN7rocprim17ROCPRIM_400000_NS6detail17trampoline_kernelINS0_14default_configENS1_36segmented_radix_sort_config_selectorIflEEZNS1_25segmented_radix_sort_implIS3_Lb1EPKfPfPKlPlN2at6native12_GLOBAL__N_18offset_tEEE10hipError_tPvRmT1_PNSt15iterator_traitsISK_E10value_typeET2_T3_PNSL_ISQ_E10value_typeET4_jRbjT5_SW_jjP12ihipStream_tbEUlT_E2_NS1_11comp_targetILNS1_3genE10ELNS1_11target_archE1200ELNS1_3gpuE4ELNS1_3repE0EEENS1_30default_config_static_selectorELNS0_4arch9wavefront6targetE0EEEvSK_,@function
_ZN7rocprim17ROCPRIM_400000_NS6detail17trampoline_kernelINS0_14default_configENS1_36segmented_radix_sort_config_selectorIflEEZNS1_25segmented_radix_sort_implIS3_Lb1EPKfPfPKlPlN2at6native12_GLOBAL__N_18offset_tEEE10hipError_tPvRmT1_PNSt15iterator_traitsISK_E10value_typeET2_T3_PNSL_ISQ_E10value_typeET4_jRbjT5_SW_jjP12ihipStream_tbEUlT_E2_NS1_11comp_targetILNS1_3genE10ELNS1_11target_archE1200ELNS1_3gpuE4ELNS1_3repE0EEENS1_30default_config_static_selectorELNS0_4arch9wavefront6targetE0EEEvSK_: ; @_ZN7rocprim17ROCPRIM_400000_NS6detail17trampoline_kernelINS0_14default_configENS1_36segmented_radix_sort_config_selectorIflEEZNS1_25segmented_radix_sort_implIS3_Lb1EPKfPfPKlPlN2at6native12_GLOBAL__N_18offset_tEEE10hipError_tPvRmT1_PNSt15iterator_traitsISK_E10value_typeET2_T3_PNSL_ISQ_E10value_typeET4_jRbjT5_SW_jjP12ihipStream_tbEUlT_E2_NS1_11comp_targetILNS1_3genE10ELNS1_11target_archE1200ELNS1_3gpuE4ELNS1_3repE0EEENS1_30default_config_static_selectorELNS0_4arch9wavefront6targetE0EEEvSK_
; %bb.0:
	.section	.rodata,"a",@progbits
	.p2align	6, 0x0
	.amdhsa_kernel _ZN7rocprim17ROCPRIM_400000_NS6detail17trampoline_kernelINS0_14default_configENS1_36segmented_radix_sort_config_selectorIflEEZNS1_25segmented_radix_sort_implIS3_Lb1EPKfPfPKlPlN2at6native12_GLOBAL__N_18offset_tEEE10hipError_tPvRmT1_PNSt15iterator_traitsISK_E10value_typeET2_T3_PNSL_ISQ_E10value_typeET4_jRbjT5_SW_jjP12ihipStream_tbEUlT_E2_NS1_11comp_targetILNS1_3genE10ELNS1_11target_archE1200ELNS1_3gpuE4ELNS1_3repE0EEENS1_30default_config_static_selectorELNS0_4arch9wavefront6targetE0EEEvSK_
		.amdhsa_group_segment_fixed_size 0
		.amdhsa_private_segment_fixed_size 0
		.amdhsa_kernarg_size 80
		.amdhsa_user_sgpr_count 2
		.amdhsa_user_sgpr_dispatch_ptr 0
		.amdhsa_user_sgpr_queue_ptr 0
		.amdhsa_user_sgpr_kernarg_segment_ptr 1
		.amdhsa_user_sgpr_dispatch_id 0
		.amdhsa_user_sgpr_private_segment_size 0
		.amdhsa_wavefront_size32 1
		.amdhsa_uses_dynamic_stack 0
		.amdhsa_enable_private_segment 0
		.amdhsa_system_sgpr_workgroup_id_x 1
		.amdhsa_system_sgpr_workgroup_id_y 0
		.amdhsa_system_sgpr_workgroup_id_z 0
		.amdhsa_system_sgpr_workgroup_info 0
		.amdhsa_system_vgpr_workitem_id 0
		.amdhsa_next_free_vgpr 1
		.amdhsa_next_free_sgpr 1
		.amdhsa_reserve_vcc 0
		.amdhsa_float_round_mode_32 0
		.amdhsa_float_round_mode_16_64 0
		.amdhsa_float_denorm_mode_32 3
		.amdhsa_float_denorm_mode_16_64 3
		.amdhsa_fp16_overflow 0
		.amdhsa_workgroup_processor_mode 1
		.amdhsa_memory_ordered 1
		.amdhsa_forward_progress 1
		.amdhsa_inst_pref_size 0
		.amdhsa_round_robin_scheduling 0
		.amdhsa_exception_fp_ieee_invalid_op 0
		.amdhsa_exception_fp_denorm_src 0
		.amdhsa_exception_fp_ieee_div_zero 0
		.amdhsa_exception_fp_ieee_overflow 0
		.amdhsa_exception_fp_ieee_underflow 0
		.amdhsa_exception_fp_ieee_inexact 0
		.amdhsa_exception_int_div_zero 0
	.end_amdhsa_kernel
	.section	.text._ZN7rocprim17ROCPRIM_400000_NS6detail17trampoline_kernelINS0_14default_configENS1_36segmented_radix_sort_config_selectorIflEEZNS1_25segmented_radix_sort_implIS3_Lb1EPKfPfPKlPlN2at6native12_GLOBAL__N_18offset_tEEE10hipError_tPvRmT1_PNSt15iterator_traitsISK_E10value_typeET2_T3_PNSL_ISQ_E10value_typeET4_jRbjT5_SW_jjP12ihipStream_tbEUlT_E2_NS1_11comp_targetILNS1_3genE10ELNS1_11target_archE1200ELNS1_3gpuE4ELNS1_3repE0EEENS1_30default_config_static_selectorELNS0_4arch9wavefront6targetE0EEEvSK_,"axG",@progbits,_ZN7rocprim17ROCPRIM_400000_NS6detail17trampoline_kernelINS0_14default_configENS1_36segmented_radix_sort_config_selectorIflEEZNS1_25segmented_radix_sort_implIS3_Lb1EPKfPfPKlPlN2at6native12_GLOBAL__N_18offset_tEEE10hipError_tPvRmT1_PNSt15iterator_traitsISK_E10value_typeET2_T3_PNSL_ISQ_E10value_typeET4_jRbjT5_SW_jjP12ihipStream_tbEUlT_E2_NS1_11comp_targetILNS1_3genE10ELNS1_11target_archE1200ELNS1_3gpuE4ELNS1_3repE0EEENS1_30default_config_static_selectorELNS0_4arch9wavefront6targetE0EEEvSK_,comdat
.Lfunc_end1361:
	.size	_ZN7rocprim17ROCPRIM_400000_NS6detail17trampoline_kernelINS0_14default_configENS1_36segmented_radix_sort_config_selectorIflEEZNS1_25segmented_radix_sort_implIS3_Lb1EPKfPfPKlPlN2at6native12_GLOBAL__N_18offset_tEEE10hipError_tPvRmT1_PNSt15iterator_traitsISK_E10value_typeET2_T3_PNSL_ISQ_E10value_typeET4_jRbjT5_SW_jjP12ihipStream_tbEUlT_E2_NS1_11comp_targetILNS1_3genE10ELNS1_11target_archE1200ELNS1_3gpuE4ELNS1_3repE0EEENS1_30default_config_static_selectorELNS0_4arch9wavefront6targetE0EEEvSK_, .Lfunc_end1361-_ZN7rocprim17ROCPRIM_400000_NS6detail17trampoline_kernelINS0_14default_configENS1_36segmented_radix_sort_config_selectorIflEEZNS1_25segmented_radix_sort_implIS3_Lb1EPKfPfPKlPlN2at6native12_GLOBAL__N_18offset_tEEE10hipError_tPvRmT1_PNSt15iterator_traitsISK_E10value_typeET2_T3_PNSL_ISQ_E10value_typeET4_jRbjT5_SW_jjP12ihipStream_tbEUlT_E2_NS1_11comp_targetILNS1_3genE10ELNS1_11target_archE1200ELNS1_3gpuE4ELNS1_3repE0EEENS1_30default_config_static_selectorELNS0_4arch9wavefront6targetE0EEEvSK_
                                        ; -- End function
	.set _ZN7rocprim17ROCPRIM_400000_NS6detail17trampoline_kernelINS0_14default_configENS1_36segmented_radix_sort_config_selectorIflEEZNS1_25segmented_radix_sort_implIS3_Lb1EPKfPfPKlPlN2at6native12_GLOBAL__N_18offset_tEEE10hipError_tPvRmT1_PNSt15iterator_traitsISK_E10value_typeET2_T3_PNSL_ISQ_E10value_typeET4_jRbjT5_SW_jjP12ihipStream_tbEUlT_E2_NS1_11comp_targetILNS1_3genE10ELNS1_11target_archE1200ELNS1_3gpuE4ELNS1_3repE0EEENS1_30default_config_static_selectorELNS0_4arch9wavefront6targetE0EEEvSK_.num_vgpr, 0
	.set _ZN7rocprim17ROCPRIM_400000_NS6detail17trampoline_kernelINS0_14default_configENS1_36segmented_radix_sort_config_selectorIflEEZNS1_25segmented_radix_sort_implIS3_Lb1EPKfPfPKlPlN2at6native12_GLOBAL__N_18offset_tEEE10hipError_tPvRmT1_PNSt15iterator_traitsISK_E10value_typeET2_T3_PNSL_ISQ_E10value_typeET4_jRbjT5_SW_jjP12ihipStream_tbEUlT_E2_NS1_11comp_targetILNS1_3genE10ELNS1_11target_archE1200ELNS1_3gpuE4ELNS1_3repE0EEENS1_30default_config_static_selectorELNS0_4arch9wavefront6targetE0EEEvSK_.num_agpr, 0
	.set _ZN7rocprim17ROCPRIM_400000_NS6detail17trampoline_kernelINS0_14default_configENS1_36segmented_radix_sort_config_selectorIflEEZNS1_25segmented_radix_sort_implIS3_Lb1EPKfPfPKlPlN2at6native12_GLOBAL__N_18offset_tEEE10hipError_tPvRmT1_PNSt15iterator_traitsISK_E10value_typeET2_T3_PNSL_ISQ_E10value_typeET4_jRbjT5_SW_jjP12ihipStream_tbEUlT_E2_NS1_11comp_targetILNS1_3genE10ELNS1_11target_archE1200ELNS1_3gpuE4ELNS1_3repE0EEENS1_30default_config_static_selectorELNS0_4arch9wavefront6targetE0EEEvSK_.numbered_sgpr, 0
	.set _ZN7rocprim17ROCPRIM_400000_NS6detail17trampoline_kernelINS0_14default_configENS1_36segmented_radix_sort_config_selectorIflEEZNS1_25segmented_radix_sort_implIS3_Lb1EPKfPfPKlPlN2at6native12_GLOBAL__N_18offset_tEEE10hipError_tPvRmT1_PNSt15iterator_traitsISK_E10value_typeET2_T3_PNSL_ISQ_E10value_typeET4_jRbjT5_SW_jjP12ihipStream_tbEUlT_E2_NS1_11comp_targetILNS1_3genE10ELNS1_11target_archE1200ELNS1_3gpuE4ELNS1_3repE0EEENS1_30default_config_static_selectorELNS0_4arch9wavefront6targetE0EEEvSK_.num_named_barrier, 0
	.set _ZN7rocprim17ROCPRIM_400000_NS6detail17trampoline_kernelINS0_14default_configENS1_36segmented_radix_sort_config_selectorIflEEZNS1_25segmented_radix_sort_implIS3_Lb1EPKfPfPKlPlN2at6native12_GLOBAL__N_18offset_tEEE10hipError_tPvRmT1_PNSt15iterator_traitsISK_E10value_typeET2_T3_PNSL_ISQ_E10value_typeET4_jRbjT5_SW_jjP12ihipStream_tbEUlT_E2_NS1_11comp_targetILNS1_3genE10ELNS1_11target_archE1200ELNS1_3gpuE4ELNS1_3repE0EEENS1_30default_config_static_selectorELNS0_4arch9wavefront6targetE0EEEvSK_.private_seg_size, 0
	.set _ZN7rocprim17ROCPRIM_400000_NS6detail17trampoline_kernelINS0_14default_configENS1_36segmented_radix_sort_config_selectorIflEEZNS1_25segmented_radix_sort_implIS3_Lb1EPKfPfPKlPlN2at6native12_GLOBAL__N_18offset_tEEE10hipError_tPvRmT1_PNSt15iterator_traitsISK_E10value_typeET2_T3_PNSL_ISQ_E10value_typeET4_jRbjT5_SW_jjP12ihipStream_tbEUlT_E2_NS1_11comp_targetILNS1_3genE10ELNS1_11target_archE1200ELNS1_3gpuE4ELNS1_3repE0EEENS1_30default_config_static_selectorELNS0_4arch9wavefront6targetE0EEEvSK_.uses_vcc, 0
	.set _ZN7rocprim17ROCPRIM_400000_NS6detail17trampoline_kernelINS0_14default_configENS1_36segmented_radix_sort_config_selectorIflEEZNS1_25segmented_radix_sort_implIS3_Lb1EPKfPfPKlPlN2at6native12_GLOBAL__N_18offset_tEEE10hipError_tPvRmT1_PNSt15iterator_traitsISK_E10value_typeET2_T3_PNSL_ISQ_E10value_typeET4_jRbjT5_SW_jjP12ihipStream_tbEUlT_E2_NS1_11comp_targetILNS1_3genE10ELNS1_11target_archE1200ELNS1_3gpuE4ELNS1_3repE0EEENS1_30default_config_static_selectorELNS0_4arch9wavefront6targetE0EEEvSK_.uses_flat_scratch, 0
	.set _ZN7rocprim17ROCPRIM_400000_NS6detail17trampoline_kernelINS0_14default_configENS1_36segmented_radix_sort_config_selectorIflEEZNS1_25segmented_radix_sort_implIS3_Lb1EPKfPfPKlPlN2at6native12_GLOBAL__N_18offset_tEEE10hipError_tPvRmT1_PNSt15iterator_traitsISK_E10value_typeET2_T3_PNSL_ISQ_E10value_typeET4_jRbjT5_SW_jjP12ihipStream_tbEUlT_E2_NS1_11comp_targetILNS1_3genE10ELNS1_11target_archE1200ELNS1_3gpuE4ELNS1_3repE0EEENS1_30default_config_static_selectorELNS0_4arch9wavefront6targetE0EEEvSK_.has_dyn_sized_stack, 0
	.set _ZN7rocprim17ROCPRIM_400000_NS6detail17trampoline_kernelINS0_14default_configENS1_36segmented_radix_sort_config_selectorIflEEZNS1_25segmented_radix_sort_implIS3_Lb1EPKfPfPKlPlN2at6native12_GLOBAL__N_18offset_tEEE10hipError_tPvRmT1_PNSt15iterator_traitsISK_E10value_typeET2_T3_PNSL_ISQ_E10value_typeET4_jRbjT5_SW_jjP12ihipStream_tbEUlT_E2_NS1_11comp_targetILNS1_3genE10ELNS1_11target_archE1200ELNS1_3gpuE4ELNS1_3repE0EEENS1_30default_config_static_selectorELNS0_4arch9wavefront6targetE0EEEvSK_.has_recursion, 0
	.set _ZN7rocprim17ROCPRIM_400000_NS6detail17trampoline_kernelINS0_14default_configENS1_36segmented_radix_sort_config_selectorIflEEZNS1_25segmented_radix_sort_implIS3_Lb1EPKfPfPKlPlN2at6native12_GLOBAL__N_18offset_tEEE10hipError_tPvRmT1_PNSt15iterator_traitsISK_E10value_typeET2_T3_PNSL_ISQ_E10value_typeET4_jRbjT5_SW_jjP12ihipStream_tbEUlT_E2_NS1_11comp_targetILNS1_3genE10ELNS1_11target_archE1200ELNS1_3gpuE4ELNS1_3repE0EEENS1_30default_config_static_selectorELNS0_4arch9wavefront6targetE0EEEvSK_.has_indirect_call, 0
	.section	.AMDGPU.csdata,"",@progbits
; Kernel info:
; codeLenInByte = 0
; TotalNumSgprs: 0
; NumVgprs: 0
; ScratchSize: 0
; MemoryBound: 0
; FloatMode: 240
; IeeeMode: 1
; LDSByteSize: 0 bytes/workgroup (compile time only)
; SGPRBlocks: 0
; VGPRBlocks: 0
; NumSGPRsForWavesPerEU: 1
; NumVGPRsForWavesPerEU: 1
; Occupancy: 16
; WaveLimiterHint : 0
; COMPUTE_PGM_RSRC2:SCRATCH_EN: 0
; COMPUTE_PGM_RSRC2:USER_SGPR: 2
; COMPUTE_PGM_RSRC2:TRAP_HANDLER: 0
; COMPUTE_PGM_RSRC2:TGID_X_EN: 1
; COMPUTE_PGM_RSRC2:TGID_Y_EN: 0
; COMPUTE_PGM_RSRC2:TGID_Z_EN: 0
; COMPUTE_PGM_RSRC2:TIDIG_COMP_CNT: 0
	.section	.text._ZN7rocprim17ROCPRIM_400000_NS6detail17trampoline_kernelINS0_14default_configENS1_36segmented_radix_sort_config_selectorIflEEZNS1_25segmented_radix_sort_implIS3_Lb1EPKfPfPKlPlN2at6native12_GLOBAL__N_18offset_tEEE10hipError_tPvRmT1_PNSt15iterator_traitsISK_E10value_typeET2_T3_PNSL_ISQ_E10value_typeET4_jRbjT5_SW_jjP12ihipStream_tbEUlT_E2_NS1_11comp_targetILNS1_3genE9ELNS1_11target_archE1100ELNS1_3gpuE3ELNS1_3repE0EEENS1_30default_config_static_selectorELNS0_4arch9wavefront6targetE0EEEvSK_,"axG",@progbits,_ZN7rocprim17ROCPRIM_400000_NS6detail17trampoline_kernelINS0_14default_configENS1_36segmented_radix_sort_config_selectorIflEEZNS1_25segmented_radix_sort_implIS3_Lb1EPKfPfPKlPlN2at6native12_GLOBAL__N_18offset_tEEE10hipError_tPvRmT1_PNSt15iterator_traitsISK_E10value_typeET2_T3_PNSL_ISQ_E10value_typeET4_jRbjT5_SW_jjP12ihipStream_tbEUlT_E2_NS1_11comp_targetILNS1_3genE9ELNS1_11target_archE1100ELNS1_3gpuE3ELNS1_3repE0EEENS1_30default_config_static_selectorELNS0_4arch9wavefront6targetE0EEEvSK_,comdat
	.globl	_ZN7rocprim17ROCPRIM_400000_NS6detail17trampoline_kernelINS0_14default_configENS1_36segmented_radix_sort_config_selectorIflEEZNS1_25segmented_radix_sort_implIS3_Lb1EPKfPfPKlPlN2at6native12_GLOBAL__N_18offset_tEEE10hipError_tPvRmT1_PNSt15iterator_traitsISK_E10value_typeET2_T3_PNSL_ISQ_E10value_typeET4_jRbjT5_SW_jjP12ihipStream_tbEUlT_E2_NS1_11comp_targetILNS1_3genE9ELNS1_11target_archE1100ELNS1_3gpuE3ELNS1_3repE0EEENS1_30default_config_static_selectorELNS0_4arch9wavefront6targetE0EEEvSK_ ; -- Begin function _ZN7rocprim17ROCPRIM_400000_NS6detail17trampoline_kernelINS0_14default_configENS1_36segmented_radix_sort_config_selectorIflEEZNS1_25segmented_radix_sort_implIS3_Lb1EPKfPfPKlPlN2at6native12_GLOBAL__N_18offset_tEEE10hipError_tPvRmT1_PNSt15iterator_traitsISK_E10value_typeET2_T3_PNSL_ISQ_E10value_typeET4_jRbjT5_SW_jjP12ihipStream_tbEUlT_E2_NS1_11comp_targetILNS1_3genE9ELNS1_11target_archE1100ELNS1_3gpuE3ELNS1_3repE0EEENS1_30default_config_static_selectorELNS0_4arch9wavefront6targetE0EEEvSK_
	.p2align	8
	.type	_ZN7rocprim17ROCPRIM_400000_NS6detail17trampoline_kernelINS0_14default_configENS1_36segmented_radix_sort_config_selectorIflEEZNS1_25segmented_radix_sort_implIS3_Lb1EPKfPfPKlPlN2at6native12_GLOBAL__N_18offset_tEEE10hipError_tPvRmT1_PNSt15iterator_traitsISK_E10value_typeET2_T3_PNSL_ISQ_E10value_typeET4_jRbjT5_SW_jjP12ihipStream_tbEUlT_E2_NS1_11comp_targetILNS1_3genE9ELNS1_11target_archE1100ELNS1_3gpuE3ELNS1_3repE0EEENS1_30default_config_static_selectorELNS0_4arch9wavefront6targetE0EEEvSK_,@function
_ZN7rocprim17ROCPRIM_400000_NS6detail17trampoline_kernelINS0_14default_configENS1_36segmented_radix_sort_config_selectorIflEEZNS1_25segmented_radix_sort_implIS3_Lb1EPKfPfPKlPlN2at6native12_GLOBAL__N_18offset_tEEE10hipError_tPvRmT1_PNSt15iterator_traitsISK_E10value_typeET2_T3_PNSL_ISQ_E10value_typeET4_jRbjT5_SW_jjP12ihipStream_tbEUlT_E2_NS1_11comp_targetILNS1_3genE9ELNS1_11target_archE1100ELNS1_3gpuE3ELNS1_3repE0EEENS1_30default_config_static_selectorELNS0_4arch9wavefront6targetE0EEEvSK_: ; @_ZN7rocprim17ROCPRIM_400000_NS6detail17trampoline_kernelINS0_14default_configENS1_36segmented_radix_sort_config_selectorIflEEZNS1_25segmented_radix_sort_implIS3_Lb1EPKfPfPKlPlN2at6native12_GLOBAL__N_18offset_tEEE10hipError_tPvRmT1_PNSt15iterator_traitsISK_E10value_typeET2_T3_PNSL_ISQ_E10value_typeET4_jRbjT5_SW_jjP12ihipStream_tbEUlT_E2_NS1_11comp_targetILNS1_3genE9ELNS1_11target_archE1100ELNS1_3gpuE3ELNS1_3repE0EEENS1_30default_config_static_selectorELNS0_4arch9wavefront6targetE0EEEvSK_
; %bb.0:
	.section	.rodata,"a",@progbits
	.p2align	6, 0x0
	.amdhsa_kernel _ZN7rocprim17ROCPRIM_400000_NS6detail17trampoline_kernelINS0_14default_configENS1_36segmented_radix_sort_config_selectorIflEEZNS1_25segmented_radix_sort_implIS3_Lb1EPKfPfPKlPlN2at6native12_GLOBAL__N_18offset_tEEE10hipError_tPvRmT1_PNSt15iterator_traitsISK_E10value_typeET2_T3_PNSL_ISQ_E10value_typeET4_jRbjT5_SW_jjP12ihipStream_tbEUlT_E2_NS1_11comp_targetILNS1_3genE9ELNS1_11target_archE1100ELNS1_3gpuE3ELNS1_3repE0EEENS1_30default_config_static_selectorELNS0_4arch9wavefront6targetE0EEEvSK_
		.amdhsa_group_segment_fixed_size 0
		.amdhsa_private_segment_fixed_size 0
		.amdhsa_kernarg_size 80
		.amdhsa_user_sgpr_count 2
		.amdhsa_user_sgpr_dispatch_ptr 0
		.amdhsa_user_sgpr_queue_ptr 0
		.amdhsa_user_sgpr_kernarg_segment_ptr 1
		.amdhsa_user_sgpr_dispatch_id 0
		.amdhsa_user_sgpr_private_segment_size 0
		.amdhsa_wavefront_size32 1
		.amdhsa_uses_dynamic_stack 0
		.amdhsa_enable_private_segment 0
		.amdhsa_system_sgpr_workgroup_id_x 1
		.amdhsa_system_sgpr_workgroup_id_y 0
		.amdhsa_system_sgpr_workgroup_id_z 0
		.amdhsa_system_sgpr_workgroup_info 0
		.amdhsa_system_vgpr_workitem_id 0
		.amdhsa_next_free_vgpr 1
		.amdhsa_next_free_sgpr 1
		.amdhsa_reserve_vcc 0
		.amdhsa_float_round_mode_32 0
		.amdhsa_float_round_mode_16_64 0
		.amdhsa_float_denorm_mode_32 3
		.amdhsa_float_denorm_mode_16_64 3
		.amdhsa_fp16_overflow 0
		.amdhsa_workgroup_processor_mode 1
		.amdhsa_memory_ordered 1
		.amdhsa_forward_progress 1
		.amdhsa_inst_pref_size 0
		.amdhsa_round_robin_scheduling 0
		.amdhsa_exception_fp_ieee_invalid_op 0
		.amdhsa_exception_fp_denorm_src 0
		.amdhsa_exception_fp_ieee_div_zero 0
		.amdhsa_exception_fp_ieee_overflow 0
		.amdhsa_exception_fp_ieee_underflow 0
		.amdhsa_exception_fp_ieee_inexact 0
		.amdhsa_exception_int_div_zero 0
	.end_amdhsa_kernel
	.section	.text._ZN7rocprim17ROCPRIM_400000_NS6detail17trampoline_kernelINS0_14default_configENS1_36segmented_radix_sort_config_selectorIflEEZNS1_25segmented_radix_sort_implIS3_Lb1EPKfPfPKlPlN2at6native12_GLOBAL__N_18offset_tEEE10hipError_tPvRmT1_PNSt15iterator_traitsISK_E10value_typeET2_T3_PNSL_ISQ_E10value_typeET4_jRbjT5_SW_jjP12ihipStream_tbEUlT_E2_NS1_11comp_targetILNS1_3genE9ELNS1_11target_archE1100ELNS1_3gpuE3ELNS1_3repE0EEENS1_30default_config_static_selectorELNS0_4arch9wavefront6targetE0EEEvSK_,"axG",@progbits,_ZN7rocprim17ROCPRIM_400000_NS6detail17trampoline_kernelINS0_14default_configENS1_36segmented_radix_sort_config_selectorIflEEZNS1_25segmented_radix_sort_implIS3_Lb1EPKfPfPKlPlN2at6native12_GLOBAL__N_18offset_tEEE10hipError_tPvRmT1_PNSt15iterator_traitsISK_E10value_typeET2_T3_PNSL_ISQ_E10value_typeET4_jRbjT5_SW_jjP12ihipStream_tbEUlT_E2_NS1_11comp_targetILNS1_3genE9ELNS1_11target_archE1100ELNS1_3gpuE3ELNS1_3repE0EEENS1_30default_config_static_selectorELNS0_4arch9wavefront6targetE0EEEvSK_,comdat
.Lfunc_end1362:
	.size	_ZN7rocprim17ROCPRIM_400000_NS6detail17trampoline_kernelINS0_14default_configENS1_36segmented_radix_sort_config_selectorIflEEZNS1_25segmented_radix_sort_implIS3_Lb1EPKfPfPKlPlN2at6native12_GLOBAL__N_18offset_tEEE10hipError_tPvRmT1_PNSt15iterator_traitsISK_E10value_typeET2_T3_PNSL_ISQ_E10value_typeET4_jRbjT5_SW_jjP12ihipStream_tbEUlT_E2_NS1_11comp_targetILNS1_3genE9ELNS1_11target_archE1100ELNS1_3gpuE3ELNS1_3repE0EEENS1_30default_config_static_selectorELNS0_4arch9wavefront6targetE0EEEvSK_, .Lfunc_end1362-_ZN7rocprim17ROCPRIM_400000_NS6detail17trampoline_kernelINS0_14default_configENS1_36segmented_radix_sort_config_selectorIflEEZNS1_25segmented_radix_sort_implIS3_Lb1EPKfPfPKlPlN2at6native12_GLOBAL__N_18offset_tEEE10hipError_tPvRmT1_PNSt15iterator_traitsISK_E10value_typeET2_T3_PNSL_ISQ_E10value_typeET4_jRbjT5_SW_jjP12ihipStream_tbEUlT_E2_NS1_11comp_targetILNS1_3genE9ELNS1_11target_archE1100ELNS1_3gpuE3ELNS1_3repE0EEENS1_30default_config_static_selectorELNS0_4arch9wavefront6targetE0EEEvSK_
                                        ; -- End function
	.set _ZN7rocprim17ROCPRIM_400000_NS6detail17trampoline_kernelINS0_14default_configENS1_36segmented_radix_sort_config_selectorIflEEZNS1_25segmented_radix_sort_implIS3_Lb1EPKfPfPKlPlN2at6native12_GLOBAL__N_18offset_tEEE10hipError_tPvRmT1_PNSt15iterator_traitsISK_E10value_typeET2_T3_PNSL_ISQ_E10value_typeET4_jRbjT5_SW_jjP12ihipStream_tbEUlT_E2_NS1_11comp_targetILNS1_3genE9ELNS1_11target_archE1100ELNS1_3gpuE3ELNS1_3repE0EEENS1_30default_config_static_selectorELNS0_4arch9wavefront6targetE0EEEvSK_.num_vgpr, 0
	.set _ZN7rocprim17ROCPRIM_400000_NS6detail17trampoline_kernelINS0_14default_configENS1_36segmented_radix_sort_config_selectorIflEEZNS1_25segmented_radix_sort_implIS3_Lb1EPKfPfPKlPlN2at6native12_GLOBAL__N_18offset_tEEE10hipError_tPvRmT1_PNSt15iterator_traitsISK_E10value_typeET2_T3_PNSL_ISQ_E10value_typeET4_jRbjT5_SW_jjP12ihipStream_tbEUlT_E2_NS1_11comp_targetILNS1_3genE9ELNS1_11target_archE1100ELNS1_3gpuE3ELNS1_3repE0EEENS1_30default_config_static_selectorELNS0_4arch9wavefront6targetE0EEEvSK_.num_agpr, 0
	.set _ZN7rocprim17ROCPRIM_400000_NS6detail17trampoline_kernelINS0_14default_configENS1_36segmented_radix_sort_config_selectorIflEEZNS1_25segmented_radix_sort_implIS3_Lb1EPKfPfPKlPlN2at6native12_GLOBAL__N_18offset_tEEE10hipError_tPvRmT1_PNSt15iterator_traitsISK_E10value_typeET2_T3_PNSL_ISQ_E10value_typeET4_jRbjT5_SW_jjP12ihipStream_tbEUlT_E2_NS1_11comp_targetILNS1_3genE9ELNS1_11target_archE1100ELNS1_3gpuE3ELNS1_3repE0EEENS1_30default_config_static_selectorELNS0_4arch9wavefront6targetE0EEEvSK_.numbered_sgpr, 0
	.set _ZN7rocprim17ROCPRIM_400000_NS6detail17trampoline_kernelINS0_14default_configENS1_36segmented_radix_sort_config_selectorIflEEZNS1_25segmented_radix_sort_implIS3_Lb1EPKfPfPKlPlN2at6native12_GLOBAL__N_18offset_tEEE10hipError_tPvRmT1_PNSt15iterator_traitsISK_E10value_typeET2_T3_PNSL_ISQ_E10value_typeET4_jRbjT5_SW_jjP12ihipStream_tbEUlT_E2_NS1_11comp_targetILNS1_3genE9ELNS1_11target_archE1100ELNS1_3gpuE3ELNS1_3repE0EEENS1_30default_config_static_selectorELNS0_4arch9wavefront6targetE0EEEvSK_.num_named_barrier, 0
	.set _ZN7rocprim17ROCPRIM_400000_NS6detail17trampoline_kernelINS0_14default_configENS1_36segmented_radix_sort_config_selectorIflEEZNS1_25segmented_radix_sort_implIS3_Lb1EPKfPfPKlPlN2at6native12_GLOBAL__N_18offset_tEEE10hipError_tPvRmT1_PNSt15iterator_traitsISK_E10value_typeET2_T3_PNSL_ISQ_E10value_typeET4_jRbjT5_SW_jjP12ihipStream_tbEUlT_E2_NS1_11comp_targetILNS1_3genE9ELNS1_11target_archE1100ELNS1_3gpuE3ELNS1_3repE0EEENS1_30default_config_static_selectorELNS0_4arch9wavefront6targetE0EEEvSK_.private_seg_size, 0
	.set _ZN7rocprim17ROCPRIM_400000_NS6detail17trampoline_kernelINS0_14default_configENS1_36segmented_radix_sort_config_selectorIflEEZNS1_25segmented_radix_sort_implIS3_Lb1EPKfPfPKlPlN2at6native12_GLOBAL__N_18offset_tEEE10hipError_tPvRmT1_PNSt15iterator_traitsISK_E10value_typeET2_T3_PNSL_ISQ_E10value_typeET4_jRbjT5_SW_jjP12ihipStream_tbEUlT_E2_NS1_11comp_targetILNS1_3genE9ELNS1_11target_archE1100ELNS1_3gpuE3ELNS1_3repE0EEENS1_30default_config_static_selectorELNS0_4arch9wavefront6targetE0EEEvSK_.uses_vcc, 0
	.set _ZN7rocprim17ROCPRIM_400000_NS6detail17trampoline_kernelINS0_14default_configENS1_36segmented_radix_sort_config_selectorIflEEZNS1_25segmented_radix_sort_implIS3_Lb1EPKfPfPKlPlN2at6native12_GLOBAL__N_18offset_tEEE10hipError_tPvRmT1_PNSt15iterator_traitsISK_E10value_typeET2_T3_PNSL_ISQ_E10value_typeET4_jRbjT5_SW_jjP12ihipStream_tbEUlT_E2_NS1_11comp_targetILNS1_3genE9ELNS1_11target_archE1100ELNS1_3gpuE3ELNS1_3repE0EEENS1_30default_config_static_selectorELNS0_4arch9wavefront6targetE0EEEvSK_.uses_flat_scratch, 0
	.set _ZN7rocprim17ROCPRIM_400000_NS6detail17trampoline_kernelINS0_14default_configENS1_36segmented_radix_sort_config_selectorIflEEZNS1_25segmented_radix_sort_implIS3_Lb1EPKfPfPKlPlN2at6native12_GLOBAL__N_18offset_tEEE10hipError_tPvRmT1_PNSt15iterator_traitsISK_E10value_typeET2_T3_PNSL_ISQ_E10value_typeET4_jRbjT5_SW_jjP12ihipStream_tbEUlT_E2_NS1_11comp_targetILNS1_3genE9ELNS1_11target_archE1100ELNS1_3gpuE3ELNS1_3repE0EEENS1_30default_config_static_selectorELNS0_4arch9wavefront6targetE0EEEvSK_.has_dyn_sized_stack, 0
	.set _ZN7rocprim17ROCPRIM_400000_NS6detail17trampoline_kernelINS0_14default_configENS1_36segmented_radix_sort_config_selectorIflEEZNS1_25segmented_radix_sort_implIS3_Lb1EPKfPfPKlPlN2at6native12_GLOBAL__N_18offset_tEEE10hipError_tPvRmT1_PNSt15iterator_traitsISK_E10value_typeET2_T3_PNSL_ISQ_E10value_typeET4_jRbjT5_SW_jjP12ihipStream_tbEUlT_E2_NS1_11comp_targetILNS1_3genE9ELNS1_11target_archE1100ELNS1_3gpuE3ELNS1_3repE0EEENS1_30default_config_static_selectorELNS0_4arch9wavefront6targetE0EEEvSK_.has_recursion, 0
	.set _ZN7rocprim17ROCPRIM_400000_NS6detail17trampoline_kernelINS0_14default_configENS1_36segmented_radix_sort_config_selectorIflEEZNS1_25segmented_radix_sort_implIS3_Lb1EPKfPfPKlPlN2at6native12_GLOBAL__N_18offset_tEEE10hipError_tPvRmT1_PNSt15iterator_traitsISK_E10value_typeET2_T3_PNSL_ISQ_E10value_typeET4_jRbjT5_SW_jjP12ihipStream_tbEUlT_E2_NS1_11comp_targetILNS1_3genE9ELNS1_11target_archE1100ELNS1_3gpuE3ELNS1_3repE0EEENS1_30default_config_static_selectorELNS0_4arch9wavefront6targetE0EEEvSK_.has_indirect_call, 0
	.section	.AMDGPU.csdata,"",@progbits
; Kernel info:
; codeLenInByte = 0
; TotalNumSgprs: 0
; NumVgprs: 0
; ScratchSize: 0
; MemoryBound: 0
; FloatMode: 240
; IeeeMode: 1
; LDSByteSize: 0 bytes/workgroup (compile time only)
; SGPRBlocks: 0
; VGPRBlocks: 0
; NumSGPRsForWavesPerEU: 1
; NumVGPRsForWavesPerEU: 1
; Occupancy: 16
; WaveLimiterHint : 0
; COMPUTE_PGM_RSRC2:SCRATCH_EN: 0
; COMPUTE_PGM_RSRC2:USER_SGPR: 2
; COMPUTE_PGM_RSRC2:TRAP_HANDLER: 0
; COMPUTE_PGM_RSRC2:TGID_X_EN: 1
; COMPUTE_PGM_RSRC2:TGID_Y_EN: 0
; COMPUTE_PGM_RSRC2:TGID_Z_EN: 0
; COMPUTE_PGM_RSRC2:TIDIG_COMP_CNT: 0
	.section	.text._ZN7rocprim17ROCPRIM_400000_NS6detail17trampoline_kernelINS0_14default_configENS1_36segmented_radix_sort_config_selectorIflEEZNS1_25segmented_radix_sort_implIS3_Lb1EPKfPfPKlPlN2at6native12_GLOBAL__N_18offset_tEEE10hipError_tPvRmT1_PNSt15iterator_traitsISK_E10value_typeET2_T3_PNSL_ISQ_E10value_typeET4_jRbjT5_SW_jjP12ihipStream_tbEUlT_E2_NS1_11comp_targetILNS1_3genE8ELNS1_11target_archE1030ELNS1_3gpuE2ELNS1_3repE0EEENS1_30default_config_static_selectorELNS0_4arch9wavefront6targetE0EEEvSK_,"axG",@progbits,_ZN7rocprim17ROCPRIM_400000_NS6detail17trampoline_kernelINS0_14default_configENS1_36segmented_radix_sort_config_selectorIflEEZNS1_25segmented_radix_sort_implIS3_Lb1EPKfPfPKlPlN2at6native12_GLOBAL__N_18offset_tEEE10hipError_tPvRmT1_PNSt15iterator_traitsISK_E10value_typeET2_T3_PNSL_ISQ_E10value_typeET4_jRbjT5_SW_jjP12ihipStream_tbEUlT_E2_NS1_11comp_targetILNS1_3genE8ELNS1_11target_archE1030ELNS1_3gpuE2ELNS1_3repE0EEENS1_30default_config_static_selectorELNS0_4arch9wavefront6targetE0EEEvSK_,comdat
	.globl	_ZN7rocprim17ROCPRIM_400000_NS6detail17trampoline_kernelINS0_14default_configENS1_36segmented_radix_sort_config_selectorIflEEZNS1_25segmented_radix_sort_implIS3_Lb1EPKfPfPKlPlN2at6native12_GLOBAL__N_18offset_tEEE10hipError_tPvRmT1_PNSt15iterator_traitsISK_E10value_typeET2_T3_PNSL_ISQ_E10value_typeET4_jRbjT5_SW_jjP12ihipStream_tbEUlT_E2_NS1_11comp_targetILNS1_3genE8ELNS1_11target_archE1030ELNS1_3gpuE2ELNS1_3repE0EEENS1_30default_config_static_selectorELNS0_4arch9wavefront6targetE0EEEvSK_ ; -- Begin function _ZN7rocprim17ROCPRIM_400000_NS6detail17trampoline_kernelINS0_14default_configENS1_36segmented_radix_sort_config_selectorIflEEZNS1_25segmented_radix_sort_implIS3_Lb1EPKfPfPKlPlN2at6native12_GLOBAL__N_18offset_tEEE10hipError_tPvRmT1_PNSt15iterator_traitsISK_E10value_typeET2_T3_PNSL_ISQ_E10value_typeET4_jRbjT5_SW_jjP12ihipStream_tbEUlT_E2_NS1_11comp_targetILNS1_3genE8ELNS1_11target_archE1030ELNS1_3gpuE2ELNS1_3repE0EEENS1_30default_config_static_selectorELNS0_4arch9wavefront6targetE0EEEvSK_
	.p2align	8
	.type	_ZN7rocprim17ROCPRIM_400000_NS6detail17trampoline_kernelINS0_14default_configENS1_36segmented_radix_sort_config_selectorIflEEZNS1_25segmented_radix_sort_implIS3_Lb1EPKfPfPKlPlN2at6native12_GLOBAL__N_18offset_tEEE10hipError_tPvRmT1_PNSt15iterator_traitsISK_E10value_typeET2_T3_PNSL_ISQ_E10value_typeET4_jRbjT5_SW_jjP12ihipStream_tbEUlT_E2_NS1_11comp_targetILNS1_3genE8ELNS1_11target_archE1030ELNS1_3gpuE2ELNS1_3repE0EEENS1_30default_config_static_selectorELNS0_4arch9wavefront6targetE0EEEvSK_,@function
_ZN7rocprim17ROCPRIM_400000_NS6detail17trampoline_kernelINS0_14default_configENS1_36segmented_radix_sort_config_selectorIflEEZNS1_25segmented_radix_sort_implIS3_Lb1EPKfPfPKlPlN2at6native12_GLOBAL__N_18offset_tEEE10hipError_tPvRmT1_PNSt15iterator_traitsISK_E10value_typeET2_T3_PNSL_ISQ_E10value_typeET4_jRbjT5_SW_jjP12ihipStream_tbEUlT_E2_NS1_11comp_targetILNS1_3genE8ELNS1_11target_archE1030ELNS1_3gpuE2ELNS1_3repE0EEENS1_30default_config_static_selectorELNS0_4arch9wavefront6targetE0EEEvSK_: ; @_ZN7rocprim17ROCPRIM_400000_NS6detail17trampoline_kernelINS0_14default_configENS1_36segmented_radix_sort_config_selectorIflEEZNS1_25segmented_radix_sort_implIS3_Lb1EPKfPfPKlPlN2at6native12_GLOBAL__N_18offset_tEEE10hipError_tPvRmT1_PNSt15iterator_traitsISK_E10value_typeET2_T3_PNSL_ISQ_E10value_typeET4_jRbjT5_SW_jjP12ihipStream_tbEUlT_E2_NS1_11comp_targetILNS1_3genE8ELNS1_11target_archE1030ELNS1_3gpuE2ELNS1_3repE0EEENS1_30default_config_static_selectorELNS0_4arch9wavefront6targetE0EEEvSK_
; %bb.0:
	.section	.rodata,"a",@progbits
	.p2align	6, 0x0
	.amdhsa_kernel _ZN7rocprim17ROCPRIM_400000_NS6detail17trampoline_kernelINS0_14default_configENS1_36segmented_radix_sort_config_selectorIflEEZNS1_25segmented_radix_sort_implIS3_Lb1EPKfPfPKlPlN2at6native12_GLOBAL__N_18offset_tEEE10hipError_tPvRmT1_PNSt15iterator_traitsISK_E10value_typeET2_T3_PNSL_ISQ_E10value_typeET4_jRbjT5_SW_jjP12ihipStream_tbEUlT_E2_NS1_11comp_targetILNS1_3genE8ELNS1_11target_archE1030ELNS1_3gpuE2ELNS1_3repE0EEENS1_30default_config_static_selectorELNS0_4arch9wavefront6targetE0EEEvSK_
		.amdhsa_group_segment_fixed_size 0
		.amdhsa_private_segment_fixed_size 0
		.amdhsa_kernarg_size 80
		.amdhsa_user_sgpr_count 2
		.amdhsa_user_sgpr_dispatch_ptr 0
		.amdhsa_user_sgpr_queue_ptr 0
		.amdhsa_user_sgpr_kernarg_segment_ptr 1
		.amdhsa_user_sgpr_dispatch_id 0
		.amdhsa_user_sgpr_private_segment_size 0
		.amdhsa_wavefront_size32 1
		.amdhsa_uses_dynamic_stack 0
		.amdhsa_enable_private_segment 0
		.amdhsa_system_sgpr_workgroup_id_x 1
		.amdhsa_system_sgpr_workgroup_id_y 0
		.amdhsa_system_sgpr_workgroup_id_z 0
		.amdhsa_system_sgpr_workgroup_info 0
		.amdhsa_system_vgpr_workitem_id 0
		.amdhsa_next_free_vgpr 1
		.amdhsa_next_free_sgpr 1
		.amdhsa_reserve_vcc 0
		.amdhsa_float_round_mode_32 0
		.amdhsa_float_round_mode_16_64 0
		.amdhsa_float_denorm_mode_32 3
		.amdhsa_float_denorm_mode_16_64 3
		.amdhsa_fp16_overflow 0
		.amdhsa_workgroup_processor_mode 1
		.amdhsa_memory_ordered 1
		.amdhsa_forward_progress 1
		.amdhsa_inst_pref_size 0
		.amdhsa_round_robin_scheduling 0
		.amdhsa_exception_fp_ieee_invalid_op 0
		.amdhsa_exception_fp_denorm_src 0
		.amdhsa_exception_fp_ieee_div_zero 0
		.amdhsa_exception_fp_ieee_overflow 0
		.amdhsa_exception_fp_ieee_underflow 0
		.amdhsa_exception_fp_ieee_inexact 0
		.amdhsa_exception_int_div_zero 0
	.end_amdhsa_kernel
	.section	.text._ZN7rocprim17ROCPRIM_400000_NS6detail17trampoline_kernelINS0_14default_configENS1_36segmented_radix_sort_config_selectorIflEEZNS1_25segmented_radix_sort_implIS3_Lb1EPKfPfPKlPlN2at6native12_GLOBAL__N_18offset_tEEE10hipError_tPvRmT1_PNSt15iterator_traitsISK_E10value_typeET2_T3_PNSL_ISQ_E10value_typeET4_jRbjT5_SW_jjP12ihipStream_tbEUlT_E2_NS1_11comp_targetILNS1_3genE8ELNS1_11target_archE1030ELNS1_3gpuE2ELNS1_3repE0EEENS1_30default_config_static_selectorELNS0_4arch9wavefront6targetE0EEEvSK_,"axG",@progbits,_ZN7rocprim17ROCPRIM_400000_NS6detail17trampoline_kernelINS0_14default_configENS1_36segmented_radix_sort_config_selectorIflEEZNS1_25segmented_radix_sort_implIS3_Lb1EPKfPfPKlPlN2at6native12_GLOBAL__N_18offset_tEEE10hipError_tPvRmT1_PNSt15iterator_traitsISK_E10value_typeET2_T3_PNSL_ISQ_E10value_typeET4_jRbjT5_SW_jjP12ihipStream_tbEUlT_E2_NS1_11comp_targetILNS1_3genE8ELNS1_11target_archE1030ELNS1_3gpuE2ELNS1_3repE0EEENS1_30default_config_static_selectorELNS0_4arch9wavefront6targetE0EEEvSK_,comdat
.Lfunc_end1363:
	.size	_ZN7rocprim17ROCPRIM_400000_NS6detail17trampoline_kernelINS0_14default_configENS1_36segmented_radix_sort_config_selectorIflEEZNS1_25segmented_radix_sort_implIS3_Lb1EPKfPfPKlPlN2at6native12_GLOBAL__N_18offset_tEEE10hipError_tPvRmT1_PNSt15iterator_traitsISK_E10value_typeET2_T3_PNSL_ISQ_E10value_typeET4_jRbjT5_SW_jjP12ihipStream_tbEUlT_E2_NS1_11comp_targetILNS1_3genE8ELNS1_11target_archE1030ELNS1_3gpuE2ELNS1_3repE0EEENS1_30default_config_static_selectorELNS0_4arch9wavefront6targetE0EEEvSK_, .Lfunc_end1363-_ZN7rocprim17ROCPRIM_400000_NS6detail17trampoline_kernelINS0_14default_configENS1_36segmented_radix_sort_config_selectorIflEEZNS1_25segmented_radix_sort_implIS3_Lb1EPKfPfPKlPlN2at6native12_GLOBAL__N_18offset_tEEE10hipError_tPvRmT1_PNSt15iterator_traitsISK_E10value_typeET2_T3_PNSL_ISQ_E10value_typeET4_jRbjT5_SW_jjP12ihipStream_tbEUlT_E2_NS1_11comp_targetILNS1_3genE8ELNS1_11target_archE1030ELNS1_3gpuE2ELNS1_3repE0EEENS1_30default_config_static_selectorELNS0_4arch9wavefront6targetE0EEEvSK_
                                        ; -- End function
	.set _ZN7rocprim17ROCPRIM_400000_NS6detail17trampoline_kernelINS0_14default_configENS1_36segmented_radix_sort_config_selectorIflEEZNS1_25segmented_radix_sort_implIS3_Lb1EPKfPfPKlPlN2at6native12_GLOBAL__N_18offset_tEEE10hipError_tPvRmT1_PNSt15iterator_traitsISK_E10value_typeET2_T3_PNSL_ISQ_E10value_typeET4_jRbjT5_SW_jjP12ihipStream_tbEUlT_E2_NS1_11comp_targetILNS1_3genE8ELNS1_11target_archE1030ELNS1_3gpuE2ELNS1_3repE0EEENS1_30default_config_static_selectorELNS0_4arch9wavefront6targetE0EEEvSK_.num_vgpr, 0
	.set _ZN7rocprim17ROCPRIM_400000_NS6detail17trampoline_kernelINS0_14default_configENS1_36segmented_radix_sort_config_selectorIflEEZNS1_25segmented_radix_sort_implIS3_Lb1EPKfPfPKlPlN2at6native12_GLOBAL__N_18offset_tEEE10hipError_tPvRmT1_PNSt15iterator_traitsISK_E10value_typeET2_T3_PNSL_ISQ_E10value_typeET4_jRbjT5_SW_jjP12ihipStream_tbEUlT_E2_NS1_11comp_targetILNS1_3genE8ELNS1_11target_archE1030ELNS1_3gpuE2ELNS1_3repE0EEENS1_30default_config_static_selectorELNS0_4arch9wavefront6targetE0EEEvSK_.num_agpr, 0
	.set _ZN7rocprim17ROCPRIM_400000_NS6detail17trampoline_kernelINS0_14default_configENS1_36segmented_radix_sort_config_selectorIflEEZNS1_25segmented_radix_sort_implIS3_Lb1EPKfPfPKlPlN2at6native12_GLOBAL__N_18offset_tEEE10hipError_tPvRmT1_PNSt15iterator_traitsISK_E10value_typeET2_T3_PNSL_ISQ_E10value_typeET4_jRbjT5_SW_jjP12ihipStream_tbEUlT_E2_NS1_11comp_targetILNS1_3genE8ELNS1_11target_archE1030ELNS1_3gpuE2ELNS1_3repE0EEENS1_30default_config_static_selectorELNS0_4arch9wavefront6targetE0EEEvSK_.numbered_sgpr, 0
	.set _ZN7rocprim17ROCPRIM_400000_NS6detail17trampoline_kernelINS0_14default_configENS1_36segmented_radix_sort_config_selectorIflEEZNS1_25segmented_radix_sort_implIS3_Lb1EPKfPfPKlPlN2at6native12_GLOBAL__N_18offset_tEEE10hipError_tPvRmT1_PNSt15iterator_traitsISK_E10value_typeET2_T3_PNSL_ISQ_E10value_typeET4_jRbjT5_SW_jjP12ihipStream_tbEUlT_E2_NS1_11comp_targetILNS1_3genE8ELNS1_11target_archE1030ELNS1_3gpuE2ELNS1_3repE0EEENS1_30default_config_static_selectorELNS0_4arch9wavefront6targetE0EEEvSK_.num_named_barrier, 0
	.set _ZN7rocprim17ROCPRIM_400000_NS6detail17trampoline_kernelINS0_14default_configENS1_36segmented_radix_sort_config_selectorIflEEZNS1_25segmented_radix_sort_implIS3_Lb1EPKfPfPKlPlN2at6native12_GLOBAL__N_18offset_tEEE10hipError_tPvRmT1_PNSt15iterator_traitsISK_E10value_typeET2_T3_PNSL_ISQ_E10value_typeET4_jRbjT5_SW_jjP12ihipStream_tbEUlT_E2_NS1_11comp_targetILNS1_3genE8ELNS1_11target_archE1030ELNS1_3gpuE2ELNS1_3repE0EEENS1_30default_config_static_selectorELNS0_4arch9wavefront6targetE0EEEvSK_.private_seg_size, 0
	.set _ZN7rocprim17ROCPRIM_400000_NS6detail17trampoline_kernelINS0_14default_configENS1_36segmented_radix_sort_config_selectorIflEEZNS1_25segmented_radix_sort_implIS3_Lb1EPKfPfPKlPlN2at6native12_GLOBAL__N_18offset_tEEE10hipError_tPvRmT1_PNSt15iterator_traitsISK_E10value_typeET2_T3_PNSL_ISQ_E10value_typeET4_jRbjT5_SW_jjP12ihipStream_tbEUlT_E2_NS1_11comp_targetILNS1_3genE8ELNS1_11target_archE1030ELNS1_3gpuE2ELNS1_3repE0EEENS1_30default_config_static_selectorELNS0_4arch9wavefront6targetE0EEEvSK_.uses_vcc, 0
	.set _ZN7rocprim17ROCPRIM_400000_NS6detail17trampoline_kernelINS0_14default_configENS1_36segmented_radix_sort_config_selectorIflEEZNS1_25segmented_radix_sort_implIS3_Lb1EPKfPfPKlPlN2at6native12_GLOBAL__N_18offset_tEEE10hipError_tPvRmT1_PNSt15iterator_traitsISK_E10value_typeET2_T3_PNSL_ISQ_E10value_typeET4_jRbjT5_SW_jjP12ihipStream_tbEUlT_E2_NS1_11comp_targetILNS1_3genE8ELNS1_11target_archE1030ELNS1_3gpuE2ELNS1_3repE0EEENS1_30default_config_static_selectorELNS0_4arch9wavefront6targetE0EEEvSK_.uses_flat_scratch, 0
	.set _ZN7rocprim17ROCPRIM_400000_NS6detail17trampoline_kernelINS0_14default_configENS1_36segmented_radix_sort_config_selectorIflEEZNS1_25segmented_radix_sort_implIS3_Lb1EPKfPfPKlPlN2at6native12_GLOBAL__N_18offset_tEEE10hipError_tPvRmT1_PNSt15iterator_traitsISK_E10value_typeET2_T3_PNSL_ISQ_E10value_typeET4_jRbjT5_SW_jjP12ihipStream_tbEUlT_E2_NS1_11comp_targetILNS1_3genE8ELNS1_11target_archE1030ELNS1_3gpuE2ELNS1_3repE0EEENS1_30default_config_static_selectorELNS0_4arch9wavefront6targetE0EEEvSK_.has_dyn_sized_stack, 0
	.set _ZN7rocprim17ROCPRIM_400000_NS6detail17trampoline_kernelINS0_14default_configENS1_36segmented_radix_sort_config_selectorIflEEZNS1_25segmented_radix_sort_implIS3_Lb1EPKfPfPKlPlN2at6native12_GLOBAL__N_18offset_tEEE10hipError_tPvRmT1_PNSt15iterator_traitsISK_E10value_typeET2_T3_PNSL_ISQ_E10value_typeET4_jRbjT5_SW_jjP12ihipStream_tbEUlT_E2_NS1_11comp_targetILNS1_3genE8ELNS1_11target_archE1030ELNS1_3gpuE2ELNS1_3repE0EEENS1_30default_config_static_selectorELNS0_4arch9wavefront6targetE0EEEvSK_.has_recursion, 0
	.set _ZN7rocprim17ROCPRIM_400000_NS6detail17trampoline_kernelINS0_14default_configENS1_36segmented_radix_sort_config_selectorIflEEZNS1_25segmented_radix_sort_implIS3_Lb1EPKfPfPKlPlN2at6native12_GLOBAL__N_18offset_tEEE10hipError_tPvRmT1_PNSt15iterator_traitsISK_E10value_typeET2_T3_PNSL_ISQ_E10value_typeET4_jRbjT5_SW_jjP12ihipStream_tbEUlT_E2_NS1_11comp_targetILNS1_3genE8ELNS1_11target_archE1030ELNS1_3gpuE2ELNS1_3repE0EEENS1_30default_config_static_selectorELNS0_4arch9wavefront6targetE0EEEvSK_.has_indirect_call, 0
	.section	.AMDGPU.csdata,"",@progbits
; Kernel info:
; codeLenInByte = 0
; TotalNumSgprs: 0
; NumVgprs: 0
; ScratchSize: 0
; MemoryBound: 0
; FloatMode: 240
; IeeeMode: 1
; LDSByteSize: 0 bytes/workgroup (compile time only)
; SGPRBlocks: 0
; VGPRBlocks: 0
; NumSGPRsForWavesPerEU: 1
; NumVGPRsForWavesPerEU: 1
; Occupancy: 16
; WaveLimiterHint : 0
; COMPUTE_PGM_RSRC2:SCRATCH_EN: 0
; COMPUTE_PGM_RSRC2:USER_SGPR: 2
; COMPUTE_PGM_RSRC2:TRAP_HANDLER: 0
; COMPUTE_PGM_RSRC2:TGID_X_EN: 1
; COMPUTE_PGM_RSRC2:TGID_Y_EN: 0
; COMPUTE_PGM_RSRC2:TGID_Z_EN: 0
; COMPUTE_PGM_RSRC2:TIDIG_COMP_CNT: 0
	.section	.text._ZN7rocprim17ROCPRIM_400000_NS6detail17trampoline_kernelINS0_13select_configILj256ELj13ELNS0_17block_load_methodE3ELS4_3ELS4_3ELNS0_20block_scan_algorithmE0ELj4294967295EEENS1_25partition_config_selectorILNS1_17partition_subalgoE4EjNS0_10empty_typeEbEEZZNS1_14partition_implILS8_4ELb0ES6_15HIP_vector_typeIjLj2EENS0_17counting_iteratorIjlEEPS9_SG_NS0_5tupleIJPjSI_NS0_16reverse_iteratorISI_EEEEENSH_IJSG_SG_SG_EEES9_SI_JZNS1_25segmented_radix_sort_implINS0_14default_configELb0EPKfPfPKlPlN2at6native12_GLOBAL__N_18offset_tEEE10hipError_tPvRmT1_PNSt15iterator_traitsIS12_E10value_typeET2_T3_PNS13_IS18_E10value_typeET4_jRbjT5_S1E_jjP12ihipStream_tbEUljE_ZNSN_ISO_Lb0ESQ_SR_ST_SU_SY_EESZ_S10_S11_S12_S16_S17_S18_S1B_S1C_jS1D_jS1E_S1E_jjS1G_bEUljE0_EEESZ_S10_S11_S18_S1C_S1E_T6_T7_T9_mT8_S1G_bDpT10_ENKUlT_T0_E_clISt17integral_constantIbLb0EES1U_EEDaS1P_S1Q_EUlS1P_E_NS1_11comp_targetILNS1_3genE0ELNS1_11target_archE4294967295ELNS1_3gpuE0ELNS1_3repE0EEENS1_30default_config_static_selectorELNS0_4arch9wavefront6targetE0EEEvS12_,"axG",@progbits,_ZN7rocprim17ROCPRIM_400000_NS6detail17trampoline_kernelINS0_13select_configILj256ELj13ELNS0_17block_load_methodE3ELS4_3ELS4_3ELNS0_20block_scan_algorithmE0ELj4294967295EEENS1_25partition_config_selectorILNS1_17partition_subalgoE4EjNS0_10empty_typeEbEEZZNS1_14partition_implILS8_4ELb0ES6_15HIP_vector_typeIjLj2EENS0_17counting_iteratorIjlEEPS9_SG_NS0_5tupleIJPjSI_NS0_16reverse_iteratorISI_EEEEENSH_IJSG_SG_SG_EEES9_SI_JZNS1_25segmented_radix_sort_implINS0_14default_configELb0EPKfPfPKlPlN2at6native12_GLOBAL__N_18offset_tEEE10hipError_tPvRmT1_PNSt15iterator_traitsIS12_E10value_typeET2_T3_PNS13_IS18_E10value_typeET4_jRbjT5_S1E_jjP12ihipStream_tbEUljE_ZNSN_ISO_Lb0ESQ_SR_ST_SU_SY_EESZ_S10_S11_S12_S16_S17_S18_S1B_S1C_jS1D_jS1E_S1E_jjS1G_bEUljE0_EEESZ_S10_S11_S18_S1C_S1E_T6_T7_T9_mT8_S1G_bDpT10_ENKUlT_T0_E_clISt17integral_constantIbLb0EES1U_EEDaS1P_S1Q_EUlS1P_E_NS1_11comp_targetILNS1_3genE0ELNS1_11target_archE4294967295ELNS1_3gpuE0ELNS1_3repE0EEENS1_30default_config_static_selectorELNS0_4arch9wavefront6targetE0EEEvS12_,comdat
	.globl	_ZN7rocprim17ROCPRIM_400000_NS6detail17trampoline_kernelINS0_13select_configILj256ELj13ELNS0_17block_load_methodE3ELS4_3ELS4_3ELNS0_20block_scan_algorithmE0ELj4294967295EEENS1_25partition_config_selectorILNS1_17partition_subalgoE4EjNS0_10empty_typeEbEEZZNS1_14partition_implILS8_4ELb0ES6_15HIP_vector_typeIjLj2EENS0_17counting_iteratorIjlEEPS9_SG_NS0_5tupleIJPjSI_NS0_16reverse_iteratorISI_EEEEENSH_IJSG_SG_SG_EEES9_SI_JZNS1_25segmented_radix_sort_implINS0_14default_configELb0EPKfPfPKlPlN2at6native12_GLOBAL__N_18offset_tEEE10hipError_tPvRmT1_PNSt15iterator_traitsIS12_E10value_typeET2_T3_PNS13_IS18_E10value_typeET4_jRbjT5_S1E_jjP12ihipStream_tbEUljE_ZNSN_ISO_Lb0ESQ_SR_ST_SU_SY_EESZ_S10_S11_S12_S16_S17_S18_S1B_S1C_jS1D_jS1E_S1E_jjS1G_bEUljE0_EEESZ_S10_S11_S18_S1C_S1E_T6_T7_T9_mT8_S1G_bDpT10_ENKUlT_T0_E_clISt17integral_constantIbLb0EES1U_EEDaS1P_S1Q_EUlS1P_E_NS1_11comp_targetILNS1_3genE0ELNS1_11target_archE4294967295ELNS1_3gpuE0ELNS1_3repE0EEENS1_30default_config_static_selectorELNS0_4arch9wavefront6targetE0EEEvS12_ ; -- Begin function _ZN7rocprim17ROCPRIM_400000_NS6detail17trampoline_kernelINS0_13select_configILj256ELj13ELNS0_17block_load_methodE3ELS4_3ELS4_3ELNS0_20block_scan_algorithmE0ELj4294967295EEENS1_25partition_config_selectorILNS1_17partition_subalgoE4EjNS0_10empty_typeEbEEZZNS1_14partition_implILS8_4ELb0ES6_15HIP_vector_typeIjLj2EENS0_17counting_iteratorIjlEEPS9_SG_NS0_5tupleIJPjSI_NS0_16reverse_iteratorISI_EEEEENSH_IJSG_SG_SG_EEES9_SI_JZNS1_25segmented_radix_sort_implINS0_14default_configELb0EPKfPfPKlPlN2at6native12_GLOBAL__N_18offset_tEEE10hipError_tPvRmT1_PNSt15iterator_traitsIS12_E10value_typeET2_T3_PNS13_IS18_E10value_typeET4_jRbjT5_S1E_jjP12ihipStream_tbEUljE_ZNSN_ISO_Lb0ESQ_SR_ST_SU_SY_EESZ_S10_S11_S12_S16_S17_S18_S1B_S1C_jS1D_jS1E_S1E_jjS1G_bEUljE0_EEESZ_S10_S11_S18_S1C_S1E_T6_T7_T9_mT8_S1G_bDpT10_ENKUlT_T0_E_clISt17integral_constantIbLb0EES1U_EEDaS1P_S1Q_EUlS1P_E_NS1_11comp_targetILNS1_3genE0ELNS1_11target_archE4294967295ELNS1_3gpuE0ELNS1_3repE0EEENS1_30default_config_static_selectorELNS0_4arch9wavefront6targetE0EEEvS12_
	.p2align	8
	.type	_ZN7rocprim17ROCPRIM_400000_NS6detail17trampoline_kernelINS0_13select_configILj256ELj13ELNS0_17block_load_methodE3ELS4_3ELS4_3ELNS0_20block_scan_algorithmE0ELj4294967295EEENS1_25partition_config_selectorILNS1_17partition_subalgoE4EjNS0_10empty_typeEbEEZZNS1_14partition_implILS8_4ELb0ES6_15HIP_vector_typeIjLj2EENS0_17counting_iteratorIjlEEPS9_SG_NS0_5tupleIJPjSI_NS0_16reverse_iteratorISI_EEEEENSH_IJSG_SG_SG_EEES9_SI_JZNS1_25segmented_radix_sort_implINS0_14default_configELb0EPKfPfPKlPlN2at6native12_GLOBAL__N_18offset_tEEE10hipError_tPvRmT1_PNSt15iterator_traitsIS12_E10value_typeET2_T3_PNS13_IS18_E10value_typeET4_jRbjT5_S1E_jjP12ihipStream_tbEUljE_ZNSN_ISO_Lb0ESQ_SR_ST_SU_SY_EESZ_S10_S11_S12_S16_S17_S18_S1B_S1C_jS1D_jS1E_S1E_jjS1G_bEUljE0_EEESZ_S10_S11_S18_S1C_S1E_T6_T7_T9_mT8_S1G_bDpT10_ENKUlT_T0_E_clISt17integral_constantIbLb0EES1U_EEDaS1P_S1Q_EUlS1P_E_NS1_11comp_targetILNS1_3genE0ELNS1_11target_archE4294967295ELNS1_3gpuE0ELNS1_3repE0EEENS1_30default_config_static_selectorELNS0_4arch9wavefront6targetE0EEEvS12_,@function
_ZN7rocprim17ROCPRIM_400000_NS6detail17trampoline_kernelINS0_13select_configILj256ELj13ELNS0_17block_load_methodE3ELS4_3ELS4_3ELNS0_20block_scan_algorithmE0ELj4294967295EEENS1_25partition_config_selectorILNS1_17partition_subalgoE4EjNS0_10empty_typeEbEEZZNS1_14partition_implILS8_4ELb0ES6_15HIP_vector_typeIjLj2EENS0_17counting_iteratorIjlEEPS9_SG_NS0_5tupleIJPjSI_NS0_16reverse_iteratorISI_EEEEENSH_IJSG_SG_SG_EEES9_SI_JZNS1_25segmented_radix_sort_implINS0_14default_configELb0EPKfPfPKlPlN2at6native12_GLOBAL__N_18offset_tEEE10hipError_tPvRmT1_PNSt15iterator_traitsIS12_E10value_typeET2_T3_PNS13_IS18_E10value_typeET4_jRbjT5_S1E_jjP12ihipStream_tbEUljE_ZNSN_ISO_Lb0ESQ_SR_ST_SU_SY_EESZ_S10_S11_S12_S16_S17_S18_S1B_S1C_jS1D_jS1E_S1E_jjS1G_bEUljE0_EEESZ_S10_S11_S18_S1C_S1E_T6_T7_T9_mT8_S1G_bDpT10_ENKUlT_T0_E_clISt17integral_constantIbLb0EES1U_EEDaS1P_S1Q_EUlS1P_E_NS1_11comp_targetILNS1_3genE0ELNS1_11target_archE4294967295ELNS1_3gpuE0ELNS1_3repE0EEENS1_30default_config_static_selectorELNS0_4arch9wavefront6targetE0EEEvS12_: ; @_ZN7rocprim17ROCPRIM_400000_NS6detail17trampoline_kernelINS0_13select_configILj256ELj13ELNS0_17block_load_methodE3ELS4_3ELS4_3ELNS0_20block_scan_algorithmE0ELj4294967295EEENS1_25partition_config_selectorILNS1_17partition_subalgoE4EjNS0_10empty_typeEbEEZZNS1_14partition_implILS8_4ELb0ES6_15HIP_vector_typeIjLj2EENS0_17counting_iteratorIjlEEPS9_SG_NS0_5tupleIJPjSI_NS0_16reverse_iteratorISI_EEEEENSH_IJSG_SG_SG_EEES9_SI_JZNS1_25segmented_radix_sort_implINS0_14default_configELb0EPKfPfPKlPlN2at6native12_GLOBAL__N_18offset_tEEE10hipError_tPvRmT1_PNSt15iterator_traitsIS12_E10value_typeET2_T3_PNS13_IS18_E10value_typeET4_jRbjT5_S1E_jjP12ihipStream_tbEUljE_ZNSN_ISO_Lb0ESQ_SR_ST_SU_SY_EESZ_S10_S11_S12_S16_S17_S18_S1B_S1C_jS1D_jS1E_S1E_jjS1G_bEUljE0_EEESZ_S10_S11_S18_S1C_S1E_T6_T7_T9_mT8_S1G_bDpT10_ENKUlT_T0_E_clISt17integral_constantIbLb0EES1U_EEDaS1P_S1Q_EUlS1P_E_NS1_11comp_targetILNS1_3genE0ELNS1_11target_archE4294967295ELNS1_3gpuE0ELNS1_3repE0EEENS1_30default_config_static_selectorELNS0_4arch9wavefront6targetE0EEEvS12_
; %bb.0:
	.section	.rodata,"a",@progbits
	.p2align	6, 0x0
	.amdhsa_kernel _ZN7rocprim17ROCPRIM_400000_NS6detail17trampoline_kernelINS0_13select_configILj256ELj13ELNS0_17block_load_methodE3ELS4_3ELS4_3ELNS0_20block_scan_algorithmE0ELj4294967295EEENS1_25partition_config_selectorILNS1_17partition_subalgoE4EjNS0_10empty_typeEbEEZZNS1_14partition_implILS8_4ELb0ES6_15HIP_vector_typeIjLj2EENS0_17counting_iteratorIjlEEPS9_SG_NS0_5tupleIJPjSI_NS0_16reverse_iteratorISI_EEEEENSH_IJSG_SG_SG_EEES9_SI_JZNS1_25segmented_radix_sort_implINS0_14default_configELb0EPKfPfPKlPlN2at6native12_GLOBAL__N_18offset_tEEE10hipError_tPvRmT1_PNSt15iterator_traitsIS12_E10value_typeET2_T3_PNS13_IS18_E10value_typeET4_jRbjT5_S1E_jjP12ihipStream_tbEUljE_ZNSN_ISO_Lb0ESQ_SR_ST_SU_SY_EESZ_S10_S11_S12_S16_S17_S18_S1B_S1C_jS1D_jS1E_S1E_jjS1G_bEUljE0_EEESZ_S10_S11_S18_S1C_S1E_T6_T7_T9_mT8_S1G_bDpT10_ENKUlT_T0_E_clISt17integral_constantIbLb0EES1U_EEDaS1P_S1Q_EUlS1P_E_NS1_11comp_targetILNS1_3genE0ELNS1_11target_archE4294967295ELNS1_3gpuE0ELNS1_3repE0EEENS1_30default_config_static_selectorELNS0_4arch9wavefront6targetE0EEEvS12_
		.amdhsa_group_segment_fixed_size 0
		.amdhsa_private_segment_fixed_size 0
		.amdhsa_kernarg_size 176
		.amdhsa_user_sgpr_count 2
		.amdhsa_user_sgpr_dispatch_ptr 0
		.amdhsa_user_sgpr_queue_ptr 0
		.amdhsa_user_sgpr_kernarg_segment_ptr 1
		.amdhsa_user_sgpr_dispatch_id 0
		.amdhsa_user_sgpr_private_segment_size 0
		.amdhsa_wavefront_size32 1
		.amdhsa_uses_dynamic_stack 0
		.amdhsa_enable_private_segment 0
		.amdhsa_system_sgpr_workgroup_id_x 1
		.amdhsa_system_sgpr_workgroup_id_y 0
		.amdhsa_system_sgpr_workgroup_id_z 0
		.amdhsa_system_sgpr_workgroup_info 0
		.amdhsa_system_vgpr_workitem_id 0
		.amdhsa_next_free_vgpr 1
		.amdhsa_next_free_sgpr 1
		.amdhsa_reserve_vcc 0
		.amdhsa_float_round_mode_32 0
		.amdhsa_float_round_mode_16_64 0
		.amdhsa_float_denorm_mode_32 3
		.amdhsa_float_denorm_mode_16_64 3
		.amdhsa_fp16_overflow 0
		.amdhsa_workgroup_processor_mode 1
		.amdhsa_memory_ordered 1
		.amdhsa_forward_progress 1
		.amdhsa_inst_pref_size 0
		.amdhsa_round_robin_scheduling 0
		.amdhsa_exception_fp_ieee_invalid_op 0
		.amdhsa_exception_fp_denorm_src 0
		.amdhsa_exception_fp_ieee_div_zero 0
		.amdhsa_exception_fp_ieee_overflow 0
		.amdhsa_exception_fp_ieee_underflow 0
		.amdhsa_exception_fp_ieee_inexact 0
		.amdhsa_exception_int_div_zero 0
	.end_amdhsa_kernel
	.section	.text._ZN7rocprim17ROCPRIM_400000_NS6detail17trampoline_kernelINS0_13select_configILj256ELj13ELNS0_17block_load_methodE3ELS4_3ELS4_3ELNS0_20block_scan_algorithmE0ELj4294967295EEENS1_25partition_config_selectorILNS1_17partition_subalgoE4EjNS0_10empty_typeEbEEZZNS1_14partition_implILS8_4ELb0ES6_15HIP_vector_typeIjLj2EENS0_17counting_iteratorIjlEEPS9_SG_NS0_5tupleIJPjSI_NS0_16reverse_iteratorISI_EEEEENSH_IJSG_SG_SG_EEES9_SI_JZNS1_25segmented_radix_sort_implINS0_14default_configELb0EPKfPfPKlPlN2at6native12_GLOBAL__N_18offset_tEEE10hipError_tPvRmT1_PNSt15iterator_traitsIS12_E10value_typeET2_T3_PNS13_IS18_E10value_typeET4_jRbjT5_S1E_jjP12ihipStream_tbEUljE_ZNSN_ISO_Lb0ESQ_SR_ST_SU_SY_EESZ_S10_S11_S12_S16_S17_S18_S1B_S1C_jS1D_jS1E_S1E_jjS1G_bEUljE0_EEESZ_S10_S11_S18_S1C_S1E_T6_T7_T9_mT8_S1G_bDpT10_ENKUlT_T0_E_clISt17integral_constantIbLb0EES1U_EEDaS1P_S1Q_EUlS1P_E_NS1_11comp_targetILNS1_3genE0ELNS1_11target_archE4294967295ELNS1_3gpuE0ELNS1_3repE0EEENS1_30default_config_static_selectorELNS0_4arch9wavefront6targetE0EEEvS12_,"axG",@progbits,_ZN7rocprim17ROCPRIM_400000_NS6detail17trampoline_kernelINS0_13select_configILj256ELj13ELNS0_17block_load_methodE3ELS4_3ELS4_3ELNS0_20block_scan_algorithmE0ELj4294967295EEENS1_25partition_config_selectorILNS1_17partition_subalgoE4EjNS0_10empty_typeEbEEZZNS1_14partition_implILS8_4ELb0ES6_15HIP_vector_typeIjLj2EENS0_17counting_iteratorIjlEEPS9_SG_NS0_5tupleIJPjSI_NS0_16reverse_iteratorISI_EEEEENSH_IJSG_SG_SG_EEES9_SI_JZNS1_25segmented_radix_sort_implINS0_14default_configELb0EPKfPfPKlPlN2at6native12_GLOBAL__N_18offset_tEEE10hipError_tPvRmT1_PNSt15iterator_traitsIS12_E10value_typeET2_T3_PNS13_IS18_E10value_typeET4_jRbjT5_S1E_jjP12ihipStream_tbEUljE_ZNSN_ISO_Lb0ESQ_SR_ST_SU_SY_EESZ_S10_S11_S12_S16_S17_S18_S1B_S1C_jS1D_jS1E_S1E_jjS1G_bEUljE0_EEESZ_S10_S11_S18_S1C_S1E_T6_T7_T9_mT8_S1G_bDpT10_ENKUlT_T0_E_clISt17integral_constantIbLb0EES1U_EEDaS1P_S1Q_EUlS1P_E_NS1_11comp_targetILNS1_3genE0ELNS1_11target_archE4294967295ELNS1_3gpuE0ELNS1_3repE0EEENS1_30default_config_static_selectorELNS0_4arch9wavefront6targetE0EEEvS12_,comdat
.Lfunc_end1364:
	.size	_ZN7rocprim17ROCPRIM_400000_NS6detail17trampoline_kernelINS0_13select_configILj256ELj13ELNS0_17block_load_methodE3ELS4_3ELS4_3ELNS0_20block_scan_algorithmE0ELj4294967295EEENS1_25partition_config_selectorILNS1_17partition_subalgoE4EjNS0_10empty_typeEbEEZZNS1_14partition_implILS8_4ELb0ES6_15HIP_vector_typeIjLj2EENS0_17counting_iteratorIjlEEPS9_SG_NS0_5tupleIJPjSI_NS0_16reverse_iteratorISI_EEEEENSH_IJSG_SG_SG_EEES9_SI_JZNS1_25segmented_radix_sort_implINS0_14default_configELb0EPKfPfPKlPlN2at6native12_GLOBAL__N_18offset_tEEE10hipError_tPvRmT1_PNSt15iterator_traitsIS12_E10value_typeET2_T3_PNS13_IS18_E10value_typeET4_jRbjT5_S1E_jjP12ihipStream_tbEUljE_ZNSN_ISO_Lb0ESQ_SR_ST_SU_SY_EESZ_S10_S11_S12_S16_S17_S18_S1B_S1C_jS1D_jS1E_S1E_jjS1G_bEUljE0_EEESZ_S10_S11_S18_S1C_S1E_T6_T7_T9_mT8_S1G_bDpT10_ENKUlT_T0_E_clISt17integral_constantIbLb0EES1U_EEDaS1P_S1Q_EUlS1P_E_NS1_11comp_targetILNS1_3genE0ELNS1_11target_archE4294967295ELNS1_3gpuE0ELNS1_3repE0EEENS1_30default_config_static_selectorELNS0_4arch9wavefront6targetE0EEEvS12_, .Lfunc_end1364-_ZN7rocprim17ROCPRIM_400000_NS6detail17trampoline_kernelINS0_13select_configILj256ELj13ELNS0_17block_load_methodE3ELS4_3ELS4_3ELNS0_20block_scan_algorithmE0ELj4294967295EEENS1_25partition_config_selectorILNS1_17partition_subalgoE4EjNS0_10empty_typeEbEEZZNS1_14partition_implILS8_4ELb0ES6_15HIP_vector_typeIjLj2EENS0_17counting_iteratorIjlEEPS9_SG_NS0_5tupleIJPjSI_NS0_16reverse_iteratorISI_EEEEENSH_IJSG_SG_SG_EEES9_SI_JZNS1_25segmented_radix_sort_implINS0_14default_configELb0EPKfPfPKlPlN2at6native12_GLOBAL__N_18offset_tEEE10hipError_tPvRmT1_PNSt15iterator_traitsIS12_E10value_typeET2_T3_PNS13_IS18_E10value_typeET4_jRbjT5_S1E_jjP12ihipStream_tbEUljE_ZNSN_ISO_Lb0ESQ_SR_ST_SU_SY_EESZ_S10_S11_S12_S16_S17_S18_S1B_S1C_jS1D_jS1E_S1E_jjS1G_bEUljE0_EEESZ_S10_S11_S18_S1C_S1E_T6_T7_T9_mT8_S1G_bDpT10_ENKUlT_T0_E_clISt17integral_constantIbLb0EES1U_EEDaS1P_S1Q_EUlS1P_E_NS1_11comp_targetILNS1_3genE0ELNS1_11target_archE4294967295ELNS1_3gpuE0ELNS1_3repE0EEENS1_30default_config_static_selectorELNS0_4arch9wavefront6targetE0EEEvS12_
                                        ; -- End function
	.set _ZN7rocprim17ROCPRIM_400000_NS6detail17trampoline_kernelINS0_13select_configILj256ELj13ELNS0_17block_load_methodE3ELS4_3ELS4_3ELNS0_20block_scan_algorithmE0ELj4294967295EEENS1_25partition_config_selectorILNS1_17partition_subalgoE4EjNS0_10empty_typeEbEEZZNS1_14partition_implILS8_4ELb0ES6_15HIP_vector_typeIjLj2EENS0_17counting_iteratorIjlEEPS9_SG_NS0_5tupleIJPjSI_NS0_16reverse_iteratorISI_EEEEENSH_IJSG_SG_SG_EEES9_SI_JZNS1_25segmented_radix_sort_implINS0_14default_configELb0EPKfPfPKlPlN2at6native12_GLOBAL__N_18offset_tEEE10hipError_tPvRmT1_PNSt15iterator_traitsIS12_E10value_typeET2_T3_PNS13_IS18_E10value_typeET4_jRbjT5_S1E_jjP12ihipStream_tbEUljE_ZNSN_ISO_Lb0ESQ_SR_ST_SU_SY_EESZ_S10_S11_S12_S16_S17_S18_S1B_S1C_jS1D_jS1E_S1E_jjS1G_bEUljE0_EEESZ_S10_S11_S18_S1C_S1E_T6_T7_T9_mT8_S1G_bDpT10_ENKUlT_T0_E_clISt17integral_constantIbLb0EES1U_EEDaS1P_S1Q_EUlS1P_E_NS1_11comp_targetILNS1_3genE0ELNS1_11target_archE4294967295ELNS1_3gpuE0ELNS1_3repE0EEENS1_30default_config_static_selectorELNS0_4arch9wavefront6targetE0EEEvS12_.num_vgpr, 0
	.set _ZN7rocprim17ROCPRIM_400000_NS6detail17trampoline_kernelINS0_13select_configILj256ELj13ELNS0_17block_load_methodE3ELS4_3ELS4_3ELNS0_20block_scan_algorithmE0ELj4294967295EEENS1_25partition_config_selectorILNS1_17partition_subalgoE4EjNS0_10empty_typeEbEEZZNS1_14partition_implILS8_4ELb0ES6_15HIP_vector_typeIjLj2EENS0_17counting_iteratorIjlEEPS9_SG_NS0_5tupleIJPjSI_NS0_16reverse_iteratorISI_EEEEENSH_IJSG_SG_SG_EEES9_SI_JZNS1_25segmented_radix_sort_implINS0_14default_configELb0EPKfPfPKlPlN2at6native12_GLOBAL__N_18offset_tEEE10hipError_tPvRmT1_PNSt15iterator_traitsIS12_E10value_typeET2_T3_PNS13_IS18_E10value_typeET4_jRbjT5_S1E_jjP12ihipStream_tbEUljE_ZNSN_ISO_Lb0ESQ_SR_ST_SU_SY_EESZ_S10_S11_S12_S16_S17_S18_S1B_S1C_jS1D_jS1E_S1E_jjS1G_bEUljE0_EEESZ_S10_S11_S18_S1C_S1E_T6_T7_T9_mT8_S1G_bDpT10_ENKUlT_T0_E_clISt17integral_constantIbLb0EES1U_EEDaS1P_S1Q_EUlS1P_E_NS1_11comp_targetILNS1_3genE0ELNS1_11target_archE4294967295ELNS1_3gpuE0ELNS1_3repE0EEENS1_30default_config_static_selectorELNS0_4arch9wavefront6targetE0EEEvS12_.num_agpr, 0
	.set _ZN7rocprim17ROCPRIM_400000_NS6detail17trampoline_kernelINS0_13select_configILj256ELj13ELNS0_17block_load_methodE3ELS4_3ELS4_3ELNS0_20block_scan_algorithmE0ELj4294967295EEENS1_25partition_config_selectorILNS1_17partition_subalgoE4EjNS0_10empty_typeEbEEZZNS1_14partition_implILS8_4ELb0ES6_15HIP_vector_typeIjLj2EENS0_17counting_iteratorIjlEEPS9_SG_NS0_5tupleIJPjSI_NS0_16reverse_iteratorISI_EEEEENSH_IJSG_SG_SG_EEES9_SI_JZNS1_25segmented_radix_sort_implINS0_14default_configELb0EPKfPfPKlPlN2at6native12_GLOBAL__N_18offset_tEEE10hipError_tPvRmT1_PNSt15iterator_traitsIS12_E10value_typeET2_T3_PNS13_IS18_E10value_typeET4_jRbjT5_S1E_jjP12ihipStream_tbEUljE_ZNSN_ISO_Lb0ESQ_SR_ST_SU_SY_EESZ_S10_S11_S12_S16_S17_S18_S1B_S1C_jS1D_jS1E_S1E_jjS1G_bEUljE0_EEESZ_S10_S11_S18_S1C_S1E_T6_T7_T9_mT8_S1G_bDpT10_ENKUlT_T0_E_clISt17integral_constantIbLb0EES1U_EEDaS1P_S1Q_EUlS1P_E_NS1_11comp_targetILNS1_3genE0ELNS1_11target_archE4294967295ELNS1_3gpuE0ELNS1_3repE0EEENS1_30default_config_static_selectorELNS0_4arch9wavefront6targetE0EEEvS12_.numbered_sgpr, 0
	.set _ZN7rocprim17ROCPRIM_400000_NS6detail17trampoline_kernelINS0_13select_configILj256ELj13ELNS0_17block_load_methodE3ELS4_3ELS4_3ELNS0_20block_scan_algorithmE0ELj4294967295EEENS1_25partition_config_selectorILNS1_17partition_subalgoE4EjNS0_10empty_typeEbEEZZNS1_14partition_implILS8_4ELb0ES6_15HIP_vector_typeIjLj2EENS0_17counting_iteratorIjlEEPS9_SG_NS0_5tupleIJPjSI_NS0_16reverse_iteratorISI_EEEEENSH_IJSG_SG_SG_EEES9_SI_JZNS1_25segmented_radix_sort_implINS0_14default_configELb0EPKfPfPKlPlN2at6native12_GLOBAL__N_18offset_tEEE10hipError_tPvRmT1_PNSt15iterator_traitsIS12_E10value_typeET2_T3_PNS13_IS18_E10value_typeET4_jRbjT5_S1E_jjP12ihipStream_tbEUljE_ZNSN_ISO_Lb0ESQ_SR_ST_SU_SY_EESZ_S10_S11_S12_S16_S17_S18_S1B_S1C_jS1D_jS1E_S1E_jjS1G_bEUljE0_EEESZ_S10_S11_S18_S1C_S1E_T6_T7_T9_mT8_S1G_bDpT10_ENKUlT_T0_E_clISt17integral_constantIbLb0EES1U_EEDaS1P_S1Q_EUlS1P_E_NS1_11comp_targetILNS1_3genE0ELNS1_11target_archE4294967295ELNS1_3gpuE0ELNS1_3repE0EEENS1_30default_config_static_selectorELNS0_4arch9wavefront6targetE0EEEvS12_.num_named_barrier, 0
	.set _ZN7rocprim17ROCPRIM_400000_NS6detail17trampoline_kernelINS0_13select_configILj256ELj13ELNS0_17block_load_methodE3ELS4_3ELS4_3ELNS0_20block_scan_algorithmE0ELj4294967295EEENS1_25partition_config_selectorILNS1_17partition_subalgoE4EjNS0_10empty_typeEbEEZZNS1_14partition_implILS8_4ELb0ES6_15HIP_vector_typeIjLj2EENS0_17counting_iteratorIjlEEPS9_SG_NS0_5tupleIJPjSI_NS0_16reverse_iteratorISI_EEEEENSH_IJSG_SG_SG_EEES9_SI_JZNS1_25segmented_radix_sort_implINS0_14default_configELb0EPKfPfPKlPlN2at6native12_GLOBAL__N_18offset_tEEE10hipError_tPvRmT1_PNSt15iterator_traitsIS12_E10value_typeET2_T3_PNS13_IS18_E10value_typeET4_jRbjT5_S1E_jjP12ihipStream_tbEUljE_ZNSN_ISO_Lb0ESQ_SR_ST_SU_SY_EESZ_S10_S11_S12_S16_S17_S18_S1B_S1C_jS1D_jS1E_S1E_jjS1G_bEUljE0_EEESZ_S10_S11_S18_S1C_S1E_T6_T7_T9_mT8_S1G_bDpT10_ENKUlT_T0_E_clISt17integral_constantIbLb0EES1U_EEDaS1P_S1Q_EUlS1P_E_NS1_11comp_targetILNS1_3genE0ELNS1_11target_archE4294967295ELNS1_3gpuE0ELNS1_3repE0EEENS1_30default_config_static_selectorELNS0_4arch9wavefront6targetE0EEEvS12_.private_seg_size, 0
	.set _ZN7rocprim17ROCPRIM_400000_NS6detail17trampoline_kernelINS0_13select_configILj256ELj13ELNS0_17block_load_methodE3ELS4_3ELS4_3ELNS0_20block_scan_algorithmE0ELj4294967295EEENS1_25partition_config_selectorILNS1_17partition_subalgoE4EjNS0_10empty_typeEbEEZZNS1_14partition_implILS8_4ELb0ES6_15HIP_vector_typeIjLj2EENS0_17counting_iteratorIjlEEPS9_SG_NS0_5tupleIJPjSI_NS0_16reverse_iteratorISI_EEEEENSH_IJSG_SG_SG_EEES9_SI_JZNS1_25segmented_radix_sort_implINS0_14default_configELb0EPKfPfPKlPlN2at6native12_GLOBAL__N_18offset_tEEE10hipError_tPvRmT1_PNSt15iterator_traitsIS12_E10value_typeET2_T3_PNS13_IS18_E10value_typeET4_jRbjT5_S1E_jjP12ihipStream_tbEUljE_ZNSN_ISO_Lb0ESQ_SR_ST_SU_SY_EESZ_S10_S11_S12_S16_S17_S18_S1B_S1C_jS1D_jS1E_S1E_jjS1G_bEUljE0_EEESZ_S10_S11_S18_S1C_S1E_T6_T7_T9_mT8_S1G_bDpT10_ENKUlT_T0_E_clISt17integral_constantIbLb0EES1U_EEDaS1P_S1Q_EUlS1P_E_NS1_11comp_targetILNS1_3genE0ELNS1_11target_archE4294967295ELNS1_3gpuE0ELNS1_3repE0EEENS1_30default_config_static_selectorELNS0_4arch9wavefront6targetE0EEEvS12_.uses_vcc, 0
	.set _ZN7rocprim17ROCPRIM_400000_NS6detail17trampoline_kernelINS0_13select_configILj256ELj13ELNS0_17block_load_methodE3ELS4_3ELS4_3ELNS0_20block_scan_algorithmE0ELj4294967295EEENS1_25partition_config_selectorILNS1_17partition_subalgoE4EjNS0_10empty_typeEbEEZZNS1_14partition_implILS8_4ELb0ES6_15HIP_vector_typeIjLj2EENS0_17counting_iteratorIjlEEPS9_SG_NS0_5tupleIJPjSI_NS0_16reverse_iteratorISI_EEEEENSH_IJSG_SG_SG_EEES9_SI_JZNS1_25segmented_radix_sort_implINS0_14default_configELb0EPKfPfPKlPlN2at6native12_GLOBAL__N_18offset_tEEE10hipError_tPvRmT1_PNSt15iterator_traitsIS12_E10value_typeET2_T3_PNS13_IS18_E10value_typeET4_jRbjT5_S1E_jjP12ihipStream_tbEUljE_ZNSN_ISO_Lb0ESQ_SR_ST_SU_SY_EESZ_S10_S11_S12_S16_S17_S18_S1B_S1C_jS1D_jS1E_S1E_jjS1G_bEUljE0_EEESZ_S10_S11_S18_S1C_S1E_T6_T7_T9_mT8_S1G_bDpT10_ENKUlT_T0_E_clISt17integral_constantIbLb0EES1U_EEDaS1P_S1Q_EUlS1P_E_NS1_11comp_targetILNS1_3genE0ELNS1_11target_archE4294967295ELNS1_3gpuE0ELNS1_3repE0EEENS1_30default_config_static_selectorELNS0_4arch9wavefront6targetE0EEEvS12_.uses_flat_scratch, 0
	.set _ZN7rocprim17ROCPRIM_400000_NS6detail17trampoline_kernelINS0_13select_configILj256ELj13ELNS0_17block_load_methodE3ELS4_3ELS4_3ELNS0_20block_scan_algorithmE0ELj4294967295EEENS1_25partition_config_selectorILNS1_17partition_subalgoE4EjNS0_10empty_typeEbEEZZNS1_14partition_implILS8_4ELb0ES6_15HIP_vector_typeIjLj2EENS0_17counting_iteratorIjlEEPS9_SG_NS0_5tupleIJPjSI_NS0_16reverse_iteratorISI_EEEEENSH_IJSG_SG_SG_EEES9_SI_JZNS1_25segmented_radix_sort_implINS0_14default_configELb0EPKfPfPKlPlN2at6native12_GLOBAL__N_18offset_tEEE10hipError_tPvRmT1_PNSt15iterator_traitsIS12_E10value_typeET2_T3_PNS13_IS18_E10value_typeET4_jRbjT5_S1E_jjP12ihipStream_tbEUljE_ZNSN_ISO_Lb0ESQ_SR_ST_SU_SY_EESZ_S10_S11_S12_S16_S17_S18_S1B_S1C_jS1D_jS1E_S1E_jjS1G_bEUljE0_EEESZ_S10_S11_S18_S1C_S1E_T6_T7_T9_mT8_S1G_bDpT10_ENKUlT_T0_E_clISt17integral_constantIbLb0EES1U_EEDaS1P_S1Q_EUlS1P_E_NS1_11comp_targetILNS1_3genE0ELNS1_11target_archE4294967295ELNS1_3gpuE0ELNS1_3repE0EEENS1_30default_config_static_selectorELNS0_4arch9wavefront6targetE0EEEvS12_.has_dyn_sized_stack, 0
	.set _ZN7rocprim17ROCPRIM_400000_NS6detail17trampoline_kernelINS0_13select_configILj256ELj13ELNS0_17block_load_methodE3ELS4_3ELS4_3ELNS0_20block_scan_algorithmE0ELj4294967295EEENS1_25partition_config_selectorILNS1_17partition_subalgoE4EjNS0_10empty_typeEbEEZZNS1_14partition_implILS8_4ELb0ES6_15HIP_vector_typeIjLj2EENS0_17counting_iteratorIjlEEPS9_SG_NS0_5tupleIJPjSI_NS0_16reverse_iteratorISI_EEEEENSH_IJSG_SG_SG_EEES9_SI_JZNS1_25segmented_radix_sort_implINS0_14default_configELb0EPKfPfPKlPlN2at6native12_GLOBAL__N_18offset_tEEE10hipError_tPvRmT1_PNSt15iterator_traitsIS12_E10value_typeET2_T3_PNS13_IS18_E10value_typeET4_jRbjT5_S1E_jjP12ihipStream_tbEUljE_ZNSN_ISO_Lb0ESQ_SR_ST_SU_SY_EESZ_S10_S11_S12_S16_S17_S18_S1B_S1C_jS1D_jS1E_S1E_jjS1G_bEUljE0_EEESZ_S10_S11_S18_S1C_S1E_T6_T7_T9_mT8_S1G_bDpT10_ENKUlT_T0_E_clISt17integral_constantIbLb0EES1U_EEDaS1P_S1Q_EUlS1P_E_NS1_11comp_targetILNS1_3genE0ELNS1_11target_archE4294967295ELNS1_3gpuE0ELNS1_3repE0EEENS1_30default_config_static_selectorELNS0_4arch9wavefront6targetE0EEEvS12_.has_recursion, 0
	.set _ZN7rocprim17ROCPRIM_400000_NS6detail17trampoline_kernelINS0_13select_configILj256ELj13ELNS0_17block_load_methodE3ELS4_3ELS4_3ELNS0_20block_scan_algorithmE0ELj4294967295EEENS1_25partition_config_selectorILNS1_17partition_subalgoE4EjNS0_10empty_typeEbEEZZNS1_14partition_implILS8_4ELb0ES6_15HIP_vector_typeIjLj2EENS0_17counting_iteratorIjlEEPS9_SG_NS0_5tupleIJPjSI_NS0_16reverse_iteratorISI_EEEEENSH_IJSG_SG_SG_EEES9_SI_JZNS1_25segmented_radix_sort_implINS0_14default_configELb0EPKfPfPKlPlN2at6native12_GLOBAL__N_18offset_tEEE10hipError_tPvRmT1_PNSt15iterator_traitsIS12_E10value_typeET2_T3_PNS13_IS18_E10value_typeET4_jRbjT5_S1E_jjP12ihipStream_tbEUljE_ZNSN_ISO_Lb0ESQ_SR_ST_SU_SY_EESZ_S10_S11_S12_S16_S17_S18_S1B_S1C_jS1D_jS1E_S1E_jjS1G_bEUljE0_EEESZ_S10_S11_S18_S1C_S1E_T6_T7_T9_mT8_S1G_bDpT10_ENKUlT_T0_E_clISt17integral_constantIbLb0EES1U_EEDaS1P_S1Q_EUlS1P_E_NS1_11comp_targetILNS1_3genE0ELNS1_11target_archE4294967295ELNS1_3gpuE0ELNS1_3repE0EEENS1_30default_config_static_selectorELNS0_4arch9wavefront6targetE0EEEvS12_.has_indirect_call, 0
	.section	.AMDGPU.csdata,"",@progbits
; Kernel info:
; codeLenInByte = 0
; TotalNumSgprs: 0
; NumVgprs: 0
; ScratchSize: 0
; MemoryBound: 0
; FloatMode: 240
; IeeeMode: 1
; LDSByteSize: 0 bytes/workgroup (compile time only)
; SGPRBlocks: 0
; VGPRBlocks: 0
; NumSGPRsForWavesPerEU: 1
; NumVGPRsForWavesPerEU: 1
; Occupancy: 16
; WaveLimiterHint : 0
; COMPUTE_PGM_RSRC2:SCRATCH_EN: 0
; COMPUTE_PGM_RSRC2:USER_SGPR: 2
; COMPUTE_PGM_RSRC2:TRAP_HANDLER: 0
; COMPUTE_PGM_RSRC2:TGID_X_EN: 1
; COMPUTE_PGM_RSRC2:TGID_Y_EN: 0
; COMPUTE_PGM_RSRC2:TGID_Z_EN: 0
; COMPUTE_PGM_RSRC2:TIDIG_COMP_CNT: 0
	.section	.text._ZN7rocprim17ROCPRIM_400000_NS6detail17trampoline_kernelINS0_13select_configILj256ELj13ELNS0_17block_load_methodE3ELS4_3ELS4_3ELNS0_20block_scan_algorithmE0ELj4294967295EEENS1_25partition_config_selectorILNS1_17partition_subalgoE4EjNS0_10empty_typeEbEEZZNS1_14partition_implILS8_4ELb0ES6_15HIP_vector_typeIjLj2EENS0_17counting_iteratorIjlEEPS9_SG_NS0_5tupleIJPjSI_NS0_16reverse_iteratorISI_EEEEENSH_IJSG_SG_SG_EEES9_SI_JZNS1_25segmented_radix_sort_implINS0_14default_configELb0EPKfPfPKlPlN2at6native12_GLOBAL__N_18offset_tEEE10hipError_tPvRmT1_PNSt15iterator_traitsIS12_E10value_typeET2_T3_PNS13_IS18_E10value_typeET4_jRbjT5_S1E_jjP12ihipStream_tbEUljE_ZNSN_ISO_Lb0ESQ_SR_ST_SU_SY_EESZ_S10_S11_S12_S16_S17_S18_S1B_S1C_jS1D_jS1E_S1E_jjS1G_bEUljE0_EEESZ_S10_S11_S18_S1C_S1E_T6_T7_T9_mT8_S1G_bDpT10_ENKUlT_T0_E_clISt17integral_constantIbLb0EES1U_EEDaS1P_S1Q_EUlS1P_E_NS1_11comp_targetILNS1_3genE5ELNS1_11target_archE942ELNS1_3gpuE9ELNS1_3repE0EEENS1_30default_config_static_selectorELNS0_4arch9wavefront6targetE0EEEvS12_,"axG",@progbits,_ZN7rocprim17ROCPRIM_400000_NS6detail17trampoline_kernelINS0_13select_configILj256ELj13ELNS0_17block_load_methodE3ELS4_3ELS4_3ELNS0_20block_scan_algorithmE0ELj4294967295EEENS1_25partition_config_selectorILNS1_17partition_subalgoE4EjNS0_10empty_typeEbEEZZNS1_14partition_implILS8_4ELb0ES6_15HIP_vector_typeIjLj2EENS0_17counting_iteratorIjlEEPS9_SG_NS0_5tupleIJPjSI_NS0_16reverse_iteratorISI_EEEEENSH_IJSG_SG_SG_EEES9_SI_JZNS1_25segmented_radix_sort_implINS0_14default_configELb0EPKfPfPKlPlN2at6native12_GLOBAL__N_18offset_tEEE10hipError_tPvRmT1_PNSt15iterator_traitsIS12_E10value_typeET2_T3_PNS13_IS18_E10value_typeET4_jRbjT5_S1E_jjP12ihipStream_tbEUljE_ZNSN_ISO_Lb0ESQ_SR_ST_SU_SY_EESZ_S10_S11_S12_S16_S17_S18_S1B_S1C_jS1D_jS1E_S1E_jjS1G_bEUljE0_EEESZ_S10_S11_S18_S1C_S1E_T6_T7_T9_mT8_S1G_bDpT10_ENKUlT_T0_E_clISt17integral_constantIbLb0EES1U_EEDaS1P_S1Q_EUlS1P_E_NS1_11comp_targetILNS1_3genE5ELNS1_11target_archE942ELNS1_3gpuE9ELNS1_3repE0EEENS1_30default_config_static_selectorELNS0_4arch9wavefront6targetE0EEEvS12_,comdat
	.globl	_ZN7rocprim17ROCPRIM_400000_NS6detail17trampoline_kernelINS0_13select_configILj256ELj13ELNS0_17block_load_methodE3ELS4_3ELS4_3ELNS0_20block_scan_algorithmE0ELj4294967295EEENS1_25partition_config_selectorILNS1_17partition_subalgoE4EjNS0_10empty_typeEbEEZZNS1_14partition_implILS8_4ELb0ES6_15HIP_vector_typeIjLj2EENS0_17counting_iteratorIjlEEPS9_SG_NS0_5tupleIJPjSI_NS0_16reverse_iteratorISI_EEEEENSH_IJSG_SG_SG_EEES9_SI_JZNS1_25segmented_radix_sort_implINS0_14default_configELb0EPKfPfPKlPlN2at6native12_GLOBAL__N_18offset_tEEE10hipError_tPvRmT1_PNSt15iterator_traitsIS12_E10value_typeET2_T3_PNS13_IS18_E10value_typeET4_jRbjT5_S1E_jjP12ihipStream_tbEUljE_ZNSN_ISO_Lb0ESQ_SR_ST_SU_SY_EESZ_S10_S11_S12_S16_S17_S18_S1B_S1C_jS1D_jS1E_S1E_jjS1G_bEUljE0_EEESZ_S10_S11_S18_S1C_S1E_T6_T7_T9_mT8_S1G_bDpT10_ENKUlT_T0_E_clISt17integral_constantIbLb0EES1U_EEDaS1P_S1Q_EUlS1P_E_NS1_11comp_targetILNS1_3genE5ELNS1_11target_archE942ELNS1_3gpuE9ELNS1_3repE0EEENS1_30default_config_static_selectorELNS0_4arch9wavefront6targetE0EEEvS12_ ; -- Begin function _ZN7rocprim17ROCPRIM_400000_NS6detail17trampoline_kernelINS0_13select_configILj256ELj13ELNS0_17block_load_methodE3ELS4_3ELS4_3ELNS0_20block_scan_algorithmE0ELj4294967295EEENS1_25partition_config_selectorILNS1_17partition_subalgoE4EjNS0_10empty_typeEbEEZZNS1_14partition_implILS8_4ELb0ES6_15HIP_vector_typeIjLj2EENS0_17counting_iteratorIjlEEPS9_SG_NS0_5tupleIJPjSI_NS0_16reverse_iteratorISI_EEEEENSH_IJSG_SG_SG_EEES9_SI_JZNS1_25segmented_radix_sort_implINS0_14default_configELb0EPKfPfPKlPlN2at6native12_GLOBAL__N_18offset_tEEE10hipError_tPvRmT1_PNSt15iterator_traitsIS12_E10value_typeET2_T3_PNS13_IS18_E10value_typeET4_jRbjT5_S1E_jjP12ihipStream_tbEUljE_ZNSN_ISO_Lb0ESQ_SR_ST_SU_SY_EESZ_S10_S11_S12_S16_S17_S18_S1B_S1C_jS1D_jS1E_S1E_jjS1G_bEUljE0_EEESZ_S10_S11_S18_S1C_S1E_T6_T7_T9_mT8_S1G_bDpT10_ENKUlT_T0_E_clISt17integral_constantIbLb0EES1U_EEDaS1P_S1Q_EUlS1P_E_NS1_11comp_targetILNS1_3genE5ELNS1_11target_archE942ELNS1_3gpuE9ELNS1_3repE0EEENS1_30default_config_static_selectorELNS0_4arch9wavefront6targetE0EEEvS12_
	.p2align	8
	.type	_ZN7rocprim17ROCPRIM_400000_NS6detail17trampoline_kernelINS0_13select_configILj256ELj13ELNS0_17block_load_methodE3ELS4_3ELS4_3ELNS0_20block_scan_algorithmE0ELj4294967295EEENS1_25partition_config_selectorILNS1_17partition_subalgoE4EjNS0_10empty_typeEbEEZZNS1_14partition_implILS8_4ELb0ES6_15HIP_vector_typeIjLj2EENS0_17counting_iteratorIjlEEPS9_SG_NS0_5tupleIJPjSI_NS0_16reverse_iteratorISI_EEEEENSH_IJSG_SG_SG_EEES9_SI_JZNS1_25segmented_radix_sort_implINS0_14default_configELb0EPKfPfPKlPlN2at6native12_GLOBAL__N_18offset_tEEE10hipError_tPvRmT1_PNSt15iterator_traitsIS12_E10value_typeET2_T3_PNS13_IS18_E10value_typeET4_jRbjT5_S1E_jjP12ihipStream_tbEUljE_ZNSN_ISO_Lb0ESQ_SR_ST_SU_SY_EESZ_S10_S11_S12_S16_S17_S18_S1B_S1C_jS1D_jS1E_S1E_jjS1G_bEUljE0_EEESZ_S10_S11_S18_S1C_S1E_T6_T7_T9_mT8_S1G_bDpT10_ENKUlT_T0_E_clISt17integral_constantIbLb0EES1U_EEDaS1P_S1Q_EUlS1P_E_NS1_11comp_targetILNS1_3genE5ELNS1_11target_archE942ELNS1_3gpuE9ELNS1_3repE0EEENS1_30default_config_static_selectorELNS0_4arch9wavefront6targetE0EEEvS12_,@function
_ZN7rocprim17ROCPRIM_400000_NS6detail17trampoline_kernelINS0_13select_configILj256ELj13ELNS0_17block_load_methodE3ELS4_3ELS4_3ELNS0_20block_scan_algorithmE0ELj4294967295EEENS1_25partition_config_selectorILNS1_17partition_subalgoE4EjNS0_10empty_typeEbEEZZNS1_14partition_implILS8_4ELb0ES6_15HIP_vector_typeIjLj2EENS0_17counting_iteratorIjlEEPS9_SG_NS0_5tupleIJPjSI_NS0_16reverse_iteratorISI_EEEEENSH_IJSG_SG_SG_EEES9_SI_JZNS1_25segmented_radix_sort_implINS0_14default_configELb0EPKfPfPKlPlN2at6native12_GLOBAL__N_18offset_tEEE10hipError_tPvRmT1_PNSt15iterator_traitsIS12_E10value_typeET2_T3_PNS13_IS18_E10value_typeET4_jRbjT5_S1E_jjP12ihipStream_tbEUljE_ZNSN_ISO_Lb0ESQ_SR_ST_SU_SY_EESZ_S10_S11_S12_S16_S17_S18_S1B_S1C_jS1D_jS1E_S1E_jjS1G_bEUljE0_EEESZ_S10_S11_S18_S1C_S1E_T6_T7_T9_mT8_S1G_bDpT10_ENKUlT_T0_E_clISt17integral_constantIbLb0EES1U_EEDaS1P_S1Q_EUlS1P_E_NS1_11comp_targetILNS1_3genE5ELNS1_11target_archE942ELNS1_3gpuE9ELNS1_3repE0EEENS1_30default_config_static_selectorELNS0_4arch9wavefront6targetE0EEEvS12_: ; @_ZN7rocprim17ROCPRIM_400000_NS6detail17trampoline_kernelINS0_13select_configILj256ELj13ELNS0_17block_load_methodE3ELS4_3ELS4_3ELNS0_20block_scan_algorithmE0ELj4294967295EEENS1_25partition_config_selectorILNS1_17partition_subalgoE4EjNS0_10empty_typeEbEEZZNS1_14partition_implILS8_4ELb0ES6_15HIP_vector_typeIjLj2EENS0_17counting_iteratorIjlEEPS9_SG_NS0_5tupleIJPjSI_NS0_16reverse_iteratorISI_EEEEENSH_IJSG_SG_SG_EEES9_SI_JZNS1_25segmented_radix_sort_implINS0_14default_configELb0EPKfPfPKlPlN2at6native12_GLOBAL__N_18offset_tEEE10hipError_tPvRmT1_PNSt15iterator_traitsIS12_E10value_typeET2_T3_PNS13_IS18_E10value_typeET4_jRbjT5_S1E_jjP12ihipStream_tbEUljE_ZNSN_ISO_Lb0ESQ_SR_ST_SU_SY_EESZ_S10_S11_S12_S16_S17_S18_S1B_S1C_jS1D_jS1E_S1E_jjS1G_bEUljE0_EEESZ_S10_S11_S18_S1C_S1E_T6_T7_T9_mT8_S1G_bDpT10_ENKUlT_T0_E_clISt17integral_constantIbLb0EES1U_EEDaS1P_S1Q_EUlS1P_E_NS1_11comp_targetILNS1_3genE5ELNS1_11target_archE942ELNS1_3gpuE9ELNS1_3repE0EEENS1_30default_config_static_selectorELNS0_4arch9wavefront6targetE0EEEvS12_
; %bb.0:
	.section	.rodata,"a",@progbits
	.p2align	6, 0x0
	.amdhsa_kernel _ZN7rocprim17ROCPRIM_400000_NS6detail17trampoline_kernelINS0_13select_configILj256ELj13ELNS0_17block_load_methodE3ELS4_3ELS4_3ELNS0_20block_scan_algorithmE0ELj4294967295EEENS1_25partition_config_selectorILNS1_17partition_subalgoE4EjNS0_10empty_typeEbEEZZNS1_14partition_implILS8_4ELb0ES6_15HIP_vector_typeIjLj2EENS0_17counting_iteratorIjlEEPS9_SG_NS0_5tupleIJPjSI_NS0_16reverse_iteratorISI_EEEEENSH_IJSG_SG_SG_EEES9_SI_JZNS1_25segmented_radix_sort_implINS0_14default_configELb0EPKfPfPKlPlN2at6native12_GLOBAL__N_18offset_tEEE10hipError_tPvRmT1_PNSt15iterator_traitsIS12_E10value_typeET2_T3_PNS13_IS18_E10value_typeET4_jRbjT5_S1E_jjP12ihipStream_tbEUljE_ZNSN_ISO_Lb0ESQ_SR_ST_SU_SY_EESZ_S10_S11_S12_S16_S17_S18_S1B_S1C_jS1D_jS1E_S1E_jjS1G_bEUljE0_EEESZ_S10_S11_S18_S1C_S1E_T6_T7_T9_mT8_S1G_bDpT10_ENKUlT_T0_E_clISt17integral_constantIbLb0EES1U_EEDaS1P_S1Q_EUlS1P_E_NS1_11comp_targetILNS1_3genE5ELNS1_11target_archE942ELNS1_3gpuE9ELNS1_3repE0EEENS1_30default_config_static_selectorELNS0_4arch9wavefront6targetE0EEEvS12_
		.amdhsa_group_segment_fixed_size 0
		.amdhsa_private_segment_fixed_size 0
		.amdhsa_kernarg_size 176
		.amdhsa_user_sgpr_count 2
		.amdhsa_user_sgpr_dispatch_ptr 0
		.amdhsa_user_sgpr_queue_ptr 0
		.amdhsa_user_sgpr_kernarg_segment_ptr 1
		.amdhsa_user_sgpr_dispatch_id 0
		.amdhsa_user_sgpr_private_segment_size 0
		.amdhsa_wavefront_size32 1
		.amdhsa_uses_dynamic_stack 0
		.amdhsa_enable_private_segment 0
		.amdhsa_system_sgpr_workgroup_id_x 1
		.amdhsa_system_sgpr_workgroup_id_y 0
		.amdhsa_system_sgpr_workgroup_id_z 0
		.amdhsa_system_sgpr_workgroup_info 0
		.amdhsa_system_vgpr_workitem_id 0
		.amdhsa_next_free_vgpr 1
		.amdhsa_next_free_sgpr 1
		.amdhsa_reserve_vcc 0
		.amdhsa_float_round_mode_32 0
		.amdhsa_float_round_mode_16_64 0
		.amdhsa_float_denorm_mode_32 3
		.amdhsa_float_denorm_mode_16_64 3
		.amdhsa_fp16_overflow 0
		.amdhsa_workgroup_processor_mode 1
		.amdhsa_memory_ordered 1
		.amdhsa_forward_progress 1
		.amdhsa_inst_pref_size 0
		.amdhsa_round_robin_scheduling 0
		.amdhsa_exception_fp_ieee_invalid_op 0
		.amdhsa_exception_fp_denorm_src 0
		.amdhsa_exception_fp_ieee_div_zero 0
		.amdhsa_exception_fp_ieee_overflow 0
		.amdhsa_exception_fp_ieee_underflow 0
		.amdhsa_exception_fp_ieee_inexact 0
		.amdhsa_exception_int_div_zero 0
	.end_amdhsa_kernel
	.section	.text._ZN7rocprim17ROCPRIM_400000_NS6detail17trampoline_kernelINS0_13select_configILj256ELj13ELNS0_17block_load_methodE3ELS4_3ELS4_3ELNS0_20block_scan_algorithmE0ELj4294967295EEENS1_25partition_config_selectorILNS1_17partition_subalgoE4EjNS0_10empty_typeEbEEZZNS1_14partition_implILS8_4ELb0ES6_15HIP_vector_typeIjLj2EENS0_17counting_iteratorIjlEEPS9_SG_NS0_5tupleIJPjSI_NS0_16reverse_iteratorISI_EEEEENSH_IJSG_SG_SG_EEES9_SI_JZNS1_25segmented_radix_sort_implINS0_14default_configELb0EPKfPfPKlPlN2at6native12_GLOBAL__N_18offset_tEEE10hipError_tPvRmT1_PNSt15iterator_traitsIS12_E10value_typeET2_T3_PNS13_IS18_E10value_typeET4_jRbjT5_S1E_jjP12ihipStream_tbEUljE_ZNSN_ISO_Lb0ESQ_SR_ST_SU_SY_EESZ_S10_S11_S12_S16_S17_S18_S1B_S1C_jS1D_jS1E_S1E_jjS1G_bEUljE0_EEESZ_S10_S11_S18_S1C_S1E_T6_T7_T9_mT8_S1G_bDpT10_ENKUlT_T0_E_clISt17integral_constantIbLb0EES1U_EEDaS1P_S1Q_EUlS1P_E_NS1_11comp_targetILNS1_3genE5ELNS1_11target_archE942ELNS1_3gpuE9ELNS1_3repE0EEENS1_30default_config_static_selectorELNS0_4arch9wavefront6targetE0EEEvS12_,"axG",@progbits,_ZN7rocprim17ROCPRIM_400000_NS6detail17trampoline_kernelINS0_13select_configILj256ELj13ELNS0_17block_load_methodE3ELS4_3ELS4_3ELNS0_20block_scan_algorithmE0ELj4294967295EEENS1_25partition_config_selectorILNS1_17partition_subalgoE4EjNS0_10empty_typeEbEEZZNS1_14partition_implILS8_4ELb0ES6_15HIP_vector_typeIjLj2EENS0_17counting_iteratorIjlEEPS9_SG_NS0_5tupleIJPjSI_NS0_16reverse_iteratorISI_EEEEENSH_IJSG_SG_SG_EEES9_SI_JZNS1_25segmented_radix_sort_implINS0_14default_configELb0EPKfPfPKlPlN2at6native12_GLOBAL__N_18offset_tEEE10hipError_tPvRmT1_PNSt15iterator_traitsIS12_E10value_typeET2_T3_PNS13_IS18_E10value_typeET4_jRbjT5_S1E_jjP12ihipStream_tbEUljE_ZNSN_ISO_Lb0ESQ_SR_ST_SU_SY_EESZ_S10_S11_S12_S16_S17_S18_S1B_S1C_jS1D_jS1E_S1E_jjS1G_bEUljE0_EEESZ_S10_S11_S18_S1C_S1E_T6_T7_T9_mT8_S1G_bDpT10_ENKUlT_T0_E_clISt17integral_constantIbLb0EES1U_EEDaS1P_S1Q_EUlS1P_E_NS1_11comp_targetILNS1_3genE5ELNS1_11target_archE942ELNS1_3gpuE9ELNS1_3repE0EEENS1_30default_config_static_selectorELNS0_4arch9wavefront6targetE0EEEvS12_,comdat
.Lfunc_end1365:
	.size	_ZN7rocprim17ROCPRIM_400000_NS6detail17trampoline_kernelINS0_13select_configILj256ELj13ELNS0_17block_load_methodE3ELS4_3ELS4_3ELNS0_20block_scan_algorithmE0ELj4294967295EEENS1_25partition_config_selectorILNS1_17partition_subalgoE4EjNS0_10empty_typeEbEEZZNS1_14partition_implILS8_4ELb0ES6_15HIP_vector_typeIjLj2EENS0_17counting_iteratorIjlEEPS9_SG_NS0_5tupleIJPjSI_NS0_16reverse_iteratorISI_EEEEENSH_IJSG_SG_SG_EEES9_SI_JZNS1_25segmented_radix_sort_implINS0_14default_configELb0EPKfPfPKlPlN2at6native12_GLOBAL__N_18offset_tEEE10hipError_tPvRmT1_PNSt15iterator_traitsIS12_E10value_typeET2_T3_PNS13_IS18_E10value_typeET4_jRbjT5_S1E_jjP12ihipStream_tbEUljE_ZNSN_ISO_Lb0ESQ_SR_ST_SU_SY_EESZ_S10_S11_S12_S16_S17_S18_S1B_S1C_jS1D_jS1E_S1E_jjS1G_bEUljE0_EEESZ_S10_S11_S18_S1C_S1E_T6_T7_T9_mT8_S1G_bDpT10_ENKUlT_T0_E_clISt17integral_constantIbLb0EES1U_EEDaS1P_S1Q_EUlS1P_E_NS1_11comp_targetILNS1_3genE5ELNS1_11target_archE942ELNS1_3gpuE9ELNS1_3repE0EEENS1_30default_config_static_selectorELNS0_4arch9wavefront6targetE0EEEvS12_, .Lfunc_end1365-_ZN7rocprim17ROCPRIM_400000_NS6detail17trampoline_kernelINS0_13select_configILj256ELj13ELNS0_17block_load_methodE3ELS4_3ELS4_3ELNS0_20block_scan_algorithmE0ELj4294967295EEENS1_25partition_config_selectorILNS1_17partition_subalgoE4EjNS0_10empty_typeEbEEZZNS1_14partition_implILS8_4ELb0ES6_15HIP_vector_typeIjLj2EENS0_17counting_iteratorIjlEEPS9_SG_NS0_5tupleIJPjSI_NS0_16reverse_iteratorISI_EEEEENSH_IJSG_SG_SG_EEES9_SI_JZNS1_25segmented_radix_sort_implINS0_14default_configELb0EPKfPfPKlPlN2at6native12_GLOBAL__N_18offset_tEEE10hipError_tPvRmT1_PNSt15iterator_traitsIS12_E10value_typeET2_T3_PNS13_IS18_E10value_typeET4_jRbjT5_S1E_jjP12ihipStream_tbEUljE_ZNSN_ISO_Lb0ESQ_SR_ST_SU_SY_EESZ_S10_S11_S12_S16_S17_S18_S1B_S1C_jS1D_jS1E_S1E_jjS1G_bEUljE0_EEESZ_S10_S11_S18_S1C_S1E_T6_T7_T9_mT8_S1G_bDpT10_ENKUlT_T0_E_clISt17integral_constantIbLb0EES1U_EEDaS1P_S1Q_EUlS1P_E_NS1_11comp_targetILNS1_3genE5ELNS1_11target_archE942ELNS1_3gpuE9ELNS1_3repE0EEENS1_30default_config_static_selectorELNS0_4arch9wavefront6targetE0EEEvS12_
                                        ; -- End function
	.set _ZN7rocprim17ROCPRIM_400000_NS6detail17trampoline_kernelINS0_13select_configILj256ELj13ELNS0_17block_load_methodE3ELS4_3ELS4_3ELNS0_20block_scan_algorithmE0ELj4294967295EEENS1_25partition_config_selectorILNS1_17partition_subalgoE4EjNS0_10empty_typeEbEEZZNS1_14partition_implILS8_4ELb0ES6_15HIP_vector_typeIjLj2EENS0_17counting_iteratorIjlEEPS9_SG_NS0_5tupleIJPjSI_NS0_16reverse_iteratorISI_EEEEENSH_IJSG_SG_SG_EEES9_SI_JZNS1_25segmented_radix_sort_implINS0_14default_configELb0EPKfPfPKlPlN2at6native12_GLOBAL__N_18offset_tEEE10hipError_tPvRmT1_PNSt15iterator_traitsIS12_E10value_typeET2_T3_PNS13_IS18_E10value_typeET4_jRbjT5_S1E_jjP12ihipStream_tbEUljE_ZNSN_ISO_Lb0ESQ_SR_ST_SU_SY_EESZ_S10_S11_S12_S16_S17_S18_S1B_S1C_jS1D_jS1E_S1E_jjS1G_bEUljE0_EEESZ_S10_S11_S18_S1C_S1E_T6_T7_T9_mT8_S1G_bDpT10_ENKUlT_T0_E_clISt17integral_constantIbLb0EES1U_EEDaS1P_S1Q_EUlS1P_E_NS1_11comp_targetILNS1_3genE5ELNS1_11target_archE942ELNS1_3gpuE9ELNS1_3repE0EEENS1_30default_config_static_selectorELNS0_4arch9wavefront6targetE0EEEvS12_.num_vgpr, 0
	.set _ZN7rocprim17ROCPRIM_400000_NS6detail17trampoline_kernelINS0_13select_configILj256ELj13ELNS0_17block_load_methodE3ELS4_3ELS4_3ELNS0_20block_scan_algorithmE0ELj4294967295EEENS1_25partition_config_selectorILNS1_17partition_subalgoE4EjNS0_10empty_typeEbEEZZNS1_14partition_implILS8_4ELb0ES6_15HIP_vector_typeIjLj2EENS0_17counting_iteratorIjlEEPS9_SG_NS0_5tupleIJPjSI_NS0_16reverse_iteratorISI_EEEEENSH_IJSG_SG_SG_EEES9_SI_JZNS1_25segmented_radix_sort_implINS0_14default_configELb0EPKfPfPKlPlN2at6native12_GLOBAL__N_18offset_tEEE10hipError_tPvRmT1_PNSt15iterator_traitsIS12_E10value_typeET2_T3_PNS13_IS18_E10value_typeET4_jRbjT5_S1E_jjP12ihipStream_tbEUljE_ZNSN_ISO_Lb0ESQ_SR_ST_SU_SY_EESZ_S10_S11_S12_S16_S17_S18_S1B_S1C_jS1D_jS1E_S1E_jjS1G_bEUljE0_EEESZ_S10_S11_S18_S1C_S1E_T6_T7_T9_mT8_S1G_bDpT10_ENKUlT_T0_E_clISt17integral_constantIbLb0EES1U_EEDaS1P_S1Q_EUlS1P_E_NS1_11comp_targetILNS1_3genE5ELNS1_11target_archE942ELNS1_3gpuE9ELNS1_3repE0EEENS1_30default_config_static_selectorELNS0_4arch9wavefront6targetE0EEEvS12_.num_agpr, 0
	.set _ZN7rocprim17ROCPRIM_400000_NS6detail17trampoline_kernelINS0_13select_configILj256ELj13ELNS0_17block_load_methodE3ELS4_3ELS4_3ELNS0_20block_scan_algorithmE0ELj4294967295EEENS1_25partition_config_selectorILNS1_17partition_subalgoE4EjNS0_10empty_typeEbEEZZNS1_14partition_implILS8_4ELb0ES6_15HIP_vector_typeIjLj2EENS0_17counting_iteratorIjlEEPS9_SG_NS0_5tupleIJPjSI_NS0_16reverse_iteratorISI_EEEEENSH_IJSG_SG_SG_EEES9_SI_JZNS1_25segmented_radix_sort_implINS0_14default_configELb0EPKfPfPKlPlN2at6native12_GLOBAL__N_18offset_tEEE10hipError_tPvRmT1_PNSt15iterator_traitsIS12_E10value_typeET2_T3_PNS13_IS18_E10value_typeET4_jRbjT5_S1E_jjP12ihipStream_tbEUljE_ZNSN_ISO_Lb0ESQ_SR_ST_SU_SY_EESZ_S10_S11_S12_S16_S17_S18_S1B_S1C_jS1D_jS1E_S1E_jjS1G_bEUljE0_EEESZ_S10_S11_S18_S1C_S1E_T6_T7_T9_mT8_S1G_bDpT10_ENKUlT_T0_E_clISt17integral_constantIbLb0EES1U_EEDaS1P_S1Q_EUlS1P_E_NS1_11comp_targetILNS1_3genE5ELNS1_11target_archE942ELNS1_3gpuE9ELNS1_3repE0EEENS1_30default_config_static_selectorELNS0_4arch9wavefront6targetE0EEEvS12_.numbered_sgpr, 0
	.set _ZN7rocprim17ROCPRIM_400000_NS6detail17trampoline_kernelINS0_13select_configILj256ELj13ELNS0_17block_load_methodE3ELS4_3ELS4_3ELNS0_20block_scan_algorithmE0ELj4294967295EEENS1_25partition_config_selectorILNS1_17partition_subalgoE4EjNS0_10empty_typeEbEEZZNS1_14partition_implILS8_4ELb0ES6_15HIP_vector_typeIjLj2EENS0_17counting_iteratorIjlEEPS9_SG_NS0_5tupleIJPjSI_NS0_16reverse_iteratorISI_EEEEENSH_IJSG_SG_SG_EEES9_SI_JZNS1_25segmented_radix_sort_implINS0_14default_configELb0EPKfPfPKlPlN2at6native12_GLOBAL__N_18offset_tEEE10hipError_tPvRmT1_PNSt15iterator_traitsIS12_E10value_typeET2_T3_PNS13_IS18_E10value_typeET4_jRbjT5_S1E_jjP12ihipStream_tbEUljE_ZNSN_ISO_Lb0ESQ_SR_ST_SU_SY_EESZ_S10_S11_S12_S16_S17_S18_S1B_S1C_jS1D_jS1E_S1E_jjS1G_bEUljE0_EEESZ_S10_S11_S18_S1C_S1E_T6_T7_T9_mT8_S1G_bDpT10_ENKUlT_T0_E_clISt17integral_constantIbLb0EES1U_EEDaS1P_S1Q_EUlS1P_E_NS1_11comp_targetILNS1_3genE5ELNS1_11target_archE942ELNS1_3gpuE9ELNS1_3repE0EEENS1_30default_config_static_selectorELNS0_4arch9wavefront6targetE0EEEvS12_.num_named_barrier, 0
	.set _ZN7rocprim17ROCPRIM_400000_NS6detail17trampoline_kernelINS0_13select_configILj256ELj13ELNS0_17block_load_methodE3ELS4_3ELS4_3ELNS0_20block_scan_algorithmE0ELj4294967295EEENS1_25partition_config_selectorILNS1_17partition_subalgoE4EjNS0_10empty_typeEbEEZZNS1_14partition_implILS8_4ELb0ES6_15HIP_vector_typeIjLj2EENS0_17counting_iteratorIjlEEPS9_SG_NS0_5tupleIJPjSI_NS0_16reverse_iteratorISI_EEEEENSH_IJSG_SG_SG_EEES9_SI_JZNS1_25segmented_radix_sort_implINS0_14default_configELb0EPKfPfPKlPlN2at6native12_GLOBAL__N_18offset_tEEE10hipError_tPvRmT1_PNSt15iterator_traitsIS12_E10value_typeET2_T3_PNS13_IS18_E10value_typeET4_jRbjT5_S1E_jjP12ihipStream_tbEUljE_ZNSN_ISO_Lb0ESQ_SR_ST_SU_SY_EESZ_S10_S11_S12_S16_S17_S18_S1B_S1C_jS1D_jS1E_S1E_jjS1G_bEUljE0_EEESZ_S10_S11_S18_S1C_S1E_T6_T7_T9_mT8_S1G_bDpT10_ENKUlT_T0_E_clISt17integral_constantIbLb0EES1U_EEDaS1P_S1Q_EUlS1P_E_NS1_11comp_targetILNS1_3genE5ELNS1_11target_archE942ELNS1_3gpuE9ELNS1_3repE0EEENS1_30default_config_static_selectorELNS0_4arch9wavefront6targetE0EEEvS12_.private_seg_size, 0
	.set _ZN7rocprim17ROCPRIM_400000_NS6detail17trampoline_kernelINS0_13select_configILj256ELj13ELNS0_17block_load_methodE3ELS4_3ELS4_3ELNS0_20block_scan_algorithmE0ELj4294967295EEENS1_25partition_config_selectorILNS1_17partition_subalgoE4EjNS0_10empty_typeEbEEZZNS1_14partition_implILS8_4ELb0ES6_15HIP_vector_typeIjLj2EENS0_17counting_iteratorIjlEEPS9_SG_NS0_5tupleIJPjSI_NS0_16reverse_iteratorISI_EEEEENSH_IJSG_SG_SG_EEES9_SI_JZNS1_25segmented_radix_sort_implINS0_14default_configELb0EPKfPfPKlPlN2at6native12_GLOBAL__N_18offset_tEEE10hipError_tPvRmT1_PNSt15iterator_traitsIS12_E10value_typeET2_T3_PNS13_IS18_E10value_typeET4_jRbjT5_S1E_jjP12ihipStream_tbEUljE_ZNSN_ISO_Lb0ESQ_SR_ST_SU_SY_EESZ_S10_S11_S12_S16_S17_S18_S1B_S1C_jS1D_jS1E_S1E_jjS1G_bEUljE0_EEESZ_S10_S11_S18_S1C_S1E_T6_T7_T9_mT8_S1G_bDpT10_ENKUlT_T0_E_clISt17integral_constantIbLb0EES1U_EEDaS1P_S1Q_EUlS1P_E_NS1_11comp_targetILNS1_3genE5ELNS1_11target_archE942ELNS1_3gpuE9ELNS1_3repE0EEENS1_30default_config_static_selectorELNS0_4arch9wavefront6targetE0EEEvS12_.uses_vcc, 0
	.set _ZN7rocprim17ROCPRIM_400000_NS6detail17trampoline_kernelINS0_13select_configILj256ELj13ELNS0_17block_load_methodE3ELS4_3ELS4_3ELNS0_20block_scan_algorithmE0ELj4294967295EEENS1_25partition_config_selectorILNS1_17partition_subalgoE4EjNS0_10empty_typeEbEEZZNS1_14partition_implILS8_4ELb0ES6_15HIP_vector_typeIjLj2EENS0_17counting_iteratorIjlEEPS9_SG_NS0_5tupleIJPjSI_NS0_16reverse_iteratorISI_EEEEENSH_IJSG_SG_SG_EEES9_SI_JZNS1_25segmented_radix_sort_implINS0_14default_configELb0EPKfPfPKlPlN2at6native12_GLOBAL__N_18offset_tEEE10hipError_tPvRmT1_PNSt15iterator_traitsIS12_E10value_typeET2_T3_PNS13_IS18_E10value_typeET4_jRbjT5_S1E_jjP12ihipStream_tbEUljE_ZNSN_ISO_Lb0ESQ_SR_ST_SU_SY_EESZ_S10_S11_S12_S16_S17_S18_S1B_S1C_jS1D_jS1E_S1E_jjS1G_bEUljE0_EEESZ_S10_S11_S18_S1C_S1E_T6_T7_T9_mT8_S1G_bDpT10_ENKUlT_T0_E_clISt17integral_constantIbLb0EES1U_EEDaS1P_S1Q_EUlS1P_E_NS1_11comp_targetILNS1_3genE5ELNS1_11target_archE942ELNS1_3gpuE9ELNS1_3repE0EEENS1_30default_config_static_selectorELNS0_4arch9wavefront6targetE0EEEvS12_.uses_flat_scratch, 0
	.set _ZN7rocprim17ROCPRIM_400000_NS6detail17trampoline_kernelINS0_13select_configILj256ELj13ELNS0_17block_load_methodE3ELS4_3ELS4_3ELNS0_20block_scan_algorithmE0ELj4294967295EEENS1_25partition_config_selectorILNS1_17partition_subalgoE4EjNS0_10empty_typeEbEEZZNS1_14partition_implILS8_4ELb0ES6_15HIP_vector_typeIjLj2EENS0_17counting_iteratorIjlEEPS9_SG_NS0_5tupleIJPjSI_NS0_16reverse_iteratorISI_EEEEENSH_IJSG_SG_SG_EEES9_SI_JZNS1_25segmented_radix_sort_implINS0_14default_configELb0EPKfPfPKlPlN2at6native12_GLOBAL__N_18offset_tEEE10hipError_tPvRmT1_PNSt15iterator_traitsIS12_E10value_typeET2_T3_PNS13_IS18_E10value_typeET4_jRbjT5_S1E_jjP12ihipStream_tbEUljE_ZNSN_ISO_Lb0ESQ_SR_ST_SU_SY_EESZ_S10_S11_S12_S16_S17_S18_S1B_S1C_jS1D_jS1E_S1E_jjS1G_bEUljE0_EEESZ_S10_S11_S18_S1C_S1E_T6_T7_T9_mT8_S1G_bDpT10_ENKUlT_T0_E_clISt17integral_constantIbLb0EES1U_EEDaS1P_S1Q_EUlS1P_E_NS1_11comp_targetILNS1_3genE5ELNS1_11target_archE942ELNS1_3gpuE9ELNS1_3repE0EEENS1_30default_config_static_selectorELNS0_4arch9wavefront6targetE0EEEvS12_.has_dyn_sized_stack, 0
	.set _ZN7rocprim17ROCPRIM_400000_NS6detail17trampoline_kernelINS0_13select_configILj256ELj13ELNS0_17block_load_methodE3ELS4_3ELS4_3ELNS0_20block_scan_algorithmE0ELj4294967295EEENS1_25partition_config_selectorILNS1_17partition_subalgoE4EjNS0_10empty_typeEbEEZZNS1_14partition_implILS8_4ELb0ES6_15HIP_vector_typeIjLj2EENS0_17counting_iteratorIjlEEPS9_SG_NS0_5tupleIJPjSI_NS0_16reverse_iteratorISI_EEEEENSH_IJSG_SG_SG_EEES9_SI_JZNS1_25segmented_radix_sort_implINS0_14default_configELb0EPKfPfPKlPlN2at6native12_GLOBAL__N_18offset_tEEE10hipError_tPvRmT1_PNSt15iterator_traitsIS12_E10value_typeET2_T3_PNS13_IS18_E10value_typeET4_jRbjT5_S1E_jjP12ihipStream_tbEUljE_ZNSN_ISO_Lb0ESQ_SR_ST_SU_SY_EESZ_S10_S11_S12_S16_S17_S18_S1B_S1C_jS1D_jS1E_S1E_jjS1G_bEUljE0_EEESZ_S10_S11_S18_S1C_S1E_T6_T7_T9_mT8_S1G_bDpT10_ENKUlT_T0_E_clISt17integral_constantIbLb0EES1U_EEDaS1P_S1Q_EUlS1P_E_NS1_11comp_targetILNS1_3genE5ELNS1_11target_archE942ELNS1_3gpuE9ELNS1_3repE0EEENS1_30default_config_static_selectorELNS0_4arch9wavefront6targetE0EEEvS12_.has_recursion, 0
	.set _ZN7rocprim17ROCPRIM_400000_NS6detail17trampoline_kernelINS0_13select_configILj256ELj13ELNS0_17block_load_methodE3ELS4_3ELS4_3ELNS0_20block_scan_algorithmE0ELj4294967295EEENS1_25partition_config_selectorILNS1_17partition_subalgoE4EjNS0_10empty_typeEbEEZZNS1_14partition_implILS8_4ELb0ES6_15HIP_vector_typeIjLj2EENS0_17counting_iteratorIjlEEPS9_SG_NS0_5tupleIJPjSI_NS0_16reverse_iteratorISI_EEEEENSH_IJSG_SG_SG_EEES9_SI_JZNS1_25segmented_radix_sort_implINS0_14default_configELb0EPKfPfPKlPlN2at6native12_GLOBAL__N_18offset_tEEE10hipError_tPvRmT1_PNSt15iterator_traitsIS12_E10value_typeET2_T3_PNS13_IS18_E10value_typeET4_jRbjT5_S1E_jjP12ihipStream_tbEUljE_ZNSN_ISO_Lb0ESQ_SR_ST_SU_SY_EESZ_S10_S11_S12_S16_S17_S18_S1B_S1C_jS1D_jS1E_S1E_jjS1G_bEUljE0_EEESZ_S10_S11_S18_S1C_S1E_T6_T7_T9_mT8_S1G_bDpT10_ENKUlT_T0_E_clISt17integral_constantIbLb0EES1U_EEDaS1P_S1Q_EUlS1P_E_NS1_11comp_targetILNS1_3genE5ELNS1_11target_archE942ELNS1_3gpuE9ELNS1_3repE0EEENS1_30default_config_static_selectorELNS0_4arch9wavefront6targetE0EEEvS12_.has_indirect_call, 0
	.section	.AMDGPU.csdata,"",@progbits
; Kernel info:
; codeLenInByte = 0
; TotalNumSgprs: 0
; NumVgprs: 0
; ScratchSize: 0
; MemoryBound: 0
; FloatMode: 240
; IeeeMode: 1
; LDSByteSize: 0 bytes/workgroup (compile time only)
; SGPRBlocks: 0
; VGPRBlocks: 0
; NumSGPRsForWavesPerEU: 1
; NumVGPRsForWavesPerEU: 1
; Occupancy: 16
; WaveLimiterHint : 0
; COMPUTE_PGM_RSRC2:SCRATCH_EN: 0
; COMPUTE_PGM_RSRC2:USER_SGPR: 2
; COMPUTE_PGM_RSRC2:TRAP_HANDLER: 0
; COMPUTE_PGM_RSRC2:TGID_X_EN: 1
; COMPUTE_PGM_RSRC2:TGID_Y_EN: 0
; COMPUTE_PGM_RSRC2:TGID_Z_EN: 0
; COMPUTE_PGM_RSRC2:TIDIG_COMP_CNT: 0
	.section	.text._ZN7rocprim17ROCPRIM_400000_NS6detail17trampoline_kernelINS0_13select_configILj256ELj13ELNS0_17block_load_methodE3ELS4_3ELS4_3ELNS0_20block_scan_algorithmE0ELj4294967295EEENS1_25partition_config_selectorILNS1_17partition_subalgoE4EjNS0_10empty_typeEbEEZZNS1_14partition_implILS8_4ELb0ES6_15HIP_vector_typeIjLj2EENS0_17counting_iteratorIjlEEPS9_SG_NS0_5tupleIJPjSI_NS0_16reverse_iteratorISI_EEEEENSH_IJSG_SG_SG_EEES9_SI_JZNS1_25segmented_radix_sort_implINS0_14default_configELb0EPKfPfPKlPlN2at6native12_GLOBAL__N_18offset_tEEE10hipError_tPvRmT1_PNSt15iterator_traitsIS12_E10value_typeET2_T3_PNS13_IS18_E10value_typeET4_jRbjT5_S1E_jjP12ihipStream_tbEUljE_ZNSN_ISO_Lb0ESQ_SR_ST_SU_SY_EESZ_S10_S11_S12_S16_S17_S18_S1B_S1C_jS1D_jS1E_S1E_jjS1G_bEUljE0_EEESZ_S10_S11_S18_S1C_S1E_T6_T7_T9_mT8_S1G_bDpT10_ENKUlT_T0_E_clISt17integral_constantIbLb0EES1U_EEDaS1P_S1Q_EUlS1P_E_NS1_11comp_targetILNS1_3genE4ELNS1_11target_archE910ELNS1_3gpuE8ELNS1_3repE0EEENS1_30default_config_static_selectorELNS0_4arch9wavefront6targetE0EEEvS12_,"axG",@progbits,_ZN7rocprim17ROCPRIM_400000_NS6detail17trampoline_kernelINS0_13select_configILj256ELj13ELNS0_17block_load_methodE3ELS4_3ELS4_3ELNS0_20block_scan_algorithmE0ELj4294967295EEENS1_25partition_config_selectorILNS1_17partition_subalgoE4EjNS0_10empty_typeEbEEZZNS1_14partition_implILS8_4ELb0ES6_15HIP_vector_typeIjLj2EENS0_17counting_iteratorIjlEEPS9_SG_NS0_5tupleIJPjSI_NS0_16reverse_iteratorISI_EEEEENSH_IJSG_SG_SG_EEES9_SI_JZNS1_25segmented_radix_sort_implINS0_14default_configELb0EPKfPfPKlPlN2at6native12_GLOBAL__N_18offset_tEEE10hipError_tPvRmT1_PNSt15iterator_traitsIS12_E10value_typeET2_T3_PNS13_IS18_E10value_typeET4_jRbjT5_S1E_jjP12ihipStream_tbEUljE_ZNSN_ISO_Lb0ESQ_SR_ST_SU_SY_EESZ_S10_S11_S12_S16_S17_S18_S1B_S1C_jS1D_jS1E_S1E_jjS1G_bEUljE0_EEESZ_S10_S11_S18_S1C_S1E_T6_T7_T9_mT8_S1G_bDpT10_ENKUlT_T0_E_clISt17integral_constantIbLb0EES1U_EEDaS1P_S1Q_EUlS1P_E_NS1_11comp_targetILNS1_3genE4ELNS1_11target_archE910ELNS1_3gpuE8ELNS1_3repE0EEENS1_30default_config_static_selectorELNS0_4arch9wavefront6targetE0EEEvS12_,comdat
	.globl	_ZN7rocprim17ROCPRIM_400000_NS6detail17trampoline_kernelINS0_13select_configILj256ELj13ELNS0_17block_load_methodE3ELS4_3ELS4_3ELNS0_20block_scan_algorithmE0ELj4294967295EEENS1_25partition_config_selectorILNS1_17partition_subalgoE4EjNS0_10empty_typeEbEEZZNS1_14partition_implILS8_4ELb0ES6_15HIP_vector_typeIjLj2EENS0_17counting_iteratorIjlEEPS9_SG_NS0_5tupleIJPjSI_NS0_16reverse_iteratorISI_EEEEENSH_IJSG_SG_SG_EEES9_SI_JZNS1_25segmented_radix_sort_implINS0_14default_configELb0EPKfPfPKlPlN2at6native12_GLOBAL__N_18offset_tEEE10hipError_tPvRmT1_PNSt15iterator_traitsIS12_E10value_typeET2_T3_PNS13_IS18_E10value_typeET4_jRbjT5_S1E_jjP12ihipStream_tbEUljE_ZNSN_ISO_Lb0ESQ_SR_ST_SU_SY_EESZ_S10_S11_S12_S16_S17_S18_S1B_S1C_jS1D_jS1E_S1E_jjS1G_bEUljE0_EEESZ_S10_S11_S18_S1C_S1E_T6_T7_T9_mT8_S1G_bDpT10_ENKUlT_T0_E_clISt17integral_constantIbLb0EES1U_EEDaS1P_S1Q_EUlS1P_E_NS1_11comp_targetILNS1_3genE4ELNS1_11target_archE910ELNS1_3gpuE8ELNS1_3repE0EEENS1_30default_config_static_selectorELNS0_4arch9wavefront6targetE0EEEvS12_ ; -- Begin function _ZN7rocprim17ROCPRIM_400000_NS6detail17trampoline_kernelINS0_13select_configILj256ELj13ELNS0_17block_load_methodE3ELS4_3ELS4_3ELNS0_20block_scan_algorithmE0ELj4294967295EEENS1_25partition_config_selectorILNS1_17partition_subalgoE4EjNS0_10empty_typeEbEEZZNS1_14partition_implILS8_4ELb0ES6_15HIP_vector_typeIjLj2EENS0_17counting_iteratorIjlEEPS9_SG_NS0_5tupleIJPjSI_NS0_16reverse_iteratorISI_EEEEENSH_IJSG_SG_SG_EEES9_SI_JZNS1_25segmented_radix_sort_implINS0_14default_configELb0EPKfPfPKlPlN2at6native12_GLOBAL__N_18offset_tEEE10hipError_tPvRmT1_PNSt15iterator_traitsIS12_E10value_typeET2_T3_PNS13_IS18_E10value_typeET4_jRbjT5_S1E_jjP12ihipStream_tbEUljE_ZNSN_ISO_Lb0ESQ_SR_ST_SU_SY_EESZ_S10_S11_S12_S16_S17_S18_S1B_S1C_jS1D_jS1E_S1E_jjS1G_bEUljE0_EEESZ_S10_S11_S18_S1C_S1E_T6_T7_T9_mT8_S1G_bDpT10_ENKUlT_T0_E_clISt17integral_constantIbLb0EES1U_EEDaS1P_S1Q_EUlS1P_E_NS1_11comp_targetILNS1_3genE4ELNS1_11target_archE910ELNS1_3gpuE8ELNS1_3repE0EEENS1_30default_config_static_selectorELNS0_4arch9wavefront6targetE0EEEvS12_
	.p2align	8
	.type	_ZN7rocprim17ROCPRIM_400000_NS6detail17trampoline_kernelINS0_13select_configILj256ELj13ELNS0_17block_load_methodE3ELS4_3ELS4_3ELNS0_20block_scan_algorithmE0ELj4294967295EEENS1_25partition_config_selectorILNS1_17partition_subalgoE4EjNS0_10empty_typeEbEEZZNS1_14partition_implILS8_4ELb0ES6_15HIP_vector_typeIjLj2EENS0_17counting_iteratorIjlEEPS9_SG_NS0_5tupleIJPjSI_NS0_16reverse_iteratorISI_EEEEENSH_IJSG_SG_SG_EEES9_SI_JZNS1_25segmented_radix_sort_implINS0_14default_configELb0EPKfPfPKlPlN2at6native12_GLOBAL__N_18offset_tEEE10hipError_tPvRmT1_PNSt15iterator_traitsIS12_E10value_typeET2_T3_PNS13_IS18_E10value_typeET4_jRbjT5_S1E_jjP12ihipStream_tbEUljE_ZNSN_ISO_Lb0ESQ_SR_ST_SU_SY_EESZ_S10_S11_S12_S16_S17_S18_S1B_S1C_jS1D_jS1E_S1E_jjS1G_bEUljE0_EEESZ_S10_S11_S18_S1C_S1E_T6_T7_T9_mT8_S1G_bDpT10_ENKUlT_T0_E_clISt17integral_constantIbLb0EES1U_EEDaS1P_S1Q_EUlS1P_E_NS1_11comp_targetILNS1_3genE4ELNS1_11target_archE910ELNS1_3gpuE8ELNS1_3repE0EEENS1_30default_config_static_selectorELNS0_4arch9wavefront6targetE0EEEvS12_,@function
_ZN7rocprim17ROCPRIM_400000_NS6detail17trampoline_kernelINS0_13select_configILj256ELj13ELNS0_17block_load_methodE3ELS4_3ELS4_3ELNS0_20block_scan_algorithmE0ELj4294967295EEENS1_25partition_config_selectorILNS1_17partition_subalgoE4EjNS0_10empty_typeEbEEZZNS1_14partition_implILS8_4ELb0ES6_15HIP_vector_typeIjLj2EENS0_17counting_iteratorIjlEEPS9_SG_NS0_5tupleIJPjSI_NS0_16reverse_iteratorISI_EEEEENSH_IJSG_SG_SG_EEES9_SI_JZNS1_25segmented_radix_sort_implINS0_14default_configELb0EPKfPfPKlPlN2at6native12_GLOBAL__N_18offset_tEEE10hipError_tPvRmT1_PNSt15iterator_traitsIS12_E10value_typeET2_T3_PNS13_IS18_E10value_typeET4_jRbjT5_S1E_jjP12ihipStream_tbEUljE_ZNSN_ISO_Lb0ESQ_SR_ST_SU_SY_EESZ_S10_S11_S12_S16_S17_S18_S1B_S1C_jS1D_jS1E_S1E_jjS1G_bEUljE0_EEESZ_S10_S11_S18_S1C_S1E_T6_T7_T9_mT8_S1G_bDpT10_ENKUlT_T0_E_clISt17integral_constantIbLb0EES1U_EEDaS1P_S1Q_EUlS1P_E_NS1_11comp_targetILNS1_3genE4ELNS1_11target_archE910ELNS1_3gpuE8ELNS1_3repE0EEENS1_30default_config_static_selectorELNS0_4arch9wavefront6targetE0EEEvS12_: ; @_ZN7rocprim17ROCPRIM_400000_NS6detail17trampoline_kernelINS0_13select_configILj256ELj13ELNS0_17block_load_methodE3ELS4_3ELS4_3ELNS0_20block_scan_algorithmE0ELj4294967295EEENS1_25partition_config_selectorILNS1_17partition_subalgoE4EjNS0_10empty_typeEbEEZZNS1_14partition_implILS8_4ELb0ES6_15HIP_vector_typeIjLj2EENS0_17counting_iteratorIjlEEPS9_SG_NS0_5tupleIJPjSI_NS0_16reverse_iteratorISI_EEEEENSH_IJSG_SG_SG_EEES9_SI_JZNS1_25segmented_radix_sort_implINS0_14default_configELb0EPKfPfPKlPlN2at6native12_GLOBAL__N_18offset_tEEE10hipError_tPvRmT1_PNSt15iterator_traitsIS12_E10value_typeET2_T3_PNS13_IS18_E10value_typeET4_jRbjT5_S1E_jjP12ihipStream_tbEUljE_ZNSN_ISO_Lb0ESQ_SR_ST_SU_SY_EESZ_S10_S11_S12_S16_S17_S18_S1B_S1C_jS1D_jS1E_S1E_jjS1G_bEUljE0_EEESZ_S10_S11_S18_S1C_S1E_T6_T7_T9_mT8_S1G_bDpT10_ENKUlT_T0_E_clISt17integral_constantIbLb0EES1U_EEDaS1P_S1Q_EUlS1P_E_NS1_11comp_targetILNS1_3genE4ELNS1_11target_archE910ELNS1_3gpuE8ELNS1_3repE0EEENS1_30default_config_static_selectorELNS0_4arch9wavefront6targetE0EEEvS12_
; %bb.0:
	.section	.rodata,"a",@progbits
	.p2align	6, 0x0
	.amdhsa_kernel _ZN7rocprim17ROCPRIM_400000_NS6detail17trampoline_kernelINS0_13select_configILj256ELj13ELNS0_17block_load_methodE3ELS4_3ELS4_3ELNS0_20block_scan_algorithmE0ELj4294967295EEENS1_25partition_config_selectorILNS1_17partition_subalgoE4EjNS0_10empty_typeEbEEZZNS1_14partition_implILS8_4ELb0ES6_15HIP_vector_typeIjLj2EENS0_17counting_iteratorIjlEEPS9_SG_NS0_5tupleIJPjSI_NS0_16reverse_iteratorISI_EEEEENSH_IJSG_SG_SG_EEES9_SI_JZNS1_25segmented_radix_sort_implINS0_14default_configELb0EPKfPfPKlPlN2at6native12_GLOBAL__N_18offset_tEEE10hipError_tPvRmT1_PNSt15iterator_traitsIS12_E10value_typeET2_T3_PNS13_IS18_E10value_typeET4_jRbjT5_S1E_jjP12ihipStream_tbEUljE_ZNSN_ISO_Lb0ESQ_SR_ST_SU_SY_EESZ_S10_S11_S12_S16_S17_S18_S1B_S1C_jS1D_jS1E_S1E_jjS1G_bEUljE0_EEESZ_S10_S11_S18_S1C_S1E_T6_T7_T9_mT8_S1G_bDpT10_ENKUlT_T0_E_clISt17integral_constantIbLb0EES1U_EEDaS1P_S1Q_EUlS1P_E_NS1_11comp_targetILNS1_3genE4ELNS1_11target_archE910ELNS1_3gpuE8ELNS1_3repE0EEENS1_30default_config_static_selectorELNS0_4arch9wavefront6targetE0EEEvS12_
		.amdhsa_group_segment_fixed_size 0
		.amdhsa_private_segment_fixed_size 0
		.amdhsa_kernarg_size 176
		.amdhsa_user_sgpr_count 2
		.amdhsa_user_sgpr_dispatch_ptr 0
		.amdhsa_user_sgpr_queue_ptr 0
		.amdhsa_user_sgpr_kernarg_segment_ptr 1
		.amdhsa_user_sgpr_dispatch_id 0
		.amdhsa_user_sgpr_private_segment_size 0
		.amdhsa_wavefront_size32 1
		.amdhsa_uses_dynamic_stack 0
		.amdhsa_enable_private_segment 0
		.amdhsa_system_sgpr_workgroup_id_x 1
		.amdhsa_system_sgpr_workgroup_id_y 0
		.amdhsa_system_sgpr_workgroup_id_z 0
		.amdhsa_system_sgpr_workgroup_info 0
		.amdhsa_system_vgpr_workitem_id 0
		.amdhsa_next_free_vgpr 1
		.amdhsa_next_free_sgpr 1
		.amdhsa_reserve_vcc 0
		.amdhsa_float_round_mode_32 0
		.amdhsa_float_round_mode_16_64 0
		.amdhsa_float_denorm_mode_32 3
		.amdhsa_float_denorm_mode_16_64 3
		.amdhsa_fp16_overflow 0
		.amdhsa_workgroup_processor_mode 1
		.amdhsa_memory_ordered 1
		.amdhsa_forward_progress 1
		.amdhsa_inst_pref_size 0
		.amdhsa_round_robin_scheduling 0
		.amdhsa_exception_fp_ieee_invalid_op 0
		.amdhsa_exception_fp_denorm_src 0
		.amdhsa_exception_fp_ieee_div_zero 0
		.amdhsa_exception_fp_ieee_overflow 0
		.amdhsa_exception_fp_ieee_underflow 0
		.amdhsa_exception_fp_ieee_inexact 0
		.amdhsa_exception_int_div_zero 0
	.end_amdhsa_kernel
	.section	.text._ZN7rocprim17ROCPRIM_400000_NS6detail17trampoline_kernelINS0_13select_configILj256ELj13ELNS0_17block_load_methodE3ELS4_3ELS4_3ELNS0_20block_scan_algorithmE0ELj4294967295EEENS1_25partition_config_selectorILNS1_17partition_subalgoE4EjNS0_10empty_typeEbEEZZNS1_14partition_implILS8_4ELb0ES6_15HIP_vector_typeIjLj2EENS0_17counting_iteratorIjlEEPS9_SG_NS0_5tupleIJPjSI_NS0_16reverse_iteratorISI_EEEEENSH_IJSG_SG_SG_EEES9_SI_JZNS1_25segmented_radix_sort_implINS0_14default_configELb0EPKfPfPKlPlN2at6native12_GLOBAL__N_18offset_tEEE10hipError_tPvRmT1_PNSt15iterator_traitsIS12_E10value_typeET2_T3_PNS13_IS18_E10value_typeET4_jRbjT5_S1E_jjP12ihipStream_tbEUljE_ZNSN_ISO_Lb0ESQ_SR_ST_SU_SY_EESZ_S10_S11_S12_S16_S17_S18_S1B_S1C_jS1D_jS1E_S1E_jjS1G_bEUljE0_EEESZ_S10_S11_S18_S1C_S1E_T6_T7_T9_mT8_S1G_bDpT10_ENKUlT_T0_E_clISt17integral_constantIbLb0EES1U_EEDaS1P_S1Q_EUlS1P_E_NS1_11comp_targetILNS1_3genE4ELNS1_11target_archE910ELNS1_3gpuE8ELNS1_3repE0EEENS1_30default_config_static_selectorELNS0_4arch9wavefront6targetE0EEEvS12_,"axG",@progbits,_ZN7rocprim17ROCPRIM_400000_NS6detail17trampoline_kernelINS0_13select_configILj256ELj13ELNS0_17block_load_methodE3ELS4_3ELS4_3ELNS0_20block_scan_algorithmE0ELj4294967295EEENS1_25partition_config_selectorILNS1_17partition_subalgoE4EjNS0_10empty_typeEbEEZZNS1_14partition_implILS8_4ELb0ES6_15HIP_vector_typeIjLj2EENS0_17counting_iteratorIjlEEPS9_SG_NS0_5tupleIJPjSI_NS0_16reverse_iteratorISI_EEEEENSH_IJSG_SG_SG_EEES9_SI_JZNS1_25segmented_radix_sort_implINS0_14default_configELb0EPKfPfPKlPlN2at6native12_GLOBAL__N_18offset_tEEE10hipError_tPvRmT1_PNSt15iterator_traitsIS12_E10value_typeET2_T3_PNS13_IS18_E10value_typeET4_jRbjT5_S1E_jjP12ihipStream_tbEUljE_ZNSN_ISO_Lb0ESQ_SR_ST_SU_SY_EESZ_S10_S11_S12_S16_S17_S18_S1B_S1C_jS1D_jS1E_S1E_jjS1G_bEUljE0_EEESZ_S10_S11_S18_S1C_S1E_T6_T7_T9_mT8_S1G_bDpT10_ENKUlT_T0_E_clISt17integral_constantIbLb0EES1U_EEDaS1P_S1Q_EUlS1P_E_NS1_11comp_targetILNS1_3genE4ELNS1_11target_archE910ELNS1_3gpuE8ELNS1_3repE0EEENS1_30default_config_static_selectorELNS0_4arch9wavefront6targetE0EEEvS12_,comdat
.Lfunc_end1366:
	.size	_ZN7rocprim17ROCPRIM_400000_NS6detail17trampoline_kernelINS0_13select_configILj256ELj13ELNS0_17block_load_methodE3ELS4_3ELS4_3ELNS0_20block_scan_algorithmE0ELj4294967295EEENS1_25partition_config_selectorILNS1_17partition_subalgoE4EjNS0_10empty_typeEbEEZZNS1_14partition_implILS8_4ELb0ES6_15HIP_vector_typeIjLj2EENS0_17counting_iteratorIjlEEPS9_SG_NS0_5tupleIJPjSI_NS0_16reverse_iteratorISI_EEEEENSH_IJSG_SG_SG_EEES9_SI_JZNS1_25segmented_radix_sort_implINS0_14default_configELb0EPKfPfPKlPlN2at6native12_GLOBAL__N_18offset_tEEE10hipError_tPvRmT1_PNSt15iterator_traitsIS12_E10value_typeET2_T3_PNS13_IS18_E10value_typeET4_jRbjT5_S1E_jjP12ihipStream_tbEUljE_ZNSN_ISO_Lb0ESQ_SR_ST_SU_SY_EESZ_S10_S11_S12_S16_S17_S18_S1B_S1C_jS1D_jS1E_S1E_jjS1G_bEUljE0_EEESZ_S10_S11_S18_S1C_S1E_T6_T7_T9_mT8_S1G_bDpT10_ENKUlT_T0_E_clISt17integral_constantIbLb0EES1U_EEDaS1P_S1Q_EUlS1P_E_NS1_11comp_targetILNS1_3genE4ELNS1_11target_archE910ELNS1_3gpuE8ELNS1_3repE0EEENS1_30default_config_static_selectorELNS0_4arch9wavefront6targetE0EEEvS12_, .Lfunc_end1366-_ZN7rocprim17ROCPRIM_400000_NS6detail17trampoline_kernelINS0_13select_configILj256ELj13ELNS0_17block_load_methodE3ELS4_3ELS4_3ELNS0_20block_scan_algorithmE0ELj4294967295EEENS1_25partition_config_selectorILNS1_17partition_subalgoE4EjNS0_10empty_typeEbEEZZNS1_14partition_implILS8_4ELb0ES6_15HIP_vector_typeIjLj2EENS0_17counting_iteratorIjlEEPS9_SG_NS0_5tupleIJPjSI_NS0_16reverse_iteratorISI_EEEEENSH_IJSG_SG_SG_EEES9_SI_JZNS1_25segmented_radix_sort_implINS0_14default_configELb0EPKfPfPKlPlN2at6native12_GLOBAL__N_18offset_tEEE10hipError_tPvRmT1_PNSt15iterator_traitsIS12_E10value_typeET2_T3_PNS13_IS18_E10value_typeET4_jRbjT5_S1E_jjP12ihipStream_tbEUljE_ZNSN_ISO_Lb0ESQ_SR_ST_SU_SY_EESZ_S10_S11_S12_S16_S17_S18_S1B_S1C_jS1D_jS1E_S1E_jjS1G_bEUljE0_EEESZ_S10_S11_S18_S1C_S1E_T6_T7_T9_mT8_S1G_bDpT10_ENKUlT_T0_E_clISt17integral_constantIbLb0EES1U_EEDaS1P_S1Q_EUlS1P_E_NS1_11comp_targetILNS1_3genE4ELNS1_11target_archE910ELNS1_3gpuE8ELNS1_3repE0EEENS1_30default_config_static_selectorELNS0_4arch9wavefront6targetE0EEEvS12_
                                        ; -- End function
	.set _ZN7rocprim17ROCPRIM_400000_NS6detail17trampoline_kernelINS0_13select_configILj256ELj13ELNS0_17block_load_methodE3ELS4_3ELS4_3ELNS0_20block_scan_algorithmE0ELj4294967295EEENS1_25partition_config_selectorILNS1_17partition_subalgoE4EjNS0_10empty_typeEbEEZZNS1_14partition_implILS8_4ELb0ES6_15HIP_vector_typeIjLj2EENS0_17counting_iteratorIjlEEPS9_SG_NS0_5tupleIJPjSI_NS0_16reverse_iteratorISI_EEEEENSH_IJSG_SG_SG_EEES9_SI_JZNS1_25segmented_radix_sort_implINS0_14default_configELb0EPKfPfPKlPlN2at6native12_GLOBAL__N_18offset_tEEE10hipError_tPvRmT1_PNSt15iterator_traitsIS12_E10value_typeET2_T3_PNS13_IS18_E10value_typeET4_jRbjT5_S1E_jjP12ihipStream_tbEUljE_ZNSN_ISO_Lb0ESQ_SR_ST_SU_SY_EESZ_S10_S11_S12_S16_S17_S18_S1B_S1C_jS1D_jS1E_S1E_jjS1G_bEUljE0_EEESZ_S10_S11_S18_S1C_S1E_T6_T7_T9_mT8_S1G_bDpT10_ENKUlT_T0_E_clISt17integral_constantIbLb0EES1U_EEDaS1P_S1Q_EUlS1P_E_NS1_11comp_targetILNS1_3genE4ELNS1_11target_archE910ELNS1_3gpuE8ELNS1_3repE0EEENS1_30default_config_static_selectorELNS0_4arch9wavefront6targetE0EEEvS12_.num_vgpr, 0
	.set _ZN7rocprim17ROCPRIM_400000_NS6detail17trampoline_kernelINS0_13select_configILj256ELj13ELNS0_17block_load_methodE3ELS4_3ELS4_3ELNS0_20block_scan_algorithmE0ELj4294967295EEENS1_25partition_config_selectorILNS1_17partition_subalgoE4EjNS0_10empty_typeEbEEZZNS1_14partition_implILS8_4ELb0ES6_15HIP_vector_typeIjLj2EENS0_17counting_iteratorIjlEEPS9_SG_NS0_5tupleIJPjSI_NS0_16reverse_iteratorISI_EEEEENSH_IJSG_SG_SG_EEES9_SI_JZNS1_25segmented_radix_sort_implINS0_14default_configELb0EPKfPfPKlPlN2at6native12_GLOBAL__N_18offset_tEEE10hipError_tPvRmT1_PNSt15iterator_traitsIS12_E10value_typeET2_T3_PNS13_IS18_E10value_typeET4_jRbjT5_S1E_jjP12ihipStream_tbEUljE_ZNSN_ISO_Lb0ESQ_SR_ST_SU_SY_EESZ_S10_S11_S12_S16_S17_S18_S1B_S1C_jS1D_jS1E_S1E_jjS1G_bEUljE0_EEESZ_S10_S11_S18_S1C_S1E_T6_T7_T9_mT8_S1G_bDpT10_ENKUlT_T0_E_clISt17integral_constantIbLb0EES1U_EEDaS1P_S1Q_EUlS1P_E_NS1_11comp_targetILNS1_3genE4ELNS1_11target_archE910ELNS1_3gpuE8ELNS1_3repE0EEENS1_30default_config_static_selectorELNS0_4arch9wavefront6targetE0EEEvS12_.num_agpr, 0
	.set _ZN7rocprim17ROCPRIM_400000_NS6detail17trampoline_kernelINS0_13select_configILj256ELj13ELNS0_17block_load_methodE3ELS4_3ELS4_3ELNS0_20block_scan_algorithmE0ELj4294967295EEENS1_25partition_config_selectorILNS1_17partition_subalgoE4EjNS0_10empty_typeEbEEZZNS1_14partition_implILS8_4ELb0ES6_15HIP_vector_typeIjLj2EENS0_17counting_iteratorIjlEEPS9_SG_NS0_5tupleIJPjSI_NS0_16reverse_iteratorISI_EEEEENSH_IJSG_SG_SG_EEES9_SI_JZNS1_25segmented_radix_sort_implINS0_14default_configELb0EPKfPfPKlPlN2at6native12_GLOBAL__N_18offset_tEEE10hipError_tPvRmT1_PNSt15iterator_traitsIS12_E10value_typeET2_T3_PNS13_IS18_E10value_typeET4_jRbjT5_S1E_jjP12ihipStream_tbEUljE_ZNSN_ISO_Lb0ESQ_SR_ST_SU_SY_EESZ_S10_S11_S12_S16_S17_S18_S1B_S1C_jS1D_jS1E_S1E_jjS1G_bEUljE0_EEESZ_S10_S11_S18_S1C_S1E_T6_T7_T9_mT8_S1G_bDpT10_ENKUlT_T0_E_clISt17integral_constantIbLb0EES1U_EEDaS1P_S1Q_EUlS1P_E_NS1_11comp_targetILNS1_3genE4ELNS1_11target_archE910ELNS1_3gpuE8ELNS1_3repE0EEENS1_30default_config_static_selectorELNS0_4arch9wavefront6targetE0EEEvS12_.numbered_sgpr, 0
	.set _ZN7rocprim17ROCPRIM_400000_NS6detail17trampoline_kernelINS0_13select_configILj256ELj13ELNS0_17block_load_methodE3ELS4_3ELS4_3ELNS0_20block_scan_algorithmE0ELj4294967295EEENS1_25partition_config_selectorILNS1_17partition_subalgoE4EjNS0_10empty_typeEbEEZZNS1_14partition_implILS8_4ELb0ES6_15HIP_vector_typeIjLj2EENS0_17counting_iteratorIjlEEPS9_SG_NS0_5tupleIJPjSI_NS0_16reverse_iteratorISI_EEEEENSH_IJSG_SG_SG_EEES9_SI_JZNS1_25segmented_radix_sort_implINS0_14default_configELb0EPKfPfPKlPlN2at6native12_GLOBAL__N_18offset_tEEE10hipError_tPvRmT1_PNSt15iterator_traitsIS12_E10value_typeET2_T3_PNS13_IS18_E10value_typeET4_jRbjT5_S1E_jjP12ihipStream_tbEUljE_ZNSN_ISO_Lb0ESQ_SR_ST_SU_SY_EESZ_S10_S11_S12_S16_S17_S18_S1B_S1C_jS1D_jS1E_S1E_jjS1G_bEUljE0_EEESZ_S10_S11_S18_S1C_S1E_T6_T7_T9_mT8_S1G_bDpT10_ENKUlT_T0_E_clISt17integral_constantIbLb0EES1U_EEDaS1P_S1Q_EUlS1P_E_NS1_11comp_targetILNS1_3genE4ELNS1_11target_archE910ELNS1_3gpuE8ELNS1_3repE0EEENS1_30default_config_static_selectorELNS0_4arch9wavefront6targetE0EEEvS12_.num_named_barrier, 0
	.set _ZN7rocprim17ROCPRIM_400000_NS6detail17trampoline_kernelINS0_13select_configILj256ELj13ELNS0_17block_load_methodE3ELS4_3ELS4_3ELNS0_20block_scan_algorithmE0ELj4294967295EEENS1_25partition_config_selectorILNS1_17partition_subalgoE4EjNS0_10empty_typeEbEEZZNS1_14partition_implILS8_4ELb0ES6_15HIP_vector_typeIjLj2EENS0_17counting_iteratorIjlEEPS9_SG_NS0_5tupleIJPjSI_NS0_16reverse_iteratorISI_EEEEENSH_IJSG_SG_SG_EEES9_SI_JZNS1_25segmented_radix_sort_implINS0_14default_configELb0EPKfPfPKlPlN2at6native12_GLOBAL__N_18offset_tEEE10hipError_tPvRmT1_PNSt15iterator_traitsIS12_E10value_typeET2_T3_PNS13_IS18_E10value_typeET4_jRbjT5_S1E_jjP12ihipStream_tbEUljE_ZNSN_ISO_Lb0ESQ_SR_ST_SU_SY_EESZ_S10_S11_S12_S16_S17_S18_S1B_S1C_jS1D_jS1E_S1E_jjS1G_bEUljE0_EEESZ_S10_S11_S18_S1C_S1E_T6_T7_T9_mT8_S1G_bDpT10_ENKUlT_T0_E_clISt17integral_constantIbLb0EES1U_EEDaS1P_S1Q_EUlS1P_E_NS1_11comp_targetILNS1_3genE4ELNS1_11target_archE910ELNS1_3gpuE8ELNS1_3repE0EEENS1_30default_config_static_selectorELNS0_4arch9wavefront6targetE0EEEvS12_.private_seg_size, 0
	.set _ZN7rocprim17ROCPRIM_400000_NS6detail17trampoline_kernelINS0_13select_configILj256ELj13ELNS0_17block_load_methodE3ELS4_3ELS4_3ELNS0_20block_scan_algorithmE0ELj4294967295EEENS1_25partition_config_selectorILNS1_17partition_subalgoE4EjNS0_10empty_typeEbEEZZNS1_14partition_implILS8_4ELb0ES6_15HIP_vector_typeIjLj2EENS0_17counting_iteratorIjlEEPS9_SG_NS0_5tupleIJPjSI_NS0_16reverse_iteratorISI_EEEEENSH_IJSG_SG_SG_EEES9_SI_JZNS1_25segmented_radix_sort_implINS0_14default_configELb0EPKfPfPKlPlN2at6native12_GLOBAL__N_18offset_tEEE10hipError_tPvRmT1_PNSt15iterator_traitsIS12_E10value_typeET2_T3_PNS13_IS18_E10value_typeET4_jRbjT5_S1E_jjP12ihipStream_tbEUljE_ZNSN_ISO_Lb0ESQ_SR_ST_SU_SY_EESZ_S10_S11_S12_S16_S17_S18_S1B_S1C_jS1D_jS1E_S1E_jjS1G_bEUljE0_EEESZ_S10_S11_S18_S1C_S1E_T6_T7_T9_mT8_S1G_bDpT10_ENKUlT_T0_E_clISt17integral_constantIbLb0EES1U_EEDaS1P_S1Q_EUlS1P_E_NS1_11comp_targetILNS1_3genE4ELNS1_11target_archE910ELNS1_3gpuE8ELNS1_3repE0EEENS1_30default_config_static_selectorELNS0_4arch9wavefront6targetE0EEEvS12_.uses_vcc, 0
	.set _ZN7rocprim17ROCPRIM_400000_NS6detail17trampoline_kernelINS0_13select_configILj256ELj13ELNS0_17block_load_methodE3ELS4_3ELS4_3ELNS0_20block_scan_algorithmE0ELj4294967295EEENS1_25partition_config_selectorILNS1_17partition_subalgoE4EjNS0_10empty_typeEbEEZZNS1_14partition_implILS8_4ELb0ES6_15HIP_vector_typeIjLj2EENS0_17counting_iteratorIjlEEPS9_SG_NS0_5tupleIJPjSI_NS0_16reverse_iteratorISI_EEEEENSH_IJSG_SG_SG_EEES9_SI_JZNS1_25segmented_radix_sort_implINS0_14default_configELb0EPKfPfPKlPlN2at6native12_GLOBAL__N_18offset_tEEE10hipError_tPvRmT1_PNSt15iterator_traitsIS12_E10value_typeET2_T3_PNS13_IS18_E10value_typeET4_jRbjT5_S1E_jjP12ihipStream_tbEUljE_ZNSN_ISO_Lb0ESQ_SR_ST_SU_SY_EESZ_S10_S11_S12_S16_S17_S18_S1B_S1C_jS1D_jS1E_S1E_jjS1G_bEUljE0_EEESZ_S10_S11_S18_S1C_S1E_T6_T7_T9_mT8_S1G_bDpT10_ENKUlT_T0_E_clISt17integral_constantIbLb0EES1U_EEDaS1P_S1Q_EUlS1P_E_NS1_11comp_targetILNS1_3genE4ELNS1_11target_archE910ELNS1_3gpuE8ELNS1_3repE0EEENS1_30default_config_static_selectorELNS0_4arch9wavefront6targetE0EEEvS12_.uses_flat_scratch, 0
	.set _ZN7rocprim17ROCPRIM_400000_NS6detail17trampoline_kernelINS0_13select_configILj256ELj13ELNS0_17block_load_methodE3ELS4_3ELS4_3ELNS0_20block_scan_algorithmE0ELj4294967295EEENS1_25partition_config_selectorILNS1_17partition_subalgoE4EjNS0_10empty_typeEbEEZZNS1_14partition_implILS8_4ELb0ES6_15HIP_vector_typeIjLj2EENS0_17counting_iteratorIjlEEPS9_SG_NS0_5tupleIJPjSI_NS0_16reverse_iteratorISI_EEEEENSH_IJSG_SG_SG_EEES9_SI_JZNS1_25segmented_radix_sort_implINS0_14default_configELb0EPKfPfPKlPlN2at6native12_GLOBAL__N_18offset_tEEE10hipError_tPvRmT1_PNSt15iterator_traitsIS12_E10value_typeET2_T3_PNS13_IS18_E10value_typeET4_jRbjT5_S1E_jjP12ihipStream_tbEUljE_ZNSN_ISO_Lb0ESQ_SR_ST_SU_SY_EESZ_S10_S11_S12_S16_S17_S18_S1B_S1C_jS1D_jS1E_S1E_jjS1G_bEUljE0_EEESZ_S10_S11_S18_S1C_S1E_T6_T7_T9_mT8_S1G_bDpT10_ENKUlT_T0_E_clISt17integral_constantIbLb0EES1U_EEDaS1P_S1Q_EUlS1P_E_NS1_11comp_targetILNS1_3genE4ELNS1_11target_archE910ELNS1_3gpuE8ELNS1_3repE0EEENS1_30default_config_static_selectorELNS0_4arch9wavefront6targetE0EEEvS12_.has_dyn_sized_stack, 0
	.set _ZN7rocprim17ROCPRIM_400000_NS6detail17trampoline_kernelINS0_13select_configILj256ELj13ELNS0_17block_load_methodE3ELS4_3ELS4_3ELNS0_20block_scan_algorithmE0ELj4294967295EEENS1_25partition_config_selectorILNS1_17partition_subalgoE4EjNS0_10empty_typeEbEEZZNS1_14partition_implILS8_4ELb0ES6_15HIP_vector_typeIjLj2EENS0_17counting_iteratorIjlEEPS9_SG_NS0_5tupleIJPjSI_NS0_16reverse_iteratorISI_EEEEENSH_IJSG_SG_SG_EEES9_SI_JZNS1_25segmented_radix_sort_implINS0_14default_configELb0EPKfPfPKlPlN2at6native12_GLOBAL__N_18offset_tEEE10hipError_tPvRmT1_PNSt15iterator_traitsIS12_E10value_typeET2_T3_PNS13_IS18_E10value_typeET4_jRbjT5_S1E_jjP12ihipStream_tbEUljE_ZNSN_ISO_Lb0ESQ_SR_ST_SU_SY_EESZ_S10_S11_S12_S16_S17_S18_S1B_S1C_jS1D_jS1E_S1E_jjS1G_bEUljE0_EEESZ_S10_S11_S18_S1C_S1E_T6_T7_T9_mT8_S1G_bDpT10_ENKUlT_T0_E_clISt17integral_constantIbLb0EES1U_EEDaS1P_S1Q_EUlS1P_E_NS1_11comp_targetILNS1_3genE4ELNS1_11target_archE910ELNS1_3gpuE8ELNS1_3repE0EEENS1_30default_config_static_selectorELNS0_4arch9wavefront6targetE0EEEvS12_.has_recursion, 0
	.set _ZN7rocprim17ROCPRIM_400000_NS6detail17trampoline_kernelINS0_13select_configILj256ELj13ELNS0_17block_load_methodE3ELS4_3ELS4_3ELNS0_20block_scan_algorithmE0ELj4294967295EEENS1_25partition_config_selectorILNS1_17partition_subalgoE4EjNS0_10empty_typeEbEEZZNS1_14partition_implILS8_4ELb0ES6_15HIP_vector_typeIjLj2EENS0_17counting_iteratorIjlEEPS9_SG_NS0_5tupleIJPjSI_NS0_16reverse_iteratorISI_EEEEENSH_IJSG_SG_SG_EEES9_SI_JZNS1_25segmented_radix_sort_implINS0_14default_configELb0EPKfPfPKlPlN2at6native12_GLOBAL__N_18offset_tEEE10hipError_tPvRmT1_PNSt15iterator_traitsIS12_E10value_typeET2_T3_PNS13_IS18_E10value_typeET4_jRbjT5_S1E_jjP12ihipStream_tbEUljE_ZNSN_ISO_Lb0ESQ_SR_ST_SU_SY_EESZ_S10_S11_S12_S16_S17_S18_S1B_S1C_jS1D_jS1E_S1E_jjS1G_bEUljE0_EEESZ_S10_S11_S18_S1C_S1E_T6_T7_T9_mT8_S1G_bDpT10_ENKUlT_T0_E_clISt17integral_constantIbLb0EES1U_EEDaS1P_S1Q_EUlS1P_E_NS1_11comp_targetILNS1_3genE4ELNS1_11target_archE910ELNS1_3gpuE8ELNS1_3repE0EEENS1_30default_config_static_selectorELNS0_4arch9wavefront6targetE0EEEvS12_.has_indirect_call, 0
	.section	.AMDGPU.csdata,"",@progbits
; Kernel info:
; codeLenInByte = 0
; TotalNumSgprs: 0
; NumVgprs: 0
; ScratchSize: 0
; MemoryBound: 0
; FloatMode: 240
; IeeeMode: 1
; LDSByteSize: 0 bytes/workgroup (compile time only)
; SGPRBlocks: 0
; VGPRBlocks: 0
; NumSGPRsForWavesPerEU: 1
; NumVGPRsForWavesPerEU: 1
; Occupancy: 16
; WaveLimiterHint : 0
; COMPUTE_PGM_RSRC2:SCRATCH_EN: 0
; COMPUTE_PGM_RSRC2:USER_SGPR: 2
; COMPUTE_PGM_RSRC2:TRAP_HANDLER: 0
; COMPUTE_PGM_RSRC2:TGID_X_EN: 1
; COMPUTE_PGM_RSRC2:TGID_Y_EN: 0
; COMPUTE_PGM_RSRC2:TGID_Z_EN: 0
; COMPUTE_PGM_RSRC2:TIDIG_COMP_CNT: 0
	.section	.text._ZN7rocprim17ROCPRIM_400000_NS6detail17trampoline_kernelINS0_13select_configILj256ELj13ELNS0_17block_load_methodE3ELS4_3ELS4_3ELNS0_20block_scan_algorithmE0ELj4294967295EEENS1_25partition_config_selectorILNS1_17partition_subalgoE4EjNS0_10empty_typeEbEEZZNS1_14partition_implILS8_4ELb0ES6_15HIP_vector_typeIjLj2EENS0_17counting_iteratorIjlEEPS9_SG_NS0_5tupleIJPjSI_NS0_16reverse_iteratorISI_EEEEENSH_IJSG_SG_SG_EEES9_SI_JZNS1_25segmented_radix_sort_implINS0_14default_configELb0EPKfPfPKlPlN2at6native12_GLOBAL__N_18offset_tEEE10hipError_tPvRmT1_PNSt15iterator_traitsIS12_E10value_typeET2_T3_PNS13_IS18_E10value_typeET4_jRbjT5_S1E_jjP12ihipStream_tbEUljE_ZNSN_ISO_Lb0ESQ_SR_ST_SU_SY_EESZ_S10_S11_S12_S16_S17_S18_S1B_S1C_jS1D_jS1E_S1E_jjS1G_bEUljE0_EEESZ_S10_S11_S18_S1C_S1E_T6_T7_T9_mT8_S1G_bDpT10_ENKUlT_T0_E_clISt17integral_constantIbLb0EES1U_EEDaS1P_S1Q_EUlS1P_E_NS1_11comp_targetILNS1_3genE3ELNS1_11target_archE908ELNS1_3gpuE7ELNS1_3repE0EEENS1_30default_config_static_selectorELNS0_4arch9wavefront6targetE0EEEvS12_,"axG",@progbits,_ZN7rocprim17ROCPRIM_400000_NS6detail17trampoline_kernelINS0_13select_configILj256ELj13ELNS0_17block_load_methodE3ELS4_3ELS4_3ELNS0_20block_scan_algorithmE0ELj4294967295EEENS1_25partition_config_selectorILNS1_17partition_subalgoE4EjNS0_10empty_typeEbEEZZNS1_14partition_implILS8_4ELb0ES6_15HIP_vector_typeIjLj2EENS0_17counting_iteratorIjlEEPS9_SG_NS0_5tupleIJPjSI_NS0_16reverse_iteratorISI_EEEEENSH_IJSG_SG_SG_EEES9_SI_JZNS1_25segmented_radix_sort_implINS0_14default_configELb0EPKfPfPKlPlN2at6native12_GLOBAL__N_18offset_tEEE10hipError_tPvRmT1_PNSt15iterator_traitsIS12_E10value_typeET2_T3_PNS13_IS18_E10value_typeET4_jRbjT5_S1E_jjP12ihipStream_tbEUljE_ZNSN_ISO_Lb0ESQ_SR_ST_SU_SY_EESZ_S10_S11_S12_S16_S17_S18_S1B_S1C_jS1D_jS1E_S1E_jjS1G_bEUljE0_EEESZ_S10_S11_S18_S1C_S1E_T6_T7_T9_mT8_S1G_bDpT10_ENKUlT_T0_E_clISt17integral_constantIbLb0EES1U_EEDaS1P_S1Q_EUlS1P_E_NS1_11comp_targetILNS1_3genE3ELNS1_11target_archE908ELNS1_3gpuE7ELNS1_3repE0EEENS1_30default_config_static_selectorELNS0_4arch9wavefront6targetE0EEEvS12_,comdat
	.globl	_ZN7rocprim17ROCPRIM_400000_NS6detail17trampoline_kernelINS0_13select_configILj256ELj13ELNS0_17block_load_methodE3ELS4_3ELS4_3ELNS0_20block_scan_algorithmE0ELj4294967295EEENS1_25partition_config_selectorILNS1_17partition_subalgoE4EjNS0_10empty_typeEbEEZZNS1_14partition_implILS8_4ELb0ES6_15HIP_vector_typeIjLj2EENS0_17counting_iteratorIjlEEPS9_SG_NS0_5tupleIJPjSI_NS0_16reverse_iteratorISI_EEEEENSH_IJSG_SG_SG_EEES9_SI_JZNS1_25segmented_radix_sort_implINS0_14default_configELb0EPKfPfPKlPlN2at6native12_GLOBAL__N_18offset_tEEE10hipError_tPvRmT1_PNSt15iterator_traitsIS12_E10value_typeET2_T3_PNS13_IS18_E10value_typeET4_jRbjT5_S1E_jjP12ihipStream_tbEUljE_ZNSN_ISO_Lb0ESQ_SR_ST_SU_SY_EESZ_S10_S11_S12_S16_S17_S18_S1B_S1C_jS1D_jS1E_S1E_jjS1G_bEUljE0_EEESZ_S10_S11_S18_S1C_S1E_T6_T7_T9_mT8_S1G_bDpT10_ENKUlT_T0_E_clISt17integral_constantIbLb0EES1U_EEDaS1P_S1Q_EUlS1P_E_NS1_11comp_targetILNS1_3genE3ELNS1_11target_archE908ELNS1_3gpuE7ELNS1_3repE0EEENS1_30default_config_static_selectorELNS0_4arch9wavefront6targetE0EEEvS12_ ; -- Begin function _ZN7rocprim17ROCPRIM_400000_NS6detail17trampoline_kernelINS0_13select_configILj256ELj13ELNS0_17block_load_methodE3ELS4_3ELS4_3ELNS0_20block_scan_algorithmE0ELj4294967295EEENS1_25partition_config_selectorILNS1_17partition_subalgoE4EjNS0_10empty_typeEbEEZZNS1_14partition_implILS8_4ELb0ES6_15HIP_vector_typeIjLj2EENS0_17counting_iteratorIjlEEPS9_SG_NS0_5tupleIJPjSI_NS0_16reverse_iteratorISI_EEEEENSH_IJSG_SG_SG_EEES9_SI_JZNS1_25segmented_radix_sort_implINS0_14default_configELb0EPKfPfPKlPlN2at6native12_GLOBAL__N_18offset_tEEE10hipError_tPvRmT1_PNSt15iterator_traitsIS12_E10value_typeET2_T3_PNS13_IS18_E10value_typeET4_jRbjT5_S1E_jjP12ihipStream_tbEUljE_ZNSN_ISO_Lb0ESQ_SR_ST_SU_SY_EESZ_S10_S11_S12_S16_S17_S18_S1B_S1C_jS1D_jS1E_S1E_jjS1G_bEUljE0_EEESZ_S10_S11_S18_S1C_S1E_T6_T7_T9_mT8_S1G_bDpT10_ENKUlT_T0_E_clISt17integral_constantIbLb0EES1U_EEDaS1P_S1Q_EUlS1P_E_NS1_11comp_targetILNS1_3genE3ELNS1_11target_archE908ELNS1_3gpuE7ELNS1_3repE0EEENS1_30default_config_static_selectorELNS0_4arch9wavefront6targetE0EEEvS12_
	.p2align	8
	.type	_ZN7rocprim17ROCPRIM_400000_NS6detail17trampoline_kernelINS0_13select_configILj256ELj13ELNS0_17block_load_methodE3ELS4_3ELS4_3ELNS0_20block_scan_algorithmE0ELj4294967295EEENS1_25partition_config_selectorILNS1_17partition_subalgoE4EjNS0_10empty_typeEbEEZZNS1_14partition_implILS8_4ELb0ES6_15HIP_vector_typeIjLj2EENS0_17counting_iteratorIjlEEPS9_SG_NS0_5tupleIJPjSI_NS0_16reverse_iteratorISI_EEEEENSH_IJSG_SG_SG_EEES9_SI_JZNS1_25segmented_radix_sort_implINS0_14default_configELb0EPKfPfPKlPlN2at6native12_GLOBAL__N_18offset_tEEE10hipError_tPvRmT1_PNSt15iterator_traitsIS12_E10value_typeET2_T3_PNS13_IS18_E10value_typeET4_jRbjT5_S1E_jjP12ihipStream_tbEUljE_ZNSN_ISO_Lb0ESQ_SR_ST_SU_SY_EESZ_S10_S11_S12_S16_S17_S18_S1B_S1C_jS1D_jS1E_S1E_jjS1G_bEUljE0_EEESZ_S10_S11_S18_S1C_S1E_T6_T7_T9_mT8_S1G_bDpT10_ENKUlT_T0_E_clISt17integral_constantIbLb0EES1U_EEDaS1P_S1Q_EUlS1P_E_NS1_11comp_targetILNS1_3genE3ELNS1_11target_archE908ELNS1_3gpuE7ELNS1_3repE0EEENS1_30default_config_static_selectorELNS0_4arch9wavefront6targetE0EEEvS12_,@function
_ZN7rocprim17ROCPRIM_400000_NS6detail17trampoline_kernelINS0_13select_configILj256ELj13ELNS0_17block_load_methodE3ELS4_3ELS4_3ELNS0_20block_scan_algorithmE0ELj4294967295EEENS1_25partition_config_selectorILNS1_17partition_subalgoE4EjNS0_10empty_typeEbEEZZNS1_14partition_implILS8_4ELb0ES6_15HIP_vector_typeIjLj2EENS0_17counting_iteratorIjlEEPS9_SG_NS0_5tupleIJPjSI_NS0_16reverse_iteratorISI_EEEEENSH_IJSG_SG_SG_EEES9_SI_JZNS1_25segmented_radix_sort_implINS0_14default_configELb0EPKfPfPKlPlN2at6native12_GLOBAL__N_18offset_tEEE10hipError_tPvRmT1_PNSt15iterator_traitsIS12_E10value_typeET2_T3_PNS13_IS18_E10value_typeET4_jRbjT5_S1E_jjP12ihipStream_tbEUljE_ZNSN_ISO_Lb0ESQ_SR_ST_SU_SY_EESZ_S10_S11_S12_S16_S17_S18_S1B_S1C_jS1D_jS1E_S1E_jjS1G_bEUljE0_EEESZ_S10_S11_S18_S1C_S1E_T6_T7_T9_mT8_S1G_bDpT10_ENKUlT_T0_E_clISt17integral_constantIbLb0EES1U_EEDaS1P_S1Q_EUlS1P_E_NS1_11comp_targetILNS1_3genE3ELNS1_11target_archE908ELNS1_3gpuE7ELNS1_3repE0EEENS1_30default_config_static_selectorELNS0_4arch9wavefront6targetE0EEEvS12_: ; @_ZN7rocprim17ROCPRIM_400000_NS6detail17trampoline_kernelINS0_13select_configILj256ELj13ELNS0_17block_load_methodE3ELS4_3ELS4_3ELNS0_20block_scan_algorithmE0ELj4294967295EEENS1_25partition_config_selectorILNS1_17partition_subalgoE4EjNS0_10empty_typeEbEEZZNS1_14partition_implILS8_4ELb0ES6_15HIP_vector_typeIjLj2EENS0_17counting_iteratorIjlEEPS9_SG_NS0_5tupleIJPjSI_NS0_16reverse_iteratorISI_EEEEENSH_IJSG_SG_SG_EEES9_SI_JZNS1_25segmented_radix_sort_implINS0_14default_configELb0EPKfPfPKlPlN2at6native12_GLOBAL__N_18offset_tEEE10hipError_tPvRmT1_PNSt15iterator_traitsIS12_E10value_typeET2_T3_PNS13_IS18_E10value_typeET4_jRbjT5_S1E_jjP12ihipStream_tbEUljE_ZNSN_ISO_Lb0ESQ_SR_ST_SU_SY_EESZ_S10_S11_S12_S16_S17_S18_S1B_S1C_jS1D_jS1E_S1E_jjS1G_bEUljE0_EEESZ_S10_S11_S18_S1C_S1E_T6_T7_T9_mT8_S1G_bDpT10_ENKUlT_T0_E_clISt17integral_constantIbLb0EES1U_EEDaS1P_S1Q_EUlS1P_E_NS1_11comp_targetILNS1_3genE3ELNS1_11target_archE908ELNS1_3gpuE7ELNS1_3repE0EEENS1_30default_config_static_selectorELNS0_4arch9wavefront6targetE0EEEvS12_
; %bb.0:
	.section	.rodata,"a",@progbits
	.p2align	6, 0x0
	.amdhsa_kernel _ZN7rocprim17ROCPRIM_400000_NS6detail17trampoline_kernelINS0_13select_configILj256ELj13ELNS0_17block_load_methodE3ELS4_3ELS4_3ELNS0_20block_scan_algorithmE0ELj4294967295EEENS1_25partition_config_selectorILNS1_17partition_subalgoE4EjNS0_10empty_typeEbEEZZNS1_14partition_implILS8_4ELb0ES6_15HIP_vector_typeIjLj2EENS0_17counting_iteratorIjlEEPS9_SG_NS0_5tupleIJPjSI_NS0_16reverse_iteratorISI_EEEEENSH_IJSG_SG_SG_EEES9_SI_JZNS1_25segmented_radix_sort_implINS0_14default_configELb0EPKfPfPKlPlN2at6native12_GLOBAL__N_18offset_tEEE10hipError_tPvRmT1_PNSt15iterator_traitsIS12_E10value_typeET2_T3_PNS13_IS18_E10value_typeET4_jRbjT5_S1E_jjP12ihipStream_tbEUljE_ZNSN_ISO_Lb0ESQ_SR_ST_SU_SY_EESZ_S10_S11_S12_S16_S17_S18_S1B_S1C_jS1D_jS1E_S1E_jjS1G_bEUljE0_EEESZ_S10_S11_S18_S1C_S1E_T6_T7_T9_mT8_S1G_bDpT10_ENKUlT_T0_E_clISt17integral_constantIbLb0EES1U_EEDaS1P_S1Q_EUlS1P_E_NS1_11comp_targetILNS1_3genE3ELNS1_11target_archE908ELNS1_3gpuE7ELNS1_3repE0EEENS1_30default_config_static_selectorELNS0_4arch9wavefront6targetE0EEEvS12_
		.amdhsa_group_segment_fixed_size 0
		.amdhsa_private_segment_fixed_size 0
		.amdhsa_kernarg_size 176
		.amdhsa_user_sgpr_count 2
		.amdhsa_user_sgpr_dispatch_ptr 0
		.amdhsa_user_sgpr_queue_ptr 0
		.amdhsa_user_sgpr_kernarg_segment_ptr 1
		.amdhsa_user_sgpr_dispatch_id 0
		.amdhsa_user_sgpr_private_segment_size 0
		.amdhsa_wavefront_size32 1
		.amdhsa_uses_dynamic_stack 0
		.amdhsa_enable_private_segment 0
		.amdhsa_system_sgpr_workgroup_id_x 1
		.amdhsa_system_sgpr_workgroup_id_y 0
		.amdhsa_system_sgpr_workgroup_id_z 0
		.amdhsa_system_sgpr_workgroup_info 0
		.amdhsa_system_vgpr_workitem_id 0
		.amdhsa_next_free_vgpr 1
		.amdhsa_next_free_sgpr 1
		.amdhsa_reserve_vcc 0
		.amdhsa_float_round_mode_32 0
		.amdhsa_float_round_mode_16_64 0
		.amdhsa_float_denorm_mode_32 3
		.amdhsa_float_denorm_mode_16_64 3
		.amdhsa_fp16_overflow 0
		.amdhsa_workgroup_processor_mode 1
		.amdhsa_memory_ordered 1
		.amdhsa_forward_progress 1
		.amdhsa_inst_pref_size 0
		.amdhsa_round_robin_scheduling 0
		.amdhsa_exception_fp_ieee_invalid_op 0
		.amdhsa_exception_fp_denorm_src 0
		.amdhsa_exception_fp_ieee_div_zero 0
		.amdhsa_exception_fp_ieee_overflow 0
		.amdhsa_exception_fp_ieee_underflow 0
		.amdhsa_exception_fp_ieee_inexact 0
		.amdhsa_exception_int_div_zero 0
	.end_amdhsa_kernel
	.section	.text._ZN7rocprim17ROCPRIM_400000_NS6detail17trampoline_kernelINS0_13select_configILj256ELj13ELNS0_17block_load_methodE3ELS4_3ELS4_3ELNS0_20block_scan_algorithmE0ELj4294967295EEENS1_25partition_config_selectorILNS1_17partition_subalgoE4EjNS0_10empty_typeEbEEZZNS1_14partition_implILS8_4ELb0ES6_15HIP_vector_typeIjLj2EENS0_17counting_iteratorIjlEEPS9_SG_NS0_5tupleIJPjSI_NS0_16reverse_iteratorISI_EEEEENSH_IJSG_SG_SG_EEES9_SI_JZNS1_25segmented_radix_sort_implINS0_14default_configELb0EPKfPfPKlPlN2at6native12_GLOBAL__N_18offset_tEEE10hipError_tPvRmT1_PNSt15iterator_traitsIS12_E10value_typeET2_T3_PNS13_IS18_E10value_typeET4_jRbjT5_S1E_jjP12ihipStream_tbEUljE_ZNSN_ISO_Lb0ESQ_SR_ST_SU_SY_EESZ_S10_S11_S12_S16_S17_S18_S1B_S1C_jS1D_jS1E_S1E_jjS1G_bEUljE0_EEESZ_S10_S11_S18_S1C_S1E_T6_T7_T9_mT8_S1G_bDpT10_ENKUlT_T0_E_clISt17integral_constantIbLb0EES1U_EEDaS1P_S1Q_EUlS1P_E_NS1_11comp_targetILNS1_3genE3ELNS1_11target_archE908ELNS1_3gpuE7ELNS1_3repE0EEENS1_30default_config_static_selectorELNS0_4arch9wavefront6targetE0EEEvS12_,"axG",@progbits,_ZN7rocprim17ROCPRIM_400000_NS6detail17trampoline_kernelINS0_13select_configILj256ELj13ELNS0_17block_load_methodE3ELS4_3ELS4_3ELNS0_20block_scan_algorithmE0ELj4294967295EEENS1_25partition_config_selectorILNS1_17partition_subalgoE4EjNS0_10empty_typeEbEEZZNS1_14partition_implILS8_4ELb0ES6_15HIP_vector_typeIjLj2EENS0_17counting_iteratorIjlEEPS9_SG_NS0_5tupleIJPjSI_NS0_16reverse_iteratorISI_EEEEENSH_IJSG_SG_SG_EEES9_SI_JZNS1_25segmented_radix_sort_implINS0_14default_configELb0EPKfPfPKlPlN2at6native12_GLOBAL__N_18offset_tEEE10hipError_tPvRmT1_PNSt15iterator_traitsIS12_E10value_typeET2_T3_PNS13_IS18_E10value_typeET4_jRbjT5_S1E_jjP12ihipStream_tbEUljE_ZNSN_ISO_Lb0ESQ_SR_ST_SU_SY_EESZ_S10_S11_S12_S16_S17_S18_S1B_S1C_jS1D_jS1E_S1E_jjS1G_bEUljE0_EEESZ_S10_S11_S18_S1C_S1E_T6_T7_T9_mT8_S1G_bDpT10_ENKUlT_T0_E_clISt17integral_constantIbLb0EES1U_EEDaS1P_S1Q_EUlS1P_E_NS1_11comp_targetILNS1_3genE3ELNS1_11target_archE908ELNS1_3gpuE7ELNS1_3repE0EEENS1_30default_config_static_selectorELNS0_4arch9wavefront6targetE0EEEvS12_,comdat
.Lfunc_end1367:
	.size	_ZN7rocprim17ROCPRIM_400000_NS6detail17trampoline_kernelINS0_13select_configILj256ELj13ELNS0_17block_load_methodE3ELS4_3ELS4_3ELNS0_20block_scan_algorithmE0ELj4294967295EEENS1_25partition_config_selectorILNS1_17partition_subalgoE4EjNS0_10empty_typeEbEEZZNS1_14partition_implILS8_4ELb0ES6_15HIP_vector_typeIjLj2EENS0_17counting_iteratorIjlEEPS9_SG_NS0_5tupleIJPjSI_NS0_16reverse_iteratorISI_EEEEENSH_IJSG_SG_SG_EEES9_SI_JZNS1_25segmented_radix_sort_implINS0_14default_configELb0EPKfPfPKlPlN2at6native12_GLOBAL__N_18offset_tEEE10hipError_tPvRmT1_PNSt15iterator_traitsIS12_E10value_typeET2_T3_PNS13_IS18_E10value_typeET4_jRbjT5_S1E_jjP12ihipStream_tbEUljE_ZNSN_ISO_Lb0ESQ_SR_ST_SU_SY_EESZ_S10_S11_S12_S16_S17_S18_S1B_S1C_jS1D_jS1E_S1E_jjS1G_bEUljE0_EEESZ_S10_S11_S18_S1C_S1E_T6_T7_T9_mT8_S1G_bDpT10_ENKUlT_T0_E_clISt17integral_constantIbLb0EES1U_EEDaS1P_S1Q_EUlS1P_E_NS1_11comp_targetILNS1_3genE3ELNS1_11target_archE908ELNS1_3gpuE7ELNS1_3repE0EEENS1_30default_config_static_selectorELNS0_4arch9wavefront6targetE0EEEvS12_, .Lfunc_end1367-_ZN7rocprim17ROCPRIM_400000_NS6detail17trampoline_kernelINS0_13select_configILj256ELj13ELNS0_17block_load_methodE3ELS4_3ELS4_3ELNS0_20block_scan_algorithmE0ELj4294967295EEENS1_25partition_config_selectorILNS1_17partition_subalgoE4EjNS0_10empty_typeEbEEZZNS1_14partition_implILS8_4ELb0ES6_15HIP_vector_typeIjLj2EENS0_17counting_iteratorIjlEEPS9_SG_NS0_5tupleIJPjSI_NS0_16reverse_iteratorISI_EEEEENSH_IJSG_SG_SG_EEES9_SI_JZNS1_25segmented_radix_sort_implINS0_14default_configELb0EPKfPfPKlPlN2at6native12_GLOBAL__N_18offset_tEEE10hipError_tPvRmT1_PNSt15iterator_traitsIS12_E10value_typeET2_T3_PNS13_IS18_E10value_typeET4_jRbjT5_S1E_jjP12ihipStream_tbEUljE_ZNSN_ISO_Lb0ESQ_SR_ST_SU_SY_EESZ_S10_S11_S12_S16_S17_S18_S1B_S1C_jS1D_jS1E_S1E_jjS1G_bEUljE0_EEESZ_S10_S11_S18_S1C_S1E_T6_T7_T9_mT8_S1G_bDpT10_ENKUlT_T0_E_clISt17integral_constantIbLb0EES1U_EEDaS1P_S1Q_EUlS1P_E_NS1_11comp_targetILNS1_3genE3ELNS1_11target_archE908ELNS1_3gpuE7ELNS1_3repE0EEENS1_30default_config_static_selectorELNS0_4arch9wavefront6targetE0EEEvS12_
                                        ; -- End function
	.set _ZN7rocprim17ROCPRIM_400000_NS6detail17trampoline_kernelINS0_13select_configILj256ELj13ELNS0_17block_load_methodE3ELS4_3ELS4_3ELNS0_20block_scan_algorithmE0ELj4294967295EEENS1_25partition_config_selectorILNS1_17partition_subalgoE4EjNS0_10empty_typeEbEEZZNS1_14partition_implILS8_4ELb0ES6_15HIP_vector_typeIjLj2EENS0_17counting_iteratorIjlEEPS9_SG_NS0_5tupleIJPjSI_NS0_16reverse_iteratorISI_EEEEENSH_IJSG_SG_SG_EEES9_SI_JZNS1_25segmented_radix_sort_implINS0_14default_configELb0EPKfPfPKlPlN2at6native12_GLOBAL__N_18offset_tEEE10hipError_tPvRmT1_PNSt15iterator_traitsIS12_E10value_typeET2_T3_PNS13_IS18_E10value_typeET4_jRbjT5_S1E_jjP12ihipStream_tbEUljE_ZNSN_ISO_Lb0ESQ_SR_ST_SU_SY_EESZ_S10_S11_S12_S16_S17_S18_S1B_S1C_jS1D_jS1E_S1E_jjS1G_bEUljE0_EEESZ_S10_S11_S18_S1C_S1E_T6_T7_T9_mT8_S1G_bDpT10_ENKUlT_T0_E_clISt17integral_constantIbLb0EES1U_EEDaS1P_S1Q_EUlS1P_E_NS1_11comp_targetILNS1_3genE3ELNS1_11target_archE908ELNS1_3gpuE7ELNS1_3repE0EEENS1_30default_config_static_selectorELNS0_4arch9wavefront6targetE0EEEvS12_.num_vgpr, 0
	.set _ZN7rocprim17ROCPRIM_400000_NS6detail17trampoline_kernelINS0_13select_configILj256ELj13ELNS0_17block_load_methodE3ELS4_3ELS4_3ELNS0_20block_scan_algorithmE0ELj4294967295EEENS1_25partition_config_selectorILNS1_17partition_subalgoE4EjNS0_10empty_typeEbEEZZNS1_14partition_implILS8_4ELb0ES6_15HIP_vector_typeIjLj2EENS0_17counting_iteratorIjlEEPS9_SG_NS0_5tupleIJPjSI_NS0_16reverse_iteratorISI_EEEEENSH_IJSG_SG_SG_EEES9_SI_JZNS1_25segmented_radix_sort_implINS0_14default_configELb0EPKfPfPKlPlN2at6native12_GLOBAL__N_18offset_tEEE10hipError_tPvRmT1_PNSt15iterator_traitsIS12_E10value_typeET2_T3_PNS13_IS18_E10value_typeET4_jRbjT5_S1E_jjP12ihipStream_tbEUljE_ZNSN_ISO_Lb0ESQ_SR_ST_SU_SY_EESZ_S10_S11_S12_S16_S17_S18_S1B_S1C_jS1D_jS1E_S1E_jjS1G_bEUljE0_EEESZ_S10_S11_S18_S1C_S1E_T6_T7_T9_mT8_S1G_bDpT10_ENKUlT_T0_E_clISt17integral_constantIbLb0EES1U_EEDaS1P_S1Q_EUlS1P_E_NS1_11comp_targetILNS1_3genE3ELNS1_11target_archE908ELNS1_3gpuE7ELNS1_3repE0EEENS1_30default_config_static_selectorELNS0_4arch9wavefront6targetE0EEEvS12_.num_agpr, 0
	.set _ZN7rocprim17ROCPRIM_400000_NS6detail17trampoline_kernelINS0_13select_configILj256ELj13ELNS0_17block_load_methodE3ELS4_3ELS4_3ELNS0_20block_scan_algorithmE0ELj4294967295EEENS1_25partition_config_selectorILNS1_17partition_subalgoE4EjNS0_10empty_typeEbEEZZNS1_14partition_implILS8_4ELb0ES6_15HIP_vector_typeIjLj2EENS0_17counting_iteratorIjlEEPS9_SG_NS0_5tupleIJPjSI_NS0_16reverse_iteratorISI_EEEEENSH_IJSG_SG_SG_EEES9_SI_JZNS1_25segmented_radix_sort_implINS0_14default_configELb0EPKfPfPKlPlN2at6native12_GLOBAL__N_18offset_tEEE10hipError_tPvRmT1_PNSt15iterator_traitsIS12_E10value_typeET2_T3_PNS13_IS18_E10value_typeET4_jRbjT5_S1E_jjP12ihipStream_tbEUljE_ZNSN_ISO_Lb0ESQ_SR_ST_SU_SY_EESZ_S10_S11_S12_S16_S17_S18_S1B_S1C_jS1D_jS1E_S1E_jjS1G_bEUljE0_EEESZ_S10_S11_S18_S1C_S1E_T6_T7_T9_mT8_S1G_bDpT10_ENKUlT_T0_E_clISt17integral_constantIbLb0EES1U_EEDaS1P_S1Q_EUlS1P_E_NS1_11comp_targetILNS1_3genE3ELNS1_11target_archE908ELNS1_3gpuE7ELNS1_3repE0EEENS1_30default_config_static_selectorELNS0_4arch9wavefront6targetE0EEEvS12_.numbered_sgpr, 0
	.set _ZN7rocprim17ROCPRIM_400000_NS6detail17trampoline_kernelINS0_13select_configILj256ELj13ELNS0_17block_load_methodE3ELS4_3ELS4_3ELNS0_20block_scan_algorithmE0ELj4294967295EEENS1_25partition_config_selectorILNS1_17partition_subalgoE4EjNS0_10empty_typeEbEEZZNS1_14partition_implILS8_4ELb0ES6_15HIP_vector_typeIjLj2EENS0_17counting_iteratorIjlEEPS9_SG_NS0_5tupleIJPjSI_NS0_16reverse_iteratorISI_EEEEENSH_IJSG_SG_SG_EEES9_SI_JZNS1_25segmented_radix_sort_implINS0_14default_configELb0EPKfPfPKlPlN2at6native12_GLOBAL__N_18offset_tEEE10hipError_tPvRmT1_PNSt15iterator_traitsIS12_E10value_typeET2_T3_PNS13_IS18_E10value_typeET4_jRbjT5_S1E_jjP12ihipStream_tbEUljE_ZNSN_ISO_Lb0ESQ_SR_ST_SU_SY_EESZ_S10_S11_S12_S16_S17_S18_S1B_S1C_jS1D_jS1E_S1E_jjS1G_bEUljE0_EEESZ_S10_S11_S18_S1C_S1E_T6_T7_T9_mT8_S1G_bDpT10_ENKUlT_T0_E_clISt17integral_constantIbLb0EES1U_EEDaS1P_S1Q_EUlS1P_E_NS1_11comp_targetILNS1_3genE3ELNS1_11target_archE908ELNS1_3gpuE7ELNS1_3repE0EEENS1_30default_config_static_selectorELNS0_4arch9wavefront6targetE0EEEvS12_.num_named_barrier, 0
	.set _ZN7rocprim17ROCPRIM_400000_NS6detail17trampoline_kernelINS0_13select_configILj256ELj13ELNS0_17block_load_methodE3ELS4_3ELS4_3ELNS0_20block_scan_algorithmE0ELj4294967295EEENS1_25partition_config_selectorILNS1_17partition_subalgoE4EjNS0_10empty_typeEbEEZZNS1_14partition_implILS8_4ELb0ES6_15HIP_vector_typeIjLj2EENS0_17counting_iteratorIjlEEPS9_SG_NS0_5tupleIJPjSI_NS0_16reverse_iteratorISI_EEEEENSH_IJSG_SG_SG_EEES9_SI_JZNS1_25segmented_radix_sort_implINS0_14default_configELb0EPKfPfPKlPlN2at6native12_GLOBAL__N_18offset_tEEE10hipError_tPvRmT1_PNSt15iterator_traitsIS12_E10value_typeET2_T3_PNS13_IS18_E10value_typeET4_jRbjT5_S1E_jjP12ihipStream_tbEUljE_ZNSN_ISO_Lb0ESQ_SR_ST_SU_SY_EESZ_S10_S11_S12_S16_S17_S18_S1B_S1C_jS1D_jS1E_S1E_jjS1G_bEUljE0_EEESZ_S10_S11_S18_S1C_S1E_T6_T7_T9_mT8_S1G_bDpT10_ENKUlT_T0_E_clISt17integral_constantIbLb0EES1U_EEDaS1P_S1Q_EUlS1P_E_NS1_11comp_targetILNS1_3genE3ELNS1_11target_archE908ELNS1_3gpuE7ELNS1_3repE0EEENS1_30default_config_static_selectorELNS0_4arch9wavefront6targetE0EEEvS12_.private_seg_size, 0
	.set _ZN7rocprim17ROCPRIM_400000_NS6detail17trampoline_kernelINS0_13select_configILj256ELj13ELNS0_17block_load_methodE3ELS4_3ELS4_3ELNS0_20block_scan_algorithmE0ELj4294967295EEENS1_25partition_config_selectorILNS1_17partition_subalgoE4EjNS0_10empty_typeEbEEZZNS1_14partition_implILS8_4ELb0ES6_15HIP_vector_typeIjLj2EENS0_17counting_iteratorIjlEEPS9_SG_NS0_5tupleIJPjSI_NS0_16reverse_iteratorISI_EEEEENSH_IJSG_SG_SG_EEES9_SI_JZNS1_25segmented_radix_sort_implINS0_14default_configELb0EPKfPfPKlPlN2at6native12_GLOBAL__N_18offset_tEEE10hipError_tPvRmT1_PNSt15iterator_traitsIS12_E10value_typeET2_T3_PNS13_IS18_E10value_typeET4_jRbjT5_S1E_jjP12ihipStream_tbEUljE_ZNSN_ISO_Lb0ESQ_SR_ST_SU_SY_EESZ_S10_S11_S12_S16_S17_S18_S1B_S1C_jS1D_jS1E_S1E_jjS1G_bEUljE0_EEESZ_S10_S11_S18_S1C_S1E_T6_T7_T9_mT8_S1G_bDpT10_ENKUlT_T0_E_clISt17integral_constantIbLb0EES1U_EEDaS1P_S1Q_EUlS1P_E_NS1_11comp_targetILNS1_3genE3ELNS1_11target_archE908ELNS1_3gpuE7ELNS1_3repE0EEENS1_30default_config_static_selectorELNS0_4arch9wavefront6targetE0EEEvS12_.uses_vcc, 0
	.set _ZN7rocprim17ROCPRIM_400000_NS6detail17trampoline_kernelINS0_13select_configILj256ELj13ELNS0_17block_load_methodE3ELS4_3ELS4_3ELNS0_20block_scan_algorithmE0ELj4294967295EEENS1_25partition_config_selectorILNS1_17partition_subalgoE4EjNS0_10empty_typeEbEEZZNS1_14partition_implILS8_4ELb0ES6_15HIP_vector_typeIjLj2EENS0_17counting_iteratorIjlEEPS9_SG_NS0_5tupleIJPjSI_NS0_16reverse_iteratorISI_EEEEENSH_IJSG_SG_SG_EEES9_SI_JZNS1_25segmented_radix_sort_implINS0_14default_configELb0EPKfPfPKlPlN2at6native12_GLOBAL__N_18offset_tEEE10hipError_tPvRmT1_PNSt15iterator_traitsIS12_E10value_typeET2_T3_PNS13_IS18_E10value_typeET4_jRbjT5_S1E_jjP12ihipStream_tbEUljE_ZNSN_ISO_Lb0ESQ_SR_ST_SU_SY_EESZ_S10_S11_S12_S16_S17_S18_S1B_S1C_jS1D_jS1E_S1E_jjS1G_bEUljE0_EEESZ_S10_S11_S18_S1C_S1E_T6_T7_T9_mT8_S1G_bDpT10_ENKUlT_T0_E_clISt17integral_constantIbLb0EES1U_EEDaS1P_S1Q_EUlS1P_E_NS1_11comp_targetILNS1_3genE3ELNS1_11target_archE908ELNS1_3gpuE7ELNS1_3repE0EEENS1_30default_config_static_selectorELNS0_4arch9wavefront6targetE0EEEvS12_.uses_flat_scratch, 0
	.set _ZN7rocprim17ROCPRIM_400000_NS6detail17trampoline_kernelINS0_13select_configILj256ELj13ELNS0_17block_load_methodE3ELS4_3ELS4_3ELNS0_20block_scan_algorithmE0ELj4294967295EEENS1_25partition_config_selectorILNS1_17partition_subalgoE4EjNS0_10empty_typeEbEEZZNS1_14partition_implILS8_4ELb0ES6_15HIP_vector_typeIjLj2EENS0_17counting_iteratorIjlEEPS9_SG_NS0_5tupleIJPjSI_NS0_16reverse_iteratorISI_EEEEENSH_IJSG_SG_SG_EEES9_SI_JZNS1_25segmented_radix_sort_implINS0_14default_configELb0EPKfPfPKlPlN2at6native12_GLOBAL__N_18offset_tEEE10hipError_tPvRmT1_PNSt15iterator_traitsIS12_E10value_typeET2_T3_PNS13_IS18_E10value_typeET4_jRbjT5_S1E_jjP12ihipStream_tbEUljE_ZNSN_ISO_Lb0ESQ_SR_ST_SU_SY_EESZ_S10_S11_S12_S16_S17_S18_S1B_S1C_jS1D_jS1E_S1E_jjS1G_bEUljE0_EEESZ_S10_S11_S18_S1C_S1E_T6_T7_T9_mT8_S1G_bDpT10_ENKUlT_T0_E_clISt17integral_constantIbLb0EES1U_EEDaS1P_S1Q_EUlS1P_E_NS1_11comp_targetILNS1_3genE3ELNS1_11target_archE908ELNS1_3gpuE7ELNS1_3repE0EEENS1_30default_config_static_selectorELNS0_4arch9wavefront6targetE0EEEvS12_.has_dyn_sized_stack, 0
	.set _ZN7rocprim17ROCPRIM_400000_NS6detail17trampoline_kernelINS0_13select_configILj256ELj13ELNS0_17block_load_methodE3ELS4_3ELS4_3ELNS0_20block_scan_algorithmE0ELj4294967295EEENS1_25partition_config_selectorILNS1_17partition_subalgoE4EjNS0_10empty_typeEbEEZZNS1_14partition_implILS8_4ELb0ES6_15HIP_vector_typeIjLj2EENS0_17counting_iteratorIjlEEPS9_SG_NS0_5tupleIJPjSI_NS0_16reverse_iteratorISI_EEEEENSH_IJSG_SG_SG_EEES9_SI_JZNS1_25segmented_radix_sort_implINS0_14default_configELb0EPKfPfPKlPlN2at6native12_GLOBAL__N_18offset_tEEE10hipError_tPvRmT1_PNSt15iterator_traitsIS12_E10value_typeET2_T3_PNS13_IS18_E10value_typeET4_jRbjT5_S1E_jjP12ihipStream_tbEUljE_ZNSN_ISO_Lb0ESQ_SR_ST_SU_SY_EESZ_S10_S11_S12_S16_S17_S18_S1B_S1C_jS1D_jS1E_S1E_jjS1G_bEUljE0_EEESZ_S10_S11_S18_S1C_S1E_T6_T7_T9_mT8_S1G_bDpT10_ENKUlT_T0_E_clISt17integral_constantIbLb0EES1U_EEDaS1P_S1Q_EUlS1P_E_NS1_11comp_targetILNS1_3genE3ELNS1_11target_archE908ELNS1_3gpuE7ELNS1_3repE0EEENS1_30default_config_static_selectorELNS0_4arch9wavefront6targetE0EEEvS12_.has_recursion, 0
	.set _ZN7rocprim17ROCPRIM_400000_NS6detail17trampoline_kernelINS0_13select_configILj256ELj13ELNS0_17block_load_methodE3ELS4_3ELS4_3ELNS0_20block_scan_algorithmE0ELj4294967295EEENS1_25partition_config_selectorILNS1_17partition_subalgoE4EjNS0_10empty_typeEbEEZZNS1_14partition_implILS8_4ELb0ES6_15HIP_vector_typeIjLj2EENS0_17counting_iteratorIjlEEPS9_SG_NS0_5tupleIJPjSI_NS0_16reverse_iteratorISI_EEEEENSH_IJSG_SG_SG_EEES9_SI_JZNS1_25segmented_radix_sort_implINS0_14default_configELb0EPKfPfPKlPlN2at6native12_GLOBAL__N_18offset_tEEE10hipError_tPvRmT1_PNSt15iterator_traitsIS12_E10value_typeET2_T3_PNS13_IS18_E10value_typeET4_jRbjT5_S1E_jjP12ihipStream_tbEUljE_ZNSN_ISO_Lb0ESQ_SR_ST_SU_SY_EESZ_S10_S11_S12_S16_S17_S18_S1B_S1C_jS1D_jS1E_S1E_jjS1G_bEUljE0_EEESZ_S10_S11_S18_S1C_S1E_T6_T7_T9_mT8_S1G_bDpT10_ENKUlT_T0_E_clISt17integral_constantIbLb0EES1U_EEDaS1P_S1Q_EUlS1P_E_NS1_11comp_targetILNS1_3genE3ELNS1_11target_archE908ELNS1_3gpuE7ELNS1_3repE0EEENS1_30default_config_static_selectorELNS0_4arch9wavefront6targetE0EEEvS12_.has_indirect_call, 0
	.section	.AMDGPU.csdata,"",@progbits
; Kernel info:
; codeLenInByte = 0
; TotalNumSgprs: 0
; NumVgprs: 0
; ScratchSize: 0
; MemoryBound: 0
; FloatMode: 240
; IeeeMode: 1
; LDSByteSize: 0 bytes/workgroup (compile time only)
; SGPRBlocks: 0
; VGPRBlocks: 0
; NumSGPRsForWavesPerEU: 1
; NumVGPRsForWavesPerEU: 1
; Occupancy: 16
; WaveLimiterHint : 0
; COMPUTE_PGM_RSRC2:SCRATCH_EN: 0
; COMPUTE_PGM_RSRC2:USER_SGPR: 2
; COMPUTE_PGM_RSRC2:TRAP_HANDLER: 0
; COMPUTE_PGM_RSRC2:TGID_X_EN: 1
; COMPUTE_PGM_RSRC2:TGID_Y_EN: 0
; COMPUTE_PGM_RSRC2:TGID_Z_EN: 0
; COMPUTE_PGM_RSRC2:TIDIG_COMP_CNT: 0
	.section	.text._ZN7rocprim17ROCPRIM_400000_NS6detail17trampoline_kernelINS0_13select_configILj256ELj13ELNS0_17block_load_methodE3ELS4_3ELS4_3ELNS0_20block_scan_algorithmE0ELj4294967295EEENS1_25partition_config_selectorILNS1_17partition_subalgoE4EjNS0_10empty_typeEbEEZZNS1_14partition_implILS8_4ELb0ES6_15HIP_vector_typeIjLj2EENS0_17counting_iteratorIjlEEPS9_SG_NS0_5tupleIJPjSI_NS0_16reverse_iteratorISI_EEEEENSH_IJSG_SG_SG_EEES9_SI_JZNS1_25segmented_radix_sort_implINS0_14default_configELb0EPKfPfPKlPlN2at6native12_GLOBAL__N_18offset_tEEE10hipError_tPvRmT1_PNSt15iterator_traitsIS12_E10value_typeET2_T3_PNS13_IS18_E10value_typeET4_jRbjT5_S1E_jjP12ihipStream_tbEUljE_ZNSN_ISO_Lb0ESQ_SR_ST_SU_SY_EESZ_S10_S11_S12_S16_S17_S18_S1B_S1C_jS1D_jS1E_S1E_jjS1G_bEUljE0_EEESZ_S10_S11_S18_S1C_S1E_T6_T7_T9_mT8_S1G_bDpT10_ENKUlT_T0_E_clISt17integral_constantIbLb0EES1U_EEDaS1P_S1Q_EUlS1P_E_NS1_11comp_targetILNS1_3genE2ELNS1_11target_archE906ELNS1_3gpuE6ELNS1_3repE0EEENS1_30default_config_static_selectorELNS0_4arch9wavefront6targetE0EEEvS12_,"axG",@progbits,_ZN7rocprim17ROCPRIM_400000_NS6detail17trampoline_kernelINS0_13select_configILj256ELj13ELNS0_17block_load_methodE3ELS4_3ELS4_3ELNS0_20block_scan_algorithmE0ELj4294967295EEENS1_25partition_config_selectorILNS1_17partition_subalgoE4EjNS0_10empty_typeEbEEZZNS1_14partition_implILS8_4ELb0ES6_15HIP_vector_typeIjLj2EENS0_17counting_iteratorIjlEEPS9_SG_NS0_5tupleIJPjSI_NS0_16reverse_iteratorISI_EEEEENSH_IJSG_SG_SG_EEES9_SI_JZNS1_25segmented_radix_sort_implINS0_14default_configELb0EPKfPfPKlPlN2at6native12_GLOBAL__N_18offset_tEEE10hipError_tPvRmT1_PNSt15iterator_traitsIS12_E10value_typeET2_T3_PNS13_IS18_E10value_typeET4_jRbjT5_S1E_jjP12ihipStream_tbEUljE_ZNSN_ISO_Lb0ESQ_SR_ST_SU_SY_EESZ_S10_S11_S12_S16_S17_S18_S1B_S1C_jS1D_jS1E_S1E_jjS1G_bEUljE0_EEESZ_S10_S11_S18_S1C_S1E_T6_T7_T9_mT8_S1G_bDpT10_ENKUlT_T0_E_clISt17integral_constantIbLb0EES1U_EEDaS1P_S1Q_EUlS1P_E_NS1_11comp_targetILNS1_3genE2ELNS1_11target_archE906ELNS1_3gpuE6ELNS1_3repE0EEENS1_30default_config_static_selectorELNS0_4arch9wavefront6targetE0EEEvS12_,comdat
	.globl	_ZN7rocprim17ROCPRIM_400000_NS6detail17trampoline_kernelINS0_13select_configILj256ELj13ELNS0_17block_load_methodE3ELS4_3ELS4_3ELNS0_20block_scan_algorithmE0ELj4294967295EEENS1_25partition_config_selectorILNS1_17partition_subalgoE4EjNS0_10empty_typeEbEEZZNS1_14partition_implILS8_4ELb0ES6_15HIP_vector_typeIjLj2EENS0_17counting_iteratorIjlEEPS9_SG_NS0_5tupleIJPjSI_NS0_16reverse_iteratorISI_EEEEENSH_IJSG_SG_SG_EEES9_SI_JZNS1_25segmented_radix_sort_implINS0_14default_configELb0EPKfPfPKlPlN2at6native12_GLOBAL__N_18offset_tEEE10hipError_tPvRmT1_PNSt15iterator_traitsIS12_E10value_typeET2_T3_PNS13_IS18_E10value_typeET4_jRbjT5_S1E_jjP12ihipStream_tbEUljE_ZNSN_ISO_Lb0ESQ_SR_ST_SU_SY_EESZ_S10_S11_S12_S16_S17_S18_S1B_S1C_jS1D_jS1E_S1E_jjS1G_bEUljE0_EEESZ_S10_S11_S18_S1C_S1E_T6_T7_T9_mT8_S1G_bDpT10_ENKUlT_T0_E_clISt17integral_constantIbLb0EES1U_EEDaS1P_S1Q_EUlS1P_E_NS1_11comp_targetILNS1_3genE2ELNS1_11target_archE906ELNS1_3gpuE6ELNS1_3repE0EEENS1_30default_config_static_selectorELNS0_4arch9wavefront6targetE0EEEvS12_ ; -- Begin function _ZN7rocprim17ROCPRIM_400000_NS6detail17trampoline_kernelINS0_13select_configILj256ELj13ELNS0_17block_load_methodE3ELS4_3ELS4_3ELNS0_20block_scan_algorithmE0ELj4294967295EEENS1_25partition_config_selectorILNS1_17partition_subalgoE4EjNS0_10empty_typeEbEEZZNS1_14partition_implILS8_4ELb0ES6_15HIP_vector_typeIjLj2EENS0_17counting_iteratorIjlEEPS9_SG_NS0_5tupleIJPjSI_NS0_16reverse_iteratorISI_EEEEENSH_IJSG_SG_SG_EEES9_SI_JZNS1_25segmented_radix_sort_implINS0_14default_configELb0EPKfPfPKlPlN2at6native12_GLOBAL__N_18offset_tEEE10hipError_tPvRmT1_PNSt15iterator_traitsIS12_E10value_typeET2_T3_PNS13_IS18_E10value_typeET4_jRbjT5_S1E_jjP12ihipStream_tbEUljE_ZNSN_ISO_Lb0ESQ_SR_ST_SU_SY_EESZ_S10_S11_S12_S16_S17_S18_S1B_S1C_jS1D_jS1E_S1E_jjS1G_bEUljE0_EEESZ_S10_S11_S18_S1C_S1E_T6_T7_T9_mT8_S1G_bDpT10_ENKUlT_T0_E_clISt17integral_constantIbLb0EES1U_EEDaS1P_S1Q_EUlS1P_E_NS1_11comp_targetILNS1_3genE2ELNS1_11target_archE906ELNS1_3gpuE6ELNS1_3repE0EEENS1_30default_config_static_selectorELNS0_4arch9wavefront6targetE0EEEvS12_
	.p2align	8
	.type	_ZN7rocprim17ROCPRIM_400000_NS6detail17trampoline_kernelINS0_13select_configILj256ELj13ELNS0_17block_load_methodE3ELS4_3ELS4_3ELNS0_20block_scan_algorithmE0ELj4294967295EEENS1_25partition_config_selectorILNS1_17partition_subalgoE4EjNS0_10empty_typeEbEEZZNS1_14partition_implILS8_4ELb0ES6_15HIP_vector_typeIjLj2EENS0_17counting_iteratorIjlEEPS9_SG_NS0_5tupleIJPjSI_NS0_16reverse_iteratorISI_EEEEENSH_IJSG_SG_SG_EEES9_SI_JZNS1_25segmented_radix_sort_implINS0_14default_configELb0EPKfPfPKlPlN2at6native12_GLOBAL__N_18offset_tEEE10hipError_tPvRmT1_PNSt15iterator_traitsIS12_E10value_typeET2_T3_PNS13_IS18_E10value_typeET4_jRbjT5_S1E_jjP12ihipStream_tbEUljE_ZNSN_ISO_Lb0ESQ_SR_ST_SU_SY_EESZ_S10_S11_S12_S16_S17_S18_S1B_S1C_jS1D_jS1E_S1E_jjS1G_bEUljE0_EEESZ_S10_S11_S18_S1C_S1E_T6_T7_T9_mT8_S1G_bDpT10_ENKUlT_T0_E_clISt17integral_constantIbLb0EES1U_EEDaS1P_S1Q_EUlS1P_E_NS1_11comp_targetILNS1_3genE2ELNS1_11target_archE906ELNS1_3gpuE6ELNS1_3repE0EEENS1_30default_config_static_selectorELNS0_4arch9wavefront6targetE0EEEvS12_,@function
_ZN7rocprim17ROCPRIM_400000_NS6detail17trampoline_kernelINS0_13select_configILj256ELj13ELNS0_17block_load_methodE3ELS4_3ELS4_3ELNS0_20block_scan_algorithmE0ELj4294967295EEENS1_25partition_config_selectorILNS1_17partition_subalgoE4EjNS0_10empty_typeEbEEZZNS1_14partition_implILS8_4ELb0ES6_15HIP_vector_typeIjLj2EENS0_17counting_iteratorIjlEEPS9_SG_NS0_5tupleIJPjSI_NS0_16reverse_iteratorISI_EEEEENSH_IJSG_SG_SG_EEES9_SI_JZNS1_25segmented_radix_sort_implINS0_14default_configELb0EPKfPfPKlPlN2at6native12_GLOBAL__N_18offset_tEEE10hipError_tPvRmT1_PNSt15iterator_traitsIS12_E10value_typeET2_T3_PNS13_IS18_E10value_typeET4_jRbjT5_S1E_jjP12ihipStream_tbEUljE_ZNSN_ISO_Lb0ESQ_SR_ST_SU_SY_EESZ_S10_S11_S12_S16_S17_S18_S1B_S1C_jS1D_jS1E_S1E_jjS1G_bEUljE0_EEESZ_S10_S11_S18_S1C_S1E_T6_T7_T9_mT8_S1G_bDpT10_ENKUlT_T0_E_clISt17integral_constantIbLb0EES1U_EEDaS1P_S1Q_EUlS1P_E_NS1_11comp_targetILNS1_3genE2ELNS1_11target_archE906ELNS1_3gpuE6ELNS1_3repE0EEENS1_30default_config_static_selectorELNS0_4arch9wavefront6targetE0EEEvS12_: ; @_ZN7rocprim17ROCPRIM_400000_NS6detail17trampoline_kernelINS0_13select_configILj256ELj13ELNS0_17block_load_methodE3ELS4_3ELS4_3ELNS0_20block_scan_algorithmE0ELj4294967295EEENS1_25partition_config_selectorILNS1_17partition_subalgoE4EjNS0_10empty_typeEbEEZZNS1_14partition_implILS8_4ELb0ES6_15HIP_vector_typeIjLj2EENS0_17counting_iteratorIjlEEPS9_SG_NS0_5tupleIJPjSI_NS0_16reverse_iteratorISI_EEEEENSH_IJSG_SG_SG_EEES9_SI_JZNS1_25segmented_radix_sort_implINS0_14default_configELb0EPKfPfPKlPlN2at6native12_GLOBAL__N_18offset_tEEE10hipError_tPvRmT1_PNSt15iterator_traitsIS12_E10value_typeET2_T3_PNS13_IS18_E10value_typeET4_jRbjT5_S1E_jjP12ihipStream_tbEUljE_ZNSN_ISO_Lb0ESQ_SR_ST_SU_SY_EESZ_S10_S11_S12_S16_S17_S18_S1B_S1C_jS1D_jS1E_S1E_jjS1G_bEUljE0_EEESZ_S10_S11_S18_S1C_S1E_T6_T7_T9_mT8_S1G_bDpT10_ENKUlT_T0_E_clISt17integral_constantIbLb0EES1U_EEDaS1P_S1Q_EUlS1P_E_NS1_11comp_targetILNS1_3genE2ELNS1_11target_archE906ELNS1_3gpuE6ELNS1_3repE0EEENS1_30default_config_static_selectorELNS0_4arch9wavefront6targetE0EEEvS12_
; %bb.0:
	.section	.rodata,"a",@progbits
	.p2align	6, 0x0
	.amdhsa_kernel _ZN7rocprim17ROCPRIM_400000_NS6detail17trampoline_kernelINS0_13select_configILj256ELj13ELNS0_17block_load_methodE3ELS4_3ELS4_3ELNS0_20block_scan_algorithmE0ELj4294967295EEENS1_25partition_config_selectorILNS1_17partition_subalgoE4EjNS0_10empty_typeEbEEZZNS1_14partition_implILS8_4ELb0ES6_15HIP_vector_typeIjLj2EENS0_17counting_iteratorIjlEEPS9_SG_NS0_5tupleIJPjSI_NS0_16reverse_iteratorISI_EEEEENSH_IJSG_SG_SG_EEES9_SI_JZNS1_25segmented_radix_sort_implINS0_14default_configELb0EPKfPfPKlPlN2at6native12_GLOBAL__N_18offset_tEEE10hipError_tPvRmT1_PNSt15iterator_traitsIS12_E10value_typeET2_T3_PNS13_IS18_E10value_typeET4_jRbjT5_S1E_jjP12ihipStream_tbEUljE_ZNSN_ISO_Lb0ESQ_SR_ST_SU_SY_EESZ_S10_S11_S12_S16_S17_S18_S1B_S1C_jS1D_jS1E_S1E_jjS1G_bEUljE0_EEESZ_S10_S11_S18_S1C_S1E_T6_T7_T9_mT8_S1G_bDpT10_ENKUlT_T0_E_clISt17integral_constantIbLb0EES1U_EEDaS1P_S1Q_EUlS1P_E_NS1_11comp_targetILNS1_3genE2ELNS1_11target_archE906ELNS1_3gpuE6ELNS1_3repE0EEENS1_30default_config_static_selectorELNS0_4arch9wavefront6targetE0EEEvS12_
		.amdhsa_group_segment_fixed_size 0
		.amdhsa_private_segment_fixed_size 0
		.amdhsa_kernarg_size 176
		.amdhsa_user_sgpr_count 2
		.amdhsa_user_sgpr_dispatch_ptr 0
		.amdhsa_user_sgpr_queue_ptr 0
		.amdhsa_user_sgpr_kernarg_segment_ptr 1
		.amdhsa_user_sgpr_dispatch_id 0
		.amdhsa_user_sgpr_private_segment_size 0
		.amdhsa_wavefront_size32 1
		.amdhsa_uses_dynamic_stack 0
		.amdhsa_enable_private_segment 0
		.amdhsa_system_sgpr_workgroup_id_x 1
		.amdhsa_system_sgpr_workgroup_id_y 0
		.amdhsa_system_sgpr_workgroup_id_z 0
		.amdhsa_system_sgpr_workgroup_info 0
		.amdhsa_system_vgpr_workitem_id 0
		.amdhsa_next_free_vgpr 1
		.amdhsa_next_free_sgpr 1
		.amdhsa_reserve_vcc 0
		.amdhsa_float_round_mode_32 0
		.amdhsa_float_round_mode_16_64 0
		.amdhsa_float_denorm_mode_32 3
		.amdhsa_float_denorm_mode_16_64 3
		.amdhsa_fp16_overflow 0
		.amdhsa_workgroup_processor_mode 1
		.amdhsa_memory_ordered 1
		.amdhsa_forward_progress 1
		.amdhsa_inst_pref_size 0
		.amdhsa_round_robin_scheduling 0
		.amdhsa_exception_fp_ieee_invalid_op 0
		.amdhsa_exception_fp_denorm_src 0
		.amdhsa_exception_fp_ieee_div_zero 0
		.amdhsa_exception_fp_ieee_overflow 0
		.amdhsa_exception_fp_ieee_underflow 0
		.amdhsa_exception_fp_ieee_inexact 0
		.amdhsa_exception_int_div_zero 0
	.end_amdhsa_kernel
	.section	.text._ZN7rocprim17ROCPRIM_400000_NS6detail17trampoline_kernelINS0_13select_configILj256ELj13ELNS0_17block_load_methodE3ELS4_3ELS4_3ELNS0_20block_scan_algorithmE0ELj4294967295EEENS1_25partition_config_selectorILNS1_17partition_subalgoE4EjNS0_10empty_typeEbEEZZNS1_14partition_implILS8_4ELb0ES6_15HIP_vector_typeIjLj2EENS0_17counting_iteratorIjlEEPS9_SG_NS0_5tupleIJPjSI_NS0_16reverse_iteratorISI_EEEEENSH_IJSG_SG_SG_EEES9_SI_JZNS1_25segmented_radix_sort_implINS0_14default_configELb0EPKfPfPKlPlN2at6native12_GLOBAL__N_18offset_tEEE10hipError_tPvRmT1_PNSt15iterator_traitsIS12_E10value_typeET2_T3_PNS13_IS18_E10value_typeET4_jRbjT5_S1E_jjP12ihipStream_tbEUljE_ZNSN_ISO_Lb0ESQ_SR_ST_SU_SY_EESZ_S10_S11_S12_S16_S17_S18_S1B_S1C_jS1D_jS1E_S1E_jjS1G_bEUljE0_EEESZ_S10_S11_S18_S1C_S1E_T6_T7_T9_mT8_S1G_bDpT10_ENKUlT_T0_E_clISt17integral_constantIbLb0EES1U_EEDaS1P_S1Q_EUlS1P_E_NS1_11comp_targetILNS1_3genE2ELNS1_11target_archE906ELNS1_3gpuE6ELNS1_3repE0EEENS1_30default_config_static_selectorELNS0_4arch9wavefront6targetE0EEEvS12_,"axG",@progbits,_ZN7rocprim17ROCPRIM_400000_NS6detail17trampoline_kernelINS0_13select_configILj256ELj13ELNS0_17block_load_methodE3ELS4_3ELS4_3ELNS0_20block_scan_algorithmE0ELj4294967295EEENS1_25partition_config_selectorILNS1_17partition_subalgoE4EjNS0_10empty_typeEbEEZZNS1_14partition_implILS8_4ELb0ES6_15HIP_vector_typeIjLj2EENS0_17counting_iteratorIjlEEPS9_SG_NS0_5tupleIJPjSI_NS0_16reverse_iteratorISI_EEEEENSH_IJSG_SG_SG_EEES9_SI_JZNS1_25segmented_radix_sort_implINS0_14default_configELb0EPKfPfPKlPlN2at6native12_GLOBAL__N_18offset_tEEE10hipError_tPvRmT1_PNSt15iterator_traitsIS12_E10value_typeET2_T3_PNS13_IS18_E10value_typeET4_jRbjT5_S1E_jjP12ihipStream_tbEUljE_ZNSN_ISO_Lb0ESQ_SR_ST_SU_SY_EESZ_S10_S11_S12_S16_S17_S18_S1B_S1C_jS1D_jS1E_S1E_jjS1G_bEUljE0_EEESZ_S10_S11_S18_S1C_S1E_T6_T7_T9_mT8_S1G_bDpT10_ENKUlT_T0_E_clISt17integral_constantIbLb0EES1U_EEDaS1P_S1Q_EUlS1P_E_NS1_11comp_targetILNS1_3genE2ELNS1_11target_archE906ELNS1_3gpuE6ELNS1_3repE0EEENS1_30default_config_static_selectorELNS0_4arch9wavefront6targetE0EEEvS12_,comdat
.Lfunc_end1368:
	.size	_ZN7rocprim17ROCPRIM_400000_NS6detail17trampoline_kernelINS0_13select_configILj256ELj13ELNS0_17block_load_methodE3ELS4_3ELS4_3ELNS0_20block_scan_algorithmE0ELj4294967295EEENS1_25partition_config_selectorILNS1_17partition_subalgoE4EjNS0_10empty_typeEbEEZZNS1_14partition_implILS8_4ELb0ES6_15HIP_vector_typeIjLj2EENS0_17counting_iteratorIjlEEPS9_SG_NS0_5tupleIJPjSI_NS0_16reverse_iteratorISI_EEEEENSH_IJSG_SG_SG_EEES9_SI_JZNS1_25segmented_radix_sort_implINS0_14default_configELb0EPKfPfPKlPlN2at6native12_GLOBAL__N_18offset_tEEE10hipError_tPvRmT1_PNSt15iterator_traitsIS12_E10value_typeET2_T3_PNS13_IS18_E10value_typeET4_jRbjT5_S1E_jjP12ihipStream_tbEUljE_ZNSN_ISO_Lb0ESQ_SR_ST_SU_SY_EESZ_S10_S11_S12_S16_S17_S18_S1B_S1C_jS1D_jS1E_S1E_jjS1G_bEUljE0_EEESZ_S10_S11_S18_S1C_S1E_T6_T7_T9_mT8_S1G_bDpT10_ENKUlT_T0_E_clISt17integral_constantIbLb0EES1U_EEDaS1P_S1Q_EUlS1P_E_NS1_11comp_targetILNS1_3genE2ELNS1_11target_archE906ELNS1_3gpuE6ELNS1_3repE0EEENS1_30default_config_static_selectorELNS0_4arch9wavefront6targetE0EEEvS12_, .Lfunc_end1368-_ZN7rocprim17ROCPRIM_400000_NS6detail17trampoline_kernelINS0_13select_configILj256ELj13ELNS0_17block_load_methodE3ELS4_3ELS4_3ELNS0_20block_scan_algorithmE0ELj4294967295EEENS1_25partition_config_selectorILNS1_17partition_subalgoE4EjNS0_10empty_typeEbEEZZNS1_14partition_implILS8_4ELb0ES6_15HIP_vector_typeIjLj2EENS0_17counting_iteratorIjlEEPS9_SG_NS0_5tupleIJPjSI_NS0_16reverse_iteratorISI_EEEEENSH_IJSG_SG_SG_EEES9_SI_JZNS1_25segmented_radix_sort_implINS0_14default_configELb0EPKfPfPKlPlN2at6native12_GLOBAL__N_18offset_tEEE10hipError_tPvRmT1_PNSt15iterator_traitsIS12_E10value_typeET2_T3_PNS13_IS18_E10value_typeET4_jRbjT5_S1E_jjP12ihipStream_tbEUljE_ZNSN_ISO_Lb0ESQ_SR_ST_SU_SY_EESZ_S10_S11_S12_S16_S17_S18_S1B_S1C_jS1D_jS1E_S1E_jjS1G_bEUljE0_EEESZ_S10_S11_S18_S1C_S1E_T6_T7_T9_mT8_S1G_bDpT10_ENKUlT_T0_E_clISt17integral_constantIbLb0EES1U_EEDaS1P_S1Q_EUlS1P_E_NS1_11comp_targetILNS1_3genE2ELNS1_11target_archE906ELNS1_3gpuE6ELNS1_3repE0EEENS1_30default_config_static_selectorELNS0_4arch9wavefront6targetE0EEEvS12_
                                        ; -- End function
	.set _ZN7rocprim17ROCPRIM_400000_NS6detail17trampoline_kernelINS0_13select_configILj256ELj13ELNS0_17block_load_methodE3ELS4_3ELS4_3ELNS0_20block_scan_algorithmE0ELj4294967295EEENS1_25partition_config_selectorILNS1_17partition_subalgoE4EjNS0_10empty_typeEbEEZZNS1_14partition_implILS8_4ELb0ES6_15HIP_vector_typeIjLj2EENS0_17counting_iteratorIjlEEPS9_SG_NS0_5tupleIJPjSI_NS0_16reverse_iteratorISI_EEEEENSH_IJSG_SG_SG_EEES9_SI_JZNS1_25segmented_radix_sort_implINS0_14default_configELb0EPKfPfPKlPlN2at6native12_GLOBAL__N_18offset_tEEE10hipError_tPvRmT1_PNSt15iterator_traitsIS12_E10value_typeET2_T3_PNS13_IS18_E10value_typeET4_jRbjT5_S1E_jjP12ihipStream_tbEUljE_ZNSN_ISO_Lb0ESQ_SR_ST_SU_SY_EESZ_S10_S11_S12_S16_S17_S18_S1B_S1C_jS1D_jS1E_S1E_jjS1G_bEUljE0_EEESZ_S10_S11_S18_S1C_S1E_T6_T7_T9_mT8_S1G_bDpT10_ENKUlT_T0_E_clISt17integral_constantIbLb0EES1U_EEDaS1P_S1Q_EUlS1P_E_NS1_11comp_targetILNS1_3genE2ELNS1_11target_archE906ELNS1_3gpuE6ELNS1_3repE0EEENS1_30default_config_static_selectorELNS0_4arch9wavefront6targetE0EEEvS12_.num_vgpr, 0
	.set _ZN7rocprim17ROCPRIM_400000_NS6detail17trampoline_kernelINS0_13select_configILj256ELj13ELNS0_17block_load_methodE3ELS4_3ELS4_3ELNS0_20block_scan_algorithmE0ELj4294967295EEENS1_25partition_config_selectorILNS1_17partition_subalgoE4EjNS0_10empty_typeEbEEZZNS1_14partition_implILS8_4ELb0ES6_15HIP_vector_typeIjLj2EENS0_17counting_iteratorIjlEEPS9_SG_NS0_5tupleIJPjSI_NS0_16reverse_iteratorISI_EEEEENSH_IJSG_SG_SG_EEES9_SI_JZNS1_25segmented_radix_sort_implINS0_14default_configELb0EPKfPfPKlPlN2at6native12_GLOBAL__N_18offset_tEEE10hipError_tPvRmT1_PNSt15iterator_traitsIS12_E10value_typeET2_T3_PNS13_IS18_E10value_typeET4_jRbjT5_S1E_jjP12ihipStream_tbEUljE_ZNSN_ISO_Lb0ESQ_SR_ST_SU_SY_EESZ_S10_S11_S12_S16_S17_S18_S1B_S1C_jS1D_jS1E_S1E_jjS1G_bEUljE0_EEESZ_S10_S11_S18_S1C_S1E_T6_T7_T9_mT8_S1G_bDpT10_ENKUlT_T0_E_clISt17integral_constantIbLb0EES1U_EEDaS1P_S1Q_EUlS1P_E_NS1_11comp_targetILNS1_3genE2ELNS1_11target_archE906ELNS1_3gpuE6ELNS1_3repE0EEENS1_30default_config_static_selectorELNS0_4arch9wavefront6targetE0EEEvS12_.num_agpr, 0
	.set _ZN7rocprim17ROCPRIM_400000_NS6detail17trampoline_kernelINS0_13select_configILj256ELj13ELNS0_17block_load_methodE3ELS4_3ELS4_3ELNS0_20block_scan_algorithmE0ELj4294967295EEENS1_25partition_config_selectorILNS1_17partition_subalgoE4EjNS0_10empty_typeEbEEZZNS1_14partition_implILS8_4ELb0ES6_15HIP_vector_typeIjLj2EENS0_17counting_iteratorIjlEEPS9_SG_NS0_5tupleIJPjSI_NS0_16reverse_iteratorISI_EEEEENSH_IJSG_SG_SG_EEES9_SI_JZNS1_25segmented_radix_sort_implINS0_14default_configELb0EPKfPfPKlPlN2at6native12_GLOBAL__N_18offset_tEEE10hipError_tPvRmT1_PNSt15iterator_traitsIS12_E10value_typeET2_T3_PNS13_IS18_E10value_typeET4_jRbjT5_S1E_jjP12ihipStream_tbEUljE_ZNSN_ISO_Lb0ESQ_SR_ST_SU_SY_EESZ_S10_S11_S12_S16_S17_S18_S1B_S1C_jS1D_jS1E_S1E_jjS1G_bEUljE0_EEESZ_S10_S11_S18_S1C_S1E_T6_T7_T9_mT8_S1G_bDpT10_ENKUlT_T0_E_clISt17integral_constantIbLb0EES1U_EEDaS1P_S1Q_EUlS1P_E_NS1_11comp_targetILNS1_3genE2ELNS1_11target_archE906ELNS1_3gpuE6ELNS1_3repE0EEENS1_30default_config_static_selectorELNS0_4arch9wavefront6targetE0EEEvS12_.numbered_sgpr, 0
	.set _ZN7rocprim17ROCPRIM_400000_NS6detail17trampoline_kernelINS0_13select_configILj256ELj13ELNS0_17block_load_methodE3ELS4_3ELS4_3ELNS0_20block_scan_algorithmE0ELj4294967295EEENS1_25partition_config_selectorILNS1_17partition_subalgoE4EjNS0_10empty_typeEbEEZZNS1_14partition_implILS8_4ELb0ES6_15HIP_vector_typeIjLj2EENS0_17counting_iteratorIjlEEPS9_SG_NS0_5tupleIJPjSI_NS0_16reverse_iteratorISI_EEEEENSH_IJSG_SG_SG_EEES9_SI_JZNS1_25segmented_radix_sort_implINS0_14default_configELb0EPKfPfPKlPlN2at6native12_GLOBAL__N_18offset_tEEE10hipError_tPvRmT1_PNSt15iterator_traitsIS12_E10value_typeET2_T3_PNS13_IS18_E10value_typeET4_jRbjT5_S1E_jjP12ihipStream_tbEUljE_ZNSN_ISO_Lb0ESQ_SR_ST_SU_SY_EESZ_S10_S11_S12_S16_S17_S18_S1B_S1C_jS1D_jS1E_S1E_jjS1G_bEUljE0_EEESZ_S10_S11_S18_S1C_S1E_T6_T7_T9_mT8_S1G_bDpT10_ENKUlT_T0_E_clISt17integral_constantIbLb0EES1U_EEDaS1P_S1Q_EUlS1P_E_NS1_11comp_targetILNS1_3genE2ELNS1_11target_archE906ELNS1_3gpuE6ELNS1_3repE0EEENS1_30default_config_static_selectorELNS0_4arch9wavefront6targetE0EEEvS12_.num_named_barrier, 0
	.set _ZN7rocprim17ROCPRIM_400000_NS6detail17trampoline_kernelINS0_13select_configILj256ELj13ELNS0_17block_load_methodE3ELS4_3ELS4_3ELNS0_20block_scan_algorithmE0ELj4294967295EEENS1_25partition_config_selectorILNS1_17partition_subalgoE4EjNS0_10empty_typeEbEEZZNS1_14partition_implILS8_4ELb0ES6_15HIP_vector_typeIjLj2EENS0_17counting_iteratorIjlEEPS9_SG_NS0_5tupleIJPjSI_NS0_16reverse_iteratorISI_EEEEENSH_IJSG_SG_SG_EEES9_SI_JZNS1_25segmented_radix_sort_implINS0_14default_configELb0EPKfPfPKlPlN2at6native12_GLOBAL__N_18offset_tEEE10hipError_tPvRmT1_PNSt15iterator_traitsIS12_E10value_typeET2_T3_PNS13_IS18_E10value_typeET4_jRbjT5_S1E_jjP12ihipStream_tbEUljE_ZNSN_ISO_Lb0ESQ_SR_ST_SU_SY_EESZ_S10_S11_S12_S16_S17_S18_S1B_S1C_jS1D_jS1E_S1E_jjS1G_bEUljE0_EEESZ_S10_S11_S18_S1C_S1E_T6_T7_T9_mT8_S1G_bDpT10_ENKUlT_T0_E_clISt17integral_constantIbLb0EES1U_EEDaS1P_S1Q_EUlS1P_E_NS1_11comp_targetILNS1_3genE2ELNS1_11target_archE906ELNS1_3gpuE6ELNS1_3repE0EEENS1_30default_config_static_selectorELNS0_4arch9wavefront6targetE0EEEvS12_.private_seg_size, 0
	.set _ZN7rocprim17ROCPRIM_400000_NS6detail17trampoline_kernelINS0_13select_configILj256ELj13ELNS0_17block_load_methodE3ELS4_3ELS4_3ELNS0_20block_scan_algorithmE0ELj4294967295EEENS1_25partition_config_selectorILNS1_17partition_subalgoE4EjNS0_10empty_typeEbEEZZNS1_14partition_implILS8_4ELb0ES6_15HIP_vector_typeIjLj2EENS0_17counting_iteratorIjlEEPS9_SG_NS0_5tupleIJPjSI_NS0_16reverse_iteratorISI_EEEEENSH_IJSG_SG_SG_EEES9_SI_JZNS1_25segmented_radix_sort_implINS0_14default_configELb0EPKfPfPKlPlN2at6native12_GLOBAL__N_18offset_tEEE10hipError_tPvRmT1_PNSt15iterator_traitsIS12_E10value_typeET2_T3_PNS13_IS18_E10value_typeET4_jRbjT5_S1E_jjP12ihipStream_tbEUljE_ZNSN_ISO_Lb0ESQ_SR_ST_SU_SY_EESZ_S10_S11_S12_S16_S17_S18_S1B_S1C_jS1D_jS1E_S1E_jjS1G_bEUljE0_EEESZ_S10_S11_S18_S1C_S1E_T6_T7_T9_mT8_S1G_bDpT10_ENKUlT_T0_E_clISt17integral_constantIbLb0EES1U_EEDaS1P_S1Q_EUlS1P_E_NS1_11comp_targetILNS1_3genE2ELNS1_11target_archE906ELNS1_3gpuE6ELNS1_3repE0EEENS1_30default_config_static_selectorELNS0_4arch9wavefront6targetE0EEEvS12_.uses_vcc, 0
	.set _ZN7rocprim17ROCPRIM_400000_NS6detail17trampoline_kernelINS0_13select_configILj256ELj13ELNS0_17block_load_methodE3ELS4_3ELS4_3ELNS0_20block_scan_algorithmE0ELj4294967295EEENS1_25partition_config_selectorILNS1_17partition_subalgoE4EjNS0_10empty_typeEbEEZZNS1_14partition_implILS8_4ELb0ES6_15HIP_vector_typeIjLj2EENS0_17counting_iteratorIjlEEPS9_SG_NS0_5tupleIJPjSI_NS0_16reverse_iteratorISI_EEEEENSH_IJSG_SG_SG_EEES9_SI_JZNS1_25segmented_radix_sort_implINS0_14default_configELb0EPKfPfPKlPlN2at6native12_GLOBAL__N_18offset_tEEE10hipError_tPvRmT1_PNSt15iterator_traitsIS12_E10value_typeET2_T3_PNS13_IS18_E10value_typeET4_jRbjT5_S1E_jjP12ihipStream_tbEUljE_ZNSN_ISO_Lb0ESQ_SR_ST_SU_SY_EESZ_S10_S11_S12_S16_S17_S18_S1B_S1C_jS1D_jS1E_S1E_jjS1G_bEUljE0_EEESZ_S10_S11_S18_S1C_S1E_T6_T7_T9_mT8_S1G_bDpT10_ENKUlT_T0_E_clISt17integral_constantIbLb0EES1U_EEDaS1P_S1Q_EUlS1P_E_NS1_11comp_targetILNS1_3genE2ELNS1_11target_archE906ELNS1_3gpuE6ELNS1_3repE0EEENS1_30default_config_static_selectorELNS0_4arch9wavefront6targetE0EEEvS12_.uses_flat_scratch, 0
	.set _ZN7rocprim17ROCPRIM_400000_NS6detail17trampoline_kernelINS0_13select_configILj256ELj13ELNS0_17block_load_methodE3ELS4_3ELS4_3ELNS0_20block_scan_algorithmE0ELj4294967295EEENS1_25partition_config_selectorILNS1_17partition_subalgoE4EjNS0_10empty_typeEbEEZZNS1_14partition_implILS8_4ELb0ES6_15HIP_vector_typeIjLj2EENS0_17counting_iteratorIjlEEPS9_SG_NS0_5tupleIJPjSI_NS0_16reverse_iteratorISI_EEEEENSH_IJSG_SG_SG_EEES9_SI_JZNS1_25segmented_radix_sort_implINS0_14default_configELb0EPKfPfPKlPlN2at6native12_GLOBAL__N_18offset_tEEE10hipError_tPvRmT1_PNSt15iterator_traitsIS12_E10value_typeET2_T3_PNS13_IS18_E10value_typeET4_jRbjT5_S1E_jjP12ihipStream_tbEUljE_ZNSN_ISO_Lb0ESQ_SR_ST_SU_SY_EESZ_S10_S11_S12_S16_S17_S18_S1B_S1C_jS1D_jS1E_S1E_jjS1G_bEUljE0_EEESZ_S10_S11_S18_S1C_S1E_T6_T7_T9_mT8_S1G_bDpT10_ENKUlT_T0_E_clISt17integral_constantIbLb0EES1U_EEDaS1P_S1Q_EUlS1P_E_NS1_11comp_targetILNS1_3genE2ELNS1_11target_archE906ELNS1_3gpuE6ELNS1_3repE0EEENS1_30default_config_static_selectorELNS0_4arch9wavefront6targetE0EEEvS12_.has_dyn_sized_stack, 0
	.set _ZN7rocprim17ROCPRIM_400000_NS6detail17trampoline_kernelINS0_13select_configILj256ELj13ELNS0_17block_load_methodE3ELS4_3ELS4_3ELNS0_20block_scan_algorithmE0ELj4294967295EEENS1_25partition_config_selectorILNS1_17partition_subalgoE4EjNS0_10empty_typeEbEEZZNS1_14partition_implILS8_4ELb0ES6_15HIP_vector_typeIjLj2EENS0_17counting_iteratorIjlEEPS9_SG_NS0_5tupleIJPjSI_NS0_16reverse_iteratorISI_EEEEENSH_IJSG_SG_SG_EEES9_SI_JZNS1_25segmented_radix_sort_implINS0_14default_configELb0EPKfPfPKlPlN2at6native12_GLOBAL__N_18offset_tEEE10hipError_tPvRmT1_PNSt15iterator_traitsIS12_E10value_typeET2_T3_PNS13_IS18_E10value_typeET4_jRbjT5_S1E_jjP12ihipStream_tbEUljE_ZNSN_ISO_Lb0ESQ_SR_ST_SU_SY_EESZ_S10_S11_S12_S16_S17_S18_S1B_S1C_jS1D_jS1E_S1E_jjS1G_bEUljE0_EEESZ_S10_S11_S18_S1C_S1E_T6_T7_T9_mT8_S1G_bDpT10_ENKUlT_T0_E_clISt17integral_constantIbLb0EES1U_EEDaS1P_S1Q_EUlS1P_E_NS1_11comp_targetILNS1_3genE2ELNS1_11target_archE906ELNS1_3gpuE6ELNS1_3repE0EEENS1_30default_config_static_selectorELNS0_4arch9wavefront6targetE0EEEvS12_.has_recursion, 0
	.set _ZN7rocprim17ROCPRIM_400000_NS6detail17trampoline_kernelINS0_13select_configILj256ELj13ELNS0_17block_load_methodE3ELS4_3ELS4_3ELNS0_20block_scan_algorithmE0ELj4294967295EEENS1_25partition_config_selectorILNS1_17partition_subalgoE4EjNS0_10empty_typeEbEEZZNS1_14partition_implILS8_4ELb0ES6_15HIP_vector_typeIjLj2EENS0_17counting_iteratorIjlEEPS9_SG_NS0_5tupleIJPjSI_NS0_16reverse_iteratorISI_EEEEENSH_IJSG_SG_SG_EEES9_SI_JZNS1_25segmented_radix_sort_implINS0_14default_configELb0EPKfPfPKlPlN2at6native12_GLOBAL__N_18offset_tEEE10hipError_tPvRmT1_PNSt15iterator_traitsIS12_E10value_typeET2_T3_PNS13_IS18_E10value_typeET4_jRbjT5_S1E_jjP12ihipStream_tbEUljE_ZNSN_ISO_Lb0ESQ_SR_ST_SU_SY_EESZ_S10_S11_S12_S16_S17_S18_S1B_S1C_jS1D_jS1E_S1E_jjS1G_bEUljE0_EEESZ_S10_S11_S18_S1C_S1E_T6_T7_T9_mT8_S1G_bDpT10_ENKUlT_T0_E_clISt17integral_constantIbLb0EES1U_EEDaS1P_S1Q_EUlS1P_E_NS1_11comp_targetILNS1_3genE2ELNS1_11target_archE906ELNS1_3gpuE6ELNS1_3repE0EEENS1_30default_config_static_selectorELNS0_4arch9wavefront6targetE0EEEvS12_.has_indirect_call, 0
	.section	.AMDGPU.csdata,"",@progbits
; Kernel info:
; codeLenInByte = 0
; TotalNumSgprs: 0
; NumVgprs: 0
; ScratchSize: 0
; MemoryBound: 0
; FloatMode: 240
; IeeeMode: 1
; LDSByteSize: 0 bytes/workgroup (compile time only)
; SGPRBlocks: 0
; VGPRBlocks: 0
; NumSGPRsForWavesPerEU: 1
; NumVGPRsForWavesPerEU: 1
; Occupancy: 16
; WaveLimiterHint : 0
; COMPUTE_PGM_RSRC2:SCRATCH_EN: 0
; COMPUTE_PGM_RSRC2:USER_SGPR: 2
; COMPUTE_PGM_RSRC2:TRAP_HANDLER: 0
; COMPUTE_PGM_RSRC2:TGID_X_EN: 1
; COMPUTE_PGM_RSRC2:TGID_Y_EN: 0
; COMPUTE_PGM_RSRC2:TGID_Z_EN: 0
; COMPUTE_PGM_RSRC2:TIDIG_COMP_CNT: 0
	.section	.text._ZN7rocprim17ROCPRIM_400000_NS6detail17trampoline_kernelINS0_13select_configILj256ELj13ELNS0_17block_load_methodE3ELS4_3ELS4_3ELNS0_20block_scan_algorithmE0ELj4294967295EEENS1_25partition_config_selectorILNS1_17partition_subalgoE4EjNS0_10empty_typeEbEEZZNS1_14partition_implILS8_4ELb0ES6_15HIP_vector_typeIjLj2EENS0_17counting_iteratorIjlEEPS9_SG_NS0_5tupleIJPjSI_NS0_16reverse_iteratorISI_EEEEENSH_IJSG_SG_SG_EEES9_SI_JZNS1_25segmented_radix_sort_implINS0_14default_configELb0EPKfPfPKlPlN2at6native12_GLOBAL__N_18offset_tEEE10hipError_tPvRmT1_PNSt15iterator_traitsIS12_E10value_typeET2_T3_PNS13_IS18_E10value_typeET4_jRbjT5_S1E_jjP12ihipStream_tbEUljE_ZNSN_ISO_Lb0ESQ_SR_ST_SU_SY_EESZ_S10_S11_S12_S16_S17_S18_S1B_S1C_jS1D_jS1E_S1E_jjS1G_bEUljE0_EEESZ_S10_S11_S18_S1C_S1E_T6_T7_T9_mT8_S1G_bDpT10_ENKUlT_T0_E_clISt17integral_constantIbLb0EES1U_EEDaS1P_S1Q_EUlS1P_E_NS1_11comp_targetILNS1_3genE10ELNS1_11target_archE1200ELNS1_3gpuE4ELNS1_3repE0EEENS1_30default_config_static_selectorELNS0_4arch9wavefront6targetE0EEEvS12_,"axG",@progbits,_ZN7rocprim17ROCPRIM_400000_NS6detail17trampoline_kernelINS0_13select_configILj256ELj13ELNS0_17block_load_methodE3ELS4_3ELS4_3ELNS0_20block_scan_algorithmE0ELj4294967295EEENS1_25partition_config_selectorILNS1_17partition_subalgoE4EjNS0_10empty_typeEbEEZZNS1_14partition_implILS8_4ELb0ES6_15HIP_vector_typeIjLj2EENS0_17counting_iteratorIjlEEPS9_SG_NS0_5tupleIJPjSI_NS0_16reverse_iteratorISI_EEEEENSH_IJSG_SG_SG_EEES9_SI_JZNS1_25segmented_radix_sort_implINS0_14default_configELb0EPKfPfPKlPlN2at6native12_GLOBAL__N_18offset_tEEE10hipError_tPvRmT1_PNSt15iterator_traitsIS12_E10value_typeET2_T3_PNS13_IS18_E10value_typeET4_jRbjT5_S1E_jjP12ihipStream_tbEUljE_ZNSN_ISO_Lb0ESQ_SR_ST_SU_SY_EESZ_S10_S11_S12_S16_S17_S18_S1B_S1C_jS1D_jS1E_S1E_jjS1G_bEUljE0_EEESZ_S10_S11_S18_S1C_S1E_T6_T7_T9_mT8_S1G_bDpT10_ENKUlT_T0_E_clISt17integral_constantIbLb0EES1U_EEDaS1P_S1Q_EUlS1P_E_NS1_11comp_targetILNS1_3genE10ELNS1_11target_archE1200ELNS1_3gpuE4ELNS1_3repE0EEENS1_30default_config_static_selectorELNS0_4arch9wavefront6targetE0EEEvS12_,comdat
	.globl	_ZN7rocprim17ROCPRIM_400000_NS6detail17trampoline_kernelINS0_13select_configILj256ELj13ELNS0_17block_load_methodE3ELS4_3ELS4_3ELNS0_20block_scan_algorithmE0ELj4294967295EEENS1_25partition_config_selectorILNS1_17partition_subalgoE4EjNS0_10empty_typeEbEEZZNS1_14partition_implILS8_4ELb0ES6_15HIP_vector_typeIjLj2EENS0_17counting_iteratorIjlEEPS9_SG_NS0_5tupleIJPjSI_NS0_16reverse_iteratorISI_EEEEENSH_IJSG_SG_SG_EEES9_SI_JZNS1_25segmented_radix_sort_implINS0_14default_configELb0EPKfPfPKlPlN2at6native12_GLOBAL__N_18offset_tEEE10hipError_tPvRmT1_PNSt15iterator_traitsIS12_E10value_typeET2_T3_PNS13_IS18_E10value_typeET4_jRbjT5_S1E_jjP12ihipStream_tbEUljE_ZNSN_ISO_Lb0ESQ_SR_ST_SU_SY_EESZ_S10_S11_S12_S16_S17_S18_S1B_S1C_jS1D_jS1E_S1E_jjS1G_bEUljE0_EEESZ_S10_S11_S18_S1C_S1E_T6_T7_T9_mT8_S1G_bDpT10_ENKUlT_T0_E_clISt17integral_constantIbLb0EES1U_EEDaS1P_S1Q_EUlS1P_E_NS1_11comp_targetILNS1_3genE10ELNS1_11target_archE1200ELNS1_3gpuE4ELNS1_3repE0EEENS1_30default_config_static_selectorELNS0_4arch9wavefront6targetE0EEEvS12_ ; -- Begin function _ZN7rocprim17ROCPRIM_400000_NS6detail17trampoline_kernelINS0_13select_configILj256ELj13ELNS0_17block_load_methodE3ELS4_3ELS4_3ELNS0_20block_scan_algorithmE0ELj4294967295EEENS1_25partition_config_selectorILNS1_17partition_subalgoE4EjNS0_10empty_typeEbEEZZNS1_14partition_implILS8_4ELb0ES6_15HIP_vector_typeIjLj2EENS0_17counting_iteratorIjlEEPS9_SG_NS0_5tupleIJPjSI_NS0_16reverse_iteratorISI_EEEEENSH_IJSG_SG_SG_EEES9_SI_JZNS1_25segmented_radix_sort_implINS0_14default_configELb0EPKfPfPKlPlN2at6native12_GLOBAL__N_18offset_tEEE10hipError_tPvRmT1_PNSt15iterator_traitsIS12_E10value_typeET2_T3_PNS13_IS18_E10value_typeET4_jRbjT5_S1E_jjP12ihipStream_tbEUljE_ZNSN_ISO_Lb0ESQ_SR_ST_SU_SY_EESZ_S10_S11_S12_S16_S17_S18_S1B_S1C_jS1D_jS1E_S1E_jjS1G_bEUljE0_EEESZ_S10_S11_S18_S1C_S1E_T6_T7_T9_mT8_S1G_bDpT10_ENKUlT_T0_E_clISt17integral_constantIbLb0EES1U_EEDaS1P_S1Q_EUlS1P_E_NS1_11comp_targetILNS1_3genE10ELNS1_11target_archE1200ELNS1_3gpuE4ELNS1_3repE0EEENS1_30default_config_static_selectorELNS0_4arch9wavefront6targetE0EEEvS12_
	.p2align	8
	.type	_ZN7rocprim17ROCPRIM_400000_NS6detail17trampoline_kernelINS0_13select_configILj256ELj13ELNS0_17block_load_methodE3ELS4_3ELS4_3ELNS0_20block_scan_algorithmE0ELj4294967295EEENS1_25partition_config_selectorILNS1_17partition_subalgoE4EjNS0_10empty_typeEbEEZZNS1_14partition_implILS8_4ELb0ES6_15HIP_vector_typeIjLj2EENS0_17counting_iteratorIjlEEPS9_SG_NS0_5tupleIJPjSI_NS0_16reverse_iteratorISI_EEEEENSH_IJSG_SG_SG_EEES9_SI_JZNS1_25segmented_radix_sort_implINS0_14default_configELb0EPKfPfPKlPlN2at6native12_GLOBAL__N_18offset_tEEE10hipError_tPvRmT1_PNSt15iterator_traitsIS12_E10value_typeET2_T3_PNS13_IS18_E10value_typeET4_jRbjT5_S1E_jjP12ihipStream_tbEUljE_ZNSN_ISO_Lb0ESQ_SR_ST_SU_SY_EESZ_S10_S11_S12_S16_S17_S18_S1B_S1C_jS1D_jS1E_S1E_jjS1G_bEUljE0_EEESZ_S10_S11_S18_S1C_S1E_T6_T7_T9_mT8_S1G_bDpT10_ENKUlT_T0_E_clISt17integral_constantIbLb0EES1U_EEDaS1P_S1Q_EUlS1P_E_NS1_11comp_targetILNS1_3genE10ELNS1_11target_archE1200ELNS1_3gpuE4ELNS1_3repE0EEENS1_30default_config_static_selectorELNS0_4arch9wavefront6targetE0EEEvS12_,@function
_ZN7rocprim17ROCPRIM_400000_NS6detail17trampoline_kernelINS0_13select_configILj256ELj13ELNS0_17block_load_methodE3ELS4_3ELS4_3ELNS0_20block_scan_algorithmE0ELj4294967295EEENS1_25partition_config_selectorILNS1_17partition_subalgoE4EjNS0_10empty_typeEbEEZZNS1_14partition_implILS8_4ELb0ES6_15HIP_vector_typeIjLj2EENS0_17counting_iteratorIjlEEPS9_SG_NS0_5tupleIJPjSI_NS0_16reverse_iteratorISI_EEEEENSH_IJSG_SG_SG_EEES9_SI_JZNS1_25segmented_radix_sort_implINS0_14default_configELb0EPKfPfPKlPlN2at6native12_GLOBAL__N_18offset_tEEE10hipError_tPvRmT1_PNSt15iterator_traitsIS12_E10value_typeET2_T3_PNS13_IS18_E10value_typeET4_jRbjT5_S1E_jjP12ihipStream_tbEUljE_ZNSN_ISO_Lb0ESQ_SR_ST_SU_SY_EESZ_S10_S11_S12_S16_S17_S18_S1B_S1C_jS1D_jS1E_S1E_jjS1G_bEUljE0_EEESZ_S10_S11_S18_S1C_S1E_T6_T7_T9_mT8_S1G_bDpT10_ENKUlT_T0_E_clISt17integral_constantIbLb0EES1U_EEDaS1P_S1Q_EUlS1P_E_NS1_11comp_targetILNS1_3genE10ELNS1_11target_archE1200ELNS1_3gpuE4ELNS1_3repE0EEENS1_30default_config_static_selectorELNS0_4arch9wavefront6targetE0EEEvS12_: ; @_ZN7rocprim17ROCPRIM_400000_NS6detail17trampoline_kernelINS0_13select_configILj256ELj13ELNS0_17block_load_methodE3ELS4_3ELS4_3ELNS0_20block_scan_algorithmE0ELj4294967295EEENS1_25partition_config_selectorILNS1_17partition_subalgoE4EjNS0_10empty_typeEbEEZZNS1_14partition_implILS8_4ELb0ES6_15HIP_vector_typeIjLj2EENS0_17counting_iteratorIjlEEPS9_SG_NS0_5tupleIJPjSI_NS0_16reverse_iteratorISI_EEEEENSH_IJSG_SG_SG_EEES9_SI_JZNS1_25segmented_radix_sort_implINS0_14default_configELb0EPKfPfPKlPlN2at6native12_GLOBAL__N_18offset_tEEE10hipError_tPvRmT1_PNSt15iterator_traitsIS12_E10value_typeET2_T3_PNS13_IS18_E10value_typeET4_jRbjT5_S1E_jjP12ihipStream_tbEUljE_ZNSN_ISO_Lb0ESQ_SR_ST_SU_SY_EESZ_S10_S11_S12_S16_S17_S18_S1B_S1C_jS1D_jS1E_S1E_jjS1G_bEUljE0_EEESZ_S10_S11_S18_S1C_S1E_T6_T7_T9_mT8_S1G_bDpT10_ENKUlT_T0_E_clISt17integral_constantIbLb0EES1U_EEDaS1P_S1Q_EUlS1P_E_NS1_11comp_targetILNS1_3genE10ELNS1_11target_archE1200ELNS1_3gpuE4ELNS1_3repE0EEENS1_30default_config_static_selectorELNS0_4arch9wavefront6targetE0EEEvS12_
; %bb.0:
	s_clause 0x6
	s_load_b32 s6, s[0:1], 0x80
	s_load_b128 s[24:27], s[0:1], 0x58
	s_load_b64 s[34:35], s[0:1], 0x10
	s_load_b64 s[2:3], s[0:1], 0x68
	s_load_b32 s7, s[0:1], 0x8
	s_load_b64 s[42:43], s[0:1], 0xa8
	s_load_b256 s[16:23], s[0:1], 0x88
	s_mov_b32 s5, 0
	s_mul_i32 s40, ttmp9, 0xd00
	s_wait_kmcnt 0x0
	s_mul_i32 s4, s6, 0xd00
	s_load_b128 s[28:31], s[26:27], 0x0
	s_add_co_i32 s8, s4, s34
	s_add_co_i32 s6, s6, -1
	s_sub_co_i32 s33, s2, s8
	s_add_nc_u64 s[4:5], s[34:35], s[4:5]
	s_addk_co_i32 s33, 0xd00
	s_cmp_eq_u32 ttmp9, s6
	v_cmp_gt_u64_e64 s2, s[2:3], s[4:5]
	s_cselect_b32 s15, -1, 0
	s_cmp_lg_u32 ttmp9, s6
	s_mov_b32 s5, -1
	s_cselect_b32 s3, -1, 0
	s_add_co_i32 s4, s7, s40
	s_wait_alu 0xfffe
	s_or_b32 s3, s3, s2
	s_add_co_i32 s4, s4, s34
	s_wait_alu 0xfffe
	s_and_b32 vcc_lo, exec_lo, s3
	v_add_nc_u32_e32 v1, s4, v0
	s_cbranch_vccz .LBB1369_2
; %bb.1:
	s_delay_alu instid0(VALU_DEP_1)
	v_add_nc_u32_e32 v2, 0x100, v1
	v_lshlrev_b32_e32 v10, 2, v0
	v_add_nc_u32_e32 v3, 0x200, v1
	v_add_nc_u32_e32 v4, 0x300, v1
	v_add_nc_u32_e32 v5, 0x400, v1
	v_add_nc_u32_e32 v6, 0x500, v1
	v_add_nc_u32_e32 v7, 0x600, v1
	v_add_nc_u32_e32 v8, 0x700, v1
	v_add_nc_u32_e32 v9, 0x800, v1
	v_add_nc_u32_e32 v11, 0x900, v1
	v_add_nc_u32_e32 v12, 0xa00, v1
	v_add_nc_u32_e32 v13, 0xb00, v1
	v_add_nc_u32_e32 v14, 0xc00, v1
	ds_store_2addr_stride64_b32 v10, v1, v2 offset1:4
	ds_store_2addr_stride64_b32 v10, v3, v4 offset0:8 offset1:12
	ds_store_2addr_stride64_b32 v10, v5, v6 offset0:16 offset1:20
	;; [unrolled: 1-line block ×5, first 2 shown]
	ds_store_b32 v10, v14 offset:12288
	s_wait_dscnt 0x0
	s_barrier_signal -1
	s_mov_b32 s5, 0
	s_barrier_wait -1
.LBB1369_2:
	v_cmp_gt_u32_e64 s2, s33, v0
	v_or_b32_e32 v38, 0x100, v0
	v_or_b32_e32 v37, 0x200, v0
	;; [unrolled: 1-line block ×12, first 2 shown]
	s_wait_alu 0xfffe
	s_and_not1_b32 vcc_lo, exec_lo, s5
	s_cbranch_vccnz .LBB1369_4
; %bb.3:
	v_cmp_gt_u32_e32 vcc_lo, s33, v38
	v_add_nc_u32_e32 v3, s4, v37
	v_add_nc_u32_e32 v2, s4, v38
	v_cndmask_b32_e64 v1, 0, v1, s2
	v_lshlrev_b32_e32 v14, 2, v0
	s_delay_alu instid0(VALU_DEP_3)
	v_cndmask_b32_e32 v2, 0, v2, vcc_lo
	v_cmp_gt_u32_e32 vcc_lo, s33, v37
	s_wait_alu 0xfffd
	v_cndmask_b32_e32 v3, 0, v3, vcc_lo
	v_cmp_gt_u32_e32 vcc_lo, s33, v36
	v_add_nc_u32_e32 v5, s4, v35
	v_add_nc_u32_e32 v4, s4, v36
	s_wait_alu 0xfffd
	s_delay_alu instid0(VALU_DEP_1)
	v_cndmask_b32_e32 v4, 0, v4, vcc_lo
	v_cmp_gt_u32_e32 vcc_lo, s33, v35
	s_wait_alu 0xfffd
	v_cndmask_b32_e32 v5, 0, v5, vcc_lo
	v_cmp_gt_u32_e32 vcc_lo, s33, v34
	v_add_nc_u32_e32 v7, s4, v33
	v_add_nc_u32_e32 v6, s4, v34
	s_wait_alu 0xfffd
	s_delay_alu instid0(VALU_DEP_1)
	;; [unrolled: 9-line block ×5, first 2 shown]
	v_cndmask_b32_e32 v12, 0, v12, vcc_lo
	v_cmp_gt_u32_e32 vcc_lo, s33, v27
	s_wait_alu 0xfffd
	v_cndmask_b32_e32 v13, 0, v13, vcc_lo
	ds_store_2addr_stride64_b32 v14, v1, v2 offset1:4
	ds_store_2addr_stride64_b32 v14, v3, v4 offset0:8 offset1:12
	ds_store_2addr_stride64_b32 v14, v5, v6 offset0:16 offset1:20
	;; [unrolled: 1-line block ×5, first 2 shown]
	ds_store_b32 v14, v13 offset:12288
	s_wait_dscnt 0x0
	s_barrier_signal -1
	s_barrier_wait -1
.LBB1369_4:
	v_mul_u32_u24_e32 v41, 13, v0
	s_clause 0x1
	s_load_b128 s[36:39], s[0:1], 0x28
	s_load_b64 s[26:27], s[0:1], 0x38
	global_inv scope:SCOPE_SE
	v_cndmask_b32_e64 v39, 0, 1, s3
	s_and_not1_b32 vcc_lo, exec_lo, s3
	v_lshlrev_b32_e32 v1, 2, v41
	ds_load_2addr_b32 v[19:20], v1 offset1:1
	ds_load_2addr_b32 v[17:18], v1 offset0:2 offset1:3
	ds_load_2addr_b32 v[15:16], v1 offset0:4 offset1:5
	;; [unrolled: 1-line block ×5, first 2 shown]
	ds_load_b32 v40, v1 offset:48
	s_wait_loadcnt_dscnt 0x0
	s_barrier_signal -1
	s_barrier_wait -1
	global_inv scope:SCOPE_SE
	s_wait_alu 0xfffe
	s_cbranch_vccnz .LBB1369_32
; %bb.5:
	v_add_nc_u32_e32 v1, s17, v19
	v_add_nc_u32_e32 v2, s19, v19
	s_mov_b32 s44, 0
	s_mov_b32 s41, 0
	s_mov_b32 s3, exec_lo
	v_mul_lo_u32 v1, v1, s16
	v_mul_lo_u32 v2, v2, s18
	s_delay_alu instid0(VALU_DEP_1) | instskip(NEXT) | instid1(VALU_DEP_1)
	v_sub_nc_u32_e32 v1, v1, v2
	v_cmp_lt_u32_e32 vcc_lo, s20, v1
	v_cmpx_ge_u32_e64 s20, v1
	s_cbranch_execz .LBB1369_7
; %bb.6:
	v_add_nc_u32_e32 v1, s22, v19
	v_add_nc_u32_e32 v2, s42, v19
	s_delay_alu instid0(VALU_DEP_2) | instskip(NEXT) | instid1(VALU_DEP_2)
	v_mul_lo_u32 v1, v1, s21
	v_mul_lo_u32 v2, v2, s23
	s_delay_alu instid0(VALU_DEP_1) | instskip(NEXT) | instid1(VALU_DEP_1)
	v_sub_nc_u32_e32 v1, v1, v2
	v_cmp_lt_u32_e64 s2, s43, v1
	s_and_b32 s41, s2, exec_lo
.LBB1369_7:
	s_wait_alu 0xfffe
	s_or_b32 exec_lo, exec_lo, s3
	v_add_nc_u32_e32 v1, s17, v20
	v_add_nc_u32_e32 v2, s19, v20
	s_mov_b32 s4, exec_lo
	s_delay_alu instid0(VALU_DEP_2) | instskip(NEXT) | instid1(VALU_DEP_2)
	v_mul_lo_u32 v1, v1, s16
	v_mul_lo_u32 v2, v2, s18
	s_delay_alu instid0(VALU_DEP_1) | instskip(NEXT) | instid1(VALU_DEP_1)
	v_sub_nc_u32_e32 v1, v1, v2
	v_cmp_lt_u32_e64 s2, s20, v1
	v_cmpx_ge_u32_e64 s20, v1
	s_cbranch_execz .LBB1369_9
; %bb.8:
	v_add_nc_u32_e32 v1, s22, v20
	v_add_nc_u32_e32 v2, s42, v20
	s_delay_alu instid0(VALU_DEP_2) | instskip(NEXT) | instid1(VALU_DEP_2)
	v_mul_lo_u32 v1, v1, s21
	v_mul_lo_u32 v2, v2, s23
	s_delay_alu instid0(VALU_DEP_1) | instskip(NEXT) | instid1(VALU_DEP_1)
	v_sub_nc_u32_e32 v1, v1, v2
	v_cmp_lt_u32_e64 s3, s43, v1
	s_and_b32 s44, s3, exec_lo
.LBB1369_9:
	s_wait_alu 0xfffe
	s_or_b32 exec_lo, exec_lo, s4
	v_add_nc_u32_e32 v1, s17, v17
	v_add_nc_u32_e32 v2, s19, v17
	s_mov_b32 s46, 0
	s_mov_b32 s45, 0
	s_mov_b32 s5, exec_lo
	v_mul_lo_u32 v1, v1, s16
	v_mul_lo_u32 v2, v2, s18
	s_delay_alu instid0(VALU_DEP_1) | instskip(NEXT) | instid1(VALU_DEP_1)
	v_sub_nc_u32_e32 v1, v1, v2
	v_cmp_lt_u32_e64 s3, s20, v1
	v_cmpx_ge_u32_e64 s20, v1
	s_cbranch_execz .LBB1369_11
; %bb.10:
	v_add_nc_u32_e32 v1, s22, v17
	v_add_nc_u32_e32 v2, s42, v17
	s_delay_alu instid0(VALU_DEP_2) | instskip(NEXT) | instid1(VALU_DEP_2)
	v_mul_lo_u32 v1, v1, s21
	v_mul_lo_u32 v2, v2, s23
	s_delay_alu instid0(VALU_DEP_1) | instskip(NEXT) | instid1(VALU_DEP_1)
	v_sub_nc_u32_e32 v1, v1, v2
	v_cmp_lt_u32_e64 s4, s43, v1
	s_and_b32 s45, s4, exec_lo
.LBB1369_11:
	s_wait_alu 0xfffe
	s_or_b32 exec_lo, exec_lo, s5
	v_add_nc_u32_e32 v1, s17, v18
	v_add_nc_u32_e32 v2, s19, v18
	s_mov_b32 s6, exec_lo
	s_delay_alu instid0(VALU_DEP_2) | instskip(NEXT) | instid1(VALU_DEP_2)
	v_mul_lo_u32 v1, v1, s16
	v_mul_lo_u32 v2, v2, s18
	s_delay_alu instid0(VALU_DEP_1) | instskip(NEXT) | instid1(VALU_DEP_1)
	v_sub_nc_u32_e32 v1, v1, v2
	v_cmp_lt_u32_e64 s4, s20, v1
	v_cmpx_ge_u32_e64 s20, v1
	s_cbranch_execz .LBB1369_13
; %bb.12:
	v_add_nc_u32_e32 v1, s22, v18
	v_add_nc_u32_e32 v2, s42, v18
	s_delay_alu instid0(VALU_DEP_2) | instskip(NEXT) | instid1(VALU_DEP_2)
	v_mul_lo_u32 v1, v1, s21
	v_mul_lo_u32 v2, v2, s23
	s_delay_alu instid0(VALU_DEP_1) | instskip(NEXT) | instid1(VALU_DEP_1)
	v_sub_nc_u32_e32 v1, v1, v2
	v_cmp_lt_u32_e64 s5, s43, v1
	s_and_b32 s46, s5, exec_lo
.LBB1369_13:
	s_or_b32 exec_lo, exec_lo, s6
	v_add_nc_u32_e32 v1, s17, v15
	v_add_nc_u32_e32 v2, s19, v15
	s_mov_b32 s48, 0
	s_mov_b32 s47, 0
	s_mov_b32 s7, exec_lo
	v_mul_lo_u32 v1, v1, s16
	v_mul_lo_u32 v2, v2, s18
	s_delay_alu instid0(VALU_DEP_1) | instskip(NEXT) | instid1(VALU_DEP_1)
	v_sub_nc_u32_e32 v1, v1, v2
	v_cmp_lt_u32_e64 s5, s20, v1
	v_cmpx_ge_u32_e64 s20, v1
	s_cbranch_execz .LBB1369_15
; %bb.14:
	v_add_nc_u32_e32 v1, s22, v15
	v_add_nc_u32_e32 v2, s42, v15
	s_delay_alu instid0(VALU_DEP_2) | instskip(NEXT) | instid1(VALU_DEP_2)
	v_mul_lo_u32 v1, v1, s21
	v_mul_lo_u32 v2, v2, s23
	s_delay_alu instid0(VALU_DEP_1) | instskip(NEXT) | instid1(VALU_DEP_1)
	v_sub_nc_u32_e32 v1, v1, v2
	v_cmp_lt_u32_e64 s6, s43, v1
	s_and_b32 s47, s6, exec_lo
.LBB1369_15:
	s_or_b32 exec_lo, exec_lo, s7
	v_add_nc_u32_e32 v1, s17, v16
	v_add_nc_u32_e32 v2, s19, v16
	s_mov_b32 s8, exec_lo
	s_delay_alu instid0(VALU_DEP_2) | instskip(NEXT) | instid1(VALU_DEP_2)
	v_mul_lo_u32 v1, v1, s16
	v_mul_lo_u32 v2, v2, s18
	s_delay_alu instid0(VALU_DEP_1) | instskip(NEXT) | instid1(VALU_DEP_1)
	v_sub_nc_u32_e32 v1, v1, v2
	v_cmp_lt_u32_e64 s6, s20, v1
	v_cmpx_ge_u32_e64 s20, v1
	s_cbranch_execz .LBB1369_17
; %bb.16:
	v_add_nc_u32_e32 v1, s22, v16
	v_add_nc_u32_e32 v2, s42, v16
	s_delay_alu instid0(VALU_DEP_2) | instskip(NEXT) | instid1(VALU_DEP_2)
	v_mul_lo_u32 v1, v1, s21
	v_mul_lo_u32 v2, v2, s23
	s_delay_alu instid0(VALU_DEP_1) | instskip(NEXT) | instid1(VALU_DEP_1)
	v_sub_nc_u32_e32 v1, v1, v2
	v_cmp_lt_u32_e64 s7, s43, v1
	s_and_b32 s48, s7, exec_lo
.LBB1369_17:
	s_or_b32 exec_lo, exec_lo, s8
	v_add_nc_u32_e32 v1, s17, v13
	v_add_nc_u32_e32 v2, s19, v13
	s_mov_b32 s50, 0
	s_mov_b32 s49, 0
	s_mov_b32 s9, exec_lo
	v_mul_lo_u32 v1, v1, s16
	v_mul_lo_u32 v2, v2, s18
	s_delay_alu instid0(VALU_DEP_1) | instskip(NEXT) | instid1(VALU_DEP_1)
	v_sub_nc_u32_e32 v1, v1, v2
	v_cmp_lt_u32_e64 s7, s20, v1
	v_cmpx_ge_u32_e64 s20, v1
	s_cbranch_execz .LBB1369_19
; %bb.18:
	v_add_nc_u32_e32 v1, s22, v13
	v_add_nc_u32_e32 v2, s42, v13
	s_delay_alu instid0(VALU_DEP_2) | instskip(NEXT) | instid1(VALU_DEP_2)
	v_mul_lo_u32 v1, v1, s21
	v_mul_lo_u32 v2, v2, s23
	s_delay_alu instid0(VALU_DEP_1) | instskip(NEXT) | instid1(VALU_DEP_1)
	v_sub_nc_u32_e32 v1, v1, v2
	v_cmp_lt_u32_e64 s8, s43, v1
	s_and_b32 s49, s8, exec_lo
.LBB1369_19:
	;; [unrolled: 47-line block ×5, first 2 shown]
	s_or_b32 exec_lo, exec_lo, s57
	v_cndmask_b32_e64 v2, 0, 1, s2
	s_wait_alu 0xf1ff
	v_cndmask_b32_e64 v4, 0, 1, s4
	s_wait_alu 0xfffd
	v_cndmask_b32_e64 v1, 0, 1, vcc_lo
	v_cndmask_b32_e64 v3, 0, 1, s3
	v_cndmask_b32_e64 v6, 0, 1, s6
	v_lshlrev_b16 v2, 8, v2
	v_lshlrev_b16 v4, 8, v4
	v_cndmask_b32_e64 v8, 0, 1, s8
	v_cndmask_b32_e64 v22, 0, 1, s10
	;; [unrolled: 1-line block ×3, first 2 shown]
	v_or_b32_e32 v1, v1, v2
	v_or_b32_e32 v2, v3, v4
	v_cndmask_b32_e64 v51, 0, 1, s41
	v_cndmask_b32_e64 v5, 0, 1, s5
	;; [unrolled: 1-line block ×3, first 2 shown]
	v_and_b32_e32 v1, 0xffff, v1
	v_lshlrev_b32_e32 v2, 16, v2
	v_cndmask_b32_e64 v21, 0, 1, s9
	v_cndmask_b32_e64 v23, 0, 1, s11
	;; [unrolled: 1-line block ×8, first 2 shown]
	v_or_b32_e32 v42, v1, v2
	v_lshlrev_b16 v1, 8, v6
	v_lshlrev_b16 v2, 8, v8
	;; [unrolled: 1-line block ×5, first 2 shown]
	v_cndmask_b32_e64 v26, 0, 1, s53
	v_cndmask_b32_e64 v44, 0, 1, s50
	;; [unrolled: 1-line block ×5, first 2 shown]
	v_or_b32_e32 v1, v5, v1
	v_or_b32_e32 v2, v7, v2
	;; [unrolled: 1-line block ×5, first 2 shown]
	v_lshlrev_b16 v4, 8, v4
	v_lshlrev_b16 v8, 8, v49
	;; [unrolled: 1-line block ×5, first 2 shown]
	v_or_b32_e32 v4, v50, v4
	v_or_b32_e32 v3, v3, v8
	;; [unrolled: 1-line block ×5, first 2 shown]
	v_and_b32_e32 v1, 0xffff, v1
	v_lshlrev_b32_e32 v2, 16, v2
	v_and_b32_e32 v5, 0xffff, v5
	v_lshlrev_b32_e32 v6, 16, v6
	;; [unrolled: 2-line block ×5, first 2 shown]
	v_cndmask_b32_e64 v45, 0, 1, s54
	v_cndmask_b32_e64 v48, 0, 1, s56
	v_or_b32_e32 v44, v1, v2
	v_or_b32_e32 v47, v5, v6
	;; [unrolled: 1-line block ×5, first 2 shown]
	s_load_b64 s[4:5], s[0:1], 0x78
	s_and_b32 vcc_lo, exec_lo, s51
	s_wait_alu 0xfffe
	s_cbranch_vccnz .LBB1369_33
	s_branch .LBB1369_110
.LBB1369_32:
                                        ; implicit-def: $vgpr48
                                        ; implicit-def: $vgpr45
                                        ; implicit-def: $vgpr46
                                        ; implicit-def: $vgpr43
                                        ; implicit-def: $vgpr49
                                        ; implicit-def: $vgpr47
                                        ; implicit-def: $vgpr44
                                        ; implicit-def: $vgpr42
	s_load_b64 s[4:5], s[0:1], 0x78
	s_cbranch_execz .LBB1369_110
.LBB1369_33:
	v_dual_mov_b32 v2, 0 :: v_dual_mov_b32 v1, 0
	s_mov_b32 s1, exec_lo
	v_cmpx_gt_u32_e64 s33, v41
	s_cbranch_execz .LBB1369_37
; %bb.34:
	v_add_nc_u32_e32 v1, s17, v19
	v_add_nc_u32_e32 v2, s19, v19
	s_mov_b32 s3, 0
	s_mov_b32 s2, exec_lo
	s_delay_alu instid0(VALU_DEP_2) | instskip(NEXT) | instid1(VALU_DEP_2)
	v_mul_lo_u32 v1, v1, s16
	v_mul_lo_u32 v2, v2, s18
	s_delay_alu instid0(VALU_DEP_1) | instskip(NEXT) | instid1(VALU_DEP_1)
	v_sub_nc_u32_e32 v1, v1, v2
	v_cmp_lt_u32_e32 vcc_lo, s20, v1
	v_cmpx_ge_u32_e64 s20, v1
	s_cbranch_execz .LBB1369_36
; %bb.35:
	v_add_nc_u32_e32 v1, s22, v19
	v_add_nc_u32_e32 v2, s42, v19
	s_delay_alu instid0(VALU_DEP_2) | instskip(NEXT) | instid1(VALU_DEP_2)
	v_mul_lo_u32 v1, v1, s21
	v_mul_lo_u32 v2, v2, s23
	s_delay_alu instid0(VALU_DEP_1) | instskip(NEXT) | instid1(VALU_DEP_1)
	v_sub_nc_u32_e32 v1, v1, v2
	v_cmp_lt_u32_e64 s0, s43, v1
	s_and_b32 s3, s0, exec_lo
.LBB1369_36:
	s_wait_alu 0xfffe
	s_or_b32 exec_lo, exec_lo, s2
	v_cndmask_b32_e64 v2, 0, 1, s3
	s_wait_alu 0xfffd
	v_cndmask_b32_e64 v1, 0, 1, vcc_lo
.LBB1369_37:
	s_or_b32 exec_lo, exec_lo, s1
	s_delay_alu instid0(VALU_DEP_2) | instskip(SKIP_1) | instid1(VALU_DEP_3)
	v_lshlrev_b16 v2, 8, v2
	v_add_nc_u32_e32 v3, 1, v41
	v_and_b32_e32 v6, 0xff, v1
	v_lshlrev_b16 v1, 8, 0
                                        ; implicit-def: $vgpr5
                                        ; implicit-def: $vgpr8
                                        ; implicit-def: $vgpr4
	s_delay_alu instid0(VALU_DEP_4) | instskip(NEXT) | instid1(VALU_DEP_4)
	v_and_b32_e32 v2, 0xffff, v2
	v_cmp_le_u32_e32 vcc_lo, s33, v3
                                        ; implicit-def: $vgpr3
	s_delay_alu instid0(VALU_DEP_2) | instskip(SKIP_2) | instid1(SALU_CYCLE_1)
	v_lshrrev_b32_e32 v21, 8, v2
	v_and_b32_e32 v7, 0xff, v2
                                        ; implicit-def: $vgpr2
	s_and_saveexec_b32 s0, vcc_lo
	s_xor_b32 s0, exec_lo, s0
	s_cbranch_execz .LBB1369_39
; %bb.38:
	v_lshlrev_b16 v2, 8, v21
	v_and_b32_e32 v4, 0xffff, v1
                                        ; implicit-def: $vgpr21
	v_mov_b32_e32 v5, 0
	s_delay_alu instid0(VALU_DEP_3) | instskip(SKIP_1) | instid1(VALU_DEP_2)
	v_or_b32_e32 v3, v7, v2
	v_mov_b32_e32 v2, 0
                                        ; implicit-def: $vgpr7
	v_and_b32_e32 v8, 0xffff, v3
	v_and_b32_e32 v3, 0xffff, v1
                                        ; implicit-def: $vgpr1
.LBB1369_39:
	s_and_not1_saveexec_b32 s1, s0
	s_cbranch_execz .LBB1369_43
; %bb.40:
	v_add_nc_u32_e32 v2, s17, v20
	v_add_nc_u32_e32 v3, s19, v20
	s_mov_b32 s2, 0
	s_mov_b32 s3, exec_lo
	s_delay_alu instid0(VALU_DEP_2) | instskip(NEXT) | instid1(VALU_DEP_2)
	v_mul_lo_u32 v2, v2, s16
	v_mul_lo_u32 v3, v3, s18
	s_delay_alu instid0(VALU_DEP_1) | instskip(NEXT) | instid1(VALU_DEP_1)
	v_sub_nc_u32_e32 v2, v2, v3
	v_cmp_lt_u32_e32 vcc_lo, s20, v2
	v_cmpx_ge_u32_e64 s20, v2
	s_cbranch_execz .LBB1369_42
; %bb.41:
	v_add_nc_u32_e32 v2, s22, v20
	v_add_nc_u32_e32 v3, s42, v20
	s_delay_alu instid0(VALU_DEP_2) | instskip(NEXT) | instid1(VALU_DEP_2)
	v_mul_lo_u32 v2, v2, s21
	v_mul_lo_u32 v3, v3, s23
	s_delay_alu instid0(VALU_DEP_1) | instskip(NEXT) | instid1(VALU_DEP_1)
	v_sub_nc_u32_e32 v2, v2, v3
	v_cmp_lt_u32_e64 s0, s43, v2
	s_and_b32 s2, s0, exec_lo
.LBB1369_42:
	s_wait_alu 0xfffe
	s_or_b32 exec_lo, exec_lo, s3
	s_wait_alu 0xfffd
	v_cndmask_b32_e64 v2, 0, 1, vcc_lo
	v_lshlrev_b16 v3, 8, v21
	v_dual_mov_b32 v5, 0 :: v_dual_and_b32 v4, 0xffff, v1
	s_delay_alu instid0(VALU_DEP_3) | instskip(NEXT) | instid1(VALU_DEP_3)
	v_lshlrev_b16 v2, 8, v2
	v_or_b32_e32 v3, v7, v3
	v_cndmask_b32_e64 v7, 0, 1, s2
	s_delay_alu instid0(VALU_DEP_3) | instskip(NEXT) | instid1(VALU_DEP_3)
	v_or_b32_e32 v6, v6, v2
	v_dual_mov_b32 v2, 0 :: v_dual_and_b32 v3, 0xffff, v3
	s_delay_alu instid0(VALU_DEP_2) | instskip(NEXT) | instid1(VALU_DEP_2)
	v_and_b32_e32 v6, 0xffff, v6
	v_lshl_or_b32 v8, v7, 16, v3
	v_and_b32_e32 v3, 0xffff, v1
.LBB1369_43:
	s_or_b32 exec_lo, exec_lo, s1
	v_add_nc_u32_e32 v1, 2, v41
	v_and_b32_e32 v21, 0xff, v6
	v_lshrrev_b32_e32 v22, 8, v6
                                        ; implicit-def: $vgpr7
	s_delay_alu instid0(VALU_DEP_3) | instskip(SKIP_1) | instid1(SALU_CYCLE_1)
	v_cmp_le_u32_e32 vcc_lo, s33, v1
                                        ; implicit-def: $vgpr1
	s_and_saveexec_b32 s0, vcc_lo
	s_xor_b32 s0, exec_lo, s0
	s_cbranch_execz .LBB1369_45
; %bb.44:
	v_lshlrev_b16 v1, 8, v22
	v_perm_b32 v4, v4, v4, 0x3060504
                                        ; implicit-def: $vgpr22
	s_delay_alu instid0(VALU_DEP_2) | instskip(SKIP_1) | instid1(VALU_DEP_2)
	v_or_b32_e32 v1, v21, v1
	v_and_b32_e32 v21, 0xff0000, v8
	v_and_b32_e32 v1, 0xffff, v1
	s_delay_alu instid0(VALU_DEP_1) | instskip(NEXT) | instid1(VALU_DEP_3)
	v_and_or_b32 v7, 0xff000000, v6, v1
	v_perm_b32 v1, v8, v21, 0x3020504
                                        ; implicit-def: $vgpr21
                                        ; implicit-def: $vgpr6
                                        ; implicit-def: $vgpr8
.LBB1369_45:
	s_and_not1_saveexec_b32 s1, s0
	s_cbranch_execz .LBB1369_49
; %bb.46:
	v_add_nc_u32_e32 v1, s17, v17
	v_add_nc_u32_e32 v7, s19, v17
	s_mov_b32 s2, 0
	s_mov_b32 s3, exec_lo
	s_delay_alu instid0(VALU_DEP_2) | instskip(NEXT) | instid1(VALU_DEP_2)
	v_mul_lo_u32 v1, v1, s16
	v_mul_lo_u32 v7, v7, s18
	s_delay_alu instid0(VALU_DEP_1) | instskip(NEXT) | instid1(VALU_DEP_1)
	v_sub_nc_u32_e32 v1, v1, v7
	v_cmp_lt_u32_e32 vcc_lo, s20, v1
	v_cmpx_ge_u32_e64 s20, v1
	s_cbranch_execz .LBB1369_48
; %bb.47:
	v_add_nc_u32_e32 v1, s22, v17
	v_add_nc_u32_e32 v7, s42, v17
	s_delay_alu instid0(VALU_DEP_2) | instskip(NEXT) | instid1(VALU_DEP_2)
	v_mul_lo_u32 v1, v1, s21
	v_mul_lo_u32 v7, v7, s23
	s_delay_alu instid0(VALU_DEP_1) | instskip(NEXT) | instid1(VALU_DEP_1)
	v_sub_nc_u32_e32 v1, v1, v7
	v_cmp_lt_u32_e64 s0, s43, v1
	s_and_b32 s2, s0, exec_lo
.LBB1369_48:
	s_wait_alu 0xfffe
	s_or_b32 exec_lo, exec_lo, s3
	v_lshrrev_b32_e32 v6, 24, v6
	v_cndmask_b32_e64 v7, 0, 1, s2
	v_lshrrev_b32_e32 v23, 8, v8
	v_lshrrev_b32_e32 v24, 16, v8
	s_wait_alu 0xfffd
	v_cndmask_b32_e64 v1, 0, 1, vcc_lo
	v_lshlrev_b16 v22, 8, v22
	v_lshlrev_b16 v6, 8, v6
	v_and_b32_e32 v8, 0xff, v8
	v_lshlrev_b16 v23, 8, v23
	v_lshlrev_b16 v7, 8, v7
	v_and_b32_e32 v24, 0xff, v24
	v_or_b32_e32 v21, v21, v22
	v_or_b32_e32 v1, v1, v6
	;; [unrolled: 1-line block ×3, first 2 shown]
	s_delay_alu instid0(VALU_DEP_4) | instskip(NEXT) | instid1(VALU_DEP_4)
	v_or_b32_e32 v7, v24, v7
	v_and_b32_e32 v8, 0xffff, v21
	s_delay_alu instid0(VALU_DEP_4) | instskip(NEXT) | instid1(VALU_DEP_4)
	v_lshlrev_b32_e32 v1, 16, v1
	v_and_b32_e32 v6, 0xffff, v6
	s_delay_alu instid0(VALU_DEP_4) | instskip(NEXT) | instid1(VALU_DEP_3)
	v_lshlrev_b32_e32 v21, 16, v7
	v_or_b32_e32 v7, v8, v1
	s_delay_alu instid0(VALU_DEP_2)
	v_or_b32_e32 v1, v6, v21
.LBB1369_49:
	s_or_b32 exec_lo, exec_lo, s1
	v_add_nc_u32_e32 v6, 3, v41
	v_lshrrev_b32_e32 v8, 24, v5
	v_lshrrev_b32_e32 v21, 16, v5
	;; [unrolled: 1-line block ×3, first 2 shown]
                                        ; implicit-def: $vgpr42
	s_delay_alu instid0(VALU_DEP_4) | instskip(SKIP_1) | instid1(SALU_CYCLE_1)
	v_cmp_le_u32_e32 vcc_lo, s33, v6
                                        ; implicit-def: $vgpr6
	s_and_saveexec_b32 s0, vcc_lo
	s_xor_b32 s0, exec_lo, s0
	s_cbranch_execz .LBB1369_51
; %bb.50:
	v_lshlrev_b16 v6, 8, v8
	v_and_b32_e32 v8, 0xff, v21
	v_lshlrev_b16 v5, 8, v5
	v_perm_b32 v4, v4, v4, 0x3060504
	v_perm_b32 v3, v3, v3, 0x3060504
                                        ; implicit-def: $vgpr21
	s_delay_alu instid0(VALU_DEP_4) | instskip(SKIP_2) | instid1(VALU_DEP_3)
	v_or_b32_e32 v6, v8, v6
	v_and_b32_e32 v8, 0xff0000, v7
	v_and_b32_e32 v5, 0xffff, v5
	v_lshlrev_b32_e32 v6, 16, v6
	s_delay_alu instid0(VALU_DEP_3) | instskip(NEXT) | instid1(VALU_DEP_2)
	v_perm_b32 v42, v7, v8, 0x3020504
                                        ; implicit-def: $vgpr7
                                        ; implicit-def: $vgpr8
	v_or_b32_e32 v6, v5, v6
                                        ; implicit-def: $vgpr5
.LBB1369_51:
	s_and_not1_saveexec_b32 s1, s0
	s_cbranch_execz .LBB1369_55
; %bb.52:
	v_add_nc_u32_e32 v6, s17, v18
	v_add_nc_u32_e32 v22, s19, v18
	s_mov_b32 s2, 0
	s_mov_b32 s3, exec_lo
	s_delay_alu instid0(VALU_DEP_2) | instskip(NEXT) | instid1(VALU_DEP_2)
	v_mul_lo_u32 v6, v6, s16
	v_mul_lo_u32 v22, v22, s18
	s_delay_alu instid0(VALU_DEP_1) | instskip(NEXT) | instid1(VALU_DEP_1)
	v_sub_nc_u32_e32 v6, v6, v22
	v_cmp_lt_u32_e32 vcc_lo, s20, v6
	v_cmpx_ge_u32_e64 s20, v6
	s_cbranch_execz .LBB1369_54
; %bb.53:
	v_add_nc_u32_e32 v6, s22, v18
	v_add_nc_u32_e32 v22, s42, v18
	s_delay_alu instid0(VALU_DEP_2) | instskip(NEXT) | instid1(VALU_DEP_2)
	v_mul_lo_u32 v6, v6, s21
	v_mul_lo_u32 v22, v22, s23
	s_delay_alu instid0(VALU_DEP_1) | instskip(NEXT) | instid1(VALU_DEP_1)
	v_sub_nc_u32_e32 v6, v6, v22
	v_cmp_lt_u32_e64 s0, s43, v6
	s_and_b32 s2, s0, exec_lo
.LBB1369_54:
	s_wait_alu 0xfffe
	s_or_b32 exec_lo, exec_lo, s3
	v_lshrrev_b32_e32 v6, 8, v7
	s_wait_alu 0xfffd
	v_cndmask_b32_e64 v22, 0, 1, vcc_lo
	v_lshrrev_b32_e32 v23, 16, v7
	v_cndmask_b32_e64 v24, 0, 1, s2
	v_and_b32_e32 v7, 0xff, v7
	v_lshlrev_b16 v6, 8, v6
	v_lshlrev_b16 v22, 8, v22
	v_and_b32_e32 v23, 0xff, v23
	v_lshlrev_b16 v8, 8, v8
	v_and_b32_e32 v21, 0xff, v21
	v_lshlrev_b16 v5, 8, v5
	v_or_b32_e32 v6, v7, v6
	v_or_b32_e32 v7, v23, v22
	s_delay_alu instid0(VALU_DEP_4) | instskip(NEXT) | instid1(VALU_DEP_4)
	v_or_b32_e32 v8, v21, v8
	v_or_b32_e32 v5, v24, v5
	s_delay_alu instid0(VALU_DEP_4) | instskip(NEXT) | instid1(VALU_DEP_4)
	v_and_b32_e32 v6, 0xffff, v6
	v_lshlrev_b32_e32 v7, 16, v7
	s_delay_alu instid0(VALU_DEP_4) | instskip(NEXT) | instid1(VALU_DEP_4)
	v_lshlrev_b32_e32 v8, 16, v8
	v_and_b32_e32 v5, 0xffff, v5
	s_delay_alu instid0(VALU_DEP_3) | instskip(NEXT) | instid1(VALU_DEP_2)
	v_or_b32_e32 v42, v6, v7
	v_or_b32_e32 v6, v5, v8
.LBB1369_55:
	s_or_b32 exec_lo, exec_lo, s1
	v_add_nc_u32_e32 v5, 4, v41
	v_lshrrev_b32_e32 v21, 8, v4
	v_lshrrev_b32_e32 v22, 16, v4
	;; [unrolled: 1-line block ×4, first 2 shown]
	v_cmp_le_u32_e32 vcc_lo, s33, v5
	v_lshrrev_b32_e32 v8, 16, v6
                                        ; implicit-def: $vgpr4
                                        ; implicit-def: $vgpr5
	s_and_saveexec_b32 s0, vcc_lo
	s_delay_alu instid0(SALU_CYCLE_1)
	s_xor_b32 s0, exec_lo, s0
	s_cbranch_execz .LBB1369_57
; %bb.56:
	v_lshlrev_b16 v4, 8, v23
	v_and_b32_e32 v5, 0xff, v22
	v_lshlrev_b16 v21, 8, v21
	v_lshlrev_b16 v7, 8, v7
	v_and_b32_e32 v8, 0xff, v8
	v_perm_b32 v3, v3, v3, 0x3060504
	v_or_b32_e32 v4, v5, v4
	v_and_b32_e32 v5, 0xffff, v21
                                        ; implicit-def: $vgpr21
                                        ; implicit-def: $vgpr22
                                        ; implicit-def: $vgpr23
	s_delay_alu instid0(VALU_DEP_4) | instskip(NEXT) | instid1(VALU_DEP_3)
	v_or_b32_e32 v7, v8, v7
	v_lshlrev_b32_e32 v8, 16, v4
	s_delay_alu instid0(VALU_DEP_2) | instskip(NEXT) | instid1(VALU_DEP_2)
	v_perm_b32 v4, v7, v6, 0x5040c00
                                        ; implicit-def: $vgpr6
                                        ; implicit-def: $vgpr7
	v_or_b32_e32 v5, v5, v8
                                        ; implicit-def: $vgpr8
.LBB1369_57:
	s_and_not1_saveexec_b32 s1, s0
	s_cbranch_execz .LBB1369_61
; %bb.58:
	v_add_nc_u32_e32 v4, s17, v15
	v_add_nc_u32_e32 v5, s19, v15
	s_mov_b32 s2, 0
	s_mov_b32 s3, exec_lo
	s_delay_alu instid0(VALU_DEP_2) | instskip(NEXT) | instid1(VALU_DEP_2)
	v_mul_lo_u32 v4, v4, s16
	v_mul_lo_u32 v5, v5, s18
	s_delay_alu instid0(VALU_DEP_1) | instskip(NEXT) | instid1(VALU_DEP_1)
	v_sub_nc_u32_e32 v4, v4, v5
	v_cmp_lt_u32_e32 vcc_lo, s20, v4
	v_cmpx_ge_u32_e64 s20, v4
	s_cbranch_execz .LBB1369_60
; %bb.59:
	v_add_nc_u32_e32 v4, s22, v15
	v_add_nc_u32_e32 v5, s42, v15
	s_delay_alu instid0(VALU_DEP_2) | instskip(NEXT) | instid1(VALU_DEP_2)
	v_mul_lo_u32 v4, v4, s21
	v_mul_lo_u32 v5, v5, s23
	s_delay_alu instid0(VALU_DEP_1) | instskip(NEXT) | instid1(VALU_DEP_1)
	v_sub_nc_u32_e32 v4, v4, v5
	v_cmp_lt_u32_e64 s0, s43, v4
	s_and_b32 s2, s0, exec_lo
.LBB1369_60:
	s_wait_alu 0xfffe
	s_or_b32 exec_lo, exec_lo, s3
	v_cndmask_b32_e64 v4, 0, 1, s2
	s_wait_alu 0xfffd
	v_cndmask_b32_e64 v5, 0, 1, vcc_lo
	v_lshlrev_b16 v23, 8, v23
	v_and_b32_e32 v22, 0xff, v22
	v_lshlrev_b16 v21, 8, v21
	v_lshlrev_b16 v4, 8, v4
	v_and_b32_e32 v6, 0xff, v6
	v_lshlrev_b16 v7, 8, v7
	v_and_b32_e32 v8, 0xff, v8
	v_or_b32_e32 v22, v22, v23
	v_or_b32_e32 v5, v5, v21
	;; [unrolled: 1-line block ×3, first 2 shown]
	s_delay_alu instid0(VALU_DEP_4) | instskip(NEXT) | instid1(VALU_DEP_4)
	v_or_b32_e32 v6, v8, v7
	v_lshlrev_b32_e32 v7, 16, v22
	s_delay_alu instid0(VALU_DEP_4) | instskip(NEXT) | instid1(VALU_DEP_4)
	v_and_b32_e32 v5, 0xffff, v5
	v_and_b32_e32 v4, 0xffff, v4
	s_delay_alu instid0(VALU_DEP_4) | instskip(NEXT) | instid1(VALU_DEP_3)
	v_lshlrev_b32_e32 v6, 16, v6
	v_or_b32_e32 v5, v5, v7
	s_delay_alu instid0(VALU_DEP_2)
	v_or_b32_e32 v4, v4, v6
.LBB1369_61:
	s_or_b32 exec_lo, exec_lo, s1
	v_add_nc_u32_e32 v6, 5, v41
	s_delay_alu instid0(VALU_DEP_2)
	v_lshrrev_b32_e32 v21, 16, v5
	v_lshrrev_b32_e32 v23, 24, v5
	v_and_b32_e32 v8, 0xff, v4
	v_lshrrev_b32_e32 v22, 8, v4
	v_cmp_le_u32_e32 vcc_lo, s33, v6
                                        ; implicit-def: $vgpr6
                                        ; implicit-def: $vgpr7
	s_and_saveexec_b32 s0, vcc_lo
	s_delay_alu instid0(SALU_CYCLE_1)
	s_xor_b32 s0, exec_lo, s0
	s_cbranch_execz .LBB1369_63
; %bb.62:
	v_lshlrev_b16 v6, 8, v22
	v_lshlrev_b16 v7, 8, v23
	v_and_b32_e32 v21, 0xff, v21
	v_perm_b32 v3, v3, v3, 0x3060504
                                        ; implicit-def: $vgpr23
                                        ; implicit-def: $vgpr22
	s_delay_alu instid0(VALU_DEP_4) | instskip(NEXT) | instid1(VALU_DEP_3)
	v_or_b32_e32 v6, v8, v6
                                        ; implicit-def: $vgpr8
	v_or_b32_e32 v7, v21, v7
                                        ; implicit-def: $vgpr21
	s_delay_alu instid0(VALU_DEP_2) | instskip(NEXT) | instid1(VALU_DEP_2)
	v_and_b32_e32 v6, 0xffff, v6
	v_perm_b32 v7, v7, v5, 0x5040c00
                                        ; implicit-def: $vgpr5
	s_delay_alu instid0(VALU_DEP_2)
	v_and_or_b32 v6, 0xff000000, v4, v6
                                        ; implicit-def: $vgpr4
.LBB1369_63:
	s_and_not1_saveexec_b32 s1, s0
	s_cbranch_execz .LBB1369_67
; %bb.64:
	v_add_nc_u32_e32 v6, s17, v16
	v_add_nc_u32_e32 v7, s19, v16
	s_mov_b32 s2, 0
	s_mov_b32 s3, exec_lo
	s_delay_alu instid0(VALU_DEP_2) | instskip(NEXT) | instid1(VALU_DEP_2)
	v_mul_lo_u32 v6, v6, s16
	v_mul_lo_u32 v7, v7, s18
	s_delay_alu instid0(VALU_DEP_1) | instskip(NEXT) | instid1(VALU_DEP_1)
	v_sub_nc_u32_e32 v6, v6, v7
	v_cmp_lt_u32_e32 vcc_lo, s20, v6
	v_cmpx_ge_u32_e64 s20, v6
	s_cbranch_execz .LBB1369_66
; %bb.65:
	v_add_nc_u32_e32 v6, s22, v16
	v_add_nc_u32_e32 v7, s42, v16
	s_delay_alu instid0(VALU_DEP_2) | instskip(NEXT) | instid1(VALU_DEP_2)
	v_mul_lo_u32 v6, v6, s21
	v_mul_lo_u32 v7, v7, s23
	s_delay_alu instid0(VALU_DEP_1) | instskip(NEXT) | instid1(VALU_DEP_1)
	v_sub_nc_u32_e32 v6, v6, v7
	v_cmp_lt_u32_e64 s0, s43, v6
	s_and_b32 s2, s0, exec_lo
.LBB1369_66:
	s_wait_alu 0xfffe
	s_or_b32 exec_lo, exec_lo, s3
	s_wait_alu 0xfffd
	v_cndmask_b32_e64 v6, 0, 1, vcc_lo
	v_lshrrev_b32_e32 v4, 24, v4
	v_cndmask_b32_e64 v7, 0, 1, s2
	v_lshlrev_b16 v23, 8, v23
	v_and_b32_e32 v21, 0xff, v21
	v_lshlrev_b16 v6, 8, v6
	v_lshlrev_b16 v22, 8, v22
	v_and_b32_e32 v5, 0xff, v5
	v_lshlrev_b16 v4, 8, v4
	v_or_b32_e32 v21, v21, v23
	s_delay_alu instid0(VALU_DEP_4) | instskip(NEXT) | instid1(VALU_DEP_4)
	v_or_b32_e32 v8, v8, v22
	v_or_b32_e32 v5, v5, v6
	s_delay_alu instid0(VALU_DEP_4) | instskip(NEXT) | instid1(VALU_DEP_4)
	v_or_b32_e32 v4, v7, v4
	v_lshlrev_b32_e32 v6, 16, v21
	s_delay_alu instid0(VALU_DEP_4) | instskip(NEXT) | instid1(VALU_DEP_4)
	v_and_b32_e32 v8, 0xffff, v8
	v_and_b32_e32 v5, 0xffff, v5
	s_delay_alu instid0(VALU_DEP_4) | instskip(NEXT) | instid1(VALU_DEP_2)
	v_lshlrev_b32_e32 v4, 16, v4
	v_or_b32_e32 v7, v5, v6
	s_delay_alu instid0(VALU_DEP_2)
	v_or_b32_e32 v6, v8, v4
.LBB1369_67:
	s_or_b32 exec_lo, exec_lo, s1
	v_add_nc_u32_e32 v4, 6, v41
	s_delay_alu instid0(VALU_DEP_3) | instskip(NEXT) | instid1(VALU_DEP_2)
	v_lshrrev_b32_e32 v8, 8, v7
                                        ; implicit-def: $vgpr43
                                        ; implicit-def: $vgpr5
	v_cmp_le_u32_e32 vcc_lo, s33, v4
	v_and_b32_e32 v4, 0xff, v7
	s_and_saveexec_b32 s0, vcc_lo
	s_delay_alu instid0(SALU_CYCLE_1)
	s_xor_b32 s0, exec_lo, s0
	s_cbranch_execz .LBB1369_69
; %bb.68:
	v_lshlrev_b16 v5, 8, v8
	v_perm_b32 v3, v3, v3, 0x3060504
                                        ; implicit-def: $vgpr8
	s_delay_alu instid0(VALU_DEP_2) | instskip(SKIP_1) | instid1(VALU_DEP_2)
	v_or_b32_e32 v4, v4, v5
	v_and_b32_e32 v5, 0xff0000, v6
	v_and_b32_e32 v4, 0xffff, v4
	s_delay_alu instid0(VALU_DEP_2) | instskip(NEXT) | instid1(VALU_DEP_2)
	v_perm_b32 v43, v6, v5, 0x3020504
                                        ; implicit-def: $vgpr6
	v_and_or_b32 v5, 0xff000000, v7, v4
                                        ; implicit-def: $vgpr4
                                        ; implicit-def: $vgpr7
.LBB1369_69:
	s_and_not1_saveexec_b32 s1, s0
	s_cbranch_execz .LBB1369_73
; %bb.70:
	v_add_nc_u32_e32 v5, s17, v13
	v_add_nc_u32_e32 v21, s19, v13
	s_mov_b32 s2, 0
	s_mov_b32 s3, exec_lo
	s_delay_alu instid0(VALU_DEP_2) | instskip(NEXT) | instid1(VALU_DEP_2)
	v_mul_lo_u32 v5, v5, s16
	v_mul_lo_u32 v21, v21, s18
	s_delay_alu instid0(VALU_DEP_1) | instskip(NEXT) | instid1(VALU_DEP_1)
	v_sub_nc_u32_e32 v5, v5, v21
	v_cmp_lt_u32_e32 vcc_lo, s20, v5
	v_cmpx_ge_u32_e64 s20, v5
	s_cbranch_execz .LBB1369_72
; %bb.71:
	v_add_nc_u32_e32 v5, s22, v13
	v_add_nc_u32_e32 v21, s42, v13
	s_delay_alu instid0(VALU_DEP_2) | instskip(NEXT) | instid1(VALU_DEP_2)
	v_mul_lo_u32 v5, v5, s21
	v_mul_lo_u32 v21, v21, s23
	s_delay_alu instid0(VALU_DEP_1) | instskip(NEXT) | instid1(VALU_DEP_1)
	v_sub_nc_u32_e32 v5, v5, v21
	v_cmp_lt_u32_e64 s0, s43, v5
	s_and_b32 s2, s0, exec_lo
.LBB1369_72:
	s_wait_alu 0xfffe
	s_or_b32 exec_lo, exec_lo, s3
	v_lshrrev_b32_e32 v7, 24, v7
	v_cndmask_b32_e64 v21, 0, 1, s2
	v_lshrrev_b32_e32 v22, 8, v6
	v_lshrrev_b32_e32 v23, 16, v6
	s_wait_alu 0xfffd
	v_cndmask_b32_e64 v5, 0, 1, vcc_lo
	v_lshlrev_b16 v8, 8, v8
	v_lshlrev_b16 v7, 8, v7
	v_and_b32_e32 v6, 0xff, v6
	v_lshlrev_b16 v22, 8, v22
	v_lshlrev_b16 v21, 8, v21
	v_and_b32_e32 v23, 0xff, v23
	v_or_b32_e32 v4, v4, v8
	v_or_b32_e32 v5, v5, v7
	;; [unrolled: 1-line block ×3, first 2 shown]
	s_delay_alu instid0(VALU_DEP_4) | instskip(NEXT) | instid1(VALU_DEP_4)
	v_or_b32_e32 v7, v23, v21
	v_and_b32_e32 v4, 0xffff, v4
	s_delay_alu instid0(VALU_DEP_4) | instskip(NEXT) | instid1(VALU_DEP_4)
	v_lshlrev_b32_e32 v5, 16, v5
	v_and_b32_e32 v6, 0xffff, v6
	s_delay_alu instid0(VALU_DEP_4) | instskip(NEXT) | instid1(VALU_DEP_3)
	v_lshlrev_b32_e32 v7, 16, v7
	v_or_b32_e32 v5, v4, v5
	s_delay_alu instid0(VALU_DEP_2)
	v_or_b32_e32 v43, v6, v7
.LBB1369_73:
	s_or_b32 exec_lo, exec_lo, s1
	v_add_nc_u32_e32 v4, 7, v41
	v_lshrrev_b32_e32 v6, 8, v3
	v_lshrrev_b32_e32 v7, 16, v3
	;; [unrolled: 1-line block ×3, first 2 shown]
                                        ; implicit-def: $vgpr44
	s_delay_alu instid0(VALU_DEP_4) | instskip(SKIP_1) | instid1(SALU_CYCLE_1)
	v_cmp_le_u32_e32 vcc_lo, s33, v4
                                        ; implicit-def: $vgpr4
	s_and_saveexec_b32 s0, vcc_lo
	s_xor_b32 s0, exec_lo, s0
	s_cbranch_execz .LBB1369_75
; %bb.74:
	v_lshlrev_b16 v3, 8, v3
	v_and_b32_e32 v4, 0xff, v7
                                        ; implicit-def: $vgpr7
	s_delay_alu instid0(VALU_DEP_1) | instskip(SKIP_2) | instid1(VALU_DEP_3)
	v_or_b32_e32 v3, v4, v3
	v_lshlrev_b16 v4, 8, v6
	v_and_b32_e32 v6, 0xff0000, v5
	v_lshlrev_b32_e32 v3, 16, v3
	s_delay_alu instid0(VALU_DEP_3) | instskip(NEXT) | instid1(VALU_DEP_3)
	v_and_b32_e32 v4, 0xffff, v4
	v_perm_b32 v44, v5, v6, 0x3020504
                                        ; implicit-def: $vgpr5
                                        ; implicit-def: $vgpr6
	s_delay_alu instid0(VALU_DEP_2)
	v_or_b32_e32 v4, v4, v3
                                        ; implicit-def: $vgpr3
.LBB1369_75:
	s_and_not1_saveexec_b32 s1, s0
	s_cbranch_execz .LBB1369_79
; %bb.76:
	v_add_nc_u32_e32 v4, s17, v14
	v_add_nc_u32_e32 v8, s19, v14
	s_mov_b32 s2, 0
	s_mov_b32 s3, exec_lo
	s_delay_alu instid0(VALU_DEP_2) | instskip(NEXT) | instid1(VALU_DEP_2)
	v_mul_lo_u32 v4, v4, s16
	v_mul_lo_u32 v8, v8, s18
	s_delay_alu instid0(VALU_DEP_1) | instskip(NEXT) | instid1(VALU_DEP_1)
	v_sub_nc_u32_e32 v4, v4, v8
	v_cmp_lt_u32_e32 vcc_lo, s20, v4
	v_cmpx_ge_u32_e64 s20, v4
	s_cbranch_execz .LBB1369_78
; %bb.77:
	v_add_nc_u32_e32 v4, s22, v14
	v_add_nc_u32_e32 v8, s42, v14
	s_delay_alu instid0(VALU_DEP_2) | instskip(NEXT) | instid1(VALU_DEP_2)
	v_mul_lo_u32 v4, v4, s21
	v_mul_lo_u32 v8, v8, s23
	s_delay_alu instid0(VALU_DEP_1) | instskip(NEXT) | instid1(VALU_DEP_1)
	v_sub_nc_u32_e32 v4, v4, v8
	v_cmp_lt_u32_e64 s0, s43, v4
	s_and_b32 s2, s0, exec_lo
.LBB1369_78:
	s_wait_alu 0xfffe
	s_or_b32 exec_lo, exec_lo, s3
	v_lshrrev_b32_e32 v4, 8, v5
	s_wait_alu 0xfffd
	v_cndmask_b32_e64 v8, 0, 1, vcc_lo
	v_lshrrev_b32_e32 v21, 16, v5
	v_cndmask_b32_e64 v22, 0, 1, s2
	v_and_b32_e32 v5, 0xff, v5
	v_lshlrev_b16 v4, 8, v4
	v_lshlrev_b16 v8, 8, v8
	v_and_b32_e32 v21, 0xff, v21
	v_lshlrev_b16 v3, 8, v3
	v_and_b32_e32 v7, 0xff, v7
	v_lshlrev_b16 v6, 8, v6
	v_or_b32_e32 v4, v5, v4
	v_or_b32_e32 v5, v21, v8
	s_delay_alu instid0(VALU_DEP_4) | instskip(NEXT) | instid1(VALU_DEP_4)
	v_or_b32_e32 v3, v7, v3
	v_or_b32_e32 v6, v22, v6
	s_delay_alu instid0(VALU_DEP_4) | instskip(NEXT) | instid1(VALU_DEP_4)
	v_and_b32_e32 v4, 0xffff, v4
	v_lshlrev_b32_e32 v5, 16, v5
	s_delay_alu instid0(VALU_DEP_4) | instskip(NEXT) | instid1(VALU_DEP_4)
	v_lshlrev_b32_e32 v3, 16, v3
	v_and_b32_e32 v6, 0xffff, v6
	s_delay_alu instid0(VALU_DEP_3) | instskip(NEXT) | instid1(VALU_DEP_2)
	v_or_b32_e32 v44, v4, v5
	v_or_b32_e32 v4, v6, v3
.LBB1369_79:
	s_or_b32 exec_lo, exec_lo, s1
	v_add_nc_u32_e32 v3, 8, v41
	s_delay_alu instid0(VALU_DEP_2)
	v_lshrrev_b32_e32 v5, 16, v4
	v_lshrrev_b32_e32 v6, 24, v4
	;; [unrolled: 1-line block ×4, first 2 shown]
	v_cmp_le_u32_e32 vcc_lo, s33, v3
	v_lshrrev_b32_e32 v7, 8, v2
                                        ; implicit-def: $vgpr2
                                        ; implicit-def: $vgpr3
	s_and_saveexec_b32 s0, vcc_lo
	s_delay_alu instid0(SALU_CYCLE_1)
	s_xor_b32 s0, exec_lo, s0
	s_cbranch_execz .LBB1369_81
; %bb.80:
	v_lshlrev_b16 v2, 8, v8
	v_and_b32_e32 v3, 0xff, v21
	v_lshlrev_b16 v7, 8, v7
	v_lshlrev_b16 v6, 8, v6
	v_perm_b32 v1, v1, v1, 0x3060504
                                        ; implicit-def: $vgpr8
                                        ; implicit-def: $vgpr21
	s_delay_alu instid0(VALU_DEP_4) | instskip(SKIP_2) | instid1(VALU_DEP_3)
	v_or_b32_e32 v2, v3, v2
	v_and_b32_e32 v3, 0xff, v5
	v_and_b32_e32 v5, 0xffff, v7
                                        ; implicit-def: $vgpr7
	v_lshlrev_b32_e32 v2, 16, v2
	s_delay_alu instid0(VALU_DEP_3) | instskip(NEXT) | instid1(VALU_DEP_2)
	v_or_b32_e32 v6, v3, v6
	v_or_b32_e32 v3, v5, v2
	s_delay_alu instid0(VALU_DEP_2)
	v_perm_b32 v2, v6, v4, 0x5040c00
                                        ; implicit-def: $vgpr4
                                        ; implicit-def: $vgpr5
                                        ; implicit-def: $vgpr6
.LBB1369_81:
	s_and_not1_saveexec_b32 s1, s0
	s_cbranch_execz .LBB1369_85
; %bb.82:
	v_add_nc_u32_e32 v2, s17, v11
	v_add_nc_u32_e32 v3, s19, v11
	s_mov_b32 s2, 0
	s_mov_b32 s3, exec_lo
	s_delay_alu instid0(VALU_DEP_2) | instskip(NEXT) | instid1(VALU_DEP_2)
	v_mul_lo_u32 v2, v2, s16
	v_mul_lo_u32 v3, v3, s18
	s_delay_alu instid0(VALU_DEP_1) | instskip(NEXT) | instid1(VALU_DEP_1)
	v_sub_nc_u32_e32 v2, v2, v3
	v_cmp_lt_u32_e32 vcc_lo, s20, v2
	v_cmpx_ge_u32_e64 s20, v2
	s_cbranch_execz .LBB1369_84
; %bb.83:
	v_add_nc_u32_e32 v2, s22, v11
	v_add_nc_u32_e32 v3, s42, v11
	s_delay_alu instid0(VALU_DEP_2) | instskip(NEXT) | instid1(VALU_DEP_2)
	v_mul_lo_u32 v2, v2, s21
	v_mul_lo_u32 v3, v3, s23
	s_delay_alu instid0(VALU_DEP_1) | instskip(NEXT) | instid1(VALU_DEP_1)
	v_sub_nc_u32_e32 v2, v2, v3
	v_cmp_lt_u32_e64 s0, s43, v2
	s_and_b32 s2, s0, exec_lo
.LBB1369_84:
	s_wait_alu 0xfffe
	s_or_b32 exec_lo, exec_lo, s3
	v_cndmask_b32_e64 v2, 0, 1, s2
	s_wait_alu 0xfffd
	v_cndmask_b32_e64 v3, 0, 1, vcc_lo
	v_lshlrev_b16 v8, 8, v8
	v_and_b32_e32 v21, 0xff, v21
	v_lshlrev_b16 v7, 8, v7
	v_lshlrev_b16 v2, 8, v2
	v_and_b32_e32 v4, 0xff, v4
	v_lshlrev_b16 v6, 8, v6
	v_and_b32_e32 v5, 0xff, v5
	v_or_b32_e32 v8, v21, v8
	v_or_b32_e32 v3, v3, v7
	;; [unrolled: 1-line block ×3, first 2 shown]
	s_delay_alu instid0(VALU_DEP_4) | instskip(NEXT) | instid1(VALU_DEP_4)
	v_or_b32_e32 v4, v5, v6
	v_lshlrev_b32_e32 v5, 16, v8
	s_delay_alu instid0(VALU_DEP_4) | instskip(NEXT) | instid1(VALU_DEP_4)
	v_and_b32_e32 v3, 0xffff, v3
	v_and_b32_e32 v2, 0xffff, v2
	s_delay_alu instid0(VALU_DEP_4) | instskip(NEXT) | instid1(VALU_DEP_3)
	v_lshlrev_b32_e32 v4, 16, v4
	v_or_b32_e32 v3, v3, v5
	s_delay_alu instid0(VALU_DEP_2)
	v_or_b32_e32 v2, v2, v4
.LBB1369_85:
	s_or_b32 exec_lo, exec_lo, s1
	v_add_nc_u32_e32 v4, 9, v41
	s_delay_alu instid0(VALU_DEP_2)
	v_lshrrev_b32_e32 v6, 8, v2
	v_lshrrev_b32_e32 v21, 24, v3
	;; [unrolled: 1-line block ×3, first 2 shown]
	v_and_b32_e32 v7, 0xff, v2
	v_cmp_le_u32_e32 vcc_lo, s33, v4
                                        ; implicit-def: $vgpr4
                                        ; implicit-def: $vgpr5
	s_and_saveexec_b32 s0, vcc_lo
	s_delay_alu instid0(SALU_CYCLE_1)
	s_xor_b32 s0, exec_lo, s0
	s_cbranch_execz .LBB1369_87
; %bb.86:
	v_lshlrev_b16 v4, 8, v6
	v_lshlrev_b16 v5, 8, v21
	v_and_b32_e32 v6, 0xff, v8
	v_perm_b32 v1, v1, v1, 0x3060504
                                        ; implicit-def: $vgpr21
                                        ; implicit-def: $vgpr8
	s_delay_alu instid0(VALU_DEP_4) | instskip(NEXT) | instid1(VALU_DEP_3)
	v_or_b32_e32 v4, v7, v4
                                        ; implicit-def: $vgpr7
	v_or_b32_e32 v5, v6, v5
                                        ; implicit-def: $vgpr6
	s_delay_alu instid0(VALU_DEP_2) | instskip(NEXT) | instid1(VALU_DEP_2)
	v_and_b32_e32 v4, 0xffff, v4
	v_perm_b32 v5, v5, v3, 0x5040c00
                                        ; implicit-def: $vgpr3
	s_delay_alu instid0(VALU_DEP_2)
	v_and_or_b32 v4, 0xff000000, v2, v4
                                        ; implicit-def: $vgpr2
.LBB1369_87:
	s_and_not1_saveexec_b32 s1, s0
	s_cbranch_execz .LBB1369_91
; %bb.88:
	v_add_nc_u32_e32 v4, s17, v12
	v_add_nc_u32_e32 v5, s19, v12
	s_mov_b32 s2, 0
	s_mov_b32 s3, exec_lo
	s_delay_alu instid0(VALU_DEP_2) | instskip(NEXT) | instid1(VALU_DEP_2)
	v_mul_lo_u32 v4, v4, s16
	v_mul_lo_u32 v5, v5, s18
	s_delay_alu instid0(VALU_DEP_1) | instskip(NEXT) | instid1(VALU_DEP_1)
	v_sub_nc_u32_e32 v4, v4, v5
	v_cmp_lt_u32_e32 vcc_lo, s20, v4
	v_cmpx_ge_u32_e64 s20, v4
	s_cbranch_execz .LBB1369_90
; %bb.89:
	v_add_nc_u32_e32 v4, s22, v12
	v_add_nc_u32_e32 v5, s42, v12
	s_delay_alu instid0(VALU_DEP_2) | instskip(NEXT) | instid1(VALU_DEP_2)
	v_mul_lo_u32 v4, v4, s21
	v_mul_lo_u32 v5, v5, s23
	s_delay_alu instid0(VALU_DEP_1) | instskip(NEXT) | instid1(VALU_DEP_1)
	v_sub_nc_u32_e32 v4, v4, v5
	v_cmp_lt_u32_e64 s0, s43, v4
	s_and_b32 s2, s0, exec_lo
.LBB1369_90:
	s_wait_alu 0xfffe
	s_or_b32 exec_lo, exec_lo, s3
	s_wait_alu 0xfffd
	v_cndmask_b32_e64 v4, 0, 1, vcc_lo
	v_lshrrev_b32_e32 v2, 24, v2
	v_cndmask_b32_e64 v5, 0, 1, s2
	v_lshlrev_b16 v21, 8, v21
	v_and_b32_e32 v8, 0xff, v8
	v_lshlrev_b16 v4, 8, v4
	v_lshlrev_b16 v6, 8, v6
	v_and_b32_e32 v3, 0xff, v3
	v_lshlrev_b16 v2, 8, v2
	v_or_b32_e32 v8, v8, v21
	s_delay_alu instid0(VALU_DEP_4) | instskip(NEXT) | instid1(VALU_DEP_4)
	v_or_b32_e32 v6, v7, v6
	v_or_b32_e32 v3, v3, v4
	s_delay_alu instid0(VALU_DEP_4) | instskip(NEXT) | instid1(VALU_DEP_4)
	v_or_b32_e32 v2, v5, v2
	v_lshlrev_b32_e32 v4, 16, v8
	s_delay_alu instid0(VALU_DEP_4) | instskip(NEXT) | instid1(VALU_DEP_4)
	v_and_b32_e32 v6, 0xffff, v6
	v_and_b32_e32 v3, 0xffff, v3
	s_delay_alu instid0(VALU_DEP_4) | instskip(NEXT) | instid1(VALU_DEP_2)
	v_lshlrev_b32_e32 v2, 16, v2
	v_or_b32_e32 v5, v3, v4
	s_delay_alu instid0(VALU_DEP_2)
	v_or_b32_e32 v4, v6, v2
.LBB1369_91:
	s_or_b32 exec_lo, exec_lo, s1
	v_add_nc_u32_e32 v2, 10, v41
	s_delay_alu instid0(VALU_DEP_3) | instskip(SKIP_1) | instid1(VALU_DEP_3)
	v_and_b32_e32 v3, 0xff, v5
	v_lshrrev_b32_e32 v6, 8, v5
                                        ; implicit-def: $vgpr46
	v_cmp_le_u32_e32 vcc_lo, s33, v2
                                        ; implicit-def: $vgpr2
	s_and_saveexec_b32 s0, vcc_lo
	s_delay_alu instid0(SALU_CYCLE_1)
	s_xor_b32 s0, exec_lo, s0
	s_cbranch_execz .LBB1369_93
; %bb.92:
	v_lshlrev_b16 v2, 8, v6
	v_perm_b32 v1, v1, v1, 0x3060504
                                        ; implicit-def: $vgpr6
	s_delay_alu instid0(VALU_DEP_2) | instskip(SKIP_1) | instid1(VALU_DEP_2)
	v_or_b32_e32 v2, v3, v2
	v_and_b32_e32 v3, 0xff0000, v4
	v_and_b32_e32 v2, 0xffff, v2
	s_delay_alu instid0(VALU_DEP_2) | instskip(NEXT) | instid1(VALU_DEP_2)
	v_perm_b32 v46, v4, v3, 0x3020504
                                        ; implicit-def: $vgpr3
                                        ; implicit-def: $vgpr4
	v_and_or_b32 v2, 0xff000000, v5, v2
                                        ; implicit-def: $vgpr5
.LBB1369_93:
	s_and_not1_saveexec_b32 s1, s0
	s_cbranch_execz .LBB1369_97
; %bb.94:
	v_add_nc_u32_e32 v2, s17, v9
	v_add_nc_u32_e32 v7, s19, v9
	s_mov_b32 s2, 0
	s_mov_b32 s3, exec_lo
	s_delay_alu instid0(VALU_DEP_2) | instskip(NEXT) | instid1(VALU_DEP_2)
	v_mul_lo_u32 v2, v2, s16
	v_mul_lo_u32 v7, v7, s18
	s_delay_alu instid0(VALU_DEP_1) | instskip(NEXT) | instid1(VALU_DEP_1)
	v_sub_nc_u32_e32 v2, v2, v7
	v_cmp_lt_u32_e32 vcc_lo, s20, v2
	v_cmpx_ge_u32_e64 s20, v2
	s_cbranch_execz .LBB1369_96
; %bb.95:
	v_add_nc_u32_e32 v2, s22, v9
	v_add_nc_u32_e32 v7, s42, v9
	s_delay_alu instid0(VALU_DEP_2) | instskip(NEXT) | instid1(VALU_DEP_2)
	v_mul_lo_u32 v2, v2, s21
	v_mul_lo_u32 v7, v7, s23
	s_delay_alu instid0(VALU_DEP_1) | instskip(NEXT) | instid1(VALU_DEP_1)
	v_sub_nc_u32_e32 v2, v2, v7
	v_cmp_lt_u32_e64 s0, s43, v2
	s_and_b32 s2, s0, exec_lo
.LBB1369_96:
	s_wait_alu 0xfffe
	s_or_b32 exec_lo, exec_lo, s3
	v_lshrrev_b32_e32 v5, 24, v5
	v_cndmask_b32_e64 v7, 0, 1, s2
	v_lshrrev_b32_e32 v8, 8, v4
	v_lshrrev_b32_e32 v21, 16, v4
	s_wait_alu 0xfffd
	v_cndmask_b32_e64 v2, 0, 1, vcc_lo
	v_lshlrev_b16 v6, 8, v6
	v_lshlrev_b16 v5, 8, v5
	v_and_b32_e32 v4, 0xff, v4
	v_lshlrev_b16 v8, 8, v8
	v_lshlrev_b16 v7, 8, v7
	v_and_b32_e32 v21, 0xff, v21
	v_or_b32_e32 v3, v3, v6
	v_or_b32_e32 v2, v2, v5
	;; [unrolled: 1-line block ×3, first 2 shown]
	s_delay_alu instid0(VALU_DEP_4) | instskip(NEXT) | instid1(VALU_DEP_4)
	v_or_b32_e32 v5, v21, v7
	v_and_b32_e32 v3, 0xffff, v3
	s_delay_alu instid0(VALU_DEP_4) | instskip(NEXT) | instid1(VALU_DEP_4)
	v_lshlrev_b32_e32 v2, 16, v2
	v_and_b32_e32 v4, 0xffff, v4
	s_delay_alu instid0(VALU_DEP_4) | instskip(NEXT) | instid1(VALU_DEP_3)
	v_lshlrev_b32_e32 v5, 16, v5
	v_or_b32_e32 v2, v3, v2
	s_delay_alu instid0(VALU_DEP_2)
	v_or_b32_e32 v46, v4, v5
.LBB1369_97:
	s_or_b32 exec_lo, exec_lo, s1
	v_add_nc_u32_e32 v3, 11, v41
	v_mov_b32_e32 v45, 0
	s_mov_b32 s0, exec_lo
                                        ; implicit-def: $vgpr47
	s_delay_alu instid0(VALU_DEP_2)
	v_cmpx_le_u32_e64 s33, v3
	s_xor_b32 s0, exec_lo, s0
; %bb.98:
	v_and_b32_e32 v3, 0xff0000, v2
	v_perm_b32 v1, v1, v1, 0x3060504
	s_delay_alu instid0(VALU_DEP_2)
	v_perm_b32 v47, v2, v3, 0x3020504
                                        ; implicit-def: $vgpr2
; %bb.99:
	s_and_not1_saveexec_b32 s1, s0
	s_cbranch_execz .LBB1369_103
; %bb.100:
	v_add_nc_u32_e32 v3, s17, v10
	v_add_nc_u32_e32 v4, s19, v10
	s_mov_b32 s2, 0
	s_mov_b32 s3, exec_lo
	s_delay_alu instid0(VALU_DEP_2) | instskip(NEXT) | instid1(VALU_DEP_2)
	v_mul_lo_u32 v3, v3, s16
	v_mul_lo_u32 v4, v4, s18
	s_delay_alu instid0(VALU_DEP_1) | instskip(NEXT) | instid1(VALU_DEP_1)
	v_sub_nc_u32_e32 v3, v3, v4
	v_cmp_lt_u32_e32 vcc_lo, s20, v3
	v_cmpx_ge_u32_e64 s20, v3
	s_cbranch_execz .LBB1369_102
; %bb.101:
	v_add_nc_u32_e32 v3, s22, v10
	v_add_nc_u32_e32 v4, s42, v10
	s_delay_alu instid0(VALU_DEP_2) | instskip(NEXT) | instid1(VALU_DEP_2)
	v_mul_lo_u32 v3, v3, s21
	v_mul_lo_u32 v4, v4, s23
	s_delay_alu instid0(VALU_DEP_1) | instskip(NEXT) | instid1(VALU_DEP_1)
	v_sub_nc_u32_e32 v3, v3, v4
	v_cmp_lt_u32_e64 s0, s43, v3
	s_and_b32 s2, s0, exec_lo
.LBB1369_102:
	s_wait_alu 0xfffe
	s_or_b32 exec_lo, exec_lo, s3
	v_lshrrev_b32_e32 v3, 8, v2
	s_wait_alu 0xfffd
	v_cndmask_b32_e64 v4, 0, 1, vcc_lo
	v_lshrrev_b32_e32 v5, 16, v2
	v_and_b32_e32 v2, 0xff, v2
	v_cndmask_b32_e64 v45, 0, 1, s2
	v_lshlrev_b16 v3, 8, v3
	v_lshlrev_b16 v4, 8, v4
	v_and_b32_e32 v5, 0xff, v5
	s_delay_alu instid0(VALU_DEP_3) | instskip(NEXT) | instid1(VALU_DEP_2)
	v_or_b32_e32 v2, v2, v3
	v_or_b32_e32 v3, v5, v4
	s_delay_alu instid0(VALU_DEP_2) | instskip(NEXT) | instid1(VALU_DEP_2)
	v_and_b32_e32 v2, 0xffff, v2
	v_lshlrev_b32_e32 v3, 16, v3
	s_delay_alu instid0(VALU_DEP_1)
	v_or_b32_e32 v47, v2, v3
.LBB1369_103:
	s_or_b32 exec_lo, exec_lo, s1
	v_add_nc_u32_e32 v4, 12, v41
	v_lshrrev_b32_e32 v2, 8, v1
	v_lshrrev_b32_e32 v3, 16, v1
	;; [unrolled: 1-line block ×3, first 2 shown]
	s_mov_b32 s0, exec_lo
                                        ; implicit-def: $vgpr49
	v_cmpx_le_u32_e64 s33, v4
	s_xor_b32 s0, exec_lo, s0
	s_cbranch_execz .LBB1369_105
; %bb.104:
	v_lshlrev_b16 v1, 8, v1
	v_and_b32_e32 v3, 0xff, v3
	v_lshlrev_b16 v2, 8, v2
	s_delay_alu instid0(VALU_DEP_2) | instskip(NEXT) | instid1(VALU_DEP_2)
	v_or_b32_e32 v1, v3, v1
	v_and_b32_e32 v2, 0xffff, v2
                                        ; implicit-def: $vgpr3
	s_delay_alu instid0(VALU_DEP_2) | instskip(NEXT) | instid1(VALU_DEP_1)
	v_lshlrev_b32_e32 v1, 16, v1
	v_or_b32_e32 v49, v2, v1
                                        ; implicit-def: $vgpr1
                                        ; implicit-def: $vgpr2
.LBB1369_105:
	s_or_saveexec_b32 s1, s0
	v_mov_b32_e32 v48, 0
	s_xor_b32 exec_lo, exec_lo, s1
	s_cbranch_execz .LBB1369_109
; %bb.106:
	v_add_nc_u32_e32 v4, s17, v40
	v_add_nc_u32_e32 v5, s19, v40
	s_mov_b32 s2, 0
	s_mov_b32 s3, exec_lo
	s_delay_alu instid0(VALU_DEP_2) | instskip(NEXT) | instid1(VALU_DEP_2)
	v_mul_lo_u32 v4, v4, s16
	v_mul_lo_u32 v5, v5, s18
	s_delay_alu instid0(VALU_DEP_1) | instskip(NEXT) | instid1(VALU_DEP_1)
	v_sub_nc_u32_e32 v4, v4, v5
	v_cmp_lt_u32_e32 vcc_lo, s20, v4
	v_cmpx_ge_u32_e64 s20, v4
	s_cbranch_execz .LBB1369_108
; %bb.107:
	v_add_nc_u32_e32 v4, s22, v40
	v_add_nc_u32_e32 v5, s42, v40
	s_delay_alu instid0(VALU_DEP_2) | instskip(NEXT) | instid1(VALU_DEP_2)
	v_mul_lo_u32 v4, v4, s21
	v_mul_lo_u32 v5, v5, s23
	s_delay_alu instid0(VALU_DEP_1) | instskip(NEXT) | instid1(VALU_DEP_1)
	v_sub_nc_u32_e32 v4, v4, v5
	v_cmp_lt_u32_e64 s0, s43, v4
	s_and_b32 s2, s0, exec_lo
.LBB1369_108:
	s_wait_alu 0xfffe
	s_or_b32 exec_lo, exec_lo, s3
	s_wait_alu 0xfffd
	v_cndmask_b32_e64 v4, 0, 1, vcc_lo
	v_lshlrev_b16 v1, 8, v1
	v_and_b32_e32 v3, 0xff, v3
	v_lshlrev_b16 v2, 8, v2
	v_cndmask_b32_e64 v48, 0, 1, s2
	s_delay_alu instid0(VALU_DEP_3) | instskip(NEXT) | instid1(VALU_DEP_3)
	v_or_b32_e32 v1, v3, v1
	v_or_b32_e32 v2, v4, v2
	s_delay_alu instid0(VALU_DEP_2) | instskip(NEXT) | instid1(VALU_DEP_2)
	v_lshlrev_b32_e32 v1, 16, v1
	v_and_b32_e32 v2, 0xffff, v2
	s_delay_alu instid0(VALU_DEP_1)
	v_or_b32_e32 v49, v2, v1
.LBB1369_109:
	s_or_b32 exec_lo, exec_lo, s1
.LBB1369_110:
	v_and_b32_e32 v72, 0xff, v42
	s_delay_alu instid0(VALU_DEP_2)
	v_bfe_u32 v73, v49, 8, 8
	v_bfe_u32 v70, v42, 8, 8
	;; [unrolled: 1-line block ×4, first 2 shown]
	v_lshrrev_b32_e32 v55, 24, v49
	v_lshrrev_b32_e32 v54, 24, v42
	v_and_b32_e32 v68, 0xff, v43
	v_and_b32_e32 v66, 0xff, v44
	v_bfe_u32 v67, v43, 8, 8
	v_add3_u32 v1, v70, v72, v69
	v_add3_u32 v2, v71, v73, v55
	v_bfe_u32 v64, v44, 8, 8
	v_bfe_u32 v65, v43, 16, 8
	;; [unrolled: 1-line block ×3, first 2 shown]
	v_lshrrev_b32_e32 v53, 24, v43
	v_add3_u32 v1, v1, v54, v66
	v_add3_u32 v2, v2, v68, v67
	v_lshrrev_b32_e32 v52, 24, v44
	v_and_b32_e32 v63, 0xff, v46
	v_and_b32_e32 v61, 0xff, v47
	v_bfe_u32 v62, v46, 8, 8
	v_add3_u32 v1, v1, v64, v59
	v_add3_u32 v2, v2, v65, v53
	v_bfe_u32 v58, v47, 8, 8
	v_bfe_u32 v60, v46, 16, 8
	;; [unrolled: 1-line block ×3, first 2 shown]
	v_lshrrev_b32_e32 v51, 24, v46
	v_add3_u32 v1, v1, v52, v61
	v_add3_u32 v2, v2, v63, v62
	v_mbcnt_lo_u32_b32 v74, -1, 0
	v_lshrrev_b32_e32 v50, 24, v47
	v_and_b32_e32 v57, 0xff, v45
	v_and_b32_e32 v3, 0xff, v49
	;; [unrolled: 1-line block ×3, first 2 shown]
	v_add3_u32 v1, v1, v58, v56
	v_add3_u32 v2, v2, v60, v51
	v_and_b32_e32 v76, 15, v74
	v_and_b32_e32 v78, 16, v74
	v_lshrrev_b32_e32 v75, 5, v0
	v_add3_u32 v79, v1, v50, v3
	v_add3_u32 v80, v2, v57, v4
	v_cmp_eq_u32_e64 s1, 0, v76
	v_cmp_lt_u32_e64 s0, 1, v76
	v_cmp_lt_u32_e64 s2, 3, v76
	v_or_b32_e32 v77, 31, v0
	s_cmp_lg_u32 ttmp9, 0
	s_mov_b32 s3, -1
	v_cmp_lt_u32_e32 vcc_lo, 7, v76
	s_cbranch_scc0 .LBB1369_131
; %bb.111:
	v_mov_b32_dpp v2, v79 row_shr:1 row_mask:0xf bank_mask:0xf
	v_mov_b32_dpp v1, v80 row_shr:1 row_mask:0xf bank_mask:0xf
	s_mov_b32 s3, exec_lo
	s_delay_alu instid0(VALU_DEP_2) | instskip(NEXT) | instid1(VALU_DEP_2)
	v_add_nc_u32_e32 v2, v2, v79
	v_add_nc_u32_e32 v1, v1, v80
	s_delay_alu instid0(VALU_DEP_2) | instskip(NEXT) | instid1(VALU_DEP_2)
	v_cndmask_b32_e64 v2, v2, v79, s1
	v_cndmask_b32_e64 v1, v1, v80, s1
	s_delay_alu instid0(VALU_DEP_2) | instskip(NEXT) | instid1(VALU_DEP_2)
	v_mov_b32_dpp v4, v2 row_shr:2 row_mask:0xf bank_mask:0xf
	v_mov_b32_dpp v3, v1 row_shr:2 row_mask:0xf bank_mask:0xf
	s_delay_alu instid0(VALU_DEP_2) | instskip(NEXT) | instid1(VALU_DEP_1)
	v_add_nc_u32_e32 v4, v2, v4
	v_cndmask_b32_e64 v2, v2, v4, s0
	s_delay_alu instid0(VALU_DEP_1) | instskip(NEXT) | instid1(VALU_DEP_1)
	v_mov_b32_dpp v4, v2 row_shr:4 row_mask:0xf bank_mask:0xf
	v_add_nc_u32_e32 v4, v2, v4
	s_wait_alu 0xf1ff
	s_delay_alu instid0(VALU_DEP_1) | instskip(NEXT) | instid1(VALU_DEP_1)
	v_cndmask_b32_e64 v2, v2, v4, s2
	v_mov_b32_dpp v4, v2 row_shr:8 row_mask:0xf bank_mask:0xf
	s_delay_alu instid0(VALU_DEP_1) | instskip(SKIP_1) | instid1(VALU_DEP_1)
	v_add_nc_u32_e32 v4, v2, v4
	s_wait_alu 0xfffd
	v_dual_cndmask_b32 v2, v2, v4 :: v_dual_add_nc_u32 v3, v1, v3
	s_delay_alu instid0(VALU_DEP_1) | instskip(SKIP_2) | instid1(VALU_DEP_1)
	v_cndmask_b32_e64 v1, v1, v3, s0
	ds_swizzle_b32 v4, v2 offset:swizzle(BROADCAST,32,15)
	v_mov_b32_dpp v3, v1 row_shr:4 row_mask:0xf bank_mask:0xf
	v_add_nc_u32_e32 v3, v1, v3
	s_delay_alu instid0(VALU_DEP_1) | instskip(NEXT) | instid1(VALU_DEP_1)
	v_cndmask_b32_e64 v1, v1, v3, s2
	v_mov_b32_dpp v3, v1 row_shr:8 row_mask:0xf bank_mask:0xf
	s_wait_dscnt 0x0
	v_add_nc_u32_e32 v4, v2, v4
	s_delay_alu instid0(VALU_DEP_2) | instskip(NEXT) | instid1(VALU_DEP_1)
	v_add_nc_u32_e32 v3, v1, v3
	v_cndmask_b32_e32 v1, v1, v3, vcc_lo
	v_cmp_eq_u32_e32 vcc_lo, 0, v78
	ds_swizzle_b32 v3, v1 offset:swizzle(BROADCAST,32,15)
	s_wait_dscnt 0x0
	v_add_nc_u32_e32 v3, v1, v3
	v_cmpx_eq_u32_e64 v0, v77
; %bb.112:
	s_wait_alu 0xfffd
	s_delay_alu instid0(VALU_DEP_2)
	v_dual_cndmask_b32 v6, v3, v1 :: v_dual_lshlrev_b32 v7, 3, v75
	v_cndmask_b32_e32 v5, v4, v2, vcc_lo
	ds_store_b64 v7, v[5:6]
; %bb.113:
	s_wait_alu 0xfffe
	s_or_b32 exec_lo, exec_lo, s3
	s_delay_alu instid0(SALU_CYCLE_1)
	s_mov_b32 s3, exec_lo
	s_wait_loadcnt_dscnt 0x0
	s_barrier_signal -1
	s_barrier_wait -1
	global_inv scope:SCOPE_SE
	v_cmpx_gt_u32_e32 8, v0
	s_cbranch_execz .LBB1369_115
; %bb.114:
	v_lshlrev_b32_e32 v7, 3, v0
	v_and_b32_e32 v22, 7, v74
	ds_load_b64 v[5:6], v7
	v_cmp_eq_u32_e64 s2, 0, v22
	s_wait_dscnt 0x0
	v_mov_b32_dpp v8, v5 row_shr:1 row_mask:0xf bank_mask:0xf
	v_mov_b32_dpp v21, v6 row_shr:1 row_mask:0xf bank_mask:0xf
	s_delay_alu instid0(VALU_DEP_2) | instskip(NEXT) | instid1(VALU_DEP_2)
	v_add_nc_u32_e32 v8, v8, v5
	v_add_nc_u32_e32 v21, v21, v6
	s_wait_alu 0xf1ff
	s_delay_alu instid0(VALU_DEP_2) | instskip(NEXT) | instid1(VALU_DEP_2)
	v_cndmask_b32_e64 v5, v8, v5, s2
	v_cndmask_b32_e64 v6, v21, v6, s2
	v_cmp_lt_u32_e64 s2, 1, v22
	s_delay_alu instid0(VALU_DEP_3) | instskip(NEXT) | instid1(VALU_DEP_3)
	v_mov_b32_dpp v8, v5 row_shr:2 row_mask:0xf bank_mask:0xf
	v_mov_b32_dpp v21, v6 row_shr:2 row_mask:0xf bank_mask:0xf
	s_delay_alu instid0(VALU_DEP_2) | instskip(NEXT) | instid1(VALU_DEP_2)
	v_add_nc_u32_e32 v8, v5, v8
	v_add_nc_u32_e32 v21, v6, v21
	s_wait_alu 0xf1ff
	s_delay_alu instid0(VALU_DEP_2) | instskip(NEXT) | instid1(VALU_DEP_2)
	v_cndmask_b32_e64 v5, v5, v8, s2
	v_cndmask_b32_e64 v6, v6, v21, s2
	v_cmp_lt_u32_e64 s2, 3, v22
	s_delay_alu instid0(VALU_DEP_3) | instskip(NEXT) | instid1(VALU_DEP_3)
	v_mov_b32_dpp v8, v5 row_shr:4 row_mask:0xf bank_mask:0xf
	v_mov_b32_dpp v21, v6 row_shr:4 row_mask:0xf bank_mask:0xf
	s_wait_alu 0xf1ff
	s_delay_alu instid0(VALU_DEP_2) | instskip(NEXT) | instid1(VALU_DEP_2)
	v_cndmask_b32_e64 v8, 0, v8, s2
	v_cndmask_b32_e64 v21, 0, v21, s2
	s_delay_alu instid0(VALU_DEP_2) | instskip(NEXT) | instid1(VALU_DEP_2)
	v_add_nc_u32_e32 v5, v8, v5
	v_add_nc_u32_e32 v6, v21, v6
	ds_store_b64 v7, v[5:6]
.LBB1369_115:
	s_wait_alu 0xfffe
	s_or_b32 exec_lo, exec_lo, s3
	v_dual_cndmask_b32 v1, v3, v1 :: v_dual_cndmask_b32 v2, v4, v2
	s_mov_b32 s3, exec_lo
	v_cmp_gt_u32_e32 vcc_lo, 32, v0
	s_wait_loadcnt_dscnt 0x0
	s_barrier_signal -1
	s_barrier_wait -1
	global_inv scope:SCOPE_SE
                                        ; implicit-def: $vgpr21
	v_cmpx_lt_u32_e32 31, v0
	s_cbranch_execz .LBB1369_117
; %bb.116:
	v_lshl_add_u32 v3, v75, 3, -8
	ds_load_b64 v[21:22], v3
	s_wait_dscnt 0x0
	v_add_nc_u32_e32 v1, v22, v1
	v_add_nc_u32_e32 v2, v21, v2
.LBB1369_117:
	s_wait_alu 0xfffe
	s_or_b32 exec_lo, exec_lo, s3
	v_sub_co_u32 v3, s2, v74, 1
	s_delay_alu instid0(VALU_DEP_1) | instskip(SKIP_1) | instid1(VALU_DEP_1)
	v_cmp_gt_i32_e64 s3, 0, v3
	s_wait_alu 0xf1ff
	v_cndmask_b32_e64 v3, v3, v74, s3
	s_delay_alu instid0(VALU_DEP_1)
	v_lshlrev_b32_e32 v3, 2, v3
	ds_bpermute_b32 v81, v3, v2
	ds_bpermute_b32 v82, v3, v1
	s_and_saveexec_b32 s3, vcc_lo
	s_cbranch_execz .LBB1369_136
; %bb.118:
	v_mov_b32_e32 v4, 0
	ds_load_b64 v[1:2], v4 offset:56
	s_and_saveexec_b32 s6, s2
	s_cbranch_execz .LBB1369_120
; %bb.119:
	s_add_co_i32 s8, ttmp9, 32
	s_mov_b32 s9, 0
	s_wait_alu 0xfffe
	s_lshl_b64 s[8:9], s[8:9], 4
	s_wait_kmcnt 0x0
	s_wait_alu 0xfffe
	s_add_nc_u64 s[8:9], s[4:5], s[8:9]
	v_mov_b32_e32 v3, 1
	s_wait_alu 0xfffe
	v_dual_mov_b32 v5, s8 :: v_dual_mov_b32 v6, s9
	s_wait_dscnt 0x0
	;;#ASMSTART
	global_store_b128 v[5:6], v[1:4] off scope:SCOPE_DEV	
s_wait_storecnt 0x0
	;;#ASMEND
.LBB1369_120:
	s_wait_alu 0xfffe
	s_or_b32 exec_lo, exec_lo, s6
	v_xad_u32 v23, v74, -1, ttmp9
	s_mov_b32 s7, 0
	s_mov_b32 s6, exec_lo
	s_delay_alu instid0(VALU_DEP_1) | instskip(NEXT) | instid1(VALU_DEP_1)
	v_add_nc_u32_e32 v3, 32, v23
	v_lshlrev_b64_e32 v[3:4], 4, v[3:4]
	s_wait_kmcnt 0x0
	s_delay_alu instid0(VALU_DEP_1) | instskip(SKIP_1) | instid1(VALU_DEP_2)
	v_add_co_u32 v3, vcc_lo, s4, v3
	s_wait_alu 0xfffd
	v_add_co_ci_u32_e64 v4, null, s5, v4, vcc_lo
	;;#ASMSTART
	global_load_b128 v[5:8], v[3:4] off scope:SCOPE_DEV	
s_wait_loadcnt 0x0
	;;#ASMEND
	v_and_b32_e32 v8, 0xff, v7
	s_delay_alu instid0(VALU_DEP_1)
	v_cmpx_eq_u16_e32 0, v8
	s_cbranch_execz .LBB1369_123
.LBB1369_121:                           ; =>This Inner Loop Header: Depth=1
	;;#ASMSTART
	global_load_b128 v[5:8], v[3:4] off scope:SCOPE_DEV	
s_wait_loadcnt 0x0
	;;#ASMEND
	v_and_b32_e32 v8, 0xff, v7
	s_delay_alu instid0(VALU_DEP_1)
	v_cmp_ne_u16_e32 vcc_lo, 0, v8
	s_wait_alu 0xfffe
	s_or_b32 s7, vcc_lo, s7
	s_wait_alu 0xfffe
	s_and_not1_b32 exec_lo, exec_lo, s7
	s_cbranch_execnz .LBB1369_121
; %bb.122:
	s_or_b32 exec_lo, exec_lo, s7
.LBB1369_123:
	s_wait_alu 0xfffe
	s_or_b32 exec_lo, exec_lo, s6
	v_cmp_ne_u32_e32 vcc_lo, 31, v74
	v_lshlrev_b32_e64 v84, v74, -1
	v_add_nc_u32_e32 v86, 2, v74
	v_add_nc_u32_e32 v88, 4, v74
	v_add_nc_u32_e32 v90, 8, v74
	s_wait_alu 0xfffd
	v_add_co_ci_u32_e64 v3, null, 0, v74, vcc_lo
	v_lshl_or_b32 v91, v74, 2, 64
	v_add_nc_u32_e32 v92, 16, v74
	s_delay_alu instid0(VALU_DEP_3)
	v_lshlrev_b32_e32 v83, 2, v3
	v_and_b32_e32 v3, 0xff, v7
	ds_bpermute_b32 v4, v83, v6
	v_cmp_eq_u16_e32 vcc_lo, 2, v3
	s_wait_alu 0xfffd
	v_and_b32_e32 v8, vcc_lo, v84
	v_cmp_gt_u32_e32 vcc_lo, 30, v74
	s_delay_alu instid0(VALU_DEP_2) | instskip(SKIP_2) | instid1(VALU_DEP_2)
	v_or_b32_e32 v8, 0x80000000, v8
	s_wait_alu 0xfffd
	v_cndmask_b32_e64 v24, 0, 2, vcc_lo
	v_ctz_i32_b32_e32 v8, v8
	s_delay_alu instid0(VALU_DEP_2) | instskip(SKIP_2) | instid1(VALU_DEP_3)
	v_add_lshl_u32 v85, v24, v74, 2
	s_wait_dscnt 0x0
	v_add_nc_u32_e32 v4, v4, v6
	v_cmp_lt_u32_e32 vcc_lo, v74, v8
	s_wait_alu 0xfffd
	s_delay_alu instid0(VALU_DEP_2) | instskip(SKIP_3) | instid1(VALU_DEP_1)
	v_cndmask_b32_e32 v4, v6, v4, vcc_lo
	ds_bpermute_b32 v3, v83, v5
	s_wait_dscnt 0x0
	v_add_nc_u32_e32 v3, v3, v5
	v_cndmask_b32_e32 v3, v5, v3, vcc_lo
	ds_bpermute_b32 v5, v85, v4
	v_cmp_gt_u32_e32 vcc_lo, 28, v74
	ds_bpermute_b32 v6, v85, v3
	s_wait_alu 0xfffd
	v_cndmask_b32_e64 v24, 0, 4, vcc_lo
	v_cmp_gt_u32_e32 vcc_lo, v86, v8
	s_delay_alu instid0(VALU_DEP_2)
	v_add_lshl_u32 v87, v24, v74, 2
	s_wait_dscnt 0x1
	v_add_nc_u32_e32 v5, v4, v5
	s_wait_dscnt 0x0
	v_add_nc_u32_e32 v6, v3, v6
	s_wait_alu 0xfffd
	s_delay_alu instid0(VALU_DEP_1)
	v_dual_cndmask_b32 v4, v5, v4 :: v_dual_cndmask_b32 v3, v6, v3
	ds_bpermute_b32 v5, v87, v4
	v_cmp_gt_u32_e32 vcc_lo, 24, v74
	ds_bpermute_b32 v6, v87, v3
	s_wait_alu 0xfffd
	v_cndmask_b32_e64 v24, 0, 8, vcc_lo
	v_cmp_gt_u32_e32 vcc_lo, v88, v8
	s_delay_alu instid0(VALU_DEP_2)
	v_add_lshl_u32 v89, v24, v74, 2
	s_wait_dscnt 0x1
	v_dual_mov_b32 v24, 0 :: v_dual_add_nc_u32 v5, v4, v5
	s_wait_dscnt 0x0
	v_add_nc_u32_e32 v6, v3, v6
	s_wait_alu 0xfffd
	s_delay_alu instid0(VALU_DEP_1)
	v_dual_cndmask_b32 v4, v5, v4 :: v_dual_cndmask_b32 v3, v6, v3
	ds_bpermute_b32 v5, v89, v4
	v_cmp_gt_u32_e32 vcc_lo, v90, v8
	ds_bpermute_b32 v6, v89, v3
	s_wait_dscnt 0x1
	v_add_nc_u32_e32 v5, v4, v5
	s_wait_dscnt 0x0
	v_add_nc_u32_e32 v6, v3, v6
	s_wait_alu 0xfffd
	s_delay_alu instid0(VALU_DEP_1)
	v_dual_cndmask_b32 v4, v5, v4 :: v_dual_cndmask_b32 v3, v6, v3
	ds_bpermute_b32 v6, v91, v4
	v_cmp_le_u32_e32 vcc_lo, v92, v8
	ds_bpermute_b32 v5, v91, v3
	s_wait_dscnt 0x0
	s_wait_alu 0xfffd
	v_dual_cndmask_b32 v6, 0, v6 :: v_dual_cndmask_b32 v5, 0, v5
	s_delay_alu instid0(VALU_DEP_1) | instskip(NEXT) | instid1(VALU_DEP_2)
	v_add_nc_u32_e32 v6, v6, v4
	v_add_nc_u32_e32 v5, v5, v3
	s_branch .LBB1369_127
.LBB1369_124:                           ;   in Loop: Header=BB1369_127 Depth=1
	s_or_b32 exec_lo, exec_lo, s7
.LBB1369_125:                           ;   in Loop: Header=BB1369_127 Depth=1
	s_wait_alu 0xfffe
	s_or_b32 exec_lo, exec_lo, s6
	ds_bpermute_b32 v8, v83, v5
	ds_bpermute_b32 v25, v83, v6
	v_subrev_nc_u32_e32 v23, 32, v23
	s_mov_b32 s6, 0
	s_wait_dscnt 0x1
	v_add_nc_u32_e32 v8, v8, v5
	v_and_b32_e32 v26, 0xff, v7
	s_wait_dscnt 0x0
	v_add_nc_u32_e32 v25, v25, v6
	s_delay_alu instid0(VALU_DEP_2) | instskip(SKIP_2) | instid1(VALU_DEP_1)
	v_cmp_eq_u16_e32 vcc_lo, 2, v26
	s_wait_alu 0xfffd
	v_and_or_b32 v26, vcc_lo, v84, 0x80000000
	v_ctz_i32_b32_e32 v26, v26
	s_delay_alu instid0(VALU_DEP_1)
	v_cmp_lt_u32_e32 vcc_lo, v74, v26
	s_wait_alu 0xfffd
	v_dual_cndmask_b32 v6, v6, v25 :: v_dual_cndmask_b32 v5, v5, v8
	v_cmp_gt_u32_e32 vcc_lo, v86, v26
	ds_bpermute_b32 v25, v85, v6
	ds_bpermute_b32 v8, v85, v5
	s_wait_dscnt 0x1
	v_add_nc_u32_e32 v25, v6, v25
	s_wait_dscnt 0x0
	v_add_nc_u32_e32 v8, v5, v8
	s_wait_alu 0xfffd
	s_delay_alu instid0(VALU_DEP_1)
	v_dual_cndmask_b32 v6, v25, v6 :: v_dual_cndmask_b32 v5, v8, v5
	v_cmp_gt_u32_e32 vcc_lo, v88, v26
	ds_bpermute_b32 v25, v87, v6
	ds_bpermute_b32 v8, v87, v5
	s_wait_dscnt 0x1
	v_add_nc_u32_e32 v25, v6, v25
	s_wait_dscnt 0x0
	v_add_nc_u32_e32 v8, v5, v8
	s_wait_alu 0xfffd
	s_delay_alu instid0(VALU_DEP_1)
	;; [unrolled: 10-line block ×3, first 2 shown]
	v_dual_cndmask_b32 v6, v25, v6 :: v_dual_cndmask_b32 v5, v8, v5
	v_cmp_le_u32_e32 vcc_lo, v92, v26
	ds_bpermute_b32 v25, v91, v6
	ds_bpermute_b32 v8, v91, v5
	s_wait_dscnt 0x0
	s_wait_alu 0xfffd
	v_dual_cndmask_b32 v25, 0, v25 :: v_dual_cndmask_b32 v8, 0, v8
	s_delay_alu instid0(VALU_DEP_1) | instskip(NEXT) | instid1(VALU_DEP_2)
	v_add3_u32 v6, v6, v4, v25
	v_add3_u32 v5, v5, v3, v8
.LBB1369_126:                           ;   in Loop: Header=BB1369_127 Depth=1
	s_wait_alu 0xfffe
	s_and_b32 vcc_lo, exec_lo, s6
	s_wait_alu 0xfffe
	s_cbranch_vccnz .LBB1369_132
.LBB1369_127:                           ; =>This Loop Header: Depth=1
                                        ;     Child Loop BB1369_130 Depth 2
	v_and_b32_e32 v3, 0xff, v7
	s_mov_b32 s6, -1
                                        ; implicit-def: $vgpr7
	s_delay_alu instid0(VALU_DEP_1)
	v_cmp_ne_u16_e32 vcc_lo, 2, v3
	v_dual_mov_b32 v3, v5 :: v_dual_mov_b32 v4, v6
                                        ; implicit-def: $vgpr5_vgpr6
	s_cmp_lg_u32 vcc_lo, exec_lo
	s_cbranch_scc1 .LBB1369_126
; %bb.128:                              ;   in Loop: Header=BB1369_127 Depth=1
	v_lshlrev_b64_e32 v[5:6], 4, v[23:24]
	s_mov_b32 s6, exec_lo
	s_delay_alu instid0(VALU_DEP_1) | instskip(SKIP_1) | instid1(VALU_DEP_2)
	v_add_co_u32 v25, vcc_lo, s4, v5
	s_wait_alu 0xfffd
	v_add_co_ci_u32_e64 v26, null, s5, v6, vcc_lo
	;;#ASMSTART
	global_load_b128 v[5:8], v[25:26] off scope:SCOPE_DEV	
s_wait_loadcnt 0x0
	;;#ASMEND
	v_and_b32_e32 v8, 0xff, v7
	s_delay_alu instid0(VALU_DEP_1)
	v_cmpx_eq_u16_e32 0, v8
	s_cbranch_execz .LBB1369_125
; %bb.129:                              ;   in Loop: Header=BB1369_127 Depth=1
	s_mov_b32 s7, 0
.LBB1369_130:                           ;   Parent Loop BB1369_127 Depth=1
                                        ; =>  This Inner Loop Header: Depth=2
	;;#ASMSTART
	global_load_b128 v[5:8], v[25:26] off scope:SCOPE_DEV	
s_wait_loadcnt 0x0
	;;#ASMEND
	v_and_b32_e32 v8, 0xff, v7
	s_delay_alu instid0(VALU_DEP_1)
	v_cmp_ne_u16_e32 vcc_lo, 0, v8
	s_wait_alu 0xfffe
	s_or_b32 s7, vcc_lo, s7
	s_wait_alu 0xfffe
	s_and_not1_b32 exec_lo, exec_lo, s7
	s_cbranch_execnz .LBB1369_130
	s_branch .LBB1369_124
.LBB1369_131:
                                        ; implicit-def: $vgpr81
                                        ; implicit-def: $vgpr3
                                        ; implicit-def: $vgpr82
	s_wait_alu 0xfffe
	s_and_b32 vcc_lo, exec_lo, s3
	s_wait_alu 0xfffe
	s_cbranch_vccnz .LBB1369_137
	s_branch .LBB1369_146
.LBB1369_132:
	s_and_saveexec_b32 s6, s2
	s_cbranch_execnz .LBB1369_374
; %bb.133:
	s_wait_alu 0xfffe
	s_or_b32 exec_lo, exec_lo, s6
	s_and_saveexec_b32 s6, s2
	s_cbranch_execnz .LBB1369_375
.LBB1369_134:
	s_wait_alu 0xfffe
	s_or_b32 exec_lo, exec_lo, s6
	v_cmp_eq_u32_e32 vcc_lo, 0, v0
	s_and_b32 exec_lo, exec_lo, vcc_lo
.LBB1369_135:
	v_mov_b32_e32 v1, 0
	ds_store_b64 v1, v[3:4] offset:56
.LBB1369_136:
	s_wait_alu 0xfffe
	s_or_b32 exec_lo, exec_lo, s3
	s_wait_dscnt 0x0
	v_cndmask_b32_e64 v8, v82, v22, s2
	v_mov_b32_e32 v1, 0
	s_wait_loadcnt 0x0
	s_barrier_signal -1
	s_barrier_wait -1
	global_inv scope:SCOPE_SE
	ds_load_b64 v[5:6], v1 offset:56
	s_wait_loadcnt_dscnt 0x0
	s_barrier_signal -1
	s_barrier_wait -1
	global_inv scope:SCOPE_SE
	v_cndmask_b32_e64 v7, v81, v21, s2
	v_cmp_eq_u32_e32 vcc_lo, 0, v0
	v_add_nc_u32_e32 v8, v6, v8
	ds_load_b128 v[1:4], v1 offset:13312
	v_add_nc_u32_e32 v7, v5, v7
	s_wait_alu 0xfffd
	s_delay_alu instid0(VALU_DEP_1)
	v_dual_cndmask_b32 v81, v8, v6 :: v_dual_cndmask_b32 v82, v7, v5
	s_branch .LBB1369_146
.LBB1369_137:
	s_wait_dscnt 0x0
	v_mov_b32_dpp v2, v80 row_shr:1 row_mask:0xf bank_mask:0xf
	v_cmp_lt_u32_e32 vcc_lo, 3, v76
	v_mov_b32_dpp v1, v79 row_shr:1 row_mask:0xf bank_mask:0xf
	s_delay_alu instid0(VALU_DEP_3) | instskip(NEXT) | instid1(VALU_DEP_1)
	v_add_nc_u32_e32 v2, v2, v80
	v_cndmask_b32_e64 v2, v2, v80, s1
	s_delay_alu instid0(VALU_DEP_1) | instskip(NEXT) | instid1(VALU_DEP_1)
	v_mov_b32_dpp v4, v2 row_shr:2 row_mask:0xf bank_mask:0xf
	v_add_nc_u32_e32 v4, v2, v4
	s_delay_alu instid0(VALU_DEP_1) | instskip(NEXT) | instid1(VALU_DEP_1)
	v_cndmask_b32_e64 v2, v2, v4, s0
	v_mov_b32_dpp v4, v2 row_shr:4 row_mask:0xf bank_mask:0xf
	s_delay_alu instid0(VALU_DEP_1) | instskip(SKIP_1) | instid1(VALU_DEP_1)
	v_add_nc_u32_e32 v4, v2, v4
	s_wait_alu 0xfffd
	v_dual_cndmask_b32 v2, v2, v4 :: v_dual_add_nc_u32 v1, v1, v79
	s_delay_alu instid0(VALU_DEP_1) | instskip(SKIP_1) | instid1(VALU_DEP_2)
	v_cndmask_b32_e64 v1, v1, v79, s1
	s_mov_b32 s1, exec_lo
	v_mov_b32_dpp v4, v2 row_shr:8 row_mask:0xf bank_mask:0xf
	s_delay_alu instid0(VALU_DEP_2) | instskip(NEXT) | instid1(VALU_DEP_1)
	v_mov_b32_dpp v3, v1 row_shr:2 row_mask:0xf bank_mask:0xf
	v_add_nc_u32_e32 v3, v1, v3
	s_delay_alu instid0(VALU_DEP_1) | instskip(NEXT) | instid1(VALU_DEP_1)
	v_cndmask_b32_e64 v1, v1, v3, s0
	v_mov_b32_dpp v3, v1 row_shr:4 row_mask:0xf bank_mask:0xf
	s_delay_alu instid0(VALU_DEP_1) | instskip(NEXT) | instid1(VALU_DEP_1)
	v_add_nc_u32_e32 v3, v1, v3
	v_cndmask_b32_e32 v3, v1, v3, vcc_lo
	v_cmp_lt_u32_e32 vcc_lo, 7, v76
	s_delay_alu instid0(VALU_DEP_2) | instskip(NEXT) | instid1(VALU_DEP_1)
	v_mov_b32_dpp v1, v3 row_shr:8 row_mask:0xf bank_mask:0xf
	v_add_nc_u32_e32 v5, v3, v1
	v_add_nc_u32_e32 v1, v2, v4
	s_wait_alu 0xfffd
	s_delay_alu instid0(VALU_DEP_1) | instskip(NEXT) | instid1(VALU_DEP_3)
	v_cndmask_b32_e32 v1, v2, v1, vcc_lo
	v_cndmask_b32_e32 v2, v3, v5, vcc_lo
	v_cmp_eq_u32_e32 vcc_lo, 0, v78
	ds_swizzle_b32 v3, v1 offset:swizzle(BROADCAST,32,15)
	ds_swizzle_b32 v4, v2 offset:swizzle(BROADCAST,32,15)
	s_wait_dscnt 0x1
	v_add_nc_u32_e32 v3, v1, v3
	s_wait_dscnt 0x0
	v_add_nc_u32_e32 v4, v2, v4
	v_cmpx_eq_u32_e64 v0, v77
; %bb.138:
	s_wait_alu 0xfffd
	s_delay_alu instid0(VALU_DEP_2)
	v_dual_cndmask_b32 v5, v4, v2 :: v_dual_cndmask_b32 v6, v3, v1
	v_lshlrev_b32_e32 v7, 3, v75
	ds_store_b64 v7, v[5:6]
; %bb.139:
	s_wait_alu 0xfffe
	s_or_b32 exec_lo, exec_lo, s1
	s_delay_alu instid0(SALU_CYCLE_1)
	s_mov_b32 s1, exec_lo
	s_wait_loadcnt_dscnt 0x0
	s_barrier_signal -1
	s_barrier_wait -1
	global_inv scope:SCOPE_SE
	v_cmpx_gt_u32_e32 8, v0
	s_cbranch_execz .LBB1369_141
; %bb.140:
	v_lshlrev_b32_e32 v7, 3, v0
	v_and_b32_e32 v22, 7, v74
	ds_load_b64 v[5:6], v7
	v_cmp_eq_u32_e64 s0, 0, v22
	s_wait_dscnt 0x0
	v_mov_b32_dpp v8, v5 row_shr:1 row_mask:0xf bank_mask:0xf
	v_mov_b32_dpp v21, v6 row_shr:1 row_mask:0xf bank_mask:0xf
	s_delay_alu instid0(VALU_DEP_2) | instskip(NEXT) | instid1(VALU_DEP_2)
	v_add_nc_u32_e32 v8, v8, v5
	v_add_nc_u32_e32 v21, v21, v6
	s_wait_alu 0xf1ff
	s_delay_alu instid0(VALU_DEP_2) | instskip(NEXT) | instid1(VALU_DEP_2)
	v_cndmask_b32_e64 v5, v8, v5, s0
	v_cndmask_b32_e64 v6, v21, v6, s0
	v_cmp_lt_u32_e64 s0, 1, v22
	s_delay_alu instid0(VALU_DEP_3) | instskip(NEXT) | instid1(VALU_DEP_3)
	v_mov_b32_dpp v8, v5 row_shr:2 row_mask:0xf bank_mask:0xf
	v_mov_b32_dpp v21, v6 row_shr:2 row_mask:0xf bank_mask:0xf
	s_delay_alu instid0(VALU_DEP_2) | instskip(NEXT) | instid1(VALU_DEP_2)
	v_add_nc_u32_e32 v8, v5, v8
	v_add_nc_u32_e32 v21, v6, v21
	s_wait_alu 0xf1ff
	s_delay_alu instid0(VALU_DEP_2) | instskip(NEXT) | instid1(VALU_DEP_2)
	v_cndmask_b32_e64 v5, v5, v8, s0
	v_cndmask_b32_e64 v6, v6, v21, s0
	v_cmp_lt_u32_e64 s0, 3, v22
	s_delay_alu instid0(VALU_DEP_3) | instskip(NEXT) | instid1(VALU_DEP_3)
	v_mov_b32_dpp v8, v5 row_shr:4 row_mask:0xf bank_mask:0xf
	v_mov_b32_dpp v21, v6 row_shr:4 row_mask:0xf bank_mask:0xf
	s_wait_alu 0xf1ff
	s_delay_alu instid0(VALU_DEP_2) | instskip(NEXT) | instid1(VALU_DEP_2)
	v_cndmask_b32_e64 v8, 0, v8, s0
	v_cndmask_b32_e64 v21, 0, v21, s0
	s_delay_alu instid0(VALU_DEP_2) | instskip(NEXT) | instid1(VALU_DEP_2)
	v_add_nc_u32_e32 v5, v8, v5
	v_add_nc_u32_e32 v6, v21, v6
	ds_store_b64 v7, v[5:6]
.LBB1369_141:
	s_wait_alu 0xfffe
	s_or_b32 exec_lo, exec_lo, s1
	v_dual_mov_b32 v7, 0 :: v_dual_mov_b32 v6, 0
	v_mov_b32_e32 v5, 0
	s_mov_b32 s1, exec_lo
	s_wait_loadcnt_dscnt 0x0
	s_barrier_signal -1
	s_barrier_wait -1
	global_inv scope:SCOPE_SE
	v_cmpx_lt_u32_e32 31, v0
; %bb.142:
	v_lshl_add_u32 v5, v75, 3, -8
	ds_load_b64 v[5:6], v5
; %bb.143:
	s_wait_alu 0xfffe
	s_or_b32 exec_lo, exec_lo, s1
	v_sub_co_u32 v8, s0, v74, 1
	v_dual_cndmask_b32 v2, v4, v2 :: v_dual_cndmask_b32 v1, v3, v1
	v_cmp_eq_u32_e32 vcc_lo, 0, v0
	s_delay_alu instid0(VALU_DEP_3) | instskip(SKIP_1) | instid1(VALU_DEP_3)
	v_cmp_gt_i32_e64 s1, 0, v8
	s_wait_dscnt 0x0
	v_add_nc_u32_e32 v2, v5, v2
	v_add_nc_u32_e32 v1, v6, v1
	s_wait_alu 0xf1ff
	v_cndmask_b32_e64 v4, v8, v74, s1
	s_delay_alu instid0(VALU_DEP_1)
	v_lshlrev_b32_e32 v3, 2, v4
	ds_bpermute_b32 v8, v3, v2
	ds_bpermute_b32 v21, v3, v1
	ds_load_b64 v[1:2], v7 offset:56
	s_and_saveexec_b32 s1, vcc_lo
	s_cbranch_execz .LBB1369_145
; %bb.144:
	s_wait_kmcnt 0x0
	s_add_nc_u64 s[2:3], s[4:5], 0x200
	v_dual_mov_b32 v3, 2 :: v_dual_mov_b32 v4, 0
	s_wait_alu 0xfffe
	v_dual_mov_b32 v23, s3 :: v_dual_mov_b32 v22, s2
	s_wait_dscnt 0x0
	;;#ASMSTART
	global_store_b128 v[22:23], v[1:4] off scope:SCOPE_DEV	
s_wait_storecnt 0x0
	;;#ASMEND
.LBB1369_145:
	s_wait_alu 0xfffe
	s_or_b32 exec_lo, exec_lo, s1
	s_wait_dscnt 0x1
	v_cndmask_b32_e64 v3, v21, v6, s0
	v_cndmask_b32_e64 v5, v8, v5, s0
	v_mov_b32_e32 v4, 0
	s_wait_loadcnt_dscnt 0x0
	s_barrier_signal -1
	v_cndmask_b32_e64 v81, v3, 0, vcc_lo
	v_cndmask_b32_e64 v82, v5, 0, vcc_lo
	v_mov_b32_e32 v3, 0
	s_barrier_wait -1
	global_inv scope:SCOPE_SE
.LBB1369_146:
	v_lshrrev_b32_e32 v77, 8, v49
	s_delay_alu instid0(VALU_DEP_2)
	v_add_nc_u32_e32 v73, v81, v73
	s_wait_dscnt 0x0
	v_sub_nc_u32_e32 v81, v81, v4
	v_lshlrev_b32_e32 v84, 1, v1
	v_lshrrev_b32_e32 v75, 16, v49
	v_and_b32_e32 v77, 1, v77
	v_add_nc_u32_e32 v71, v73, v71
	v_add_nc_u32_e32 v81, v81, v1
	v_add3_u32 v87, v84, v2, v41
	v_and_b32_e32 v75, 1, v75
	v_cmp_eq_u32_e32 vcc_lo, 1, v77
	v_add_nc_u32_e32 v72, v82, v72
	v_sub_nc_u32_e32 v82, v82, v3
	v_sub_nc_u32_e32 v73, v73, v4
	v_lshrrev_b32_e32 v76, 8, v42
	v_lshrrev_b32_e32 v74, 16, v42
	v_and_b32_e32 v42, 1, v42
	v_add_nc_u32_e32 v41, v82, v81
	v_add_nc_u32_e32 v73, v73, v1
	v_and_b32_e32 v76, 1, v76
	s_wait_kmcnt 0x0
	v_add_co_u32 v5, s0, s28, v3
	v_sub_nc_u32_e32 v41, v87, v41
	s_wait_alu 0xf1ff
	v_add_co_ci_u32_e64 v6, null, s29, 0, s0
	v_sub_co_u32 v80, s0, s30, v1
	s_wait_alu 0xfffd
	v_cndmask_b32_e32 v41, v41, v81, vcc_lo
	v_cmp_eq_u32_e32 vcc_lo, 1, v75
	v_add_nc_u32_e32 v78, v71, v55
	v_sub_nc_u32_e32 v71, v71, v4
	s_wait_alu 0xf1ff
	v_sub_co_ci_u32_e64 v83, null, s31, 0, s0
	v_and_b32_e32 v55, 1, v55
	v_and_b32_e32 v74, 1, v74
	v_add_nc_u32_e32 v71, v71, v1
	v_add_nc_u32_e32 v70, v72, v70
	v_sub_nc_u32_e32 v72, v72, v3
	v_lshrrev_b32_e32 v26, 8, v43
	v_lshrrev_b32_e32 v25, 16, v43
	v_and_b32_e32 v43, 1, v43
	v_lshrrev_b32_e32 v23, 16, v44
	v_add_nc_u32_e32 v88, v73, v72
	v_and_b32_e32 v26, 1, v26
	v_lshrrev_b32_e32 v24, 8, v44
	v_and_b32_e32 v44, 1, v44
	v_lshrrev_b32_e32 v8, 16, v46
	v_sub_nc_u32_e32 v88, v87, v88
	v_lshrrev_b32_e32 v22, 8, v46
	v_and_b32_e32 v24, 1, v24
	v_lshrrev_b32_e32 v21, 8, v47
	v_and_b32_e32 v8, 1, v8
	v_add_nc_u32_e32 v88, 1, v88
	v_and_b32_e32 v22, 1, v22
	v_lshrrev_b32_e32 v7, 16, v47
	s_mov_b32 s41, 0
	s_wait_alu 0xfffd
	v_cndmask_b32_e32 v73, v88, v73, vcc_lo
	v_cmp_eq_u32_e32 vcc_lo, 1, v42
	v_add_nc_u32_e32 v68, v78, v68
	v_and_b32_e32 v7, 1, v7
	s_wait_alu 0xfffd
	v_cndmask_b32_e32 v81, v41, v82, vcc_lo
	v_cmp_eq_u32_e32 vcc_lo, 1, v76
	v_add_nc_u32_e32 v69, v70, v69
	v_sub_nc_u32_e32 v70, v70, v3
	v_sub_nc_u32_e32 v76, v78, v4
	s_wait_alu 0xfffd
	v_dual_cndmask_b32 v72, v73, v72 :: v_dual_add_nc_u32 v67, v68, v67
	v_add_co_u32 v41, vcc_lo, v80, v4
	v_add_nc_u32_e32 v75, v71, v70
	s_wait_alu 0xfffd
	v_add_co_ci_u32_e64 v42, null, 0, v83, vcc_lo
	v_cmp_eq_u32_e32 vcc_lo, 1, v55
	v_add_nc_u32_e32 v79, v69, v54
	v_sub_nc_u32_e32 v73, v87, v75
	v_sub_nc_u32_e32 v69, v69, v3
	;; [unrolled: 1-line block ×3, first 2 shown]
	v_lshlrev_b32_e32 v75, 2, v81
	v_lshlrev_b32_e32 v72, 2, v72
	v_add_nc_u32_e32 v73, 2, v73
	ds_store_b32 v75, v19
	ds_store_b32 v72, v20
	s_wait_alu 0xfffd
	v_dual_cndmask_b32 v55, v73, v71 :: v_dual_add_nc_u32 v68, v68, v1
	v_add_nc_u32_e32 v71, v76, v1
	v_cmp_eq_u32_e32 vcc_lo, 1, v74
	v_and_b32_e32 v54, 1, v54
	s_delay_alu instid0(VALU_DEP_3) | instskip(SKIP_4) | instid1(VALU_DEP_3)
	v_add_nc_u32_e32 v73, v69, v71
	s_wait_alu 0xfffd
	v_cndmask_b32_e32 v55, v55, v70, vcc_lo
	v_sub_nc_u32_e32 v70, v79, v3
	v_cmp_eq_u32_e32 vcc_lo, 1, v43
	v_lshlrev_b32_e32 v19, 2, v55
	s_delay_alu instid0(VALU_DEP_3)
	v_add_nc_u32_e32 v20, v70, v68
	v_sub_nc_u32_e32 v55, v87, v73
	ds_store_b32 v19, v17
	v_sub_nc_u32_e32 v20, v87, v20
	v_add_nc_u32_e32 v55, 3, v55
	v_and_b32_e32 v19, 1, v25
	s_wait_alu 0xfffd
	s_delay_alu instid0(VALU_DEP_2) | instskip(SKIP_2) | instid1(VALU_DEP_2)
	v_dual_cndmask_b32 v43, v55, v71 :: v_dual_add_nc_u32 v20, 4, v20
	v_cmp_eq_u32_e32 vcc_lo, 1, v26
	s_wait_alu 0xfffd
	v_cndmask_b32_e32 v20, v20, v68, vcc_lo
	v_cmp_eq_u32_e32 vcc_lo, 1, v54
	s_wait_alu 0xfffd
	v_cndmask_b32_e32 v26, v43, v69, vcc_lo
	v_cmp_eq_u32_e32 vcc_lo, 1, v44
	v_add_nc_u32_e32 v65, v67, v65
	v_sub_nc_u32_e32 v67, v67, v4
	s_delay_alu instid0(VALU_DEP_4)
	v_lshlrev_b32_e32 v17, 2, v26
	s_wait_alu 0xfffd
	v_cndmask_b32_e32 v20, v20, v70, vcc_lo
	v_cmp_eq_u32_e32 vcc_lo, 1, v19
	v_add_nc_u32_e32 v67, v67, v1
	v_add_nc_u32_e32 v66, v79, v66
	;; [unrolled: 1-line block ×3, first 2 shown]
	v_sub_nc_u32_e32 v26, v65, v4
	v_lshlrev_b32_e32 v20, 2, v20
	ds_store_b32 v17, v18
	ds_store_b32 v20, v15
	v_add_nc_u32_e32 v64, v66, v64
	v_sub_nc_u32_e32 v66, v66, v3
	v_add_nc_u32_e32 v26, v26, v1
	v_add_nc_u32_e32 v63, v85, v63
	v_and_b32_e32 v20, 1, v53
	s_delay_alu instid0(VALU_DEP_4) | instskip(NEXT) | instid1(VALU_DEP_1)
	v_add_nc_u32_e32 v55, v66, v67
	v_sub_nc_u32_e32 v43, v87, v55
	s_delay_alu instid0(VALU_DEP_1) | instskip(SKIP_2) | instid1(VALU_DEP_2)
	v_add_nc_u32_e32 v25, 5, v43
	v_sub_nc_u32_e32 v43, v85, v4
	s_wait_alu 0xfffd
	v_cndmask_b32_e32 v19, v25, v67, vcc_lo
	v_cmp_eq_u32_e32 vcc_lo, 1, v24
	s_delay_alu instid0(VALU_DEP_3) | instskip(SKIP_1) | instid1(VALU_DEP_3)
	v_add_nc_u32_e32 v43, v43, v1
	s_wait_alu 0xfffd
	v_cndmask_b32_e32 v19, v19, v66, vcc_lo
	v_add_nc_u32_e32 v59, v64, v59
	v_sub_nc_u32_e32 v25, v64, v3
	v_cmp_eq_u32_e32 vcc_lo, 1, v20
	v_and_b32_e32 v20, 1, v52
	v_lshlrev_b32_e32 v15, 2, v19
	v_sub_nc_u32_e32 v24, v59, v3
	v_add_nc_u32_e32 v44, v25, v26
	v_add_nc_u32_e32 v86, v59, v52
	v_and_b32_e32 v19, 1, v23
	v_sub_nc_u32_e32 v23, v63, v4
	v_add_nc_u32_e32 v17, v24, v43
	v_sub_nc_u32_e32 v18, v87, v44
	v_and_b32_e32 v44, 1, v46
	v_sub_nc_u32_e32 v46, v86, v3
	v_add_nc_u32_e32 v23, v23, v1
	v_sub_nc_u32_e32 v17, v87, v17
	v_add_nc_u32_e32 v18, 6, v18
	v_add_nc_u32_e32 v61, v86, v61
	s_wait_alu 0xfffd
	s_delay_alu instid0(VALU_DEP_2)
	v_dual_cndmask_b32 v18, v18, v26 :: v_dual_add_nc_u32 v17, 7, v17
	v_cmp_eq_u32_e32 vcc_lo, 1, v44
	v_add_nc_u32_e32 v26, v46, v23
	v_add_nc_u32_e32 v58, v61, v58
	s_wait_alu 0xfffd
	v_cndmask_b32_e32 v17, v17, v43, vcc_lo
	v_cmp_eq_u32_e32 vcc_lo, 1, v19
	v_sub_nc_u32_e32 v19, v87, v26
	s_wait_alu 0xfffd
	v_cndmask_b32_e32 v18, v18, v25, vcc_lo
	v_cmp_eq_u32_e32 vcc_lo, 1, v20
	v_add_nc_u32_e32 v62, v63, v62
	v_add_nc_u32_e32 v19, 8, v19
	v_sub_nc_u32_e32 v25, v61, v3
	s_wait_alu 0xfffd
	v_dual_cndmask_b32 v17, v17, v24 :: v_dual_lshlrev_b32 v18, 2, v18
	v_sub_nc_u32_e32 v20, v62, v4
	v_and_b32_e32 v24, 1, v47
	v_cmp_eq_u32_e32 vcc_lo, 1, v22
	s_delay_alu instid0(VALU_DEP_4) | instskip(NEXT) | instid1(VALU_DEP_4)
	v_lshlrev_b32_e32 v17, 2, v17
	v_add_nc_u32_e32 v20, v20, v1
	ds_store_b32 v15, v16
	ds_store_b32 v18, v13
	;; [unrolled: 1-line block ×3, first 2 shown]
	s_wait_alu 0xfffd
	v_cndmask_b32_e32 v19, v19, v23, vcc_lo
	v_cmp_eq_u32_e32 vcc_lo, 1, v24
	v_add_nc_u32_e32 v60, v62, v60
	v_add_nc_u32_e32 v22, v25, v20
	v_sub_nc_u32_e32 v17, v58, v3
	v_and_b32_e32 v15, 1, v21
	s_wait_alu 0xfffd
	v_cndmask_b32_e32 v19, v19, v46, vcc_lo
	v_sub_nc_u32_e32 v16, v60, v4
	v_sub_nc_u32_e32 v13, v87, v22
	v_cmp_eq_u32_e32 vcc_lo, 1, v8
	v_add_nc_u32_e32 v89, v60, v51
	v_lshlrev_b32_e32 v14, 2, v19
	v_add_nc_u32_e32 v16, v16, v1
	v_add_nc_u32_e32 v13, 9, v13
	s_delay_alu instid0(VALU_DEP_4)
	v_sub_nc_u32_e32 v18, v89, v4
	ds_store_b32 v14, v11
	v_add_nc_u32_e32 v19, v17, v16
	s_wait_alu 0xfffd
	v_cndmask_b32_e32 v8, v13, v20, vcc_lo
	v_cmp_eq_u32_e32 vcc_lo, 1, v15
	v_and_b32_e32 v15, 1, v51
	v_and_b32_e32 v20, 1, v45
	v_sub_nc_u32_e32 v14, v87, v19
	v_add_nc_u32_e32 v18, v18, v1
	s_wait_alu 0xfffd
	v_cndmask_b32_e32 v8, v8, v25, vcc_lo
	v_cmp_eq_u32_e32 vcc_lo, 1, v15
	v_add_nc_u32_e32 v57, v89, v57
	v_add_nc_u32_e32 v14, 10, v14
	v_and_b32_e32 v15, 1, v50
	v_lshlrev_b32_e32 v8, 2, v8
	s_delay_alu instid0(VALU_DEP_4)
	v_sub_nc_u32_e32 v19, v57, v4
	s_wait_alu 0xfffd
	v_cndmask_b32_e32 v14, v14, v16, vcc_lo
	v_cmp_eq_u32_e32 vcc_lo, 1, v20
	v_add_nc_u32_e32 v56, v58, v56
	v_add_nc_u32_e32 v19, v19, v1
	s_delay_alu instid0(VALU_DEP_2) | instskip(NEXT) | instid1(VALU_DEP_1)
	v_sub_nc_u32_e32 v13, v56, v3
	v_add_nc_u32_e32 v11, v13, v18
	s_delay_alu instid0(VALU_DEP_1) | instskip(NEXT) | instid1(VALU_DEP_1)
	v_sub_nc_u32_e32 v11, v87, v11
	v_add_nc_u32_e32 v11, 11, v11
	s_wait_alu 0xfffd
	s_delay_alu instid0(VALU_DEP_1) | instskip(SKIP_2) | instid1(VALU_DEP_2)
	v_cndmask_b32_e32 v11, v11, v18, vcc_lo
	v_add_nc_u32_e32 v77, v56, v50
	v_cmp_eq_u32_e32 vcc_lo, 1, v7
	v_sub_nc_u32_e32 v3, v77, v3
	s_wait_alu 0xfffd
	v_cndmask_b32_e32 v7, v14, v17, vcc_lo
	v_cmp_eq_u32_e32 vcc_lo, 1, v15
	v_and_b32_e32 v15, 1, v49
	v_add_nc_u32_e32 v16, v3, v19
	s_delay_alu instid0(VALU_DEP_4) | instskip(SKIP_4) | instid1(VALU_DEP_3)
	v_lshlrev_b32_e32 v7, 2, v7
	s_wait_alu 0xfffd
	v_cndmask_b32_e32 v11, v11, v13, vcc_lo
	v_and_b32_e32 v13, 1, v48
	v_sub_nc_u32_e32 v14, v87, v16
	v_lshlrev_b32_e32 v11, 2, v11
	s_delay_alu instid0(VALU_DEP_3)
	v_cmp_eq_u32_e32 vcc_lo, 1, v13
	ds_store_b32 v8, v12
	ds_store_b32 v7, v9
	;; [unrolled: 1-line block ×3, first 2 shown]
	v_add_nc_u32_e32 v14, 12, v14
	v_add_co_u32 v7, s0, v2, v84
	s_wait_alu 0xf1ff
	v_add_co_ci_u32_e64 v8, null, 0, 0, s0
	s_wait_alu 0xfffd
	v_cndmask_b32_e32 v13, v14, v19, vcc_lo
	v_cmp_eq_u32_e32 vcc_lo, 1, v15
	s_wait_alu 0xfffe
	s_add_nc_u64 s[0:1], s[34:35], s[40:41]
	v_lshlrev_b64_e32 v[9:10], 2, v[5:6]
	v_add_nc_u32_e32 v12, v1, v2
	s_wait_alu 0xfffd
	v_cndmask_b32_e32 v3, v13, v3, vcc_lo
	v_add_co_u32 v7, vcc_lo, v7, v41
	s_wait_alu 0xfffd
	v_add_co_ci_u32_e64 v8, null, v8, v42, vcc_lo
	s_delay_alu instid0(VALU_DEP_3)
	v_lshlrev_b32_e32 v3, 2, v3
	ds_store_b32 v3, v40
	v_add_co_u32 v3, vcc_lo, v7, v5
	s_wait_alu 0xfffd
	v_add_co_ci_u32_e64 v7, null, v8, v6, vcc_lo
	s_wait_loadcnt_dscnt 0x0
	s_wait_alu 0xfffe
	v_sub_co_u32 v3, vcc_lo, s0, v3
	s_wait_alu 0xfffd
	v_sub_co_ci_u32_e64 v11, null, s1, v7, vcc_lo
	v_lshlrev_b64_e32 v[7:8], 2, v[41:42]
	v_add_co_u32 v9, s0, s36, v9
	s_wait_alu 0xf1ff
	v_add_co_ci_u32_e64 v10, null, s37, v10, s0
	s_mov_b32 s0, -1
	v_add_co_u32 v7, vcc_lo, s38, v7
	s_wait_alu 0xfffd
	v_add_co_ci_u32_e64 v8, null, s39, v8, vcc_lo
	v_cmp_ne_u32_e32 vcc_lo, 1, v39
	s_barrier_signal -1
	s_barrier_wait -1
	global_inv scope:SCOPE_SE
	s_cbranch_vccz .LBB1369_150
; %bb.147:
	s_wait_alu 0xfffe
	s_and_b32 vcc_lo, exec_lo, s0
	s_wait_alu 0xfffe
	s_cbranch_vccnz .LBB1369_255
.LBB1369_148:
	v_cmp_eq_u32_e32 vcc_lo, 0, v0
	s_and_b32 s0, vcc_lo, s15
	s_wait_alu 0xfffe
	s_and_saveexec_b32 s1, s0
	s_cbranch_execnz .LBB1369_373
.LBB1369_149:
	s_endpgm
.LBB1369_150:
	s_mov_b32 s0, exec_lo
	v_cmpx_ge_u32_e64 v0, v1
	s_wait_alu 0xfffe
	s_xor_b32 s0, exec_lo, s0
	s_cbranch_execz .LBB1369_156
; %bb.151:
	s_mov_b32 s1, exec_lo
	v_cmpx_ge_u32_e64 v0, v12
	s_wait_alu 0xfffe
	s_xor_b32 s1, exec_lo, s1
	s_cbranch_execz .LBB1369_153
; %bb.152:
	v_lshlrev_b32_e32 v13, 2, v0
	ds_load_b32 v15, v13
	v_add_co_u32 v13, vcc_lo, v3, v0
	s_wait_alu 0xfffd
	v_add_co_ci_u32_e64 v14, null, 0, v11, vcc_lo
	s_delay_alu instid0(VALU_DEP_1) | instskip(NEXT) | instid1(VALU_DEP_1)
	v_lshlrev_b64_e32 v[13:14], 2, v[13:14]
	v_sub_co_u32 v13, vcc_lo, s26, v13
	s_wait_alu 0xfffd
	s_delay_alu instid0(VALU_DEP_2)
	v_sub_co_ci_u32_e64 v14, null, s27, v14, vcc_lo
	s_wait_dscnt 0x0
	global_store_b32 v[13:14], v15, off offset:-4
.LBB1369_153:
	s_wait_alu 0xfffe
	s_and_not1_saveexec_b32 s1, s1
	s_cbranch_execz .LBB1369_155
; %bb.154:
	v_lshlrev_b32_e32 v13, 2, v0
	v_readfirstlane_b32 s2, v7
	v_readfirstlane_b32 s3, v8
	ds_load_b32 v14, v13
	s_wait_dscnt 0x0
	global_store_b32 v13, v14, s[2:3]
.LBB1369_155:
	s_wait_alu 0xfffe
	s_or_b32 exec_lo, exec_lo, s1
.LBB1369_156:
	s_wait_alu 0xfffe
	s_and_not1_saveexec_b32 s0, s0
	s_cbranch_execz .LBB1369_158
; %bb.157:
	v_lshlrev_b32_e32 v13, 2, v0
	v_readfirstlane_b32 s2, v9
	v_readfirstlane_b32 s3, v10
	ds_load_b32 v14, v13
	s_wait_dscnt 0x0
	global_store_b32 v13, v14, s[2:3]
.LBB1369_158:
	s_wait_alu 0xfffe
	s_or_b32 exec_lo, exec_lo, s0
	s_delay_alu instid0(SALU_CYCLE_1)
	s_mov_b32 s0, exec_lo
	v_cmpx_ge_u32_e64 v38, v1
	s_wait_alu 0xfffe
	s_xor_b32 s0, exec_lo, s0
	s_cbranch_execz .LBB1369_164
; %bb.159:
	s_mov_b32 s1, exec_lo
	v_cmpx_ge_u32_e64 v38, v12
	s_wait_alu 0xfffe
	s_xor_b32 s1, exec_lo, s1
	s_cbranch_execz .LBB1369_161
; %bb.160:
	v_lshlrev_b32_e32 v13, 2, v0
	ds_load_b32 v15, v13 offset:1024
	v_add_co_u32 v13, vcc_lo, v3, v0
	s_wait_alu 0xfffd
	v_add_co_ci_u32_e64 v14, null, 0, v11, vcc_lo
	s_delay_alu instid0(VALU_DEP_1) | instskip(NEXT) | instid1(VALU_DEP_1)
	v_lshlrev_b64_e32 v[13:14], 2, v[13:14]
	v_sub_co_u32 v13, vcc_lo, s26, v13
	s_wait_alu 0xfffd
	s_delay_alu instid0(VALU_DEP_2)
	v_sub_co_ci_u32_e64 v14, null, s27, v14, vcc_lo
	s_wait_dscnt 0x0
	global_store_b32 v[13:14], v15, off offset:-1028
.LBB1369_161:
	s_wait_alu 0xfffe
	s_and_not1_saveexec_b32 s1, s1
	s_cbranch_execz .LBB1369_163
; %bb.162:
	v_lshlrev_b32_e32 v13, 2, v0
	v_readfirstlane_b32 s2, v7
	v_readfirstlane_b32 s3, v8
	ds_load_b32 v14, v13 offset:1024
	s_wait_dscnt 0x0
	global_store_b32 v13, v14, s[2:3] offset:1024
.LBB1369_163:
	s_wait_alu 0xfffe
	s_or_b32 exec_lo, exec_lo, s1
.LBB1369_164:
	s_wait_alu 0xfffe
	s_and_not1_saveexec_b32 s0, s0
	s_cbranch_execz .LBB1369_166
; %bb.165:
	v_lshlrev_b32_e32 v13, 2, v0
	v_readfirstlane_b32 s2, v9
	v_readfirstlane_b32 s3, v10
	ds_load_b32 v14, v13 offset:1024
	s_wait_dscnt 0x0
	global_store_b32 v13, v14, s[2:3] offset:1024
.LBB1369_166:
	s_wait_alu 0xfffe
	s_or_b32 exec_lo, exec_lo, s0
	s_delay_alu instid0(SALU_CYCLE_1)
	s_mov_b32 s0, exec_lo
	v_cmpx_ge_u32_e64 v37, v1
	s_wait_alu 0xfffe
	s_xor_b32 s0, exec_lo, s0
	s_cbranch_execz .LBB1369_172
; %bb.167:
	s_mov_b32 s1, exec_lo
	v_cmpx_ge_u32_e64 v37, v12
	s_wait_alu 0xfffe
	s_xor_b32 s1, exec_lo, s1
	s_cbranch_execz .LBB1369_169
; %bb.168:
	v_lshlrev_b32_e32 v13, 2, v0
	ds_load_b32 v15, v13 offset:2048
	v_add_co_u32 v13, vcc_lo, v3, v0
	s_wait_alu 0xfffd
	v_add_co_ci_u32_e64 v14, null, 0, v11, vcc_lo
	s_delay_alu instid0(VALU_DEP_1) | instskip(NEXT) | instid1(VALU_DEP_1)
	v_lshlrev_b64_e32 v[13:14], 2, v[13:14]
	v_sub_co_u32 v13, vcc_lo, s26, v13
	s_wait_alu 0xfffd
	s_delay_alu instid0(VALU_DEP_2)
	v_sub_co_ci_u32_e64 v14, null, s27, v14, vcc_lo
	s_wait_dscnt 0x0
	global_store_b32 v[13:14], v15, off offset:-2052
.LBB1369_169:
	s_wait_alu 0xfffe
	s_and_not1_saveexec_b32 s1, s1
	s_cbranch_execz .LBB1369_171
; %bb.170:
	v_lshlrev_b32_e32 v13, 2, v0
	v_readfirstlane_b32 s2, v7
	v_readfirstlane_b32 s3, v8
	ds_load_b32 v14, v13 offset:2048
	s_wait_dscnt 0x0
	global_store_b32 v13, v14, s[2:3] offset:2048
.LBB1369_171:
	s_wait_alu 0xfffe
	s_or_b32 exec_lo, exec_lo, s1
.LBB1369_172:
	s_wait_alu 0xfffe
	s_and_not1_saveexec_b32 s0, s0
	s_cbranch_execz .LBB1369_174
; %bb.173:
	v_lshlrev_b32_e32 v13, 2, v0
	v_readfirstlane_b32 s2, v9
	v_readfirstlane_b32 s3, v10
	ds_load_b32 v14, v13 offset:2048
	s_wait_dscnt 0x0
	global_store_b32 v13, v14, s[2:3] offset:2048
.LBB1369_174:
	;; [unrolled: 54-line block ×12, first 2 shown]
	s_wait_alu 0xfffe
	s_or_b32 exec_lo, exec_lo, s0
	s_branch .LBB1369_148
.LBB1369_255:
	s_mov_b32 s0, exec_lo
	v_cmpx_gt_u32_e64 s33, v0
	s_cbranch_execz .LBB1369_264
; %bb.256:
	s_mov_b32 s1, exec_lo
	v_cmpx_ge_u32_e64 v0, v1
	s_wait_alu 0xfffe
	s_xor_b32 s1, exec_lo, s1
	s_cbranch_execz .LBB1369_262
; %bb.257:
	s_mov_b32 s2, exec_lo
	v_cmpx_ge_u32_e64 v0, v12
	s_wait_alu 0xfffe
	s_xor_b32 s2, exec_lo, s2
	s_cbranch_execz .LBB1369_259
; %bb.258:
	v_lshlrev_b32_e32 v13, 2, v0
	ds_load_b32 v15, v13
	v_add_co_u32 v13, vcc_lo, v3, v0
	s_wait_alu 0xfffd
	v_add_co_ci_u32_e64 v14, null, 0, v11, vcc_lo
	s_delay_alu instid0(VALU_DEP_1) | instskip(NEXT) | instid1(VALU_DEP_1)
	v_lshlrev_b64_e32 v[13:14], 2, v[13:14]
	v_sub_co_u32 v13, vcc_lo, s26, v13
	s_wait_alu 0xfffd
	s_delay_alu instid0(VALU_DEP_2)
	v_sub_co_ci_u32_e64 v14, null, s27, v14, vcc_lo
	s_wait_dscnt 0x0
	global_store_b32 v[13:14], v15, off offset:-4
.LBB1369_259:
	s_wait_alu 0xfffe
	s_and_not1_saveexec_b32 s2, s2
	s_cbranch_execz .LBB1369_261
; %bb.260:
	v_lshlrev_b32_e32 v13, 2, v0
	v_readfirstlane_b32 s4, v7
	v_readfirstlane_b32 s5, v8
	ds_load_b32 v14, v13
	s_wait_dscnt 0x0
	global_store_b32 v13, v14, s[4:5]
.LBB1369_261:
	s_wait_alu 0xfffe
	s_or_b32 exec_lo, exec_lo, s2
.LBB1369_262:
	s_wait_alu 0xfffe
	s_and_not1_saveexec_b32 s1, s1
	s_cbranch_execz .LBB1369_264
; %bb.263:
	v_lshlrev_b32_e32 v13, 2, v0
	v_readfirstlane_b32 s2, v9
	v_readfirstlane_b32 s3, v10
	ds_load_b32 v14, v13
	s_wait_dscnt 0x0
	global_store_b32 v13, v14, s[2:3]
.LBB1369_264:
	s_wait_alu 0xfffe
	s_or_b32 exec_lo, exec_lo, s0
	s_delay_alu instid0(SALU_CYCLE_1)
	s_mov_b32 s0, exec_lo
	v_cmpx_gt_u32_e64 s33, v38
	s_cbranch_execz .LBB1369_273
; %bb.265:
	s_mov_b32 s1, exec_lo
	v_cmpx_ge_u32_e64 v38, v1
	s_wait_alu 0xfffe
	s_xor_b32 s1, exec_lo, s1
	s_cbranch_execz .LBB1369_271
; %bb.266:
	s_mov_b32 s2, exec_lo
	v_cmpx_ge_u32_e64 v38, v12
	s_wait_alu 0xfffe
	s_xor_b32 s2, exec_lo, s2
	s_cbranch_execz .LBB1369_268
; %bb.267:
	v_lshlrev_b32_e32 v13, 2, v0
	ds_load_b32 v15, v13 offset:1024
	v_add_co_u32 v13, vcc_lo, v3, v0
	s_wait_alu 0xfffd
	v_add_co_ci_u32_e64 v14, null, 0, v11, vcc_lo
	s_delay_alu instid0(VALU_DEP_1) | instskip(NEXT) | instid1(VALU_DEP_1)
	v_lshlrev_b64_e32 v[13:14], 2, v[13:14]
	v_sub_co_u32 v13, vcc_lo, s26, v13
	s_wait_alu 0xfffd
	s_delay_alu instid0(VALU_DEP_2)
	v_sub_co_ci_u32_e64 v14, null, s27, v14, vcc_lo
	s_wait_dscnt 0x0
	global_store_b32 v[13:14], v15, off offset:-1028
.LBB1369_268:
	s_wait_alu 0xfffe
	s_and_not1_saveexec_b32 s2, s2
	s_cbranch_execz .LBB1369_270
; %bb.269:
	v_lshlrev_b32_e32 v13, 2, v0
	v_readfirstlane_b32 s4, v7
	v_readfirstlane_b32 s5, v8
	ds_load_b32 v14, v13 offset:1024
	s_wait_dscnt 0x0
	global_store_b32 v13, v14, s[4:5] offset:1024
.LBB1369_270:
	s_wait_alu 0xfffe
	s_or_b32 exec_lo, exec_lo, s2
.LBB1369_271:
	s_wait_alu 0xfffe
	s_and_not1_saveexec_b32 s1, s1
	s_cbranch_execz .LBB1369_273
; %bb.272:
	v_lshlrev_b32_e32 v13, 2, v0
	v_readfirstlane_b32 s2, v9
	v_readfirstlane_b32 s3, v10
	ds_load_b32 v14, v13 offset:1024
	s_wait_dscnt 0x0
	global_store_b32 v13, v14, s[2:3] offset:1024
.LBB1369_273:
	s_wait_alu 0xfffe
	s_or_b32 exec_lo, exec_lo, s0
	s_delay_alu instid0(SALU_CYCLE_1)
	s_mov_b32 s0, exec_lo
	v_cmpx_gt_u32_e64 s33, v37
	s_cbranch_execz .LBB1369_282
; %bb.274:
	s_mov_b32 s1, exec_lo
	v_cmpx_ge_u32_e64 v37, v1
	s_wait_alu 0xfffe
	s_xor_b32 s1, exec_lo, s1
	s_cbranch_execz .LBB1369_280
; %bb.275:
	s_mov_b32 s2, exec_lo
	v_cmpx_ge_u32_e64 v37, v12
	s_wait_alu 0xfffe
	s_xor_b32 s2, exec_lo, s2
	s_cbranch_execz .LBB1369_277
; %bb.276:
	v_lshlrev_b32_e32 v13, 2, v0
	ds_load_b32 v15, v13 offset:2048
	v_add_co_u32 v13, vcc_lo, v3, v0
	s_wait_alu 0xfffd
	v_add_co_ci_u32_e64 v14, null, 0, v11, vcc_lo
	s_delay_alu instid0(VALU_DEP_1) | instskip(NEXT) | instid1(VALU_DEP_1)
	v_lshlrev_b64_e32 v[13:14], 2, v[13:14]
	v_sub_co_u32 v13, vcc_lo, s26, v13
	s_wait_alu 0xfffd
	s_delay_alu instid0(VALU_DEP_2)
	v_sub_co_ci_u32_e64 v14, null, s27, v14, vcc_lo
	s_wait_dscnt 0x0
	global_store_b32 v[13:14], v15, off offset:-2052
.LBB1369_277:
	s_wait_alu 0xfffe
	s_and_not1_saveexec_b32 s2, s2
	s_cbranch_execz .LBB1369_279
; %bb.278:
	v_lshlrev_b32_e32 v13, 2, v0
	v_readfirstlane_b32 s4, v7
	v_readfirstlane_b32 s5, v8
	ds_load_b32 v14, v13 offset:2048
	s_wait_dscnt 0x0
	global_store_b32 v13, v14, s[4:5] offset:2048
.LBB1369_279:
	s_wait_alu 0xfffe
	s_or_b32 exec_lo, exec_lo, s2
.LBB1369_280:
	s_wait_alu 0xfffe
	s_and_not1_saveexec_b32 s1, s1
	s_cbranch_execz .LBB1369_282
; %bb.281:
	v_lshlrev_b32_e32 v13, 2, v0
	v_readfirstlane_b32 s2, v9
	v_readfirstlane_b32 s3, v10
	ds_load_b32 v14, v13 offset:2048
	s_wait_dscnt 0x0
	global_store_b32 v13, v14, s[2:3] offset:2048
.LBB1369_282:
	s_wait_alu 0xfffe
	s_or_b32 exec_lo, exec_lo, s0
	s_delay_alu instid0(SALU_CYCLE_1)
	s_mov_b32 s0, exec_lo
	v_cmpx_gt_u32_e64 s33, v36
	s_cbranch_execz .LBB1369_291
; %bb.283:
	s_mov_b32 s1, exec_lo
	v_cmpx_ge_u32_e64 v36, v1
	s_wait_alu 0xfffe
	s_xor_b32 s1, exec_lo, s1
	s_cbranch_execz .LBB1369_289
; %bb.284:
	s_mov_b32 s2, exec_lo
	v_cmpx_ge_u32_e64 v36, v12
	s_wait_alu 0xfffe
	s_xor_b32 s2, exec_lo, s2
	s_cbranch_execz .LBB1369_286
; %bb.285:
	v_lshlrev_b32_e32 v13, 2, v0
	ds_load_b32 v15, v13 offset:3072
	v_add_co_u32 v13, vcc_lo, v3, v0
	s_wait_alu 0xfffd
	v_add_co_ci_u32_e64 v14, null, 0, v11, vcc_lo
	s_delay_alu instid0(VALU_DEP_1) | instskip(NEXT) | instid1(VALU_DEP_1)
	v_lshlrev_b64_e32 v[13:14], 2, v[13:14]
	v_sub_co_u32 v13, vcc_lo, s26, v13
	s_wait_alu 0xfffd
	s_delay_alu instid0(VALU_DEP_2)
	v_sub_co_ci_u32_e64 v14, null, s27, v14, vcc_lo
	s_wait_dscnt 0x0
	global_store_b32 v[13:14], v15, off offset:-3076
.LBB1369_286:
	s_wait_alu 0xfffe
	s_and_not1_saveexec_b32 s2, s2
	s_cbranch_execz .LBB1369_288
; %bb.287:
	v_lshlrev_b32_e32 v13, 2, v0
	v_readfirstlane_b32 s4, v7
	v_readfirstlane_b32 s5, v8
	ds_load_b32 v14, v13 offset:3072
	s_wait_dscnt 0x0
	global_store_b32 v13, v14, s[4:5] offset:3072
.LBB1369_288:
	s_wait_alu 0xfffe
	s_or_b32 exec_lo, exec_lo, s2
.LBB1369_289:
	s_wait_alu 0xfffe
	s_and_not1_saveexec_b32 s1, s1
	s_cbranch_execz .LBB1369_291
; %bb.290:
	v_lshlrev_b32_e32 v13, 2, v0
	v_readfirstlane_b32 s2, v9
	v_readfirstlane_b32 s3, v10
	ds_load_b32 v14, v13 offset:3072
	s_wait_dscnt 0x0
	global_store_b32 v13, v14, s[2:3] offset:3072
.LBB1369_291:
	s_wait_alu 0xfffe
	s_or_b32 exec_lo, exec_lo, s0
	s_delay_alu instid0(SALU_CYCLE_1)
	s_mov_b32 s0, exec_lo
	v_cmpx_gt_u32_e64 s33, v35
	s_cbranch_execz .LBB1369_300
; %bb.292:
	s_mov_b32 s1, exec_lo
	v_cmpx_ge_u32_e64 v35, v1
	s_wait_alu 0xfffe
	s_xor_b32 s1, exec_lo, s1
	s_cbranch_execz .LBB1369_298
; %bb.293:
	s_mov_b32 s2, exec_lo
	v_cmpx_ge_u32_e64 v35, v12
	s_wait_alu 0xfffe
	s_xor_b32 s2, exec_lo, s2
	s_cbranch_execz .LBB1369_295
; %bb.294:
	v_lshlrev_b32_e32 v13, 2, v0
	ds_load_b32 v15, v13 offset:4096
	v_add_co_u32 v13, vcc_lo, v3, v0
	s_wait_alu 0xfffd
	v_add_co_ci_u32_e64 v14, null, 0, v11, vcc_lo
	s_delay_alu instid0(VALU_DEP_1) | instskip(NEXT) | instid1(VALU_DEP_1)
	v_lshlrev_b64_e32 v[13:14], 2, v[13:14]
	v_sub_co_u32 v13, vcc_lo, s26, v13
	s_wait_alu 0xfffd
	s_delay_alu instid0(VALU_DEP_2)
	v_sub_co_ci_u32_e64 v14, null, s27, v14, vcc_lo
	s_wait_dscnt 0x0
	global_store_b32 v[13:14], v15, off offset:-4100
.LBB1369_295:
	s_wait_alu 0xfffe
	s_and_not1_saveexec_b32 s2, s2
	s_cbranch_execz .LBB1369_297
; %bb.296:
	v_lshlrev_b32_e32 v13, 2, v0
	v_readfirstlane_b32 s4, v7
	v_readfirstlane_b32 s5, v8
	ds_load_b32 v14, v13 offset:4096
	s_wait_dscnt 0x0
	global_store_b32 v13, v14, s[4:5] offset:4096
.LBB1369_297:
	s_wait_alu 0xfffe
	s_or_b32 exec_lo, exec_lo, s2
.LBB1369_298:
	s_wait_alu 0xfffe
	s_and_not1_saveexec_b32 s1, s1
	s_cbranch_execz .LBB1369_300
; %bb.299:
	v_lshlrev_b32_e32 v13, 2, v0
	v_readfirstlane_b32 s2, v9
	v_readfirstlane_b32 s3, v10
	ds_load_b32 v14, v13 offset:4096
	s_wait_dscnt 0x0
	global_store_b32 v13, v14, s[2:3] offset:4096
.LBB1369_300:
	s_wait_alu 0xfffe
	s_or_b32 exec_lo, exec_lo, s0
	s_delay_alu instid0(SALU_CYCLE_1)
	s_mov_b32 s0, exec_lo
	v_cmpx_gt_u32_e64 s33, v34
	s_cbranch_execz .LBB1369_309
; %bb.301:
	s_mov_b32 s1, exec_lo
	v_cmpx_ge_u32_e64 v34, v1
	s_wait_alu 0xfffe
	s_xor_b32 s1, exec_lo, s1
	s_cbranch_execz .LBB1369_307
; %bb.302:
	s_mov_b32 s2, exec_lo
	v_cmpx_ge_u32_e64 v34, v12
	s_wait_alu 0xfffe
	s_xor_b32 s2, exec_lo, s2
	s_cbranch_execz .LBB1369_304
; %bb.303:
	v_lshlrev_b32_e32 v13, 2, v0
	ds_load_b32 v15, v13 offset:5120
	v_add_co_u32 v13, vcc_lo, v3, v0
	s_wait_alu 0xfffd
	v_add_co_ci_u32_e64 v14, null, 0, v11, vcc_lo
	s_delay_alu instid0(VALU_DEP_1) | instskip(NEXT) | instid1(VALU_DEP_1)
	v_lshlrev_b64_e32 v[13:14], 2, v[13:14]
	v_sub_co_u32 v13, vcc_lo, s26, v13
	s_wait_alu 0xfffd
	s_delay_alu instid0(VALU_DEP_2)
	v_sub_co_ci_u32_e64 v14, null, s27, v14, vcc_lo
	s_wait_dscnt 0x0
	global_store_b32 v[13:14], v15, off offset:-5124
.LBB1369_304:
	s_wait_alu 0xfffe
	s_and_not1_saveexec_b32 s2, s2
	s_cbranch_execz .LBB1369_306
; %bb.305:
	v_lshlrev_b32_e32 v13, 2, v0
	v_readfirstlane_b32 s4, v7
	v_readfirstlane_b32 s5, v8
	ds_load_b32 v14, v13 offset:5120
	s_wait_dscnt 0x0
	global_store_b32 v13, v14, s[4:5] offset:5120
.LBB1369_306:
	s_wait_alu 0xfffe
	s_or_b32 exec_lo, exec_lo, s2
.LBB1369_307:
	s_wait_alu 0xfffe
	s_and_not1_saveexec_b32 s1, s1
	s_cbranch_execz .LBB1369_309
; %bb.308:
	v_lshlrev_b32_e32 v13, 2, v0
	v_readfirstlane_b32 s2, v9
	v_readfirstlane_b32 s3, v10
	ds_load_b32 v14, v13 offset:5120
	s_wait_dscnt 0x0
	global_store_b32 v13, v14, s[2:3] offset:5120
.LBB1369_309:
	s_wait_alu 0xfffe
	s_or_b32 exec_lo, exec_lo, s0
	s_delay_alu instid0(SALU_CYCLE_1)
	s_mov_b32 s0, exec_lo
	v_cmpx_gt_u32_e64 s33, v33
	s_cbranch_execz .LBB1369_318
; %bb.310:
	s_mov_b32 s1, exec_lo
	v_cmpx_ge_u32_e64 v33, v1
	s_wait_alu 0xfffe
	s_xor_b32 s1, exec_lo, s1
	s_cbranch_execz .LBB1369_316
; %bb.311:
	s_mov_b32 s2, exec_lo
	v_cmpx_ge_u32_e64 v33, v12
	s_wait_alu 0xfffe
	s_xor_b32 s2, exec_lo, s2
	s_cbranch_execz .LBB1369_313
; %bb.312:
	v_lshlrev_b32_e32 v13, 2, v0
	ds_load_b32 v15, v13 offset:6144
	v_add_co_u32 v13, vcc_lo, v3, v0
	s_wait_alu 0xfffd
	v_add_co_ci_u32_e64 v14, null, 0, v11, vcc_lo
	s_delay_alu instid0(VALU_DEP_1) | instskip(NEXT) | instid1(VALU_DEP_1)
	v_lshlrev_b64_e32 v[13:14], 2, v[13:14]
	v_sub_co_u32 v13, vcc_lo, s26, v13
	s_wait_alu 0xfffd
	s_delay_alu instid0(VALU_DEP_2)
	v_sub_co_ci_u32_e64 v14, null, s27, v14, vcc_lo
	s_wait_dscnt 0x0
	global_store_b32 v[13:14], v15, off offset:-6148
.LBB1369_313:
	s_wait_alu 0xfffe
	s_and_not1_saveexec_b32 s2, s2
	s_cbranch_execz .LBB1369_315
; %bb.314:
	v_lshlrev_b32_e32 v13, 2, v0
	v_readfirstlane_b32 s4, v7
	v_readfirstlane_b32 s5, v8
	ds_load_b32 v14, v13 offset:6144
	s_wait_dscnt 0x0
	global_store_b32 v13, v14, s[4:5] offset:6144
.LBB1369_315:
	s_wait_alu 0xfffe
	s_or_b32 exec_lo, exec_lo, s2
.LBB1369_316:
	s_wait_alu 0xfffe
	s_and_not1_saveexec_b32 s1, s1
	s_cbranch_execz .LBB1369_318
; %bb.317:
	v_lshlrev_b32_e32 v13, 2, v0
	v_readfirstlane_b32 s2, v9
	v_readfirstlane_b32 s3, v10
	ds_load_b32 v14, v13 offset:6144
	s_wait_dscnt 0x0
	global_store_b32 v13, v14, s[2:3] offset:6144
.LBB1369_318:
	s_wait_alu 0xfffe
	s_or_b32 exec_lo, exec_lo, s0
	s_delay_alu instid0(SALU_CYCLE_1)
	s_mov_b32 s0, exec_lo
	v_cmpx_gt_u32_e64 s33, v32
	s_cbranch_execz .LBB1369_327
; %bb.319:
	s_mov_b32 s1, exec_lo
	v_cmpx_ge_u32_e64 v32, v1
	s_wait_alu 0xfffe
	s_xor_b32 s1, exec_lo, s1
	s_cbranch_execz .LBB1369_325
; %bb.320:
	s_mov_b32 s2, exec_lo
	v_cmpx_ge_u32_e64 v32, v12
	s_wait_alu 0xfffe
	s_xor_b32 s2, exec_lo, s2
	s_cbranch_execz .LBB1369_322
; %bb.321:
	v_lshlrev_b32_e32 v13, 2, v0
	ds_load_b32 v15, v13 offset:7168
	v_add_co_u32 v13, vcc_lo, v3, v0
	s_wait_alu 0xfffd
	v_add_co_ci_u32_e64 v14, null, 0, v11, vcc_lo
	s_delay_alu instid0(VALU_DEP_1) | instskip(NEXT) | instid1(VALU_DEP_1)
	v_lshlrev_b64_e32 v[13:14], 2, v[13:14]
	v_sub_co_u32 v13, vcc_lo, s26, v13
	s_wait_alu 0xfffd
	s_delay_alu instid0(VALU_DEP_2)
	v_sub_co_ci_u32_e64 v14, null, s27, v14, vcc_lo
	s_wait_dscnt 0x0
	global_store_b32 v[13:14], v15, off offset:-7172
.LBB1369_322:
	s_wait_alu 0xfffe
	s_and_not1_saveexec_b32 s2, s2
	s_cbranch_execz .LBB1369_324
; %bb.323:
	v_lshlrev_b32_e32 v13, 2, v0
	v_readfirstlane_b32 s4, v7
	v_readfirstlane_b32 s5, v8
	ds_load_b32 v14, v13 offset:7168
	s_wait_dscnt 0x0
	global_store_b32 v13, v14, s[4:5] offset:7168
.LBB1369_324:
	s_wait_alu 0xfffe
	s_or_b32 exec_lo, exec_lo, s2
.LBB1369_325:
	s_wait_alu 0xfffe
	s_and_not1_saveexec_b32 s1, s1
	s_cbranch_execz .LBB1369_327
; %bb.326:
	v_lshlrev_b32_e32 v13, 2, v0
	v_readfirstlane_b32 s2, v9
	v_readfirstlane_b32 s3, v10
	ds_load_b32 v14, v13 offset:7168
	s_wait_dscnt 0x0
	global_store_b32 v13, v14, s[2:3] offset:7168
.LBB1369_327:
	s_wait_alu 0xfffe
	s_or_b32 exec_lo, exec_lo, s0
	s_delay_alu instid0(SALU_CYCLE_1)
	s_mov_b32 s0, exec_lo
	v_cmpx_gt_u32_e64 s33, v31
	s_cbranch_execz .LBB1369_336
; %bb.328:
	s_mov_b32 s1, exec_lo
	v_cmpx_ge_u32_e64 v31, v1
	s_wait_alu 0xfffe
	s_xor_b32 s1, exec_lo, s1
	s_cbranch_execz .LBB1369_334
; %bb.329:
	s_mov_b32 s2, exec_lo
	v_cmpx_ge_u32_e64 v31, v12
	s_wait_alu 0xfffe
	s_xor_b32 s2, exec_lo, s2
	s_cbranch_execz .LBB1369_331
; %bb.330:
	v_lshlrev_b32_e32 v13, 2, v0
	ds_load_b32 v15, v13 offset:8192
	v_add_co_u32 v13, vcc_lo, v3, v0
	s_wait_alu 0xfffd
	v_add_co_ci_u32_e64 v14, null, 0, v11, vcc_lo
	s_delay_alu instid0(VALU_DEP_1) | instskip(NEXT) | instid1(VALU_DEP_1)
	v_lshlrev_b64_e32 v[13:14], 2, v[13:14]
	v_sub_co_u32 v13, vcc_lo, s26, v13
	s_wait_alu 0xfffd
	s_delay_alu instid0(VALU_DEP_2)
	v_sub_co_ci_u32_e64 v14, null, s27, v14, vcc_lo
	s_wait_dscnt 0x0
	global_store_b32 v[13:14], v15, off offset:-8196
.LBB1369_331:
	s_wait_alu 0xfffe
	s_and_not1_saveexec_b32 s2, s2
	s_cbranch_execz .LBB1369_333
; %bb.332:
	v_lshlrev_b32_e32 v13, 2, v0
	v_readfirstlane_b32 s4, v7
	v_readfirstlane_b32 s5, v8
	ds_load_b32 v14, v13 offset:8192
	s_wait_dscnt 0x0
	global_store_b32 v13, v14, s[4:5] offset:8192
.LBB1369_333:
	s_wait_alu 0xfffe
	s_or_b32 exec_lo, exec_lo, s2
.LBB1369_334:
	s_wait_alu 0xfffe
	s_and_not1_saveexec_b32 s1, s1
	s_cbranch_execz .LBB1369_336
; %bb.335:
	v_lshlrev_b32_e32 v13, 2, v0
	v_readfirstlane_b32 s2, v9
	v_readfirstlane_b32 s3, v10
	ds_load_b32 v14, v13 offset:8192
	s_wait_dscnt 0x0
	global_store_b32 v13, v14, s[2:3] offset:8192
.LBB1369_336:
	s_wait_alu 0xfffe
	s_or_b32 exec_lo, exec_lo, s0
	s_delay_alu instid0(SALU_CYCLE_1)
	s_mov_b32 s0, exec_lo
	v_cmpx_gt_u32_e64 s33, v30
	s_cbranch_execz .LBB1369_345
; %bb.337:
	s_mov_b32 s1, exec_lo
	v_cmpx_ge_u32_e64 v30, v1
	s_wait_alu 0xfffe
	s_xor_b32 s1, exec_lo, s1
	s_cbranch_execz .LBB1369_343
; %bb.338:
	s_mov_b32 s2, exec_lo
	v_cmpx_ge_u32_e64 v30, v12
	s_wait_alu 0xfffe
	s_xor_b32 s2, exec_lo, s2
	s_cbranch_execz .LBB1369_340
; %bb.339:
	v_lshlrev_b32_e32 v13, 2, v0
	ds_load_b32 v15, v13 offset:9216
	v_add_co_u32 v13, vcc_lo, v3, v0
	s_wait_alu 0xfffd
	v_add_co_ci_u32_e64 v14, null, 0, v11, vcc_lo
	s_delay_alu instid0(VALU_DEP_1) | instskip(NEXT) | instid1(VALU_DEP_1)
	v_lshlrev_b64_e32 v[13:14], 2, v[13:14]
	v_sub_co_u32 v13, vcc_lo, s26, v13
	s_wait_alu 0xfffd
	s_delay_alu instid0(VALU_DEP_2)
	v_sub_co_ci_u32_e64 v14, null, s27, v14, vcc_lo
	s_wait_dscnt 0x0
	global_store_b32 v[13:14], v15, off offset:-9220
.LBB1369_340:
	s_wait_alu 0xfffe
	s_and_not1_saveexec_b32 s2, s2
	s_cbranch_execz .LBB1369_342
; %bb.341:
	v_lshlrev_b32_e32 v13, 2, v0
	v_readfirstlane_b32 s4, v7
	v_readfirstlane_b32 s5, v8
	ds_load_b32 v14, v13 offset:9216
	s_wait_dscnt 0x0
	global_store_b32 v13, v14, s[4:5] offset:9216
.LBB1369_342:
	s_wait_alu 0xfffe
	s_or_b32 exec_lo, exec_lo, s2
.LBB1369_343:
	s_wait_alu 0xfffe
	s_and_not1_saveexec_b32 s1, s1
	s_cbranch_execz .LBB1369_345
; %bb.344:
	v_lshlrev_b32_e32 v13, 2, v0
	v_readfirstlane_b32 s2, v9
	v_readfirstlane_b32 s3, v10
	ds_load_b32 v14, v13 offset:9216
	s_wait_dscnt 0x0
	global_store_b32 v13, v14, s[2:3] offset:9216
.LBB1369_345:
	s_wait_alu 0xfffe
	s_or_b32 exec_lo, exec_lo, s0
	s_delay_alu instid0(SALU_CYCLE_1)
	s_mov_b32 s0, exec_lo
	v_cmpx_gt_u32_e64 s33, v29
	s_cbranch_execz .LBB1369_354
; %bb.346:
	s_mov_b32 s1, exec_lo
	v_cmpx_ge_u32_e64 v29, v1
	s_wait_alu 0xfffe
	s_xor_b32 s1, exec_lo, s1
	s_cbranch_execz .LBB1369_352
; %bb.347:
	s_mov_b32 s2, exec_lo
	v_cmpx_ge_u32_e64 v29, v12
	s_wait_alu 0xfffe
	s_xor_b32 s2, exec_lo, s2
	s_cbranch_execz .LBB1369_349
; %bb.348:
	v_lshlrev_b32_e32 v13, 2, v0
	ds_load_b32 v15, v13 offset:10240
	v_add_co_u32 v13, vcc_lo, v3, v0
	s_wait_alu 0xfffd
	v_add_co_ci_u32_e64 v14, null, 0, v11, vcc_lo
	s_delay_alu instid0(VALU_DEP_1) | instskip(NEXT) | instid1(VALU_DEP_1)
	v_lshlrev_b64_e32 v[13:14], 2, v[13:14]
	v_sub_co_u32 v13, vcc_lo, s26, v13
	s_wait_alu 0xfffd
	s_delay_alu instid0(VALU_DEP_2)
	v_sub_co_ci_u32_e64 v14, null, s27, v14, vcc_lo
	s_wait_dscnt 0x0
	global_store_b32 v[13:14], v15, off offset:-10244
.LBB1369_349:
	s_wait_alu 0xfffe
	s_and_not1_saveexec_b32 s2, s2
	s_cbranch_execz .LBB1369_351
; %bb.350:
	v_lshlrev_b32_e32 v13, 2, v0
	v_readfirstlane_b32 s4, v7
	v_readfirstlane_b32 s5, v8
	ds_load_b32 v14, v13 offset:10240
	s_wait_dscnt 0x0
	global_store_b32 v13, v14, s[4:5] offset:10240
.LBB1369_351:
	s_wait_alu 0xfffe
	s_or_b32 exec_lo, exec_lo, s2
.LBB1369_352:
	s_wait_alu 0xfffe
	s_and_not1_saveexec_b32 s1, s1
	s_cbranch_execz .LBB1369_354
; %bb.353:
	v_lshlrev_b32_e32 v13, 2, v0
	v_readfirstlane_b32 s2, v9
	v_readfirstlane_b32 s3, v10
	ds_load_b32 v14, v13 offset:10240
	s_wait_dscnt 0x0
	global_store_b32 v13, v14, s[2:3] offset:10240
.LBB1369_354:
	s_wait_alu 0xfffe
	s_or_b32 exec_lo, exec_lo, s0
	s_delay_alu instid0(SALU_CYCLE_1)
	s_mov_b32 s0, exec_lo
	v_cmpx_gt_u32_e64 s33, v28
	s_cbranch_execz .LBB1369_363
; %bb.355:
	s_mov_b32 s1, exec_lo
	v_cmpx_ge_u32_e64 v28, v1
	s_wait_alu 0xfffe
	s_xor_b32 s1, exec_lo, s1
	s_cbranch_execz .LBB1369_361
; %bb.356:
	s_mov_b32 s2, exec_lo
	v_cmpx_ge_u32_e64 v28, v12
	s_wait_alu 0xfffe
	s_xor_b32 s2, exec_lo, s2
	s_cbranch_execz .LBB1369_358
; %bb.357:
	v_lshlrev_b32_e32 v13, 2, v0
	ds_load_b32 v15, v13 offset:11264
	v_add_co_u32 v13, vcc_lo, v3, v0
	s_wait_alu 0xfffd
	v_add_co_ci_u32_e64 v14, null, 0, v11, vcc_lo
	s_delay_alu instid0(VALU_DEP_1) | instskip(NEXT) | instid1(VALU_DEP_1)
	v_lshlrev_b64_e32 v[13:14], 2, v[13:14]
	v_sub_co_u32 v13, vcc_lo, s26, v13
	s_wait_alu 0xfffd
	s_delay_alu instid0(VALU_DEP_2)
	v_sub_co_ci_u32_e64 v14, null, s27, v14, vcc_lo
	s_wait_dscnt 0x0
	global_store_b32 v[13:14], v15, off offset:-11268
.LBB1369_358:
	s_wait_alu 0xfffe
	s_and_not1_saveexec_b32 s2, s2
	s_cbranch_execz .LBB1369_360
; %bb.359:
	v_lshlrev_b32_e32 v13, 2, v0
	v_readfirstlane_b32 s4, v7
	v_readfirstlane_b32 s5, v8
	ds_load_b32 v14, v13 offset:11264
	s_wait_dscnt 0x0
	global_store_b32 v13, v14, s[4:5] offset:11264
.LBB1369_360:
	s_wait_alu 0xfffe
	s_or_b32 exec_lo, exec_lo, s2
.LBB1369_361:
	s_wait_alu 0xfffe
	s_and_not1_saveexec_b32 s1, s1
	s_cbranch_execz .LBB1369_363
; %bb.362:
	v_lshlrev_b32_e32 v13, 2, v0
	v_readfirstlane_b32 s2, v9
	v_readfirstlane_b32 s3, v10
	ds_load_b32 v14, v13 offset:11264
	s_wait_dscnt 0x0
	global_store_b32 v13, v14, s[2:3] offset:11264
.LBB1369_363:
	s_wait_alu 0xfffe
	s_or_b32 exec_lo, exec_lo, s0
	s_delay_alu instid0(SALU_CYCLE_1)
	s_mov_b32 s0, exec_lo
	v_cmpx_gt_u32_e64 s33, v27
	s_cbranch_execz .LBB1369_372
; %bb.364:
	s_mov_b32 s1, exec_lo
	v_cmpx_ge_u32_e64 v27, v1
	s_wait_alu 0xfffe
	s_xor_b32 s1, exec_lo, s1
	s_cbranch_execz .LBB1369_370
; %bb.365:
	s_mov_b32 s2, exec_lo
	v_cmpx_ge_u32_e64 v27, v12
	s_wait_alu 0xfffe
	s_xor_b32 s2, exec_lo, s2
	s_cbranch_execz .LBB1369_367
; %bb.366:
	v_lshlrev_b32_e32 v7, 2, v0
	ds_load_b32 v9, v7 offset:12288
	v_add_co_u32 v7, vcc_lo, v3, v0
	s_wait_alu 0xfffd
	v_add_co_ci_u32_e64 v8, null, 0, v11, vcc_lo
	s_delay_alu instid0(VALU_DEP_1) | instskip(NEXT) | instid1(VALU_DEP_1)
	v_lshlrev_b64_e32 v[7:8], 2, v[7:8]
	v_sub_co_u32 v7, vcc_lo, s26, v7
	s_wait_alu 0xfffd
	s_delay_alu instid0(VALU_DEP_2)
	v_sub_co_ci_u32_e64 v8, null, s27, v8, vcc_lo
	s_wait_dscnt 0x0
	global_store_b32 v[7:8], v9, off offset:-12292
                                        ; implicit-def: $vgpr7_vgpr8
.LBB1369_367:
	s_wait_alu 0xfffe
	s_and_not1_saveexec_b32 s2, s2
	s_cbranch_execz .LBB1369_369
; %bb.368:
	v_lshlrev_b32_e32 v3, 2, v0
	v_readfirstlane_b32 s4, v7
	v_readfirstlane_b32 s5, v8
	ds_load_b32 v9, v3 offset:12288
	s_wait_dscnt 0x0
	global_store_b32 v3, v9, s[4:5] offset:12288
.LBB1369_369:
	s_wait_alu 0xfffe
	s_or_b32 exec_lo, exec_lo, s2
                                        ; implicit-def: $vgpr9_vgpr10
.LBB1369_370:
	s_wait_alu 0xfffe
	s_and_not1_saveexec_b32 s1, s1
	s_cbranch_execz .LBB1369_372
; %bb.371:
	v_lshlrev_b32_e32 v3, 2, v0
	v_readfirstlane_b32 s2, v9
	v_readfirstlane_b32 s3, v10
	ds_load_b32 v7, v3 offset:12288
	s_wait_dscnt 0x0
	global_store_b32 v3, v7, s[2:3] offset:12288
.LBB1369_372:
	s_wait_alu 0xfffe
	s_or_b32 exec_lo, exec_lo, s0
	v_cmp_eq_u32_e32 vcc_lo, 0, v0
	s_and_b32 s0, vcc_lo, s15
	s_wait_alu 0xfffe
	s_and_saveexec_b32 s1, s0
	s_cbranch_execz .LBB1369_149
.LBB1369_373:
	v_add_co_u32 v0, s0, s30, v2
	s_wait_alu 0xf1ff
	v_add_co_ci_u32_e64 v3, null, s31, 0, s0
	v_mov_b32_e32 v7, 0
	s_delay_alu instid0(VALU_DEP_3) | instskip(SKIP_1) | instid1(VALU_DEP_3)
	v_add_co_u32 v2, vcc_lo, v0, v4
	s_wait_alu 0xfffd
	v_add_co_ci_u32_e64 v3, null, 0, v3, vcc_lo
	v_add_co_u32 v0, vcc_lo, v5, v1
	s_wait_alu 0xfffd
	v_add_co_ci_u32_e64 v1, null, 0, v6, vcc_lo
	global_store_b128 v7, v[0:3], s[24:25]
	s_endpgm
.LBB1369_374:
	s_add_co_i32 s8, ttmp9, 32
	s_mov_b32 s9, 0
	v_dual_mov_b32 v7, 2 :: v_dual_add_nc_u32 v6, v4, v2
	s_wait_alu 0xfffe
	s_lshl_b64 s[8:9], s[8:9], 4
	v_dual_mov_b32 v8, 0 :: v_dual_add_nc_u32 v5, v3, v1
	s_wait_alu 0xfffe
	s_add_nc_u64 s[8:9], s[4:5], s[8:9]
	s_wait_alu 0xfffe
	v_dual_mov_b32 v24, s9 :: v_dual_mov_b32 v23, s8
	;;#ASMSTART
	global_store_b128 v[23:24], v[5:8] off scope:SCOPE_DEV	
s_wait_storecnt 0x0
	;;#ASMEND
	s_or_b32 exec_lo, exec_lo, s6
	s_and_saveexec_b32 s6, s2
	s_cbranch_execz .LBB1369_134
.LBB1369_375:
	v_mov_b32_e32 v5, 0
	ds_store_b128 v5, v[1:4] offset:13312
	s_wait_alu 0xfffe
	s_or_b32 exec_lo, exec_lo, s6
	v_cmp_eq_u32_e32 vcc_lo, 0, v0
	s_and_b32 exec_lo, exec_lo, vcc_lo
	s_cbranch_execnz .LBB1369_135
	s_branch .LBB1369_136
	.section	.rodata,"a",@progbits
	.p2align	6, 0x0
	.amdhsa_kernel _ZN7rocprim17ROCPRIM_400000_NS6detail17trampoline_kernelINS0_13select_configILj256ELj13ELNS0_17block_load_methodE3ELS4_3ELS4_3ELNS0_20block_scan_algorithmE0ELj4294967295EEENS1_25partition_config_selectorILNS1_17partition_subalgoE4EjNS0_10empty_typeEbEEZZNS1_14partition_implILS8_4ELb0ES6_15HIP_vector_typeIjLj2EENS0_17counting_iteratorIjlEEPS9_SG_NS0_5tupleIJPjSI_NS0_16reverse_iteratorISI_EEEEENSH_IJSG_SG_SG_EEES9_SI_JZNS1_25segmented_radix_sort_implINS0_14default_configELb0EPKfPfPKlPlN2at6native12_GLOBAL__N_18offset_tEEE10hipError_tPvRmT1_PNSt15iterator_traitsIS12_E10value_typeET2_T3_PNS13_IS18_E10value_typeET4_jRbjT5_S1E_jjP12ihipStream_tbEUljE_ZNSN_ISO_Lb0ESQ_SR_ST_SU_SY_EESZ_S10_S11_S12_S16_S17_S18_S1B_S1C_jS1D_jS1E_S1E_jjS1G_bEUljE0_EEESZ_S10_S11_S18_S1C_S1E_T6_T7_T9_mT8_S1G_bDpT10_ENKUlT_T0_E_clISt17integral_constantIbLb0EES1U_EEDaS1P_S1Q_EUlS1P_E_NS1_11comp_targetILNS1_3genE10ELNS1_11target_archE1200ELNS1_3gpuE4ELNS1_3repE0EEENS1_30default_config_static_selectorELNS0_4arch9wavefront6targetE0EEEvS12_
		.amdhsa_group_segment_fixed_size 13328
		.amdhsa_private_segment_fixed_size 0
		.amdhsa_kernarg_size 176
		.amdhsa_user_sgpr_count 2
		.amdhsa_user_sgpr_dispatch_ptr 0
		.amdhsa_user_sgpr_queue_ptr 0
		.amdhsa_user_sgpr_kernarg_segment_ptr 1
		.amdhsa_user_sgpr_dispatch_id 0
		.amdhsa_user_sgpr_private_segment_size 0
		.amdhsa_wavefront_size32 1
		.amdhsa_uses_dynamic_stack 0
		.amdhsa_enable_private_segment 0
		.amdhsa_system_sgpr_workgroup_id_x 1
		.amdhsa_system_sgpr_workgroup_id_y 0
		.amdhsa_system_sgpr_workgroup_id_z 0
		.amdhsa_system_sgpr_workgroup_info 0
		.amdhsa_system_vgpr_workitem_id 0
		.amdhsa_next_free_vgpr 93
		.amdhsa_next_free_sgpr 58
		.amdhsa_reserve_vcc 1
		.amdhsa_float_round_mode_32 0
		.amdhsa_float_round_mode_16_64 0
		.amdhsa_float_denorm_mode_32 3
		.amdhsa_float_denorm_mode_16_64 3
		.amdhsa_fp16_overflow 0
		.amdhsa_workgroup_processor_mode 1
		.amdhsa_memory_ordered 1
		.amdhsa_forward_progress 1
		.amdhsa_inst_pref_size 148
		.amdhsa_round_robin_scheduling 0
		.amdhsa_exception_fp_ieee_invalid_op 0
		.amdhsa_exception_fp_denorm_src 0
		.amdhsa_exception_fp_ieee_div_zero 0
		.amdhsa_exception_fp_ieee_overflow 0
		.amdhsa_exception_fp_ieee_underflow 0
		.amdhsa_exception_fp_ieee_inexact 0
		.amdhsa_exception_int_div_zero 0
	.end_amdhsa_kernel
	.section	.text._ZN7rocprim17ROCPRIM_400000_NS6detail17trampoline_kernelINS0_13select_configILj256ELj13ELNS0_17block_load_methodE3ELS4_3ELS4_3ELNS0_20block_scan_algorithmE0ELj4294967295EEENS1_25partition_config_selectorILNS1_17partition_subalgoE4EjNS0_10empty_typeEbEEZZNS1_14partition_implILS8_4ELb0ES6_15HIP_vector_typeIjLj2EENS0_17counting_iteratorIjlEEPS9_SG_NS0_5tupleIJPjSI_NS0_16reverse_iteratorISI_EEEEENSH_IJSG_SG_SG_EEES9_SI_JZNS1_25segmented_radix_sort_implINS0_14default_configELb0EPKfPfPKlPlN2at6native12_GLOBAL__N_18offset_tEEE10hipError_tPvRmT1_PNSt15iterator_traitsIS12_E10value_typeET2_T3_PNS13_IS18_E10value_typeET4_jRbjT5_S1E_jjP12ihipStream_tbEUljE_ZNSN_ISO_Lb0ESQ_SR_ST_SU_SY_EESZ_S10_S11_S12_S16_S17_S18_S1B_S1C_jS1D_jS1E_S1E_jjS1G_bEUljE0_EEESZ_S10_S11_S18_S1C_S1E_T6_T7_T9_mT8_S1G_bDpT10_ENKUlT_T0_E_clISt17integral_constantIbLb0EES1U_EEDaS1P_S1Q_EUlS1P_E_NS1_11comp_targetILNS1_3genE10ELNS1_11target_archE1200ELNS1_3gpuE4ELNS1_3repE0EEENS1_30default_config_static_selectorELNS0_4arch9wavefront6targetE0EEEvS12_,"axG",@progbits,_ZN7rocprim17ROCPRIM_400000_NS6detail17trampoline_kernelINS0_13select_configILj256ELj13ELNS0_17block_load_methodE3ELS4_3ELS4_3ELNS0_20block_scan_algorithmE0ELj4294967295EEENS1_25partition_config_selectorILNS1_17partition_subalgoE4EjNS0_10empty_typeEbEEZZNS1_14partition_implILS8_4ELb0ES6_15HIP_vector_typeIjLj2EENS0_17counting_iteratorIjlEEPS9_SG_NS0_5tupleIJPjSI_NS0_16reverse_iteratorISI_EEEEENSH_IJSG_SG_SG_EEES9_SI_JZNS1_25segmented_radix_sort_implINS0_14default_configELb0EPKfPfPKlPlN2at6native12_GLOBAL__N_18offset_tEEE10hipError_tPvRmT1_PNSt15iterator_traitsIS12_E10value_typeET2_T3_PNS13_IS18_E10value_typeET4_jRbjT5_S1E_jjP12ihipStream_tbEUljE_ZNSN_ISO_Lb0ESQ_SR_ST_SU_SY_EESZ_S10_S11_S12_S16_S17_S18_S1B_S1C_jS1D_jS1E_S1E_jjS1G_bEUljE0_EEESZ_S10_S11_S18_S1C_S1E_T6_T7_T9_mT8_S1G_bDpT10_ENKUlT_T0_E_clISt17integral_constantIbLb0EES1U_EEDaS1P_S1Q_EUlS1P_E_NS1_11comp_targetILNS1_3genE10ELNS1_11target_archE1200ELNS1_3gpuE4ELNS1_3repE0EEENS1_30default_config_static_selectorELNS0_4arch9wavefront6targetE0EEEvS12_,comdat
.Lfunc_end1369:
	.size	_ZN7rocprim17ROCPRIM_400000_NS6detail17trampoline_kernelINS0_13select_configILj256ELj13ELNS0_17block_load_methodE3ELS4_3ELS4_3ELNS0_20block_scan_algorithmE0ELj4294967295EEENS1_25partition_config_selectorILNS1_17partition_subalgoE4EjNS0_10empty_typeEbEEZZNS1_14partition_implILS8_4ELb0ES6_15HIP_vector_typeIjLj2EENS0_17counting_iteratorIjlEEPS9_SG_NS0_5tupleIJPjSI_NS0_16reverse_iteratorISI_EEEEENSH_IJSG_SG_SG_EEES9_SI_JZNS1_25segmented_radix_sort_implINS0_14default_configELb0EPKfPfPKlPlN2at6native12_GLOBAL__N_18offset_tEEE10hipError_tPvRmT1_PNSt15iterator_traitsIS12_E10value_typeET2_T3_PNS13_IS18_E10value_typeET4_jRbjT5_S1E_jjP12ihipStream_tbEUljE_ZNSN_ISO_Lb0ESQ_SR_ST_SU_SY_EESZ_S10_S11_S12_S16_S17_S18_S1B_S1C_jS1D_jS1E_S1E_jjS1G_bEUljE0_EEESZ_S10_S11_S18_S1C_S1E_T6_T7_T9_mT8_S1G_bDpT10_ENKUlT_T0_E_clISt17integral_constantIbLb0EES1U_EEDaS1P_S1Q_EUlS1P_E_NS1_11comp_targetILNS1_3genE10ELNS1_11target_archE1200ELNS1_3gpuE4ELNS1_3repE0EEENS1_30default_config_static_selectorELNS0_4arch9wavefront6targetE0EEEvS12_, .Lfunc_end1369-_ZN7rocprim17ROCPRIM_400000_NS6detail17trampoline_kernelINS0_13select_configILj256ELj13ELNS0_17block_load_methodE3ELS4_3ELS4_3ELNS0_20block_scan_algorithmE0ELj4294967295EEENS1_25partition_config_selectorILNS1_17partition_subalgoE4EjNS0_10empty_typeEbEEZZNS1_14partition_implILS8_4ELb0ES6_15HIP_vector_typeIjLj2EENS0_17counting_iteratorIjlEEPS9_SG_NS0_5tupleIJPjSI_NS0_16reverse_iteratorISI_EEEEENSH_IJSG_SG_SG_EEES9_SI_JZNS1_25segmented_radix_sort_implINS0_14default_configELb0EPKfPfPKlPlN2at6native12_GLOBAL__N_18offset_tEEE10hipError_tPvRmT1_PNSt15iterator_traitsIS12_E10value_typeET2_T3_PNS13_IS18_E10value_typeET4_jRbjT5_S1E_jjP12ihipStream_tbEUljE_ZNSN_ISO_Lb0ESQ_SR_ST_SU_SY_EESZ_S10_S11_S12_S16_S17_S18_S1B_S1C_jS1D_jS1E_S1E_jjS1G_bEUljE0_EEESZ_S10_S11_S18_S1C_S1E_T6_T7_T9_mT8_S1G_bDpT10_ENKUlT_T0_E_clISt17integral_constantIbLb0EES1U_EEDaS1P_S1Q_EUlS1P_E_NS1_11comp_targetILNS1_3genE10ELNS1_11target_archE1200ELNS1_3gpuE4ELNS1_3repE0EEENS1_30default_config_static_selectorELNS0_4arch9wavefront6targetE0EEEvS12_
                                        ; -- End function
	.set _ZN7rocprim17ROCPRIM_400000_NS6detail17trampoline_kernelINS0_13select_configILj256ELj13ELNS0_17block_load_methodE3ELS4_3ELS4_3ELNS0_20block_scan_algorithmE0ELj4294967295EEENS1_25partition_config_selectorILNS1_17partition_subalgoE4EjNS0_10empty_typeEbEEZZNS1_14partition_implILS8_4ELb0ES6_15HIP_vector_typeIjLj2EENS0_17counting_iteratorIjlEEPS9_SG_NS0_5tupleIJPjSI_NS0_16reverse_iteratorISI_EEEEENSH_IJSG_SG_SG_EEES9_SI_JZNS1_25segmented_radix_sort_implINS0_14default_configELb0EPKfPfPKlPlN2at6native12_GLOBAL__N_18offset_tEEE10hipError_tPvRmT1_PNSt15iterator_traitsIS12_E10value_typeET2_T3_PNS13_IS18_E10value_typeET4_jRbjT5_S1E_jjP12ihipStream_tbEUljE_ZNSN_ISO_Lb0ESQ_SR_ST_SU_SY_EESZ_S10_S11_S12_S16_S17_S18_S1B_S1C_jS1D_jS1E_S1E_jjS1G_bEUljE0_EEESZ_S10_S11_S18_S1C_S1E_T6_T7_T9_mT8_S1G_bDpT10_ENKUlT_T0_E_clISt17integral_constantIbLb0EES1U_EEDaS1P_S1Q_EUlS1P_E_NS1_11comp_targetILNS1_3genE10ELNS1_11target_archE1200ELNS1_3gpuE4ELNS1_3repE0EEENS1_30default_config_static_selectorELNS0_4arch9wavefront6targetE0EEEvS12_.num_vgpr, 93
	.set _ZN7rocprim17ROCPRIM_400000_NS6detail17trampoline_kernelINS0_13select_configILj256ELj13ELNS0_17block_load_methodE3ELS4_3ELS4_3ELNS0_20block_scan_algorithmE0ELj4294967295EEENS1_25partition_config_selectorILNS1_17partition_subalgoE4EjNS0_10empty_typeEbEEZZNS1_14partition_implILS8_4ELb0ES6_15HIP_vector_typeIjLj2EENS0_17counting_iteratorIjlEEPS9_SG_NS0_5tupleIJPjSI_NS0_16reverse_iteratorISI_EEEEENSH_IJSG_SG_SG_EEES9_SI_JZNS1_25segmented_radix_sort_implINS0_14default_configELb0EPKfPfPKlPlN2at6native12_GLOBAL__N_18offset_tEEE10hipError_tPvRmT1_PNSt15iterator_traitsIS12_E10value_typeET2_T3_PNS13_IS18_E10value_typeET4_jRbjT5_S1E_jjP12ihipStream_tbEUljE_ZNSN_ISO_Lb0ESQ_SR_ST_SU_SY_EESZ_S10_S11_S12_S16_S17_S18_S1B_S1C_jS1D_jS1E_S1E_jjS1G_bEUljE0_EEESZ_S10_S11_S18_S1C_S1E_T6_T7_T9_mT8_S1G_bDpT10_ENKUlT_T0_E_clISt17integral_constantIbLb0EES1U_EEDaS1P_S1Q_EUlS1P_E_NS1_11comp_targetILNS1_3genE10ELNS1_11target_archE1200ELNS1_3gpuE4ELNS1_3repE0EEENS1_30default_config_static_selectorELNS0_4arch9wavefront6targetE0EEEvS12_.num_agpr, 0
	.set _ZN7rocprim17ROCPRIM_400000_NS6detail17trampoline_kernelINS0_13select_configILj256ELj13ELNS0_17block_load_methodE3ELS4_3ELS4_3ELNS0_20block_scan_algorithmE0ELj4294967295EEENS1_25partition_config_selectorILNS1_17partition_subalgoE4EjNS0_10empty_typeEbEEZZNS1_14partition_implILS8_4ELb0ES6_15HIP_vector_typeIjLj2EENS0_17counting_iteratorIjlEEPS9_SG_NS0_5tupleIJPjSI_NS0_16reverse_iteratorISI_EEEEENSH_IJSG_SG_SG_EEES9_SI_JZNS1_25segmented_radix_sort_implINS0_14default_configELb0EPKfPfPKlPlN2at6native12_GLOBAL__N_18offset_tEEE10hipError_tPvRmT1_PNSt15iterator_traitsIS12_E10value_typeET2_T3_PNS13_IS18_E10value_typeET4_jRbjT5_S1E_jjP12ihipStream_tbEUljE_ZNSN_ISO_Lb0ESQ_SR_ST_SU_SY_EESZ_S10_S11_S12_S16_S17_S18_S1B_S1C_jS1D_jS1E_S1E_jjS1G_bEUljE0_EEESZ_S10_S11_S18_S1C_S1E_T6_T7_T9_mT8_S1G_bDpT10_ENKUlT_T0_E_clISt17integral_constantIbLb0EES1U_EEDaS1P_S1Q_EUlS1P_E_NS1_11comp_targetILNS1_3genE10ELNS1_11target_archE1200ELNS1_3gpuE4ELNS1_3repE0EEENS1_30default_config_static_selectorELNS0_4arch9wavefront6targetE0EEEvS12_.numbered_sgpr, 58
	.set _ZN7rocprim17ROCPRIM_400000_NS6detail17trampoline_kernelINS0_13select_configILj256ELj13ELNS0_17block_load_methodE3ELS4_3ELS4_3ELNS0_20block_scan_algorithmE0ELj4294967295EEENS1_25partition_config_selectorILNS1_17partition_subalgoE4EjNS0_10empty_typeEbEEZZNS1_14partition_implILS8_4ELb0ES6_15HIP_vector_typeIjLj2EENS0_17counting_iteratorIjlEEPS9_SG_NS0_5tupleIJPjSI_NS0_16reverse_iteratorISI_EEEEENSH_IJSG_SG_SG_EEES9_SI_JZNS1_25segmented_radix_sort_implINS0_14default_configELb0EPKfPfPKlPlN2at6native12_GLOBAL__N_18offset_tEEE10hipError_tPvRmT1_PNSt15iterator_traitsIS12_E10value_typeET2_T3_PNS13_IS18_E10value_typeET4_jRbjT5_S1E_jjP12ihipStream_tbEUljE_ZNSN_ISO_Lb0ESQ_SR_ST_SU_SY_EESZ_S10_S11_S12_S16_S17_S18_S1B_S1C_jS1D_jS1E_S1E_jjS1G_bEUljE0_EEESZ_S10_S11_S18_S1C_S1E_T6_T7_T9_mT8_S1G_bDpT10_ENKUlT_T0_E_clISt17integral_constantIbLb0EES1U_EEDaS1P_S1Q_EUlS1P_E_NS1_11comp_targetILNS1_3genE10ELNS1_11target_archE1200ELNS1_3gpuE4ELNS1_3repE0EEENS1_30default_config_static_selectorELNS0_4arch9wavefront6targetE0EEEvS12_.num_named_barrier, 0
	.set _ZN7rocprim17ROCPRIM_400000_NS6detail17trampoline_kernelINS0_13select_configILj256ELj13ELNS0_17block_load_methodE3ELS4_3ELS4_3ELNS0_20block_scan_algorithmE0ELj4294967295EEENS1_25partition_config_selectorILNS1_17partition_subalgoE4EjNS0_10empty_typeEbEEZZNS1_14partition_implILS8_4ELb0ES6_15HIP_vector_typeIjLj2EENS0_17counting_iteratorIjlEEPS9_SG_NS0_5tupleIJPjSI_NS0_16reverse_iteratorISI_EEEEENSH_IJSG_SG_SG_EEES9_SI_JZNS1_25segmented_radix_sort_implINS0_14default_configELb0EPKfPfPKlPlN2at6native12_GLOBAL__N_18offset_tEEE10hipError_tPvRmT1_PNSt15iterator_traitsIS12_E10value_typeET2_T3_PNS13_IS18_E10value_typeET4_jRbjT5_S1E_jjP12ihipStream_tbEUljE_ZNSN_ISO_Lb0ESQ_SR_ST_SU_SY_EESZ_S10_S11_S12_S16_S17_S18_S1B_S1C_jS1D_jS1E_S1E_jjS1G_bEUljE0_EEESZ_S10_S11_S18_S1C_S1E_T6_T7_T9_mT8_S1G_bDpT10_ENKUlT_T0_E_clISt17integral_constantIbLb0EES1U_EEDaS1P_S1Q_EUlS1P_E_NS1_11comp_targetILNS1_3genE10ELNS1_11target_archE1200ELNS1_3gpuE4ELNS1_3repE0EEENS1_30default_config_static_selectorELNS0_4arch9wavefront6targetE0EEEvS12_.private_seg_size, 0
	.set _ZN7rocprim17ROCPRIM_400000_NS6detail17trampoline_kernelINS0_13select_configILj256ELj13ELNS0_17block_load_methodE3ELS4_3ELS4_3ELNS0_20block_scan_algorithmE0ELj4294967295EEENS1_25partition_config_selectorILNS1_17partition_subalgoE4EjNS0_10empty_typeEbEEZZNS1_14partition_implILS8_4ELb0ES6_15HIP_vector_typeIjLj2EENS0_17counting_iteratorIjlEEPS9_SG_NS0_5tupleIJPjSI_NS0_16reverse_iteratorISI_EEEEENSH_IJSG_SG_SG_EEES9_SI_JZNS1_25segmented_radix_sort_implINS0_14default_configELb0EPKfPfPKlPlN2at6native12_GLOBAL__N_18offset_tEEE10hipError_tPvRmT1_PNSt15iterator_traitsIS12_E10value_typeET2_T3_PNS13_IS18_E10value_typeET4_jRbjT5_S1E_jjP12ihipStream_tbEUljE_ZNSN_ISO_Lb0ESQ_SR_ST_SU_SY_EESZ_S10_S11_S12_S16_S17_S18_S1B_S1C_jS1D_jS1E_S1E_jjS1G_bEUljE0_EEESZ_S10_S11_S18_S1C_S1E_T6_T7_T9_mT8_S1G_bDpT10_ENKUlT_T0_E_clISt17integral_constantIbLb0EES1U_EEDaS1P_S1Q_EUlS1P_E_NS1_11comp_targetILNS1_3genE10ELNS1_11target_archE1200ELNS1_3gpuE4ELNS1_3repE0EEENS1_30default_config_static_selectorELNS0_4arch9wavefront6targetE0EEEvS12_.uses_vcc, 1
	.set _ZN7rocprim17ROCPRIM_400000_NS6detail17trampoline_kernelINS0_13select_configILj256ELj13ELNS0_17block_load_methodE3ELS4_3ELS4_3ELNS0_20block_scan_algorithmE0ELj4294967295EEENS1_25partition_config_selectorILNS1_17partition_subalgoE4EjNS0_10empty_typeEbEEZZNS1_14partition_implILS8_4ELb0ES6_15HIP_vector_typeIjLj2EENS0_17counting_iteratorIjlEEPS9_SG_NS0_5tupleIJPjSI_NS0_16reverse_iteratorISI_EEEEENSH_IJSG_SG_SG_EEES9_SI_JZNS1_25segmented_radix_sort_implINS0_14default_configELb0EPKfPfPKlPlN2at6native12_GLOBAL__N_18offset_tEEE10hipError_tPvRmT1_PNSt15iterator_traitsIS12_E10value_typeET2_T3_PNS13_IS18_E10value_typeET4_jRbjT5_S1E_jjP12ihipStream_tbEUljE_ZNSN_ISO_Lb0ESQ_SR_ST_SU_SY_EESZ_S10_S11_S12_S16_S17_S18_S1B_S1C_jS1D_jS1E_S1E_jjS1G_bEUljE0_EEESZ_S10_S11_S18_S1C_S1E_T6_T7_T9_mT8_S1G_bDpT10_ENKUlT_T0_E_clISt17integral_constantIbLb0EES1U_EEDaS1P_S1Q_EUlS1P_E_NS1_11comp_targetILNS1_3genE10ELNS1_11target_archE1200ELNS1_3gpuE4ELNS1_3repE0EEENS1_30default_config_static_selectorELNS0_4arch9wavefront6targetE0EEEvS12_.uses_flat_scratch, 0
	.set _ZN7rocprim17ROCPRIM_400000_NS6detail17trampoline_kernelINS0_13select_configILj256ELj13ELNS0_17block_load_methodE3ELS4_3ELS4_3ELNS0_20block_scan_algorithmE0ELj4294967295EEENS1_25partition_config_selectorILNS1_17partition_subalgoE4EjNS0_10empty_typeEbEEZZNS1_14partition_implILS8_4ELb0ES6_15HIP_vector_typeIjLj2EENS0_17counting_iteratorIjlEEPS9_SG_NS0_5tupleIJPjSI_NS0_16reverse_iteratorISI_EEEEENSH_IJSG_SG_SG_EEES9_SI_JZNS1_25segmented_radix_sort_implINS0_14default_configELb0EPKfPfPKlPlN2at6native12_GLOBAL__N_18offset_tEEE10hipError_tPvRmT1_PNSt15iterator_traitsIS12_E10value_typeET2_T3_PNS13_IS18_E10value_typeET4_jRbjT5_S1E_jjP12ihipStream_tbEUljE_ZNSN_ISO_Lb0ESQ_SR_ST_SU_SY_EESZ_S10_S11_S12_S16_S17_S18_S1B_S1C_jS1D_jS1E_S1E_jjS1G_bEUljE0_EEESZ_S10_S11_S18_S1C_S1E_T6_T7_T9_mT8_S1G_bDpT10_ENKUlT_T0_E_clISt17integral_constantIbLb0EES1U_EEDaS1P_S1Q_EUlS1P_E_NS1_11comp_targetILNS1_3genE10ELNS1_11target_archE1200ELNS1_3gpuE4ELNS1_3repE0EEENS1_30default_config_static_selectorELNS0_4arch9wavefront6targetE0EEEvS12_.has_dyn_sized_stack, 0
	.set _ZN7rocprim17ROCPRIM_400000_NS6detail17trampoline_kernelINS0_13select_configILj256ELj13ELNS0_17block_load_methodE3ELS4_3ELS4_3ELNS0_20block_scan_algorithmE0ELj4294967295EEENS1_25partition_config_selectorILNS1_17partition_subalgoE4EjNS0_10empty_typeEbEEZZNS1_14partition_implILS8_4ELb0ES6_15HIP_vector_typeIjLj2EENS0_17counting_iteratorIjlEEPS9_SG_NS0_5tupleIJPjSI_NS0_16reverse_iteratorISI_EEEEENSH_IJSG_SG_SG_EEES9_SI_JZNS1_25segmented_radix_sort_implINS0_14default_configELb0EPKfPfPKlPlN2at6native12_GLOBAL__N_18offset_tEEE10hipError_tPvRmT1_PNSt15iterator_traitsIS12_E10value_typeET2_T3_PNS13_IS18_E10value_typeET4_jRbjT5_S1E_jjP12ihipStream_tbEUljE_ZNSN_ISO_Lb0ESQ_SR_ST_SU_SY_EESZ_S10_S11_S12_S16_S17_S18_S1B_S1C_jS1D_jS1E_S1E_jjS1G_bEUljE0_EEESZ_S10_S11_S18_S1C_S1E_T6_T7_T9_mT8_S1G_bDpT10_ENKUlT_T0_E_clISt17integral_constantIbLb0EES1U_EEDaS1P_S1Q_EUlS1P_E_NS1_11comp_targetILNS1_3genE10ELNS1_11target_archE1200ELNS1_3gpuE4ELNS1_3repE0EEENS1_30default_config_static_selectorELNS0_4arch9wavefront6targetE0EEEvS12_.has_recursion, 0
	.set _ZN7rocprim17ROCPRIM_400000_NS6detail17trampoline_kernelINS0_13select_configILj256ELj13ELNS0_17block_load_methodE3ELS4_3ELS4_3ELNS0_20block_scan_algorithmE0ELj4294967295EEENS1_25partition_config_selectorILNS1_17partition_subalgoE4EjNS0_10empty_typeEbEEZZNS1_14partition_implILS8_4ELb0ES6_15HIP_vector_typeIjLj2EENS0_17counting_iteratorIjlEEPS9_SG_NS0_5tupleIJPjSI_NS0_16reverse_iteratorISI_EEEEENSH_IJSG_SG_SG_EEES9_SI_JZNS1_25segmented_radix_sort_implINS0_14default_configELb0EPKfPfPKlPlN2at6native12_GLOBAL__N_18offset_tEEE10hipError_tPvRmT1_PNSt15iterator_traitsIS12_E10value_typeET2_T3_PNS13_IS18_E10value_typeET4_jRbjT5_S1E_jjP12ihipStream_tbEUljE_ZNSN_ISO_Lb0ESQ_SR_ST_SU_SY_EESZ_S10_S11_S12_S16_S17_S18_S1B_S1C_jS1D_jS1E_S1E_jjS1G_bEUljE0_EEESZ_S10_S11_S18_S1C_S1E_T6_T7_T9_mT8_S1G_bDpT10_ENKUlT_T0_E_clISt17integral_constantIbLb0EES1U_EEDaS1P_S1Q_EUlS1P_E_NS1_11comp_targetILNS1_3genE10ELNS1_11target_archE1200ELNS1_3gpuE4ELNS1_3repE0EEENS1_30default_config_static_selectorELNS0_4arch9wavefront6targetE0EEEvS12_.has_indirect_call, 0
	.section	.AMDGPU.csdata,"",@progbits
; Kernel info:
; codeLenInByte = 18900
; TotalNumSgprs: 60
; NumVgprs: 93
; ScratchSize: 0
; MemoryBound: 0
; FloatMode: 240
; IeeeMode: 1
; LDSByteSize: 13328 bytes/workgroup (compile time only)
; SGPRBlocks: 0
; VGPRBlocks: 11
; NumSGPRsForWavesPerEU: 60
; NumVGPRsForWavesPerEU: 93
; Occupancy: 16
; WaveLimiterHint : 1
; COMPUTE_PGM_RSRC2:SCRATCH_EN: 0
; COMPUTE_PGM_RSRC2:USER_SGPR: 2
; COMPUTE_PGM_RSRC2:TRAP_HANDLER: 0
; COMPUTE_PGM_RSRC2:TGID_X_EN: 1
; COMPUTE_PGM_RSRC2:TGID_Y_EN: 0
; COMPUTE_PGM_RSRC2:TGID_Z_EN: 0
; COMPUTE_PGM_RSRC2:TIDIG_COMP_CNT: 0
	.section	.text._ZN7rocprim17ROCPRIM_400000_NS6detail17trampoline_kernelINS0_13select_configILj256ELj13ELNS0_17block_load_methodE3ELS4_3ELS4_3ELNS0_20block_scan_algorithmE0ELj4294967295EEENS1_25partition_config_selectorILNS1_17partition_subalgoE4EjNS0_10empty_typeEbEEZZNS1_14partition_implILS8_4ELb0ES6_15HIP_vector_typeIjLj2EENS0_17counting_iteratorIjlEEPS9_SG_NS0_5tupleIJPjSI_NS0_16reverse_iteratorISI_EEEEENSH_IJSG_SG_SG_EEES9_SI_JZNS1_25segmented_radix_sort_implINS0_14default_configELb0EPKfPfPKlPlN2at6native12_GLOBAL__N_18offset_tEEE10hipError_tPvRmT1_PNSt15iterator_traitsIS12_E10value_typeET2_T3_PNS13_IS18_E10value_typeET4_jRbjT5_S1E_jjP12ihipStream_tbEUljE_ZNSN_ISO_Lb0ESQ_SR_ST_SU_SY_EESZ_S10_S11_S12_S16_S17_S18_S1B_S1C_jS1D_jS1E_S1E_jjS1G_bEUljE0_EEESZ_S10_S11_S18_S1C_S1E_T6_T7_T9_mT8_S1G_bDpT10_ENKUlT_T0_E_clISt17integral_constantIbLb0EES1U_EEDaS1P_S1Q_EUlS1P_E_NS1_11comp_targetILNS1_3genE9ELNS1_11target_archE1100ELNS1_3gpuE3ELNS1_3repE0EEENS1_30default_config_static_selectorELNS0_4arch9wavefront6targetE0EEEvS12_,"axG",@progbits,_ZN7rocprim17ROCPRIM_400000_NS6detail17trampoline_kernelINS0_13select_configILj256ELj13ELNS0_17block_load_methodE3ELS4_3ELS4_3ELNS0_20block_scan_algorithmE0ELj4294967295EEENS1_25partition_config_selectorILNS1_17partition_subalgoE4EjNS0_10empty_typeEbEEZZNS1_14partition_implILS8_4ELb0ES6_15HIP_vector_typeIjLj2EENS0_17counting_iteratorIjlEEPS9_SG_NS0_5tupleIJPjSI_NS0_16reverse_iteratorISI_EEEEENSH_IJSG_SG_SG_EEES9_SI_JZNS1_25segmented_radix_sort_implINS0_14default_configELb0EPKfPfPKlPlN2at6native12_GLOBAL__N_18offset_tEEE10hipError_tPvRmT1_PNSt15iterator_traitsIS12_E10value_typeET2_T3_PNS13_IS18_E10value_typeET4_jRbjT5_S1E_jjP12ihipStream_tbEUljE_ZNSN_ISO_Lb0ESQ_SR_ST_SU_SY_EESZ_S10_S11_S12_S16_S17_S18_S1B_S1C_jS1D_jS1E_S1E_jjS1G_bEUljE0_EEESZ_S10_S11_S18_S1C_S1E_T6_T7_T9_mT8_S1G_bDpT10_ENKUlT_T0_E_clISt17integral_constantIbLb0EES1U_EEDaS1P_S1Q_EUlS1P_E_NS1_11comp_targetILNS1_3genE9ELNS1_11target_archE1100ELNS1_3gpuE3ELNS1_3repE0EEENS1_30default_config_static_selectorELNS0_4arch9wavefront6targetE0EEEvS12_,comdat
	.globl	_ZN7rocprim17ROCPRIM_400000_NS6detail17trampoline_kernelINS0_13select_configILj256ELj13ELNS0_17block_load_methodE3ELS4_3ELS4_3ELNS0_20block_scan_algorithmE0ELj4294967295EEENS1_25partition_config_selectorILNS1_17partition_subalgoE4EjNS0_10empty_typeEbEEZZNS1_14partition_implILS8_4ELb0ES6_15HIP_vector_typeIjLj2EENS0_17counting_iteratorIjlEEPS9_SG_NS0_5tupleIJPjSI_NS0_16reverse_iteratorISI_EEEEENSH_IJSG_SG_SG_EEES9_SI_JZNS1_25segmented_radix_sort_implINS0_14default_configELb0EPKfPfPKlPlN2at6native12_GLOBAL__N_18offset_tEEE10hipError_tPvRmT1_PNSt15iterator_traitsIS12_E10value_typeET2_T3_PNS13_IS18_E10value_typeET4_jRbjT5_S1E_jjP12ihipStream_tbEUljE_ZNSN_ISO_Lb0ESQ_SR_ST_SU_SY_EESZ_S10_S11_S12_S16_S17_S18_S1B_S1C_jS1D_jS1E_S1E_jjS1G_bEUljE0_EEESZ_S10_S11_S18_S1C_S1E_T6_T7_T9_mT8_S1G_bDpT10_ENKUlT_T0_E_clISt17integral_constantIbLb0EES1U_EEDaS1P_S1Q_EUlS1P_E_NS1_11comp_targetILNS1_3genE9ELNS1_11target_archE1100ELNS1_3gpuE3ELNS1_3repE0EEENS1_30default_config_static_selectorELNS0_4arch9wavefront6targetE0EEEvS12_ ; -- Begin function _ZN7rocprim17ROCPRIM_400000_NS6detail17trampoline_kernelINS0_13select_configILj256ELj13ELNS0_17block_load_methodE3ELS4_3ELS4_3ELNS0_20block_scan_algorithmE0ELj4294967295EEENS1_25partition_config_selectorILNS1_17partition_subalgoE4EjNS0_10empty_typeEbEEZZNS1_14partition_implILS8_4ELb0ES6_15HIP_vector_typeIjLj2EENS0_17counting_iteratorIjlEEPS9_SG_NS0_5tupleIJPjSI_NS0_16reverse_iteratorISI_EEEEENSH_IJSG_SG_SG_EEES9_SI_JZNS1_25segmented_radix_sort_implINS0_14default_configELb0EPKfPfPKlPlN2at6native12_GLOBAL__N_18offset_tEEE10hipError_tPvRmT1_PNSt15iterator_traitsIS12_E10value_typeET2_T3_PNS13_IS18_E10value_typeET4_jRbjT5_S1E_jjP12ihipStream_tbEUljE_ZNSN_ISO_Lb0ESQ_SR_ST_SU_SY_EESZ_S10_S11_S12_S16_S17_S18_S1B_S1C_jS1D_jS1E_S1E_jjS1G_bEUljE0_EEESZ_S10_S11_S18_S1C_S1E_T6_T7_T9_mT8_S1G_bDpT10_ENKUlT_T0_E_clISt17integral_constantIbLb0EES1U_EEDaS1P_S1Q_EUlS1P_E_NS1_11comp_targetILNS1_3genE9ELNS1_11target_archE1100ELNS1_3gpuE3ELNS1_3repE0EEENS1_30default_config_static_selectorELNS0_4arch9wavefront6targetE0EEEvS12_
	.p2align	8
	.type	_ZN7rocprim17ROCPRIM_400000_NS6detail17trampoline_kernelINS0_13select_configILj256ELj13ELNS0_17block_load_methodE3ELS4_3ELS4_3ELNS0_20block_scan_algorithmE0ELj4294967295EEENS1_25partition_config_selectorILNS1_17partition_subalgoE4EjNS0_10empty_typeEbEEZZNS1_14partition_implILS8_4ELb0ES6_15HIP_vector_typeIjLj2EENS0_17counting_iteratorIjlEEPS9_SG_NS0_5tupleIJPjSI_NS0_16reverse_iteratorISI_EEEEENSH_IJSG_SG_SG_EEES9_SI_JZNS1_25segmented_radix_sort_implINS0_14default_configELb0EPKfPfPKlPlN2at6native12_GLOBAL__N_18offset_tEEE10hipError_tPvRmT1_PNSt15iterator_traitsIS12_E10value_typeET2_T3_PNS13_IS18_E10value_typeET4_jRbjT5_S1E_jjP12ihipStream_tbEUljE_ZNSN_ISO_Lb0ESQ_SR_ST_SU_SY_EESZ_S10_S11_S12_S16_S17_S18_S1B_S1C_jS1D_jS1E_S1E_jjS1G_bEUljE0_EEESZ_S10_S11_S18_S1C_S1E_T6_T7_T9_mT8_S1G_bDpT10_ENKUlT_T0_E_clISt17integral_constantIbLb0EES1U_EEDaS1P_S1Q_EUlS1P_E_NS1_11comp_targetILNS1_3genE9ELNS1_11target_archE1100ELNS1_3gpuE3ELNS1_3repE0EEENS1_30default_config_static_selectorELNS0_4arch9wavefront6targetE0EEEvS12_,@function
_ZN7rocprim17ROCPRIM_400000_NS6detail17trampoline_kernelINS0_13select_configILj256ELj13ELNS0_17block_load_methodE3ELS4_3ELS4_3ELNS0_20block_scan_algorithmE0ELj4294967295EEENS1_25partition_config_selectorILNS1_17partition_subalgoE4EjNS0_10empty_typeEbEEZZNS1_14partition_implILS8_4ELb0ES6_15HIP_vector_typeIjLj2EENS0_17counting_iteratorIjlEEPS9_SG_NS0_5tupleIJPjSI_NS0_16reverse_iteratorISI_EEEEENSH_IJSG_SG_SG_EEES9_SI_JZNS1_25segmented_radix_sort_implINS0_14default_configELb0EPKfPfPKlPlN2at6native12_GLOBAL__N_18offset_tEEE10hipError_tPvRmT1_PNSt15iterator_traitsIS12_E10value_typeET2_T3_PNS13_IS18_E10value_typeET4_jRbjT5_S1E_jjP12ihipStream_tbEUljE_ZNSN_ISO_Lb0ESQ_SR_ST_SU_SY_EESZ_S10_S11_S12_S16_S17_S18_S1B_S1C_jS1D_jS1E_S1E_jjS1G_bEUljE0_EEESZ_S10_S11_S18_S1C_S1E_T6_T7_T9_mT8_S1G_bDpT10_ENKUlT_T0_E_clISt17integral_constantIbLb0EES1U_EEDaS1P_S1Q_EUlS1P_E_NS1_11comp_targetILNS1_3genE9ELNS1_11target_archE1100ELNS1_3gpuE3ELNS1_3repE0EEENS1_30default_config_static_selectorELNS0_4arch9wavefront6targetE0EEEvS12_: ; @_ZN7rocprim17ROCPRIM_400000_NS6detail17trampoline_kernelINS0_13select_configILj256ELj13ELNS0_17block_load_methodE3ELS4_3ELS4_3ELNS0_20block_scan_algorithmE0ELj4294967295EEENS1_25partition_config_selectorILNS1_17partition_subalgoE4EjNS0_10empty_typeEbEEZZNS1_14partition_implILS8_4ELb0ES6_15HIP_vector_typeIjLj2EENS0_17counting_iteratorIjlEEPS9_SG_NS0_5tupleIJPjSI_NS0_16reverse_iteratorISI_EEEEENSH_IJSG_SG_SG_EEES9_SI_JZNS1_25segmented_radix_sort_implINS0_14default_configELb0EPKfPfPKlPlN2at6native12_GLOBAL__N_18offset_tEEE10hipError_tPvRmT1_PNSt15iterator_traitsIS12_E10value_typeET2_T3_PNS13_IS18_E10value_typeET4_jRbjT5_S1E_jjP12ihipStream_tbEUljE_ZNSN_ISO_Lb0ESQ_SR_ST_SU_SY_EESZ_S10_S11_S12_S16_S17_S18_S1B_S1C_jS1D_jS1E_S1E_jjS1G_bEUljE0_EEESZ_S10_S11_S18_S1C_S1E_T6_T7_T9_mT8_S1G_bDpT10_ENKUlT_T0_E_clISt17integral_constantIbLb0EES1U_EEDaS1P_S1Q_EUlS1P_E_NS1_11comp_targetILNS1_3genE9ELNS1_11target_archE1100ELNS1_3gpuE3ELNS1_3repE0EEENS1_30default_config_static_selectorELNS0_4arch9wavefront6targetE0EEEvS12_
; %bb.0:
	.section	.rodata,"a",@progbits
	.p2align	6, 0x0
	.amdhsa_kernel _ZN7rocprim17ROCPRIM_400000_NS6detail17trampoline_kernelINS0_13select_configILj256ELj13ELNS0_17block_load_methodE3ELS4_3ELS4_3ELNS0_20block_scan_algorithmE0ELj4294967295EEENS1_25partition_config_selectorILNS1_17partition_subalgoE4EjNS0_10empty_typeEbEEZZNS1_14partition_implILS8_4ELb0ES6_15HIP_vector_typeIjLj2EENS0_17counting_iteratorIjlEEPS9_SG_NS0_5tupleIJPjSI_NS0_16reverse_iteratorISI_EEEEENSH_IJSG_SG_SG_EEES9_SI_JZNS1_25segmented_radix_sort_implINS0_14default_configELb0EPKfPfPKlPlN2at6native12_GLOBAL__N_18offset_tEEE10hipError_tPvRmT1_PNSt15iterator_traitsIS12_E10value_typeET2_T3_PNS13_IS18_E10value_typeET4_jRbjT5_S1E_jjP12ihipStream_tbEUljE_ZNSN_ISO_Lb0ESQ_SR_ST_SU_SY_EESZ_S10_S11_S12_S16_S17_S18_S1B_S1C_jS1D_jS1E_S1E_jjS1G_bEUljE0_EEESZ_S10_S11_S18_S1C_S1E_T6_T7_T9_mT8_S1G_bDpT10_ENKUlT_T0_E_clISt17integral_constantIbLb0EES1U_EEDaS1P_S1Q_EUlS1P_E_NS1_11comp_targetILNS1_3genE9ELNS1_11target_archE1100ELNS1_3gpuE3ELNS1_3repE0EEENS1_30default_config_static_selectorELNS0_4arch9wavefront6targetE0EEEvS12_
		.amdhsa_group_segment_fixed_size 0
		.amdhsa_private_segment_fixed_size 0
		.amdhsa_kernarg_size 176
		.amdhsa_user_sgpr_count 2
		.amdhsa_user_sgpr_dispatch_ptr 0
		.amdhsa_user_sgpr_queue_ptr 0
		.amdhsa_user_sgpr_kernarg_segment_ptr 1
		.amdhsa_user_sgpr_dispatch_id 0
		.amdhsa_user_sgpr_private_segment_size 0
		.amdhsa_wavefront_size32 1
		.amdhsa_uses_dynamic_stack 0
		.amdhsa_enable_private_segment 0
		.amdhsa_system_sgpr_workgroup_id_x 1
		.amdhsa_system_sgpr_workgroup_id_y 0
		.amdhsa_system_sgpr_workgroup_id_z 0
		.amdhsa_system_sgpr_workgroup_info 0
		.amdhsa_system_vgpr_workitem_id 0
		.amdhsa_next_free_vgpr 1
		.amdhsa_next_free_sgpr 1
		.amdhsa_reserve_vcc 0
		.amdhsa_float_round_mode_32 0
		.amdhsa_float_round_mode_16_64 0
		.amdhsa_float_denorm_mode_32 3
		.amdhsa_float_denorm_mode_16_64 3
		.amdhsa_fp16_overflow 0
		.amdhsa_workgroup_processor_mode 1
		.amdhsa_memory_ordered 1
		.amdhsa_forward_progress 1
		.amdhsa_inst_pref_size 0
		.amdhsa_round_robin_scheduling 0
		.amdhsa_exception_fp_ieee_invalid_op 0
		.amdhsa_exception_fp_denorm_src 0
		.amdhsa_exception_fp_ieee_div_zero 0
		.amdhsa_exception_fp_ieee_overflow 0
		.amdhsa_exception_fp_ieee_underflow 0
		.amdhsa_exception_fp_ieee_inexact 0
		.amdhsa_exception_int_div_zero 0
	.end_amdhsa_kernel
	.section	.text._ZN7rocprim17ROCPRIM_400000_NS6detail17trampoline_kernelINS0_13select_configILj256ELj13ELNS0_17block_load_methodE3ELS4_3ELS4_3ELNS0_20block_scan_algorithmE0ELj4294967295EEENS1_25partition_config_selectorILNS1_17partition_subalgoE4EjNS0_10empty_typeEbEEZZNS1_14partition_implILS8_4ELb0ES6_15HIP_vector_typeIjLj2EENS0_17counting_iteratorIjlEEPS9_SG_NS0_5tupleIJPjSI_NS0_16reverse_iteratorISI_EEEEENSH_IJSG_SG_SG_EEES9_SI_JZNS1_25segmented_radix_sort_implINS0_14default_configELb0EPKfPfPKlPlN2at6native12_GLOBAL__N_18offset_tEEE10hipError_tPvRmT1_PNSt15iterator_traitsIS12_E10value_typeET2_T3_PNS13_IS18_E10value_typeET4_jRbjT5_S1E_jjP12ihipStream_tbEUljE_ZNSN_ISO_Lb0ESQ_SR_ST_SU_SY_EESZ_S10_S11_S12_S16_S17_S18_S1B_S1C_jS1D_jS1E_S1E_jjS1G_bEUljE0_EEESZ_S10_S11_S18_S1C_S1E_T6_T7_T9_mT8_S1G_bDpT10_ENKUlT_T0_E_clISt17integral_constantIbLb0EES1U_EEDaS1P_S1Q_EUlS1P_E_NS1_11comp_targetILNS1_3genE9ELNS1_11target_archE1100ELNS1_3gpuE3ELNS1_3repE0EEENS1_30default_config_static_selectorELNS0_4arch9wavefront6targetE0EEEvS12_,"axG",@progbits,_ZN7rocprim17ROCPRIM_400000_NS6detail17trampoline_kernelINS0_13select_configILj256ELj13ELNS0_17block_load_methodE3ELS4_3ELS4_3ELNS0_20block_scan_algorithmE0ELj4294967295EEENS1_25partition_config_selectorILNS1_17partition_subalgoE4EjNS0_10empty_typeEbEEZZNS1_14partition_implILS8_4ELb0ES6_15HIP_vector_typeIjLj2EENS0_17counting_iteratorIjlEEPS9_SG_NS0_5tupleIJPjSI_NS0_16reverse_iteratorISI_EEEEENSH_IJSG_SG_SG_EEES9_SI_JZNS1_25segmented_radix_sort_implINS0_14default_configELb0EPKfPfPKlPlN2at6native12_GLOBAL__N_18offset_tEEE10hipError_tPvRmT1_PNSt15iterator_traitsIS12_E10value_typeET2_T3_PNS13_IS18_E10value_typeET4_jRbjT5_S1E_jjP12ihipStream_tbEUljE_ZNSN_ISO_Lb0ESQ_SR_ST_SU_SY_EESZ_S10_S11_S12_S16_S17_S18_S1B_S1C_jS1D_jS1E_S1E_jjS1G_bEUljE0_EEESZ_S10_S11_S18_S1C_S1E_T6_T7_T9_mT8_S1G_bDpT10_ENKUlT_T0_E_clISt17integral_constantIbLb0EES1U_EEDaS1P_S1Q_EUlS1P_E_NS1_11comp_targetILNS1_3genE9ELNS1_11target_archE1100ELNS1_3gpuE3ELNS1_3repE0EEENS1_30default_config_static_selectorELNS0_4arch9wavefront6targetE0EEEvS12_,comdat
.Lfunc_end1370:
	.size	_ZN7rocprim17ROCPRIM_400000_NS6detail17trampoline_kernelINS0_13select_configILj256ELj13ELNS0_17block_load_methodE3ELS4_3ELS4_3ELNS0_20block_scan_algorithmE0ELj4294967295EEENS1_25partition_config_selectorILNS1_17partition_subalgoE4EjNS0_10empty_typeEbEEZZNS1_14partition_implILS8_4ELb0ES6_15HIP_vector_typeIjLj2EENS0_17counting_iteratorIjlEEPS9_SG_NS0_5tupleIJPjSI_NS0_16reverse_iteratorISI_EEEEENSH_IJSG_SG_SG_EEES9_SI_JZNS1_25segmented_radix_sort_implINS0_14default_configELb0EPKfPfPKlPlN2at6native12_GLOBAL__N_18offset_tEEE10hipError_tPvRmT1_PNSt15iterator_traitsIS12_E10value_typeET2_T3_PNS13_IS18_E10value_typeET4_jRbjT5_S1E_jjP12ihipStream_tbEUljE_ZNSN_ISO_Lb0ESQ_SR_ST_SU_SY_EESZ_S10_S11_S12_S16_S17_S18_S1B_S1C_jS1D_jS1E_S1E_jjS1G_bEUljE0_EEESZ_S10_S11_S18_S1C_S1E_T6_T7_T9_mT8_S1G_bDpT10_ENKUlT_T0_E_clISt17integral_constantIbLb0EES1U_EEDaS1P_S1Q_EUlS1P_E_NS1_11comp_targetILNS1_3genE9ELNS1_11target_archE1100ELNS1_3gpuE3ELNS1_3repE0EEENS1_30default_config_static_selectorELNS0_4arch9wavefront6targetE0EEEvS12_, .Lfunc_end1370-_ZN7rocprim17ROCPRIM_400000_NS6detail17trampoline_kernelINS0_13select_configILj256ELj13ELNS0_17block_load_methodE3ELS4_3ELS4_3ELNS0_20block_scan_algorithmE0ELj4294967295EEENS1_25partition_config_selectorILNS1_17partition_subalgoE4EjNS0_10empty_typeEbEEZZNS1_14partition_implILS8_4ELb0ES6_15HIP_vector_typeIjLj2EENS0_17counting_iteratorIjlEEPS9_SG_NS0_5tupleIJPjSI_NS0_16reverse_iteratorISI_EEEEENSH_IJSG_SG_SG_EEES9_SI_JZNS1_25segmented_radix_sort_implINS0_14default_configELb0EPKfPfPKlPlN2at6native12_GLOBAL__N_18offset_tEEE10hipError_tPvRmT1_PNSt15iterator_traitsIS12_E10value_typeET2_T3_PNS13_IS18_E10value_typeET4_jRbjT5_S1E_jjP12ihipStream_tbEUljE_ZNSN_ISO_Lb0ESQ_SR_ST_SU_SY_EESZ_S10_S11_S12_S16_S17_S18_S1B_S1C_jS1D_jS1E_S1E_jjS1G_bEUljE0_EEESZ_S10_S11_S18_S1C_S1E_T6_T7_T9_mT8_S1G_bDpT10_ENKUlT_T0_E_clISt17integral_constantIbLb0EES1U_EEDaS1P_S1Q_EUlS1P_E_NS1_11comp_targetILNS1_3genE9ELNS1_11target_archE1100ELNS1_3gpuE3ELNS1_3repE0EEENS1_30default_config_static_selectorELNS0_4arch9wavefront6targetE0EEEvS12_
                                        ; -- End function
	.set _ZN7rocprim17ROCPRIM_400000_NS6detail17trampoline_kernelINS0_13select_configILj256ELj13ELNS0_17block_load_methodE3ELS4_3ELS4_3ELNS0_20block_scan_algorithmE0ELj4294967295EEENS1_25partition_config_selectorILNS1_17partition_subalgoE4EjNS0_10empty_typeEbEEZZNS1_14partition_implILS8_4ELb0ES6_15HIP_vector_typeIjLj2EENS0_17counting_iteratorIjlEEPS9_SG_NS0_5tupleIJPjSI_NS0_16reverse_iteratorISI_EEEEENSH_IJSG_SG_SG_EEES9_SI_JZNS1_25segmented_radix_sort_implINS0_14default_configELb0EPKfPfPKlPlN2at6native12_GLOBAL__N_18offset_tEEE10hipError_tPvRmT1_PNSt15iterator_traitsIS12_E10value_typeET2_T3_PNS13_IS18_E10value_typeET4_jRbjT5_S1E_jjP12ihipStream_tbEUljE_ZNSN_ISO_Lb0ESQ_SR_ST_SU_SY_EESZ_S10_S11_S12_S16_S17_S18_S1B_S1C_jS1D_jS1E_S1E_jjS1G_bEUljE0_EEESZ_S10_S11_S18_S1C_S1E_T6_T7_T9_mT8_S1G_bDpT10_ENKUlT_T0_E_clISt17integral_constantIbLb0EES1U_EEDaS1P_S1Q_EUlS1P_E_NS1_11comp_targetILNS1_3genE9ELNS1_11target_archE1100ELNS1_3gpuE3ELNS1_3repE0EEENS1_30default_config_static_selectorELNS0_4arch9wavefront6targetE0EEEvS12_.num_vgpr, 0
	.set _ZN7rocprim17ROCPRIM_400000_NS6detail17trampoline_kernelINS0_13select_configILj256ELj13ELNS0_17block_load_methodE3ELS4_3ELS4_3ELNS0_20block_scan_algorithmE0ELj4294967295EEENS1_25partition_config_selectorILNS1_17partition_subalgoE4EjNS0_10empty_typeEbEEZZNS1_14partition_implILS8_4ELb0ES6_15HIP_vector_typeIjLj2EENS0_17counting_iteratorIjlEEPS9_SG_NS0_5tupleIJPjSI_NS0_16reverse_iteratorISI_EEEEENSH_IJSG_SG_SG_EEES9_SI_JZNS1_25segmented_radix_sort_implINS0_14default_configELb0EPKfPfPKlPlN2at6native12_GLOBAL__N_18offset_tEEE10hipError_tPvRmT1_PNSt15iterator_traitsIS12_E10value_typeET2_T3_PNS13_IS18_E10value_typeET4_jRbjT5_S1E_jjP12ihipStream_tbEUljE_ZNSN_ISO_Lb0ESQ_SR_ST_SU_SY_EESZ_S10_S11_S12_S16_S17_S18_S1B_S1C_jS1D_jS1E_S1E_jjS1G_bEUljE0_EEESZ_S10_S11_S18_S1C_S1E_T6_T7_T9_mT8_S1G_bDpT10_ENKUlT_T0_E_clISt17integral_constantIbLb0EES1U_EEDaS1P_S1Q_EUlS1P_E_NS1_11comp_targetILNS1_3genE9ELNS1_11target_archE1100ELNS1_3gpuE3ELNS1_3repE0EEENS1_30default_config_static_selectorELNS0_4arch9wavefront6targetE0EEEvS12_.num_agpr, 0
	.set _ZN7rocprim17ROCPRIM_400000_NS6detail17trampoline_kernelINS0_13select_configILj256ELj13ELNS0_17block_load_methodE3ELS4_3ELS4_3ELNS0_20block_scan_algorithmE0ELj4294967295EEENS1_25partition_config_selectorILNS1_17partition_subalgoE4EjNS0_10empty_typeEbEEZZNS1_14partition_implILS8_4ELb0ES6_15HIP_vector_typeIjLj2EENS0_17counting_iteratorIjlEEPS9_SG_NS0_5tupleIJPjSI_NS0_16reverse_iteratorISI_EEEEENSH_IJSG_SG_SG_EEES9_SI_JZNS1_25segmented_radix_sort_implINS0_14default_configELb0EPKfPfPKlPlN2at6native12_GLOBAL__N_18offset_tEEE10hipError_tPvRmT1_PNSt15iterator_traitsIS12_E10value_typeET2_T3_PNS13_IS18_E10value_typeET4_jRbjT5_S1E_jjP12ihipStream_tbEUljE_ZNSN_ISO_Lb0ESQ_SR_ST_SU_SY_EESZ_S10_S11_S12_S16_S17_S18_S1B_S1C_jS1D_jS1E_S1E_jjS1G_bEUljE0_EEESZ_S10_S11_S18_S1C_S1E_T6_T7_T9_mT8_S1G_bDpT10_ENKUlT_T0_E_clISt17integral_constantIbLb0EES1U_EEDaS1P_S1Q_EUlS1P_E_NS1_11comp_targetILNS1_3genE9ELNS1_11target_archE1100ELNS1_3gpuE3ELNS1_3repE0EEENS1_30default_config_static_selectorELNS0_4arch9wavefront6targetE0EEEvS12_.numbered_sgpr, 0
	.set _ZN7rocprim17ROCPRIM_400000_NS6detail17trampoline_kernelINS0_13select_configILj256ELj13ELNS0_17block_load_methodE3ELS4_3ELS4_3ELNS0_20block_scan_algorithmE0ELj4294967295EEENS1_25partition_config_selectorILNS1_17partition_subalgoE4EjNS0_10empty_typeEbEEZZNS1_14partition_implILS8_4ELb0ES6_15HIP_vector_typeIjLj2EENS0_17counting_iteratorIjlEEPS9_SG_NS0_5tupleIJPjSI_NS0_16reverse_iteratorISI_EEEEENSH_IJSG_SG_SG_EEES9_SI_JZNS1_25segmented_radix_sort_implINS0_14default_configELb0EPKfPfPKlPlN2at6native12_GLOBAL__N_18offset_tEEE10hipError_tPvRmT1_PNSt15iterator_traitsIS12_E10value_typeET2_T3_PNS13_IS18_E10value_typeET4_jRbjT5_S1E_jjP12ihipStream_tbEUljE_ZNSN_ISO_Lb0ESQ_SR_ST_SU_SY_EESZ_S10_S11_S12_S16_S17_S18_S1B_S1C_jS1D_jS1E_S1E_jjS1G_bEUljE0_EEESZ_S10_S11_S18_S1C_S1E_T6_T7_T9_mT8_S1G_bDpT10_ENKUlT_T0_E_clISt17integral_constantIbLb0EES1U_EEDaS1P_S1Q_EUlS1P_E_NS1_11comp_targetILNS1_3genE9ELNS1_11target_archE1100ELNS1_3gpuE3ELNS1_3repE0EEENS1_30default_config_static_selectorELNS0_4arch9wavefront6targetE0EEEvS12_.num_named_barrier, 0
	.set _ZN7rocprim17ROCPRIM_400000_NS6detail17trampoline_kernelINS0_13select_configILj256ELj13ELNS0_17block_load_methodE3ELS4_3ELS4_3ELNS0_20block_scan_algorithmE0ELj4294967295EEENS1_25partition_config_selectorILNS1_17partition_subalgoE4EjNS0_10empty_typeEbEEZZNS1_14partition_implILS8_4ELb0ES6_15HIP_vector_typeIjLj2EENS0_17counting_iteratorIjlEEPS9_SG_NS0_5tupleIJPjSI_NS0_16reverse_iteratorISI_EEEEENSH_IJSG_SG_SG_EEES9_SI_JZNS1_25segmented_radix_sort_implINS0_14default_configELb0EPKfPfPKlPlN2at6native12_GLOBAL__N_18offset_tEEE10hipError_tPvRmT1_PNSt15iterator_traitsIS12_E10value_typeET2_T3_PNS13_IS18_E10value_typeET4_jRbjT5_S1E_jjP12ihipStream_tbEUljE_ZNSN_ISO_Lb0ESQ_SR_ST_SU_SY_EESZ_S10_S11_S12_S16_S17_S18_S1B_S1C_jS1D_jS1E_S1E_jjS1G_bEUljE0_EEESZ_S10_S11_S18_S1C_S1E_T6_T7_T9_mT8_S1G_bDpT10_ENKUlT_T0_E_clISt17integral_constantIbLb0EES1U_EEDaS1P_S1Q_EUlS1P_E_NS1_11comp_targetILNS1_3genE9ELNS1_11target_archE1100ELNS1_3gpuE3ELNS1_3repE0EEENS1_30default_config_static_selectorELNS0_4arch9wavefront6targetE0EEEvS12_.private_seg_size, 0
	.set _ZN7rocprim17ROCPRIM_400000_NS6detail17trampoline_kernelINS0_13select_configILj256ELj13ELNS0_17block_load_methodE3ELS4_3ELS4_3ELNS0_20block_scan_algorithmE0ELj4294967295EEENS1_25partition_config_selectorILNS1_17partition_subalgoE4EjNS0_10empty_typeEbEEZZNS1_14partition_implILS8_4ELb0ES6_15HIP_vector_typeIjLj2EENS0_17counting_iteratorIjlEEPS9_SG_NS0_5tupleIJPjSI_NS0_16reverse_iteratorISI_EEEEENSH_IJSG_SG_SG_EEES9_SI_JZNS1_25segmented_radix_sort_implINS0_14default_configELb0EPKfPfPKlPlN2at6native12_GLOBAL__N_18offset_tEEE10hipError_tPvRmT1_PNSt15iterator_traitsIS12_E10value_typeET2_T3_PNS13_IS18_E10value_typeET4_jRbjT5_S1E_jjP12ihipStream_tbEUljE_ZNSN_ISO_Lb0ESQ_SR_ST_SU_SY_EESZ_S10_S11_S12_S16_S17_S18_S1B_S1C_jS1D_jS1E_S1E_jjS1G_bEUljE0_EEESZ_S10_S11_S18_S1C_S1E_T6_T7_T9_mT8_S1G_bDpT10_ENKUlT_T0_E_clISt17integral_constantIbLb0EES1U_EEDaS1P_S1Q_EUlS1P_E_NS1_11comp_targetILNS1_3genE9ELNS1_11target_archE1100ELNS1_3gpuE3ELNS1_3repE0EEENS1_30default_config_static_selectorELNS0_4arch9wavefront6targetE0EEEvS12_.uses_vcc, 0
	.set _ZN7rocprim17ROCPRIM_400000_NS6detail17trampoline_kernelINS0_13select_configILj256ELj13ELNS0_17block_load_methodE3ELS4_3ELS4_3ELNS0_20block_scan_algorithmE0ELj4294967295EEENS1_25partition_config_selectorILNS1_17partition_subalgoE4EjNS0_10empty_typeEbEEZZNS1_14partition_implILS8_4ELb0ES6_15HIP_vector_typeIjLj2EENS0_17counting_iteratorIjlEEPS9_SG_NS0_5tupleIJPjSI_NS0_16reverse_iteratorISI_EEEEENSH_IJSG_SG_SG_EEES9_SI_JZNS1_25segmented_radix_sort_implINS0_14default_configELb0EPKfPfPKlPlN2at6native12_GLOBAL__N_18offset_tEEE10hipError_tPvRmT1_PNSt15iterator_traitsIS12_E10value_typeET2_T3_PNS13_IS18_E10value_typeET4_jRbjT5_S1E_jjP12ihipStream_tbEUljE_ZNSN_ISO_Lb0ESQ_SR_ST_SU_SY_EESZ_S10_S11_S12_S16_S17_S18_S1B_S1C_jS1D_jS1E_S1E_jjS1G_bEUljE0_EEESZ_S10_S11_S18_S1C_S1E_T6_T7_T9_mT8_S1G_bDpT10_ENKUlT_T0_E_clISt17integral_constantIbLb0EES1U_EEDaS1P_S1Q_EUlS1P_E_NS1_11comp_targetILNS1_3genE9ELNS1_11target_archE1100ELNS1_3gpuE3ELNS1_3repE0EEENS1_30default_config_static_selectorELNS0_4arch9wavefront6targetE0EEEvS12_.uses_flat_scratch, 0
	.set _ZN7rocprim17ROCPRIM_400000_NS6detail17trampoline_kernelINS0_13select_configILj256ELj13ELNS0_17block_load_methodE3ELS4_3ELS4_3ELNS0_20block_scan_algorithmE0ELj4294967295EEENS1_25partition_config_selectorILNS1_17partition_subalgoE4EjNS0_10empty_typeEbEEZZNS1_14partition_implILS8_4ELb0ES6_15HIP_vector_typeIjLj2EENS0_17counting_iteratorIjlEEPS9_SG_NS0_5tupleIJPjSI_NS0_16reverse_iteratorISI_EEEEENSH_IJSG_SG_SG_EEES9_SI_JZNS1_25segmented_radix_sort_implINS0_14default_configELb0EPKfPfPKlPlN2at6native12_GLOBAL__N_18offset_tEEE10hipError_tPvRmT1_PNSt15iterator_traitsIS12_E10value_typeET2_T3_PNS13_IS18_E10value_typeET4_jRbjT5_S1E_jjP12ihipStream_tbEUljE_ZNSN_ISO_Lb0ESQ_SR_ST_SU_SY_EESZ_S10_S11_S12_S16_S17_S18_S1B_S1C_jS1D_jS1E_S1E_jjS1G_bEUljE0_EEESZ_S10_S11_S18_S1C_S1E_T6_T7_T9_mT8_S1G_bDpT10_ENKUlT_T0_E_clISt17integral_constantIbLb0EES1U_EEDaS1P_S1Q_EUlS1P_E_NS1_11comp_targetILNS1_3genE9ELNS1_11target_archE1100ELNS1_3gpuE3ELNS1_3repE0EEENS1_30default_config_static_selectorELNS0_4arch9wavefront6targetE0EEEvS12_.has_dyn_sized_stack, 0
	.set _ZN7rocprim17ROCPRIM_400000_NS6detail17trampoline_kernelINS0_13select_configILj256ELj13ELNS0_17block_load_methodE3ELS4_3ELS4_3ELNS0_20block_scan_algorithmE0ELj4294967295EEENS1_25partition_config_selectorILNS1_17partition_subalgoE4EjNS0_10empty_typeEbEEZZNS1_14partition_implILS8_4ELb0ES6_15HIP_vector_typeIjLj2EENS0_17counting_iteratorIjlEEPS9_SG_NS0_5tupleIJPjSI_NS0_16reverse_iteratorISI_EEEEENSH_IJSG_SG_SG_EEES9_SI_JZNS1_25segmented_radix_sort_implINS0_14default_configELb0EPKfPfPKlPlN2at6native12_GLOBAL__N_18offset_tEEE10hipError_tPvRmT1_PNSt15iterator_traitsIS12_E10value_typeET2_T3_PNS13_IS18_E10value_typeET4_jRbjT5_S1E_jjP12ihipStream_tbEUljE_ZNSN_ISO_Lb0ESQ_SR_ST_SU_SY_EESZ_S10_S11_S12_S16_S17_S18_S1B_S1C_jS1D_jS1E_S1E_jjS1G_bEUljE0_EEESZ_S10_S11_S18_S1C_S1E_T6_T7_T9_mT8_S1G_bDpT10_ENKUlT_T0_E_clISt17integral_constantIbLb0EES1U_EEDaS1P_S1Q_EUlS1P_E_NS1_11comp_targetILNS1_3genE9ELNS1_11target_archE1100ELNS1_3gpuE3ELNS1_3repE0EEENS1_30default_config_static_selectorELNS0_4arch9wavefront6targetE0EEEvS12_.has_recursion, 0
	.set _ZN7rocprim17ROCPRIM_400000_NS6detail17trampoline_kernelINS0_13select_configILj256ELj13ELNS0_17block_load_methodE3ELS4_3ELS4_3ELNS0_20block_scan_algorithmE0ELj4294967295EEENS1_25partition_config_selectorILNS1_17partition_subalgoE4EjNS0_10empty_typeEbEEZZNS1_14partition_implILS8_4ELb0ES6_15HIP_vector_typeIjLj2EENS0_17counting_iteratorIjlEEPS9_SG_NS0_5tupleIJPjSI_NS0_16reverse_iteratorISI_EEEEENSH_IJSG_SG_SG_EEES9_SI_JZNS1_25segmented_radix_sort_implINS0_14default_configELb0EPKfPfPKlPlN2at6native12_GLOBAL__N_18offset_tEEE10hipError_tPvRmT1_PNSt15iterator_traitsIS12_E10value_typeET2_T3_PNS13_IS18_E10value_typeET4_jRbjT5_S1E_jjP12ihipStream_tbEUljE_ZNSN_ISO_Lb0ESQ_SR_ST_SU_SY_EESZ_S10_S11_S12_S16_S17_S18_S1B_S1C_jS1D_jS1E_S1E_jjS1G_bEUljE0_EEESZ_S10_S11_S18_S1C_S1E_T6_T7_T9_mT8_S1G_bDpT10_ENKUlT_T0_E_clISt17integral_constantIbLb0EES1U_EEDaS1P_S1Q_EUlS1P_E_NS1_11comp_targetILNS1_3genE9ELNS1_11target_archE1100ELNS1_3gpuE3ELNS1_3repE0EEENS1_30default_config_static_selectorELNS0_4arch9wavefront6targetE0EEEvS12_.has_indirect_call, 0
	.section	.AMDGPU.csdata,"",@progbits
; Kernel info:
; codeLenInByte = 0
; TotalNumSgprs: 0
; NumVgprs: 0
; ScratchSize: 0
; MemoryBound: 0
; FloatMode: 240
; IeeeMode: 1
; LDSByteSize: 0 bytes/workgroup (compile time only)
; SGPRBlocks: 0
; VGPRBlocks: 0
; NumSGPRsForWavesPerEU: 1
; NumVGPRsForWavesPerEU: 1
; Occupancy: 16
; WaveLimiterHint : 0
; COMPUTE_PGM_RSRC2:SCRATCH_EN: 0
; COMPUTE_PGM_RSRC2:USER_SGPR: 2
; COMPUTE_PGM_RSRC2:TRAP_HANDLER: 0
; COMPUTE_PGM_RSRC2:TGID_X_EN: 1
; COMPUTE_PGM_RSRC2:TGID_Y_EN: 0
; COMPUTE_PGM_RSRC2:TGID_Z_EN: 0
; COMPUTE_PGM_RSRC2:TIDIG_COMP_CNT: 0
	.section	.text._ZN7rocprim17ROCPRIM_400000_NS6detail17trampoline_kernelINS0_13select_configILj256ELj13ELNS0_17block_load_methodE3ELS4_3ELS4_3ELNS0_20block_scan_algorithmE0ELj4294967295EEENS1_25partition_config_selectorILNS1_17partition_subalgoE4EjNS0_10empty_typeEbEEZZNS1_14partition_implILS8_4ELb0ES6_15HIP_vector_typeIjLj2EENS0_17counting_iteratorIjlEEPS9_SG_NS0_5tupleIJPjSI_NS0_16reverse_iteratorISI_EEEEENSH_IJSG_SG_SG_EEES9_SI_JZNS1_25segmented_radix_sort_implINS0_14default_configELb0EPKfPfPKlPlN2at6native12_GLOBAL__N_18offset_tEEE10hipError_tPvRmT1_PNSt15iterator_traitsIS12_E10value_typeET2_T3_PNS13_IS18_E10value_typeET4_jRbjT5_S1E_jjP12ihipStream_tbEUljE_ZNSN_ISO_Lb0ESQ_SR_ST_SU_SY_EESZ_S10_S11_S12_S16_S17_S18_S1B_S1C_jS1D_jS1E_S1E_jjS1G_bEUljE0_EEESZ_S10_S11_S18_S1C_S1E_T6_T7_T9_mT8_S1G_bDpT10_ENKUlT_T0_E_clISt17integral_constantIbLb0EES1U_EEDaS1P_S1Q_EUlS1P_E_NS1_11comp_targetILNS1_3genE8ELNS1_11target_archE1030ELNS1_3gpuE2ELNS1_3repE0EEENS1_30default_config_static_selectorELNS0_4arch9wavefront6targetE0EEEvS12_,"axG",@progbits,_ZN7rocprim17ROCPRIM_400000_NS6detail17trampoline_kernelINS0_13select_configILj256ELj13ELNS0_17block_load_methodE3ELS4_3ELS4_3ELNS0_20block_scan_algorithmE0ELj4294967295EEENS1_25partition_config_selectorILNS1_17partition_subalgoE4EjNS0_10empty_typeEbEEZZNS1_14partition_implILS8_4ELb0ES6_15HIP_vector_typeIjLj2EENS0_17counting_iteratorIjlEEPS9_SG_NS0_5tupleIJPjSI_NS0_16reverse_iteratorISI_EEEEENSH_IJSG_SG_SG_EEES9_SI_JZNS1_25segmented_radix_sort_implINS0_14default_configELb0EPKfPfPKlPlN2at6native12_GLOBAL__N_18offset_tEEE10hipError_tPvRmT1_PNSt15iterator_traitsIS12_E10value_typeET2_T3_PNS13_IS18_E10value_typeET4_jRbjT5_S1E_jjP12ihipStream_tbEUljE_ZNSN_ISO_Lb0ESQ_SR_ST_SU_SY_EESZ_S10_S11_S12_S16_S17_S18_S1B_S1C_jS1D_jS1E_S1E_jjS1G_bEUljE0_EEESZ_S10_S11_S18_S1C_S1E_T6_T7_T9_mT8_S1G_bDpT10_ENKUlT_T0_E_clISt17integral_constantIbLb0EES1U_EEDaS1P_S1Q_EUlS1P_E_NS1_11comp_targetILNS1_3genE8ELNS1_11target_archE1030ELNS1_3gpuE2ELNS1_3repE0EEENS1_30default_config_static_selectorELNS0_4arch9wavefront6targetE0EEEvS12_,comdat
	.globl	_ZN7rocprim17ROCPRIM_400000_NS6detail17trampoline_kernelINS0_13select_configILj256ELj13ELNS0_17block_load_methodE3ELS4_3ELS4_3ELNS0_20block_scan_algorithmE0ELj4294967295EEENS1_25partition_config_selectorILNS1_17partition_subalgoE4EjNS0_10empty_typeEbEEZZNS1_14partition_implILS8_4ELb0ES6_15HIP_vector_typeIjLj2EENS0_17counting_iteratorIjlEEPS9_SG_NS0_5tupleIJPjSI_NS0_16reverse_iteratorISI_EEEEENSH_IJSG_SG_SG_EEES9_SI_JZNS1_25segmented_radix_sort_implINS0_14default_configELb0EPKfPfPKlPlN2at6native12_GLOBAL__N_18offset_tEEE10hipError_tPvRmT1_PNSt15iterator_traitsIS12_E10value_typeET2_T3_PNS13_IS18_E10value_typeET4_jRbjT5_S1E_jjP12ihipStream_tbEUljE_ZNSN_ISO_Lb0ESQ_SR_ST_SU_SY_EESZ_S10_S11_S12_S16_S17_S18_S1B_S1C_jS1D_jS1E_S1E_jjS1G_bEUljE0_EEESZ_S10_S11_S18_S1C_S1E_T6_T7_T9_mT8_S1G_bDpT10_ENKUlT_T0_E_clISt17integral_constantIbLb0EES1U_EEDaS1P_S1Q_EUlS1P_E_NS1_11comp_targetILNS1_3genE8ELNS1_11target_archE1030ELNS1_3gpuE2ELNS1_3repE0EEENS1_30default_config_static_selectorELNS0_4arch9wavefront6targetE0EEEvS12_ ; -- Begin function _ZN7rocprim17ROCPRIM_400000_NS6detail17trampoline_kernelINS0_13select_configILj256ELj13ELNS0_17block_load_methodE3ELS4_3ELS4_3ELNS0_20block_scan_algorithmE0ELj4294967295EEENS1_25partition_config_selectorILNS1_17partition_subalgoE4EjNS0_10empty_typeEbEEZZNS1_14partition_implILS8_4ELb0ES6_15HIP_vector_typeIjLj2EENS0_17counting_iteratorIjlEEPS9_SG_NS0_5tupleIJPjSI_NS0_16reverse_iteratorISI_EEEEENSH_IJSG_SG_SG_EEES9_SI_JZNS1_25segmented_radix_sort_implINS0_14default_configELb0EPKfPfPKlPlN2at6native12_GLOBAL__N_18offset_tEEE10hipError_tPvRmT1_PNSt15iterator_traitsIS12_E10value_typeET2_T3_PNS13_IS18_E10value_typeET4_jRbjT5_S1E_jjP12ihipStream_tbEUljE_ZNSN_ISO_Lb0ESQ_SR_ST_SU_SY_EESZ_S10_S11_S12_S16_S17_S18_S1B_S1C_jS1D_jS1E_S1E_jjS1G_bEUljE0_EEESZ_S10_S11_S18_S1C_S1E_T6_T7_T9_mT8_S1G_bDpT10_ENKUlT_T0_E_clISt17integral_constantIbLb0EES1U_EEDaS1P_S1Q_EUlS1P_E_NS1_11comp_targetILNS1_3genE8ELNS1_11target_archE1030ELNS1_3gpuE2ELNS1_3repE0EEENS1_30default_config_static_selectorELNS0_4arch9wavefront6targetE0EEEvS12_
	.p2align	8
	.type	_ZN7rocprim17ROCPRIM_400000_NS6detail17trampoline_kernelINS0_13select_configILj256ELj13ELNS0_17block_load_methodE3ELS4_3ELS4_3ELNS0_20block_scan_algorithmE0ELj4294967295EEENS1_25partition_config_selectorILNS1_17partition_subalgoE4EjNS0_10empty_typeEbEEZZNS1_14partition_implILS8_4ELb0ES6_15HIP_vector_typeIjLj2EENS0_17counting_iteratorIjlEEPS9_SG_NS0_5tupleIJPjSI_NS0_16reverse_iteratorISI_EEEEENSH_IJSG_SG_SG_EEES9_SI_JZNS1_25segmented_radix_sort_implINS0_14default_configELb0EPKfPfPKlPlN2at6native12_GLOBAL__N_18offset_tEEE10hipError_tPvRmT1_PNSt15iterator_traitsIS12_E10value_typeET2_T3_PNS13_IS18_E10value_typeET4_jRbjT5_S1E_jjP12ihipStream_tbEUljE_ZNSN_ISO_Lb0ESQ_SR_ST_SU_SY_EESZ_S10_S11_S12_S16_S17_S18_S1B_S1C_jS1D_jS1E_S1E_jjS1G_bEUljE0_EEESZ_S10_S11_S18_S1C_S1E_T6_T7_T9_mT8_S1G_bDpT10_ENKUlT_T0_E_clISt17integral_constantIbLb0EES1U_EEDaS1P_S1Q_EUlS1P_E_NS1_11comp_targetILNS1_3genE8ELNS1_11target_archE1030ELNS1_3gpuE2ELNS1_3repE0EEENS1_30default_config_static_selectorELNS0_4arch9wavefront6targetE0EEEvS12_,@function
_ZN7rocprim17ROCPRIM_400000_NS6detail17trampoline_kernelINS0_13select_configILj256ELj13ELNS0_17block_load_methodE3ELS4_3ELS4_3ELNS0_20block_scan_algorithmE0ELj4294967295EEENS1_25partition_config_selectorILNS1_17partition_subalgoE4EjNS0_10empty_typeEbEEZZNS1_14partition_implILS8_4ELb0ES6_15HIP_vector_typeIjLj2EENS0_17counting_iteratorIjlEEPS9_SG_NS0_5tupleIJPjSI_NS0_16reverse_iteratorISI_EEEEENSH_IJSG_SG_SG_EEES9_SI_JZNS1_25segmented_radix_sort_implINS0_14default_configELb0EPKfPfPKlPlN2at6native12_GLOBAL__N_18offset_tEEE10hipError_tPvRmT1_PNSt15iterator_traitsIS12_E10value_typeET2_T3_PNS13_IS18_E10value_typeET4_jRbjT5_S1E_jjP12ihipStream_tbEUljE_ZNSN_ISO_Lb0ESQ_SR_ST_SU_SY_EESZ_S10_S11_S12_S16_S17_S18_S1B_S1C_jS1D_jS1E_S1E_jjS1G_bEUljE0_EEESZ_S10_S11_S18_S1C_S1E_T6_T7_T9_mT8_S1G_bDpT10_ENKUlT_T0_E_clISt17integral_constantIbLb0EES1U_EEDaS1P_S1Q_EUlS1P_E_NS1_11comp_targetILNS1_3genE8ELNS1_11target_archE1030ELNS1_3gpuE2ELNS1_3repE0EEENS1_30default_config_static_selectorELNS0_4arch9wavefront6targetE0EEEvS12_: ; @_ZN7rocprim17ROCPRIM_400000_NS6detail17trampoline_kernelINS0_13select_configILj256ELj13ELNS0_17block_load_methodE3ELS4_3ELS4_3ELNS0_20block_scan_algorithmE0ELj4294967295EEENS1_25partition_config_selectorILNS1_17partition_subalgoE4EjNS0_10empty_typeEbEEZZNS1_14partition_implILS8_4ELb0ES6_15HIP_vector_typeIjLj2EENS0_17counting_iteratorIjlEEPS9_SG_NS0_5tupleIJPjSI_NS0_16reverse_iteratorISI_EEEEENSH_IJSG_SG_SG_EEES9_SI_JZNS1_25segmented_radix_sort_implINS0_14default_configELb0EPKfPfPKlPlN2at6native12_GLOBAL__N_18offset_tEEE10hipError_tPvRmT1_PNSt15iterator_traitsIS12_E10value_typeET2_T3_PNS13_IS18_E10value_typeET4_jRbjT5_S1E_jjP12ihipStream_tbEUljE_ZNSN_ISO_Lb0ESQ_SR_ST_SU_SY_EESZ_S10_S11_S12_S16_S17_S18_S1B_S1C_jS1D_jS1E_S1E_jjS1G_bEUljE0_EEESZ_S10_S11_S18_S1C_S1E_T6_T7_T9_mT8_S1G_bDpT10_ENKUlT_T0_E_clISt17integral_constantIbLb0EES1U_EEDaS1P_S1Q_EUlS1P_E_NS1_11comp_targetILNS1_3genE8ELNS1_11target_archE1030ELNS1_3gpuE2ELNS1_3repE0EEENS1_30default_config_static_selectorELNS0_4arch9wavefront6targetE0EEEvS12_
; %bb.0:
	.section	.rodata,"a",@progbits
	.p2align	6, 0x0
	.amdhsa_kernel _ZN7rocprim17ROCPRIM_400000_NS6detail17trampoline_kernelINS0_13select_configILj256ELj13ELNS0_17block_load_methodE3ELS4_3ELS4_3ELNS0_20block_scan_algorithmE0ELj4294967295EEENS1_25partition_config_selectorILNS1_17partition_subalgoE4EjNS0_10empty_typeEbEEZZNS1_14partition_implILS8_4ELb0ES6_15HIP_vector_typeIjLj2EENS0_17counting_iteratorIjlEEPS9_SG_NS0_5tupleIJPjSI_NS0_16reverse_iteratorISI_EEEEENSH_IJSG_SG_SG_EEES9_SI_JZNS1_25segmented_radix_sort_implINS0_14default_configELb0EPKfPfPKlPlN2at6native12_GLOBAL__N_18offset_tEEE10hipError_tPvRmT1_PNSt15iterator_traitsIS12_E10value_typeET2_T3_PNS13_IS18_E10value_typeET4_jRbjT5_S1E_jjP12ihipStream_tbEUljE_ZNSN_ISO_Lb0ESQ_SR_ST_SU_SY_EESZ_S10_S11_S12_S16_S17_S18_S1B_S1C_jS1D_jS1E_S1E_jjS1G_bEUljE0_EEESZ_S10_S11_S18_S1C_S1E_T6_T7_T9_mT8_S1G_bDpT10_ENKUlT_T0_E_clISt17integral_constantIbLb0EES1U_EEDaS1P_S1Q_EUlS1P_E_NS1_11comp_targetILNS1_3genE8ELNS1_11target_archE1030ELNS1_3gpuE2ELNS1_3repE0EEENS1_30default_config_static_selectorELNS0_4arch9wavefront6targetE0EEEvS12_
		.amdhsa_group_segment_fixed_size 0
		.amdhsa_private_segment_fixed_size 0
		.amdhsa_kernarg_size 176
		.amdhsa_user_sgpr_count 2
		.amdhsa_user_sgpr_dispatch_ptr 0
		.amdhsa_user_sgpr_queue_ptr 0
		.amdhsa_user_sgpr_kernarg_segment_ptr 1
		.amdhsa_user_sgpr_dispatch_id 0
		.amdhsa_user_sgpr_private_segment_size 0
		.amdhsa_wavefront_size32 1
		.amdhsa_uses_dynamic_stack 0
		.amdhsa_enable_private_segment 0
		.amdhsa_system_sgpr_workgroup_id_x 1
		.amdhsa_system_sgpr_workgroup_id_y 0
		.amdhsa_system_sgpr_workgroup_id_z 0
		.amdhsa_system_sgpr_workgroup_info 0
		.amdhsa_system_vgpr_workitem_id 0
		.amdhsa_next_free_vgpr 1
		.amdhsa_next_free_sgpr 1
		.amdhsa_reserve_vcc 0
		.amdhsa_float_round_mode_32 0
		.amdhsa_float_round_mode_16_64 0
		.amdhsa_float_denorm_mode_32 3
		.amdhsa_float_denorm_mode_16_64 3
		.amdhsa_fp16_overflow 0
		.amdhsa_workgroup_processor_mode 1
		.amdhsa_memory_ordered 1
		.amdhsa_forward_progress 1
		.amdhsa_inst_pref_size 0
		.amdhsa_round_robin_scheduling 0
		.amdhsa_exception_fp_ieee_invalid_op 0
		.amdhsa_exception_fp_denorm_src 0
		.amdhsa_exception_fp_ieee_div_zero 0
		.amdhsa_exception_fp_ieee_overflow 0
		.amdhsa_exception_fp_ieee_underflow 0
		.amdhsa_exception_fp_ieee_inexact 0
		.amdhsa_exception_int_div_zero 0
	.end_amdhsa_kernel
	.section	.text._ZN7rocprim17ROCPRIM_400000_NS6detail17trampoline_kernelINS0_13select_configILj256ELj13ELNS0_17block_load_methodE3ELS4_3ELS4_3ELNS0_20block_scan_algorithmE0ELj4294967295EEENS1_25partition_config_selectorILNS1_17partition_subalgoE4EjNS0_10empty_typeEbEEZZNS1_14partition_implILS8_4ELb0ES6_15HIP_vector_typeIjLj2EENS0_17counting_iteratorIjlEEPS9_SG_NS0_5tupleIJPjSI_NS0_16reverse_iteratorISI_EEEEENSH_IJSG_SG_SG_EEES9_SI_JZNS1_25segmented_radix_sort_implINS0_14default_configELb0EPKfPfPKlPlN2at6native12_GLOBAL__N_18offset_tEEE10hipError_tPvRmT1_PNSt15iterator_traitsIS12_E10value_typeET2_T3_PNS13_IS18_E10value_typeET4_jRbjT5_S1E_jjP12ihipStream_tbEUljE_ZNSN_ISO_Lb0ESQ_SR_ST_SU_SY_EESZ_S10_S11_S12_S16_S17_S18_S1B_S1C_jS1D_jS1E_S1E_jjS1G_bEUljE0_EEESZ_S10_S11_S18_S1C_S1E_T6_T7_T9_mT8_S1G_bDpT10_ENKUlT_T0_E_clISt17integral_constantIbLb0EES1U_EEDaS1P_S1Q_EUlS1P_E_NS1_11comp_targetILNS1_3genE8ELNS1_11target_archE1030ELNS1_3gpuE2ELNS1_3repE0EEENS1_30default_config_static_selectorELNS0_4arch9wavefront6targetE0EEEvS12_,"axG",@progbits,_ZN7rocprim17ROCPRIM_400000_NS6detail17trampoline_kernelINS0_13select_configILj256ELj13ELNS0_17block_load_methodE3ELS4_3ELS4_3ELNS0_20block_scan_algorithmE0ELj4294967295EEENS1_25partition_config_selectorILNS1_17partition_subalgoE4EjNS0_10empty_typeEbEEZZNS1_14partition_implILS8_4ELb0ES6_15HIP_vector_typeIjLj2EENS0_17counting_iteratorIjlEEPS9_SG_NS0_5tupleIJPjSI_NS0_16reverse_iteratorISI_EEEEENSH_IJSG_SG_SG_EEES9_SI_JZNS1_25segmented_radix_sort_implINS0_14default_configELb0EPKfPfPKlPlN2at6native12_GLOBAL__N_18offset_tEEE10hipError_tPvRmT1_PNSt15iterator_traitsIS12_E10value_typeET2_T3_PNS13_IS18_E10value_typeET4_jRbjT5_S1E_jjP12ihipStream_tbEUljE_ZNSN_ISO_Lb0ESQ_SR_ST_SU_SY_EESZ_S10_S11_S12_S16_S17_S18_S1B_S1C_jS1D_jS1E_S1E_jjS1G_bEUljE0_EEESZ_S10_S11_S18_S1C_S1E_T6_T7_T9_mT8_S1G_bDpT10_ENKUlT_T0_E_clISt17integral_constantIbLb0EES1U_EEDaS1P_S1Q_EUlS1P_E_NS1_11comp_targetILNS1_3genE8ELNS1_11target_archE1030ELNS1_3gpuE2ELNS1_3repE0EEENS1_30default_config_static_selectorELNS0_4arch9wavefront6targetE0EEEvS12_,comdat
.Lfunc_end1371:
	.size	_ZN7rocprim17ROCPRIM_400000_NS6detail17trampoline_kernelINS0_13select_configILj256ELj13ELNS0_17block_load_methodE3ELS4_3ELS4_3ELNS0_20block_scan_algorithmE0ELj4294967295EEENS1_25partition_config_selectorILNS1_17partition_subalgoE4EjNS0_10empty_typeEbEEZZNS1_14partition_implILS8_4ELb0ES6_15HIP_vector_typeIjLj2EENS0_17counting_iteratorIjlEEPS9_SG_NS0_5tupleIJPjSI_NS0_16reverse_iteratorISI_EEEEENSH_IJSG_SG_SG_EEES9_SI_JZNS1_25segmented_radix_sort_implINS0_14default_configELb0EPKfPfPKlPlN2at6native12_GLOBAL__N_18offset_tEEE10hipError_tPvRmT1_PNSt15iterator_traitsIS12_E10value_typeET2_T3_PNS13_IS18_E10value_typeET4_jRbjT5_S1E_jjP12ihipStream_tbEUljE_ZNSN_ISO_Lb0ESQ_SR_ST_SU_SY_EESZ_S10_S11_S12_S16_S17_S18_S1B_S1C_jS1D_jS1E_S1E_jjS1G_bEUljE0_EEESZ_S10_S11_S18_S1C_S1E_T6_T7_T9_mT8_S1G_bDpT10_ENKUlT_T0_E_clISt17integral_constantIbLb0EES1U_EEDaS1P_S1Q_EUlS1P_E_NS1_11comp_targetILNS1_3genE8ELNS1_11target_archE1030ELNS1_3gpuE2ELNS1_3repE0EEENS1_30default_config_static_selectorELNS0_4arch9wavefront6targetE0EEEvS12_, .Lfunc_end1371-_ZN7rocprim17ROCPRIM_400000_NS6detail17trampoline_kernelINS0_13select_configILj256ELj13ELNS0_17block_load_methodE3ELS4_3ELS4_3ELNS0_20block_scan_algorithmE0ELj4294967295EEENS1_25partition_config_selectorILNS1_17partition_subalgoE4EjNS0_10empty_typeEbEEZZNS1_14partition_implILS8_4ELb0ES6_15HIP_vector_typeIjLj2EENS0_17counting_iteratorIjlEEPS9_SG_NS0_5tupleIJPjSI_NS0_16reverse_iteratorISI_EEEEENSH_IJSG_SG_SG_EEES9_SI_JZNS1_25segmented_radix_sort_implINS0_14default_configELb0EPKfPfPKlPlN2at6native12_GLOBAL__N_18offset_tEEE10hipError_tPvRmT1_PNSt15iterator_traitsIS12_E10value_typeET2_T3_PNS13_IS18_E10value_typeET4_jRbjT5_S1E_jjP12ihipStream_tbEUljE_ZNSN_ISO_Lb0ESQ_SR_ST_SU_SY_EESZ_S10_S11_S12_S16_S17_S18_S1B_S1C_jS1D_jS1E_S1E_jjS1G_bEUljE0_EEESZ_S10_S11_S18_S1C_S1E_T6_T7_T9_mT8_S1G_bDpT10_ENKUlT_T0_E_clISt17integral_constantIbLb0EES1U_EEDaS1P_S1Q_EUlS1P_E_NS1_11comp_targetILNS1_3genE8ELNS1_11target_archE1030ELNS1_3gpuE2ELNS1_3repE0EEENS1_30default_config_static_selectorELNS0_4arch9wavefront6targetE0EEEvS12_
                                        ; -- End function
	.set _ZN7rocprim17ROCPRIM_400000_NS6detail17trampoline_kernelINS0_13select_configILj256ELj13ELNS0_17block_load_methodE3ELS4_3ELS4_3ELNS0_20block_scan_algorithmE0ELj4294967295EEENS1_25partition_config_selectorILNS1_17partition_subalgoE4EjNS0_10empty_typeEbEEZZNS1_14partition_implILS8_4ELb0ES6_15HIP_vector_typeIjLj2EENS0_17counting_iteratorIjlEEPS9_SG_NS0_5tupleIJPjSI_NS0_16reverse_iteratorISI_EEEEENSH_IJSG_SG_SG_EEES9_SI_JZNS1_25segmented_radix_sort_implINS0_14default_configELb0EPKfPfPKlPlN2at6native12_GLOBAL__N_18offset_tEEE10hipError_tPvRmT1_PNSt15iterator_traitsIS12_E10value_typeET2_T3_PNS13_IS18_E10value_typeET4_jRbjT5_S1E_jjP12ihipStream_tbEUljE_ZNSN_ISO_Lb0ESQ_SR_ST_SU_SY_EESZ_S10_S11_S12_S16_S17_S18_S1B_S1C_jS1D_jS1E_S1E_jjS1G_bEUljE0_EEESZ_S10_S11_S18_S1C_S1E_T6_T7_T9_mT8_S1G_bDpT10_ENKUlT_T0_E_clISt17integral_constantIbLb0EES1U_EEDaS1P_S1Q_EUlS1P_E_NS1_11comp_targetILNS1_3genE8ELNS1_11target_archE1030ELNS1_3gpuE2ELNS1_3repE0EEENS1_30default_config_static_selectorELNS0_4arch9wavefront6targetE0EEEvS12_.num_vgpr, 0
	.set _ZN7rocprim17ROCPRIM_400000_NS6detail17trampoline_kernelINS0_13select_configILj256ELj13ELNS0_17block_load_methodE3ELS4_3ELS4_3ELNS0_20block_scan_algorithmE0ELj4294967295EEENS1_25partition_config_selectorILNS1_17partition_subalgoE4EjNS0_10empty_typeEbEEZZNS1_14partition_implILS8_4ELb0ES6_15HIP_vector_typeIjLj2EENS0_17counting_iteratorIjlEEPS9_SG_NS0_5tupleIJPjSI_NS0_16reverse_iteratorISI_EEEEENSH_IJSG_SG_SG_EEES9_SI_JZNS1_25segmented_radix_sort_implINS0_14default_configELb0EPKfPfPKlPlN2at6native12_GLOBAL__N_18offset_tEEE10hipError_tPvRmT1_PNSt15iterator_traitsIS12_E10value_typeET2_T3_PNS13_IS18_E10value_typeET4_jRbjT5_S1E_jjP12ihipStream_tbEUljE_ZNSN_ISO_Lb0ESQ_SR_ST_SU_SY_EESZ_S10_S11_S12_S16_S17_S18_S1B_S1C_jS1D_jS1E_S1E_jjS1G_bEUljE0_EEESZ_S10_S11_S18_S1C_S1E_T6_T7_T9_mT8_S1G_bDpT10_ENKUlT_T0_E_clISt17integral_constantIbLb0EES1U_EEDaS1P_S1Q_EUlS1P_E_NS1_11comp_targetILNS1_3genE8ELNS1_11target_archE1030ELNS1_3gpuE2ELNS1_3repE0EEENS1_30default_config_static_selectorELNS0_4arch9wavefront6targetE0EEEvS12_.num_agpr, 0
	.set _ZN7rocprim17ROCPRIM_400000_NS6detail17trampoline_kernelINS0_13select_configILj256ELj13ELNS0_17block_load_methodE3ELS4_3ELS4_3ELNS0_20block_scan_algorithmE0ELj4294967295EEENS1_25partition_config_selectorILNS1_17partition_subalgoE4EjNS0_10empty_typeEbEEZZNS1_14partition_implILS8_4ELb0ES6_15HIP_vector_typeIjLj2EENS0_17counting_iteratorIjlEEPS9_SG_NS0_5tupleIJPjSI_NS0_16reverse_iteratorISI_EEEEENSH_IJSG_SG_SG_EEES9_SI_JZNS1_25segmented_radix_sort_implINS0_14default_configELb0EPKfPfPKlPlN2at6native12_GLOBAL__N_18offset_tEEE10hipError_tPvRmT1_PNSt15iterator_traitsIS12_E10value_typeET2_T3_PNS13_IS18_E10value_typeET4_jRbjT5_S1E_jjP12ihipStream_tbEUljE_ZNSN_ISO_Lb0ESQ_SR_ST_SU_SY_EESZ_S10_S11_S12_S16_S17_S18_S1B_S1C_jS1D_jS1E_S1E_jjS1G_bEUljE0_EEESZ_S10_S11_S18_S1C_S1E_T6_T7_T9_mT8_S1G_bDpT10_ENKUlT_T0_E_clISt17integral_constantIbLb0EES1U_EEDaS1P_S1Q_EUlS1P_E_NS1_11comp_targetILNS1_3genE8ELNS1_11target_archE1030ELNS1_3gpuE2ELNS1_3repE0EEENS1_30default_config_static_selectorELNS0_4arch9wavefront6targetE0EEEvS12_.numbered_sgpr, 0
	.set _ZN7rocprim17ROCPRIM_400000_NS6detail17trampoline_kernelINS0_13select_configILj256ELj13ELNS0_17block_load_methodE3ELS4_3ELS4_3ELNS0_20block_scan_algorithmE0ELj4294967295EEENS1_25partition_config_selectorILNS1_17partition_subalgoE4EjNS0_10empty_typeEbEEZZNS1_14partition_implILS8_4ELb0ES6_15HIP_vector_typeIjLj2EENS0_17counting_iteratorIjlEEPS9_SG_NS0_5tupleIJPjSI_NS0_16reverse_iteratorISI_EEEEENSH_IJSG_SG_SG_EEES9_SI_JZNS1_25segmented_radix_sort_implINS0_14default_configELb0EPKfPfPKlPlN2at6native12_GLOBAL__N_18offset_tEEE10hipError_tPvRmT1_PNSt15iterator_traitsIS12_E10value_typeET2_T3_PNS13_IS18_E10value_typeET4_jRbjT5_S1E_jjP12ihipStream_tbEUljE_ZNSN_ISO_Lb0ESQ_SR_ST_SU_SY_EESZ_S10_S11_S12_S16_S17_S18_S1B_S1C_jS1D_jS1E_S1E_jjS1G_bEUljE0_EEESZ_S10_S11_S18_S1C_S1E_T6_T7_T9_mT8_S1G_bDpT10_ENKUlT_T0_E_clISt17integral_constantIbLb0EES1U_EEDaS1P_S1Q_EUlS1P_E_NS1_11comp_targetILNS1_3genE8ELNS1_11target_archE1030ELNS1_3gpuE2ELNS1_3repE0EEENS1_30default_config_static_selectorELNS0_4arch9wavefront6targetE0EEEvS12_.num_named_barrier, 0
	.set _ZN7rocprim17ROCPRIM_400000_NS6detail17trampoline_kernelINS0_13select_configILj256ELj13ELNS0_17block_load_methodE3ELS4_3ELS4_3ELNS0_20block_scan_algorithmE0ELj4294967295EEENS1_25partition_config_selectorILNS1_17partition_subalgoE4EjNS0_10empty_typeEbEEZZNS1_14partition_implILS8_4ELb0ES6_15HIP_vector_typeIjLj2EENS0_17counting_iteratorIjlEEPS9_SG_NS0_5tupleIJPjSI_NS0_16reverse_iteratorISI_EEEEENSH_IJSG_SG_SG_EEES9_SI_JZNS1_25segmented_radix_sort_implINS0_14default_configELb0EPKfPfPKlPlN2at6native12_GLOBAL__N_18offset_tEEE10hipError_tPvRmT1_PNSt15iterator_traitsIS12_E10value_typeET2_T3_PNS13_IS18_E10value_typeET4_jRbjT5_S1E_jjP12ihipStream_tbEUljE_ZNSN_ISO_Lb0ESQ_SR_ST_SU_SY_EESZ_S10_S11_S12_S16_S17_S18_S1B_S1C_jS1D_jS1E_S1E_jjS1G_bEUljE0_EEESZ_S10_S11_S18_S1C_S1E_T6_T7_T9_mT8_S1G_bDpT10_ENKUlT_T0_E_clISt17integral_constantIbLb0EES1U_EEDaS1P_S1Q_EUlS1P_E_NS1_11comp_targetILNS1_3genE8ELNS1_11target_archE1030ELNS1_3gpuE2ELNS1_3repE0EEENS1_30default_config_static_selectorELNS0_4arch9wavefront6targetE0EEEvS12_.private_seg_size, 0
	.set _ZN7rocprim17ROCPRIM_400000_NS6detail17trampoline_kernelINS0_13select_configILj256ELj13ELNS0_17block_load_methodE3ELS4_3ELS4_3ELNS0_20block_scan_algorithmE0ELj4294967295EEENS1_25partition_config_selectorILNS1_17partition_subalgoE4EjNS0_10empty_typeEbEEZZNS1_14partition_implILS8_4ELb0ES6_15HIP_vector_typeIjLj2EENS0_17counting_iteratorIjlEEPS9_SG_NS0_5tupleIJPjSI_NS0_16reverse_iteratorISI_EEEEENSH_IJSG_SG_SG_EEES9_SI_JZNS1_25segmented_radix_sort_implINS0_14default_configELb0EPKfPfPKlPlN2at6native12_GLOBAL__N_18offset_tEEE10hipError_tPvRmT1_PNSt15iterator_traitsIS12_E10value_typeET2_T3_PNS13_IS18_E10value_typeET4_jRbjT5_S1E_jjP12ihipStream_tbEUljE_ZNSN_ISO_Lb0ESQ_SR_ST_SU_SY_EESZ_S10_S11_S12_S16_S17_S18_S1B_S1C_jS1D_jS1E_S1E_jjS1G_bEUljE0_EEESZ_S10_S11_S18_S1C_S1E_T6_T7_T9_mT8_S1G_bDpT10_ENKUlT_T0_E_clISt17integral_constantIbLb0EES1U_EEDaS1P_S1Q_EUlS1P_E_NS1_11comp_targetILNS1_3genE8ELNS1_11target_archE1030ELNS1_3gpuE2ELNS1_3repE0EEENS1_30default_config_static_selectorELNS0_4arch9wavefront6targetE0EEEvS12_.uses_vcc, 0
	.set _ZN7rocprim17ROCPRIM_400000_NS6detail17trampoline_kernelINS0_13select_configILj256ELj13ELNS0_17block_load_methodE3ELS4_3ELS4_3ELNS0_20block_scan_algorithmE0ELj4294967295EEENS1_25partition_config_selectorILNS1_17partition_subalgoE4EjNS0_10empty_typeEbEEZZNS1_14partition_implILS8_4ELb0ES6_15HIP_vector_typeIjLj2EENS0_17counting_iteratorIjlEEPS9_SG_NS0_5tupleIJPjSI_NS0_16reverse_iteratorISI_EEEEENSH_IJSG_SG_SG_EEES9_SI_JZNS1_25segmented_radix_sort_implINS0_14default_configELb0EPKfPfPKlPlN2at6native12_GLOBAL__N_18offset_tEEE10hipError_tPvRmT1_PNSt15iterator_traitsIS12_E10value_typeET2_T3_PNS13_IS18_E10value_typeET4_jRbjT5_S1E_jjP12ihipStream_tbEUljE_ZNSN_ISO_Lb0ESQ_SR_ST_SU_SY_EESZ_S10_S11_S12_S16_S17_S18_S1B_S1C_jS1D_jS1E_S1E_jjS1G_bEUljE0_EEESZ_S10_S11_S18_S1C_S1E_T6_T7_T9_mT8_S1G_bDpT10_ENKUlT_T0_E_clISt17integral_constantIbLb0EES1U_EEDaS1P_S1Q_EUlS1P_E_NS1_11comp_targetILNS1_3genE8ELNS1_11target_archE1030ELNS1_3gpuE2ELNS1_3repE0EEENS1_30default_config_static_selectorELNS0_4arch9wavefront6targetE0EEEvS12_.uses_flat_scratch, 0
	.set _ZN7rocprim17ROCPRIM_400000_NS6detail17trampoline_kernelINS0_13select_configILj256ELj13ELNS0_17block_load_methodE3ELS4_3ELS4_3ELNS0_20block_scan_algorithmE0ELj4294967295EEENS1_25partition_config_selectorILNS1_17partition_subalgoE4EjNS0_10empty_typeEbEEZZNS1_14partition_implILS8_4ELb0ES6_15HIP_vector_typeIjLj2EENS0_17counting_iteratorIjlEEPS9_SG_NS0_5tupleIJPjSI_NS0_16reverse_iteratorISI_EEEEENSH_IJSG_SG_SG_EEES9_SI_JZNS1_25segmented_radix_sort_implINS0_14default_configELb0EPKfPfPKlPlN2at6native12_GLOBAL__N_18offset_tEEE10hipError_tPvRmT1_PNSt15iterator_traitsIS12_E10value_typeET2_T3_PNS13_IS18_E10value_typeET4_jRbjT5_S1E_jjP12ihipStream_tbEUljE_ZNSN_ISO_Lb0ESQ_SR_ST_SU_SY_EESZ_S10_S11_S12_S16_S17_S18_S1B_S1C_jS1D_jS1E_S1E_jjS1G_bEUljE0_EEESZ_S10_S11_S18_S1C_S1E_T6_T7_T9_mT8_S1G_bDpT10_ENKUlT_T0_E_clISt17integral_constantIbLb0EES1U_EEDaS1P_S1Q_EUlS1P_E_NS1_11comp_targetILNS1_3genE8ELNS1_11target_archE1030ELNS1_3gpuE2ELNS1_3repE0EEENS1_30default_config_static_selectorELNS0_4arch9wavefront6targetE0EEEvS12_.has_dyn_sized_stack, 0
	.set _ZN7rocprim17ROCPRIM_400000_NS6detail17trampoline_kernelINS0_13select_configILj256ELj13ELNS0_17block_load_methodE3ELS4_3ELS4_3ELNS0_20block_scan_algorithmE0ELj4294967295EEENS1_25partition_config_selectorILNS1_17partition_subalgoE4EjNS0_10empty_typeEbEEZZNS1_14partition_implILS8_4ELb0ES6_15HIP_vector_typeIjLj2EENS0_17counting_iteratorIjlEEPS9_SG_NS0_5tupleIJPjSI_NS0_16reverse_iteratorISI_EEEEENSH_IJSG_SG_SG_EEES9_SI_JZNS1_25segmented_radix_sort_implINS0_14default_configELb0EPKfPfPKlPlN2at6native12_GLOBAL__N_18offset_tEEE10hipError_tPvRmT1_PNSt15iterator_traitsIS12_E10value_typeET2_T3_PNS13_IS18_E10value_typeET4_jRbjT5_S1E_jjP12ihipStream_tbEUljE_ZNSN_ISO_Lb0ESQ_SR_ST_SU_SY_EESZ_S10_S11_S12_S16_S17_S18_S1B_S1C_jS1D_jS1E_S1E_jjS1G_bEUljE0_EEESZ_S10_S11_S18_S1C_S1E_T6_T7_T9_mT8_S1G_bDpT10_ENKUlT_T0_E_clISt17integral_constantIbLb0EES1U_EEDaS1P_S1Q_EUlS1P_E_NS1_11comp_targetILNS1_3genE8ELNS1_11target_archE1030ELNS1_3gpuE2ELNS1_3repE0EEENS1_30default_config_static_selectorELNS0_4arch9wavefront6targetE0EEEvS12_.has_recursion, 0
	.set _ZN7rocprim17ROCPRIM_400000_NS6detail17trampoline_kernelINS0_13select_configILj256ELj13ELNS0_17block_load_methodE3ELS4_3ELS4_3ELNS0_20block_scan_algorithmE0ELj4294967295EEENS1_25partition_config_selectorILNS1_17partition_subalgoE4EjNS0_10empty_typeEbEEZZNS1_14partition_implILS8_4ELb0ES6_15HIP_vector_typeIjLj2EENS0_17counting_iteratorIjlEEPS9_SG_NS0_5tupleIJPjSI_NS0_16reverse_iteratorISI_EEEEENSH_IJSG_SG_SG_EEES9_SI_JZNS1_25segmented_radix_sort_implINS0_14default_configELb0EPKfPfPKlPlN2at6native12_GLOBAL__N_18offset_tEEE10hipError_tPvRmT1_PNSt15iterator_traitsIS12_E10value_typeET2_T3_PNS13_IS18_E10value_typeET4_jRbjT5_S1E_jjP12ihipStream_tbEUljE_ZNSN_ISO_Lb0ESQ_SR_ST_SU_SY_EESZ_S10_S11_S12_S16_S17_S18_S1B_S1C_jS1D_jS1E_S1E_jjS1G_bEUljE0_EEESZ_S10_S11_S18_S1C_S1E_T6_T7_T9_mT8_S1G_bDpT10_ENKUlT_T0_E_clISt17integral_constantIbLb0EES1U_EEDaS1P_S1Q_EUlS1P_E_NS1_11comp_targetILNS1_3genE8ELNS1_11target_archE1030ELNS1_3gpuE2ELNS1_3repE0EEENS1_30default_config_static_selectorELNS0_4arch9wavefront6targetE0EEEvS12_.has_indirect_call, 0
	.section	.AMDGPU.csdata,"",@progbits
; Kernel info:
; codeLenInByte = 0
; TotalNumSgprs: 0
; NumVgprs: 0
; ScratchSize: 0
; MemoryBound: 0
; FloatMode: 240
; IeeeMode: 1
; LDSByteSize: 0 bytes/workgroup (compile time only)
; SGPRBlocks: 0
; VGPRBlocks: 0
; NumSGPRsForWavesPerEU: 1
; NumVGPRsForWavesPerEU: 1
; Occupancy: 16
; WaveLimiterHint : 0
; COMPUTE_PGM_RSRC2:SCRATCH_EN: 0
; COMPUTE_PGM_RSRC2:USER_SGPR: 2
; COMPUTE_PGM_RSRC2:TRAP_HANDLER: 0
; COMPUTE_PGM_RSRC2:TGID_X_EN: 1
; COMPUTE_PGM_RSRC2:TGID_Y_EN: 0
; COMPUTE_PGM_RSRC2:TGID_Z_EN: 0
; COMPUTE_PGM_RSRC2:TIDIG_COMP_CNT: 0
	.section	.text._ZN7rocprim17ROCPRIM_400000_NS6detail17trampoline_kernelINS0_13select_configILj256ELj13ELNS0_17block_load_methodE3ELS4_3ELS4_3ELNS0_20block_scan_algorithmE0ELj4294967295EEENS1_25partition_config_selectorILNS1_17partition_subalgoE4EjNS0_10empty_typeEbEEZZNS1_14partition_implILS8_4ELb0ES6_15HIP_vector_typeIjLj2EENS0_17counting_iteratorIjlEEPS9_SG_NS0_5tupleIJPjSI_NS0_16reverse_iteratorISI_EEEEENSH_IJSG_SG_SG_EEES9_SI_JZNS1_25segmented_radix_sort_implINS0_14default_configELb0EPKfPfPKlPlN2at6native12_GLOBAL__N_18offset_tEEE10hipError_tPvRmT1_PNSt15iterator_traitsIS12_E10value_typeET2_T3_PNS13_IS18_E10value_typeET4_jRbjT5_S1E_jjP12ihipStream_tbEUljE_ZNSN_ISO_Lb0ESQ_SR_ST_SU_SY_EESZ_S10_S11_S12_S16_S17_S18_S1B_S1C_jS1D_jS1E_S1E_jjS1G_bEUljE0_EEESZ_S10_S11_S18_S1C_S1E_T6_T7_T9_mT8_S1G_bDpT10_ENKUlT_T0_E_clISt17integral_constantIbLb1EES1U_EEDaS1P_S1Q_EUlS1P_E_NS1_11comp_targetILNS1_3genE0ELNS1_11target_archE4294967295ELNS1_3gpuE0ELNS1_3repE0EEENS1_30default_config_static_selectorELNS0_4arch9wavefront6targetE0EEEvS12_,"axG",@progbits,_ZN7rocprim17ROCPRIM_400000_NS6detail17trampoline_kernelINS0_13select_configILj256ELj13ELNS0_17block_load_methodE3ELS4_3ELS4_3ELNS0_20block_scan_algorithmE0ELj4294967295EEENS1_25partition_config_selectorILNS1_17partition_subalgoE4EjNS0_10empty_typeEbEEZZNS1_14partition_implILS8_4ELb0ES6_15HIP_vector_typeIjLj2EENS0_17counting_iteratorIjlEEPS9_SG_NS0_5tupleIJPjSI_NS0_16reverse_iteratorISI_EEEEENSH_IJSG_SG_SG_EEES9_SI_JZNS1_25segmented_radix_sort_implINS0_14default_configELb0EPKfPfPKlPlN2at6native12_GLOBAL__N_18offset_tEEE10hipError_tPvRmT1_PNSt15iterator_traitsIS12_E10value_typeET2_T3_PNS13_IS18_E10value_typeET4_jRbjT5_S1E_jjP12ihipStream_tbEUljE_ZNSN_ISO_Lb0ESQ_SR_ST_SU_SY_EESZ_S10_S11_S12_S16_S17_S18_S1B_S1C_jS1D_jS1E_S1E_jjS1G_bEUljE0_EEESZ_S10_S11_S18_S1C_S1E_T6_T7_T9_mT8_S1G_bDpT10_ENKUlT_T0_E_clISt17integral_constantIbLb1EES1U_EEDaS1P_S1Q_EUlS1P_E_NS1_11comp_targetILNS1_3genE0ELNS1_11target_archE4294967295ELNS1_3gpuE0ELNS1_3repE0EEENS1_30default_config_static_selectorELNS0_4arch9wavefront6targetE0EEEvS12_,comdat
	.globl	_ZN7rocprim17ROCPRIM_400000_NS6detail17trampoline_kernelINS0_13select_configILj256ELj13ELNS0_17block_load_methodE3ELS4_3ELS4_3ELNS0_20block_scan_algorithmE0ELj4294967295EEENS1_25partition_config_selectorILNS1_17partition_subalgoE4EjNS0_10empty_typeEbEEZZNS1_14partition_implILS8_4ELb0ES6_15HIP_vector_typeIjLj2EENS0_17counting_iteratorIjlEEPS9_SG_NS0_5tupleIJPjSI_NS0_16reverse_iteratorISI_EEEEENSH_IJSG_SG_SG_EEES9_SI_JZNS1_25segmented_radix_sort_implINS0_14default_configELb0EPKfPfPKlPlN2at6native12_GLOBAL__N_18offset_tEEE10hipError_tPvRmT1_PNSt15iterator_traitsIS12_E10value_typeET2_T3_PNS13_IS18_E10value_typeET4_jRbjT5_S1E_jjP12ihipStream_tbEUljE_ZNSN_ISO_Lb0ESQ_SR_ST_SU_SY_EESZ_S10_S11_S12_S16_S17_S18_S1B_S1C_jS1D_jS1E_S1E_jjS1G_bEUljE0_EEESZ_S10_S11_S18_S1C_S1E_T6_T7_T9_mT8_S1G_bDpT10_ENKUlT_T0_E_clISt17integral_constantIbLb1EES1U_EEDaS1P_S1Q_EUlS1P_E_NS1_11comp_targetILNS1_3genE0ELNS1_11target_archE4294967295ELNS1_3gpuE0ELNS1_3repE0EEENS1_30default_config_static_selectorELNS0_4arch9wavefront6targetE0EEEvS12_ ; -- Begin function _ZN7rocprim17ROCPRIM_400000_NS6detail17trampoline_kernelINS0_13select_configILj256ELj13ELNS0_17block_load_methodE3ELS4_3ELS4_3ELNS0_20block_scan_algorithmE0ELj4294967295EEENS1_25partition_config_selectorILNS1_17partition_subalgoE4EjNS0_10empty_typeEbEEZZNS1_14partition_implILS8_4ELb0ES6_15HIP_vector_typeIjLj2EENS0_17counting_iteratorIjlEEPS9_SG_NS0_5tupleIJPjSI_NS0_16reverse_iteratorISI_EEEEENSH_IJSG_SG_SG_EEES9_SI_JZNS1_25segmented_radix_sort_implINS0_14default_configELb0EPKfPfPKlPlN2at6native12_GLOBAL__N_18offset_tEEE10hipError_tPvRmT1_PNSt15iterator_traitsIS12_E10value_typeET2_T3_PNS13_IS18_E10value_typeET4_jRbjT5_S1E_jjP12ihipStream_tbEUljE_ZNSN_ISO_Lb0ESQ_SR_ST_SU_SY_EESZ_S10_S11_S12_S16_S17_S18_S1B_S1C_jS1D_jS1E_S1E_jjS1G_bEUljE0_EEESZ_S10_S11_S18_S1C_S1E_T6_T7_T9_mT8_S1G_bDpT10_ENKUlT_T0_E_clISt17integral_constantIbLb1EES1U_EEDaS1P_S1Q_EUlS1P_E_NS1_11comp_targetILNS1_3genE0ELNS1_11target_archE4294967295ELNS1_3gpuE0ELNS1_3repE0EEENS1_30default_config_static_selectorELNS0_4arch9wavefront6targetE0EEEvS12_
	.p2align	8
	.type	_ZN7rocprim17ROCPRIM_400000_NS6detail17trampoline_kernelINS0_13select_configILj256ELj13ELNS0_17block_load_methodE3ELS4_3ELS4_3ELNS0_20block_scan_algorithmE0ELj4294967295EEENS1_25partition_config_selectorILNS1_17partition_subalgoE4EjNS0_10empty_typeEbEEZZNS1_14partition_implILS8_4ELb0ES6_15HIP_vector_typeIjLj2EENS0_17counting_iteratorIjlEEPS9_SG_NS0_5tupleIJPjSI_NS0_16reverse_iteratorISI_EEEEENSH_IJSG_SG_SG_EEES9_SI_JZNS1_25segmented_radix_sort_implINS0_14default_configELb0EPKfPfPKlPlN2at6native12_GLOBAL__N_18offset_tEEE10hipError_tPvRmT1_PNSt15iterator_traitsIS12_E10value_typeET2_T3_PNS13_IS18_E10value_typeET4_jRbjT5_S1E_jjP12ihipStream_tbEUljE_ZNSN_ISO_Lb0ESQ_SR_ST_SU_SY_EESZ_S10_S11_S12_S16_S17_S18_S1B_S1C_jS1D_jS1E_S1E_jjS1G_bEUljE0_EEESZ_S10_S11_S18_S1C_S1E_T6_T7_T9_mT8_S1G_bDpT10_ENKUlT_T0_E_clISt17integral_constantIbLb1EES1U_EEDaS1P_S1Q_EUlS1P_E_NS1_11comp_targetILNS1_3genE0ELNS1_11target_archE4294967295ELNS1_3gpuE0ELNS1_3repE0EEENS1_30default_config_static_selectorELNS0_4arch9wavefront6targetE0EEEvS12_,@function
_ZN7rocprim17ROCPRIM_400000_NS6detail17trampoline_kernelINS0_13select_configILj256ELj13ELNS0_17block_load_methodE3ELS4_3ELS4_3ELNS0_20block_scan_algorithmE0ELj4294967295EEENS1_25partition_config_selectorILNS1_17partition_subalgoE4EjNS0_10empty_typeEbEEZZNS1_14partition_implILS8_4ELb0ES6_15HIP_vector_typeIjLj2EENS0_17counting_iteratorIjlEEPS9_SG_NS0_5tupleIJPjSI_NS0_16reverse_iteratorISI_EEEEENSH_IJSG_SG_SG_EEES9_SI_JZNS1_25segmented_radix_sort_implINS0_14default_configELb0EPKfPfPKlPlN2at6native12_GLOBAL__N_18offset_tEEE10hipError_tPvRmT1_PNSt15iterator_traitsIS12_E10value_typeET2_T3_PNS13_IS18_E10value_typeET4_jRbjT5_S1E_jjP12ihipStream_tbEUljE_ZNSN_ISO_Lb0ESQ_SR_ST_SU_SY_EESZ_S10_S11_S12_S16_S17_S18_S1B_S1C_jS1D_jS1E_S1E_jjS1G_bEUljE0_EEESZ_S10_S11_S18_S1C_S1E_T6_T7_T9_mT8_S1G_bDpT10_ENKUlT_T0_E_clISt17integral_constantIbLb1EES1U_EEDaS1P_S1Q_EUlS1P_E_NS1_11comp_targetILNS1_3genE0ELNS1_11target_archE4294967295ELNS1_3gpuE0ELNS1_3repE0EEENS1_30default_config_static_selectorELNS0_4arch9wavefront6targetE0EEEvS12_: ; @_ZN7rocprim17ROCPRIM_400000_NS6detail17trampoline_kernelINS0_13select_configILj256ELj13ELNS0_17block_load_methodE3ELS4_3ELS4_3ELNS0_20block_scan_algorithmE0ELj4294967295EEENS1_25partition_config_selectorILNS1_17partition_subalgoE4EjNS0_10empty_typeEbEEZZNS1_14partition_implILS8_4ELb0ES6_15HIP_vector_typeIjLj2EENS0_17counting_iteratorIjlEEPS9_SG_NS0_5tupleIJPjSI_NS0_16reverse_iteratorISI_EEEEENSH_IJSG_SG_SG_EEES9_SI_JZNS1_25segmented_radix_sort_implINS0_14default_configELb0EPKfPfPKlPlN2at6native12_GLOBAL__N_18offset_tEEE10hipError_tPvRmT1_PNSt15iterator_traitsIS12_E10value_typeET2_T3_PNS13_IS18_E10value_typeET4_jRbjT5_S1E_jjP12ihipStream_tbEUljE_ZNSN_ISO_Lb0ESQ_SR_ST_SU_SY_EESZ_S10_S11_S12_S16_S17_S18_S1B_S1C_jS1D_jS1E_S1E_jjS1G_bEUljE0_EEESZ_S10_S11_S18_S1C_S1E_T6_T7_T9_mT8_S1G_bDpT10_ENKUlT_T0_E_clISt17integral_constantIbLb1EES1U_EEDaS1P_S1Q_EUlS1P_E_NS1_11comp_targetILNS1_3genE0ELNS1_11target_archE4294967295ELNS1_3gpuE0ELNS1_3repE0EEENS1_30default_config_static_selectorELNS0_4arch9wavefront6targetE0EEEvS12_
; %bb.0:
	.section	.rodata,"a",@progbits
	.p2align	6, 0x0
	.amdhsa_kernel _ZN7rocprim17ROCPRIM_400000_NS6detail17trampoline_kernelINS0_13select_configILj256ELj13ELNS0_17block_load_methodE3ELS4_3ELS4_3ELNS0_20block_scan_algorithmE0ELj4294967295EEENS1_25partition_config_selectorILNS1_17partition_subalgoE4EjNS0_10empty_typeEbEEZZNS1_14partition_implILS8_4ELb0ES6_15HIP_vector_typeIjLj2EENS0_17counting_iteratorIjlEEPS9_SG_NS0_5tupleIJPjSI_NS0_16reverse_iteratorISI_EEEEENSH_IJSG_SG_SG_EEES9_SI_JZNS1_25segmented_radix_sort_implINS0_14default_configELb0EPKfPfPKlPlN2at6native12_GLOBAL__N_18offset_tEEE10hipError_tPvRmT1_PNSt15iterator_traitsIS12_E10value_typeET2_T3_PNS13_IS18_E10value_typeET4_jRbjT5_S1E_jjP12ihipStream_tbEUljE_ZNSN_ISO_Lb0ESQ_SR_ST_SU_SY_EESZ_S10_S11_S12_S16_S17_S18_S1B_S1C_jS1D_jS1E_S1E_jjS1G_bEUljE0_EEESZ_S10_S11_S18_S1C_S1E_T6_T7_T9_mT8_S1G_bDpT10_ENKUlT_T0_E_clISt17integral_constantIbLb1EES1U_EEDaS1P_S1Q_EUlS1P_E_NS1_11comp_targetILNS1_3genE0ELNS1_11target_archE4294967295ELNS1_3gpuE0ELNS1_3repE0EEENS1_30default_config_static_selectorELNS0_4arch9wavefront6targetE0EEEvS12_
		.amdhsa_group_segment_fixed_size 0
		.amdhsa_private_segment_fixed_size 0
		.amdhsa_kernarg_size 184
		.amdhsa_user_sgpr_count 2
		.amdhsa_user_sgpr_dispatch_ptr 0
		.amdhsa_user_sgpr_queue_ptr 0
		.amdhsa_user_sgpr_kernarg_segment_ptr 1
		.amdhsa_user_sgpr_dispatch_id 0
		.amdhsa_user_sgpr_private_segment_size 0
		.amdhsa_wavefront_size32 1
		.amdhsa_uses_dynamic_stack 0
		.amdhsa_enable_private_segment 0
		.amdhsa_system_sgpr_workgroup_id_x 1
		.amdhsa_system_sgpr_workgroup_id_y 0
		.amdhsa_system_sgpr_workgroup_id_z 0
		.amdhsa_system_sgpr_workgroup_info 0
		.amdhsa_system_vgpr_workitem_id 0
		.amdhsa_next_free_vgpr 1
		.amdhsa_next_free_sgpr 1
		.amdhsa_reserve_vcc 0
		.amdhsa_float_round_mode_32 0
		.amdhsa_float_round_mode_16_64 0
		.amdhsa_float_denorm_mode_32 3
		.amdhsa_float_denorm_mode_16_64 3
		.amdhsa_fp16_overflow 0
		.amdhsa_workgroup_processor_mode 1
		.amdhsa_memory_ordered 1
		.amdhsa_forward_progress 1
		.amdhsa_inst_pref_size 0
		.amdhsa_round_robin_scheduling 0
		.amdhsa_exception_fp_ieee_invalid_op 0
		.amdhsa_exception_fp_denorm_src 0
		.amdhsa_exception_fp_ieee_div_zero 0
		.amdhsa_exception_fp_ieee_overflow 0
		.amdhsa_exception_fp_ieee_underflow 0
		.amdhsa_exception_fp_ieee_inexact 0
		.amdhsa_exception_int_div_zero 0
	.end_amdhsa_kernel
	.section	.text._ZN7rocprim17ROCPRIM_400000_NS6detail17trampoline_kernelINS0_13select_configILj256ELj13ELNS0_17block_load_methodE3ELS4_3ELS4_3ELNS0_20block_scan_algorithmE0ELj4294967295EEENS1_25partition_config_selectorILNS1_17partition_subalgoE4EjNS0_10empty_typeEbEEZZNS1_14partition_implILS8_4ELb0ES6_15HIP_vector_typeIjLj2EENS0_17counting_iteratorIjlEEPS9_SG_NS0_5tupleIJPjSI_NS0_16reverse_iteratorISI_EEEEENSH_IJSG_SG_SG_EEES9_SI_JZNS1_25segmented_radix_sort_implINS0_14default_configELb0EPKfPfPKlPlN2at6native12_GLOBAL__N_18offset_tEEE10hipError_tPvRmT1_PNSt15iterator_traitsIS12_E10value_typeET2_T3_PNS13_IS18_E10value_typeET4_jRbjT5_S1E_jjP12ihipStream_tbEUljE_ZNSN_ISO_Lb0ESQ_SR_ST_SU_SY_EESZ_S10_S11_S12_S16_S17_S18_S1B_S1C_jS1D_jS1E_S1E_jjS1G_bEUljE0_EEESZ_S10_S11_S18_S1C_S1E_T6_T7_T9_mT8_S1G_bDpT10_ENKUlT_T0_E_clISt17integral_constantIbLb1EES1U_EEDaS1P_S1Q_EUlS1P_E_NS1_11comp_targetILNS1_3genE0ELNS1_11target_archE4294967295ELNS1_3gpuE0ELNS1_3repE0EEENS1_30default_config_static_selectorELNS0_4arch9wavefront6targetE0EEEvS12_,"axG",@progbits,_ZN7rocprim17ROCPRIM_400000_NS6detail17trampoline_kernelINS0_13select_configILj256ELj13ELNS0_17block_load_methodE3ELS4_3ELS4_3ELNS0_20block_scan_algorithmE0ELj4294967295EEENS1_25partition_config_selectorILNS1_17partition_subalgoE4EjNS0_10empty_typeEbEEZZNS1_14partition_implILS8_4ELb0ES6_15HIP_vector_typeIjLj2EENS0_17counting_iteratorIjlEEPS9_SG_NS0_5tupleIJPjSI_NS0_16reverse_iteratorISI_EEEEENSH_IJSG_SG_SG_EEES9_SI_JZNS1_25segmented_radix_sort_implINS0_14default_configELb0EPKfPfPKlPlN2at6native12_GLOBAL__N_18offset_tEEE10hipError_tPvRmT1_PNSt15iterator_traitsIS12_E10value_typeET2_T3_PNS13_IS18_E10value_typeET4_jRbjT5_S1E_jjP12ihipStream_tbEUljE_ZNSN_ISO_Lb0ESQ_SR_ST_SU_SY_EESZ_S10_S11_S12_S16_S17_S18_S1B_S1C_jS1D_jS1E_S1E_jjS1G_bEUljE0_EEESZ_S10_S11_S18_S1C_S1E_T6_T7_T9_mT8_S1G_bDpT10_ENKUlT_T0_E_clISt17integral_constantIbLb1EES1U_EEDaS1P_S1Q_EUlS1P_E_NS1_11comp_targetILNS1_3genE0ELNS1_11target_archE4294967295ELNS1_3gpuE0ELNS1_3repE0EEENS1_30default_config_static_selectorELNS0_4arch9wavefront6targetE0EEEvS12_,comdat
.Lfunc_end1372:
	.size	_ZN7rocprim17ROCPRIM_400000_NS6detail17trampoline_kernelINS0_13select_configILj256ELj13ELNS0_17block_load_methodE3ELS4_3ELS4_3ELNS0_20block_scan_algorithmE0ELj4294967295EEENS1_25partition_config_selectorILNS1_17partition_subalgoE4EjNS0_10empty_typeEbEEZZNS1_14partition_implILS8_4ELb0ES6_15HIP_vector_typeIjLj2EENS0_17counting_iteratorIjlEEPS9_SG_NS0_5tupleIJPjSI_NS0_16reverse_iteratorISI_EEEEENSH_IJSG_SG_SG_EEES9_SI_JZNS1_25segmented_radix_sort_implINS0_14default_configELb0EPKfPfPKlPlN2at6native12_GLOBAL__N_18offset_tEEE10hipError_tPvRmT1_PNSt15iterator_traitsIS12_E10value_typeET2_T3_PNS13_IS18_E10value_typeET4_jRbjT5_S1E_jjP12ihipStream_tbEUljE_ZNSN_ISO_Lb0ESQ_SR_ST_SU_SY_EESZ_S10_S11_S12_S16_S17_S18_S1B_S1C_jS1D_jS1E_S1E_jjS1G_bEUljE0_EEESZ_S10_S11_S18_S1C_S1E_T6_T7_T9_mT8_S1G_bDpT10_ENKUlT_T0_E_clISt17integral_constantIbLb1EES1U_EEDaS1P_S1Q_EUlS1P_E_NS1_11comp_targetILNS1_3genE0ELNS1_11target_archE4294967295ELNS1_3gpuE0ELNS1_3repE0EEENS1_30default_config_static_selectorELNS0_4arch9wavefront6targetE0EEEvS12_, .Lfunc_end1372-_ZN7rocprim17ROCPRIM_400000_NS6detail17trampoline_kernelINS0_13select_configILj256ELj13ELNS0_17block_load_methodE3ELS4_3ELS4_3ELNS0_20block_scan_algorithmE0ELj4294967295EEENS1_25partition_config_selectorILNS1_17partition_subalgoE4EjNS0_10empty_typeEbEEZZNS1_14partition_implILS8_4ELb0ES6_15HIP_vector_typeIjLj2EENS0_17counting_iteratorIjlEEPS9_SG_NS0_5tupleIJPjSI_NS0_16reverse_iteratorISI_EEEEENSH_IJSG_SG_SG_EEES9_SI_JZNS1_25segmented_radix_sort_implINS0_14default_configELb0EPKfPfPKlPlN2at6native12_GLOBAL__N_18offset_tEEE10hipError_tPvRmT1_PNSt15iterator_traitsIS12_E10value_typeET2_T3_PNS13_IS18_E10value_typeET4_jRbjT5_S1E_jjP12ihipStream_tbEUljE_ZNSN_ISO_Lb0ESQ_SR_ST_SU_SY_EESZ_S10_S11_S12_S16_S17_S18_S1B_S1C_jS1D_jS1E_S1E_jjS1G_bEUljE0_EEESZ_S10_S11_S18_S1C_S1E_T6_T7_T9_mT8_S1G_bDpT10_ENKUlT_T0_E_clISt17integral_constantIbLb1EES1U_EEDaS1P_S1Q_EUlS1P_E_NS1_11comp_targetILNS1_3genE0ELNS1_11target_archE4294967295ELNS1_3gpuE0ELNS1_3repE0EEENS1_30default_config_static_selectorELNS0_4arch9wavefront6targetE0EEEvS12_
                                        ; -- End function
	.set _ZN7rocprim17ROCPRIM_400000_NS6detail17trampoline_kernelINS0_13select_configILj256ELj13ELNS0_17block_load_methodE3ELS4_3ELS4_3ELNS0_20block_scan_algorithmE0ELj4294967295EEENS1_25partition_config_selectorILNS1_17partition_subalgoE4EjNS0_10empty_typeEbEEZZNS1_14partition_implILS8_4ELb0ES6_15HIP_vector_typeIjLj2EENS0_17counting_iteratorIjlEEPS9_SG_NS0_5tupleIJPjSI_NS0_16reverse_iteratorISI_EEEEENSH_IJSG_SG_SG_EEES9_SI_JZNS1_25segmented_radix_sort_implINS0_14default_configELb0EPKfPfPKlPlN2at6native12_GLOBAL__N_18offset_tEEE10hipError_tPvRmT1_PNSt15iterator_traitsIS12_E10value_typeET2_T3_PNS13_IS18_E10value_typeET4_jRbjT5_S1E_jjP12ihipStream_tbEUljE_ZNSN_ISO_Lb0ESQ_SR_ST_SU_SY_EESZ_S10_S11_S12_S16_S17_S18_S1B_S1C_jS1D_jS1E_S1E_jjS1G_bEUljE0_EEESZ_S10_S11_S18_S1C_S1E_T6_T7_T9_mT8_S1G_bDpT10_ENKUlT_T0_E_clISt17integral_constantIbLb1EES1U_EEDaS1P_S1Q_EUlS1P_E_NS1_11comp_targetILNS1_3genE0ELNS1_11target_archE4294967295ELNS1_3gpuE0ELNS1_3repE0EEENS1_30default_config_static_selectorELNS0_4arch9wavefront6targetE0EEEvS12_.num_vgpr, 0
	.set _ZN7rocprim17ROCPRIM_400000_NS6detail17trampoline_kernelINS0_13select_configILj256ELj13ELNS0_17block_load_methodE3ELS4_3ELS4_3ELNS0_20block_scan_algorithmE0ELj4294967295EEENS1_25partition_config_selectorILNS1_17partition_subalgoE4EjNS0_10empty_typeEbEEZZNS1_14partition_implILS8_4ELb0ES6_15HIP_vector_typeIjLj2EENS0_17counting_iteratorIjlEEPS9_SG_NS0_5tupleIJPjSI_NS0_16reverse_iteratorISI_EEEEENSH_IJSG_SG_SG_EEES9_SI_JZNS1_25segmented_radix_sort_implINS0_14default_configELb0EPKfPfPKlPlN2at6native12_GLOBAL__N_18offset_tEEE10hipError_tPvRmT1_PNSt15iterator_traitsIS12_E10value_typeET2_T3_PNS13_IS18_E10value_typeET4_jRbjT5_S1E_jjP12ihipStream_tbEUljE_ZNSN_ISO_Lb0ESQ_SR_ST_SU_SY_EESZ_S10_S11_S12_S16_S17_S18_S1B_S1C_jS1D_jS1E_S1E_jjS1G_bEUljE0_EEESZ_S10_S11_S18_S1C_S1E_T6_T7_T9_mT8_S1G_bDpT10_ENKUlT_T0_E_clISt17integral_constantIbLb1EES1U_EEDaS1P_S1Q_EUlS1P_E_NS1_11comp_targetILNS1_3genE0ELNS1_11target_archE4294967295ELNS1_3gpuE0ELNS1_3repE0EEENS1_30default_config_static_selectorELNS0_4arch9wavefront6targetE0EEEvS12_.num_agpr, 0
	.set _ZN7rocprim17ROCPRIM_400000_NS6detail17trampoline_kernelINS0_13select_configILj256ELj13ELNS0_17block_load_methodE3ELS4_3ELS4_3ELNS0_20block_scan_algorithmE0ELj4294967295EEENS1_25partition_config_selectorILNS1_17partition_subalgoE4EjNS0_10empty_typeEbEEZZNS1_14partition_implILS8_4ELb0ES6_15HIP_vector_typeIjLj2EENS0_17counting_iteratorIjlEEPS9_SG_NS0_5tupleIJPjSI_NS0_16reverse_iteratorISI_EEEEENSH_IJSG_SG_SG_EEES9_SI_JZNS1_25segmented_radix_sort_implINS0_14default_configELb0EPKfPfPKlPlN2at6native12_GLOBAL__N_18offset_tEEE10hipError_tPvRmT1_PNSt15iterator_traitsIS12_E10value_typeET2_T3_PNS13_IS18_E10value_typeET4_jRbjT5_S1E_jjP12ihipStream_tbEUljE_ZNSN_ISO_Lb0ESQ_SR_ST_SU_SY_EESZ_S10_S11_S12_S16_S17_S18_S1B_S1C_jS1D_jS1E_S1E_jjS1G_bEUljE0_EEESZ_S10_S11_S18_S1C_S1E_T6_T7_T9_mT8_S1G_bDpT10_ENKUlT_T0_E_clISt17integral_constantIbLb1EES1U_EEDaS1P_S1Q_EUlS1P_E_NS1_11comp_targetILNS1_3genE0ELNS1_11target_archE4294967295ELNS1_3gpuE0ELNS1_3repE0EEENS1_30default_config_static_selectorELNS0_4arch9wavefront6targetE0EEEvS12_.numbered_sgpr, 0
	.set _ZN7rocprim17ROCPRIM_400000_NS6detail17trampoline_kernelINS0_13select_configILj256ELj13ELNS0_17block_load_methodE3ELS4_3ELS4_3ELNS0_20block_scan_algorithmE0ELj4294967295EEENS1_25partition_config_selectorILNS1_17partition_subalgoE4EjNS0_10empty_typeEbEEZZNS1_14partition_implILS8_4ELb0ES6_15HIP_vector_typeIjLj2EENS0_17counting_iteratorIjlEEPS9_SG_NS0_5tupleIJPjSI_NS0_16reverse_iteratorISI_EEEEENSH_IJSG_SG_SG_EEES9_SI_JZNS1_25segmented_radix_sort_implINS0_14default_configELb0EPKfPfPKlPlN2at6native12_GLOBAL__N_18offset_tEEE10hipError_tPvRmT1_PNSt15iterator_traitsIS12_E10value_typeET2_T3_PNS13_IS18_E10value_typeET4_jRbjT5_S1E_jjP12ihipStream_tbEUljE_ZNSN_ISO_Lb0ESQ_SR_ST_SU_SY_EESZ_S10_S11_S12_S16_S17_S18_S1B_S1C_jS1D_jS1E_S1E_jjS1G_bEUljE0_EEESZ_S10_S11_S18_S1C_S1E_T6_T7_T9_mT8_S1G_bDpT10_ENKUlT_T0_E_clISt17integral_constantIbLb1EES1U_EEDaS1P_S1Q_EUlS1P_E_NS1_11comp_targetILNS1_3genE0ELNS1_11target_archE4294967295ELNS1_3gpuE0ELNS1_3repE0EEENS1_30default_config_static_selectorELNS0_4arch9wavefront6targetE0EEEvS12_.num_named_barrier, 0
	.set _ZN7rocprim17ROCPRIM_400000_NS6detail17trampoline_kernelINS0_13select_configILj256ELj13ELNS0_17block_load_methodE3ELS4_3ELS4_3ELNS0_20block_scan_algorithmE0ELj4294967295EEENS1_25partition_config_selectorILNS1_17partition_subalgoE4EjNS0_10empty_typeEbEEZZNS1_14partition_implILS8_4ELb0ES6_15HIP_vector_typeIjLj2EENS0_17counting_iteratorIjlEEPS9_SG_NS0_5tupleIJPjSI_NS0_16reverse_iteratorISI_EEEEENSH_IJSG_SG_SG_EEES9_SI_JZNS1_25segmented_radix_sort_implINS0_14default_configELb0EPKfPfPKlPlN2at6native12_GLOBAL__N_18offset_tEEE10hipError_tPvRmT1_PNSt15iterator_traitsIS12_E10value_typeET2_T3_PNS13_IS18_E10value_typeET4_jRbjT5_S1E_jjP12ihipStream_tbEUljE_ZNSN_ISO_Lb0ESQ_SR_ST_SU_SY_EESZ_S10_S11_S12_S16_S17_S18_S1B_S1C_jS1D_jS1E_S1E_jjS1G_bEUljE0_EEESZ_S10_S11_S18_S1C_S1E_T6_T7_T9_mT8_S1G_bDpT10_ENKUlT_T0_E_clISt17integral_constantIbLb1EES1U_EEDaS1P_S1Q_EUlS1P_E_NS1_11comp_targetILNS1_3genE0ELNS1_11target_archE4294967295ELNS1_3gpuE0ELNS1_3repE0EEENS1_30default_config_static_selectorELNS0_4arch9wavefront6targetE0EEEvS12_.private_seg_size, 0
	.set _ZN7rocprim17ROCPRIM_400000_NS6detail17trampoline_kernelINS0_13select_configILj256ELj13ELNS0_17block_load_methodE3ELS4_3ELS4_3ELNS0_20block_scan_algorithmE0ELj4294967295EEENS1_25partition_config_selectorILNS1_17partition_subalgoE4EjNS0_10empty_typeEbEEZZNS1_14partition_implILS8_4ELb0ES6_15HIP_vector_typeIjLj2EENS0_17counting_iteratorIjlEEPS9_SG_NS0_5tupleIJPjSI_NS0_16reverse_iteratorISI_EEEEENSH_IJSG_SG_SG_EEES9_SI_JZNS1_25segmented_radix_sort_implINS0_14default_configELb0EPKfPfPKlPlN2at6native12_GLOBAL__N_18offset_tEEE10hipError_tPvRmT1_PNSt15iterator_traitsIS12_E10value_typeET2_T3_PNS13_IS18_E10value_typeET4_jRbjT5_S1E_jjP12ihipStream_tbEUljE_ZNSN_ISO_Lb0ESQ_SR_ST_SU_SY_EESZ_S10_S11_S12_S16_S17_S18_S1B_S1C_jS1D_jS1E_S1E_jjS1G_bEUljE0_EEESZ_S10_S11_S18_S1C_S1E_T6_T7_T9_mT8_S1G_bDpT10_ENKUlT_T0_E_clISt17integral_constantIbLb1EES1U_EEDaS1P_S1Q_EUlS1P_E_NS1_11comp_targetILNS1_3genE0ELNS1_11target_archE4294967295ELNS1_3gpuE0ELNS1_3repE0EEENS1_30default_config_static_selectorELNS0_4arch9wavefront6targetE0EEEvS12_.uses_vcc, 0
	.set _ZN7rocprim17ROCPRIM_400000_NS6detail17trampoline_kernelINS0_13select_configILj256ELj13ELNS0_17block_load_methodE3ELS4_3ELS4_3ELNS0_20block_scan_algorithmE0ELj4294967295EEENS1_25partition_config_selectorILNS1_17partition_subalgoE4EjNS0_10empty_typeEbEEZZNS1_14partition_implILS8_4ELb0ES6_15HIP_vector_typeIjLj2EENS0_17counting_iteratorIjlEEPS9_SG_NS0_5tupleIJPjSI_NS0_16reverse_iteratorISI_EEEEENSH_IJSG_SG_SG_EEES9_SI_JZNS1_25segmented_radix_sort_implINS0_14default_configELb0EPKfPfPKlPlN2at6native12_GLOBAL__N_18offset_tEEE10hipError_tPvRmT1_PNSt15iterator_traitsIS12_E10value_typeET2_T3_PNS13_IS18_E10value_typeET4_jRbjT5_S1E_jjP12ihipStream_tbEUljE_ZNSN_ISO_Lb0ESQ_SR_ST_SU_SY_EESZ_S10_S11_S12_S16_S17_S18_S1B_S1C_jS1D_jS1E_S1E_jjS1G_bEUljE0_EEESZ_S10_S11_S18_S1C_S1E_T6_T7_T9_mT8_S1G_bDpT10_ENKUlT_T0_E_clISt17integral_constantIbLb1EES1U_EEDaS1P_S1Q_EUlS1P_E_NS1_11comp_targetILNS1_3genE0ELNS1_11target_archE4294967295ELNS1_3gpuE0ELNS1_3repE0EEENS1_30default_config_static_selectorELNS0_4arch9wavefront6targetE0EEEvS12_.uses_flat_scratch, 0
	.set _ZN7rocprim17ROCPRIM_400000_NS6detail17trampoline_kernelINS0_13select_configILj256ELj13ELNS0_17block_load_methodE3ELS4_3ELS4_3ELNS0_20block_scan_algorithmE0ELj4294967295EEENS1_25partition_config_selectorILNS1_17partition_subalgoE4EjNS0_10empty_typeEbEEZZNS1_14partition_implILS8_4ELb0ES6_15HIP_vector_typeIjLj2EENS0_17counting_iteratorIjlEEPS9_SG_NS0_5tupleIJPjSI_NS0_16reverse_iteratorISI_EEEEENSH_IJSG_SG_SG_EEES9_SI_JZNS1_25segmented_radix_sort_implINS0_14default_configELb0EPKfPfPKlPlN2at6native12_GLOBAL__N_18offset_tEEE10hipError_tPvRmT1_PNSt15iterator_traitsIS12_E10value_typeET2_T3_PNS13_IS18_E10value_typeET4_jRbjT5_S1E_jjP12ihipStream_tbEUljE_ZNSN_ISO_Lb0ESQ_SR_ST_SU_SY_EESZ_S10_S11_S12_S16_S17_S18_S1B_S1C_jS1D_jS1E_S1E_jjS1G_bEUljE0_EEESZ_S10_S11_S18_S1C_S1E_T6_T7_T9_mT8_S1G_bDpT10_ENKUlT_T0_E_clISt17integral_constantIbLb1EES1U_EEDaS1P_S1Q_EUlS1P_E_NS1_11comp_targetILNS1_3genE0ELNS1_11target_archE4294967295ELNS1_3gpuE0ELNS1_3repE0EEENS1_30default_config_static_selectorELNS0_4arch9wavefront6targetE0EEEvS12_.has_dyn_sized_stack, 0
	.set _ZN7rocprim17ROCPRIM_400000_NS6detail17trampoline_kernelINS0_13select_configILj256ELj13ELNS0_17block_load_methodE3ELS4_3ELS4_3ELNS0_20block_scan_algorithmE0ELj4294967295EEENS1_25partition_config_selectorILNS1_17partition_subalgoE4EjNS0_10empty_typeEbEEZZNS1_14partition_implILS8_4ELb0ES6_15HIP_vector_typeIjLj2EENS0_17counting_iteratorIjlEEPS9_SG_NS0_5tupleIJPjSI_NS0_16reverse_iteratorISI_EEEEENSH_IJSG_SG_SG_EEES9_SI_JZNS1_25segmented_radix_sort_implINS0_14default_configELb0EPKfPfPKlPlN2at6native12_GLOBAL__N_18offset_tEEE10hipError_tPvRmT1_PNSt15iterator_traitsIS12_E10value_typeET2_T3_PNS13_IS18_E10value_typeET4_jRbjT5_S1E_jjP12ihipStream_tbEUljE_ZNSN_ISO_Lb0ESQ_SR_ST_SU_SY_EESZ_S10_S11_S12_S16_S17_S18_S1B_S1C_jS1D_jS1E_S1E_jjS1G_bEUljE0_EEESZ_S10_S11_S18_S1C_S1E_T6_T7_T9_mT8_S1G_bDpT10_ENKUlT_T0_E_clISt17integral_constantIbLb1EES1U_EEDaS1P_S1Q_EUlS1P_E_NS1_11comp_targetILNS1_3genE0ELNS1_11target_archE4294967295ELNS1_3gpuE0ELNS1_3repE0EEENS1_30default_config_static_selectorELNS0_4arch9wavefront6targetE0EEEvS12_.has_recursion, 0
	.set _ZN7rocprim17ROCPRIM_400000_NS6detail17trampoline_kernelINS0_13select_configILj256ELj13ELNS0_17block_load_methodE3ELS4_3ELS4_3ELNS0_20block_scan_algorithmE0ELj4294967295EEENS1_25partition_config_selectorILNS1_17partition_subalgoE4EjNS0_10empty_typeEbEEZZNS1_14partition_implILS8_4ELb0ES6_15HIP_vector_typeIjLj2EENS0_17counting_iteratorIjlEEPS9_SG_NS0_5tupleIJPjSI_NS0_16reverse_iteratorISI_EEEEENSH_IJSG_SG_SG_EEES9_SI_JZNS1_25segmented_radix_sort_implINS0_14default_configELb0EPKfPfPKlPlN2at6native12_GLOBAL__N_18offset_tEEE10hipError_tPvRmT1_PNSt15iterator_traitsIS12_E10value_typeET2_T3_PNS13_IS18_E10value_typeET4_jRbjT5_S1E_jjP12ihipStream_tbEUljE_ZNSN_ISO_Lb0ESQ_SR_ST_SU_SY_EESZ_S10_S11_S12_S16_S17_S18_S1B_S1C_jS1D_jS1E_S1E_jjS1G_bEUljE0_EEESZ_S10_S11_S18_S1C_S1E_T6_T7_T9_mT8_S1G_bDpT10_ENKUlT_T0_E_clISt17integral_constantIbLb1EES1U_EEDaS1P_S1Q_EUlS1P_E_NS1_11comp_targetILNS1_3genE0ELNS1_11target_archE4294967295ELNS1_3gpuE0ELNS1_3repE0EEENS1_30default_config_static_selectorELNS0_4arch9wavefront6targetE0EEEvS12_.has_indirect_call, 0
	.section	.AMDGPU.csdata,"",@progbits
; Kernel info:
; codeLenInByte = 0
; TotalNumSgprs: 0
; NumVgprs: 0
; ScratchSize: 0
; MemoryBound: 0
; FloatMode: 240
; IeeeMode: 1
; LDSByteSize: 0 bytes/workgroup (compile time only)
; SGPRBlocks: 0
; VGPRBlocks: 0
; NumSGPRsForWavesPerEU: 1
; NumVGPRsForWavesPerEU: 1
; Occupancy: 16
; WaveLimiterHint : 0
; COMPUTE_PGM_RSRC2:SCRATCH_EN: 0
; COMPUTE_PGM_RSRC2:USER_SGPR: 2
; COMPUTE_PGM_RSRC2:TRAP_HANDLER: 0
; COMPUTE_PGM_RSRC2:TGID_X_EN: 1
; COMPUTE_PGM_RSRC2:TGID_Y_EN: 0
; COMPUTE_PGM_RSRC2:TGID_Z_EN: 0
; COMPUTE_PGM_RSRC2:TIDIG_COMP_CNT: 0
	.section	.text._ZN7rocprim17ROCPRIM_400000_NS6detail17trampoline_kernelINS0_13select_configILj256ELj13ELNS0_17block_load_methodE3ELS4_3ELS4_3ELNS0_20block_scan_algorithmE0ELj4294967295EEENS1_25partition_config_selectorILNS1_17partition_subalgoE4EjNS0_10empty_typeEbEEZZNS1_14partition_implILS8_4ELb0ES6_15HIP_vector_typeIjLj2EENS0_17counting_iteratorIjlEEPS9_SG_NS0_5tupleIJPjSI_NS0_16reverse_iteratorISI_EEEEENSH_IJSG_SG_SG_EEES9_SI_JZNS1_25segmented_radix_sort_implINS0_14default_configELb0EPKfPfPKlPlN2at6native12_GLOBAL__N_18offset_tEEE10hipError_tPvRmT1_PNSt15iterator_traitsIS12_E10value_typeET2_T3_PNS13_IS18_E10value_typeET4_jRbjT5_S1E_jjP12ihipStream_tbEUljE_ZNSN_ISO_Lb0ESQ_SR_ST_SU_SY_EESZ_S10_S11_S12_S16_S17_S18_S1B_S1C_jS1D_jS1E_S1E_jjS1G_bEUljE0_EEESZ_S10_S11_S18_S1C_S1E_T6_T7_T9_mT8_S1G_bDpT10_ENKUlT_T0_E_clISt17integral_constantIbLb1EES1U_EEDaS1P_S1Q_EUlS1P_E_NS1_11comp_targetILNS1_3genE5ELNS1_11target_archE942ELNS1_3gpuE9ELNS1_3repE0EEENS1_30default_config_static_selectorELNS0_4arch9wavefront6targetE0EEEvS12_,"axG",@progbits,_ZN7rocprim17ROCPRIM_400000_NS6detail17trampoline_kernelINS0_13select_configILj256ELj13ELNS0_17block_load_methodE3ELS4_3ELS4_3ELNS0_20block_scan_algorithmE0ELj4294967295EEENS1_25partition_config_selectorILNS1_17partition_subalgoE4EjNS0_10empty_typeEbEEZZNS1_14partition_implILS8_4ELb0ES6_15HIP_vector_typeIjLj2EENS0_17counting_iteratorIjlEEPS9_SG_NS0_5tupleIJPjSI_NS0_16reverse_iteratorISI_EEEEENSH_IJSG_SG_SG_EEES9_SI_JZNS1_25segmented_radix_sort_implINS0_14default_configELb0EPKfPfPKlPlN2at6native12_GLOBAL__N_18offset_tEEE10hipError_tPvRmT1_PNSt15iterator_traitsIS12_E10value_typeET2_T3_PNS13_IS18_E10value_typeET4_jRbjT5_S1E_jjP12ihipStream_tbEUljE_ZNSN_ISO_Lb0ESQ_SR_ST_SU_SY_EESZ_S10_S11_S12_S16_S17_S18_S1B_S1C_jS1D_jS1E_S1E_jjS1G_bEUljE0_EEESZ_S10_S11_S18_S1C_S1E_T6_T7_T9_mT8_S1G_bDpT10_ENKUlT_T0_E_clISt17integral_constantIbLb1EES1U_EEDaS1P_S1Q_EUlS1P_E_NS1_11comp_targetILNS1_3genE5ELNS1_11target_archE942ELNS1_3gpuE9ELNS1_3repE0EEENS1_30default_config_static_selectorELNS0_4arch9wavefront6targetE0EEEvS12_,comdat
	.globl	_ZN7rocprim17ROCPRIM_400000_NS6detail17trampoline_kernelINS0_13select_configILj256ELj13ELNS0_17block_load_methodE3ELS4_3ELS4_3ELNS0_20block_scan_algorithmE0ELj4294967295EEENS1_25partition_config_selectorILNS1_17partition_subalgoE4EjNS0_10empty_typeEbEEZZNS1_14partition_implILS8_4ELb0ES6_15HIP_vector_typeIjLj2EENS0_17counting_iteratorIjlEEPS9_SG_NS0_5tupleIJPjSI_NS0_16reverse_iteratorISI_EEEEENSH_IJSG_SG_SG_EEES9_SI_JZNS1_25segmented_radix_sort_implINS0_14default_configELb0EPKfPfPKlPlN2at6native12_GLOBAL__N_18offset_tEEE10hipError_tPvRmT1_PNSt15iterator_traitsIS12_E10value_typeET2_T3_PNS13_IS18_E10value_typeET4_jRbjT5_S1E_jjP12ihipStream_tbEUljE_ZNSN_ISO_Lb0ESQ_SR_ST_SU_SY_EESZ_S10_S11_S12_S16_S17_S18_S1B_S1C_jS1D_jS1E_S1E_jjS1G_bEUljE0_EEESZ_S10_S11_S18_S1C_S1E_T6_T7_T9_mT8_S1G_bDpT10_ENKUlT_T0_E_clISt17integral_constantIbLb1EES1U_EEDaS1P_S1Q_EUlS1P_E_NS1_11comp_targetILNS1_3genE5ELNS1_11target_archE942ELNS1_3gpuE9ELNS1_3repE0EEENS1_30default_config_static_selectorELNS0_4arch9wavefront6targetE0EEEvS12_ ; -- Begin function _ZN7rocprim17ROCPRIM_400000_NS6detail17trampoline_kernelINS0_13select_configILj256ELj13ELNS0_17block_load_methodE3ELS4_3ELS4_3ELNS0_20block_scan_algorithmE0ELj4294967295EEENS1_25partition_config_selectorILNS1_17partition_subalgoE4EjNS0_10empty_typeEbEEZZNS1_14partition_implILS8_4ELb0ES6_15HIP_vector_typeIjLj2EENS0_17counting_iteratorIjlEEPS9_SG_NS0_5tupleIJPjSI_NS0_16reverse_iteratorISI_EEEEENSH_IJSG_SG_SG_EEES9_SI_JZNS1_25segmented_radix_sort_implINS0_14default_configELb0EPKfPfPKlPlN2at6native12_GLOBAL__N_18offset_tEEE10hipError_tPvRmT1_PNSt15iterator_traitsIS12_E10value_typeET2_T3_PNS13_IS18_E10value_typeET4_jRbjT5_S1E_jjP12ihipStream_tbEUljE_ZNSN_ISO_Lb0ESQ_SR_ST_SU_SY_EESZ_S10_S11_S12_S16_S17_S18_S1B_S1C_jS1D_jS1E_S1E_jjS1G_bEUljE0_EEESZ_S10_S11_S18_S1C_S1E_T6_T7_T9_mT8_S1G_bDpT10_ENKUlT_T0_E_clISt17integral_constantIbLb1EES1U_EEDaS1P_S1Q_EUlS1P_E_NS1_11comp_targetILNS1_3genE5ELNS1_11target_archE942ELNS1_3gpuE9ELNS1_3repE0EEENS1_30default_config_static_selectorELNS0_4arch9wavefront6targetE0EEEvS12_
	.p2align	8
	.type	_ZN7rocprim17ROCPRIM_400000_NS6detail17trampoline_kernelINS0_13select_configILj256ELj13ELNS0_17block_load_methodE3ELS4_3ELS4_3ELNS0_20block_scan_algorithmE0ELj4294967295EEENS1_25partition_config_selectorILNS1_17partition_subalgoE4EjNS0_10empty_typeEbEEZZNS1_14partition_implILS8_4ELb0ES6_15HIP_vector_typeIjLj2EENS0_17counting_iteratorIjlEEPS9_SG_NS0_5tupleIJPjSI_NS0_16reverse_iteratorISI_EEEEENSH_IJSG_SG_SG_EEES9_SI_JZNS1_25segmented_radix_sort_implINS0_14default_configELb0EPKfPfPKlPlN2at6native12_GLOBAL__N_18offset_tEEE10hipError_tPvRmT1_PNSt15iterator_traitsIS12_E10value_typeET2_T3_PNS13_IS18_E10value_typeET4_jRbjT5_S1E_jjP12ihipStream_tbEUljE_ZNSN_ISO_Lb0ESQ_SR_ST_SU_SY_EESZ_S10_S11_S12_S16_S17_S18_S1B_S1C_jS1D_jS1E_S1E_jjS1G_bEUljE0_EEESZ_S10_S11_S18_S1C_S1E_T6_T7_T9_mT8_S1G_bDpT10_ENKUlT_T0_E_clISt17integral_constantIbLb1EES1U_EEDaS1P_S1Q_EUlS1P_E_NS1_11comp_targetILNS1_3genE5ELNS1_11target_archE942ELNS1_3gpuE9ELNS1_3repE0EEENS1_30default_config_static_selectorELNS0_4arch9wavefront6targetE0EEEvS12_,@function
_ZN7rocprim17ROCPRIM_400000_NS6detail17trampoline_kernelINS0_13select_configILj256ELj13ELNS0_17block_load_methodE3ELS4_3ELS4_3ELNS0_20block_scan_algorithmE0ELj4294967295EEENS1_25partition_config_selectorILNS1_17partition_subalgoE4EjNS0_10empty_typeEbEEZZNS1_14partition_implILS8_4ELb0ES6_15HIP_vector_typeIjLj2EENS0_17counting_iteratorIjlEEPS9_SG_NS0_5tupleIJPjSI_NS0_16reverse_iteratorISI_EEEEENSH_IJSG_SG_SG_EEES9_SI_JZNS1_25segmented_radix_sort_implINS0_14default_configELb0EPKfPfPKlPlN2at6native12_GLOBAL__N_18offset_tEEE10hipError_tPvRmT1_PNSt15iterator_traitsIS12_E10value_typeET2_T3_PNS13_IS18_E10value_typeET4_jRbjT5_S1E_jjP12ihipStream_tbEUljE_ZNSN_ISO_Lb0ESQ_SR_ST_SU_SY_EESZ_S10_S11_S12_S16_S17_S18_S1B_S1C_jS1D_jS1E_S1E_jjS1G_bEUljE0_EEESZ_S10_S11_S18_S1C_S1E_T6_T7_T9_mT8_S1G_bDpT10_ENKUlT_T0_E_clISt17integral_constantIbLb1EES1U_EEDaS1P_S1Q_EUlS1P_E_NS1_11comp_targetILNS1_3genE5ELNS1_11target_archE942ELNS1_3gpuE9ELNS1_3repE0EEENS1_30default_config_static_selectorELNS0_4arch9wavefront6targetE0EEEvS12_: ; @_ZN7rocprim17ROCPRIM_400000_NS6detail17trampoline_kernelINS0_13select_configILj256ELj13ELNS0_17block_load_methodE3ELS4_3ELS4_3ELNS0_20block_scan_algorithmE0ELj4294967295EEENS1_25partition_config_selectorILNS1_17partition_subalgoE4EjNS0_10empty_typeEbEEZZNS1_14partition_implILS8_4ELb0ES6_15HIP_vector_typeIjLj2EENS0_17counting_iteratorIjlEEPS9_SG_NS0_5tupleIJPjSI_NS0_16reverse_iteratorISI_EEEEENSH_IJSG_SG_SG_EEES9_SI_JZNS1_25segmented_radix_sort_implINS0_14default_configELb0EPKfPfPKlPlN2at6native12_GLOBAL__N_18offset_tEEE10hipError_tPvRmT1_PNSt15iterator_traitsIS12_E10value_typeET2_T3_PNS13_IS18_E10value_typeET4_jRbjT5_S1E_jjP12ihipStream_tbEUljE_ZNSN_ISO_Lb0ESQ_SR_ST_SU_SY_EESZ_S10_S11_S12_S16_S17_S18_S1B_S1C_jS1D_jS1E_S1E_jjS1G_bEUljE0_EEESZ_S10_S11_S18_S1C_S1E_T6_T7_T9_mT8_S1G_bDpT10_ENKUlT_T0_E_clISt17integral_constantIbLb1EES1U_EEDaS1P_S1Q_EUlS1P_E_NS1_11comp_targetILNS1_3genE5ELNS1_11target_archE942ELNS1_3gpuE9ELNS1_3repE0EEENS1_30default_config_static_selectorELNS0_4arch9wavefront6targetE0EEEvS12_
; %bb.0:
	.section	.rodata,"a",@progbits
	.p2align	6, 0x0
	.amdhsa_kernel _ZN7rocprim17ROCPRIM_400000_NS6detail17trampoline_kernelINS0_13select_configILj256ELj13ELNS0_17block_load_methodE3ELS4_3ELS4_3ELNS0_20block_scan_algorithmE0ELj4294967295EEENS1_25partition_config_selectorILNS1_17partition_subalgoE4EjNS0_10empty_typeEbEEZZNS1_14partition_implILS8_4ELb0ES6_15HIP_vector_typeIjLj2EENS0_17counting_iteratorIjlEEPS9_SG_NS0_5tupleIJPjSI_NS0_16reverse_iteratorISI_EEEEENSH_IJSG_SG_SG_EEES9_SI_JZNS1_25segmented_radix_sort_implINS0_14default_configELb0EPKfPfPKlPlN2at6native12_GLOBAL__N_18offset_tEEE10hipError_tPvRmT1_PNSt15iterator_traitsIS12_E10value_typeET2_T3_PNS13_IS18_E10value_typeET4_jRbjT5_S1E_jjP12ihipStream_tbEUljE_ZNSN_ISO_Lb0ESQ_SR_ST_SU_SY_EESZ_S10_S11_S12_S16_S17_S18_S1B_S1C_jS1D_jS1E_S1E_jjS1G_bEUljE0_EEESZ_S10_S11_S18_S1C_S1E_T6_T7_T9_mT8_S1G_bDpT10_ENKUlT_T0_E_clISt17integral_constantIbLb1EES1U_EEDaS1P_S1Q_EUlS1P_E_NS1_11comp_targetILNS1_3genE5ELNS1_11target_archE942ELNS1_3gpuE9ELNS1_3repE0EEENS1_30default_config_static_selectorELNS0_4arch9wavefront6targetE0EEEvS12_
		.amdhsa_group_segment_fixed_size 0
		.amdhsa_private_segment_fixed_size 0
		.amdhsa_kernarg_size 184
		.amdhsa_user_sgpr_count 2
		.amdhsa_user_sgpr_dispatch_ptr 0
		.amdhsa_user_sgpr_queue_ptr 0
		.amdhsa_user_sgpr_kernarg_segment_ptr 1
		.amdhsa_user_sgpr_dispatch_id 0
		.amdhsa_user_sgpr_private_segment_size 0
		.amdhsa_wavefront_size32 1
		.amdhsa_uses_dynamic_stack 0
		.amdhsa_enable_private_segment 0
		.amdhsa_system_sgpr_workgroup_id_x 1
		.amdhsa_system_sgpr_workgroup_id_y 0
		.amdhsa_system_sgpr_workgroup_id_z 0
		.amdhsa_system_sgpr_workgroup_info 0
		.amdhsa_system_vgpr_workitem_id 0
		.amdhsa_next_free_vgpr 1
		.amdhsa_next_free_sgpr 1
		.amdhsa_reserve_vcc 0
		.amdhsa_float_round_mode_32 0
		.amdhsa_float_round_mode_16_64 0
		.amdhsa_float_denorm_mode_32 3
		.amdhsa_float_denorm_mode_16_64 3
		.amdhsa_fp16_overflow 0
		.amdhsa_workgroup_processor_mode 1
		.amdhsa_memory_ordered 1
		.amdhsa_forward_progress 1
		.amdhsa_inst_pref_size 0
		.amdhsa_round_robin_scheduling 0
		.amdhsa_exception_fp_ieee_invalid_op 0
		.amdhsa_exception_fp_denorm_src 0
		.amdhsa_exception_fp_ieee_div_zero 0
		.amdhsa_exception_fp_ieee_overflow 0
		.amdhsa_exception_fp_ieee_underflow 0
		.amdhsa_exception_fp_ieee_inexact 0
		.amdhsa_exception_int_div_zero 0
	.end_amdhsa_kernel
	.section	.text._ZN7rocprim17ROCPRIM_400000_NS6detail17trampoline_kernelINS0_13select_configILj256ELj13ELNS0_17block_load_methodE3ELS4_3ELS4_3ELNS0_20block_scan_algorithmE0ELj4294967295EEENS1_25partition_config_selectorILNS1_17partition_subalgoE4EjNS0_10empty_typeEbEEZZNS1_14partition_implILS8_4ELb0ES6_15HIP_vector_typeIjLj2EENS0_17counting_iteratorIjlEEPS9_SG_NS0_5tupleIJPjSI_NS0_16reverse_iteratorISI_EEEEENSH_IJSG_SG_SG_EEES9_SI_JZNS1_25segmented_radix_sort_implINS0_14default_configELb0EPKfPfPKlPlN2at6native12_GLOBAL__N_18offset_tEEE10hipError_tPvRmT1_PNSt15iterator_traitsIS12_E10value_typeET2_T3_PNS13_IS18_E10value_typeET4_jRbjT5_S1E_jjP12ihipStream_tbEUljE_ZNSN_ISO_Lb0ESQ_SR_ST_SU_SY_EESZ_S10_S11_S12_S16_S17_S18_S1B_S1C_jS1D_jS1E_S1E_jjS1G_bEUljE0_EEESZ_S10_S11_S18_S1C_S1E_T6_T7_T9_mT8_S1G_bDpT10_ENKUlT_T0_E_clISt17integral_constantIbLb1EES1U_EEDaS1P_S1Q_EUlS1P_E_NS1_11comp_targetILNS1_3genE5ELNS1_11target_archE942ELNS1_3gpuE9ELNS1_3repE0EEENS1_30default_config_static_selectorELNS0_4arch9wavefront6targetE0EEEvS12_,"axG",@progbits,_ZN7rocprim17ROCPRIM_400000_NS6detail17trampoline_kernelINS0_13select_configILj256ELj13ELNS0_17block_load_methodE3ELS4_3ELS4_3ELNS0_20block_scan_algorithmE0ELj4294967295EEENS1_25partition_config_selectorILNS1_17partition_subalgoE4EjNS0_10empty_typeEbEEZZNS1_14partition_implILS8_4ELb0ES6_15HIP_vector_typeIjLj2EENS0_17counting_iteratorIjlEEPS9_SG_NS0_5tupleIJPjSI_NS0_16reverse_iteratorISI_EEEEENSH_IJSG_SG_SG_EEES9_SI_JZNS1_25segmented_radix_sort_implINS0_14default_configELb0EPKfPfPKlPlN2at6native12_GLOBAL__N_18offset_tEEE10hipError_tPvRmT1_PNSt15iterator_traitsIS12_E10value_typeET2_T3_PNS13_IS18_E10value_typeET4_jRbjT5_S1E_jjP12ihipStream_tbEUljE_ZNSN_ISO_Lb0ESQ_SR_ST_SU_SY_EESZ_S10_S11_S12_S16_S17_S18_S1B_S1C_jS1D_jS1E_S1E_jjS1G_bEUljE0_EEESZ_S10_S11_S18_S1C_S1E_T6_T7_T9_mT8_S1G_bDpT10_ENKUlT_T0_E_clISt17integral_constantIbLb1EES1U_EEDaS1P_S1Q_EUlS1P_E_NS1_11comp_targetILNS1_3genE5ELNS1_11target_archE942ELNS1_3gpuE9ELNS1_3repE0EEENS1_30default_config_static_selectorELNS0_4arch9wavefront6targetE0EEEvS12_,comdat
.Lfunc_end1373:
	.size	_ZN7rocprim17ROCPRIM_400000_NS6detail17trampoline_kernelINS0_13select_configILj256ELj13ELNS0_17block_load_methodE3ELS4_3ELS4_3ELNS0_20block_scan_algorithmE0ELj4294967295EEENS1_25partition_config_selectorILNS1_17partition_subalgoE4EjNS0_10empty_typeEbEEZZNS1_14partition_implILS8_4ELb0ES6_15HIP_vector_typeIjLj2EENS0_17counting_iteratorIjlEEPS9_SG_NS0_5tupleIJPjSI_NS0_16reverse_iteratorISI_EEEEENSH_IJSG_SG_SG_EEES9_SI_JZNS1_25segmented_radix_sort_implINS0_14default_configELb0EPKfPfPKlPlN2at6native12_GLOBAL__N_18offset_tEEE10hipError_tPvRmT1_PNSt15iterator_traitsIS12_E10value_typeET2_T3_PNS13_IS18_E10value_typeET4_jRbjT5_S1E_jjP12ihipStream_tbEUljE_ZNSN_ISO_Lb0ESQ_SR_ST_SU_SY_EESZ_S10_S11_S12_S16_S17_S18_S1B_S1C_jS1D_jS1E_S1E_jjS1G_bEUljE0_EEESZ_S10_S11_S18_S1C_S1E_T6_T7_T9_mT8_S1G_bDpT10_ENKUlT_T0_E_clISt17integral_constantIbLb1EES1U_EEDaS1P_S1Q_EUlS1P_E_NS1_11comp_targetILNS1_3genE5ELNS1_11target_archE942ELNS1_3gpuE9ELNS1_3repE0EEENS1_30default_config_static_selectorELNS0_4arch9wavefront6targetE0EEEvS12_, .Lfunc_end1373-_ZN7rocprim17ROCPRIM_400000_NS6detail17trampoline_kernelINS0_13select_configILj256ELj13ELNS0_17block_load_methodE3ELS4_3ELS4_3ELNS0_20block_scan_algorithmE0ELj4294967295EEENS1_25partition_config_selectorILNS1_17partition_subalgoE4EjNS0_10empty_typeEbEEZZNS1_14partition_implILS8_4ELb0ES6_15HIP_vector_typeIjLj2EENS0_17counting_iteratorIjlEEPS9_SG_NS0_5tupleIJPjSI_NS0_16reverse_iteratorISI_EEEEENSH_IJSG_SG_SG_EEES9_SI_JZNS1_25segmented_radix_sort_implINS0_14default_configELb0EPKfPfPKlPlN2at6native12_GLOBAL__N_18offset_tEEE10hipError_tPvRmT1_PNSt15iterator_traitsIS12_E10value_typeET2_T3_PNS13_IS18_E10value_typeET4_jRbjT5_S1E_jjP12ihipStream_tbEUljE_ZNSN_ISO_Lb0ESQ_SR_ST_SU_SY_EESZ_S10_S11_S12_S16_S17_S18_S1B_S1C_jS1D_jS1E_S1E_jjS1G_bEUljE0_EEESZ_S10_S11_S18_S1C_S1E_T6_T7_T9_mT8_S1G_bDpT10_ENKUlT_T0_E_clISt17integral_constantIbLb1EES1U_EEDaS1P_S1Q_EUlS1P_E_NS1_11comp_targetILNS1_3genE5ELNS1_11target_archE942ELNS1_3gpuE9ELNS1_3repE0EEENS1_30default_config_static_selectorELNS0_4arch9wavefront6targetE0EEEvS12_
                                        ; -- End function
	.set _ZN7rocprim17ROCPRIM_400000_NS6detail17trampoline_kernelINS0_13select_configILj256ELj13ELNS0_17block_load_methodE3ELS4_3ELS4_3ELNS0_20block_scan_algorithmE0ELj4294967295EEENS1_25partition_config_selectorILNS1_17partition_subalgoE4EjNS0_10empty_typeEbEEZZNS1_14partition_implILS8_4ELb0ES6_15HIP_vector_typeIjLj2EENS0_17counting_iteratorIjlEEPS9_SG_NS0_5tupleIJPjSI_NS0_16reverse_iteratorISI_EEEEENSH_IJSG_SG_SG_EEES9_SI_JZNS1_25segmented_radix_sort_implINS0_14default_configELb0EPKfPfPKlPlN2at6native12_GLOBAL__N_18offset_tEEE10hipError_tPvRmT1_PNSt15iterator_traitsIS12_E10value_typeET2_T3_PNS13_IS18_E10value_typeET4_jRbjT5_S1E_jjP12ihipStream_tbEUljE_ZNSN_ISO_Lb0ESQ_SR_ST_SU_SY_EESZ_S10_S11_S12_S16_S17_S18_S1B_S1C_jS1D_jS1E_S1E_jjS1G_bEUljE0_EEESZ_S10_S11_S18_S1C_S1E_T6_T7_T9_mT8_S1G_bDpT10_ENKUlT_T0_E_clISt17integral_constantIbLb1EES1U_EEDaS1P_S1Q_EUlS1P_E_NS1_11comp_targetILNS1_3genE5ELNS1_11target_archE942ELNS1_3gpuE9ELNS1_3repE0EEENS1_30default_config_static_selectorELNS0_4arch9wavefront6targetE0EEEvS12_.num_vgpr, 0
	.set _ZN7rocprim17ROCPRIM_400000_NS6detail17trampoline_kernelINS0_13select_configILj256ELj13ELNS0_17block_load_methodE3ELS4_3ELS4_3ELNS0_20block_scan_algorithmE0ELj4294967295EEENS1_25partition_config_selectorILNS1_17partition_subalgoE4EjNS0_10empty_typeEbEEZZNS1_14partition_implILS8_4ELb0ES6_15HIP_vector_typeIjLj2EENS0_17counting_iteratorIjlEEPS9_SG_NS0_5tupleIJPjSI_NS0_16reverse_iteratorISI_EEEEENSH_IJSG_SG_SG_EEES9_SI_JZNS1_25segmented_radix_sort_implINS0_14default_configELb0EPKfPfPKlPlN2at6native12_GLOBAL__N_18offset_tEEE10hipError_tPvRmT1_PNSt15iterator_traitsIS12_E10value_typeET2_T3_PNS13_IS18_E10value_typeET4_jRbjT5_S1E_jjP12ihipStream_tbEUljE_ZNSN_ISO_Lb0ESQ_SR_ST_SU_SY_EESZ_S10_S11_S12_S16_S17_S18_S1B_S1C_jS1D_jS1E_S1E_jjS1G_bEUljE0_EEESZ_S10_S11_S18_S1C_S1E_T6_T7_T9_mT8_S1G_bDpT10_ENKUlT_T0_E_clISt17integral_constantIbLb1EES1U_EEDaS1P_S1Q_EUlS1P_E_NS1_11comp_targetILNS1_3genE5ELNS1_11target_archE942ELNS1_3gpuE9ELNS1_3repE0EEENS1_30default_config_static_selectorELNS0_4arch9wavefront6targetE0EEEvS12_.num_agpr, 0
	.set _ZN7rocprim17ROCPRIM_400000_NS6detail17trampoline_kernelINS0_13select_configILj256ELj13ELNS0_17block_load_methodE3ELS4_3ELS4_3ELNS0_20block_scan_algorithmE0ELj4294967295EEENS1_25partition_config_selectorILNS1_17partition_subalgoE4EjNS0_10empty_typeEbEEZZNS1_14partition_implILS8_4ELb0ES6_15HIP_vector_typeIjLj2EENS0_17counting_iteratorIjlEEPS9_SG_NS0_5tupleIJPjSI_NS0_16reverse_iteratorISI_EEEEENSH_IJSG_SG_SG_EEES9_SI_JZNS1_25segmented_radix_sort_implINS0_14default_configELb0EPKfPfPKlPlN2at6native12_GLOBAL__N_18offset_tEEE10hipError_tPvRmT1_PNSt15iterator_traitsIS12_E10value_typeET2_T3_PNS13_IS18_E10value_typeET4_jRbjT5_S1E_jjP12ihipStream_tbEUljE_ZNSN_ISO_Lb0ESQ_SR_ST_SU_SY_EESZ_S10_S11_S12_S16_S17_S18_S1B_S1C_jS1D_jS1E_S1E_jjS1G_bEUljE0_EEESZ_S10_S11_S18_S1C_S1E_T6_T7_T9_mT8_S1G_bDpT10_ENKUlT_T0_E_clISt17integral_constantIbLb1EES1U_EEDaS1P_S1Q_EUlS1P_E_NS1_11comp_targetILNS1_3genE5ELNS1_11target_archE942ELNS1_3gpuE9ELNS1_3repE0EEENS1_30default_config_static_selectorELNS0_4arch9wavefront6targetE0EEEvS12_.numbered_sgpr, 0
	.set _ZN7rocprim17ROCPRIM_400000_NS6detail17trampoline_kernelINS0_13select_configILj256ELj13ELNS0_17block_load_methodE3ELS4_3ELS4_3ELNS0_20block_scan_algorithmE0ELj4294967295EEENS1_25partition_config_selectorILNS1_17partition_subalgoE4EjNS0_10empty_typeEbEEZZNS1_14partition_implILS8_4ELb0ES6_15HIP_vector_typeIjLj2EENS0_17counting_iteratorIjlEEPS9_SG_NS0_5tupleIJPjSI_NS0_16reverse_iteratorISI_EEEEENSH_IJSG_SG_SG_EEES9_SI_JZNS1_25segmented_radix_sort_implINS0_14default_configELb0EPKfPfPKlPlN2at6native12_GLOBAL__N_18offset_tEEE10hipError_tPvRmT1_PNSt15iterator_traitsIS12_E10value_typeET2_T3_PNS13_IS18_E10value_typeET4_jRbjT5_S1E_jjP12ihipStream_tbEUljE_ZNSN_ISO_Lb0ESQ_SR_ST_SU_SY_EESZ_S10_S11_S12_S16_S17_S18_S1B_S1C_jS1D_jS1E_S1E_jjS1G_bEUljE0_EEESZ_S10_S11_S18_S1C_S1E_T6_T7_T9_mT8_S1G_bDpT10_ENKUlT_T0_E_clISt17integral_constantIbLb1EES1U_EEDaS1P_S1Q_EUlS1P_E_NS1_11comp_targetILNS1_3genE5ELNS1_11target_archE942ELNS1_3gpuE9ELNS1_3repE0EEENS1_30default_config_static_selectorELNS0_4arch9wavefront6targetE0EEEvS12_.num_named_barrier, 0
	.set _ZN7rocprim17ROCPRIM_400000_NS6detail17trampoline_kernelINS0_13select_configILj256ELj13ELNS0_17block_load_methodE3ELS4_3ELS4_3ELNS0_20block_scan_algorithmE0ELj4294967295EEENS1_25partition_config_selectorILNS1_17partition_subalgoE4EjNS0_10empty_typeEbEEZZNS1_14partition_implILS8_4ELb0ES6_15HIP_vector_typeIjLj2EENS0_17counting_iteratorIjlEEPS9_SG_NS0_5tupleIJPjSI_NS0_16reverse_iteratorISI_EEEEENSH_IJSG_SG_SG_EEES9_SI_JZNS1_25segmented_radix_sort_implINS0_14default_configELb0EPKfPfPKlPlN2at6native12_GLOBAL__N_18offset_tEEE10hipError_tPvRmT1_PNSt15iterator_traitsIS12_E10value_typeET2_T3_PNS13_IS18_E10value_typeET4_jRbjT5_S1E_jjP12ihipStream_tbEUljE_ZNSN_ISO_Lb0ESQ_SR_ST_SU_SY_EESZ_S10_S11_S12_S16_S17_S18_S1B_S1C_jS1D_jS1E_S1E_jjS1G_bEUljE0_EEESZ_S10_S11_S18_S1C_S1E_T6_T7_T9_mT8_S1G_bDpT10_ENKUlT_T0_E_clISt17integral_constantIbLb1EES1U_EEDaS1P_S1Q_EUlS1P_E_NS1_11comp_targetILNS1_3genE5ELNS1_11target_archE942ELNS1_3gpuE9ELNS1_3repE0EEENS1_30default_config_static_selectorELNS0_4arch9wavefront6targetE0EEEvS12_.private_seg_size, 0
	.set _ZN7rocprim17ROCPRIM_400000_NS6detail17trampoline_kernelINS0_13select_configILj256ELj13ELNS0_17block_load_methodE3ELS4_3ELS4_3ELNS0_20block_scan_algorithmE0ELj4294967295EEENS1_25partition_config_selectorILNS1_17partition_subalgoE4EjNS0_10empty_typeEbEEZZNS1_14partition_implILS8_4ELb0ES6_15HIP_vector_typeIjLj2EENS0_17counting_iteratorIjlEEPS9_SG_NS0_5tupleIJPjSI_NS0_16reverse_iteratorISI_EEEEENSH_IJSG_SG_SG_EEES9_SI_JZNS1_25segmented_radix_sort_implINS0_14default_configELb0EPKfPfPKlPlN2at6native12_GLOBAL__N_18offset_tEEE10hipError_tPvRmT1_PNSt15iterator_traitsIS12_E10value_typeET2_T3_PNS13_IS18_E10value_typeET4_jRbjT5_S1E_jjP12ihipStream_tbEUljE_ZNSN_ISO_Lb0ESQ_SR_ST_SU_SY_EESZ_S10_S11_S12_S16_S17_S18_S1B_S1C_jS1D_jS1E_S1E_jjS1G_bEUljE0_EEESZ_S10_S11_S18_S1C_S1E_T6_T7_T9_mT8_S1G_bDpT10_ENKUlT_T0_E_clISt17integral_constantIbLb1EES1U_EEDaS1P_S1Q_EUlS1P_E_NS1_11comp_targetILNS1_3genE5ELNS1_11target_archE942ELNS1_3gpuE9ELNS1_3repE0EEENS1_30default_config_static_selectorELNS0_4arch9wavefront6targetE0EEEvS12_.uses_vcc, 0
	.set _ZN7rocprim17ROCPRIM_400000_NS6detail17trampoline_kernelINS0_13select_configILj256ELj13ELNS0_17block_load_methodE3ELS4_3ELS4_3ELNS0_20block_scan_algorithmE0ELj4294967295EEENS1_25partition_config_selectorILNS1_17partition_subalgoE4EjNS0_10empty_typeEbEEZZNS1_14partition_implILS8_4ELb0ES6_15HIP_vector_typeIjLj2EENS0_17counting_iteratorIjlEEPS9_SG_NS0_5tupleIJPjSI_NS0_16reverse_iteratorISI_EEEEENSH_IJSG_SG_SG_EEES9_SI_JZNS1_25segmented_radix_sort_implINS0_14default_configELb0EPKfPfPKlPlN2at6native12_GLOBAL__N_18offset_tEEE10hipError_tPvRmT1_PNSt15iterator_traitsIS12_E10value_typeET2_T3_PNS13_IS18_E10value_typeET4_jRbjT5_S1E_jjP12ihipStream_tbEUljE_ZNSN_ISO_Lb0ESQ_SR_ST_SU_SY_EESZ_S10_S11_S12_S16_S17_S18_S1B_S1C_jS1D_jS1E_S1E_jjS1G_bEUljE0_EEESZ_S10_S11_S18_S1C_S1E_T6_T7_T9_mT8_S1G_bDpT10_ENKUlT_T0_E_clISt17integral_constantIbLb1EES1U_EEDaS1P_S1Q_EUlS1P_E_NS1_11comp_targetILNS1_3genE5ELNS1_11target_archE942ELNS1_3gpuE9ELNS1_3repE0EEENS1_30default_config_static_selectorELNS0_4arch9wavefront6targetE0EEEvS12_.uses_flat_scratch, 0
	.set _ZN7rocprim17ROCPRIM_400000_NS6detail17trampoline_kernelINS0_13select_configILj256ELj13ELNS0_17block_load_methodE3ELS4_3ELS4_3ELNS0_20block_scan_algorithmE0ELj4294967295EEENS1_25partition_config_selectorILNS1_17partition_subalgoE4EjNS0_10empty_typeEbEEZZNS1_14partition_implILS8_4ELb0ES6_15HIP_vector_typeIjLj2EENS0_17counting_iteratorIjlEEPS9_SG_NS0_5tupleIJPjSI_NS0_16reverse_iteratorISI_EEEEENSH_IJSG_SG_SG_EEES9_SI_JZNS1_25segmented_radix_sort_implINS0_14default_configELb0EPKfPfPKlPlN2at6native12_GLOBAL__N_18offset_tEEE10hipError_tPvRmT1_PNSt15iterator_traitsIS12_E10value_typeET2_T3_PNS13_IS18_E10value_typeET4_jRbjT5_S1E_jjP12ihipStream_tbEUljE_ZNSN_ISO_Lb0ESQ_SR_ST_SU_SY_EESZ_S10_S11_S12_S16_S17_S18_S1B_S1C_jS1D_jS1E_S1E_jjS1G_bEUljE0_EEESZ_S10_S11_S18_S1C_S1E_T6_T7_T9_mT8_S1G_bDpT10_ENKUlT_T0_E_clISt17integral_constantIbLb1EES1U_EEDaS1P_S1Q_EUlS1P_E_NS1_11comp_targetILNS1_3genE5ELNS1_11target_archE942ELNS1_3gpuE9ELNS1_3repE0EEENS1_30default_config_static_selectorELNS0_4arch9wavefront6targetE0EEEvS12_.has_dyn_sized_stack, 0
	.set _ZN7rocprim17ROCPRIM_400000_NS6detail17trampoline_kernelINS0_13select_configILj256ELj13ELNS0_17block_load_methodE3ELS4_3ELS4_3ELNS0_20block_scan_algorithmE0ELj4294967295EEENS1_25partition_config_selectorILNS1_17partition_subalgoE4EjNS0_10empty_typeEbEEZZNS1_14partition_implILS8_4ELb0ES6_15HIP_vector_typeIjLj2EENS0_17counting_iteratorIjlEEPS9_SG_NS0_5tupleIJPjSI_NS0_16reverse_iteratorISI_EEEEENSH_IJSG_SG_SG_EEES9_SI_JZNS1_25segmented_radix_sort_implINS0_14default_configELb0EPKfPfPKlPlN2at6native12_GLOBAL__N_18offset_tEEE10hipError_tPvRmT1_PNSt15iterator_traitsIS12_E10value_typeET2_T3_PNS13_IS18_E10value_typeET4_jRbjT5_S1E_jjP12ihipStream_tbEUljE_ZNSN_ISO_Lb0ESQ_SR_ST_SU_SY_EESZ_S10_S11_S12_S16_S17_S18_S1B_S1C_jS1D_jS1E_S1E_jjS1G_bEUljE0_EEESZ_S10_S11_S18_S1C_S1E_T6_T7_T9_mT8_S1G_bDpT10_ENKUlT_T0_E_clISt17integral_constantIbLb1EES1U_EEDaS1P_S1Q_EUlS1P_E_NS1_11comp_targetILNS1_3genE5ELNS1_11target_archE942ELNS1_3gpuE9ELNS1_3repE0EEENS1_30default_config_static_selectorELNS0_4arch9wavefront6targetE0EEEvS12_.has_recursion, 0
	.set _ZN7rocprim17ROCPRIM_400000_NS6detail17trampoline_kernelINS0_13select_configILj256ELj13ELNS0_17block_load_methodE3ELS4_3ELS4_3ELNS0_20block_scan_algorithmE0ELj4294967295EEENS1_25partition_config_selectorILNS1_17partition_subalgoE4EjNS0_10empty_typeEbEEZZNS1_14partition_implILS8_4ELb0ES6_15HIP_vector_typeIjLj2EENS0_17counting_iteratorIjlEEPS9_SG_NS0_5tupleIJPjSI_NS0_16reverse_iteratorISI_EEEEENSH_IJSG_SG_SG_EEES9_SI_JZNS1_25segmented_radix_sort_implINS0_14default_configELb0EPKfPfPKlPlN2at6native12_GLOBAL__N_18offset_tEEE10hipError_tPvRmT1_PNSt15iterator_traitsIS12_E10value_typeET2_T3_PNS13_IS18_E10value_typeET4_jRbjT5_S1E_jjP12ihipStream_tbEUljE_ZNSN_ISO_Lb0ESQ_SR_ST_SU_SY_EESZ_S10_S11_S12_S16_S17_S18_S1B_S1C_jS1D_jS1E_S1E_jjS1G_bEUljE0_EEESZ_S10_S11_S18_S1C_S1E_T6_T7_T9_mT8_S1G_bDpT10_ENKUlT_T0_E_clISt17integral_constantIbLb1EES1U_EEDaS1P_S1Q_EUlS1P_E_NS1_11comp_targetILNS1_3genE5ELNS1_11target_archE942ELNS1_3gpuE9ELNS1_3repE0EEENS1_30default_config_static_selectorELNS0_4arch9wavefront6targetE0EEEvS12_.has_indirect_call, 0
	.section	.AMDGPU.csdata,"",@progbits
; Kernel info:
; codeLenInByte = 0
; TotalNumSgprs: 0
; NumVgprs: 0
; ScratchSize: 0
; MemoryBound: 0
; FloatMode: 240
; IeeeMode: 1
; LDSByteSize: 0 bytes/workgroup (compile time only)
; SGPRBlocks: 0
; VGPRBlocks: 0
; NumSGPRsForWavesPerEU: 1
; NumVGPRsForWavesPerEU: 1
; Occupancy: 16
; WaveLimiterHint : 0
; COMPUTE_PGM_RSRC2:SCRATCH_EN: 0
; COMPUTE_PGM_RSRC2:USER_SGPR: 2
; COMPUTE_PGM_RSRC2:TRAP_HANDLER: 0
; COMPUTE_PGM_RSRC2:TGID_X_EN: 1
; COMPUTE_PGM_RSRC2:TGID_Y_EN: 0
; COMPUTE_PGM_RSRC2:TGID_Z_EN: 0
; COMPUTE_PGM_RSRC2:TIDIG_COMP_CNT: 0
	.section	.text._ZN7rocprim17ROCPRIM_400000_NS6detail17trampoline_kernelINS0_13select_configILj256ELj13ELNS0_17block_load_methodE3ELS4_3ELS4_3ELNS0_20block_scan_algorithmE0ELj4294967295EEENS1_25partition_config_selectorILNS1_17partition_subalgoE4EjNS0_10empty_typeEbEEZZNS1_14partition_implILS8_4ELb0ES6_15HIP_vector_typeIjLj2EENS0_17counting_iteratorIjlEEPS9_SG_NS0_5tupleIJPjSI_NS0_16reverse_iteratorISI_EEEEENSH_IJSG_SG_SG_EEES9_SI_JZNS1_25segmented_radix_sort_implINS0_14default_configELb0EPKfPfPKlPlN2at6native12_GLOBAL__N_18offset_tEEE10hipError_tPvRmT1_PNSt15iterator_traitsIS12_E10value_typeET2_T3_PNS13_IS18_E10value_typeET4_jRbjT5_S1E_jjP12ihipStream_tbEUljE_ZNSN_ISO_Lb0ESQ_SR_ST_SU_SY_EESZ_S10_S11_S12_S16_S17_S18_S1B_S1C_jS1D_jS1E_S1E_jjS1G_bEUljE0_EEESZ_S10_S11_S18_S1C_S1E_T6_T7_T9_mT8_S1G_bDpT10_ENKUlT_T0_E_clISt17integral_constantIbLb1EES1U_EEDaS1P_S1Q_EUlS1P_E_NS1_11comp_targetILNS1_3genE4ELNS1_11target_archE910ELNS1_3gpuE8ELNS1_3repE0EEENS1_30default_config_static_selectorELNS0_4arch9wavefront6targetE0EEEvS12_,"axG",@progbits,_ZN7rocprim17ROCPRIM_400000_NS6detail17trampoline_kernelINS0_13select_configILj256ELj13ELNS0_17block_load_methodE3ELS4_3ELS4_3ELNS0_20block_scan_algorithmE0ELj4294967295EEENS1_25partition_config_selectorILNS1_17partition_subalgoE4EjNS0_10empty_typeEbEEZZNS1_14partition_implILS8_4ELb0ES6_15HIP_vector_typeIjLj2EENS0_17counting_iteratorIjlEEPS9_SG_NS0_5tupleIJPjSI_NS0_16reverse_iteratorISI_EEEEENSH_IJSG_SG_SG_EEES9_SI_JZNS1_25segmented_radix_sort_implINS0_14default_configELb0EPKfPfPKlPlN2at6native12_GLOBAL__N_18offset_tEEE10hipError_tPvRmT1_PNSt15iterator_traitsIS12_E10value_typeET2_T3_PNS13_IS18_E10value_typeET4_jRbjT5_S1E_jjP12ihipStream_tbEUljE_ZNSN_ISO_Lb0ESQ_SR_ST_SU_SY_EESZ_S10_S11_S12_S16_S17_S18_S1B_S1C_jS1D_jS1E_S1E_jjS1G_bEUljE0_EEESZ_S10_S11_S18_S1C_S1E_T6_T7_T9_mT8_S1G_bDpT10_ENKUlT_T0_E_clISt17integral_constantIbLb1EES1U_EEDaS1P_S1Q_EUlS1P_E_NS1_11comp_targetILNS1_3genE4ELNS1_11target_archE910ELNS1_3gpuE8ELNS1_3repE0EEENS1_30default_config_static_selectorELNS0_4arch9wavefront6targetE0EEEvS12_,comdat
	.globl	_ZN7rocprim17ROCPRIM_400000_NS6detail17trampoline_kernelINS0_13select_configILj256ELj13ELNS0_17block_load_methodE3ELS4_3ELS4_3ELNS0_20block_scan_algorithmE0ELj4294967295EEENS1_25partition_config_selectorILNS1_17partition_subalgoE4EjNS0_10empty_typeEbEEZZNS1_14partition_implILS8_4ELb0ES6_15HIP_vector_typeIjLj2EENS0_17counting_iteratorIjlEEPS9_SG_NS0_5tupleIJPjSI_NS0_16reverse_iteratorISI_EEEEENSH_IJSG_SG_SG_EEES9_SI_JZNS1_25segmented_radix_sort_implINS0_14default_configELb0EPKfPfPKlPlN2at6native12_GLOBAL__N_18offset_tEEE10hipError_tPvRmT1_PNSt15iterator_traitsIS12_E10value_typeET2_T3_PNS13_IS18_E10value_typeET4_jRbjT5_S1E_jjP12ihipStream_tbEUljE_ZNSN_ISO_Lb0ESQ_SR_ST_SU_SY_EESZ_S10_S11_S12_S16_S17_S18_S1B_S1C_jS1D_jS1E_S1E_jjS1G_bEUljE0_EEESZ_S10_S11_S18_S1C_S1E_T6_T7_T9_mT8_S1G_bDpT10_ENKUlT_T0_E_clISt17integral_constantIbLb1EES1U_EEDaS1P_S1Q_EUlS1P_E_NS1_11comp_targetILNS1_3genE4ELNS1_11target_archE910ELNS1_3gpuE8ELNS1_3repE0EEENS1_30default_config_static_selectorELNS0_4arch9wavefront6targetE0EEEvS12_ ; -- Begin function _ZN7rocprim17ROCPRIM_400000_NS6detail17trampoline_kernelINS0_13select_configILj256ELj13ELNS0_17block_load_methodE3ELS4_3ELS4_3ELNS0_20block_scan_algorithmE0ELj4294967295EEENS1_25partition_config_selectorILNS1_17partition_subalgoE4EjNS0_10empty_typeEbEEZZNS1_14partition_implILS8_4ELb0ES6_15HIP_vector_typeIjLj2EENS0_17counting_iteratorIjlEEPS9_SG_NS0_5tupleIJPjSI_NS0_16reverse_iteratorISI_EEEEENSH_IJSG_SG_SG_EEES9_SI_JZNS1_25segmented_radix_sort_implINS0_14default_configELb0EPKfPfPKlPlN2at6native12_GLOBAL__N_18offset_tEEE10hipError_tPvRmT1_PNSt15iterator_traitsIS12_E10value_typeET2_T3_PNS13_IS18_E10value_typeET4_jRbjT5_S1E_jjP12ihipStream_tbEUljE_ZNSN_ISO_Lb0ESQ_SR_ST_SU_SY_EESZ_S10_S11_S12_S16_S17_S18_S1B_S1C_jS1D_jS1E_S1E_jjS1G_bEUljE0_EEESZ_S10_S11_S18_S1C_S1E_T6_T7_T9_mT8_S1G_bDpT10_ENKUlT_T0_E_clISt17integral_constantIbLb1EES1U_EEDaS1P_S1Q_EUlS1P_E_NS1_11comp_targetILNS1_3genE4ELNS1_11target_archE910ELNS1_3gpuE8ELNS1_3repE0EEENS1_30default_config_static_selectorELNS0_4arch9wavefront6targetE0EEEvS12_
	.p2align	8
	.type	_ZN7rocprim17ROCPRIM_400000_NS6detail17trampoline_kernelINS0_13select_configILj256ELj13ELNS0_17block_load_methodE3ELS4_3ELS4_3ELNS0_20block_scan_algorithmE0ELj4294967295EEENS1_25partition_config_selectorILNS1_17partition_subalgoE4EjNS0_10empty_typeEbEEZZNS1_14partition_implILS8_4ELb0ES6_15HIP_vector_typeIjLj2EENS0_17counting_iteratorIjlEEPS9_SG_NS0_5tupleIJPjSI_NS0_16reverse_iteratorISI_EEEEENSH_IJSG_SG_SG_EEES9_SI_JZNS1_25segmented_radix_sort_implINS0_14default_configELb0EPKfPfPKlPlN2at6native12_GLOBAL__N_18offset_tEEE10hipError_tPvRmT1_PNSt15iterator_traitsIS12_E10value_typeET2_T3_PNS13_IS18_E10value_typeET4_jRbjT5_S1E_jjP12ihipStream_tbEUljE_ZNSN_ISO_Lb0ESQ_SR_ST_SU_SY_EESZ_S10_S11_S12_S16_S17_S18_S1B_S1C_jS1D_jS1E_S1E_jjS1G_bEUljE0_EEESZ_S10_S11_S18_S1C_S1E_T6_T7_T9_mT8_S1G_bDpT10_ENKUlT_T0_E_clISt17integral_constantIbLb1EES1U_EEDaS1P_S1Q_EUlS1P_E_NS1_11comp_targetILNS1_3genE4ELNS1_11target_archE910ELNS1_3gpuE8ELNS1_3repE0EEENS1_30default_config_static_selectorELNS0_4arch9wavefront6targetE0EEEvS12_,@function
_ZN7rocprim17ROCPRIM_400000_NS6detail17trampoline_kernelINS0_13select_configILj256ELj13ELNS0_17block_load_methodE3ELS4_3ELS4_3ELNS0_20block_scan_algorithmE0ELj4294967295EEENS1_25partition_config_selectorILNS1_17partition_subalgoE4EjNS0_10empty_typeEbEEZZNS1_14partition_implILS8_4ELb0ES6_15HIP_vector_typeIjLj2EENS0_17counting_iteratorIjlEEPS9_SG_NS0_5tupleIJPjSI_NS0_16reverse_iteratorISI_EEEEENSH_IJSG_SG_SG_EEES9_SI_JZNS1_25segmented_radix_sort_implINS0_14default_configELb0EPKfPfPKlPlN2at6native12_GLOBAL__N_18offset_tEEE10hipError_tPvRmT1_PNSt15iterator_traitsIS12_E10value_typeET2_T3_PNS13_IS18_E10value_typeET4_jRbjT5_S1E_jjP12ihipStream_tbEUljE_ZNSN_ISO_Lb0ESQ_SR_ST_SU_SY_EESZ_S10_S11_S12_S16_S17_S18_S1B_S1C_jS1D_jS1E_S1E_jjS1G_bEUljE0_EEESZ_S10_S11_S18_S1C_S1E_T6_T7_T9_mT8_S1G_bDpT10_ENKUlT_T0_E_clISt17integral_constantIbLb1EES1U_EEDaS1P_S1Q_EUlS1P_E_NS1_11comp_targetILNS1_3genE4ELNS1_11target_archE910ELNS1_3gpuE8ELNS1_3repE0EEENS1_30default_config_static_selectorELNS0_4arch9wavefront6targetE0EEEvS12_: ; @_ZN7rocprim17ROCPRIM_400000_NS6detail17trampoline_kernelINS0_13select_configILj256ELj13ELNS0_17block_load_methodE3ELS4_3ELS4_3ELNS0_20block_scan_algorithmE0ELj4294967295EEENS1_25partition_config_selectorILNS1_17partition_subalgoE4EjNS0_10empty_typeEbEEZZNS1_14partition_implILS8_4ELb0ES6_15HIP_vector_typeIjLj2EENS0_17counting_iteratorIjlEEPS9_SG_NS0_5tupleIJPjSI_NS0_16reverse_iteratorISI_EEEEENSH_IJSG_SG_SG_EEES9_SI_JZNS1_25segmented_radix_sort_implINS0_14default_configELb0EPKfPfPKlPlN2at6native12_GLOBAL__N_18offset_tEEE10hipError_tPvRmT1_PNSt15iterator_traitsIS12_E10value_typeET2_T3_PNS13_IS18_E10value_typeET4_jRbjT5_S1E_jjP12ihipStream_tbEUljE_ZNSN_ISO_Lb0ESQ_SR_ST_SU_SY_EESZ_S10_S11_S12_S16_S17_S18_S1B_S1C_jS1D_jS1E_S1E_jjS1G_bEUljE0_EEESZ_S10_S11_S18_S1C_S1E_T6_T7_T9_mT8_S1G_bDpT10_ENKUlT_T0_E_clISt17integral_constantIbLb1EES1U_EEDaS1P_S1Q_EUlS1P_E_NS1_11comp_targetILNS1_3genE4ELNS1_11target_archE910ELNS1_3gpuE8ELNS1_3repE0EEENS1_30default_config_static_selectorELNS0_4arch9wavefront6targetE0EEEvS12_
; %bb.0:
	.section	.rodata,"a",@progbits
	.p2align	6, 0x0
	.amdhsa_kernel _ZN7rocprim17ROCPRIM_400000_NS6detail17trampoline_kernelINS0_13select_configILj256ELj13ELNS0_17block_load_methodE3ELS4_3ELS4_3ELNS0_20block_scan_algorithmE0ELj4294967295EEENS1_25partition_config_selectorILNS1_17partition_subalgoE4EjNS0_10empty_typeEbEEZZNS1_14partition_implILS8_4ELb0ES6_15HIP_vector_typeIjLj2EENS0_17counting_iteratorIjlEEPS9_SG_NS0_5tupleIJPjSI_NS0_16reverse_iteratorISI_EEEEENSH_IJSG_SG_SG_EEES9_SI_JZNS1_25segmented_radix_sort_implINS0_14default_configELb0EPKfPfPKlPlN2at6native12_GLOBAL__N_18offset_tEEE10hipError_tPvRmT1_PNSt15iterator_traitsIS12_E10value_typeET2_T3_PNS13_IS18_E10value_typeET4_jRbjT5_S1E_jjP12ihipStream_tbEUljE_ZNSN_ISO_Lb0ESQ_SR_ST_SU_SY_EESZ_S10_S11_S12_S16_S17_S18_S1B_S1C_jS1D_jS1E_S1E_jjS1G_bEUljE0_EEESZ_S10_S11_S18_S1C_S1E_T6_T7_T9_mT8_S1G_bDpT10_ENKUlT_T0_E_clISt17integral_constantIbLb1EES1U_EEDaS1P_S1Q_EUlS1P_E_NS1_11comp_targetILNS1_3genE4ELNS1_11target_archE910ELNS1_3gpuE8ELNS1_3repE0EEENS1_30default_config_static_selectorELNS0_4arch9wavefront6targetE0EEEvS12_
		.amdhsa_group_segment_fixed_size 0
		.amdhsa_private_segment_fixed_size 0
		.amdhsa_kernarg_size 184
		.amdhsa_user_sgpr_count 2
		.amdhsa_user_sgpr_dispatch_ptr 0
		.amdhsa_user_sgpr_queue_ptr 0
		.amdhsa_user_sgpr_kernarg_segment_ptr 1
		.amdhsa_user_sgpr_dispatch_id 0
		.amdhsa_user_sgpr_private_segment_size 0
		.amdhsa_wavefront_size32 1
		.amdhsa_uses_dynamic_stack 0
		.amdhsa_enable_private_segment 0
		.amdhsa_system_sgpr_workgroup_id_x 1
		.amdhsa_system_sgpr_workgroup_id_y 0
		.amdhsa_system_sgpr_workgroup_id_z 0
		.amdhsa_system_sgpr_workgroup_info 0
		.amdhsa_system_vgpr_workitem_id 0
		.amdhsa_next_free_vgpr 1
		.amdhsa_next_free_sgpr 1
		.amdhsa_reserve_vcc 0
		.amdhsa_float_round_mode_32 0
		.amdhsa_float_round_mode_16_64 0
		.amdhsa_float_denorm_mode_32 3
		.amdhsa_float_denorm_mode_16_64 3
		.amdhsa_fp16_overflow 0
		.amdhsa_workgroup_processor_mode 1
		.amdhsa_memory_ordered 1
		.amdhsa_forward_progress 1
		.amdhsa_inst_pref_size 0
		.amdhsa_round_robin_scheduling 0
		.amdhsa_exception_fp_ieee_invalid_op 0
		.amdhsa_exception_fp_denorm_src 0
		.amdhsa_exception_fp_ieee_div_zero 0
		.amdhsa_exception_fp_ieee_overflow 0
		.amdhsa_exception_fp_ieee_underflow 0
		.amdhsa_exception_fp_ieee_inexact 0
		.amdhsa_exception_int_div_zero 0
	.end_amdhsa_kernel
	.section	.text._ZN7rocprim17ROCPRIM_400000_NS6detail17trampoline_kernelINS0_13select_configILj256ELj13ELNS0_17block_load_methodE3ELS4_3ELS4_3ELNS0_20block_scan_algorithmE0ELj4294967295EEENS1_25partition_config_selectorILNS1_17partition_subalgoE4EjNS0_10empty_typeEbEEZZNS1_14partition_implILS8_4ELb0ES6_15HIP_vector_typeIjLj2EENS0_17counting_iteratorIjlEEPS9_SG_NS0_5tupleIJPjSI_NS0_16reverse_iteratorISI_EEEEENSH_IJSG_SG_SG_EEES9_SI_JZNS1_25segmented_radix_sort_implINS0_14default_configELb0EPKfPfPKlPlN2at6native12_GLOBAL__N_18offset_tEEE10hipError_tPvRmT1_PNSt15iterator_traitsIS12_E10value_typeET2_T3_PNS13_IS18_E10value_typeET4_jRbjT5_S1E_jjP12ihipStream_tbEUljE_ZNSN_ISO_Lb0ESQ_SR_ST_SU_SY_EESZ_S10_S11_S12_S16_S17_S18_S1B_S1C_jS1D_jS1E_S1E_jjS1G_bEUljE0_EEESZ_S10_S11_S18_S1C_S1E_T6_T7_T9_mT8_S1G_bDpT10_ENKUlT_T0_E_clISt17integral_constantIbLb1EES1U_EEDaS1P_S1Q_EUlS1P_E_NS1_11comp_targetILNS1_3genE4ELNS1_11target_archE910ELNS1_3gpuE8ELNS1_3repE0EEENS1_30default_config_static_selectorELNS0_4arch9wavefront6targetE0EEEvS12_,"axG",@progbits,_ZN7rocprim17ROCPRIM_400000_NS6detail17trampoline_kernelINS0_13select_configILj256ELj13ELNS0_17block_load_methodE3ELS4_3ELS4_3ELNS0_20block_scan_algorithmE0ELj4294967295EEENS1_25partition_config_selectorILNS1_17partition_subalgoE4EjNS0_10empty_typeEbEEZZNS1_14partition_implILS8_4ELb0ES6_15HIP_vector_typeIjLj2EENS0_17counting_iteratorIjlEEPS9_SG_NS0_5tupleIJPjSI_NS0_16reverse_iteratorISI_EEEEENSH_IJSG_SG_SG_EEES9_SI_JZNS1_25segmented_radix_sort_implINS0_14default_configELb0EPKfPfPKlPlN2at6native12_GLOBAL__N_18offset_tEEE10hipError_tPvRmT1_PNSt15iterator_traitsIS12_E10value_typeET2_T3_PNS13_IS18_E10value_typeET4_jRbjT5_S1E_jjP12ihipStream_tbEUljE_ZNSN_ISO_Lb0ESQ_SR_ST_SU_SY_EESZ_S10_S11_S12_S16_S17_S18_S1B_S1C_jS1D_jS1E_S1E_jjS1G_bEUljE0_EEESZ_S10_S11_S18_S1C_S1E_T6_T7_T9_mT8_S1G_bDpT10_ENKUlT_T0_E_clISt17integral_constantIbLb1EES1U_EEDaS1P_S1Q_EUlS1P_E_NS1_11comp_targetILNS1_3genE4ELNS1_11target_archE910ELNS1_3gpuE8ELNS1_3repE0EEENS1_30default_config_static_selectorELNS0_4arch9wavefront6targetE0EEEvS12_,comdat
.Lfunc_end1374:
	.size	_ZN7rocprim17ROCPRIM_400000_NS6detail17trampoline_kernelINS0_13select_configILj256ELj13ELNS0_17block_load_methodE3ELS4_3ELS4_3ELNS0_20block_scan_algorithmE0ELj4294967295EEENS1_25partition_config_selectorILNS1_17partition_subalgoE4EjNS0_10empty_typeEbEEZZNS1_14partition_implILS8_4ELb0ES6_15HIP_vector_typeIjLj2EENS0_17counting_iteratorIjlEEPS9_SG_NS0_5tupleIJPjSI_NS0_16reverse_iteratorISI_EEEEENSH_IJSG_SG_SG_EEES9_SI_JZNS1_25segmented_radix_sort_implINS0_14default_configELb0EPKfPfPKlPlN2at6native12_GLOBAL__N_18offset_tEEE10hipError_tPvRmT1_PNSt15iterator_traitsIS12_E10value_typeET2_T3_PNS13_IS18_E10value_typeET4_jRbjT5_S1E_jjP12ihipStream_tbEUljE_ZNSN_ISO_Lb0ESQ_SR_ST_SU_SY_EESZ_S10_S11_S12_S16_S17_S18_S1B_S1C_jS1D_jS1E_S1E_jjS1G_bEUljE0_EEESZ_S10_S11_S18_S1C_S1E_T6_T7_T9_mT8_S1G_bDpT10_ENKUlT_T0_E_clISt17integral_constantIbLb1EES1U_EEDaS1P_S1Q_EUlS1P_E_NS1_11comp_targetILNS1_3genE4ELNS1_11target_archE910ELNS1_3gpuE8ELNS1_3repE0EEENS1_30default_config_static_selectorELNS0_4arch9wavefront6targetE0EEEvS12_, .Lfunc_end1374-_ZN7rocprim17ROCPRIM_400000_NS6detail17trampoline_kernelINS0_13select_configILj256ELj13ELNS0_17block_load_methodE3ELS4_3ELS4_3ELNS0_20block_scan_algorithmE0ELj4294967295EEENS1_25partition_config_selectorILNS1_17partition_subalgoE4EjNS0_10empty_typeEbEEZZNS1_14partition_implILS8_4ELb0ES6_15HIP_vector_typeIjLj2EENS0_17counting_iteratorIjlEEPS9_SG_NS0_5tupleIJPjSI_NS0_16reverse_iteratorISI_EEEEENSH_IJSG_SG_SG_EEES9_SI_JZNS1_25segmented_radix_sort_implINS0_14default_configELb0EPKfPfPKlPlN2at6native12_GLOBAL__N_18offset_tEEE10hipError_tPvRmT1_PNSt15iterator_traitsIS12_E10value_typeET2_T3_PNS13_IS18_E10value_typeET4_jRbjT5_S1E_jjP12ihipStream_tbEUljE_ZNSN_ISO_Lb0ESQ_SR_ST_SU_SY_EESZ_S10_S11_S12_S16_S17_S18_S1B_S1C_jS1D_jS1E_S1E_jjS1G_bEUljE0_EEESZ_S10_S11_S18_S1C_S1E_T6_T7_T9_mT8_S1G_bDpT10_ENKUlT_T0_E_clISt17integral_constantIbLb1EES1U_EEDaS1P_S1Q_EUlS1P_E_NS1_11comp_targetILNS1_3genE4ELNS1_11target_archE910ELNS1_3gpuE8ELNS1_3repE0EEENS1_30default_config_static_selectorELNS0_4arch9wavefront6targetE0EEEvS12_
                                        ; -- End function
	.set _ZN7rocprim17ROCPRIM_400000_NS6detail17trampoline_kernelINS0_13select_configILj256ELj13ELNS0_17block_load_methodE3ELS4_3ELS4_3ELNS0_20block_scan_algorithmE0ELj4294967295EEENS1_25partition_config_selectorILNS1_17partition_subalgoE4EjNS0_10empty_typeEbEEZZNS1_14partition_implILS8_4ELb0ES6_15HIP_vector_typeIjLj2EENS0_17counting_iteratorIjlEEPS9_SG_NS0_5tupleIJPjSI_NS0_16reverse_iteratorISI_EEEEENSH_IJSG_SG_SG_EEES9_SI_JZNS1_25segmented_radix_sort_implINS0_14default_configELb0EPKfPfPKlPlN2at6native12_GLOBAL__N_18offset_tEEE10hipError_tPvRmT1_PNSt15iterator_traitsIS12_E10value_typeET2_T3_PNS13_IS18_E10value_typeET4_jRbjT5_S1E_jjP12ihipStream_tbEUljE_ZNSN_ISO_Lb0ESQ_SR_ST_SU_SY_EESZ_S10_S11_S12_S16_S17_S18_S1B_S1C_jS1D_jS1E_S1E_jjS1G_bEUljE0_EEESZ_S10_S11_S18_S1C_S1E_T6_T7_T9_mT8_S1G_bDpT10_ENKUlT_T0_E_clISt17integral_constantIbLb1EES1U_EEDaS1P_S1Q_EUlS1P_E_NS1_11comp_targetILNS1_3genE4ELNS1_11target_archE910ELNS1_3gpuE8ELNS1_3repE0EEENS1_30default_config_static_selectorELNS0_4arch9wavefront6targetE0EEEvS12_.num_vgpr, 0
	.set _ZN7rocprim17ROCPRIM_400000_NS6detail17trampoline_kernelINS0_13select_configILj256ELj13ELNS0_17block_load_methodE3ELS4_3ELS4_3ELNS0_20block_scan_algorithmE0ELj4294967295EEENS1_25partition_config_selectorILNS1_17partition_subalgoE4EjNS0_10empty_typeEbEEZZNS1_14partition_implILS8_4ELb0ES6_15HIP_vector_typeIjLj2EENS0_17counting_iteratorIjlEEPS9_SG_NS0_5tupleIJPjSI_NS0_16reverse_iteratorISI_EEEEENSH_IJSG_SG_SG_EEES9_SI_JZNS1_25segmented_radix_sort_implINS0_14default_configELb0EPKfPfPKlPlN2at6native12_GLOBAL__N_18offset_tEEE10hipError_tPvRmT1_PNSt15iterator_traitsIS12_E10value_typeET2_T3_PNS13_IS18_E10value_typeET4_jRbjT5_S1E_jjP12ihipStream_tbEUljE_ZNSN_ISO_Lb0ESQ_SR_ST_SU_SY_EESZ_S10_S11_S12_S16_S17_S18_S1B_S1C_jS1D_jS1E_S1E_jjS1G_bEUljE0_EEESZ_S10_S11_S18_S1C_S1E_T6_T7_T9_mT8_S1G_bDpT10_ENKUlT_T0_E_clISt17integral_constantIbLb1EES1U_EEDaS1P_S1Q_EUlS1P_E_NS1_11comp_targetILNS1_3genE4ELNS1_11target_archE910ELNS1_3gpuE8ELNS1_3repE0EEENS1_30default_config_static_selectorELNS0_4arch9wavefront6targetE0EEEvS12_.num_agpr, 0
	.set _ZN7rocprim17ROCPRIM_400000_NS6detail17trampoline_kernelINS0_13select_configILj256ELj13ELNS0_17block_load_methodE3ELS4_3ELS4_3ELNS0_20block_scan_algorithmE0ELj4294967295EEENS1_25partition_config_selectorILNS1_17partition_subalgoE4EjNS0_10empty_typeEbEEZZNS1_14partition_implILS8_4ELb0ES6_15HIP_vector_typeIjLj2EENS0_17counting_iteratorIjlEEPS9_SG_NS0_5tupleIJPjSI_NS0_16reverse_iteratorISI_EEEEENSH_IJSG_SG_SG_EEES9_SI_JZNS1_25segmented_radix_sort_implINS0_14default_configELb0EPKfPfPKlPlN2at6native12_GLOBAL__N_18offset_tEEE10hipError_tPvRmT1_PNSt15iterator_traitsIS12_E10value_typeET2_T3_PNS13_IS18_E10value_typeET4_jRbjT5_S1E_jjP12ihipStream_tbEUljE_ZNSN_ISO_Lb0ESQ_SR_ST_SU_SY_EESZ_S10_S11_S12_S16_S17_S18_S1B_S1C_jS1D_jS1E_S1E_jjS1G_bEUljE0_EEESZ_S10_S11_S18_S1C_S1E_T6_T7_T9_mT8_S1G_bDpT10_ENKUlT_T0_E_clISt17integral_constantIbLb1EES1U_EEDaS1P_S1Q_EUlS1P_E_NS1_11comp_targetILNS1_3genE4ELNS1_11target_archE910ELNS1_3gpuE8ELNS1_3repE0EEENS1_30default_config_static_selectorELNS0_4arch9wavefront6targetE0EEEvS12_.numbered_sgpr, 0
	.set _ZN7rocprim17ROCPRIM_400000_NS6detail17trampoline_kernelINS0_13select_configILj256ELj13ELNS0_17block_load_methodE3ELS4_3ELS4_3ELNS0_20block_scan_algorithmE0ELj4294967295EEENS1_25partition_config_selectorILNS1_17partition_subalgoE4EjNS0_10empty_typeEbEEZZNS1_14partition_implILS8_4ELb0ES6_15HIP_vector_typeIjLj2EENS0_17counting_iteratorIjlEEPS9_SG_NS0_5tupleIJPjSI_NS0_16reverse_iteratorISI_EEEEENSH_IJSG_SG_SG_EEES9_SI_JZNS1_25segmented_radix_sort_implINS0_14default_configELb0EPKfPfPKlPlN2at6native12_GLOBAL__N_18offset_tEEE10hipError_tPvRmT1_PNSt15iterator_traitsIS12_E10value_typeET2_T3_PNS13_IS18_E10value_typeET4_jRbjT5_S1E_jjP12ihipStream_tbEUljE_ZNSN_ISO_Lb0ESQ_SR_ST_SU_SY_EESZ_S10_S11_S12_S16_S17_S18_S1B_S1C_jS1D_jS1E_S1E_jjS1G_bEUljE0_EEESZ_S10_S11_S18_S1C_S1E_T6_T7_T9_mT8_S1G_bDpT10_ENKUlT_T0_E_clISt17integral_constantIbLb1EES1U_EEDaS1P_S1Q_EUlS1P_E_NS1_11comp_targetILNS1_3genE4ELNS1_11target_archE910ELNS1_3gpuE8ELNS1_3repE0EEENS1_30default_config_static_selectorELNS0_4arch9wavefront6targetE0EEEvS12_.num_named_barrier, 0
	.set _ZN7rocprim17ROCPRIM_400000_NS6detail17trampoline_kernelINS0_13select_configILj256ELj13ELNS0_17block_load_methodE3ELS4_3ELS4_3ELNS0_20block_scan_algorithmE0ELj4294967295EEENS1_25partition_config_selectorILNS1_17partition_subalgoE4EjNS0_10empty_typeEbEEZZNS1_14partition_implILS8_4ELb0ES6_15HIP_vector_typeIjLj2EENS0_17counting_iteratorIjlEEPS9_SG_NS0_5tupleIJPjSI_NS0_16reverse_iteratorISI_EEEEENSH_IJSG_SG_SG_EEES9_SI_JZNS1_25segmented_radix_sort_implINS0_14default_configELb0EPKfPfPKlPlN2at6native12_GLOBAL__N_18offset_tEEE10hipError_tPvRmT1_PNSt15iterator_traitsIS12_E10value_typeET2_T3_PNS13_IS18_E10value_typeET4_jRbjT5_S1E_jjP12ihipStream_tbEUljE_ZNSN_ISO_Lb0ESQ_SR_ST_SU_SY_EESZ_S10_S11_S12_S16_S17_S18_S1B_S1C_jS1D_jS1E_S1E_jjS1G_bEUljE0_EEESZ_S10_S11_S18_S1C_S1E_T6_T7_T9_mT8_S1G_bDpT10_ENKUlT_T0_E_clISt17integral_constantIbLb1EES1U_EEDaS1P_S1Q_EUlS1P_E_NS1_11comp_targetILNS1_3genE4ELNS1_11target_archE910ELNS1_3gpuE8ELNS1_3repE0EEENS1_30default_config_static_selectorELNS0_4arch9wavefront6targetE0EEEvS12_.private_seg_size, 0
	.set _ZN7rocprim17ROCPRIM_400000_NS6detail17trampoline_kernelINS0_13select_configILj256ELj13ELNS0_17block_load_methodE3ELS4_3ELS4_3ELNS0_20block_scan_algorithmE0ELj4294967295EEENS1_25partition_config_selectorILNS1_17partition_subalgoE4EjNS0_10empty_typeEbEEZZNS1_14partition_implILS8_4ELb0ES6_15HIP_vector_typeIjLj2EENS0_17counting_iteratorIjlEEPS9_SG_NS0_5tupleIJPjSI_NS0_16reverse_iteratorISI_EEEEENSH_IJSG_SG_SG_EEES9_SI_JZNS1_25segmented_radix_sort_implINS0_14default_configELb0EPKfPfPKlPlN2at6native12_GLOBAL__N_18offset_tEEE10hipError_tPvRmT1_PNSt15iterator_traitsIS12_E10value_typeET2_T3_PNS13_IS18_E10value_typeET4_jRbjT5_S1E_jjP12ihipStream_tbEUljE_ZNSN_ISO_Lb0ESQ_SR_ST_SU_SY_EESZ_S10_S11_S12_S16_S17_S18_S1B_S1C_jS1D_jS1E_S1E_jjS1G_bEUljE0_EEESZ_S10_S11_S18_S1C_S1E_T6_T7_T9_mT8_S1G_bDpT10_ENKUlT_T0_E_clISt17integral_constantIbLb1EES1U_EEDaS1P_S1Q_EUlS1P_E_NS1_11comp_targetILNS1_3genE4ELNS1_11target_archE910ELNS1_3gpuE8ELNS1_3repE0EEENS1_30default_config_static_selectorELNS0_4arch9wavefront6targetE0EEEvS12_.uses_vcc, 0
	.set _ZN7rocprim17ROCPRIM_400000_NS6detail17trampoline_kernelINS0_13select_configILj256ELj13ELNS0_17block_load_methodE3ELS4_3ELS4_3ELNS0_20block_scan_algorithmE0ELj4294967295EEENS1_25partition_config_selectorILNS1_17partition_subalgoE4EjNS0_10empty_typeEbEEZZNS1_14partition_implILS8_4ELb0ES6_15HIP_vector_typeIjLj2EENS0_17counting_iteratorIjlEEPS9_SG_NS0_5tupleIJPjSI_NS0_16reverse_iteratorISI_EEEEENSH_IJSG_SG_SG_EEES9_SI_JZNS1_25segmented_radix_sort_implINS0_14default_configELb0EPKfPfPKlPlN2at6native12_GLOBAL__N_18offset_tEEE10hipError_tPvRmT1_PNSt15iterator_traitsIS12_E10value_typeET2_T3_PNS13_IS18_E10value_typeET4_jRbjT5_S1E_jjP12ihipStream_tbEUljE_ZNSN_ISO_Lb0ESQ_SR_ST_SU_SY_EESZ_S10_S11_S12_S16_S17_S18_S1B_S1C_jS1D_jS1E_S1E_jjS1G_bEUljE0_EEESZ_S10_S11_S18_S1C_S1E_T6_T7_T9_mT8_S1G_bDpT10_ENKUlT_T0_E_clISt17integral_constantIbLb1EES1U_EEDaS1P_S1Q_EUlS1P_E_NS1_11comp_targetILNS1_3genE4ELNS1_11target_archE910ELNS1_3gpuE8ELNS1_3repE0EEENS1_30default_config_static_selectorELNS0_4arch9wavefront6targetE0EEEvS12_.uses_flat_scratch, 0
	.set _ZN7rocprim17ROCPRIM_400000_NS6detail17trampoline_kernelINS0_13select_configILj256ELj13ELNS0_17block_load_methodE3ELS4_3ELS4_3ELNS0_20block_scan_algorithmE0ELj4294967295EEENS1_25partition_config_selectorILNS1_17partition_subalgoE4EjNS0_10empty_typeEbEEZZNS1_14partition_implILS8_4ELb0ES6_15HIP_vector_typeIjLj2EENS0_17counting_iteratorIjlEEPS9_SG_NS0_5tupleIJPjSI_NS0_16reverse_iteratorISI_EEEEENSH_IJSG_SG_SG_EEES9_SI_JZNS1_25segmented_radix_sort_implINS0_14default_configELb0EPKfPfPKlPlN2at6native12_GLOBAL__N_18offset_tEEE10hipError_tPvRmT1_PNSt15iterator_traitsIS12_E10value_typeET2_T3_PNS13_IS18_E10value_typeET4_jRbjT5_S1E_jjP12ihipStream_tbEUljE_ZNSN_ISO_Lb0ESQ_SR_ST_SU_SY_EESZ_S10_S11_S12_S16_S17_S18_S1B_S1C_jS1D_jS1E_S1E_jjS1G_bEUljE0_EEESZ_S10_S11_S18_S1C_S1E_T6_T7_T9_mT8_S1G_bDpT10_ENKUlT_T0_E_clISt17integral_constantIbLb1EES1U_EEDaS1P_S1Q_EUlS1P_E_NS1_11comp_targetILNS1_3genE4ELNS1_11target_archE910ELNS1_3gpuE8ELNS1_3repE0EEENS1_30default_config_static_selectorELNS0_4arch9wavefront6targetE0EEEvS12_.has_dyn_sized_stack, 0
	.set _ZN7rocprim17ROCPRIM_400000_NS6detail17trampoline_kernelINS0_13select_configILj256ELj13ELNS0_17block_load_methodE3ELS4_3ELS4_3ELNS0_20block_scan_algorithmE0ELj4294967295EEENS1_25partition_config_selectorILNS1_17partition_subalgoE4EjNS0_10empty_typeEbEEZZNS1_14partition_implILS8_4ELb0ES6_15HIP_vector_typeIjLj2EENS0_17counting_iteratorIjlEEPS9_SG_NS0_5tupleIJPjSI_NS0_16reverse_iteratorISI_EEEEENSH_IJSG_SG_SG_EEES9_SI_JZNS1_25segmented_radix_sort_implINS0_14default_configELb0EPKfPfPKlPlN2at6native12_GLOBAL__N_18offset_tEEE10hipError_tPvRmT1_PNSt15iterator_traitsIS12_E10value_typeET2_T3_PNS13_IS18_E10value_typeET4_jRbjT5_S1E_jjP12ihipStream_tbEUljE_ZNSN_ISO_Lb0ESQ_SR_ST_SU_SY_EESZ_S10_S11_S12_S16_S17_S18_S1B_S1C_jS1D_jS1E_S1E_jjS1G_bEUljE0_EEESZ_S10_S11_S18_S1C_S1E_T6_T7_T9_mT8_S1G_bDpT10_ENKUlT_T0_E_clISt17integral_constantIbLb1EES1U_EEDaS1P_S1Q_EUlS1P_E_NS1_11comp_targetILNS1_3genE4ELNS1_11target_archE910ELNS1_3gpuE8ELNS1_3repE0EEENS1_30default_config_static_selectorELNS0_4arch9wavefront6targetE0EEEvS12_.has_recursion, 0
	.set _ZN7rocprim17ROCPRIM_400000_NS6detail17trampoline_kernelINS0_13select_configILj256ELj13ELNS0_17block_load_methodE3ELS4_3ELS4_3ELNS0_20block_scan_algorithmE0ELj4294967295EEENS1_25partition_config_selectorILNS1_17partition_subalgoE4EjNS0_10empty_typeEbEEZZNS1_14partition_implILS8_4ELb0ES6_15HIP_vector_typeIjLj2EENS0_17counting_iteratorIjlEEPS9_SG_NS0_5tupleIJPjSI_NS0_16reverse_iteratorISI_EEEEENSH_IJSG_SG_SG_EEES9_SI_JZNS1_25segmented_radix_sort_implINS0_14default_configELb0EPKfPfPKlPlN2at6native12_GLOBAL__N_18offset_tEEE10hipError_tPvRmT1_PNSt15iterator_traitsIS12_E10value_typeET2_T3_PNS13_IS18_E10value_typeET4_jRbjT5_S1E_jjP12ihipStream_tbEUljE_ZNSN_ISO_Lb0ESQ_SR_ST_SU_SY_EESZ_S10_S11_S12_S16_S17_S18_S1B_S1C_jS1D_jS1E_S1E_jjS1G_bEUljE0_EEESZ_S10_S11_S18_S1C_S1E_T6_T7_T9_mT8_S1G_bDpT10_ENKUlT_T0_E_clISt17integral_constantIbLb1EES1U_EEDaS1P_S1Q_EUlS1P_E_NS1_11comp_targetILNS1_3genE4ELNS1_11target_archE910ELNS1_3gpuE8ELNS1_3repE0EEENS1_30default_config_static_selectorELNS0_4arch9wavefront6targetE0EEEvS12_.has_indirect_call, 0
	.section	.AMDGPU.csdata,"",@progbits
; Kernel info:
; codeLenInByte = 0
; TotalNumSgprs: 0
; NumVgprs: 0
; ScratchSize: 0
; MemoryBound: 0
; FloatMode: 240
; IeeeMode: 1
; LDSByteSize: 0 bytes/workgroup (compile time only)
; SGPRBlocks: 0
; VGPRBlocks: 0
; NumSGPRsForWavesPerEU: 1
; NumVGPRsForWavesPerEU: 1
; Occupancy: 16
; WaveLimiterHint : 0
; COMPUTE_PGM_RSRC2:SCRATCH_EN: 0
; COMPUTE_PGM_RSRC2:USER_SGPR: 2
; COMPUTE_PGM_RSRC2:TRAP_HANDLER: 0
; COMPUTE_PGM_RSRC2:TGID_X_EN: 1
; COMPUTE_PGM_RSRC2:TGID_Y_EN: 0
; COMPUTE_PGM_RSRC2:TGID_Z_EN: 0
; COMPUTE_PGM_RSRC2:TIDIG_COMP_CNT: 0
	.section	.text._ZN7rocprim17ROCPRIM_400000_NS6detail17trampoline_kernelINS0_13select_configILj256ELj13ELNS0_17block_load_methodE3ELS4_3ELS4_3ELNS0_20block_scan_algorithmE0ELj4294967295EEENS1_25partition_config_selectorILNS1_17partition_subalgoE4EjNS0_10empty_typeEbEEZZNS1_14partition_implILS8_4ELb0ES6_15HIP_vector_typeIjLj2EENS0_17counting_iteratorIjlEEPS9_SG_NS0_5tupleIJPjSI_NS0_16reverse_iteratorISI_EEEEENSH_IJSG_SG_SG_EEES9_SI_JZNS1_25segmented_radix_sort_implINS0_14default_configELb0EPKfPfPKlPlN2at6native12_GLOBAL__N_18offset_tEEE10hipError_tPvRmT1_PNSt15iterator_traitsIS12_E10value_typeET2_T3_PNS13_IS18_E10value_typeET4_jRbjT5_S1E_jjP12ihipStream_tbEUljE_ZNSN_ISO_Lb0ESQ_SR_ST_SU_SY_EESZ_S10_S11_S12_S16_S17_S18_S1B_S1C_jS1D_jS1E_S1E_jjS1G_bEUljE0_EEESZ_S10_S11_S18_S1C_S1E_T6_T7_T9_mT8_S1G_bDpT10_ENKUlT_T0_E_clISt17integral_constantIbLb1EES1U_EEDaS1P_S1Q_EUlS1P_E_NS1_11comp_targetILNS1_3genE3ELNS1_11target_archE908ELNS1_3gpuE7ELNS1_3repE0EEENS1_30default_config_static_selectorELNS0_4arch9wavefront6targetE0EEEvS12_,"axG",@progbits,_ZN7rocprim17ROCPRIM_400000_NS6detail17trampoline_kernelINS0_13select_configILj256ELj13ELNS0_17block_load_methodE3ELS4_3ELS4_3ELNS0_20block_scan_algorithmE0ELj4294967295EEENS1_25partition_config_selectorILNS1_17partition_subalgoE4EjNS0_10empty_typeEbEEZZNS1_14partition_implILS8_4ELb0ES6_15HIP_vector_typeIjLj2EENS0_17counting_iteratorIjlEEPS9_SG_NS0_5tupleIJPjSI_NS0_16reverse_iteratorISI_EEEEENSH_IJSG_SG_SG_EEES9_SI_JZNS1_25segmented_radix_sort_implINS0_14default_configELb0EPKfPfPKlPlN2at6native12_GLOBAL__N_18offset_tEEE10hipError_tPvRmT1_PNSt15iterator_traitsIS12_E10value_typeET2_T3_PNS13_IS18_E10value_typeET4_jRbjT5_S1E_jjP12ihipStream_tbEUljE_ZNSN_ISO_Lb0ESQ_SR_ST_SU_SY_EESZ_S10_S11_S12_S16_S17_S18_S1B_S1C_jS1D_jS1E_S1E_jjS1G_bEUljE0_EEESZ_S10_S11_S18_S1C_S1E_T6_T7_T9_mT8_S1G_bDpT10_ENKUlT_T0_E_clISt17integral_constantIbLb1EES1U_EEDaS1P_S1Q_EUlS1P_E_NS1_11comp_targetILNS1_3genE3ELNS1_11target_archE908ELNS1_3gpuE7ELNS1_3repE0EEENS1_30default_config_static_selectorELNS0_4arch9wavefront6targetE0EEEvS12_,comdat
	.globl	_ZN7rocprim17ROCPRIM_400000_NS6detail17trampoline_kernelINS0_13select_configILj256ELj13ELNS0_17block_load_methodE3ELS4_3ELS4_3ELNS0_20block_scan_algorithmE0ELj4294967295EEENS1_25partition_config_selectorILNS1_17partition_subalgoE4EjNS0_10empty_typeEbEEZZNS1_14partition_implILS8_4ELb0ES6_15HIP_vector_typeIjLj2EENS0_17counting_iteratorIjlEEPS9_SG_NS0_5tupleIJPjSI_NS0_16reverse_iteratorISI_EEEEENSH_IJSG_SG_SG_EEES9_SI_JZNS1_25segmented_radix_sort_implINS0_14default_configELb0EPKfPfPKlPlN2at6native12_GLOBAL__N_18offset_tEEE10hipError_tPvRmT1_PNSt15iterator_traitsIS12_E10value_typeET2_T3_PNS13_IS18_E10value_typeET4_jRbjT5_S1E_jjP12ihipStream_tbEUljE_ZNSN_ISO_Lb0ESQ_SR_ST_SU_SY_EESZ_S10_S11_S12_S16_S17_S18_S1B_S1C_jS1D_jS1E_S1E_jjS1G_bEUljE0_EEESZ_S10_S11_S18_S1C_S1E_T6_T7_T9_mT8_S1G_bDpT10_ENKUlT_T0_E_clISt17integral_constantIbLb1EES1U_EEDaS1P_S1Q_EUlS1P_E_NS1_11comp_targetILNS1_3genE3ELNS1_11target_archE908ELNS1_3gpuE7ELNS1_3repE0EEENS1_30default_config_static_selectorELNS0_4arch9wavefront6targetE0EEEvS12_ ; -- Begin function _ZN7rocprim17ROCPRIM_400000_NS6detail17trampoline_kernelINS0_13select_configILj256ELj13ELNS0_17block_load_methodE3ELS4_3ELS4_3ELNS0_20block_scan_algorithmE0ELj4294967295EEENS1_25partition_config_selectorILNS1_17partition_subalgoE4EjNS0_10empty_typeEbEEZZNS1_14partition_implILS8_4ELb0ES6_15HIP_vector_typeIjLj2EENS0_17counting_iteratorIjlEEPS9_SG_NS0_5tupleIJPjSI_NS0_16reverse_iteratorISI_EEEEENSH_IJSG_SG_SG_EEES9_SI_JZNS1_25segmented_radix_sort_implINS0_14default_configELb0EPKfPfPKlPlN2at6native12_GLOBAL__N_18offset_tEEE10hipError_tPvRmT1_PNSt15iterator_traitsIS12_E10value_typeET2_T3_PNS13_IS18_E10value_typeET4_jRbjT5_S1E_jjP12ihipStream_tbEUljE_ZNSN_ISO_Lb0ESQ_SR_ST_SU_SY_EESZ_S10_S11_S12_S16_S17_S18_S1B_S1C_jS1D_jS1E_S1E_jjS1G_bEUljE0_EEESZ_S10_S11_S18_S1C_S1E_T6_T7_T9_mT8_S1G_bDpT10_ENKUlT_T0_E_clISt17integral_constantIbLb1EES1U_EEDaS1P_S1Q_EUlS1P_E_NS1_11comp_targetILNS1_3genE3ELNS1_11target_archE908ELNS1_3gpuE7ELNS1_3repE0EEENS1_30default_config_static_selectorELNS0_4arch9wavefront6targetE0EEEvS12_
	.p2align	8
	.type	_ZN7rocprim17ROCPRIM_400000_NS6detail17trampoline_kernelINS0_13select_configILj256ELj13ELNS0_17block_load_methodE3ELS4_3ELS4_3ELNS0_20block_scan_algorithmE0ELj4294967295EEENS1_25partition_config_selectorILNS1_17partition_subalgoE4EjNS0_10empty_typeEbEEZZNS1_14partition_implILS8_4ELb0ES6_15HIP_vector_typeIjLj2EENS0_17counting_iteratorIjlEEPS9_SG_NS0_5tupleIJPjSI_NS0_16reverse_iteratorISI_EEEEENSH_IJSG_SG_SG_EEES9_SI_JZNS1_25segmented_radix_sort_implINS0_14default_configELb0EPKfPfPKlPlN2at6native12_GLOBAL__N_18offset_tEEE10hipError_tPvRmT1_PNSt15iterator_traitsIS12_E10value_typeET2_T3_PNS13_IS18_E10value_typeET4_jRbjT5_S1E_jjP12ihipStream_tbEUljE_ZNSN_ISO_Lb0ESQ_SR_ST_SU_SY_EESZ_S10_S11_S12_S16_S17_S18_S1B_S1C_jS1D_jS1E_S1E_jjS1G_bEUljE0_EEESZ_S10_S11_S18_S1C_S1E_T6_T7_T9_mT8_S1G_bDpT10_ENKUlT_T0_E_clISt17integral_constantIbLb1EES1U_EEDaS1P_S1Q_EUlS1P_E_NS1_11comp_targetILNS1_3genE3ELNS1_11target_archE908ELNS1_3gpuE7ELNS1_3repE0EEENS1_30default_config_static_selectorELNS0_4arch9wavefront6targetE0EEEvS12_,@function
_ZN7rocprim17ROCPRIM_400000_NS6detail17trampoline_kernelINS0_13select_configILj256ELj13ELNS0_17block_load_methodE3ELS4_3ELS4_3ELNS0_20block_scan_algorithmE0ELj4294967295EEENS1_25partition_config_selectorILNS1_17partition_subalgoE4EjNS0_10empty_typeEbEEZZNS1_14partition_implILS8_4ELb0ES6_15HIP_vector_typeIjLj2EENS0_17counting_iteratorIjlEEPS9_SG_NS0_5tupleIJPjSI_NS0_16reverse_iteratorISI_EEEEENSH_IJSG_SG_SG_EEES9_SI_JZNS1_25segmented_radix_sort_implINS0_14default_configELb0EPKfPfPKlPlN2at6native12_GLOBAL__N_18offset_tEEE10hipError_tPvRmT1_PNSt15iterator_traitsIS12_E10value_typeET2_T3_PNS13_IS18_E10value_typeET4_jRbjT5_S1E_jjP12ihipStream_tbEUljE_ZNSN_ISO_Lb0ESQ_SR_ST_SU_SY_EESZ_S10_S11_S12_S16_S17_S18_S1B_S1C_jS1D_jS1E_S1E_jjS1G_bEUljE0_EEESZ_S10_S11_S18_S1C_S1E_T6_T7_T9_mT8_S1G_bDpT10_ENKUlT_T0_E_clISt17integral_constantIbLb1EES1U_EEDaS1P_S1Q_EUlS1P_E_NS1_11comp_targetILNS1_3genE3ELNS1_11target_archE908ELNS1_3gpuE7ELNS1_3repE0EEENS1_30default_config_static_selectorELNS0_4arch9wavefront6targetE0EEEvS12_: ; @_ZN7rocprim17ROCPRIM_400000_NS6detail17trampoline_kernelINS0_13select_configILj256ELj13ELNS0_17block_load_methodE3ELS4_3ELS4_3ELNS0_20block_scan_algorithmE0ELj4294967295EEENS1_25partition_config_selectorILNS1_17partition_subalgoE4EjNS0_10empty_typeEbEEZZNS1_14partition_implILS8_4ELb0ES6_15HIP_vector_typeIjLj2EENS0_17counting_iteratorIjlEEPS9_SG_NS0_5tupleIJPjSI_NS0_16reverse_iteratorISI_EEEEENSH_IJSG_SG_SG_EEES9_SI_JZNS1_25segmented_radix_sort_implINS0_14default_configELb0EPKfPfPKlPlN2at6native12_GLOBAL__N_18offset_tEEE10hipError_tPvRmT1_PNSt15iterator_traitsIS12_E10value_typeET2_T3_PNS13_IS18_E10value_typeET4_jRbjT5_S1E_jjP12ihipStream_tbEUljE_ZNSN_ISO_Lb0ESQ_SR_ST_SU_SY_EESZ_S10_S11_S12_S16_S17_S18_S1B_S1C_jS1D_jS1E_S1E_jjS1G_bEUljE0_EEESZ_S10_S11_S18_S1C_S1E_T6_T7_T9_mT8_S1G_bDpT10_ENKUlT_T0_E_clISt17integral_constantIbLb1EES1U_EEDaS1P_S1Q_EUlS1P_E_NS1_11comp_targetILNS1_3genE3ELNS1_11target_archE908ELNS1_3gpuE7ELNS1_3repE0EEENS1_30default_config_static_selectorELNS0_4arch9wavefront6targetE0EEEvS12_
; %bb.0:
	.section	.rodata,"a",@progbits
	.p2align	6, 0x0
	.amdhsa_kernel _ZN7rocprim17ROCPRIM_400000_NS6detail17trampoline_kernelINS0_13select_configILj256ELj13ELNS0_17block_load_methodE3ELS4_3ELS4_3ELNS0_20block_scan_algorithmE0ELj4294967295EEENS1_25partition_config_selectorILNS1_17partition_subalgoE4EjNS0_10empty_typeEbEEZZNS1_14partition_implILS8_4ELb0ES6_15HIP_vector_typeIjLj2EENS0_17counting_iteratorIjlEEPS9_SG_NS0_5tupleIJPjSI_NS0_16reverse_iteratorISI_EEEEENSH_IJSG_SG_SG_EEES9_SI_JZNS1_25segmented_radix_sort_implINS0_14default_configELb0EPKfPfPKlPlN2at6native12_GLOBAL__N_18offset_tEEE10hipError_tPvRmT1_PNSt15iterator_traitsIS12_E10value_typeET2_T3_PNS13_IS18_E10value_typeET4_jRbjT5_S1E_jjP12ihipStream_tbEUljE_ZNSN_ISO_Lb0ESQ_SR_ST_SU_SY_EESZ_S10_S11_S12_S16_S17_S18_S1B_S1C_jS1D_jS1E_S1E_jjS1G_bEUljE0_EEESZ_S10_S11_S18_S1C_S1E_T6_T7_T9_mT8_S1G_bDpT10_ENKUlT_T0_E_clISt17integral_constantIbLb1EES1U_EEDaS1P_S1Q_EUlS1P_E_NS1_11comp_targetILNS1_3genE3ELNS1_11target_archE908ELNS1_3gpuE7ELNS1_3repE0EEENS1_30default_config_static_selectorELNS0_4arch9wavefront6targetE0EEEvS12_
		.amdhsa_group_segment_fixed_size 0
		.amdhsa_private_segment_fixed_size 0
		.amdhsa_kernarg_size 184
		.amdhsa_user_sgpr_count 2
		.amdhsa_user_sgpr_dispatch_ptr 0
		.amdhsa_user_sgpr_queue_ptr 0
		.amdhsa_user_sgpr_kernarg_segment_ptr 1
		.amdhsa_user_sgpr_dispatch_id 0
		.amdhsa_user_sgpr_private_segment_size 0
		.amdhsa_wavefront_size32 1
		.amdhsa_uses_dynamic_stack 0
		.amdhsa_enable_private_segment 0
		.amdhsa_system_sgpr_workgroup_id_x 1
		.amdhsa_system_sgpr_workgroup_id_y 0
		.amdhsa_system_sgpr_workgroup_id_z 0
		.amdhsa_system_sgpr_workgroup_info 0
		.amdhsa_system_vgpr_workitem_id 0
		.amdhsa_next_free_vgpr 1
		.amdhsa_next_free_sgpr 1
		.amdhsa_reserve_vcc 0
		.amdhsa_float_round_mode_32 0
		.amdhsa_float_round_mode_16_64 0
		.amdhsa_float_denorm_mode_32 3
		.amdhsa_float_denorm_mode_16_64 3
		.amdhsa_fp16_overflow 0
		.amdhsa_workgroup_processor_mode 1
		.amdhsa_memory_ordered 1
		.amdhsa_forward_progress 1
		.amdhsa_inst_pref_size 0
		.amdhsa_round_robin_scheduling 0
		.amdhsa_exception_fp_ieee_invalid_op 0
		.amdhsa_exception_fp_denorm_src 0
		.amdhsa_exception_fp_ieee_div_zero 0
		.amdhsa_exception_fp_ieee_overflow 0
		.amdhsa_exception_fp_ieee_underflow 0
		.amdhsa_exception_fp_ieee_inexact 0
		.amdhsa_exception_int_div_zero 0
	.end_amdhsa_kernel
	.section	.text._ZN7rocprim17ROCPRIM_400000_NS6detail17trampoline_kernelINS0_13select_configILj256ELj13ELNS0_17block_load_methodE3ELS4_3ELS4_3ELNS0_20block_scan_algorithmE0ELj4294967295EEENS1_25partition_config_selectorILNS1_17partition_subalgoE4EjNS0_10empty_typeEbEEZZNS1_14partition_implILS8_4ELb0ES6_15HIP_vector_typeIjLj2EENS0_17counting_iteratorIjlEEPS9_SG_NS0_5tupleIJPjSI_NS0_16reverse_iteratorISI_EEEEENSH_IJSG_SG_SG_EEES9_SI_JZNS1_25segmented_radix_sort_implINS0_14default_configELb0EPKfPfPKlPlN2at6native12_GLOBAL__N_18offset_tEEE10hipError_tPvRmT1_PNSt15iterator_traitsIS12_E10value_typeET2_T3_PNS13_IS18_E10value_typeET4_jRbjT5_S1E_jjP12ihipStream_tbEUljE_ZNSN_ISO_Lb0ESQ_SR_ST_SU_SY_EESZ_S10_S11_S12_S16_S17_S18_S1B_S1C_jS1D_jS1E_S1E_jjS1G_bEUljE0_EEESZ_S10_S11_S18_S1C_S1E_T6_T7_T9_mT8_S1G_bDpT10_ENKUlT_T0_E_clISt17integral_constantIbLb1EES1U_EEDaS1P_S1Q_EUlS1P_E_NS1_11comp_targetILNS1_3genE3ELNS1_11target_archE908ELNS1_3gpuE7ELNS1_3repE0EEENS1_30default_config_static_selectorELNS0_4arch9wavefront6targetE0EEEvS12_,"axG",@progbits,_ZN7rocprim17ROCPRIM_400000_NS6detail17trampoline_kernelINS0_13select_configILj256ELj13ELNS0_17block_load_methodE3ELS4_3ELS4_3ELNS0_20block_scan_algorithmE0ELj4294967295EEENS1_25partition_config_selectorILNS1_17partition_subalgoE4EjNS0_10empty_typeEbEEZZNS1_14partition_implILS8_4ELb0ES6_15HIP_vector_typeIjLj2EENS0_17counting_iteratorIjlEEPS9_SG_NS0_5tupleIJPjSI_NS0_16reverse_iteratorISI_EEEEENSH_IJSG_SG_SG_EEES9_SI_JZNS1_25segmented_radix_sort_implINS0_14default_configELb0EPKfPfPKlPlN2at6native12_GLOBAL__N_18offset_tEEE10hipError_tPvRmT1_PNSt15iterator_traitsIS12_E10value_typeET2_T3_PNS13_IS18_E10value_typeET4_jRbjT5_S1E_jjP12ihipStream_tbEUljE_ZNSN_ISO_Lb0ESQ_SR_ST_SU_SY_EESZ_S10_S11_S12_S16_S17_S18_S1B_S1C_jS1D_jS1E_S1E_jjS1G_bEUljE0_EEESZ_S10_S11_S18_S1C_S1E_T6_T7_T9_mT8_S1G_bDpT10_ENKUlT_T0_E_clISt17integral_constantIbLb1EES1U_EEDaS1P_S1Q_EUlS1P_E_NS1_11comp_targetILNS1_3genE3ELNS1_11target_archE908ELNS1_3gpuE7ELNS1_3repE0EEENS1_30default_config_static_selectorELNS0_4arch9wavefront6targetE0EEEvS12_,comdat
.Lfunc_end1375:
	.size	_ZN7rocprim17ROCPRIM_400000_NS6detail17trampoline_kernelINS0_13select_configILj256ELj13ELNS0_17block_load_methodE3ELS4_3ELS4_3ELNS0_20block_scan_algorithmE0ELj4294967295EEENS1_25partition_config_selectorILNS1_17partition_subalgoE4EjNS0_10empty_typeEbEEZZNS1_14partition_implILS8_4ELb0ES6_15HIP_vector_typeIjLj2EENS0_17counting_iteratorIjlEEPS9_SG_NS0_5tupleIJPjSI_NS0_16reverse_iteratorISI_EEEEENSH_IJSG_SG_SG_EEES9_SI_JZNS1_25segmented_radix_sort_implINS0_14default_configELb0EPKfPfPKlPlN2at6native12_GLOBAL__N_18offset_tEEE10hipError_tPvRmT1_PNSt15iterator_traitsIS12_E10value_typeET2_T3_PNS13_IS18_E10value_typeET4_jRbjT5_S1E_jjP12ihipStream_tbEUljE_ZNSN_ISO_Lb0ESQ_SR_ST_SU_SY_EESZ_S10_S11_S12_S16_S17_S18_S1B_S1C_jS1D_jS1E_S1E_jjS1G_bEUljE0_EEESZ_S10_S11_S18_S1C_S1E_T6_T7_T9_mT8_S1G_bDpT10_ENKUlT_T0_E_clISt17integral_constantIbLb1EES1U_EEDaS1P_S1Q_EUlS1P_E_NS1_11comp_targetILNS1_3genE3ELNS1_11target_archE908ELNS1_3gpuE7ELNS1_3repE0EEENS1_30default_config_static_selectorELNS0_4arch9wavefront6targetE0EEEvS12_, .Lfunc_end1375-_ZN7rocprim17ROCPRIM_400000_NS6detail17trampoline_kernelINS0_13select_configILj256ELj13ELNS0_17block_load_methodE3ELS4_3ELS4_3ELNS0_20block_scan_algorithmE0ELj4294967295EEENS1_25partition_config_selectorILNS1_17partition_subalgoE4EjNS0_10empty_typeEbEEZZNS1_14partition_implILS8_4ELb0ES6_15HIP_vector_typeIjLj2EENS0_17counting_iteratorIjlEEPS9_SG_NS0_5tupleIJPjSI_NS0_16reverse_iteratorISI_EEEEENSH_IJSG_SG_SG_EEES9_SI_JZNS1_25segmented_radix_sort_implINS0_14default_configELb0EPKfPfPKlPlN2at6native12_GLOBAL__N_18offset_tEEE10hipError_tPvRmT1_PNSt15iterator_traitsIS12_E10value_typeET2_T3_PNS13_IS18_E10value_typeET4_jRbjT5_S1E_jjP12ihipStream_tbEUljE_ZNSN_ISO_Lb0ESQ_SR_ST_SU_SY_EESZ_S10_S11_S12_S16_S17_S18_S1B_S1C_jS1D_jS1E_S1E_jjS1G_bEUljE0_EEESZ_S10_S11_S18_S1C_S1E_T6_T7_T9_mT8_S1G_bDpT10_ENKUlT_T0_E_clISt17integral_constantIbLb1EES1U_EEDaS1P_S1Q_EUlS1P_E_NS1_11comp_targetILNS1_3genE3ELNS1_11target_archE908ELNS1_3gpuE7ELNS1_3repE0EEENS1_30default_config_static_selectorELNS0_4arch9wavefront6targetE0EEEvS12_
                                        ; -- End function
	.set _ZN7rocprim17ROCPRIM_400000_NS6detail17trampoline_kernelINS0_13select_configILj256ELj13ELNS0_17block_load_methodE3ELS4_3ELS4_3ELNS0_20block_scan_algorithmE0ELj4294967295EEENS1_25partition_config_selectorILNS1_17partition_subalgoE4EjNS0_10empty_typeEbEEZZNS1_14partition_implILS8_4ELb0ES6_15HIP_vector_typeIjLj2EENS0_17counting_iteratorIjlEEPS9_SG_NS0_5tupleIJPjSI_NS0_16reverse_iteratorISI_EEEEENSH_IJSG_SG_SG_EEES9_SI_JZNS1_25segmented_radix_sort_implINS0_14default_configELb0EPKfPfPKlPlN2at6native12_GLOBAL__N_18offset_tEEE10hipError_tPvRmT1_PNSt15iterator_traitsIS12_E10value_typeET2_T3_PNS13_IS18_E10value_typeET4_jRbjT5_S1E_jjP12ihipStream_tbEUljE_ZNSN_ISO_Lb0ESQ_SR_ST_SU_SY_EESZ_S10_S11_S12_S16_S17_S18_S1B_S1C_jS1D_jS1E_S1E_jjS1G_bEUljE0_EEESZ_S10_S11_S18_S1C_S1E_T6_T7_T9_mT8_S1G_bDpT10_ENKUlT_T0_E_clISt17integral_constantIbLb1EES1U_EEDaS1P_S1Q_EUlS1P_E_NS1_11comp_targetILNS1_3genE3ELNS1_11target_archE908ELNS1_3gpuE7ELNS1_3repE0EEENS1_30default_config_static_selectorELNS0_4arch9wavefront6targetE0EEEvS12_.num_vgpr, 0
	.set _ZN7rocprim17ROCPRIM_400000_NS6detail17trampoline_kernelINS0_13select_configILj256ELj13ELNS0_17block_load_methodE3ELS4_3ELS4_3ELNS0_20block_scan_algorithmE0ELj4294967295EEENS1_25partition_config_selectorILNS1_17partition_subalgoE4EjNS0_10empty_typeEbEEZZNS1_14partition_implILS8_4ELb0ES6_15HIP_vector_typeIjLj2EENS0_17counting_iteratorIjlEEPS9_SG_NS0_5tupleIJPjSI_NS0_16reverse_iteratorISI_EEEEENSH_IJSG_SG_SG_EEES9_SI_JZNS1_25segmented_radix_sort_implINS0_14default_configELb0EPKfPfPKlPlN2at6native12_GLOBAL__N_18offset_tEEE10hipError_tPvRmT1_PNSt15iterator_traitsIS12_E10value_typeET2_T3_PNS13_IS18_E10value_typeET4_jRbjT5_S1E_jjP12ihipStream_tbEUljE_ZNSN_ISO_Lb0ESQ_SR_ST_SU_SY_EESZ_S10_S11_S12_S16_S17_S18_S1B_S1C_jS1D_jS1E_S1E_jjS1G_bEUljE0_EEESZ_S10_S11_S18_S1C_S1E_T6_T7_T9_mT8_S1G_bDpT10_ENKUlT_T0_E_clISt17integral_constantIbLb1EES1U_EEDaS1P_S1Q_EUlS1P_E_NS1_11comp_targetILNS1_3genE3ELNS1_11target_archE908ELNS1_3gpuE7ELNS1_3repE0EEENS1_30default_config_static_selectorELNS0_4arch9wavefront6targetE0EEEvS12_.num_agpr, 0
	.set _ZN7rocprim17ROCPRIM_400000_NS6detail17trampoline_kernelINS0_13select_configILj256ELj13ELNS0_17block_load_methodE3ELS4_3ELS4_3ELNS0_20block_scan_algorithmE0ELj4294967295EEENS1_25partition_config_selectorILNS1_17partition_subalgoE4EjNS0_10empty_typeEbEEZZNS1_14partition_implILS8_4ELb0ES6_15HIP_vector_typeIjLj2EENS0_17counting_iteratorIjlEEPS9_SG_NS0_5tupleIJPjSI_NS0_16reverse_iteratorISI_EEEEENSH_IJSG_SG_SG_EEES9_SI_JZNS1_25segmented_radix_sort_implINS0_14default_configELb0EPKfPfPKlPlN2at6native12_GLOBAL__N_18offset_tEEE10hipError_tPvRmT1_PNSt15iterator_traitsIS12_E10value_typeET2_T3_PNS13_IS18_E10value_typeET4_jRbjT5_S1E_jjP12ihipStream_tbEUljE_ZNSN_ISO_Lb0ESQ_SR_ST_SU_SY_EESZ_S10_S11_S12_S16_S17_S18_S1B_S1C_jS1D_jS1E_S1E_jjS1G_bEUljE0_EEESZ_S10_S11_S18_S1C_S1E_T6_T7_T9_mT8_S1G_bDpT10_ENKUlT_T0_E_clISt17integral_constantIbLb1EES1U_EEDaS1P_S1Q_EUlS1P_E_NS1_11comp_targetILNS1_3genE3ELNS1_11target_archE908ELNS1_3gpuE7ELNS1_3repE0EEENS1_30default_config_static_selectorELNS0_4arch9wavefront6targetE0EEEvS12_.numbered_sgpr, 0
	.set _ZN7rocprim17ROCPRIM_400000_NS6detail17trampoline_kernelINS0_13select_configILj256ELj13ELNS0_17block_load_methodE3ELS4_3ELS4_3ELNS0_20block_scan_algorithmE0ELj4294967295EEENS1_25partition_config_selectorILNS1_17partition_subalgoE4EjNS0_10empty_typeEbEEZZNS1_14partition_implILS8_4ELb0ES6_15HIP_vector_typeIjLj2EENS0_17counting_iteratorIjlEEPS9_SG_NS0_5tupleIJPjSI_NS0_16reverse_iteratorISI_EEEEENSH_IJSG_SG_SG_EEES9_SI_JZNS1_25segmented_radix_sort_implINS0_14default_configELb0EPKfPfPKlPlN2at6native12_GLOBAL__N_18offset_tEEE10hipError_tPvRmT1_PNSt15iterator_traitsIS12_E10value_typeET2_T3_PNS13_IS18_E10value_typeET4_jRbjT5_S1E_jjP12ihipStream_tbEUljE_ZNSN_ISO_Lb0ESQ_SR_ST_SU_SY_EESZ_S10_S11_S12_S16_S17_S18_S1B_S1C_jS1D_jS1E_S1E_jjS1G_bEUljE0_EEESZ_S10_S11_S18_S1C_S1E_T6_T7_T9_mT8_S1G_bDpT10_ENKUlT_T0_E_clISt17integral_constantIbLb1EES1U_EEDaS1P_S1Q_EUlS1P_E_NS1_11comp_targetILNS1_3genE3ELNS1_11target_archE908ELNS1_3gpuE7ELNS1_3repE0EEENS1_30default_config_static_selectorELNS0_4arch9wavefront6targetE0EEEvS12_.num_named_barrier, 0
	.set _ZN7rocprim17ROCPRIM_400000_NS6detail17trampoline_kernelINS0_13select_configILj256ELj13ELNS0_17block_load_methodE3ELS4_3ELS4_3ELNS0_20block_scan_algorithmE0ELj4294967295EEENS1_25partition_config_selectorILNS1_17partition_subalgoE4EjNS0_10empty_typeEbEEZZNS1_14partition_implILS8_4ELb0ES6_15HIP_vector_typeIjLj2EENS0_17counting_iteratorIjlEEPS9_SG_NS0_5tupleIJPjSI_NS0_16reverse_iteratorISI_EEEEENSH_IJSG_SG_SG_EEES9_SI_JZNS1_25segmented_radix_sort_implINS0_14default_configELb0EPKfPfPKlPlN2at6native12_GLOBAL__N_18offset_tEEE10hipError_tPvRmT1_PNSt15iterator_traitsIS12_E10value_typeET2_T3_PNS13_IS18_E10value_typeET4_jRbjT5_S1E_jjP12ihipStream_tbEUljE_ZNSN_ISO_Lb0ESQ_SR_ST_SU_SY_EESZ_S10_S11_S12_S16_S17_S18_S1B_S1C_jS1D_jS1E_S1E_jjS1G_bEUljE0_EEESZ_S10_S11_S18_S1C_S1E_T6_T7_T9_mT8_S1G_bDpT10_ENKUlT_T0_E_clISt17integral_constantIbLb1EES1U_EEDaS1P_S1Q_EUlS1P_E_NS1_11comp_targetILNS1_3genE3ELNS1_11target_archE908ELNS1_3gpuE7ELNS1_3repE0EEENS1_30default_config_static_selectorELNS0_4arch9wavefront6targetE0EEEvS12_.private_seg_size, 0
	.set _ZN7rocprim17ROCPRIM_400000_NS6detail17trampoline_kernelINS0_13select_configILj256ELj13ELNS0_17block_load_methodE3ELS4_3ELS4_3ELNS0_20block_scan_algorithmE0ELj4294967295EEENS1_25partition_config_selectorILNS1_17partition_subalgoE4EjNS0_10empty_typeEbEEZZNS1_14partition_implILS8_4ELb0ES6_15HIP_vector_typeIjLj2EENS0_17counting_iteratorIjlEEPS9_SG_NS0_5tupleIJPjSI_NS0_16reverse_iteratorISI_EEEEENSH_IJSG_SG_SG_EEES9_SI_JZNS1_25segmented_radix_sort_implINS0_14default_configELb0EPKfPfPKlPlN2at6native12_GLOBAL__N_18offset_tEEE10hipError_tPvRmT1_PNSt15iterator_traitsIS12_E10value_typeET2_T3_PNS13_IS18_E10value_typeET4_jRbjT5_S1E_jjP12ihipStream_tbEUljE_ZNSN_ISO_Lb0ESQ_SR_ST_SU_SY_EESZ_S10_S11_S12_S16_S17_S18_S1B_S1C_jS1D_jS1E_S1E_jjS1G_bEUljE0_EEESZ_S10_S11_S18_S1C_S1E_T6_T7_T9_mT8_S1G_bDpT10_ENKUlT_T0_E_clISt17integral_constantIbLb1EES1U_EEDaS1P_S1Q_EUlS1P_E_NS1_11comp_targetILNS1_3genE3ELNS1_11target_archE908ELNS1_3gpuE7ELNS1_3repE0EEENS1_30default_config_static_selectorELNS0_4arch9wavefront6targetE0EEEvS12_.uses_vcc, 0
	.set _ZN7rocprim17ROCPRIM_400000_NS6detail17trampoline_kernelINS0_13select_configILj256ELj13ELNS0_17block_load_methodE3ELS4_3ELS4_3ELNS0_20block_scan_algorithmE0ELj4294967295EEENS1_25partition_config_selectorILNS1_17partition_subalgoE4EjNS0_10empty_typeEbEEZZNS1_14partition_implILS8_4ELb0ES6_15HIP_vector_typeIjLj2EENS0_17counting_iteratorIjlEEPS9_SG_NS0_5tupleIJPjSI_NS0_16reverse_iteratorISI_EEEEENSH_IJSG_SG_SG_EEES9_SI_JZNS1_25segmented_radix_sort_implINS0_14default_configELb0EPKfPfPKlPlN2at6native12_GLOBAL__N_18offset_tEEE10hipError_tPvRmT1_PNSt15iterator_traitsIS12_E10value_typeET2_T3_PNS13_IS18_E10value_typeET4_jRbjT5_S1E_jjP12ihipStream_tbEUljE_ZNSN_ISO_Lb0ESQ_SR_ST_SU_SY_EESZ_S10_S11_S12_S16_S17_S18_S1B_S1C_jS1D_jS1E_S1E_jjS1G_bEUljE0_EEESZ_S10_S11_S18_S1C_S1E_T6_T7_T9_mT8_S1G_bDpT10_ENKUlT_T0_E_clISt17integral_constantIbLb1EES1U_EEDaS1P_S1Q_EUlS1P_E_NS1_11comp_targetILNS1_3genE3ELNS1_11target_archE908ELNS1_3gpuE7ELNS1_3repE0EEENS1_30default_config_static_selectorELNS0_4arch9wavefront6targetE0EEEvS12_.uses_flat_scratch, 0
	.set _ZN7rocprim17ROCPRIM_400000_NS6detail17trampoline_kernelINS0_13select_configILj256ELj13ELNS0_17block_load_methodE3ELS4_3ELS4_3ELNS0_20block_scan_algorithmE0ELj4294967295EEENS1_25partition_config_selectorILNS1_17partition_subalgoE4EjNS0_10empty_typeEbEEZZNS1_14partition_implILS8_4ELb0ES6_15HIP_vector_typeIjLj2EENS0_17counting_iteratorIjlEEPS9_SG_NS0_5tupleIJPjSI_NS0_16reverse_iteratorISI_EEEEENSH_IJSG_SG_SG_EEES9_SI_JZNS1_25segmented_radix_sort_implINS0_14default_configELb0EPKfPfPKlPlN2at6native12_GLOBAL__N_18offset_tEEE10hipError_tPvRmT1_PNSt15iterator_traitsIS12_E10value_typeET2_T3_PNS13_IS18_E10value_typeET4_jRbjT5_S1E_jjP12ihipStream_tbEUljE_ZNSN_ISO_Lb0ESQ_SR_ST_SU_SY_EESZ_S10_S11_S12_S16_S17_S18_S1B_S1C_jS1D_jS1E_S1E_jjS1G_bEUljE0_EEESZ_S10_S11_S18_S1C_S1E_T6_T7_T9_mT8_S1G_bDpT10_ENKUlT_T0_E_clISt17integral_constantIbLb1EES1U_EEDaS1P_S1Q_EUlS1P_E_NS1_11comp_targetILNS1_3genE3ELNS1_11target_archE908ELNS1_3gpuE7ELNS1_3repE0EEENS1_30default_config_static_selectorELNS0_4arch9wavefront6targetE0EEEvS12_.has_dyn_sized_stack, 0
	.set _ZN7rocprim17ROCPRIM_400000_NS6detail17trampoline_kernelINS0_13select_configILj256ELj13ELNS0_17block_load_methodE3ELS4_3ELS4_3ELNS0_20block_scan_algorithmE0ELj4294967295EEENS1_25partition_config_selectorILNS1_17partition_subalgoE4EjNS0_10empty_typeEbEEZZNS1_14partition_implILS8_4ELb0ES6_15HIP_vector_typeIjLj2EENS0_17counting_iteratorIjlEEPS9_SG_NS0_5tupleIJPjSI_NS0_16reverse_iteratorISI_EEEEENSH_IJSG_SG_SG_EEES9_SI_JZNS1_25segmented_radix_sort_implINS0_14default_configELb0EPKfPfPKlPlN2at6native12_GLOBAL__N_18offset_tEEE10hipError_tPvRmT1_PNSt15iterator_traitsIS12_E10value_typeET2_T3_PNS13_IS18_E10value_typeET4_jRbjT5_S1E_jjP12ihipStream_tbEUljE_ZNSN_ISO_Lb0ESQ_SR_ST_SU_SY_EESZ_S10_S11_S12_S16_S17_S18_S1B_S1C_jS1D_jS1E_S1E_jjS1G_bEUljE0_EEESZ_S10_S11_S18_S1C_S1E_T6_T7_T9_mT8_S1G_bDpT10_ENKUlT_T0_E_clISt17integral_constantIbLb1EES1U_EEDaS1P_S1Q_EUlS1P_E_NS1_11comp_targetILNS1_3genE3ELNS1_11target_archE908ELNS1_3gpuE7ELNS1_3repE0EEENS1_30default_config_static_selectorELNS0_4arch9wavefront6targetE0EEEvS12_.has_recursion, 0
	.set _ZN7rocprim17ROCPRIM_400000_NS6detail17trampoline_kernelINS0_13select_configILj256ELj13ELNS0_17block_load_methodE3ELS4_3ELS4_3ELNS0_20block_scan_algorithmE0ELj4294967295EEENS1_25partition_config_selectorILNS1_17partition_subalgoE4EjNS0_10empty_typeEbEEZZNS1_14partition_implILS8_4ELb0ES6_15HIP_vector_typeIjLj2EENS0_17counting_iteratorIjlEEPS9_SG_NS0_5tupleIJPjSI_NS0_16reverse_iteratorISI_EEEEENSH_IJSG_SG_SG_EEES9_SI_JZNS1_25segmented_radix_sort_implINS0_14default_configELb0EPKfPfPKlPlN2at6native12_GLOBAL__N_18offset_tEEE10hipError_tPvRmT1_PNSt15iterator_traitsIS12_E10value_typeET2_T3_PNS13_IS18_E10value_typeET4_jRbjT5_S1E_jjP12ihipStream_tbEUljE_ZNSN_ISO_Lb0ESQ_SR_ST_SU_SY_EESZ_S10_S11_S12_S16_S17_S18_S1B_S1C_jS1D_jS1E_S1E_jjS1G_bEUljE0_EEESZ_S10_S11_S18_S1C_S1E_T6_T7_T9_mT8_S1G_bDpT10_ENKUlT_T0_E_clISt17integral_constantIbLb1EES1U_EEDaS1P_S1Q_EUlS1P_E_NS1_11comp_targetILNS1_3genE3ELNS1_11target_archE908ELNS1_3gpuE7ELNS1_3repE0EEENS1_30default_config_static_selectorELNS0_4arch9wavefront6targetE0EEEvS12_.has_indirect_call, 0
	.section	.AMDGPU.csdata,"",@progbits
; Kernel info:
; codeLenInByte = 0
; TotalNumSgprs: 0
; NumVgprs: 0
; ScratchSize: 0
; MemoryBound: 0
; FloatMode: 240
; IeeeMode: 1
; LDSByteSize: 0 bytes/workgroup (compile time only)
; SGPRBlocks: 0
; VGPRBlocks: 0
; NumSGPRsForWavesPerEU: 1
; NumVGPRsForWavesPerEU: 1
; Occupancy: 16
; WaveLimiterHint : 0
; COMPUTE_PGM_RSRC2:SCRATCH_EN: 0
; COMPUTE_PGM_RSRC2:USER_SGPR: 2
; COMPUTE_PGM_RSRC2:TRAP_HANDLER: 0
; COMPUTE_PGM_RSRC2:TGID_X_EN: 1
; COMPUTE_PGM_RSRC2:TGID_Y_EN: 0
; COMPUTE_PGM_RSRC2:TGID_Z_EN: 0
; COMPUTE_PGM_RSRC2:TIDIG_COMP_CNT: 0
	.section	.text._ZN7rocprim17ROCPRIM_400000_NS6detail17trampoline_kernelINS0_13select_configILj256ELj13ELNS0_17block_load_methodE3ELS4_3ELS4_3ELNS0_20block_scan_algorithmE0ELj4294967295EEENS1_25partition_config_selectorILNS1_17partition_subalgoE4EjNS0_10empty_typeEbEEZZNS1_14partition_implILS8_4ELb0ES6_15HIP_vector_typeIjLj2EENS0_17counting_iteratorIjlEEPS9_SG_NS0_5tupleIJPjSI_NS0_16reverse_iteratorISI_EEEEENSH_IJSG_SG_SG_EEES9_SI_JZNS1_25segmented_radix_sort_implINS0_14default_configELb0EPKfPfPKlPlN2at6native12_GLOBAL__N_18offset_tEEE10hipError_tPvRmT1_PNSt15iterator_traitsIS12_E10value_typeET2_T3_PNS13_IS18_E10value_typeET4_jRbjT5_S1E_jjP12ihipStream_tbEUljE_ZNSN_ISO_Lb0ESQ_SR_ST_SU_SY_EESZ_S10_S11_S12_S16_S17_S18_S1B_S1C_jS1D_jS1E_S1E_jjS1G_bEUljE0_EEESZ_S10_S11_S18_S1C_S1E_T6_T7_T9_mT8_S1G_bDpT10_ENKUlT_T0_E_clISt17integral_constantIbLb1EES1U_EEDaS1P_S1Q_EUlS1P_E_NS1_11comp_targetILNS1_3genE2ELNS1_11target_archE906ELNS1_3gpuE6ELNS1_3repE0EEENS1_30default_config_static_selectorELNS0_4arch9wavefront6targetE0EEEvS12_,"axG",@progbits,_ZN7rocprim17ROCPRIM_400000_NS6detail17trampoline_kernelINS0_13select_configILj256ELj13ELNS0_17block_load_methodE3ELS4_3ELS4_3ELNS0_20block_scan_algorithmE0ELj4294967295EEENS1_25partition_config_selectorILNS1_17partition_subalgoE4EjNS0_10empty_typeEbEEZZNS1_14partition_implILS8_4ELb0ES6_15HIP_vector_typeIjLj2EENS0_17counting_iteratorIjlEEPS9_SG_NS0_5tupleIJPjSI_NS0_16reverse_iteratorISI_EEEEENSH_IJSG_SG_SG_EEES9_SI_JZNS1_25segmented_radix_sort_implINS0_14default_configELb0EPKfPfPKlPlN2at6native12_GLOBAL__N_18offset_tEEE10hipError_tPvRmT1_PNSt15iterator_traitsIS12_E10value_typeET2_T3_PNS13_IS18_E10value_typeET4_jRbjT5_S1E_jjP12ihipStream_tbEUljE_ZNSN_ISO_Lb0ESQ_SR_ST_SU_SY_EESZ_S10_S11_S12_S16_S17_S18_S1B_S1C_jS1D_jS1E_S1E_jjS1G_bEUljE0_EEESZ_S10_S11_S18_S1C_S1E_T6_T7_T9_mT8_S1G_bDpT10_ENKUlT_T0_E_clISt17integral_constantIbLb1EES1U_EEDaS1P_S1Q_EUlS1P_E_NS1_11comp_targetILNS1_3genE2ELNS1_11target_archE906ELNS1_3gpuE6ELNS1_3repE0EEENS1_30default_config_static_selectorELNS0_4arch9wavefront6targetE0EEEvS12_,comdat
	.globl	_ZN7rocprim17ROCPRIM_400000_NS6detail17trampoline_kernelINS0_13select_configILj256ELj13ELNS0_17block_load_methodE3ELS4_3ELS4_3ELNS0_20block_scan_algorithmE0ELj4294967295EEENS1_25partition_config_selectorILNS1_17partition_subalgoE4EjNS0_10empty_typeEbEEZZNS1_14partition_implILS8_4ELb0ES6_15HIP_vector_typeIjLj2EENS0_17counting_iteratorIjlEEPS9_SG_NS0_5tupleIJPjSI_NS0_16reverse_iteratorISI_EEEEENSH_IJSG_SG_SG_EEES9_SI_JZNS1_25segmented_radix_sort_implINS0_14default_configELb0EPKfPfPKlPlN2at6native12_GLOBAL__N_18offset_tEEE10hipError_tPvRmT1_PNSt15iterator_traitsIS12_E10value_typeET2_T3_PNS13_IS18_E10value_typeET4_jRbjT5_S1E_jjP12ihipStream_tbEUljE_ZNSN_ISO_Lb0ESQ_SR_ST_SU_SY_EESZ_S10_S11_S12_S16_S17_S18_S1B_S1C_jS1D_jS1E_S1E_jjS1G_bEUljE0_EEESZ_S10_S11_S18_S1C_S1E_T6_T7_T9_mT8_S1G_bDpT10_ENKUlT_T0_E_clISt17integral_constantIbLb1EES1U_EEDaS1P_S1Q_EUlS1P_E_NS1_11comp_targetILNS1_3genE2ELNS1_11target_archE906ELNS1_3gpuE6ELNS1_3repE0EEENS1_30default_config_static_selectorELNS0_4arch9wavefront6targetE0EEEvS12_ ; -- Begin function _ZN7rocprim17ROCPRIM_400000_NS6detail17trampoline_kernelINS0_13select_configILj256ELj13ELNS0_17block_load_methodE3ELS4_3ELS4_3ELNS0_20block_scan_algorithmE0ELj4294967295EEENS1_25partition_config_selectorILNS1_17partition_subalgoE4EjNS0_10empty_typeEbEEZZNS1_14partition_implILS8_4ELb0ES6_15HIP_vector_typeIjLj2EENS0_17counting_iteratorIjlEEPS9_SG_NS0_5tupleIJPjSI_NS0_16reverse_iteratorISI_EEEEENSH_IJSG_SG_SG_EEES9_SI_JZNS1_25segmented_radix_sort_implINS0_14default_configELb0EPKfPfPKlPlN2at6native12_GLOBAL__N_18offset_tEEE10hipError_tPvRmT1_PNSt15iterator_traitsIS12_E10value_typeET2_T3_PNS13_IS18_E10value_typeET4_jRbjT5_S1E_jjP12ihipStream_tbEUljE_ZNSN_ISO_Lb0ESQ_SR_ST_SU_SY_EESZ_S10_S11_S12_S16_S17_S18_S1B_S1C_jS1D_jS1E_S1E_jjS1G_bEUljE0_EEESZ_S10_S11_S18_S1C_S1E_T6_T7_T9_mT8_S1G_bDpT10_ENKUlT_T0_E_clISt17integral_constantIbLb1EES1U_EEDaS1P_S1Q_EUlS1P_E_NS1_11comp_targetILNS1_3genE2ELNS1_11target_archE906ELNS1_3gpuE6ELNS1_3repE0EEENS1_30default_config_static_selectorELNS0_4arch9wavefront6targetE0EEEvS12_
	.p2align	8
	.type	_ZN7rocprim17ROCPRIM_400000_NS6detail17trampoline_kernelINS0_13select_configILj256ELj13ELNS0_17block_load_methodE3ELS4_3ELS4_3ELNS0_20block_scan_algorithmE0ELj4294967295EEENS1_25partition_config_selectorILNS1_17partition_subalgoE4EjNS0_10empty_typeEbEEZZNS1_14partition_implILS8_4ELb0ES6_15HIP_vector_typeIjLj2EENS0_17counting_iteratorIjlEEPS9_SG_NS0_5tupleIJPjSI_NS0_16reverse_iteratorISI_EEEEENSH_IJSG_SG_SG_EEES9_SI_JZNS1_25segmented_radix_sort_implINS0_14default_configELb0EPKfPfPKlPlN2at6native12_GLOBAL__N_18offset_tEEE10hipError_tPvRmT1_PNSt15iterator_traitsIS12_E10value_typeET2_T3_PNS13_IS18_E10value_typeET4_jRbjT5_S1E_jjP12ihipStream_tbEUljE_ZNSN_ISO_Lb0ESQ_SR_ST_SU_SY_EESZ_S10_S11_S12_S16_S17_S18_S1B_S1C_jS1D_jS1E_S1E_jjS1G_bEUljE0_EEESZ_S10_S11_S18_S1C_S1E_T6_T7_T9_mT8_S1G_bDpT10_ENKUlT_T0_E_clISt17integral_constantIbLb1EES1U_EEDaS1P_S1Q_EUlS1P_E_NS1_11comp_targetILNS1_3genE2ELNS1_11target_archE906ELNS1_3gpuE6ELNS1_3repE0EEENS1_30default_config_static_selectorELNS0_4arch9wavefront6targetE0EEEvS12_,@function
_ZN7rocprim17ROCPRIM_400000_NS6detail17trampoline_kernelINS0_13select_configILj256ELj13ELNS0_17block_load_methodE3ELS4_3ELS4_3ELNS0_20block_scan_algorithmE0ELj4294967295EEENS1_25partition_config_selectorILNS1_17partition_subalgoE4EjNS0_10empty_typeEbEEZZNS1_14partition_implILS8_4ELb0ES6_15HIP_vector_typeIjLj2EENS0_17counting_iteratorIjlEEPS9_SG_NS0_5tupleIJPjSI_NS0_16reverse_iteratorISI_EEEEENSH_IJSG_SG_SG_EEES9_SI_JZNS1_25segmented_radix_sort_implINS0_14default_configELb0EPKfPfPKlPlN2at6native12_GLOBAL__N_18offset_tEEE10hipError_tPvRmT1_PNSt15iterator_traitsIS12_E10value_typeET2_T3_PNS13_IS18_E10value_typeET4_jRbjT5_S1E_jjP12ihipStream_tbEUljE_ZNSN_ISO_Lb0ESQ_SR_ST_SU_SY_EESZ_S10_S11_S12_S16_S17_S18_S1B_S1C_jS1D_jS1E_S1E_jjS1G_bEUljE0_EEESZ_S10_S11_S18_S1C_S1E_T6_T7_T9_mT8_S1G_bDpT10_ENKUlT_T0_E_clISt17integral_constantIbLb1EES1U_EEDaS1P_S1Q_EUlS1P_E_NS1_11comp_targetILNS1_3genE2ELNS1_11target_archE906ELNS1_3gpuE6ELNS1_3repE0EEENS1_30default_config_static_selectorELNS0_4arch9wavefront6targetE0EEEvS12_: ; @_ZN7rocprim17ROCPRIM_400000_NS6detail17trampoline_kernelINS0_13select_configILj256ELj13ELNS0_17block_load_methodE3ELS4_3ELS4_3ELNS0_20block_scan_algorithmE0ELj4294967295EEENS1_25partition_config_selectorILNS1_17partition_subalgoE4EjNS0_10empty_typeEbEEZZNS1_14partition_implILS8_4ELb0ES6_15HIP_vector_typeIjLj2EENS0_17counting_iteratorIjlEEPS9_SG_NS0_5tupleIJPjSI_NS0_16reverse_iteratorISI_EEEEENSH_IJSG_SG_SG_EEES9_SI_JZNS1_25segmented_radix_sort_implINS0_14default_configELb0EPKfPfPKlPlN2at6native12_GLOBAL__N_18offset_tEEE10hipError_tPvRmT1_PNSt15iterator_traitsIS12_E10value_typeET2_T3_PNS13_IS18_E10value_typeET4_jRbjT5_S1E_jjP12ihipStream_tbEUljE_ZNSN_ISO_Lb0ESQ_SR_ST_SU_SY_EESZ_S10_S11_S12_S16_S17_S18_S1B_S1C_jS1D_jS1E_S1E_jjS1G_bEUljE0_EEESZ_S10_S11_S18_S1C_S1E_T6_T7_T9_mT8_S1G_bDpT10_ENKUlT_T0_E_clISt17integral_constantIbLb1EES1U_EEDaS1P_S1Q_EUlS1P_E_NS1_11comp_targetILNS1_3genE2ELNS1_11target_archE906ELNS1_3gpuE6ELNS1_3repE0EEENS1_30default_config_static_selectorELNS0_4arch9wavefront6targetE0EEEvS12_
; %bb.0:
	.section	.rodata,"a",@progbits
	.p2align	6, 0x0
	.amdhsa_kernel _ZN7rocprim17ROCPRIM_400000_NS6detail17trampoline_kernelINS0_13select_configILj256ELj13ELNS0_17block_load_methodE3ELS4_3ELS4_3ELNS0_20block_scan_algorithmE0ELj4294967295EEENS1_25partition_config_selectorILNS1_17partition_subalgoE4EjNS0_10empty_typeEbEEZZNS1_14partition_implILS8_4ELb0ES6_15HIP_vector_typeIjLj2EENS0_17counting_iteratorIjlEEPS9_SG_NS0_5tupleIJPjSI_NS0_16reverse_iteratorISI_EEEEENSH_IJSG_SG_SG_EEES9_SI_JZNS1_25segmented_radix_sort_implINS0_14default_configELb0EPKfPfPKlPlN2at6native12_GLOBAL__N_18offset_tEEE10hipError_tPvRmT1_PNSt15iterator_traitsIS12_E10value_typeET2_T3_PNS13_IS18_E10value_typeET4_jRbjT5_S1E_jjP12ihipStream_tbEUljE_ZNSN_ISO_Lb0ESQ_SR_ST_SU_SY_EESZ_S10_S11_S12_S16_S17_S18_S1B_S1C_jS1D_jS1E_S1E_jjS1G_bEUljE0_EEESZ_S10_S11_S18_S1C_S1E_T6_T7_T9_mT8_S1G_bDpT10_ENKUlT_T0_E_clISt17integral_constantIbLb1EES1U_EEDaS1P_S1Q_EUlS1P_E_NS1_11comp_targetILNS1_3genE2ELNS1_11target_archE906ELNS1_3gpuE6ELNS1_3repE0EEENS1_30default_config_static_selectorELNS0_4arch9wavefront6targetE0EEEvS12_
		.amdhsa_group_segment_fixed_size 0
		.amdhsa_private_segment_fixed_size 0
		.amdhsa_kernarg_size 184
		.amdhsa_user_sgpr_count 2
		.amdhsa_user_sgpr_dispatch_ptr 0
		.amdhsa_user_sgpr_queue_ptr 0
		.amdhsa_user_sgpr_kernarg_segment_ptr 1
		.amdhsa_user_sgpr_dispatch_id 0
		.amdhsa_user_sgpr_private_segment_size 0
		.amdhsa_wavefront_size32 1
		.amdhsa_uses_dynamic_stack 0
		.amdhsa_enable_private_segment 0
		.amdhsa_system_sgpr_workgroup_id_x 1
		.amdhsa_system_sgpr_workgroup_id_y 0
		.amdhsa_system_sgpr_workgroup_id_z 0
		.amdhsa_system_sgpr_workgroup_info 0
		.amdhsa_system_vgpr_workitem_id 0
		.amdhsa_next_free_vgpr 1
		.amdhsa_next_free_sgpr 1
		.amdhsa_reserve_vcc 0
		.amdhsa_float_round_mode_32 0
		.amdhsa_float_round_mode_16_64 0
		.amdhsa_float_denorm_mode_32 3
		.amdhsa_float_denorm_mode_16_64 3
		.amdhsa_fp16_overflow 0
		.amdhsa_workgroup_processor_mode 1
		.amdhsa_memory_ordered 1
		.amdhsa_forward_progress 1
		.amdhsa_inst_pref_size 0
		.amdhsa_round_robin_scheduling 0
		.amdhsa_exception_fp_ieee_invalid_op 0
		.amdhsa_exception_fp_denorm_src 0
		.amdhsa_exception_fp_ieee_div_zero 0
		.amdhsa_exception_fp_ieee_overflow 0
		.amdhsa_exception_fp_ieee_underflow 0
		.amdhsa_exception_fp_ieee_inexact 0
		.amdhsa_exception_int_div_zero 0
	.end_amdhsa_kernel
	.section	.text._ZN7rocprim17ROCPRIM_400000_NS6detail17trampoline_kernelINS0_13select_configILj256ELj13ELNS0_17block_load_methodE3ELS4_3ELS4_3ELNS0_20block_scan_algorithmE0ELj4294967295EEENS1_25partition_config_selectorILNS1_17partition_subalgoE4EjNS0_10empty_typeEbEEZZNS1_14partition_implILS8_4ELb0ES6_15HIP_vector_typeIjLj2EENS0_17counting_iteratorIjlEEPS9_SG_NS0_5tupleIJPjSI_NS0_16reverse_iteratorISI_EEEEENSH_IJSG_SG_SG_EEES9_SI_JZNS1_25segmented_radix_sort_implINS0_14default_configELb0EPKfPfPKlPlN2at6native12_GLOBAL__N_18offset_tEEE10hipError_tPvRmT1_PNSt15iterator_traitsIS12_E10value_typeET2_T3_PNS13_IS18_E10value_typeET4_jRbjT5_S1E_jjP12ihipStream_tbEUljE_ZNSN_ISO_Lb0ESQ_SR_ST_SU_SY_EESZ_S10_S11_S12_S16_S17_S18_S1B_S1C_jS1D_jS1E_S1E_jjS1G_bEUljE0_EEESZ_S10_S11_S18_S1C_S1E_T6_T7_T9_mT8_S1G_bDpT10_ENKUlT_T0_E_clISt17integral_constantIbLb1EES1U_EEDaS1P_S1Q_EUlS1P_E_NS1_11comp_targetILNS1_3genE2ELNS1_11target_archE906ELNS1_3gpuE6ELNS1_3repE0EEENS1_30default_config_static_selectorELNS0_4arch9wavefront6targetE0EEEvS12_,"axG",@progbits,_ZN7rocprim17ROCPRIM_400000_NS6detail17trampoline_kernelINS0_13select_configILj256ELj13ELNS0_17block_load_methodE3ELS4_3ELS4_3ELNS0_20block_scan_algorithmE0ELj4294967295EEENS1_25partition_config_selectorILNS1_17partition_subalgoE4EjNS0_10empty_typeEbEEZZNS1_14partition_implILS8_4ELb0ES6_15HIP_vector_typeIjLj2EENS0_17counting_iteratorIjlEEPS9_SG_NS0_5tupleIJPjSI_NS0_16reverse_iteratorISI_EEEEENSH_IJSG_SG_SG_EEES9_SI_JZNS1_25segmented_radix_sort_implINS0_14default_configELb0EPKfPfPKlPlN2at6native12_GLOBAL__N_18offset_tEEE10hipError_tPvRmT1_PNSt15iterator_traitsIS12_E10value_typeET2_T3_PNS13_IS18_E10value_typeET4_jRbjT5_S1E_jjP12ihipStream_tbEUljE_ZNSN_ISO_Lb0ESQ_SR_ST_SU_SY_EESZ_S10_S11_S12_S16_S17_S18_S1B_S1C_jS1D_jS1E_S1E_jjS1G_bEUljE0_EEESZ_S10_S11_S18_S1C_S1E_T6_T7_T9_mT8_S1G_bDpT10_ENKUlT_T0_E_clISt17integral_constantIbLb1EES1U_EEDaS1P_S1Q_EUlS1P_E_NS1_11comp_targetILNS1_3genE2ELNS1_11target_archE906ELNS1_3gpuE6ELNS1_3repE0EEENS1_30default_config_static_selectorELNS0_4arch9wavefront6targetE0EEEvS12_,comdat
.Lfunc_end1376:
	.size	_ZN7rocprim17ROCPRIM_400000_NS6detail17trampoline_kernelINS0_13select_configILj256ELj13ELNS0_17block_load_methodE3ELS4_3ELS4_3ELNS0_20block_scan_algorithmE0ELj4294967295EEENS1_25partition_config_selectorILNS1_17partition_subalgoE4EjNS0_10empty_typeEbEEZZNS1_14partition_implILS8_4ELb0ES6_15HIP_vector_typeIjLj2EENS0_17counting_iteratorIjlEEPS9_SG_NS0_5tupleIJPjSI_NS0_16reverse_iteratorISI_EEEEENSH_IJSG_SG_SG_EEES9_SI_JZNS1_25segmented_radix_sort_implINS0_14default_configELb0EPKfPfPKlPlN2at6native12_GLOBAL__N_18offset_tEEE10hipError_tPvRmT1_PNSt15iterator_traitsIS12_E10value_typeET2_T3_PNS13_IS18_E10value_typeET4_jRbjT5_S1E_jjP12ihipStream_tbEUljE_ZNSN_ISO_Lb0ESQ_SR_ST_SU_SY_EESZ_S10_S11_S12_S16_S17_S18_S1B_S1C_jS1D_jS1E_S1E_jjS1G_bEUljE0_EEESZ_S10_S11_S18_S1C_S1E_T6_T7_T9_mT8_S1G_bDpT10_ENKUlT_T0_E_clISt17integral_constantIbLb1EES1U_EEDaS1P_S1Q_EUlS1P_E_NS1_11comp_targetILNS1_3genE2ELNS1_11target_archE906ELNS1_3gpuE6ELNS1_3repE0EEENS1_30default_config_static_selectorELNS0_4arch9wavefront6targetE0EEEvS12_, .Lfunc_end1376-_ZN7rocprim17ROCPRIM_400000_NS6detail17trampoline_kernelINS0_13select_configILj256ELj13ELNS0_17block_load_methodE3ELS4_3ELS4_3ELNS0_20block_scan_algorithmE0ELj4294967295EEENS1_25partition_config_selectorILNS1_17partition_subalgoE4EjNS0_10empty_typeEbEEZZNS1_14partition_implILS8_4ELb0ES6_15HIP_vector_typeIjLj2EENS0_17counting_iteratorIjlEEPS9_SG_NS0_5tupleIJPjSI_NS0_16reverse_iteratorISI_EEEEENSH_IJSG_SG_SG_EEES9_SI_JZNS1_25segmented_radix_sort_implINS0_14default_configELb0EPKfPfPKlPlN2at6native12_GLOBAL__N_18offset_tEEE10hipError_tPvRmT1_PNSt15iterator_traitsIS12_E10value_typeET2_T3_PNS13_IS18_E10value_typeET4_jRbjT5_S1E_jjP12ihipStream_tbEUljE_ZNSN_ISO_Lb0ESQ_SR_ST_SU_SY_EESZ_S10_S11_S12_S16_S17_S18_S1B_S1C_jS1D_jS1E_S1E_jjS1G_bEUljE0_EEESZ_S10_S11_S18_S1C_S1E_T6_T7_T9_mT8_S1G_bDpT10_ENKUlT_T0_E_clISt17integral_constantIbLb1EES1U_EEDaS1P_S1Q_EUlS1P_E_NS1_11comp_targetILNS1_3genE2ELNS1_11target_archE906ELNS1_3gpuE6ELNS1_3repE0EEENS1_30default_config_static_selectorELNS0_4arch9wavefront6targetE0EEEvS12_
                                        ; -- End function
	.set _ZN7rocprim17ROCPRIM_400000_NS6detail17trampoline_kernelINS0_13select_configILj256ELj13ELNS0_17block_load_methodE3ELS4_3ELS4_3ELNS0_20block_scan_algorithmE0ELj4294967295EEENS1_25partition_config_selectorILNS1_17partition_subalgoE4EjNS0_10empty_typeEbEEZZNS1_14partition_implILS8_4ELb0ES6_15HIP_vector_typeIjLj2EENS0_17counting_iteratorIjlEEPS9_SG_NS0_5tupleIJPjSI_NS0_16reverse_iteratorISI_EEEEENSH_IJSG_SG_SG_EEES9_SI_JZNS1_25segmented_radix_sort_implINS0_14default_configELb0EPKfPfPKlPlN2at6native12_GLOBAL__N_18offset_tEEE10hipError_tPvRmT1_PNSt15iterator_traitsIS12_E10value_typeET2_T3_PNS13_IS18_E10value_typeET4_jRbjT5_S1E_jjP12ihipStream_tbEUljE_ZNSN_ISO_Lb0ESQ_SR_ST_SU_SY_EESZ_S10_S11_S12_S16_S17_S18_S1B_S1C_jS1D_jS1E_S1E_jjS1G_bEUljE0_EEESZ_S10_S11_S18_S1C_S1E_T6_T7_T9_mT8_S1G_bDpT10_ENKUlT_T0_E_clISt17integral_constantIbLb1EES1U_EEDaS1P_S1Q_EUlS1P_E_NS1_11comp_targetILNS1_3genE2ELNS1_11target_archE906ELNS1_3gpuE6ELNS1_3repE0EEENS1_30default_config_static_selectorELNS0_4arch9wavefront6targetE0EEEvS12_.num_vgpr, 0
	.set _ZN7rocprim17ROCPRIM_400000_NS6detail17trampoline_kernelINS0_13select_configILj256ELj13ELNS0_17block_load_methodE3ELS4_3ELS4_3ELNS0_20block_scan_algorithmE0ELj4294967295EEENS1_25partition_config_selectorILNS1_17partition_subalgoE4EjNS0_10empty_typeEbEEZZNS1_14partition_implILS8_4ELb0ES6_15HIP_vector_typeIjLj2EENS0_17counting_iteratorIjlEEPS9_SG_NS0_5tupleIJPjSI_NS0_16reverse_iteratorISI_EEEEENSH_IJSG_SG_SG_EEES9_SI_JZNS1_25segmented_radix_sort_implINS0_14default_configELb0EPKfPfPKlPlN2at6native12_GLOBAL__N_18offset_tEEE10hipError_tPvRmT1_PNSt15iterator_traitsIS12_E10value_typeET2_T3_PNS13_IS18_E10value_typeET4_jRbjT5_S1E_jjP12ihipStream_tbEUljE_ZNSN_ISO_Lb0ESQ_SR_ST_SU_SY_EESZ_S10_S11_S12_S16_S17_S18_S1B_S1C_jS1D_jS1E_S1E_jjS1G_bEUljE0_EEESZ_S10_S11_S18_S1C_S1E_T6_T7_T9_mT8_S1G_bDpT10_ENKUlT_T0_E_clISt17integral_constantIbLb1EES1U_EEDaS1P_S1Q_EUlS1P_E_NS1_11comp_targetILNS1_3genE2ELNS1_11target_archE906ELNS1_3gpuE6ELNS1_3repE0EEENS1_30default_config_static_selectorELNS0_4arch9wavefront6targetE0EEEvS12_.num_agpr, 0
	.set _ZN7rocprim17ROCPRIM_400000_NS6detail17trampoline_kernelINS0_13select_configILj256ELj13ELNS0_17block_load_methodE3ELS4_3ELS4_3ELNS0_20block_scan_algorithmE0ELj4294967295EEENS1_25partition_config_selectorILNS1_17partition_subalgoE4EjNS0_10empty_typeEbEEZZNS1_14partition_implILS8_4ELb0ES6_15HIP_vector_typeIjLj2EENS0_17counting_iteratorIjlEEPS9_SG_NS0_5tupleIJPjSI_NS0_16reverse_iteratorISI_EEEEENSH_IJSG_SG_SG_EEES9_SI_JZNS1_25segmented_radix_sort_implINS0_14default_configELb0EPKfPfPKlPlN2at6native12_GLOBAL__N_18offset_tEEE10hipError_tPvRmT1_PNSt15iterator_traitsIS12_E10value_typeET2_T3_PNS13_IS18_E10value_typeET4_jRbjT5_S1E_jjP12ihipStream_tbEUljE_ZNSN_ISO_Lb0ESQ_SR_ST_SU_SY_EESZ_S10_S11_S12_S16_S17_S18_S1B_S1C_jS1D_jS1E_S1E_jjS1G_bEUljE0_EEESZ_S10_S11_S18_S1C_S1E_T6_T7_T9_mT8_S1G_bDpT10_ENKUlT_T0_E_clISt17integral_constantIbLb1EES1U_EEDaS1P_S1Q_EUlS1P_E_NS1_11comp_targetILNS1_3genE2ELNS1_11target_archE906ELNS1_3gpuE6ELNS1_3repE0EEENS1_30default_config_static_selectorELNS0_4arch9wavefront6targetE0EEEvS12_.numbered_sgpr, 0
	.set _ZN7rocprim17ROCPRIM_400000_NS6detail17trampoline_kernelINS0_13select_configILj256ELj13ELNS0_17block_load_methodE3ELS4_3ELS4_3ELNS0_20block_scan_algorithmE0ELj4294967295EEENS1_25partition_config_selectorILNS1_17partition_subalgoE4EjNS0_10empty_typeEbEEZZNS1_14partition_implILS8_4ELb0ES6_15HIP_vector_typeIjLj2EENS0_17counting_iteratorIjlEEPS9_SG_NS0_5tupleIJPjSI_NS0_16reverse_iteratorISI_EEEEENSH_IJSG_SG_SG_EEES9_SI_JZNS1_25segmented_radix_sort_implINS0_14default_configELb0EPKfPfPKlPlN2at6native12_GLOBAL__N_18offset_tEEE10hipError_tPvRmT1_PNSt15iterator_traitsIS12_E10value_typeET2_T3_PNS13_IS18_E10value_typeET4_jRbjT5_S1E_jjP12ihipStream_tbEUljE_ZNSN_ISO_Lb0ESQ_SR_ST_SU_SY_EESZ_S10_S11_S12_S16_S17_S18_S1B_S1C_jS1D_jS1E_S1E_jjS1G_bEUljE0_EEESZ_S10_S11_S18_S1C_S1E_T6_T7_T9_mT8_S1G_bDpT10_ENKUlT_T0_E_clISt17integral_constantIbLb1EES1U_EEDaS1P_S1Q_EUlS1P_E_NS1_11comp_targetILNS1_3genE2ELNS1_11target_archE906ELNS1_3gpuE6ELNS1_3repE0EEENS1_30default_config_static_selectorELNS0_4arch9wavefront6targetE0EEEvS12_.num_named_barrier, 0
	.set _ZN7rocprim17ROCPRIM_400000_NS6detail17trampoline_kernelINS0_13select_configILj256ELj13ELNS0_17block_load_methodE3ELS4_3ELS4_3ELNS0_20block_scan_algorithmE0ELj4294967295EEENS1_25partition_config_selectorILNS1_17partition_subalgoE4EjNS0_10empty_typeEbEEZZNS1_14partition_implILS8_4ELb0ES6_15HIP_vector_typeIjLj2EENS0_17counting_iteratorIjlEEPS9_SG_NS0_5tupleIJPjSI_NS0_16reverse_iteratorISI_EEEEENSH_IJSG_SG_SG_EEES9_SI_JZNS1_25segmented_radix_sort_implINS0_14default_configELb0EPKfPfPKlPlN2at6native12_GLOBAL__N_18offset_tEEE10hipError_tPvRmT1_PNSt15iterator_traitsIS12_E10value_typeET2_T3_PNS13_IS18_E10value_typeET4_jRbjT5_S1E_jjP12ihipStream_tbEUljE_ZNSN_ISO_Lb0ESQ_SR_ST_SU_SY_EESZ_S10_S11_S12_S16_S17_S18_S1B_S1C_jS1D_jS1E_S1E_jjS1G_bEUljE0_EEESZ_S10_S11_S18_S1C_S1E_T6_T7_T9_mT8_S1G_bDpT10_ENKUlT_T0_E_clISt17integral_constantIbLb1EES1U_EEDaS1P_S1Q_EUlS1P_E_NS1_11comp_targetILNS1_3genE2ELNS1_11target_archE906ELNS1_3gpuE6ELNS1_3repE0EEENS1_30default_config_static_selectorELNS0_4arch9wavefront6targetE0EEEvS12_.private_seg_size, 0
	.set _ZN7rocprim17ROCPRIM_400000_NS6detail17trampoline_kernelINS0_13select_configILj256ELj13ELNS0_17block_load_methodE3ELS4_3ELS4_3ELNS0_20block_scan_algorithmE0ELj4294967295EEENS1_25partition_config_selectorILNS1_17partition_subalgoE4EjNS0_10empty_typeEbEEZZNS1_14partition_implILS8_4ELb0ES6_15HIP_vector_typeIjLj2EENS0_17counting_iteratorIjlEEPS9_SG_NS0_5tupleIJPjSI_NS0_16reverse_iteratorISI_EEEEENSH_IJSG_SG_SG_EEES9_SI_JZNS1_25segmented_radix_sort_implINS0_14default_configELb0EPKfPfPKlPlN2at6native12_GLOBAL__N_18offset_tEEE10hipError_tPvRmT1_PNSt15iterator_traitsIS12_E10value_typeET2_T3_PNS13_IS18_E10value_typeET4_jRbjT5_S1E_jjP12ihipStream_tbEUljE_ZNSN_ISO_Lb0ESQ_SR_ST_SU_SY_EESZ_S10_S11_S12_S16_S17_S18_S1B_S1C_jS1D_jS1E_S1E_jjS1G_bEUljE0_EEESZ_S10_S11_S18_S1C_S1E_T6_T7_T9_mT8_S1G_bDpT10_ENKUlT_T0_E_clISt17integral_constantIbLb1EES1U_EEDaS1P_S1Q_EUlS1P_E_NS1_11comp_targetILNS1_3genE2ELNS1_11target_archE906ELNS1_3gpuE6ELNS1_3repE0EEENS1_30default_config_static_selectorELNS0_4arch9wavefront6targetE0EEEvS12_.uses_vcc, 0
	.set _ZN7rocprim17ROCPRIM_400000_NS6detail17trampoline_kernelINS0_13select_configILj256ELj13ELNS0_17block_load_methodE3ELS4_3ELS4_3ELNS0_20block_scan_algorithmE0ELj4294967295EEENS1_25partition_config_selectorILNS1_17partition_subalgoE4EjNS0_10empty_typeEbEEZZNS1_14partition_implILS8_4ELb0ES6_15HIP_vector_typeIjLj2EENS0_17counting_iteratorIjlEEPS9_SG_NS0_5tupleIJPjSI_NS0_16reverse_iteratorISI_EEEEENSH_IJSG_SG_SG_EEES9_SI_JZNS1_25segmented_radix_sort_implINS0_14default_configELb0EPKfPfPKlPlN2at6native12_GLOBAL__N_18offset_tEEE10hipError_tPvRmT1_PNSt15iterator_traitsIS12_E10value_typeET2_T3_PNS13_IS18_E10value_typeET4_jRbjT5_S1E_jjP12ihipStream_tbEUljE_ZNSN_ISO_Lb0ESQ_SR_ST_SU_SY_EESZ_S10_S11_S12_S16_S17_S18_S1B_S1C_jS1D_jS1E_S1E_jjS1G_bEUljE0_EEESZ_S10_S11_S18_S1C_S1E_T6_T7_T9_mT8_S1G_bDpT10_ENKUlT_T0_E_clISt17integral_constantIbLb1EES1U_EEDaS1P_S1Q_EUlS1P_E_NS1_11comp_targetILNS1_3genE2ELNS1_11target_archE906ELNS1_3gpuE6ELNS1_3repE0EEENS1_30default_config_static_selectorELNS0_4arch9wavefront6targetE0EEEvS12_.uses_flat_scratch, 0
	.set _ZN7rocprim17ROCPRIM_400000_NS6detail17trampoline_kernelINS0_13select_configILj256ELj13ELNS0_17block_load_methodE3ELS4_3ELS4_3ELNS0_20block_scan_algorithmE0ELj4294967295EEENS1_25partition_config_selectorILNS1_17partition_subalgoE4EjNS0_10empty_typeEbEEZZNS1_14partition_implILS8_4ELb0ES6_15HIP_vector_typeIjLj2EENS0_17counting_iteratorIjlEEPS9_SG_NS0_5tupleIJPjSI_NS0_16reverse_iteratorISI_EEEEENSH_IJSG_SG_SG_EEES9_SI_JZNS1_25segmented_radix_sort_implINS0_14default_configELb0EPKfPfPKlPlN2at6native12_GLOBAL__N_18offset_tEEE10hipError_tPvRmT1_PNSt15iterator_traitsIS12_E10value_typeET2_T3_PNS13_IS18_E10value_typeET4_jRbjT5_S1E_jjP12ihipStream_tbEUljE_ZNSN_ISO_Lb0ESQ_SR_ST_SU_SY_EESZ_S10_S11_S12_S16_S17_S18_S1B_S1C_jS1D_jS1E_S1E_jjS1G_bEUljE0_EEESZ_S10_S11_S18_S1C_S1E_T6_T7_T9_mT8_S1G_bDpT10_ENKUlT_T0_E_clISt17integral_constantIbLb1EES1U_EEDaS1P_S1Q_EUlS1P_E_NS1_11comp_targetILNS1_3genE2ELNS1_11target_archE906ELNS1_3gpuE6ELNS1_3repE0EEENS1_30default_config_static_selectorELNS0_4arch9wavefront6targetE0EEEvS12_.has_dyn_sized_stack, 0
	.set _ZN7rocprim17ROCPRIM_400000_NS6detail17trampoline_kernelINS0_13select_configILj256ELj13ELNS0_17block_load_methodE3ELS4_3ELS4_3ELNS0_20block_scan_algorithmE0ELj4294967295EEENS1_25partition_config_selectorILNS1_17partition_subalgoE4EjNS0_10empty_typeEbEEZZNS1_14partition_implILS8_4ELb0ES6_15HIP_vector_typeIjLj2EENS0_17counting_iteratorIjlEEPS9_SG_NS0_5tupleIJPjSI_NS0_16reverse_iteratorISI_EEEEENSH_IJSG_SG_SG_EEES9_SI_JZNS1_25segmented_radix_sort_implINS0_14default_configELb0EPKfPfPKlPlN2at6native12_GLOBAL__N_18offset_tEEE10hipError_tPvRmT1_PNSt15iterator_traitsIS12_E10value_typeET2_T3_PNS13_IS18_E10value_typeET4_jRbjT5_S1E_jjP12ihipStream_tbEUljE_ZNSN_ISO_Lb0ESQ_SR_ST_SU_SY_EESZ_S10_S11_S12_S16_S17_S18_S1B_S1C_jS1D_jS1E_S1E_jjS1G_bEUljE0_EEESZ_S10_S11_S18_S1C_S1E_T6_T7_T9_mT8_S1G_bDpT10_ENKUlT_T0_E_clISt17integral_constantIbLb1EES1U_EEDaS1P_S1Q_EUlS1P_E_NS1_11comp_targetILNS1_3genE2ELNS1_11target_archE906ELNS1_3gpuE6ELNS1_3repE0EEENS1_30default_config_static_selectorELNS0_4arch9wavefront6targetE0EEEvS12_.has_recursion, 0
	.set _ZN7rocprim17ROCPRIM_400000_NS6detail17trampoline_kernelINS0_13select_configILj256ELj13ELNS0_17block_load_methodE3ELS4_3ELS4_3ELNS0_20block_scan_algorithmE0ELj4294967295EEENS1_25partition_config_selectorILNS1_17partition_subalgoE4EjNS0_10empty_typeEbEEZZNS1_14partition_implILS8_4ELb0ES6_15HIP_vector_typeIjLj2EENS0_17counting_iteratorIjlEEPS9_SG_NS0_5tupleIJPjSI_NS0_16reverse_iteratorISI_EEEEENSH_IJSG_SG_SG_EEES9_SI_JZNS1_25segmented_radix_sort_implINS0_14default_configELb0EPKfPfPKlPlN2at6native12_GLOBAL__N_18offset_tEEE10hipError_tPvRmT1_PNSt15iterator_traitsIS12_E10value_typeET2_T3_PNS13_IS18_E10value_typeET4_jRbjT5_S1E_jjP12ihipStream_tbEUljE_ZNSN_ISO_Lb0ESQ_SR_ST_SU_SY_EESZ_S10_S11_S12_S16_S17_S18_S1B_S1C_jS1D_jS1E_S1E_jjS1G_bEUljE0_EEESZ_S10_S11_S18_S1C_S1E_T6_T7_T9_mT8_S1G_bDpT10_ENKUlT_T0_E_clISt17integral_constantIbLb1EES1U_EEDaS1P_S1Q_EUlS1P_E_NS1_11comp_targetILNS1_3genE2ELNS1_11target_archE906ELNS1_3gpuE6ELNS1_3repE0EEENS1_30default_config_static_selectorELNS0_4arch9wavefront6targetE0EEEvS12_.has_indirect_call, 0
	.section	.AMDGPU.csdata,"",@progbits
; Kernel info:
; codeLenInByte = 0
; TotalNumSgprs: 0
; NumVgprs: 0
; ScratchSize: 0
; MemoryBound: 0
; FloatMode: 240
; IeeeMode: 1
; LDSByteSize: 0 bytes/workgroup (compile time only)
; SGPRBlocks: 0
; VGPRBlocks: 0
; NumSGPRsForWavesPerEU: 1
; NumVGPRsForWavesPerEU: 1
; Occupancy: 16
; WaveLimiterHint : 0
; COMPUTE_PGM_RSRC2:SCRATCH_EN: 0
; COMPUTE_PGM_RSRC2:USER_SGPR: 2
; COMPUTE_PGM_RSRC2:TRAP_HANDLER: 0
; COMPUTE_PGM_RSRC2:TGID_X_EN: 1
; COMPUTE_PGM_RSRC2:TGID_Y_EN: 0
; COMPUTE_PGM_RSRC2:TGID_Z_EN: 0
; COMPUTE_PGM_RSRC2:TIDIG_COMP_CNT: 0
	.section	.text._ZN7rocprim17ROCPRIM_400000_NS6detail17trampoline_kernelINS0_13select_configILj256ELj13ELNS0_17block_load_methodE3ELS4_3ELS4_3ELNS0_20block_scan_algorithmE0ELj4294967295EEENS1_25partition_config_selectorILNS1_17partition_subalgoE4EjNS0_10empty_typeEbEEZZNS1_14partition_implILS8_4ELb0ES6_15HIP_vector_typeIjLj2EENS0_17counting_iteratorIjlEEPS9_SG_NS0_5tupleIJPjSI_NS0_16reverse_iteratorISI_EEEEENSH_IJSG_SG_SG_EEES9_SI_JZNS1_25segmented_radix_sort_implINS0_14default_configELb0EPKfPfPKlPlN2at6native12_GLOBAL__N_18offset_tEEE10hipError_tPvRmT1_PNSt15iterator_traitsIS12_E10value_typeET2_T3_PNS13_IS18_E10value_typeET4_jRbjT5_S1E_jjP12ihipStream_tbEUljE_ZNSN_ISO_Lb0ESQ_SR_ST_SU_SY_EESZ_S10_S11_S12_S16_S17_S18_S1B_S1C_jS1D_jS1E_S1E_jjS1G_bEUljE0_EEESZ_S10_S11_S18_S1C_S1E_T6_T7_T9_mT8_S1G_bDpT10_ENKUlT_T0_E_clISt17integral_constantIbLb1EES1U_EEDaS1P_S1Q_EUlS1P_E_NS1_11comp_targetILNS1_3genE10ELNS1_11target_archE1200ELNS1_3gpuE4ELNS1_3repE0EEENS1_30default_config_static_selectorELNS0_4arch9wavefront6targetE0EEEvS12_,"axG",@progbits,_ZN7rocprim17ROCPRIM_400000_NS6detail17trampoline_kernelINS0_13select_configILj256ELj13ELNS0_17block_load_methodE3ELS4_3ELS4_3ELNS0_20block_scan_algorithmE0ELj4294967295EEENS1_25partition_config_selectorILNS1_17partition_subalgoE4EjNS0_10empty_typeEbEEZZNS1_14partition_implILS8_4ELb0ES6_15HIP_vector_typeIjLj2EENS0_17counting_iteratorIjlEEPS9_SG_NS0_5tupleIJPjSI_NS0_16reverse_iteratorISI_EEEEENSH_IJSG_SG_SG_EEES9_SI_JZNS1_25segmented_radix_sort_implINS0_14default_configELb0EPKfPfPKlPlN2at6native12_GLOBAL__N_18offset_tEEE10hipError_tPvRmT1_PNSt15iterator_traitsIS12_E10value_typeET2_T3_PNS13_IS18_E10value_typeET4_jRbjT5_S1E_jjP12ihipStream_tbEUljE_ZNSN_ISO_Lb0ESQ_SR_ST_SU_SY_EESZ_S10_S11_S12_S16_S17_S18_S1B_S1C_jS1D_jS1E_S1E_jjS1G_bEUljE0_EEESZ_S10_S11_S18_S1C_S1E_T6_T7_T9_mT8_S1G_bDpT10_ENKUlT_T0_E_clISt17integral_constantIbLb1EES1U_EEDaS1P_S1Q_EUlS1P_E_NS1_11comp_targetILNS1_3genE10ELNS1_11target_archE1200ELNS1_3gpuE4ELNS1_3repE0EEENS1_30default_config_static_selectorELNS0_4arch9wavefront6targetE0EEEvS12_,comdat
	.globl	_ZN7rocprim17ROCPRIM_400000_NS6detail17trampoline_kernelINS0_13select_configILj256ELj13ELNS0_17block_load_methodE3ELS4_3ELS4_3ELNS0_20block_scan_algorithmE0ELj4294967295EEENS1_25partition_config_selectorILNS1_17partition_subalgoE4EjNS0_10empty_typeEbEEZZNS1_14partition_implILS8_4ELb0ES6_15HIP_vector_typeIjLj2EENS0_17counting_iteratorIjlEEPS9_SG_NS0_5tupleIJPjSI_NS0_16reverse_iteratorISI_EEEEENSH_IJSG_SG_SG_EEES9_SI_JZNS1_25segmented_radix_sort_implINS0_14default_configELb0EPKfPfPKlPlN2at6native12_GLOBAL__N_18offset_tEEE10hipError_tPvRmT1_PNSt15iterator_traitsIS12_E10value_typeET2_T3_PNS13_IS18_E10value_typeET4_jRbjT5_S1E_jjP12ihipStream_tbEUljE_ZNSN_ISO_Lb0ESQ_SR_ST_SU_SY_EESZ_S10_S11_S12_S16_S17_S18_S1B_S1C_jS1D_jS1E_S1E_jjS1G_bEUljE0_EEESZ_S10_S11_S18_S1C_S1E_T6_T7_T9_mT8_S1G_bDpT10_ENKUlT_T0_E_clISt17integral_constantIbLb1EES1U_EEDaS1P_S1Q_EUlS1P_E_NS1_11comp_targetILNS1_3genE10ELNS1_11target_archE1200ELNS1_3gpuE4ELNS1_3repE0EEENS1_30default_config_static_selectorELNS0_4arch9wavefront6targetE0EEEvS12_ ; -- Begin function _ZN7rocprim17ROCPRIM_400000_NS6detail17trampoline_kernelINS0_13select_configILj256ELj13ELNS0_17block_load_methodE3ELS4_3ELS4_3ELNS0_20block_scan_algorithmE0ELj4294967295EEENS1_25partition_config_selectorILNS1_17partition_subalgoE4EjNS0_10empty_typeEbEEZZNS1_14partition_implILS8_4ELb0ES6_15HIP_vector_typeIjLj2EENS0_17counting_iteratorIjlEEPS9_SG_NS0_5tupleIJPjSI_NS0_16reverse_iteratorISI_EEEEENSH_IJSG_SG_SG_EEES9_SI_JZNS1_25segmented_radix_sort_implINS0_14default_configELb0EPKfPfPKlPlN2at6native12_GLOBAL__N_18offset_tEEE10hipError_tPvRmT1_PNSt15iterator_traitsIS12_E10value_typeET2_T3_PNS13_IS18_E10value_typeET4_jRbjT5_S1E_jjP12ihipStream_tbEUljE_ZNSN_ISO_Lb0ESQ_SR_ST_SU_SY_EESZ_S10_S11_S12_S16_S17_S18_S1B_S1C_jS1D_jS1E_S1E_jjS1G_bEUljE0_EEESZ_S10_S11_S18_S1C_S1E_T6_T7_T9_mT8_S1G_bDpT10_ENKUlT_T0_E_clISt17integral_constantIbLb1EES1U_EEDaS1P_S1Q_EUlS1P_E_NS1_11comp_targetILNS1_3genE10ELNS1_11target_archE1200ELNS1_3gpuE4ELNS1_3repE0EEENS1_30default_config_static_selectorELNS0_4arch9wavefront6targetE0EEEvS12_
	.p2align	8
	.type	_ZN7rocprim17ROCPRIM_400000_NS6detail17trampoline_kernelINS0_13select_configILj256ELj13ELNS0_17block_load_methodE3ELS4_3ELS4_3ELNS0_20block_scan_algorithmE0ELj4294967295EEENS1_25partition_config_selectorILNS1_17partition_subalgoE4EjNS0_10empty_typeEbEEZZNS1_14partition_implILS8_4ELb0ES6_15HIP_vector_typeIjLj2EENS0_17counting_iteratorIjlEEPS9_SG_NS0_5tupleIJPjSI_NS0_16reverse_iteratorISI_EEEEENSH_IJSG_SG_SG_EEES9_SI_JZNS1_25segmented_radix_sort_implINS0_14default_configELb0EPKfPfPKlPlN2at6native12_GLOBAL__N_18offset_tEEE10hipError_tPvRmT1_PNSt15iterator_traitsIS12_E10value_typeET2_T3_PNS13_IS18_E10value_typeET4_jRbjT5_S1E_jjP12ihipStream_tbEUljE_ZNSN_ISO_Lb0ESQ_SR_ST_SU_SY_EESZ_S10_S11_S12_S16_S17_S18_S1B_S1C_jS1D_jS1E_S1E_jjS1G_bEUljE0_EEESZ_S10_S11_S18_S1C_S1E_T6_T7_T9_mT8_S1G_bDpT10_ENKUlT_T0_E_clISt17integral_constantIbLb1EES1U_EEDaS1P_S1Q_EUlS1P_E_NS1_11comp_targetILNS1_3genE10ELNS1_11target_archE1200ELNS1_3gpuE4ELNS1_3repE0EEENS1_30default_config_static_selectorELNS0_4arch9wavefront6targetE0EEEvS12_,@function
_ZN7rocprim17ROCPRIM_400000_NS6detail17trampoline_kernelINS0_13select_configILj256ELj13ELNS0_17block_load_methodE3ELS4_3ELS4_3ELNS0_20block_scan_algorithmE0ELj4294967295EEENS1_25partition_config_selectorILNS1_17partition_subalgoE4EjNS0_10empty_typeEbEEZZNS1_14partition_implILS8_4ELb0ES6_15HIP_vector_typeIjLj2EENS0_17counting_iteratorIjlEEPS9_SG_NS0_5tupleIJPjSI_NS0_16reverse_iteratorISI_EEEEENSH_IJSG_SG_SG_EEES9_SI_JZNS1_25segmented_radix_sort_implINS0_14default_configELb0EPKfPfPKlPlN2at6native12_GLOBAL__N_18offset_tEEE10hipError_tPvRmT1_PNSt15iterator_traitsIS12_E10value_typeET2_T3_PNS13_IS18_E10value_typeET4_jRbjT5_S1E_jjP12ihipStream_tbEUljE_ZNSN_ISO_Lb0ESQ_SR_ST_SU_SY_EESZ_S10_S11_S12_S16_S17_S18_S1B_S1C_jS1D_jS1E_S1E_jjS1G_bEUljE0_EEESZ_S10_S11_S18_S1C_S1E_T6_T7_T9_mT8_S1G_bDpT10_ENKUlT_T0_E_clISt17integral_constantIbLb1EES1U_EEDaS1P_S1Q_EUlS1P_E_NS1_11comp_targetILNS1_3genE10ELNS1_11target_archE1200ELNS1_3gpuE4ELNS1_3repE0EEENS1_30default_config_static_selectorELNS0_4arch9wavefront6targetE0EEEvS12_: ; @_ZN7rocprim17ROCPRIM_400000_NS6detail17trampoline_kernelINS0_13select_configILj256ELj13ELNS0_17block_load_methodE3ELS4_3ELS4_3ELNS0_20block_scan_algorithmE0ELj4294967295EEENS1_25partition_config_selectorILNS1_17partition_subalgoE4EjNS0_10empty_typeEbEEZZNS1_14partition_implILS8_4ELb0ES6_15HIP_vector_typeIjLj2EENS0_17counting_iteratorIjlEEPS9_SG_NS0_5tupleIJPjSI_NS0_16reverse_iteratorISI_EEEEENSH_IJSG_SG_SG_EEES9_SI_JZNS1_25segmented_radix_sort_implINS0_14default_configELb0EPKfPfPKlPlN2at6native12_GLOBAL__N_18offset_tEEE10hipError_tPvRmT1_PNSt15iterator_traitsIS12_E10value_typeET2_T3_PNS13_IS18_E10value_typeET4_jRbjT5_S1E_jjP12ihipStream_tbEUljE_ZNSN_ISO_Lb0ESQ_SR_ST_SU_SY_EESZ_S10_S11_S12_S16_S17_S18_S1B_S1C_jS1D_jS1E_S1E_jjS1G_bEUljE0_EEESZ_S10_S11_S18_S1C_S1E_T6_T7_T9_mT8_S1G_bDpT10_ENKUlT_T0_E_clISt17integral_constantIbLb1EES1U_EEDaS1P_S1Q_EUlS1P_E_NS1_11comp_targetILNS1_3genE10ELNS1_11target_archE1200ELNS1_3gpuE4ELNS1_3repE0EEENS1_30default_config_static_selectorELNS0_4arch9wavefront6targetE0EEEvS12_
; %bb.0:
	s_endpgm
	.section	.rodata,"a",@progbits
	.p2align	6, 0x0
	.amdhsa_kernel _ZN7rocprim17ROCPRIM_400000_NS6detail17trampoline_kernelINS0_13select_configILj256ELj13ELNS0_17block_load_methodE3ELS4_3ELS4_3ELNS0_20block_scan_algorithmE0ELj4294967295EEENS1_25partition_config_selectorILNS1_17partition_subalgoE4EjNS0_10empty_typeEbEEZZNS1_14partition_implILS8_4ELb0ES6_15HIP_vector_typeIjLj2EENS0_17counting_iteratorIjlEEPS9_SG_NS0_5tupleIJPjSI_NS0_16reverse_iteratorISI_EEEEENSH_IJSG_SG_SG_EEES9_SI_JZNS1_25segmented_radix_sort_implINS0_14default_configELb0EPKfPfPKlPlN2at6native12_GLOBAL__N_18offset_tEEE10hipError_tPvRmT1_PNSt15iterator_traitsIS12_E10value_typeET2_T3_PNS13_IS18_E10value_typeET4_jRbjT5_S1E_jjP12ihipStream_tbEUljE_ZNSN_ISO_Lb0ESQ_SR_ST_SU_SY_EESZ_S10_S11_S12_S16_S17_S18_S1B_S1C_jS1D_jS1E_S1E_jjS1G_bEUljE0_EEESZ_S10_S11_S18_S1C_S1E_T6_T7_T9_mT8_S1G_bDpT10_ENKUlT_T0_E_clISt17integral_constantIbLb1EES1U_EEDaS1P_S1Q_EUlS1P_E_NS1_11comp_targetILNS1_3genE10ELNS1_11target_archE1200ELNS1_3gpuE4ELNS1_3repE0EEENS1_30default_config_static_selectorELNS0_4arch9wavefront6targetE0EEEvS12_
		.amdhsa_group_segment_fixed_size 0
		.amdhsa_private_segment_fixed_size 0
		.amdhsa_kernarg_size 184
		.amdhsa_user_sgpr_count 2
		.amdhsa_user_sgpr_dispatch_ptr 0
		.amdhsa_user_sgpr_queue_ptr 0
		.amdhsa_user_sgpr_kernarg_segment_ptr 1
		.amdhsa_user_sgpr_dispatch_id 0
		.amdhsa_user_sgpr_private_segment_size 0
		.amdhsa_wavefront_size32 1
		.amdhsa_uses_dynamic_stack 0
		.amdhsa_enable_private_segment 0
		.amdhsa_system_sgpr_workgroup_id_x 1
		.amdhsa_system_sgpr_workgroup_id_y 0
		.amdhsa_system_sgpr_workgroup_id_z 0
		.amdhsa_system_sgpr_workgroup_info 0
		.amdhsa_system_vgpr_workitem_id 0
		.amdhsa_next_free_vgpr 1
		.amdhsa_next_free_sgpr 1
		.amdhsa_reserve_vcc 0
		.amdhsa_float_round_mode_32 0
		.amdhsa_float_round_mode_16_64 0
		.amdhsa_float_denorm_mode_32 3
		.amdhsa_float_denorm_mode_16_64 3
		.amdhsa_fp16_overflow 0
		.amdhsa_workgroup_processor_mode 1
		.amdhsa_memory_ordered 1
		.amdhsa_forward_progress 1
		.amdhsa_inst_pref_size 1
		.amdhsa_round_robin_scheduling 0
		.amdhsa_exception_fp_ieee_invalid_op 0
		.amdhsa_exception_fp_denorm_src 0
		.amdhsa_exception_fp_ieee_div_zero 0
		.amdhsa_exception_fp_ieee_overflow 0
		.amdhsa_exception_fp_ieee_underflow 0
		.amdhsa_exception_fp_ieee_inexact 0
		.amdhsa_exception_int_div_zero 0
	.end_amdhsa_kernel
	.section	.text._ZN7rocprim17ROCPRIM_400000_NS6detail17trampoline_kernelINS0_13select_configILj256ELj13ELNS0_17block_load_methodE3ELS4_3ELS4_3ELNS0_20block_scan_algorithmE0ELj4294967295EEENS1_25partition_config_selectorILNS1_17partition_subalgoE4EjNS0_10empty_typeEbEEZZNS1_14partition_implILS8_4ELb0ES6_15HIP_vector_typeIjLj2EENS0_17counting_iteratorIjlEEPS9_SG_NS0_5tupleIJPjSI_NS0_16reverse_iteratorISI_EEEEENSH_IJSG_SG_SG_EEES9_SI_JZNS1_25segmented_radix_sort_implINS0_14default_configELb0EPKfPfPKlPlN2at6native12_GLOBAL__N_18offset_tEEE10hipError_tPvRmT1_PNSt15iterator_traitsIS12_E10value_typeET2_T3_PNS13_IS18_E10value_typeET4_jRbjT5_S1E_jjP12ihipStream_tbEUljE_ZNSN_ISO_Lb0ESQ_SR_ST_SU_SY_EESZ_S10_S11_S12_S16_S17_S18_S1B_S1C_jS1D_jS1E_S1E_jjS1G_bEUljE0_EEESZ_S10_S11_S18_S1C_S1E_T6_T7_T9_mT8_S1G_bDpT10_ENKUlT_T0_E_clISt17integral_constantIbLb1EES1U_EEDaS1P_S1Q_EUlS1P_E_NS1_11comp_targetILNS1_3genE10ELNS1_11target_archE1200ELNS1_3gpuE4ELNS1_3repE0EEENS1_30default_config_static_selectorELNS0_4arch9wavefront6targetE0EEEvS12_,"axG",@progbits,_ZN7rocprim17ROCPRIM_400000_NS6detail17trampoline_kernelINS0_13select_configILj256ELj13ELNS0_17block_load_methodE3ELS4_3ELS4_3ELNS0_20block_scan_algorithmE0ELj4294967295EEENS1_25partition_config_selectorILNS1_17partition_subalgoE4EjNS0_10empty_typeEbEEZZNS1_14partition_implILS8_4ELb0ES6_15HIP_vector_typeIjLj2EENS0_17counting_iteratorIjlEEPS9_SG_NS0_5tupleIJPjSI_NS0_16reverse_iteratorISI_EEEEENSH_IJSG_SG_SG_EEES9_SI_JZNS1_25segmented_radix_sort_implINS0_14default_configELb0EPKfPfPKlPlN2at6native12_GLOBAL__N_18offset_tEEE10hipError_tPvRmT1_PNSt15iterator_traitsIS12_E10value_typeET2_T3_PNS13_IS18_E10value_typeET4_jRbjT5_S1E_jjP12ihipStream_tbEUljE_ZNSN_ISO_Lb0ESQ_SR_ST_SU_SY_EESZ_S10_S11_S12_S16_S17_S18_S1B_S1C_jS1D_jS1E_S1E_jjS1G_bEUljE0_EEESZ_S10_S11_S18_S1C_S1E_T6_T7_T9_mT8_S1G_bDpT10_ENKUlT_T0_E_clISt17integral_constantIbLb1EES1U_EEDaS1P_S1Q_EUlS1P_E_NS1_11comp_targetILNS1_3genE10ELNS1_11target_archE1200ELNS1_3gpuE4ELNS1_3repE0EEENS1_30default_config_static_selectorELNS0_4arch9wavefront6targetE0EEEvS12_,comdat
.Lfunc_end1377:
	.size	_ZN7rocprim17ROCPRIM_400000_NS6detail17trampoline_kernelINS0_13select_configILj256ELj13ELNS0_17block_load_methodE3ELS4_3ELS4_3ELNS0_20block_scan_algorithmE0ELj4294967295EEENS1_25partition_config_selectorILNS1_17partition_subalgoE4EjNS0_10empty_typeEbEEZZNS1_14partition_implILS8_4ELb0ES6_15HIP_vector_typeIjLj2EENS0_17counting_iteratorIjlEEPS9_SG_NS0_5tupleIJPjSI_NS0_16reverse_iteratorISI_EEEEENSH_IJSG_SG_SG_EEES9_SI_JZNS1_25segmented_radix_sort_implINS0_14default_configELb0EPKfPfPKlPlN2at6native12_GLOBAL__N_18offset_tEEE10hipError_tPvRmT1_PNSt15iterator_traitsIS12_E10value_typeET2_T3_PNS13_IS18_E10value_typeET4_jRbjT5_S1E_jjP12ihipStream_tbEUljE_ZNSN_ISO_Lb0ESQ_SR_ST_SU_SY_EESZ_S10_S11_S12_S16_S17_S18_S1B_S1C_jS1D_jS1E_S1E_jjS1G_bEUljE0_EEESZ_S10_S11_S18_S1C_S1E_T6_T7_T9_mT8_S1G_bDpT10_ENKUlT_T0_E_clISt17integral_constantIbLb1EES1U_EEDaS1P_S1Q_EUlS1P_E_NS1_11comp_targetILNS1_3genE10ELNS1_11target_archE1200ELNS1_3gpuE4ELNS1_3repE0EEENS1_30default_config_static_selectorELNS0_4arch9wavefront6targetE0EEEvS12_, .Lfunc_end1377-_ZN7rocprim17ROCPRIM_400000_NS6detail17trampoline_kernelINS0_13select_configILj256ELj13ELNS0_17block_load_methodE3ELS4_3ELS4_3ELNS0_20block_scan_algorithmE0ELj4294967295EEENS1_25partition_config_selectorILNS1_17partition_subalgoE4EjNS0_10empty_typeEbEEZZNS1_14partition_implILS8_4ELb0ES6_15HIP_vector_typeIjLj2EENS0_17counting_iteratorIjlEEPS9_SG_NS0_5tupleIJPjSI_NS0_16reverse_iteratorISI_EEEEENSH_IJSG_SG_SG_EEES9_SI_JZNS1_25segmented_radix_sort_implINS0_14default_configELb0EPKfPfPKlPlN2at6native12_GLOBAL__N_18offset_tEEE10hipError_tPvRmT1_PNSt15iterator_traitsIS12_E10value_typeET2_T3_PNS13_IS18_E10value_typeET4_jRbjT5_S1E_jjP12ihipStream_tbEUljE_ZNSN_ISO_Lb0ESQ_SR_ST_SU_SY_EESZ_S10_S11_S12_S16_S17_S18_S1B_S1C_jS1D_jS1E_S1E_jjS1G_bEUljE0_EEESZ_S10_S11_S18_S1C_S1E_T6_T7_T9_mT8_S1G_bDpT10_ENKUlT_T0_E_clISt17integral_constantIbLb1EES1U_EEDaS1P_S1Q_EUlS1P_E_NS1_11comp_targetILNS1_3genE10ELNS1_11target_archE1200ELNS1_3gpuE4ELNS1_3repE0EEENS1_30default_config_static_selectorELNS0_4arch9wavefront6targetE0EEEvS12_
                                        ; -- End function
	.set _ZN7rocprim17ROCPRIM_400000_NS6detail17trampoline_kernelINS0_13select_configILj256ELj13ELNS0_17block_load_methodE3ELS4_3ELS4_3ELNS0_20block_scan_algorithmE0ELj4294967295EEENS1_25partition_config_selectorILNS1_17partition_subalgoE4EjNS0_10empty_typeEbEEZZNS1_14partition_implILS8_4ELb0ES6_15HIP_vector_typeIjLj2EENS0_17counting_iteratorIjlEEPS9_SG_NS0_5tupleIJPjSI_NS0_16reverse_iteratorISI_EEEEENSH_IJSG_SG_SG_EEES9_SI_JZNS1_25segmented_radix_sort_implINS0_14default_configELb0EPKfPfPKlPlN2at6native12_GLOBAL__N_18offset_tEEE10hipError_tPvRmT1_PNSt15iterator_traitsIS12_E10value_typeET2_T3_PNS13_IS18_E10value_typeET4_jRbjT5_S1E_jjP12ihipStream_tbEUljE_ZNSN_ISO_Lb0ESQ_SR_ST_SU_SY_EESZ_S10_S11_S12_S16_S17_S18_S1B_S1C_jS1D_jS1E_S1E_jjS1G_bEUljE0_EEESZ_S10_S11_S18_S1C_S1E_T6_T7_T9_mT8_S1G_bDpT10_ENKUlT_T0_E_clISt17integral_constantIbLb1EES1U_EEDaS1P_S1Q_EUlS1P_E_NS1_11comp_targetILNS1_3genE10ELNS1_11target_archE1200ELNS1_3gpuE4ELNS1_3repE0EEENS1_30default_config_static_selectorELNS0_4arch9wavefront6targetE0EEEvS12_.num_vgpr, 0
	.set _ZN7rocprim17ROCPRIM_400000_NS6detail17trampoline_kernelINS0_13select_configILj256ELj13ELNS0_17block_load_methodE3ELS4_3ELS4_3ELNS0_20block_scan_algorithmE0ELj4294967295EEENS1_25partition_config_selectorILNS1_17partition_subalgoE4EjNS0_10empty_typeEbEEZZNS1_14partition_implILS8_4ELb0ES6_15HIP_vector_typeIjLj2EENS0_17counting_iteratorIjlEEPS9_SG_NS0_5tupleIJPjSI_NS0_16reverse_iteratorISI_EEEEENSH_IJSG_SG_SG_EEES9_SI_JZNS1_25segmented_radix_sort_implINS0_14default_configELb0EPKfPfPKlPlN2at6native12_GLOBAL__N_18offset_tEEE10hipError_tPvRmT1_PNSt15iterator_traitsIS12_E10value_typeET2_T3_PNS13_IS18_E10value_typeET4_jRbjT5_S1E_jjP12ihipStream_tbEUljE_ZNSN_ISO_Lb0ESQ_SR_ST_SU_SY_EESZ_S10_S11_S12_S16_S17_S18_S1B_S1C_jS1D_jS1E_S1E_jjS1G_bEUljE0_EEESZ_S10_S11_S18_S1C_S1E_T6_T7_T9_mT8_S1G_bDpT10_ENKUlT_T0_E_clISt17integral_constantIbLb1EES1U_EEDaS1P_S1Q_EUlS1P_E_NS1_11comp_targetILNS1_3genE10ELNS1_11target_archE1200ELNS1_3gpuE4ELNS1_3repE0EEENS1_30default_config_static_selectorELNS0_4arch9wavefront6targetE0EEEvS12_.num_agpr, 0
	.set _ZN7rocprim17ROCPRIM_400000_NS6detail17trampoline_kernelINS0_13select_configILj256ELj13ELNS0_17block_load_methodE3ELS4_3ELS4_3ELNS0_20block_scan_algorithmE0ELj4294967295EEENS1_25partition_config_selectorILNS1_17partition_subalgoE4EjNS0_10empty_typeEbEEZZNS1_14partition_implILS8_4ELb0ES6_15HIP_vector_typeIjLj2EENS0_17counting_iteratorIjlEEPS9_SG_NS0_5tupleIJPjSI_NS0_16reverse_iteratorISI_EEEEENSH_IJSG_SG_SG_EEES9_SI_JZNS1_25segmented_radix_sort_implINS0_14default_configELb0EPKfPfPKlPlN2at6native12_GLOBAL__N_18offset_tEEE10hipError_tPvRmT1_PNSt15iterator_traitsIS12_E10value_typeET2_T3_PNS13_IS18_E10value_typeET4_jRbjT5_S1E_jjP12ihipStream_tbEUljE_ZNSN_ISO_Lb0ESQ_SR_ST_SU_SY_EESZ_S10_S11_S12_S16_S17_S18_S1B_S1C_jS1D_jS1E_S1E_jjS1G_bEUljE0_EEESZ_S10_S11_S18_S1C_S1E_T6_T7_T9_mT8_S1G_bDpT10_ENKUlT_T0_E_clISt17integral_constantIbLb1EES1U_EEDaS1P_S1Q_EUlS1P_E_NS1_11comp_targetILNS1_3genE10ELNS1_11target_archE1200ELNS1_3gpuE4ELNS1_3repE0EEENS1_30default_config_static_selectorELNS0_4arch9wavefront6targetE0EEEvS12_.numbered_sgpr, 0
	.set _ZN7rocprim17ROCPRIM_400000_NS6detail17trampoline_kernelINS0_13select_configILj256ELj13ELNS0_17block_load_methodE3ELS4_3ELS4_3ELNS0_20block_scan_algorithmE0ELj4294967295EEENS1_25partition_config_selectorILNS1_17partition_subalgoE4EjNS0_10empty_typeEbEEZZNS1_14partition_implILS8_4ELb0ES6_15HIP_vector_typeIjLj2EENS0_17counting_iteratorIjlEEPS9_SG_NS0_5tupleIJPjSI_NS0_16reverse_iteratorISI_EEEEENSH_IJSG_SG_SG_EEES9_SI_JZNS1_25segmented_radix_sort_implINS0_14default_configELb0EPKfPfPKlPlN2at6native12_GLOBAL__N_18offset_tEEE10hipError_tPvRmT1_PNSt15iterator_traitsIS12_E10value_typeET2_T3_PNS13_IS18_E10value_typeET4_jRbjT5_S1E_jjP12ihipStream_tbEUljE_ZNSN_ISO_Lb0ESQ_SR_ST_SU_SY_EESZ_S10_S11_S12_S16_S17_S18_S1B_S1C_jS1D_jS1E_S1E_jjS1G_bEUljE0_EEESZ_S10_S11_S18_S1C_S1E_T6_T7_T9_mT8_S1G_bDpT10_ENKUlT_T0_E_clISt17integral_constantIbLb1EES1U_EEDaS1P_S1Q_EUlS1P_E_NS1_11comp_targetILNS1_3genE10ELNS1_11target_archE1200ELNS1_3gpuE4ELNS1_3repE0EEENS1_30default_config_static_selectorELNS0_4arch9wavefront6targetE0EEEvS12_.num_named_barrier, 0
	.set _ZN7rocprim17ROCPRIM_400000_NS6detail17trampoline_kernelINS0_13select_configILj256ELj13ELNS0_17block_load_methodE3ELS4_3ELS4_3ELNS0_20block_scan_algorithmE0ELj4294967295EEENS1_25partition_config_selectorILNS1_17partition_subalgoE4EjNS0_10empty_typeEbEEZZNS1_14partition_implILS8_4ELb0ES6_15HIP_vector_typeIjLj2EENS0_17counting_iteratorIjlEEPS9_SG_NS0_5tupleIJPjSI_NS0_16reverse_iteratorISI_EEEEENSH_IJSG_SG_SG_EEES9_SI_JZNS1_25segmented_radix_sort_implINS0_14default_configELb0EPKfPfPKlPlN2at6native12_GLOBAL__N_18offset_tEEE10hipError_tPvRmT1_PNSt15iterator_traitsIS12_E10value_typeET2_T3_PNS13_IS18_E10value_typeET4_jRbjT5_S1E_jjP12ihipStream_tbEUljE_ZNSN_ISO_Lb0ESQ_SR_ST_SU_SY_EESZ_S10_S11_S12_S16_S17_S18_S1B_S1C_jS1D_jS1E_S1E_jjS1G_bEUljE0_EEESZ_S10_S11_S18_S1C_S1E_T6_T7_T9_mT8_S1G_bDpT10_ENKUlT_T0_E_clISt17integral_constantIbLb1EES1U_EEDaS1P_S1Q_EUlS1P_E_NS1_11comp_targetILNS1_3genE10ELNS1_11target_archE1200ELNS1_3gpuE4ELNS1_3repE0EEENS1_30default_config_static_selectorELNS0_4arch9wavefront6targetE0EEEvS12_.private_seg_size, 0
	.set _ZN7rocprim17ROCPRIM_400000_NS6detail17trampoline_kernelINS0_13select_configILj256ELj13ELNS0_17block_load_methodE3ELS4_3ELS4_3ELNS0_20block_scan_algorithmE0ELj4294967295EEENS1_25partition_config_selectorILNS1_17partition_subalgoE4EjNS0_10empty_typeEbEEZZNS1_14partition_implILS8_4ELb0ES6_15HIP_vector_typeIjLj2EENS0_17counting_iteratorIjlEEPS9_SG_NS0_5tupleIJPjSI_NS0_16reverse_iteratorISI_EEEEENSH_IJSG_SG_SG_EEES9_SI_JZNS1_25segmented_radix_sort_implINS0_14default_configELb0EPKfPfPKlPlN2at6native12_GLOBAL__N_18offset_tEEE10hipError_tPvRmT1_PNSt15iterator_traitsIS12_E10value_typeET2_T3_PNS13_IS18_E10value_typeET4_jRbjT5_S1E_jjP12ihipStream_tbEUljE_ZNSN_ISO_Lb0ESQ_SR_ST_SU_SY_EESZ_S10_S11_S12_S16_S17_S18_S1B_S1C_jS1D_jS1E_S1E_jjS1G_bEUljE0_EEESZ_S10_S11_S18_S1C_S1E_T6_T7_T9_mT8_S1G_bDpT10_ENKUlT_T0_E_clISt17integral_constantIbLb1EES1U_EEDaS1P_S1Q_EUlS1P_E_NS1_11comp_targetILNS1_3genE10ELNS1_11target_archE1200ELNS1_3gpuE4ELNS1_3repE0EEENS1_30default_config_static_selectorELNS0_4arch9wavefront6targetE0EEEvS12_.uses_vcc, 0
	.set _ZN7rocprim17ROCPRIM_400000_NS6detail17trampoline_kernelINS0_13select_configILj256ELj13ELNS0_17block_load_methodE3ELS4_3ELS4_3ELNS0_20block_scan_algorithmE0ELj4294967295EEENS1_25partition_config_selectorILNS1_17partition_subalgoE4EjNS0_10empty_typeEbEEZZNS1_14partition_implILS8_4ELb0ES6_15HIP_vector_typeIjLj2EENS0_17counting_iteratorIjlEEPS9_SG_NS0_5tupleIJPjSI_NS0_16reverse_iteratorISI_EEEEENSH_IJSG_SG_SG_EEES9_SI_JZNS1_25segmented_radix_sort_implINS0_14default_configELb0EPKfPfPKlPlN2at6native12_GLOBAL__N_18offset_tEEE10hipError_tPvRmT1_PNSt15iterator_traitsIS12_E10value_typeET2_T3_PNS13_IS18_E10value_typeET4_jRbjT5_S1E_jjP12ihipStream_tbEUljE_ZNSN_ISO_Lb0ESQ_SR_ST_SU_SY_EESZ_S10_S11_S12_S16_S17_S18_S1B_S1C_jS1D_jS1E_S1E_jjS1G_bEUljE0_EEESZ_S10_S11_S18_S1C_S1E_T6_T7_T9_mT8_S1G_bDpT10_ENKUlT_T0_E_clISt17integral_constantIbLb1EES1U_EEDaS1P_S1Q_EUlS1P_E_NS1_11comp_targetILNS1_3genE10ELNS1_11target_archE1200ELNS1_3gpuE4ELNS1_3repE0EEENS1_30default_config_static_selectorELNS0_4arch9wavefront6targetE0EEEvS12_.uses_flat_scratch, 0
	.set _ZN7rocprim17ROCPRIM_400000_NS6detail17trampoline_kernelINS0_13select_configILj256ELj13ELNS0_17block_load_methodE3ELS4_3ELS4_3ELNS0_20block_scan_algorithmE0ELj4294967295EEENS1_25partition_config_selectorILNS1_17partition_subalgoE4EjNS0_10empty_typeEbEEZZNS1_14partition_implILS8_4ELb0ES6_15HIP_vector_typeIjLj2EENS0_17counting_iteratorIjlEEPS9_SG_NS0_5tupleIJPjSI_NS0_16reverse_iteratorISI_EEEEENSH_IJSG_SG_SG_EEES9_SI_JZNS1_25segmented_radix_sort_implINS0_14default_configELb0EPKfPfPKlPlN2at6native12_GLOBAL__N_18offset_tEEE10hipError_tPvRmT1_PNSt15iterator_traitsIS12_E10value_typeET2_T3_PNS13_IS18_E10value_typeET4_jRbjT5_S1E_jjP12ihipStream_tbEUljE_ZNSN_ISO_Lb0ESQ_SR_ST_SU_SY_EESZ_S10_S11_S12_S16_S17_S18_S1B_S1C_jS1D_jS1E_S1E_jjS1G_bEUljE0_EEESZ_S10_S11_S18_S1C_S1E_T6_T7_T9_mT8_S1G_bDpT10_ENKUlT_T0_E_clISt17integral_constantIbLb1EES1U_EEDaS1P_S1Q_EUlS1P_E_NS1_11comp_targetILNS1_3genE10ELNS1_11target_archE1200ELNS1_3gpuE4ELNS1_3repE0EEENS1_30default_config_static_selectorELNS0_4arch9wavefront6targetE0EEEvS12_.has_dyn_sized_stack, 0
	.set _ZN7rocprim17ROCPRIM_400000_NS6detail17trampoline_kernelINS0_13select_configILj256ELj13ELNS0_17block_load_methodE3ELS4_3ELS4_3ELNS0_20block_scan_algorithmE0ELj4294967295EEENS1_25partition_config_selectorILNS1_17partition_subalgoE4EjNS0_10empty_typeEbEEZZNS1_14partition_implILS8_4ELb0ES6_15HIP_vector_typeIjLj2EENS0_17counting_iteratorIjlEEPS9_SG_NS0_5tupleIJPjSI_NS0_16reverse_iteratorISI_EEEEENSH_IJSG_SG_SG_EEES9_SI_JZNS1_25segmented_radix_sort_implINS0_14default_configELb0EPKfPfPKlPlN2at6native12_GLOBAL__N_18offset_tEEE10hipError_tPvRmT1_PNSt15iterator_traitsIS12_E10value_typeET2_T3_PNS13_IS18_E10value_typeET4_jRbjT5_S1E_jjP12ihipStream_tbEUljE_ZNSN_ISO_Lb0ESQ_SR_ST_SU_SY_EESZ_S10_S11_S12_S16_S17_S18_S1B_S1C_jS1D_jS1E_S1E_jjS1G_bEUljE0_EEESZ_S10_S11_S18_S1C_S1E_T6_T7_T9_mT8_S1G_bDpT10_ENKUlT_T0_E_clISt17integral_constantIbLb1EES1U_EEDaS1P_S1Q_EUlS1P_E_NS1_11comp_targetILNS1_3genE10ELNS1_11target_archE1200ELNS1_3gpuE4ELNS1_3repE0EEENS1_30default_config_static_selectorELNS0_4arch9wavefront6targetE0EEEvS12_.has_recursion, 0
	.set _ZN7rocprim17ROCPRIM_400000_NS6detail17trampoline_kernelINS0_13select_configILj256ELj13ELNS0_17block_load_methodE3ELS4_3ELS4_3ELNS0_20block_scan_algorithmE0ELj4294967295EEENS1_25partition_config_selectorILNS1_17partition_subalgoE4EjNS0_10empty_typeEbEEZZNS1_14partition_implILS8_4ELb0ES6_15HIP_vector_typeIjLj2EENS0_17counting_iteratorIjlEEPS9_SG_NS0_5tupleIJPjSI_NS0_16reverse_iteratorISI_EEEEENSH_IJSG_SG_SG_EEES9_SI_JZNS1_25segmented_radix_sort_implINS0_14default_configELb0EPKfPfPKlPlN2at6native12_GLOBAL__N_18offset_tEEE10hipError_tPvRmT1_PNSt15iterator_traitsIS12_E10value_typeET2_T3_PNS13_IS18_E10value_typeET4_jRbjT5_S1E_jjP12ihipStream_tbEUljE_ZNSN_ISO_Lb0ESQ_SR_ST_SU_SY_EESZ_S10_S11_S12_S16_S17_S18_S1B_S1C_jS1D_jS1E_S1E_jjS1G_bEUljE0_EEESZ_S10_S11_S18_S1C_S1E_T6_T7_T9_mT8_S1G_bDpT10_ENKUlT_T0_E_clISt17integral_constantIbLb1EES1U_EEDaS1P_S1Q_EUlS1P_E_NS1_11comp_targetILNS1_3genE10ELNS1_11target_archE1200ELNS1_3gpuE4ELNS1_3repE0EEENS1_30default_config_static_selectorELNS0_4arch9wavefront6targetE0EEEvS12_.has_indirect_call, 0
	.section	.AMDGPU.csdata,"",@progbits
; Kernel info:
; codeLenInByte = 4
; TotalNumSgprs: 0
; NumVgprs: 0
; ScratchSize: 0
; MemoryBound: 0
; FloatMode: 240
; IeeeMode: 1
; LDSByteSize: 0 bytes/workgroup (compile time only)
; SGPRBlocks: 0
; VGPRBlocks: 0
; NumSGPRsForWavesPerEU: 1
; NumVGPRsForWavesPerEU: 1
; Occupancy: 16
; WaveLimiterHint : 0
; COMPUTE_PGM_RSRC2:SCRATCH_EN: 0
; COMPUTE_PGM_RSRC2:USER_SGPR: 2
; COMPUTE_PGM_RSRC2:TRAP_HANDLER: 0
; COMPUTE_PGM_RSRC2:TGID_X_EN: 1
; COMPUTE_PGM_RSRC2:TGID_Y_EN: 0
; COMPUTE_PGM_RSRC2:TGID_Z_EN: 0
; COMPUTE_PGM_RSRC2:TIDIG_COMP_CNT: 0
	.section	.text._ZN7rocprim17ROCPRIM_400000_NS6detail17trampoline_kernelINS0_13select_configILj256ELj13ELNS0_17block_load_methodE3ELS4_3ELS4_3ELNS0_20block_scan_algorithmE0ELj4294967295EEENS1_25partition_config_selectorILNS1_17partition_subalgoE4EjNS0_10empty_typeEbEEZZNS1_14partition_implILS8_4ELb0ES6_15HIP_vector_typeIjLj2EENS0_17counting_iteratorIjlEEPS9_SG_NS0_5tupleIJPjSI_NS0_16reverse_iteratorISI_EEEEENSH_IJSG_SG_SG_EEES9_SI_JZNS1_25segmented_radix_sort_implINS0_14default_configELb0EPKfPfPKlPlN2at6native12_GLOBAL__N_18offset_tEEE10hipError_tPvRmT1_PNSt15iterator_traitsIS12_E10value_typeET2_T3_PNS13_IS18_E10value_typeET4_jRbjT5_S1E_jjP12ihipStream_tbEUljE_ZNSN_ISO_Lb0ESQ_SR_ST_SU_SY_EESZ_S10_S11_S12_S16_S17_S18_S1B_S1C_jS1D_jS1E_S1E_jjS1G_bEUljE0_EEESZ_S10_S11_S18_S1C_S1E_T6_T7_T9_mT8_S1G_bDpT10_ENKUlT_T0_E_clISt17integral_constantIbLb1EES1U_EEDaS1P_S1Q_EUlS1P_E_NS1_11comp_targetILNS1_3genE9ELNS1_11target_archE1100ELNS1_3gpuE3ELNS1_3repE0EEENS1_30default_config_static_selectorELNS0_4arch9wavefront6targetE0EEEvS12_,"axG",@progbits,_ZN7rocprim17ROCPRIM_400000_NS6detail17trampoline_kernelINS0_13select_configILj256ELj13ELNS0_17block_load_methodE3ELS4_3ELS4_3ELNS0_20block_scan_algorithmE0ELj4294967295EEENS1_25partition_config_selectorILNS1_17partition_subalgoE4EjNS0_10empty_typeEbEEZZNS1_14partition_implILS8_4ELb0ES6_15HIP_vector_typeIjLj2EENS0_17counting_iteratorIjlEEPS9_SG_NS0_5tupleIJPjSI_NS0_16reverse_iteratorISI_EEEEENSH_IJSG_SG_SG_EEES9_SI_JZNS1_25segmented_radix_sort_implINS0_14default_configELb0EPKfPfPKlPlN2at6native12_GLOBAL__N_18offset_tEEE10hipError_tPvRmT1_PNSt15iterator_traitsIS12_E10value_typeET2_T3_PNS13_IS18_E10value_typeET4_jRbjT5_S1E_jjP12ihipStream_tbEUljE_ZNSN_ISO_Lb0ESQ_SR_ST_SU_SY_EESZ_S10_S11_S12_S16_S17_S18_S1B_S1C_jS1D_jS1E_S1E_jjS1G_bEUljE0_EEESZ_S10_S11_S18_S1C_S1E_T6_T7_T9_mT8_S1G_bDpT10_ENKUlT_T0_E_clISt17integral_constantIbLb1EES1U_EEDaS1P_S1Q_EUlS1P_E_NS1_11comp_targetILNS1_3genE9ELNS1_11target_archE1100ELNS1_3gpuE3ELNS1_3repE0EEENS1_30default_config_static_selectorELNS0_4arch9wavefront6targetE0EEEvS12_,comdat
	.globl	_ZN7rocprim17ROCPRIM_400000_NS6detail17trampoline_kernelINS0_13select_configILj256ELj13ELNS0_17block_load_methodE3ELS4_3ELS4_3ELNS0_20block_scan_algorithmE0ELj4294967295EEENS1_25partition_config_selectorILNS1_17partition_subalgoE4EjNS0_10empty_typeEbEEZZNS1_14partition_implILS8_4ELb0ES6_15HIP_vector_typeIjLj2EENS0_17counting_iteratorIjlEEPS9_SG_NS0_5tupleIJPjSI_NS0_16reverse_iteratorISI_EEEEENSH_IJSG_SG_SG_EEES9_SI_JZNS1_25segmented_radix_sort_implINS0_14default_configELb0EPKfPfPKlPlN2at6native12_GLOBAL__N_18offset_tEEE10hipError_tPvRmT1_PNSt15iterator_traitsIS12_E10value_typeET2_T3_PNS13_IS18_E10value_typeET4_jRbjT5_S1E_jjP12ihipStream_tbEUljE_ZNSN_ISO_Lb0ESQ_SR_ST_SU_SY_EESZ_S10_S11_S12_S16_S17_S18_S1B_S1C_jS1D_jS1E_S1E_jjS1G_bEUljE0_EEESZ_S10_S11_S18_S1C_S1E_T6_T7_T9_mT8_S1G_bDpT10_ENKUlT_T0_E_clISt17integral_constantIbLb1EES1U_EEDaS1P_S1Q_EUlS1P_E_NS1_11comp_targetILNS1_3genE9ELNS1_11target_archE1100ELNS1_3gpuE3ELNS1_3repE0EEENS1_30default_config_static_selectorELNS0_4arch9wavefront6targetE0EEEvS12_ ; -- Begin function _ZN7rocprim17ROCPRIM_400000_NS6detail17trampoline_kernelINS0_13select_configILj256ELj13ELNS0_17block_load_methodE3ELS4_3ELS4_3ELNS0_20block_scan_algorithmE0ELj4294967295EEENS1_25partition_config_selectorILNS1_17partition_subalgoE4EjNS0_10empty_typeEbEEZZNS1_14partition_implILS8_4ELb0ES6_15HIP_vector_typeIjLj2EENS0_17counting_iteratorIjlEEPS9_SG_NS0_5tupleIJPjSI_NS0_16reverse_iteratorISI_EEEEENSH_IJSG_SG_SG_EEES9_SI_JZNS1_25segmented_radix_sort_implINS0_14default_configELb0EPKfPfPKlPlN2at6native12_GLOBAL__N_18offset_tEEE10hipError_tPvRmT1_PNSt15iterator_traitsIS12_E10value_typeET2_T3_PNS13_IS18_E10value_typeET4_jRbjT5_S1E_jjP12ihipStream_tbEUljE_ZNSN_ISO_Lb0ESQ_SR_ST_SU_SY_EESZ_S10_S11_S12_S16_S17_S18_S1B_S1C_jS1D_jS1E_S1E_jjS1G_bEUljE0_EEESZ_S10_S11_S18_S1C_S1E_T6_T7_T9_mT8_S1G_bDpT10_ENKUlT_T0_E_clISt17integral_constantIbLb1EES1U_EEDaS1P_S1Q_EUlS1P_E_NS1_11comp_targetILNS1_3genE9ELNS1_11target_archE1100ELNS1_3gpuE3ELNS1_3repE0EEENS1_30default_config_static_selectorELNS0_4arch9wavefront6targetE0EEEvS12_
	.p2align	8
	.type	_ZN7rocprim17ROCPRIM_400000_NS6detail17trampoline_kernelINS0_13select_configILj256ELj13ELNS0_17block_load_methodE3ELS4_3ELS4_3ELNS0_20block_scan_algorithmE0ELj4294967295EEENS1_25partition_config_selectorILNS1_17partition_subalgoE4EjNS0_10empty_typeEbEEZZNS1_14partition_implILS8_4ELb0ES6_15HIP_vector_typeIjLj2EENS0_17counting_iteratorIjlEEPS9_SG_NS0_5tupleIJPjSI_NS0_16reverse_iteratorISI_EEEEENSH_IJSG_SG_SG_EEES9_SI_JZNS1_25segmented_radix_sort_implINS0_14default_configELb0EPKfPfPKlPlN2at6native12_GLOBAL__N_18offset_tEEE10hipError_tPvRmT1_PNSt15iterator_traitsIS12_E10value_typeET2_T3_PNS13_IS18_E10value_typeET4_jRbjT5_S1E_jjP12ihipStream_tbEUljE_ZNSN_ISO_Lb0ESQ_SR_ST_SU_SY_EESZ_S10_S11_S12_S16_S17_S18_S1B_S1C_jS1D_jS1E_S1E_jjS1G_bEUljE0_EEESZ_S10_S11_S18_S1C_S1E_T6_T7_T9_mT8_S1G_bDpT10_ENKUlT_T0_E_clISt17integral_constantIbLb1EES1U_EEDaS1P_S1Q_EUlS1P_E_NS1_11comp_targetILNS1_3genE9ELNS1_11target_archE1100ELNS1_3gpuE3ELNS1_3repE0EEENS1_30default_config_static_selectorELNS0_4arch9wavefront6targetE0EEEvS12_,@function
_ZN7rocprim17ROCPRIM_400000_NS6detail17trampoline_kernelINS0_13select_configILj256ELj13ELNS0_17block_load_methodE3ELS4_3ELS4_3ELNS0_20block_scan_algorithmE0ELj4294967295EEENS1_25partition_config_selectorILNS1_17partition_subalgoE4EjNS0_10empty_typeEbEEZZNS1_14partition_implILS8_4ELb0ES6_15HIP_vector_typeIjLj2EENS0_17counting_iteratorIjlEEPS9_SG_NS0_5tupleIJPjSI_NS0_16reverse_iteratorISI_EEEEENSH_IJSG_SG_SG_EEES9_SI_JZNS1_25segmented_radix_sort_implINS0_14default_configELb0EPKfPfPKlPlN2at6native12_GLOBAL__N_18offset_tEEE10hipError_tPvRmT1_PNSt15iterator_traitsIS12_E10value_typeET2_T3_PNS13_IS18_E10value_typeET4_jRbjT5_S1E_jjP12ihipStream_tbEUljE_ZNSN_ISO_Lb0ESQ_SR_ST_SU_SY_EESZ_S10_S11_S12_S16_S17_S18_S1B_S1C_jS1D_jS1E_S1E_jjS1G_bEUljE0_EEESZ_S10_S11_S18_S1C_S1E_T6_T7_T9_mT8_S1G_bDpT10_ENKUlT_T0_E_clISt17integral_constantIbLb1EES1U_EEDaS1P_S1Q_EUlS1P_E_NS1_11comp_targetILNS1_3genE9ELNS1_11target_archE1100ELNS1_3gpuE3ELNS1_3repE0EEENS1_30default_config_static_selectorELNS0_4arch9wavefront6targetE0EEEvS12_: ; @_ZN7rocprim17ROCPRIM_400000_NS6detail17trampoline_kernelINS0_13select_configILj256ELj13ELNS0_17block_load_methodE3ELS4_3ELS4_3ELNS0_20block_scan_algorithmE0ELj4294967295EEENS1_25partition_config_selectorILNS1_17partition_subalgoE4EjNS0_10empty_typeEbEEZZNS1_14partition_implILS8_4ELb0ES6_15HIP_vector_typeIjLj2EENS0_17counting_iteratorIjlEEPS9_SG_NS0_5tupleIJPjSI_NS0_16reverse_iteratorISI_EEEEENSH_IJSG_SG_SG_EEES9_SI_JZNS1_25segmented_radix_sort_implINS0_14default_configELb0EPKfPfPKlPlN2at6native12_GLOBAL__N_18offset_tEEE10hipError_tPvRmT1_PNSt15iterator_traitsIS12_E10value_typeET2_T3_PNS13_IS18_E10value_typeET4_jRbjT5_S1E_jjP12ihipStream_tbEUljE_ZNSN_ISO_Lb0ESQ_SR_ST_SU_SY_EESZ_S10_S11_S12_S16_S17_S18_S1B_S1C_jS1D_jS1E_S1E_jjS1G_bEUljE0_EEESZ_S10_S11_S18_S1C_S1E_T6_T7_T9_mT8_S1G_bDpT10_ENKUlT_T0_E_clISt17integral_constantIbLb1EES1U_EEDaS1P_S1Q_EUlS1P_E_NS1_11comp_targetILNS1_3genE9ELNS1_11target_archE1100ELNS1_3gpuE3ELNS1_3repE0EEENS1_30default_config_static_selectorELNS0_4arch9wavefront6targetE0EEEvS12_
; %bb.0:
	.section	.rodata,"a",@progbits
	.p2align	6, 0x0
	.amdhsa_kernel _ZN7rocprim17ROCPRIM_400000_NS6detail17trampoline_kernelINS0_13select_configILj256ELj13ELNS0_17block_load_methodE3ELS4_3ELS4_3ELNS0_20block_scan_algorithmE0ELj4294967295EEENS1_25partition_config_selectorILNS1_17partition_subalgoE4EjNS0_10empty_typeEbEEZZNS1_14partition_implILS8_4ELb0ES6_15HIP_vector_typeIjLj2EENS0_17counting_iteratorIjlEEPS9_SG_NS0_5tupleIJPjSI_NS0_16reverse_iteratorISI_EEEEENSH_IJSG_SG_SG_EEES9_SI_JZNS1_25segmented_radix_sort_implINS0_14default_configELb0EPKfPfPKlPlN2at6native12_GLOBAL__N_18offset_tEEE10hipError_tPvRmT1_PNSt15iterator_traitsIS12_E10value_typeET2_T3_PNS13_IS18_E10value_typeET4_jRbjT5_S1E_jjP12ihipStream_tbEUljE_ZNSN_ISO_Lb0ESQ_SR_ST_SU_SY_EESZ_S10_S11_S12_S16_S17_S18_S1B_S1C_jS1D_jS1E_S1E_jjS1G_bEUljE0_EEESZ_S10_S11_S18_S1C_S1E_T6_T7_T9_mT8_S1G_bDpT10_ENKUlT_T0_E_clISt17integral_constantIbLb1EES1U_EEDaS1P_S1Q_EUlS1P_E_NS1_11comp_targetILNS1_3genE9ELNS1_11target_archE1100ELNS1_3gpuE3ELNS1_3repE0EEENS1_30default_config_static_selectorELNS0_4arch9wavefront6targetE0EEEvS12_
		.amdhsa_group_segment_fixed_size 0
		.amdhsa_private_segment_fixed_size 0
		.amdhsa_kernarg_size 184
		.amdhsa_user_sgpr_count 2
		.amdhsa_user_sgpr_dispatch_ptr 0
		.amdhsa_user_sgpr_queue_ptr 0
		.amdhsa_user_sgpr_kernarg_segment_ptr 1
		.amdhsa_user_sgpr_dispatch_id 0
		.amdhsa_user_sgpr_private_segment_size 0
		.amdhsa_wavefront_size32 1
		.amdhsa_uses_dynamic_stack 0
		.amdhsa_enable_private_segment 0
		.amdhsa_system_sgpr_workgroup_id_x 1
		.amdhsa_system_sgpr_workgroup_id_y 0
		.amdhsa_system_sgpr_workgroup_id_z 0
		.amdhsa_system_sgpr_workgroup_info 0
		.amdhsa_system_vgpr_workitem_id 0
		.amdhsa_next_free_vgpr 1
		.amdhsa_next_free_sgpr 1
		.amdhsa_reserve_vcc 0
		.amdhsa_float_round_mode_32 0
		.amdhsa_float_round_mode_16_64 0
		.amdhsa_float_denorm_mode_32 3
		.amdhsa_float_denorm_mode_16_64 3
		.amdhsa_fp16_overflow 0
		.amdhsa_workgroup_processor_mode 1
		.amdhsa_memory_ordered 1
		.amdhsa_forward_progress 1
		.amdhsa_inst_pref_size 0
		.amdhsa_round_robin_scheduling 0
		.amdhsa_exception_fp_ieee_invalid_op 0
		.amdhsa_exception_fp_denorm_src 0
		.amdhsa_exception_fp_ieee_div_zero 0
		.amdhsa_exception_fp_ieee_overflow 0
		.amdhsa_exception_fp_ieee_underflow 0
		.amdhsa_exception_fp_ieee_inexact 0
		.amdhsa_exception_int_div_zero 0
	.end_amdhsa_kernel
	.section	.text._ZN7rocprim17ROCPRIM_400000_NS6detail17trampoline_kernelINS0_13select_configILj256ELj13ELNS0_17block_load_methodE3ELS4_3ELS4_3ELNS0_20block_scan_algorithmE0ELj4294967295EEENS1_25partition_config_selectorILNS1_17partition_subalgoE4EjNS0_10empty_typeEbEEZZNS1_14partition_implILS8_4ELb0ES6_15HIP_vector_typeIjLj2EENS0_17counting_iteratorIjlEEPS9_SG_NS0_5tupleIJPjSI_NS0_16reverse_iteratorISI_EEEEENSH_IJSG_SG_SG_EEES9_SI_JZNS1_25segmented_radix_sort_implINS0_14default_configELb0EPKfPfPKlPlN2at6native12_GLOBAL__N_18offset_tEEE10hipError_tPvRmT1_PNSt15iterator_traitsIS12_E10value_typeET2_T3_PNS13_IS18_E10value_typeET4_jRbjT5_S1E_jjP12ihipStream_tbEUljE_ZNSN_ISO_Lb0ESQ_SR_ST_SU_SY_EESZ_S10_S11_S12_S16_S17_S18_S1B_S1C_jS1D_jS1E_S1E_jjS1G_bEUljE0_EEESZ_S10_S11_S18_S1C_S1E_T6_T7_T9_mT8_S1G_bDpT10_ENKUlT_T0_E_clISt17integral_constantIbLb1EES1U_EEDaS1P_S1Q_EUlS1P_E_NS1_11comp_targetILNS1_3genE9ELNS1_11target_archE1100ELNS1_3gpuE3ELNS1_3repE0EEENS1_30default_config_static_selectorELNS0_4arch9wavefront6targetE0EEEvS12_,"axG",@progbits,_ZN7rocprim17ROCPRIM_400000_NS6detail17trampoline_kernelINS0_13select_configILj256ELj13ELNS0_17block_load_methodE3ELS4_3ELS4_3ELNS0_20block_scan_algorithmE0ELj4294967295EEENS1_25partition_config_selectorILNS1_17partition_subalgoE4EjNS0_10empty_typeEbEEZZNS1_14partition_implILS8_4ELb0ES6_15HIP_vector_typeIjLj2EENS0_17counting_iteratorIjlEEPS9_SG_NS0_5tupleIJPjSI_NS0_16reverse_iteratorISI_EEEEENSH_IJSG_SG_SG_EEES9_SI_JZNS1_25segmented_radix_sort_implINS0_14default_configELb0EPKfPfPKlPlN2at6native12_GLOBAL__N_18offset_tEEE10hipError_tPvRmT1_PNSt15iterator_traitsIS12_E10value_typeET2_T3_PNS13_IS18_E10value_typeET4_jRbjT5_S1E_jjP12ihipStream_tbEUljE_ZNSN_ISO_Lb0ESQ_SR_ST_SU_SY_EESZ_S10_S11_S12_S16_S17_S18_S1B_S1C_jS1D_jS1E_S1E_jjS1G_bEUljE0_EEESZ_S10_S11_S18_S1C_S1E_T6_T7_T9_mT8_S1G_bDpT10_ENKUlT_T0_E_clISt17integral_constantIbLb1EES1U_EEDaS1P_S1Q_EUlS1P_E_NS1_11comp_targetILNS1_3genE9ELNS1_11target_archE1100ELNS1_3gpuE3ELNS1_3repE0EEENS1_30default_config_static_selectorELNS0_4arch9wavefront6targetE0EEEvS12_,comdat
.Lfunc_end1378:
	.size	_ZN7rocprim17ROCPRIM_400000_NS6detail17trampoline_kernelINS0_13select_configILj256ELj13ELNS0_17block_load_methodE3ELS4_3ELS4_3ELNS0_20block_scan_algorithmE0ELj4294967295EEENS1_25partition_config_selectorILNS1_17partition_subalgoE4EjNS0_10empty_typeEbEEZZNS1_14partition_implILS8_4ELb0ES6_15HIP_vector_typeIjLj2EENS0_17counting_iteratorIjlEEPS9_SG_NS0_5tupleIJPjSI_NS0_16reverse_iteratorISI_EEEEENSH_IJSG_SG_SG_EEES9_SI_JZNS1_25segmented_radix_sort_implINS0_14default_configELb0EPKfPfPKlPlN2at6native12_GLOBAL__N_18offset_tEEE10hipError_tPvRmT1_PNSt15iterator_traitsIS12_E10value_typeET2_T3_PNS13_IS18_E10value_typeET4_jRbjT5_S1E_jjP12ihipStream_tbEUljE_ZNSN_ISO_Lb0ESQ_SR_ST_SU_SY_EESZ_S10_S11_S12_S16_S17_S18_S1B_S1C_jS1D_jS1E_S1E_jjS1G_bEUljE0_EEESZ_S10_S11_S18_S1C_S1E_T6_T7_T9_mT8_S1G_bDpT10_ENKUlT_T0_E_clISt17integral_constantIbLb1EES1U_EEDaS1P_S1Q_EUlS1P_E_NS1_11comp_targetILNS1_3genE9ELNS1_11target_archE1100ELNS1_3gpuE3ELNS1_3repE0EEENS1_30default_config_static_selectorELNS0_4arch9wavefront6targetE0EEEvS12_, .Lfunc_end1378-_ZN7rocprim17ROCPRIM_400000_NS6detail17trampoline_kernelINS0_13select_configILj256ELj13ELNS0_17block_load_methodE3ELS4_3ELS4_3ELNS0_20block_scan_algorithmE0ELj4294967295EEENS1_25partition_config_selectorILNS1_17partition_subalgoE4EjNS0_10empty_typeEbEEZZNS1_14partition_implILS8_4ELb0ES6_15HIP_vector_typeIjLj2EENS0_17counting_iteratorIjlEEPS9_SG_NS0_5tupleIJPjSI_NS0_16reverse_iteratorISI_EEEEENSH_IJSG_SG_SG_EEES9_SI_JZNS1_25segmented_radix_sort_implINS0_14default_configELb0EPKfPfPKlPlN2at6native12_GLOBAL__N_18offset_tEEE10hipError_tPvRmT1_PNSt15iterator_traitsIS12_E10value_typeET2_T3_PNS13_IS18_E10value_typeET4_jRbjT5_S1E_jjP12ihipStream_tbEUljE_ZNSN_ISO_Lb0ESQ_SR_ST_SU_SY_EESZ_S10_S11_S12_S16_S17_S18_S1B_S1C_jS1D_jS1E_S1E_jjS1G_bEUljE0_EEESZ_S10_S11_S18_S1C_S1E_T6_T7_T9_mT8_S1G_bDpT10_ENKUlT_T0_E_clISt17integral_constantIbLb1EES1U_EEDaS1P_S1Q_EUlS1P_E_NS1_11comp_targetILNS1_3genE9ELNS1_11target_archE1100ELNS1_3gpuE3ELNS1_3repE0EEENS1_30default_config_static_selectorELNS0_4arch9wavefront6targetE0EEEvS12_
                                        ; -- End function
	.set _ZN7rocprim17ROCPRIM_400000_NS6detail17trampoline_kernelINS0_13select_configILj256ELj13ELNS0_17block_load_methodE3ELS4_3ELS4_3ELNS0_20block_scan_algorithmE0ELj4294967295EEENS1_25partition_config_selectorILNS1_17partition_subalgoE4EjNS0_10empty_typeEbEEZZNS1_14partition_implILS8_4ELb0ES6_15HIP_vector_typeIjLj2EENS0_17counting_iteratorIjlEEPS9_SG_NS0_5tupleIJPjSI_NS0_16reverse_iteratorISI_EEEEENSH_IJSG_SG_SG_EEES9_SI_JZNS1_25segmented_radix_sort_implINS0_14default_configELb0EPKfPfPKlPlN2at6native12_GLOBAL__N_18offset_tEEE10hipError_tPvRmT1_PNSt15iterator_traitsIS12_E10value_typeET2_T3_PNS13_IS18_E10value_typeET4_jRbjT5_S1E_jjP12ihipStream_tbEUljE_ZNSN_ISO_Lb0ESQ_SR_ST_SU_SY_EESZ_S10_S11_S12_S16_S17_S18_S1B_S1C_jS1D_jS1E_S1E_jjS1G_bEUljE0_EEESZ_S10_S11_S18_S1C_S1E_T6_T7_T9_mT8_S1G_bDpT10_ENKUlT_T0_E_clISt17integral_constantIbLb1EES1U_EEDaS1P_S1Q_EUlS1P_E_NS1_11comp_targetILNS1_3genE9ELNS1_11target_archE1100ELNS1_3gpuE3ELNS1_3repE0EEENS1_30default_config_static_selectorELNS0_4arch9wavefront6targetE0EEEvS12_.num_vgpr, 0
	.set _ZN7rocprim17ROCPRIM_400000_NS6detail17trampoline_kernelINS0_13select_configILj256ELj13ELNS0_17block_load_methodE3ELS4_3ELS4_3ELNS0_20block_scan_algorithmE0ELj4294967295EEENS1_25partition_config_selectorILNS1_17partition_subalgoE4EjNS0_10empty_typeEbEEZZNS1_14partition_implILS8_4ELb0ES6_15HIP_vector_typeIjLj2EENS0_17counting_iteratorIjlEEPS9_SG_NS0_5tupleIJPjSI_NS0_16reverse_iteratorISI_EEEEENSH_IJSG_SG_SG_EEES9_SI_JZNS1_25segmented_radix_sort_implINS0_14default_configELb0EPKfPfPKlPlN2at6native12_GLOBAL__N_18offset_tEEE10hipError_tPvRmT1_PNSt15iterator_traitsIS12_E10value_typeET2_T3_PNS13_IS18_E10value_typeET4_jRbjT5_S1E_jjP12ihipStream_tbEUljE_ZNSN_ISO_Lb0ESQ_SR_ST_SU_SY_EESZ_S10_S11_S12_S16_S17_S18_S1B_S1C_jS1D_jS1E_S1E_jjS1G_bEUljE0_EEESZ_S10_S11_S18_S1C_S1E_T6_T7_T9_mT8_S1G_bDpT10_ENKUlT_T0_E_clISt17integral_constantIbLb1EES1U_EEDaS1P_S1Q_EUlS1P_E_NS1_11comp_targetILNS1_3genE9ELNS1_11target_archE1100ELNS1_3gpuE3ELNS1_3repE0EEENS1_30default_config_static_selectorELNS0_4arch9wavefront6targetE0EEEvS12_.num_agpr, 0
	.set _ZN7rocprim17ROCPRIM_400000_NS6detail17trampoline_kernelINS0_13select_configILj256ELj13ELNS0_17block_load_methodE3ELS4_3ELS4_3ELNS0_20block_scan_algorithmE0ELj4294967295EEENS1_25partition_config_selectorILNS1_17partition_subalgoE4EjNS0_10empty_typeEbEEZZNS1_14partition_implILS8_4ELb0ES6_15HIP_vector_typeIjLj2EENS0_17counting_iteratorIjlEEPS9_SG_NS0_5tupleIJPjSI_NS0_16reverse_iteratorISI_EEEEENSH_IJSG_SG_SG_EEES9_SI_JZNS1_25segmented_radix_sort_implINS0_14default_configELb0EPKfPfPKlPlN2at6native12_GLOBAL__N_18offset_tEEE10hipError_tPvRmT1_PNSt15iterator_traitsIS12_E10value_typeET2_T3_PNS13_IS18_E10value_typeET4_jRbjT5_S1E_jjP12ihipStream_tbEUljE_ZNSN_ISO_Lb0ESQ_SR_ST_SU_SY_EESZ_S10_S11_S12_S16_S17_S18_S1B_S1C_jS1D_jS1E_S1E_jjS1G_bEUljE0_EEESZ_S10_S11_S18_S1C_S1E_T6_T7_T9_mT8_S1G_bDpT10_ENKUlT_T0_E_clISt17integral_constantIbLb1EES1U_EEDaS1P_S1Q_EUlS1P_E_NS1_11comp_targetILNS1_3genE9ELNS1_11target_archE1100ELNS1_3gpuE3ELNS1_3repE0EEENS1_30default_config_static_selectorELNS0_4arch9wavefront6targetE0EEEvS12_.numbered_sgpr, 0
	.set _ZN7rocprim17ROCPRIM_400000_NS6detail17trampoline_kernelINS0_13select_configILj256ELj13ELNS0_17block_load_methodE3ELS4_3ELS4_3ELNS0_20block_scan_algorithmE0ELj4294967295EEENS1_25partition_config_selectorILNS1_17partition_subalgoE4EjNS0_10empty_typeEbEEZZNS1_14partition_implILS8_4ELb0ES6_15HIP_vector_typeIjLj2EENS0_17counting_iteratorIjlEEPS9_SG_NS0_5tupleIJPjSI_NS0_16reverse_iteratorISI_EEEEENSH_IJSG_SG_SG_EEES9_SI_JZNS1_25segmented_radix_sort_implINS0_14default_configELb0EPKfPfPKlPlN2at6native12_GLOBAL__N_18offset_tEEE10hipError_tPvRmT1_PNSt15iterator_traitsIS12_E10value_typeET2_T3_PNS13_IS18_E10value_typeET4_jRbjT5_S1E_jjP12ihipStream_tbEUljE_ZNSN_ISO_Lb0ESQ_SR_ST_SU_SY_EESZ_S10_S11_S12_S16_S17_S18_S1B_S1C_jS1D_jS1E_S1E_jjS1G_bEUljE0_EEESZ_S10_S11_S18_S1C_S1E_T6_T7_T9_mT8_S1G_bDpT10_ENKUlT_T0_E_clISt17integral_constantIbLb1EES1U_EEDaS1P_S1Q_EUlS1P_E_NS1_11comp_targetILNS1_3genE9ELNS1_11target_archE1100ELNS1_3gpuE3ELNS1_3repE0EEENS1_30default_config_static_selectorELNS0_4arch9wavefront6targetE0EEEvS12_.num_named_barrier, 0
	.set _ZN7rocprim17ROCPRIM_400000_NS6detail17trampoline_kernelINS0_13select_configILj256ELj13ELNS0_17block_load_methodE3ELS4_3ELS4_3ELNS0_20block_scan_algorithmE0ELj4294967295EEENS1_25partition_config_selectorILNS1_17partition_subalgoE4EjNS0_10empty_typeEbEEZZNS1_14partition_implILS8_4ELb0ES6_15HIP_vector_typeIjLj2EENS0_17counting_iteratorIjlEEPS9_SG_NS0_5tupleIJPjSI_NS0_16reverse_iteratorISI_EEEEENSH_IJSG_SG_SG_EEES9_SI_JZNS1_25segmented_radix_sort_implINS0_14default_configELb0EPKfPfPKlPlN2at6native12_GLOBAL__N_18offset_tEEE10hipError_tPvRmT1_PNSt15iterator_traitsIS12_E10value_typeET2_T3_PNS13_IS18_E10value_typeET4_jRbjT5_S1E_jjP12ihipStream_tbEUljE_ZNSN_ISO_Lb0ESQ_SR_ST_SU_SY_EESZ_S10_S11_S12_S16_S17_S18_S1B_S1C_jS1D_jS1E_S1E_jjS1G_bEUljE0_EEESZ_S10_S11_S18_S1C_S1E_T6_T7_T9_mT8_S1G_bDpT10_ENKUlT_T0_E_clISt17integral_constantIbLb1EES1U_EEDaS1P_S1Q_EUlS1P_E_NS1_11comp_targetILNS1_3genE9ELNS1_11target_archE1100ELNS1_3gpuE3ELNS1_3repE0EEENS1_30default_config_static_selectorELNS0_4arch9wavefront6targetE0EEEvS12_.private_seg_size, 0
	.set _ZN7rocprim17ROCPRIM_400000_NS6detail17trampoline_kernelINS0_13select_configILj256ELj13ELNS0_17block_load_methodE3ELS4_3ELS4_3ELNS0_20block_scan_algorithmE0ELj4294967295EEENS1_25partition_config_selectorILNS1_17partition_subalgoE4EjNS0_10empty_typeEbEEZZNS1_14partition_implILS8_4ELb0ES6_15HIP_vector_typeIjLj2EENS0_17counting_iteratorIjlEEPS9_SG_NS0_5tupleIJPjSI_NS0_16reverse_iteratorISI_EEEEENSH_IJSG_SG_SG_EEES9_SI_JZNS1_25segmented_radix_sort_implINS0_14default_configELb0EPKfPfPKlPlN2at6native12_GLOBAL__N_18offset_tEEE10hipError_tPvRmT1_PNSt15iterator_traitsIS12_E10value_typeET2_T3_PNS13_IS18_E10value_typeET4_jRbjT5_S1E_jjP12ihipStream_tbEUljE_ZNSN_ISO_Lb0ESQ_SR_ST_SU_SY_EESZ_S10_S11_S12_S16_S17_S18_S1B_S1C_jS1D_jS1E_S1E_jjS1G_bEUljE0_EEESZ_S10_S11_S18_S1C_S1E_T6_T7_T9_mT8_S1G_bDpT10_ENKUlT_T0_E_clISt17integral_constantIbLb1EES1U_EEDaS1P_S1Q_EUlS1P_E_NS1_11comp_targetILNS1_3genE9ELNS1_11target_archE1100ELNS1_3gpuE3ELNS1_3repE0EEENS1_30default_config_static_selectorELNS0_4arch9wavefront6targetE0EEEvS12_.uses_vcc, 0
	.set _ZN7rocprim17ROCPRIM_400000_NS6detail17trampoline_kernelINS0_13select_configILj256ELj13ELNS0_17block_load_methodE3ELS4_3ELS4_3ELNS0_20block_scan_algorithmE0ELj4294967295EEENS1_25partition_config_selectorILNS1_17partition_subalgoE4EjNS0_10empty_typeEbEEZZNS1_14partition_implILS8_4ELb0ES6_15HIP_vector_typeIjLj2EENS0_17counting_iteratorIjlEEPS9_SG_NS0_5tupleIJPjSI_NS0_16reverse_iteratorISI_EEEEENSH_IJSG_SG_SG_EEES9_SI_JZNS1_25segmented_radix_sort_implINS0_14default_configELb0EPKfPfPKlPlN2at6native12_GLOBAL__N_18offset_tEEE10hipError_tPvRmT1_PNSt15iterator_traitsIS12_E10value_typeET2_T3_PNS13_IS18_E10value_typeET4_jRbjT5_S1E_jjP12ihipStream_tbEUljE_ZNSN_ISO_Lb0ESQ_SR_ST_SU_SY_EESZ_S10_S11_S12_S16_S17_S18_S1B_S1C_jS1D_jS1E_S1E_jjS1G_bEUljE0_EEESZ_S10_S11_S18_S1C_S1E_T6_T7_T9_mT8_S1G_bDpT10_ENKUlT_T0_E_clISt17integral_constantIbLb1EES1U_EEDaS1P_S1Q_EUlS1P_E_NS1_11comp_targetILNS1_3genE9ELNS1_11target_archE1100ELNS1_3gpuE3ELNS1_3repE0EEENS1_30default_config_static_selectorELNS0_4arch9wavefront6targetE0EEEvS12_.uses_flat_scratch, 0
	.set _ZN7rocprim17ROCPRIM_400000_NS6detail17trampoline_kernelINS0_13select_configILj256ELj13ELNS0_17block_load_methodE3ELS4_3ELS4_3ELNS0_20block_scan_algorithmE0ELj4294967295EEENS1_25partition_config_selectorILNS1_17partition_subalgoE4EjNS0_10empty_typeEbEEZZNS1_14partition_implILS8_4ELb0ES6_15HIP_vector_typeIjLj2EENS0_17counting_iteratorIjlEEPS9_SG_NS0_5tupleIJPjSI_NS0_16reverse_iteratorISI_EEEEENSH_IJSG_SG_SG_EEES9_SI_JZNS1_25segmented_radix_sort_implINS0_14default_configELb0EPKfPfPKlPlN2at6native12_GLOBAL__N_18offset_tEEE10hipError_tPvRmT1_PNSt15iterator_traitsIS12_E10value_typeET2_T3_PNS13_IS18_E10value_typeET4_jRbjT5_S1E_jjP12ihipStream_tbEUljE_ZNSN_ISO_Lb0ESQ_SR_ST_SU_SY_EESZ_S10_S11_S12_S16_S17_S18_S1B_S1C_jS1D_jS1E_S1E_jjS1G_bEUljE0_EEESZ_S10_S11_S18_S1C_S1E_T6_T7_T9_mT8_S1G_bDpT10_ENKUlT_T0_E_clISt17integral_constantIbLb1EES1U_EEDaS1P_S1Q_EUlS1P_E_NS1_11comp_targetILNS1_3genE9ELNS1_11target_archE1100ELNS1_3gpuE3ELNS1_3repE0EEENS1_30default_config_static_selectorELNS0_4arch9wavefront6targetE0EEEvS12_.has_dyn_sized_stack, 0
	.set _ZN7rocprim17ROCPRIM_400000_NS6detail17trampoline_kernelINS0_13select_configILj256ELj13ELNS0_17block_load_methodE3ELS4_3ELS4_3ELNS0_20block_scan_algorithmE0ELj4294967295EEENS1_25partition_config_selectorILNS1_17partition_subalgoE4EjNS0_10empty_typeEbEEZZNS1_14partition_implILS8_4ELb0ES6_15HIP_vector_typeIjLj2EENS0_17counting_iteratorIjlEEPS9_SG_NS0_5tupleIJPjSI_NS0_16reverse_iteratorISI_EEEEENSH_IJSG_SG_SG_EEES9_SI_JZNS1_25segmented_radix_sort_implINS0_14default_configELb0EPKfPfPKlPlN2at6native12_GLOBAL__N_18offset_tEEE10hipError_tPvRmT1_PNSt15iterator_traitsIS12_E10value_typeET2_T3_PNS13_IS18_E10value_typeET4_jRbjT5_S1E_jjP12ihipStream_tbEUljE_ZNSN_ISO_Lb0ESQ_SR_ST_SU_SY_EESZ_S10_S11_S12_S16_S17_S18_S1B_S1C_jS1D_jS1E_S1E_jjS1G_bEUljE0_EEESZ_S10_S11_S18_S1C_S1E_T6_T7_T9_mT8_S1G_bDpT10_ENKUlT_T0_E_clISt17integral_constantIbLb1EES1U_EEDaS1P_S1Q_EUlS1P_E_NS1_11comp_targetILNS1_3genE9ELNS1_11target_archE1100ELNS1_3gpuE3ELNS1_3repE0EEENS1_30default_config_static_selectorELNS0_4arch9wavefront6targetE0EEEvS12_.has_recursion, 0
	.set _ZN7rocprim17ROCPRIM_400000_NS6detail17trampoline_kernelINS0_13select_configILj256ELj13ELNS0_17block_load_methodE3ELS4_3ELS4_3ELNS0_20block_scan_algorithmE0ELj4294967295EEENS1_25partition_config_selectorILNS1_17partition_subalgoE4EjNS0_10empty_typeEbEEZZNS1_14partition_implILS8_4ELb0ES6_15HIP_vector_typeIjLj2EENS0_17counting_iteratorIjlEEPS9_SG_NS0_5tupleIJPjSI_NS0_16reverse_iteratorISI_EEEEENSH_IJSG_SG_SG_EEES9_SI_JZNS1_25segmented_radix_sort_implINS0_14default_configELb0EPKfPfPKlPlN2at6native12_GLOBAL__N_18offset_tEEE10hipError_tPvRmT1_PNSt15iterator_traitsIS12_E10value_typeET2_T3_PNS13_IS18_E10value_typeET4_jRbjT5_S1E_jjP12ihipStream_tbEUljE_ZNSN_ISO_Lb0ESQ_SR_ST_SU_SY_EESZ_S10_S11_S12_S16_S17_S18_S1B_S1C_jS1D_jS1E_S1E_jjS1G_bEUljE0_EEESZ_S10_S11_S18_S1C_S1E_T6_T7_T9_mT8_S1G_bDpT10_ENKUlT_T0_E_clISt17integral_constantIbLb1EES1U_EEDaS1P_S1Q_EUlS1P_E_NS1_11comp_targetILNS1_3genE9ELNS1_11target_archE1100ELNS1_3gpuE3ELNS1_3repE0EEENS1_30default_config_static_selectorELNS0_4arch9wavefront6targetE0EEEvS12_.has_indirect_call, 0
	.section	.AMDGPU.csdata,"",@progbits
; Kernel info:
; codeLenInByte = 0
; TotalNumSgprs: 0
; NumVgprs: 0
; ScratchSize: 0
; MemoryBound: 0
; FloatMode: 240
; IeeeMode: 1
; LDSByteSize: 0 bytes/workgroup (compile time only)
; SGPRBlocks: 0
; VGPRBlocks: 0
; NumSGPRsForWavesPerEU: 1
; NumVGPRsForWavesPerEU: 1
; Occupancy: 16
; WaveLimiterHint : 0
; COMPUTE_PGM_RSRC2:SCRATCH_EN: 0
; COMPUTE_PGM_RSRC2:USER_SGPR: 2
; COMPUTE_PGM_RSRC2:TRAP_HANDLER: 0
; COMPUTE_PGM_RSRC2:TGID_X_EN: 1
; COMPUTE_PGM_RSRC2:TGID_Y_EN: 0
; COMPUTE_PGM_RSRC2:TGID_Z_EN: 0
; COMPUTE_PGM_RSRC2:TIDIG_COMP_CNT: 0
	.section	.text._ZN7rocprim17ROCPRIM_400000_NS6detail17trampoline_kernelINS0_13select_configILj256ELj13ELNS0_17block_load_methodE3ELS4_3ELS4_3ELNS0_20block_scan_algorithmE0ELj4294967295EEENS1_25partition_config_selectorILNS1_17partition_subalgoE4EjNS0_10empty_typeEbEEZZNS1_14partition_implILS8_4ELb0ES6_15HIP_vector_typeIjLj2EENS0_17counting_iteratorIjlEEPS9_SG_NS0_5tupleIJPjSI_NS0_16reverse_iteratorISI_EEEEENSH_IJSG_SG_SG_EEES9_SI_JZNS1_25segmented_radix_sort_implINS0_14default_configELb0EPKfPfPKlPlN2at6native12_GLOBAL__N_18offset_tEEE10hipError_tPvRmT1_PNSt15iterator_traitsIS12_E10value_typeET2_T3_PNS13_IS18_E10value_typeET4_jRbjT5_S1E_jjP12ihipStream_tbEUljE_ZNSN_ISO_Lb0ESQ_SR_ST_SU_SY_EESZ_S10_S11_S12_S16_S17_S18_S1B_S1C_jS1D_jS1E_S1E_jjS1G_bEUljE0_EEESZ_S10_S11_S18_S1C_S1E_T6_T7_T9_mT8_S1G_bDpT10_ENKUlT_T0_E_clISt17integral_constantIbLb1EES1U_EEDaS1P_S1Q_EUlS1P_E_NS1_11comp_targetILNS1_3genE8ELNS1_11target_archE1030ELNS1_3gpuE2ELNS1_3repE0EEENS1_30default_config_static_selectorELNS0_4arch9wavefront6targetE0EEEvS12_,"axG",@progbits,_ZN7rocprim17ROCPRIM_400000_NS6detail17trampoline_kernelINS0_13select_configILj256ELj13ELNS0_17block_load_methodE3ELS4_3ELS4_3ELNS0_20block_scan_algorithmE0ELj4294967295EEENS1_25partition_config_selectorILNS1_17partition_subalgoE4EjNS0_10empty_typeEbEEZZNS1_14partition_implILS8_4ELb0ES6_15HIP_vector_typeIjLj2EENS0_17counting_iteratorIjlEEPS9_SG_NS0_5tupleIJPjSI_NS0_16reverse_iteratorISI_EEEEENSH_IJSG_SG_SG_EEES9_SI_JZNS1_25segmented_radix_sort_implINS0_14default_configELb0EPKfPfPKlPlN2at6native12_GLOBAL__N_18offset_tEEE10hipError_tPvRmT1_PNSt15iterator_traitsIS12_E10value_typeET2_T3_PNS13_IS18_E10value_typeET4_jRbjT5_S1E_jjP12ihipStream_tbEUljE_ZNSN_ISO_Lb0ESQ_SR_ST_SU_SY_EESZ_S10_S11_S12_S16_S17_S18_S1B_S1C_jS1D_jS1E_S1E_jjS1G_bEUljE0_EEESZ_S10_S11_S18_S1C_S1E_T6_T7_T9_mT8_S1G_bDpT10_ENKUlT_T0_E_clISt17integral_constantIbLb1EES1U_EEDaS1P_S1Q_EUlS1P_E_NS1_11comp_targetILNS1_3genE8ELNS1_11target_archE1030ELNS1_3gpuE2ELNS1_3repE0EEENS1_30default_config_static_selectorELNS0_4arch9wavefront6targetE0EEEvS12_,comdat
	.globl	_ZN7rocprim17ROCPRIM_400000_NS6detail17trampoline_kernelINS0_13select_configILj256ELj13ELNS0_17block_load_methodE3ELS4_3ELS4_3ELNS0_20block_scan_algorithmE0ELj4294967295EEENS1_25partition_config_selectorILNS1_17partition_subalgoE4EjNS0_10empty_typeEbEEZZNS1_14partition_implILS8_4ELb0ES6_15HIP_vector_typeIjLj2EENS0_17counting_iteratorIjlEEPS9_SG_NS0_5tupleIJPjSI_NS0_16reverse_iteratorISI_EEEEENSH_IJSG_SG_SG_EEES9_SI_JZNS1_25segmented_radix_sort_implINS0_14default_configELb0EPKfPfPKlPlN2at6native12_GLOBAL__N_18offset_tEEE10hipError_tPvRmT1_PNSt15iterator_traitsIS12_E10value_typeET2_T3_PNS13_IS18_E10value_typeET4_jRbjT5_S1E_jjP12ihipStream_tbEUljE_ZNSN_ISO_Lb0ESQ_SR_ST_SU_SY_EESZ_S10_S11_S12_S16_S17_S18_S1B_S1C_jS1D_jS1E_S1E_jjS1G_bEUljE0_EEESZ_S10_S11_S18_S1C_S1E_T6_T7_T9_mT8_S1G_bDpT10_ENKUlT_T0_E_clISt17integral_constantIbLb1EES1U_EEDaS1P_S1Q_EUlS1P_E_NS1_11comp_targetILNS1_3genE8ELNS1_11target_archE1030ELNS1_3gpuE2ELNS1_3repE0EEENS1_30default_config_static_selectorELNS0_4arch9wavefront6targetE0EEEvS12_ ; -- Begin function _ZN7rocprim17ROCPRIM_400000_NS6detail17trampoline_kernelINS0_13select_configILj256ELj13ELNS0_17block_load_methodE3ELS4_3ELS4_3ELNS0_20block_scan_algorithmE0ELj4294967295EEENS1_25partition_config_selectorILNS1_17partition_subalgoE4EjNS0_10empty_typeEbEEZZNS1_14partition_implILS8_4ELb0ES6_15HIP_vector_typeIjLj2EENS0_17counting_iteratorIjlEEPS9_SG_NS0_5tupleIJPjSI_NS0_16reverse_iteratorISI_EEEEENSH_IJSG_SG_SG_EEES9_SI_JZNS1_25segmented_radix_sort_implINS0_14default_configELb0EPKfPfPKlPlN2at6native12_GLOBAL__N_18offset_tEEE10hipError_tPvRmT1_PNSt15iterator_traitsIS12_E10value_typeET2_T3_PNS13_IS18_E10value_typeET4_jRbjT5_S1E_jjP12ihipStream_tbEUljE_ZNSN_ISO_Lb0ESQ_SR_ST_SU_SY_EESZ_S10_S11_S12_S16_S17_S18_S1B_S1C_jS1D_jS1E_S1E_jjS1G_bEUljE0_EEESZ_S10_S11_S18_S1C_S1E_T6_T7_T9_mT8_S1G_bDpT10_ENKUlT_T0_E_clISt17integral_constantIbLb1EES1U_EEDaS1P_S1Q_EUlS1P_E_NS1_11comp_targetILNS1_3genE8ELNS1_11target_archE1030ELNS1_3gpuE2ELNS1_3repE0EEENS1_30default_config_static_selectorELNS0_4arch9wavefront6targetE0EEEvS12_
	.p2align	8
	.type	_ZN7rocprim17ROCPRIM_400000_NS6detail17trampoline_kernelINS0_13select_configILj256ELj13ELNS0_17block_load_methodE3ELS4_3ELS4_3ELNS0_20block_scan_algorithmE0ELj4294967295EEENS1_25partition_config_selectorILNS1_17partition_subalgoE4EjNS0_10empty_typeEbEEZZNS1_14partition_implILS8_4ELb0ES6_15HIP_vector_typeIjLj2EENS0_17counting_iteratorIjlEEPS9_SG_NS0_5tupleIJPjSI_NS0_16reverse_iteratorISI_EEEEENSH_IJSG_SG_SG_EEES9_SI_JZNS1_25segmented_radix_sort_implINS0_14default_configELb0EPKfPfPKlPlN2at6native12_GLOBAL__N_18offset_tEEE10hipError_tPvRmT1_PNSt15iterator_traitsIS12_E10value_typeET2_T3_PNS13_IS18_E10value_typeET4_jRbjT5_S1E_jjP12ihipStream_tbEUljE_ZNSN_ISO_Lb0ESQ_SR_ST_SU_SY_EESZ_S10_S11_S12_S16_S17_S18_S1B_S1C_jS1D_jS1E_S1E_jjS1G_bEUljE0_EEESZ_S10_S11_S18_S1C_S1E_T6_T7_T9_mT8_S1G_bDpT10_ENKUlT_T0_E_clISt17integral_constantIbLb1EES1U_EEDaS1P_S1Q_EUlS1P_E_NS1_11comp_targetILNS1_3genE8ELNS1_11target_archE1030ELNS1_3gpuE2ELNS1_3repE0EEENS1_30default_config_static_selectorELNS0_4arch9wavefront6targetE0EEEvS12_,@function
_ZN7rocprim17ROCPRIM_400000_NS6detail17trampoline_kernelINS0_13select_configILj256ELj13ELNS0_17block_load_methodE3ELS4_3ELS4_3ELNS0_20block_scan_algorithmE0ELj4294967295EEENS1_25partition_config_selectorILNS1_17partition_subalgoE4EjNS0_10empty_typeEbEEZZNS1_14partition_implILS8_4ELb0ES6_15HIP_vector_typeIjLj2EENS0_17counting_iteratorIjlEEPS9_SG_NS0_5tupleIJPjSI_NS0_16reverse_iteratorISI_EEEEENSH_IJSG_SG_SG_EEES9_SI_JZNS1_25segmented_radix_sort_implINS0_14default_configELb0EPKfPfPKlPlN2at6native12_GLOBAL__N_18offset_tEEE10hipError_tPvRmT1_PNSt15iterator_traitsIS12_E10value_typeET2_T3_PNS13_IS18_E10value_typeET4_jRbjT5_S1E_jjP12ihipStream_tbEUljE_ZNSN_ISO_Lb0ESQ_SR_ST_SU_SY_EESZ_S10_S11_S12_S16_S17_S18_S1B_S1C_jS1D_jS1E_S1E_jjS1G_bEUljE0_EEESZ_S10_S11_S18_S1C_S1E_T6_T7_T9_mT8_S1G_bDpT10_ENKUlT_T0_E_clISt17integral_constantIbLb1EES1U_EEDaS1P_S1Q_EUlS1P_E_NS1_11comp_targetILNS1_3genE8ELNS1_11target_archE1030ELNS1_3gpuE2ELNS1_3repE0EEENS1_30default_config_static_selectorELNS0_4arch9wavefront6targetE0EEEvS12_: ; @_ZN7rocprim17ROCPRIM_400000_NS6detail17trampoline_kernelINS0_13select_configILj256ELj13ELNS0_17block_load_methodE3ELS4_3ELS4_3ELNS0_20block_scan_algorithmE0ELj4294967295EEENS1_25partition_config_selectorILNS1_17partition_subalgoE4EjNS0_10empty_typeEbEEZZNS1_14partition_implILS8_4ELb0ES6_15HIP_vector_typeIjLj2EENS0_17counting_iteratorIjlEEPS9_SG_NS0_5tupleIJPjSI_NS0_16reverse_iteratorISI_EEEEENSH_IJSG_SG_SG_EEES9_SI_JZNS1_25segmented_radix_sort_implINS0_14default_configELb0EPKfPfPKlPlN2at6native12_GLOBAL__N_18offset_tEEE10hipError_tPvRmT1_PNSt15iterator_traitsIS12_E10value_typeET2_T3_PNS13_IS18_E10value_typeET4_jRbjT5_S1E_jjP12ihipStream_tbEUljE_ZNSN_ISO_Lb0ESQ_SR_ST_SU_SY_EESZ_S10_S11_S12_S16_S17_S18_S1B_S1C_jS1D_jS1E_S1E_jjS1G_bEUljE0_EEESZ_S10_S11_S18_S1C_S1E_T6_T7_T9_mT8_S1G_bDpT10_ENKUlT_T0_E_clISt17integral_constantIbLb1EES1U_EEDaS1P_S1Q_EUlS1P_E_NS1_11comp_targetILNS1_3genE8ELNS1_11target_archE1030ELNS1_3gpuE2ELNS1_3repE0EEENS1_30default_config_static_selectorELNS0_4arch9wavefront6targetE0EEEvS12_
; %bb.0:
	.section	.rodata,"a",@progbits
	.p2align	6, 0x0
	.amdhsa_kernel _ZN7rocprim17ROCPRIM_400000_NS6detail17trampoline_kernelINS0_13select_configILj256ELj13ELNS0_17block_load_methodE3ELS4_3ELS4_3ELNS0_20block_scan_algorithmE0ELj4294967295EEENS1_25partition_config_selectorILNS1_17partition_subalgoE4EjNS0_10empty_typeEbEEZZNS1_14partition_implILS8_4ELb0ES6_15HIP_vector_typeIjLj2EENS0_17counting_iteratorIjlEEPS9_SG_NS0_5tupleIJPjSI_NS0_16reverse_iteratorISI_EEEEENSH_IJSG_SG_SG_EEES9_SI_JZNS1_25segmented_radix_sort_implINS0_14default_configELb0EPKfPfPKlPlN2at6native12_GLOBAL__N_18offset_tEEE10hipError_tPvRmT1_PNSt15iterator_traitsIS12_E10value_typeET2_T3_PNS13_IS18_E10value_typeET4_jRbjT5_S1E_jjP12ihipStream_tbEUljE_ZNSN_ISO_Lb0ESQ_SR_ST_SU_SY_EESZ_S10_S11_S12_S16_S17_S18_S1B_S1C_jS1D_jS1E_S1E_jjS1G_bEUljE0_EEESZ_S10_S11_S18_S1C_S1E_T6_T7_T9_mT8_S1G_bDpT10_ENKUlT_T0_E_clISt17integral_constantIbLb1EES1U_EEDaS1P_S1Q_EUlS1P_E_NS1_11comp_targetILNS1_3genE8ELNS1_11target_archE1030ELNS1_3gpuE2ELNS1_3repE0EEENS1_30default_config_static_selectorELNS0_4arch9wavefront6targetE0EEEvS12_
		.amdhsa_group_segment_fixed_size 0
		.amdhsa_private_segment_fixed_size 0
		.amdhsa_kernarg_size 184
		.amdhsa_user_sgpr_count 2
		.amdhsa_user_sgpr_dispatch_ptr 0
		.amdhsa_user_sgpr_queue_ptr 0
		.amdhsa_user_sgpr_kernarg_segment_ptr 1
		.amdhsa_user_sgpr_dispatch_id 0
		.amdhsa_user_sgpr_private_segment_size 0
		.amdhsa_wavefront_size32 1
		.amdhsa_uses_dynamic_stack 0
		.amdhsa_enable_private_segment 0
		.amdhsa_system_sgpr_workgroup_id_x 1
		.amdhsa_system_sgpr_workgroup_id_y 0
		.amdhsa_system_sgpr_workgroup_id_z 0
		.amdhsa_system_sgpr_workgroup_info 0
		.amdhsa_system_vgpr_workitem_id 0
		.amdhsa_next_free_vgpr 1
		.amdhsa_next_free_sgpr 1
		.amdhsa_reserve_vcc 0
		.amdhsa_float_round_mode_32 0
		.amdhsa_float_round_mode_16_64 0
		.amdhsa_float_denorm_mode_32 3
		.amdhsa_float_denorm_mode_16_64 3
		.amdhsa_fp16_overflow 0
		.amdhsa_workgroup_processor_mode 1
		.amdhsa_memory_ordered 1
		.amdhsa_forward_progress 1
		.amdhsa_inst_pref_size 0
		.amdhsa_round_robin_scheduling 0
		.amdhsa_exception_fp_ieee_invalid_op 0
		.amdhsa_exception_fp_denorm_src 0
		.amdhsa_exception_fp_ieee_div_zero 0
		.amdhsa_exception_fp_ieee_overflow 0
		.amdhsa_exception_fp_ieee_underflow 0
		.amdhsa_exception_fp_ieee_inexact 0
		.amdhsa_exception_int_div_zero 0
	.end_amdhsa_kernel
	.section	.text._ZN7rocprim17ROCPRIM_400000_NS6detail17trampoline_kernelINS0_13select_configILj256ELj13ELNS0_17block_load_methodE3ELS4_3ELS4_3ELNS0_20block_scan_algorithmE0ELj4294967295EEENS1_25partition_config_selectorILNS1_17partition_subalgoE4EjNS0_10empty_typeEbEEZZNS1_14partition_implILS8_4ELb0ES6_15HIP_vector_typeIjLj2EENS0_17counting_iteratorIjlEEPS9_SG_NS0_5tupleIJPjSI_NS0_16reverse_iteratorISI_EEEEENSH_IJSG_SG_SG_EEES9_SI_JZNS1_25segmented_radix_sort_implINS0_14default_configELb0EPKfPfPKlPlN2at6native12_GLOBAL__N_18offset_tEEE10hipError_tPvRmT1_PNSt15iterator_traitsIS12_E10value_typeET2_T3_PNS13_IS18_E10value_typeET4_jRbjT5_S1E_jjP12ihipStream_tbEUljE_ZNSN_ISO_Lb0ESQ_SR_ST_SU_SY_EESZ_S10_S11_S12_S16_S17_S18_S1B_S1C_jS1D_jS1E_S1E_jjS1G_bEUljE0_EEESZ_S10_S11_S18_S1C_S1E_T6_T7_T9_mT8_S1G_bDpT10_ENKUlT_T0_E_clISt17integral_constantIbLb1EES1U_EEDaS1P_S1Q_EUlS1P_E_NS1_11comp_targetILNS1_3genE8ELNS1_11target_archE1030ELNS1_3gpuE2ELNS1_3repE0EEENS1_30default_config_static_selectorELNS0_4arch9wavefront6targetE0EEEvS12_,"axG",@progbits,_ZN7rocprim17ROCPRIM_400000_NS6detail17trampoline_kernelINS0_13select_configILj256ELj13ELNS0_17block_load_methodE3ELS4_3ELS4_3ELNS0_20block_scan_algorithmE0ELj4294967295EEENS1_25partition_config_selectorILNS1_17partition_subalgoE4EjNS0_10empty_typeEbEEZZNS1_14partition_implILS8_4ELb0ES6_15HIP_vector_typeIjLj2EENS0_17counting_iteratorIjlEEPS9_SG_NS0_5tupleIJPjSI_NS0_16reverse_iteratorISI_EEEEENSH_IJSG_SG_SG_EEES9_SI_JZNS1_25segmented_radix_sort_implINS0_14default_configELb0EPKfPfPKlPlN2at6native12_GLOBAL__N_18offset_tEEE10hipError_tPvRmT1_PNSt15iterator_traitsIS12_E10value_typeET2_T3_PNS13_IS18_E10value_typeET4_jRbjT5_S1E_jjP12ihipStream_tbEUljE_ZNSN_ISO_Lb0ESQ_SR_ST_SU_SY_EESZ_S10_S11_S12_S16_S17_S18_S1B_S1C_jS1D_jS1E_S1E_jjS1G_bEUljE0_EEESZ_S10_S11_S18_S1C_S1E_T6_T7_T9_mT8_S1G_bDpT10_ENKUlT_T0_E_clISt17integral_constantIbLb1EES1U_EEDaS1P_S1Q_EUlS1P_E_NS1_11comp_targetILNS1_3genE8ELNS1_11target_archE1030ELNS1_3gpuE2ELNS1_3repE0EEENS1_30default_config_static_selectorELNS0_4arch9wavefront6targetE0EEEvS12_,comdat
.Lfunc_end1379:
	.size	_ZN7rocprim17ROCPRIM_400000_NS6detail17trampoline_kernelINS0_13select_configILj256ELj13ELNS0_17block_load_methodE3ELS4_3ELS4_3ELNS0_20block_scan_algorithmE0ELj4294967295EEENS1_25partition_config_selectorILNS1_17partition_subalgoE4EjNS0_10empty_typeEbEEZZNS1_14partition_implILS8_4ELb0ES6_15HIP_vector_typeIjLj2EENS0_17counting_iteratorIjlEEPS9_SG_NS0_5tupleIJPjSI_NS0_16reverse_iteratorISI_EEEEENSH_IJSG_SG_SG_EEES9_SI_JZNS1_25segmented_radix_sort_implINS0_14default_configELb0EPKfPfPKlPlN2at6native12_GLOBAL__N_18offset_tEEE10hipError_tPvRmT1_PNSt15iterator_traitsIS12_E10value_typeET2_T3_PNS13_IS18_E10value_typeET4_jRbjT5_S1E_jjP12ihipStream_tbEUljE_ZNSN_ISO_Lb0ESQ_SR_ST_SU_SY_EESZ_S10_S11_S12_S16_S17_S18_S1B_S1C_jS1D_jS1E_S1E_jjS1G_bEUljE0_EEESZ_S10_S11_S18_S1C_S1E_T6_T7_T9_mT8_S1G_bDpT10_ENKUlT_T0_E_clISt17integral_constantIbLb1EES1U_EEDaS1P_S1Q_EUlS1P_E_NS1_11comp_targetILNS1_3genE8ELNS1_11target_archE1030ELNS1_3gpuE2ELNS1_3repE0EEENS1_30default_config_static_selectorELNS0_4arch9wavefront6targetE0EEEvS12_, .Lfunc_end1379-_ZN7rocprim17ROCPRIM_400000_NS6detail17trampoline_kernelINS0_13select_configILj256ELj13ELNS0_17block_load_methodE3ELS4_3ELS4_3ELNS0_20block_scan_algorithmE0ELj4294967295EEENS1_25partition_config_selectorILNS1_17partition_subalgoE4EjNS0_10empty_typeEbEEZZNS1_14partition_implILS8_4ELb0ES6_15HIP_vector_typeIjLj2EENS0_17counting_iteratorIjlEEPS9_SG_NS0_5tupleIJPjSI_NS0_16reverse_iteratorISI_EEEEENSH_IJSG_SG_SG_EEES9_SI_JZNS1_25segmented_radix_sort_implINS0_14default_configELb0EPKfPfPKlPlN2at6native12_GLOBAL__N_18offset_tEEE10hipError_tPvRmT1_PNSt15iterator_traitsIS12_E10value_typeET2_T3_PNS13_IS18_E10value_typeET4_jRbjT5_S1E_jjP12ihipStream_tbEUljE_ZNSN_ISO_Lb0ESQ_SR_ST_SU_SY_EESZ_S10_S11_S12_S16_S17_S18_S1B_S1C_jS1D_jS1E_S1E_jjS1G_bEUljE0_EEESZ_S10_S11_S18_S1C_S1E_T6_T7_T9_mT8_S1G_bDpT10_ENKUlT_T0_E_clISt17integral_constantIbLb1EES1U_EEDaS1P_S1Q_EUlS1P_E_NS1_11comp_targetILNS1_3genE8ELNS1_11target_archE1030ELNS1_3gpuE2ELNS1_3repE0EEENS1_30default_config_static_selectorELNS0_4arch9wavefront6targetE0EEEvS12_
                                        ; -- End function
	.set _ZN7rocprim17ROCPRIM_400000_NS6detail17trampoline_kernelINS0_13select_configILj256ELj13ELNS0_17block_load_methodE3ELS4_3ELS4_3ELNS0_20block_scan_algorithmE0ELj4294967295EEENS1_25partition_config_selectorILNS1_17partition_subalgoE4EjNS0_10empty_typeEbEEZZNS1_14partition_implILS8_4ELb0ES6_15HIP_vector_typeIjLj2EENS0_17counting_iteratorIjlEEPS9_SG_NS0_5tupleIJPjSI_NS0_16reverse_iteratorISI_EEEEENSH_IJSG_SG_SG_EEES9_SI_JZNS1_25segmented_radix_sort_implINS0_14default_configELb0EPKfPfPKlPlN2at6native12_GLOBAL__N_18offset_tEEE10hipError_tPvRmT1_PNSt15iterator_traitsIS12_E10value_typeET2_T3_PNS13_IS18_E10value_typeET4_jRbjT5_S1E_jjP12ihipStream_tbEUljE_ZNSN_ISO_Lb0ESQ_SR_ST_SU_SY_EESZ_S10_S11_S12_S16_S17_S18_S1B_S1C_jS1D_jS1E_S1E_jjS1G_bEUljE0_EEESZ_S10_S11_S18_S1C_S1E_T6_T7_T9_mT8_S1G_bDpT10_ENKUlT_T0_E_clISt17integral_constantIbLb1EES1U_EEDaS1P_S1Q_EUlS1P_E_NS1_11comp_targetILNS1_3genE8ELNS1_11target_archE1030ELNS1_3gpuE2ELNS1_3repE0EEENS1_30default_config_static_selectorELNS0_4arch9wavefront6targetE0EEEvS12_.num_vgpr, 0
	.set _ZN7rocprim17ROCPRIM_400000_NS6detail17trampoline_kernelINS0_13select_configILj256ELj13ELNS0_17block_load_methodE3ELS4_3ELS4_3ELNS0_20block_scan_algorithmE0ELj4294967295EEENS1_25partition_config_selectorILNS1_17partition_subalgoE4EjNS0_10empty_typeEbEEZZNS1_14partition_implILS8_4ELb0ES6_15HIP_vector_typeIjLj2EENS0_17counting_iteratorIjlEEPS9_SG_NS0_5tupleIJPjSI_NS0_16reverse_iteratorISI_EEEEENSH_IJSG_SG_SG_EEES9_SI_JZNS1_25segmented_radix_sort_implINS0_14default_configELb0EPKfPfPKlPlN2at6native12_GLOBAL__N_18offset_tEEE10hipError_tPvRmT1_PNSt15iterator_traitsIS12_E10value_typeET2_T3_PNS13_IS18_E10value_typeET4_jRbjT5_S1E_jjP12ihipStream_tbEUljE_ZNSN_ISO_Lb0ESQ_SR_ST_SU_SY_EESZ_S10_S11_S12_S16_S17_S18_S1B_S1C_jS1D_jS1E_S1E_jjS1G_bEUljE0_EEESZ_S10_S11_S18_S1C_S1E_T6_T7_T9_mT8_S1G_bDpT10_ENKUlT_T0_E_clISt17integral_constantIbLb1EES1U_EEDaS1P_S1Q_EUlS1P_E_NS1_11comp_targetILNS1_3genE8ELNS1_11target_archE1030ELNS1_3gpuE2ELNS1_3repE0EEENS1_30default_config_static_selectorELNS0_4arch9wavefront6targetE0EEEvS12_.num_agpr, 0
	.set _ZN7rocprim17ROCPRIM_400000_NS6detail17trampoline_kernelINS0_13select_configILj256ELj13ELNS0_17block_load_methodE3ELS4_3ELS4_3ELNS0_20block_scan_algorithmE0ELj4294967295EEENS1_25partition_config_selectorILNS1_17partition_subalgoE4EjNS0_10empty_typeEbEEZZNS1_14partition_implILS8_4ELb0ES6_15HIP_vector_typeIjLj2EENS0_17counting_iteratorIjlEEPS9_SG_NS0_5tupleIJPjSI_NS0_16reverse_iteratorISI_EEEEENSH_IJSG_SG_SG_EEES9_SI_JZNS1_25segmented_radix_sort_implINS0_14default_configELb0EPKfPfPKlPlN2at6native12_GLOBAL__N_18offset_tEEE10hipError_tPvRmT1_PNSt15iterator_traitsIS12_E10value_typeET2_T3_PNS13_IS18_E10value_typeET4_jRbjT5_S1E_jjP12ihipStream_tbEUljE_ZNSN_ISO_Lb0ESQ_SR_ST_SU_SY_EESZ_S10_S11_S12_S16_S17_S18_S1B_S1C_jS1D_jS1E_S1E_jjS1G_bEUljE0_EEESZ_S10_S11_S18_S1C_S1E_T6_T7_T9_mT8_S1G_bDpT10_ENKUlT_T0_E_clISt17integral_constantIbLb1EES1U_EEDaS1P_S1Q_EUlS1P_E_NS1_11comp_targetILNS1_3genE8ELNS1_11target_archE1030ELNS1_3gpuE2ELNS1_3repE0EEENS1_30default_config_static_selectorELNS0_4arch9wavefront6targetE0EEEvS12_.numbered_sgpr, 0
	.set _ZN7rocprim17ROCPRIM_400000_NS6detail17trampoline_kernelINS0_13select_configILj256ELj13ELNS0_17block_load_methodE3ELS4_3ELS4_3ELNS0_20block_scan_algorithmE0ELj4294967295EEENS1_25partition_config_selectorILNS1_17partition_subalgoE4EjNS0_10empty_typeEbEEZZNS1_14partition_implILS8_4ELb0ES6_15HIP_vector_typeIjLj2EENS0_17counting_iteratorIjlEEPS9_SG_NS0_5tupleIJPjSI_NS0_16reverse_iteratorISI_EEEEENSH_IJSG_SG_SG_EEES9_SI_JZNS1_25segmented_radix_sort_implINS0_14default_configELb0EPKfPfPKlPlN2at6native12_GLOBAL__N_18offset_tEEE10hipError_tPvRmT1_PNSt15iterator_traitsIS12_E10value_typeET2_T3_PNS13_IS18_E10value_typeET4_jRbjT5_S1E_jjP12ihipStream_tbEUljE_ZNSN_ISO_Lb0ESQ_SR_ST_SU_SY_EESZ_S10_S11_S12_S16_S17_S18_S1B_S1C_jS1D_jS1E_S1E_jjS1G_bEUljE0_EEESZ_S10_S11_S18_S1C_S1E_T6_T7_T9_mT8_S1G_bDpT10_ENKUlT_T0_E_clISt17integral_constantIbLb1EES1U_EEDaS1P_S1Q_EUlS1P_E_NS1_11comp_targetILNS1_3genE8ELNS1_11target_archE1030ELNS1_3gpuE2ELNS1_3repE0EEENS1_30default_config_static_selectorELNS0_4arch9wavefront6targetE0EEEvS12_.num_named_barrier, 0
	.set _ZN7rocprim17ROCPRIM_400000_NS6detail17trampoline_kernelINS0_13select_configILj256ELj13ELNS0_17block_load_methodE3ELS4_3ELS4_3ELNS0_20block_scan_algorithmE0ELj4294967295EEENS1_25partition_config_selectorILNS1_17partition_subalgoE4EjNS0_10empty_typeEbEEZZNS1_14partition_implILS8_4ELb0ES6_15HIP_vector_typeIjLj2EENS0_17counting_iteratorIjlEEPS9_SG_NS0_5tupleIJPjSI_NS0_16reverse_iteratorISI_EEEEENSH_IJSG_SG_SG_EEES9_SI_JZNS1_25segmented_radix_sort_implINS0_14default_configELb0EPKfPfPKlPlN2at6native12_GLOBAL__N_18offset_tEEE10hipError_tPvRmT1_PNSt15iterator_traitsIS12_E10value_typeET2_T3_PNS13_IS18_E10value_typeET4_jRbjT5_S1E_jjP12ihipStream_tbEUljE_ZNSN_ISO_Lb0ESQ_SR_ST_SU_SY_EESZ_S10_S11_S12_S16_S17_S18_S1B_S1C_jS1D_jS1E_S1E_jjS1G_bEUljE0_EEESZ_S10_S11_S18_S1C_S1E_T6_T7_T9_mT8_S1G_bDpT10_ENKUlT_T0_E_clISt17integral_constantIbLb1EES1U_EEDaS1P_S1Q_EUlS1P_E_NS1_11comp_targetILNS1_3genE8ELNS1_11target_archE1030ELNS1_3gpuE2ELNS1_3repE0EEENS1_30default_config_static_selectorELNS0_4arch9wavefront6targetE0EEEvS12_.private_seg_size, 0
	.set _ZN7rocprim17ROCPRIM_400000_NS6detail17trampoline_kernelINS0_13select_configILj256ELj13ELNS0_17block_load_methodE3ELS4_3ELS4_3ELNS0_20block_scan_algorithmE0ELj4294967295EEENS1_25partition_config_selectorILNS1_17partition_subalgoE4EjNS0_10empty_typeEbEEZZNS1_14partition_implILS8_4ELb0ES6_15HIP_vector_typeIjLj2EENS0_17counting_iteratorIjlEEPS9_SG_NS0_5tupleIJPjSI_NS0_16reverse_iteratorISI_EEEEENSH_IJSG_SG_SG_EEES9_SI_JZNS1_25segmented_radix_sort_implINS0_14default_configELb0EPKfPfPKlPlN2at6native12_GLOBAL__N_18offset_tEEE10hipError_tPvRmT1_PNSt15iterator_traitsIS12_E10value_typeET2_T3_PNS13_IS18_E10value_typeET4_jRbjT5_S1E_jjP12ihipStream_tbEUljE_ZNSN_ISO_Lb0ESQ_SR_ST_SU_SY_EESZ_S10_S11_S12_S16_S17_S18_S1B_S1C_jS1D_jS1E_S1E_jjS1G_bEUljE0_EEESZ_S10_S11_S18_S1C_S1E_T6_T7_T9_mT8_S1G_bDpT10_ENKUlT_T0_E_clISt17integral_constantIbLb1EES1U_EEDaS1P_S1Q_EUlS1P_E_NS1_11comp_targetILNS1_3genE8ELNS1_11target_archE1030ELNS1_3gpuE2ELNS1_3repE0EEENS1_30default_config_static_selectorELNS0_4arch9wavefront6targetE0EEEvS12_.uses_vcc, 0
	.set _ZN7rocprim17ROCPRIM_400000_NS6detail17trampoline_kernelINS0_13select_configILj256ELj13ELNS0_17block_load_methodE3ELS4_3ELS4_3ELNS0_20block_scan_algorithmE0ELj4294967295EEENS1_25partition_config_selectorILNS1_17partition_subalgoE4EjNS0_10empty_typeEbEEZZNS1_14partition_implILS8_4ELb0ES6_15HIP_vector_typeIjLj2EENS0_17counting_iteratorIjlEEPS9_SG_NS0_5tupleIJPjSI_NS0_16reverse_iteratorISI_EEEEENSH_IJSG_SG_SG_EEES9_SI_JZNS1_25segmented_radix_sort_implINS0_14default_configELb0EPKfPfPKlPlN2at6native12_GLOBAL__N_18offset_tEEE10hipError_tPvRmT1_PNSt15iterator_traitsIS12_E10value_typeET2_T3_PNS13_IS18_E10value_typeET4_jRbjT5_S1E_jjP12ihipStream_tbEUljE_ZNSN_ISO_Lb0ESQ_SR_ST_SU_SY_EESZ_S10_S11_S12_S16_S17_S18_S1B_S1C_jS1D_jS1E_S1E_jjS1G_bEUljE0_EEESZ_S10_S11_S18_S1C_S1E_T6_T7_T9_mT8_S1G_bDpT10_ENKUlT_T0_E_clISt17integral_constantIbLb1EES1U_EEDaS1P_S1Q_EUlS1P_E_NS1_11comp_targetILNS1_3genE8ELNS1_11target_archE1030ELNS1_3gpuE2ELNS1_3repE0EEENS1_30default_config_static_selectorELNS0_4arch9wavefront6targetE0EEEvS12_.uses_flat_scratch, 0
	.set _ZN7rocprim17ROCPRIM_400000_NS6detail17trampoline_kernelINS0_13select_configILj256ELj13ELNS0_17block_load_methodE3ELS4_3ELS4_3ELNS0_20block_scan_algorithmE0ELj4294967295EEENS1_25partition_config_selectorILNS1_17partition_subalgoE4EjNS0_10empty_typeEbEEZZNS1_14partition_implILS8_4ELb0ES6_15HIP_vector_typeIjLj2EENS0_17counting_iteratorIjlEEPS9_SG_NS0_5tupleIJPjSI_NS0_16reverse_iteratorISI_EEEEENSH_IJSG_SG_SG_EEES9_SI_JZNS1_25segmented_radix_sort_implINS0_14default_configELb0EPKfPfPKlPlN2at6native12_GLOBAL__N_18offset_tEEE10hipError_tPvRmT1_PNSt15iterator_traitsIS12_E10value_typeET2_T3_PNS13_IS18_E10value_typeET4_jRbjT5_S1E_jjP12ihipStream_tbEUljE_ZNSN_ISO_Lb0ESQ_SR_ST_SU_SY_EESZ_S10_S11_S12_S16_S17_S18_S1B_S1C_jS1D_jS1E_S1E_jjS1G_bEUljE0_EEESZ_S10_S11_S18_S1C_S1E_T6_T7_T9_mT8_S1G_bDpT10_ENKUlT_T0_E_clISt17integral_constantIbLb1EES1U_EEDaS1P_S1Q_EUlS1P_E_NS1_11comp_targetILNS1_3genE8ELNS1_11target_archE1030ELNS1_3gpuE2ELNS1_3repE0EEENS1_30default_config_static_selectorELNS0_4arch9wavefront6targetE0EEEvS12_.has_dyn_sized_stack, 0
	.set _ZN7rocprim17ROCPRIM_400000_NS6detail17trampoline_kernelINS0_13select_configILj256ELj13ELNS0_17block_load_methodE3ELS4_3ELS4_3ELNS0_20block_scan_algorithmE0ELj4294967295EEENS1_25partition_config_selectorILNS1_17partition_subalgoE4EjNS0_10empty_typeEbEEZZNS1_14partition_implILS8_4ELb0ES6_15HIP_vector_typeIjLj2EENS0_17counting_iteratorIjlEEPS9_SG_NS0_5tupleIJPjSI_NS0_16reverse_iteratorISI_EEEEENSH_IJSG_SG_SG_EEES9_SI_JZNS1_25segmented_radix_sort_implINS0_14default_configELb0EPKfPfPKlPlN2at6native12_GLOBAL__N_18offset_tEEE10hipError_tPvRmT1_PNSt15iterator_traitsIS12_E10value_typeET2_T3_PNS13_IS18_E10value_typeET4_jRbjT5_S1E_jjP12ihipStream_tbEUljE_ZNSN_ISO_Lb0ESQ_SR_ST_SU_SY_EESZ_S10_S11_S12_S16_S17_S18_S1B_S1C_jS1D_jS1E_S1E_jjS1G_bEUljE0_EEESZ_S10_S11_S18_S1C_S1E_T6_T7_T9_mT8_S1G_bDpT10_ENKUlT_T0_E_clISt17integral_constantIbLb1EES1U_EEDaS1P_S1Q_EUlS1P_E_NS1_11comp_targetILNS1_3genE8ELNS1_11target_archE1030ELNS1_3gpuE2ELNS1_3repE0EEENS1_30default_config_static_selectorELNS0_4arch9wavefront6targetE0EEEvS12_.has_recursion, 0
	.set _ZN7rocprim17ROCPRIM_400000_NS6detail17trampoline_kernelINS0_13select_configILj256ELj13ELNS0_17block_load_methodE3ELS4_3ELS4_3ELNS0_20block_scan_algorithmE0ELj4294967295EEENS1_25partition_config_selectorILNS1_17partition_subalgoE4EjNS0_10empty_typeEbEEZZNS1_14partition_implILS8_4ELb0ES6_15HIP_vector_typeIjLj2EENS0_17counting_iteratorIjlEEPS9_SG_NS0_5tupleIJPjSI_NS0_16reverse_iteratorISI_EEEEENSH_IJSG_SG_SG_EEES9_SI_JZNS1_25segmented_radix_sort_implINS0_14default_configELb0EPKfPfPKlPlN2at6native12_GLOBAL__N_18offset_tEEE10hipError_tPvRmT1_PNSt15iterator_traitsIS12_E10value_typeET2_T3_PNS13_IS18_E10value_typeET4_jRbjT5_S1E_jjP12ihipStream_tbEUljE_ZNSN_ISO_Lb0ESQ_SR_ST_SU_SY_EESZ_S10_S11_S12_S16_S17_S18_S1B_S1C_jS1D_jS1E_S1E_jjS1G_bEUljE0_EEESZ_S10_S11_S18_S1C_S1E_T6_T7_T9_mT8_S1G_bDpT10_ENKUlT_T0_E_clISt17integral_constantIbLb1EES1U_EEDaS1P_S1Q_EUlS1P_E_NS1_11comp_targetILNS1_3genE8ELNS1_11target_archE1030ELNS1_3gpuE2ELNS1_3repE0EEENS1_30default_config_static_selectorELNS0_4arch9wavefront6targetE0EEEvS12_.has_indirect_call, 0
	.section	.AMDGPU.csdata,"",@progbits
; Kernel info:
; codeLenInByte = 0
; TotalNumSgprs: 0
; NumVgprs: 0
; ScratchSize: 0
; MemoryBound: 0
; FloatMode: 240
; IeeeMode: 1
; LDSByteSize: 0 bytes/workgroup (compile time only)
; SGPRBlocks: 0
; VGPRBlocks: 0
; NumSGPRsForWavesPerEU: 1
; NumVGPRsForWavesPerEU: 1
; Occupancy: 16
; WaveLimiterHint : 0
; COMPUTE_PGM_RSRC2:SCRATCH_EN: 0
; COMPUTE_PGM_RSRC2:USER_SGPR: 2
; COMPUTE_PGM_RSRC2:TRAP_HANDLER: 0
; COMPUTE_PGM_RSRC2:TGID_X_EN: 1
; COMPUTE_PGM_RSRC2:TGID_Y_EN: 0
; COMPUTE_PGM_RSRC2:TGID_Z_EN: 0
; COMPUTE_PGM_RSRC2:TIDIG_COMP_CNT: 0
	.section	.text._ZN7rocprim17ROCPRIM_400000_NS6detail17trampoline_kernelINS0_13select_configILj256ELj13ELNS0_17block_load_methodE3ELS4_3ELS4_3ELNS0_20block_scan_algorithmE0ELj4294967295EEENS1_25partition_config_selectorILNS1_17partition_subalgoE4EjNS0_10empty_typeEbEEZZNS1_14partition_implILS8_4ELb0ES6_15HIP_vector_typeIjLj2EENS0_17counting_iteratorIjlEEPS9_SG_NS0_5tupleIJPjSI_NS0_16reverse_iteratorISI_EEEEENSH_IJSG_SG_SG_EEES9_SI_JZNS1_25segmented_radix_sort_implINS0_14default_configELb0EPKfPfPKlPlN2at6native12_GLOBAL__N_18offset_tEEE10hipError_tPvRmT1_PNSt15iterator_traitsIS12_E10value_typeET2_T3_PNS13_IS18_E10value_typeET4_jRbjT5_S1E_jjP12ihipStream_tbEUljE_ZNSN_ISO_Lb0ESQ_SR_ST_SU_SY_EESZ_S10_S11_S12_S16_S17_S18_S1B_S1C_jS1D_jS1E_S1E_jjS1G_bEUljE0_EEESZ_S10_S11_S18_S1C_S1E_T6_T7_T9_mT8_S1G_bDpT10_ENKUlT_T0_E_clISt17integral_constantIbLb1EES1T_IbLb0EEEEDaS1P_S1Q_EUlS1P_E_NS1_11comp_targetILNS1_3genE0ELNS1_11target_archE4294967295ELNS1_3gpuE0ELNS1_3repE0EEENS1_30default_config_static_selectorELNS0_4arch9wavefront6targetE0EEEvS12_,"axG",@progbits,_ZN7rocprim17ROCPRIM_400000_NS6detail17trampoline_kernelINS0_13select_configILj256ELj13ELNS0_17block_load_methodE3ELS4_3ELS4_3ELNS0_20block_scan_algorithmE0ELj4294967295EEENS1_25partition_config_selectorILNS1_17partition_subalgoE4EjNS0_10empty_typeEbEEZZNS1_14partition_implILS8_4ELb0ES6_15HIP_vector_typeIjLj2EENS0_17counting_iteratorIjlEEPS9_SG_NS0_5tupleIJPjSI_NS0_16reverse_iteratorISI_EEEEENSH_IJSG_SG_SG_EEES9_SI_JZNS1_25segmented_radix_sort_implINS0_14default_configELb0EPKfPfPKlPlN2at6native12_GLOBAL__N_18offset_tEEE10hipError_tPvRmT1_PNSt15iterator_traitsIS12_E10value_typeET2_T3_PNS13_IS18_E10value_typeET4_jRbjT5_S1E_jjP12ihipStream_tbEUljE_ZNSN_ISO_Lb0ESQ_SR_ST_SU_SY_EESZ_S10_S11_S12_S16_S17_S18_S1B_S1C_jS1D_jS1E_S1E_jjS1G_bEUljE0_EEESZ_S10_S11_S18_S1C_S1E_T6_T7_T9_mT8_S1G_bDpT10_ENKUlT_T0_E_clISt17integral_constantIbLb1EES1T_IbLb0EEEEDaS1P_S1Q_EUlS1P_E_NS1_11comp_targetILNS1_3genE0ELNS1_11target_archE4294967295ELNS1_3gpuE0ELNS1_3repE0EEENS1_30default_config_static_selectorELNS0_4arch9wavefront6targetE0EEEvS12_,comdat
	.globl	_ZN7rocprim17ROCPRIM_400000_NS6detail17trampoline_kernelINS0_13select_configILj256ELj13ELNS0_17block_load_methodE3ELS4_3ELS4_3ELNS0_20block_scan_algorithmE0ELj4294967295EEENS1_25partition_config_selectorILNS1_17partition_subalgoE4EjNS0_10empty_typeEbEEZZNS1_14partition_implILS8_4ELb0ES6_15HIP_vector_typeIjLj2EENS0_17counting_iteratorIjlEEPS9_SG_NS0_5tupleIJPjSI_NS0_16reverse_iteratorISI_EEEEENSH_IJSG_SG_SG_EEES9_SI_JZNS1_25segmented_radix_sort_implINS0_14default_configELb0EPKfPfPKlPlN2at6native12_GLOBAL__N_18offset_tEEE10hipError_tPvRmT1_PNSt15iterator_traitsIS12_E10value_typeET2_T3_PNS13_IS18_E10value_typeET4_jRbjT5_S1E_jjP12ihipStream_tbEUljE_ZNSN_ISO_Lb0ESQ_SR_ST_SU_SY_EESZ_S10_S11_S12_S16_S17_S18_S1B_S1C_jS1D_jS1E_S1E_jjS1G_bEUljE0_EEESZ_S10_S11_S18_S1C_S1E_T6_T7_T9_mT8_S1G_bDpT10_ENKUlT_T0_E_clISt17integral_constantIbLb1EES1T_IbLb0EEEEDaS1P_S1Q_EUlS1P_E_NS1_11comp_targetILNS1_3genE0ELNS1_11target_archE4294967295ELNS1_3gpuE0ELNS1_3repE0EEENS1_30default_config_static_selectorELNS0_4arch9wavefront6targetE0EEEvS12_ ; -- Begin function _ZN7rocprim17ROCPRIM_400000_NS6detail17trampoline_kernelINS0_13select_configILj256ELj13ELNS0_17block_load_methodE3ELS4_3ELS4_3ELNS0_20block_scan_algorithmE0ELj4294967295EEENS1_25partition_config_selectorILNS1_17partition_subalgoE4EjNS0_10empty_typeEbEEZZNS1_14partition_implILS8_4ELb0ES6_15HIP_vector_typeIjLj2EENS0_17counting_iteratorIjlEEPS9_SG_NS0_5tupleIJPjSI_NS0_16reverse_iteratorISI_EEEEENSH_IJSG_SG_SG_EEES9_SI_JZNS1_25segmented_radix_sort_implINS0_14default_configELb0EPKfPfPKlPlN2at6native12_GLOBAL__N_18offset_tEEE10hipError_tPvRmT1_PNSt15iterator_traitsIS12_E10value_typeET2_T3_PNS13_IS18_E10value_typeET4_jRbjT5_S1E_jjP12ihipStream_tbEUljE_ZNSN_ISO_Lb0ESQ_SR_ST_SU_SY_EESZ_S10_S11_S12_S16_S17_S18_S1B_S1C_jS1D_jS1E_S1E_jjS1G_bEUljE0_EEESZ_S10_S11_S18_S1C_S1E_T6_T7_T9_mT8_S1G_bDpT10_ENKUlT_T0_E_clISt17integral_constantIbLb1EES1T_IbLb0EEEEDaS1P_S1Q_EUlS1P_E_NS1_11comp_targetILNS1_3genE0ELNS1_11target_archE4294967295ELNS1_3gpuE0ELNS1_3repE0EEENS1_30default_config_static_selectorELNS0_4arch9wavefront6targetE0EEEvS12_
	.p2align	8
	.type	_ZN7rocprim17ROCPRIM_400000_NS6detail17trampoline_kernelINS0_13select_configILj256ELj13ELNS0_17block_load_methodE3ELS4_3ELS4_3ELNS0_20block_scan_algorithmE0ELj4294967295EEENS1_25partition_config_selectorILNS1_17partition_subalgoE4EjNS0_10empty_typeEbEEZZNS1_14partition_implILS8_4ELb0ES6_15HIP_vector_typeIjLj2EENS0_17counting_iteratorIjlEEPS9_SG_NS0_5tupleIJPjSI_NS0_16reverse_iteratorISI_EEEEENSH_IJSG_SG_SG_EEES9_SI_JZNS1_25segmented_radix_sort_implINS0_14default_configELb0EPKfPfPKlPlN2at6native12_GLOBAL__N_18offset_tEEE10hipError_tPvRmT1_PNSt15iterator_traitsIS12_E10value_typeET2_T3_PNS13_IS18_E10value_typeET4_jRbjT5_S1E_jjP12ihipStream_tbEUljE_ZNSN_ISO_Lb0ESQ_SR_ST_SU_SY_EESZ_S10_S11_S12_S16_S17_S18_S1B_S1C_jS1D_jS1E_S1E_jjS1G_bEUljE0_EEESZ_S10_S11_S18_S1C_S1E_T6_T7_T9_mT8_S1G_bDpT10_ENKUlT_T0_E_clISt17integral_constantIbLb1EES1T_IbLb0EEEEDaS1P_S1Q_EUlS1P_E_NS1_11comp_targetILNS1_3genE0ELNS1_11target_archE4294967295ELNS1_3gpuE0ELNS1_3repE0EEENS1_30default_config_static_selectorELNS0_4arch9wavefront6targetE0EEEvS12_,@function
_ZN7rocprim17ROCPRIM_400000_NS6detail17trampoline_kernelINS0_13select_configILj256ELj13ELNS0_17block_load_methodE3ELS4_3ELS4_3ELNS0_20block_scan_algorithmE0ELj4294967295EEENS1_25partition_config_selectorILNS1_17partition_subalgoE4EjNS0_10empty_typeEbEEZZNS1_14partition_implILS8_4ELb0ES6_15HIP_vector_typeIjLj2EENS0_17counting_iteratorIjlEEPS9_SG_NS0_5tupleIJPjSI_NS0_16reverse_iteratorISI_EEEEENSH_IJSG_SG_SG_EEES9_SI_JZNS1_25segmented_radix_sort_implINS0_14default_configELb0EPKfPfPKlPlN2at6native12_GLOBAL__N_18offset_tEEE10hipError_tPvRmT1_PNSt15iterator_traitsIS12_E10value_typeET2_T3_PNS13_IS18_E10value_typeET4_jRbjT5_S1E_jjP12ihipStream_tbEUljE_ZNSN_ISO_Lb0ESQ_SR_ST_SU_SY_EESZ_S10_S11_S12_S16_S17_S18_S1B_S1C_jS1D_jS1E_S1E_jjS1G_bEUljE0_EEESZ_S10_S11_S18_S1C_S1E_T6_T7_T9_mT8_S1G_bDpT10_ENKUlT_T0_E_clISt17integral_constantIbLb1EES1T_IbLb0EEEEDaS1P_S1Q_EUlS1P_E_NS1_11comp_targetILNS1_3genE0ELNS1_11target_archE4294967295ELNS1_3gpuE0ELNS1_3repE0EEENS1_30default_config_static_selectorELNS0_4arch9wavefront6targetE0EEEvS12_: ; @_ZN7rocprim17ROCPRIM_400000_NS6detail17trampoline_kernelINS0_13select_configILj256ELj13ELNS0_17block_load_methodE3ELS4_3ELS4_3ELNS0_20block_scan_algorithmE0ELj4294967295EEENS1_25partition_config_selectorILNS1_17partition_subalgoE4EjNS0_10empty_typeEbEEZZNS1_14partition_implILS8_4ELb0ES6_15HIP_vector_typeIjLj2EENS0_17counting_iteratorIjlEEPS9_SG_NS0_5tupleIJPjSI_NS0_16reverse_iteratorISI_EEEEENSH_IJSG_SG_SG_EEES9_SI_JZNS1_25segmented_radix_sort_implINS0_14default_configELb0EPKfPfPKlPlN2at6native12_GLOBAL__N_18offset_tEEE10hipError_tPvRmT1_PNSt15iterator_traitsIS12_E10value_typeET2_T3_PNS13_IS18_E10value_typeET4_jRbjT5_S1E_jjP12ihipStream_tbEUljE_ZNSN_ISO_Lb0ESQ_SR_ST_SU_SY_EESZ_S10_S11_S12_S16_S17_S18_S1B_S1C_jS1D_jS1E_S1E_jjS1G_bEUljE0_EEESZ_S10_S11_S18_S1C_S1E_T6_T7_T9_mT8_S1G_bDpT10_ENKUlT_T0_E_clISt17integral_constantIbLb1EES1T_IbLb0EEEEDaS1P_S1Q_EUlS1P_E_NS1_11comp_targetILNS1_3genE0ELNS1_11target_archE4294967295ELNS1_3gpuE0ELNS1_3repE0EEENS1_30default_config_static_selectorELNS0_4arch9wavefront6targetE0EEEvS12_
; %bb.0:
	.section	.rodata,"a",@progbits
	.p2align	6, 0x0
	.amdhsa_kernel _ZN7rocprim17ROCPRIM_400000_NS6detail17trampoline_kernelINS0_13select_configILj256ELj13ELNS0_17block_load_methodE3ELS4_3ELS4_3ELNS0_20block_scan_algorithmE0ELj4294967295EEENS1_25partition_config_selectorILNS1_17partition_subalgoE4EjNS0_10empty_typeEbEEZZNS1_14partition_implILS8_4ELb0ES6_15HIP_vector_typeIjLj2EENS0_17counting_iteratorIjlEEPS9_SG_NS0_5tupleIJPjSI_NS0_16reverse_iteratorISI_EEEEENSH_IJSG_SG_SG_EEES9_SI_JZNS1_25segmented_radix_sort_implINS0_14default_configELb0EPKfPfPKlPlN2at6native12_GLOBAL__N_18offset_tEEE10hipError_tPvRmT1_PNSt15iterator_traitsIS12_E10value_typeET2_T3_PNS13_IS18_E10value_typeET4_jRbjT5_S1E_jjP12ihipStream_tbEUljE_ZNSN_ISO_Lb0ESQ_SR_ST_SU_SY_EESZ_S10_S11_S12_S16_S17_S18_S1B_S1C_jS1D_jS1E_S1E_jjS1G_bEUljE0_EEESZ_S10_S11_S18_S1C_S1E_T6_T7_T9_mT8_S1G_bDpT10_ENKUlT_T0_E_clISt17integral_constantIbLb1EES1T_IbLb0EEEEDaS1P_S1Q_EUlS1P_E_NS1_11comp_targetILNS1_3genE0ELNS1_11target_archE4294967295ELNS1_3gpuE0ELNS1_3repE0EEENS1_30default_config_static_selectorELNS0_4arch9wavefront6targetE0EEEvS12_
		.amdhsa_group_segment_fixed_size 0
		.amdhsa_private_segment_fixed_size 0
		.amdhsa_kernarg_size 176
		.amdhsa_user_sgpr_count 2
		.amdhsa_user_sgpr_dispatch_ptr 0
		.amdhsa_user_sgpr_queue_ptr 0
		.amdhsa_user_sgpr_kernarg_segment_ptr 1
		.amdhsa_user_sgpr_dispatch_id 0
		.amdhsa_user_sgpr_private_segment_size 0
		.amdhsa_wavefront_size32 1
		.amdhsa_uses_dynamic_stack 0
		.amdhsa_enable_private_segment 0
		.amdhsa_system_sgpr_workgroup_id_x 1
		.amdhsa_system_sgpr_workgroup_id_y 0
		.amdhsa_system_sgpr_workgroup_id_z 0
		.amdhsa_system_sgpr_workgroup_info 0
		.amdhsa_system_vgpr_workitem_id 0
		.amdhsa_next_free_vgpr 1
		.amdhsa_next_free_sgpr 1
		.amdhsa_reserve_vcc 0
		.amdhsa_float_round_mode_32 0
		.amdhsa_float_round_mode_16_64 0
		.amdhsa_float_denorm_mode_32 3
		.amdhsa_float_denorm_mode_16_64 3
		.amdhsa_fp16_overflow 0
		.amdhsa_workgroup_processor_mode 1
		.amdhsa_memory_ordered 1
		.amdhsa_forward_progress 1
		.amdhsa_inst_pref_size 0
		.amdhsa_round_robin_scheduling 0
		.amdhsa_exception_fp_ieee_invalid_op 0
		.amdhsa_exception_fp_denorm_src 0
		.amdhsa_exception_fp_ieee_div_zero 0
		.amdhsa_exception_fp_ieee_overflow 0
		.amdhsa_exception_fp_ieee_underflow 0
		.amdhsa_exception_fp_ieee_inexact 0
		.amdhsa_exception_int_div_zero 0
	.end_amdhsa_kernel
	.section	.text._ZN7rocprim17ROCPRIM_400000_NS6detail17trampoline_kernelINS0_13select_configILj256ELj13ELNS0_17block_load_methodE3ELS4_3ELS4_3ELNS0_20block_scan_algorithmE0ELj4294967295EEENS1_25partition_config_selectorILNS1_17partition_subalgoE4EjNS0_10empty_typeEbEEZZNS1_14partition_implILS8_4ELb0ES6_15HIP_vector_typeIjLj2EENS0_17counting_iteratorIjlEEPS9_SG_NS0_5tupleIJPjSI_NS0_16reverse_iteratorISI_EEEEENSH_IJSG_SG_SG_EEES9_SI_JZNS1_25segmented_radix_sort_implINS0_14default_configELb0EPKfPfPKlPlN2at6native12_GLOBAL__N_18offset_tEEE10hipError_tPvRmT1_PNSt15iterator_traitsIS12_E10value_typeET2_T3_PNS13_IS18_E10value_typeET4_jRbjT5_S1E_jjP12ihipStream_tbEUljE_ZNSN_ISO_Lb0ESQ_SR_ST_SU_SY_EESZ_S10_S11_S12_S16_S17_S18_S1B_S1C_jS1D_jS1E_S1E_jjS1G_bEUljE0_EEESZ_S10_S11_S18_S1C_S1E_T6_T7_T9_mT8_S1G_bDpT10_ENKUlT_T0_E_clISt17integral_constantIbLb1EES1T_IbLb0EEEEDaS1P_S1Q_EUlS1P_E_NS1_11comp_targetILNS1_3genE0ELNS1_11target_archE4294967295ELNS1_3gpuE0ELNS1_3repE0EEENS1_30default_config_static_selectorELNS0_4arch9wavefront6targetE0EEEvS12_,"axG",@progbits,_ZN7rocprim17ROCPRIM_400000_NS6detail17trampoline_kernelINS0_13select_configILj256ELj13ELNS0_17block_load_methodE3ELS4_3ELS4_3ELNS0_20block_scan_algorithmE0ELj4294967295EEENS1_25partition_config_selectorILNS1_17partition_subalgoE4EjNS0_10empty_typeEbEEZZNS1_14partition_implILS8_4ELb0ES6_15HIP_vector_typeIjLj2EENS0_17counting_iteratorIjlEEPS9_SG_NS0_5tupleIJPjSI_NS0_16reverse_iteratorISI_EEEEENSH_IJSG_SG_SG_EEES9_SI_JZNS1_25segmented_radix_sort_implINS0_14default_configELb0EPKfPfPKlPlN2at6native12_GLOBAL__N_18offset_tEEE10hipError_tPvRmT1_PNSt15iterator_traitsIS12_E10value_typeET2_T3_PNS13_IS18_E10value_typeET4_jRbjT5_S1E_jjP12ihipStream_tbEUljE_ZNSN_ISO_Lb0ESQ_SR_ST_SU_SY_EESZ_S10_S11_S12_S16_S17_S18_S1B_S1C_jS1D_jS1E_S1E_jjS1G_bEUljE0_EEESZ_S10_S11_S18_S1C_S1E_T6_T7_T9_mT8_S1G_bDpT10_ENKUlT_T0_E_clISt17integral_constantIbLb1EES1T_IbLb0EEEEDaS1P_S1Q_EUlS1P_E_NS1_11comp_targetILNS1_3genE0ELNS1_11target_archE4294967295ELNS1_3gpuE0ELNS1_3repE0EEENS1_30default_config_static_selectorELNS0_4arch9wavefront6targetE0EEEvS12_,comdat
.Lfunc_end1380:
	.size	_ZN7rocprim17ROCPRIM_400000_NS6detail17trampoline_kernelINS0_13select_configILj256ELj13ELNS0_17block_load_methodE3ELS4_3ELS4_3ELNS0_20block_scan_algorithmE0ELj4294967295EEENS1_25partition_config_selectorILNS1_17partition_subalgoE4EjNS0_10empty_typeEbEEZZNS1_14partition_implILS8_4ELb0ES6_15HIP_vector_typeIjLj2EENS0_17counting_iteratorIjlEEPS9_SG_NS0_5tupleIJPjSI_NS0_16reverse_iteratorISI_EEEEENSH_IJSG_SG_SG_EEES9_SI_JZNS1_25segmented_radix_sort_implINS0_14default_configELb0EPKfPfPKlPlN2at6native12_GLOBAL__N_18offset_tEEE10hipError_tPvRmT1_PNSt15iterator_traitsIS12_E10value_typeET2_T3_PNS13_IS18_E10value_typeET4_jRbjT5_S1E_jjP12ihipStream_tbEUljE_ZNSN_ISO_Lb0ESQ_SR_ST_SU_SY_EESZ_S10_S11_S12_S16_S17_S18_S1B_S1C_jS1D_jS1E_S1E_jjS1G_bEUljE0_EEESZ_S10_S11_S18_S1C_S1E_T6_T7_T9_mT8_S1G_bDpT10_ENKUlT_T0_E_clISt17integral_constantIbLb1EES1T_IbLb0EEEEDaS1P_S1Q_EUlS1P_E_NS1_11comp_targetILNS1_3genE0ELNS1_11target_archE4294967295ELNS1_3gpuE0ELNS1_3repE0EEENS1_30default_config_static_selectorELNS0_4arch9wavefront6targetE0EEEvS12_, .Lfunc_end1380-_ZN7rocprim17ROCPRIM_400000_NS6detail17trampoline_kernelINS0_13select_configILj256ELj13ELNS0_17block_load_methodE3ELS4_3ELS4_3ELNS0_20block_scan_algorithmE0ELj4294967295EEENS1_25partition_config_selectorILNS1_17partition_subalgoE4EjNS0_10empty_typeEbEEZZNS1_14partition_implILS8_4ELb0ES6_15HIP_vector_typeIjLj2EENS0_17counting_iteratorIjlEEPS9_SG_NS0_5tupleIJPjSI_NS0_16reverse_iteratorISI_EEEEENSH_IJSG_SG_SG_EEES9_SI_JZNS1_25segmented_radix_sort_implINS0_14default_configELb0EPKfPfPKlPlN2at6native12_GLOBAL__N_18offset_tEEE10hipError_tPvRmT1_PNSt15iterator_traitsIS12_E10value_typeET2_T3_PNS13_IS18_E10value_typeET4_jRbjT5_S1E_jjP12ihipStream_tbEUljE_ZNSN_ISO_Lb0ESQ_SR_ST_SU_SY_EESZ_S10_S11_S12_S16_S17_S18_S1B_S1C_jS1D_jS1E_S1E_jjS1G_bEUljE0_EEESZ_S10_S11_S18_S1C_S1E_T6_T7_T9_mT8_S1G_bDpT10_ENKUlT_T0_E_clISt17integral_constantIbLb1EES1T_IbLb0EEEEDaS1P_S1Q_EUlS1P_E_NS1_11comp_targetILNS1_3genE0ELNS1_11target_archE4294967295ELNS1_3gpuE0ELNS1_3repE0EEENS1_30default_config_static_selectorELNS0_4arch9wavefront6targetE0EEEvS12_
                                        ; -- End function
	.set _ZN7rocprim17ROCPRIM_400000_NS6detail17trampoline_kernelINS0_13select_configILj256ELj13ELNS0_17block_load_methodE3ELS4_3ELS4_3ELNS0_20block_scan_algorithmE0ELj4294967295EEENS1_25partition_config_selectorILNS1_17partition_subalgoE4EjNS0_10empty_typeEbEEZZNS1_14partition_implILS8_4ELb0ES6_15HIP_vector_typeIjLj2EENS0_17counting_iteratorIjlEEPS9_SG_NS0_5tupleIJPjSI_NS0_16reverse_iteratorISI_EEEEENSH_IJSG_SG_SG_EEES9_SI_JZNS1_25segmented_radix_sort_implINS0_14default_configELb0EPKfPfPKlPlN2at6native12_GLOBAL__N_18offset_tEEE10hipError_tPvRmT1_PNSt15iterator_traitsIS12_E10value_typeET2_T3_PNS13_IS18_E10value_typeET4_jRbjT5_S1E_jjP12ihipStream_tbEUljE_ZNSN_ISO_Lb0ESQ_SR_ST_SU_SY_EESZ_S10_S11_S12_S16_S17_S18_S1B_S1C_jS1D_jS1E_S1E_jjS1G_bEUljE0_EEESZ_S10_S11_S18_S1C_S1E_T6_T7_T9_mT8_S1G_bDpT10_ENKUlT_T0_E_clISt17integral_constantIbLb1EES1T_IbLb0EEEEDaS1P_S1Q_EUlS1P_E_NS1_11comp_targetILNS1_3genE0ELNS1_11target_archE4294967295ELNS1_3gpuE0ELNS1_3repE0EEENS1_30default_config_static_selectorELNS0_4arch9wavefront6targetE0EEEvS12_.num_vgpr, 0
	.set _ZN7rocprim17ROCPRIM_400000_NS6detail17trampoline_kernelINS0_13select_configILj256ELj13ELNS0_17block_load_methodE3ELS4_3ELS4_3ELNS0_20block_scan_algorithmE0ELj4294967295EEENS1_25partition_config_selectorILNS1_17partition_subalgoE4EjNS0_10empty_typeEbEEZZNS1_14partition_implILS8_4ELb0ES6_15HIP_vector_typeIjLj2EENS0_17counting_iteratorIjlEEPS9_SG_NS0_5tupleIJPjSI_NS0_16reverse_iteratorISI_EEEEENSH_IJSG_SG_SG_EEES9_SI_JZNS1_25segmented_radix_sort_implINS0_14default_configELb0EPKfPfPKlPlN2at6native12_GLOBAL__N_18offset_tEEE10hipError_tPvRmT1_PNSt15iterator_traitsIS12_E10value_typeET2_T3_PNS13_IS18_E10value_typeET4_jRbjT5_S1E_jjP12ihipStream_tbEUljE_ZNSN_ISO_Lb0ESQ_SR_ST_SU_SY_EESZ_S10_S11_S12_S16_S17_S18_S1B_S1C_jS1D_jS1E_S1E_jjS1G_bEUljE0_EEESZ_S10_S11_S18_S1C_S1E_T6_T7_T9_mT8_S1G_bDpT10_ENKUlT_T0_E_clISt17integral_constantIbLb1EES1T_IbLb0EEEEDaS1P_S1Q_EUlS1P_E_NS1_11comp_targetILNS1_3genE0ELNS1_11target_archE4294967295ELNS1_3gpuE0ELNS1_3repE0EEENS1_30default_config_static_selectorELNS0_4arch9wavefront6targetE0EEEvS12_.num_agpr, 0
	.set _ZN7rocprim17ROCPRIM_400000_NS6detail17trampoline_kernelINS0_13select_configILj256ELj13ELNS0_17block_load_methodE3ELS4_3ELS4_3ELNS0_20block_scan_algorithmE0ELj4294967295EEENS1_25partition_config_selectorILNS1_17partition_subalgoE4EjNS0_10empty_typeEbEEZZNS1_14partition_implILS8_4ELb0ES6_15HIP_vector_typeIjLj2EENS0_17counting_iteratorIjlEEPS9_SG_NS0_5tupleIJPjSI_NS0_16reverse_iteratorISI_EEEEENSH_IJSG_SG_SG_EEES9_SI_JZNS1_25segmented_radix_sort_implINS0_14default_configELb0EPKfPfPKlPlN2at6native12_GLOBAL__N_18offset_tEEE10hipError_tPvRmT1_PNSt15iterator_traitsIS12_E10value_typeET2_T3_PNS13_IS18_E10value_typeET4_jRbjT5_S1E_jjP12ihipStream_tbEUljE_ZNSN_ISO_Lb0ESQ_SR_ST_SU_SY_EESZ_S10_S11_S12_S16_S17_S18_S1B_S1C_jS1D_jS1E_S1E_jjS1G_bEUljE0_EEESZ_S10_S11_S18_S1C_S1E_T6_T7_T9_mT8_S1G_bDpT10_ENKUlT_T0_E_clISt17integral_constantIbLb1EES1T_IbLb0EEEEDaS1P_S1Q_EUlS1P_E_NS1_11comp_targetILNS1_3genE0ELNS1_11target_archE4294967295ELNS1_3gpuE0ELNS1_3repE0EEENS1_30default_config_static_selectorELNS0_4arch9wavefront6targetE0EEEvS12_.numbered_sgpr, 0
	.set _ZN7rocprim17ROCPRIM_400000_NS6detail17trampoline_kernelINS0_13select_configILj256ELj13ELNS0_17block_load_methodE3ELS4_3ELS4_3ELNS0_20block_scan_algorithmE0ELj4294967295EEENS1_25partition_config_selectorILNS1_17partition_subalgoE4EjNS0_10empty_typeEbEEZZNS1_14partition_implILS8_4ELb0ES6_15HIP_vector_typeIjLj2EENS0_17counting_iteratorIjlEEPS9_SG_NS0_5tupleIJPjSI_NS0_16reverse_iteratorISI_EEEEENSH_IJSG_SG_SG_EEES9_SI_JZNS1_25segmented_radix_sort_implINS0_14default_configELb0EPKfPfPKlPlN2at6native12_GLOBAL__N_18offset_tEEE10hipError_tPvRmT1_PNSt15iterator_traitsIS12_E10value_typeET2_T3_PNS13_IS18_E10value_typeET4_jRbjT5_S1E_jjP12ihipStream_tbEUljE_ZNSN_ISO_Lb0ESQ_SR_ST_SU_SY_EESZ_S10_S11_S12_S16_S17_S18_S1B_S1C_jS1D_jS1E_S1E_jjS1G_bEUljE0_EEESZ_S10_S11_S18_S1C_S1E_T6_T7_T9_mT8_S1G_bDpT10_ENKUlT_T0_E_clISt17integral_constantIbLb1EES1T_IbLb0EEEEDaS1P_S1Q_EUlS1P_E_NS1_11comp_targetILNS1_3genE0ELNS1_11target_archE4294967295ELNS1_3gpuE0ELNS1_3repE0EEENS1_30default_config_static_selectorELNS0_4arch9wavefront6targetE0EEEvS12_.num_named_barrier, 0
	.set _ZN7rocprim17ROCPRIM_400000_NS6detail17trampoline_kernelINS0_13select_configILj256ELj13ELNS0_17block_load_methodE3ELS4_3ELS4_3ELNS0_20block_scan_algorithmE0ELj4294967295EEENS1_25partition_config_selectorILNS1_17partition_subalgoE4EjNS0_10empty_typeEbEEZZNS1_14partition_implILS8_4ELb0ES6_15HIP_vector_typeIjLj2EENS0_17counting_iteratorIjlEEPS9_SG_NS0_5tupleIJPjSI_NS0_16reverse_iteratorISI_EEEEENSH_IJSG_SG_SG_EEES9_SI_JZNS1_25segmented_radix_sort_implINS0_14default_configELb0EPKfPfPKlPlN2at6native12_GLOBAL__N_18offset_tEEE10hipError_tPvRmT1_PNSt15iterator_traitsIS12_E10value_typeET2_T3_PNS13_IS18_E10value_typeET4_jRbjT5_S1E_jjP12ihipStream_tbEUljE_ZNSN_ISO_Lb0ESQ_SR_ST_SU_SY_EESZ_S10_S11_S12_S16_S17_S18_S1B_S1C_jS1D_jS1E_S1E_jjS1G_bEUljE0_EEESZ_S10_S11_S18_S1C_S1E_T6_T7_T9_mT8_S1G_bDpT10_ENKUlT_T0_E_clISt17integral_constantIbLb1EES1T_IbLb0EEEEDaS1P_S1Q_EUlS1P_E_NS1_11comp_targetILNS1_3genE0ELNS1_11target_archE4294967295ELNS1_3gpuE0ELNS1_3repE0EEENS1_30default_config_static_selectorELNS0_4arch9wavefront6targetE0EEEvS12_.private_seg_size, 0
	.set _ZN7rocprim17ROCPRIM_400000_NS6detail17trampoline_kernelINS0_13select_configILj256ELj13ELNS0_17block_load_methodE3ELS4_3ELS4_3ELNS0_20block_scan_algorithmE0ELj4294967295EEENS1_25partition_config_selectorILNS1_17partition_subalgoE4EjNS0_10empty_typeEbEEZZNS1_14partition_implILS8_4ELb0ES6_15HIP_vector_typeIjLj2EENS0_17counting_iteratorIjlEEPS9_SG_NS0_5tupleIJPjSI_NS0_16reverse_iteratorISI_EEEEENSH_IJSG_SG_SG_EEES9_SI_JZNS1_25segmented_radix_sort_implINS0_14default_configELb0EPKfPfPKlPlN2at6native12_GLOBAL__N_18offset_tEEE10hipError_tPvRmT1_PNSt15iterator_traitsIS12_E10value_typeET2_T3_PNS13_IS18_E10value_typeET4_jRbjT5_S1E_jjP12ihipStream_tbEUljE_ZNSN_ISO_Lb0ESQ_SR_ST_SU_SY_EESZ_S10_S11_S12_S16_S17_S18_S1B_S1C_jS1D_jS1E_S1E_jjS1G_bEUljE0_EEESZ_S10_S11_S18_S1C_S1E_T6_T7_T9_mT8_S1G_bDpT10_ENKUlT_T0_E_clISt17integral_constantIbLb1EES1T_IbLb0EEEEDaS1P_S1Q_EUlS1P_E_NS1_11comp_targetILNS1_3genE0ELNS1_11target_archE4294967295ELNS1_3gpuE0ELNS1_3repE0EEENS1_30default_config_static_selectorELNS0_4arch9wavefront6targetE0EEEvS12_.uses_vcc, 0
	.set _ZN7rocprim17ROCPRIM_400000_NS6detail17trampoline_kernelINS0_13select_configILj256ELj13ELNS0_17block_load_methodE3ELS4_3ELS4_3ELNS0_20block_scan_algorithmE0ELj4294967295EEENS1_25partition_config_selectorILNS1_17partition_subalgoE4EjNS0_10empty_typeEbEEZZNS1_14partition_implILS8_4ELb0ES6_15HIP_vector_typeIjLj2EENS0_17counting_iteratorIjlEEPS9_SG_NS0_5tupleIJPjSI_NS0_16reverse_iteratorISI_EEEEENSH_IJSG_SG_SG_EEES9_SI_JZNS1_25segmented_radix_sort_implINS0_14default_configELb0EPKfPfPKlPlN2at6native12_GLOBAL__N_18offset_tEEE10hipError_tPvRmT1_PNSt15iterator_traitsIS12_E10value_typeET2_T3_PNS13_IS18_E10value_typeET4_jRbjT5_S1E_jjP12ihipStream_tbEUljE_ZNSN_ISO_Lb0ESQ_SR_ST_SU_SY_EESZ_S10_S11_S12_S16_S17_S18_S1B_S1C_jS1D_jS1E_S1E_jjS1G_bEUljE0_EEESZ_S10_S11_S18_S1C_S1E_T6_T7_T9_mT8_S1G_bDpT10_ENKUlT_T0_E_clISt17integral_constantIbLb1EES1T_IbLb0EEEEDaS1P_S1Q_EUlS1P_E_NS1_11comp_targetILNS1_3genE0ELNS1_11target_archE4294967295ELNS1_3gpuE0ELNS1_3repE0EEENS1_30default_config_static_selectorELNS0_4arch9wavefront6targetE0EEEvS12_.uses_flat_scratch, 0
	.set _ZN7rocprim17ROCPRIM_400000_NS6detail17trampoline_kernelINS0_13select_configILj256ELj13ELNS0_17block_load_methodE3ELS4_3ELS4_3ELNS0_20block_scan_algorithmE0ELj4294967295EEENS1_25partition_config_selectorILNS1_17partition_subalgoE4EjNS0_10empty_typeEbEEZZNS1_14partition_implILS8_4ELb0ES6_15HIP_vector_typeIjLj2EENS0_17counting_iteratorIjlEEPS9_SG_NS0_5tupleIJPjSI_NS0_16reverse_iteratorISI_EEEEENSH_IJSG_SG_SG_EEES9_SI_JZNS1_25segmented_radix_sort_implINS0_14default_configELb0EPKfPfPKlPlN2at6native12_GLOBAL__N_18offset_tEEE10hipError_tPvRmT1_PNSt15iterator_traitsIS12_E10value_typeET2_T3_PNS13_IS18_E10value_typeET4_jRbjT5_S1E_jjP12ihipStream_tbEUljE_ZNSN_ISO_Lb0ESQ_SR_ST_SU_SY_EESZ_S10_S11_S12_S16_S17_S18_S1B_S1C_jS1D_jS1E_S1E_jjS1G_bEUljE0_EEESZ_S10_S11_S18_S1C_S1E_T6_T7_T9_mT8_S1G_bDpT10_ENKUlT_T0_E_clISt17integral_constantIbLb1EES1T_IbLb0EEEEDaS1P_S1Q_EUlS1P_E_NS1_11comp_targetILNS1_3genE0ELNS1_11target_archE4294967295ELNS1_3gpuE0ELNS1_3repE0EEENS1_30default_config_static_selectorELNS0_4arch9wavefront6targetE0EEEvS12_.has_dyn_sized_stack, 0
	.set _ZN7rocprim17ROCPRIM_400000_NS6detail17trampoline_kernelINS0_13select_configILj256ELj13ELNS0_17block_load_methodE3ELS4_3ELS4_3ELNS0_20block_scan_algorithmE0ELj4294967295EEENS1_25partition_config_selectorILNS1_17partition_subalgoE4EjNS0_10empty_typeEbEEZZNS1_14partition_implILS8_4ELb0ES6_15HIP_vector_typeIjLj2EENS0_17counting_iteratorIjlEEPS9_SG_NS0_5tupleIJPjSI_NS0_16reverse_iteratorISI_EEEEENSH_IJSG_SG_SG_EEES9_SI_JZNS1_25segmented_radix_sort_implINS0_14default_configELb0EPKfPfPKlPlN2at6native12_GLOBAL__N_18offset_tEEE10hipError_tPvRmT1_PNSt15iterator_traitsIS12_E10value_typeET2_T3_PNS13_IS18_E10value_typeET4_jRbjT5_S1E_jjP12ihipStream_tbEUljE_ZNSN_ISO_Lb0ESQ_SR_ST_SU_SY_EESZ_S10_S11_S12_S16_S17_S18_S1B_S1C_jS1D_jS1E_S1E_jjS1G_bEUljE0_EEESZ_S10_S11_S18_S1C_S1E_T6_T7_T9_mT8_S1G_bDpT10_ENKUlT_T0_E_clISt17integral_constantIbLb1EES1T_IbLb0EEEEDaS1P_S1Q_EUlS1P_E_NS1_11comp_targetILNS1_3genE0ELNS1_11target_archE4294967295ELNS1_3gpuE0ELNS1_3repE0EEENS1_30default_config_static_selectorELNS0_4arch9wavefront6targetE0EEEvS12_.has_recursion, 0
	.set _ZN7rocprim17ROCPRIM_400000_NS6detail17trampoline_kernelINS0_13select_configILj256ELj13ELNS0_17block_load_methodE3ELS4_3ELS4_3ELNS0_20block_scan_algorithmE0ELj4294967295EEENS1_25partition_config_selectorILNS1_17partition_subalgoE4EjNS0_10empty_typeEbEEZZNS1_14partition_implILS8_4ELb0ES6_15HIP_vector_typeIjLj2EENS0_17counting_iteratorIjlEEPS9_SG_NS0_5tupleIJPjSI_NS0_16reverse_iteratorISI_EEEEENSH_IJSG_SG_SG_EEES9_SI_JZNS1_25segmented_radix_sort_implINS0_14default_configELb0EPKfPfPKlPlN2at6native12_GLOBAL__N_18offset_tEEE10hipError_tPvRmT1_PNSt15iterator_traitsIS12_E10value_typeET2_T3_PNS13_IS18_E10value_typeET4_jRbjT5_S1E_jjP12ihipStream_tbEUljE_ZNSN_ISO_Lb0ESQ_SR_ST_SU_SY_EESZ_S10_S11_S12_S16_S17_S18_S1B_S1C_jS1D_jS1E_S1E_jjS1G_bEUljE0_EEESZ_S10_S11_S18_S1C_S1E_T6_T7_T9_mT8_S1G_bDpT10_ENKUlT_T0_E_clISt17integral_constantIbLb1EES1T_IbLb0EEEEDaS1P_S1Q_EUlS1P_E_NS1_11comp_targetILNS1_3genE0ELNS1_11target_archE4294967295ELNS1_3gpuE0ELNS1_3repE0EEENS1_30default_config_static_selectorELNS0_4arch9wavefront6targetE0EEEvS12_.has_indirect_call, 0
	.section	.AMDGPU.csdata,"",@progbits
; Kernel info:
; codeLenInByte = 0
; TotalNumSgprs: 0
; NumVgprs: 0
; ScratchSize: 0
; MemoryBound: 0
; FloatMode: 240
; IeeeMode: 1
; LDSByteSize: 0 bytes/workgroup (compile time only)
; SGPRBlocks: 0
; VGPRBlocks: 0
; NumSGPRsForWavesPerEU: 1
; NumVGPRsForWavesPerEU: 1
; Occupancy: 16
; WaveLimiterHint : 0
; COMPUTE_PGM_RSRC2:SCRATCH_EN: 0
; COMPUTE_PGM_RSRC2:USER_SGPR: 2
; COMPUTE_PGM_RSRC2:TRAP_HANDLER: 0
; COMPUTE_PGM_RSRC2:TGID_X_EN: 1
; COMPUTE_PGM_RSRC2:TGID_Y_EN: 0
; COMPUTE_PGM_RSRC2:TGID_Z_EN: 0
; COMPUTE_PGM_RSRC2:TIDIG_COMP_CNT: 0
	.section	.text._ZN7rocprim17ROCPRIM_400000_NS6detail17trampoline_kernelINS0_13select_configILj256ELj13ELNS0_17block_load_methodE3ELS4_3ELS4_3ELNS0_20block_scan_algorithmE0ELj4294967295EEENS1_25partition_config_selectorILNS1_17partition_subalgoE4EjNS0_10empty_typeEbEEZZNS1_14partition_implILS8_4ELb0ES6_15HIP_vector_typeIjLj2EENS0_17counting_iteratorIjlEEPS9_SG_NS0_5tupleIJPjSI_NS0_16reverse_iteratorISI_EEEEENSH_IJSG_SG_SG_EEES9_SI_JZNS1_25segmented_radix_sort_implINS0_14default_configELb0EPKfPfPKlPlN2at6native12_GLOBAL__N_18offset_tEEE10hipError_tPvRmT1_PNSt15iterator_traitsIS12_E10value_typeET2_T3_PNS13_IS18_E10value_typeET4_jRbjT5_S1E_jjP12ihipStream_tbEUljE_ZNSN_ISO_Lb0ESQ_SR_ST_SU_SY_EESZ_S10_S11_S12_S16_S17_S18_S1B_S1C_jS1D_jS1E_S1E_jjS1G_bEUljE0_EEESZ_S10_S11_S18_S1C_S1E_T6_T7_T9_mT8_S1G_bDpT10_ENKUlT_T0_E_clISt17integral_constantIbLb1EES1T_IbLb0EEEEDaS1P_S1Q_EUlS1P_E_NS1_11comp_targetILNS1_3genE5ELNS1_11target_archE942ELNS1_3gpuE9ELNS1_3repE0EEENS1_30default_config_static_selectorELNS0_4arch9wavefront6targetE0EEEvS12_,"axG",@progbits,_ZN7rocprim17ROCPRIM_400000_NS6detail17trampoline_kernelINS0_13select_configILj256ELj13ELNS0_17block_load_methodE3ELS4_3ELS4_3ELNS0_20block_scan_algorithmE0ELj4294967295EEENS1_25partition_config_selectorILNS1_17partition_subalgoE4EjNS0_10empty_typeEbEEZZNS1_14partition_implILS8_4ELb0ES6_15HIP_vector_typeIjLj2EENS0_17counting_iteratorIjlEEPS9_SG_NS0_5tupleIJPjSI_NS0_16reverse_iteratorISI_EEEEENSH_IJSG_SG_SG_EEES9_SI_JZNS1_25segmented_radix_sort_implINS0_14default_configELb0EPKfPfPKlPlN2at6native12_GLOBAL__N_18offset_tEEE10hipError_tPvRmT1_PNSt15iterator_traitsIS12_E10value_typeET2_T3_PNS13_IS18_E10value_typeET4_jRbjT5_S1E_jjP12ihipStream_tbEUljE_ZNSN_ISO_Lb0ESQ_SR_ST_SU_SY_EESZ_S10_S11_S12_S16_S17_S18_S1B_S1C_jS1D_jS1E_S1E_jjS1G_bEUljE0_EEESZ_S10_S11_S18_S1C_S1E_T6_T7_T9_mT8_S1G_bDpT10_ENKUlT_T0_E_clISt17integral_constantIbLb1EES1T_IbLb0EEEEDaS1P_S1Q_EUlS1P_E_NS1_11comp_targetILNS1_3genE5ELNS1_11target_archE942ELNS1_3gpuE9ELNS1_3repE0EEENS1_30default_config_static_selectorELNS0_4arch9wavefront6targetE0EEEvS12_,comdat
	.globl	_ZN7rocprim17ROCPRIM_400000_NS6detail17trampoline_kernelINS0_13select_configILj256ELj13ELNS0_17block_load_methodE3ELS4_3ELS4_3ELNS0_20block_scan_algorithmE0ELj4294967295EEENS1_25partition_config_selectorILNS1_17partition_subalgoE4EjNS0_10empty_typeEbEEZZNS1_14partition_implILS8_4ELb0ES6_15HIP_vector_typeIjLj2EENS0_17counting_iteratorIjlEEPS9_SG_NS0_5tupleIJPjSI_NS0_16reverse_iteratorISI_EEEEENSH_IJSG_SG_SG_EEES9_SI_JZNS1_25segmented_radix_sort_implINS0_14default_configELb0EPKfPfPKlPlN2at6native12_GLOBAL__N_18offset_tEEE10hipError_tPvRmT1_PNSt15iterator_traitsIS12_E10value_typeET2_T3_PNS13_IS18_E10value_typeET4_jRbjT5_S1E_jjP12ihipStream_tbEUljE_ZNSN_ISO_Lb0ESQ_SR_ST_SU_SY_EESZ_S10_S11_S12_S16_S17_S18_S1B_S1C_jS1D_jS1E_S1E_jjS1G_bEUljE0_EEESZ_S10_S11_S18_S1C_S1E_T6_T7_T9_mT8_S1G_bDpT10_ENKUlT_T0_E_clISt17integral_constantIbLb1EES1T_IbLb0EEEEDaS1P_S1Q_EUlS1P_E_NS1_11comp_targetILNS1_3genE5ELNS1_11target_archE942ELNS1_3gpuE9ELNS1_3repE0EEENS1_30default_config_static_selectorELNS0_4arch9wavefront6targetE0EEEvS12_ ; -- Begin function _ZN7rocprim17ROCPRIM_400000_NS6detail17trampoline_kernelINS0_13select_configILj256ELj13ELNS0_17block_load_methodE3ELS4_3ELS4_3ELNS0_20block_scan_algorithmE0ELj4294967295EEENS1_25partition_config_selectorILNS1_17partition_subalgoE4EjNS0_10empty_typeEbEEZZNS1_14partition_implILS8_4ELb0ES6_15HIP_vector_typeIjLj2EENS0_17counting_iteratorIjlEEPS9_SG_NS0_5tupleIJPjSI_NS0_16reverse_iteratorISI_EEEEENSH_IJSG_SG_SG_EEES9_SI_JZNS1_25segmented_radix_sort_implINS0_14default_configELb0EPKfPfPKlPlN2at6native12_GLOBAL__N_18offset_tEEE10hipError_tPvRmT1_PNSt15iterator_traitsIS12_E10value_typeET2_T3_PNS13_IS18_E10value_typeET4_jRbjT5_S1E_jjP12ihipStream_tbEUljE_ZNSN_ISO_Lb0ESQ_SR_ST_SU_SY_EESZ_S10_S11_S12_S16_S17_S18_S1B_S1C_jS1D_jS1E_S1E_jjS1G_bEUljE0_EEESZ_S10_S11_S18_S1C_S1E_T6_T7_T9_mT8_S1G_bDpT10_ENKUlT_T0_E_clISt17integral_constantIbLb1EES1T_IbLb0EEEEDaS1P_S1Q_EUlS1P_E_NS1_11comp_targetILNS1_3genE5ELNS1_11target_archE942ELNS1_3gpuE9ELNS1_3repE0EEENS1_30default_config_static_selectorELNS0_4arch9wavefront6targetE0EEEvS12_
	.p2align	8
	.type	_ZN7rocprim17ROCPRIM_400000_NS6detail17trampoline_kernelINS0_13select_configILj256ELj13ELNS0_17block_load_methodE3ELS4_3ELS4_3ELNS0_20block_scan_algorithmE0ELj4294967295EEENS1_25partition_config_selectorILNS1_17partition_subalgoE4EjNS0_10empty_typeEbEEZZNS1_14partition_implILS8_4ELb0ES6_15HIP_vector_typeIjLj2EENS0_17counting_iteratorIjlEEPS9_SG_NS0_5tupleIJPjSI_NS0_16reverse_iteratorISI_EEEEENSH_IJSG_SG_SG_EEES9_SI_JZNS1_25segmented_radix_sort_implINS0_14default_configELb0EPKfPfPKlPlN2at6native12_GLOBAL__N_18offset_tEEE10hipError_tPvRmT1_PNSt15iterator_traitsIS12_E10value_typeET2_T3_PNS13_IS18_E10value_typeET4_jRbjT5_S1E_jjP12ihipStream_tbEUljE_ZNSN_ISO_Lb0ESQ_SR_ST_SU_SY_EESZ_S10_S11_S12_S16_S17_S18_S1B_S1C_jS1D_jS1E_S1E_jjS1G_bEUljE0_EEESZ_S10_S11_S18_S1C_S1E_T6_T7_T9_mT8_S1G_bDpT10_ENKUlT_T0_E_clISt17integral_constantIbLb1EES1T_IbLb0EEEEDaS1P_S1Q_EUlS1P_E_NS1_11comp_targetILNS1_3genE5ELNS1_11target_archE942ELNS1_3gpuE9ELNS1_3repE0EEENS1_30default_config_static_selectorELNS0_4arch9wavefront6targetE0EEEvS12_,@function
_ZN7rocprim17ROCPRIM_400000_NS6detail17trampoline_kernelINS0_13select_configILj256ELj13ELNS0_17block_load_methodE3ELS4_3ELS4_3ELNS0_20block_scan_algorithmE0ELj4294967295EEENS1_25partition_config_selectorILNS1_17partition_subalgoE4EjNS0_10empty_typeEbEEZZNS1_14partition_implILS8_4ELb0ES6_15HIP_vector_typeIjLj2EENS0_17counting_iteratorIjlEEPS9_SG_NS0_5tupleIJPjSI_NS0_16reverse_iteratorISI_EEEEENSH_IJSG_SG_SG_EEES9_SI_JZNS1_25segmented_radix_sort_implINS0_14default_configELb0EPKfPfPKlPlN2at6native12_GLOBAL__N_18offset_tEEE10hipError_tPvRmT1_PNSt15iterator_traitsIS12_E10value_typeET2_T3_PNS13_IS18_E10value_typeET4_jRbjT5_S1E_jjP12ihipStream_tbEUljE_ZNSN_ISO_Lb0ESQ_SR_ST_SU_SY_EESZ_S10_S11_S12_S16_S17_S18_S1B_S1C_jS1D_jS1E_S1E_jjS1G_bEUljE0_EEESZ_S10_S11_S18_S1C_S1E_T6_T7_T9_mT8_S1G_bDpT10_ENKUlT_T0_E_clISt17integral_constantIbLb1EES1T_IbLb0EEEEDaS1P_S1Q_EUlS1P_E_NS1_11comp_targetILNS1_3genE5ELNS1_11target_archE942ELNS1_3gpuE9ELNS1_3repE0EEENS1_30default_config_static_selectorELNS0_4arch9wavefront6targetE0EEEvS12_: ; @_ZN7rocprim17ROCPRIM_400000_NS6detail17trampoline_kernelINS0_13select_configILj256ELj13ELNS0_17block_load_methodE3ELS4_3ELS4_3ELNS0_20block_scan_algorithmE0ELj4294967295EEENS1_25partition_config_selectorILNS1_17partition_subalgoE4EjNS0_10empty_typeEbEEZZNS1_14partition_implILS8_4ELb0ES6_15HIP_vector_typeIjLj2EENS0_17counting_iteratorIjlEEPS9_SG_NS0_5tupleIJPjSI_NS0_16reverse_iteratorISI_EEEEENSH_IJSG_SG_SG_EEES9_SI_JZNS1_25segmented_radix_sort_implINS0_14default_configELb0EPKfPfPKlPlN2at6native12_GLOBAL__N_18offset_tEEE10hipError_tPvRmT1_PNSt15iterator_traitsIS12_E10value_typeET2_T3_PNS13_IS18_E10value_typeET4_jRbjT5_S1E_jjP12ihipStream_tbEUljE_ZNSN_ISO_Lb0ESQ_SR_ST_SU_SY_EESZ_S10_S11_S12_S16_S17_S18_S1B_S1C_jS1D_jS1E_S1E_jjS1G_bEUljE0_EEESZ_S10_S11_S18_S1C_S1E_T6_T7_T9_mT8_S1G_bDpT10_ENKUlT_T0_E_clISt17integral_constantIbLb1EES1T_IbLb0EEEEDaS1P_S1Q_EUlS1P_E_NS1_11comp_targetILNS1_3genE5ELNS1_11target_archE942ELNS1_3gpuE9ELNS1_3repE0EEENS1_30default_config_static_selectorELNS0_4arch9wavefront6targetE0EEEvS12_
; %bb.0:
	.section	.rodata,"a",@progbits
	.p2align	6, 0x0
	.amdhsa_kernel _ZN7rocprim17ROCPRIM_400000_NS6detail17trampoline_kernelINS0_13select_configILj256ELj13ELNS0_17block_load_methodE3ELS4_3ELS4_3ELNS0_20block_scan_algorithmE0ELj4294967295EEENS1_25partition_config_selectorILNS1_17partition_subalgoE4EjNS0_10empty_typeEbEEZZNS1_14partition_implILS8_4ELb0ES6_15HIP_vector_typeIjLj2EENS0_17counting_iteratorIjlEEPS9_SG_NS0_5tupleIJPjSI_NS0_16reverse_iteratorISI_EEEEENSH_IJSG_SG_SG_EEES9_SI_JZNS1_25segmented_radix_sort_implINS0_14default_configELb0EPKfPfPKlPlN2at6native12_GLOBAL__N_18offset_tEEE10hipError_tPvRmT1_PNSt15iterator_traitsIS12_E10value_typeET2_T3_PNS13_IS18_E10value_typeET4_jRbjT5_S1E_jjP12ihipStream_tbEUljE_ZNSN_ISO_Lb0ESQ_SR_ST_SU_SY_EESZ_S10_S11_S12_S16_S17_S18_S1B_S1C_jS1D_jS1E_S1E_jjS1G_bEUljE0_EEESZ_S10_S11_S18_S1C_S1E_T6_T7_T9_mT8_S1G_bDpT10_ENKUlT_T0_E_clISt17integral_constantIbLb1EES1T_IbLb0EEEEDaS1P_S1Q_EUlS1P_E_NS1_11comp_targetILNS1_3genE5ELNS1_11target_archE942ELNS1_3gpuE9ELNS1_3repE0EEENS1_30default_config_static_selectorELNS0_4arch9wavefront6targetE0EEEvS12_
		.amdhsa_group_segment_fixed_size 0
		.amdhsa_private_segment_fixed_size 0
		.amdhsa_kernarg_size 176
		.amdhsa_user_sgpr_count 2
		.amdhsa_user_sgpr_dispatch_ptr 0
		.amdhsa_user_sgpr_queue_ptr 0
		.amdhsa_user_sgpr_kernarg_segment_ptr 1
		.amdhsa_user_sgpr_dispatch_id 0
		.amdhsa_user_sgpr_private_segment_size 0
		.amdhsa_wavefront_size32 1
		.amdhsa_uses_dynamic_stack 0
		.amdhsa_enable_private_segment 0
		.amdhsa_system_sgpr_workgroup_id_x 1
		.amdhsa_system_sgpr_workgroup_id_y 0
		.amdhsa_system_sgpr_workgroup_id_z 0
		.amdhsa_system_sgpr_workgroup_info 0
		.amdhsa_system_vgpr_workitem_id 0
		.amdhsa_next_free_vgpr 1
		.amdhsa_next_free_sgpr 1
		.amdhsa_reserve_vcc 0
		.amdhsa_float_round_mode_32 0
		.amdhsa_float_round_mode_16_64 0
		.amdhsa_float_denorm_mode_32 3
		.amdhsa_float_denorm_mode_16_64 3
		.amdhsa_fp16_overflow 0
		.amdhsa_workgroup_processor_mode 1
		.amdhsa_memory_ordered 1
		.amdhsa_forward_progress 1
		.amdhsa_inst_pref_size 0
		.amdhsa_round_robin_scheduling 0
		.amdhsa_exception_fp_ieee_invalid_op 0
		.amdhsa_exception_fp_denorm_src 0
		.amdhsa_exception_fp_ieee_div_zero 0
		.amdhsa_exception_fp_ieee_overflow 0
		.amdhsa_exception_fp_ieee_underflow 0
		.amdhsa_exception_fp_ieee_inexact 0
		.amdhsa_exception_int_div_zero 0
	.end_amdhsa_kernel
	.section	.text._ZN7rocprim17ROCPRIM_400000_NS6detail17trampoline_kernelINS0_13select_configILj256ELj13ELNS0_17block_load_methodE3ELS4_3ELS4_3ELNS0_20block_scan_algorithmE0ELj4294967295EEENS1_25partition_config_selectorILNS1_17partition_subalgoE4EjNS0_10empty_typeEbEEZZNS1_14partition_implILS8_4ELb0ES6_15HIP_vector_typeIjLj2EENS0_17counting_iteratorIjlEEPS9_SG_NS0_5tupleIJPjSI_NS0_16reverse_iteratorISI_EEEEENSH_IJSG_SG_SG_EEES9_SI_JZNS1_25segmented_radix_sort_implINS0_14default_configELb0EPKfPfPKlPlN2at6native12_GLOBAL__N_18offset_tEEE10hipError_tPvRmT1_PNSt15iterator_traitsIS12_E10value_typeET2_T3_PNS13_IS18_E10value_typeET4_jRbjT5_S1E_jjP12ihipStream_tbEUljE_ZNSN_ISO_Lb0ESQ_SR_ST_SU_SY_EESZ_S10_S11_S12_S16_S17_S18_S1B_S1C_jS1D_jS1E_S1E_jjS1G_bEUljE0_EEESZ_S10_S11_S18_S1C_S1E_T6_T7_T9_mT8_S1G_bDpT10_ENKUlT_T0_E_clISt17integral_constantIbLb1EES1T_IbLb0EEEEDaS1P_S1Q_EUlS1P_E_NS1_11comp_targetILNS1_3genE5ELNS1_11target_archE942ELNS1_3gpuE9ELNS1_3repE0EEENS1_30default_config_static_selectorELNS0_4arch9wavefront6targetE0EEEvS12_,"axG",@progbits,_ZN7rocprim17ROCPRIM_400000_NS6detail17trampoline_kernelINS0_13select_configILj256ELj13ELNS0_17block_load_methodE3ELS4_3ELS4_3ELNS0_20block_scan_algorithmE0ELj4294967295EEENS1_25partition_config_selectorILNS1_17partition_subalgoE4EjNS0_10empty_typeEbEEZZNS1_14partition_implILS8_4ELb0ES6_15HIP_vector_typeIjLj2EENS0_17counting_iteratorIjlEEPS9_SG_NS0_5tupleIJPjSI_NS0_16reverse_iteratorISI_EEEEENSH_IJSG_SG_SG_EEES9_SI_JZNS1_25segmented_radix_sort_implINS0_14default_configELb0EPKfPfPKlPlN2at6native12_GLOBAL__N_18offset_tEEE10hipError_tPvRmT1_PNSt15iterator_traitsIS12_E10value_typeET2_T3_PNS13_IS18_E10value_typeET4_jRbjT5_S1E_jjP12ihipStream_tbEUljE_ZNSN_ISO_Lb0ESQ_SR_ST_SU_SY_EESZ_S10_S11_S12_S16_S17_S18_S1B_S1C_jS1D_jS1E_S1E_jjS1G_bEUljE0_EEESZ_S10_S11_S18_S1C_S1E_T6_T7_T9_mT8_S1G_bDpT10_ENKUlT_T0_E_clISt17integral_constantIbLb1EES1T_IbLb0EEEEDaS1P_S1Q_EUlS1P_E_NS1_11comp_targetILNS1_3genE5ELNS1_11target_archE942ELNS1_3gpuE9ELNS1_3repE0EEENS1_30default_config_static_selectorELNS0_4arch9wavefront6targetE0EEEvS12_,comdat
.Lfunc_end1381:
	.size	_ZN7rocprim17ROCPRIM_400000_NS6detail17trampoline_kernelINS0_13select_configILj256ELj13ELNS0_17block_load_methodE3ELS4_3ELS4_3ELNS0_20block_scan_algorithmE0ELj4294967295EEENS1_25partition_config_selectorILNS1_17partition_subalgoE4EjNS0_10empty_typeEbEEZZNS1_14partition_implILS8_4ELb0ES6_15HIP_vector_typeIjLj2EENS0_17counting_iteratorIjlEEPS9_SG_NS0_5tupleIJPjSI_NS0_16reverse_iteratorISI_EEEEENSH_IJSG_SG_SG_EEES9_SI_JZNS1_25segmented_radix_sort_implINS0_14default_configELb0EPKfPfPKlPlN2at6native12_GLOBAL__N_18offset_tEEE10hipError_tPvRmT1_PNSt15iterator_traitsIS12_E10value_typeET2_T3_PNS13_IS18_E10value_typeET4_jRbjT5_S1E_jjP12ihipStream_tbEUljE_ZNSN_ISO_Lb0ESQ_SR_ST_SU_SY_EESZ_S10_S11_S12_S16_S17_S18_S1B_S1C_jS1D_jS1E_S1E_jjS1G_bEUljE0_EEESZ_S10_S11_S18_S1C_S1E_T6_T7_T9_mT8_S1G_bDpT10_ENKUlT_T0_E_clISt17integral_constantIbLb1EES1T_IbLb0EEEEDaS1P_S1Q_EUlS1P_E_NS1_11comp_targetILNS1_3genE5ELNS1_11target_archE942ELNS1_3gpuE9ELNS1_3repE0EEENS1_30default_config_static_selectorELNS0_4arch9wavefront6targetE0EEEvS12_, .Lfunc_end1381-_ZN7rocprim17ROCPRIM_400000_NS6detail17trampoline_kernelINS0_13select_configILj256ELj13ELNS0_17block_load_methodE3ELS4_3ELS4_3ELNS0_20block_scan_algorithmE0ELj4294967295EEENS1_25partition_config_selectorILNS1_17partition_subalgoE4EjNS0_10empty_typeEbEEZZNS1_14partition_implILS8_4ELb0ES6_15HIP_vector_typeIjLj2EENS0_17counting_iteratorIjlEEPS9_SG_NS0_5tupleIJPjSI_NS0_16reverse_iteratorISI_EEEEENSH_IJSG_SG_SG_EEES9_SI_JZNS1_25segmented_radix_sort_implINS0_14default_configELb0EPKfPfPKlPlN2at6native12_GLOBAL__N_18offset_tEEE10hipError_tPvRmT1_PNSt15iterator_traitsIS12_E10value_typeET2_T3_PNS13_IS18_E10value_typeET4_jRbjT5_S1E_jjP12ihipStream_tbEUljE_ZNSN_ISO_Lb0ESQ_SR_ST_SU_SY_EESZ_S10_S11_S12_S16_S17_S18_S1B_S1C_jS1D_jS1E_S1E_jjS1G_bEUljE0_EEESZ_S10_S11_S18_S1C_S1E_T6_T7_T9_mT8_S1G_bDpT10_ENKUlT_T0_E_clISt17integral_constantIbLb1EES1T_IbLb0EEEEDaS1P_S1Q_EUlS1P_E_NS1_11comp_targetILNS1_3genE5ELNS1_11target_archE942ELNS1_3gpuE9ELNS1_3repE0EEENS1_30default_config_static_selectorELNS0_4arch9wavefront6targetE0EEEvS12_
                                        ; -- End function
	.set _ZN7rocprim17ROCPRIM_400000_NS6detail17trampoline_kernelINS0_13select_configILj256ELj13ELNS0_17block_load_methodE3ELS4_3ELS4_3ELNS0_20block_scan_algorithmE0ELj4294967295EEENS1_25partition_config_selectorILNS1_17partition_subalgoE4EjNS0_10empty_typeEbEEZZNS1_14partition_implILS8_4ELb0ES6_15HIP_vector_typeIjLj2EENS0_17counting_iteratorIjlEEPS9_SG_NS0_5tupleIJPjSI_NS0_16reverse_iteratorISI_EEEEENSH_IJSG_SG_SG_EEES9_SI_JZNS1_25segmented_radix_sort_implINS0_14default_configELb0EPKfPfPKlPlN2at6native12_GLOBAL__N_18offset_tEEE10hipError_tPvRmT1_PNSt15iterator_traitsIS12_E10value_typeET2_T3_PNS13_IS18_E10value_typeET4_jRbjT5_S1E_jjP12ihipStream_tbEUljE_ZNSN_ISO_Lb0ESQ_SR_ST_SU_SY_EESZ_S10_S11_S12_S16_S17_S18_S1B_S1C_jS1D_jS1E_S1E_jjS1G_bEUljE0_EEESZ_S10_S11_S18_S1C_S1E_T6_T7_T9_mT8_S1G_bDpT10_ENKUlT_T0_E_clISt17integral_constantIbLb1EES1T_IbLb0EEEEDaS1P_S1Q_EUlS1P_E_NS1_11comp_targetILNS1_3genE5ELNS1_11target_archE942ELNS1_3gpuE9ELNS1_3repE0EEENS1_30default_config_static_selectorELNS0_4arch9wavefront6targetE0EEEvS12_.num_vgpr, 0
	.set _ZN7rocprim17ROCPRIM_400000_NS6detail17trampoline_kernelINS0_13select_configILj256ELj13ELNS0_17block_load_methodE3ELS4_3ELS4_3ELNS0_20block_scan_algorithmE0ELj4294967295EEENS1_25partition_config_selectorILNS1_17partition_subalgoE4EjNS0_10empty_typeEbEEZZNS1_14partition_implILS8_4ELb0ES6_15HIP_vector_typeIjLj2EENS0_17counting_iteratorIjlEEPS9_SG_NS0_5tupleIJPjSI_NS0_16reverse_iteratorISI_EEEEENSH_IJSG_SG_SG_EEES9_SI_JZNS1_25segmented_radix_sort_implINS0_14default_configELb0EPKfPfPKlPlN2at6native12_GLOBAL__N_18offset_tEEE10hipError_tPvRmT1_PNSt15iterator_traitsIS12_E10value_typeET2_T3_PNS13_IS18_E10value_typeET4_jRbjT5_S1E_jjP12ihipStream_tbEUljE_ZNSN_ISO_Lb0ESQ_SR_ST_SU_SY_EESZ_S10_S11_S12_S16_S17_S18_S1B_S1C_jS1D_jS1E_S1E_jjS1G_bEUljE0_EEESZ_S10_S11_S18_S1C_S1E_T6_T7_T9_mT8_S1G_bDpT10_ENKUlT_T0_E_clISt17integral_constantIbLb1EES1T_IbLb0EEEEDaS1P_S1Q_EUlS1P_E_NS1_11comp_targetILNS1_3genE5ELNS1_11target_archE942ELNS1_3gpuE9ELNS1_3repE0EEENS1_30default_config_static_selectorELNS0_4arch9wavefront6targetE0EEEvS12_.num_agpr, 0
	.set _ZN7rocprim17ROCPRIM_400000_NS6detail17trampoline_kernelINS0_13select_configILj256ELj13ELNS0_17block_load_methodE3ELS4_3ELS4_3ELNS0_20block_scan_algorithmE0ELj4294967295EEENS1_25partition_config_selectorILNS1_17partition_subalgoE4EjNS0_10empty_typeEbEEZZNS1_14partition_implILS8_4ELb0ES6_15HIP_vector_typeIjLj2EENS0_17counting_iteratorIjlEEPS9_SG_NS0_5tupleIJPjSI_NS0_16reverse_iteratorISI_EEEEENSH_IJSG_SG_SG_EEES9_SI_JZNS1_25segmented_radix_sort_implINS0_14default_configELb0EPKfPfPKlPlN2at6native12_GLOBAL__N_18offset_tEEE10hipError_tPvRmT1_PNSt15iterator_traitsIS12_E10value_typeET2_T3_PNS13_IS18_E10value_typeET4_jRbjT5_S1E_jjP12ihipStream_tbEUljE_ZNSN_ISO_Lb0ESQ_SR_ST_SU_SY_EESZ_S10_S11_S12_S16_S17_S18_S1B_S1C_jS1D_jS1E_S1E_jjS1G_bEUljE0_EEESZ_S10_S11_S18_S1C_S1E_T6_T7_T9_mT8_S1G_bDpT10_ENKUlT_T0_E_clISt17integral_constantIbLb1EES1T_IbLb0EEEEDaS1P_S1Q_EUlS1P_E_NS1_11comp_targetILNS1_3genE5ELNS1_11target_archE942ELNS1_3gpuE9ELNS1_3repE0EEENS1_30default_config_static_selectorELNS0_4arch9wavefront6targetE0EEEvS12_.numbered_sgpr, 0
	.set _ZN7rocprim17ROCPRIM_400000_NS6detail17trampoline_kernelINS0_13select_configILj256ELj13ELNS0_17block_load_methodE3ELS4_3ELS4_3ELNS0_20block_scan_algorithmE0ELj4294967295EEENS1_25partition_config_selectorILNS1_17partition_subalgoE4EjNS0_10empty_typeEbEEZZNS1_14partition_implILS8_4ELb0ES6_15HIP_vector_typeIjLj2EENS0_17counting_iteratorIjlEEPS9_SG_NS0_5tupleIJPjSI_NS0_16reverse_iteratorISI_EEEEENSH_IJSG_SG_SG_EEES9_SI_JZNS1_25segmented_radix_sort_implINS0_14default_configELb0EPKfPfPKlPlN2at6native12_GLOBAL__N_18offset_tEEE10hipError_tPvRmT1_PNSt15iterator_traitsIS12_E10value_typeET2_T3_PNS13_IS18_E10value_typeET4_jRbjT5_S1E_jjP12ihipStream_tbEUljE_ZNSN_ISO_Lb0ESQ_SR_ST_SU_SY_EESZ_S10_S11_S12_S16_S17_S18_S1B_S1C_jS1D_jS1E_S1E_jjS1G_bEUljE0_EEESZ_S10_S11_S18_S1C_S1E_T6_T7_T9_mT8_S1G_bDpT10_ENKUlT_T0_E_clISt17integral_constantIbLb1EES1T_IbLb0EEEEDaS1P_S1Q_EUlS1P_E_NS1_11comp_targetILNS1_3genE5ELNS1_11target_archE942ELNS1_3gpuE9ELNS1_3repE0EEENS1_30default_config_static_selectorELNS0_4arch9wavefront6targetE0EEEvS12_.num_named_barrier, 0
	.set _ZN7rocprim17ROCPRIM_400000_NS6detail17trampoline_kernelINS0_13select_configILj256ELj13ELNS0_17block_load_methodE3ELS4_3ELS4_3ELNS0_20block_scan_algorithmE0ELj4294967295EEENS1_25partition_config_selectorILNS1_17partition_subalgoE4EjNS0_10empty_typeEbEEZZNS1_14partition_implILS8_4ELb0ES6_15HIP_vector_typeIjLj2EENS0_17counting_iteratorIjlEEPS9_SG_NS0_5tupleIJPjSI_NS0_16reverse_iteratorISI_EEEEENSH_IJSG_SG_SG_EEES9_SI_JZNS1_25segmented_radix_sort_implINS0_14default_configELb0EPKfPfPKlPlN2at6native12_GLOBAL__N_18offset_tEEE10hipError_tPvRmT1_PNSt15iterator_traitsIS12_E10value_typeET2_T3_PNS13_IS18_E10value_typeET4_jRbjT5_S1E_jjP12ihipStream_tbEUljE_ZNSN_ISO_Lb0ESQ_SR_ST_SU_SY_EESZ_S10_S11_S12_S16_S17_S18_S1B_S1C_jS1D_jS1E_S1E_jjS1G_bEUljE0_EEESZ_S10_S11_S18_S1C_S1E_T6_T7_T9_mT8_S1G_bDpT10_ENKUlT_T0_E_clISt17integral_constantIbLb1EES1T_IbLb0EEEEDaS1P_S1Q_EUlS1P_E_NS1_11comp_targetILNS1_3genE5ELNS1_11target_archE942ELNS1_3gpuE9ELNS1_3repE0EEENS1_30default_config_static_selectorELNS0_4arch9wavefront6targetE0EEEvS12_.private_seg_size, 0
	.set _ZN7rocprim17ROCPRIM_400000_NS6detail17trampoline_kernelINS0_13select_configILj256ELj13ELNS0_17block_load_methodE3ELS4_3ELS4_3ELNS0_20block_scan_algorithmE0ELj4294967295EEENS1_25partition_config_selectorILNS1_17partition_subalgoE4EjNS0_10empty_typeEbEEZZNS1_14partition_implILS8_4ELb0ES6_15HIP_vector_typeIjLj2EENS0_17counting_iteratorIjlEEPS9_SG_NS0_5tupleIJPjSI_NS0_16reverse_iteratorISI_EEEEENSH_IJSG_SG_SG_EEES9_SI_JZNS1_25segmented_radix_sort_implINS0_14default_configELb0EPKfPfPKlPlN2at6native12_GLOBAL__N_18offset_tEEE10hipError_tPvRmT1_PNSt15iterator_traitsIS12_E10value_typeET2_T3_PNS13_IS18_E10value_typeET4_jRbjT5_S1E_jjP12ihipStream_tbEUljE_ZNSN_ISO_Lb0ESQ_SR_ST_SU_SY_EESZ_S10_S11_S12_S16_S17_S18_S1B_S1C_jS1D_jS1E_S1E_jjS1G_bEUljE0_EEESZ_S10_S11_S18_S1C_S1E_T6_T7_T9_mT8_S1G_bDpT10_ENKUlT_T0_E_clISt17integral_constantIbLb1EES1T_IbLb0EEEEDaS1P_S1Q_EUlS1P_E_NS1_11comp_targetILNS1_3genE5ELNS1_11target_archE942ELNS1_3gpuE9ELNS1_3repE0EEENS1_30default_config_static_selectorELNS0_4arch9wavefront6targetE0EEEvS12_.uses_vcc, 0
	.set _ZN7rocprim17ROCPRIM_400000_NS6detail17trampoline_kernelINS0_13select_configILj256ELj13ELNS0_17block_load_methodE3ELS4_3ELS4_3ELNS0_20block_scan_algorithmE0ELj4294967295EEENS1_25partition_config_selectorILNS1_17partition_subalgoE4EjNS0_10empty_typeEbEEZZNS1_14partition_implILS8_4ELb0ES6_15HIP_vector_typeIjLj2EENS0_17counting_iteratorIjlEEPS9_SG_NS0_5tupleIJPjSI_NS0_16reverse_iteratorISI_EEEEENSH_IJSG_SG_SG_EEES9_SI_JZNS1_25segmented_radix_sort_implINS0_14default_configELb0EPKfPfPKlPlN2at6native12_GLOBAL__N_18offset_tEEE10hipError_tPvRmT1_PNSt15iterator_traitsIS12_E10value_typeET2_T3_PNS13_IS18_E10value_typeET4_jRbjT5_S1E_jjP12ihipStream_tbEUljE_ZNSN_ISO_Lb0ESQ_SR_ST_SU_SY_EESZ_S10_S11_S12_S16_S17_S18_S1B_S1C_jS1D_jS1E_S1E_jjS1G_bEUljE0_EEESZ_S10_S11_S18_S1C_S1E_T6_T7_T9_mT8_S1G_bDpT10_ENKUlT_T0_E_clISt17integral_constantIbLb1EES1T_IbLb0EEEEDaS1P_S1Q_EUlS1P_E_NS1_11comp_targetILNS1_3genE5ELNS1_11target_archE942ELNS1_3gpuE9ELNS1_3repE0EEENS1_30default_config_static_selectorELNS0_4arch9wavefront6targetE0EEEvS12_.uses_flat_scratch, 0
	.set _ZN7rocprim17ROCPRIM_400000_NS6detail17trampoline_kernelINS0_13select_configILj256ELj13ELNS0_17block_load_methodE3ELS4_3ELS4_3ELNS0_20block_scan_algorithmE0ELj4294967295EEENS1_25partition_config_selectorILNS1_17partition_subalgoE4EjNS0_10empty_typeEbEEZZNS1_14partition_implILS8_4ELb0ES6_15HIP_vector_typeIjLj2EENS0_17counting_iteratorIjlEEPS9_SG_NS0_5tupleIJPjSI_NS0_16reverse_iteratorISI_EEEEENSH_IJSG_SG_SG_EEES9_SI_JZNS1_25segmented_radix_sort_implINS0_14default_configELb0EPKfPfPKlPlN2at6native12_GLOBAL__N_18offset_tEEE10hipError_tPvRmT1_PNSt15iterator_traitsIS12_E10value_typeET2_T3_PNS13_IS18_E10value_typeET4_jRbjT5_S1E_jjP12ihipStream_tbEUljE_ZNSN_ISO_Lb0ESQ_SR_ST_SU_SY_EESZ_S10_S11_S12_S16_S17_S18_S1B_S1C_jS1D_jS1E_S1E_jjS1G_bEUljE0_EEESZ_S10_S11_S18_S1C_S1E_T6_T7_T9_mT8_S1G_bDpT10_ENKUlT_T0_E_clISt17integral_constantIbLb1EES1T_IbLb0EEEEDaS1P_S1Q_EUlS1P_E_NS1_11comp_targetILNS1_3genE5ELNS1_11target_archE942ELNS1_3gpuE9ELNS1_3repE0EEENS1_30default_config_static_selectorELNS0_4arch9wavefront6targetE0EEEvS12_.has_dyn_sized_stack, 0
	.set _ZN7rocprim17ROCPRIM_400000_NS6detail17trampoline_kernelINS0_13select_configILj256ELj13ELNS0_17block_load_methodE3ELS4_3ELS4_3ELNS0_20block_scan_algorithmE0ELj4294967295EEENS1_25partition_config_selectorILNS1_17partition_subalgoE4EjNS0_10empty_typeEbEEZZNS1_14partition_implILS8_4ELb0ES6_15HIP_vector_typeIjLj2EENS0_17counting_iteratorIjlEEPS9_SG_NS0_5tupleIJPjSI_NS0_16reverse_iteratorISI_EEEEENSH_IJSG_SG_SG_EEES9_SI_JZNS1_25segmented_radix_sort_implINS0_14default_configELb0EPKfPfPKlPlN2at6native12_GLOBAL__N_18offset_tEEE10hipError_tPvRmT1_PNSt15iterator_traitsIS12_E10value_typeET2_T3_PNS13_IS18_E10value_typeET4_jRbjT5_S1E_jjP12ihipStream_tbEUljE_ZNSN_ISO_Lb0ESQ_SR_ST_SU_SY_EESZ_S10_S11_S12_S16_S17_S18_S1B_S1C_jS1D_jS1E_S1E_jjS1G_bEUljE0_EEESZ_S10_S11_S18_S1C_S1E_T6_T7_T9_mT8_S1G_bDpT10_ENKUlT_T0_E_clISt17integral_constantIbLb1EES1T_IbLb0EEEEDaS1P_S1Q_EUlS1P_E_NS1_11comp_targetILNS1_3genE5ELNS1_11target_archE942ELNS1_3gpuE9ELNS1_3repE0EEENS1_30default_config_static_selectorELNS0_4arch9wavefront6targetE0EEEvS12_.has_recursion, 0
	.set _ZN7rocprim17ROCPRIM_400000_NS6detail17trampoline_kernelINS0_13select_configILj256ELj13ELNS0_17block_load_methodE3ELS4_3ELS4_3ELNS0_20block_scan_algorithmE0ELj4294967295EEENS1_25partition_config_selectorILNS1_17partition_subalgoE4EjNS0_10empty_typeEbEEZZNS1_14partition_implILS8_4ELb0ES6_15HIP_vector_typeIjLj2EENS0_17counting_iteratorIjlEEPS9_SG_NS0_5tupleIJPjSI_NS0_16reverse_iteratorISI_EEEEENSH_IJSG_SG_SG_EEES9_SI_JZNS1_25segmented_radix_sort_implINS0_14default_configELb0EPKfPfPKlPlN2at6native12_GLOBAL__N_18offset_tEEE10hipError_tPvRmT1_PNSt15iterator_traitsIS12_E10value_typeET2_T3_PNS13_IS18_E10value_typeET4_jRbjT5_S1E_jjP12ihipStream_tbEUljE_ZNSN_ISO_Lb0ESQ_SR_ST_SU_SY_EESZ_S10_S11_S12_S16_S17_S18_S1B_S1C_jS1D_jS1E_S1E_jjS1G_bEUljE0_EEESZ_S10_S11_S18_S1C_S1E_T6_T7_T9_mT8_S1G_bDpT10_ENKUlT_T0_E_clISt17integral_constantIbLb1EES1T_IbLb0EEEEDaS1P_S1Q_EUlS1P_E_NS1_11comp_targetILNS1_3genE5ELNS1_11target_archE942ELNS1_3gpuE9ELNS1_3repE0EEENS1_30default_config_static_selectorELNS0_4arch9wavefront6targetE0EEEvS12_.has_indirect_call, 0
	.section	.AMDGPU.csdata,"",@progbits
; Kernel info:
; codeLenInByte = 0
; TotalNumSgprs: 0
; NumVgprs: 0
; ScratchSize: 0
; MemoryBound: 0
; FloatMode: 240
; IeeeMode: 1
; LDSByteSize: 0 bytes/workgroup (compile time only)
; SGPRBlocks: 0
; VGPRBlocks: 0
; NumSGPRsForWavesPerEU: 1
; NumVGPRsForWavesPerEU: 1
; Occupancy: 16
; WaveLimiterHint : 0
; COMPUTE_PGM_RSRC2:SCRATCH_EN: 0
; COMPUTE_PGM_RSRC2:USER_SGPR: 2
; COMPUTE_PGM_RSRC2:TRAP_HANDLER: 0
; COMPUTE_PGM_RSRC2:TGID_X_EN: 1
; COMPUTE_PGM_RSRC2:TGID_Y_EN: 0
; COMPUTE_PGM_RSRC2:TGID_Z_EN: 0
; COMPUTE_PGM_RSRC2:TIDIG_COMP_CNT: 0
	.section	.text._ZN7rocprim17ROCPRIM_400000_NS6detail17trampoline_kernelINS0_13select_configILj256ELj13ELNS0_17block_load_methodE3ELS4_3ELS4_3ELNS0_20block_scan_algorithmE0ELj4294967295EEENS1_25partition_config_selectorILNS1_17partition_subalgoE4EjNS0_10empty_typeEbEEZZNS1_14partition_implILS8_4ELb0ES6_15HIP_vector_typeIjLj2EENS0_17counting_iteratorIjlEEPS9_SG_NS0_5tupleIJPjSI_NS0_16reverse_iteratorISI_EEEEENSH_IJSG_SG_SG_EEES9_SI_JZNS1_25segmented_radix_sort_implINS0_14default_configELb0EPKfPfPKlPlN2at6native12_GLOBAL__N_18offset_tEEE10hipError_tPvRmT1_PNSt15iterator_traitsIS12_E10value_typeET2_T3_PNS13_IS18_E10value_typeET4_jRbjT5_S1E_jjP12ihipStream_tbEUljE_ZNSN_ISO_Lb0ESQ_SR_ST_SU_SY_EESZ_S10_S11_S12_S16_S17_S18_S1B_S1C_jS1D_jS1E_S1E_jjS1G_bEUljE0_EEESZ_S10_S11_S18_S1C_S1E_T6_T7_T9_mT8_S1G_bDpT10_ENKUlT_T0_E_clISt17integral_constantIbLb1EES1T_IbLb0EEEEDaS1P_S1Q_EUlS1P_E_NS1_11comp_targetILNS1_3genE4ELNS1_11target_archE910ELNS1_3gpuE8ELNS1_3repE0EEENS1_30default_config_static_selectorELNS0_4arch9wavefront6targetE0EEEvS12_,"axG",@progbits,_ZN7rocprim17ROCPRIM_400000_NS6detail17trampoline_kernelINS0_13select_configILj256ELj13ELNS0_17block_load_methodE3ELS4_3ELS4_3ELNS0_20block_scan_algorithmE0ELj4294967295EEENS1_25partition_config_selectorILNS1_17partition_subalgoE4EjNS0_10empty_typeEbEEZZNS1_14partition_implILS8_4ELb0ES6_15HIP_vector_typeIjLj2EENS0_17counting_iteratorIjlEEPS9_SG_NS0_5tupleIJPjSI_NS0_16reverse_iteratorISI_EEEEENSH_IJSG_SG_SG_EEES9_SI_JZNS1_25segmented_radix_sort_implINS0_14default_configELb0EPKfPfPKlPlN2at6native12_GLOBAL__N_18offset_tEEE10hipError_tPvRmT1_PNSt15iterator_traitsIS12_E10value_typeET2_T3_PNS13_IS18_E10value_typeET4_jRbjT5_S1E_jjP12ihipStream_tbEUljE_ZNSN_ISO_Lb0ESQ_SR_ST_SU_SY_EESZ_S10_S11_S12_S16_S17_S18_S1B_S1C_jS1D_jS1E_S1E_jjS1G_bEUljE0_EEESZ_S10_S11_S18_S1C_S1E_T6_T7_T9_mT8_S1G_bDpT10_ENKUlT_T0_E_clISt17integral_constantIbLb1EES1T_IbLb0EEEEDaS1P_S1Q_EUlS1P_E_NS1_11comp_targetILNS1_3genE4ELNS1_11target_archE910ELNS1_3gpuE8ELNS1_3repE0EEENS1_30default_config_static_selectorELNS0_4arch9wavefront6targetE0EEEvS12_,comdat
	.globl	_ZN7rocprim17ROCPRIM_400000_NS6detail17trampoline_kernelINS0_13select_configILj256ELj13ELNS0_17block_load_methodE3ELS4_3ELS4_3ELNS0_20block_scan_algorithmE0ELj4294967295EEENS1_25partition_config_selectorILNS1_17partition_subalgoE4EjNS0_10empty_typeEbEEZZNS1_14partition_implILS8_4ELb0ES6_15HIP_vector_typeIjLj2EENS0_17counting_iteratorIjlEEPS9_SG_NS0_5tupleIJPjSI_NS0_16reverse_iteratorISI_EEEEENSH_IJSG_SG_SG_EEES9_SI_JZNS1_25segmented_radix_sort_implINS0_14default_configELb0EPKfPfPKlPlN2at6native12_GLOBAL__N_18offset_tEEE10hipError_tPvRmT1_PNSt15iterator_traitsIS12_E10value_typeET2_T3_PNS13_IS18_E10value_typeET4_jRbjT5_S1E_jjP12ihipStream_tbEUljE_ZNSN_ISO_Lb0ESQ_SR_ST_SU_SY_EESZ_S10_S11_S12_S16_S17_S18_S1B_S1C_jS1D_jS1E_S1E_jjS1G_bEUljE0_EEESZ_S10_S11_S18_S1C_S1E_T6_T7_T9_mT8_S1G_bDpT10_ENKUlT_T0_E_clISt17integral_constantIbLb1EES1T_IbLb0EEEEDaS1P_S1Q_EUlS1P_E_NS1_11comp_targetILNS1_3genE4ELNS1_11target_archE910ELNS1_3gpuE8ELNS1_3repE0EEENS1_30default_config_static_selectorELNS0_4arch9wavefront6targetE0EEEvS12_ ; -- Begin function _ZN7rocprim17ROCPRIM_400000_NS6detail17trampoline_kernelINS0_13select_configILj256ELj13ELNS0_17block_load_methodE3ELS4_3ELS4_3ELNS0_20block_scan_algorithmE0ELj4294967295EEENS1_25partition_config_selectorILNS1_17partition_subalgoE4EjNS0_10empty_typeEbEEZZNS1_14partition_implILS8_4ELb0ES6_15HIP_vector_typeIjLj2EENS0_17counting_iteratorIjlEEPS9_SG_NS0_5tupleIJPjSI_NS0_16reverse_iteratorISI_EEEEENSH_IJSG_SG_SG_EEES9_SI_JZNS1_25segmented_radix_sort_implINS0_14default_configELb0EPKfPfPKlPlN2at6native12_GLOBAL__N_18offset_tEEE10hipError_tPvRmT1_PNSt15iterator_traitsIS12_E10value_typeET2_T3_PNS13_IS18_E10value_typeET4_jRbjT5_S1E_jjP12ihipStream_tbEUljE_ZNSN_ISO_Lb0ESQ_SR_ST_SU_SY_EESZ_S10_S11_S12_S16_S17_S18_S1B_S1C_jS1D_jS1E_S1E_jjS1G_bEUljE0_EEESZ_S10_S11_S18_S1C_S1E_T6_T7_T9_mT8_S1G_bDpT10_ENKUlT_T0_E_clISt17integral_constantIbLb1EES1T_IbLb0EEEEDaS1P_S1Q_EUlS1P_E_NS1_11comp_targetILNS1_3genE4ELNS1_11target_archE910ELNS1_3gpuE8ELNS1_3repE0EEENS1_30default_config_static_selectorELNS0_4arch9wavefront6targetE0EEEvS12_
	.p2align	8
	.type	_ZN7rocprim17ROCPRIM_400000_NS6detail17trampoline_kernelINS0_13select_configILj256ELj13ELNS0_17block_load_methodE3ELS4_3ELS4_3ELNS0_20block_scan_algorithmE0ELj4294967295EEENS1_25partition_config_selectorILNS1_17partition_subalgoE4EjNS0_10empty_typeEbEEZZNS1_14partition_implILS8_4ELb0ES6_15HIP_vector_typeIjLj2EENS0_17counting_iteratorIjlEEPS9_SG_NS0_5tupleIJPjSI_NS0_16reverse_iteratorISI_EEEEENSH_IJSG_SG_SG_EEES9_SI_JZNS1_25segmented_radix_sort_implINS0_14default_configELb0EPKfPfPKlPlN2at6native12_GLOBAL__N_18offset_tEEE10hipError_tPvRmT1_PNSt15iterator_traitsIS12_E10value_typeET2_T3_PNS13_IS18_E10value_typeET4_jRbjT5_S1E_jjP12ihipStream_tbEUljE_ZNSN_ISO_Lb0ESQ_SR_ST_SU_SY_EESZ_S10_S11_S12_S16_S17_S18_S1B_S1C_jS1D_jS1E_S1E_jjS1G_bEUljE0_EEESZ_S10_S11_S18_S1C_S1E_T6_T7_T9_mT8_S1G_bDpT10_ENKUlT_T0_E_clISt17integral_constantIbLb1EES1T_IbLb0EEEEDaS1P_S1Q_EUlS1P_E_NS1_11comp_targetILNS1_3genE4ELNS1_11target_archE910ELNS1_3gpuE8ELNS1_3repE0EEENS1_30default_config_static_selectorELNS0_4arch9wavefront6targetE0EEEvS12_,@function
_ZN7rocprim17ROCPRIM_400000_NS6detail17trampoline_kernelINS0_13select_configILj256ELj13ELNS0_17block_load_methodE3ELS4_3ELS4_3ELNS0_20block_scan_algorithmE0ELj4294967295EEENS1_25partition_config_selectorILNS1_17partition_subalgoE4EjNS0_10empty_typeEbEEZZNS1_14partition_implILS8_4ELb0ES6_15HIP_vector_typeIjLj2EENS0_17counting_iteratorIjlEEPS9_SG_NS0_5tupleIJPjSI_NS0_16reverse_iteratorISI_EEEEENSH_IJSG_SG_SG_EEES9_SI_JZNS1_25segmented_radix_sort_implINS0_14default_configELb0EPKfPfPKlPlN2at6native12_GLOBAL__N_18offset_tEEE10hipError_tPvRmT1_PNSt15iterator_traitsIS12_E10value_typeET2_T3_PNS13_IS18_E10value_typeET4_jRbjT5_S1E_jjP12ihipStream_tbEUljE_ZNSN_ISO_Lb0ESQ_SR_ST_SU_SY_EESZ_S10_S11_S12_S16_S17_S18_S1B_S1C_jS1D_jS1E_S1E_jjS1G_bEUljE0_EEESZ_S10_S11_S18_S1C_S1E_T6_T7_T9_mT8_S1G_bDpT10_ENKUlT_T0_E_clISt17integral_constantIbLb1EES1T_IbLb0EEEEDaS1P_S1Q_EUlS1P_E_NS1_11comp_targetILNS1_3genE4ELNS1_11target_archE910ELNS1_3gpuE8ELNS1_3repE0EEENS1_30default_config_static_selectorELNS0_4arch9wavefront6targetE0EEEvS12_: ; @_ZN7rocprim17ROCPRIM_400000_NS6detail17trampoline_kernelINS0_13select_configILj256ELj13ELNS0_17block_load_methodE3ELS4_3ELS4_3ELNS0_20block_scan_algorithmE0ELj4294967295EEENS1_25partition_config_selectorILNS1_17partition_subalgoE4EjNS0_10empty_typeEbEEZZNS1_14partition_implILS8_4ELb0ES6_15HIP_vector_typeIjLj2EENS0_17counting_iteratorIjlEEPS9_SG_NS0_5tupleIJPjSI_NS0_16reverse_iteratorISI_EEEEENSH_IJSG_SG_SG_EEES9_SI_JZNS1_25segmented_radix_sort_implINS0_14default_configELb0EPKfPfPKlPlN2at6native12_GLOBAL__N_18offset_tEEE10hipError_tPvRmT1_PNSt15iterator_traitsIS12_E10value_typeET2_T3_PNS13_IS18_E10value_typeET4_jRbjT5_S1E_jjP12ihipStream_tbEUljE_ZNSN_ISO_Lb0ESQ_SR_ST_SU_SY_EESZ_S10_S11_S12_S16_S17_S18_S1B_S1C_jS1D_jS1E_S1E_jjS1G_bEUljE0_EEESZ_S10_S11_S18_S1C_S1E_T6_T7_T9_mT8_S1G_bDpT10_ENKUlT_T0_E_clISt17integral_constantIbLb1EES1T_IbLb0EEEEDaS1P_S1Q_EUlS1P_E_NS1_11comp_targetILNS1_3genE4ELNS1_11target_archE910ELNS1_3gpuE8ELNS1_3repE0EEENS1_30default_config_static_selectorELNS0_4arch9wavefront6targetE0EEEvS12_
; %bb.0:
	.section	.rodata,"a",@progbits
	.p2align	6, 0x0
	.amdhsa_kernel _ZN7rocprim17ROCPRIM_400000_NS6detail17trampoline_kernelINS0_13select_configILj256ELj13ELNS0_17block_load_methodE3ELS4_3ELS4_3ELNS0_20block_scan_algorithmE0ELj4294967295EEENS1_25partition_config_selectorILNS1_17partition_subalgoE4EjNS0_10empty_typeEbEEZZNS1_14partition_implILS8_4ELb0ES6_15HIP_vector_typeIjLj2EENS0_17counting_iteratorIjlEEPS9_SG_NS0_5tupleIJPjSI_NS0_16reverse_iteratorISI_EEEEENSH_IJSG_SG_SG_EEES9_SI_JZNS1_25segmented_radix_sort_implINS0_14default_configELb0EPKfPfPKlPlN2at6native12_GLOBAL__N_18offset_tEEE10hipError_tPvRmT1_PNSt15iterator_traitsIS12_E10value_typeET2_T3_PNS13_IS18_E10value_typeET4_jRbjT5_S1E_jjP12ihipStream_tbEUljE_ZNSN_ISO_Lb0ESQ_SR_ST_SU_SY_EESZ_S10_S11_S12_S16_S17_S18_S1B_S1C_jS1D_jS1E_S1E_jjS1G_bEUljE0_EEESZ_S10_S11_S18_S1C_S1E_T6_T7_T9_mT8_S1G_bDpT10_ENKUlT_T0_E_clISt17integral_constantIbLb1EES1T_IbLb0EEEEDaS1P_S1Q_EUlS1P_E_NS1_11comp_targetILNS1_3genE4ELNS1_11target_archE910ELNS1_3gpuE8ELNS1_3repE0EEENS1_30default_config_static_selectorELNS0_4arch9wavefront6targetE0EEEvS12_
		.amdhsa_group_segment_fixed_size 0
		.amdhsa_private_segment_fixed_size 0
		.amdhsa_kernarg_size 176
		.amdhsa_user_sgpr_count 2
		.amdhsa_user_sgpr_dispatch_ptr 0
		.amdhsa_user_sgpr_queue_ptr 0
		.amdhsa_user_sgpr_kernarg_segment_ptr 1
		.amdhsa_user_sgpr_dispatch_id 0
		.amdhsa_user_sgpr_private_segment_size 0
		.amdhsa_wavefront_size32 1
		.amdhsa_uses_dynamic_stack 0
		.amdhsa_enable_private_segment 0
		.amdhsa_system_sgpr_workgroup_id_x 1
		.amdhsa_system_sgpr_workgroup_id_y 0
		.amdhsa_system_sgpr_workgroup_id_z 0
		.amdhsa_system_sgpr_workgroup_info 0
		.amdhsa_system_vgpr_workitem_id 0
		.amdhsa_next_free_vgpr 1
		.amdhsa_next_free_sgpr 1
		.amdhsa_reserve_vcc 0
		.amdhsa_float_round_mode_32 0
		.amdhsa_float_round_mode_16_64 0
		.amdhsa_float_denorm_mode_32 3
		.amdhsa_float_denorm_mode_16_64 3
		.amdhsa_fp16_overflow 0
		.amdhsa_workgroup_processor_mode 1
		.amdhsa_memory_ordered 1
		.amdhsa_forward_progress 1
		.amdhsa_inst_pref_size 0
		.amdhsa_round_robin_scheduling 0
		.amdhsa_exception_fp_ieee_invalid_op 0
		.amdhsa_exception_fp_denorm_src 0
		.amdhsa_exception_fp_ieee_div_zero 0
		.amdhsa_exception_fp_ieee_overflow 0
		.amdhsa_exception_fp_ieee_underflow 0
		.amdhsa_exception_fp_ieee_inexact 0
		.amdhsa_exception_int_div_zero 0
	.end_amdhsa_kernel
	.section	.text._ZN7rocprim17ROCPRIM_400000_NS6detail17trampoline_kernelINS0_13select_configILj256ELj13ELNS0_17block_load_methodE3ELS4_3ELS4_3ELNS0_20block_scan_algorithmE0ELj4294967295EEENS1_25partition_config_selectorILNS1_17partition_subalgoE4EjNS0_10empty_typeEbEEZZNS1_14partition_implILS8_4ELb0ES6_15HIP_vector_typeIjLj2EENS0_17counting_iteratorIjlEEPS9_SG_NS0_5tupleIJPjSI_NS0_16reverse_iteratorISI_EEEEENSH_IJSG_SG_SG_EEES9_SI_JZNS1_25segmented_radix_sort_implINS0_14default_configELb0EPKfPfPKlPlN2at6native12_GLOBAL__N_18offset_tEEE10hipError_tPvRmT1_PNSt15iterator_traitsIS12_E10value_typeET2_T3_PNS13_IS18_E10value_typeET4_jRbjT5_S1E_jjP12ihipStream_tbEUljE_ZNSN_ISO_Lb0ESQ_SR_ST_SU_SY_EESZ_S10_S11_S12_S16_S17_S18_S1B_S1C_jS1D_jS1E_S1E_jjS1G_bEUljE0_EEESZ_S10_S11_S18_S1C_S1E_T6_T7_T9_mT8_S1G_bDpT10_ENKUlT_T0_E_clISt17integral_constantIbLb1EES1T_IbLb0EEEEDaS1P_S1Q_EUlS1P_E_NS1_11comp_targetILNS1_3genE4ELNS1_11target_archE910ELNS1_3gpuE8ELNS1_3repE0EEENS1_30default_config_static_selectorELNS0_4arch9wavefront6targetE0EEEvS12_,"axG",@progbits,_ZN7rocprim17ROCPRIM_400000_NS6detail17trampoline_kernelINS0_13select_configILj256ELj13ELNS0_17block_load_methodE3ELS4_3ELS4_3ELNS0_20block_scan_algorithmE0ELj4294967295EEENS1_25partition_config_selectorILNS1_17partition_subalgoE4EjNS0_10empty_typeEbEEZZNS1_14partition_implILS8_4ELb0ES6_15HIP_vector_typeIjLj2EENS0_17counting_iteratorIjlEEPS9_SG_NS0_5tupleIJPjSI_NS0_16reverse_iteratorISI_EEEEENSH_IJSG_SG_SG_EEES9_SI_JZNS1_25segmented_radix_sort_implINS0_14default_configELb0EPKfPfPKlPlN2at6native12_GLOBAL__N_18offset_tEEE10hipError_tPvRmT1_PNSt15iterator_traitsIS12_E10value_typeET2_T3_PNS13_IS18_E10value_typeET4_jRbjT5_S1E_jjP12ihipStream_tbEUljE_ZNSN_ISO_Lb0ESQ_SR_ST_SU_SY_EESZ_S10_S11_S12_S16_S17_S18_S1B_S1C_jS1D_jS1E_S1E_jjS1G_bEUljE0_EEESZ_S10_S11_S18_S1C_S1E_T6_T7_T9_mT8_S1G_bDpT10_ENKUlT_T0_E_clISt17integral_constantIbLb1EES1T_IbLb0EEEEDaS1P_S1Q_EUlS1P_E_NS1_11comp_targetILNS1_3genE4ELNS1_11target_archE910ELNS1_3gpuE8ELNS1_3repE0EEENS1_30default_config_static_selectorELNS0_4arch9wavefront6targetE0EEEvS12_,comdat
.Lfunc_end1382:
	.size	_ZN7rocprim17ROCPRIM_400000_NS6detail17trampoline_kernelINS0_13select_configILj256ELj13ELNS0_17block_load_methodE3ELS4_3ELS4_3ELNS0_20block_scan_algorithmE0ELj4294967295EEENS1_25partition_config_selectorILNS1_17partition_subalgoE4EjNS0_10empty_typeEbEEZZNS1_14partition_implILS8_4ELb0ES6_15HIP_vector_typeIjLj2EENS0_17counting_iteratorIjlEEPS9_SG_NS0_5tupleIJPjSI_NS0_16reverse_iteratorISI_EEEEENSH_IJSG_SG_SG_EEES9_SI_JZNS1_25segmented_radix_sort_implINS0_14default_configELb0EPKfPfPKlPlN2at6native12_GLOBAL__N_18offset_tEEE10hipError_tPvRmT1_PNSt15iterator_traitsIS12_E10value_typeET2_T3_PNS13_IS18_E10value_typeET4_jRbjT5_S1E_jjP12ihipStream_tbEUljE_ZNSN_ISO_Lb0ESQ_SR_ST_SU_SY_EESZ_S10_S11_S12_S16_S17_S18_S1B_S1C_jS1D_jS1E_S1E_jjS1G_bEUljE0_EEESZ_S10_S11_S18_S1C_S1E_T6_T7_T9_mT8_S1G_bDpT10_ENKUlT_T0_E_clISt17integral_constantIbLb1EES1T_IbLb0EEEEDaS1P_S1Q_EUlS1P_E_NS1_11comp_targetILNS1_3genE4ELNS1_11target_archE910ELNS1_3gpuE8ELNS1_3repE0EEENS1_30default_config_static_selectorELNS0_4arch9wavefront6targetE0EEEvS12_, .Lfunc_end1382-_ZN7rocprim17ROCPRIM_400000_NS6detail17trampoline_kernelINS0_13select_configILj256ELj13ELNS0_17block_load_methodE3ELS4_3ELS4_3ELNS0_20block_scan_algorithmE0ELj4294967295EEENS1_25partition_config_selectorILNS1_17partition_subalgoE4EjNS0_10empty_typeEbEEZZNS1_14partition_implILS8_4ELb0ES6_15HIP_vector_typeIjLj2EENS0_17counting_iteratorIjlEEPS9_SG_NS0_5tupleIJPjSI_NS0_16reverse_iteratorISI_EEEEENSH_IJSG_SG_SG_EEES9_SI_JZNS1_25segmented_radix_sort_implINS0_14default_configELb0EPKfPfPKlPlN2at6native12_GLOBAL__N_18offset_tEEE10hipError_tPvRmT1_PNSt15iterator_traitsIS12_E10value_typeET2_T3_PNS13_IS18_E10value_typeET4_jRbjT5_S1E_jjP12ihipStream_tbEUljE_ZNSN_ISO_Lb0ESQ_SR_ST_SU_SY_EESZ_S10_S11_S12_S16_S17_S18_S1B_S1C_jS1D_jS1E_S1E_jjS1G_bEUljE0_EEESZ_S10_S11_S18_S1C_S1E_T6_T7_T9_mT8_S1G_bDpT10_ENKUlT_T0_E_clISt17integral_constantIbLb1EES1T_IbLb0EEEEDaS1P_S1Q_EUlS1P_E_NS1_11comp_targetILNS1_3genE4ELNS1_11target_archE910ELNS1_3gpuE8ELNS1_3repE0EEENS1_30default_config_static_selectorELNS0_4arch9wavefront6targetE0EEEvS12_
                                        ; -- End function
	.set _ZN7rocprim17ROCPRIM_400000_NS6detail17trampoline_kernelINS0_13select_configILj256ELj13ELNS0_17block_load_methodE3ELS4_3ELS4_3ELNS0_20block_scan_algorithmE0ELj4294967295EEENS1_25partition_config_selectorILNS1_17partition_subalgoE4EjNS0_10empty_typeEbEEZZNS1_14partition_implILS8_4ELb0ES6_15HIP_vector_typeIjLj2EENS0_17counting_iteratorIjlEEPS9_SG_NS0_5tupleIJPjSI_NS0_16reverse_iteratorISI_EEEEENSH_IJSG_SG_SG_EEES9_SI_JZNS1_25segmented_radix_sort_implINS0_14default_configELb0EPKfPfPKlPlN2at6native12_GLOBAL__N_18offset_tEEE10hipError_tPvRmT1_PNSt15iterator_traitsIS12_E10value_typeET2_T3_PNS13_IS18_E10value_typeET4_jRbjT5_S1E_jjP12ihipStream_tbEUljE_ZNSN_ISO_Lb0ESQ_SR_ST_SU_SY_EESZ_S10_S11_S12_S16_S17_S18_S1B_S1C_jS1D_jS1E_S1E_jjS1G_bEUljE0_EEESZ_S10_S11_S18_S1C_S1E_T6_T7_T9_mT8_S1G_bDpT10_ENKUlT_T0_E_clISt17integral_constantIbLb1EES1T_IbLb0EEEEDaS1P_S1Q_EUlS1P_E_NS1_11comp_targetILNS1_3genE4ELNS1_11target_archE910ELNS1_3gpuE8ELNS1_3repE0EEENS1_30default_config_static_selectorELNS0_4arch9wavefront6targetE0EEEvS12_.num_vgpr, 0
	.set _ZN7rocprim17ROCPRIM_400000_NS6detail17trampoline_kernelINS0_13select_configILj256ELj13ELNS0_17block_load_methodE3ELS4_3ELS4_3ELNS0_20block_scan_algorithmE0ELj4294967295EEENS1_25partition_config_selectorILNS1_17partition_subalgoE4EjNS0_10empty_typeEbEEZZNS1_14partition_implILS8_4ELb0ES6_15HIP_vector_typeIjLj2EENS0_17counting_iteratorIjlEEPS9_SG_NS0_5tupleIJPjSI_NS0_16reverse_iteratorISI_EEEEENSH_IJSG_SG_SG_EEES9_SI_JZNS1_25segmented_radix_sort_implINS0_14default_configELb0EPKfPfPKlPlN2at6native12_GLOBAL__N_18offset_tEEE10hipError_tPvRmT1_PNSt15iterator_traitsIS12_E10value_typeET2_T3_PNS13_IS18_E10value_typeET4_jRbjT5_S1E_jjP12ihipStream_tbEUljE_ZNSN_ISO_Lb0ESQ_SR_ST_SU_SY_EESZ_S10_S11_S12_S16_S17_S18_S1B_S1C_jS1D_jS1E_S1E_jjS1G_bEUljE0_EEESZ_S10_S11_S18_S1C_S1E_T6_T7_T9_mT8_S1G_bDpT10_ENKUlT_T0_E_clISt17integral_constantIbLb1EES1T_IbLb0EEEEDaS1P_S1Q_EUlS1P_E_NS1_11comp_targetILNS1_3genE4ELNS1_11target_archE910ELNS1_3gpuE8ELNS1_3repE0EEENS1_30default_config_static_selectorELNS0_4arch9wavefront6targetE0EEEvS12_.num_agpr, 0
	.set _ZN7rocprim17ROCPRIM_400000_NS6detail17trampoline_kernelINS0_13select_configILj256ELj13ELNS0_17block_load_methodE3ELS4_3ELS4_3ELNS0_20block_scan_algorithmE0ELj4294967295EEENS1_25partition_config_selectorILNS1_17partition_subalgoE4EjNS0_10empty_typeEbEEZZNS1_14partition_implILS8_4ELb0ES6_15HIP_vector_typeIjLj2EENS0_17counting_iteratorIjlEEPS9_SG_NS0_5tupleIJPjSI_NS0_16reverse_iteratorISI_EEEEENSH_IJSG_SG_SG_EEES9_SI_JZNS1_25segmented_radix_sort_implINS0_14default_configELb0EPKfPfPKlPlN2at6native12_GLOBAL__N_18offset_tEEE10hipError_tPvRmT1_PNSt15iterator_traitsIS12_E10value_typeET2_T3_PNS13_IS18_E10value_typeET4_jRbjT5_S1E_jjP12ihipStream_tbEUljE_ZNSN_ISO_Lb0ESQ_SR_ST_SU_SY_EESZ_S10_S11_S12_S16_S17_S18_S1B_S1C_jS1D_jS1E_S1E_jjS1G_bEUljE0_EEESZ_S10_S11_S18_S1C_S1E_T6_T7_T9_mT8_S1G_bDpT10_ENKUlT_T0_E_clISt17integral_constantIbLb1EES1T_IbLb0EEEEDaS1P_S1Q_EUlS1P_E_NS1_11comp_targetILNS1_3genE4ELNS1_11target_archE910ELNS1_3gpuE8ELNS1_3repE0EEENS1_30default_config_static_selectorELNS0_4arch9wavefront6targetE0EEEvS12_.numbered_sgpr, 0
	.set _ZN7rocprim17ROCPRIM_400000_NS6detail17trampoline_kernelINS0_13select_configILj256ELj13ELNS0_17block_load_methodE3ELS4_3ELS4_3ELNS0_20block_scan_algorithmE0ELj4294967295EEENS1_25partition_config_selectorILNS1_17partition_subalgoE4EjNS0_10empty_typeEbEEZZNS1_14partition_implILS8_4ELb0ES6_15HIP_vector_typeIjLj2EENS0_17counting_iteratorIjlEEPS9_SG_NS0_5tupleIJPjSI_NS0_16reverse_iteratorISI_EEEEENSH_IJSG_SG_SG_EEES9_SI_JZNS1_25segmented_radix_sort_implINS0_14default_configELb0EPKfPfPKlPlN2at6native12_GLOBAL__N_18offset_tEEE10hipError_tPvRmT1_PNSt15iterator_traitsIS12_E10value_typeET2_T3_PNS13_IS18_E10value_typeET4_jRbjT5_S1E_jjP12ihipStream_tbEUljE_ZNSN_ISO_Lb0ESQ_SR_ST_SU_SY_EESZ_S10_S11_S12_S16_S17_S18_S1B_S1C_jS1D_jS1E_S1E_jjS1G_bEUljE0_EEESZ_S10_S11_S18_S1C_S1E_T6_T7_T9_mT8_S1G_bDpT10_ENKUlT_T0_E_clISt17integral_constantIbLb1EES1T_IbLb0EEEEDaS1P_S1Q_EUlS1P_E_NS1_11comp_targetILNS1_3genE4ELNS1_11target_archE910ELNS1_3gpuE8ELNS1_3repE0EEENS1_30default_config_static_selectorELNS0_4arch9wavefront6targetE0EEEvS12_.num_named_barrier, 0
	.set _ZN7rocprim17ROCPRIM_400000_NS6detail17trampoline_kernelINS0_13select_configILj256ELj13ELNS0_17block_load_methodE3ELS4_3ELS4_3ELNS0_20block_scan_algorithmE0ELj4294967295EEENS1_25partition_config_selectorILNS1_17partition_subalgoE4EjNS0_10empty_typeEbEEZZNS1_14partition_implILS8_4ELb0ES6_15HIP_vector_typeIjLj2EENS0_17counting_iteratorIjlEEPS9_SG_NS0_5tupleIJPjSI_NS0_16reverse_iteratorISI_EEEEENSH_IJSG_SG_SG_EEES9_SI_JZNS1_25segmented_radix_sort_implINS0_14default_configELb0EPKfPfPKlPlN2at6native12_GLOBAL__N_18offset_tEEE10hipError_tPvRmT1_PNSt15iterator_traitsIS12_E10value_typeET2_T3_PNS13_IS18_E10value_typeET4_jRbjT5_S1E_jjP12ihipStream_tbEUljE_ZNSN_ISO_Lb0ESQ_SR_ST_SU_SY_EESZ_S10_S11_S12_S16_S17_S18_S1B_S1C_jS1D_jS1E_S1E_jjS1G_bEUljE0_EEESZ_S10_S11_S18_S1C_S1E_T6_T7_T9_mT8_S1G_bDpT10_ENKUlT_T0_E_clISt17integral_constantIbLb1EES1T_IbLb0EEEEDaS1P_S1Q_EUlS1P_E_NS1_11comp_targetILNS1_3genE4ELNS1_11target_archE910ELNS1_3gpuE8ELNS1_3repE0EEENS1_30default_config_static_selectorELNS0_4arch9wavefront6targetE0EEEvS12_.private_seg_size, 0
	.set _ZN7rocprim17ROCPRIM_400000_NS6detail17trampoline_kernelINS0_13select_configILj256ELj13ELNS0_17block_load_methodE3ELS4_3ELS4_3ELNS0_20block_scan_algorithmE0ELj4294967295EEENS1_25partition_config_selectorILNS1_17partition_subalgoE4EjNS0_10empty_typeEbEEZZNS1_14partition_implILS8_4ELb0ES6_15HIP_vector_typeIjLj2EENS0_17counting_iteratorIjlEEPS9_SG_NS0_5tupleIJPjSI_NS0_16reverse_iteratorISI_EEEEENSH_IJSG_SG_SG_EEES9_SI_JZNS1_25segmented_radix_sort_implINS0_14default_configELb0EPKfPfPKlPlN2at6native12_GLOBAL__N_18offset_tEEE10hipError_tPvRmT1_PNSt15iterator_traitsIS12_E10value_typeET2_T3_PNS13_IS18_E10value_typeET4_jRbjT5_S1E_jjP12ihipStream_tbEUljE_ZNSN_ISO_Lb0ESQ_SR_ST_SU_SY_EESZ_S10_S11_S12_S16_S17_S18_S1B_S1C_jS1D_jS1E_S1E_jjS1G_bEUljE0_EEESZ_S10_S11_S18_S1C_S1E_T6_T7_T9_mT8_S1G_bDpT10_ENKUlT_T0_E_clISt17integral_constantIbLb1EES1T_IbLb0EEEEDaS1P_S1Q_EUlS1P_E_NS1_11comp_targetILNS1_3genE4ELNS1_11target_archE910ELNS1_3gpuE8ELNS1_3repE0EEENS1_30default_config_static_selectorELNS0_4arch9wavefront6targetE0EEEvS12_.uses_vcc, 0
	.set _ZN7rocprim17ROCPRIM_400000_NS6detail17trampoline_kernelINS0_13select_configILj256ELj13ELNS0_17block_load_methodE3ELS4_3ELS4_3ELNS0_20block_scan_algorithmE0ELj4294967295EEENS1_25partition_config_selectorILNS1_17partition_subalgoE4EjNS0_10empty_typeEbEEZZNS1_14partition_implILS8_4ELb0ES6_15HIP_vector_typeIjLj2EENS0_17counting_iteratorIjlEEPS9_SG_NS0_5tupleIJPjSI_NS0_16reverse_iteratorISI_EEEEENSH_IJSG_SG_SG_EEES9_SI_JZNS1_25segmented_radix_sort_implINS0_14default_configELb0EPKfPfPKlPlN2at6native12_GLOBAL__N_18offset_tEEE10hipError_tPvRmT1_PNSt15iterator_traitsIS12_E10value_typeET2_T3_PNS13_IS18_E10value_typeET4_jRbjT5_S1E_jjP12ihipStream_tbEUljE_ZNSN_ISO_Lb0ESQ_SR_ST_SU_SY_EESZ_S10_S11_S12_S16_S17_S18_S1B_S1C_jS1D_jS1E_S1E_jjS1G_bEUljE0_EEESZ_S10_S11_S18_S1C_S1E_T6_T7_T9_mT8_S1G_bDpT10_ENKUlT_T0_E_clISt17integral_constantIbLb1EES1T_IbLb0EEEEDaS1P_S1Q_EUlS1P_E_NS1_11comp_targetILNS1_3genE4ELNS1_11target_archE910ELNS1_3gpuE8ELNS1_3repE0EEENS1_30default_config_static_selectorELNS0_4arch9wavefront6targetE0EEEvS12_.uses_flat_scratch, 0
	.set _ZN7rocprim17ROCPRIM_400000_NS6detail17trampoline_kernelINS0_13select_configILj256ELj13ELNS0_17block_load_methodE3ELS4_3ELS4_3ELNS0_20block_scan_algorithmE0ELj4294967295EEENS1_25partition_config_selectorILNS1_17partition_subalgoE4EjNS0_10empty_typeEbEEZZNS1_14partition_implILS8_4ELb0ES6_15HIP_vector_typeIjLj2EENS0_17counting_iteratorIjlEEPS9_SG_NS0_5tupleIJPjSI_NS0_16reverse_iteratorISI_EEEEENSH_IJSG_SG_SG_EEES9_SI_JZNS1_25segmented_radix_sort_implINS0_14default_configELb0EPKfPfPKlPlN2at6native12_GLOBAL__N_18offset_tEEE10hipError_tPvRmT1_PNSt15iterator_traitsIS12_E10value_typeET2_T3_PNS13_IS18_E10value_typeET4_jRbjT5_S1E_jjP12ihipStream_tbEUljE_ZNSN_ISO_Lb0ESQ_SR_ST_SU_SY_EESZ_S10_S11_S12_S16_S17_S18_S1B_S1C_jS1D_jS1E_S1E_jjS1G_bEUljE0_EEESZ_S10_S11_S18_S1C_S1E_T6_T7_T9_mT8_S1G_bDpT10_ENKUlT_T0_E_clISt17integral_constantIbLb1EES1T_IbLb0EEEEDaS1P_S1Q_EUlS1P_E_NS1_11comp_targetILNS1_3genE4ELNS1_11target_archE910ELNS1_3gpuE8ELNS1_3repE0EEENS1_30default_config_static_selectorELNS0_4arch9wavefront6targetE0EEEvS12_.has_dyn_sized_stack, 0
	.set _ZN7rocprim17ROCPRIM_400000_NS6detail17trampoline_kernelINS0_13select_configILj256ELj13ELNS0_17block_load_methodE3ELS4_3ELS4_3ELNS0_20block_scan_algorithmE0ELj4294967295EEENS1_25partition_config_selectorILNS1_17partition_subalgoE4EjNS0_10empty_typeEbEEZZNS1_14partition_implILS8_4ELb0ES6_15HIP_vector_typeIjLj2EENS0_17counting_iteratorIjlEEPS9_SG_NS0_5tupleIJPjSI_NS0_16reverse_iteratorISI_EEEEENSH_IJSG_SG_SG_EEES9_SI_JZNS1_25segmented_radix_sort_implINS0_14default_configELb0EPKfPfPKlPlN2at6native12_GLOBAL__N_18offset_tEEE10hipError_tPvRmT1_PNSt15iterator_traitsIS12_E10value_typeET2_T3_PNS13_IS18_E10value_typeET4_jRbjT5_S1E_jjP12ihipStream_tbEUljE_ZNSN_ISO_Lb0ESQ_SR_ST_SU_SY_EESZ_S10_S11_S12_S16_S17_S18_S1B_S1C_jS1D_jS1E_S1E_jjS1G_bEUljE0_EEESZ_S10_S11_S18_S1C_S1E_T6_T7_T9_mT8_S1G_bDpT10_ENKUlT_T0_E_clISt17integral_constantIbLb1EES1T_IbLb0EEEEDaS1P_S1Q_EUlS1P_E_NS1_11comp_targetILNS1_3genE4ELNS1_11target_archE910ELNS1_3gpuE8ELNS1_3repE0EEENS1_30default_config_static_selectorELNS0_4arch9wavefront6targetE0EEEvS12_.has_recursion, 0
	.set _ZN7rocprim17ROCPRIM_400000_NS6detail17trampoline_kernelINS0_13select_configILj256ELj13ELNS0_17block_load_methodE3ELS4_3ELS4_3ELNS0_20block_scan_algorithmE0ELj4294967295EEENS1_25partition_config_selectorILNS1_17partition_subalgoE4EjNS0_10empty_typeEbEEZZNS1_14partition_implILS8_4ELb0ES6_15HIP_vector_typeIjLj2EENS0_17counting_iteratorIjlEEPS9_SG_NS0_5tupleIJPjSI_NS0_16reverse_iteratorISI_EEEEENSH_IJSG_SG_SG_EEES9_SI_JZNS1_25segmented_radix_sort_implINS0_14default_configELb0EPKfPfPKlPlN2at6native12_GLOBAL__N_18offset_tEEE10hipError_tPvRmT1_PNSt15iterator_traitsIS12_E10value_typeET2_T3_PNS13_IS18_E10value_typeET4_jRbjT5_S1E_jjP12ihipStream_tbEUljE_ZNSN_ISO_Lb0ESQ_SR_ST_SU_SY_EESZ_S10_S11_S12_S16_S17_S18_S1B_S1C_jS1D_jS1E_S1E_jjS1G_bEUljE0_EEESZ_S10_S11_S18_S1C_S1E_T6_T7_T9_mT8_S1G_bDpT10_ENKUlT_T0_E_clISt17integral_constantIbLb1EES1T_IbLb0EEEEDaS1P_S1Q_EUlS1P_E_NS1_11comp_targetILNS1_3genE4ELNS1_11target_archE910ELNS1_3gpuE8ELNS1_3repE0EEENS1_30default_config_static_selectorELNS0_4arch9wavefront6targetE0EEEvS12_.has_indirect_call, 0
	.section	.AMDGPU.csdata,"",@progbits
; Kernel info:
; codeLenInByte = 0
; TotalNumSgprs: 0
; NumVgprs: 0
; ScratchSize: 0
; MemoryBound: 0
; FloatMode: 240
; IeeeMode: 1
; LDSByteSize: 0 bytes/workgroup (compile time only)
; SGPRBlocks: 0
; VGPRBlocks: 0
; NumSGPRsForWavesPerEU: 1
; NumVGPRsForWavesPerEU: 1
; Occupancy: 16
; WaveLimiterHint : 0
; COMPUTE_PGM_RSRC2:SCRATCH_EN: 0
; COMPUTE_PGM_RSRC2:USER_SGPR: 2
; COMPUTE_PGM_RSRC2:TRAP_HANDLER: 0
; COMPUTE_PGM_RSRC2:TGID_X_EN: 1
; COMPUTE_PGM_RSRC2:TGID_Y_EN: 0
; COMPUTE_PGM_RSRC2:TGID_Z_EN: 0
; COMPUTE_PGM_RSRC2:TIDIG_COMP_CNT: 0
	.section	.text._ZN7rocprim17ROCPRIM_400000_NS6detail17trampoline_kernelINS0_13select_configILj256ELj13ELNS0_17block_load_methodE3ELS4_3ELS4_3ELNS0_20block_scan_algorithmE0ELj4294967295EEENS1_25partition_config_selectorILNS1_17partition_subalgoE4EjNS0_10empty_typeEbEEZZNS1_14partition_implILS8_4ELb0ES6_15HIP_vector_typeIjLj2EENS0_17counting_iteratorIjlEEPS9_SG_NS0_5tupleIJPjSI_NS0_16reverse_iteratorISI_EEEEENSH_IJSG_SG_SG_EEES9_SI_JZNS1_25segmented_radix_sort_implINS0_14default_configELb0EPKfPfPKlPlN2at6native12_GLOBAL__N_18offset_tEEE10hipError_tPvRmT1_PNSt15iterator_traitsIS12_E10value_typeET2_T3_PNS13_IS18_E10value_typeET4_jRbjT5_S1E_jjP12ihipStream_tbEUljE_ZNSN_ISO_Lb0ESQ_SR_ST_SU_SY_EESZ_S10_S11_S12_S16_S17_S18_S1B_S1C_jS1D_jS1E_S1E_jjS1G_bEUljE0_EEESZ_S10_S11_S18_S1C_S1E_T6_T7_T9_mT8_S1G_bDpT10_ENKUlT_T0_E_clISt17integral_constantIbLb1EES1T_IbLb0EEEEDaS1P_S1Q_EUlS1P_E_NS1_11comp_targetILNS1_3genE3ELNS1_11target_archE908ELNS1_3gpuE7ELNS1_3repE0EEENS1_30default_config_static_selectorELNS0_4arch9wavefront6targetE0EEEvS12_,"axG",@progbits,_ZN7rocprim17ROCPRIM_400000_NS6detail17trampoline_kernelINS0_13select_configILj256ELj13ELNS0_17block_load_methodE3ELS4_3ELS4_3ELNS0_20block_scan_algorithmE0ELj4294967295EEENS1_25partition_config_selectorILNS1_17partition_subalgoE4EjNS0_10empty_typeEbEEZZNS1_14partition_implILS8_4ELb0ES6_15HIP_vector_typeIjLj2EENS0_17counting_iteratorIjlEEPS9_SG_NS0_5tupleIJPjSI_NS0_16reverse_iteratorISI_EEEEENSH_IJSG_SG_SG_EEES9_SI_JZNS1_25segmented_radix_sort_implINS0_14default_configELb0EPKfPfPKlPlN2at6native12_GLOBAL__N_18offset_tEEE10hipError_tPvRmT1_PNSt15iterator_traitsIS12_E10value_typeET2_T3_PNS13_IS18_E10value_typeET4_jRbjT5_S1E_jjP12ihipStream_tbEUljE_ZNSN_ISO_Lb0ESQ_SR_ST_SU_SY_EESZ_S10_S11_S12_S16_S17_S18_S1B_S1C_jS1D_jS1E_S1E_jjS1G_bEUljE0_EEESZ_S10_S11_S18_S1C_S1E_T6_T7_T9_mT8_S1G_bDpT10_ENKUlT_T0_E_clISt17integral_constantIbLb1EES1T_IbLb0EEEEDaS1P_S1Q_EUlS1P_E_NS1_11comp_targetILNS1_3genE3ELNS1_11target_archE908ELNS1_3gpuE7ELNS1_3repE0EEENS1_30default_config_static_selectorELNS0_4arch9wavefront6targetE0EEEvS12_,comdat
	.globl	_ZN7rocprim17ROCPRIM_400000_NS6detail17trampoline_kernelINS0_13select_configILj256ELj13ELNS0_17block_load_methodE3ELS4_3ELS4_3ELNS0_20block_scan_algorithmE0ELj4294967295EEENS1_25partition_config_selectorILNS1_17partition_subalgoE4EjNS0_10empty_typeEbEEZZNS1_14partition_implILS8_4ELb0ES6_15HIP_vector_typeIjLj2EENS0_17counting_iteratorIjlEEPS9_SG_NS0_5tupleIJPjSI_NS0_16reverse_iteratorISI_EEEEENSH_IJSG_SG_SG_EEES9_SI_JZNS1_25segmented_radix_sort_implINS0_14default_configELb0EPKfPfPKlPlN2at6native12_GLOBAL__N_18offset_tEEE10hipError_tPvRmT1_PNSt15iterator_traitsIS12_E10value_typeET2_T3_PNS13_IS18_E10value_typeET4_jRbjT5_S1E_jjP12ihipStream_tbEUljE_ZNSN_ISO_Lb0ESQ_SR_ST_SU_SY_EESZ_S10_S11_S12_S16_S17_S18_S1B_S1C_jS1D_jS1E_S1E_jjS1G_bEUljE0_EEESZ_S10_S11_S18_S1C_S1E_T6_T7_T9_mT8_S1G_bDpT10_ENKUlT_T0_E_clISt17integral_constantIbLb1EES1T_IbLb0EEEEDaS1P_S1Q_EUlS1P_E_NS1_11comp_targetILNS1_3genE3ELNS1_11target_archE908ELNS1_3gpuE7ELNS1_3repE0EEENS1_30default_config_static_selectorELNS0_4arch9wavefront6targetE0EEEvS12_ ; -- Begin function _ZN7rocprim17ROCPRIM_400000_NS6detail17trampoline_kernelINS0_13select_configILj256ELj13ELNS0_17block_load_methodE3ELS4_3ELS4_3ELNS0_20block_scan_algorithmE0ELj4294967295EEENS1_25partition_config_selectorILNS1_17partition_subalgoE4EjNS0_10empty_typeEbEEZZNS1_14partition_implILS8_4ELb0ES6_15HIP_vector_typeIjLj2EENS0_17counting_iteratorIjlEEPS9_SG_NS0_5tupleIJPjSI_NS0_16reverse_iteratorISI_EEEEENSH_IJSG_SG_SG_EEES9_SI_JZNS1_25segmented_radix_sort_implINS0_14default_configELb0EPKfPfPKlPlN2at6native12_GLOBAL__N_18offset_tEEE10hipError_tPvRmT1_PNSt15iterator_traitsIS12_E10value_typeET2_T3_PNS13_IS18_E10value_typeET4_jRbjT5_S1E_jjP12ihipStream_tbEUljE_ZNSN_ISO_Lb0ESQ_SR_ST_SU_SY_EESZ_S10_S11_S12_S16_S17_S18_S1B_S1C_jS1D_jS1E_S1E_jjS1G_bEUljE0_EEESZ_S10_S11_S18_S1C_S1E_T6_T7_T9_mT8_S1G_bDpT10_ENKUlT_T0_E_clISt17integral_constantIbLb1EES1T_IbLb0EEEEDaS1P_S1Q_EUlS1P_E_NS1_11comp_targetILNS1_3genE3ELNS1_11target_archE908ELNS1_3gpuE7ELNS1_3repE0EEENS1_30default_config_static_selectorELNS0_4arch9wavefront6targetE0EEEvS12_
	.p2align	8
	.type	_ZN7rocprim17ROCPRIM_400000_NS6detail17trampoline_kernelINS0_13select_configILj256ELj13ELNS0_17block_load_methodE3ELS4_3ELS4_3ELNS0_20block_scan_algorithmE0ELj4294967295EEENS1_25partition_config_selectorILNS1_17partition_subalgoE4EjNS0_10empty_typeEbEEZZNS1_14partition_implILS8_4ELb0ES6_15HIP_vector_typeIjLj2EENS0_17counting_iteratorIjlEEPS9_SG_NS0_5tupleIJPjSI_NS0_16reverse_iteratorISI_EEEEENSH_IJSG_SG_SG_EEES9_SI_JZNS1_25segmented_radix_sort_implINS0_14default_configELb0EPKfPfPKlPlN2at6native12_GLOBAL__N_18offset_tEEE10hipError_tPvRmT1_PNSt15iterator_traitsIS12_E10value_typeET2_T3_PNS13_IS18_E10value_typeET4_jRbjT5_S1E_jjP12ihipStream_tbEUljE_ZNSN_ISO_Lb0ESQ_SR_ST_SU_SY_EESZ_S10_S11_S12_S16_S17_S18_S1B_S1C_jS1D_jS1E_S1E_jjS1G_bEUljE0_EEESZ_S10_S11_S18_S1C_S1E_T6_T7_T9_mT8_S1G_bDpT10_ENKUlT_T0_E_clISt17integral_constantIbLb1EES1T_IbLb0EEEEDaS1P_S1Q_EUlS1P_E_NS1_11comp_targetILNS1_3genE3ELNS1_11target_archE908ELNS1_3gpuE7ELNS1_3repE0EEENS1_30default_config_static_selectorELNS0_4arch9wavefront6targetE0EEEvS12_,@function
_ZN7rocprim17ROCPRIM_400000_NS6detail17trampoline_kernelINS0_13select_configILj256ELj13ELNS0_17block_load_methodE3ELS4_3ELS4_3ELNS0_20block_scan_algorithmE0ELj4294967295EEENS1_25partition_config_selectorILNS1_17partition_subalgoE4EjNS0_10empty_typeEbEEZZNS1_14partition_implILS8_4ELb0ES6_15HIP_vector_typeIjLj2EENS0_17counting_iteratorIjlEEPS9_SG_NS0_5tupleIJPjSI_NS0_16reverse_iteratorISI_EEEEENSH_IJSG_SG_SG_EEES9_SI_JZNS1_25segmented_radix_sort_implINS0_14default_configELb0EPKfPfPKlPlN2at6native12_GLOBAL__N_18offset_tEEE10hipError_tPvRmT1_PNSt15iterator_traitsIS12_E10value_typeET2_T3_PNS13_IS18_E10value_typeET4_jRbjT5_S1E_jjP12ihipStream_tbEUljE_ZNSN_ISO_Lb0ESQ_SR_ST_SU_SY_EESZ_S10_S11_S12_S16_S17_S18_S1B_S1C_jS1D_jS1E_S1E_jjS1G_bEUljE0_EEESZ_S10_S11_S18_S1C_S1E_T6_T7_T9_mT8_S1G_bDpT10_ENKUlT_T0_E_clISt17integral_constantIbLb1EES1T_IbLb0EEEEDaS1P_S1Q_EUlS1P_E_NS1_11comp_targetILNS1_3genE3ELNS1_11target_archE908ELNS1_3gpuE7ELNS1_3repE0EEENS1_30default_config_static_selectorELNS0_4arch9wavefront6targetE0EEEvS12_: ; @_ZN7rocprim17ROCPRIM_400000_NS6detail17trampoline_kernelINS0_13select_configILj256ELj13ELNS0_17block_load_methodE3ELS4_3ELS4_3ELNS0_20block_scan_algorithmE0ELj4294967295EEENS1_25partition_config_selectorILNS1_17partition_subalgoE4EjNS0_10empty_typeEbEEZZNS1_14partition_implILS8_4ELb0ES6_15HIP_vector_typeIjLj2EENS0_17counting_iteratorIjlEEPS9_SG_NS0_5tupleIJPjSI_NS0_16reverse_iteratorISI_EEEEENSH_IJSG_SG_SG_EEES9_SI_JZNS1_25segmented_radix_sort_implINS0_14default_configELb0EPKfPfPKlPlN2at6native12_GLOBAL__N_18offset_tEEE10hipError_tPvRmT1_PNSt15iterator_traitsIS12_E10value_typeET2_T3_PNS13_IS18_E10value_typeET4_jRbjT5_S1E_jjP12ihipStream_tbEUljE_ZNSN_ISO_Lb0ESQ_SR_ST_SU_SY_EESZ_S10_S11_S12_S16_S17_S18_S1B_S1C_jS1D_jS1E_S1E_jjS1G_bEUljE0_EEESZ_S10_S11_S18_S1C_S1E_T6_T7_T9_mT8_S1G_bDpT10_ENKUlT_T0_E_clISt17integral_constantIbLb1EES1T_IbLb0EEEEDaS1P_S1Q_EUlS1P_E_NS1_11comp_targetILNS1_3genE3ELNS1_11target_archE908ELNS1_3gpuE7ELNS1_3repE0EEENS1_30default_config_static_selectorELNS0_4arch9wavefront6targetE0EEEvS12_
; %bb.0:
	.section	.rodata,"a",@progbits
	.p2align	6, 0x0
	.amdhsa_kernel _ZN7rocprim17ROCPRIM_400000_NS6detail17trampoline_kernelINS0_13select_configILj256ELj13ELNS0_17block_load_methodE3ELS4_3ELS4_3ELNS0_20block_scan_algorithmE0ELj4294967295EEENS1_25partition_config_selectorILNS1_17partition_subalgoE4EjNS0_10empty_typeEbEEZZNS1_14partition_implILS8_4ELb0ES6_15HIP_vector_typeIjLj2EENS0_17counting_iteratorIjlEEPS9_SG_NS0_5tupleIJPjSI_NS0_16reverse_iteratorISI_EEEEENSH_IJSG_SG_SG_EEES9_SI_JZNS1_25segmented_radix_sort_implINS0_14default_configELb0EPKfPfPKlPlN2at6native12_GLOBAL__N_18offset_tEEE10hipError_tPvRmT1_PNSt15iterator_traitsIS12_E10value_typeET2_T3_PNS13_IS18_E10value_typeET4_jRbjT5_S1E_jjP12ihipStream_tbEUljE_ZNSN_ISO_Lb0ESQ_SR_ST_SU_SY_EESZ_S10_S11_S12_S16_S17_S18_S1B_S1C_jS1D_jS1E_S1E_jjS1G_bEUljE0_EEESZ_S10_S11_S18_S1C_S1E_T6_T7_T9_mT8_S1G_bDpT10_ENKUlT_T0_E_clISt17integral_constantIbLb1EES1T_IbLb0EEEEDaS1P_S1Q_EUlS1P_E_NS1_11comp_targetILNS1_3genE3ELNS1_11target_archE908ELNS1_3gpuE7ELNS1_3repE0EEENS1_30default_config_static_selectorELNS0_4arch9wavefront6targetE0EEEvS12_
		.amdhsa_group_segment_fixed_size 0
		.amdhsa_private_segment_fixed_size 0
		.amdhsa_kernarg_size 176
		.amdhsa_user_sgpr_count 2
		.amdhsa_user_sgpr_dispatch_ptr 0
		.amdhsa_user_sgpr_queue_ptr 0
		.amdhsa_user_sgpr_kernarg_segment_ptr 1
		.amdhsa_user_sgpr_dispatch_id 0
		.amdhsa_user_sgpr_private_segment_size 0
		.amdhsa_wavefront_size32 1
		.amdhsa_uses_dynamic_stack 0
		.amdhsa_enable_private_segment 0
		.amdhsa_system_sgpr_workgroup_id_x 1
		.amdhsa_system_sgpr_workgroup_id_y 0
		.amdhsa_system_sgpr_workgroup_id_z 0
		.amdhsa_system_sgpr_workgroup_info 0
		.amdhsa_system_vgpr_workitem_id 0
		.amdhsa_next_free_vgpr 1
		.amdhsa_next_free_sgpr 1
		.amdhsa_reserve_vcc 0
		.amdhsa_float_round_mode_32 0
		.amdhsa_float_round_mode_16_64 0
		.amdhsa_float_denorm_mode_32 3
		.amdhsa_float_denorm_mode_16_64 3
		.amdhsa_fp16_overflow 0
		.amdhsa_workgroup_processor_mode 1
		.amdhsa_memory_ordered 1
		.amdhsa_forward_progress 1
		.amdhsa_inst_pref_size 0
		.amdhsa_round_robin_scheduling 0
		.amdhsa_exception_fp_ieee_invalid_op 0
		.amdhsa_exception_fp_denorm_src 0
		.amdhsa_exception_fp_ieee_div_zero 0
		.amdhsa_exception_fp_ieee_overflow 0
		.amdhsa_exception_fp_ieee_underflow 0
		.amdhsa_exception_fp_ieee_inexact 0
		.amdhsa_exception_int_div_zero 0
	.end_amdhsa_kernel
	.section	.text._ZN7rocprim17ROCPRIM_400000_NS6detail17trampoline_kernelINS0_13select_configILj256ELj13ELNS0_17block_load_methodE3ELS4_3ELS4_3ELNS0_20block_scan_algorithmE0ELj4294967295EEENS1_25partition_config_selectorILNS1_17partition_subalgoE4EjNS0_10empty_typeEbEEZZNS1_14partition_implILS8_4ELb0ES6_15HIP_vector_typeIjLj2EENS0_17counting_iteratorIjlEEPS9_SG_NS0_5tupleIJPjSI_NS0_16reverse_iteratorISI_EEEEENSH_IJSG_SG_SG_EEES9_SI_JZNS1_25segmented_radix_sort_implINS0_14default_configELb0EPKfPfPKlPlN2at6native12_GLOBAL__N_18offset_tEEE10hipError_tPvRmT1_PNSt15iterator_traitsIS12_E10value_typeET2_T3_PNS13_IS18_E10value_typeET4_jRbjT5_S1E_jjP12ihipStream_tbEUljE_ZNSN_ISO_Lb0ESQ_SR_ST_SU_SY_EESZ_S10_S11_S12_S16_S17_S18_S1B_S1C_jS1D_jS1E_S1E_jjS1G_bEUljE0_EEESZ_S10_S11_S18_S1C_S1E_T6_T7_T9_mT8_S1G_bDpT10_ENKUlT_T0_E_clISt17integral_constantIbLb1EES1T_IbLb0EEEEDaS1P_S1Q_EUlS1P_E_NS1_11comp_targetILNS1_3genE3ELNS1_11target_archE908ELNS1_3gpuE7ELNS1_3repE0EEENS1_30default_config_static_selectorELNS0_4arch9wavefront6targetE0EEEvS12_,"axG",@progbits,_ZN7rocprim17ROCPRIM_400000_NS6detail17trampoline_kernelINS0_13select_configILj256ELj13ELNS0_17block_load_methodE3ELS4_3ELS4_3ELNS0_20block_scan_algorithmE0ELj4294967295EEENS1_25partition_config_selectorILNS1_17partition_subalgoE4EjNS0_10empty_typeEbEEZZNS1_14partition_implILS8_4ELb0ES6_15HIP_vector_typeIjLj2EENS0_17counting_iteratorIjlEEPS9_SG_NS0_5tupleIJPjSI_NS0_16reverse_iteratorISI_EEEEENSH_IJSG_SG_SG_EEES9_SI_JZNS1_25segmented_radix_sort_implINS0_14default_configELb0EPKfPfPKlPlN2at6native12_GLOBAL__N_18offset_tEEE10hipError_tPvRmT1_PNSt15iterator_traitsIS12_E10value_typeET2_T3_PNS13_IS18_E10value_typeET4_jRbjT5_S1E_jjP12ihipStream_tbEUljE_ZNSN_ISO_Lb0ESQ_SR_ST_SU_SY_EESZ_S10_S11_S12_S16_S17_S18_S1B_S1C_jS1D_jS1E_S1E_jjS1G_bEUljE0_EEESZ_S10_S11_S18_S1C_S1E_T6_T7_T9_mT8_S1G_bDpT10_ENKUlT_T0_E_clISt17integral_constantIbLb1EES1T_IbLb0EEEEDaS1P_S1Q_EUlS1P_E_NS1_11comp_targetILNS1_3genE3ELNS1_11target_archE908ELNS1_3gpuE7ELNS1_3repE0EEENS1_30default_config_static_selectorELNS0_4arch9wavefront6targetE0EEEvS12_,comdat
.Lfunc_end1383:
	.size	_ZN7rocprim17ROCPRIM_400000_NS6detail17trampoline_kernelINS0_13select_configILj256ELj13ELNS0_17block_load_methodE3ELS4_3ELS4_3ELNS0_20block_scan_algorithmE0ELj4294967295EEENS1_25partition_config_selectorILNS1_17partition_subalgoE4EjNS0_10empty_typeEbEEZZNS1_14partition_implILS8_4ELb0ES6_15HIP_vector_typeIjLj2EENS0_17counting_iteratorIjlEEPS9_SG_NS0_5tupleIJPjSI_NS0_16reverse_iteratorISI_EEEEENSH_IJSG_SG_SG_EEES9_SI_JZNS1_25segmented_radix_sort_implINS0_14default_configELb0EPKfPfPKlPlN2at6native12_GLOBAL__N_18offset_tEEE10hipError_tPvRmT1_PNSt15iterator_traitsIS12_E10value_typeET2_T3_PNS13_IS18_E10value_typeET4_jRbjT5_S1E_jjP12ihipStream_tbEUljE_ZNSN_ISO_Lb0ESQ_SR_ST_SU_SY_EESZ_S10_S11_S12_S16_S17_S18_S1B_S1C_jS1D_jS1E_S1E_jjS1G_bEUljE0_EEESZ_S10_S11_S18_S1C_S1E_T6_T7_T9_mT8_S1G_bDpT10_ENKUlT_T0_E_clISt17integral_constantIbLb1EES1T_IbLb0EEEEDaS1P_S1Q_EUlS1P_E_NS1_11comp_targetILNS1_3genE3ELNS1_11target_archE908ELNS1_3gpuE7ELNS1_3repE0EEENS1_30default_config_static_selectorELNS0_4arch9wavefront6targetE0EEEvS12_, .Lfunc_end1383-_ZN7rocprim17ROCPRIM_400000_NS6detail17trampoline_kernelINS0_13select_configILj256ELj13ELNS0_17block_load_methodE3ELS4_3ELS4_3ELNS0_20block_scan_algorithmE0ELj4294967295EEENS1_25partition_config_selectorILNS1_17partition_subalgoE4EjNS0_10empty_typeEbEEZZNS1_14partition_implILS8_4ELb0ES6_15HIP_vector_typeIjLj2EENS0_17counting_iteratorIjlEEPS9_SG_NS0_5tupleIJPjSI_NS0_16reverse_iteratorISI_EEEEENSH_IJSG_SG_SG_EEES9_SI_JZNS1_25segmented_radix_sort_implINS0_14default_configELb0EPKfPfPKlPlN2at6native12_GLOBAL__N_18offset_tEEE10hipError_tPvRmT1_PNSt15iterator_traitsIS12_E10value_typeET2_T3_PNS13_IS18_E10value_typeET4_jRbjT5_S1E_jjP12ihipStream_tbEUljE_ZNSN_ISO_Lb0ESQ_SR_ST_SU_SY_EESZ_S10_S11_S12_S16_S17_S18_S1B_S1C_jS1D_jS1E_S1E_jjS1G_bEUljE0_EEESZ_S10_S11_S18_S1C_S1E_T6_T7_T9_mT8_S1G_bDpT10_ENKUlT_T0_E_clISt17integral_constantIbLb1EES1T_IbLb0EEEEDaS1P_S1Q_EUlS1P_E_NS1_11comp_targetILNS1_3genE3ELNS1_11target_archE908ELNS1_3gpuE7ELNS1_3repE0EEENS1_30default_config_static_selectorELNS0_4arch9wavefront6targetE0EEEvS12_
                                        ; -- End function
	.set _ZN7rocprim17ROCPRIM_400000_NS6detail17trampoline_kernelINS0_13select_configILj256ELj13ELNS0_17block_load_methodE3ELS4_3ELS4_3ELNS0_20block_scan_algorithmE0ELj4294967295EEENS1_25partition_config_selectorILNS1_17partition_subalgoE4EjNS0_10empty_typeEbEEZZNS1_14partition_implILS8_4ELb0ES6_15HIP_vector_typeIjLj2EENS0_17counting_iteratorIjlEEPS9_SG_NS0_5tupleIJPjSI_NS0_16reverse_iteratorISI_EEEEENSH_IJSG_SG_SG_EEES9_SI_JZNS1_25segmented_radix_sort_implINS0_14default_configELb0EPKfPfPKlPlN2at6native12_GLOBAL__N_18offset_tEEE10hipError_tPvRmT1_PNSt15iterator_traitsIS12_E10value_typeET2_T3_PNS13_IS18_E10value_typeET4_jRbjT5_S1E_jjP12ihipStream_tbEUljE_ZNSN_ISO_Lb0ESQ_SR_ST_SU_SY_EESZ_S10_S11_S12_S16_S17_S18_S1B_S1C_jS1D_jS1E_S1E_jjS1G_bEUljE0_EEESZ_S10_S11_S18_S1C_S1E_T6_T7_T9_mT8_S1G_bDpT10_ENKUlT_T0_E_clISt17integral_constantIbLb1EES1T_IbLb0EEEEDaS1P_S1Q_EUlS1P_E_NS1_11comp_targetILNS1_3genE3ELNS1_11target_archE908ELNS1_3gpuE7ELNS1_3repE0EEENS1_30default_config_static_selectorELNS0_4arch9wavefront6targetE0EEEvS12_.num_vgpr, 0
	.set _ZN7rocprim17ROCPRIM_400000_NS6detail17trampoline_kernelINS0_13select_configILj256ELj13ELNS0_17block_load_methodE3ELS4_3ELS4_3ELNS0_20block_scan_algorithmE0ELj4294967295EEENS1_25partition_config_selectorILNS1_17partition_subalgoE4EjNS0_10empty_typeEbEEZZNS1_14partition_implILS8_4ELb0ES6_15HIP_vector_typeIjLj2EENS0_17counting_iteratorIjlEEPS9_SG_NS0_5tupleIJPjSI_NS0_16reverse_iteratorISI_EEEEENSH_IJSG_SG_SG_EEES9_SI_JZNS1_25segmented_radix_sort_implINS0_14default_configELb0EPKfPfPKlPlN2at6native12_GLOBAL__N_18offset_tEEE10hipError_tPvRmT1_PNSt15iterator_traitsIS12_E10value_typeET2_T3_PNS13_IS18_E10value_typeET4_jRbjT5_S1E_jjP12ihipStream_tbEUljE_ZNSN_ISO_Lb0ESQ_SR_ST_SU_SY_EESZ_S10_S11_S12_S16_S17_S18_S1B_S1C_jS1D_jS1E_S1E_jjS1G_bEUljE0_EEESZ_S10_S11_S18_S1C_S1E_T6_T7_T9_mT8_S1G_bDpT10_ENKUlT_T0_E_clISt17integral_constantIbLb1EES1T_IbLb0EEEEDaS1P_S1Q_EUlS1P_E_NS1_11comp_targetILNS1_3genE3ELNS1_11target_archE908ELNS1_3gpuE7ELNS1_3repE0EEENS1_30default_config_static_selectorELNS0_4arch9wavefront6targetE0EEEvS12_.num_agpr, 0
	.set _ZN7rocprim17ROCPRIM_400000_NS6detail17trampoline_kernelINS0_13select_configILj256ELj13ELNS0_17block_load_methodE3ELS4_3ELS4_3ELNS0_20block_scan_algorithmE0ELj4294967295EEENS1_25partition_config_selectorILNS1_17partition_subalgoE4EjNS0_10empty_typeEbEEZZNS1_14partition_implILS8_4ELb0ES6_15HIP_vector_typeIjLj2EENS0_17counting_iteratorIjlEEPS9_SG_NS0_5tupleIJPjSI_NS0_16reverse_iteratorISI_EEEEENSH_IJSG_SG_SG_EEES9_SI_JZNS1_25segmented_radix_sort_implINS0_14default_configELb0EPKfPfPKlPlN2at6native12_GLOBAL__N_18offset_tEEE10hipError_tPvRmT1_PNSt15iterator_traitsIS12_E10value_typeET2_T3_PNS13_IS18_E10value_typeET4_jRbjT5_S1E_jjP12ihipStream_tbEUljE_ZNSN_ISO_Lb0ESQ_SR_ST_SU_SY_EESZ_S10_S11_S12_S16_S17_S18_S1B_S1C_jS1D_jS1E_S1E_jjS1G_bEUljE0_EEESZ_S10_S11_S18_S1C_S1E_T6_T7_T9_mT8_S1G_bDpT10_ENKUlT_T0_E_clISt17integral_constantIbLb1EES1T_IbLb0EEEEDaS1P_S1Q_EUlS1P_E_NS1_11comp_targetILNS1_3genE3ELNS1_11target_archE908ELNS1_3gpuE7ELNS1_3repE0EEENS1_30default_config_static_selectorELNS0_4arch9wavefront6targetE0EEEvS12_.numbered_sgpr, 0
	.set _ZN7rocprim17ROCPRIM_400000_NS6detail17trampoline_kernelINS0_13select_configILj256ELj13ELNS0_17block_load_methodE3ELS4_3ELS4_3ELNS0_20block_scan_algorithmE0ELj4294967295EEENS1_25partition_config_selectorILNS1_17partition_subalgoE4EjNS0_10empty_typeEbEEZZNS1_14partition_implILS8_4ELb0ES6_15HIP_vector_typeIjLj2EENS0_17counting_iteratorIjlEEPS9_SG_NS0_5tupleIJPjSI_NS0_16reverse_iteratorISI_EEEEENSH_IJSG_SG_SG_EEES9_SI_JZNS1_25segmented_radix_sort_implINS0_14default_configELb0EPKfPfPKlPlN2at6native12_GLOBAL__N_18offset_tEEE10hipError_tPvRmT1_PNSt15iterator_traitsIS12_E10value_typeET2_T3_PNS13_IS18_E10value_typeET4_jRbjT5_S1E_jjP12ihipStream_tbEUljE_ZNSN_ISO_Lb0ESQ_SR_ST_SU_SY_EESZ_S10_S11_S12_S16_S17_S18_S1B_S1C_jS1D_jS1E_S1E_jjS1G_bEUljE0_EEESZ_S10_S11_S18_S1C_S1E_T6_T7_T9_mT8_S1G_bDpT10_ENKUlT_T0_E_clISt17integral_constantIbLb1EES1T_IbLb0EEEEDaS1P_S1Q_EUlS1P_E_NS1_11comp_targetILNS1_3genE3ELNS1_11target_archE908ELNS1_3gpuE7ELNS1_3repE0EEENS1_30default_config_static_selectorELNS0_4arch9wavefront6targetE0EEEvS12_.num_named_barrier, 0
	.set _ZN7rocprim17ROCPRIM_400000_NS6detail17trampoline_kernelINS0_13select_configILj256ELj13ELNS0_17block_load_methodE3ELS4_3ELS4_3ELNS0_20block_scan_algorithmE0ELj4294967295EEENS1_25partition_config_selectorILNS1_17partition_subalgoE4EjNS0_10empty_typeEbEEZZNS1_14partition_implILS8_4ELb0ES6_15HIP_vector_typeIjLj2EENS0_17counting_iteratorIjlEEPS9_SG_NS0_5tupleIJPjSI_NS0_16reverse_iteratorISI_EEEEENSH_IJSG_SG_SG_EEES9_SI_JZNS1_25segmented_radix_sort_implINS0_14default_configELb0EPKfPfPKlPlN2at6native12_GLOBAL__N_18offset_tEEE10hipError_tPvRmT1_PNSt15iterator_traitsIS12_E10value_typeET2_T3_PNS13_IS18_E10value_typeET4_jRbjT5_S1E_jjP12ihipStream_tbEUljE_ZNSN_ISO_Lb0ESQ_SR_ST_SU_SY_EESZ_S10_S11_S12_S16_S17_S18_S1B_S1C_jS1D_jS1E_S1E_jjS1G_bEUljE0_EEESZ_S10_S11_S18_S1C_S1E_T6_T7_T9_mT8_S1G_bDpT10_ENKUlT_T0_E_clISt17integral_constantIbLb1EES1T_IbLb0EEEEDaS1P_S1Q_EUlS1P_E_NS1_11comp_targetILNS1_3genE3ELNS1_11target_archE908ELNS1_3gpuE7ELNS1_3repE0EEENS1_30default_config_static_selectorELNS0_4arch9wavefront6targetE0EEEvS12_.private_seg_size, 0
	.set _ZN7rocprim17ROCPRIM_400000_NS6detail17trampoline_kernelINS0_13select_configILj256ELj13ELNS0_17block_load_methodE3ELS4_3ELS4_3ELNS0_20block_scan_algorithmE0ELj4294967295EEENS1_25partition_config_selectorILNS1_17partition_subalgoE4EjNS0_10empty_typeEbEEZZNS1_14partition_implILS8_4ELb0ES6_15HIP_vector_typeIjLj2EENS0_17counting_iteratorIjlEEPS9_SG_NS0_5tupleIJPjSI_NS0_16reverse_iteratorISI_EEEEENSH_IJSG_SG_SG_EEES9_SI_JZNS1_25segmented_radix_sort_implINS0_14default_configELb0EPKfPfPKlPlN2at6native12_GLOBAL__N_18offset_tEEE10hipError_tPvRmT1_PNSt15iterator_traitsIS12_E10value_typeET2_T3_PNS13_IS18_E10value_typeET4_jRbjT5_S1E_jjP12ihipStream_tbEUljE_ZNSN_ISO_Lb0ESQ_SR_ST_SU_SY_EESZ_S10_S11_S12_S16_S17_S18_S1B_S1C_jS1D_jS1E_S1E_jjS1G_bEUljE0_EEESZ_S10_S11_S18_S1C_S1E_T6_T7_T9_mT8_S1G_bDpT10_ENKUlT_T0_E_clISt17integral_constantIbLb1EES1T_IbLb0EEEEDaS1P_S1Q_EUlS1P_E_NS1_11comp_targetILNS1_3genE3ELNS1_11target_archE908ELNS1_3gpuE7ELNS1_3repE0EEENS1_30default_config_static_selectorELNS0_4arch9wavefront6targetE0EEEvS12_.uses_vcc, 0
	.set _ZN7rocprim17ROCPRIM_400000_NS6detail17trampoline_kernelINS0_13select_configILj256ELj13ELNS0_17block_load_methodE3ELS4_3ELS4_3ELNS0_20block_scan_algorithmE0ELj4294967295EEENS1_25partition_config_selectorILNS1_17partition_subalgoE4EjNS0_10empty_typeEbEEZZNS1_14partition_implILS8_4ELb0ES6_15HIP_vector_typeIjLj2EENS0_17counting_iteratorIjlEEPS9_SG_NS0_5tupleIJPjSI_NS0_16reverse_iteratorISI_EEEEENSH_IJSG_SG_SG_EEES9_SI_JZNS1_25segmented_radix_sort_implINS0_14default_configELb0EPKfPfPKlPlN2at6native12_GLOBAL__N_18offset_tEEE10hipError_tPvRmT1_PNSt15iterator_traitsIS12_E10value_typeET2_T3_PNS13_IS18_E10value_typeET4_jRbjT5_S1E_jjP12ihipStream_tbEUljE_ZNSN_ISO_Lb0ESQ_SR_ST_SU_SY_EESZ_S10_S11_S12_S16_S17_S18_S1B_S1C_jS1D_jS1E_S1E_jjS1G_bEUljE0_EEESZ_S10_S11_S18_S1C_S1E_T6_T7_T9_mT8_S1G_bDpT10_ENKUlT_T0_E_clISt17integral_constantIbLb1EES1T_IbLb0EEEEDaS1P_S1Q_EUlS1P_E_NS1_11comp_targetILNS1_3genE3ELNS1_11target_archE908ELNS1_3gpuE7ELNS1_3repE0EEENS1_30default_config_static_selectorELNS0_4arch9wavefront6targetE0EEEvS12_.uses_flat_scratch, 0
	.set _ZN7rocprim17ROCPRIM_400000_NS6detail17trampoline_kernelINS0_13select_configILj256ELj13ELNS0_17block_load_methodE3ELS4_3ELS4_3ELNS0_20block_scan_algorithmE0ELj4294967295EEENS1_25partition_config_selectorILNS1_17partition_subalgoE4EjNS0_10empty_typeEbEEZZNS1_14partition_implILS8_4ELb0ES6_15HIP_vector_typeIjLj2EENS0_17counting_iteratorIjlEEPS9_SG_NS0_5tupleIJPjSI_NS0_16reverse_iteratorISI_EEEEENSH_IJSG_SG_SG_EEES9_SI_JZNS1_25segmented_radix_sort_implINS0_14default_configELb0EPKfPfPKlPlN2at6native12_GLOBAL__N_18offset_tEEE10hipError_tPvRmT1_PNSt15iterator_traitsIS12_E10value_typeET2_T3_PNS13_IS18_E10value_typeET4_jRbjT5_S1E_jjP12ihipStream_tbEUljE_ZNSN_ISO_Lb0ESQ_SR_ST_SU_SY_EESZ_S10_S11_S12_S16_S17_S18_S1B_S1C_jS1D_jS1E_S1E_jjS1G_bEUljE0_EEESZ_S10_S11_S18_S1C_S1E_T6_T7_T9_mT8_S1G_bDpT10_ENKUlT_T0_E_clISt17integral_constantIbLb1EES1T_IbLb0EEEEDaS1P_S1Q_EUlS1P_E_NS1_11comp_targetILNS1_3genE3ELNS1_11target_archE908ELNS1_3gpuE7ELNS1_3repE0EEENS1_30default_config_static_selectorELNS0_4arch9wavefront6targetE0EEEvS12_.has_dyn_sized_stack, 0
	.set _ZN7rocprim17ROCPRIM_400000_NS6detail17trampoline_kernelINS0_13select_configILj256ELj13ELNS0_17block_load_methodE3ELS4_3ELS4_3ELNS0_20block_scan_algorithmE0ELj4294967295EEENS1_25partition_config_selectorILNS1_17partition_subalgoE4EjNS0_10empty_typeEbEEZZNS1_14partition_implILS8_4ELb0ES6_15HIP_vector_typeIjLj2EENS0_17counting_iteratorIjlEEPS9_SG_NS0_5tupleIJPjSI_NS0_16reverse_iteratorISI_EEEEENSH_IJSG_SG_SG_EEES9_SI_JZNS1_25segmented_radix_sort_implINS0_14default_configELb0EPKfPfPKlPlN2at6native12_GLOBAL__N_18offset_tEEE10hipError_tPvRmT1_PNSt15iterator_traitsIS12_E10value_typeET2_T3_PNS13_IS18_E10value_typeET4_jRbjT5_S1E_jjP12ihipStream_tbEUljE_ZNSN_ISO_Lb0ESQ_SR_ST_SU_SY_EESZ_S10_S11_S12_S16_S17_S18_S1B_S1C_jS1D_jS1E_S1E_jjS1G_bEUljE0_EEESZ_S10_S11_S18_S1C_S1E_T6_T7_T9_mT8_S1G_bDpT10_ENKUlT_T0_E_clISt17integral_constantIbLb1EES1T_IbLb0EEEEDaS1P_S1Q_EUlS1P_E_NS1_11comp_targetILNS1_3genE3ELNS1_11target_archE908ELNS1_3gpuE7ELNS1_3repE0EEENS1_30default_config_static_selectorELNS0_4arch9wavefront6targetE0EEEvS12_.has_recursion, 0
	.set _ZN7rocprim17ROCPRIM_400000_NS6detail17trampoline_kernelINS0_13select_configILj256ELj13ELNS0_17block_load_methodE3ELS4_3ELS4_3ELNS0_20block_scan_algorithmE0ELj4294967295EEENS1_25partition_config_selectorILNS1_17partition_subalgoE4EjNS0_10empty_typeEbEEZZNS1_14partition_implILS8_4ELb0ES6_15HIP_vector_typeIjLj2EENS0_17counting_iteratorIjlEEPS9_SG_NS0_5tupleIJPjSI_NS0_16reverse_iteratorISI_EEEEENSH_IJSG_SG_SG_EEES9_SI_JZNS1_25segmented_radix_sort_implINS0_14default_configELb0EPKfPfPKlPlN2at6native12_GLOBAL__N_18offset_tEEE10hipError_tPvRmT1_PNSt15iterator_traitsIS12_E10value_typeET2_T3_PNS13_IS18_E10value_typeET4_jRbjT5_S1E_jjP12ihipStream_tbEUljE_ZNSN_ISO_Lb0ESQ_SR_ST_SU_SY_EESZ_S10_S11_S12_S16_S17_S18_S1B_S1C_jS1D_jS1E_S1E_jjS1G_bEUljE0_EEESZ_S10_S11_S18_S1C_S1E_T6_T7_T9_mT8_S1G_bDpT10_ENKUlT_T0_E_clISt17integral_constantIbLb1EES1T_IbLb0EEEEDaS1P_S1Q_EUlS1P_E_NS1_11comp_targetILNS1_3genE3ELNS1_11target_archE908ELNS1_3gpuE7ELNS1_3repE0EEENS1_30default_config_static_selectorELNS0_4arch9wavefront6targetE0EEEvS12_.has_indirect_call, 0
	.section	.AMDGPU.csdata,"",@progbits
; Kernel info:
; codeLenInByte = 0
; TotalNumSgprs: 0
; NumVgprs: 0
; ScratchSize: 0
; MemoryBound: 0
; FloatMode: 240
; IeeeMode: 1
; LDSByteSize: 0 bytes/workgroup (compile time only)
; SGPRBlocks: 0
; VGPRBlocks: 0
; NumSGPRsForWavesPerEU: 1
; NumVGPRsForWavesPerEU: 1
; Occupancy: 16
; WaveLimiterHint : 0
; COMPUTE_PGM_RSRC2:SCRATCH_EN: 0
; COMPUTE_PGM_RSRC2:USER_SGPR: 2
; COMPUTE_PGM_RSRC2:TRAP_HANDLER: 0
; COMPUTE_PGM_RSRC2:TGID_X_EN: 1
; COMPUTE_PGM_RSRC2:TGID_Y_EN: 0
; COMPUTE_PGM_RSRC2:TGID_Z_EN: 0
; COMPUTE_PGM_RSRC2:TIDIG_COMP_CNT: 0
	.section	.text._ZN7rocprim17ROCPRIM_400000_NS6detail17trampoline_kernelINS0_13select_configILj256ELj13ELNS0_17block_load_methodE3ELS4_3ELS4_3ELNS0_20block_scan_algorithmE0ELj4294967295EEENS1_25partition_config_selectorILNS1_17partition_subalgoE4EjNS0_10empty_typeEbEEZZNS1_14partition_implILS8_4ELb0ES6_15HIP_vector_typeIjLj2EENS0_17counting_iteratorIjlEEPS9_SG_NS0_5tupleIJPjSI_NS0_16reverse_iteratorISI_EEEEENSH_IJSG_SG_SG_EEES9_SI_JZNS1_25segmented_radix_sort_implINS0_14default_configELb0EPKfPfPKlPlN2at6native12_GLOBAL__N_18offset_tEEE10hipError_tPvRmT1_PNSt15iterator_traitsIS12_E10value_typeET2_T3_PNS13_IS18_E10value_typeET4_jRbjT5_S1E_jjP12ihipStream_tbEUljE_ZNSN_ISO_Lb0ESQ_SR_ST_SU_SY_EESZ_S10_S11_S12_S16_S17_S18_S1B_S1C_jS1D_jS1E_S1E_jjS1G_bEUljE0_EEESZ_S10_S11_S18_S1C_S1E_T6_T7_T9_mT8_S1G_bDpT10_ENKUlT_T0_E_clISt17integral_constantIbLb1EES1T_IbLb0EEEEDaS1P_S1Q_EUlS1P_E_NS1_11comp_targetILNS1_3genE2ELNS1_11target_archE906ELNS1_3gpuE6ELNS1_3repE0EEENS1_30default_config_static_selectorELNS0_4arch9wavefront6targetE0EEEvS12_,"axG",@progbits,_ZN7rocprim17ROCPRIM_400000_NS6detail17trampoline_kernelINS0_13select_configILj256ELj13ELNS0_17block_load_methodE3ELS4_3ELS4_3ELNS0_20block_scan_algorithmE0ELj4294967295EEENS1_25partition_config_selectorILNS1_17partition_subalgoE4EjNS0_10empty_typeEbEEZZNS1_14partition_implILS8_4ELb0ES6_15HIP_vector_typeIjLj2EENS0_17counting_iteratorIjlEEPS9_SG_NS0_5tupleIJPjSI_NS0_16reverse_iteratorISI_EEEEENSH_IJSG_SG_SG_EEES9_SI_JZNS1_25segmented_radix_sort_implINS0_14default_configELb0EPKfPfPKlPlN2at6native12_GLOBAL__N_18offset_tEEE10hipError_tPvRmT1_PNSt15iterator_traitsIS12_E10value_typeET2_T3_PNS13_IS18_E10value_typeET4_jRbjT5_S1E_jjP12ihipStream_tbEUljE_ZNSN_ISO_Lb0ESQ_SR_ST_SU_SY_EESZ_S10_S11_S12_S16_S17_S18_S1B_S1C_jS1D_jS1E_S1E_jjS1G_bEUljE0_EEESZ_S10_S11_S18_S1C_S1E_T6_T7_T9_mT8_S1G_bDpT10_ENKUlT_T0_E_clISt17integral_constantIbLb1EES1T_IbLb0EEEEDaS1P_S1Q_EUlS1P_E_NS1_11comp_targetILNS1_3genE2ELNS1_11target_archE906ELNS1_3gpuE6ELNS1_3repE0EEENS1_30default_config_static_selectorELNS0_4arch9wavefront6targetE0EEEvS12_,comdat
	.globl	_ZN7rocprim17ROCPRIM_400000_NS6detail17trampoline_kernelINS0_13select_configILj256ELj13ELNS0_17block_load_methodE3ELS4_3ELS4_3ELNS0_20block_scan_algorithmE0ELj4294967295EEENS1_25partition_config_selectorILNS1_17partition_subalgoE4EjNS0_10empty_typeEbEEZZNS1_14partition_implILS8_4ELb0ES6_15HIP_vector_typeIjLj2EENS0_17counting_iteratorIjlEEPS9_SG_NS0_5tupleIJPjSI_NS0_16reverse_iteratorISI_EEEEENSH_IJSG_SG_SG_EEES9_SI_JZNS1_25segmented_radix_sort_implINS0_14default_configELb0EPKfPfPKlPlN2at6native12_GLOBAL__N_18offset_tEEE10hipError_tPvRmT1_PNSt15iterator_traitsIS12_E10value_typeET2_T3_PNS13_IS18_E10value_typeET4_jRbjT5_S1E_jjP12ihipStream_tbEUljE_ZNSN_ISO_Lb0ESQ_SR_ST_SU_SY_EESZ_S10_S11_S12_S16_S17_S18_S1B_S1C_jS1D_jS1E_S1E_jjS1G_bEUljE0_EEESZ_S10_S11_S18_S1C_S1E_T6_T7_T9_mT8_S1G_bDpT10_ENKUlT_T0_E_clISt17integral_constantIbLb1EES1T_IbLb0EEEEDaS1P_S1Q_EUlS1P_E_NS1_11comp_targetILNS1_3genE2ELNS1_11target_archE906ELNS1_3gpuE6ELNS1_3repE0EEENS1_30default_config_static_selectorELNS0_4arch9wavefront6targetE0EEEvS12_ ; -- Begin function _ZN7rocprim17ROCPRIM_400000_NS6detail17trampoline_kernelINS0_13select_configILj256ELj13ELNS0_17block_load_methodE3ELS4_3ELS4_3ELNS0_20block_scan_algorithmE0ELj4294967295EEENS1_25partition_config_selectorILNS1_17partition_subalgoE4EjNS0_10empty_typeEbEEZZNS1_14partition_implILS8_4ELb0ES6_15HIP_vector_typeIjLj2EENS0_17counting_iteratorIjlEEPS9_SG_NS0_5tupleIJPjSI_NS0_16reverse_iteratorISI_EEEEENSH_IJSG_SG_SG_EEES9_SI_JZNS1_25segmented_radix_sort_implINS0_14default_configELb0EPKfPfPKlPlN2at6native12_GLOBAL__N_18offset_tEEE10hipError_tPvRmT1_PNSt15iterator_traitsIS12_E10value_typeET2_T3_PNS13_IS18_E10value_typeET4_jRbjT5_S1E_jjP12ihipStream_tbEUljE_ZNSN_ISO_Lb0ESQ_SR_ST_SU_SY_EESZ_S10_S11_S12_S16_S17_S18_S1B_S1C_jS1D_jS1E_S1E_jjS1G_bEUljE0_EEESZ_S10_S11_S18_S1C_S1E_T6_T7_T9_mT8_S1G_bDpT10_ENKUlT_T0_E_clISt17integral_constantIbLb1EES1T_IbLb0EEEEDaS1P_S1Q_EUlS1P_E_NS1_11comp_targetILNS1_3genE2ELNS1_11target_archE906ELNS1_3gpuE6ELNS1_3repE0EEENS1_30default_config_static_selectorELNS0_4arch9wavefront6targetE0EEEvS12_
	.p2align	8
	.type	_ZN7rocprim17ROCPRIM_400000_NS6detail17trampoline_kernelINS0_13select_configILj256ELj13ELNS0_17block_load_methodE3ELS4_3ELS4_3ELNS0_20block_scan_algorithmE0ELj4294967295EEENS1_25partition_config_selectorILNS1_17partition_subalgoE4EjNS0_10empty_typeEbEEZZNS1_14partition_implILS8_4ELb0ES6_15HIP_vector_typeIjLj2EENS0_17counting_iteratorIjlEEPS9_SG_NS0_5tupleIJPjSI_NS0_16reverse_iteratorISI_EEEEENSH_IJSG_SG_SG_EEES9_SI_JZNS1_25segmented_radix_sort_implINS0_14default_configELb0EPKfPfPKlPlN2at6native12_GLOBAL__N_18offset_tEEE10hipError_tPvRmT1_PNSt15iterator_traitsIS12_E10value_typeET2_T3_PNS13_IS18_E10value_typeET4_jRbjT5_S1E_jjP12ihipStream_tbEUljE_ZNSN_ISO_Lb0ESQ_SR_ST_SU_SY_EESZ_S10_S11_S12_S16_S17_S18_S1B_S1C_jS1D_jS1E_S1E_jjS1G_bEUljE0_EEESZ_S10_S11_S18_S1C_S1E_T6_T7_T9_mT8_S1G_bDpT10_ENKUlT_T0_E_clISt17integral_constantIbLb1EES1T_IbLb0EEEEDaS1P_S1Q_EUlS1P_E_NS1_11comp_targetILNS1_3genE2ELNS1_11target_archE906ELNS1_3gpuE6ELNS1_3repE0EEENS1_30default_config_static_selectorELNS0_4arch9wavefront6targetE0EEEvS12_,@function
_ZN7rocprim17ROCPRIM_400000_NS6detail17trampoline_kernelINS0_13select_configILj256ELj13ELNS0_17block_load_methodE3ELS4_3ELS4_3ELNS0_20block_scan_algorithmE0ELj4294967295EEENS1_25partition_config_selectorILNS1_17partition_subalgoE4EjNS0_10empty_typeEbEEZZNS1_14partition_implILS8_4ELb0ES6_15HIP_vector_typeIjLj2EENS0_17counting_iteratorIjlEEPS9_SG_NS0_5tupleIJPjSI_NS0_16reverse_iteratorISI_EEEEENSH_IJSG_SG_SG_EEES9_SI_JZNS1_25segmented_radix_sort_implINS0_14default_configELb0EPKfPfPKlPlN2at6native12_GLOBAL__N_18offset_tEEE10hipError_tPvRmT1_PNSt15iterator_traitsIS12_E10value_typeET2_T3_PNS13_IS18_E10value_typeET4_jRbjT5_S1E_jjP12ihipStream_tbEUljE_ZNSN_ISO_Lb0ESQ_SR_ST_SU_SY_EESZ_S10_S11_S12_S16_S17_S18_S1B_S1C_jS1D_jS1E_S1E_jjS1G_bEUljE0_EEESZ_S10_S11_S18_S1C_S1E_T6_T7_T9_mT8_S1G_bDpT10_ENKUlT_T0_E_clISt17integral_constantIbLb1EES1T_IbLb0EEEEDaS1P_S1Q_EUlS1P_E_NS1_11comp_targetILNS1_3genE2ELNS1_11target_archE906ELNS1_3gpuE6ELNS1_3repE0EEENS1_30default_config_static_selectorELNS0_4arch9wavefront6targetE0EEEvS12_: ; @_ZN7rocprim17ROCPRIM_400000_NS6detail17trampoline_kernelINS0_13select_configILj256ELj13ELNS0_17block_load_methodE3ELS4_3ELS4_3ELNS0_20block_scan_algorithmE0ELj4294967295EEENS1_25partition_config_selectorILNS1_17partition_subalgoE4EjNS0_10empty_typeEbEEZZNS1_14partition_implILS8_4ELb0ES6_15HIP_vector_typeIjLj2EENS0_17counting_iteratorIjlEEPS9_SG_NS0_5tupleIJPjSI_NS0_16reverse_iteratorISI_EEEEENSH_IJSG_SG_SG_EEES9_SI_JZNS1_25segmented_radix_sort_implINS0_14default_configELb0EPKfPfPKlPlN2at6native12_GLOBAL__N_18offset_tEEE10hipError_tPvRmT1_PNSt15iterator_traitsIS12_E10value_typeET2_T3_PNS13_IS18_E10value_typeET4_jRbjT5_S1E_jjP12ihipStream_tbEUljE_ZNSN_ISO_Lb0ESQ_SR_ST_SU_SY_EESZ_S10_S11_S12_S16_S17_S18_S1B_S1C_jS1D_jS1E_S1E_jjS1G_bEUljE0_EEESZ_S10_S11_S18_S1C_S1E_T6_T7_T9_mT8_S1G_bDpT10_ENKUlT_T0_E_clISt17integral_constantIbLb1EES1T_IbLb0EEEEDaS1P_S1Q_EUlS1P_E_NS1_11comp_targetILNS1_3genE2ELNS1_11target_archE906ELNS1_3gpuE6ELNS1_3repE0EEENS1_30default_config_static_selectorELNS0_4arch9wavefront6targetE0EEEvS12_
; %bb.0:
	.section	.rodata,"a",@progbits
	.p2align	6, 0x0
	.amdhsa_kernel _ZN7rocprim17ROCPRIM_400000_NS6detail17trampoline_kernelINS0_13select_configILj256ELj13ELNS0_17block_load_methodE3ELS4_3ELS4_3ELNS0_20block_scan_algorithmE0ELj4294967295EEENS1_25partition_config_selectorILNS1_17partition_subalgoE4EjNS0_10empty_typeEbEEZZNS1_14partition_implILS8_4ELb0ES6_15HIP_vector_typeIjLj2EENS0_17counting_iteratorIjlEEPS9_SG_NS0_5tupleIJPjSI_NS0_16reverse_iteratorISI_EEEEENSH_IJSG_SG_SG_EEES9_SI_JZNS1_25segmented_radix_sort_implINS0_14default_configELb0EPKfPfPKlPlN2at6native12_GLOBAL__N_18offset_tEEE10hipError_tPvRmT1_PNSt15iterator_traitsIS12_E10value_typeET2_T3_PNS13_IS18_E10value_typeET4_jRbjT5_S1E_jjP12ihipStream_tbEUljE_ZNSN_ISO_Lb0ESQ_SR_ST_SU_SY_EESZ_S10_S11_S12_S16_S17_S18_S1B_S1C_jS1D_jS1E_S1E_jjS1G_bEUljE0_EEESZ_S10_S11_S18_S1C_S1E_T6_T7_T9_mT8_S1G_bDpT10_ENKUlT_T0_E_clISt17integral_constantIbLb1EES1T_IbLb0EEEEDaS1P_S1Q_EUlS1P_E_NS1_11comp_targetILNS1_3genE2ELNS1_11target_archE906ELNS1_3gpuE6ELNS1_3repE0EEENS1_30default_config_static_selectorELNS0_4arch9wavefront6targetE0EEEvS12_
		.amdhsa_group_segment_fixed_size 0
		.amdhsa_private_segment_fixed_size 0
		.amdhsa_kernarg_size 176
		.amdhsa_user_sgpr_count 2
		.amdhsa_user_sgpr_dispatch_ptr 0
		.amdhsa_user_sgpr_queue_ptr 0
		.amdhsa_user_sgpr_kernarg_segment_ptr 1
		.amdhsa_user_sgpr_dispatch_id 0
		.amdhsa_user_sgpr_private_segment_size 0
		.amdhsa_wavefront_size32 1
		.amdhsa_uses_dynamic_stack 0
		.amdhsa_enable_private_segment 0
		.amdhsa_system_sgpr_workgroup_id_x 1
		.amdhsa_system_sgpr_workgroup_id_y 0
		.amdhsa_system_sgpr_workgroup_id_z 0
		.amdhsa_system_sgpr_workgroup_info 0
		.amdhsa_system_vgpr_workitem_id 0
		.amdhsa_next_free_vgpr 1
		.amdhsa_next_free_sgpr 1
		.amdhsa_reserve_vcc 0
		.amdhsa_float_round_mode_32 0
		.amdhsa_float_round_mode_16_64 0
		.amdhsa_float_denorm_mode_32 3
		.amdhsa_float_denorm_mode_16_64 3
		.amdhsa_fp16_overflow 0
		.amdhsa_workgroup_processor_mode 1
		.amdhsa_memory_ordered 1
		.amdhsa_forward_progress 1
		.amdhsa_inst_pref_size 0
		.amdhsa_round_robin_scheduling 0
		.amdhsa_exception_fp_ieee_invalid_op 0
		.amdhsa_exception_fp_denorm_src 0
		.amdhsa_exception_fp_ieee_div_zero 0
		.amdhsa_exception_fp_ieee_overflow 0
		.amdhsa_exception_fp_ieee_underflow 0
		.amdhsa_exception_fp_ieee_inexact 0
		.amdhsa_exception_int_div_zero 0
	.end_amdhsa_kernel
	.section	.text._ZN7rocprim17ROCPRIM_400000_NS6detail17trampoline_kernelINS0_13select_configILj256ELj13ELNS0_17block_load_methodE3ELS4_3ELS4_3ELNS0_20block_scan_algorithmE0ELj4294967295EEENS1_25partition_config_selectorILNS1_17partition_subalgoE4EjNS0_10empty_typeEbEEZZNS1_14partition_implILS8_4ELb0ES6_15HIP_vector_typeIjLj2EENS0_17counting_iteratorIjlEEPS9_SG_NS0_5tupleIJPjSI_NS0_16reverse_iteratorISI_EEEEENSH_IJSG_SG_SG_EEES9_SI_JZNS1_25segmented_radix_sort_implINS0_14default_configELb0EPKfPfPKlPlN2at6native12_GLOBAL__N_18offset_tEEE10hipError_tPvRmT1_PNSt15iterator_traitsIS12_E10value_typeET2_T3_PNS13_IS18_E10value_typeET4_jRbjT5_S1E_jjP12ihipStream_tbEUljE_ZNSN_ISO_Lb0ESQ_SR_ST_SU_SY_EESZ_S10_S11_S12_S16_S17_S18_S1B_S1C_jS1D_jS1E_S1E_jjS1G_bEUljE0_EEESZ_S10_S11_S18_S1C_S1E_T6_T7_T9_mT8_S1G_bDpT10_ENKUlT_T0_E_clISt17integral_constantIbLb1EES1T_IbLb0EEEEDaS1P_S1Q_EUlS1P_E_NS1_11comp_targetILNS1_3genE2ELNS1_11target_archE906ELNS1_3gpuE6ELNS1_3repE0EEENS1_30default_config_static_selectorELNS0_4arch9wavefront6targetE0EEEvS12_,"axG",@progbits,_ZN7rocprim17ROCPRIM_400000_NS6detail17trampoline_kernelINS0_13select_configILj256ELj13ELNS0_17block_load_methodE3ELS4_3ELS4_3ELNS0_20block_scan_algorithmE0ELj4294967295EEENS1_25partition_config_selectorILNS1_17partition_subalgoE4EjNS0_10empty_typeEbEEZZNS1_14partition_implILS8_4ELb0ES6_15HIP_vector_typeIjLj2EENS0_17counting_iteratorIjlEEPS9_SG_NS0_5tupleIJPjSI_NS0_16reverse_iteratorISI_EEEEENSH_IJSG_SG_SG_EEES9_SI_JZNS1_25segmented_radix_sort_implINS0_14default_configELb0EPKfPfPKlPlN2at6native12_GLOBAL__N_18offset_tEEE10hipError_tPvRmT1_PNSt15iterator_traitsIS12_E10value_typeET2_T3_PNS13_IS18_E10value_typeET4_jRbjT5_S1E_jjP12ihipStream_tbEUljE_ZNSN_ISO_Lb0ESQ_SR_ST_SU_SY_EESZ_S10_S11_S12_S16_S17_S18_S1B_S1C_jS1D_jS1E_S1E_jjS1G_bEUljE0_EEESZ_S10_S11_S18_S1C_S1E_T6_T7_T9_mT8_S1G_bDpT10_ENKUlT_T0_E_clISt17integral_constantIbLb1EES1T_IbLb0EEEEDaS1P_S1Q_EUlS1P_E_NS1_11comp_targetILNS1_3genE2ELNS1_11target_archE906ELNS1_3gpuE6ELNS1_3repE0EEENS1_30default_config_static_selectorELNS0_4arch9wavefront6targetE0EEEvS12_,comdat
.Lfunc_end1384:
	.size	_ZN7rocprim17ROCPRIM_400000_NS6detail17trampoline_kernelINS0_13select_configILj256ELj13ELNS0_17block_load_methodE3ELS4_3ELS4_3ELNS0_20block_scan_algorithmE0ELj4294967295EEENS1_25partition_config_selectorILNS1_17partition_subalgoE4EjNS0_10empty_typeEbEEZZNS1_14partition_implILS8_4ELb0ES6_15HIP_vector_typeIjLj2EENS0_17counting_iteratorIjlEEPS9_SG_NS0_5tupleIJPjSI_NS0_16reverse_iteratorISI_EEEEENSH_IJSG_SG_SG_EEES9_SI_JZNS1_25segmented_radix_sort_implINS0_14default_configELb0EPKfPfPKlPlN2at6native12_GLOBAL__N_18offset_tEEE10hipError_tPvRmT1_PNSt15iterator_traitsIS12_E10value_typeET2_T3_PNS13_IS18_E10value_typeET4_jRbjT5_S1E_jjP12ihipStream_tbEUljE_ZNSN_ISO_Lb0ESQ_SR_ST_SU_SY_EESZ_S10_S11_S12_S16_S17_S18_S1B_S1C_jS1D_jS1E_S1E_jjS1G_bEUljE0_EEESZ_S10_S11_S18_S1C_S1E_T6_T7_T9_mT8_S1G_bDpT10_ENKUlT_T0_E_clISt17integral_constantIbLb1EES1T_IbLb0EEEEDaS1P_S1Q_EUlS1P_E_NS1_11comp_targetILNS1_3genE2ELNS1_11target_archE906ELNS1_3gpuE6ELNS1_3repE0EEENS1_30default_config_static_selectorELNS0_4arch9wavefront6targetE0EEEvS12_, .Lfunc_end1384-_ZN7rocprim17ROCPRIM_400000_NS6detail17trampoline_kernelINS0_13select_configILj256ELj13ELNS0_17block_load_methodE3ELS4_3ELS4_3ELNS0_20block_scan_algorithmE0ELj4294967295EEENS1_25partition_config_selectorILNS1_17partition_subalgoE4EjNS0_10empty_typeEbEEZZNS1_14partition_implILS8_4ELb0ES6_15HIP_vector_typeIjLj2EENS0_17counting_iteratorIjlEEPS9_SG_NS0_5tupleIJPjSI_NS0_16reverse_iteratorISI_EEEEENSH_IJSG_SG_SG_EEES9_SI_JZNS1_25segmented_radix_sort_implINS0_14default_configELb0EPKfPfPKlPlN2at6native12_GLOBAL__N_18offset_tEEE10hipError_tPvRmT1_PNSt15iterator_traitsIS12_E10value_typeET2_T3_PNS13_IS18_E10value_typeET4_jRbjT5_S1E_jjP12ihipStream_tbEUljE_ZNSN_ISO_Lb0ESQ_SR_ST_SU_SY_EESZ_S10_S11_S12_S16_S17_S18_S1B_S1C_jS1D_jS1E_S1E_jjS1G_bEUljE0_EEESZ_S10_S11_S18_S1C_S1E_T6_T7_T9_mT8_S1G_bDpT10_ENKUlT_T0_E_clISt17integral_constantIbLb1EES1T_IbLb0EEEEDaS1P_S1Q_EUlS1P_E_NS1_11comp_targetILNS1_3genE2ELNS1_11target_archE906ELNS1_3gpuE6ELNS1_3repE0EEENS1_30default_config_static_selectorELNS0_4arch9wavefront6targetE0EEEvS12_
                                        ; -- End function
	.set _ZN7rocprim17ROCPRIM_400000_NS6detail17trampoline_kernelINS0_13select_configILj256ELj13ELNS0_17block_load_methodE3ELS4_3ELS4_3ELNS0_20block_scan_algorithmE0ELj4294967295EEENS1_25partition_config_selectorILNS1_17partition_subalgoE4EjNS0_10empty_typeEbEEZZNS1_14partition_implILS8_4ELb0ES6_15HIP_vector_typeIjLj2EENS0_17counting_iteratorIjlEEPS9_SG_NS0_5tupleIJPjSI_NS0_16reverse_iteratorISI_EEEEENSH_IJSG_SG_SG_EEES9_SI_JZNS1_25segmented_radix_sort_implINS0_14default_configELb0EPKfPfPKlPlN2at6native12_GLOBAL__N_18offset_tEEE10hipError_tPvRmT1_PNSt15iterator_traitsIS12_E10value_typeET2_T3_PNS13_IS18_E10value_typeET4_jRbjT5_S1E_jjP12ihipStream_tbEUljE_ZNSN_ISO_Lb0ESQ_SR_ST_SU_SY_EESZ_S10_S11_S12_S16_S17_S18_S1B_S1C_jS1D_jS1E_S1E_jjS1G_bEUljE0_EEESZ_S10_S11_S18_S1C_S1E_T6_T7_T9_mT8_S1G_bDpT10_ENKUlT_T0_E_clISt17integral_constantIbLb1EES1T_IbLb0EEEEDaS1P_S1Q_EUlS1P_E_NS1_11comp_targetILNS1_3genE2ELNS1_11target_archE906ELNS1_3gpuE6ELNS1_3repE0EEENS1_30default_config_static_selectorELNS0_4arch9wavefront6targetE0EEEvS12_.num_vgpr, 0
	.set _ZN7rocprim17ROCPRIM_400000_NS6detail17trampoline_kernelINS0_13select_configILj256ELj13ELNS0_17block_load_methodE3ELS4_3ELS4_3ELNS0_20block_scan_algorithmE0ELj4294967295EEENS1_25partition_config_selectorILNS1_17partition_subalgoE4EjNS0_10empty_typeEbEEZZNS1_14partition_implILS8_4ELb0ES6_15HIP_vector_typeIjLj2EENS0_17counting_iteratorIjlEEPS9_SG_NS0_5tupleIJPjSI_NS0_16reverse_iteratorISI_EEEEENSH_IJSG_SG_SG_EEES9_SI_JZNS1_25segmented_radix_sort_implINS0_14default_configELb0EPKfPfPKlPlN2at6native12_GLOBAL__N_18offset_tEEE10hipError_tPvRmT1_PNSt15iterator_traitsIS12_E10value_typeET2_T3_PNS13_IS18_E10value_typeET4_jRbjT5_S1E_jjP12ihipStream_tbEUljE_ZNSN_ISO_Lb0ESQ_SR_ST_SU_SY_EESZ_S10_S11_S12_S16_S17_S18_S1B_S1C_jS1D_jS1E_S1E_jjS1G_bEUljE0_EEESZ_S10_S11_S18_S1C_S1E_T6_T7_T9_mT8_S1G_bDpT10_ENKUlT_T0_E_clISt17integral_constantIbLb1EES1T_IbLb0EEEEDaS1P_S1Q_EUlS1P_E_NS1_11comp_targetILNS1_3genE2ELNS1_11target_archE906ELNS1_3gpuE6ELNS1_3repE0EEENS1_30default_config_static_selectorELNS0_4arch9wavefront6targetE0EEEvS12_.num_agpr, 0
	.set _ZN7rocprim17ROCPRIM_400000_NS6detail17trampoline_kernelINS0_13select_configILj256ELj13ELNS0_17block_load_methodE3ELS4_3ELS4_3ELNS0_20block_scan_algorithmE0ELj4294967295EEENS1_25partition_config_selectorILNS1_17partition_subalgoE4EjNS0_10empty_typeEbEEZZNS1_14partition_implILS8_4ELb0ES6_15HIP_vector_typeIjLj2EENS0_17counting_iteratorIjlEEPS9_SG_NS0_5tupleIJPjSI_NS0_16reverse_iteratorISI_EEEEENSH_IJSG_SG_SG_EEES9_SI_JZNS1_25segmented_radix_sort_implINS0_14default_configELb0EPKfPfPKlPlN2at6native12_GLOBAL__N_18offset_tEEE10hipError_tPvRmT1_PNSt15iterator_traitsIS12_E10value_typeET2_T3_PNS13_IS18_E10value_typeET4_jRbjT5_S1E_jjP12ihipStream_tbEUljE_ZNSN_ISO_Lb0ESQ_SR_ST_SU_SY_EESZ_S10_S11_S12_S16_S17_S18_S1B_S1C_jS1D_jS1E_S1E_jjS1G_bEUljE0_EEESZ_S10_S11_S18_S1C_S1E_T6_T7_T9_mT8_S1G_bDpT10_ENKUlT_T0_E_clISt17integral_constantIbLb1EES1T_IbLb0EEEEDaS1P_S1Q_EUlS1P_E_NS1_11comp_targetILNS1_3genE2ELNS1_11target_archE906ELNS1_3gpuE6ELNS1_3repE0EEENS1_30default_config_static_selectorELNS0_4arch9wavefront6targetE0EEEvS12_.numbered_sgpr, 0
	.set _ZN7rocprim17ROCPRIM_400000_NS6detail17trampoline_kernelINS0_13select_configILj256ELj13ELNS0_17block_load_methodE3ELS4_3ELS4_3ELNS0_20block_scan_algorithmE0ELj4294967295EEENS1_25partition_config_selectorILNS1_17partition_subalgoE4EjNS0_10empty_typeEbEEZZNS1_14partition_implILS8_4ELb0ES6_15HIP_vector_typeIjLj2EENS0_17counting_iteratorIjlEEPS9_SG_NS0_5tupleIJPjSI_NS0_16reverse_iteratorISI_EEEEENSH_IJSG_SG_SG_EEES9_SI_JZNS1_25segmented_radix_sort_implINS0_14default_configELb0EPKfPfPKlPlN2at6native12_GLOBAL__N_18offset_tEEE10hipError_tPvRmT1_PNSt15iterator_traitsIS12_E10value_typeET2_T3_PNS13_IS18_E10value_typeET4_jRbjT5_S1E_jjP12ihipStream_tbEUljE_ZNSN_ISO_Lb0ESQ_SR_ST_SU_SY_EESZ_S10_S11_S12_S16_S17_S18_S1B_S1C_jS1D_jS1E_S1E_jjS1G_bEUljE0_EEESZ_S10_S11_S18_S1C_S1E_T6_T7_T9_mT8_S1G_bDpT10_ENKUlT_T0_E_clISt17integral_constantIbLb1EES1T_IbLb0EEEEDaS1P_S1Q_EUlS1P_E_NS1_11comp_targetILNS1_3genE2ELNS1_11target_archE906ELNS1_3gpuE6ELNS1_3repE0EEENS1_30default_config_static_selectorELNS0_4arch9wavefront6targetE0EEEvS12_.num_named_barrier, 0
	.set _ZN7rocprim17ROCPRIM_400000_NS6detail17trampoline_kernelINS0_13select_configILj256ELj13ELNS0_17block_load_methodE3ELS4_3ELS4_3ELNS0_20block_scan_algorithmE0ELj4294967295EEENS1_25partition_config_selectorILNS1_17partition_subalgoE4EjNS0_10empty_typeEbEEZZNS1_14partition_implILS8_4ELb0ES6_15HIP_vector_typeIjLj2EENS0_17counting_iteratorIjlEEPS9_SG_NS0_5tupleIJPjSI_NS0_16reverse_iteratorISI_EEEEENSH_IJSG_SG_SG_EEES9_SI_JZNS1_25segmented_radix_sort_implINS0_14default_configELb0EPKfPfPKlPlN2at6native12_GLOBAL__N_18offset_tEEE10hipError_tPvRmT1_PNSt15iterator_traitsIS12_E10value_typeET2_T3_PNS13_IS18_E10value_typeET4_jRbjT5_S1E_jjP12ihipStream_tbEUljE_ZNSN_ISO_Lb0ESQ_SR_ST_SU_SY_EESZ_S10_S11_S12_S16_S17_S18_S1B_S1C_jS1D_jS1E_S1E_jjS1G_bEUljE0_EEESZ_S10_S11_S18_S1C_S1E_T6_T7_T9_mT8_S1G_bDpT10_ENKUlT_T0_E_clISt17integral_constantIbLb1EES1T_IbLb0EEEEDaS1P_S1Q_EUlS1P_E_NS1_11comp_targetILNS1_3genE2ELNS1_11target_archE906ELNS1_3gpuE6ELNS1_3repE0EEENS1_30default_config_static_selectorELNS0_4arch9wavefront6targetE0EEEvS12_.private_seg_size, 0
	.set _ZN7rocprim17ROCPRIM_400000_NS6detail17trampoline_kernelINS0_13select_configILj256ELj13ELNS0_17block_load_methodE3ELS4_3ELS4_3ELNS0_20block_scan_algorithmE0ELj4294967295EEENS1_25partition_config_selectorILNS1_17partition_subalgoE4EjNS0_10empty_typeEbEEZZNS1_14partition_implILS8_4ELb0ES6_15HIP_vector_typeIjLj2EENS0_17counting_iteratorIjlEEPS9_SG_NS0_5tupleIJPjSI_NS0_16reverse_iteratorISI_EEEEENSH_IJSG_SG_SG_EEES9_SI_JZNS1_25segmented_radix_sort_implINS0_14default_configELb0EPKfPfPKlPlN2at6native12_GLOBAL__N_18offset_tEEE10hipError_tPvRmT1_PNSt15iterator_traitsIS12_E10value_typeET2_T3_PNS13_IS18_E10value_typeET4_jRbjT5_S1E_jjP12ihipStream_tbEUljE_ZNSN_ISO_Lb0ESQ_SR_ST_SU_SY_EESZ_S10_S11_S12_S16_S17_S18_S1B_S1C_jS1D_jS1E_S1E_jjS1G_bEUljE0_EEESZ_S10_S11_S18_S1C_S1E_T6_T7_T9_mT8_S1G_bDpT10_ENKUlT_T0_E_clISt17integral_constantIbLb1EES1T_IbLb0EEEEDaS1P_S1Q_EUlS1P_E_NS1_11comp_targetILNS1_3genE2ELNS1_11target_archE906ELNS1_3gpuE6ELNS1_3repE0EEENS1_30default_config_static_selectorELNS0_4arch9wavefront6targetE0EEEvS12_.uses_vcc, 0
	.set _ZN7rocprim17ROCPRIM_400000_NS6detail17trampoline_kernelINS0_13select_configILj256ELj13ELNS0_17block_load_methodE3ELS4_3ELS4_3ELNS0_20block_scan_algorithmE0ELj4294967295EEENS1_25partition_config_selectorILNS1_17partition_subalgoE4EjNS0_10empty_typeEbEEZZNS1_14partition_implILS8_4ELb0ES6_15HIP_vector_typeIjLj2EENS0_17counting_iteratorIjlEEPS9_SG_NS0_5tupleIJPjSI_NS0_16reverse_iteratorISI_EEEEENSH_IJSG_SG_SG_EEES9_SI_JZNS1_25segmented_radix_sort_implINS0_14default_configELb0EPKfPfPKlPlN2at6native12_GLOBAL__N_18offset_tEEE10hipError_tPvRmT1_PNSt15iterator_traitsIS12_E10value_typeET2_T3_PNS13_IS18_E10value_typeET4_jRbjT5_S1E_jjP12ihipStream_tbEUljE_ZNSN_ISO_Lb0ESQ_SR_ST_SU_SY_EESZ_S10_S11_S12_S16_S17_S18_S1B_S1C_jS1D_jS1E_S1E_jjS1G_bEUljE0_EEESZ_S10_S11_S18_S1C_S1E_T6_T7_T9_mT8_S1G_bDpT10_ENKUlT_T0_E_clISt17integral_constantIbLb1EES1T_IbLb0EEEEDaS1P_S1Q_EUlS1P_E_NS1_11comp_targetILNS1_3genE2ELNS1_11target_archE906ELNS1_3gpuE6ELNS1_3repE0EEENS1_30default_config_static_selectorELNS0_4arch9wavefront6targetE0EEEvS12_.uses_flat_scratch, 0
	.set _ZN7rocprim17ROCPRIM_400000_NS6detail17trampoline_kernelINS0_13select_configILj256ELj13ELNS0_17block_load_methodE3ELS4_3ELS4_3ELNS0_20block_scan_algorithmE0ELj4294967295EEENS1_25partition_config_selectorILNS1_17partition_subalgoE4EjNS0_10empty_typeEbEEZZNS1_14partition_implILS8_4ELb0ES6_15HIP_vector_typeIjLj2EENS0_17counting_iteratorIjlEEPS9_SG_NS0_5tupleIJPjSI_NS0_16reverse_iteratorISI_EEEEENSH_IJSG_SG_SG_EEES9_SI_JZNS1_25segmented_radix_sort_implINS0_14default_configELb0EPKfPfPKlPlN2at6native12_GLOBAL__N_18offset_tEEE10hipError_tPvRmT1_PNSt15iterator_traitsIS12_E10value_typeET2_T3_PNS13_IS18_E10value_typeET4_jRbjT5_S1E_jjP12ihipStream_tbEUljE_ZNSN_ISO_Lb0ESQ_SR_ST_SU_SY_EESZ_S10_S11_S12_S16_S17_S18_S1B_S1C_jS1D_jS1E_S1E_jjS1G_bEUljE0_EEESZ_S10_S11_S18_S1C_S1E_T6_T7_T9_mT8_S1G_bDpT10_ENKUlT_T0_E_clISt17integral_constantIbLb1EES1T_IbLb0EEEEDaS1P_S1Q_EUlS1P_E_NS1_11comp_targetILNS1_3genE2ELNS1_11target_archE906ELNS1_3gpuE6ELNS1_3repE0EEENS1_30default_config_static_selectorELNS0_4arch9wavefront6targetE0EEEvS12_.has_dyn_sized_stack, 0
	.set _ZN7rocprim17ROCPRIM_400000_NS6detail17trampoline_kernelINS0_13select_configILj256ELj13ELNS0_17block_load_methodE3ELS4_3ELS4_3ELNS0_20block_scan_algorithmE0ELj4294967295EEENS1_25partition_config_selectorILNS1_17partition_subalgoE4EjNS0_10empty_typeEbEEZZNS1_14partition_implILS8_4ELb0ES6_15HIP_vector_typeIjLj2EENS0_17counting_iteratorIjlEEPS9_SG_NS0_5tupleIJPjSI_NS0_16reverse_iteratorISI_EEEEENSH_IJSG_SG_SG_EEES9_SI_JZNS1_25segmented_radix_sort_implINS0_14default_configELb0EPKfPfPKlPlN2at6native12_GLOBAL__N_18offset_tEEE10hipError_tPvRmT1_PNSt15iterator_traitsIS12_E10value_typeET2_T3_PNS13_IS18_E10value_typeET4_jRbjT5_S1E_jjP12ihipStream_tbEUljE_ZNSN_ISO_Lb0ESQ_SR_ST_SU_SY_EESZ_S10_S11_S12_S16_S17_S18_S1B_S1C_jS1D_jS1E_S1E_jjS1G_bEUljE0_EEESZ_S10_S11_S18_S1C_S1E_T6_T7_T9_mT8_S1G_bDpT10_ENKUlT_T0_E_clISt17integral_constantIbLb1EES1T_IbLb0EEEEDaS1P_S1Q_EUlS1P_E_NS1_11comp_targetILNS1_3genE2ELNS1_11target_archE906ELNS1_3gpuE6ELNS1_3repE0EEENS1_30default_config_static_selectorELNS0_4arch9wavefront6targetE0EEEvS12_.has_recursion, 0
	.set _ZN7rocprim17ROCPRIM_400000_NS6detail17trampoline_kernelINS0_13select_configILj256ELj13ELNS0_17block_load_methodE3ELS4_3ELS4_3ELNS0_20block_scan_algorithmE0ELj4294967295EEENS1_25partition_config_selectorILNS1_17partition_subalgoE4EjNS0_10empty_typeEbEEZZNS1_14partition_implILS8_4ELb0ES6_15HIP_vector_typeIjLj2EENS0_17counting_iteratorIjlEEPS9_SG_NS0_5tupleIJPjSI_NS0_16reverse_iteratorISI_EEEEENSH_IJSG_SG_SG_EEES9_SI_JZNS1_25segmented_radix_sort_implINS0_14default_configELb0EPKfPfPKlPlN2at6native12_GLOBAL__N_18offset_tEEE10hipError_tPvRmT1_PNSt15iterator_traitsIS12_E10value_typeET2_T3_PNS13_IS18_E10value_typeET4_jRbjT5_S1E_jjP12ihipStream_tbEUljE_ZNSN_ISO_Lb0ESQ_SR_ST_SU_SY_EESZ_S10_S11_S12_S16_S17_S18_S1B_S1C_jS1D_jS1E_S1E_jjS1G_bEUljE0_EEESZ_S10_S11_S18_S1C_S1E_T6_T7_T9_mT8_S1G_bDpT10_ENKUlT_T0_E_clISt17integral_constantIbLb1EES1T_IbLb0EEEEDaS1P_S1Q_EUlS1P_E_NS1_11comp_targetILNS1_3genE2ELNS1_11target_archE906ELNS1_3gpuE6ELNS1_3repE0EEENS1_30default_config_static_selectorELNS0_4arch9wavefront6targetE0EEEvS12_.has_indirect_call, 0
	.section	.AMDGPU.csdata,"",@progbits
; Kernel info:
; codeLenInByte = 0
; TotalNumSgprs: 0
; NumVgprs: 0
; ScratchSize: 0
; MemoryBound: 0
; FloatMode: 240
; IeeeMode: 1
; LDSByteSize: 0 bytes/workgroup (compile time only)
; SGPRBlocks: 0
; VGPRBlocks: 0
; NumSGPRsForWavesPerEU: 1
; NumVGPRsForWavesPerEU: 1
; Occupancy: 16
; WaveLimiterHint : 0
; COMPUTE_PGM_RSRC2:SCRATCH_EN: 0
; COMPUTE_PGM_RSRC2:USER_SGPR: 2
; COMPUTE_PGM_RSRC2:TRAP_HANDLER: 0
; COMPUTE_PGM_RSRC2:TGID_X_EN: 1
; COMPUTE_PGM_RSRC2:TGID_Y_EN: 0
; COMPUTE_PGM_RSRC2:TGID_Z_EN: 0
; COMPUTE_PGM_RSRC2:TIDIG_COMP_CNT: 0
	.section	.text._ZN7rocprim17ROCPRIM_400000_NS6detail17trampoline_kernelINS0_13select_configILj256ELj13ELNS0_17block_load_methodE3ELS4_3ELS4_3ELNS0_20block_scan_algorithmE0ELj4294967295EEENS1_25partition_config_selectorILNS1_17partition_subalgoE4EjNS0_10empty_typeEbEEZZNS1_14partition_implILS8_4ELb0ES6_15HIP_vector_typeIjLj2EENS0_17counting_iteratorIjlEEPS9_SG_NS0_5tupleIJPjSI_NS0_16reverse_iteratorISI_EEEEENSH_IJSG_SG_SG_EEES9_SI_JZNS1_25segmented_radix_sort_implINS0_14default_configELb0EPKfPfPKlPlN2at6native12_GLOBAL__N_18offset_tEEE10hipError_tPvRmT1_PNSt15iterator_traitsIS12_E10value_typeET2_T3_PNS13_IS18_E10value_typeET4_jRbjT5_S1E_jjP12ihipStream_tbEUljE_ZNSN_ISO_Lb0ESQ_SR_ST_SU_SY_EESZ_S10_S11_S12_S16_S17_S18_S1B_S1C_jS1D_jS1E_S1E_jjS1G_bEUljE0_EEESZ_S10_S11_S18_S1C_S1E_T6_T7_T9_mT8_S1G_bDpT10_ENKUlT_T0_E_clISt17integral_constantIbLb1EES1T_IbLb0EEEEDaS1P_S1Q_EUlS1P_E_NS1_11comp_targetILNS1_3genE10ELNS1_11target_archE1200ELNS1_3gpuE4ELNS1_3repE0EEENS1_30default_config_static_selectorELNS0_4arch9wavefront6targetE0EEEvS12_,"axG",@progbits,_ZN7rocprim17ROCPRIM_400000_NS6detail17trampoline_kernelINS0_13select_configILj256ELj13ELNS0_17block_load_methodE3ELS4_3ELS4_3ELNS0_20block_scan_algorithmE0ELj4294967295EEENS1_25partition_config_selectorILNS1_17partition_subalgoE4EjNS0_10empty_typeEbEEZZNS1_14partition_implILS8_4ELb0ES6_15HIP_vector_typeIjLj2EENS0_17counting_iteratorIjlEEPS9_SG_NS0_5tupleIJPjSI_NS0_16reverse_iteratorISI_EEEEENSH_IJSG_SG_SG_EEES9_SI_JZNS1_25segmented_radix_sort_implINS0_14default_configELb0EPKfPfPKlPlN2at6native12_GLOBAL__N_18offset_tEEE10hipError_tPvRmT1_PNSt15iterator_traitsIS12_E10value_typeET2_T3_PNS13_IS18_E10value_typeET4_jRbjT5_S1E_jjP12ihipStream_tbEUljE_ZNSN_ISO_Lb0ESQ_SR_ST_SU_SY_EESZ_S10_S11_S12_S16_S17_S18_S1B_S1C_jS1D_jS1E_S1E_jjS1G_bEUljE0_EEESZ_S10_S11_S18_S1C_S1E_T6_T7_T9_mT8_S1G_bDpT10_ENKUlT_T0_E_clISt17integral_constantIbLb1EES1T_IbLb0EEEEDaS1P_S1Q_EUlS1P_E_NS1_11comp_targetILNS1_3genE10ELNS1_11target_archE1200ELNS1_3gpuE4ELNS1_3repE0EEENS1_30default_config_static_selectorELNS0_4arch9wavefront6targetE0EEEvS12_,comdat
	.globl	_ZN7rocprim17ROCPRIM_400000_NS6detail17trampoline_kernelINS0_13select_configILj256ELj13ELNS0_17block_load_methodE3ELS4_3ELS4_3ELNS0_20block_scan_algorithmE0ELj4294967295EEENS1_25partition_config_selectorILNS1_17partition_subalgoE4EjNS0_10empty_typeEbEEZZNS1_14partition_implILS8_4ELb0ES6_15HIP_vector_typeIjLj2EENS0_17counting_iteratorIjlEEPS9_SG_NS0_5tupleIJPjSI_NS0_16reverse_iteratorISI_EEEEENSH_IJSG_SG_SG_EEES9_SI_JZNS1_25segmented_radix_sort_implINS0_14default_configELb0EPKfPfPKlPlN2at6native12_GLOBAL__N_18offset_tEEE10hipError_tPvRmT1_PNSt15iterator_traitsIS12_E10value_typeET2_T3_PNS13_IS18_E10value_typeET4_jRbjT5_S1E_jjP12ihipStream_tbEUljE_ZNSN_ISO_Lb0ESQ_SR_ST_SU_SY_EESZ_S10_S11_S12_S16_S17_S18_S1B_S1C_jS1D_jS1E_S1E_jjS1G_bEUljE0_EEESZ_S10_S11_S18_S1C_S1E_T6_T7_T9_mT8_S1G_bDpT10_ENKUlT_T0_E_clISt17integral_constantIbLb1EES1T_IbLb0EEEEDaS1P_S1Q_EUlS1P_E_NS1_11comp_targetILNS1_3genE10ELNS1_11target_archE1200ELNS1_3gpuE4ELNS1_3repE0EEENS1_30default_config_static_selectorELNS0_4arch9wavefront6targetE0EEEvS12_ ; -- Begin function _ZN7rocprim17ROCPRIM_400000_NS6detail17trampoline_kernelINS0_13select_configILj256ELj13ELNS0_17block_load_methodE3ELS4_3ELS4_3ELNS0_20block_scan_algorithmE0ELj4294967295EEENS1_25partition_config_selectorILNS1_17partition_subalgoE4EjNS0_10empty_typeEbEEZZNS1_14partition_implILS8_4ELb0ES6_15HIP_vector_typeIjLj2EENS0_17counting_iteratorIjlEEPS9_SG_NS0_5tupleIJPjSI_NS0_16reverse_iteratorISI_EEEEENSH_IJSG_SG_SG_EEES9_SI_JZNS1_25segmented_radix_sort_implINS0_14default_configELb0EPKfPfPKlPlN2at6native12_GLOBAL__N_18offset_tEEE10hipError_tPvRmT1_PNSt15iterator_traitsIS12_E10value_typeET2_T3_PNS13_IS18_E10value_typeET4_jRbjT5_S1E_jjP12ihipStream_tbEUljE_ZNSN_ISO_Lb0ESQ_SR_ST_SU_SY_EESZ_S10_S11_S12_S16_S17_S18_S1B_S1C_jS1D_jS1E_S1E_jjS1G_bEUljE0_EEESZ_S10_S11_S18_S1C_S1E_T6_T7_T9_mT8_S1G_bDpT10_ENKUlT_T0_E_clISt17integral_constantIbLb1EES1T_IbLb0EEEEDaS1P_S1Q_EUlS1P_E_NS1_11comp_targetILNS1_3genE10ELNS1_11target_archE1200ELNS1_3gpuE4ELNS1_3repE0EEENS1_30default_config_static_selectorELNS0_4arch9wavefront6targetE0EEEvS12_
	.p2align	8
	.type	_ZN7rocprim17ROCPRIM_400000_NS6detail17trampoline_kernelINS0_13select_configILj256ELj13ELNS0_17block_load_methodE3ELS4_3ELS4_3ELNS0_20block_scan_algorithmE0ELj4294967295EEENS1_25partition_config_selectorILNS1_17partition_subalgoE4EjNS0_10empty_typeEbEEZZNS1_14partition_implILS8_4ELb0ES6_15HIP_vector_typeIjLj2EENS0_17counting_iteratorIjlEEPS9_SG_NS0_5tupleIJPjSI_NS0_16reverse_iteratorISI_EEEEENSH_IJSG_SG_SG_EEES9_SI_JZNS1_25segmented_radix_sort_implINS0_14default_configELb0EPKfPfPKlPlN2at6native12_GLOBAL__N_18offset_tEEE10hipError_tPvRmT1_PNSt15iterator_traitsIS12_E10value_typeET2_T3_PNS13_IS18_E10value_typeET4_jRbjT5_S1E_jjP12ihipStream_tbEUljE_ZNSN_ISO_Lb0ESQ_SR_ST_SU_SY_EESZ_S10_S11_S12_S16_S17_S18_S1B_S1C_jS1D_jS1E_S1E_jjS1G_bEUljE0_EEESZ_S10_S11_S18_S1C_S1E_T6_T7_T9_mT8_S1G_bDpT10_ENKUlT_T0_E_clISt17integral_constantIbLb1EES1T_IbLb0EEEEDaS1P_S1Q_EUlS1P_E_NS1_11comp_targetILNS1_3genE10ELNS1_11target_archE1200ELNS1_3gpuE4ELNS1_3repE0EEENS1_30default_config_static_selectorELNS0_4arch9wavefront6targetE0EEEvS12_,@function
_ZN7rocprim17ROCPRIM_400000_NS6detail17trampoline_kernelINS0_13select_configILj256ELj13ELNS0_17block_load_methodE3ELS4_3ELS4_3ELNS0_20block_scan_algorithmE0ELj4294967295EEENS1_25partition_config_selectorILNS1_17partition_subalgoE4EjNS0_10empty_typeEbEEZZNS1_14partition_implILS8_4ELb0ES6_15HIP_vector_typeIjLj2EENS0_17counting_iteratorIjlEEPS9_SG_NS0_5tupleIJPjSI_NS0_16reverse_iteratorISI_EEEEENSH_IJSG_SG_SG_EEES9_SI_JZNS1_25segmented_radix_sort_implINS0_14default_configELb0EPKfPfPKlPlN2at6native12_GLOBAL__N_18offset_tEEE10hipError_tPvRmT1_PNSt15iterator_traitsIS12_E10value_typeET2_T3_PNS13_IS18_E10value_typeET4_jRbjT5_S1E_jjP12ihipStream_tbEUljE_ZNSN_ISO_Lb0ESQ_SR_ST_SU_SY_EESZ_S10_S11_S12_S16_S17_S18_S1B_S1C_jS1D_jS1E_S1E_jjS1G_bEUljE0_EEESZ_S10_S11_S18_S1C_S1E_T6_T7_T9_mT8_S1G_bDpT10_ENKUlT_T0_E_clISt17integral_constantIbLb1EES1T_IbLb0EEEEDaS1P_S1Q_EUlS1P_E_NS1_11comp_targetILNS1_3genE10ELNS1_11target_archE1200ELNS1_3gpuE4ELNS1_3repE0EEENS1_30default_config_static_selectorELNS0_4arch9wavefront6targetE0EEEvS12_: ; @_ZN7rocprim17ROCPRIM_400000_NS6detail17trampoline_kernelINS0_13select_configILj256ELj13ELNS0_17block_load_methodE3ELS4_3ELS4_3ELNS0_20block_scan_algorithmE0ELj4294967295EEENS1_25partition_config_selectorILNS1_17partition_subalgoE4EjNS0_10empty_typeEbEEZZNS1_14partition_implILS8_4ELb0ES6_15HIP_vector_typeIjLj2EENS0_17counting_iteratorIjlEEPS9_SG_NS0_5tupleIJPjSI_NS0_16reverse_iteratorISI_EEEEENSH_IJSG_SG_SG_EEES9_SI_JZNS1_25segmented_radix_sort_implINS0_14default_configELb0EPKfPfPKlPlN2at6native12_GLOBAL__N_18offset_tEEE10hipError_tPvRmT1_PNSt15iterator_traitsIS12_E10value_typeET2_T3_PNS13_IS18_E10value_typeET4_jRbjT5_S1E_jjP12ihipStream_tbEUljE_ZNSN_ISO_Lb0ESQ_SR_ST_SU_SY_EESZ_S10_S11_S12_S16_S17_S18_S1B_S1C_jS1D_jS1E_S1E_jjS1G_bEUljE0_EEESZ_S10_S11_S18_S1C_S1E_T6_T7_T9_mT8_S1G_bDpT10_ENKUlT_T0_E_clISt17integral_constantIbLb1EES1T_IbLb0EEEEDaS1P_S1Q_EUlS1P_E_NS1_11comp_targetILNS1_3genE10ELNS1_11target_archE1200ELNS1_3gpuE4ELNS1_3repE0EEENS1_30default_config_static_selectorELNS0_4arch9wavefront6targetE0EEEvS12_
; %bb.0:
	s_endpgm
	.section	.rodata,"a",@progbits
	.p2align	6, 0x0
	.amdhsa_kernel _ZN7rocprim17ROCPRIM_400000_NS6detail17trampoline_kernelINS0_13select_configILj256ELj13ELNS0_17block_load_methodE3ELS4_3ELS4_3ELNS0_20block_scan_algorithmE0ELj4294967295EEENS1_25partition_config_selectorILNS1_17partition_subalgoE4EjNS0_10empty_typeEbEEZZNS1_14partition_implILS8_4ELb0ES6_15HIP_vector_typeIjLj2EENS0_17counting_iteratorIjlEEPS9_SG_NS0_5tupleIJPjSI_NS0_16reverse_iteratorISI_EEEEENSH_IJSG_SG_SG_EEES9_SI_JZNS1_25segmented_radix_sort_implINS0_14default_configELb0EPKfPfPKlPlN2at6native12_GLOBAL__N_18offset_tEEE10hipError_tPvRmT1_PNSt15iterator_traitsIS12_E10value_typeET2_T3_PNS13_IS18_E10value_typeET4_jRbjT5_S1E_jjP12ihipStream_tbEUljE_ZNSN_ISO_Lb0ESQ_SR_ST_SU_SY_EESZ_S10_S11_S12_S16_S17_S18_S1B_S1C_jS1D_jS1E_S1E_jjS1G_bEUljE0_EEESZ_S10_S11_S18_S1C_S1E_T6_T7_T9_mT8_S1G_bDpT10_ENKUlT_T0_E_clISt17integral_constantIbLb1EES1T_IbLb0EEEEDaS1P_S1Q_EUlS1P_E_NS1_11comp_targetILNS1_3genE10ELNS1_11target_archE1200ELNS1_3gpuE4ELNS1_3repE0EEENS1_30default_config_static_selectorELNS0_4arch9wavefront6targetE0EEEvS12_
		.amdhsa_group_segment_fixed_size 0
		.amdhsa_private_segment_fixed_size 0
		.amdhsa_kernarg_size 176
		.amdhsa_user_sgpr_count 2
		.amdhsa_user_sgpr_dispatch_ptr 0
		.amdhsa_user_sgpr_queue_ptr 0
		.amdhsa_user_sgpr_kernarg_segment_ptr 1
		.amdhsa_user_sgpr_dispatch_id 0
		.amdhsa_user_sgpr_private_segment_size 0
		.amdhsa_wavefront_size32 1
		.amdhsa_uses_dynamic_stack 0
		.amdhsa_enable_private_segment 0
		.amdhsa_system_sgpr_workgroup_id_x 1
		.amdhsa_system_sgpr_workgroup_id_y 0
		.amdhsa_system_sgpr_workgroup_id_z 0
		.amdhsa_system_sgpr_workgroup_info 0
		.amdhsa_system_vgpr_workitem_id 0
		.amdhsa_next_free_vgpr 1
		.amdhsa_next_free_sgpr 1
		.amdhsa_reserve_vcc 0
		.amdhsa_float_round_mode_32 0
		.amdhsa_float_round_mode_16_64 0
		.amdhsa_float_denorm_mode_32 3
		.amdhsa_float_denorm_mode_16_64 3
		.amdhsa_fp16_overflow 0
		.amdhsa_workgroup_processor_mode 1
		.amdhsa_memory_ordered 1
		.amdhsa_forward_progress 1
		.amdhsa_inst_pref_size 1
		.amdhsa_round_robin_scheduling 0
		.amdhsa_exception_fp_ieee_invalid_op 0
		.amdhsa_exception_fp_denorm_src 0
		.amdhsa_exception_fp_ieee_div_zero 0
		.amdhsa_exception_fp_ieee_overflow 0
		.amdhsa_exception_fp_ieee_underflow 0
		.amdhsa_exception_fp_ieee_inexact 0
		.amdhsa_exception_int_div_zero 0
	.end_amdhsa_kernel
	.section	.text._ZN7rocprim17ROCPRIM_400000_NS6detail17trampoline_kernelINS0_13select_configILj256ELj13ELNS0_17block_load_methodE3ELS4_3ELS4_3ELNS0_20block_scan_algorithmE0ELj4294967295EEENS1_25partition_config_selectorILNS1_17partition_subalgoE4EjNS0_10empty_typeEbEEZZNS1_14partition_implILS8_4ELb0ES6_15HIP_vector_typeIjLj2EENS0_17counting_iteratorIjlEEPS9_SG_NS0_5tupleIJPjSI_NS0_16reverse_iteratorISI_EEEEENSH_IJSG_SG_SG_EEES9_SI_JZNS1_25segmented_radix_sort_implINS0_14default_configELb0EPKfPfPKlPlN2at6native12_GLOBAL__N_18offset_tEEE10hipError_tPvRmT1_PNSt15iterator_traitsIS12_E10value_typeET2_T3_PNS13_IS18_E10value_typeET4_jRbjT5_S1E_jjP12ihipStream_tbEUljE_ZNSN_ISO_Lb0ESQ_SR_ST_SU_SY_EESZ_S10_S11_S12_S16_S17_S18_S1B_S1C_jS1D_jS1E_S1E_jjS1G_bEUljE0_EEESZ_S10_S11_S18_S1C_S1E_T6_T7_T9_mT8_S1G_bDpT10_ENKUlT_T0_E_clISt17integral_constantIbLb1EES1T_IbLb0EEEEDaS1P_S1Q_EUlS1P_E_NS1_11comp_targetILNS1_3genE10ELNS1_11target_archE1200ELNS1_3gpuE4ELNS1_3repE0EEENS1_30default_config_static_selectorELNS0_4arch9wavefront6targetE0EEEvS12_,"axG",@progbits,_ZN7rocprim17ROCPRIM_400000_NS6detail17trampoline_kernelINS0_13select_configILj256ELj13ELNS0_17block_load_methodE3ELS4_3ELS4_3ELNS0_20block_scan_algorithmE0ELj4294967295EEENS1_25partition_config_selectorILNS1_17partition_subalgoE4EjNS0_10empty_typeEbEEZZNS1_14partition_implILS8_4ELb0ES6_15HIP_vector_typeIjLj2EENS0_17counting_iteratorIjlEEPS9_SG_NS0_5tupleIJPjSI_NS0_16reverse_iteratorISI_EEEEENSH_IJSG_SG_SG_EEES9_SI_JZNS1_25segmented_radix_sort_implINS0_14default_configELb0EPKfPfPKlPlN2at6native12_GLOBAL__N_18offset_tEEE10hipError_tPvRmT1_PNSt15iterator_traitsIS12_E10value_typeET2_T3_PNS13_IS18_E10value_typeET4_jRbjT5_S1E_jjP12ihipStream_tbEUljE_ZNSN_ISO_Lb0ESQ_SR_ST_SU_SY_EESZ_S10_S11_S12_S16_S17_S18_S1B_S1C_jS1D_jS1E_S1E_jjS1G_bEUljE0_EEESZ_S10_S11_S18_S1C_S1E_T6_T7_T9_mT8_S1G_bDpT10_ENKUlT_T0_E_clISt17integral_constantIbLb1EES1T_IbLb0EEEEDaS1P_S1Q_EUlS1P_E_NS1_11comp_targetILNS1_3genE10ELNS1_11target_archE1200ELNS1_3gpuE4ELNS1_3repE0EEENS1_30default_config_static_selectorELNS0_4arch9wavefront6targetE0EEEvS12_,comdat
.Lfunc_end1385:
	.size	_ZN7rocprim17ROCPRIM_400000_NS6detail17trampoline_kernelINS0_13select_configILj256ELj13ELNS0_17block_load_methodE3ELS4_3ELS4_3ELNS0_20block_scan_algorithmE0ELj4294967295EEENS1_25partition_config_selectorILNS1_17partition_subalgoE4EjNS0_10empty_typeEbEEZZNS1_14partition_implILS8_4ELb0ES6_15HIP_vector_typeIjLj2EENS0_17counting_iteratorIjlEEPS9_SG_NS0_5tupleIJPjSI_NS0_16reverse_iteratorISI_EEEEENSH_IJSG_SG_SG_EEES9_SI_JZNS1_25segmented_radix_sort_implINS0_14default_configELb0EPKfPfPKlPlN2at6native12_GLOBAL__N_18offset_tEEE10hipError_tPvRmT1_PNSt15iterator_traitsIS12_E10value_typeET2_T3_PNS13_IS18_E10value_typeET4_jRbjT5_S1E_jjP12ihipStream_tbEUljE_ZNSN_ISO_Lb0ESQ_SR_ST_SU_SY_EESZ_S10_S11_S12_S16_S17_S18_S1B_S1C_jS1D_jS1E_S1E_jjS1G_bEUljE0_EEESZ_S10_S11_S18_S1C_S1E_T6_T7_T9_mT8_S1G_bDpT10_ENKUlT_T0_E_clISt17integral_constantIbLb1EES1T_IbLb0EEEEDaS1P_S1Q_EUlS1P_E_NS1_11comp_targetILNS1_3genE10ELNS1_11target_archE1200ELNS1_3gpuE4ELNS1_3repE0EEENS1_30default_config_static_selectorELNS0_4arch9wavefront6targetE0EEEvS12_, .Lfunc_end1385-_ZN7rocprim17ROCPRIM_400000_NS6detail17trampoline_kernelINS0_13select_configILj256ELj13ELNS0_17block_load_methodE3ELS4_3ELS4_3ELNS0_20block_scan_algorithmE0ELj4294967295EEENS1_25partition_config_selectorILNS1_17partition_subalgoE4EjNS0_10empty_typeEbEEZZNS1_14partition_implILS8_4ELb0ES6_15HIP_vector_typeIjLj2EENS0_17counting_iteratorIjlEEPS9_SG_NS0_5tupleIJPjSI_NS0_16reverse_iteratorISI_EEEEENSH_IJSG_SG_SG_EEES9_SI_JZNS1_25segmented_radix_sort_implINS0_14default_configELb0EPKfPfPKlPlN2at6native12_GLOBAL__N_18offset_tEEE10hipError_tPvRmT1_PNSt15iterator_traitsIS12_E10value_typeET2_T3_PNS13_IS18_E10value_typeET4_jRbjT5_S1E_jjP12ihipStream_tbEUljE_ZNSN_ISO_Lb0ESQ_SR_ST_SU_SY_EESZ_S10_S11_S12_S16_S17_S18_S1B_S1C_jS1D_jS1E_S1E_jjS1G_bEUljE0_EEESZ_S10_S11_S18_S1C_S1E_T6_T7_T9_mT8_S1G_bDpT10_ENKUlT_T0_E_clISt17integral_constantIbLb1EES1T_IbLb0EEEEDaS1P_S1Q_EUlS1P_E_NS1_11comp_targetILNS1_3genE10ELNS1_11target_archE1200ELNS1_3gpuE4ELNS1_3repE0EEENS1_30default_config_static_selectorELNS0_4arch9wavefront6targetE0EEEvS12_
                                        ; -- End function
	.set _ZN7rocprim17ROCPRIM_400000_NS6detail17trampoline_kernelINS0_13select_configILj256ELj13ELNS0_17block_load_methodE3ELS4_3ELS4_3ELNS0_20block_scan_algorithmE0ELj4294967295EEENS1_25partition_config_selectorILNS1_17partition_subalgoE4EjNS0_10empty_typeEbEEZZNS1_14partition_implILS8_4ELb0ES6_15HIP_vector_typeIjLj2EENS0_17counting_iteratorIjlEEPS9_SG_NS0_5tupleIJPjSI_NS0_16reverse_iteratorISI_EEEEENSH_IJSG_SG_SG_EEES9_SI_JZNS1_25segmented_radix_sort_implINS0_14default_configELb0EPKfPfPKlPlN2at6native12_GLOBAL__N_18offset_tEEE10hipError_tPvRmT1_PNSt15iterator_traitsIS12_E10value_typeET2_T3_PNS13_IS18_E10value_typeET4_jRbjT5_S1E_jjP12ihipStream_tbEUljE_ZNSN_ISO_Lb0ESQ_SR_ST_SU_SY_EESZ_S10_S11_S12_S16_S17_S18_S1B_S1C_jS1D_jS1E_S1E_jjS1G_bEUljE0_EEESZ_S10_S11_S18_S1C_S1E_T6_T7_T9_mT8_S1G_bDpT10_ENKUlT_T0_E_clISt17integral_constantIbLb1EES1T_IbLb0EEEEDaS1P_S1Q_EUlS1P_E_NS1_11comp_targetILNS1_3genE10ELNS1_11target_archE1200ELNS1_3gpuE4ELNS1_3repE0EEENS1_30default_config_static_selectorELNS0_4arch9wavefront6targetE0EEEvS12_.num_vgpr, 0
	.set _ZN7rocprim17ROCPRIM_400000_NS6detail17trampoline_kernelINS0_13select_configILj256ELj13ELNS0_17block_load_methodE3ELS4_3ELS4_3ELNS0_20block_scan_algorithmE0ELj4294967295EEENS1_25partition_config_selectorILNS1_17partition_subalgoE4EjNS0_10empty_typeEbEEZZNS1_14partition_implILS8_4ELb0ES6_15HIP_vector_typeIjLj2EENS0_17counting_iteratorIjlEEPS9_SG_NS0_5tupleIJPjSI_NS0_16reverse_iteratorISI_EEEEENSH_IJSG_SG_SG_EEES9_SI_JZNS1_25segmented_radix_sort_implINS0_14default_configELb0EPKfPfPKlPlN2at6native12_GLOBAL__N_18offset_tEEE10hipError_tPvRmT1_PNSt15iterator_traitsIS12_E10value_typeET2_T3_PNS13_IS18_E10value_typeET4_jRbjT5_S1E_jjP12ihipStream_tbEUljE_ZNSN_ISO_Lb0ESQ_SR_ST_SU_SY_EESZ_S10_S11_S12_S16_S17_S18_S1B_S1C_jS1D_jS1E_S1E_jjS1G_bEUljE0_EEESZ_S10_S11_S18_S1C_S1E_T6_T7_T9_mT8_S1G_bDpT10_ENKUlT_T0_E_clISt17integral_constantIbLb1EES1T_IbLb0EEEEDaS1P_S1Q_EUlS1P_E_NS1_11comp_targetILNS1_3genE10ELNS1_11target_archE1200ELNS1_3gpuE4ELNS1_3repE0EEENS1_30default_config_static_selectorELNS0_4arch9wavefront6targetE0EEEvS12_.num_agpr, 0
	.set _ZN7rocprim17ROCPRIM_400000_NS6detail17trampoline_kernelINS0_13select_configILj256ELj13ELNS0_17block_load_methodE3ELS4_3ELS4_3ELNS0_20block_scan_algorithmE0ELj4294967295EEENS1_25partition_config_selectorILNS1_17partition_subalgoE4EjNS0_10empty_typeEbEEZZNS1_14partition_implILS8_4ELb0ES6_15HIP_vector_typeIjLj2EENS0_17counting_iteratorIjlEEPS9_SG_NS0_5tupleIJPjSI_NS0_16reverse_iteratorISI_EEEEENSH_IJSG_SG_SG_EEES9_SI_JZNS1_25segmented_radix_sort_implINS0_14default_configELb0EPKfPfPKlPlN2at6native12_GLOBAL__N_18offset_tEEE10hipError_tPvRmT1_PNSt15iterator_traitsIS12_E10value_typeET2_T3_PNS13_IS18_E10value_typeET4_jRbjT5_S1E_jjP12ihipStream_tbEUljE_ZNSN_ISO_Lb0ESQ_SR_ST_SU_SY_EESZ_S10_S11_S12_S16_S17_S18_S1B_S1C_jS1D_jS1E_S1E_jjS1G_bEUljE0_EEESZ_S10_S11_S18_S1C_S1E_T6_T7_T9_mT8_S1G_bDpT10_ENKUlT_T0_E_clISt17integral_constantIbLb1EES1T_IbLb0EEEEDaS1P_S1Q_EUlS1P_E_NS1_11comp_targetILNS1_3genE10ELNS1_11target_archE1200ELNS1_3gpuE4ELNS1_3repE0EEENS1_30default_config_static_selectorELNS0_4arch9wavefront6targetE0EEEvS12_.numbered_sgpr, 0
	.set _ZN7rocprim17ROCPRIM_400000_NS6detail17trampoline_kernelINS0_13select_configILj256ELj13ELNS0_17block_load_methodE3ELS4_3ELS4_3ELNS0_20block_scan_algorithmE0ELj4294967295EEENS1_25partition_config_selectorILNS1_17partition_subalgoE4EjNS0_10empty_typeEbEEZZNS1_14partition_implILS8_4ELb0ES6_15HIP_vector_typeIjLj2EENS0_17counting_iteratorIjlEEPS9_SG_NS0_5tupleIJPjSI_NS0_16reverse_iteratorISI_EEEEENSH_IJSG_SG_SG_EEES9_SI_JZNS1_25segmented_radix_sort_implINS0_14default_configELb0EPKfPfPKlPlN2at6native12_GLOBAL__N_18offset_tEEE10hipError_tPvRmT1_PNSt15iterator_traitsIS12_E10value_typeET2_T3_PNS13_IS18_E10value_typeET4_jRbjT5_S1E_jjP12ihipStream_tbEUljE_ZNSN_ISO_Lb0ESQ_SR_ST_SU_SY_EESZ_S10_S11_S12_S16_S17_S18_S1B_S1C_jS1D_jS1E_S1E_jjS1G_bEUljE0_EEESZ_S10_S11_S18_S1C_S1E_T6_T7_T9_mT8_S1G_bDpT10_ENKUlT_T0_E_clISt17integral_constantIbLb1EES1T_IbLb0EEEEDaS1P_S1Q_EUlS1P_E_NS1_11comp_targetILNS1_3genE10ELNS1_11target_archE1200ELNS1_3gpuE4ELNS1_3repE0EEENS1_30default_config_static_selectorELNS0_4arch9wavefront6targetE0EEEvS12_.num_named_barrier, 0
	.set _ZN7rocprim17ROCPRIM_400000_NS6detail17trampoline_kernelINS0_13select_configILj256ELj13ELNS0_17block_load_methodE3ELS4_3ELS4_3ELNS0_20block_scan_algorithmE0ELj4294967295EEENS1_25partition_config_selectorILNS1_17partition_subalgoE4EjNS0_10empty_typeEbEEZZNS1_14partition_implILS8_4ELb0ES6_15HIP_vector_typeIjLj2EENS0_17counting_iteratorIjlEEPS9_SG_NS0_5tupleIJPjSI_NS0_16reverse_iteratorISI_EEEEENSH_IJSG_SG_SG_EEES9_SI_JZNS1_25segmented_radix_sort_implINS0_14default_configELb0EPKfPfPKlPlN2at6native12_GLOBAL__N_18offset_tEEE10hipError_tPvRmT1_PNSt15iterator_traitsIS12_E10value_typeET2_T3_PNS13_IS18_E10value_typeET4_jRbjT5_S1E_jjP12ihipStream_tbEUljE_ZNSN_ISO_Lb0ESQ_SR_ST_SU_SY_EESZ_S10_S11_S12_S16_S17_S18_S1B_S1C_jS1D_jS1E_S1E_jjS1G_bEUljE0_EEESZ_S10_S11_S18_S1C_S1E_T6_T7_T9_mT8_S1G_bDpT10_ENKUlT_T0_E_clISt17integral_constantIbLb1EES1T_IbLb0EEEEDaS1P_S1Q_EUlS1P_E_NS1_11comp_targetILNS1_3genE10ELNS1_11target_archE1200ELNS1_3gpuE4ELNS1_3repE0EEENS1_30default_config_static_selectorELNS0_4arch9wavefront6targetE0EEEvS12_.private_seg_size, 0
	.set _ZN7rocprim17ROCPRIM_400000_NS6detail17trampoline_kernelINS0_13select_configILj256ELj13ELNS0_17block_load_methodE3ELS4_3ELS4_3ELNS0_20block_scan_algorithmE0ELj4294967295EEENS1_25partition_config_selectorILNS1_17partition_subalgoE4EjNS0_10empty_typeEbEEZZNS1_14partition_implILS8_4ELb0ES6_15HIP_vector_typeIjLj2EENS0_17counting_iteratorIjlEEPS9_SG_NS0_5tupleIJPjSI_NS0_16reverse_iteratorISI_EEEEENSH_IJSG_SG_SG_EEES9_SI_JZNS1_25segmented_radix_sort_implINS0_14default_configELb0EPKfPfPKlPlN2at6native12_GLOBAL__N_18offset_tEEE10hipError_tPvRmT1_PNSt15iterator_traitsIS12_E10value_typeET2_T3_PNS13_IS18_E10value_typeET4_jRbjT5_S1E_jjP12ihipStream_tbEUljE_ZNSN_ISO_Lb0ESQ_SR_ST_SU_SY_EESZ_S10_S11_S12_S16_S17_S18_S1B_S1C_jS1D_jS1E_S1E_jjS1G_bEUljE0_EEESZ_S10_S11_S18_S1C_S1E_T6_T7_T9_mT8_S1G_bDpT10_ENKUlT_T0_E_clISt17integral_constantIbLb1EES1T_IbLb0EEEEDaS1P_S1Q_EUlS1P_E_NS1_11comp_targetILNS1_3genE10ELNS1_11target_archE1200ELNS1_3gpuE4ELNS1_3repE0EEENS1_30default_config_static_selectorELNS0_4arch9wavefront6targetE0EEEvS12_.uses_vcc, 0
	.set _ZN7rocprim17ROCPRIM_400000_NS6detail17trampoline_kernelINS0_13select_configILj256ELj13ELNS0_17block_load_methodE3ELS4_3ELS4_3ELNS0_20block_scan_algorithmE0ELj4294967295EEENS1_25partition_config_selectorILNS1_17partition_subalgoE4EjNS0_10empty_typeEbEEZZNS1_14partition_implILS8_4ELb0ES6_15HIP_vector_typeIjLj2EENS0_17counting_iteratorIjlEEPS9_SG_NS0_5tupleIJPjSI_NS0_16reverse_iteratorISI_EEEEENSH_IJSG_SG_SG_EEES9_SI_JZNS1_25segmented_radix_sort_implINS0_14default_configELb0EPKfPfPKlPlN2at6native12_GLOBAL__N_18offset_tEEE10hipError_tPvRmT1_PNSt15iterator_traitsIS12_E10value_typeET2_T3_PNS13_IS18_E10value_typeET4_jRbjT5_S1E_jjP12ihipStream_tbEUljE_ZNSN_ISO_Lb0ESQ_SR_ST_SU_SY_EESZ_S10_S11_S12_S16_S17_S18_S1B_S1C_jS1D_jS1E_S1E_jjS1G_bEUljE0_EEESZ_S10_S11_S18_S1C_S1E_T6_T7_T9_mT8_S1G_bDpT10_ENKUlT_T0_E_clISt17integral_constantIbLb1EES1T_IbLb0EEEEDaS1P_S1Q_EUlS1P_E_NS1_11comp_targetILNS1_3genE10ELNS1_11target_archE1200ELNS1_3gpuE4ELNS1_3repE0EEENS1_30default_config_static_selectorELNS0_4arch9wavefront6targetE0EEEvS12_.uses_flat_scratch, 0
	.set _ZN7rocprim17ROCPRIM_400000_NS6detail17trampoline_kernelINS0_13select_configILj256ELj13ELNS0_17block_load_methodE3ELS4_3ELS4_3ELNS0_20block_scan_algorithmE0ELj4294967295EEENS1_25partition_config_selectorILNS1_17partition_subalgoE4EjNS0_10empty_typeEbEEZZNS1_14partition_implILS8_4ELb0ES6_15HIP_vector_typeIjLj2EENS0_17counting_iteratorIjlEEPS9_SG_NS0_5tupleIJPjSI_NS0_16reverse_iteratorISI_EEEEENSH_IJSG_SG_SG_EEES9_SI_JZNS1_25segmented_radix_sort_implINS0_14default_configELb0EPKfPfPKlPlN2at6native12_GLOBAL__N_18offset_tEEE10hipError_tPvRmT1_PNSt15iterator_traitsIS12_E10value_typeET2_T3_PNS13_IS18_E10value_typeET4_jRbjT5_S1E_jjP12ihipStream_tbEUljE_ZNSN_ISO_Lb0ESQ_SR_ST_SU_SY_EESZ_S10_S11_S12_S16_S17_S18_S1B_S1C_jS1D_jS1E_S1E_jjS1G_bEUljE0_EEESZ_S10_S11_S18_S1C_S1E_T6_T7_T9_mT8_S1G_bDpT10_ENKUlT_T0_E_clISt17integral_constantIbLb1EES1T_IbLb0EEEEDaS1P_S1Q_EUlS1P_E_NS1_11comp_targetILNS1_3genE10ELNS1_11target_archE1200ELNS1_3gpuE4ELNS1_3repE0EEENS1_30default_config_static_selectorELNS0_4arch9wavefront6targetE0EEEvS12_.has_dyn_sized_stack, 0
	.set _ZN7rocprim17ROCPRIM_400000_NS6detail17trampoline_kernelINS0_13select_configILj256ELj13ELNS0_17block_load_methodE3ELS4_3ELS4_3ELNS0_20block_scan_algorithmE0ELj4294967295EEENS1_25partition_config_selectorILNS1_17partition_subalgoE4EjNS0_10empty_typeEbEEZZNS1_14partition_implILS8_4ELb0ES6_15HIP_vector_typeIjLj2EENS0_17counting_iteratorIjlEEPS9_SG_NS0_5tupleIJPjSI_NS0_16reverse_iteratorISI_EEEEENSH_IJSG_SG_SG_EEES9_SI_JZNS1_25segmented_radix_sort_implINS0_14default_configELb0EPKfPfPKlPlN2at6native12_GLOBAL__N_18offset_tEEE10hipError_tPvRmT1_PNSt15iterator_traitsIS12_E10value_typeET2_T3_PNS13_IS18_E10value_typeET4_jRbjT5_S1E_jjP12ihipStream_tbEUljE_ZNSN_ISO_Lb0ESQ_SR_ST_SU_SY_EESZ_S10_S11_S12_S16_S17_S18_S1B_S1C_jS1D_jS1E_S1E_jjS1G_bEUljE0_EEESZ_S10_S11_S18_S1C_S1E_T6_T7_T9_mT8_S1G_bDpT10_ENKUlT_T0_E_clISt17integral_constantIbLb1EES1T_IbLb0EEEEDaS1P_S1Q_EUlS1P_E_NS1_11comp_targetILNS1_3genE10ELNS1_11target_archE1200ELNS1_3gpuE4ELNS1_3repE0EEENS1_30default_config_static_selectorELNS0_4arch9wavefront6targetE0EEEvS12_.has_recursion, 0
	.set _ZN7rocprim17ROCPRIM_400000_NS6detail17trampoline_kernelINS0_13select_configILj256ELj13ELNS0_17block_load_methodE3ELS4_3ELS4_3ELNS0_20block_scan_algorithmE0ELj4294967295EEENS1_25partition_config_selectorILNS1_17partition_subalgoE4EjNS0_10empty_typeEbEEZZNS1_14partition_implILS8_4ELb0ES6_15HIP_vector_typeIjLj2EENS0_17counting_iteratorIjlEEPS9_SG_NS0_5tupleIJPjSI_NS0_16reverse_iteratorISI_EEEEENSH_IJSG_SG_SG_EEES9_SI_JZNS1_25segmented_radix_sort_implINS0_14default_configELb0EPKfPfPKlPlN2at6native12_GLOBAL__N_18offset_tEEE10hipError_tPvRmT1_PNSt15iterator_traitsIS12_E10value_typeET2_T3_PNS13_IS18_E10value_typeET4_jRbjT5_S1E_jjP12ihipStream_tbEUljE_ZNSN_ISO_Lb0ESQ_SR_ST_SU_SY_EESZ_S10_S11_S12_S16_S17_S18_S1B_S1C_jS1D_jS1E_S1E_jjS1G_bEUljE0_EEESZ_S10_S11_S18_S1C_S1E_T6_T7_T9_mT8_S1G_bDpT10_ENKUlT_T0_E_clISt17integral_constantIbLb1EES1T_IbLb0EEEEDaS1P_S1Q_EUlS1P_E_NS1_11comp_targetILNS1_3genE10ELNS1_11target_archE1200ELNS1_3gpuE4ELNS1_3repE0EEENS1_30default_config_static_selectorELNS0_4arch9wavefront6targetE0EEEvS12_.has_indirect_call, 0
	.section	.AMDGPU.csdata,"",@progbits
; Kernel info:
; codeLenInByte = 4
; TotalNumSgprs: 0
; NumVgprs: 0
; ScratchSize: 0
; MemoryBound: 0
; FloatMode: 240
; IeeeMode: 1
; LDSByteSize: 0 bytes/workgroup (compile time only)
; SGPRBlocks: 0
; VGPRBlocks: 0
; NumSGPRsForWavesPerEU: 1
; NumVGPRsForWavesPerEU: 1
; Occupancy: 16
; WaveLimiterHint : 0
; COMPUTE_PGM_RSRC2:SCRATCH_EN: 0
; COMPUTE_PGM_RSRC2:USER_SGPR: 2
; COMPUTE_PGM_RSRC2:TRAP_HANDLER: 0
; COMPUTE_PGM_RSRC2:TGID_X_EN: 1
; COMPUTE_PGM_RSRC2:TGID_Y_EN: 0
; COMPUTE_PGM_RSRC2:TGID_Z_EN: 0
; COMPUTE_PGM_RSRC2:TIDIG_COMP_CNT: 0
	.section	.text._ZN7rocprim17ROCPRIM_400000_NS6detail17trampoline_kernelINS0_13select_configILj256ELj13ELNS0_17block_load_methodE3ELS4_3ELS4_3ELNS0_20block_scan_algorithmE0ELj4294967295EEENS1_25partition_config_selectorILNS1_17partition_subalgoE4EjNS0_10empty_typeEbEEZZNS1_14partition_implILS8_4ELb0ES6_15HIP_vector_typeIjLj2EENS0_17counting_iteratorIjlEEPS9_SG_NS0_5tupleIJPjSI_NS0_16reverse_iteratorISI_EEEEENSH_IJSG_SG_SG_EEES9_SI_JZNS1_25segmented_radix_sort_implINS0_14default_configELb0EPKfPfPKlPlN2at6native12_GLOBAL__N_18offset_tEEE10hipError_tPvRmT1_PNSt15iterator_traitsIS12_E10value_typeET2_T3_PNS13_IS18_E10value_typeET4_jRbjT5_S1E_jjP12ihipStream_tbEUljE_ZNSN_ISO_Lb0ESQ_SR_ST_SU_SY_EESZ_S10_S11_S12_S16_S17_S18_S1B_S1C_jS1D_jS1E_S1E_jjS1G_bEUljE0_EEESZ_S10_S11_S18_S1C_S1E_T6_T7_T9_mT8_S1G_bDpT10_ENKUlT_T0_E_clISt17integral_constantIbLb1EES1T_IbLb0EEEEDaS1P_S1Q_EUlS1P_E_NS1_11comp_targetILNS1_3genE9ELNS1_11target_archE1100ELNS1_3gpuE3ELNS1_3repE0EEENS1_30default_config_static_selectorELNS0_4arch9wavefront6targetE0EEEvS12_,"axG",@progbits,_ZN7rocprim17ROCPRIM_400000_NS6detail17trampoline_kernelINS0_13select_configILj256ELj13ELNS0_17block_load_methodE3ELS4_3ELS4_3ELNS0_20block_scan_algorithmE0ELj4294967295EEENS1_25partition_config_selectorILNS1_17partition_subalgoE4EjNS0_10empty_typeEbEEZZNS1_14partition_implILS8_4ELb0ES6_15HIP_vector_typeIjLj2EENS0_17counting_iteratorIjlEEPS9_SG_NS0_5tupleIJPjSI_NS0_16reverse_iteratorISI_EEEEENSH_IJSG_SG_SG_EEES9_SI_JZNS1_25segmented_radix_sort_implINS0_14default_configELb0EPKfPfPKlPlN2at6native12_GLOBAL__N_18offset_tEEE10hipError_tPvRmT1_PNSt15iterator_traitsIS12_E10value_typeET2_T3_PNS13_IS18_E10value_typeET4_jRbjT5_S1E_jjP12ihipStream_tbEUljE_ZNSN_ISO_Lb0ESQ_SR_ST_SU_SY_EESZ_S10_S11_S12_S16_S17_S18_S1B_S1C_jS1D_jS1E_S1E_jjS1G_bEUljE0_EEESZ_S10_S11_S18_S1C_S1E_T6_T7_T9_mT8_S1G_bDpT10_ENKUlT_T0_E_clISt17integral_constantIbLb1EES1T_IbLb0EEEEDaS1P_S1Q_EUlS1P_E_NS1_11comp_targetILNS1_3genE9ELNS1_11target_archE1100ELNS1_3gpuE3ELNS1_3repE0EEENS1_30default_config_static_selectorELNS0_4arch9wavefront6targetE0EEEvS12_,comdat
	.globl	_ZN7rocprim17ROCPRIM_400000_NS6detail17trampoline_kernelINS0_13select_configILj256ELj13ELNS0_17block_load_methodE3ELS4_3ELS4_3ELNS0_20block_scan_algorithmE0ELj4294967295EEENS1_25partition_config_selectorILNS1_17partition_subalgoE4EjNS0_10empty_typeEbEEZZNS1_14partition_implILS8_4ELb0ES6_15HIP_vector_typeIjLj2EENS0_17counting_iteratorIjlEEPS9_SG_NS0_5tupleIJPjSI_NS0_16reverse_iteratorISI_EEEEENSH_IJSG_SG_SG_EEES9_SI_JZNS1_25segmented_radix_sort_implINS0_14default_configELb0EPKfPfPKlPlN2at6native12_GLOBAL__N_18offset_tEEE10hipError_tPvRmT1_PNSt15iterator_traitsIS12_E10value_typeET2_T3_PNS13_IS18_E10value_typeET4_jRbjT5_S1E_jjP12ihipStream_tbEUljE_ZNSN_ISO_Lb0ESQ_SR_ST_SU_SY_EESZ_S10_S11_S12_S16_S17_S18_S1B_S1C_jS1D_jS1E_S1E_jjS1G_bEUljE0_EEESZ_S10_S11_S18_S1C_S1E_T6_T7_T9_mT8_S1G_bDpT10_ENKUlT_T0_E_clISt17integral_constantIbLb1EES1T_IbLb0EEEEDaS1P_S1Q_EUlS1P_E_NS1_11comp_targetILNS1_3genE9ELNS1_11target_archE1100ELNS1_3gpuE3ELNS1_3repE0EEENS1_30default_config_static_selectorELNS0_4arch9wavefront6targetE0EEEvS12_ ; -- Begin function _ZN7rocprim17ROCPRIM_400000_NS6detail17trampoline_kernelINS0_13select_configILj256ELj13ELNS0_17block_load_methodE3ELS4_3ELS4_3ELNS0_20block_scan_algorithmE0ELj4294967295EEENS1_25partition_config_selectorILNS1_17partition_subalgoE4EjNS0_10empty_typeEbEEZZNS1_14partition_implILS8_4ELb0ES6_15HIP_vector_typeIjLj2EENS0_17counting_iteratorIjlEEPS9_SG_NS0_5tupleIJPjSI_NS0_16reverse_iteratorISI_EEEEENSH_IJSG_SG_SG_EEES9_SI_JZNS1_25segmented_radix_sort_implINS0_14default_configELb0EPKfPfPKlPlN2at6native12_GLOBAL__N_18offset_tEEE10hipError_tPvRmT1_PNSt15iterator_traitsIS12_E10value_typeET2_T3_PNS13_IS18_E10value_typeET4_jRbjT5_S1E_jjP12ihipStream_tbEUljE_ZNSN_ISO_Lb0ESQ_SR_ST_SU_SY_EESZ_S10_S11_S12_S16_S17_S18_S1B_S1C_jS1D_jS1E_S1E_jjS1G_bEUljE0_EEESZ_S10_S11_S18_S1C_S1E_T6_T7_T9_mT8_S1G_bDpT10_ENKUlT_T0_E_clISt17integral_constantIbLb1EES1T_IbLb0EEEEDaS1P_S1Q_EUlS1P_E_NS1_11comp_targetILNS1_3genE9ELNS1_11target_archE1100ELNS1_3gpuE3ELNS1_3repE0EEENS1_30default_config_static_selectorELNS0_4arch9wavefront6targetE0EEEvS12_
	.p2align	8
	.type	_ZN7rocprim17ROCPRIM_400000_NS6detail17trampoline_kernelINS0_13select_configILj256ELj13ELNS0_17block_load_methodE3ELS4_3ELS4_3ELNS0_20block_scan_algorithmE0ELj4294967295EEENS1_25partition_config_selectorILNS1_17partition_subalgoE4EjNS0_10empty_typeEbEEZZNS1_14partition_implILS8_4ELb0ES6_15HIP_vector_typeIjLj2EENS0_17counting_iteratorIjlEEPS9_SG_NS0_5tupleIJPjSI_NS0_16reverse_iteratorISI_EEEEENSH_IJSG_SG_SG_EEES9_SI_JZNS1_25segmented_radix_sort_implINS0_14default_configELb0EPKfPfPKlPlN2at6native12_GLOBAL__N_18offset_tEEE10hipError_tPvRmT1_PNSt15iterator_traitsIS12_E10value_typeET2_T3_PNS13_IS18_E10value_typeET4_jRbjT5_S1E_jjP12ihipStream_tbEUljE_ZNSN_ISO_Lb0ESQ_SR_ST_SU_SY_EESZ_S10_S11_S12_S16_S17_S18_S1B_S1C_jS1D_jS1E_S1E_jjS1G_bEUljE0_EEESZ_S10_S11_S18_S1C_S1E_T6_T7_T9_mT8_S1G_bDpT10_ENKUlT_T0_E_clISt17integral_constantIbLb1EES1T_IbLb0EEEEDaS1P_S1Q_EUlS1P_E_NS1_11comp_targetILNS1_3genE9ELNS1_11target_archE1100ELNS1_3gpuE3ELNS1_3repE0EEENS1_30default_config_static_selectorELNS0_4arch9wavefront6targetE0EEEvS12_,@function
_ZN7rocprim17ROCPRIM_400000_NS6detail17trampoline_kernelINS0_13select_configILj256ELj13ELNS0_17block_load_methodE3ELS4_3ELS4_3ELNS0_20block_scan_algorithmE0ELj4294967295EEENS1_25partition_config_selectorILNS1_17partition_subalgoE4EjNS0_10empty_typeEbEEZZNS1_14partition_implILS8_4ELb0ES6_15HIP_vector_typeIjLj2EENS0_17counting_iteratorIjlEEPS9_SG_NS0_5tupleIJPjSI_NS0_16reverse_iteratorISI_EEEEENSH_IJSG_SG_SG_EEES9_SI_JZNS1_25segmented_radix_sort_implINS0_14default_configELb0EPKfPfPKlPlN2at6native12_GLOBAL__N_18offset_tEEE10hipError_tPvRmT1_PNSt15iterator_traitsIS12_E10value_typeET2_T3_PNS13_IS18_E10value_typeET4_jRbjT5_S1E_jjP12ihipStream_tbEUljE_ZNSN_ISO_Lb0ESQ_SR_ST_SU_SY_EESZ_S10_S11_S12_S16_S17_S18_S1B_S1C_jS1D_jS1E_S1E_jjS1G_bEUljE0_EEESZ_S10_S11_S18_S1C_S1E_T6_T7_T9_mT8_S1G_bDpT10_ENKUlT_T0_E_clISt17integral_constantIbLb1EES1T_IbLb0EEEEDaS1P_S1Q_EUlS1P_E_NS1_11comp_targetILNS1_3genE9ELNS1_11target_archE1100ELNS1_3gpuE3ELNS1_3repE0EEENS1_30default_config_static_selectorELNS0_4arch9wavefront6targetE0EEEvS12_: ; @_ZN7rocprim17ROCPRIM_400000_NS6detail17trampoline_kernelINS0_13select_configILj256ELj13ELNS0_17block_load_methodE3ELS4_3ELS4_3ELNS0_20block_scan_algorithmE0ELj4294967295EEENS1_25partition_config_selectorILNS1_17partition_subalgoE4EjNS0_10empty_typeEbEEZZNS1_14partition_implILS8_4ELb0ES6_15HIP_vector_typeIjLj2EENS0_17counting_iteratorIjlEEPS9_SG_NS0_5tupleIJPjSI_NS0_16reverse_iteratorISI_EEEEENSH_IJSG_SG_SG_EEES9_SI_JZNS1_25segmented_radix_sort_implINS0_14default_configELb0EPKfPfPKlPlN2at6native12_GLOBAL__N_18offset_tEEE10hipError_tPvRmT1_PNSt15iterator_traitsIS12_E10value_typeET2_T3_PNS13_IS18_E10value_typeET4_jRbjT5_S1E_jjP12ihipStream_tbEUljE_ZNSN_ISO_Lb0ESQ_SR_ST_SU_SY_EESZ_S10_S11_S12_S16_S17_S18_S1B_S1C_jS1D_jS1E_S1E_jjS1G_bEUljE0_EEESZ_S10_S11_S18_S1C_S1E_T6_T7_T9_mT8_S1G_bDpT10_ENKUlT_T0_E_clISt17integral_constantIbLb1EES1T_IbLb0EEEEDaS1P_S1Q_EUlS1P_E_NS1_11comp_targetILNS1_3genE9ELNS1_11target_archE1100ELNS1_3gpuE3ELNS1_3repE0EEENS1_30default_config_static_selectorELNS0_4arch9wavefront6targetE0EEEvS12_
; %bb.0:
	.section	.rodata,"a",@progbits
	.p2align	6, 0x0
	.amdhsa_kernel _ZN7rocprim17ROCPRIM_400000_NS6detail17trampoline_kernelINS0_13select_configILj256ELj13ELNS0_17block_load_methodE3ELS4_3ELS4_3ELNS0_20block_scan_algorithmE0ELj4294967295EEENS1_25partition_config_selectorILNS1_17partition_subalgoE4EjNS0_10empty_typeEbEEZZNS1_14partition_implILS8_4ELb0ES6_15HIP_vector_typeIjLj2EENS0_17counting_iteratorIjlEEPS9_SG_NS0_5tupleIJPjSI_NS0_16reverse_iteratorISI_EEEEENSH_IJSG_SG_SG_EEES9_SI_JZNS1_25segmented_radix_sort_implINS0_14default_configELb0EPKfPfPKlPlN2at6native12_GLOBAL__N_18offset_tEEE10hipError_tPvRmT1_PNSt15iterator_traitsIS12_E10value_typeET2_T3_PNS13_IS18_E10value_typeET4_jRbjT5_S1E_jjP12ihipStream_tbEUljE_ZNSN_ISO_Lb0ESQ_SR_ST_SU_SY_EESZ_S10_S11_S12_S16_S17_S18_S1B_S1C_jS1D_jS1E_S1E_jjS1G_bEUljE0_EEESZ_S10_S11_S18_S1C_S1E_T6_T7_T9_mT8_S1G_bDpT10_ENKUlT_T0_E_clISt17integral_constantIbLb1EES1T_IbLb0EEEEDaS1P_S1Q_EUlS1P_E_NS1_11comp_targetILNS1_3genE9ELNS1_11target_archE1100ELNS1_3gpuE3ELNS1_3repE0EEENS1_30default_config_static_selectorELNS0_4arch9wavefront6targetE0EEEvS12_
		.amdhsa_group_segment_fixed_size 0
		.amdhsa_private_segment_fixed_size 0
		.amdhsa_kernarg_size 176
		.amdhsa_user_sgpr_count 2
		.amdhsa_user_sgpr_dispatch_ptr 0
		.amdhsa_user_sgpr_queue_ptr 0
		.amdhsa_user_sgpr_kernarg_segment_ptr 1
		.amdhsa_user_sgpr_dispatch_id 0
		.amdhsa_user_sgpr_private_segment_size 0
		.amdhsa_wavefront_size32 1
		.amdhsa_uses_dynamic_stack 0
		.amdhsa_enable_private_segment 0
		.amdhsa_system_sgpr_workgroup_id_x 1
		.amdhsa_system_sgpr_workgroup_id_y 0
		.amdhsa_system_sgpr_workgroup_id_z 0
		.amdhsa_system_sgpr_workgroup_info 0
		.amdhsa_system_vgpr_workitem_id 0
		.amdhsa_next_free_vgpr 1
		.amdhsa_next_free_sgpr 1
		.amdhsa_reserve_vcc 0
		.amdhsa_float_round_mode_32 0
		.amdhsa_float_round_mode_16_64 0
		.amdhsa_float_denorm_mode_32 3
		.amdhsa_float_denorm_mode_16_64 3
		.amdhsa_fp16_overflow 0
		.amdhsa_workgroup_processor_mode 1
		.amdhsa_memory_ordered 1
		.amdhsa_forward_progress 1
		.amdhsa_inst_pref_size 0
		.amdhsa_round_robin_scheduling 0
		.amdhsa_exception_fp_ieee_invalid_op 0
		.amdhsa_exception_fp_denorm_src 0
		.amdhsa_exception_fp_ieee_div_zero 0
		.amdhsa_exception_fp_ieee_overflow 0
		.amdhsa_exception_fp_ieee_underflow 0
		.amdhsa_exception_fp_ieee_inexact 0
		.amdhsa_exception_int_div_zero 0
	.end_amdhsa_kernel
	.section	.text._ZN7rocprim17ROCPRIM_400000_NS6detail17trampoline_kernelINS0_13select_configILj256ELj13ELNS0_17block_load_methodE3ELS4_3ELS4_3ELNS0_20block_scan_algorithmE0ELj4294967295EEENS1_25partition_config_selectorILNS1_17partition_subalgoE4EjNS0_10empty_typeEbEEZZNS1_14partition_implILS8_4ELb0ES6_15HIP_vector_typeIjLj2EENS0_17counting_iteratorIjlEEPS9_SG_NS0_5tupleIJPjSI_NS0_16reverse_iteratorISI_EEEEENSH_IJSG_SG_SG_EEES9_SI_JZNS1_25segmented_radix_sort_implINS0_14default_configELb0EPKfPfPKlPlN2at6native12_GLOBAL__N_18offset_tEEE10hipError_tPvRmT1_PNSt15iterator_traitsIS12_E10value_typeET2_T3_PNS13_IS18_E10value_typeET4_jRbjT5_S1E_jjP12ihipStream_tbEUljE_ZNSN_ISO_Lb0ESQ_SR_ST_SU_SY_EESZ_S10_S11_S12_S16_S17_S18_S1B_S1C_jS1D_jS1E_S1E_jjS1G_bEUljE0_EEESZ_S10_S11_S18_S1C_S1E_T6_T7_T9_mT8_S1G_bDpT10_ENKUlT_T0_E_clISt17integral_constantIbLb1EES1T_IbLb0EEEEDaS1P_S1Q_EUlS1P_E_NS1_11comp_targetILNS1_3genE9ELNS1_11target_archE1100ELNS1_3gpuE3ELNS1_3repE0EEENS1_30default_config_static_selectorELNS0_4arch9wavefront6targetE0EEEvS12_,"axG",@progbits,_ZN7rocprim17ROCPRIM_400000_NS6detail17trampoline_kernelINS0_13select_configILj256ELj13ELNS0_17block_load_methodE3ELS4_3ELS4_3ELNS0_20block_scan_algorithmE0ELj4294967295EEENS1_25partition_config_selectorILNS1_17partition_subalgoE4EjNS0_10empty_typeEbEEZZNS1_14partition_implILS8_4ELb0ES6_15HIP_vector_typeIjLj2EENS0_17counting_iteratorIjlEEPS9_SG_NS0_5tupleIJPjSI_NS0_16reverse_iteratorISI_EEEEENSH_IJSG_SG_SG_EEES9_SI_JZNS1_25segmented_radix_sort_implINS0_14default_configELb0EPKfPfPKlPlN2at6native12_GLOBAL__N_18offset_tEEE10hipError_tPvRmT1_PNSt15iterator_traitsIS12_E10value_typeET2_T3_PNS13_IS18_E10value_typeET4_jRbjT5_S1E_jjP12ihipStream_tbEUljE_ZNSN_ISO_Lb0ESQ_SR_ST_SU_SY_EESZ_S10_S11_S12_S16_S17_S18_S1B_S1C_jS1D_jS1E_S1E_jjS1G_bEUljE0_EEESZ_S10_S11_S18_S1C_S1E_T6_T7_T9_mT8_S1G_bDpT10_ENKUlT_T0_E_clISt17integral_constantIbLb1EES1T_IbLb0EEEEDaS1P_S1Q_EUlS1P_E_NS1_11comp_targetILNS1_3genE9ELNS1_11target_archE1100ELNS1_3gpuE3ELNS1_3repE0EEENS1_30default_config_static_selectorELNS0_4arch9wavefront6targetE0EEEvS12_,comdat
.Lfunc_end1386:
	.size	_ZN7rocprim17ROCPRIM_400000_NS6detail17trampoline_kernelINS0_13select_configILj256ELj13ELNS0_17block_load_methodE3ELS4_3ELS4_3ELNS0_20block_scan_algorithmE0ELj4294967295EEENS1_25partition_config_selectorILNS1_17partition_subalgoE4EjNS0_10empty_typeEbEEZZNS1_14partition_implILS8_4ELb0ES6_15HIP_vector_typeIjLj2EENS0_17counting_iteratorIjlEEPS9_SG_NS0_5tupleIJPjSI_NS0_16reverse_iteratorISI_EEEEENSH_IJSG_SG_SG_EEES9_SI_JZNS1_25segmented_radix_sort_implINS0_14default_configELb0EPKfPfPKlPlN2at6native12_GLOBAL__N_18offset_tEEE10hipError_tPvRmT1_PNSt15iterator_traitsIS12_E10value_typeET2_T3_PNS13_IS18_E10value_typeET4_jRbjT5_S1E_jjP12ihipStream_tbEUljE_ZNSN_ISO_Lb0ESQ_SR_ST_SU_SY_EESZ_S10_S11_S12_S16_S17_S18_S1B_S1C_jS1D_jS1E_S1E_jjS1G_bEUljE0_EEESZ_S10_S11_S18_S1C_S1E_T6_T7_T9_mT8_S1G_bDpT10_ENKUlT_T0_E_clISt17integral_constantIbLb1EES1T_IbLb0EEEEDaS1P_S1Q_EUlS1P_E_NS1_11comp_targetILNS1_3genE9ELNS1_11target_archE1100ELNS1_3gpuE3ELNS1_3repE0EEENS1_30default_config_static_selectorELNS0_4arch9wavefront6targetE0EEEvS12_, .Lfunc_end1386-_ZN7rocprim17ROCPRIM_400000_NS6detail17trampoline_kernelINS0_13select_configILj256ELj13ELNS0_17block_load_methodE3ELS4_3ELS4_3ELNS0_20block_scan_algorithmE0ELj4294967295EEENS1_25partition_config_selectorILNS1_17partition_subalgoE4EjNS0_10empty_typeEbEEZZNS1_14partition_implILS8_4ELb0ES6_15HIP_vector_typeIjLj2EENS0_17counting_iteratorIjlEEPS9_SG_NS0_5tupleIJPjSI_NS0_16reverse_iteratorISI_EEEEENSH_IJSG_SG_SG_EEES9_SI_JZNS1_25segmented_radix_sort_implINS0_14default_configELb0EPKfPfPKlPlN2at6native12_GLOBAL__N_18offset_tEEE10hipError_tPvRmT1_PNSt15iterator_traitsIS12_E10value_typeET2_T3_PNS13_IS18_E10value_typeET4_jRbjT5_S1E_jjP12ihipStream_tbEUljE_ZNSN_ISO_Lb0ESQ_SR_ST_SU_SY_EESZ_S10_S11_S12_S16_S17_S18_S1B_S1C_jS1D_jS1E_S1E_jjS1G_bEUljE0_EEESZ_S10_S11_S18_S1C_S1E_T6_T7_T9_mT8_S1G_bDpT10_ENKUlT_T0_E_clISt17integral_constantIbLb1EES1T_IbLb0EEEEDaS1P_S1Q_EUlS1P_E_NS1_11comp_targetILNS1_3genE9ELNS1_11target_archE1100ELNS1_3gpuE3ELNS1_3repE0EEENS1_30default_config_static_selectorELNS0_4arch9wavefront6targetE0EEEvS12_
                                        ; -- End function
	.set _ZN7rocprim17ROCPRIM_400000_NS6detail17trampoline_kernelINS0_13select_configILj256ELj13ELNS0_17block_load_methodE3ELS4_3ELS4_3ELNS0_20block_scan_algorithmE0ELj4294967295EEENS1_25partition_config_selectorILNS1_17partition_subalgoE4EjNS0_10empty_typeEbEEZZNS1_14partition_implILS8_4ELb0ES6_15HIP_vector_typeIjLj2EENS0_17counting_iteratorIjlEEPS9_SG_NS0_5tupleIJPjSI_NS0_16reverse_iteratorISI_EEEEENSH_IJSG_SG_SG_EEES9_SI_JZNS1_25segmented_radix_sort_implINS0_14default_configELb0EPKfPfPKlPlN2at6native12_GLOBAL__N_18offset_tEEE10hipError_tPvRmT1_PNSt15iterator_traitsIS12_E10value_typeET2_T3_PNS13_IS18_E10value_typeET4_jRbjT5_S1E_jjP12ihipStream_tbEUljE_ZNSN_ISO_Lb0ESQ_SR_ST_SU_SY_EESZ_S10_S11_S12_S16_S17_S18_S1B_S1C_jS1D_jS1E_S1E_jjS1G_bEUljE0_EEESZ_S10_S11_S18_S1C_S1E_T6_T7_T9_mT8_S1G_bDpT10_ENKUlT_T0_E_clISt17integral_constantIbLb1EES1T_IbLb0EEEEDaS1P_S1Q_EUlS1P_E_NS1_11comp_targetILNS1_3genE9ELNS1_11target_archE1100ELNS1_3gpuE3ELNS1_3repE0EEENS1_30default_config_static_selectorELNS0_4arch9wavefront6targetE0EEEvS12_.num_vgpr, 0
	.set _ZN7rocprim17ROCPRIM_400000_NS6detail17trampoline_kernelINS0_13select_configILj256ELj13ELNS0_17block_load_methodE3ELS4_3ELS4_3ELNS0_20block_scan_algorithmE0ELj4294967295EEENS1_25partition_config_selectorILNS1_17partition_subalgoE4EjNS0_10empty_typeEbEEZZNS1_14partition_implILS8_4ELb0ES6_15HIP_vector_typeIjLj2EENS0_17counting_iteratorIjlEEPS9_SG_NS0_5tupleIJPjSI_NS0_16reverse_iteratorISI_EEEEENSH_IJSG_SG_SG_EEES9_SI_JZNS1_25segmented_radix_sort_implINS0_14default_configELb0EPKfPfPKlPlN2at6native12_GLOBAL__N_18offset_tEEE10hipError_tPvRmT1_PNSt15iterator_traitsIS12_E10value_typeET2_T3_PNS13_IS18_E10value_typeET4_jRbjT5_S1E_jjP12ihipStream_tbEUljE_ZNSN_ISO_Lb0ESQ_SR_ST_SU_SY_EESZ_S10_S11_S12_S16_S17_S18_S1B_S1C_jS1D_jS1E_S1E_jjS1G_bEUljE0_EEESZ_S10_S11_S18_S1C_S1E_T6_T7_T9_mT8_S1G_bDpT10_ENKUlT_T0_E_clISt17integral_constantIbLb1EES1T_IbLb0EEEEDaS1P_S1Q_EUlS1P_E_NS1_11comp_targetILNS1_3genE9ELNS1_11target_archE1100ELNS1_3gpuE3ELNS1_3repE0EEENS1_30default_config_static_selectorELNS0_4arch9wavefront6targetE0EEEvS12_.num_agpr, 0
	.set _ZN7rocprim17ROCPRIM_400000_NS6detail17trampoline_kernelINS0_13select_configILj256ELj13ELNS0_17block_load_methodE3ELS4_3ELS4_3ELNS0_20block_scan_algorithmE0ELj4294967295EEENS1_25partition_config_selectorILNS1_17partition_subalgoE4EjNS0_10empty_typeEbEEZZNS1_14partition_implILS8_4ELb0ES6_15HIP_vector_typeIjLj2EENS0_17counting_iteratorIjlEEPS9_SG_NS0_5tupleIJPjSI_NS0_16reverse_iteratorISI_EEEEENSH_IJSG_SG_SG_EEES9_SI_JZNS1_25segmented_radix_sort_implINS0_14default_configELb0EPKfPfPKlPlN2at6native12_GLOBAL__N_18offset_tEEE10hipError_tPvRmT1_PNSt15iterator_traitsIS12_E10value_typeET2_T3_PNS13_IS18_E10value_typeET4_jRbjT5_S1E_jjP12ihipStream_tbEUljE_ZNSN_ISO_Lb0ESQ_SR_ST_SU_SY_EESZ_S10_S11_S12_S16_S17_S18_S1B_S1C_jS1D_jS1E_S1E_jjS1G_bEUljE0_EEESZ_S10_S11_S18_S1C_S1E_T6_T7_T9_mT8_S1G_bDpT10_ENKUlT_T0_E_clISt17integral_constantIbLb1EES1T_IbLb0EEEEDaS1P_S1Q_EUlS1P_E_NS1_11comp_targetILNS1_3genE9ELNS1_11target_archE1100ELNS1_3gpuE3ELNS1_3repE0EEENS1_30default_config_static_selectorELNS0_4arch9wavefront6targetE0EEEvS12_.numbered_sgpr, 0
	.set _ZN7rocprim17ROCPRIM_400000_NS6detail17trampoline_kernelINS0_13select_configILj256ELj13ELNS0_17block_load_methodE3ELS4_3ELS4_3ELNS0_20block_scan_algorithmE0ELj4294967295EEENS1_25partition_config_selectorILNS1_17partition_subalgoE4EjNS0_10empty_typeEbEEZZNS1_14partition_implILS8_4ELb0ES6_15HIP_vector_typeIjLj2EENS0_17counting_iteratorIjlEEPS9_SG_NS0_5tupleIJPjSI_NS0_16reverse_iteratorISI_EEEEENSH_IJSG_SG_SG_EEES9_SI_JZNS1_25segmented_radix_sort_implINS0_14default_configELb0EPKfPfPKlPlN2at6native12_GLOBAL__N_18offset_tEEE10hipError_tPvRmT1_PNSt15iterator_traitsIS12_E10value_typeET2_T3_PNS13_IS18_E10value_typeET4_jRbjT5_S1E_jjP12ihipStream_tbEUljE_ZNSN_ISO_Lb0ESQ_SR_ST_SU_SY_EESZ_S10_S11_S12_S16_S17_S18_S1B_S1C_jS1D_jS1E_S1E_jjS1G_bEUljE0_EEESZ_S10_S11_S18_S1C_S1E_T6_T7_T9_mT8_S1G_bDpT10_ENKUlT_T0_E_clISt17integral_constantIbLb1EES1T_IbLb0EEEEDaS1P_S1Q_EUlS1P_E_NS1_11comp_targetILNS1_3genE9ELNS1_11target_archE1100ELNS1_3gpuE3ELNS1_3repE0EEENS1_30default_config_static_selectorELNS0_4arch9wavefront6targetE0EEEvS12_.num_named_barrier, 0
	.set _ZN7rocprim17ROCPRIM_400000_NS6detail17trampoline_kernelINS0_13select_configILj256ELj13ELNS0_17block_load_methodE3ELS4_3ELS4_3ELNS0_20block_scan_algorithmE0ELj4294967295EEENS1_25partition_config_selectorILNS1_17partition_subalgoE4EjNS0_10empty_typeEbEEZZNS1_14partition_implILS8_4ELb0ES6_15HIP_vector_typeIjLj2EENS0_17counting_iteratorIjlEEPS9_SG_NS0_5tupleIJPjSI_NS0_16reverse_iteratorISI_EEEEENSH_IJSG_SG_SG_EEES9_SI_JZNS1_25segmented_radix_sort_implINS0_14default_configELb0EPKfPfPKlPlN2at6native12_GLOBAL__N_18offset_tEEE10hipError_tPvRmT1_PNSt15iterator_traitsIS12_E10value_typeET2_T3_PNS13_IS18_E10value_typeET4_jRbjT5_S1E_jjP12ihipStream_tbEUljE_ZNSN_ISO_Lb0ESQ_SR_ST_SU_SY_EESZ_S10_S11_S12_S16_S17_S18_S1B_S1C_jS1D_jS1E_S1E_jjS1G_bEUljE0_EEESZ_S10_S11_S18_S1C_S1E_T6_T7_T9_mT8_S1G_bDpT10_ENKUlT_T0_E_clISt17integral_constantIbLb1EES1T_IbLb0EEEEDaS1P_S1Q_EUlS1P_E_NS1_11comp_targetILNS1_3genE9ELNS1_11target_archE1100ELNS1_3gpuE3ELNS1_3repE0EEENS1_30default_config_static_selectorELNS0_4arch9wavefront6targetE0EEEvS12_.private_seg_size, 0
	.set _ZN7rocprim17ROCPRIM_400000_NS6detail17trampoline_kernelINS0_13select_configILj256ELj13ELNS0_17block_load_methodE3ELS4_3ELS4_3ELNS0_20block_scan_algorithmE0ELj4294967295EEENS1_25partition_config_selectorILNS1_17partition_subalgoE4EjNS0_10empty_typeEbEEZZNS1_14partition_implILS8_4ELb0ES6_15HIP_vector_typeIjLj2EENS0_17counting_iteratorIjlEEPS9_SG_NS0_5tupleIJPjSI_NS0_16reverse_iteratorISI_EEEEENSH_IJSG_SG_SG_EEES9_SI_JZNS1_25segmented_radix_sort_implINS0_14default_configELb0EPKfPfPKlPlN2at6native12_GLOBAL__N_18offset_tEEE10hipError_tPvRmT1_PNSt15iterator_traitsIS12_E10value_typeET2_T3_PNS13_IS18_E10value_typeET4_jRbjT5_S1E_jjP12ihipStream_tbEUljE_ZNSN_ISO_Lb0ESQ_SR_ST_SU_SY_EESZ_S10_S11_S12_S16_S17_S18_S1B_S1C_jS1D_jS1E_S1E_jjS1G_bEUljE0_EEESZ_S10_S11_S18_S1C_S1E_T6_T7_T9_mT8_S1G_bDpT10_ENKUlT_T0_E_clISt17integral_constantIbLb1EES1T_IbLb0EEEEDaS1P_S1Q_EUlS1P_E_NS1_11comp_targetILNS1_3genE9ELNS1_11target_archE1100ELNS1_3gpuE3ELNS1_3repE0EEENS1_30default_config_static_selectorELNS0_4arch9wavefront6targetE0EEEvS12_.uses_vcc, 0
	.set _ZN7rocprim17ROCPRIM_400000_NS6detail17trampoline_kernelINS0_13select_configILj256ELj13ELNS0_17block_load_methodE3ELS4_3ELS4_3ELNS0_20block_scan_algorithmE0ELj4294967295EEENS1_25partition_config_selectorILNS1_17partition_subalgoE4EjNS0_10empty_typeEbEEZZNS1_14partition_implILS8_4ELb0ES6_15HIP_vector_typeIjLj2EENS0_17counting_iteratorIjlEEPS9_SG_NS0_5tupleIJPjSI_NS0_16reverse_iteratorISI_EEEEENSH_IJSG_SG_SG_EEES9_SI_JZNS1_25segmented_radix_sort_implINS0_14default_configELb0EPKfPfPKlPlN2at6native12_GLOBAL__N_18offset_tEEE10hipError_tPvRmT1_PNSt15iterator_traitsIS12_E10value_typeET2_T3_PNS13_IS18_E10value_typeET4_jRbjT5_S1E_jjP12ihipStream_tbEUljE_ZNSN_ISO_Lb0ESQ_SR_ST_SU_SY_EESZ_S10_S11_S12_S16_S17_S18_S1B_S1C_jS1D_jS1E_S1E_jjS1G_bEUljE0_EEESZ_S10_S11_S18_S1C_S1E_T6_T7_T9_mT8_S1G_bDpT10_ENKUlT_T0_E_clISt17integral_constantIbLb1EES1T_IbLb0EEEEDaS1P_S1Q_EUlS1P_E_NS1_11comp_targetILNS1_3genE9ELNS1_11target_archE1100ELNS1_3gpuE3ELNS1_3repE0EEENS1_30default_config_static_selectorELNS0_4arch9wavefront6targetE0EEEvS12_.uses_flat_scratch, 0
	.set _ZN7rocprim17ROCPRIM_400000_NS6detail17trampoline_kernelINS0_13select_configILj256ELj13ELNS0_17block_load_methodE3ELS4_3ELS4_3ELNS0_20block_scan_algorithmE0ELj4294967295EEENS1_25partition_config_selectorILNS1_17partition_subalgoE4EjNS0_10empty_typeEbEEZZNS1_14partition_implILS8_4ELb0ES6_15HIP_vector_typeIjLj2EENS0_17counting_iteratorIjlEEPS9_SG_NS0_5tupleIJPjSI_NS0_16reverse_iteratorISI_EEEEENSH_IJSG_SG_SG_EEES9_SI_JZNS1_25segmented_radix_sort_implINS0_14default_configELb0EPKfPfPKlPlN2at6native12_GLOBAL__N_18offset_tEEE10hipError_tPvRmT1_PNSt15iterator_traitsIS12_E10value_typeET2_T3_PNS13_IS18_E10value_typeET4_jRbjT5_S1E_jjP12ihipStream_tbEUljE_ZNSN_ISO_Lb0ESQ_SR_ST_SU_SY_EESZ_S10_S11_S12_S16_S17_S18_S1B_S1C_jS1D_jS1E_S1E_jjS1G_bEUljE0_EEESZ_S10_S11_S18_S1C_S1E_T6_T7_T9_mT8_S1G_bDpT10_ENKUlT_T0_E_clISt17integral_constantIbLb1EES1T_IbLb0EEEEDaS1P_S1Q_EUlS1P_E_NS1_11comp_targetILNS1_3genE9ELNS1_11target_archE1100ELNS1_3gpuE3ELNS1_3repE0EEENS1_30default_config_static_selectorELNS0_4arch9wavefront6targetE0EEEvS12_.has_dyn_sized_stack, 0
	.set _ZN7rocprim17ROCPRIM_400000_NS6detail17trampoline_kernelINS0_13select_configILj256ELj13ELNS0_17block_load_methodE3ELS4_3ELS4_3ELNS0_20block_scan_algorithmE0ELj4294967295EEENS1_25partition_config_selectorILNS1_17partition_subalgoE4EjNS0_10empty_typeEbEEZZNS1_14partition_implILS8_4ELb0ES6_15HIP_vector_typeIjLj2EENS0_17counting_iteratorIjlEEPS9_SG_NS0_5tupleIJPjSI_NS0_16reverse_iteratorISI_EEEEENSH_IJSG_SG_SG_EEES9_SI_JZNS1_25segmented_radix_sort_implINS0_14default_configELb0EPKfPfPKlPlN2at6native12_GLOBAL__N_18offset_tEEE10hipError_tPvRmT1_PNSt15iterator_traitsIS12_E10value_typeET2_T3_PNS13_IS18_E10value_typeET4_jRbjT5_S1E_jjP12ihipStream_tbEUljE_ZNSN_ISO_Lb0ESQ_SR_ST_SU_SY_EESZ_S10_S11_S12_S16_S17_S18_S1B_S1C_jS1D_jS1E_S1E_jjS1G_bEUljE0_EEESZ_S10_S11_S18_S1C_S1E_T6_T7_T9_mT8_S1G_bDpT10_ENKUlT_T0_E_clISt17integral_constantIbLb1EES1T_IbLb0EEEEDaS1P_S1Q_EUlS1P_E_NS1_11comp_targetILNS1_3genE9ELNS1_11target_archE1100ELNS1_3gpuE3ELNS1_3repE0EEENS1_30default_config_static_selectorELNS0_4arch9wavefront6targetE0EEEvS12_.has_recursion, 0
	.set _ZN7rocprim17ROCPRIM_400000_NS6detail17trampoline_kernelINS0_13select_configILj256ELj13ELNS0_17block_load_methodE3ELS4_3ELS4_3ELNS0_20block_scan_algorithmE0ELj4294967295EEENS1_25partition_config_selectorILNS1_17partition_subalgoE4EjNS0_10empty_typeEbEEZZNS1_14partition_implILS8_4ELb0ES6_15HIP_vector_typeIjLj2EENS0_17counting_iteratorIjlEEPS9_SG_NS0_5tupleIJPjSI_NS0_16reverse_iteratorISI_EEEEENSH_IJSG_SG_SG_EEES9_SI_JZNS1_25segmented_radix_sort_implINS0_14default_configELb0EPKfPfPKlPlN2at6native12_GLOBAL__N_18offset_tEEE10hipError_tPvRmT1_PNSt15iterator_traitsIS12_E10value_typeET2_T3_PNS13_IS18_E10value_typeET4_jRbjT5_S1E_jjP12ihipStream_tbEUljE_ZNSN_ISO_Lb0ESQ_SR_ST_SU_SY_EESZ_S10_S11_S12_S16_S17_S18_S1B_S1C_jS1D_jS1E_S1E_jjS1G_bEUljE0_EEESZ_S10_S11_S18_S1C_S1E_T6_T7_T9_mT8_S1G_bDpT10_ENKUlT_T0_E_clISt17integral_constantIbLb1EES1T_IbLb0EEEEDaS1P_S1Q_EUlS1P_E_NS1_11comp_targetILNS1_3genE9ELNS1_11target_archE1100ELNS1_3gpuE3ELNS1_3repE0EEENS1_30default_config_static_selectorELNS0_4arch9wavefront6targetE0EEEvS12_.has_indirect_call, 0
	.section	.AMDGPU.csdata,"",@progbits
; Kernel info:
; codeLenInByte = 0
; TotalNumSgprs: 0
; NumVgprs: 0
; ScratchSize: 0
; MemoryBound: 0
; FloatMode: 240
; IeeeMode: 1
; LDSByteSize: 0 bytes/workgroup (compile time only)
; SGPRBlocks: 0
; VGPRBlocks: 0
; NumSGPRsForWavesPerEU: 1
; NumVGPRsForWavesPerEU: 1
; Occupancy: 16
; WaveLimiterHint : 0
; COMPUTE_PGM_RSRC2:SCRATCH_EN: 0
; COMPUTE_PGM_RSRC2:USER_SGPR: 2
; COMPUTE_PGM_RSRC2:TRAP_HANDLER: 0
; COMPUTE_PGM_RSRC2:TGID_X_EN: 1
; COMPUTE_PGM_RSRC2:TGID_Y_EN: 0
; COMPUTE_PGM_RSRC2:TGID_Z_EN: 0
; COMPUTE_PGM_RSRC2:TIDIG_COMP_CNT: 0
	.section	.text._ZN7rocprim17ROCPRIM_400000_NS6detail17trampoline_kernelINS0_13select_configILj256ELj13ELNS0_17block_load_methodE3ELS4_3ELS4_3ELNS0_20block_scan_algorithmE0ELj4294967295EEENS1_25partition_config_selectorILNS1_17partition_subalgoE4EjNS0_10empty_typeEbEEZZNS1_14partition_implILS8_4ELb0ES6_15HIP_vector_typeIjLj2EENS0_17counting_iteratorIjlEEPS9_SG_NS0_5tupleIJPjSI_NS0_16reverse_iteratorISI_EEEEENSH_IJSG_SG_SG_EEES9_SI_JZNS1_25segmented_radix_sort_implINS0_14default_configELb0EPKfPfPKlPlN2at6native12_GLOBAL__N_18offset_tEEE10hipError_tPvRmT1_PNSt15iterator_traitsIS12_E10value_typeET2_T3_PNS13_IS18_E10value_typeET4_jRbjT5_S1E_jjP12ihipStream_tbEUljE_ZNSN_ISO_Lb0ESQ_SR_ST_SU_SY_EESZ_S10_S11_S12_S16_S17_S18_S1B_S1C_jS1D_jS1E_S1E_jjS1G_bEUljE0_EEESZ_S10_S11_S18_S1C_S1E_T6_T7_T9_mT8_S1G_bDpT10_ENKUlT_T0_E_clISt17integral_constantIbLb1EES1T_IbLb0EEEEDaS1P_S1Q_EUlS1P_E_NS1_11comp_targetILNS1_3genE8ELNS1_11target_archE1030ELNS1_3gpuE2ELNS1_3repE0EEENS1_30default_config_static_selectorELNS0_4arch9wavefront6targetE0EEEvS12_,"axG",@progbits,_ZN7rocprim17ROCPRIM_400000_NS6detail17trampoline_kernelINS0_13select_configILj256ELj13ELNS0_17block_load_methodE3ELS4_3ELS4_3ELNS0_20block_scan_algorithmE0ELj4294967295EEENS1_25partition_config_selectorILNS1_17partition_subalgoE4EjNS0_10empty_typeEbEEZZNS1_14partition_implILS8_4ELb0ES6_15HIP_vector_typeIjLj2EENS0_17counting_iteratorIjlEEPS9_SG_NS0_5tupleIJPjSI_NS0_16reverse_iteratorISI_EEEEENSH_IJSG_SG_SG_EEES9_SI_JZNS1_25segmented_radix_sort_implINS0_14default_configELb0EPKfPfPKlPlN2at6native12_GLOBAL__N_18offset_tEEE10hipError_tPvRmT1_PNSt15iterator_traitsIS12_E10value_typeET2_T3_PNS13_IS18_E10value_typeET4_jRbjT5_S1E_jjP12ihipStream_tbEUljE_ZNSN_ISO_Lb0ESQ_SR_ST_SU_SY_EESZ_S10_S11_S12_S16_S17_S18_S1B_S1C_jS1D_jS1E_S1E_jjS1G_bEUljE0_EEESZ_S10_S11_S18_S1C_S1E_T6_T7_T9_mT8_S1G_bDpT10_ENKUlT_T0_E_clISt17integral_constantIbLb1EES1T_IbLb0EEEEDaS1P_S1Q_EUlS1P_E_NS1_11comp_targetILNS1_3genE8ELNS1_11target_archE1030ELNS1_3gpuE2ELNS1_3repE0EEENS1_30default_config_static_selectorELNS0_4arch9wavefront6targetE0EEEvS12_,comdat
	.globl	_ZN7rocprim17ROCPRIM_400000_NS6detail17trampoline_kernelINS0_13select_configILj256ELj13ELNS0_17block_load_methodE3ELS4_3ELS4_3ELNS0_20block_scan_algorithmE0ELj4294967295EEENS1_25partition_config_selectorILNS1_17partition_subalgoE4EjNS0_10empty_typeEbEEZZNS1_14partition_implILS8_4ELb0ES6_15HIP_vector_typeIjLj2EENS0_17counting_iteratorIjlEEPS9_SG_NS0_5tupleIJPjSI_NS0_16reverse_iteratorISI_EEEEENSH_IJSG_SG_SG_EEES9_SI_JZNS1_25segmented_radix_sort_implINS0_14default_configELb0EPKfPfPKlPlN2at6native12_GLOBAL__N_18offset_tEEE10hipError_tPvRmT1_PNSt15iterator_traitsIS12_E10value_typeET2_T3_PNS13_IS18_E10value_typeET4_jRbjT5_S1E_jjP12ihipStream_tbEUljE_ZNSN_ISO_Lb0ESQ_SR_ST_SU_SY_EESZ_S10_S11_S12_S16_S17_S18_S1B_S1C_jS1D_jS1E_S1E_jjS1G_bEUljE0_EEESZ_S10_S11_S18_S1C_S1E_T6_T7_T9_mT8_S1G_bDpT10_ENKUlT_T0_E_clISt17integral_constantIbLb1EES1T_IbLb0EEEEDaS1P_S1Q_EUlS1P_E_NS1_11comp_targetILNS1_3genE8ELNS1_11target_archE1030ELNS1_3gpuE2ELNS1_3repE0EEENS1_30default_config_static_selectorELNS0_4arch9wavefront6targetE0EEEvS12_ ; -- Begin function _ZN7rocprim17ROCPRIM_400000_NS6detail17trampoline_kernelINS0_13select_configILj256ELj13ELNS0_17block_load_methodE3ELS4_3ELS4_3ELNS0_20block_scan_algorithmE0ELj4294967295EEENS1_25partition_config_selectorILNS1_17partition_subalgoE4EjNS0_10empty_typeEbEEZZNS1_14partition_implILS8_4ELb0ES6_15HIP_vector_typeIjLj2EENS0_17counting_iteratorIjlEEPS9_SG_NS0_5tupleIJPjSI_NS0_16reverse_iteratorISI_EEEEENSH_IJSG_SG_SG_EEES9_SI_JZNS1_25segmented_radix_sort_implINS0_14default_configELb0EPKfPfPKlPlN2at6native12_GLOBAL__N_18offset_tEEE10hipError_tPvRmT1_PNSt15iterator_traitsIS12_E10value_typeET2_T3_PNS13_IS18_E10value_typeET4_jRbjT5_S1E_jjP12ihipStream_tbEUljE_ZNSN_ISO_Lb0ESQ_SR_ST_SU_SY_EESZ_S10_S11_S12_S16_S17_S18_S1B_S1C_jS1D_jS1E_S1E_jjS1G_bEUljE0_EEESZ_S10_S11_S18_S1C_S1E_T6_T7_T9_mT8_S1G_bDpT10_ENKUlT_T0_E_clISt17integral_constantIbLb1EES1T_IbLb0EEEEDaS1P_S1Q_EUlS1P_E_NS1_11comp_targetILNS1_3genE8ELNS1_11target_archE1030ELNS1_3gpuE2ELNS1_3repE0EEENS1_30default_config_static_selectorELNS0_4arch9wavefront6targetE0EEEvS12_
	.p2align	8
	.type	_ZN7rocprim17ROCPRIM_400000_NS6detail17trampoline_kernelINS0_13select_configILj256ELj13ELNS0_17block_load_methodE3ELS4_3ELS4_3ELNS0_20block_scan_algorithmE0ELj4294967295EEENS1_25partition_config_selectorILNS1_17partition_subalgoE4EjNS0_10empty_typeEbEEZZNS1_14partition_implILS8_4ELb0ES6_15HIP_vector_typeIjLj2EENS0_17counting_iteratorIjlEEPS9_SG_NS0_5tupleIJPjSI_NS0_16reverse_iteratorISI_EEEEENSH_IJSG_SG_SG_EEES9_SI_JZNS1_25segmented_radix_sort_implINS0_14default_configELb0EPKfPfPKlPlN2at6native12_GLOBAL__N_18offset_tEEE10hipError_tPvRmT1_PNSt15iterator_traitsIS12_E10value_typeET2_T3_PNS13_IS18_E10value_typeET4_jRbjT5_S1E_jjP12ihipStream_tbEUljE_ZNSN_ISO_Lb0ESQ_SR_ST_SU_SY_EESZ_S10_S11_S12_S16_S17_S18_S1B_S1C_jS1D_jS1E_S1E_jjS1G_bEUljE0_EEESZ_S10_S11_S18_S1C_S1E_T6_T7_T9_mT8_S1G_bDpT10_ENKUlT_T0_E_clISt17integral_constantIbLb1EES1T_IbLb0EEEEDaS1P_S1Q_EUlS1P_E_NS1_11comp_targetILNS1_3genE8ELNS1_11target_archE1030ELNS1_3gpuE2ELNS1_3repE0EEENS1_30default_config_static_selectorELNS0_4arch9wavefront6targetE0EEEvS12_,@function
_ZN7rocprim17ROCPRIM_400000_NS6detail17trampoline_kernelINS0_13select_configILj256ELj13ELNS0_17block_load_methodE3ELS4_3ELS4_3ELNS0_20block_scan_algorithmE0ELj4294967295EEENS1_25partition_config_selectorILNS1_17partition_subalgoE4EjNS0_10empty_typeEbEEZZNS1_14partition_implILS8_4ELb0ES6_15HIP_vector_typeIjLj2EENS0_17counting_iteratorIjlEEPS9_SG_NS0_5tupleIJPjSI_NS0_16reverse_iteratorISI_EEEEENSH_IJSG_SG_SG_EEES9_SI_JZNS1_25segmented_radix_sort_implINS0_14default_configELb0EPKfPfPKlPlN2at6native12_GLOBAL__N_18offset_tEEE10hipError_tPvRmT1_PNSt15iterator_traitsIS12_E10value_typeET2_T3_PNS13_IS18_E10value_typeET4_jRbjT5_S1E_jjP12ihipStream_tbEUljE_ZNSN_ISO_Lb0ESQ_SR_ST_SU_SY_EESZ_S10_S11_S12_S16_S17_S18_S1B_S1C_jS1D_jS1E_S1E_jjS1G_bEUljE0_EEESZ_S10_S11_S18_S1C_S1E_T6_T7_T9_mT8_S1G_bDpT10_ENKUlT_T0_E_clISt17integral_constantIbLb1EES1T_IbLb0EEEEDaS1P_S1Q_EUlS1P_E_NS1_11comp_targetILNS1_3genE8ELNS1_11target_archE1030ELNS1_3gpuE2ELNS1_3repE0EEENS1_30default_config_static_selectorELNS0_4arch9wavefront6targetE0EEEvS12_: ; @_ZN7rocprim17ROCPRIM_400000_NS6detail17trampoline_kernelINS0_13select_configILj256ELj13ELNS0_17block_load_methodE3ELS4_3ELS4_3ELNS0_20block_scan_algorithmE0ELj4294967295EEENS1_25partition_config_selectorILNS1_17partition_subalgoE4EjNS0_10empty_typeEbEEZZNS1_14partition_implILS8_4ELb0ES6_15HIP_vector_typeIjLj2EENS0_17counting_iteratorIjlEEPS9_SG_NS0_5tupleIJPjSI_NS0_16reverse_iteratorISI_EEEEENSH_IJSG_SG_SG_EEES9_SI_JZNS1_25segmented_radix_sort_implINS0_14default_configELb0EPKfPfPKlPlN2at6native12_GLOBAL__N_18offset_tEEE10hipError_tPvRmT1_PNSt15iterator_traitsIS12_E10value_typeET2_T3_PNS13_IS18_E10value_typeET4_jRbjT5_S1E_jjP12ihipStream_tbEUljE_ZNSN_ISO_Lb0ESQ_SR_ST_SU_SY_EESZ_S10_S11_S12_S16_S17_S18_S1B_S1C_jS1D_jS1E_S1E_jjS1G_bEUljE0_EEESZ_S10_S11_S18_S1C_S1E_T6_T7_T9_mT8_S1G_bDpT10_ENKUlT_T0_E_clISt17integral_constantIbLb1EES1T_IbLb0EEEEDaS1P_S1Q_EUlS1P_E_NS1_11comp_targetILNS1_3genE8ELNS1_11target_archE1030ELNS1_3gpuE2ELNS1_3repE0EEENS1_30default_config_static_selectorELNS0_4arch9wavefront6targetE0EEEvS12_
; %bb.0:
	.section	.rodata,"a",@progbits
	.p2align	6, 0x0
	.amdhsa_kernel _ZN7rocprim17ROCPRIM_400000_NS6detail17trampoline_kernelINS0_13select_configILj256ELj13ELNS0_17block_load_methodE3ELS4_3ELS4_3ELNS0_20block_scan_algorithmE0ELj4294967295EEENS1_25partition_config_selectorILNS1_17partition_subalgoE4EjNS0_10empty_typeEbEEZZNS1_14partition_implILS8_4ELb0ES6_15HIP_vector_typeIjLj2EENS0_17counting_iteratorIjlEEPS9_SG_NS0_5tupleIJPjSI_NS0_16reverse_iteratorISI_EEEEENSH_IJSG_SG_SG_EEES9_SI_JZNS1_25segmented_radix_sort_implINS0_14default_configELb0EPKfPfPKlPlN2at6native12_GLOBAL__N_18offset_tEEE10hipError_tPvRmT1_PNSt15iterator_traitsIS12_E10value_typeET2_T3_PNS13_IS18_E10value_typeET4_jRbjT5_S1E_jjP12ihipStream_tbEUljE_ZNSN_ISO_Lb0ESQ_SR_ST_SU_SY_EESZ_S10_S11_S12_S16_S17_S18_S1B_S1C_jS1D_jS1E_S1E_jjS1G_bEUljE0_EEESZ_S10_S11_S18_S1C_S1E_T6_T7_T9_mT8_S1G_bDpT10_ENKUlT_T0_E_clISt17integral_constantIbLb1EES1T_IbLb0EEEEDaS1P_S1Q_EUlS1P_E_NS1_11comp_targetILNS1_3genE8ELNS1_11target_archE1030ELNS1_3gpuE2ELNS1_3repE0EEENS1_30default_config_static_selectorELNS0_4arch9wavefront6targetE0EEEvS12_
		.amdhsa_group_segment_fixed_size 0
		.amdhsa_private_segment_fixed_size 0
		.amdhsa_kernarg_size 176
		.amdhsa_user_sgpr_count 2
		.amdhsa_user_sgpr_dispatch_ptr 0
		.amdhsa_user_sgpr_queue_ptr 0
		.amdhsa_user_sgpr_kernarg_segment_ptr 1
		.amdhsa_user_sgpr_dispatch_id 0
		.amdhsa_user_sgpr_private_segment_size 0
		.amdhsa_wavefront_size32 1
		.amdhsa_uses_dynamic_stack 0
		.amdhsa_enable_private_segment 0
		.amdhsa_system_sgpr_workgroup_id_x 1
		.amdhsa_system_sgpr_workgroup_id_y 0
		.amdhsa_system_sgpr_workgroup_id_z 0
		.amdhsa_system_sgpr_workgroup_info 0
		.amdhsa_system_vgpr_workitem_id 0
		.amdhsa_next_free_vgpr 1
		.amdhsa_next_free_sgpr 1
		.amdhsa_reserve_vcc 0
		.amdhsa_float_round_mode_32 0
		.amdhsa_float_round_mode_16_64 0
		.amdhsa_float_denorm_mode_32 3
		.amdhsa_float_denorm_mode_16_64 3
		.amdhsa_fp16_overflow 0
		.amdhsa_workgroup_processor_mode 1
		.amdhsa_memory_ordered 1
		.amdhsa_forward_progress 1
		.amdhsa_inst_pref_size 0
		.amdhsa_round_robin_scheduling 0
		.amdhsa_exception_fp_ieee_invalid_op 0
		.amdhsa_exception_fp_denorm_src 0
		.amdhsa_exception_fp_ieee_div_zero 0
		.amdhsa_exception_fp_ieee_overflow 0
		.amdhsa_exception_fp_ieee_underflow 0
		.amdhsa_exception_fp_ieee_inexact 0
		.amdhsa_exception_int_div_zero 0
	.end_amdhsa_kernel
	.section	.text._ZN7rocprim17ROCPRIM_400000_NS6detail17trampoline_kernelINS0_13select_configILj256ELj13ELNS0_17block_load_methodE3ELS4_3ELS4_3ELNS0_20block_scan_algorithmE0ELj4294967295EEENS1_25partition_config_selectorILNS1_17partition_subalgoE4EjNS0_10empty_typeEbEEZZNS1_14partition_implILS8_4ELb0ES6_15HIP_vector_typeIjLj2EENS0_17counting_iteratorIjlEEPS9_SG_NS0_5tupleIJPjSI_NS0_16reverse_iteratorISI_EEEEENSH_IJSG_SG_SG_EEES9_SI_JZNS1_25segmented_radix_sort_implINS0_14default_configELb0EPKfPfPKlPlN2at6native12_GLOBAL__N_18offset_tEEE10hipError_tPvRmT1_PNSt15iterator_traitsIS12_E10value_typeET2_T3_PNS13_IS18_E10value_typeET4_jRbjT5_S1E_jjP12ihipStream_tbEUljE_ZNSN_ISO_Lb0ESQ_SR_ST_SU_SY_EESZ_S10_S11_S12_S16_S17_S18_S1B_S1C_jS1D_jS1E_S1E_jjS1G_bEUljE0_EEESZ_S10_S11_S18_S1C_S1E_T6_T7_T9_mT8_S1G_bDpT10_ENKUlT_T0_E_clISt17integral_constantIbLb1EES1T_IbLb0EEEEDaS1P_S1Q_EUlS1P_E_NS1_11comp_targetILNS1_3genE8ELNS1_11target_archE1030ELNS1_3gpuE2ELNS1_3repE0EEENS1_30default_config_static_selectorELNS0_4arch9wavefront6targetE0EEEvS12_,"axG",@progbits,_ZN7rocprim17ROCPRIM_400000_NS6detail17trampoline_kernelINS0_13select_configILj256ELj13ELNS0_17block_load_methodE3ELS4_3ELS4_3ELNS0_20block_scan_algorithmE0ELj4294967295EEENS1_25partition_config_selectorILNS1_17partition_subalgoE4EjNS0_10empty_typeEbEEZZNS1_14partition_implILS8_4ELb0ES6_15HIP_vector_typeIjLj2EENS0_17counting_iteratorIjlEEPS9_SG_NS0_5tupleIJPjSI_NS0_16reverse_iteratorISI_EEEEENSH_IJSG_SG_SG_EEES9_SI_JZNS1_25segmented_radix_sort_implINS0_14default_configELb0EPKfPfPKlPlN2at6native12_GLOBAL__N_18offset_tEEE10hipError_tPvRmT1_PNSt15iterator_traitsIS12_E10value_typeET2_T3_PNS13_IS18_E10value_typeET4_jRbjT5_S1E_jjP12ihipStream_tbEUljE_ZNSN_ISO_Lb0ESQ_SR_ST_SU_SY_EESZ_S10_S11_S12_S16_S17_S18_S1B_S1C_jS1D_jS1E_S1E_jjS1G_bEUljE0_EEESZ_S10_S11_S18_S1C_S1E_T6_T7_T9_mT8_S1G_bDpT10_ENKUlT_T0_E_clISt17integral_constantIbLb1EES1T_IbLb0EEEEDaS1P_S1Q_EUlS1P_E_NS1_11comp_targetILNS1_3genE8ELNS1_11target_archE1030ELNS1_3gpuE2ELNS1_3repE0EEENS1_30default_config_static_selectorELNS0_4arch9wavefront6targetE0EEEvS12_,comdat
.Lfunc_end1387:
	.size	_ZN7rocprim17ROCPRIM_400000_NS6detail17trampoline_kernelINS0_13select_configILj256ELj13ELNS0_17block_load_methodE3ELS4_3ELS4_3ELNS0_20block_scan_algorithmE0ELj4294967295EEENS1_25partition_config_selectorILNS1_17partition_subalgoE4EjNS0_10empty_typeEbEEZZNS1_14partition_implILS8_4ELb0ES6_15HIP_vector_typeIjLj2EENS0_17counting_iteratorIjlEEPS9_SG_NS0_5tupleIJPjSI_NS0_16reverse_iteratorISI_EEEEENSH_IJSG_SG_SG_EEES9_SI_JZNS1_25segmented_radix_sort_implINS0_14default_configELb0EPKfPfPKlPlN2at6native12_GLOBAL__N_18offset_tEEE10hipError_tPvRmT1_PNSt15iterator_traitsIS12_E10value_typeET2_T3_PNS13_IS18_E10value_typeET4_jRbjT5_S1E_jjP12ihipStream_tbEUljE_ZNSN_ISO_Lb0ESQ_SR_ST_SU_SY_EESZ_S10_S11_S12_S16_S17_S18_S1B_S1C_jS1D_jS1E_S1E_jjS1G_bEUljE0_EEESZ_S10_S11_S18_S1C_S1E_T6_T7_T9_mT8_S1G_bDpT10_ENKUlT_T0_E_clISt17integral_constantIbLb1EES1T_IbLb0EEEEDaS1P_S1Q_EUlS1P_E_NS1_11comp_targetILNS1_3genE8ELNS1_11target_archE1030ELNS1_3gpuE2ELNS1_3repE0EEENS1_30default_config_static_selectorELNS0_4arch9wavefront6targetE0EEEvS12_, .Lfunc_end1387-_ZN7rocprim17ROCPRIM_400000_NS6detail17trampoline_kernelINS0_13select_configILj256ELj13ELNS0_17block_load_methodE3ELS4_3ELS4_3ELNS0_20block_scan_algorithmE0ELj4294967295EEENS1_25partition_config_selectorILNS1_17partition_subalgoE4EjNS0_10empty_typeEbEEZZNS1_14partition_implILS8_4ELb0ES6_15HIP_vector_typeIjLj2EENS0_17counting_iteratorIjlEEPS9_SG_NS0_5tupleIJPjSI_NS0_16reverse_iteratorISI_EEEEENSH_IJSG_SG_SG_EEES9_SI_JZNS1_25segmented_radix_sort_implINS0_14default_configELb0EPKfPfPKlPlN2at6native12_GLOBAL__N_18offset_tEEE10hipError_tPvRmT1_PNSt15iterator_traitsIS12_E10value_typeET2_T3_PNS13_IS18_E10value_typeET4_jRbjT5_S1E_jjP12ihipStream_tbEUljE_ZNSN_ISO_Lb0ESQ_SR_ST_SU_SY_EESZ_S10_S11_S12_S16_S17_S18_S1B_S1C_jS1D_jS1E_S1E_jjS1G_bEUljE0_EEESZ_S10_S11_S18_S1C_S1E_T6_T7_T9_mT8_S1G_bDpT10_ENKUlT_T0_E_clISt17integral_constantIbLb1EES1T_IbLb0EEEEDaS1P_S1Q_EUlS1P_E_NS1_11comp_targetILNS1_3genE8ELNS1_11target_archE1030ELNS1_3gpuE2ELNS1_3repE0EEENS1_30default_config_static_selectorELNS0_4arch9wavefront6targetE0EEEvS12_
                                        ; -- End function
	.set _ZN7rocprim17ROCPRIM_400000_NS6detail17trampoline_kernelINS0_13select_configILj256ELj13ELNS0_17block_load_methodE3ELS4_3ELS4_3ELNS0_20block_scan_algorithmE0ELj4294967295EEENS1_25partition_config_selectorILNS1_17partition_subalgoE4EjNS0_10empty_typeEbEEZZNS1_14partition_implILS8_4ELb0ES6_15HIP_vector_typeIjLj2EENS0_17counting_iteratorIjlEEPS9_SG_NS0_5tupleIJPjSI_NS0_16reverse_iteratorISI_EEEEENSH_IJSG_SG_SG_EEES9_SI_JZNS1_25segmented_radix_sort_implINS0_14default_configELb0EPKfPfPKlPlN2at6native12_GLOBAL__N_18offset_tEEE10hipError_tPvRmT1_PNSt15iterator_traitsIS12_E10value_typeET2_T3_PNS13_IS18_E10value_typeET4_jRbjT5_S1E_jjP12ihipStream_tbEUljE_ZNSN_ISO_Lb0ESQ_SR_ST_SU_SY_EESZ_S10_S11_S12_S16_S17_S18_S1B_S1C_jS1D_jS1E_S1E_jjS1G_bEUljE0_EEESZ_S10_S11_S18_S1C_S1E_T6_T7_T9_mT8_S1G_bDpT10_ENKUlT_T0_E_clISt17integral_constantIbLb1EES1T_IbLb0EEEEDaS1P_S1Q_EUlS1P_E_NS1_11comp_targetILNS1_3genE8ELNS1_11target_archE1030ELNS1_3gpuE2ELNS1_3repE0EEENS1_30default_config_static_selectorELNS0_4arch9wavefront6targetE0EEEvS12_.num_vgpr, 0
	.set _ZN7rocprim17ROCPRIM_400000_NS6detail17trampoline_kernelINS0_13select_configILj256ELj13ELNS0_17block_load_methodE3ELS4_3ELS4_3ELNS0_20block_scan_algorithmE0ELj4294967295EEENS1_25partition_config_selectorILNS1_17partition_subalgoE4EjNS0_10empty_typeEbEEZZNS1_14partition_implILS8_4ELb0ES6_15HIP_vector_typeIjLj2EENS0_17counting_iteratorIjlEEPS9_SG_NS0_5tupleIJPjSI_NS0_16reverse_iteratorISI_EEEEENSH_IJSG_SG_SG_EEES9_SI_JZNS1_25segmented_radix_sort_implINS0_14default_configELb0EPKfPfPKlPlN2at6native12_GLOBAL__N_18offset_tEEE10hipError_tPvRmT1_PNSt15iterator_traitsIS12_E10value_typeET2_T3_PNS13_IS18_E10value_typeET4_jRbjT5_S1E_jjP12ihipStream_tbEUljE_ZNSN_ISO_Lb0ESQ_SR_ST_SU_SY_EESZ_S10_S11_S12_S16_S17_S18_S1B_S1C_jS1D_jS1E_S1E_jjS1G_bEUljE0_EEESZ_S10_S11_S18_S1C_S1E_T6_T7_T9_mT8_S1G_bDpT10_ENKUlT_T0_E_clISt17integral_constantIbLb1EES1T_IbLb0EEEEDaS1P_S1Q_EUlS1P_E_NS1_11comp_targetILNS1_3genE8ELNS1_11target_archE1030ELNS1_3gpuE2ELNS1_3repE0EEENS1_30default_config_static_selectorELNS0_4arch9wavefront6targetE0EEEvS12_.num_agpr, 0
	.set _ZN7rocprim17ROCPRIM_400000_NS6detail17trampoline_kernelINS0_13select_configILj256ELj13ELNS0_17block_load_methodE3ELS4_3ELS4_3ELNS0_20block_scan_algorithmE0ELj4294967295EEENS1_25partition_config_selectorILNS1_17partition_subalgoE4EjNS0_10empty_typeEbEEZZNS1_14partition_implILS8_4ELb0ES6_15HIP_vector_typeIjLj2EENS0_17counting_iteratorIjlEEPS9_SG_NS0_5tupleIJPjSI_NS0_16reverse_iteratorISI_EEEEENSH_IJSG_SG_SG_EEES9_SI_JZNS1_25segmented_radix_sort_implINS0_14default_configELb0EPKfPfPKlPlN2at6native12_GLOBAL__N_18offset_tEEE10hipError_tPvRmT1_PNSt15iterator_traitsIS12_E10value_typeET2_T3_PNS13_IS18_E10value_typeET4_jRbjT5_S1E_jjP12ihipStream_tbEUljE_ZNSN_ISO_Lb0ESQ_SR_ST_SU_SY_EESZ_S10_S11_S12_S16_S17_S18_S1B_S1C_jS1D_jS1E_S1E_jjS1G_bEUljE0_EEESZ_S10_S11_S18_S1C_S1E_T6_T7_T9_mT8_S1G_bDpT10_ENKUlT_T0_E_clISt17integral_constantIbLb1EES1T_IbLb0EEEEDaS1P_S1Q_EUlS1P_E_NS1_11comp_targetILNS1_3genE8ELNS1_11target_archE1030ELNS1_3gpuE2ELNS1_3repE0EEENS1_30default_config_static_selectorELNS0_4arch9wavefront6targetE0EEEvS12_.numbered_sgpr, 0
	.set _ZN7rocprim17ROCPRIM_400000_NS6detail17trampoline_kernelINS0_13select_configILj256ELj13ELNS0_17block_load_methodE3ELS4_3ELS4_3ELNS0_20block_scan_algorithmE0ELj4294967295EEENS1_25partition_config_selectorILNS1_17partition_subalgoE4EjNS0_10empty_typeEbEEZZNS1_14partition_implILS8_4ELb0ES6_15HIP_vector_typeIjLj2EENS0_17counting_iteratorIjlEEPS9_SG_NS0_5tupleIJPjSI_NS0_16reverse_iteratorISI_EEEEENSH_IJSG_SG_SG_EEES9_SI_JZNS1_25segmented_radix_sort_implINS0_14default_configELb0EPKfPfPKlPlN2at6native12_GLOBAL__N_18offset_tEEE10hipError_tPvRmT1_PNSt15iterator_traitsIS12_E10value_typeET2_T3_PNS13_IS18_E10value_typeET4_jRbjT5_S1E_jjP12ihipStream_tbEUljE_ZNSN_ISO_Lb0ESQ_SR_ST_SU_SY_EESZ_S10_S11_S12_S16_S17_S18_S1B_S1C_jS1D_jS1E_S1E_jjS1G_bEUljE0_EEESZ_S10_S11_S18_S1C_S1E_T6_T7_T9_mT8_S1G_bDpT10_ENKUlT_T0_E_clISt17integral_constantIbLb1EES1T_IbLb0EEEEDaS1P_S1Q_EUlS1P_E_NS1_11comp_targetILNS1_3genE8ELNS1_11target_archE1030ELNS1_3gpuE2ELNS1_3repE0EEENS1_30default_config_static_selectorELNS0_4arch9wavefront6targetE0EEEvS12_.num_named_barrier, 0
	.set _ZN7rocprim17ROCPRIM_400000_NS6detail17trampoline_kernelINS0_13select_configILj256ELj13ELNS0_17block_load_methodE3ELS4_3ELS4_3ELNS0_20block_scan_algorithmE0ELj4294967295EEENS1_25partition_config_selectorILNS1_17partition_subalgoE4EjNS0_10empty_typeEbEEZZNS1_14partition_implILS8_4ELb0ES6_15HIP_vector_typeIjLj2EENS0_17counting_iteratorIjlEEPS9_SG_NS0_5tupleIJPjSI_NS0_16reverse_iteratorISI_EEEEENSH_IJSG_SG_SG_EEES9_SI_JZNS1_25segmented_radix_sort_implINS0_14default_configELb0EPKfPfPKlPlN2at6native12_GLOBAL__N_18offset_tEEE10hipError_tPvRmT1_PNSt15iterator_traitsIS12_E10value_typeET2_T3_PNS13_IS18_E10value_typeET4_jRbjT5_S1E_jjP12ihipStream_tbEUljE_ZNSN_ISO_Lb0ESQ_SR_ST_SU_SY_EESZ_S10_S11_S12_S16_S17_S18_S1B_S1C_jS1D_jS1E_S1E_jjS1G_bEUljE0_EEESZ_S10_S11_S18_S1C_S1E_T6_T7_T9_mT8_S1G_bDpT10_ENKUlT_T0_E_clISt17integral_constantIbLb1EES1T_IbLb0EEEEDaS1P_S1Q_EUlS1P_E_NS1_11comp_targetILNS1_3genE8ELNS1_11target_archE1030ELNS1_3gpuE2ELNS1_3repE0EEENS1_30default_config_static_selectorELNS0_4arch9wavefront6targetE0EEEvS12_.private_seg_size, 0
	.set _ZN7rocprim17ROCPRIM_400000_NS6detail17trampoline_kernelINS0_13select_configILj256ELj13ELNS0_17block_load_methodE3ELS4_3ELS4_3ELNS0_20block_scan_algorithmE0ELj4294967295EEENS1_25partition_config_selectorILNS1_17partition_subalgoE4EjNS0_10empty_typeEbEEZZNS1_14partition_implILS8_4ELb0ES6_15HIP_vector_typeIjLj2EENS0_17counting_iteratorIjlEEPS9_SG_NS0_5tupleIJPjSI_NS0_16reverse_iteratorISI_EEEEENSH_IJSG_SG_SG_EEES9_SI_JZNS1_25segmented_radix_sort_implINS0_14default_configELb0EPKfPfPKlPlN2at6native12_GLOBAL__N_18offset_tEEE10hipError_tPvRmT1_PNSt15iterator_traitsIS12_E10value_typeET2_T3_PNS13_IS18_E10value_typeET4_jRbjT5_S1E_jjP12ihipStream_tbEUljE_ZNSN_ISO_Lb0ESQ_SR_ST_SU_SY_EESZ_S10_S11_S12_S16_S17_S18_S1B_S1C_jS1D_jS1E_S1E_jjS1G_bEUljE0_EEESZ_S10_S11_S18_S1C_S1E_T6_T7_T9_mT8_S1G_bDpT10_ENKUlT_T0_E_clISt17integral_constantIbLb1EES1T_IbLb0EEEEDaS1P_S1Q_EUlS1P_E_NS1_11comp_targetILNS1_3genE8ELNS1_11target_archE1030ELNS1_3gpuE2ELNS1_3repE0EEENS1_30default_config_static_selectorELNS0_4arch9wavefront6targetE0EEEvS12_.uses_vcc, 0
	.set _ZN7rocprim17ROCPRIM_400000_NS6detail17trampoline_kernelINS0_13select_configILj256ELj13ELNS0_17block_load_methodE3ELS4_3ELS4_3ELNS0_20block_scan_algorithmE0ELj4294967295EEENS1_25partition_config_selectorILNS1_17partition_subalgoE4EjNS0_10empty_typeEbEEZZNS1_14partition_implILS8_4ELb0ES6_15HIP_vector_typeIjLj2EENS0_17counting_iteratorIjlEEPS9_SG_NS0_5tupleIJPjSI_NS0_16reverse_iteratorISI_EEEEENSH_IJSG_SG_SG_EEES9_SI_JZNS1_25segmented_radix_sort_implINS0_14default_configELb0EPKfPfPKlPlN2at6native12_GLOBAL__N_18offset_tEEE10hipError_tPvRmT1_PNSt15iterator_traitsIS12_E10value_typeET2_T3_PNS13_IS18_E10value_typeET4_jRbjT5_S1E_jjP12ihipStream_tbEUljE_ZNSN_ISO_Lb0ESQ_SR_ST_SU_SY_EESZ_S10_S11_S12_S16_S17_S18_S1B_S1C_jS1D_jS1E_S1E_jjS1G_bEUljE0_EEESZ_S10_S11_S18_S1C_S1E_T6_T7_T9_mT8_S1G_bDpT10_ENKUlT_T0_E_clISt17integral_constantIbLb1EES1T_IbLb0EEEEDaS1P_S1Q_EUlS1P_E_NS1_11comp_targetILNS1_3genE8ELNS1_11target_archE1030ELNS1_3gpuE2ELNS1_3repE0EEENS1_30default_config_static_selectorELNS0_4arch9wavefront6targetE0EEEvS12_.uses_flat_scratch, 0
	.set _ZN7rocprim17ROCPRIM_400000_NS6detail17trampoline_kernelINS0_13select_configILj256ELj13ELNS0_17block_load_methodE3ELS4_3ELS4_3ELNS0_20block_scan_algorithmE0ELj4294967295EEENS1_25partition_config_selectorILNS1_17partition_subalgoE4EjNS0_10empty_typeEbEEZZNS1_14partition_implILS8_4ELb0ES6_15HIP_vector_typeIjLj2EENS0_17counting_iteratorIjlEEPS9_SG_NS0_5tupleIJPjSI_NS0_16reverse_iteratorISI_EEEEENSH_IJSG_SG_SG_EEES9_SI_JZNS1_25segmented_radix_sort_implINS0_14default_configELb0EPKfPfPKlPlN2at6native12_GLOBAL__N_18offset_tEEE10hipError_tPvRmT1_PNSt15iterator_traitsIS12_E10value_typeET2_T3_PNS13_IS18_E10value_typeET4_jRbjT5_S1E_jjP12ihipStream_tbEUljE_ZNSN_ISO_Lb0ESQ_SR_ST_SU_SY_EESZ_S10_S11_S12_S16_S17_S18_S1B_S1C_jS1D_jS1E_S1E_jjS1G_bEUljE0_EEESZ_S10_S11_S18_S1C_S1E_T6_T7_T9_mT8_S1G_bDpT10_ENKUlT_T0_E_clISt17integral_constantIbLb1EES1T_IbLb0EEEEDaS1P_S1Q_EUlS1P_E_NS1_11comp_targetILNS1_3genE8ELNS1_11target_archE1030ELNS1_3gpuE2ELNS1_3repE0EEENS1_30default_config_static_selectorELNS0_4arch9wavefront6targetE0EEEvS12_.has_dyn_sized_stack, 0
	.set _ZN7rocprim17ROCPRIM_400000_NS6detail17trampoline_kernelINS0_13select_configILj256ELj13ELNS0_17block_load_methodE3ELS4_3ELS4_3ELNS0_20block_scan_algorithmE0ELj4294967295EEENS1_25partition_config_selectorILNS1_17partition_subalgoE4EjNS0_10empty_typeEbEEZZNS1_14partition_implILS8_4ELb0ES6_15HIP_vector_typeIjLj2EENS0_17counting_iteratorIjlEEPS9_SG_NS0_5tupleIJPjSI_NS0_16reverse_iteratorISI_EEEEENSH_IJSG_SG_SG_EEES9_SI_JZNS1_25segmented_radix_sort_implINS0_14default_configELb0EPKfPfPKlPlN2at6native12_GLOBAL__N_18offset_tEEE10hipError_tPvRmT1_PNSt15iterator_traitsIS12_E10value_typeET2_T3_PNS13_IS18_E10value_typeET4_jRbjT5_S1E_jjP12ihipStream_tbEUljE_ZNSN_ISO_Lb0ESQ_SR_ST_SU_SY_EESZ_S10_S11_S12_S16_S17_S18_S1B_S1C_jS1D_jS1E_S1E_jjS1G_bEUljE0_EEESZ_S10_S11_S18_S1C_S1E_T6_T7_T9_mT8_S1G_bDpT10_ENKUlT_T0_E_clISt17integral_constantIbLb1EES1T_IbLb0EEEEDaS1P_S1Q_EUlS1P_E_NS1_11comp_targetILNS1_3genE8ELNS1_11target_archE1030ELNS1_3gpuE2ELNS1_3repE0EEENS1_30default_config_static_selectorELNS0_4arch9wavefront6targetE0EEEvS12_.has_recursion, 0
	.set _ZN7rocprim17ROCPRIM_400000_NS6detail17trampoline_kernelINS0_13select_configILj256ELj13ELNS0_17block_load_methodE3ELS4_3ELS4_3ELNS0_20block_scan_algorithmE0ELj4294967295EEENS1_25partition_config_selectorILNS1_17partition_subalgoE4EjNS0_10empty_typeEbEEZZNS1_14partition_implILS8_4ELb0ES6_15HIP_vector_typeIjLj2EENS0_17counting_iteratorIjlEEPS9_SG_NS0_5tupleIJPjSI_NS0_16reverse_iteratorISI_EEEEENSH_IJSG_SG_SG_EEES9_SI_JZNS1_25segmented_radix_sort_implINS0_14default_configELb0EPKfPfPKlPlN2at6native12_GLOBAL__N_18offset_tEEE10hipError_tPvRmT1_PNSt15iterator_traitsIS12_E10value_typeET2_T3_PNS13_IS18_E10value_typeET4_jRbjT5_S1E_jjP12ihipStream_tbEUljE_ZNSN_ISO_Lb0ESQ_SR_ST_SU_SY_EESZ_S10_S11_S12_S16_S17_S18_S1B_S1C_jS1D_jS1E_S1E_jjS1G_bEUljE0_EEESZ_S10_S11_S18_S1C_S1E_T6_T7_T9_mT8_S1G_bDpT10_ENKUlT_T0_E_clISt17integral_constantIbLb1EES1T_IbLb0EEEEDaS1P_S1Q_EUlS1P_E_NS1_11comp_targetILNS1_3genE8ELNS1_11target_archE1030ELNS1_3gpuE2ELNS1_3repE0EEENS1_30default_config_static_selectorELNS0_4arch9wavefront6targetE0EEEvS12_.has_indirect_call, 0
	.section	.AMDGPU.csdata,"",@progbits
; Kernel info:
; codeLenInByte = 0
; TotalNumSgprs: 0
; NumVgprs: 0
; ScratchSize: 0
; MemoryBound: 0
; FloatMode: 240
; IeeeMode: 1
; LDSByteSize: 0 bytes/workgroup (compile time only)
; SGPRBlocks: 0
; VGPRBlocks: 0
; NumSGPRsForWavesPerEU: 1
; NumVGPRsForWavesPerEU: 1
; Occupancy: 16
; WaveLimiterHint : 0
; COMPUTE_PGM_RSRC2:SCRATCH_EN: 0
; COMPUTE_PGM_RSRC2:USER_SGPR: 2
; COMPUTE_PGM_RSRC2:TRAP_HANDLER: 0
; COMPUTE_PGM_RSRC2:TGID_X_EN: 1
; COMPUTE_PGM_RSRC2:TGID_Y_EN: 0
; COMPUTE_PGM_RSRC2:TGID_Z_EN: 0
; COMPUTE_PGM_RSRC2:TIDIG_COMP_CNT: 0
	.section	.text._ZN7rocprim17ROCPRIM_400000_NS6detail17trampoline_kernelINS0_13select_configILj256ELj13ELNS0_17block_load_methodE3ELS4_3ELS4_3ELNS0_20block_scan_algorithmE0ELj4294967295EEENS1_25partition_config_selectorILNS1_17partition_subalgoE4EjNS0_10empty_typeEbEEZZNS1_14partition_implILS8_4ELb0ES6_15HIP_vector_typeIjLj2EENS0_17counting_iteratorIjlEEPS9_SG_NS0_5tupleIJPjSI_NS0_16reverse_iteratorISI_EEEEENSH_IJSG_SG_SG_EEES9_SI_JZNS1_25segmented_radix_sort_implINS0_14default_configELb0EPKfPfPKlPlN2at6native12_GLOBAL__N_18offset_tEEE10hipError_tPvRmT1_PNSt15iterator_traitsIS12_E10value_typeET2_T3_PNS13_IS18_E10value_typeET4_jRbjT5_S1E_jjP12ihipStream_tbEUljE_ZNSN_ISO_Lb0ESQ_SR_ST_SU_SY_EESZ_S10_S11_S12_S16_S17_S18_S1B_S1C_jS1D_jS1E_S1E_jjS1G_bEUljE0_EEESZ_S10_S11_S18_S1C_S1E_T6_T7_T9_mT8_S1G_bDpT10_ENKUlT_T0_E_clISt17integral_constantIbLb0EES1T_IbLb1EEEEDaS1P_S1Q_EUlS1P_E_NS1_11comp_targetILNS1_3genE0ELNS1_11target_archE4294967295ELNS1_3gpuE0ELNS1_3repE0EEENS1_30default_config_static_selectorELNS0_4arch9wavefront6targetE0EEEvS12_,"axG",@progbits,_ZN7rocprim17ROCPRIM_400000_NS6detail17trampoline_kernelINS0_13select_configILj256ELj13ELNS0_17block_load_methodE3ELS4_3ELS4_3ELNS0_20block_scan_algorithmE0ELj4294967295EEENS1_25partition_config_selectorILNS1_17partition_subalgoE4EjNS0_10empty_typeEbEEZZNS1_14partition_implILS8_4ELb0ES6_15HIP_vector_typeIjLj2EENS0_17counting_iteratorIjlEEPS9_SG_NS0_5tupleIJPjSI_NS0_16reverse_iteratorISI_EEEEENSH_IJSG_SG_SG_EEES9_SI_JZNS1_25segmented_radix_sort_implINS0_14default_configELb0EPKfPfPKlPlN2at6native12_GLOBAL__N_18offset_tEEE10hipError_tPvRmT1_PNSt15iterator_traitsIS12_E10value_typeET2_T3_PNS13_IS18_E10value_typeET4_jRbjT5_S1E_jjP12ihipStream_tbEUljE_ZNSN_ISO_Lb0ESQ_SR_ST_SU_SY_EESZ_S10_S11_S12_S16_S17_S18_S1B_S1C_jS1D_jS1E_S1E_jjS1G_bEUljE0_EEESZ_S10_S11_S18_S1C_S1E_T6_T7_T9_mT8_S1G_bDpT10_ENKUlT_T0_E_clISt17integral_constantIbLb0EES1T_IbLb1EEEEDaS1P_S1Q_EUlS1P_E_NS1_11comp_targetILNS1_3genE0ELNS1_11target_archE4294967295ELNS1_3gpuE0ELNS1_3repE0EEENS1_30default_config_static_selectorELNS0_4arch9wavefront6targetE0EEEvS12_,comdat
	.globl	_ZN7rocprim17ROCPRIM_400000_NS6detail17trampoline_kernelINS0_13select_configILj256ELj13ELNS0_17block_load_methodE3ELS4_3ELS4_3ELNS0_20block_scan_algorithmE0ELj4294967295EEENS1_25partition_config_selectorILNS1_17partition_subalgoE4EjNS0_10empty_typeEbEEZZNS1_14partition_implILS8_4ELb0ES6_15HIP_vector_typeIjLj2EENS0_17counting_iteratorIjlEEPS9_SG_NS0_5tupleIJPjSI_NS0_16reverse_iteratorISI_EEEEENSH_IJSG_SG_SG_EEES9_SI_JZNS1_25segmented_radix_sort_implINS0_14default_configELb0EPKfPfPKlPlN2at6native12_GLOBAL__N_18offset_tEEE10hipError_tPvRmT1_PNSt15iterator_traitsIS12_E10value_typeET2_T3_PNS13_IS18_E10value_typeET4_jRbjT5_S1E_jjP12ihipStream_tbEUljE_ZNSN_ISO_Lb0ESQ_SR_ST_SU_SY_EESZ_S10_S11_S12_S16_S17_S18_S1B_S1C_jS1D_jS1E_S1E_jjS1G_bEUljE0_EEESZ_S10_S11_S18_S1C_S1E_T6_T7_T9_mT8_S1G_bDpT10_ENKUlT_T0_E_clISt17integral_constantIbLb0EES1T_IbLb1EEEEDaS1P_S1Q_EUlS1P_E_NS1_11comp_targetILNS1_3genE0ELNS1_11target_archE4294967295ELNS1_3gpuE0ELNS1_3repE0EEENS1_30default_config_static_selectorELNS0_4arch9wavefront6targetE0EEEvS12_ ; -- Begin function _ZN7rocprim17ROCPRIM_400000_NS6detail17trampoline_kernelINS0_13select_configILj256ELj13ELNS0_17block_load_methodE3ELS4_3ELS4_3ELNS0_20block_scan_algorithmE0ELj4294967295EEENS1_25partition_config_selectorILNS1_17partition_subalgoE4EjNS0_10empty_typeEbEEZZNS1_14partition_implILS8_4ELb0ES6_15HIP_vector_typeIjLj2EENS0_17counting_iteratorIjlEEPS9_SG_NS0_5tupleIJPjSI_NS0_16reverse_iteratorISI_EEEEENSH_IJSG_SG_SG_EEES9_SI_JZNS1_25segmented_radix_sort_implINS0_14default_configELb0EPKfPfPKlPlN2at6native12_GLOBAL__N_18offset_tEEE10hipError_tPvRmT1_PNSt15iterator_traitsIS12_E10value_typeET2_T3_PNS13_IS18_E10value_typeET4_jRbjT5_S1E_jjP12ihipStream_tbEUljE_ZNSN_ISO_Lb0ESQ_SR_ST_SU_SY_EESZ_S10_S11_S12_S16_S17_S18_S1B_S1C_jS1D_jS1E_S1E_jjS1G_bEUljE0_EEESZ_S10_S11_S18_S1C_S1E_T6_T7_T9_mT8_S1G_bDpT10_ENKUlT_T0_E_clISt17integral_constantIbLb0EES1T_IbLb1EEEEDaS1P_S1Q_EUlS1P_E_NS1_11comp_targetILNS1_3genE0ELNS1_11target_archE4294967295ELNS1_3gpuE0ELNS1_3repE0EEENS1_30default_config_static_selectorELNS0_4arch9wavefront6targetE0EEEvS12_
	.p2align	8
	.type	_ZN7rocprim17ROCPRIM_400000_NS6detail17trampoline_kernelINS0_13select_configILj256ELj13ELNS0_17block_load_methodE3ELS4_3ELS4_3ELNS0_20block_scan_algorithmE0ELj4294967295EEENS1_25partition_config_selectorILNS1_17partition_subalgoE4EjNS0_10empty_typeEbEEZZNS1_14partition_implILS8_4ELb0ES6_15HIP_vector_typeIjLj2EENS0_17counting_iteratorIjlEEPS9_SG_NS0_5tupleIJPjSI_NS0_16reverse_iteratorISI_EEEEENSH_IJSG_SG_SG_EEES9_SI_JZNS1_25segmented_radix_sort_implINS0_14default_configELb0EPKfPfPKlPlN2at6native12_GLOBAL__N_18offset_tEEE10hipError_tPvRmT1_PNSt15iterator_traitsIS12_E10value_typeET2_T3_PNS13_IS18_E10value_typeET4_jRbjT5_S1E_jjP12ihipStream_tbEUljE_ZNSN_ISO_Lb0ESQ_SR_ST_SU_SY_EESZ_S10_S11_S12_S16_S17_S18_S1B_S1C_jS1D_jS1E_S1E_jjS1G_bEUljE0_EEESZ_S10_S11_S18_S1C_S1E_T6_T7_T9_mT8_S1G_bDpT10_ENKUlT_T0_E_clISt17integral_constantIbLb0EES1T_IbLb1EEEEDaS1P_S1Q_EUlS1P_E_NS1_11comp_targetILNS1_3genE0ELNS1_11target_archE4294967295ELNS1_3gpuE0ELNS1_3repE0EEENS1_30default_config_static_selectorELNS0_4arch9wavefront6targetE0EEEvS12_,@function
_ZN7rocprim17ROCPRIM_400000_NS6detail17trampoline_kernelINS0_13select_configILj256ELj13ELNS0_17block_load_methodE3ELS4_3ELS4_3ELNS0_20block_scan_algorithmE0ELj4294967295EEENS1_25partition_config_selectorILNS1_17partition_subalgoE4EjNS0_10empty_typeEbEEZZNS1_14partition_implILS8_4ELb0ES6_15HIP_vector_typeIjLj2EENS0_17counting_iteratorIjlEEPS9_SG_NS0_5tupleIJPjSI_NS0_16reverse_iteratorISI_EEEEENSH_IJSG_SG_SG_EEES9_SI_JZNS1_25segmented_radix_sort_implINS0_14default_configELb0EPKfPfPKlPlN2at6native12_GLOBAL__N_18offset_tEEE10hipError_tPvRmT1_PNSt15iterator_traitsIS12_E10value_typeET2_T3_PNS13_IS18_E10value_typeET4_jRbjT5_S1E_jjP12ihipStream_tbEUljE_ZNSN_ISO_Lb0ESQ_SR_ST_SU_SY_EESZ_S10_S11_S12_S16_S17_S18_S1B_S1C_jS1D_jS1E_S1E_jjS1G_bEUljE0_EEESZ_S10_S11_S18_S1C_S1E_T6_T7_T9_mT8_S1G_bDpT10_ENKUlT_T0_E_clISt17integral_constantIbLb0EES1T_IbLb1EEEEDaS1P_S1Q_EUlS1P_E_NS1_11comp_targetILNS1_3genE0ELNS1_11target_archE4294967295ELNS1_3gpuE0ELNS1_3repE0EEENS1_30default_config_static_selectorELNS0_4arch9wavefront6targetE0EEEvS12_: ; @_ZN7rocprim17ROCPRIM_400000_NS6detail17trampoline_kernelINS0_13select_configILj256ELj13ELNS0_17block_load_methodE3ELS4_3ELS4_3ELNS0_20block_scan_algorithmE0ELj4294967295EEENS1_25partition_config_selectorILNS1_17partition_subalgoE4EjNS0_10empty_typeEbEEZZNS1_14partition_implILS8_4ELb0ES6_15HIP_vector_typeIjLj2EENS0_17counting_iteratorIjlEEPS9_SG_NS0_5tupleIJPjSI_NS0_16reverse_iteratorISI_EEEEENSH_IJSG_SG_SG_EEES9_SI_JZNS1_25segmented_radix_sort_implINS0_14default_configELb0EPKfPfPKlPlN2at6native12_GLOBAL__N_18offset_tEEE10hipError_tPvRmT1_PNSt15iterator_traitsIS12_E10value_typeET2_T3_PNS13_IS18_E10value_typeET4_jRbjT5_S1E_jjP12ihipStream_tbEUljE_ZNSN_ISO_Lb0ESQ_SR_ST_SU_SY_EESZ_S10_S11_S12_S16_S17_S18_S1B_S1C_jS1D_jS1E_S1E_jjS1G_bEUljE0_EEESZ_S10_S11_S18_S1C_S1E_T6_T7_T9_mT8_S1G_bDpT10_ENKUlT_T0_E_clISt17integral_constantIbLb0EES1T_IbLb1EEEEDaS1P_S1Q_EUlS1P_E_NS1_11comp_targetILNS1_3genE0ELNS1_11target_archE4294967295ELNS1_3gpuE0ELNS1_3repE0EEENS1_30default_config_static_selectorELNS0_4arch9wavefront6targetE0EEEvS12_
; %bb.0:
	.section	.rodata,"a",@progbits
	.p2align	6, 0x0
	.amdhsa_kernel _ZN7rocprim17ROCPRIM_400000_NS6detail17trampoline_kernelINS0_13select_configILj256ELj13ELNS0_17block_load_methodE3ELS4_3ELS4_3ELNS0_20block_scan_algorithmE0ELj4294967295EEENS1_25partition_config_selectorILNS1_17partition_subalgoE4EjNS0_10empty_typeEbEEZZNS1_14partition_implILS8_4ELb0ES6_15HIP_vector_typeIjLj2EENS0_17counting_iteratorIjlEEPS9_SG_NS0_5tupleIJPjSI_NS0_16reverse_iteratorISI_EEEEENSH_IJSG_SG_SG_EEES9_SI_JZNS1_25segmented_radix_sort_implINS0_14default_configELb0EPKfPfPKlPlN2at6native12_GLOBAL__N_18offset_tEEE10hipError_tPvRmT1_PNSt15iterator_traitsIS12_E10value_typeET2_T3_PNS13_IS18_E10value_typeET4_jRbjT5_S1E_jjP12ihipStream_tbEUljE_ZNSN_ISO_Lb0ESQ_SR_ST_SU_SY_EESZ_S10_S11_S12_S16_S17_S18_S1B_S1C_jS1D_jS1E_S1E_jjS1G_bEUljE0_EEESZ_S10_S11_S18_S1C_S1E_T6_T7_T9_mT8_S1G_bDpT10_ENKUlT_T0_E_clISt17integral_constantIbLb0EES1T_IbLb1EEEEDaS1P_S1Q_EUlS1P_E_NS1_11comp_targetILNS1_3genE0ELNS1_11target_archE4294967295ELNS1_3gpuE0ELNS1_3repE0EEENS1_30default_config_static_selectorELNS0_4arch9wavefront6targetE0EEEvS12_
		.amdhsa_group_segment_fixed_size 0
		.amdhsa_private_segment_fixed_size 0
		.amdhsa_kernarg_size 184
		.amdhsa_user_sgpr_count 2
		.amdhsa_user_sgpr_dispatch_ptr 0
		.amdhsa_user_sgpr_queue_ptr 0
		.amdhsa_user_sgpr_kernarg_segment_ptr 1
		.amdhsa_user_sgpr_dispatch_id 0
		.amdhsa_user_sgpr_private_segment_size 0
		.amdhsa_wavefront_size32 1
		.amdhsa_uses_dynamic_stack 0
		.amdhsa_enable_private_segment 0
		.amdhsa_system_sgpr_workgroup_id_x 1
		.amdhsa_system_sgpr_workgroup_id_y 0
		.amdhsa_system_sgpr_workgroup_id_z 0
		.amdhsa_system_sgpr_workgroup_info 0
		.amdhsa_system_vgpr_workitem_id 0
		.amdhsa_next_free_vgpr 1
		.amdhsa_next_free_sgpr 1
		.amdhsa_reserve_vcc 0
		.amdhsa_float_round_mode_32 0
		.amdhsa_float_round_mode_16_64 0
		.amdhsa_float_denorm_mode_32 3
		.amdhsa_float_denorm_mode_16_64 3
		.amdhsa_fp16_overflow 0
		.amdhsa_workgroup_processor_mode 1
		.amdhsa_memory_ordered 1
		.amdhsa_forward_progress 1
		.amdhsa_inst_pref_size 0
		.amdhsa_round_robin_scheduling 0
		.amdhsa_exception_fp_ieee_invalid_op 0
		.amdhsa_exception_fp_denorm_src 0
		.amdhsa_exception_fp_ieee_div_zero 0
		.amdhsa_exception_fp_ieee_overflow 0
		.amdhsa_exception_fp_ieee_underflow 0
		.amdhsa_exception_fp_ieee_inexact 0
		.amdhsa_exception_int_div_zero 0
	.end_amdhsa_kernel
	.section	.text._ZN7rocprim17ROCPRIM_400000_NS6detail17trampoline_kernelINS0_13select_configILj256ELj13ELNS0_17block_load_methodE3ELS4_3ELS4_3ELNS0_20block_scan_algorithmE0ELj4294967295EEENS1_25partition_config_selectorILNS1_17partition_subalgoE4EjNS0_10empty_typeEbEEZZNS1_14partition_implILS8_4ELb0ES6_15HIP_vector_typeIjLj2EENS0_17counting_iteratorIjlEEPS9_SG_NS0_5tupleIJPjSI_NS0_16reverse_iteratorISI_EEEEENSH_IJSG_SG_SG_EEES9_SI_JZNS1_25segmented_radix_sort_implINS0_14default_configELb0EPKfPfPKlPlN2at6native12_GLOBAL__N_18offset_tEEE10hipError_tPvRmT1_PNSt15iterator_traitsIS12_E10value_typeET2_T3_PNS13_IS18_E10value_typeET4_jRbjT5_S1E_jjP12ihipStream_tbEUljE_ZNSN_ISO_Lb0ESQ_SR_ST_SU_SY_EESZ_S10_S11_S12_S16_S17_S18_S1B_S1C_jS1D_jS1E_S1E_jjS1G_bEUljE0_EEESZ_S10_S11_S18_S1C_S1E_T6_T7_T9_mT8_S1G_bDpT10_ENKUlT_T0_E_clISt17integral_constantIbLb0EES1T_IbLb1EEEEDaS1P_S1Q_EUlS1P_E_NS1_11comp_targetILNS1_3genE0ELNS1_11target_archE4294967295ELNS1_3gpuE0ELNS1_3repE0EEENS1_30default_config_static_selectorELNS0_4arch9wavefront6targetE0EEEvS12_,"axG",@progbits,_ZN7rocprim17ROCPRIM_400000_NS6detail17trampoline_kernelINS0_13select_configILj256ELj13ELNS0_17block_load_methodE3ELS4_3ELS4_3ELNS0_20block_scan_algorithmE0ELj4294967295EEENS1_25partition_config_selectorILNS1_17partition_subalgoE4EjNS0_10empty_typeEbEEZZNS1_14partition_implILS8_4ELb0ES6_15HIP_vector_typeIjLj2EENS0_17counting_iteratorIjlEEPS9_SG_NS0_5tupleIJPjSI_NS0_16reverse_iteratorISI_EEEEENSH_IJSG_SG_SG_EEES9_SI_JZNS1_25segmented_radix_sort_implINS0_14default_configELb0EPKfPfPKlPlN2at6native12_GLOBAL__N_18offset_tEEE10hipError_tPvRmT1_PNSt15iterator_traitsIS12_E10value_typeET2_T3_PNS13_IS18_E10value_typeET4_jRbjT5_S1E_jjP12ihipStream_tbEUljE_ZNSN_ISO_Lb0ESQ_SR_ST_SU_SY_EESZ_S10_S11_S12_S16_S17_S18_S1B_S1C_jS1D_jS1E_S1E_jjS1G_bEUljE0_EEESZ_S10_S11_S18_S1C_S1E_T6_T7_T9_mT8_S1G_bDpT10_ENKUlT_T0_E_clISt17integral_constantIbLb0EES1T_IbLb1EEEEDaS1P_S1Q_EUlS1P_E_NS1_11comp_targetILNS1_3genE0ELNS1_11target_archE4294967295ELNS1_3gpuE0ELNS1_3repE0EEENS1_30default_config_static_selectorELNS0_4arch9wavefront6targetE0EEEvS12_,comdat
.Lfunc_end1388:
	.size	_ZN7rocprim17ROCPRIM_400000_NS6detail17trampoline_kernelINS0_13select_configILj256ELj13ELNS0_17block_load_methodE3ELS4_3ELS4_3ELNS0_20block_scan_algorithmE0ELj4294967295EEENS1_25partition_config_selectorILNS1_17partition_subalgoE4EjNS0_10empty_typeEbEEZZNS1_14partition_implILS8_4ELb0ES6_15HIP_vector_typeIjLj2EENS0_17counting_iteratorIjlEEPS9_SG_NS0_5tupleIJPjSI_NS0_16reverse_iteratorISI_EEEEENSH_IJSG_SG_SG_EEES9_SI_JZNS1_25segmented_radix_sort_implINS0_14default_configELb0EPKfPfPKlPlN2at6native12_GLOBAL__N_18offset_tEEE10hipError_tPvRmT1_PNSt15iterator_traitsIS12_E10value_typeET2_T3_PNS13_IS18_E10value_typeET4_jRbjT5_S1E_jjP12ihipStream_tbEUljE_ZNSN_ISO_Lb0ESQ_SR_ST_SU_SY_EESZ_S10_S11_S12_S16_S17_S18_S1B_S1C_jS1D_jS1E_S1E_jjS1G_bEUljE0_EEESZ_S10_S11_S18_S1C_S1E_T6_T7_T9_mT8_S1G_bDpT10_ENKUlT_T0_E_clISt17integral_constantIbLb0EES1T_IbLb1EEEEDaS1P_S1Q_EUlS1P_E_NS1_11comp_targetILNS1_3genE0ELNS1_11target_archE4294967295ELNS1_3gpuE0ELNS1_3repE0EEENS1_30default_config_static_selectorELNS0_4arch9wavefront6targetE0EEEvS12_, .Lfunc_end1388-_ZN7rocprim17ROCPRIM_400000_NS6detail17trampoline_kernelINS0_13select_configILj256ELj13ELNS0_17block_load_methodE3ELS4_3ELS4_3ELNS0_20block_scan_algorithmE0ELj4294967295EEENS1_25partition_config_selectorILNS1_17partition_subalgoE4EjNS0_10empty_typeEbEEZZNS1_14partition_implILS8_4ELb0ES6_15HIP_vector_typeIjLj2EENS0_17counting_iteratorIjlEEPS9_SG_NS0_5tupleIJPjSI_NS0_16reverse_iteratorISI_EEEEENSH_IJSG_SG_SG_EEES9_SI_JZNS1_25segmented_radix_sort_implINS0_14default_configELb0EPKfPfPKlPlN2at6native12_GLOBAL__N_18offset_tEEE10hipError_tPvRmT1_PNSt15iterator_traitsIS12_E10value_typeET2_T3_PNS13_IS18_E10value_typeET4_jRbjT5_S1E_jjP12ihipStream_tbEUljE_ZNSN_ISO_Lb0ESQ_SR_ST_SU_SY_EESZ_S10_S11_S12_S16_S17_S18_S1B_S1C_jS1D_jS1E_S1E_jjS1G_bEUljE0_EEESZ_S10_S11_S18_S1C_S1E_T6_T7_T9_mT8_S1G_bDpT10_ENKUlT_T0_E_clISt17integral_constantIbLb0EES1T_IbLb1EEEEDaS1P_S1Q_EUlS1P_E_NS1_11comp_targetILNS1_3genE0ELNS1_11target_archE4294967295ELNS1_3gpuE0ELNS1_3repE0EEENS1_30default_config_static_selectorELNS0_4arch9wavefront6targetE0EEEvS12_
                                        ; -- End function
	.set _ZN7rocprim17ROCPRIM_400000_NS6detail17trampoline_kernelINS0_13select_configILj256ELj13ELNS0_17block_load_methodE3ELS4_3ELS4_3ELNS0_20block_scan_algorithmE0ELj4294967295EEENS1_25partition_config_selectorILNS1_17partition_subalgoE4EjNS0_10empty_typeEbEEZZNS1_14partition_implILS8_4ELb0ES6_15HIP_vector_typeIjLj2EENS0_17counting_iteratorIjlEEPS9_SG_NS0_5tupleIJPjSI_NS0_16reverse_iteratorISI_EEEEENSH_IJSG_SG_SG_EEES9_SI_JZNS1_25segmented_radix_sort_implINS0_14default_configELb0EPKfPfPKlPlN2at6native12_GLOBAL__N_18offset_tEEE10hipError_tPvRmT1_PNSt15iterator_traitsIS12_E10value_typeET2_T3_PNS13_IS18_E10value_typeET4_jRbjT5_S1E_jjP12ihipStream_tbEUljE_ZNSN_ISO_Lb0ESQ_SR_ST_SU_SY_EESZ_S10_S11_S12_S16_S17_S18_S1B_S1C_jS1D_jS1E_S1E_jjS1G_bEUljE0_EEESZ_S10_S11_S18_S1C_S1E_T6_T7_T9_mT8_S1G_bDpT10_ENKUlT_T0_E_clISt17integral_constantIbLb0EES1T_IbLb1EEEEDaS1P_S1Q_EUlS1P_E_NS1_11comp_targetILNS1_3genE0ELNS1_11target_archE4294967295ELNS1_3gpuE0ELNS1_3repE0EEENS1_30default_config_static_selectorELNS0_4arch9wavefront6targetE0EEEvS12_.num_vgpr, 0
	.set _ZN7rocprim17ROCPRIM_400000_NS6detail17trampoline_kernelINS0_13select_configILj256ELj13ELNS0_17block_load_methodE3ELS4_3ELS4_3ELNS0_20block_scan_algorithmE0ELj4294967295EEENS1_25partition_config_selectorILNS1_17partition_subalgoE4EjNS0_10empty_typeEbEEZZNS1_14partition_implILS8_4ELb0ES6_15HIP_vector_typeIjLj2EENS0_17counting_iteratorIjlEEPS9_SG_NS0_5tupleIJPjSI_NS0_16reverse_iteratorISI_EEEEENSH_IJSG_SG_SG_EEES9_SI_JZNS1_25segmented_radix_sort_implINS0_14default_configELb0EPKfPfPKlPlN2at6native12_GLOBAL__N_18offset_tEEE10hipError_tPvRmT1_PNSt15iterator_traitsIS12_E10value_typeET2_T3_PNS13_IS18_E10value_typeET4_jRbjT5_S1E_jjP12ihipStream_tbEUljE_ZNSN_ISO_Lb0ESQ_SR_ST_SU_SY_EESZ_S10_S11_S12_S16_S17_S18_S1B_S1C_jS1D_jS1E_S1E_jjS1G_bEUljE0_EEESZ_S10_S11_S18_S1C_S1E_T6_T7_T9_mT8_S1G_bDpT10_ENKUlT_T0_E_clISt17integral_constantIbLb0EES1T_IbLb1EEEEDaS1P_S1Q_EUlS1P_E_NS1_11comp_targetILNS1_3genE0ELNS1_11target_archE4294967295ELNS1_3gpuE0ELNS1_3repE0EEENS1_30default_config_static_selectorELNS0_4arch9wavefront6targetE0EEEvS12_.num_agpr, 0
	.set _ZN7rocprim17ROCPRIM_400000_NS6detail17trampoline_kernelINS0_13select_configILj256ELj13ELNS0_17block_load_methodE3ELS4_3ELS4_3ELNS0_20block_scan_algorithmE0ELj4294967295EEENS1_25partition_config_selectorILNS1_17partition_subalgoE4EjNS0_10empty_typeEbEEZZNS1_14partition_implILS8_4ELb0ES6_15HIP_vector_typeIjLj2EENS0_17counting_iteratorIjlEEPS9_SG_NS0_5tupleIJPjSI_NS0_16reverse_iteratorISI_EEEEENSH_IJSG_SG_SG_EEES9_SI_JZNS1_25segmented_radix_sort_implINS0_14default_configELb0EPKfPfPKlPlN2at6native12_GLOBAL__N_18offset_tEEE10hipError_tPvRmT1_PNSt15iterator_traitsIS12_E10value_typeET2_T3_PNS13_IS18_E10value_typeET4_jRbjT5_S1E_jjP12ihipStream_tbEUljE_ZNSN_ISO_Lb0ESQ_SR_ST_SU_SY_EESZ_S10_S11_S12_S16_S17_S18_S1B_S1C_jS1D_jS1E_S1E_jjS1G_bEUljE0_EEESZ_S10_S11_S18_S1C_S1E_T6_T7_T9_mT8_S1G_bDpT10_ENKUlT_T0_E_clISt17integral_constantIbLb0EES1T_IbLb1EEEEDaS1P_S1Q_EUlS1P_E_NS1_11comp_targetILNS1_3genE0ELNS1_11target_archE4294967295ELNS1_3gpuE0ELNS1_3repE0EEENS1_30default_config_static_selectorELNS0_4arch9wavefront6targetE0EEEvS12_.numbered_sgpr, 0
	.set _ZN7rocprim17ROCPRIM_400000_NS6detail17trampoline_kernelINS0_13select_configILj256ELj13ELNS0_17block_load_methodE3ELS4_3ELS4_3ELNS0_20block_scan_algorithmE0ELj4294967295EEENS1_25partition_config_selectorILNS1_17partition_subalgoE4EjNS0_10empty_typeEbEEZZNS1_14partition_implILS8_4ELb0ES6_15HIP_vector_typeIjLj2EENS0_17counting_iteratorIjlEEPS9_SG_NS0_5tupleIJPjSI_NS0_16reverse_iteratorISI_EEEEENSH_IJSG_SG_SG_EEES9_SI_JZNS1_25segmented_radix_sort_implINS0_14default_configELb0EPKfPfPKlPlN2at6native12_GLOBAL__N_18offset_tEEE10hipError_tPvRmT1_PNSt15iterator_traitsIS12_E10value_typeET2_T3_PNS13_IS18_E10value_typeET4_jRbjT5_S1E_jjP12ihipStream_tbEUljE_ZNSN_ISO_Lb0ESQ_SR_ST_SU_SY_EESZ_S10_S11_S12_S16_S17_S18_S1B_S1C_jS1D_jS1E_S1E_jjS1G_bEUljE0_EEESZ_S10_S11_S18_S1C_S1E_T6_T7_T9_mT8_S1G_bDpT10_ENKUlT_T0_E_clISt17integral_constantIbLb0EES1T_IbLb1EEEEDaS1P_S1Q_EUlS1P_E_NS1_11comp_targetILNS1_3genE0ELNS1_11target_archE4294967295ELNS1_3gpuE0ELNS1_3repE0EEENS1_30default_config_static_selectorELNS0_4arch9wavefront6targetE0EEEvS12_.num_named_barrier, 0
	.set _ZN7rocprim17ROCPRIM_400000_NS6detail17trampoline_kernelINS0_13select_configILj256ELj13ELNS0_17block_load_methodE3ELS4_3ELS4_3ELNS0_20block_scan_algorithmE0ELj4294967295EEENS1_25partition_config_selectorILNS1_17partition_subalgoE4EjNS0_10empty_typeEbEEZZNS1_14partition_implILS8_4ELb0ES6_15HIP_vector_typeIjLj2EENS0_17counting_iteratorIjlEEPS9_SG_NS0_5tupleIJPjSI_NS0_16reverse_iteratorISI_EEEEENSH_IJSG_SG_SG_EEES9_SI_JZNS1_25segmented_radix_sort_implINS0_14default_configELb0EPKfPfPKlPlN2at6native12_GLOBAL__N_18offset_tEEE10hipError_tPvRmT1_PNSt15iterator_traitsIS12_E10value_typeET2_T3_PNS13_IS18_E10value_typeET4_jRbjT5_S1E_jjP12ihipStream_tbEUljE_ZNSN_ISO_Lb0ESQ_SR_ST_SU_SY_EESZ_S10_S11_S12_S16_S17_S18_S1B_S1C_jS1D_jS1E_S1E_jjS1G_bEUljE0_EEESZ_S10_S11_S18_S1C_S1E_T6_T7_T9_mT8_S1G_bDpT10_ENKUlT_T0_E_clISt17integral_constantIbLb0EES1T_IbLb1EEEEDaS1P_S1Q_EUlS1P_E_NS1_11comp_targetILNS1_3genE0ELNS1_11target_archE4294967295ELNS1_3gpuE0ELNS1_3repE0EEENS1_30default_config_static_selectorELNS0_4arch9wavefront6targetE0EEEvS12_.private_seg_size, 0
	.set _ZN7rocprim17ROCPRIM_400000_NS6detail17trampoline_kernelINS0_13select_configILj256ELj13ELNS0_17block_load_methodE3ELS4_3ELS4_3ELNS0_20block_scan_algorithmE0ELj4294967295EEENS1_25partition_config_selectorILNS1_17partition_subalgoE4EjNS0_10empty_typeEbEEZZNS1_14partition_implILS8_4ELb0ES6_15HIP_vector_typeIjLj2EENS0_17counting_iteratorIjlEEPS9_SG_NS0_5tupleIJPjSI_NS0_16reverse_iteratorISI_EEEEENSH_IJSG_SG_SG_EEES9_SI_JZNS1_25segmented_radix_sort_implINS0_14default_configELb0EPKfPfPKlPlN2at6native12_GLOBAL__N_18offset_tEEE10hipError_tPvRmT1_PNSt15iterator_traitsIS12_E10value_typeET2_T3_PNS13_IS18_E10value_typeET4_jRbjT5_S1E_jjP12ihipStream_tbEUljE_ZNSN_ISO_Lb0ESQ_SR_ST_SU_SY_EESZ_S10_S11_S12_S16_S17_S18_S1B_S1C_jS1D_jS1E_S1E_jjS1G_bEUljE0_EEESZ_S10_S11_S18_S1C_S1E_T6_T7_T9_mT8_S1G_bDpT10_ENKUlT_T0_E_clISt17integral_constantIbLb0EES1T_IbLb1EEEEDaS1P_S1Q_EUlS1P_E_NS1_11comp_targetILNS1_3genE0ELNS1_11target_archE4294967295ELNS1_3gpuE0ELNS1_3repE0EEENS1_30default_config_static_selectorELNS0_4arch9wavefront6targetE0EEEvS12_.uses_vcc, 0
	.set _ZN7rocprim17ROCPRIM_400000_NS6detail17trampoline_kernelINS0_13select_configILj256ELj13ELNS0_17block_load_methodE3ELS4_3ELS4_3ELNS0_20block_scan_algorithmE0ELj4294967295EEENS1_25partition_config_selectorILNS1_17partition_subalgoE4EjNS0_10empty_typeEbEEZZNS1_14partition_implILS8_4ELb0ES6_15HIP_vector_typeIjLj2EENS0_17counting_iteratorIjlEEPS9_SG_NS0_5tupleIJPjSI_NS0_16reverse_iteratorISI_EEEEENSH_IJSG_SG_SG_EEES9_SI_JZNS1_25segmented_radix_sort_implINS0_14default_configELb0EPKfPfPKlPlN2at6native12_GLOBAL__N_18offset_tEEE10hipError_tPvRmT1_PNSt15iterator_traitsIS12_E10value_typeET2_T3_PNS13_IS18_E10value_typeET4_jRbjT5_S1E_jjP12ihipStream_tbEUljE_ZNSN_ISO_Lb0ESQ_SR_ST_SU_SY_EESZ_S10_S11_S12_S16_S17_S18_S1B_S1C_jS1D_jS1E_S1E_jjS1G_bEUljE0_EEESZ_S10_S11_S18_S1C_S1E_T6_T7_T9_mT8_S1G_bDpT10_ENKUlT_T0_E_clISt17integral_constantIbLb0EES1T_IbLb1EEEEDaS1P_S1Q_EUlS1P_E_NS1_11comp_targetILNS1_3genE0ELNS1_11target_archE4294967295ELNS1_3gpuE0ELNS1_3repE0EEENS1_30default_config_static_selectorELNS0_4arch9wavefront6targetE0EEEvS12_.uses_flat_scratch, 0
	.set _ZN7rocprim17ROCPRIM_400000_NS6detail17trampoline_kernelINS0_13select_configILj256ELj13ELNS0_17block_load_methodE3ELS4_3ELS4_3ELNS0_20block_scan_algorithmE0ELj4294967295EEENS1_25partition_config_selectorILNS1_17partition_subalgoE4EjNS0_10empty_typeEbEEZZNS1_14partition_implILS8_4ELb0ES6_15HIP_vector_typeIjLj2EENS0_17counting_iteratorIjlEEPS9_SG_NS0_5tupleIJPjSI_NS0_16reverse_iteratorISI_EEEEENSH_IJSG_SG_SG_EEES9_SI_JZNS1_25segmented_radix_sort_implINS0_14default_configELb0EPKfPfPKlPlN2at6native12_GLOBAL__N_18offset_tEEE10hipError_tPvRmT1_PNSt15iterator_traitsIS12_E10value_typeET2_T3_PNS13_IS18_E10value_typeET4_jRbjT5_S1E_jjP12ihipStream_tbEUljE_ZNSN_ISO_Lb0ESQ_SR_ST_SU_SY_EESZ_S10_S11_S12_S16_S17_S18_S1B_S1C_jS1D_jS1E_S1E_jjS1G_bEUljE0_EEESZ_S10_S11_S18_S1C_S1E_T6_T7_T9_mT8_S1G_bDpT10_ENKUlT_T0_E_clISt17integral_constantIbLb0EES1T_IbLb1EEEEDaS1P_S1Q_EUlS1P_E_NS1_11comp_targetILNS1_3genE0ELNS1_11target_archE4294967295ELNS1_3gpuE0ELNS1_3repE0EEENS1_30default_config_static_selectorELNS0_4arch9wavefront6targetE0EEEvS12_.has_dyn_sized_stack, 0
	.set _ZN7rocprim17ROCPRIM_400000_NS6detail17trampoline_kernelINS0_13select_configILj256ELj13ELNS0_17block_load_methodE3ELS4_3ELS4_3ELNS0_20block_scan_algorithmE0ELj4294967295EEENS1_25partition_config_selectorILNS1_17partition_subalgoE4EjNS0_10empty_typeEbEEZZNS1_14partition_implILS8_4ELb0ES6_15HIP_vector_typeIjLj2EENS0_17counting_iteratorIjlEEPS9_SG_NS0_5tupleIJPjSI_NS0_16reverse_iteratorISI_EEEEENSH_IJSG_SG_SG_EEES9_SI_JZNS1_25segmented_radix_sort_implINS0_14default_configELb0EPKfPfPKlPlN2at6native12_GLOBAL__N_18offset_tEEE10hipError_tPvRmT1_PNSt15iterator_traitsIS12_E10value_typeET2_T3_PNS13_IS18_E10value_typeET4_jRbjT5_S1E_jjP12ihipStream_tbEUljE_ZNSN_ISO_Lb0ESQ_SR_ST_SU_SY_EESZ_S10_S11_S12_S16_S17_S18_S1B_S1C_jS1D_jS1E_S1E_jjS1G_bEUljE0_EEESZ_S10_S11_S18_S1C_S1E_T6_T7_T9_mT8_S1G_bDpT10_ENKUlT_T0_E_clISt17integral_constantIbLb0EES1T_IbLb1EEEEDaS1P_S1Q_EUlS1P_E_NS1_11comp_targetILNS1_3genE0ELNS1_11target_archE4294967295ELNS1_3gpuE0ELNS1_3repE0EEENS1_30default_config_static_selectorELNS0_4arch9wavefront6targetE0EEEvS12_.has_recursion, 0
	.set _ZN7rocprim17ROCPRIM_400000_NS6detail17trampoline_kernelINS0_13select_configILj256ELj13ELNS0_17block_load_methodE3ELS4_3ELS4_3ELNS0_20block_scan_algorithmE0ELj4294967295EEENS1_25partition_config_selectorILNS1_17partition_subalgoE4EjNS0_10empty_typeEbEEZZNS1_14partition_implILS8_4ELb0ES6_15HIP_vector_typeIjLj2EENS0_17counting_iteratorIjlEEPS9_SG_NS0_5tupleIJPjSI_NS0_16reverse_iteratorISI_EEEEENSH_IJSG_SG_SG_EEES9_SI_JZNS1_25segmented_radix_sort_implINS0_14default_configELb0EPKfPfPKlPlN2at6native12_GLOBAL__N_18offset_tEEE10hipError_tPvRmT1_PNSt15iterator_traitsIS12_E10value_typeET2_T3_PNS13_IS18_E10value_typeET4_jRbjT5_S1E_jjP12ihipStream_tbEUljE_ZNSN_ISO_Lb0ESQ_SR_ST_SU_SY_EESZ_S10_S11_S12_S16_S17_S18_S1B_S1C_jS1D_jS1E_S1E_jjS1G_bEUljE0_EEESZ_S10_S11_S18_S1C_S1E_T6_T7_T9_mT8_S1G_bDpT10_ENKUlT_T0_E_clISt17integral_constantIbLb0EES1T_IbLb1EEEEDaS1P_S1Q_EUlS1P_E_NS1_11comp_targetILNS1_3genE0ELNS1_11target_archE4294967295ELNS1_3gpuE0ELNS1_3repE0EEENS1_30default_config_static_selectorELNS0_4arch9wavefront6targetE0EEEvS12_.has_indirect_call, 0
	.section	.AMDGPU.csdata,"",@progbits
; Kernel info:
; codeLenInByte = 0
; TotalNumSgprs: 0
; NumVgprs: 0
; ScratchSize: 0
; MemoryBound: 0
; FloatMode: 240
; IeeeMode: 1
; LDSByteSize: 0 bytes/workgroup (compile time only)
; SGPRBlocks: 0
; VGPRBlocks: 0
; NumSGPRsForWavesPerEU: 1
; NumVGPRsForWavesPerEU: 1
; Occupancy: 16
; WaveLimiterHint : 0
; COMPUTE_PGM_RSRC2:SCRATCH_EN: 0
; COMPUTE_PGM_RSRC2:USER_SGPR: 2
; COMPUTE_PGM_RSRC2:TRAP_HANDLER: 0
; COMPUTE_PGM_RSRC2:TGID_X_EN: 1
; COMPUTE_PGM_RSRC2:TGID_Y_EN: 0
; COMPUTE_PGM_RSRC2:TGID_Z_EN: 0
; COMPUTE_PGM_RSRC2:TIDIG_COMP_CNT: 0
	.section	.text._ZN7rocprim17ROCPRIM_400000_NS6detail17trampoline_kernelINS0_13select_configILj256ELj13ELNS0_17block_load_methodE3ELS4_3ELS4_3ELNS0_20block_scan_algorithmE0ELj4294967295EEENS1_25partition_config_selectorILNS1_17partition_subalgoE4EjNS0_10empty_typeEbEEZZNS1_14partition_implILS8_4ELb0ES6_15HIP_vector_typeIjLj2EENS0_17counting_iteratorIjlEEPS9_SG_NS0_5tupleIJPjSI_NS0_16reverse_iteratorISI_EEEEENSH_IJSG_SG_SG_EEES9_SI_JZNS1_25segmented_radix_sort_implINS0_14default_configELb0EPKfPfPKlPlN2at6native12_GLOBAL__N_18offset_tEEE10hipError_tPvRmT1_PNSt15iterator_traitsIS12_E10value_typeET2_T3_PNS13_IS18_E10value_typeET4_jRbjT5_S1E_jjP12ihipStream_tbEUljE_ZNSN_ISO_Lb0ESQ_SR_ST_SU_SY_EESZ_S10_S11_S12_S16_S17_S18_S1B_S1C_jS1D_jS1E_S1E_jjS1G_bEUljE0_EEESZ_S10_S11_S18_S1C_S1E_T6_T7_T9_mT8_S1G_bDpT10_ENKUlT_T0_E_clISt17integral_constantIbLb0EES1T_IbLb1EEEEDaS1P_S1Q_EUlS1P_E_NS1_11comp_targetILNS1_3genE5ELNS1_11target_archE942ELNS1_3gpuE9ELNS1_3repE0EEENS1_30default_config_static_selectorELNS0_4arch9wavefront6targetE0EEEvS12_,"axG",@progbits,_ZN7rocprim17ROCPRIM_400000_NS6detail17trampoline_kernelINS0_13select_configILj256ELj13ELNS0_17block_load_methodE3ELS4_3ELS4_3ELNS0_20block_scan_algorithmE0ELj4294967295EEENS1_25partition_config_selectorILNS1_17partition_subalgoE4EjNS0_10empty_typeEbEEZZNS1_14partition_implILS8_4ELb0ES6_15HIP_vector_typeIjLj2EENS0_17counting_iteratorIjlEEPS9_SG_NS0_5tupleIJPjSI_NS0_16reverse_iteratorISI_EEEEENSH_IJSG_SG_SG_EEES9_SI_JZNS1_25segmented_radix_sort_implINS0_14default_configELb0EPKfPfPKlPlN2at6native12_GLOBAL__N_18offset_tEEE10hipError_tPvRmT1_PNSt15iterator_traitsIS12_E10value_typeET2_T3_PNS13_IS18_E10value_typeET4_jRbjT5_S1E_jjP12ihipStream_tbEUljE_ZNSN_ISO_Lb0ESQ_SR_ST_SU_SY_EESZ_S10_S11_S12_S16_S17_S18_S1B_S1C_jS1D_jS1E_S1E_jjS1G_bEUljE0_EEESZ_S10_S11_S18_S1C_S1E_T6_T7_T9_mT8_S1G_bDpT10_ENKUlT_T0_E_clISt17integral_constantIbLb0EES1T_IbLb1EEEEDaS1P_S1Q_EUlS1P_E_NS1_11comp_targetILNS1_3genE5ELNS1_11target_archE942ELNS1_3gpuE9ELNS1_3repE0EEENS1_30default_config_static_selectorELNS0_4arch9wavefront6targetE0EEEvS12_,comdat
	.globl	_ZN7rocprim17ROCPRIM_400000_NS6detail17trampoline_kernelINS0_13select_configILj256ELj13ELNS0_17block_load_methodE3ELS4_3ELS4_3ELNS0_20block_scan_algorithmE0ELj4294967295EEENS1_25partition_config_selectorILNS1_17partition_subalgoE4EjNS0_10empty_typeEbEEZZNS1_14partition_implILS8_4ELb0ES6_15HIP_vector_typeIjLj2EENS0_17counting_iteratorIjlEEPS9_SG_NS0_5tupleIJPjSI_NS0_16reverse_iteratorISI_EEEEENSH_IJSG_SG_SG_EEES9_SI_JZNS1_25segmented_radix_sort_implINS0_14default_configELb0EPKfPfPKlPlN2at6native12_GLOBAL__N_18offset_tEEE10hipError_tPvRmT1_PNSt15iterator_traitsIS12_E10value_typeET2_T3_PNS13_IS18_E10value_typeET4_jRbjT5_S1E_jjP12ihipStream_tbEUljE_ZNSN_ISO_Lb0ESQ_SR_ST_SU_SY_EESZ_S10_S11_S12_S16_S17_S18_S1B_S1C_jS1D_jS1E_S1E_jjS1G_bEUljE0_EEESZ_S10_S11_S18_S1C_S1E_T6_T7_T9_mT8_S1G_bDpT10_ENKUlT_T0_E_clISt17integral_constantIbLb0EES1T_IbLb1EEEEDaS1P_S1Q_EUlS1P_E_NS1_11comp_targetILNS1_3genE5ELNS1_11target_archE942ELNS1_3gpuE9ELNS1_3repE0EEENS1_30default_config_static_selectorELNS0_4arch9wavefront6targetE0EEEvS12_ ; -- Begin function _ZN7rocprim17ROCPRIM_400000_NS6detail17trampoline_kernelINS0_13select_configILj256ELj13ELNS0_17block_load_methodE3ELS4_3ELS4_3ELNS0_20block_scan_algorithmE0ELj4294967295EEENS1_25partition_config_selectorILNS1_17partition_subalgoE4EjNS0_10empty_typeEbEEZZNS1_14partition_implILS8_4ELb0ES6_15HIP_vector_typeIjLj2EENS0_17counting_iteratorIjlEEPS9_SG_NS0_5tupleIJPjSI_NS0_16reverse_iteratorISI_EEEEENSH_IJSG_SG_SG_EEES9_SI_JZNS1_25segmented_radix_sort_implINS0_14default_configELb0EPKfPfPKlPlN2at6native12_GLOBAL__N_18offset_tEEE10hipError_tPvRmT1_PNSt15iterator_traitsIS12_E10value_typeET2_T3_PNS13_IS18_E10value_typeET4_jRbjT5_S1E_jjP12ihipStream_tbEUljE_ZNSN_ISO_Lb0ESQ_SR_ST_SU_SY_EESZ_S10_S11_S12_S16_S17_S18_S1B_S1C_jS1D_jS1E_S1E_jjS1G_bEUljE0_EEESZ_S10_S11_S18_S1C_S1E_T6_T7_T9_mT8_S1G_bDpT10_ENKUlT_T0_E_clISt17integral_constantIbLb0EES1T_IbLb1EEEEDaS1P_S1Q_EUlS1P_E_NS1_11comp_targetILNS1_3genE5ELNS1_11target_archE942ELNS1_3gpuE9ELNS1_3repE0EEENS1_30default_config_static_selectorELNS0_4arch9wavefront6targetE0EEEvS12_
	.p2align	8
	.type	_ZN7rocprim17ROCPRIM_400000_NS6detail17trampoline_kernelINS0_13select_configILj256ELj13ELNS0_17block_load_methodE3ELS4_3ELS4_3ELNS0_20block_scan_algorithmE0ELj4294967295EEENS1_25partition_config_selectorILNS1_17partition_subalgoE4EjNS0_10empty_typeEbEEZZNS1_14partition_implILS8_4ELb0ES6_15HIP_vector_typeIjLj2EENS0_17counting_iteratorIjlEEPS9_SG_NS0_5tupleIJPjSI_NS0_16reverse_iteratorISI_EEEEENSH_IJSG_SG_SG_EEES9_SI_JZNS1_25segmented_radix_sort_implINS0_14default_configELb0EPKfPfPKlPlN2at6native12_GLOBAL__N_18offset_tEEE10hipError_tPvRmT1_PNSt15iterator_traitsIS12_E10value_typeET2_T3_PNS13_IS18_E10value_typeET4_jRbjT5_S1E_jjP12ihipStream_tbEUljE_ZNSN_ISO_Lb0ESQ_SR_ST_SU_SY_EESZ_S10_S11_S12_S16_S17_S18_S1B_S1C_jS1D_jS1E_S1E_jjS1G_bEUljE0_EEESZ_S10_S11_S18_S1C_S1E_T6_T7_T9_mT8_S1G_bDpT10_ENKUlT_T0_E_clISt17integral_constantIbLb0EES1T_IbLb1EEEEDaS1P_S1Q_EUlS1P_E_NS1_11comp_targetILNS1_3genE5ELNS1_11target_archE942ELNS1_3gpuE9ELNS1_3repE0EEENS1_30default_config_static_selectorELNS0_4arch9wavefront6targetE0EEEvS12_,@function
_ZN7rocprim17ROCPRIM_400000_NS6detail17trampoline_kernelINS0_13select_configILj256ELj13ELNS0_17block_load_methodE3ELS4_3ELS4_3ELNS0_20block_scan_algorithmE0ELj4294967295EEENS1_25partition_config_selectorILNS1_17partition_subalgoE4EjNS0_10empty_typeEbEEZZNS1_14partition_implILS8_4ELb0ES6_15HIP_vector_typeIjLj2EENS0_17counting_iteratorIjlEEPS9_SG_NS0_5tupleIJPjSI_NS0_16reverse_iteratorISI_EEEEENSH_IJSG_SG_SG_EEES9_SI_JZNS1_25segmented_radix_sort_implINS0_14default_configELb0EPKfPfPKlPlN2at6native12_GLOBAL__N_18offset_tEEE10hipError_tPvRmT1_PNSt15iterator_traitsIS12_E10value_typeET2_T3_PNS13_IS18_E10value_typeET4_jRbjT5_S1E_jjP12ihipStream_tbEUljE_ZNSN_ISO_Lb0ESQ_SR_ST_SU_SY_EESZ_S10_S11_S12_S16_S17_S18_S1B_S1C_jS1D_jS1E_S1E_jjS1G_bEUljE0_EEESZ_S10_S11_S18_S1C_S1E_T6_T7_T9_mT8_S1G_bDpT10_ENKUlT_T0_E_clISt17integral_constantIbLb0EES1T_IbLb1EEEEDaS1P_S1Q_EUlS1P_E_NS1_11comp_targetILNS1_3genE5ELNS1_11target_archE942ELNS1_3gpuE9ELNS1_3repE0EEENS1_30default_config_static_selectorELNS0_4arch9wavefront6targetE0EEEvS12_: ; @_ZN7rocprim17ROCPRIM_400000_NS6detail17trampoline_kernelINS0_13select_configILj256ELj13ELNS0_17block_load_methodE3ELS4_3ELS4_3ELNS0_20block_scan_algorithmE0ELj4294967295EEENS1_25partition_config_selectorILNS1_17partition_subalgoE4EjNS0_10empty_typeEbEEZZNS1_14partition_implILS8_4ELb0ES6_15HIP_vector_typeIjLj2EENS0_17counting_iteratorIjlEEPS9_SG_NS0_5tupleIJPjSI_NS0_16reverse_iteratorISI_EEEEENSH_IJSG_SG_SG_EEES9_SI_JZNS1_25segmented_radix_sort_implINS0_14default_configELb0EPKfPfPKlPlN2at6native12_GLOBAL__N_18offset_tEEE10hipError_tPvRmT1_PNSt15iterator_traitsIS12_E10value_typeET2_T3_PNS13_IS18_E10value_typeET4_jRbjT5_S1E_jjP12ihipStream_tbEUljE_ZNSN_ISO_Lb0ESQ_SR_ST_SU_SY_EESZ_S10_S11_S12_S16_S17_S18_S1B_S1C_jS1D_jS1E_S1E_jjS1G_bEUljE0_EEESZ_S10_S11_S18_S1C_S1E_T6_T7_T9_mT8_S1G_bDpT10_ENKUlT_T0_E_clISt17integral_constantIbLb0EES1T_IbLb1EEEEDaS1P_S1Q_EUlS1P_E_NS1_11comp_targetILNS1_3genE5ELNS1_11target_archE942ELNS1_3gpuE9ELNS1_3repE0EEENS1_30default_config_static_selectorELNS0_4arch9wavefront6targetE0EEEvS12_
; %bb.0:
	.section	.rodata,"a",@progbits
	.p2align	6, 0x0
	.amdhsa_kernel _ZN7rocprim17ROCPRIM_400000_NS6detail17trampoline_kernelINS0_13select_configILj256ELj13ELNS0_17block_load_methodE3ELS4_3ELS4_3ELNS0_20block_scan_algorithmE0ELj4294967295EEENS1_25partition_config_selectorILNS1_17partition_subalgoE4EjNS0_10empty_typeEbEEZZNS1_14partition_implILS8_4ELb0ES6_15HIP_vector_typeIjLj2EENS0_17counting_iteratorIjlEEPS9_SG_NS0_5tupleIJPjSI_NS0_16reverse_iteratorISI_EEEEENSH_IJSG_SG_SG_EEES9_SI_JZNS1_25segmented_radix_sort_implINS0_14default_configELb0EPKfPfPKlPlN2at6native12_GLOBAL__N_18offset_tEEE10hipError_tPvRmT1_PNSt15iterator_traitsIS12_E10value_typeET2_T3_PNS13_IS18_E10value_typeET4_jRbjT5_S1E_jjP12ihipStream_tbEUljE_ZNSN_ISO_Lb0ESQ_SR_ST_SU_SY_EESZ_S10_S11_S12_S16_S17_S18_S1B_S1C_jS1D_jS1E_S1E_jjS1G_bEUljE0_EEESZ_S10_S11_S18_S1C_S1E_T6_T7_T9_mT8_S1G_bDpT10_ENKUlT_T0_E_clISt17integral_constantIbLb0EES1T_IbLb1EEEEDaS1P_S1Q_EUlS1P_E_NS1_11comp_targetILNS1_3genE5ELNS1_11target_archE942ELNS1_3gpuE9ELNS1_3repE0EEENS1_30default_config_static_selectorELNS0_4arch9wavefront6targetE0EEEvS12_
		.amdhsa_group_segment_fixed_size 0
		.amdhsa_private_segment_fixed_size 0
		.amdhsa_kernarg_size 184
		.amdhsa_user_sgpr_count 2
		.amdhsa_user_sgpr_dispatch_ptr 0
		.amdhsa_user_sgpr_queue_ptr 0
		.amdhsa_user_sgpr_kernarg_segment_ptr 1
		.amdhsa_user_sgpr_dispatch_id 0
		.amdhsa_user_sgpr_private_segment_size 0
		.amdhsa_wavefront_size32 1
		.amdhsa_uses_dynamic_stack 0
		.amdhsa_enable_private_segment 0
		.amdhsa_system_sgpr_workgroup_id_x 1
		.amdhsa_system_sgpr_workgroup_id_y 0
		.amdhsa_system_sgpr_workgroup_id_z 0
		.amdhsa_system_sgpr_workgroup_info 0
		.amdhsa_system_vgpr_workitem_id 0
		.amdhsa_next_free_vgpr 1
		.amdhsa_next_free_sgpr 1
		.amdhsa_reserve_vcc 0
		.amdhsa_float_round_mode_32 0
		.amdhsa_float_round_mode_16_64 0
		.amdhsa_float_denorm_mode_32 3
		.amdhsa_float_denorm_mode_16_64 3
		.amdhsa_fp16_overflow 0
		.amdhsa_workgroup_processor_mode 1
		.amdhsa_memory_ordered 1
		.amdhsa_forward_progress 1
		.amdhsa_inst_pref_size 0
		.amdhsa_round_robin_scheduling 0
		.amdhsa_exception_fp_ieee_invalid_op 0
		.amdhsa_exception_fp_denorm_src 0
		.amdhsa_exception_fp_ieee_div_zero 0
		.amdhsa_exception_fp_ieee_overflow 0
		.amdhsa_exception_fp_ieee_underflow 0
		.amdhsa_exception_fp_ieee_inexact 0
		.amdhsa_exception_int_div_zero 0
	.end_amdhsa_kernel
	.section	.text._ZN7rocprim17ROCPRIM_400000_NS6detail17trampoline_kernelINS0_13select_configILj256ELj13ELNS0_17block_load_methodE3ELS4_3ELS4_3ELNS0_20block_scan_algorithmE0ELj4294967295EEENS1_25partition_config_selectorILNS1_17partition_subalgoE4EjNS0_10empty_typeEbEEZZNS1_14partition_implILS8_4ELb0ES6_15HIP_vector_typeIjLj2EENS0_17counting_iteratorIjlEEPS9_SG_NS0_5tupleIJPjSI_NS0_16reverse_iteratorISI_EEEEENSH_IJSG_SG_SG_EEES9_SI_JZNS1_25segmented_radix_sort_implINS0_14default_configELb0EPKfPfPKlPlN2at6native12_GLOBAL__N_18offset_tEEE10hipError_tPvRmT1_PNSt15iterator_traitsIS12_E10value_typeET2_T3_PNS13_IS18_E10value_typeET4_jRbjT5_S1E_jjP12ihipStream_tbEUljE_ZNSN_ISO_Lb0ESQ_SR_ST_SU_SY_EESZ_S10_S11_S12_S16_S17_S18_S1B_S1C_jS1D_jS1E_S1E_jjS1G_bEUljE0_EEESZ_S10_S11_S18_S1C_S1E_T6_T7_T9_mT8_S1G_bDpT10_ENKUlT_T0_E_clISt17integral_constantIbLb0EES1T_IbLb1EEEEDaS1P_S1Q_EUlS1P_E_NS1_11comp_targetILNS1_3genE5ELNS1_11target_archE942ELNS1_3gpuE9ELNS1_3repE0EEENS1_30default_config_static_selectorELNS0_4arch9wavefront6targetE0EEEvS12_,"axG",@progbits,_ZN7rocprim17ROCPRIM_400000_NS6detail17trampoline_kernelINS0_13select_configILj256ELj13ELNS0_17block_load_methodE3ELS4_3ELS4_3ELNS0_20block_scan_algorithmE0ELj4294967295EEENS1_25partition_config_selectorILNS1_17partition_subalgoE4EjNS0_10empty_typeEbEEZZNS1_14partition_implILS8_4ELb0ES6_15HIP_vector_typeIjLj2EENS0_17counting_iteratorIjlEEPS9_SG_NS0_5tupleIJPjSI_NS0_16reverse_iteratorISI_EEEEENSH_IJSG_SG_SG_EEES9_SI_JZNS1_25segmented_radix_sort_implINS0_14default_configELb0EPKfPfPKlPlN2at6native12_GLOBAL__N_18offset_tEEE10hipError_tPvRmT1_PNSt15iterator_traitsIS12_E10value_typeET2_T3_PNS13_IS18_E10value_typeET4_jRbjT5_S1E_jjP12ihipStream_tbEUljE_ZNSN_ISO_Lb0ESQ_SR_ST_SU_SY_EESZ_S10_S11_S12_S16_S17_S18_S1B_S1C_jS1D_jS1E_S1E_jjS1G_bEUljE0_EEESZ_S10_S11_S18_S1C_S1E_T6_T7_T9_mT8_S1G_bDpT10_ENKUlT_T0_E_clISt17integral_constantIbLb0EES1T_IbLb1EEEEDaS1P_S1Q_EUlS1P_E_NS1_11comp_targetILNS1_3genE5ELNS1_11target_archE942ELNS1_3gpuE9ELNS1_3repE0EEENS1_30default_config_static_selectorELNS0_4arch9wavefront6targetE0EEEvS12_,comdat
.Lfunc_end1389:
	.size	_ZN7rocprim17ROCPRIM_400000_NS6detail17trampoline_kernelINS0_13select_configILj256ELj13ELNS0_17block_load_methodE3ELS4_3ELS4_3ELNS0_20block_scan_algorithmE0ELj4294967295EEENS1_25partition_config_selectorILNS1_17partition_subalgoE4EjNS0_10empty_typeEbEEZZNS1_14partition_implILS8_4ELb0ES6_15HIP_vector_typeIjLj2EENS0_17counting_iteratorIjlEEPS9_SG_NS0_5tupleIJPjSI_NS0_16reverse_iteratorISI_EEEEENSH_IJSG_SG_SG_EEES9_SI_JZNS1_25segmented_radix_sort_implINS0_14default_configELb0EPKfPfPKlPlN2at6native12_GLOBAL__N_18offset_tEEE10hipError_tPvRmT1_PNSt15iterator_traitsIS12_E10value_typeET2_T3_PNS13_IS18_E10value_typeET4_jRbjT5_S1E_jjP12ihipStream_tbEUljE_ZNSN_ISO_Lb0ESQ_SR_ST_SU_SY_EESZ_S10_S11_S12_S16_S17_S18_S1B_S1C_jS1D_jS1E_S1E_jjS1G_bEUljE0_EEESZ_S10_S11_S18_S1C_S1E_T6_T7_T9_mT8_S1G_bDpT10_ENKUlT_T0_E_clISt17integral_constantIbLb0EES1T_IbLb1EEEEDaS1P_S1Q_EUlS1P_E_NS1_11comp_targetILNS1_3genE5ELNS1_11target_archE942ELNS1_3gpuE9ELNS1_3repE0EEENS1_30default_config_static_selectorELNS0_4arch9wavefront6targetE0EEEvS12_, .Lfunc_end1389-_ZN7rocprim17ROCPRIM_400000_NS6detail17trampoline_kernelINS0_13select_configILj256ELj13ELNS0_17block_load_methodE3ELS4_3ELS4_3ELNS0_20block_scan_algorithmE0ELj4294967295EEENS1_25partition_config_selectorILNS1_17partition_subalgoE4EjNS0_10empty_typeEbEEZZNS1_14partition_implILS8_4ELb0ES6_15HIP_vector_typeIjLj2EENS0_17counting_iteratorIjlEEPS9_SG_NS0_5tupleIJPjSI_NS0_16reverse_iteratorISI_EEEEENSH_IJSG_SG_SG_EEES9_SI_JZNS1_25segmented_radix_sort_implINS0_14default_configELb0EPKfPfPKlPlN2at6native12_GLOBAL__N_18offset_tEEE10hipError_tPvRmT1_PNSt15iterator_traitsIS12_E10value_typeET2_T3_PNS13_IS18_E10value_typeET4_jRbjT5_S1E_jjP12ihipStream_tbEUljE_ZNSN_ISO_Lb0ESQ_SR_ST_SU_SY_EESZ_S10_S11_S12_S16_S17_S18_S1B_S1C_jS1D_jS1E_S1E_jjS1G_bEUljE0_EEESZ_S10_S11_S18_S1C_S1E_T6_T7_T9_mT8_S1G_bDpT10_ENKUlT_T0_E_clISt17integral_constantIbLb0EES1T_IbLb1EEEEDaS1P_S1Q_EUlS1P_E_NS1_11comp_targetILNS1_3genE5ELNS1_11target_archE942ELNS1_3gpuE9ELNS1_3repE0EEENS1_30default_config_static_selectorELNS0_4arch9wavefront6targetE0EEEvS12_
                                        ; -- End function
	.set _ZN7rocprim17ROCPRIM_400000_NS6detail17trampoline_kernelINS0_13select_configILj256ELj13ELNS0_17block_load_methodE3ELS4_3ELS4_3ELNS0_20block_scan_algorithmE0ELj4294967295EEENS1_25partition_config_selectorILNS1_17partition_subalgoE4EjNS0_10empty_typeEbEEZZNS1_14partition_implILS8_4ELb0ES6_15HIP_vector_typeIjLj2EENS0_17counting_iteratorIjlEEPS9_SG_NS0_5tupleIJPjSI_NS0_16reverse_iteratorISI_EEEEENSH_IJSG_SG_SG_EEES9_SI_JZNS1_25segmented_radix_sort_implINS0_14default_configELb0EPKfPfPKlPlN2at6native12_GLOBAL__N_18offset_tEEE10hipError_tPvRmT1_PNSt15iterator_traitsIS12_E10value_typeET2_T3_PNS13_IS18_E10value_typeET4_jRbjT5_S1E_jjP12ihipStream_tbEUljE_ZNSN_ISO_Lb0ESQ_SR_ST_SU_SY_EESZ_S10_S11_S12_S16_S17_S18_S1B_S1C_jS1D_jS1E_S1E_jjS1G_bEUljE0_EEESZ_S10_S11_S18_S1C_S1E_T6_T7_T9_mT8_S1G_bDpT10_ENKUlT_T0_E_clISt17integral_constantIbLb0EES1T_IbLb1EEEEDaS1P_S1Q_EUlS1P_E_NS1_11comp_targetILNS1_3genE5ELNS1_11target_archE942ELNS1_3gpuE9ELNS1_3repE0EEENS1_30default_config_static_selectorELNS0_4arch9wavefront6targetE0EEEvS12_.num_vgpr, 0
	.set _ZN7rocprim17ROCPRIM_400000_NS6detail17trampoline_kernelINS0_13select_configILj256ELj13ELNS0_17block_load_methodE3ELS4_3ELS4_3ELNS0_20block_scan_algorithmE0ELj4294967295EEENS1_25partition_config_selectorILNS1_17partition_subalgoE4EjNS0_10empty_typeEbEEZZNS1_14partition_implILS8_4ELb0ES6_15HIP_vector_typeIjLj2EENS0_17counting_iteratorIjlEEPS9_SG_NS0_5tupleIJPjSI_NS0_16reverse_iteratorISI_EEEEENSH_IJSG_SG_SG_EEES9_SI_JZNS1_25segmented_radix_sort_implINS0_14default_configELb0EPKfPfPKlPlN2at6native12_GLOBAL__N_18offset_tEEE10hipError_tPvRmT1_PNSt15iterator_traitsIS12_E10value_typeET2_T3_PNS13_IS18_E10value_typeET4_jRbjT5_S1E_jjP12ihipStream_tbEUljE_ZNSN_ISO_Lb0ESQ_SR_ST_SU_SY_EESZ_S10_S11_S12_S16_S17_S18_S1B_S1C_jS1D_jS1E_S1E_jjS1G_bEUljE0_EEESZ_S10_S11_S18_S1C_S1E_T6_T7_T9_mT8_S1G_bDpT10_ENKUlT_T0_E_clISt17integral_constantIbLb0EES1T_IbLb1EEEEDaS1P_S1Q_EUlS1P_E_NS1_11comp_targetILNS1_3genE5ELNS1_11target_archE942ELNS1_3gpuE9ELNS1_3repE0EEENS1_30default_config_static_selectorELNS0_4arch9wavefront6targetE0EEEvS12_.num_agpr, 0
	.set _ZN7rocprim17ROCPRIM_400000_NS6detail17trampoline_kernelINS0_13select_configILj256ELj13ELNS0_17block_load_methodE3ELS4_3ELS4_3ELNS0_20block_scan_algorithmE0ELj4294967295EEENS1_25partition_config_selectorILNS1_17partition_subalgoE4EjNS0_10empty_typeEbEEZZNS1_14partition_implILS8_4ELb0ES6_15HIP_vector_typeIjLj2EENS0_17counting_iteratorIjlEEPS9_SG_NS0_5tupleIJPjSI_NS0_16reverse_iteratorISI_EEEEENSH_IJSG_SG_SG_EEES9_SI_JZNS1_25segmented_radix_sort_implINS0_14default_configELb0EPKfPfPKlPlN2at6native12_GLOBAL__N_18offset_tEEE10hipError_tPvRmT1_PNSt15iterator_traitsIS12_E10value_typeET2_T3_PNS13_IS18_E10value_typeET4_jRbjT5_S1E_jjP12ihipStream_tbEUljE_ZNSN_ISO_Lb0ESQ_SR_ST_SU_SY_EESZ_S10_S11_S12_S16_S17_S18_S1B_S1C_jS1D_jS1E_S1E_jjS1G_bEUljE0_EEESZ_S10_S11_S18_S1C_S1E_T6_T7_T9_mT8_S1G_bDpT10_ENKUlT_T0_E_clISt17integral_constantIbLb0EES1T_IbLb1EEEEDaS1P_S1Q_EUlS1P_E_NS1_11comp_targetILNS1_3genE5ELNS1_11target_archE942ELNS1_3gpuE9ELNS1_3repE0EEENS1_30default_config_static_selectorELNS0_4arch9wavefront6targetE0EEEvS12_.numbered_sgpr, 0
	.set _ZN7rocprim17ROCPRIM_400000_NS6detail17trampoline_kernelINS0_13select_configILj256ELj13ELNS0_17block_load_methodE3ELS4_3ELS4_3ELNS0_20block_scan_algorithmE0ELj4294967295EEENS1_25partition_config_selectorILNS1_17partition_subalgoE4EjNS0_10empty_typeEbEEZZNS1_14partition_implILS8_4ELb0ES6_15HIP_vector_typeIjLj2EENS0_17counting_iteratorIjlEEPS9_SG_NS0_5tupleIJPjSI_NS0_16reverse_iteratorISI_EEEEENSH_IJSG_SG_SG_EEES9_SI_JZNS1_25segmented_radix_sort_implINS0_14default_configELb0EPKfPfPKlPlN2at6native12_GLOBAL__N_18offset_tEEE10hipError_tPvRmT1_PNSt15iterator_traitsIS12_E10value_typeET2_T3_PNS13_IS18_E10value_typeET4_jRbjT5_S1E_jjP12ihipStream_tbEUljE_ZNSN_ISO_Lb0ESQ_SR_ST_SU_SY_EESZ_S10_S11_S12_S16_S17_S18_S1B_S1C_jS1D_jS1E_S1E_jjS1G_bEUljE0_EEESZ_S10_S11_S18_S1C_S1E_T6_T7_T9_mT8_S1G_bDpT10_ENKUlT_T0_E_clISt17integral_constantIbLb0EES1T_IbLb1EEEEDaS1P_S1Q_EUlS1P_E_NS1_11comp_targetILNS1_3genE5ELNS1_11target_archE942ELNS1_3gpuE9ELNS1_3repE0EEENS1_30default_config_static_selectorELNS0_4arch9wavefront6targetE0EEEvS12_.num_named_barrier, 0
	.set _ZN7rocprim17ROCPRIM_400000_NS6detail17trampoline_kernelINS0_13select_configILj256ELj13ELNS0_17block_load_methodE3ELS4_3ELS4_3ELNS0_20block_scan_algorithmE0ELj4294967295EEENS1_25partition_config_selectorILNS1_17partition_subalgoE4EjNS0_10empty_typeEbEEZZNS1_14partition_implILS8_4ELb0ES6_15HIP_vector_typeIjLj2EENS0_17counting_iteratorIjlEEPS9_SG_NS0_5tupleIJPjSI_NS0_16reverse_iteratorISI_EEEEENSH_IJSG_SG_SG_EEES9_SI_JZNS1_25segmented_radix_sort_implINS0_14default_configELb0EPKfPfPKlPlN2at6native12_GLOBAL__N_18offset_tEEE10hipError_tPvRmT1_PNSt15iterator_traitsIS12_E10value_typeET2_T3_PNS13_IS18_E10value_typeET4_jRbjT5_S1E_jjP12ihipStream_tbEUljE_ZNSN_ISO_Lb0ESQ_SR_ST_SU_SY_EESZ_S10_S11_S12_S16_S17_S18_S1B_S1C_jS1D_jS1E_S1E_jjS1G_bEUljE0_EEESZ_S10_S11_S18_S1C_S1E_T6_T7_T9_mT8_S1G_bDpT10_ENKUlT_T0_E_clISt17integral_constantIbLb0EES1T_IbLb1EEEEDaS1P_S1Q_EUlS1P_E_NS1_11comp_targetILNS1_3genE5ELNS1_11target_archE942ELNS1_3gpuE9ELNS1_3repE0EEENS1_30default_config_static_selectorELNS0_4arch9wavefront6targetE0EEEvS12_.private_seg_size, 0
	.set _ZN7rocprim17ROCPRIM_400000_NS6detail17trampoline_kernelINS0_13select_configILj256ELj13ELNS0_17block_load_methodE3ELS4_3ELS4_3ELNS0_20block_scan_algorithmE0ELj4294967295EEENS1_25partition_config_selectorILNS1_17partition_subalgoE4EjNS0_10empty_typeEbEEZZNS1_14partition_implILS8_4ELb0ES6_15HIP_vector_typeIjLj2EENS0_17counting_iteratorIjlEEPS9_SG_NS0_5tupleIJPjSI_NS0_16reverse_iteratorISI_EEEEENSH_IJSG_SG_SG_EEES9_SI_JZNS1_25segmented_radix_sort_implINS0_14default_configELb0EPKfPfPKlPlN2at6native12_GLOBAL__N_18offset_tEEE10hipError_tPvRmT1_PNSt15iterator_traitsIS12_E10value_typeET2_T3_PNS13_IS18_E10value_typeET4_jRbjT5_S1E_jjP12ihipStream_tbEUljE_ZNSN_ISO_Lb0ESQ_SR_ST_SU_SY_EESZ_S10_S11_S12_S16_S17_S18_S1B_S1C_jS1D_jS1E_S1E_jjS1G_bEUljE0_EEESZ_S10_S11_S18_S1C_S1E_T6_T7_T9_mT8_S1G_bDpT10_ENKUlT_T0_E_clISt17integral_constantIbLb0EES1T_IbLb1EEEEDaS1P_S1Q_EUlS1P_E_NS1_11comp_targetILNS1_3genE5ELNS1_11target_archE942ELNS1_3gpuE9ELNS1_3repE0EEENS1_30default_config_static_selectorELNS0_4arch9wavefront6targetE0EEEvS12_.uses_vcc, 0
	.set _ZN7rocprim17ROCPRIM_400000_NS6detail17trampoline_kernelINS0_13select_configILj256ELj13ELNS0_17block_load_methodE3ELS4_3ELS4_3ELNS0_20block_scan_algorithmE0ELj4294967295EEENS1_25partition_config_selectorILNS1_17partition_subalgoE4EjNS0_10empty_typeEbEEZZNS1_14partition_implILS8_4ELb0ES6_15HIP_vector_typeIjLj2EENS0_17counting_iteratorIjlEEPS9_SG_NS0_5tupleIJPjSI_NS0_16reverse_iteratorISI_EEEEENSH_IJSG_SG_SG_EEES9_SI_JZNS1_25segmented_radix_sort_implINS0_14default_configELb0EPKfPfPKlPlN2at6native12_GLOBAL__N_18offset_tEEE10hipError_tPvRmT1_PNSt15iterator_traitsIS12_E10value_typeET2_T3_PNS13_IS18_E10value_typeET4_jRbjT5_S1E_jjP12ihipStream_tbEUljE_ZNSN_ISO_Lb0ESQ_SR_ST_SU_SY_EESZ_S10_S11_S12_S16_S17_S18_S1B_S1C_jS1D_jS1E_S1E_jjS1G_bEUljE0_EEESZ_S10_S11_S18_S1C_S1E_T6_T7_T9_mT8_S1G_bDpT10_ENKUlT_T0_E_clISt17integral_constantIbLb0EES1T_IbLb1EEEEDaS1P_S1Q_EUlS1P_E_NS1_11comp_targetILNS1_3genE5ELNS1_11target_archE942ELNS1_3gpuE9ELNS1_3repE0EEENS1_30default_config_static_selectorELNS0_4arch9wavefront6targetE0EEEvS12_.uses_flat_scratch, 0
	.set _ZN7rocprim17ROCPRIM_400000_NS6detail17trampoline_kernelINS0_13select_configILj256ELj13ELNS0_17block_load_methodE3ELS4_3ELS4_3ELNS0_20block_scan_algorithmE0ELj4294967295EEENS1_25partition_config_selectorILNS1_17partition_subalgoE4EjNS0_10empty_typeEbEEZZNS1_14partition_implILS8_4ELb0ES6_15HIP_vector_typeIjLj2EENS0_17counting_iteratorIjlEEPS9_SG_NS0_5tupleIJPjSI_NS0_16reverse_iteratorISI_EEEEENSH_IJSG_SG_SG_EEES9_SI_JZNS1_25segmented_radix_sort_implINS0_14default_configELb0EPKfPfPKlPlN2at6native12_GLOBAL__N_18offset_tEEE10hipError_tPvRmT1_PNSt15iterator_traitsIS12_E10value_typeET2_T3_PNS13_IS18_E10value_typeET4_jRbjT5_S1E_jjP12ihipStream_tbEUljE_ZNSN_ISO_Lb0ESQ_SR_ST_SU_SY_EESZ_S10_S11_S12_S16_S17_S18_S1B_S1C_jS1D_jS1E_S1E_jjS1G_bEUljE0_EEESZ_S10_S11_S18_S1C_S1E_T6_T7_T9_mT8_S1G_bDpT10_ENKUlT_T0_E_clISt17integral_constantIbLb0EES1T_IbLb1EEEEDaS1P_S1Q_EUlS1P_E_NS1_11comp_targetILNS1_3genE5ELNS1_11target_archE942ELNS1_3gpuE9ELNS1_3repE0EEENS1_30default_config_static_selectorELNS0_4arch9wavefront6targetE0EEEvS12_.has_dyn_sized_stack, 0
	.set _ZN7rocprim17ROCPRIM_400000_NS6detail17trampoline_kernelINS0_13select_configILj256ELj13ELNS0_17block_load_methodE3ELS4_3ELS4_3ELNS0_20block_scan_algorithmE0ELj4294967295EEENS1_25partition_config_selectorILNS1_17partition_subalgoE4EjNS0_10empty_typeEbEEZZNS1_14partition_implILS8_4ELb0ES6_15HIP_vector_typeIjLj2EENS0_17counting_iteratorIjlEEPS9_SG_NS0_5tupleIJPjSI_NS0_16reverse_iteratorISI_EEEEENSH_IJSG_SG_SG_EEES9_SI_JZNS1_25segmented_radix_sort_implINS0_14default_configELb0EPKfPfPKlPlN2at6native12_GLOBAL__N_18offset_tEEE10hipError_tPvRmT1_PNSt15iterator_traitsIS12_E10value_typeET2_T3_PNS13_IS18_E10value_typeET4_jRbjT5_S1E_jjP12ihipStream_tbEUljE_ZNSN_ISO_Lb0ESQ_SR_ST_SU_SY_EESZ_S10_S11_S12_S16_S17_S18_S1B_S1C_jS1D_jS1E_S1E_jjS1G_bEUljE0_EEESZ_S10_S11_S18_S1C_S1E_T6_T7_T9_mT8_S1G_bDpT10_ENKUlT_T0_E_clISt17integral_constantIbLb0EES1T_IbLb1EEEEDaS1P_S1Q_EUlS1P_E_NS1_11comp_targetILNS1_3genE5ELNS1_11target_archE942ELNS1_3gpuE9ELNS1_3repE0EEENS1_30default_config_static_selectorELNS0_4arch9wavefront6targetE0EEEvS12_.has_recursion, 0
	.set _ZN7rocprim17ROCPRIM_400000_NS6detail17trampoline_kernelINS0_13select_configILj256ELj13ELNS0_17block_load_methodE3ELS4_3ELS4_3ELNS0_20block_scan_algorithmE0ELj4294967295EEENS1_25partition_config_selectorILNS1_17partition_subalgoE4EjNS0_10empty_typeEbEEZZNS1_14partition_implILS8_4ELb0ES6_15HIP_vector_typeIjLj2EENS0_17counting_iteratorIjlEEPS9_SG_NS0_5tupleIJPjSI_NS0_16reverse_iteratorISI_EEEEENSH_IJSG_SG_SG_EEES9_SI_JZNS1_25segmented_radix_sort_implINS0_14default_configELb0EPKfPfPKlPlN2at6native12_GLOBAL__N_18offset_tEEE10hipError_tPvRmT1_PNSt15iterator_traitsIS12_E10value_typeET2_T3_PNS13_IS18_E10value_typeET4_jRbjT5_S1E_jjP12ihipStream_tbEUljE_ZNSN_ISO_Lb0ESQ_SR_ST_SU_SY_EESZ_S10_S11_S12_S16_S17_S18_S1B_S1C_jS1D_jS1E_S1E_jjS1G_bEUljE0_EEESZ_S10_S11_S18_S1C_S1E_T6_T7_T9_mT8_S1G_bDpT10_ENKUlT_T0_E_clISt17integral_constantIbLb0EES1T_IbLb1EEEEDaS1P_S1Q_EUlS1P_E_NS1_11comp_targetILNS1_3genE5ELNS1_11target_archE942ELNS1_3gpuE9ELNS1_3repE0EEENS1_30default_config_static_selectorELNS0_4arch9wavefront6targetE0EEEvS12_.has_indirect_call, 0
	.section	.AMDGPU.csdata,"",@progbits
; Kernel info:
; codeLenInByte = 0
; TotalNumSgprs: 0
; NumVgprs: 0
; ScratchSize: 0
; MemoryBound: 0
; FloatMode: 240
; IeeeMode: 1
; LDSByteSize: 0 bytes/workgroup (compile time only)
; SGPRBlocks: 0
; VGPRBlocks: 0
; NumSGPRsForWavesPerEU: 1
; NumVGPRsForWavesPerEU: 1
; Occupancy: 16
; WaveLimiterHint : 0
; COMPUTE_PGM_RSRC2:SCRATCH_EN: 0
; COMPUTE_PGM_RSRC2:USER_SGPR: 2
; COMPUTE_PGM_RSRC2:TRAP_HANDLER: 0
; COMPUTE_PGM_RSRC2:TGID_X_EN: 1
; COMPUTE_PGM_RSRC2:TGID_Y_EN: 0
; COMPUTE_PGM_RSRC2:TGID_Z_EN: 0
; COMPUTE_PGM_RSRC2:TIDIG_COMP_CNT: 0
	.section	.text._ZN7rocprim17ROCPRIM_400000_NS6detail17trampoline_kernelINS0_13select_configILj256ELj13ELNS0_17block_load_methodE3ELS4_3ELS4_3ELNS0_20block_scan_algorithmE0ELj4294967295EEENS1_25partition_config_selectorILNS1_17partition_subalgoE4EjNS0_10empty_typeEbEEZZNS1_14partition_implILS8_4ELb0ES6_15HIP_vector_typeIjLj2EENS0_17counting_iteratorIjlEEPS9_SG_NS0_5tupleIJPjSI_NS0_16reverse_iteratorISI_EEEEENSH_IJSG_SG_SG_EEES9_SI_JZNS1_25segmented_radix_sort_implINS0_14default_configELb0EPKfPfPKlPlN2at6native12_GLOBAL__N_18offset_tEEE10hipError_tPvRmT1_PNSt15iterator_traitsIS12_E10value_typeET2_T3_PNS13_IS18_E10value_typeET4_jRbjT5_S1E_jjP12ihipStream_tbEUljE_ZNSN_ISO_Lb0ESQ_SR_ST_SU_SY_EESZ_S10_S11_S12_S16_S17_S18_S1B_S1C_jS1D_jS1E_S1E_jjS1G_bEUljE0_EEESZ_S10_S11_S18_S1C_S1E_T6_T7_T9_mT8_S1G_bDpT10_ENKUlT_T0_E_clISt17integral_constantIbLb0EES1T_IbLb1EEEEDaS1P_S1Q_EUlS1P_E_NS1_11comp_targetILNS1_3genE4ELNS1_11target_archE910ELNS1_3gpuE8ELNS1_3repE0EEENS1_30default_config_static_selectorELNS0_4arch9wavefront6targetE0EEEvS12_,"axG",@progbits,_ZN7rocprim17ROCPRIM_400000_NS6detail17trampoline_kernelINS0_13select_configILj256ELj13ELNS0_17block_load_methodE3ELS4_3ELS4_3ELNS0_20block_scan_algorithmE0ELj4294967295EEENS1_25partition_config_selectorILNS1_17partition_subalgoE4EjNS0_10empty_typeEbEEZZNS1_14partition_implILS8_4ELb0ES6_15HIP_vector_typeIjLj2EENS0_17counting_iteratorIjlEEPS9_SG_NS0_5tupleIJPjSI_NS0_16reverse_iteratorISI_EEEEENSH_IJSG_SG_SG_EEES9_SI_JZNS1_25segmented_radix_sort_implINS0_14default_configELb0EPKfPfPKlPlN2at6native12_GLOBAL__N_18offset_tEEE10hipError_tPvRmT1_PNSt15iterator_traitsIS12_E10value_typeET2_T3_PNS13_IS18_E10value_typeET4_jRbjT5_S1E_jjP12ihipStream_tbEUljE_ZNSN_ISO_Lb0ESQ_SR_ST_SU_SY_EESZ_S10_S11_S12_S16_S17_S18_S1B_S1C_jS1D_jS1E_S1E_jjS1G_bEUljE0_EEESZ_S10_S11_S18_S1C_S1E_T6_T7_T9_mT8_S1G_bDpT10_ENKUlT_T0_E_clISt17integral_constantIbLb0EES1T_IbLb1EEEEDaS1P_S1Q_EUlS1P_E_NS1_11comp_targetILNS1_3genE4ELNS1_11target_archE910ELNS1_3gpuE8ELNS1_3repE0EEENS1_30default_config_static_selectorELNS0_4arch9wavefront6targetE0EEEvS12_,comdat
	.globl	_ZN7rocprim17ROCPRIM_400000_NS6detail17trampoline_kernelINS0_13select_configILj256ELj13ELNS0_17block_load_methodE3ELS4_3ELS4_3ELNS0_20block_scan_algorithmE0ELj4294967295EEENS1_25partition_config_selectorILNS1_17partition_subalgoE4EjNS0_10empty_typeEbEEZZNS1_14partition_implILS8_4ELb0ES6_15HIP_vector_typeIjLj2EENS0_17counting_iteratorIjlEEPS9_SG_NS0_5tupleIJPjSI_NS0_16reverse_iteratorISI_EEEEENSH_IJSG_SG_SG_EEES9_SI_JZNS1_25segmented_radix_sort_implINS0_14default_configELb0EPKfPfPKlPlN2at6native12_GLOBAL__N_18offset_tEEE10hipError_tPvRmT1_PNSt15iterator_traitsIS12_E10value_typeET2_T3_PNS13_IS18_E10value_typeET4_jRbjT5_S1E_jjP12ihipStream_tbEUljE_ZNSN_ISO_Lb0ESQ_SR_ST_SU_SY_EESZ_S10_S11_S12_S16_S17_S18_S1B_S1C_jS1D_jS1E_S1E_jjS1G_bEUljE0_EEESZ_S10_S11_S18_S1C_S1E_T6_T7_T9_mT8_S1G_bDpT10_ENKUlT_T0_E_clISt17integral_constantIbLb0EES1T_IbLb1EEEEDaS1P_S1Q_EUlS1P_E_NS1_11comp_targetILNS1_3genE4ELNS1_11target_archE910ELNS1_3gpuE8ELNS1_3repE0EEENS1_30default_config_static_selectorELNS0_4arch9wavefront6targetE0EEEvS12_ ; -- Begin function _ZN7rocprim17ROCPRIM_400000_NS6detail17trampoline_kernelINS0_13select_configILj256ELj13ELNS0_17block_load_methodE3ELS4_3ELS4_3ELNS0_20block_scan_algorithmE0ELj4294967295EEENS1_25partition_config_selectorILNS1_17partition_subalgoE4EjNS0_10empty_typeEbEEZZNS1_14partition_implILS8_4ELb0ES6_15HIP_vector_typeIjLj2EENS0_17counting_iteratorIjlEEPS9_SG_NS0_5tupleIJPjSI_NS0_16reverse_iteratorISI_EEEEENSH_IJSG_SG_SG_EEES9_SI_JZNS1_25segmented_radix_sort_implINS0_14default_configELb0EPKfPfPKlPlN2at6native12_GLOBAL__N_18offset_tEEE10hipError_tPvRmT1_PNSt15iterator_traitsIS12_E10value_typeET2_T3_PNS13_IS18_E10value_typeET4_jRbjT5_S1E_jjP12ihipStream_tbEUljE_ZNSN_ISO_Lb0ESQ_SR_ST_SU_SY_EESZ_S10_S11_S12_S16_S17_S18_S1B_S1C_jS1D_jS1E_S1E_jjS1G_bEUljE0_EEESZ_S10_S11_S18_S1C_S1E_T6_T7_T9_mT8_S1G_bDpT10_ENKUlT_T0_E_clISt17integral_constantIbLb0EES1T_IbLb1EEEEDaS1P_S1Q_EUlS1P_E_NS1_11comp_targetILNS1_3genE4ELNS1_11target_archE910ELNS1_3gpuE8ELNS1_3repE0EEENS1_30default_config_static_selectorELNS0_4arch9wavefront6targetE0EEEvS12_
	.p2align	8
	.type	_ZN7rocprim17ROCPRIM_400000_NS6detail17trampoline_kernelINS0_13select_configILj256ELj13ELNS0_17block_load_methodE3ELS4_3ELS4_3ELNS0_20block_scan_algorithmE0ELj4294967295EEENS1_25partition_config_selectorILNS1_17partition_subalgoE4EjNS0_10empty_typeEbEEZZNS1_14partition_implILS8_4ELb0ES6_15HIP_vector_typeIjLj2EENS0_17counting_iteratorIjlEEPS9_SG_NS0_5tupleIJPjSI_NS0_16reverse_iteratorISI_EEEEENSH_IJSG_SG_SG_EEES9_SI_JZNS1_25segmented_radix_sort_implINS0_14default_configELb0EPKfPfPKlPlN2at6native12_GLOBAL__N_18offset_tEEE10hipError_tPvRmT1_PNSt15iterator_traitsIS12_E10value_typeET2_T3_PNS13_IS18_E10value_typeET4_jRbjT5_S1E_jjP12ihipStream_tbEUljE_ZNSN_ISO_Lb0ESQ_SR_ST_SU_SY_EESZ_S10_S11_S12_S16_S17_S18_S1B_S1C_jS1D_jS1E_S1E_jjS1G_bEUljE0_EEESZ_S10_S11_S18_S1C_S1E_T6_T7_T9_mT8_S1G_bDpT10_ENKUlT_T0_E_clISt17integral_constantIbLb0EES1T_IbLb1EEEEDaS1P_S1Q_EUlS1P_E_NS1_11comp_targetILNS1_3genE4ELNS1_11target_archE910ELNS1_3gpuE8ELNS1_3repE0EEENS1_30default_config_static_selectorELNS0_4arch9wavefront6targetE0EEEvS12_,@function
_ZN7rocprim17ROCPRIM_400000_NS6detail17trampoline_kernelINS0_13select_configILj256ELj13ELNS0_17block_load_methodE3ELS4_3ELS4_3ELNS0_20block_scan_algorithmE0ELj4294967295EEENS1_25partition_config_selectorILNS1_17partition_subalgoE4EjNS0_10empty_typeEbEEZZNS1_14partition_implILS8_4ELb0ES6_15HIP_vector_typeIjLj2EENS0_17counting_iteratorIjlEEPS9_SG_NS0_5tupleIJPjSI_NS0_16reverse_iteratorISI_EEEEENSH_IJSG_SG_SG_EEES9_SI_JZNS1_25segmented_radix_sort_implINS0_14default_configELb0EPKfPfPKlPlN2at6native12_GLOBAL__N_18offset_tEEE10hipError_tPvRmT1_PNSt15iterator_traitsIS12_E10value_typeET2_T3_PNS13_IS18_E10value_typeET4_jRbjT5_S1E_jjP12ihipStream_tbEUljE_ZNSN_ISO_Lb0ESQ_SR_ST_SU_SY_EESZ_S10_S11_S12_S16_S17_S18_S1B_S1C_jS1D_jS1E_S1E_jjS1G_bEUljE0_EEESZ_S10_S11_S18_S1C_S1E_T6_T7_T9_mT8_S1G_bDpT10_ENKUlT_T0_E_clISt17integral_constantIbLb0EES1T_IbLb1EEEEDaS1P_S1Q_EUlS1P_E_NS1_11comp_targetILNS1_3genE4ELNS1_11target_archE910ELNS1_3gpuE8ELNS1_3repE0EEENS1_30default_config_static_selectorELNS0_4arch9wavefront6targetE0EEEvS12_: ; @_ZN7rocprim17ROCPRIM_400000_NS6detail17trampoline_kernelINS0_13select_configILj256ELj13ELNS0_17block_load_methodE3ELS4_3ELS4_3ELNS0_20block_scan_algorithmE0ELj4294967295EEENS1_25partition_config_selectorILNS1_17partition_subalgoE4EjNS0_10empty_typeEbEEZZNS1_14partition_implILS8_4ELb0ES6_15HIP_vector_typeIjLj2EENS0_17counting_iteratorIjlEEPS9_SG_NS0_5tupleIJPjSI_NS0_16reverse_iteratorISI_EEEEENSH_IJSG_SG_SG_EEES9_SI_JZNS1_25segmented_radix_sort_implINS0_14default_configELb0EPKfPfPKlPlN2at6native12_GLOBAL__N_18offset_tEEE10hipError_tPvRmT1_PNSt15iterator_traitsIS12_E10value_typeET2_T3_PNS13_IS18_E10value_typeET4_jRbjT5_S1E_jjP12ihipStream_tbEUljE_ZNSN_ISO_Lb0ESQ_SR_ST_SU_SY_EESZ_S10_S11_S12_S16_S17_S18_S1B_S1C_jS1D_jS1E_S1E_jjS1G_bEUljE0_EEESZ_S10_S11_S18_S1C_S1E_T6_T7_T9_mT8_S1G_bDpT10_ENKUlT_T0_E_clISt17integral_constantIbLb0EES1T_IbLb1EEEEDaS1P_S1Q_EUlS1P_E_NS1_11comp_targetILNS1_3genE4ELNS1_11target_archE910ELNS1_3gpuE8ELNS1_3repE0EEENS1_30default_config_static_selectorELNS0_4arch9wavefront6targetE0EEEvS12_
; %bb.0:
	.section	.rodata,"a",@progbits
	.p2align	6, 0x0
	.amdhsa_kernel _ZN7rocprim17ROCPRIM_400000_NS6detail17trampoline_kernelINS0_13select_configILj256ELj13ELNS0_17block_load_methodE3ELS4_3ELS4_3ELNS0_20block_scan_algorithmE0ELj4294967295EEENS1_25partition_config_selectorILNS1_17partition_subalgoE4EjNS0_10empty_typeEbEEZZNS1_14partition_implILS8_4ELb0ES6_15HIP_vector_typeIjLj2EENS0_17counting_iteratorIjlEEPS9_SG_NS0_5tupleIJPjSI_NS0_16reverse_iteratorISI_EEEEENSH_IJSG_SG_SG_EEES9_SI_JZNS1_25segmented_radix_sort_implINS0_14default_configELb0EPKfPfPKlPlN2at6native12_GLOBAL__N_18offset_tEEE10hipError_tPvRmT1_PNSt15iterator_traitsIS12_E10value_typeET2_T3_PNS13_IS18_E10value_typeET4_jRbjT5_S1E_jjP12ihipStream_tbEUljE_ZNSN_ISO_Lb0ESQ_SR_ST_SU_SY_EESZ_S10_S11_S12_S16_S17_S18_S1B_S1C_jS1D_jS1E_S1E_jjS1G_bEUljE0_EEESZ_S10_S11_S18_S1C_S1E_T6_T7_T9_mT8_S1G_bDpT10_ENKUlT_T0_E_clISt17integral_constantIbLb0EES1T_IbLb1EEEEDaS1P_S1Q_EUlS1P_E_NS1_11comp_targetILNS1_3genE4ELNS1_11target_archE910ELNS1_3gpuE8ELNS1_3repE0EEENS1_30default_config_static_selectorELNS0_4arch9wavefront6targetE0EEEvS12_
		.amdhsa_group_segment_fixed_size 0
		.amdhsa_private_segment_fixed_size 0
		.amdhsa_kernarg_size 184
		.amdhsa_user_sgpr_count 2
		.amdhsa_user_sgpr_dispatch_ptr 0
		.amdhsa_user_sgpr_queue_ptr 0
		.amdhsa_user_sgpr_kernarg_segment_ptr 1
		.amdhsa_user_sgpr_dispatch_id 0
		.amdhsa_user_sgpr_private_segment_size 0
		.amdhsa_wavefront_size32 1
		.amdhsa_uses_dynamic_stack 0
		.amdhsa_enable_private_segment 0
		.amdhsa_system_sgpr_workgroup_id_x 1
		.amdhsa_system_sgpr_workgroup_id_y 0
		.amdhsa_system_sgpr_workgroup_id_z 0
		.amdhsa_system_sgpr_workgroup_info 0
		.amdhsa_system_vgpr_workitem_id 0
		.amdhsa_next_free_vgpr 1
		.amdhsa_next_free_sgpr 1
		.amdhsa_reserve_vcc 0
		.amdhsa_float_round_mode_32 0
		.amdhsa_float_round_mode_16_64 0
		.amdhsa_float_denorm_mode_32 3
		.amdhsa_float_denorm_mode_16_64 3
		.amdhsa_fp16_overflow 0
		.amdhsa_workgroup_processor_mode 1
		.amdhsa_memory_ordered 1
		.amdhsa_forward_progress 1
		.amdhsa_inst_pref_size 0
		.amdhsa_round_robin_scheduling 0
		.amdhsa_exception_fp_ieee_invalid_op 0
		.amdhsa_exception_fp_denorm_src 0
		.amdhsa_exception_fp_ieee_div_zero 0
		.amdhsa_exception_fp_ieee_overflow 0
		.amdhsa_exception_fp_ieee_underflow 0
		.amdhsa_exception_fp_ieee_inexact 0
		.amdhsa_exception_int_div_zero 0
	.end_amdhsa_kernel
	.section	.text._ZN7rocprim17ROCPRIM_400000_NS6detail17trampoline_kernelINS0_13select_configILj256ELj13ELNS0_17block_load_methodE3ELS4_3ELS4_3ELNS0_20block_scan_algorithmE0ELj4294967295EEENS1_25partition_config_selectorILNS1_17partition_subalgoE4EjNS0_10empty_typeEbEEZZNS1_14partition_implILS8_4ELb0ES6_15HIP_vector_typeIjLj2EENS0_17counting_iteratorIjlEEPS9_SG_NS0_5tupleIJPjSI_NS0_16reverse_iteratorISI_EEEEENSH_IJSG_SG_SG_EEES9_SI_JZNS1_25segmented_radix_sort_implINS0_14default_configELb0EPKfPfPKlPlN2at6native12_GLOBAL__N_18offset_tEEE10hipError_tPvRmT1_PNSt15iterator_traitsIS12_E10value_typeET2_T3_PNS13_IS18_E10value_typeET4_jRbjT5_S1E_jjP12ihipStream_tbEUljE_ZNSN_ISO_Lb0ESQ_SR_ST_SU_SY_EESZ_S10_S11_S12_S16_S17_S18_S1B_S1C_jS1D_jS1E_S1E_jjS1G_bEUljE0_EEESZ_S10_S11_S18_S1C_S1E_T6_T7_T9_mT8_S1G_bDpT10_ENKUlT_T0_E_clISt17integral_constantIbLb0EES1T_IbLb1EEEEDaS1P_S1Q_EUlS1P_E_NS1_11comp_targetILNS1_3genE4ELNS1_11target_archE910ELNS1_3gpuE8ELNS1_3repE0EEENS1_30default_config_static_selectorELNS0_4arch9wavefront6targetE0EEEvS12_,"axG",@progbits,_ZN7rocprim17ROCPRIM_400000_NS6detail17trampoline_kernelINS0_13select_configILj256ELj13ELNS0_17block_load_methodE3ELS4_3ELS4_3ELNS0_20block_scan_algorithmE0ELj4294967295EEENS1_25partition_config_selectorILNS1_17partition_subalgoE4EjNS0_10empty_typeEbEEZZNS1_14partition_implILS8_4ELb0ES6_15HIP_vector_typeIjLj2EENS0_17counting_iteratorIjlEEPS9_SG_NS0_5tupleIJPjSI_NS0_16reverse_iteratorISI_EEEEENSH_IJSG_SG_SG_EEES9_SI_JZNS1_25segmented_radix_sort_implINS0_14default_configELb0EPKfPfPKlPlN2at6native12_GLOBAL__N_18offset_tEEE10hipError_tPvRmT1_PNSt15iterator_traitsIS12_E10value_typeET2_T3_PNS13_IS18_E10value_typeET4_jRbjT5_S1E_jjP12ihipStream_tbEUljE_ZNSN_ISO_Lb0ESQ_SR_ST_SU_SY_EESZ_S10_S11_S12_S16_S17_S18_S1B_S1C_jS1D_jS1E_S1E_jjS1G_bEUljE0_EEESZ_S10_S11_S18_S1C_S1E_T6_T7_T9_mT8_S1G_bDpT10_ENKUlT_T0_E_clISt17integral_constantIbLb0EES1T_IbLb1EEEEDaS1P_S1Q_EUlS1P_E_NS1_11comp_targetILNS1_3genE4ELNS1_11target_archE910ELNS1_3gpuE8ELNS1_3repE0EEENS1_30default_config_static_selectorELNS0_4arch9wavefront6targetE0EEEvS12_,comdat
.Lfunc_end1390:
	.size	_ZN7rocprim17ROCPRIM_400000_NS6detail17trampoline_kernelINS0_13select_configILj256ELj13ELNS0_17block_load_methodE3ELS4_3ELS4_3ELNS0_20block_scan_algorithmE0ELj4294967295EEENS1_25partition_config_selectorILNS1_17partition_subalgoE4EjNS0_10empty_typeEbEEZZNS1_14partition_implILS8_4ELb0ES6_15HIP_vector_typeIjLj2EENS0_17counting_iteratorIjlEEPS9_SG_NS0_5tupleIJPjSI_NS0_16reverse_iteratorISI_EEEEENSH_IJSG_SG_SG_EEES9_SI_JZNS1_25segmented_radix_sort_implINS0_14default_configELb0EPKfPfPKlPlN2at6native12_GLOBAL__N_18offset_tEEE10hipError_tPvRmT1_PNSt15iterator_traitsIS12_E10value_typeET2_T3_PNS13_IS18_E10value_typeET4_jRbjT5_S1E_jjP12ihipStream_tbEUljE_ZNSN_ISO_Lb0ESQ_SR_ST_SU_SY_EESZ_S10_S11_S12_S16_S17_S18_S1B_S1C_jS1D_jS1E_S1E_jjS1G_bEUljE0_EEESZ_S10_S11_S18_S1C_S1E_T6_T7_T9_mT8_S1G_bDpT10_ENKUlT_T0_E_clISt17integral_constantIbLb0EES1T_IbLb1EEEEDaS1P_S1Q_EUlS1P_E_NS1_11comp_targetILNS1_3genE4ELNS1_11target_archE910ELNS1_3gpuE8ELNS1_3repE0EEENS1_30default_config_static_selectorELNS0_4arch9wavefront6targetE0EEEvS12_, .Lfunc_end1390-_ZN7rocprim17ROCPRIM_400000_NS6detail17trampoline_kernelINS0_13select_configILj256ELj13ELNS0_17block_load_methodE3ELS4_3ELS4_3ELNS0_20block_scan_algorithmE0ELj4294967295EEENS1_25partition_config_selectorILNS1_17partition_subalgoE4EjNS0_10empty_typeEbEEZZNS1_14partition_implILS8_4ELb0ES6_15HIP_vector_typeIjLj2EENS0_17counting_iteratorIjlEEPS9_SG_NS0_5tupleIJPjSI_NS0_16reverse_iteratorISI_EEEEENSH_IJSG_SG_SG_EEES9_SI_JZNS1_25segmented_radix_sort_implINS0_14default_configELb0EPKfPfPKlPlN2at6native12_GLOBAL__N_18offset_tEEE10hipError_tPvRmT1_PNSt15iterator_traitsIS12_E10value_typeET2_T3_PNS13_IS18_E10value_typeET4_jRbjT5_S1E_jjP12ihipStream_tbEUljE_ZNSN_ISO_Lb0ESQ_SR_ST_SU_SY_EESZ_S10_S11_S12_S16_S17_S18_S1B_S1C_jS1D_jS1E_S1E_jjS1G_bEUljE0_EEESZ_S10_S11_S18_S1C_S1E_T6_T7_T9_mT8_S1G_bDpT10_ENKUlT_T0_E_clISt17integral_constantIbLb0EES1T_IbLb1EEEEDaS1P_S1Q_EUlS1P_E_NS1_11comp_targetILNS1_3genE4ELNS1_11target_archE910ELNS1_3gpuE8ELNS1_3repE0EEENS1_30default_config_static_selectorELNS0_4arch9wavefront6targetE0EEEvS12_
                                        ; -- End function
	.set _ZN7rocprim17ROCPRIM_400000_NS6detail17trampoline_kernelINS0_13select_configILj256ELj13ELNS0_17block_load_methodE3ELS4_3ELS4_3ELNS0_20block_scan_algorithmE0ELj4294967295EEENS1_25partition_config_selectorILNS1_17partition_subalgoE4EjNS0_10empty_typeEbEEZZNS1_14partition_implILS8_4ELb0ES6_15HIP_vector_typeIjLj2EENS0_17counting_iteratorIjlEEPS9_SG_NS0_5tupleIJPjSI_NS0_16reverse_iteratorISI_EEEEENSH_IJSG_SG_SG_EEES9_SI_JZNS1_25segmented_radix_sort_implINS0_14default_configELb0EPKfPfPKlPlN2at6native12_GLOBAL__N_18offset_tEEE10hipError_tPvRmT1_PNSt15iterator_traitsIS12_E10value_typeET2_T3_PNS13_IS18_E10value_typeET4_jRbjT5_S1E_jjP12ihipStream_tbEUljE_ZNSN_ISO_Lb0ESQ_SR_ST_SU_SY_EESZ_S10_S11_S12_S16_S17_S18_S1B_S1C_jS1D_jS1E_S1E_jjS1G_bEUljE0_EEESZ_S10_S11_S18_S1C_S1E_T6_T7_T9_mT8_S1G_bDpT10_ENKUlT_T0_E_clISt17integral_constantIbLb0EES1T_IbLb1EEEEDaS1P_S1Q_EUlS1P_E_NS1_11comp_targetILNS1_3genE4ELNS1_11target_archE910ELNS1_3gpuE8ELNS1_3repE0EEENS1_30default_config_static_selectorELNS0_4arch9wavefront6targetE0EEEvS12_.num_vgpr, 0
	.set _ZN7rocprim17ROCPRIM_400000_NS6detail17trampoline_kernelINS0_13select_configILj256ELj13ELNS0_17block_load_methodE3ELS4_3ELS4_3ELNS0_20block_scan_algorithmE0ELj4294967295EEENS1_25partition_config_selectorILNS1_17partition_subalgoE4EjNS0_10empty_typeEbEEZZNS1_14partition_implILS8_4ELb0ES6_15HIP_vector_typeIjLj2EENS0_17counting_iteratorIjlEEPS9_SG_NS0_5tupleIJPjSI_NS0_16reverse_iteratorISI_EEEEENSH_IJSG_SG_SG_EEES9_SI_JZNS1_25segmented_radix_sort_implINS0_14default_configELb0EPKfPfPKlPlN2at6native12_GLOBAL__N_18offset_tEEE10hipError_tPvRmT1_PNSt15iterator_traitsIS12_E10value_typeET2_T3_PNS13_IS18_E10value_typeET4_jRbjT5_S1E_jjP12ihipStream_tbEUljE_ZNSN_ISO_Lb0ESQ_SR_ST_SU_SY_EESZ_S10_S11_S12_S16_S17_S18_S1B_S1C_jS1D_jS1E_S1E_jjS1G_bEUljE0_EEESZ_S10_S11_S18_S1C_S1E_T6_T7_T9_mT8_S1G_bDpT10_ENKUlT_T0_E_clISt17integral_constantIbLb0EES1T_IbLb1EEEEDaS1P_S1Q_EUlS1P_E_NS1_11comp_targetILNS1_3genE4ELNS1_11target_archE910ELNS1_3gpuE8ELNS1_3repE0EEENS1_30default_config_static_selectorELNS0_4arch9wavefront6targetE0EEEvS12_.num_agpr, 0
	.set _ZN7rocprim17ROCPRIM_400000_NS6detail17trampoline_kernelINS0_13select_configILj256ELj13ELNS0_17block_load_methodE3ELS4_3ELS4_3ELNS0_20block_scan_algorithmE0ELj4294967295EEENS1_25partition_config_selectorILNS1_17partition_subalgoE4EjNS0_10empty_typeEbEEZZNS1_14partition_implILS8_4ELb0ES6_15HIP_vector_typeIjLj2EENS0_17counting_iteratorIjlEEPS9_SG_NS0_5tupleIJPjSI_NS0_16reverse_iteratorISI_EEEEENSH_IJSG_SG_SG_EEES9_SI_JZNS1_25segmented_radix_sort_implINS0_14default_configELb0EPKfPfPKlPlN2at6native12_GLOBAL__N_18offset_tEEE10hipError_tPvRmT1_PNSt15iterator_traitsIS12_E10value_typeET2_T3_PNS13_IS18_E10value_typeET4_jRbjT5_S1E_jjP12ihipStream_tbEUljE_ZNSN_ISO_Lb0ESQ_SR_ST_SU_SY_EESZ_S10_S11_S12_S16_S17_S18_S1B_S1C_jS1D_jS1E_S1E_jjS1G_bEUljE0_EEESZ_S10_S11_S18_S1C_S1E_T6_T7_T9_mT8_S1G_bDpT10_ENKUlT_T0_E_clISt17integral_constantIbLb0EES1T_IbLb1EEEEDaS1P_S1Q_EUlS1P_E_NS1_11comp_targetILNS1_3genE4ELNS1_11target_archE910ELNS1_3gpuE8ELNS1_3repE0EEENS1_30default_config_static_selectorELNS0_4arch9wavefront6targetE0EEEvS12_.numbered_sgpr, 0
	.set _ZN7rocprim17ROCPRIM_400000_NS6detail17trampoline_kernelINS0_13select_configILj256ELj13ELNS0_17block_load_methodE3ELS4_3ELS4_3ELNS0_20block_scan_algorithmE0ELj4294967295EEENS1_25partition_config_selectorILNS1_17partition_subalgoE4EjNS0_10empty_typeEbEEZZNS1_14partition_implILS8_4ELb0ES6_15HIP_vector_typeIjLj2EENS0_17counting_iteratorIjlEEPS9_SG_NS0_5tupleIJPjSI_NS0_16reverse_iteratorISI_EEEEENSH_IJSG_SG_SG_EEES9_SI_JZNS1_25segmented_radix_sort_implINS0_14default_configELb0EPKfPfPKlPlN2at6native12_GLOBAL__N_18offset_tEEE10hipError_tPvRmT1_PNSt15iterator_traitsIS12_E10value_typeET2_T3_PNS13_IS18_E10value_typeET4_jRbjT5_S1E_jjP12ihipStream_tbEUljE_ZNSN_ISO_Lb0ESQ_SR_ST_SU_SY_EESZ_S10_S11_S12_S16_S17_S18_S1B_S1C_jS1D_jS1E_S1E_jjS1G_bEUljE0_EEESZ_S10_S11_S18_S1C_S1E_T6_T7_T9_mT8_S1G_bDpT10_ENKUlT_T0_E_clISt17integral_constantIbLb0EES1T_IbLb1EEEEDaS1P_S1Q_EUlS1P_E_NS1_11comp_targetILNS1_3genE4ELNS1_11target_archE910ELNS1_3gpuE8ELNS1_3repE0EEENS1_30default_config_static_selectorELNS0_4arch9wavefront6targetE0EEEvS12_.num_named_barrier, 0
	.set _ZN7rocprim17ROCPRIM_400000_NS6detail17trampoline_kernelINS0_13select_configILj256ELj13ELNS0_17block_load_methodE3ELS4_3ELS4_3ELNS0_20block_scan_algorithmE0ELj4294967295EEENS1_25partition_config_selectorILNS1_17partition_subalgoE4EjNS0_10empty_typeEbEEZZNS1_14partition_implILS8_4ELb0ES6_15HIP_vector_typeIjLj2EENS0_17counting_iteratorIjlEEPS9_SG_NS0_5tupleIJPjSI_NS0_16reverse_iteratorISI_EEEEENSH_IJSG_SG_SG_EEES9_SI_JZNS1_25segmented_radix_sort_implINS0_14default_configELb0EPKfPfPKlPlN2at6native12_GLOBAL__N_18offset_tEEE10hipError_tPvRmT1_PNSt15iterator_traitsIS12_E10value_typeET2_T3_PNS13_IS18_E10value_typeET4_jRbjT5_S1E_jjP12ihipStream_tbEUljE_ZNSN_ISO_Lb0ESQ_SR_ST_SU_SY_EESZ_S10_S11_S12_S16_S17_S18_S1B_S1C_jS1D_jS1E_S1E_jjS1G_bEUljE0_EEESZ_S10_S11_S18_S1C_S1E_T6_T7_T9_mT8_S1G_bDpT10_ENKUlT_T0_E_clISt17integral_constantIbLb0EES1T_IbLb1EEEEDaS1P_S1Q_EUlS1P_E_NS1_11comp_targetILNS1_3genE4ELNS1_11target_archE910ELNS1_3gpuE8ELNS1_3repE0EEENS1_30default_config_static_selectorELNS0_4arch9wavefront6targetE0EEEvS12_.private_seg_size, 0
	.set _ZN7rocprim17ROCPRIM_400000_NS6detail17trampoline_kernelINS0_13select_configILj256ELj13ELNS0_17block_load_methodE3ELS4_3ELS4_3ELNS0_20block_scan_algorithmE0ELj4294967295EEENS1_25partition_config_selectorILNS1_17partition_subalgoE4EjNS0_10empty_typeEbEEZZNS1_14partition_implILS8_4ELb0ES6_15HIP_vector_typeIjLj2EENS0_17counting_iteratorIjlEEPS9_SG_NS0_5tupleIJPjSI_NS0_16reverse_iteratorISI_EEEEENSH_IJSG_SG_SG_EEES9_SI_JZNS1_25segmented_radix_sort_implINS0_14default_configELb0EPKfPfPKlPlN2at6native12_GLOBAL__N_18offset_tEEE10hipError_tPvRmT1_PNSt15iterator_traitsIS12_E10value_typeET2_T3_PNS13_IS18_E10value_typeET4_jRbjT5_S1E_jjP12ihipStream_tbEUljE_ZNSN_ISO_Lb0ESQ_SR_ST_SU_SY_EESZ_S10_S11_S12_S16_S17_S18_S1B_S1C_jS1D_jS1E_S1E_jjS1G_bEUljE0_EEESZ_S10_S11_S18_S1C_S1E_T6_T7_T9_mT8_S1G_bDpT10_ENKUlT_T0_E_clISt17integral_constantIbLb0EES1T_IbLb1EEEEDaS1P_S1Q_EUlS1P_E_NS1_11comp_targetILNS1_3genE4ELNS1_11target_archE910ELNS1_3gpuE8ELNS1_3repE0EEENS1_30default_config_static_selectorELNS0_4arch9wavefront6targetE0EEEvS12_.uses_vcc, 0
	.set _ZN7rocprim17ROCPRIM_400000_NS6detail17trampoline_kernelINS0_13select_configILj256ELj13ELNS0_17block_load_methodE3ELS4_3ELS4_3ELNS0_20block_scan_algorithmE0ELj4294967295EEENS1_25partition_config_selectorILNS1_17partition_subalgoE4EjNS0_10empty_typeEbEEZZNS1_14partition_implILS8_4ELb0ES6_15HIP_vector_typeIjLj2EENS0_17counting_iteratorIjlEEPS9_SG_NS0_5tupleIJPjSI_NS0_16reverse_iteratorISI_EEEEENSH_IJSG_SG_SG_EEES9_SI_JZNS1_25segmented_radix_sort_implINS0_14default_configELb0EPKfPfPKlPlN2at6native12_GLOBAL__N_18offset_tEEE10hipError_tPvRmT1_PNSt15iterator_traitsIS12_E10value_typeET2_T3_PNS13_IS18_E10value_typeET4_jRbjT5_S1E_jjP12ihipStream_tbEUljE_ZNSN_ISO_Lb0ESQ_SR_ST_SU_SY_EESZ_S10_S11_S12_S16_S17_S18_S1B_S1C_jS1D_jS1E_S1E_jjS1G_bEUljE0_EEESZ_S10_S11_S18_S1C_S1E_T6_T7_T9_mT8_S1G_bDpT10_ENKUlT_T0_E_clISt17integral_constantIbLb0EES1T_IbLb1EEEEDaS1P_S1Q_EUlS1P_E_NS1_11comp_targetILNS1_3genE4ELNS1_11target_archE910ELNS1_3gpuE8ELNS1_3repE0EEENS1_30default_config_static_selectorELNS0_4arch9wavefront6targetE0EEEvS12_.uses_flat_scratch, 0
	.set _ZN7rocprim17ROCPRIM_400000_NS6detail17trampoline_kernelINS0_13select_configILj256ELj13ELNS0_17block_load_methodE3ELS4_3ELS4_3ELNS0_20block_scan_algorithmE0ELj4294967295EEENS1_25partition_config_selectorILNS1_17partition_subalgoE4EjNS0_10empty_typeEbEEZZNS1_14partition_implILS8_4ELb0ES6_15HIP_vector_typeIjLj2EENS0_17counting_iteratorIjlEEPS9_SG_NS0_5tupleIJPjSI_NS0_16reverse_iteratorISI_EEEEENSH_IJSG_SG_SG_EEES9_SI_JZNS1_25segmented_radix_sort_implINS0_14default_configELb0EPKfPfPKlPlN2at6native12_GLOBAL__N_18offset_tEEE10hipError_tPvRmT1_PNSt15iterator_traitsIS12_E10value_typeET2_T3_PNS13_IS18_E10value_typeET4_jRbjT5_S1E_jjP12ihipStream_tbEUljE_ZNSN_ISO_Lb0ESQ_SR_ST_SU_SY_EESZ_S10_S11_S12_S16_S17_S18_S1B_S1C_jS1D_jS1E_S1E_jjS1G_bEUljE0_EEESZ_S10_S11_S18_S1C_S1E_T6_T7_T9_mT8_S1G_bDpT10_ENKUlT_T0_E_clISt17integral_constantIbLb0EES1T_IbLb1EEEEDaS1P_S1Q_EUlS1P_E_NS1_11comp_targetILNS1_3genE4ELNS1_11target_archE910ELNS1_3gpuE8ELNS1_3repE0EEENS1_30default_config_static_selectorELNS0_4arch9wavefront6targetE0EEEvS12_.has_dyn_sized_stack, 0
	.set _ZN7rocprim17ROCPRIM_400000_NS6detail17trampoline_kernelINS0_13select_configILj256ELj13ELNS0_17block_load_methodE3ELS4_3ELS4_3ELNS0_20block_scan_algorithmE0ELj4294967295EEENS1_25partition_config_selectorILNS1_17partition_subalgoE4EjNS0_10empty_typeEbEEZZNS1_14partition_implILS8_4ELb0ES6_15HIP_vector_typeIjLj2EENS0_17counting_iteratorIjlEEPS9_SG_NS0_5tupleIJPjSI_NS0_16reverse_iteratorISI_EEEEENSH_IJSG_SG_SG_EEES9_SI_JZNS1_25segmented_radix_sort_implINS0_14default_configELb0EPKfPfPKlPlN2at6native12_GLOBAL__N_18offset_tEEE10hipError_tPvRmT1_PNSt15iterator_traitsIS12_E10value_typeET2_T3_PNS13_IS18_E10value_typeET4_jRbjT5_S1E_jjP12ihipStream_tbEUljE_ZNSN_ISO_Lb0ESQ_SR_ST_SU_SY_EESZ_S10_S11_S12_S16_S17_S18_S1B_S1C_jS1D_jS1E_S1E_jjS1G_bEUljE0_EEESZ_S10_S11_S18_S1C_S1E_T6_T7_T9_mT8_S1G_bDpT10_ENKUlT_T0_E_clISt17integral_constantIbLb0EES1T_IbLb1EEEEDaS1P_S1Q_EUlS1P_E_NS1_11comp_targetILNS1_3genE4ELNS1_11target_archE910ELNS1_3gpuE8ELNS1_3repE0EEENS1_30default_config_static_selectorELNS0_4arch9wavefront6targetE0EEEvS12_.has_recursion, 0
	.set _ZN7rocprim17ROCPRIM_400000_NS6detail17trampoline_kernelINS0_13select_configILj256ELj13ELNS0_17block_load_methodE3ELS4_3ELS4_3ELNS0_20block_scan_algorithmE0ELj4294967295EEENS1_25partition_config_selectorILNS1_17partition_subalgoE4EjNS0_10empty_typeEbEEZZNS1_14partition_implILS8_4ELb0ES6_15HIP_vector_typeIjLj2EENS0_17counting_iteratorIjlEEPS9_SG_NS0_5tupleIJPjSI_NS0_16reverse_iteratorISI_EEEEENSH_IJSG_SG_SG_EEES9_SI_JZNS1_25segmented_radix_sort_implINS0_14default_configELb0EPKfPfPKlPlN2at6native12_GLOBAL__N_18offset_tEEE10hipError_tPvRmT1_PNSt15iterator_traitsIS12_E10value_typeET2_T3_PNS13_IS18_E10value_typeET4_jRbjT5_S1E_jjP12ihipStream_tbEUljE_ZNSN_ISO_Lb0ESQ_SR_ST_SU_SY_EESZ_S10_S11_S12_S16_S17_S18_S1B_S1C_jS1D_jS1E_S1E_jjS1G_bEUljE0_EEESZ_S10_S11_S18_S1C_S1E_T6_T7_T9_mT8_S1G_bDpT10_ENKUlT_T0_E_clISt17integral_constantIbLb0EES1T_IbLb1EEEEDaS1P_S1Q_EUlS1P_E_NS1_11comp_targetILNS1_3genE4ELNS1_11target_archE910ELNS1_3gpuE8ELNS1_3repE0EEENS1_30default_config_static_selectorELNS0_4arch9wavefront6targetE0EEEvS12_.has_indirect_call, 0
	.section	.AMDGPU.csdata,"",@progbits
; Kernel info:
; codeLenInByte = 0
; TotalNumSgprs: 0
; NumVgprs: 0
; ScratchSize: 0
; MemoryBound: 0
; FloatMode: 240
; IeeeMode: 1
; LDSByteSize: 0 bytes/workgroup (compile time only)
; SGPRBlocks: 0
; VGPRBlocks: 0
; NumSGPRsForWavesPerEU: 1
; NumVGPRsForWavesPerEU: 1
; Occupancy: 16
; WaveLimiterHint : 0
; COMPUTE_PGM_RSRC2:SCRATCH_EN: 0
; COMPUTE_PGM_RSRC2:USER_SGPR: 2
; COMPUTE_PGM_RSRC2:TRAP_HANDLER: 0
; COMPUTE_PGM_RSRC2:TGID_X_EN: 1
; COMPUTE_PGM_RSRC2:TGID_Y_EN: 0
; COMPUTE_PGM_RSRC2:TGID_Z_EN: 0
; COMPUTE_PGM_RSRC2:TIDIG_COMP_CNT: 0
	.section	.text._ZN7rocprim17ROCPRIM_400000_NS6detail17trampoline_kernelINS0_13select_configILj256ELj13ELNS0_17block_load_methodE3ELS4_3ELS4_3ELNS0_20block_scan_algorithmE0ELj4294967295EEENS1_25partition_config_selectorILNS1_17partition_subalgoE4EjNS0_10empty_typeEbEEZZNS1_14partition_implILS8_4ELb0ES6_15HIP_vector_typeIjLj2EENS0_17counting_iteratorIjlEEPS9_SG_NS0_5tupleIJPjSI_NS0_16reverse_iteratorISI_EEEEENSH_IJSG_SG_SG_EEES9_SI_JZNS1_25segmented_radix_sort_implINS0_14default_configELb0EPKfPfPKlPlN2at6native12_GLOBAL__N_18offset_tEEE10hipError_tPvRmT1_PNSt15iterator_traitsIS12_E10value_typeET2_T3_PNS13_IS18_E10value_typeET4_jRbjT5_S1E_jjP12ihipStream_tbEUljE_ZNSN_ISO_Lb0ESQ_SR_ST_SU_SY_EESZ_S10_S11_S12_S16_S17_S18_S1B_S1C_jS1D_jS1E_S1E_jjS1G_bEUljE0_EEESZ_S10_S11_S18_S1C_S1E_T6_T7_T9_mT8_S1G_bDpT10_ENKUlT_T0_E_clISt17integral_constantIbLb0EES1T_IbLb1EEEEDaS1P_S1Q_EUlS1P_E_NS1_11comp_targetILNS1_3genE3ELNS1_11target_archE908ELNS1_3gpuE7ELNS1_3repE0EEENS1_30default_config_static_selectorELNS0_4arch9wavefront6targetE0EEEvS12_,"axG",@progbits,_ZN7rocprim17ROCPRIM_400000_NS6detail17trampoline_kernelINS0_13select_configILj256ELj13ELNS0_17block_load_methodE3ELS4_3ELS4_3ELNS0_20block_scan_algorithmE0ELj4294967295EEENS1_25partition_config_selectorILNS1_17partition_subalgoE4EjNS0_10empty_typeEbEEZZNS1_14partition_implILS8_4ELb0ES6_15HIP_vector_typeIjLj2EENS0_17counting_iteratorIjlEEPS9_SG_NS0_5tupleIJPjSI_NS0_16reverse_iteratorISI_EEEEENSH_IJSG_SG_SG_EEES9_SI_JZNS1_25segmented_radix_sort_implINS0_14default_configELb0EPKfPfPKlPlN2at6native12_GLOBAL__N_18offset_tEEE10hipError_tPvRmT1_PNSt15iterator_traitsIS12_E10value_typeET2_T3_PNS13_IS18_E10value_typeET4_jRbjT5_S1E_jjP12ihipStream_tbEUljE_ZNSN_ISO_Lb0ESQ_SR_ST_SU_SY_EESZ_S10_S11_S12_S16_S17_S18_S1B_S1C_jS1D_jS1E_S1E_jjS1G_bEUljE0_EEESZ_S10_S11_S18_S1C_S1E_T6_T7_T9_mT8_S1G_bDpT10_ENKUlT_T0_E_clISt17integral_constantIbLb0EES1T_IbLb1EEEEDaS1P_S1Q_EUlS1P_E_NS1_11comp_targetILNS1_3genE3ELNS1_11target_archE908ELNS1_3gpuE7ELNS1_3repE0EEENS1_30default_config_static_selectorELNS0_4arch9wavefront6targetE0EEEvS12_,comdat
	.globl	_ZN7rocprim17ROCPRIM_400000_NS6detail17trampoline_kernelINS0_13select_configILj256ELj13ELNS0_17block_load_methodE3ELS4_3ELS4_3ELNS0_20block_scan_algorithmE0ELj4294967295EEENS1_25partition_config_selectorILNS1_17partition_subalgoE4EjNS0_10empty_typeEbEEZZNS1_14partition_implILS8_4ELb0ES6_15HIP_vector_typeIjLj2EENS0_17counting_iteratorIjlEEPS9_SG_NS0_5tupleIJPjSI_NS0_16reverse_iteratorISI_EEEEENSH_IJSG_SG_SG_EEES9_SI_JZNS1_25segmented_radix_sort_implINS0_14default_configELb0EPKfPfPKlPlN2at6native12_GLOBAL__N_18offset_tEEE10hipError_tPvRmT1_PNSt15iterator_traitsIS12_E10value_typeET2_T3_PNS13_IS18_E10value_typeET4_jRbjT5_S1E_jjP12ihipStream_tbEUljE_ZNSN_ISO_Lb0ESQ_SR_ST_SU_SY_EESZ_S10_S11_S12_S16_S17_S18_S1B_S1C_jS1D_jS1E_S1E_jjS1G_bEUljE0_EEESZ_S10_S11_S18_S1C_S1E_T6_T7_T9_mT8_S1G_bDpT10_ENKUlT_T0_E_clISt17integral_constantIbLb0EES1T_IbLb1EEEEDaS1P_S1Q_EUlS1P_E_NS1_11comp_targetILNS1_3genE3ELNS1_11target_archE908ELNS1_3gpuE7ELNS1_3repE0EEENS1_30default_config_static_selectorELNS0_4arch9wavefront6targetE0EEEvS12_ ; -- Begin function _ZN7rocprim17ROCPRIM_400000_NS6detail17trampoline_kernelINS0_13select_configILj256ELj13ELNS0_17block_load_methodE3ELS4_3ELS4_3ELNS0_20block_scan_algorithmE0ELj4294967295EEENS1_25partition_config_selectorILNS1_17partition_subalgoE4EjNS0_10empty_typeEbEEZZNS1_14partition_implILS8_4ELb0ES6_15HIP_vector_typeIjLj2EENS0_17counting_iteratorIjlEEPS9_SG_NS0_5tupleIJPjSI_NS0_16reverse_iteratorISI_EEEEENSH_IJSG_SG_SG_EEES9_SI_JZNS1_25segmented_radix_sort_implINS0_14default_configELb0EPKfPfPKlPlN2at6native12_GLOBAL__N_18offset_tEEE10hipError_tPvRmT1_PNSt15iterator_traitsIS12_E10value_typeET2_T3_PNS13_IS18_E10value_typeET4_jRbjT5_S1E_jjP12ihipStream_tbEUljE_ZNSN_ISO_Lb0ESQ_SR_ST_SU_SY_EESZ_S10_S11_S12_S16_S17_S18_S1B_S1C_jS1D_jS1E_S1E_jjS1G_bEUljE0_EEESZ_S10_S11_S18_S1C_S1E_T6_T7_T9_mT8_S1G_bDpT10_ENKUlT_T0_E_clISt17integral_constantIbLb0EES1T_IbLb1EEEEDaS1P_S1Q_EUlS1P_E_NS1_11comp_targetILNS1_3genE3ELNS1_11target_archE908ELNS1_3gpuE7ELNS1_3repE0EEENS1_30default_config_static_selectorELNS0_4arch9wavefront6targetE0EEEvS12_
	.p2align	8
	.type	_ZN7rocprim17ROCPRIM_400000_NS6detail17trampoline_kernelINS0_13select_configILj256ELj13ELNS0_17block_load_methodE3ELS4_3ELS4_3ELNS0_20block_scan_algorithmE0ELj4294967295EEENS1_25partition_config_selectorILNS1_17partition_subalgoE4EjNS0_10empty_typeEbEEZZNS1_14partition_implILS8_4ELb0ES6_15HIP_vector_typeIjLj2EENS0_17counting_iteratorIjlEEPS9_SG_NS0_5tupleIJPjSI_NS0_16reverse_iteratorISI_EEEEENSH_IJSG_SG_SG_EEES9_SI_JZNS1_25segmented_radix_sort_implINS0_14default_configELb0EPKfPfPKlPlN2at6native12_GLOBAL__N_18offset_tEEE10hipError_tPvRmT1_PNSt15iterator_traitsIS12_E10value_typeET2_T3_PNS13_IS18_E10value_typeET4_jRbjT5_S1E_jjP12ihipStream_tbEUljE_ZNSN_ISO_Lb0ESQ_SR_ST_SU_SY_EESZ_S10_S11_S12_S16_S17_S18_S1B_S1C_jS1D_jS1E_S1E_jjS1G_bEUljE0_EEESZ_S10_S11_S18_S1C_S1E_T6_T7_T9_mT8_S1G_bDpT10_ENKUlT_T0_E_clISt17integral_constantIbLb0EES1T_IbLb1EEEEDaS1P_S1Q_EUlS1P_E_NS1_11comp_targetILNS1_3genE3ELNS1_11target_archE908ELNS1_3gpuE7ELNS1_3repE0EEENS1_30default_config_static_selectorELNS0_4arch9wavefront6targetE0EEEvS12_,@function
_ZN7rocprim17ROCPRIM_400000_NS6detail17trampoline_kernelINS0_13select_configILj256ELj13ELNS0_17block_load_methodE3ELS4_3ELS4_3ELNS0_20block_scan_algorithmE0ELj4294967295EEENS1_25partition_config_selectorILNS1_17partition_subalgoE4EjNS0_10empty_typeEbEEZZNS1_14partition_implILS8_4ELb0ES6_15HIP_vector_typeIjLj2EENS0_17counting_iteratorIjlEEPS9_SG_NS0_5tupleIJPjSI_NS0_16reverse_iteratorISI_EEEEENSH_IJSG_SG_SG_EEES9_SI_JZNS1_25segmented_radix_sort_implINS0_14default_configELb0EPKfPfPKlPlN2at6native12_GLOBAL__N_18offset_tEEE10hipError_tPvRmT1_PNSt15iterator_traitsIS12_E10value_typeET2_T3_PNS13_IS18_E10value_typeET4_jRbjT5_S1E_jjP12ihipStream_tbEUljE_ZNSN_ISO_Lb0ESQ_SR_ST_SU_SY_EESZ_S10_S11_S12_S16_S17_S18_S1B_S1C_jS1D_jS1E_S1E_jjS1G_bEUljE0_EEESZ_S10_S11_S18_S1C_S1E_T6_T7_T9_mT8_S1G_bDpT10_ENKUlT_T0_E_clISt17integral_constantIbLb0EES1T_IbLb1EEEEDaS1P_S1Q_EUlS1P_E_NS1_11comp_targetILNS1_3genE3ELNS1_11target_archE908ELNS1_3gpuE7ELNS1_3repE0EEENS1_30default_config_static_selectorELNS0_4arch9wavefront6targetE0EEEvS12_: ; @_ZN7rocprim17ROCPRIM_400000_NS6detail17trampoline_kernelINS0_13select_configILj256ELj13ELNS0_17block_load_methodE3ELS4_3ELS4_3ELNS0_20block_scan_algorithmE0ELj4294967295EEENS1_25partition_config_selectorILNS1_17partition_subalgoE4EjNS0_10empty_typeEbEEZZNS1_14partition_implILS8_4ELb0ES6_15HIP_vector_typeIjLj2EENS0_17counting_iteratorIjlEEPS9_SG_NS0_5tupleIJPjSI_NS0_16reverse_iteratorISI_EEEEENSH_IJSG_SG_SG_EEES9_SI_JZNS1_25segmented_radix_sort_implINS0_14default_configELb0EPKfPfPKlPlN2at6native12_GLOBAL__N_18offset_tEEE10hipError_tPvRmT1_PNSt15iterator_traitsIS12_E10value_typeET2_T3_PNS13_IS18_E10value_typeET4_jRbjT5_S1E_jjP12ihipStream_tbEUljE_ZNSN_ISO_Lb0ESQ_SR_ST_SU_SY_EESZ_S10_S11_S12_S16_S17_S18_S1B_S1C_jS1D_jS1E_S1E_jjS1G_bEUljE0_EEESZ_S10_S11_S18_S1C_S1E_T6_T7_T9_mT8_S1G_bDpT10_ENKUlT_T0_E_clISt17integral_constantIbLb0EES1T_IbLb1EEEEDaS1P_S1Q_EUlS1P_E_NS1_11comp_targetILNS1_3genE3ELNS1_11target_archE908ELNS1_3gpuE7ELNS1_3repE0EEENS1_30default_config_static_selectorELNS0_4arch9wavefront6targetE0EEEvS12_
; %bb.0:
	.section	.rodata,"a",@progbits
	.p2align	6, 0x0
	.amdhsa_kernel _ZN7rocprim17ROCPRIM_400000_NS6detail17trampoline_kernelINS0_13select_configILj256ELj13ELNS0_17block_load_methodE3ELS4_3ELS4_3ELNS0_20block_scan_algorithmE0ELj4294967295EEENS1_25partition_config_selectorILNS1_17partition_subalgoE4EjNS0_10empty_typeEbEEZZNS1_14partition_implILS8_4ELb0ES6_15HIP_vector_typeIjLj2EENS0_17counting_iteratorIjlEEPS9_SG_NS0_5tupleIJPjSI_NS0_16reverse_iteratorISI_EEEEENSH_IJSG_SG_SG_EEES9_SI_JZNS1_25segmented_radix_sort_implINS0_14default_configELb0EPKfPfPKlPlN2at6native12_GLOBAL__N_18offset_tEEE10hipError_tPvRmT1_PNSt15iterator_traitsIS12_E10value_typeET2_T3_PNS13_IS18_E10value_typeET4_jRbjT5_S1E_jjP12ihipStream_tbEUljE_ZNSN_ISO_Lb0ESQ_SR_ST_SU_SY_EESZ_S10_S11_S12_S16_S17_S18_S1B_S1C_jS1D_jS1E_S1E_jjS1G_bEUljE0_EEESZ_S10_S11_S18_S1C_S1E_T6_T7_T9_mT8_S1G_bDpT10_ENKUlT_T0_E_clISt17integral_constantIbLb0EES1T_IbLb1EEEEDaS1P_S1Q_EUlS1P_E_NS1_11comp_targetILNS1_3genE3ELNS1_11target_archE908ELNS1_3gpuE7ELNS1_3repE0EEENS1_30default_config_static_selectorELNS0_4arch9wavefront6targetE0EEEvS12_
		.amdhsa_group_segment_fixed_size 0
		.amdhsa_private_segment_fixed_size 0
		.amdhsa_kernarg_size 184
		.amdhsa_user_sgpr_count 2
		.amdhsa_user_sgpr_dispatch_ptr 0
		.amdhsa_user_sgpr_queue_ptr 0
		.amdhsa_user_sgpr_kernarg_segment_ptr 1
		.amdhsa_user_sgpr_dispatch_id 0
		.amdhsa_user_sgpr_private_segment_size 0
		.amdhsa_wavefront_size32 1
		.amdhsa_uses_dynamic_stack 0
		.amdhsa_enable_private_segment 0
		.amdhsa_system_sgpr_workgroup_id_x 1
		.amdhsa_system_sgpr_workgroup_id_y 0
		.amdhsa_system_sgpr_workgroup_id_z 0
		.amdhsa_system_sgpr_workgroup_info 0
		.amdhsa_system_vgpr_workitem_id 0
		.amdhsa_next_free_vgpr 1
		.amdhsa_next_free_sgpr 1
		.amdhsa_reserve_vcc 0
		.amdhsa_float_round_mode_32 0
		.amdhsa_float_round_mode_16_64 0
		.amdhsa_float_denorm_mode_32 3
		.amdhsa_float_denorm_mode_16_64 3
		.amdhsa_fp16_overflow 0
		.amdhsa_workgroup_processor_mode 1
		.amdhsa_memory_ordered 1
		.amdhsa_forward_progress 1
		.amdhsa_inst_pref_size 0
		.amdhsa_round_robin_scheduling 0
		.amdhsa_exception_fp_ieee_invalid_op 0
		.amdhsa_exception_fp_denorm_src 0
		.amdhsa_exception_fp_ieee_div_zero 0
		.amdhsa_exception_fp_ieee_overflow 0
		.amdhsa_exception_fp_ieee_underflow 0
		.amdhsa_exception_fp_ieee_inexact 0
		.amdhsa_exception_int_div_zero 0
	.end_amdhsa_kernel
	.section	.text._ZN7rocprim17ROCPRIM_400000_NS6detail17trampoline_kernelINS0_13select_configILj256ELj13ELNS0_17block_load_methodE3ELS4_3ELS4_3ELNS0_20block_scan_algorithmE0ELj4294967295EEENS1_25partition_config_selectorILNS1_17partition_subalgoE4EjNS0_10empty_typeEbEEZZNS1_14partition_implILS8_4ELb0ES6_15HIP_vector_typeIjLj2EENS0_17counting_iteratorIjlEEPS9_SG_NS0_5tupleIJPjSI_NS0_16reverse_iteratorISI_EEEEENSH_IJSG_SG_SG_EEES9_SI_JZNS1_25segmented_radix_sort_implINS0_14default_configELb0EPKfPfPKlPlN2at6native12_GLOBAL__N_18offset_tEEE10hipError_tPvRmT1_PNSt15iterator_traitsIS12_E10value_typeET2_T3_PNS13_IS18_E10value_typeET4_jRbjT5_S1E_jjP12ihipStream_tbEUljE_ZNSN_ISO_Lb0ESQ_SR_ST_SU_SY_EESZ_S10_S11_S12_S16_S17_S18_S1B_S1C_jS1D_jS1E_S1E_jjS1G_bEUljE0_EEESZ_S10_S11_S18_S1C_S1E_T6_T7_T9_mT8_S1G_bDpT10_ENKUlT_T0_E_clISt17integral_constantIbLb0EES1T_IbLb1EEEEDaS1P_S1Q_EUlS1P_E_NS1_11comp_targetILNS1_3genE3ELNS1_11target_archE908ELNS1_3gpuE7ELNS1_3repE0EEENS1_30default_config_static_selectorELNS0_4arch9wavefront6targetE0EEEvS12_,"axG",@progbits,_ZN7rocprim17ROCPRIM_400000_NS6detail17trampoline_kernelINS0_13select_configILj256ELj13ELNS0_17block_load_methodE3ELS4_3ELS4_3ELNS0_20block_scan_algorithmE0ELj4294967295EEENS1_25partition_config_selectorILNS1_17partition_subalgoE4EjNS0_10empty_typeEbEEZZNS1_14partition_implILS8_4ELb0ES6_15HIP_vector_typeIjLj2EENS0_17counting_iteratorIjlEEPS9_SG_NS0_5tupleIJPjSI_NS0_16reverse_iteratorISI_EEEEENSH_IJSG_SG_SG_EEES9_SI_JZNS1_25segmented_radix_sort_implINS0_14default_configELb0EPKfPfPKlPlN2at6native12_GLOBAL__N_18offset_tEEE10hipError_tPvRmT1_PNSt15iterator_traitsIS12_E10value_typeET2_T3_PNS13_IS18_E10value_typeET4_jRbjT5_S1E_jjP12ihipStream_tbEUljE_ZNSN_ISO_Lb0ESQ_SR_ST_SU_SY_EESZ_S10_S11_S12_S16_S17_S18_S1B_S1C_jS1D_jS1E_S1E_jjS1G_bEUljE0_EEESZ_S10_S11_S18_S1C_S1E_T6_T7_T9_mT8_S1G_bDpT10_ENKUlT_T0_E_clISt17integral_constantIbLb0EES1T_IbLb1EEEEDaS1P_S1Q_EUlS1P_E_NS1_11comp_targetILNS1_3genE3ELNS1_11target_archE908ELNS1_3gpuE7ELNS1_3repE0EEENS1_30default_config_static_selectorELNS0_4arch9wavefront6targetE0EEEvS12_,comdat
.Lfunc_end1391:
	.size	_ZN7rocprim17ROCPRIM_400000_NS6detail17trampoline_kernelINS0_13select_configILj256ELj13ELNS0_17block_load_methodE3ELS4_3ELS4_3ELNS0_20block_scan_algorithmE0ELj4294967295EEENS1_25partition_config_selectorILNS1_17partition_subalgoE4EjNS0_10empty_typeEbEEZZNS1_14partition_implILS8_4ELb0ES6_15HIP_vector_typeIjLj2EENS0_17counting_iteratorIjlEEPS9_SG_NS0_5tupleIJPjSI_NS0_16reverse_iteratorISI_EEEEENSH_IJSG_SG_SG_EEES9_SI_JZNS1_25segmented_radix_sort_implINS0_14default_configELb0EPKfPfPKlPlN2at6native12_GLOBAL__N_18offset_tEEE10hipError_tPvRmT1_PNSt15iterator_traitsIS12_E10value_typeET2_T3_PNS13_IS18_E10value_typeET4_jRbjT5_S1E_jjP12ihipStream_tbEUljE_ZNSN_ISO_Lb0ESQ_SR_ST_SU_SY_EESZ_S10_S11_S12_S16_S17_S18_S1B_S1C_jS1D_jS1E_S1E_jjS1G_bEUljE0_EEESZ_S10_S11_S18_S1C_S1E_T6_T7_T9_mT8_S1G_bDpT10_ENKUlT_T0_E_clISt17integral_constantIbLb0EES1T_IbLb1EEEEDaS1P_S1Q_EUlS1P_E_NS1_11comp_targetILNS1_3genE3ELNS1_11target_archE908ELNS1_3gpuE7ELNS1_3repE0EEENS1_30default_config_static_selectorELNS0_4arch9wavefront6targetE0EEEvS12_, .Lfunc_end1391-_ZN7rocprim17ROCPRIM_400000_NS6detail17trampoline_kernelINS0_13select_configILj256ELj13ELNS0_17block_load_methodE3ELS4_3ELS4_3ELNS0_20block_scan_algorithmE0ELj4294967295EEENS1_25partition_config_selectorILNS1_17partition_subalgoE4EjNS0_10empty_typeEbEEZZNS1_14partition_implILS8_4ELb0ES6_15HIP_vector_typeIjLj2EENS0_17counting_iteratorIjlEEPS9_SG_NS0_5tupleIJPjSI_NS0_16reverse_iteratorISI_EEEEENSH_IJSG_SG_SG_EEES9_SI_JZNS1_25segmented_radix_sort_implINS0_14default_configELb0EPKfPfPKlPlN2at6native12_GLOBAL__N_18offset_tEEE10hipError_tPvRmT1_PNSt15iterator_traitsIS12_E10value_typeET2_T3_PNS13_IS18_E10value_typeET4_jRbjT5_S1E_jjP12ihipStream_tbEUljE_ZNSN_ISO_Lb0ESQ_SR_ST_SU_SY_EESZ_S10_S11_S12_S16_S17_S18_S1B_S1C_jS1D_jS1E_S1E_jjS1G_bEUljE0_EEESZ_S10_S11_S18_S1C_S1E_T6_T7_T9_mT8_S1G_bDpT10_ENKUlT_T0_E_clISt17integral_constantIbLb0EES1T_IbLb1EEEEDaS1P_S1Q_EUlS1P_E_NS1_11comp_targetILNS1_3genE3ELNS1_11target_archE908ELNS1_3gpuE7ELNS1_3repE0EEENS1_30default_config_static_selectorELNS0_4arch9wavefront6targetE0EEEvS12_
                                        ; -- End function
	.set _ZN7rocprim17ROCPRIM_400000_NS6detail17trampoline_kernelINS0_13select_configILj256ELj13ELNS0_17block_load_methodE3ELS4_3ELS4_3ELNS0_20block_scan_algorithmE0ELj4294967295EEENS1_25partition_config_selectorILNS1_17partition_subalgoE4EjNS0_10empty_typeEbEEZZNS1_14partition_implILS8_4ELb0ES6_15HIP_vector_typeIjLj2EENS0_17counting_iteratorIjlEEPS9_SG_NS0_5tupleIJPjSI_NS0_16reverse_iteratorISI_EEEEENSH_IJSG_SG_SG_EEES9_SI_JZNS1_25segmented_radix_sort_implINS0_14default_configELb0EPKfPfPKlPlN2at6native12_GLOBAL__N_18offset_tEEE10hipError_tPvRmT1_PNSt15iterator_traitsIS12_E10value_typeET2_T3_PNS13_IS18_E10value_typeET4_jRbjT5_S1E_jjP12ihipStream_tbEUljE_ZNSN_ISO_Lb0ESQ_SR_ST_SU_SY_EESZ_S10_S11_S12_S16_S17_S18_S1B_S1C_jS1D_jS1E_S1E_jjS1G_bEUljE0_EEESZ_S10_S11_S18_S1C_S1E_T6_T7_T9_mT8_S1G_bDpT10_ENKUlT_T0_E_clISt17integral_constantIbLb0EES1T_IbLb1EEEEDaS1P_S1Q_EUlS1P_E_NS1_11comp_targetILNS1_3genE3ELNS1_11target_archE908ELNS1_3gpuE7ELNS1_3repE0EEENS1_30default_config_static_selectorELNS0_4arch9wavefront6targetE0EEEvS12_.num_vgpr, 0
	.set _ZN7rocprim17ROCPRIM_400000_NS6detail17trampoline_kernelINS0_13select_configILj256ELj13ELNS0_17block_load_methodE3ELS4_3ELS4_3ELNS0_20block_scan_algorithmE0ELj4294967295EEENS1_25partition_config_selectorILNS1_17partition_subalgoE4EjNS0_10empty_typeEbEEZZNS1_14partition_implILS8_4ELb0ES6_15HIP_vector_typeIjLj2EENS0_17counting_iteratorIjlEEPS9_SG_NS0_5tupleIJPjSI_NS0_16reverse_iteratorISI_EEEEENSH_IJSG_SG_SG_EEES9_SI_JZNS1_25segmented_radix_sort_implINS0_14default_configELb0EPKfPfPKlPlN2at6native12_GLOBAL__N_18offset_tEEE10hipError_tPvRmT1_PNSt15iterator_traitsIS12_E10value_typeET2_T3_PNS13_IS18_E10value_typeET4_jRbjT5_S1E_jjP12ihipStream_tbEUljE_ZNSN_ISO_Lb0ESQ_SR_ST_SU_SY_EESZ_S10_S11_S12_S16_S17_S18_S1B_S1C_jS1D_jS1E_S1E_jjS1G_bEUljE0_EEESZ_S10_S11_S18_S1C_S1E_T6_T7_T9_mT8_S1G_bDpT10_ENKUlT_T0_E_clISt17integral_constantIbLb0EES1T_IbLb1EEEEDaS1P_S1Q_EUlS1P_E_NS1_11comp_targetILNS1_3genE3ELNS1_11target_archE908ELNS1_3gpuE7ELNS1_3repE0EEENS1_30default_config_static_selectorELNS0_4arch9wavefront6targetE0EEEvS12_.num_agpr, 0
	.set _ZN7rocprim17ROCPRIM_400000_NS6detail17trampoline_kernelINS0_13select_configILj256ELj13ELNS0_17block_load_methodE3ELS4_3ELS4_3ELNS0_20block_scan_algorithmE0ELj4294967295EEENS1_25partition_config_selectorILNS1_17partition_subalgoE4EjNS0_10empty_typeEbEEZZNS1_14partition_implILS8_4ELb0ES6_15HIP_vector_typeIjLj2EENS0_17counting_iteratorIjlEEPS9_SG_NS0_5tupleIJPjSI_NS0_16reverse_iteratorISI_EEEEENSH_IJSG_SG_SG_EEES9_SI_JZNS1_25segmented_radix_sort_implINS0_14default_configELb0EPKfPfPKlPlN2at6native12_GLOBAL__N_18offset_tEEE10hipError_tPvRmT1_PNSt15iterator_traitsIS12_E10value_typeET2_T3_PNS13_IS18_E10value_typeET4_jRbjT5_S1E_jjP12ihipStream_tbEUljE_ZNSN_ISO_Lb0ESQ_SR_ST_SU_SY_EESZ_S10_S11_S12_S16_S17_S18_S1B_S1C_jS1D_jS1E_S1E_jjS1G_bEUljE0_EEESZ_S10_S11_S18_S1C_S1E_T6_T7_T9_mT8_S1G_bDpT10_ENKUlT_T0_E_clISt17integral_constantIbLb0EES1T_IbLb1EEEEDaS1P_S1Q_EUlS1P_E_NS1_11comp_targetILNS1_3genE3ELNS1_11target_archE908ELNS1_3gpuE7ELNS1_3repE0EEENS1_30default_config_static_selectorELNS0_4arch9wavefront6targetE0EEEvS12_.numbered_sgpr, 0
	.set _ZN7rocprim17ROCPRIM_400000_NS6detail17trampoline_kernelINS0_13select_configILj256ELj13ELNS0_17block_load_methodE3ELS4_3ELS4_3ELNS0_20block_scan_algorithmE0ELj4294967295EEENS1_25partition_config_selectorILNS1_17partition_subalgoE4EjNS0_10empty_typeEbEEZZNS1_14partition_implILS8_4ELb0ES6_15HIP_vector_typeIjLj2EENS0_17counting_iteratorIjlEEPS9_SG_NS0_5tupleIJPjSI_NS0_16reverse_iteratorISI_EEEEENSH_IJSG_SG_SG_EEES9_SI_JZNS1_25segmented_radix_sort_implINS0_14default_configELb0EPKfPfPKlPlN2at6native12_GLOBAL__N_18offset_tEEE10hipError_tPvRmT1_PNSt15iterator_traitsIS12_E10value_typeET2_T3_PNS13_IS18_E10value_typeET4_jRbjT5_S1E_jjP12ihipStream_tbEUljE_ZNSN_ISO_Lb0ESQ_SR_ST_SU_SY_EESZ_S10_S11_S12_S16_S17_S18_S1B_S1C_jS1D_jS1E_S1E_jjS1G_bEUljE0_EEESZ_S10_S11_S18_S1C_S1E_T6_T7_T9_mT8_S1G_bDpT10_ENKUlT_T0_E_clISt17integral_constantIbLb0EES1T_IbLb1EEEEDaS1P_S1Q_EUlS1P_E_NS1_11comp_targetILNS1_3genE3ELNS1_11target_archE908ELNS1_3gpuE7ELNS1_3repE0EEENS1_30default_config_static_selectorELNS0_4arch9wavefront6targetE0EEEvS12_.num_named_barrier, 0
	.set _ZN7rocprim17ROCPRIM_400000_NS6detail17trampoline_kernelINS0_13select_configILj256ELj13ELNS0_17block_load_methodE3ELS4_3ELS4_3ELNS0_20block_scan_algorithmE0ELj4294967295EEENS1_25partition_config_selectorILNS1_17partition_subalgoE4EjNS0_10empty_typeEbEEZZNS1_14partition_implILS8_4ELb0ES6_15HIP_vector_typeIjLj2EENS0_17counting_iteratorIjlEEPS9_SG_NS0_5tupleIJPjSI_NS0_16reverse_iteratorISI_EEEEENSH_IJSG_SG_SG_EEES9_SI_JZNS1_25segmented_radix_sort_implINS0_14default_configELb0EPKfPfPKlPlN2at6native12_GLOBAL__N_18offset_tEEE10hipError_tPvRmT1_PNSt15iterator_traitsIS12_E10value_typeET2_T3_PNS13_IS18_E10value_typeET4_jRbjT5_S1E_jjP12ihipStream_tbEUljE_ZNSN_ISO_Lb0ESQ_SR_ST_SU_SY_EESZ_S10_S11_S12_S16_S17_S18_S1B_S1C_jS1D_jS1E_S1E_jjS1G_bEUljE0_EEESZ_S10_S11_S18_S1C_S1E_T6_T7_T9_mT8_S1G_bDpT10_ENKUlT_T0_E_clISt17integral_constantIbLb0EES1T_IbLb1EEEEDaS1P_S1Q_EUlS1P_E_NS1_11comp_targetILNS1_3genE3ELNS1_11target_archE908ELNS1_3gpuE7ELNS1_3repE0EEENS1_30default_config_static_selectorELNS0_4arch9wavefront6targetE0EEEvS12_.private_seg_size, 0
	.set _ZN7rocprim17ROCPRIM_400000_NS6detail17trampoline_kernelINS0_13select_configILj256ELj13ELNS0_17block_load_methodE3ELS4_3ELS4_3ELNS0_20block_scan_algorithmE0ELj4294967295EEENS1_25partition_config_selectorILNS1_17partition_subalgoE4EjNS0_10empty_typeEbEEZZNS1_14partition_implILS8_4ELb0ES6_15HIP_vector_typeIjLj2EENS0_17counting_iteratorIjlEEPS9_SG_NS0_5tupleIJPjSI_NS0_16reverse_iteratorISI_EEEEENSH_IJSG_SG_SG_EEES9_SI_JZNS1_25segmented_radix_sort_implINS0_14default_configELb0EPKfPfPKlPlN2at6native12_GLOBAL__N_18offset_tEEE10hipError_tPvRmT1_PNSt15iterator_traitsIS12_E10value_typeET2_T3_PNS13_IS18_E10value_typeET4_jRbjT5_S1E_jjP12ihipStream_tbEUljE_ZNSN_ISO_Lb0ESQ_SR_ST_SU_SY_EESZ_S10_S11_S12_S16_S17_S18_S1B_S1C_jS1D_jS1E_S1E_jjS1G_bEUljE0_EEESZ_S10_S11_S18_S1C_S1E_T6_T7_T9_mT8_S1G_bDpT10_ENKUlT_T0_E_clISt17integral_constantIbLb0EES1T_IbLb1EEEEDaS1P_S1Q_EUlS1P_E_NS1_11comp_targetILNS1_3genE3ELNS1_11target_archE908ELNS1_3gpuE7ELNS1_3repE0EEENS1_30default_config_static_selectorELNS0_4arch9wavefront6targetE0EEEvS12_.uses_vcc, 0
	.set _ZN7rocprim17ROCPRIM_400000_NS6detail17trampoline_kernelINS0_13select_configILj256ELj13ELNS0_17block_load_methodE3ELS4_3ELS4_3ELNS0_20block_scan_algorithmE0ELj4294967295EEENS1_25partition_config_selectorILNS1_17partition_subalgoE4EjNS0_10empty_typeEbEEZZNS1_14partition_implILS8_4ELb0ES6_15HIP_vector_typeIjLj2EENS0_17counting_iteratorIjlEEPS9_SG_NS0_5tupleIJPjSI_NS0_16reverse_iteratorISI_EEEEENSH_IJSG_SG_SG_EEES9_SI_JZNS1_25segmented_radix_sort_implINS0_14default_configELb0EPKfPfPKlPlN2at6native12_GLOBAL__N_18offset_tEEE10hipError_tPvRmT1_PNSt15iterator_traitsIS12_E10value_typeET2_T3_PNS13_IS18_E10value_typeET4_jRbjT5_S1E_jjP12ihipStream_tbEUljE_ZNSN_ISO_Lb0ESQ_SR_ST_SU_SY_EESZ_S10_S11_S12_S16_S17_S18_S1B_S1C_jS1D_jS1E_S1E_jjS1G_bEUljE0_EEESZ_S10_S11_S18_S1C_S1E_T6_T7_T9_mT8_S1G_bDpT10_ENKUlT_T0_E_clISt17integral_constantIbLb0EES1T_IbLb1EEEEDaS1P_S1Q_EUlS1P_E_NS1_11comp_targetILNS1_3genE3ELNS1_11target_archE908ELNS1_3gpuE7ELNS1_3repE0EEENS1_30default_config_static_selectorELNS0_4arch9wavefront6targetE0EEEvS12_.uses_flat_scratch, 0
	.set _ZN7rocprim17ROCPRIM_400000_NS6detail17trampoline_kernelINS0_13select_configILj256ELj13ELNS0_17block_load_methodE3ELS4_3ELS4_3ELNS0_20block_scan_algorithmE0ELj4294967295EEENS1_25partition_config_selectorILNS1_17partition_subalgoE4EjNS0_10empty_typeEbEEZZNS1_14partition_implILS8_4ELb0ES6_15HIP_vector_typeIjLj2EENS0_17counting_iteratorIjlEEPS9_SG_NS0_5tupleIJPjSI_NS0_16reverse_iteratorISI_EEEEENSH_IJSG_SG_SG_EEES9_SI_JZNS1_25segmented_radix_sort_implINS0_14default_configELb0EPKfPfPKlPlN2at6native12_GLOBAL__N_18offset_tEEE10hipError_tPvRmT1_PNSt15iterator_traitsIS12_E10value_typeET2_T3_PNS13_IS18_E10value_typeET4_jRbjT5_S1E_jjP12ihipStream_tbEUljE_ZNSN_ISO_Lb0ESQ_SR_ST_SU_SY_EESZ_S10_S11_S12_S16_S17_S18_S1B_S1C_jS1D_jS1E_S1E_jjS1G_bEUljE0_EEESZ_S10_S11_S18_S1C_S1E_T6_T7_T9_mT8_S1G_bDpT10_ENKUlT_T0_E_clISt17integral_constantIbLb0EES1T_IbLb1EEEEDaS1P_S1Q_EUlS1P_E_NS1_11comp_targetILNS1_3genE3ELNS1_11target_archE908ELNS1_3gpuE7ELNS1_3repE0EEENS1_30default_config_static_selectorELNS0_4arch9wavefront6targetE0EEEvS12_.has_dyn_sized_stack, 0
	.set _ZN7rocprim17ROCPRIM_400000_NS6detail17trampoline_kernelINS0_13select_configILj256ELj13ELNS0_17block_load_methodE3ELS4_3ELS4_3ELNS0_20block_scan_algorithmE0ELj4294967295EEENS1_25partition_config_selectorILNS1_17partition_subalgoE4EjNS0_10empty_typeEbEEZZNS1_14partition_implILS8_4ELb0ES6_15HIP_vector_typeIjLj2EENS0_17counting_iteratorIjlEEPS9_SG_NS0_5tupleIJPjSI_NS0_16reverse_iteratorISI_EEEEENSH_IJSG_SG_SG_EEES9_SI_JZNS1_25segmented_radix_sort_implINS0_14default_configELb0EPKfPfPKlPlN2at6native12_GLOBAL__N_18offset_tEEE10hipError_tPvRmT1_PNSt15iterator_traitsIS12_E10value_typeET2_T3_PNS13_IS18_E10value_typeET4_jRbjT5_S1E_jjP12ihipStream_tbEUljE_ZNSN_ISO_Lb0ESQ_SR_ST_SU_SY_EESZ_S10_S11_S12_S16_S17_S18_S1B_S1C_jS1D_jS1E_S1E_jjS1G_bEUljE0_EEESZ_S10_S11_S18_S1C_S1E_T6_T7_T9_mT8_S1G_bDpT10_ENKUlT_T0_E_clISt17integral_constantIbLb0EES1T_IbLb1EEEEDaS1P_S1Q_EUlS1P_E_NS1_11comp_targetILNS1_3genE3ELNS1_11target_archE908ELNS1_3gpuE7ELNS1_3repE0EEENS1_30default_config_static_selectorELNS0_4arch9wavefront6targetE0EEEvS12_.has_recursion, 0
	.set _ZN7rocprim17ROCPRIM_400000_NS6detail17trampoline_kernelINS0_13select_configILj256ELj13ELNS0_17block_load_methodE3ELS4_3ELS4_3ELNS0_20block_scan_algorithmE0ELj4294967295EEENS1_25partition_config_selectorILNS1_17partition_subalgoE4EjNS0_10empty_typeEbEEZZNS1_14partition_implILS8_4ELb0ES6_15HIP_vector_typeIjLj2EENS0_17counting_iteratorIjlEEPS9_SG_NS0_5tupleIJPjSI_NS0_16reverse_iteratorISI_EEEEENSH_IJSG_SG_SG_EEES9_SI_JZNS1_25segmented_radix_sort_implINS0_14default_configELb0EPKfPfPKlPlN2at6native12_GLOBAL__N_18offset_tEEE10hipError_tPvRmT1_PNSt15iterator_traitsIS12_E10value_typeET2_T3_PNS13_IS18_E10value_typeET4_jRbjT5_S1E_jjP12ihipStream_tbEUljE_ZNSN_ISO_Lb0ESQ_SR_ST_SU_SY_EESZ_S10_S11_S12_S16_S17_S18_S1B_S1C_jS1D_jS1E_S1E_jjS1G_bEUljE0_EEESZ_S10_S11_S18_S1C_S1E_T6_T7_T9_mT8_S1G_bDpT10_ENKUlT_T0_E_clISt17integral_constantIbLb0EES1T_IbLb1EEEEDaS1P_S1Q_EUlS1P_E_NS1_11comp_targetILNS1_3genE3ELNS1_11target_archE908ELNS1_3gpuE7ELNS1_3repE0EEENS1_30default_config_static_selectorELNS0_4arch9wavefront6targetE0EEEvS12_.has_indirect_call, 0
	.section	.AMDGPU.csdata,"",@progbits
; Kernel info:
; codeLenInByte = 0
; TotalNumSgprs: 0
; NumVgprs: 0
; ScratchSize: 0
; MemoryBound: 0
; FloatMode: 240
; IeeeMode: 1
; LDSByteSize: 0 bytes/workgroup (compile time only)
; SGPRBlocks: 0
; VGPRBlocks: 0
; NumSGPRsForWavesPerEU: 1
; NumVGPRsForWavesPerEU: 1
; Occupancy: 16
; WaveLimiterHint : 0
; COMPUTE_PGM_RSRC2:SCRATCH_EN: 0
; COMPUTE_PGM_RSRC2:USER_SGPR: 2
; COMPUTE_PGM_RSRC2:TRAP_HANDLER: 0
; COMPUTE_PGM_RSRC2:TGID_X_EN: 1
; COMPUTE_PGM_RSRC2:TGID_Y_EN: 0
; COMPUTE_PGM_RSRC2:TGID_Z_EN: 0
; COMPUTE_PGM_RSRC2:TIDIG_COMP_CNT: 0
	.section	.text._ZN7rocprim17ROCPRIM_400000_NS6detail17trampoline_kernelINS0_13select_configILj256ELj13ELNS0_17block_load_methodE3ELS4_3ELS4_3ELNS0_20block_scan_algorithmE0ELj4294967295EEENS1_25partition_config_selectorILNS1_17partition_subalgoE4EjNS0_10empty_typeEbEEZZNS1_14partition_implILS8_4ELb0ES6_15HIP_vector_typeIjLj2EENS0_17counting_iteratorIjlEEPS9_SG_NS0_5tupleIJPjSI_NS0_16reverse_iteratorISI_EEEEENSH_IJSG_SG_SG_EEES9_SI_JZNS1_25segmented_radix_sort_implINS0_14default_configELb0EPKfPfPKlPlN2at6native12_GLOBAL__N_18offset_tEEE10hipError_tPvRmT1_PNSt15iterator_traitsIS12_E10value_typeET2_T3_PNS13_IS18_E10value_typeET4_jRbjT5_S1E_jjP12ihipStream_tbEUljE_ZNSN_ISO_Lb0ESQ_SR_ST_SU_SY_EESZ_S10_S11_S12_S16_S17_S18_S1B_S1C_jS1D_jS1E_S1E_jjS1G_bEUljE0_EEESZ_S10_S11_S18_S1C_S1E_T6_T7_T9_mT8_S1G_bDpT10_ENKUlT_T0_E_clISt17integral_constantIbLb0EES1T_IbLb1EEEEDaS1P_S1Q_EUlS1P_E_NS1_11comp_targetILNS1_3genE2ELNS1_11target_archE906ELNS1_3gpuE6ELNS1_3repE0EEENS1_30default_config_static_selectorELNS0_4arch9wavefront6targetE0EEEvS12_,"axG",@progbits,_ZN7rocprim17ROCPRIM_400000_NS6detail17trampoline_kernelINS0_13select_configILj256ELj13ELNS0_17block_load_methodE3ELS4_3ELS4_3ELNS0_20block_scan_algorithmE0ELj4294967295EEENS1_25partition_config_selectorILNS1_17partition_subalgoE4EjNS0_10empty_typeEbEEZZNS1_14partition_implILS8_4ELb0ES6_15HIP_vector_typeIjLj2EENS0_17counting_iteratorIjlEEPS9_SG_NS0_5tupleIJPjSI_NS0_16reverse_iteratorISI_EEEEENSH_IJSG_SG_SG_EEES9_SI_JZNS1_25segmented_radix_sort_implINS0_14default_configELb0EPKfPfPKlPlN2at6native12_GLOBAL__N_18offset_tEEE10hipError_tPvRmT1_PNSt15iterator_traitsIS12_E10value_typeET2_T3_PNS13_IS18_E10value_typeET4_jRbjT5_S1E_jjP12ihipStream_tbEUljE_ZNSN_ISO_Lb0ESQ_SR_ST_SU_SY_EESZ_S10_S11_S12_S16_S17_S18_S1B_S1C_jS1D_jS1E_S1E_jjS1G_bEUljE0_EEESZ_S10_S11_S18_S1C_S1E_T6_T7_T9_mT8_S1G_bDpT10_ENKUlT_T0_E_clISt17integral_constantIbLb0EES1T_IbLb1EEEEDaS1P_S1Q_EUlS1P_E_NS1_11comp_targetILNS1_3genE2ELNS1_11target_archE906ELNS1_3gpuE6ELNS1_3repE0EEENS1_30default_config_static_selectorELNS0_4arch9wavefront6targetE0EEEvS12_,comdat
	.globl	_ZN7rocprim17ROCPRIM_400000_NS6detail17trampoline_kernelINS0_13select_configILj256ELj13ELNS0_17block_load_methodE3ELS4_3ELS4_3ELNS0_20block_scan_algorithmE0ELj4294967295EEENS1_25partition_config_selectorILNS1_17partition_subalgoE4EjNS0_10empty_typeEbEEZZNS1_14partition_implILS8_4ELb0ES6_15HIP_vector_typeIjLj2EENS0_17counting_iteratorIjlEEPS9_SG_NS0_5tupleIJPjSI_NS0_16reverse_iteratorISI_EEEEENSH_IJSG_SG_SG_EEES9_SI_JZNS1_25segmented_radix_sort_implINS0_14default_configELb0EPKfPfPKlPlN2at6native12_GLOBAL__N_18offset_tEEE10hipError_tPvRmT1_PNSt15iterator_traitsIS12_E10value_typeET2_T3_PNS13_IS18_E10value_typeET4_jRbjT5_S1E_jjP12ihipStream_tbEUljE_ZNSN_ISO_Lb0ESQ_SR_ST_SU_SY_EESZ_S10_S11_S12_S16_S17_S18_S1B_S1C_jS1D_jS1E_S1E_jjS1G_bEUljE0_EEESZ_S10_S11_S18_S1C_S1E_T6_T7_T9_mT8_S1G_bDpT10_ENKUlT_T0_E_clISt17integral_constantIbLb0EES1T_IbLb1EEEEDaS1P_S1Q_EUlS1P_E_NS1_11comp_targetILNS1_3genE2ELNS1_11target_archE906ELNS1_3gpuE6ELNS1_3repE0EEENS1_30default_config_static_selectorELNS0_4arch9wavefront6targetE0EEEvS12_ ; -- Begin function _ZN7rocprim17ROCPRIM_400000_NS6detail17trampoline_kernelINS0_13select_configILj256ELj13ELNS0_17block_load_methodE3ELS4_3ELS4_3ELNS0_20block_scan_algorithmE0ELj4294967295EEENS1_25partition_config_selectorILNS1_17partition_subalgoE4EjNS0_10empty_typeEbEEZZNS1_14partition_implILS8_4ELb0ES6_15HIP_vector_typeIjLj2EENS0_17counting_iteratorIjlEEPS9_SG_NS0_5tupleIJPjSI_NS0_16reverse_iteratorISI_EEEEENSH_IJSG_SG_SG_EEES9_SI_JZNS1_25segmented_radix_sort_implINS0_14default_configELb0EPKfPfPKlPlN2at6native12_GLOBAL__N_18offset_tEEE10hipError_tPvRmT1_PNSt15iterator_traitsIS12_E10value_typeET2_T3_PNS13_IS18_E10value_typeET4_jRbjT5_S1E_jjP12ihipStream_tbEUljE_ZNSN_ISO_Lb0ESQ_SR_ST_SU_SY_EESZ_S10_S11_S12_S16_S17_S18_S1B_S1C_jS1D_jS1E_S1E_jjS1G_bEUljE0_EEESZ_S10_S11_S18_S1C_S1E_T6_T7_T9_mT8_S1G_bDpT10_ENKUlT_T0_E_clISt17integral_constantIbLb0EES1T_IbLb1EEEEDaS1P_S1Q_EUlS1P_E_NS1_11comp_targetILNS1_3genE2ELNS1_11target_archE906ELNS1_3gpuE6ELNS1_3repE0EEENS1_30default_config_static_selectorELNS0_4arch9wavefront6targetE0EEEvS12_
	.p2align	8
	.type	_ZN7rocprim17ROCPRIM_400000_NS6detail17trampoline_kernelINS0_13select_configILj256ELj13ELNS0_17block_load_methodE3ELS4_3ELS4_3ELNS0_20block_scan_algorithmE0ELj4294967295EEENS1_25partition_config_selectorILNS1_17partition_subalgoE4EjNS0_10empty_typeEbEEZZNS1_14partition_implILS8_4ELb0ES6_15HIP_vector_typeIjLj2EENS0_17counting_iteratorIjlEEPS9_SG_NS0_5tupleIJPjSI_NS0_16reverse_iteratorISI_EEEEENSH_IJSG_SG_SG_EEES9_SI_JZNS1_25segmented_radix_sort_implINS0_14default_configELb0EPKfPfPKlPlN2at6native12_GLOBAL__N_18offset_tEEE10hipError_tPvRmT1_PNSt15iterator_traitsIS12_E10value_typeET2_T3_PNS13_IS18_E10value_typeET4_jRbjT5_S1E_jjP12ihipStream_tbEUljE_ZNSN_ISO_Lb0ESQ_SR_ST_SU_SY_EESZ_S10_S11_S12_S16_S17_S18_S1B_S1C_jS1D_jS1E_S1E_jjS1G_bEUljE0_EEESZ_S10_S11_S18_S1C_S1E_T6_T7_T9_mT8_S1G_bDpT10_ENKUlT_T0_E_clISt17integral_constantIbLb0EES1T_IbLb1EEEEDaS1P_S1Q_EUlS1P_E_NS1_11comp_targetILNS1_3genE2ELNS1_11target_archE906ELNS1_3gpuE6ELNS1_3repE0EEENS1_30default_config_static_selectorELNS0_4arch9wavefront6targetE0EEEvS12_,@function
_ZN7rocprim17ROCPRIM_400000_NS6detail17trampoline_kernelINS0_13select_configILj256ELj13ELNS0_17block_load_methodE3ELS4_3ELS4_3ELNS0_20block_scan_algorithmE0ELj4294967295EEENS1_25partition_config_selectorILNS1_17partition_subalgoE4EjNS0_10empty_typeEbEEZZNS1_14partition_implILS8_4ELb0ES6_15HIP_vector_typeIjLj2EENS0_17counting_iteratorIjlEEPS9_SG_NS0_5tupleIJPjSI_NS0_16reverse_iteratorISI_EEEEENSH_IJSG_SG_SG_EEES9_SI_JZNS1_25segmented_radix_sort_implINS0_14default_configELb0EPKfPfPKlPlN2at6native12_GLOBAL__N_18offset_tEEE10hipError_tPvRmT1_PNSt15iterator_traitsIS12_E10value_typeET2_T3_PNS13_IS18_E10value_typeET4_jRbjT5_S1E_jjP12ihipStream_tbEUljE_ZNSN_ISO_Lb0ESQ_SR_ST_SU_SY_EESZ_S10_S11_S12_S16_S17_S18_S1B_S1C_jS1D_jS1E_S1E_jjS1G_bEUljE0_EEESZ_S10_S11_S18_S1C_S1E_T6_T7_T9_mT8_S1G_bDpT10_ENKUlT_T0_E_clISt17integral_constantIbLb0EES1T_IbLb1EEEEDaS1P_S1Q_EUlS1P_E_NS1_11comp_targetILNS1_3genE2ELNS1_11target_archE906ELNS1_3gpuE6ELNS1_3repE0EEENS1_30default_config_static_selectorELNS0_4arch9wavefront6targetE0EEEvS12_: ; @_ZN7rocprim17ROCPRIM_400000_NS6detail17trampoline_kernelINS0_13select_configILj256ELj13ELNS0_17block_load_methodE3ELS4_3ELS4_3ELNS0_20block_scan_algorithmE0ELj4294967295EEENS1_25partition_config_selectorILNS1_17partition_subalgoE4EjNS0_10empty_typeEbEEZZNS1_14partition_implILS8_4ELb0ES6_15HIP_vector_typeIjLj2EENS0_17counting_iteratorIjlEEPS9_SG_NS0_5tupleIJPjSI_NS0_16reverse_iteratorISI_EEEEENSH_IJSG_SG_SG_EEES9_SI_JZNS1_25segmented_radix_sort_implINS0_14default_configELb0EPKfPfPKlPlN2at6native12_GLOBAL__N_18offset_tEEE10hipError_tPvRmT1_PNSt15iterator_traitsIS12_E10value_typeET2_T3_PNS13_IS18_E10value_typeET4_jRbjT5_S1E_jjP12ihipStream_tbEUljE_ZNSN_ISO_Lb0ESQ_SR_ST_SU_SY_EESZ_S10_S11_S12_S16_S17_S18_S1B_S1C_jS1D_jS1E_S1E_jjS1G_bEUljE0_EEESZ_S10_S11_S18_S1C_S1E_T6_T7_T9_mT8_S1G_bDpT10_ENKUlT_T0_E_clISt17integral_constantIbLb0EES1T_IbLb1EEEEDaS1P_S1Q_EUlS1P_E_NS1_11comp_targetILNS1_3genE2ELNS1_11target_archE906ELNS1_3gpuE6ELNS1_3repE0EEENS1_30default_config_static_selectorELNS0_4arch9wavefront6targetE0EEEvS12_
; %bb.0:
	.section	.rodata,"a",@progbits
	.p2align	6, 0x0
	.amdhsa_kernel _ZN7rocprim17ROCPRIM_400000_NS6detail17trampoline_kernelINS0_13select_configILj256ELj13ELNS0_17block_load_methodE3ELS4_3ELS4_3ELNS0_20block_scan_algorithmE0ELj4294967295EEENS1_25partition_config_selectorILNS1_17partition_subalgoE4EjNS0_10empty_typeEbEEZZNS1_14partition_implILS8_4ELb0ES6_15HIP_vector_typeIjLj2EENS0_17counting_iteratorIjlEEPS9_SG_NS0_5tupleIJPjSI_NS0_16reverse_iteratorISI_EEEEENSH_IJSG_SG_SG_EEES9_SI_JZNS1_25segmented_radix_sort_implINS0_14default_configELb0EPKfPfPKlPlN2at6native12_GLOBAL__N_18offset_tEEE10hipError_tPvRmT1_PNSt15iterator_traitsIS12_E10value_typeET2_T3_PNS13_IS18_E10value_typeET4_jRbjT5_S1E_jjP12ihipStream_tbEUljE_ZNSN_ISO_Lb0ESQ_SR_ST_SU_SY_EESZ_S10_S11_S12_S16_S17_S18_S1B_S1C_jS1D_jS1E_S1E_jjS1G_bEUljE0_EEESZ_S10_S11_S18_S1C_S1E_T6_T7_T9_mT8_S1G_bDpT10_ENKUlT_T0_E_clISt17integral_constantIbLb0EES1T_IbLb1EEEEDaS1P_S1Q_EUlS1P_E_NS1_11comp_targetILNS1_3genE2ELNS1_11target_archE906ELNS1_3gpuE6ELNS1_3repE0EEENS1_30default_config_static_selectorELNS0_4arch9wavefront6targetE0EEEvS12_
		.amdhsa_group_segment_fixed_size 0
		.amdhsa_private_segment_fixed_size 0
		.amdhsa_kernarg_size 184
		.amdhsa_user_sgpr_count 2
		.amdhsa_user_sgpr_dispatch_ptr 0
		.amdhsa_user_sgpr_queue_ptr 0
		.amdhsa_user_sgpr_kernarg_segment_ptr 1
		.amdhsa_user_sgpr_dispatch_id 0
		.amdhsa_user_sgpr_private_segment_size 0
		.amdhsa_wavefront_size32 1
		.amdhsa_uses_dynamic_stack 0
		.amdhsa_enable_private_segment 0
		.amdhsa_system_sgpr_workgroup_id_x 1
		.amdhsa_system_sgpr_workgroup_id_y 0
		.amdhsa_system_sgpr_workgroup_id_z 0
		.amdhsa_system_sgpr_workgroup_info 0
		.amdhsa_system_vgpr_workitem_id 0
		.amdhsa_next_free_vgpr 1
		.amdhsa_next_free_sgpr 1
		.amdhsa_reserve_vcc 0
		.amdhsa_float_round_mode_32 0
		.amdhsa_float_round_mode_16_64 0
		.amdhsa_float_denorm_mode_32 3
		.amdhsa_float_denorm_mode_16_64 3
		.amdhsa_fp16_overflow 0
		.amdhsa_workgroup_processor_mode 1
		.amdhsa_memory_ordered 1
		.amdhsa_forward_progress 1
		.amdhsa_inst_pref_size 0
		.amdhsa_round_robin_scheduling 0
		.amdhsa_exception_fp_ieee_invalid_op 0
		.amdhsa_exception_fp_denorm_src 0
		.amdhsa_exception_fp_ieee_div_zero 0
		.amdhsa_exception_fp_ieee_overflow 0
		.amdhsa_exception_fp_ieee_underflow 0
		.amdhsa_exception_fp_ieee_inexact 0
		.amdhsa_exception_int_div_zero 0
	.end_amdhsa_kernel
	.section	.text._ZN7rocprim17ROCPRIM_400000_NS6detail17trampoline_kernelINS0_13select_configILj256ELj13ELNS0_17block_load_methodE3ELS4_3ELS4_3ELNS0_20block_scan_algorithmE0ELj4294967295EEENS1_25partition_config_selectorILNS1_17partition_subalgoE4EjNS0_10empty_typeEbEEZZNS1_14partition_implILS8_4ELb0ES6_15HIP_vector_typeIjLj2EENS0_17counting_iteratorIjlEEPS9_SG_NS0_5tupleIJPjSI_NS0_16reverse_iteratorISI_EEEEENSH_IJSG_SG_SG_EEES9_SI_JZNS1_25segmented_radix_sort_implINS0_14default_configELb0EPKfPfPKlPlN2at6native12_GLOBAL__N_18offset_tEEE10hipError_tPvRmT1_PNSt15iterator_traitsIS12_E10value_typeET2_T3_PNS13_IS18_E10value_typeET4_jRbjT5_S1E_jjP12ihipStream_tbEUljE_ZNSN_ISO_Lb0ESQ_SR_ST_SU_SY_EESZ_S10_S11_S12_S16_S17_S18_S1B_S1C_jS1D_jS1E_S1E_jjS1G_bEUljE0_EEESZ_S10_S11_S18_S1C_S1E_T6_T7_T9_mT8_S1G_bDpT10_ENKUlT_T0_E_clISt17integral_constantIbLb0EES1T_IbLb1EEEEDaS1P_S1Q_EUlS1P_E_NS1_11comp_targetILNS1_3genE2ELNS1_11target_archE906ELNS1_3gpuE6ELNS1_3repE0EEENS1_30default_config_static_selectorELNS0_4arch9wavefront6targetE0EEEvS12_,"axG",@progbits,_ZN7rocprim17ROCPRIM_400000_NS6detail17trampoline_kernelINS0_13select_configILj256ELj13ELNS0_17block_load_methodE3ELS4_3ELS4_3ELNS0_20block_scan_algorithmE0ELj4294967295EEENS1_25partition_config_selectorILNS1_17partition_subalgoE4EjNS0_10empty_typeEbEEZZNS1_14partition_implILS8_4ELb0ES6_15HIP_vector_typeIjLj2EENS0_17counting_iteratorIjlEEPS9_SG_NS0_5tupleIJPjSI_NS0_16reverse_iteratorISI_EEEEENSH_IJSG_SG_SG_EEES9_SI_JZNS1_25segmented_radix_sort_implINS0_14default_configELb0EPKfPfPKlPlN2at6native12_GLOBAL__N_18offset_tEEE10hipError_tPvRmT1_PNSt15iterator_traitsIS12_E10value_typeET2_T3_PNS13_IS18_E10value_typeET4_jRbjT5_S1E_jjP12ihipStream_tbEUljE_ZNSN_ISO_Lb0ESQ_SR_ST_SU_SY_EESZ_S10_S11_S12_S16_S17_S18_S1B_S1C_jS1D_jS1E_S1E_jjS1G_bEUljE0_EEESZ_S10_S11_S18_S1C_S1E_T6_T7_T9_mT8_S1G_bDpT10_ENKUlT_T0_E_clISt17integral_constantIbLb0EES1T_IbLb1EEEEDaS1P_S1Q_EUlS1P_E_NS1_11comp_targetILNS1_3genE2ELNS1_11target_archE906ELNS1_3gpuE6ELNS1_3repE0EEENS1_30default_config_static_selectorELNS0_4arch9wavefront6targetE0EEEvS12_,comdat
.Lfunc_end1392:
	.size	_ZN7rocprim17ROCPRIM_400000_NS6detail17trampoline_kernelINS0_13select_configILj256ELj13ELNS0_17block_load_methodE3ELS4_3ELS4_3ELNS0_20block_scan_algorithmE0ELj4294967295EEENS1_25partition_config_selectorILNS1_17partition_subalgoE4EjNS0_10empty_typeEbEEZZNS1_14partition_implILS8_4ELb0ES6_15HIP_vector_typeIjLj2EENS0_17counting_iteratorIjlEEPS9_SG_NS0_5tupleIJPjSI_NS0_16reverse_iteratorISI_EEEEENSH_IJSG_SG_SG_EEES9_SI_JZNS1_25segmented_radix_sort_implINS0_14default_configELb0EPKfPfPKlPlN2at6native12_GLOBAL__N_18offset_tEEE10hipError_tPvRmT1_PNSt15iterator_traitsIS12_E10value_typeET2_T3_PNS13_IS18_E10value_typeET4_jRbjT5_S1E_jjP12ihipStream_tbEUljE_ZNSN_ISO_Lb0ESQ_SR_ST_SU_SY_EESZ_S10_S11_S12_S16_S17_S18_S1B_S1C_jS1D_jS1E_S1E_jjS1G_bEUljE0_EEESZ_S10_S11_S18_S1C_S1E_T6_T7_T9_mT8_S1G_bDpT10_ENKUlT_T0_E_clISt17integral_constantIbLb0EES1T_IbLb1EEEEDaS1P_S1Q_EUlS1P_E_NS1_11comp_targetILNS1_3genE2ELNS1_11target_archE906ELNS1_3gpuE6ELNS1_3repE0EEENS1_30default_config_static_selectorELNS0_4arch9wavefront6targetE0EEEvS12_, .Lfunc_end1392-_ZN7rocprim17ROCPRIM_400000_NS6detail17trampoline_kernelINS0_13select_configILj256ELj13ELNS0_17block_load_methodE3ELS4_3ELS4_3ELNS0_20block_scan_algorithmE0ELj4294967295EEENS1_25partition_config_selectorILNS1_17partition_subalgoE4EjNS0_10empty_typeEbEEZZNS1_14partition_implILS8_4ELb0ES6_15HIP_vector_typeIjLj2EENS0_17counting_iteratorIjlEEPS9_SG_NS0_5tupleIJPjSI_NS0_16reverse_iteratorISI_EEEEENSH_IJSG_SG_SG_EEES9_SI_JZNS1_25segmented_radix_sort_implINS0_14default_configELb0EPKfPfPKlPlN2at6native12_GLOBAL__N_18offset_tEEE10hipError_tPvRmT1_PNSt15iterator_traitsIS12_E10value_typeET2_T3_PNS13_IS18_E10value_typeET4_jRbjT5_S1E_jjP12ihipStream_tbEUljE_ZNSN_ISO_Lb0ESQ_SR_ST_SU_SY_EESZ_S10_S11_S12_S16_S17_S18_S1B_S1C_jS1D_jS1E_S1E_jjS1G_bEUljE0_EEESZ_S10_S11_S18_S1C_S1E_T6_T7_T9_mT8_S1G_bDpT10_ENKUlT_T0_E_clISt17integral_constantIbLb0EES1T_IbLb1EEEEDaS1P_S1Q_EUlS1P_E_NS1_11comp_targetILNS1_3genE2ELNS1_11target_archE906ELNS1_3gpuE6ELNS1_3repE0EEENS1_30default_config_static_selectorELNS0_4arch9wavefront6targetE0EEEvS12_
                                        ; -- End function
	.set _ZN7rocprim17ROCPRIM_400000_NS6detail17trampoline_kernelINS0_13select_configILj256ELj13ELNS0_17block_load_methodE3ELS4_3ELS4_3ELNS0_20block_scan_algorithmE0ELj4294967295EEENS1_25partition_config_selectorILNS1_17partition_subalgoE4EjNS0_10empty_typeEbEEZZNS1_14partition_implILS8_4ELb0ES6_15HIP_vector_typeIjLj2EENS0_17counting_iteratorIjlEEPS9_SG_NS0_5tupleIJPjSI_NS0_16reverse_iteratorISI_EEEEENSH_IJSG_SG_SG_EEES9_SI_JZNS1_25segmented_radix_sort_implINS0_14default_configELb0EPKfPfPKlPlN2at6native12_GLOBAL__N_18offset_tEEE10hipError_tPvRmT1_PNSt15iterator_traitsIS12_E10value_typeET2_T3_PNS13_IS18_E10value_typeET4_jRbjT5_S1E_jjP12ihipStream_tbEUljE_ZNSN_ISO_Lb0ESQ_SR_ST_SU_SY_EESZ_S10_S11_S12_S16_S17_S18_S1B_S1C_jS1D_jS1E_S1E_jjS1G_bEUljE0_EEESZ_S10_S11_S18_S1C_S1E_T6_T7_T9_mT8_S1G_bDpT10_ENKUlT_T0_E_clISt17integral_constantIbLb0EES1T_IbLb1EEEEDaS1P_S1Q_EUlS1P_E_NS1_11comp_targetILNS1_3genE2ELNS1_11target_archE906ELNS1_3gpuE6ELNS1_3repE0EEENS1_30default_config_static_selectorELNS0_4arch9wavefront6targetE0EEEvS12_.num_vgpr, 0
	.set _ZN7rocprim17ROCPRIM_400000_NS6detail17trampoline_kernelINS0_13select_configILj256ELj13ELNS0_17block_load_methodE3ELS4_3ELS4_3ELNS0_20block_scan_algorithmE0ELj4294967295EEENS1_25partition_config_selectorILNS1_17partition_subalgoE4EjNS0_10empty_typeEbEEZZNS1_14partition_implILS8_4ELb0ES6_15HIP_vector_typeIjLj2EENS0_17counting_iteratorIjlEEPS9_SG_NS0_5tupleIJPjSI_NS0_16reverse_iteratorISI_EEEEENSH_IJSG_SG_SG_EEES9_SI_JZNS1_25segmented_radix_sort_implINS0_14default_configELb0EPKfPfPKlPlN2at6native12_GLOBAL__N_18offset_tEEE10hipError_tPvRmT1_PNSt15iterator_traitsIS12_E10value_typeET2_T3_PNS13_IS18_E10value_typeET4_jRbjT5_S1E_jjP12ihipStream_tbEUljE_ZNSN_ISO_Lb0ESQ_SR_ST_SU_SY_EESZ_S10_S11_S12_S16_S17_S18_S1B_S1C_jS1D_jS1E_S1E_jjS1G_bEUljE0_EEESZ_S10_S11_S18_S1C_S1E_T6_T7_T9_mT8_S1G_bDpT10_ENKUlT_T0_E_clISt17integral_constantIbLb0EES1T_IbLb1EEEEDaS1P_S1Q_EUlS1P_E_NS1_11comp_targetILNS1_3genE2ELNS1_11target_archE906ELNS1_3gpuE6ELNS1_3repE0EEENS1_30default_config_static_selectorELNS0_4arch9wavefront6targetE0EEEvS12_.num_agpr, 0
	.set _ZN7rocprim17ROCPRIM_400000_NS6detail17trampoline_kernelINS0_13select_configILj256ELj13ELNS0_17block_load_methodE3ELS4_3ELS4_3ELNS0_20block_scan_algorithmE0ELj4294967295EEENS1_25partition_config_selectorILNS1_17partition_subalgoE4EjNS0_10empty_typeEbEEZZNS1_14partition_implILS8_4ELb0ES6_15HIP_vector_typeIjLj2EENS0_17counting_iteratorIjlEEPS9_SG_NS0_5tupleIJPjSI_NS0_16reverse_iteratorISI_EEEEENSH_IJSG_SG_SG_EEES9_SI_JZNS1_25segmented_radix_sort_implINS0_14default_configELb0EPKfPfPKlPlN2at6native12_GLOBAL__N_18offset_tEEE10hipError_tPvRmT1_PNSt15iterator_traitsIS12_E10value_typeET2_T3_PNS13_IS18_E10value_typeET4_jRbjT5_S1E_jjP12ihipStream_tbEUljE_ZNSN_ISO_Lb0ESQ_SR_ST_SU_SY_EESZ_S10_S11_S12_S16_S17_S18_S1B_S1C_jS1D_jS1E_S1E_jjS1G_bEUljE0_EEESZ_S10_S11_S18_S1C_S1E_T6_T7_T9_mT8_S1G_bDpT10_ENKUlT_T0_E_clISt17integral_constantIbLb0EES1T_IbLb1EEEEDaS1P_S1Q_EUlS1P_E_NS1_11comp_targetILNS1_3genE2ELNS1_11target_archE906ELNS1_3gpuE6ELNS1_3repE0EEENS1_30default_config_static_selectorELNS0_4arch9wavefront6targetE0EEEvS12_.numbered_sgpr, 0
	.set _ZN7rocprim17ROCPRIM_400000_NS6detail17trampoline_kernelINS0_13select_configILj256ELj13ELNS0_17block_load_methodE3ELS4_3ELS4_3ELNS0_20block_scan_algorithmE0ELj4294967295EEENS1_25partition_config_selectorILNS1_17partition_subalgoE4EjNS0_10empty_typeEbEEZZNS1_14partition_implILS8_4ELb0ES6_15HIP_vector_typeIjLj2EENS0_17counting_iteratorIjlEEPS9_SG_NS0_5tupleIJPjSI_NS0_16reverse_iteratorISI_EEEEENSH_IJSG_SG_SG_EEES9_SI_JZNS1_25segmented_radix_sort_implINS0_14default_configELb0EPKfPfPKlPlN2at6native12_GLOBAL__N_18offset_tEEE10hipError_tPvRmT1_PNSt15iterator_traitsIS12_E10value_typeET2_T3_PNS13_IS18_E10value_typeET4_jRbjT5_S1E_jjP12ihipStream_tbEUljE_ZNSN_ISO_Lb0ESQ_SR_ST_SU_SY_EESZ_S10_S11_S12_S16_S17_S18_S1B_S1C_jS1D_jS1E_S1E_jjS1G_bEUljE0_EEESZ_S10_S11_S18_S1C_S1E_T6_T7_T9_mT8_S1G_bDpT10_ENKUlT_T0_E_clISt17integral_constantIbLb0EES1T_IbLb1EEEEDaS1P_S1Q_EUlS1P_E_NS1_11comp_targetILNS1_3genE2ELNS1_11target_archE906ELNS1_3gpuE6ELNS1_3repE0EEENS1_30default_config_static_selectorELNS0_4arch9wavefront6targetE0EEEvS12_.num_named_barrier, 0
	.set _ZN7rocprim17ROCPRIM_400000_NS6detail17trampoline_kernelINS0_13select_configILj256ELj13ELNS0_17block_load_methodE3ELS4_3ELS4_3ELNS0_20block_scan_algorithmE0ELj4294967295EEENS1_25partition_config_selectorILNS1_17partition_subalgoE4EjNS0_10empty_typeEbEEZZNS1_14partition_implILS8_4ELb0ES6_15HIP_vector_typeIjLj2EENS0_17counting_iteratorIjlEEPS9_SG_NS0_5tupleIJPjSI_NS0_16reverse_iteratorISI_EEEEENSH_IJSG_SG_SG_EEES9_SI_JZNS1_25segmented_radix_sort_implINS0_14default_configELb0EPKfPfPKlPlN2at6native12_GLOBAL__N_18offset_tEEE10hipError_tPvRmT1_PNSt15iterator_traitsIS12_E10value_typeET2_T3_PNS13_IS18_E10value_typeET4_jRbjT5_S1E_jjP12ihipStream_tbEUljE_ZNSN_ISO_Lb0ESQ_SR_ST_SU_SY_EESZ_S10_S11_S12_S16_S17_S18_S1B_S1C_jS1D_jS1E_S1E_jjS1G_bEUljE0_EEESZ_S10_S11_S18_S1C_S1E_T6_T7_T9_mT8_S1G_bDpT10_ENKUlT_T0_E_clISt17integral_constantIbLb0EES1T_IbLb1EEEEDaS1P_S1Q_EUlS1P_E_NS1_11comp_targetILNS1_3genE2ELNS1_11target_archE906ELNS1_3gpuE6ELNS1_3repE0EEENS1_30default_config_static_selectorELNS0_4arch9wavefront6targetE0EEEvS12_.private_seg_size, 0
	.set _ZN7rocprim17ROCPRIM_400000_NS6detail17trampoline_kernelINS0_13select_configILj256ELj13ELNS0_17block_load_methodE3ELS4_3ELS4_3ELNS0_20block_scan_algorithmE0ELj4294967295EEENS1_25partition_config_selectorILNS1_17partition_subalgoE4EjNS0_10empty_typeEbEEZZNS1_14partition_implILS8_4ELb0ES6_15HIP_vector_typeIjLj2EENS0_17counting_iteratorIjlEEPS9_SG_NS0_5tupleIJPjSI_NS0_16reverse_iteratorISI_EEEEENSH_IJSG_SG_SG_EEES9_SI_JZNS1_25segmented_radix_sort_implINS0_14default_configELb0EPKfPfPKlPlN2at6native12_GLOBAL__N_18offset_tEEE10hipError_tPvRmT1_PNSt15iterator_traitsIS12_E10value_typeET2_T3_PNS13_IS18_E10value_typeET4_jRbjT5_S1E_jjP12ihipStream_tbEUljE_ZNSN_ISO_Lb0ESQ_SR_ST_SU_SY_EESZ_S10_S11_S12_S16_S17_S18_S1B_S1C_jS1D_jS1E_S1E_jjS1G_bEUljE0_EEESZ_S10_S11_S18_S1C_S1E_T6_T7_T9_mT8_S1G_bDpT10_ENKUlT_T0_E_clISt17integral_constantIbLb0EES1T_IbLb1EEEEDaS1P_S1Q_EUlS1P_E_NS1_11comp_targetILNS1_3genE2ELNS1_11target_archE906ELNS1_3gpuE6ELNS1_3repE0EEENS1_30default_config_static_selectorELNS0_4arch9wavefront6targetE0EEEvS12_.uses_vcc, 0
	.set _ZN7rocprim17ROCPRIM_400000_NS6detail17trampoline_kernelINS0_13select_configILj256ELj13ELNS0_17block_load_methodE3ELS4_3ELS4_3ELNS0_20block_scan_algorithmE0ELj4294967295EEENS1_25partition_config_selectorILNS1_17partition_subalgoE4EjNS0_10empty_typeEbEEZZNS1_14partition_implILS8_4ELb0ES6_15HIP_vector_typeIjLj2EENS0_17counting_iteratorIjlEEPS9_SG_NS0_5tupleIJPjSI_NS0_16reverse_iteratorISI_EEEEENSH_IJSG_SG_SG_EEES9_SI_JZNS1_25segmented_radix_sort_implINS0_14default_configELb0EPKfPfPKlPlN2at6native12_GLOBAL__N_18offset_tEEE10hipError_tPvRmT1_PNSt15iterator_traitsIS12_E10value_typeET2_T3_PNS13_IS18_E10value_typeET4_jRbjT5_S1E_jjP12ihipStream_tbEUljE_ZNSN_ISO_Lb0ESQ_SR_ST_SU_SY_EESZ_S10_S11_S12_S16_S17_S18_S1B_S1C_jS1D_jS1E_S1E_jjS1G_bEUljE0_EEESZ_S10_S11_S18_S1C_S1E_T6_T7_T9_mT8_S1G_bDpT10_ENKUlT_T0_E_clISt17integral_constantIbLb0EES1T_IbLb1EEEEDaS1P_S1Q_EUlS1P_E_NS1_11comp_targetILNS1_3genE2ELNS1_11target_archE906ELNS1_3gpuE6ELNS1_3repE0EEENS1_30default_config_static_selectorELNS0_4arch9wavefront6targetE0EEEvS12_.uses_flat_scratch, 0
	.set _ZN7rocprim17ROCPRIM_400000_NS6detail17trampoline_kernelINS0_13select_configILj256ELj13ELNS0_17block_load_methodE3ELS4_3ELS4_3ELNS0_20block_scan_algorithmE0ELj4294967295EEENS1_25partition_config_selectorILNS1_17partition_subalgoE4EjNS0_10empty_typeEbEEZZNS1_14partition_implILS8_4ELb0ES6_15HIP_vector_typeIjLj2EENS0_17counting_iteratorIjlEEPS9_SG_NS0_5tupleIJPjSI_NS0_16reverse_iteratorISI_EEEEENSH_IJSG_SG_SG_EEES9_SI_JZNS1_25segmented_radix_sort_implINS0_14default_configELb0EPKfPfPKlPlN2at6native12_GLOBAL__N_18offset_tEEE10hipError_tPvRmT1_PNSt15iterator_traitsIS12_E10value_typeET2_T3_PNS13_IS18_E10value_typeET4_jRbjT5_S1E_jjP12ihipStream_tbEUljE_ZNSN_ISO_Lb0ESQ_SR_ST_SU_SY_EESZ_S10_S11_S12_S16_S17_S18_S1B_S1C_jS1D_jS1E_S1E_jjS1G_bEUljE0_EEESZ_S10_S11_S18_S1C_S1E_T6_T7_T9_mT8_S1G_bDpT10_ENKUlT_T0_E_clISt17integral_constantIbLb0EES1T_IbLb1EEEEDaS1P_S1Q_EUlS1P_E_NS1_11comp_targetILNS1_3genE2ELNS1_11target_archE906ELNS1_3gpuE6ELNS1_3repE0EEENS1_30default_config_static_selectorELNS0_4arch9wavefront6targetE0EEEvS12_.has_dyn_sized_stack, 0
	.set _ZN7rocprim17ROCPRIM_400000_NS6detail17trampoline_kernelINS0_13select_configILj256ELj13ELNS0_17block_load_methodE3ELS4_3ELS4_3ELNS0_20block_scan_algorithmE0ELj4294967295EEENS1_25partition_config_selectorILNS1_17partition_subalgoE4EjNS0_10empty_typeEbEEZZNS1_14partition_implILS8_4ELb0ES6_15HIP_vector_typeIjLj2EENS0_17counting_iteratorIjlEEPS9_SG_NS0_5tupleIJPjSI_NS0_16reverse_iteratorISI_EEEEENSH_IJSG_SG_SG_EEES9_SI_JZNS1_25segmented_radix_sort_implINS0_14default_configELb0EPKfPfPKlPlN2at6native12_GLOBAL__N_18offset_tEEE10hipError_tPvRmT1_PNSt15iterator_traitsIS12_E10value_typeET2_T3_PNS13_IS18_E10value_typeET4_jRbjT5_S1E_jjP12ihipStream_tbEUljE_ZNSN_ISO_Lb0ESQ_SR_ST_SU_SY_EESZ_S10_S11_S12_S16_S17_S18_S1B_S1C_jS1D_jS1E_S1E_jjS1G_bEUljE0_EEESZ_S10_S11_S18_S1C_S1E_T6_T7_T9_mT8_S1G_bDpT10_ENKUlT_T0_E_clISt17integral_constantIbLb0EES1T_IbLb1EEEEDaS1P_S1Q_EUlS1P_E_NS1_11comp_targetILNS1_3genE2ELNS1_11target_archE906ELNS1_3gpuE6ELNS1_3repE0EEENS1_30default_config_static_selectorELNS0_4arch9wavefront6targetE0EEEvS12_.has_recursion, 0
	.set _ZN7rocprim17ROCPRIM_400000_NS6detail17trampoline_kernelINS0_13select_configILj256ELj13ELNS0_17block_load_methodE3ELS4_3ELS4_3ELNS0_20block_scan_algorithmE0ELj4294967295EEENS1_25partition_config_selectorILNS1_17partition_subalgoE4EjNS0_10empty_typeEbEEZZNS1_14partition_implILS8_4ELb0ES6_15HIP_vector_typeIjLj2EENS0_17counting_iteratorIjlEEPS9_SG_NS0_5tupleIJPjSI_NS0_16reverse_iteratorISI_EEEEENSH_IJSG_SG_SG_EEES9_SI_JZNS1_25segmented_radix_sort_implINS0_14default_configELb0EPKfPfPKlPlN2at6native12_GLOBAL__N_18offset_tEEE10hipError_tPvRmT1_PNSt15iterator_traitsIS12_E10value_typeET2_T3_PNS13_IS18_E10value_typeET4_jRbjT5_S1E_jjP12ihipStream_tbEUljE_ZNSN_ISO_Lb0ESQ_SR_ST_SU_SY_EESZ_S10_S11_S12_S16_S17_S18_S1B_S1C_jS1D_jS1E_S1E_jjS1G_bEUljE0_EEESZ_S10_S11_S18_S1C_S1E_T6_T7_T9_mT8_S1G_bDpT10_ENKUlT_T0_E_clISt17integral_constantIbLb0EES1T_IbLb1EEEEDaS1P_S1Q_EUlS1P_E_NS1_11comp_targetILNS1_3genE2ELNS1_11target_archE906ELNS1_3gpuE6ELNS1_3repE0EEENS1_30default_config_static_selectorELNS0_4arch9wavefront6targetE0EEEvS12_.has_indirect_call, 0
	.section	.AMDGPU.csdata,"",@progbits
; Kernel info:
; codeLenInByte = 0
; TotalNumSgprs: 0
; NumVgprs: 0
; ScratchSize: 0
; MemoryBound: 0
; FloatMode: 240
; IeeeMode: 1
; LDSByteSize: 0 bytes/workgroup (compile time only)
; SGPRBlocks: 0
; VGPRBlocks: 0
; NumSGPRsForWavesPerEU: 1
; NumVGPRsForWavesPerEU: 1
; Occupancy: 16
; WaveLimiterHint : 0
; COMPUTE_PGM_RSRC2:SCRATCH_EN: 0
; COMPUTE_PGM_RSRC2:USER_SGPR: 2
; COMPUTE_PGM_RSRC2:TRAP_HANDLER: 0
; COMPUTE_PGM_RSRC2:TGID_X_EN: 1
; COMPUTE_PGM_RSRC2:TGID_Y_EN: 0
; COMPUTE_PGM_RSRC2:TGID_Z_EN: 0
; COMPUTE_PGM_RSRC2:TIDIG_COMP_CNT: 0
	.section	.text._ZN7rocprim17ROCPRIM_400000_NS6detail17trampoline_kernelINS0_13select_configILj256ELj13ELNS0_17block_load_methodE3ELS4_3ELS4_3ELNS0_20block_scan_algorithmE0ELj4294967295EEENS1_25partition_config_selectorILNS1_17partition_subalgoE4EjNS0_10empty_typeEbEEZZNS1_14partition_implILS8_4ELb0ES6_15HIP_vector_typeIjLj2EENS0_17counting_iteratorIjlEEPS9_SG_NS0_5tupleIJPjSI_NS0_16reverse_iteratorISI_EEEEENSH_IJSG_SG_SG_EEES9_SI_JZNS1_25segmented_radix_sort_implINS0_14default_configELb0EPKfPfPKlPlN2at6native12_GLOBAL__N_18offset_tEEE10hipError_tPvRmT1_PNSt15iterator_traitsIS12_E10value_typeET2_T3_PNS13_IS18_E10value_typeET4_jRbjT5_S1E_jjP12ihipStream_tbEUljE_ZNSN_ISO_Lb0ESQ_SR_ST_SU_SY_EESZ_S10_S11_S12_S16_S17_S18_S1B_S1C_jS1D_jS1E_S1E_jjS1G_bEUljE0_EEESZ_S10_S11_S18_S1C_S1E_T6_T7_T9_mT8_S1G_bDpT10_ENKUlT_T0_E_clISt17integral_constantIbLb0EES1T_IbLb1EEEEDaS1P_S1Q_EUlS1P_E_NS1_11comp_targetILNS1_3genE10ELNS1_11target_archE1200ELNS1_3gpuE4ELNS1_3repE0EEENS1_30default_config_static_selectorELNS0_4arch9wavefront6targetE0EEEvS12_,"axG",@progbits,_ZN7rocprim17ROCPRIM_400000_NS6detail17trampoline_kernelINS0_13select_configILj256ELj13ELNS0_17block_load_methodE3ELS4_3ELS4_3ELNS0_20block_scan_algorithmE0ELj4294967295EEENS1_25partition_config_selectorILNS1_17partition_subalgoE4EjNS0_10empty_typeEbEEZZNS1_14partition_implILS8_4ELb0ES6_15HIP_vector_typeIjLj2EENS0_17counting_iteratorIjlEEPS9_SG_NS0_5tupleIJPjSI_NS0_16reverse_iteratorISI_EEEEENSH_IJSG_SG_SG_EEES9_SI_JZNS1_25segmented_radix_sort_implINS0_14default_configELb0EPKfPfPKlPlN2at6native12_GLOBAL__N_18offset_tEEE10hipError_tPvRmT1_PNSt15iterator_traitsIS12_E10value_typeET2_T3_PNS13_IS18_E10value_typeET4_jRbjT5_S1E_jjP12ihipStream_tbEUljE_ZNSN_ISO_Lb0ESQ_SR_ST_SU_SY_EESZ_S10_S11_S12_S16_S17_S18_S1B_S1C_jS1D_jS1E_S1E_jjS1G_bEUljE0_EEESZ_S10_S11_S18_S1C_S1E_T6_T7_T9_mT8_S1G_bDpT10_ENKUlT_T0_E_clISt17integral_constantIbLb0EES1T_IbLb1EEEEDaS1P_S1Q_EUlS1P_E_NS1_11comp_targetILNS1_3genE10ELNS1_11target_archE1200ELNS1_3gpuE4ELNS1_3repE0EEENS1_30default_config_static_selectorELNS0_4arch9wavefront6targetE0EEEvS12_,comdat
	.globl	_ZN7rocprim17ROCPRIM_400000_NS6detail17trampoline_kernelINS0_13select_configILj256ELj13ELNS0_17block_load_methodE3ELS4_3ELS4_3ELNS0_20block_scan_algorithmE0ELj4294967295EEENS1_25partition_config_selectorILNS1_17partition_subalgoE4EjNS0_10empty_typeEbEEZZNS1_14partition_implILS8_4ELb0ES6_15HIP_vector_typeIjLj2EENS0_17counting_iteratorIjlEEPS9_SG_NS0_5tupleIJPjSI_NS0_16reverse_iteratorISI_EEEEENSH_IJSG_SG_SG_EEES9_SI_JZNS1_25segmented_radix_sort_implINS0_14default_configELb0EPKfPfPKlPlN2at6native12_GLOBAL__N_18offset_tEEE10hipError_tPvRmT1_PNSt15iterator_traitsIS12_E10value_typeET2_T3_PNS13_IS18_E10value_typeET4_jRbjT5_S1E_jjP12ihipStream_tbEUljE_ZNSN_ISO_Lb0ESQ_SR_ST_SU_SY_EESZ_S10_S11_S12_S16_S17_S18_S1B_S1C_jS1D_jS1E_S1E_jjS1G_bEUljE0_EEESZ_S10_S11_S18_S1C_S1E_T6_T7_T9_mT8_S1G_bDpT10_ENKUlT_T0_E_clISt17integral_constantIbLb0EES1T_IbLb1EEEEDaS1P_S1Q_EUlS1P_E_NS1_11comp_targetILNS1_3genE10ELNS1_11target_archE1200ELNS1_3gpuE4ELNS1_3repE0EEENS1_30default_config_static_selectorELNS0_4arch9wavefront6targetE0EEEvS12_ ; -- Begin function _ZN7rocprim17ROCPRIM_400000_NS6detail17trampoline_kernelINS0_13select_configILj256ELj13ELNS0_17block_load_methodE3ELS4_3ELS4_3ELNS0_20block_scan_algorithmE0ELj4294967295EEENS1_25partition_config_selectorILNS1_17partition_subalgoE4EjNS0_10empty_typeEbEEZZNS1_14partition_implILS8_4ELb0ES6_15HIP_vector_typeIjLj2EENS0_17counting_iteratorIjlEEPS9_SG_NS0_5tupleIJPjSI_NS0_16reverse_iteratorISI_EEEEENSH_IJSG_SG_SG_EEES9_SI_JZNS1_25segmented_radix_sort_implINS0_14default_configELb0EPKfPfPKlPlN2at6native12_GLOBAL__N_18offset_tEEE10hipError_tPvRmT1_PNSt15iterator_traitsIS12_E10value_typeET2_T3_PNS13_IS18_E10value_typeET4_jRbjT5_S1E_jjP12ihipStream_tbEUljE_ZNSN_ISO_Lb0ESQ_SR_ST_SU_SY_EESZ_S10_S11_S12_S16_S17_S18_S1B_S1C_jS1D_jS1E_S1E_jjS1G_bEUljE0_EEESZ_S10_S11_S18_S1C_S1E_T6_T7_T9_mT8_S1G_bDpT10_ENKUlT_T0_E_clISt17integral_constantIbLb0EES1T_IbLb1EEEEDaS1P_S1Q_EUlS1P_E_NS1_11comp_targetILNS1_3genE10ELNS1_11target_archE1200ELNS1_3gpuE4ELNS1_3repE0EEENS1_30default_config_static_selectorELNS0_4arch9wavefront6targetE0EEEvS12_
	.p2align	8
	.type	_ZN7rocprim17ROCPRIM_400000_NS6detail17trampoline_kernelINS0_13select_configILj256ELj13ELNS0_17block_load_methodE3ELS4_3ELS4_3ELNS0_20block_scan_algorithmE0ELj4294967295EEENS1_25partition_config_selectorILNS1_17partition_subalgoE4EjNS0_10empty_typeEbEEZZNS1_14partition_implILS8_4ELb0ES6_15HIP_vector_typeIjLj2EENS0_17counting_iteratorIjlEEPS9_SG_NS0_5tupleIJPjSI_NS0_16reverse_iteratorISI_EEEEENSH_IJSG_SG_SG_EEES9_SI_JZNS1_25segmented_radix_sort_implINS0_14default_configELb0EPKfPfPKlPlN2at6native12_GLOBAL__N_18offset_tEEE10hipError_tPvRmT1_PNSt15iterator_traitsIS12_E10value_typeET2_T3_PNS13_IS18_E10value_typeET4_jRbjT5_S1E_jjP12ihipStream_tbEUljE_ZNSN_ISO_Lb0ESQ_SR_ST_SU_SY_EESZ_S10_S11_S12_S16_S17_S18_S1B_S1C_jS1D_jS1E_S1E_jjS1G_bEUljE0_EEESZ_S10_S11_S18_S1C_S1E_T6_T7_T9_mT8_S1G_bDpT10_ENKUlT_T0_E_clISt17integral_constantIbLb0EES1T_IbLb1EEEEDaS1P_S1Q_EUlS1P_E_NS1_11comp_targetILNS1_3genE10ELNS1_11target_archE1200ELNS1_3gpuE4ELNS1_3repE0EEENS1_30default_config_static_selectorELNS0_4arch9wavefront6targetE0EEEvS12_,@function
_ZN7rocprim17ROCPRIM_400000_NS6detail17trampoline_kernelINS0_13select_configILj256ELj13ELNS0_17block_load_methodE3ELS4_3ELS4_3ELNS0_20block_scan_algorithmE0ELj4294967295EEENS1_25partition_config_selectorILNS1_17partition_subalgoE4EjNS0_10empty_typeEbEEZZNS1_14partition_implILS8_4ELb0ES6_15HIP_vector_typeIjLj2EENS0_17counting_iteratorIjlEEPS9_SG_NS0_5tupleIJPjSI_NS0_16reverse_iteratorISI_EEEEENSH_IJSG_SG_SG_EEES9_SI_JZNS1_25segmented_radix_sort_implINS0_14default_configELb0EPKfPfPKlPlN2at6native12_GLOBAL__N_18offset_tEEE10hipError_tPvRmT1_PNSt15iterator_traitsIS12_E10value_typeET2_T3_PNS13_IS18_E10value_typeET4_jRbjT5_S1E_jjP12ihipStream_tbEUljE_ZNSN_ISO_Lb0ESQ_SR_ST_SU_SY_EESZ_S10_S11_S12_S16_S17_S18_S1B_S1C_jS1D_jS1E_S1E_jjS1G_bEUljE0_EEESZ_S10_S11_S18_S1C_S1E_T6_T7_T9_mT8_S1G_bDpT10_ENKUlT_T0_E_clISt17integral_constantIbLb0EES1T_IbLb1EEEEDaS1P_S1Q_EUlS1P_E_NS1_11comp_targetILNS1_3genE10ELNS1_11target_archE1200ELNS1_3gpuE4ELNS1_3repE0EEENS1_30default_config_static_selectorELNS0_4arch9wavefront6targetE0EEEvS12_: ; @_ZN7rocprim17ROCPRIM_400000_NS6detail17trampoline_kernelINS0_13select_configILj256ELj13ELNS0_17block_load_methodE3ELS4_3ELS4_3ELNS0_20block_scan_algorithmE0ELj4294967295EEENS1_25partition_config_selectorILNS1_17partition_subalgoE4EjNS0_10empty_typeEbEEZZNS1_14partition_implILS8_4ELb0ES6_15HIP_vector_typeIjLj2EENS0_17counting_iteratorIjlEEPS9_SG_NS0_5tupleIJPjSI_NS0_16reverse_iteratorISI_EEEEENSH_IJSG_SG_SG_EEES9_SI_JZNS1_25segmented_radix_sort_implINS0_14default_configELb0EPKfPfPKlPlN2at6native12_GLOBAL__N_18offset_tEEE10hipError_tPvRmT1_PNSt15iterator_traitsIS12_E10value_typeET2_T3_PNS13_IS18_E10value_typeET4_jRbjT5_S1E_jjP12ihipStream_tbEUljE_ZNSN_ISO_Lb0ESQ_SR_ST_SU_SY_EESZ_S10_S11_S12_S16_S17_S18_S1B_S1C_jS1D_jS1E_S1E_jjS1G_bEUljE0_EEESZ_S10_S11_S18_S1C_S1E_T6_T7_T9_mT8_S1G_bDpT10_ENKUlT_T0_E_clISt17integral_constantIbLb0EES1T_IbLb1EEEEDaS1P_S1Q_EUlS1P_E_NS1_11comp_targetILNS1_3genE10ELNS1_11target_archE1200ELNS1_3gpuE4ELNS1_3repE0EEENS1_30default_config_static_selectorELNS0_4arch9wavefront6targetE0EEEvS12_
; %bb.0:
	s_clause 0x7
	s_load_b64 s[34:35], s[0:1], 0x10
	s_load_b128 s[28:31], s[0:1], 0x28
	s_load_b64 s[14:15], s[0:1], 0x38
	s_load_b128 s[24:27], s[0:1], 0x58
	s_load_b64 s[4:5], s[0:1], 0x68
	s_load_b64 s[36:37], s[0:1], 0x78
	;; [unrolled: 1-line block ×3, first 2 shown]
	s_load_b256 s[16:23], s[0:1], 0x90
	v_cmp_eq_u32_e64 s2, 0, v0
	s_and_saveexec_b32 s3, s2
	s_cbranch_execz .LBB1393_4
; %bb.1:
	s_mov_b32 s7, exec_lo
	s_mov_b32 s6, exec_lo
	v_mbcnt_lo_u32_b32 v1, s7, 0
                                        ; implicit-def: $vgpr2
	s_delay_alu instid0(VALU_DEP_1)
	v_cmpx_eq_u32_e32 0, v1
	s_cbranch_execz .LBB1393_3
; %bb.2:
	s_load_b64 s[8:9], s[0:1], 0x88
	s_bcnt1_i32_b32 s7, s7
	s_wait_alu 0xfffe
	v_dual_mov_b32 v2, 0 :: v_dual_mov_b32 v3, s7
	s_wait_kmcnt 0x0
	global_atomic_add_u32 v2, v2, v3, s[8:9] th:TH_ATOMIC_RETURN scope:SCOPE_DEV
.LBB1393_3:
	s_or_b32 exec_lo, exec_lo, s6
	s_wait_loadcnt 0x0
	v_readfirstlane_b32 s6, v2
	s_wait_alu 0xf1ff
	s_delay_alu instid0(VALU_DEP_1)
	v_dual_mov_b32 v2, 0 :: v_dual_add_nc_u32 v1, s6, v1
	ds_store_b32 v2, v1
.LBB1393_4:
	s_or_b32 exec_lo, exec_lo, s3
	v_mov_b32_e32 v1, 0
	s_clause 0x1
	s_load_b32 s3, s[0:1], 0x8
	s_load_b32 s0, s[0:1], 0x80
	s_wait_dscnt 0x0
	s_barrier_signal -1
	s_barrier_wait -1
	global_inv scope:SCOPE_SE
	ds_load_b32 v5, v1
	s_wait_loadcnt_dscnt 0x0
	s_barrier_signal -1
	s_barrier_wait -1
	global_inv scope:SCOPE_SE
	s_wait_kmcnt 0x0
	global_load_b128 v[1:4], v1, s[26:27]
	s_mov_b32 s1, 0
	s_add_co_i32 s3, s3, s34
	s_add_co_i32 s6, s0, -1
	s_mulk_i32 s0, 0xd00
	s_delay_alu instid0(SALU_CYCLE_1)
	s_add_co_i32 s7, s0, s34
	s_add_nc_u64 s[0:1], s[34:35], s[0:1]
	v_readfirstlane_b32 s33, v5
	v_cmp_gt_u64_e64 s0, s[4:5], s[0:1]
	s_wait_alu 0xfffe
	s_sub_co_i32 s27, s4, s7
	v_cmp_ne_u32_e32 vcc_lo, s6, v5
	v_mul_lo_u32 v43, 0xd00, v5
	s_addk_co_i32 s27, 0xd00
	s_cmp_eq_u32 s33, s6
	s_mov_b32 s4, -1
	s_cselect_b32 s26, -1, 0
	s_or_b32 s1, s0, vcc_lo
	s_wait_alu 0xfffe
	s_and_b32 vcc_lo, exec_lo, s1
	s_cbranch_vccz .LBB1393_6
; %bb.5:
	v_add3_u32 v5, v43, s3, v0
	v_lshlrev_b32_e32 v14, 2, v0
	s_mov_b32 s4, 0
	s_delay_alu instid0(VALU_DEP_2)
	v_add_nc_u32_e32 v6, 0x100, v5
	v_add_nc_u32_e32 v7, 0x200, v5
	;; [unrolled: 1-line block ×12, first 2 shown]
	ds_store_2addr_stride64_b32 v14, v5, v6 offset1:4
	ds_store_2addr_stride64_b32 v14, v7, v8 offset0:8 offset1:12
	ds_store_2addr_stride64_b32 v14, v9, v10 offset0:16 offset1:20
	;; [unrolled: 1-line block ×5, first 2 shown]
	ds_store_b32 v14, v18 offset:12288
	s_wait_loadcnt_dscnt 0x0
	s_barrier_signal -1
	s_barrier_wait -1
.LBB1393_6:
	v_cmp_gt_u32_e64 s0, s27, v0
	v_or_b32_e32 v42, 0x100, v0
	v_or_b32_e32 v41, 0x200, v0
	;; [unrolled: 1-line block ×12, first 2 shown]
	s_wait_alu 0xfffe
	s_and_not1_b32 vcc_lo, exec_lo, s4
	s_cbranch_vccnz .LBB1393_8
; %bb.7:
	v_add_nc_u32_e32 v5, s3, v43
	v_cmp_gt_u32_e32 vcc_lo, s27, v42
	s_delay_alu instid0(VALU_DEP_2) | instskip(NEXT) | instid1(VALU_DEP_1)
	v_add_nc_u32_e32 v7, v5, v42
	v_dual_cndmask_b32 v7, 0, v7 :: v_dual_add_nc_u32 v8, v5, v41
	v_cmp_gt_u32_e32 vcc_lo, s27, v41
	s_wait_alu 0xfffd
	s_delay_alu instid0(VALU_DEP_2)
	v_cndmask_b32_e32 v8, 0, v8, vcc_lo
	v_cmp_gt_u32_e32 vcc_lo, s27, v40
	v_add_nc_u32_e32 v17, v5, v32
	v_add_nc_u32_e32 v14, v5, v35
	;; [unrolled: 1-line block ×9, first 2 shown]
	s_wait_alu 0xfffd
	v_cndmask_b32_e32 v9, 0, v9, vcc_lo
	v_cmp_gt_u32_e32 vcc_lo, s27, v39
	v_cndmask_b32_e64 v6, 0, v6, s0
	s_wait_alu 0xfffd
	v_cndmask_b32_e32 v10, 0, v10, vcc_lo
	v_cmp_gt_u32_e32 vcc_lo, s27, v38
	v_add_nc_u32_e32 v12, v5, v37
	v_add_nc_u32_e32 v5, v5, v31
	s_wait_alu 0xfffd
	v_cndmask_b32_e32 v11, 0, v11, vcc_lo
	v_cmp_gt_u32_e32 vcc_lo, s27, v37
	s_wait_alu 0xfffd
	v_cndmask_b32_e32 v12, 0, v12, vcc_lo
	v_cmp_gt_u32_e32 vcc_lo, s27, v36
	;; [unrolled: 3-line block ×7, first 2 shown]
	s_wait_alu 0xfffd
	v_dual_cndmask_b32 v5, 0, v5 :: v_dual_lshlrev_b32 v18, 2, v0
	ds_store_2addr_stride64_b32 v18, v6, v7 offset1:4
	ds_store_2addr_stride64_b32 v18, v8, v9 offset0:8 offset1:12
	ds_store_2addr_stride64_b32 v18, v10, v11 offset0:16 offset1:20
	;; [unrolled: 1-line block ×5, first 2 shown]
	ds_store_b32 v18, v5 offset:12288
	s_wait_loadcnt_dscnt 0x0
	s_barrier_signal -1
	s_barrier_wait -1
.LBB1393_8:
	v_mul_u32_u24_e32 v46, 13, v0
	s_wait_loadcnt 0x0
	global_inv scope:SCOPE_SE
	v_cndmask_b32_e64 v44, 0, 1, s1
	s_and_not1_b32 vcc_lo, exec_lo, s1
	v_lshlrev_b32_e32 v5, 2, v46
	ds_load_2addr_b32 v[23:24], v5 offset1:1
	ds_load_2addr_b32 v[21:22], v5 offset0:2 offset1:3
	ds_load_2addr_b32 v[19:20], v5 offset0:4 offset1:5
	;; [unrolled: 1-line block ×5, first 2 shown]
	ds_load_b32 v45, v5 offset:48
	s_wait_loadcnt_dscnt 0x0
	s_barrier_signal -1
	s_barrier_wait -1
	global_inv scope:SCOPE_SE
	s_wait_alu 0xfffe
	s_cbranch_vccnz .LBB1393_36
; %bb.9:
	v_add_nc_u32_e32 v5, s17, v23
	v_add_nc_u32_e32 v6, s19, v23
	s_mov_b32 s41, 0
	s_mov_b32 s40, 0
	s_mov_b32 s1, exec_lo
	v_mul_lo_u32 v5, v5, s16
	v_mul_lo_u32 v6, v6, s18
	s_delay_alu instid0(VALU_DEP_1) | instskip(NEXT) | instid1(VALU_DEP_1)
	v_sub_nc_u32_e32 v5, v5, v6
	v_cmp_lt_u32_e32 vcc_lo, s20, v5
	v_cmpx_ge_u32_e64 s20, v5
	s_cbranch_execz .LBB1393_11
; %bb.10:
	v_add_nc_u32_e32 v5, s22, v23
	v_add_nc_u32_e32 v6, s38, v23
	s_delay_alu instid0(VALU_DEP_2) | instskip(NEXT) | instid1(VALU_DEP_2)
	v_mul_lo_u32 v5, v5, s21
	v_mul_lo_u32 v6, v6, s23
	s_delay_alu instid0(VALU_DEP_1) | instskip(NEXT) | instid1(VALU_DEP_1)
	v_sub_nc_u32_e32 v5, v5, v6
	v_cmp_lt_u32_e64 s0, s39, v5
	s_and_b32 s40, s0, exec_lo
.LBB1393_11:
	s_wait_alu 0xfffe
	s_or_b32 exec_lo, exec_lo, s1
	v_add_nc_u32_e32 v5, s17, v24
	v_add_nc_u32_e32 v6, s19, v24
	s_mov_b32 s3, exec_lo
	s_delay_alu instid0(VALU_DEP_2) | instskip(NEXT) | instid1(VALU_DEP_2)
	v_mul_lo_u32 v5, v5, s16
	v_mul_lo_u32 v6, v6, s18
	s_delay_alu instid0(VALU_DEP_1) | instskip(NEXT) | instid1(VALU_DEP_1)
	v_sub_nc_u32_e32 v5, v5, v6
	v_cmp_lt_u32_e64 s0, s20, v5
	v_cmpx_ge_u32_e64 s20, v5
	s_cbranch_execz .LBB1393_13
; %bb.12:
	v_add_nc_u32_e32 v5, s22, v24
	v_add_nc_u32_e32 v6, s38, v24
	s_delay_alu instid0(VALU_DEP_2) | instskip(NEXT) | instid1(VALU_DEP_2)
	v_mul_lo_u32 v5, v5, s21
	v_mul_lo_u32 v6, v6, s23
	s_delay_alu instid0(VALU_DEP_1) | instskip(NEXT) | instid1(VALU_DEP_1)
	v_sub_nc_u32_e32 v5, v5, v6
	v_cmp_lt_u32_e64 s1, s39, v5
	s_and_b32 s41, s1, exec_lo
.LBB1393_13:
	s_wait_alu 0xfffe
	s_or_b32 exec_lo, exec_lo, s3
	v_add_nc_u32_e32 v5, s17, v21
	v_add_nc_u32_e32 v6, s19, v21
	s_mov_b32 s43, 0
	s_mov_b32 s42, 0
	s_mov_b32 s4, exec_lo
	v_mul_lo_u32 v5, v5, s16
	v_mul_lo_u32 v6, v6, s18
	s_delay_alu instid0(VALU_DEP_1) | instskip(NEXT) | instid1(VALU_DEP_1)
	v_sub_nc_u32_e32 v5, v5, v6
	v_cmp_lt_u32_e64 s1, s20, v5
	v_cmpx_ge_u32_e64 s20, v5
	s_cbranch_execz .LBB1393_15
; %bb.14:
	v_add_nc_u32_e32 v5, s22, v21
	v_add_nc_u32_e32 v6, s38, v21
	s_delay_alu instid0(VALU_DEP_2) | instskip(NEXT) | instid1(VALU_DEP_2)
	v_mul_lo_u32 v5, v5, s21
	v_mul_lo_u32 v6, v6, s23
	s_delay_alu instid0(VALU_DEP_1) | instskip(NEXT) | instid1(VALU_DEP_1)
	v_sub_nc_u32_e32 v5, v5, v6
	v_cmp_lt_u32_e64 s3, s39, v5
	s_and_b32 s42, s3, exec_lo
.LBB1393_15:
	s_wait_alu 0xfffe
	s_or_b32 exec_lo, exec_lo, s4
	v_add_nc_u32_e32 v5, s17, v22
	v_add_nc_u32_e32 v6, s19, v22
	s_mov_b32 s5, exec_lo
	s_delay_alu instid0(VALU_DEP_2) | instskip(NEXT) | instid1(VALU_DEP_2)
	v_mul_lo_u32 v5, v5, s16
	v_mul_lo_u32 v6, v6, s18
	s_delay_alu instid0(VALU_DEP_1) | instskip(NEXT) | instid1(VALU_DEP_1)
	v_sub_nc_u32_e32 v5, v5, v6
	v_cmp_lt_u32_e64 s3, s20, v5
	v_cmpx_ge_u32_e64 s20, v5
	s_cbranch_execz .LBB1393_17
; %bb.16:
	v_add_nc_u32_e32 v5, s22, v22
	v_add_nc_u32_e32 v6, s38, v22
	s_delay_alu instid0(VALU_DEP_2) | instskip(NEXT) | instid1(VALU_DEP_2)
	v_mul_lo_u32 v5, v5, s21
	v_mul_lo_u32 v6, v6, s23
	s_delay_alu instid0(VALU_DEP_1) | instskip(NEXT) | instid1(VALU_DEP_1)
	v_sub_nc_u32_e32 v5, v5, v6
	v_cmp_lt_u32_e64 s4, s39, v5
	s_and_b32 s43, s4, exec_lo
.LBB1393_17:
	s_wait_alu 0xfffe
	s_or_b32 exec_lo, exec_lo, s5
	v_add_nc_u32_e32 v5, s17, v19
	v_add_nc_u32_e32 v6, s19, v19
	s_mov_b32 s45, 0
	s_mov_b32 s44, 0
	s_mov_b32 s6, exec_lo
	v_mul_lo_u32 v5, v5, s16
	v_mul_lo_u32 v6, v6, s18
	s_delay_alu instid0(VALU_DEP_1) | instskip(NEXT) | instid1(VALU_DEP_1)
	v_sub_nc_u32_e32 v5, v5, v6
	v_cmp_lt_u32_e64 s4, s20, v5
	;; [unrolled: 49-line block ×3, first 2 shown]
	v_cmpx_ge_u32_e64 s20, v5
	s_cbranch_execz .LBB1393_23
; %bb.22:
	v_add_nc_u32_e32 v5, s22, v17
	v_add_nc_u32_e32 v6, s38, v17
	s_delay_alu instid0(VALU_DEP_2) | instskip(NEXT) | instid1(VALU_DEP_2)
	v_mul_lo_u32 v5, v5, s21
	v_mul_lo_u32 v6, v6, s23
	s_delay_alu instid0(VALU_DEP_1) | instskip(NEXT) | instid1(VALU_DEP_1)
	v_sub_nc_u32_e32 v5, v5, v6
	v_cmp_lt_u32_e64 s7, s39, v5
	s_and_b32 s46, s7, exec_lo
.LBB1393_23:
	s_or_b32 exec_lo, exec_lo, s8
	v_add_nc_u32_e32 v5, s17, v18
	v_add_nc_u32_e32 v6, s19, v18
	s_mov_b32 s9, exec_lo
	s_delay_alu instid0(VALU_DEP_2) | instskip(NEXT) | instid1(VALU_DEP_2)
	v_mul_lo_u32 v5, v5, s16
	v_mul_lo_u32 v6, v6, s18
	s_delay_alu instid0(VALU_DEP_1) | instskip(NEXT) | instid1(VALU_DEP_1)
	v_sub_nc_u32_e32 v5, v5, v6
	v_cmp_lt_u32_e64 s7, s20, v5
	v_cmpx_ge_u32_e64 s20, v5
	s_cbranch_execz .LBB1393_25
; %bb.24:
	v_add_nc_u32_e32 v5, s22, v18
	v_add_nc_u32_e32 v6, s38, v18
	s_delay_alu instid0(VALU_DEP_2) | instskip(NEXT) | instid1(VALU_DEP_2)
	v_mul_lo_u32 v5, v5, s21
	v_mul_lo_u32 v6, v6, s23
	s_delay_alu instid0(VALU_DEP_1) | instskip(NEXT) | instid1(VALU_DEP_1)
	v_sub_nc_u32_e32 v5, v5, v6
	v_cmp_lt_u32_e64 s8, s39, v5
	s_and_b32 s47, s8, exec_lo
.LBB1393_25:
	s_or_b32 exec_lo, exec_lo, s9
	v_add_nc_u32_e32 v5, s17, v15
	v_add_nc_u32_e32 v6, s19, v15
	s_mov_b32 s50, 0
	s_mov_b32 s49, 0
	s_mov_b32 s10, exec_lo
	v_mul_lo_u32 v5, v5, s16
	v_mul_lo_u32 v6, v6, s18
	s_delay_alu instid0(VALU_DEP_1) | instskip(NEXT) | instid1(VALU_DEP_1)
	v_sub_nc_u32_e32 v5, v5, v6
	v_cmp_lt_u32_e64 s8, s20, v5
	v_cmpx_ge_u32_e64 s20, v5
	s_cbranch_execz .LBB1393_27
; %bb.26:
	v_add_nc_u32_e32 v5, s22, v15
	v_add_nc_u32_e32 v6, s38, v15
	s_delay_alu instid0(VALU_DEP_2) | instskip(NEXT) | instid1(VALU_DEP_2)
	v_mul_lo_u32 v5, v5, s21
	v_mul_lo_u32 v6, v6, s23
	s_delay_alu instid0(VALU_DEP_1) | instskip(NEXT) | instid1(VALU_DEP_1)
	v_sub_nc_u32_e32 v5, v5, v6
	v_cmp_lt_u32_e64 s9, s39, v5
	s_and_b32 s49, s9, exec_lo
.LBB1393_27:
	s_or_b32 exec_lo, exec_lo, s10
	v_add_nc_u32_e32 v5, s17, v16
	v_add_nc_u32_e32 v6, s19, v16
	s_mov_b32 s11, exec_lo
	s_delay_alu instid0(VALU_DEP_2) | instskip(NEXT) | instid1(VALU_DEP_2)
	v_mul_lo_u32 v5, v5, s16
	v_mul_lo_u32 v6, v6, s18
	s_delay_alu instid0(VALU_DEP_1) | instskip(NEXT) | instid1(VALU_DEP_1)
	v_sub_nc_u32_e32 v5, v5, v6
	v_cmp_lt_u32_e64 s9, s20, v5
	v_cmpx_ge_u32_e64 s20, v5
	s_cbranch_execz .LBB1393_29
; %bb.28:
	v_add_nc_u32_e32 v5, s22, v16
	v_add_nc_u32_e32 v6, s38, v16
	s_delay_alu instid0(VALU_DEP_2) | instskip(NEXT) | instid1(VALU_DEP_2)
	v_mul_lo_u32 v5, v5, s21
	v_mul_lo_u32 v6, v6, s23
	s_delay_alu instid0(VALU_DEP_1) | instskip(NEXT) | instid1(VALU_DEP_1)
	v_sub_nc_u32_e32 v5, v5, v6
	v_cmp_lt_u32_e64 s10, s39, v5
	s_and_b32 s50, s10, exec_lo
.LBB1393_29:
	s_or_b32 exec_lo, exec_lo, s11
	v_add_nc_u32_e32 v5, s17, v13
	v_add_nc_u32_e32 v6, s19, v13
	s_mov_b32 s51, 0
	s_mov_b32 s52, 0
	s_mov_b32 s12, exec_lo
	v_mul_lo_u32 v5, v5, s16
	v_mul_lo_u32 v6, v6, s18
	s_delay_alu instid0(VALU_DEP_1) | instskip(NEXT) | instid1(VALU_DEP_1)
	v_sub_nc_u32_e32 v5, v5, v6
	v_cmp_lt_u32_e64 s10, s20, v5
	;; [unrolled: 47-line block ×3, first 2 shown]
	v_cmpx_ge_u32_e64 s20, v5
	s_cbranch_execz .LBB1393_35
; %bb.34:
	v_add_nc_u32_e32 v5, s22, v45
	v_add_nc_u32_e32 v6, s38, v45
	s_delay_alu instid0(VALU_DEP_2) | instskip(NEXT) | instid1(VALU_DEP_2)
	v_mul_lo_u32 v5, v5, s21
	v_mul_lo_u32 v6, v6, s23
	s_delay_alu instid0(VALU_DEP_1) | instskip(NEXT) | instid1(VALU_DEP_1)
	v_sub_nc_u32_e32 v5, v5, v6
	v_cmp_lt_u32_e64 s13, s39, v5
	s_and_b32 s53, s13, exec_lo
.LBB1393_35:
	s_or_b32 exec_lo, exec_lo, s54
	v_cndmask_b32_e64 v6, 0, 1, s0
	v_cndmask_b32_e64 v8, 0, 1, s3
	s_wait_alu 0xfffd
	v_cndmask_b32_e64 v5, 0, 1, vcc_lo
	v_cndmask_b32_e64 v7, 0, 1, s1
	v_cndmask_b32_e64 v10, 0, 1, s5
	v_lshlrev_b16 v6, 8, v6
	v_lshlrev_b16 v8, 8, v8
	s_wait_alu 0xf1ff
	v_cndmask_b32_e64 v12, 0, 1, s7
	v_cndmask_b32_e64 v26, 0, 1, s9
	;; [unrolled: 1-line block ×3, first 2 shown]
	v_or_b32_e32 v5, v5, v6
	v_or_b32_e32 v6, v7, v8
	v_cndmask_b32_e64 v56, 0, 1, s40
	v_cndmask_b32_e64 v9, 0, 1, s4
	;; [unrolled: 1-line block ×3, first 2 shown]
	v_and_b32_e32 v5, 0xffff, v5
	v_lshlrev_b32_e32 v6, 16, v6
	v_cndmask_b32_e64 v25, 0, 1, s8
	v_cndmask_b32_e64 v27, 0, 1, s10
	;; [unrolled: 1-line block ×8, first 2 shown]
	v_or_b32_e32 v47, v5, v6
	v_lshlrev_b16 v5, 8, v10
	v_lshlrev_b16 v6, 8, v12
	v_lshlrev_b16 v10, 8, v26
	v_lshlrev_b16 v12, 8, v29
	v_lshlrev_b16 v26, 8, v56
	v_cndmask_b32_e64 v30, 0, 1, s50
	v_cndmask_b32_e64 v49, 0, 1, s47
	v_cndmask_b32_e64 v52, 0, 1, s45
	v_cndmask_b32_e64 v7, 0, 1, s43
	v_cndmask_b32_e64 v55, 0, 1, s41
	v_or_b32_e32 v5, v9, v5
	v_or_b32_e32 v6, v11, v6
	;; [unrolled: 1-line block ×5, first 2 shown]
	v_lshlrev_b16 v8, 8, v8
	v_lshlrev_b16 v12, 8, v54
	;; [unrolled: 1-line block ×5, first 2 shown]
	v_or_b32_e32 v8, v55, v8
	v_or_b32_e32 v7, v7, v12
	;; [unrolled: 1-line block ×5, first 2 shown]
	v_and_b32_e32 v5, 0xffff, v5
	v_lshlrev_b32_e32 v6, 16, v6
	v_and_b32_e32 v9, 0xffff, v9
	v_lshlrev_b32_e32 v10, 16, v10
	;; [unrolled: 2-line block ×5, first 2 shown]
	v_cndmask_b32_e64 v50, 0, 1, s51
	v_cndmask_b32_e64 v53, 0, 1, s53
	v_or_b32_e32 v49, v5, v6
	v_or_b32_e32 v52, v9, v10
	;; [unrolled: 1-line block ×5, first 2 shown]
	s_and_b32 vcc_lo, exec_lo, s48
	s_wait_alu 0xfffe
	s_cbranch_vccnz .LBB1393_37
	s_branch .LBB1393_114
.LBB1393_36:
                                        ; implicit-def: $vgpr53
                                        ; implicit-def: $vgpr50
                                        ; implicit-def: $vgpr51
                                        ; implicit-def: $vgpr48
                                        ; implicit-def: $vgpr54
                                        ; implicit-def: $vgpr52
                                        ; implicit-def: $vgpr49
                                        ; implicit-def: $vgpr47
	s_cbranch_execz .LBB1393_114
.LBB1393_37:
	v_dual_mov_b32 v6, 0 :: v_dual_mov_b32 v5, 0
	s_mov_b32 s1, exec_lo
	v_cmpx_gt_u32_e64 s27, v46
	s_cbranch_execz .LBB1393_41
; %bb.38:
	v_add_nc_u32_e32 v5, s17, v23
	v_add_nc_u32_e32 v6, s19, v23
	s_mov_b32 s4, 0
	s_mov_b32 s3, exec_lo
	s_delay_alu instid0(VALU_DEP_2) | instskip(NEXT) | instid1(VALU_DEP_2)
	v_mul_lo_u32 v5, v5, s16
	v_mul_lo_u32 v6, v6, s18
	s_delay_alu instid0(VALU_DEP_1) | instskip(NEXT) | instid1(VALU_DEP_1)
	v_sub_nc_u32_e32 v5, v5, v6
	v_cmp_lt_u32_e32 vcc_lo, s20, v5
	v_cmpx_ge_u32_e64 s20, v5
	s_cbranch_execz .LBB1393_40
; %bb.39:
	v_add_nc_u32_e32 v5, s22, v23
	v_add_nc_u32_e32 v6, s38, v23
	s_delay_alu instid0(VALU_DEP_2) | instskip(NEXT) | instid1(VALU_DEP_2)
	v_mul_lo_u32 v5, v5, s21
	v_mul_lo_u32 v6, v6, s23
	s_delay_alu instid0(VALU_DEP_1) | instskip(NEXT) | instid1(VALU_DEP_1)
	v_sub_nc_u32_e32 v5, v5, v6
	v_cmp_lt_u32_e64 s0, s39, v5
	s_and_b32 s4, s0, exec_lo
.LBB1393_40:
	s_wait_alu 0xfffe
	s_or_b32 exec_lo, exec_lo, s3
	v_cndmask_b32_e64 v6, 0, 1, s4
	s_wait_alu 0xfffd
	v_cndmask_b32_e64 v5, 0, 1, vcc_lo
.LBB1393_41:
	s_wait_alu 0xfffe
	s_or_b32 exec_lo, exec_lo, s1
	v_lshlrev_b16 v6, 8, v6
	v_add_nc_u32_e32 v7, 1, v46
	v_and_b32_e32 v10, 0xff, v5
	v_lshlrev_b16 v5, 8, 0
                                        ; implicit-def: $vgpr9
                                        ; implicit-def: $vgpr12
                                        ; implicit-def: $vgpr8
	s_delay_alu instid0(VALU_DEP_4) | instskip(NEXT) | instid1(VALU_DEP_4)
	v_and_b32_e32 v6, 0xffff, v6
	v_cmp_le_u32_e32 vcc_lo, s27, v7
                                        ; implicit-def: $vgpr7
	s_delay_alu instid0(VALU_DEP_2)
	v_lshrrev_b32_e32 v25, 8, v6
	v_and_b32_e32 v11, 0xff, v6
                                        ; implicit-def: $vgpr6
	s_and_saveexec_b32 s0, vcc_lo
	s_wait_alu 0xfffe
	s_xor_b32 s0, exec_lo, s0
	s_cbranch_execz .LBB1393_43
; %bb.42:
	v_lshlrev_b16 v6, 8, v25
	v_and_b32_e32 v8, 0xffff, v5
                                        ; implicit-def: $vgpr25
	v_mov_b32_e32 v9, 0
	s_delay_alu instid0(VALU_DEP_3) | instskip(SKIP_1) | instid1(VALU_DEP_2)
	v_or_b32_e32 v7, v11, v6
	v_mov_b32_e32 v6, 0
                                        ; implicit-def: $vgpr11
	v_and_b32_e32 v12, 0xffff, v7
	v_and_b32_e32 v7, 0xffff, v5
                                        ; implicit-def: $vgpr5
.LBB1393_43:
	s_wait_alu 0xfffe
	s_and_not1_saveexec_b32 s1, s0
	s_cbranch_execz .LBB1393_47
; %bb.44:
	v_add_nc_u32_e32 v6, s17, v24
	v_add_nc_u32_e32 v7, s19, v24
	s_mov_b32 s3, 0
	s_mov_b32 s4, exec_lo
	s_delay_alu instid0(VALU_DEP_2) | instskip(NEXT) | instid1(VALU_DEP_2)
	v_mul_lo_u32 v6, v6, s16
	v_mul_lo_u32 v7, v7, s18
	s_delay_alu instid0(VALU_DEP_1) | instskip(NEXT) | instid1(VALU_DEP_1)
	v_sub_nc_u32_e32 v6, v6, v7
	v_cmp_lt_u32_e32 vcc_lo, s20, v6
	v_cmpx_ge_u32_e64 s20, v6
	s_cbranch_execz .LBB1393_46
; %bb.45:
	v_add_nc_u32_e32 v6, s22, v24
	v_add_nc_u32_e32 v7, s38, v24
	s_delay_alu instid0(VALU_DEP_2) | instskip(NEXT) | instid1(VALU_DEP_2)
	v_mul_lo_u32 v6, v6, s21
	v_mul_lo_u32 v7, v7, s23
	s_delay_alu instid0(VALU_DEP_1) | instskip(NEXT) | instid1(VALU_DEP_1)
	v_sub_nc_u32_e32 v6, v6, v7
	v_cmp_lt_u32_e64 s0, s39, v6
	s_and_b32 s3, s0, exec_lo
.LBB1393_46:
	s_wait_alu 0xfffe
	s_or_b32 exec_lo, exec_lo, s4
	s_wait_alu 0xfffd
	v_cndmask_b32_e64 v6, 0, 1, vcc_lo
	v_lshlrev_b16 v7, 8, v25
	v_dual_mov_b32 v9, 0 :: v_dual_and_b32 v8, 0xffff, v5
	s_delay_alu instid0(VALU_DEP_3) | instskip(NEXT) | instid1(VALU_DEP_3)
	v_lshlrev_b16 v6, 8, v6
	v_or_b32_e32 v7, v11, v7
	v_cndmask_b32_e64 v11, 0, 1, s3
	s_delay_alu instid0(VALU_DEP_3) | instskip(NEXT) | instid1(VALU_DEP_3)
	v_or_b32_e32 v10, v10, v6
	v_dual_mov_b32 v6, 0 :: v_dual_and_b32 v7, 0xffff, v7
	s_delay_alu instid0(VALU_DEP_2) | instskip(NEXT) | instid1(VALU_DEP_2)
	v_and_b32_e32 v10, 0xffff, v10
	v_lshl_or_b32 v12, v11, 16, v7
	v_and_b32_e32 v7, 0xffff, v5
.LBB1393_47:
	s_wait_alu 0xfffe
	s_or_b32 exec_lo, exec_lo, s1
	v_add_nc_u32_e32 v5, 2, v46
	v_and_b32_e32 v25, 0xff, v10
	v_lshrrev_b32_e32 v26, 8, v10
                                        ; implicit-def: $vgpr11
	s_delay_alu instid0(VALU_DEP_3)
	v_cmp_le_u32_e32 vcc_lo, s27, v5
                                        ; implicit-def: $vgpr5
	s_and_saveexec_b32 s0, vcc_lo
	s_wait_alu 0xfffe
	s_xor_b32 s0, exec_lo, s0
	s_cbranch_execz .LBB1393_49
; %bb.48:
	v_lshlrev_b16 v5, 8, v26
	v_perm_b32 v8, v8, v8, 0x3060504
                                        ; implicit-def: $vgpr26
	s_delay_alu instid0(VALU_DEP_2) | instskip(SKIP_1) | instid1(VALU_DEP_2)
	v_or_b32_e32 v5, v25, v5
	v_and_b32_e32 v25, 0xff0000, v12
	v_and_b32_e32 v5, 0xffff, v5
	s_delay_alu instid0(VALU_DEP_1) | instskip(NEXT) | instid1(VALU_DEP_3)
	v_and_or_b32 v11, 0xff000000, v10, v5
	v_perm_b32 v5, v12, v25, 0x3020504
                                        ; implicit-def: $vgpr25
                                        ; implicit-def: $vgpr10
                                        ; implicit-def: $vgpr12
.LBB1393_49:
	s_wait_alu 0xfffe
	s_and_not1_saveexec_b32 s1, s0
	s_cbranch_execz .LBB1393_53
; %bb.50:
	v_add_nc_u32_e32 v5, s17, v21
	v_add_nc_u32_e32 v11, s19, v21
	s_mov_b32 s3, 0
	s_mov_b32 s4, exec_lo
	s_delay_alu instid0(VALU_DEP_2) | instskip(NEXT) | instid1(VALU_DEP_2)
	v_mul_lo_u32 v5, v5, s16
	v_mul_lo_u32 v11, v11, s18
	s_delay_alu instid0(VALU_DEP_1) | instskip(NEXT) | instid1(VALU_DEP_1)
	v_sub_nc_u32_e32 v5, v5, v11
	v_cmp_lt_u32_e32 vcc_lo, s20, v5
	v_cmpx_ge_u32_e64 s20, v5
	s_cbranch_execz .LBB1393_52
; %bb.51:
	v_add_nc_u32_e32 v5, s22, v21
	v_add_nc_u32_e32 v11, s38, v21
	s_delay_alu instid0(VALU_DEP_2) | instskip(NEXT) | instid1(VALU_DEP_2)
	v_mul_lo_u32 v5, v5, s21
	v_mul_lo_u32 v11, v11, s23
	s_delay_alu instid0(VALU_DEP_1) | instskip(NEXT) | instid1(VALU_DEP_1)
	v_sub_nc_u32_e32 v5, v5, v11
	v_cmp_lt_u32_e64 s0, s39, v5
	s_and_b32 s3, s0, exec_lo
.LBB1393_52:
	s_wait_alu 0xfffe
	s_or_b32 exec_lo, exec_lo, s4
	v_lshrrev_b32_e32 v10, 24, v10
	v_cndmask_b32_e64 v11, 0, 1, s3
	v_lshrrev_b32_e32 v27, 8, v12
	v_lshrrev_b32_e32 v28, 16, v12
	s_wait_alu 0xfffd
	v_cndmask_b32_e64 v5, 0, 1, vcc_lo
	v_lshlrev_b16 v26, 8, v26
	v_lshlrev_b16 v10, 8, v10
	v_and_b32_e32 v12, 0xff, v12
	v_lshlrev_b16 v27, 8, v27
	v_lshlrev_b16 v11, 8, v11
	v_and_b32_e32 v28, 0xff, v28
	v_or_b32_e32 v25, v25, v26
	v_or_b32_e32 v5, v5, v10
	;; [unrolled: 1-line block ×3, first 2 shown]
	s_delay_alu instid0(VALU_DEP_4) | instskip(NEXT) | instid1(VALU_DEP_4)
	v_or_b32_e32 v11, v28, v11
	v_and_b32_e32 v12, 0xffff, v25
	s_delay_alu instid0(VALU_DEP_4) | instskip(NEXT) | instid1(VALU_DEP_4)
	v_lshlrev_b32_e32 v5, 16, v5
	v_and_b32_e32 v10, 0xffff, v10
	s_delay_alu instid0(VALU_DEP_4) | instskip(NEXT) | instid1(VALU_DEP_3)
	v_lshlrev_b32_e32 v25, 16, v11
	v_or_b32_e32 v11, v12, v5
	s_delay_alu instid0(VALU_DEP_2)
	v_or_b32_e32 v5, v10, v25
.LBB1393_53:
	s_wait_alu 0xfffe
	s_or_b32 exec_lo, exec_lo, s1
	v_add_nc_u32_e32 v10, 3, v46
	v_lshrrev_b32_e32 v12, 24, v9
	v_lshrrev_b32_e32 v25, 16, v9
	;; [unrolled: 1-line block ×3, first 2 shown]
                                        ; implicit-def: $vgpr47
	s_delay_alu instid0(VALU_DEP_4)
	v_cmp_le_u32_e32 vcc_lo, s27, v10
                                        ; implicit-def: $vgpr10
	s_and_saveexec_b32 s0, vcc_lo
	s_wait_alu 0xfffe
	s_xor_b32 s0, exec_lo, s0
	s_cbranch_execz .LBB1393_55
; %bb.54:
	v_lshlrev_b16 v10, 8, v12
	v_and_b32_e32 v12, 0xff, v25
	v_lshlrev_b16 v9, 8, v9
	v_perm_b32 v8, v8, v8, 0x3060504
	v_perm_b32 v7, v7, v7, 0x3060504
                                        ; implicit-def: $vgpr25
	s_delay_alu instid0(VALU_DEP_4) | instskip(SKIP_2) | instid1(VALU_DEP_3)
	v_or_b32_e32 v10, v12, v10
	v_and_b32_e32 v12, 0xff0000, v11
	v_and_b32_e32 v9, 0xffff, v9
	v_lshlrev_b32_e32 v10, 16, v10
	s_delay_alu instid0(VALU_DEP_3) | instskip(NEXT) | instid1(VALU_DEP_2)
	v_perm_b32 v47, v11, v12, 0x3020504
                                        ; implicit-def: $vgpr11
                                        ; implicit-def: $vgpr12
	v_or_b32_e32 v10, v9, v10
                                        ; implicit-def: $vgpr9
.LBB1393_55:
	s_wait_alu 0xfffe
	s_and_not1_saveexec_b32 s1, s0
	s_cbranch_execz .LBB1393_59
; %bb.56:
	v_add_nc_u32_e32 v10, s17, v22
	v_add_nc_u32_e32 v26, s19, v22
	s_mov_b32 s3, 0
	s_mov_b32 s4, exec_lo
	s_delay_alu instid0(VALU_DEP_2) | instskip(NEXT) | instid1(VALU_DEP_2)
	v_mul_lo_u32 v10, v10, s16
	v_mul_lo_u32 v26, v26, s18
	s_delay_alu instid0(VALU_DEP_1) | instskip(NEXT) | instid1(VALU_DEP_1)
	v_sub_nc_u32_e32 v10, v10, v26
	v_cmp_lt_u32_e32 vcc_lo, s20, v10
	v_cmpx_ge_u32_e64 s20, v10
	s_cbranch_execz .LBB1393_58
; %bb.57:
	v_add_nc_u32_e32 v10, s22, v22
	v_add_nc_u32_e32 v26, s38, v22
	s_delay_alu instid0(VALU_DEP_2) | instskip(NEXT) | instid1(VALU_DEP_2)
	v_mul_lo_u32 v10, v10, s21
	v_mul_lo_u32 v26, v26, s23
	s_delay_alu instid0(VALU_DEP_1) | instskip(NEXT) | instid1(VALU_DEP_1)
	v_sub_nc_u32_e32 v10, v10, v26
	v_cmp_lt_u32_e64 s0, s39, v10
	s_and_b32 s3, s0, exec_lo
.LBB1393_58:
	s_wait_alu 0xfffe
	s_or_b32 exec_lo, exec_lo, s4
	v_lshrrev_b32_e32 v10, 8, v11
	s_wait_alu 0xfffd
	v_cndmask_b32_e64 v26, 0, 1, vcc_lo
	v_lshrrev_b32_e32 v27, 16, v11
	v_cndmask_b32_e64 v28, 0, 1, s3
	v_and_b32_e32 v11, 0xff, v11
	v_lshlrev_b16 v10, 8, v10
	v_lshlrev_b16 v26, 8, v26
	v_and_b32_e32 v27, 0xff, v27
	v_lshlrev_b16 v12, 8, v12
	v_and_b32_e32 v25, 0xff, v25
	v_lshlrev_b16 v9, 8, v9
	v_or_b32_e32 v10, v11, v10
	v_or_b32_e32 v11, v27, v26
	s_delay_alu instid0(VALU_DEP_4) | instskip(NEXT) | instid1(VALU_DEP_4)
	v_or_b32_e32 v12, v25, v12
	v_or_b32_e32 v9, v28, v9
	s_delay_alu instid0(VALU_DEP_4) | instskip(NEXT) | instid1(VALU_DEP_4)
	v_and_b32_e32 v10, 0xffff, v10
	v_lshlrev_b32_e32 v11, 16, v11
	s_delay_alu instid0(VALU_DEP_4) | instskip(NEXT) | instid1(VALU_DEP_4)
	v_lshlrev_b32_e32 v12, 16, v12
	v_and_b32_e32 v9, 0xffff, v9
	s_delay_alu instid0(VALU_DEP_3) | instskip(NEXT) | instid1(VALU_DEP_2)
	v_or_b32_e32 v47, v10, v11
	v_or_b32_e32 v10, v9, v12
.LBB1393_59:
	s_wait_alu 0xfffe
	s_or_b32 exec_lo, exec_lo, s1
	v_add_nc_u32_e32 v9, 4, v46
	v_lshrrev_b32_e32 v25, 8, v8
	v_lshrrev_b32_e32 v26, 16, v8
	;; [unrolled: 1-line block ×4, first 2 shown]
	v_cmp_le_u32_e32 vcc_lo, s27, v9
	v_lshrrev_b32_e32 v12, 16, v10
                                        ; implicit-def: $vgpr8
                                        ; implicit-def: $vgpr9
	s_and_saveexec_b32 s0, vcc_lo
	s_wait_alu 0xfffe
	s_xor_b32 s0, exec_lo, s0
	s_cbranch_execz .LBB1393_61
; %bb.60:
	v_lshlrev_b16 v8, 8, v27
	v_and_b32_e32 v9, 0xff, v26
	v_lshlrev_b16 v25, 8, v25
	v_lshlrev_b16 v11, 8, v11
	v_and_b32_e32 v12, 0xff, v12
	v_perm_b32 v7, v7, v7, 0x3060504
	v_or_b32_e32 v8, v9, v8
	v_and_b32_e32 v9, 0xffff, v25
                                        ; implicit-def: $vgpr25
                                        ; implicit-def: $vgpr26
                                        ; implicit-def: $vgpr27
	s_delay_alu instid0(VALU_DEP_4) | instskip(NEXT) | instid1(VALU_DEP_3)
	v_or_b32_e32 v11, v12, v11
	v_lshlrev_b32_e32 v12, 16, v8
	s_delay_alu instid0(VALU_DEP_2) | instskip(NEXT) | instid1(VALU_DEP_2)
	v_perm_b32 v8, v11, v10, 0x5040c00
                                        ; implicit-def: $vgpr10
                                        ; implicit-def: $vgpr11
	v_or_b32_e32 v9, v9, v12
                                        ; implicit-def: $vgpr12
.LBB1393_61:
	s_wait_alu 0xfffe
	s_and_not1_saveexec_b32 s1, s0
	s_cbranch_execz .LBB1393_65
; %bb.62:
	v_add_nc_u32_e32 v8, s17, v19
	v_add_nc_u32_e32 v9, s19, v19
	s_mov_b32 s3, 0
	s_mov_b32 s4, exec_lo
	s_delay_alu instid0(VALU_DEP_2) | instskip(NEXT) | instid1(VALU_DEP_2)
	v_mul_lo_u32 v8, v8, s16
	v_mul_lo_u32 v9, v9, s18
	s_delay_alu instid0(VALU_DEP_1) | instskip(NEXT) | instid1(VALU_DEP_1)
	v_sub_nc_u32_e32 v8, v8, v9
	v_cmp_lt_u32_e32 vcc_lo, s20, v8
	v_cmpx_ge_u32_e64 s20, v8
	s_cbranch_execz .LBB1393_64
; %bb.63:
	v_add_nc_u32_e32 v8, s22, v19
	v_add_nc_u32_e32 v9, s38, v19
	s_delay_alu instid0(VALU_DEP_2) | instskip(NEXT) | instid1(VALU_DEP_2)
	v_mul_lo_u32 v8, v8, s21
	v_mul_lo_u32 v9, v9, s23
	s_delay_alu instid0(VALU_DEP_1) | instskip(NEXT) | instid1(VALU_DEP_1)
	v_sub_nc_u32_e32 v8, v8, v9
	v_cmp_lt_u32_e64 s0, s39, v8
	s_and_b32 s3, s0, exec_lo
.LBB1393_64:
	s_wait_alu 0xfffe
	s_or_b32 exec_lo, exec_lo, s4
	v_cndmask_b32_e64 v8, 0, 1, s3
	s_wait_alu 0xfffd
	v_cndmask_b32_e64 v9, 0, 1, vcc_lo
	v_lshlrev_b16 v27, 8, v27
	v_and_b32_e32 v26, 0xff, v26
	v_lshlrev_b16 v25, 8, v25
	v_lshlrev_b16 v8, 8, v8
	v_and_b32_e32 v10, 0xff, v10
	v_lshlrev_b16 v11, 8, v11
	v_and_b32_e32 v12, 0xff, v12
	v_or_b32_e32 v26, v26, v27
	v_or_b32_e32 v9, v9, v25
	;; [unrolled: 1-line block ×3, first 2 shown]
	s_delay_alu instid0(VALU_DEP_4) | instskip(NEXT) | instid1(VALU_DEP_4)
	v_or_b32_e32 v10, v12, v11
	v_lshlrev_b32_e32 v11, 16, v26
	s_delay_alu instid0(VALU_DEP_4) | instskip(NEXT) | instid1(VALU_DEP_4)
	v_and_b32_e32 v9, 0xffff, v9
	v_and_b32_e32 v8, 0xffff, v8
	s_delay_alu instid0(VALU_DEP_4) | instskip(NEXT) | instid1(VALU_DEP_3)
	v_lshlrev_b32_e32 v10, 16, v10
	v_or_b32_e32 v9, v9, v11
	s_delay_alu instid0(VALU_DEP_2)
	v_or_b32_e32 v8, v8, v10
.LBB1393_65:
	s_wait_alu 0xfffe
	s_or_b32 exec_lo, exec_lo, s1
	v_add_nc_u32_e32 v10, 5, v46
	v_lshrrev_b32_e32 v25, 16, v9
	v_lshrrev_b32_e32 v27, 24, v9
	v_and_b32_e32 v12, 0xff, v8
	v_lshrrev_b32_e32 v26, 8, v8
	v_cmp_le_u32_e32 vcc_lo, s27, v10
                                        ; implicit-def: $vgpr10
                                        ; implicit-def: $vgpr11
	s_and_saveexec_b32 s0, vcc_lo
	s_wait_alu 0xfffe
	s_xor_b32 s0, exec_lo, s0
	s_cbranch_execz .LBB1393_67
; %bb.66:
	v_lshlrev_b16 v10, 8, v26
	v_lshlrev_b16 v11, 8, v27
	v_and_b32_e32 v25, 0xff, v25
	v_perm_b32 v7, v7, v7, 0x3060504
                                        ; implicit-def: $vgpr27
                                        ; implicit-def: $vgpr26
	s_delay_alu instid0(VALU_DEP_4) | instskip(NEXT) | instid1(VALU_DEP_3)
	v_or_b32_e32 v10, v12, v10
                                        ; implicit-def: $vgpr12
	v_or_b32_e32 v11, v25, v11
                                        ; implicit-def: $vgpr25
	s_delay_alu instid0(VALU_DEP_2) | instskip(NEXT) | instid1(VALU_DEP_2)
	v_and_b32_e32 v10, 0xffff, v10
	v_perm_b32 v11, v11, v9, 0x5040c00
                                        ; implicit-def: $vgpr9
	s_delay_alu instid0(VALU_DEP_2)
	v_and_or_b32 v10, 0xff000000, v8, v10
                                        ; implicit-def: $vgpr8
.LBB1393_67:
	s_wait_alu 0xfffe
	s_and_not1_saveexec_b32 s1, s0
	s_cbranch_execz .LBB1393_71
; %bb.68:
	v_add_nc_u32_e32 v10, s17, v20
	v_add_nc_u32_e32 v11, s19, v20
	s_mov_b32 s3, 0
	s_mov_b32 s4, exec_lo
	s_delay_alu instid0(VALU_DEP_2) | instskip(NEXT) | instid1(VALU_DEP_2)
	v_mul_lo_u32 v10, v10, s16
	v_mul_lo_u32 v11, v11, s18
	s_delay_alu instid0(VALU_DEP_1) | instskip(NEXT) | instid1(VALU_DEP_1)
	v_sub_nc_u32_e32 v10, v10, v11
	v_cmp_lt_u32_e32 vcc_lo, s20, v10
	v_cmpx_ge_u32_e64 s20, v10
	s_cbranch_execz .LBB1393_70
; %bb.69:
	v_add_nc_u32_e32 v10, s22, v20
	v_add_nc_u32_e32 v11, s38, v20
	s_delay_alu instid0(VALU_DEP_2) | instskip(NEXT) | instid1(VALU_DEP_2)
	v_mul_lo_u32 v10, v10, s21
	v_mul_lo_u32 v11, v11, s23
	s_delay_alu instid0(VALU_DEP_1) | instskip(NEXT) | instid1(VALU_DEP_1)
	v_sub_nc_u32_e32 v10, v10, v11
	v_cmp_lt_u32_e64 s0, s39, v10
	s_and_b32 s3, s0, exec_lo
.LBB1393_70:
	s_wait_alu 0xfffe
	s_or_b32 exec_lo, exec_lo, s4
	s_wait_alu 0xfffd
	v_cndmask_b32_e64 v10, 0, 1, vcc_lo
	v_lshrrev_b32_e32 v8, 24, v8
	v_cndmask_b32_e64 v11, 0, 1, s3
	v_lshlrev_b16 v27, 8, v27
	v_and_b32_e32 v25, 0xff, v25
	v_lshlrev_b16 v10, 8, v10
	v_lshlrev_b16 v26, 8, v26
	v_and_b32_e32 v9, 0xff, v9
	v_lshlrev_b16 v8, 8, v8
	v_or_b32_e32 v25, v25, v27
	s_delay_alu instid0(VALU_DEP_4) | instskip(NEXT) | instid1(VALU_DEP_4)
	v_or_b32_e32 v12, v12, v26
	v_or_b32_e32 v9, v9, v10
	s_delay_alu instid0(VALU_DEP_4) | instskip(NEXT) | instid1(VALU_DEP_4)
	v_or_b32_e32 v8, v11, v8
	v_lshlrev_b32_e32 v10, 16, v25
	s_delay_alu instid0(VALU_DEP_4) | instskip(NEXT) | instid1(VALU_DEP_4)
	v_and_b32_e32 v12, 0xffff, v12
	v_and_b32_e32 v9, 0xffff, v9
	s_delay_alu instid0(VALU_DEP_4) | instskip(NEXT) | instid1(VALU_DEP_2)
	v_lshlrev_b32_e32 v8, 16, v8
	v_or_b32_e32 v11, v9, v10
	s_delay_alu instid0(VALU_DEP_2)
	v_or_b32_e32 v10, v12, v8
.LBB1393_71:
	s_wait_alu 0xfffe
	s_or_b32 exec_lo, exec_lo, s1
	v_add_nc_u32_e32 v8, 6, v46
	v_lshrrev_b32_e32 v12, 8, v11
                                        ; implicit-def: $vgpr48
                                        ; implicit-def: $vgpr9
	s_delay_alu instid0(VALU_DEP_2)
	v_cmp_le_u32_e32 vcc_lo, s27, v8
	v_and_b32_e32 v8, 0xff, v11
	s_and_saveexec_b32 s0, vcc_lo
	s_wait_alu 0xfffe
	s_xor_b32 s0, exec_lo, s0
	s_cbranch_execz .LBB1393_73
; %bb.72:
	v_lshlrev_b16 v9, 8, v12
	v_perm_b32 v7, v7, v7, 0x3060504
                                        ; implicit-def: $vgpr12
	s_delay_alu instid0(VALU_DEP_2) | instskip(SKIP_1) | instid1(VALU_DEP_2)
	v_or_b32_e32 v8, v8, v9
	v_and_b32_e32 v9, 0xff0000, v10
	v_and_b32_e32 v8, 0xffff, v8
	s_delay_alu instid0(VALU_DEP_2) | instskip(NEXT) | instid1(VALU_DEP_2)
	v_perm_b32 v48, v10, v9, 0x3020504
                                        ; implicit-def: $vgpr10
	v_and_or_b32 v9, 0xff000000, v11, v8
                                        ; implicit-def: $vgpr8
                                        ; implicit-def: $vgpr11
.LBB1393_73:
	s_wait_alu 0xfffe
	s_and_not1_saveexec_b32 s1, s0
	s_cbranch_execz .LBB1393_77
; %bb.74:
	v_add_nc_u32_e32 v9, s17, v17
	v_add_nc_u32_e32 v25, s19, v17
	s_mov_b32 s3, 0
	s_mov_b32 s4, exec_lo
	s_delay_alu instid0(VALU_DEP_2) | instskip(NEXT) | instid1(VALU_DEP_2)
	v_mul_lo_u32 v9, v9, s16
	v_mul_lo_u32 v25, v25, s18
	s_delay_alu instid0(VALU_DEP_1) | instskip(NEXT) | instid1(VALU_DEP_1)
	v_sub_nc_u32_e32 v9, v9, v25
	v_cmp_lt_u32_e32 vcc_lo, s20, v9
	v_cmpx_ge_u32_e64 s20, v9
	s_cbranch_execz .LBB1393_76
; %bb.75:
	v_add_nc_u32_e32 v9, s22, v17
	v_add_nc_u32_e32 v25, s38, v17
	s_delay_alu instid0(VALU_DEP_2) | instskip(NEXT) | instid1(VALU_DEP_2)
	v_mul_lo_u32 v9, v9, s21
	v_mul_lo_u32 v25, v25, s23
	s_delay_alu instid0(VALU_DEP_1) | instskip(NEXT) | instid1(VALU_DEP_1)
	v_sub_nc_u32_e32 v9, v9, v25
	v_cmp_lt_u32_e64 s0, s39, v9
	s_and_b32 s3, s0, exec_lo
.LBB1393_76:
	s_wait_alu 0xfffe
	s_or_b32 exec_lo, exec_lo, s4
	v_lshrrev_b32_e32 v11, 24, v11
	v_cndmask_b32_e64 v25, 0, 1, s3
	v_lshrrev_b32_e32 v26, 8, v10
	v_lshrrev_b32_e32 v27, 16, v10
	s_wait_alu 0xfffd
	v_cndmask_b32_e64 v9, 0, 1, vcc_lo
	v_lshlrev_b16 v12, 8, v12
	v_lshlrev_b16 v11, 8, v11
	v_and_b32_e32 v10, 0xff, v10
	v_lshlrev_b16 v26, 8, v26
	v_lshlrev_b16 v25, 8, v25
	v_and_b32_e32 v27, 0xff, v27
	v_or_b32_e32 v8, v8, v12
	v_or_b32_e32 v9, v9, v11
	;; [unrolled: 1-line block ×3, first 2 shown]
	s_delay_alu instid0(VALU_DEP_4) | instskip(NEXT) | instid1(VALU_DEP_4)
	v_or_b32_e32 v11, v27, v25
	v_and_b32_e32 v8, 0xffff, v8
	s_delay_alu instid0(VALU_DEP_4) | instskip(NEXT) | instid1(VALU_DEP_4)
	v_lshlrev_b32_e32 v9, 16, v9
	v_and_b32_e32 v10, 0xffff, v10
	s_delay_alu instid0(VALU_DEP_4) | instskip(NEXT) | instid1(VALU_DEP_3)
	v_lshlrev_b32_e32 v11, 16, v11
	v_or_b32_e32 v9, v8, v9
	s_delay_alu instid0(VALU_DEP_2)
	v_or_b32_e32 v48, v10, v11
.LBB1393_77:
	s_wait_alu 0xfffe
	s_or_b32 exec_lo, exec_lo, s1
	v_add_nc_u32_e32 v8, 7, v46
	v_lshrrev_b32_e32 v10, 8, v7
	v_lshrrev_b32_e32 v11, 16, v7
	v_lshrrev_b32_e32 v7, 24, v7
                                        ; implicit-def: $vgpr49
	s_delay_alu instid0(VALU_DEP_4)
	v_cmp_le_u32_e32 vcc_lo, s27, v8
                                        ; implicit-def: $vgpr8
	s_and_saveexec_b32 s0, vcc_lo
	s_wait_alu 0xfffe
	s_xor_b32 s0, exec_lo, s0
	s_cbranch_execz .LBB1393_79
; %bb.78:
	v_lshlrev_b16 v7, 8, v7
	v_and_b32_e32 v8, 0xff, v11
                                        ; implicit-def: $vgpr11
	s_delay_alu instid0(VALU_DEP_1) | instskip(SKIP_2) | instid1(VALU_DEP_3)
	v_or_b32_e32 v7, v8, v7
	v_lshlrev_b16 v8, 8, v10
	v_and_b32_e32 v10, 0xff0000, v9
	v_lshlrev_b32_e32 v7, 16, v7
	s_delay_alu instid0(VALU_DEP_3) | instskip(NEXT) | instid1(VALU_DEP_3)
	v_and_b32_e32 v8, 0xffff, v8
	v_perm_b32 v49, v9, v10, 0x3020504
                                        ; implicit-def: $vgpr9
                                        ; implicit-def: $vgpr10
	s_delay_alu instid0(VALU_DEP_2)
	v_or_b32_e32 v8, v8, v7
                                        ; implicit-def: $vgpr7
.LBB1393_79:
	s_wait_alu 0xfffe
	s_and_not1_saveexec_b32 s1, s0
	s_cbranch_execz .LBB1393_83
; %bb.80:
	v_add_nc_u32_e32 v8, s17, v18
	v_add_nc_u32_e32 v12, s19, v18
	s_mov_b32 s3, 0
	s_mov_b32 s4, exec_lo
	s_delay_alu instid0(VALU_DEP_2) | instskip(NEXT) | instid1(VALU_DEP_2)
	v_mul_lo_u32 v8, v8, s16
	v_mul_lo_u32 v12, v12, s18
	s_delay_alu instid0(VALU_DEP_1) | instskip(NEXT) | instid1(VALU_DEP_1)
	v_sub_nc_u32_e32 v8, v8, v12
	v_cmp_lt_u32_e32 vcc_lo, s20, v8
	v_cmpx_ge_u32_e64 s20, v8
	s_cbranch_execz .LBB1393_82
; %bb.81:
	v_add_nc_u32_e32 v8, s22, v18
	v_add_nc_u32_e32 v12, s38, v18
	s_delay_alu instid0(VALU_DEP_2) | instskip(NEXT) | instid1(VALU_DEP_2)
	v_mul_lo_u32 v8, v8, s21
	v_mul_lo_u32 v12, v12, s23
	s_delay_alu instid0(VALU_DEP_1) | instskip(NEXT) | instid1(VALU_DEP_1)
	v_sub_nc_u32_e32 v8, v8, v12
	v_cmp_lt_u32_e64 s0, s39, v8
	s_and_b32 s3, s0, exec_lo
.LBB1393_82:
	s_wait_alu 0xfffe
	s_or_b32 exec_lo, exec_lo, s4
	v_lshrrev_b32_e32 v8, 8, v9
	s_wait_alu 0xfffd
	v_cndmask_b32_e64 v12, 0, 1, vcc_lo
	v_lshrrev_b32_e32 v25, 16, v9
	v_cndmask_b32_e64 v26, 0, 1, s3
	v_and_b32_e32 v9, 0xff, v9
	v_lshlrev_b16 v8, 8, v8
	v_lshlrev_b16 v12, 8, v12
	v_and_b32_e32 v25, 0xff, v25
	v_lshlrev_b16 v7, 8, v7
	v_and_b32_e32 v11, 0xff, v11
	v_lshlrev_b16 v10, 8, v10
	v_or_b32_e32 v8, v9, v8
	v_or_b32_e32 v9, v25, v12
	s_delay_alu instid0(VALU_DEP_4) | instskip(NEXT) | instid1(VALU_DEP_4)
	v_or_b32_e32 v7, v11, v7
	v_or_b32_e32 v10, v26, v10
	s_delay_alu instid0(VALU_DEP_4) | instskip(NEXT) | instid1(VALU_DEP_4)
	v_and_b32_e32 v8, 0xffff, v8
	v_lshlrev_b32_e32 v9, 16, v9
	s_delay_alu instid0(VALU_DEP_4) | instskip(NEXT) | instid1(VALU_DEP_4)
	v_lshlrev_b32_e32 v7, 16, v7
	v_and_b32_e32 v10, 0xffff, v10
	s_delay_alu instid0(VALU_DEP_3) | instskip(NEXT) | instid1(VALU_DEP_2)
	v_or_b32_e32 v49, v8, v9
	v_or_b32_e32 v8, v10, v7
.LBB1393_83:
	s_wait_alu 0xfffe
	s_or_b32 exec_lo, exec_lo, s1
	v_add_nc_u32_e32 v7, 8, v46
	s_delay_alu instid0(VALU_DEP_2)
	v_lshrrev_b32_e32 v9, 16, v8
	v_lshrrev_b32_e32 v10, 24, v8
	;; [unrolled: 1-line block ×4, first 2 shown]
	v_cmp_le_u32_e32 vcc_lo, s27, v7
	v_lshrrev_b32_e32 v11, 8, v6
                                        ; implicit-def: $vgpr6
                                        ; implicit-def: $vgpr7
	s_and_saveexec_b32 s0, vcc_lo
	s_wait_alu 0xfffe
	s_xor_b32 s0, exec_lo, s0
	s_cbranch_execz .LBB1393_85
; %bb.84:
	v_lshlrev_b16 v6, 8, v12
	v_and_b32_e32 v7, 0xff, v25
	v_lshlrev_b16 v11, 8, v11
	v_lshlrev_b16 v10, 8, v10
	v_perm_b32 v5, v5, v5, 0x3060504
                                        ; implicit-def: $vgpr12
                                        ; implicit-def: $vgpr25
	s_delay_alu instid0(VALU_DEP_4) | instskip(SKIP_2) | instid1(VALU_DEP_3)
	v_or_b32_e32 v6, v7, v6
	v_and_b32_e32 v7, 0xff, v9
	v_and_b32_e32 v9, 0xffff, v11
                                        ; implicit-def: $vgpr11
	v_lshlrev_b32_e32 v6, 16, v6
	s_delay_alu instid0(VALU_DEP_3) | instskip(NEXT) | instid1(VALU_DEP_2)
	v_or_b32_e32 v10, v7, v10
	v_or_b32_e32 v7, v9, v6
	s_delay_alu instid0(VALU_DEP_2)
	v_perm_b32 v6, v10, v8, 0x5040c00
                                        ; implicit-def: $vgpr8
                                        ; implicit-def: $vgpr9
                                        ; implicit-def: $vgpr10
.LBB1393_85:
	s_wait_alu 0xfffe
	s_and_not1_saveexec_b32 s1, s0
	s_cbranch_execz .LBB1393_89
; %bb.86:
	v_add_nc_u32_e32 v6, s17, v15
	v_add_nc_u32_e32 v7, s19, v15
	s_mov_b32 s3, 0
	s_mov_b32 s4, exec_lo
	s_delay_alu instid0(VALU_DEP_2) | instskip(NEXT) | instid1(VALU_DEP_2)
	v_mul_lo_u32 v6, v6, s16
	v_mul_lo_u32 v7, v7, s18
	s_delay_alu instid0(VALU_DEP_1) | instskip(NEXT) | instid1(VALU_DEP_1)
	v_sub_nc_u32_e32 v6, v6, v7
	v_cmp_lt_u32_e32 vcc_lo, s20, v6
	v_cmpx_ge_u32_e64 s20, v6
	s_cbranch_execz .LBB1393_88
; %bb.87:
	v_add_nc_u32_e32 v6, s22, v15
	v_add_nc_u32_e32 v7, s38, v15
	s_delay_alu instid0(VALU_DEP_2) | instskip(NEXT) | instid1(VALU_DEP_2)
	v_mul_lo_u32 v6, v6, s21
	v_mul_lo_u32 v7, v7, s23
	s_delay_alu instid0(VALU_DEP_1) | instskip(NEXT) | instid1(VALU_DEP_1)
	v_sub_nc_u32_e32 v6, v6, v7
	v_cmp_lt_u32_e64 s0, s39, v6
	s_and_b32 s3, s0, exec_lo
.LBB1393_88:
	s_wait_alu 0xfffe
	s_or_b32 exec_lo, exec_lo, s4
	v_cndmask_b32_e64 v6, 0, 1, s3
	s_wait_alu 0xfffd
	v_cndmask_b32_e64 v7, 0, 1, vcc_lo
	v_lshlrev_b16 v12, 8, v12
	v_and_b32_e32 v25, 0xff, v25
	v_lshlrev_b16 v11, 8, v11
	v_lshlrev_b16 v6, 8, v6
	v_and_b32_e32 v8, 0xff, v8
	v_lshlrev_b16 v10, 8, v10
	v_and_b32_e32 v9, 0xff, v9
	v_or_b32_e32 v12, v25, v12
	v_or_b32_e32 v7, v7, v11
	;; [unrolled: 1-line block ×3, first 2 shown]
	s_delay_alu instid0(VALU_DEP_4) | instskip(NEXT) | instid1(VALU_DEP_4)
	v_or_b32_e32 v8, v9, v10
	v_lshlrev_b32_e32 v9, 16, v12
	s_delay_alu instid0(VALU_DEP_4) | instskip(NEXT) | instid1(VALU_DEP_4)
	v_and_b32_e32 v7, 0xffff, v7
	v_and_b32_e32 v6, 0xffff, v6
	s_delay_alu instid0(VALU_DEP_4) | instskip(NEXT) | instid1(VALU_DEP_3)
	v_lshlrev_b32_e32 v8, 16, v8
	v_or_b32_e32 v7, v7, v9
	s_delay_alu instid0(VALU_DEP_2)
	v_or_b32_e32 v6, v6, v8
.LBB1393_89:
	s_wait_alu 0xfffe
	s_or_b32 exec_lo, exec_lo, s1
	v_add_nc_u32_e32 v8, 9, v46
	s_delay_alu instid0(VALU_DEP_2)
	v_lshrrev_b32_e32 v10, 8, v6
	v_lshrrev_b32_e32 v25, 24, v7
	;; [unrolled: 1-line block ×3, first 2 shown]
	v_and_b32_e32 v11, 0xff, v6
	v_cmp_le_u32_e32 vcc_lo, s27, v8
                                        ; implicit-def: $vgpr8
                                        ; implicit-def: $vgpr9
	s_and_saveexec_b32 s0, vcc_lo
	s_wait_alu 0xfffe
	s_xor_b32 s0, exec_lo, s0
	s_cbranch_execz .LBB1393_91
; %bb.90:
	v_lshlrev_b16 v8, 8, v10
	v_lshlrev_b16 v9, 8, v25
	v_and_b32_e32 v10, 0xff, v12
	v_perm_b32 v5, v5, v5, 0x3060504
                                        ; implicit-def: $vgpr25
                                        ; implicit-def: $vgpr12
	s_delay_alu instid0(VALU_DEP_4) | instskip(NEXT) | instid1(VALU_DEP_3)
	v_or_b32_e32 v8, v11, v8
                                        ; implicit-def: $vgpr11
	v_or_b32_e32 v9, v10, v9
                                        ; implicit-def: $vgpr10
	s_delay_alu instid0(VALU_DEP_2) | instskip(NEXT) | instid1(VALU_DEP_2)
	v_and_b32_e32 v8, 0xffff, v8
	v_perm_b32 v9, v9, v7, 0x5040c00
                                        ; implicit-def: $vgpr7
	s_delay_alu instid0(VALU_DEP_2)
	v_and_or_b32 v8, 0xff000000, v6, v8
                                        ; implicit-def: $vgpr6
.LBB1393_91:
	s_wait_alu 0xfffe
	s_and_not1_saveexec_b32 s1, s0
	s_cbranch_execz .LBB1393_95
; %bb.92:
	v_add_nc_u32_e32 v8, s17, v16
	v_add_nc_u32_e32 v9, s19, v16
	s_mov_b32 s3, 0
	s_mov_b32 s4, exec_lo
	s_delay_alu instid0(VALU_DEP_2) | instskip(NEXT) | instid1(VALU_DEP_2)
	v_mul_lo_u32 v8, v8, s16
	v_mul_lo_u32 v9, v9, s18
	s_delay_alu instid0(VALU_DEP_1) | instskip(NEXT) | instid1(VALU_DEP_1)
	v_sub_nc_u32_e32 v8, v8, v9
	v_cmp_lt_u32_e32 vcc_lo, s20, v8
	v_cmpx_ge_u32_e64 s20, v8
	s_cbranch_execz .LBB1393_94
; %bb.93:
	v_add_nc_u32_e32 v8, s22, v16
	v_add_nc_u32_e32 v9, s38, v16
	s_delay_alu instid0(VALU_DEP_2) | instskip(NEXT) | instid1(VALU_DEP_2)
	v_mul_lo_u32 v8, v8, s21
	v_mul_lo_u32 v9, v9, s23
	s_delay_alu instid0(VALU_DEP_1) | instskip(NEXT) | instid1(VALU_DEP_1)
	v_sub_nc_u32_e32 v8, v8, v9
	v_cmp_lt_u32_e64 s0, s39, v8
	s_and_b32 s3, s0, exec_lo
.LBB1393_94:
	s_wait_alu 0xfffe
	s_or_b32 exec_lo, exec_lo, s4
	s_wait_alu 0xfffd
	v_cndmask_b32_e64 v8, 0, 1, vcc_lo
	v_lshrrev_b32_e32 v6, 24, v6
	v_cndmask_b32_e64 v9, 0, 1, s3
	v_lshlrev_b16 v25, 8, v25
	v_and_b32_e32 v12, 0xff, v12
	v_lshlrev_b16 v8, 8, v8
	v_lshlrev_b16 v10, 8, v10
	v_and_b32_e32 v7, 0xff, v7
	v_lshlrev_b16 v6, 8, v6
	v_or_b32_e32 v12, v12, v25
	s_delay_alu instid0(VALU_DEP_4) | instskip(NEXT) | instid1(VALU_DEP_4)
	v_or_b32_e32 v10, v11, v10
	v_or_b32_e32 v7, v7, v8
	s_delay_alu instid0(VALU_DEP_4) | instskip(NEXT) | instid1(VALU_DEP_4)
	v_or_b32_e32 v6, v9, v6
	v_lshlrev_b32_e32 v8, 16, v12
	s_delay_alu instid0(VALU_DEP_4) | instskip(NEXT) | instid1(VALU_DEP_4)
	v_and_b32_e32 v10, 0xffff, v10
	v_and_b32_e32 v7, 0xffff, v7
	s_delay_alu instid0(VALU_DEP_4) | instskip(NEXT) | instid1(VALU_DEP_2)
	v_lshlrev_b32_e32 v6, 16, v6
	v_or_b32_e32 v9, v7, v8
	s_delay_alu instid0(VALU_DEP_2)
	v_or_b32_e32 v8, v10, v6
.LBB1393_95:
	s_wait_alu 0xfffe
	s_or_b32 exec_lo, exec_lo, s1
	v_add_nc_u32_e32 v6, 10, v46
	v_and_b32_e32 v7, 0xff, v9
	v_lshrrev_b32_e32 v10, 8, v9
                                        ; implicit-def: $vgpr51
	s_delay_alu instid0(VALU_DEP_3)
	v_cmp_le_u32_e32 vcc_lo, s27, v6
                                        ; implicit-def: $vgpr6
	s_and_saveexec_b32 s0, vcc_lo
	s_wait_alu 0xfffe
	s_xor_b32 s0, exec_lo, s0
	s_cbranch_execz .LBB1393_97
; %bb.96:
	v_lshlrev_b16 v6, 8, v10
	v_perm_b32 v5, v5, v5, 0x3060504
                                        ; implicit-def: $vgpr10
	s_delay_alu instid0(VALU_DEP_2) | instskip(SKIP_1) | instid1(VALU_DEP_2)
	v_or_b32_e32 v6, v7, v6
	v_and_b32_e32 v7, 0xff0000, v8
	v_and_b32_e32 v6, 0xffff, v6
	s_delay_alu instid0(VALU_DEP_2) | instskip(NEXT) | instid1(VALU_DEP_2)
	v_perm_b32 v51, v8, v7, 0x3020504
                                        ; implicit-def: $vgpr7
                                        ; implicit-def: $vgpr8
	v_and_or_b32 v6, 0xff000000, v9, v6
                                        ; implicit-def: $vgpr9
.LBB1393_97:
	s_wait_alu 0xfffe
	s_and_not1_saveexec_b32 s1, s0
	s_cbranch_execz .LBB1393_101
; %bb.98:
	v_add_nc_u32_e32 v6, s17, v13
	v_add_nc_u32_e32 v11, s19, v13
	s_mov_b32 s3, 0
	s_mov_b32 s4, exec_lo
	s_delay_alu instid0(VALU_DEP_2) | instskip(NEXT) | instid1(VALU_DEP_2)
	v_mul_lo_u32 v6, v6, s16
	v_mul_lo_u32 v11, v11, s18
	s_delay_alu instid0(VALU_DEP_1) | instskip(NEXT) | instid1(VALU_DEP_1)
	v_sub_nc_u32_e32 v6, v6, v11
	v_cmp_lt_u32_e32 vcc_lo, s20, v6
	v_cmpx_ge_u32_e64 s20, v6
	s_cbranch_execz .LBB1393_100
; %bb.99:
	v_add_nc_u32_e32 v6, s22, v13
	v_add_nc_u32_e32 v11, s38, v13
	s_delay_alu instid0(VALU_DEP_2) | instskip(NEXT) | instid1(VALU_DEP_2)
	v_mul_lo_u32 v6, v6, s21
	v_mul_lo_u32 v11, v11, s23
	s_delay_alu instid0(VALU_DEP_1) | instskip(NEXT) | instid1(VALU_DEP_1)
	v_sub_nc_u32_e32 v6, v6, v11
	v_cmp_lt_u32_e64 s0, s39, v6
	s_and_b32 s3, s0, exec_lo
.LBB1393_100:
	s_wait_alu 0xfffe
	s_or_b32 exec_lo, exec_lo, s4
	v_lshrrev_b32_e32 v9, 24, v9
	v_cndmask_b32_e64 v11, 0, 1, s3
	v_lshrrev_b32_e32 v12, 8, v8
	v_lshrrev_b32_e32 v25, 16, v8
	s_wait_alu 0xfffd
	v_cndmask_b32_e64 v6, 0, 1, vcc_lo
	v_lshlrev_b16 v10, 8, v10
	v_lshlrev_b16 v9, 8, v9
	v_and_b32_e32 v8, 0xff, v8
	v_lshlrev_b16 v12, 8, v12
	v_lshlrev_b16 v11, 8, v11
	v_and_b32_e32 v25, 0xff, v25
	v_or_b32_e32 v7, v7, v10
	v_or_b32_e32 v6, v6, v9
	v_or_b32_e32 v8, v8, v12
	s_delay_alu instid0(VALU_DEP_4) | instskip(NEXT) | instid1(VALU_DEP_4)
	v_or_b32_e32 v9, v25, v11
	v_and_b32_e32 v7, 0xffff, v7
	s_delay_alu instid0(VALU_DEP_4) | instskip(NEXT) | instid1(VALU_DEP_4)
	v_lshlrev_b32_e32 v6, 16, v6
	v_and_b32_e32 v8, 0xffff, v8
	s_delay_alu instid0(VALU_DEP_4) | instskip(NEXT) | instid1(VALU_DEP_3)
	v_lshlrev_b32_e32 v9, 16, v9
	v_or_b32_e32 v6, v7, v6
	s_delay_alu instid0(VALU_DEP_2)
	v_or_b32_e32 v51, v8, v9
.LBB1393_101:
	s_wait_alu 0xfffe
	s_or_b32 exec_lo, exec_lo, s1
	v_dual_mov_b32 v50, 0 :: v_dual_add_nc_u32 v7, 11, v46
	s_mov_b32 s0, exec_lo
                                        ; implicit-def: $vgpr52
	s_delay_alu instid0(VALU_DEP_1)
	v_cmpx_le_u32_e64 s27, v7
	s_wait_alu 0xfffe
	s_xor_b32 s0, exec_lo, s0
; %bb.102:
	v_and_b32_e32 v7, 0xff0000, v6
	v_perm_b32 v5, v5, v5, 0x3060504
	s_delay_alu instid0(VALU_DEP_2)
	v_perm_b32 v52, v6, v7, 0x3020504
                                        ; implicit-def: $vgpr6
; %bb.103:
	s_wait_alu 0xfffe
	s_and_not1_saveexec_b32 s1, s0
	s_cbranch_execz .LBB1393_107
; %bb.104:
	v_add_nc_u32_e32 v7, s17, v14
	v_add_nc_u32_e32 v8, s19, v14
	s_mov_b32 s3, 0
	s_mov_b32 s4, exec_lo
	s_delay_alu instid0(VALU_DEP_2) | instskip(NEXT) | instid1(VALU_DEP_2)
	v_mul_lo_u32 v7, v7, s16
	v_mul_lo_u32 v8, v8, s18
	s_delay_alu instid0(VALU_DEP_1) | instskip(NEXT) | instid1(VALU_DEP_1)
	v_sub_nc_u32_e32 v7, v7, v8
	v_cmp_lt_u32_e32 vcc_lo, s20, v7
	v_cmpx_ge_u32_e64 s20, v7
	s_cbranch_execz .LBB1393_106
; %bb.105:
	v_add_nc_u32_e32 v7, s22, v14
	v_add_nc_u32_e32 v8, s38, v14
	s_delay_alu instid0(VALU_DEP_2) | instskip(NEXT) | instid1(VALU_DEP_2)
	v_mul_lo_u32 v7, v7, s21
	v_mul_lo_u32 v8, v8, s23
	s_delay_alu instid0(VALU_DEP_1) | instskip(NEXT) | instid1(VALU_DEP_1)
	v_sub_nc_u32_e32 v7, v7, v8
	v_cmp_lt_u32_e64 s0, s39, v7
	s_and_b32 s3, s0, exec_lo
.LBB1393_106:
	s_wait_alu 0xfffe
	s_or_b32 exec_lo, exec_lo, s4
	v_lshrrev_b32_e32 v7, 8, v6
	s_wait_alu 0xfffd
	v_cndmask_b32_e64 v8, 0, 1, vcc_lo
	v_lshrrev_b32_e32 v9, 16, v6
	v_and_b32_e32 v6, 0xff, v6
	v_cndmask_b32_e64 v50, 0, 1, s3
	v_lshlrev_b16 v7, 8, v7
	v_lshlrev_b16 v8, 8, v8
	v_and_b32_e32 v9, 0xff, v9
	s_delay_alu instid0(VALU_DEP_3) | instskip(NEXT) | instid1(VALU_DEP_2)
	v_or_b32_e32 v6, v6, v7
	v_or_b32_e32 v7, v9, v8
	s_delay_alu instid0(VALU_DEP_2) | instskip(NEXT) | instid1(VALU_DEP_2)
	v_and_b32_e32 v6, 0xffff, v6
	v_lshlrev_b32_e32 v7, 16, v7
	s_delay_alu instid0(VALU_DEP_1)
	v_or_b32_e32 v52, v6, v7
.LBB1393_107:
	s_wait_alu 0xfffe
	s_or_b32 exec_lo, exec_lo, s1
	v_add_nc_u32_e32 v8, 12, v46
	v_lshrrev_b32_e32 v6, 8, v5
	v_lshrrev_b32_e32 v7, 16, v5
	;; [unrolled: 1-line block ×3, first 2 shown]
	s_mov_b32 s0, exec_lo
                                        ; implicit-def: $vgpr54
	v_cmpx_le_u32_e64 s27, v8
	s_wait_alu 0xfffe
	s_xor_b32 s0, exec_lo, s0
	s_cbranch_execz .LBB1393_109
; %bb.108:
	v_lshlrev_b16 v5, 8, v5
	v_and_b32_e32 v7, 0xff, v7
	v_lshlrev_b16 v6, 8, v6
	s_delay_alu instid0(VALU_DEP_2) | instskip(NEXT) | instid1(VALU_DEP_2)
	v_or_b32_e32 v5, v7, v5
	v_and_b32_e32 v6, 0xffff, v6
                                        ; implicit-def: $vgpr7
	s_delay_alu instid0(VALU_DEP_2) | instskip(NEXT) | instid1(VALU_DEP_1)
	v_lshlrev_b32_e32 v5, 16, v5
	v_or_b32_e32 v54, v6, v5
                                        ; implicit-def: $vgpr5
                                        ; implicit-def: $vgpr6
.LBB1393_109:
	s_wait_alu 0xfffe
	s_or_saveexec_b32 s1, s0
	v_mov_b32_e32 v53, 0
	s_wait_alu 0xfffe
	s_xor_b32 exec_lo, exec_lo, s1
	s_cbranch_execz .LBB1393_113
; %bb.110:
	v_add_nc_u32_e32 v8, s17, v45
	v_add_nc_u32_e32 v9, s19, v45
	s_mov_b32 s3, 0
	s_mov_b32 s4, exec_lo
	s_delay_alu instid0(VALU_DEP_2) | instskip(NEXT) | instid1(VALU_DEP_2)
	v_mul_lo_u32 v8, v8, s16
	v_mul_lo_u32 v9, v9, s18
	s_delay_alu instid0(VALU_DEP_1) | instskip(NEXT) | instid1(VALU_DEP_1)
	v_sub_nc_u32_e32 v8, v8, v9
	v_cmp_lt_u32_e32 vcc_lo, s20, v8
	v_cmpx_ge_u32_e64 s20, v8
	s_cbranch_execz .LBB1393_112
; %bb.111:
	v_add_nc_u32_e32 v8, s22, v45
	v_add_nc_u32_e32 v9, s38, v45
	s_delay_alu instid0(VALU_DEP_2) | instskip(NEXT) | instid1(VALU_DEP_2)
	v_mul_lo_u32 v8, v8, s21
	v_mul_lo_u32 v9, v9, s23
	s_delay_alu instid0(VALU_DEP_1) | instskip(NEXT) | instid1(VALU_DEP_1)
	v_sub_nc_u32_e32 v8, v8, v9
	v_cmp_lt_u32_e64 s0, s39, v8
	s_and_b32 s3, s0, exec_lo
.LBB1393_112:
	s_wait_alu 0xfffe
	s_or_b32 exec_lo, exec_lo, s4
	s_wait_alu 0xfffd
	v_cndmask_b32_e64 v8, 0, 1, vcc_lo
	v_lshlrev_b16 v5, 8, v5
	v_and_b32_e32 v7, 0xff, v7
	v_lshlrev_b16 v6, 8, v6
	v_cndmask_b32_e64 v53, 0, 1, s3
	s_delay_alu instid0(VALU_DEP_3) | instskip(NEXT) | instid1(VALU_DEP_3)
	v_or_b32_e32 v5, v7, v5
	v_or_b32_e32 v6, v8, v6
	s_delay_alu instid0(VALU_DEP_2) | instskip(NEXT) | instid1(VALU_DEP_2)
	v_lshlrev_b32_e32 v5, 16, v5
	v_and_b32_e32 v6, 0xffff, v6
	s_delay_alu instid0(VALU_DEP_1)
	v_or_b32_e32 v54, v6, v5
.LBB1393_113:
	s_or_b32 exec_lo, exec_lo, s1
.LBB1393_114:
	v_and_b32_e32 v77, 0xff, v47
	s_delay_alu instid0(VALU_DEP_2)
	v_bfe_u32 v78, v54, 8, 8
	v_bfe_u32 v74, v47, 8, 8
	;; [unrolled: 1-line block ×4, first 2 shown]
	v_lshrrev_b32_e32 v60, 24, v54
	v_lshrrev_b32_e32 v59, 24, v47
	v_and_b32_e32 v73, 0xff, v48
	v_and_b32_e32 v71, 0xff, v49
	v_bfe_u32 v72, v48, 8, 8
	v_add3_u32 v5, v74, v77, v76
	v_add3_u32 v6, v75, v78, v60
	v_bfe_u32 v69, v49, 8, 8
	v_bfe_u32 v70, v48, 16, 8
	;; [unrolled: 1-line block ×3, first 2 shown]
	v_lshrrev_b32_e32 v58, 24, v48
	v_add3_u32 v5, v5, v59, v71
	v_add3_u32 v6, v6, v73, v72
	v_lshrrev_b32_e32 v57, 24, v49
	v_and_b32_e32 v68, 0xff, v51
	v_and_b32_e32 v66, 0xff, v52
	v_bfe_u32 v67, v51, 8, 8
	v_add3_u32 v5, v5, v69, v65
	v_add3_u32 v6, v6, v70, v58
	v_bfe_u32 v63, v52, 8, 8
	v_bfe_u32 v64, v51, 16, 8
	;; [unrolled: 1-line block ×3, first 2 shown]
	v_lshrrev_b32_e32 v56, 24, v51
	v_add3_u32 v5, v5, v57, v66
	v_add3_u32 v6, v6, v68, v67
	v_mbcnt_lo_u32_b32 v79, -1, 0
	v_lshrrev_b32_e32 v55, 24, v52
	v_and_b32_e32 v61, 0xff, v50
	v_and_b32_e32 v7, 0xff, v54
	;; [unrolled: 1-line block ×3, first 2 shown]
	v_add3_u32 v5, v5, v63, v62
	v_add3_u32 v6, v6, v64, v56
	v_and_b32_e32 v81, 15, v79
	v_and_b32_e32 v83, 16, v79
	v_lshrrev_b32_e32 v80, 5, v0
	v_add3_u32 v84, v5, v55, v7
	v_add3_u32 v85, v6, v61, v8
	v_cmp_eq_u32_e64 s1, 0, v81
	v_cmp_lt_u32_e64 s0, 1, v81
	v_cmp_lt_u32_e64 s3, 3, v81
	v_or_b32_e32 v82, 31, v0
	s_cmp_lg_u32 s33, 0
	s_mov_b32 s4, -1
	v_cmp_lt_u32_e32 vcc_lo, 7, v81
	s_cbranch_scc0 .LBB1393_135
; %bb.115:
	v_mov_b32_dpp v6, v84 row_shr:1 row_mask:0xf bank_mask:0xf
	v_mov_b32_dpp v5, v85 row_shr:1 row_mask:0xf bank_mask:0xf
	s_mov_b32 s4, exec_lo
	s_delay_alu instid0(VALU_DEP_2) | instskip(SKIP_1) | instid1(VALU_DEP_1)
	v_add_nc_u32_e32 v6, v6, v84
	s_wait_alu 0xf1ff
	v_cndmask_b32_e64 v6, v6, v84, s1
	s_delay_alu instid0(VALU_DEP_1) | instskip(NEXT) | instid1(VALU_DEP_1)
	v_mov_b32_dpp v8, v6 row_shr:2 row_mask:0xf bank_mask:0xf
	v_add_nc_u32_e32 v8, v6, v8
	s_delay_alu instid0(VALU_DEP_1) | instskip(NEXT) | instid1(VALU_DEP_1)
	v_cndmask_b32_e64 v6, v6, v8, s0
	v_mov_b32_dpp v8, v6 row_shr:4 row_mask:0xf bank_mask:0xf
	s_delay_alu instid0(VALU_DEP_1) | instskip(NEXT) | instid1(VALU_DEP_1)
	v_add_nc_u32_e32 v8, v6, v8
	v_cndmask_b32_e64 v6, v6, v8, s3
	s_delay_alu instid0(VALU_DEP_1) | instskip(NEXT) | instid1(VALU_DEP_1)
	v_mov_b32_dpp v8, v6 row_shr:8 row_mask:0xf bank_mask:0xf
	v_add_nc_u32_e32 v8, v6, v8
	s_wait_alu 0xfffd
	s_delay_alu instid0(VALU_DEP_1) | instskip(NEXT) | instid1(VALU_DEP_1)
	v_dual_cndmask_b32 v6, v6, v8 :: v_dual_add_nc_u32 v5, v5, v85
	v_cndmask_b32_e64 v5, v5, v85, s1
	ds_swizzle_b32 v8, v6 offset:swizzle(BROADCAST,32,15)
	v_mov_b32_dpp v7, v5 row_shr:2 row_mask:0xf bank_mask:0xf
	s_delay_alu instid0(VALU_DEP_1) | instskip(NEXT) | instid1(VALU_DEP_1)
	v_add_nc_u32_e32 v7, v5, v7
	v_cndmask_b32_e64 v5, v5, v7, s0
	s_delay_alu instid0(VALU_DEP_1) | instskip(SKIP_2) | instid1(VALU_DEP_2)
	v_mov_b32_dpp v7, v5 row_shr:4 row_mask:0xf bank_mask:0xf
	s_wait_dscnt 0x0
	v_add_nc_u32_e32 v8, v6, v8
	v_add_nc_u32_e32 v7, v5, v7
	s_delay_alu instid0(VALU_DEP_1) | instskip(NEXT) | instid1(VALU_DEP_1)
	v_cndmask_b32_e64 v5, v5, v7, s3
	v_mov_b32_dpp v7, v5 row_shr:8 row_mask:0xf bank_mask:0xf
	s_delay_alu instid0(VALU_DEP_1) | instskip(NEXT) | instid1(VALU_DEP_1)
	v_add_nc_u32_e32 v7, v5, v7
	v_cndmask_b32_e32 v5, v5, v7, vcc_lo
	v_cmp_eq_u32_e32 vcc_lo, 0, v83
	ds_swizzle_b32 v7, v5 offset:swizzle(BROADCAST,32,15)
	s_wait_dscnt 0x0
	v_add_nc_u32_e32 v7, v5, v7
	v_cmpx_eq_u32_e64 v0, v82
; %bb.116:
	s_wait_alu 0xfffd
	s_delay_alu instid0(VALU_DEP_2)
	v_dual_cndmask_b32 v10, v7, v5 :: v_dual_lshlrev_b32 v11, 3, v80
	v_cndmask_b32_e32 v9, v8, v6, vcc_lo
	ds_store_b64 v11, v[9:10]
; %bb.117:
	s_wait_alu 0xfffe
	s_or_b32 exec_lo, exec_lo, s4
	s_delay_alu instid0(SALU_CYCLE_1)
	s_mov_b32 s4, exec_lo
	s_wait_loadcnt_dscnt 0x0
	s_barrier_signal -1
	s_barrier_wait -1
	global_inv scope:SCOPE_SE
	v_cmpx_gt_u32_e32 8, v0
	s_cbranch_execz .LBB1393_119
; %bb.118:
	v_lshlrev_b32_e32 v11, 3, v0
	v_and_b32_e32 v26, 7, v79
	ds_load_b64 v[9:10], v11
	v_cmp_eq_u32_e64 s3, 0, v26
	s_wait_dscnt 0x0
	v_mov_b32_dpp v12, v9 row_shr:1 row_mask:0xf bank_mask:0xf
	v_mov_b32_dpp v25, v10 row_shr:1 row_mask:0xf bank_mask:0xf
	s_delay_alu instid0(VALU_DEP_2) | instskip(NEXT) | instid1(VALU_DEP_2)
	v_add_nc_u32_e32 v12, v12, v9
	v_add_nc_u32_e32 v25, v25, v10
	s_wait_alu 0xf1ff
	s_delay_alu instid0(VALU_DEP_2) | instskip(NEXT) | instid1(VALU_DEP_2)
	v_cndmask_b32_e64 v9, v12, v9, s3
	v_cndmask_b32_e64 v10, v25, v10, s3
	v_cmp_lt_u32_e64 s3, 1, v26
	s_delay_alu instid0(VALU_DEP_3) | instskip(NEXT) | instid1(VALU_DEP_3)
	v_mov_b32_dpp v12, v9 row_shr:2 row_mask:0xf bank_mask:0xf
	v_mov_b32_dpp v25, v10 row_shr:2 row_mask:0xf bank_mask:0xf
	s_delay_alu instid0(VALU_DEP_2) | instskip(NEXT) | instid1(VALU_DEP_2)
	v_add_nc_u32_e32 v12, v9, v12
	v_add_nc_u32_e32 v25, v10, v25
	s_wait_alu 0xf1ff
	s_delay_alu instid0(VALU_DEP_2) | instskip(NEXT) | instid1(VALU_DEP_2)
	v_cndmask_b32_e64 v9, v9, v12, s3
	v_cndmask_b32_e64 v10, v10, v25, s3
	v_cmp_lt_u32_e64 s3, 3, v26
	s_delay_alu instid0(VALU_DEP_3) | instskip(NEXT) | instid1(VALU_DEP_3)
	v_mov_b32_dpp v12, v9 row_shr:4 row_mask:0xf bank_mask:0xf
	v_mov_b32_dpp v25, v10 row_shr:4 row_mask:0xf bank_mask:0xf
	s_wait_alu 0xf1ff
	s_delay_alu instid0(VALU_DEP_2) | instskip(NEXT) | instid1(VALU_DEP_2)
	v_cndmask_b32_e64 v12, 0, v12, s3
	v_cndmask_b32_e64 v25, 0, v25, s3
	s_delay_alu instid0(VALU_DEP_2) | instskip(NEXT) | instid1(VALU_DEP_2)
	v_add_nc_u32_e32 v9, v12, v9
	v_add_nc_u32_e32 v10, v25, v10
	ds_store_b64 v11, v[9:10]
.LBB1393_119:
	s_wait_alu 0xfffe
	s_or_b32 exec_lo, exec_lo, s4
	v_dual_cndmask_b32 v5, v7, v5 :: v_dual_cndmask_b32 v6, v8, v6
	s_mov_b32 s4, exec_lo
	v_cmp_gt_u32_e32 vcc_lo, 32, v0
	s_wait_loadcnt_dscnt 0x0
	s_barrier_signal -1
	s_barrier_wait -1
	global_inv scope:SCOPE_SE
                                        ; implicit-def: $vgpr25
	v_cmpx_lt_u32_e32 31, v0
	s_cbranch_execz .LBB1393_121
; %bb.120:
	v_lshl_add_u32 v7, v80, 3, -8
	ds_load_b64 v[25:26], v7
	s_wait_dscnt 0x0
	v_add_nc_u32_e32 v5, v26, v5
	v_add_nc_u32_e32 v6, v25, v6
.LBB1393_121:
	s_wait_alu 0xfffe
	s_or_b32 exec_lo, exec_lo, s4
	v_sub_co_u32 v7, s3, v79, 1
	s_delay_alu instid0(VALU_DEP_1) | instskip(SKIP_1) | instid1(VALU_DEP_1)
	v_cmp_gt_i32_e64 s4, 0, v7
	s_wait_alu 0xf1ff
	v_cndmask_b32_e64 v7, v7, v79, s4
	s_delay_alu instid0(VALU_DEP_1)
	v_lshlrev_b32_e32 v7, 2, v7
	ds_bpermute_b32 v86, v7, v6
	ds_bpermute_b32 v87, v7, v5
	s_and_saveexec_b32 s4, vcc_lo
	s_cbranch_execz .LBB1393_140
; %bb.122:
	v_mov_b32_e32 v8, 0
	ds_load_b64 v[5:6], v8 offset:56
	s_and_saveexec_b32 s5, s3
	s_cbranch_execz .LBB1393_124
; %bb.123:
	s_add_co_i32 s6, s33, 32
	s_mov_b32 s7, 0
	s_wait_alu 0xfffe
	s_lshl_b64 s[6:7], s[6:7], 4
	s_wait_alu 0xfffe
	s_add_nc_u64 s[6:7], s[36:37], s[6:7]
	s_wait_alu 0xfffe
	v_dual_mov_b32 v7, 1 :: v_dual_mov_b32 v10, s7
	v_mov_b32_e32 v9, s6
	s_wait_dscnt 0x0
	;;#ASMSTART
	global_store_b128 v[9:10], v[5:8] off scope:SCOPE_DEV	
s_wait_storecnt 0x0
	;;#ASMEND
.LBB1393_124:
	s_wait_alu 0xfffe
	s_or_b32 exec_lo, exec_lo, s5
	v_xad_u32 v27, v79, -1, s33
	s_mov_b32 s6, 0
	s_mov_b32 s5, exec_lo
	s_delay_alu instid0(VALU_DEP_1) | instskip(NEXT) | instid1(VALU_DEP_1)
	v_add_nc_u32_e32 v7, 32, v27
	v_lshlrev_b64_e32 v[7:8], 4, v[7:8]
	s_delay_alu instid0(VALU_DEP_1) | instskip(SKIP_1) | instid1(VALU_DEP_2)
	v_add_co_u32 v7, vcc_lo, s36, v7
	s_wait_alu 0xfffd
	v_add_co_ci_u32_e64 v8, null, s37, v8, vcc_lo
	;;#ASMSTART
	global_load_b128 v[9:12], v[7:8] off scope:SCOPE_DEV	
s_wait_loadcnt 0x0
	;;#ASMEND
	v_and_b32_e32 v12, 0xff, v11
	s_delay_alu instid0(VALU_DEP_1)
	v_cmpx_eq_u16_e32 0, v12
	s_cbranch_execz .LBB1393_127
.LBB1393_125:                           ; =>This Inner Loop Header: Depth=1
	;;#ASMSTART
	global_load_b128 v[9:12], v[7:8] off scope:SCOPE_DEV	
s_wait_loadcnt 0x0
	;;#ASMEND
	v_and_b32_e32 v12, 0xff, v11
	s_delay_alu instid0(VALU_DEP_1)
	v_cmp_ne_u16_e32 vcc_lo, 0, v12
	s_wait_alu 0xfffe
	s_or_b32 s6, vcc_lo, s6
	s_wait_alu 0xfffe
	s_and_not1_b32 exec_lo, exec_lo, s6
	s_cbranch_execnz .LBB1393_125
; %bb.126:
	s_or_b32 exec_lo, exec_lo, s6
.LBB1393_127:
	s_wait_alu 0xfffe
	s_or_b32 exec_lo, exec_lo, s5
	v_cmp_ne_u32_e32 vcc_lo, 31, v79
	v_lshlrev_b32_e64 v89, v79, -1
	v_add_nc_u32_e32 v91, 2, v79
	v_add_nc_u32_e32 v93, 4, v79
	;; [unrolled: 1-line block ×3, first 2 shown]
	s_wait_alu 0xfffd
	v_add_co_ci_u32_e64 v7, null, 0, v79, vcc_lo
	v_lshl_or_b32 v96, v79, 2, 64
	v_add_nc_u32_e32 v97, 16, v79
	s_delay_alu instid0(VALU_DEP_3) | instskip(SKIP_4) | instid1(VALU_DEP_1)
	v_lshlrev_b32_e32 v88, 2, v7
	ds_bpermute_b32 v8, v88, v10
	s_wait_dscnt 0x0
	v_add_nc_u32_e32 v8, v8, v10
	v_and_b32_e32 v7, 0xff, v11
	v_cmp_eq_u16_e32 vcc_lo, 2, v7
	ds_bpermute_b32 v7, v88, v9
	s_wait_dscnt 0x0
	v_add_nc_u32_e32 v7, v7, v9
	s_wait_alu 0xfffd
	v_and_b32_e32 v12, vcc_lo, v89
	v_cmp_gt_u32_e32 vcc_lo, 30, v79
	s_delay_alu instid0(VALU_DEP_2) | instskip(SKIP_2) | instid1(VALU_DEP_2)
	v_or_b32_e32 v12, 0x80000000, v12
	s_wait_alu 0xfffd
	v_cndmask_b32_e64 v28, 0, 2, vcc_lo
	v_ctz_i32_b32_e32 v12, v12
	s_delay_alu instid0(VALU_DEP_2) | instskip(NEXT) | instid1(VALU_DEP_2)
	v_add_lshl_u32 v90, v28, v79, 2
	v_cmp_lt_u32_e32 vcc_lo, v79, v12
	s_wait_alu 0xfffd
	v_dual_cndmask_b32 v8, v10, v8 :: v_dual_cndmask_b32 v7, v9, v7
	v_cmp_gt_u32_e32 vcc_lo, 28, v79
	ds_bpermute_b32 v9, v90, v8
	ds_bpermute_b32 v10, v90, v7
	s_wait_alu 0xfffd
	v_cndmask_b32_e64 v28, 0, 4, vcc_lo
	v_cmp_gt_u32_e32 vcc_lo, v91, v12
	s_delay_alu instid0(VALU_DEP_2)
	v_add_lshl_u32 v92, v28, v79, 2
	s_wait_dscnt 0x1
	v_add_nc_u32_e32 v9, v8, v9
	s_wait_dscnt 0x0
	v_add_nc_u32_e32 v10, v7, v10
	s_wait_alu 0xfffd
	s_delay_alu instid0(VALU_DEP_1)
	v_dual_cndmask_b32 v8, v9, v8 :: v_dual_cndmask_b32 v7, v10, v7
	v_cmp_gt_u32_e32 vcc_lo, 24, v79
	ds_bpermute_b32 v9, v92, v8
	ds_bpermute_b32 v10, v92, v7
	s_wait_alu 0xfffd
	v_cndmask_b32_e64 v28, 0, 8, vcc_lo
	v_cmp_gt_u32_e32 vcc_lo, v93, v12
	s_delay_alu instid0(VALU_DEP_2)
	v_add_lshl_u32 v94, v28, v79, 2
	s_wait_dscnt 0x1
	v_dual_mov_b32 v28, 0 :: v_dual_add_nc_u32 v9, v8, v9
	s_wait_dscnt 0x0
	v_add_nc_u32_e32 v10, v7, v10
	s_wait_alu 0xfffd
	s_delay_alu instid0(VALU_DEP_1)
	v_dual_cndmask_b32 v8, v9, v8 :: v_dual_cndmask_b32 v7, v10, v7
	v_cmp_gt_u32_e32 vcc_lo, v95, v12
	ds_bpermute_b32 v9, v94, v8
	ds_bpermute_b32 v10, v94, v7
	s_wait_dscnt 0x1
	v_add_nc_u32_e32 v9, v8, v9
	s_wait_dscnt 0x0
	v_add_nc_u32_e32 v10, v7, v10
	s_wait_alu 0xfffd
	s_delay_alu instid0(VALU_DEP_1)
	v_dual_cndmask_b32 v8, v9, v8 :: v_dual_cndmask_b32 v7, v10, v7
	v_cmp_le_u32_e32 vcc_lo, v97, v12
	ds_bpermute_b32 v10, v96, v8
	ds_bpermute_b32 v9, v96, v7
	s_wait_dscnt 0x0
	s_wait_alu 0xfffd
	v_dual_cndmask_b32 v10, 0, v10 :: v_dual_cndmask_b32 v9, 0, v9
	s_delay_alu instid0(VALU_DEP_1) | instskip(NEXT) | instid1(VALU_DEP_2)
	v_add_nc_u32_e32 v10, v10, v8
	v_add_nc_u32_e32 v9, v9, v7
	s_branch .LBB1393_131
.LBB1393_128:                           ;   in Loop: Header=BB1393_131 Depth=1
	s_or_b32 exec_lo, exec_lo, s6
.LBB1393_129:                           ;   in Loop: Header=BB1393_131 Depth=1
	s_wait_alu 0xfffe
	s_or_b32 exec_lo, exec_lo, s5
	ds_bpermute_b32 v12, v88, v9
	ds_bpermute_b32 v29, v88, v10
	v_subrev_nc_u32_e32 v27, 32, v27
	s_mov_b32 s5, 0
	s_wait_dscnt 0x1
	v_add_nc_u32_e32 v12, v12, v9
	v_and_b32_e32 v30, 0xff, v11
	s_wait_dscnt 0x0
	v_add_nc_u32_e32 v29, v29, v10
	s_delay_alu instid0(VALU_DEP_2) | instskip(SKIP_2) | instid1(VALU_DEP_1)
	v_cmp_eq_u16_e32 vcc_lo, 2, v30
	s_wait_alu 0xfffd
	v_and_or_b32 v30, vcc_lo, v89, 0x80000000
	v_ctz_i32_b32_e32 v30, v30
	s_delay_alu instid0(VALU_DEP_1)
	v_cmp_lt_u32_e32 vcc_lo, v79, v30
	s_wait_alu 0xfffd
	v_dual_cndmask_b32 v10, v10, v29 :: v_dual_cndmask_b32 v9, v9, v12
	v_cmp_gt_u32_e32 vcc_lo, v91, v30
	ds_bpermute_b32 v29, v90, v10
	ds_bpermute_b32 v12, v90, v9
	s_wait_dscnt 0x1
	v_add_nc_u32_e32 v29, v10, v29
	s_wait_dscnt 0x0
	v_add_nc_u32_e32 v12, v9, v12
	s_wait_alu 0xfffd
	s_delay_alu instid0(VALU_DEP_1)
	v_dual_cndmask_b32 v10, v29, v10 :: v_dual_cndmask_b32 v9, v12, v9
	v_cmp_gt_u32_e32 vcc_lo, v93, v30
	ds_bpermute_b32 v29, v92, v10
	ds_bpermute_b32 v12, v92, v9
	s_wait_dscnt 0x1
	v_add_nc_u32_e32 v29, v10, v29
	s_wait_dscnt 0x0
	v_add_nc_u32_e32 v12, v9, v12
	s_wait_alu 0xfffd
	s_delay_alu instid0(VALU_DEP_1)
	;; [unrolled: 10-line block ×3, first 2 shown]
	v_dual_cndmask_b32 v10, v29, v10 :: v_dual_cndmask_b32 v9, v12, v9
	v_cmp_le_u32_e32 vcc_lo, v97, v30
	ds_bpermute_b32 v29, v96, v10
	ds_bpermute_b32 v12, v96, v9
	s_wait_dscnt 0x0
	s_wait_alu 0xfffd
	v_dual_cndmask_b32 v29, 0, v29 :: v_dual_cndmask_b32 v12, 0, v12
	s_delay_alu instid0(VALU_DEP_1) | instskip(NEXT) | instid1(VALU_DEP_2)
	v_add3_u32 v10, v10, v8, v29
	v_add3_u32 v9, v9, v7, v12
.LBB1393_130:                           ;   in Loop: Header=BB1393_131 Depth=1
	s_wait_alu 0xfffe
	s_and_b32 vcc_lo, exec_lo, s5
	s_wait_alu 0xfffe
	s_cbranch_vccnz .LBB1393_136
.LBB1393_131:                           ; =>This Loop Header: Depth=1
                                        ;     Child Loop BB1393_134 Depth 2
	v_and_b32_e32 v7, 0xff, v11
	s_mov_b32 s5, -1
                                        ; implicit-def: $vgpr11
	s_delay_alu instid0(VALU_DEP_1)
	v_cmp_ne_u16_e32 vcc_lo, 2, v7
	v_dual_mov_b32 v7, v9 :: v_dual_mov_b32 v8, v10
                                        ; implicit-def: $vgpr9_vgpr10
	s_cmp_lg_u32 vcc_lo, exec_lo
	s_cbranch_scc1 .LBB1393_130
; %bb.132:                              ;   in Loop: Header=BB1393_131 Depth=1
	v_lshlrev_b64_e32 v[9:10], 4, v[27:28]
	s_mov_b32 s5, exec_lo
	s_delay_alu instid0(VALU_DEP_1) | instskip(SKIP_1) | instid1(VALU_DEP_2)
	v_add_co_u32 v29, vcc_lo, s36, v9
	s_wait_alu 0xfffd
	v_add_co_ci_u32_e64 v30, null, s37, v10, vcc_lo
	;;#ASMSTART
	global_load_b128 v[9:12], v[29:30] off scope:SCOPE_DEV	
s_wait_loadcnt 0x0
	;;#ASMEND
	v_and_b32_e32 v12, 0xff, v11
	s_delay_alu instid0(VALU_DEP_1)
	v_cmpx_eq_u16_e32 0, v12
	s_cbranch_execz .LBB1393_129
; %bb.133:                              ;   in Loop: Header=BB1393_131 Depth=1
	s_mov_b32 s6, 0
.LBB1393_134:                           ;   Parent Loop BB1393_131 Depth=1
                                        ; =>  This Inner Loop Header: Depth=2
	;;#ASMSTART
	global_load_b128 v[9:12], v[29:30] off scope:SCOPE_DEV	
s_wait_loadcnt 0x0
	;;#ASMEND
	v_and_b32_e32 v12, 0xff, v11
	s_delay_alu instid0(VALU_DEP_1)
	v_cmp_ne_u16_e32 vcc_lo, 0, v12
	s_wait_alu 0xfffe
	s_or_b32 s6, vcc_lo, s6
	s_wait_alu 0xfffe
	s_and_not1_b32 exec_lo, exec_lo, s6
	s_cbranch_execnz .LBB1393_134
	s_branch .LBB1393_128
.LBB1393_135:
                                        ; implicit-def: $vgpr29
                                        ; implicit-def: $vgpr7
                                        ; implicit-def: $vgpr86
	s_wait_alu 0xfffe
	s_and_b32 vcc_lo, exec_lo, s4
	s_wait_alu 0xfffe
	s_cbranch_vccnz .LBB1393_141
	s_branch .LBB1393_150
.LBB1393_136:
	s_and_saveexec_b32 s5, s3
	s_cbranch_execnz .LBB1393_378
; %bb.137:
	s_wait_alu 0xfffe
	s_or_b32 exec_lo, exec_lo, s5
	s_and_saveexec_b32 s5, s3
	s_cbranch_execnz .LBB1393_379
.LBB1393_138:
	s_wait_alu 0xfffe
	s_or_b32 exec_lo, exec_lo, s5
	s_delay_alu instid0(SALU_CYCLE_1)
	s_and_b32 exec_lo, exec_lo, s2
.LBB1393_139:
	v_mov_b32_e32 v5, 0
	ds_store_b64 v5, v[7:8] offset:56
.LBB1393_140:
	s_wait_alu 0xfffe
	s_or_b32 exec_lo, exec_lo, s4
	s_wait_dscnt 0x1
	v_cndmask_b32_e64 v12, v86, v25, s3
	v_mov_b32_e32 v5, 0
	s_wait_loadcnt_dscnt 0x0
	s_barrier_signal -1
	s_barrier_wait -1
	global_inv scope:SCOPE_SE
	ds_load_b64 v[9:10], v5 offset:56
	s_wait_loadcnt_dscnt 0x0
	s_barrier_signal -1
	s_barrier_wait -1
	global_inv scope:SCOPE_SE
	v_cndmask_b32_e64 v11, v87, v26, s3
	v_add_nc_u32_e32 v12, v9, v12
	ds_load_b128 v[5:8], v5 offset:13312
	v_add_nc_u32_e32 v11, v10, v11
	v_cndmask_b32_e64 v86, v12, v9, s2
	s_delay_alu instid0(VALU_DEP_2)
	v_cndmask_b32_e64 v29, v11, v10, s2
	s_branch .LBB1393_150
.LBB1393_141:
	s_wait_dscnt 0x0
	v_mov_b32_dpp v5, v84 row_shr:1 row_mask:0xf bank_mask:0xf
	v_cmp_lt_u32_e32 vcc_lo, 3, v81
	v_mov_b32_dpp v6, v85 row_shr:1 row_mask:0xf bank_mask:0xf
	s_delay_alu instid0(VALU_DEP_3) | instskip(NEXT) | instid1(VALU_DEP_1)
	v_add_nc_u32_e32 v5, v5, v84
	v_cndmask_b32_e64 v5, v5, v84, s1
	s_delay_alu instid0(VALU_DEP_1) | instskip(NEXT) | instid1(VALU_DEP_1)
	v_mov_b32_dpp v7, v5 row_shr:2 row_mask:0xf bank_mask:0xf
	v_add_nc_u32_e32 v7, v5, v7
	s_delay_alu instid0(VALU_DEP_1) | instskip(NEXT) | instid1(VALU_DEP_1)
	v_cndmask_b32_e64 v5, v5, v7, s0
	v_mov_b32_dpp v7, v5 row_shr:4 row_mask:0xf bank_mask:0xf
	s_delay_alu instid0(VALU_DEP_1) | instskip(SKIP_1) | instid1(VALU_DEP_1)
	v_add_nc_u32_e32 v7, v5, v7
	s_wait_alu 0xfffd
	v_dual_cndmask_b32 v7, v5, v7 :: v_dual_add_nc_u32 v6, v6, v85
	s_delay_alu instid0(VALU_DEP_1) | instskip(SKIP_1) | instid1(VALU_DEP_2)
	v_cndmask_b32_e64 v6, v6, v85, s1
	s_mov_b32 s1, exec_lo
	v_mov_b32_dpp v5, v7 row_shr:8 row_mask:0xf bank_mask:0xf
	s_delay_alu instid0(VALU_DEP_2) | instskip(NEXT) | instid1(VALU_DEP_2)
	v_mov_b32_dpp v8, v6 row_shr:2 row_mask:0xf bank_mask:0xf
	v_add_nc_u32_e32 v9, v7, v5
	s_delay_alu instid0(VALU_DEP_2) | instskip(NEXT) | instid1(VALU_DEP_1)
	v_add_nc_u32_e32 v8, v6, v8
	v_cndmask_b32_e64 v6, v6, v8, s0
	s_delay_alu instid0(VALU_DEP_1) | instskip(NEXT) | instid1(VALU_DEP_1)
	v_mov_b32_dpp v8, v6 row_shr:4 row_mask:0xf bank_mask:0xf
	v_add_nc_u32_e32 v8, v6, v8
	s_delay_alu instid0(VALU_DEP_1) | instskip(SKIP_1) | instid1(VALU_DEP_2)
	v_cndmask_b32_e32 v6, v6, v8, vcc_lo
	v_cmp_lt_u32_e32 vcc_lo, 7, v81
	v_mov_b32_dpp v8, v6 row_shr:8 row_mask:0xf bank_mask:0xf
	s_delay_alu instid0(VALU_DEP_1) | instskip(SKIP_1) | instid1(VALU_DEP_1)
	v_add_nc_u32_e32 v5, v6, v8
	s_wait_alu 0xfffd
	v_cndmask_b32_e32 v5, v6, v5, vcc_lo
	v_cndmask_b32_e32 v6, v7, v9, vcc_lo
	v_cmp_eq_u32_e32 vcc_lo, 0, v83
	ds_swizzle_b32 v7, v5 offset:swizzle(BROADCAST,32,15)
	ds_swizzle_b32 v8, v6 offset:swizzle(BROADCAST,32,15)
	s_wait_dscnt 0x1
	v_add_nc_u32_e32 v7, v5, v7
	s_wait_dscnt 0x0
	v_add_nc_u32_e32 v8, v6, v8
	v_cmpx_eq_u32_e64 v0, v82
; %bb.142:
	s_wait_alu 0xfffd
	s_delay_alu instid0(VALU_DEP_2)
	v_dual_cndmask_b32 v9, v8, v6 :: v_dual_cndmask_b32 v10, v7, v5
	v_lshlrev_b32_e32 v11, 3, v80
	ds_store_b64 v11, v[9:10]
; %bb.143:
	s_wait_alu 0xfffe
	s_or_b32 exec_lo, exec_lo, s1
	s_delay_alu instid0(SALU_CYCLE_1)
	s_mov_b32 s1, exec_lo
	s_wait_loadcnt_dscnt 0x0
	s_barrier_signal -1
	s_barrier_wait -1
	global_inv scope:SCOPE_SE
	v_cmpx_gt_u32_e32 8, v0
	s_cbranch_execz .LBB1393_145
; %bb.144:
	v_lshlrev_b32_e32 v11, 3, v0
	v_and_b32_e32 v26, 7, v79
	ds_load_b64 v[9:10], v11
	v_cmp_eq_u32_e64 s0, 0, v26
	s_wait_dscnt 0x0
	v_mov_b32_dpp v12, v9 row_shr:1 row_mask:0xf bank_mask:0xf
	v_mov_b32_dpp v25, v10 row_shr:1 row_mask:0xf bank_mask:0xf
	s_delay_alu instid0(VALU_DEP_2) | instskip(NEXT) | instid1(VALU_DEP_2)
	v_add_nc_u32_e32 v12, v12, v9
	v_add_nc_u32_e32 v25, v25, v10
	s_wait_alu 0xf1ff
	s_delay_alu instid0(VALU_DEP_2) | instskip(NEXT) | instid1(VALU_DEP_2)
	v_cndmask_b32_e64 v9, v12, v9, s0
	v_cndmask_b32_e64 v10, v25, v10, s0
	v_cmp_lt_u32_e64 s0, 1, v26
	s_delay_alu instid0(VALU_DEP_3) | instskip(NEXT) | instid1(VALU_DEP_3)
	v_mov_b32_dpp v12, v9 row_shr:2 row_mask:0xf bank_mask:0xf
	v_mov_b32_dpp v25, v10 row_shr:2 row_mask:0xf bank_mask:0xf
	s_delay_alu instid0(VALU_DEP_2) | instskip(NEXT) | instid1(VALU_DEP_2)
	v_add_nc_u32_e32 v12, v9, v12
	v_add_nc_u32_e32 v25, v10, v25
	s_wait_alu 0xf1ff
	s_delay_alu instid0(VALU_DEP_2) | instskip(NEXT) | instid1(VALU_DEP_2)
	v_cndmask_b32_e64 v9, v9, v12, s0
	v_cndmask_b32_e64 v10, v10, v25, s0
	v_cmp_lt_u32_e64 s0, 3, v26
	s_delay_alu instid0(VALU_DEP_3) | instskip(NEXT) | instid1(VALU_DEP_3)
	v_mov_b32_dpp v12, v9 row_shr:4 row_mask:0xf bank_mask:0xf
	v_mov_b32_dpp v25, v10 row_shr:4 row_mask:0xf bank_mask:0xf
	s_wait_alu 0xf1ff
	s_delay_alu instid0(VALU_DEP_2) | instskip(NEXT) | instid1(VALU_DEP_2)
	v_cndmask_b32_e64 v12, 0, v12, s0
	v_cndmask_b32_e64 v25, 0, v25, s0
	s_delay_alu instid0(VALU_DEP_2) | instskip(NEXT) | instid1(VALU_DEP_2)
	v_add_nc_u32_e32 v9, v12, v9
	v_add_nc_u32_e32 v10, v25, v10
	ds_store_b64 v11, v[9:10]
.LBB1393_145:
	s_wait_alu 0xfffe
	s_or_b32 exec_lo, exec_lo, s1
	v_dual_mov_b32 v11, 0 :: v_dual_mov_b32 v10, 0
	v_mov_b32_e32 v9, 0
	s_mov_b32 s1, exec_lo
	s_wait_loadcnt_dscnt 0x0
	s_barrier_signal -1
	s_barrier_wait -1
	global_inv scope:SCOPE_SE
	v_cmpx_lt_u32_e32 31, v0
; %bb.146:
	v_lshl_add_u32 v9, v80, 3, -8
	ds_load_b64 v[9:10], v9
; %bb.147:
	s_wait_alu 0xfffe
	s_or_b32 exec_lo, exec_lo, s1
	v_sub_co_u32 v12, s0, v79, 1
	v_dual_cndmask_b32 v6, v8, v6 :: v_dual_cndmask_b32 v5, v7, v5
	s_delay_alu instid0(VALU_DEP_2) | instskip(SKIP_1) | instid1(VALU_DEP_2)
	v_cmp_gt_i32_e64 s1, 0, v12
	s_wait_dscnt 0x0
	v_add_nc_u32_e32 v6, v9, v6
	s_delay_alu instid0(VALU_DEP_3) | instskip(SKIP_2) | instid1(VALU_DEP_1)
	v_add_nc_u32_e32 v5, v10, v5
	s_wait_alu 0xf1ff
	v_cndmask_b32_e64 v8, v12, v79, s1
	v_lshlrev_b32_e32 v7, 2, v8
	ds_bpermute_b32 v12, v7, v6
	ds_bpermute_b32 v25, v7, v5
	ds_load_b64 v[5:6], v11 offset:56
	s_and_saveexec_b32 s1, s2
	s_cbranch_execz .LBB1393_149
; %bb.148:
	s_add_nc_u64 s[4:5], s[36:37], 0x200
	v_dual_mov_b32 v7, 2 :: v_dual_mov_b32 v8, 0
	s_wait_alu 0xfffe
	v_dual_mov_b32 v27, s5 :: v_dual_mov_b32 v26, s4
	s_wait_dscnt 0x0
	;;#ASMSTART
	global_store_b128 v[26:27], v[5:8] off scope:SCOPE_DEV	
s_wait_storecnt 0x0
	;;#ASMEND
.LBB1393_149:
	s_wait_alu 0xfffe
	s_or_b32 exec_lo, exec_lo, s1
	s_wait_dscnt 0x1
	v_cndmask_b32_e64 v7, v25, v10, s0
	v_cndmask_b32_e64 v9, v12, v9, s0
	v_mov_b32_e32 v8, 0
	s_wait_loadcnt_dscnt 0x0
	s_barrier_signal -1
	v_cndmask_b32_e64 v29, v7, 0, s2
	v_cndmask_b32_e64 v86, v9, 0, s2
	v_mov_b32_e32 v7, 0
	s_barrier_wait -1
	global_inv scope:SCOPE_SE
.LBB1393_150:
	v_lshrrev_b32_e32 v81, 8, v54
	s_wait_dscnt 0x0
	v_add_co_u32 v1, vcc_lo, v1, v7
	s_wait_alu 0xfffd
	v_add_co_ci_u32_e64 v2, null, 0, v2, vcc_lo
	v_and_b32_e32 v81, 1, v81
	v_sub_co_u32 v84, vcc_lo, v3, v5
	s_wait_alu 0xfffd
	v_subrev_co_ci_u32_e64 v85, null, 0, v4, vcc_lo
	s_delay_alu instid0(VALU_DEP_3)
	v_cmp_eq_u32_e32 vcc_lo, 1, v81
	v_add_nc_u32_e32 v78, v29, v78
	v_sub_nc_u32_e32 v29, v29, v8
	v_lshlrev_b32_e32 v87, 1, v5
	v_lshrrev_b32_e32 v79, 16, v54
	v_lshrrev_b32_e32 v80, 8, v47
	v_add_nc_u32_e32 v75, v78, v75
	v_sub_nc_u32_e32 v78, v78, v8
	v_add_nc_u32_e32 v29, v29, v5
	v_add3_u32 v90, v87, v6, v46
	v_and_b32_e32 v79, 1, v79
	v_lshrrev_b32_e32 v30, 16, v47
	v_add_nc_u32_e32 v78, v78, v5
	v_add_nc_u32_e32 v77, v86, v77
	v_sub_nc_u32_e32 v86, v86, v7
	v_and_b32_e32 v47, 1, v47
	v_and_b32_e32 v80, 1, v80
	;; [unrolled: 1-line block ×3, first 2 shown]
	v_add_nc_u32_e32 v74, v77, v74
	v_sub_nc_u32_e32 v77, v77, v7
	v_add_nc_u32_e32 v46, v86, v29
	v_lshrrev_b32_e32 v28, 8, v48
	v_lshrrev_b32_e32 v27, 16, v48
	v_and_b32_e32 v48, 1, v48
	v_add_nc_u32_e32 v91, v78, v77
	v_sub_nc_u32_e32 v46, v90, v46
	v_and_b32_e32 v28, 1, v28
	v_lshrrev_b32_e32 v25, 16, v49
	v_lshrrev_b32_e32 v26, 8, v49
	v_sub_nc_u32_e32 v91, v90, v91
	s_wait_alu 0xfffd
	v_cndmask_b32_e32 v29, v46, v29, vcc_lo
	v_cmp_eq_u32_e32 vcc_lo, 1, v79
	v_lshrrev_b32_e32 v12, 8, v51
	v_and_b32_e32 v26, 1, v26
	v_add_nc_u32_e32 v91, 1, v91
	v_lshrrev_b32_e32 v10, 16, v51
	v_lshrrev_b32_e32 v11, 8, v52
	v_and_b32_e32 v12, 1, v12
	v_lshrrev_b32_e32 v9, 16, v52
	s_wait_alu 0xfffd
	v_cndmask_b32_e32 v46, v91, v78, vcc_lo
	v_cmp_eq_u32_e32 vcc_lo, 1, v47
	v_add_nc_u32_e32 v82, v75, v60
	v_sub_nc_u32_e32 v75, v75, v8
	v_and_b32_e32 v60, 1, v60
	v_and_b32_e32 v10, 1, v10
	s_wait_alu 0xfffd
	v_cndmask_b32_e32 v29, v29, v86, vcc_lo
	v_cmp_eq_u32_e32 vcc_lo, 1, v80
	v_add_nc_u32_e32 v75, v75, v5
	v_sub_nc_u32_e32 v80, v82, v8
	v_and_b32_e32 v11, 1, v11
	v_lshlrev_b32_e32 v29, 2, v29
	s_wait_alu 0xfffd
	v_cndmask_b32_e32 v77, v46, v77, vcc_lo
	v_add_nc_u32_e32 v76, v74, v76
	v_sub_nc_u32_e32 v74, v74, v7
	v_add_co_u32 v46, vcc_lo, v84, v8
	s_wait_alu 0xfffd
	v_add_co_ci_u32_e64 v47, null, 0, v85, vcc_lo
	s_delay_alu instid0(VALU_DEP_3)
	v_add_nc_u32_e32 v79, v75, v74
	v_cmp_eq_u32_e32 vcc_lo, 1, v60
	v_add_nc_u32_e32 v83, v76, v59
	v_lshlrev_b32_e32 v77, 2, v77
	ds_store_b32 v29, v23
	ds_store_b32 v77, v24
	v_sub_nc_u32_e32 v79, v90, v79
	v_and_b32_e32 v9, 1, v9
	s_delay_alu instid0(VALU_DEP_2) | instskip(SKIP_1) | instid1(VALU_DEP_1)
	v_add_nc_u32_e32 v79, 2, v79
	s_wait_alu 0xfffd
	v_dual_cndmask_b32 v60, v79, v75 :: v_dual_add_nc_u32 v73, v82, v73
	s_delay_alu instid0(VALU_DEP_1)
	v_add_nc_u32_e32 v72, v73, v72
	v_sub_nc_u32_e32 v75, v76, v7
	v_sub_nc_u32_e32 v73, v73, v8
	v_add_nc_u32_e32 v76, v80, v5
	v_cmp_eq_u32_e32 vcc_lo, 1, v30
	s_wait_alu 0xfffd
	s_delay_alu instid0(VALU_DEP_3)
	v_dual_cndmask_b32 v30, v60, v74 :: v_dual_add_nc_u32 v73, v73, v5
	v_sub_nc_u32_e32 v60, v83, v7
	v_add_nc_u32_e32 v74, v75, v76
	v_cmp_eq_u32_e32 vcc_lo, 1, v48
	v_and_b32_e32 v48, 1, v49
	v_lshlrev_b32_e32 v23, 2, v30
	v_add_nc_u32_e32 v24, v60, v73
	v_sub_nc_u32_e32 v29, v90, v74
	v_and_b32_e32 v30, 1, v59
	v_sub_nc_u32_e32 v59, v72, v8
	ds_store_b32 v23, v21
	v_sub_nc_u32_e32 v24, v90, v24
	v_add_nc_u32_e32 v29, 3, v29
	v_and_b32_e32 v23, 1, v27
	v_add_nc_u32_e32 v59, v59, v5
	s_delay_alu instid0(VALU_DEP_4)
	v_add_nc_u32_e32 v24, 4, v24
	s_wait_alu 0xfffd
	v_cndmask_b32_e32 v29, v29, v76, vcc_lo
	v_cmp_eq_u32_e32 vcc_lo, 1, v28
	s_wait_alu 0xfffd
	v_dual_cndmask_b32 v24, v24, v73 :: v_dual_add_nc_u32 v71, v83, v71
	s_delay_alu instid0(VALU_DEP_1) | instskip(SKIP_2) | instid1(VALU_DEP_3)
	v_add_nc_u32_e32 v69, v71, v69
	v_sub_nc_u32_e32 v71, v71, v7
	v_cmp_eq_u32_e32 vcc_lo, 1, v30
	v_add_nc_u32_e32 v65, v69, v65
	s_delay_alu instid0(VALU_DEP_3)
	v_add_nc_u32_e32 v49, v71, v59
	s_wait_alu 0xfffd
	v_cndmask_b32_e32 v28, v29, v75, vcc_lo
	v_cmp_eq_u32_e32 vcc_lo, 1, v48
	v_add_nc_u32_e32 v89, v65, v57
	v_sub_nc_u32_e32 v29, v90, v49
	s_delay_alu instid0(VALU_DEP_4)
	v_lshlrev_b32_e32 v21, 2, v28
	s_wait_alu 0xfffd
	v_cndmask_b32_e32 v24, v24, v60, vcc_lo
	v_cmp_eq_u32_e32 vcc_lo, 1, v23
	v_sub_nc_u32_e32 v48, v89, v7
	v_add_nc_u32_e32 v27, 5, v29
	v_add_nc_u32_e32 v66, v89, v66
	v_lshlrev_b32_e32 v24, 2, v24
	ds_store_b32 v21, v22
	ds_store_b32 v24, v19
	s_wait_alu 0xfffd
	v_cndmask_b32_e32 v23, v27, v59, vcc_lo
	v_cmp_eq_u32_e32 vcc_lo, 1, v26
	v_sub_nc_u32_e32 v27, v69, v7
	v_sub_nc_u32_e32 v26, v65, v7
	v_and_b32_e32 v24, 1, v58
	v_add_nc_u32_e32 v63, v66, v63
	s_wait_alu 0xfffd
	v_dual_cndmask_b32 v23, v23, v71 :: v_dual_add_nc_u32 v70, v72, v70
	s_delay_alu instid0(VALU_DEP_3) | instskip(SKIP_1) | instid1(VALU_DEP_3)
	v_cmp_eq_u32_e32 vcc_lo, 1, v24
	v_and_b32_e32 v24, 1, v57
	v_lshlrev_b32_e32 v19, 2, v23
	s_delay_alu instid0(VALU_DEP_4) | instskip(SKIP_3) | instid1(VALU_DEP_4)
	v_add_nc_u32_e32 v88, v70, v58
	v_sub_nc_u32_e32 v28, v70, v8
	v_and_b32_e32 v23, 1, v25
	v_add_nc_u32_e32 v62, v63, v62
	v_sub_nc_u32_e32 v29, v88, v8
	s_delay_alu instid0(VALU_DEP_4) | instskip(SKIP_1) | instid1(VALU_DEP_4)
	v_add_nc_u32_e32 v28, v28, v5
	v_add_nc_u32_e32 v68, v88, v68
	;; [unrolled: 1-line block ×3, first 2 shown]
	s_delay_alu instid0(VALU_DEP_4) | instskip(NEXT) | instid1(VALU_DEP_4)
	v_add_nc_u32_e32 v29, v29, v5
	v_add_nc_u32_e32 v30, v27, v28
	s_delay_alu instid0(VALU_DEP_4) | instskip(SKIP_1) | instid1(VALU_DEP_4)
	v_sub_nc_u32_e32 v25, v68, v8
	v_add_nc_u32_e32 v67, v68, v67
	v_add_nc_u32_e32 v21, v26, v29
	s_delay_alu instid0(VALU_DEP_4)
	v_sub_nc_u32_e32 v22, v90, v30
	v_and_b32_e32 v30, 1, v51
	v_add_nc_u32_e32 v25, v25, v5
	v_add_nc_u32_e32 v64, v67, v64
	v_sub_nc_u32_e32 v21, v90, v21
	v_add_nc_u32_e32 v22, 6, v22
	s_delay_alu instid0(VALU_DEP_3) | instskip(SKIP_1) | instid1(VALU_DEP_2)
	v_add_nc_u32_e32 v92, v64, v56
	s_wait_alu 0xfffd
	v_dual_cndmask_b32 v22, v22, v28 :: v_dual_add_nc_u32 v21, 7, v21
	v_cmp_eq_u32_e32 vcc_lo, 1, v30
	v_add_nc_u32_e32 v28, v48, v25
	v_add_nc_u32_e32 v61, v92, v61
	s_wait_alu 0xfffd
	v_cndmask_b32_e32 v21, v21, v29, vcc_lo
	v_cmp_eq_u32_e32 vcc_lo, 1, v23
	v_sub_nc_u32_e32 v23, v90, v28
	s_wait_alu 0xfffd
	v_cndmask_b32_e32 v22, v22, v27, vcc_lo
	v_cmp_eq_u32_e32 vcc_lo, 1, v24
	v_sub_nc_u32_e32 v24, v67, v8
	v_add_nc_u32_e32 v23, 8, v23
	v_sub_nc_u32_e32 v27, v66, v7
	v_lshlrev_b32_e32 v22, 2, v22
	s_wait_alu 0xfffd
	v_dual_cndmask_b32 v21, v21, v26 :: v_dual_add_nc_u32 v24, v24, v5
	v_cmp_eq_u32_e32 vcc_lo, 1, v12
	v_and_b32_e32 v26, 1, v52
	s_delay_alu instid0(VALU_DEP_3)
	v_lshlrev_b32_e32 v21, 2, v21
	ds_store_b32 v19, v20
	ds_store_b32 v22, v17
	;; [unrolled: 1-line block ×3, first 2 shown]
	s_wait_alu 0xfffd
	v_cndmask_b32_e32 v12, v23, v25, vcc_lo
	v_add_nc_u32_e32 v23, v27, v24
	v_cmp_eq_u32_e32 vcc_lo, 1, v26
	v_sub_nc_u32_e32 v18, v64, v8
	v_sub_nc_u32_e32 v19, v63, v7
	;; [unrolled: 1-line block ×4, first 2 shown]
	s_wait_alu 0xfffd
	v_cndmask_b32_e32 v12, v12, v48, vcc_lo
	v_add_nc_u32_e32 v18, v18, v5
	v_cmp_eq_u32_e32 vcc_lo, 1, v10
	v_add_nc_u32_e32 v20, v20, v5
	v_add_nc_u32_e32 v17, 9, v17
	v_lshlrev_b32_e32 v12, 2, v12
	v_add_nc_u32_e32 v21, v19, v18
	v_and_b32_e32 v22, 1, v50
	s_wait_alu 0xfffd
	v_cndmask_b32_e32 v10, v17, v24, vcc_lo
	v_sub_nc_u32_e32 v17, v62, v7
	ds_store_b32 v12, v15
	v_cmp_eq_u32_e32 vcc_lo, 1, v11
	v_sub_nc_u32_e32 v12, v90, v21
	v_and_b32_e32 v15, 1, v56
	v_add_nc_u32_e32 v11, v17, v20
	v_sub_nc_u32_e32 v21, v61, v8
	s_wait_alu 0xfffd
	v_cndmask_b32_e32 v10, v10, v27, vcc_lo
	v_add_nc_u32_e32 v12, 10, v12
	v_cmp_eq_u32_e32 vcc_lo, 1, v15
	v_sub_nc_u32_e32 v11, v90, v11
	v_sub_nc_u32_e32 v7, v78, v7
	v_add_nc_u32_e32 v21, v21, v5
	s_wait_alu 0xfffd
	v_dual_cndmask_b32 v12, v12, v18 :: v_dual_and_b32 v15, 1, v55
	v_add_nc_u32_e32 v11, 11, v11
	v_cmp_eq_u32_e32 vcc_lo, 1, v22
	v_add_nc_u32_e32 v18, v7, v21
	s_wait_alu 0xfffd
	s_delay_alu instid0(VALU_DEP_3)
	v_dual_cndmask_b32 v11, v11, v20 :: v_dual_lshlrev_b32 v10, 2, v10
	v_cmp_eq_u32_e32 vcc_lo, 1, v9
	s_wait_alu 0xfffd
	v_cndmask_b32_e32 v9, v12, v19, vcc_lo
	v_cmp_eq_u32_e32 vcc_lo, 1, v15
	v_sub_nc_u32_e32 v12, v90, v18
	v_and_b32_e32 v15, 1, v53
	s_delay_alu instid0(VALU_DEP_4) | instskip(SKIP_1) | instid1(VALU_DEP_3)
	v_lshlrev_b32_e32 v9, 2, v9
	s_wait_alu 0xfffd
	v_dual_cndmask_b32 v11, v11, v17 :: v_dual_add_nc_u32 v12, 12, v12
	v_and_b32_e32 v17, 1, v54
	v_cmp_eq_u32_e32 vcc_lo, 1, v15
	s_delay_alu instid0(VALU_DEP_3)
	v_lshlrev_b32_e32 v11, 2, v11
	ds_store_b32 v10, v16
	ds_store_b32 v9, v13
	;; [unrolled: 1-line block ×3, first 2 shown]
	s_wait_alu 0xfffd
	v_cndmask_b32_e32 v12, v12, v21, vcc_lo
	v_cmp_eq_u32_e32 vcc_lo, 1, v17
	v_add_co_u32 v9, s0, v6, v87
	s_wait_alu 0xf1ff
	v_add_co_ci_u32_e64 v10, null, 0, 0, s0
	s_wait_alu 0xfffd
	v_cndmask_b32_e32 v7, v12, v7, vcc_lo
	v_add_co_u32 v9, vcc_lo, v9, v46
	s_wait_alu 0xfffd
	v_add_co_ci_u32_e64 v10, null, v10, v47, vcc_lo
	s_delay_alu instid0(VALU_DEP_3)
	v_lshlrev_b32_e32 v7, 2, v7
	v_add_co_u32 v11, s0, s34, v43
	v_add_co_u32 v9, vcc_lo, v9, v1
	s_wait_alu 0xf1ff
	v_add_co_ci_u32_e64 v12, null, s35, 0, s0
	s_wait_alu 0xfffd
	v_add_co_ci_u32_e64 v10, null, v10, v2, vcc_lo
	ds_store_b32 v7, v45
	v_sub_co_u32 v7, vcc_lo, v11, v9
	s_wait_alu 0xfffd
	v_sub_co_ci_u32_e64 v13, null, v12, v10, vcc_lo
	v_lshlrev_b64_e32 v[9:10], 2, v[46:47]
	v_lshlrev_b64_e32 v[11:12], 2, v[1:2]
	v_add_nc_u32_e32 v14, v5, v6
	s_wait_loadcnt_dscnt 0x0
	s_barrier_signal -1
	s_barrier_wait -1
	v_add_co_u32 v9, vcc_lo, s30, v9
	s_wait_alu 0xfffd
	v_add_co_ci_u32_e64 v10, null, s31, v10, vcc_lo
	v_cmp_ne_u32_e32 vcc_lo, 1, v44
	v_add_co_u32 v11, s0, s28, v11
	s_wait_alu 0xf1ff
	v_add_co_ci_u32_e64 v12, null, s29, v12, s0
	s_mov_b32 s0, -1
	global_inv scope:SCOPE_SE
	s_cbranch_vccz .LBB1393_154
; %bb.151:
	s_wait_alu 0xfffe
	s_and_b32 vcc_lo, exec_lo, s0
	s_wait_alu 0xfffe
	s_cbranch_vccnz .LBB1393_259
.LBB1393_152:
	s_and_b32 s0, s2, s26
	s_wait_alu 0xfffe
	s_and_saveexec_b32 s1, s0
	s_cbranch_execnz .LBB1393_377
.LBB1393_153:
	s_nop 0
	s_sendmsg sendmsg(MSG_DEALLOC_VGPRS)
	s_endpgm
.LBB1393_154:
	s_mov_b32 s0, exec_lo
	v_cmpx_ge_u32_e64 v0, v5
	s_wait_alu 0xfffe
	s_xor_b32 s0, exec_lo, s0
	s_cbranch_execz .LBB1393_160
; %bb.155:
	s_mov_b32 s1, exec_lo
	v_cmpx_ge_u32_e64 v0, v14
	s_wait_alu 0xfffe
	s_xor_b32 s1, exec_lo, s1
	s_cbranch_execz .LBB1393_157
; %bb.156:
	v_lshlrev_b32_e32 v15, 2, v0
	ds_load_b32 v17, v15
	v_add_co_u32 v15, vcc_lo, v7, v0
	s_wait_alu 0xfffd
	v_add_co_ci_u32_e64 v16, null, 0, v13, vcc_lo
	s_delay_alu instid0(VALU_DEP_1) | instskip(NEXT) | instid1(VALU_DEP_1)
	v_lshlrev_b64_e32 v[15:16], 2, v[15:16]
	v_sub_co_u32 v15, vcc_lo, s14, v15
	s_wait_alu 0xfffd
	s_delay_alu instid0(VALU_DEP_2)
	v_sub_co_ci_u32_e64 v16, null, s15, v16, vcc_lo
	s_wait_dscnt 0x0
	global_store_b32 v[15:16], v17, off offset:-4
.LBB1393_157:
	s_wait_alu 0xfffe
	s_and_not1_saveexec_b32 s1, s1
	s_cbranch_execz .LBB1393_159
; %bb.158:
	v_lshlrev_b32_e32 v15, 2, v0
	v_readfirstlane_b32 s4, v9
	v_readfirstlane_b32 s5, v10
	ds_load_b32 v16, v15
	s_wait_dscnt 0x0
	global_store_b32 v15, v16, s[4:5]
.LBB1393_159:
	s_wait_alu 0xfffe
	s_or_b32 exec_lo, exec_lo, s1
.LBB1393_160:
	s_wait_alu 0xfffe
	s_and_not1_saveexec_b32 s0, s0
	s_cbranch_execz .LBB1393_162
; %bb.161:
	v_lshlrev_b32_e32 v15, 2, v0
	v_readfirstlane_b32 s4, v11
	v_readfirstlane_b32 s5, v12
	ds_load_b32 v16, v15
	s_wait_dscnt 0x0
	global_store_b32 v15, v16, s[4:5]
.LBB1393_162:
	s_wait_alu 0xfffe
	s_or_b32 exec_lo, exec_lo, s0
	s_delay_alu instid0(SALU_CYCLE_1)
	s_mov_b32 s0, exec_lo
	v_cmpx_ge_u32_e64 v42, v5
	s_wait_alu 0xfffe
	s_xor_b32 s0, exec_lo, s0
	s_cbranch_execz .LBB1393_168
; %bb.163:
	s_mov_b32 s1, exec_lo
	v_cmpx_ge_u32_e64 v42, v14
	s_wait_alu 0xfffe
	s_xor_b32 s1, exec_lo, s1
	s_cbranch_execz .LBB1393_165
; %bb.164:
	v_lshlrev_b32_e32 v15, 2, v0
	ds_load_b32 v17, v15 offset:1024
	v_add_co_u32 v15, vcc_lo, v7, v0
	s_wait_alu 0xfffd
	v_add_co_ci_u32_e64 v16, null, 0, v13, vcc_lo
	s_delay_alu instid0(VALU_DEP_1) | instskip(NEXT) | instid1(VALU_DEP_1)
	v_lshlrev_b64_e32 v[15:16], 2, v[15:16]
	v_sub_co_u32 v15, vcc_lo, s14, v15
	s_wait_alu 0xfffd
	s_delay_alu instid0(VALU_DEP_2)
	v_sub_co_ci_u32_e64 v16, null, s15, v16, vcc_lo
	s_wait_dscnt 0x0
	global_store_b32 v[15:16], v17, off offset:-1028
.LBB1393_165:
	s_wait_alu 0xfffe
	s_and_not1_saveexec_b32 s1, s1
	s_cbranch_execz .LBB1393_167
; %bb.166:
	v_lshlrev_b32_e32 v15, 2, v0
	v_readfirstlane_b32 s4, v9
	v_readfirstlane_b32 s5, v10
	ds_load_b32 v16, v15 offset:1024
	s_wait_dscnt 0x0
	global_store_b32 v15, v16, s[4:5] offset:1024
.LBB1393_167:
	s_wait_alu 0xfffe
	s_or_b32 exec_lo, exec_lo, s1
.LBB1393_168:
	s_wait_alu 0xfffe
	s_and_not1_saveexec_b32 s0, s0
	s_cbranch_execz .LBB1393_170
; %bb.169:
	v_lshlrev_b32_e32 v15, 2, v0
	v_readfirstlane_b32 s4, v11
	v_readfirstlane_b32 s5, v12
	ds_load_b32 v16, v15 offset:1024
	s_wait_dscnt 0x0
	global_store_b32 v15, v16, s[4:5] offset:1024
.LBB1393_170:
	s_wait_alu 0xfffe
	s_or_b32 exec_lo, exec_lo, s0
	s_delay_alu instid0(SALU_CYCLE_1)
	s_mov_b32 s0, exec_lo
	v_cmpx_ge_u32_e64 v41, v5
	s_wait_alu 0xfffe
	s_xor_b32 s0, exec_lo, s0
	s_cbranch_execz .LBB1393_176
; %bb.171:
	s_mov_b32 s1, exec_lo
	v_cmpx_ge_u32_e64 v41, v14
	s_wait_alu 0xfffe
	s_xor_b32 s1, exec_lo, s1
	s_cbranch_execz .LBB1393_173
; %bb.172:
	v_lshlrev_b32_e32 v15, 2, v0
	ds_load_b32 v17, v15 offset:2048
	v_add_co_u32 v15, vcc_lo, v7, v0
	s_wait_alu 0xfffd
	v_add_co_ci_u32_e64 v16, null, 0, v13, vcc_lo
	s_delay_alu instid0(VALU_DEP_1) | instskip(NEXT) | instid1(VALU_DEP_1)
	v_lshlrev_b64_e32 v[15:16], 2, v[15:16]
	v_sub_co_u32 v15, vcc_lo, s14, v15
	s_wait_alu 0xfffd
	s_delay_alu instid0(VALU_DEP_2)
	v_sub_co_ci_u32_e64 v16, null, s15, v16, vcc_lo
	s_wait_dscnt 0x0
	global_store_b32 v[15:16], v17, off offset:-2052
.LBB1393_173:
	s_wait_alu 0xfffe
	s_and_not1_saveexec_b32 s1, s1
	s_cbranch_execz .LBB1393_175
; %bb.174:
	v_lshlrev_b32_e32 v15, 2, v0
	v_readfirstlane_b32 s4, v9
	v_readfirstlane_b32 s5, v10
	ds_load_b32 v16, v15 offset:2048
	s_wait_dscnt 0x0
	global_store_b32 v15, v16, s[4:5] offset:2048
.LBB1393_175:
	s_wait_alu 0xfffe
	s_or_b32 exec_lo, exec_lo, s1
.LBB1393_176:
	s_wait_alu 0xfffe
	s_and_not1_saveexec_b32 s0, s0
	s_cbranch_execz .LBB1393_178
; %bb.177:
	v_lshlrev_b32_e32 v15, 2, v0
	v_readfirstlane_b32 s4, v11
	v_readfirstlane_b32 s5, v12
	ds_load_b32 v16, v15 offset:2048
	s_wait_dscnt 0x0
	global_store_b32 v15, v16, s[4:5] offset:2048
.LBB1393_178:
	;; [unrolled: 54-line block ×12, first 2 shown]
	s_wait_alu 0xfffe
	s_or_b32 exec_lo, exec_lo, s0
	s_branch .LBB1393_152
.LBB1393_259:
	s_mov_b32 s0, exec_lo
	v_cmpx_gt_u32_e64 s27, v0
	s_cbranch_execz .LBB1393_268
; %bb.260:
	s_mov_b32 s1, exec_lo
	v_cmpx_ge_u32_e64 v0, v5
	s_wait_alu 0xfffe
	s_xor_b32 s1, exec_lo, s1
	s_cbranch_execz .LBB1393_266
; %bb.261:
	s_mov_b32 s3, exec_lo
	v_cmpx_ge_u32_e64 v0, v14
	s_wait_alu 0xfffe
	s_xor_b32 s3, exec_lo, s3
	s_cbranch_execz .LBB1393_263
; %bb.262:
	v_lshlrev_b32_e32 v15, 2, v0
	ds_load_b32 v17, v15
	v_add_co_u32 v15, vcc_lo, v7, v0
	s_wait_alu 0xfffd
	v_add_co_ci_u32_e64 v16, null, 0, v13, vcc_lo
	s_delay_alu instid0(VALU_DEP_1) | instskip(NEXT) | instid1(VALU_DEP_1)
	v_lshlrev_b64_e32 v[15:16], 2, v[15:16]
	v_sub_co_u32 v15, vcc_lo, s14, v15
	s_wait_alu 0xfffd
	s_delay_alu instid0(VALU_DEP_2)
	v_sub_co_ci_u32_e64 v16, null, s15, v16, vcc_lo
	s_wait_dscnt 0x0
	global_store_b32 v[15:16], v17, off offset:-4
.LBB1393_263:
	s_wait_alu 0xfffe
	s_and_not1_saveexec_b32 s3, s3
	s_cbranch_execz .LBB1393_265
; %bb.264:
	v_lshlrev_b32_e32 v15, 2, v0
	v_readfirstlane_b32 s4, v9
	v_readfirstlane_b32 s5, v10
	ds_load_b32 v16, v15
	s_wait_dscnt 0x0
	global_store_b32 v15, v16, s[4:5]
.LBB1393_265:
	s_wait_alu 0xfffe
	s_or_b32 exec_lo, exec_lo, s3
.LBB1393_266:
	s_wait_alu 0xfffe
	s_and_not1_saveexec_b32 s1, s1
	s_cbranch_execz .LBB1393_268
; %bb.267:
	v_lshlrev_b32_e32 v15, 2, v0
	v_readfirstlane_b32 s4, v11
	v_readfirstlane_b32 s5, v12
	ds_load_b32 v16, v15
	s_wait_dscnt 0x0
	global_store_b32 v15, v16, s[4:5]
.LBB1393_268:
	s_wait_alu 0xfffe
	s_or_b32 exec_lo, exec_lo, s0
	s_delay_alu instid0(SALU_CYCLE_1)
	s_mov_b32 s0, exec_lo
	v_cmpx_gt_u32_e64 s27, v42
	s_cbranch_execz .LBB1393_277
; %bb.269:
	s_mov_b32 s1, exec_lo
	v_cmpx_ge_u32_e64 v42, v5
	s_wait_alu 0xfffe
	s_xor_b32 s1, exec_lo, s1
	s_cbranch_execz .LBB1393_275
; %bb.270:
	s_mov_b32 s3, exec_lo
	v_cmpx_ge_u32_e64 v42, v14
	s_wait_alu 0xfffe
	s_xor_b32 s3, exec_lo, s3
	s_cbranch_execz .LBB1393_272
; %bb.271:
	v_lshlrev_b32_e32 v15, 2, v0
	ds_load_b32 v17, v15 offset:1024
	v_add_co_u32 v15, vcc_lo, v7, v0
	s_wait_alu 0xfffd
	v_add_co_ci_u32_e64 v16, null, 0, v13, vcc_lo
	s_delay_alu instid0(VALU_DEP_1) | instskip(NEXT) | instid1(VALU_DEP_1)
	v_lshlrev_b64_e32 v[15:16], 2, v[15:16]
	v_sub_co_u32 v15, vcc_lo, s14, v15
	s_wait_alu 0xfffd
	s_delay_alu instid0(VALU_DEP_2)
	v_sub_co_ci_u32_e64 v16, null, s15, v16, vcc_lo
	s_wait_dscnt 0x0
	global_store_b32 v[15:16], v17, off offset:-1028
.LBB1393_272:
	s_wait_alu 0xfffe
	s_and_not1_saveexec_b32 s3, s3
	s_cbranch_execz .LBB1393_274
; %bb.273:
	v_lshlrev_b32_e32 v15, 2, v0
	v_readfirstlane_b32 s4, v9
	v_readfirstlane_b32 s5, v10
	ds_load_b32 v16, v15 offset:1024
	s_wait_dscnt 0x0
	global_store_b32 v15, v16, s[4:5] offset:1024
.LBB1393_274:
	s_wait_alu 0xfffe
	s_or_b32 exec_lo, exec_lo, s3
.LBB1393_275:
	s_wait_alu 0xfffe
	s_and_not1_saveexec_b32 s1, s1
	s_cbranch_execz .LBB1393_277
; %bb.276:
	v_lshlrev_b32_e32 v15, 2, v0
	v_readfirstlane_b32 s4, v11
	v_readfirstlane_b32 s5, v12
	ds_load_b32 v16, v15 offset:1024
	s_wait_dscnt 0x0
	global_store_b32 v15, v16, s[4:5] offset:1024
.LBB1393_277:
	s_wait_alu 0xfffe
	s_or_b32 exec_lo, exec_lo, s0
	s_delay_alu instid0(SALU_CYCLE_1)
	s_mov_b32 s0, exec_lo
	v_cmpx_gt_u32_e64 s27, v41
	s_cbranch_execz .LBB1393_286
; %bb.278:
	s_mov_b32 s1, exec_lo
	v_cmpx_ge_u32_e64 v41, v5
	s_wait_alu 0xfffe
	s_xor_b32 s1, exec_lo, s1
	s_cbranch_execz .LBB1393_284
; %bb.279:
	s_mov_b32 s3, exec_lo
	v_cmpx_ge_u32_e64 v41, v14
	s_wait_alu 0xfffe
	s_xor_b32 s3, exec_lo, s3
	s_cbranch_execz .LBB1393_281
; %bb.280:
	v_lshlrev_b32_e32 v15, 2, v0
	ds_load_b32 v17, v15 offset:2048
	v_add_co_u32 v15, vcc_lo, v7, v0
	s_wait_alu 0xfffd
	v_add_co_ci_u32_e64 v16, null, 0, v13, vcc_lo
	s_delay_alu instid0(VALU_DEP_1) | instskip(NEXT) | instid1(VALU_DEP_1)
	v_lshlrev_b64_e32 v[15:16], 2, v[15:16]
	v_sub_co_u32 v15, vcc_lo, s14, v15
	s_wait_alu 0xfffd
	s_delay_alu instid0(VALU_DEP_2)
	v_sub_co_ci_u32_e64 v16, null, s15, v16, vcc_lo
	s_wait_dscnt 0x0
	global_store_b32 v[15:16], v17, off offset:-2052
.LBB1393_281:
	s_wait_alu 0xfffe
	s_and_not1_saveexec_b32 s3, s3
	s_cbranch_execz .LBB1393_283
; %bb.282:
	v_lshlrev_b32_e32 v15, 2, v0
	v_readfirstlane_b32 s4, v9
	v_readfirstlane_b32 s5, v10
	ds_load_b32 v16, v15 offset:2048
	s_wait_dscnt 0x0
	global_store_b32 v15, v16, s[4:5] offset:2048
.LBB1393_283:
	s_wait_alu 0xfffe
	s_or_b32 exec_lo, exec_lo, s3
.LBB1393_284:
	s_wait_alu 0xfffe
	s_and_not1_saveexec_b32 s1, s1
	s_cbranch_execz .LBB1393_286
; %bb.285:
	v_lshlrev_b32_e32 v15, 2, v0
	v_readfirstlane_b32 s4, v11
	v_readfirstlane_b32 s5, v12
	ds_load_b32 v16, v15 offset:2048
	s_wait_dscnt 0x0
	global_store_b32 v15, v16, s[4:5] offset:2048
.LBB1393_286:
	;; [unrolled: 58-line block ×11, first 2 shown]
	s_wait_alu 0xfffe
	s_or_b32 exec_lo, exec_lo, s0
	s_delay_alu instid0(SALU_CYCLE_1)
	s_mov_b32 s0, exec_lo
	v_cmpx_gt_u32_e64 s27, v31
	s_cbranch_execz .LBB1393_376
; %bb.368:
	s_mov_b32 s1, exec_lo
	v_cmpx_ge_u32_e64 v31, v5
	s_wait_alu 0xfffe
	s_xor_b32 s1, exec_lo, s1
	s_cbranch_execz .LBB1393_374
; %bb.369:
	s_mov_b32 s3, exec_lo
	v_cmpx_ge_u32_e64 v31, v14
	s_wait_alu 0xfffe
	s_xor_b32 s3, exec_lo, s3
	s_cbranch_execz .LBB1393_371
; %bb.370:
	v_lshlrev_b32_e32 v9, 2, v0
	ds_load_b32 v11, v9 offset:12288
	v_add_co_u32 v9, vcc_lo, v7, v0
	s_wait_alu 0xfffd
	v_add_co_ci_u32_e64 v10, null, 0, v13, vcc_lo
                                        ; implicit-def: $vgpr0
	s_delay_alu instid0(VALU_DEP_1) | instskip(NEXT) | instid1(VALU_DEP_1)
	v_lshlrev_b64_e32 v[9:10], 2, v[9:10]
	v_sub_co_u32 v9, vcc_lo, s14, v9
	s_wait_alu 0xfffd
	s_delay_alu instid0(VALU_DEP_2)
	v_sub_co_ci_u32_e64 v10, null, s15, v10, vcc_lo
	s_wait_dscnt 0x0
	global_store_b32 v[9:10], v11, off offset:-12292
                                        ; implicit-def: $vgpr9_vgpr10
.LBB1393_371:
	s_wait_alu 0xfffe
	s_and_not1_saveexec_b32 s3, s3
	s_cbranch_execz .LBB1393_373
; %bb.372:
	v_lshlrev_b32_e32 v0, 2, v0
	v_readfirstlane_b32 s4, v9
	v_readfirstlane_b32 s5, v10
	ds_load_b32 v7, v0 offset:12288
	s_wait_dscnt 0x0
	global_store_b32 v0, v7, s[4:5] offset:12288
.LBB1393_373:
	s_wait_alu 0xfffe
	s_or_b32 exec_lo, exec_lo, s3
                                        ; implicit-def: $vgpr0
                                        ; implicit-def: $vgpr11_vgpr12
.LBB1393_374:
	s_wait_alu 0xfffe
	s_and_not1_saveexec_b32 s1, s1
	s_cbranch_execz .LBB1393_376
; %bb.375:
	v_lshlrev_b32_e32 v0, 2, v0
	v_readfirstlane_b32 s4, v11
	v_readfirstlane_b32 s5, v12
	ds_load_b32 v7, v0 offset:12288
	s_wait_dscnt 0x0
	global_store_b32 v0, v7, s[4:5] offset:12288
.LBB1393_376:
	s_wait_alu 0xfffe
	s_or_b32 exec_lo, exec_lo, s0
	s_and_b32 s0, s2, s26
	s_wait_alu 0xfffe
	s_and_saveexec_b32 s1, s0
	s_cbranch_execz .LBB1393_153
.LBB1393_377:
	v_add_co_u32 v0, vcc_lo, v3, v6
	s_wait_alu 0xfffd
	v_add_co_ci_u32_e64 v4, null, 0, v4, vcc_lo
	v_mov_b32_e32 v6, 0
	s_delay_alu instid0(VALU_DEP_3) | instskip(SKIP_1) | instid1(VALU_DEP_3)
	v_add_co_u32 v3, vcc_lo, v0, v8
	s_wait_alu 0xfffd
	v_add_co_ci_u32_e64 v4, null, 0, v4, vcc_lo
	v_add_co_u32 v1, vcc_lo, v1, v5
	s_wait_alu 0xfffd
	v_add_co_ci_u32_e64 v2, null, 0, v2, vcc_lo
	global_store_b128 v6, v[1:4], s[24:25]
	s_nop 0
	s_sendmsg sendmsg(MSG_DEALLOC_VGPRS)
	s_endpgm
.LBB1393_378:
	s_add_co_i32 s6, s33, 32
	s_mov_b32 s7, 0
	v_dual_mov_b32 v11, 2 :: v_dual_add_nc_u32 v10, v8, v6
	s_wait_alu 0xfffe
	s_lshl_b64 s[6:7], s[6:7], 4
	v_dual_mov_b32 v12, 0 :: v_dual_add_nc_u32 v9, v7, v5
	s_wait_alu 0xfffe
	s_add_nc_u64 s[6:7], s[36:37], s[6:7]
	s_wait_alu 0xfffe
	v_dual_mov_b32 v28, s7 :: v_dual_mov_b32 v27, s6
	;;#ASMSTART
	global_store_b128 v[27:28], v[9:12] off scope:SCOPE_DEV	
s_wait_storecnt 0x0
	;;#ASMEND
	s_or_b32 exec_lo, exec_lo, s5
	s_and_saveexec_b32 s5, s3
	s_cbranch_execz .LBB1393_138
.LBB1393_379:
	v_mov_b32_e32 v9, 0
	ds_store_b128 v9, v[5:8] offset:13312
	s_wait_alu 0xfffe
	s_or_b32 exec_lo, exec_lo, s5
	s_delay_alu instid0(SALU_CYCLE_1)
	s_and_b32 exec_lo, exec_lo, s2
	s_cbranch_execnz .LBB1393_139
	s_branch .LBB1393_140
	.section	.rodata,"a",@progbits
	.p2align	6, 0x0
	.amdhsa_kernel _ZN7rocprim17ROCPRIM_400000_NS6detail17trampoline_kernelINS0_13select_configILj256ELj13ELNS0_17block_load_methodE3ELS4_3ELS4_3ELNS0_20block_scan_algorithmE0ELj4294967295EEENS1_25partition_config_selectorILNS1_17partition_subalgoE4EjNS0_10empty_typeEbEEZZNS1_14partition_implILS8_4ELb0ES6_15HIP_vector_typeIjLj2EENS0_17counting_iteratorIjlEEPS9_SG_NS0_5tupleIJPjSI_NS0_16reverse_iteratorISI_EEEEENSH_IJSG_SG_SG_EEES9_SI_JZNS1_25segmented_radix_sort_implINS0_14default_configELb0EPKfPfPKlPlN2at6native12_GLOBAL__N_18offset_tEEE10hipError_tPvRmT1_PNSt15iterator_traitsIS12_E10value_typeET2_T3_PNS13_IS18_E10value_typeET4_jRbjT5_S1E_jjP12ihipStream_tbEUljE_ZNSN_ISO_Lb0ESQ_SR_ST_SU_SY_EESZ_S10_S11_S12_S16_S17_S18_S1B_S1C_jS1D_jS1E_S1E_jjS1G_bEUljE0_EEESZ_S10_S11_S18_S1C_S1E_T6_T7_T9_mT8_S1G_bDpT10_ENKUlT_T0_E_clISt17integral_constantIbLb0EES1T_IbLb1EEEEDaS1P_S1Q_EUlS1P_E_NS1_11comp_targetILNS1_3genE10ELNS1_11target_archE1200ELNS1_3gpuE4ELNS1_3repE0EEENS1_30default_config_static_selectorELNS0_4arch9wavefront6targetE0EEEvS12_
		.amdhsa_group_segment_fixed_size 13328
		.amdhsa_private_segment_fixed_size 0
		.amdhsa_kernarg_size 184
		.amdhsa_user_sgpr_count 2
		.amdhsa_user_sgpr_dispatch_ptr 0
		.amdhsa_user_sgpr_queue_ptr 0
		.amdhsa_user_sgpr_kernarg_segment_ptr 1
		.amdhsa_user_sgpr_dispatch_id 0
		.amdhsa_user_sgpr_private_segment_size 0
		.amdhsa_wavefront_size32 1
		.amdhsa_uses_dynamic_stack 0
		.amdhsa_enable_private_segment 0
		.amdhsa_system_sgpr_workgroup_id_x 1
		.amdhsa_system_sgpr_workgroup_id_y 0
		.amdhsa_system_sgpr_workgroup_id_z 0
		.amdhsa_system_sgpr_workgroup_info 0
		.amdhsa_system_vgpr_workitem_id 0
		.amdhsa_next_free_vgpr 98
		.amdhsa_next_free_sgpr 55
		.amdhsa_reserve_vcc 1
		.amdhsa_float_round_mode_32 0
		.amdhsa_float_round_mode_16_64 0
		.amdhsa_float_denorm_mode_32 3
		.amdhsa_float_denorm_mode_16_64 3
		.amdhsa_fp16_overflow 0
		.amdhsa_workgroup_processor_mode 1
		.amdhsa_memory_ordered 1
		.amdhsa_forward_progress 1
		.amdhsa_inst_pref_size 151
		.amdhsa_round_robin_scheduling 0
		.amdhsa_exception_fp_ieee_invalid_op 0
		.amdhsa_exception_fp_denorm_src 0
		.amdhsa_exception_fp_ieee_div_zero 0
		.amdhsa_exception_fp_ieee_overflow 0
		.amdhsa_exception_fp_ieee_underflow 0
		.amdhsa_exception_fp_ieee_inexact 0
		.amdhsa_exception_int_div_zero 0
	.end_amdhsa_kernel
	.section	.text._ZN7rocprim17ROCPRIM_400000_NS6detail17trampoline_kernelINS0_13select_configILj256ELj13ELNS0_17block_load_methodE3ELS4_3ELS4_3ELNS0_20block_scan_algorithmE0ELj4294967295EEENS1_25partition_config_selectorILNS1_17partition_subalgoE4EjNS0_10empty_typeEbEEZZNS1_14partition_implILS8_4ELb0ES6_15HIP_vector_typeIjLj2EENS0_17counting_iteratorIjlEEPS9_SG_NS0_5tupleIJPjSI_NS0_16reverse_iteratorISI_EEEEENSH_IJSG_SG_SG_EEES9_SI_JZNS1_25segmented_radix_sort_implINS0_14default_configELb0EPKfPfPKlPlN2at6native12_GLOBAL__N_18offset_tEEE10hipError_tPvRmT1_PNSt15iterator_traitsIS12_E10value_typeET2_T3_PNS13_IS18_E10value_typeET4_jRbjT5_S1E_jjP12ihipStream_tbEUljE_ZNSN_ISO_Lb0ESQ_SR_ST_SU_SY_EESZ_S10_S11_S12_S16_S17_S18_S1B_S1C_jS1D_jS1E_S1E_jjS1G_bEUljE0_EEESZ_S10_S11_S18_S1C_S1E_T6_T7_T9_mT8_S1G_bDpT10_ENKUlT_T0_E_clISt17integral_constantIbLb0EES1T_IbLb1EEEEDaS1P_S1Q_EUlS1P_E_NS1_11comp_targetILNS1_3genE10ELNS1_11target_archE1200ELNS1_3gpuE4ELNS1_3repE0EEENS1_30default_config_static_selectorELNS0_4arch9wavefront6targetE0EEEvS12_,"axG",@progbits,_ZN7rocprim17ROCPRIM_400000_NS6detail17trampoline_kernelINS0_13select_configILj256ELj13ELNS0_17block_load_methodE3ELS4_3ELS4_3ELNS0_20block_scan_algorithmE0ELj4294967295EEENS1_25partition_config_selectorILNS1_17partition_subalgoE4EjNS0_10empty_typeEbEEZZNS1_14partition_implILS8_4ELb0ES6_15HIP_vector_typeIjLj2EENS0_17counting_iteratorIjlEEPS9_SG_NS0_5tupleIJPjSI_NS0_16reverse_iteratorISI_EEEEENSH_IJSG_SG_SG_EEES9_SI_JZNS1_25segmented_radix_sort_implINS0_14default_configELb0EPKfPfPKlPlN2at6native12_GLOBAL__N_18offset_tEEE10hipError_tPvRmT1_PNSt15iterator_traitsIS12_E10value_typeET2_T3_PNS13_IS18_E10value_typeET4_jRbjT5_S1E_jjP12ihipStream_tbEUljE_ZNSN_ISO_Lb0ESQ_SR_ST_SU_SY_EESZ_S10_S11_S12_S16_S17_S18_S1B_S1C_jS1D_jS1E_S1E_jjS1G_bEUljE0_EEESZ_S10_S11_S18_S1C_S1E_T6_T7_T9_mT8_S1G_bDpT10_ENKUlT_T0_E_clISt17integral_constantIbLb0EES1T_IbLb1EEEEDaS1P_S1Q_EUlS1P_E_NS1_11comp_targetILNS1_3genE10ELNS1_11target_archE1200ELNS1_3gpuE4ELNS1_3repE0EEENS1_30default_config_static_selectorELNS0_4arch9wavefront6targetE0EEEvS12_,comdat
.Lfunc_end1393:
	.size	_ZN7rocprim17ROCPRIM_400000_NS6detail17trampoline_kernelINS0_13select_configILj256ELj13ELNS0_17block_load_methodE3ELS4_3ELS4_3ELNS0_20block_scan_algorithmE0ELj4294967295EEENS1_25partition_config_selectorILNS1_17partition_subalgoE4EjNS0_10empty_typeEbEEZZNS1_14partition_implILS8_4ELb0ES6_15HIP_vector_typeIjLj2EENS0_17counting_iteratorIjlEEPS9_SG_NS0_5tupleIJPjSI_NS0_16reverse_iteratorISI_EEEEENSH_IJSG_SG_SG_EEES9_SI_JZNS1_25segmented_radix_sort_implINS0_14default_configELb0EPKfPfPKlPlN2at6native12_GLOBAL__N_18offset_tEEE10hipError_tPvRmT1_PNSt15iterator_traitsIS12_E10value_typeET2_T3_PNS13_IS18_E10value_typeET4_jRbjT5_S1E_jjP12ihipStream_tbEUljE_ZNSN_ISO_Lb0ESQ_SR_ST_SU_SY_EESZ_S10_S11_S12_S16_S17_S18_S1B_S1C_jS1D_jS1E_S1E_jjS1G_bEUljE0_EEESZ_S10_S11_S18_S1C_S1E_T6_T7_T9_mT8_S1G_bDpT10_ENKUlT_T0_E_clISt17integral_constantIbLb0EES1T_IbLb1EEEEDaS1P_S1Q_EUlS1P_E_NS1_11comp_targetILNS1_3genE10ELNS1_11target_archE1200ELNS1_3gpuE4ELNS1_3repE0EEENS1_30default_config_static_selectorELNS0_4arch9wavefront6targetE0EEEvS12_, .Lfunc_end1393-_ZN7rocprim17ROCPRIM_400000_NS6detail17trampoline_kernelINS0_13select_configILj256ELj13ELNS0_17block_load_methodE3ELS4_3ELS4_3ELNS0_20block_scan_algorithmE0ELj4294967295EEENS1_25partition_config_selectorILNS1_17partition_subalgoE4EjNS0_10empty_typeEbEEZZNS1_14partition_implILS8_4ELb0ES6_15HIP_vector_typeIjLj2EENS0_17counting_iteratorIjlEEPS9_SG_NS0_5tupleIJPjSI_NS0_16reverse_iteratorISI_EEEEENSH_IJSG_SG_SG_EEES9_SI_JZNS1_25segmented_radix_sort_implINS0_14default_configELb0EPKfPfPKlPlN2at6native12_GLOBAL__N_18offset_tEEE10hipError_tPvRmT1_PNSt15iterator_traitsIS12_E10value_typeET2_T3_PNS13_IS18_E10value_typeET4_jRbjT5_S1E_jjP12ihipStream_tbEUljE_ZNSN_ISO_Lb0ESQ_SR_ST_SU_SY_EESZ_S10_S11_S12_S16_S17_S18_S1B_S1C_jS1D_jS1E_S1E_jjS1G_bEUljE0_EEESZ_S10_S11_S18_S1C_S1E_T6_T7_T9_mT8_S1G_bDpT10_ENKUlT_T0_E_clISt17integral_constantIbLb0EES1T_IbLb1EEEEDaS1P_S1Q_EUlS1P_E_NS1_11comp_targetILNS1_3genE10ELNS1_11target_archE1200ELNS1_3gpuE4ELNS1_3repE0EEENS1_30default_config_static_selectorELNS0_4arch9wavefront6targetE0EEEvS12_
                                        ; -- End function
	.set _ZN7rocprim17ROCPRIM_400000_NS6detail17trampoline_kernelINS0_13select_configILj256ELj13ELNS0_17block_load_methodE3ELS4_3ELS4_3ELNS0_20block_scan_algorithmE0ELj4294967295EEENS1_25partition_config_selectorILNS1_17partition_subalgoE4EjNS0_10empty_typeEbEEZZNS1_14partition_implILS8_4ELb0ES6_15HIP_vector_typeIjLj2EENS0_17counting_iteratorIjlEEPS9_SG_NS0_5tupleIJPjSI_NS0_16reverse_iteratorISI_EEEEENSH_IJSG_SG_SG_EEES9_SI_JZNS1_25segmented_radix_sort_implINS0_14default_configELb0EPKfPfPKlPlN2at6native12_GLOBAL__N_18offset_tEEE10hipError_tPvRmT1_PNSt15iterator_traitsIS12_E10value_typeET2_T3_PNS13_IS18_E10value_typeET4_jRbjT5_S1E_jjP12ihipStream_tbEUljE_ZNSN_ISO_Lb0ESQ_SR_ST_SU_SY_EESZ_S10_S11_S12_S16_S17_S18_S1B_S1C_jS1D_jS1E_S1E_jjS1G_bEUljE0_EEESZ_S10_S11_S18_S1C_S1E_T6_T7_T9_mT8_S1G_bDpT10_ENKUlT_T0_E_clISt17integral_constantIbLb0EES1T_IbLb1EEEEDaS1P_S1Q_EUlS1P_E_NS1_11comp_targetILNS1_3genE10ELNS1_11target_archE1200ELNS1_3gpuE4ELNS1_3repE0EEENS1_30default_config_static_selectorELNS0_4arch9wavefront6targetE0EEEvS12_.num_vgpr, 98
	.set _ZN7rocprim17ROCPRIM_400000_NS6detail17trampoline_kernelINS0_13select_configILj256ELj13ELNS0_17block_load_methodE3ELS4_3ELS4_3ELNS0_20block_scan_algorithmE0ELj4294967295EEENS1_25partition_config_selectorILNS1_17partition_subalgoE4EjNS0_10empty_typeEbEEZZNS1_14partition_implILS8_4ELb0ES6_15HIP_vector_typeIjLj2EENS0_17counting_iteratorIjlEEPS9_SG_NS0_5tupleIJPjSI_NS0_16reverse_iteratorISI_EEEEENSH_IJSG_SG_SG_EEES9_SI_JZNS1_25segmented_radix_sort_implINS0_14default_configELb0EPKfPfPKlPlN2at6native12_GLOBAL__N_18offset_tEEE10hipError_tPvRmT1_PNSt15iterator_traitsIS12_E10value_typeET2_T3_PNS13_IS18_E10value_typeET4_jRbjT5_S1E_jjP12ihipStream_tbEUljE_ZNSN_ISO_Lb0ESQ_SR_ST_SU_SY_EESZ_S10_S11_S12_S16_S17_S18_S1B_S1C_jS1D_jS1E_S1E_jjS1G_bEUljE0_EEESZ_S10_S11_S18_S1C_S1E_T6_T7_T9_mT8_S1G_bDpT10_ENKUlT_T0_E_clISt17integral_constantIbLb0EES1T_IbLb1EEEEDaS1P_S1Q_EUlS1P_E_NS1_11comp_targetILNS1_3genE10ELNS1_11target_archE1200ELNS1_3gpuE4ELNS1_3repE0EEENS1_30default_config_static_selectorELNS0_4arch9wavefront6targetE0EEEvS12_.num_agpr, 0
	.set _ZN7rocprim17ROCPRIM_400000_NS6detail17trampoline_kernelINS0_13select_configILj256ELj13ELNS0_17block_load_methodE3ELS4_3ELS4_3ELNS0_20block_scan_algorithmE0ELj4294967295EEENS1_25partition_config_selectorILNS1_17partition_subalgoE4EjNS0_10empty_typeEbEEZZNS1_14partition_implILS8_4ELb0ES6_15HIP_vector_typeIjLj2EENS0_17counting_iteratorIjlEEPS9_SG_NS0_5tupleIJPjSI_NS0_16reverse_iteratorISI_EEEEENSH_IJSG_SG_SG_EEES9_SI_JZNS1_25segmented_radix_sort_implINS0_14default_configELb0EPKfPfPKlPlN2at6native12_GLOBAL__N_18offset_tEEE10hipError_tPvRmT1_PNSt15iterator_traitsIS12_E10value_typeET2_T3_PNS13_IS18_E10value_typeET4_jRbjT5_S1E_jjP12ihipStream_tbEUljE_ZNSN_ISO_Lb0ESQ_SR_ST_SU_SY_EESZ_S10_S11_S12_S16_S17_S18_S1B_S1C_jS1D_jS1E_S1E_jjS1G_bEUljE0_EEESZ_S10_S11_S18_S1C_S1E_T6_T7_T9_mT8_S1G_bDpT10_ENKUlT_T0_E_clISt17integral_constantIbLb0EES1T_IbLb1EEEEDaS1P_S1Q_EUlS1P_E_NS1_11comp_targetILNS1_3genE10ELNS1_11target_archE1200ELNS1_3gpuE4ELNS1_3repE0EEENS1_30default_config_static_selectorELNS0_4arch9wavefront6targetE0EEEvS12_.numbered_sgpr, 55
	.set _ZN7rocprim17ROCPRIM_400000_NS6detail17trampoline_kernelINS0_13select_configILj256ELj13ELNS0_17block_load_methodE3ELS4_3ELS4_3ELNS0_20block_scan_algorithmE0ELj4294967295EEENS1_25partition_config_selectorILNS1_17partition_subalgoE4EjNS0_10empty_typeEbEEZZNS1_14partition_implILS8_4ELb0ES6_15HIP_vector_typeIjLj2EENS0_17counting_iteratorIjlEEPS9_SG_NS0_5tupleIJPjSI_NS0_16reverse_iteratorISI_EEEEENSH_IJSG_SG_SG_EEES9_SI_JZNS1_25segmented_radix_sort_implINS0_14default_configELb0EPKfPfPKlPlN2at6native12_GLOBAL__N_18offset_tEEE10hipError_tPvRmT1_PNSt15iterator_traitsIS12_E10value_typeET2_T3_PNS13_IS18_E10value_typeET4_jRbjT5_S1E_jjP12ihipStream_tbEUljE_ZNSN_ISO_Lb0ESQ_SR_ST_SU_SY_EESZ_S10_S11_S12_S16_S17_S18_S1B_S1C_jS1D_jS1E_S1E_jjS1G_bEUljE0_EEESZ_S10_S11_S18_S1C_S1E_T6_T7_T9_mT8_S1G_bDpT10_ENKUlT_T0_E_clISt17integral_constantIbLb0EES1T_IbLb1EEEEDaS1P_S1Q_EUlS1P_E_NS1_11comp_targetILNS1_3genE10ELNS1_11target_archE1200ELNS1_3gpuE4ELNS1_3repE0EEENS1_30default_config_static_selectorELNS0_4arch9wavefront6targetE0EEEvS12_.num_named_barrier, 0
	.set _ZN7rocprim17ROCPRIM_400000_NS6detail17trampoline_kernelINS0_13select_configILj256ELj13ELNS0_17block_load_methodE3ELS4_3ELS4_3ELNS0_20block_scan_algorithmE0ELj4294967295EEENS1_25partition_config_selectorILNS1_17partition_subalgoE4EjNS0_10empty_typeEbEEZZNS1_14partition_implILS8_4ELb0ES6_15HIP_vector_typeIjLj2EENS0_17counting_iteratorIjlEEPS9_SG_NS0_5tupleIJPjSI_NS0_16reverse_iteratorISI_EEEEENSH_IJSG_SG_SG_EEES9_SI_JZNS1_25segmented_radix_sort_implINS0_14default_configELb0EPKfPfPKlPlN2at6native12_GLOBAL__N_18offset_tEEE10hipError_tPvRmT1_PNSt15iterator_traitsIS12_E10value_typeET2_T3_PNS13_IS18_E10value_typeET4_jRbjT5_S1E_jjP12ihipStream_tbEUljE_ZNSN_ISO_Lb0ESQ_SR_ST_SU_SY_EESZ_S10_S11_S12_S16_S17_S18_S1B_S1C_jS1D_jS1E_S1E_jjS1G_bEUljE0_EEESZ_S10_S11_S18_S1C_S1E_T6_T7_T9_mT8_S1G_bDpT10_ENKUlT_T0_E_clISt17integral_constantIbLb0EES1T_IbLb1EEEEDaS1P_S1Q_EUlS1P_E_NS1_11comp_targetILNS1_3genE10ELNS1_11target_archE1200ELNS1_3gpuE4ELNS1_3repE0EEENS1_30default_config_static_selectorELNS0_4arch9wavefront6targetE0EEEvS12_.private_seg_size, 0
	.set _ZN7rocprim17ROCPRIM_400000_NS6detail17trampoline_kernelINS0_13select_configILj256ELj13ELNS0_17block_load_methodE3ELS4_3ELS4_3ELNS0_20block_scan_algorithmE0ELj4294967295EEENS1_25partition_config_selectorILNS1_17partition_subalgoE4EjNS0_10empty_typeEbEEZZNS1_14partition_implILS8_4ELb0ES6_15HIP_vector_typeIjLj2EENS0_17counting_iteratorIjlEEPS9_SG_NS0_5tupleIJPjSI_NS0_16reverse_iteratorISI_EEEEENSH_IJSG_SG_SG_EEES9_SI_JZNS1_25segmented_radix_sort_implINS0_14default_configELb0EPKfPfPKlPlN2at6native12_GLOBAL__N_18offset_tEEE10hipError_tPvRmT1_PNSt15iterator_traitsIS12_E10value_typeET2_T3_PNS13_IS18_E10value_typeET4_jRbjT5_S1E_jjP12ihipStream_tbEUljE_ZNSN_ISO_Lb0ESQ_SR_ST_SU_SY_EESZ_S10_S11_S12_S16_S17_S18_S1B_S1C_jS1D_jS1E_S1E_jjS1G_bEUljE0_EEESZ_S10_S11_S18_S1C_S1E_T6_T7_T9_mT8_S1G_bDpT10_ENKUlT_T0_E_clISt17integral_constantIbLb0EES1T_IbLb1EEEEDaS1P_S1Q_EUlS1P_E_NS1_11comp_targetILNS1_3genE10ELNS1_11target_archE1200ELNS1_3gpuE4ELNS1_3repE0EEENS1_30default_config_static_selectorELNS0_4arch9wavefront6targetE0EEEvS12_.uses_vcc, 1
	.set _ZN7rocprim17ROCPRIM_400000_NS6detail17trampoline_kernelINS0_13select_configILj256ELj13ELNS0_17block_load_methodE3ELS4_3ELS4_3ELNS0_20block_scan_algorithmE0ELj4294967295EEENS1_25partition_config_selectorILNS1_17partition_subalgoE4EjNS0_10empty_typeEbEEZZNS1_14partition_implILS8_4ELb0ES6_15HIP_vector_typeIjLj2EENS0_17counting_iteratorIjlEEPS9_SG_NS0_5tupleIJPjSI_NS0_16reverse_iteratorISI_EEEEENSH_IJSG_SG_SG_EEES9_SI_JZNS1_25segmented_radix_sort_implINS0_14default_configELb0EPKfPfPKlPlN2at6native12_GLOBAL__N_18offset_tEEE10hipError_tPvRmT1_PNSt15iterator_traitsIS12_E10value_typeET2_T3_PNS13_IS18_E10value_typeET4_jRbjT5_S1E_jjP12ihipStream_tbEUljE_ZNSN_ISO_Lb0ESQ_SR_ST_SU_SY_EESZ_S10_S11_S12_S16_S17_S18_S1B_S1C_jS1D_jS1E_S1E_jjS1G_bEUljE0_EEESZ_S10_S11_S18_S1C_S1E_T6_T7_T9_mT8_S1G_bDpT10_ENKUlT_T0_E_clISt17integral_constantIbLb0EES1T_IbLb1EEEEDaS1P_S1Q_EUlS1P_E_NS1_11comp_targetILNS1_3genE10ELNS1_11target_archE1200ELNS1_3gpuE4ELNS1_3repE0EEENS1_30default_config_static_selectorELNS0_4arch9wavefront6targetE0EEEvS12_.uses_flat_scratch, 0
	.set _ZN7rocprim17ROCPRIM_400000_NS6detail17trampoline_kernelINS0_13select_configILj256ELj13ELNS0_17block_load_methodE3ELS4_3ELS4_3ELNS0_20block_scan_algorithmE0ELj4294967295EEENS1_25partition_config_selectorILNS1_17partition_subalgoE4EjNS0_10empty_typeEbEEZZNS1_14partition_implILS8_4ELb0ES6_15HIP_vector_typeIjLj2EENS0_17counting_iteratorIjlEEPS9_SG_NS0_5tupleIJPjSI_NS0_16reverse_iteratorISI_EEEEENSH_IJSG_SG_SG_EEES9_SI_JZNS1_25segmented_radix_sort_implINS0_14default_configELb0EPKfPfPKlPlN2at6native12_GLOBAL__N_18offset_tEEE10hipError_tPvRmT1_PNSt15iterator_traitsIS12_E10value_typeET2_T3_PNS13_IS18_E10value_typeET4_jRbjT5_S1E_jjP12ihipStream_tbEUljE_ZNSN_ISO_Lb0ESQ_SR_ST_SU_SY_EESZ_S10_S11_S12_S16_S17_S18_S1B_S1C_jS1D_jS1E_S1E_jjS1G_bEUljE0_EEESZ_S10_S11_S18_S1C_S1E_T6_T7_T9_mT8_S1G_bDpT10_ENKUlT_T0_E_clISt17integral_constantIbLb0EES1T_IbLb1EEEEDaS1P_S1Q_EUlS1P_E_NS1_11comp_targetILNS1_3genE10ELNS1_11target_archE1200ELNS1_3gpuE4ELNS1_3repE0EEENS1_30default_config_static_selectorELNS0_4arch9wavefront6targetE0EEEvS12_.has_dyn_sized_stack, 0
	.set _ZN7rocprim17ROCPRIM_400000_NS6detail17trampoline_kernelINS0_13select_configILj256ELj13ELNS0_17block_load_methodE3ELS4_3ELS4_3ELNS0_20block_scan_algorithmE0ELj4294967295EEENS1_25partition_config_selectorILNS1_17partition_subalgoE4EjNS0_10empty_typeEbEEZZNS1_14partition_implILS8_4ELb0ES6_15HIP_vector_typeIjLj2EENS0_17counting_iteratorIjlEEPS9_SG_NS0_5tupleIJPjSI_NS0_16reverse_iteratorISI_EEEEENSH_IJSG_SG_SG_EEES9_SI_JZNS1_25segmented_radix_sort_implINS0_14default_configELb0EPKfPfPKlPlN2at6native12_GLOBAL__N_18offset_tEEE10hipError_tPvRmT1_PNSt15iterator_traitsIS12_E10value_typeET2_T3_PNS13_IS18_E10value_typeET4_jRbjT5_S1E_jjP12ihipStream_tbEUljE_ZNSN_ISO_Lb0ESQ_SR_ST_SU_SY_EESZ_S10_S11_S12_S16_S17_S18_S1B_S1C_jS1D_jS1E_S1E_jjS1G_bEUljE0_EEESZ_S10_S11_S18_S1C_S1E_T6_T7_T9_mT8_S1G_bDpT10_ENKUlT_T0_E_clISt17integral_constantIbLb0EES1T_IbLb1EEEEDaS1P_S1Q_EUlS1P_E_NS1_11comp_targetILNS1_3genE10ELNS1_11target_archE1200ELNS1_3gpuE4ELNS1_3repE0EEENS1_30default_config_static_selectorELNS0_4arch9wavefront6targetE0EEEvS12_.has_recursion, 0
	.set _ZN7rocprim17ROCPRIM_400000_NS6detail17trampoline_kernelINS0_13select_configILj256ELj13ELNS0_17block_load_methodE3ELS4_3ELS4_3ELNS0_20block_scan_algorithmE0ELj4294967295EEENS1_25partition_config_selectorILNS1_17partition_subalgoE4EjNS0_10empty_typeEbEEZZNS1_14partition_implILS8_4ELb0ES6_15HIP_vector_typeIjLj2EENS0_17counting_iteratorIjlEEPS9_SG_NS0_5tupleIJPjSI_NS0_16reverse_iteratorISI_EEEEENSH_IJSG_SG_SG_EEES9_SI_JZNS1_25segmented_radix_sort_implINS0_14default_configELb0EPKfPfPKlPlN2at6native12_GLOBAL__N_18offset_tEEE10hipError_tPvRmT1_PNSt15iterator_traitsIS12_E10value_typeET2_T3_PNS13_IS18_E10value_typeET4_jRbjT5_S1E_jjP12ihipStream_tbEUljE_ZNSN_ISO_Lb0ESQ_SR_ST_SU_SY_EESZ_S10_S11_S12_S16_S17_S18_S1B_S1C_jS1D_jS1E_S1E_jjS1G_bEUljE0_EEESZ_S10_S11_S18_S1C_S1E_T6_T7_T9_mT8_S1G_bDpT10_ENKUlT_T0_E_clISt17integral_constantIbLb0EES1T_IbLb1EEEEDaS1P_S1Q_EUlS1P_E_NS1_11comp_targetILNS1_3genE10ELNS1_11target_archE1200ELNS1_3gpuE4ELNS1_3repE0EEENS1_30default_config_static_selectorELNS0_4arch9wavefront6targetE0EEEvS12_.has_indirect_call, 0
	.section	.AMDGPU.csdata,"",@progbits
; Kernel info:
; codeLenInByte = 19208
; TotalNumSgprs: 57
; NumVgprs: 98
; ScratchSize: 0
; MemoryBound: 0
; FloatMode: 240
; IeeeMode: 1
; LDSByteSize: 13328 bytes/workgroup (compile time only)
; SGPRBlocks: 0
; VGPRBlocks: 12
; NumSGPRsForWavesPerEU: 57
; NumVGPRsForWavesPerEU: 98
; Occupancy: 12
; WaveLimiterHint : 1
; COMPUTE_PGM_RSRC2:SCRATCH_EN: 0
; COMPUTE_PGM_RSRC2:USER_SGPR: 2
; COMPUTE_PGM_RSRC2:TRAP_HANDLER: 0
; COMPUTE_PGM_RSRC2:TGID_X_EN: 1
; COMPUTE_PGM_RSRC2:TGID_Y_EN: 0
; COMPUTE_PGM_RSRC2:TGID_Z_EN: 0
; COMPUTE_PGM_RSRC2:TIDIG_COMP_CNT: 0
	.section	.text._ZN7rocprim17ROCPRIM_400000_NS6detail17trampoline_kernelINS0_13select_configILj256ELj13ELNS0_17block_load_methodE3ELS4_3ELS4_3ELNS0_20block_scan_algorithmE0ELj4294967295EEENS1_25partition_config_selectorILNS1_17partition_subalgoE4EjNS0_10empty_typeEbEEZZNS1_14partition_implILS8_4ELb0ES6_15HIP_vector_typeIjLj2EENS0_17counting_iteratorIjlEEPS9_SG_NS0_5tupleIJPjSI_NS0_16reverse_iteratorISI_EEEEENSH_IJSG_SG_SG_EEES9_SI_JZNS1_25segmented_radix_sort_implINS0_14default_configELb0EPKfPfPKlPlN2at6native12_GLOBAL__N_18offset_tEEE10hipError_tPvRmT1_PNSt15iterator_traitsIS12_E10value_typeET2_T3_PNS13_IS18_E10value_typeET4_jRbjT5_S1E_jjP12ihipStream_tbEUljE_ZNSN_ISO_Lb0ESQ_SR_ST_SU_SY_EESZ_S10_S11_S12_S16_S17_S18_S1B_S1C_jS1D_jS1E_S1E_jjS1G_bEUljE0_EEESZ_S10_S11_S18_S1C_S1E_T6_T7_T9_mT8_S1G_bDpT10_ENKUlT_T0_E_clISt17integral_constantIbLb0EES1T_IbLb1EEEEDaS1P_S1Q_EUlS1P_E_NS1_11comp_targetILNS1_3genE9ELNS1_11target_archE1100ELNS1_3gpuE3ELNS1_3repE0EEENS1_30default_config_static_selectorELNS0_4arch9wavefront6targetE0EEEvS12_,"axG",@progbits,_ZN7rocprim17ROCPRIM_400000_NS6detail17trampoline_kernelINS0_13select_configILj256ELj13ELNS0_17block_load_methodE3ELS4_3ELS4_3ELNS0_20block_scan_algorithmE0ELj4294967295EEENS1_25partition_config_selectorILNS1_17partition_subalgoE4EjNS0_10empty_typeEbEEZZNS1_14partition_implILS8_4ELb0ES6_15HIP_vector_typeIjLj2EENS0_17counting_iteratorIjlEEPS9_SG_NS0_5tupleIJPjSI_NS0_16reverse_iteratorISI_EEEEENSH_IJSG_SG_SG_EEES9_SI_JZNS1_25segmented_radix_sort_implINS0_14default_configELb0EPKfPfPKlPlN2at6native12_GLOBAL__N_18offset_tEEE10hipError_tPvRmT1_PNSt15iterator_traitsIS12_E10value_typeET2_T3_PNS13_IS18_E10value_typeET4_jRbjT5_S1E_jjP12ihipStream_tbEUljE_ZNSN_ISO_Lb0ESQ_SR_ST_SU_SY_EESZ_S10_S11_S12_S16_S17_S18_S1B_S1C_jS1D_jS1E_S1E_jjS1G_bEUljE0_EEESZ_S10_S11_S18_S1C_S1E_T6_T7_T9_mT8_S1G_bDpT10_ENKUlT_T0_E_clISt17integral_constantIbLb0EES1T_IbLb1EEEEDaS1P_S1Q_EUlS1P_E_NS1_11comp_targetILNS1_3genE9ELNS1_11target_archE1100ELNS1_3gpuE3ELNS1_3repE0EEENS1_30default_config_static_selectorELNS0_4arch9wavefront6targetE0EEEvS12_,comdat
	.globl	_ZN7rocprim17ROCPRIM_400000_NS6detail17trampoline_kernelINS0_13select_configILj256ELj13ELNS0_17block_load_methodE3ELS4_3ELS4_3ELNS0_20block_scan_algorithmE0ELj4294967295EEENS1_25partition_config_selectorILNS1_17partition_subalgoE4EjNS0_10empty_typeEbEEZZNS1_14partition_implILS8_4ELb0ES6_15HIP_vector_typeIjLj2EENS0_17counting_iteratorIjlEEPS9_SG_NS0_5tupleIJPjSI_NS0_16reverse_iteratorISI_EEEEENSH_IJSG_SG_SG_EEES9_SI_JZNS1_25segmented_radix_sort_implINS0_14default_configELb0EPKfPfPKlPlN2at6native12_GLOBAL__N_18offset_tEEE10hipError_tPvRmT1_PNSt15iterator_traitsIS12_E10value_typeET2_T3_PNS13_IS18_E10value_typeET4_jRbjT5_S1E_jjP12ihipStream_tbEUljE_ZNSN_ISO_Lb0ESQ_SR_ST_SU_SY_EESZ_S10_S11_S12_S16_S17_S18_S1B_S1C_jS1D_jS1E_S1E_jjS1G_bEUljE0_EEESZ_S10_S11_S18_S1C_S1E_T6_T7_T9_mT8_S1G_bDpT10_ENKUlT_T0_E_clISt17integral_constantIbLb0EES1T_IbLb1EEEEDaS1P_S1Q_EUlS1P_E_NS1_11comp_targetILNS1_3genE9ELNS1_11target_archE1100ELNS1_3gpuE3ELNS1_3repE0EEENS1_30default_config_static_selectorELNS0_4arch9wavefront6targetE0EEEvS12_ ; -- Begin function _ZN7rocprim17ROCPRIM_400000_NS6detail17trampoline_kernelINS0_13select_configILj256ELj13ELNS0_17block_load_methodE3ELS4_3ELS4_3ELNS0_20block_scan_algorithmE0ELj4294967295EEENS1_25partition_config_selectorILNS1_17partition_subalgoE4EjNS0_10empty_typeEbEEZZNS1_14partition_implILS8_4ELb0ES6_15HIP_vector_typeIjLj2EENS0_17counting_iteratorIjlEEPS9_SG_NS0_5tupleIJPjSI_NS0_16reverse_iteratorISI_EEEEENSH_IJSG_SG_SG_EEES9_SI_JZNS1_25segmented_radix_sort_implINS0_14default_configELb0EPKfPfPKlPlN2at6native12_GLOBAL__N_18offset_tEEE10hipError_tPvRmT1_PNSt15iterator_traitsIS12_E10value_typeET2_T3_PNS13_IS18_E10value_typeET4_jRbjT5_S1E_jjP12ihipStream_tbEUljE_ZNSN_ISO_Lb0ESQ_SR_ST_SU_SY_EESZ_S10_S11_S12_S16_S17_S18_S1B_S1C_jS1D_jS1E_S1E_jjS1G_bEUljE0_EEESZ_S10_S11_S18_S1C_S1E_T6_T7_T9_mT8_S1G_bDpT10_ENKUlT_T0_E_clISt17integral_constantIbLb0EES1T_IbLb1EEEEDaS1P_S1Q_EUlS1P_E_NS1_11comp_targetILNS1_3genE9ELNS1_11target_archE1100ELNS1_3gpuE3ELNS1_3repE0EEENS1_30default_config_static_selectorELNS0_4arch9wavefront6targetE0EEEvS12_
	.p2align	8
	.type	_ZN7rocprim17ROCPRIM_400000_NS6detail17trampoline_kernelINS0_13select_configILj256ELj13ELNS0_17block_load_methodE3ELS4_3ELS4_3ELNS0_20block_scan_algorithmE0ELj4294967295EEENS1_25partition_config_selectorILNS1_17partition_subalgoE4EjNS0_10empty_typeEbEEZZNS1_14partition_implILS8_4ELb0ES6_15HIP_vector_typeIjLj2EENS0_17counting_iteratorIjlEEPS9_SG_NS0_5tupleIJPjSI_NS0_16reverse_iteratorISI_EEEEENSH_IJSG_SG_SG_EEES9_SI_JZNS1_25segmented_radix_sort_implINS0_14default_configELb0EPKfPfPKlPlN2at6native12_GLOBAL__N_18offset_tEEE10hipError_tPvRmT1_PNSt15iterator_traitsIS12_E10value_typeET2_T3_PNS13_IS18_E10value_typeET4_jRbjT5_S1E_jjP12ihipStream_tbEUljE_ZNSN_ISO_Lb0ESQ_SR_ST_SU_SY_EESZ_S10_S11_S12_S16_S17_S18_S1B_S1C_jS1D_jS1E_S1E_jjS1G_bEUljE0_EEESZ_S10_S11_S18_S1C_S1E_T6_T7_T9_mT8_S1G_bDpT10_ENKUlT_T0_E_clISt17integral_constantIbLb0EES1T_IbLb1EEEEDaS1P_S1Q_EUlS1P_E_NS1_11comp_targetILNS1_3genE9ELNS1_11target_archE1100ELNS1_3gpuE3ELNS1_3repE0EEENS1_30default_config_static_selectorELNS0_4arch9wavefront6targetE0EEEvS12_,@function
_ZN7rocprim17ROCPRIM_400000_NS6detail17trampoline_kernelINS0_13select_configILj256ELj13ELNS0_17block_load_methodE3ELS4_3ELS4_3ELNS0_20block_scan_algorithmE0ELj4294967295EEENS1_25partition_config_selectorILNS1_17partition_subalgoE4EjNS0_10empty_typeEbEEZZNS1_14partition_implILS8_4ELb0ES6_15HIP_vector_typeIjLj2EENS0_17counting_iteratorIjlEEPS9_SG_NS0_5tupleIJPjSI_NS0_16reverse_iteratorISI_EEEEENSH_IJSG_SG_SG_EEES9_SI_JZNS1_25segmented_radix_sort_implINS0_14default_configELb0EPKfPfPKlPlN2at6native12_GLOBAL__N_18offset_tEEE10hipError_tPvRmT1_PNSt15iterator_traitsIS12_E10value_typeET2_T3_PNS13_IS18_E10value_typeET4_jRbjT5_S1E_jjP12ihipStream_tbEUljE_ZNSN_ISO_Lb0ESQ_SR_ST_SU_SY_EESZ_S10_S11_S12_S16_S17_S18_S1B_S1C_jS1D_jS1E_S1E_jjS1G_bEUljE0_EEESZ_S10_S11_S18_S1C_S1E_T6_T7_T9_mT8_S1G_bDpT10_ENKUlT_T0_E_clISt17integral_constantIbLb0EES1T_IbLb1EEEEDaS1P_S1Q_EUlS1P_E_NS1_11comp_targetILNS1_3genE9ELNS1_11target_archE1100ELNS1_3gpuE3ELNS1_3repE0EEENS1_30default_config_static_selectorELNS0_4arch9wavefront6targetE0EEEvS12_: ; @_ZN7rocprim17ROCPRIM_400000_NS6detail17trampoline_kernelINS0_13select_configILj256ELj13ELNS0_17block_load_methodE3ELS4_3ELS4_3ELNS0_20block_scan_algorithmE0ELj4294967295EEENS1_25partition_config_selectorILNS1_17partition_subalgoE4EjNS0_10empty_typeEbEEZZNS1_14partition_implILS8_4ELb0ES6_15HIP_vector_typeIjLj2EENS0_17counting_iteratorIjlEEPS9_SG_NS0_5tupleIJPjSI_NS0_16reverse_iteratorISI_EEEEENSH_IJSG_SG_SG_EEES9_SI_JZNS1_25segmented_radix_sort_implINS0_14default_configELb0EPKfPfPKlPlN2at6native12_GLOBAL__N_18offset_tEEE10hipError_tPvRmT1_PNSt15iterator_traitsIS12_E10value_typeET2_T3_PNS13_IS18_E10value_typeET4_jRbjT5_S1E_jjP12ihipStream_tbEUljE_ZNSN_ISO_Lb0ESQ_SR_ST_SU_SY_EESZ_S10_S11_S12_S16_S17_S18_S1B_S1C_jS1D_jS1E_S1E_jjS1G_bEUljE0_EEESZ_S10_S11_S18_S1C_S1E_T6_T7_T9_mT8_S1G_bDpT10_ENKUlT_T0_E_clISt17integral_constantIbLb0EES1T_IbLb1EEEEDaS1P_S1Q_EUlS1P_E_NS1_11comp_targetILNS1_3genE9ELNS1_11target_archE1100ELNS1_3gpuE3ELNS1_3repE0EEENS1_30default_config_static_selectorELNS0_4arch9wavefront6targetE0EEEvS12_
; %bb.0:
	.section	.rodata,"a",@progbits
	.p2align	6, 0x0
	.amdhsa_kernel _ZN7rocprim17ROCPRIM_400000_NS6detail17trampoline_kernelINS0_13select_configILj256ELj13ELNS0_17block_load_methodE3ELS4_3ELS4_3ELNS0_20block_scan_algorithmE0ELj4294967295EEENS1_25partition_config_selectorILNS1_17partition_subalgoE4EjNS0_10empty_typeEbEEZZNS1_14partition_implILS8_4ELb0ES6_15HIP_vector_typeIjLj2EENS0_17counting_iteratorIjlEEPS9_SG_NS0_5tupleIJPjSI_NS0_16reverse_iteratorISI_EEEEENSH_IJSG_SG_SG_EEES9_SI_JZNS1_25segmented_radix_sort_implINS0_14default_configELb0EPKfPfPKlPlN2at6native12_GLOBAL__N_18offset_tEEE10hipError_tPvRmT1_PNSt15iterator_traitsIS12_E10value_typeET2_T3_PNS13_IS18_E10value_typeET4_jRbjT5_S1E_jjP12ihipStream_tbEUljE_ZNSN_ISO_Lb0ESQ_SR_ST_SU_SY_EESZ_S10_S11_S12_S16_S17_S18_S1B_S1C_jS1D_jS1E_S1E_jjS1G_bEUljE0_EEESZ_S10_S11_S18_S1C_S1E_T6_T7_T9_mT8_S1G_bDpT10_ENKUlT_T0_E_clISt17integral_constantIbLb0EES1T_IbLb1EEEEDaS1P_S1Q_EUlS1P_E_NS1_11comp_targetILNS1_3genE9ELNS1_11target_archE1100ELNS1_3gpuE3ELNS1_3repE0EEENS1_30default_config_static_selectorELNS0_4arch9wavefront6targetE0EEEvS12_
		.amdhsa_group_segment_fixed_size 0
		.amdhsa_private_segment_fixed_size 0
		.amdhsa_kernarg_size 184
		.amdhsa_user_sgpr_count 2
		.amdhsa_user_sgpr_dispatch_ptr 0
		.amdhsa_user_sgpr_queue_ptr 0
		.amdhsa_user_sgpr_kernarg_segment_ptr 1
		.amdhsa_user_sgpr_dispatch_id 0
		.amdhsa_user_sgpr_private_segment_size 0
		.amdhsa_wavefront_size32 1
		.amdhsa_uses_dynamic_stack 0
		.amdhsa_enable_private_segment 0
		.amdhsa_system_sgpr_workgroup_id_x 1
		.amdhsa_system_sgpr_workgroup_id_y 0
		.amdhsa_system_sgpr_workgroup_id_z 0
		.amdhsa_system_sgpr_workgroup_info 0
		.amdhsa_system_vgpr_workitem_id 0
		.amdhsa_next_free_vgpr 1
		.amdhsa_next_free_sgpr 1
		.amdhsa_reserve_vcc 0
		.amdhsa_float_round_mode_32 0
		.amdhsa_float_round_mode_16_64 0
		.amdhsa_float_denorm_mode_32 3
		.amdhsa_float_denorm_mode_16_64 3
		.amdhsa_fp16_overflow 0
		.amdhsa_workgroup_processor_mode 1
		.amdhsa_memory_ordered 1
		.amdhsa_forward_progress 1
		.amdhsa_inst_pref_size 0
		.amdhsa_round_robin_scheduling 0
		.amdhsa_exception_fp_ieee_invalid_op 0
		.amdhsa_exception_fp_denorm_src 0
		.amdhsa_exception_fp_ieee_div_zero 0
		.amdhsa_exception_fp_ieee_overflow 0
		.amdhsa_exception_fp_ieee_underflow 0
		.amdhsa_exception_fp_ieee_inexact 0
		.amdhsa_exception_int_div_zero 0
	.end_amdhsa_kernel
	.section	.text._ZN7rocprim17ROCPRIM_400000_NS6detail17trampoline_kernelINS0_13select_configILj256ELj13ELNS0_17block_load_methodE3ELS4_3ELS4_3ELNS0_20block_scan_algorithmE0ELj4294967295EEENS1_25partition_config_selectorILNS1_17partition_subalgoE4EjNS0_10empty_typeEbEEZZNS1_14partition_implILS8_4ELb0ES6_15HIP_vector_typeIjLj2EENS0_17counting_iteratorIjlEEPS9_SG_NS0_5tupleIJPjSI_NS0_16reverse_iteratorISI_EEEEENSH_IJSG_SG_SG_EEES9_SI_JZNS1_25segmented_radix_sort_implINS0_14default_configELb0EPKfPfPKlPlN2at6native12_GLOBAL__N_18offset_tEEE10hipError_tPvRmT1_PNSt15iterator_traitsIS12_E10value_typeET2_T3_PNS13_IS18_E10value_typeET4_jRbjT5_S1E_jjP12ihipStream_tbEUljE_ZNSN_ISO_Lb0ESQ_SR_ST_SU_SY_EESZ_S10_S11_S12_S16_S17_S18_S1B_S1C_jS1D_jS1E_S1E_jjS1G_bEUljE0_EEESZ_S10_S11_S18_S1C_S1E_T6_T7_T9_mT8_S1G_bDpT10_ENKUlT_T0_E_clISt17integral_constantIbLb0EES1T_IbLb1EEEEDaS1P_S1Q_EUlS1P_E_NS1_11comp_targetILNS1_3genE9ELNS1_11target_archE1100ELNS1_3gpuE3ELNS1_3repE0EEENS1_30default_config_static_selectorELNS0_4arch9wavefront6targetE0EEEvS12_,"axG",@progbits,_ZN7rocprim17ROCPRIM_400000_NS6detail17trampoline_kernelINS0_13select_configILj256ELj13ELNS0_17block_load_methodE3ELS4_3ELS4_3ELNS0_20block_scan_algorithmE0ELj4294967295EEENS1_25partition_config_selectorILNS1_17partition_subalgoE4EjNS0_10empty_typeEbEEZZNS1_14partition_implILS8_4ELb0ES6_15HIP_vector_typeIjLj2EENS0_17counting_iteratorIjlEEPS9_SG_NS0_5tupleIJPjSI_NS0_16reverse_iteratorISI_EEEEENSH_IJSG_SG_SG_EEES9_SI_JZNS1_25segmented_radix_sort_implINS0_14default_configELb0EPKfPfPKlPlN2at6native12_GLOBAL__N_18offset_tEEE10hipError_tPvRmT1_PNSt15iterator_traitsIS12_E10value_typeET2_T3_PNS13_IS18_E10value_typeET4_jRbjT5_S1E_jjP12ihipStream_tbEUljE_ZNSN_ISO_Lb0ESQ_SR_ST_SU_SY_EESZ_S10_S11_S12_S16_S17_S18_S1B_S1C_jS1D_jS1E_S1E_jjS1G_bEUljE0_EEESZ_S10_S11_S18_S1C_S1E_T6_T7_T9_mT8_S1G_bDpT10_ENKUlT_T0_E_clISt17integral_constantIbLb0EES1T_IbLb1EEEEDaS1P_S1Q_EUlS1P_E_NS1_11comp_targetILNS1_3genE9ELNS1_11target_archE1100ELNS1_3gpuE3ELNS1_3repE0EEENS1_30default_config_static_selectorELNS0_4arch9wavefront6targetE0EEEvS12_,comdat
.Lfunc_end1394:
	.size	_ZN7rocprim17ROCPRIM_400000_NS6detail17trampoline_kernelINS0_13select_configILj256ELj13ELNS0_17block_load_methodE3ELS4_3ELS4_3ELNS0_20block_scan_algorithmE0ELj4294967295EEENS1_25partition_config_selectorILNS1_17partition_subalgoE4EjNS0_10empty_typeEbEEZZNS1_14partition_implILS8_4ELb0ES6_15HIP_vector_typeIjLj2EENS0_17counting_iteratorIjlEEPS9_SG_NS0_5tupleIJPjSI_NS0_16reverse_iteratorISI_EEEEENSH_IJSG_SG_SG_EEES9_SI_JZNS1_25segmented_radix_sort_implINS0_14default_configELb0EPKfPfPKlPlN2at6native12_GLOBAL__N_18offset_tEEE10hipError_tPvRmT1_PNSt15iterator_traitsIS12_E10value_typeET2_T3_PNS13_IS18_E10value_typeET4_jRbjT5_S1E_jjP12ihipStream_tbEUljE_ZNSN_ISO_Lb0ESQ_SR_ST_SU_SY_EESZ_S10_S11_S12_S16_S17_S18_S1B_S1C_jS1D_jS1E_S1E_jjS1G_bEUljE0_EEESZ_S10_S11_S18_S1C_S1E_T6_T7_T9_mT8_S1G_bDpT10_ENKUlT_T0_E_clISt17integral_constantIbLb0EES1T_IbLb1EEEEDaS1P_S1Q_EUlS1P_E_NS1_11comp_targetILNS1_3genE9ELNS1_11target_archE1100ELNS1_3gpuE3ELNS1_3repE0EEENS1_30default_config_static_selectorELNS0_4arch9wavefront6targetE0EEEvS12_, .Lfunc_end1394-_ZN7rocprim17ROCPRIM_400000_NS6detail17trampoline_kernelINS0_13select_configILj256ELj13ELNS0_17block_load_methodE3ELS4_3ELS4_3ELNS0_20block_scan_algorithmE0ELj4294967295EEENS1_25partition_config_selectorILNS1_17partition_subalgoE4EjNS0_10empty_typeEbEEZZNS1_14partition_implILS8_4ELb0ES6_15HIP_vector_typeIjLj2EENS0_17counting_iteratorIjlEEPS9_SG_NS0_5tupleIJPjSI_NS0_16reverse_iteratorISI_EEEEENSH_IJSG_SG_SG_EEES9_SI_JZNS1_25segmented_radix_sort_implINS0_14default_configELb0EPKfPfPKlPlN2at6native12_GLOBAL__N_18offset_tEEE10hipError_tPvRmT1_PNSt15iterator_traitsIS12_E10value_typeET2_T3_PNS13_IS18_E10value_typeET4_jRbjT5_S1E_jjP12ihipStream_tbEUljE_ZNSN_ISO_Lb0ESQ_SR_ST_SU_SY_EESZ_S10_S11_S12_S16_S17_S18_S1B_S1C_jS1D_jS1E_S1E_jjS1G_bEUljE0_EEESZ_S10_S11_S18_S1C_S1E_T6_T7_T9_mT8_S1G_bDpT10_ENKUlT_T0_E_clISt17integral_constantIbLb0EES1T_IbLb1EEEEDaS1P_S1Q_EUlS1P_E_NS1_11comp_targetILNS1_3genE9ELNS1_11target_archE1100ELNS1_3gpuE3ELNS1_3repE0EEENS1_30default_config_static_selectorELNS0_4arch9wavefront6targetE0EEEvS12_
                                        ; -- End function
	.set _ZN7rocprim17ROCPRIM_400000_NS6detail17trampoline_kernelINS0_13select_configILj256ELj13ELNS0_17block_load_methodE3ELS4_3ELS4_3ELNS0_20block_scan_algorithmE0ELj4294967295EEENS1_25partition_config_selectorILNS1_17partition_subalgoE4EjNS0_10empty_typeEbEEZZNS1_14partition_implILS8_4ELb0ES6_15HIP_vector_typeIjLj2EENS0_17counting_iteratorIjlEEPS9_SG_NS0_5tupleIJPjSI_NS0_16reverse_iteratorISI_EEEEENSH_IJSG_SG_SG_EEES9_SI_JZNS1_25segmented_radix_sort_implINS0_14default_configELb0EPKfPfPKlPlN2at6native12_GLOBAL__N_18offset_tEEE10hipError_tPvRmT1_PNSt15iterator_traitsIS12_E10value_typeET2_T3_PNS13_IS18_E10value_typeET4_jRbjT5_S1E_jjP12ihipStream_tbEUljE_ZNSN_ISO_Lb0ESQ_SR_ST_SU_SY_EESZ_S10_S11_S12_S16_S17_S18_S1B_S1C_jS1D_jS1E_S1E_jjS1G_bEUljE0_EEESZ_S10_S11_S18_S1C_S1E_T6_T7_T9_mT8_S1G_bDpT10_ENKUlT_T0_E_clISt17integral_constantIbLb0EES1T_IbLb1EEEEDaS1P_S1Q_EUlS1P_E_NS1_11comp_targetILNS1_3genE9ELNS1_11target_archE1100ELNS1_3gpuE3ELNS1_3repE0EEENS1_30default_config_static_selectorELNS0_4arch9wavefront6targetE0EEEvS12_.num_vgpr, 0
	.set _ZN7rocprim17ROCPRIM_400000_NS6detail17trampoline_kernelINS0_13select_configILj256ELj13ELNS0_17block_load_methodE3ELS4_3ELS4_3ELNS0_20block_scan_algorithmE0ELj4294967295EEENS1_25partition_config_selectorILNS1_17partition_subalgoE4EjNS0_10empty_typeEbEEZZNS1_14partition_implILS8_4ELb0ES6_15HIP_vector_typeIjLj2EENS0_17counting_iteratorIjlEEPS9_SG_NS0_5tupleIJPjSI_NS0_16reverse_iteratorISI_EEEEENSH_IJSG_SG_SG_EEES9_SI_JZNS1_25segmented_radix_sort_implINS0_14default_configELb0EPKfPfPKlPlN2at6native12_GLOBAL__N_18offset_tEEE10hipError_tPvRmT1_PNSt15iterator_traitsIS12_E10value_typeET2_T3_PNS13_IS18_E10value_typeET4_jRbjT5_S1E_jjP12ihipStream_tbEUljE_ZNSN_ISO_Lb0ESQ_SR_ST_SU_SY_EESZ_S10_S11_S12_S16_S17_S18_S1B_S1C_jS1D_jS1E_S1E_jjS1G_bEUljE0_EEESZ_S10_S11_S18_S1C_S1E_T6_T7_T9_mT8_S1G_bDpT10_ENKUlT_T0_E_clISt17integral_constantIbLb0EES1T_IbLb1EEEEDaS1P_S1Q_EUlS1P_E_NS1_11comp_targetILNS1_3genE9ELNS1_11target_archE1100ELNS1_3gpuE3ELNS1_3repE0EEENS1_30default_config_static_selectorELNS0_4arch9wavefront6targetE0EEEvS12_.num_agpr, 0
	.set _ZN7rocprim17ROCPRIM_400000_NS6detail17trampoline_kernelINS0_13select_configILj256ELj13ELNS0_17block_load_methodE3ELS4_3ELS4_3ELNS0_20block_scan_algorithmE0ELj4294967295EEENS1_25partition_config_selectorILNS1_17partition_subalgoE4EjNS0_10empty_typeEbEEZZNS1_14partition_implILS8_4ELb0ES6_15HIP_vector_typeIjLj2EENS0_17counting_iteratorIjlEEPS9_SG_NS0_5tupleIJPjSI_NS0_16reverse_iteratorISI_EEEEENSH_IJSG_SG_SG_EEES9_SI_JZNS1_25segmented_radix_sort_implINS0_14default_configELb0EPKfPfPKlPlN2at6native12_GLOBAL__N_18offset_tEEE10hipError_tPvRmT1_PNSt15iterator_traitsIS12_E10value_typeET2_T3_PNS13_IS18_E10value_typeET4_jRbjT5_S1E_jjP12ihipStream_tbEUljE_ZNSN_ISO_Lb0ESQ_SR_ST_SU_SY_EESZ_S10_S11_S12_S16_S17_S18_S1B_S1C_jS1D_jS1E_S1E_jjS1G_bEUljE0_EEESZ_S10_S11_S18_S1C_S1E_T6_T7_T9_mT8_S1G_bDpT10_ENKUlT_T0_E_clISt17integral_constantIbLb0EES1T_IbLb1EEEEDaS1P_S1Q_EUlS1P_E_NS1_11comp_targetILNS1_3genE9ELNS1_11target_archE1100ELNS1_3gpuE3ELNS1_3repE0EEENS1_30default_config_static_selectorELNS0_4arch9wavefront6targetE0EEEvS12_.numbered_sgpr, 0
	.set _ZN7rocprim17ROCPRIM_400000_NS6detail17trampoline_kernelINS0_13select_configILj256ELj13ELNS0_17block_load_methodE3ELS4_3ELS4_3ELNS0_20block_scan_algorithmE0ELj4294967295EEENS1_25partition_config_selectorILNS1_17partition_subalgoE4EjNS0_10empty_typeEbEEZZNS1_14partition_implILS8_4ELb0ES6_15HIP_vector_typeIjLj2EENS0_17counting_iteratorIjlEEPS9_SG_NS0_5tupleIJPjSI_NS0_16reverse_iteratorISI_EEEEENSH_IJSG_SG_SG_EEES9_SI_JZNS1_25segmented_radix_sort_implINS0_14default_configELb0EPKfPfPKlPlN2at6native12_GLOBAL__N_18offset_tEEE10hipError_tPvRmT1_PNSt15iterator_traitsIS12_E10value_typeET2_T3_PNS13_IS18_E10value_typeET4_jRbjT5_S1E_jjP12ihipStream_tbEUljE_ZNSN_ISO_Lb0ESQ_SR_ST_SU_SY_EESZ_S10_S11_S12_S16_S17_S18_S1B_S1C_jS1D_jS1E_S1E_jjS1G_bEUljE0_EEESZ_S10_S11_S18_S1C_S1E_T6_T7_T9_mT8_S1G_bDpT10_ENKUlT_T0_E_clISt17integral_constantIbLb0EES1T_IbLb1EEEEDaS1P_S1Q_EUlS1P_E_NS1_11comp_targetILNS1_3genE9ELNS1_11target_archE1100ELNS1_3gpuE3ELNS1_3repE0EEENS1_30default_config_static_selectorELNS0_4arch9wavefront6targetE0EEEvS12_.num_named_barrier, 0
	.set _ZN7rocprim17ROCPRIM_400000_NS6detail17trampoline_kernelINS0_13select_configILj256ELj13ELNS0_17block_load_methodE3ELS4_3ELS4_3ELNS0_20block_scan_algorithmE0ELj4294967295EEENS1_25partition_config_selectorILNS1_17partition_subalgoE4EjNS0_10empty_typeEbEEZZNS1_14partition_implILS8_4ELb0ES6_15HIP_vector_typeIjLj2EENS0_17counting_iteratorIjlEEPS9_SG_NS0_5tupleIJPjSI_NS0_16reverse_iteratorISI_EEEEENSH_IJSG_SG_SG_EEES9_SI_JZNS1_25segmented_radix_sort_implINS0_14default_configELb0EPKfPfPKlPlN2at6native12_GLOBAL__N_18offset_tEEE10hipError_tPvRmT1_PNSt15iterator_traitsIS12_E10value_typeET2_T3_PNS13_IS18_E10value_typeET4_jRbjT5_S1E_jjP12ihipStream_tbEUljE_ZNSN_ISO_Lb0ESQ_SR_ST_SU_SY_EESZ_S10_S11_S12_S16_S17_S18_S1B_S1C_jS1D_jS1E_S1E_jjS1G_bEUljE0_EEESZ_S10_S11_S18_S1C_S1E_T6_T7_T9_mT8_S1G_bDpT10_ENKUlT_T0_E_clISt17integral_constantIbLb0EES1T_IbLb1EEEEDaS1P_S1Q_EUlS1P_E_NS1_11comp_targetILNS1_3genE9ELNS1_11target_archE1100ELNS1_3gpuE3ELNS1_3repE0EEENS1_30default_config_static_selectorELNS0_4arch9wavefront6targetE0EEEvS12_.private_seg_size, 0
	.set _ZN7rocprim17ROCPRIM_400000_NS6detail17trampoline_kernelINS0_13select_configILj256ELj13ELNS0_17block_load_methodE3ELS4_3ELS4_3ELNS0_20block_scan_algorithmE0ELj4294967295EEENS1_25partition_config_selectorILNS1_17partition_subalgoE4EjNS0_10empty_typeEbEEZZNS1_14partition_implILS8_4ELb0ES6_15HIP_vector_typeIjLj2EENS0_17counting_iteratorIjlEEPS9_SG_NS0_5tupleIJPjSI_NS0_16reverse_iteratorISI_EEEEENSH_IJSG_SG_SG_EEES9_SI_JZNS1_25segmented_radix_sort_implINS0_14default_configELb0EPKfPfPKlPlN2at6native12_GLOBAL__N_18offset_tEEE10hipError_tPvRmT1_PNSt15iterator_traitsIS12_E10value_typeET2_T3_PNS13_IS18_E10value_typeET4_jRbjT5_S1E_jjP12ihipStream_tbEUljE_ZNSN_ISO_Lb0ESQ_SR_ST_SU_SY_EESZ_S10_S11_S12_S16_S17_S18_S1B_S1C_jS1D_jS1E_S1E_jjS1G_bEUljE0_EEESZ_S10_S11_S18_S1C_S1E_T6_T7_T9_mT8_S1G_bDpT10_ENKUlT_T0_E_clISt17integral_constantIbLb0EES1T_IbLb1EEEEDaS1P_S1Q_EUlS1P_E_NS1_11comp_targetILNS1_3genE9ELNS1_11target_archE1100ELNS1_3gpuE3ELNS1_3repE0EEENS1_30default_config_static_selectorELNS0_4arch9wavefront6targetE0EEEvS12_.uses_vcc, 0
	.set _ZN7rocprim17ROCPRIM_400000_NS6detail17trampoline_kernelINS0_13select_configILj256ELj13ELNS0_17block_load_methodE3ELS4_3ELS4_3ELNS0_20block_scan_algorithmE0ELj4294967295EEENS1_25partition_config_selectorILNS1_17partition_subalgoE4EjNS0_10empty_typeEbEEZZNS1_14partition_implILS8_4ELb0ES6_15HIP_vector_typeIjLj2EENS0_17counting_iteratorIjlEEPS9_SG_NS0_5tupleIJPjSI_NS0_16reverse_iteratorISI_EEEEENSH_IJSG_SG_SG_EEES9_SI_JZNS1_25segmented_radix_sort_implINS0_14default_configELb0EPKfPfPKlPlN2at6native12_GLOBAL__N_18offset_tEEE10hipError_tPvRmT1_PNSt15iterator_traitsIS12_E10value_typeET2_T3_PNS13_IS18_E10value_typeET4_jRbjT5_S1E_jjP12ihipStream_tbEUljE_ZNSN_ISO_Lb0ESQ_SR_ST_SU_SY_EESZ_S10_S11_S12_S16_S17_S18_S1B_S1C_jS1D_jS1E_S1E_jjS1G_bEUljE0_EEESZ_S10_S11_S18_S1C_S1E_T6_T7_T9_mT8_S1G_bDpT10_ENKUlT_T0_E_clISt17integral_constantIbLb0EES1T_IbLb1EEEEDaS1P_S1Q_EUlS1P_E_NS1_11comp_targetILNS1_3genE9ELNS1_11target_archE1100ELNS1_3gpuE3ELNS1_3repE0EEENS1_30default_config_static_selectorELNS0_4arch9wavefront6targetE0EEEvS12_.uses_flat_scratch, 0
	.set _ZN7rocprim17ROCPRIM_400000_NS6detail17trampoline_kernelINS0_13select_configILj256ELj13ELNS0_17block_load_methodE3ELS4_3ELS4_3ELNS0_20block_scan_algorithmE0ELj4294967295EEENS1_25partition_config_selectorILNS1_17partition_subalgoE4EjNS0_10empty_typeEbEEZZNS1_14partition_implILS8_4ELb0ES6_15HIP_vector_typeIjLj2EENS0_17counting_iteratorIjlEEPS9_SG_NS0_5tupleIJPjSI_NS0_16reverse_iteratorISI_EEEEENSH_IJSG_SG_SG_EEES9_SI_JZNS1_25segmented_radix_sort_implINS0_14default_configELb0EPKfPfPKlPlN2at6native12_GLOBAL__N_18offset_tEEE10hipError_tPvRmT1_PNSt15iterator_traitsIS12_E10value_typeET2_T3_PNS13_IS18_E10value_typeET4_jRbjT5_S1E_jjP12ihipStream_tbEUljE_ZNSN_ISO_Lb0ESQ_SR_ST_SU_SY_EESZ_S10_S11_S12_S16_S17_S18_S1B_S1C_jS1D_jS1E_S1E_jjS1G_bEUljE0_EEESZ_S10_S11_S18_S1C_S1E_T6_T7_T9_mT8_S1G_bDpT10_ENKUlT_T0_E_clISt17integral_constantIbLb0EES1T_IbLb1EEEEDaS1P_S1Q_EUlS1P_E_NS1_11comp_targetILNS1_3genE9ELNS1_11target_archE1100ELNS1_3gpuE3ELNS1_3repE0EEENS1_30default_config_static_selectorELNS0_4arch9wavefront6targetE0EEEvS12_.has_dyn_sized_stack, 0
	.set _ZN7rocprim17ROCPRIM_400000_NS6detail17trampoline_kernelINS0_13select_configILj256ELj13ELNS0_17block_load_methodE3ELS4_3ELS4_3ELNS0_20block_scan_algorithmE0ELj4294967295EEENS1_25partition_config_selectorILNS1_17partition_subalgoE4EjNS0_10empty_typeEbEEZZNS1_14partition_implILS8_4ELb0ES6_15HIP_vector_typeIjLj2EENS0_17counting_iteratorIjlEEPS9_SG_NS0_5tupleIJPjSI_NS0_16reverse_iteratorISI_EEEEENSH_IJSG_SG_SG_EEES9_SI_JZNS1_25segmented_radix_sort_implINS0_14default_configELb0EPKfPfPKlPlN2at6native12_GLOBAL__N_18offset_tEEE10hipError_tPvRmT1_PNSt15iterator_traitsIS12_E10value_typeET2_T3_PNS13_IS18_E10value_typeET4_jRbjT5_S1E_jjP12ihipStream_tbEUljE_ZNSN_ISO_Lb0ESQ_SR_ST_SU_SY_EESZ_S10_S11_S12_S16_S17_S18_S1B_S1C_jS1D_jS1E_S1E_jjS1G_bEUljE0_EEESZ_S10_S11_S18_S1C_S1E_T6_T7_T9_mT8_S1G_bDpT10_ENKUlT_T0_E_clISt17integral_constantIbLb0EES1T_IbLb1EEEEDaS1P_S1Q_EUlS1P_E_NS1_11comp_targetILNS1_3genE9ELNS1_11target_archE1100ELNS1_3gpuE3ELNS1_3repE0EEENS1_30default_config_static_selectorELNS0_4arch9wavefront6targetE0EEEvS12_.has_recursion, 0
	.set _ZN7rocprim17ROCPRIM_400000_NS6detail17trampoline_kernelINS0_13select_configILj256ELj13ELNS0_17block_load_methodE3ELS4_3ELS4_3ELNS0_20block_scan_algorithmE0ELj4294967295EEENS1_25partition_config_selectorILNS1_17partition_subalgoE4EjNS0_10empty_typeEbEEZZNS1_14partition_implILS8_4ELb0ES6_15HIP_vector_typeIjLj2EENS0_17counting_iteratorIjlEEPS9_SG_NS0_5tupleIJPjSI_NS0_16reverse_iteratorISI_EEEEENSH_IJSG_SG_SG_EEES9_SI_JZNS1_25segmented_radix_sort_implINS0_14default_configELb0EPKfPfPKlPlN2at6native12_GLOBAL__N_18offset_tEEE10hipError_tPvRmT1_PNSt15iterator_traitsIS12_E10value_typeET2_T3_PNS13_IS18_E10value_typeET4_jRbjT5_S1E_jjP12ihipStream_tbEUljE_ZNSN_ISO_Lb0ESQ_SR_ST_SU_SY_EESZ_S10_S11_S12_S16_S17_S18_S1B_S1C_jS1D_jS1E_S1E_jjS1G_bEUljE0_EEESZ_S10_S11_S18_S1C_S1E_T6_T7_T9_mT8_S1G_bDpT10_ENKUlT_T0_E_clISt17integral_constantIbLb0EES1T_IbLb1EEEEDaS1P_S1Q_EUlS1P_E_NS1_11comp_targetILNS1_3genE9ELNS1_11target_archE1100ELNS1_3gpuE3ELNS1_3repE0EEENS1_30default_config_static_selectorELNS0_4arch9wavefront6targetE0EEEvS12_.has_indirect_call, 0
	.section	.AMDGPU.csdata,"",@progbits
; Kernel info:
; codeLenInByte = 0
; TotalNumSgprs: 0
; NumVgprs: 0
; ScratchSize: 0
; MemoryBound: 0
; FloatMode: 240
; IeeeMode: 1
; LDSByteSize: 0 bytes/workgroup (compile time only)
; SGPRBlocks: 0
; VGPRBlocks: 0
; NumSGPRsForWavesPerEU: 1
; NumVGPRsForWavesPerEU: 1
; Occupancy: 16
; WaveLimiterHint : 0
; COMPUTE_PGM_RSRC2:SCRATCH_EN: 0
; COMPUTE_PGM_RSRC2:USER_SGPR: 2
; COMPUTE_PGM_RSRC2:TRAP_HANDLER: 0
; COMPUTE_PGM_RSRC2:TGID_X_EN: 1
; COMPUTE_PGM_RSRC2:TGID_Y_EN: 0
; COMPUTE_PGM_RSRC2:TGID_Z_EN: 0
; COMPUTE_PGM_RSRC2:TIDIG_COMP_CNT: 0
	.section	.text._ZN7rocprim17ROCPRIM_400000_NS6detail17trampoline_kernelINS0_13select_configILj256ELj13ELNS0_17block_load_methodE3ELS4_3ELS4_3ELNS0_20block_scan_algorithmE0ELj4294967295EEENS1_25partition_config_selectorILNS1_17partition_subalgoE4EjNS0_10empty_typeEbEEZZNS1_14partition_implILS8_4ELb0ES6_15HIP_vector_typeIjLj2EENS0_17counting_iteratorIjlEEPS9_SG_NS0_5tupleIJPjSI_NS0_16reverse_iteratorISI_EEEEENSH_IJSG_SG_SG_EEES9_SI_JZNS1_25segmented_radix_sort_implINS0_14default_configELb0EPKfPfPKlPlN2at6native12_GLOBAL__N_18offset_tEEE10hipError_tPvRmT1_PNSt15iterator_traitsIS12_E10value_typeET2_T3_PNS13_IS18_E10value_typeET4_jRbjT5_S1E_jjP12ihipStream_tbEUljE_ZNSN_ISO_Lb0ESQ_SR_ST_SU_SY_EESZ_S10_S11_S12_S16_S17_S18_S1B_S1C_jS1D_jS1E_S1E_jjS1G_bEUljE0_EEESZ_S10_S11_S18_S1C_S1E_T6_T7_T9_mT8_S1G_bDpT10_ENKUlT_T0_E_clISt17integral_constantIbLb0EES1T_IbLb1EEEEDaS1P_S1Q_EUlS1P_E_NS1_11comp_targetILNS1_3genE8ELNS1_11target_archE1030ELNS1_3gpuE2ELNS1_3repE0EEENS1_30default_config_static_selectorELNS0_4arch9wavefront6targetE0EEEvS12_,"axG",@progbits,_ZN7rocprim17ROCPRIM_400000_NS6detail17trampoline_kernelINS0_13select_configILj256ELj13ELNS0_17block_load_methodE3ELS4_3ELS4_3ELNS0_20block_scan_algorithmE0ELj4294967295EEENS1_25partition_config_selectorILNS1_17partition_subalgoE4EjNS0_10empty_typeEbEEZZNS1_14partition_implILS8_4ELb0ES6_15HIP_vector_typeIjLj2EENS0_17counting_iteratorIjlEEPS9_SG_NS0_5tupleIJPjSI_NS0_16reverse_iteratorISI_EEEEENSH_IJSG_SG_SG_EEES9_SI_JZNS1_25segmented_radix_sort_implINS0_14default_configELb0EPKfPfPKlPlN2at6native12_GLOBAL__N_18offset_tEEE10hipError_tPvRmT1_PNSt15iterator_traitsIS12_E10value_typeET2_T3_PNS13_IS18_E10value_typeET4_jRbjT5_S1E_jjP12ihipStream_tbEUljE_ZNSN_ISO_Lb0ESQ_SR_ST_SU_SY_EESZ_S10_S11_S12_S16_S17_S18_S1B_S1C_jS1D_jS1E_S1E_jjS1G_bEUljE0_EEESZ_S10_S11_S18_S1C_S1E_T6_T7_T9_mT8_S1G_bDpT10_ENKUlT_T0_E_clISt17integral_constantIbLb0EES1T_IbLb1EEEEDaS1P_S1Q_EUlS1P_E_NS1_11comp_targetILNS1_3genE8ELNS1_11target_archE1030ELNS1_3gpuE2ELNS1_3repE0EEENS1_30default_config_static_selectorELNS0_4arch9wavefront6targetE0EEEvS12_,comdat
	.globl	_ZN7rocprim17ROCPRIM_400000_NS6detail17trampoline_kernelINS0_13select_configILj256ELj13ELNS0_17block_load_methodE3ELS4_3ELS4_3ELNS0_20block_scan_algorithmE0ELj4294967295EEENS1_25partition_config_selectorILNS1_17partition_subalgoE4EjNS0_10empty_typeEbEEZZNS1_14partition_implILS8_4ELb0ES6_15HIP_vector_typeIjLj2EENS0_17counting_iteratorIjlEEPS9_SG_NS0_5tupleIJPjSI_NS0_16reverse_iteratorISI_EEEEENSH_IJSG_SG_SG_EEES9_SI_JZNS1_25segmented_radix_sort_implINS0_14default_configELb0EPKfPfPKlPlN2at6native12_GLOBAL__N_18offset_tEEE10hipError_tPvRmT1_PNSt15iterator_traitsIS12_E10value_typeET2_T3_PNS13_IS18_E10value_typeET4_jRbjT5_S1E_jjP12ihipStream_tbEUljE_ZNSN_ISO_Lb0ESQ_SR_ST_SU_SY_EESZ_S10_S11_S12_S16_S17_S18_S1B_S1C_jS1D_jS1E_S1E_jjS1G_bEUljE0_EEESZ_S10_S11_S18_S1C_S1E_T6_T7_T9_mT8_S1G_bDpT10_ENKUlT_T0_E_clISt17integral_constantIbLb0EES1T_IbLb1EEEEDaS1P_S1Q_EUlS1P_E_NS1_11comp_targetILNS1_3genE8ELNS1_11target_archE1030ELNS1_3gpuE2ELNS1_3repE0EEENS1_30default_config_static_selectorELNS0_4arch9wavefront6targetE0EEEvS12_ ; -- Begin function _ZN7rocprim17ROCPRIM_400000_NS6detail17trampoline_kernelINS0_13select_configILj256ELj13ELNS0_17block_load_methodE3ELS4_3ELS4_3ELNS0_20block_scan_algorithmE0ELj4294967295EEENS1_25partition_config_selectorILNS1_17partition_subalgoE4EjNS0_10empty_typeEbEEZZNS1_14partition_implILS8_4ELb0ES6_15HIP_vector_typeIjLj2EENS0_17counting_iteratorIjlEEPS9_SG_NS0_5tupleIJPjSI_NS0_16reverse_iteratorISI_EEEEENSH_IJSG_SG_SG_EEES9_SI_JZNS1_25segmented_radix_sort_implINS0_14default_configELb0EPKfPfPKlPlN2at6native12_GLOBAL__N_18offset_tEEE10hipError_tPvRmT1_PNSt15iterator_traitsIS12_E10value_typeET2_T3_PNS13_IS18_E10value_typeET4_jRbjT5_S1E_jjP12ihipStream_tbEUljE_ZNSN_ISO_Lb0ESQ_SR_ST_SU_SY_EESZ_S10_S11_S12_S16_S17_S18_S1B_S1C_jS1D_jS1E_S1E_jjS1G_bEUljE0_EEESZ_S10_S11_S18_S1C_S1E_T6_T7_T9_mT8_S1G_bDpT10_ENKUlT_T0_E_clISt17integral_constantIbLb0EES1T_IbLb1EEEEDaS1P_S1Q_EUlS1P_E_NS1_11comp_targetILNS1_3genE8ELNS1_11target_archE1030ELNS1_3gpuE2ELNS1_3repE0EEENS1_30default_config_static_selectorELNS0_4arch9wavefront6targetE0EEEvS12_
	.p2align	8
	.type	_ZN7rocprim17ROCPRIM_400000_NS6detail17trampoline_kernelINS0_13select_configILj256ELj13ELNS0_17block_load_methodE3ELS4_3ELS4_3ELNS0_20block_scan_algorithmE0ELj4294967295EEENS1_25partition_config_selectorILNS1_17partition_subalgoE4EjNS0_10empty_typeEbEEZZNS1_14partition_implILS8_4ELb0ES6_15HIP_vector_typeIjLj2EENS0_17counting_iteratorIjlEEPS9_SG_NS0_5tupleIJPjSI_NS0_16reverse_iteratorISI_EEEEENSH_IJSG_SG_SG_EEES9_SI_JZNS1_25segmented_radix_sort_implINS0_14default_configELb0EPKfPfPKlPlN2at6native12_GLOBAL__N_18offset_tEEE10hipError_tPvRmT1_PNSt15iterator_traitsIS12_E10value_typeET2_T3_PNS13_IS18_E10value_typeET4_jRbjT5_S1E_jjP12ihipStream_tbEUljE_ZNSN_ISO_Lb0ESQ_SR_ST_SU_SY_EESZ_S10_S11_S12_S16_S17_S18_S1B_S1C_jS1D_jS1E_S1E_jjS1G_bEUljE0_EEESZ_S10_S11_S18_S1C_S1E_T6_T7_T9_mT8_S1G_bDpT10_ENKUlT_T0_E_clISt17integral_constantIbLb0EES1T_IbLb1EEEEDaS1P_S1Q_EUlS1P_E_NS1_11comp_targetILNS1_3genE8ELNS1_11target_archE1030ELNS1_3gpuE2ELNS1_3repE0EEENS1_30default_config_static_selectorELNS0_4arch9wavefront6targetE0EEEvS12_,@function
_ZN7rocprim17ROCPRIM_400000_NS6detail17trampoline_kernelINS0_13select_configILj256ELj13ELNS0_17block_load_methodE3ELS4_3ELS4_3ELNS0_20block_scan_algorithmE0ELj4294967295EEENS1_25partition_config_selectorILNS1_17partition_subalgoE4EjNS0_10empty_typeEbEEZZNS1_14partition_implILS8_4ELb0ES6_15HIP_vector_typeIjLj2EENS0_17counting_iteratorIjlEEPS9_SG_NS0_5tupleIJPjSI_NS0_16reverse_iteratorISI_EEEEENSH_IJSG_SG_SG_EEES9_SI_JZNS1_25segmented_radix_sort_implINS0_14default_configELb0EPKfPfPKlPlN2at6native12_GLOBAL__N_18offset_tEEE10hipError_tPvRmT1_PNSt15iterator_traitsIS12_E10value_typeET2_T3_PNS13_IS18_E10value_typeET4_jRbjT5_S1E_jjP12ihipStream_tbEUljE_ZNSN_ISO_Lb0ESQ_SR_ST_SU_SY_EESZ_S10_S11_S12_S16_S17_S18_S1B_S1C_jS1D_jS1E_S1E_jjS1G_bEUljE0_EEESZ_S10_S11_S18_S1C_S1E_T6_T7_T9_mT8_S1G_bDpT10_ENKUlT_T0_E_clISt17integral_constantIbLb0EES1T_IbLb1EEEEDaS1P_S1Q_EUlS1P_E_NS1_11comp_targetILNS1_3genE8ELNS1_11target_archE1030ELNS1_3gpuE2ELNS1_3repE0EEENS1_30default_config_static_selectorELNS0_4arch9wavefront6targetE0EEEvS12_: ; @_ZN7rocprim17ROCPRIM_400000_NS6detail17trampoline_kernelINS0_13select_configILj256ELj13ELNS0_17block_load_methodE3ELS4_3ELS4_3ELNS0_20block_scan_algorithmE0ELj4294967295EEENS1_25partition_config_selectorILNS1_17partition_subalgoE4EjNS0_10empty_typeEbEEZZNS1_14partition_implILS8_4ELb0ES6_15HIP_vector_typeIjLj2EENS0_17counting_iteratorIjlEEPS9_SG_NS0_5tupleIJPjSI_NS0_16reverse_iteratorISI_EEEEENSH_IJSG_SG_SG_EEES9_SI_JZNS1_25segmented_radix_sort_implINS0_14default_configELb0EPKfPfPKlPlN2at6native12_GLOBAL__N_18offset_tEEE10hipError_tPvRmT1_PNSt15iterator_traitsIS12_E10value_typeET2_T3_PNS13_IS18_E10value_typeET4_jRbjT5_S1E_jjP12ihipStream_tbEUljE_ZNSN_ISO_Lb0ESQ_SR_ST_SU_SY_EESZ_S10_S11_S12_S16_S17_S18_S1B_S1C_jS1D_jS1E_S1E_jjS1G_bEUljE0_EEESZ_S10_S11_S18_S1C_S1E_T6_T7_T9_mT8_S1G_bDpT10_ENKUlT_T0_E_clISt17integral_constantIbLb0EES1T_IbLb1EEEEDaS1P_S1Q_EUlS1P_E_NS1_11comp_targetILNS1_3genE8ELNS1_11target_archE1030ELNS1_3gpuE2ELNS1_3repE0EEENS1_30default_config_static_selectorELNS0_4arch9wavefront6targetE0EEEvS12_
; %bb.0:
	.section	.rodata,"a",@progbits
	.p2align	6, 0x0
	.amdhsa_kernel _ZN7rocprim17ROCPRIM_400000_NS6detail17trampoline_kernelINS0_13select_configILj256ELj13ELNS0_17block_load_methodE3ELS4_3ELS4_3ELNS0_20block_scan_algorithmE0ELj4294967295EEENS1_25partition_config_selectorILNS1_17partition_subalgoE4EjNS0_10empty_typeEbEEZZNS1_14partition_implILS8_4ELb0ES6_15HIP_vector_typeIjLj2EENS0_17counting_iteratorIjlEEPS9_SG_NS0_5tupleIJPjSI_NS0_16reverse_iteratorISI_EEEEENSH_IJSG_SG_SG_EEES9_SI_JZNS1_25segmented_radix_sort_implINS0_14default_configELb0EPKfPfPKlPlN2at6native12_GLOBAL__N_18offset_tEEE10hipError_tPvRmT1_PNSt15iterator_traitsIS12_E10value_typeET2_T3_PNS13_IS18_E10value_typeET4_jRbjT5_S1E_jjP12ihipStream_tbEUljE_ZNSN_ISO_Lb0ESQ_SR_ST_SU_SY_EESZ_S10_S11_S12_S16_S17_S18_S1B_S1C_jS1D_jS1E_S1E_jjS1G_bEUljE0_EEESZ_S10_S11_S18_S1C_S1E_T6_T7_T9_mT8_S1G_bDpT10_ENKUlT_T0_E_clISt17integral_constantIbLb0EES1T_IbLb1EEEEDaS1P_S1Q_EUlS1P_E_NS1_11comp_targetILNS1_3genE8ELNS1_11target_archE1030ELNS1_3gpuE2ELNS1_3repE0EEENS1_30default_config_static_selectorELNS0_4arch9wavefront6targetE0EEEvS12_
		.amdhsa_group_segment_fixed_size 0
		.amdhsa_private_segment_fixed_size 0
		.amdhsa_kernarg_size 184
		.amdhsa_user_sgpr_count 2
		.amdhsa_user_sgpr_dispatch_ptr 0
		.amdhsa_user_sgpr_queue_ptr 0
		.amdhsa_user_sgpr_kernarg_segment_ptr 1
		.amdhsa_user_sgpr_dispatch_id 0
		.amdhsa_user_sgpr_private_segment_size 0
		.amdhsa_wavefront_size32 1
		.amdhsa_uses_dynamic_stack 0
		.amdhsa_enable_private_segment 0
		.amdhsa_system_sgpr_workgroup_id_x 1
		.amdhsa_system_sgpr_workgroup_id_y 0
		.amdhsa_system_sgpr_workgroup_id_z 0
		.amdhsa_system_sgpr_workgroup_info 0
		.amdhsa_system_vgpr_workitem_id 0
		.amdhsa_next_free_vgpr 1
		.amdhsa_next_free_sgpr 1
		.amdhsa_reserve_vcc 0
		.amdhsa_float_round_mode_32 0
		.amdhsa_float_round_mode_16_64 0
		.amdhsa_float_denorm_mode_32 3
		.amdhsa_float_denorm_mode_16_64 3
		.amdhsa_fp16_overflow 0
		.amdhsa_workgroup_processor_mode 1
		.amdhsa_memory_ordered 1
		.amdhsa_forward_progress 1
		.amdhsa_inst_pref_size 0
		.amdhsa_round_robin_scheduling 0
		.amdhsa_exception_fp_ieee_invalid_op 0
		.amdhsa_exception_fp_denorm_src 0
		.amdhsa_exception_fp_ieee_div_zero 0
		.amdhsa_exception_fp_ieee_overflow 0
		.amdhsa_exception_fp_ieee_underflow 0
		.amdhsa_exception_fp_ieee_inexact 0
		.amdhsa_exception_int_div_zero 0
	.end_amdhsa_kernel
	.section	.text._ZN7rocprim17ROCPRIM_400000_NS6detail17trampoline_kernelINS0_13select_configILj256ELj13ELNS0_17block_load_methodE3ELS4_3ELS4_3ELNS0_20block_scan_algorithmE0ELj4294967295EEENS1_25partition_config_selectorILNS1_17partition_subalgoE4EjNS0_10empty_typeEbEEZZNS1_14partition_implILS8_4ELb0ES6_15HIP_vector_typeIjLj2EENS0_17counting_iteratorIjlEEPS9_SG_NS0_5tupleIJPjSI_NS0_16reverse_iteratorISI_EEEEENSH_IJSG_SG_SG_EEES9_SI_JZNS1_25segmented_radix_sort_implINS0_14default_configELb0EPKfPfPKlPlN2at6native12_GLOBAL__N_18offset_tEEE10hipError_tPvRmT1_PNSt15iterator_traitsIS12_E10value_typeET2_T3_PNS13_IS18_E10value_typeET4_jRbjT5_S1E_jjP12ihipStream_tbEUljE_ZNSN_ISO_Lb0ESQ_SR_ST_SU_SY_EESZ_S10_S11_S12_S16_S17_S18_S1B_S1C_jS1D_jS1E_S1E_jjS1G_bEUljE0_EEESZ_S10_S11_S18_S1C_S1E_T6_T7_T9_mT8_S1G_bDpT10_ENKUlT_T0_E_clISt17integral_constantIbLb0EES1T_IbLb1EEEEDaS1P_S1Q_EUlS1P_E_NS1_11comp_targetILNS1_3genE8ELNS1_11target_archE1030ELNS1_3gpuE2ELNS1_3repE0EEENS1_30default_config_static_selectorELNS0_4arch9wavefront6targetE0EEEvS12_,"axG",@progbits,_ZN7rocprim17ROCPRIM_400000_NS6detail17trampoline_kernelINS0_13select_configILj256ELj13ELNS0_17block_load_methodE3ELS4_3ELS4_3ELNS0_20block_scan_algorithmE0ELj4294967295EEENS1_25partition_config_selectorILNS1_17partition_subalgoE4EjNS0_10empty_typeEbEEZZNS1_14partition_implILS8_4ELb0ES6_15HIP_vector_typeIjLj2EENS0_17counting_iteratorIjlEEPS9_SG_NS0_5tupleIJPjSI_NS0_16reverse_iteratorISI_EEEEENSH_IJSG_SG_SG_EEES9_SI_JZNS1_25segmented_radix_sort_implINS0_14default_configELb0EPKfPfPKlPlN2at6native12_GLOBAL__N_18offset_tEEE10hipError_tPvRmT1_PNSt15iterator_traitsIS12_E10value_typeET2_T3_PNS13_IS18_E10value_typeET4_jRbjT5_S1E_jjP12ihipStream_tbEUljE_ZNSN_ISO_Lb0ESQ_SR_ST_SU_SY_EESZ_S10_S11_S12_S16_S17_S18_S1B_S1C_jS1D_jS1E_S1E_jjS1G_bEUljE0_EEESZ_S10_S11_S18_S1C_S1E_T6_T7_T9_mT8_S1G_bDpT10_ENKUlT_T0_E_clISt17integral_constantIbLb0EES1T_IbLb1EEEEDaS1P_S1Q_EUlS1P_E_NS1_11comp_targetILNS1_3genE8ELNS1_11target_archE1030ELNS1_3gpuE2ELNS1_3repE0EEENS1_30default_config_static_selectorELNS0_4arch9wavefront6targetE0EEEvS12_,comdat
.Lfunc_end1395:
	.size	_ZN7rocprim17ROCPRIM_400000_NS6detail17trampoline_kernelINS0_13select_configILj256ELj13ELNS0_17block_load_methodE3ELS4_3ELS4_3ELNS0_20block_scan_algorithmE0ELj4294967295EEENS1_25partition_config_selectorILNS1_17partition_subalgoE4EjNS0_10empty_typeEbEEZZNS1_14partition_implILS8_4ELb0ES6_15HIP_vector_typeIjLj2EENS0_17counting_iteratorIjlEEPS9_SG_NS0_5tupleIJPjSI_NS0_16reverse_iteratorISI_EEEEENSH_IJSG_SG_SG_EEES9_SI_JZNS1_25segmented_radix_sort_implINS0_14default_configELb0EPKfPfPKlPlN2at6native12_GLOBAL__N_18offset_tEEE10hipError_tPvRmT1_PNSt15iterator_traitsIS12_E10value_typeET2_T3_PNS13_IS18_E10value_typeET4_jRbjT5_S1E_jjP12ihipStream_tbEUljE_ZNSN_ISO_Lb0ESQ_SR_ST_SU_SY_EESZ_S10_S11_S12_S16_S17_S18_S1B_S1C_jS1D_jS1E_S1E_jjS1G_bEUljE0_EEESZ_S10_S11_S18_S1C_S1E_T6_T7_T9_mT8_S1G_bDpT10_ENKUlT_T0_E_clISt17integral_constantIbLb0EES1T_IbLb1EEEEDaS1P_S1Q_EUlS1P_E_NS1_11comp_targetILNS1_3genE8ELNS1_11target_archE1030ELNS1_3gpuE2ELNS1_3repE0EEENS1_30default_config_static_selectorELNS0_4arch9wavefront6targetE0EEEvS12_, .Lfunc_end1395-_ZN7rocprim17ROCPRIM_400000_NS6detail17trampoline_kernelINS0_13select_configILj256ELj13ELNS0_17block_load_methodE3ELS4_3ELS4_3ELNS0_20block_scan_algorithmE0ELj4294967295EEENS1_25partition_config_selectorILNS1_17partition_subalgoE4EjNS0_10empty_typeEbEEZZNS1_14partition_implILS8_4ELb0ES6_15HIP_vector_typeIjLj2EENS0_17counting_iteratorIjlEEPS9_SG_NS0_5tupleIJPjSI_NS0_16reverse_iteratorISI_EEEEENSH_IJSG_SG_SG_EEES9_SI_JZNS1_25segmented_radix_sort_implINS0_14default_configELb0EPKfPfPKlPlN2at6native12_GLOBAL__N_18offset_tEEE10hipError_tPvRmT1_PNSt15iterator_traitsIS12_E10value_typeET2_T3_PNS13_IS18_E10value_typeET4_jRbjT5_S1E_jjP12ihipStream_tbEUljE_ZNSN_ISO_Lb0ESQ_SR_ST_SU_SY_EESZ_S10_S11_S12_S16_S17_S18_S1B_S1C_jS1D_jS1E_S1E_jjS1G_bEUljE0_EEESZ_S10_S11_S18_S1C_S1E_T6_T7_T9_mT8_S1G_bDpT10_ENKUlT_T0_E_clISt17integral_constantIbLb0EES1T_IbLb1EEEEDaS1P_S1Q_EUlS1P_E_NS1_11comp_targetILNS1_3genE8ELNS1_11target_archE1030ELNS1_3gpuE2ELNS1_3repE0EEENS1_30default_config_static_selectorELNS0_4arch9wavefront6targetE0EEEvS12_
                                        ; -- End function
	.set _ZN7rocprim17ROCPRIM_400000_NS6detail17trampoline_kernelINS0_13select_configILj256ELj13ELNS0_17block_load_methodE3ELS4_3ELS4_3ELNS0_20block_scan_algorithmE0ELj4294967295EEENS1_25partition_config_selectorILNS1_17partition_subalgoE4EjNS0_10empty_typeEbEEZZNS1_14partition_implILS8_4ELb0ES6_15HIP_vector_typeIjLj2EENS0_17counting_iteratorIjlEEPS9_SG_NS0_5tupleIJPjSI_NS0_16reverse_iteratorISI_EEEEENSH_IJSG_SG_SG_EEES9_SI_JZNS1_25segmented_radix_sort_implINS0_14default_configELb0EPKfPfPKlPlN2at6native12_GLOBAL__N_18offset_tEEE10hipError_tPvRmT1_PNSt15iterator_traitsIS12_E10value_typeET2_T3_PNS13_IS18_E10value_typeET4_jRbjT5_S1E_jjP12ihipStream_tbEUljE_ZNSN_ISO_Lb0ESQ_SR_ST_SU_SY_EESZ_S10_S11_S12_S16_S17_S18_S1B_S1C_jS1D_jS1E_S1E_jjS1G_bEUljE0_EEESZ_S10_S11_S18_S1C_S1E_T6_T7_T9_mT8_S1G_bDpT10_ENKUlT_T0_E_clISt17integral_constantIbLb0EES1T_IbLb1EEEEDaS1P_S1Q_EUlS1P_E_NS1_11comp_targetILNS1_3genE8ELNS1_11target_archE1030ELNS1_3gpuE2ELNS1_3repE0EEENS1_30default_config_static_selectorELNS0_4arch9wavefront6targetE0EEEvS12_.num_vgpr, 0
	.set _ZN7rocprim17ROCPRIM_400000_NS6detail17trampoline_kernelINS0_13select_configILj256ELj13ELNS0_17block_load_methodE3ELS4_3ELS4_3ELNS0_20block_scan_algorithmE0ELj4294967295EEENS1_25partition_config_selectorILNS1_17partition_subalgoE4EjNS0_10empty_typeEbEEZZNS1_14partition_implILS8_4ELb0ES6_15HIP_vector_typeIjLj2EENS0_17counting_iteratorIjlEEPS9_SG_NS0_5tupleIJPjSI_NS0_16reverse_iteratorISI_EEEEENSH_IJSG_SG_SG_EEES9_SI_JZNS1_25segmented_radix_sort_implINS0_14default_configELb0EPKfPfPKlPlN2at6native12_GLOBAL__N_18offset_tEEE10hipError_tPvRmT1_PNSt15iterator_traitsIS12_E10value_typeET2_T3_PNS13_IS18_E10value_typeET4_jRbjT5_S1E_jjP12ihipStream_tbEUljE_ZNSN_ISO_Lb0ESQ_SR_ST_SU_SY_EESZ_S10_S11_S12_S16_S17_S18_S1B_S1C_jS1D_jS1E_S1E_jjS1G_bEUljE0_EEESZ_S10_S11_S18_S1C_S1E_T6_T7_T9_mT8_S1G_bDpT10_ENKUlT_T0_E_clISt17integral_constantIbLb0EES1T_IbLb1EEEEDaS1P_S1Q_EUlS1P_E_NS1_11comp_targetILNS1_3genE8ELNS1_11target_archE1030ELNS1_3gpuE2ELNS1_3repE0EEENS1_30default_config_static_selectorELNS0_4arch9wavefront6targetE0EEEvS12_.num_agpr, 0
	.set _ZN7rocprim17ROCPRIM_400000_NS6detail17trampoline_kernelINS0_13select_configILj256ELj13ELNS0_17block_load_methodE3ELS4_3ELS4_3ELNS0_20block_scan_algorithmE0ELj4294967295EEENS1_25partition_config_selectorILNS1_17partition_subalgoE4EjNS0_10empty_typeEbEEZZNS1_14partition_implILS8_4ELb0ES6_15HIP_vector_typeIjLj2EENS0_17counting_iteratorIjlEEPS9_SG_NS0_5tupleIJPjSI_NS0_16reverse_iteratorISI_EEEEENSH_IJSG_SG_SG_EEES9_SI_JZNS1_25segmented_radix_sort_implINS0_14default_configELb0EPKfPfPKlPlN2at6native12_GLOBAL__N_18offset_tEEE10hipError_tPvRmT1_PNSt15iterator_traitsIS12_E10value_typeET2_T3_PNS13_IS18_E10value_typeET4_jRbjT5_S1E_jjP12ihipStream_tbEUljE_ZNSN_ISO_Lb0ESQ_SR_ST_SU_SY_EESZ_S10_S11_S12_S16_S17_S18_S1B_S1C_jS1D_jS1E_S1E_jjS1G_bEUljE0_EEESZ_S10_S11_S18_S1C_S1E_T6_T7_T9_mT8_S1G_bDpT10_ENKUlT_T0_E_clISt17integral_constantIbLb0EES1T_IbLb1EEEEDaS1P_S1Q_EUlS1P_E_NS1_11comp_targetILNS1_3genE8ELNS1_11target_archE1030ELNS1_3gpuE2ELNS1_3repE0EEENS1_30default_config_static_selectorELNS0_4arch9wavefront6targetE0EEEvS12_.numbered_sgpr, 0
	.set _ZN7rocprim17ROCPRIM_400000_NS6detail17trampoline_kernelINS0_13select_configILj256ELj13ELNS0_17block_load_methodE3ELS4_3ELS4_3ELNS0_20block_scan_algorithmE0ELj4294967295EEENS1_25partition_config_selectorILNS1_17partition_subalgoE4EjNS0_10empty_typeEbEEZZNS1_14partition_implILS8_4ELb0ES6_15HIP_vector_typeIjLj2EENS0_17counting_iteratorIjlEEPS9_SG_NS0_5tupleIJPjSI_NS0_16reverse_iteratorISI_EEEEENSH_IJSG_SG_SG_EEES9_SI_JZNS1_25segmented_radix_sort_implINS0_14default_configELb0EPKfPfPKlPlN2at6native12_GLOBAL__N_18offset_tEEE10hipError_tPvRmT1_PNSt15iterator_traitsIS12_E10value_typeET2_T3_PNS13_IS18_E10value_typeET4_jRbjT5_S1E_jjP12ihipStream_tbEUljE_ZNSN_ISO_Lb0ESQ_SR_ST_SU_SY_EESZ_S10_S11_S12_S16_S17_S18_S1B_S1C_jS1D_jS1E_S1E_jjS1G_bEUljE0_EEESZ_S10_S11_S18_S1C_S1E_T6_T7_T9_mT8_S1G_bDpT10_ENKUlT_T0_E_clISt17integral_constantIbLb0EES1T_IbLb1EEEEDaS1P_S1Q_EUlS1P_E_NS1_11comp_targetILNS1_3genE8ELNS1_11target_archE1030ELNS1_3gpuE2ELNS1_3repE0EEENS1_30default_config_static_selectorELNS0_4arch9wavefront6targetE0EEEvS12_.num_named_barrier, 0
	.set _ZN7rocprim17ROCPRIM_400000_NS6detail17trampoline_kernelINS0_13select_configILj256ELj13ELNS0_17block_load_methodE3ELS4_3ELS4_3ELNS0_20block_scan_algorithmE0ELj4294967295EEENS1_25partition_config_selectorILNS1_17partition_subalgoE4EjNS0_10empty_typeEbEEZZNS1_14partition_implILS8_4ELb0ES6_15HIP_vector_typeIjLj2EENS0_17counting_iteratorIjlEEPS9_SG_NS0_5tupleIJPjSI_NS0_16reverse_iteratorISI_EEEEENSH_IJSG_SG_SG_EEES9_SI_JZNS1_25segmented_radix_sort_implINS0_14default_configELb0EPKfPfPKlPlN2at6native12_GLOBAL__N_18offset_tEEE10hipError_tPvRmT1_PNSt15iterator_traitsIS12_E10value_typeET2_T3_PNS13_IS18_E10value_typeET4_jRbjT5_S1E_jjP12ihipStream_tbEUljE_ZNSN_ISO_Lb0ESQ_SR_ST_SU_SY_EESZ_S10_S11_S12_S16_S17_S18_S1B_S1C_jS1D_jS1E_S1E_jjS1G_bEUljE0_EEESZ_S10_S11_S18_S1C_S1E_T6_T7_T9_mT8_S1G_bDpT10_ENKUlT_T0_E_clISt17integral_constantIbLb0EES1T_IbLb1EEEEDaS1P_S1Q_EUlS1P_E_NS1_11comp_targetILNS1_3genE8ELNS1_11target_archE1030ELNS1_3gpuE2ELNS1_3repE0EEENS1_30default_config_static_selectorELNS0_4arch9wavefront6targetE0EEEvS12_.private_seg_size, 0
	.set _ZN7rocprim17ROCPRIM_400000_NS6detail17trampoline_kernelINS0_13select_configILj256ELj13ELNS0_17block_load_methodE3ELS4_3ELS4_3ELNS0_20block_scan_algorithmE0ELj4294967295EEENS1_25partition_config_selectorILNS1_17partition_subalgoE4EjNS0_10empty_typeEbEEZZNS1_14partition_implILS8_4ELb0ES6_15HIP_vector_typeIjLj2EENS0_17counting_iteratorIjlEEPS9_SG_NS0_5tupleIJPjSI_NS0_16reverse_iteratorISI_EEEEENSH_IJSG_SG_SG_EEES9_SI_JZNS1_25segmented_radix_sort_implINS0_14default_configELb0EPKfPfPKlPlN2at6native12_GLOBAL__N_18offset_tEEE10hipError_tPvRmT1_PNSt15iterator_traitsIS12_E10value_typeET2_T3_PNS13_IS18_E10value_typeET4_jRbjT5_S1E_jjP12ihipStream_tbEUljE_ZNSN_ISO_Lb0ESQ_SR_ST_SU_SY_EESZ_S10_S11_S12_S16_S17_S18_S1B_S1C_jS1D_jS1E_S1E_jjS1G_bEUljE0_EEESZ_S10_S11_S18_S1C_S1E_T6_T7_T9_mT8_S1G_bDpT10_ENKUlT_T0_E_clISt17integral_constantIbLb0EES1T_IbLb1EEEEDaS1P_S1Q_EUlS1P_E_NS1_11comp_targetILNS1_3genE8ELNS1_11target_archE1030ELNS1_3gpuE2ELNS1_3repE0EEENS1_30default_config_static_selectorELNS0_4arch9wavefront6targetE0EEEvS12_.uses_vcc, 0
	.set _ZN7rocprim17ROCPRIM_400000_NS6detail17trampoline_kernelINS0_13select_configILj256ELj13ELNS0_17block_load_methodE3ELS4_3ELS4_3ELNS0_20block_scan_algorithmE0ELj4294967295EEENS1_25partition_config_selectorILNS1_17partition_subalgoE4EjNS0_10empty_typeEbEEZZNS1_14partition_implILS8_4ELb0ES6_15HIP_vector_typeIjLj2EENS0_17counting_iteratorIjlEEPS9_SG_NS0_5tupleIJPjSI_NS0_16reverse_iteratorISI_EEEEENSH_IJSG_SG_SG_EEES9_SI_JZNS1_25segmented_radix_sort_implINS0_14default_configELb0EPKfPfPKlPlN2at6native12_GLOBAL__N_18offset_tEEE10hipError_tPvRmT1_PNSt15iterator_traitsIS12_E10value_typeET2_T3_PNS13_IS18_E10value_typeET4_jRbjT5_S1E_jjP12ihipStream_tbEUljE_ZNSN_ISO_Lb0ESQ_SR_ST_SU_SY_EESZ_S10_S11_S12_S16_S17_S18_S1B_S1C_jS1D_jS1E_S1E_jjS1G_bEUljE0_EEESZ_S10_S11_S18_S1C_S1E_T6_T7_T9_mT8_S1G_bDpT10_ENKUlT_T0_E_clISt17integral_constantIbLb0EES1T_IbLb1EEEEDaS1P_S1Q_EUlS1P_E_NS1_11comp_targetILNS1_3genE8ELNS1_11target_archE1030ELNS1_3gpuE2ELNS1_3repE0EEENS1_30default_config_static_selectorELNS0_4arch9wavefront6targetE0EEEvS12_.uses_flat_scratch, 0
	.set _ZN7rocprim17ROCPRIM_400000_NS6detail17trampoline_kernelINS0_13select_configILj256ELj13ELNS0_17block_load_methodE3ELS4_3ELS4_3ELNS0_20block_scan_algorithmE0ELj4294967295EEENS1_25partition_config_selectorILNS1_17partition_subalgoE4EjNS0_10empty_typeEbEEZZNS1_14partition_implILS8_4ELb0ES6_15HIP_vector_typeIjLj2EENS0_17counting_iteratorIjlEEPS9_SG_NS0_5tupleIJPjSI_NS0_16reverse_iteratorISI_EEEEENSH_IJSG_SG_SG_EEES9_SI_JZNS1_25segmented_radix_sort_implINS0_14default_configELb0EPKfPfPKlPlN2at6native12_GLOBAL__N_18offset_tEEE10hipError_tPvRmT1_PNSt15iterator_traitsIS12_E10value_typeET2_T3_PNS13_IS18_E10value_typeET4_jRbjT5_S1E_jjP12ihipStream_tbEUljE_ZNSN_ISO_Lb0ESQ_SR_ST_SU_SY_EESZ_S10_S11_S12_S16_S17_S18_S1B_S1C_jS1D_jS1E_S1E_jjS1G_bEUljE0_EEESZ_S10_S11_S18_S1C_S1E_T6_T7_T9_mT8_S1G_bDpT10_ENKUlT_T0_E_clISt17integral_constantIbLb0EES1T_IbLb1EEEEDaS1P_S1Q_EUlS1P_E_NS1_11comp_targetILNS1_3genE8ELNS1_11target_archE1030ELNS1_3gpuE2ELNS1_3repE0EEENS1_30default_config_static_selectorELNS0_4arch9wavefront6targetE0EEEvS12_.has_dyn_sized_stack, 0
	.set _ZN7rocprim17ROCPRIM_400000_NS6detail17trampoline_kernelINS0_13select_configILj256ELj13ELNS0_17block_load_methodE3ELS4_3ELS4_3ELNS0_20block_scan_algorithmE0ELj4294967295EEENS1_25partition_config_selectorILNS1_17partition_subalgoE4EjNS0_10empty_typeEbEEZZNS1_14partition_implILS8_4ELb0ES6_15HIP_vector_typeIjLj2EENS0_17counting_iteratorIjlEEPS9_SG_NS0_5tupleIJPjSI_NS0_16reverse_iteratorISI_EEEEENSH_IJSG_SG_SG_EEES9_SI_JZNS1_25segmented_radix_sort_implINS0_14default_configELb0EPKfPfPKlPlN2at6native12_GLOBAL__N_18offset_tEEE10hipError_tPvRmT1_PNSt15iterator_traitsIS12_E10value_typeET2_T3_PNS13_IS18_E10value_typeET4_jRbjT5_S1E_jjP12ihipStream_tbEUljE_ZNSN_ISO_Lb0ESQ_SR_ST_SU_SY_EESZ_S10_S11_S12_S16_S17_S18_S1B_S1C_jS1D_jS1E_S1E_jjS1G_bEUljE0_EEESZ_S10_S11_S18_S1C_S1E_T6_T7_T9_mT8_S1G_bDpT10_ENKUlT_T0_E_clISt17integral_constantIbLb0EES1T_IbLb1EEEEDaS1P_S1Q_EUlS1P_E_NS1_11comp_targetILNS1_3genE8ELNS1_11target_archE1030ELNS1_3gpuE2ELNS1_3repE0EEENS1_30default_config_static_selectorELNS0_4arch9wavefront6targetE0EEEvS12_.has_recursion, 0
	.set _ZN7rocprim17ROCPRIM_400000_NS6detail17trampoline_kernelINS0_13select_configILj256ELj13ELNS0_17block_load_methodE3ELS4_3ELS4_3ELNS0_20block_scan_algorithmE0ELj4294967295EEENS1_25partition_config_selectorILNS1_17partition_subalgoE4EjNS0_10empty_typeEbEEZZNS1_14partition_implILS8_4ELb0ES6_15HIP_vector_typeIjLj2EENS0_17counting_iteratorIjlEEPS9_SG_NS0_5tupleIJPjSI_NS0_16reverse_iteratorISI_EEEEENSH_IJSG_SG_SG_EEES9_SI_JZNS1_25segmented_radix_sort_implINS0_14default_configELb0EPKfPfPKlPlN2at6native12_GLOBAL__N_18offset_tEEE10hipError_tPvRmT1_PNSt15iterator_traitsIS12_E10value_typeET2_T3_PNS13_IS18_E10value_typeET4_jRbjT5_S1E_jjP12ihipStream_tbEUljE_ZNSN_ISO_Lb0ESQ_SR_ST_SU_SY_EESZ_S10_S11_S12_S16_S17_S18_S1B_S1C_jS1D_jS1E_S1E_jjS1G_bEUljE0_EEESZ_S10_S11_S18_S1C_S1E_T6_T7_T9_mT8_S1G_bDpT10_ENKUlT_T0_E_clISt17integral_constantIbLb0EES1T_IbLb1EEEEDaS1P_S1Q_EUlS1P_E_NS1_11comp_targetILNS1_3genE8ELNS1_11target_archE1030ELNS1_3gpuE2ELNS1_3repE0EEENS1_30default_config_static_selectorELNS0_4arch9wavefront6targetE0EEEvS12_.has_indirect_call, 0
	.section	.AMDGPU.csdata,"",@progbits
; Kernel info:
; codeLenInByte = 0
; TotalNumSgprs: 0
; NumVgprs: 0
; ScratchSize: 0
; MemoryBound: 0
; FloatMode: 240
; IeeeMode: 1
; LDSByteSize: 0 bytes/workgroup (compile time only)
; SGPRBlocks: 0
; VGPRBlocks: 0
; NumSGPRsForWavesPerEU: 1
; NumVGPRsForWavesPerEU: 1
; Occupancy: 16
; WaveLimiterHint : 0
; COMPUTE_PGM_RSRC2:SCRATCH_EN: 0
; COMPUTE_PGM_RSRC2:USER_SGPR: 2
; COMPUTE_PGM_RSRC2:TRAP_HANDLER: 0
; COMPUTE_PGM_RSRC2:TGID_X_EN: 1
; COMPUTE_PGM_RSRC2:TGID_Y_EN: 0
; COMPUTE_PGM_RSRC2:TGID_Z_EN: 0
; COMPUTE_PGM_RSRC2:TIDIG_COMP_CNT: 0
	.section	.text._ZN7rocprim17ROCPRIM_400000_NS6detail17trampoline_kernelINS0_13select_configILj256ELj13ELNS0_17block_load_methodE3ELS4_3ELS4_3ELNS0_20block_scan_algorithmE0ELj4294967295EEENS1_25partition_config_selectorILNS1_17partition_subalgoE3EjNS0_10empty_typeEbEEZZNS1_14partition_implILS8_3ELb0ES6_jNS0_17counting_iteratorIjlEEPS9_SE_NS0_5tupleIJPjSE_EEENSF_IJSE_SE_EEES9_SG_JZNS1_25segmented_radix_sort_implINS0_14default_configELb0EPKfPfPKlPlN2at6native12_GLOBAL__N_18offset_tEEE10hipError_tPvRmT1_PNSt15iterator_traitsISY_E10value_typeET2_T3_PNSZ_IS14_E10value_typeET4_jRbjT5_S1A_jjP12ihipStream_tbEUljE_EEESV_SW_SX_S14_S18_S1A_T6_T7_T9_mT8_S1C_bDpT10_ENKUlT_T0_E_clISt17integral_constantIbLb0EES1P_EEDaS1K_S1L_EUlS1K_E_NS1_11comp_targetILNS1_3genE0ELNS1_11target_archE4294967295ELNS1_3gpuE0ELNS1_3repE0EEENS1_30default_config_static_selectorELNS0_4arch9wavefront6targetE0EEEvSY_,"axG",@progbits,_ZN7rocprim17ROCPRIM_400000_NS6detail17trampoline_kernelINS0_13select_configILj256ELj13ELNS0_17block_load_methodE3ELS4_3ELS4_3ELNS0_20block_scan_algorithmE0ELj4294967295EEENS1_25partition_config_selectorILNS1_17partition_subalgoE3EjNS0_10empty_typeEbEEZZNS1_14partition_implILS8_3ELb0ES6_jNS0_17counting_iteratorIjlEEPS9_SE_NS0_5tupleIJPjSE_EEENSF_IJSE_SE_EEES9_SG_JZNS1_25segmented_radix_sort_implINS0_14default_configELb0EPKfPfPKlPlN2at6native12_GLOBAL__N_18offset_tEEE10hipError_tPvRmT1_PNSt15iterator_traitsISY_E10value_typeET2_T3_PNSZ_IS14_E10value_typeET4_jRbjT5_S1A_jjP12ihipStream_tbEUljE_EEESV_SW_SX_S14_S18_S1A_T6_T7_T9_mT8_S1C_bDpT10_ENKUlT_T0_E_clISt17integral_constantIbLb0EES1P_EEDaS1K_S1L_EUlS1K_E_NS1_11comp_targetILNS1_3genE0ELNS1_11target_archE4294967295ELNS1_3gpuE0ELNS1_3repE0EEENS1_30default_config_static_selectorELNS0_4arch9wavefront6targetE0EEEvSY_,comdat
	.globl	_ZN7rocprim17ROCPRIM_400000_NS6detail17trampoline_kernelINS0_13select_configILj256ELj13ELNS0_17block_load_methodE3ELS4_3ELS4_3ELNS0_20block_scan_algorithmE0ELj4294967295EEENS1_25partition_config_selectorILNS1_17partition_subalgoE3EjNS0_10empty_typeEbEEZZNS1_14partition_implILS8_3ELb0ES6_jNS0_17counting_iteratorIjlEEPS9_SE_NS0_5tupleIJPjSE_EEENSF_IJSE_SE_EEES9_SG_JZNS1_25segmented_radix_sort_implINS0_14default_configELb0EPKfPfPKlPlN2at6native12_GLOBAL__N_18offset_tEEE10hipError_tPvRmT1_PNSt15iterator_traitsISY_E10value_typeET2_T3_PNSZ_IS14_E10value_typeET4_jRbjT5_S1A_jjP12ihipStream_tbEUljE_EEESV_SW_SX_S14_S18_S1A_T6_T7_T9_mT8_S1C_bDpT10_ENKUlT_T0_E_clISt17integral_constantIbLb0EES1P_EEDaS1K_S1L_EUlS1K_E_NS1_11comp_targetILNS1_3genE0ELNS1_11target_archE4294967295ELNS1_3gpuE0ELNS1_3repE0EEENS1_30default_config_static_selectorELNS0_4arch9wavefront6targetE0EEEvSY_ ; -- Begin function _ZN7rocprim17ROCPRIM_400000_NS6detail17trampoline_kernelINS0_13select_configILj256ELj13ELNS0_17block_load_methodE3ELS4_3ELS4_3ELNS0_20block_scan_algorithmE0ELj4294967295EEENS1_25partition_config_selectorILNS1_17partition_subalgoE3EjNS0_10empty_typeEbEEZZNS1_14partition_implILS8_3ELb0ES6_jNS0_17counting_iteratorIjlEEPS9_SE_NS0_5tupleIJPjSE_EEENSF_IJSE_SE_EEES9_SG_JZNS1_25segmented_radix_sort_implINS0_14default_configELb0EPKfPfPKlPlN2at6native12_GLOBAL__N_18offset_tEEE10hipError_tPvRmT1_PNSt15iterator_traitsISY_E10value_typeET2_T3_PNSZ_IS14_E10value_typeET4_jRbjT5_S1A_jjP12ihipStream_tbEUljE_EEESV_SW_SX_S14_S18_S1A_T6_T7_T9_mT8_S1C_bDpT10_ENKUlT_T0_E_clISt17integral_constantIbLb0EES1P_EEDaS1K_S1L_EUlS1K_E_NS1_11comp_targetILNS1_3genE0ELNS1_11target_archE4294967295ELNS1_3gpuE0ELNS1_3repE0EEENS1_30default_config_static_selectorELNS0_4arch9wavefront6targetE0EEEvSY_
	.p2align	8
	.type	_ZN7rocprim17ROCPRIM_400000_NS6detail17trampoline_kernelINS0_13select_configILj256ELj13ELNS0_17block_load_methodE3ELS4_3ELS4_3ELNS0_20block_scan_algorithmE0ELj4294967295EEENS1_25partition_config_selectorILNS1_17partition_subalgoE3EjNS0_10empty_typeEbEEZZNS1_14partition_implILS8_3ELb0ES6_jNS0_17counting_iteratorIjlEEPS9_SE_NS0_5tupleIJPjSE_EEENSF_IJSE_SE_EEES9_SG_JZNS1_25segmented_radix_sort_implINS0_14default_configELb0EPKfPfPKlPlN2at6native12_GLOBAL__N_18offset_tEEE10hipError_tPvRmT1_PNSt15iterator_traitsISY_E10value_typeET2_T3_PNSZ_IS14_E10value_typeET4_jRbjT5_S1A_jjP12ihipStream_tbEUljE_EEESV_SW_SX_S14_S18_S1A_T6_T7_T9_mT8_S1C_bDpT10_ENKUlT_T0_E_clISt17integral_constantIbLb0EES1P_EEDaS1K_S1L_EUlS1K_E_NS1_11comp_targetILNS1_3genE0ELNS1_11target_archE4294967295ELNS1_3gpuE0ELNS1_3repE0EEENS1_30default_config_static_selectorELNS0_4arch9wavefront6targetE0EEEvSY_,@function
_ZN7rocprim17ROCPRIM_400000_NS6detail17trampoline_kernelINS0_13select_configILj256ELj13ELNS0_17block_load_methodE3ELS4_3ELS4_3ELNS0_20block_scan_algorithmE0ELj4294967295EEENS1_25partition_config_selectorILNS1_17partition_subalgoE3EjNS0_10empty_typeEbEEZZNS1_14partition_implILS8_3ELb0ES6_jNS0_17counting_iteratorIjlEEPS9_SE_NS0_5tupleIJPjSE_EEENSF_IJSE_SE_EEES9_SG_JZNS1_25segmented_radix_sort_implINS0_14default_configELb0EPKfPfPKlPlN2at6native12_GLOBAL__N_18offset_tEEE10hipError_tPvRmT1_PNSt15iterator_traitsISY_E10value_typeET2_T3_PNSZ_IS14_E10value_typeET4_jRbjT5_S1A_jjP12ihipStream_tbEUljE_EEESV_SW_SX_S14_S18_S1A_T6_T7_T9_mT8_S1C_bDpT10_ENKUlT_T0_E_clISt17integral_constantIbLb0EES1P_EEDaS1K_S1L_EUlS1K_E_NS1_11comp_targetILNS1_3genE0ELNS1_11target_archE4294967295ELNS1_3gpuE0ELNS1_3repE0EEENS1_30default_config_static_selectorELNS0_4arch9wavefront6targetE0EEEvSY_: ; @_ZN7rocprim17ROCPRIM_400000_NS6detail17trampoline_kernelINS0_13select_configILj256ELj13ELNS0_17block_load_methodE3ELS4_3ELS4_3ELNS0_20block_scan_algorithmE0ELj4294967295EEENS1_25partition_config_selectorILNS1_17partition_subalgoE3EjNS0_10empty_typeEbEEZZNS1_14partition_implILS8_3ELb0ES6_jNS0_17counting_iteratorIjlEEPS9_SE_NS0_5tupleIJPjSE_EEENSF_IJSE_SE_EEES9_SG_JZNS1_25segmented_radix_sort_implINS0_14default_configELb0EPKfPfPKlPlN2at6native12_GLOBAL__N_18offset_tEEE10hipError_tPvRmT1_PNSt15iterator_traitsISY_E10value_typeET2_T3_PNSZ_IS14_E10value_typeET4_jRbjT5_S1A_jjP12ihipStream_tbEUljE_EEESV_SW_SX_S14_S18_S1A_T6_T7_T9_mT8_S1C_bDpT10_ENKUlT_T0_E_clISt17integral_constantIbLb0EES1P_EEDaS1K_S1L_EUlS1K_E_NS1_11comp_targetILNS1_3genE0ELNS1_11target_archE4294967295ELNS1_3gpuE0ELNS1_3repE0EEENS1_30default_config_static_selectorELNS0_4arch9wavefront6targetE0EEEvSY_
; %bb.0:
	.section	.rodata,"a",@progbits
	.p2align	6, 0x0
	.amdhsa_kernel _ZN7rocprim17ROCPRIM_400000_NS6detail17trampoline_kernelINS0_13select_configILj256ELj13ELNS0_17block_load_methodE3ELS4_3ELS4_3ELNS0_20block_scan_algorithmE0ELj4294967295EEENS1_25partition_config_selectorILNS1_17partition_subalgoE3EjNS0_10empty_typeEbEEZZNS1_14partition_implILS8_3ELb0ES6_jNS0_17counting_iteratorIjlEEPS9_SE_NS0_5tupleIJPjSE_EEENSF_IJSE_SE_EEES9_SG_JZNS1_25segmented_radix_sort_implINS0_14default_configELb0EPKfPfPKlPlN2at6native12_GLOBAL__N_18offset_tEEE10hipError_tPvRmT1_PNSt15iterator_traitsISY_E10value_typeET2_T3_PNSZ_IS14_E10value_typeET4_jRbjT5_S1A_jjP12ihipStream_tbEUljE_EEESV_SW_SX_S14_S18_S1A_T6_T7_T9_mT8_S1C_bDpT10_ENKUlT_T0_E_clISt17integral_constantIbLb0EES1P_EEDaS1K_S1L_EUlS1K_E_NS1_11comp_targetILNS1_3genE0ELNS1_11target_archE4294967295ELNS1_3gpuE0ELNS1_3repE0EEENS1_30default_config_static_selectorELNS0_4arch9wavefront6targetE0EEEvSY_
		.amdhsa_group_segment_fixed_size 0
		.amdhsa_private_segment_fixed_size 0
		.amdhsa_kernarg_size 144
		.amdhsa_user_sgpr_count 2
		.amdhsa_user_sgpr_dispatch_ptr 0
		.amdhsa_user_sgpr_queue_ptr 0
		.amdhsa_user_sgpr_kernarg_segment_ptr 1
		.amdhsa_user_sgpr_dispatch_id 0
		.amdhsa_user_sgpr_private_segment_size 0
		.amdhsa_wavefront_size32 1
		.amdhsa_uses_dynamic_stack 0
		.amdhsa_enable_private_segment 0
		.amdhsa_system_sgpr_workgroup_id_x 1
		.amdhsa_system_sgpr_workgroup_id_y 0
		.amdhsa_system_sgpr_workgroup_id_z 0
		.amdhsa_system_sgpr_workgroup_info 0
		.amdhsa_system_vgpr_workitem_id 0
		.amdhsa_next_free_vgpr 1
		.amdhsa_next_free_sgpr 1
		.amdhsa_reserve_vcc 0
		.amdhsa_float_round_mode_32 0
		.amdhsa_float_round_mode_16_64 0
		.amdhsa_float_denorm_mode_32 3
		.amdhsa_float_denorm_mode_16_64 3
		.amdhsa_fp16_overflow 0
		.amdhsa_workgroup_processor_mode 1
		.amdhsa_memory_ordered 1
		.amdhsa_forward_progress 1
		.amdhsa_inst_pref_size 0
		.amdhsa_round_robin_scheduling 0
		.amdhsa_exception_fp_ieee_invalid_op 0
		.amdhsa_exception_fp_denorm_src 0
		.amdhsa_exception_fp_ieee_div_zero 0
		.amdhsa_exception_fp_ieee_overflow 0
		.amdhsa_exception_fp_ieee_underflow 0
		.amdhsa_exception_fp_ieee_inexact 0
		.amdhsa_exception_int_div_zero 0
	.end_amdhsa_kernel
	.section	.text._ZN7rocprim17ROCPRIM_400000_NS6detail17trampoline_kernelINS0_13select_configILj256ELj13ELNS0_17block_load_methodE3ELS4_3ELS4_3ELNS0_20block_scan_algorithmE0ELj4294967295EEENS1_25partition_config_selectorILNS1_17partition_subalgoE3EjNS0_10empty_typeEbEEZZNS1_14partition_implILS8_3ELb0ES6_jNS0_17counting_iteratorIjlEEPS9_SE_NS0_5tupleIJPjSE_EEENSF_IJSE_SE_EEES9_SG_JZNS1_25segmented_radix_sort_implINS0_14default_configELb0EPKfPfPKlPlN2at6native12_GLOBAL__N_18offset_tEEE10hipError_tPvRmT1_PNSt15iterator_traitsISY_E10value_typeET2_T3_PNSZ_IS14_E10value_typeET4_jRbjT5_S1A_jjP12ihipStream_tbEUljE_EEESV_SW_SX_S14_S18_S1A_T6_T7_T9_mT8_S1C_bDpT10_ENKUlT_T0_E_clISt17integral_constantIbLb0EES1P_EEDaS1K_S1L_EUlS1K_E_NS1_11comp_targetILNS1_3genE0ELNS1_11target_archE4294967295ELNS1_3gpuE0ELNS1_3repE0EEENS1_30default_config_static_selectorELNS0_4arch9wavefront6targetE0EEEvSY_,"axG",@progbits,_ZN7rocprim17ROCPRIM_400000_NS6detail17trampoline_kernelINS0_13select_configILj256ELj13ELNS0_17block_load_methodE3ELS4_3ELS4_3ELNS0_20block_scan_algorithmE0ELj4294967295EEENS1_25partition_config_selectorILNS1_17partition_subalgoE3EjNS0_10empty_typeEbEEZZNS1_14partition_implILS8_3ELb0ES6_jNS0_17counting_iteratorIjlEEPS9_SE_NS0_5tupleIJPjSE_EEENSF_IJSE_SE_EEES9_SG_JZNS1_25segmented_radix_sort_implINS0_14default_configELb0EPKfPfPKlPlN2at6native12_GLOBAL__N_18offset_tEEE10hipError_tPvRmT1_PNSt15iterator_traitsISY_E10value_typeET2_T3_PNSZ_IS14_E10value_typeET4_jRbjT5_S1A_jjP12ihipStream_tbEUljE_EEESV_SW_SX_S14_S18_S1A_T6_T7_T9_mT8_S1C_bDpT10_ENKUlT_T0_E_clISt17integral_constantIbLb0EES1P_EEDaS1K_S1L_EUlS1K_E_NS1_11comp_targetILNS1_3genE0ELNS1_11target_archE4294967295ELNS1_3gpuE0ELNS1_3repE0EEENS1_30default_config_static_selectorELNS0_4arch9wavefront6targetE0EEEvSY_,comdat
.Lfunc_end1396:
	.size	_ZN7rocprim17ROCPRIM_400000_NS6detail17trampoline_kernelINS0_13select_configILj256ELj13ELNS0_17block_load_methodE3ELS4_3ELS4_3ELNS0_20block_scan_algorithmE0ELj4294967295EEENS1_25partition_config_selectorILNS1_17partition_subalgoE3EjNS0_10empty_typeEbEEZZNS1_14partition_implILS8_3ELb0ES6_jNS0_17counting_iteratorIjlEEPS9_SE_NS0_5tupleIJPjSE_EEENSF_IJSE_SE_EEES9_SG_JZNS1_25segmented_radix_sort_implINS0_14default_configELb0EPKfPfPKlPlN2at6native12_GLOBAL__N_18offset_tEEE10hipError_tPvRmT1_PNSt15iterator_traitsISY_E10value_typeET2_T3_PNSZ_IS14_E10value_typeET4_jRbjT5_S1A_jjP12ihipStream_tbEUljE_EEESV_SW_SX_S14_S18_S1A_T6_T7_T9_mT8_S1C_bDpT10_ENKUlT_T0_E_clISt17integral_constantIbLb0EES1P_EEDaS1K_S1L_EUlS1K_E_NS1_11comp_targetILNS1_3genE0ELNS1_11target_archE4294967295ELNS1_3gpuE0ELNS1_3repE0EEENS1_30default_config_static_selectorELNS0_4arch9wavefront6targetE0EEEvSY_, .Lfunc_end1396-_ZN7rocprim17ROCPRIM_400000_NS6detail17trampoline_kernelINS0_13select_configILj256ELj13ELNS0_17block_load_methodE3ELS4_3ELS4_3ELNS0_20block_scan_algorithmE0ELj4294967295EEENS1_25partition_config_selectorILNS1_17partition_subalgoE3EjNS0_10empty_typeEbEEZZNS1_14partition_implILS8_3ELb0ES6_jNS0_17counting_iteratorIjlEEPS9_SE_NS0_5tupleIJPjSE_EEENSF_IJSE_SE_EEES9_SG_JZNS1_25segmented_radix_sort_implINS0_14default_configELb0EPKfPfPKlPlN2at6native12_GLOBAL__N_18offset_tEEE10hipError_tPvRmT1_PNSt15iterator_traitsISY_E10value_typeET2_T3_PNSZ_IS14_E10value_typeET4_jRbjT5_S1A_jjP12ihipStream_tbEUljE_EEESV_SW_SX_S14_S18_S1A_T6_T7_T9_mT8_S1C_bDpT10_ENKUlT_T0_E_clISt17integral_constantIbLb0EES1P_EEDaS1K_S1L_EUlS1K_E_NS1_11comp_targetILNS1_3genE0ELNS1_11target_archE4294967295ELNS1_3gpuE0ELNS1_3repE0EEENS1_30default_config_static_selectorELNS0_4arch9wavefront6targetE0EEEvSY_
                                        ; -- End function
	.set _ZN7rocprim17ROCPRIM_400000_NS6detail17trampoline_kernelINS0_13select_configILj256ELj13ELNS0_17block_load_methodE3ELS4_3ELS4_3ELNS0_20block_scan_algorithmE0ELj4294967295EEENS1_25partition_config_selectorILNS1_17partition_subalgoE3EjNS0_10empty_typeEbEEZZNS1_14partition_implILS8_3ELb0ES6_jNS0_17counting_iteratorIjlEEPS9_SE_NS0_5tupleIJPjSE_EEENSF_IJSE_SE_EEES9_SG_JZNS1_25segmented_radix_sort_implINS0_14default_configELb0EPKfPfPKlPlN2at6native12_GLOBAL__N_18offset_tEEE10hipError_tPvRmT1_PNSt15iterator_traitsISY_E10value_typeET2_T3_PNSZ_IS14_E10value_typeET4_jRbjT5_S1A_jjP12ihipStream_tbEUljE_EEESV_SW_SX_S14_S18_S1A_T6_T7_T9_mT8_S1C_bDpT10_ENKUlT_T0_E_clISt17integral_constantIbLb0EES1P_EEDaS1K_S1L_EUlS1K_E_NS1_11comp_targetILNS1_3genE0ELNS1_11target_archE4294967295ELNS1_3gpuE0ELNS1_3repE0EEENS1_30default_config_static_selectorELNS0_4arch9wavefront6targetE0EEEvSY_.num_vgpr, 0
	.set _ZN7rocprim17ROCPRIM_400000_NS6detail17trampoline_kernelINS0_13select_configILj256ELj13ELNS0_17block_load_methodE3ELS4_3ELS4_3ELNS0_20block_scan_algorithmE0ELj4294967295EEENS1_25partition_config_selectorILNS1_17partition_subalgoE3EjNS0_10empty_typeEbEEZZNS1_14partition_implILS8_3ELb0ES6_jNS0_17counting_iteratorIjlEEPS9_SE_NS0_5tupleIJPjSE_EEENSF_IJSE_SE_EEES9_SG_JZNS1_25segmented_radix_sort_implINS0_14default_configELb0EPKfPfPKlPlN2at6native12_GLOBAL__N_18offset_tEEE10hipError_tPvRmT1_PNSt15iterator_traitsISY_E10value_typeET2_T3_PNSZ_IS14_E10value_typeET4_jRbjT5_S1A_jjP12ihipStream_tbEUljE_EEESV_SW_SX_S14_S18_S1A_T6_T7_T9_mT8_S1C_bDpT10_ENKUlT_T0_E_clISt17integral_constantIbLb0EES1P_EEDaS1K_S1L_EUlS1K_E_NS1_11comp_targetILNS1_3genE0ELNS1_11target_archE4294967295ELNS1_3gpuE0ELNS1_3repE0EEENS1_30default_config_static_selectorELNS0_4arch9wavefront6targetE0EEEvSY_.num_agpr, 0
	.set _ZN7rocprim17ROCPRIM_400000_NS6detail17trampoline_kernelINS0_13select_configILj256ELj13ELNS0_17block_load_methodE3ELS4_3ELS4_3ELNS0_20block_scan_algorithmE0ELj4294967295EEENS1_25partition_config_selectorILNS1_17partition_subalgoE3EjNS0_10empty_typeEbEEZZNS1_14partition_implILS8_3ELb0ES6_jNS0_17counting_iteratorIjlEEPS9_SE_NS0_5tupleIJPjSE_EEENSF_IJSE_SE_EEES9_SG_JZNS1_25segmented_radix_sort_implINS0_14default_configELb0EPKfPfPKlPlN2at6native12_GLOBAL__N_18offset_tEEE10hipError_tPvRmT1_PNSt15iterator_traitsISY_E10value_typeET2_T3_PNSZ_IS14_E10value_typeET4_jRbjT5_S1A_jjP12ihipStream_tbEUljE_EEESV_SW_SX_S14_S18_S1A_T6_T7_T9_mT8_S1C_bDpT10_ENKUlT_T0_E_clISt17integral_constantIbLb0EES1P_EEDaS1K_S1L_EUlS1K_E_NS1_11comp_targetILNS1_3genE0ELNS1_11target_archE4294967295ELNS1_3gpuE0ELNS1_3repE0EEENS1_30default_config_static_selectorELNS0_4arch9wavefront6targetE0EEEvSY_.numbered_sgpr, 0
	.set _ZN7rocprim17ROCPRIM_400000_NS6detail17trampoline_kernelINS0_13select_configILj256ELj13ELNS0_17block_load_methodE3ELS4_3ELS4_3ELNS0_20block_scan_algorithmE0ELj4294967295EEENS1_25partition_config_selectorILNS1_17partition_subalgoE3EjNS0_10empty_typeEbEEZZNS1_14partition_implILS8_3ELb0ES6_jNS0_17counting_iteratorIjlEEPS9_SE_NS0_5tupleIJPjSE_EEENSF_IJSE_SE_EEES9_SG_JZNS1_25segmented_radix_sort_implINS0_14default_configELb0EPKfPfPKlPlN2at6native12_GLOBAL__N_18offset_tEEE10hipError_tPvRmT1_PNSt15iterator_traitsISY_E10value_typeET2_T3_PNSZ_IS14_E10value_typeET4_jRbjT5_S1A_jjP12ihipStream_tbEUljE_EEESV_SW_SX_S14_S18_S1A_T6_T7_T9_mT8_S1C_bDpT10_ENKUlT_T0_E_clISt17integral_constantIbLb0EES1P_EEDaS1K_S1L_EUlS1K_E_NS1_11comp_targetILNS1_3genE0ELNS1_11target_archE4294967295ELNS1_3gpuE0ELNS1_3repE0EEENS1_30default_config_static_selectorELNS0_4arch9wavefront6targetE0EEEvSY_.num_named_barrier, 0
	.set _ZN7rocprim17ROCPRIM_400000_NS6detail17trampoline_kernelINS0_13select_configILj256ELj13ELNS0_17block_load_methodE3ELS4_3ELS4_3ELNS0_20block_scan_algorithmE0ELj4294967295EEENS1_25partition_config_selectorILNS1_17partition_subalgoE3EjNS0_10empty_typeEbEEZZNS1_14partition_implILS8_3ELb0ES6_jNS0_17counting_iteratorIjlEEPS9_SE_NS0_5tupleIJPjSE_EEENSF_IJSE_SE_EEES9_SG_JZNS1_25segmented_radix_sort_implINS0_14default_configELb0EPKfPfPKlPlN2at6native12_GLOBAL__N_18offset_tEEE10hipError_tPvRmT1_PNSt15iterator_traitsISY_E10value_typeET2_T3_PNSZ_IS14_E10value_typeET4_jRbjT5_S1A_jjP12ihipStream_tbEUljE_EEESV_SW_SX_S14_S18_S1A_T6_T7_T9_mT8_S1C_bDpT10_ENKUlT_T0_E_clISt17integral_constantIbLb0EES1P_EEDaS1K_S1L_EUlS1K_E_NS1_11comp_targetILNS1_3genE0ELNS1_11target_archE4294967295ELNS1_3gpuE0ELNS1_3repE0EEENS1_30default_config_static_selectorELNS0_4arch9wavefront6targetE0EEEvSY_.private_seg_size, 0
	.set _ZN7rocprim17ROCPRIM_400000_NS6detail17trampoline_kernelINS0_13select_configILj256ELj13ELNS0_17block_load_methodE3ELS4_3ELS4_3ELNS0_20block_scan_algorithmE0ELj4294967295EEENS1_25partition_config_selectorILNS1_17partition_subalgoE3EjNS0_10empty_typeEbEEZZNS1_14partition_implILS8_3ELb0ES6_jNS0_17counting_iteratorIjlEEPS9_SE_NS0_5tupleIJPjSE_EEENSF_IJSE_SE_EEES9_SG_JZNS1_25segmented_radix_sort_implINS0_14default_configELb0EPKfPfPKlPlN2at6native12_GLOBAL__N_18offset_tEEE10hipError_tPvRmT1_PNSt15iterator_traitsISY_E10value_typeET2_T3_PNSZ_IS14_E10value_typeET4_jRbjT5_S1A_jjP12ihipStream_tbEUljE_EEESV_SW_SX_S14_S18_S1A_T6_T7_T9_mT8_S1C_bDpT10_ENKUlT_T0_E_clISt17integral_constantIbLb0EES1P_EEDaS1K_S1L_EUlS1K_E_NS1_11comp_targetILNS1_3genE0ELNS1_11target_archE4294967295ELNS1_3gpuE0ELNS1_3repE0EEENS1_30default_config_static_selectorELNS0_4arch9wavefront6targetE0EEEvSY_.uses_vcc, 0
	.set _ZN7rocprim17ROCPRIM_400000_NS6detail17trampoline_kernelINS0_13select_configILj256ELj13ELNS0_17block_load_methodE3ELS4_3ELS4_3ELNS0_20block_scan_algorithmE0ELj4294967295EEENS1_25partition_config_selectorILNS1_17partition_subalgoE3EjNS0_10empty_typeEbEEZZNS1_14partition_implILS8_3ELb0ES6_jNS0_17counting_iteratorIjlEEPS9_SE_NS0_5tupleIJPjSE_EEENSF_IJSE_SE_EEES9_SG_JZNS1_25segmented_radix_sort_implINS0_14default_configELb0EPKfPfPKlPlN2at6native12_GLOBAL__N_18offset_tEEE10hipError_tPvRmT1_PNSt15iterator_traitsISY_E10value_typeET2_T3_PNSZ_IS14_E10value_typeET4_jRbjT5_S1A_jjP12ihipStream_tbEUljE_EEESV_SW_SX_S14_S18_S1A_T6_T7_T9_mT8_S1C_bDpT10_ENKUlT_T0_E_clISt17integral_constantIbLb0EES1P_EEDaS1K_S1L_EUlS1K_E_NS1_11comp_targetILNS1_3genE0ELNS1_11target_archE4294967295ELNS1_3gpuE0ELNS1_3repE0EEENS1_30default_config_static_selectorELNS0_4arch9wavefront6targetE0EEEvSY_.uses_flat_scratch, 0
	.set _ZN7rocprim17ROCPRIM_400000_NS6detail17trampoline_kernelINS0_13select_configILj256ELj13ELNS0_17block_load_methodE3ELS4_3ELS4_3ELNS0_20block_scan_algorithmE0ELj4294967295EEENS1_25partition_config_selectorILNS1_17partition_subalgoE3EjNS0_10empty_typeEbEEZZNS1_14partition_implILS8_3ELb0ES6_jNS0_17counting_iteratorIjlEEPS9_SE_NS0_5tupleIJPjSE_EEENSF_IJSE_SE_EEES9_SG_JZNS1_25segmented_radix_sort_implINS0_14default_configELb0EPKfPfPKlPlN2at6native12_GLOBAL__N_18offset_tEEE10hipError_tPvRmT1_PNSt15iterator_traitsISY_E10value_typeET2_T3_PNSZ_IS14_E10value_typeET4_jRbjT5_S1A_jjP12ihipStream_tbEUljE_EEESV_SW_SX_S14_S18_S1A_T6_T7_T9_mT8_S1C_bDpT10_ENKUlT_T0_E_clISt17integral_constantIbLb0EES1P_EEDaS1K_S1L_EUlS1K_E_NS1_11comp_targetILNS1_3genE0ELNS1_11target_archE4294967295ELNS1_3gpuE0ELNS1_3repE0EEENS1_30default_config_static_selectorELNS0_4arch9wavefront6targetE0EEEvSY_.has_dyn_sized_stack, 0
	.set _ZN7rocprim17ROCPRIM_400000_NS6detail17trampoline_kernelINS0_13select_configILj256ELj13ELNS0_17block_load_methodE3ELS4_3ELS4_3ELNS0_20block_scan_algorithmE0ELj4294967295EEENS1_25partition_config_selectorILNS1_17partition_subalgoE3EjNS0_10empty_typeEbEEZZNS1_14partition_implILS8_3ELb0ES6_jNS0_17counting_iteratorIjlEEPS9_SE_NS0_5tupleIJPjSE_EEENSF_IJSE_SE_EEES9_SG_JZNS1_25segmented_radix_sort_implINS0_14default_configELb0EPKfPfPKlPlN2at6native12_GLOBAL__N_18offset_tEEE10hipError_tPvRmT1_PNSt15iterator_traitsISY_E10value_typeET2_T3_PNSZ_IS14_E10value_typeET4_jRbjT5_S1A_jjP12ihipStream_tbEUljE_EEESV_SW_SX_S14_S18_S1A_T6_T7_T9_mT8_S1C_bDpT10_ENKUlT_T0_E_clISt17integral_constantIbLb0EES1P_EEDaS1K_S1L_EUlS1K_E_NS1_11comp_targetILNS1_3genE0ELNS1_11target_archE4294967295ELNS1_3gpuE0ELNS1_3repE0EEENS1_30default_config_static_selectorELNS0_4arch9wavefront6targetE0EEEvSY_.has_recursion, 0
	.set _ZN7rocprim17ROCPRIM_400000_NS6detail17trampoline_kernelINS0_13select_configILj256ELj13ELNS0_17block_load_methodE3ELS4_3ELS4_3ELNS0_20block_scan_algorithmE0ELj4294967295EEENS1_25partition_config_selectorILNS1_17partition_subalgoE3EjNS0_10empty_typeEbEEZZNS1_14partition_implILS8_3ELb0ES6_jNS0_17counting_iteratorIjlEEPS9_SE_NS0_5tupleIJPjSE_EEENSF_IJSE_SE_EEES9_SG_JZNS1_25segmented_radix_sort_implINS0_14default_configELb0EPKfPfPKlPlN2at6native12_GLOBAL__N_18offset_tEEE10hipError_tPvRmT1_PNSt15iterator_traitsISY_E10value_typeET2_T3_PNSZ_IS14_E10value_typeET4_jRbjT5_S1A_jjP12ihipStream_tbEUljE_EEESV_SW_SX_S14_S18_S1A_T6_T7_T9_mT8_S1C_bDpT10_ENKUlT_T0_E_clISt17integral_constantIbLb0EES1P_EEDaS1K_S1L_EUlS1K_E_NS1_11comp_targetILNS1_3genE0ELNS1_11target_archE4294967295ELNS1_3gpuE0ELNS1_3repE0EEENS1_30default_config_static_selectorELNS0_4arch9wavefront6targetE0EEEvSY_.has_indirect_call, 0
	.section	.AMDGPU.csdata,"",@progbits
; Kernel info:
; codeLenInByte = 0
; TotalNumSgprs: 0
; NumVgprs: 0
; ScratchSize: 0
; MemoryBound: 0
; FloatMode: 240
; IeeeMode: 1
; LDSByteSize: 0 bytes/workgroup (compile time only)
; SGPRBlocks: 0
; VGPRBlocks: 0
; NumSGPRsForWavesPerEU: 1
; NumVGPRsForWavesPerEU: 1
; Occupancy: 16
; WaveLimiterHint : 0
; COMPUTE_PGM_RSRC2:SCRATCH_EN: 0
; COMPUTE_PGM_RSRC2:USER_SGPR: 2
; COMPUTE_PGM_RSRC2:TRAP_HANDLER: 0
; COMPUTE_PGM_RSRC2:TGID_X_EN: 1
; COMPUTE_PGM_RSRC2:TGID_Y_EN: 0
; COMPUTE_PGM_RSRC2:TGID_Z_EN: 0
; COMPUTE_PGM_RSRC2:TIDIG_COMP_CNT: 0
	.section	.text._ZN7rocprim17ROCPRIM_400000_NS6detail17trampoline_kernelINS0_13select_configILj256ELj13ELNS0_17block_load_methodE3ELS4_3ELS4_3ELNS0_20block_scan_algorithmE0ELj4294967295EEENS1_25partition_config_selectorILNS1_17partition_subalgoE3EjNS0_10empty_typeEbEEZZNS1_14partition_implILS8_3ELb0ES6_jNS0_17counting_iteratorIjlEEPS9_SE_NS0_5tupleIJPjSE_EEENSF_IJSE_SE_EEES9_SG_JZNS1_25segmented_radix_sort_implINS0_14default_configELb0EPKfPfPKlPlN2at6native12_GLOBAL__N_18offset_tEEE10hipError_tPvRmT1_PNSt15iterator_traitsISY_E10value_typeET2_T3_PNSZ_IS14_E10value_typeET4_jRbjT5_S1A_jjP12ihipStream_tbEUljE_EEESV_SW_SX_S14_S18_S1A_T6_T7_T9_mT8_S1C_bDpT10_ENKUlT_T0_E_clISt17integral_constantIbLb0EES1P_EEDaS1K_S1L_EUlS1K_E_NS1_11comp_targetILNS1_3genE5ELNS1_11target_archE942ELNS1_3gpuE9ELNS1_3repE0EEENS1_30default_config_static_selectorELNS0_4arch9wavefront6targetE0EEEvSY_,"axG",@progbits,_ZN7rocprim17ROCPRIM_400000_NS6detail17trampoline_kernelINS0_13select_configILj256ELj13ELNS0_17block_load_methodE3ELS4_3ELS4_3ELNS0_20block_scan_algorithmE0ELj4294967295EEENS1_25partition_config_selectorILNS1_17partition_subalgoE3EjNS0_10empty_typeEbEEZZNS1_14partition_implILS8_3ELb0ES6_jNS0_17counting_iteratorIjlEEPS9_SE_NS0_5tupleIJPjSE_EEENSF_IJSE_SE_EEES9_SG_JZNS1_25segmented_radix_sort_implINS0_14default_configELb0EPKfPfPKlPlN2at6native12_GLOBAL__N_18offset_tEEE10hipError_tPvRmT1_PNSt15iterator_traitsISY_E10value_typeET2_T3_PNSZ_IS14_E10value_typeET4_jRbjT5_S1A_jjP12ihipStream_tbEUljE_EEESV_SW_SX_S14_S18_S1A_T6_T7_T9_mT8_S1C_bDpT10_ENKUlT_T0_E_clISt17integral_constantIbLb0EES1P_EEDaS1K_S1L_EUlS1K_E_NS1_11comp_targetILNS1_3genE5ELNS1_11target_archE942ELNS1_3gpuE9ELNS1_3repE0EEENS1_30default_config_static_selectorELNS0_4arch9wavefront6targetE0EEEvSY_,comdat
	.globl	_ZN7rocprim17ROCPRIM_400000_NS6detail17trampoline_kernelINS0_13select_configILj256ELj13ELNS0_17block_load_methodE3ELS4_3ELS4_3ELNS0_20block_scan_algorithmE0ELj4294967295EEENS1_25partition_config_selectorILNS1_17partition_subalgoE3EjNS0_10empty_typeEbEEZZNS1_14partition_implILS8_3ELb0ES6_jNS0_17counting_iteratorIjlEEPS9_SE_NS0_5tupleIJPjSE_EEENSF_IJSE_SE_EEES9_SG_JZNS1_25segmented_radix_sort_implINS0_14default_configELb0EPKfPfPKlPlN2at6native12_GLOBAL__N_18offset_tEEE10hipError_tPvRmT1_PNSt15iterator_traitsISY_E10value_typeET2_T3_PNSZ_IS14_E10value_typeET4_jRbjT5_S1A_jjP12ihipStream_tbEUljE_EEESV_SW_SX_S14_S18_S1A_T6_T7_T9_mT8_S1C_bDpT10_ENKUlT_T0_E_clISt17integral_constantIbLb0EES1P_EEDaS1K_S1L_EUlS1K_E_NS1_11comp_targetILNS1_3genE5ELNS1_11target_archE942ELNS1_3gpuE9ELNS1_3repE0EEENS1_30default_config_static_selectorELNS0_4arch9wavefront6targetE0EEEvSY_ ; -- Begin function _ZN7rocprim17ROCPRIM_400000_NS6detail17trampoline_kernelINS0_13select_configILj256ELj13ELNS0_17block_load_methodE3ELS4_3ELS4_3ELNS0_20block_scan_algorithmE0ELj4294967295EEENS1_25partition_config_selectorILNS1_17partition_subalgoE3EjNS0_10empty_typeEbEEZZNS1_14partition_implILS8_3ELb0ES6_jNS0_17counting_iteratorIjlEEPS9_SE_NS0_5tupleIJPjSE_EEENSF_IJSE_SE_EEES9_SG_JZNS1_25segmented_radix_sort_implINS0_14default_configELb0EPKfPfPKlPlN2at6native12_GLOBAL__N_18offset_tEEE10hipError_tPvRmT1_PNSt15iterator_traitsISY_E10value_typeET2_T3_PNSZ_IS14_E10value_typeET4_jRbjT5_S1A_jjP12ihipStream_tbEUljE_EEESV_SW_SX_S14_S18_S1A_T6_T7_T9_mT8_S1C_bDpT10_ENKUlT_T0_E_clISt17integral_constantIbLb0EES1P_EEDaS1K_S1L_EUlS1K_E_NS1_11comp_targetILNS1_3genE5ELNS1_11target_archE942ELNS1_3gpuE9ELNS1_3repE0EEENS1_30default_config_static_selectorELNS0_4arch9wavefront6targetE0EEEvSY_
	.p2align	8
	.type	_ZN7rocprim17ROCPRIM_400000_NS6detail17trampoline_kernelINS0_13select_configILj256ELj13ELNS0_17block_load_methodE3ELS4_3ELS4_3ELNS0_20block_scan_algorithmE0ELj4294967295EEENS1_25partition_config_selectorILNS1_17partition_subalgoE3EjNS0_10empty_typeEbEEZZNS1_14partition_implILS8_3ELb0ES6_jNS0_17counting_iteratorIjlEEPS9_SE_NS0_5tupleIJPjSE_EEENSF_IJSE_SE_EEES9_SG_JZNS1_25segmented_radix_sort_implINS0_14default_configELb0EPKfPfPKlPlN2at6native12_GLOBAL__N_18offset_tEEE10hipError_tPvRmT1_PNSt15iterator_traitsISY_E10value_typeET2_T3_PNSZ_IS14_E10value_typeET4_jRbjT5_S1A_jjP12ihipStream_tbEUljE_EEESV_SW_SX_S14_S18_S1A_T6_T7_T9_mT8_S1C_bDpT10_ENKUlT_T0_E_clISt17integral_constantIbLb0EES1P_EEDaS1K_S1L_EUlS1K_E_NS1_11comp_targetILNS1_3genE5ELNS1_11target_archE942ELNS1_3gpuE9ELNS1_3repE0EEENS1_30default_config_static_selectorELNS0_4arch9wavefront6targetE0EEEvSY_,@function
_ZN7rocprim17ROCPRIM_400000_NS6detail17trampoline_kernelINS0_13select_configILj256ELj13ELNS0_17block_load_methodE3ELS4_3ELS4_3ELNS0_20block_scan_algorithmE0ELj4294967295EEENS1_25partition_config_selectorILNS1_17partition_subalgoE3EjNS0_10empty_typeEbEEZZNS1_14partition_implILS8_3ELb0ES6_jNS0_17counting_iteratorIjlEEPS9_SE_NS0_5tupleIJPjSE_EEENSF_IJSE_SE_EEES9_SG_JZNS1_25segmented_radix_sort_implINS0_14default_configELb0EPKfPfPKlPlN2at6native12_GLOBAL__N_18offset_tEEE10hipError_tPvRmT1_PNSt15iterator_traitsISY_E10value_typeET2_T3_PNSZ_IS14_E10value_typeET4_jRbjT5_S1A_jjP12ihipStream_tbEUljE_EEESV_SW_SX_S14_S18_S1A_T6_T7_T9_mT8_S1C_bDpT10_ENKUlT_T0_E_clISt17integral_constantIbLb0EES1P_EEDaS1K_S1L_EUlS1K_E_NS1_11comp_targetILNS1_3genE5ELNS1_11target_archE942ELNS1_3gpuE9ELNS1_3repE0EEENS1_30default_config_static_selectorELNS0_4arch9wavefront6targetE0EEEvSY_: ; @_ZN7rocprim17ROCPRIM_400000_NS6detail17trampoline_kernelINS0_13select_configILj256ELj13ELNS0_17block_load_methodE3ELS4_3ELS4_3ELNS0_20block_scan_algorithmE0ELj4294967295EEENS1_25partition_config_selectorILNS1_17partition_subalgoE3EjNS0_10empty_typeEbEEZZNS1_14partition_implILS8_3ELb0ES6_jNS0_17counting_iteratorIjlEEPS9_SE_NS0_5tupleIJPjSE_EEENSF_IJSE_SE_EEES9_SG_JZNS1_25segmented_radix_sort_implINS0_14default_configELb0EPKfPfPKlPlN2at6native12_GLOBAL__N_18offset_tEEE10hipError_tPvRmT1_PNSt15iterator_traitsISY_E10value_typeET2_T3_PNSZ_IS14_E10value_typeET4_jRbjT5_S1A_jjP12ihipStream_tbEUljE_EEESV_SW_SX_S14_S18_S1A_T6_T7_T9_mT8_S1C_bDpT10_ENKUlT_T0_E_clISt17integral_constantIbLb0EES1P_EEDaS1K_S1L_EUlS1K_E_NS1_11comp_targetILNS1_3genE5ELNS1_11target_archE942ELNS1_3gpuE9ELNS1_3repE0EEENS1_30default_config_static_selectorELNS0_4arch9wavefront6targetE0EEEvSY_
; %bb.0:
	.section	.rodata,"a",@progbits
	.p2align	6, 0x0
	.amdhsa_kernel _ZN7rocprim17ROCPRIM_400000_NS6detail17trampoline_kernelINS0_13select_configILj256ELj13ELNS0_17block_load_methodE3ELS4_3ELS4_3ELNS0_20block_scan_algorithmE0ELj4294967295EEENS1_25partition_config_selectorILNS1_17partition_subalgoE3EjNS0_10empty_typeEbEEZZNS1_14partition_implILS8_3ELb0ES6_jNS0_17counting_iteratorIjlEEPS9_SE_NS0_5tupleIJPjSE_EEENSF_IJSE_SE_EEES9_SG_JZNS1_25segmented_radix_sort_implINS0_14default_configELb0EPKfPfPKlPlN2at6native12_GLOBAL__N_18offset_tEEE10hipError_tPvRmT1_PNSt15iterator_traitsISY_E10value_typeET2_T3_PNSZ_IS14_E10value_typeET4_jRbjT5_S1A_jjP12ihipStream_tbEUljE_EEESV_SW_SX_S14_S18_S1A_T6_T7_T9_mT8_S1C_bDpT10_ENKUlT_T0_E_clISt17integral_constantIbLb0EES1P_EEDaS1K_S1L_EUlS1K_E_NS1_11comp_targetILNS1_3genE5ELNS1_11target_archE942ELNS1_3gpuE9ELNS1_3repE0EEENS1_30default_config_static_selectorELNS0_4arch9wavefront6targetE0EEEvSY_
		.amdhsa_group_segment_fixed_size 0
		.amdhsa_private_segment_fixed_size 0
		.amdhsa_kernarg_size 144
		.amdhsa_user_sgpr_count 2
		.amdhsa_user_sgpr_dispatch_ptr 0
		.amdhsa_user_sgpr_queue_ptr 0
		.amdhsa_user_sgpr_kernarg_segment_ptr 1
		.amdhsa_user_sgpr_dispatch_id 0
		.amdhsa_user_sgpr_private_segment_size 0
		.amdhsa_wavefront_size32 1
		.amdhsa_uses_dynamic_stack 0
		.amdhsa_enable_private_segment 0
		.amdhsa_system_sgpr_workgroup_id_x 1
		.amdhsa_system_sgpr_workgroup_id_y 0
		.amdhsa_system_sgpr_workgroup_id_z 0
		.amdhsa_system_sgpr_workgroup_info 0
		.amdhsa_system_vgpr_workitem_id 0
		.amdhsa_next_free_vgpr 1
		.amdhsa_next_free_sgpr 1
		.amdhsa_reserve_vcc 0
		.amdhsa_float_round_mode_32 0
		.amdhsa_float_round_mode_16_64 0
		.amdhsa_float_denorm_mode_32 3
		.amdhsa_float_denorm_mode_16_64 3
		.amdhsa_fp16_overflow 0
		.amdhsa_workgroup_processor_mode 1
		.amdhsa_memory_ordered 1
		.amdhsa_forward_progress 1
		.amdhsa_inst_pref_size 0
		.amdhsa_round_robin_scheduling 0
		.amdhsa_exception_fp_ieee_invalid_op 0
		.amdhsa_exception_fp_denorm_src 0
		.amdhsa_exception_fp_ieee_div_zero 0
		.amdhsa_exception_fp_ieee_overflow 0
		.amdhsa_exception_fp_ieee_underflow 0
		.amdhsa_exception_fp_ieee_inexact 0
		.amdhsa_exception_int_div_zero 0
	.end_amdhsa_kernel
	.section	.text._ZN7rocprim17ROCPRIM_400000_NS6detail17trampoline_kernelINS0_13select_configILj256ELj13ELNS0_17block_load_methodE3ELS4_3ELS4_3ELNS0_20block_scan_algorithmE0ELj4294967295EEENS1_25partition_config_selectorILNS1_17partition_subalgoE3EjNS0_10empty_typeEbEEZZNS1_14partition_implILS8_3ELb0ES6_jNS0_17counting_iteratorIjlEEPS9_SE_NS0_5tupleIJPjSE_EEENSF_IJSE_SE_EEES9_SG_JZNS1_25segmented_radix_sort_implINS0_14default_configELb0EPKfPfPKlPlN2at6native12_GLOBAL__N_18offset_tEEE10hipError_tPvRmT1_PNSt15iterator_traitsISY_E10value_typeET2_T3_PNSZ_IS14_E10value_typeET4_jRbjT5_S1A_jjP12ihipStream_tbEUljE_EEESV_SW_SX_S14_S18_S1A_T6_T7_T9_mT8_S1C_bDpT10_ENKUlT_T0_E_clISt17integral_constantIbLb0EES1P_EEDaS1K_S1L_EUlS1K_E_NS1_11comp_targetILNS1_3genE5ELNS1_11target_archE942ELNS1_3gpuE9ELNS1_3repE0EEENS1_30default_config_static_selectorELNS0_4arch9wavefront6targetE0EEEvSY_,"axG",@progbits,_ZN7rocprim17ROCPRIM_400000_NS6detail17trampoline_kernelINS0_13select_configILj256ELj13ELNS0_17block_load_methodE3ELS4_3ELS4_3ELNS0_20block_scan_algorithmE0ELj4294967295EEENS1_25partition_config_selectorILNS1_17partition_subalgoE3EjNS0_10empty_typeEbEEZZNS1_14partition_implILS8_3ELb0ES6_jNS0_17counting_iteratorIjlEEPS9_SE_NS0_5tupleIJPjSE_EEENSF_IJSE_SE_EEES9_SG_JZNS1_25segmented_radix_sort_implINS0_14default_configELb0EPKfPfPKlPlN2at6native12_GLOBAL__N_18offset_tEEE10hipError_tPvRmT1_PNSt15iterator_traitsISY_E10value_typeET2_T3_PNSZ_IS14_E10value_typeET4_jRbjT5_S1A_jjP12ihipStream_tbEUljE_EEESV_SW_SX_S14_S18_S1A_T6_T7_T9_mT8_S1C_bDpT10_ENKUlT_T0_E_clISt17integral_constantIbLb0EES1P_EEDaS1K_S1L_EUlS1K_E_NS1_11comp_targetILNS1_3genE5ELNS1_11target_archE942ELNS1_3gpuE9ELNS1_3repE0EEENS1_30default_config_static_selectorELNS0_4arch9wavefront6targetE0EEEvSY_,comdat
.Lfunc_end1397:
	.size	_ZN7rocprim17ROCPRIM_400000_NS6detail17trampoline_kernelINS0_13select_configILj256ELj13ELNS0_17block_load_methodE3ELS4_3ELS4_3ELNS0_20block_scan_algorithmE0ELj4294967295EEENS1_25partition_config_selectorILNS1_17partition_subalgoE3EjNS0_10empty_typeEbEEZZNS1_14partition_implILS8_3ELb0ES6_jNS0_17counting_iteratorIjlEEPS9_SE_NS0_5tupleIJPjSE_EEENSF_IJSE_SE_EEES9_SG_JZNS1_25segmented_radix_sort_implINS0_14default_configELb0EPKfPfPKlPlN2at6native12_GLOBAL__N_18offset_tEEE10hipError_tPvRmT1_PNSt15iterator_traitsISY_E10value_typeET2_T3_PNSZ_IS14_E10value_typeET4_jRbjT5_S1A_jjP12ihipStream_tbEUljE_EEESV_SW_SX_S14_S18_S1A_T6_T7_T9_mT8_S1C_bDpT10_ENKUlT_T0_E_clISt17integral_constantIbLb0EES1P_EEDaS1K_S1L_EUlS1K_E_NS1_11comp_targetILNS1_3genE5ELNS1_11target_archE942ELNS1_3gpuE9ELNS1_3repE0EEENS1_30default_config_static_selectorELNS0_4arch9wavefront6targetE0EEEvSY_, .Lfunc_end1397-_ZN7rocprim17ROCPRIM_400000_NS6detail17trampoline_kernelINS0_13select_configILj256ELj13ELNS0_17block_load_methodE3ELS4_3ELS4_3ELNS0_20block_scan_algorithmE0ELj4294967295EEENS1_25partition_config_selectorILNS1_17partition_subalgoE3EjNS0_10empty_typeEbEEZZNS1_14partition_implILS8_3ELb0ES6_jNS0_17counting_iteratorIjlEEPS9_SE_NS0_5tupleIJPjSE_EEENSF_IJSE_SE_EEES9_SG_JZNS1_25segmented_radix_sort_implINS0_14default_configELb0EPKfPfPKlPlN2at6native12_GLOBAL__N_18offset_tEEE10hipError_tPvRmT1_PNSt15iterator_traitsISY_E10value_typeET2_T3_PNSZ_IS14_E10value_typeET4_jRbjT5_S1A_jjP12ihipStream_tbEUljE_EEESV_SW_SX_S14_S18_S1A_T6_T7_T9_mT8_S1C_bDpT10_ENKUlT_T0_E_clISt17integral_constantIbLb0EES1P_EEDaS1K_S1L_EUlS1K_E_NS1_11comp_targetILNS1_3genE5ELNS1_11target_archE942ELNS1_3gpuE9ELNS1_3repE0EEENS1_30default_config_static_selectorELNS0_4arch9wavefront6targetE0EEEvSY_
                                        ; -- End function
	.set _ZN7rocprim17ROCPRIM_400000_NS6detail17trampoline_kernelINS0_13select_configILj256ELj13ELNS0_17block_load_methodE3ELS4_3ELS4_3ELNS0_20block_scan_algorithmE0ELj4294967295EEENS1_25partition_config_selectorILNS1_17partition_subalgoE3EjNS0_10empty_typeEbEEZZNS1_14partition_implILS8_3ELb0ES6_jNS0_17counting_iteratorIjlEEPS9_SE_NS0_5tupleIJPjSE_EEENSF_IJSE_SE_EEES9_SG_JZNS1_25segmented_radix_sort_implINS0_14default_configELb0EPKfPfPKlPlN2at6native12_GLOBAL__N_18offset_tEEE10hipError_tPvRmT1_PNSt15iterator_traitsISY_E10value_typeET2_T3_PNSZ_IS14_E10value_typeET4_jRbjT5_S1A_jjP12ihipStream_tbEUljE_EEESV_SW_SX_S14_S18_S1A_T6_T7_T9_mT8_S1C_bDpT10_ENKUlT_T0_E_clISt17integral_constantIbLb0EES1P_EEDaS1K_S1L_EUlS1K_E_NS1_11comp_targetILNS1_3genE5ELNS1_11target_archE942ELNS1_3gpuE9ELNS1_3repE0EEENS1_30default_config_static_selectorELNS0_4arch9wavefront6targetE0EEEvSY_.num_vgpr, 0
	.set _ZN7rocprim17ROCPRIM_400000_NS6detail17trampoline_kernelINS0_13select_configILj256ELj13ELNS0_17block_load_methodE3ELS4_3ELS4_3ELNS0_20block_scan_algorithmE0ELj4294967295EEENS1_25partition_config_selectorILNS1_17partition_subalgoE3EjNS0_10empty_typeEbEEZZNS1_14partition_implILS8_3ELb0ES6_jNS0_17counting_iteratorIjlEEPS9_SE_NS0_5tupleIJPjSE_EEENSF_IJSE_SE_EEES9_SG_JZNS1_25segmented_radix_sort_implINS0_14default_configELb0EPKfPfPKlPlN2at6native12_GLOBAL__N_18offset_tEEE10hipError_tPvRmT1_PNSt15iterator_traitsISY_E10value_typeET2_T3_PNSZ_IS14_E10value_typeET4_jRbjT5_S1A_jjP12ihipStream_tbEUljE_EEESV_SW_SX_S14_S18_S1A_T6_T7_T9_mT8_S1C_bDpT10_ENKUlT_T0_E_clISt17integral_constantIbLb0EES1P_EEDaS1K_S1L_EUlS1K_E_NS1_11comp_targetILNS1_3genE5ELNS1_11target_archE942ELNS1_3gpuE9ELNS1_3repE0EEENS1_30default_config_static_selectorELNS0_4arch9wavefront6targetE0EEEvSY_.num_agpr, 0
	.set _ZN7rocprim17ROCPRIM_400000_NS6detail17trampoline_kernelINS0_13select_configILj256ELj13ELNS0_17block_load_methodE3ELS4_3ELS4_3ELNS0_20block_scan_algorithmE0ELj4294967295EEENS1_25partition_config_selectorILNS1_17partition_subalgoE3EjNS0_10empty_typeEbEEZZNS1_14partition_implILS8_3ELb0ES6_jNS0_17counting_iteratorIjlEEPS9_SE_NS0_5tupleIJPjSE_EEENSF_IJSE_SE_EEES9_SG_JZNS1_25segmented_radix_sort_implINS0_14default_configELb0EPKfPfPKlPlN2at6native12_GLOBAL__N_18offset_tEEE10hipError_tPvRmT1_PNSt15iterator_traitsISY_E10value_typeET2_T3_PNSZ_IS14_E10value_typeET4_jRbjT5_S1A_jjP12ihipStream_tbEUljE_EEESV_SW_SX_S14_S18_S1A_T6_T7_T9_mT8_S1C_bDpT10_ENKUlT_T0_E_clISt17integral_constantIbLb0EES1P_EEDaS1K_S1L_EUlS1K_E_NS1_11comp_targetILNS1_3genE5ELNS1_11target_archE942ELNS1_3gpuE9ELNS1_3repE0EEENS1_30default_config_static_selectorELNS0_4arch9wavefront6targetE0EEEvSY_.numbered_sgpr, 0
	.set _ZN7rocprim17ROCPRIM_400000_NS6detail17trampoline_kernelINS0_13select_configILj256ELj13ELNS0_17block_load_methodE3ELS4_3ELS4_3ELNS0_20block_scan_algorithmE0ELj4294967295EEENS1_25partition_config_selectorILNS1_17partition_subalgoE3EjNS0_10empty_typeEbEEZZNS1_14partition_implILS8_3ELb0ES6_jNS0_17counting_iteratorIjlEEPS9_SE_NS0_5tupleIJPjSE_EEENSF_IJSE_SE_EEES9_SG_JZNS1_25segmented_radix_sort_implINS0_14default_configELb0EPKfPfPKlPlN2at6native12_GLOBAL__N_18offset_tEEE10hipError_tPvRmT1_PNSt15iterator_traitsISY_E10value_typeET2_T3_PNSZ_IS14_E10value_typeET4_jRbjT5_S1A_jjP12ihipStream_tbEUljE_EEESV_SW_SX_S14_S18_S1A_T6_T7_T9_mT8_S1C_bDpT10_ENKUlT_T0_E_clISt17integral_constantIbLb0EES1P_EEDaS1K_S1L_EUlS1K_E_NS1_11comp_targetILNS1_3genE5ELNS1_11target_archE942ELNS1_3gpuE9ELNS1_3repE0EEENS1_30default_config_static_selectorELNS0_4arch9wavefront6targetE0EEEvSY_.num_named_barrier, 0
	.set _ZN7rocprim17ROCPRIM_400000_NS6detail17trampoline_kernelINS0_13select_configILj256ELj13ELNS0_17block_load_methodE3ELS4_3ELS4_3ELNS0_20block_scan_algorithmE0ELj4294967295EEENS1_25partition_config_selectorILNS1_17partition_subalgoE3EjNS0_10empty_typeEbEEZZNS1_14partition_implILS8_3ELb0ES6_jNS0_17counting_iteratorIjlEEPS9_SE_NS0_5tupleIJPjSE_EEENSF_IJSE_SE_EEES9_SG_JZNS1_25segmented_radix_sort_implINS0_14default_configELb0EPKfPfPKlPlN2at6native12_GLOBAL__N_18offset_tEEE10hipError_tPvRmT1_PNSt15iterator_traitsISY_E10value_typeET2_T3_PNSZ_IS14_E10value_typeET4_jRbjT5_S1A_jjP12ihipStream_tbEUljE_EEESV_SW_SX_S14_S18_S1A_T6_T7_T9_mT8_S1C_bDpT10_ENKUlT_T0_E_clISt17integral_constantIbLb0EES1P_EEDaS1K_S1L_EUlS1K_E_NS1_11comp_targetILNS1_3genE5ELNS1_11target_archE942ELNS1_3gpuE9ELNS1_3repE0EEENS1_30default_config_static_selectorELNS0_4arch9wavefront6targetE0EEEvSY_.private_seg_size, 0
	.set _ZN7rocprim17ROCPRIM_400000_NS6detail17trampoline_kernelINS0_13select_configILj256ELj13ELNS0_17block_load_methodE3ELS4_3ELS4_3ELNS0_20block_scan_algorithmE0ELj4294967295EEENS1_25partition_config_selectorILNS1_17partition_subalgoE3EjNS0_10empty_typeEbEEZZNS1_14partition_implILS8_3ELb0ES6_jNS0_17counting_iteratorIjlEEPS9_SE_NS0_5tupleIJPjSE_EEENSF_IJSE_SE_EEES9_SG_JZNS1_25segmented_radix_sort_implINS0_14default_configELb0EPKfPfPKlPlN2at6native12_GLOBAL__N_18offset_tEEE10hipError_tPvRmT1_PNSt15iterator_traitsISY_E10value_typeET2_T3_PNSZ_IS14_E10value_typeET4_jRbjT5_S1A_jjP12ihipStream_tbEUljE_EEESV_SW_SX_S14_S18_S1A_T6_T7_T9_mT8_S1C_bDpT10_ENKUlT_T0_E_clISt17integral_constantIbLb0EES1P_EEDaS1K_S1L_EUlS1K_E_NS1_11comp_targetILNS1_3genE5ELNS1_11target_archE942ELNS1_3gpuE9ELNS1_3repE0EEENS1_30default_config_static_selectorELNS0_4arch9wavefront6targetE0EEEvSY_.uses_vcc, 0
	.set _ZN7rocprim17ROCPRIM_400000_NS6detail17trampoline_kernelINS0_13select_configILj256ELj13ELNS0_17block_load_methodE3ELS4_3ELS4_3ELNS0_20block_scan_algorithmE0ELj4294967295EEENS1_25partition_config_selectorILNS1_17partition_subalgoE3EjNS0_10empty_typeEbEEZZNS1_14partition_implILS8_3ELb0ES6_jNS0_17counting_iteratorIjlEEPS9_SE_NS0_5tupleIJPjSE_EEENSF_IJSE_SE_EEES9_SG_JZNS1_25segmented_radix_sort_implINS0_14default_configELb0EPKfPfPKlPlN2at6native12_GLOBAL__N_18offset_tEEE10hipError_tPvRmT1_PNSt15iterator_traitsISY_E10value_typeET2_T3_PNSZ_IS14_E10value_typeET4_jRbjT5_S1A_jjP12ihipStream_tbEUljE_EEESV_SW_SX_S14_S18_S1A_T6_T7_T9_mT8_S1C_bDpT10_ENKUlT_T0_E_clISt17integral_constantIbLb0EES1P_EEDaS1K_S1L_EUlS1K_E_NS1_11comp_targetILNS1_3genE5ELNS1_11target_archE942ELNS1_3gpuE9ELNS1_3repE0EEENS1_30default_config_static_selectorELNS0_4arch9wavefront6targetE0EEEvSY_.uses_flat_scratch, 0
	.set _ZN7rocprim17ROCPRIM_400000_NS6detail17trampoline_kernelINS0_13select_configILj256ELj13ELNS0_17block_load_methodE3ELS4_3ELS4_3ELNS0_20block_scan_algorithmE0ELj4294967295EEENS1_25partition_config_selectorILNS1_17partition_subalgoE3EjNS0_10empty_typeEbEEZZNS1_14partition_implILS8_3ELb0ES6_jNS0_17counting_iteratorIjlEEPS9_SE_NS0_5tupleIJPjSE_EEENSF_IJSE_SE_EEES9_SG_JZNS1_25segmented_radix_sort_implINS0_14default_configELb0EPKfPfPKlPlN2at6native12_GLOBAL__N_18offset_tEEE10hipError_tPvRmT1_PNSt15iterator_traitsISY_E10value_typeET2_T3_PNSZ_IS14_E10value_typeET4_jRbjT5_S1A_jjP12ihipStream_tbEUljE_EEESV_SW_SX_S14_S18_S1A_T6_T7_T9_mT8_S1C_bDpT10_ENKUlT_T0_E_clISt17integral_constantIbLb0EES1P_EEDaS1K_S1L_EUlS1K_E_NS1_11comp_targetILNS1_3genE5ELNS1_11target_archE942ELNS1_3gpuE9ELNS1_3repE0EEENS1_30default_config_static_selectorELNS0_4arch9wavefront6targetE0EEEvSY_.has_dyn_sized_stack, 0
	.set _ZN7rocprim17ROCPRIM_400000_NS6detail17trampoline_kernelINS0_13select_configILj256ELj13ELNS0_17block_load_methodE3ELS4_3ELS4_3ELNS0_20block_scan_algorithmE0ELj4294967295EEENS1_25partition_config_selectorILNS1_17partition_subalgoE3EjNS0_10empty_typeEbEEZZNS1_14partition_implILS8_3ELb0ES6_jNS0_17counting_iteratorIjlEEPS9_SE_NS0_5tupleIJPjSE_EEENSF_IJSE_SE_EEES9_SG_JZNS1_25segmented_radix_sort_implINS0_14default_configELb0EPKfPfPKlPlN2at6native12_GLOBAL__N_18offset_tEEE10hipError_tPvRmT1_PNSt15iterator_traitsISY_E10value_typeET2_T3_PNSZ_IS14_E10value_typeET4_jRbjT5_S1A_jjP12ihipStream_tbEUljE_EEESV_SW_SX_S14_S18_S1A_T6_T7_T9_mT8_S1C_bDpT10_ENKUlT_T0_E_clISt17integral_constantIbLb0EES1P_EEDaS1K_S1L_EUlS1K_E_NS1_11comp_targetILNS1_3genE5ELNS1_11target_archE942ELNS1_3gpuE9ELNS1_3repE0EEENS1_30default_config_static_selectorELNS0_4arch9wavefront6targetE0EEEvSY_.has_recursion, 0
	.set _ZN7rocprim17ROCPRIM_400000_NS6detail17trampoline_kernelINS0_13select_configILj256ELj13ELNS0_17block_load_methodE3ELS4_3ELS4_3ELNS0_20block_scan_algorithmE0ELj4294967295EEENS1_25partition_config_selectorILNS1_17partition_subalgoE3EjNS0_10empty_typeEbEEZZNS1_14partition_implILS8_3ELb0ES6_jNS0_17counting_iteratorIjlEEPS9_SE_NS0_5tupleIJPjSE_EEENSF_IJSE_SE_EEES9_SG_JZNS1_25segmented_radix_sort_implINS0_14default_configELb0EPKfPfPKlPlN2at6native12_GLOBAL__N_18offset_tEEE10hipError_tPvRmT1_PNSt15iterator_traitsISY_E10value_typeET2_T3_PNSZ_IS14_E10value_typeET4_jRbjT5_S1A_jjP12ihipStream_tbEUljE_EEESV_SW_SX_S14_S18_S1A_T6_T7_T9_mT8_S1C_bDpT10_ENKUlT_T0_E_clISt17integral_constantIbLb0EES1P_EEDaS1K_S1L_EUlS1K_E_NS1_11comp_targetILNS1_3genE5ELNS1_11target_archE942ELNS1_3gpuE9ELNS1_3repE0EEENS1_30default_config_static_selectorELNS0_4arch9wavefront6targetE0EEEvSY_.has_indirect_call, 0
	.section	.AMDGPU.csdata,"",@progbits
; Kernel info:
; codeLenInByte = 0
; TotalNumSgprs: 0
; NumVgprs: 0
; ScratchSize: 0
; MemoryBound: 0
; FloatMode: 240
; IeeeMode: 1
; LDSByteSize: 0 bytes/workgroup (compile time only)
; SGPRBlocks: 0
; VGPRBlocks: 0
; NumSGPRsForWavesPerEU: 1
; NumVGPRsForWavesPerEU: 1
; Occupancy: 16
; WaveLimiterHint : 0
; COMPUTE_PGM_RSRC2:SCRATCH_EN: 0
; COMPUTE_PGM_RSRC2:USER_SGPR: 2
; COMPUTE_PGM_RSRC2:TRAP_HANDLER: 0
; COMPUTE_PGM_RSRC2:TGID_X_EN: 1
; COMPUTE_PGM_RSRC2:TGID_Y_EN: 0
; COMPUTE_PGM_RSRC2:TGID_Z_EN: 0
; COMPUTE_PGM_RSRC2:TIDIG_COMP_CNT: 0
	.section	.text._ZN7rocprim17ROCPRIM_400000_NS6detail17trampoline_kernelINS0_13select_configILj256ELj13ELNS0_17block_load_methodE3ELS4_3ELS4_3ELNS0_20block_scan_algorithmE0ELj4294967295EEENS1_25partition_config_selectorILNS1_17partition_subalgoE3EjNS0_10empty_typeEbEEZZNS1_14partition_implILS8_3ELb0ES6_jNS0_17counting_iteratorIjlEEPS9_SE_NS0_5tupleIJPjSE_EEENSF_IJSE_SE_EEES9_SG_JZNS1_25segmented_radix_sort_implINS0_14default_configELb0EPKfPfPKlPlN2at6native12_GLOBAL__N_18offset_tEEE10hipError_tPvRmT1_PNSt15iterator_traitsISY_E10value_typeET2_T3_PNSZ_IS14_E10value_typeET4_jRbjT5_S1A_jjP12ihipStream_tbEUljE_EEESV_SW_SX_S14_S18_S1A_T6_T7_T9_mT8_S1C_bDpT10_ENKUlT_T0_E_clISt17integral_constantIbLb0EES1P_EEDaS1K_S1L_EUlS1K_E_NS1_11comp_targetILNS1_3genE4ELNS1_11target_archE910ELNS1_3gpuE8ELNS1_3repE0EEENS1_30default_config_static_selectorELNS0_4arch9wavefront6targetE0EEEvSY_,"axG",@progbits,_ZN7rocprim17ROCPRIM_400000_NS6detail17trampoline_kernelINS0_13select_configILj256ELj13ELNS0_17block_load_methodE3ELS4_3ELS4_3ELNS0_20block_scan_algorithmE0ELj4294967295EEENS1_25partition_config_selectorILNS1_17partition_subalgoE3EjNS0_10empty_typeEbEEZZNS1_14partition_implILS8_3ELb0ES6_jNS0_17counting_iteratorIjlEEPS9_SE_NS0_5tupleIJPjSE_EEENSF_IJSE_SE_EEES9_SG_JZNS1_25segmented_radix_sort_implINS0_14default_configELb0EPKfPfPKlPlN2at6native12_GLOBAL__N_18offset_tEEE10hipError_tPvRmT1_PNSt15iterator_traitsISY_E10value_typeET2_T3_PNSZ_IS14_E10value_typeET4_jRbjT5_S1A_jjP12ihipStream_tbEUljE_EEESV_SW_SX_S14_S18_S1A_T6_T7_T9_mT8_S1C_bDpT10_ENKUlT_T0_E_clISt17integral_constantIbLb0EES1P_EEDaS1K_S1L_EUlS1K_E_NS1_11comp_targetILNS1_3genE4ELNS1_11target_archE910ELNS1_3gpuE8ELNS1_3repE0EEENS1_30default_config_static_selectorELNS0_4arch9wavefront6targetE0EEEvSY_,comdat
	.globl	_ZN7rocprim17ROCPRIM_400000_NS6detail17trampoline_kernelINS0_13select_configILj256ELj13ELNS0_17block_load_methodE3ELS4_3ELS4_3ELNS0_20block_scan_algorithmE0ELj4294967295EEENS1_25partition_config_selectorILNS1_17partition_subalgoE3EjNS0_10empty_typeEbEEZZNS1_14partition_implILS8_3ELb0ES6_jNS0_17counting_iteratorIjlEEPS9_SE_NS0_5tupleIJPjSE_EEENSF_IJSE_SE_EEES9_SG_JZNS1_25segmented_radix_sort_implINS0_14default_configELb0EPKfPfPKlPlN2at6native12_GLOBAL__N_18offset_tEEE10hipError_tPvRmT1_PNSt15iterator_traitsISY_E10value_typeET2_T3_PNSZ_IS14_E10value_typeET4_jRbjT5_S1A_jjP12ihipStream_tbEUljE_EEESV_SW_SX_S14_S18_S1A_T6_T7_T9_mT8_S1C_bDpT10_ENKUlT_T0_E_clISt17integral_constantIbLb0EES1P_EEDaS1K_S1L_EUlS1K_E_NS1_11comp_targetILNS1_3genE4ELNS1_11target_archE910ELNS1_3gpuE8ELNS1_3repE0EEENS1_30default_config_static_selectorELNS0_4arch9wavefront6targetE0EEEvSY_ ; -- Begin function _ZN7rocprim17ROCPRIM_400000_NS6detail17trampoline_kernelINS0_13select_configILj256ELj13ELNS0_17block_load_methodE3ELS4_3ELS4_3ELNS0_20block_scan_algorithmE0ELj4294967295EEENS1_25partition_config_selectorILNS1_17partition_subalgoE3EjNS0_10empty_typeEbEEZZNS1_14partition_implILS8_3ELb0ES6_jNS0_17counting_iteratorIjlEEPS9_SE_NS0_5tupleIJPjSE_EEENSF_IJSE_SE_EEES9_SG_JZNS1_25segmented_radix_sort_implINS0_14default_configELb0EPKfPfPKlPlN2at6native12_GLOBAL__N_18offset_tEEE10hipError_tPvRmT1_PNSt15iterator_traitsISY_E10value_typeET2_T3_PNSZ_IS14_E10value_typeET4_jRbjT5_S1A_jjP12ihipStream_tbEUljE_EEESV_SW_SX_S14_S18_S1A_T6_T7_T9_mT8_S1C_bDpT10_ENKUlT_T0_E_clISt17integral_constantIbLb0EES1P_EEDaS1K_S1L_EUlS1K_E_NS1_11comp_targetILNS1_3genE4ELNS1_11target_archE910ELNS1_3gpuE8ELNS1_3repE0EEENS1_30default_config_static_selectorELNS0_4arch9wavefront6targetE0EEEvSY_
	.p2align	8
	.type	_ZN7rocprim17ROCPRIM_400000_NS6detail17trampoline_kernelINS0_13select_configILj256ELj13ELNS0_17block_load_methodE3ELS4_3ELS4_3ELNS0_20block_scan_algorithmE0ELj4294967295EEENS1_25partition_config_selectorILNS1_17partition_subalgoE3EjNS0_10empty_typeEbEEZZNS1_14partition_implILS8_3ELb0ES6_jNS0_17counting_iteratorIjlEEPS9_SE_NS0_5tupleIJPjSE_EEENSF_IJSE_SE_EEES9_SG_JZNS1_25segmented_radix_sort_implINS0_14default_configELb0EPKfPfPKlPlN2at6native12_GLOBAL__N_18offset_tEEE10hipError_tPvRmT1_PNSt15iterator_traitsISY_E10value_typeET2_T3_PNSZ_IS14_E10value_typeET4_jRbjT5_S1A_jjP12ihipStream_tbEUljE_EEESV_SW_SX_S14_S18_S1A_T6_T7_T9_mT8_S1C_bDpT10_ENKUlT_T0_E_clISt17integral_constantIbLb0EES1P_EEDaS1K_S1L_EUlS1K_E_NS1_11comp_targetILNS1_3genE4ELNS1_11target_archE910ELNS1_3gpuE8ELNS1_3repE0EEENS1_30default_config_static_selectorELNS0_4arch9wavefront6targetE0EEEvSY_,@function
_ZN7rocprim17ROCPRIM_400000_NS6detail17trampoline_kernelINS0_13select_configILj256ELj13ELNS0_17block_load_methodE3ELS4_3ELS4_3ELNS0_20block_scan_algorithmE0ELj4294967295EEENS1_25partition_config_selectorILNS1_17partition_subalgoE3EjNS0_10empty_typeEbEEZZNS1_14partition_implILS8_3ELb0ES6_jNS0_17counting_iteratorIjlEEPS9_SE_NS0_5tupleIJPjSE_EEENSF_IJSE_SE_EEES9_SG_JZNS1_25segmented_radix_sort_implINS0_14default_configELb0EPKfPfPKlPlN2at6native12_GLOBAL__N_18offset_tEEE10hipError_tPvRmT1_PNSt15iterator_traitsISY_E10value_typeET2_T3_PNSZ_IS14_E10value_typeET4_jRbjT5_S1A_jjP12ihipStream_tbEUljE_EEESV_SW_SX_S14_S18_S1A_T6_T7_T9_mT8_S1C_bDpT10_ENKUlT_T0_E_clISt17integral_constantIbLb0EES1P_EEDaS1K_S1L_EUlS1K_E_NS1_11comp_targetILNS1_3genE4ELNS1_11target_archE910ELNS1_3gpuE8ELNS1_3repE0EEENS1_30default_config_static_selectorELNS0_4arch9wavefront6targetE0EEEvSY_: ; @_ZN7rocprim17ROCPRIM_400000_NS6detail17trampoline_kernelINS0_13select_configILj256ELj13ELNS0_17block_load_methodE3ELS4_3ELS4_3ELNS0_20block_scan_algorithmE0ELj4294967295EEENS1_25partition_config_selectorILNS1_17partition_subalgoE3EjNS0_10empty_typeEbEEZZNS1_14partition_implILS8_3ELb0ES6_jNS0_17counting_iteratorIjlEEPS9_SE_NS0_5tupleIJPjSE_EEENSF_IJSE_SE_EEES9_SG_JZNS1_25segmented_radix_sort_implINS0_14default_configELb0EPKfPfPKlPlN2at6native12_GLOBAL__N_18offset_tEEE10hipError_tPvRmT1_PNSt15iterator_traitsISY_E10value_typeET2_T3_PNSZ_IS14_E10value_typeET4_jRbjT5_S1A_jjP12ihipStream_tbEUljE_EEESV_SW_SX_S14_S18_S1A_T6_T7_T9_mT8_S1C_bDpT10_ENKUlT_T0_E_clISt17integral_constantIbLb0EES1P_EEDaS1K_S1L_EUlS1K_E_NS1_11comp_targetILNS1_3genE4ELNS1_11target_archE910ELNS1_3gpuE8ELNS1_3repE0EEENS1_30default_config_static_selectorELNS0_4arch9wavefront6targetE0EEEvSY_
; %bb.0:
	.section	.rodata,"a",@progbits
	.p2align	6, 0x0
	.amdhsa_kernel _ZN7rocprim17ROCPRIM_400000_NS6detail17trampoline_kernelINS0_13select_configILj256ELj13ELNS0_17block_load_methodE3ELS4_3ELS4_3ELNS0_20block_scan_algorithmE0ELj4294967295EEENS1_25partition_config_selectorILNS1_17partition_subalgoE3EjNS0_10empty_typeEbEEZZNS1_14partition_implILS8_3ELb0ES6_jNS0_17counting_iteratorIjlEEPS9_SE_NS0_5tupleIJPjSE_EEENSF_IJSE_SE_EEES9_SG_JZNS1_25segmented_radix_sort_implINS0_14default_configELb0EPKfPfPKlPlN2at6native12_GLOBAL__N_18offset_tEEE10hipError_tPvRmT1_PNSt15iterator_traitsISY_E10value_typeET2_T3_PNSZ_IS14_E10value_typeET4_jRbjT5_S1A_jjP12ihipStream_tbEUljE_EEESV_SW_SX_S14_S18_S1A_T6_T7_T9_mT8_S1C_bDpT10_ENKUlT_T0_E_clISt17integral_constantIbLb0EES1P_EEDaS1K_S1L_EUlS1K_E_NS1_11comp_targetILNS1_3genE4ELNS1_11target_archE910ELNS1_3gpuE8ELNS1_3repE0EEENS1_30default_config_static_selectorELNS0_4arch9wavefront6targetE0EEEvSY_
		.amdhsa_group_segment_fixed_size 0
		.amdhsa_private_segment_fixed_size 0
		.amdhsa_kernarg_size 144
		.amdhsa_user_sgpr_count 2
		.amdhsa_user_sgpr_dispatch_ptr 0
		.amdhsa_user_sgpr_queue_ptr 0
		.amdhsa_user_sgpr_kernarg_segment_ptr 1
		.amdhsa_user_sgpr_dispatch_id 0
		.amdhsa_user_sgpr_private_segment_size 0
		.amdhsa_wavefront_size32 1
		.amdhsa_uses_dynamic_stack 0
		.amdhsa_enable_private_segment 0
		.amdhsa_system_sgpr_workgroup_id_x 1
		.amdhsa_system_sgpr_workgroup_id_y 0
		.amdhsa_system_sgpr_workgroup_id_z 0
		.amdhsa_system_sgpr_workgroup_info 0
		.amdhsa_system_vgpr_workitem_id 0
		.amdhsa_next_free_vgpr 1
		.amdhsa_next_free_sgpr 1
		.amdhsa_reserve_vcc 0
		.amdhsa_float_round_mode_32 0
		.amdhsa_float_round_mode_16_64 0
		.amdhsa_float_denorm_mode_32 3
		.amdhsa_float_denorm_mode_16_64 3
		.amdhsa_fp16_overflow 0
		.amdhsa_workgroup_processor_mode 1
		.amdhsa_memory_ordered 1
		.amdhsa_forward_progress 1
		.amdhsa_inst_pref_size 0
		.amdhsa_round_robin_scheduling 0
		.amdhsa_exception_fp_ieee_invalid_op 0
		.amdhsa_exception_fp_denorm_src 0
		.amdhsa_exception_fp_ieee_div_zero 0
		.amdhsa_exception_fp_ieee_overflow 0
		.amdhsa_exception_fp_ieee_underflow 0
		.amdhsa_exception_fp_ieee_inexact 0
		.amdhsa_exception_int_div_zero 0
	.end_amdhsa_kernel
	.section	.text._ZN7rocprim17ROCPRIM_400000_NS6detail17trampoline_kernelINS0_13select_configILj256ELj13ELNS0_17block_load_methodE3ELS4_3ELS4_3ELNS0_20block_scan_algorithmE0ELj4294967295EEENS1_25partition_config_selectorILNS1_17partition_subalgoE3EjNS0_10empty_typeEbEEZZNS1_14partition_implILS8_3ELb0ES6_jNS0_17counting_iteratorIjlEEPS9_SE_NS0_5tupleIJPjSE_EEENSF_IJSE_SE_EEES9_SG_JZNS1_25segmented_radix_sort_implINS0_14default_configELb0EPKfPfPKlPlN2at6native12_GLOBAL__N_18offset_tEEE10hipError_tPvRmT1_PNSt15iterator_traitsISY_E10value_typeET2_T3_PNSZ_IS14_E10value_typeET4_jRbjT5_S1A_jjP12ihipStream_tbEUljE_EEESV_SW_SX_S14_S18_S1A_T6_T7_T9_mT8_S1C_bDpT10_ENKUlT_T0_E_clISt17integral_constantIbLb0EES1P_EEDaS1K_S1L_EUlS1K_E_NS1_11comp_targetILNS1_3genE4ELNS1_11target_archE910ELNS1_3gpuE8ELNS1_3repE0EEENS1_30default_config_static_selectorELNS0_4arch9wavefront6targetE0EEEvSY_,"axG",@progbits,_ZN7rocprim17ROCPRIM_400000_NS6detail17trampoline_kernelINS0_13select_configILj256ELj13ELNS0_17block_load_methodE3ELS4_3ELS4_3ELNS0_20block_scan_algorithmE0ELj4294967295EEENS1_25partition_config_selectorILNS1_17partition_subalgoE3EjNS0_10empty_typeEbEEZZNS1_14partition_implILS8_3ELb0ES6_jNS0_17counting_iteratorIjlEEPS9_SE_NS0_5tupleIJPjSE_EEENSF_IJSE_SE_EEES9_SG_JZNS1_25segmented_radix_sort_implINS0_14default_configELb0EPKfPfPKlPlN2at6native12_GLOBAL__N_18offset_tEEE10hipError_tPvRmT1_PNSt15iterator_traitsISY_E10value_typeET2_T3_PNSZ_IS14_E10value_typeET4_jRbjT5_S1A_jjP12ihipStream_tbEUljE_EEESV_SW_SX_S14_S18_S1A_T6_T7_T9_mT8_S1C_bDpT10_ENKUlT_T0_E_clISt17integral_constantIbLb0EES1P_EEDaS1K_S1L_EUlS1K_E_NS1_11comp_targetILNS1_3genE4ELNS1_11target_archE910ELNS1_3gpuE8ELNS1_3repE0EEENS1_30default_config_static_selectorELNS0_4arch9wavefront6targetE0EEEvSY_,comdat
.Lfunc_end1398:
	.size	_ZN7rocprim17ROCPRIM_400000_NS6detail17trampoline_kernelINS0_13select_configILj256ELj13ELNS0_17block_load_methodE3ELS4_3ELS4_3ELNS0_20block_scan_algorithmE0ELj4294967295EEENS1_25partition_config_selectorILNS1_17partition_subalgoE3EjNS0_10empty_typeEbEEZZNS1_14partition_implILS8_3ELb0ES6_jNS0_17counting_iteratorIjlEEPS9_SE_NS0_5tupleIJPjSE_EEENSF_IJSE_SE_EEES9_SG_JZNS1_25segmented_radix_sort_implINS0_14default_configELb0EPKfPfPKlPlN2at6native12_GLOBAL__N_18offset_tEEE10hipError_tPvRmT1_PNSt15iterator_traitsISY_E10value_typeET2_T3_PNSZ_IS14_E10value_typeET4_jRbjT5_S1A_jjP12ihipStream_tbEUljE_EEESV_SW_SX_S14_S18_S1A_T6_T7_T9_mT8_S1C_bDpT10_ENKUlT_T0_E_clISt17integral_constantIbLb0EES1P_EEDaS1K_S1L_EUlS1K_E_NS1_11comp_targetILNS1_3genE4ELNS1_11target_archE910ELNS1_3gpuE8ELNS1_3repE0EEENS1_30default_config_static_selectorELNS0_4arch9wavefront6targetE0EEEvSY_, .Lfunc_end1398-_ZN7rocprim17ROCPRIM_400000_NS6detail17trampoline_kernelINS0_13select_configILj256ELj13ELNS0_17block_load_methodE3ELS4_3ELS4_3ELNS0_20block_scan_algorithmE0ELj4294967295EEENS1_25partition_config_selectorILNS1_17partition_subalgoE3EjNS0_10empty_typeEbEEZZNS1_14partition_implILS8_3ELb0ES6_jNS0_17counting_iteratorIjlEEPS9_SE_NS0_5tupleIJPjSE_EEENSF_IJSE_SE_EEES9_SG_JZNS1_25segmented_radix_sort_implINS0_14default_configELb0EPKfPfPKlPlN2at6native12_GLOBAL__N_18offset_tEEE10hipError_tPvRmT1_PNSt15iterator_traitsISY_E10value_typeET2_T3_PNSZ_IS14_E10value_typeET4_jRbjT5_S1A_jjP12ihipStream_tbEUljE_EEESV_SW_SX_S14_S18_S1A_T6_T7_T9_mT8_S1C_bDpT10_ENKUlT_T0_E_clISt17integral_constantIbLb0EES1P_EEDaS1K_S1L_EUlS1K_E_NS1_11comp_targetILNS1_3genE4ELNS1_11target_archE910ELNS1_3gpuE8ELNS1_3repE0EEENS1_30default_config_static_selectorELNS0_4arch9wavefront6targetE0EEEvSY_
                                        ; -- End function
	.set _ZN7rocprim17ROCPRIM_400000_NS6detail17trampoline_kernelINS0_13select_configILj256ELj13ELNS0_17block_load_methodE3ELS4_3ELS4_3ELNS0_20block_scan_algorithmE0ELj4294967295EEENS1_25partition_config_selectorILNS1_17partition_subalgoE3EjNS0_10empty_typeEbEEZZNS1_14partition_implILS8_3ELb0ES6_jNS0_17counting_iteratorIjlEEPS9_SE_NS0_5tupleIJPjSE_EEENSF_IJSE_SE_EEES9_SG_JZNS1_25segmented_radix_sort_implINS0_14default_configELb0EPKfPfPKlPlN2at6native12_GLOBAL__N_18offset_tEEE10hipError_tPvRmT1_PNSt15iterator_traitsISY_E10value_typeET2_T3_PNSZ_IS14_E10value_typeET4_jRbjT5_S1A_jjP12ihipStream_tbEUljE_EEESV_SW_SX_S14_S18_S1A_T6_T7_T9_mT8_S1C_bDpT10_ENKUlT_T0_E_clISt17integral_constantIbLb0EES1P_EEDaS1K_S1L_EUlS1K_E_NS1_11comp_targetILNS1_3genE4ELNS1_11target_archE910ELNS1_3gpuE8ELNS1_3repE0EEENS1_30default_config_static_selectorELNS0_4arch9wavefront6targetE0EEEvSY_.num_vgpr, 0
	.set _ZN7rocprim17ROCPRIM_400000_NS6detail17trampoline_kernelINS0_13select_configILj256ELj13ELNS0_17block_load_methodE3ELS4_3ELS4_3ELNS0_20block_scan_algorithmE0ELj4294967295EEENS1_25partition_config_selectorILNS1_17partition_subalgoE3EjNS0_10empty_typeEbEEZZNS1_14partition_implILS8_3ELb0ES6_jNS0_17counting_iteratorIjlEEPS9_SE_NS0_5tupleIJPjSE_EEENSF_IJSE_SE_EEES9_SG_JZNS1_25segmented_radix_sort_implINS0_14default_configELb0EPKfPfPKlPlN2at6native12_GLOBAL__N_18offset_tEEE10hipError_tPvRmT1_PNSt15iterator_traitsISY_E10value_typeET2_T3_PNSZ_IS14_E10value_typeET4_jRbjT5_S1A_jjP12ihipStream_tbEUljE_EEESV_SW_SX_S14_S18_S1A_T6_T7_T9_mT8_S1C_bDpT10_ENKUlT_T0_E_clISt17integral_constantIbLb0EES1P_EEDaS1K_S1L_EUlS1K_E_NS1_11comp_targetILNS1_3genE4ELNS1_11target_archE910ELNS1_3gpuE8ELNS1_3repE0EEENS1_30default_config_static_selectorELNS0_4arch9wavefront6targetE0EEEvSY_.num_agpr, 0
	.set _ZN7rocprim17ROCPRIM_400000_NS6detail17trampoline_kernelINS0_13select_configILj256ELj13ELNS0_17block_load_methodE3ELS4_3ELS4_3ELNS0_20block_scan_algorithmE0ELj4294967295EEENS1_25partition_config_selectorILNS1_17partition_subalgoE3EjNS0_10empty_typeEbEEZZNS1_14partition_implILS8_3ELb0ES6_jNS0_17counting_iteratorIjlEEPS9_SE_NS0_5tupleIJPjSE_EEENSF_IJSE_SE_EEES9_SG_JZNS1_25segmented_radix_sort_implINS0_14default_configELb0EPKfPfPKlPlN2at6native12_GLOBAL__N_18offset_tEEE10hipError_tPvRmT1_PNSt15iterator_traitsISY_E10value_typeET2_T3_PNSZ_IS14_E10value_typeET4_jRbjT5_S1A_jjP12ihipStream_tbEUljE_EEESV_SW_SX_S14_S18_S1A_T6_T7_T9_mT8_S1C_bDpT10_ENKUlT_T0_E_clISt17integral_constantIbLb0EES1P_EEDaS1K_S1L_EUlS1K_E_NS1_11comp_targetILNS1_3genE4ELNS1_11target_archE910ELNS1_3gpuE8ELNS1_3repE0EEENS1_30default_config_static_selectorELNS0_4arch9wavefront6targetE0EEEvSY_.numbered_sgpr, 0
	.set _ZN7rocprim17ROCPRIM_400000_NS6detail17trampoline_kernelINS0_13select_configILj256ELj13ELNS0_17block_load_methodE3ELS4_3ELS4_3ELNS0_20block_scan_algorithmE0ELj4294967295EEENS1_25partition_config_selectorILNS1_17partition_subalgoE3EjNS0_10empty_typeEbEEZZNS1_14partition_implILS8_3ELb0ES6_jNS0_17counting_iteratorIjlEEPS9_SE_NS0_5tupleIJPjSE_EEENSF_IJSE_SE_EEES9_SG_JZNS1_25segmented_radix_sort_implINS0_14default_configELb0EPKfPfPKlPlN2at6native12_GLOBAL__N_18offset_tEEE10hipError_tPvRmT1_PNSt15iterator_traitsISY_E10value_typeET2_T3_PNSZ_IS14_E10value_typeET4_jRbjT5_S1A_jjP12ihipStream_tbEUljE_EEESV_SW_SX_S14_S18_S1A_T6_T7_T9_mT8_S1C_bDpT10_ENKUlT_T0_E_clISt17integral_constantIbLb0EES1P_EEDaS1K_S1L_EUlS1K_E_NS1_11comp_targetILNS1_3genE4ELNS1_11target_archE910ELNS1_3gpuE8ELNS1_3repE0EEENS1_30default_config_static_selectorELNS0_4arch9wavefront6targetE0EEEvSY_.num_named_barrier, 0
	.set _ZN7rocprim17ROCPRIM_400000_NS6detail17trampoline_kernelINS0_13select_configILj256ELj13ELNS0_17block_load_methodE3ELS4_3ELS4_3ELNS0_20block_scan_algorithmE0ELj4294967295EEENS1_25partition_config_selectorILNS1_17partition_subalgoE3EjNS0_10empty_typeEbEEZZNS1_14partition_implILS8_3ELb0ES6_jNS0_17counting_iteratorIjlEEPS9_SE_NS0_5tupleIJPjSE_EEENSF_IJSE_SE_EEES9_SG_JZNS1_25segmented_radix_sort_implINS0_14default_configELb0EPKfPfPKlPlN2at6native12_GLOBAL__N_18offset_tEEE10hipError_tPvRmT1_PNSt15iterator_traitsISY_E10value_typeET2_T3_PNSZ_IS14_E10value_typeET4_jRbjT5_S1A_jjP12ihipStream_tbEUljE_EEESV_SW_SX_S14_S18_S1A_T6_T7_T9_mT8_S1C_bDpT10_ENKUlT_T0_E_clISt17integral_constantIbLb0EES1P_EEDaS1K_S1L_EUlS1K_E_NS1_11comp_targetILNS1_3genE4ELNS1_11target_archE910ELNS1_3gpuE8ELNS1_3repE0EEENS1_30default_config_static_selectorELNS0_4arch9wavefront6targetE0EEEvSY_.private_seg_size, 0
	.set _ZN7rocprim17ROCPRIM_400000_NS6detail17trampoline_kernelINS0_13select_configILj256ELj13ELNS0_17block_load_methodE3ELS4_3ELS4_3ELNS0_20block_scan_algorithmE0ELj4294967295EEENS1_25partition_config_selectorILNS1_17partition_subalgoE3EjNS0_10empty_typeEbEEZZNS1_14partition_implILS8_3ELb0ES6_jNS0_17counting_iteratorIjlEEPS9_SE_NS0_5tupleIJPjSE_EEENSF_IJSE_SE_EEES9_SG_JZNS1_25segmented_radix_sort_implINS0_14default_configELb0EPKfPfPKlPlN2at6native12_GLOBAL__N_18offset_tEEE10hipError_tPvRmT1_PNSt15iterator_traitsISY_E10value_typeET2_T3_PNSZ_IS14_E10value_typeET4_jRbjT5_S1A_jjP12ihipStream_tbEUljE_EEESV_SW_SX_S14_S18_S1A_T6_T7_T9_mT8_S1C_bDpT10_ENKUlT_T0_E_clISt17integral_constantIbLb0EES1P_EEDaS1K_S1L_EUlS1K_E_NS1_11comp_targetILNS1_3genE4ELNS1_11target_archE910ELNS1_3gpuE8ELNS1_3repE0EEENS1_30default_config_static_selectorELNS0_4arch9wavefront6targetE0EEEvSY_.uses_vcc, 0
	.set _ZN7rocprim17ROCPRIM_400000_NS6detail17trampoline_kernelINS0_13select_configILj256ELj13ELNS0_17block_load_methodE3ELS4_3ELS4_3ELNS0_20block_scan_algorithmE0ELj4294967295EEENS1_25partition_config_selectorILNS1_17partition_subalgoE3EjNS0_10empty_typeEbEEZZNS1_14partition_implILS8_3ELb0ES6_jNS0_17counting_iteratorIjlEEPS9_SE_NS0_5tupleIJPjSE_EEENSF_IJSE_SE_EEES9_SG_JZNS1_25segmented_radix_sort_implINS0_14default_configELb0EPKfPfPKlPlN2at6native12_GLOBAL__N_18offset_tEEE10hipError_tPvRmT1_PNSt15iterator_traitsISY_E10value_typeET2_T3_PNSZ_IS14_E10value_typeET4_jRbjT5_S1A_jjP12ihipStream_tbEUljE_EEESV_SW_SX_S14_S18_S1A_T6_T7_T9_mT8_S1C_bDpT10_ENKUlT_T0_E_clISt17integral_constantIbLb0EES1P_EEDaS1K_S1L_EUlS1K_E_NS1_11comp_targetILNS1_3genE4ELNS1_11target_archE910ELNS1_3gpuE8ELNS1_3repE0EEENS1_30default_config_static_selectorELNS0_4arch9wavefront6targetE0EEEvSY_.uses_flat_scratch, 0
	.set _ZN7rocprim17ROCPRIM_400000_NS6detail17trampoline_kernelINS0_13select_configILj256ELj13ELNS0_17block_load_methodE3ELS4_3ELS4_3ELNS0_20block_scan_algorithmE0ELj4294967295EEENS1_25partition_config_selectorILNS1_17partition_subalgoE3EjNS0_10empty_typeEbEEZZNS1_14partition_implILS8_3ELb0ES6_jNS0_17counting_iteratorIjlEEPS9_SE_NS0_5tupleIJPjSE_EEENSF_IJSE_SE_EEES9_SG_JZNS1_25segmented_radix_sort_implINS0_14default_configELb0EPKfPfPKlPlN2at6native12_GLOBAL__N_18offset_tEEE10hipError_tPvRmT1_PNSt15iterator_traitsISY_E10value_typeET2_T3_PNSZ_IS14_E10value_typeET4_jRbjT5_S1A_jjP12ihipStream_tbEUljE_EEESV_SW_SX_S14_S18_S1A_T6_T7_T9_mT8_S1C_bDpT10_ENKUlT_T0_E_clISt17integral_constantIbLb0EES1P_EEDaS1K_S1L_EUlS1K_E_NS1_11comp_targetILNS1_3genE4ELNS1_11target_archE910ELNS1_3gpuE8ELNS1_3repE0EEENS1_30default_config_static_selectorELNS0_4arch9wavefront6targetE0EEEvSY_.has_dyn_sized_stack, 0
	.set _ZN7rocprim17ROCPRIM_400000_NS6detail17trampoline_kernelINS0_13select_configILj256ELj13ELNS0_17block_load_methodE3ELS4_3ELS4_3ELNS0_20block_scan_algorithmE0ELj4294967295EEENS1_25partition_config_selectorILNS1_17partition_subalgoE3EjNS0_10empty_typeEbEEZZNS1_14partition_implILS8_3ELb0ES6_jNS0_17counting_iteratorIjlEEPS9_SE_NS0_5tupleIJPjSE_EEENSF_IJSE_SE_EEES9_SG_JZNS1_25segmented_radix_sort_implINS0_14default_configELb0EPKfPfPKlPlN2at6native12_GLOBAL__N_18offset_tEEE10hipError_tPvRmT1_PNSt15iterator_traitsISY_E10value_typeET2_T3_PNSZ_IS14_E10value_typeET4_jRbjT5_S1A_jjP12ihipStream_tbEUljE_EEESV_SW_SX_S14_S18_S1A_T6_T7_T9_mT8_S1C_bDpT10_ENKUlT_T0_E_clISt17integral_constantIbLb0EES1P_EEDaS1K_S1L_EUlS1K_E_NS1_11comp_targetILNS1_3genE4ELNS1_11target_archE910ELNS1_3gpuE8ELNS1_3repE0EEENS1_30default_config_static_selectorELNS0_4arch9wavefront6targetE0EEEvSY_.has_recursion, 0
	.set _ZN7rocprim17ROCPRIM_400000_NS6detail17trampoline_kernelINS0_13select_configILj256ELj13ELNS0_17block_load_methodE3ELS4_3ELS4_3ELNS0_20block_scan_algorithmE0ELj4294967295EEENS1_25partition_config_selectorILNS1_17partition_subalgoE3EjNS0_10empty_typeEbEEZZNS1_14partition_implILS8_3ELb0ES6_jNS0_17counting_iteratorIjlEEPS9_SE_NS0_5tupleIJPjSE_EEENSF_IJSE_SE_EEES9_SG_JZNS1_25segmented_radix_sort_implINS0_14default_configELb0EPKfPfPKlPlN2at6native12_GLOBAL__N_18offset_tEEE10hipError_tPvRmT1_PNSt15iterator_traitsISY_E10value_typeET2_T3_PNSZ_IS14_E10value_typeET4_jRbjT5_S1A_jjP12ihipStream_tbEUljE_EEESV_SW_SX_S14_S18_S1A_T6_T7_T9_mT8_S1C_bDpT10_ENKUlT_T0_E_clISt17integral_constantIbLb0EES1P_EEDaS1K_S1L_EUlS1K_E_NS1_11comp_targetILNS1_3genE4ELNS1_11target_archE910ELNS1_3gpuE8ELNS1_3repE0EEENS1_30default_config_static_selectorELNS0_4arch9wavefront6targetE0EEEvSY_.has_indirect_call, 0
	.section	.AMDGPU.csdata,"",@progbits
; Kernel info:
; codeLenInByte = 0
; TotalNumSgprs: 0
; NumVgprs: 0
; ScratchSize: 0
; MemoryBound: 0
; FloatMode: 240
; IeeeMode: 1
; LDSByteSize: 0 bytes/workgroup (compile time only)
; SGPRBlocks: 0
; VGPRBlocks: 0
; NumSGPRsForWavesPerEU: 1
; NumVGPRsForWavesPerEU: 1
; Occupancy: 16
; WaveLimiterHint : 0
; COMPUTE_PGM_RSRC2:SCRATCH_EN: 0
; COMPUTE_PGM_RSRC2:USER_SGPR: 2
; COMPUTE_PGM_RSRC2:TRAP_HANDLER: 0
; COMPUTE_PGM_RSRC2:TGID_X_EN: 1
; COMPUTE_PGM_RSRC2:TGID_Y_EN: 0
; COMPUTE_PGM_RSRC2:TGID_Z_EN: 0
; COMPUTE_PGM_RSRC2:TIDIG_COMP_CNT: 0
	.section	.text._ZN7rocprim17ROCPRIM_400000_NS6detail17trampoline_kernelINS0_13select_configILj256ELj13ELNS0_17block_load_methodE3ELS4_3ELS4_3ELNS0_20block_scan_algorithmE0ELj4294967295EEENS1_25partition_config_selectorILNS1_17partition_subalgoE3EjNS0_10empty_typeEbEEZZNS1_14partition_implILS8_3ELb0ES6_jNS0_17counting_iteratorIjlEEPS9_SE_NS0_5tupleIJPjSE_EEENSF_IJSE_SE_EEES9_SG_JZNS1_25segmented_radix_sort_implINS0_14default_configELb0EPKfPfPKlPlN2at6native12_GLOBAL__N_18offset_tEEE10hipError_tPvRmT1_PNSt15iterator_traitsISY_E10value_typeET2_T3_PNSZ_IS14_E10value_typeET4_jRbjT5_S1A_jjP12ihipStream_tbEUljE_EEESV_SW_SX_S14_S18_S1A_T6_T7_T9_mT8_S1C_bDpT10_ENKUlT_T0_E_clISt17integral_constantIbLb0EES1P_EEDaS1K_S1L_EUlS1K_E_NS1_11comp_targetILNS1_3genE3ELNS1_11target_archE908ELNS1_3gpuE7ELNS1_3repE0EEENS1_30default_config_static_selectorELNS0_4arch9wavefront6targetE0EEEvSY_,"axG",@progbits,_ZN7rocprim17ROCPRIM_400000_NS6detail17trampoline_kernelINS0_13select_configILj256ELj13ELNS0_17block_load_methodE3ELS4_3ELS4_3ELNS0_20block_scan_algorithmE0ELj4294967295EEENS1_25partition_config_selectorILNS1_17partition_subalgoE3EjNS0_10empty_typeEbEEZZNS1_14partition_implILS8_3ELb0ES6_jNS0_17counting_iteratorIjlEEPS9_SE_NS0_5tupleIJPjSE_EEENSF_IJSE_SE_EEES9_SG_JZNS1_25segmented_radix_sort_implINS0_14default_configELb0EPKfPfPKlPlN2at6native12_GLOBAL__N_18offset_tEEE10hipError_tPvRmT1_PNSt15iterator_traitsISY_E10value_typeET2_T3_PNSZ_IS14_E10value_typeET4_jRbjT5_S1A_jjP12ihipStream_tbEUljE_EEESV_SW_SX_S14_S18_S1A_T6_T7_T9_mT8_S1C_bDpT10_ENKUlT_T0_E_clISt17integral_constantIbLb0EES1P_EEDaS1K_S1L_EUlS1K_E_NS1_11comp_targetILNS1_3genE3ELNS1_11target_archE908ELNS1_3gpuE7ELNS1_3repE0EEENS1_30default_config_static_selectorELNS0_4arch9wavefront6targetE0EEEvSY_,comdat
	.globl	_ZN7rocprim17ROCPRIM_400000_NS6detail17trampoline_kernelINS0_13select_configILj256ELj13ELNS0_17block_load_methodE3ELS4_3ELS4_3ELNS0_20block_scan_algorithmE0ELj4294967295EEENS1_25partition_config_selectorILNS1_17partition_subalgoE3EjNS0_10empty_typeEbEEZZNS1_14partition_implILS8_3ELb0ES6_jNS0_17counting_iteratorIjlEEPS9_SE_NS0_5tupleIJPjSE_EEENSF_IJSE_SE_EEES9_SG_JZNS1_25segmented_radix_sort_implINS0_14default_configELb0EPKfPfPKlPlN2at6native12_GLOBAL__N_18offset_tEEE10hipError_tPvRmT1_PNSt15iterator_traitsISY_E10value_typeET2_T3_PNSZ_IS14_E10value_typeET4_jRbjT5_S1A_jjP12ihipStream_tbEUljE_EEESV_SW_SX_S14_S18_S1A_T6_T7_T9_mT8_S1C_bDpT10_ENKUlT_T0_E_clISt17integral_constantIbLb0EES1P_EEDaS1K_S1L_EUlS1K_E_NS1_11comp_targetILNS1_3genE3ELNS1_11target_archE908ELNS1_3gpuE7ELNS1_3repE0EEENS1_30default_config_static_selectorELNS0_4arch9wavefront6targetE0EEEvSY_ ; -- Begin function _ZN7rocprim17ROCPRIM_400000_NS6detail17trampoline_kernelINS0_13select_configILj256ELj13ELNS0_17block_load_methodE3ELS4_3ELS4_3ELNS0_20block_scan_algorithmE0ELj4294967295EEENS1_25partition_config_selectorILNS1_17partition_subalgoE3EjNS0_10empty_typeEbEEZZNS1_14partition_implILS8_3ELb0ES6_jNS0_17counting_iteratorIjlEEPS9_SE_NS0_5tupleIJPjSE_EEENSF_IJSE_SE_EEES9_SG_JZNS1_25segmented_radix_sort_implINS0_14default_configELb0EPKfPfPKlPlN2at6native12_GLOBAL__N_18offset_tEEE10hipError_tPvRmT1_PNSt15iterator_traitsISY_E10value_typeET2_T3_PNSZ_IS14_E10value_typeET4_jRbjT5_S1A_jjP12ihipStream_tbEUljE_EEESV_SW_SX_S14_S18_S1A_T6_T7_T9_mT8_S1C_bDpT10_ENKUlT_T0_E_clISt17integral_constantIbLb0EES1P_EEDaS1K_S1L_EUlS1K_E_NS1_11comp_targetILNS1_3genE3ELNS1_11target_archE908ELNS1_3gpuE7ELNS1_3repE0EEENS1_30default_config_static_selectorELNS0_4arch9wavefront6targetE0EEEvSY_
	.p2align	8
	.type	_ZN7rocprim17ROCPRIM_400000_NS6detail17trampoline_kernelINS0_13select_configILj256ELj13ELNS0_17block_load_methodE3ELS4_3ELS4_3ELNS0_20block_scan_algorithmE0ELj4294967295EEENS1_25partition_config_selectorILNS1_17partition_subalgoE3EjNS0_10empty_typeEbEEZZNS1_14partition_implILS8_3ELb0ES6_jNS0_17counting_iteratorIjlEEPS9_SE_NS0_5tupleIJPjSE_EEENSF_IJSE_SE_EEES9_SG_JZNS1_25segmented_radix_sort_implINS0_14default_configELb0EPKfPfPKlPlN2at6native12_GLOBAL__N_18offset_tEEE10hipError_tPvRmT1_PNSt15iterator_traitsISY_E10value_typeET2_T3_PNSZ_IS14_E10value_typeET4_jRbjT5_S1A_jjP12ihipStream_tbEUljE_EEESV_SW_SX_S14_S18_S1A_T6_T7_T9_mT8_S1C_bDpT10_ENKUlT_T0_E_clISt17integral_constantIbLb0EES1P_EEDaS1K_S1L_EUlS1K_E_NS1_11comp_targetILNS1_3genE3ELNS1_11target_archE908ELNS1_3gpuE7ELNS1_3repE0EEENS1_30default_config_static_selectorELNS0_4arch9wavefront6targetE0EEEvSY_,@function
_ZN7rocprim17ROCPRIM_400000_NS6detail17trampoline_kernelINS0_13select_configILj256ELj13ELNS0_17block_load_methodE3ELS4_3ELS4_3ELNS0_20block_scan_algorithmE0ELj4294967295EEENS1_25partition_config_selectorILNS1_17partition_subalgoE3EjNS0_10empty_typeEbEEZZNS1_14partition_implILS8_3ELb0ES6_jNS0_17counting_iteratorIjlEEPS9_SE_NS0_5tupleIJPjSE_EEENSF_IJSE_SE_EEES9_SG_JZNS1_25segmented_radix_sort_implINS0_14default_configELb0EPKfPfPKlPlN2at6native12_GLOBAL__N_18offset_tEEE10hipError_tPvRmT1_PNSt15iterator_traitsISY_E10value_typeET2_T3_PNSZ_IS14_E10value_typeET4_jRbjT5_S1A_jjP12ihipStream_tbEUljE_EEESV_SW_SX_S14_S18_S1A_T6_T7_T9_mT8_S1C_bDpT10_ENKUlT_T0_E_clISt17integral_constantIbLb0EES1P_EEDaS1K_S1L_EUlS1K_E_NS1_11comp_targetILNS1_3genE3ELNS1_11target_archE908ELNS1_3gpuE7ELNS1_3repE0EEENS1_30default_config_static_selectorELNS0_4arch9wavefront6targetE0EEEvSY_: ; @_ZN7rocprim17ROCPRIM_400000_NS6detail17trampoline_kernelINS0_13select_configILj256ELj13ELNS0_17block_load_methodE3ELS4_3ELS4_3ELNS0_20block_scan_algorithmE0ELj4294967295EEENS1_25partition_config_selectorILNS1_17partition_subalgoE3EjNS0_10empty_typeEbEEZZNS1_14partition_implILS8_3ELb0ES6_jNS0_17counting_iteratorIjlEEPS9_SE_NS0_5tupleIJPjSE_EEENSF_IJSE_SE_EEES9_SG_JZNS1_25segmented_radix_sort_implINS0_14default_configELb0EPKfPfPKlPlN2at6native12_GLOBAL__N_18offset_tEEE10hipError_tPvRmT1_PNSt15iterator_traitsISY_E10value_typeET2_T3_PNSZ_IS14_E10value_typeET4_jRbjT5_S1A_jjP12ihipStream_tbEUljE_EEESV_SW_SX_S14_S18_S1A_T6_T7_T9_mT8_S1C_bDpT10_ENKUlT_T0_E_clISt17integral_constantIbLb0EES1P_EEDaS1K_S1L_EUlS1K_E_NS1_11comp_targetILNS1_3genE3ELNS1_11target_archE908ELNS1_3gpuE7ELNS1_3repE0EEENS1_30default_config_static_selectorELNS0_4arch9wavefront6targetE0EEEvSY_
; %bb.0:
	.section	.rodata,"a",@progbits
	.p2align	6, 0x0
	.amdhsa_kernel _ZN7rocprim17ROCPRIM_400000_NS6detail17trampoline_kernelINS0_13select_configILj256ELj13ELNS0_17block_load_methodE3ELS4_3ELS4_3ELNS0_20block_scan_algorithmE0ELj4294967295EEENS1_25partition_config_selectorILNS1_17partition_subalgoE3EjNS0_10empty_typeEbEEZZNS1_14partition_implILS8_3ELb0ES6_jNS0_17counting_iteratorIjlEEPS9_SE_NS0_5tupleIJPjSE_EEENSF_IJSE_SE_EEES9_SG_JZNS1_25segmented_radix_sort_implINS0_14default_configELb0EPKfPfPKlPlN2at6native12_GLOBAL__N_18offset_tEEE10hipError_tPvRmT1_PNSt15iterator_traitsISY_E10value_typeET2_T3_PNSZ_IS14_E10value_typeET4_jRbjT5_S1A_jjP12ihipStream_tbEUljE_EEESV_SW_SX_S14_S18_S1A_T6_T7_T9_mT8_S1C_bDpT10_ENKUlT_T0_E_clISt17integral_constantIbLb0EES1P_EEDaS1K_S1L_EUlS1K_E_NS1_11comp_targetILNS1_3genE3ELNS1_11target_archE908ELNS1_3gpuE7ELNS1_3repE0EEENS1_30default_config_static_selectorELNS0_4arch9wavefront6targetE0EEEvSY_
		.amdhsa_group_segment_fixed_size 0
		.amdhsa_private_segment_fixed_size 0
		.amdhsa_kernarg_size 144
		.amdhsa_user_sgpr_count 2
		.amdhsa_user_sgpr_dispatch_ptr 0
		.amdhsa_user_sgpr_queue_ptr 0
		.amdhsa_user_sgpr_kernarg_segment_ptr 1
		.amdhsa_user_sgpr_dispatch_id 0
		.amdhsa_user_sgpr_private_segment_size 0
		.amdhsa_wavefront_size32 1
		.amdhsa_uses_dynamic_stack 0
		.amdhsa_enable_private_segment 0
		.amdhsa_system_sgpr_workgroup_id_x 1
		.amdhsa_system_sgpr_workgroup_id_y 0
		.amdhsa_system_sgpr_workgroup_id_z 0
		.amdhsa_system_sgpr_workgroup_info 0
		.amdhsa_system_vgpr_workitem_id 0
		.amdhsa_next_free_vgpr 1
		.amdhsa_next_free_sgpr 1
		.amdhsa_reserve_vcc 0
		.amdhsa_float_round_mode_32 0
		.amdhsa_float_round_mode_16_64 0
		.amdhsa_float_denorm_mode_32 3
		.amdhsa_float_denorm_mode_16_64 3
		.amdhsa_fp16_overflow 0
		.amdhsa_workgroup_processor_mode 1
		.amdhsa_memory_ordered 1
		.amdhsa_forward_progress 1
		.amdhsa_inst_pref_size 0
		.amdhsa_round_robin_scheduling 0
		.amdhsa_exception_fp_ieee_invalid_op 0
		.amdhsa_exception_fp_denorm_src 0
		.amdhsa_exception_fp_ieee_div_zero 0
		.amdhsa_exception_fp_ieee_overflow 0
		.amdhsa_exception_fp_ieee_underflow 0
		.amdhsa_exception_fp_ieee_inexact 0
		.amdhsa_exception_int_div_zero 0
	.end_amdhsa_kernel
	.section	.text._ZN7rocprim17ROCPRIM_400000_NS6detail17trampoline_kernelINS0_13select_configILj256ELj13ELNS0_17block_load_methodE3ELS4_3ELS4_3ELNS0_20block_scan_algorithmE0ELj4294967295EEENS1_25partition_config_selectorILNS1_17partition_subalgoE3EjNS0_10empty_typeEbEEZZNS1_14partition_implILS8_3ELb0ES6_jNS0_17counting_iteratorIjlEEPS9_SE_NS0_5tupleIJPjSE_EEENSF_IJSE_SE_EEES9_SG_JZNS1_25segmented_radix_sort_implINS0_14default_configELb0EPKfPfPKlPlN2at6native12_GLOBAL__N_18offset_tEEE10hipError_tPvRmT1_PNSt15iterator_traitsISY_E10value_typeET2_T3_PNSZ_IS14_E10value_typeET4_jRbjT5_S1A_jjP12ihipStream_tbEUljE_EEESV_SW_SX_S14_S18_S1A_T6_T7_T9_mT8_S1C_bDpT10_ENKUlT_T0_E_clISt17integral_constantIbLb0EES1P_EEDaS1K_S1L_EUlS1K_E_NS1_11comp_targetILNS1_3genE3ELNS1_11target_archE908ELNS1_3gpuE7ELNS1_3repE0EEENS1_30default_config_static_selectorELNS0_4arch9wavefront6targetE0EEEvSY_,"axG",@progbits,_ZN7rocprim17ROCPRIM_400000_NS6detail17trampoline_kernelINS0_13select_configILj256ELj13ELNS0_17block_load_methodE3ELS4_3ELS4_3ELNS0_20block_scan_algorithmE0ELj4294967295EEENS1_25partition_config_selectorILNS1_17partition_subalgoE3EjNS0_10empty_typeEbEEZZNS1_14partition_implILS8_3ELb0ES6_jNS0_17counting_iteratorIjlEEPS9_SE_NS0_5tupleIJPjSE_EEENSF_IJSE_SE_EEES9_SG_JZNS1_25segmented_radix_sort_implINS0_14default_configELb0EPKfPfPKlPlN2at6native12_GLOBAL__N_18offset_tEEE10hipError_tPvRmT1_PNSt15iterator_traitsISY_E10value_typeET2_T3_PNSZ_IS14_E10value_typeET4_jRbjT5_S1A_jjP12ihipStream_tbEUljE_EEESV_SW_SX_S14_S18_S1A_T6_T7_T9_mT8_S1C_bDpT10_ENKUlT_T0_E_clISt17integral_constantIbLb0EES1P_EEDaS1K_S1L_EUlS1K_E_NS1_11comp_targetILNS1_3genE3ELNS1_11target_archE908ELNS1_3gpuE7ELNS1_3repE0EEENS1_30default_config_static_selectorELNS0_4arch9wavefront6targetE0EEEvSY_,comdat
.Lfunc_end1399:
	.size	_ZN7rocprim17ROCPRIM_400000_NS6detail17trampoline_kernelINS0_13select_configILj256ELj13ELNS0_17block_load_methodE3ELS4_3ELS4_3ELNS0_20block_scan_algorithmE0ELj4294967295EEENS1_25partition_config_selectorILNS1_17partition_subalgoE3EjNS0_10empty_typeEbEEZZNS1_14partition_implILS8_3ELb0ES6_jNS0_17counting_iteratorIjlEEPS9_SE_NS0_5tupleIJPjSE_EEENSF_IJSE_SE_EEES9_SG_JZNS1_25segmented_radix_sort_implINS0_14default_configELb0EPKfPfPKlPlN2at6native12_GLOBAL__N_18offset_tEEE10hipError_tPvRmT1_PNSt15iterator_traitsISY_E10value_typeET2_T3_PNSZ_IS14_E10value_typeET4_jRbjT5_S1A_jjP12ihipStream_tbEUljE_EEESV_SW_SX_S14_S18_S1A_T6_T7_T9_mT8_S1C_bDpT10_ENKUlT_T0_E_clISt17integral_constantIbLb0EES1P_EEDaS1K_S1L_EUlS1K_E_NS1_11comp_targetILNS1_3genE3ELNS1_11target_archE908ELNS1_3gpuE7ELNS1_3repE0EEENS1_30default_config_static_selectorELNS0_4arch9wavefront6targetE0EEEvSY_, .Lfunc_end1399-_ZN7rocprim17ROCPRIM_400000_NS6detail17trampoline_kernelINS0_13select_configILj256ELj13ELNS0_17block_load_methodE3ELS4_3ELS4_3ELNS0_20block_scan_algorithmE0ELj4294967295EEENS1_25partition_config_selectorILNS1_17partition_subalgoE3EjNS0_10empty_typeEbEEZZNS1_14partition_implILS8_3ELb0ES6_jNS0_17counting_iteratorIjlEEPS9_SE_NS0_5tupleIJPjSE_EEENSF_IJSE_SE_EEES9_SG_JZNS1_25segmented_radix_sort_implINS0_14default_configELb0EPKfPfPKlPlN2at6native12_GLOBAL__N_18offset_tEEE10hipError_tPvRmT1_PNSt15iterator_traitsISY_E10value_typeET2_T3_PNSZ_IS14_E10value_typeET4_jRbjT5_S1A_jjP12ihipStream_tbEUljE_EEESV_SW_SX_S14_S18_S1A_T6_T7_T9_mT8_S1C_bDpT10_ENKUlT_T0_E_clISt17integral_constantIbLb0EES1P_EEDaS1K_S1L_EUlS1K_E_NS1_11comp_targetILNS1_3genE3ELNS1_11target_archE908ELNS1_3gpuE7ELNS1_3repE0EEENS1_30default_config_static_selectorELNS0_4arch9wavefront6targetE0EEEvSY_
                                        ; -- End function
	.set _ZN7rocprim17ROCPRIM_400000_NS6detail17trampoline_kernelINS0_13select_configILj256ELj13ELNS0_17block_load_methodE3ELS4_3ELS4_3ELNS0_20block_scan_algorithmE0ELj4294967295EEENS1_25partition_config_selectorILNS1_17partition_subalgoE3EjNS0_10empty_typeEbEEZZNS1_14partition_implILS8_3ELb0ES6_jNS0_17counting_iteratorIjlEEPS9_SE_NS0_5tupleIJPjSE_EEENSF_IJSE_SE_EEES9_SG_JZNS1_25segmented_radix_sort_implINS0_14default_configELb0EPKfPfPKlPlN2at6native12_GLOBAL__N_18offset_tEEE10hipError_tPvRmT1_PNSt15iterator_traitsISY_E10value_typeET2_T3_PNSZ_IS14_E10value_typeET4_jRbjT5_S1A_jjP12ihipStream_tbEUljE_EEESV_SW_SX_S14_S18_S1A_T6_T7_T9_mT8_S1C_bDpT10_ENKUlT_T0_E_clISt17integral_constantIbLb0EES1P_EEDaS1K_S1L_EUlS1K_E_NS1_11comp_targetILNS1_3genE3ELNS1_11target_archE908ELNS1_3gpuE7ELNS1_3repE0EEENS1_30default_config_static_selectorELNS0_4arch9wavefront6targetE0EEEvSY_.num_vgpr, 0
	.set _ZN7rocprim17ROCPRIM_400000_NS6detail17trampoline_kernelINS0_13select_configILj256ELj13ELNS0_17block_load_methodE3ELS4_3ELS4_3ELNS0_20block_scan_algorithmE0ELj4294967295EEENS1_25partition_config_selectorILNS1_17partition_subalgoE3EjNS0_10empty_typeEbEEZZNS1_14partition_implILS8_3ELb0ES6_jNS0_17counting_iteratorIjlEEPS9_SE_NS0_5tupleIJPjSE_EEENSF_IJSE_SE_EEES9_SG_JZNS1_25segmented_radix_sort_implINS0_14default_configELb0EPKfPfPKlPlN2at6native12_GLOBAL__N_18offset_tEEE10hipError_tPvRmT1_PNSt15iterator_traitsISY_E10value_typeET2_T3_PNSZ_IS14_E10value_typeET4_jRbjT5_S1A_jjP12ihipStream_tbEUljE_EEESV_SW_SX_S14_S18_S1A_T6_T7_T9_mT8_S1C_bDpT10_ENKUlT_T0_E_clISt17integral_constantIbLb0EES1P_EEDaS1K_S1L_EUlS1K_E_NS1_11comp_targetILNS1_3genE3ELNS1_11target_archE908ELNS1_3gpuE7ELNS1_3repE0EEENS1_30default_config_static_selectorELNS0_4arch9wavefront6targetE0EEEvSY_.num_agpr, 0
	.set _ZN7rocprim17ROCPRIM_400000_NS6detail17trampoline_kernelINS0_13select_configILj256ELj13ELNS0_17block_load_methodE3ELS4_3ELS4_3ELNS0_20block_scan_algorithmE0ELj4294967295EEENS1_25partition_config_selectorILNS1_17partition_subalgoE3EjNS0_10empty_typeEbEEZZNS1_14partition_implILS8_3ELb0ES6_jNS0_17counting_iteratorIjlEEPS9_SE_NS0_5tupleIJPjSE_EEENSF_IJSE_SE_EEES9_SG_JZNS1_25segmented_radix_sort_implINS0_14default_configELb0EPKfPfPKlPlN2at6native12_GLOBAL__N_18offset_tEEE10hipError_tPvRmT1_PNSt15iterator_traitsISY_E10value_typeET2_T3_PNSZ_IS14_E10value_typeET4_jRbjT5_S1A_jjP12ihipStream_tbEUljE_EEESV_SW_SX_S14_S18_S1A_T6_T7_T9_mT8_S1C_bDpT10_ENKUlT_T0_E_clISt17integral_constantIbLb0EES1P_EEDaS1K_S1L_EUlS1K_E_NS1_11comp_targetILNS1_3genE3ELNS1_11target_archE908ELNS1_3gpuE7ELNS1_3repE0EEENS1_30default_config_static_selectorELNS0_4arch9wavefront6targetE0EEEvSY_.numbered_sgpr, 0
	.set _ZN7rocprim17ROCPRIM_400000_NS6detail17trampoline_kernelINS0_13select_configILj256ELj13ELNS0_17block_load_methodE3ELS4_3ELS4_3ELNS0_20block_scan_algorithmE0ELj4294967295EEENS1_25partition_config_selectorILNS1_17partition_subalgoE3EjNS0_10empty_typeEbEEZZNS1_14partition_implILS8_3ELb0ES6_jNS0_17counting_iteratorIjlEEPS9_SE_NS0_5tupleIJPjSE_EEENSF_IJSE_SE_EEES9_SG_JZNS1_25segmented_radix_sort_implINS0_14default_configELb0EPKfPfPKlPlN2at6native12_GLOBAL__N_18offset_tEEE10hipError_tPvRmT1_PNSt15iterator_traitsISY_E10value_typeET2_T3_PNSZ_IS14_E10value_typeET4_jRbjT5_S1A_jjP12ihipStream_tbEUljE_EEESV_SW_SX_S14_S18_S1A_T6_T7_T9_mT8_S1C_bDpT10_ENKUlT_T0_E_clISt17integral_constantIbLb0EES1P_EEDaS1K_S1L_EUlS1K_E_NS1_11comp_targetILNS1_3genE3ELNS1_11target_archE908ELNS1_3gpuE7ELNS1_3repE0EEENS1_30default_config_static_selectorELNS0_4arch9wavefront6targetE0EEEvSY_.num_named_barrier, 0
	.set _ZN7rocprim17ROCPRIM_400000_NS6detail17trampoline_kernelINS0_13select_configILj256ELj13ELNS0_17block_load_methodE3ELS4_3ELS4_3ELNS0_20block_scan_algorithmE0ELj4294967295EEENS1_25partition_config_selectorILNS1_17partition_subalgoE3EjNS0_10empty_typeEbEEZZNS1_14partition_implILS8_3ELb0ES6_jNS0_17counting_iteratorIjlEEPS9_SE_NS0_5tupleIJPjSE_EEENSF_IJSE_SE_EEES9_SG_JZNS1_25segmented_radix_sort_implINS0_14default_configELb0EPKfPfPKlPlN2at6native12_GLOBAL__N_18offset_tEEE10hipError_tPvRmT1_PNSt15iterator_traitsISY_E10value_typeET2_T3_PNSZ_IS14_E10value_typeET4_jRbjT5_S1A_jjP12ihipStream_tbEUljE_EEESV_SW_SX_S14_S18_S1A_T6_T7_T9_mT8_S1C_bDpT10_ENKUlT_T0_E_clISt17integral_constantIbLb0EES1P_EEDaS1K_S1L_EUlS1K_E_NS1_11comp_targetILNS1_3genE3ELNS1_11target_archE908ELNS1_3gpuE7ELNS1_3repE0EEENS1_30default_config_static_selectorELNS0_4arch9wavefront6targetE0EEEvSY_.private_seg_size, 0
	.set _ZN7rocprim17ROCPRIM_400000_NS6detail17trampoline_kernelINS0_13select_configILj256ELj13ELNS0_17block_load_methodE3ELS4_3ELS4_3ELNS0_20block_scan_algorithmE0ELj4294967295EEENS1_25partition_config_selectorILNS1_17partition_subalgoE3EjNS0_10empty_typeEbEEZZNS1_14partition_implILS8_3ELb0ES6_jNS0_17counting_iteratorIjlEEPS9_SE_NS0_5tupleIJPjSE_EEENSF_IJSE_SE_EEES9_SG_JZNS1_25segmented_radix_sort_implINS0_14default_configELb0EPKfPfPKlPlN2at6native12_GLOBAL__N_18offset_tEEE10hipError_tPvRmT1_PNSt15iterator_traitsISY_E10value_typeET2_T3_PNSZ_IS14_E10value_typeET4_jRbjT5_S1A_jjP12ihipStream_tbEUljE_EEESV_SW_SX_S14_S18_S1A_T6_T7_T9_mT8_S1C_bDpT10_ENKUlT_T0_E_clISt17integral_constantIbLb0EES1P_EEDaS1K_S1L_EUlS1K_E_NS1_11comp_targetILNS1_3genE3ELNS1_11target_archE908ELNS1_3gpuE7ELNS1_3repE0EEENS1_30default_config_static_selectorELNS0_4arch9wavefront6targetE0EEEvSY_.uses_vcc, 0
	.set _ZN7rocprim17ROCPRIM_400000_NS6detail17trampoline_kernelINS0_13select_configILj256ELj13ELNS0_17block_load_methodE3ELS4_3ELS4_3ELNS0_20block_scan_algorithmE0ELj4294967295EEENS1_25partition_config_selectorILNS1_17partition_subalgoE3EjNS0_10empty_typeEbEEZZNS1_14partition_implILS8_3ELb0ES6_jNS0_17counting_iteratorIjlEEPS9_SE_NS0_5tupleIJPjSE_EEENSF_IJSE_SE_EEES9_SG_JZNS1_25segmented_radix_sort_implINS0_14default_configELb0EPKfPfPKlPlN2at6native12_GLOBAL__N_18offset_tEEE10hipError_tPvRmT1_PNSt15iterator_traitsISY_E10value_typeET2_T3_PNSZ_IS14_E10value_typeET4_jRbjT5_S1A_jjP12ihipStream_tbEUljE_EEESV_SW_SX_S14_S18_S1A_T6_T7_T9_mT8_S1C_bDpT10_ENKUlT_T0_E_clISt17integral_constantIbLb0EES1P_EEDaS1K_S1L_EUlS1K_E_NS1_11comp_targetILNS1_3genE3ELNS1_11target_archE908ELNS1_3gpuE7ELNS1_3repE0EEENS1_30default_config_static_selectorELNS0_4arch9wavefront6targetE0EEEvSY_.uses_flat_scratch, 0
	.set _ZN7rocprim17ROCPRIM_400000_NS6detail17trampoline_kernelINS0_13select_configILj256ELj13ELNS0_17block_load_methodE3ELS4_3ELS4_3ELNS0_20block_scan_algorithmE0ELj4294967295EEENS1_25partition_config_selectorILNS1_17partition_subalgoE3EjNS0_10empty_typeEbEEZZNS1_14partition_implILS8_3ELb0ES6_jNS0_17counting_iteratorIjlEEPS9_SE_NS0_5tupleIJPjSE_EEENSF_IJSE_SE_EEES9_SG_JZNS1_25segmented_radix_sort_implINS0_14default_configELb0EPKfPfPKlPlN2at6native12_GLOBAL__N_18offset_tEEE10hipError_tPvRmT1_PNSt15iterator_traitsISY_E10value_typeET2_T3_PNSZ_IS14_E10value_typeET4_jRbjT5_S1A_jjP12ihipStream_tbEUljE_EEESV_SW_SX_S14_S18_S1A_T6_T7_T9_mT8_S1C_bDpT10_ENKUlT_T0_E_clISt17integral_constantIbLb0EES1P_EEDaS1K_S1L_EUlS1K_E_NS1_11comp_targetILNS1_3genE3ELNS1_11target_archE908ELNS1_3gpuE7ELNS1_3repE0EEENS1_30default_config_static_selectorELNS0_4arch9wavefront6targetE0EEEvSY_.has_dyn_sized_stack, 0
	.set _ZN7rocprim17ROCPRIM_400000_NS6detail17trampoline_kernelINS0_13select_configILj256ELj13ELNS0_17block_load_methodE3ELS4_3ELS4_3ELNS0_20block_scan_algorithmE0ELj4294967295EEENS1_25partition_config_selectorILNS1_17partition_subalgoE3EjNS0_10empty_typeEbEEZZNS1_14partition_implILS8_3ELb0ES6_jNS0_17counting_iteratorIjlEEPS9_SE_NS0_5tupleIJPjSE_EEENSF_IJSE_SE_EEES9_SG_JZNS1_25segmented_radix_sort_implINS0_14default_configELb0EPKfPfPKlPlN2at6native12_GLOBAL__N_18offset_tEEE10hipError_tPvRmT1_PNSt15iterator_traitsISY_E10value_typeET2_T3_PNSZ_IS14_E10value_typeET4_jRbjT5_S1A_jjP12ihipStream_tbEUljE_EEESV_SW_SX_S14_S18_S1A_T6_T7_T9_mT8_S1C_bDpT10_ENKUlT_T0_E_clISt17integral_constantIbLb0EES1P_EEDaS1K_S1L_EUlS1K_E_NS1_11comp_targetILNS1_3genE3ELNS1_11target_archE908ELNS1_3gpuE7ELNS1_3repE0EEENS1_30default_config_static_selectorELNS0_4arch9wavefront6targetE0EEEvSY_.has_recursion, 0
	.set _ZN7rocprim17ROCPRIM_400000_NS6detail17trampoline_kernelINS0_13select_configILj256ELj13ELNS0_17block_load_methodE3ELS4_3ELS4_3ELNS0_20block_scan_algorithmE0ELj4294967295EEENS1_25partition_config_selectorILNS1_17partition_subalgoE3EjNS0_10empty_typeEbEEZZNS1_14partition_implILS8_3ELb0ES6_jNS0_17counting_iteratorIjlEEPS9_SE_NS0_5tupleIJPjSE_EEENSF_IJSE_SE_EEES9_SG_JZNS1_25segmented_radix_sort_implINS0_14default_configELb0EPKfPfPKlPlN2at6native12_GLOBAL__N_18offset_tEEE10hipError_tPvRmT1_PNSt15iterator_traitsISY_E10value_typeET2_T3_PNSZ_IS14_E10value_typeET4_jRbjT5_S1A_jjP12ihipStream_tbEUljE_EEESV_SW_SX_S14_S18_S1A_T6_T7_T9_mT8_S1C_bDpT10_ENKUlT_T0_E_clISt17integral_constantIbLb0EES1P_EEDaS1K_S1L_EUlS1K_E_NS1_11comp_targetILNS1_3genE3ELNS1_11target_archE908ELNS1_3gpuE7ELNS1_3repE0EEENS1_30default_config_static_selectorELNS0_4arch9wavefront6targetE0EEEvSY_.has_indirect_call, 0
	.section	.AMDGPU.csdata,"",@progbits
; Kernel info:
; codeLenInByte = 0
; TotalNumSgprs: 0
; NumVgprs: 0
; ScratchSize: 0
; MemoryBound: 0
; FloatMode: 240
; IeeeMode: 1
; LDSByteSize: 0 bytes/workgroup (compile time only)
; SGPRBlocks: 0
; VGPRBlocks: 0
; NumSGPRsForWavesPerEU: 1
; NumVGPRsForWavesPerEU: 1
; Occupancy: 16
; WaveLimiterHint : 0
; COMPUTE_PGM_RSRC2:SCRATCH_EN: 0
; COMPUTE_PGM_RSRC2:USER_SGPR: 2
; COMPUTE_PGM_RSRC2:TRAP_HANDLER: 0
; COMPUTE_PGM_RSRC2:TGID_X_EN: 1
; COMPUTE_PGM_RSRC2:TGID_Y_EN: 0
; COMPUTE_PGM_RSRC2:TGID_Z_EN: 0
; COMPUTE_PGM_RSRC2:TIDIG_COMP_CNT: 0
	.section	.text._ZN7rocprim17ROCPRIM_400000_NS6detail17trampoline_kernelINS0_13select_configILj256ELj13ELNS0_17block_load_methodE3ELS4_3ELS4_3ELNS0_20block_scan_algorithmE0ELj4294967295EEENS1_25partition_config_selectorILNS1_17partition_subalgoE3EjNS0_10empty_typeEbEEZZNS1_14partition_implILS8_3ELb0ES6_jNS0_17counting_iteratorIjlEEPS9_SE_NS0_5tupleIJPjSE_EEENSF_IJSE_SE_EEES9_SG_JZNS1_25segmented_radix_sort_implINS0_14default_configELb0EPKfPfPKlPlN2at6native12_GLOBAL__N_18offset_tEEE10hipError_tPvRmT1_PNSt15iterator_traitsISY_E10value_typeET2_T3_PNSZ_IS14_E10value_typeET4_jRbjT5_S1A_jjP12ihipStream_tbEUljE_EEESV_SW_SX_S14_S18_S1A_T6_T7_T9_mT8_S1C_bDpT10_ENKUlT_T0_E_clISt17integral_constantIbLb0EES1P_EEDaS1K_S1L_EUlS1K_E_NS1_11comp_targetILNS1_3genE2ELNS1_11target_archE906ELNS1_3gpuE6ELNS1_3repE0EEENS1_30default_config_static_selectorELNS0_4arch9wavefront6targetE0EEEvSY_,"axG",@progbits,_ZN7rocprim17ROCPRIM_400000_NS6detail17trampoline_kernelINS0_13select_configILj256ELj13ELNS0_17block_load_methodE3ELS4_3ELS4_3ELNS0_20block_scan_algorithmE0ELj4294967295EEENS1_25partition_config_selectorILNS1_17partition_subalgoE3EjNS0_10empty_typeEbEEZZNS1_14partition_implILS8_3ELb0ES6_jNS0_17counting_iteratorIjlEEPS9_SE_NS0_5tupleIJPjSE_EEENSF_IJSE_SE_EEES9_SG_JZNS1_25segmented_radix_sort_implINS0_14default_configELb0EPKfPfPKlPlN2at6native12_GLOBAL__N_18offset_tEEE10hipError_tPvRmT1_PNSt15iterator_traitsISY_E10value_typeET2_T3_PNSZ_IS14_E10value_typeET4_jRbjT5_S1A_jjP12ihipStream_tbEUljE_EEESV_SW_SX_S14_S18_S1A_T6_T7_T9_mT8_S1C_bDpT10_ENKUlT_T0_E_clISt17integral_constantIbLb0EES1P_EEDaS1K_S1L_EUlS1K_E_NS1_11comp_targetILNS1_3genE2ELNS1_11target_archE906ELNS1_3gpuE6ELNS1_3repE0EEENS1_30default_config_static_selectorELNS0_4arch9wavefront6targetE0EEEvSY_,comdat
	.globl	_ZN7rocprim17ROCPRIM_400000_NS6detail17trampoline_kernelINS0_13select_configILj256ELj13ELNS0_17block_load_methodE3ELS4_3ELS4_3ELNS0_20block_scan_algorithmE0ELj4294967295EEENS1_25partition_config_selectorILNS1_17partition_subalgoE3EjNS0_10empty_typeEbEEZZNS1_14partition_implILS8_3ELb0ES6_jNS0_17counting_iteratorIjlEEPS9_SE_NS0_5tupleIJPjSE_EEENSF_IJSE_SE_EEES9_SG_JZNS1_25segmented_radix_sort_implINS0_14default_configELb0EPKfPfPKlPlN2at6native12_GLOBAL__N_18offset_tEEE10hipError_tPvRmT1_PNSt15iterator_traitsISY_E10value_typeET2_T3_PNSZ_IS14_E10value_typeET4_jRbjT5_S1A_jjP12ihipStream_tbEUljE_EEESV_SW_SX_S14_S18_S1A_T6_T7_T9_mT8_S1C_bDpT10_ENKUlT_T0_E_clISt17integral_constantIbLb0EES1P_EEDaS1K_S1L_EUlS1K_E_NS1_11comp_targetILNS1_3genE2ELNS1_11target_archE906ELNS1_3gpuE6ELNS1_3repE0EEENS1_30default_config_static_selectorELNS0_4arch9wavefront6targetE0EEEvSY_ ; -- Begin function _ZN7rocprim17ROCPRIM_400000_NS6detail17trampoline_kernelINS0_13select_configILj256ELj13ELNS0_17block_load_methodE3ELS4_3ELS4_3ELNS0_20block_scan_algorithmE0ELj4294967295EEENS1_25partition_config_selectorILNS1_17partition_subalgoE3EjNS0_10empty_typeEbEEZZNS1_14partition_implILS8_3ELb0ES6_jNS0_17counting_iteratorIjlEEPS9_SE_NS0_5tupleIJPjSE_EEENSF_IJSE_SE_EEES9_SG_JZNS1_25segmented_radix_sort_implINS0_14default_configELb0EPKfPfPKlPlN2at6native12_GLOBAL__N_18offset_tEEE10hipError_tPvRmT1_PNSt15iterator_traitsISY_E10value_typeET2_T3_PNSZ_IS14_E10value_typeET4_jRbjT5_S1A_jjP12ihipStream_tbEUljE_EEESV_SW_SX_S14_S18_S1A_T6_T7_T9_mT8_S1C_bDpT10_ENKUlT_T0_E_clISt17integral_constantIbLb0EES1P_EEDaS1K_S1L_EUlS1K_E_NS1_11comp_targetILNS1_3genE2ELNS1_11target_archE906ELNS1_3gpuE6ELNS1_3repE0EEENS1_30default_config_static_selectorELNS0_4arch9wavefront6targetE0EEEvSY_
	.p2align	8
	.type	_ZN7rocprim17ROCPRIM_400000_NS6detail17trampoline_kernelINS0_13select_configILj256ELj13ELNS0_17block_load_methodE3ELS4_3ELS4_3ELNS0_20block_scan_algorithmE0ELj4294967295EEENS1_25partition_config_selectorILNS1_17partition_subalgoE3EjNS0_10empty_typeEbEEZZNS1_14partition_implILS8_3ELb0ES6_jNS0_17counting_iteratorIjlEEPS9_SE_NS0_5tupleIJPjSE_EEENSF_IJSE_SE_EEES9_SG_JZNS1_25segmented_radix_sort_implINS0_14default_configELb0EPKfPfPKlPlN2at6native12_GLOBAL__N_18offset_tEEE10hipError_tPvRmT1_PNSt15iterator_traitsISY_E10value_typeET2_T3_PNSZ_IS14_E10value_typeET4_jRbjT5_S1A_jjP12ihipStream_tbEUljE_EEESV_SW_SX_S14_S18_S1A_T6_T7_T9_mT8_S1C_bDpT10_ENKUlT_T0_E_clISt17integral_constantIbLb0EES1P_EEDaS1K_S1L_EUlS1K_E_NS1_11comp_targetILNS1_3genE2ELNS1_11target_archE906ELNS1_3gpuE6ELNS1_3repE0EEENS1_30default_config_static_selectorELNS0_4arch9wavefront6targetE0EEEvSY_,@function
_ZN7rocprim17ROCPRIM_400000_NS6detail17trampoline_kernelINS0_13select_configILj256ELj13ELNS0_17block_load_methodE3ELS4_3ELS4_3ELNS0_20block_scan_algorithmE0ELj4294967295EEENS1_25partition_config_selectorILNS1_17partition_subalgoE3EjNS0_10empty_typeEbEEZZNS1_14partition_implILS8_3ELb0ES6_jNS0_17counting_iteratorIjlEEPS9_SE_NS0_5tupleIJPjSE_EEENSF_IJSE_SE_EEES9_SG_JZNS1_25segmented_radix_sort_implINS0_14default_configELb0EPKfPfPKlPlN2at6native12_GLOBAL__N_18offset_tEEE10hipError_tPvRmT1_PNSt15iterator_traitsISY_E10value_typeET2_T3_PNSZ_IS14_E10value_typeET4_jRbjT5_S1A_jjP12ihipStream_tbEUljE_EEESV_SW_SX_S14_S18_S1A_T6_T7_T9_mT8_S1C_bDpT10_ENKUlT_T0_E_clISt17integral_constantIbLb0EES1P_EEDaS1K_S1L_EUlS1K_E_NS1_11comp_targetILNS1_3genE2ELNS1_11target_archE906ELNS1_3gpuE6ELNS1_3repE0EEENS1_30default_config_static_selectorELNS0_4arch9wavefront6targetE0EEEvSY_: ; @_ZN7rocprim17ROCPRIM_400000_NS6detail17trampoline_kernelINS0_13select_configILj256ELj13ELNS0_17block_load_methodE3ELS4_3ELS4_3ELNS0_20block_scan_algorithmE0ELj4294967295EEENS1_25partition_config_selectorILNS1_17partition_subalgoE3EjNS0_10empty_typeEbEEZZNS1_14partition_implILS8_3ELb0ES6_jNS0_17counting_iteratorIjlEEPS9_SE_NS0_5tupleIJPjSE_EEENSF_IJSE_SE_EEES9_SG_JZNS1_25segmented_radix_sort_implINS0_14default_configELb0EPKfPfPKlPlN2at6native12_GLOBAL__N_18offset_tEEE10hipError_tPvRmT1_PNSt15iterator_traitsISY_E10value_typeET2_T3_PNSZ_IS14_E10value_typeET4_jRbjT5_S1A_jjP12ihipStream_tbEUljE_EEESV_SW_SX_S14_S18_S1A_T6_T7_T9_mT8_S1C_bDpT10_ENKUlT_T0_E_clISt17integral_constantIbLb0EES1P_EEDaS1K_S1L_EUlS1K_E_NS1_11comp_targetILNS1_3genE2ELNS1_11target_archE906ELNS1_3gpuE6ELNS1_3repE0EEENS1_30default_config_static_selectorELNS0_4arch9wavefront6targetE0EEEvSY_
; %bb.0:
	.section	.rodata,"a",@progbits
	.p2align	6, 0x0
	.amdhsa_kernel _ZN7rocprim17ROCPRIM_400000_NS6detail17trampoline_kernelINS0_13select_configILj256ELj13ELNS0_17block_load_methodE3ELS4_3ELS4_3ELNS0_20block_scan_algorithmE0ELj4294967295EEENS1_25partition_config_selectorILNS1_17partition_subalgoE3EjNS0_10empty_typeEbEEZZNS1_14partition_implILS8_3ELb0ES6_jNS0_17counting_iteratorIjlEEPS9_SE_NS0_5tupleIJPjSE_EEENSF_IJSE_SE_EEES9_SG_JZNS1_25segmented_radix_sort_implINS0_14default_configELb0EPKfPfPKlPlN2at6native12_GLOBAL__N_18offset_tEEE10hipError_tPvRmT1_PNSt15iterator_traitsISY_E10value_typeET2_T3_PNSZ_IS14_E10value_typeET4_jRbjT5_S1A_jjP12ihipStream_tbEUljE_EEESV_SW_SX_S14_S18_S1A_T6_T7_T9_mT8_S1C_bDpT10_ENKUlT_T0_E_clISt17integral_constantIbLb0EES1P_EEDaS1K_S1L_EUlS1K_E_NS1_11comp_targetILNS1_3genE2ELNS1_11target_archE906ELNS1_3gpuE6ELNS1_3repE0EEENS1_30default_config_static_selectorELNS0_4arch9wavefront6targetE0EEEvSY_
		.amdhsa_group_segment_fixed_size 0
		.amdhsa_private_segment_fixed_size 0
		.amdhsa_kernarg_size 144
		.amdhsa_user_sgpr_count 2
		.amdhsa_user_sgpr_dispatch_ptr 0
		.amdhsa_user_sgpr_queue_ptr 0
		.amdhsa_user_sgpr_kernarg_segment_ptr 1
		.amdhsa_user_sgpr_dispatch_id 0
		.amdhsa_user_sgpr_private_segment_size 0
		.amdhsa_wavefront_size32 1
		.amdhsa_uses_dynamic_stack 0
		.amdhsa_enable_private_segment 0
		.amdhsa_system_sgpr_workgroup_id_x 1
		.amdhsa_system_sgpr_workgroup_id_y 0
		.amdhsa_system_sgpr_workgroup_id_z 0
		.amdhsa_system_sgpr_workgroup_info 0
		.amdhsa_system_vgpr_workitem_id 0
		.amdhsa_next_free_vgpr 1
		.amdhsa_next_free_sgpr 1
		.amdhsa_reserve_vcc 0
		.amdhsa_float_round_mode_32 0
		.amdhsa_float_round_mode_16_64 0
		.amdhsa_float_denorm_mode_32 3
		.amdhsa_float_denorm_mode_16_64 3
		.amdhsa_fp16_overflow 0
		.amdhsa_workgroup_processor_mode 1
		.amdhsa_memory_ordered 1
		.amdhsa_forward_progress 1
		.amdhsa_inst_pref_size 0
		.amdhsa_round_robin_scheduling 0
		.amdhsa_exception_fp_ieee_invalid_op 0
		.amdhsa_exception_fp_denorm_src 0
		.amdhsa_exception_fp_ieee_div_zero 0
		.amdhsa_exception_fp_ieee_overflow 0
		.amdhsa_exception_fp_ieee_underflow 0
		.amdhsa_exception_fp_ieee_inexact 0
		.amdhsa_exception_int_div_zero 0
	.end_amdhsa_kernel
	.section	.text._ZN7rocprim17ROCPRIM_400000_NS6detail17trampoline_kernelINS0_13select_configILj256ELj13ELNS0_17block_load_methodE3ELS4_3ELS4_3ELNS0_20block_scan_algorithmE0ELj4294967295EEENS1_25partition_config_selectorILNS1_17partition_subalgoE3EjNS0_10empty_typeEbEEZZNS1_14partition_implILS8_3ELb0ES6_jNS0_17counting_iteratorIjlEEPS9_SE_NS0_5tupleIJPjSE_EEENSF_IJSE_SE_EEES9_SG_JZNS1_25segmented_radix_sort_implINS0_14default_configELb0EPKfPfPKlPlN2at6native12_GLOBAL__N_18offset_tEEE10hipError_tPvRmT1_PNSt15iterator_traitsISY_E10value_typeET2_T3_PNSZ_IS14_E10value_typeET4_jRbjT5_S1A_jjP12ihipStream_tbEUljE_EEESV_SW_SX_S14_S18_S1A_T6_T7_T9_mT8_S1C_bDpT10_ENKUlT_T0_E_clISt17integral_constantIbLb0EES1P_EEDaS1K_S1L_EUlS1K_E_NS1_11comp_targetILNS1_3genE2ELNS1_11target_archE906ELNS1_3gpuE6ELNS1_3repE0EEENS1_30default_config_static_selectorELNS0_4arch9wavefront6targetE0EEEvSY_,"axG",@progbits,_ZN7rocprim17ROCPRIM_400000_NS6detail17trampoline_kernelINS0_13select_configILj256ELj13ELNS0_17block_load_methodE3ELS4_3ELS4_3ELNS0_20block_scan_algorithmE0ELj4294967295EEENS1_25partition_config_selectorILNS1_17partition_subalgoE3EjNS0_10empty_typeEbEEZZNS1_14partition_implILS8_3ELb0ES6_jNS0_17counting_iteratorIjlEEPS9_SE_NS0_5tupleIJPjSE_EEENSF_IJSE_SE_EEES9_SG_JZNS1_25segmented_radix_sort_implINS0_14default_configELb0EPKfPfPKlPlN2at6native12_GLOBAL__N_18offset_tEEE10hipError_tPvRmT1_PNSt15iterator_traitsISY_E10value_typeET2_T3_PNSZ_IS14_E10value_typeET4_jRbjT5_S1A_jjP12ihipStream_tbEUljE_EEESV_SW_SX_S14_S18_S1A_T6_T7_T9_mT8_S1C_bDpT10_ENKUlT_T0_E_clISt17integral_constantIbLb0EES1P_EEDaS1K_S1L_EUlS1K_E_NS1_11comp_targetILNS1_3genE2ELNS1_11target_archE906ELNS1_3gpuE6ELNS1_3repE0EEENS1_30default_config_static_selectorELNS0_4arch9wavefront6targetE0EEEvSY_,comdat
.Lfunc_end1400:
	.size	_ZN7rocprim17ROCPRIM_400000_NS6detail17trampoline_kernelINS0_13select_configILj256ELj13ELNS0_17block_load_methodE3ELS4_3ELS4_3ELNS0_20block_scan_algorithmE0ELj4294967295EEENS1_25partition_config_selectorILNS1_17partition_subalgoE3EjNS0_10empty_typeEbEEZZNS1_14partition_implILS8_3ELb0ES6_jNS0_17counting_iteratorIjlEEPS9_SE_NS0_5tupleIJPjSE_EEENSF_IJSE_SE_EEES9_SG_JZNS1_25segmented_radix_sort_implINS0_14default_configELb0EPKfPfPKlPlN2at6native12_GLOBAL__N_18offset_tEEE10hipError_tPvRmT1_PNSt15iterator_traitsISY_E10value_typeET2_T3_PNSZ_IS14_E10value_typeET4_jRbjT5_S1A_jjP12ihipStream_tbEUljE_EEESV_SW_SX_S14_S18_S1A_T6_T7_T9_mT8_S1C_bDpT10_ENKUlT_T0_E_clISt17integral_constantIbLb0EES1P_EEDaS1K_S1L_EUlS1K_E_NS1_11comp_targetILNS1_3genE2ELNS1_11target_archE906ELNS1_3gpuE6ELNS1_3repE0EEENS1_30default_config_static_selectorELNS0_4arch9wavefront6targetE0EEEvSY_, .Lfunc_end1400-_ZN7rocprim17ROCPRIM_400000_NS6detail17trampoline_kernelINS0_13select_configILj256ELj13ELNS0_17block_load_methodE3ELS4_3ELS4_3ELNS0_20block_scan_algorithmE0ELj4294967295EEENS1_25partition_config_selectorILNS1_17partition_subalgoE3EjNS0_10empty_typeEbEEZZNS1_14partition_implILS8_3ELb0ES6_jNS0_17counting_iteratorIjlEEPS9_SE_NS0_5tupleIJPjSE_EEENSF_IJSE_SE_EEES9_SG_JZNS1_25segmented_radix_sort_implINS0_14default_configELb0EPKfPfPKlPlN2at6native12_GLOBAL__N_18offset_tEEE10hipError_tPvRmT1_PNSt15iterator_traitsISY_E10value_typeET2_T3_PNSZ_IS14_E10value_typeET4_jRbjT5_S1A_jjP12ihipStream_tbEUljE_EEESV_SW_SX_S14_S18_S1A_T6_T7_T9_mT8_S1C_bDpT10_ENKUlT_T0_E_clISt17integral_constantIbLb0EES1P_EEDaS1K_S1L_EUlS1K_E_NS1_11comp_targetILNS1_3genE2ELNS1_11target_archE906ELNS1_3gpuE6ELNS1_3repE0EEENS1_30default_config_static_selectorELNS0_4arch9wavefront6targetE0EEEvSY_
                                        ; -- End function
	.set _ZN7rocprim17ROCPRIM_400000_NS6detail17trampoline_kernelINS0_13select_configILj256ELj13ELNS0_17block_load_methodE3ELS4_3ELS4_3ELNS0_20block_scan_algorithmE0ELj4294967295EEENS1_25partition_config_selectorILNS1_17partition_subalgoE3EjNS0_10empty_typeEbEEZZNS1_14partition_implILS8_3ELb0ES6_jNS0_17counting_iteratorIjlEEPS9_SE_NS0_5tupleIJPjSE_EEENSF_IJSE_SE_EEES9_SG_JZNS1_25segmented_radix_sort_implINS0_14default_configELb0EPKfPfPKlPlN2at6native12_GLOBAL__N_18offset_tEEE10hipError_tPvRmT1_PNSt15iterator_traitsISY_E10value_typeET2_T3_PNSZ_IS14_E10value_typeET4_jRbjT5_S1A_jjP12ihipStream_tbEUljE_EEESV_SW_SX_S14_S18_S1A_T6_T7_T9_mT8_S1C_bDpT10_ENKUlT_T0_E_clISt17integral_constantIbLb0EES1P_EEDaS1K_S1L_EUlS1K_E_NS1_11comp_targetILNS1_3genE2ELNS1_11target_archE906ELNS1_3gpuE6ELNS1_3repE0EEENS1_30default_config_static_selectorELNS0_4arch9wavefront6targetE0EEEvSY_.num_vgpr, 0
	.set _ZN7rocprim17ROCPRIM_400000_NS6detail17trampoline_kernelINS0_13select_configILj256ELj13ELNS0_17block_load_methodE3ELS4_3ELS4_3ELNS0_20block_scan_algorithmE0ELj4294967295EEENS1_25partition_config_selectorILNS1_17partition_subalgoE3EjNS0_10empty_typeEbEEZZNS1_14partition_implILS8_3ELb0ES6_jNS0_17counting_iteratorIjlEEPS9_SE_NS0_5tupleIJPjSE_EEENSF_IJSE_SE_EEES9_SG_JZNS1_25segmented_radix_sort_implINS0_14default_configELb0EPKfPfPKlPlN2at6native12_GLOBAL__N_18offset_tEEE10hipError_tPvRmT1_PNSt15iterator_traitsISY_E10value_typeET2_T3_PNSZ_IS14_E10value_typeET4_jRbjT5_S1A_jjP12ihipStream_tbEUljE_EEESV_SW_SX_S14_S18_S1A_T6_T7_T9_mT8_S1C_bDpT10_ENKUlT_T0_E_clISt17integral_constantIbLb0EES1P_EEDaS1K_S1L_EUlS1K_E_NS1_11comp_targetILNS1_3genE2ELNS1_11target_archE906ELNS1_3gpuE6ELNS1_3repE0EEENS1_30default_config_static_selectorELNS0_4arch9wavefront6targetE0EEEvSY_.num_agpr, 0
	.set _ZN7rocprim17ROCPRIM_400000_NS6detail17trampoline_kernelINS0_13select_configILj256ELj13ELNS0_17block_load_methodE3ELS4_3ELS4_3ELNS0_20block_scan_algorithmE0ELj4294967295EEENS1_25partition_config_selectorILNS1_17partition_subalgoE3EjNS0_10empty_typeEbEEZZNS1_14partition_implILS8_3ELb0ES6_jNS0_17counting_iteratorIjlEEPS9_SE_NS0_5tupleIJPjSE_EEENSF_IJSE_SE_EEES9_SG_JZNS1_25segmented_radix_sort_implINS0_14default_configELb0EPKfPfPKlPlN2at6native12_GLOBAL__N_18offset_tEEE10hipError_tPvRmT1_PNSt15iterator_traitsISY_E10value_typeET2_T3_PNSZ_IS14_E10value_typeET4_jRbjT5_S1A_jjP12ihipStream_tbEUljE_EEESV_SW_SX_S14_S18_S1A_T6_T7_T9_mT8_S1C_bDpT10_ENKUlT_T0_E_clISt17integral_constantIbLb0EES1P_EEDaS1K_S1L_EUlS1K_E_NS1_11comp_targetILNS1_3genE2ELNS1_11target_archE906ELNS1_3gpuE6ELNS1_3repE0EEENS1_30default_config_static_selectorELNS0_4arch9wavefront6targetE0EEEvSY_.numbered_sgpr, 0
	.set _ZN7rocprim17ROCPRIM_400000_NS6detail17trampoline_kernelINS0_13select_configILj256ELj13ELNS0_17block_load_methodE3ELS4_3ELS4_3ELNS0_20block_scan_algorithmE0ELj4294967295EEENS1_25partition_config_selectorILNS1_17partition_subalgoE3EjNS0_10empty_typeEbEEZZNS1_14partition_implILS8_3ELb0ES6_jNS0_17counting_iteratorIjlEEPS9_SE_NS0_5tupleIJPjSE_EEENSF_IJSE_SE_EEES9_SG_JZNS1_25segmented_radix_sort_implINS0_14default_configELb0EPKfPfPKlPlN2at6native12_GLOBAL__N_18offset_tEEE10hipError_tPvRmT1_PNSt15iterator_traitsISY_E10value_typeET2_T3_PNSZ_IS14_E10value_typeET4_jRbjT5_S1A_jjP12ihipStream_tbEUljE_EEESV_SW_SX_S14_S18_S1A_T6_T7_T9_mT8_S1C_bDpT10_ENKUlT_T0_E_clISt17integral_constantIbLb0EES1P_EEDaS1K_S1L_EUlS1K_E_NS1_11comp_targetILNS1_3genE2ELNS1_11target_archE906ELNS1_3gpuE6ELNS1_3repE0EEENS1_30default_config_static_selectorELNS0_4arch9wavefront6targetE0EEEvSY_.num_named_barrier, 0
	.set _ZN7rocprim17ROCPRIM_400000_NS6detail17trampoline_kernelINS0_13select_configILj256ELj13ELNS0_17block_load_methodE3ELS4_3ELS4_3ELNS0_20block_scan_algorithmE0ELj4294967295EEENS1_25partition_config_selectorILNS1_17partition_subalgoE3EjNS0_10empty_typeEbEEZZNS1_14partition_implILS8_3ELb0ES6_jNS0_17counting_iteratorIjlEEPS9_SE_NS0_5tupleIJPjSE_EEENSF_IJSE_SE_EEES9_SG_JZNS1_25segmented_radix_sort_implINS0_14default_configELb0EPKfPfPKlPlN2at6native12_GLOBAL__N_18offset_tEEE10hipError_tPvRmT1_PNSt15iterator_traitsISY_E10value_typeET2_T3_PNSZ_IS14_E10value_typeET4_jRbjT5_S1A_jjP12ihipStream_tbEUljE_EEESV_SW_SX_S14_S18_S1A_T6_T7_T9_mT8_S1C_bDpT10_ENKUlT_T0_E_clISt17integral_constantIbLb0EES1P_EEDaS1K_S1L_EUlS1K_E_NS1_11comp_targetILNS1_3genE2ELNS1_11target_archE906ELNS1_3gpuE6ELNS1_3repE0EEENS1_30default_config_static_selectorELNS0_4arch9wavefront6targetE0EEEvSY_.private_seg_size, 0
	.set _ZN7rocprim17ROCPRIM_400000_NS6detail17trampoline_kernelINS0_13select_configILj256ELj13ELNS0_17block_load_methodE3ELS4_3ELS4_3ELNS0_20block_scan_algorithmE0ELj4294967295EEENS1_25partition_config_selectorILNS1_17partition_subalgoE3EjNS0_10empty_typeEbEEZZNS1_14partition_implILS8_3ELb0ES6_jNS0_17counting_iteratorIjlEEPS9_SE_NS0_5tupleIJPjSE_EEENSF_IJSE_SE_EEES9_SG_JZNS1_25segmented_radix_sort_implINS0_14default_configELb0EPKfPfPKlPlN2at6native12_GLOBAL__N_18offset_tEEE10hipError_tPvRmT1_PNSt15iterator_traitsISY_E10value_typeET2_T3_PNSZ_IS14_E10value_typeET4_jRbjT5_S1A_jjP12ihipStream_tbEUljE_EEESV_SW_SX_S14_S18_S1A_T6_T7_T9_mT8_S1C_bDpT10_ENKUlT_T0_E_clISt17integral_constantIbLb0EES1P_EEDaS1K_S1L_EUlS1K_E_NS1_11comp_targetILNS1_3genE2ELNS1_11target_archE906ELNS1_3gpuE6ELNS1_3repE0EEENS1_30default_config_static_selectorELNS0_4arch9wavefront6targetE0EEEvSY_.uses_vcc, 0
	.set _ZN7rocprim17ROCPRIM_400000_NS6detail17trampoline_kernelINS0_13select_configILj256ELj13ELNS0_17block_load_methodE3ELS4_3ELS4_3ELNS0_20block_scan_algorithmE0ELj4294967295EEENS1_25partition_config_selectorILNS1_17partition_subalgoE3EjNS0_10empty_typeEbEEZZNS1_14partition_implILS8_3ELb0ES6_jNS0_17counting_iteratorIjlEEPS9_SE_NS0_5tupleIJPjSE_EEENSF_IJSE_SE_EEES9_SG_JZNS1_25segmented_radix_sort_implINS0_14default_configELb0EPKfPfPKlPlN2at6native12_GLOBAL__N_18offset_tEEE10hipError_tPvRmT1_PNSt15iterator_traitsISY_E10value_typeET2_T3_PNSZ_IS14_E10value_typeET4_jRbjT5_S1A_jjP12ihipStream_tbEUljE_EEESV_SW_SX_S14_S18_S1A_T6_T7_T9_mT8_S1C_bDpT10_ENKUlT_T0_E_clISt17integral_constantIbLb0EES1P_EEDaS1K_S1L_EUlS1K_E_NS1_11comp_targetILNS1_3genE2ELNS1_11target_archE906ELNS1_3gpuE6ELNS1_3repE0EEENS1_30default_config_static_selectorELNS0_4arch9wavefront6targetE0EEEvSY_.uses_flat_scratch, 0
	.set _ZN7rocprim17ROCPRIM_400000_NS6detail17trampoline_kernelINS0_13select_configILj256ELj13ELNS0_17block_load_methodE3ELS4_3ELS4_3ELNS0_20block_scan_algorithmE0ELj4294967295EEENS1_25partition_config_selectorILNS1_17partition_subalgoE3EjNS0_10empty_typeEbEEZZNS1_14partition_implILS8_3ELb0ES6_jNS0_17counting_iteratorIjlEEPS9_SE_NS0_5tupleIJPjSE_EEENSF_IJSE_SE_EEES9_SG_JZNS1_25segmented_radix_sort_implINS0_14default_configELb0EPKfPfPKlPlN2at6native12_GLOBAL__N_18offset_tEEE10hipError_tPvRmT1_PNSt15iterator_traitsISY_E10value_typeET2_T3_PNSZ_IS14_E10value_typeET4_jRbjT5_S1A_jjP12ihipStream_tbEUljE_EEESV_SW_SX_S14_S18_S1A_T6_T7_T9_mT8_S1C_bDpT10_ENKUlT_T0_E_clISt17integral_constantIbLb0EES1P_EEDaS1K_S1L_EUlS1K_E_NS1_11comp_targetILNS1_3genE2ELNS1_11target_archE906ELNS1_3gpuE6ELNS1_3repE0EEENS1_30default_config_static_selectorELNS0_4arch9wavefront6targetE0EEEvSY_.has_dyn_sized_stack, 0
	.set _ZN7rocprim17ROCPRIM_400000_NS6detail17trampoline_kernelINS0_13select_configILj256ELj13ELNS0_17block_load_methodE3ELS4_3ELS4_3ELNS0_20block_scan_algorithmE0ELj4294967295EEENS1_25partition_config_selectorILNS1_17partition_subalgoE3EjNS0_10empty_typeEbEEZZNS1_14partition_implILS8_3ELb0ES6_jNS0_17counting_iteratorIjlEEPS9_SE_NS0_5tupleIJPjSE_EEENSF_IJSE_SE_EEES9_SG_JZNS1_25segmented_radix_sort_implINS0_14default_configELb0EPKfPfPKlPlN2at6native12_GLOBAL__N_18offset_tEEE10hipError_tPvRmT1_PNSt15iterator_traitsISY_E10value_typeET2_T3_PNSZ_IS14_E10value_typeET4_jRbjT5_S1A_jjP12ihipStream_tbEUljE_EEESV_SW_SX_S14_S18_S1A_T6_T7_T9_mT8_S1C_bDpT10_ENKUlT_T0_E_clISt17integral_constantIbLb0EES1P_EEDaS1K_S1L_EUlS1K_E_NS1_11comp_targetILNS1_3genE2ELNS1_11target_archE906ELNS1_3gpuE6ELNS1_3repE0EEENS1_30default_config_static_selectorELNS0_4arch9wavefront6targetE0EEEvSY_.has_recursion, 0
	.set _ZN7rocprim17ROCPRIM_400000_NS6detail17trampoline_kernelINS0_13select_configILj256ELj13ELNS0_17block_load_methodE3ELS4_3ELS4_3ELNS0_20block_scan_algorithmE0ELj4294967295EEENS1_25partition_config_selectorILNS1_17partition_subalgoE3EjNS0_10empty_typeEbEEZZNS1_14partition_implILS8_3ELb0ES6_jNS0_17counting_iteratorIjlEEPS9_SE_NS0_5tupleIJPjSE_EEENSF_IJSE_SE_EEES9_SG_JZNS1_25segmented_radix_sort_implINS0_14default_configELb0EPKfPfPKlPlN2at6native12_GLOBAL__N_18offset_tEEE10hipError_tPvRmT1_PNSt15iterator_traitsISY_E10value_typeET2_T3_PNSZ_IS14_E10value_typeET4_jRbjT5_S1A_jjP12ihipStream_tbEUljE_EEESV_SW_SX_S14_S18_S1A_T6_T7_T9_mT8_S1C_bDpT10_ENKUlT_T0_E_clISt17integral_constantIbLb0EES1P_EEDaS1K_S1L_EUlS1K_E_NS1_11comp_targetILNS1_3genE2ELNS1_11target_archE906ELNS1_3gpuE6ELNS1_3repE0EEENS1_30default_config_static_selectorELNS0_4arch9wavefront6targetE0EEEvSY_.has_indirect_call, 0
	.section	.AMDGPU.csdata,"",@progbits
; Kernel info:
; codeLenInByte = 0
; TotalNumSgprs: 0
; NumVgprs: 0
; ScratchSize: 0
; MemoryBound: 0
; FloatMode: 240
; IeeeMode: 1
; LDSByteSize: 0 bytes/workgroup (compile time only)
; SGPRBlocks: 0
; VGPRBlocks: 0
; NumSGPRsForWavesPerEU: 1
; NumVGPRsForWavesPerEU: 1
; Occupancy: 16
; WaveLimiterHint : 0
; COMPUTE_PGM_RSRC2:SCRATCH_EN: 0
; COMPUTE_PGM_RSRC2:USER_SGPR: 2
; COMPUTE_PGM_RSRC2:TRAP_HANDLER: 0
; COMPUTE_PGM_RSRC2:TGID_X_EN: 1
; COMPUTE_PGM_RSRC2:TGID_Y_EN: 0
; COMPUTE_PGM_RSRC2:TGID_Z_EN: 0
; COMPUTE_PGM_RSRC2:TIDIG_COMP_CNT: 0
	.section	.text._ZN7rocprim17ROCPRIM_400000_NS6detail17trampoline_kernelINS0_13select_configILj256ELj13ELNS0_17block_load_methodE3ELS4_3ELS4_3ELNS0_20block_scan_algorithmE0ELj4294967295EEENS1_25partition_config_selectorILNS1_17partition_subalgoE3EjNS0_10empty_typeEbEEZZNS1_14partition_implILS8_3ELb0ES6_jNS0_17counting_iteratorIjlEEPS9_SE_NS0_5tupleIJPjSE_EEENSF_IJSE_SE_EEES9_SG_JZNS1_25segmented_radix_sort_implINS0_14default_configELb0EPKfPfPKlPlN2at6native12_GLOBAL__N_18offset_tEEE10hipError_tPvRmT1_PNSt15iterator_traitsISY_E10value_typeET2_T3_PNSZ_IS14_E10value_typeET4_jRbjT5_S1A_jjP12ihipStream_tbEUljE_EEESV_SW_SX_S14_S18_S1A_T6_T7_T9_mT8_S1C_bDpT10_ENKUlT_T0_E_clISt17integral_constantIbLb0EES1P_EEDaS1K_S1L_EUlS1K_E_NS1_11comp_targetILNS1_3genE10ELNS1_11target_archE1200ELNS1_3gpuE4ELNS1_3repE0EEENS1_30default_config_static_selectorELNS0_4arch9wavefront6targetE0EEEvSY_,"axG",@progbits,_ZN7rocprim17ROCPRIM_400000_NS6detail17trampoline_kernelINS0_13select_configILj256ELj13ELNS0_17block_load_methodE3ELS4_3ELS4_3ELNS0_20block_scan_algorithmE0ELj4294967295EEENS1_25partition_config_selectorILNS1_17partition_subalgoE3EjNS0_10empty_typeEbEEZZNS1_14partition_implILS8_3ELb0ES6_jNS0_17counting_iteratorIjlEEPS9_SE_NS0_5tupleIJPjSE_EEENSF_IJSE_SE_EEES9_SG_JZNS1_25segmented_radix_sort_implINS0_14default_configELb0EPKfPfPKlPlN2at6native12_GLOBAL__N_18offset_tEEE10hipError_tPvRmT1_PNSt15iterator_traitsISY_E10value_typeET2_T3_PNSZ_IS14_E10value_typeET4_jRbjT5_S1A_jjP12ihipStream_tbEUljE_EEESV_SW_SX_S14_S18_S1A_T6_T7_T9_mT8_S1C_bDpT10_ENKUlT_T0_E_clISt17integral_constantIbLb0EES1P_EEDaS1K_S1L_EUlS1K_E_NS1_11comp_targetILNS1_3genE10ELNS1_11target_archE1200ELNS1_3gpuE4ELNS1_3repE0EEENS1_30default_config_static_selectorELNS0_4arch9wavefront6targetE0EEEvSY_,comdat
	.globl	_ZN7rocprim17ROCPRIM_400000_NS6detail17trampoline_kernelINS0_13select_configILj256ELj13ELNS0_17block_load_methodE3ELS4_3ELS4_3ELNS0_20block_scan_algorithmE0ELj4294967295EEENS1_25partition_config_selectorILNS1_17partition_subalgoE3EjNS0_10empty_typeEbEEZZNS1_14partition_implILS8_3ELb0ES6_jNS0_17counting_iteratorIjlEEPS9_SE_NS0_5tupleIJPjSE_EEENSF_IJSE_SE_EEES9_SG_JZNS1_25segmented_radix_sort_implINS0_14default_configELb0EPKfPfPKlPlN2at6native12_GLOBAL__N_18offset_tEEE10hipError_tPvRmT1_PNSt15iterator_traitsISY_E10value_typeET2_T3_PNSZ_IS14_E10value_typeET4_jRbjT5_S1A_jjP12ihipStream_tbEUljE_EEESV_SW_SX_S14_S18_S1A_T6_T7_T9_mT8_S1C_bDpT10_ENKUlT_T0_E_clISt17integral_constantIbLb0EES1P_EEDaS1K_S1L_EUlS1K_E_NS1_11comp_targetILNS1_3genE10ELNS1_11target_archE1200ELNS1_3gpuE4ELNS1_3repE0EEENS1_30default_config_static_selectorELNS0_4arch9wavefront6targetE0EEEvSY_ ; -- Begin function _ZN7rocprim17ROCPRIM_400000_NS6detail17trampoline_kernelINS0_13select_configILj256ELj13ELNS0_17block_load_methodE3ELS4_3ELS4_3ELNS0_20block_scan_algorithmE0ELj4294967295EEENS1_25partition_config_selectorILNS1_17partition_subalgoE3EjNS0_10empty_typeEbEEZZNS1_14partition_implILS8_3ELb0ES6_jNS0_17counting_iteratorIjlEEPS9_SE_NS0_5tupleIJPjSE_EEENSF_IJSE_SE_EEES9_SG_JZNS1_25segmented_radix_sort_implINS0_14default_configELb0EPKfPfPKlPlN2at6native12_GLOBAL__N_18offset_tEEE10hipError_tPvRmT1_PNSt15iterator_traitsISY_E10value_typeET2_T3_PNSZ_IS14_E10value_typeET4_jRbjT5_S1A_jjP12ihipStream_tbEUljE_EEESV_SW_SX_S14_S18_S1A_T6_T7_T9_mT8_S1C_bDpT10_ENKUlT_T0_E_clISt17integral_constantIbLb0EES1P_EEDaS1K_S1L_EUlS1K_E_NS1_11comp_targetILNS1_3genE10ELNS1_11target_archE1200ELNS1_3gpuE4ELNS1_3repE0EEENS1_30default_config_static_selectorELNS0_4arch9wavefront6targetE0EEEvSY_
	.p2align	8
	.type	_ZN7rocprim17ROCPRIM_400000_NS6detail17trampoline_kernelINS0_13select_configILj256ELj13ELNS0_17block_load_methodE3ELS4_3ELS4_3ELNS0_20block_scan_algorithmE0ELj4294967295EEENS1_25partition_config_selectorILNS1_17partition_subalgoE3EjNS0_10empty_typeEbEEZZNS1_14partition_implILS8_3ELb0ES6_jNS0_17counting_iteratorIjlEEPS9_SE_NS0_5tupleIJPjSE_EEENSF_IJSE_SE_EEES9_SG_JZNS1_25segmented_radix_sort_implINS0_14default_configELb0EPKfPfPKlPlN2at6native12_GLOBAL__N_18offset_tEEE10hipError_tPvRmT1_PNSt15iterator_traitsISY_E10value_typeET2_T3_PNSZ_IS14_E10value_typeET4_jRbjT5_S1A_jjP12ihipStream_tbEUljE_EEESV_SW_SX_S14_S18_S1A_T6_T7_T9_mT8_S1C_bDpT10_ENKUlT_T0_E_clISt17integral_constantIbLb0EES1P_EEDaS1K_S1L_EUlS1K_E_NS1_11comp_targetILNS1_3genE10ELNS1_11target_archE1200ELNS1_3gpuE4ELNS1_3repE0EEENS1_30default_config_static_selectorELNS0_4arch9wavefront6targetE0EEEvSY_,@function
_ZN7rocprim17ROCPRIM_400000_NS6detail17trampoline_kernelINS0_13select_configILj256ELj13ELNS0_17block_load_methodE3ELS4_3ELS4_3ELNS0_20block_scan_algorithmE0ELj4294967295EEENS1_25partition_config_selectorILNS1_17partition_subalgoE3EjNS0_10empty_typeEbEEZZNS1_14partition_implILS8_3ELb0ES6_jNS0_17counting_iteratorIjlEEPS9_SE_NS0_5tupleIJPjSE_EEENSF_IJSE_SE_EEES9_SG_JZNS1_25segmented_radix_sort_implINS0_14default_configELb0EPKfPfPKlPlN2at6native12_GLOBAL__N_18offset_tEEE10hipError_tPvRmT1_PNSt15iterator_traitsISY_E10value_typeET2_T3_PNSZ_IS14_E10value_typeET4_jRbjT5_S1A_jjP12ihipStream_tbEUljE_EEESV_SW_SX_S14_S18_S1A_T6_T7_T9_mT8_S1C_bDpT10_ENKUlT_T0_E_clISt17integral_constantIbLb0EES1P_EEDaS1K_S1L_EUlS1K_E_NS1_11comp_targetILNS1_3genE10ELNS1_11target_archE1200ELNS1_3gpuE4ELNS1_3repE0EEENS1_30default_config_static_selectorELNS0_4arch9wavefront6targetE0EEEvSY_: ; @_ZN7rocprim17ROCPRIM_400000_NS6detail17trampoline_kernelINS0_13select_configILj256ELj13ELNS0_17block_load_methodE3ELS4_3ELS4_3ELNS0_20block_scan_algorithmE0ELj4294967295EEENS1_25partition_config_selectorILNS1_17partition_subalgoE3EjNS0_10empty_typeEbEEZZNS1_14partition_implILS8_3ELb0ES6_jNS0_17counting_iteratorIjlEEPS9_SE_NS0_5tupleIJPjSE_EEENSF_IJSE_SE_EEES9_SG_JZNS1_25segmented_radix_sort_implINS0_14default_configELb0EPKfPfPKlPlN2at6native12_GLOBAL__N_18offset_tEEE10hipError_tPvRmT1_PNSt15iterator_traitsISY_E10value_typeET2_T3_PNSZ_IS14_E10value_typeET4_jRbjT5_S1A_jjP12ihipStream_tbEUljE_EEESV_SW_SX_S14_S18_S1A_T6_T7_T9_mT8_S1C_bDpT10_ENKUlT_T0_E_clISt17integral_constantIbLb0EES1P_EEDaS1K_S1L_EUlS1K_E_NS1_11comp_targetILNS1_3genE10ELNS1_11target_archE1200ELNS1_3gpuE4ELNS1_3repE0EEENS1_30default_config_static_selectorELNS0_4arch9wavefront6targetE0EEEvSY_
; %bb.0:
	s_clause 0x6
	s_load_b32 s2, s[0:1], 0x70
	s_load_b128 s[8:11], s[0:1], 0x48
	s_load_b64 s[12:13], s[0:1], 0x10
	s_load_b64 s[14:15], s[0:1], 0x58
	s_load_b32 s20, s[0:1], 0x8
	s_load_b32 s3, s[0:1], 0x88
	s_load_b128 s[4:7], s[0:1], 0x78
	s_mov_b32 s17, 0
	v_lshlrev_b32_e32 v42, 2, v0
	s_wait_kmcnt 0x0
	s_mul_i32 s16, s2, 0xd00
	s_load_b64 s[18:19], s[10:11], 0x0
	s_add_co_i32 s10, s16, s12
	s_add_co_i32 s2, s2, -1
	s_sub_co_i32 s23, s14, s10
	s_add_nc_u64 s[10:11], s[12:13], s[16:17]
	s_addk_co_i32 s23, 0xd00
	s_cmp_eq_u32 ttmp9, s2
	s_mul_i32 s16, ttmp9, 0xd00
	s_cselect_b32 s22, -1, 0
	s_cmp_lg_u32 ttmp9, s2
	v_cmp_gt_u64_e64 s10, s[14:15], s[10:11]
	s_cselect_b32 s2, -1, 0
	s_add_co_i32 s11, s20, s16
	s_mov_b32 s17, -1
	s_wait_alu 0xfffe
	s_add_co_i32 s11, s11, s12
	s_wait_alu 0xfffe
	v_add_nc_u32_e32 v1, s11, v0
	s_or_b32 s10, s2, s10
	s_wait_alu 0xfffe
	s_and_b32 vcc_lo, exec_lo, s10
	s_cbranch_vccz .LBB1401_2
; %bb.1:
	v_add_nc_u32_e32 v2, 0x100, v1
	v_add_nc_u32_e32 v3, 0x200, v1
	;; [unrolled: 1-line block ×12, first 2 shown]
	ds_store_2addr_stride64_b32 v42, v1, v2 offset1:4
	ds_store_2addr_stride64_b32 v42, v3, v4 offset0:8 offset1:12
	ds_store_2addr_stride64_b32 v42, v5, v6 offset0:16 offset1:20
	;; [unrolled: 1-line block ×5, first 2 shown]
	ds_store_b32 v42, v13 offset:12288
	s_wait_dscnt 0x0
	s_barrier_signal -1
	s_mov_b32 s17, 0
	s_barrier_wait -1
.LBB1401_2:
	v_cmp_gt_u32_e64 s2, s23, v0
	v_or_b32_e32 v41, 0x100, v0
	v_or_b32_e32 v40, 0x200, v0
	;; [unrolled: 1-line block ×12, first 2 shown]
	s_and_not1_b32 vcc_lo, exec_lo, s17
	s_cbranch_vccnz .LBB1401_4
; %bb.3:
	v_cmp_gt_u32_e32 vcc_lo, s23, v41
	v_add_nc_u32_e32 v3, s11, v40
	v_add_nc_u32_e32 v2, s11, v41
	v_cndmask_b32_e64 v1, 0, v1, s2
	s_delay_alu instid0(VALU_DEP_2)
	v_cndmask_b32_e32 v2, 0, v2, vcc_lo
	v_cmp_gt_u32_e32 vcc_lo, s23, v40
	s_wait_alu 0xfffd
	v_cndmask_b32_e32 v3, 0, v3, vcc_lo
	v_cmp_gt_u32_e32 vcc_lo, s23, v39
	v_add_nc_u32_e32 v5, s11, v38
	v_add_nc_u32_e32 v4, s11, v39
	s_wait_alu 0xfffd
	s_delay_alu instid0(VALU_DEP_1)
	v_cndmask_b32_e32 v4, 0, v4, vcc_lo
	v_cmp_gt_u32_e32 vcc_lo, s23, v38
	s_wait_alu 0xfffd
	v_cndmask_b32_e32 v5, 0, v5, vcc_lo
	v_cmp_gt_u32_e32 vcc_lo, s23, v37
	v_add_nc_u32_e32 v7, s11, v36
	v_add_nc_u32_e32 v6, s11, v37
	s_wait_alu 0xfffd
	s_delay_alu instid0(VALU_DEP_1)
	;; [unrolled: 9-line block ×5, first 2 shown]
	v_cndmask_b32_e32 v12, 0, v12, vcc_lo
	v_cmp_gt_u32_e32 vcc_lo, s23, v30
	s_wait_alu 0xfffd
	v_cndmask_b32_e32 v13, 0, v13, vcc_lo
	ds_store_2addr_stride64_b32 v42, v1, v2 offset1:4
	ds_store_2addr_stride64_b32 v42, v3, v4 offset0:8 offset1:12
	ds_store_2addr_stride64_b32 v42, v5, v6 offset0:16 offset1:20
	;; [unrolled: 1-line block ×5, first 2 shown]
	ds_store_b32 v42, v13 offset:12288
	s_wait_dscnt 0x0
	s_barrier_signal -1
	s_barrier_wait -1
.LBB1401_4:
	v_mul_u32_u24_e32 v45, 13, v0
	global_inv scope:SCOPE_SE
	v_cndmask_b32_e64 v43, 0, 1, s10
	s_and_not1_b32 vcc_lo, exec_lo, s10
	v_lshlrev_b32_e32 v1, 2, v45
	ds_load_2addr_b32 v[26:27], v1 offset0:2 offset1:3
	ds_load_2addr_b32 v[22:23], v1 offset0:6 offset1:7
	;; [unrolled: 1-line block ×3, first 2 shown]
	ds_load_2addr_b32 v[28:29], v1 offset1:1
	ds_load_2addr_b32 v[18:19], v1 offset0:10 offset1:11
	ds_load_b32 v44, v1 offset:48
	ds_load_2addr_b32 v[20:21], v1 offset0:8 offset1:9
	s_wait_loadcnt_dscnt 0x0
	s_barrier_signal -1
	s_barrier_wait -1
	global_inv scope:SCOPE_SE
	s_wait_alu 0xfffe
	s_cbranch_vccnz .LBB1401_6
; %bb.5:
	v_add_nc_u32_e32 v1, s5, v27
	v_add_nc_u32_e32 v2, s7, v27
	;; [unrolled: 1-line block ×5, first 2 shown]
	v_mul_lo_u32 v1, v1, s4
	v_mul_lo_u32 v2, v2, s6
	v_add_nc_u32_e32 v8, s7, v26
	v_add_nc_u32_e32 v3, s5, v29
	;; [unrolled: 1-line block ×3, first 2 shown]
	v_mul_lo_u32 v5, v5, s4
	v_mul_lo_u32 v4, v4, s4
	v_add_nc_u32_e32 v9, s5, v24
	v_mul_lo_u32 v3, v3, s4
	v_sub_nc_u32_e32 v1, v1, v2
	v_mul_lo_u32 v2, v7, s6
	v_mul_lo_u32 v7, v8, s6
	;; [unrolled: 1-line block ×3, first 2 shown]
	v_add_nc_u32_e32 v8, s5, v25
	v_add_nc_u32_e32 v10, s7, v24
	v_mul_lo_u32 v9, v9, s4
	v_cmp_lt_u32_e32 vcc_lo, s3, v1
	v_add_nc_u32_e32 v14, s7, v19
	v_sub_nc_u32_e32 v2, v4, v2
	v_sub_nc_u32_e32 v4, v5, v7
	v_add_nc_u32_e32 v5, s7, v25
	v_sub_nc_u32_e32 v3, v3, v6
	v_add_nc_u32_e32 v6, s5, v23
	v_add_nc_u32_e32 v7, s7, v23
	v_mul_lo_u32 v8, v8, s4
	v_mul_lo_u32 v5, v5, s6
	;; [unrolled: 1-line block ×5, first 2 shown]
	s_wait_alu 0xfffd
	v_cndmask_b32_e64 v1, 0, 1, vcc_lo
	v_cmp_lt_u32_e32 vcc_lo, s3, v3
	v_mul_lo_u32 v14, v14, s6
	v_add_nc_u32_e32 v15, s7, v21
	v_sub_nc_u32_e32 v5, v8, v5
	v_add_nc_u32_e32 v8, s7, v22
	s_wait_alu 0xfffd
	v_cndmask_b32_e64 v3, 0, 1, vcc_lo
	v_sub_nc_u32_e32 v6, v6, v7
	v_mul_lo_u32 v15, v15, s6
	v_cmp_lt_u32_e32 vcc_lo, s3, v5
	v_mul_lo_u32 v7, v8, s6
	v_sub_nc_u32_e32 v8, v9, v10
	v_add_nc_u32_e32 v9, s5, v19
	v_add_nc_u32_e32 v10, s5, v21
	s_wait_alu 0xfffd
	v_cndmask_b32_e64 v5, 0, 1, vcc_lo
	v_cmp_lt_u32_e32 vcc_lo, s3, v6
	v_add_nc_u32_e32 v11, s5, v22
	v_mul_lo_u32 v9, v9, s4
	v_mul_lo_u32 v10, v10, s4
	v_add_nc_u32_e32 v12, s5, v20
	s_wait_alu 0xfffd
	v_cndmask_b32_e64 v6, 0, 1, vcc_lo
	v_mul_lo_u32 v11, v11, s4
	v_add_nc_u32_e32 v16, s7, v20
	v_lshlrev_b16 v3, 8, v3
	v_add_nc_u32_e32 v13, s5, v18
	v_sub_nc_u32_e32 v9, v9, v14
	v_sub_nc_u32_e32 v10, v10, v15
	v_add_nc_u32_e32 v17, s7, v18
	v_mul_lo_u32 v12, v12, s4
	v_mul_lo_u32 v16, v16, s6
	v_cmp_lt_u32_e32 vcc_lo, s3, v9
	v_sub_nc_u32_e32 v7, v11, v7
	v_lshrrev_b32_e32 v3, 8, v3
	v_mul_lo_u32 v11, v13, s4
	v_mul_lo_u32 v13, v17, s6
	s_wait_alu 0xfffd
	v_cndmask_b32_e64 v9, 0, 1, vcc_lo
	v_cmp_lt_u32_e32 vcc_lo, s3, v2
	v_sub_nc_u32_e32 v12, v12, v16
	v_lshlrev_b16 v3, 8, v3
	v_lshlrev_b16 v1, 8, v1
	;; [unrolled: 1-line block ×3, first 2 shown]
	s_wait_alu 0xfffd
	v_cndmask_b32_e64 v2, 0, 1, vcc_lo
	v_cmp_lt_u32_e32 vcc_lo, s3, v10
	v_sub_nc_u32_e32 v11, v11, v13
	v_add_nc_u32_e32 v14, s5, v44
	v_add_nc_u32_e32 v15, s7, v44
	v_or_b32_e32 v2, v2, v3
	s_wait_alu 0xfffd
	v_cndmask_b32_e64 v10, 0, 1, vcc_lo
	v_cmp_lt_u32_e32 vcc_lo, s3, v4
	v_lshlrev_b16 v3, 8, v9
	v_lshrrev_b32_e32 v5, 8, v5
	v_lshrrev_b32_e32 v1, 8, v1
	v_lshlrev_b16 v9, 8, v10
	s_wait_alu 0xfffd
	v_cndmask_b32_e64 v4, 0, 1, vcc_lo
	v_cmp_lt_u32_e32 vcc_lo, s3, v8
	v_lshrrev_b32_e32 v3, 8, v3
	v_mul_lo_u32 v14, v14, s4
	v_lshrrev_b32_e32 v9, 8, v9
	v_mul_lo_u32 v15, v15, s6
	s_wait_alu 0xfffd
	v_cndmask_b32_e64 v8, 0, 1, vcc_lo
	v_cmp_lt_u32_e32 vcc_lo, s3, v7
	v_lshlrev_b16 v6, 8, v6
	v_lshlrev_b16 v1, 8, v1
	;; [unrolled: 1-line block ×4, first 2 shown]
	s_wait_alu 0xfffd
	v_cndmask_b32_e64 v7, 0, 1, vcc_lo
	v_cmp_lt_u32_e32 vcc_lo, s3, v12
	v_lshlrev_b16 v3, 8, v3
	v_sub_nc_u32_e32 v10, v14, v15
	v_or_b32_e32 v1, v4, v1
	v_or_b32_e32 v4, v8, v5
	s_wait_alu 0xfffd
	v_cndmask_b32_e64 v12, 0, 1, vcc_lo
	v_cmp_lt_u32_e32 vcc_lo, s3, v11
	v_or_b32_e32 v5, v7, v6
	v_and_b32_e32 v2, 0xffff, v2
	v_lshlrev_b32_e32 v1, 16, v1
	v_or_b32_e32 v6, v12, v9
	s_wait_alu 0xfffd
	v_cndmask_b32_e64 v11, 0, 1, vcc_lo
	v_and_b32_e32 v4, 0xffff, v4
	v_lshlrev_b32_e32 v5, 16, v5
	v_cmp_lt_u32_e32 vcc_lo, s3, v10
	v_and_b32_e32 v6, 0xffff, v6
	v_or_b32_e32 v3, v11, v3
	v_or_b32_e32 v51, v2, v1
	;; [unrolled: 1-line block ×3, first 2 shown]
	s_wait_alu 0xfffd
	v_cndmask_b32_e64 v46, 0, 1, vcc_lo
	v_lshlrev_b32_e32 v3, 16, v3
	s_delay_alu instid0(VALU_DEP_1)
	v_or_b32_e32 v47, v6, v3
	s_clause 0x1
	s_load_b64 s[10:11], s[0:1], 0x28
	s_load_b64 s[20:21], s[0:1], 0x68
	s_cbranch_execz .LBB1401_7
	s_branch .LBB1401_34
.LBB1401_6:
                                        ; implicit-def: $vgpr46
                                        ; implicit-def: $vgpr47
                                        ; implicit-def: $vgpr49
                                        ; implicit-def: $vgpr51
	s_clause 0x1
	s_load_b64 s[10:11], s[0:1], 0x28
	s_load_b64 s[20:21], s[0:1], 0x68
.LBB1401_7:
	v_dual_mov_b32 v2, 0 :: v_dual_mov_b32 v1, 0
	s_mov_b32 s0, exec_lo
	v_cmpx_gt_u32_e64 s23, v45
	s_cbranch_execz .LBB1401_9
; %bb.8:
	v_add_nc_u32_e32 v1, s5, v28
	v_add_nc_u32_e32 v3, s7, v28
	s_delay_alu instid0(VALU_DEP_2) | instskip(NEXT) | instid1(VALU_DEP_2)
	v_mul_lo_u32 v1, v1, s4
	v_mul_lo_u32 v3, v3, s6
	s_delay_alu instid0(VALU_DEP_1) | instskip(NEXT) | instid1(VALU_DEP_1)
	v_sub_nc_u32_e32 v1, v1, v3
	v_cmp_lt_u32_e32 vcc_lo, s3, v1
	s_wait_alu 0xfffd
	v_cndmask_b32_e64 v1, 0, 1, vcc_lo
.LBB1401_9:
	s_or_b32 exec_lo, exec_lo, s0
	v_add_nc_u32_e32 v3, 1, v45
	s_mov_b32 s0, exec_lo
	s_delay_alu instid0(VALU_DEP_1)
	v_cmpx_gt_u32_e64 s23, v3
	s_cbranch_execz .LBB1401_11
; %bb.10:
	v_add_nc_u32_e32 v2, s5, v29
	v_add_nc_u32_e32 v3, s7, v29
	s_delay_alu instid0(VALU_DEP_2) | instskip(NEXT) | instid1(VALU_DEP_2)
	v_mul_lo_u32 v2, v2, s4
	v_mul_lo_u32 v3, v3, s6
	s_delay_alu instid0(VALU_DEP_1) | instskip(NEXT) | instid1(VALU_DEP_1)
	v_sub_nc_u32_e32 v2, v2, v3
	v_cmp_lt_u32_e32 vcc_lo, s3, v2
	s_wait_alu 0xfffd
	v_cndmask_b32_e64 v2, 0, 1, vcc_lo
.LBB1401_11:
	s_or_b32 exec_lo, exec_lo, s0
	v_dual_mov_b32 v4, 0 :: v_dual_add_nc_u32 v3, 2, v45
	s_delay_alu instid0(VALU_DEP_1)
	v_cmp_gt_u32_e32 vcc_lo, s23, v3
	v_mov_b32_e32 v3, 0
	s_and_saveexec_b32 s0, vcc_lo
	s_cbranch_execz .LBB1401_13
; %bb.12:
	v_add_nc_u32_e32 v3, s5, v26
	v_add_nc_u32_e32 v5, s7, v26
	s_delay_alu instid0(VALU_DEP_2) | instskip(NEXT) | instid1(VALU_DEP_2)
	v_mul_lo_u32 v3, v3, s4
	v_mul_lo_u32 v5, v5, s6
	s_delay_alu instid0(VALU_DEP_1) | instskip(NEXT) | instid1(VALU_DEP_1)
	v_sub_nc_u32_e32 v3, v3, v5
	v_cmp_lt_u32_e32 vcc_lo, s3, v3
	s_wait_alu 0xfffd
	v_cndmask_b32_e64 v3, 0, 1, vcc_lo
.LBB1401_13:
	s_or_b32 exec_lo, exec_lo, s0
	v_add_nc_u32_e32 v5, 3, v45
	s_mov_b32 s0, exec_lo
	s_delay_alu instid0(VALU_DEP_1)
	v_cmpx_gt_u32_e64 s23, v5
	s_cbranch_execz .LBB1401_15
; %bb.14:
	v_add_nc_u32_e32 v4, s5, v27
	v_add_nc_u32_e32 v5, s7, v27
	s_delay_alu instid0(VALU_DEP_2) | instskip(NEXT) | instid1(VALU_DEP_2)
	v_mul_lo_u32 v4, v4, s4
	v_mul_lo_u32 v5, v5, s6
	s_delay_alu instid0(VALU_DEP_1) | instskip(NEXT) | instid1(VALU_DEP_1)
	v_sub_nc_u32_e32 v4, v4, v5
	v_cmp_lt_u32_e32 vcc_lo, s3, v4
	s_wait_alu 0xfffd
	v_cndmask_b32_e64 v4, 0, 1, vcc_lo
.LBB1401_15:
	s_or_b32 exec_lo, exec_lo, s0
	v_dual_mov_b32 v6, 0 :: v_dual_add_nc_u32 v5, 4, v45
	s_delay_alu instid0(VALU_DEP_1)
	v_cmp_gt_u32_e32 vcc_lo, s23, v5
	v_mov_b32_e32 v5, 0
	s_and_saveexec_b32 s0, vcc_lo
	;; [unrolled: 37-line block ×5, first 2 shown]
	s_cbranch_execz .LBB1401_29
; %bb.28:
	v_add_nc_u32_e32 v11, s5, v18
	v_add_nc_u32_e32 v13, s7, v18
	s_delay_alu instid0(VALU_DEP_2) | instskip(NEXT) | instid1(VALU_DEP_2)
	v_mul_lo_u32 v11, v11, s4
	v_mul_lo_u32 v13, v13, s6
	s_delay_alu instid0(VALU_DEP_1) | instskip(NEXT) | instid1(VALU_DEP_1)
	v_sub_nc_u32_e32 v11, v11, v13
	v_cmp_lt_u32_e32 vcc_lo, s3, v11
	s_wait_alu 0xfffd
	v_cndmask_b32_e64 v11, 0, 1, vcc_lo
.LBB1401_29:
	s_or_b32 exec_lo, exec_lo, s0
	v_add_nc_u32_e32 v13, 11, v45
	s_mov_b32 s0, exec_lo
	s_delay_alu instid0(VALU_DEP_1)
	v_cmpx_gt_u32_e64 s23, v13
	s_cbranch_execz .LBB1401_31
; %bb.30:
	v_add_nc_u32_e32 v12, s5, v19
	v_add_nc_u32_e32 v13, s7, v19
	s_delay_alu instid0(VALU_DEP_2) | instskip(NEXT) | instid1(VALU_DEP_2)
	v_mul_lo_u32 v12, v12, s4
	v_mul_lo_u32 v13, v13, s6
	s_delay_alu instid0(VALU_DEP_1) | instskip(NEXT) | instid1(VALU_DEP_1)
	v_sub_nc_u32_e32 v12, v12, v13
	v_cmp_lt_u32_e32 vcc_lo, s3, v12
	s_wait_alu 0xfffd
	v_cndmask_b32_e64 v12, 0, 1, vcc_lo
.LBB1401_31:
	s_or_b32 exec_lo, exec_lo, s0
	v_dual_mov_b32 v46, 0 :: v_dual_add_nc_u32 v13, 12, v45
	s_mov_b32 s0, exec_lo
	s_delay_alu instid0(VALU_DEP_1)
	v_cmpx_gt_u32_e64 s23, v13
	s_cbranch_execz .LBB1401_33
; %bb.32:
	v_add_nc_u32_e32 v13, s5, v44
	v_add_nc_u32_e32 v14, s7, v44
	s_delay_alu instid0(VALU_DEP_2) | instskip(NEXT) | instid1(VALU_DEP_2)
	v_mul_lo_u32 v13, v13, s4
	v_mul_lo_u32 v14, v14, s6
	s_delay_alu instid0(VALU_DEP_1) | instskip(NEXT) | instid1(VALU_DEP_1)
	v_sub_nc_u32_e32 v13, v13, v14
	v_cmp_lt_u32_e32 vcc_lo, s3, v13
	s_wait_alu 0xfffd
	v_cndmask_b32_e64 v46, 0, 1, vcc_lo
.LBB1401_33:
	s_or_b32 exec_lo, exec_lo, s0
	v_lshlrev_b16 v2, 8, v2
	v_lshlrev_b16 v4, 8, v4
	;; [unrolled: 1-line block ×5, first 2 shown]
	v_or_b32_e32 v1, v1, v2
	v_lshlrev_b16 v2, 8, v12
	v_or_b32_e32 v3, v3, v4
	v_or_b32_e32 v4, v5, v6
	;; [unrolled: 1-line block ×5, first 2 shown]
	v_and_b32_e32 v1, 0xffff, v1
	v_lshlrev_b32_e32 v3, 16, v3
	v_and_b32_e32 v4, 0xffff, v4
	v_lshlrev_b32_e32 v5, 16, v5
	;; [unrolled: 2-line block ×3, first 2 shown]
	v_or_b32_e32 v51, v1, v3
	s_delay_alu instid0(VALU_DEP_4) | instskip(NEXT) | instid1(VALU_DEP_3)
	v_or_b32_e32 v49, v4, v5
	v_or_b32_e32 v47, v6, v2
.LBB1401_34:
	s_delay_alu instid0(VALU_DEP_3)
	v_and_b32_e32 v53, 0xff, v51
	v_bfe_u32 v54, v51, 8, 8
	v_bfe_u32 v55, v51, 16, 8
	v_lshrrev_b32_e32 v52, 24, v51
	v_and_b32_e32 v56, 0xff, v49
	v_bfe_u32 v57, v49, 8, 8
	v_bfe_u32 v58, v49, 16, 8
	v_add3_u32 v1, v54, v53, v55
	v_lshrrev_b32_e32 v50, 24, v49
	v_and_b32_e32 v59, 0xff, v47
	v_bfe_u32 v60, v47, 8, 8
	v_mbcnt_lo_u32_b32 v62, -1, 0
	v_add3_u32 v1, v1, v52, v56
	v_bfe_u32 v61, v47, 16, 8
	v_lshrrev_b32_e32 v48, 24, v47
	v_and_b32_e32 v2, 0xff, v46
	v_and_b32_e32 v3, 15, v62
	v_add3_u32 v1, v1, v57, v58
	v_or_b32_e32 v4, 31, v0
	v_and_b32_e32 v5, 16, v62
	v_lshrrev_b32_e32 v63, 5, v0
	v_cmp_eq_u32_e64 s5, 0, v3
	v_add3_u32 v1, v1, v50, v59
	v_cmp_lt_u32_e64 s4, 1, v3
	v_cmp_lt_u32_e64 s3, 3, v3
	v_cmp_lt_u32_e64 s2, 7, v3
	v_cmp_eq_u32_e64 s1, 0, v5
	v_add3_u32 v1, v1, v60, v61
	v_cmp_eq_u32_e64 s0, v0, v4
	s_cmp_lg_u32 ttmp9, 0
	s_mov_b32 s6, -1
	v_add3_u32 v64, v1, v48, v2
	s_cbranch_scc0 .LBB1401_55
; %bb.35:
	s_delay_alu instid0(VALU_DEP_1) | instskip(SKIP_1) | instid1(VALU_DEP_1)
	v_mov_b32_dpp v1, v64 row_shr:1 row_mask:0xf bank_mask:0xf
	s_wait_alu 0xf1ff
	v_cndmask_b32_e64 v1, v1, 0, s5
	s_delay_alu instid0(VALU_DEP_1) | instskip(NEXT) | instid1(VALU_DEP_1)
	v_add_nc_u32_e32 v1, v1, v64
	v_mov_b32_dpp v2, v1 row_shr:2 row_mask:0xf bank_mask:0xf
	s_delay_alu instid0(VALU_DEP_1) | instskip(NEXT) | instid1(VALU_DEP_1)
	v_cndmask_b32_e64 v2, 0, v2, s4
	v_add_nc_u32_e32 v1, v1, v2
	s_delay_alu instid0(VALU_DEP_1) | instskip(NEXT) | instid1(VALU_DEP_1)
	v_mov_b32_dpp v2, v1 row_shr:4 row_mask:0xf bank_mask:0xf
	v_cndmask_b32_e64 v2, 0, v2, s3
	s_delay_alu instid0(VALU_DEP_1) | instskip(NEXT) | instid1(VALU_DEP_1)
	v_add_nc_u32_e32 v1, v1, v2
	v_mov_b32_dpp v2, v1 row_shr:8 row_mask:0xf bank_mask:0xf
	s_delay_alu instid0(VALU_DEP_1) | instskip(NEXT) | instid1(VALU_DEP_1)
	v_cndmask_b32_e64 v2, 0, v2, s2
	v_add_nc_u32_e32 v1, v1, v2
	ds_swizzle_b32 v2, v1 offset:swizzle(BROADCAST,32,15)
	s_wait_dscnt 0x0
	v_cndmask_b32_e64 v2, v2, 0, s1
	s_delay_alu instid0(VALU_DEP_1)
	v_add_nc_u32_e32 v1, v1, v2
	s_and_saveexec_b32 s6, s0
; %bb.36:
	v_lshlrev_b32_e32 v2, 2, v63
	ds_store_b32 v2, v1
; %bb.37:
	s_wait_alu 0xfffe
	s_or_b32 exec_lo, exec_lo, s6
	s_delay_alu instid0(SALU_CYCLE_1)
	s_mov_b32 s6, exec_lo
	s_wait_loadcnt_dscnt 0x0
	s_barrier_signal -1
	s_barrier_wait -1
	global_inv scope:SCOPE_SE
	v_cmpx_gt_u32_e32 8, v0
	s_cbranch_execz .LBB1401_39
; %bb.38:
	ds_load_b32 v2, v42
	s_wait_dscnt 0x0
	v_mov_b32_dpp v4, v2 row_shr:1 row_mask:0xf bank_mask:0xf
	v_and_b32_e32 v3, 7, v62
	s_delay_alu instid0(VALU_DEP_1) | instskip(SKIP_1) | instid1(VALU_DEP_3)
	v_cmp_ne_u32_e32 vcc_lo, 0, v3
	s_wait_alu 0xfffd
	v_cndmask_b32_e32 v4, 0, v4, vcc_lo
	v_cmp_lt_u32_e32 vcc_lo, 1, v3
	s_delay_alu instid0(VALU_DEP_2) | instskip(NEXT) | instid1(VALU_DEP_1)
	v_add_nc_u32_e32 v2, v4, v2
	v_mov_b32_dpp v4, v2 row_shr:2 row_mask:0xf bank_mask:0xf
	s_wait_alu 0xfffd
	s_delay_alu instid0(VALU_DEP_1) | instskip(SKIP_1) | instid1(VALU_DEP_2)
	v_cndmask_b32_e32 v4, 0, v4, vcc_lo
	v_cmp_lt_u32_e32 vcc_lo, 3, v3
	v_add_nc_u32_e32 v2, v2, v4
	s_delay_alu instid0(VALU_DEP_1) | instskip(SKIP_1) | instid1(VALU_DEP_1)
	v_mov_b32_dpp v4, v2 row_shr:4 row_mask:0xf bank_mask:0xf
	s_wait_alu 0xfffd
	v_cndmask_b32_e32 v3, 0, v4, vcc_lo
	s_delay_alu instid0(VALU_DEP_1)
	v_add_nc_u32_e32 v2, v2, v3
	ds_store_b32 v42, v2
.LBB1401_39:
	s_wait_alu 0xfffe
	s_or_b32 exec_lo, exec_lo, s6
	s_delay_alu instid0(SALU_CYCLE_1)
	s_mov_b32 s7, exec_lo
	v_cmp_gt_u32_e32 vcc_lo, 32, v0
	s_wait_loadcnt_dscnt 0x0
	s_barrier_signal -1
	s_barrier_wait -1
	global_inv scope:SCOPE_SE
                                        ; implicit-def: $vgpr9
	v_cmpx_lt_u32_e32 31, v0
	s_cbranch_execz .LBB1401_41
; %bb.40:
	v_lshl_add_u32 v2, v63, 2, -4
	ds_load_b32 v9, v2
	s_wait_dscnt 0x0
	v_add_nc_u32_e32 v1, v9, v1
.LBB1401_41:
	s_wait_alu 0xfffe
	s_or_b32 exec_lo, exec_lo, s7
	v_sub_co_u32 v2, s6, v62, 1
	s_delay_alu instid0(VALU_DEP_1) | instskip(SKIP_1) | instid1(VALU_DEP_1)
	v_cmp_gt_i32_e64 s7, 0, v2
	s_wait_alu 0xf1ff
	v_cndmask_b32_e64 v2, v2, v62, s7
	s_delay_alu instid0(VALU_DEP_1)
	v_lshlrev_b32_e32 v2, 2, v2
	ds_bpermute_b32 v10, v2, v1
	s_and_saveexec_b32 s7, vcc_lo
	s_cbranch_execz .LBB1401_60
; %bb.42:
	v_mov_b32_e32 v5, 0
	ds_load_b32 v1, v5 offset:28
	s_and_saveexec_b32 s17, s6
	s_cbranch_execz .LBB1401_44
; %bb.43:
	s_add_co_i32 s24, ttmp9, 32
	s_mov_b32 s25, 0
	v_mov_b32_e32 v2, 1
	s_lshl_b64 s[24:25], s[24:25], 3
	s_wait_kmcnt 0x0
	s_add_nc_u64 s[24:25], s[20:21], s[24:25]
	s_wait_dscnt 0x0
	global_store_b64 v5, v[1:2], s[24:25] scope:SCOPE_DEV
.LBB1401_44:
	s_or_b32 exec_lo, exec_lo, s17
	v_xad_u32 v3, v62, -1, ttmp9
	s_mov_b32 s24, 0
	s_mov_b32 s17, exec_lo
	s_delay_alu instid0(VALU_DEP_1) | instskip(NEXT) | instid1(VALU_DEP_1)
	v_add_nc_u32_e32 v4, 32, v3
	v_lshlrev_b64_e32 v[4:5], 3, v[4:5]
	s_wait_kmcnt 0x0
	s_delay_alu instid0(VALU_DEP_1) | instskip(SKIP_1) | instid1(VALU_DEP_2)
	v_add_co_u32 v7, vcc_lo, s20, v4
	s_wait_alu 0xfffd
	v_add_co_ci_u32_e64 v8, null, s21, v5, vcc_lo
	global_load_b64 v[5:6], v[7:8], off scope:SCOPE_DEV
	s_wait_loadcnt 0x0
	v_and_b32_e32 v2, 0xff, v6
	s_delay_alu instid0(VALU_DEP_1)
	v_cmpx_eq_u16_e32 0, v2
	s_cbranch_execz .LBB1401_47
.LBB1401_45:                            ; =>This Inner Loop Header: Depth=1
	global_load_b64 v[5:6], v[7:8], off scope:SCOPE_DEV
	s_wait_loadcnt 0x0
	v_and_b32_e32 v2, 0xff, v6
	s_delay_alu instid0(VALU_DEP_1) | instskip(SKIP_1) | instid1(SALU_CYCLE_1)
	v_cmp_ne_u16_e32 vcc_lo, 0, v2
	s_or_b32 s24, vcc_lo, s24
	s_and_not1_b32 exec_lo, exec_lo, s24
	s_cbranch_execnz .LBB1401_45
; %bb.46:
	s_or_b32 exec_lo, exec_lo, s24
.LBB1401_47:
	s_delay_alu instid0(SALU_CYCLE_1)
	s_or_b32 exec_lo, exec_lo, s17
	v_cmp_ne_u32_e32 vcc_lo, 31, v62
	v_lshlrev_b32_e64 v12, v62, -1
	v_add_nc_u32_e32 v14, 2, v62
	v_add_nc_u32_e32 v16, 4, v62
	;; [unrolled: 1-line block ×3, first 2 shown]
	s_wait_alu 0xfffd
	v_add_co_ci_u32_e64 v2, null, 0, v62, vcc_lo
	v_lshl_or_b32 v66, v62, 2, 64
	v_add_nc_u32_e32 v67, 16, v62
	s_delay_alu instid0(VALU_DEP_3)
	v_lshlrev_b32_e32 v11, 2, v2
	v_and_b32_e32 v2, 0xff, v6
	ds_bpermute_b32 v4, v11, v5
	v_cmp_eq_u16_e32 vcc_lo, 2, v2
	s_wait_alu 0xfffd
	v_and_or_b32 v2, vcc_lo, v12, 0x80000000
	v_cmp_gt_u32_e32 vcc_lo, 30, v62
	s_delay_alu instid0(VALU_DEP_2) | instskip(SKIP_2) | instid1(VALU_DEP_2)
	v_ctz_i32_b32_e32 v2, v2
	s_wait_alu 0xfffd
	v_cndmask_b32_e64 v7, 0, 2, vcc_lo
	v_cmp_lt_u32_e32 vcc_lo, v62, v2
	s_delay_alu instid0(VALU_DEP_2) | instskip(SKIP_4) | instid1(VALU_DEP_2)
	v_add_lshl_u32 v13, v7, v62, 2
	s_wait_dscnt 0x0
	s_wait_alu 0xfffd
	v_cndmask_b32_e32 v4, 0, v4, vcc_lo
	v_cmp_gt_u32_e32 vcc_lo, 28, v62
	v_add_nc_u32_e32 v4, v4, v5
	s_wait_alu 0xfffd
	v_cndmask_b32_e64 v7, 0, 4, vcc_lo
	v_cmp_le_u32_e32 vcc_lo, v14, v2
	ds_bpermute_b32 v5, v13, v4
	v_add_lshl_u32 v15, v7, v62, 2
	s_wait_dscnt 0x0
	s_wait_alu 0xfffd
	v_cndmask_b32_e32 v5, 0, v5, vcc_lo
	v_cmp_gt_u32_e32 vcc_lo, 24, v62
	s_delay_alu instid0(VALU_DEP_2)
	v_add_nc_u32_e32 v4, v4, v5
	s_wait_alu 0xfffd
	v_cndmask_b32_e64 v7, 0, 8, vcc_lo
	v_cmp_le_u32_e32 vcc_lo, v16, v2
	ds_bpermute_b32 v5, v15, v4
	v_add_lshl_u32 v17, v7, v62, 2
	s_wait_dscnt 0x0
	s_wait_alu 0xfffd
	v_cndmask_b32_e32 v5, 0, v5, vcc_lo
	v_cmp_le_u32_e32 vcc_lo, v65, v2
	s_delay_alu instid0(VALU_DEP_2)
	v_add_nc_u32_e32 v4, v4, v5
	ds_bpermute_b32 v5, v17, v4
	s_wait_dscnt 0x0
	s_wait_alu 0xfffd
	v_cndmask_b32_e32 v5, 0, v5, vcc_lo
	v_cmp_le_u32_e32 vcc_lo, v67, v2
	s_delay_alu instid0(VALU_DEP_2) | instskip(SKIP_4) | instid1(VALU_DEP_1)
	v_add_nc_u32_e32 v4, v4, v5
	ds_bpermute_b32 v5, v66, v4
	s_wait_dscnt 0x0
	s_wait_alu 0xfffd
	v_cndmask_b32_e32 v2, 0, v5, vcc_lo
	v_dual_mov_b32 v4, 0 :: v_dual_add_nc_u32 v5, v4, v2
	s_branch .LBB1401_51
.LBB1401_48:                            ;   in Loop: Header=BB1401_51 Depth=1
	s_or_b32 exec_lo, exec_lo, s24
.LBB1401_49:                            ;   in Loop: Header=BB1401_51 Depth=1
	s_delay_alu instid0(SALU_CYCLE_1) | instskip(SKIP_4) | instid1(VALU_DEP_2)
	s_or_b32 exec_lo, exec_lo, s17
	ds_bpermute_b32 v8, v11, v5
	v_and_b32_e32 v7, 0xff, v6
	v_subrev_nc_u32_e32 v3, 32, v3
	s_mov_b32 s17, 0
	v_cmp_eq_u16_e32 vcc_lo, 2, v7
	s_wait_alu 0xfffd
	v_and_or_b32 v7, vcc_lo, v12, 0x80000000
	s_delay_alu instid0(VALU_DEP_1) | instskip(NEXT) | instid1(VALU_DEP_1)
	v_ctz_i32_b32_e32 v7, v7
	v_cmp_lt_u32_e32 vcc_lo, v62, v7
	s_wait_dscnt 0x0
	s_wait_alu 0xfffd
	v_cndmask_b32_e32 v8, 0, v8, vcc_lo
	v_cmp_le_u32_e32 vcc_lo, v14, v7
	s_delay_alu instid0(VALU_DEP_2)
	v_add_nc_u32_e32 v5, v8, v5
	ds_bpermute_b32 v8, v13, v5
	s_wait_dscnt 0x0
	s_wait_alu 0xfffd
	v_cndmask_b32_e32 v8, 0, v8, vcc_lo
	v_cmp_le_u32_e32 vcc_lo, v16, v7
	s_delay_alu instid0(VALU_DEP_2)
	v_add_nc_u32_e32 v5, v5, v8
	ds_bpermute_b32 v8, v15, v5
	;; [unrolled: 7-line block ×3, first 2 shown]
	s_wait_dscnt 0x0
	s_wait_alu 0xfffd
	v_cndmask_b32_e32 v8, 0, v8, vcc_lo
	v_cmp_le_u32_e32 vcc_lo, v67, v7
	s_delay_alu instid0(VALU_DEP_2) | instskip(SKIP_4) | instid1(VALU_DEP_1)
	v_add_nc_u32_e32 v5, v5, v8
	ds_bpermute_b32 v8, v66, v5
	s_wait_dscnt 0x0
	s_wait_alu 0xfffd
	v_cndmask_b32_e32 v7, 0, v8, vcc_lo
	v_add3_u32 v5, v7, v2, v5
.LBB1401_50:                            ;   in Loop: Header=BB1401_51 Depth=1
	s_and_b32 vcc_lo, exec_lo, s17
	s_wait_alu 0xfffe
	s_cbranch_vccnz .LBB1401_56
.LBB1401_51:                            ; =>This Loop Header: Depth=1
                                        ;     Child Loop BB1401_54 Depth 2
	v_and_b32_e32 v2, 0xff, v6
	s_mov_b32 s17, -1
                                        ; implicit-def: $vgpr6
	s_delay_alu instid0(VALU_DEP_1)
	v_cmp_ne_u16_e32 vcc_lo, 2, v2
	v_mov_b32_e32 v2, v5
                                        ; implicit-def: $vgpr5
	s_cmp_lg_u32 vcc_lo, exec_lo
	s_cbranch_scc1 .LBB1401_50
; %bb.52:                               ;   in Loop: Header=BB1401_51 Depth=1
	v_lshlrev_b64_e32 v[5:6], 3, v[3:4]
	s_mov_b32 s17, exec_lo
	s_delay_alu instid0(VALU_DEP_1) | instskip(SKIP_1) | instid1(VALU_DEP_2)
	v_add_co_u32 v7, vcc_lo, s20, v5
	s_wait_alu 0xfffd
	v_add_co_ci_u32_e64 v8, null, s21, v6, vcc_lo
	global_load_b64 v[5:6], v[7:8], off scope:SCOPE_DEV
	s_wait_loadcnt 0x0
	v_and_b32_e32 v68, 0xff, v6
	s_delay_alu instid0(VALU_DEP_1)
	v_cmpx_eq_u16_e32 0, v68
	s_cbranch_execz .LBB1401_49
; %bb.53:                               ;   in Loop: Header=BB1401_51 Depth=1
	s_mov_b32 s24, 0
.LBB1401_54:                            ;   Parent Loop BB1401_51 Depth=1
                                        ; =>  This Inner Loop Header: Depth=2
	global_load_b64 v[5:6], v[7:8], off scope:SCOPE_DEV
	s_wait_loadcnt 0x0
	v_and_b32_e32 v68, 0xff, v6
	s_delay_alu instid0(VALU_DEP_1) | instskip(SKIP_1) | instid1(SALU_CYCLE_1)
	v_cmp_ne_u16_e32 vcc_lo, 0, v68
	s_or_b32 s24, vcc_lo, s24
	s_and_not1_b32 exec_lo, exec_lo, s24
	s_cbranch_execnz .LBB1401_54
	s_branch .LBB1401_48
.LBB1401_55:
                                        ; implicit-def: $vgpr17
                                        ; implicit-def: $vgpr1_vgpr2_vgpr3_vgpr4_vgpr5_vgpr6_vgpr7_vgpr8_vgpr9_vgpr10_vgpr11_vgpr12_vgpr13_vgpr14_vgpr15_vgpr16
	s_wait_alu 0xfffe
	s_and_b32 vcc_lo, exec_lo, s6
	s_wait_alu 0xfffe
	s_cbranch_vccnz .LBB1401_61
	s_branch .LBB1401_70
.LBB1401_56:
	s_and_saveexec_b32 s17, s6
	s_cbranch_execz .LBB1401_58
; %bb.57:
	s_add_co_i32 s24, ttmp9, 32
	s_mov_b32 s25, 0
	v_dual_mov_b32 v4, 2 :: v_dual_add_nc_u32 v3, v2, v1
	v_mov_b32_e32 v5, 0
	s_lshl_b64 s[24:25], s[24:25], 3
	s_delay_alu instid0(SALU_CYCLE_1)
	s_add_nc_u64 s[24:25], s[20:21], s[24:25]
	global_store_b64 v5, v[3:4], s[24:25] scope:SCOPE_DEV
	ds_store_b64 v5, v[1:2] offset:13312
.LBB1401_58:
	s_or_b32 exec_lo, exec_lo, s17
	v_cmp_eq_u32_e32 vcc_lo, 0, v0
	s_and_b32 exec_lo, exec_lo, vcc_lo
; %bb.59:
	v_mov_b32_e32 v1, 0
	ds_store_b32 v1, v2 offset:28
.LBB1401_60:
	s_wait_alu 0xfffe
	s_or_b32 exec_lo, exec_lo, s7
	s_wait_dscnt 0x0
	v_cndmask_b32_e64 v2, v10, v9, s6
	v_cmp_ne_u32_e32 vcc_lo, 0, v0
	v_mov_b32_e32 v11, 0
	s_wait_loadcnt 0x0
	s_wait_storecnt 0x0
	s_barrier_signal -1
	s_barrier_wait -1
	global_inv scope:SCOPE_SE
	s_wait_alu 0xfffd
	v_cndmask_b32_e32 v2, 0, v2, vcc_lo
	ds_load_b32 v1, v11 offset:28
	s_wait_loadcnt_dscnt 0x0
	s_barrier_signal -1
	s_barrier_wait -1
	global_inv scope:SCOPE_SE
	ds_load_b64 v[16:17], v11 offset:13312
	v_add_nc_u32_e32 v1, v1, v2
	s_delay_alu instid0(VALU_DEP_1) | instskip(NEXT) | instid1(VALU_DEP_1)
	v_add_nc_u32_e32 v2, v1, v53
	v_add_nc_u32_e32 v3, v2, v54
	s_delay_alu instid0(VALU_DEP_1) | instskip(NEXT) | instid1(VALU_DEP_1)
	v_add_nc_u32_e32 v4, v3, v55
	;; [unrolled: 3-line block ×6, first 2 shown]
	v_add_nc_u32_e32 v13, v12, v48
	s_branch .LBB1401_70
.LBB1401_61:
	v_mov_b32_dpp v1, v64 row_shr:1 row_mask:0xf bank_mask:0xf
	s_delay_alu instid0(VALU_DEP_1) | instskip(NEXT) | instid1(VALU_DEP_1)
	v_cndmask_b32_e64 v1, v1, 0, s5
	v_add_nc_u32_e32 v1, v1, v64
	s_delay_alu instid0(VALU_DEP_1) | instskip(NEXT) | instid1(VALU_DEP_1)
	v_mov_b32_dpp v2, v1 row_shr:2 row_mask:0xf bank_mask:0xf
	v_cndmask_b32_e64 v2, 0, v2, s4
	s_delay_alu instid0(VALU_DEP_1) | instskip(NEXT) | instid1(VALU_DEP_1)
	v_add_nc_u32_e32 v1, v1, v2
	v_mov_b32_dpp v2, v1 row_shr:4 row_mask:0xf bank_mask:0xf
	s_delay_alu instid0(VALU_DEP_1) | instskip(NEXT) | instid1(VALU_DEP_1)
	v_cndmask_b32_e64 v2, 0, v2, s3
	v_add_nc_u32_e32 v1, v1, v2
	s_delay_alu instid0(VALU_DEP_1) | instskip(NEXT) | instid1(VALU_DEP_1)
	v_mov_b32_dpp v2, v1 row_shr:8 row_mask:0xf bank_mask:0xf
	v_cndmask_b32_e64 v2, 0, v2, s2
	s_delay_alu instid0(VALU_DEP_1) | instskip(SKIP_3) | instid1(VALU_DEP_1)
	v_add_nc_u32_e32 v1, v1, v2
	ds_swizzle_b32 v2, v1 offset:swizzle(BROADCAST,32,15)
	s_wait_dscnt 0x0
	v_cndmask_b32_e64 v2, v2, 0, s1
	v_add_nc_u32_e32 v1, v1, v2
	s_and_saveexec_b32 s1, s0
; %bb.62:
	v_lshlrev_b32_e32 v2, 2, v63
	ds_store_b32 v2, v1
; %bb.63:
	s_wait_alu 0xfffe
	s_or_b32 exec_lo, exec_lo, s1
	s_delay_alu instid0(SALU_CYCLE_1)
	s_mov_b32 s0, exec_lo
	s_wait_loadcnt_dscnt 0x0
	s_barrier_signal -1
	s_barrier_wait -1
	global_inv scope:SCOPE_SE
	v_cmpx_gt_u32_e32 8, v0
	s_cbranch_execz .LBB1401_65
; %bb.64:
	ds_load_b32 v2, v42
	s_wait_dscnt 0x0
	v_mov_b32_dpp v4, v2 row_shr:1 row_mask:0xf bank_mask:0xf
	v_and_b32_e32 v3, 7, v62
	s_delay_alu instid0(VALU_DEP_1) | instskip(SKIP_1) | instid1(VALU_DEP_3)
	v_cmp_ne_u32_e32 vcc_lo, 0, v3
	s_wait_alu 0xfffd
	v_cndmask_b32_e32 v4, 0, v4, vcc_lo
	v_cmp_lt_u32_e32 vcc_lo, 1, v3
	s_delay_alu instid0(VALU_DEP_2) | instskip(NEXT) | instid1(VALU_DEP_1)
	v_add_nc_u32_e32 v2, v4, v2
	v_mov_b32_dpp v4, v2 row_shr:2 row_mask:0xf bank_mask:0xf
	s_wait_alu 0xfffd
	s_delay_alu instid0(VALU_DEP_1) | instskip(SKIP_1) | instid1(VALU_DEP_2)
	v_cndmask_b32_e32 v4, 0, v4, vcc_lo
	v_cmp_lt_u32_e32 vcc_lo, 3, v3
	v_add_nc_u32_e32 v2, v2, v4
	s_delay_alu instid0(VALU_DEP_1) | instskip(SKIP_1) | instid1(VALU_DEP_1)
	v_mov_b32_dpp v4, v2 row_shr:4 row_mask:0xf bank_mask:0xf
	s_wait_alu 0xfffd
	v_cndmask_b32_e32 v3, 0, v4, vcc_lo
	s_delay_alu instid0(VALU_DEP_1)
	v_add_nc_u32_e32 v2, v2, v3
	ds_store_b32 v42, v2
.LBB1401_65:
	s_wait_alu 0xfffe
	s_or_b32 exec_lo, exec_lo, s0
	v_dual_mov_b32 v3, 0 :: v_dual_mov_b32 v2, 0
	s_mov_b32 s0, exec_lo
	s_wait_loadcnt_dscnt 0x0
	s_barrier_signal -1
	s_barrier_wait -1
	global_inv scope:SCOPE_SE
	v_cmpx_lt_u32_e32 31, v0
; %bb.66:
	v_lshl_add_u32 v2, v63, 2, -4
	ds_load_b32 v2, v2
; %bb.67:
	s_wait_alu 0xfffe
	s_or_b32 exec_lo, exec_lo, s0
	v_sub_co_u32 v4, vcc_lo, v62, 1
	s_wait_dscnt 0x0
	v_add_nc_u32_e32 v1, v2, v1
	ds_load_b32 v16, v3 offset:28
	v_cmp_gt_i32_e64 s0, 0, v4
	s_wait_alu 0xf1ff
	s_delay_alu instid0(VALU_DEP_1) | instskip(SKIP_1) | instid1(VALU_DEP_2)
	v_cndmask_b32_e64 v4, v4, v62, s0
	v_cmp_eq_u32_e64 s0, 0, v0
	v_lshlrev_b32_e32 v4, 2, v4
	ds_bpermute_b32 v1, v4, v1
	s_and_saveexec_b32 s1, s0
	s_cbranch_execz .LBB1401_69
; %bb.68:
	v_mov_b32_e32 v3, 0
	v_mov_b32_e32 v17, 2
	s_wait_dscnt 0x1
	s_wait_kmcnt 0x0
	global_store_b64 v3, v[16:17], s[20:21] offset:256 scope:SCOPE_DEV
.LBB1401_69:
	s_wait_alu 0xfffe
	s_or_b32 exec_lo, exec_lo, s1
	s_wait_dscnt 0x0
	s_wait_alu 0xfffd
	v_cndmask_b32_e32 v1, v1, v2, vcc_lo
	s_wait_loadcnt 0x0
	s_wait_storecnt 0x0
	s_barrier_signal -1
	s_barrier_wait -1
	global_inv scope:SCOPE_SE
	v_cndmask_b32_e64 v1, v1, 0, s0
	s_delay_alu instid0(VALU_DEP_1) | instskip(NEXT) | instid1(VALU_DEP_1)
	v_dual_mov_b32 v17, 0 :: v_dual_add_nc_u32 v2, v1, v53
	v_add_nc_u32_e32 v3, v2, v54
	s_delay_alu instid0(VALU_DEP_1) | instskip(NEXT) | instid1(VALU_DEP_1)
	v_add_nc_u32_e32 v4, v3, v55
	v_add_nc_u32_e32 v5, v4, v52
	s_delay_alu instid0(VALU_DEP_1) | instskip(NEXT) | instid1(VALU_DEP_1)
	v_add_nc_u32_e32 v6, v5, v56
	;; [unrolled: 3-line block ×5, first 2 shown]
	v_add_nc_u32_e32 v13, v12, v48
.LBB1401_70:
	v_lshrrev_b32_e32 v56, 8, v51
	v_lshrrev_b32_e32 v55, 16, v51
	s_wait_dscnt 0x0
	v_sub_nc_u32_e32 v1, v1, v17
	v_and_b32_e32 v51, 1, v51
	v_sub_nc_u32_e32 v3, v3, v17
	v_add_nc_u32_e32 v45, v16, v45
	v_sub_nc_u32_e32 v2, v2, v17
	v_sub_nc_u32_e32 v4, v4, v17
	v_cmp_eq_u32_e32 vcc_lo, 1, v51
	v_and_b32_e32 v51, 1, v55
	v_sub_nc_u32_e32 v57, v45, v1
	v_and_b32_e32 v56, 1, v56
	v_sub_nc_u32_e32 v55, v45, v2
	v_lshrrev_b32_e32 v54, 8, v49
	v_lshrrev_b32_e32 v53, 16, v49
	s_wait_alu 0xfffd
	v_cndmask_b32_e32 v1, v57, v1, vcc_lo
	v_sub_nc_u32_e32 v57, v45, v3
	v_add_nc_u32_e32 v55, 1, v55
	v_cmp_eq_u32_e32 vcc_lo, 1, v56
	v_and_b32_e32 v52, 1, v52
	v_lshlrev_b32_e32 v1, 2, v1
	v_add_nc_u32_e32 v57, 2, v57
	v_lshrrev_b32_e32 v15, 8, v47
	v_lshrrev_b32_e32 v14, 16, v47
	ds_store_b32 v1, v28
	s_wait_alu 0xfffd
	v_cndmask_b32_e32 v1, v55, v2, vcc_lo
	v_cmp_eq_u32_e32 vcc_lo, 1, v51
	s_wait_alu 0xfffd
	s_delay_alu instid0(VALU_DEP_2)
	v_dual_cndmask_b32 v2, v57, v3 :: v_dual_lshlrev_b32 v1, 2, v1
	v_sub_nc_u32_e32 v58, v45, v4
	v_cmp_eq_u32_e32 vcc_lo, 1, v52
	ds_store_b32 v1, v29
	v_lshlrev_b32_e32 v2, 2, v2
	v_add_nc_u32_e32 v58, 3, v58
	s_wait_alu 0xfffd
	s_delay_alu instid0(VALU_DEP_1) | instskip(SKIP_2) | instid1(VALU_DEP_3)
	v_cndmask_b32_e32 v3, v58, v4, vcc_lo
	v_sub_nc_u32_e32 v4, v5, v17
	v_sub_nc_u32_e32 v5, v6, v17
	v_lshlrev_b32_e32 v3, 2, v3
	s_delay_alu instid0(VALU_DEP_3) | instskip(NEXT) | instid1(VALU_DEP_3)
	v_sub_nc_u32_e32 v1, v45, v4
	v_sub_nc_u32_e32 v6, v45, v5
	ds_store_b32 v2, v26
	ds_store_b32 v3, v27
	v_and_b32_e32 v2, 1, v49
	v_add_nc_u32_e32 v1, 4, v1
	v_add_nc_u32_e32 v3, 5, v6
	v_sub_nc_u32_e32 v6, v7, v17
	v_and_b32_e32 v7, 1, v54
	v_cmp_eq_u32_e32 vcc_lo, 1, v2
	v_sub_nc_u32_e32 v2, v8, v17
	s_wait_alu 0xfffd
	v_dual_cndmask_b32 v1, v1, v4 :: v_dual_and_b32 v8, 1, v50
	v_sub_nc_u32_e32 v4, v45, v6
	v_cmp_eq_u32_e32 vcc_lo, 1, v7
	v_and_b32_e32 v7, 1, v53
	s_delay_alu instid0(VALU_DEP_4)
	v_lshlrev_b32_e32 v1, 2, v1
	s_wait_alu 0xfffd
	v_dual_cndmask_b32 v3, v3, v5 :: v_dual_add_nc_u32 v4, 6, v4
	v_sub_nc_u32_e32 v5, v45, v2
	v_cmp_eq_u32_e32 vcc_lo, 1, v7
	v_sub_nc_u32_e32 v7, v13, v17
	s_delay_alu instid0(VALU_DEP_4)
	v_lshlrev_b32_e32 v3, 2, v3
	s_wait_alu 0xfffd
	v_dual_cndmask_b32 v4, v4, v6 :: v_dual_add_nc_u32 v5, 7, v5
	v_cmp_eq_u32_e32 vcc_lo, 1, v8
	v_sub_nc_u32_e32 v6, v9, v17
	ds_store_b32 v1, v24
	ds_store_b32 v3, v25
	s_wait_alu 0xfffd
	v_dual_cndmask_b32 v2, v5, v2 :: v_dual_lshlrev_b32 v3, 2, v4
	v_and_b32_e32 v5, 1, v47
	v_sub_nc_u32_e32 v1, v45, v6
	v_sub_nc_u32_e32 v4, v10, v17
	v_and_b32_e32 v10, 1, v48
	s_delay_alu instid0(VALU_DEP_4) | instskip(SKIP_2) | instid1(VALU_DEP_2)
	v_cmp_eq_u32_e32 vcc_lo, 1, v5
	v_sub_nc_u32_e32 v5, v12, v17
	v_add_nc_u32_e32 v1, 8, v1
	v_sub_nc_u32_e32 v9, v45, v5
	s_wait_alu 0xfffd
	s_delay_alu instid0(VALU_DEP_2)
	v_dual_cndmask_b32 v1, v1, v6 :: v_dual_and_b32 v6, 1, v15
	s_wait_kmcnt 0x0
	v_add_co_u32 v15, s0, s18, v17
	v_add_nc_u32_e32 v9, 11, v9
	v_lshlrev_b32_e32 v2, 2, v2
	ds_store_b32 v3, v22
	ds_store_b32 v2, v23
	v_sub_nc_u32_e32 v3, v11, v17
	v_sub_nc_u32_e32 v2, v45, v4
	v_cmp_eq_u32_e32 vcc_lo, 1, v6
	v_and_b32_e32 v11, 1, v46
	v_lshlrev_b32_e32 v1, 2, v1
	v_sub_nc_u32_e32 v8, v45, v3
	v_add_nc_u32_e32 v2, 9, v2
	s_wait_alu 0xf1ff
	v_add_co_ci_u32_e64 v17, null, s19, 0, s0
	s_delay_alu instid0(VALU_DEP_3) | instskip(SKIP_4) | instid1(VALU_DEP_3)
	v_add_nc_u32_e32 v6, 10, v8
	v_and_b32_e32 v8, 1, v14
	s_wait_alu 0xfffd
	v_cndmask_b32_e32 v2, v2, v4, vcc_lo
	v_sub_nc_u32_e32 v4, v45, v7
	v_cmp_eq_u32_e32 vcc_lo, 1, v8
	s_delay_alu instid0(VALU_DEP_3) | instskip(SKIP_1) | instid1(VALU_DEP_3)
	v_lshlrev_b32_e32 v2, 2, v2
	s_wait_alu 0xfffd
	v_dual_cndmask_b32 v3, v6, v3 :: v_dual_add_nc_u32 v4, 12, v4
	v_cmp_eq_u32_e32 vcc_lo, 1, v10
	s_delay_alu instid0(VALU_DEP_2) | instskip(SKIP_4) | instid1(VALU_DEP_2)
	v_lshlrev_b32_e32 v3, 2, v3
	s_wait_alu 0xfffd
	v_cndmask_b32_e32 v5, v9, v5, vcc_lo
	v_cmp_eq_u32_e32 vcc_lo, 1, v11
	s_wait_alu 0xfffd
	v_dual_cndmask_b32 v4, v4, v7 :: v_dual_lshlrev_b32 v5, 2, v5
	v_cmp_ne_u32_e32 vcc_lo, 1, v43
	s_delay_alu instid0(VALU_DEP_2)
	v_lshlrev_b32_e32 v4, 2, v4
	ds_store_b32 v1, v20
	ds_store_b32 v2, v21
	;; [unrolled: 1-line block ×5, first 2 shown]
	s_wait_loadcnt_dscnt 0x0
	s_barrier_signal -1
	s_barrier_wait -1
	global_inv scope:SCOPE_SE
	ds_load_2addr_stride64_b32 v[11:12], v42 offset1:4
	ds_load_2addr_stride64_b32 v[9:10], v42 offset0:8 offset1:12
	ds_load_2addr_stride64_b32 v[7:8], v42 offset0:16 offset1:20
	;; [unrolled: 1-line block ×5, first 2 shown]
	ds_load_b32 v18, v42 offset:12288
	s_cbranch_vccnz .LBB1401_124
; %bb.71:
	s_mov_b32 s17, 0
	v_sub_co_u32 v13, vcc_lo, v15, s12
	s_sub_nc_u64 s[0:1], s[14:15], s[16:17]
	s_wait_alu 0xfffd
	v_subrev_co_ci_u32_e64 v14, null, s13, v17, vcc_lo
	s_wait_alu 0xfffe
	v_add_co_u32 v19, s0, s0, v16
	s_wait_alu 0xf1ff
	v_add_co_ci_u32_e64 v20, null, s1, 0, s0
	s_mov_b32 s0, exec_lo
	v_add_co_u32 v19, vcc_lo, v19, v13
	s_wait_alu 0xfffd
	v_add_co_ci_u32_e64 v20, null, v20, v14, vcc_lo
                                        ; implicit-def: $vgpr13_vgpr14
	v_cmpx_ge_u32_e64 v0, v16
	s_wait_alu 0xfffe
	s_xor_b32 s0, exec_lo, s0
; %bb.72:
	v_not_b32_e32 v13, v0
	s_delay_alu instid0(VALU_DEP_1) | instskip(SKIP_2) | instid1(VALU_DEP_2)
	v_ashrrev_i32_e32 v14, 31, v13
	v_add_co_u32 v13, vcc_lo, v19, v13
	s_wait_alu 0xfffd
	v_add_co_ci_u32_e64 v14, null, v20, v14, vcc_lo
; %bb.73:
	s_wait_alu 0xfffe
	s_and_not1_saveexec_b32 s0, s0
; %bb.74:
	v_add_co_u32 v13, vcc_lo, v15, v0
	s_wait_alu 0xfffd
	v_add_co_ci_u32_e64 v14, null, 0, v17, vcc_lo
; %bb.75:
	s_wait_alu 0xfffe
	s_or_b32 exec_lo, exec_lo, s0
	s_delay_alu instid0(VALU_DEP_1) | instskip(SKIP_1) | instid1(VALU_DEP_1)
	v_lshlrev_b64_e32 v[13:14], 2, v[13:14]
	s_mov_b32 s0, exec_lo
	v_add_co_u32 v13, vcc_lo, s10, v13
	s_wait_alu 0xfffd
	s_delay_alu instid0(VALU_DEP_2)
	v_add_co_ci_u32_e64 v14, null, s11, v14, vcc_lo
	s_wait_dscnt 0x6
	global_store_b32 v[13:14], v11, off
                                        ; implicit-def: $vgpr13_vgpr14
	v_cmpx_ge_u32_e64 v41, v16
	s_wait_alu 0xfffe
	s_xor_b32 s0, exec_lo, s0
; %bb.76:
	v_xor_b32_e32 v13, 0xfffffeff, v0
	s_delay_alu instid0(VALU_DEP_1) | instskip(SKIP_2) | instid1(VALU_DEP_2)
	v_ashrrev_i32_e32 v14, 31, v13
	v_add_co_u32 v13, vcc_lo, v19, v13
	s_wait_alu 0xfffd
	v_add_co_ci_u32_e64 v14, null, v20, v14, vcc_lo
; %bb.77:
	s_wait_alu 0xfffe
	s_and_not1_saveexec_b32 s0, s0
; %bb.78:
	v_add_co_u32 v13, vcc_lo, v15, v41
	s_wait_alu 0xfffd
	v_add_co_ci_u32_e64 v14, null, 0, v17, vcc_lo
; %bb.79:
	s_wait_alu 0xfffe
	s_or_b32 exec_lo, exec_lo, s0
	s_delay_alu instid0(VALU_DEP_1) | instskip(SKIP_1) | instid1(VALU_DEP_1)
	v_lshlrev_b64_e32 v[13:14], 2, v[13:14]
	s_mov_b32 s0, exec_lo
	v_add_co_u32 v13, vcc_lo, s10, v13
	s_wait_alu 0xfffd
	s_delay_alu instid0(VALU_DEP_2)
	v_add_co_ci_u32_e64 v14, null, s11, v14, vcc_lo
	global_store_b32 v[13:14], v12, off
                                        ; implicit-def: $vgpr13_vgpr14
	v_cmpx_ge_u32_e64 v40, v16
	s_wait_alu 0xfffe
	s_xor_b32 s0, exec_lo, s0
; %bb.80:
	v_xor_b32_e32 v13, 0xfffffdff, v0
	s_delay_alu instid0(VALU_DEP_1) | instskip(SKIP_2) | instid1(VALU_DEP_2)
	v_ashrrev_i32_e32 v14, 31, v13
	v_add_co_u32 v13, vcc_lo, v19, v13
	s_wait_alu 0xfffd
	v_add_co_ci_u32_e64 v14, null, v20, v14, vcc_lo
; %bb.81:
	s_wait_alu 0xfffe
	s_and_not1_saveexec_b32 s0, s0
; %bb.82:
	v_add_co_u32 v13, vcc_lo, v15, v40
	s_wait_alu 0xfffd
	v_add_co_ci_u32_e64 v14, null, 0, v17, vcc_lo
; %bb.83:
	s_wait_alu 0xfffe
	s_or_b32 exec_lo, exec_lo, s0
	s_delay_alu instid0(VALU_DEP_1) | instskip(SKIP_1) | instid1(VALU_DEP_1)
	v_lshlrev_b64_e32 v[13:14], 2, v[13:14]
	s_mov_b32 s0, exec_lo
	v_add_co_u32 v13, vcc_lo, s10, v13
	s_wait_alu 0xfffd
	s_delay_alu instid0(VALU_DEP_2)
	v_add_co_ci_u32_e64 v14, null, s11, v14, vcc_lo
	s_wait_dscnt 0x5
	global_store_b32 v[13:14], v9, off
                                        ; implicit-def: $vgpr13_vgpr14
	v_cmpx_ge_u32_e64 v39, v16
	s_wait_alu 0xfffe
	s_xor_b32 s0, exec_lo, s0
; %bb.84:
	v_xor_b32_e32 v13, 0xfffffcff, v0
	s_delay_alu instid0(VALU_DEP_1) | instskip(SKIP_2) | instid1(VALU_DEP_2)
	v_ashrrev_i32_e32 v14, 31, v13
	v_add_co_u32 v13, vcc_lo, v19, v13
	s_wait_alu 0xfffd
	v_add_co_ci_u32_e64 v14, null, v20, v14, vcc_lo
; %bb.85:
	s_wait_alu 0xfffe
	s_and_not1_saveexec_b32 s0, s0
; %bb.86:
	v_add_co_u32 v13, vcc_lo, v15, v39
	s_wait_alu 0xfffd
	v_add_co_ci_u32_e64 v14, null, 0, v17, vcc_lo
; %bb.87:
	s_wait_alu 0xfffe
	s_or_b32 exec_lo, exec_lo, s0
	s_delay_alu instid0(VALU_DEP_1) | instskip(SKIP_1) | instid1(VALU_DEP_1)
	v_lshlrev_b64_e32 v[13:14], 2, v[13:14]
	s_mov_b32 s0, exec_lo
	v_add_co_u32 v13, vcc_lo, s10, v13
	s_wait_alu 0xfffd
	s_delay_alu instid0(VALU_DEP_2)
	v_add_co_ci_u32_e64 v14, null, s11, v14, vcc_lo
	global_store_b32 v[13:14], v10, off
                                        ; implicit-def: $vgpr13_vgpr14
	v_cmpx_ge_u32_e64 v38, v16
	s_wait_alu 0xfffe
	s_xor_b32 s0, exec_lo, s0
; %bb.88:
	v_xor_b32_e32 v13, 0xfffffbff, v0
	;; [unrolled: 59-line block ×6, first 2 shown]
	s_delay_alu instid0(VALU_DEP_1) | instskip(SKIP_2) | instid1(VALU_DEP_2)
	v_ashrrev_i32_e32 v14, 31, v13
	v_add_co_u32 v13, vcc_lo, v19, v13
	s_wait_alu 0xfffd
	v_add_co_ci_u32_e64 v14, null, v20, v14, vcc_lo
; %bb.121:
	s_wait_alu 0xfffe
	s_and_not1_saveexec_b32 s0, s0
; %bb.122:
	v_add_co_u32 v13, vcc_lo, v15, v30
	s_wait_alu 0xfffd
	v_add_co_ci_u32_e64 v14, null, 0, v17, vcc_lo
; %bb.123:
	s_wait_alu 0xfffe
	s_or_b32 exec_lo, exec_lo, s0
	s_mov_b32 s0, -1
	s_branch .LBB1401_204
.LBB1401_124:
	s_mov_b32 s0, 0
                                        ; implicit-def: $vgpr13_vgpr14
	s_cbranch_execz .LBB1401_204
; %bb.125:
	s_mov_b32 s17, 0
	s_delay_alu instid0(SALU_CYCLE_1)
	s_add_nc_u64 s[2:3], s[12:13], s[16:17]
	s_wait_alu 0xfffe
	s_sub_nc_u64 s[2:3], s[14:15], s[2:3]
	s_wait_alu 0xfffe
	v_add_co_u32 v13, s1, s2, v16
	s_wait_alu 0xf1ff
	v_add_co_ci_u32_e64 v14, null, s3, 0, s1
	s_mov_b32 s1, exec_lo
	v_add_co_u32 v19, vcc_lo, v13, v15
	s_wait_alu 0xfffd
	v_add_co_ci_u32_e64 v20, null, v14, v17, vcc_lo
	v_cmpx_gt_u32_e64 s23, v0
	s_cbranch_execz .LBB1401_161
; %bb.126:
	s_mov_b32 s2, exec_lo
                                        ; implicit-def: $vgpr13_vgpr14
	v_cmpx_ge_u32_e64 v0, v16
	s_wait_alu 0xfffe
	s_xor_b32 s2, exec_lo, s2
; %bb.127:
	v_not_b32_e32 v13, v0
	s_delay_alu instid0(VALU_DEP_1) | instskip(SKIP_2) | instid1(VALU_DEP_2)
	v_ashrrev_i32_e32 v14, 31, v13
	v_add_co_u32 v13, vcc_lo, v19, v13
	s_wait_alu 0xfffd
	v_add_co_ci_u32_e64 v14, null, v20, v14, vcc_lo
; %bb.128:
	s_wait_alu 0xfffe
	s_and_not1_saveexec_b32 s2, s2
; %bb.129:
	v_add_co_u32 v13, vcc_lo, v15, v0
	s_wait_alu 0xfffd
	v_add_co_ci_u32_e64 v14, null, 0, v17, vcc_lo
; %bb.130:
	s_wait_alu 0xfffe
	s_or_b32 exec_lo, exec_lo, s2
	s_delay_alu instid0(VALU_DEP_1) | instskip(NEXT) | instid1(VALU_DEP_1)
	v_lshlrev_b64_e32 v[13:14], 2, v[13:14]
	v_add_co_u32 v13, vcc_lo, s10, v13
	s_wait_alu 0xfffd
	s_delay_alu instid0(VALU_DEP_2) | instskip(SKIP_3) | instid1(SALU_CYCLE_1)
	v_add_co_ci_u32_e64 v14, null, s11, v14, vcc_lo
	s_wait_dscnt 0x6
	global_store_b32 v[13:14], v11, off
	s_or_b32 exec_lo, exec_lo, s1
	s_mov_b32 s1, exec_lo
	v_cmpx_gt_u32_e64 s23, v41
	s_cbranch_execnz .LBB1401_162
.LBB1401_131:
	s_wait_alu 0xfffe
	s_or_b32 exec_lo, exec_lo, s1
	s_delay_alu instid0(SALU_CYCLE_1)
	s_mov_b32 s1, exec_lo
	v_cmpx_gt_u32_e64 s23, v40
	s_cbranch_execz .LBB1401_167
.LBB1401_132:
	s_mov_b32 s2, exec_lo
                                        ; implicit-def: $vgpr11_vgpr12
	v_cmpx_ge_u32_e64 v40, v16
	s_wait_alu 0xfffe
	s_xor_b32 s2, exec_lo, s2
	s_cbranch_execz .LBB1401_134
; %bb.133:
	s_wait_dscnt 0x6
	v_xor_b32_e32 v11, 0xfffffdff, v0
                                        ; implicit-def: $vgpr40
	s_delay_alu instid0(VALU_DEP_1) | instskip(SKIP_2) | instid1(VALU_DEP_2)
	v_ashrrev_i32_e32 v12, 31, v11
	v_add_co_u32 v11, vcc_lo, v19, v11
	s_wait_alu 0xfffd
	v_add_co_ci_u32_e64 v12, null, v20, v12, vcc_lo
.LBB1401_134:
	s_wait_alu 0xfffe
	s_and_not1_saveexec_b32 s2, s2
	s_cbranch_execz .LBB1401_136
; %bb.135:
	s_wait_dscnt 0x6
	v_add_co_u32 v11, vcc_lo, v15, v40
	s_wait_alu 0xfffd
	v_add_co_ci_u32_e64 v12, null, 0, v17, vcc_lo
.LBB1401_136:
	s_wait_alu 0xfffe
	s_or_b32 exec_lo, exec_lo, s2
	s_wait_dscnt 0x6
	s_delay_alu instid0(VALU_DEP_1) | instskip(NEXT) | instid1(VALU_DEP_1)
	v_lshlrev_b64_e32 v[11:12], 2, v[11:12]
	v_add_co_u32 v11, vcc_lo, s10, v11
	s_wait_alu 0xfffd
	s_delay_alu instid0(VALU_DEP_2) | instskip(SKIP_3) | instid1(SALU_CYCLE_1)
	v_add_co_ci_u32_e64 v12, null, s11, v12, vcc_lo
	s_wait_dscnt 0x5
	global_store_b32 v[11:12], v9, off
	s_or_b32 exec_lo, exec_lo, s1
	s_mov_b32 s1, exec_lo
	v_cmpx_gt_u32_e64 s23, v39
	s_cbranch_execnz .LBB1401_168
.LBB1401_137:
	s_wait_alu 0xfffe
	s_or_b32 exec_lo, exec_lo, s1
	s_delay_alu instid0(SALU_CYCLE_1)
	s_mov_b32 s1, exec_lo
	v_cmpx_gt_u32_e64 s23, v38
	s_cbranch_execz .LBB1401_173
.LBB1401_138:
	s_mov_b32 s2, exec_lo
                                        ; implicit-def: $vgpr9_vgpr10
	v_cmpx_ge_u32_e64 v38, v16
	s_wait_alu 0xfffe
	s_xor_b32 s2, exec_lo, s2
	s_cbranch_execz .LBB1401_140
; %bb.139:
	s_wait_dscnt 0x5
	v_xor_b32_e32 v9, 0xfffffbff, v0
                                        ; implicit-def: $vgpr38
	s_delay_alu instid0(VALU_DEP_1) | instskip(SKIP_2) | instid1(VALU_DEP_2)
	v_ashrrev_i32_e32 v10, 31, v9
	v_add_co_u32 v9, vcc_lo, v19, v9
	s_wait_alu 0xfffd
	v_add_co_ci_u32_e64 v10, null, v20, v10, vcc_lo
.LBB1401_140:
	s_wait_alu 0xfffe
	s_and_not1_saveexec_b32 s2, s2
	s_cbranch_execz .LBB1401_142
; %bb.141:
	s_wait_dscnt 0x5
	v_add_co_u32 v9, vcc_lo, v15, v38
	s_wait_alu 0xfffd
	v_add_co_ci_u32_e64 v10, null, 0, v17, vcc_lo
.LBB1401_142:
	s_wait_alu 0xfffe
	s_or_b32 exec_lo, exec_lo, s2
	s_wait_dscnt 0x5
	s_delay_alu instid0(VALU_DEP_1) | instskip(NEXT) | instid1(VALU_DEP_1)
	v_lshlrev_b64_e32 v[9:10], 2, v[9:10]
	v_add_co_u32 v9, vcc_lo, s10, v9
	s_wait_alu 0xfffd
	s_delay_alu instid0(VALU_DEP_2) | instskip(SKIP_3) | instid1(SALU_CYCLE_1)
	v_add_co_ci_u32_e64 v10, null, s11, v10, vcc_lo
	s_wait_dscnt 0x4
	global_store_b32 v[9:10], v7, off
	s_or_b32 exec_lo, exec_lo, s1
	s_mov_b32 s1, exec_lo
	v_cmpx_gt_u32_e64 s23, v37
	s_cbranch_execnz .LBB1401_174
.LBB1401_143:
	s_wait_alu 0xfffe
	s_or_b32 exec_lo, exec_lo, s1
	s_delay_alu instid0(SALU_CYCLE_1)
	s_mov_b32 s1, exec_lo
	v_cmpx_gt_u32_e64 s23, v36
	s_cbranch_execz .LBB1401_179
.LBB1401_144:
	s_mov_b32 s2, exec_lo
                                        ; implicit-def: $vgpr7_vgpr8
	v_cmpx_ge_u32_e64 v36, v16
	s_wait_alu 0xfffe
	s_xor_b32 s2, exec_lo, s2
	s_cbranch_execz .LBB1401_146
; %bb.145:
	s_wait_dscnt 0x4
	v_xor_b32_e32 v7, 0xfffff9ff, v0
                                        ; implicit-def: $vgpr36
	s_delay_alu instid0(VALU_DEP_1) | instskip(SKIP_2) | instid1(VALU_DEP_2)
	v_ashrrev_i32_e32 v8, 31, v7
	v_add_co_u32 v7, vcc_lo, v19, v7
	s_wait_alu 0xfffd
	v_add_co_ci_u32_e64 v8, null, v20, v8, vcc_lo
.LBB1401_146:
	s_wait_alu 0xfffe
	s_and_not1_saveexec_b32 s2, s2
	s_cbranch_execz .LBB1401_148
; %bb.147:
	s_wait_dscnt 0x4
	v_add_co_u32 v7, vcc_lo, v15, v36
	s_wait_alu 0xfffd
	v_add_co_ci_u32_e64 v8, null, 0, v17, vcc_lo
.LBB1401_148:
	s_wait_alu 0xfffe
	s_or_b32 exec_lo, exec_lo, s2
	s_wait_dscnt 0x4
	s_delay_alu instid0(VALU_DEP_1) | instskip(NEXT) | instid1(VALU_DEP_1)
	v_lshlrev_b64_e32 v[7:8], 2, v[7:8]
	v_add_co_u32 v7, vcc_lo, s10, v7
	s_wait_alu 0xfffd
	s_delay_alu instid0(VALU_DEP_2) | instskip(SKIP_3) | instid1(SALU_CYCLE_1)
	v_add_co_ci_u32_e64 v8, null, s11, v8, vcc_lo
	s_wait_dscnt 0x3
	global_store_b32 v[7:8], v5, off
	s_or_b32 exec_lo, exec_lo, s1
	s_mov_b32 s1, exec_lo
	v_cmpx_gt_u32_e64 s23, v35
	s_cbranch_execnz .LBB1401_180
.LBB1401_149:
	s_wait_alu 0xfffe
	s_or_b32 exec_lo, exec_lo, s1
	s_delay_alu instid0(SALU_CYCLE_1)
	s_mov_b32 s1, exec_lo
	v_cmpx_gt_u32_e64 s23, v34
	s_cbranch_execz .LBB1401_185
.LBB1401_150:
	s_mov_b32 s2, exec_lo
                                        ; implicit-def: $vgpr5_vgpr6
	v_cmpx_ge_u32_e64 v34, v16
	s_wait_alu 0xfffe
	s_xor_b32 s2, exec_lo, s2
	s_cbranch_execz .LBB1401_152
; %bb.151:
	s_wait_dscnt 0x3
	v_xor_b32_e32 v5, 0xfffff7ff, v0
                                        ; implicit-def: $vgpr34
	s_delay_alu instid0(VALU_DEP_1) | instskip(SKIP_2) | instid1(VALU_DEP_2)
	v_ashrrev_i32_e32 v6, 31, v5
	v_add_co_u32 v5, vcc_lo, v19, v5
	s_wait_alu 0xfffd
	v_add_co_ci_u32_e64 v6, null, v20, v6, vcc_lo
.LBB1401_152:
	s_wait_alu 0xfffe
	s_and_not1_saveexec_b32 s2, s2
	s_cbranch_execz .LBB1401_154
; %bb.153:
	s_wait_dscnt 0x3
	v_add_co_u32 v5, vcc_lo, v15, v34
	s_wait_alu 0xfffd
	v_add_co_ci_u32_e64 v6, null, 0, v17, vcc_lo
.LBB1401_154:
	s_wait_alu 0xfffe
	s_or_b32 exec_lo, exec_lo, s2
	s_wait_dscnt 0x3
	s_delay_alu instid0(VALU_DEP_1) | instskip(NEXT) | instid1(VALU_DEP_1)
	v_lshlrev_b64_e32 v[5:6], 2, v[5:6]
	v_add_co_u32 v5, vcc_lo, s10, v5
	s_wait_alu 0xfffd
	s_delay_alu instid0(VALU_DEP_2) | instskip(SKIP_3) | instid1(SALU_CYCLE_1)
	v_add_co_ci_u32_e64 v6, null, s11, v6, vcc_lo
	s_wait_dscnt 0x2
	global_store_b32 v[5:6], v3, off
	s_or_b32 exec_lo, exec_lo, s1
	s_mov_b32 s1, exec_lo
	v_cmpx_gt_u32_e64 s23, v33
	s_cbranch_execnz .LBB1401_186
.LBB1401_155:
	s_wait_alu 0xfffe
	s_or_b32 exec_lo, exec_lo, s1
	s_delay_alu instid0(SALU_CYCLE_1)
	s_mov_b32 s1, exec_lo
	v_cmpx_gt_u32_e64 s23, v32
	s_cbranch_execz .LBB1401_191
.LBB1401_156:
	s_mov_b32 s2, exec_lo
                                        ; implicit-def: $vgpr3_vgpr4
	v_cmpx_ge_u32_e64 v32, v16
	s_wait_alu 0xfffe
	s_xor_b32 s2, exec_lo, s2
	s_cbranch_execz .LBB1401_158
; %bb.157:
	s_wait_dscnt 0x2
	v_xor_b32_e32 v3, 0xfffff5ff, v0
                                        ; implicit-def: $vgpr32
	s_delay_alu instid0(VALU_DEP_1) | instskip(SKIP_2) | instid1(VALU_DEP_2)
	v_ashrrev_i32_e32 v4, 31, v3
	v_add_co_u32 v3, vcc_lo, v19, v3
	s_wait_alu 0xfffd
	v_add_co_ci_u32_e64 v4, null, v20, v4, vcc_lo
.LBB1401_158:
	s_wait_alu 0xfffe
	s_and_not1_saveexec_b32 s2, s2
	s_cbranch_execz .LBB1401_160
; %bb.159:
	s_wait_dscnt 0x2
	v_add_co_u32 v3, vcc_lo, v15, v32
	s_wait_alu 0xfffd
	v_add_co_ci_u32_e64 v4, null, 0, v17, vcc_lo
.LBB1401_160:
	s_wait_alu 0xfffe
	s_or_b32 exec_lo, exec_lo, s2
	s_wait_dscnt 0x2
	s_delay_alu instid0(VALU_DEP_1) | instskip(NEXT) | instid1(VALU_DEP_1)
	v_lshlrev_b64_e32 v[3:4], 2, v[3:4]
	v_add_co_u32 v3, vcc_lo, s10, v3
	s_wait_alu 0xfffd
	s_delay_alu instid0(VALU_DEP_2) | instskip(SKIP_3) | instid1(SALU_CYCLE_1)
	v_add_co_ci_u32_e64 v4, null, s11, v4, vcc_lo
	s_wait_dscnt 0x1
	global_store_b32 v[3:4], v1, off
	s_or_b32 exec_lo, exec_lo, s1
	s_mov_b32 s1, exec_lo
	v_cmpx_gt_u32_e64 s23, v31
	s_cbranch_execz .LBB1401_197
	s_branch .LBB1401_192
.LBB1401_161:
	s_wait_alu 0xfffe
	s_or_b32 exec_lo, exec_lo, s1
	s_delay_alu instid0(SALU_CYCLE_1)
	s_mov_b32 s1, exec_lo
	v_cmpx_gt_u32_e64 s23, v41
	s_cbranch_execz .LBB1401_131
.LBB1401_162:
	s_mov_b32 s2, exec_lo
                                        ; implicit-def: $vgpr13_vgpr14
	v_cmpx_ge_u32_e64 v41, v16
	s_wait_alu 0xfffe
	s_xor_b32 s2, exec_lo, s2
	s_cbranch_execz .LBB1401_164
; %bb.163:
	s_wait_dscnt 0x6
	v_xor_b32_e32 v11, 0xfffffeff, v0
                                        ; implicit-def: $vgpr41
	s_delay_alu instid0(VALU_DEP_1) | instskip(SKIP_2) | instid1(VALU_DEP_2)
	v_ashrrev_i32_e32 v14, 31, v11
	v_add_co_u32 v13, vcc_lo, v19, v11
	s_wait_alu 0xfffd
	v_add_co_ci_u32_e64 v14, null, v20, v14, vcc_lo
.LBB1401_164:
	s_wait_alu 0xfffe
	s_and_not1_saveexec_b32 s2, s2
; %bb.165:
	v_add_co_u32 v13, vcc_lo, v15, v41
	s_wait_alu 0xfffd
	v_add_co_ci_u32_e64 v14, null, 0, v17, vcc_lo
; %bb.166:
	s_wait_alu 0xfffe
	s_or_b32 exec_lo, exec_lo, s2
	s_delay_alu instid0(VALU_DEP_1) | instskip(NEXT) | instid1(VALU_DEP_1)
	v_lshlrev_b64_e32 v[13:14], 2, v[13:14]
	v_add_co_u32 v13, vcc_lo, s10, v13
	s_wait_alu 0xfffd
	s_delay_alu instid0(VALU_DEP_2) | instskip(SKIP_3) | instid1(SALU_CYCLE_1)
	v_add_co_ci_u32_e64 v14, null, s11, v14, vcc_lo
	s_wait_dscnt 0x6
	global_store_b32 v[13:14], v12, off
	s_or_b32 exec_lo, exec_lo, s1
	s_mov_b32 s1, exec_lo
	v_cmpx_gt_u32_e64 s23, v40
	s_cbranch_execnz .LBB1401_132
.LBB1401_167:
	s_wait_alu 0xfffe
	s_or_b32 exec_lo, exec_lo, s1
	s_delay_alu instid0(SALU_CYCLE_1)
	s_mov_b32 s1, exec_lo
	v_cmpx_gt_u32_e64 s23, v39
	s_cbranch_execz .LBB1401_137
.LBB1401_168:
	s_mov_b32 s2, exec_lo
                                        ; implicit-def: $vgpr11_vgpr12
	v_cmpx_ge_u32_e64 v39, v16
	s_wait_alu 0xfffe
	s_xor_b32 s2, exec_lo, s2
	s_cbranch_execz .LBB1401_170
; %bb.169:
	s_wait_dscnt 0x5
	v_xor_b32_e32 v9, 0xfffffcff, v0
                                        ; implicit-def: $vgpr39
	s_delay_alu instid0(VALU_DEP_1) | instskip(SKIP_2) | instid1(VALU_DEP_2)
	v_ashrrev_i32_e32 v12, 31, v9
	v_add_co_u32 v11, vcc_lo, v19, v9
	s_wait_alu 0xfffd
	v_add_co_ci_u32_e64 v12, null, v20, v12, vcc_lo
.LBB1401_170:
	s_wait_alu 0xfffe
	s_and_not1_saveexec_b32 s2, s2
	s_cbranch_execz .LBB1401_172
; %bb.171:
	s_wait_dscnt 0x6
	v_add_co_u32 v11, vcc_lo, v15, v39
	s_wait_alu 0xfffd
	v_add_co_ci_u32_e64 v12, null, 0, v17, vcc_lo
.LBB1401_172:
	s_wait_alu 0xfffe
	s_or_b32 exec_lo, exec_lo, s2
	s_wait_dscnt 0x6
	s_delay_alu instid0(VALU_DEP_1) | instskip(NEXT) | instid1(VALU_DEP_1)
	v_lshlrev_b64_e32 v[11:12], 2, v[11:12]
	v_add_co_u32 v11, vcc_lo, s10, v11
	s_wait_alu 0xfffd
	s_delay_alu instid0(VALU_DEP_2) | instskip(SKIP_3) | instid1(SALU_CYCLE_1)
	v_add_co_ci_u32_e64 v12, null, s11, v12, vcc_lo
	s_wait_dscnt 0x5
	global_store_b32 v[11:12], v10, off
	s_or_b32 exec_lo, exec_lo, s1
	s_mov_b32 s1, exec_lo
	v_cmpx_gt_u32_e64 s23, v38
	s_cbranch_execnz .LBB1401_138
.LBB1401_173:
	s_wait_alu 0xfffe
	s_or_b32 exec_lo, exec_lo, s1
	s_delay_alu instid0(SALU_CYCLE_1)
	s_mov_b32 s1, exec_lo
	v_cmpx_gt_u32_e64 s23, v37
	s_cbranch_execz .LBB1401_143
.LBB1401_174:
	s_mov_b32 s2, exec_lo
                                        ; implicit-def: $vgpr9_vgpr10
	v_cmpx_ge_u32_e64 v37, v16
	s_wait_alu 0xfffe
	s_xor_b32 s2, exec_lo, s2
	s_cbranch_execz .LBB1401_176
; %bb.175:
	s_wait_dscnt 0x4
	v_xor_b32_e32 v7, 0xfffffaff, v0
                                        ; implicit-def: $vgpr37
	s_delay_alu instid0(VALU_DEP_1) | instskip(SKIP_2) | instid1(VALU_DEP_2)
	v_ashrrev_i32_e32 v10, 31, v7
	v_add_co_u32 v9, vcc_lo, v19, v7
	s_wait_alu 0xfffd
	v_add_co_ci_u32_e64 v10, null, v20, v10, vcc_lo
.LBB1401_176:
	s_wait_alu 0xfffe
	s_and_not1_saveexec_b32 s2, s2
	s_cbranch_execz .LBB1401_178
; %bb.177:
	s_wait_dscnt 0x5
	v_add_co_u32 v9, vcc_lo, v15, v37
	s_wait_alu 0xfffd
	v_add_co_ci_u32_e64 v10, null, 0, v17, vcc_lo
.LBB1401_178:
	s_wait_alu 0xfffe
	s_or_b32 exec_lo, exec_lo, s2
	s_wait_dscnt 0x5
	s_delay_alu instid0(VALU_DEP_1) | instskip(NEXT) | instid1(VALU_DEP_1)
	v_lshlrev_b64_e32 v[9:10], 2, v[9:10]
	v_add_co_u32 v9, vcc_lo, s10, v9
	s_wait_alu 0xfffd
	s_delay_alu instid0(VALU_DEP_2) | instskip(SKIP_3) | instid1(SALU_CYCLE_1)
	v_add_co_ci_u32_e64 v10, null, s11, v10, vcc_lo
	s_wait_dscnt 0x4
	global_store_b32 v[9:10], v8, off
	s_or_b32 exec_lo, exec_lo, s1
	s_mov_b32 s1, exec_lo
	v_cmpx_gt_u32_e64 s23, v36
	s_cbranch_execnz .LBB1401_144
.LBB1401_179:
	s_wait_alu 0xfffe
	s_or_b32 exec_lo, exec_lo, s1
	s_delay_alu instid0(SALU_CYCLE_1)
	s_mov_b32 s1, exec_lo
	v_cmpx_gt_u32_e64 s23, v35
	s_cbranch_execz .LBB1401_149
.LBB1401_180:
	s_mov_b32 s2, exec_lo
                                        ; implicit-def: $vgpr7_vgpr8
	v_cmpx_ge_u32_e64 v35, v16
	s_wait_alu 0xfffe
	s_xor_b32 s2, exec_lo, s2
	s_cbranch_execz .LBB1401_182
; %bb.181:
	s_wait_dscnt 0x3
	v_xor_b32_e32 v5, 0xfffff8ff, v0
                                        ; implicit-def: $vgpr35
	s_delay_alu instid0(VALU_DEP_1) | instskip(SKIP_2) | instid1(VALU_DEP_2)
	v_ashrrev_i32_e32 v8, 31, v5
	v_add_co_u32 v7, vcc_lo, v19, v5
	s_wait_alu 0xfffd
	v_add_co_ci_u32_e64 v8, null, v20, v8, vcc_lo
.LBB1401_182:
	s_wait_alu 0xfffe
	s_and_not1_saveexec_b32 s2, s2
	s_cbranch_execz .LBB1401_184
; %bb.183:
	s_wait_dscnt 0x4
	v_add_co_u32 v7, vcc_lo, v15, v35
	s_wait_alu 0xfffd
	v_add_co_ci_u32_e64 v8, null, 0, v17, vcc_lo
.LBB1401_184:
	s_wait_alu 0xfffe
	s_or_b32 exec_lo, exec_lo, s2
	s_wait_dscnt 0x4
	s_delay_alu instid0(VALU_DEP_1) | instskip(NEXT) | instid1(VALU_DEP_1)
	v_lshlrev_b64_e32 v[7:8], 2, v[7:8]
	v_add_co_u32 v7, vcc_lo, s10, v7
	s_wait_alu 0xfffd
	s_delay_alu instid0(VALU_DEP_2) | instskip(SKIP_3) | instid1(SALU_CYCLE_1)
	v_add_co_ci_u32_e64 v8, null, s11, v8, vcc_lo
	s_wait_dscnt 0x3
	global_store_b32 v[7:8], v6, off
	s_or_b32 exec_lo, exec_lo, s1
	s_mov_b32 s1, exec_lo
	v_cmpx_gt_u32_e64 s23, v34
	s_cbranch_execnz .LBB1401_150
.LBB1401_185:
	s_wait_alu 0xfffe
	s_or_b32 exec_lo, exec_lo, s1
	s_delay_alu instid0(SALU_CYCLE_1)
	s_mov_b32 s1, exec_lo
	v_cmpx_gt_u32_e64 s23, v33
	s_cbranch_execz .LBB1401_155
.LBB1401_186:
	s_mov_b32 s2, exec_lo
                                        ; implicit-def: $vgpr5_vgpr6
	v_cmpx_ge_u32_e64 v33, v16
	s_wait_alu 0xfffe
	s_xor_b32 s2, exec_lo, s2
	s_cbranch_execz .LBB1401_188
; %bb.187:
	s_wait_dscnt 0x2
	v_xor_b32_e32 v3, 0xfffff6ff, v0
                                        ; implicit-def: $vgpr33
	s_delay_alu instid0(VALU_DEP_1) | instskip(SKIP_2) | instid1(VALU_DEP_2)
	v_ashrrev_i32_e32 v6, 31, v3
	v_add_co_u32 v5, vcc_lo, v19, v3
	s_wait_alu 0xfffd
	v_add_co_ci_u32_e64 v6, null, v20, v6, vcc_lo
.LBB1401_188:
	s_wait_alu 0xfffe
	s_and_not1_saveexec_b32 s2, s2
	s_cbranch_execz .LBB1401_190
; %bb.189:
	s_wait_dscnt 0x3
	v_add_co_u32 v5, vcc_lo, v15, v33
	s_wait_alu 0xfffd
	v_add_co_ci_u32_e64 v6, null, 0, v17, vcc_lo
.LBB1401_190:
	s_wait_alu 0xfffe
	s_or_b32 exec_lo, exec_lo, s2
	s_wait_dscnt 0x3
	s_delay_alu instid0(VALU_DEP_1) | instskip(NEXT) | instid1(VALU_DEP_1)
	v_lshlrev_b64_e32 v[5:6], 2, v[5:6]
	v_add_co_u32 v5, vcc_lo, s10, v5
	s_wait_alu 0xfffd
	s_delay_alu instid0(VALU_DEP_2) | instskip(SKIP_3) | instid1(SALU_CYCLE_1)
	v_add_co_ci_u32_e64 v6, null, s11, v6, vcc_lo
	s_wait_dscnt 0x2
	global_store_b32 v[5:6], v4, off
	s_or_b32 exec_lo, exec_lo, s1
	s_mov_b32 s1, exec_lo
	v_cmpx_gt_u32_e64 s23, v32
	s_cbranch_execnz .LBB1401_156
.LBB1401_191:
	s_wait_alu 0xfffe
	s_or_b32 exec_lo, exec_lo, s1
	s_delay_alu instid0(SALU_CYCLE_1)
	s_mov_b32 s1, exec_lo
	v_cmpx_gt_u32_e64 s23, v31
	s_cbranch_execz .LBB1401_197
.LBB1401_192:
	s_mov_b32 s2, exec_lo
                                        ; implicit-def: $vgpr3_vgpr4
	v_cmpx_ge_u32_e64 v31, v16
	s_wait_alu 0xfffe
	s_xor_b32 s2, exec_lo, s2
	s_cbranch_execz .LBB1401_194
; %bb.193:
	s_wait_dscnt 0x1
	v_xor_b32_e32 v1, 0xfffff4ff, v0
                                        ; implicit-def: $vgpr31
	s_delay_alu instid0(VALU_DEP_1) | instskip(SKIP_2) | instid1(VALU_DEP_2)
	v_ashrrev_i32_e32 v4, 31, v1
	v_add_co_u32 v3, vcc_lo, v19, v1
	s_wait_alu 0xfffd
	v_add_co_ci_u32_e64 v4, null, v20, v4, vcc_lo
.LBB1401_194:
	s_wait_alu 0xfffe
	s_and_not1_saveexec_b32 s2, s2
	s_cbranch_execz .LBB1401_196
; %bb.195:
	s_wait_dscnt 0x2
	v_add_co_u32 v3, vcc_lo, v15, v31
	s_wait_alu 0xfffd
	v_add_co_ci_u32_e64 v4, null, 0, v17, vcc_lo
.LBB1401_196:
	s_wait_alu 0xfffe
	s_or_b32 exec_lo, exec_lo, s2
	s_wait_dscnt 0x2
	s_delay_alu instid0(VALU_DEP_1) | instskip(NEXT) | instid1(VALU_DEP_1)
	v_lshlrev_b64_e32 v[3:4], 2, v[3:4]
	v_add_co_u32 v3, vcc_lo, s10, v3
	s_wait_alu 0xfffd
	s_delay_alu instid0(VALU_DEP_2)
	v_add_co_ci_u32_e64 v4, null, s11, v4, vcc_lo
	s_wait_dscnt 0x1
	global_store_b32 v[3:4], v2, off
.LBB1401_197:
	s_wait_alu 0xfffe
	s_or_b32 exec_lo, exec_lo, s1
	s_delay_alu instid0(SALU_CYCLE_1)
	s_mov_b32 s1, exec_lo
                                        ; implicit-def: $vgpr13_vgpr14
	v_cmpx_gt_u32_e64 s23, v30
	s_cbranch_execz .LBB1401_203
; %bb.198:
	s_mov_b32 s2, exec_lo
                                        ; implicit-def: $vgpr13_vgpr14
	v_cmpx_ge_u32_e64 v30, v16
	s_wait_alu 0xfffe
	s_xor_b32 s2, exec_lo, s2
	s_cbranch_execz .LBB1401_200
; %bb.199:
	s_wait_dscnt 0x1
	v_xor_b32_e32 v1, 0xfffff3ff, v0
                                        ; implicit-def: $vgpr30
	s_delay_alu instid0(VALU_DEP_1) | instskip(SKIP_2) | instid1(VALU_DEP_2)
	v_ashrrev_i32_e32 v2, 31, v1
	v_add_co_u32 v13, vcc_lo, v19, v1
	s_wait_alu 0xfffd
	v_add_co_ci_u32_e64 v14, null, v20, v2, vcc_lo
.LBB1401_200:
	s_wait_alu 0xfffe
	s_and_not1_saveexec_b32 s2, s2
; %bb.201:
	v_add_co_u32 v13, vcc_lo, v15, v30
	s_wait_alu 0xfffd
	v_add_co_ci_u32_e64 v14, null, 0, v17, vcc_lo
; %bb.202:
	s_wait_alu 0xfffe
	s_or_b32 exec_lo, exec_lo, s2
	s_delay_alu instid0(SALU_CYCLE_1)
	s_or_b32 s0, s0, exec_lo
.LBB1401_203:
	s_wait_alu 0xfffe
	s_or_b32 exec_lo, exec_lo, s1
.LBB1401_204:
	s_wait_alu 0xfffe
	s_and_saveexec_b32 s1, s0
	s_cbranch_execz .LBB1401_206
; %bb.205:
	s_wait_dscnt 0x1
	v_lshlrev_b64_e32 v[1:2], 2, v[13:14]
	s_delay_alu instid0(VALU_DEP_1) | instskip(SKIP_1) | instid1(VALU_DEP_2)
	v_add_co_u32 v1, vcc_lo, s10, v1
	s_wait_alu 0xfffd
	v_add_co_ci_u32_e64 v2, null, s11, v2, vcc_lo
	s_wait_dscnt 0x0
	global_store_b32 v[1:2], v18, off
.LBB1401_206:
	s_wait_alu 0xfffe
	s_or_b32 exec_lo, exec_lo, s1
	v_cmp_eq_u32_e32 vcc_lo, 0, v0
	s_and_b32 s0, vcc_lo, s22
	s_wait_alu 0xfffe
	s_and_saveexec_b32 s1, s0
	s_cbranch_execz .LBB1401_208
; %bb.207:
	v_add_co_u32 v0, vcc_lo, v15, v16
	s_wait_dscnt 0x1
	v_mov_b32_e32 v2, 0
	s_wait_alu 0xfffd
	v_add_co_ci_u32_e64 v1, null, 0, v17, vcc_lo
	global_store_b64 v2, v[0:1], s[8:9]
.LBB1401_208:
	s_endpgm
	.section	.rodata,"a",@progbits
	.p2align	6, 0x0
	.amdhsa_kernel _ZN7rocprim17ROCPRIM_400000_NS6detail17trampoline_kernelINS0_13select_configILj256ELj13ELNS0_17block_load_methodE3ELS4_3ELS4_3ELNS0_20block_scan_algorithmE0ELj4294967295EEENS1_25partition_config_selectorILNS1_17partition_subalgoE3EjNS0_10empty_typeEbEEZZNS1_14partition_implILS8_3ELb0ES6_jNS0_17counting_iteratorIjlEEPS9_SE_NS0_5tupleIJPjSE_EEENSF_IJSE_SE_EEES9_SG_JZNS1_25segmented_radix_sort_implINS0_14default_configELb0EPKfPfPKlPlN2at6native12_GLOBAL__N_18offset_tEEE10hipError_tPvRmT1_PNSt15iterator_traitsISY_E10value_typeET2_T3_PNSZ_IS14_E10value_typeET4_jRbjT5_S1A_jjP12ihipStream_tbEUljE_EEESV_SW_SX_S14_S18_S1A_T6_T7_T9_mT8_S1C_bDpT10_ENKUlT_T0_E_clISt17integral_constantIbLb0EES1P_EEDaS1K_S1L_EUlS1K_E_NS1_11comp_targetILNS1_3genE10ELNS1_11target_archE1200ELNS1_3gpuE4ELNS1_3repE0EEENS1_30default_config_static_selectorELNS0_4arch9wavefront6targetE0EEEvSY_
		.amdhsa_group_segment_fixed_size 13320
		.amdhsa_private_segment_fixed_size 0
		.amdhsa_kernarg_size 144
		.amdhsa_user_sgpr_count 2
		.amdhsa_user_sgpr_dispatch_ptr 0
		.amdhsa_user_sgpr_queue_ptr 0
		.amdhsa_user_sgpr_kernarg_segment_ptr 1
		.amdhsa_user_sgpr_dispatch_id 0
		.amdhsa_user_sgpr_private_segment_size 0
		.amdhsa_wavefront_size32 1
		.amdhsa_uses_dynamic_stack 0
		.amdhsa_enable_private_segment 0
		.amdhsa_system_sgpr_workgroup_id_x 1
		.amdhsa_system_sgpr_workgroup_id_y 0
		.amdhsa_system_sgpr_workgroup_id_z 0
		.amdhsa_system_sgpr_workgroup_info 0
		.amdhsa_system_vgpr_workitem_id 0
		.amdhsa_next_free_vgpr 69
		.amdhsa_next_free_sgpr 26
		.amdhsa_reserve_vcc 1
		.amdhsa_float_round_mode_32 0
		.amdhsa_float_round_mode_16_64 0
		.amdhsa_float_denorm_mode_32 3
		.amdhsa_float_denorm_mode_16_64 3
		.amdhsa_fp16_overflow 0
		.amdhsa_workgroup_processor_mode 1
		.amdhsa_memory_ordered 1
		.amdhsa_forward_progress 1
		.amdhsa_inst_pref_size 84
		.amdhsa_round_robin_scheduling 0
		.amdhsa_exception_fp_ieee_invalid_op 0
		.amdhsa_exception_fp_denorm_src 0
		.amdhsa_exception_fp_ieee_div_zero 0
		.amdhsa_exception_fp_ieee_overflow 0
		.amdhsa_exception_fp_ieee_underflow 0
		.amdhsa_exception_fp_ieee_inexact 0
		.amdhsa_exception_int_div_zero 0
	.end_amdhsa_kernel
	.section	.text._ZN7rocprim17ROCPRIM_400000_NS6detail17trampoline_kernelINS0_13select_configILj256ELj13ELNS0_17block_load_methodE3ELS4_3ELS4_3ELNS0_20block_scan_algorithmE0ELj4294967295EEENS1_25partition_config_selectorILNS1_17partition_subalgoE3EjNS0_10empty_typeEbEEZZNS1_14partition_implILS8_3ELb0ES6_jNS0_17counting_iteratorIjlEEPS9_SE_NS0_5tupleIJPjSE_EEENSF_IJSE_SE_EEES9_SG_JZNS1_25segmented_radix_sort_implINS0_14default_configELb0EPKfPfPKlPlN2at6native12_GLOBAL__N_18offset_tEEE10hipError_tPvRmT1_PNSt15iterator_traitsISY_E10value_typeET2_T3_PNSZ_IS14_E10value_typeET4_jRbjT5_S1A_jjP12ihipStream_tbEUljE_EEESV_SW_SX_S14_S18_S1A_T6_T7_T9_mT8_S1C_bDpT10_ENKUlT_T0_E_clISt17integral_constantIbLb0EES1P_EEDaS1K_S1L_EUlS1K_E_NS1_11comp_targetILNS1_3genE10ELNS1_11target_archE1200ELNS1_3gpuE4ELNS1_3repE0EEENS1_30default_config_static_selectorELNS0_4arch9wavefront6targetE0EEEvSY_,"axG",@progbits,_ZN7rocprim17ROCPRIM_400000_NS6detail17trampoline_kernelINS0_13select_configILj256ELj13ELNS0_17block_load_methodE3ELS4_3ELS4_3ELNS0_20block_scan_algorithmE0ELj4294967295EEENS1_25partition_config_selectorILNS1_17partition_subalgoE3EjNS0_10empty_typeEbEEZZNS1_14partition_implILS8_3ELb0ES6_jNS0_17counting_iteratorIjlEEPS9_SE_NS0_5tupleIJPjSE_EEENSF_IJSE_SE_EEES9_SG_JZNS1_25segmented_radix_sort_implINS0_14default_configELb0EPKfPfPKlPlN2at6native12_GLOBAL__N_18offset_tEEE10hipError_tPvRmT1_PNSt15iterator_traitsISY_E10value_typeET2_T3_PNSZ_IS14_E10value_typeET4_jRbjT5_S1A_jjP12ihipStream_tbEUljE_EEESV_SW_SX_S14_S18_S1A_T6_T7_T9_mT8_S1C_bDpT10_ENKUlT_T0_E_clISt17integral_constantIbLb0EES1P_EEDaS1K_S1L_EUlS1K_E_NS1_11comp_targetILNS1_3genE10ELNS1_11target_archE1200ELNS1_3gpuE4ELNS1_3repE0EEENS1_30default_config_static_selectorELNS0_4arch9wavefront6targetE0EEEvSY_,comdat
.Lfunc_end1401:
	.size	_ZN7rocprim17ROCPRIM_400000_NS6detail17trampoline_kernelINS0_13select_configILj256ELj13ELNS0_17block_load_methodE3ELS4_3ELS4_3ELNS0_20block_scan_algorithmE0ELj4294967295EEENS1_25partition_config_selectorILNS1_17partition_subalgoE3EjNS0_10empty_typeEbEEZZNS1_14partition_implILS8_3ELb0ES6_jNS0_17counting_iteratorIjlEEPS9_SE_NS0_5tupleIJPjSE_EEENSF_IJSE_SE_EEES9_SG_JZNS1_25segmented_radix_sort_implINS0_14default_configELb0EPKfPfPKlPlN2at6native12_GLOBAL__N_18offset_tEEE10hipError_tPvRmT1_PNSt15iterator_traitsISY_E10value_typeET2_T3_PNSZ_IS14_E10value_typeET4_jRbjT5_S1A_jjP12ihipStream_tbEUljE_EEESV_SW_SX_S14_S18_S1A_T6_T7_T9_mT8_S1C_bDpT10_ENKUlT_T0_E_clISt17integral_constantIbLb0EES1P_EEDaS1K_S1L_EUlS1K_E_NS1_11comp_targetILNS1_3genE10ELNS1_11target_archE1200ELNS1_3gpuE4ELNS1_3repE0EEENS1_30default_config_static_selectorELNS0_4arch9wavefront6targetE0EEEvSY_, .Lfunc_end1401-_ZN7rocprim17ROCPRIM_400000_NS6detail17trampoline_kernelINS0_13select_configILj256ELj13ELNS0_17block_load_methodE3ELS4_3ELS4_3ELNS0_20block_scan_algorithmE0ELj4294967295EEENS1_25partition_config_selectorILNS1_17partition_subalgoE3EjNS0_10empty_typeEbEEZZNS1_14partition_implILS8_3ELb0ES6_jNS0_17counting_iteratorIjlEEPS9_SE_NS0_5tupleIJPjSE_EEENSF_IJSE_SE_EEES9_SG_JZNS1_25segmented_radix_sort_implINS0_14default_configELb0EPKfPfPKlPlN2at6native12_GLOBAL__N_18offset_tEEE10hipError_tPvRmT1_PNSt15iterator_traitsISY_E10value_typeET2_T3_PNSZ_IS14_E10value_typeET4_jRbjT5_S1A_jjP12ihipStream_tbEUljE_EEESV_SW_SX_S14_S18_S1A_T6_T7_T9_mT8_S1C_bDpT10_ENKUlT_T0_E_clISt17integral_constantIbLb0EES1P_EEDaS1K_S1L_EUlS1K_E_NS1_11comp_targetILNS1_3genE10ELNS1_11target_archE1200ELNS1_3gpuE4ELNS1_3repE0EEENS1_30default_config_static_selectorELNS0_4arch9wavefront6targetE0EEEvSY_
                                        ; -- End function
	.set _ZN7rocprim17ROCPRIM_400000_NS6detail17trampoline_kernelINS0_13select_configILj256ELj13ELNS0_17block_load_methodE3ELS4_3ELS4_3ELNS0_20block_scan_algorithmE0ELj4294967295EEENS1_25partition_config_selectorILNS1_17partition_subalgoE3EjNS0_10empty_typeEbEEZZNS1_14partition_implILS8_3ELb0ES6_jNS0_17counting_iteratorIjlEEPS9_SE_NS0_5tupleIJPjSE_EEENSF_IJSE_SE_EEES9_SG_JZNS1_25segmented_radix_sort_implINS0_14default_configELb0EPKfPfPKlPlN2at6native12_GLOBAL__N_18offset_tEEE10hipError_tPvRmT1_PNSt15iterator_traitsISY_E10value_typeET2_T3_PNSZ_IS14_E10value_typeET4_jRbjT5_S1A_jjP12ihipStream_tbEUljE_EEESV_SW_SX_S14_S18_S1A_T6_T7_T9_mT8_S1C_bDpT10_ENKUlT_T0_E_clISt17integral_constantIbLb0EES1P_EEDaS1K_S1L_EUlS1K_E_NS1_11comp_targetILNS1_3genE10ELNS1_11target_archE1200ELNS1_3gpuE4ELNS1_3repE0EEENS1_30default_config_static_selectorELNS0_4arch9wavefront6targetE0EEEvSY_.num_vgpr, 69
	.set _ZN7rocprim17ROCPRIM_400000_NS6detail17trampoline_kernelINS0_13select_configILj256ELj13ELNS0_17block_load_methodE3ELS4_3ELS4_3ELNS0_20block_scan_algorithmE0ELj4294967295EEENS1_25partition_config_selectorILNS1_17partition_subalgoE3EjNS0_10empty_typeEbEEZZNS1_14partition_implILS8_3ELb0ES6_jNS0_17counting_iteratorIjlEEPS9_SE_NS0_5tupleIJPjSE_EEENSF_IJSE_SE_EEES9_SG_JZNS1_25segmented_radix_sort_implINS0_14default_configELb0EPKfPfPKlPlN2at6native12_GLOBAL__N_18offset_tEEE10hipError_tPvRmT1_PNSt15iterator_traitsISY_E10value_typeET2_T3_PNSZ_IS14_E10value_typeET4_jRbjT5_S1A_jjP12ihipStream_tbEUljE_EEESV_SW_SX_S14_S18_S1A_T6_T7_T9_mT8_S1C_bDpT10_ENKUlT_T0_E_clISt17integral_constantIbLb0EES1P_EEDaS1K_S1L_EUlS1K_E_NS1_11comp_targetILNS1_3genE10ELNS1_11target_archE1200ELNS1_3gpuE4ELNS1_3repE0EEENS1_30default_config_static_selectorELNS0_4arch9wavefront6targetE0EEEvSY_.num_agpr, 0
	.set _ZN7rocprim17ROCPRIM_400000_NS6detail17trampoline_kernelINS0_13select_configILj256ELj13ELNS0_17block_load_methodE3ELS4_3ELS4_3ELNS0_20block_scan_algorithmE0ELj4294967295EEENS1_25partition_config_selectorILNS1_17partition_subalgoE3EjNS0_10empty_typeEbEEZZNS1_14partition_implILS8_3ELb0ES6_jNS0_17counting_iteratorIjlEEPS9_SE_NS0_5tupleIJPjSE_EEENSF_IJSE_SE_EEES9_SG_JZNS1_25segmented_radix_sort_implINS0_14default_configELb0EPKfPfPKlPlN2at6native12_GLOBAL__N_18offset_tEEE10hipError_tPvRmT1_PNSt15iterator_traitsISY_E10value_typeET2_T3_PNSZ_IS14_E10value_typeET4_jRbjT5_S1A_jjP12ihipStream_tbEUljE_EEESV_SW_SX_S14_S18_S1A_T6_T7_T9_mT8_S1C_bDpT10_ENKUlT_T0_E_clISt17integral_constantIbLb0EES1P_EEDaS1K_S1L_EUlS1K_E_NS1_11comp_targetILNS1_3genE10ELNS1_11target_archE1200ELNS1_3gpuE4ELNS1_3repE0EEENS1_30default_config_static_selectorELNS0_4arch9wavefront6targetE0EEEvSY_.numbered_sgpr, 26
	.set _ZN7rocprim17ROCPRIM_400000_NS6detail17trampoline_kernelINS0_13select_configILj256ELj13ELNS0_17block_load_methodE3ELS4_3ELS4_3ELNS0_20block_scan_algorithmE0ELj4294967295EEENS1_25partition_config_selectorILNS1_17partition_subalgoE3EjNS0_10empty_typeEbEEZZNS1_14partition_implILS8_3ELb0ES6_jNS0_17counting_iteratorIjlEEPS9_SE_NS0_5tupleIJPjSE_EEENSF_IJSE_SE_EEES9_SG_JZNS1_25segmented_radix_sort_implINS0_14default_configELb0EPKfPfPKlPlN2at6native12_GLOBAL__N_18offset_tEEE10hipError_tPvRmT1_PNSt15iterator_traitsISY_E10value_typeET2_T3_PNSZ_IS14_E10value_typeET4_jRbjT5_S1A_jjP12ihipStream_tbEUljE_EEESV_SW_SX_S14_S18_S1A_T6_T7_T9_mT8_S1C_bDpT10_ENKUlT_T0_E_clISt17integral_constantIbLb0EES1P_EEDaS1K_S1L_EUlS1K_E_NS1_11comp_targetILNS1_3genE10ELNS1_11target_archE1200ELNS1_3gpuE4ELNS1_3repE0EEENS1_30default_config_static_selectorELNS0_4arch9wavefront6targetE0EEEvSY_.num_named_barrier, 0
	.set _ZN7rocprim17ROCPRIM_400000_NS6detail17trampoline_kernelINS0_13select_configILj256ELj13ELNS0_17block_load_methodE3ELS4_3ELS4_3ELNS0_20block_scan_algorithmE0ELj4294967295EEENS1_25partition_config_selectorILNS1_17partition_subalgoE3EjNS0_10empty_typeEbEEZZNS1_14partition_implILS8_3ELb0ES6_jNS0_17counting_iteratorIjlEEPS9_SE_NS0_5tupleIJPjSE_EEENSF_IJSE_SE_EEES9_SG_JZNS1_25segmented_radix_sort_implINS0_14default_configELb0EPKfPfPKlPlN2at6native12_GLOBAL__N_18offset_tEEE10hipError_tPvRmT1_PNSt15iterator_traitsISY_E10value_typeET2_T3_PNSZ_IS14_E10value_typeET4_jRbjT5_S1A_jjP12ihipStream_tbEUljE_EEESV_SW_SX_S14_S18_S1A_T6_T7_T9_mT8_S1C_bDpT10_ENKUlT_T0_E_clISt17integral_constantIbLb0EES1P_EEDaS1K_S1L_EUlS1K_E_NS1_11comp_targetILNS1_3genE10ELNS1_11target_archE1200ELNS1_3gpuE4ELNS1_3repE0EEENS1_30default_config_static_selectorELNS0_4arch9wavefront6targetE0EEEvSY_.private_seg_size, 0
	.set _ZN7rocprim17ROCPRIM_400000_NS6detail17trampoline_kernelINS0_13select_configILj256ELj13ELNS0_17block_load_methodE3ELS4_3ELS4_3ELNS0_20block_scan_algorithmE0ELj4294967295EEENS1_25partition_config_selectorILNS1_17partition_subalgoE3EjNS0_10empty_typeEbEEZZNS1_14partition_implILS8_3ELb0ES6_jNS0_17counting_iteratorIjlEEPS9_SE_NS0_5tupleIJPjSE_EEENSF_IJSE_SE_EEES9_SG_JZNS1_25segmented_radix_sort_implINS0_14default_configELb0EPKfPfPKlPlN2at6native12_GLOBAL__N_18offset_tEEE10hipError_tPvRmT1_PNSt15iterator_traitsISY_E10value_typeET2_T3_PNSZ_IS14_E10value_typeET4_jRbjT5_S1A_jjP12ihipStream_tbEUljE_EEESV_SW_SX_S14_S18_S1A_T6_T7_T9_mT8_S1C_bDpT10_ENKUlT_T0_E_clISt17integral_constantIbLb0EES1P_EEDaS1K_S1L_EUlS1K_E_NS1_11comp_targetILNS1_3genE10ELNS1_11target_archE1200ELNS1_3gpuE4ELNS1_3repE0EEENS1_30default_config_static_selectorELNS0_4arch9wavefront6targetE0EEEvSY_.uses_vcc, 1
	.set _ZN7rocprim17ROCPRIM_400000_NS6detail17trampoline_kernelINS0_13select_configILj256ELj13ELNS0_17block_load_methodE3ELS4_3ELS4_3ELNS0_20block_scan_algorithmE0ELj4294967295EEENS1_25partition_config_selectorILNS1_17partition_subalgoE3EjNS0_10empty_typeEbEEZZNS1_14partition_implILS8_3ELb0ES6_jNS0_17counting_iteratorIjlEEPS9_SE_NS0_5tupleIJPjSE_EEENSF_IJSE_SE_EEES9_SG_JZNS1_25segmented_radix_sort_implINS0_14default_configELb0EPKfPfPKlPlN2at6native12_GLOBAL__N_18offset_tEEE10hipError_tPvRmT1_PNSt15iterator_traitsISY_E10value_typeET2_T3_PNSZ_IS14_E10value_typeET4_jRbjT5_S1A_jjP12ihipStream_tbEUljE_EEESV_SW_SX_S14_S18_S1A_T6_T7_T9_mT8_S1C_bDpT10_ENKUlT_T0_E_clISt17integral_constantIbLb0EES1P_EEDaS1K_S1L_EUlS1K_E_NS1_11comp_targetILNS1_3genE10ELNS1_11target_archE1200ELNS1_3gpuE4ELNS1_3repE0EEENS1_30default_config_static_selectorELNS0_4arch9wavefront6targetE0EEEvSY_.uses_flat_scratch, 0
	.set _ZN7rocprim17ROCPRIM_400000_NS6detail17trampoline_kernelINS0_13select_configILj256ELj13ELNS0_17block_load_methodE3ELS4_3ELS4_3ELNS0_20block_scan_algorithmE0ELj4294967295EEENS1_25partition_config_selectorILNS1_17partition_subalgoE3EjNS0_10empty_typeEbEEZZNS1_14partition_implILS8_3ELb0ES6_jNS0_17counting_iteratorIjlEEPS9_SE_NS0_5tupleIJPjSE_EEENSF_IJSE_SE_EEES9_SG_JZNS1_25segmented_radix_sort_implINS0_14default_configELb0EPKfPfPKlPlN2at6native12_GLOBAL__N_18offset_tEEE10hipError_tPvRmT1_PNSt15iterator_traitsISY_E10value_typeET2_T3_PNSZ_IS14_E10value_typeET4_jRbjT5_S1A_jjP12ihipStream_tbEUljE_EEESV_SW_SX_S14_S18_S1A_T6_T7_T9_mT8_S1C_bDpT10_ENKUlT_T0_E_clISt17integral_constantIbLb0EES1P_EEDaS1K_S1L_EUlS1K_E_NS1_11comp_targetILNS1_3genE10ELNS1_11target_archE1200ELNS1_3gpuE4ELNS1_3repE0EEENS1_30default_config_static_selectorELNS0_4arch9wavefront6targetE0EEEvSY_.has_dyn_sized_stack, 0
	.set _ZN7rocprim17ROCPRIM_400000_NS6detail17trampoline_kernelINS0_13select_configILj256ELj13ELNS0_17block_load_methodE3ELS4_3ELS4_3ELNS0_20block_scan_algorithmE0ELj4294967295EEENS1_25partition_config_selectorILNS1_17partition_subalgoE3EjNS0_10empty_typeEbEEZZNS1_14partition_implILS8_3ELb0ES6_jNS0_17counting_iteratorIjlEEPS9_SE_NS0_5tupleIJPjSE_EEENSF_IJSE_SE_EEES9_SG_JZNS1_25segmented_radix_sort_implINS0_14default_configELb0EPKfPfPKlPlN2at6native12_GLOBAL__N_18offset_tEEE10hipError_tPvRmT1_PNSt15iterator_traitsISY_E10value_typeET2_T3_PNSZ_IS14_E10value_typeET4_jRbjT5_S1A_jjP12ihipStream_tbEUljE_EEESV_SW_SX_S14_S18_S1A_T6_T7_T9_mT8_S1C_bDpT10_ENKUlT_T0_E_clISt17integral_constantIbLb0EES1P_EEDaS1K_S1L_EUlS1K_E_NS1_11comp_targetILNS1_3genE10ELNS1_11target_archE1200ELNS1_3gpuE4ELNS1_3repE0EEENS1_30default_config_static_selectorELNS0_4arch9wavefront6targetE0EEEvSY_.has_recursion, 0
	.set _ZN7rocprim17ROCPRIM_400000_NS6detail17trampoline_kernelINS0_13select_configILj256ELj13ELNS0_17block_load_methodE3ELS4_3ELS4_3ELNS0_20block_scan_algorithmE0ELj4294967295EEENS1_25partition_config_selectorILNS1_17partition_subalgoE3EjNS0_10empty_typeEbEEZZNS1_14partition_implILS8_3ELb0ES6_jNS0_17counting_iteratorIjlEEPS9_SE_NS0_5tupleIJPjSE_EEENSF_IJSE_SE_EEES9_SG_JZNS1_25segmented_radix_sort_implINS0_14default_configELb0EPKfPfPKlPlN2at6native12_GLOBAL__N_18offset_tEEE10hipError_tPvRmT1_PNSt15iterator_traitsISY_E10value_typeET2_T3_PNSZ_IS14_E10value_typeET4_jRbjT5_S1A_jjP12ihipStream_tbEUljE_EEESV_SW_SX_S14_S18_S1A_T6_T7_T9_mT8_S1C_bDpT10_ENKUlT_T0_E_clISt17integral_constantIbLb0EES1P_EEDaS1K_S1L_EUlS1K_E_NS1_11comp_targetILNS1_3genE10ELNS1_11target_archE1200ELNS1_3gpuE4ELNS1_3repE0EEENS1_30default_config_static_selectorELNS0_4arch9wavefront6targetE0EEEvSY_.has_indirect_call, 0
	.section	.AMDGPU.csdata,"",@progbits
; Kernel info:
; codeLenInByte = 10676
; TotalNumSgprs: 28
; NumVgprs: 69
; ScratchSize: 0
; MemoryBound: 0
; FloatMode: 240
; IeeeMode: 1
; LDSByteSize: 13320 bytes/workgroup (compile time only)
; SGPRBlocks: 0
; VGPRBlocks: 8
; NumSGPRsForWavesPerEU: 28
; NumVGPRsForWavesPerEU: 69
; Occupancy: 16
; WaveLimiterHint : 0
; COMPUTE_PGM_RSRC2:SCRATCH_EN: 0
; COMPUTE_PGM_RSRC2:USER_SGPR: 2
; COMPUTE_PGM_RSRC2:TRAP_HANDLER: 0
; COMPUTE_PGM_RSRC2:TGID_X_EN: 1
; COMPUTE_PGM_RSRC2:TGID_Y_EN: 0
; COMPUTE_PGM_RSRC2:TGID_Z_EN: 0
; COMPUTE_PGM_RSRC2:TIDIG_COMP_CNT: 0
	.section	.text._ZN7rocprim17ROCPRIM_400000_NS6detail17trampoline_kernelINS0_13select_configILj256ELj13ELNS0_17block_load_methodE3ELS4_3ELS4_3ELNS0_20block_scan_algorithmE0ELj4294967295EEENS1_25partition_config_selectorILNS1_17partition_subalgoE3EjNS0_10empty_typeEbEEZZNS1_14partition_implILS8_3ELb0ES6_jNS0_17counting_iteratorIjlEEPS9_SE_NS0_5tupleIJPjSE_EEENSF_IJSE_SE_EEES9_SG_JZNS1_25segmented_radix_sort_implINS0_14default_configELb0EPKfPfPKlPlN2at6native12_GLOBAL__N_18offset_tEEE10hipError_tPvRmT1_PNSt15iterator_traitsISY_E10value_typeET2_T3_PNSZ_IS14_E10value_typeET4_jRbjT5_S1A_jjP12ihipStream_tbEUljE_EEESV_SW_SX_S14_S18_S1A_T6_T7_T9_mT8_S1C_bDpT10_ENKUlT_T0_E_clISt17integral_constantIbLb0EES1P_EEDaS1K_S1L_EUlS1K_E_NS1_11comp_targetILNS1_3genE9ELNS1_11target_archE1100ELNS1_3gpuE3ELNS1_3repE0EEENS1_30default_config_static_selectorELNS0_4arch9wavefront6targetE0EEEvSY_,"axG",@progbits,_ZN7rocprim17ROCPRIM_400000_NS6detail17trampoline_kernelINS0_13select_configILj256ELj13ELNS0_17block_load_methodE3ELS4_3ELS4_3ELNS0_20block_scan_algorithmE0ELj4294967295EEENS1_25partition_config_selectorILNS1_17partition_subalgoE3EjNS0_10empty_typeEbEEZZNS1_14partition_implILS8_3ELb0ES6_jNS0_17counting_iteratorIjlEEPS9_SE_NS0_5tupleIJPjSE_EEENSF_IJSE_SE_EEES9_SG_JZNS1_25segmented_radix_sort_implINS0_14default_configELb0EPKfPfPKlPlN2at6native12_GLOBAL__N_18offset_tEEE10hipError_tPvRmT1_PNSt15iterator_traitsISY_E10value_typeET2_T3_PNSZ_IS14_E10value_typeET4_jRbjT5_S1A_jjP12ihipStream_tbEUljE_EEESV_SW_SX_S14_S18_S1A_T6_T7_T9_mT8_S1C_bDpT10_ENKUlT_T0_E_clISt17integral_constantIbLb0EES1P_EEDaS1K_S1L_EUlS1K_E_NS1_11comp_targetILNS1_3genE9ELNS1_11target_archE1100ELNS1_3gpuE3ELNS1_3repE0EEENS1_30default_config_static_selectorELNS0_4arch9wavefront6targetE0EEEvSY_,comdat
	.globl	_ZN7rocprim17ROCPRIM_400000_NS6detail17trampoline_kernelINS0_13select_configILj256ELj13ELNS0_17block_load_methodE3ELS4_3ELS4_3ELNS0_20block_scan_algorithmE0ELj4294967295EEENS1_25partition_config_selectorILNS1_17partition_subalgoE3EjNS0_10empty_typeEbEEZZNS1_14partition_implILS8_3ELb0ES6_jNS0_17counting_iteratorIjlEEPS9_SE_NS0_5tupleIJPjSE_EEENSF_IJSE_SE_EEES9_SG_JZNS1_25segmented_radix_sort_implINS0_14default_configELb0EPKfPfPKlPlN2at6native12_GLOBAL__N_18offset_tEEE10hipError_tPvRmT1_PNSt15iterator_traitsISY_E10value_typeET2_T3_PNSZ_IS14_E10value_typeET4_jRbjT5_S1A_jjP12ihipStream_tbEUljE_EEESV_SW_SX_S14_S18_S1A_T6_T7_T9_mT8_S1C_bDpT10_ENKUlT_T0_E_clISt17integral_constantIbLb0EES1P_EEDaS1K_S1L_EUlS1K_E_NS1_11comp_targetILNS1_3genE9ELNS1_11target_archE1100ELNS1_3gpuE3ELNS1_3repE0EEENS1_30default_config_static_selectorELNS0_4arch9wavefront6targetE0EEEvSY_ ; -- Begin function _ZN7rocprim17ROCPRIM_400000_NS6detail17trampoline_kernelINS0_13select_configILj256ELj13ELNS0_17block_load_methodE3ELS4_3ELS4_3ELNS0_20block_scan_algorithmE0ELj4294967295EEENS1_25partition_config_selectorILNS1_17partition_subalgoE3EjNS0_10empty_typeEbEEZZNS1_14partition_implILS8_3ELb0ES6_jNS0_17counting_iteratorIjlEEPS9_SE_NS0_5tupleIJPjSE_EEENSF_IJSE_SE_EEES9_SG_JZNS1_25segmented_radix_sort_implINS0_14default_configELb0EPKfPfPKlPlN2at6native12_GLOBAL__N_18offset_tEEE10hipError_tPvRmT1_PNSt15iterator_traitsISY_E10value_typeET2_T3_PNSZ_IS14_E10value_typeET4_jRbjT5_S1A_jjP12ihipStream_tbEUljE_EEESV_SW_SX_S14_S18_S1A_T6_T7_T9_mT8_S1C_bDpT10_ENKUlT_T0_E_clISt17integral_constantIbLb0EES1P_EEDaS1K_S1L_EUlS1K_E_NS1_11comp_targetILNS1_3genE9ELNS1_11target_archE1100ELNS1_3gpuE3ELNS1_3repE0EEENS1_30default_config_static_selectorELNS0_4arch9wavefront6targetE0EEEvSY_
	.p2align	8
	.type	_ZN7rocprim17ROCPRIM_400000_NS6detail17trampoline_kernelINS0_13select_configILj256ELj13ELNS0_17block_load_methodE3ELS4_3ELS4_3ELNS0_20block_scan_algorithmE0ELj4294967295EEENS1_25partition_config_selectorILNS1_17partition_subalgoE3EjNS0_10empty_typeEbEEZZNS1_14partition_implILS8_3ELb0ES6_jNS0_17counting_iteratorIjlEEPS9_SE_NS0_5tupleIJPjSE_EEENSF_IJSE_SE_EEES9_SG_JZNS1_25segmented_radix_sort_implINS0_14default_configELb0EPKfPfPKlPlN2at6native12_GLOBAL__N_18offset_tEEE10hipError_tPvRmT1_PNSt15iterator_traitsISY_E10value_typeET2_T3_PNSZ_IS14_E10value_typeET4_jRbjT5_S1A_jjP12ihipStream_tbEUljE_EEESV_SW_SX_S14_S18_S1A_T6_T7_T9_mT8_S1C_bDpT10_ENKUlT_T0_E_clISt17integral_constantIbLb0EES1P_EEDaS1K_S1L_EUlS1K_E_NS1_11comp_targetILNS1_3genE9ELNS1_11target_archE1100ELNS1_3gpuE3ELNS1_3repE0EEENS1_30default_config_static_selectorELNS0_4arch9wavefront6targetE0EEEvSY_,@function
_ZN7rocprim17ROCPRIM_400000_NS6detail17trampoline_kernelINS0_13select_configILj256ELj13ELNS0_17block_load_methodE3ELS4_3ELS4_3ELNS0_20block_scan_algorithmE0ELj4294967295EEENS1_25partition_config_selectorILNS1_17partition_subalgoE3EjNS0_10empty_typeEbEEZZNS1_14partition_implILS8_3ELb0ES6_jNS0_17counting_iteratorIjlEEPS9_SE_NS0_5tupleIJPjSE_EEENSF_IJSE_SE_EEES9_SG_JZNS1_25segmented_radix_sort_implINS0_14default_configELb0EPKfPfPKlPlN2at6native12_GLOBAL__N_18offset_tEEE10hipError_tPvRmT1_PNSt15iterator_traitsISY_E10value_typeET2_T3_PNSZ_IS14_E10value_typeET4_jRbjT5_S1A_jjP12ihipStream_tbEUljE_EEESV_SW_SX_S14_S18_S1A_T6_T7_T9_mT8_S1C_bDpT10_ENKUlT_T0_E_clISt17integral_constantIbLb0EES1P_EEDaS1K_S1L_EUlS1K_E_NS1_11comp_targetILNS1_3genE9ELNS1_11target_archE1100ELNS1_3gpuE3ELNS1_3repE0EEENS1_30default_config_static_selectorELNS0_4arch9wavefront6targetE0EEEvSY_: ; @_ZN7rocprim17ROCPRIM_400000_NS6detail17trampoline_kernelINS0_13select_configILj256ELj13ELNS0_17block_load_methodE3ELS4_3ELS4_3ELNS0_20block_scan_algorithmE0ELj4294967295EEENS1_25partition_config_selectorILNS1_17partition_subalgoE3EjNS0_10empty_typeEbEEZZNS1_14partition_implILS8_3ELb0ES6_jNS0_17counting_iteratorIjlEEPS9_SE_NS0_5tupleIJPjSE_EEENSF_IJSE_SE_EEES9_SG_JZNS1_25segmented_radix_sort_implINS0_14default_configELb0EPKfPfPKlPlN2at6native12_GLOBAL__N_18offset_tEEE10hipError_tPvRmT1_PNSt15iterator_traitsISY_E10value_typeET2_T3_PNSZ_IS14_E10value_typeET4_jRbjT5_S1A_jjP12ihipStream_tbEUljE_EEESV_SW_SX_S14_S18_S1A_T6_T7_T9_mT8_S1C_bDpT10_ENKUlT_T0_E_clISt17integral_constantIbLb0EES1P_EEDaS1K_S1L_EUlS1K_E_NS1_11comp_targetILNS1_3genE9ELNS1_11target_archE1100ELNS1_3gpuE3ELNS1_3repE0EEENS1_30default_config_static_selectorELNS0_4arch9wavefront6targetE0EEEvSY_
; %bb.0:
	.section	.rodata,"a",@progbits
	.p2align	6, 0x0
	.amdhsa_kernel _ZN7rocprim17ROCPRIM_400000_NS6detail17trampoline_kernelINS0_13select_configILj256ELj13ELNS0_17block_load_methodE3ELS4_3ELS4_3ELNS0_20block_scan_algorithmE0ELj4294967295EEENS1_25partition_config_selectorILNS1_17partition_subalgoE3EjNS0_10empty_typeEbEEZZNS1_14partition_implILS8_3ELb0ES6_jNS0_17counting_iteratorIjlEEPS9_SE_NS0_5tupleIJPjSE_EEENSF_IJSE_SE_EEES9_SG_JZNS1_25segmented_radix_sort_implINS0_14default_configELb0EPKfPfPKlPlN2at6native12_GLOBAL__N_18offset_tEEE10hipError_tPvRmT1_PNSt15iterator_traitsISY_E10value_typeET2_T3_PNSZ_IS14_E10value_typeET4_jRbjT5_S1A_jjP12ihipStream_tbEUljE_EEESV_SW_SX_S14_S18_S1A_T6_T7_T9_mT8_S1C_bDpT10_ENKUlT_T0_E_clISt17integral_constantIbLb0EES1P_EEDaS1K_S1L_EUlS1K_E_NS1_11comp_targetILNS1_3genE9ELNS1_11target_archE1100ELNS1_3gpuE3ELNS1_3repE0EEENS1_30default_config_static_selectorELNS0_4arch9wavefront6targetE0EEEvSY_
		.amdhsa_group_segment_fixed_size 0
		.amdhsa_private_segment_fixed_size 0
		.amdhsa_kernarg_size 144
		.amdhsa_user_sgpr_count 2
		.amdhsa_user_sgpr_dispatch_ptr 0
		.amdhsa_user_sgpr_queue_ptr 0
		.amdhsa_user_sgpr_kernarg_segment_ptr 1
		.amdhsa_user_sgpr_dispatch_id 0
		.amdhsa_user_sgpr_private_segment_size 0
		.amdhsa_wavefront_size32 1
		.amdhsa_uses_dynamic_stack 0
		.amdhsa_enable_private_segment 0
		.amdhsa_system_sgpr_workgroup_id_x 1
		.amdhsa_system_sgpr_workgroup_id_y 0
		.amdhsa_system_sgpr_workgroup_id_z 0
		.amdhsa_system_sgpr_workgroup_info 0
		.amdhsa_system_vgpr_workitem_id 0
		.amdhsa_next_free_vgpr 1
		.amdhsa_next_free_sgpr 1
		.amdhsa_reserve_vcc 0
		.amdhsa_float_round_mode_32 0
		.amdhsa_float_round_mode_16_64 0
		.amdhsa_float_denorm_mode_32 3
		.amdhsa_float_denorm_mode_16_64 3
		.amdhsa_fp16_overflow 0
		.amdhsa_workgroup_processor_mode 1
		.amdhsa_memory_ordered 1
		.amdhsa_forward_progress 1
		.amdhsa_inst_pref_size 0
		.amdhsa_round_robin_scheduling 0
		.amdhsa_exception_fp_ieee_invalid_op 0
		.amdhsa_exception_fp_denorm_src 0
		.amdhsa_exception_fp_ieee_div_zero 0
		.amdhsa_exception_fp_ieee_overflow 0
		.amdhsa_exception_fp_ieee_underflow 0
		.amdhsa_exception_fp_ieee_inexact 0
		.amdhsa_exception_int_div_zero 0
	.end_amdhsa_kernel
	.section	.text._ZN7rocprim17ROCPRIM_400000_NS6detail17trampoline_kernelINS0_13select_configILj256ELj13ELNS0_17block_load_methodE3ELS4_3ELS4_3ELNS0_20block_scan_algorithmE0ELj4294967295EEENS1_25partition_config_selectorILNS1_17partition_subalgoE3EjNS0_10empty_typeEbEEZZNS1_14partition_implILS8_3ELb0ES6_jNS0_17counting_iteratorIjlEEPS9_SE_NS0_5tupleIJPjSE_EEENSF_IJSE_SE_EEES9_SG_JZNS1_25segmented_radix_sort_implINS0_14default_configELb0EPKfPfPKlPlN2at6native12_GLOBAL__N_18offset_tEEE10hipError_tPvRmT1_PNSt15iterator_traitsISY_E10value_typeET2_T3_PNSZ_IS14_E10value_typeET4_jRbjT5_S1A_jjP12ihipStream_tbEUljE_EEESV_SW_SX_S14_S18_S1A_T6_T7_T9_mT8_S1C_bDpT10_ENKUlT_T0_E_clISt17integral_constantIbLb0EES1P_EEDaS1K_S1L_EUlS1K_E_NS1_11comp_targetILNS1_3genE9ELNS1_11target_archE1100ELNS1_3gpuE3ELNS1_3repE0EEENS1_30default_config_static_selectorELNS0_4arch9wavefront6targetE0EEEvSY_,"axG",@progbits,_ZN7rocprim17ROCPRIM_400000_NS6detail17trampoline_kernelINS0_13select_configILj256ELj13ELNS0_17block_load_methodE3ELS4_3ELS4_3ELNS0_20block_scan_algorithmE0ELj4294967295EEENS1_25partition_config_selectorILNS1_17partition_subalgoE3EjNS0_10empty_typeEbEEZZNS1_14partition_implILS8_3ELb0ES6_jNS0_17counting_iteratorIjlEEPS9_SE_NS0_5tupleIJPjSE_EEENSF_IJSE_SE_EEES9_SG_JZNS1_25segmented_radix_sort_implINS0_14default_configELb0EPKfPfPKlPlN2at6native12_GLOBAL__N_18offset_tEEE10hipError_tPvRmT1_PNSt15iterator_traitsISY_E10value_typeET2_T3_PNSZ_IS14_E10value_typeET4_jRbjT5_S1A_jjP12ihipStream_tbEUljE_EEESV_SW_SX_S14_S18_S1A_T6_T7_T9_mT8_S1C_bDpT10_ENKUlT_T0_E_clISt17integral_constantIbLb0EES1P_EEDaS1K_S1L_EUlS1K_E_NS1_11comp_targetILNS1_3genE9ELNS1_11target_archE1100ELNS1_3gpuE3ELNS1_3repE0EEENS1_30default_config_static_selectorELNS0_4arch9wavefront6targetE0EEEvSY_,comdat
.Lfunc_end1402:
	.size	_ZN7rocprim17ROCPRIM_400000_NS6detail17trampoline_kernelINS0_13select_configILj256ELj13ELNS0_17block_load_methodE3ELS4_3ELS4_3ELNS0_20block_scan_algorithmE0ELj4294967295EEENS1_25partition_config_selectorILNS1_17partition_subalgoE3EjNS0_10empty_typeEbEEZZNS1_14partition_implILS8_3ELb0ES6_jNS0_17counting_iteratorIjlEEPS9_SE_NS0_5tupleIJPjSE_EEENSF_IJSE_SE_EEES9_SG_JZNS1_25segmented_radix_sort_implINS0_14default_configELb0EPKfPfPKlPlN2at6native12_GLOBAL__N_18offset_tEEE10hipError_tPvRmT1_PNSt15iterator_traitsISY_E10value_typeET2_T3_PNSZ_IS14_E10value_typeET4_jRbjT5_S1A_jjP12ihipStream_tbEUljE_EEESV_SW_SX_S14_S18_S1A_T6_T7_T9_mT8_S1C_bDpT10_ENKUlT_T0_E_clISt17integral_constantIbLb0EES1P_EEDaS1K_S1L_EUlS1K_E_NS1_11comp_targetILNS1_3genE9ELNS1_11target_archE1100ELNS1_3gpuE3ELNS1_3repE0EEENS1_30default_config_static_selectorELNS0_4arch9wavefront6targetE0EEEvSY_, .Lfunc_end1402-_ZN7rocprim17ROCPRIM_400000_NS6detail17trampoline_kernelINS0_13select_configILj256ELj13ELNS0_17block_load_methodE3ELS4_3ELS4_3ELNS0_20block_scan_algorithmE0ELj4294967295EEENS1_25partition_config_selectorILNS1_17partition_subalgoE3EjNS0_10empty_typeEbEEZZNS1_14partition_implILS8_3ELb0ES6_jNS0_17counting_iteratorIjlEEPS9_SE_NS0_5tupleIJPjSE_EEENSF_IJSE_SE_EEES9_SG_JZNS1_25segmented_radix_sort_implINS0_14default_configELb0EPKfPfPKlPlN2at6native12_GLOBAL__N_18offset_tEEE10hipError_tPvRmT1_PNSt15iterator_traitsISY_E10value_typeET2_T3_PNSZ_IS14_E10value_typeET4_jRbjT5_S1A_jjP12ihipStream_tbEUljE_EEESV_SW_SX_S14_S18_S1A_T6_T7_T9_mT8_S1C_bDpT10_ENKUlT_T0_E_clISt17integral_constantIbLb0EES1P_EEDaS1K_S1L_EUlS1K_E_NS1_11comp_targetILNS1_3genE9ELNS1_11target_archE1100ELNS1_3gpuE3ELNS1_3repE0EEENS1_30default_config_static_selectorELNS0_4arch9wavefront6targetE0EEEvSY_
                                        ; -- End function
	.set _ZN7rocprim17ROCPRIM_400000_NS6detail17trampoline_kernelINS0_13select_configILj256ELj13ELNS0_17block_load_methodE3ELS4_3ELS4_3ELNS0_20block_scan_algorithmE0ELj4294967295EEENS1_25partition_config_selectorILNS1_17partition_subalgoE3EjNS0_10empty_typeEbEEZZNS1_14partition_implILS8_3ELb0ES6_jNS0_17counting_iteratorIjlEEPS9_SE_NS0_5tupleIJPjSE_EEENSF_IJSE_SE_EEES9_SG_JZNS1_25segmented_radix_sort_implINS0_14default_configELb0EPKfPfPKlPlN2at6native12_GLOBAL__N_18offset_tEEE10hipError_tPvRmT1_PNSt15iterator_traitsISY_E10value_typeET2_T3_PNSZ_IS14_E10value_typeET4_jRbjT5_S1A_jjP12ihipStream_tbEUljE_EEESV_SW_SX_S14_S18_S1A_T6_T7_T9_mT8_S1C_bDpT10_ENKUlT_T0_E_clISt17integral_constantIbLb0EES1P_EEDaS1K_S1L_EUlS1K_E_NS1_11comp_targetILNS1_3genE9ELNS1_11target_archE1100ELNS1_3gpuE3ELNS1_3repE0EEENS1_30default_config_static_selectorELNS0_4arch9wavefront6targetE0EEEvSY_.num_vgpr, 0
	.set _ZN7rocprim17ROCPRIM_400000_NS6detail17trampoline_kernelINS0_13select_configILj256ELj13ELNS0_17block_load_methodE3ELS4_3ELS4_3ELNS0_20block_scan_algorithmE0ELj4294967295EEENS1_25partition_config_selectorILNS1_17partition_subalgoE3EjNS0_10empty_typeEbEEZZNS1_14partition_implILS8_3ELb0ES6_jNS0_17counting_iteratorIjlEEPS9_SE_NS0_5tupleIJPjSE_EEENSF_IJSE_SE_EEES9_SG_JZNS1_25segmented_radix_sort_implINS0_14default_configELb0EPKfPfPKlPlN2at6native12_GLOBAL__N_18offset_tEEE10hipError_tPvRmT1_PNSt15iterator_traitsISY_E10value_typeET2_T3_PNSZ_IS14_E10value_typeET4_jRbjT5_S1A_jjP12ihipStream_tbEUljE_EEESV_SW_SX_S14_S18_S1A_T6_T7_T9_mT8_S1C_bDpT10_ENKUlT_T0_E_clISt17integral_constantIbLb0EES1P_EEDaS1K_S1L_EUlS1K_E_NS1_11comp_targetILNS1_3genE9ELNS1_11target_archE1100ELNS1_3gpuE3ELNS1_3repE0EEENS1_30default_config_static_selectorELNS0_4arch9wavefront6targetE0EEEvSY_.num_agpr, 0
	.set _ZN7rocprim17ROCPRIM_400000_NS6detail17trampoline_kernelINS0_13select_configILj256ELj13ELNS0_17block_load_methodE3ELS4_3ELS4_3ELNS0_20block_scan_algorithmE0ELj4294967295EEENS1_25partition_config_selectorILNS1_17partition_subalgoE3EjNS0_10empty_typeEbEEZZNS1_14partition_implILS8_3ELb0ES6_jNS0_17counting_iteratorIjlEEPS9_SE_NS0_5tupleIJPjSE_EEENSF_IJSE_SE_EEES9_SG_JZNS1_25segmented_radix_sort_implINS0_14default_configELb0EPKfPfPKlPlN2at6native12_GLOBAL__N_18offset_tEEE10hipError_tPvRmT1_PNSt15iterator_traitsISY_E10value_typeET2_T3_PNSZ_IS14_E10value_typeET4_jRbjT5_S1A_jjP12ihipStream_tbEUljE_EEESV_SW_SX_S14_S18_S1A_T6_T7_T9_mT8_S1C_bDpT10_ENKUlT_T0_E_clISt17integral_constantIbLb0EES1P_EEDaS1K_S1L_EUlS1K_E_NS1_11comp_targetILNS1_3genE9ELNS1_11target_archE1100ELNS1_3gpuE3ELNS1_3repE0EEENS1_30default_config_static_selectorELNS0_4arch9wavefront6targetE0EEEvSY_.numbered_sgpr, 0
	.set _ZN7rocprim17ROCPRIM_400000_NS6detail17trampoline_kernelINS0_13select_configILj256ELj13ELNS0_17block_load_methodE3ELS4_3ELS4_3ELNS0_20block_scan_algorithmE0ELj4294967295EEENS1_25partition_config_selectorILNS1_17partition_subalgoE3EjNS0_10empty_typeEbEEZZNS1_14partition_implILS8_3ELb0ES6_jNS0_17counting_iteratorIjlEEPS9_SE_NS0_5tupleIJPjSE_EEENSF_IJSE_SE_EEES9_SG_JZNS1_25segmented_radix_sort_implINS0_14default_configELb0EPKfPfPKlPlN2at6native12_GLOBAL__N_18offset_tEEE10hipError_tPvRmT1_PNSt15iterator_traitsISY_E10value_typeET2_T3_PNSZ_IS14_E10value_typeET4_jRbjT5_S1A_jjP12ihipStream_tbEUljE_EEESV_SW_SX_S14_S18_S1A_T6_T7_T9_mT8_S1C_bDpT10_ENKUlT_T0_E_clISt17integral_constantIbLb0EES1P_EEDaS1K_S1L_EUlS1K_E_NS1_11comp_targetILNS1_3genE9ELNS1_11target_archE1100ELNS1_3gpuE3ELNS1_3repE0EEENS1_30default_config_static_selectorELNS0_4arch9wavefront6targetE0EEEvSY_.num_named_barrier, 0
	.set _ZN7rocprim17ROCPRIM_400000_NS6detail17trampoline_kernelINS0_13select_configILj256ELj13ELNS0_17block_load_methodE3ELS4_3ELS4_3ELNS0_20block_scan_algorithmE0ELj4294967295EEENS1_25partition_config_selectorILNS1_17partition_subalgoE3EjNS0_10empty_typeEbEEZZNS1_14partition_implILS8_3ELb0ES6_jNS0_17counting_iteratorIjlEEPS9_SE_NS0_5tupleIJPjSE_EEENSF_IJSE_SE_EEES9_SG_JZNS1_25segmented_radix_sort_implINS0_14default_configELb0EPKfPfPKlPlN2at6native12_GLOBAL__N_18offset_tEEE10hipError_tPvRmT1_PNSt15iterator_traitsISY_E10value_typeET2_T3_PNSZ_IS14_E10value_typeET4_jRbjT5_S1A_jjP12ihipStream_tbEUljE_EEESV_SW_SX_S14_S18_S1A_T6_T7_T9_mT8_S1C_bDpT10_ENKUlT_T0_E_clISt17integral_constantIbLb0EES1P_EEDaS1K_S1L_EUlS1K_E_NS1_11comp_targetILNS1_3genE9ELNS1_11target_archE1100ELNS1_3gpuE3ELNS1_3repE0EEENS1_30default_config_static_selectorELNS0_4arch9wavefront6targetE0EEEvSY_.private_seg_size, 0
	.set _ZN7rocprim17ROCPRIM_400000_NS6detail17trampoline_kernelINS0_13select_configILj256ELj13ELNS0_17block_load_methodE3ELS4_3ELS4_3ELNS0_20block_scan_algorithmE0ELj4294967295EEENS1_25partition_config_selectorILNS1_17partition_subalgoE3EjNS0_10empty_typeEbEEZZNS1_14partition_implILS8_3ELb0ES6_jNS0_17counting_iteratorIjlEEPS9_SE_NS0_5tupleIJPjSE_EEENSF_IJSE_SE_EEES9_SG_JZNS1_25segmented_radix_sort_implINS0_14default_configELb0EPKfPfPKlPlN2at6native12_GLOBAL__N_18offset_tEEE10hipError_tPvRmT1_PNSt15iterator_traitsISY_E10value_typeET2_T3_PNSZ_IS14_E10value_typeET4_jRbjT5_S1A_jjP12ihipStream_tbEUljE_EEESV_SW_SX_S14_S18_S1A_T6_T7_T9_mT8_S1C_bDpT10_ENKUlT_T0_E_clISt17integral_constantIbLb0EES1P_EEDaS1K_S1L_EUlS1K_E_NS1_11comp_targetILNS1_3genE9ELNS1_11target_archE1100ELNS1_3gpuE3ELNS1_3repE0EEENS1_30default_config_static_selectorELNS0_4arch9wavefront6targetE0EEEvSY_.uses_vcc, 0
	.set _ZN7rocprim17ROCPRIM_400000_NS6detail17trampoline_kernelINS0_13select_configILj256ELj13ELNS0_17block_load_methodE3ELS4_3ELS4_3ELNS0_20block_scan_algorithmE0ELj4294967295EEENS1_25partition_config_selectorILNS1_17partition_subalgoE3EjNS0_10empty_typeEbEEZZNS1_14partition_implILS8_3ELb0ES6_jNS0_17counting_iteratorIjlEEPS9_SE_NS0_5tupleIJPjSE_EEENSF_IJSE_SE_EEES9_SG_JZNS1_25segmented_radix_sort_implINS0_14default_configELb0EPKfPfPKlPlN2at6native12_GLOBAL__N_18offset_tEEE10hipError_tPvRmT1_PNSt15iterator_traitsISY_E10value_typeET2_T3_PNSZ_IS14_E10value_typeET4_jRbjT5_S1A_jjP12ihipStream_tbEUljE_EEESV_SW_SX_S14_S18_S1A_T6_T7_T9_mT8_S1C_bDpT10_ENKUlT_T0_E_clISt17integral_constantIbLb0EES1P_EEDaS1K_S1L_EUlS1K_E_NS1_11comp_targetILNS1_3genE9ELNS1_11target_archE1100ELNS1_3gpuE3ELNS1_3repE0EEENS1_30default_config_static_selectorELNS0_4arch9wavefront6targetE0EEEvSY_.uses_flat_scratch, 0
	.set _ZN7rocprim17ROCPRIM_400000_NS6detail17trampoline_kernelINS0_13select_configILj256ELj13ELNS0_17block_load_methodE3ELS4_3ELS4_3ELNS0_20block_scan_algorithmE0ELj4294967295EEENS1_25partition_config_selectorILNS1_17partition_subalgoE3EjNS0_10empty_typeEbEEZZNS1_14partition_implILS8_3ELb0ES6_jNS0_17counting_iteratorIjlEEPS9_SE_NS0_5tupleIJPjSE_EEENSF_IJSE_SE_EEES9_SG_JZNS1_25segmented_radix_sort_implINS0_14default_configELb0EPKfPfPKlPlN2at6native12_GLOBAL__N_18offset_tEEE10hipError_tPvRmT1_PNSt15iterator_traitsISY_E10value_typeET2_T3_PNSZ_IS14_E10value_typeET4_jRbjT5_S1A_jjP12ihipStream_tbEUljE_EEESV_SW_SX_S14_S18_S1A_T6_T7_T9_mT8_S1C_bDpT10_ENKUlT_T0_E_clISt17integral_constantIbLb0EES1P_EEDaS1K_S1L_EUlS1K_E_NS1_11comp_targetILNS1_3genE9ELNS1_11target_archE1100ELNS1_3gpuE3ELNS1_3repE0EEENS1_30default_config_static_selectorELNS0_4arch9wavefront6targetE0EEEvSY_.has_dyn_sized_stack, 0
	.set _ZN7rocprim17ROCPRIM_400000_NS6detail17trampoline_kernelINS0_13select_configILj256ELj13ELNS0_17block_load_methodE3ELS4_3ELS4_3ELNS0_20block_scan_algorithmE0ELj4294967295EEENS1_25partition_config_selectorILNS1_17partition_subalgoE3EjNS0_10empty_typeEbEEZZNS1_14partition_implILS8_3ELb0ES6_jNS0_17counting_iteratorIjlEEPS9_SE_NS0_5tupleIJPjSE_EEENSF_IJSE_SE_EEES9_SG_JZNS1_25segmented_radix_sort_implINS0_14default_configELb0EPKfPfPKlPlN2at6native12_GLOBAL__N_18offset_tEEE10hipError_tPvRmT1_PNSt15iterator_traitsISY_E10value_typeET2_T3_PNSZ_IS14_E10value_typeET4_jRbjT5_S1A_jjP12ihipStream_tbEUljE_EEESV_SW_SX_S14_S18_S1A_T6_T7_T9_mT8_S1C_bDpT10_ENKUlT_T0_E_clISt17integral_constantIbLb0EES1P_EEDaS1K_S1L_EUlS1K_E_NS1_11comp_targetILNS1_3genE9ELNS1_11target_archE1100ELNS1_3gpuE3ELNS1_3repE0EEENS1_30default_config_static_selectorELNS0_4arch9wavefront6targetE0EEEvSY_.has_recursion, 0
	.set _ZN7rocprim17ROCPRIM_400000_NS6detail17trampoline_kernelINS0_13select_configILj256ELj13ELNS0_17block_load_methodE3ELS4_3ELS4_3ELNS0_20block_scan_algorithmE0ELj4294967295EEENS1_25partition_config_selectorILNS1_17partition_subalgoE3EjNS0_10empty_typeEbEEZZNS1_14partition_implILS8_3ELb0ES6_jNS0_17counting_iteratorIjlEEPS9_SE_NS0_5tupleIJPjSE_EEENSF_IJSE_SE_EEES9_SG_JZNS1_25segmented_radix_sort_implINS0_14default_configELb0EPKfPfPKlPlN2at6native12_GLOBAL__N_18offset_tEEE10hipError_tPvRmT1_PNSt15iterator_traitsISY_E10value_typeET2_T3_PNSZ_IS14_E10value_typeET4_jRbjT5_S1A_jjP12ihipStream_tbEUljE_EEESV_SW_SX_S14_S18_S1A_T6_T7_T9_mT8_S1C_bDpT10_ENKUlT_T0_E_clISt17integral_constantIbLb0EES1P_EEDaS1K_S1L_EUlS1K_E_NS1_11comp_targetILNS1_3genE9ELNS1_11target_archE1100ELNS1_3gpuE3ELNS1_3repE0EEENS1_30default_config_static_selectorELNS0_4arch9wavefront6targetE0EEEvSY_.has_indirect_call, 0
	.section	.AMDGPU.csdata,"",@progbits
; Kernel info:
; codeLenInByte = 0
; TotalNumSgprs: 0
; NumVgprs: 0
; ScratchSize: 0
; MemoryBound: 0
; FloatMode: 240
; IeeeMode: 1
; LDSByteSize: 0 bytes/workgroup (compile time only)
; SGPRBlocks: 0
; VGPRBlocks: 0
; NumSGPRsForWavesPerEU: 1
; NumVGPRsForWavesPerEU: 1
; Occupancy: 16
; WaveLimiterHint : 0
; COMPUTE_PGM_RSRC2:SCRATCH_EN: 0
; COMPUTE_PGM_RSRC2:USER_SGPR: 2
; COMPUTE_PGM_RSRC2:TRAP_HANDLER: 0
; COMPUTE_PGM_RSRC2:TGID_X_EN: 1
; COMPUTE_PGM_RSRC2:TGID_Y_EN: 0
; COMPUTE_PGM_RSRC2:TGID_Z_EN: 0
; COMPUTE_PGM_RSRC2:TIDIG_COMP_CNT: 0
	.section	.text._ZN7rocprim17ROCPRIM_400000_NS6detail17trampoline_kernelINS0_13select_configILj256ELj13ELNS0_17block_load_methodE3ELS4_3ELS4_3ELNS0_20block_scan_algorithmE0ELj4294967295EEENS1_25partition_config_selectorILNS1_17partition_subalgoE3EjNS0_10empty_typeEbEEZZNS1_14partition_implILS8_3ELb0ES6_jNS0_17counting_iteratorIjlEEPS9_SE_NS0_5tupleIJPjSE_EEENSF_IJSE_SE_EEES9_SG_JZNS1_25segmented_radix_sort_implINS0_14default_configELb0EPKfPfPKlPlN2at6native12_GLOBAL__N_18offset_tEEE10hipError_tPvRmT1_PNSt15iterator_traitsISY_E10value_typeET2_T3_PNSZ_IS14_E10value_typeET4_jRbjT5_S1A_jjP12ihipStream_tbEUljE_EEESV_SW_SX_S14_S18_S1A_T6_T7_T9_mT8_S1C_bDpT10_ENKUlT_T0_E_clISt17integral_constantIbLb0EES1P_EEDaS1K_S1L_EUlS1K_E_NS1_11comp_targetILNS1_3genE8ELNS1_11target_archE1030ELNS1_3gpuE2ELNS1_3repE0EEENS1_30default_config_static_selectorELNS0_4arch9wavefront6targetE0EEEvSY_,"axG",@progbits,_ZN7rocprim17ROCPRIM_400000_NS6detail17trampoline_kernelINS0_13select_configILj256ELj13ELNS0_17block_load_methodE3ELS4_3ELS4_3ELNS0_20block_scan_algorithmE0ELj4294967295EEENS1_25partition_config_selectorILNS1_17partition_subalgoE3EjNS0_10empty_typeEbEEZZNS1_14partition_implILS8_3ELb0ES6_jNS0_17counting_iteratorIjlEEPS9_SE_NS0_5tupleIJPjSE_EEENSF_IJSE_SE_EEES9_SG_JZNS1_25segmented_radix_sort_implINS0_14default_configELb0EPKfPfPKlPlN2at6native12_GLOBAL__N_18offset_tEEE10hipError_tPvRmT1_PNSt15iterator_traitsISY_E10value_typeET2_T3_PNSZ_IS14_E10value_typeET4_jRbjT5_S1A_jjP12ihipStream_tbEUljE_EEESV_SW_SX_S14_S18_S1A_T6_T7_T9_mT8_S1C_bDpT10_ENKUlT_T0_E_clISt17integral_constantIbLb0EES1P_EEDaS1K_S1L_EUlS1K_E_NS1_11comp_targetILNS1_3genE8ELNS1_11target_archE1030ELNS1_3gpuE2ELNS1_3repE0EEENS1_30default_config_static_selectorELNS0_4arch9wavefront6targetE0EEEvSY_,comdat
	.globl	_ZN7rocprim17ROCPRIM_400000_NS6detail17trampoline_kernelINS0_13select_configILj256ELj13ELNS0_17block_load_methodE3ELS4_3ELS4_3ELNS0_20block_scan_algorithmE0ELj4294967295EEENS1_25partition_config_selectorILNS1_17partition_subalgoE3EjNS0_10empty_typeEbEEZZNS1_14partition_implILS8_3ELb0ES6_jNS0_17counting_iteratorIjlEEPS9_SE_NS0_5tupleIJPjSE_EEENSF_IJSE_SE_EEES9_SG_JZNS1_25segmented_radix_sort_implINS0_14default_configELb0EPKfPfPKlPlN2at6native12_GLOBAL__N_18offset_tEEE10hipError_tPvRmT1_PNSt15iterator_traitsISY_E10value_typeET2_T3_PNSZ_IS14_E10value_typeET4_jRbjT5_S1A_jjP12ihipStream_tbEUljE_EEESV_SW_SX_S14_S18_S1A_T6_T7_T9_mT8_S1C_bDpT10_ENKUlT_T0_E_clISt17integral_constantIbLb0EES1P_EEDaS1K_S1L_EUlS1K_E_NS1_11comp_targetILNS1_3genE8ELNS1_11target_archE1030ELNS1_3gpuE2ELNS1_3repE0EEENS1_30default_config_static_selectorELNS0_4arch9wavefront6targetE0EEEvSY_ ; -- Begin function _ZN7rocprim17ROCPRIM_400000_NS6detail17trampoline_kernelINS0_13select_configILj256ELj13ELNS0_17block_load_methodE3ELS4_3ELS4_3ELNS0_20block_scan_algorithmE0ELj4294967295EEENS1_25partition_config_selectorILNS1_17partition_subalgoE3EjNS0_10empty_typeEbEEZZNS1_14partition_implILS8_3ELb0ES6_jNS0_17counting_iteratorIjlEEPS9_SE_NS0_5tupleIJPjSE_EEENSF_IJSE_SE_EEES9_SG_JZNS1_25segmented_radix_sort_implINS0_14default_configELb0EPKfPfPKlPlN2at6native12_GLOBAL__N_18offset_tEEE10hipError_tPvRmT1_PNSt15iterator_traitsISY_E10value_typeET2_T3_PNSZ_IS14_E10value_typeET4_jRbjT5_S1A_jjP12ihipStream_tbEUljE_EEESV_SW_SX_S14_S18_S1A_T6_T7_T9_mT8_S1C_bDpT10_ENKUlT_T0_E_clISt17integral_constantIbLb0EES1P_EEDaS1K_S1L_EUlS1K_E_NS1_11comp_targetILNS1_3genE8ELNS1_11target_archE1030ELNS1_3gpuE2ELNS1_3repE0EEENS1_30default_config_static_selectorELNS0_4arch9wavefront6targetE0EEEvSY_
	.p2align	8
	.type	_ZN7rocprim17ROCPRIM_400000_NS6detail17trampoline_kernelINS0_13select_configILj256ELj13ELNS0_17block_load_methodE3ELS4_3ELS4_3ELNS0_20block_scan_algorithmE0ELj4294967295EEENS1_25partition_config_selectorILNS1_17partition_subalgoE3EjNS0_10empty_typeEbEEZZNS1_14partition_implILS8_3ELb0ES6_jNS0_17counting_iteratorIjlEEPS9_SE_NS0_5tupleIJPjSE_EEENSF_IJSE_SE_EEES9_SG_JZNS1_25segmented_radix_sort_implINS0_14default_configELb0EPKfPfPKlPlN2at6native12_GLOBAL__N_18offset_tEEE10hipError_tPvRmT1_PNSt15iterator_traitsISY_E10value_typeET2_T3_PNSZ_IS14_E10value_typeET4_jRbjT5_S1A_jjP12ihipStream_tbEUljE_EEESV_SW_SX_S14_S18_S1A_T6_T7_T9_mT8_S1C_bDpT10_ENKUlT_T0_E_clISt17integral_constantIbLb0EES1P_EEDaS1K_S1L_EUlS1K_E_NS1_11comp_targetILNS1_3genE8ELNS1_11target_archE1030ELNS1_3gpuE2ELNS1_3repE0EEENS1_30default_config_static_selectorELNS0_4arch9wavefront6targetE0EEEvSY_,@function
_ZN7rocprim17ROCPRIM_400000_NS6detail17trampoline_kernelINS0_13select_configILj256ELj13ELNS0_17block_load_methodE3ELS4_3ELS4_3ELNS0_20block_scan_algorithmE0ELj4294967295EEENS1_25partition_config_selectorILNS1_17partition_subalgoE3EjNS0_10empty_typeEbEEZZNS1_14partition_implILS8_3ELb0ES6_jNS0_17counting_iteratorIjlEEPS9_SE_NS0_5tupleIJPjSE_EEENSF_IJSE_SE_EEES9_SG_JZNS1_25segmented_radix_sort_implINS0_14default_configELb0EPKfPfPKlPlN2at6native12_GLOBAL__N_18offset_tEEE10hipError_tPvRmT1_PNSt15iterator_traitsISY_E10value_typeET2_T3_PNSZ_IS14_E10value_typeET4_jRbjT5_S1A_jjP12ihipStream_tbEUljE_EEESV_SW_SX_S14_S18_S1A_T6_T7_T9_mT8_S1C_bDpT10_ENKUlT_T0_E_clISt17integral_constantIbLb0EES1P_EEDaS1K_S1L_EUlS1K_E_NS1_11comp_targetILNS1_3genE8ELNS1_11target_archE1030ELNS1_3gpuE2ELNS1_3repE0EEENS1_30default_config_static_selectorELNS0_4arch9wavefront6targetE0EEEvSY_: ; @_ZN7rocprim17ROCPRIM_400000_NS6detail17trampoline_kernelINS0_13select_configILj256ELj13ELNS0_17block_load_methodE3ELS4_3ELS4_3ELNS0_20block_scan_algorithmE0ELj4294967295EEENS1_25partition_config_selectorILNS1_17partition_subalgoE3EjNS0_10empty_typeEbEEZZNS1_14partition_implILS8_3ELb0ES6_jNS0_17counting_iteratorIjlEEPS9_SE_NS0_5tupleIJPjSE_EEENSF_IJSE_SE_EEES9_SG_JZNS1_25segmented_radix_sort_implINS0_14default_configELb0EPKfPfPKlPlN2at6native12_GLOBAL__N_18offset_tEEE10hipError_tPvRmT1_PNSt15iterator_traitsISY_E10value_typeET2_T3_PNSZ_IS14_E10value_typeET4_jRbjT5_S1A_jjP12ihipStream_tbEUljE_EEESV_SW_SX_S14_S18_S1A_T6_T7_T9_mT8_S1C_bDpT10_ENKUlT_T0_E_clISt17integral_constantIbLb0EES1P_EEDaS1K_S1L_EUlS1K_E_NS1_11comp_targetILNS1_3genE8ELNS1_11target_archE1030ELNS1_3gpuE2ELNS1_3repE0EEENS1_30default_config_static_selectorELNS0_4arch9wavefront6targetE0EEEvSY_
; %bb.0:
	.section	.rodata,"a",@progbits
	.p2align	6, 0x0
	.amdhsa_kernel _ZN7rocprim17ROCPRIM_400000_NS6detail17trampoline_kernelINS0_13select_configILj256ELj13ELNS0_17block_load_methodE3ELS4_3ELS4_3ELNS0_20block_scan_algorithmE0ELj4294967295EEENS1_25partition_config_selectorILNS1_17partition_subalgoE3EjNS0_10empty_typeEbEEZZNS1_14partition_implILS8_3ELb0ES6_jNS0_17counting_iteratorIjlEEPS9_SE_NS0_5tupleIJPjSE_EEENSF_IJSE_SE_EEES9_SG_JZNS1_25segmented_radix_sort_implINS0_14default_configELb0EPKfPfPKlPlN2at6native12_GLOBAL__N_18offset_tEEE10hipError_tPvRmT1_PNSt15iterator_traitsISY_E10value_typeET2_T3_PNSZ_IS14_E10value_typeET4_jRbjT5_S1A_jjP12ihipStream_tbEUljE_EEESV_SW_SX_S14_S18_S1A_T6_T7_T9_mT8_S1C_bDpT10_ENKUlT_T0_E_clISt17integral_constantIbLb0EES1P_EEDaS1K_S1L_EUlS1K_E_NS1_11comp_targetILNS1_3genE8ELNS1_11target_archE1030ELNS1_3gpuE2ELNS1_3repE0EEENS1_30default_config_static_selectorELNS0_4arch9wavefront6targetE0EEEvSY_
		.amdhsa_group_segment_fixed_size 0
		.amdhsa_private_segment_fixed_size 0
		.amdhsa_kernarg_size 144
		.amdhsa_user_sgpr_count 2
		.amdhsa_user_sgpr_dispatch_ptr 0
		.amdhsa_user_sgpr_queue_ptr 0
		.amdhsa_user_sgpr_kernarg_segment_ptr 1
		.amdhsa_user_sgpr_dispatch_id 0
		.amdhsa_user_sgpr_private_segment_size 0
		.amdhsa_wavefront_size32 1
		.amdhsa_uses_dynamic_stack 0
		.amdhsa_enable_private_segment 0
		.amdhsa_system_sgpr_workgroup_id_x 1
		.amdhsa_system_sgpr_workgroup_id_y 0
		.amdhsa_system_sgpr_workgroup_id_z 0
		.amdhsa_system_sgpr_workgroup_info 0
		.amdhsa_system_vgpr_workitem_id 0
		.amdhsa_next_free_vgpr 1
		.amdhsa_next_free_sgpr 1
		.amdhsa_reserve_vcc 0
		.amdhsa_float_round_mode_32 0
		.amdhsa_float_round_mode_16_64 0
		.amdhsa_float_denorm_mode_32 3
		.amdhsa_float_denorm_mode_16_64 3
		.amdhsa_fp16_overflow 0
		.amdhsa_workgroup_processor_mode 1
		.amdhsa_memory_ordered 1
		.amdhsa_forward_progress 1
		.amdhsa_inst_pref_size 0
		.amdhsa_round_robin_scheduling 0
		.amdhsa_exception_fp_ieee_invalid_op 0
		.amdhsa_exception_fp_denorm_src 0
		.amdhsa_exception_fp_ieee_div_zero 0
		.amdhsa_exception_fp_ieee_overflow 0
		.amdhsa_exception_fp_ieee_underflow 0
		.amdhsa_exception_fp_ieee_inexact 0
		.amdhsa_exception_int_div_zero 0
	.end_amdhsa_kernel
	.section	.text._ZN7rocprim17ROCPRIM_400000_NS6detail17trampoline_kernelINS0_13select_configILj256ELj13ELNS0_17block_load_methodE3ELS4_3ELS4_3ELNS0_20block_scan_algorithmE0ELj4294967295EEENS1_25partition_config_selectorILNS1_17partition_subalgoE3EjNS0_10empty_typeEbEEZZNS1_14partition_implILS8_3ELb0ES6_jNS0_17counting_iteratorIjlEEPS9_SE_NS0_5tupleIJPjSE_EEENSF_IJSE_SE_EEES9_SG_JZNS1_25segmented_radix_sort_implINS0_14default_configELb0EPKfPfPKlPlN2at6native12_GLOBAL__N_18offset_tEEE10hipError_tPvRmT1_PNSt15iterator_traitsISY_E10value_typeET2_T3_PNSZ_IS14_E10value_typeET4_jRbjT5_S1A_jjP12ihipStream_tbEUljE_EEESV_SW_SX_S14_S18_S1A_T6_T7_T9_mT8_S1C_bDpT10_ENKUlT_T0_E_clISt17integral_constantIbLb0EES1P_EEDaS1K_S1L_EUlS1K_E_NS1_11comp_targetILNS1_3genE8ELNS1_11target_archE1030ELNS1_3gpuE2ELNS1_3repE0EEENS1_30default_config_static_selectorELNS0_4arch9wavefront6targetE0EEEvSY_,"axG",@progbits,_ZN7rocprim17ROCPRIM_400000_NS6detail17trampoline_kernelINS0_13select_configILj256ELj13ELNS0_17block_load_methodE3ELS4_3ELS4_3ELNS0_20block_scan_algorithmE0ELj4294967295EEENS1_25partition_config_selectorILNS1_17partition_subalgoE3EjNS0_10empty_typeEbEEZZNS1_14partition_implILS8_3ELb0ES6_jNS0_17counting_iteratorIjlEEPS9_SE_NS0_5tupleIJPjSE_EEENSF_IJSE_SE_EEES9_SG_JZNS1_25segmented_radix_sort_implINS0_14default_configELb0EPKfPfPKlPlN2at6native12_GLOBAL__N_18offset_tEEE10hipError_tPvRmT1_PNSt15iterator_traitsISY_E10value_typeET2_T3_PNSZ_IS14_E10value_typeET4_jRbjT5_S1A_jjP12ihipStream_tbEUljE_EEESV_SW_SX_S14_S18_S1A_T6_T7_T9_mT8_S1C_bDpT10_ENKUlT_T0_E_clISt17integral_constantIbLb0EES1P_EEDaS1K_S1L_EUlS1K_E_NS1_11comp_targetILNS1_3genE8ELNS1_11target_archE1030ELNS1_3gpuE2ELNS1_3repE0EEENS1_30default_config_static_selectorELNS0_4arch9wavefront6targetE0EEEvSY_,comdat
.Lfunc_end1403:
	.size	_ZN7rocprim17ROCPRIM_400000_NS6detail17trampoline_kernelINS0_13select_configILj256ELj13ELNS0_17block_load_methodE3ELS4_3ELS4_3ELNS0_20block_scan_algorithmE0ELj4294967295EEENS1_25partition_config_selectorILNS1_17partition_subalgoE3EjNS0_10empty_typeEbEEZZNS1_14partition_implILS8_3ELb0ES6_jNS0_17counting_iteratorIjlEEPS9_SE_NS0_5tupleIJPjSE_EEENSF_IJSE_SE_EEES9_SG_JZNS1_25segmented_radix_sort_implINS0_14default_configELb0EPKfPfPKlPlN2at6native12_GLOBAL__N_18offset_tEEE10hipError_tPvRmT1_PNSt15iterator_traitsISY_E10value_typeET2_T3_PNSZ_IS14_E10value_typeET4_jRbjT5_S1A_jjP12ihipStream_tbEUljE_EEESV_SW_SX_S14_S18_S1A_T6_T7_T9_mT8_S1C_bDpT10_ENKUlT_T0_E_clISt17integral_constantIbLb0EES1P_EEDaS1K_S1L_EUlS1K_E_NS1_11comp_targetILNS1_3genE8ELNS1_11target_archE1030ELNS1_3gpuE2ELNS1_3repE0EEENS1_30default_config_static_selectorELNS0_4arch9wavefront6targetE0EEEvSY_, .Lfunc_end1403-_ZN7rocprim17ROCPRIM_400000_NS6detail17trampoline_kernelINS0_13select_configILj256ELj13ELNS0_17block_load_methodE3ELS4_3ELS4_3ELNS0_20block_scan_algorithmE0ELj4294967295EEENS1_25partition_config_selectorILNS1_17partition_subalgoE3EjNS0_10empty_typeEbEEZZNS1_14partition_implILS8_3ELb0ES6_jNS0_17counting_iteratorIjlEEPS9_SE_NS0_5tupleIJPjSE_EEENSF_IJSE_SE_EEES9_SG_JZNS1_25segmented_radix_sort_implINS0_14default_configELb0EPKfPfPKlPlN2at6native12_GLOBAL__N_18offset_tEEE10hipError_tPvRmT1_PNSt15iterator_traitsISY_E10value_typeET2_T3_PNSZ_IS14_E10value_typeET4_jRbjT5_S1A_jjP12ihipStream_tbEUljE_EEESV_SW_SX_S14_S18_S1A_T6_T7_T9_mT8_S1C_bDpT10_ENKUlT_T0_E_clISt17integral_constantIbLb0EES1P_EEDaS1K_S1L_EUlS1K_E_NS1_11comp_targetILNS1_3genE8ELNS1_11target_archE1030ELNS1_3gpuE2ELNS1_3repE0EEENS1_30default_config_static_selectorELNS0_4arch9wavefront6targetE0EEEvSY_
                                        ; -- End function
	.set _ZN7rocprim17ROCPRIM_400000_NS6detail17trampoline_kernelINS0_13select_configILj256ELj13ELNS0_17block_load_methodE3ELS4_3ELS4_3ELNS0_20block_scan_algorithmE0ELj4294967295EEENS1_25partition_config_selectorILNS1_17partition_subalgoE3EjNS0_10empty_typeEbEEZZNS1_14partition_implILS8_3ELb0ES6_jNS0_17counting_iteratorIjlEEPS9_SE_NS0_5tupleIJPjSE_EEENSF_IJSE_SE_EEES9_SG_JZNS1_25segmented_radix_sort_implINS0_14default_configELb0EPKfPfPKlPlN2at6native12_GLOBAL__N_18offset_tEEE10hipError_tPvRmT1_PNSt15iterator_traitsISY_E10value_typeET2_T3_PNSZ_IS14_E10value_typeET4_jRbjT5_S1A_jjP12ihipStream_tbEUljE_EEESV_SW_SX_S14_S18_S1A_T6_T7_T9_mT8_S1C_bDpT10_ENKUlT_T0_E_clISt17integral_constantIbLb0EES1P_EEDaS1K_S1L_EUlS1K_E_NS1_11comp_targetILNS1_3genE8ELNS1_11target_archE1030ELNS1_3gpuE2ELNS1_3repE0EEENS1_30default_config_static_selectorELNS0_4arch9wavefront6targetE0EEEvSY_.num_vgpr, 0
	.set _ZN7rocprim17ROCPRIM_400000_NS6detail17trampoline_kernelINS0_13select_configILj256ELj13ELNS0_17block_load_methodE3ELS4_3ELS4_3ELNS0_20block_scan_algorithmE0ELj4294967295EEENS1_25partition_config_selectorILNS1_17partition_subalgoE3EjNS0_10empty_typeEbEEZZNS1_14partition_implILS8_3ELb0ES6_jNS0_17counting_iteratorIjlEEPS9_SE_NS0_5tupleIJPjSE_EEENSF_IJSE_SE_EEES9_SG_JZNS1_25segmented_radix_sort_implINS0_14default_configELb0EPKfPfPKlPlN2at6native12_GLOBAL__N_18offset_tEEE10hipError_tPvRmT1_PNSt15iterator_traitsISY_E10value_typeET2_T3_PNSZ_IS14_E10value_typeET4_jRbjT5_S1A_jjP12ihipStream_tbEUljE_EEESV_SW_SX_S14_S18_S1A_T6_T7_T9_mT8_S1C_bDpT10_ENKUlT_T0_E_clISt17integral_constantIbLb0EES1P_EEDaS1K_S1L_EUlS1K_E_NS1_11comp_targetILNS1_3genE8ELNS1_11target_archE1030ELNS1_3gpuE2ELNS1_3repE0EEENS1_30default_config_static_selectorELNS0_4arch9wavefront6targetE0EEEvSY_.num_agpr, 0
	.set _ZN7rocprim17ROCPRIM_400000_NS6detail17trampoline_kernelINS0_13select_configILj256ELj13ELNS0_17block_load_methodE3ELS4_3ELS4_3ELNS0_20block_scan_algorithmE0ELj4294967295EEENS1_25partition_config_selectorILNS1_17partition_subalgoE3EjNS0_10empty_typeEbEEZZNS1_14partition_implILS8_3ELb0ES6_jNS0_17counting_iteratorIjlEEPS9_SE_NS0_5tupleIJPjSE_EEENSF_IJSE_SE_EEES9_SG_JZNS1_25segmented_radix_sort_implINS0_14default_configELb0EPKfPfPKlPlN2at6native12_GLOBAL__N_18offset_tEEE10hipError_tPvRmT1_PNSt15iterator_traitsISY_E10value_typeET2_T3_PNSZ_IS14_E10value_typeET4_jRbjT5_S1A_jjP12ihipStream_tbEUljE_EEESV_SW_SX_S14_S18_S1A_T6_T7_T9_mT8_S1C_bDpT10_ENKUlT_T0_E_clISt17integral_constantIbLb0EES1P_EEDaS1K_S1L_EUlS1K_E_NS1_11comp_targetILNS1_3genE8ELNS1_11target_archE1030ELNS1_3gpuE2ELNS1_3repE0EEENS1_30default_config_static_selectorELNS0_4arch9wavefront6targetE0EEEvSY_.numbered_sgpr, 0
	.set _ZN7rocprim17ROCPRIM_400000_NS6detail17trampoline_kernelINS0_13select_configILj256ELj13ELNS0_17block_load_methodE3ELS4_3ELS4_3ELNS0_20block_scan_algorithmE0ELj4294967295EEENS1_25partition_config_selectorILNS1_17partition_subalgoE3EjNS0_10empty_typeEbEEZZNS1_14partition_implILS8_3ELb0ES6_jNS0_17counting_iteratorIjlEEPS9_SE_NS0_5tupleIJPjSE_EEENSF_IJSE_SE_EEES9_SG_JZNS1_25segmented_radix_sort_implINS0_14default_configELb0EPKfPfPKlPlN2at6native12_GLOBAL__N_18offset_tEEE10hipError_tPvRmT1_PNSt15iterator_traitsISY_E10value_typeET2_T3_PNSZ_IS14_E10value_typeET4_jRbjT5_S1A_jjP12ihipStream_tbEUljE_EEESV_SW_SX_S14_S18_S1A_T6_T7_T9_mT8_S1C_bDpT10_ENKUlT_T0_E_clISt17integral_constantIbLb0EES1P_EEDaS1K_S1L_EUlS1K_E_NS1_11comp_targetILNS1_3genE8ELNS1_11target_archE1030ELNS1_3gpuE2ELNS1_3repE0EEENS1_30default_config_static_selectorELNS0_4arch9wavefront6targetE0EEEvSY_.num_named_barrier, 0
	.set _ZN7rocprim17ROCPRIM_400000_NS6detail17trampoline_kernelINS0_13select_configILj256ELj13ELNS0_17block_load_methodE3ELS4_3ELS4_3ELNS0_20block_scan_algorithmE0ELj4294967295EEENS1_25partition_config_selectorILNS1_17partition_subalgoE3EjNS0_10empty_typeEbEEZZNS1_14partition_implILS8_3ELb0ES6_jNS0_17counting_iteratorIjlEEPS9_SE_NS0_5tupleIJPjSE_EEENSF_IJSE_SE_EEES9_SG_JZNS1_25segmented_radix_sort_implINS0_14default_configELb0EPKfPfPKlPlN2at6native12_GLOBAL__N_18offset_tEEE10hipError_tPvRmT1_PNSt15iterator_traitsISY_E10value_typeET2_T3_PNSZ_IS14_E10value_typeET4_jRbjT5_S1A_jjP12ihipStream_tbEUljE_EEESV_SW_SX_S14_S18_S1A_T6_T7_T9_mT8_S1C_bDpT10_ENKUlT_T0_E_clISt17integral_constantIbLb0EES1P_EEDaS1K_S1L_EUlS1K_E_NS1_11comp_targetILNS1_3genE8ELNS1_11target_archE1030ELNS1_3gpuE2ELNS1_3repE0EEENS1_30default_config_static_selectorELNS0_4arch9wavefront6targetE0EEEvSY_.private_seg_size, 0
	.set _ZN7rocprim17ROCPRIM_400000_NS6detail17trampoline_kernelINS0_13select_configILj256ELj13ELNS0_17block_load_methodE3ELS4_3ELS4_3ELNS0_20block_scan_algorithmE0ELj4294967295EEENS1_25partition_config_selectorILNS1_17partition_subalgoE3EjNS0_10empty_typeEbEEZZNS1_14partition_implILS8_3ELb0ES6_jNS0_17counting_iteratorIjlEEPS9_SE_NS0_5tupleIJPjSE_EEENSF_IJSE_SE_EEES9_SG_JZNS1_25segmented_radix_sort_implINS0_14default_configELb0EPKfPfPKlPlN2at6native12_GLOBAL__N_18offset_tEEE10hipError_tPvRmT1_PNSt15iterator_traitsISY_E10value_typeET2_T3_PNSZ_IS14_E10value_typeET4_jRbjT5_S1A_jjP12ihipStream_tbEUljE_EEESV_SW_SX_S14_S18_S1A_T6_T7_T9_mT8_S1C_bDpT10_ENKUlT_T0_E_clISt17integral_constantIbLb0EES1P_EEDaS1K_S1L_EUlS1K_E_NS1_11comp_targetILNS1_3genE8ELNS1_11target_archE1030ELNS1_3gpuE2ELNS1_3repE0EEENS1_30default_config_static_selectorELNS0_4arch9wavefront6targetE0EEEvSY_.uses_vcc, 0
	.set _ZN7rocprim17ROCPRIM_400000_NS6detail17trampoline_kernelINS0_13select_configILj256ELj13ELNS0_17block_load_methodE3ELS4_3ELS4_3ELNS0_20block_scan_algorithmE0ELj4294967295EEENS1_25partition_config_selectorILNS1_17partition_subalgoE3EjNS0_10empty_typeEbEEZZNS1_14partition_implILS8_3ELb0ES6_jNS0_17counting_iteratorIjlEEPS9_SE_NS0_5tupleIJPjSE_EEENSF_IJSE_SE_EEES9_SG_JZNS1_25segmented_radix_sort_implINS0_14default_configELb0EPKfPfPKlPlN2at6native12_GLOBAL__N_18offset_tEEE10hipError_tPvRmT1_PNSt15iterator_traitsISY_E10value_typeET2_T3_PNSZ_IS14_E10value_typeET4_jRbjT5_S1A_jjP12ihipStream_tbEUljE_EEESV_SW_SX_S14_S18_S1A_T6_T7_T9_mT8_S1C_bDpT10_ENKUlT_T0_E_clISt17integral_constantIbLb0EES1P_EEDaS1K_S1L_EUlS1K_E_NS1_11comp_targetILNS1_3genE8ELNS1_11target_archE1030ELNS1_3gpuE2ELNS1_3repE0EEENS1_30default_config_static_selectorELNS0_4arch9wavefront6targetE0EEEvSY_.uses_flat_scratch, 0
	.set _ZN7rocprim17ROCPRIM_400000_NS6detail17trampoline_kernelINS0_13select_configILj256ELj13ELNS0_17block_load_methodE3ELS4_3ELS4_3ELNS0_20block_scan_algorithmE0ELj4294967295EEENS1_25partition_config_selectorILNS1_17partition_subalgoE3EjNS0_10empty_typeEbEEZZNS1_14partition_implILS8_3ELb0ES6_jNS0_17counting_iteratorIjlEEPS9_SE_NS0_5tupleIJPjSE_EEENSF_IJSE_SE_EEES9_SG_JZNS1_25segmented_radix_sort_implINS0_14default_configELb0EPKfPfPKlPlN2at6native12_GLOBAL__N_18offset_tEEE10hipError_tPvRmT1_PNSt15iterator_traitsISY_E10value_typeET2_T3_PNSZ_IS14_E10value_typeET4_jRbjT5_S1A_jjP12ihipStream_tbEUljE_EEESV_SW_SX_S14_S18_S1A_T6_T7_T9_mT8_S1C_bDpT10_ENKUlT_T0_E_clISt17integral_constantIbLb0EES1P_EEDaS1K_S1L_EUlS1K_E_NS1_11comp_targetILNS1_3genE8ELNS1_11target_archE1030ELNS1_3gpuE2ELNS1_3repE0EEENS1_30default_config_static_selectorELNS0_4arch9wavefront6targetE0EEEvSY_.has_dyn_sized_stack, 0
	.set _ZN7rocprim17ROCPRIM_400000_NS6detail17trampoline_kernelINS0_13select_configILj256ELj13ELNS0_17block_load_methodE3ELS4_3ELS4_3ELNS0_20block_scan_algorithmE0ELj4294967295EEENS1_25partition_config_selectorILNS1_17partition_subalgoE3EjNS0_10empty_typeEbEEZZNS1_14partition_implILS8_3ELb0ES6_jNS0_17counting_iteratorIjlEEPS9_SE_NS0_5tupleIJPjSE_EEENSF_IJSE_SE_EEES9_SG_JZNS1_25segmented_radix_sort_implINS0_14default_configELb0EPKfPfPKlPlN2at6native12_GLOBAL__N_18offset_tEEE10hipError_tPvRmT1_PNSt15iterator_traitsISY_E10value_typeET2_T3_PNSZ_IS14_E10value_typeET4_jRbjT5_S1A_jjP12ihipStream_tbEUljE_EEESV_SW_SX_S14_S18_S1A_T6_T7_T9_mT8_S1C_bDpT10_ENKUlT_T0_E_clISt17integral_constantIbLb0EES1P_EEDaS1K_S1L_EUlS1K_E_NS1_11comp_targetILNS1_3genE8ELNS1_11target_archE1030ELNS1_3gpuE2ELNS1_3repE0EEENS1_30default_config_static_selectorELNS0_4arch9wavefront6targetE0EEEvSY_.has_recursion, 0
	.set _ZN7rocprim17ROCPRIM_400000_NS6detail17trampoline_kernelINS0_13select_configILj256ELj13ELNS0_17block_load_methodE3ELS4_3ELS4_3ELNS0_20block_scan_algorithmE0ELj4294967295EEENS1_25partition_config_selectorILNS1_17partition_subalgoE3EjNS0_10empty_typeEbEEZZNS1_14partition_implILS8_3ELb0ES6_jNS0_17counting_iteratorIjlEEPS9_SE_NS0_5tupleIJPjSE_EEENSF_IJSE_SE_EEES9_SG_JZNS1_25segmented_radix_sort_implINS0_14default_configELb0EPKfPfPKlPlN2at6native12_GLOBAL__N_18offset_tEEE10hipError_tPvRmT1_PNSt15iterator_traitsISY_E10value_typeET2_T3_PNSZ_IS14_E10value_typeET4_jRbjT5_S1A_jjP12ihipStream_tbEUljE_EEESV_SW_SX_S14_S18_S1A_T6_T7_T9_mT8_S1C_bDpT10_ENKUlT_T0_E_clISt17integral_constantIbLb0EES1P_EEDaS1K_S1L_EUlS1K_E_NS1_11comp_targetILNS1_3genE8ELNS1_11target_archE1030ELNS1_3gpuE2ELNS1_3repE0EEENS1_30default_config_static_selectorELNS0_4arch9wavefront6targetE0EEEvSY_.has_indirect_call, 0
	.section	.AMDGPU.csdata,"",@progbits
; Kernel info:
; codeLenInByte = 0
; TotalNumSgprs: 0
; NumVgprs: 0
; ScratchSize: 0
; MemoryBound: 0
; FloatMode: 240
; IeeeMode: 1
; LDSByteSize: 0 bytes/workgroup (compile time only)
; SGPRBlocks: 0
; VGPRBlocks: 0
; NumSGPRsForWavesPerEU: 1
; NumVGPRsForWavesPerEU: 1
; Occupancy: 16
; WaveLimiterHint : 0
; COMPUTE_PGM_RSRC2:SCRATCH_EN: 0
; COMPUTE_PGM_RSRC2:USER_SGPR: 2
; COMPUTE_PGM_RSRC2:TRAP_HANDLER: 0
; COMPUTE_PGM_RSRC2:TGID_X_EN: 1
; COMPUTE_PGM_RSRC2:TGID_Y_EN: 0
; COMPUTE_PGM_RSRC2:TGID_Z_EN: 0
; COMPUTE_PGM_RSRC2:TIDIG_COMP_CNT: 0
	.section	.text._ZN7rocprim17ROCPRIM_400000_NS6detail17trampoline_kernelINS0_13select_configILj256ELj13ELNS0_17block_load_methodE3ELS4_3ELS4_3ELNS0_20block_scan_algorithmE0ELj4294967295EEENS1_25partition_config_selectorILNS1_17partition_subalgoE3EjNS0_10empty_typeEbEEZZNS1_14partition_implILS8_3ELb0ES6_jNS0_17counting_iteratorIjlEEPS9_SE_NS0_5tupleIJPjSE_EEENSF_IJSE_SE_EEES9_SG_JZNS1_25segmented_radix_sort_implINS0_14default_configELb0EPKfPfPKlPlN2at6native12_GLOBAL__N_18offset_tEEE10hipError_tPvRmT1_PNSt15iterator_traitsISY_E10value_typeET2_T3_PNSZ_IS14_E10value_typeET4_jRbjT5_S1A_jjP12ihipStream_tbEUljE_EEESV_SW_SX_S14_S18_S1A_T6_T7_T9_mT8_S1C_bDpT10_ENKUlT_T0_E_clISt17integral_constantIbLb1EES1P_EEDaS1K_S1L_EUlS1K_E_NS1_11comp_targetILNS1_3genE0ELNS1_11target_archE4294967295ELNS1_3gpuE0ELNS1_3repE0EEENS1_30default_config_static_selectorELNS0_4arch9wavefront6targetE0EEEvSY_,"axG",@progbits,_ZN7rocprim17ROCPRIM_400000_NS6detail17trampoline_kernelINS0_13select_configILj256ELj13ELNS0_17block_load_methodE3ELS4_3ELS4_3ELNS0_20block_scan_algorithmE0ELj4294967295EEENS1_25partition_config_selectorILNS1_17partition_subalgoE3EjNS0_10empty_typeEbEEZZNS1_14partition_implILS8_3ELb0ES6_jNS0_17counting_iteratorIjlEEPS9_SE_NS0_5tupleIJPjSE_EEENSF_IJSE_SE_EEES9_SG_JZNS1_25segmented_radix_sort_implINS0_14default_configELb0EPKfPfPKlPlN2at6native12_GLOBAL__N_18offset_tEEE10hipError_tPvRmT1_PNSt15iterator_traitsISY_E10value_typeET2_T3_PNSZ_IS14_E10value_typeET4_jRbjT5_S1A_jjP12ihipStream_tbEUljE_EEESV_SW_SX_S14_S18_S1A_T6_T7_T9_mT8_S1C_bDpT10_ENKUlT_T0_E_clISt17integral_constantIbLb1EES1P_EEDaS1K_S1L_EUlS1K_E_NS1_11comp_targetILNS1_3genE0ELNS1_11target_archE4294967295ELNS1_3gpuE0ELNS1_3repE0EEENS1_30default_config_static_selectorELNS0_4arch9wavefront6targetE0EEEvSY_,comdat
	.globl	_ZN7rocprim17ROCPRIM_400000_NS6detail17trampoline_kernelINS0_13select_configILj256ELj13ELNS0_17block_load_methodE3ELS4_3ELS4_3ELNS0_20block_scan_algorithmE0ELj4294967295EEENS1_25partition_config_selectorILNS1_17partition_subalgoE3EjNS0_10empty_typeEbEEZZNS1_14partition_implILS8_3ELb0ES6_jNS0_17counting_iteratorIjlEEPS9_SE_NS0_5tupleIJPjSE_EEENSF_IJSE_SE_EEES9_SG_JZNS1_25segmented_radix_sort_implINS0_14default_configELb0EPKfPfPKlPlN2at6native12_GLOBAL__N_18offset_tEEE10hipError_tPvRmT1_PNSt15iterator_traitsISY_E10value_typeET2_T3_PNSZ_IS14_E10value_typeET4_jRbjT5_S1A_jjP12ihipStream_tbEUljE_EEESV_SW_SX_S14_S18_S1A_T6_T7_T9_mT8_S1C_bDpT10_ENKUlT_T0_E_clISt17integral_constantIbLb1EES1P_EEDaS1K_S1L_EUlS1K_E_NS1_11comp_targetILNS1_3genE0ELNS1_11target_archE4294967295ELNS1_3gpuE0ELNS1_3repE0EEENS1_30default_config_static_selectorELNS0_4arch9wavefront6targetE0EEEvSY_ ; -- Begin function _ZN7rocprim17ROCPRIM_400000_NS6detail17trampoline_kernelINS0_13select_configILj256ELj13ELNS0_17block_load_methodE3ELS4_3ELS4_3ELNS0_20block_scan_algorithmE0ELj4294967295EEENS1_25partition_config_selectorILNS1_17partition_subalgoE3EjNS0_10empty_typeEbEEZZNS1_14partition_implILS8_3ELb0ES6_jNS0_17counting_iteratorIjlEEPS9_SE_NS0_5tupleIJPjSE_EEENSF_IJSE_SE_EEES9_SG_JZNS1_25segmented_radix_sort_implINS0_14default_configELb0EPKfPfPKlPlN2at6native12_GLOBAL__N_18offset_tEEE10hipError_tPvRmT1_PNSt15iterator_traitsISY_E10value_typeET2_T3_PNSZ_IS14_E10value_typeET4_jRbjT5_S1A_jjP12ihipStream_tbEUljE_EEESV_SW_SX_S14_S18_S1A_T6_T7_T9_mT8_S1C_bDpT10_ENKUlT_T0_E_clISt17integral_constantIbLb1EES1P_EEDaS1K_S1L_EUlS1K_E_NS1_11comp_targetILNS1_3genE0ELNS1_11target_archE4294967295ELNS1_3gpuE0ELNS1_3repE0EEENS1_30default_config_static_selectorELNS0_4arch9wavefront6targetE0EEEvSY_
	.p2align	8
	.type	_ZN7rocprim17ROCPRIM_400000_NS6detail17trampoline_kernelINS0_13select_configILj256ELj13ELNS0_17block_load_methodE3ELS4_3ELS4_3ELNS0_20block_scan_algorithmE0ELj4294967295EEENS1_25partition_config_selectorILNS1_17partition_subalgoE3EjNS0_10empty_typeEbEEZZNS1_14partition_implILS8_3ELb0ES6_jNS0_17counting_iteratorIjlEEPS9_SE_NS0_5tupleIJPjSE_EEENSF_IJSE_SE_EEES9_SG_JZNS1_25segmented_radix_sort_implINS0_14default_configELb0EPKfPfPKlPlN2at6native12_GLOBAL__N_18offset_tEEE10hipError_tPvRmT1_PNSt15iterator_traitsISY_E10value_typeET2_T3_PNSZ_IS14_E10value_typeET4_jRbjT5_S1A_jjP12ihipStream_tbEUljE_EEESV_SW_SX_S14_S18_S1A_T6_T7_T9_mT8_S1C_bDpT10_ENKUlT_T0_E_clISt17integral_constantIbLb1EES1P_EEDaS1K_S1L_EUlS1K_E_NS1_11comp_targetILNS1_3genE0ELNS1_11target_archE4294967295ELNS1_3gpuE0ELNS1_3repE0EEENS1_30default_config_static_selectorELNS0_4arch9wavefront6targetE0EEEvSY_,@function
_ZN7rocprim17ROCPRIM_400000_NS6detail17trampoline_kernelINS0_13select_configILj256ELj13ELNS0_17block_load_methodE3ELS4_3ELS4_3ELNS0_20block_scan_algorithmE0ELj4294967295EEENS1_25partition_config_selectorILNS1_17partition_subalgoE3EjNS0_10empty_typeEbEEZZNS1_14partition_implILS8_3ELb0ES6_jNS0_17counting_iteratorIjlEEPS9_SE_NS0_5tupleIJPjSE_EEENSF_IJSE_SE_EEES9_SG_JZNS1_25segmented_radix_sort_implINS0_14default_configELb0EPKfPfPKlPlN2at6native12_GLOBAL__N_18offset_tEEE10hipError_tPvRmT1_PNSt15iterator_traitsISY_E10value_typeET2_T3_PNSZ_IS14_E10value_typeET4_jRbjT5_S1A_jjP12ihipStream_tbEUljE_EEESV_SW_SX_S14_S18_S1A_T6_T7_T9_mT8_S1C_bDpT10_ENKUlT_T0_E_clISt17integral_constantIbLb1EES1P_EEDaS1K_S1L_EUlS1K_E_NS1_11comp_targetILNS1_3genE0ELNS1_11target_archE4294967295ELNS1_3gpuE0ELNS1_3repE0EEENS1_30default_config_static_selectorELNS0_4arch9wavefront6targetE0EEEvSY_: ; @_ZN7rocprim17ROCPRIM_400000_NS6detail17trampoline_kernelINS0_13select_configILj256ELj13ELNS0_17block_load_methodE3ELS4_3ELS4_3ELNS0_20block_scan_algorithmE0ELj4294967295EEENS1_25partition_config_selectorILNS1_17partition_subalgoE3EjNS0_10empty_typeEbEEZZNS1_14partition_implILS8_3ELb0ES6_jNS0_17counting_iteratorIjlEEPS9_SE_NS0_5tupleIJPjSE_EEENSF_IJSE_SE_EEES9_SG_JZNS1_25segmented_radix_sort_implINS0_14default_configELb0EPKfPfPKlPlN2at6native12_GLOBAL__N_18offset_tEEE10hipError_tPvRmT1_PNSt15iterator_traitsISY_E10value_typeET2_T3_PNSZ_IS14_E10value_typeET4_jRbjT5_S1A_jjP12ihipStream_tbEUljE_EEESV_SW_SX_S14_S18_S1A_T6_T7_T9_mT8_S1C_bDpT10_ENKUlT_T0_E_clISt17integral_constantIbLb1EES1P_EEDaS1K_S1L_EUlS1K_E_NS1_11comp_targetILNS1_3genE0ELNS1_11target_archE4294967295ELNS1_3gpuE0ELNS1_3repE0EEENS1_30default_config_static_selectorELNS0_4arch9wavefront6targetE0EEEvSY_
; %bb.0:
	.section	.rodata,"a",@progbits
	.p2align	6, 0x0
	.amdhsa_kernel _ZN7rocprim17ROCPRIM_400000_NS6detail17trampoline_kernelINS0_13select_configILj256ELj13ELNS0_17block_load_methodE3ELS4_3ELS4_3ELNS0_20block_scan_algorithmE0ELj4294967295EEENS1_25partition_config_selectorILNS1_17partition_subalgoE3EjNS0_10empty_typeEbEEZZNS1_14partition_implILS8_3ELb0ES6_jNS0_17counting_iteratorIjlEEPS9_SE_NS0_5tupleIJPjSE_EEENSF_IJSE_SE_EEES9_SG_JZNS1_25segmented_radix_sort_implINS0_14default_configELb0EPKfPfPKlPlN2at6native12_GLOBAL__N_18offset_tEEE10hipError_tPvRmT1_PNSt15iterator_traitsISY_E10value_typeET2_T3_PNSZ_IS14_E10value_typeET4_jRbjT5_S1A_jjP12ihipStream_tbEUljE_EEESV_SW_SX_S14_S18_S1A_T6_T7_T9_mT8_S1C_bDpT10_ENKUlT_T0_E_clISt17integral_constantIbLb1EES1P_EEDaS1K_S1L_EUlS1K_E_NS1_11comp_targetILNS1_3genE0ELNS1_11target_archE4294967295ELNS1_3gpuE0ELNS1_3repE0EEENS1_30default_config_static_selectorELNS0_4arch9wavefront6targetE0EEEvSY_
		.amdhsa_group_segment_fixed_size 0
		.amdhsa_private_segment_fixed_size 0
		.amdhsa_kernarg_size 152
		.amdhsa_user_sgpr_count 2
		.amdhsa_user_sgpr_dispatch_ptr 0
		.amdhsa_user_sgpr_queue_ptr 0
		.amdhsa_user_sgpr_kernarg_segment_ptr 1
		.amdhsa_user_sgpr_dispatch_id 0
		.amdhsa_user_sgpr_private_segment_size 0
		.amdhsa_wavefront_size32 1
		.amdhsa_uses_dynamic_stack 0
		.amdhsa_enable_private_segment 0
		.amdhsa_system_sgpr_workgroup_id_x 1
		.amdhsa_system_sgpr_workgroup_id_y 0
		.amdhsa_system_sgpr_workgroup_id_z 0
		.amdhsa_system_sgpr_workgroup_info 0
		.amdhsa_system_vgpr_workitem_id 0
		.amdhsa_next_free_vgpr 1
		.amdhsa_next_free_sgpr 1
		.amdhsa_reserve_vcc 0
		.amdhsa_float_round_mode_32 0
		.amdhsa_float_round_mode_16_64 0
		.amdhsa_float_denorm_mode_32 3
		.amdhsa_float_denorm_mode_16_64 3
		.amdhsa_fp16_overflow 0
		.amdhsa_workgroup_processor_mode 1
		.amdhsa_memory_ordered 1
		.amdhsa_forward_progress 1
		.amdhsa_inst_pref_size 0
		.amdhsa_round_robin_scheduling 0
		.amdhsa_exception_fp_ieee_invalid_op 0
		.amdhsa_exception_fp_denorm_src 0
		.amdhsa_exception_fp_ieee_div_zero 0
		.amdhsa_exception_fp_ieee_overflow 0
		.amdhsa_exception_fp_ieee_underflow 0
		.amdhsa_exception_fp_ieee_inexact 0
		.amdhsa_exception_int_div_zero 0
	.end_amdhsa_kernel
	.section	.text._ZN7rocprim17ROCPRIM_400000_NS6detail17trampoline_kernelINS0_13select_configILj256ELj13ELNS0_17block_load_methodE3ELS4_3ELS4_3ELNS0_20block_scan_algorithmE0ELj4294967295EEENS1_25partition_config_selectorILNS1_17partition_subalgoE3EjNS0_10empty_typeEbEEZZNS1_14partition_implILS8_3ELb0ES6_jNS0_17counting_iteratorIjlEEPS9_SE_NS0_5tupleIJPjSE_EEENSF_IJSE_SE_EEES9_SG_JZNS1_25segmented_radix_sort_implINS0_14default_configELb0EPKfPfPKlPlN2at6native12_GLOBAL__N_18offset_tEEE10hipError_tPvRmT1_PNSt15iterator_traitsISY_E10value_typeET2_T3_PNSZ_IS14_E10value_typeET4_jRbjT5_S1A_jjP12ihipStream_tbEUljE_EEESV_SW_SX_S14_S18_S1A_T6_T7_T9_mT8_S1C_bDpT10_ENKUlT_T0_E_clISt17integral_constantIbLb1EES1P_EEDaS1K_S1L_EUlS1K_E_NS1_11comp_targetILNS1_3genE0ELNS1_11target_archE4294967295ELNS1_3gpuE0ELNS1_3repE0EEENS1_30default_config_static_selectorELNS0_4arch9wavefront6targetE0EEEvSY_,"axG",@progbits,_ZN7rocprim17ROCPRIM_400000_NS6detail17trampoline_kernelINS0_13select_configILj256ELj13ELNS0_17block_load_methodE3ELS4_3ELS4_3ELNS0_20block_scan_algorithmE0ELj4294967295EEENS1_25partition_config_selectorILNS1_17partition_subalgoE3EjNS0_10empty_typeEbEEZZNS1_14partition_implILS8_3ELb0ES6_jNS0_17counting_iteratorIjlEEPS9_SE_NS0_5tupleIJPjSE_EEENSF_IJSE_SE_EEES9_SG_JZNS1_25segmented_radix_sort_implINS0_14default_configELb0EPKfPfPKlPlN2at6native12_GLOBAL__N_18offset_tEEE10hipError_tPvRmT1_PNSt15iterator_traitsISY_E10value_typeET2_T3_PNSZ_IS14_E10value_typeET4_jRbjT5_S1A_jjP12ihipStream_tbEUljE_EEESV_SW_SX_S14_S18_S1A_T6_T7_T9_mT8_S1C_bDpT10_ENKUlT_T0_E_clISt17integral_constantIbLb1EES1P_EEDaS1K_S1L_EUlS1K_E_NS1_11comp_targetILNS1_3genE0ELNS1_11target_archE4294967295ELNS1_3gpuE0ELNS1_3repE0EEENS1_30default_config_static_selectorELNS0_4arch9wavefront6targetE0EEEvSY_,comdat
.Lfunc_end1404:
	.size	_ZN7rocprim17ROCPRIM_400000_NS6detail17trampoline_kernelINS0_13select_configILj256ELj13ELNS0_17block_load_methodE3ELS4_3ELS4_3ELNS0_20block_scan_algorithmE0ELj4294967295EEENS1_25partition_config_selectorILNS1_17partition_subalgoE3EjNS0_10empty_typeEbEEZZNS1_14partition_implILS8_3ELb0ES6_jNS0_17counting_iteratorIjlEEPS9_SE_NS0_5tupleIJPjSE_EEENSF_IJSE_SE_EEES9_SG_JZNS1_25segmented_radix_sort_implINS0_14default_configELb0EPKfPfPKlPlN2at6native12_GLOBAL__N_18offset_tEEE10hipError_tPvRmT1_PNSt15iterator_traitsISY_E10value_typeET2_T3_PNSZ_IS14_E10value_typeET4_jRbjT5_S1A_jjP12ihipStream_tbEUljE_EEESV_SW_SX_S14_S18_S1A_T6_T7_T9_mT8_S1C_bDpT10_ENKUlT_T0_E_clISt17integral_constantIbLb1EES1P_EEDaS1K_S1L_EUlS1K_E_NS1_11comp_targetILNS1_3genE0ELNS1_11target_archE4294967295ELNS1_3gpuE0ELNS1_3repE0EEENS1_30default_config_static_selectorELNS0_4arch9wavefront6targetE0EEEvSY_, .Lfunc_end1404-_ZN7rocprim17ROCPRIM_400000_NS6detail17trampoline_kernelINS0_13select_configILj256ELj13ELNS0_17block_load_methodE3ELS4_3ELS4_3ELNS0_20block_scan_algorithmE0ELj4294967295EEENS1_25partition_config_selectorILNS1_17partition_subalgoE3EjNS0_10empty_typeEbEEZZNS1_14partition_implILS8_3ELb0ES6_jNS0_17counting_iteratorIjlEEPS9_SE_NS0_5tupleIJPjSE_EEENSF_IJSE_SE_EEES9_SG_JZNS1_25segmented_radix_sort_implINS0_14default_configELb0EPKfPfPKlPlN2at6native12_GLOBAL__N_18offset_tEEE10hipError_tPvRmT1_PNSt15iterator_traitsISY_E10value_typeET2_T3_PNSZ_IS14_E10value_typeET4_jRbjT5_S1A_jjP12ihipStream_tbEUljE_EEESV_SW_SX_S14_S18_S1A_T6_T7_T9_mT8_S1C_bDpT10_ENKUlT_T0_E_clISt17integral_constantIbLb1EES1P_EEDaS1K_S1L_EUlS1K_E_NS1_11comp_targetILNS1_3genE0ELNS1_11target_archE4294967295ELNS1_3gpuE0ELNS1_3repE0EEENS1_30default_config_static_selectorELNS0_4arch9wavefront6targetE0EEEvSY_
                                        ; -- End function
	.set _ZN7rocprim17ROCPRIM_400000_NS6detail17trampoline_kernelINS0_13select_configILj256ELj13ELNS0_17block_load_methodE3ELS4_3ELS4_3ELNS0_20block_scan_algorithmE0ELj4294967295EEENS1_25partition_config_selectorILNS1_17partition_subalgoE3EjNS0_10empty_typeEbEEZZNS1_14partition_implILS8_3ELb0ES6_jNS0_17counting_iteratorIjlEEPS9_SE_NS0_5tupleIJPjSE_EEENSF_IJSE_SE_EEES9_SG_JZNS1_25segmented_radix_sort_implINS0_14default_configELb0EPKfPfPKlPlN2at6native12_GLOBAL__N_18offset_tEEE10hipError_tPvRmT1_PNSt15iterator_traitsISY_E10value_typeET2_T3_PNSZ_IS14_E10value_typeET4_jRbjT5_S1A_jjP12ihipStream_tbEUljE_EEESV_SW_SX_S14_S18_S1A_T6_T7_T9_mT8_S1C_bDpT10_ENKUlT_T0_E_clISt17integral_constantIbLb1EES1P_EEDaS1K_S1L_EUlS1K_E_NS1_11comp_targetILNS1_3genE0ELNS1_11target_archE4294967295ELNS1_3gpuE0ELNS1_3repE0EEENS1_30default_config_static_selectorELNS0_4arch9wavefront6targetE0EEEvSY_.num_vgpr, 0
	.set _ZN7rocprim17ROCPRIM_400000_NS6detail17trampoline_kernelINS0_13select_configILj256ELj13ELNS0_17block_load_methodE3ELS4_3ELS4_3ELNS0_20block_scan_algorithmE0ELj4294967295EEENS1_25partition_config_selectorILNS1_17partition_subalgoE3EjNS0_10empty_typeEbEEZZNS1_14partition_implILS8_3ELb0ES6_jNS0_17counting_iteratorIjlEEPS9_SE_NS0_5tupleIJPjSE_EEENSF_IJSE_SE_EEES9_SG_JZNS1_25segmented_radix_sort_implINS0_14default_configELb0EPKfPfPKlPlN2at6native12_GLOBAL__N_18offset_tEEE10hipError_tPvRmT1_PNSt15iterator_traitsISY_E10value_typeET2_T3_PNSZ_IS14_E10value_typeET4_jRbjT5_S1A_jjP12ihipStream_tbEUljE_EEESV_SW_SX_S14_S18_S1A_T6_T7_T9_mT8_S1C_bDpT10_ENKUlT_T0_E_clISt17integral_constantIbLb1EES1P_EEDaS1K_S1L_EUlS1K_E_NS1_11comp_targetILNS1_3genE0ELNS1_11target_archE4294967295ELNS1_3gpuE0ELNS1_3repE0EEENS1_30default_config_static_selectorELNS0_4arch9wavefront6targetE0EEEvSY_.num_agpr, 0
	.set _ZN7rocprim17ROCPRIM_400000_NS6detail17trampoline_kernelINS0_13select_configILj256ELj13ELNS0_17block_load_methodE3ELS4_3ELS4_3ELNS0_20block_scan_algorithmE0ELj4294967295EEENS1_25partition_config_selectorILNS1_17partition_subalgoE3EjNS0_10empty_typeEbEEZZNS1_14partition_implILS8_3ELb0ES6_jNS0_17counting_iteratorIjlEEPS9_SE_NS0_5tupleIJPjSE_EEENSF_IJSE_SE_EEES9_SG_JZNS1_25segmented_radix_sort_implINS0_14default_configELb0EPKfPfPKlPlN2at6native12_GLOBAL__N_18offset_tEEE10hipError_tPvRmT1_PNSt15iterator_traitsISY_E10value_typeET2_T3_PNSZ_IS14_E10value_typeET4_jRbjT5_S1A_jjP12ihipStream_tbEUljE_EEESV_SW_SX_S14_S18_S1A_T6_T7_T9_mT8_S1C_bDpT10_ENKUlT_T0_E_clISt17integral_constantIbLb1EES1P_EEDaS1K_S1L_EUlS1K_E_NS1_11comp_targetILNS1_3genE0ELNS1_11target_archE4294967295ELNS1_3gpuE0ELNS1_3repE0EEENS1_30default_config_static_selectorELNS0_4arch9wavefront6targetE0EEEvSY_.numbered_sgpr, 0
	.set _ZN7rocprim17ROCPRIM_400000_NS6detail17trampoline_kernelINS0_13select_configILj256ELj13ELNS0_17block_load_methodE3ELS4_3ELS4_3ELNS0_20block_scan_algorithmE0ELj4294967295EEENS1_25partition_config_selectorILNS1_17partition_subalgoE3EjNS0_10empty_typeEbEEZZNS1_14partition_implILS8_3ELb0ES6_jNS0_17counting_iteratorIjlEEPS9_SE_NS0_5tupleIJPjSE_EEENSF_IJSE_SE_EEES9_SG_JZNS1_25segmented_radix_sort_implINS0_14default_configELb0EPKfPfPKlPlN2at6native12_GLOBAL__N_18offset_tEEE10hipError_tPvRmT1_PNSt15iterator_traitsISY_E10value_typeET2_T3_PNSZ_IS14_E10value_typeET4_jRbjT5_S1A_jjP12ihipStream_tbEUljE_EEESV_SW_SX_S14_S18_S1A_T6_T7_T9_mT8_S1C_bDpT10_ENKUlT_T0_E_clISt17integral_constantIbLb1EES1P_EEDaS1K_S1L_EUlS1K_E_NS1_11comp_targetILNS1_3genE0ELNS1_11target_archE4294967295ELNS1_3gpuE0ELNS1_3repE0EEENS1_30default_config_static_selectorELNS0_4arch9wavefront6targetE0EEEvSY_.num_named_barrier, 0
	.set _ZN7rocprim17ROCPRIM_400000_NS6detail17trampoline_kernelINS0_13select_configILj256ELj13ELNS0_17block_load_methodE3ELS4_3ELS4_3ELNS0_20block_scan_algorithmE0ELj4294967295EEENS1_25partition_config_selectorILNS1_17partition_subalgoE3EjNS0_10empty_typeEbEEZZNS1_14partition_implILS8_3ELb0ES6_jNS0_17counting_iteratorIjlEEPS9_SE_NS0_5tupleIJPjSE_EEENSF_IJSE_SE_EEES9_SG_JZNS1_25segmented_radix_sort_implINS0_14default_configELb0EPKfPfPKlPlN2at6native12_GLOBAL__N_18offset_tEEE10hipError_tPvRmT1_PNSt15iterator_traitsISY_E10value_typeET2_T3_PNSZ_IS14_E10value_typeET4_jRbjT5_S1A_jjP12ihipStream_tbEUljE_EEESV_SW_SX_S14_S18_S1A_T6_T7_T9_mT8_S1C_bDpT10_ENKUlT_T0_E_clISt17integral_constantIbLb1EES1P_EEDaS1K_S1L_EUlS1K_E_NS1_11comp_targetILNS1_3genE0ELNS1_11target_archE4294967295ELNS1_3gpuE0ELNS1_3repE0EEENS1_30default_config_static_selectorELNS0_4arch9wavefront6targetE0EEEvSY_.private_seg_size, 0
	.set _ZN7rocprim17ROCPRIM_400000_NS6detail17trampoline_kernelINS0_13select_configILj256ELj13ELNS0_17block_load_methodE3ELS4_3ELS4_3ELNS0_20block_scan_algorithmE0ELj4294967295EEENS1_25partition_config_selectorILNS1_17partition_subalgoE3EjNS0_10empty_typeEbEEZZNS1_14partition_implILS8_3ELb0ES6_jNS0_17counting_iteratorIjlEEPS9_SE_NS0_5tupleIJPjSE_EEENSF_IJSE_SE_EEES9_SG_JZNS1_25segmented_radix_sort_implINS0_14default_configELb0EPKfPfPKlPlN2at6native12_GLOBAL__N_18offset_tEEE10hipError_tPvRmT1_PNSt15iterator_traitsISY_E10value_typeET2_T3_PNSZ_IS14_E10value_typeET4_jRbjT5_S1A_jjP12ihipStream_tbEUljE_EEESV_SW_SX_S14_S18_S1A_T6_T7_T9_mT8_S1C_bDpT10_ENKUlT_T0_E_clISt17integral_constantIbLb1EES1P_EEDaS1K_S1L_EUlS1K_E_NS1_11comp_targetILNS1_3genE0ELNS1_11target_archE4294967295ELNS1_3gpuE0ELNS1_3repE0EEENS1_30default_config_static_selectorELNS0_4arch9wavefront6targetE0EEEvSY_.uses_vcc, 0
	.set _ZN7rocprim17ROCPRIM_400000_NS6detail17trampoline_kernelINS0_13select_configILj256ELj13ELNS0_17block_load_methodE3ELS4_3ELS4_3ELNS0_20block_scan_algorithmE0ELj4294967295EEENS1_25partition_config_selectorILNS1_17partition_subalgoE3EjNS0_10empty_typeEbEEZZNS1_14partition_implILS8_3ELb0ES6_jNS0_17counting_iteratorIjlEEPS9_SE_NS0_5tupleIJPjSE_EEENSF_IJSE_SE_EEES9_SG_JZNS1_25segmented_radix_sort_implINS0_14default_configELb0EPKfPfPKlPlN2at6native12_GLOBAL__N_18offset_tEEE10hipError_tPvRmT1_PNSt15iterator_traitsISY_E10value_typeET2_T3_PNSZ_IS14_E10value_typeET4_jRbjT5_S1A_jjP12ihipStream_tbEUljE_EEESV_SW_SX_S14_S18_S1A_T6_T7_T9_mT8_S1C_bDpT10_ENKUlT_T0_E_clISt17integral_constantIbLb1EES1P_EEDaS1K_S1L_EUlS1K_E_NS1_11comp_targetILNS1_3genE0ELNS1_11target_archE4294967295ELNS1_3gpuE0ELNS1_3repE0EEENS1_30default_config_static_selectorELNS0_4arch9wavefront6targetE0EEEvSY_.uses_flat_scratch, 0
	.set _ZN7rocprim17ROCPRIM_400000_NS6detail17trampoline_kernelINS0_13select_configILj256ELj13ELNS0_17block_load_methodE3ELS4_3ELS4_3ELNS0_20block_scan_algorithmE0ELj4294967295EEENS1_25partition_config_selectorILNS1_17partition_subalgoE3EjNS0_10empty_typeEbEEZZNS1_14partition_implILS8_3ELb0ES6_jNS0_17counting_iteratorIjlEEPS9_SE_NS0_5tupleIJPjSE_EEENSF_IJSE_SE_EEES9_SG_JZNS1_25segmented_radix_sort_implINS0_14default_configELb0EPKfPfPKlPlN2at6native12_GLOBAL__N_18offset_tEEE10hipError_tPvRmT1_PNSt15iterator_traitsISY_E10value_typeET2_T3_PNSZ_IS14_E10value_typeET4_jRbjT5_S1A_jjP12ihipStream_tbEUljE_EEESV_SW_SX_S14_S18_S1A_T6_T7_T9_mT8_S1C_bDpT10_ENKUlT_T0_E_clISt17integral_constantIbLb1EES1P_EEDaS1K_S1L_EUlS1K_E_NS1_11comp_targetILNS1_3genE0ELNS1_11target_archE4294967295ELNS1_3gpuE0ELNS1_3repE0EEENS1_30default_config_static_selectorELNS0_4arch9wavefront6targetE0EEEvSY_.has_dyn_sized_stack, 0
	.set _ZN7rocprim17ROCPRIM_400000_NS6detail17trampoline_kernelINS0_13select_configILj256ELj13ELNS0_17block_load_methodE3ELS4_3ELS4_3ELNS0_20block_scan_algorithmE0ELj4294967295EEENS1_25partition_config_selectorILNS1_17partition_subalgoE3EjNS0_10empty_typeEbEEZZNS1_14partition_implILS8_3ELb0ES6_jNS0_17counting_iteratorIjlEEPS9_SE_NS0_5tupleIJPjSE_EEENSF_IJSE_SE_EEES9_SG_JZNS1_25segmented_radix_sort_implINS0_14default_configELb0EPKfPfPKlPlN2at6native12_GLOBAL__N_18offset_tEEE10hipError_tPvRmT1_PNSt15iterator_traitsISY_E10value_typeET2_T3_PNSZ_IS14_E10value_typeET4_jRbjT5_S1A_jjP12ihipStream_tbEUljE_EEESV_SW_SX_S14_S18_S1A_T6_T7_T9_mT8_S1C_bDpT10_ENKUlT_T0_E_clISt17integral_constantIbLb1EES1P_EEDaS1K_S1L_EUlS1K_E_NS1_11comp_targetILNS1_3genE0ELNS1_11target_archE4294967295ELNS1_3gpuE0ELNS1_3repE0EEENS1_30default_config_static_selectorELNS0_4arch9wavefront6targetE0EEEvSY_.has_recursion, 0
	.set _ZN7rocprim17ROCPRIM_400000_NS6detail17trampoline_kernelINS0_13select_configILj256ELj13ELNS0_17block_load_methodE3ELS4_3ELS4_3ELNS0_20block_scan_algorithmE0ELj4294967295EEENS1_25partition_config_selectorILNS1_17partition_subalgoE3EjNS0_10empty_typeEbEEZZNS1_14partition_implILS8_3ELb0ES6_jNS0_17counting_iteratorIjlEEPS9_SE_NS0_5tupleIJPjSE_EEENSF_IJSE_SE_EEES9_SG_JZNS1_25segmented_radix_sort_implINS0_14default_configELb0EPKfPfPKlPlN2at6native12_GLOBAL__N_18offset_tEEE10hipError_tPvRmT1_PNSt15iterator_traitsISY_E10value_typeET2_T3_PNSZ_IS14_E10value_typeET4_jRbjT5_S1A_jjP12ihipStream_tbEUljE_EEESV_SW_SX_S14_S18_S1A_T6_T7_T9_mT8_S1C_bDpT10_ENKUlT_T0_E_clISt17integral_constantIbLb1EES1P_EEDaS1K_S1L_EUlS1K_E_NS1_11comp_targetILNS1_3genE0ELNS1_11target_archE4294967295ELNS1_3gpuE0ELNS1_3repE0EEENS1_30default_config_static_selectorELNS0_4arch9wavefront6targetE0EEEvSY_.has_indirect_call, 0
	.section	.AMDGPU.csdata,"",@progbits
; Kernel info:
; codeLenInByte = 0
; TotalNumSgprs: 0
; NumVgprs: 0
; ScratchSize: 0
; MemoryBound: 0
; FloatMode: 240
; IeeeMode: 1
; LDSByteSize: 0 bytes/workgroup (compile time only)
; SGPRBlocks: 0
; VGPRBlocks: 0
; NumSGPRsForWavesPerEU: 1
; NumVGPRsForWavesPerEU: 1
; Occupancy: 16
; WaveLimiterHint : 0
; COMPUTE_PGM_RSRC2:SCRATCH_EN: 0
; COMPUTE_PGM_RSRC2:USER_SGPR: 2
; COMPUTE_PGM_RSRC2:TRAP_HANDLER: 0
; COMPUTE_PGM_RSRC2:TGID_X_EN: 1
; COMPUTE_PGM_RSRC2:TGID_Y_EN: 0
; COMPUTE_PGM_RSRC2:TGID_Z_EN: 0
; COMPUTE_PGM_RSRC2:TIDIG_COMP_CNT: 0
	.section	.text._ZN7rocprim17ROCPRIM_400000_NS6detail17trampoline_kernelINS0_13select_configILj256ELj13ELNS0_17block_load_methodE3ELS4_3ELS4_3ELNS0_20block_scan_algorithmE0ELj4294967295EEENS1_25partition_config_selectorILNS1_17partition_subalgoE3EjNS0_10empty_typeEbEEZZNS1_14partition_implILS8_3ELb0ES6_jNS0_17counting_iteratorIjlEEPS9_SE_NS0_5tupleIJPjSE_EEENSF_IJSE_SE_EEES9_SG_JZNS1_25segmented_radix_sort_implINS0_14default_configELb0EPKfPfPKlPlN2at6native12_GLOBAL__N_18offset_tEEE10hipError_tPvRmT1_PNSt15iterator_traitsISY_E10value_typeET2_T3_PNSZ_IS14_E10value_typeET4_jRbjT5_S1A_jjP12ihipStream_tbEUljE_EEESV_SW_SX_S14_S18_S1A_T6_T7_T9_mT8_S1C_bDpT10_ENKUlT_T0_E_clISt17integral_constantIbLb1EES1P_EEDaS1K_S1L_EUlS1K_E_NS1_11comp_targetILNS1_3genE5ELNS1_11target_archE942ELNS1_3gpuE9ELNS1_3repE0EEENS1_30default_config_static_selectorELNS0_4arch9wavefront6targetE0EEEvSY_,"axG",@progbits,_ZN7rocprim17ROCPRIM_400000_NS6detail17trampoline_kernelINS0_13select_configILj256ELj13ELNS0_17block_load_methodE3ELS4_3ELS4_3ELNS0_20block_scan_algorithmE0ELj4294967295EEENS1_25partition_config_selectorILNS1_17partition_subalgoE3EjNS0_10empty_typeEbEEZZNS1_14partition_implILS8_3ELb0ES6_jNS0_17counting_iteratorIjlEEPS9_SE_NS0_5tupleIJPjSE_EEENSF_IJSE_SE_EEES9_SG_JZNS1_25segmented_radix_sort_implINS0_14default_configELb0EPKfPfPKlPlN2at6native12_GLOBAL__N_18offset_tEEE10hipError_tPvRmT1_PNSt15iterator_traitsISY_E10value_typeET2_T3_PNSZ_IS14_E10value_typeET4_jRbjT5_S1A_jjP12ihipStream_tbEUljE_EEESV_SW_SX_S14_S18_S1A_T6_T7_T9_mT8_S1C_bDpT10_ENKUlT_T0_E_clISt17integral_constantIbLb1EES1P_EEDaS1K_S1L_EUlS1K_E_NS1_11comp_targetILNS1_3genE5ELNS1_11target_archE942ELNS1_3gpuE9ELNS1_3repE0EEENS1_30default_config_static_selectorELNS0_4arch9wavefront6targetE0EEEvSY_,comdat
	.globl	_ZN7rocprim17ROCPRIM_400000_NS6detail17trampoline_kernelINS0_13select_configILj256ELj13ELNS0_17block_load_methodE3ELS4_3ELS4_3ELNS0_20block_scan_algorithmE0ELj4294967295EEENS1_25partition_config_selectorILNS1_17partition_subalgoE3EjNS0_10empty_typeEbEEZZNS1_14partition_implILS8_3ELb0ES6_jNS0_17counting_iteratorIjlEEPS9_SE_NS0_5tupleIJPjSE_EEENSF_IJSE_SE_EEES9_SG_JZNS1_25segmented_radix_sort_implINS0_14default_configELb0EPKfPfPKlPlN2at6native12_GLOBAL__N_18offset_tEEE10hipError_tPvRmT1_PNSt15iterator_traitsISY_E10value_typeET2_T3_PNSZ_IS14_E10value_typeET4_jRbjT5_S1A_jjP12ihipStream_tbEUljE_EEESV_SW_SX_S14_S18_S1A_T6_T7_T9_mT8_S1C_bDpT10_ENKUlT_T0_E_clISt17integral_constantIbLb1EES1P_EEDaS1K_S1L_EUlS1K_E_NS1_11comp_targetILNS1_3genE5ELNS1_11target_archE942ELNS1_3gpuE9ELNS1_3repE0EEENS1_30default_config_static_selectorELNS0_4arch9wavefront6targetE0EEEvSY_ ; -- Begin function _ZN7rocprim17ROCPRIM_400000_NS6detail17trampoline_kernelINS0_13select_configILj256ELj13ELNS0_17block_load_methodE3ELS4_3ELS4_3ELNS0_20block_scan_algorithmE0ELj4294967295EEENS1_25partition_config_selectorILNS1_17partition_subalgoE3EjNS0_10empty_typeEbEEZZNS1_14partition_implILS8_3ELb0ES6_jNS0_17counting_iteratorIjlEEPS9_SE_NS0_5tupleIJPjSE_EEENSF_IJSE_SE_EEES9_SG_JZNS1_25segmented_radix_sort_implINS0_14default_configELb0EPKfPfPKlPlN2at6native12_GLOBAL__N_18offset_tEEE10hipError_tPvRmT1_PNSt15iterator_traitsISY_E10value_typeET2_T3_PNSZ_IS14_E10value_typeET4_jRbjT5_S1A_jjP12ihipStream_tbEUljE_EEESV_SW_SX_S14_S18_S1A_T6_T7_T9_mT8_S1C_bDpT10_ENKUlT_T0_E_clISt17integral_constantIbLb1EES1P_EEDaS1K_S1L_EUlS1K_E_NS1_11comp_targetILNS1_3genE5ELNS1_11target_archE942ELNS1_3gpuE9ELNS1_3repE0EEENS1_30default_config_static_selectorELNS0_4arch9wavefront6targetE0EEEvSY_
	.p2align	8
	.type	_ZN7rocprim17ROCPRIM_400000_NS6detail17trampoline_kernelINS0_13select_configILj256ELj13ELNS0_17block_load_methodE3ELS4_3ELS4_3ELNS0_20block_scan_algorithmE0ELj4294967295EEENS1_25partition_config_selectorILNS1_17partition_subalgoE3EjNS0_10empty_typeEbEEZZNS1_14partition_implILS8_3ELb0ES6_jNS0_17counting_iteratorIjlEEPS9_SE_NS0_5tupleIJPjSE_EEENSF_IJSE_SE_EEES9_SG_JZNS1_25segmented_radix_sort_implINS0_14default_configELb0EPKfPfPKlPlN2at6native12_GLOBAL__N_18offset_tEEE10hipError_tPvRmT1_PNSt15iterator_traitsISY_E10value_typeET2_T3_PNSZ_IS14_E10value_typeET4_jRbjT5_S1A_jjP12ihipStream_tbEUljE_EEESV_SW_SX_S14_S18_S1A_T6_T7_T9_mT8_S1C_bDpT10_ENKUlT_T0_E_clISt17integral_constantIbLb1EES1P_EEDaS1K_S1L_EUlS1K_E_NS1_11comp_targetILNS1_3genE5ELNS1_11target_archE942ELNS1_3gpuE9ELNS1_3repE0EEENS1_30default_config_static_selectorELNS0_4arch9wavefront6targetE0EEEvSY_,@function
_ZN7rocprim17ROCPRIM_400000_NS6detail17trampoline_kernelINS0_13select_configILj256ELj13ELNS0_17block_load_methodE3ELS4_3ELS4_3ELNS0_20block_scan_algorithmE0ELj4294967295EEENS1_25partition_config_selectorILNS1_17partition_subalgoE3EjNS0_10empty_typeEbEEZZNS1_14partition_implILS8_3ELb0ES6_jNS0_17counting_iteratorIjlEEPS9_SE_NS0_5tupleIJPjSE_EEENSF_IJSE_SE_EEES9_SG_JZNS1_25segmented_radix_sort_implINS0_14default_configELb0EPKfPfPKlPlN2at6native12_GLOBAL__N_18offset_tEEE10hipError_tPvRmT1_PNSt15iterator_traitsISY_E10value_typeET2_T3_PNSZ_IS14_E10value_typeET4_jRbjT5_S1A_jjP12ihipStream_tbEUljE_EEESV_SW_SX_S14_S18_S1A_T6_T7_T9_mT8_S1C_bDpT10_ENKUlT_T0_E_clISt17integral_constantIbLb1EES1P_EEDaS1K_S1L_EUlS1K_E_NS1_11comp_targetILNS1_3genE5ELNS1_11target_archE942ELNS1_3gpuE9ELNS1_3repE0EEENS1_30default_config_static_selectorELNS0_4arch9wavefront6targetE0EEEvSY_: ; @_ZN7rocprim17ROCPRIM_400000_NS6detail17trampoline_kernelINS0_13select_configILj256ELj13ELNS0_17block_load_methodE3ELS4_3ELS4_3ELNS0_20block_scan_algorithmE0ELj4294967295EEENS1_25partition_config_selectorILNS1_17partition_subalgoE3EjNS0_10empty_typeEbEEZZNS1_14partition_implILS8_3ELb0ES6_jNS0_17counting_iteratorIjlEEPS9_SE_NS0_5tupleIJPjSE_EEENSF_IJSE_SE_EEES9_SG_JZNS1_25segmented_radix_sort_implINS0_14default_configELb0EPKfPfPKlPlN2at6native12_GLOBAL__N_18offset_tEEE10hipError_tPvRmT1_PNSt15iterator_traitsISY_E10value_typeET2_T3_PNSZ_IS14_E10value_typeET4_jRbjT5_S1A_jjP12ihipStream_tbEUljE_EEESV_SW_SX_S14_S18_S1A_T6_T7_T9_mT8_S1C_bDpT10_ENKUlT_T0_E_clISt17integral_constantIbLb1EES1P_EEDaS1K_S1L_EUlS1K_E_NS1_11comp_targetILNS1_3genE5ELNS1_11target_archE942ELNS1_3gpuE9ELNS1_3repE0EEENS1_30default_config_static_selectorELNS0_4arch9wavefront6targetE0EEEvSY_
; %bb.0:
	.section	.rodata,"a",@progbits
	.p2align	6, 0x0
	.amdhsa_kernel _ZN7rocprim17ROCPRIM_400000_NS6detail17trampoline_kernelINS0_13select_configILj256ELj13ELNS0_17block_load_methodE3ELS4_3ELS4_3ELNS0_20block_scan_algorithmE0ELj4294967295EEENS1_25partition_config_selectorILNS1_17partition_subalgoE3EjNS0_10empty_typeEbEEZZNS1_14partition_implILS8_3ELb0ES6_jNS0_17counting_iteratorIjlEEPS9_SE_NS0_5tupleIJPjSE_EEENSF_IJSE_SE_EEES9_SG_JZNS1_25segmented_radix_sort_implINS0_14default_configELb0EPKfPfPKlPlN2at6native12_GLOBAL__N_18offset_tEEE10hipError_tPvRmT1_PNSt15iterator_traitsISY_E10value_typeET2_T3_PNSZ_IS14_E10value_typeET4_jRbjT5_S1A_jjP12ihipStream_tbEUljE_EEESV_SW_SX_S14_S18_S1A_T6_T7_T9_mT8_S1C_bDpT10_ENKUlT_T0_E_clISt17integral_constantIbLb1EES1P_EEDaS1K_S1L_EUlS1K_E_NS1_11comp_targetILNS1_3genE5ELNS1_11target_archE942ELNS1_3gpuE9ELNS1_3repE0EEENS1_30default_config_static_selectorELNS0_4arch9wavefront6targetE0EEEvSY_
		.amdhsa_group_segment_fixed_size 0
		.amdhsa_private_segment_fixed_size 0
		.amdhsa_kernarg_size 152
		.amdhsa_user_sgpr_count 2
		.amdhsa_user_sgpr_dispatch_ptr 0
		.amdhsa_user_sgpr_queue_ptr 0
		.amdhsa_user_sgpr_kernarg_segment_ptr 1
		.amdhsa_user_sgpr_dispatch_id 0
		.amdhsa_user_sgpr_private_segment_size 0
		.amdhsa_wavefront_size32 1
		.amdhsa_uses_dynamic_stack 0
		.amdhsa_enable_private_segment 0
		.amdhsa_system_sgpr_workgroup_id_x 1
		.amdhsa_system_sgpr_workgroup_id_y 0
		.amdhsa_system_sgpr_workgroup_id_z 0
		.amdhsa_system_sgpr_workgroup_info 0
		.amdhsa_system_vgpr_workitem_id 0
		.amdhsa_next_free_vgpr 1
		.amdhsa_next_free_sgpr 1
		.amdhsa_reserve_vcc 0
		.amdhsa_float_round_mode_32 0
		.amdhsa_float_round_mode_16_64 0
		.amdhsa_float_denorm_mode_32 3
		.amdhsa_float_denorm_mode_16_64 3
		.amdhsa_fp16_overflow 0
		.amdhsa_workgroup_processor_mode 1
		.amdhsa_memory_ordered 1
		.amdhsa_forward_progress 1
		.amdhsa_inst_pref_size 0
		.amdhsa_round_robin_scheduling 0
		.amdhsa_exception_fp_ieee_invalid_op 0
		.amdhsa_exception_fp_denorm_src 0
		.amdhsa_exception_fp_ieee_div_zero 0
		.amdhsa_exception_fp_ieee_overflow 0
		.amdhsa_exception_fp_ieee_underflow 0
		.amdhsa_exception_fp_ieee_inexact 0
		.amdhsa_exception_int_div_zero 0
	.end_amdhsa_kernel
	.section	.text._ZN7rocprim17ROCPRIM_400000_NS6detail17trampoline_kernelINS0_13select_configILj256ELj13ELNS0_17block_load_methodE3ELS4_3ELS4_3ELNS0_20block_scan_algorithmE0ELj4294967295EEENS1_25partition_config_selectorILNS1_17partition_subalgoE3EjNS0_10empty_typeEbEEZZNS1_14partition_implILS8_3ELb0ES6_jNS0_17counting_iteratorIjlEEPS9_SE_NS0_5tupleIJPjSE_EEENSF_IJSE_SE_EEES9_SG_JZNS1_25segmented_radix_sort_implINS0_14default_configELb0EPKfPfPKlPlN2at6native12_GLOBAL__N_18offset_tEEE10hipError_tPvRmT1_PNSt15iterator_traitsISY_E10value_typeET2_T3_PNSZ_IS14_E10value_typeET4_jRbjT5_S1A_jjP12ihipStream_tbEUljE_EEESV_SW_SX_S14_S18_S1A_T6_T7_T9_mT8_S1C_bDpT10_ENKUlT_T0_E_clISt17integral_constantIbLb1EES1P_EEDaS1K_S1L_EUlS1K_E_NS1_11comp_targetILNS1_3genE5ELNS1_11target_archE942ELNS1_3gpuE9ELNS1_3repE0EEENS1_30default_config_static_selectorELNS0_4arch9wavefront6targetE0EEEvSY_,"axG",@progbits,_ZN7rocprim17ROCPRIM_400000_NS6detail17trampoline_kernelINS0_13select_configILj256ELj13ELNS0_17block_load_methodE3ELS4_3ELS4_3ELNS0_20block_scan_algorithmE0ELj4294967295EEENS1_25partition_config_selectorILNS1_17partition_subalgoE3EjNS0_10empty_typeEbEEZZNS1_14partition_implILS8_3ELb0ES6_jNS0_17counting_iteratorIjlEEPS9_SE_NS0_5tupleIJPjSE_EEENSF_IJSE_SE_EEES9_SG_JZNS1_25segmented_radix_sort_implINS0_14default_configELb0EPKfPfPKlPlN2at6native12_GLOBAL__N_18offset_tEEE10hipError_tPvRmT1_PNSt15iterator_traitsISY_E10value_typeET2_T3_PNSZ_IS14_E10value_typeET4_jRbjT5_S1A_jjP12ihipStream_tbEUljE_EEESV_SW_SX_S14_S18_S1A_T6_T7_T9_mT8_S1C_bDpT10_ENKUlT_T0_E_clISt17integral_constantIbLb1EES1P_EEDaS1K_S1L_EUlS1K_E_NS1_11comp_targetILNS1_3genE5ELNS1_11target_archE942ELNS1_3gpuE9ELNS1_3repE0EEENS1_30default_config_static_selectorELNS0_4arch9wavefront6targetE0EEEvSY_,comdat
.Lfunc_end1405:
	.size	_ZN7rocprim17ROCPRIM_400000_NS6detail17trampoline_kernelINS0_13select_configILj256ELj13ELNS0_17block_load_methodE3ELS4_3ELS4_3ELNS0_20block_scan_algorithmE0ELj4294967295EEENS1_25partition_config_selectorILNS1_17partition_subalgoE3EjNS0_10empty_typeEbEEZZNS1_14partition_implILS8_3ELb0ES6_jNS0_17counting_iteratorIjlEEPS9_SE_NS0_5tupleIJPjSE_EEENSF_IJSE_SE_EEES9_SG_JZNS1_25segmented_radix_sort_implINS0_14default_configELb0EPKfPfPKlPlN2at6native12_GLOBAL__N_18offset_tEEE10hipError_tPvRmT1_PNSt15iterator_traitsISY_E10value_typeET2_T3_PNSZ_IS14_E10value_typeET4_jRbjT5_S1A_jjP12ihipStream_tbEUljE_EEESV_SW_SX_S14_S18_S1A_T6_T7_T9_mT8_S1C_bDpT10_ENKUlT_T0_E_clISt17integral_constantIbLb1EES1P_EEDaS1K_S1L_EUlS1K_E_NS1_11comp_targetILNS1_3genE5ELNS1_11target_archE942ELNS1_3gpuE9ELNS1_3repE0EEENS1_30default_config_static_selectorELNS0_4arch9wavefront6targetE0EEEvSY_, .Lfunc_end1405-_ZN7rocprim17ROCPRIM_400000_NS6detail17trampoline_kernelINS0_13select_configILj256ELj13ELNS0_17block_load_methodE3ELS4_3ELS4_3ELNS0_20block_scan_algorithmE0ELj4294967295EEENS1_25partition_config_selectorILNS1_17partition_subalgoE3EjNS0_10empty_typeEbEEZZNS1_14partition_implILS8_3ELb0ES6_jNS0_17counting_iteratorIjlEEPS9_SE_NS0_5tupleIJPjSE_EEENSF_IJSE_SE_EEES9_SG_JZNS1_25segmented_radix_sort_implINS0_14default_configELb0EPKfPfPKlPlN2at6native12_GLOBAL__N_18offset_tEEE10hipError_tPvRmT1_PNSt15iterator_traitsISY_E10value_typeET2_T3_PNSZ_IS14_E10value_typeET4_jRbjT5_S1A_jjP12ihipStream_tbEUljE_EEESV_SW_SX_S14_S18_S1A_T6_T7_T9_mT8_S1C_bDpT10_ENKUlT_T0_E_clISt17integral_constantIbLb1EES1P_EEDaS1K_S1L_EUlS1K_E_NS1_11comp_targetILNS1_3genE5ELNS1_11target_archE942ELNS1_3gpuE9ELNS1_3repE0EEENS1_30default_config_static_selectorELNS0_4arch9wavefront6targetE0EEEvSY_
                                        ; -- End function
	.set _ZN7rocprim17ROCPRIM_400000_NS6detail17trampoline_kernelINS0_13select_configILj256ELj13ELNS0_17block_load_methodE3ELS4_3ELS4_3ELNS0_20block_scan_algorithmE0ELj4294967295EEENS1_25partition_config_selectorILNS1_17partition_subalgoE3EjNS0_10empty_typeEbEEZZNS1_14partition_implILS8_3ELb0ES6_jNS0_17counting_iteratorIjlEEPS9_SE_NS0_5tupleIJPjSE_EEENSF_IJSE_SE_EEES9_SG_JZNS1_25segmented_radix_sort_implINS0_14default_configELb0EPKfPfPKlPlN2at6native12_GLOBAL__N_18offset_tEEE10hipError_tPvRmT1_PNSt15iterator_traitsISY_E10value_typeET2_T3_PNSZ_IS14_E10value_typeET4_jRbjT5_S1A_jjP12ihipStream_tbEUljE_EEESV_SW_SX_S14_S18_S1A_T6_T7_T9_mT8_S1C_bDpT10_ENKUlT_T0_E_clISt17integral_constantIbLb1EES1P_EEDaS1K_S1L_EUlS1K_E_NS1_11comp_targetILNS1_3genE5ELNS1_11target_archE942ELNS1_3gpuE9ELNS1_3repE0EEENS1_30default_config_static_selectorELNS0_4arch9wavefront6targetE0EEEvSY_.num_vgpr, 0
	.set _ZN7rocprim17ROCPRIM_400000_NS6detail17trampoline_kernelINS0_13select_configILj256ELj13ELNS0_17block_load_methodE3ELS4_3ELS4_3ELNS0_20block_scan_algorithmE0ELj4294967295EEENS1_25partition_config_selectorILNS1_17partition_subalgoE3EjNS0_10empty_typeEbEEZZNS1_14partition_implILS8_3ELb0ES6_jNS0_17counting_iteratorIjlEEPS9_SE_NS0_5tupleIJPjSE_EEENSF_IJSE_SE_EEES9_SG_JZNS1_25segmented_radix_sort_implINS0_14default_configELb0EPKfPfPKlPlN2at6native12_GLOBAL__N_18offset_tEEE10hipError_tPvRmT1_PNSt15iterator_traitsISY_E10value_typeET2_T3_PNSZ_IS14_E10value_typeET4_jRbjT5_S1A_jjP12ihipStream_tbEUljE_EEESV_SW_SX_S14_S18_S1A_T6_T7_T9_mT8_S1C_bDpT10_ENKUlT_T0_E_clISt17integral_constantIbLb1EES1P_EEDaS1K_S1L_EUlS1K_E_NS1_11comp_targetILNS1_3genE5ELNS1_11target_archE942ELNS1_3gpuE9ELNS1_3repE0EEENS1_30default_config_static_selectorELNS0_4arch9wavefront6targetE0EEEvSY_.num_agpr, 0
	.set _ZN7rocprim17ROCPRIM_400000_NS6detail17trampoline_kernelINS0_13select_configILj256ELj13ELNS0_17block_load_methodE3ELS4_3ELS4_3ELNS0_20block_scan_algorithmE0ELj4294967295EEENS1_25partition_config_selectorILNS1_17partition_subalgoE3EjNS0_10empty_typeEbEEZZNS1_14partition_implILS8_3ELb0ES6_jNS0_17counting_iteratorIjlEEPS9_SE_NS0_5tupleIJPjSE_EEENSF_IJSE_SE_EEES9_SG_JZNS1_25segmented_radix_sort_implINS0_14default_configELb0EPKfPfPKlPlN2at6native12_GLOBAL__N_18offset_tEEE10hipError_tPvRmT1_PNSt15iterator_traitsISY_E10value_typeET2_T3_PNSZ_IS14_E10value_typeET4_jRbjT5_S1A_jjP12ihipStream_tbEUljE_EEESV_SW_SX_S14_S18_S1A_T6_T7_T9_mT8_S1C_bDpT10_ENKUlT_T0_E_clISt17integral_constantIbLb1EES1P_EEDaS1K_S1L_EUlS1K_E_NS1_11comp_targetILNS1_3genE5ELNS1_11target_archE942ELNS1_3gpuE9ELNS1_3repE0EEENS1_30default_config_static_selectorELNS0_4arch9wavefront6targetE0EEEvSY_.numbered_sgpr, 0
	.set _ZN7rocprim17ROCPRIM_400000_NS6detail17trampoline_kernelINS0_13select_configILj256ELj13ELNS0_17block_load_methodE3ELS4_3ELS4_3ELNS0_20block_scan_algorithmE0ELj4294967295EEENS1_25partition_config_selectorILNS1_17partition_subalgoE3EjNS0_10empty_typeEbEEZZNS1_14partition_implILS8_3ELb0ES6_jNS0_17counting_iteratorIjlEEPS9_SE_NS0_5tupleIJPjSE_EEENSF_IJSE_SE_EEES9_SG_JZNS1_25segmented_radix_sort_implINS0_14default_configELb0EPKfPfPKlPlN2at6native12_GLOBAL__N_18offset_tEEE10hipError_tPvRmT1_PNSt15iterator_traitsISY_E10value_typeET2_T3_PNSZ_IS14_E10value_typeET4_jRbjT5_S1A_jjP12ihipStream_tbEUljE_EEESV_SW_SX_S14_S18_S1A_T6_T7_T9_mT8_S1C_bDpT10_ENKUlT_T0_E_clISt17integral_constantIbLb1EES1P_EEDaS1K_S1L_EUlS1K_E_NS1_11comp_targetILNS1_3genE5ELNS1_11target_archE942ELNS1_3gpuE9ELNS1_3repE0EEENS1_30default_config_static_selectorELNS0_4arch9wavefront6targetE0EEEvSY_.num_named_barrier, 0
	.set _ZN7rocprim17ROCPRIM_400000_NS6detail17trampoline_kernelINS0_13select_configILj256ELj13ELNS0_17block_load_methodE3ELS4_3ELS4_3ELNS0_20block_scan_algorithmE0ELj4294967295EEENS1_25partition_config_selectorILNS1_17partition_subalgoE3EjNS0_10empty_typeEbEEZZNS1_14partition_implILS8_3ELb0ES6_jNS0_17counting_iteratorIjlEEPS9_SE_NS0_5tupleIJPjSE_EEENSF_IJSE_SE_EEES9_SG_JZNS1_25segmented_radix_sort_implINS0_14default_configELb0EPKfPfPKlPlN2at6native12_GLOBAL__N_18offset_tEEE10hipError_tPvRmT1_PNSt15iterator_traitsISY_E10value_typeET2_T3_PNSZ_IS14_E10value_typeET4_jRbjT5_S1A_jjP12ihipStream_tbEUljE_EEESV_SW_SX_S14_S18_S1A_T6_T7_T9_mT8_S1C_bDpT10_ENKUlT_T0_E_clISt17integral_constantIbLb1EES1P_EEDaS1K_S1L_EUlS1K_E_NS1_11comp_targetILNS1_3genE5ELNS1_11target_archE942ELNS1_3gpuE9ELNS1_3repE0EEENS1_30default_config_static_selectorELNS0_4arch9wavefront6targetE0EEEvSY_.private_seg_size, 0
	.set _ZN7rocprim17ROCPRIM_400000_NS6detail17trampoline_kernelINS0_13select_configILj256ELj13ELNS0_17block_load_methodE3ELS4_3ELS4_3ELNS0_20block_scan_algorithmE0ELj4294967295EEENS1_25partition_config_selectorILNS1_17partition_subalgoE3EjNS0_10empty_typeEbEEZZNS1_14partition_implILS8_3ELb0ES6_jNS0_17counting_iteratorIjlEEPS9_SE_NS0_5tupleIJPjSE_EEENSF_IJSE_SE_EEES9_SG_JZNS1_25segmented_radix_sort_implINS0_14default_configELb0EPKfPfPKlPlN2at6native12_GLOBAL__N_18offset_tEEE10hipError_tPvRmT1_PNSt15iterator_traitsISY_E10value_typeET2_T3_PNSZ_IS14_E10value_typeET4_jRbjT5_S1A_jjP12ihipStream_tbEUljE_EEESV_SW_SX_S14_S18_S1A_T6_T7_T9_mT8_S1C_bDpT10_ENKUlT_T0_E_clISt17integral_constantIbLb1EES1P_EEDaS1K_S1L_EUlS1K_E_NS1_11comp_targetILNS1_3genE5ELNS1_11target_archE942ELNS1_3gpuE9ELNS1_3repE0EEENS1_30default_config_static_selectorELNS0_4arch9wavefront6targetE0EEEvSY_.uses_vcc, 0
	.set _ZN7rocprim17ROCPRIM_400000_NS6detail17trampoline_kernelINS0_13select_configILj256ELj13ELNS0_17block_load_methodE3ELS4_3ELS4_3ELNS0_20block_scan_algorithmE0ELj4294967295EEENS1_25partition_config_selectorILNS1_17partition_subalgoE3EjNS0_10empty_typeEbEEZZNS1_14partition_implILS8_3ELb0ES6_jNS0_17counting_iteratorIjlEEPS9_SE_NS0_5tupleIJPjSE_EEENSF_IJSE_SE_EEES9_SG_JZNS1_25segmented_radix_sort_implINS0_14default_configELb0EPKfPfPKlPlN2at6native12_GLOBAL__N_18offset_tEEE10hipError_tPvRmT1_PNSt15iterator_traitsISY_E10value_typeET2_T3_PNSZ_IS14_E10value_typeET4_jRbjT5_S1A_jjP12ihipStream_tbEUljE_EEESV_SW_SX_S14_S18_S1A_T6_T7_T9_mT8_S1C_bDpT10_ENKUlT_T0_E_clISt17integral_constantIbLb1EES1P_EEDaS1K_S1L_EUlS1K_E_NS1_11comp_targetILNS1_3genE5ELNS1_11target_archE942ELNS1_3gpuE9ELNS1_3repE0EEENS1_30default_config_static_selectorELNS0_4arch9wavefront6targetE0EEEvSY_.uses_flat_scratch, 0
	.set _ZN7rocprim17ROCPRIM_400000_NS6detail17trampoline_kernelINS0_13select_configILj256ELj13ELNS0_17block_load_methodE3ELS4_3ELS4_3ELNS0_20block_scan_algorithmE0ELj4294967295EEENS1_25partition_config_selectorILNS1_17partition_subalgoE3EjNS0_10empty_typeEbEEZZNS1_14partition_implILS8_3ELb0ES6_jNS0_17counting_iteratorIjlEEPS9_SE_NS0_5tupleIJPjSE_EEENSF_IJSE_SE_EEES9_SG_JZNS1_25segmented_radix_sort_implINS0_14default_configELb0EPKfPfPKlPlN2at6native12_GLOBAL__N_18offset_tEEE10hipError_tPvRmT1_PNSt15iterator_traitsISY_E10value_typeET2_T3_PNSZ_IS14_E10value_typeET4_jRbjT5_S1A_jjP12ihipStream_tbEUljE_EEESV_SW_SX_S14_S18_S1A_T6_T7_T9_mT8_S1C_bDpT10_ENKUlT_T0_E_clISt17integral_constantIbLb1EES1P_EEDaS1K_S1L_EUlS1K_E_NS1_11comp_targetILNS1_3genE5ELNS1_11target_archE942ELNS1_3gpuE9ELNS1_3repE0EEENS1_30default_config_static_selectorELNS0_4arch9wavefront6targetE0EEEvSY_.has_dyn_sized_stack, 0
	.set _ZN7rocprim17ROCPRIM_400000_NS6detail17trampoline_kernelINS0_13select_configILj256ELj13ELNS0_17block_load_methodE3ELS4_3ELS4_3ELNS0_20block_scan_algorithmE0ELj4294967295EEENS1_25partition_config_selectorILNS1_17partition_subalgoE3EjNS0_10empty_typeEbEEZZNS1_14partition_implILS8_3ELb0ES6_jNS0_17counting_iteratorIjlEEPS9_SE_NS0_5tupleIJPjSE_EEENSF_IJSE_SE_EEES9_SG_JZNS1_25segmented_radix_sort_implINS0_14default_configELb0EPKfPfPKlPlN2at6native12_GLOBAL__N_18offset_tEEE10hipError_tPvRmT1_PNSt15iterator_traitsISY_E10value_typeET2_T3_PNSZ_IS14_E10value_typeET4_jRbjT5_S1A_jjP12ihipStream_tbEUljE_EEESV_SW_SX_S14_S18_S1A_T6_T7_T9_mT8_S1C_bDpT10_ENKUlT_T0_E_clISt17integral_constantIbLb1EES1P_EEDaS1K_S1L_EUlS1K_E_NS1_11comp_targetILNS1_3genE5ELNS1_11target_archE942ELNS1_3gpuE9ELNS1_3repE0EEENS1_30default_config_static_selectorELNS0_4arch9wavefront6targetE0EEEvSY_.has_recursion, 0
	.set _ZN7rocprim17ROCPRIM_400000_NS6detail17trampoline_kernelINS0_13select_configILj256ELj13ELNS0_17block_load_methodE3ELS4_3ELS4_3ELNS0_20block_scan_algorithmE0ELj4294967295EEENS1_25partition_config_selectorILNS1_17partition_subalgoE3EjNS0_10empty_typeEbEEZZNS1_14partition_implILS8_3ELb0ES6_jNS0_17counting_iteratorIjlEEPS9_SE_NS0_5tupleIJPjSE_EEENSF_IJSE_SE_EEES9_SG_JZNS1_25segmented_radix_sort_implINS0_14default_configELb0EPKfPfPKlPlN2at6native12_GLOBAL__N_18offset_tEEE10hipError_tPvRmT1_PNSt15iterator_traitsISY_E10value_typeET2_T3_PNSZ_IS14_E10value_typeET4_jRbjT5_S1A_jjP12ihipStream_tbEUljE_EEESV_SW_SX_S14_S18_S1A_T6_T7_T9_mT8_S1C_bDpT10_ENKUlT_T0_E_clISt17integral_constantIbLb1EES1P_EEDaS1K_S1L_EUlS1K_E_NS1_11comp_targetILNS1_3genE5ELNS1_11target_archE942ELNS1_3gpuE9ELNS1_3repE0EEENS1_30default_config_static_selectorELNS0_4arch9wavefront6targetE0EEEvSY_.has_indirect_call, 0
	.section	.AMDGPU.csdata,"",@progbits
; Kernel info:
; codeLenInByte = 0
; TotalNumSgprs: 0
; NumVgprs: 0
; ScratchSize: 0
; MemoryBound: 0
; FloatMode: 240
; IeeeMode: 1
; LDSByteSize: 0 bytes/workgroup (compile time only)
; SGPRBlocks: 0
; VGPRBlocks: 0
; NumSGPRsForWavesPerEU: 1
; NumVGPRsForWavesPerEU: 1
; Occupancy: 16
; WaveLimiterHint : 0
; COMPUTE_PGM_RSRC2:SCRATCH_EN: 0
; COMPUTE_PGM_RSRC2:USER_SGPR: 2
; COMPUTE_PGM_RSRC2:TRAP_HANDLER: 0
; COMPUTE_PGM_RSRC2:TGID_X_EN: 1
; COMPUTE_PGM_RSRC2:TGID_Y_EN: 0
; COMPUTE_PGM_RSRC2:TGID_Z_EN: 0
; COMPUTE_PGM_RSRC2:TIDIG_COMP_CNT: 0
	.section	.text._ZN7rocprim17ROCPRIM_400000_NS6detail17trampoline_kernelINS0_13select_configILj256ELj13ELNS0_17block_load_methodE3ELS4_3ELS4_3ELNS0_20block_scan_algorithmE0ELj4294967295EEENS1_25partition_config_selectorILNS1_17partition_subalgoE3EjNS0_10empty_typeEbEEZZNS1_14partition_implILS8_3ELb0ES6_jNS0_17counting_iteratorIjlEEPS9_SE_NS0_5tupleIJPjSE_EEENSF_IJSE_SE_EEES9_SG_JZNS1_25segmented_radix_sort_implINS0_14default_configELb0EPKfPfPKlPlN2at6native12_GLOBAL__N_18offset_tEEE10hipError_tPvRmT1_PNSt15iterator_traitsISY_E10value_typeET2_T3_PNSZ_IS14_E10value_typeET4_jRbjT5_S1A_jjP12ihipStream_tbEUljE_EEESV_SW_SX_S14_S18_S1A_T6_T7_T9_mT8_S1C_bDpT10_ENKUlT_T0_E_clISt17integral_constantIbLb1EES1P_EEDaS1K_S1L_EUlS1K_E_NS1_11comp_targetILNS1_3genE4ELNS1_11target_archE910ELNS1_3gpuE8ELNS1_3repE0EEENS1_30default_config_static_selectorELNS0_4arch9wavefront6targetE0EEEvSY_,"axG",@progbits,_ZN7rocprim17ROCPRIM_400000_NS6detail17trampoline_kernelINS0_13select_configILj256ELj13ELNS0_17block_load_methodE3ELS4_3ELS4_3ELNS0_20block_scan_algorithmE0ELj4294967295EEENS1_25partition_config_selectorILNS1_17partition_subalgoE3EjNS0_10empty_typeEbEEZZNS1_14partition_implILS8_3ELb0ES6_jNS0_17counting_iteratorIjlEEPS9_SE_NS0_5tupleIJPjSE_EEENSF_IJSE_SE_EEES9_SG_JZNS1_25segmented_radix_sort_implINS0_14default_configELb0EPKfPfPKlPlN2at6native12_GLOBAL__N_18offset_tEEE10hipError_tPvRmT1_PNSt15iterator_traitsISY_E10value_typeET2_T3_PNSZ_IS14_E10value_typeET4_jRbjT5_S1A_jjP12ihipStream_tbEUljE_EEESV_SW_SX_S14_S18_S1A_T6_T7_T9_mT8_S1C_bDpT10_ENKUlT_T0_E_clISt17integral_constantIbLb1EES1P_EEDaS1K_S1L_EUlS1K_E_NS1_11comp_targetILNS1_3genE4ELNS1_11target_archE910ELNS1_3gpuE8ELNS1_3repE0EEENS1_30default_config_static_selectorELNS0_4arch9wavefront6targetE0EEEvSY_,comdat
	.globl	_ZN7rocprim17ROCPRIM_400000_NS6detail17trampoline_kernelINS0_13select_configILj256ELj13ELNS0_17block_load_methodE3ELS4_3ELS4_3ELNS0_20block_scan_algorithmE0ELj4294967295EEENS1_25partition_config_selectorILNS1_17partition_subalgoE3EjNS0_10empty_typeEbEEZZNS1_14partition_implILS8_3ELb0ES6_jNS0_17counting_iteratorIjlEEPS9_SE_NS0_5tupleIJPjSE_EEENSF_IJSE_SE_EEES9_SG_JZNS1_25segmented_radix_sort_implINS0_14default_configELb0EPKfPfPKlPlN2at6native12_GLOBAL__N_18offset_tEEE10hipError_tPvRmT1_PNSt15iterator_traitsISY_E10value_typeET2_T3_PNSZ_IS14_E10value_typeET4_jRbjT5_S1A_jjP12ihipStream_tbEUljE_EEESV_SW_SX_S14_S18_S1A_T6_T7_T9_mT8_S1C_bDpT10_ENKUlT_T0_E_clISt17integral_constantIbLb1EES1P_EEDaS1K_S1L_EUlS1K_E_NS1_11comp_targetILNS1_3genE4ELNS1_11target_archE910ELNS1_3gpuE8ELNS1_3repE0EEENS1_30default_config_static_selectorELNS0_4arch9wavefront6targetE0EEEvSY_ ; -- Begin function _ZN7rocprim17ROCPRIM_400000_NS6detail17trampoline_kernelINS0_13select_configILj256ELj13ELNS0_17block_load_methodE3ELS4_3ELS4_3ELNS0_20block_scan_algorithmE0ELj4294967295EEENS1_25partition_config_selectorILNS1_17partition_subalgoE3EjNS0_10empty_typeEbEEZZNS1_14partition_implILS8_3ELb0ES6_jNS0_17counting_iteratorIjlEEPS9_SE_NS0_5tupleIJPjSE_EEENSF_IJSE_SE_EEES9_SG_JZNS1_25segmented_radix_sort_implINS0_14default_configELb0EPKfPfPKlPlN2at6native12_GLOBAL__N_18offset_tEEE10hipError_tPvRmT1_PNSt15iterator_traitsISY_E10value_typeET2_T3_PNSZ_IS14_E10value_typeET4_jRbjT5_S1A_jjP12ihipStream_tbEUljE_EEESV_SW_SX_S14_S18_S1A_T6_T7_T9_mT8_S1C_bDpT10_ENKUlT_T0_E_clISt17integral_constantIbLb1EES1P_EEDaS1K_S1L_EUlS1K_E_NS1_11comp_targetILNS1_3genE4ELNS1_11target_archE910ELNS1_3gpuE8ELNS1_3repE0EEENS1_30default_config_static_selectorELNS0_4arch9wavefront6targetE0EEEvSY_
	.p2align	8
	.type	_ZN7rocprim17ROCPRIM_400000_NS6detail17trampoline_kernelINS0_13select_configILj256ELj13ELNS0_17block_load_methodE3ELS4_3ELS4_3ELNS0_20block_scan_algorithmE0ELj4294967295EEENS1_25partition_config_selectorILNS1_17partition_subalgoE3EjNS0_10empty_typeEbEEZZNS1_14partition_implILS8_3ELb0ES6_jNS0_17counting_iteratorIjlEEPS9_SE_NS0_5tupleIJPjSE_EEENSF_IJSE_SE_EEES9_SG_JZNS1_25segmented_radix_sort_implINS0_14default_configELb0EPKfPfPKlPlN2at6native12_GLOBAL__N_18offset_tEEE10hipError_tPvRmT1_PNSt15iterator_traitsISY_E10value_typeET2_T3_PNSZ_IS14_E10value_typeET4_jRbjT5_S1A_jjP12ihipStream_tbEUljE_EEESV_SW_SX_S14_S18_S1A_T6_T7_T9_mT8_S1C_bDpT10_ENKUlT_T0_E_clISt17integral_constantIbLb1EES1P_EEDaS1K_S1L_EUlS1K_E_NS1_11comp_targetILNS1_3genE4ELNS1_11target_archE910ELNS1_3gpuE8ELNS1_3repE0EEENS1_30default_config_static_selectorELNS0_4arch9wavefront6targetE0EEEvSY_,@function
_ZN7rocprim17ROCPRIM_400000_NS6detail17trampoline_kernelINS0_13select_configILj256ELj13ELNS0_17block_load_methodE3ELS4_3ELS4_3ELNS0_20block_scan_algorithmE0ELj4294967295EEENS1_25partition_config_selectorILNS1_17partition_subalgoE3EjNS0_10empty_typeEbEEZZNS1_14partition_implILS8_3ELb0ES6_jNS0_17counting_iteratorIjlEEPS9_SE_NS0_5tupleIJPjSE_EEENSF_IJSE_SE_EEES9_SG_JZNS1_25segmented_radix_sort_implINS0_14default_configELb0EPKfPfPKlPlN2at6native12_GLOBAL__N_18offset_tEEE10hipError_tPvRmT1_PNSt15iterator_traitsISY_E10value_typeET2_T3_PNSZ_IS14_E10value_typeET4_jRbjT5_S1A_jjP12ihipStream_tbEUljE_EEESV_SW_SX_S14_S18_S1A_T6_T7_T9_mT8_S1C_bDpT10_ENKUlT_T0_E_clISt17integral_constantIbLb1EES1P_EEDaS1K_S1L_EUlS1K_E_NS1_11comp_targetILNS1_3genE4ELNS1_11target_archE910ELNS1_3gpuE8ELNS1_3repE0EEENS1_30default_config_static_selectorELNS0_4arch9wavefront6targetE0EEEvSY_: ; @_ZN7rocprim17ROCPRIM_400000_NS6detail17trampoline_kernelINS0_13select_configILj256ELj13ELNS0_17block_load_methodE3ELS4_3ELS4_3ELNS0_20block_scan_algorithmE0ELj4294967295EEENS1_25partition_config_selectorILNS1_17partition_subalgoE3EjNS0_10empty_typeEbEEZZNS1_14partition_implILS8_3ELb0ES6_jNS0_17counting_iteratorIjlEEPS9_SE_NS0_5tupleIJPjSE_EEENSF_IJSE_SE_EEES9_SG_JZNS1_25segmented_radix_sort_implINS0_14default_configELb0EPKfPfPKlPlN2at6native12_GLOBAL__N_18offset_tEEE10hipError_tPvRmT1_PNSt15iterator_traitsISY_E10value_typeET2_T3_PNSZ_IS14_E10value_typeET4_jRbjT5_S1A_jjP12ihipStream_tbEUljE_EEESV_SW_SX_S14_S18_S1A_T6_T7_T9_mT8_S1C_bDpT10_ENKUlT_T0_E_clISt17integral_constantIbLb1EES1P_EEDaS1K_S1L_EUlS1K_E_NS1_11comp_targetILNS1_3genE4ELNS1_11target_archE910ELNS1_3gpuE8ELNS1_3repE0EEENS1_30default_config_static_selectorELNS0_4arch9wavefront6targetE0EEEvSY_
; %bb.0:
	.section	.rodata,"a",@progbits
	.p2align	6, 0x0
	.amdhsa_kernel _ZN7rocprim17ROCPRIM_400000_NS6detail17trampoline_kernelINS0_13select_configILj256ELj13ELNS0_17block_load_methodE3ELS4_3ELS4_3ELNS0_20block_scan_algorithmE0ELj4294967295EEENS1_25partition_config_selectorILNS1_17partition_subalgoE3EjNS0_10empty_typeEbEEZZNS1_14partition_implILS8_3ELb0ES6_jNS0_17counting_iteratorIjlEEPS9_SE_NS0_5tupleIJPjSE_EEENSF_IJSE_SE_EEES9_SG_JZNS1_25segmented_radix_sort_implINS0_14default_configELb0EPKfPfPKlPlN2at6native12_GLOBAL__N_18offset_tEEE10hipError_tPvRmT1_PNSt15iterator_traitsISY_E10value_typeET2_T3_PNSZ_IS14_E10value_typeET4_jRbjT5_S1A_jjP12ihipStream_tbEUljE_EEESV_SW_SX_S14_S18_S1A_T6_T7_T9_mT8_S1C_bDpT10_ENKUlT_T0_E_clISt17integral_constantIbLb1EES1P_EEDaS1K_S1L_EUlS1K_E_NS1_11comp_targetILNS1_3genE4ELNS1_11target_archE910ELNS1_3gpuE8ELNS1_3repE0EEENS1_30default_config_static_selectorELNS0_4arch9wavefront6targetE0EEEvSY_
		.amdhsa_group_segment_fixed_size 0
		.amdhsa_private_segment_fixed_size 0
		.amdhsa_kernarg_size 152
		.amdhsa_user_sgpr_count 2
		.amdhsa_user_sgpr_dispatch_ptr 0
		.amdhsa_user_sgpr_queue_ptr 0
		.amdhsa_user_sgpr_kernarg_segment_ptr 1
		.amdhsa_user_sgpr_dispatch_id 0
		.amdhsa_user_sgpr_private_segment_size 0
		.amdhsa_wavefront_size32 1
		.amdhsa_uses_dynamic_stack 0
		.amdhsa_enable_private_segment 0
		.amdhsa_system_sgpr_workgroup_id_x 1
		.amdhsa_system_sgpr_workgroup_id_y 0
		.amdhsa_system_sgpr_workgroup_id_z 0
		.amdhsa_system_sgpr_workgroup_info 0
		.amdhsa_system_vgpr_workitem_id 0
		.amdhsa_next_free_vgpr 1
		.amdhsa_next_free_sgpr 1
		.amdhsa_reserve_vcc 0
		.amdhsa_float_round_mode_32 0
		.amdhsa_float_round_mode_16_64 0
		.amdhsa_float_denorm_mode_32 3
		.amdhsa_float_denorm_mode_16_64 3
		.amdhsa_fp16_overflow 0
		.amdhsa_workgroup_processor_mode 1
		.amdhsa_memory_ordered 1
		.amdhsa_forward_progress 1
		.amdhsa_inst_pref_size 0
		.amdhsa_round_robin_scheduling 0
		.amdhsa_exception_fp_ieee_invalid_op 0
		.amdhsa_exception_fp_denorm_src 0
		.amdhsa_exception_fp_ieee_div_zero 0
		.amdhsa_exception_fp_ieee_overflow 0
		.amdhsa_exception_fp_ieee_underflow 0
		.amdhsa_exception_fp_ieee_inexact 0
		.amdhsa_exception_int_div_zero 0
	.end_amdhsa_kernel
	.section	.text._ZN7rocprim17ROCPRIM_400000_NS6detail17trampoline_kernelINS0_13select_configILj256ELj13ELNS0_17block_load_methodE3ELS4_3ELS4_3ELNS0_20block_scan_algorithmE0ELj4294967295EEENS1_25partition_config_selectorILNS1_17partition_subalgoE3EjNS0_10empty_typeEbEEZZNS1_14partition_implILS8_3ELb0ES6_jNS0_17counting_iteratorIjlEEPS9_SE_NS0_5tupleIJPjSE_EEENSF_IJSE_SE_EEES9_SG_JZNS1_25segmented_radix_sort_implINS0_14default_configELb0EPKfPfPKlPlN2at6native12_GLOBAL__N_18offset_tEEE10hipError_tPvRmT1_PNSt15iterator_traitsISY_E10value_typeET2_T3_PNSZ_IS14_E10value_typeET4_jRbjT5_S1A_jjP12ihipStream_tbEUljE_EEESV_SW_SX_S14_S18_S1A_T6_T7_T9_mT8_S1C_bDpT10_ENKUlT_T0_E_clISt17integral_constantIbLb1EES1P_EEDaS1K_S1L_EUlS1K_E_NS1_11comp_targetILNS1_3genE4ELNS1_11target_archE910ELNS1_3gpuE8ELNS1_3repE0EEENS1_30default_config_static_selectorELNS0_4arch9wavefront6targetE0EEEvSY_,"axG",@progbits,_ZN7rocprim17ROCPRIM_400000_NS6detail17trampoline_kernelINS0_13select_configILj256ELj13ELNS0_17block_load_methodE3ELS4_3ELS4_3ELNS0_20block_scan_algorithmE0ELj4294967295EEENS1_25partition_config_selectorILNS1_17partition_subalgoE3EjNS0_10empty_typeEbEEZZNS1_14partition_implILS8_3ELb0ES6_jNS0_17counting_iteratorIjlEEPS9_SE_NS0_5tupleIJPjSE_EEENSF_IJSE_SE_EEES9_SG_JZNS1_25segmented_radix_sort_implINS0_14default_configELb0EPKfPfPKlPlN2at6native12_GLOBAL__N_18offset_tEEE10hipError_tPvRmT1_PNSt15iterator_traitsISY_E10value_typeET2_T3_PNSZ_IS14_E10value_typeET4_jRbjT5_S1A_jjP12ihipStream_tbEUljE_EEESV_SW_SX_S14_S18_S1A_T6_T7_T9_mT8_S1C_bDpT10_ENKUlT_T0_E_clISt17integral_constantIbLb1EES1P_EEDaS1K_S1L_EUlS1K_E_NS1_11comp_targetILNS1_3genE4ELNS1_11target_archE910ELNS1_3gpuE8ELNS1_3repE0EEENS1_30default_config_static_selectorELNS0_4arch9wavefront6targetE0EEEvSY_,comdat
.Lfunc_end1406:
	.size	_ZN7rocprim17ROCPRIM_400000_NS6detail17trampoline_kernelINS0_13select_configILj256ELj13ELNS0_17block_load_methodE3ELS4_3ELS4_3ELNS0_20block_scan_algorithmE0ELj4294967295EEENS1_25partition_config_selectorILNS1_17partition_subalgoE3EjNS0_10empty_typeEbEEZZNS1_14partition_implILS8_3ELb0ES6_jNS0_17counting_iteratorIjlEEPS9_SE_NS0_5tupleIJPjSE_EEENSF_IJSE_SE_EEES9_SG_JZNS1_25segmented_radix_sort_implINS0_14default_configELb0EPKfPfPKlPlN2at6native12_GLOBAL__N_18offset_tEEE10hipError_tPvRmT1_PNSt15iterator_traitsISY_E10value_typeET2_T3_PNSZ_IS14_E10value_typeET4_jRbjT5_S1A_jjP12ihipStream_tbEUljE_EEESV_SW_SX_S14_S18_S1A_T6_T7_T9_mT8_S1C_bDpT10_ENKUlT_T0_E_clISt17integral_constantIbLb1EES1P_EEDaS1K_S1L_EUlS1K_E_NS1_11comp_targetILNS1_3genE4ELNS1_11target_archE910ELNS1_3gpuE8ELNS1_3repE0EEENS1_30default_config_static_selectorELNS0_4arch9wavefront6targetE0EEEvSY_, .Lfunc_end1406-_ZN7rocprim17ROCPRIM_400000_NS6detail17trampoline_kernelINS0_13select_configILj256ELj13ELNS0_17block_load_methodE3ELS4_3ELS4_3ELNS0_20block_scan_algorithmE0ELj4294967295EEENS1_25partition_config_selectorILNS1_17partition_subalgoE3EjNS0_10empty_typeEbEEZZNS1_14partition_implILS8_3ELb0ES6_jNS0_17counting_iteratorIjlEEPS9_SE_NS0_5tupleIJPjSE_EEENSF_IJSE_SE_EEES9_SG_JZNS1_25segmented_radix_sort_implINS0_14default_configELb0EPKfPfPKlPlN2at6native12_GLOBAL__N_18offset_tEEE10hipError_tPvRmT1_PNSt15iterator_traitsISY_E10value_typeET2_T3_PNSZ_IS14_E10value_typeET4_jRbjT5_S1A_jjP12ihipStream_tbEUljE_EEESV_SW_SX_S14_S18_S1A_T6_T7_T9_mT8_S1C_bDpT10_ENKUlT_T0_E_clISt17integral_constantIbLb1EES1P_EEDaS1K_S1L_EUlS1K_E_NS1_11comp_targetILNS1_3genE4ELNS1_11target_archE910ELNS1_3gpuE8ELNS1_3repE0EEENS1_30default_config_static_selectorELNS0_4arch9wavefront6targetE0EEEvSY_
                                        ; -- End function
	.set _ZN7rocprim17ROCPRIM_400000_NS6detail17trampoline_kernelINS0_13select_configILj256ELj13ELNS0_17block_load_methodE3ELS4_3ELS4_3ELNS0_20block_scan_algorithmE0ELj4294967295EEENS1_25partition_config_selectorILNS1_17partition_subalgoE3EjNS0_10empty_typeEbEEZZNS1_14partition_implILS8_3ELb0ES6_jNS0_17counting_iteratorIjlEEPS9_SE_NS0_5tupleIJPjSE_EEENSF_IJSE_SE_EEES9_SG_JZNS1_25segmented_radix_sort_implINS0_14default_configELb0EPKfPfPKlPlN2at6native12_GLOBAL__N_18offset_tEEE10hipError_tPvRmT1_PNSt15iterator_traitsISY_E10value_typeET2_T3_PNSZ_IS14_E10value_typeET4_jRbjT5_S1A_jjP12ihipStream_tbEUljE_EEESV_SW_SX_S14_S18_S1A_T6_T7_T9_mT8_S1C_bDpT10_ENKUlT_T0_E_clISt17integral_constantIbLb1EES1P_EEDaS1K_S1L_EUlS1K_E_NS1_11comp_targetILNS1_3genE4ELNS1_11target_archE910ELNS1_3gpuE8ELNS1_3repE0EEENS1_30default_config_static_selectorELNS0_4arch9wavefront6targetE0EEEvSY_.num_vgpr, 0
	.set _ZN7rocprim17ROCPRIM_400000_NS6detail17trampoline_kernelINS0_13select_configILj256ELj13ELNS0_17block_load_methodE3ELS4_3ELS4_3ELNS0_20block_scan_algorithmE0ELj4294967295EEENS1_25partition_config_selectorILNS1_17partition_subalgoE3EjNS0_10empty_typeEbEEZZNS1_14partition_implILS8_3ELb0ES6_jNS0_17counting_iteratorIjlEEPS9_SE_NS0_5tupleIJPjSE_EEENSF_IJSE_SE_EEES9_SG_JZNS1_25segmented_radix_sort_implINS0_14default_configELb0EPKfPfPKlPlN2at6native12_GLOBAL__N_18offset_tEEE10hipError_tPvRmT1_PNSt15iterator_traitsISY_E10value_typeET2_T3_PNSZ_IS14_E10value_typeET4_jRbjT5_S1A_jjP12ihipStream_tbEUljE_EEESV_SW_SX_S14_S18_S1A_T6_T7_T9_mT8_S1C_bDpT10_ENKUlT_T0_E_clISt17integral_constantIbLb1EES1P_EEDaS1K_S1L_EUlS1K_E_NS1_11comp_targetILNS1_3genE4ELNS1_11target_archE910ELNS1_3gpuE8ELNS1_3repE0EEENS1_30default_config_static_selectorELNS0_4arch9wavefront6targetE0EEEvSY_.num_agpr, 0
	.set _ZN7rocprim17ROCPRIM_400000_NS6detail17trampoline_kernelINS0_13select_configILj256ELj13ELNS0_17block_load_methodE3ELS4_3ELS4_3ELNS0_20block_scan_algorithmE0ELj4294967295EEENS1_25partition_config_selectorILNS1_17partition_subalgoE3EjNS0_10empty_typeEbEEZZNS1_14partition_implILS8_3ELb0ES6_jNS0_17counting_iteratorIjlEEPS9_SE_NS0_5tupleIJPjSE_EEENSF_IJSE_SE_EEES9_SG_JZNS1_25segmented_radix_sort_implINS0_14default_configELb0EPKfPfPKlPlN2at6native12_GLOBAL__N_18offset_tEEE10hipError_tPvRmT1_PNSt15iterator_traitsISY_E10value_typeET2_T3_PNSZ_IS14_E10value_typeET4_jRbjT5_S1A_jjP12ihipStream_tbEUljE_EEESV_SW_SX_S14_S18_S1A_T6_T7_T9_mT8_S1C_bDpT10_ENKUlT_T0_E_clISt17integral_constantIbLb1EES1P_EEDaS1K_S1L_EUlS1K_E_NS1_11comp_targetILNS1_3genE4ELNS1_11target_archE910ELNS1_3gpuE8ELNS1_3repE0EEENS1_30default_config_static_selectorELNS0_4arch9wavefront6targetE0EEEvSY_.numbered_sgpr, 0
	.set _ZN7rocprim17ROCPRIM_400000_NS6detail17trampoline_kernelINS0_13select_configILj256ELj13ELNS0_17block_load_methodE3ELS4_3ELS4_3ELNS0_20block_scan_algorithmE0ELj4294967295EEENS1_25partition_config_selectorILNS1_17partition_subalgoE3EjNS0_10empty_typeEbEEZZNS1_14partition_implILS8_3ELb0ES6_jNS0_17counting_iteratorIjlEEPS9_SE_NS0_5tupleIJPjSE_EEENSF_IJSE_SE_EEES9_SG_JZNS1_25segmented_radix_sort_implINS0_14default_configELb0EPKfPfPKlPlN2at6native12_GLOBAL__N_18offset_tEEE10hipError_tPvRmT1_PNSt15iterator_traitsISY_E10value_typeET2_T3_PNSZ_IS14_E10value_typeET4_jRbjT5_S1A_jjP12ihipStream_tbEUljE_EEESV_SW_SX_S14_S18_S1A_T6_T7_T9_mT8_S1C_bDpT10_ENKUlT_T0_E_clISt17integral_constantIbLb1EES1P_EEDaS1K_S1L_EUlS1K_E_NS1_11comp_targetILNS1_3genE4ELNS1_11target_archE910ELNS1_3gpuE8ELNS1_3repE0EEENS1_30default_config_static_selectorELNS0_4arch9wavefront6targetE0EEEvSY_.num_named_barrier, 0
	.set _ZN7rocprim17ROCPRIM_400000_NS6detail17trampoline_kernelINS0_13select_configILj256ELj13ELNS0_17block_load_methodE3ELS4_3ELS4_3ELNS0_20block_scan_algorithmE0ELj4294967295EEENS1_25partition_config_selectorILNS1_17partition_subalgoE3EjNS0_10empty_typeEbEEZZNS1_14partition_implILS8_3ELb0ES6_jNS0_17counting_iteratorIjlEEPS9_SE_NS0_5tupleIJPjSE_EEENSF_IJSE_SE_EEES9_SG_JZNS1_25segmented_radix_sort_implINS0_14default_configELb0EPKfPfPKlPlN2at6native12_GLOBAL__N_18offset_tEEE10hipError_tPvRmT1_PNSt15iterator_traitsISY_E10value_typeET2_T3_PNSZ_IS14_E10value_typeET4_jRbjT5_S1A_jjP12ihipStream_tbEUljE_EEESV_SW_SX_S14_S18_S1A_T6_T7_T9_mT8_S1C_bDpT10_ENKUlT_T0_E_clISt17integral_constantIbLb1EES1P_EEDaS1K_S1L_EUlS1K_E_NS1_11comp_targetILNS1_3genE4ELNS1_11target_archE910ELNS1_3gpuE8ELNS1_3repE0EEENS1_30default_config_static_selectorELNS0_4arch9wavefront6targetE0EEEvSY_.private_seg_size, 0
	.set _ZN7rocprim17ROCPRIM_400000_NS6detail17trampoline_kernelINS0_13select_configILj256ELj13ELNS0_17block_load_methodE3ELS4_3ELS4_3ELNS0_20block_scan_algorithmE0ELj4294967295EEENS1_25partition_config_selectorILNS1_17partition_subalgoE3EjNS0_10empty_typeEbEEZZNS1_14partition_implILS8_3ELb0ES6_jNS0_17counting_iteratorIjlEEPS9_SE_NS0_5tupleIJPjSE_EEENSF_IJSE_SE_EEES9_SG_JZNS1_25segmented_radix_sort_implINS0_14default_configELb0EPKfPfPKlPlN2at6native12_GLOBAL__N_18offset_tEEE10hipError_tPvRmT1_PNSt15iterator_traitsISY_E10value_typeET2_T3_PNSZ_IS14_E10value_typeET4_jRbjT5_S1A_jjP12ihipStream_tbEUljE_EEESV_SW_SX_S14_S18_S1A_T6_T7_T9_mT8_S1C_bDpT10_ENKUlT_T0_E_clISt17integral_constantIbLb1EES1P_EEDaS1K_S1L_EUlS1K_E_NS1_11comp_targetILNS1_3genE4ELNS1_11target_archE910ELNS1_3gpuE8ELNS1_3repE0EEENS1_30default_config_static_selectorELNS0_4arch9wavefront6targetE0EEEvSY_.uses_vcc, 0
	.set _ZN7rocprim17ROCPRIM_400000_NS6detail17trampoline_kernelINS0_13select_configILj256ELj13ELNS0_17block_load_methodE3ELS4_3ELS4_3ELNS0_20block_scan_algorithmE0ELj4294967295EEENS1_25partition_config_selectorILNS1_17partition_subalgoE3EjNS0_10empty_typeEbEEZZNS1_14partition_implILS8_3ELb0ES6_jNS0_17counting_iteratorIjlEEPS9_SE_NS0_5tupleIJPjSE_EEENSF_IJSE_SE_EEES9_SG_JZNS1_25segmented_radix_sort_implINS0_14default_configELb0EPKfPfPKlPlN2at6native12_GLOBAL__N_18offset_tEEE10hipError_tPvRmT1_PNSt15iterator_traitsISY_E10value_typeET2_T3_PNSZ_IS14_E10value_typeET4_jRbjT5_S1A_jjP12ihipStream_tbEUljE_EEESV_SW_SX_S14_S18_S1A_T6_T7_T9_mT8_S1C_bDpT10_ENKUlT_T0_E_clISt17integral_constantIbLb1EES1P_EEDaS1K_S1L_EUlS1K_E_NS1_11comp_targetILNS1_3genE4ELNS1_11target_archE910ELNS1_3gpuE8ELNS1_3repE0EEENS1_30default_config_static_selectorELNS0_4arch9wavefront6targetE0EEEvSY_.uses_flat_scratch, 0
	.set _ZN7rocprim17ROCPRIM_400000_NS6detail17trampoline_kernelINS0_13select_configILj256ELj13ELNS0_17block_load_methodE3ELS4_3ELS4_3ELNS0_20block_scan_algorithmE0ELj4294967295EEENS1_25partition_config_selectorILNS1_17partition_subalgoE3EjNS0_10empty_typeEbEEZZNS1_14partition_implILS8_3ELb0ES6_jNS0_17counting_iteratorIjlEEPS9_SE_NS0_5tupleIJPjSE_EEENSF_IJSE_SE_EEES9_SG_JZNS1_25segmented_radix_sort_implINS0_14default_configELb0EPKfPfPKlPlN2at6native12_GLOBAL__N_18offset_tEEE10hipError_tPvRmT1_PNSt15iterator_traitsISY_E10value_typeET2_T3_PNSZ_IS14_E10value_typeET4_jRbjT5_S1A_jjP12ihipStream_tbEUljE_EEESV_SW_SX_S14_S18_S1A_T6_T7_T9_mT8_S1C_bDpT10_ENKUlT_T0_E_clISt17integral_constantIbLb1EES1P_EEDaS1K_S1L_EUlS1K_E_NS1_11comp_targetILNS1_3genE4ELNS1_11target_archE910ELNS1_3gpuE8ELNS1_3repE0EEENS1_30default_config_static_selectorELNS0_4arch9wavefront6targetE0EEEvSY_.has_dyn_sized_stack, 0
	.set _ZN7rocprim17ROCPRIM_400000_NS6detail17trampoline_kernelINS0_13select_configILj256ELj13ELNS0_17block_load_methodE3ELS4_3ELS4_3ELNS0_20block_scan_algorithmE0ELj4294967295EEENS1_25partition_config_selectorILNS1_17partition_subalgoE3EjNS0_10empty_typeEbEEZZNS1_14partition_implILS8_3ELb0ES6_jNS0_17counting_iteratorIjlEEPS9_SE_NS0_5tupleIJPjSE_EEENSF_IJSE_SE_EEES9_SG_JZNS1_25segmented_radix_sort_implINS0_14default_configELb0EPKfPfPKlPlN2at6native12_GLOBAL__N_18offset_tEEE10hipError_tPvRmT1_PNSt15iterator_traitsISY_E10value_typeET2_T3_PNSZ_IS14_E10value_typeET4_jRbjT5_S1A_jjP12ihipStream_tbEUljE_EEESV_SW_SX_S14_S18_S1A_T6_T7_T9_mT8_S1C_bDpT10_ENKUlT_T0_E_clISt17integral_constantIbLb1EES1P_EEDaS1K_S1L_EUlS1K_E_NS1_11comp_targetILNS1_3genE4ELNS1_11target_archE910ELNS1_3gpuE8ELNS1_3repE0EEENS1_30default_config_static_selectorELNS0_4arch9wavefront6targetE0EEEvSY_.has_recursion, 0
	.set _ZN7rocprim17ROCPRIM_400000_NS6detail17trampoline_kernelINS0_13select_configILj256ELj13ELNS0_17block_load_methodE3ELS4_3ELS4_3ELNS0_20block_scan_algorithmE0ELj4294967295EEENS1_25partition_config_selectorILNS1_17partition_subalgoE3EjNS0_10empty_typeEbEEZZNS1_14partition_implILS8_3ELb0ES6_jNS0_17counting_iteratorIjlEEPS9_SE_NS0_5tupleIJPjSE_EEENSF_IJSE_SE_EEES9_SG_JZNS1_25segmented_radix_sort_implINS0_14default_configELb0EPKfPfPKlPlN2at6native12_GLOBAL__N_18offset_tEEE10hipError_tPvRmT1_PNSt15iterator_traitsISY_E10value_typeET2_T3_PNSZ_IS14_E10value_typeET4_jRbjT5_S1A_jjP12ihipStream_tbEUljE_EEESV_SW_SX_S14_S18_S1A_T6_T7_T9_mT8_S1C_bDpT10_ENKUlT_T0_E_clISt17integral_constantIbLb1EES1P_EEDaS1K_S1L_EUlS1K_E_NS1_11comp_targetILNS1_3genE4ELNS1_11target_archE910ELNS1_3gpuE8ELNS1_3repE0EEENS1_30default_config_static_selectorELNS0_4arch9wavefront6targetE0EEEvSY_.has_indirect_call, 0
	.section	.AMDGPU.csdata,"",@progbits
; Kernel info:
; codeLenInByte = 0
; TotalNumSgprs: 0
; NumVgprs: 0
; ScratchSize: 0
; MemoryBound: 0
; FloatMode: 240
; IeeeMode: 1
; LDSByteSize: 0 bytes/workgroup (compile time only)
; SGPRBlocks: 0
; VGPRBlocks: 0
; NumSGPRsForWavesPerEU: 1
; NumVGPRsForWavesPerEU: 1
; Occupancy: 16
; WaveLimiterHint : 0
; COMPUTE_PGM_RSRC2:SCRATCH_EN: 0
; COMPUTE_PGM_RSRC2:USER_SGPR: 2
; COMPUTE_PGM_RSRC2:TRAP_HANDLER: 0
; COMPUTE_PGM_RSRC2:TGID_X_EN: 1
; COMPUTE_PGM_RSRC2:TGID_Y_EN: 0
; COMPUTE_PGM_RSRC2:TGID_Z_EN: 0
; COMPUTE_PGM_RSRC2:TIDIG_COMP_CNT: 0
	.section	.text._ZN7rocprim17ROCPRIM_400000_NS6detail17trampoline_kernelINS0_13select_configILj256ELj13ELNS0_17block_load_methodE3ELS4_3ELS4_3ELNS0_20block_scan_algorithmE0ELj4294967295EEENS1_25partition_config_selectorILNS1_17partition_subalgoE3EjNS0_10empty_typeEbEEZZNS1_14partition_implILS8_3ELb0ES6_jNS0_17counting_iteratorIjlEEPS9_SE_NS0_5tupleIJPjSE_EEENSF_IJSE_SE_EEES9_SG_JZNS1_25segmented_radix_sort_implINS0_14default_configELb0EPKfPfPKlPlN2at6native12_GLOBAL__N_18offset_tEEE10hipError_tPvRmT1_PNSt15iterator_traitsISY_E10value_typeET2_T3_PNSZ_IS14_E10value_typeET4_jRbjT5_S1A_jjP12ihipStream_tbEUljE_EEESV_SW_SX_S14_S18_S1A_T6_T7_T9_mT8_S1C_bDpT10_ENKUlT_T0_E_clISt17integral_constantIbLb1EES1P_EEDaS1K_S1L_EUlS1K_E_NS1_11comp_targetILNS1_3genE3ELNS1_11target_archE908ELNS1_3gpuE7ELNS1_3repE0EEENS1_30default_config_static_selectorELNS0_4arch9wavefront6targetE0EEEvSY_,"axG",@progbits,_ZN7rocprim17ROCPRIM_400000_NS6detail17trampoline_kernelINS0_13select_configILj256ELj13ELNS0_17block_load_methodE3ELS4_3ELS4_3ELNS0_20block_scan_algorithmE0ELj4294967295EEENS1_25partition_config_selectorILNS1_17partition_subalgoE3EjNS0_10empty_typeEbEEZZNS1_14partition_implILS8_3ELb0ES6_jNS0_17counting_iteratorIjlEEPS9_SE_NS0_5tupleIJPjSE_EEENSF_IJSE_SE_EEES9_SG_JZNS1_25segmented_radix_sort_implINS0_14default_configELb0EPKfPfPKlPlN2at6native12_GLOBAL__N_18offset_tEEE10hipError_tPvRmT1_PNSt15iterator_traitsISY_E10value_typeET2_T3_PNSZ_IS14_E10value_typeET4_jRbjT5_S1A_jjP12ihipStream_tbEUljE_EEESV_SW_SX_S14_S18_S1A_T6_T7_T9_mT8_S1C_bDpT10_ENKUlT_T0_E_clISt17integral_constantIbLb1EES1P_EEDaS1K_S1L_EUlS1K_E_NS1_11comp_targetILNS1_3genE3ELNS1_11target_archE908ELNS1_3gpuE7ELNS1_3repE0EEENS1_30default_config_static_selectorELNS0_4arch9wavefront6targetE0EEEvSY_,comdat
	.globl	_ZN7rocprim17ROCPRIM_400000_NS6detail17trampoline_kernelINS0_13select_configILj256ELj13ELNS0_17block_load_methodE3ELS4_3ELS4_3ELNS0_20block_scan_algorithmE0ELj4294967295EEENS1_25partition_config_selectorILNS1_17partition_subalgoE3EjNS0_10empty_typeEbEEZZNS1_14partition_implILS8_3ELb0ES6_jNS0_17counting_iteratorIjlEEPS9_SE_NS0_5tupleIJPjSE_EEENSF_IJSE_SE_EEES9_SG_JZNS1_25segmented_radix_sort_implINS0_14default_configELb0EPKfPfPKlPlN2at6native12_GLOBAL__N_18offset_tEEE10hipError_tPvRmT1_PNSt15iterator_traitsISY_E10value_typeET2_T3_PNSZ_IS14_E10value_typeET4_jRbjT5_S1A_jjP12ihipStream_tbEUljE_EEESV_SW_SX_S14_S18_S1A_T6_T7_T9_mT8_S1C_bDpT10_ENKUlT_T0_E_clISt17integral_constantIbLb1EES1P_EEDaS1K_S1L_EUlS1K_E_NS1_11comp_targetILNS1_3genE3ELNS1_11target_archE908ELNS1_3gpuE7ELNS1_3repE0EEENS1_30default_config_static_selectorELNS0_4arch9wavefront6targetE0EEEvSY_ ; -- Begin function _ZN7rocprim17ROCPRIM_400000_NS6detail17trampoline_kernelINS0_13select_configILj256ELj13ELNS0_17block_load_methodE3ELS4_3ELS4_3ELNS0_20block_scan_algorithmE0ELj4294967295EEENS1_25partition_config_selectorILNS1_17partition_subalgoE3EjNS0_10empty_typeEbEEZZNS1_14partition_implILS8_3ELb0ES6_jNS0_17counting_iteratorIjlEEPS9_SE_NS0_5tupleIJPjSE_EEENSF_IJSE_SE_EEES9_SG_JZNS1_25segmented_radix_sort_implINS0_14default_configELb0EPKfPfPKlPlN2at6native12_GLOBAL__N_18offset_tEEE10hipError_tPvRmT1_PNSt15iterator_traitsISY_E10value_typeET2_T3_PNSZ_IS14_E10value_typeET4_jRbjT5_S1A_jjP12ihipStream_tbEUljE_EEESV_SW_SX_S14_S18_S1A_T6_T7_T9_mT8_S1C_bDpT10_ENKUlT_T0_E_clISt17integral_constantIbLb1EES1P_EEDaS1K_S1L_EUlS1K_E_NS1_11comp_targetILNS1_3genE3ELNS1_11target_archE908ELNS1_3gpuE7ELNS1_3repE0EEENS1_30default_config_static_selectorELNS0_4arch9wavefront6targetE0EEEvSY_
	.p2align	8
	.type	_ZN7rocprim17ROCPRIM_400000_NS6detail17trampoline_kernelINS0_13select_configILj256ELj13ELNS0_17block_load_methodE3ELS4_3ELS4_3ELNS0_20block_scan_algorithmE0ELj4294967295EEENS1_25partition_config_selectorILNS1_17partition_subalgoE3EjNS0_10empty_typeEbEEZZNS1_14partition_implILS8_3ELb0ES6_jNS0_17counting_iteratorIjlEEPS9_SE_NS0_5tupleIJPjSE_EEENSF_IJSE_SE_EEES9_SG_JZNS1_25segmented_radix_sort_implINS0_14default_configELb0EPKfPfPKlPlN2at6native12_GLOBAL__N_18offset_tEEE10hipError_tPvRmT1_PNSt15iterator_traitsISY_E10value_typeET2_T3_PNSZ_IS14_E10value_typeET4_jRbjT5_S1A_jjP12ihipStream_tbEUljE_EEESV_SW_SX_S14_S18_S1A_T6_T7_T9_mT8_S1C_bDpT10_ENKUlT_T0_E_clISt17integral_constantIbLb1EES1P_EEDaS1K_S1L_EUlS1K_E_NS1_11comp_targetILNS1_3genE3ELNS1_11target_archE908ELNS1_3gpuE7ELNS1_3repE0EEENS1_30default_config_static_selectorELNS0_4arch9wavefront6targetE0EEEvSY_,@function
_ZN7rocprim17ROCPRIM_400000_NS6detail17trampoline_kernelINS0_13select_configILj256ELj13ELNS0_17block_load_methodE3ELS4_3ELS4_3ELNS0_20block_scan_algorithmE0ELj4294967295EEENS1_25partition_config_selectorILNS1_17partition_subalgoE3EjNS0_10empty_typeEbEEZZNS1_14partition_implILS8_3ELb0ES6_jNS0_17counting_iteratorIjlEEPS9_SE_NS0_5tupleIJPjSE_EEENSF_IJSE_SE_EEES9_SG_JZNS1_25segmented_radix_sort_implINS0_14default_configELb0EPKfPfPKlPlN2at6native12_GLOBAL__N_18offset_tEEE10hipError_tPvRmT1_PNSt15iterator_traitsISY_E10value_typeET2_T3_PNSZ_IS14_E10value_typeET4_jRbjT5_S1A_jjP12ihipStream_tbEUljE_EEESV_SW_SX_S14_S18_S1A_T6_T7_T9_mT8_S1C_bDpT10_ENKUlT_T0_E_clISt17integral_constantIbLb1EES1P_EEDaS1K_S1L_EUlS1K_E_NS1_11comp_targetILNS1_3genE3ELNS1_11target_archE908ELNS1_3gpuE7ELNS1_3repE0EEENS1_30default_config_static_selectorELNS0_4arch9wavefront6targetE0EEEvSY_: ; @_ZN7rocprim17ROCPRIM_400000_NS6detail17trampoline_kernelINS0_13select_configILj256ELj13ELNS0_17block_load_methodE3ELS4_3ELS4_3ELNS0_20block_scan_algorithmE0ELj4294967295EEENS1_25partition_config_selectorILNS1_17partition_subalgoE3EjNS0_10empty_typeEbEEZZNS1_14partition_implILS8_3ELb0ES6_jNS0_17counting_iteratorIjlEEPS9_SE_NS0_5tupleIJPjSE_EEENSF_IJSE_SE_EEES9_SG_JZNS1_25segmented_radix_sort_implINS0_14default_configELb0EPKfPfPKlPlN2at6native12_GLOBAL__N_18offset_tEEE10hipError_tPvRmT1_PNSt15iterator_traitsISY_E10value_typeET2_T3_PNSZ_IS14_E10value_typeET4_jRbjT5_S1A_jjP12ihipStream_tbEUljE_EEESV_SW_SX_S14_S18_S1A_T6_T7_T9_mT8_S1C_bDpT10_ENKUlT_T0_E_clISt17integral_constantIbLb1EES1P_EEDaS1K_S1L_EUlS1K_E_NS1_11comp_targetILNS1_3genE3ELNS1_11target_archE908ELNS1_3gpuE7ELNS1_3repE0EEENS1_30default_config_static_selectorELNS0_4arch9wavefront6targetE0EEEvSY_
; %bb.0:
	.section	.rodata,"a",@progbits
	.p2align	6, 0x0
	.amdhsa_kernel _ZN7rocprim17ROCPRIM_400000_NS6detail17trampoline_kernelINS0_13select_configILj256ELj13ELNS0_17block_load_methodE3ELS4_3ELS4_3ELNS0_20block_scan_algorithmE0ELj4294967295EEENS1_25partition_config_selectorILNS1_17partition_subalgoE3EjNS0_10empty_typeEbEEZZNS1_14partition_implILS8_3ELb0ES6_jNS0_17counting_iteratorIjlEEPS9_SE_NS0_5tupleIJPjSE_EEENSF_IJSE_SE_EEES9_SG_JZNS1_25segmented_radix_sort_implINS0_14default_configELb0EPKfPfPKlPlN2at6native12_GLOBAL__N_18offset_tEEE10hipError_tPvRmT1_PNSt15iterator_traitsISY_E10value_typeET2_T3_PNSZ_IS14_E10value_typeET4_jRbjT5_S1A_jjP12ihipStream_tbEUljE_EEESV_SW_SX_S14_S18_S1A_T6_T7_T9_mT8_S1C_bDpT10_ENKUlT_T0_E_clISt17integral_constantIbLb1EES1P_EEDaS1K_S1L_EUlS1K_E_NS1_11comp_targetILNS1_3genE3ELNS1_11target_archE908ELNS1_3gpuE7ELNS1_3repE0EEENS1_30default_config_static_selectorELNS0_4arch9wavefront6targetE0EEEvSY_
		.amdhsa_group_segment_fixed_size 0
		.amdhsa_private_segment_fixed_size 0
		.amdhsa_kernarg_size 152
		.amdhsa_user_sgpr_count 2
		.amdhsa_user_sgpr_dispatch_ptr 0
		.amdhsa_user_sgpr_queue_ptr 0
		.amdhsa_user_sgpr_kernarg_segment_ptr 1
		.amdhsa_user_sgpr_dispatch_id 0
		.amdhsa_user_sgpr_private_segment_size 0
		.amdhsa_wavefront_size32 1
		.amdhsa_uses_dynamic_stack 0
		.amdhsa_enable_private_segment 0
		.amdhsa_system_sgpr_workgroup_id_x 1
		.amdhsa_system_sgpr_workgroup_id_y 0
		.amdhsa_system_sgpr_workgroup_id_z 0
		.amdhsa_system_sgpr_workgroup_info 0
		.amdhsa_system_vgpr_workitem_id 0
		.amdhsa_next_free_vgpr 1
		.amdhsa_next_free_sgpr 1
		.amdhsa_reserve_vcc 0
		.amdhsa_float_round_mode_32 0
		.amdhsa_float_round_mode_16_64 0
		.amdhsa_float_denorm_mode_32 3
		.amdhsa_float_denorm_mode_16_64 3
		.amdhsa_fp16_overflow 0
		.amdhsa_workgroup_processor_mode 1
		.amdhsa_memory_ordered 1
		.amdhsa_forward_progress 1
		.amdhsa_inst_pref_size 0
		.amdhsa_round_robin_scheduling 0
		.amdhsa_exception_fp_ieee_invalid_op 0
		.amdhsa_exception_fp_denorm_src 0
		.amdhsa_exception_fp_ieee_div_zero 0
		.amdhsa_exception_fp_ieee_overflow 0
		.amdhsa_exception_fp_ieee_underflow 0
		.amdhsa_exception_fp_ieee_inexact 0
		.amdhsa_exception_int_div_zero 0
	.end_amdhsa_kernel
	.section	.text._ZN7rocprim17ROCPRIM_400000_NS6detail17trampoline_kernelINS0_13select_configILj256ELj13ELNS0_17block_load_methodE3ELS4_3ELS4_3ELNS0_20block_scan_algorithmE0ELj4294967295EEENS1_25partition_config_selectorILNS1_17partition_subalgoE3EjNS0_10empty_typeEbEEZZNS1_14partition_implILS8_3ELb0ES6_jNS0_17counting_iteratorIjlEEPS9_SE_NS0_5tupleIJPjSE_EEENSF_IJSE_SE_EEES9_SG_JZNS1_25segmented_radix_sort_implINS0_14default_configELb0EPKfPfPKlPlN2at6native12_GLOBAL__N_18offset_tEEE10hipError_tPvRmT1_PNSt15iterator_traitsISY_E10value_typeET2_T3_PNSZ_IS14_E10value_typeET4_jRbjT5_S1A_jjP12ihipStream_tbEUljE_EEESV_SW_SX_S14_S18_S1A_T6_T7_T9_mT8_S1C_bDpT10_ENKUlT_T0_E_clISt17integral_constantIbLb1EES1P_EEDaS1K_S1L_EUlS1K_E_NS1_11comp_targetILNS1_3genE3ELNS1_11target_archE908ELNS1_3gpuE7ELNS1_3repE0EEENS1_30default_config_static_selectorELNS0_4arch9wavefront6targetE0EEEvSY_,"axG",@progbits,_ZN7rocprim17ROCPRIM_400000_NS6detail17trampoline_kernelINS0_13select_configILj256ELj13ELNS0_17block_load_methodE3ELS4_3ELS4_3ELNS0_20block_scan_algorithmE0ELj4294967295EEENS1_25partition_config_selectorILNS1_17partition_subalgoE3EjNS0_10empty_typeEbEEZZNS1_14partition_implILS8_3ELb0ES6_jNS0_17counting_iteratorIjlEEPS9_SE_NS0_5tupleIJPjSE_EEENSF_IJSE_SE_EEES9_SG_JZNS1_25segmented_radix_sort_implINS0_14default_configELb0EPKfPfPKlPlN2at6native12_GLOBAL__N_18offset_tEEE10hipError_tPvRmT1_PNSt15iterator_traitsISY_E10value_typeET2_T3_PNSZ_IS14_E10value_typeET4_jRbjT5_S1A_jjP12ihipStream_tbEUljE_EEESV_SW_SX_S14_S18_S1A_T6_T7_T9_mT8_S1C_bDpT10_ENKUlT_T0_E_clISt17integral_constantIbLb1EES1P_EEDaS1K_S1L_EUlS1K_E_NS1_11comp_targetILNS1_3genE3ELNS1_11target_archE908ELNS1_3gpuE7ELNS1_3repE0EEENS1_30default_config_static_selectorELNS0_4arch9wavefront6targetE0EEEvSY_,comdat
.Lfunc_end1407:
	.size	_ZN7rocprim17ROCPRIM_400000_NS6detail17trampoline_kernelINS0_13select_configILj256ELj13ELNS0_17block_load_methodE3ELS4_3ELS4_3ELNS0_20block_scan_algorithmE0ELj4294967295EEENS1_25partition_config_selectorILNS1_17partition_subalgoE3EjNS0_10empty_typeEbEEZZNS1_14partition_implILS8_3ELb0ES6_jNS0_17counting_iteratorIjlEEPS9_SE_NS0_5tupleIJPjSE_EEENSF_IJSE_SE_EEES9_SG_JZNS1_25segmented_radix_sort_implINS0_14default_configELb0EPKfPfPKlPlN2at6native12_GLOBAL__N_18offset_tEEE10hipError_tPvRmT1_PNSt15iterator_traitsISY_E10value_typeET2_T3_PNSZ_IS14_E10value_typeET4_jRbjT5_S1A_jjP12ihipStream_tbEUljE_EEESV_SW_SX_S14_S18_S1A_T6_T7_T9_mT8_S1C_bDpT10_ENKUlT_T0_E_clISt17integral_constantIbLb1EES1P_EEDaS1K_S1L_EUlS1K_E_NS1_11comp_targetILNS1_3genE3ELNS1_11target_archE908ELNS1_3gpuE7ELNS1_3repE0EEENS1_30default_config_static_selectorELNS0_4arch9wavefront6targetE0EEEvSY_, .Lfunc_end1407-_ZN7rocprim17ROCPRIM_400000_NS6detail17trampoline_kernelINS0_13select_configILj256ELj13ELNS0_17block_load_methodE3ELS4_3ELS4_3ELNS0_20block_scan_algorithmE0ELj4294967295EEENS1_25partition_config_selectorILNS1_17partition_subalgoE3EjNS0_10empty_typeEbEEZZNS1_14partition_implILS8_3ELb0ES6_jNS0_17counting_iteratorIjlEEPS9_SE_NS0_5tupleIJPjSE_EEENSF_IJSE_SE_EEES9_SG_JZNS1_25segmented_radix_sort_implINS0_14default_configELb0EPKfPfPKlPlN2at6native12_GLOBAL__N_18offset_tEEE10hipError_tPvRmT1_PNSt15iterator_traitsISY_E10value_typeET2_T3_PNSZ_IS14_E10value_typeET4_jRbjT5_S1A_jjP12ihipStream_tbEUljE_EEESV_SW_SX_S14_S18_S1A_T6_T7_T9_mT8_S1C_bDpT10_ENKUlT_T0_E_clISt17integral_constantIbLb1EES1P_EEDaS1K_S1L_EUlS1K_E_NS1_11comp_targetILNS1_3genE3ELNS1_11target_archE908ELNS1_3gpuE7ELNS1_3repE0EEENS1_30default_config_static_selectorELNS0_4arch9wavefront6targetE0EEEvSY_
                                        ; -- End function
	.set _ZN7rocprim17ROCPRIM_400000_NS6detail17trampoline_kernelINS0_13select_configILj256ELj13ELNS0_17block_load_methodE3ELS4_3ELS4_3ELNS0_20block_scan_algorithmE0ELj4294967295EEENS1_25partition_config_selectorILNS1_17partition_subalgoE3EjNS0_10empty_typeEbEEZZNS1_14partition_implILS8_3ELb0ES6_jNS0_17counting_iteratorIjlEEPS9_SE_NS0_5tupleIJPjSE_EEENSF_IJSE_SE_EEES9_SG_JZNS1_25segmented_radix_sort_implINS0_14default_configELb0EPKfPfPKlPlN2at6native12_GLOBAL__N_18offset_tEEE10hipError_tPvRmT1_PNSt15iterator_traitsISY_E10value_typeET2_T3_PNSZ_IS14_E10value_typeET4_jRbjT5_S1A_jjP12ihipStream_tbEUljE_EEESV_SW_SX_S14_S18_S1A_T6_T7_T9_mT8_S1C_bDpT10_ENKUlT_T0_E_clISt17integral_constantIbLb1EES1P_EEDaS1K_S1L_EUlS1K_E_NS1_11comp_targetILNS1_3genE3ELNS1_11target_archE908ELNS1_3gpuE7ELNS1_3repE0EEENS1_30default_config_static_selectorELNS0_4arch9wavefront6targetE0EEEvSY_.num_vgpr, 0
	.set _ZN7rocprim17ROCPRIM_400000_NS6detail17trampoline_kernelINS0_13select_configILj256ELj13ELNS0_17block_load_methodE3ELS4_3ELS4_3ELNS0_20block_scan_algorithmE0ELj4294967295EEENS1_25partition_config_selectorILNS1_17partition_subalgoE3EjNS0_10empty_typeEbEEZZNS1_14partition_implILS8_3ELb0ES6_jNS0_17counting_iteratorIjlEEPS9_SE_NS0_5tupleIJPjSE_EEENSF_IJSE_SE_EEES9_SG_JZNS1_25segmented_radix_sort_implINS0_14default_configELb0EPKfPfPKlPlN2at6native12_GLOBAL__N_18offset_tEEE10hipError_tPvRmT1_PNSt15iterator_traitsISY_E10value_typeET2_T3_PNSZ_IS14_E10value_typeET4_jRbjT5_S1A_jjP12ihipStream_tbEUljE_EEESV_SW_SX_S14_S18_S1A_T6_T7_T9_mT8_S1C_bDpT10_ENKUlT_T0_E_clISt17integral_constantIbLb1EES1P_EEDaS1K_S1L_EUlS1K_E_NS1_11comp_targetILNS1_3genE3ELNS1_11target_archE908ELNS1_3gpuE7ELNS1_3repE0EEENS1_30default_config_static_selectorELNS0_4arch9wavefront6targetE0EEEvSY_.num_agpr, 0
	.set _ZN7rocprim17ROCPRIM_400000_NS6detail17trampoline_kernelINS0_13select_configILj256ELj13ELNS0_17block_load_methodE3ELS4_3ELS4_3ELNS0_20block_scan_algorithmE0ELj4294967295EEENS1_25partition_config_selectorILNS1_17partition_subalgoE3EjNS0_10empty_typeEbEEZZNS1_14partition_implILS8_3ELb0ES6_jNS0_17counting_iteratorIjlEEPS9_SE_NS0_5tupleIJPjSE_EEENSF_IJSE_SE_EEES9_SG_JZNS1_25segmented_radix_sort_implINS0_14default_configELb0EPKfPfPKlPlN2at6native12_GLOBAL__N_18offset_tEEE10hipError_tPvRmT1_PNSt15iterator_traitsISY_E10value_typeET2_T3_PNSZ_IS14_E10value_typeET4_jRbjT5_S1A_jjP12ihipStream_tbEUljE_EEESV_SW_SX_S14_S18_S1A_T6_T7_T9_mT8_S1C_bDpT10_ENKUlT_T0_E_clISt17integral_constantIbLb1EES1P_EEDaS1K_S1L_EUlS1K_E_NS1_11comp_targetILNS1_3genE3ELNS1_11target_archE908ELNS1_3gpuE7ELNS1_3repE0EEENS1_30default_config_static_selectorELNS0_4arch9wavefront6targetE0EEEvSY_.numbered_sgpr, 0
	.set _ZN7rocprim17ROCPRIM_400000_NS6detail17trampoline_kernelINS0_13select_configILj256ELj13ELNS0_17block_load_methodE3ELS4_3ELS4_3ELNS0_20block_scan_algorithmE0ELj4294967295EEENS1_25partition_config_selectorILNS1_17partition_subalgoE3EjNS0_10empty_typeEbEEZZNS1_14partition_implILS8_3ELb0ES6_jNS0_17counting_iteratorIjlEEPS9_SE_NS0_5tupleIJPjSE_EEENSF_IJSE_SE_EEES9_SG_JZNS1_25segmented_radix_sort_implINS0_14default_configELb0EPKfPfPKlPlN2at6native12_GLOBAL__N_18offset_tEEE10hipError_tPvRmT1_PNSt15iterator_traitsISY_E10value_typeET2_T3_PNSZ_IS14_E10value_typeET4_jRbjT5_S1A_jjP12ihipStream_tbEUljE_EEESV_SW_SX_S14_S18_S1A_T6_T7_T9_mT8_S1C_bDpT10_ENKUlT_T0_E_clISt17integral_constantIbLb1EES1P_EEDaS1K_S1L_EUlS1K_E_NS1_11comp_targetILNS1_3genE3ELNS1_11target_archE908ELNS1_3gpuE7ELNS1_3repE0EEENS1_30default_config_static_selectorELNS0_4arch9wavefront6targetE0EEEvSY_.num_named_barrier, 0
	.set _ZN7rocprim17ROCPRIM_400000_NS6detail17trampoline_kernelINS0_13select_configILj256ELj13ELNS0_17block_load_methodE3ELS4_3ELS4_3ELNS0_20block_scan_algorithmE0ELj4294967295EEENS1_25partition_config_selectorILNS1_17partition_subalgoE3EjNS0_10empty_typeEbEEZZNS1_14partition_implILS8_3ELb0ES6_jNS0_17counting_iteratorIjlEEPS9_SE_NS0_5tupleIJPjSE_EEENSF_IJSE_SE_EEES9_SG_JZNS1_25segmented_radix_sort_implINS0_14default_configELb0EPKfPfPKlPlN2at6native12_GLOBAL__N_18offset_tEEE10hipError_tPvRmT1_PNSt15iterator_traitsISY_E10value_typeET2_T3_PNSZ_IS14_E10value_typeET4_jRbjT5_S1A_jjP12ihipStream_tbEUljE_EEESV_SW_SX_S14_S18_S1A_T6_T7_T9_mT8_S1C_bDpT10_ENKUlT_T0_E_clISt17integral_constantIbLb1EES1P_EEDaS1K_S1L_EUlS1K_E_NS1_11comp_targetILNS1_3genE3ELNS1_11target_archE908ELNS1_3gpuE7ELNS1_3repE0EEENS1_30default_config_static_selectorELNS0_4arch9wavefront6targetE0EEEvSY_.private_seg_size, 0
	.set _ZN7rocprim17ROCPRIM_400000_NS6detail17trampoline_kernelINS0_13select_configILj256ELj13ELNS0_17block_load_methodE3ELS4_3ELS4_3ELNS0_20block_scan_algorithmE0ELj4294967295EEENS1_25partition_config_selectorILNS1_17partition_subalgoE3EjNS0_10empty_typeEbEEZZNS1_14partition_implILS8_3ELb0ES6_jNS0_17counting_iteratorIjlEEPS9_SE_NS0_5tupleIJPjSE_EEENSF_IJSE_SE_EEES9_SG_JZNS1_25segmented_radix_sort_implINS0_14default_configELb0EPKfPfPKlPlN2at6native12_GLOBAL__N_18offset_tEEE10hipError_tPvRmT1_PNSt15iterator_traitsISY_E10value_typeET2_T3_PNSZ_IS14_E10value_typeET4_jRbjT5_S1A_jjP12ihipStream_tbEUljE_EEESV_SW_SX_S14_S18_S1A_T6_T7_T9_mT8_S1C_bDpT10_ENKUlT_T0_E_clISt17integral_constantIbLb1EES1P_EEDaS1K_S1L_EUlS1K_E_NS1_11comp_targetILNS1_3genE3ELNS1_11target_archE908ELNS1_3gpuE7ELNS1_3repE0EEENS1_30default_config_static_selectorELNS0_4arch9wavefront6targetE0EEEvSY_.uses_vcc, 0
	.set _ZN7rocprim17ROCPRIM_400000_NS6detail17trampoline_kernelINS0_13select_configILj256ELj13ELNS0_17block_load_methodE3ELS4_3ELS4_3ELNS0_20block_scan_algorithmE0ELj4294967295EEENS1_25partition_config_selectorILNS1_17partition_subalgoE3EjNS0_10empty_typeEbEEZZNS1_14partition_implILS8_3ELb0ES6_jNS0_17counting_iteratorIjlEEPS9_SE_NS0_5tupleIJPjSE_EEENSF_IJSE_SE_EEES9_SG_JZNS1_25segmented_radix_sort_implINS0_14default_configELb0EPKfPfPKlPlN2at6native12_GLOBAL__N_18offset_tEEE10hipError_tPvRmT1_PNSt15iterator_traitsISY_E10value_typeET2_T3_PNSZ_IS14_E10value_typeET4_jRbjT5_S1A_jjP12ihipStream_tbEUljE_EEESV_SW_SX_S14_S18_S1A_T6_T7_T9_mT8_S1C_bDpT10_ENKUlT_T0_E_clISt17integral_constantIbLb1EES1P_EEDaS1K_S1L_EUlS1K_E_NS1_11comp_targetILNS1_3genE3ELNS1_11target_archE908ELNS1_3gpuE7ELNS1_3repE0EEENS1_30default_config_static_selectorELNS0_4arch9wavefront6targetE0EEEvSY_.uses_flat_scratch, 0
	.set _ZN7rocprim17ROCPRIM_400000_NS6detail17trampoline_kernelINS0_13select_configILj256ELj13ELNS0_17block_load_methodE3ELS4_3ELS4_3ELNS0_20block_scan_algorithmE0ELj4294967295EEENS1_25partition_config_selectorILNS1_17partition_subalgoE3EjNS0_10empty_typeEbEEZZNS1_14partition_implILS8_3ELb0ES6_jNS0_17counting_iteratorIjlEEPS9_SE_NS0_5tupleIJPjSE_EEENSF_IJSE_SE_EEES9_SG_JZNS1_25segmented_radix_sort_implINS0_14default_configELb0EPKfPfPKlPlN2at6native12_GLOBAL__N_18offset_tEEE10hipError_tPvRmT1_PNSt15iterator_traitsISY_E10value_typeET2_T3_PNSZ_IS14_E10value_typeET4_jRbjT5_S1A_jjP12ihipStream_tbEUljE_EEESV_SW_SX_S14_S18_S1A_T6_T7_T9_mT8_S1C_bDpT10_ENKUlT_T0_E_clISt17integral_constantIbLb1EES1P_EEDaS1K_S1L_EUlS1K_E_NS1_11comp_targetILNS1_3genE3ELNS1_11target_archE908ELNS1_3gpuE7ELNS1_3repE0EEENS1_30default_config_static_selectorELNS0_4arch9wavefront6targetE0EEEvSY_.has_dyn_sized_stack, 0
	.set _ZN7rocprim17ROCPRIM_400000_NS6detail17trampoline_kernelINS0_13select_configILj256ELj13ELNS0_17block_load_methodE3ELS4_3ELS4_3ELNS0_20block_scan_algorithmE0ELj4294967295EEENS1_25partition_config_selectorILNS1_17partition_subalgoE3EjNS0_10empty_typeEbEEZZNS1_14partition_implILS8_3ELb0ES6_jNS0_17counting_iteratorIjlEEPS9_SE_NS0_5tupleIJPjSE_EEENSF_IJSE_SE_EEES9_SG_JZNS1_25segmented_radix_sort_implINS0_14default_configELb0EPKfPfPKlPlN2at6native12_GLOBAL__N_18offset_tEEE10hipError_tPvRmT1_PNSt15iterator_traitsISY_E10value_typeET2_T3_PNSZ_IS14_E10value_typeET4_jRbjT5_S1A_jjP12ihipStream_tbEUljE_EEESV_SW_SX_S14_S18_S1A_T6_T7_T9_mT8_S1C_bDpT10_ENKUlT_T0_E_clISt17integral_constantIbLb1EES1P_EEDaS1K_S1L_EUlS1K_E_NS1_11comp_targetILNS1_3genE3ELNS1_11target_archE908ELNS1_3gpuE7ELNS1_3repE0EEENS1_30default_config_static_selectorELNS0_4arch9wavefront6targetE0EEEvSY_.has_recursion, 0
	.set _ZN7rocprim17ROCPRIM_400000_NS6detail17trampoline_kernelINS0_13select_configILj256ELj13ELNS0_17block_load_methodE3ELS4_3ELS4_3ELNS0_20block_scan_algorithmE0ELj4294967295EEENS1_25partition_config_selectorILNS1_17partition_subalgoE3EjNS0_10empty_typeEbEEZZNS1_14partition_implILS8_3ELb0ES6_jNS0_17counting_iteratorIjlEEPS9_SE_NS0_5tupleIJPjSE_EEENSF_IJSE_SE_EEES9_SG_JZNS1_25segmented_radix_sort_implINS0_14default_configELb0EPKfPfPKlPlN2at6native12_GLOBAL__N_18offset_tEEE10hipError_tPvRmT1_PNSt15iterator_traitsISY_E10value_typeET2_T3_PNSZ_IS14_E10value_typeET4_jRbjT5_S1A_jjP12ihipStream_tbEUljE_EEESV_SW_SX_S14_S18_S1A_T6_T7_T9_mT8_S1C_bDpT10_ENKUlT_T0_E_clISt17integral_constantIbLb1EES1P_EEDaS1K_S1L_EUlS1K_E_NS1_11comp_targetILNS1_3genE3ELNS1_11target_archE908ELNS1_3gpuE7ELNS1_3repE0EEENS1_30default_config_static_selectorELNS0_4arch9wavefront6targetE0EEEvSY_.has_indirect_call, 0
	.section	.AMDGPU.csdata,"",@progbits
; Kernel info:
; codeLenInByte = 0
; TotalNumSgprs: 0
; NumVgprs: 0
; ScratchSize: 0
; MemoryBound: 0
; FloatMode: 240
; IeeeMode: 1
; LDSByteSize: 0 bytes/workgroup (compile time only)
; SGPRBlocks: 0
; VGPRBlocks: 0
; NumSGPRsForWavesPerEU: 1
; NumVGPRsForWavesPerEU: 1
; Occupancy: 16
; WaveLimiterHint : 0
; COMPUTE_PGM_RSRC2:SCRATCH_EN: 0
; COMPUTE_PGM_RSRC2:USER_SGPR: 2
; COMPUTE_PGM_RSRC2:TRAP_HANDLER: 0
; COMPUTE_PGM_RSRC2:TGID_X_EN: 1
; COMPUTE_PGM_RSRC2:TGID_Y_EN: 0
; COMPUTE_PGM_RSRC2:TGID_Z_EN: 0
; COMPUTE_PGM_RSRC2:TIDIG_COMP_CNT: 0
	.section	.text._ZN7rocprim17ROCPRIM_400000_NS6detail17trampoline_kernelINS0_13select_configILj256ELj13ELNS0_17block_load_methodE3ELS4_3ELS4_3ELNS0_20block_scan_algorithmE0ELj4294967295EEENS1_25partition_config_selectorILNS1_17partition_subalgoE3EjNS0_10empty_typeEbEEZZNS1_14partition_implILS8_3ELb0ES6_jNS0_17counting_iteratorIjlEEPS9_SE_NS0_5tupleIJPjSE_EEENSF_IJSE_SE_EEES9_SG_JZNS1_25segmented_radix_sort_implINS0_14default_configELb0EPKfPfPKlPlN2at6native12_GLOBAL__N_18offset_tEEE10hipError_tPvRmT1_PNSt15iterator_traitsISY_E10value_typeET2_T3_PNSZ_IS14_E10value_typeET4_jRbjT5_S1A_jjP12ihipStream_tbEUljE_EEESV_SW_SX_S14_S18_S1A_T6_T7_T9_mT8_S1C_bDpT10_ENKUlT_T0_E_clISt17integral_constantIbLb1EES1P_EEDaS1K_S1L_EUlS1K_E_NS1_11comp_targetILNS1_3genE2ELNS1_11target_archE906ELNS1_3gpuE6ELNS1_3repE0EEENS1_30default_config_static_selectorELNS0_4arch9wavefront6targetE0EEEvSY_,"axG",@progbits,_ZN7rocprim17ROCPRIM_400000_NS6detail17trampoline_kernelINS0_13select_configILj256ELj13ELNS0_17block_load_methodE3ELS4_3ELS4_3ELNS0_20block_scan_algorithmE0ELj4294967295EEENS1_25partition_config_selectorILNS1_17partition_subalgoE3EjNS0_10empty_typeEbEEZZNS1_14partition_implILS8_3ELb0ES6_jNS0_17counting_iteratorIjlEEPS9_SE_NS0_5tupleIJPjSE_EEENSF_IJSE_SE_EEES9_SG_JZNS1_25segmented_radix_sort_implINS0_14default_configELb0EPKfPfPKlPlN2at6native12_GLOBAL__N_18offset_tEEE10hipError_tPvRmT1_PNSt15iterator_traitsISY_E10value_typeET2_T3_PNSZ_IS14_E10value_typeET4_jRbjT5_S1A_jjP12ihipStream_tbEUljE_EEESV_SW_SX_S14_S18_S1A_T6_T7_T9_mT8_S1C_bDpT10_ENKUlT_T0_E_clISt17integral_constantIbLb1EES1P_EEDaS1K_S1L_EUlS1K_E_NS1_11comp_targetILNS1_3genE2ELNS1_11target_archE906ELNS1_3gpuE6ELNS1_3repE0EEENS1_30default_config_static_selectorELNS0_4arch9wavefront6targetE0EEEvSY_,comdat
	.globl	_ZN7rocprim17ROCPRIM_400000_NS6detail17trampoline_kernelINS0_13select_configILj256ELj13ELNS0_17block_load_methodE3ELS4_3ELS4_3ELNS0_20block_scan_algorithmE0ELj4294967295EEENS1_25partition_config_selectorILNS1_17partition_subalgoE3EjNS0_10empty_typeEbEEZZNS1_14partition_implILS8_3ELb0ES6_jNS0_17counting_iteratorIjlEEPS9_SE_NS0_5tupleIJPjSE_EEENSF_IJSE_SE_EEES9_SG_JZNS1_25segmented_radix_sort_implINS0_14default_configELb0EPKfPfPKlPlN2at6native12_GLOBAL__N_18offset_tEEE10hipError_tPvRmT1_PNSt15iterator_traitsISY_E10value_typeET2_T3_PNSZ_IS14_E10value_typeET4_jRbjT5_S1A_jjP12ihipStream_tbEUljE_EEESV_SW_SX_S14_S18_S1A_T6_T7_T9_mT8_S1C_bDpT10_ENKUlT_T0_E_clISt17integral_constantIbLb1EES1P_EEDaS1K_S1L_EUlS1K_E_NS1_11comp_targetILNS1_3genE2ELNS1_11target_archE906ELNS1_3gpuE6ELNS1_3repE0EEENS1_30default_config_static_selectorELNS0_4arch9wavefront6targetE0EEEvSY_ ; -- Begin function _ZN7rocprim17ROCPRIM_400000_NS6detail17trampoline_kernelINS0_13select_configILj256ELj13ELNS0_17block_load_methodE3ELS4_3ELS4_3ELNS0_20block_scan_algorithmE0ELj4294967295EEENS1_25partition_config_selectorILNS1_17partition_subalgoE3EjNS0_10empty_typeEbEEZZNS1_14partition_implILS8_3ELb0ES6_jNS0_17counting_iteratorIjlEEPS9_SE_NS0_5tupleIJPjSE_EEENSF_IJSE_SE_EEES9_SG_JZNS1_25segmented_radix_sort_implINS0_14default_configELb0EPKfPfPKlPlN2at6native12_GLOBAL__N_18offset_tEEE10hipError_tPvRmT1_PNSt15iterator_traitsISY_E10value_typeET2_T3_PNSZ_IS14_E10value_typeET4_jRbjT5_S1A_jjP12ihipStream_tbEUljE_EEESV_SW_SX_S14_S18_S1A_T6_T7_T9_mT8_S1C_bDpT10_ENKUlT_T0_E_clISt17integral_constantIbLb1EES1P_EEDaS1K_S1L_EUlS1K_E_NS1_11comp_targetILNS1_3genE2ELNS1_11target_archE906ELNS1_3gpuE6ELNS1_3repE0EEENS1_30default_config_static_selectorELNS0_4arch9wavefront6targetE0EEEvSY_
	.p2align	8
	.type	_ZN7rocprim17ROCPRIM_400000_NS6detail17trampoline_kernelINS0_13select_configILj256ELj13ELNS0_17block_load_methodE3ELS4_3ELS4_3ELNS0_20block_scan_algorithmE0ELj4294967295EEENS1_25partition_config_selectorILNS1_17partition_subalgoE3EjNS0_10empty_typeEbEEZZNS1_14partition_implILS8_3ELb0ES6_jNS0_17counting_iteratorIjlEEPS9_SE_NS0_5tupleIJPjSE_EEENSF_IJSE_SE_EEES9_SG_JZNS1_25segmented_radix_sort_implINS0_14default_configELb0EPKfPfPKlPlN2at6native12_GLOBAL__N_18offset_tEEE10hipError_tPvRmT1_PNSt15iterator_traitsISY_E10value_typeET2_T3_PNSZ_IS14_E10value_typeET4_jRbjT5_S1A_jjP12ihipStream_tbEUljE_EEESV_SW_SX_S14_S18_S1A_T6_T7_T9_mT8_S1C_bDpT10_ENKUlT_T0_E_clISt17integral_constantIbLb1EES1P_EEDaS1K_S1L_EUlS1K_E_NS1_11comp_targetILNS1_3genE2ELNS1_11target_archE906ELNS1_3gpuE6ELNS1_3repE0EEENS1_30default_config_static_selectorELNS0_4arch9wavefront6targetE0EEEvSY_,@function
_ZN7rocprim17ROCPRIM_400000_NS6detail17trampoline_kernelINS0_13select_configILj256ELj13ELNS0_17block_load_methodE3ELS4_3ELS4_3ELNS0_20block_scan_algorithmE0ELj4294967295EEENS1_25partition_config_selectorILNS1_17partition_subalgoE3EjNS0_10empty_typeEbEEZZNS1_14partition_implILS8_3ELb0ES6_jNS0_17counting_iteratorIjlEEPS9_SE_NS0_5tupleIJPjSE_EEENSF_IJSE_SE_EEES9_SG_JZNS1_25segmented_radix_sort_implINS0_14default_configELb0EPKfPfPKlPlN2at6native12_GLOBAL__N_18offset_tEEE10hipError_tPvRmT1_PNSt15iterator_traitsISY_E10value_typeET2_T3_PNSZ_IS14_E10value_typeET4_jRbjT5_S1A_jjP12ihipStream_tbEUljE_EEESV_SW_SX_S14_S18_S1A_T6_T7_T9_mT8_S1C_bDpT10_ENKUlT_T0_E_clISt17integral_constantIbLb1EES1P_EEDaS1K_S1L_EUlS1K_E_NS1_11comp_targetILNS1_3genE2ELNS1_11target_archE906ELNS1_3gpuE6ELNS1_3repE0EEENS1_30default_config_static_selectorELNS0_4arch9wavefront6targetE0EEEvSY_: ; @_ZN7rocprim17ROCPRIM_400000_NS6detail17trampoline_kernelINS0_13select_configILj256ELj13ELNS0_17block_load_methodE3ELS4_3ELS4_3ELNS0_20block_scan_algorithmE0ELj4294967295EEENS1_25partition_config_selectorILNS1_17partition_subalgoE3EjNS0_10empty_typeEbEEZZNS1_14partition_implILS8_3ELb0ES6_jNS0_17counting_iteratorIjlEEPS9_SE_NS0_5tupleIJPjSE_EEENSF_IJSE_SE_EEES9_SG_JZNS1_25segmented_radix_sort_implINS0_14default_configELb0EPKfPfPKlPlN2at6native12_GLOBAL__N_18offset_tEEE10hipError_tPvRmT1_PNSt15iterator_traitsISY_E10value_typeET2_T3_PNSZ_IS14_E10value_typeET4_jRbjT5_S1A_jjP12ihipStream_tbEUljE_EEESV_SW_SX_S14_S18_S1A_T6_T7_T9_mT8_S1C_bDpT10_ENKUlT_T0_E_clISt17integral_constantIbLb1EES1P_EEDaS1K_S1L_EUlS1K_E_NS1_11comp_targetILNS1_3genE2ELNS1_11target_archE906ELNS1_3gpuE6ELNS1_3repE0EEENS1_30default_config_static_selectorELNS0_4arch9wavefront6targetE0EEEvSY_
; %bb.0:
	.section	.rodata,"a",@progbits
	.p2align	6, 0x0
	.amdhsa_kernel _ZN7rocprim17ROCPRIM_400000_NS6detail17trampoline_kernelINS0_13select_configILj256ELj13ELNS0_17block_load_methodE3ELS4_3ELS4_3ELNS0_20block_scan_algorithmE0ELj4294967295EEENS1_25partition_config_selectorILNS1_17partition_subalgoE3EjNS0_10empty_typeEbEEZZNS1_14partition_implILS8_3ELb0ES6_jNS0_17counting_iteratorIjlEEPS9_SE_NS0_5tupleIJPjSE_EEENSF_IJSE_SE_EEES9_SG_JZNS1_25segmented_radix_sort_implINS0_14default_configELb0EPKfPfPKlPlN2at6native12_GLOBAL__N_18offset_tEEE10hipError_tPvRmT1_PNSt15iterator_traitsISY_E10value_typeET2_T3_PNSZ_IS14_E10value_typeET4_jRbjT5_S1A_jjP12ihipStream_tbEUljE_EEESV_SW_SX_S14_S18_S1A_T6_T7_T9_mT8_S1C_bDpT10_ENKUlT_T0_E_clISt17integral_constantIbLb1EES1P_EEDaS1K_S1L_EUlS1K_E_NS1_11comp_targetILNS1_3genE2ELNS1_11target_archE906ELNS1_3gpuE6ELNS1_3repE0EEENS1_30default_config_static_selectorELNS0_4arch9wavefront6targetE0EEEvSY_
		.amdhsa_group_segment_fixed_size 0
		.amdhsa_private_segment_fixed_size 0
		.amdhsa_kernarg_size 152
		.amdhsa_user_sgpr_count 2
		.amdhsa_user_sgpr_dispatch_ptr 0
		.amdhsa_user_sgpr_queue_ptr 0
		.amdhsa_user_sgpr_kernarg_segment_ptr 1
		.amdhsa_user_sgpr_dispatch_id 0
		.amdhsa_user_sgpr_private_segment_size 0
		.amdhsa_wavefront_size32 1
		.amdhsa_uses_dynamic_stack 0
		.amdhsa_enable_private_segment 0
		.amdhsa_system_sgpr_workgroup_id_x 1
		.amdhsa_system_sgpr_workgroup_id_y 0
		.amdhsa_system_sgpr_workgroup_id_z 0
		.amdhsa_system_sgpr_workgroup_info 0
		.amdhsa_system_vgpr_workitem_id 0
		.amdhsa_next_free_vgpr 1
		.amdhsa_next_free_sgpr 1
		.amdhsa_reserve_vcc 0
		.amdhsa_float_round_mode_32 0
		.amdhsa_float_round_mode_16_64 0
		.amdhsa_float_denorm_mode_32 3
		.amdhsa_float_denorm_mode_16_64 3
		.amdhsa_fp16_overflow 0
		.amdhsa_workgroup_processor_mode 1
		.amdhsa_memory_ordered 1
		.amdhsa_forward_progress 1
		.amdhsa_inst_pref_size 0
		.amdhsa_round_robin_scheduling 0
		.amdhsa_exception_fp_ieee_invalid_op 0
		.amdhsa_exception_fp_denorm_src 0
		.amdhsa_exception_fp_ieee_div_zero 0
		.amdhsa_exception_fp_ieee_overflow 0
		.amdhsa_exception_fp_ieee_underflow 0
		.amdhsa_exception_fp_ieee_inexact 0
		.amdhsa_exception_int_div_zero 0
	.end_amdhsa_kernel
	.section	.text._ZN7rocprim17ROCPRIM_400000_NS6detail17trampoline_kernelINS0_13select_configILj256ELj13ELNS0_17block_load_methodE3ELS4_3ELS4_3ELNS0_20block_scan_algorithmE0ELj4294967295EEENS1_25partition_config_selectorILNS1_17partition_subalgoE3EjNS0_10empty_typeEbEEZZNS1_14partition_implILS8_3ELb0ES6_jNS0_17counting_iteratorIjlEEPS9_SE_NS0_5tupleIJPjSE_EEENSF_IJSE_SE_EEES9_SG_JZNS1_25segmented_radix_sort_implINS0_14default_configELb0EPKfPfPKlPlN2at6native12_GLOBAL__N_18offset_tEEE10hipError_tPvRmT1_PNSt15iterator_traitsISY_E10value_typeET2_T3_PNSZ_IS14_E10value_typeET4_jRbjT5_S1A_jjP12ihipStream_tbEUljE_EEESV_SW_SX_S14_S18_S1A_T6_T7_T9_mT8_S1C_bDpT10_ENKUlT_T0_E_clISt17integral_constantIbLb1EES1P_EEDaS1K_S1L_EUlS1K_E_NS1_11comp_targetILNS1_3genE2ELNS1_11target_archE906ELNS1_3gpuE6ELNS1_3repE0EEENS1_30default_config_static_selectorELNS0_4arch9wavefront6targetE0EEEvSY_,"axG",@progbits,_ZN7rocprim17ROCPRIM_400000_NS6detail17trampoline_kernelINS0_13select_configILj256ELj13ELNS0_17block_load_methodE3ELS4_3ELS4_3ELNS0_20block_scan_algorithmE0ELj4294967295EEENS1_25partition_config_selectorILNS1_17partition_subalgoE3EjNS0_10empty_typeEbEEZZNS1_14partition_implILS8_3ELb0ES6_jNS0_17counting_iteratorIjlEEPS9_SE_NS0_5tupleIJPjSE_EEENSF_IJSE_SE_EEES9_SG_JZNS1_25segmented_radix_sort_implINS0_14default_configELb0EPKfPfPKlPlN2at6native12_GLOBAL__N_18offset_tEEE10hipError_tPvRmT1_PNSt15iterator_traitsISY_E10value_typeET2_T3_PNSZ_IS14_E10value_typeET4_jRbjT5_S1A_jjP12ihipStream_tbEUljE_EEESV_SW_SX_S14_S18_S1A_T6_T7_T9_mT8_S1C_bDpT10_ENKUlT_T0_E_clISt17integral_constantIbLb1EES1P_EEDaS1K_S1L_EUlS1K_E_NS1_11comp_targetILNS1_3genE2ELNS1_11target_archE906ELNS1_3gpuE6ELNS1_3repE0EEENS1_30default_config_static_selectorELNS0_4arch9wavefront6targetE0EEEvSY_,comdat
.Lfunc_end1408:
	.size	_ZN7rocprim17ROCPRIM_400000_NS6detail17trampoline_kernelINS0_13select_configILj256ELj13ELNS0_17block_load_methodE3ELS4_3ELS4_3ELNS0_20block_scan_algorithmE0ELj4294967295EEENS1_25partition_config_selectorILNS1_17partition_subalgoE3EjNS0_10empty_typeEbEEZZNS1_14partition_implILS8_3ELb0ES6_jNS0_17counting_iteratorIjlEEPS9_SE_NS0_5tupleIJPjSE_EEENSF_IJSE_SE_EEES9_SG_JZNS1_25segmented_radix_sort_implINS0_14default_configELb0EPKfPfPKlPlN2at6native12_GLOBAL__N_18offset_tEEE10hipError_tPvRmT1_PNSt15iterator_traitsISY_E10value_typeET2_T3_PNSZ_IS14_E10value_typeET4_jRbjT5_S1A_jjP12ihipStream_tbEUljE_EEESV_SW_SX_S14_S18_S1A_T6_T7_T9_mT8_S1C_bDpT10_ENKUlT_T0_E_clISt17integral_constantIbLb1EES1P_EEDaS1K_S1L_EUlS1K_E_NS1_11comp_targetILNS1_3genE2ELNS1_11target_archE906ELNS1_3gpuE6ELNS1_3repE0EEENS1_30default_config_static_selectorELNS0_4arch9wavefront6targetE0EEEvSY_, .Lfunc_end1408-_ZN7rocprim17ROCPRIM_400000_NS6detail17trampoline_kernelINS0_13select_configILj256ELj13ELNS0_17block_load_methodE3ELS4_3ELS4_3ELNS0_20block_scan_algorithmE0ELj4294967295EEENS1_25partition_config_selectorILNS1_17partition_subalgoE3EjNS0_10empty_typeEbEEZZNS1_14partition_implILS8_3ELb0ES6_jNS0_17counting_iteratorIjlEEPS9_SE_NS0_5tupleIJPjSE_EEENSF_IJSE_SE_EEES9_SG_JZNS1_25segmented_radix_sort_implINS0_14default_configELb0EPKfPfPKlPlN2at6native12_GLOBAL__N_18offset_tEEE10hipError_tPvRmT1_PNSt15iterator_traitsISY_E10value_typeET2_T3_PNSZ_IS14_E10value_typeET4_jRbjT5_S1A_jjP12ihipStream_tbEUljE_EEESV_SW_SX_S14_S18_S1A_T6_T7_T9_mT8_S1C_bDpT10_ENKUlT_T0_E_clISt17integral_constantIbLb1EES1P_EEDaS1K_S1L_EUlS1K_E_NS1_11comp_targetILNS1_3genE2ELNS1_11target_archE906ELNS1_3gpuE6ELNS1_3repE0EEENS1_30default_config_static_selectorELNS0_4arch9wavefront6targetE0EEEvSY_
                                        ; -- End function
	.set _ZN7rocprim17ROCPRIM_400000_NS6detail17trampoline_kernelINS0_13select_configILj256ELj13ELNS0_17block_load_methodE3ELS4_3ELS4_3ELNS0_20block_scan_algorithmE0ELj4294967295EEENS1_25partition_config_selectorILNS1_17partition_subalgoE3EjNS0_10empty_typeEbEEZZNS1_14partition_implILS8_3ELb0ES6_jNS0_17counting_iteratorIjlEEPS9_SE_NS0_5tupleIJPjSE_EEENSF_IJSE_SE_EEES9_SG_JZNS1_25segmented_radix_sort_implINS0_14default_configELb0EPKfPfPKlPlN2at6native12_GLOBAL__N_18offset_tEEE10hipError_tPvRmT1_PNSt15iterator_traitsISY_E10value_typeET2_T3_PNSZ_IS14_E10value_typeET4_jRbjT5_S1A_jjP12ihipStream_tbEUljE_EEESV_SW_SX_S14_S18_S1A_T6_T7_T9_mT8_S1C_bDpT10_ENKUlT_T0_E_clISt17integral_constantIbLb1EES1P_EEDaS1K_S1L_EUlS1K_E_NS1_11comp_targetILNS1_3genE2ELNS1_11target_archE906ELNS1_3gpuE6ELNS1_3repE0EEENS1_30default_config_static_selectorELNS0_4arch9wavefront6targetE0EEEvSY_.num_vgpr, 0
	.set _ZN7rocprim17ROCPRIM_400000_NS6detail17trampoline_kernelINS0_13select_configILj256ELj13ELNS0_17block_load_methodE3ELS4_3ELS4_3ELNS0_20block_scan_algorithmE0ELj4294967295EEENS1_25partition_config_selectorILNS1_17partition_subalgoE3EjNS0_10empty_typeEbEEZZNS1_14partition_implILS8_3ELb0ES6_jNS0_17counting_iteratorIjlEEPS9_SE_NS0_5tupleIJPjSE_EEENSF_IJSE_SE_EEES9_SG_JZNS1_25segmented_radix_sort_implINS0_14default_configELb0EPKfPfPKlPlN2at6native12_GLOBAL__N_18offset_tEEE10hipError_tPvRmT1_PNSt15iterator_traitsISY_E10value_typeET2_T3_PNSZ_IS14_E10value_typeET4_jRbjT5_S1A_jjP12ihipStream_tbEUljE_EEESV_SW_SX_S14_S18_S1A_T6_T7_T9_mT8_S1C_bDpT10_ENKUlT_T0_E_clISt17integral_constantIbLb1EES1P_EEDaS1K_S1L_EUlS1K_E_NS1_11comp_targetILNS1_3genE2ELNS1_11target_archE906ELNS1_3gpuE6ELNS1_3repE0EEENS1_30default_config_static_selectorELNS0_4arch9wavefront6targetE0EEEvSY_.num_agpr, 0
	.set _ZN7rocprim17ROCPRIM_400000_NS6detail17trampoline_kernelINS0_13select_configILj256ELj13ELNS0_17block_load_methodE3ELS4_3ELS4_3ELNS0_20block_scan_algorithmE0ELj4294967295EEENS1_25partition_config_selectorILNS1_17partition_subalgoE3EjNS0_10empty_typeEbEEZZNS1_14partition_implILS8_3ELb0ES6_jNS0_17counting_iteratorIjlEEPS9_SE_NS0_5tupleIJPjSE_EEENSF_IJSE_SE_EEES9_SG_JZNS1_25segmented_radix_sort_implINS0_14default_configELb0EPKfPfPKlPlN2at6native12_GLOBAL__N_18offset_tEEE10hipError_tPvRmT1_PNSt15iterator_traitsISY_E10value_typeET2_T3_PNSZ_IS14_E10value_typeET4_jRbjT5_S1A_jjP12ihipStream_tbEUljE_EEESV_SW_SX_S14_S18_S1A_T6_T7_T9_mT8_S1C_bDpT10_ENKUlT_T0_E_clISt17integral_constantIbLb1EES1P_EEDaS1K_S1L_EUlS1K_E_NS1_11comp_targetILNS1_3genE2ELNS1_11target_archE906ELNS1_3gpuE6ELNS1_3repE0EEENS1_30default_config_static_selectorELNS0_4arch9wavefront6targetE0EEEvSY_.numbered_sgpr, 0
	.set _ZN7rocprim17ROCPRIM_400000_NS6detail17trampoline_kernelINS0_13select_configILj256ELj13ELNS0_17block_load_methodE3ELS4_3ELS4_3ELNS0_20block_scan_algorithmE0ELj4294967295EEENS1_25partition_config_selectorILNS1_17partition_subalgoE3EjNS0_10empty_typeEbEEZZNS1_14partition_implILS8_3ELb0ES6_jNS0_17counting_iteratorIjlEEPS9_SE_NS0_5tupleIJPjSE_EEENSF_IJSE_SE_EEES9_SG_JZNS1_25segmented_radix_sort_implINS0_14default_configELb0EPKfPfPKlPlN2at6native12_GLOBAL__N_18offset_tEEE10hipError_tPvRmT1_PNSt15iterator_traitsISY_E10value_typeET2_T3_PNSZ_IS14_E10value_typeET4_jRbjT5_S1A_jjP12ihipStream_tbEUljE_EEESV_SW_SX_S14_S18_S1A_T6_T7_T9_mT8_S1C_bDpT10_ENKUlT_T0_E_clISt17integral_constantIbLb1EES1P_EEDaS1K_S1L_EUlS1K_E_NS1_11comp_targetILNS1_3genE2ELNS1_11target_archE906ELNS1_3gpuE6ELNS1_3repE0EEENS1_30default_config_static_selectorELNS0_4arch9wavefront6targetE0EEEvSY_.num_named_barrier, 0
	.set _ZN7rocprim17ROCPRIM_400000_NS6detail17trampoline_kernelINS0_13select_configILj256ELj13ELNS0_17block_load_methodE3ELS4_3ELS4_3ELNS0_20block_scan_algorithmE0ELj4294967295EEENS1_25partition_config_selectorILNS1_17partition_subalgoE3EjNS0_10empty_typeEbEEZZNS1_14partition_implILS8_3ELb0ES6_jNS0_17counting_iteratorIjlEEPS9_SE_NS0_5tupleIJPjSE_EEENSF_IJSE_SE_EEES9_SG_JZNS1_25segmented_radix_sort_implINS0_14default_configELb0EPKfPfPKlPlN2at6native12_GLOBAL__N_18offset_tEEE10hipError_tPvRmT1_PNSt15iterator_traitsISY_E10value_typeET2_T3_PNSZ_IS14_E10value_typeET4_jRbjT5_S1A_jjP12ihipStream_tbEUljE_EEESV_SW_SX_S14_S18_S1A_T6_T7_T9_mT8_S1C_bDpT10_ENKUlT_T0_E_clISt17integral_constantIbLb1EES1P_EEDaS1K_S1L_EUlS1K_E_NS1_11comp_targetILNS1_3genE2ELNS1_11target_archE906ELNS1_3gpuE6ELNS1_3repE0EEENS1_30default_config_static_selectorELNS0_4arch9wavefront6targetE0EEEvSY_.private_seg_size, 0
	.set _ZN7rocprim17ROCPRIM_400000_NS6detail17trampoline_kernelINS0_13select_configILj256ELj13ELNS0_17block_load_methodE3ELS4_3ELS4_3ELNS0_20block_scan_algorithmE0ELj4294967295EEENS1_25partition_config_selectorILNS1_17partition_subalgoE3EjNS0_10empty_typeEbEEZZNS1_14partition_implILS8_3ELb0ES6_jNS0_17counting_iteratorIjlEEPS9_SE_NS0_5tupleIJPjSE_EEENSF_IJSE_SE_EEES9_SG_JZNS1_25segmented_radix_sort_implINS0_14default_configELb0EPKfPfPKlPlN2at6native12_GLOBAL__N_18offset_tEEE10hipError_tPvRmT1_PNSt15iterator_traitsISY_E10value_typeET2_T3_PNSZ_IS14_E10value_typeET4_jRbjT5_S1A_jjP12ihipStream_tbEUljE_EEESV_SW_SX_S14_S18_S1A_T6_T7_T9_mT8_S1C_bDpT10_ENKUlT_T0_E_clISt17integral_constantIbLb1EES1P_EEDaS1K_S1L_EUlS1K_E_NS1_11comp_targetILNS1_3genE2ELNS1_11target_archE906ELNS1_3gpuE6ELNS1_3repE0EEENS1_30default_config_static_selectorELNS0_4arch9wavefront6targetE0EEEvSY_.uses_vcc, 0
	.set _ZN7rocprim17ROCPRIM_400000_NS6detail17trampoline_kernelINS0_13select_configILj256ELj13ELNS0_17block_load_methodE3ELS4_3ELS4_3ELNS0_20block_scan_algorithmE0ELj4294967295EEENS1_25partition_config_selectorILNS1_17partition_subalgoE3EjNS0_10empty_typeEbEEZZNS1_14partition_implILS8_3ELb0ES6_jNS0_17counting_iteratorIjlEEPS9_SE_NS0_5tupleIJPjSE_EEENSF_IJSE_SE_EEES9_SG_JZNS1_25segmented_radix_sort_implINS0_14default_configELb0EPKfPfPKlPlN2at6native12_GLOBAL__N_18offset_tEEE10hipError_tPvRmT1_PNSt15iterator_traitsISY_E10value_typeET2_T3_PNSZ_IS14_E10value_typeET4_jRbjT5_S1A_jjP12ihipStream_tbEUljE_EEESV_SW_SX_S14_S18_S1A_T6_T7_T9_mT8_S1C_bDpT10_ENKUlT_T0_E_clISt17integral_constantIbLb1EES1P_EEDaS1K_S1L_EUlS1K_E_NS1_11comp_targetILNS1_3genE2ELNS1_11target_archE906ELNS1_3gpuE6ELNS1_3repE0EEENS1_30default_config_static_selectorELNS0_4arch9wavefront6targetE0EEEvSY_.uses_flat_scratch, 0
	.set _ZN7rocprim17ROCPRIM_400000_NS6detail17trampoline_kernelINS0_13select_configILj256ELj13ELNS0_17block_load_methodE3ELS4_3ELS4_3ELNS0_20block_scan_algorithmE0ELj4294967295EEENS1_25partition_config_selectorILNS1_17partition_subalgoE3EjNS0_10empty_typeEbEEZZNS1_14partition_implILS8_3ELb0ES6_jNS0_17counting_iteratorIjlEEPS9_SE_NS0_5tupleIJPjSE_EEENSF_IJSE_SE_EEES9_SG_JZNS1_25segmented_radix_sort_implINS0_14default_configELb0EPKfPfPKlPlN2at6native12_GLOBAL__N_18offset_tEEE10hipError_tPvRmT1_PNSt15iterator_traitsISY_E10value_typeET2_T3_PNSZ_IS14_E10value_typeET4_jRbjT5_S1A_jjP12ihipStream_tbEUljE_EEESV_SW_SX_S14_S18_S1A_T6_T7_T9_mT8_S1C_bDpT10_ENKUlT_T0_E_clISt17integral_constantIbLb1EES1P_EEDaS1K_S1L_EUlS1K_E_NS1_11comp_targetILNS1_3genE2ELNS1_11target_archE906ELNS1_3gpuE6ELNS1_3repE0EEENS1_30default_config_static_selectorELNS0_4arch9wavefront6targetE0EEEvSY_.has_dyn_sized_stack, 0
	.set _ZN7rocprim17ROCPRIM_400000_NS6detail17trampoline_kernelINS0_13select_configILj256ELj13ELNS0_17block_load_methodE3ELS4_3ELS4_3ELNS0_20block_scan_algorithmE0ELj4294967295EEENS1_25partition_config_selectorILNS1_17partition_subalgoE3EjNS0_10empty_typeEbEEZZNS1_14partition_implILS8_3ELb0ES6_jNS0_17counting_iteratorIjlEEPS9_SE_NS0_5tupleIJPjSE_EEENSF_IJSE_SE_EEES9_SG_JZNS1_25segmented_radix_sort_implINS0_14default_configELb0EPKfPfPKlPlN2at6native12_GLOBAL__N_18offset_tEEE10hipError_tPvRmT1_PNSt15iterator_traitsISY_E10value_typeET2_T3_PNSZ_IS14_E10value_typeET4_jRbjT5_S1A_jjP12ihipStream_tbEUljE_EEESV_SW_SX_S14_S18_S1A_T6_T7_T9_mT8_S1C_bDpT10_ENKUlT_T0_E_clISt17integral_constantIbLb1EES1P_EEDaS1K_S1L_EUlS1K_E_NS1_11comp_targetILNS1_3genE2ELNS1_11target_archE906ELNS1_3gpuE6ELNS1_3repE0EEENS1_30default_config_static_selectorELNS0_4arch9wavefront6targetE0EEEvSY_.has_recursion, 0
	.set _ZN7rocprim17ROCPRIM_400000_NS6detail17trampoline_kernelINS0_13select_configILj256ELj13ELNS0_17block_load_methodE3ELS4_3ELS4_3ELNS0_20block_scan_algorithmE0ELj4294967295EEENS1_25partition_config_selectorILNS1_17partition_subalgoE3EjNS0_10empty_typeEbEEZZNS1_14partition_implILS8_3ELb0ES6_jNS0_17counting_iteratorIjlEEPS9_SE_NS0_5tupleIJPjSE_EEENSF_IJSE_SE_EEES9_SG_JZNS1_25segmented_radix_sort_implINS0_14default_configELb0EPKfPfPKlPlN2at6native12_GLOBAL__N_18offset_tEEE10hipError_tPvRmT1_PNSt15iterator_traitsISY_E10value_typeET2_T3_PNSZ_IS14_E10value_typeET4_jRbjT5_S1A_jjP12ihipStream_tbEUljE_EEESV_SW_SX_S14_S18_S1A_T6_T7_T9_mT8_S1C_bDpT10_ENKUlT_T0_E_clISt17integral_constantIbLb1EES1P_EEDaS1K_S1L_EUlS1K_E_NS1_11comp_targetILNS1_3genE2ELNS1_11target_archE906ELNS1_3gpuE6ELNS1_3repE0EEENS1_30default_config_static_selectorELNS0_4arch9wavefront6targetE0EEEvSY_.has_indirect_call, 0
	.section	.AMDGPU.csdata,"",@progbits
; Kernel info:
; codeLenInByte = 0
; TotalNumSgprs: 0
; NumVgprs: 0
; ScratchSize: 0
; MemoryBound: 0
; FloatMode: 240
; IeeeMode: 1
; LDSByteSize: 0 bytes/workgroup (compile time only)
; SGPRBlocks: 0
; VGPRBlocks: 0
; NumSGPRsForWavesPerEU: 1
; NumVGPRsForWavesPerEU: 1
; Occupancy: 16
; WaveLimiterHint : 0
; COMPUTE_PGM_RSRC2:SCRATCH_EN: 0
; COMPUTE_PGM_RSRC2:USER_SGPR: 2
; COMPUTE_PGM_RSRC2:TRAP_HANDLER: 0
; COMPUTE_PGM_RSRC2:TGID_X_EN: 1
; COMPUTE_PGM_RSRC2:TGID_Y_EN: 0
; COMPUTE_PGM_RSRC2:TGID_Z_EN: 0
; COMPUTE_PGM_RSRC2:TIDIG_COMP_CNT: 0
	.section	.text._ZN7rocprim17ROCPRIM_400000_NS6detail17trampoline_kernelINS0_13select_configILj256ELj13ELNS0_17block_load_methodE3ELS4_3ELS4_3ELNS0_20block_scan_algorithmE0ELj4294967295EEENS1_25partition_config_selectorILNS1_17partition_subalgoE3EjNS0_10empty_typeEbEEZZNS1_14partition_implILS8_3ELb0ES6_jNS0_17counting_iteratorIjlEEPS9_SE_NS0_5tupleIJPjSE_EEENSF_IJSE_SE_EEES9_SG_JZNS1_25segmented_radix_sort_implINS0_14default_configELb0EPKfPfPKlPlN2at6native12_GLOBAL__N_18offset_tEEE10hipError_tPvRmT1_PNSt15iterator_traitsISY_E10value_typeET2_T3_PNSZ_IS14_E10value_typeET4_jRbjT5_S1A_jjP12ihipStream_tbEUljE_EEESV_SW_SX_S14_S18_S1A_T6_T7_T9_mT8_S1C_bDpT10_ENKUlT_T0_E_clISt17integral_constantIbLb1EES1P_EEDaS1K_S1L_EUlS1K_E_NS1_11comp_targetILNS1_3genE10ELNS1_11target_archE1200ELNS1_3gpuE4ELNS1_3repE0EEENS1_30default_config_static_selectorELNS0_4arch9wavefront6targetE0EEEvSY_,"axG",@progbits,_ZN7rocprim17ROCPRIM_400000_NS6detail17trampoline_kernelINS0_13select_configILj256ELj13ELNS0_17block_load_methodE3ELS4_3ELS4_3ELNS0_20block_scan_algorithmE0ELj4294967295EEENS1_25partition_config_selectorILNS1_17partition_subalgoE3EjNS0_10empty_typeEbEEZZNS1_14partition_implILS8_3ELb0ES6_jNS0_17counting_iteratorIjlEEPS9_SE_NS0_5tupleIJPjSE_EEENSF_IJSE_SE_EEES9_SG_JZNS1_25segmented_radix_sort_implINS0_14default_configELb0EPKfPfPKlPlN2at6native12_GLOBAL__N_18offset_tEEE10hipError_tPvRmT1_PNSt15iterator_traitsISY_E10value_typeET2_T3_PNSZ_IS14_E10value_typeET4_jRbjT5_S1A_jjP12ihipStream_tbEUljE_EEESV_SW_SX_S14_S18_S1A_T6_T7_T9_mT8_S1C_bDpT10_ENKUlT_T0_E_clISt17integral_constantIbLb1EES1P_EEDaS1K_S1L_EUlS1K_E_NS1_11comp_targetILNS1_3genE10ELNS1_11target_archE1200ELNS1_3gpuE4ELNS1_3repE0EEENS1_30default_config_static_selectorELNS0_4arch9wavefront6targetE0EEEvSY_,comdat
	.globl	_ZN7rocprim17ROCPRIM_400000_NS6detail17trampoline_kernelINS0_13select_configILj256ELj13ELNS0_17block_load_methodE3ELS4_3ELS4_3ELNS0_20block_scan_algorithmE0ELj4294967295EEENS1_25partition_config_selectorILNS1_17partition_subalgoE3EjNS0_10empty_typeEbEEZZNS1_14partition_implILS8_3ELb0ES6_jNS0_17counting_iteratorIjlEEPS9_SE_NS0_5tupleIJPjSE_EEENSF_IJSE_SE_EEES9_SG_JZNS1_25segmented_radix_sort_implINS0_14default_configELb0EPKfPfPKlPlN2at6native12_GLOBAL__N_18offset_tEEE10hipError_tPvRmT1_PNSt15iterator_traitsISY_E10value_typeET2_T3_PNSZ_IS14_E10value_typeET4_jRbjT5_S1A_jjP12ihipStream_tbEUljE_EEESV_SW_SX_S14_S18_S1A_T6_T7_T9_mT8_S1C_bDpT10_ENKUlT_T0_E_clISt17integral_constantIbLb1EES1P_EEDaS1K_S1L_EUlS1K_E_NS1_11comp_targetILNS1_3genE10ELNS1_11target_archE1200ELNS1_3gpuE4ELNS1_3repE0EEENS1_30default_config_static_selectorELNS0_4arch9wavefront6targetE0EEEvSY_ ; -- Begin function _ZN7rocprim17ROCPRIM_400000_NS6detail17trampoline_kernelINS0_13select_configILj256ELj13ELNS0_17block_load_methodE3ELS4_3ELS4_3ELNS0_20block_scan_algorithmE0ELj4294967295EEENS1_25partition_config_selectorILNS1_17partition_subalgoE3EjNS0_10empty_typeEbEEZZNS1_14partition_implILS8_3ELb0ES6_jNS0_17counting_iteratorIjlEEPS9_SE_NS0_5tupleIJPjSE_EEENSF_IJSE_SE_EEES9_SG_JZNS1_25segmented_radix_sort_implINS0_14default_configELb0EPKfPfPKlPlN2at6native12_GLOBAL__N_18offset_tEEE10hipError_tPvRmT1_PNSt15iterator_traitsISY_E10value_typeET2_T3_PNSZ_IS14_E10value_typeET4_jRbjT5_S1A_jjP12ihipStream_tbEUljE_EEESV_SW_SX_S14_S18_S1A_T6_T7_T9_mT8_S1C_bDpT10_ENKUlT_T0_E_clISt17integral_constantIbLb1EES1P_EEDaS1K_S1L_EUlS1K_E_NS1_11comp_targetILNS1_3genE10ELNS1_11target_archE1200ELNS1_3gpuE4ELNS1_3repE0EEENS1_30default_config_static_selectorELNS0_4arch9wavefront6targetE0EEEvSY_
	.p2align	8
	.type	_ZN7rocprim17ROCPRIM_400000_NS6detail17trampoline_kernelINS0_13select_configILj256ELj13ELNS0_17block_load_methodE3ELS4_3ELS4_3ELNS0_20block_scan_algorithmE0ELj4294967295EEENS1_25partition_config_selectorILNS1_17partition_subalgoE3EjNS0_10empty_typeEbEEZZNS1_14partition_implILS8_3ELb0ES6_jNS0_17counting_iteratorIjlEEPS9_SE_NS0_5tupleIJPjSE_EEENSF_IJSE_SE_EEES9_SG_JZNS1_25segmented_radix_sort_implINS0_14default_configELb0EPKfPfPKlPlN2at6native12_GLOBAL__N_18offset_tEEE10hipError_tPvRmT1_PNSt15iterator_traitsISY_E10value_typeET2_T3_PNSZ_IS14_E10value_typeET4_jRbjT5_S1A_jjP12ihipStream_tbEUljE_EEESV_SW_SX_S14_S18_S1A_T6_T7_T9_mT8_S1C_bDpT10_ENKUlT_T0_E_clISt17integral_constantIbLb1EES1P_EEDaS1K_S1L_EUlS1K_E_NS1_11comp_targetILNS1_3genE10ELNS1_11target_archE1200ELNS1_3gpuE4ELNS1_3repE0EEENS1_30default_config_static_selectorELNS0_4arch9wavefront6targetE0EEEvSY_,@function
_ZN7rocprim17ROCPRIM_400000_NS6detail17trampoline_kernelINS0_13select_configILj256ELj13ELNS0_17block_load_methodE3ELS4_3ELS4_3ELNS0_20block_scan_algorithmE0ELj4294967295EEENS1_25partition_config_selectorILNS1_17partition_subalgoE3EjNS0_10empty_typeEbEEZZNS1_14partition_implILS8_3ELb0ES6_jNS0_17counting_iteratorIjlEEPS9_SE_NS0_5tupleIJPjSE_EEENSF_IJSE_SE_EEES9_SG_JZNS1_25segmented_radix_sort_implINS0_14default_configELb0EPKfPfPKlPlN2at6native12_GLOBAL__N_18offset_tEEE10hipError_tPvRmT1_PNSt15iterator_traitsISY_E10value_typeET2_T3_PNSZ_IS14_E10value_typeET4_jRbjT5_S1A_jjP12ihipStream_tbEUljE_EEESV_SW_SX_S14_S18_S1A_T6_T7_T9_mT8_S1C_bDpT10_ENKUlT_T0_E_clISt17integral_constantIbLb1EES1P_EEDaS1K_S1L_EUlS1K_E_NS1_11comp_targetILNS1_3genE10ELNS1_11target_archE1200ELNS1_3gpuE4ELNS1_3repE0EEENS1_30default_config_static_selectorELNS0_4arch9wavefront6targetE0EEEvSY_: ; @_ZN7rocprim17ROCPRIM_400000_NS6detail17trampoline_kernelINS0_13select_configILj256ELj13ELNS0_17block_load_methodE3ELS4_3ELS4_3ELNS0_20block_scan_algorithmE0ELj4294967295EEENS1_25partition_config_selectorILNS1_17partition_subalgoE3EjNS0_10empty_typeEbEEZZNS1_14partition_implILS8_3ELb0ES6_jNS0_17counting_iteratorIjlEEPS9_SE_NS0_5tupleIJPjSE_EEENSF_IJSE_SE_EEES9_SG_JZNS1_25segmented_radix_sort_implINS0_14default_configELb0EPKfPfPKlPlN2at6native12_GLOBAL__N_18offset_tEEE10hipError_tPvRmT1_PNSt15iterator_traitsISY_E10value_typeET2_T3_PNSZ_IS14_E10value_typeET4_jRbjT5_S1A_jjP12ihipStream_tbEUljE_EEESV_SW_SX_S14_S18_S1A_T6_T7_T9_mT8_S1C_bDpT10_ENKUlT_T0_E_clISt17integral_constantIbLb1EES1P_EEDaS1K_S1L_EUlS1K_E_NS1_11comp_targetILNS1_3genE10ELNS1_11target_archE1200ELNS1_3gpuE4ELNS1_3repE0EEENS1_30default_config_static_selectorELNS0_4arch9wavefront6targetE0EEEvSY_
; %bb.0:
	s_endpgm
	.section	.rodata,"a",@progbits
	.p2align	6, 0x0
	.amdhsa_kernel _ZN7rocprim17ROCPRIM_400000_NS6detail17trampoline_kernelINS0_13select_configILj256ELj13ELNS0_17block_load_methodE3ELS4_3ELS4_3ELNS0_20block_scan_algorithmE0ELj4294967295EEENS1_25partition_config_selectorILNS1_17partition_subalgoE3EjNS0_10empty_typeEbEEZZNS1_14partition_implILS8_3ELb0ES6_jNS0_17counting_iteratorIjlEEPS9_SE_NS0_5tupleIJPjSE_EEENSF_IJSE_SE_EEES9_SG_JZNS1_25segmented_radix_sort_implINS0_14default_configELb0EPKfPfPKlPlN2at6native12_GLOBAL__N_18offset_tEEE10hipError_tPvRmT1_PNSt15iterator_traitsISY_E10value_typeET2_T3_PNSZ_IS14_E10value_typeET4_jRbjT5_S1A_jjP12ihipStream_tbEUljE_EEESV_SW_SX_S14_S18_S1A_T6_T7_T9_mT8_S1C_bDpT10_ENKUlT_T0_E_clISt17integral_constantIbLb1EES1P_EEDaS1K_S1L_EUlS1K_E_NS1_11comp_targetILNS1_3genE10ELNS1_11target_archE1200ELNS1_3gpuE4ELNS1_3repE0EEENS1_30default_config_static_selectorELNS0_4arch9wavefront6targetE0EEEvSY_
		.amdhsa_group_segment_fixed_size 0
		.amdhsa_private_segment_fixed_size 0
		.amdhsa_kernarg_size 152
		.amdhsa_user_sgpr_count 2
		.amdhsa_user_sgpr_dispatch_ptr 0
		.amdhsa_user_sgpr_queue_ptr 0
		.amdhsa_user_sgpr_kernarg_segment_ptr 1
		.amdhsa_user_sgpr_dispatch_id 0
		.amdhsa_user_sgpr_private_segment_size 0
		.amdhsa_wavefront_size32 1
		.amdhsa_uses_dynamic_stack 0
		.amdhsa_enable_private_segment 0
		.amdhsa_system_sgpr_workgroup_id_x 1
		.amdhsa_system_sgpr_workgroup_id_y 0
		.amdhsa_system_sgpr_workgroup_id_z 0
		.amdhsa_system_sgpr_workgroup_info 0
		.amdhsa_system_vgpr_workitem_id 0
		.amdhsa_next_free_vgpr 1
		.amdhsa_next_free_sgpr 1
		.amdhsa_reserve_vcc 0
		.amdhsa_float_round_mode_32 0
		.amdhsa_float_round_mode_16_64 0
		.amdhsa_float_denorm_mode_32 3
		.amdhsa_float_denorm_mode_16_64 3
		.amdhsa_fp16_overflow 0
		.amdhsa_workgroup_processor_mode 1
		.amdhsa_memory_ordered 1
		.amdhsa_forward_progress 1
		.amdhsa_inst_pref_size 1
		.amdhsa_round_robin_scheduling 0
		.amdhsa_exception_fp_ieee_invalid_op 0
		.amdhsa_exception_fp_denorm_src 0
		.amdhsa_exception_fp_ieee_div_zero 0
		.amdhsa_exception_fp_ieee_overflow 0
		.amdhsa_exception_fp_ieee_underflow 0
		.amdhsa_exception_fp_ieee_inexact 0
		.amdhsa_exception_int_div_zero 0
	.end_amdhsa_kernel
	.section	.text._ZN7rocprim17ROCPRIM_400000_NS6detail17trampoline_kernelINS0_13select_configILj256ELj13ELNS0_17block_load_methodE3ELS4_3ELS4_3ELNS0_20block_scan_algorithmE0ELj4294967295EEENS1_25partition_config_selectorILNS1_17partition_subalgoE3EjNS0_10empty_typeEbEEZZNS1_14partition_implILS8_3ELb0ES6_jNS0_17counting_iteratorIjlEEPS9_SE_NS0_5tupleIJPjSE_EEENSF_IJSE_SE_EEES9_SG_JZNS1_25segmented_radix_sort_implINS0_14default_configELb0EPKfPfPKlPlN2at6native12_GLOBAL__N_18offset_tEEE10hipError_tPvRmT1_PNSt15iterator_traitsISY_E10value_typeET2_T3_PNSZ_IS14_E10value_typeET4_jRbjT5_S1A_jjP12ihipStream_tbEUljE_EEESV_SW_SX_S14_S18_S1A_T6_T7_T9_mT8_S1C_bDpT10_ENKUlT_T0_E_clISt17integral_constantIbLb1EES1P_EEDaS1K_S1L_EUlS1K_E_NS1_11comp_targetILNS1_3genE10ELNS1_11target_archE1200ELNS1_3gpuE4ELNS1_3repE0EEENS1_30default_config_static_selectorELNS0_4arch9wavefront6targetE0EEEvSY_,"axG",@progbits,_ZN7rocprim17ROCPRIM_400000_NS6detail17trampoline_kernelINS0_13select_configILj256ELj13ELNS0_17block_load_methodE3ELS4_3ELS4_3ELNS0_20block_scan_algorithmE0ELj4294967295EEENS1_25partition_config_selectorILNS1_17partition_subalgoE3EjNS0_10empty_typeEbEEZZNS1_14partition_implILS8_3ELb0ES6_jNS0_17counting_iteratorIjlEEPS9_SE_NS0_5tupleIJPjSE_EEENSF_IJSE_SE_EEES9_SG_JZNS1_25segmented_radix_sort_implINS0_14default_configELb0EPKfPfPKlPlN2at6native12_GLOBAL__N_18offset_tEEE10hipError_tPvRmT1_PNSt15iterator_traitsISY_E10value_typeET2_T3_PNSZ_IS14_E10value_typeET4_jRbjT5_S1A_jjP12ihipStream_tbEUljE_EEESV_SW_SX_S14_S18_S1A_T6_T7_T9_mT8_S1C_bDpT10_ENKUlT_T0_E_clISt17integral_constantIbLb1EES1P_EEDaS1K_S1L_EUlS1K_E_NS1_11comp_targetILNS1_3genE10ELNS1_11target_archE1200ELNS1_3gpuE4ELNS1_3repE0EEENS1_30default_config_static_selectorELNS0_4arch9wavefront6targetE0EEEvSY_,comdat
.Lfunc_end1409:
	.size	_ZN7rocprim17ROCPRIM_400000_NS6detail17trampoline_kernelINS0_13select_configILj256ELj13ELNS0_17block_load_methodE3ELS4_3ELS4_3ELNS0_20block_scan_algorithmE0ELj4294967295EEENS1_25partition_config_selectorILNS1_17partition_subalgoE3EjNS0_10empty_typeEbEEZZNS1_14partition_implILS8_3ELb0ES6_jNS0_17counting_iteratorIjlEEPS9_SE_NS0_5tupleIJPjSE_EEENSF_IJSE_SE_EEES9_SG_JZNS1_25segmented_radix_sort_implINS0_14default_configELb0EPKfPfPKlPlN2at6native12_GLOBAL__N_18offset_tEEE10hipError_tPvRmT1_PNSt15iterator_traitsISY_E10value_typeET2_T3_PNSZ_IS14_E10value_typeET4_jRbjT5_S1A_jjP12ihipStream_tbEUljE_EEESV_SW_SX_S14_S18_S1A_T6_T7_T9_mT8_S1C_bDpT10_ENKUlT_T0_E_clISt17integral_constantIbLb1EES1P_EEDaS1K_S1L_EUlS1K_E_NS1_11comp_targetILNS1_3genE10ELNS1_11target_archE1200ELNS1_3gpuE4ELNS1_3repE0EEENS1_30default_config_static_selectorELNS0_4arch9wavefront6targetE0EEEvSY_, .Lfunc_end1409-_ZN7rocprim17ROCPRIM_400000_NS6detail17trampoline_kernelINS0_13select_configILj256ELj13ELNS0_17block_load_methodE3ELS4_3ELS4_3ELNS0_20block_scan_algorithmE0ELj4294967295EEENS1_25partition_config_selectorILNS1_17partition_subalgoE3EjNS0_10empty_typeEbEEZZNS1_14partition_implILS8_3ELb0ES6_jNS0_17counting_iteratorIjlEEPS9_SE_NS0_5tupleIJPjSE_EEENSF_IJSE_SE_EEES9_SG_JZNS1_25segmented_radix_sort_implINS0_14default_configELb0EPKfPfPKlPlN2at6native12_GLOBAL__N_18offset_tEEE10hipError_tPvRmT1_PNSt15iterator_traitsISY_E10value_typeET2_T3_PNSZ_IS14_E10value_typeET4_jRbjT5_S1A_jjP12ihipStream_tbEUljE_EEESV_SW_SX_S14_S18_S1A_T6_T7_T9_mT8_S1C_bDpT10_ENKUlT_T0_E_clISt17integral_constantIbLb1EES1P_EEDaS1K_S1L_EUlS1K_E_NS1_11comp_targetILNS1_3genE10ELNS1_11target_archE1200ELNS1_3gpuE4ELNS1_3repE0EEENS1_30default_config_static_selectorELNS0_4arch9wavefront6targetE0EEEvSY_
                                        ; -- End function
	.set _ZN7rocprim17ROCPRIM_400000_NS6detail17trampoline_kernelINS0_13select_configILj256ELj13ELNS0_17block_load_methodE3ELS4_3ELS4_3ELNS0_20block_scan_algorithmE0ELj4294967295EEENS1_25partition_config_selectorILNS1_17partition_subalgoE3EjNS0_10empty_typeEbEEZZNS1_14partition_implILS8_3ELb0ES6_jNS0_17counting_iteratorIjlEEPS9_SE_NS0_5tupleIJPjSE_EEENSF_IJSE_SE_EEES9_SG_JZNS1_25segmented_radix_sort_implINS0_14default_configELb0EPKfPfPKlPlN2at6native12_GLOBAL__N_18offset_tEEE10hipError_tPvRmT1_PNSt15iterator_traitsISY_E10value_typeET2_T3_PNSZ_IS14_E10value_typeET4_jRbjT5_S1A_jjP12ihipStream_tbEUljE_EEESV_SW_SX_S14_S18_S1A_T6_T7_T9_mT8_S1C_bDpT10_ENKUlT_T0_E_clISt17integral_constantIbLb1EES1P_EEDaS1K_S1L_EUlS1K_E_NS1_11comp_targetILNS1_3genE10ELNS1_11target_archE1200ELNS1_3gpuE4ELNS1_3repE0EEENS1_30default_config_static_selectorELNS0_4arch9wavefront6targetE0EEEvSY_.num_vgpr, 0
	.set _ZN7rocprim17ROCPRIM_400000_NS6detail17trampoline_kernelINS0_13select_configILj256ELj13ELNS0_17block_load_methodE3ELS4_3ELS4_3ELNS0_20block_scan_algorithmE0ELj4294967295EEENS1_25partition_config_selectorILNS1_17partition_subalgoE3EjNS0_10empty_typeEbEEZZNS1_14partition_implILS8_3ELb0ES6_jNS0_17counting_iteratorIjlEEPS9_SE_NS0_5tupleIJPjSE_EEENSF_IJSE_SE_EEES9_SG_JZNS1_25segmented_radix_sort_implINS0_14default_configELb0EPKfPfPKlPlN2at6native12_GLOBAL__N_18offset_tEEE10hipError_tPvRmT1_PNSt15iterator_traitsISY_E10value_typeET2_T3_PNSZ_IS14_E10value_typeET4_jRbjT5_S1A_jjP12ihipStream_tbEUljE_EEESV_SW_SX_S14_S18_S1A_T6_T7_T9_mT8_S1C_bDpT10_ENKUlT_T0_E_clISt17integral_constantIbLb1EES1P_EEDaS1K_S1L_EUlS1K_E_NS1_11comp_targetILNS1_3genE10ELNS1_11target_archE1200ELNS1_3gpuE4ELNS1_3repE0EEENS1_30default_config_static_selectorELNS0_4arch9wavefront6targetE0EEEvSY_.num_agpr, 0
	.set _ZN7rocprim17ROCPRIM_400000_NS6detail17trampoline_kernelINS0_13select_configILj256ELj13ELNS0_17block_load_methodE3ELS4_3ELS4_3ELNS0_20block_scan_algorithmE0ELj4294967295EEENS1_25partition_config_selectorILNS1_17partition_subalgoE3EjNS0_10empty_typeEbEEZZNS1_14partition_implILS8_3ELb0ES6_jNS0_17counting_iteratorIjlEEPS9_SE_NS0_5tupleIJPjSE_EEENSF_IJSE_SE_EEES9_SG_JZNS1_25segmented_radix_sort_implINS0_14default_configELb0EPKfPfPKlPlN2at6native12_GLOBAL__N_18offset_tEEE10hipError_tPvRmT1_PNSt15iterator_traitsISY_E10value_typeET2_T3_PNSZ_IS14_E10value_typeET4_jRbjT5_S1A_jjP12ihipStream_tbEUljE_EEESV_SW_SX_S14_S18_S1A_T6_T7_T9_mT8_S1C_bDpT10_ENKUlT_T0_E_clISt17integral_constantIbLb1EES1P_EEDaS1K_S1L_EUlS1K_E_NS1_11comp_targetILNS1_3genE10ELNS1_11target_archE1200ELNS1_3gpuE4ELNS1_3repE0EEENS1_30default_config_static_selectorELNS0_4arch9wavefront6targetE0EEEvSY_.numbered_sgpr, 0
	.set _ZN7rocprim17ROCPRIM_400000_NS6detail17trampoline_kernelINS0_13select_configILj256ELj13ELNS0_17block_load_methodE3ELS4_3ELS4_3ELNS0_20block_scan_algorithmE0ELj4294967295EEENS1_25partition_config_selectorILNS1_17partition_subalgoE3EjNS0_10empty_typeEbEEZZNS1_14partition_implILS8_3ELb0ES6_jNS0_17counting_iteratorIjlEEPS9_SE_NS0_5tupleIJPjSE_EEENSF_IJSE_SE_EEES9_SG_JZNS1_25segmented_radix_sort_implINS0_14default_configELb0EPKfPfPKlPlN2at6native12_GLOBAL__N_18offset_tEEE10hipError_tPvRmT1_PNSt15iterator_traitsISY_E10value_typeET2_T3_PNSZ_IS14_E10value_typeET4_jRbjT5_S1A_jjP12ihipStream_tbEUljE_EEESV_SW_SX_S14_S18_S1A_T6_T7_T9_mT8_S1C_bDpT10_ENKUlT_T0_E_clISt17integral_constantIbLb1EES1P_EEDaS1K_S1L_EUlS1K_E_NS1_11comp_targetILNS1_3genE10ELNS1_11target_archE1200ELNS1_3gpuE4ELNS1_3repE0EEENS1_30default_config_static_selectorELNS0_4arch9wavefront6targetE0EEEvSY_.num_named_barrier, 0
	.set _ZN7rocprim17ROCPRIM_400000_NS6detail17trampoline_kernelINS0_13select_configILj256ELj13ELNS0_17block_load_methodE3ELS4_3ELS4_3ELNS0_20block_scan_algorithmE0ELj4294967295EEENS1_25partition_config_selectorILNS1_17partition_subalgoE3EjNS0_10empty_typeEbEEZZNS1_14partition_implILS8_3ELb0ES6_jNS0_17counting_iteratorIjlEEPS9_SE_NS0_5tupleIJPjSE_EEENSF_IJSE_SE_EEES9_SG_JZNS1_25segmented_radix_sort_implINS0_14default_configELb0EPKfPfPKlPlN2at6native12_GLOBAL__N_18offset_tEEE10hipError_tPvRmT1_PNSt15iterator_traitsISY_E10value_typeET2_T3_PNSZ_IS14_E10value_typeET4_jRbjT5_S1A_jjP12ihipStream_tbEUljE_EEESV_SW_SX_S14_S18_S1A_T6_T7_T9_mT8_S1C_bDpT10_ENKUlT_T0_E_clISt17integral_constantIbLb1EES1P_EEDaS1K_S1L_EUlS1K_E_NS1_11comp_targetILNS1_3genE10ELNS1_11target_archE1200ELNS1_3gpuE4ELNS1_3repE0EEENS1_30default_config_static_selectorELNS0_4arch9wavefront6targetE0EEEvSY_.private_seg_size, 0
	.set _ZN7rocprim17ROCPRIM_400000_NS6detail17trampoline_kernelINS0_13select_configILj256ELj13ELNS0_17block_load_methodE3ELS4_3ELS4_3ELNS0_20block_scan_algorithmE0ELj4294967295EEENS1_25partition_config_selectorILNS1_17partition_subalgoE3EjNS0_10empty_typeEbEEZZNS1_14partition_implILS8_3ELb0ES6_jNS0_17counting_iteratorIjlEEPS9_SE_NS0_5tupleIJPjSE_EEENSF_IJSE_SE_EEES9_SG_JZNS1_25segmented_radix_sort_implINS0_14default_configELb0EPKfPfPKlPlN2at6native12_GLOBAL__N_18offset_tEEE10hipError_tPvRmT1_PNSt15iterator_traitsISY_E10value_typeET2_T3_PNSZ_IS14_E10value_typeET4_jRbjT5_S1A_jjP12ihipStream_tbEUljE_EEESV_SW_SX_S14_S18_S1A_T6_T7_T9_mT8_S1C_bDpT10_ENKUlT_T0_E_clISt17integral_constantIbLb1EES1P_EEDaS1K_S1L_EUlS1K_E_NS1_11comp_targetILNS1_3genE10ELNS1_11target_archE1200ELNS1_3gpuE4ELNS1_3repE0EEENS1_30default_config_static_selectorELNS0_4arch9wavefront6targetE0EEEvSY_.uses_vcc, 0
	.set _ZN7rocprim17ROCPRIM_400000_NS6detail17trampoline_kernelINS0_13select_configILj256ELj13ELNS0_17block_load_methodE3ELS4_3ELS4_3ELNS0_20block_scan_algorithmE0ELj4294967295EEENS1_25partition_config_selectorILNS1_17partition_subalgoE3EjNS0_10empty_typeEbEEZZNS1_14partition_implILS8_3ELb0ES6_jNS0_17counting_iteratorIjlEEPS9_SE_NS0_5tupleIJPjSE_EEENSF_IJSE_SE_EEES9_SG_JZNS1_25segmented_radix_sort_implINS0_14default_configELb0EPKfPfPKlPlN2at6native12_GLOBAL__N_18offset_tEEE10hipError_tPvRmT1_PNSt15iterator_traitsISY_E10value_typeET2_T3_PNSZ_IS14_E10value_typeET4_jRbjT5_S1A_jjP12ihipStream_tbEUljE_EEESV_SW_SX_S14_S18_S1A_T6_T7_T9_mT8_S1C_bDpT10_ENKUlT_T0_E_clISt17integral_constantIbLb1EES1P_EEDaS1K_S1L_EUlS1K_E_NS1_11comp_targetILNS1_3genE10ELNS1_11target_archE1200ELNS1_3gpuE4ELNS1_3repE0EEENS1_30default_config_static_selectorELNS0_4arch9wavefront6targetE0EEEvSY_.uses_flat_scratch, 0
	.set _ZN7rocprim17ROCPRIM_400000_NS6detail17trampoline_kernelINS0_13select_configILj256ELj13ELNS0_17block_load_methodE3ELS4_3ELS4_3ELNS0_20block_scan_algorithmE0ELj4294967295EEENS1_25partition_config_selectorILNS1_17partition_subalgoE3EjNS0_10empty_typeEbEEZZNS1_14partition_implILS8_3ELb0ES6_jNS0_17counting_iteratorIjlEEPS9_SE_NS0_5tupleIJPjSE_EEENSF_IJSE_SE_EEES9_SG_JZNS1_25segmented_radix_sort_implINS0_14default_configELb0EPKfPfPKlPlN2at6native12_GLOBAL__N_18offset_tEEE10hipError_tPvRmT1_PNSt15iterator_traitsISY_E10value_typeET2_T3_PNSZ_IS14_E10value_typeET4_jRbjT5_S1A_jjP12ihipStream_tbEUljE_EEESV_SW_SX_S14_S18_S1A_T6_T7_T9_mT8_S1C_bDpT10_ENKUlT_T0_E_clISt17integral_constantIbLb1EES1P_EEDaS1K_S1L_EUlS1K_E_NS1_11comp_targetILNS1_3genE10ELNS1_11target_archE1200ELNS1_3gpuE4ELNS1_3repE0EEENS1_30default_config_static_selectorELNS0_4arch9wavefront6targetE0EEEvSY_.has_dyn_sized_stack, 0
	.set _ZN7rocprim17ROCPRIM_400000_NS6detail17trampoline_kernelINS0_13select_configILj256ELj13ELNS0_17block_load_methodE3ELS4_3ELS4_3ELNS0_20block_scan_algorithmE0ELj4294967295EEENS1_25partition_config_selectorILNS1_17partition_subalgoE3EjNS0_10empty_typeEbEEZZNS1_14partition_implILS8_3ELb0ES6_jNS0_17counting_iteratorIjlEEPS9_SE_NS0_5tupleIJPjSE_EEENSF_IJSE_SE_EEES9_SG_JZNS1_25segmented_radix_sort_implINS0_14default_configELb0EPKfPfPKlPlN2at6native12_GLOBAL__N_18offset_tEEE10hipError_tPvRmT1_PNSt15iterator_traitsISY_E10value_typeET2_T3_PNSZ_IS14_E10value_typeET4_jRbjT5_S1A_jjP12ihipStream_tbEUljE_EEESV_SW_SX_S14_S18_S1A_T6_T7_T9_mT8_S1C_bDpT10_ENKUlT_T0_E_clISt17integral_constantIbLb1EES1P_EEDaS1K_S1L_EUlS1K_E_NS1_11comp_targetILNS1_3genE10ELNS1_11target_archE1200ELNS1_3gpuE4ELNS1_3repE0EEENS1_30default_config_static_selectorELNS0_4arch9wavefront6targetE0EEEvSY_.has_recursion, 0
	.set _ZN7rocprim17ROCPRIM_400000_NS6detail17trampoline_kernelINS0_13select_configILj256ELj13ELNS0_17block_load_methodE3ELS4_3ELS4_3ELNS0_20block_scan_algorithmE0ELj4294967295EEENS1_25partition_config_selectorILNS1_17partition_subalgoE3EjNS0_10empty_typeEbEEZZNS1_14partition_implILS8_3ELb0ES6_jNS0_17counting_iteratorIjlEEPS9_SE_NS0_5tupleIJPjSE_EEENSF_IJSE_SE_EEES9_SG_JZNS1_25segmented_radix_sort_implINS0_14default_configELb0EPKfPfPKlPlN2at6native12_GLOBAL__N_18offset_tEEE10hipError_tPvRmT1_PNSt15iterator_traitsISY_E10value_typeET2_T3_PNSZ_IS14_E10value_typeET4_jRbjT5_S1A_jjP12ihipStream_tbEUljE_EEESV_SW_SX_S14_S18_S1A_T6_T7_T9_mT8_S1C_bDpT10_ENKUlT_T0_E_clISt17integral_constantIbLb1EES1P_EEDaS1K_S1L_EUlS1K_E_NS1_11comp_targetILNS1_3genE10ELNS1_11target_archE1200ELNS1_3gpuE4ELNS1_3repE0EEENS1_30default_config_static_selectorELNS0_4arch9wavefront6targetE0EEEvSY_.has_indirect_call, 0
	.section	.AMDGPU.csdata,"",@progbits
; Kernel info:
; codeLenInByte = 4
; TotalNumSgprs: 0
; NumVgprs: 0
; ScratchSize: 0
; MemoryBound: 0
; FloatMode: 240
; IeeeMode: 1
; LDSByteSize: 0 bytes/workgroup (compile time only)
; SGPRBlocks: 0
; VGPRBlocks: 0
; NumSGPRsForWavesPerEU: 1
; NumVGPRsForWavesPerEU: 1
; Occupancy: 16
; WaveLimiterHint : 0
; COMPUTE_PGM_RSRC2:SCRATCH_EN: 0
; COMPUTE_PGM_RSRC2:USER_SGPR: 2
; COMPUTE_PGM_RSRC2:TRAP_HANDLER: 0
; COMPUTE_PGM_RSRC2:TGID_X_EN: 1
; COMPUTE_PGM_RSRC2:TGID_Y_EN: 0
; COMPUTE_PGM_RSRC2:TGID_Z_EN: 0
; COMPUTE_PGM_RSRC2:TIDIG_COMP_CNT: 0
	.section	.text._ZN7rocprim17ROCPRIM_400000_NS6detail17trampoline_kernelINS0_13select_configILj256ELj13ELNS0_17block_load_methodE3ELS4_3ELS4_3ELNS0_20block_scan_algorithmE0ELj4294967295EEENS1_25partition_config_selectorILNS1_17partition_subalgoE3EjNS0_10empty_typeEbEEZZNS1_14partition_implILS8_3ELb0ES6_jNS0_17counting_iteratorIjlEEPS9_SE_NS0_5tupleIJPjSE_EEENSF_IJSE_SE_EEES9_SG_JZNS1_25segmented_radix_sort_implINS0_14default_configELb0EPKfPfPKlPlN2at6native12_GLOBAL__N_18offset_tEEE10hipError_tPvRmT1_PNSt15iterator_traitsISY_E10value_typeET2_T3_PNSZ_IS14_E10value_typeET4_jRbjT5_S1A_jjP12ihipStream_tbEUljE_EEESV_SW_SX_S14_S18_S1A_T6_T7_T9_mT8_S1C_bDpT10_ENKUlT_T0_E_clISt17integral_constantIbLb1EES1P_EEDaS1K_S1L_EUlS1K_E_NS1_11comp_targetILNS1_3genE9ELNS1_11target_archE1100ELNS1_3gpuE3ELNS1_3repE0EEENS1_30default_config_static_selectorELNS0_4arch9wavefront6targetE0EEEvSY_,"axG",@progbits,_ZN7rocprim17ROCPRIM_400000_NS6detail17trampoline_kernelINS0_13select_configILj256ELj13ELNS0_17block_load_methodE3ELS4_3ELS4_3ELNS0_20block_scan_algorithmE0ELj4294967295EEENS1_25partition_config_selectorILNS1_17partition_subalgoE3EjNS0_10empty_typeEbEEZZNS1_14partition_implILS8_3ELb0ES6_jNS0_17counting_iteratorIjlEEPS9_SE_NS0_5tupleIJPjSE_EEENSF_IJSE_SE_EEES9_SG_JZNS1_25segmented_radix_sort_implINS0_14default_configELb0EPKfPfPKlPlN2at6native12_GLOBAL__N_18offset_tEEE10hipError_tPvRmT1_PNSt15iterator_traitsISY_E10value_typeET2_T3_PNSZ_IS14_E10value_typeET4_jRbjT5_S1A_jjP12ihipStream_tbEUljE_EEESV_SW_SX_S14_S18_S1A_T6_T7_T9_mT8_S1C_bDpT10_ENKUlT_T0_E_clISt17integral_constantIbLb1EES1P_EEDaS1K_S1L_EUlS1K_E_NS1_11comp_targetILNS1_3genE9ELNS1_11target_archE1100ELNS1_3gpuE3ELNS1_3repE0EEENS1_30default_config_static_selectorELNS0_4arch9wavefront6targetE0EEEvSY_,comdat
	.globl	_ZN7rocprim17ROCPRIM_400000_NS6detail17trampoline_kernelINS0_13select_configILj256ELj13ELNS0_17block_load_methodE3ELS4_3ELS4_3ELNS0_20block_scan_algorithmE0ELj4294967295EEENS1_25partition_config_selectorILNS1_17partition_subalgoE3EjNS0_10empty_typeEbEEZZNS1_14partition_implILS8_3ELb0ES6_jNS0_17counting_iteratorIjlEEPS9_SE_NS0_5tupleIJPjSE_EEENSF_IJSE_SE_EEES9_SG_JZNS1_25segmented_radix_sort_implINS0_14default_configELb0EPKfPfPKlPlN2at6native12_GLOBAL__N_18offset_tEEE10hipError_tPvRmT1_PNSt15iterator_traitsISY_E10value_typeET2_T3_PNSZ_IS14_E10value_typeET4_jRbjT5_S1A_jjP12ihipStream_tbEUljE_EEESV_SW_SX_S14_S18_S1A_T6_T7_T9_mT8_S1C_bDpT10_ENKUlT_T0_E_clISt17integral_constantIbLb1EES1P_EEDaS1K_S1L_EUlS1K_E_NS1_11comp_targetILNS1_3genE9ELNS1_11target_archE1100ELNS1_3gpuE3ELNS1_3repE0EEENS1_30default_config_static_selectorELNS0_4arch9wavefront6targetE0EEEvSY_ ; -- Begin function _ZN7rocprim17ROCPRIM_400000_NS6detail17trampoline_kernelINS0_13select_configILj256ELj13ELNS0_17block_load_methodE3ELS4_3ELS4_3ELNS0_20block_scan_algorithmE0ELj4294967295EEENS1_25partition_config_selectorILNS1_17partition_subalgoE3EjNS0_10empty_typeEbEEZZNS1_14partition_implILS8_3ELb0ES6_jNS0_17counting_iteratorIjlEEPS9_SE_NS0_5tupleIJPjSE_EEENSF_IJSE_SE_EEES9_SG_JZNS1_25segmented_radix_sort_implINS0_14default_configELb0EPKfPfPKlPlN2at6native12_GLOBAL__N_18offset_tEEE10hipError_tPvRmT1_PNSt15iterator_traitsISY_E10value_typeET2_T3_PNSZ_IS14_E10value_typeET4_jRbjT5_S1A_jjP12ihipStream_tbEUljE_EEESV_SW_SX_S14_S18_S1A_T6_T7_T9_mT8_S1C_bDpT10_ENKUlT_T0_E_clISt17integral_constantIbLb1EES1P_EEDaS1K_S1L_EUlS1K_E_NS1_11comp_targetILNS1_3genE9ELNS1_11target_archE1100ELNS1_3gpuE3ELNS1_3repE0EEENS1_30default_config_static_selectorELNS0_4arch9wavefront6targetE0EEEvSY_
	.p2align	8
	.type	_ZN7rocprim17ROCPRIM_400000_NS6detail17trampoline_kernelINS0_13select_configILj256ELj13ELNS0_17block_load_methodE3ELS4_3ELS4_3ELNS0_20block_scan_algorithmE0ELj4294967295EEENS1_25partition_config_selectorILNS1_17partition_subalgoE3EjNS0_10empty_typeEbEEZZNS1_14partition_implILS8_3ELb0ES6_jNS0_17counting_iteratorIjlEEPS9_SE_NS0_5tupleIJPjSE_EEENSF_IJSE_SE_EEES9_SG_JZNS1_25segmented_radix_sort_implINS0_14default_configELb0EPKfPfPKlPlN2at6native12_GLOBAL__N_18offset_tEEE10hipError_tPvRmT1_PNSt15iterator_traitsISY_E10value_typeET2_T3_PNSZ_IS14_E10value_typeET4_jRbjT5_S1A_jjP12ihipStream_tbEUljE_EEESV_SW_SX_S14_S18_S1A_T6_T7_T9_mT8_S1C_bDpT10_ENKUlT_T0_E_clISt17integral_constantIbLb1EES1P_EEDaS1K_S1L_EUlS1K_E_NS1_11comp_targetILNS1_3genE9ELNS1_11target_archE1100ELNS1_3gpuE3ELNS1_3repE0EEENS1_30default_config_static_selectorELNS0_4arch9wavefront6targetE0EEEvSY_,@function
_ZN7rocprim17ROCPRIM_400000_NS6detail17trampoline_kernelINS0_13select_configILj256ELj13ELNS0_17block_load_methodE3ELS4_3ELS4_3ELNS0_20block_scan_algorithmE0ELj4294967295EEENS1_25partition_config_selectorILNS1_17partition_subalgoE3EjNS0_10empty_typeEbEEZZNS1_14partition_implILS8_3ELb0ES6_jNS0_17counting_iteratorIjlEEPS9_SE_NS0_5tupleIJPjSE_EEENSF_IJSE_SE_EEES9_SG_JZNS1_25segmented_radix_sort_implINS0_14default_configELb0EPKfPfPKlPlN2at6native12_GLOBAL__N_18offset_tEEE10hipError_tPvRmT1_PNSt15iterator_traitsISY_E10value_typeET2_T3_PNSZ_IS14_E10value_typeET4_jRbjT5_S1A_jjP12ihipStream_tbEUljE_EEESV_SW_SX_S14_S18_S1A_T6_T7_T9_mT8_S1C_bDpT10_ENKUlT_T0_E_clISt17integral_constantIbLb1EES1P_EEDaS1K_S1L_EUlS1K_E_NS1_11comp_targetILNS1_3genE9ELNS1_11target_archE1100ELNS1_3gpuE3ELNS1_3repE0EEENS1_30default_config_static_selectorELNS0_4arch9wavefront6targetE0EEEvSY_: ; @_ZN7rocprim17ROCPRIM_400000_NS6detail17trampoline_kernelINS0_13select_configILj256ELj13ELNS0_17block_load_methodE3ELS4_3ELS4_3ELNS0_20block_scan_algorithmE0ELj4294967295EEENS1_25partition_config_selectorILNS1_17partition_subalgoE3EjNS0_10empty_typeEbEEZZNS1_14partition_implILS8_3ELb0ES6_jNS0_17counting_iteratorIjlEEPS9_SE_NS0_5tupleIJPjSE_EEENSF_IJSE_SE_EEES9_SG_JZNS1_25segmented_radix_sort_implINS0_14default_configELb0EPKfPfPKlPlN2at6native12_GLOBAL__N_18offset_tEEE10hipError_tPvRmT1_PNSt15iterator_traitsISY_E10value_typeET2_T3_PNSZ_IS14_E10value_typeET4_jRbjT5_S1A_jjP12ihipStream_tbEUljE_EEESV_SW_SX_S14_S18_S1A_T6_T7_T9_mT8_S1C_bDpT10_ENKUlT_T0_E_clISt17integral_constantIbLb1EES1P_EEDaS1K_S1L_EUlS1K_E_NS1_11comp_targetILNS1_3genE9ELNS1_11target_archE1100ELNS1_3gpuE3ELNS1_3repE0EEENS1_30default_config_static_selectorELNS0_4arch9wavefront6targetE0EEEvSY_
; %bb.0:
	.section	.rodata,"a",@progbits
	.p2align	6, 0x0
	.amdhsa_kernel _ZN7rocprim17ROCPRIM_400000_NS6detail17trampoline_kernelINS0_13select_configILj256ELj13ELNS0_17block_load_methodE3ELS4_3ELS4_3ELNS0_20block_scan_algorithmE0ELj4294967295EEENS1_25partition_config_selectorILNS1_17partition_subalgoE3EjNS0_10empty_typeEbEEZZNS1_14partition_implILS8_3ELb0ES6_jNS0_17counting_iteratorIjlEEPS9_SE_NS0_5tupleIJPjSE_EEENSF_IJSE_SE_EEES9_SG_JZNS1_25segmented_radix_sort_implINS0_14default_configELb0EPKfPfPKlPlN2at6native12_GLOBAL__N_18offset_tEEE10hipError_tPvRmT1_PNSt15iterator_traitsISY_E10value_typeET2_T3_PNSZ_IS14_E10value_typeET4_jRbjT5_S1A_jjP12ihipStream_tbEUljE_EEESV_SW_SX_S14_S18_S1A_T6_T7_T9_mT8_S1C_bDpT10_ENKUlT_T0_E_clISt17integral_constantIbLb1EES1P_EEDaS1K_S1L_EUlS1K_E_NS1_11comp_targetILNS1_3genE9ELNS1_11target_archE1100ELNS1_3gpuE3ELNS1_3repE0EEENS1_30default_config_static_selectorELNS0_4arch9wavefront6targetE0EEEvSY_
		.amdhsa_group_segment_fixed_size 0
		.amdhsa_private_segment_fixed_size 0
		.amdhsa_kernarg_size 152
		.amdhsa_user_sgpr_count 2
		.amdhsa_user_sgpr_dispatch_ptr 0
		.amdhsa_user_sgpr_queue_ptr 0
		.amdhsa_user_sgpr_kernarg_segment_ptr 1
		.amdhsa_user_sgpr_dispatch_id 0
		.amdhsa_user_sgpr_private_segment_size 0
		.amdhsa_wavefront_size32 1
		.amdhsa_uses_dynamic_stack 0
		.amdhsa_enable_private_segment 0
		.amdhsa_system_sgpr_workgroup_id_x 1
		.amdhsa_system_sgpr_workgroup_id_y 0
		.amdhsa_system_sgpr_workgroup_id_z 0
		.amdhsa_system_sgpr_workgroup_info 0
		.amdhsa_system_vgpr_workitem_id 0
		.amdhsa_next_free_vgpr 1
		.amdhsa_next_free_sgpr 1
		.amdhsa_reserve_vcc 0
		.amdhsa_float_round_mode_32 0
		.amdhsa_float_round_mode_16_64 0
		.amdhsa_float_denorm_mode_32 3
		.amdhsa_float_denorm_mode_16_64 3
		.amdhsa_fp16_overflow 0
		.amdhsa_workgroup_processor_mode 1
		.amdhsa_memory_ordered 1
		.amdhsa_forward_progress 1
		.amdhsa_inst_pref_size 0
		.amdhsa_round_robin_scheduling 0
		.amdhsa_exception_fp_ieee_invalid_op 0
		.amdhsa_exception_fp_denorm_src 0
		.amdhsa_exception_fp_ieee_div_zero 0
		.amdhsa_exception_fp_ieee_overflow 0
		.amdhsa_exception_fp_ieee_underflow 0
		.amdhsa_exception_fp_ieee_inexact 0
		.amdhsa_exception_int_div_zero 0
	.end_amdhsa_kernel
	.section	.text._ZN7rocprim17ROCPRIM_400000_NS6detail17trampoline_kernelINS0_13select_configILj256ELj13ELNS0_17block_load_methodE3ELS4_3ELS4_3ELNS0_20block_scan_algorithmE0ELj4294967295EEENS1_25partition_config_selectorILNS1_17partition_subalgoE3EjNS0_10empty_typeEbEEZZNS1_14partition_implILS8_3ELb0ES6_jNS0_17counting_iteratorIjlEEPS9_SE_NS0_5tupleIJPjSE_EEENSF_IJSE_SE_EEES9_SG_JZNS1_25segmented_radix_sort_implINS0_14default_configELb0EPKfPfPKlPlN2at6native12_GLOBAL__N_18offset_tEEE10hipError_tPvRmT1_PNSt15iterator_traitsISY_E10value_typeET2_T3_PNSZ_IS14_E10value_typeET4_jRbjT5_S1A_jjP12ihipStream_tbEUljE_EEESV_SW_SX_S14_S18_S1A_T6_T7_T9_mT8_S1C_bDpT10_ENKUlT_T0_E_clISt17integral_constantIbLb1EES1P_EEDaS1K_S1L_EUlS1K_E_NS1_11comp_targetILNS1_3genE9ELNS1_11target_archE1100ELNS1_3gpuE3ELNS1_3repE0EEENS1_30default_config_static_selectorELNS0_4arch9wavefront6targetE0EEEvSY_,"axG",@progbits,_ZN7rocprim17ROCPRIM_400000_NS6detail17trampoline_kernelINS0_13select_configILj256ELj13ELNS0_17block_load_methodE3ELS4_3ELS4_3ELNS0_20block_scan_algorithmE0ELj4294967295EEENS1_25partition_config_selectorILNS1_17partition_subalgoE3EjNS0_10empty_typeEbEEZZNS1_14partition_implILS8_3ELb0ES6_jNS0_17counting_iteratorIjlEEPS9_SE_NS0_5tupleIJPjSE_EEENSF_IJSE_SE_EEES9_SG_JZNS1_25segmented_radix_sort_implINS0_14default_configELb0EPKfPfPKlPlN2at6native12_GLOBAL__N_18offset_tEEE10hipError_tPvRmT1_PNSt15iterator_traitsISY_E10value_typeET2_T3_PNSZ_IS14_E10value_typeET4_jRbjT5_S1A_jjP12ihipStream_tbEUljE_EEESV_SW_SX_S14_S18_S1A_T6_T7_T9_mT8_S1C_bDpT10_ENKUlT_T0_E_clISt17integral_constantIbLb1EES1P_EEDaS1K_S1L_EUlS1K_E_NS1_11comp_targetILNS1_3genE9ELNS1_11target_archE1100ELNS1_3gpuE3ELNS1_3repE0EEENS1_30default_config_static_selectorELNS0_4arch9wavefront6targetE0EEEvSY_,comdat
.Lfunc_end1410:
	.size	_ZN7rocprim17ROCPRIM_400000_NS6detail17trampoline_kernelINS0_13select_configILj256ELj13ELNS0_17block_load_methodE3ELS4_3ELS4_3ELNS0_20block_scan_algorithmE0ELj4294967295EEENS1_25partition_config_selectorILNS1_17partition_subalgoE3EjNS0_10empty_typeEbEEZZNS1_14partition_implILS8_3ELb0ES6_jNS0_17counting_iteratorIjlEEPS9_SE_NS0_5tupleIJPjSE_EEENSF_IJSE_SE_EEES9_SG_JZNS1_25segmented_radix_sort_implINS0_14default_configELb0EPKfPfPKlPlN2at6native12_GLOBAL__N_18offset_tEEE10hipError_tPvRmT1_PNSt15iterator_traitsISY_E10value_typeET2_T3_PNSZ_IS14_E10value_typeET4_jRbjT5_S1A_jjP12ihipStream_tbEUljE_EEESV_SW_SX_S14_S18_S1A_T6_T7_T9_mT8_S1C_bDpT10_ENKUlT_T0_E_clISt17integral_constantIbLb1EES1P_EEDaS1K_S1L_EUlS1K_E_NS1_11comp_targetILNS1_3genE9ELNS1_11target_archE1100ELNS1_3gpuE3ELNS1_3repE0EEENS1_30default_config_static_selectorELNS0_4arch9wavefront6targetE0EEEvSY_, .Lfunc_end1410-_ZN7rocprim17ROCPRIM_400000_NS6detail17trampoline_kernelINS0_13select_configILj256ELj13ELNS0_17block_load_methodE3ELS4_3ELS4_3ELNS0_20block_scan_algorithmE0ELj4294967295EEENS1_25partition_config_selectorILNS1_17partition_subalgoE3EjNS0_10empty_typeEbEEZZNS1_14partition_implILS8_3ELb0ES6_jNS0_17counting_iteratorIjlEEPS9_SE_NS0_5tupleIJPjSE_EEENSF_IJSE_SE_EEES9_SG_JZNS1_25segmented_radix_sort_implINS0_14default_configELb0EPKfPfPKlPlN2at6native12_GLOBAL__N_18offset_tEEE10hipError_tPvRmT1_PNSt15iterator_traitsISY_E10value_typeET2_T3_PNSZ_IS14_E10value_typeET4_jRbjT5_S1A_jjP12ihipStream_tbEUljE_EEESV_SW_SX_S14_S18_S1A_T6_T7_T9_mT8_S1C_bDpT10_ENKUlT_T0_E_clISt17integral_constantIbLb1EES1P_EEDaS1K_S1L_EUlS1K_E_NS1_11comp_targetILNS1_3genE9ELNS1_11target_archE1100ELNS1_3gpuE3ELNS1_3repE0EEENS1_30default_config_static_selectorELNS0_4arch9wavefront6targetE0EEEvSY_
                                        ; -- End function
	.set _ZN7rocprim17ROCPRIM_400000_NS6detail17trampoline_kernelINS0_13select_configILj256ELj13ELNS0_17block_load_methodE3ELS4_3ELS4_3ELNS0_20block_scan_algorithmE0ELj4294967295EEENS1_25partition_config_selectorILNS1_17partition_subalgoE3EjNS0_10empty_typeEbEEZZNS1_14partition_implILS8_3ELb0ES6_jNS0_17counting_iteratorIjlEEPS9_SE_NS0_5tupleIJPjSE_EEENSF_IJSE_SE_EEES9_SG_JZNS1_25segmented_radix_sort_implINS0_14default_configELb0EPKfPfPKlPlN2at6native12_GLOBAL__N_18offset_tEEE10hipError_tPvRmT1_PNSt15iterator_traitsISY_E10value_typeET2_T3_PNSZ_IS14_E10value_typeET4_jRbjT5_S1A_jjP12ihipStream_tbEUljE_EEESV_SW_SX_S14_S18_S1A_T6_T7_T9_mT8_S1C_bDpT10_ENKUlT_T0_E_clISt17integral_constantIbLb1EES1P_EEDaS1K_S1L_EUlS1K_E_NS1_11comp_targetILNS1_3genE9ELNS1_11target_archE1100ELNS1_3gpuE3ELNS1_3repE0EEENS1_30default_config_static_selectorELNS0_4arch9wavefront6targetE0EEEvSY_.num_vgpr, 0
	.set _ZN7rocprim17ROCPRIM_400000_NS6detail17trampoline_kernelINS0_13select_configILj256ELj13ELNS0_17block_load_methodE3ELS4_3ELS4_3ELNS0_20block_scan_algorithmE0ELj4294967295EEENS1_25partition_config_selectorILNS1_17partition_subalgoE3EjNS0_10empty_typeEbEEZZNS1_14partition_implILS8_3ELb0ES6_jNS0_17counting_iteratorIjlEEPS9_SE_NS0_5tupleIJPjSE_EEENSF_IJSE_SE_EEES9_SG_JZNS1_25segmented_radix_sort_implINS0_14default_configELb0EPKfPfPKlPlN2at6native12_GLOBAL__N_18offset_tEEE10hipError_tPvRmT1_PNSt15iterator_traitsISY_E10value_typeET2_T3_PNSZ_IS14_E10value_typeET4_jRbjT5_S1A_jjP12ihipStream_tbEUljE_EEESV_SW_SX_S14_S18_S1A_T6_T7_T9_mT8_S1C_bDpT10_ENKUlT_T0_E_clISt17integral_constantIbLb1EES1P_EEDaS1K_S1L_EUlS1K_E_NS1_11comp_targetILNS1_3genE9ELNS1_11target_archE1100ELNS1_3gpuE3ELNS1_3repE0EEENS1_30default_config_static_selectorELNS0_4arch9wavefront6targetE0EEEvSY_.num_agpr, 0
	.set _ZN7rocprim17ROCPRIM_400000_NS6detail17trampoline_kernelINS0_13select_configILj256ELj13ELNS0_17block_load_methodE3ELS4_3ELS4_3ELNS0_20block_scan_algorithmE0ELj4294967295EEENS1_25partition_config_selectorILNS1_17partition_subalgoE3EjNS0_10empty_typeEbEEZZNS1_14partition_implILS8_3ELb0ES6_jNS0_17counting_iteratorIjlEEPS9_SE_NS0_5tupleIJPjSE_EEENSF_IJSE_SE_EEES9_SG_JZNS1_25segmented_radix_sort_implINS0_14default_configELb0EPKfPfPKlPlN2at6native12_GLOBAL__N_18offset_tEEE10hipError_tPvRmT1_PNSt15iterator_traitsISY_E10value_typeET2_T3_PNSZ_IS14_E10value_typeET4_jRbjT5_S1A_jjP12ihipStream_tbEUljE_EEESV_SW_SX_S14_S18_S1A_T6_T7_T9_mT8_S1C_bDpT10_ENKUlT_T0_E_clISt17integral_constantIbLb1EES1P_EEDaS1K_S1L_EUlS1K_E_NS1_11comp_targetILNS1_3genE9ELNS1_11target_archE1100ELNS1_3gpuE3ELNS1_3repE0EEENS1_30default_config_static_selectorELNS0_4arch9wavefront6targetE0EEEvSY_.numbered_sgpr, 0
	.set _ZN7rocprim17ROCPRIM_400000_NS6detail17trampoline_kernelINS0_13select_configILj256ELj13ELNS0_17block_load_methodE3ELS4_3ELS4_3ELNS0_20block_scan_algorithmE0ELj4294967295EEENS1_25partition_config_selectorILNS1_17partition_subalgoE3EjNS0_10empty_typeEbEEZZNS1_14partition_implILS8_3ELb0ES6_jNS0_17counting_iteratorIjlEEPS9_SE_NS0_5tupleIJPjSE_EEENSF_IJSE_SE_EEES9_SG_JZNS1_25segmented_radix_sort_implINS0_14default_configELb0EPKfPfPKlPlN2at6native12_GLOBAL__N_18offset_tEEE10hipError_tPvRmT1_PNSt15iterator_traitsISY_E10value_typeET2_T3_PNSZ_IS14_E10value_typeET4_jRbjT5_S1A_jjP12ihipStream_tbEUljE_EEESV_SW_SX_S14_S18_S1A_T6_T7_T9_mT8_S1C_bDpT10_ENKUlT_T0_E_clISt17integral_constantIbLb1EES1P_EEDaS1K_S1L_EUlS1K_E_NS1_11comp_targetILNS1_3genE9ELNS1_11target_archE1100ELNS1_3gpuE3ELNS1_3repE0EEENS1_30default_config_static_selectorELNS0_4arch9wavefront6targetE0EEEvSY_.num_named_barrier, 0
	.set _ZN7rocprim17ROCPRIM_400000_NS6detail17trampoline_kernelINS0_13select_configILj256ELj13ELNS0_17block_load_methodE3ELS4_3ELS4_3ELNS0_20block_scan_algorithmE0ELj4294967295EEENS1_25partition_config_selectorILNS1_17partition_subalgoE3EjNS0_10empty_typeEbEEZZNS1_14partition_implILS8_3ELb0ES6_jNS0_17counting_iteratorIjlEEPS9_SE_NS0_5tupleIJPjSE_EEENSF_IJSE_SE_EEES9_SG_JZNS1_25segmented_radix_sort_implINS0_14default_configELb0EPKfPfPKlPlN2at6native12_GLOBAL__N_18offset_tEEE10hipError_tPvRmT1_PNSt15iterator_traitsISY_E10value_typeET2_T3_PNSZ_IS14_E10value_typeET4_jRbjT5_S1A_jjP12ihipStream_tbEUljE_EEESV_SW_SX_S14_S18_S1A_T6_T7_T9_mT8_S1C_bDpT10_ENKUlT_T0_E_clISt17integral_constantIbLb1EES1P_EEDaS1K_S1L_EUlS1K_E_NS1_11comp_targetILNS1_3genE9ELNS1_11target_archE1100ELNS1_3gpuE3ELNS1_3repE0EEENS1_30default_config_static_selectorELNS0_4arch9wavefront6targetE0EEEvSY_.private_seg_size, 0
	.set _ZN7rocprim17ROCPRIM_400000_NS6detail17trampoline_kernelINS0_13select_configILj256ELj13ELNS0_17block_load_methodE3ELS4_3ELS4_3ELNS0_20block_scan_algorithmE0ELj4294967295EEENS1_25partition_config_selectorILNS1_17partition_subalgoE3EjNS0_10empty_typeEbEEZZNS1_14partition_implILS8_3ELb0ES6_jNS0_17counting_iteratorIjlEEPS9_SE_NS0_5tupleIJPjSE_EEENSF_IJSE_SE_EEES9_SG_JZNS1_25segmented_radix_sort_implINS0_14default_configELb0EPKfPfPKlPlN2at6native12_GLOBAL__N_18offset_tEEE10hipError_tPvRmT1_PNSt15iterator_traitsISY_E10value_typeET2_T3_PNSZ_IS14_E10value_typeET4_jRbjT5_S1A_jjP12ihipStream_tbEUljE_EEESV_SW_SX_S14_S18_S1A_T6_T7_T9_mT8_S1C_bDpT10_ENKUlT_T0_E_clISt17integral_constantIbLb1EES1P_EEDaS1K_S1L_EUlS1K_E_NS1_11comp_targetILNS1_3genE9ELNS1_11target_archE1100ELNS1_3gpuE3ELNS1_3repE0EEENS1_30default_config_static_selectorELNS0_4arch9wavefront6targetE0EEEvSY_.uses_vcc, 0
	.set _ZN7rocprim17ROCPRIM_400000_NS6detail17trampoline_kernelINS0_13select_configILj256ELj13ELNS0_17block_load_methodE3ELS4_3ELS4_3ELNS0_20block_scan_algorithmE0ELj4294967295EEENS1_25partition_config_selectorILNS1_17partition_subalgoE3EjNS0_10empty_typeEbEEZZNS1_14partition_implILS8_3ELb0ES6_jNS0_17counting_iteratorIjlEEPS9_SE_NS0_5tupleIJPjSE_EEENSF_IJSE_SE_EEES9_SG_JZNS1_25segmented_radix_sort_implINS0_14default_configELb0EPKfPfPKlPlN2at6native12_GLOBAL__N_18offset_tEEE10hipError_tPvRmT1_PNSt15iterator_traitsISY_E10value_typeET2_T3_PNSZ_IS14_E10value_typeET4_jRbjT5_S1A_jjP12ihipStream_tbEUljE_EEESV_SW_SX_S14_S18_S1A_T6_T7_T9_mT8_S1C_bDpT10_ENKUlT_T0_E_clISt17integral_constantIbLb1EES1P_EEDaS1K_S1L_EUlS1K_E_NS1_11comp_targetILNS1_3genE9ELNS1_11target_archE1100ELNS1_3gpuE3ELNS1_3repE0EEENS1_30default_config_static_selectorELNS0_4arch9wavefront6targetE0EEEvSY_.uses_flat_scratch, 0
	.set _ZN7rocprim17ROCPRIM_400000_NS6detail17trampoline_kernelINS0_13select_configILj256ELj13ELNS0_17block_load_methodE3ELS4_3ELS4_3ELNS0_20block_scan_algorithmE0ELj4294967295EEENS1_25partition_config_selectorILNS1_17partition_subalgoE3EjNS0_10empty_typeEbEEZZNS1_14partition_implILS8_3ELb0ES6_jNS0_17counting_iteratorIjlEEPS9_SE_NS0_5tupleIJPjSE_EEENSF_IJSE_SE_EEES9_SG_JZNS1_25segmented_radix_sort_implINS0_14default_configELb0EPKfPfPKlPlN2at6native12_GLOBAL__N_18offset_tEEE10hipError_tPvRmT1_PNSt15iterator_traitsISY_E10value_typeET2_T3_PNSZ_IS14_E10value_typeET4_jRbjT5_S1A_jjP12ihipStream_tbEUljE_EEESV_SW_SX_S14_S18_S1A_T6_T7_T9_mT8_S1C_bDpT10_ENKUlT_T0_E_clISt17integral_constantIbLb1EES1P_EEDaS1K_S1L_EUlS1K_E_NS1_11comp_targetILNS1_3genE9ELNS1_11target_archE1100ELNS1_3gpuE3ELNS1_3repE0EEENS1_30default_config_static_selectorELNS0_4arch9wavefront6targetE0EEEvSY_.has_dyn_sized_stack, 0
	.set _ZN7rocprim17ROCPRIM_400000_NS6detail17trampoline_kernelINS0_13select_configILj256ELj13ELNS0_17block_load_methodE3ELS4_3ELS4_3ELNS0_20block_scan_algorithmE0ELj4294967295EEENS1_25partition_config_selectorILNS1_17partition_subalgoE3EjNS0_10empty_typeEbEEZZNS1_14partition_implILS8_3ELb0ES6_jNS0_17counting_iteratorIjlEEPS9_SE_NS0_5tupleIJPjSE_EEENSF_IJSE_SE_EEES9_SG_JZNS1_25segmented_radix_sort_implINS0_14default_configELb0EPKfPfPKlPlN2at6native12_GLOBAL__N_18offset_tEEE10hipError_tPvRmT1_PNSt15iterator_traitsISY_E10value_typeET2_T3_PNSZ_IS14_E10value_typeET4_jRbjT5_S1A_jjP12ihipStream_tbEUljE_EEESV_SW_SX_S14_S18_S1A_T6_T7_T9_mT8_S1C_bDpT10_ENKUlT_T0_E_clISt17integral_constantIbLb1EES1P_EEDaS1K_S1L_EUlS1K_E_NS1_11comp_targetILNS1_3genE9ELNS1_11target_archE1100ELNS1_3gpuE3ELNS1_3repE0EEENS1_30default_config_static_selectorELNS0_4arch9wavefront6targetE0EEEvSY_.has_recursion, 0
	.set _ZN7rocprim17ROCPRIM_400000_NS6detail17trampoline_kernelINS0_13select_configILj256ELj13ELNS0_17block_load_methodE3ELS4_3ELS4_3ELNS0_20block_scan_algorithmE0ELj4294967295EEENS1_25partition_config_selectorILNS1_17partition_subalgoE3EjNS0_10empty_typeEbEEZZNS1_14partition_implILS8_3ELb0ES6_jNS0_17counting_iteratorIjlEEPS9_SE_NS0_5tupleIJPjSE_EEENSF_IJSE_SE_EEES9_SG_JZNS1_25segmented_radix_sort_implINS0_14default_configELb0EPKfPfPKlPlN2at6native12_GLOBAL__N_18offset_tEEE10hipError_tPvRmT1_PNSt15iterator_traitsISY_E10value_typeET2_T3_PNSZ_IS14_E10value_typeET4_jRbjT5_S1A_jjP12ihipStream_tbEUljE_EEESV_SW_SX_S14_S18_S1A_T6_T7_T9_mT8_S1C_bDpT10_ENKUlT_T0_E_clISt17integral_constantIbLb1EES1P_EEDaS1K_S1L_EUlS1K_E_NS1_11comp_targetILNS1_3genE9ELNS1_11target_archE1100ELNS1_3gpuE3ELNS1_3repE0EEENS1_30default_config_static_selectorELNS0_4arch9wavefront6targetE0EEEvSY_.has_indirect_call, 0
	.section	.AMDGPU.csdata,"",@progbits
; Kernel info:
; codeLenInByte = 0
; TotalNumSgprs: 0
; NumVgprs: 0
; ScratchSize: 0
; MemoryBound: 0
; FloatMode: 240
; IeeeMode: 1
; LDSByteSize: 0 bytes/workgroup (compile time only)
; SGPRBlocks: 0
; VGPRBlocks: 0
; NumSGPRsForWavesPerEU: 1
; NumVGPRsForWavesPerEU: 1
; Occupancy: 16
; WaveLimiterHint : 0
; COMPUTE_PGM_RSRC2:SCRATCH_EN: 0
; COMPUTE_PGM_RSRC2:USER_SGPR: 2
; COMPUTE_PGM_RSRC2:TRAP_HANDLER: 0
; COMPUTE_PGM_RSRC2:TGID_X_EN: 1
; COMPUTE_PGM_RSRC2:TGID_Y_EN: 0
; COMPUTE_PGM_RSRC2:TGID_Z_EN: 0
; COMPUTE_PGM_RSRC2:TIDIG_COMP_CNT: 0
	.section	.text._ZN7rocprim17ROCPRIM_400000_NS6detail17trampoline_kernelINS0_13select_configILj256ELj13ELNS0_17block_load_methodE3ELS4_3ELS4_3ELNS0_20block_scan_algorithmE0ELj4294967295EEENS1_25partition_config_selectorILNS1_17partition_subalgoE3EjNS0_10empty_typeEbEEZZNS1_14partition_implILS8_3ELb0ES6_jNS0_17counting_iteratorIjlEEPS9_SE_NS0_5tupleIJPjSE_EEENSF_IJSE_SE_EEES9_SG_JZNS1_25segmented_radix_sort_implINS0_14default_configELb0EPKfPfPKlPlN2at6native12_GLOBAL__N_18offset_tEEE10hipError_tPvRmT1_PNSt15iterator_traitsISY_E10value_typeET2_T3_PNSZ_IS14_E10value_typeET4_jRbjT5_S1A_jjP12ihipStream_tbEUljE_EEESV_SW_SX_S14_S18_S1A_T6_T7_T9_mT8_S1C_bDpT10_ENKUlT_T0_E_clISt17integral_constantIbLb1EES1P_EEDaS1K_S1L_EUlS1K_E_NS1_11comp_targetILNS1_3genE8ELNS1_11target_archE1030ELNS1_3gpuE2ELNS1_3repE0EEENS1_30default_config_static_selectorELNS0_4arch9wavefront6targetE0EEEvSY_,"axG",@progbits,_ZN7rocprim17ROCPRIM_400000_NS6detail17trampoline_kernelINS0_13select_configILj256ELj13ELNS0_17block_load_methodE3ELS4_3ELS4_3ELNS0_20block_scan_algorithmE0ELj4294967295EEENS1_25partition_config_selectorILNS1_17partition_subalgoE3EjNS0_10empty_typeEbEEZZNS1_14partition_implILS8_3ELb0ES6_jNS0_17counting_iteratorIjlEEPS9_SE_NS0_5tupleIJPjSE_EEENSF_IJSE_SE_EEES9_SG_JZNS1_25segmented_radix_sort_implINS0_14default_configELb0EPKfPfPKlPlN2at6native12_GLOBAL__N_18offset_tEEE10hipError_tPvRmT1_PNSt15iterator_traitsISY_E10value_typeET2_T3_PNSZ_IS14_E10value_typeET4_jRbjT5_S1A_jjP12ihipStream_tbEUljE_EEESV_SW_SX_S14_S18_S1A_T6_T7_T9_mT8_S1C_bDpT10_ENKUlT_T0_E_clISt17integral_constantIbLb1EES1P_EEDaS1K_S1L_EUlS1K_E_NS1_11comp_targetILNS1_3genE8ELNS1_11target_archE1030ELNS1_3gpuE2ELNS1_3repE0EEENS1_30default_config_static_selectorELNS0_4arch9wavefront6targetE0EEEvSY_,comdat
	.globl	_ZN7rocprim17ROCPRIM_400000_NS6detail17trampoline_kernelINS0_13select_configILj256ELj13ELNS0_17block_load_methodE3ELS4_3ELS4_3ELNS0_20block_scan_algorithmE0ELj4294967295EEENS1_25partition_config_selectorILNS1_17partition_subalgoE3EjNS0_10empty_typeEbEEZZNS1_14partition_implILS8_3ELb0ES6_jNS0_17counting_iteratorIjlEEPS9_SE_NS0_5tupleIJPjSE_EEENSF_IJSE_SE_EEES9_SG_JZNS1_25segmented_radix_sort_implINS0_14default_configELb0EPKfPfPKlPlN2at6native12_GLOBAL__N_18offset_tEEE10hipError_tPvRmT1_PNSt15iterator_traitsISY_E10value_typeET2_T3_PNSZ_IS14_E10value_typeET4_jRbjT5_S1A_jjP12ihipStream_tbEUljE_EEESV_SW_SX_S14_S18_S1A_T6_T7_T9_mT8_S1C_bDpT10_ENKUlT_T0_E_clISt17integral_constantIbLb1EES1P_EEDaS1K_S1L_EUlS1K_E_NS1_11comp_targetILNS1_3genE8ELNS1_11target_archE1030ELNS1_3gpuE2ELNS1_3repE0EEENS1_30default_config_static_selectorELNS0_4arch9wavefront6targetE0EEEvSY_ ; -- Begin function _ZN7rocprim17ROCPRIM_400000_NS6detail17trampoline_kernelINS0_13select_configILj256ELj13ELNS0_17block_load_methodE3ELS4_3ELS4_3ELNS0_20block_scan_algorithmE0ELj4294967295EEENS1_25partition_config_selectorILNS1_17partition_subalgoE3EjNS0_10empty_typeEbEEZZNS1_14partition_implILS8_3ELb0ES6_jNS0_17counting_iteratorIjlEEPS9_SE_NS0_5tupleIJPjSE_EEENSF_IJSE_SE_EEES9_SG_JZNS1_25segmented_radix_sort_implINS0_14default_configELb0EPKfPfPKlPlN2at6native12_GLOBAL__N_18offset_tEEE10hipError_tPvRmT1_PNSt15iterator_traitsISY_E10value_typeET2_T3_PNSZ_IS14_E10value_typeET4_jRbjT5_S1A_jjP12ihipStream_tbEUljE_EEESV_SW_SX_S14_S18_S1A_T6_T7_T9_mT8_S1C_bDpT10_ENKUlT_T0_E_clISt17integral_constantIbLb1EES1P_EEDaS1K_S1L_EUlS1K_E_NS1_11comp_targetILNS1_3genE8ELNS1_11target_archE1030ELNS1_3gpuE2ELNS1_3repE0EEENS1_30default_config_static_selectorELNS0_4arch9wavefront6targetE0EEEvSY_
	.p2align	8
	.type	_ZN7rocprim17ROCPRIM_400000_NS6detail17trampoline_kernelINS0_13select_configILj256ELj13ELNS0_17block_load_methodE3ELS4_3ELS4_3ELNS0_20block_scan_algorithmE0ELj4294967295EEENS1_25partition_config_selectorILNS1_17partition_subalgoE3EjNS0_10empty_typeEbEEZZNS1_14partition_implILS8_3ELb0ES6_jNS0_17counting_iteratorIjlEEPS9_SE_NS0_5tupleIJPjSE_EEENSF_IJSE_SE_EEES9_SG_JZNS1_25segmented_radix_sort_implINS0_14default_configELb0EPKfPfPKlPlN2at6native12_GLOBAL__N_18offset_tEEE10hipError_tPvRmT1_PNSt15iterator_traitsISY_E10value_typeET2_T3_PNSZ_IS14_E10value_typeET4_jRbjT5_S1A_jjP12ihipStream_tbEUljE_EEESV_SW_SX_S14_S18_S1A_T6_T7_T9_mT8_S1C_bDpT10_ENKUlT_T0_E_clISt17integral_constantIbLb1EES1P_EEDaS1K_S1L_EUlS1K_E_NS1_11comp_targetILNS1_3genE8ELNS1_11target_archE1030ELNS1_3gpuE2ELNS1_3repE0EEENS1_30default_config_static_selectorELNS0_4arch9wavefront6targetE0EEEvSY_,@function
_ZN7rocprim17ROCPRIM_400000_NS6detail17trampoline_kernelINS0_13select_configILj256ELj13ELNS0_17block_load_methodE3ELS4_3ELS4_3ELNS0_20block_scan_algorithmE0ELj4294967295EEENS1_25partition_config_selectorILNS1_17partition_subalgoE3EjNS0_10empty_typeEbEEZZNS1_14partition_implILS8_3ELb0ES6_jNS0_17counting_iteratorIjlEEPS9_SE_NS0_5tupleIJPjSE_EEENSF_IJSE_SE_EEES9_SG_JZNS1_25segmented_radix_sort_implINS0_14default_configELb0EPKfPfPKlPlN2at6native12_GLOBAL__N_18offset_tEEE10hipError_tPvRmT1_PNSt15iterator_traitsISY_E10value_typeET2_T3_PNSZ_IS14_E10value_typeET4_jRbjT5_S1A_jjP12ihipStream_tbEUljE_EEESV_SW_SX_S14_S18_S1A_T6_T7_T9_mT8_S1C_bDpT10_ENKUlT_T0_E_clISt17integral_constantIbLb1EES1P_EEDaS1K_S1L_EUlS1K_E_NS1_11comp_targetILNS1_3genE8ELNS1_11target_archE1030ELNS1_3gpuE2ELNS1_3repE0EEENS1_30default_config_static_selectorELNS0_4arch9wavefront6targetE0EEEvSY_: ; @_ZN7rocprim17ROCPRIM_400000_NS6detail17trampoline_kernelINS0_13select_configILj256ELj13ELNS0_17block_load_methodE3ELS4_3ELS4_3ELNS0_20block_scan_algorithmE0ELj4294967295EEENS1_25partition_config_selectorILNS1_17partition_subalgoE3EjNS0_10empty_typeEbEEZZNS1_14partition_implILS8_3ELb0ES6_jNS0_17counting_iteratorIjlEEPS9_SE_NS0_5tupleIJPjSE_EEENSF_IJSE_SE_EEES9_SG_JZNS1_25segmented_radix_sort_implINS0_14default_configELb0EPKfPfPKlPlN2at6native12_GLOBAL__N_18offset_tEEE10hipError_tPvRmT1_PNSt15iterator_traitsISY_E10value_typeET2_T3_PNSZ_IS14_E10value_typeET4_jRbjT5_S1A_jjP12ihipStream_tbEUljE_EEESV_SW_SX_S14_S18_S1A_T6_T7_T9_mT8_S1C_bDpT10_ENKUlT_T0_E_clISt17integral_constantIbLb1EES1P_EEDaS1K_S1L_EUlS1K_E_NS1_11comp_targetILNS1_3genE8ELNS1_11target_archE1030ELNS1_3gpuE2ELNS1_3repE0EEENS1_30default_config_static_selectorELNS0_4arch9wavefront6targetE0EEEvSY_
; %bb.0:
	.section	.rodata,"a",@progbits
	.p2align	6, 0x0
	.amdhsa_kernel _ZN7rocprim17ROCPRIM_400000_NS6detail17trampoline_kernelINS0_13select_configILj256ELj13ELNS0_17block_load_methodE3ELS4_3ELS4_3ELNS0_20block_scan_algorithmE0ELj4294967295EEENS1_25partition_config_selectorILNS1_17partition_subalgoE3EjNS0_10empty_typeEbEEZZNS1_14partition_implILS8_3ELb0ES6_jNS0_17counting_iteratorIjlEEPS9_SE_NS0_5tupleIJPjSE_EEENSF_IJSE_SE_EEES9_SG_JZNS1_25segmented_radix_sort_implINS0_14default_configELb0EPKfPfPKlPlN2at6native12_GLOBAL__N_18offset_tEEE10hipError_tPvRmT1_PNSt15iterator_traitsISY_E10value_typeET2_T3_PNSZ_IS14_E10value_typeET4_jRbjT5_S1A_jjP12ihipStream_tbEUljE_EEESV_SW_SX_S14_S18_S1A_T6_T7_T9_mT8_S1C_bDpT10_ENKUlT_T0_E_clISt17integral_constantIbLb1EES1P_EEDaS1K_S1L_EUlS1K_E_NS1_11comp_targetILNS1_3genE8ELNS1_11target_archE1030ELNS1_3gpuE2ELNS1_3repE0EEENS1_30default_config_static_selectorELNS0_4arch9wavefront6targetE0EEEvSY_
		.amdhsa_group_segment_fixed_size 0
		.amdhsa_private_segment_fixed_size 0
		.amdhsa_kernarg_size 152
		.amdhsa_user_sgpr_count 2
		.amdhsa_user_sgpr_dispatch_ptr 0
		.amdhsa_user_sgpr_queue_ptr 0
		.amdhsa_user_sgpr_kernarg_segment_ptr 1
		.amdhsa_user_sgpr_dispatch_id 0
		.amdhsa_user_sgpr_private_segment_size 0
		.amdhsa_wavefront_size32 1
		.amdhsa_uses_dynamic_stack 0
		.amdhsa_enable_private_segment 0
		.amdhsa_system_sgpr_workgroup_id_x 1
		.amdhsa_system_sgpr_workgroup_id_y 0
		.amdhsa_system_sgpr_workgroup_id_z 0
		.amdhsa_system_sgpr_workgroup_info 0
		.amdhsa_system_vgpr_workitem_id 0
		.amdhsa_next_free_vgpr 1
		.amdhsa_next_free_sgpr 1
		.amdhsa_reserve_vcc 0
		.amdhsa_float_round_mode_32 0
		.amdhsa_float_round_mode_16_64 0
		.amdhsa_float_denorm_mode_32 3
		.amdhsa_float_denorm_mode_16_64 3
		.amdhsa_fp16_overflow 0
		.amdhsa_workgroup_processor_mode 1
		.amdhsa_memory_ordered 1
		.amdhsa_forward_progress 1
		.amdhsa_inst_pref_size 0
		.amdhsa_round_robin_scheduling 0
		.amdhsa_exception_fp_ieee_invalid_op 0
		.amdhsa_exception_fp_denorm_src 0
		.amdhsa_exception_fp_ieee_div_zero 0
		.amdhsa_exception_fp_ieee_overflow 0
		.amdhsa_exception_fp_ieee_underflow 0
		.amdhsa_exception_fp_ieee_inexact 0
		.amdhsa_exception_int_div_zero 0
	.end_amdhsa_kernel
	.section	.text._ZN7rocprim17ROCPRIM_400000_NS6detail17trampoline_kernelINS0_13select_configILj256ELj13ELNS0_17block_load_methodE3ELS4_3ELS4_3ELNS0_20block_scan_algorithmE0ELj4294967295EEENS1_25partition_config_selectorILNS1_17partition_subalgoE3EjNS0_10empty_typeEbEEZZNS1_14partition_implILS8_3ELb0ES6_jNS0_17counting_iteratorIjlEEPS9_SE_NS0_5tupleIJPjSE_EEENSF_IJSE_SE_EEES9_SG_JZNS1_25segmented_radix_sort_implINS0_14default_configELb0EPKfPfPKlPlN2at6native12_GLOBAL__N_18offset_tEEE10hipError_tPvRmT1_PNSt15iterator_traitsISY_E10value_typeET2_T3_PNSZ_IS14_E10value_typeET4_jRbjT5_S1A_jjP12ihipStream_tbEUljE_EEESV_SW_SX_S14_S18_S1A_T6_T7_T9_mT8_S1C_bDpT10_ENKUlT_T0_E_clISt17integral_constantIbLb1EES1P_EEDaS1K_S1L_EUlS1K_E_NS1_11comp_targetILNS1_3genE8ELNS1_11target_archE1030ELNS1_3gpuE2ELNS1_3repE0EEENS1_30default_config_static_selectorELNS0_4arch9wavefront6targetE0EEEvSY_,"axG",@progbits,_ZN7rocprim17ROCPRIM_400000_NS6detail17trampoline_kernelINS0_13select_configILj256ELj13ELNS0_17block_load_methodE3ELS4_3ELS4_3ELNS0_20block_scan_algorithmE0ELj4294967295EEENS1_25partition_config_selectorILNS1_17partition_subalgoE3EjNS0_10empty_typeEbEEZZNS1_14partition_implILS8_3ELb0ES6_jNS0_17counting_iteratorIjlEEPS9_SE_NS0_5tupleIJPjSE_EEENSF_IJSE_SE_EEES9_SG_JZNS1_25segmented_radix_sort_implINS0_14default_configELb0EPKfPfPKlPlN2at6native12_GLOBAL__N_18offset_tEEE10hipError_tPvRmT1_PNSt15iterator_traitsISY_E10value_typeET2_T3_PNSZ_IS14_E10value_typeET4_jRbjT5_S1A_jjP12ihipStream_tbEUljE_EEESV_SW_SX_S14_S18_S1A_T6_T7_T9_mT8_S1C_bDpT10_ENKUlT_T0_E_clISt17integral_constantIbLb1EES1P_EEDaS1K_S1L_EUlS1K_E_NS1_11comp_targetILNS1_3genE8ELNS1_11target_archE1030ELNS1_3gpuE2ELNS1_3repE0EEENS1_30default_config_static_selectorELNS0_4arch9wavefront6targetE0EEEvSY_,comdat
.Lfunc_end1411:
	.size	_ZN7rocprim17ROCPRIM_400000_NS6detail17trampoline_kernelINS0_13select_configILj256ELj13ELNS0_17block_load_methodE3ELS4_3ELS4_3ELNS0_20block_scan_algorithmE0ELj4294967295EEENS1_25partition_config_selectorILNS1_17partition_subalgoE3EjNS0_10empty_typeEbEEZZNS1_14partition_implILS8_3ELb0ES6_jNS0_17counting_iteratorIjlEEPS9_SE_NS0_5tupleIJPjSE_EEENSF_IJSE_SE_EEES9_SG_JZNS1_25segmented_radix_sort_implINS0_14default_configELb0EPKfPfPKlPlN2at6native12_GLOBAL__N_18offset_tEEE10hipError_tPvRmT1_PNSt15iterator_traitsISY_E10value_typeET2_T3_PNSZ_IS14_E10value_typeET4_jRbjT5_S1A_jjP12ihipStream_tbEUljE_EEESV_SW_SX_S14_S18_S1A_T6_T7_T9_mT8_S1C_bDpT10_ENKUlT_T0_E_clISt17integral_constantIbLb1EES1P_EEDaS1K_S1L_EUlS1K_E_NS1_11comp_targetILNS1_3genE8ELNS1_11target_archE1030ELNS1_3gpuE2ELNS1_3repE0EEENS1_30default_config_static_selectorELNS0_4arch9wavefront6targetE0EEEvSY_, .Lfunc_end1411-_ZN7rocprim17ROCPRIM_400000_NS6detail17trampoline_kernelINS0_13select_configILj256ELj13ELNS0_17block_load_methodE3ELS4_3ELS4_3ELNS0_20block_scan_algorithmE0ELj4294967295EEENS1_25partition_config_selectorILNS1_17partition_subalgoE3EjNS0_10empty_typeEbEEZZNS1_14partition_implILS8_3ELb0ES6_jNS0_17counting_iteratorIjlEEPS9_SE_NS0_5tupleIJPjSE_EEENSF_IJSE_SE_EEES9_SG_JZNS1_25segmented_radix_sort_implINS0_14default_configELb0EPKfPfPKlPlN2at6native12_GLOBAL__N_18offset_tEEE10hipError_tPvRmT1_PNSt15iterator_traitsISY_E10value_typeET2_T3_PNSZ_IS14_E10value_typeET4_jRbjT5_S1A_jjP12ihipStream_tbEUljE_EEESV_SW_SX_S14_S18_S1A_T6_T7_T9_mT8_S1C_bDpT10_ENKUlT_T0_E_clISt17integral_constantIbLb1EES1P_EEDaS1K_S1L_EUlS1K_E_NS1_11comp_targetILNS1_3genE8ELNS1_11target_archE1030ELNS1_3gpuE2ELNS1_3repE0EEENS1_30default_config_static_selectorELNS0_4arch9wavefront6targetE0EEEvSY_
                                        ; -- End function
	.set _ZN7rocprim17ROCPRIM_400000_NS6detail17trampoline_kernelINS0_13select_configILj256ELj13ELNS0_17block_load_methodE3ELS4_3ELS4_3ELNS0_20block_scan_algorithmE0ELj4294967295EEENS1_25partition_config_selectorILNS1_17partition_subalgoE3EjNS0_10empty_typeEbEEZZNS1_14partition_implILS8_3ELb0ES6_jNS0_17counting_iteratorIjlEEPS9_SE_NS0_5tupleIJPjSE_EEENSF_IJSE_SE_EEES9_SG_JZNS1_25segmented_radix_sort_implINS0_14default_configELb0EPKfPfPKlPlN2at6native12_GLOBAL__N_18offset_tEEE10hipError_tPvRmT1_PNSt15iterator_traitsISY_E10value_typeET2_T3_PNSZ_IS14_E10value_typeET4_jRbjT5_S1A_jjP12ihipStream_tbEUljE_EEESV_SW_SX_S14_S18_S1A_T6_T7_T9_mT8_S1C_bDpT10_ENKUlT_T0_E_clISt17integral_constantIbLb1EES1P_EEDaS1K_S1L_EUlS1K_E_NS1_11comp_targetILNS1_3genE8ELNS1_11target_archE1030ELNS1_3gpuE2ELNS1_3repE0EEENS1_30default_config_static_selectorELNS0_4arch9wavefront6targetE0EEEvSY_.num_vgpr, 0
	.set _ZN7rocprim17ROCPRIM_400000_NS6detail17trampoline_kernelINS0_13select_configILj256ELj13ELNS0_17block_load_methodE3ELS4_3ELS4_3ELNS0_20block_scan_algorithmE0ELj4294967295EEENS1_25partition_config_selectorILNS1_17partition_subalgoE3EjNS0_10empty_typeEbEEZZNS1_14partition_implILS8_3ELb0ES6_jNS0_17counting_iteratorIjlEEPS9_SE_NS0_5tupleIJPjSE_EEENSF_IJSE_SE_EEES9_SG_JZNS1_25segmented_radix_sort_implINS0_14default_configELb0EPKfPfPKlPlN2at6native12_GLOBAL__N_18offset_tEEE10hipError_tPvRmT1_PNSt15iterator_traitsISY_E10value_typeET2_T3_PNSZ_IS14_E10value_typeET4_jRbjT5_S1A_jjP12ihipStream_tbEUljE_EEESV_SW_SX_S14_S18_S1A_T6_T7_T9_mT8_S1C_bDpT10_ENKUlT_T0_E_clISt17integral_constantIbLb1EES1P_EEDaS1K_S1L_EUlS1K_E_NS1_11comp_targetILNS1_3genE8ELNS1_11target_archE1030ELNS1_3gpuE2ELNS1_3repE0EEENS1_30default_config_static_selectorELNS0_4arch9wavefront6targetE0EEEvSY_.num_agpr, 0
	.set _ZN7rocprim17ROCPRIM_400000_NS6detail17trampoline_kernelINS0_13select_configILj256ELj13ELNS0_17block_load_methodE3ELS4_3ELS4_3ELNS0_20block_scan_algorithmE0ELj4294967295EEENS1_25partition_config_selectorILNS1_17partition_subalgoE3EjNS0_10empty_typeEbEEZZNS1_14partition_implILS8_3ELb0ES6_jNS0_17counting_iteratorIjlEEPS9_SE_NS0_5tupleIJPjSE_EEENSF_IJSE_SE_EEES9_SG_JZNS1_25segmented_radix_sort_implINS0_14default_configELb0EPKfPfPKlPlN2at6native12_GLOBAL__N_18offset_tEEE10hipError_tPvRmT1_PNSt15iterator_traitsISY_E10value_typeET2_T3_PNSZ_IS14_E10value_typeET4_jRbjT5_S1A_jjP12ihipStream_tbEUljE_EEESV_SW_SX_S14_S18_S1A_T6_T7_T9_mT8_S1C_bDpT10_ENKUlT_T0_E_clISt17integral_constantIbLb1EES1P_EEDaS1K_S1L_EUlS1K_E_NS1_11comp_targetILNS1_3genE8ELNS1_11target_archE1030ELNS1_3gpuE2ELNS1_3repE0EEENS1_30default_config_static_selectorELNS0_4arch9wavefront6targetE0EEEvSY_.numbered_sgpr, 0
	.set _ZN7rocprim17ROCPRIM_400000_NS6detail17trampoline_kernelINS0_13select_configILj256ELj13ELNS0_17block_load_methodE3ELS4_3ELS4_3ELNS0_20block_scan_algorithmE0ELj4294967295EEENS1_25partition_config_selectorILNS1_17partition_subalgoE3EjNS0_10empty_typeEbEEZZNS1_14partition_implILS8_3ELb0ES6_jNS0_17counting_iteratorIjlEEPS9_SE_NS0_5tupleIJPjSE_EEENSF_IJSE_SE_EEES9_SG_JZNS1_25segmented_radix_sort_implINS0_14default_configELb0EPKfPfPKlPlN2at6native12_GLOBAL__N_18offset_tEEE10hipError_tPvRmT1_PNSt15iterator_traitsISY_E10value_typeET2_T3_PNSZ_IS14_E10value_typeET4_jRbjT5_S1A_jjP12ihipStream_tbEUljE_EEESV_SW_SX_S14_S18_S1A_T6_T7_T9_mT8_S1C_bDpT10_ENKUlT_T0_E_clISt17integral_constantIbLb1EES1P_EEDaS1K_S1L_EUlS1K_E_NS1_11comp_targetILNS1_3genE8ELNS1_11target_archE1030ELNS1_3gpuE2ELNS1_3repE0EEENS1_30default_config_static_selectorELNS0_4arch9wavefront6targetE0EEEvSY_.num_named_barrier, 0
	.set _ZN7rocprim17ROCPRIM_400000_NS6detail17trampoline_kernelINS0_13select_configILj256ELj13ELNS0_17block_load_methodE3ELS4_3ELS4_3ELNS0_20block_scan_algorithmE0ELj4294967295EEENS1_25partition_config_selectorILNS1_17partition_subalgoE3EjNS0_10empty_typeEbEEZZNS1_14partition_implILS8_3ELb0ES6_jNS0_17counting_iteratorIjlEEPS9_SE_NS0_5tupleIJPjSE_EEENSF_IJSE_SE_EEES9_SG_JZNS1_25segmented_radix_sort_implINS0_14default_configELb0EPKfPfPKlPlN2at6native12_GLOBAL__N_18offset_tEEE10hipError_tPvRmT1_PNSt15iterator_traitsISY_E10value_typeET2_T3_PNSZ_IS14_E10value_typeET4_jRbjT5_S1A_jjP12ihipStream_tbEUljE_EEESV_SW_SX_S14_S18_S1A_T6_T7_T9_mT8_S1C_bDpT10_ENKUlT_T0_E_clISt17integral_constantIbLb1EES1P_EEDaS1K_S1L_EUlS1K_E_NS1_11comp_targetILNS1_3genE8ELNS1_11target_archE1030ELNS1_3gpuE2ELNS1_3repE0EEENS1_30default_config_static_selectorELNS0_4arch9wavefront6targetE0EEEvSY_.private_seg_size, 0
	.set _ZN7rocprim17ROCPRIM_400000_NS6detail17trampoline_kernelINS0_13select_configILj256ELj13ELNS0_17block_load_methodE3ELS4_3ELS4_3ELNS0_20block_scan_algorithmE0ELj4294967295EEENS1_25partition_config_selectorILNS1_17partition_subalgoE3EjNS0_10empty_typeEbEEZZNS1_14partition_implILS8_3ELb0ES6_jNS0_17counting_iteratorIjlEEPS9_SE_NS0_5tupleIJPjSE_EEENSF_IJSE_SE_EEES9_SG_JZNS1_25segmented_radix_sort_implINS0_14default_configELb0EPKfPfPKlPlN2at6native12_GLOBAL__N_18offset_tEEE10hipError_tPvRmT1_PNSt15iterator_traitsISY_E10value_typeET2_T3_PNSZ_IS14_E10value_typeET4_jRbjT5_S1A_jjP12ihipStream_tbEUljE_EEESV_SW_SX_S14_S18_S1A_T6_T7_T9_mT8_S1C_bDpT10_ENKUlT_T0_E_clISt17integral_constantIbLb1EES1P_EEDaS1K_S1L_EUlS1K_E_NS1_11comp_targetILNS1_3genE8ELNS1_11target_archE1030ELNS1_3gpuE2ELNS1_3repE0EEENS1_30default_config_static_selectorELNS0_4arch9wavefront6targetE0EEEvSY_.uses_vcc, 0
	.set _ZN7rocprim17ROCPRIM_400000_NS6detail17trampoline_kernelINS0_13select_configILj256ELj13ELNS0_17block_load_methodE3ELS4_3ELS4_3ELNS0_20block_scan_algorithmE0ELj4294967295EEENS1_25partition_config_selectorILNS1_17partition_subalgoE3EjNS0_10empty_typeEbEEZZNS1_14partition_implILS8_3ELb0ES6_jNS0_17counting_iteratorIjlEEPS9_SE_NS0_5tupleIJPjSE_EEENSF_IJSE_SE_EEES9_SG_JZNS1_25segmented_radix_sort_implINS0_14default_configELb0EPKfPfPKlPlN2at6native12_GLOBAL__N_18offset_tEEE10hipError_tPvRmT1_PNSt15iterator_traitsISY_E10value_typeET2_T3_PNSZ_IS14_E10value_typeET4_jRbjT5_S1A_jjP12ihipStream_tbEUljE_EEESV_SW_SX_S14_S18_S1A_T6_T7_T9_mT8_S1C_bDpT10_ENKUlT_T0_E_clISt17integral_constantIbLb1EES1P_EEDaS1K_S1L_EUlS1K_E_NS1_11comp_targetILNS1_3genE8ELNS1_11target_archE1030ELNS1_3gpuE2ELNS1_3repE0EEENS1_30default_config_static_selectorELNS0_4arch9wavefront6targetE0EEEvSY_.uses_flat_scratch, 0
	.set _ZN7rocprim17ROCPRIM_400000_NS6detail17trampoline_kernelINS0_13select_configILj256ELj13ELNS0_17block_load_methodE3ELS4_3ELS4_3ELNS0_20block_scan_algorithmE0ELj4294967295EEENS1_25partition_config_selectorILNS1_17partition_subalgoE3EjNS0_10empty_typeEbEEZZNS1_14partition_implILS8_3ELb0ES6_jNS0_17counting_iteratorIjlEEPS9_SE_NS0_5tupleIJPjSE_EEENSF_IJSE_SE_EEES9_SG_JZNS1_25segmented_radix_sort_implINS0_14default_configELb0EPKfPfPKlPlN2at6native12_GLOBAL__N_18offset_tEEE10hipError_tPvRmT1_PNSt15iterator_traitsISY_E10value_typeET2_T3_PNSZ_IS14_E10value_typeET4_jRbjT5_S1A_jjP12ihipStream_tbEUljE_EEESV_SW_SX_S14_S18_S1A_T6_T7_T9_mT8_S1C_bDpT10_ENKUlT_T0_E_clISt17integral_constantIbLb1EES1P_EEDaS1K_S1L_EUlS1K_E_NS1_11comp_targetILNS1_3genE8ELNS1_11target_archE1030ELNS1_3gpuE2ELNS1_3repE0EEENS1_30default_config_static_selectorELNS0_4arch9wavefront6targetE0EEEvSY_.has_dyn_sized_stack, 0
	.set _ZN7rocprim17ROCPRIM_400000_NS6detail17trampoline_kernelINS0_13select_configILj256ELj13ELNS0_17block_load_methodE3ELS4_3ELS4_3ELNS0_20block_scan_algorithmE0ELj4294967295EEENS1_25partition_config_selectorILNS1_17partition_subalgoE3EjNS0_10empty_typeEbEEZZNS1_14partition_implILS8_3ELb0ES6_jNS0_17counting_iteratorIjlEEPS9_SE_NS0_5tupleIJPjSE_EEENSF_IJSE_SE_EEES9_SG_JZNS1_25segmented_radix_sort_implINS0_14default_configELb0EPKfPfPKlPlN2at6native12_GLOBAL__N_18offset_tEEE10hipError_tPvRmT1_PNSt15iterator_traitsISY_E10value_typeET2_T3_PNSZ_IS14_E10value_typeET4_jRbjT5_S1A_jjP12ihipStream_tbEUljE_EEESV_SW_SX_S14_S18_S1A_T6_T7_T9_mT8_S1C_bDpT10_ENKUlT_T0_E_clISt17integral_constantIbLb1EES1P_EEDaS1K_S1L_EUlS1K_E_NS1_11comp_targetILNS1_3genE8ELNS1_11target_archE1030ELNS1_3gpuE2ELNS1_3repE0EEENS1_30default_config_static_selectorELNS0_4arch9wavefront6targetE0EEEvSY_.has_recursion, 0
	.set _ZN7rocprim17ROCPRIM_400000_NS6detail17trampoline_kernelINS0_13select_configILj256ELj13ELNS0_17block_load_methodE3ELS4_3ELS4_3ELNS0_20block_scan_algorithmE0ELj4294967295EEENS1_25partition_config_selectorILNS1_17partition_subalgoE3EjNS0_10empty_typeEbEEZZNS1_14partition_implILS8_3ELb0ES6_jNS0_17counting_iteratorIjlEEPS9_SE_NS0_5tupleIJPjSE_EEENSF_IJSE_SE_EEES9_SG_JZNS1_25segmented_radix_sort_implINS0_14default_configELb0EPKfPfPKlPlN2at6native12_GLOBAL__N_18offset_tEEE10hipError_tPvRmT1_PNSt15iterator_traitsISY_E10value_typeET2_T3_PNSZ_IS14_E10value_typeET4_jRbjT5_S1A_jjP12ihipStream_tbEUljE_EEESV_SW_SX_S14_S18_S1A_T6_T7_T9_mT8_S1C_bDpT10_ENKUlT_T0_E_clISt17integral_constantIbLb1EES1P_EEDaS1K_S1L_EUlS1K_E_NS1_11comp_targetILNS1_3genE8ELNS1_11target_archE1030ELNS1_3gpuE2ELNS1_3repE0EEENS1_30default_config_static_selectorELNS0_4arch9wavefront6targetE0EEEvSY_.has_indirect_call, 0
	.section	.AMDGPU.csdata,"",@progbits
; Kernel info:
; codeLenInByte = 0
; TotalNumSgprs: 0
; NumVgprs: 0
; ScratchSize: 0
; MemoryBound: 0
; FloatMode: 240
; IeeeMode: 1
; LDSByteSize: 0 bytes/workgroup (compile time only)
; SGPRBlocks: 0
; VGPRBlocks: 0
; NumSGPRsForWavesPerEU: 1
; NumVGPRsForWavesPerEU: 1
; Occupancy: 16
; WaveLimiterHint : 0
; COMPUTE_PGM_RSRC2:SCRATCH_EN: 0
; COMPUTE_PGM_RSRC2:USER_SGPR: 2
; COMPUTE_PGM_RSRC2:TRAP_HANDLER: 0
; COMPUTE_PGM_RSRC2:TGID_X_EN: 1
; COMPUTE_PGM_RSRC2:TGID_Y_EN: 0
; COMPUTE_PGM_RSRC2:TGID_Z_EN: 0
; COMPUTE_PGM_RSRC2:TIDIG_COMP_CNT: 0
	.section	.text._ZN7rocprim17ROCPRIM_400000_NS6detail17trampoline_kernelINS0_13select_configILj256ELj13ELNS0_17block_load_methodE3ELS4_3ELS4_3ELNS0_20block_scan_algorithmE0ELj4294967295EEENS1_25partition_config_selectorILNS1_17partition_subalgoE3EjNS0_10empty_typeEbEEZZNS1_14partition_implILS8_3ELb0ES6_jNS0_17counting_iteratorIjlEEPS9_SE_NS0_5tupleIJPjSE_EEENSF_IJSE_SE_EEES9_SG_JZNS1_25segmented_radix_sort_implINS0_14default_configELb0EPKfPfPKlPlN2at6native12_GLOBAL__N_18offset_tEEE10hipError_tPvRmT1_PNSt15iterator_traitsISY_E10value_typeET2_T3_PNSZ_IS14_E10value_typeET4_jRbjT5_S1A_jjP12ihipStream_tbEUljE_EEESV_SW_SX_S14_S18_S1A_T6_T7_T9_mT8_S1C_bDpT10_ENKUlT_T0_E_clISt17integral_constantIbLb1EES1O_IbLb0EEEEDaS1K_S1L_EUlS1K_E_NS1_11comp_targetILNS1_3genE0ELNS1_11target_archE4294967295ELNS1_3gpuE0ELNS1_3repE0EEENS1_30default_config_static_selectorELNS0_4arch9wavefront6targetE0EEEvSY_,"axG",@progbits,_ZN7rocprim17ROCPRIM_400000_NS6detail17trampoline_kernelINS0_13select_configILj256ELj13ELNS0_17block_load_methodE3ELS4_3ELS4_3ELNS0_20block_scan_algorithmE0ELj4294967295EEENS1_25partition_config_selectorILNS1_17partition_subalgoE3EjNS0_10empty_typeEbEEZZNS1_14partition_implILS8_3ELb0ES6_jNS0_17counting_iteratorIjlEEPS9_SE_NS0_5tupleIJPjSE_EEENSF_IJSE_SE_EEES9_SG_JZNS1_25segmented_radix_sort_implINS0_14default_configELb0EPKfPfPKlPlN2at6native12_GLOBAL__N_18offset_tEEE10hipError_tPvRmT1_PNSt15iterator_traitsISY_E10value_typeET2_T3_PNSZ_IS14_E10value_typeET4_jRbjT5_S1A_jjP12ihipStream_tbEUljE_EEESV_SW_SX_S14_S18_S1A_T6_T7_T9_mT8_S1C_bDpT10_ENKUlT_T0_E_clISt17integral_constantIbLb1EES1O_IbLb0EEEEDaS1K_S1L_EUlS1K_E_NS1_11comp_targetILNS1_3genE0ELNS1_11target_archE4294967295ELNS1_3gpuE0ELNS1_3repE0EEENS1_30default_config_static_selectorELNS0_4arch9wavefront6targetE0EEEvSY_,comdat
	.globl	_ZN7rocprim17ROCPRIM_400000_NS6detail17trampoline_kernelINS0_13select_configILj256ELj13ELNS0_17block_load_methodE3ELS4_3ELS4_3ELNS0_20block_scan_algorithmE0ELj4294967295EEENS1_25partition_config_selectorILNS1_17partition_subalgoE3EjNS0_10empty_typeEbEEZZNS1_14partition_implILS8_3ELb0ES6_jNS0_17counting_iteratorIjlEEPS9_SE_NS0_5tupleIJPjSE_EEENSF_IJSE_SE_EEES9_SG_JZNS1_25segmented_radix_sort_implINS0_14default_configELb0EPKfPfPKlPlN2at6native12_GLOBAL__N_18offset_tEEE10hipError_tPvRmT1_PNSt15iterator_traitsISY_E10value_typeET2_T3_PNSZ_IS14_E10value_typeET4_jRbjT5_S1A_jjP12ihipStream_tbEUljE_EEESV_SW_SX_S14_S18_S1A_T6_T7_T9_mT8_S1C_bDpT10_ENKUlT_T0_E_clISt17integral_constantIbLb1EES1O_IbLb0EEEEDaS1K_S1L_EUlS1K_E_NS1_11comp_targetILNS1_3genE0ELNS1_11target_archE4294967295ELNS1_3gpuE0ELNS1_3repE0EEENS1_30default_config_static_selectorELNS0_4arch9wavefront6targetE0EEEvSY_ ; -- Begin function _ZN7rocprim17ROCPRIM_400000_NS6detail17trampoline_kernelINS0_13select_configILj256ELj13ELNS0_17block_load_methodE3ELS4_3ELS4_3ELNS0_20block_scan_algorithmE0ELj4294967295EEENS1_25partition_config_selectorILNS1_17partition_subalgoE3EjNS0_10empty_typeEbEEZZNS1_14partition_implILS8_3ELb0ES6_jNS0_17counting_iteratorIjlEEPS9_SE_NS0_5tupleIJPjSE_EEENSF_IJSE_SE_EEES9_SG_JZNS1_25segmented_radix_sort_implINS0_14default_configELb0EPKfPfPKlPlN2at6native12_GLOBAL__N_18offset_tEEE10hipError_tPvRmT1_PNSt15iterator_traitsISY_E10value_typeET2_T3_PNSZ_IS14_E10value_typeET4_jRbjT5_S1A_jjP12ihipStream_tbEUljE_EEESV_SW_SX_S14_S18_S1A_T6_T7_T9_mT8_S1C_bDpT10_ENKUlT_T0_E_clISt17integral_constantIbLb1EES1O_IbLb0EEEEDaS1K_S1L_EUlS1K_E_NS1_11comp_targetILNS1_3genE0ELNS1_11target_archE4294967295ELNS1_3gpuE0ELNS1_3repE0EEENS1_30default_config_static_selectorELNS0_4arch9wavefront6targetE0EEEvSY_
	.p2align	8
	.type	_ZN7rocprim17ROCPRIM_400000_NS6detail17trampoline_kernelINS0_13select_configILj256ELj13ELNS0_17block_load_methodE3ELS4_3ELS4_3ELNS0_20block_scan_algorithmE0ELj4294967295EEENS1_25partition_config_selectorILNS1_17partition_subalgoE3EjNS0_10empty_typeEbEEZZNS1_14partition_implILS8_3ELb0ES6_jNS0_17counting_iteratorIjlEEPS9_SE_NS0_5tupleIJPjSE_EEENSF_IJSE_SE_EEES9_SG_JZNS1_25segmented_radix_sort_implINS0_14default_configELb0EPKfPfPKlPlN2at6native12_GLOBAL__N_18offset_tEEE10hipError_tPvRmT1_PNSt15iterator_traitsISY_E10value_typeET2_T3_PNSZ_IS14_E10value_typeET4_jRbjT5_S1A_jjP12ihipStream_tbEUljE_EEESV_SW_SX_S14_S18_S1A_T6_T7_T9_mT8_S1C_bDpT10_ENKUlT_T0_E_clISt17integral_constantIbLb1EES1O_IbLb0EEEEDaS1K_S1L_EUlS1K_E_NS1_11comp_targetILNS1_3genE0ELNS1_11target_archE4294967295ELNS1_3gpuE0ELNS1_3repE0EEENS1_30default_config_static_selectorELNS0_4arch9wavefront6targetE0EEEvSY_,@function
_ZN7rocprim17ROCPRIM_400000_NS6detail17trampoline_kernelINS0_13select_configILj256ELj13ELNS0_17block_load_methodE3ELS4_3ELS4_3ELNS0_20block_scan_algorithmE0ELj4294967295EEENS1_25partition_config_selectorILNS1_17partition_subalgoE3EjNS0_10empty_typeEbEEZZNS1_14partition_implILS8_3ELb0ES6_jNS0_17counting_iteratorIjlEEPS9_SE_NS0_5tupleIJPjSE_EEENSF_IJSE_SE_EEES9_SG_JZNS1_25segmented_radix_sort_implINS0_14default_configELb0EPKfPfPKlPlN2at6native12_GLOBAL__N_18offset_tEEE10hipError_tPvRmT1_PNSt15iterator_traitsISY_E10value_typeET2_T3_PNSZ_IS14_E10value_typeET4_jRbjT5_S1A_jjP12ihipStream_tbEUljE_EEESV_SW_SX_S14_S18_S1A_T6_T7_T9_mT8_S1C_bDpT10_ENKUlT_T0_E_clISt17integral_constantIbLb1EES1O_IbLb0EEEEDaS1K_S1L_EUlS1K_E_NS1_11comp_targetILNS1_3genE0ELNS1_11target_archE4294967295ELNS1_3gpuE0ELNS1_3repE0EEENS1_30default_config_static_selectorELNS0_4arch9wavefront6targetE0EEEvSY_: ; @_ZN7rocprim17ROCPRIM_400000_NS6detail17trampoline_kernelINS0_13select_configILj256ELj13ELNS0_17block_load_methodE3ELS4_3ELS4_3ELNS0_20block_scan_algorithmE0ELj4294967295EEENS1_25partition_config_selectorILNS1_17partition_subalgoE3EjNS0_10empty_typeEbEEZZNS1_14partition_implILS8_3ELb0ES6_jNS0_17counting_iteratorIjlEEPS9_SE_NS0_5tupleIJPjSE_EEENSF_IJSE_SE_EEES9_SG_JZNS1_25segmented_radix_sort_implINS0_14default_configELb0EPKfPfPKlPlN2at6native12_GLOBAL__N_18offset_tEEE10hipError_tPvRmT1_PNSt15iterator_traitsISY_E10value_typeET2_T3_PNSZ_IS14_E10value_typeET4_jRbjT5_S1A_jjP12ihipStream_tbEUljE_EEESV_SW_SX_S14_S18_S1A_T6_T7_T9_mT8_S1C_bDpT10_ENKUlT_T0_E_clISt17integral_constantIbLb1EES1O_IbLb0EEEEDaS1K_S1L_EUlS1K_E_NS1_11comp_targetILNS1_3genE0ELNS1_11target_archE4294967295ELNS1_3gpuE0ELNS1_3repE0EEENS1_30default_config_static_selectorELNS0_4arch9wavefront6targetE0EEEvSY_
; %bb.0:
	.section	.rodata,"a",@progbits
	.p2align	6, 0x0
	.amdhsa_kernel _ZN7rocprim17ROCPRIM_400000_NS6detail17trampoline_kernelINS0_13select_configILj256ELj13ELNS0_17block_load_methodE3ELS4_3ELS4_3ELNS0_20block_scan_algorithmE0ELj4294967295EEENS1_25partition_config_selectorILNS1_17partition_subalgoE3EjNS0_10empty_typeEbEEZZNS1_14partition_implILS8_3ELb0ES6_jNS0_17counting_iteratorIjlEEPS9_SE_NS0_5tupleIJPjSE_EEENSF_IJSE_SE_EEES9_SG_JZNS1_25segmented_radix_sort_implINS0_14default_configELb0EPKfPfPKlPlN2at6native12_GLOBAL__N_18offset_tEEE10hipError_tPvRmT1_PNSt15iterator_traitsISY_E10value_typeET2_T3_PNSZ_IS14_E10value_typeET4_jRbjT5_S1A_jjP12ihipStream_tbEUljE_EEESV_SW_SX_S14_S18_S1A_T6_T7_T9_mT8_S1C_bDpT10_ENKUlT_T0_E_clISt17integral_constantIbLb1EES1O_IbLb0EEEEDaS1K_S1L_EUlS1K_E_NS1_11comp_targetILNS1_3genE0ELNS1_11target_archE4294967295ELNS1_3gpuE0ELNS1_3repE0EEENS1_30default_config_static_selectorELNS0_4arch9wavefront6targetE0EEEvSY_
		.amdhsa_group_segment_fixed_size 0
		.amdhsa_private_segment_fixed_size 0
		.amdhsa_kernarg_size 144
		.amdhsa_user_sgpr_count 2
		.amdhsa_user_sgpr_dispatch_ptr 0
		.amdhsa_user_sgpr_queue_ptr 0
		.amdhsa_user_sgpr_kernarg_segment_ptr 1
		.amdhsa_user_sgpr_dispatch_id 0
		.amdhsa_user_sgpr_private_segment_size 0
		.amdhsa_wavefront_size32 1
		.amdhsa_uses_dynamic_stack 0
		.amdhsa_enable_private_segment 0
		.amdhsa_system_sgpr_workgroup_id_x 1
		.amdhsa_system_sgpr_workgroup_id_y 0
		.amdhsa_system_sgpr_workgroup_id_z 0
		.amdhsa_system_sgpr_workgroup_info 0
		.amdhsa_system_vgpr_workitem_id 0
		.amdhsa_next_free_vgpr 1
		.amdhsa_next_free_sgpr 1
		.amdhsa_reserve_vcc 0
		.amdhsa_float_round_mode_32 0
		.amdhsa_float_round_mode_16_64 0
		.amdhsa_float_denorm_mode_32 3
		.amdhsa_float_denorm_mode_16_64 3
		.amdhsa_fp16_overflow 0
		.amdhsa_workgroup_processor_mode 1
		.amdhsa_memory_ordered 1
		.amdhsa_forward_progress 1
		.amdhsa_inst_pref_size 0
		.amdhsa_round_robin_scheduling 0
		.amdhsa_exception_fp_ieee_invalid_op 0
		.amdhsa_exception_fp_denorm_src 0
		.amdhsa_exception_fp_ieee_div_zero 0
		.amdhsa_exception_fp_ieee_overflow 0
		.amdhsa_exception_fp_ieee_underflow 0
		.amdhsa_exception_fp_ieee_inexact 0
		.amdhsa_exception_int_div_zero 0
	.end_amdhsa_kernel
	.section	.text._ZN7rocprim17ROCPRIM_400000_NS6detail17trampoline_kernelINS0_13select_configILj256ELj13ELNS0_17block_load_methodE3ELS4_3ELS4_3ELNS0_20block_scan_algorithmE0ELj4294967295EEENS1_25partition_config_selectorILNS1_17partition_subalgoE3EjNS0_10empty_typeEbEEZZNS1_14partition_implILS8_3ELb0ES6_jNS0_17counting_iteratorIjlEEPS9_SE_NS0_5tupleIJPjSE_EEENSF_IJSE_SE_EEES9_SG_JZNS1_25segmented_radix_sort_implINS0_14default_configELb0EPKfPfPKlPlN2at6native12_GLOBAL__N_18offset_tEEE10hipError_tPvRmT1_PNSt15iterator_traitsISY_E10value_typeET2_T3_PNSZ_IS14_E10value_typeET4_jRbjT5_S1A_jjP12ihipStream_tbEUljE_EEESV_SW_SX_S14_S18_S1A_T6_T7_T9_mT8_S1C_bDpT10_ENKUlT_T0_E_clISt17integral_constantIbLb1EES1O_IbLb0EEEEDaS1K_S1L_EUlS1K_E_NS1_11comp_targetILNS1_3genE0ELNS1_11target_archE4294967295ELNS1_3gpuE0ELNS1_3repE0EEENS1_30default_config_static_selectorELNS0_4arch9wavefront6targetE0EEEvSY_,"axG",@progbits,_ZN7rocprim17ROCPRIM_400000_NS6detail17trampoline_kernelINS0_13select_configILj256ELj13ELNS0_17block_load_methodE3ELS4_3ELS4_3ELNS0_20block_scan_algorithmE0ELj4294967295EEENS1_25partition_config_selectorILNS1_17partition_subalgoE3EjNS0_10empty_typeEbEEZZNS1_14partition_implILS8_3ELb0ES6_jNS0_17counting_iteratorIjlEEPS9_SE_NS0_5tupleIJPjSE_EEENSF_IJSE_SE_EEES9_SG_JZNS1_25segmented_radix_sort_implINS0_14default_configELb0EPKfPfPKlPlN2at6native12_GLOBAL__N_18offset_tEEE10hipError_tPvRmT1_PNSt15iterator_traitsISY_E10value_typeET2_T3_PNSZ_IS14_E10value_typeET4_jRbjT5_S1A_jjP12ihipStream_tbEUljE_EEESV_SW_SX_S14_S18_S1A_T6_T7_T9_mT8_S1C_bDpT10_ENKUlT_T0_E_clISt17integral_constantIbLb1EES1O_IbLb0EEEEDaS1K_S1L_EUlS1K_E_NS1_11comp_targetILNS1_3genE0ELNS1_11target_archE4294967295ELNS1_3gpuE0ELNS1_3repE0EEENS1_30default_config_static_selectorELNS0_4arch9wavefront6targetE0EEEvSY_,comdat
.Lfunc_end1412:
	.size	_ZN7rocprim17ROCPRIM_400000_NS6detail17trampoline_kernelINS0_13select_configILj256ELj13ELNS0_17block_load_methodE3ELS4_3ELS4_3ELNS0_20block_scan_algorithmE0ELj4294967295EEENS1_25partition_config_selectorILNS1_17partition_subalgoE3EjNS0_10empty_typeEbEEZZNS1_14partition_implILS8_3ELb0ES6_jNS0_17counting_iteratorIjlEEPS9_SE_NS0_5tupleIJPjSE_EEENSF_IJSE_SE_EEES9_SG_JZNS1_25segmented_radix_sort_implINS0_14default_configELb0EPKfPfPKlPlN2at6native12_GLOBAL__N_18offset_tEEE10hipError_tPvRmT1_PNSt15iterator_traitsISY_E10value_typeET2_T3_PNSZ_IS14_E10value_typeET4_jRbjT5_S1A_jjP12ihipStream_tbEUljE_EEESV_SW_SX_S14_S18_S1A_T6_T7_T9_mT8_S1C_bDpT10_ENKUlT_T0_E_clISt17integral_constantIbLb1EES1O_IbLb0EEEEDaS1K_S1L_EUlS1K_E_NS1_11comp_targetILNS1_3genE0ELNS1_11target_archE4294967295ELNS1_3gpuE0ELNS1_3repE0EEENS1_30default_config_static_selectorELNS0_4arch9wavefront6targetE0EEEvSY_, .Lfunc_end1412-_ZN7rocprim17ROCPRIM_400000_NS6detail17trampoline_kernelINS0_13select_configILj256ELj13ELNS0_17block_load_methodE3ELS4_3ELS4_3ELNS0_20block_scan_algorithmE0ELj4294967295EEENS1_25partition_config_selectorILNS1_17partition_subalgoE3EjNS0_10empty_typeEbEEZZNS1_14partition_implILS8_3ELb0ES6_jNS0_17counting_iteratorIjlEEPS9_SE_NS0_5tupleIJPjSE_EEENSF_IJSE_SE_EEES9_SG_JZNS1_25segmented_radix_sort_implINS0_14default_configELb0EPKfPfPKlPlN2at6native12_GLOBAL__N_18offset_tEEE10hipError_tPvRmT1_PNSt15iterator_traitsISY_E10value_typeET2_T3_PNSZ_IS14_E10value_typeET4_jRbjT5_S1A_jjP12ihipStream_tbEUljE_EEESV_SW_SX_S14_S18_S1A_T6_T7_T9_mT8_S1C_bDpT10_ENKUlT_T0_E_clISt17integral_constantIbLb1EES1O_IbLb0EEEEDaS1K_S1L_EUlS1K_E_NS1_11comp_targetILNS1_3genE0ELNS1_11target_archE4294967295ELNS1_3gpuE0ELNS1_3repE0EEENS1_30default_config_static_selectorELNS0_4arch9wavefront6targetE0EEEvSY_
                                        ; -- End function
	.set _ZN7rocprim17ROCPRIM_400000_NS6detail17trampoline_kernelINS0_13select_configILj256ELj13ELNS0_17block_load_methodE3ELS4_3ELS4_3ELNS0_20block_scan_algorithmE0ELj4294967295EEENS1_25partition_config_selectorILNS1_17partition_subalgoE3EjNS0_10empty_typeEbEEZZNS1_14partition_implILS8_3ELb0ES6_jNS0_17counting_iteratorIjlEEPS9_SE_NS0_5tupleIJPjSE_EEENSF_IJSE_SE_EEES9_SG_JZNS1_25segmented_radix_sort_implINS0_14default_configELb0EPKfPfPKlPlN2at6native12_GLOBAL__N_18offset_tEEE10hipError_tPvRmT1_PNSt15iterator_traitsISY_E10value_typeET2_T3_PNSZ_IS14_E10value_typeET4_jRbjT5_S1A_jjP12ihipStream_tbEUljE_EEESV_SW_SX_S14_S18_S1A_T6_T7_T9_mT8_S1C_bDpT10_ENKUlT_T0_E_clISt17integral_constantIbLb1EES1O_IbLb0EEEEDaS1K_S1L_EUlS1K_E_NS1_11comp_targetILNS1_3genE0ELNS1_11target_archE4294967295ELNS1_3gpuE0ELNS1_3repE0EEENS1_30default_config_static_selectorELNS0_4arch9wavefront6targetE0EEEvSY_.num_vgpr, 0
	.set _ZN7rocprim17ROCPRIM_400000_NS6detail17trampoline_kernelINS0_13select_configILj256ELj13ELNS0_17block_load_methodE3ELS4_3ELS4_3ELNS0_20block_scan_algorithmE0ELj4294967295EEENS1_25partition_config_selectorILNS1_17partition_subalgoE3EjNS0_10empty_typeEbEEZZNS1_14partition_implILS8_3ELb0ES6_jNS0_17counting_iteratorIjlEEPS9_SE_NS0_5tupleIJPjSE_EEENSF_IJSE_SE_EEES9_SG_JZNS1_25segmented_radix_sort_implINS0_14default_configELb0EPKfPfPKlPlN2at6native12_GLOBAL__N_18offset_tEEE10hipError_tPvRmT1_PNSt15iterator_traitsISY_E10value_typeET2_T3_PNSZ_IS14_E10value_typeET4_jRbjT5_S1A_jjP12ihipStream_tbEUljE_EEESV_SW_SX_S14_S18_S1A_T6_T7_T9_mT8_S1C_bDpT10_ENKUlT_T0_E_clISt17integral_constantIbLb1EES1O_IbLb0EEEEDaS1K_S1L_EUlS1K_E_NS1_11comp_targetILNS1_3genE0ELNS1_11target_archE4294967295ELNS1_3gpuE0ELNS1_3repE0EEENS1_30default_config_static_selectorELNS0_4arch9wavefront6targetE0EEEvSY_.num_agpr, 0
	.set _ZN7rocprim17ROCPRIM_400000_NS6detail17trampoline_kernelINS0_13select_configILj256ELj13ELNS0_17block_load_methodE3ELS4_3ELS4_3ELNS0_20block_scan_algorithmE0ELj4294967295EEENS1_25partition_config_selectorILNS1_17partition_subalgoE3EjNS0_10empty_typeEbEEZZNS1_14partition_implILS8_3ELb0ES6_jNS0_17counting_iteratorIjlEEPS9_SE_NS0_5tupleIJPjSE_EEENSF_IJSE_SE_EEES9_SG_JZNS1_25segmented_radix_sort_implINS0_14default_configELb0EPKfPfPKlPlN2at6native12_GLOBAL__N_18offset_tEEE10hipError_tPvRmT1_PNSt15iterator_traitsISY_E10value_typeET2_T3_PNSZ_IS14_E10value_typeET4_jRbjT5_S1A_jjP12ihipStream_tbEUljE_EEESV_SW_SX_S14_S18_S1A_T6_T7_T9_mT8_S1C_bDpT10_ENKUlT_T0_E_clISt17integral_constantIbLb1EES1O_IbLb0EEEEDaS1K_S1L_EUlS1K_E_NS1_11comp_targetILNS1_3genE0ELNS1_11target_archE4294967295ELNS1_3gpuE0ELNS1_3repE0EEENS1_30default_config_static_selectorELNS0_4arch9wavefront6targetE0EEEvSY_.numbered_sgpr, 0
	.set _ZN7rocprim17ROCPRIM_400000_NS6detail17trampoline_kernelINS0_13select_configILj256ELj13ELNS0_17block_load_methodE3ELS4_3ELS4_3ELNS0_20block_scan_algorithmE0ELj4294967295EEENS1_25partition_config_selectorILNS1_17partition_subalgoE3EjNS0_10empty_typeEbEEZZNS1_14partition_implILS8_3ELb0ES6_jNS0_17counting_iteratorIjlEEPS9_SE_NS0_5tupleIJPjSE_EEENSF_IJSE_SE_EEES9_SG_JZNS1_25segmented_radix_sort_implINS0_14default_configELb0EPKfPfPKlPlN2at6native12_GLOBAL__N_18offset_tEEE10hipError_tPvRmT1_PNSt15iterator_traitsISY_E10value_typeET2_T3_PNSZ_IS14_E10value_typeET4_jRbjT5_S1A_jjP12ihipStream_tbEUljE_EEESV_SW_SX_S14_S18_S1A_T6_T7_T9_mT8_S1C_bDpT10_ENKUlT_T0_E_clISt17integral_constantIbLb1EES1O_IbLb0EEEEDaS1K_S1L_EUlS1K_E_NS1_11comp_targetILNS1_3genE0ELNS1_11target_archE4294967295ELNS1_3gpuE0ELNS1_3repE0EEENS1_30default_config_static_selectorELNS0_4arch9wavefront6targetE0EEEvSY_.num_named_barrier, 0
	.set _ZN7rocprim17ROCPRIM_400000_NS6detail17trampoline_kernelINS0_13select_configILj256ELj13ELNS0_17block_load_methodE3ELS4_3ELS4_3ELNS0_20block_scan_algorithmE0ELj4294967295EEENS1_25partition_config_selectorILNS1_17partition_subalgoE3EjNS0_10empty_typeEbEEZZNS1_14partition_implILS8_3ELb0ES6_jNS0_17counting_iteratorIjlEEPS9_SE_NS0_5tupleIJPjSE_EEENSF_IJSE_SE_EEES9_SG_JZNS1_25segmented_radix_sort_implINS0_14default_configELb0EPKfPfPKlPlN2at6native12_GLOBAL__N_18offset_tEEE10hipError_tPvRmT1_PNSt15iterator_traitsISY_E10value_typeET2_T3_PNSZ_IS14_E10value_typeET4_jRbjT5_S1A_jjP12ihipStream_tbEUljE_EEESV_SW_SX_S14_S18_S1A_T6_T7_T9_mT8_S1C_bDpT10_ENKUlT_T0_E_clISt17integral_constantIbLb1EES1O_IbLb0EEEEDaS1K_S1L_EUlS1K_E_NS1_11comp_targetILNS1_3genE0ELNS1_11target_archE4294967295ELNS1_3gpuE0ELNS1_3repE0EEENS1_30default_config_static_selectorELNS0_4arch9wavefront6targetE0EEEvSY_.private_seg_size, 0
	.set _ZN7rocprim17ROCPRIM_400000_NS6detail17trampoline_kernelINS0_13select_configILj256ELj13ELNS0_17block_load_methodE3ELS4_3ELS4_3ELNS0_20block_scan_algorithmE0ELj4294967295EEENS1_25partition_config_selectorILNS1_17partition_subalgoE3EjNS0_10empty_typeEbEEZZNS1_14partition_implILS8_3ELb0ES6_jNS0_17counting_iteratorIjlEEPS9_SE_NS0_5tupleIJPjSE_EEENSF_IJSE_SE_EEES9_SG_JZNS1_25segmented_radix_sort_implINS0_14default_configELb0EPKfPfPKlPlN2at6native12_GLOBAL__N_18offset_tEEE10hipError_tPvRmT1_PNSt15iterator_traitsISY_E10value_typeET2_T3_PNSZ_IS14_E10value_typeET4_jRbjT5_S1A_jjP12ihipStream_tbEUljE_EEESV_SW_SX_S14_S18_S1A_T6_T7_T9_mT8_S1C_bDpT10_ENKUlT_T0_E_clISt17integral_constantIbLb1EES1O_IbLb0EEEEDaS1K_S1L_EUlS1K_E_NS1_11comp_targetILNS1_3genE0ELNS1_11target_archE4294967295ELNS1_3gpuE0ELNS1_3repE0EEENS1_30default_config_static_selectorELNS0_4arch9wavefront6targetE0EEEvSY_.uses_vcc, 0
	.set _ZN7rocprim17ROCPRIM_400000_NS6detail17trampoline_kernelINS0_13select_configILj256ELj13ELNS0_17block_load_methodE3ELS4_3ELS4_3ELNS0_20block_scan_algorithmE0ELj4294967295EEENS1_25partition_config_selectorILNS1_17partition_subalgoE3EjNS0_10empty_typeEbEEZZNS1_14partition_implILS8_3ELb0ES6_jNS0_17counting_iteratorIjlEEPS9_SE_NS0_5tupleIJPjSE_EEENSF_IJSE_SE_EEES9_SG_JZNS1_25segmented_radix_sort_implINS0_14default_configELb0EPKfPfPKlPlN2at6native12_GLOBAL__N_18offset_tEEE10hipError_tPvRmT1_PNSt15iterator_traitsISY_E10value_typeET2_T3_PNSZ_IS14_E10value_typeET4_jRbjT5_S1A_jjP12ihipStream_tbEUljE_EEESV_SW_SX_S14_S18_S1A_T6_T7_T9_mT8_S1C_bDpT10_ENKUlT_T0_E_clISt17integral_constantIbLb1EES1O_IbLb0EEEEDaS1K_S1L_EUlS1K_E_NS1_11comp_targetILNS1_3genE0ELNS1_11target_archE4294967295ELNS1_3gpuE0ELNS1_3repE0EEENS1_30default_config_static_selectorELNS0_4arch9wavefront6targetE0EEEvSY_.uses_flat_scratch, 0
	.set _ZN7rocprim17ROCPRIM_400000_NS6detail17trampoline_kernelINS0_13select_configILj256ELj13ELNS0_17block_load_methodE3ELS4_3ELS4_3ELNS0_20block_scan_algorithmE0ELj4294967295EEENS1_25partition_config_selectorILNS1_17partition_subalgoE3EjNS0_10empty_typeEbEEZZNS1_14partition_implILS8_3ELb0ES6_jNS0_17counting_iteratorIjlEEPS9_SE_NS0_5tupleIJPjSE_EEENSF_IJSE_SE_EEES9_SG_JZNS1_25segmented_radix_sort_implINS0_14default_configELb0EPKfPfPKlPlN2at6native12_GLOBAL__N_18offset_tEEE10hipError_tPvRmT1_PNSt15iterator_traitsISY_E10value_typeET2_T3_PNSZ_IS14_E10value_typeET4_jRbjT5_S1A_jjP12ihipStream_tbEUljE_EEESV_SW_SX_S14_S18_S1A_T6_T7_T9_mT8_S1C_bDpT10_ENKUlT_T0_E_clISt17integral_constantIbLb1EES1O_IbLb0EEEEDaS1K_S1L_EUlS1K_E_NS1_11comp_targetILNS1_3genE0ELNS1_11target_archE4294967295ELNS1_3gpuE0ELNS1_3repE0EEENS1_30default_config_static_selectorELNS0_4arch9wavefront6targetE0EEEvSY_.has_dyn_sized_stack, 0
	.set _ZN7rocprim17ROCPRIM_400000_NS6detail17trampoline_kernelINS0_13select_configILj256ELj13ELNS0_17block_load_methodE3ELS4_3ELS4_3ELNS0_20block_scan_algorithmE0ELj4294967295EEENS1_25partition_config_selectorILNS1_17partition_subalgoE3EjNS0_10empty_typeEbEEZZNS1_14partition_implILS8_3ELb0ES6_jNS0_17counting_iteratorIjlEEPS9_SE_NS0_5tupleIJPjSE_EEENSF_IJSE_SE_EEES9_SG_JZNS1_25segmented_radix_sort_implINS0_14default_configELb0EPKfPfPKlPlN2at6native12_GLOBAL__N_18offset_tEEE10hipError_tPvRmT1_PNSt15iterator_traitsISY_E10value_typeET2_T3_PNSZ_IS14_E10value_typeET4_jRbjT5_S1A_jjP12ihipStream_tbEUljE_EEESV_SW_SX_S14_S18_S1A_T6_T7_T9_mT8_S1C_bDpT10_ENKUlT_T0_E_clISt17integral_constantIbLb1EES1O_IbLb0EEEEDaS1K_S1L_EUlS1K_E_NS1_11comp_targetILNS1_3genE0ELNS1_11target_archE4294967295ELNS1_3gpuE0ELNS1_3repE0EEENS1_30default_config_static_selectorELNS0_4arch9wavefront6targetE0EEEvSY_.has_recursion, 0
	.set _ZN7rocprim17ROCPRIM_400000_NS6detail17trampoline_kernelINS0_13select_configILj256ELj13ELNS0_17block_load_methodE3ELS4_3ELS4_3ELNS0_20block_scan_algorithmE0ELj4294967295EEENS1_25partition_config_selectorILNS1_17partition_subalgoE3EjNS0_10empty_typeEbEEZZNS1_14partition_implILS8_3ELb0ES6_jNS0_17counting_iteratorIjlEEPS9_SE_NS0_5tupleIJPjSE_EEENSF_IJSE_SE_EEES9_SG_JZNS1_25segmented_radix_sort_implINS0_14default_configELb0EPKfPfPKlPlN2at6native12_GLOBAL__N_18offset_tEEE10hipError_tPvRmT1_PNSt15iterator_traitsISY_E10value_typeET2_T3_PNSZ_IS14_E10value_typeET4_jRbjT5_S1A_jjP12ihipStream_tbEUljE_EEESV_SW_SX_S14_S18_S1A_T6_T7_T9_mT8_S1C_bDpT10_ENKUlT_T0_E_clISt17integral_constantIbLb1EES1O_IbLb0EEEEDaS1K_S1L_EUlS1K_E_NS1_11comp_targetILNS1_3genE0ELNS1_11target_archE4294967295ELNS1_3gpuE0ELNS1_3repE0EEENS1_30default_config_static_selectorELNS0_4arch9wavefront6targetE0EEEvSY_.has_indirect_call, 0
	.section	.AMDGPU.csdata,"",@progbits
; Kernel info:
; codeLenInByte = 0
; TotalNumSgprs: 0
; NumVgprs: 0
; ScratchSize: 0
; MemoryBound: 0
; FloatMode: 240
; IeeeMode: 1
; LDSByteSize: 0 bytes/workgroup (compile time only)
; SGPRBlocks: 0
; VGPRBlocks: 0
; NumSGPRsForWavesPerEU: 1
; NumVGPRsForWavesPerEU: 1
; Occupancy: 16
; WaveLimiterHint : 0
; COMPUTE_PGM_RSRC2:SCRATCH_EN: 0
; COMPUTE_PGM_RSRC2:USER_SGPR: 2
; COMPUTE_PGM_RSRC2:TRAP_HANDLER: 0
; COMPUTE_PGM_RSRC2:TGID_X_EN: 1
; COMPUTE_PGM_RSRC2:TGID_Y_EN: 0
; COMPUTE_PGM_RSRC2:TGID_Z_EN: 0
; COMPUTE_PGM_RSRC2:TIDIG_COMP_CNT: 0
	.section	.text._ZN7rocprim17ROCPRIM_400000_NS6detail17trampoline_kernelINS0_13select_configILj256ELj13ELNS0_17block_load_methodE3ELS4_3ELS4_3ELNS0_20block_scan_algorithmE0ELj4294967295EEENS1_25partition_config_selectorILNS1_17partition_subalgoE3EjNS0_10empty_typeEbEEZZNS1_14partition_implILS8_3ELb0ES6_jNS0_17counting_iteratorIjlEEPS9_SE_NS0_5tupleIJPjSE_EEENSF_IJSE_SE_EEES9_SG_JZNS1_25segmented_radix_sort_implINS0_14default_configELb0EPKfPfPKlPlN2at6native12_GLOBAL__N_18offset_tEEE10hipError_tPvRmT1_PNSt15iterator_traitsISY_E10value_typeET2_T3_PNSZ_IS14_E10value_typeET4_jRbjT5_S1A_jjP12ihipStream_tbEUljE_EEESV_SW_SX_S14_S18_S1A_T6_T7_T9_mT8_S1C_bDpT10_ENKUlT_T0_E_clISt17integral_constantIbLb1EES1O_IbLb0EEEEDaS1K_S1L_EUlS1K_E_NS1_11comp_targetILNS1_3genE5ELNS1_11target_archE942ELNS1_3gpuE9ELNS1_3repE0EEENS1_30default_config_static_selectorELNS0_4arch9wavefront6targetE0EEEvSY_,"axG",@progbits,_ZN7rocprim17ROCPRIM_400000_NS6detail17trampoline_kernelINS0_13select_configILj256ELj13ELNS0_17block_load_methodE3ELS4_3ELS4_3ELNS0_20block_scan_algorithmE0ELj4294967295EEENS1_25partition_config_selectorILNS1_17partition_subalgoE3EjNS0_10empty_typeEbEEZZNS1_14partition_implILS8_3ELb0ES6_jNS0_17counting_iteratorIjlEEPS9_SE_NS0_5tupleIJPjSE_EEENSF_IJSE_SE_EEES9_SG_JZNS1_25segmented_radix_sort_implINS0_14default_configELb0EPKfPfPKlPlN2at6native12_GLOBAL__N_18offset_tEEE10hipError_tPvRmT1_PNSt15iterator_traitsISY_E10value_typeET2_T3_PNSZ_IS14_E10value_typeET4_jRbjT5_S1A_jjP12ihipStream_tbEUljE_EEESV_SW_SX_S14_S18_S1A_T6_T7_T9_mT8_S1C_bDpT10_ENKUlT_T0_E_clISt17integral_constantIbLb1EES1O_IbLb0EEEEDaS1K_S1L_EUlS1K_E_NS1_11comp_targetILNS1_3genE5ELNS1_11target_archE942ELNS1_3gpuE9ELNS1_3repE0EEENS1_30default_config_static_selectorELNS0_4arch9wavefront6targetE0EEEvSY_,comdat
	.globl	_ZN7rocprim17ROCPRIM_400000_NS6detail17trampoline_kernelINS0_13select_configILj256ELj13ELNS0_17block_load_methodE3ELS4_3ELS4_3ELNS0_20block_scan_algorithmE0ELj4294967295EEENS1_25partition_config_selectorILNS1_17partition_subalgoE3EjNS0_10empty_typeEbEEZZNS1_14partition_implILS8_3ELb0ES6_jNS0_17counting_iteratorIjlEEPS9_SE_NS0_5tupleIJPjSE_EEENSF_IJSE_SE_EEES9_SG_JZNS1_25segmented_radix_sort_implINS0_14default_configELb0EPKfPfPKlPlN2at6native12_GLOBAL__N_18offset_tEEE10hipError_tPvRmT1_PNSt15iterator_traitsISY_E10value_typeET2_T3_PNSZ_IS14_E10value_typeET4_jRbjT5_S1A_jjP12ihipStream_tbEUljE_EEESV_SW_SX_S14_S18_S1A_T6_T7_T9_mT8_S1C_bDpT10_ENKUlT_T0_E_clISt17integral_constantIbLb1EES1O_IbLb0EEEEDaS1K_S1L_EUlS1K_E_NS1_11comp_targetILNS1_3genE5ELNS1_11target_archE942ELNS1_3gpuE9ELNS1_3repE0EEENS1_30default_config_static_selectorELNS0_4arch9wavefront6targetE0EEEvSY_ ; -- Begin function _ZN7rocprim17ROCPRIM_400000_NS6detail17trampoline_kernelINS0_13select_configILj256ELj13ELNS0_17block_load_methodE3ELS4_3ELS4_3ELNS0_20block_scan_algorithmE0ELj4294967295EEENS1_25partition_config_selectorILNS1_17partition_subalgoE3EjNS0_10empty_typeEbEEZZNS1_14partition_implILS8_3ELb0ES6_jNS0_17counting_iteratorIjlEEPS9_SE_NS0_5tupleIJPjSE_EEENSF_IJSE_SE_EEES9_SG_JZNS1_25segmented_radix_sort_implINS0_14default_configELb0EPKfPfPKlPlN2at6native12_GLOBAL__N_18offset_tEEE10hipError_tPvRmT1_PNSt15iterator_traitsISY_E10value_typeET2_T3_PNSZ_IS14_E10value_typeET4_jRbjT5_S1A_jjP12ihipStream_tbEUljE_EEESV_SW_SX_S14_S18_S1A_T6_T7_T9_mT8_S1C_bDpT10_ENKUlT_T0_E_clISt17integral_constantIbLb1EES1O_IbLb0EEEEDaS1K_S1L_EUlS1K_E_NS1_11comp_targetILNS1_3genE5ELNS1_11target_archE942ELNS1_3gpuE9ELNS1_3repE0EEENS1_30default_config_static_selectorELNS0_4arch9wavefront6targetE0EEEvSY_
	.p2align	8
	.type	_ZN7rocprim17ROCPRIM_400000_NS6detail17trampoline_kernelINS0_13select_configILj256ELj13ELNS0_17block_load_methodE3ELS4_3ELS4_3ELNS0_20block_scan_algorithmE0ELj4294967295EEENS1_25partition_config_selectorILNS1_17partition_subalgoE3EjNS0_10empty_typeEbEEZZNS1_14partition_implILS8_3ELb0ES6_jNS0_17counting_iteratorIjlEEPS9_SE_NS0_5tupleIJPjSE_EEENSF_IJSE_SE_EEES9_SG_JZNS1_25segmented_radix_sort_implINS0_14default_configELb0EPKfPfPKlPlN2at6native12_GLOBAL__N_18offset_tEEE10hipError_tPvRmT1_PNSt15iterator_traitsISY_E10value_typeET2_T3_PNSZ_IS14_E10value_typeET4_jRbjT5_S1A_jjP12ihipStream_tbEUljE_EEESV_SW_SX_S14_S18_S1A_T6_T7_T9_mT8_S1C_bDpT10_ENKUlT_T0_E_clISt17integral_constantIbLb1EES1O_IbLb0EEEEDaS1K_S1L_EUlS1K_E_NS1_11comp_targetILNS1_3genE5ELNS1_11target_archE942ELNS1_3gpuE9ELNS1_3repE0EEENS1_30default_config_static_selectorELNS0_4arch9wavefront6targetE0EEEvSY_,@function
_ZN7rocprim17ROCPRIM_400000_NS6detail17trampoline_kernelINS0_13select_configILj256ELj13ELNS0_17block_load_methodE3ELS4_3ELS4_3ELNS0_20block_scan_algorithmE0ELj4294967295EEENS1_25partition_config_selectorILNS1_17partition_subalgoE3EjNS0_10empty_typeEbEEZZNS1_14partition_implILS8_3ELb0ES6_jNS0_17counting_iteratorIjlEEPS9_SE_NS0_5tupleIJPjSE_EEENSF_IJSE_SE_EEES9_SG_JZNS1_25segmented_radix_sort_implINS0_14default_configELb0EPKfPfPKlPlN2at6native12_GLOBAL__N_18offset_tEEE10hipError_tPvRmT1_PNSt15iterator_traitsISY_E10value_typeET2_T3_PNSZ_IS14_E10value_typeET4_jRbjT5_S1A_jjP12ihipStream_tbEUljE_EEESV_SW_SX_S14_S18_S1A_T6_T7_T9_mT8_S1C_bDpT10_ENKUlT_T0_E_clISt17integral_constantIbLb1EES1O_IbLb0EEEEDaS1K_S1L_EUlS1K_E_NS1_11comp_targetILNS1_3genE5ELNS1_11target_archE942ELNS1_3gpuE9ELNS1_3repE0EEENS1_30default_config_static_selectorELNS0_4arch9wavefront6targetE0EEEvSY_: ; @_ZN7rocprim17ROCPRIM_400000_NS6detail17trampoline_kernelINS0_13select_configILj256ELj13ELNS0_17block_load_methodE3ELS4_3ELS4_3ELNS0_20block_scan_algorithmE0ELj4294967295EEENS1_25partition_config_selectorILNS1_17partition_subalgoE3EjNS0_10empty_typeEbEEZZNS1_14partition_implILS8_3ELb0ES6_jNS0_17counting_iteratorIjlEEPS9_SE_NS0_5tupleIJPjSE_EEENSF_IJSE_SE_EEES9_SG_JZNS1_25segmented_radix_sort_implINS0_14default_configELb0EPKfPfPKlPlN2at6native12_GLOBAL__N_18offset_tEEE10hipError_tPvRmT1_PNSt15iterator_traitsISY_E10value_typeET2_T3_PNSZ_IS14_E10value_typeET4_jRbjT5_S1A_jjP12ihipStream_tbEUljE_EEESV_SW_SX_S14_S18_S1A_T6_T7_T9_mT8_S1C_bDpT10_ENKUlT_T0_E_clISt17integral_constantIbLb1EES1O_IbLb0EEEEDaS1K_S1L_EUlS1K_E_NS1_11comp_targetILNS1_3genE5ELNS1_11target_archE942ELNS1_3gpuE9ELNS1_3repE0EEENS1_30default_config_static_selectorELNS0_4arch9wavefront6targetE0EEEvSY_
; %bb.0:
	.section	.rodata,"a",@progbits
	.p2align	6, 0x0
	.amdhsa_kernel _ZN7rocprim17ROCPRIM_400000_NS6detail17trampoline_kernelINS0_13select_configILj256ELj13ELNS0_17block_load_methodE3ELS4_3ELS4_3ELNS0_20block_scan_algorithmE0ELj4294967295EEENS1_25partition_config_selectorILNS1_17partition_subalgoE3EjNS0_10empty_typeEbEEZZNS1_14partition_implILS8_3ELb0ES6_jNS0_17counting_iteratorIjlEEPS9_SE_NS0_5tupleIJPjSE_EEENSF_IJSE_SE_EEES9_SG_JZNS1_25segmented_radix_sort_implINS0_14default_configELb0EPKfPfPKlPlN2at6native12_GLOBAL__N_18offset_tEEE10hipError_tPvRmT1_PNSt15iterator_traitsISY_E10value_typeET2_T3_PNSZ_IS14_E10value_typeET4_jRbjT5_S1A_jjP12ihipStream_tbEUljE_EEESV_SW_SX_S14_S18_S1A_T6_T7_T9_mT8_S1C_bDpT10_ENKUlT_T0_E_clISt17integral_constantIbLb1EES1O_IbLb0EEEEDaS1K_S1L_EUlS1K_E_NS1_11comp_targetILNS1_3genE5ELNS1_11target_archE942ELNS1_3gpuE9ELNS1_3repE0EEENS1_30default_config_static_selectorELNS0_4arch9wavefront6targetE0EEEvSY_
		.amdhsa_group_segment_fixed_size 0
		.amdhsa_private_segment_fixed_size 0
		.amdhsa_kernarg_size 144
		.amdhsa_user_sgpr_count 2
		.amdhsa_user_sgpr_dispatch_ptr 0
		.amdhsa_user_sgpr_queue_ptr 0
		.amdhsa_user_sgpr_kernarg_segment_ptr 1
		.amdhsa_user_sgpr_dispatch_id 0
		.amdhsa_user_sgpr_private_segment_size 0
		.amdhsa_wavefront_size32 1
		.amdhsa_uses_dynamic_stack 0
		.amdhsa_enable_private_segment 0
		.amdhsa_system_sgpr_workgroup_id_x 1
		.amdhsa_system_sgpr_workgroup_id_y 0
		.amdhsa_system_sgpr_workgroup_id_z 0
		.amdhsa_system_sgpr_workgroup_info 0
		.amdhsa_system_vgpr_workitem_id 0
		.amdhsa_next_free_vgpr 1
		.amdhsa_next_free_sgpr 1
		.amdhsa_reserve_vcc 0
		.amdhsa_float_round_mode_32 0
		.amdhsa_float_round_mode_16_64 0
		.amdhsa_float_denorm_mode_32 3
		.amdhsa_float_denorm_mode_16_64 3
		.amdhsa_fp16_overflow 0
		.amdhsa_workgroup_processor_mode 1
		.amdhsa_memory_ordered 1
		.amdhsa_forward_progress 1
		.amdhsa_inst_pref_size 0
		.amdhsa_round_robin_scheduling 0
		.amdhsa_exception_fp_ieee_invalid_op 0
		.amdhsa_exception_fp_denorm_src 0
		.amdhsa_exception_fp_ieee_div_zero 0
		.amdhsa_exception_fp_ieee_overflow 0
		.amdhsa_exception_fp_ieee_underflow 0
		.amdhsa_exception_fp_ieee_inexact 0
		.amdhsa_exception_int_div_zero 0
	.end_amdhsa_kernel
	.section	.text._ZN7rocprim17ROCPRIM_400000_NS6detail17trampoline_kernelINS0_13select_configILj256ELj13ELNS0_17block_load_methodE3ELS4_3ELS4_3ELNS0_20block_scan_algorithmE0ELj4294967295EEENS1_25partition_config_selectorILNS1_17partition_subalgoE3EjNS0_10empty_typeEbEEZZNS1_14partition_implILS8_3ELb0ES6_jNS0_17counting_iteratorIjlEEPS9_SE_NS0_5tupleIJPjSE_EEENSF_IJSE_SE_EEES9_SG_JZNS1_25segmented_radix_sort_implINS0_14default_configELb0EPKfPfPKlPlN2at6native12_GLOBAL__N_18offset_tEEE10hipError_tPvRmT1_PNSt15iterator_traitsISY_E10value_typeET2_T3_PNSZ_IS14_E10value_typeET4_jRbjT5_S1A_jjP12ihipStream_tbEUljE_EEESV_SW_SX_S14_S18_S1A_T6_T7_T9_mT8_S1C_bDpT10_ENKUlT_T0_E_clISt17integral_constantIbLb1EES1O_IbLb0EEEEDaS1K_S1L_EUlS1K_E_NS1_11comp_targetILNS1_3genE5ELNS1_11target_archE942ELNS1_3gpuE9ELNS1_3repE0EEENS1_30default_config_static_selectorELNS0_4arch9wavefront6targetE0EEEvSY_,"axG",@progbits,_ZN7rocprim17ROCPRIM_400000_NS6detail17trampoline_kernelINS0_13select_configILj256ELj13ELNS0_17block_load_methodE3ELS4_3ELS4_3ELNS0_20block_scan_algorithmE0ELj4294967295EEENS1_25partition_config_selectorILNS1_17partition_subalgoE3EjNS0_10empty_typeEbEEZZNS1_14partition_implILS8_3ELb0ES6_jNS0_17counting_iteratorIjlEEPS9_SE_NS0_5tupleIJPjSE_EEENSF_IJSE_SE_EEES9_SG_JZNS1_25segmented_radix_sort_implINS0_14default_configELb0EPKfPfPKlPlN2at6native12_GLOBAL__N_18offset_tEEE10hipError_tPvRmT1_PNSt15iterator_traitsISY_E10value_typeET2_T3_PNSZ_IS14_E10value_typeET4_jRbjT5_S1A_jjP12ihipStream_tbEUljE_EEESV_SW_SX_S14_S18_S1A_T6_T7_T9_mT8_S1C_bDpT10_ENKUlT_T0_E_clISt17integral_constantIbLb1EES1O_IbLb0EEEEDaS1K_S1L_EUlS1K_E_NS1_11comp_targetILNS1_3genE5ELNS1_11target_archE942ELNS1_3gpuE9ELNS1_3repE0EEENS1_30default_config_static_selectorELNS0_4arch9wavefront6targetE0EEEvSY_,comdat
.Lfunc_end1413:
	.size	_ZN7rocprim17ROCPRIM_400000_NS6detail17trampoline_kernelINS0_13select_configILj256ELj13ELNS0_17block_load_methodE3ELS4_3ELS4_3ELNS0_20block_scan_algorithmE0ELj4294967295EEENS1_25partition_config_selectorILNS1_17partition_subalgoE3EjNS0_10empty_typeEbEEZZNS1_14partition_implILS8_3ELb0ES6_jNS0_17counting_iteratorIjlEEPS9_SE_NS0_5tupleIJPjSE_EEENSF_IJSE_SE_EEES9_SG_JZNS1_25segmented_radix_sort_implINS0_14default_configELb0EPKfPfPKlPlN2at6native12_GLOBAL__N_18offset_tEEE10hipError_tPvRmT1_PNSt15iterator_traitsISY_E10value_typeET2_T3_PNSZ_IS14_E10value_typeET4_jRbjT5_S1A_jjP12ihipStream_tbEUljE_EEESV_SW_SX_S14_S18_S1A_T6_T7_T9_mT8_S1C_bDpT10_ENKUlT_T0_E_clISt17integral_constantIbLb1EES1O_IbLb0EEEEDaS1K_S1L_EUlS1K_E_NS1_11comp_targetILNS1_3genE5ELNS1_11target_archE942ELNS1_3gpuE9ELNS1_3repE0EEENS1_30default_config_static_selectorELNS0_4arch9wavefront6targetE0EEEvSY_, .Lfunc_end1413-_ZN7rocprim17ROCPRIM_400000_NS6detail17trampoline_kernelINS0_13select_configILj256ELj13ELNS0_17block_load_methodE3ELS4_3ELS4_3ELNS0_20block_scan_algorithmE0ELj4294967295EEENS1_25partition_config_selectorILNS1_17partition_subalgoE3EjNS0_10empty_typeEbEEZZNS1_14partition_implILS8_3ELb0ES6_jNS0_17counting_iteratorIjlEEPS9_SE_NS0_5tupleIJPjSE_EEENSF_IJSE_SE_EEES9_SG_JZNS1_25segmented_radix_sort_implINS0_14default_configELb0EPKfPfPKlPlN2at6native12_GLOBAL__N_18offset_tEEE10hipError_tPvRmT1_PNSt15iterator_traitsISY_E10value_typeET2_T3_PNSZ_IS14_E10value_typeET4_jRbjT5_S1A_jjP12ihipStream_tbEUljE_EEESV_SW_SX_S14_S18_S1A_T6_T7_T9_mT8_S1C_bDpT10_ENKUlT_T0_E_clISt17integral_constantIbLb1EES1O_IbLb0EEEEDaS1K_S1L_EUlS1K_E_NS1_11comp_targetILNS1_3genE5ELNS1_11target_archE942ELNS1_3gpuE9ELNS1_3repE0EEENS1_30default_config_static_selectorELNS0_4arch9wavefront6targetE0EEEvSY_
                                        ; -- End function
	.set _ZN7rocprim17ROCPRIM_400000_NS6detail17trampoline_kernelINS0_13select_configILj256ELj13ELNS0_17block_load_methodE3ELS4_3ELS4_3ELNS0_20block_scan_algorithmE0ELj4294967295EEENS1_25partition_config_selectorILNS1_17partition_subalgoE3EjNS0_10empty_typeEbEEZZNS1_14partition_implILS8_3ELb0ES6_jNS0_17counting_iteratorIjlEEPS9_SE_NS0_5tupleIJPjSE_EEENSF_IJSE_SE_EEES9_SG_JZNS1_25segmented_radix_sort_implINS0_14default_configELb0EPKfPfPKlPlN2at6native12_GLOBAL__N_18offset_tEEE10hipError_tPvRmT1_PNSt15iterator_traitsISY_E10value_typeET2_T3_PNSZ_IS14_E10value_typeET4_jRbjT5_S1A_jjP12ihipStream_tbEUljE_EEESV_SW_SX_S14_S18_S1A_T6_T7_T9_mT8_S1C_bDpT10_ENKUlT_T0_E_clISt17integral_constantIbLb1EES1O_IbLb0EEEEDaS1K_S1L_EUlS1K_E_NS1_11comp_targetILNS1_3genE5ELNS1_11target_archE942ELNS1_3gpuE9ELNS1_3repE0EEENS1_30default_config_static_selectorELNS0_4arch9wavefront6targetE0EEEvSY_.num_vgpr, 0
	.set _ZN7rocprim17ROCPRIM_400000_NS6detail17trampoline_kernelINS0_13select_configILj256ELj13ELNS0_17block_load_methodE3ELS4_3ELS4_3ELNS0_20block_scan_algorithmE0ELj4294967295EEENS1_25partition_config_selectorILNS1_17partition_subalgoE3EjNS0_10empty_typeEbEEZZNS1_14partition_implILS8_3ELb0ES6_jNS0_17counting_iteratorIjlEEPS9_SE_NS0_5tupleIJPjSE_EEENSF_IJSE_SE_EEES9_SG_JZNS1_25segmented_radix_sort_implINS0_14default_configELb0EPKfPfPKlPlN2at6native12_GLOBAL__N_18offset_tEEE10hipError_tPvRmT1_PNSt15iterator_traitsISY_E10value_typeET2_T3_PNSZ_IS14_E10value_typeET4_jRbjT5_S1A_jjP12ihipStream_tbEUljE_EEESV_SW_SX_S14_S18_S1A_T6_T7_T9_mT8_S1C_bDpT10_ENKUlT_T0_E_clISt17integral_constantIbLb1EES1O_IbLb0EEEEDaS1K_S1L_EUlS1K_E_NS1_11comp_targetILNS1_3genE5ELNS1_11target_archE942ELNS1_3gpuE9ELNS1_3repE0EEENS1_30default_config_static_selectorELNS0_4arch9wavefront6targetE0EEEvSY_.num_agpr, 0
	.set _ZN7rocprim17ROCPRIM_400000_NS6detail17trampoline_kernelINS0_13select_configILj256ELj13ELNS0_17block_load_methodE3ELS4_3ELS4_3ELNS0_20block_scan_algorithmE0ELj4294967295EEENS1_25partition_config_selectorILNS1_17partition_subalgoE3EjNS0_10empty_typeEbEEZZNS1_14partition_implILS8_3ELb0ES6_jNS0_17counting_iteratorIjlEEPS9_SE_NS0_5tupleIJPjSE_EEENSF_IJSE_SE_EEES9_SG_JZNS1_25segmented_radix_sort_implINS0_14default_configELb0EPKfPfPKlPlN2at6native12_GLOBAL__N_18offset_tEEE10hipError_tPvRmT1_PNSt15iterator_traitsISY_E10value_typeET2_T3_PNSZ_IS14_E10value_typeET4_jRbjT5_S1A_jjP12ihipStream_tbEUljE_EEESV_SW_SX_S14_S18_S1A_T6_T7_T9_mT8_S1C_bDpT10_ENKUlT_T0_E_clISt17integral_constantIbLb1EES1O_IbLb0EEEEDaS1K_S1L_EUlS1K_E_NS1_11comp_targetILNS1_3genE5ELNS1_11target_archE942ELNS1_3gpuE9ELNS1_3repE0EEENS1_30default_config_static_selectorELNS0_4arch9wavefront6targetE0EEEvSY_.numbered_sgpr, 0
	.set _ZN7rocprim17ROCPRIM_400000_NS6detail17trampoline_kernelINS0_13select_configILj256ELj13ELNS0_17block_load_methodE3ELS4_3ELS4_3ELNS0_20block_scan_algorithmE0ELj4294967295EEENS1_25partition_config_selectorILNS1_17partition_subalgoE3EjNS0_10empty_typeEbEEZZNS1_14partition_implILS8_3ELb0ES6_jNS0_17counting_iteratorIjlEEPS9_SE_NS0_5tupleIJPjSE_EEENSF_IJSE_SE_EEES9_SG_JZNS1_25segmented_radix_sort_implINS0_14default_configELb0EPKfPfPKlPlN2at6native12_GLOBAL__N_18offset_tEEE10hipError_tPvRmT1_PNSt15iterator_traitsISY_E10value_typeET2_T3_PNSZ_IS14_E10value_typeET4_jRbjT5_S1A_jjP12ihipStream_tbEUljE_EEESV_SW_SX_S14_S18_S1A_T6_T7_T9_mT8_S1C_bDpT10_ENKUlT_T0_E_clISt17integral_constantIbLb1EES1O_IbLb0EEEEDaS1K_S1L_EUlS1K_E_NS1_11comp_targetILNS1_3genE5ELNS1_11target_archE942ELNS1_3gpuE9ELNS1_3repE0EEENS1_30default_config_static_selectorELNS0_4arch9wavefront6targetE0EEEvSY_.num_named_barrier, 0
	.set _ZN7rocprim17ROCPRIM_400000_NS6detail17trampoline_kernelINS0_13select_configILj256ELj13ELNS0_17block_load_methodE3ELS4_3ELS4_3ELNS0_20block_scan_algorithmE0ELj4294967295EEENS1_25partition_config_selectorILNS1_17partition_subalgoE3EjNS0_10empty_typeEbEEZZNS1_14partition_implILS8_3ELb0ES6_jNS0_17counting_iteratorIjlEEPS9_SE_NS0_5tupleIJPjSE_EEENSF_IJSE_SE_EEES9_SG_JZNS1_25segmented_radix_sort_implINS0_14default_configELb0EPKfPfPKlPlN2at6native12_GLOBAL__N_18offset_tEEE10hipError_tPvRmT1_PNSt15iterator_traitsISY_E10value_typeET2_T3_PNSZ_IS14_E10value_typeET4_jRbjT5_S1A_jjP12ihipStream_tbEUljE_EEESV_SW_SX_S14_S18_S1A_T6_T7_T9_mT8_S1C_bDpT10_ENKUlT_T0_E_clISt17integral_constantIbLb1EES1O_IbLb0EEEEDaS1K_S1L_EUlS1K_E_NS1_11comp_targetILNS1_3genE5ELNS1_11target_archE942ELNS1_3gpuE9ELNS1_3repE0EEENS1_30default_config_static_selectorELNS0_4arch9wavefront6targetE0EEEvSY_.private_seg_size, 0
	.set _ZN7rocprim17ROCPRIM_400000_NS6detail17trampoline_kernelINS0_13select_configILj256ELj13ELNS0_17block_load_methodE3ELS4_3ELS4_3ELNS0_20block_scan_algorithmE0ELj4294967295EEENS1_25partition_config_selectorILNS1_17partition_subalgoE3EjNS0_10empty_typeEbEEZZNS1_14partition_implILS8_3ELb0ES6_jNS0_17counting_iteratorIjlEEPS9_SE_NS0_5tupleIJPjSE_EEENSF_IJSE_SE_EEES9_SG_JZNS1_25segmented_radix_sort_implINS0_14default_configELb0EPKfPfPKlPlN2at6native12_GLOBAL__N_18offset_tEEE10hipError_tPvRmT1_PNSt15iterator_traitsISY_E10value_typeET2_T3_PNSZ_IS14_E10value_typeET4_jRbjT5_S1A_jjP12ihipStream_tbEUljE_EEESV_SW_SX_S14_S18_S1A_T6_T7_T9_mT8_S1C_bDpT10_ENKUlT_T0_E_clISt17integral_constantIbLb1EES1O_IbLb0EEEEDaS1K_S1L_EUlS1K_E_NS1_11comp_targetILNS1_3genE5ELNS1_11target_archE942ELNS1_3gpuE9ELNS1_3repE0EEENS1_30default_config_static_selectorELNS0_4arch9wavefront6targetE0EEEvSY_.uses_vcc, 0
	.set _ZN7rocprim17ROCPRIM_400000_NS6detail17trampoline_kernelINS0_13select_configILj256ELj13ELNS0_17block_load_methodE3ELS4_3ELS4_3ELNS0_20block_scan_algorithmE0ELj4294967295EEENS1_25partition_config_selectorILNS1_17partition_subalgoE3EjNS0_10empty_typeEbEEZZNS1_14partition_implILS8_3ELb0ES6_jNS0_17counting_iteratorIjlEEPS9_SE_NS0_5tupleIJPjSE_EEENSF_IJSE_SE_EEES9_SG_JZNS1_25segmented_radix_sort_implINS0_14default_configELb0EPKfPfPKlPlN2at6native12_GLOBAL__N_18offset_tEEE10hipError_tPvRmT1_PNSt15iterator_traitsISY_E10value_typeET2_T3_PNSZ_IS14_E10value_typeET4_jRbjT5_S1A_jjP12ihipStream_tbEUljE_EEESV_SW_SX_S14_S18_S1A_T6_T7_T9_mT8_S1C_bDpT10_ENKUlT_T0_E_clISt17integral_constantIbLb1EES1O_IbLb0EEEEDaS1K_S1L_EUlS1K_E_NS1_11comp_targetILNS1_3genE5ELNS1_11target_archE942ELNS1_3gpuE9ELNS1_3repE0EEENS1_30default_config_static_selectorELNS0_4arch9wavefront6targetE0EEEvSY_.uses_flat_scratch, 0
	.set _ZN7rocprim17ROCPRIM_400000_NS6detail17trampoline_kernelINS0_13select_configILj256ELj13ELNS0_17block_load_methodE3ELS4_3ELS4_3ELNS0_20block_scan_algorithmE0ELj4294967295EEENS1_25partition_config_selectorILNS1_17partition_subalgoE3EjNS0_10empty_typeEbEEZZNS1_14partition_implILS8_3ELb0ES6_jNS0_17counting_iteratorIjlEEPS9_SE_NS0_5tupleIJPjSE_EEENSF_IJSE_SE_EEES9_SG_JZNS1_25segmented_radix_sort_implINS0_14default_configELb0EPKfPfPKlPlN2at6native12_GLOBAL__N_18offset_tEEE10hipError_tPvRmT1_PNSt15iterator_traitsISY_E10value_typeET2_T3_PNSZ_IS14_E10value_typeET4_jRbjT5_S1A_jjP12ihipStream_tbEUljE_EEESV_SW_SX_S14_S18_S1A_T6_T7_T9_mT8_S1C_bDpT10_ENKUlT_T0_E_clISt17integral_constantIbLb1EES1O_IbLb0EEEEDaS1K_S1L_EUlS1K_E_NS1_11comp_targetILNS1_3genE5ELNS1_11target_archE942ELNS1_3gpuE9ELNS1_3repE0EEENS1_30default_config_static_selectorELNS0_4arch9wavefront6targetE0EEEvSY_.has_dyn_sized_stack, 0
	.set _ZN7rocprim17ROCPRIM_400000_NS6detail17trampoline_kernelINS0_13select_configILj256ELj13ELNS0_17block_load_methodE3ELS4_3ELS4_3ELNS0_20block_scan_algorithmE0ELj4294967295EEENS1_25partition_config_selectorILNS1_17partition_subalgoE3EjNS0_10empty_typeEbEEZZNS1_14partition_implILS8_3ELb0ES6_jNS0_17counting_iteratorIjlEEPS9_SE_NS0_5tupleIJPjSE_EEENSF_IJSE_SE_EEES9_SG_JZNS1_25segmented_radix_sort_implINS0_14default_configELb0EPKfPfPKlPlN2at6native12_GLOBAL__N_18offset_tEEE10hipError_tPvRmT1_PNSt15iterator_traitsISY_E10value_typeET2_T3_PNSZ_IS14_E10value_typeET4_jRbjT5_S1A_jjP12ihipStream_tbEUljE_EEESV_SW_SX_S14_S18_S1A_T6_T7_T9_mT8_S1C_bDpT10_ENKUlT_T0_E_clISt17integral_constantIbLb1EES1O_IbLb0EEEEDaS1K_S1L_EUlS1K_E_NS1_11comp_targetILNS1_3genE5ELNS1_11target_archE942ELNS1_3gpuE9ELNS1_3repE0EEENS1_30default_config_static_selectorELNS0_4arch9wavefront6targetE0EEEvSY_.has_recursion, 0
	.set _ZN7rocprim17ROCPRIM_400000_NS6detail17trampoline_kernelINS0_13select_configILj256ELj13ELNS0_17block_load_methodE3ELS4_3ELS4_3ELNS0_20block_scan_algorithmE0ELj4294967295EEENS1_25partition_config_selectorILNS1_17partition_subalgoE3EjNS0_10empty_typeEbEEZZNS1_14partition_implILS8_3ELb0ES6_jNS0_17counting_iteratorIjlEEPS9_SE_NS0_5tupleIJPjSE_EEENSF_IJSE_SE_EEES9_SG_JZNS1_25segmented_radix_sort_implINS0_14default_configELb0EPKfPfPKlPlN2at6native12_GLOBAL__N_18offset_tEEE10hipError_tPvRmT1_PNSt15iterator_traitsISY_E10value_typeET2_T3_PNSZ_IS14_E10value_typeET4_jRbjT5_S1A_jjP12ihipStream_tbEUljE_EEESV_SW_SX_S14_S18_S1A_T6_T7_T9_mT8_S1C_bDpT10_ENKUlT_T0_E_clISt17integral_constantIbLb1EES1O_IbLb0EEEEDaS1K_S1L_EUlS1K_E_NS1_11comp_targetILNS1_3genE5ELNS1_11target_archE942ELNS1_3gpuE9ELNS1_3repE0EEENS1_30default_config_static_selectorELNS0_4arch9wavefront6targetE0EEEvSY_.has_indirect_call, 0
	.section	.AMDGPU.csdata,"",@progbits
; Kernel info:
; codeLenInByte = 0
; TotalNumSgprs: 0
; NumVgprs: 0
; ScratchSize: 0
; MemoryBound: 0
; FloatMode: 240
; IeeeMode: 1
; LDSByteSize: 0 bytes/workgroup (compile time only)
; SGPRBlocks: 0
; VGPRBlocks: 0
; NumSGPRsForWavesPerEU: 1
; NumVGPRsForWavesPerEU: 1
; Occupancy: 16
; WaveLimiterHint : 0
; COMPUTE_PGM_RSRC2:SCRATCH_EN: 0
; COMPUTE_PGM_RSRC2:USER_SGPR: 2
; COMPUTE_PGM_RSRC2:TRAP_HANDLER: 0
; COMPUTE_PGM_RSRC2:TGID_X_EN: 1
; COMPUTE_PGM_RSRC2:TGID_Y_EN: 0
; COMPUTE_PGM_RSRC2:TGID_Z_EN: 0
; COMPUTE_PGM_RSRC2:TIDIG_COMP_CNT: 0
	.section	.text._ZN7rocprim17ROCPRIM_400000_NS6detail17trampoline_kernelINS0_13select_configILj256ELj13ELNS0_17block_load_methodE3ELS4_3ELS4_3ELNS0_20block_scan_algorithmE0ELj4294967295EEENS1_25partition_config_selectorILNS1_17partition_subalgoE3EjNS0_10empty_typeEbEEZZNS1_14partition_implILS8_3ELb0ES6_jNS0_17counting_iteratorIjlEEPS9_SE_NS0_5tupleIJPjSE_EEENSF_IJSE_SE_EEES9_SG_JZNS1_25segmented_radix_sort_implINS0_14default_configELb0EPKfPfPKlPlN2at6native12_GLOBAL__N_18offset_tEEE10hipError_tPvRmT1_PNSt15iterator_traitsISY_E10value_typeET2_T3_PNSZ_IS14_E10value_typeET4_jRbjT5_S1A_jjP12ihipStream_tbEUljE_EEESV_SW_SX_S14_S18_S1A_T6_T7_T9_mT8_S1C_bDpT10_ENKUlT_T0_E_clISt17integral_constantIbLb1EES1O_IbLb0EEEEDaS1K_S1L_EUlS1K_E_NS1_11comp_targetILNS1_3genE4ELNS1_11target_archE910ELNS1_3gpuE8ELNS1_3repE0EEENS1_30default_config_static_selectorELNS0_4arch9wavefront6targetE0EEEvSY_,"axG",@progbits,_ZN7rocprim17ROCPRIM_400000_NS6detail17trampoline_kernelINS0_13select_configILj256ELj13ELNS0_17block_load_methodE3ELS4_3ELS4_3ELNS0_20block_scan_algorithmE0ELj4294967295EEENS1_25partition_config_selectorILNS1_17partition_subalgoE3EjNS0_10empty_typeEbEEZZNS1_14partition_implILS8_3ELb0ES6_jNS0_17counting_iteratorIjlEEPS9_SE_NS0_5tupleIJPjSE_EEENSF_IJSE_SE_EEES9_SG_JZNS1_25segmented_radix_sort_implINS0_14default_configELb0EPKfPfPKlPlN2at6native12_GLOBAL__N_18offset_tEEE10hipError_tPvRmT1_PNSt15iterator_traitsISY_E10value_typeET2_T3_PNSZ_IS14_E10value_typeET4_jRbjT5_S1A_jjP12ihipStream_tbEUljE_EEESV_SW_SX_S14_S18_S1A_T6_T7_T9_mT8_S1C_bDpT10_ENKUlT_T0_E_clISt17integral_constantIbLb1EES1O_IbLb0EEEEDaS1K_S1L_EUlS1K_E_NS1_11comp_targetILNS1_3genE4ELNS1_11target_archE910ELNS1_3gpuE8ELNS1_3repE0EEENS1_30default_config_static_selectorELNS0_4arch9wavefront6targetE0EEEvSY_,comdat
	.globl	_ZN7rocprim17ROCPRIM_400000_NS6detail17trampoline_kernelINS0_13select_configILj256ELj13ELNS0_17block_load_methodE3ELS4_3ELS4_3ELNS0_20block_scan_algorithmE0ELj4294967295EEENS1_25partition_config_selectorILNS1_17partition_subalgoE3EjNS0_10empty_typeEbEEZZNS1_14partition_implILS8_3ELb0ES6_jNS0_17counting_iteratorIjlEEPS9_SE_NS0_5tupleIJPjSE_EEENSF_IJSE_SE_EEES9_SG_JZNS1_25segmented_radix_sort_implINS0_14default_configELb0EPKfPfPKlPlN2at6native12_GLOBAL__N_18offset_tEEE10hipError_tPvRmT1_PNSt15iterator_traitsISY_E10value_typeET2_T3_PNSZ_IS14_E10value_typeET4_jRbjT5_S1A_jjP12ihipStream_tbEUljE_EEESV_SW_SX_S14_S18_S1A_T6_T7_T9_mT8_S1C_bDpT10_ENKUlT_T0_E_clISt17integral_constantIbLb1EES1O_IbLb0EEEEDaS1K_S1L_EUlS1K_E_NS1_11comp_targetILNS1_3genE4ELNS1_11target_archE910ELNS1_3gpuE8ELNS1_3repE0EEENS1_30default_config_static_selectorELNS0_4arch9wavefront6targetE0EEEvSY_ ; -- Begin function _ZN7rocprim17ROCPRIM_400000_NS6detail17trampoline_kernelINS0_13select_configILj256ELj13ELNS0_17block_load_methodE3ELS4_3ELS4_3ELNS0_20block_scan_algorithmE0ELj4294967295EEENS1_25partition_config_selectorILNS1_17partition_subalgoE3EjNS0_10empty_typeEbEEZZNS1_14partition_implILS8_3ELb0ES6_jNS0_17counting_iteratorIjlEEPS9_SE_NS0_5tupleIJPjSE_EEENSF_IJSE_SE_EEES9_SG_JZNS1_25segmented_radix_sort_implINS0_14default_configELb0EPKfPfPKlPlN2at6native12_GLOBAL__N_18offset_tEEE10hipError_tPvRmT1_PNSt15iterator_traitsISY_E10value_typeET2_T3_PNSZ_IS14_E10value_typeET4_jRbjT5_S1A_jjP12ihipStream_tbEUljE_EEESV_SW_SX_S14_S18_S1A_T6_T7_T9_mT8_S1C_bDpT10_ENKUlT_T0_E_clISt17integral_constantIbLb1EES1O_IbLb0EEEEDaS1K_S1L_EUlS1K_E_NS1_11comp_targetILNS1_3genE4ELNS1_11target_archE910ELNS1_3gpuE8ELNS1_3repE0EEENS1_30default_config_static_selectorELNS0_4arch9wavefront6targetE0EEEvSY_
	.p2align	8
	.type	_ZN7rocprim17ROCPRIM_400000_NS6detail17trampoline_kernelINS0_13select_configILj256ELj13ELNS0_17block_load_methodE3ELS4_3ELS4_3ELNS0_20block_scan_algorithmE0ELj4294967295EEENS1_25partition_config_selectorILNS1_17partition_subalgoE3EjNS0_10empty_typeEbEEZZNS1_14partition_implILS8_3ELb0ES6_jNS0_17counting_iteratorIjlEEPS9_SE_NS0_5tupleIJPjSE_EEENSF_IJSE_SE_EEES9_SG_JZNS1_25segmented_radix_sort_implINS0_14default_configELb0EPKfPfPKlPlN2at6native12_GLOBAL__N_18offset_tEEE10hipError_tPvRmT1_PNSt15iterator_traitsISY_E10value_typeET2_T3_PNSZ_IS14_E10value_typeET4_jRbjT5_S1A_jjP12ihipStream_tbEUljE_EEESV_SW_SX_S14_S18_S1A_T6_T7_T9_mT8_S1C_bDpT10_ENKUlT_T0_E_clISt17integral_constantIbLb1EES1O_IbLb0EEEEDaS1K_S1L_EUlS1K_E_NS1_11comp_targetILNS1_3genE4ELNS1_11target_archE910ELNS1_3gpuE8ELNS1_3repE0EEENS1_30default_config_static_selectorELNS0_4arch9wavefront6targetE0EEEvSY_,@function
_ZN7rocprim17ROCPRIM_400000_NS6detail17trampoline_kernelINS0_13select_configILj256ELj13ELNS0_17block_load_methodE3ELS4_3ELS4_3ELNS0_20block_scan_algorithmE0ELj4294967295EEENS1_25partition_config_selectorILNS1_17partition_subalgoE3EjNS0_10empty_typeEbEEZZNS1_14partition_implILS8_3ELb0ES6_jNS0_17counting_iteratorIjlEEPS9_SE_NS0_5tupleIJPjSE_EEENSF_IJSE_SE_EEES9_SG_JZNS1_25segmented_radix_sort_implINS0_14default_configELb0EPKfPfPKlPlN2at6native12_GLOBAL__N_18offset_tEEE10hipError_tPvRmT1_PNSt15iterator_traitsISY_E10value_typeET2_T3_PNSZ_IS14_E10value_typeET4_jRbjT5_S1A_jjP12ihipStream_tbEUljE_EEESV_SW_SX_S14_S18_S1A_T6_T7_T9_mT8_S1C_bDpT10_ENKUlT_T0_E_clISt17integral_constantIbLb1EES1O_IbLb0EEEEDaS1K_S1L_EUlS1K_E_NS1_11comp_targetILNS1_3genE4ELNS1_11target_archE910ELNS1_3gpuE8ELNS1_3repE0EEENS1_30default_config_static_selectorELNS0_4arch9wavefront6targetE0EEEvSY_: ; @_ZN7rocprim17ROCPRIM_400000_NS6detail17trampoline_kernelINS0_13select_configILj256ELj13ELNS0_17block_load_methodE3ELS4_3ELS4_3ELNS0_20block_scan_algorithmE0ELj4294967295EEENS1_25partition_config_selectorILNS1_17partition_subalgoE3EjNS0_10empty_typeEbEEZZNS1_14partition_implILS8_3ELb0ES6_jNS0_17counting_iteratorIjlEEPS9_SE_NS0_5tupleIJPjSE_EEENSF_IJSE_SE_EEES9_SG_JZNS1_25segmented_radix_sort_implINS0_14default_configELb0EPKfPfPKlPlN2at6native12_GLOBAL__N_18offset_tEEE10hipError_tPvRmT1_PNSt15iterator_traitsISY_E10value_typeET2_T3_PNSZ_IS14_E10value_typeET4_jRbjT5_S1A_jjP12ihipStream_tbEUljE_EEESV_SW_SX_S14_S18_S1A_T6_T7_T9_mT8_S1C_bDpT10_ENKUlT_T0_E_clISt17integral_constantIbLb1EES1O_IbLb0EEEEDaS1K_S1L_EUlS1K_E_NS1_11comp_targetILNS1_3genE4ELNS1_11target_archE910ELNS1_3gpuE8ELNS1_3repE0EEENS1_30default_config_static_selectorELNS0_4arch9wavefront6targetE0EEEvSY_
; %bb.0:
	.section	.rodata,"a",@progbits
	.p2align	6, 0x0
	.amdhsa_kernel _ZN7rocprim17ROCPRIM_400000_NS6detail17trampoline_kernelINS0_13select_configILj256ELj13ELNS0_17block_load_methodE3ELS4_3ELS4_3ELNS0_20block_scan_algorithmE0ELj4294967295EEENS1_25partition_config_selectorILNS1_17partition_subalgoE3EjNS0_10empty_typeEbEEZZNS1_14partition_implILS8_3ELb0ES6_jNS0_17counting_iteratorIjlEEPS9_SE_NS0_5tupleIJPjSE_EEENSF_IJSE_SE_EEES9_SG_JZNS1_25segmented_radix_sort_implINS0_14default_configELb0EPKfPfPKlPlN2at6native12_GLOBAL__N_18offset_tEEE10hipError_tPvRmT1_PNSt15iterator_traitsISY_E10value_typeET2_T3_PNSZ_IS14_E10value_typeET4_jRbjT5_S1A_jjP12ihipStream_tbEUljE_EEESV_SW_SX_S14_S18_S1A_T6_T7_T9_mT8_S1C_bDpT10_ENKUlT_T0_E_clISt17integral_constantIbLb1EES1O_IbLb0EEEEDaS1K_S1L_EUlS1K_E_NS1_11comp_targetILNS1_3genE4ELNS1_11target_archE910ELNS1_3gpuE8ELNS1_3repE0EEENS1_30default_config_static_selectorELNS0_4arch9wavefront6targetE0EEEvSY_
		.amdhsa_group_segment_fixed_size 0
		.amdhsa_private_segment_fixed_size 0
		.amdhsa_kernarg_size 144
		.amdhsa_user_sgpr_count 2
		.amdhsa_user_sgpr_dispatch_ptr 0
		.amdhsa_user_sgpr_queue_ptr 0
		.amdhsa_user_sgpr_kernarg_segment_ptr 1
		.amdhsa_user_sgpr_dispatch_id 0
		.amdhsa_user_sgpr_private_segment_size 0
		.amdhsa_wavefront_size32 1
		.amdhsa_uses_dynamic_stack 0
		.amdhsa_enable_private_segment 0
		.amdhsa_system_sgpr_workgroup_id_x 1
		.amdhsa_system_sgpr_workgroup_id_y 0
		.amdhsa_system_sgpr_workgroup_id_z 0
		.amdhsa_system_sgpr_workgroup_info 0
		.amdhsa_system_vgpr_workitem_id 0
		.amdhsa_next_free_vgpr 1
		.amdhsa_next_free_sgpr 1
		.amdhsa_reserve_vcc 0
		.amdhsa_float_round_mode_32 0
		.amdhsa_float_round_mode_16_64 0
		.amdhsa_float_denorm_mode_32 3
		.amdhsa_float_denorm_mode_16_64 3
		.amdhsa_fp16_overflow 0
		.amdhsa_workgroup_processor_mode 1
		.amdhsa_memory_ordered 1
		.amdhsa_forward_progress 1
		.amdhsa_inst_pref_size 0
		.amdhsa_round_robin_scheduling 0
		.amdhsa_exception_fp_ieee_invalid_op 0
		.amdhsa_exception_fp_denorm_src 0
		.amdhsa_exception_fp_ieee_div_zero 0
		.amdhsa_exception_fp_ieee_overflow 0
		.amdhsa_exception_fp_ieee_underflow 0
		.amdhsa_exception_fp_ieee_inexact 0
		.amdhsa_exception_int_div_zero 0
	.end_amdhsa_kernel
	.section	.text._ZN7rocprim17ROCPRIM_400000_NS6detail17trampoline_kernelINS0_13select_configILj256ELj13ELNS0_17block_load_methodE3ELS4_3ELS4_3ELNS0_20block_scan_algorithmE0ELj4294967295EEENS1_25partition_config_selectorILNS1_17partition_subalgoE3EjNS0_10empty_typeEbEEZZNS1_14partition_implILS8_3ELb0ES6_jNS0_17counting_iteratorIjlEEPS9_SE_NS0_5tupleIJPjSE_EEENSF_IJSE_SE_EEES9_SG_JZNS1_25segmented_radix_sort_implINS0_14default_configELb0EPKfPfPKlPlN2at6native12_GLOBAL__N_18offset_tEEE10hipError_tPvRmT1_PNSt15iterator_traitsISY_E10value_typeET2_T3_PNSZ_IS14_E10value_typeET4_jRbjT5_S1A_jjP12ihipStream_tbEUljE_EEESV_SW_SX_S14_S18_S1A_T6_T7_T9_mT8_S1C_bDpT10_ENKUlT_T0_E_clISt17integral_constantIbLb1EES1O_IbLb0EEEEDaS1K_S1L_EUlS1K_E_NS1_11comp_targetILNS1_3genE4ELNS1_11target_archE910ELNS1_3gpuE8ELNS1_3repE0EEENS1_30default_config_static_selectorELNS0_4arch9wavefront6targetE0EEEvSY_,"axG",@progbits,_ZN7rocprim17ROCPRIM_400000_NS6detail17trampoline_kernelINS0_13select_configILj256ELj13ELNS0_17block_load_methodE3ELS4_3ELS4_3ELNS0_20block_scan_algorithmE0ELj4294967295EEENS1_25partition_config_selectorILNS1_17partition_subalgoE3EjNS0_10empty_typeEbEEZZNS1_14partition_implILS8_3ELb0ES6_jNS0_17counting_iteratorIjlEEPS9_SE_NS0_5tupleIJPjSE_EEENSF_IJSE_SE_EEES9_SG_JZNS1_25segmented_radix_sort_implINS0_14default_configELb0EPKfPfPKlPlN2at6native12_GLOBAL__N_18offset_tEEE10hipError_tPvRmT1_PNSt15iterator_traitsISY_E10value_typeET2_T3_PNSZ_IS14_E10value_typeET4_jRbjT5_S1A_jjP12ihipStream_tbEUljE_EEESV_SW_SX_S14_S18_S1A_T6_T7_T9_mT8_S1C_bDpT10_ENKUlT_T0_E_clISt17integral_constantIbLb1EES1O_IbLb0EEEEDaS1K_S1L_EUlS1K_E_NS1_11comp_targetILNS1_3genE4ELNS1_11target_archE910ELNS1_3gpuE8ELNS1_3repE0EEENS1_30default_config_static_selectorELNS0_4arch9wavefront6targetE0EEEvSY_,comdat
.Lfunc_end1414:
	.size	_ZN7rocprim17ROCPRIM_400000_NS6detail17trampoline_kernelINS0_13select_configILj256ELj13ELNS0_17block_load_methodE3ELS4_3ELS4_3ELNS0_20block_scan_algorithmE0ELj4294967295EEENS1_25partition_config_selectorILNS1_17partition_subalgoE3EjNS0_10empty_typeEbEEZZNS1_14partition_implILS8_3ELb0ES6_jNS0_17counting_iteratorIjlEEPS9_SE_NS0_5tupleIJPjSE_EEENSF_IJSE_SE_EEES9_SG_JZNS1_25segmented_radix_sort_implINS0_14default_configELb0EPKfPfPKlPlN2at6native12_GLOBAL__N_18offset_tEEE10hipError_tPvRmT1_PNSt15iterator_traitsISY_E10value_typeET2_T3_PNSZ_IS14_E10value_typeET4_jRbjT5_S1A_jjP12ihipStream_tbEUljE_EEESV_SW_SX_S14_S18_S1A_T6_T7_T9_mT8_S1C_bDpT10_ENKUlT_T0_E_clISt17integral_constantIbLb1EES1O_IbLb0EEEEDaS1K_S1L_EUlS1K_E_NS1_11comp_targetILNS1_3genE4ELNS1_11target_archE910ELNS1_3gpuE8ELNS1_3repE0EEENS1_30default_config_static_selectorELNS0_4arch9wavefront6targetE0EEEvSY_, .Lfunc_end1414-_ZN7rocprim17ROCPRIM_400000_NS6detail17trampoline_kernelINS0_13select_configILj256ELj13ELNS0_17block_load_methodE3ELS4_3ELS4_3ELNS0_20block_scan_algorithmE0ELj4294967295EEENS1_25partition_config_selectorILNS1_17partition_subalgoE3EjNS0_10empty_typeEbEEZZNS1_14partition_implILS8_3ELb0ES6_jNS0_17counting_iteratorIjlEEPS9_SE_NS0_5tupleIJPjSE_EEENSF_IJSE_SE_EEES9_SG_JZNS1_25segmented_radix_sort_implINS0_14default_configELb0EPKfPfPKlPlN2at6native12_GLOBAL__N_18offset_tEEE10hipError_tPvRmT1_PNSt15iterator_traitsISY_E10value_typeET2_T3_PNSZ_IS14_E10value_typeET4_jRbjT5_S1A_jjP12ihipStream_tbEUljE_EEESV_SW_SX_S14_S18_S1A_T6_T7_T9_mT8_S1C_bDpT10_ENKUlT_T0_E_clISt17integral_constantIbLb1EES1O_IbLb0EEEEDaS1K_S1L_EUlS1K_E_NS1_11comp_targetILNS1_3genE4ELNS1_11target_archE910ELNS1_3gpuE8ELNS1_3repE0EEENS1_30default_config_static_selectorELNS0_4arch9wavefront6targetE0EEEvSY_
                                        ; -- End function
	.set _ZN7rocprim17ROCPRIM_400000_NS6detail17trampoline_kernelINS0_13select_configILj256ELj13ELNS0_17block_load_methodE3ELS4_3ELS4_3ELNS0_20block_scan_algorithmE0ELj4294967295EEENS1_25partition_config_selectorILNS1_17partition_subalgoE3EjNS0_10empty_typeEbEEZZNS1_14partition_implILS8_3ELb0ES6_jNS0_17counting_iteratorIjlEEPS9_SE_NS0_5tupleIJPjSE_EEENSF_IJSE_SE_EEES9_SG_JZNS1_25segmented_radix_sort_implINS0_14default_configELb0EPKfPfPKlPlN2at6native12_GLOBAL__N_18offset_tEEE10hipError_tPvRmT1_PNSt15iterator_traitsISY_E10value_typeET2_T3_PNSZ_IS14_E10value_typeET4_jRbjT5_S1A_jjP12ihipStream_tbEUljE_EEESV_SW_SX_S14_S18_S1A_T6_T7_T9_mT8_S1C_bDpT10_ENKUlT_T0_E_clISt17integral_constantIbLb1EES1O_IbLb0EEEEDaS1K_S1L_EUlS1K_E_NS1_11comp_targetILNS1_3genE4ELNS1_11target_archE910ELNS1_3gpuE8ELNS1_3repE0EEENS1_30default_config_static_selectorELNS0_4arch9wavefront6targetE0EEEvSY_.num_vgpr, 0
	.set _ZN7rocprim17ROCPRIM_400000_NS6detail17trampoline_kernelINS0_13select_configILj256ELj13ELNS0_17block_load_methodE3ELS4_3ELS4_3ELNS0_20block_scan_algorithmE0ELj4294967295EEENS1_25partition_config_selectorILNS1_17partition_subalgoE3EjNS0_10empty_typeEbEEZZNS1_14partition_implILS8_3ELb0ES6_jNS0_17counting_iteratorIjlEEPS9_SE_NS0_5tupleIJPjSE_EEENSF_IJSE_SE_EEES9_SG_JZNS1_25segmented_radix_sort_implINS0_14default_configELb0EPKfPfPKlPlN2at6native12_GLOBAL__N_18offset_tEEE10hipError_tPvRmT1_PNSt15iterator_traitsISY_E10value_typeET2_T3_PNSZ_IS14_E10value_typeET4_jRbjT5_S1A_jjP12ihipStream_tbEUljE_EEESV_SW_SX_S14_S18_S1A_T6_T7_T9_mT8_S1C_bDpT10_ENKUlT_T0_E_clISt17integral_constantIbLb1EES1O_IbLb0EEEEDaS1K_S1L_EUlS1K_E_NS1_11comp_targetILNS1_3genE4ELNS1_11target_archE910ELNS1_3gpuE8ELNS1_3repE0EEENS1_30default_config_static_selectorELNS0_4arch9wavefront6targetE0EEEvSY_.num_agpr, 0
	.set _ZN7rocprim17ROCPRIM_400000_NS6detail17trampoline_kernelINS0_13select_configILj256ELj13ELNS0_17block_load_methodE3ELS4_3ELS4_3ELNS0_20block_scan_algorithmE0ELj4294967295EEENS1_25partition_config_selectorILNS1_17partition_subalgoE3EjNS0_10empty_typeEbEEZZNS1_14partition_implILS8_3ELb0ES6_jNS0_17counting_iteratorIjlEEPS9_SE_NS0_5tupleIJPjSE_EEENSF_IJSE_SE_EEES9_SG_JZNS1_25segmented_radix_sort_implINS0_14default_configELb0EPKfPfPKlPlN2at6native12_GLOBAL__N_18offset_tEEE10hipError_tPvRmT1_PNSt15iterator_traitsISY_E10value_typeET2_T3_PNSZ_IS14_E10value_typeET4_jRbjT5_S1A_jjP12ihipStream_tbEUljE_EEESV_SW_SX_S14_S18_S1A_T6_T7_T9_mT8_S1C_bDpT10_ENKUlT_T0_E_clISt17integral_constantIbLb1EES1O_IbLb0EEEEDaS1K_S1L_EUlS1K_E_NS1_11comp_targetILNS1_3genE4ELNS1_11target_archE910ELNS1_3gpuE8ELNS1_3repE0EEENS1_30default_config_static_selectorELNS0_4arch9wavefront6targetE0EEEvSY_.numbered_sgpr, 0
	.set _ZN7rocprim17ROCPRIM_400000_NS6detail17trampoline_kernelINS0_13select_configILj256ELj13ELNS0_17block_load_methodE3ELS4_3ELS4_3ELNS0_20block_scan_algorithmE0ELj4294967295EEENS1_25partition_config_selectorILNS1_17partition_subalgoE3EjNS0_10empty_typeEbEEZZNS1_14partition_implILS8_3ELb0ES6_jNS0_17counting_iteratorIjlEEPS9_SE_NS0_5tupleIJPjSE_EEENSF_IJSE_SE_EEES9_SG_JZNS1_25segmented_radix_sort_implINS0_14default_configELb0EPKfPfPKlPlN2at6native12_GLOBAL__N_18offset_tEEE10hipError_tPvRmT1_PNSt15iterator_traitsISY_E10value_typeET2_T3_PNSZ_IS14_E10value_typeET4_jRbjT5_S1A_jjP12ihipStream_tbEUljE_EEESV_SW_SX_S14_S18_S1A_T6_T7_T9_mT8_S1C_bDpT10_ENKUlT_T0_E_clISt17integral_constantIbLb1EES1O_IbLb0EEEEDaS1K_S1L_EUlS1K_E_NS1_11comp_targetILNS1_3genE4ELNS1_11target_archE910ELNS1_3gpuE8ELNS1_3repE0EEENS1_30default_config_static_selectorELNS0_4arch9wavefront6targetE0EEEvSY_.num_named_barrier, 0
	.set _ZN7rocprim17ROCPRIM_400000_NS6detail17trampoline_kernelINS0_13select_configILj256ELj13ELNS0_17block_load_methodE3ELS4_3ELS4_3ELNS0_20block_scan_algorithmE0ELj4294967295EEENS1_25partition_config_selectorILNS1_17partition_subalgoE3EjNS0_10empty_typeEbEEZZNS1_14partition_implILS8_3ELb0ES6_jNS0_17counting_iteratorIjlEEPS9_SE_NS0_5tupleIJPjSE_EEENSF_IJSE_SE_EEES9_SG_JZNS1_25segmented_radix_sort_implINS0_14default_configELb0EPKfPfPKlPlN2at6native12_GLOBAL__N_18offset_tEEE10hipError_tPvRmT1_PNSt15iterator_traitsISY_E10value_typeET2_T3_PNSZ_IS14_E10value_typeET4_jRbjT5_S1A_jjP12ihipStream_tbEUljE_EEESV_SW_SX_S14_S18_S1A_T6_T7_T9_mT8_S1C_bDpT10_ENKUlT_T0_E_clISt17integral_constantIbLb1EES1O_IbLb0EEEEDaS1K_S1L_EUlS1K_E_NS1_11comp_targetILNS1_3genE4ELNS1_11target_archE910ELNS1_3gpuE8ELNS1_3repE0EEENS1_30default_config_static_selectorELNS0_4arch9wavefront6targetE0EEEvSY_.private_seg_size, 0
	.set _ZN7rocprim17ROCPRIM_400000_NS6detail17trampoline_kernelINS0_13select_configILj256ELj13ELNS0_17block_load_methodE3ELS4_3ELS4_3ELNS0_20block_scan_algorithmE0ELj4294967295EEENS1_25partition_config_selectorILNS1_17partition_subalgoE3EjNS0_10empty_typeEbEEZZNS1_14partition_implILS8_3ELb0ES6_jNS0_17counting_iteratorIjlEEPS9_SE_NS0_5tupleIJPjSE_EEENSF_IJSE_SE_EEES9_SG_JZNS1_25segmented_radix_sort_implINS0_14default_configELb0EPKfPfPKlPlN2at6native12_GLOBAL__N_18offset_tEEE10hipError_tPvRmT1_PNSt15iterator_traitsISY_E10value_typeET2_T3_PNSZ_IS14_E10value_typeET4_jRbjT5_S1A_jjP12ihipStream_tbEUljE_EEESV_SW_SX_S14_S18_S1A_T6_T7_T9_mT8_S1C_bDpT10_ENKUlT_T0_E_clISt17integral_constantIbLb1EES1O_IbLb0EEEEDaS1K_S1L_EUlS1K_E_NS1_11comp_targetILNS1_3genE4ELNS1_11target_archE910ELNS1_3gpuE8ELNS1_3repE0EEENS1_30default_config_static_selectorELNS0_4arch9wavefront6targetE0EEEvSY_.uses_vcc, 0
	.set _ZN7rocprim17ROCPRIM_400000_NS6detail17trampoline_kernelINS0_13select_configILj256ELj13ELNS0_17block_load_methodE3ELS4_3ELS4_3ELNS0_20block_scan_algorithmE0ELj4294967295EEENS1_25partition_config_selectorILNS1_17partition_subalgoE3EjNS0_10empty_typeEbEEZZNS1_14partition_implILS8_3ELb0ES6_jNS0_17counting_iteratorIjlEEPS9_SE_NS0_5tupleIJPjSE_EEENSF_IJSE_SE_EEES9_SG_JZNS1_25segmented_radix_sort_implINS0_14default_configELb0EPKfPfPKlPlN2at6native12_GLOBAL__N_18offset_tEEE10hipError_tPvRmT1_PNSt15iterator_traitsISY_E10value_typeET2_T3_PNSZ_IS14_E10value_typeET4_jRbjT5_S1A_jjP12ihipStream_tbEUljE_EEESV_SW_SX_S14_S18_S1A_T6_T7_T9_mT8_S1C_bDpT10_ENKUlT_T0_E_clISt17integral_constantIbLb1EES1O_IbLb0EEEEDaS1K_S1L_EUlS1K_E_NS1_11comp_targetILNS1_3genE4ELNS1_11target_archE910ELNS1_3gpuE8ELNS1_3repE0EEENS1_30default_config_static_selectorELNS0_4arch9wavefront6targetE0EEEvSY_.uses_flat_scratch, 0
	.set _ZN7rocprim17ROCPRIM_400000_NS6detail17trampoline_kernelINS0_13select_configILj256ELj13ELNS0_17block_load_methodE3ELS4_3ELS4_3ELNS0_20block_scan_algorithmE0ELj4294967295EEENS1_25partition_config_selectorILNS1_17partition_subalgoE3EjNS0_10empty_typeEbEEZZNS1_14partition_implILS8_3ELb0ES6_jNS0_17counting_iteratorIjlEEPS9_SE_NS0_5tupleIJPjSE_EEENSF_IJSE_SE_EEES9_SG_JZNS1_25segmented_radix_sort_implINS0_14default_configELb0EPKfPfPKlPlN2at6native12_GLOBAL__N_18offset_tEEE10hipError_tPvRmT1_PNSt15iterator_traitsISY_E10value_typeET2_T3_PNSZ_IS14_E10value_typeET4_jRbjT5_S1A_jjP12ihipStream_tbEUljE_EEESV_SW_SX_S14_S18_S1A_T6_T7_T9_mT8_S1C_bDpT10_ENKUlT_T0_E_clISt17integral_constantIbLb1EES1O_IbLb0EEEEDaS1K_S1L_EUlS1K_E_NS1_11comp_targetILNS1_3genE4ELNS1_11target_archE910ELNS1_3gpuE8ELNS1_3repE0EEENS1_30default_config_static_selectorELNS0_4arch9wavefront6targetE0EEEvSY_.has_dyn_sized_stack, 0
	.set _ZN7rocprim17ROCPRIM_400000_NS6detail17trampoline_kernelINS0_13select_configILj256ELj13ELNS0_17block_load_methodE3ELS4_3ELS4_3ELNS0_20block_scan_algorithmE0ELj4294967295EEENS1_25partition_config_selectorILNS1_17partition_subalgoE3EjNS0_10empty_typeEbEEZZNS1_14partition_implILS8_3ELb0ES6_jNS0_17counting_iteratorIjlEEPS9_SE_NS0_5tupleIJPjSE_EEENSF_IJSE_SE_EEES9_SG_JZNS1_25segmented_radix_sort_implINS0_14default_configELb0EPKfPfPKlPlN2at6native12_GLOBAL__N_18offset_tEEE10hipError_tPvRmT1_PNSt15iterator_traitsISY_E10value_typeET2_T3_PNSZ_IS14_E10value_typeET4_jRbjT5_S1A_jjP12ihipStream_tbEUljE_EEESV_SW_SX_S14_S18_S1A_T6_T7_T9_mT8_S1C_bDpT10_ENKUlT_T0_E_clISt17integral_constantIbLb1EES1O_IbLb0EEEEDaS1K_S1L_EUlS1K_E_NS1_11comp_targetILNS1_3genE4ELNS1_11target_archE910ELNS1_3gpuE8ELNS1_3repE0EEENS1_30default_config_static_selectorELNS0_4arch9wavefront6targetE0EEEvSY_.has_recursion, 0
	.set _ZN7rocprim17ROCPRIM_400000_NS6detail17trampoline_kernelINS0_13select_configILj256ELj13ELNS0_17block_load_methodE3ELS4_3ELS4_3ELNS0_20block_scan_algorithmE0ELj4294967295EEENS1_25partition_config_selectorILNS1_17partition_subalgoE3EjNS0_10empty_typeEbEEZZNS1_14partition_implILS8_3ELb0ES6_jNS0_17counting_iteratorIjlEEPS9_SE_NS0_5tupleIJPjSE_EEENSF_IJSE_SE_EEES9_SG_JZNS1_25segmented_radix_sort_implINS0_14default_configELb0EPKfPfPKlPlN2at6native12_GLOBAL__N_18offset_tEEE10hipError_tPvRmT1_PNSt15iterator_traitsISY_E10value_typeET2_T3_PNSZ_IS14_E10value_typeET4_jRbjT5_S1A_jjP12ihipStream_tbEUljE_EEESV_SW_SX_S14_S18_S1A_T6_T7_T9_mT8_S1C_bDpT10_ENKUlT_T0_E_clISt17integral_constantIbLb1EES1O_IbLb0EEEEDaS1K_S1L_EUlS1K_E_NS1_11comp_targetILNS1_3genE4ELNS1_11target_archE910ELNS1_3gpuE8ELNS1_3repE0EEENS1_30default_config_static_selectorELNS0_4arch9wavefront6targetE0EEEvSY_.has_indirect_call, 0
	.section	.AMDGPU.csdata,"",@progbits
; Kernel info:
; codeLenInByte = 0
; TotalNumSgprs: 0
; NumVgprs: 0
; ScratchSize: 0
; MemoryBound: 0
; FloatMode: 240
; IeeeMode: 1
; LDSByteSize: 0 bytes/workgroup (compile time only)
; SGPRBlocks: 0
; VGPRBlocks: 0
; NumSGPRsForWavesPerEU: 1
; NumVGPRsForWavesPerEU: 1
; Occupancy: 16
; WaveLimiterHint : 0
; COMPUTE_PGM_RSRC2:SCRATCH_EN: 0
; COMPUTE_PGM_RSRC2:USER_SGPR: 2
; COMPUTE_PGM_RSRC2:TRAP_HANDLER: 0
; COMPUTE_PGM_RSRC2:TGID_X_EN: 1
; COMPUTE_PGM_RSRC2:TGID_Y_EN: 0
; COMPUTE_PGM_RSRC2:TGID_Z_EN: 0
; COMPUTE_PGM_RSRC2:TIDIG_COMP_CNT: 0
	.section	.text._ZN7rocprim17ROCPRIM_400000_NS6detail17trampoline_kernelINS0_13select_configILj256ELj13ELNS0_17block_load_methodE3ELS4_3ELS4_3ELNS0_20block_scan_algorithmE0ELj4294967295EEENS1_25partition_config_selectorILNS1_17partition_subalgoE3EjNS0_10empty_typeEbEEZZNS1_14partition_implILS8_3ELb0ES6_jNS0_17counting_iteratorIjlEEPS9_SE_NS0_5tupleIJPjSE_EEENSF_IJSE_SE_EEES9_SG_JZNS1_25segmented_radix_sort_implINS0_14default_configELb0EPKfPfPKlPlN2at6native12_GLOBAL__N_18offset_tEEE10hipError_tPvRmT1_PNSt15iterator_traitsISY_E10value_typeET2_T3_PNSZ_IS14_E10value_typeET4_jRbjT5_S1A_jjP12ihipStream_tbEUljE_EEESV_SW_SX_S14_S18_S1A_T6_T7_T9_mT8_S1C_bDpT10_ENKUlT_T0_E_clISt17integral_constantIbLb1EES1O_IbLb0EEEEDaS1K_S1L_EUlS1K_E_NS1_11comp_targetILNS1_3genE3ELNS1_11target_archE908ELNS1_3gpuE7ELNS1_3repE0EEENS1_30default_config_static_selectorELNS0_4arch9wavefront6targetE0EEEvSY_,"axG",@progbits,_ZN7rocprim17ROCPRIM_400000_NS6detail17trampoline_kernelINS0_13select_configILj256ELj13ELNS0_17block_load_methodE3ELS4_3ELS4_3ELNS0_20block_scan_algorithmE0ELj4294967295EEENS1_25partition_config_selectorILNS1_17partition_subalgoE3EjNS0_10empty_typeEbEEZZNS1_14partition_implILS8_3ELb0ES6_jNS0_17counting_iteratorIjlEEPS9_SE_NS0_5tupleIJPjSE_EEENSF_IJSE_SE_EEES9_SG_JZNS1_25segmented_radix_sort_implINS0_14default_configELb0EPKfPfPKlPlN2at6native12_GLOBAL__N_18offset_tEEE10hipError_tPvRmT1_PNSt15iterator_traitsISY_E10value_typeET2_T3_PNSZ_IS14_E10value_typeET4_jRbjT5_S1A_jjP12ihipStream_tbEUljE_EEESV_SW_SX_S14_S18_S1A_T6_T7_T9_mT8_S1C_bDpT10_ENKUlT_T0_E_clISt17integral_constantIbLb1EES1O_IbLb0EEEEDaS1K_S1L_EUlS1K_E_NS1_11comp_targetILNS1_3genE3ELNS1_11target_archE908ELNS1_3gpuE7ELNS1_3repE0EEENS1_30default_config_static_selectorELNS0_4arch9wavefront6targetE0EEEvSY_,comdat
	.globl	_ZN7rocprim17ROCPRIM_400000_NS6detail17trampoline_kernelINS0_13select_configILj256ELj13ELNS0_17block_load_methodE3ELS4_3ELS4_3ELNS0_20block_scan_algorithmE0ELj4294967295EEENS1_25partition_config_selectorILNS1_17partition_subalgoE3EjNS0_10empty_typeEbEEZZNS1_14partition_implILS8_3ELb0ES6_jNS0_17counting_iteratorIjlEEPS9_SE_NS0_5tupleIJPjSE_EEENSF_IJSE_SE_EEES9_SG_JZNS1_25segmented_radix_sort_implINS0_14default_configELb0EPKfPfPKlPlN2at6native12_GLOBAL__N_18offset_tEEE10hipError_tPvRmT1_PNSt15iterator_traitsISY_E10value_typeET2_T3_PNSZ_IS14_E10value_typeET4_jRbjT5_S1A_jjP12ihipStream_tbEUljE_EEESV_SW_SX_S14_S18_S1A_T6_T7_T9_mT8_S1C_bDpT10_ENKUlT_T0_E_clISt17integral_constantIbLb1EES1O_IbLb0EEEEDaS1K_S1L_EUlS1K_E_NS1_11comp_targetILNS1_3genE3ELNS1_11target_archE908ELNS1_3gpuE7ELNS1_3repE0EEENS1_30default_config_static_selectorELNS0_4arch9wavefront6targetE0EEEvSY_ ; -- Begin function _ZN7rocprim17ROCPRIM_400000_NS6detail17trampoline_kernelINS0_13select_configILj256ELj13ELNS0_17block_load_methodE3ELS4_3ELS4_3ELNS0_20block_scan_algorithmE0ELj4294967295EEENS1_25partition_config_selectorILNS1_17partition_subalgoE3EjNS0_10empty_typeEbEEZZNS1_14partition_implILS8_3ELb0ES6_jNS0_17counting_iteratorIjlEEPS9_SE_NS0_5tupleIJPjSE_EEENSF_IJSE_SE_EEES9_SG_JZNS1_25segmented_radix_sort_implINS0_14default_configELb0EPKfPfPKlPlN2at6native12_GLOBAL__N_18offset_tEEE10hipError_tPvRmT1_PNSt15iterator_traitsISY_E10value_typeET2_T3_PNSZ_IS14_E10value_typeET4_jRbjT5_S1A_jjP12ihipStream_tbEUljE_EEESV_SW_SX_S14_S18_S1A_T6_T7_T9_mT8_S1C_bDpT10_ENKUlT_T0_E_clISt17integral_constantIbLb1EES1O_IbLb0EEEEDaS1K_S1L_EUlS1K_E_NS1_11comp_targetILNS1_3genE3ELNS1_11target_archE908ELNS1_3gpuE7ELNS1_3repE0EEENS1_30default_config_static_selectorELNS0_4arch9wavefront6targetE0EEEvSY_
	.p2align	8
	.type	_ZN7rocprim17ROCPRIM_400000_NS6detail17trampoline_kernelINS0_13select_configILj256ELj13ELNS0_17block_load_methodE3ELS4_3ELS4_3ELNS0_20block_scan_algorithmE0ELj4294967295EEENS1_25partition_config_selectorILNS1_17partition_subalgoE3EjNS0_10empty_typeEbEEZZNS1_14partition_implILS8_3ELb0ES6_jNS0_17counting_iteratorIjlEEPS9_SE_NS0_5tupleIJPjSE_EEENSF_IJSE_SE_EEES9_SG_JZNS1_25segmented_radix_sort_implINS0_14default_configELb0EPKfPfPKlPlN2at6native12_GLOBAL__N_18offset_tEEE10hipError_tPvRmT1_PNSt15iterator_traitsISY_E10value_typeET2_T3_PNSZ_IS14_E10value_typeET4_jRbjT5_S1A_jjP12ihipStream_tbEUljE_EEESV_SW_SX_S14_S18_S1A_T6_T7_T9_mT8_S1C_bDpT10_ENKUlT_T0_E_clISt17integral_constantIbLb1EES1O_IbLb0EEEEDaS1K_S1L_EUlS1K_E_NS1_11comp_targetILNS1_3genE3ELNS1_11target_archE908ELNS1_3gpuE7ELNS1_3repE0EEENS1_30default_config_static_selectorELNS0_4arch9wavefront6targetE0EEEvSY_,@function
_ZN7rocprim17ROCPRIM_400000_NS6detail17trampoline_kernelINS0_13select_configILj256ELj13ELNS0_17block_load_methodE3ELS4_3ELS4_3ELNS0_20block_scan_algorithmE0ELj4294967295EEENS1_25partition_config_selectorILNS1_17partition_subalgoE3EjNS0_10empty_typeEbEEZZNS1_14partition_implILS8_3ELb0ES6_jNS0_17counting_iteratorIjlEEPS9_SE_NS0_5tupleIJPjSE_EEENSF_IJSE_SE_EEES9_SG_JZNS1_25segmented_radix_sort_implINS0_14default_configELb0EPKfPfPKlPlN2at6native12_GLOBAL__N_18offset_tEEE10hipError_tPvRmT1_PNSt15iterator_traitsISY_E10value_typeET2_T3_PNSZ_IS14_E10value_typeET4_jRbjT5_S1A_jjP12ihipStream_tbEUljE_EEESV_SW_SX_S14_S18_S1A_T6_T7_T9_mT8_S1C_bDpT10_ENKUlT_T0_E_clISt17integral_constantIbLb1EES1O_IbLb0EEEEDaS1K_S1L_EUlS1K_E_NS1_11comp_targetILNS1_3genE3ELNS1_11target_archE908ELNS1_3gpuE7ELNS1_3repE0EEENS1_30default_config_static_selectorELNS0_4arch9wavefront6targetE0EEEvSY_: ; @_ZN7rocprim17ROCPRIM_400000_NS6detail17trampoline_kernelINS0_13select_configILj256ELj13ELNS0_17block_load_methodE3ELS4_3ELS4_3ELNS0_20block_scan_algorithmE0ELj4294967295EEENS1_25partition_config_selectorILNS1_17partition_subalgoE3EjNS0_10empty_typeEbEEZZNS1_14partition_implILS8_3ELb0ES6_jNS0_17counting_iteratorIjlEEPS9_SE_NS0_5tupleIJPjSE_EEENSF_IJSE_SE_EEES9_SG_JZNS1_25segmented_radix_sort_implINS0_14default_configELb0EPKfPfPKlPlN2at6native12_GLOBAL__N_18offset_tEEE10hipError_tPvRmT1_PNSt15iterator_traitsISY_E10value_typeET2_T3_PNSZ_IS14_E10value_typeET4_jRbjT5_S1A_jjP12ihipStream_tbEUljE_EEESV_SW_SX_S14_S18_S1A_T6_T7_T9_mT8_S1C_bDpT10_ENKUlT_T0_E_clISt17integral_constantIbLb1EES1O_IbLb0EEEEDaS1K_S1L_EUlS1K_E_NS1_11comp_targetILNS1_3genE3ELNS1_11target_archE908ELNS1_3gpuE7ELNS1_3repE0EEENS1_30default_config_static_selectorELNS0_4arch9wavefront6targetE0EEEvSY_
; %bb.0:
	.section	.rodata,"a",@progbits
	.p2align	6, 0x0
	.amdhsa_kernel _ZN7rocprim17ROCPRIM_400000_NS6detail17trampoline_kernelINS0_13select_configILj256ELj13ELNS0_17block_load_methodE3ELS4_3ELS4_3ELNS0_20block_scan_algorithmE0ELj4294967295EEENS1_25partition_config_selectorILNS1_17partition_subalgoE3EjNS0_10empty_typeEbEEZZNS1_14partition_implILS8_3ELb0ES6_jNS0_17counting_iteratorIjlEEPS9_SE_NS0_5tupleIJPjSE_EEENSF_IJSE_SE_EEES9_SG_JZNS1_25segmented_radix_sort_implINS0_14default_configELb0EPKfPfPKlPlN2at6native12_GLOBAL__N_18offset_tEEE10hipError_tPvRmT1_PNSt15iterator_traitsISY_E10value_typeET2_T3_PNSZ_IS14_E10value_typeET4_jRbjT5_S1A_jjP12ihipStream_tbEUljE_EEESV_SW_SX_S14_S18_S1A_T6_T7_T9_mT8_S1C_bDpT10_ENKUlT_T0_E_clISt17integral_constantIbLb1EES1O_IbLb0EEEEDaS1K_S1L_EUlS1K_E_NS1_11comp_targetILNS1_3genE3ELNS1_11target_archE908ELNS1_3gpuE7ELNS1_3repE0EEENS1_30default_config_static_selectorELNS0_4arch9wavefront6targetE0EEEvSY_
		.amdhsa_group_segment_fixed_size 0
		.amdhsa_private_segment_fixed_size 0
		.amdhsa_kernarg_size 144
		.amdhsa_user_sgpr_count 2
		.amdhsa_user_sgpr_dispatch_ptr 0
		.amdhsa_user_sgpr_queue_ptr 0
		.amdhsa_user_sgpr_kernarg_segment_ptr 1
		.amdhsa_user_sgpr_dispatch_id 0
		.amdhsa_user_sgpr_private_segment_size 0
		.amdhsa_wavefront_size32 1
		.amdhsa_uses_dynamic_stack 0
		.amdhsa_enable_private_segment 0
		.amdhsa_system_sgpr_workgroup_id_x 1
		.amdhsa_system_sgpr_workgroup_id_y 0
		.amdhsa_system_sgpr_workgroup_id_z 0
		.amdhsa_system_sgpr_workgroup_info 0
		.amdhsa_system_vgpr_workitem_id 0
		.amdhsa_next_free_vgpr 1
		.amdhsa_next_free_sgpr 1
		.amdhsa_reserve_vcc 0
		.amdhsa_float_round_mode_32 0
		.amdhsa_float_round_mode_16_64 0
		.amdhsa_float_denorm_mode_32 3
		.amdhsa_float_denorm_mode_16_64 3
		.amdhsa_fp16_overflow 0
		.amdhsa_workgroup_processor_mode 1
		.amdhsa_memory_ordered 1
		.amdhsa_forward_progress 1
		.amdhsa_inst_pref_size 0
		.amdhsa_round_robin_scheduling 0
		.amdhsa_exception_fp_ieee_invalid_op 0
		.amdhsa_exception_fp_denorm_src 0
		.amdhsa_exception_fp_ieee_div_zero 0
		.amdhsa_exception_fp_ieee_overflow 0
		.amdhsa_exception_fp_ieee_underflow 0
		.amdhsa_exception_fp_ieee_inexact 0
		.amdhsa_exception_int_div_zero 0
	.end_amdhsa_kernel
	.section	.text._ZN7rocprim17ROCPRIM_400000_NS6detail17trampoline_kernelINS0_13select_configILj256ELj13ELNS0_17block_load_methodE3ELS4_3ELS4_3ELNS0_20block_scan_algorithmE0ELj4294967295EEENS1_25partition_config_selectorILNS1_17partition_subalgoE3EjNS0_10empty_typeEbEEZZNS1_14partition_implILS8_3ELb0ES6_jNS0_17counting_iteratorIjlEEPS9_SE_NS0_5tupleIJPjSE_EEENSF_IJSE_SE_EEES9_SG_JZNS1_25segmented_radix_sort_implINS0_14default_configELb0EPKfPfPKlPlN2at6native12_GLOBAL__N_18offset_tEEE10hipError_tPvRmT1_PNSt15iterator_traitsISY_E10value_typeET2_T3_PNSZ_IS14_E10value_typeET4_jRbjT5_S1A_jjP12ihipStream_tbEUljE_EEESV_SW_SX_S14_S18_S1A_T6_T7_T9_mT8_S1C_bDpT10_ENKUlT_T0_E_clISt17integral_constantIbLb1EES1O_IbLb0EEEEDaS1K_S1L_EUlS1K_E_NS1_11comp_targetILNS1_3genE3ELNS1_11target_archE908ELNS1_3gpuE7ELNS1_3repE0EEENS1_30default_config_static_selectorELNS0_4arch9wavefront6targetE0EEEvSY_,"axG",@progbits,_ZN7rocprim17ROCPRIM_400000_NS6detail17trampoline_kernelINS0_13select_configILj256ELj13ELNS0_17block_load_methodE3ELS4_3ELS4_3ELNS0_20block_scan_algorithmE0ELj4294967295EEENS1_25partition_config_selectorILNS1_17partition_subalgoE3EjNS0_10empty_typeEbEEZZNS1_14partition_implILS8_3ELb0ES6_jNS0_17counting_iteratorIjlEEPS9_SE_NS0_5tupleIJPjSE_EEENSF_IJSE_SE_EEES9_SG_JZNS1_25segmented_radix_sort_implINS0_14default_configELb0EPKfPfPKlPlN2at6native12_GLOBAL__N_18offset_tEEE10hipError_tPvRmT1_PNSt15iterator_traitsISY_E10value_typeET2_T3_PNSZ_IS14_E10value_typeET4_jRbjT5_S1A_jjP12ihipStream_tbEUljE_EEESV_SW_SX_S14_S18_S1A_T6_T7_T9_mT8_S1C_bDpT10_ENKUlT_T0_E_clISt17integral_constantIbLb1EES1O_IbLb0EEEEDaS1K_S1L_EUlS1K_E_NS1_11comp_targetILNS1_3genE3ELNS1_11target_archE908ELNS1_3gpuE7ELNS1_3repE0EEENS1_30default_config_static_selectorELNS0_4arch9wavefront6targetE0EEEvSY_,comdat
.Lfunc_end1415:
	.size	_ZN7rocprim17ROCPRIM_400000_NS6detail17trampoline_kernelINS0_13select_configILj256ELj13ELNS0_17block_load_methodE3ELS4_3ELS4_3ELNS0_20block_scan_algorithmE0ELj4294967295EEENS1_25partition_config_selectorILNS1_17partition_subalgoE3EjNS0_10empty_typeEbEEZZNS1_14partition_implILS8_3ELb0ES6_jNS0_17counting_iteratorIjlEEPS9_SE_NS0_5tupleIJPjSE_EEENSF_IJSE_SE_EEES9_SG_JZNS1_25segmented_radix_sort_implINS0_14default_configELb0EPKfPfPKlPlN2at6native12_GLOBAL__N_18offset_tEEE10hipError_tPvRmT1_PNSt15iterator_traitsISY_E10value_typeET2_T3_PNSZ_IS14_E10value_typeET4_jRbjT5_S1A_jjP12ihipStream_tbEUljE_EEESV_SW_SX_S14_S18_S1A_T6_T7_T9_mT8_S1C_bDpT10_ENKUlT_T0_E_clISt17integral_constantIbLb1EES1O_IbLb0EEEEDaS1K_S1L_EUlS1K_E_NS1_11comp_targetILNS1_3genE3ELNS1_11target_archE908ELNS1_3gpuE7ELNS1_3repE0EEENS1_30default_config_static_selectorELNS0_4arch9wavefront6targetE0EEEvSY_, .Lfunc_end1415-_ZN7rocprim17ROCPRIM_400000_NS6detail17trampoline_kernelINS0_13select_configILj256ELj13ELNS0_17block_load_methodE3ELS4_3ELS4_3ELNS0_20block_scan_algorithmE0ELj4294967295EEENS1_25partition_config_selectorILNS1_17partition_subalgoE3EjNS0_10empty_typeEbEEZZNS1_14partition_implILS8_3ELb0ES6_jNS0_17counting_iteratorIjlEEPS9_SE_NS0_5tupleIJPjSE_EEENSF_IJSE_SE_EEES9_SG_JZNS1_25segmented_radix_sort_implINS0_14default_configELb0EPKfPfPKlPlN2at6native12_GLOBAL__N_18offset_tEEE10hipError_tPvRmT1_PNSt15iterator_traitsISY_E10value_typeET2_T3_PNSZ_IS14_E10value_typeET4_jRbjT5_S1A_jjP12ihipStream_tbEUljE_EEESV_SW_SX_S14_S18_S1A_T6_T7_T9_mT8_S1C_bDpT10_ENKUlT_T0_E_clISt17integral_constantIbLb1EES1O_IbLb0EEEEDaS1K_S1L_EUlS1K_E_NS1_11comp_targetILNS1_3genE3ELNS1_11target_archE908ELNS1_3gpuE7ELNS1_3repE0EEENS1_30default_config_static_selectorELNS0_4arch9wavefront6targetE0EEEvSY_
                                        ; -- End function
	.set _ZN7rocprim17ROCPRIM_400000_NS6detail17trampoline_kernelINS0_13select_configILj256ELj13ELNS0_17block_load_methodE3ELS4_3ELS4_3ELNS0_20block_scan_algorithmE0ELj4294967295EEENS1_25partition_config_selectorILNS1_17partition_subalgoE3EjNS0_10empty_typeEbEEZZNS1_14partition_implILS8_3ELb0ES6_jNS0_17counting_iteratorIjlEEPS9_SE_NS0_5tupleIJPjSE_EEENSF_IJSE_SE_EEES9_SG_JZNS1_25segmented_radix_sort_implINS0_14default_configELb0EPKfPfPKlPlN2at6native12_GLOBAL__N_18offset_tEEE10hipError_tPvRmT1_PNSt15iterator_traitsISY_E10value_typeET2_T3_PNSZ_IS14_E10value_typeET4_jRbjT5_S1A_jjP12ihipStream_tbEUljE_EEESV_SW_SX_S14_S18_S1A_T6_T7_T9_mT8_S1C_bDpT10_ENKUlT_T0_E_clISt17integral_constantIbLb1EES1O_IbLb0EEEEDaS1K_S1L_EUlS1K_E_NS1_11comp_targetILNS1_3genE3ELNS1_11target_archE908ELNS1_3gpuE7ELNS1_3repE0EEENS1_30default_config_static_selectorELNS0_4arch9wavefront6targetE0EEEvSY_.num_vgpr, 0
	.set _ZN7rocprim17ROCPRIM_400000_NS6detail17trampoline_kernelINS0_13select_configILj256ELj13ELNS0_17block_load_methodE3ELS4_3ELS4_3ELNS0_20block_scan_algorithmE0ELj4294967295EEENS1_25partition_config_selectorILNS1_17partition_subalgoE3EjNS0_10empty_typeEbEEZZNS1_14partition_implILS8_3ELb0ES6_jNS0_17counting_iteratorIjlEEPS9_SE_NS0_5tupleIJPjSE_EEENSF_IJSE_SE_EEES9_SG_JZNS1_25segmented_radix_sort_implINS0_14default_configELb0EPKfPfPKlPlN2at6native12_GLOBAL__N_18offset_tEEE10hipError_tPvRmT1_PNSt15iterator_traitsISY_E10value_typeET2_T3_PNSZ_IS14_E10value_typeET4_jRbjT5_S1A_jjP12ihipStream_tbEUljE_EEESV_SW_SX_S14_S18_S1A_T6_T7_T9_mT8_S1C_bDpT10_ENKUlT_T0_E_clISt17integral_constantIbLb1EES1O_IbLb0EEEEDaS1K_S1L_EUlS1K_E_NS1_11comp_targetILNS1_3genE3ELNS1_11target_archE908ELNS1_3gpuE7ELNS1_3repE0EEENS1_30default_config_static_selectorELNS0_4arch9wavefront6targetE0EEEvSY_.num_agpr, 0
	.set _ZN7rocprim17ROCPRIM_400000_NS6detail17trampoline_kernelINS0_13select_configILj256ELj13ELNS0_17block_load_methodE3ELS4_3ELS4_3ELNS0_20block_scan_algorithmE0ELj4294967295EEENS1_25partition_config_selectorILNS1_17partition_subalgoE3EjNS0_10empty_typeEbEEZZNS1_14partition_implILS8_3ELb0ES6_jNS0_17counting_iteratorIjlEEPS9_SE_NS0_5tupleIJPjSE_EEENSF_IJSE_SE_EEES9_SG_JZNS1_25segmented_radix_sort_implINS0_14default_configELb0EPKfPfPKlPlN2at6native12_GLOBAL__N_18offset_tEEE10hipError_tPvRmT1_PNSt15iterator_traitsISY_E10value_typeET2_T3_PNSZ_IS14_E10value_typeET4_jRbjT5_S1A_jjP12ihipStream_tbEUljE_EEESV_SW_SX_S14_S18_S1A_T6_T7_T9_mT8_S1C_bDpT10_ENKUlT_T0_E_clISt17integral_constantIbLb1EES1O_IbLb0EEEEDaS1K_S1L_EUlS1K_E_NS1_11comp_targetILNS1_3genE3ELNS1_11target_archE908ELNS1_3gpuE7ELNS1_3repE0EEENS1_30default_config_static_selectorELNS0_4arch9wavefront6targetE0EEEvSY_.numbered_sgpr, 0
	.set _ZN7rocprim17ROCPRIM_400000_NS6detail17trampoline_kernelINS0_13select_configILj256ELj13ELNS0_17block_load_methodE3ELS4_3ELS4_3ELNS0_20block_scan_algorithmE0ELj4294967295EEENS1_25partition_config_selectorILNS1_17partition_subalgoE3EjNS0_10empty_typeEbEEZZNS1_14partition_implILS8_3ELb0ES6_jNS0_17counting_iteratorIjlEEPS9_SE_NS0_5tupleIJPjSE_EEENSF_IJSE_SE_EEES9_SG_JZNS1_25segmented_radix_sort_implINS0_14default_configELb0EPKfPfPKlPlN2at6native12_GLOBAL__N_18offset_tEEE10hipError_tPvRmT1_PNSt15iterator_traitsISY_E10value_typeET2_T3_PNSZ_IS14_E10value_typeET4_jRbjT5_S1A_jjP12ihipStream_tbEUljE_EEESV_SW_SX_S14_S18_S1A_T6_T7_T9_mT8_S1C_bDpT10_ENKUlT_T0_E_clISt17integral_constantIbLb1EES1O_IbLb0EEEEDaS1K_S1L_EUlS1K_E_NS1_11comp_targetILNS1_3genE3ELNS1_11target_archE908ELNS1_3gpuE7ELNS1_3repE0EEENS1_30default_config_static_selectorELNS0_4arch9wavefront6targetE0EEEvSY_.num_named_barrier, 0
	.set _ZN7rocprim17ROCPRIM_400000_NS6detail17trampoline_kernelINS0_13select_configILj256ELj13ELNS0_17block_load_methodE3ELS4_3ELS4_3ELNS0_20block_scan_algorithmE0ELj4294967295EEENS1_25partition_config_selectorILNS1_17partition_subalgoE3EjNS0_10empty_typeEbEEZZNS1_14partition_implILS8_3ELb0ES6_jNS0_17counting_iteratorIjlEEPS9_SE_NS0_5tupleIJPjSE_EEENSF_IJSE_SE_EEES9_SG_JZNS1_25segmented_radix_sort_implINS0_14default_configELb0EPKfPfPKlPlN2at6native12_GLOBAL__N_18offset_tEEE10hipError_tPvRmT1_PNSt15iterator_traitsISY_E10value_typeET2_T3_PNSZ_IS14_E10value_typeET4_jRbjT5_S1A_jjP12ihipStream_tbEUljE_EEESV_SW_SX_S14_S18_S1A_T6_T7_T9_mT8_S1C_bDpT10_ENKUlT_T0_E_clISt17integral_constantIbLb1EES1O_IbLb0EEEEDaS1K_S1L_EUlS1K_E_NS1_11comp_targetILNS1_3genE3ELNS1_11target_archE908ELNS1_3gpuE7ELNS1_3repE0EEENS1_30default_config_static_selectorELNS0_4arch9wavefront6targetE0EEEvSY_.private_seg_size, 0
	.set _ZN7rocprim17ROCPRIM_400000_NS6detail17trampoline_kernelINS0_13select_configILj256ELj13ELNS0_17block_load_methodE3ELS4_3ELS4_3ELNS0_20block_scan_algorithmE0ELj4294967295EEENS1_25partition_config_selectorILNS1_17partition_subalgoE3EjNS0_10empty_typeEbEEZZNS1_14partition_implILS8_3ELb0ES6_jNS0_17counting_iteratorIjlEEPS9_SE_NS0_5tupleIJPjSE_EEENSF_IJSE_SE_EEES9_SG_JZNS1_25segmented_radix_sort_implINS0_14default_configELb0EPKfPfPKlPlN2at6native12_GLOBAL__N_18offset_tEEE10hipError_tPvRmT1_PNSt15iterator_traitsISY_E10value_typeET2_T3_PNSZ_IS14_E10value_typeET4_jRbjT5_S1A_jjP12ihipStream_tbEUljE_EEESV_SW_SX_S14_S18_S1A_T6_T7_T9_mT8_S1C_bDpT10_ENKUlT_T0_E_clISt17integral_constantIbLb1EES1O_IbLb0EEEEDaS1K_S1L_EUlS1K_E_NS1_11comp_targetILNS1_3genE3ELNS1_11target_archE908ELNS1_3gpuE7ELNS1_3repE0EEENS1_30default_config_static_selectorELNS0_4arch9wavefront6targetE0EEEvSY_.uses_vcc, 0
	.set _ZN7rocprim17ROCPRIM_400000_NS6detail17trampoline_kernelINS0_13select_configILj256ELj13ELNS0_17block_load_methodE3ELS4_3ELS4_3ELNS0_20block_scan_algorithmE0ELj4294967295EEENS1_25partition_config_selectorILNS1_17partition_subalgoE3EjNS0_10empty_typeEbEEZZNS1_14partition_implILS8_3ELb0ES6_jNS0_17counting_iteratorIjlEEPS9_SE_NS0_5tupleIJPjSE_EEENSF_IJSE_SE_EEES9_SG_JZNS1_25segmented_radix_sort_implINS0_14default_configELb0EPKfPfPKlPlN2at6native12_GLOBAL__N_18offset_tEEE10hipError_tPvRmT1_PNSt15iterator_traitsISY_E10value_typeET2_T3_PNSZ_IS14_E10value_typeET4_jRbjT5_S1A_jjP12ihipStream_tbEUljE_EEESV_SW_SX_S14_S18_S1A_T6_T7_T9_mT8_S1C_bDpT10_ENKUlT_T0_E_clISt17integral_constantIbLb1EES1O_IbLb0EEEEDaS1K_S1L_EUlS1K_E_NS1_11comp_targetILNS1_3genE3ELNS1_11target_archE908ELNS1_3gpuE7ELNS1_3repE0EEENS1_30default_config_static_selectorELNS0_4arch9wavefront6targetE0EEEvSY_.uses_flat_scratch, 0
	.set _ZN7rocprim17ROCPRIM_400000_NS6detail17trampoline_kernelINS0_13select_configILj256ELj13ELNS0_17block_load_methodE3ELS4_3ELS4_3ELNS0_20block_scan_algorithmE0ELj4294967295EEENS1_25partition_config_selectorILNS1_17partition_subalgoE3EjNS0_10empty_typeEbEEZZNS1_14partition_implILS8_3ELb0ES6_jNS0_17counting_iteratorIjlEEPS9_SE_NS0_5tupleIJPjSE_EEENSF_IJSE_SE_EEES9_SG_JZNS1_25segmented_radix_sort_implINS0_14default_configELb0EPKfPfPKlPlN2at6native12_GLOBAL__N_18offset_tEEE10hipError_tPvRmT1_PNSt15iterator_traitsISY_E10value_typeET2_T3_PNSZ_IS14_E10value_typeET4_jRbjT5_S1A_jjP12ihipStream_tbEUljE_EEESV_SW_SX_S14_S18_S1A_T6_T7_T9_mT8_S1C_bDpT10_ENKUlT_T0_E_clISt17integral_constantIbLb1EES1O_IbLb0EEEEDaS1K_S1L_EUlS1K_E_NS1_11comp_targetILNS1_3genE3ELNS1_11target_archE908ELNS1_3gpuE7ELNS1_3repE0EEENS1_30default_config_static_selectorELNS0_4arch9wavefront6targetE0EEEvSY_.has_dyn_sized_stack, 0
	.set _ZN7rocprim17ROCPRIM_400000_NS6detail17trampoline_kernelINS0_13select_configILj256ELj13ELNS0_17block_load_methodE3ELS4_3ELS4_3ELNS0_20block_scan_algorithmE0ELj4294967295EEENS1_25partition_config_selectorILNS1_17partition_subalgoE3EjNS0_10empty_typeEbEEZZNS1_14partition_implILS8_3ELb0ES6_jNS0_17counting_iteratorIjlEEPS9_SE_NS0_5tupleIJPjSE_EEENSF_IJSE_SE_EEES9_SG_JZNS1_25segmented_radix_sort_implINS0_14default_configELb0EPKfPfPKlPlN2at6native12_GLOBAL__N_18offset_tEEE10hipError_tPvRmT1_PNSt15iterator_traitsISY_E10value_typeET2_T3_PNSZ_IS14_E10value_typeET4_jRbjT5_S1A_jjP12ihipStream_tbEUljE_EEESV_SW_SX_S14_S18_S1A_T6_T7_T9_mT8_S1C_bDpT10_ENKUlT_T0_E_clISt17integral_constantIbLb1EES1O_IbLb0EEEEDaS1K_S1L_EUlS1K_E_NS1_11comp_targetILNS1_3genE3ELNS1_11target_archE908ELNS1_3gpuE7ELNS1_3repE0EEENS1_30default_config_static_selectorELNS0_4arch9wavefront6targetE0EEEvSY_.has_recursion, 0
	.set _ZN7rocprim17ROCPRIM_400000_NS6detail17trampoline_kernelINS0_13select_configILj256ELj13ELNS0_17block_load_methodE3ELS4_3ELS4_3ELNS0_20block_scan_algorithmE0ELj4294967295EEENS1_25partition_config_selectorILNS1_17partition_subalgoE3EjNS0_10empty_typeEbEEZZNS1_14partition_implILS8_3ELb0ES6_jNS0_17counting_iteratorIjlEEPS9_SE_NS0_5tupleIJPjSE_EEENSF_IJSE_SE_EEES9_SG_JZNS1_25segmented_radix_sort_implINS0_14default_configELb0EPKfPfPKlPlN2at6native12_GLOBAL__N_18offset_tEEE10hipError_tPvRmT1_PNSt15iterator_traitsISY_E10value_typeET2_T3_PNSZ_IS14_E10value_typeET4_jRbjT5_S1A_jjP12ihipStream_tbEUljE_EEESV_SW_SX_S14_S18_S1A_T6_T7_T9_mT8_S1C_bDpT10_ENKUlT_T0_E_clISt17integral_constantIbLb1EES1O_IbLb0EEEEDaS1K_S1L_EUlS1K_E_NS1_11comp_targetILNS1_3genE3ELNS1_11target_archE908ELNS1_3gpuE7ELNS1_3repE0EEENS1_30default_config_static_selectorELNS0_4arch9wavefront6targetE0EEEvSY_.has_indirect_call, 0
	.section	.AMDGPU.csdata,"",@progbits
; Kernel info:
; codeLenInByte = 0
; TotalNumSgprs: 0
; NumVgprs: 0
; ScratchSize: 0
; MemoryBound: 0
; FloatMode: 240
; IeeeMode: 1
; LDSByteSize: 0 bytes/workgroup (compile time only)
; SGPRBlocks: 0
; VGPRBlocks: 0
; NumSGPRsForWavesPerEU: 1
; NumVGPRsForWavesPerEU: 1
; Occupancy: 16
; WaveLimiterHint : 0
; COMPUTE_PGM_RSRC2:SCRATCH_EN: 0
; COMPUTE_PGM_RSRC2:USER_SGPR: 2
; COMPUTE_PGM_RSRC2:TRAP_HANDLER: 0
; COMPUTE_PGM_RSRC2:TGID_X_EN: 1
; COMPUTE_PGM_RSRC2:TGID_Y_EN: 0
; COMPUTE_PGM_RSRC2:TGID_Z_EN: 0
; COMPUTE_PGM_RSRC2:TIDIG_COMP_CNT: 0
	.section	.text._ZN7rocprim17ROCPRIM_400000_NS6detail17trampoline_kernelINS0_13select_configILj256ELj13ELNS0_17block_load_methodE3ELS4_3ELS4_3ELNS0_20block_scan_algorithmE0ELj4294967295EEENS1_25partition_config_selectorILNS1_17partition_subalgoE3EjNS0_10empty_typeEbEEZZNS1_14partition_implILS8_3ELb0ES6_jNS0_17counting_iteratorIjlEEPS9_SE_NS0_5tupleIJPjSE_EEENSF_IJSE_SE_EEES9_SG_JZNS1_25segmented_radix_sort_implINS0_14default_configELb0EPKfPfPKlPlN2at6native12_GLOBAL__N_18offset_tEEE10hipError_tPvRmT1_PNSt15iterator_traitsISY_E10value_typeET2_T3_PNSZ_IS14_E10value_typeET4_jRbjT5_S1A_jjP12ihipStream_tbEUljE_EEESV_SW_SX_S14_S18_S1A_T6_T7_T9_mT8_S1C_bDpT10_ENKUlT_T0_E_clISt17integral_constantIbLb1EES1O_IbLb0EEEEDaS1K_S1L_EUlS1K_E_NS1_11comp_targetILNS1_3genE2ELNS1_11target_archE906ELNS1_3gpuE6ELNS1_3repE0EEENS1_30default_config_static_selectorELNS0_4arch9wavefront6targetE0EEEvSY_,"axG",@progbits,_ZN7rocprim17ROCPRIM_400000_NS6detail17trampoline_kernelINS0_13select_configILj256ELj13ELNS0_17block_load_methodE3ELS4_3ELS4_3ELNS0_20block_scan_algorithmE0ELj4294967295EEENS1_25partition_config_selectorILNS1_17partition_subalgoE3EjNS0_10empty_typeEbEEZZNS1_14partition_implILS8_3ELb0ES6_jNS0_17counting_iteratorIjlEEPS9_SE_NS0_5tupleIJPjSE_EEENSF_IJSE_SE_EEES9_SG_JZNS1_25segmented_radix_sort_implINS0_14default_configELb0EPKfPfPKlPlN2at6native12_GLOBAL__N_18offset_tEEE10hipError_tPvRmT1_PNSt15iterator_traitsISY_E10value_typeET2_T3_PNSZ_IS14_E10value_typeET4_jRbjT5_S1A_jjP12ihipStream_tbEUljE_EEESV_SW_SX_S14_S18_S1A_T6_T7_T9_mT8_S1C_bDpT10_ENKUlT_T0_E_clISt17integral_constantIbLb1EES1O_IbLb0EEEEDaS1K_S1L_EUlS1K_E_NS1_11comp_targetILNS1_3genE2ELNS1_11target_archE906ELNS1_3gpuE6ELNS1_3repE0EEENS1_30default_config_static_selectorELNS0_4arch9wavefront6targetE0EEEvSY_,comdat
	.globl	_ZN7rocprim17ROCPRIM_400000_NS6detail17trampoline_kernelINS0_13select_configILj256ELj13ELNS0_17block_load_methodE3ELS4_3ELS4_3ELNS0_20block_scan_algorithmE0ELj4294967295EEENS1_25partition_config_selectorILNS1_17partition_subalgoE3EjNS0_10empty_typeEbEEZZNS1_14partition_implILS8_3ELb0ES6_jNS0_17counting_iteratorIjlEEPS9_SE_NS0_5tupleIJPjSE_EEENSF_IJSE_SE_EEES9_SG_JZNS1_25segmented_radix_sort_implINS0_14default_configELb0EPKfPfPKlPlN2at6native12_GLOBAL__N_18offset_tEEE10hipError_tPvRmT1_PNSt15iterator_traitsISY_E10value_typeET2_T3_PNSZ_IS14_E10value_typeET4_jRbjT5_S1A_jjP12ihipStream_tbEUljE_EEESV_SW_SX_S14_S18_S1A_T6_T7_T9_mT8_S1C_bDpT10_ENKUlT_T0_E_clISt17integral_constantIbLb1EES1O_IbLb0EEEEDaS1K_S1L_EUlS1K_E_NS1_11comp_targetILNS1_3genE2ELNS1_11target_archE906ELNS1_3gpuE6ELNS1_3repE0EEENS1_30default_config_static_selectorELNS0_4arch9wavefront6targetE0EEEvSY_ ; -- Begin function _ZN7rocprim17ROCPRIM_400000_NS6detail17trampoline_kernelINS0_13select_configILj256ELj13ELNS0_17block_load_methodE3ELS4_3ELS4_3ELNS0_20block_scan_algorithmE0ELj4294967295EEENS1_25partition_config_selectorILNS1_17partition_subalgoE3EjNS0_10empty_typeEbEEZZNS1_14partition_implILS8_3ELb0ES6_jNS0_17counting_iteratorIjlEEPS9_SE_NS0_5tupleIJPjSE_EEENSF_IJSE_SE_EEES9_SG_JZNS1_25segmented_radix_sort_implINS0_14default_configELb0EPKfPfPKlPlN2at6native12_GLOBAL__N_18offset_tEEE10hipError_tPvRmT1_PNSt15iterator_traitsISY_E10value_typeET2_T3_PNSZ_IS14_E10value_typeET4_jRbjT5_S1A_jjP12ihipStream_tbEUljE_EEESV_SW_SX_S14_S18_S1A_T6_T7_T9_mT8_S1C_bDpT10_ENKUlT_T0_E_clISt17integral_constantIbLb1EES1O_IbLb0EEEEDaS1K_S1L_EUlS1K_E_NS1_11comp_targetILNS1_3genE2ELNS1_11target_archE906ELNS1_3gpuE6ELNS1_3repE0EEENS1_30default_config_static_selectorELNS0_4arch9wavefront6targetE0EEEvSY_
	.p2align	8
	.type	_ZN7rocprim17ROCPRIM_400000_NS6detail17trampoline_kernelINS0_13select_configILj256ELj13ELNS0_17block_load_methodE3ELS4_3ELS4_3ELNS0_20block_scan_algorithmE0ELj4294967295EEENS1_25partition_config_selectorILNS1_17partition_subalgoE3EjNS0_10empty_typeEbEEZZNS1_14partition_implILS8_3ELb0ES6_jNS0_17counting_iteratorIjlEEPS9_SE_NS0_5tupleIJPjSE_EEENSF_IJSE_SE_EEES9_SG_JZNS1_25segmented_radix_sort_implINS0_14default_configELb0EPKfPfPKlPlN2at6native12_GLOBAL__N_18offset_tEEE10hipError_tPvRmT1_PNSt15iterator_traitsISY_E10value_typeET2_T3_PNSZ_IS14_E10value_typeET4_jRbjT5_S1A_jjP12ihipStream_tbEUljE_EEESV_SW_SX_S14_S18_S1A_T6_T7_T9_mT8_S1C_bDpT10_ENKUlT_T0_E_clISt17integral_constantIbLb1EES1O_IbLb0EEEEDaS1K_S1L_EUlS1K_E_NS1_11comp_targetILNS1_3genE2ELNS1_11target_archE906ELNS1_3gpuE6ELNS1_3repE0EEENS1_30default_config_static_selectorELNS0_4arch9wavefront6targetE0EEEvSY_,@function
_ZN7rocprim17ROCPRIM_400000_NS6detail17trampoline_kernelINS0_13select_configILj256ELj13ELNS0_17block_load_methodE3ELS4_3ELS4_3ELNS0_20block_scan_algorithmE0ELj4294967295EEENS1_25partition_config_selectorILNS1_17partition_subalgoE3EjNS0_10empty_typeEbEEZZNS1_14partition_implILS8_3ELb0ES6_jNS0_17counting_iteratorIjlEEPS9_SE_NS0_5tupleIJPjSE_EEENSF_IJSE_SE_EEES9_SG_JZNS1_25segmented_radix_sort_implINS0_14default_configELb0EPKfPfPKlPlN2at6native12_GLOBAL__N_18offset_tEEE10hipError_tPvRmT1_PNSt15iterator_traitsISY_E10value_typeET2_T3_PNSZ_IS14_E10value_typeET4_jRbjT5_S1A_jjP12ihipStream_tbEUljE_EEESV_SW_SX_S14_S18_S1A_T6_T7_T9_mT8_S1C_bDpT10_ENKUlT_T0_E_clISt17integral_constantIbLb1EES1O_IbLb0EEEEDaS1K_S1L_EUlS1K_E_NS1_11comp_targetILNS1_3genE2ELNS1_11target_archE906ELNS1_3gpuE6ELNS1_3repE0EEENS1_30default_config_static_selectorELNS0_4arch9wavefront6targetE0EEEvSY_: ; @_ZN7rocprim17ROCPRIM_400000_NS6detail17trampoline_kernelINS0_13select_configILj256ELj13ELNS0_17block_load_methodE3ELS4_3ELS4_3ELNS0_20block_scan_algorithmE0ELj4294967295EEENS1_25partition_config_selectorILNS1_17partition_subalgoE3EjNS0_10empty_typeEbEEZZNS1_14partition_implILS8_3ELb0ES6_jNS0_17counting_iteratorIjlEEPS9_SE_NS0_5tupleIJPjSE_EEENSF_IJSE_SE_EEES9_SG_JZNS1_25segmented_radix_sort_implINS0_14default_configELb0EPKfPfPKlPlN2at6native12_GLOBAL__N_18offset_tEEE10hipError_tPvRmT1_PNSt15iterator_traitsISY_E10value_typeET2_T3_PNSZ_IS14_E10value_typeET4_jRbjT5_S1A_jjP12ihipStream_tbEUljE_EEESV_SW_SX_S14_S18_S1A_T6_T7_T9_mT8_S1C_bDpT10_ENKUlT_T0_E_clISt17integral_constantIbLb1EES1O_IbLb0EEEEDaS1K_S1L_EUlS1K_E_NS1_11comp_targetILNS1_3genE2ELNS1_11target_archE906ELNS1_3gpuE6ELNS1_3repE0EEENS1_30default_config_static_selectorELNS0_4arch9wavefront6targetE0EEEvSY_
; %bb.0:
	.section	.rodata,"a",@progbits
	.p2align	6, 0x0
	.amdhsa_kernel _ZN7rocprim17ROCPRIM_400000_NS6detail17trampoline_kernelINS0_13select_configILj256ELj13ELNS0_17block_load_methodE3ELS4_3ELS4_3ELNS0_20block_scan_algorithmE0ELj4294967295EEENS1_25partition_config_selectorILNS1_17partition_subalgoE3EjNS0_10empty_typeEbEEZZNS1_14partition_implILS8_3ELb0ES6_jNS0_17counting_iteratorIjlEEPS9_SE_NS0_5tupleIJPjSE_EEENSF_IJSE_SE_EEES9_SG_JZNS1_25segmented_radix_sort_implINS0_14default_configELb0EPKfPfPKlPlN2at6native12_GLOBAL__N_18offset_tEEE10hipError_tPvRmT1_PNSt15iterator_traitsISY_E10value_typeET2_T3_PNSZ_IS14_E10value_typeET4_jRbjT5_S1A_jjP12ihipStream_tbEUljE_EEESV_SW_SX_S14_S18_S1A_T6_T7_T9_mT8_S1C_bDpT10_ENKUlT_T0_E_clISt17integral_constantIbLb1EES1O_IbLb0EEEEDaS1K_S1L_EUlS1K_E_NS1_11comp_targetILNS1_3genE2ELNS1_11target_archE906ELNS1_3gpuE6ELNS1_3repE0EEENS1_30default_config_static_selectorELNS0_4arch9wavefront6targetE0EEEvSY_
		.amdhsa_group_segment_fixed_size 0
		.amdhsa_private_segment_fixed_size 0
		.amdhsa_kernarg_size 144
		.amdhsa_user_sgpr_count 2
		.amdhsa_user_sgpr_dispatch_ptr 0
		.amdhsa_user_sgpr_queue_ptr 0
		.amdhsa_user_sgpr_kernarg_segment_ptr 1
		.amdhsa_user_sgpr_dispatch_id 0
		.amdhsa_user_sgpr_private_segment_size 0
		.amdhsa_wavefront_size32 1
		.amdhsa_uses_dynamic_stack 0
		.amdhsa_enable_private_segment 0
		.amdhsa_system_sgpr_workgroup_id_x 1
		.amdhsa_system_sgpr_workgroup_id_y 0
		.amdhsa_system_sgpr_workgroup_id_z 0
		.amdhsa_system_sgpr_workgroup_info 0
		.amdhsa_system_vgpr_workitem_id 0
		.amdhsa_next_free_vgpr 1
		.amdhsa_next_free_sgpr 1
		.amdhsa_reserve_vcc 0
		.amdhsa_float_round_mode_32 0
		.amdhsa_float_round_mode_16_64 0
		.amdhsa_float_denorm_mode_32 3
		.amdhsa_float_denorm_mode_16_64 3
		.amdhsa_fp16_overflow 0
		.amdhsa_workgroup_processor_mode 1
		.amdhsa_memory_ordered 1
		.amdhsa_forward_progress 1
		.amdhsa_inst_pref_size 0
		.amdhsa_round_robin_scheduling 0
		.amdhsa_exception_fp_ieee_invalid_op 0
		.amdhsa_exception_fp_denorm_src 0
		.amdhsa_exception_fp_ieee_div_zero 0
		.amdhsa_exception_fp_ieee_overflow 0
		.amdhsa_exception_fp_ieee_underflow 0
		.amdhsa_exception_fp_ieee_inexact 0
		.amdhsa_exception_int_div_zero 0
	.end_amdhsa_kernel
	.section	.text._ZN7rocprim17ROCPRIM_400000_NS6detail17trampoline_kernelINS0_13select_configILj256ELj13ELNS0_17block_load_methodE3ELS4_3ELS4_3ELNS0_20block_scan_algorithmE0ELj4294967295EEENS1_25partition_config_selectorILNS1_17partition_subalgoE3EjNS0_10empty_typeEbEEZZNS1_14partition_implILS8_3ELb0ES6_jNS0_17counting_iteratorIjlEEPS9_SE_NS0_5tupleIJPjSE_EEENSF_IJSE_SE_EEES9_SG_JZNS1_25segmented_radix_sort_implINS0_14default_configELb0EPKfPfPKlPlN2at6native12_GLOBAL__N_18offset_tEEE10hipError_tPvRmT1_PNSt15iterator_traitsISY_E10value_typeET2_T3_PNSZ_IS14_E10value_typeET4_jRbjT5_S1A_jjP12ihipStream_tbEUljE_EEESV_SW_SX_S14_S18_S1A_T6_T7_T9_mT8_S1C_bDpT10_ENKUlT_T0_E_clISt17integral_constantIbLb1EES1O_IbLb0EEEEDaS1K_S1L_EUlS1K_E_NS1_11comp_targetILNS1_3genE2ELNS1_11target_archE906ELNS1_3gpuE6ELNS1_3repE0EEENS1_30default_config_static_selectorELNS0_4arch9wavefront6targetE0EEEvSY_,"axG",@progbits,_ZN7rocprim17ROCPRIM_400000_NS6detail17trampoline_kernelINS0_13select_configILj256ELj13ELNS0_17block_load_methodE3ELS4_3ELS4_3ELNS0_20block_scan_algorithmE0ELj4294967295EEENS1_25partition_config_selectorILNS1_17partition_subalgoE3EjNS0_10empty_typeEbEEZZNS1_14partition_implILS8_3ELb0ES6_jNS0_17counting_iteratorIjlEEPS9_SE_NS0_5tupleIJPjSE_EEENSF_IJSE_SE_EEES9_SG_JZNS1_25segmented_radix_sort_implINS0_14default_configELb0EPKfPfPKlPlN2at6native12_GLOBAL__N_18offset_tEEE10hipError_tPvRmT1_PNSt15iterator_traitsISY_E10value_typeET2_T3_PNSZ_IS14_E10value_typeET4_jRbjT5_S1A_jjP12ihipStream_tbEUljE_EEESV_SW_SX_S14_S18_S1A_T6_T7_T9_mT8_S1C_bDpT10_ENKUlT_T0_E_clISt17integral_constantIbLb1EES1O_IbLb0EEEEDaS1K_S1L_EUlS1K_E_NS1_11comp_targetILNS1_3genE2ELNS1_11target_archE906ELNS1_3gpuE6ELNS1_3repE0EEENS1_30default_config_static_selectorELNS0_4arch9wavefront6targetE0EEEvSY_,comdat
.Lfunc_end1416:
	.size	_ZN7rocprim17ROCPRIM_400000_NS6detail17trampoline_kernelINS0_13select_configILj256ELj13ELNS0_17block_load_methodE3ELS4_3ELS4_3ELNS0_20block_scan_algorithmE0ELj4294967295EEENS1_25partition_config_selectorILNS1_17partition_subalgoE3EjNS0_10empty_typeEbEEZZNS1_14partition_implILS8_3ELb0ES6_jNS0_17counting_iteratorIjlEEPS9_SE_NS0_5tupleIJPjSE_EEENSF_IJSE_SE_EEES9_SG_JZNS1_25segmented_radix_sort_implINS0_14default_configELb0EPKfPfPKlPlN2at6native12_GLOBAL__N_18offset_tEEE10hipError_tPvRmT1_PNSt15iterator_traitsISY_E10value_typeET2_T3_PNSZ_IS14_E10value_typeET4_jRbjT5_S1A_jjP12ihipStream_tbEUljE_EEESV_SW_SX_S14_S18_S1A_T6_T7_T9_mT8_S1C_bDpT10_ENKUlT_T0_E_clISt17integral_constantIbLb1EES1O_IbLb0EEEEDaS1K_S1L_EUlS1K_E_NS1_11comp_targetILNS1_3genE2ELNS1_11target_archE906ELNS1_3gpuE6ELNS1_3repE0EEENS1_30default_config_static_selectorELNS0_4arch9wavefront6targetE0EEEvSY_, .Lfunc_end1416-_ZN7rocprim17ROCPRIM_400000_NS6detail17trampoline_kernelINS0_13select_configILj256ELj13ELNS0_17block_load_methodE3ELS4_3ELS4_3ELNS0_20block_scan_algorithmE0ELj4294967295EEENS1_25partition_config_selectorILNS1_17partition_subalgoE3EjNS0_10empty_typeEbEEZZNS1_14partition_implILS8_3ELb0ES6_jNS0_17counting_iteratorIjlEEPS9_SE_NS0_5tupleIJPjSE_EEENSF_IJSE_SE_EEES9_SG_JZNS1_25segmented_radix_sort_implINS0_14default_configELb0EPKfPfPKlPlN2at6native12_GLOBAL__N_18offset_tEEE10hipError_tPvRmT1_PNSt15iterator_traitsISY_E10value_typeET2_T3_PNSZ_IS14_E10value_typeET4_jRbjT5_S1A_jjP12ihipStream_tbEUljE_EEESV_SW_SX_S14_S18_S1A_T6_T7_T9_mT8_S1C_bDpT10_ENKUlT_T0_E_clISt17integral_constantIbLb1EES1O_IbLb0EEEEDaS1K_S1L_EUlS1K_E_NS1_11comp_targetILNS1_3genE2ELNS1_11target_archE906ELNS1_3gpuE6ELNS1_3repE0EEENS1_30default_config_static_selectorELNS0_4arch9wavefront6targetE0EEEvSY_
                                        ; -- End function
	.set _ZN7rocprim17ROCPRIM_400000_NS6detail17trampoline_kernelINS0_13select_configILj256ELj13ELNS0_17block_load_methodE3ELS4_3ELS4_3ELNS0_20block_scan_algorithmE0ELj4294967295EEENS1_25partition_config_selectorILNS1_17partition_subalgoE3EjNS0_10empty_typeEbEEZZNS1_14partition_implILS8_3ELb0ES6_jNS0_17counting_iteratorIjlEEPS9_SE_NS0_5tupleIJPjSE_EEENSF_IJSE_SE_EEES9_SG_JZNS1_25segmented_radix_sort_implINS0_14default_configELb0EPKfPfPKlPlN2at6native12_GLOBAL__N_18offset_tEEE10hipError_tPvRmT1_PNSt15iterator_traitsISY_E10value_typeET2_T3_PNSZ_IS14_E10value_typeET4_jRbjT5_S1A_jjP12ihipStream_tbEUljE_EEESV_SW_SX_S14_S18_S1A_T6_T7_T9_mT8_S1C_bDpT10_ENKUlT_T0_E_clISt17integral_constantIbLb1EES1O_IbLb0EEEEDaS1K_S1L_EUlS1K_E_NS1_11comp_targetILNS1_3genE2ELNS1_11target_archE906ELNS1_3gpuE6ELNS1_3repE0EEENS1_30default_config_static_selectorELNS0_4arch9wavefront6targetE0EEEvSY_.num_vgpr, 0
	.set _ZN7rocprim17ROCPRIM_400000_NS6detail17trampoline_kernelINS0_13select_configILj256ELj13ELNS0_17block_load_methodE3ELS4_3ELS4_3ELNS0_20block_scan_algorithmE0ELj4294967295EEENS1_25partition_config_selectorILNS1_17partition_subalgoE3EjNS0_10empty_typeEbEEZZNS1_14partition_implILS8_3ELb0ES6_jNS0_17counting_iteratorIjlEEPS9_SE_NS0_5tupleIJPjSE_EEENSF_IJSE_SE_EEES9_SG_JZNS1_25segmented_radix_sort_implINS0_14default_configELb0EPKfPfPKlPlN2at6native12_GLOBAL__N_18offset_tEEE10hipError_tPvRmT1_PNSt15iterator_traitsISY_E10value_typeET2_T3_PNSZ_IS14_E10value_typeET4_jRbjT5_S1A_jjP12ihipStream_tbEUljE_EEESV_SW_SX_S14_S18_S1A_T6_T7_T9_mT8_S1C_bDpT10_ENKUlT_T0_E_clISt17integral_constantIbLb1EES1O_IbLb0EEEEDaS1K_S1L_EUlS1K_E_NS1_11comp_targetILNS1_3genE2ELNS1_11target_archE906ELNS1_3gpuE6ELNS1_3repE0EEENS1_30default_config_static_selectorELNS0_4arch9wavefront6targetE0EEEvSY_.num_agpr, 0
	.set _ZN7rocprim17ROCPRIM_400000_NS6detail17trampoline_kernelINS0_13select_configILj256ELj13ELNS0_17block_load_methodE3ELS4_3ELS4_3ELNS0_20block_scan_algorithmE0ELj4294967295EEENS1_25partition_config_selectorILNS1_17partition_subalgoE3EjNS0_10empty_typeEbEEZZNS1_14partition_implILS8_3ELb0ES6_jNS0_17counting_iteratorIjlEEPS9_SE_NS0_5tupleIJPjSE_EEENSF_IJSE_SE_EEES9_SG_JZNS1_25segmented_radix_sort_implINS0_14default_configELb0EPKfPfPKlPlN2at6native12_GLOBAL__N_18offset_tEEE10hipError_tPvRmT1_PNSt15iterator_traitsISY_E10value_typeET2_T3_PNSZ_IS14_E10value_typeET4_jRbjT5_S1A_jjP12ihipStream_tbEUljE_EEESV_SW_SX_S14_S18_S1A_T6_T7_T9_mT8_S1C_bDpT10_ENKUlT_T0_E_clISt17integral_constantIbLb1EES1O_IbLb0EEEEDaS1K_S1L_EUlS1K_E_NS1_11comp_targetILNS1_3genE2ELNS1_11target_archE906ELNS1_3gpuE6ELNS1_3repE0EEENS1_30default_config_static_selectorELNS0_4arch9wavefront6targetE0EEEvSY_.numbered_sgpr, 0
	.set _ZN7rocprim17ROCPRIM_400000_NS6detail17trampoline_kernelINS0_13select_configILj256ELj13ELNS0_17block_load_methodE3ELS4_3ELS4_3ELNS0_20block_scan_algorithmE0ELj4294967295EEENS1_25partition_config_selectorILNS1_17partition_subalgoE3EjNS0_10empty_typeEbEEZZNS1_14partition_implILS8_3ELb0ES6_jNS0_17counting_iteratorIjlEEPS9_SE_NS0_5tupleIJPjSE_EEENSF_IJSE_SE_EEES9_SG_JZNS1_25segmented_radix_sort_implINS0_14default_configELb0EPKfPfPKlPlN2at6native12_GLOBAL__N_18offset_tEEE10hipError_tPvRmT1_PNSt15iterator_traitsISY_E10value_typeET2_T3_PNSZ_IS14_E10value_typeET4_jRbjT5_S1A_jjP12ihipStream_tbEUljE_EEESV_SW_SX_S14_S18_S1A_T6_T7_T9_mT8_S1C_bDpT10_ENKUlT_T0_E_clISt17integral_constantIbLb1EES1O_IbLb0EEEEDaS1K_S1L_EUlS1K_E_NS1_11comp_targetILNS1_3genE2ELNS1_11target_archE906ELNS1_3gpuE6ELNS1_3repE0EEENS1_30default_config_static_selectorELNS0_4arch9wavefront6targetE0EEEvSY_.num_named_barrier, 0
	.set _ZN7rocprim17ROCPRIM_400000_NS6detail17trampoline_kernelINS0_13select_configILj256ELj13ELNS0_17block_load_methodE3ELS4_3ELS4_3ELNS0_20block_scan_algorithmE0ELj4294967295EEENS1_25partition_config_selectorILNS1_17partition_subalgoE3EjNS0_10empty_typeEbEEZZNS1_14partition_implILS8_3ELb0ES6_jNS0_17counting_iteratorIjlEEPS9_SE_NS0_5tupleIJPjSE_EEENSF_IJSE_SE_EEES9_SG_JZNS1_25segmented_radix_sort_implINS0_14default_configELb0EPKfPfPKlPlN2at6native12_GLOBAL__N_18offset_tEEE10hipError_tPvRmT1_PNSt15iterator_traitsISY_E10value_typeET2_T3_PNSZ_IS14_E10value_typeET4_jRbjT5_S1A_jjP12ihipStream_tbEUljE_EEESV_SW_SX_S14_S18_S1A_T6_T7_T9_mT8_S1C_bDpT10_ENKUlT_T0_E_clISt17integral_constantIbLb1EES1O_IbLb0EEEEDaS1K_S1L_EUlS1K_E_NS1_11comp_targetILNS1_3genE2ELNS1_11target_archE906ELNS1_3gpuE6ELNS1_3repE0EEENS1_30default_config_static_selectorELNS0_4arch9wavefront6targetE0EEEvSY_.private_seg_size, 0
	.set _ZN7rocprim17ROCPRIM_400000_NS6detail17trampoline_kernelINS0_13select_configILj256ELj13ELNS0_17block_load_methodE3ELS4_3ELS4_3ELNS0_20block_scan_algorithmE0ELj4294967295EEENS1_25partition_config_selectorILNS1_17partition_subalgoE3EjNS0_10empty_typeEbEEZZNS1_14partition_implILS8_3ELb0ES6_jNS0_17counting_iteratorIjlEEPS9_SE_NS0_5tupleIJPjSE_EEENSF_IJSE_SE_EEES9_SG_JZNS1_25segmented_radix_sort_implINS0_14default_configELb0EPKfPfPKlPlN2at6native12_GLOBAL__N_18offset_tEEE10hipError_tPvRmT1_PNSt15iterator_traitsISY_E10value_typeET2_T3_PNSZ_IS14_E10value_typeET4_jRbjT5_S1A_jjP12ihipStream_tbEUljE_EEESV_SW_SX_S14_S18_S1A_T6_T7_T9_mT8_S1C_bDpT10_ENKUlT_T0_E_clISt17integral_constantIbLb1EES1O_IbLb0EEEEDaS1K_S1L_EUlS1K_E_NS1_11comp_targetILNS1_3genE2ELNS1_11target_archE906ELNS1_3gpuE6ELNS1_3repE0EEENS1_30default_config_static_selectorELNS0_4arch9wavefront6targetE0EEEvSY_.uses_vcc, 0
	.set _ZN7rocprim17ROCPRIM_400000_NS6detail17trampoline_kernelINS0_13select_configILj256ELj13ELNS0_17block_load_methodE3ELS4_3ELS4_3ELNS0_20block_scan_algorithmE0ELj4294967295EEENS1_25partition_config_selectorILNS1_17partition_subalgoE3EjNS0_10empty_typeEbEEZZNS1_14partition_implILS8_3ELb0ES6_jNS0_17counting_iteratorIjlEEPS9_SE_NS0_5tupleIJPjSE_EEENSF_IJSE_SE_EEES9_SG_JZNS1_25segmented_radix_sort_implINS0_14default_configELb0EPKfPfPKlPlN2at6native12_GLOBAL__N_18offset_tEEE10hipError_tPvRmT1_PNSt15iterator_traitsISY_E10value_typeET2_T3_PNSZ_IS14_E10value_typeET4_jRbjT5_S1A_jjP12ihipStream_tbEUljE_EEESV_SW_SX_S14_S18_S1A_T6_T7_T9_mT8_S1C_bDpT10_ENKUlT_T0_E_clISt17integral_constantIbLb1EES1O_IbLb0EEEEDaS1K_S1L_EUlS1K_E_NS1_11comp_targetILNS1_3genE2ELNS1_11target_archE906ELNS1_3gpuE6ELNS1_3repE0EEENS1_30default_config_static_selectorELNS0_4arch9wavefront6targetE0EEEvSY_.uses_flat_scratch, 0
	.set _ZN7rocprim17ROCPRIM_400000_NS6detail17trampoline_kernelINS0_13select_configILj256ELj13ELNS0_17block_load_methodE3ELS4_3ELS4_3ELNS0_20block_scan_algorithmE0ELj4294967295EEENS1_25partition_config_selectorILNS1_17partition_subalgoE3EjNS0_10empty_typeEbEEZZNS1_14partition_implILS8_3ELb0ES6_jNS0_17counting_iteratorIjlEEPS9_SE_NS0_5tupleIJPjSE_EEENSF_IJSE_SE_EEES9_SG_JZNS1_25segmented_radix_sort_implINS0_14default_configELb0EPKfPfPKlPlN2at6native12_GLOBAL__N_18offset_tEEE10hipError_tPvRmT1_PNSt15iterator_traitsISY_E10value_typeET2_T3_PNSZ_IS14_E10value_typeET4_jRbjT5_S1A_jjP12ihipStream_tbEUljE_EEESV_SW_SX_S14_S18_S1A_T6_T7_T9_mT8_S1C_bDpT10_ENKUlT_T0_E_clISt17integral_constantIbLb1EES1O_IbLb0EEEEDaS1K_S1L_EUlS1K_E_NS1_11comp_targetILNS1_3genE2ELNS1_11target_archE906ELNS1_3gpuE6ELNS1_3repE0EEENS1_30default_config_static_selectorELNS0_4arch9wavefront6targetE0EEEvSY_.has_dyn_sized_stack, 0
	.set _ZN7rocprim17ROCPRIM_400000_NS6detail17trampoline_kernelINS0_13select_configILj256ELj13ELNS0_17block_load_methodE3ELS4_3ELS4_3ELNS0_20block_scan_algorithmE0ELj4294967295EEENS1_25partition_config_selectorILNS1_17partition_subalgoE3EjNS0_10empty_typeEbEEZZNS1_14partition_implILS8_3ELb0ES6_jNS0_17counting_iteratorIjlEEPS9_SE_NS0_5tupleIJPjSE_EEENSF_IJSE_SE_EEES9_SG_JZNS1_25segmented_radix_sort_implINS0_14default_configELb0EPKfPfPKlPlN2at6native12_GLOBAL__N_18offset_tEEE10hipError_tPvRmT1_PNSt15iterator_traitsISY_E10value_typeET2_T3_PNSZ_IS14_E10value_typeET4_jRbjT5_S1A_jjP12ihipStream_tbEUljE_EEESV_SW_SX_S14_S18_S1A_T6_T7_T9_mT8_S1C_bDpT10_ENKUlT_T0_E_clISt17integral_constantIbLb1EES1O_IbLb0EEEEDaS1K_S1L_EUlS1K_E_NS1_11comp_targetILNS1_3genE2ELNS1_11target_archE906ELNS1_3gpuE6ELNS1_3repE0EEENS1_30default_config_static_selectorELNS0_4arch9wavefront6targetE0EEEvSY_.has_recursion, 0
	.set _ZN7rocprim17ROCPRIM_400000_NS6detail17trampoline_kernelINS0_13select_configILj256ELj13ELNS0_17block_load_methodE3ELS4_3ELS4_3ELNS0_20block_scan_algorithmE0ELj4294967295EEENS1_25partition_config_selectorILNS1_17partition_subalgoE3EjNS0_10empty_typeEbEEZZNS1_14partition_implILS8_3ELb0ES6_jNS0_17counting_iteratorIjlEEPS9_SE_NS0_5tupleIJPjSE_EEENSF_IJSE_SE_EEES9_SG_JZNS1_25segmented_radix_sort_implINS0_14default_configELb0EPKfPfPKlPlN2at6native12_GLOBAL__N_18offset_tEEE10hipError_tPvRmT1_PNSt15iterator_traitsISY_E10value_typeET2_T3_PNSZ_IS14_E10value_typeET4_jRbjT5_S1A_jjP12ihipStream_tbEUljE_EEESV_SW_SX_S14_S18_S1A_T6_T7_T9_mT8_S1C_bDpT10_ENKUlT_T0_E_clISt17integral_constantIbLb1EES1O_IbLb0EEEEDaS1K_S1L_EUlS1K_E_NS1_11comp_targetILNS1_3genE2ELNS1_11target_archE906ELNS1_3gpuE6ELNS1_3repE0EEENS1_30default_config_static_selectorELNS0_4arch9wavefront6targetE0EEEvSY_.has_indirect_call, 0
	.section	.AMDGPU.csdata,"",@progbits
; Kernel info:
; codeLenInByte = 0
; TotalNumSgprs: 0
; NumVgprs: 0
; ScratchSize: 0
; MemoryBound: 0
; FloatMode: 240
; IeeeMode: 1
; LDSByteSize: 0 bytes/workgroup (compile time only)
; SGPRBlocks: 0
; VGPRBlocks: 0
; NumSGPRsForWavesPerEU: 1
; NumVGPRsForWavesPerEU: 1
; Occupancy: 16
; WaveLimiterHint : 0
; COMPUTE_PGM_RSRC2:SCRATCH_EN: 0
; COMPUTE_PGM_RSRC2:USER_SGPR: 2
; COMPUTE_PGM_RSRC2:TRAP_HANDLER: 0
; COMPUTE_PGM_RSRC2:TGID_X_EN: 1
; COMPUTE_PGM_RSRC2:TGID_Y_EN: 0
; COMPUTE_PGM_RSRC2:TGID_Z_EN: 0
; COMPUTE_PGM_RSRC2:TIDIG_COMP_CNT: 0
	.section	.text._ZN7rocprim17ROCPRIM_400000_NS6detail17trampoline_kernelINS0_13select_configILj256ELj13ELNS0_17block_load_methodE3ELS4_3ELS4_3ELNS0_20block_scan_algorithmE0ELj4294967295EEENS1_25partition_config_selectorILNS1_17partition_subalgoE3EjNS0_10empty_typeEbEEZZNS1_14partition_implILS8_3ELb0ES6_jNS0_17counting_iteratorIjlEEPS9_SE_NS0_5tupleIJPjSE_EEENSF_IJSE_SE_EEES9_SG_JZNS1_25segmented_radix_sort_implINS0_14default_configELb0EPKfPfPKlPlN2at6native12_GLOBAL__N_18offset_tEEE10hipError_tPvRmT1_PNSt15iterator_traitsISY_E10value_typeET2_T3_PNSZ_IS14_E10value_typeET4_jRbjT5_S1A_jjP12ihipStream_tbEUljE_EEESV_SW_SX_S14_S18_S1A_T6_T7_T9_mT8_S1C_bDpT10_ENKUlT_T0_E_clISt17integral_constantIbLb1EES1O_IbLb0EEEEDaS1K_S1L_EUlS1K_E_NS1_11comp_targetILNS1_3genE10ELNS1_11target_archE1200ELNS1_3gpuE4ELNS1_3repE0EEENS1_30default_config_static_selectorELNS0_4arch9wavefront6targetE0EEEvSY_,"axG",@progbits,_ZN7rocprim17ROCPRIM_400000_NS6detail17trampoline_kernelINS0_13select_configILj256ELj13ELNS0_17block_load_methodE3ELS4_3ELS4_3ELNS0_20block_scan_algorithmE0ELj4294967295EEENS1_25partition_config_selectorILNS1_17partition_subalgoE3EjNS0_10empty_typeEbEEZZNS1_14partition_implILS8_3ELb0ES6_jNS0_17counting_iteratorIjlEEPS9_SE_NS0_5tupleIJPjSE_EEENSF_IJSE_SE_EEES9_SG_JZNS1_25segmented_radix_sort_implINS0_14default_configELb0EPKfPfPKlPlN2at6native12_GLOBAL__N_18offset_tEEE10hipError_tPvRmT1_PNSt15iterator_traitsISY_E10value_typeET2_T3_PNSZ_IS14_E10value_typeET4_jRbjT5_S1A_jjP12ihipStream_tbEUljE_EEESV_SW_SX_S14_S18_S1A_T6_T7_T9_mT8_S1C_bDpT10_ENKUlT_T0_E_clISt17integral_constantIbLb1EES1O_IbLb0EEEEDaS1K_S1L_EUlS1K_E_NS1_11comp_targetILNS1_3genE10ELNS1_11target_archE1200ELNS1_3gpuE4ELNS1_3repE0EEENS1_30default_config_static_selectorELNS0_4arch9wavefront6targetE0EEEvSY_,comdat
	.globl	_ZN7rocprim17ROCPRIM_400000_NS6detail17trampoline_kernelINS0_13select_configILj256ELj13ELNS0_17block_load_methodE3ELS4_3ELS4_3ELNS0_20block_scan_algorithmE0ELj4294967295EEENS1_25partition_config_selectorILNS1_17partition_subalgoE3EjNS0_10empty_typeEbEEZZNS1_14partition_implILS8_3ELb0ES6_jNS0_17counting_iteratorIjlEEPS9_SE_NS0_5tupleIJPjSE_EEENSF_IJSE_SE_EEES9_SG_JZNS1_25segmented_radix_sort_implINS0_14default_configELb0EPKfPfPKlPlN2at6native12_GLOBAL__N_18offset_tEEE10hipError_tPvRmT1_PNSt15iterator_traitsISY_E10value_typeET2_T3_PNSZ_IS14_E10value_typeET4_jRbjT5_S1A_jjP12ihipStream_tbEUljE_EEESV_SW_SX_S14_S18_S1A_T6_T7_T9_mT8_S1C_bDpT10_ENKUlT_T0_E_clISt17integral_constantIbLb1EES1O_IbLb0EEEEDaS1K_S1L_EUlS1K_E_NS1_11comp_targetILNS1_3genE10ELNS1_11target_archE1200ELNS1_3gpuE4ELNS1_3repE0EEENS1_30default_config_static_selectorELNS0_4arch9wavefront6targetE0EEEvSY_ ; -- Begin function _ZN7rocprim17ROCPRIM_400000_NS6detail17trampoline_kernelINS0_13select_configILj256ELj13ELNS0_17block_load_methodE3ELS4_3ELS4_3ELNS0_20block_scan_algorithmE0ELj4294967295EEENS1_25partition_config_selectorILNS1_17partition_subalgoE3EjNS0_10empty_typeEbEEZZNS1_14partition_implILS8_3ELb0ES6_jNS0_17counting_iteratorIjlEEPS9_SE_NS0_5tupleIJPjSE_EEENSF_IJSE_SE_EEES9_SG_JZNS1_25segmented_radix_sort_implINS0_14default_configELb0EPKfPfPKlPlN2at6native12_GLOBAL__N_18offset_tEEE10hipError_tPvRmT1_PNSt15iterator_traitsISY_E10value_typeET2_T3_PNSZ_IS14_E10value_typeET4_jRbjT5_S1A_jjP12ihipStream_tbEUljE_EEESV_SW_SX_S14_S18_S1A_T6_T7_T9_mT8_S1C_bDpT10_ENKUlT_T0_E_clISt17integral_constantIbLb1EES1O_IbLb0EEEEDaS1K_S1L_EUlS1K_E_NS1_11comp_targetILNS1_3genE10ELNS1_11target_archE1200ELNS1_3gpuE4ELNS1_3repE0EEENS1_30default_config_static_selectorELNS0_4arch9wavefront6targetE0EEEvSY_
	.p2align	8
	.type	_ZN7rocprim17ROCPRIM_400000_NS6detail17trampoline_kernelINS0_13select_configILj256ELj13ELNS0_17block_load_methodE3ELS4_3ELS4_3ELNS0_20block_scan_algorithmE0ELj4294967295EEENS1_25partition_config_selectorILNS1_17partition_subalgoE3EjNS0_10empty_typeEbEEZZNS1_14partition_implILS8_3ELb0ES6_jNS0_17counting_iteratorIjlEEPS9_SE_NS0_5tupleIJPjSE_EEENSF_IJSE_SE_EEES9_SG_JZNS1_25segmented_radix_sort_implINS0_14default_configELb0EPKfPfPKlPlN2at6native12_GLOBAL__N_18offset_tEEE10hipError_tPvRmT1_PNSt15iterator_traitsISY_E10value_typeET2_T3_PNSZ_IS14_E10value_typeET4_jRbjT5_S1A_jjP12ihipStream_tbEUljE_EEESV_SW_SX_S14_S18_S1A_T6_T7_T9_mT8_S1C_bDpT10_ENKUlT_T0_E_clISt17integral_constantIbLb1EES1O_IbLb0EEEEDaS1K_S1L_EUlS1K_E_NS1_11comp_targetILNS1_3genE10ELNS1_11target_archE1200ELNS1_3gpuE4ELNS1_3repE0EEENS1_30default_config_static_selectorELNS0_4arch9wavefront6targetE0EEEvSY_,@function
_ZN7rocprim17ROCPRIM_400000_NS6detail17trampoline_kernelINS0_13select_configILj256ELj13ELNS0_17block_load_methodE3ELS4_3ELS4_3ELNS0_20block_scan_algorithmE0ELj4294967295EEENS1_25partition_config_selectorILNS1_17partition_subalgoE3EjNS0_10empty_typeEbEEZZNS1_14partition_implILS8_3ELb0ES6_jNS0_17counting_iteratorIjlEEPS9_SE_NS0_5tupleIJPjSE_EEENSF_IJSE_SE_EEES9_SG_JZNS1_25segmented_radix_sort_implINS0_14default_configELb0EPKfPfPKlPlN2at6native12_GLOBAL__N_18offset_tEEE10hipError_tPvRmT1_PNSt15iterator_traitsISY_E10value_typeET2_T3_PNSZ_IS14_E10value_typeET4_jRbjT5_S1A_jjP12ihipStream_tbEUljE_EEESV_SW_SX_S14_S18_S1A_T6_T7_T9_mT8_S1C_bDpT10_ENKUlT_T0_E_clISt17integral_constantIbLb1EES1O_IbLb0EEEEDaS1K_S1L_EUlS1K_E_NS1_11comp_targetILNS1_3genE10ELNS1_11target_archE1200ELNS1_3gpuE4ELNS1_3repE0EEENS1_30default_config_static_selectorELNS0_4arch9wavefront6targetE0EEEvSY_: ; @_ZN7rocprim17ROCPRIM_400000_NS6detail17trampoline_kernelINS0_13select_configILj256ELj13ELNS0_17block_load_methodE3ELS4_3ELS4_3ELNS0_20block_scan_algorithmE0ELj4294967295EEENS1_25partition_config_selectorILNS1_17partition_subalgoE3EjNS0_10empty_typeEbEEZZNS1_14partition_implILS8_3ELb0ES6_jNS0_17counting_iteratorIjlEEPS9_SE_NS0_5tupleIJPjSE_EEENSF_IJSE_SE_EEES9_SG_JZNS1_25segmented_radix_sort_implINS0_14default_configELb0EPKfPfPKlPlN2at6native12_GLOBAL__N_18offset_tEEE10hipError_tPvRmT1_PNSt15iterator_traitsISY_E10value_typeET2_T3_PNSZ_IS14_E10value_typeET4_jRbjT5_S1A_jjP12ihipStream_tbEUljE_EEESV_SW_SX_S14_S18_S1A_T6_T7_T9_mT8_S1C_bDpT10_ENKUlT_T0_E_clISt17integral_constantIbLb1EES1O_IbLb0EEEEDaS1K_S1L_EUlS1K_E_NS1_11comp_targetILNS1_3genE10ELNS1_11target_archE1200ELNS1_3gpuE4ELNS1_3repE0EEENS1_30default_config_static_selectorELNS0_4arch9wavefront6targetE0EEEvSY_
; %bb.0:
	s_endpgm
	.section	.rodata,"a",@progbits
	.p2align	6, 0x0
	.amdhsa_kernel _ZN7rocprim17ROCPRIM_400000_NS6detail17trampoline_kernelINS0_13select_configILj256ELj13ELNS0_17block_load_methodE3ELS4_3ELS4_3ELNS0_20block_scan_algorithmE0ELj4294967295EEENS1_25partition_config_selectorILNS1_17partition_subalgoE3EjNS0_10empty_typeEbEEZZNS1_14partition_implILS8_3ELb0ES6_jNS0_17counting_iteratorIjlEEPS9_SE_NS0_5tupleIJPjSE_EEENSF_IJSE_SE_EEES9_SG_JZNS1_25segmented_radix_sort_implINS0_14default_configELb0EPKfPfPKlPlN2at6native12_GLOBAL__N_18offset_tEEE10hipError_tPvRmT1_PNSt15iterator_traitsISY_E10value_typeET2_T3_PNSZ_IS14_E10value_typeET4_jRbjT5_S1A_jjP12ihipStream_tbEUljE_EEESV_SW_SX_S14_S18_S1A_T6_T7_T9_mT8_S1C_bDpT10_ENKUlT_T0_E_clISt17integral_constantIbLb1EES1O_IbLb0EEEEDaS1K_S1L_EUlS1K_E_NS1_11comp_targetILNS1_3genE10ELNS1_11target_archE1200ELNS1_3gpuE4ELNS1_3repE0EEENS1_30default_config_static_selectorELNS0_4arch9wavefront6targetE0EEEvSY_
		.amdhsa_group_segment_fixed_size 0
		.amdhsa_private_segment_fixed_size 0
		.amdhsa_kernarg_size 144
		.amdhsa_user_sgpr_count 2
		.amdhsa_user_sgpr_dispatch_ptr 0
		.amdhsa_user_sgpr_queue_ptr 0
		.amdhsa_user_sgpr_kernarg_segment_ptr 1
		.amdhsa_user_sgpr_dispatch_id 0
		.amdhsa_user_sgpr_private_segment_size 0
		.amdhsa_wavefront_size32 1
		.amdhsa_uses_dynamic_stack 0
		.amdhsa_enable_private_segment 0
		.amdhsa_system_sgpr_workgroup_id_x 1
		.amdhsa_system_sgpr_workgroup_id_y 0
		.amdhsa_system_sgpr_workgroup_id_z 0
		.amdhsa_system_sgpr_workgroup_info 0
		.amdhsa_system_vgpr_workitem_id 0
		.amdhsa_next_free_vgpr 1
		.amdhsa_next_free_sgpr 1
		.amdhsa_reserve_vcc 0
		.amdhsa_float_round_mode_32 0
		.amdhsa_float_round_mode_16_64 0
		.amdhsa_float_denorm_mode_32 3
		.amdhsa_float_denorm_mode_16_64 3
		.amdhsa_fp16_overflow 0
		.amdhsa_workgroup_processor_mode 1
		.amdhsa_memory_ordered 1
		.amdhsa_forward_progress 1
		.amdhsa_inst_pref_size 1
		.amdhsa_round_robin_scheduling 0
		.amdhsa_exception_fp_ieee_invalid_op 0
		.amdhsa_exception_fp_denorm_src 0
		.amdhsa_exception_fp_ieee_div_zero 0
		.amdhsa_exception_fp_ieee_overflow 0
		.amdhsa_exception_fp_ieee_underflow 0
		.amdhsa_exception_fp_ieee_inexact 0
		.amdhsa_exception_int_div_zero 0
	.end_amdhsa_kernel
	.section	.text._ZN7rocprim17ROCPRIM_400000_NS6detail17trampoline_kernelINS0_13select_configILj256ELj13ELNS0_17block_load_methodE3ELS4_3ELS4_3ELNS0_20block_scan_algorithmE0ELj4294967295EEENS1_25partition_config_selectorILNS1_17partition_subalgoE3EjNS0_10empty_typeEbEEZZNS1_14partition_implILS8_3ELb0ES6_jNS0_17counting_iteratorIjlEEPS9_SE_NS0_5tupleIJPjSE_EEENSF_IJSE_SE_EEES9_SG_JZNS1_25segmented_radix_sort_implINS0_14default_configELb0EPKfPfPKlPlN2at6native12_GLOBAL__N_18offset_tEEE10hipError_tPvRmT1_PNSt15iterator_traitsISY_E10value_typeET2_T3_PNSZ_IS14_E10value_typeET4_jRbjT5_S1A_jjP12ihipStream_tbEUljE_EEESV_SW_SX_S14_S18_S1A_T6_T7_T9_mT8_S1C_bDpT10_ENKUlT_T0_E_clISt17integral_constantIbLb1EES1O_IbLb0EEEEDaS1K_S1L_EUlS1K_E_NS1_11comp_targetILNS1_3genE10ELNS1_11target_archE1200ELNS1_3gpuE4ELNS1_3repE0EEENS1_30default_config_static_selectorELNS0_4arch9wavefront6targetE0EEEvSY_,"axG",@progbits,_ZN7rocprim17ROCPRIM_400000_NS6detail17trampoline_kernelINS0_13select_configILj256ELj13ELNS0_17block_load_methodE3ELS4_3ELS4_3ELNS0_20block_scan_algorithmE0ELj4294967295EEENS1_25partition_config_selectorILNS1_17partition_subalgoE3EjNS0_10empty_typeEbEEZZNS1_14partition_implILS8_3ELb0ES6_jNS0_17counting_iteratorIjlEEPS9_SE_NS0_5tupleIJPjSE_EEENSF_IJSE_SE_EEES9_SG_JZNS1_25segmented_radix_sort_implINS0_14default_configELb0EPKfPfPKlPlN2at6native12_GLOBAL__N_18offset_tEEE10hipError_tPvRmT1_PNSt15iterator_traitsISY_E10value_typeET2_T3_PNSZ_IS14_E10value_typeET4_jRbjT5_S1A_jjP12ihipStream_tbEUljE_EEESV_SW_SX_S14_S18_S1A_T6_T7_T9_mT8_S1C_bDpT10_ENKUlT_T0_E_clISt17integral_constantIbLb1EES1O_IbLb0EEEEDaS1K_S1L_EUlS1K_E_NS1_11comp_targetILNS1_3genE10ELNS1_11target_archE1200ELNS1_3gpuE4ELNS1_3repE0EEENS1_30default_config_static_selectorELNS0_4arch9wavefront6targetE0EEEvSY_,comdat
.Lfunc_end1417:
	.size	_ZN7rocprim17ROCPRIM_400000_NS6detail17trampoline_kernelINS0_13select_configILj256ELj13ELNS0_17block_load_methodE3ELS4_3ELS4_3ELNS0_20block_scan_algorithmE0ELj4294967295EEENS1_25partition_config_selectorILNS1_17partition_subalgoE3EjNS0_10empty_typeEbEEZZNS1_14partition_implILS8_3ELb0ES6_jNS0_17counting_iteratorIjlEEPS9_SE_NS0_5tupleIJPjSE_EEENSF_IJSE_SE_EEES9_SG_JZNS1_25segmented_radix_sort_implINS0_14default_configELb0EPKfPfPKlPlN2at6native12_GLOBAL__N_18offset_tEEE10hipError_tPvRmT1_PNSt15iterator_traitsISY_E10value_typeET2_T3_PNSZ_IS14_E10value_typeET4_jRbjT5_S1A_jjP12ihipStream_tbEUljE_EEESV_SW_SX_S14_S18_S1A_T6_T7_T9_mT8_S1C_bDpT10_ENKUlT_T0_E_clISt17integral_constantIbLb1EES1O_IbLb0EEEEDaS1K_S1L_EUlS1K_E_NS1_11comp_targetILNS1_3genE10ELNS1_11target_archE1200ELNS1_3gpuE4ELNS1_3repE0EEENS1_30default_config_static_selectorELNS0_4arch9wavefront6targetE0EEEvSY_, .Lfunc_end1417-_ZN7rocprim17ROCPRIM_400000_NS6detail17trampoline_kernelINS0_13select_configILj256ELj13ELNS0_17block_load_methodE3ELS4_3ELS4_3ELNS0_20block_scan_algorithmE0ELj4294967295EEENS1_25partition_config_selectorILNS1_17partition_subalgoE3EjNS0_10empty_typeEbEEZZNS1_14partition_implILS8_3ELb0ES6_jNS0_17counting_iteratorIjlEEPS9_SE_NS0_5tupleIJPjSE_EEENSF_IJSE_SE_EEES9_SG_JZNS1_25segmented_radix_sort_implINS0_14default_configELb0EPKfPfPKlPlN2at6native12_GLOBAL__N_18offset_tEEE10hipError_tPvRmT1_PNSt15iterator_traitsISY_E10value_typeET2_T3_PNSZ_IS14_E10value_typeET4_jRbjT5_S1A_jjP12ihipStream_tbEUljE_EEESV_SW_SX_S14_S18_S1A_T6_T7_T9_mT8_S1C_bDpT10_ENKUlT_T0_E_clISt17integral_constantIbLb1EES1O_IbLb0EEEEDaS1K_S1L_EUlS1K_E_NS1_11comp_targetILNS1_3genE10ELNS1_11target_archE1200ELNS1_3gpuE4ELNS1_3repE0EEENS1_30default_config_static_selectorELNS0_4arch9wavefront6targetE0EEEvSY_
                                        ; -- End function
	.set _ZN7rocprim17ROCPRIM_400000_NS6detail17trampoline_kernelINS0_13select_configILj256ELj13ELNS0_17block_load_methodE3ELS4_3ELS4_3ELNS0_20block_scan_algorithmE0ELj4294967295EEENS1_25partition_config_selectorILNS1_17partition_subalgoE3EjNS0_10empty_typeEbEEZZNS1_14partition_implILS8_3ELb0ES6_jNS0_17counting_iteratorIjlEEPS9_SE_NS0_5tupleIJPjSE_EEENSF_IJSE_SE_EEES9_SG_JZNS1_25segmented_radix_sort_implINS0_14default_configELb0EPKfPfPKlPlN2at6native12_GLOBAL__N_18offset_tEEE10hipError_tPvRmT1_PNSt15iterator_traitsISY_E10value_typeET2_T3_PNSZ_IS14_E10value_typeET4_jRbjT5_S1A_jjP12ihipStream_tbEUljE_EEESV_SW_SX_S14_S18_S1A_T6_T7_T9_mT8_S1C_bDpT10_ENKUlT_T0_E_clISt17integral_constantIbLb1EES1O_IbLb0EEEEDaS1K_S1L_EUlS1K_E_NS1_11comp_targetILNS1_3genE10ELNS1_11target_archE1200ELNS1_3gpuE4ELNS1_3repE0EEENS1_30default_config_static_selectorELNS0_4arch9wavefront6targetE0EEEvSY_.num_vgpr, 0
	.set _ZN7rocprim17ROCPRIM_400000_NS6detail17trampoline_kernelINS0_13select_configILj256ELj13ELNS0_17block_load_methodE3ELS4_3ELS4_3ELNS0_20block_scan_algorithmE0ELj4294967295EEENS1_25partition_config_selectorILNS1_17partition_subalgoE3EjNS0_10empty_typeEbEEZZNS1_14partition_implILS8_3ELb0ES6_jNS0_17counting_iteratorIjlEEPS9_SE_NS0_5tupleIJPjSE_EEENSF_IJSE_SE_EEES9_SG_JZNS1_25segmented_radix_sort_implINS0_14default_configELb0EPKfPfPKlPlN2at6native12_GLOBAL__N_18offset_tEEE10hipError_tPvRmT1_PNSt15iterator_traitsISY_E10value_typeET2_T3_PNSZ_IS14_E10value_typeET4_jRbjT5_S1A_jjP12ihipStream_tbEUljE_EEESV_SW_SX_S14_S18_S1A_T6_T7_T9_mT8_S1C_bDpT10_ENKUlT_T0_E_clISt17integral_constantIbLb1EES1O_IbLb0EEEEDaS1K_S1L_EUlS1K_E_NS1_11comp_targetILNS1_3genE10ELNS1_11target_archE1200ELNS1_3gpuE4ELNS1_3repE0EEENS1_30default_config_static_selectorELNS0_4arch9wavefront6targetE0EEEvSY_.num_agpr, 0
	.set _ZN7rocprim17ROCPRIM_400000_NS6detail17trampoline_kernelINS0_13select_configILj256ELj13ELNS0_17block_load_methodE3ELS4_3ELS4_3ELNS0_20block_scan_algorithmE0ELj4294967295EEENS1_25partition_config_selectorILNS1_17partition_subalgoE3EjNS0_10empty_typeEbEEZZNS1_14partition_implILS8_3ELb0ES6_jNS0_17counting_iteratorIjlEEPS9_SE_NS0_5tupleIJPjSE_EEENSF_IJSE_SE_EEES9_SG_JZNS1_25segmented_radix_sort_implINS0_14default_configELb0EPKfPfPKlPlN2at6native12_GLOBAL__N_18offset_tEEE10hipError_tPvRmT1_PNSt15iterator_traitsISY_E10value_typeET2_T3_PNSZ_IS14_E10value_typeET4_jRbjT5_S1A_jjP12ihipStream_tbEUljE_EEESV_SW_SX_S14_S18_S1A_T6_T7_T9_mT8_S1C_bDpT10_ENKUlT_T0_E_clISt17integral_constantIbLb1EES1O_IbLb0EEEEDaS1K_S1L_EUlS1K_E_NS1_11comp_targetILNS1_3genE10ELNS1_11target_archE1200ELNS1_3gpuE4ELNS1_3repE0EEENS1_30default_config_static_selectorELNS0_4arch9wavefront6targetE0EEEvSY_.numbered_sgpr, 0
	.set _ZN7rocprim17ROCPRIM_400000_NS6detail17trampoline_kernelINS0_13select_configILj256ELj13ELNS0_17block_load_methodE3ELS4_3ELS4_3ELNS0_20block_scan_algorithmE0ELj4294967295EEENS1_25partition_config_selectorILNS1_17partition_subalgoE3EjNS0_10empty_typeEbEEZZNS1_14partition_implILS8_3ELb0ES6_jNS0_17counting_iteratorIjlEEPS9_SE_NS0_5tupleIJPjSE_EEENSF_IJSE_SE_EEES9_SG_JZNS1_25segmented_radix_sort_implINS0_14default_configELb0EPKfPfPKlPlN2at6native12_GLOBAL__N_18offset_tEEE10hipError_tPvRmT1_PNSt15iterator_traitsISY_E10value_typeET2_T3_PNSZ_IS14_E10value_typeET4_jRbjT5_S1A_jjP12ihipStream_tbEUljE_EEESV_SW_SX_S14_S18_S1A_T6_T7_T9_mT8_S1C_bDpT10_ENKUlT_T0_E_clISt17integral_constantIbLb1EES1O_IbLb0EEEEDaS1K_S1L_EUlS1K_E_NS1_11comp_targetILNS1_3genE10ELNS1_11target_archE1200ELNS1_3gpuE4ELNS1_3repE0EEENS1_30default_config_static_selectorELNS0_4arch9wavefront6targetE0EEEvSY_.num_named_barrier, 0
	.set _ZN7rocprim17ROCPRIM_400000_NS6detail17trampoline_kernelINS0_13select_configILj256ELj13ELNS0_17block_load_methodE3ELS4_3ELS4_3ELNS0_20block_scan_algorithmE0ELj4294967295EEENS1_25partition_config_selectorILNS1_17partition_subalgoE3EjNS0_10empty_typeEbEEZZNS1_14partition_implILS8_3ELb0ES6_jNS0_17counting_iteratorIjlEEPS9_SE_NS0_5tupleIJPjSE_EEENSF_IJSE_SE_EEES9_SG_JZNS1_25segmented_radix_sort_implINS0_14default_configELb0EPKfPfPKlPlN2at6native12_GLOBAL__N_18offset_tEEE10hipError_tPvRmT1_PNSt15iterator_traitsISY_E10value_typeET2_T3_PNSZ_IS14_E10value_typeET4_jRbjT5_S1A_jjP12ihipStream_tbEUljE_EEESV_SW_SX_S14_S18_S1A_T6_T7_T9_mT8_S1C_bDpT10_ENKUlT_T0_E_clISt17integral_constantIbLb1EES1O_IbLb0EEEEDaS1K_S1L_EUlS1K_E_NS1_11comp_targetILNS1_3genE10ELNS1_11target_archE1200ELNS1_3gpuE4ELNS1_3repE0EEENS1_30default_config_static_selectorELNS0_4arch9wavefront6targetE0EEEvSY_.private_seg_size, 0
	.set _ZN7rocprim17ROCPRIM_400000_NS6detail17trampoline_kernelINS0_13select_configILj256ELj13ELNS0_17block_load_methodE3ELS4_3ELS4_3ELNS0_20block_scan_algorithmE0ELj4294967295EEENS1_25partition_config_selectorILNS1_17partition_subalgoE3EjNS0_10empty_typeEbEEZZNS1_14partition_implILS8_3ELb0ES6_jNS0_17counting_iteratorIjlEEPS9_SE_NS0_5tupleIJPjSE_EEENSF_IJSE_SE_EEES9_SG_JZNS1_25segmented_radix_sort_implINS0_14default_configELb0EPKfPfPKlPlN2at6native12_GLOBAL__N_18offset_tEEE10hipError_tPvRmT1_PNSt15iterator_traitsISY_E10value_typeET2_T3_PNSZ_IS14_E10value_typeET4_jRbjT5_S1A_jjP12ihipStream_tbEUljE_EEESV_SW_SX_S14_S18_S1A_T6_T7_T9_mT8_S1C_bDpT10_ENKUlT_T0_E_clISt17integral_constantIbLb1EES1O_IbLb0EEEEDaS1K_S1L_EUlS1K_E_NS1_11comp_targetILNS1_3genE10ELNS1_11target_archE1200ELNS1_3gpuE4ELNS1_3repE0EEENS1_30default_config_static_selectorELNS0_4arch9wavefront6targetE0EEEvSY_.uses_vcc, 0
	.set _ZN7rocprim17ROCPRIM_400000_NS6detail17trampoline_kernelINS0_13select_configILj256ELj13ELNS0_17block_load_methodE3ELS4_3ELS4_3ELNS0_20block_scan_algorithmE0ELj4294967295EEENS1_25partition_config_selectorILNS1_17partition_subalgoE3EjNS0_10empty_typeEbEEZZNS1_14partition_implILS8_3ELb0ES6_jNS0_17counting_iteratorIjlEEPS9_SE_NS0_5tupleIJPjSE_EEENSF_IJSE_SE_EEES9_SG_JZNS1_25segmented_radix_sort_implINS0_14default_configELb0EPKfPfPKlPlN2at6native12_GLOBAL__N_18offset_tEEE10hipError_tPvRmT1_PNSt15iterator_traitsISY_E10value_typeET2_T3_PNSZ_IS14_E10value_typeET4_jRbjT5_S1A_jjP12ihipStream_tbEUljE_EEESV_SW_SX_S14_S18_S1A_T6_T7_T9_mT8_S1C_bDpT10_ENKUlT_T0_E_clISt17integral_constantIbLb1EES1O_IbLb0EEEEDaS1K_S1L_EUlS1K_E_NS1_11comp_targetILNS1_3genE10ELNS1_11target_archE1200ELNS1_3gpuE4ELNS1_3repE0EEENS1_30default_config_static_selectorELNS0_4arch9wavefront6targetE0EEEvSY_.uses_flat_scratch, 0
	.set _ZN7rocprim17ROCPRIM_400000_NS6detail17trampoline_kernelINS0_13select_configILj256ELj13ELNS0_17block_load_methodE3ELS4_3ELS4_3ELNS0_20block_scan_algorithmE0ELj4294967295EEENS1_25partition_config_selectorILNS1_17partition_subalgoE3EjNS0_10empty_typeEbEEZZNS1_14partition_implILS8_3ELb0ES6_jNS0_17counting_iteratorIjlEEPS9_SE_NS0_5tupleIJPjSE_EEENSF_IJSE_SE_EEES9_SG_JZNS1_25segmented_radix_sort_implINS0_14default_configELb0EPKfPfPKlPlN2at6native12_GLOBAL__N_18offset_tEEE10hipError_tPvRmT1_PNSt15iterator_traitsISY_E10value_typeET2_T3_PNSZ_IS14_E10value_typeET4_jRbjT5_S1A_jjP12ihipStream_tbEUljE_EEESV_SW_SX_S14_S18_S1A_T6_T7_T9_mT8_S1C_bDpT10_ENKUlT_T0_E_clISt17integral_constantIbLb1EES1O_IbLb0EEEEDaS1K_S1L_EUlS1K_E_NS1_11comp_targetILNS1_3genE10ELNS1_11target_archE1200ELNS1_3gpuE4ELNS1_3repE0EEENS1_30default_config_static_selectorELNS0_4arch9wavefront6targetE0EEEvSY_.has_dyn_sized_stack, 0
	.set _ZN7rocprim17ROCPRIM_400000_NS6detail17trampoline_kernelINS0_13select_configILj256ELj13ELNS0_17block_load_methodE3ELS4_3ELS4_3ELNS0_20block_scan_algorithmE0ELj4294967295EEENS1_25partition_config_selectorILNS1_17partition_subalgoE3EjNS0_10empty_typeEbEEZZNS1_14partition_implILS8_3ELb0ES6_jNS0_17counting_iteratorIjlEEPS9_SE_NS0_5tupleIJPjSE_EEENSF_IJSE_SE_EEES9_SG_JZNS1_25segmented_radix_sort_implINS0_14default_configELb0EPKfPfPKlPlN2at6native12_GLOBAL__N_18offset_tEEE10hipError_tPvRmT1_PNSt15iterator_traitsISY_E10value_typeET2_T3_PNSZ_IS14_E10value_typeET4_jRbjT5_S1A_jjP12ihipStream_tbEUljE_EEESV_SW_SX_S14_S18_S1A_T6_T7_T9_mT8_S1C_bDpT10_ENKUlT_T0_E_clISt17integral_constantIbLb1EES1O_IbLb0EEEEDaS1K_S1L_EUlS1K_E_NS1_11comp_targetILNS1_3genE10ELNS1_11target_archE1200ELNS1_3gpuE4ELNS1_3repE0EEENS1_30default_config_static_selectorELNS0_4arch9wavefront6targetE0EEEvSY_.has_recursion, 0
	.set _ZN7rocprim17ROCPRIM_400000_NS6detail17trampoline_kernelINS0_13select_configILj256ELj13ELNS0_17block_load_methodE3ELS4_3ELS4_3ELNS0_20block_scan_algorithmE0ELj4294967295EEENS1_25partition_config_selectorILNS1_17partition_subalgoE3EjNS0_10empty_typeEbEEZZNS1_14partition_implILS8_3ELb0ES6_jNS0_17counting_iteratorIjlEEPS9_SE_NS0_5tupleIJPjSE_EEENSF_IJSE_SE_EEES9_SG_JZNS1_25segmented_radix_sort_implINS0_14default_configELb0EPKfPfPKlPlN2at6native12_GLOBAL__N_18offset_tEEE10hipError_tPvRmT1_PNSt15iterator_traitsISY_E10value_typeET2_T3_PNSZ_IS14_E10value_typeET4_jRbjT5_S1A_jjP12ihipStream_tbEUljE_EEESV_SW_SX_S14_S18_S1A_T6_T7_T9_mT8_S1C_bDpT10_ENKUlT_T0_E_clISt17integral_constantIbLb1EES1O_IbLb0EEEEDaS1K_S1L_EUlS1K_E_NS1_11comp_targetILNS1_3genE10ELNS1_11target_archE1200ELNS1_3gpuE4ELNS1_3repE0EEENS1_30default_config_static_selectorELNS0_4arch9wavefront6targetE0EEEvSY_.has_indirect_call, 0
	.section	.AMDGPU.csdata,"",@progbits
; Kernel info:
; codeLenInByte = 4
; TotalNumSgprs: 0
; NumVgprs: 0
; ScratchSize: 0
; MemoryBound: 0
; FloatMode: 240
; IeeeMode: 1
; LDSByteSize: 0 bytes/workgroup (compile time only)
; SGPRBlocks: 0
; VGPRBlocks: 0
; NumSGPRsForWavesPerEU: 1
; NumVGPRsForWavesPerEU: 1
; Occupancy: 16
; WaveLimiterHint : 0
; COMPUTE_PGM_RSRC2:SCRATCH_EN: 0
; COMPUTE_PGM_RSRC2:USER_SGPR: 2
; COMPUTE_PGM_RSRC2:TRAP_HANDLER: 0
; COMPUTE_PGM_RSRC2:TGID_X_EN: 1
; COMPUTE_PGM_RSRC2:TGID_Y_EN: 0
; COMPUTE_PGM_RSRC2:TGID_Z_EN: 0
; COMPUTE_PGM_RSRC2:TIDIG_COMP_CNT: 0
	.section	.text._ZN7rocprim17ROCPRIM_400000_NS6detail17trampoline_kernelINS0_13select_configILj256ELj13ELNS0_17block_load_methodE3ELS4_3ELS4_3ELNS0_20block_scan_algorithmE0ELj4294967295EEENS1_25partition_config_selectorILNS1_17partition_subalgoE3EjNS0_10empty_typeEbEEZZNS1_14partition_implILS8_3ELb0ES6_jNS0_17counting_iteratorIjlEEPS9_SE_NS0_5tupleIJPjSE_EEENSF_IJSE_SE_EEES9_SG_JZNS1_25segmented_radix_sort_implINS0_14default_configELb0EPKfPfPKlPlN2at6native12_GLOBAL__N_18offset_tEEE10hipError_tPvRmT1_PNSt15iterator_traitsISY_E10value_typeET2_T3_PNSZ_IS14_E10value_typeET4_jRbjT5_S1A_jjP12ihipStream_tbEUljE_EEESV_SW_SX_S14_S18_S1A_T6_T7_T9_mT8_S1C_bDpT10_ENKUlT_T0_E_clISt17integral_constantIbLb1EES1O_IbLb0EEEEDaS1K_S1L_EUlS1K_E_NS1_11comp_targetILNS1_3genE9ELNS1_11target_archE1100ELNS1_3gpuE3ELNS1_3repE0EEENS1_30default_config_static_selectorELNS0_4arch9wavefront6targetE0EEEvSY_,"axG",@progbits,_ZN7rocprim17ROCPRIM_400000_NS6detail17trampoline_kernelINS0_13select_configILj256ELj13ELNS0_17block_load_methodE3ELS4_3ELS4_3ELNS0_20block_scan_algorithmE0ELj4294967295EEENS1_25partition_config_selectorILNS1_17partition_subalgoE3EjNS0_10empty_typeEbEEZZNS1_14partition_implILS8_3ELb0ES6_jNS0_17counting_iteratorIjlEEPS9_SE_NS0_5tupleIJPjSE_EEENSF_IJSE_SE_EEES9_SG_JZNS1_25segmented_radix_sort_implINS0_14default_configELb0EPKfPfPKlPlN2at6native12_GLOBAL__N_18offset_tEEE10hipError_tPvRmT1_PNSt15iterator_traitsISY_E10value_typeET2_T3_PNSZ_IS14_E10value_typeET4_jRbjT5_S1A_jjP12ihipStream_tbEUljE_EEESV_SW_SX_S14_S18_S1A_T6_T7_T9_mT8_S1C_bDpT10_ENKUlT_T0_E_clISt17integral_constantIbLb1EES1O_IbLb0EEEEDaS1K_S1L_EUlS1K_E_NS1_11comp_targetILNS1_3genE9ELNS1_11target_archE1100ELNS1_3gpuE3ELNS1_3repE0EEENS1_30default_config_static_selectorELNS0_4arch9wavefront6targetE0EEEvSY_,comdat
	.globl	_ZN7rocprim17ROCPRIM_400000_NS6detail17trampoline_kernelINS0_13select_configILj256ELj13ELNS0_17block_load_methodE3ELS4_3ELS4_3ELNS0_20block_scan_algorithmE0ELj4294967295EEENS1_25partition_config_selectorILNS1_17partition_subalgoE3EjNS0_10empty_typeEbEEZZNS1_14partition_implILS8_3ELb0ES6_jNS0_17counting_iteratorIjlEEPS9_SE_NS0_5tupleIJPjSE_EEENSF_IJSE_SE_EEES9_SG_JZNS1_25segmented_radix_sort_implINS0_14default_configELb0EPKfPfPKlPlN2at6native12_GLOBAL__N_18offset_tEEE10hipError_tPvRmT1_PNSt15iterator_traitsISY_E10value_typeET2_T3_PNSZ_IS14_E10value_typeET4_jRbjT5_S1A_jjP12ihipStream_tbEUljE_EEESV_SW_SX_S14_S18_S1A_T6_T7_T9_mT8_S1C_bDpT10_ENKUlT_T0_E_clISt17integral_constantIbLb1EES1O_IbLb0EEEEDaS1K_S1L_EUlS1K_E_NS1_11comp_targetILNS1_3genE9ELNS1_11target_archE1100ELNS1_3gpuE3ELNS1_3repE0EEENS1_30default_config_static_selectorELNS0_4arch9wavefront6targetE0EEEvSY_ ; -- Begin function _ZN7rocprim17ROCPRIM_400000_NS6detail17trampoline_kernelINS0_13select_configILj256ELj13ELNS0_17block_load_methodE3ELS4_3ELS4_3ELNS0_20block_scan_algorithmE0ELj4294967295EEENS1_25partition_config_selectorILNS1_17partition_subalgoE3EjNS0_10empty_typeEbEEZZNS1_14partition_implILS8_3ELb0ES6_jNS0_17counting_iteratorIjlEEPS9_SE_NS0_5tupleIJPjSE_EEENSF_IJSE_SE_EEES9_SG_JZNS1_25segmented_radix_sort_implINS0_14default_configELb0EPKfPfPKlPlN2at6native12_GLOBAL__N_18offset_tEEE10hipError_tPvRmT1_PNSt15iterator_traitsISY_E10value_typeET2_T3_PNSZ_IS14_E10value_typeET4_jRbjT5_S1A_jjP12ihipStream_tbEUljE_EEESV_SW_SX_S14_S18_S1A_T6_T7_T9_mT8_S1C_bDpT10_ENKUlT_T0_E_clISt17integral_constantIbLb1EES1O_IbLb0EEEEDaS1K_S1L_EUlS1K_E_NS1_11comp_targetILNS1_3genE9ELNS1_11target_archE1100ELNS1_3gpuE3ELNS1_3repE0EEENS1_30default_config_static_selectorELNS0_4arch9wavefront6targetE0EEEvSY_
	.p2align	8
	.type	_ZN7rocprim17ROCPRIM_400000_NS6detail17trampoline_kernelINS0_13select_configILj256ELj13ELNS0_17block_load_methodE3ELS4_3ELS4_3ELNS0_20block_scan_algorithmE0ELj4294967295EEENS1_25partition_config_selectorILNS1_17partition_subalgoE3EjNS0_10empty_typeEbEEZZNS1_14partition_implILS8_3ELb0ES6_jNS0_17counting_iteratorIjlEEPS9_SE_NS0_5tupleIJPjSE_EEENSF_IJSE_SE_EEES9_SG_JZNS1_25segmented_radix_sort_implINS0_14default_configELb0EPKfPfPKlPlN2at6native12_GLOBAL__N_18offset_tEEE10hipError_tPvRmT1_PNSt15iterator_traitsISY_E10value_typeET2_T3_PNSZ_IS14_E10value_typeET4_jRbjT5_S1A_jjP12ihipStream_tbEUljE_EEESV_SW_SX_S14_S18_S1A_T6_T7_T9_mT8_S1C_bDpT10_ENKUlT_T0_E_clISt17integral_constantIbLb1EES1O_IbLb0EEEEDaS1K_S1L_EUlS1K_E_NS1_11comp_targetILNS1_3genE9ELNS1_11target_archE1100ELNS1_3gpuE3ELNS1_3repE0EEENS1_30default_config_static_selectorELNS0_4arch9wavefront6targetE0EEEvSY_,@function
_ZN7rocprim17ROCPRIM_400000_NS6detail17trampoline_kernelINS0_13select_configILj256ELj13ELNS0_17block_load_methodE3ELS4_3ELS4_3ELNS0_20block_scan_algorithmE0ELj4294967295EEENS1_25partition_config_selectorILNS1_17partition_subalgoE3EjNS0_10empty_typeEbEEZZNS1_14partition_implILS8_3ELb0ES6_jNS0_17counting_iteratorIjlEEPS9_SE_NS0_5tupleIJPjSE_EEENSF_IJSE_SE_EEES9_SG_JZNS1_25segmented_radix_sort_implINS0_14default_configELb0EPKfPfPKlPlN2at6native12_GLOBAL__N_18offset_tEEE10hipError_tPvRmT1_PNSt15iterator_traitsISY_E10value_typeET2_T3_PNSZ_IS14_E10value_typeET4_jRbjT5_S1A_jjP12ihipStream_tbEUljE_EEESV_SW_SX_S14_S18_S1A_T6_T7_T9_mT8_S1C_bDpT10_ENKUlT_T0_E_clISt17integral_constantIbLb1EES1O_IbLb0EEEEDaS1K_S1L_EUlS1K_E_NS1_11comp_targetILNS1_3genE9ELNS1_11target_archE1100ELNS1_3gpuE3ELNS1_3repE0EEENS1_30default_config_static_selectorELNS0_4arch9wavefront6targetE0EEEvSY_: ; @_ZN7rocprim17ROCPRIM_400000_NS6detail17trampoline_kernelINS0_13select_configILj256ELj13ELNS0_17block_load_methodE3ELS4_3ELS4_3ELNS0_20block_scan_algorithmE0ELj4294967295EEENS1_25partition_config_selectorILNS1_17partition_subalgoE3EjNS0_10empty_typeEbEEZZNS1_14partition_implILS8_3ELb0ES6_jNS0_17counting_iteratorIjlEEPS9_SE_NS0_5tupleIJPjSE_EEENSF_IJSE_SE_EEES9_SG_JZNS1_25segmented_radix_sort_implINS0_14default_configELb0EPKfPfPKlPlN2at6native12_GLOBAL__N_18offset_tEEE10hipError_tPvRmT1_PNSt15iterator_traitsISY_E10value_typeET2_T3_PNSZ_IS14_E10value_typeET4_jRbjT5_S1A_jjP12ihipStream_tbEUljE_EEESV_SW_SX_S14_S18_S1A_T6_T7_T9_mT8_S1C_bDpT10_ENKUlT_T0_E_clISt17integral_constantIbLb1EES1O_IbLb0EEEEDaS1K_S1L_EUlS1K_E_NS1_11comp_targetILNS1_3genE9ELNS1_11target_archE1100ELNS1_3gpuE3ELNS1_3repE0EEENS1_30default_config_static_selectorELNS0_4arch9wavefront6targetE0EEEvSY_
; %bb.0:
	.section	.rodata,"a",@progbits
	.p2align	6, 0x0
	.amdhsa_kernel _ZN7rocprim17ROCPRIM_400000_NS6detail17trampoline_kernelINS0_13select_configILj256ELj13ELNS0_17block_load_methodE3ELS4_3ELS4_3ELNS0_20block_scan_algorithmE0ELj4294967295EEENS1_25partition_config_selectorILNS1_17partition_subalgoE3EjNS0_10empty_typeEbEEZZNS1_14partition_implILS8_3ELb0ES6_jNS0_17counting_iteratorIjlEEPS9_SE_NS0_5tupleIJPjSE_EEENSF_IJSE_SE_EEES9_SG_JZNS1_25segmented_radix_sort_implINS0_14default_configELb0EPKfPfPKlPlN2at6native12_GLOBAL__N_18offset_tEEE10hipError_tPvRmT1_PNSt15iterator_traitsISY_E10value_typeET2_T3_PNSZ_IS14_E10value_typeET4_jRbjT5_S1A_jjP12ihipStream_tbEUljE_EEESV_SW_SX_S14_S18_S1A_T6_T7_T9_mT8_S1C_bDpT10_ENKUlT_T0_E_clISt17integral_constantIbLb1EES1O_IbLb0EEEEDaS1K_S1L_EUlS1K_E_NS1_11comp_targetILNS1_3genE9ELNS1_11target_archE1100ELNS1_3gpuE3ELNS1_3repE0EEENS1_30default_config_static_selectorELNS0_4arch9wavefront6targetE0EEEvSY_
		.amdhsa_group_segment_fixed_size 0
		.amdhsa_private_segment_fixed_size 0
		.amdhsa_kernarg_size 144
		.amdhsa_user_sgpr_count 2
		.amdhsa_user_sgpr_dispatch_ptr 0
		.amdhsa_user_sgpr_queue_ptr 0
		.amdhsa_user_sgpr_kernarg_segment_ptr 1
		.amdhsa_user_sgpr_dispatch_id 0
		.amdhsa_user_sgpr_private_segment_size 0
		.amdhsa_wavefront_size32 1
		.amdhsa_uses_dynamic_stack 0
		.amdhsa_enable_private_segment 0
		.amdhsa_system_sgpr_workgroup_id_x 1
		.amdhsa_system_sgpr_workgroup_id_y 0
		.amdhsa_system_sgpr_workgroup_id_z 0
		.amdhsa_system_sgpr_workgroup_info 0
		.amdhsa_system_vgpr_workitem_id 0
		.amdhsa_next_free_vgpr 1
		.amdhsa_next_free_sgpr 1
		.amdhsa_reserve_vcc 0
		.amdhsa_float_round_mode_32 0
		.amdhsa_float_round_mode_16_64 0
		.amdhsa_float_denorm_mode_32 3
		.amdhsa_float_denorm_mode_16_64 3
		.amdhsa_fp16_overflow 0
		.amdhsa_workgroup_processor_mode 1
		.amdhsa_memory_ordered 1
		.amdhsa_forward_progress 1
		.amdhsa_inst_pref_size 0
		.amdhsa_round_robin_scheduling 0
		.amdhsa_exception_fp_ieee_invalid_op 0
		.amdhsa_exception_fp_denorm_src 0
		.amdhsa_exception_fp_ieee_div_zero 0
		.amdhsa_exception_fp_ieee_overflow 0
		.amdhsa_exception_fp_ieee_underflow 0
		.amdhsa_exception_fp_ieee_inexact 0
		.amdhsa_exception_int_div_zero 0
	.end_amdhsa_kernel
	.section	.text._ZN7rocprim17ROCPRIM_400000_NS6detail17trampoline_kernelINS0_13select_configILj256ELj13ELNS0_17block_load_methodE3ELS4_3ELS4_3ELNS0_20block_scan_algorithmE0ELj4294967295EEENS1_25partition_config_selectorILNS1_17partition_subalgoE3EjNS0_10empty_typeEbEEZZNS1_14partition_implILS8_3ELb0ES6_jNS0_17counting_iteratorIjlEEPS9_SE_NS0_5tupleIJPjSE_EEENSF_IJSE_SE_EEES9_SG_JZNS1_25segmented_radix_sort_implINS0_14default_configELb0EPKfPfPKlPlN2at6native12_GLOBAL__N_18offset_tEEE10hipError_tPvRmT1_PNSt15iterator_traitsISY_E10value_typeET2_T3_PNSZ_IS14_E10value_typeET4_jRbjT5_S1A_jjP12ihipStream_tbEUljE_EEESV_SW_SX_S14_S18_S1A_T6_T7_T9_mT8_S1C_bDpT10_ENKUlT_T0_E_clISt17integral_constantIbLb1EES1O_IbLb0EEEEDaS1K_S1L_EUlS1K_E_NS1_11comp_targetILNS1_3genE9ELNS1_11target_archE1100ELNS1_3gpuE3ELNS1_3repE0EEENS1_30default_config_static_selectorELNS0_4arch9wavefront6targetE0EEEvSY_,"axG",@progbits,_ZN7rocprim17ROCPRIM_400000_NS6detail17trampoline_kernelINS0_13select_configILj256ELj13ELNS0_17block_load_methodE3ELS4_3ELS4_3ELNS0_20block_scan_algorithmE0ELj4294967295EEENS1_25partition_config_selectorILNS1_17partition_subalgoE3EjNS0_10empty_typeEbEEZZNS1_14partition_implILS8_3ELb0ES6_jNS0_17counting_iteratorIjlEEPS9_SE_NS0_5tupleIJPjSE_EEENSF_IJSE_SE_EEES9_SG_JZNS1_25segmented_radix_sort_implINS0_14default_configELb0EPKfPfPKlPlN2at6native12_GLOBAL__N_18offset_tEEE10hipError_tPvRmT1_PNSt15iterator_traitsISY_E10value_typeET2_T3_PNSZ_IS14_E10value_typeET4_jRbjT5_S1A_jjP12ihipStream_tbEUljE_EEESV_SW_SX_S14_S18_S1A_T6_T7_T9_mT8_S1C_bDpT10_ENKUlT_T0_E_clISt17integral_constantIbLb1EES1O_IbLb0EEEEDaS1K_S1L_EUlS1K_E_NS1_11comp_targetILNS1_3genE9ELNS1_11target_archE1100ELNS1_3gpuE3ELNS1_3repE0EEENS1_30default_config_static_selectorELNS0_4arch9wavefront6targetE0EEEvSY_,comdat
.Lfunc_end1418:
	.size	_ZN7rocprim17ROCPRIM_400000_NS6detail17trampoline_kernelINS0_13select_configILj256ELj13ELNS0_17block_load_methodE3ELS4_3ELS4_3ELNS0_20block_scan_algorithmE0ELj4294967295EEENS1_25partition_config_selectorILNS1_17partition_subalgoE3EjNS0_10empty_typeEbEEZZNS1_14partition_implILS8_3ELb0ES6_jNS0_17counting_iteratorIjlEEPS9_SE_NS0_5tupleIJPjSE_EEENSF_IJSE_SE_EEES9_SG_JZNS1_25segmented_radix_sort_implINS0_14default_configELb0EPKfPfPKlPlN2at6native12_GLOBAL__N_18offset_tEEE10hipError_tPvRmT1_PNSt15iterator_traitsISY_E10value_typeET2_T3_PNSZ_IS14_E10value_typeET4_jRbjT5_S1A_jjP12ihipStream_tbEUljE_EEESV_SW_SX_S14_S18_S1A_T6_T7_T9_mT8_S1C_bDpT10_ENKUlT_T0_E_clISt17integral_constantIbLb1EES1O_IbLb0EEEEDaS1K_S1L_EUlS1K_E_NS1_11comp_targetILNS1_3genE9ELNS1_11target_archE1100ELNS1_3gpuE3ELNS1_3repE0EEENS1_30default_config_static_selectorELNS0_4arch9wavefront6targetE0EEEvSY_, .Lfunc_end1418-_ZN7rocprim17ROCPRIM_400000_NS6detail17trampoline_kernelINS0_13select_configILj256ELj13ELNS0_17block_load_methodE3ELS4_3ELS4_3ELNS0_20block_scan_algorithmE0ELj4294967295EEENS1_25partition_config_selectorILNS1_17partition_subalgoE3EjNS0_10empty_typeEbEEZZNS1_14partition_implILS8_3ELb0ES6_jNS0_17counting_iteratorIjlEEPS9_SE_NS0_5tupleIJPjSE_EEENSF_IJSE_SE_EEES9_SG_JZNS1_25segmented_radix_sort_implINS0_14default_configELb0EPKfPfPKlPlN2at6native12_GLOBAL__N_18offset_tEEE10hipError_tPvRmT1_PNSt15iterator_traitsISY_E10value_typeET2_T3_PNSZ_IS14_E10value_typeET4_jRbjT5_S1A_jjP12ihipStream_tbEUljE_EEESV_SW_SX_S14_S18_S1A_T6_T7_T9_mT8_S1C_bDpT10_ENKUlT_T0_E_clISt17integral_constantIbLb1EES1O_IbLb0EEEEDaS1K_S1L_EUlS1K_E_NS1_11comp_targetILNS1_3genE9ELNS1_11target_archE1100ELNS1_3gpuE3ELNS1_3repE0EEENS1_30default_config_static_selectorELNS0_4arch9wavefront6targetE0EEEvSY_
                                        ; -- End function
	.set _ZN7rocprim17ROCPRIM_400000_NS6detail17trampoline_kernelINS0_13select_configILj256ELj13ELNS0_17block_load_methodE3ELS4_3ELS4_3ELNS0_20block_scan_algorithmE0ELj4294967295EEENS1_25partition_config_selectorILNS1_17partition_subalgoE3EjNS0_10empty_typeEbEEZZNS1_14partition_implILS8_3ELb0ES6_jNS0_17counting_iteratorIjlEEPS9_SE_NS0_5tupleIJPjSE_EEENSF_IJSE_SE_EEES9_SG_JZNS1_25segmented_radix_sort_implINS0_14default_configELb0EPKfPfPKlPlN2at6native12_GLOBAL__N_18offset_tEEE10hipError_tPvRmT1_PNSt15iterator_traitsISY_E10value_typeET2_T3_PNSZ_IS14_E10value_typeET4_jRbjT5_S1A_jjP12ihipStream_tbEUljE_EEESV_SW_SX_S14_S18_S1A_T6_T7_T9_mT8_S1C_bDpT10_ENKUlT_T0_E_clISt17integral_constantIbLb1EES1O_IbLb0EEEEDaS1K_S1L_EUlS1K_E_NS1_11comp_targetILNS1_3genE9ELNS1_11target_archE1100ELNS1_3gpuE3ELNS1_3repE0EEENS1_30default_config_static_selectorELNS0_4arch9wavefront6targetE0EEEvSY_.num_vgpr, 0
	.set _ZN7rocprim17ROCPRIM_400000_NS6detail17trampoline_kernelINS0_13select_configILj256ELj13ELNS0_17block_load_methodE3ELS4_3ELS4_3ELNS0_20block_scan_algorithmE0ELj4294967295EEENS1_25partition_config_selectorILNS1_17partition_subalgoE3EjNS0_10empty_typeEbEEZZNS1_14partition_implILS8_3ELb0ES6_jNS0_17counting_iteratorIjlEEPS9_SE_NS0_5tupleIJPjSE_EEENSF_IJSE_SE_EEES9_SG_JZNS1_25segmented_radix_sort_implINS0_14default_configELb0EPKfPfPKlPlN2at6native12_GLOBAL__N_18offset_tEEE10hipError_tPvRmT1_PNSt15iterator_traitsISY_E10value_typeET2_T3_PNSZ_IS14_E10value_typeET4_jRbjT5_S1A_jjP12ihipStream_tbEUljE_EEESV_SW_SX_S14_S18_S1A_T6_T7_T9_mT8_S1C_bDpT10_ENKUlT_T0_E_clISt17integral_constantIbLb1EES1O_IbLb0EEEEDaS1K_S1L_EUlS1K_E_NS1_11comp_targetILNS1_3genE9ELNS1_11target_archE1100ELNS1_3gpuE3ELNS1_3repE0EEENS1_30default_config_static_selectorELNS0_4arch9wavefront6targetE0EEEvSY_.num_agpr, 0
	.set _ZN7rocprim17ROCPRIM_400000_NS6detail17trampoline_kernelINS0_13select_configILj256ELj13ELNS0_17block_load_methodE3ELS4_3ELS4_3ELNS0_20block_scan_algorithmE0ELj4294967295EEENS1_25partition_config_selectorILNS1_17partition_subalgoE3EjNS0_10empty_typeEbEEZZNS1_14partition_implILS8_3ELb0ES6_jNS0_17counting_iteratorIjlEEPS9_SE_NS0_5tupleIJPjSE_EEENSF_IJSE_SE_EEES9_SG_JZNS1_25segmented_radix_sort_implINS0_14default_configELb0EPKfPfPKlPlN2at6native12_GLOBAL__N_18offset_tEEE10hipError_tPvRmT1_PNSt15iterator_traitsISY_E10value_typeET2_T3_PNSZ_IS14_E10value_typeET4_jRbjT5_S1A_jjP12ihipStream_tbEUljE_EEESV_SW_SX_S14_S18_S1A_T6_T7_T9_mT8_S1C_bDpT10_ENKUlT_T0_E_clISt17integral_constantIbLb1EES1O_IbLb0EEEEDaS1K_S1L_EUlS1K_E_NS1_11comp_targetILNS1_3genE9ELNS1_11target_archE1100ELNS1_3gpuE3ELNS1_3repE0EEENS1_30default_config_static_selectorELNS0_4arch9wavefront6targetE0EEEvSY_.numbered_sgpr, 0
	.set _ZN7rocprim17ROCPRIM_400000_NS6detail17trampoline_kernelINS0_13select_configILj256ELj13ELNS0_17block_load_methodE3ELS4_3ELS4_3ELNS0_20block_scan_algorithmE0ELj4294967295EEENS1_25partition_config_selectorILNS1_17partition_subalgoE3EjNS0_10empty_typeEbEEZZNS1_14partition_implILS8_3ELb0ES6_jNS0_17counting_iteratorIjlEEPS9_SE_NS0_5tupleIJPjSE_EEENSF_IJSE_SE_EEES9_SG_JZNS1_25segmented_radix_sort_implINS0_14default_configELb0EPKfPfPKlPlN2at6native12_GLOBAL__N_18offset_tEEE10hipError_tPvRmT1_PNSt15iterator_traitsISY_E10value_typeET2_T3_PNSZ_IS14_E10value_typeET4_jRbjT5_S1A_jjP12ihipStream_tbEUljE_EEESV_SW_SX_S14_S18_S1A_T6_T7_T9_mT8_S1C_bDpT10_ENKUlT_T0_E_clISt17integral_constantIbLb1EES1O_IbLb0EEEEDaS1K_S1L_EUlS1K_E_NS1_11comp_targetILNS1_3genE9ELNS1_11target_archE1100ELNS1_3gpuE3ELNS1_3repE0EEENS1_30default_config_static_selectorELNS0_4arch9wavefront6targetE0EEEvSY_.num_named_barrier, 0
	.set _ZN7rocprim17ROCPRIM_400000_NS6detail17trampoline_kernelINS0_13select_configILj256ELj13ELNS0_17block_load_methodE3ELS4_3ELS4_3ELNS0_20block_scan_algorithmE0ELj4294967295EEENS1_25partition_config_selectorILNS1_17partition_subalgoE3EjNS0_10empty_typeEbEEZZNS1_14partition_implILS8_3ELb0ES6_jNS0_17counting_iteratorIjlEEPS9_SE_NS0_5tupleIJPjSE_EEENSF_IJSE_SE_EEES9_SG_JZNS1_25segmented_radix_sort_implINS0_14default_configELb0EPKfPfPKlPlN2at6native12_GLOBAL__N_18offset_tEEE10hipError_tPvRmT1_PNSt15iterator_traitsISY_E10value_typeET2_T3_PNSZ_IS14_E10value_typeET4_jRbjT5_S1A_jjP12ihipStream_tbEUljE_EEESV_SW_SX_S14_S18_S1A_T6_T7_T9_mT8_S1C_bDpT10_ENKUlT_T0_E_clISt17integral_constantIbLb1EES1O_IbLb0EEEEDaS1K_S1L_EUlS1K_E_NS1_11comp_targetILNS1_3genE9ELNS1_11target_archE1100ELNS1_3gpuE3ELNS1_3repE0EEENS1_30default_config_static_selectorELNS0_4arch9wavefront6targetE0EEEvSY_.private_seg_size, 0
	.set _ZN7rocprim17ROCPRIM_400000_NS6detail17trampoline_kernelINS0_13select_configILj256ELj13ELNS0_17block_load_methodE3ELS4_3ELS4_3ELNS0_20block_scan_algorithmE0ELj4294967295EEENS1_25partition_config_selectorILNS1_17partition_subalgoE3EjNS0_10empty_typeEbEEZZNS1_14partition_implILS8_3ELb0ES6_jNS0_17counting_iteratorIjlEEPS9_SE_NS0_5tupleIJPjSE_EEENSF_IJSE_SE_EEES9_SG_JZNS1_25segmented_radix_sort_implINS0_14default_configELb0EPKfPfPKlPlN2at6native12_GLOBAL__N_18offset_tEEE10hipError_tPvRmT1_PNSt15iterator_traitsISY_E10value_typeET2_T3_PNSZ_IS14_E10value_typeET4_jRbjT5_S1A_jjP12ihipStream_tbEUljE_EEESV_SW_SX_S14_S18_S1A_T6_T7_T9_mT8_S1C_bDpT10_ENKUlT_T0_E_clISt17integral_constantIbLb1EES1O_IbLb0EEEEDaS1K_S1L_EUlS1K_E_NS1_11comp_targetILNS1_3genE9ELNS1_11target_archE1100ELNS1_3gpuE3ELNS1_3repE0EEENS1_30default_config_static_selectorELNS0_4arch9wavefront6targetE0EEEvSY_.uses_vcc, 0
	.set _ZN7rocprim17ROCPRIM_400000_NS6detail17trampoline_kernelINS0_13select_configILj256ELj13ELNS0_17block_load_methodE3ELS4_3ELS4_3ELNS0_20block_scan_algorithmE0ELj4294967295EEENS1_25partition_config_selectorILNS1_17partition_subalgoE3EjNS0_10empty_typeEbEEZZNS1_14partition_implILS8_3ELb0ES6_jNS0_17counting_iteratorIjlEEPS9_SE_NS0_5tupleIJPjSE_EEENSF_IJSE_SE_EEES9_SG_JZNS1_25segmented_radix_sort_implINS0_14default_configELb0EPKfPfPKlPlN2at6native12_GLOBAL__N_18offset_tEEE10hipError_tPvRmT1_PNSt15iterator_traitsISY_E10value_typeET2_T3_PNSZ_IS14_E10value_typeET4_jRbjT5_S1A_jjP12ihipStream_tbEUljE_EEESV_SW_SX_S14_S18_S1A_T6_T7_T9_mT8_S1C_bDpT10_ENKUlT_T0_E_clISt17integral_constantIbLb1EES1O_IbLb0EEEEDaS1K_S1L_EUlS1K_E_NS1_11comp_targetILNS1_3genE9ELNS1_11target_archE1100ELNS1_3gpuE3ELNS1_3repE0EEENS1_30default_config_static_selectorELNS0_4arch9wavefront6targetE0EEEvSY_.uses_flat_scratch, 0
	.set _ZN7rocprim17ROCPRIM_400000_NS6detail17trampoline_kernelINS0_13select_configILj256ELj13ELNS0_17block_load_methodE3ELS4_3ELS4_3ELNS0_20block_scan_algorithmE0ELj4294967295EEENS1_25partition_config_selectorILNS1_17partition_subalgoE3EjNS0_10empty_typeEbEEZZNS1_14partition_implILS8_3ELb0ES6_jNS0_17counting_iteratorIjlEEPS9_SE_NS0_5tupleIJPjSE_EEENSF_IJSE_SE_EEES9_SG_JZNS1_25segmented_radix_sort_implINS0_14default_configELb0EPKfPfPKlPlN2at6native12_GLOBAL__N_18offset_tEEE10hipError_tPvRmT1_PNSt15iterator_traitsISY_E10value_typeET2_T3_PNSZ_IS14_E10value_typeET4_jRbjT5_S1A_jjP12ihipStream_tbEUljE_EEESV_SW_SX_S14_S18_S1A_T6_T7_T9_mT8_S1C_bDpT10_ENKUlT_T0_E_clISt17integral_constantIbLb1EES1O_IbLb0EEEEDaS1K_S1L_EUlS1K_E_NS1_11comp_targetILNS1_3genE9ELNS1_11target_archE1100ELNS1_3gpuE3ELNS1_3repE0EEENS1_30default_config_static_selectorELNS0_4arch9wavefront6targetE0EEEvSY_.has_dyn_sized_stack, 0
	.set _ZN7rocprim17ROCPRIM_400000_NS6detail17trampoline_kernelINS0_13select_configILj256ELj13ELNS0_17block_load_methodE3ELS4_3ELS4_3ELNS0_20block_scan_algorithmE0ELj4294967295EEENS1_25partition_config_selectorILNS1_17partition_subalgoE3EjNS0_10empty_typeEbEEZZNS1_14partition_implILS8_3ELb0ES6_jNS0_17counting_iteratorIjlEEPS9_SE_NS0_5tupleIJPjSE_EEENSF_IJSE_SE_EEES9_SG_JZNS1_25segmented_radix_sort_implINS0_14default_configELb0EPKfPfPKlPlN2at6native12_GLOBAL__N_18offset_tEEE10hipError_tPvRmT1_PNSt15iterator_traitsISY_E10value_typeET2_T3_PNSZ_IS14_E10value_typeET4_jRbjT5_S1A_jjP12ihipStream_tbEUljE_EEESV_SW_SX_S14_S18_S1A_T6_T7_T9_mT8_S1C_bDpT10_ENKUlT_T0_E_clISt17integral_constantIbLb1EES1O_IbLb0EEEEDaS1K_S1L_EUlS1K_E_NS1_11comp_targetILNS1_3genE9ELNS1_11target_archE1100ELNS1_3gpuE3ELNS1_3repE0EEENS1_30default_config_static_selectorELNS0_4arch9wavefront6targetE0EEEvSY_.has_recursion, 0
	.set _ZN7rocprim17ROCPRIM_400000_NS6detail17trampoline_kernelINS0_13select_configILj256ELj13ELNS0_17block_load_methodE3ELS4_3ELS4_3ELNS0_20block_scan_algorithmE0ELj4294967295EEENS1_25partition_config_selectorILNS1_17partition_subalgoE3EjNS0_10empty_typeEbEEZZNS1_14partition_implILS8_3ELb0ES6_jNS0_17counting_iteratorIjlEEPS9_SE_NS0_5tupleIJPjSE_EEENSF_IJSE_SE_EEES9_SG_JZNS1_25segmented_radix_sort_implINS0_14default_configELb0EPKfPfPKlPlN2at6native12_GLOBAL__N_18offset_tEEE10hipError_tPvRmT1_PNSt15iterator_traitsISY_E10value_typeET2_T3_PNSZ_IS14_E10value_typeET4_jRbjT5_S1A_jjP12ihipStream_tbEUljE_EEESV_SW_SX_S14_S18_S1A_T6_T7_T9_mT8_S1C_bDpT10_ENKUlT_T0_E_clISt17integral_constantIbLb1EES1O_IbLb0EEEEDaS1K_S1L_EUlS1K_E_NS1_11comp_targetILNS1_3genE9ELNS1_11target_archE1100ELNS1_3gpuE3ELNS1_3repE0EEENS1_30default_config_static_selectorELNS0_4arch9wavefront6targetE0EEEvSY_.has_indirect_call, 0
	.section	.AMDGPU.csdata,"",@progbits
; Kernel info:
; codeLenInByte = 0
; TotalNumSgprs: 0
; NumVgprs: 0
; ScratchSize: 0
; MemoryBound: 0
; FloatMode: 240
; IeeeMode: 1
; LDSByteSize: 0 bytes/workgroup (compile time only)
; SGPRBlocks: 0
; VGPRBlocks: 0
; NumSGPRsForWavesPerEU: 1
; NumVGPRsForWavesPerEU: 1
; Occupancy: 16
; WaveLimiterHint : 0
; COMPUTE_PGM_RSRC2:SCRATCH_EN: 0
; COMPUTE_PGM_RSRC2:USER_SGPR: 2
; COMPUTE_PGM_RSRC2:TRAP_HANDLER: 0
; COMPUTE_PGM_RSRC2:TGID_X_EN: 1
; COMPUTE_PGM_RSRC2:TGID_Y_EN: 0
; COMPUTE_PGM_RSRC2:TGID_Z_EN: 0
; COMPUTE_PGM_RSRC2:TIDIG_COMP_CNT: 0
	.section	.text._ZN7rocprim17ROCPRIM_400000_NS6detail17trampoline_kernelINS0_13select_configILj256ELj13ELNS0_17block_load_methodE3ELS4_3ELS4_3ELNS0_20block_scan_algorithmE0ELj4294967295EEENS1_25partition_config_selectorILNS1_17partition_subalgoE3EjNS0_10empty_typeEbEEZZNS1_14partition_implILS8_3ELb0ES6_jNS0_17counting_iteratorIjlEEPS9_SE_NS0_5tupleIJPjSE_EEENSF_IJSE_SE_EEES9_SG_JZNS1_25segmented_radix_sort_implINS0_14default_configELb0EPKfPfPKlPlN2at6native12_GLOBAL__N_18offset_tEEE10hipError_tPvRmT1_PNSt15iterator_traitsISY_E10value_typeET2_T3_PNSZ_IS14_E10value_typeET4_jRbjT5_S1A_jjP12ihipStream_tbEUljE_EEESV_SW_SX_S14_S18_S1A_T6_T7_T9_mT8_S1C_bDpT10_ENKUlT_T0_E_clISt17integral_constantIbLb1EES1O_IbLb0EEEEDaS1K_S1L_EUlS1K_E_NS1_11comp_targetILNS1_3genE8ELNS1_11target_archE1030ELNS1_3gpuE2ELNS1_3repE0EEENS1_30default_config_static_selectorELNS0_4arch9wavefront6targetE0EEEvSY_,"axG",@progbits,_ZN7rocprim17ROCPRIM_400000_NS6detail17trampoline_kernelINS0_13select_configILj256ELj13ELNS0_17block_load_methodE3ELS4_3ELS4_3ELNS0_20block_scan_algorithmE0ELj4294967295EEENS1_25partition_config_selectorILNS1_17partition_subalgoE3EjNS0_10empty_typeEbEEZZNS1_14partition_implILS8_3ELb0ES6_jNS0_17counting_iteratorIjlEEPS9_SE_NS0_5tupleIJPjSE_EEENSF_IJSE_SE_EEES9_SG_JZNS1_25segmented_radix_sort_implINS0_14default_configELb0EPKfPfPKlPlN2at6native12_GLOBAL__N_18offset_tEEE10hipError_tPvRmT1_PNSt15iterator_traitsISY_E10value_typeET2_T3_PNSZ_IS14_E10value_typeET4_jRbjT5_S1A_jjP12ihipStream_tbEUljE_EEESV_SW_SX_S14_S18_S1A_T6_T7_T9_mT8_S1C_bDpT10_ENKUlT_T0_E_clISt17integral_constantIbLb1EES1O_IbLb0EEEEDaS1K_S1L_EUlS1K_E_NS1_11comp_targetILNS1_3genE8ELNS1_11target_archE1030ELNS1_3gpuE2ELNS1_3repE0EEENS1_30default_config_static_selectorELNS0_4arch9wavefront6targetE0EEEvSY_,comdat
	.globl	_ZN7rocprim17ROCPRIM_400000_NS6detail17trampoline_kernelINS0_13select_configILj256ELj13ELNS0_17block_load_methodE3ELS4_3ELS4_3ELNS0_20block_scan_algorithmE0ELj4294967295EEENS1_25partition_config_selectorILNS1_17partition_subalgoE3EjNS0_10empty_typeEbEEZZNS1_14partition_implILS8_3ELb0ES6_jNS0_17counting_iteratorIjlEEPS9_SE_NS0_5tupleIJPjSE_EEENSF_IJSE_SE_EEES9_SG_JZNS1_25segmented_radix_sort_implINS0_14default_configELb0EPKfPfPKlPlN2at6native12_GLOBAL__N_18offset_tEEE10hipError_tPvRmT1_PNSt15iterator_traitsISY_E10value_typeET2_T3_PNSZ_IS14_E10value_typeET4_jRbjT5_S1A_jjP12ihipStream_tbEUljE_EEESV_SW_SX_S14_S18_S1A_T6_T7_T9_mT8_S1C_bDpT10_ENKUlT_T0_E_clISt17integral_constantIbLb1EES1O_IbLb0EEEEDaS1K_S1L_EUlS1K_E_NS1_11comp_targetILNS1_3genE8ELNS1_11target_archE1030ELNS1_3gpuE2ELNS1_3repE0EEENS1_30default_config_static_selectorELNS0_4arch9wavefront6targetE0EEEvSY_ ; -- Begin function _ZN7rocprim17ROCPRIM_400000_NS6detail17trampoline_kernelINS0_13select_configILj256ELj13ELNS0_17block_load_methodE3ELS4_3ELS4_3ELNS0_20block_scan_algorithmE0ELj4294967295EEENS1_25partition_config_selectorILNS1_17partition_subalgoE3EjNS0_10empty_typeEbEEZZNS1_14partition_implILS8_3ELb0ES6_jNS0_17counting_iteratorIjlEEPS9_SE_NS0_5tupleIJPjSE_EEENSF_IJSE_SE_EEES9_SG_JZNS1_25segmented_radix_sort_implINS0_14default_configELb0EPKfPfPKlPlN2at6native12_GLOBAL__N_18offset_tEEE10hipError_tPvRmT1_PNSt15iterator_traitsISY_E10value_typeET2_T3_PNSZ_IS14_E10value_typeET4_jRbjT5_S1A_jjP12ihipStream_tbEUljE_EEESV_SW_SX_S14_S18_S1A_T6_T7_T9_mT8_S1C_bDpT10_ENKUlT_T0_E_clISt17integral_constantIbLb1EES1O_IbLb0EEEEDaS1K_S1L_EUlS1K_E_NS1_11comp_targetILNS1_3genE8ELNS1_11target_archE1030ELNS1_3gpuE2ELNS1_3repE0EEENS1_30default_config_static_selectorELNS0_4arch9wavefront6targetE0EEEvSY_
	.p2align	8
	.type	_ZN7rocprim17ROCPRIM_400000_NS6detail17trampoline_kernelINS0_13select_configILj256ELj13ELNS0_17block_load_methodE3ELS4_3ELS4_3ELNS0_20block_scan_algorithmE0ELj4294967295EEENS1_25partition_config_selectorILNS1_17partition_subalgoE3EjNS0_10empty_typeEbEEZZNS1_14partition_implILS8_3ELb0ES6_jNS0_17counting_iteratorIjlEEPS9_SE_NS0_5tupleIJPjSE_EEENSF_IJSE_SE_EEES9_SG_JZNS1_25segmented_radix_sort_implINS0_14default_configELb0EPKfPfPKlPlN2at6native12_GLOBAL__N_18offset_tEEE10hipError_tPvRmT1_PNSt15iterator_traitsISY_E10value_typeET2_T3_PNSZ_IS14_E10value_typeET4_jRbjT5_S1A_jjP12ihipStream_tbEUljE_EEESV_SW_SX_S14_S18_S1A_T6_T7_T9_mT8_S1C_bDpT10_ENKUlT_T0_E_clISt17integral_constantIbLb1EES1O_IbLb0EEEEDaS1K_S1L_EUlS1K_E_NS1_11comp_targetILNS1_3genE8ELNS1_11target_archE1030ELNS1_3gpuE2ELNS1_3repE0EEENS1_30default_config_static_selectorELNS0_4arch9wavefront6targetE0EEEvSY_,@function
_ZN7rocprim17ROCPRIM_400000_NS6detail17trampoline_kernelINS0_13select_configILj256ELj13ELNS0_17block_load_methodE3ELS4_3ELS4_3ELNS0_20block_scan_algorithmE0ELj4294967295EEENS1_25partition_config_selectorILNS1_17partition_subalgoE3EjNS0_10empty_typeEbEEZZNS1_14partition_implILS8_3ELb0ES6_jNS0_17counting_iteratorIjlEEPS9_SE_NS0_5tupleIJPjSE_EEENSF_IJSE_SE_EEES9_SG_JZNS1_25segmented_radix_sort_implINS0_14default_configELb0EPKfPfPKlPlN2at6native12_GLOBAL__N_18offset_tEEE10hipError_tPvRmT1_PNSt15iterator_traitsISY_E10value_typeET2_T3_PNSZ_IS14_E10value_typeET4_jRbjT5_S1A_jjP12ihipStream_tbEUljE_EEESV_SW_SX_S14_S18_S1A_T6_T7_T9_mT8_S1C_bDpT10_ENKUlT_T0_E_clISt17integral_constantIbLb1EES1O_IbLb0EEEEDaS1K_S1L_EUlS1K_E_NS1_11comp_targetILNS1_3genE8ELNS1_11target_archE1030ELNS1_3gpuE2ELNS1_3repE0EEENS1_30default_config_static_selectorELNS0_4arch9wavefront6targetE0EEEvSY_: ; @_ZN7rocprim17ROCPRIM_400000_NS6detail17trampoline_kernelINS0_13select_configILj256ELj13ELNS0_17block_load_methodE3ELS4_3ELS4_3ELNS0_20block_scan_algorithmE0ELj4294967295EEENS1_25partition_config_selectorILNS1_17partition_subalgoE3EjNS0_10empty_typeEbEEZZNS1_14partition_implILS8_3ELb0ES6_jNS0_17counting_iteratorIjlEEPS9_SE_NS0_5tupleIJPjSE_EEENSF_IJSE_SE_EEES9_SG_JZNS1_25segmented_radix_sort_implINS0_14default_configELb0EPKfPfPKlPlN2at6native12_GLOBAL__N_18offset_tEEE10hipError_tPvRmT1_PNSt15iterator_traitsISY_E10value_typeET2_T3_PNSZ_IS14_E10value_typeET4_jRbjT5_S1A_jjP12ihipStream_tbEUljE_EEESV_SW_SX_S14_S18_S1A_T6_T7_T9_mT8_S1C_bDpT10_ENKUlT_T0_E_clISt17integral_constantIbLb1EES1O_IbLb0EEEEDaS1K_S1L_EUlS1K_E_NS1_11comp_targetILNS1_3genE8ELNS1_11target_archE1030ELNS1_3gpuE2ELNS1_3repE0EEENS1_30default_config_static_selectorELNS0_4arch9wavefront6targetE0EEEvSY_
; %bb.0:
	.section	.rodata,"a",@progbits
	.p2align	6, 0x0
	.amdhsa_kernel _ZN7rocprim17ROCPRIM_400000_NS6detail17trampoline_kernelINS0_13select_configILj256ELj13ELNS0_17block_load_methodE3ELS4_3ELS4_3ELNS0_20block_scan_algorithmE0ELj4294967295EEENS1_25partition_config_selectorILNS1_17partition_subalgoE3EjNS0_10empty_typeEbEEZZNS1_14partition_implILS8_3ELb0ES6_jNS0_17counting_iteratorIjlEEPS9_SE_NS0_5tupleIJPjSE_EEENSF_IJSE_SE_EEES9_SG_JZNS1_25segmented_radix_sort_implINS0_14default_configELb0EPKfPfPKlPlN2at6native12_GLOBAL__N_18offset_tEEE10hipError_tPvRmT1_PNSt15iterator_traitsISY_E10value_typeET2_T3_PNSZ_IS14_E10value_typeET4_jRbjT5_S1A_jjP12ihipStream_tbEUljE_EEESV_SW_SX_S14_S18_S1A_T6_T7_T9_mT8_S1C_bDpT10_ENKUlT_T0_E_clISt17integral_constantIbLb1EES1O_IbLb0EEEEDaS1K_S1L_EUlS1K_E_NS1_11comp_targetILNS1_3genE8ELNS1_11target_archE1030ELNS1_3gpuE2ELNS1_3repE0EEENS1_30default_config_static_selectorELNS0_4arch9wavefront6targetE0EEEvSY_
		.amdhsa_group_segment_fixed_size 0
		.amdhsa_private_segment_fixed_size 0
		.amdhsa_kernarg_size 144
		.amdhsa_user_sgpr_count 2
		.amdhsa_user_sgpr_dispatch_ptr 0
		.amdhsa_user_sgpr_queue_ptr 0
		.amdhsa_user_sgpr_kernarg_segment_ptr 1
		.amdhsa_user_sgpr_dispatch_id 0
		.amdhsa_user_sgpr_private_segment_size 0
		.amdhsa_wavefront_size32 1
		.amdhsa_uses_dynamic_stack 0
		.amdhsa_enable_private_segment 0
		.amdhsa_system_sgpr_workgroup_id_x 1
		.amdhsa_system_sgpr_workgroup_id_y 0
		.amdhsa_system_sgpr_workgroup_id_z 0
		.amdhsa_system_sgpr_workgroup_info 0
		.amdhsa_system_vgpr_workitem_id 0
		.amdhsa_next_free_vgpr 1
		.amdhsa_next_free_sgpr 1
		.amdhsa_reserve_vcc 0
		.amdhsa_float_round_mode_32 0
		.amdhsa_float_round_mode_16_64 0
		.amdhsa_float_denorm_mode_32 3
		.amdhsa_float_denorm_mode_16_64 3
		.amdhsa_fp16_overflow 0
		.amdhsa_workgroup_processor_mode 1
		.amdhsa_memory_ordered 1
		.amdhsa_forward_progress 1
		.amdhsa_inst_pref_size 0
		.amdhsa_round_robin_scheduling 0
		.amdhsa_exception_fp_ieee_invalid_op 0
		.amdhsa_exception_fp_denorm_src 0
		.amdhsa_exception_fp_ieee_div_zero 0
		.amdhsa_exception_fp_ieee_overflow 0
		.amdhsa_exception_fp_ieee_underflow 0
		.amdhsa_exception_fp_ieee_inexact 0
		.amdhsa_exception_int_div_zero 0
	.end_amdhsa_kernel
	.section	.text._ZN7rocprim17ROCPRIM_400000_NS6detail17trampoline_kernelINS0_13select_configILj256ELj13ELNS0_17block_load_methodE3ELS4_3ELS4_3ELNS0_20block_scan_algorithmE0ELj4294967295EEENS1_25partition_config_selectorILNS1_17partition_subalgoE3EjNS0_10empty_typeEbEEZZNS1_14partition_implILS8_3ELb0ES6_jNS0_17counting_iteratorIjlEEPS9_SE_NS0_5tupleIJPjSE_EEENSF_IJSE_SE_EEES9_SG_JZNS1_25segmented_radix_sort_implINS0_14default_configELb0EPKfPfPKlPlN2at6native12_GLOBAL__N_18offset_tEEE10hipError_tPvRmT1_PNSt15iterator_traitsISY_E10value_typeET2_T3_PNSZ_IS14_E10value_typeET4_jRbjT5_S1A_jjP12ihipStream_tbEUljE_EEESV_SW_SX_S14_S18_S1A_T6_T7_T9_mT8_S1C_bDpT10_ENKUlT_T0_E_clISt17integral_constantIbLb1EES1O_IbLb0EEEEDaS1K_S1L_EUlS1K_E_NS1_11comp_targetILNS1_3genE8ELNS1_11target_archE1030ELNS1_3gpuE2ELNS1_3repE0EEENS1_30default_config_static_selectorELNS0_4arch9wavefront6targetE0EEEvSY_,"axG",@progbits,_ZN7rocprim17ROCPRIM_400000_NS6detail17trampoline_kernelINS0_13select_configILj256ELj13ELNS0_17block_load_methodE3ELS4_3ELS4_3ELNS0_20block_scan_algorithmE0ELj4294967295EEENS1_25partition_config_selectorILNS1_17partition_subalgoE3EjNS0_10empty_typeEbEEZZNS1_14partition_implILS8_3ELb0ES6_jNS0_17counting_iteratorIjlEEPS9_SE_NS0_5tupleIJPjSE_EEENSF_IJSE_SE_EEES9_SG_JZNS1_25segmented_radix_sort_implINS0_14default_configELb0EPKfPfPKlPlN2at6native12_GLOBAL__N_18offset_tEEE10hipError_tPvRmT1_PNSt15iterator_traitsISY_E10value_typeET2_T3_PNSZ_IS14_E10value_typeET4_jRbjT5_S1A_jjP12ihipStream_tbEUljE_EEESV_SW_SX_S14_S18_S1A_T6_T7_T9_mT8_S1C_bDpT10_ENKUlT_T0_E_clISt17integral_constantIbLb1EES1O_IbLb0EEEEDaS1K_S1L_EUlS1K_E_NS1_11comp_targetILNS1_3genE8ELNS1_11target_archE1030ELNS1_3gpuE2ELNS1_3repE0EEENS1_30default_config_static_selectorELNS0_4arch9wavefront6targetE0EEEvSY_,comdat
.Lfunc_end1419:
	.size	_ZN7rocprim17ROCPRIM_400000_NS6detail17trampoline_kernelINS0_13select_configILj256ELj13ELNS0_17block_load_methodE3ELS4_3ELS4_3ELNS0_20block_scan_algorithmE0ELj4294967295EEENS1_25partition_config_selectorILNS1_17partition_subalgoE3EjNS0_10empty_typeEbEEZZNS1_14partition_implILS8_3ELb0ES6_jNS0_17counting_iteratorIjlEEPS9_SE_NS0_5tupleIJPjSE_EEENSF_IJSE_SE_EEES9_SG_JZNS1_25segmented_radix_sort_implINS0_14default_configELb0EPKfPfPKlPlN2at6native12_GLOBAL__N_18offset_tEEE10hipError_tPvRmT1_PNSt15iterator_traitsISY_E10value_typeET2_T3_PNSZ_IS14_E10value_typeET4_jRbjT5_S1A_jjP12ihipStream_tbEUljE_EEESV_SW_SX_S14_S18_S1A_T6_T7_T9_mT8_S1C_bDpT10_ENKUlT_T0_E_clISt17integral_constantIbLb1EES1O_IbLb0EEEEDaS1K_S1L_EUlS1K_E_NS1_11comp_targetILNS1_3genE8ELNS1_11target_archE1030ELNS1_3gpuE2ELNS1_3repE0EEENS1_30default_config_static_selectorELNS0_4arch9wavefront6targetE0EEEvSY_, .Lfunc_end1419-_ZN7rocprim17ROCPRIM_400000_NS6detail17trampoline_kernelINS0_13select_configILj256ELj13ELNS0_17block_load_methodE3ELS4_3ELS4_3ELNS0_20block_scan_algorithmE0ELj4294967295EEENS1_25partition_config_selectorILNS1_17partition_subalgoE3EjNS0_10empty_typeEbEEZZNS1_14partition_implILS8_3ELb0ES6_jNS0_17counting_iteratorIjlEEPS9_SE_NS0_5tupleIJPjSE_EEENSF_IJSE_SE_EEES9_SG_JZNS1_25segmented_radix_sort_implINS0_14default_configELb0EPKfPfPKlPlN2at6native12_GLOBAL__N_18offset_tEEE10hipError_tPvRmT1_PNSt15iterator_traitsISY_E10value_typeET2_T3_PNSZ_IS14_E10value_typeET4_jRbjT5_S1A_jjP12ihipStream_tbEUljE_EEESV_SW_SX_S14_S18_S1A_T6_T7_T9_mT8_S1C_bDpT10_ENKUlT_T0_E_clISt17integral_constantIbLb1EES1O_IbLb0EEEEDaS1K_S1L_EUlS1K_E_NS1_11comp_targetILNS1_3genE8ELNS1_11target_archE1030ELNS1_3gpuE2ELNS1_3repE0EEENS1_30default_config_static_selectorELNS0_4arch9wavefront6targetE0EEEvSY_
                                        ; -- End function
	.set _ZN7rocprim17ROCPRIM_400000_NS6detail17trampoline_kernelINS0_13select_configILj256ELj13ELNS0_17block_load_methodE3ELS4_3ELS4_3ELNS0_20block_scan_algorithmE0ELj4294967295EEENS1_25partition_config_selectorILNS1_17partition_subalgoE3EjNS0_10empty_typeEbEEZZNS1_14partition_implILS8_3ELb0ES6_jNS0_17counting_iteratorIjlEEPS9_SE_NS0_5tupleIJPjSE_EEENSF_IJSE_SE_EEES9_SG_JZNS1_25segmented_radix_sort_implINS0_14default_configELb0EPKfPfPKlPlN2at6native12_GLOBAL__N_18offset_tEEE10hipError_tPvRmT1_PNSt15iterator_traitsISY_E10value_typeET2_T3_PNSZ_IS14_E10value_typeET4_jRbjT5_S1A_jjP12ihipStream_tbEUljE_EEESV_SW_SX_S14_S18_S1A_T6_T7_T9_mT8_S1C_bDpT10_ENKUlT_T0_E_clISt17integral_constantIbLb1EES1O_IbLb0EEEEDaS1K_S1L_EUlS1K_E_NS1_11comp_targetILNS1_3genE8ELNS1_11target_archE1030ELNS1_3gpuE2ELNS1_3repE0EEENS1_30default_config_static_selectorELNS0_4arch9wavefront6targetE0EEEvSY_.num_vgpr, 0
	.set _ZN7rocprim17ROCPRIM_400000_NS6detail17trampoline_kernelINS0_13select_configILj256ELj13ELNS0_17block_load_methodE3ELS4_3ELS4_3ELNS0_20block_scan_algorithmE0ELj4294967295EEENS1_25partition_config_selectorILNS1_17partition_subalgoE3EjNS0_10empty_typeEbEEZZNS1_14partition_implILS8_3ELb0ES6_jNS0_17counting_iteratorIjlEEPS9_SE_NS0_5tupleIJPjSE_EEENSF_IJSE_SE_EEES9_SG_JZNS1_25segmented_radix_sort_implINS0_14default_configELb0EPKfPfPKlPlN2at6native12_GLOBAL__N_18offset_tEEE10hipError_tPvRmT1_PNSt15iterator_traitsISY_E10value_typeET2_T3_PNSZ_IS14_E10value_typeET4_jRbjT5_S1A_jjP12ihipStream_tbEUljE_EEESV_SW_SX_S14_S18_S1A_T6_T7_T9_mT8_S1C_bDpT10_ENKUlT_T0_E_clISt17integral_constantIbLb1EES1O_IbLb0EEEEDaS1K_S1L_EUlS1K_E_NS1_11comp_targetILNS1_3genE8ELNS1_11target_archE1030ELNS1_3gpuE2ELNS1_3repE0EEENS1_30default_config_static_selectorELNS0_4arch9wavefront6targetE0EEEvSY_.num_agpr, 0
	.set _ZN7rocprim17ROCPRIM_400000_NS6detail17trampoline_kernelINS0_13select_configILj256ELj13ELNS0_17block_load_methodE3ELS4_3ELS4_3ELNS0_20block_scan_algorithmE0ELj4294967295EEENS1_25partition_config_selectorILNS1_17partition_subalgoE3EjNS0_10empty_typeEbEEZZNS1_14partition_implILS8_3ELb0ES6_jNS0_17counting_iteratorIjlEEPS9_SE_NS0_5tupleIJPjSE_EEENSF_IJSE_SE_EEES9_SG_JZNS1_25segmented_radix_sort_implINS0_14default_configELb0EPKfPfPKlPlN2at6native12_GLOBAL__N_18offset_tEEE10hipError_tPvRmT1_PNSt15iterator_traitsISY_E10value_typeET2_T3_PNSZ_IS14_E10value_typeET4_jRbjT5_S1A_jjP12ihipStream_tbEUljE_EEESV_SW_SX_S14_S18_S1A_T6_T7_T9_mT8_S1C_bDpT10_ENKUlT_T0_E_clISt17integral_constantIbLb1EES1O_IbLb0EEEEDaS1K_S1L_EUlS1K_E_NS1_11comp_targetILNS1_3genE8ELNS1_11target_archE1030ELNS1_3gpuE2ELNS1_3repE0EEENS1_30default_config_static_selectorELNS0_4arch9wavefront6targetE0EEEvSY_.numbered_sgpr, 0
	.set _ZN7rocprim17ROCPRIM_400000_NS6detail17trampoline_kernelINS0_13select_configILj256ELj13ELNS0_17block_load_methodE3ELS4_3ELS4_3ELNS0_20block_scan_algorithmE0ELj4294967295EEENS1_25partition_config_selectorILNS1_17partition_subalgoE3EjNS0_10empty_typeEbEEZZNS1_14partition_implILS8_3ELb0ES6_jNS0_17counting_iteratorIjlEEPS9_SE_NS0_5tupleIJPjSE_EEENSF_IJSE_SE_EEES9_SG_JZNS1_25segmented_radix_sort_implINS0_14default_configELb0EPKfPfPKlPlN2at6native12_GLOBAL__N_18offset_tEEE10hipError_tPvRmT1_PNSt15iterator_traitsISY_E10value_typeET2_T3_PNSZ_IS14_E10value_typeET4_jRbjT5_S1A_jjP12ihipStream_tbEUljE_EEESV_SW_SX_S14_S18_S1A_T6_T7_T9_mT8_S1C_bDpT10_ENKUlT_T0_E_clISt17integral_constantIbLb1EES1O_IbLb0EEEEDaS1K_S1L_EUlS1K_E_NS1_11comp_targetILNS1_3genE8ELNS1_11target_archE1030ELNS1_3gpuE2ELNS1_3repE0EEENS1_30default_config_static_selectorELNS0_4arch9wavefront6targetE0EEEvSY_.num_named_barrier, 0
	.set _ZN7rocprim17ROCPRIM_400000_NS6detail17trampoline_kernelINS0_13select_configILj256ELj13ELNS0_17block_load_methodE3ELS4_3ELS4_3ELNS0_20block_scan_algorithmE0ELj4294967295EEENS1_25partition_config_selectorILNS1_17partition_subalgoE3EjNS0_10empty_typeEbEEZZNS1_14partition_implILS8_3ELb0ES6_jNS0_17counting_iteratorIjlEEPS9_SE_NS0_5tupleIJPjSE_EEENSF_IJSE_SE_EEES9_SG_JZNS1_25segmented_radix_sort_implINS0_14default_configELb0EPKfPfPKlPlN2at6native12_GLOBAL__N_18offset_tEEE10hipError_tPvRmT1_PNSt15iterator_traitsISY_E10value_typeET2_T3_PNSZ_IS14_E10value_typeET4_jRbjT5_S1A_jjP12ihipStream_tbEUljE_EEESV_SW_SX_S14_S18_S1A_T6_T7_T9_mT8_S1C_bDpT10_ENKUlT_T0_E_clISt17integral_constantIbLb1EES1O_IbLb0EEEEDaS1K_S1L_EUlS1K_E_NS1_11comp_targetILNS1_3genE8ELNS1_11target_archE1030ELNS1_3gpuE2ELNS1_3repE0EEENS1_30default_config_static_selectorELNS0_4arch9wavefront6targetE0EEEvSY_.private_seg_size, 0
	.set _ZN7rocprim17ROCPRIM_400000_NS6detail17trampoline_kernelINS0_13select_configILj256ELj13ELNS0_17block_load_methodE3ELS4_3ELS4_3ELNS0_20block_scan_algorithmE0ELj4294967295EEENS1_25partition_config_selectorILNS1_17partition_subalgoE3EjNS0_10empty_typeEbEEZZNS1_14partition_implILS8_3ELb0ES6_jNS0_17counting_iteratorIjlEEPS9_SE_NS0_5tupleIJPjSE_EEENSF_IJSE_SE_EEES9_SG_JZNS1_25segmented_radix_sort_implINS0_14default_configELb0EPKfPfPKlPlN2at6native12_GLOBAL__N_18offset_tEEE10hipError_tPvRmT1_PNSt15iterator_traitsISY_E10value_typeET2_T3_PNSZ_IS14_E10value_typeET4_jRbjT5_S1A_jjP12ihipStream_tbEUljE_EEESV_SW_SX_S14_S18_S1A_T6_T7_T9_mT8_S1C_bDpT10_ENKUlT_T0_E_clISt17integral_constantIbLb1EES1O_IbLb0EEEEDaS1K_S1L_EUlS1K_E_NS1_11comp_targetILNS1_3genE8ELNS1_11target_archE1030ELNS1_3gpuE2ELNS1_3repE0EEENS1_30default_config_static_selectorELNS0_4arch9wavefront6targetE0EEEvSY_.uses_vcc, 0
	.set _ZN7rocprim17ROCPRIM_400000_NS6detail17trampoline_kernelINS0_13select_configILj256ELj13ELNS0_17block_load_methodE3ELS4_3ELS4_3ELNS0_20block_scan_algorithmE0ELj4294967295EEENS1_25partition_config_selectorILNS1_17partition_subalgoE3EjNS0_10empty_typeEbEEZZNS1_14partition_implILS8_3ELb0ES6_jNS0_17counting_iteratorIjlEEPS9_SE_NS0_5tupleIJPjSE_EEENSF_IJSE_SE_EEES9_SG_JZNS1_25segmented_radix_sort_implINS0_14default_configELb0EPKfPfPKlPlN2at6native12_GLOBAL__N_18offset_tEEE10hipError_tPvRmT1_PNSt15iterator_traitsISY_E10value_typeET2_T3_PNSZ_IS14_E10value_typeET4_jRbjT5_S1A_jjP12ihipStream_tbEUljE_EEESV_SW_SX_S14_S18_S1A_T6_T7_T9_mT8_S1C_bDpT10_ENKUlT_T0_E_clISt17integral_constantIbLb1EES1O_IbLb0EEEEDaS1K_S1L_EUlS1K_E_NS1_11comp_targetILNS1_3genE8ELNS1_11target_archE1030ELNS1_3gpuE2ELNS1_3repE0EEENS1_30default_config_static_selectorELNS0_4arch9wavefront6targetE0EEEvSY_.uses_flat_scratch, 0
	.set _ZN7rocprim17ROCPRIM_400000_NS6detail17trampoline_kernelINS0_13select_configILj256ELj13ELNS0_17block_load_methodE3ELS4_3ELS4_3ELNS0_20block_scan_algorithmE0ELj4294967295EEENS1_25partition_config_selectorILNS1_17partition_subalgoE3EjNS0_10empty_typeEbEEZZNS1_14partition_implILS8_3ELb0ES6_jNS0_17counting_iteratorIjlEEPS9_SE_NS0_5tupleIJPjSE_EEENSF_IJSE_SE_EEES9_SG_JZNS1_25segmented_radix_sort_implINS0_14default_configELb0EPKfPfPKlPlN2at6native12_GLOBAL__N_18offset_tEEE10hipError_tPvRmT1_PNSt15iterator_traitsISY_E10value_typeET2_T3_PNSZ_IS14_E10value_typeET4_jRbjT5_S1A_jjP12ihipStream_tbEUljE_EEESV_SW_SX_S14_S18_S1A_T6_T7_T9_mT8_S1C_bDpT10_ENKUlT_T0_E_clISt17integral_constantIbLb1EES1O_IbLb0EEEEDaS1K_S1L_EUlS1K_E_NS1_11comp_targetILNS1_3genE8ELNS1_11target_archE1030ELNS1_3gpuE2ELNS1_3repE0EEENS1_30default_config_static_selectorELNS0_4arch9wavefront6targetE0EEEvSY_.has_dyn_sized_stack, 0
	.set _ZN7rocprim17ROCPRIM_400000_NS6detail17trampoline_kernelINS0_13select_configILj256ELj13ELNS0_17block_load_methodE3ELS4_3ELS4_3ELNS0_20block_scan_algorithmE0ELj4294967295EEENS1_25partition_config_selectorILNS1_17partition_subalgoE3EjNS0_10empty_typeEbEEZZNS1_14partition_implILS8_3ELb0ES6_jNS0_17counting_iteratorIjlEEPS9_SE_NS0_5tupleIJPjSE_EEENSF_IJSE_SE_EEES9_SG_JZNS1_25segmented_radix_sort_implINS0_14default_configELb0EPKfPfPKlPlN2at6native12_GLOBAL__N_18offset_tEEE10hipError_tPvRmT1_PNSt15iterator_traitsISY_E10value_typeET2_T3_PNSZ_IS14_E10value_typeET4_jRbjT5_S1A_jjP12ihipStream_tbEUljE_EEESV_SW_SX_S14_S18_S1A_T6_T7_T9_mT8_S1C_bDpT10_ENKUlT_T0_E_clISt17integral_constantIbLb1EES1O_IbLb0EEEEDaS1K_S1L_EUlS1K_E_NS1_11comp_targetILNS1_3genE8ELNS1_11target_archE1030ELNS1_3gpuE2ELNS1_3repE0EEENS1_30default_config_static_selectorELNS0_4arch9wavefront6targetE0EEEvSY_.has_recursion, 0
	.set _ZN7rocprim17ROCPRIM_400000_NS6detail17trampoline_kernelINS0_13select_configILj256ELj13ELNS0_17block_load_methodE3ELS4_3ELS4_3ELNS0_20block_scan_algorithmE0ELj4294967295EEENS1_25partition_config_selectorILNS1_17partition_subalgoE3EjNS0_10empty_typeEbEEZZNS1_14partition_implILS8_3ELb0ES6_jNS0_17counting_iteratorIjlEEPS9_SE_NS0_5tupleIJPjSE_EEENSF_IJSE_SE_EEES9_SG_JZNS1_25segmented_radix_sort_implINS0_14default_configELb0EPKfPfPKlPlN2at6native12_GLOBAL__N_18offset_tEEE10hipError_tPvRmT1_PNSt15iterator_traitsISY_E10value_typeET2_T3_PNSZ_IS14_E10value_typeET4_jRbjT5_S1A_jjP12ihipStream_tbEUljE_EEESV_SW_SX_S14_S18_S1A_T6_T7_T9_mT8_S1C_bDpT10_ENKUlT_T0_E_clISt17integral_constantIbLb1EES1O_IbLb0EEEEDaS1K_S1L_EUlS1K_E_NS1_11comp_targetILNS1_3genE8ELNS1_11target_archE1030ELNS1_3gpuE2ELNS1_3repE0EEENS1_30default_config_static_selectorELNS0_4arch9wavefront6targetE0EEEvSY_.has_indirect_call, 0
	.section	.AMDGPU.csdata,"",@progbits
; Kernel info:
; codeLenInByte = 0
; TotalNumSgprs: 0
; NumVgprs: 0
; ScratchSize: 0
; MemoryBound: 0
; FloatMode: 240
; IeeeMode: 1
; LDSByteSize: 0 bytes/workgroup (compile time only)
; SGPRBlocks: 0
; VGPRBlocks: 0
; NumSGPRsForWavesPerEU: 1
; NumVGPRsForWavesPerEU: 1
; Occupancy: 16
; WaveLimiterHint : 0
; COMPUTE_PGM_RSRC2:SCRATCH_EN: 0
; COMPUTE_PGM_RSRC2:USER_SGPR: 2
; COMPUTE_PGM_RSRC2:TRAP_HANDLER: 0
; COMPUTE_PGM_RSRC2:TGID_X_EN: 1
; COMPUTE_PGM_RSRC2:TGID_Y_EN: 0
; COMPUTE_PGM_RSRC2:TGID_Z_EN: 0
; COMPUTE_PGM_RSRC2:TIDIG_COMP_CNT: 0
	.section	.text._ZN7rocprim17ROCPRIM_400000_NS6detail17trampoline_kernelINS0_13select_configILj256ELj13ELNS0_17block_load_methodE3ELS4_3ELS4_3ELNS0_20block_scan_algorithmE0ELj4294967295EEENS1_25partition_config_selectorILNS1_17partition_subalgoE3EjNS0_10empty_typeEbEEZZNS1_14partition_implILS8_3ELb0ES6_jNS0_17counting_iteratorIjlEEPS9_SE_NS0_5tupleIJPjSE_EEENSF_IJSE_SE_EEES9_SG_JZNS1_25segmented_radix_sort_implINS0_14default_configELb0EPKfPfPKlPlN2at6native12_GLOBAL__N_18offset_tEEE10hipError_tPvRmT1_PNSt15iterator_traitsISY_E10value_typeET2_T3_PNSZ_IS14_E10value_typeET4_jRbjT5_S1A_jjP12ihipStream_tbEUljE_EEESV_SW_SX_S14_S18_S1A_T6_T7_T9_mT8_S1C_bDpT10_ENKUlT_T0_E_clISt17integral_constantIbLb0EES1O_IbLb1EEEEDaS1K_S1L_EUlS1K_E_NS1_11comp_targetILNS1_3genE0ELNS1_11target_archE4294967295ELNS1_3gpuE0ELNS1_3repE0EEENS1_30default_config_static_selectorELNS0_4arch9wavefront6targetE0EEEvSY_,"axG",@progbits,_ZN7rocprim17ROCPRIM_400000_NS6detail17trampoline_kernelINS0_13select_configILj256ELj13ELNS0_17block_load_methodE3ELS4_3ELS4_3ELNS0_20block_scan_algorithmE0ELj4294967295EEENS1_25partition_config_selectorILNS1_17partition_subalgoE3EjNS0_10empty_typeEbEEZZNS1_14partition_implILS8_3ELb0ES6_jNS0_17counting_iteratorIjlEEPS9_SE_NS0_5tupleIJPjSE_EEENSF_IJSE_SE_EEES9_SG_JZNS1_25segmented_radix_sort_implINS0_14default_configELb0EPKfPfPKlPlN2at6native12_GLOBAL__N_18offset_tEEE10hipError_tPvRmT1_PNSt15iterator_traitsISY_E10value_typeET2_T3_PNSZ_IS14_E10value_typeET4_jRbjT5_S1A_jjP12ihipStream_tbEUljE_EEESV_SW_SX_S14_S18_S1A_T6_T7_T9_mT8_S1C_bDpT10_ENKUlT_T0_E_clISt17integral_constantIbLb0EES1O_IbLb1EEEEDaS1K_S1L_EUlS1K_E_NS1_11comp_targetILNS1_3genE0ELNS1_11target_archE4294967295ELNS1_3gpuE0ELNS1_3repE0EEENS1_30default_config_static_selectorELNS0_4arch9wavefront6targetE0EEEvSY_,comdat
	.globl	_ZN7rocprim17ROCPRIM_400000_NS6detail17trampoline_kernelINS0_13select_configILj256ELj13ELNS0_17block_load_methodE3ELS4_3ELS4_3ELNS0_20block_scan_algorithmE0ELj4294967295EEENS1_25partition_config_selectorILNS1_17partition_subalgoE3EjNS0_10empty_typeEbEEZZNS1_14partition_implILS8_3ELb0ES6_jNS0_17counting_iteratorIjlEEPS9_SE_NS0_5tupleIJPjSE_EEENSF_IJSE_SE_EEES9_SG_JZNS1_25segmented_radix_sort_implINS0_14default_configELb0EPKfPfPKlPlN2at6native12_GLOBAL__N_18offset_tEEE10hipError_tPvRmT1_PNSt15iterator_traitsISY_E10value_typeET2_T3_PNSZ_IS14_E10value_typeET4_jRbjT5_S1A_jjP12ihipStream_tbEUljE_EEESV_SW_SX_S14_S18_S1A_T6_T7_T9_mT8_S1C_bDpT10_ENKUlT_T0_E_clISt17integral_constantIbLb0EES1O_IbLb1EEEEDaS1K_S1L_EUlS1K_E_NS1_11comp_targetILNS1_3genE0ELNS1_11target_archE4294967295ELNS1_3gpuE0ELNS1_3repE0EEENS1_30default_config_static_selectorELNS0_4arch9wavefront6targetE0EEEvSY_ ; -- Begin function _ZN7rocprim17ROCPRIM_400000_NS6detail17trampoline_kernelINS0_13select_configILj256ELj13ELNS0_17block_load_methodE3ELS4_3ELS4_3ELNS0_20block_scan_algorithmE0ELj4294967295EEENS1_25partition_config_selectorILNS1_17partition_subalgoE3EjNS0_10empty_typeEbEEZZNS1_14partition_implILS8_3ELb0ES6_jNS0_17counting_iteratorIjlEEPS9_SE_NS0_5tupleIJPjSE_EEENSF_IJSE_SE_EEES9_SG_JZNS1_25segmented_radix_sort_implINS0_14default_configELb0EPKfPfPKlPlN2at6native12_GLOBAL__N_18offset_tEEE10hipError_tPvRmT1_PNSt15iterator_traitsISY_E10value_typeET2_T3_PNSZ_IS14_E10value_typeET4_jRbjT5_S1A_jjP12ihipStream_tbEUljE_EEESV_SW_SX_S14_S18_S1A_T6_T7_T9_mT8_S1C_bDpT10_ENKUlT_T0_E_clISt17integral_constantIbLb0EES1O_IbLb1EEEEDaS1K_S1L_EUlS1K_E_NS1_11comp_targetILNS1_3genE0ELNS1_11target_archE4294967295ELNS1_3gpuE0ELNS1_3repE0EEENS1_30default_config_static_selectorELNS0_4arch9wavefront6targetE0EEEvSY_
	.p2align	8
	.type	_ZN7rocprim17ROCPRIM_400000_NS6detail17trampoline_kernelINS0_13select_configILj256ELj13ELNS0_17block_load_methodE3ELS4_3ELS4_3ELNS0_20block_scan_algorithmE0ELj4294967295EEENS1_25partition_config_selectorILNS1_17partition_subalgoE3EjNS0_10empty_typeEbEEZZNS1_14partition_implILS8_3ELb0ES6_jNS0_17counting_iteratorIjlEEPS9_SE_NS0_5tupleIJPjSE_EEENSF_IJSE_SE_EEES9_SG_JZNS1_25segmented_radix_sort_implINS0_14default_configELb0EPKfPfPKlPlN2at6native12_GLOBAL__N_18offset_tEEE10hipError_tPvRmT1_PNSt15iterator_traitsISY_E10value_typeET2_T3_PNSZ_IS14_E10value_typeET4_jRbjT5_S1A_jjP12ihipStream_tbEUljE_EEESV_SW_SX_S14_S18_S1A_T6_T7_T9_mT8_S1C_bDpT10_ENKUlT_T0_E_clISt17integral_constantIbLb0EES1O_IbLb1EEEEDaS1K_S1L_EUlS1K_E_NS1_11comp_targetILNS1_3genE0ELNS1_11target_archE4294967295ELNS1_3gpuE0ELNS1_3repE0EEENS1_30default_config_static_selectorELNS0_4arch9wavefront6targetE0EEEvSY_,@function
_ZN7rocprim17ROCPRIM_400000_NS6detail17trampoline_kernelINS0_13select_configILj256ELj13ELNS0_17block_load_methodE3ELS4_3ELS4_3ELNS0_20block_scan_algorithmE0ELj4294967295EEENS1_25partition_config_selectorILNS1_17partition_subalgoE3EjNS0_10empty_typeEbEEZZNS1_14partition_implILS8_3ELb0ES6_jNS0_17counting_iteratorIjlEEPS9_SE_NS0_5tupleIJPjSE_EEENSF_IJSE_SE_EEES9_SG_JZNS1_25segmented_radix_sort_implINS0_14default_configELb0EPKfPfPKlPlN2at6native12_GLOBAL__N_18offset_tEEE10hipError_tPvRmT1_PNSt15iterator_traitsISY_E10value_typeET2_T3_PNSZ_IS14_E10value_typeET4_jRbjT5_S1A_jjP12ihipStream_tbEUljE_EEESV_SW_SX_S14_S18_S1A_T6_T7_T9_mT8_S1C_bDpT10_ENKUlT_T0_E_clISt17integral_constantIbLb0EES1O_IbLb1EEEEDaS1K_S1L_EUlS1K_E_NS1_11comp_targetILNS1_3genE0ELNS1_11target_archE4294967295ELNS1_3gpuE0ELNS1_3repE0EEENS1_30default_config_static_selectorELNS0_4arch9wavefront6targetE0EEEvSY_: ; @_ZN7rocprim17ROCPRIM_400000_NS6detail17trampoline_kernelINS0_13select_configILj256ELj13ELNS0_17block_load_methodE3ELS4_3ELS4_3ELNS0_20block_scan_algorithmE0ELj4294967295EEENS1_25partition_config_selectorILNS1_17partition_subalgoE3EjNS0_10empty_typeEbEEZZNS1_14partition_implILS8_3ELb0ES6_jNS0_17counting_iteratorIjlEEPS9_SE_NS0_5tupleIJPjSE_EEENSF_IJSE_SE_EEES9_SG_JZNS1_25segmented_radix_sort_implINS0_14default_configELb0EPKfPfPKlPlN2at6native12_GLOBAL__N_18offset_tEEE10hipError_tPvRmT1_PNSt15iterator_traitsISY_E10value_typeET2_T3_PNSZ_IS14_E10value_typeET4_jRbjT5_S1A_jjP12ihipStream_tbEUljE_EEESV_SW_SX_S14_S18_S1A_T6_T7_T9_mT8_S1C_bDpT10_ENKUlT_T0_E_clISt17integral_constantIbLb0EES1O_IbLb1EEEEDaS1K_S1L_EUlS1K_E_NS1_11comp_targetILNS1_3genE0ELNS1_11target_archE4294967295ELNS1_3gpuE0ELNS1_3repE0EEENS1_30default_config_static_selectorELNS0_4arch9wavefront6targetE0EEEvSY_
; %bb.0:
	.section	.rodata,"a",@progbits
	.p2align	6, 0x0
	.amdhsa_kernel _ZN7rocprim17ROCPRIM_400000_NS6detail17trampoline_kernelINS0_13select_configILj256ELj13ELNS0_17block_load_methodE3ELS4_3ELS4_3ELNS0_20block_scan_algorithmE0ELj4294967295EEENS1_25partition_config_selectorILNS1_17partition_subalgoE3EjNS0_10empty_typeEbEEZZNS1_14partition_implILS8_3ELb0ES6_jNS0_17counting_iteratorIjlEEPS9_SE_NS0_5tupleIJPjSE_EEENSF_IJSE_SE_EEES9_SG_JZNS1_25segmented_radix_sort_implINS0_14default_configELb0EPKfPfPKlPlN2at6native12_GLOBAL__N_18offset_tEEE10hipError_tPvRmT1_PNSt15iterator_traitsISY_E10value_typeET2_T3_PNSZ_IS14_E10value_typeET4_jRbjT5_S1A_jjP12ihipStream_tbEUljE_EEESV_SW_SX_S14_S18_S1A_T6_T7_T9_mT8_S1C_bDpT10_ENKUlT_T0_E_clISt17integral_constantIbLb0EES1O_IbLb1EEEEDaS1K_S1L_EUlS1K_E_NS1_11comp_targetILNS1_3genE0ELNS1_11target_archE4294967295ELNS1_3gpuE0ELNS1_3repE0EEENS1_30default_config_static_selectorELNS0_4arch9wavefront6targetE0EEEvSY_
		.amdhsa_group_segment_fixed_size 0
		.amdhsa_private_segment_fixed_size 0
		.amdhsa_kernarg_size 152
		.amdhsa_user_sgpr_count 2
		.amdhsa_user_sgpr_dispatch_ptr 0
		.amdhsa_user_sgpr_queue_ptr 0
		.amdhsa_user_sgpr_kernarg_segment_ptr 1
		.amdhsa_user_sgpr_dispatch_id 0
		.amdhsa_user_sgpr_private_segment_size 0
		.amdhsa_wavefront_size32 1
		.amdhsa_uses_dynamic_stack 0
		.amdhsa_enable_private_segment 0
		.amdhsa_system_sgpr_workgroup_id_x 1
		.amdhsa_system_sgpr_workgroup_id_y 0
		.amdhsa_system_sgpr_workgroup_id_z 0
		.amdhsa_system_sgpr_workgroup_info 0
		.amdhsa_system_vgpr_workitem_id 0
		.amdhsa_next_free_vgpr 1
		.amdhsa_next_free_sgpr 1
		.amdhsa_reserve_vcc 0
		.amdhsa_float_round_mode_32 0
		.amdhsa_float_round_mode_16_64 0
		.amdhsa_float_denorm_mode_32 3
		.amdhsa_float_denorm_mode_16_64 3
		.amdhsa_fp16_overflow 0
		.amdhsa_workgroup_processor_mode 1
		.amdhsa_memory_ordered 1
		.amdhsa_forward_progress 1
		.amdhsa_inst_pref_size 0
		.amdhsa_round_robin_scheduling 0
		.amdhsa_exception_fp_ieee_invalid_op 0
		.amdhsa_exception_fp_denorm_src 0
		.amdhsa_exception_fp_ieee_div_zero 0
		.amdhsa_exception_fp_ieee_overflow 0
		.amdhsa_exception_fp_ieee_underflow 0
		.amdhsa_exception_fp_ieee_inexact 0
		.amdhsa_exception_int_div_zero 0
	.end_amdhsa_kernel
	.section	.text._ZN7rocprim17ROCPRIM_400000_NS6detail17trampoline_kernelINS0_13select_configILj256ELj13ELNS0_17block_load_methodE3ELS4_3ELS4_3ELNS0_20block_scan_algorithmE0ELj4294967295EEENS1_25partition_config_selectorILNS1_17partition_subalgoE3EjNS0_10empty_typeEbEEZZNS1_14partition_implILS8_3ELb0ES6_jNS0_17counting_iteratorIjlEEPS9_SE_NS0_5tupleIJPjSE_EEENSF_IJSE_SE_EEES9_SG_JZNS1_25segmented_radix_sort_implINS0_14default_configELb0EPKfPfPKlPlN2at6native12_GLOBAL__N_18offset_tEEE10hipError_tPvRmT1_PNSt15iterator_traitsISY_E10value_typeET2_T3_PNSZ_IS14_E10value_typeET4_jRbjT5_S1A_jjP12ihipStream_tbEUljE_EEESV_SW_SX_S14_S18_S1A_T6_T7_T9_mT8_S1C_bDpT10_ENKUlT_T0_E_clISt17integral_constantIbLb0EES1O_IbLb1EEEEDaS1K_S1L_EUlS1K_E_NS1_11comp_targetILNS1_3genE0ELNS1_11target_archE4294967295ELNS1_3gpuE0ELNS1_3repE0EEENS1_30default_config_static_selectorELNS0_4arch9wavefront6targetE0EEEvSY_,"axG",@progbits,_ZN7rocprim17ROCPRIM_400000_NS6detail17trampoline_kernelINS0_13select_configILj256ELj13ELNS0_17block_load_methodE3ELS4_3ELS4_3ELNS0_20block_scan_algorithmE0ELj4294967295EEENS1_25partition_config_selectorILNS1_17partition_subalgoE3EjNS0_10empty_typeEbEEZZNS1_14partition_implILS8_3ELb0ES6_jNS0_17counting_iteratorIjlEEPS9_SE_NS0_5tupleIJPjSE_EEENSF_IJSE_SE_EEES9_SG_JZNS1_25segmented_radix_sort_implINS0_14default_configELb0EPKfPfPKlPlN2at6native12_GLOBAL__N_18offset_tEEE10hipError_tPvRmT1_PNSt15iterator_traitsISY_E10value_typeET2_T3_PNSZ_IS14_E10value_typeET4_jRbjT5_S1A_jjP12ihipStream_tbEUljE_EEESV_SW_SX_S14_S18_S1A_T6_T7_T9_mT8_S1C_bDpT10_ENKUlT_T0_E_clISt17integral_constantIbLb0EES1O_IbLb1EEEEDaS1K_S1L_EUlS1K_E_NS1_11comp_targetILNS1_3genE0ELNS1_11target_archE4294967295ELNS1_3gpuE0ELNS1_3repE0EEENS1_30default_config_static_selectorELNS0_4arch9wavefront6targetE0EEEvSY_,comdat
.Lfunc_end1420:
	.size	_ZN7rocprim17ROCPRIM_400000_NS6detail17trampoline_kernelINS0_13select_configILj256ELj13ELNS0_17block_load_methodE3ELS4_3ELS4_3ELNS0_20block_scan_algorithmE0ELj4294967295EEENS1_25partition_config_selectorILNS1_17partition_subalgoE3EjNS0_10empty_typeEbEEZZNS1_14partition_implILS8_3ELb0ES6_jNS0_17counting_iteratorIjlEEPS9_SE_NS0_5tupleIJPjSE_EEENSF_IJSE_SE_EEES9_SG_JZNS1_25segmented_radix_sort_implINS0_14default_configELb0EPKfPfPKlPlN2at6native12_GLOBAL__N_18offset_tEEE10hipError_tPvRmT1_PNSt15iterator_traitsISY_E10value_typeET2_T3_PNSZ_IS14_E10value_typeET4_jRbjT5_S1A_jjP12ihipStream_tbEUljE_EEESV_SW_SX_S14_S18_S1A_T6_T7_T9_mT8_S1C_bDpT10_ENKUlT_T0_E_clISt17integral_constantIbLb0EES1O_IbLb1EEEEDaS1K_S1L_EUlS1K_E_NS1_11comp_targetILNS1_3genE0ELNS1_11target_archE4294967295ELNS1_3gpuE0ELNS1_3repE0EEENS1_30default_config_static_selectorELNS0_4arch9wavefront6targetE0EEEvSY_, .Lfunc_end1420-_ZN7rocprim17ROCPRIM_400000_NS6detail17trampoline_kernelINS0_13select_configILj256ELj13ELNS0_17block_load_methodE3ELS4_3ELS4_3ELNS0_20block_scan_algorithmE0ELj4294967295EEENS1_25partition_config_selectorILNS1_17partition_subalgoE3EjNS0_10empty_typeEbEEZZNS1_14partition_implILS8_3ELb0ES6_jNS0_17counting_iteratorIjlEEPS9_SE_NS0_5tupleIJPjSE_EEENSF_IJSE_SE_EEES9_SG_JZNS1_25segmented_radix_sort_implINS0_14default_configELb0EPKfPfPKlPlN2at6native12_GLOBAL__N_18offset_tEEE10hipError_tPvRmT1_PNSt15iterator_traitsISY_E10value_typeET2_T3_PNSZ_IS14_E10value_typeET4_jRbjT5_S1A_jjP12ihipStream_tbEUljE_EEESV_SW_SX_S14_S18_S1A_T6_T7_T9_mT8_S1C_bDpT10_ENKUlT_T0_E_clISt17integral_constantIbLb0EES1O_IbLb1EEEEDaS1K_S1L_EUlS1K_E_NS1_11comp_targetILNS1_3genE0ELNS1_11target_archE4294967295ELNS1_3gpuE0ELNS1_3repE0EEENS1_30default_config_static_selectorELNS0_4arch9wavefront6targetE0EEEvSY_
                                        ; -- End function
	.set _ZN7rocprim17ROCPRIM_400000_NS6detail17trampoline_kernelINS0_13select_configILj256ELj13ELNS0_17block_load_methodE3ELS4_3ELS4_3ELNS0_20block_scan_algorithmE0ELj4294967295EEENS1_25partition_config_selectorILNS1_17partition_subalgoE3EjNS0_10empty_typeEbEEZZNS1_14partition_implILS8_3ELb0ES6_jNS0_17counting_iteratorIjlEEPS9_SE_NS0_5tupleIJPjSE_EEENSF_IJSE_SE_EEES9_SG_JZNS1_25segmented_radix_sort_implINS0_14default_configELb0EPKfPfPKlPlN2at6native12_GLOBAL__N_18offset_tEEE10hipError_tPvRmT1_PNSt15iterator_traitsISY_E10value_typeET2_T3_PNSZ_IS14_E10value_typeET4_jRbjT5_S1A_jjP12ihipStream_tbEUljE_EEESV_SW_SX_S14_S18_S1A_T6_T7_T9_mT8_S1C_bDpT10_ENKUlT_T0_E_clISt17integral_constantIbLb0EES1O_IbLb1EEEEDaS1K_S1L_EUlS1K_E_NS1_11comp_targetILNS1_3genE0ELNS1_11target_archE4294967295ELNS1_3gpuE0ELNS1_3repE0EEENS1_30default_config_static_selectorELNS0_4arch9wavefront6targetE0EEEvSY_.num_vgpr, 0
	.set _ZN7rocprim17ROCPRIM_400000_NS6detail17trampoline_kernelINS0_13select_configILj256ELj13ELNS0_17block_load_methodE3ELS4_3ELS4_3ELNS0_20block_scan_algorithmE0ELj4294967295EEENS1_25partition_config_selectorILNS1_17partition_subalgoE3EjNS0_10empty_typeEbEEZZNS1_14partition_implILS8_3ELb0ES6_jNS0_17counting_iteratorIjlEEPS9_SE_NS0_5tupleIJPjSE_EEENSF_IJSE_SE_EEES9_SG_JZNS1_25segmented_radix_sort_implINS0_14default_configELb0EPKfPfPKlPlN2at6native12_GLOBAL__N_18offset_tEEE10hipError_tPvRmT1_PNSt15iterator_traitsISY_E10value_typeET2_T3_PNSZ_IS14_E10value_typeET4_jRbjT5_S1A_jjP12ihipStream_tbEUljE_EEESV_SW_SX_S14_S18_S1A_T6_T7_T9_mT8_S1C_bDpT10_ENKUlT_T0_E_clISt17integral_constantIbLb0EES1O_IbLb1EEEEDaS1K_S1L_EUlS1K_E_NS1_11comp_targetILNS1_3genE0ELNS1_11target_archE4294967295ELNS1_3gpuE0ELNS1_3repE0EEENS1_30default_config_static_selectorELNS0_4arch9wavefront6targetE0EEEvSY_.num_agpr, 0
	.set _ZN7rocprim17ROCPRIM_400000_NS6detail17trampoline_kernelINS0_13select_configILj256ELj13ELNS0_17block_load_methodE3ELS4_3ELS4_3ELNS0_20block_scan_algorithmE0ELj4294967295EEENS1_25partition_config_selectorILNS1_17partition_subalgoE3EjNS0_10empty_typeEbEEZZNS1_14partition_implILS8_3ELb0ES6_jNS0_17counting_iteratorIjlEEPS9_SE_NS0_5tupleIJPjSE_EEENSF_IJSE_SE_EEES9_SG_JZNS1_25segmented_radix_sort_implINS0_14default_configELb0EPKfPfPKlPlN2at6native12_GLOBAL__N_18offset_tEEE10hipError_tPvRmT1_PNSt15iterator_traitsISY_E10value_typeET2_T3_PNSZ_IS14_E10value_typeET4_jRbjT5_S1A_jjP12ihipStream_tbEUljE_EEESV_SW_SX_S14_S18_S1A_T6_T7_T9_mT8_S1C_bDpT10_ENKUlT_T0_E_clISt17integral_constantIbLb0EES1O_IbLb1EEEEDaS1K_S1L_EUlS1K_E_NS1_11comp_targetILNS1_3genE0ELNS1_11target_archE4294967295ELNS1_3gpuE0ELNS1_3repE0EEENS1_30default_config_static_selectorELNS0_4arch9wavefront6targetE0EEEvSY_.numbered_sgpr, 0
	.set _ZN7rocprim17ROCPRIM_400000_NS6detail17trampoline_kernelINS0_13select_configILj256ELj13ELNS0_17block_load_methodE3ELS4_3ELS4_3ELNS0_20block_scan_algorithmE0ELj4294967295EEENS1_25partition_config_selectorILNS1_17partition_subalgoE3EjNS0_10empty_typeEbEEZZNS1_14partition_implILS8_3ELb0ES6_jNS0_17counting_iteratorIjlEEPS9_SE_NS0_5tupleIJPjSE_EEENSF_IJSE_SE_EEES9_SG_JZNS1_25segmented_radix_sort_implINS0_14default_configELb0EPKfPfPKlPlN2at6native12_GLOBAL__N_18offset_tEEE10hipError_tPvRmT1_PNSt15iterator_traitsISY_E10value_typeET2_T3_PNSZ_IS14_E10value_typeET4_jRbjT5_S1A_jjP12ihipStream_tbEUljE_EEESV_SW_SX_S14_S18_S1A_T6_T7_T9_mT8_S1C_bDpT10_ENKUlT_T0_E_clISt17integral_constantIbLb0EES1O_IbLb1EEEEDaS1K_S1L_EUlS1K_E_NS1_11comp_targetILNS1_3genE0ELNS1_11target_archE4294967295ELNS1_3gpuE0ELNS1_3repE0EEENS1_30default_config_static_selectorELNS0_4arch9wavefront6targetE0EEEvSY_.num_named_barrier, 0
	.set _ZN7rocprim17ROCPRIM_400000_NS6detail17trampoline_kernelINS0_13select_configILj256ELj13ELNS0_17block_load_methodE3ELS4_3ELS4_3ELNS0_20block_scan_algorithmE0ELj4294967295EEENS1_25partition_config_selectorILNS1_17partition_subalgoE3EjNS0_10empty_typeEbEEZZNS1_14partition_implILS8_3ELb0ES6_jNS0_17counting_iteratorIjlEEPS9_SE_NS0_5tupleIJPjSE_EEENSF_IJSE_SE_EEES9_SG_JZNS1_25segmented_radix_sort_implINS0_14default_configELb0EPKfPfPKlPlN2at6native12_GLOBAL__N_18offset_tEEE10hipError_tPvRmT1_PNSt15iterator_traitsISY_E10value_typeET2_T3_PNSZ_IS14_E10value_typeET4_jRbjT5_S1A_jjP12ihipStream_tbEUljE_EEESV_SW_SX_S14_S18_S1A_T6_T7_T9_mT8_S1C_bDpT10_ENKUlT_T0_E_clISt17integral_constantIbLb0EES1O_IbLb1EEEEDaS1K_S1L_EUlS1K_E_NS1_11comp_targetILNS1_3genE0ELNS1_11target_archE4294967295ELNS1_3gpuE0ELNS1_3repE0EEENS1_30default_config_static_selectorELNS0_4arch9wavefront6targetE0EEEvSY_.private_seg_size, 0
	.set _ZN7rocprim17ROCPRIM_400000_NS6detail17trampoline_kernelINS0_13select_configILj256ELj13ELNS0_17block_load_methodE3ELS4_3ELS4_3ELNS0_20block_scan_algorithmE0ELj4294967295EEENS1_25partition_config_selectorILNS1_17partition_subalgoE3EjNS0_10empty_typeEbEEZZNS1_14partition_implILS8_3ELb0ES6_jNS0_17counting_iteratorIjlEEPS9_SE_NS0_5tupleIJPjSE_EEENSF_IJSE_SE_EEES9_SG_JZNS1_25segmented_radix_sort_implINS0_14default_configELb0EPKfPfPKlPlN2at6native12_GLOBAL__N_18offset_tEEE10hipError_tPvRmT1_PNSt15iterator_traitsISY_E10value_typeET2_T3_PNSZ_IS14_E10value_typeET4_jRbjT5_S1A_jjP12ihipStream_tbEUljE_EEESV_SW_SX_S14_S18_S1A_T6_T7_T9_mT8_S1C_bDpT10_ENKUlT_T0_E_clISt17integral_constantIbLb0EES1O_IbLb1EEEEDaS1K_S1L_EUlS1K_E_NS1_11comp_targetILNS1_3genE0ELNS1_11target_archE4294967295ELNS1_3gpuE0ELNS1_3repE0EEENS1_30default_config_static_selectorELNS0_4arch9wavefront6targetE0EEEvSY_.uses_vcc, 0
	.set _ZN7rocprim17ROCPRIM_400000_NS6detail17trampoline_kernelINS0_13select_configILj256ELj13ELNS0_17block_load_methodE3ELS4_3ELS4_3ELNS0_20block_scan_algorithmE0ELj4294967295EEENS1_25partition_config_selectorILNS1_17partition_subalgoE3EjNS0_10empty_typeEbEEZZNS1_14partition_implILS8_3ELb0ES6_jNS0_17counting_iteratorIjlEEPS9_SE_NS0_5tupleIJPjSE_EEENSF_IJSE_SE_EEES9_SG_JZNS1_25segmented_radix_sort_implINS0_14default_configELb0EPKfPfPKlPlN2at6native12_GLOBAL__N_18offset_tEEE10hipError_tPvRmT1_PNSt15iterator_traitsISY_E10value_typeET2_T3_PNSZ_IS14_E10value_typeET4_jRbjT5_S1A_jjP12ihipStream_tbEUljE_EEESV_SW_SX_S14_S18_S1A_T6_T7_T9_mT8_S1C_bDpT10_ENKUlT_T0_E_clISt17integral_constantIbLb0EES1O_IbLb1EEEEDaS1K_S1L_EUlS1K_E_NS1_11comp_targetILNS1_3genE0ELNS1_11target_archE4294967295ELNS1_3gpuE0ELNS1_3repE0EEENS1_30default_config_static_selectorELNS0_4arch9wavefront6targetE0EEEvSY_.uses_flat_scratch, 0
	.set _ZN7rocprim17ROCPRIM_400000_NS6detail17trampoline_kernelINS0_13select_configILj256ELj13ELNS0_17block_load_methodE3ELS4_3ELS4_3ELNS0_20block_scan_algorithmE0ELj4294967295EEENS1_25partition_config_selectorILNS1_17partition_subalgoE3EjNS0_10empty_typeEbEEZZNS1_14partition_implILS8_3ELb0ES6_jNS0_17counting_iteratorIjlEEPS9_SE_NS0_5tupleIJPjSE_EEENSF_IJSE_SE_EEES9_SG_JZNS1_25segmented_radix_sort_implINS0_14default_configELb0EPKfPfPKlPlN2at6native12_GLOBAL__N_18offset_tEEE10hipError_tPvRmT1_PNSt15iterator_traitsISY_E10value_typeET2_T3_PNSZ_IS14_E10value_typeET4_jRbjT5_S1A_jjP12ihipStream_tbEUljE_EEESV_SW_SX_S14_S18_S1A_T6_T7_T9_mT8_S1C_bDpT10_ENKUlT_T0_E_clISt17integral_constantIbLb0EES1O_IbLb1EEEEDaS1K_S1L_EUlS1K_E_NS1_11comp_targetILNS1_3genE0ELNS1_11target_archE4294967295ELNS1_3gpuE0ELNS1_3repE0EEENS1_30default_config_static_selectorELNS0_4arch9wavefront6targetE0EEEvSY_.has_dyn_sized_stack, 0
	.set _ZN7rocprim17ROCPRIM_400000_NS6detail17trampoline_kernelINS0_13select_configILj256ELj13ELNS0_17block_load_methodE3ELS4_3ELS4_3ELNS0_20block_scan_algorithmE0ELj4294967295EEENS1_25partition_config_selectorILNS1_17partition_subalgoE3EjNS0_10empty_typeEbEEZZNS1_14partition_implILS8_3ELb0ES6_jNS0_17counting_iteratorIjlEEPS9_SE_NS0_5tupleIJPjSE_EEENSF_IJSE_SE_EEES9_SG_JZNS1_25segmented_radix_sort_implINS0_14default_configELb0EPKfPfPKlPlN2at6native12_GLOBAL__N_18offset_tEEE10hipError_tPvRmT1_PNSt15iterator_traitsISY_E10value_typeET2_T3_PNSZ_IS14_E10value_typeET4_jRbjT5_S1A_jjP12ihipStream_tbEUljE_EEESV_SW_SX_S14_S18_S1A_T6_T7_T9_mT8_S1C_bDpT10_ENKUlT_T0_E_clISt17integral_constantIbLb0EES1O_IbLb1EEEEDaS1K_S1L_EUlS1K_E_NS1_11comp_targetILNS1_3genE0ELNS1_11target_archE4294967295ELNS1_3gpuE0ELNS1_3repE0EEENS1_30default_config_static_selectorELNS0_4arch9wavefront6targetE0EEEvSY_.has_recursion, 0
	.set _ZN7rocprim17ROCPRIM_400000_NS6detail17trampoline_kernelINS0_13select_configILj256ELj13ELNS0_17block_load_methodE3ELS4_3ELS4_3ELNS0_20block_scan_algorithmE0ELj4294967295EEENS1_25partition_config_selectorILNS1_17partition_subalgoE3EjNS0_10empty_typeEbEEZZNS1_14partition_implILS8_3ELb0ES6_jNS0_17counting_iteratorIjlEEPS9_SE_NS0_5tupleIJPjSE_EEENSF_IJSE_SE_EEES9_SG_JZNS1_25segmented_radix_sort_implINS0_14default_configELb0EPKfPfPKlPlN2at6native12_GLOBAL__N_18offset_tEEE10hipError_tPvRmT1_PNSt15iterator_traitsISY_E10value_typeET2_T3_PNSZ_IS14_E10value_typeET4_jRbjT5_S1A_jjP12ihipStream_tbEUljE_EEESV_SW_SX_S14_S18_S1A_T6_T7_T9_mT8_S1C_bDpT10_ENKUlT_T0_E_clISt17integral_constantIbLb0EES1O_IbLb1EEEEDaS1K_S1L_EUlS1K_E_NS1_11comp_targetILNS1_3genE0ELNS1_11target_archE4294967295ELNS1_3gpuE0ELNS1_3repE0EEENS1_30default_config_static_selectorELNS0_4arch9wavefront6targetE0EEEvSY_.has_indirect_call, 0
	.section	.AMDGPU.csdata,"",@progbits
; Kernel info:
; codeLenInByte = 0
; TotalNumSgprs: 0
; NumVgprs: 0
; ScratchSize: 0
; MemoryBound: 0
; FloatMode: 240
; IeeeMode: 1
; LDSByteSize: 0 bytes/workgroup (compile time only)
; SGPRBlocks: 0
; VGPRBlocks: 0
; NumSGPRsForWavesPerEU: 1
; NumVGPRsForWavesPerEU: 1
; Occupancy: 16
; WaveLimiterHint : 0
; COMPUTE_PGM_RSRC2:SCRATCH_EN: 0
; COMPUTE_PGM_RSRC2:USER_SGPR: 2
; COMPUTE_PGM_RSRC2:TRAP_HANDLER: 0
; COMPUTE_PGM_RSRC2:TGID_X_EN: 1
; COMPUTE_PGM_RSRC2:TGID_Y_EN: 0
; COMPUTE_PGM_RSRC2:TGID_Z_EN: 0
; COMPUTE_PGM_RSRC2:TIDIG_COMP_CNT: 0
	.section	.text._ZN7rocprim17ROCPRIM_400000_NS6detail17trampoline_kernelINS0_13select_configILj256ELj13ELNS0_17block_load_methodE3ELS4_3ELS4_3ELNS0_20block_scan_algorithmE0ELj4294967295EEENS1_25partition_config_selectorILNS1_17partition_subalgoE3EjNS0_10empty_typeEbEEZZNS1_14partition_implILS8_3ELb0ES6_jNS0_17counting_iteratorIjlEEPS9_SE_NS0_5tupleIJPjSE_EEENSF_IJSE_SE_EEES9_SG_JZNS1_25segmented_radix_sort_implINS0_14default_configELb0EPKfPfPKlPlN2at6native12_GLOBAL__N_18offset_tEEE10hipError_tPvRmT1_PNSt15iterator_traitsISY_E10value_typeET2_T3_PNSZ_IS14_E10value_typeET4_jRbjT5_S1A_jjP12ihipStream_tbEUljE_EEESV_SW_SX_S14_S18_S1A_T6_T7_T9_mT8_S1C_bDpT10_ENKUlT_T0_E_clISt17integral_constantIbLb0EES1O_IbLb1EEEEDaS1K_S1L_EUlS1K_E_NS1_11comp_targetILNS1_3genE5ELNS1_11target_archE942ELNS1_3gpuE9ELNS1_3repE0EEENS1_30default_config_static_selectorELNS0_4arch9wavefront6targetE0EEEvSY_,"axG",@progbits,_ZN7rocprim17ROCPRIM_400000_NS6detail17trampoline_kernelINS0_13select_configILj256ELj13ELNS0_17block_load_methodE3ELS4_3ELS4_3ELNS0_20block_scan_algorithmE0ELj4294967295EEENS1_25partition_config_selectorILNS1_17partition_subalgoE3EjNS0_10empty_typeEbEEZZNS1_14partition_implILS8_3ELb0ES6_jNS0_17counting_iteratorIjlEEPS9_SE_NS0_5tupleIJPjSE_EEENSF_IJSE_SE_EEES9_SG_JZNS1_25segmented_radix_sort_implINS0_14default_configELb0EPKfPfPKlPlN2at6native12_GLOBAL__N_18offset_tEEE10hipError_tPvRmT1_PNSt15iterator_traitsISY_E10value_typeET2_T3_PNSZ_IS14_E10value_typeET4_jRbjT5_S1A_jjP12ihipStream_tbEUljE_EEESV_SW_SX_S14_S18_S1A_T6_T7_T9_mT8_S1C_bDpT10_ENKUlT_T0_E_clISt17integral_constantIbLb0EES1O_IbLb1EEEEDaS1K_S1L_EUlS1K_E_NS1_11comp_targetILNS1_3genE5ELNS1_11target_archE942ELNS1_3gpuE9ELNS1_3repE0EEENS1_30default_config_static_selectorELNS0_4arch9wavefront6targetE0EEEvSY_,comdat
	.globl	_ZN7rocprim17ROCPRIM_400000_NS6detail17trampoline_kernelINS0_13select_configILj256ELj13ELNS0_17block_load_methodE3ELS4_3ELS4_3ELNS0_20block_scan_algorithmE0ELj4294967295EEENS1_25partition_config_selectorILNS1_17partition_subalgoE3EjNS0_10empty_typeEbEEZZNS1_14partition_implILS8_3ELb0ES6_jNS0_17counting_iteratorIjlEEPS9_SE_NS0_5tupleIJPjSE_EEENSF_IJSE_SE_EEES9_SG_JZNS1_25segmented_radix_sort_implINS0_14default_configELb0EPKfPfPKlPlN2at6native12_GLOBAL__N_18offset_tEEE10hipError_tPvRmT1_PNSt15iterator_traitsISY_E10value_typeET2_T3_PNSZ_IS14_E10value_typeET4_jRbjT5_S1A_jjP12ihipStream_tbEUljE_EEESV_SW_SX_S14_S18_S1A_T6_T7_T9_mT8_S1C_bDpT10_ENKUlT_T0_E_clISt17integral_constantIbLb0EES1O_IbLb1EEEEDaS1K_S1L_EUlS1K_E_NS1_11comp_targetILNS1_3genE5ELNS1_11target_archE942ELNS1_3gpuE9ELNS1_3repE0EEENS1_30default_config_static_selectorELNS0_4arch9wavefront6targetE0EEEvSY_ ; -- Begin function _ZN7rocprim17ROCPRIM_400000_NS6detail17trampoline_kernelINS0_13select_configILj256ELj13ELNS0_17block_load_methodE3ELS4_3ELS4_3ELNS0_20block_scan_algorithmE0ELj4294967295EEENS1_25partition_config_selectorILNS1_17partition_subalgoE3EjNS0_10empty_typeEbEEZZNS1_14partition_implILS8_3ELb0ES6_jNS0_17counting_iteratorIjlEEPS9_SE_NS0_5tupleIJPjSE_EEENSF_IJSE_SE_EEES9_SG_JZNS1_25segmented_radix_sort_implINS0_14default_configELb0EPKfPfPKlPlN2at6native12_GLOBAL__N_18offset_tEEE10hipError_tPvRmT1_PNSt15iterator_traitsISY_E10value_typeET2_T3_PNSZ_IS14_E10value_typeET4_jRbjT5_S1A_jjP12ihipStream_tbEUljE_EEESV_SW_SX_S14_S18_S1A_T6_T7_T9_mT8_S1C_bDpT10_ENKUlT_T0_E_clISt17integral_constantIbLb0EES1O_IbLb1EEEEDaS1K_S1L_EUlS1K_E_NS1_11comp_targetILNS1_3genE5ELNS1_11target_archE942ELNS1_3gpuE9ELNS1_3repE0EEENS1_30default_config_static_selectorELNS0_4arch9wavefront6targetE0EEEvSY_
	.p2align	8
	.type	_ZN7rocprim17ROCPRIM_400000_NS6detail17trampoline_kernelINS0_13select_configILj256ELj13ELNS0_17block_load_methodE3ELS4_3ELS4_3ELNS0_20block_scan_algorithmE0ELj4294967295EEENS1_25partition_config_selectorILNS1_17partition_subalgoE3EjNS0_10empty_typeEbEEZZNS1_14partition_implILS8_3ELb0ES6_jNS0_17counting_iteratorIjlEEPS9_SE_NS0_5tupleIJPjSE_EEENSF_IJSE_SE_EEES9_SG_JZNS1_25segmented_radix_sort_implINS0_14default_configELb0EPKfPfPKlPlN2at6native12_GLOBAL__N_18offset_tEEE10hipError_tPvRmT1_PNSt15iterator_traitsISY_E10value_typeET2_T3_PNSZ_IS14_E10value_typeET4_jRbjT5_S1A_jjP12ihipStream_tbEUljE_EEESV_SW_SX_S14_S18_S1A_T6_T7_T9_mT8_S1C_bDpT10_ENKUlT_T0_E_clISt17integral_constantIbLb0EES1O_IbLb1EEEEDaS1K_S1L_EUlS1K_E_NS1_11comp_targetILNS1_3genE5ELNS1_11target_archE942ELNS1_3gpuE9ELNS1_3repE0EEENS1_30default_config_static_selectorELNS0_4arch9wavefront6targetE0EEEvSY_,@function
_ZN7rocprim17ROCPRIM_400000_NS6detail17trampoline_kernelINS0_13select_configILj256ELj13ELNS0_17block_load_methodE3ELS4_3ELS4_3ELNS0_20block_scan_algorithmE0ELj4294967295EEENS1_25partition_config_selectorILNS1_17partition_subalgoE3EjNS0_10empty_typeEbEEZZNS1_14partition_implILS8_3ELb0ES6_jNS0_17counting_iteratorIjlEEPS9_SE_NS0_5tupleIJPjSE_EEENSF_IJSE_SE_EEES9_SG_JZNS1_25segmented_radix_sort_implINS0_14default_configELb0EPKfPfPKlPlN2at6native12_GLOBAL__N_18offset_tEEE10hipError_tPvRmT1_PNSt15iterator_traitsISY_E10value_typeET2_T3_PNSZ_IS14_E10value_typeET4_jRbjT5_S1A_jjP12ihipStream_tbEUljE_EEESV_SW_SX_S14_S18_S1A_T6_T7_T9_mT8_S1C_bDpT10_ENKUlT_T0_E_clISt17integral_constantIbLb0EES1O_IbLb1EEEEDaS1K_S1L_EUlS1K_E_NS1_11comp_targetILNS1_3genE5ELNS1_11target_archE942ELNS1_3gpuE9ELNS1_3repE0EEENS1_30default_config_static_selectorELNS0_4arch9wavefront6targetE0EEEvSY_: ; @_ZN7rocprim17ROCPRIM_400000_NS6detail17trampoline_kernelINS0_13select_configILj256ELj13ELNS0_17block_load_methodE3ELS4_3ELS4_3ELNS0_20block_scan_algorithmE0ELj4294967295EEENS1_25partition_config_selectorILNS1_17partition_subalgoE3EjNS0_10empty_typeEbEEZZNS1_14partition_implILS8_3ELb0ES6_jNS0_17counting_iteratorIjlEEPS9_SE_NS0_5tupleIJPjSE_EEENSF_IJSE_SE_EEES9_SG_JZNS1_25segmented_radix_sort_implINS0_14default_configELb0EPKfPfPKlPlN2at6native12_GLOBAL__N_18offset_tEEE10hipError_tPvRmT1_PNSt15iterator_traitsISY_E10value_typeET2_T3_PNSZ_IS14_E10value_typeET4_jRbjT5_S1A_jjP12ihipStream_tbEUljE_EEESV_SW_SX_S14_S18_S1A_T6_T7_T9_mT8_S1C_bDpT10_ENKUlT_T0_E_clISt17integral_constantIbLb0EES1O_IbLb1EEEEDaS1K_S1L_EUlS1K_E_NS1_11comp_targetILNS1_3genE5ELNS1_11target_archE942ELNS1_3gpuE9ELNS1_3repE0EEENS1_30default_config_static_selectorELNS0_4arch9wavefront6targetE0EEEvSY_
; %bb.0:
	.section	.rodata,"a",@progbits
	.p2align	6, 0x0
	.amdhsa_kernel _ZN7rocprim17ROCPRIM_400000_NS6detail17trampoline_kernelINS0_13select_configILj256ELj13ELNS0_17block_load_methodE3ELS4_3ELS4_3ELNS0_20block_scan_algorithmE0ELj4294967295EEENS1_25partition_config_selectorILNS1_17partition_subalgoE3EjNS0_10empty_typeEbEEZZNS1_14partition_implILS8_3ELb0ES6_jNS0_17counting_iteratorIjlEEPS9_SE_NS0_5tupleIJPjSE_EEENSF_IJSE_SE_EEES9_SG_JZNS1_25segmented_radix_sort_implINS0_14default_configELb0EPKfPfPKlPlN2at6native12_GLOBAL__N_18offset_tEEE10hipError_tPvRmT1_PNSt15iterator_traitsISY_E10value_typeET2_T3_PNSZ_IS14_E10value_typeET4_jRbjT5_S1A_jjP12ihipStream_tbEUljE_EEESV_SW_SX_S14_S18_S1A_T6_T7_T9_mT8_S1C_bDpT10_ENKUlT_T0_E_clISt17integral_constantIbLb0EES1O_IbLb1EEEEDaS1K_S1L_EUlS1K_E_NS1_11comp_targetILNS1_3genE5ELNS1_11target_archE942ELNS1_3gpuE9ELNS1_3repE0EEENS1_30default_config_static_selectorELNS0_4arch9wavefront6targetE0EEEvSY_
		.amdhsa_group_segment_fixed_size 0
		.amdhsa_private_segment_fixed_size 0
		.amdhsa_kernarg_size 152
		.amdhsa_user_sgpr_count 2
		.amdhsa_user_sgpr_dispatch_ptr 0
		.amdhsa_user_sgpr_queue_ptr 0
		.amdhsa_user_sgpr_kernarg_segment_ptr 1
		.amdhsa_user_sgpr_dispatch_id 0
		.amdhsa_user_sgpr_private_segment_size 0
		.amdhsa_wavefront_size32 1
		.amdhsa_uses_dynamic_stack 0
		.amdhsa_enable_private_segment 0
		.amdhsa_system_sgpr_workgroup_id_x 1
		.amdhsa_system_sgpr_workgroup_id_y 0
		.amdhsa_system_sgpr_workgroup_id_z 0
		.amdhsa_system_sgpr_workgroup_info 0
		.amdhsa_system_vgpr_workitem_id 0
		.amdhsa_next_free_vgpr 1
		.amdhsa_next_free_sgpr 1
		.amdhsa_reserve_vcc 0
		.amdhsa_float_round_mode_32 0
		.amdhsa_float_round_mode_16_64 0
		.amdhsa_float_denorm_mode_32 3
		.amdhsa_float_denorm_mode_16_64 3
		.amdhsa_fp16_overflow 0
		.amdhsa_workgroup_processor_mode 1
		.amdhsa_memory_ordered 1
		.amdhsa_forward_progress 1
		.amdhsa_inst_pref_size 0
		.amdhsa_round_robin_scheduling 0
		.amdhsa_exception_fp_ieee_invalid_op 0
		.amdhsa_exception_fp_denorm_src 0
		.amdhsa_exception_fp_ieee_div_zero 0
		.amdhsa_exception_fp_ieee_overflow 0
		.amdhsa_exception_fp_ieee_underflow 0
		.amdhsa_exception_fp_ieee_inexact 0
		.amdhsa_exception_int_div_zero 0
	.end_amdhsa_kernel
	.section	.text._ZN7rocprim17ROCPRIM_400000_NS6detail17trampoline_kernelINS0_13select_configILj256ELj13ELNS0_17block_load_methodE3ELS4_3ELS4_3ELNS0_20block_scan_algorithmE0ELj4294967295EEENS1_25partition_config_selectorILNS1_17partition_subalgoE3EjNS0_10empty_typeEbEEZZNS1_14partition_implILS8_3ELb0ES6_jNS0_17counting_iteratorIjlEEPS9_SE_NS0_5tupleIJPjSE_EEENSF_IJSE_SE_EEES9_SG_JZNS1_25segmented_radix_sort_implINS0_14default_configELb0EPKfPfPKlPlN2at6native12_GLOBAL__N_18offset_tEEE10hipError_tPvRmT1_PNSt15iterator_traitsISY_E10value_typeET2_T3_PNSZ_IS14_E10value_typeET4_jRbjT5_S1A_jjP12ihipStream_tbEUljE_EEESV_SW_SX_S14_S18_S1A_T6_T7_T9_mT8_S1C_bDpT10_ENKUlT_T0_E_clISt17integral_constantIbLb0EES1O_IbLb1EEEEDaS1K_S1L_EUlS1K_E_NS1_11comp_targetILNS1_3genE5ELNS1_11target_archE942ELNS1_3gpuE9ELNS1_3repE0EEENS1_30default_config_static_selectorELNS0_4arch9wavefront6targetE0EEEvSY_,"axG",@progbits,_ZN7rocprim17ROCPRIM_400000_NS6detail17trampoline_kernelINS0_13select_configILj256ELj13ELNS0_17block_load_methodE3ELS4_3ELS4_3ELNS0_20block_scan_algorithmE0ELj4294967295EEENS1_25partition_config_selectorILNS1_17partition_subalgoE3EjNS0_10empty_typeEbEEZZNS1_14partition_implILS8_3ELb0ES6_jNS0_17counting_iteratorIjlEEPS9_SE_NS0_5tupleIJPjSE_EEENSF_IJSE_SE_EEES9_SG_JZNS1_25segmented_radix_sort_implINS0_14default_configELb0EPKfPfPKlPlN2at6native12_GLOBAL__N_18offset_tEEE10hipError_tPvRmT1_PNSt15iterator_traitsISY_E10value_typeET2_T3_PNSZ_IS14_E10value_typeET4_jRbjT5_S1A_jjP12ihipStream_tbEUljE_EEESV_SW_SX_S14_S18_S1A_T6_T7_T9_mT8_S1C_bDpT10_ENKUlT_T0_E_clISt17integral_constantIbLb0EES1O_IbLb1EEEEDaS1K_S1L_EUlS1K_E_NS1_11comp_targetILNS1_3genE5ELNS1_11target_archE942ELNS1_3gpuE9ELNS1_3repE0EEENS1_30default_config_static_selectorELNS0_4arch9wavefront6targetE0EEEvSY_,comdat
.Lfunc_end1421:
	.size	_ZN7rocprim17ROCPRIM_400000_NS6detail17trampoline_kernelINS0_13select_configILj256ELj13ELNS0_17block_load_methodE3ELS4_3ELS4_3ELNS0_20block_scan_algorithmE0ELj4294967295EEENS1_25partition_config_selectorILNS1_17partition_subalgoE3EjNS0_10empty_typeEbEEZZNS1_14partition_implILS8_3ELb0ES6_jNS0_17counting_iteratorIjlEEPS9_SE_NS0_5tupleIJPjSE_EEENSF_IJSE_SE_EEES9_SG_JZNS1_25segmented_radix_sort_implINS0_14default_configELb0EPKfPfPKlPlN2at6native12_GLOBAL__N_18offset_tEEE10hipError_tPvRmT1_PNSt15iterator_traitsISY_E10value_typeET2_T3_PNSZ_IS14_E10value_typeET4_jRbjT5_S1A_jjP12ihipStream_tbEUljE_EEESV_SW_SX_S14_S18_S1A_T6_T7_T9_mT8_S1C_bDpT10_ENKUlT_T0_E_clISt17integral_constantIbLb0EES1O_IbLb1EEEEDaS1K_S1L_EUlS1K_E_NS1_11comp_targetILNS1_3genE5ELNS1_11target_archE942ELNS1_3gpuE9ELNS1_3repE0EEENS1_30default_config_static_selectorELNS0_4arch9wavefront6targetE0EEEvSY_, .Lfunc_end1421-_ZN7rocprim17ROCPRIM_400000_NS6detail17trampoline_kernelINS0_13select_configILj256ELj13ELNS0_17block_load_methodE3ELS4_3ELS4_3ELNS0_20block_scan_algorithmE0ELj4294967295EEENS1_25partition_config_selectorILNS1_17partition_subalgoE3EjNS0_10empty_typeEbEEZZNS1_14partition_implILS8_3ELb0ES6_jNS0_17counting_iteratorIjlEEPS9_SE_NS0_5tupleIJPjSE_EEENSF_IJSE_SE_EEES9_SG_JZNS1_25segmented_radix_sort_implINS0_14default_configELb0EPKfPfPKlPlN2at6native12_GLOBAL__N_18offset_tEEE10hipError_tPvRmT1_PNSt15iterator_traitsISY_E10value_typeET2_T3_PNSZ_IS14_E10value_typeET4_jRbjT5_S1A_jjP12ihipStream_tbEUljE_EEESV_SW_SX_S14_S18_S1A_T6_T7_T9_mT8_S1C_bDpT10_ENKUlT_T0_E_clISt17integral_constantIbLb0EES1O_IbLb1EEEEDaS1K_S1L_EUlS1K_E_NS1_11comp_targetILNS1_3genE5ELNS1_11target_archE942ELNS1_3gpuE9ELNS1_3repE0EEENS1_30default_config_static_selectorELNS0_4arch9wavefront6targetE0EEEvSY_
                                        ; -- End function
	.set _ZN7rocprim17ROCPRIM_400000_NS6detail17trampoline_kernelINS0_13select_configILj256ELj13ELNS0_17block_load_methodE3ELS4_3ELS4_3ELNS0_20block_scan_algorithmE0ELj4294967295EEENS1_25partition_config_selectorILNS1_17partition_subalgoE3EjNS0_10empty_typeEbEEZZNS1_14partition_implILS8_3ELb0ES6_jNS0_17counting_iteratorIjlEEPS9_SE_NS0_5tupleIJPjSE_EEENSF_IJSE_SE_EEES9_SG_JZNS1_25segmented_radix_sort_implINS0_14default_configELb0EPKfPfPKlPlN2at6native12_GLOBAL__N_18offset_tEEE10hipError_tPvRmT1_PNSt15iterator_traitsISY_E10value_typeET2_T3_PNSZ_IS14_E10value_typeET4_jRbjT5_S1A_jjP12ihipStream_tbEUljE_EEESV_SW_SX_S14_S18_S1A_T6_T7_T9_mT8_S1C_bDpT10_ENKUlT_T0_E_clISt17integral_constantIbLb0EES1O_IbLb1EEEEDaS1K_S1L_EUlS1K_E_NS1_11comp_targetILNS1_3genE5ELNS1_11target_archE942ELNS1_3gpuE9ELNS1_3repE0EEENS1_30default_config_static_selectorELNS0_4arch9wavefront6targetE0EEEvSY_.num_vgpr, 0
	.set _ZN7rocprim17ROCPRIM_400000_NS6detail17trampoline_kernelINS0_13select_configILj256ELj13ELNS0_17block_load_methodE3ELS4_3ELS4_3ELNS0_20block_scan_algorithmE0ELj4294967295EEENS1_25partition_config_selectorILNS1_17partition_subalgoE3EjNS0_10empty_typeEbEEZZNS1_14partition_implILS8_3ELb0ES6_jNS0_17counting_iteratorIjlEEPS9_SE_NS0_5tupleIJPjSE_EEENSF_IJSE_SE_EEES9_SG_JZNS1_25segmented_radix_sort_implINS0_14default_configELb0EPKfPfPKlPlN2at6native12_GLOBAL__N_18offset_tEEE10hipError_tPvRmT1_PNSt15iterator_traitsISY_E10value_typeET2_T3_PNSZ_IS14_E10value_typeET4_jRbjT5_S1A_jjP12ihipStream_tbEUljE_EEESV_SW_SX_S14_S18_S1A_T6_T7_T9_mT8_S1C_bDpT10_ENKUlT_T0_E_clISt17integral_constantIbLb0EES1O_IbLb1EEEEDaS1K_S1L_EUlS1K_E_NS1_11comp_targetILNS1_3genE5ELNS1_11target_archE942ELNS1_3gpuE9ELNS1_3repE0EEENS1_30default_config_static_selectorELNS0_4arch9wavefront6targetE0EEEvSY_.num_agpr, 0
	.set _ZN7rocprim17ROCPRIM_400000_NS6detail17trampoline_kernelINS0_13select_configILj256ELj13ELNS0_17block_load_methodE3ELS4_3ELS4_3ELNS0_20block_scan_algorithmE0ELj4294967295EEENS1_25partition_config_selectorILNS1_17partition_subalgoE3EjNS0_10empty_typeEbEEZZNS1_14partition_implILS8_3ELb0ES6_jNS0_17counting_iteratorIjlEEPS9_SE_NS0_5tupleIJPjSE_EEENSF_IJSE_SE_EEES9_SG_JZNS1_25segmented_radix_sort_implINS0_14default_configELb0EPKfPfPKlPlN2at6native12_GLOBAL__N_18offset_tEEE10hipError_tPvRmT1_PNSt15iterator_traitsISY_E10value_typeET2_T3_PNSZ_IS14_E10value_typeET4_jRbjT5_S1A_jjP12ihipStream_tbEUljE_EEESV_SW_SX_S14_S18_S1A_T6_T7_T9_mT8_S1C_bDpT10_ENKUlT_T0_E_clISt17integral_constantIbLb0EES1O_IbLb1EEEEDaS1K_S1L_EUlS1K_E_NS1_11comp_targetILNS1_3genE5ELNS1_11target_archE942ELNS1_3gpuE9ELNS1_3repE0EEENS1_30default_config_static_selectorELNS0_4arch9wavefront6targetE0EEEvSY_.numbered_sgpr, 0
	.set _ZN7rocprim17ROCPRIM_400000_NS6detail17trampoline_kernelINS0_13select_configILj256ELj13ELNS0_17block_load_methodE3ELS4_3ELS4_3ELNS0_20block_scan_algorithmE0ELj4294967295EEENS1_25partition_config_selectorILNS1_17partition_subalgoE3EjNS0_10empty_typeEbEEZZNS1_14partition_implILS8_3ELb0ES6_jNS0_17counting_iteratorIjlEEPS9_SE_NS0_5tupleIJPjSE_EEENSF_IJSE_SE_EEES9_SG_JZNS1_25segmented_radix_sort_implINS0_14default_configELb0EPKfPfPKlPlN2at6native12_GLOBAL__N_18offset_tEEE10hipError_tPvRmT1_PNSt15iterator_traitsISY_E10value_typeET2_T3_PNSZ_IS14_E10value_typeET4_jRbjT5_S1A_jjP12ihipStream_tbEUljE_EEESV_SW_SX_S14_S18_S1A_T6_T7_T9_mT8_S1C_bDpT10_ENKUlT_T0_E_clISt17integral_constantIbLb0EES1O_IbLb1EEEEDaS1K_S1L_EUlS1K_E_NS1_11comp_targetILNS1_3genE5ELNS1_11target_archE942ELNS1_3gpuE9ELNS1_3repE0EEENS1_30default_config_static_selectorELNS0_4arch9wavefront6targetE0EEEvSY_.num_named_barrier, 0
	.set _ZN7rocprim17ROCPRIM_400000_NS6detail17trampoline_kernelINS0_13select_configILj256ELj13ELNS0_17block_load_methodE3ELS4_3ELS4_3ELNS0_20block_scan_algorithmE0ELj4294967295EEENS1_25partition_config_selectorILNS1_17partition_subalgoE3EjNS0_10empty_typeEbEEZZNS1_14partition_implILS8_3ELb0ES6_jNS0_17counting_iteratorIjlEEPS9_SE_NS0_5tupleIJPjSE_EEENSF_IJSE_SE_EEES9_SG_JZNS1_25segmented_radix_sort_implINS0_14default_configELb0EPKfPfPKlPlN2at6native12_GLOBAL__N_18offset_tEEE10hipError_tPvRmT1_PNSt15iterator_traitsISY_E10value_typeET2_T3_PNSZ_IS14_E10value_typeET4_jRbjT5_S1A_jjP12ihipStream_tbEUljE_EEESV_SW_SX_S14_S18_S1A_T6_T7_T9_mT8_S1C_bDpT10_ENKUlT_T0_E_clISt17integral_constantIbLb0EES1O_IbLb1EEEEDaS1K_S1L_EUlS1K_E_NS1_11comp_targetILNS1_3genE5ELNS1_11target_archE942ELNS1_3gpuE9ELNS1_3repE0EEENS1_30default_config_static_selectorELNS0_4arch9wavefront6targetE0EEEvSY_.private_seg_size, 0
	.set _ZN7rocprim17ROCPRIM_400000_NS6detail17trampoline_kernelINS0_13select_configILj256ELj13ELNS0_17block_load_methodE3ELS4_3ELS4_3ELNS0_20block_scan_algorithmE0ELj4294967295EEENS1_25partition_config_selectorILNS1_17partition_subalgoE3EjNS0_10empty_typeEbEEZZNS1_14partition_implILS8_3ELb0ES6_jNS0_17counting_iteratorIjlEEPS9_SE_NS0_5tupleIJPjSE_EEENSF_IJSE_SE_EEES9_SG_JZNS1_25segmented_radix_sort_implINS0_14default_configELb0EPKfPfPKlPlN2at6native12_GLOBAL__N_18offset_tEEE10hipError_tPvRmT1_PNSt15iterator_traitsISY_E10value_typeET2_T3_PNSZ_IS14_E10value_typeET4_jRbjT5_S1A_jjP12ihipStream_tbEUljE_EEESV_SW_SX_S14_S18_S1A_T6_T7_T9_mT8_S1C_bDpT10_ENKUlT_T0_E_clISt17integral_constantIbLb0EES1O_IbLb1EEEEDaS1K_S1L_EUlS1K_E_NS1_11comp_targetILNS1_3genE5ELNS1_11target_archE942ELNS1_3gpuE9ELNS1_3repE0EEENS1_30default_config_static_selectorELNS0_4arch9wavefront6targetE0EEEvSY_.uses_vcc, 0
	.set _ZN7rocprim17ROCPRIM_400000_NS6detail17trampoline_kernelINS0_13select_configILj256ELj13ELNS0_17block_load_methodE3ELS4_3ELS4_3ELNS0_20block_scan_algorithmE0ELj4294967295EEENS1_25partition_config_selectorILNS1_17partition_subalgoE3EjNS0_10empty_typeEbEEZZNS1_14partition_implILS8_3ELb0ES6_jNS0_17counting_iteratorIjlEEPS9_SE_NS0_5tupleIJPjSE_EEENSF_IJSE_SE_EEES9_SG_JZNS1_25segmented_radix_sort_implINS0_14default_configELb0EPKfPfPKlPlN2at6native12_GLOBAL__N_18offset_tEEE10hipError_tPvRmT1_PNSt15iterator_traitsISY_E10value_typeET2_T3_PNSZ_IS14_E10value_typeET4_jRbjT5_S1A_jjP12ihipStream_tbEUljE_EEESV_SW_SX_S14_S18_S1A_T6_T7_T9_mT8_S1C_bDpT10_ENKUlT_T0_E_clISt17integral_constantIbLb0EES1O_IbLb1EEEEDaS1K_S1L_EUlS1K_E_NS1_11comp_targetILNS1_3genE5ELNS1_11target_archE942ELNS1_3gpuE9ELNS1_3repE0EEENS1_30default_config_static_selectorELNS0_4arch9wavefront6targetE0EEEvSY_.uses_flat_scratch, 0
	.set _ZN7rocprim17ROCPRIM_400000_NS6detail17trampoline_kernelINS0_13select_configILj256ELj13ELNS0_17block_load_methodE3ELS4_3ELS4_3ELNS0_20block_scan_algorithmE0ELj4294967295EEENS1_25partition_config_selectorILNS1_17partition_subalgoE3EjNS0_10empty_typeEbEEZZNS1_14partition_implILS8_3ELb0ES6_jNS0_17counting_iteratorIjlEEPS9_SE_NS0_5tupleIJPjSE_EEENSF_IJSE_SE_EEES9_SG_JZNS1_25segmented_radix_sort_implINS0_14default_configELb0EPKfPfPKlPlN2at6native12_GLOBAL__N_18offset_tEEE10hipError_tPvRmT1_PNSt15iterator_traitsISY_E10value_typeET2_T3_PNSZ_IS14_E10value_typeET4_jRbjT5_S1A_jjP12ihipStream_tbEUljE_EEESV_SW_SX_S14_S18_S1A_T6_T7_T9_mT8_S1C_bDpT10_ENKUlT_T0_E_clISt17integral_constantIbLb0EES1O_IbLb1EEEEDaS1K_S1L_EUlS1K_E_NS1_11comp_targetILNS1_3genE5ELNS1_11target_archE942ELNS1_3gpuE9ELNS1_3repE0EEENS1_30default_config_static_selectorELNS0_4arch9wavefront6targetE0EEEvSY_.has_dyn_sized_stack, 0
	.set _ZN7rocprim17ROCPRIM_400000_NS6detail17trampoline_kernelINS0_13select_configILj256ELj13ELNS0_17block_load_methodE3ELS4_3ELS4_3ELNS0_20block_scan_algorithmE0ELj4294967295EEENS1_25partition_config_selectorILNS1_17partition_subalgoE3EjNS0_10empty_typeEbEEZZNS1_14partition_implILS8_3ELb0ES6_jNS0_17counting_iteratorIjlEEPS9_SE_NS0_5tupleIJPjSE_EEENSF_IJSE_SE_EEES9_SG_JZNS1_25segmented_radix_sort_implINS0_14default_configELb0EPKfPfPKlPlN2at6native12_GLOBAL__N_18offset_tEEE10hipError_tPvRmT1_PNSt15iterator_traitsISY_E10value_typeET2_T3_PNSZ_IS14_E10value_typeET4_jRbjT5_S1A_jjP12ihipStream_tbEUljE_EEESV_SW_SX_S14_S18_S1A_T6_T7_T9_mT8_S1C_bDpT10_ENKUlT_T0_E_clISt17integral_constantIbLb0EES1O_IbLb1EEEEDaS1K_S1L_EUlS1K_E_NS1_11comp_targetILNS1_3genE5ELNS1_11target_archE942ELNS1_3gpuE9ELNS1_3repE0EEENS1_30default_config_static_selectorELNS0_4arch9wavefront6targetE0EEEvSY_.has_recursion, 0
	.set _ZN7rocprim17ROCPRIM_400000_NS6detail17trampoline_kernelINS0_13select_configILj256ELj13ELNS0_17block_load_methodE3ELS4_3ELS4_3ELNS0_20block_scan_algorithmE0ELj4294967295EEENS1_25partition_config_selectorILNS1_17partition_subalgoE3EjNS0_10empty_typeEbEEZZNS1_14partition_implILS8_3ELb0ES6_jNS0_17counting_iteratorIjlEEPS9_SE_NS0_5tupleIJPjSE_EEENSF_IJSE_SE_EEES9_SG_JZNS1_25segmented_radix_sort_implINS0_14default_configELb0EPKfPfPKlPlN2at6native12_GLOBAL__N_18offset_tEEE10hipError_tPvRmT1_PNSt15iterator_traitsISY_E10value_typeET2_T3_PNSZ_IS14_E10value_typeET4_jRbjT5_S1A_jjP12ihipStream_tbEUljE_EEESV_SW_SX_S14_S18_S1A_T6_T7_T9_mT8_S1C_bDpT10_ENKUlT_T0_E_clISt17integral_constantIbLb0EES1O_IbLb1EEEEDaS1K_S1L_EUlS1K_E_NS1_11comp_targetILNS1_3genE5ELNS1_11target_archE942ELNS1_3gpuE9ELNS1_3repE0EEENS1_30default_config_static_selectorELNS0_4arch9wavefront6targetE0EEEvSY_.has_indirect_call, 0
	.section	.AMDGPU.csdata,"",@progbits
; Kernel info:
; codeLenInByte = 0
; TotalNumSgprs: 0
; NumVgprs: 0
; ScratchSize: 0
; MemoryBound: 0
; FloatMode: 240
; IeeeMode: 1
; LDSByteSize: 0 bytes/workgroup (compile time only)
; SGPRBlocks: 0
; VGPRBlocks: 0
; NumSGPRsForWavesPerEU: 1
; NumVGPRsForWavesPerEU: 1
; Occupancy: 16
; WaveLimiterHint : 0
; COMPUTE_PGM_RSRC2:SCRATCH_EN: 0
; COMPUTE_PGM_RSRC2:USER_SGPR: 2
; COMPUTE_PGM_RSRC2:TRAP_HANDLER: 0
; COMPUTE_PGM_RSRC2:TGID_X_EN: 1
; COMPUTE_PGM_RSRC2:TGID_Y_EN: 0
; COMPUTE_PGM_RSRC2:TGID_Z_EN: 0
; COMPUTE_PGM_RSRC2:TIDIG_COMP_CNT: 0
	.section	.text._ZN7rocprim17ROCPRIM_400000_NS6detail17trampoline_kernelINS0_13select_configILj256ELj13ELNS0_17block_load_methodE3ELS4_3ELS4_3ELNS0_20block_scan_algorithmE0ELj4294967295EEENS1_25partition_config_selectorILNS1_17partition_subalgoE3EjNS0_10empty_typeEbEEZZNS1_14partition_implILS8_3ELb0ES6_jNS0_17counting_iteratorIjlEEPS9_SE_NS0_5tupleIJPjSE_EEENSF_IJSE_SE_EEES9_SG_JZNS1_25segmented_radix_sort_implINS0_14default_configELb0EPKfPfPKlPlN2at6native12_GLOBAL__N_18offset_tEEE10hipError_tPvRmT1_PNSt15iterator_traitsISY_E10value_typeET2_T3_PNSZ_IS14_E10value_typeET4_jRbjT5_S1A_jjP12ihipStream_tbEUljE_EEESV_SW_SX_S14_S18_S1A_T6_T7_T9_mT8_S1C_bDpT10_ENKUlT_T0_E_clISt17integral_constantIbLb0EES1O_IbLb1EEEEDaS1K_S1L_EUlS1K_E_NS1_11comp_targetILNS1_3genE4ELNS1_11target_archE910ELNS1_3gpuE8ELNS1_3repE0EEENS1_30default_config_static_selectorELNS0_4arch9wavefront6targetE0EEEvSY_,"axG",@progbits,_ZN7rocprim17ROCPRIM_400000_NS6detail17trampoline_kernelINS0_13select_configILj256ELj13ELNS0_17block_load_methodE3ELS4_3ELS4_3ELNS0_20block_scan_algorithmE0ELj4294967295EEENS1_25partition_config_selectorILNS1_17partition_subalgoE3EjNS0_10empty_typeEbEEZZNS1_14partition_implILS8_3ELb0ES6_jNS0_17counting_iteratorIjlEEPS9_SE_NS0_5tupleIJPjSE_EEENSF_IJSE_SE_EEES9_SG_JZNS1_25segmented_radix_sort_implINS0_14default_configELb0EPKfPfPKlPlN2at6native12_GLOBAL__N_18offset_tEEE10hipError_tPvRmT1_PNSt15iterator_traitsISY_E10value_typeET2_T3_PNSZ_IS14_E10value_typeET4_jRbjT5_S1A_jjP12ihipStream_tbEUljE_EEESV_SW_SX_S14_S18_S1A_T6_T7_T9_mT8_S1C_bDpT10_ENKUlT_T0_E_clISt17integral_constantIbLb0EES1O_IbLb1EEEEDaS1K_S1L_EUlS1K_E_NS1_11comp_targetILNS1_3genE4ELNS1_11target_archE910ELNS1_3gpuE8ELNS1_3repE0EEENS1_30default_config_static_selectorELNS0_4arch9wavefront6targetE0EEEvSY_,comdat
	.globl	_ZN7rocprim17ROCPRIM_400000_NS6detail17trampoline_kernelINS0_13select_configILj256ELj13ELNS0_17block_load_methodE3ELS4_3ELS4_3ELNS0_20block_scan_algorithmE0ELj4294967295EEENS1_25partition_config_selectorILNS1_17partition_subalgoE3EjNS0_10empty_typeEbEEZZNS1_14partition_implILS8_3ELb0ES6_jNS0_17counting_iteratorIjlEEPS9_SE_NS0_5tupleIJPjSE_EEENSF_IJSE_SE_EEES9_SG_JZNS1_25segmented_radix_sort_implINS0_14default_configELb0EPKfPfPKlPlN2at6native12_GLOBAL__N_18offset_tEEE10hipError_tPvRmT1_PNSt15iterator_traitsISY_E10value_typeET2_T3_PNSZ_IS14_E10value_typeET4_jRbjT5_S1A_jjP12ihipStream_tbEUljE_EEESV_SW_SX_S14_S18_S1A_T6_T7_T9_mT8_S1C_bDpT10_ENKUlT_T0_E_clISt17integral_constantIbLb0EES1O_IbLb1EEEEDaS1K_S1L_EUlS1K_E_NS1_11comp_targetILNS1_3genE4ELNS1_11target_archE910ELNS1_3gpuE8ELNS1_3repE0EEENS1_30default_config_static_selectorELNS0_4arch9wavefront6targetE0EEEvSY_ ; -- Begin function _ZN7rocprim17ROCPRIM_400000_NS6detail17trampoline_kernelINS0_13select_configILj256ELj13ELNS0_17block_load_methodE3ELS4_3ELS4_3ELNS0_20block_scan_algorithmE0ELj4294967295EEENS1_25partition_config_selectorILNS1_17partition_subalgoE3EjNS0_10empty_typeEbEEZZNS1_14partition_implILS8_3ELb0ES6_jNS0_17counting_iteratorIjlEEPS9_SE_NS0_5tupleIJPjSE_EEENSF_IJSE_SE_EEES9_SG_JZNS1_25segmented_radix_sort_implINS0_14default_configELb0EPKfPfPKlPlN2at6native12_GLOBAL__N_18offset_tEEE10hipError_tPvRmT1_PNSt15iterator_traitsISY_E10value_typeET2_T3_PNSZ_IS14_E10value_typeET4_jRbjT5_S1A_jjP12ihipStream_tbEUljE_EEESV_SW_SX_S14_S18_S1A_T6_T7_T9_mT8_S1C_bDpT10_ENKUlT_T0_E_clISt17integral_constantIbLb0EES1O_IbLb1EEEEDaS1K_S1L_EUlS1K_E_NS1_11comp_targetILNS1_3genE4ELNS1_11target_archE910ELNS1_3gpuE8ELNS1_3repE0EEENS1_30default_config_static_selectorELNS0_4arch9wavefront6targetE0EEEvSY_
	.p2align	8
	.type	_ZN7rocprim17ROCPRIM_400000_NS6detail17trampoline_kernelINS0_13select_configILj256ELj13ELNS0_17block_load_methodE3ELS4_3ELS4_3ELNS0_20block_scan_algorithmE0ELj4294967295EEENS1_25partition_config_selectorILNS1_17partition_subalgoE3EjNS0_10empty_typeEbEEZZNS1_14partition_implILS8_3ELb0ES6_jNS0_17counting_iteratorIjlEEPS9_SE_NS0_5tupleIJPjSE_EEENSF_IJSE_SE_EEES9_SG_JZNS1_25segmented_radix_sort_implINS0_14default_configELb0EPKfPfPKlPlN2at6native12_GLOBAL__N_18offset_tEEE10hipError_tPvRmT1_PNSt15iterator_traitsISY_E10value_typeET2_T3_PNSZ_IS14_E10value_typeET4_jRbjT5_S1A_jjP12ihipStream_tbEUljE_EEESV_SW_SX_S14_S18_S1A_T6_T7_T9_mT8_S1C_bDpT10_ENKUlT_T0_E_clISt17integral_constantIbLb0EES1O_IbLb1EEEEDaS1K_S1L_EUlS1K_E_NS1_11comp_targetILNS1_3genE4ELNS1_11target_archE910ELNS1_3gpuE8ELNS1_3repE0EEENS1_30default_config_static_selectorELNS0_4arch9wavefront6targetE0EEEvSY_,@function
_ZN7rocprim17ROCPRIM_400000_NS6detail17trampoline_kernelINS0_13select_configILj256ELj13ELNS0_17block_load_methodE3ELS4_3ELS4_3ELNS0_20block_scan_algorithmE0ELj4294967295EEENS1_25partition_config_selectorILNS1_17partition_subalgoE3EjNS0_10empty_typeEbEEZZNS1_14partition_implILS8_3ELb0ES6_jNS0_17counting_iteratorIjlEEPS9_SE_NS0_5tupleIJPjSE_EEENSF_IJSE_SE_EEES9_SG_JZNS1_25segmented_radix_sort_implINS0_14default_configELb0EPKfPfPKlPlN2at6native12_GLOBAL__N_18offset_tEEE10hipError_tPvRmT1_PNSt15iterator_traitsISY_E10value_typeET2_T3_PNSZ_IS14_E10value_typeET4_jRbjT5_S1A_jjP12ihipStream_tbEUljE_EEESV_SW_SX_S14_S18_S1A_T6_T7_T9_mT8_S1C_bDpT10_ENKUlT_T0_E_clISt17integral_constantIbLb0EES1O_IbLb1EEEEDaS1K_S1L_EUlS1K_E_NS1_11comp_targetILNS1_3genE4ELNS1_11target_archE910ELNS1_3gpuE8ELNS1_3repE0EEENS1_30default_config_static_selectorELNS0_4arch9wavefront6targetE0EEEvSY_: ; @_ZN7rocprim17ROCPRIM_400000_NS6detail17trampoline_kernelINS0_13select_configILj256ELj13ELNS0_17block_load_methodE3ELS4_3ELS4_3ELNS0_20block_scan_algorithmE0ELj4294967295EEENS1_25partition_config_selectorILNS1_17partition_subalgoE3EjNS0_10empty_typeEbEEZZNS1_14partition_implILS8_3ELb0ES6_jNS0_17counting_iteratorIjlEEPS9_SE_NS0_5tupleIJPjSE_EEENSF_IJSE_SE_EEES9_SG_JZNS1_25segmented_radix_sort_implINS0_14default_configELb0EPKfPfPKlPlN2at6native12_GLOBAL__N_18offset_tEEE10hipError_tPvRmT1_PNSt15iterator_traitsISY_E10value_typeET2_T3_PNSZ_IS14_E10value_typeET4_jRbjT5_S1A_jjP12ihipStream_tbEUljE_EEESV_SW_SX_S14_S18_S1A_T6_T7_T9_mT8_S1C_bDpT10_ENKUlT_T0_E_clISt17integral_constantIbLb0EES1O_IbLb1EEEEDaS1K_S1L_EUlS1K_E_NS1_11comp_targetILNS1_3genE4ELNS1_11target_archE910ELNS1_3gpuE8ELNS1_3repE0EEENS1_30default_config_static_selectorELNS0_4arch9wavefront6targetE0EEEvSY_
; %bb.0:
	.section	.rodata,"a",@progbits
	.p2align	6, 0x0
	.amdhsa_kernel _ZN7rocprim17ROCPRIM_400000_NS6detail17trampoline_kernelINS0_13select_configILj256ELj13ELNS0_17block_load_methodE3ELS4_3ELS4_3ELNS0_20block_scan_algorithmE0ELj4294967295EEENS1_25partition_config_selectorILNS1_17partition_subalgoE3EjNS0_10empty_typeEbEEZZNS1_14partition_implILS8_3ELb0ES6_jNS0_17counting_iteratorIjlEEPS9_SE_NS0_5tupleIJPjSE_EEENSF_IJSE_SE_EEES9_SG_JZNS1_25segmented_radix_sort_implINS0_14default_configELb0EPKfPfPKlPlN2at6native12_GLOBAL__N_18offset_tEEE10hipError_tPvRmT1_PNSt15iterator_traitsISY_E10value_typeET2_T3_PNSZ_IS14_E10value_typeET4_jRbjT5_S1A_jjP12ihipStream_tbEUljE_EEESV_SW_SX_S14_S18_S1A_T6_T7_T9_mT8_S1C_bDpT10_ENKUlT_T0_E_clISt17integral_constantIbLb0EES1O_IbLb1EEEEDaS1K_S1L_EUlS1K_E_NS1_11comp_targetILNS1_3genE4ELNS1_11target_archE910ELNS1_3gpuE8ELNS1_3repE0EEENS1_30default_config_static_selectorELNS0_4arch9wavefront6targetE0EEEvSY_
		.amdhsa_group_segment_fixed_size 0
		.amdhsa_private_segment_fixed_size 0
		.amdhsa_kernarg_size 152
		.amdhsa_user_sgpr_count 2
		.amdhsa_user_sgpr_dispatch_ptr 0
		.amdhsa_user_sgpr_queue_ptr 0
		.amdhsa_user_sgpr_kernarg_segment_ptr 1
		.amdhsa_user_sgpr_dispatch_id 0
		.amdhsa_user_sgpr_private_segment_size 0
		.amdhsa_wavefront_size32 1
		.amdhsa_uses_dynamic_stack 0
		.amdhsa_enable_private_segment 0
		.amdhsa_system_sgpr_workgroup_id_x 1
		.amdhsa_system_sgpr_workgroup_id_y 0
		.amdhsa_system_sgpr_workgroup_id_z 0
		.amdhsa_system_sgpr_workgroup_info 0
		.amdhsa_system_vgpr_workitem_id 0
		.amdhsa_next_free_vgpr 1
		.amdhsa_next_free_sgpr 1
		.amdhsa_reserve_vcc 0
		.amdhsa_float_round_mode_32 0
		.amdhsa_float_round_mode_16_64 0
		.amdhsa_float_denorm_mode_32 3
		.amdhsa_float_denorm_mode_16_64 3
		.amdhsa_fp16_overflow 0
		.amdhsa_workgroup_processor_mode 1
		.amdhsa_memory_ordered 1
		.amdhsa_forward_progress 1
		.amdhsa_inst_pref_size 0
		.amdhsa_round_robin_scheduling 0
		.amdhsa_exception_fp_ieee_invalid_op 0
		.amdhsa_exception_fp_denorm_src 0
		.amdhsa_exception_fp_ieee_div_zero 0
		.amdhsa_exception_fp_ieee_overflow 0
		.amdhsa_exception_fp_ieee_underflow 0
		.amdhsa_exception_fp_ieee_inexact 0
		.amdhsa_exception_int_div_zero 0
	.end_amdhsa_kernel
	.section	.text._ZN7rocprim17ROCPRIM_400000_NS6detail17trampoline_kernelINS0_13select_configILj256ELj13ELNS0_17block_load_methodE3ELS4_3ELS4_3ELNS0_20block_scan_algorithmE0ELj4294967295EEENS1_25partition_config_selectorILNS1_17partition_subalgoE3EjNS0_10empty_typeEbEEZZNS1_14partition_implILS8_3ELb0ES6_jNS0_17counting_iteratorIjlEEPS9_SE_NS0_5tupleIJPjSE_EEENSF_IJSE_SE_EEES9_SG_JZNS1_25segmented_radix_sort_implINS0_14default_configELb0EPKfPfPKlPlN2at6native12_GLOBAL__N_18offset_tEEE10hipError_tPvRmT1_PNSt15iterator_traitsISY_E10value_typeET2_T3_PNSZ_IS14_E10value_typeET4_jRbjT5_S1A_jjP12ihipStream_tbEUljE_EEESV_SW_SX_S14_S18_S1A_T6_T7_T9_mT8_S1C_bDpT10_ENKUlT_T0_E_clISt17integral_constantIbLb0EES1O_IbLb1EEEEDaS1K_S1L_EUlS1K_E_NS1_11comp_targetILNS1_3genE4ELNS1_11target_archE910ELNS1_3gpuE8ELNS1_3repE0EEENS1_30default_config_static_selectorELNS0_4arch9wavefront6targetE0EEEvSY_,"axG",@progbits,_ZN7rocprim17ROCPRIM_400000_NS6detail17trampoline_kernelINS0_13select_configILj256ELj13ELNS0_17block_load_methodE3ELS4_3ELS4_3ELNS0_20block_scan_algorithmE0ELj4294967295EEENS1_25partition_config_selectorILNS1_17partition_subalgoE3EjNS0_10empty_typeEbEEZZNS1_14partition_implILS8_3ELb0ES6_jNS0_17counting_iteratorIjlEEPS9_SE_NS0_5tupleIJPjSE_EEENSF_IJSE_SE_EEES9_SG_JZNS1_25segmented_radix_sort_implINS0_14default_configELb0EPKfPfPKlPlN2at6native12_GLOBAL__N_18offset_tEEE10hipError_tPvRmT1_PNSt15iterator_traitsISY_E10value_typeET2_T3_PNSZ_IS14_E10value_typeET4_jRbjT5_S1A_jjP12ihipStream_tbEUljE_EEESV_SW_SX_S14_S18_S1A_T6_T7_T9_mT8_S1C_bDpT10_ENKUlT_T0_E_clISt17integral_constantIbLb0EES1O_IbLb1EEEEDaS1K_S1L_EUlS1K_E_NS1_11comp_targetILNS1_3genE4ELNS1_11target_archE910ELNS1_3gpuE8ELNS1_3repE0EEENS1_30default_config_static_selectorELNS0_4arch9wavefront6targetE0EEEvSY_,comdat
.Lfunc_end1422:
	.size	_ZN7rocprim17ROCPRIM_400000_NS6detail17trampoline_kernelINS0_13select_configILj256ELj13ELNS0_17block_load_methodE3ELS4_3ELS4_3ELNS0_20block_scan_algorithmE0ELj4294967295EEENS1_25partition_config_selectorILNS1_17partition_subalgoE3EjNS0_10empty_typeEbEEZZNS1_14partition_implILS8_3ELb0ES6_jNS0_17counting_iteratorIjlEEPS9_SE_NS0_5tupleIJPjSE_EEENSF_IJSE_SE_EEES9_SG_JZNS1_25segmented_radix_sort_implINS0_14default_configELb0EPKfPfPKlPlN2at6native12_GLOBAL__N_18offset_tEEE10hipError_tPvRmT1_PNSt15iterator_traitsISY_E10value_typeET2_T3_PNSZ_IS14_E10value_typeET4_jRbjT5_S1A_jjP12ihipStream_tbEUljE_EEESV_SW_SX_S14_S18_S1A_T6_T7_T9_mT8_S1C_bDpT10_ENKUlT_T0_E_clISt17integral_constantIbLb0EES1O_IbLb1EEEEDaS1K_S1L_EUlS1K_E_NS1_11comp_targetILNS1_3genE4ELNS1_11target_archE910ELNS1_3gpuE8ELNS1_3repE0EEENS1_30default_config_static_selectorELNS0_4arch9wavefront6targetE0EEEvSY_, .Lfunc_end1422-_ZN7rocprim17ROCPRIM_400000_NS6detail17trampoline_kernelINS0_13select_configILj256ELj13ELNS0_17block_load_methodE3ELS4_3ELS4_3ELNS0_20block_scan_algorithmE0ELj4294967295EEENS1_25partition_config_selectorILNS1_17partition_subalgoE3EjNS0_10empty_typeEbEEZZNS1_14partition_implILS8_3ELb0ES6_jNS0_17counting_iteratorIjlEEPS9_SE_NS0_5tupleIJPjSE_EEENSF_IJSE_SE_EEES9_SG_JZNS1_25segmented_radix_sort_implINS0_14default_configELb0EPKfPfPKlPlN2at6native12_GLOBAL__N_18offset_tEEE10hipError_tPvRmT1_PNSt15iterator_traitsISY_E10value_typeET2_T3_PNSZ_IS14_E10value_typeET4_jRbjT5_S1A_jjP12ihipStream_tbEUljE_EEESV_SW_SX_S14_S18_S1A_T6_T7_T9_mT8_S1C_bDpT10_ENKUlT_T0_E_clISt17integral_constantIbLb0EES1O_IbLb1EEEEDaS1K_S1L_EUlS1K_E_NS1_11comp_targetILNS1_3genE4ELNS1_11target_archE910ELNS1_3gpuE8ELNS1_3repE0EEENS1_30default_config_static_selectorELNS0_4arch9wavefront6targetE0EEEvSY_
                                        ; -- End function
	.set _ZN7rocprim17ROCPRIM_400000_NS6detail17trampoline_kernelINS0_13select_configILj256ELj13ELNS0_17block_load_methodE3ELS4_3ELS4_3ELNS0_20block_scan_algorithmE0ELj4294967295EEENS1_25partition_config_selectorILNS1_17partition_subalgoE3EjNS0_10empty_typeEbEEZZNS1_14partition_implILS8_3ELb0ES6_jNS0_17counting_iteratorIjlEEPS9_SE_NS0_5tupleIJPjSE_EEENSF_IJSE_SE_EEES9_SG_JZNS1_25segmented_radix_sort_implINS0_14default_configELb0EPKfPfPKlPlN2at6native12_GLOBAL__N_18offset_tEEE10hipError_tPvRmT1_PNSt15iterator_traitsISY_E10value_typeET2_T3_PNSZ_IS14_E10value_typeET4_jRbjT5_S1A_jjP12ihipStream_tbEUljE_EEESV_SW_SX_S14_S18_S1A_T6_T7_T9_mT8_S1C_bDpT10_ENKUlT_T0_E_clISt17integral_constantIbLb0EES1O_IbLb1EEEEDaS1K_S1L_EUlS1K_E_NS1_11comp_targetILNS1_3genE4ELNS1_11target_archE910ELNS1_3gpuE8ELNS1_3repE0EEENS1_30default_config_static_selectorELNS0_4arch9wavefront6targetE0EEEvSY_.num_vgpr, 0
	.set _ZN7rocprim17ROCPRIM_400000_NS6detail17trampoline_kernelINS0_13select_configILj256ELj13ELNS0_17block_load_methodE3ELS4_3ELS4_3ELNS0_20block_scan_algorithmE0ELj4294967295EEENS1_25partition_config_selectorILNS1_17partition_subalgoE3EjNS0_10empty_typeEbEEZZNS1_14partition_implILS8_3ELb0ES6_jNS0_17counting_iteratorIjlEEPS9_SE_NS0_5tupleIJPjSE_EEENSF_IJSE_SE_EEES9_SG_JZNS1_25segmented_radix_sort_implINS0_14default_configELb0EPKfPfPKlPlN2at6native12_GLOBAL__N_18offset_tEEE10hipError_tPvRmT1_PNSt15iterator_traitsISY_E10value_typeET2_T3_PNSZ_IS14_E10value_typeET4_jRbjT5_S1A_jjP12ihipStream_tbEUljE_EEESV_SW_SX_S14_S18_S1A_T6_T7_T9_mT8_S1C_bDpT10_ENKUlT_T0_E_clISt17integral_constantIbLb0EES1O_IbLb1EEEEDaS1K_S1L_EUlS1K_E_NS1_11comp_targetILNS1_3genE4ELNS1_11target_archE910ELNS1_3gpuE8ELNS1_3repE0EEENS1_30default_config_static_selectorELNS0_4arch9wavefront6targetE0EEEvSY_.num_agpr, 0
	.set _ZN7rocprim17ROCPRIM_400000_NS6detail17trampoline_kernelINS0_13select_configILj256ELj13ELNS0_17block_load_methodE3ELS4_3ELS4_3ELNS0_20block_scan_algorithmE0ELj4294967295EEENS1_25partition_config_selectorILNS1_17partition_subalgoE3EjNS0_10empty_typeEbEEZZNS1_14partition_implILS8_3ELb0ES6_jNS0_17counting_iteratorIjlEEPS9_SE_NS0_5tupleIJPjSE_EEENSF_IJSE_SE_EEES9_SG_JZNS1_25segmented_radix_sort_implINS0_14default_configELb0EPKfPfPKlPlN2at6native12_GLOBAL__N_18offset_tEEE10hipError_tPvRmT1_PNSt15iterator_traitsISY_E10value_typeET2_T3_PNSZ_IS14_E10value_typeET4_jRbjT5_S1A_jjP12ihipStream_tbEUljE_EEESV_SW_SX_S14_S18_S1A_T6_T7_T9_mT8_S1C_bDpT10_ENKUlT_T0_E_clISt17integral_constantIbLb0EES1O_IbLb1EEEEDaS1K_S1L_EUlS1K_E_NS1_11comp_targetILNS1_3genE4ELNS1_11target_archE910ELNS1_3gpuE8ELNS1_3repE0EEENS1_30default_config_static_selectorELNS0_4arch9wavefront6targetE0EEEvSY_.numbered_sgpr, 0
	.set _ZN7rocprim17ROCPRIM_400000_NS6detail17trampoline_kernelINS0_13select_configILj256ELj13ELNS0_17block_load_methodE3ELS4_3ELS4_3ELNS0_20block_scan_algorithmE0ELj4294967295EEENS1_25partition_config_selectorILNS1_17partition_subalgoE3EjNS0_10empty_typeEbEEZZNS1_14partition_implILS8_3ELb0ES6_jNS0_17counting_iteratorIjlEEPS9_SE_NS0_5tupleIJPjSE_EEENSF_IJSE_SE_EEES9_SG_JZNS1_25segmented_radix_sort_implINS0_14default_configELb0EPKfPfPKlPlN2at6native12_GLOBAL__N_18offset_tEEE10hipError_tPvRmT1_PNSt15iterator_traitsISY_E10value_typeET2_T3_PNSZ_IS14_E10value_typeET4_jRbjT5_S1A_jjP12ihipStream_tbEUljE_EEESV_SW_SX_S14_S18_S1A_T6_T7_T9_mT8_S1C_bDpT10_ENKUlT_T0_E_clISt17integral_constantIbLb0EES1O_IbLb1EEEEDaS1K_S1L_EUlS1K_E_NS1_11comp_targetILNS1_3genE4ELNS1_11target_archE910ELNS1_3gpuE8ELNS1_3repE0EEENS1_30default_config_static_selectorELNS0_4arch9wavefront6targetE0EEEvSY_.num_named_barrier, 0
	.set _ZN7rocprim17ROCPRIM_400000_NS6detail17trampoline_kernelINS0_13select_configILj256ELj13ELNS0_17block_load_methodE3ELS4_3ELS4_3ELNS0_20block_scan_algorithmE0ELj4294967295EEENS1_25partition_config_selectorILNS1_17partition_subalgoE3EjNS0_10empty_typeEbEEZZNS1_14partition_implILS8_3ELb0ES6_jNS0_17counting_iteratorIjlEEPS9_SE_NS0_5tupleIJPjSE_EEENSF_IJSE_SE_EEES9_SG_JZNS1_25segmented_radix_sort_implINS0_14default_configELb0EPKfPfPKlPlN2at6native12_GLOBAL__N_18offset_tEEE10hipError_tPvRmT1_PNSt15iterator_traitsISY_E10value_typeET2_T3_PNSZ_IS14_E10value_typeET4_jRbjT5_S1A_jjP12ihipStream_tbEUljE_EEESV_SW_SX_S14_S18_S1A_T6_T7_T9_mT8_S1C_bDpT10_ENKUlT_T0_E_clISt17integral_constantIbLb0EES1O_IbLb1EEEEDaS1K_S1L_EUlS1K_E_NS1_11comp_targetILNS1_3genE4ELNS1_11target_archE910ELNS1_3gpuE8ELNS1_3repE0EEENS1_30default_config_static_selectorELNS0_4arch9wavefront6targetE0EEEvSY_.private_seg_size, 0
	.set _ZN7rocprim17ROCPRIM_400000_NS6detail17trampoline_kernelINS0_13select_configILj256ELj13ELNS0_17block_load_methodE3ELS4_3ELS4_3ELNS0_20block_scan_algorithmE0ELj4294967295EEENS1_25partition_config_selectorILNS1_17partition_subalgoE3EjNS0_10empty_typeEbEEZZNS1_14partition_implILS8_3ELb0ES6_jNS0_17counting_iteratorIjlEEPS9_SE_NS0_5tupleIJPjSE_EEENSF_IJSE_SE_EEES9_SG_JZNS1_25segmented_radix_sort_implINS0_14default_configELb0EPKfPfPKlPlN2at6native12_GLOBAL__N_18offset_tEEE10hipError_tPvRmT1_PNSt15iterator_traitsISY_E10value_typeET2_T3_PNSZ_IS14_E10value_typeET4_jRbjT5_S1A_jjP12ihipStream_tbEUljE_EEESV_SW_SX_S14_S18_S1A_T6_T7_T9_mT8_S1C_bDpT10_ENKUlT_T0_E_clISt17integral_constantIbLb0EES1O_IbLb1EEEEDaS1K_S1L_EUlS1K_E_NS1_11comp_targetILNS1_3genE4ELNS1_11target_archE910ELNS1_3gpuE8ELNS1_3repE0EEENS1_30default_config_static_selectorELNS0_4arch9wavefront6targetE0EEEvSY_.uses_vcc, 0
	.set _ZN7rocprim17ROCPRIM_400000_NS6detail17trampoline_kernelINS0_13select_configILj256ELj13ELNS0_17block_load_methodE3ELS4_3ELS4_3ELNS0_20block_scan_algorithmE0ELj4294967295EEENS1_25partition_config_selectorILNS1_17partition_subalgoE3EjNS0_10empty_typeEbEEZZNS1_14partition_implILS8_3ELb0ES6_jNS0_17counting_iteratorIjlEEPS9_SE_NS0_5tupleIJPjSE_EEENSF_IJSE_SE_EEES9_SG_JZNS1_25segmented_radix_sort_implINS0_14default_configELb0EPKfPfPKlPlN2at6native12_GLOBAL__N_18offset_tEEE10hipError_tPvRmT1_PNSt15iterator_traitsISY_E10value_typeET2_T3_PNSZ_IS14_E10value_typeET4_jRbjT5_S1A_jjP12ihipStream_tbEUljE_EEESV_SW_SX_S14_S18_S1A_T6_T7_T9_mT8_S1C_bDpT10_ENKUlT_T0_E_clISt17integral_constantIbLb0EES1O_IbLb1EEEEDaS1K_S1L_EUlS1K_E_NS1_11comp_targetILNS1_3genE4ELNS1_11target_archE910ELNS1_3gpuE8ELNS1_3repE0EEENS1_30default_config_static_selectorELNS0_4arch9wavefront6targetE0EEEvSY_.uses_flat_scratch, 0
	.set _ZN7rocprim17ROCPRIM_400000_NS6detail17trampoline_kernelINS0_13select_configILj256ELj13ELNS0_17block_load_methodE3ELS4_3ELS4_3ELNS0_20block_scan_algorithmE0ELj4294967295EEENS1_25partition_config_selectorILNS1_17partition_subalgoE3EjNS0_10empty_typeEbEEZZNS1_14partition_implILS8_3ELb0ES6_jNS0_17counting_iteratorIjlEEPS9_SE_NS0_5tupleIJPjSE_EEENSF_IJSE_SE_EEES9_SG_JZNS1_25segmented_radix_sort_implINS0_14default_configELb0EPKfPfPKlPlN2at6native12_GLOBAL__N_18offset_tEEE10hipError_tPvRmT1_PNSt15iterator_traitsISY_E10value_typeET2_T3_PNSZ_IS14_E10value_typeET4_jRbjT5_S1A_jjP12ihipStream_tbEUljE_EEESV_SW_SX_S14_S18_S1A_T6_T7_T9_mT8_S1C_bDpT10_ENKUlT_T0_E_clISt17integral_constantIbLb0EES1O_IbLb1EEEEDaS1K_S1L_EUlS1K_E_NS1_11comp_targetILNS1_3genE4ELNS1_11target_archE910ELNS1_3gpuE8ELNS1_3repE0EEENS1_30default_config_static_selectorELNS0_4arch9wavefront6targetE0EEEvSY_.has_dyn_sized_stack, 0
	.set _ZN7rocprim17ROCPRIM_400000_NS6detail17trampoline_kernelINS0_13select_configILj256ELj13ELNS0_17block_load_methodE3ELS4_3ELS4_3ELNS0_20block_scan_algorithmE0ELj4294967295EEENS1_25partition_config_selectorILNS1_17partition_subalgoE3EjNS0_10empty_typeEbEEZZNS1_14partition_implILS8_3ELb0ES6_jNS0_17counting_iteratorIjlEEPS9_SE_NS0_5tupleIJPjSE_EEENSF_IJSE_SE_EEES9_SG_JZNS1_25segmented_radix_sort_implINS0_14default_configELb0EPKfPfPKlPlN2at6native12_GLOBAL__N_18offset_tEEE10hipError_tPvRmT1_PNSt15iterator_traitsISY_E10value_typeET2_T3_PNSZ_IS14_E10value_typeET4_jRbjT5_S1A_jjP12ihipStream_tbEUljE_EEESV_SW_SX_S14_S18_S1A_T6_T7_T9_mT8_S1C_bDpT10_ENKUlT_T0_E_clISt17integral_constantIbLb0EES1O_IbLb1EEEEDaS1K_S1L_EUlS1K_E_NS1_11comp_targetILNS1_3genE4ELNS1_11target_archE910ELNS1_3gpuE8ELNS1_3repE0EEENS1_30default_config_static_selectorELNS0_4arch9wavefront6targetE0EEEvSY_.has_recursion, 0
	.set _ZN7rocprim17ROCPRIM_400000_NS6detail17trampoline_kernelINS0_13select_configILj256ELj13ELNS0_17block_load_methodE3ELS4_3ELS4_3ELNS0_20block_scan_algorithmE0ELj4294967295EEENS1_25partition_config_selectorILNS1_17partition_subalgoE3EjNS0_10empty_typeEbEEZZNS1_14partition_implILS8_3ELb0ES6_jNS0_17counting_iteratorIjlEEPS9_SE_NS0_5tupleIJPjSE_EEENSF_IJSE_SE_EEES9_SG_JZNS1_25segmented_radix_sort_implINS0_14default_configELb0EPKfPfPKlPlN2at6native12_GLOBAL__N_18offset_tEEE10hipError_tPvRmT1_PNSt15iterator_traitsISY_E10value_typeET2_T3_PNSZ_IS14_E10value_typeET4_jRbjT5_S1A_jjP12ihipStream_tbEUljE_EEESV_SW_SX_S14_S18_S1A_T6_T7_T9_mT8_S1C_bDpT10_ENKUlT_T0_E_clISt17integral_constantIbLb0EES1O_IbLb1EEEEDaS1K_S1L_EUlS1K_E_NS1_11comp_targetILNS1_3genE4ELNS1_11target_archE910ELNS1_3gpuE8ELNS1_3repE0EEENS1_30default_config_static_selectorELNS0_4arch9wavefront6targetE0EEEvSY_.has_indirect_call, 0
	.section	.AMDGPU.csdata,"",@progbits
; Kernel info:
; codeLenInByte = 0
; TotalNumSgprs: 0
; NumVgprs: 0
; ScratchSize: 0
; MemoryBound: 0
; FloatMode: 240
; IeeeMode: 1
; LDSByteSize: 0 bytes/workgroup (compile time only)
; SGPRBlocks: 0
; VGPRBlocks: 0
; NumSGPRsForWavesPerEU: 1
; NumVGPRsForWavesPerEU: 1
; Occupancy: 16
; WaveLimiterHint : 0
; COMPUTE_PGM_RSRC2:SCRATCH_EN: 0
; COMPUTE_PGM_RSRC2:USER_SGPR: 2
; COMPUTE_PGM_RSRC2:TRAP_HANDLER: 0
; COMPUTE_PGM_RSRC2:TGID_X_EN: 1
; COMPUTE_PGM_RSRC2:TGID_Y_EN: 0
; COMPUTE_PGM_RSRC2:TGID_Z_EN: 0
; COMPUTE_PGM_RSRC2:TIDIG_COMP_CNT: 0
	.section	.text._ZN7rocprim17ROCPRIM_400000_NS6detail17trampoline_kernelINS0_13select_configILj256ELj13ELNS0_17block_load_methodE3ELS4_3ELS4_3ELNS0_20block_scan_algorithmE0ELj4294967295EEENS1_25partition_config_selectorILNS1_17partition_subalgoE3EjNS0_10empty_typeEbEEZZNS1_14partition_implILS8_3ELb0ES6_jNS0_17counting_iteratorIjlEEPS9_SE_NS0_5tupleIJPjSE_EEENSF_IJSE_SE_EEES9_SG_JZNS1_25segmented_radix_sort_implINS0_14default_configELb0EPKfPfPKlPlN2at6native12_GLOBAL__N_18offset_tEEE10hipError_tPvRmT1_PNSt15iterator_traitsISY_E10value_typeET2_T3_PNSZ_IS14_E10value_typeET4_jRbjT5_S1A_jjP12ihipStream_tbEUljE_EEESV_SW_SX_S14_S18_S1A_T6_T7_T9_mT8_S1C_bDpT10_ENKUlT_T0_E_clISt17integral_constantIbLb0EES1O_IbLb1EEEEDaS1K_S1L_EUlS1K_E_NS1_11comp_targetILNS1_3genE3ELNS1_11target_archE908ELNS1_3gpuE7ELNS1_3repE0EEENS1_30default_config_static_selectorELNS0_4arch9wavefront6targetE0EEEvSY_,"axG",@progbits,_ZN7rocprim17ROCPRIM_400000_NS6detail17trampoline_kernelINS0_13select_configILj256ELj13ELNS0_17block_load_methodE3ELS4_3ELS4_3ELNS0_20block_scan_algorithmE0ELj4294967295EEENS1_25partition_config_selectorILNS1_17partition_subalgoE3EjNS0_10empty_typeEbEEZZNS1_14partition_implILS8_3ELb0ES6_jNS0_17counting_iteratorIjlEEPS9_SE_NS0_5tupleIJPjSE_EEENSF_IJSE_SE_EEES9_SG_JZNS1_25segmented_radix_sort_implINS0_14default_configELb0EPKfPfPKlPlN2at6native12_GLOBAL__N_18offset_tEEE10hipError_tPvRmT1_PNSt15iterator_traitsISY_E10value_typeET2_T3_PNSZ_IS14_E10value_typeET4_jRbjT5_S1A_jjP12ihipStream_tbEUljE_EEESV_SW_SX_S14_S18_S1A_T6_T7_T9_mT8_S1C_bDpT10_ENKUlT_T0_E_clISt17integral_constantIbLb0EES1O_IbLb1EEEEDaS1K_S1L_EUlS1K_E_NS1_11comp_targetILNS1_3genE3ELNS1_11target_archE908ELNS1_3gpuE7ELNS1_3repE0EEENS1_30default_config_static_selectorELNS0_4arch9wavefront6targetE0EEEvSY_,comdat
	.globl	_ZN7rocprim17ROCPRIM_400000_NS6detail17trampoline_kernelINS0_13select_configILj256ELj13ELNS0_17block_load_methodE3ELS4_3ELS4_3ELNS0_20block_scan_algorithmE0ELj4294967295EEENS1_25partition_config_selectorILNS1_17partition_subalgoE3EjNS0_10empty_typeEbEEZZNS1_14partition_implILS8_3ELb0ES6_jNS0_17counting_iteratorIjlEEPS9_SE_NS0_5tupleIJPjSE_EEENSF_IJSE_SE_EEES9_SG_JZNS1_25segmented_radix_sort_implINS0_14default_configELb0EPKfPfPKlPlN2at6native12_GLOBAL__N_18offset_tEEE10hipError_tPvRmT1_PNSt15iterator_traitsISY_E10value_typeET2_T3_PNSZ_IS14_E10value_typeET4_jRbjT5_S1A_jjP12ihipStream_tbEUljE_EEESV_SW_SX_S14_S18_S1A_T6_T7_T9_mT8_S1C_bDpT10_ENKUlT_T0_E_clISt17integral_constantIbLb0EES1O_IbLb1EEEEDaS1K_S1L_EUlS1K_E_NS1_11comp_targetILNS1_3genE3ELNS1_11target_archE908ELNS1_3gpuE7ELNS1_3repE0EEENS1_30default_config_static_selectorELNS0_4arch9wavefront6targetE0EEEvSY_ ; -- Begin function _ZN7rocprim17ROCPRIM_400000_NS6detail17trampoline_kernelINS0_13select_configILj256ELj13ELNS0_17block_load_methodE3ELS4_3ELS4_3ELNS0_20block_scan_algorithmE0ELj4294967295EEENS1_25partition_config_selectorILNS1_17partition_subalgoE3EjNS0_10empty_typeEbEEZZNS1_14partition_implILS8_3ELb0ES6_jNS0_17counting_iteratorIjlEEPS9_SE_NS0_5tupleIJPjSE_EEENSF_IJSE_SE_EEES9_SG_JZNS1_25segmented_radix_sort_implINS0_14default_configELb0EPKfPfPKlPlN2at6native12_GLOBAL__N_18offset_tEEE10hipError_tPvRmT1_PNSt15iterator_traitsISY_E10value_typeET2_T3_PNSZ_IS14_E10value_typeET4_jRbjT5_S1A_jjP12ihipStream_tbEUljE_EEESV_SW_SX_S14_S18_S1A_T6_T7_T9_mT8_S1C_bDpT10_ENKUlT_T0_E_clISt17integral_constantIbLb0EES1O_IbLb1EEEEDaS1K_S1L_EUlS1K_E_NS1_11comp_targetILNS1_3genE3ELNS1_11target_archE908ELNS1_3gpuE7ELNS1_3repE0EEENS1_30default_config_static_selectorELNS0_4arch9wavefront6targetE0EEEvSY_
	.p2align	8
	.type	_ZN7rocprim17ROCPRIM_400000_NS6detail17trampoline_kernelINS0_13select_configILj256ELj13ELNS0_17block_load_methodE3ELS4_3ELS4_3ELNS0_20block_scan_algorithmE0ELj4294967295EEENS1_25partition_config_selectorILNS1_17partition_subalgoE3EjNS0_10empty_typeEbEEZZNS1_14partition_implILS8_3ELb0ES6_jNS0_17counting_iteratorIjlEEPS9_SE_NS0_5tupleIJPjSE_EEENSF_IJSE_SE_EEES9_SG_JZNS1_25segmented_radix_sort_implINS0_14default_configELb0EPKfPfPKlPlN2at6native12_GLOBAL__N_18offset_tEEE10hipError_tPvRmT1_PNSt15iterator_traitsISY_E10value_typeET2_T3_PNSZ_IS14_E10value_typeET4_jRbjT5_S1A_jjP12ihipStream_tbEUljE_EEESV_SW_SX_S14_S18_S1A_T6_T7_T9_mT8_S1C_bDpT10_ENKUlT_T0_E_clISt17integral_constantIbLb0EES1O_IbLb1EEEEDaS1K_S1L_EUlS1K_E_NS1_11comp_targetILNS1_3genE3ELNS1_11target_archE908ELNS1_3gpuE7ELNS1_3repE0EEENS1_30default_config_static_selectorELNS0_4arch9wavefront6targetE0EEEvSY_,@function
_ZN7rocprim17ROCPRIM_400000_NS6detail17trampoline_kernelINS0_13select_configILj256ELj13ELNS0_17block_load_methodE3ELS4_3ELS4_3ELNS0_20block_scan_algorithmE0ELj4294967295EEENS1_25partition_config_selectorILNS1_17partition_subalgoE3EjNS0_10empty_typeEbEEZZNS1_14partition_implILS8_3ELb0ES6_jNS0_17counting_iteratorIjlEEPS9_SE_NS0_5tupleIJPjSE_EEENSF_IJSE_SE_EEES9_SG_JZNS1_25segmented_radix_sort_implINS0_14default_configELb0EPKfPfPKlPlN2at6native12_GLOBAL__N_18offset_tEEE10hipError_tPvRmT1_PNSt15iterator_traitsISY_E10value_typeET2_T3_PNSZ_IS14_E10value_typeET4_jRbjT5_S1A_jjP12ihipStream_tbEUljE_EEESV_SW_SX_S14_S18_S1A_T6_T7_T9_mT8_S1C_bDpT10_ENKUlT_T0_E_clISt17integral_constantIbLb0EES1O_IbLb1EEEEDaS1K_S1L_EUlS1K_E_NS1_11comp_targetILNS1_3genE3ELNS1_11target_archE908ELNS1_3gpuE7ELNS1_3repE0EEENS1_30default_config_static_selectorELNS0_4arch9wavefront6targetE0EEEvSY_: ; @_ZN7rocprim17ROCPRIM_400000_NS6detail17trampoline_kernelINS0_13select_configILj256ELj13ELNS0_17block_load_methodE3ELS4_3ELS4_3ELNS0_20block_scan_algorithmE0ELj4294967295EEENS1_25partition_config_selectorILNS1_17partition_subalgoE3EjNS0_10empty_typeEbEEZZNS1_14partition_implILS8_3ELb0ES6_jNS0_17counting_iteratorIjlEEPS9_SE_NS0_5tupleIJPjSE_EEENSF_IJSE_SE_EEES9_SG_JZNS1_25segmented_radix_sort_implINS0_14default_configELb0EPKfPfPKlPlN2at6native12_GLOBAL__N_18offset_tEEE10hipError_tPvRmT1_PNSt15iterator_traitsISY_E10value_typeET2_T3_PNSZ_IS14_E10value_typeET4_jRbjT5_S1A_jjP12ihipStream_tbEUljE_EEESV_SW_SX_S14_S18_S1A_T6_T7_T9_mT8_S1C_bDpT10_ENKUlT_T0_E_clISt17integral_constantIbLb0EES1O_IbLb1EEEEDaS1K_S1L_EUlS1K_E_NS1_11comp_targetILNS1_3genE3ELNS1_11target_archE908ELNS1_3gpuE7ELNS1_3repE0EEENS1_30default_config_static_selectorELNS0_4arch9wavefront6targetE0EEEvSY_
; %bb.0:
	.section	.rodata,"a",@progbits
	.p2align	6, 0x0
	.amdhsa_kernel _ZN7rocprim17ROCPRIM_400000_NS6detail17trampoline_kernelINS0_13select_configILj256ELj13ELNS0_17block_load_methodE3ELS4_3ELS4_3ELNS0_20block_scan_algorithmE0ELj4294967295EEENS1_25partition_config_selectorILNS1_17partition_subalgoE3EjNS0_10empty_typeEbEEZZNS1_14partition_implILS8_3ELb0ES6_jNS0_17counting_iteratorIjlEEPS9_SE_NS0_5tupleIJPjSE_EEENSF_IJSE_SE_EEES9_SG_JZNS1_25segmented_radix_sort_implINS0_14default_configELb0EPKfPfPKlPlN2at6native12_GLOBAL__N_18offset_tEEE10hipError_tPvRmT1_PNSt15iterator_traitsISY_E10value_typeET2_T3_PNSZ_IS14_E10value_typeET4_jRbjT5_S1A_jjP12ihipStream_tbEUljE_EEESV_SW_SX_S14_S18_S1A_T6_T7_T9_mT8_S1C_bDpT10_ENKUlT_T0_E_clISt17integral_constantIbLb0EES1O_IbLb1EEEEDaS1K_S1L_EUlS1K_E_NS1_11comp_targetILNS1_3genE3ELNS1_11target_archE908ELNS1_3gpuE7ELNS1_3repE0EEENS1_30default_config_static_selectorELNS0_4arch9wavefront6targetE0EEEvSY_
		.amdhsa_group_segment_fixed_size 0
		.amdhsa_private_segment_fixed_size 0
		.amdhsa_kernarg_size 152
		.amdhsa_user_sgpr_count 2
		.amdhsa_user_sgpr_dispatch_ptr 0
		.amdhsa_user_sgpr_queue_ptr 0
		.amdhsa_user_sgpr_kernarg_segment_ptr 1
		.amdhsa_user_sgpr_dispatch_id 0
		.amdhsa_user_sgpr_private_segment_size 0
		.amdhsa_wavefront_size32 1
		.amdhsa_uses_dynamic_stack 0
		.amdhsa_enable_private_segment 0
		.amdhsa_system_sgpr_workgroup_id_x 1
		.amdhsa_system_sgpr_workgroup_id_y 0
		.amdhsa_system_sgpr_workgroup_id_z 0
		.amdhsa_system_sgpr_workgroup_info 0
		.amdhsa_system_vgpr_workitem_id 0
		.amdhsa_next_free_vgpr 1
		.amdhsa_next_free_sgpr 1
		.amdhsa_reserve_vcc 0
		.amdhsa_float_round_mode_32 0
		.amdhsa_float_round_mode_16_64 0
		.amdhsa_float_denorm_mode_32 3
		.amdhsa_float_denorm_mode_16_64 3
		.amdhsa_fp16_overflow 0
		.amdhsa_workgroup_processor_mode 1
		.amdhsa_memory_ordered 1
		.amdhsa_forward_progress 1
		.amdhsa_inst_pref_size 0
		.amdhsa_round_robin_scheduling 0
		.amdhsa_exception_fp_ieee_invalid_op 0
		.amdhsa_exception_fp_denorm_src 0
		.amdhsa_exception_fp_ieee_div_zero 0
		.amdhsa_exception_fp_ieee_overflow 0
		.amdhsa_exception_fp_ieee_underflow 0
		.amdhsa_exception_fp_ieee_inexact 0
		.amdhsa_exception_int_div_zero 0
	.end_amdhsa_kernel
	.section	.text._ZN7rocprim17ROCPRIM_400000_NS6detail17trampoline_kernelINS0_13select_configILj256ELj13ELNS0_17block_load_methodE3ELS4_3ELS4_3ELNS0_20block_scan_algorithmE0ELj4294967295EEENS1_25partition_config_selectorILNS1_17partition_subalgoE3EjNS0_10empty_typeEbEEZZNS1_14partition_implILS8_3ELb0ES6_jNS0_17counting_iteratorIjlEEPS9_SE_NS0_5tupleIJPjSE_EEENSF_IJSE_SE_EEES9_SG_JZNS1_25segmented_radix_sort_implINS0_14default_configELb0EPKfPfPKlPlN2at6native12_GLOBAL__N_18offset_tEEE10hipError_tPvRmT1_PNSt15iterator_traitsISY_E10value_typeET2_T3_PNSZ_IS14_E10value_typeET4_jRbjT5_S1A_jjP12ihipStream_tbEUljE_EEESV_SW_SX_S14_S18_S1A_T6_T7_T9_mT8_S1C_bDpT10_ENKUlT_T0_E_clISt17integral_constantIbLb0EES1O_IbLb1EEEEDaS1K_S1L_EUlS1K_E_NS1_11comp_targetILNS1_3genE3ELNS1_11target_archE908ELNS1_3gpuE7ELNS1_3repE0EEENS1_30default_config_static_selectorELNS0_4arch9wavefront6targetE0EEEvSY_,"axG",@progbits,_ZN7rocprim17ROCPRIM_400000_NS6detail17trampoline_kernelINS0_13select_configILj256ELj13ELNS0_17block_load_methodE3ELS4_3ELS4_3ELNS0_20block_scan_algorithmE0ELj4294967295EEENS1_25partition_config_selectorILNS1_17partition_subalgoE3EjNS0_10empty_typeEbEEZZNS1_14partition_implILS8_3ELb0ES6_jNS0_17counting_iteratorIjlEEPS9_SE_NS0_5tupleIJPjSE_EEENSF_IJSE_SE_EEES9_SG_JZNS1_25segmented_radix_sort_implINS0_14default_configELb0EPKfPfPKlPlN2at6native12_GLOBAL__N_18offset_tEEE10hipError_tPvRmT1_PNSt15iterator_traitsISY_E10value_typeET2_T3_PNSZ_IS14_E10value_typeET4_jRbjT5_S1A_jjP12ihipStream_tbEUljE_EEESV_SW_SX_S14_S18_S1A_T6_T7_T9_mT8_S1C_bDpT10_ENKUlT_T0_E_clISt17integral_constantIbLb0EES1O_IbLb1EEEEDaS1K_S1L_EUlS1K_E_NS1_11comp_targetILNS1_3genE3ELNS1_11target_archE908ELNS1_3gpuE7ELNS1_3repE0EEENS1_30default_config_static_selectorELNS0_4arch9wavefront6targetE0EEEvSY_,comdat
.Lfunc_end1423:
	.size	_ZN7rocprim17ROCPRIM_400000_NS6detail17trampoline_kernelINS0_13select_configILj256ELj13ELNS0_17block_load_methodE3ELS4_3ELS4_3ELNS0_20block_scan_algorithmE0ELj4294967295EEENS1_25partition_config_selectorILNS1_17partition_subalgoE3EjNS0_10empty_typeEbEEZZNS1_14partition_implILS8_3ELb0ES6_jNS0_17counting_iteratorIjlEEPS9_SE_NS0_5tupleIJPjSE_EEENSF_IJSE_SE_EEES9_SG_JZNS1_25segmented_radix_sort_implINS0_14default_configELb0EPKfPfPKlPlN2at6native12_GLOBAL__N_18offset_tEEE10hipError_tPvRmT1_PNSt15iterator_traitsISY_E10value_typeET2_T3_PNSZ_IS14_E10value_typeET4_jRbjT5_S1A_jjP12ihipStream_tbEUljE_EEESV_SW_SX_S14_S18_S1A_T6_T7_T9_mT8_S1C_bDpT10_ENKUlT_T0_E_clISt17integral_constantIbLb0EES1O_IbLb1EEEEDaS1K_S1L_EUlS1K_E_NS1_11comp_targetILNS1_3genE3ELNS1_11target_archE908ELNS1_3gpuE7ELNS1_3repE0EEENS1_30default_config_static_selectorELNS0_4arch9wavefront6targetE0EEEvSY_, .Lfunc_end1423-_ZN7rocprim17ROCPRIM_400000_NS6detail17trampoline_kernelINS0_13select_configILj256ELj13ELNS0_17block_load_methodE3ELS4_3ELS4_3ELNS0_20block_scan_algorithmE0ELj4294967295EEENS1_25partition_config_selectorILNS1_17partition_subalgoE3EjNS0_10empty_typeEbEEZZNS1_14partition_implILS8_3ELb0ES6_jNS0_17counting_iteratorIjlEEPS9_SE_NS0_5tupleIJPjSE_EEENSF_IJSE_SE_EEES9_SG_JZNS1_25segmented_radix_sort_implINS0_14default_configELb0EPKfPfPKlPlN2at6native12_GLOBAL__N_18offset_tEEE10hipError_tPvRmT1_PNSt15iterator_traitsISY_E10value_typeET2_T3_PNSZ_IS14_E10value_typeET4_jRbjT5_S1A_jjP12ihipStream_tbEUljE_EEESV_SW_SX_S14_S18_S1A_T6_T7_T9_mT8_S1C_bDpT10_ENKUlT_T0_E_clISt17integral_constantIbLb0EES1O_IbLb1EEEEDaS1K_S1L_EUlS1K_E_NS1_11comp_targetILNS1_3genE3ELNS1_11target_archE908ELNS1_3gpuE7ELNS1_3repE0EEENS1_30default_config_static_selectorELNS0_4arch9wavefront6targetE0EEEvSY_
                                        ; -- End function
	.set _ZN7rocprim17ROCPRIM_400000_NS6detail17trampoline_kernelINS0_13select_configILj256ELj13ELNS0_17block_load_methodE3ELS4_3ELS4_3ELNS0_20block_scan_algorithmE0ELj4294967295EEENS1_25partition_config_selectorILNS1_17partition_subalgoE3EjNS0_10empty_typeEbEEZZNS1_14partition_implILS8_3ELb0ES6_jNS0_17counting_iteratorIjlEEPS9_SE_NS0_5tupleIJPjSE_EEENSF_IJSE_SE_EEES9_SG_JZNS1_25segmented_radix_sort_implINS0_14default_configELb0EPKfPfPKlPlN2at6native12_GLOBAL__N_18offset_tEEE10hipError_tPvRmT1_PNSt15iterator_traitsISY_E10value_typeET2_T3_PNSZ_IS14_E10value_typeET4_jRbjT5_S1A_jjP12ihipStream_tbEUljE_EEESV_SW_SX_S14_S18_S1A_T6_T7_T9_mT8_S1C_bDpT10_ENKUlT_T0_E_clISt17integral_constantIbLb0EES1O_IbLb1EEEEDaS1K_S1L_EUlS1K_E_NS1_11comp_targetILNS1_3genE3ELNS1_11target_archE908ELNS1_3gpuE7ELNS1_3repE0EEENS1_30default_config_static_selectorELNS0_4arch9wavefront6targetE0EEEvSY_.num_vgpr, 0
	.set _ZN7rocprim17ROCPRIM_400000_NS6detail17trampoline_kernelINS0_13select_configILj256ELj13ELNS0_17block_load_methodE3ELS4_3ELS4_3ELNS0_20block_scan_algorithmE0ELj4294967295EEENS1_25partition_config_selectorILNS1_17partition_subalgoE3EjNS0_10empty_typeEbEEZZNS1_14partition_implILS8_3ELb0ES6_jNS0_17counting_iteratorIjlEEPS9_SE_NS0_5tupleIJPjSE_EEENSF_IJSE_SE_EEES9_SG_JZNS1_25segmented_radix_sort_implINS0_14default_configELb0EPKfPfPKlPlN2at6native12_GLOBAL__N_18offset_tEEE10hipError_tPvRmT1_PNSt15iterator_traitsISY_E10value_typeET2_T3_PNSZ_IS14_E10value_typeET4_jRbjT5_S1A_jjP12ihipStream_tbEUljE_EEESV_SW_SX_S14_S18_S1A_T6_T7_T9_mT8_S1C_bDpT10_ENKUlT_T0_E_clISt17integral_constantIbLb0EES1O_IbLb1EEEEDaS1K_S1L_EUlS1K_E_NS1_11comp_targetILNS1_3genE3ELNS1_11target_archE908ELNS1_3gpuE7ELNS1_3repE0EEENS1_30default_config_static_selectorELNS0_4arch9wavefront6targetE0EEEvSY_.num_agpr, 0
	.set _ZN7rocprim17ROCPRIM_400000_NS6detail17trampoline_kernelINS0_13select_configILj256ELj13ELNS0_17block_load_methodE3ELS4_3ELS4_3ELNS0_20block_scan_algorithmE0ELj4294967295EEENS1_25partition_config_selectorILNS1_17partition_subalgoE3EjNS0_10empty_typeEbEEZZNS1_14partition_implILS8_3ELb0ES6_jNS0_17counting_iteratorIjlEEPS9_SE_NS0_5tupleIJPjSE_EEENSF_IJSE_SE_EEES9_SG_JZNS1_25segmented_radix_sort_implINS0_14default_configELb0EPKfPfPKlPlN2at6native12_GLOBAL__N_18offset_tEEE10hipError_tPvRmT1_PNSt15iterator_traitsISY_E10value_typeET2_T3_PNSZ_IS14_E10value_typeET4_jRbjT5_S1A_jjP12ihipStream_tbEUljE_EEESV_SW_SX_S14_S18_S1A_T6_T7_T9_mT8_S1C_bDpT10_ENKUlT_T0_E_clISt17integral_constantIbLb0EES1O_IbLb1EEEEDaS1K_S1L_EUlS1K_E_NS1_11comp_targetILNS1_3genE3ELNS1_11target_archE908ELNS1_3gpuE7ELNS1_3repE0EEENS1_30default_config_static_selectorELNS0_4arch9wavefront6targetE0EEEvSY_.numbered_sgpr, 0
	.set _ZN7rocprim17ROCPRIM_400000_NS6detail17trampoline_kernelINS0_13select_configILj256ELj13ELNS0_17block_load_methodE3ELS4_3ELS4_3ELNS0_20block_scan_algorithmE0ELj4294967295EEENS1_25partition_config_selectorILNS1_17partition_subalgoE3EjNS0_10empty_typeEbEEZZNS1_14partition_implILS8_3ELb0ES6_jNS0_17counting_iteratorIjlEEPS9_SE_NS0_5tupleIJPjSE_EEENSF_IJSE_SE_EEES9_SG_JZNS1_25segmented_radix_sort_implINS0_14default_configELb0EPKfPfPKlPlN2at6native12_GLOBAL__N_18offset_tEEE10hipError_tPvRmT1_PNSt15iterator_traitsISY_E10value_typeET2_T3_PNSZ_IS14_E10value_typeET4_jRbjT5_S1A_jjP12ihipStream_tbEUljE_EEESV_SW_SX_S14_S18_S1A_T6_T7_T9_mT8_S1C_bDpT10_ENKUlT_T0_E_clISt17integral_constantIbLb0EES1O_IbLb1EEEEDaS1K_S1L_EUlS1K_E_NS1_11comp_targetILNS1_3genE3ELNS1_11target_archE908ELNS1_3gpuE7ELNS1_3repE0EEENS1_30default_config_static_selectorELNS0_4arch9wavefront6targetE0EEEvSY_.num_named_barrier, 0
	.set _ZN7rocprim17ROCPRIM_400000_NS6detail17trampoline_kernelINS0_13select_configILj256ELj13ELNS0_17block_load_methodE3ELS4_3ELS4_3ELNS0_20block_scan_algorithmE0ELj4294967295EEENS1_25partition_config_selectorILNS1_17partition_subalgoE3EjNS0_10empty_typeEbEEZZNS1_14partition_implILS8_3ELb0ES6_jNS0_17counting_iteratorIjlEEPS9_SE_NS0_5tupleIJPjSE_EEENSF_IJSE_SE_EEES9_SG_JZNS1_25segmented_radix_sort_implINS0_14default_configELb0EPKfPfPKlPlN2at6native12_GLOBAL__N_18offset_tEEE10hipError_tPvRmT1_PNSt15iterator_traitsISY_E10value_typeET2_T3_PNSZ_IS14_E10value_typeET4_jRbjT5_S1A_jjP12ihipStream_tbEUljE_EEESV_SW_SX_S14_S18_S1A_T6_T7_T9_mT8_S1C_bDpT10_ENKUlT_T0_E_clISt17integral_constantIbLb0EES1O_IbLb1EEEEDaS1K_S1L_EUlS1K_E_NS1_11comp_targetILNS1_3genE3ELNS1_11target_archE908ELNS1_3gpuE7ELNS1_3repE0EEENS1_30default_config_static_selectorELNS0_4arch9wavefront6targetE0EEEvSY_.private_seg_size, 0
	.set _ZN7rocprim17ROCPRIM_400000_NS6detail17trampoline_kernelINS0_13select_configILj256ELj13ELNS0_17block_load_methodE3ELS4_3ELS4_3ELNS0_20block_scan_algorithmE0ELj4294967295EEENS1_25partition_config_selectorILNS1_17partition_subalgoE3EjNS0_10empty_typeEbEEZZNS1_14partition_implILS8_3ELb0ES6_jNS0_17counting_iteratorIjlEEPS9_SE_NS0_5tupleIJPjSE_EEENSF_IJSE_SE_EEES9_SG_JZNS1_25segmented_radix_sort_implINS0_14default_configELb0EPKfPfPKlPlN2at6native12_GLOBAL__N_18offset_tEEE10hipError_tPvRmT1_PNSt15iterator_traitsISY_E10value_typeET2_T3_PNSZ_IS14_E10value_typeET4_jRbjT5_S1A_jjP12ihipStream_tbEUljE_EEESV_SW_SX_S14_S18_S1A_T6_T7_T9_mT8_S1C_bDpT10_ENKUlT_T0_E_clISt17integral_constantIbLb0EES1O_IbLb1EEEEDaS1K_S1L_EUlS1K_E_NS1_11comp_targetILNS1_3genE3ELNS1_11target_archE908ELNS1_3gpuE7ELNS1_3repE0EEENS1_30default_config_static_selectorELNS0_4arch9wavefront6targetE0EEEvSY_.uses_vcc, 0
	.set _ZN7rocprim17ROCPRIM_400000_NS6detail17trampoline_kernelINS0_13select_configILj256ELj13ELNS0_17block_load_methodE3ELS4_3ELS4_3ELNS0_20block_scan_algorithmE0ELj4294967295EEENS1_25partition_config_selectorILNS1_17partition_subalgoE3EjNS0_10empty_typeEbEEZZNS1_14partition_implILS8_3ELb0ES6_jNS0_17counting_iteratorIjlEEPS9_SE_NS0_5tupleIJPjSE_EEENSF_IJSE_SE_EEES9_SG_JZNS1_25segmented_radix_sort_implINS0_14default_configELb0EPKfPfPKlPlN2at6native12_GLOBAL__N_18offset_tEEE10hipError_tPvRmT1_PNSt15iterator_traitsISY_E10value_typeET2_T3_PNSZ_IS14_E10value_typeET4_jRbjT5_S1A_jjP12ihipStream_tbEUljE_EEESV_SW_SX_S14_S18_S1A_T6_T7_T9_mT8_S1C_bDpT10_ENKUlT_T0_E_clISt17integral_constantIbLb0EES1O_IbLb1EEEEDaS1K_S1L_EUlS1K_E_NS1_11comp_targetILNS1_3genE3ELNS1_11target_archE908ELNS1_3gpuE7ELNS1_3repE0EEENS1_30default_config_static_selectorELNS0_4arch9wavefront6targetE0EEEvSY_.uses_flat_scratch, 0
	.set _ZN7rocprim17ROCPRIM_400000_NS6detail17trampoline_kernelINS0_13select_configILj256ELj13ELNS0_17block_load_methodE3ELS4_3ELS4_3ELNS0_20block_scan_algorithmE0ELj4294967295EEENS1_25partition_config_selectorILNS1_17partition_subalgoE3EjNS0_10empty_typeEbEEZZNS1_14partition_implILS8_3ELb0ES6_jNS0_17counting_iteratorIjlEEPS9_SE_NS0_5tupleIJPjSE_EEENSF_IJSE_SE_EEES9_SG_JZNS1_25segmented_radix_sort_implINS0_14default_configELb0EPKfPfPKlPlN2at6native12_GLOBAL__N_18offset_tEEE10hipError_tPvRmT1_PNSt15iterator_traitsISY_E10value_typeET2_T3_PNSZ_IS14_E10value_typeET4_jRbjT5_S1A_jjP12ihipStream_tbEUljE_EEESV_SW_SX_S14_S18_S1A_T6_T7_T9_mT8_S1C_bDpT10_ENKUlT_T0_E_clISt17integral_constantIbLb0EES1O_IbLb1EEEEDaS1K_S1L_EUlS1K_E_NS1_11comp_targetILNS1_3genE3ELNS1_11target_archE908ELNS1_3gpuE7ELNS1_3repE0EEENS1_30default_config_static_selectorELNS0_4arch9wavefront6targetE0EEEvSY_.has_dyn_sized_stack, 0
	.set _ZN7rocprim17ROCPRIM_400000_NS6detail17trampoline_kernelINS0_13select_configILj256ELj13ELNS0_17block_load_methodE3ELS4_3ELS4_3ELNS0_20block_scan_algorithmE0ELj4294967295EEENS1_25partition_config_selectorILNS1_17partition_subalgoE3EjNS0_10empty_typeEbEEZZNS1_14partition_implILS8_3ELb0ES6_jNS0_17counting_iteratorIjlEEPS9_SE_NS0_5tupleIJPjSE_EEENSF_IJSE_SE_EEES9_SG_JZNS1_25segmented_radix_sort_implINS0_14default_configELb0EPKfPfPKlPlN2at6native12_GLOBAL__N_18offset_tEEE10hipError_tPvRmT1_PNSt15iterator_traitsISY_E10value_typeET2_T3_PNSZ_IS14_E10value_typeET4_jRbjT5_S1A_jjP12ihipStream_tbEUljE_EEESV_SW_SX_S14_S18_S1A_T6_T7_T9_mT8_S1C_bDpT10_ENKUlT_T0_E_clISt17integral_constantIbLb0EES1O_IbLb1EEEEDaS1K_S1L_EUlS1K_E_NS1_11comp_targetILNS1_3genE3ELNS1_11target_archE908ELNS1_3gpuE7ELNS1_3repE0EEENS1_30default_config_static_selectorELNS0_4arch9wavefront6targetE0EEEvSY_.has_recursion, 0
	.set _ZN7rocprim17ROCPRIM_400000_NS6detail17trampoline_kernelINS0_13select_configILj256ELj13ELNS0_17block_load_methodE3ELS4_3ELS4_3ELNS0_20block_scan_algorithmE0ELj4294967295EEENS1_25partition_config_selectorILNS1_17partition_subalgoE3EjNS0_10empty_typeEbEEZZNS1_14partition_implILS8_3ELb0ES6_jNS0_17counting_iteratorIjlEEPS9_SE_NS0_5tupleIJPjSE_EEENSF_IJSE_SE_EEES9_SG_JZNS1_25segmented_radix_sort_implINS0_14default_configELb0EPKfPfPKlPlN2at6native12_GLOBAL__N_18offset_tEEE10hipError_tPvRmT1_PNSt15iterator_traitsISY_E10value_typeET2_T3_PNSZ_IS14_E10value_typeET4_jRbjT5_S1A_jjP12ihipStream_tbEUljE_EEESV_SW_SX_S14_S18_S1A_T6_T7_T9_mT8_S1C_bDpT10_ENKUlT_T0_E_clISt17integral_constantIbLb0EES1O_IbLb1EEEEDaS1K_S1L_EUlS1K_E_NS1_11comp_targetILNS1_3genE3ELNS1_11target_archE908ELNS1_3gpuE7ELNS1_3repE0EEENS1_30default_config_static_selectorELNS0_4arch9wavefront6targetE0EEEvSY_.has_indirect_call, 0
	.section	.AMDGPU.csdata,"",@progbits
; Kernel info:
; codeLenInByte = 0
; TotalNumSgprs: 0
; NumVgprs: 0
; ScratchSize: 0
; MemoryBound: 0
; FloatMode: 240
; IeeeMode: 1
; LDSByteSize: 0 bytes/workgroup (compile time only)
; SGPRBlocks: 0
; VGPRBlocks: 0
; NumSGPRsForWavesPerEU: 1
; NumVGPRsForWavesPerEU: 1
; Occupancy: 16
; WaveLimiterHint : 0
; COMPUTE_PGM_RSRC2:SCRATCH_EN: 0
; COMPUTE_PGM_RSRC2:USER_SGPR: 2
; COMPUTE_PGM_RSRC2:TRAP_HANDLER: 0
; COMPUTE_PGM_RSRC2:TGID_X_EN: 1
; COMPUTE_PGM_RSRC2:TGID_Y_EN: 0
; COMPUTE_PGM_RSRC2:TGID_Z_EN: 0
; COMPUTE_PGM_RSRC2:TIDIG_COMP_CNT: 0
	.section	.text._ZN7rocprim17ROCPRIM_400000_NS6detail17trampoline_kernelINS0_13select_configILj256ELj13ELNS0_17block_load_methodE3ELS4_3ELS4_3ELNS0_20block_scan_algorithmE0ELj4294967295EEENS1_25partition_config_selectorILNS1_17partition_subalgoE3EjNS0_10empty_typeEbEEZZNS1_14partition_implILS8_3ELb0ES6_jNS0_17counting_iteratorIjlEEPS9_SE_NS0_5tupleIJPjSE_EEENSF_IJSE_SE_EEES9_SG_JZNS1_25segmented_radix_sort_implINS0_14default_configELb0EPKfPfPKlPlN2at6native12_GLOBAL__N_18offset_tEEE10hipError_tPvRmT1_PNSt15iterator_traitsISY_E10value_typeET2_T3_PNSZ_IS14_E10value_typeET4_jRbjT5_S1A_jjP12ihipStream_tbEUljE_EEESV_SW_SX_S14_S18_S1A_T6_T7_T9_mT8_S1C_bDpT10_ENKUlT_T0_E_clISt17integral_constantIbLb0EES1O_IbLb1EEEEDaS1K_S1L_EUlS1K_E_NS1_11comp_targetILNS1_3genE2ELNS1_11target_archE906ELNS1_3gpuE6ELNS1_3repE0EEENS1_30default_config_static_selectorELNS0_4arch9wavefront6targetE0EEEvSY_,"axG",@progbits,_ZN7rocprim17ROCPRIM_400000_NS6detail17trampoline_kernelINS0_13select_configILj256ELj13ELNS0_17block_load_methodE3ELS4_3ELS4_3ELNS0_20block_scan_algorithmE0ELj4294967295EEENS1_25partition_config_selectorILNS1_17partition_subalgoE3EjNS0_10empty_typeEbEEZZNS1_14partition_implILS8_3ELb0ES6_jNS0_17counting_iteratorIjlEEPS9_SE_NS0_5tupleIJPjSE_EEENSF_IJSE_SE_EEES9_SG_JZNS1_25segmented_radix_sort_implINS0_14default_configELb0EPKfPfPKlPlN2at6native12_GLOBAL__N_18offset_tEEE10hipError_tPvRmT1_PNSt15iterator_traitsISY_E10value_typeET2_T3_PNSZ_IS14_E10value_typeET4_jRbjT5_S1A_jjP12ihipStream_tbEUljE_EEESV_SW_SX_S14_S18_S1A_T6_T7_T9_mT8_S1C_bDpT10_ENKUlT_T0_E_clISt17integral_constantIbLb0EES1O_IbLb1EEEEDaS1K_S1L_EUlS1K_E_NS1_11comp_targetILNS1_3genE2ELNS1_11target_archE906ELNS1_3gpuE6ELNS1_3repE0EEENS1_30default_config_static_selectorELNS0_4arch9wavefront6targetE0EEEvSY_,comdat
	.globl	_ZN7rocprim17ROCPRIM_400000_NS6detail17trampoline_kernelINS0_13select_configILj256ELj13ELNS0_17block_load_methodE3ELS4_3ELS4_3ELNS0_20block_scan_algorithmE0ELj4294967295EEENS1_25partition_config_selectorILNS1_17partition_subalgoE3EjNS0_10empty_typeEbEEZZNS1_14partition_implILS8_3ELb0ES6_jNS0_17counting_iteratorIjlEEPS9_SE_NS0_5tupleIJPjSE_EEENSF_IJSE_SE_EEES9_SG_JZNS1_25segmented_radix_sort_implINS0_14default_configELb0EPKfPfPKlPlN2at6native12_GLOBAL__N_18offset_tEEE10hipError_tPvRmT1_PNSt15iterator_traitsISY_E10value_typeET2_T3_PNSZ_IS14_E10value_typeET4_jRbjT5_S1A_jjP12ihipStream_tbEUljE_EEESV_SW_SX_S14_S18_S1A_T6_T7_T9_mT8_S1C_bDpT10_ENKUlT_T0_E_clISt17integral_constantIbLb0EES1O_IbLb1EEEEDaS1K_S1L_EUlS1K_E_NS1_11comp_targetILNS1_3genE2ELNS1_11target_archE906ELNS1_3gpuE6ELNS1_3repE0EEENS1_30default_config_static_selectorELNS0_4arch9wavefront6targetE0EEEvSY_ ; -- Begin function _ZN7rocprim17ROCPRIM_400000_NS6detail17trampoline_kernelINS0_13select_configILj256ELj13ELNS0_17block_load_methodE3ELS4_3ELS4_3ELNS0_20block_scan_algorithmE0ELj4294967295EEENS1_25partition_config_selectorILNS1_17partition_subalgoE3EjNS0_10empty_typeEbEEZZNS1_14partition_implILS8_3ELb0ES6_jNS0_17counting_iteratorIjlEEPS9_SE_NS0_5tupleIJPjSE_EEENSF_IJSE_SE_EEES9_SG_JZNS1_25segmented_radix_sort_implINS0_14default_configELb0EPKfPfPKlPlN2at6native12_GLOBAL__N_18offset_tEEE10hipError_tPvRmT1_PNSt15iterator_traitsISY_E10value_typeET2_T3_PNSZ_IS14_E10value_typeET4_jRbjT5_S1A_jjP12ihipStream_tbEUljE_EEESV_SW_SX_S14_S18_S1A_T6_T7_T9_mT8_S1C_bDpT10_ENKUlT_T0_E_clISt17integral_constantIbLb0EES1O_IbLb1EEEEDaS1K_S1L_EUlS1K_E_NS1_11comp_targetILNS1_3genE2ELNS1_11target_archE906ELNS1_3gpuE6ELNS1_3repE0EEENS1_30default_config_static_selectorELNS0_4arch9wavefront6targetE0EEEvSY_
	.p2align	8
	.type	_ZN7rocprim17ROCPRIM_400000_NS6detail17trampoline_kernelINS0_13select_configILj256ELj13ELNS0_17block_load_methodE3ELS4_3ELS4_3ELNS0_20block_scan_algorithmE0ELj4294967295EEENS1_25partition_config_selectorILNS1_17partition_subalgoE3EjNS0_10empty_typeEbEEZZNS1_14partition_implILS8_3ELb0ES6_jNS0_17counting_iteratorIjlEEPS9_SE_NS0_5tupleIJPjSE_EEENSF_IJSE_SE_EEES9_SG_JZNS1_25segmented_radix_sort_implINS0_14default_configELb0EPKfPfPKlPlN2at6native12_GLOBAL__N_18offset_tEEE10hipError_tPvRmT1_PNSt15iterator_traitsISY_E10value_typeET2_T3_PNSZ_IS14_E10value_typeET4_jRbjT5_S1A_jjP12ihipStream_tbEUljE_EEESV_SW_SX_S14_S18_S1A_T6_T7_T9_mT8_S1C_bDpT10_ENKUlT_T0_E_clISt17integral_constantIbLb0EES1O_IbLb1EEEEDaS1K_S1L_EUlS1K_E_NS1_11comp_targetILNS1_3genE2ELNS1_11target_archE906ELNS1_3gpuE6ELNS1_3repE0EEENS1_30default_config_static_selectorELNS0_4arch9wavefront6targetE0EEEvSY_,@function
_ZN7rocprim17ROCPRIM_400000_NS6detail17trampoline_kernelINS0_13select_configILj256ELj13ELNS0_17block_load_methodE3ELS4_3ELS4_3ELNS0_20block_scan_algorithmE0ELj4294967295EEENS1_25partition_config_selectorILNS1_17partition_subalgoE3EjNS0_10empty_typeEbEEZZNS1_14partition_implILS8_3ELb0ES6_jNS0_17counting_iteratorIjlEEPS9_SE_NS0_5tupleIJPjSE_EEENSF_IJSE_SE_EEES9_SG_JZNS1_25segmented_radix_sort_implINS0_14default_configELb0EPKfPfPKlPlN2at6native12_GLOBAL__N_18offset_tEEE10hipError_tPvRmT1_PNSt15iterator_traitsISY_E10value_typeET2_T3_PNSZ_IS14_E10value_typeET4_jRbjT5_S1A_jjP12ihipStream_tbEUljE_EEESV_SW_SX_S14_S18_S1A_T6_T7_T9_mT8_S1C_bDpT10_ENKUlT_T0_E_clISt17integral_constantIbLb0EES1O_IbLb1EEEEDaS1K_S1L_EUlS1K_E_NS1_11comp_targetILNS1_3genE2ELNS1_11target_archE906ELNS1_3gpuE6ELNS1_3repE0EEENS1_30default_config_static_selectorELNS0_4arch9wavefront6targetE0EEEvSY_: ; @_ZN7rocprim17ROCPRIM_400000_NS6detail17trampoline_kernelINS0_13select_configILj256ELj13ELNS0_17block_load_methodE3ELS4_3ELS4_3ELNS0_20block_scan_algorithmE0ELj4294967295EEENS1_25partition_config_selectorILNS1_17partition_subalgoE3EjNS0_10empty_typeEbEEZZNS1_14partition_implILS8_3ELb0ES6_jNS0_17counting_iteratorIjlEEPS9_SE_NS0_5tupleIJPjSE_EEENSF_IJSE_SE_EEES9_SG_JZNS1_25segmented_radix_sort_implINS0_14default_configELb0EPKfPfPKlPlN2at6native12_GLOBAL__N_18offset_tEEE10hipError_tPvRmT1_PNSt15iterator_traitsISY_E10value_typeET2_T3_PNSZ_IS14_E10value_typeET4_jRbjT5_S1A_jjP12ihipStream_tbEUljE_EEESV_SW_SX_S14_S18_S1A_T6_T7_T9_mT8_S1C_bDpT10_ENKUlT_T0_E_clISt17integral_constantIbLb0EES1O_IbLb1EEEEDaS1K_S1L_EUlS1K_E_NS1_11comp_targetILNS1_3genE2ELNS1_11target_archE906ELNS1_3gpuE6ELNS1_3repE0EEENS1_30default_config_static_selectorELNS0_4arch9wavefront6targetE0EEEvSY_
; %bb.0:
	.section	.rodata,"a",@progbits
	.p2align	6, 0x0
	.amdhsa_kernel _ZN7rocprim17ROCPRIM_400000_NS6detail17trampoline_kernelINS0_13select_configILj256ELj13ELNS0_17block_load_methodE3ELS4_3ELS4_3ELNS0_20block_scan_algorithmE0ELj4294967295EEENS1_25partition_config_selectorILNS1_17partition_subalgoE3EjNS0_10empty_typeEbEEZZNS1_14partition_implILS8_3ELb0ES6_jNS0_17counting_iteratorIjlEEPS9_SE_NS0_5tupleIJPjSE_EEENSF_IJSE_SE_EEES9_SG_JZNS1_25segmented_radix_sort_implINS0_14default_configELb0EPKfPfPKlPlN2at6native12_GLOBAL__N_18offset_tEEE10hipError_tPvRmT1_PNSt15iterator_traitsISY_E10value_typeET2_T3_PNSZ_IS14_E10value_typeET4_jRbjT5_S1A_jjP12ihipStream_tbEUljE_EEESV_SW_SX_S14_S18_S1A_T6_T7_T9_mT8_S1C_bDpT10_ENKUlT_T0_E_clISt17integral_constantIbLb0EES1O_IbLb1EEEEDaS1K_S1L_EUlS1K_E_NS1_11comp_targetILNS1_3genE2ELNS1_11target_archE906ELNS1_3gpuE6ELNS1_3repE0EEENS1_30default_config_static_selectorELNS0_4arch9wavefront6targetE0EEEvSY_
		.amdhsa_group_segment_fixed_size 0
		.amdhsa_private_segment_fixed_size 0
		.amdhsa_kernarg_size 152
		.amdhsa_user_sgpr_count 2
		.amdhsa_user_sgpr_dispatch_ptr 0
		.amdhsa_user_sgpr_queue_ptr 0
		.amdhsa_user_sgpr_kernarg_segment_ptr 1
		.amdhsa_user_sgpr_dispatch_id 0
		.amdhsa_user_sgpr_private_segment_size 0
		.amdhsa_wavefront_size32 1
		.amdhsa_uses_dynamic_stack 0
		.amdhsa_enable_private_segment 0
		.amdhsa_system_sgpr_workgroup_id_x 1
		.amdhsa_system_sgpr_workgroup_id_y 0
		.amdhsa_system_sgpr_workgroup_id_z 0
		.amdhsa_system_sgpr_workgroup_info 0
		.amdhsa_system_vgpr_workitem_id 0
		.amdhsa_next_free_vgpr 1
		.amdhsa_next_free_sgpr 1
		.amdhsa_reserve_vcc 0
		.amdhsa_float_round_mode_32 0
		.amdhsa_float_round_mode_16_64 0
		.amdhsa_float_denorm_mode_32 3
		.amdhsa_float_denorm_mode_16_64 3
		.amdhsa_fp16_overflow 0
		.amdhsa_workgroup_processor_mode 1
		.amdhsa_memory_ordered 1
		.amdhsa_forward_progress 1
		.amdhsa_inst_pref_size 0
		.amdhsa_round_robin_scheduling 0
		.amdhsa_exception_fp_ieee_invalid_op 0
		.amdhsa_exception_fp_denorm_src 0
		.amdhsa_exception_fp_ieee_div_zero 0
		.amdhsa_exception_fp_ieee_overflow 0
		.amdhsa_exception_fp_ieee_underflow 0
		.amdhsa_exception_fp_ieee_inexact 0
		.amdhsa_exception_int_div_zero 0
	.end_amdhsa_kernel
	.section	.text._ZN7rocprim17ROCPRIM_400000_NS6detail17trampoline_kernelINS0_13select_configILj256ELj13ELNS0_17block_load_methodE3ELS4_3ELS4_3ELNS0_20block_scan_algorithmE0ELj4294967295EEENS1_25partition_config_selectorILNS1_17partition_subalgoE3EjNS0_10empty_typeEbEEZZNS1_14partition_implILS8_3ELb0ES6_jNS0_17counting_iteratorIjlEEPS9_SE_NS0_5tupleIJPjSE_EEENSF_IJSE_SE_EEES9_SG_JZNS1_25segmented_radix_sort_implINS0_14default_configELb0EPKfPfPKlPlN2at6native12_GLOBAL__N_18offset_tEEE10hipError_tPvRmT1_PNSt15iterator_traitsISY_E10value_typeET2_T3_PNSZ_IS14_E10value_typeET4_jRbjT5_S1A_jjP12ihipStream_tbEUljE_EEESV_SW_SX_S14_S18_S1A_T6_T7_T9_mT8_S1C_bDpT10_ENKUlT_T0_E_clISt17integral_constantIbLb0EES1O_IbLb1EEEEDaS1K_S1L_EUlS1K_E_NS1_11comp_targetILNS1_3genE2ELNS1_11target_archE906ELNS1_3gpuE6ELNS1_3repE0EEENS1_30default_config_static_selectorELNS0_4arch9wavefront6targetE0EEEvSY_,"axG",@progbits,_ZN7rocprim17ROCPRIM_400000_NS6detail17trampoline_kernelINS0_13select_configILj256ELj13ELNS0_17block_load_methodE3ELS4_3ELS4_3ELNS0_20block_scan_algorithmE0ELj4294967295EEENS1_25partition_config_selectorILNS1_17partition_subalgoE3EjNS0_10empty_typeEbEEZZNS1_14partition_implILS8_3ELb0ES6_jNS0_17counting_iteratorIjlEEPS9_SE_NS0_5tupleIJPjSE_EEENSF_IJSE_SE_EEES9_SG_JZNS1_25segmented_radix_sort_implINS0_14default_configELb0EPKfPfPKlPlN2at6native12_GLOBAL__N_18offset_tEEE10hipError_tPvRmT1_PNSt15iterator_traitsISY_E10value_typeET2_T3_PNSZ_IS14_E10value_typeET4_jRbjT5_S1A_jjP12ihipStream_tbEUljE_EEESV_SW_SX_S14_S18_S1A_T6_T7_T9_mT8_S1C_bDpT10_ENKUlT_T0_E_clISt17integral_constantIbLb0EES1O_IbLb1EEEEDaS1K_S1L_EUlS1K_E_NS1_11comp_targetILNS1_3genE2ELNS1_11target_archE906ELNS1_3gpuE6ELNS1_3repE0EEENS1_30default_config_static_selectorELNS0_4arch9wavefront6targetE0EEEvSY_,comdat
.Lfunc_end1424:
	.size	_ZN7rocprim17ROCPRIM_400000_NS6detail17trampoline_kernelINS0_13select_configILj256ELj13ELNS0_17block_load_methodE3ELS4_3ELS4_3ELNS0_20block_scan_algorithmE0ELj4294967295EEENS1_25partition_config_selectorILNS1_17partition_subalgoE3EjNS0_10empty_typeEbEEZZNS1_14partition_implILS8_3ELb0ES6_jNS0_17counting_iteratorIjlEEPS9_SE_NS0_5tupleIJPjSE_EEENSF_IJSE_SE_EEES9_SG_JZNS1_25segmented_radix_sort_implINS0_14default_configELb0EPKfPfPKlPlN2at6native12_GLOBAL__N_18offset_tEEE10hipError_tPvRmT1_PNSt15iterator_traitsISY_E10value_typeET2_T3_PNSZ_IS14_E10value_typeET4_jRbjT5_S1A_jjP12ihipStream_tbEUljE_EEESV_SW_SX_S14_S18_S1A_T6_T7_T9_mT8_S1C_bDpT10_ENKUlT_T0_E_clISt17integral_constantIbLb0EES1O_IbLb1EEEEDaS1K_S1L_EUlS1K_E_NS1_11comp_targetILNS1_3genE2ELNS1_11target_archE906ELNS1_3gpuE6ELNS1_3repE0EEENS1_30default_config_static_selectorELNS0_4arch9wavefront6targetE0EEEvSY_, .Lfunc_end1424-_ZN7rocprim17ROCPRIM_400000_NS6detail17trampoline_kernelINS0_13select_configILj256ELj13ELNS0_17block_load_methodE3ELS4_3ELS4_3ELNS0_20block_scan_algorithmE0ELj4294967295EEENS1_25partition_config_selectorILNS1_17partition_subalgoE3EjNS0_10empty_typeEbEEZZNS1_14partition_implILS8_3ELb0ES6_jNS0_17counting_iteratorIjlEEPS9_SE_NS0_5tupleIJPjSE_EEENSF_IJSE_SE_EEES9_SG_JZNS1_25segmented_radix_sort_implINS0_14default_configELb0EPKfPfPKlPlN2at6native12_GLOBAL__N_18offset_tEEE10hipError_tPvRmT1_PNSt15iterator_traitsISY_E10value_typeET2_T3_PNSZ_IS14_E10value_typeET4_jRbjT5_S1A_jjP12ihipStream_tbEUljE_EEESV_SW_SX_S14_S18_S1A_T6_T7_T9_mT8_S1C_bDpT10_ENKUlT_T0_E_clISt17integral_constantIbLb0EES1O_IbLb1EEEEDaS1K_S1L_EUlS1K_E_NS1_11comp_targetILNS1_3genE2ELNS1_11target_archE906ELNS1_3gpuE6ELNS1_3repE0EEENS1_30default_config_static_selectorELNS0_4arch9wavefront6targetE0EEEvSY_
                                        ; -- End function
	.set _ZN7rocprim17ROCPRIM_400000_NS6detail17trampoline_kernelINS0_13select_configILj256ELj13ELNS0_17block_load_methodE3ELS4_3ELS4_3ELNS0_20block_scan_algorithmE0ELj4294967295EEENS1_25partition_config_selectorILNS1_17partition_subalgoE3EjNS0_10empty_typeEbEEZZNS1_14partition_implILS8_3ELb0ES6_jNS0_17counting_iteratorIjlEEPS9_SE_NS0_5tupleIJPjSE_EEENSF_IJSE_SE_EEES9_SG_JZNS1_25segmented_radix_sort_implINS0_14default_configELb0EPKfPfPKlPlN2at6native12_GLOBAL__N_18offset_tEEE10hipError_tPvRmT1_PNSt15iterator_traitsISY_E10value_typeET2_T3_PNSZ_IS14_E10value_typeET4_jRbjT5_S1A_jjP12ihipStream_tbEUljE_EEESV_SW_SX_S14_S18_S1A_T6_T7_T9_mT8_S1C_bDpT10_ENKUlT_T0_E_clISt17integral_constantIbLb0EES1O_IbLb1EEEEDaS1K_S1L_EUlS1K_E_NS1_11comp_targetILNS1_3genE2ELNS1_11target_archE906ELNS1_3gpuE6ELNS1_3repE0EEENS1_30default_config_static_selectorELNS0_4arch9wavefront6targetE0EEEvSY_.num_vgpr, 0
	.set _ZN7rocprim17ROCPRIM_400000_NS6detail17trampoline_kernelINS0_13select_configILj256ELj13ELNS0_17block_load_methodE3ELS4_3ELS4_3ELNS0_20block_scan_algorithmE0ELj4294967295EEENS1_25partition_config_selectorILNS1_17partition_subalgoE3EjNS0_10empty_typeEbEEZZNS1_14partition_implILS8_3ELb0ES6_jNS0_17counting_iteratorIjlEEPS9_SE_NS0_5tupleIJPjSE_EEENSF_IJSE_SE_EEES9_SG_JZNS1_25segmented_radix_sort_implINS0_14default_configELb0EPKfPfPKlPlN2at6native12_GLOBAL__N_18offset_tEEE10hipError_tPvRmT1_PNSt15iterator_traitsISY_E10value_typeET2_T3_PNSZ_IS14_E10value_typeET4_jRbjT5_S1A_jjP12ihipStream_tbEUljE_EEESV_SW_SX_S14_S18_S1A_T6_T7_T9_mT8_S1C_bDpT10_ENKUlT_T0_E_clISt17integral_constantIbLb0EES1O_IbLb1EEEEDaS1K_S1L_EUlS1K_E_NS1_11comp_targetILNS1_3genE2ELNS1_11target_archE906ELNS1_3gpuE6ELNS1_3repE0EEENS1_30default_config_static_selectorELNS0_4arch9wavefront6targetE0EEEvSY_.num_agpr, 0
	.set _ZN7rocprim17ROCPRIM_400000_NS6detail17trampoline_kernelINS0_13select_configILj256ELj13ELNS0_17block_load_methodE3ELS4_3ELS4_3ELNS0_20block_scan_algorithmE0ELj4294967295EEENS1_25partition_config_selectorILNS1_17partition_subalgoE3EjNS0_10empty_typeEbEEZZNS1_14partition_implILS8_3ELb0ES6_jNS0_17counting_iteratorIjlEEPS9_SE_NS0_5tupleIJPjSE_EEENSF_IJSE_SE_EEES9_SG_JZNS1_25segmented_radix_sort_implINS0_14default_configELb0EPKfPfPKlPlN2at6native12_GLOBAL__N_18offset_tEEE10hipError_tPvRmT1_PNSt15iterator_traitsISY_E10value_typeET2_T3_PNSZ_IS14_E10value_typeET4_jRbjT5_S1A_jjP12ihipStream_tbEUljE_EEESV_SW_SX_S14_S18_S1A_T6_T7_T9_mT8_S1C_bDpT10_ENKUlT_T0_E_clISt17integral_constantIbLb0EES1O_IbLb1EEEEDaS1K_S1L_EUlS1K_E_NS1_11comp_targetILNS1_3genE2ELNS1_11target_archE906ELNS1_3gpuE6ELNS1_3repE0EEENS1_30default_config_static_selectorELNS0_4arch9wavefront6targetE0EEEvSY_.numbered_sgpr, 0
	.set _ZN7rocprim17ROCPRIM_400000_NS6detail17trampoline_kernelINS0_13select_configILj256ELj13ELNS0_17block_load_methodE3ELS4_3ELS4_3ELNS0_20block_scan_algorithmE0ELj4294967295EEENS1_25partition_config_selectorILNS1_17partition_subalgoE3EjNS0_10empty_typeEbEEZZNS1_14partition_implILS8_3ELb0ES6_jNS0_17counting_iteratorIjlEEPS9_SE_NS0_5tupleIJPjSE_EEENSF_IJSE_SE_EEES9_SG_JZNS1_25segmented_radix_sort_implINS0_14default_configELb0EPKfPfPKlPlN2at6native12_GLOBAL__N_18offset_tEEE10hipError_tPvRmT1_PNSt15iterator_traitsISY_E10value_typeET2_T3_PNSZ_IS14_E10value_typeET4_jRbjT5_S1A_jjP12ihipStream_tbEUljE_EEESV_SW_SX_S14_S18_S1A_T6_T7_T9_mT8_S1C_bDpT10_ENKUlT_T0_E_clISt17integral_constantIbLb0EES1O_IbLb1EEEEDaS1K_S1L_EUlS1K_E_NS1_11comp_targetILNS1_3genE2ELNS1_11target_archE906ELNS1_3gpuE6ELNS1_3repE0EEENS1_30default_config_static_selectorELNS0_4arch9wavefront6targetE0EEEvSY_.num_named_barrier, 0
	.set _ZN7rocprim17ROCPRIM_400000_NS6detail17trampoline_kernelINS0_13select_configILj256ELj13ELNS0_17block_load_methodE3ELS4_3ELS4_3ELNS0_20block_scan_algorithmE0ELj4294967295EEENS1_25partition_config_selectorILNS1_17partition_subalgoE3EjNS0_10empty_typeEbEEZZNS1_14partition_implILS8_3ELb0ES6_jNS0_17counting_iteratorIjlEEPS9_SE_NS0_5tupleIJPjSE_EEENSF_IJSE_SE_EEES9_SG_JZNS1_25segmented_radix_sort_implINS0_14default_configELb0EPKfPfPKlPlN2at6native12_GLOBAL__N_18offset_tEEE10hipError_tPvRmT1_PNSt15iterator_traitsISY_E10value_typeET2_T3_PNSZ_IS14_E10value_typeET4_jRbjT5_S1A_jjP12ihipStream_tbEUljE_EEESV_SW_SX_S14_S18_S1A_T6_T7_T9_mT8_S1C_bDpT10_ENKUlT_T0_E_clISt17integral_constantIbLb0EES1O_IbLb1EEEEDaS1K_S1L_EUlS1K_E_NS1_11comp_targetILNS1_3genE2ELNS1_11target_archE906ELNS1_3gpuE6ELNS1_3repE0EEENS1_30default_config_static_selectorELNS0_4arch9wavefront6targetE0EEEvSY_.private_seg_size, 0
	.set _ZN7rocprim17ROCPRIM_400000_NS6detail17trampoline_kernelINS0_13select_configILj256ELj13ELNS0_17block_load_methodE3ELS4_3ELS4_3ELNS0_20block_scan_algorithmE0ELj4294967295EEENS1_25partition_config_selectorILNS1_17partition_subalgoE3EjNS0_10empty_typeEbEEZZNS1_14partition_implILS8_3ELb0ES6_jNS0_17counting_iteratorIjlEEPS9_SE_NS0_5tupleIJPjSE_EEENSF_IJSE_SE_EEES9_SG_JZNS1_25segmented_radix_sort_implINS0_14default_configELb0EPKfPfPKlPlN2at6native12_GLOBAL__N_18offset_tEEE10hipError_tPvRmT1_PNSt15iterator_traitsISY_E10value_typeET2_T3_PNSZ_IS14_E10value_typeET4_jRbjT5_S1A_jjP12ihipStream_tbEUljE_EEESV_SW_SX_S14_S18_S1A_T6_T7_T9_mT8_S1C_bDpT10_ENKUlT_T0_E_clISt17integral_constantIbLb0EES1O_IbLb1EEEEDaS1K_S1L_EUlS1K_E_NS1_11comp_targetILNS1_3genE2ELNS1_11target_archE906ELNS1_3gpuE6ELNS1_3repE0EEENS1_30default_config_static_selectorELNS0_4arch9wavefront6targetE0EEEvSY_.uses_vcc, 0
	.set _ZN7rocprim17ROCPRIM_400000_NS6detail17trampoline_kernelINS0_13select_configILj256ELj13ELNS0_17block_load_methodE3ELS4_3ELS4_3ELNS0_20block_scan_algorithmE0ELj4294967295EEENS1_25partition_config_selectorILNS1_17partition_subalgoE3EjNS0_10empty_typeEbEEZZNS1_14partition_implILS8_3ELb0ES6_jNS0_17counting_iteratorIjlEEPS9_SE_NS0_5tupleIJPjSE_EEENSF_IJSE_SE_EEES9_SG_JZNS1_25segmented_radix_sort_implINS0_14default_configELb0EPKfPfPKlPlN2at6native12_GLOBAL__N_18offset_tEEE10hipError_tPvRmT1_PNSt15iterator_traitsISY_E10value_typeET2_T3_PNSZ_IS14_E10value_typeET4_jRbjT5_S1A_jjP12ihipStream_tbEUljE_EEESV_SW_SX_S14_S18_S1A_T6_T7_T9_mT8_S1C_bDpT10_ENKUlT_T0_E_clISt17integral_constantIbLb0EES1O_IbLb1EEEEDaS1K_S1L_EUlS1K_E_NS1_11comp_targetILNS1_3genE2ELNS1_11target_archE906ELNS1_3gpuE6ELNS1_3repE0EEENS1_30default_config_static_selectorELNS0_4arch9wavefront6targetE0EEEvSY_.uses_flat_scratch, 0
	.set _ZN7rocprim17ROCPRIM_400000_NS6detail17trampoline_kernelINS0_13select_configILj256ELj13ELNS0_17block_load_methodE3ELS4_3ELS4_3ELNS0_20block_scan_algorithmE0ELj4294967295EEENS1_25partition_config_selectorILNS1_17partition_subalgoE3EjNS0_10empty_typeEbEEZZNS1_14partition_implILS8_3ELb0ES6_jNS0_17counting_iteratorIjlEEPS9_SE_NS0_5tupleIJPjSE_EEENSF_IJSE_SE_EEES9_SG_JZNS1_25segmented_radix_sort_implINS0_14default_configELb0EPKfPfPKlPlN2at6native12_GLOBAL__N_18offset_tEEE10hipError_tPvRmT1_PNSt15iterator_traitsISY_E10value_typeET2_T3_PNSZ_IS14_E10value_typeET4_jRbjT5_S1A_jjP12ihipStream_tbEUljE_EEESV_SW_SX_S14_S18_S1A_T6_T7_T9_mT8_S1C_bDpT10_ENKUlT_T0_E_clISt17integral_constantIbLb0EES1O_IbLb1EEEEDaS1K_S1L_EUlS1K_E_NS1_11comp_targetILNS1_3genE2ELNS1_11target_archE906ELNS1_3gpuE6ELNS1_3repE0EEENS1_30default_config_static_selectorELNS0_4arch9wavefront6targetE0EEEvSY_.has_dyn_sized_stack, 0
	.set _ZN7rocprim17ROCPRIM_400000_NS6detail17trampoline_kernelINS0_13select_configILj256ELj13ELNS0_17block_load_methodE3ELS4_3ELS4_3ELNS0_20block_scan_algorithmE0ELj4294967295EEENS1_25partition_config_selectorILNS1_17partition_subalgoE3EjNS0_10empty_typeEbEEZZNS1_14partition_implILS8_3ELb0ES6_jNS0_17counting_iteratorIjlEEPS9_SE_NS0_5tupleIJPjSE_EEENSF_IJSE_SE_EEES9_SG_JZNS1_25segmented_radix_sort_implINS0_14default_configELb0EPKfPfPKlPlN2at6native12_GLOBAL__N_18offset_tEEE10hipError_tPvRmT1_PNSt15iterator_traitsISY_E10value_typeET2_T3_PNSZ_IS14_E10value_typeET4_jRbjT5_S1A_jjP12ihipStream_tbEUljE_EEESV_SW_SX_S14_S18_S1A_T6_T7_T9_mT8_S1C_bDpT10_ENKUlT_T0_E_clISt17integral_constantIbLb0EES1O_IbLb1EEEEDaS1K_S1L_EUlS1K_E_NS1_11comp_targetILNS1_3genE2ELNS1_11target_archE906ELNS1_3gpuE6ELNS1_3repE0EEENS1_30default_config_static_selectorELNS0_4arch9wavefront6targetE0EEEvSY_.has_recursion, 0
	.set _ZN7rocprim17ROCPRIM_400000_NS6detail17trampoline_kernelINS0_13select_configILj256ELj13ELNS0_17block_load_methodE3ELS4_3ELS4_3ELNS0_20block_scan_algorithmE0ELj4294967295EEENS1_25partition_config_selectorILNS1_17partition_subalgoE3EjNS0_10empty_typeEbEEZZNS1_14partition_implILS8_3ELb0ES6_jNS0_17counting_iteratorIjlEEPS9_SE_NS0_5tupleIJPjSE_EEENSF_IJSE_SE_EEES9_SG_JZNS1_25segmented_radix_sort_implINS0_14default_configELb0EPKfPfPKlPlN2at6native12_GLOBAL__N_18offset_tEEE10hipError_tPvRmT1_PNSt15iterator_traitsISY_E10value_typeET2_T3_PNSZ_IS14_E10value_typeET4_jRbjT5_S1A_jjP12ihipStream_tbEUljE_EEESV_SW_SX_S14_S18_S1A_T6_T7_T9_mT8_S1C_bDpT10_ENKUlT_T0_E_clISt17integral_constantIbLb0EES1O_IbLb1EEEEDaS1K_S1L_EUlS1K_E_NS1_11comp_targetILNS1_3genE2ELNS1_11target_archE906ELNS1_3gpuE6ELNS1_3repE0EEENS1_30default_config_static_selectorELNS0_4arch9wavefront6targetE0EEEvSY_.has_indirect_call, 0
	.section	.AMDGPU.csdata,"",@progbits
; Kernel info:
; codeLenInByte = 0
; TotalNumSgprs: 0
; NumVgprs: 0
; ScratchSize: 0
; MemoryBound: 0
; FloatMode: 240
; IeeeMode: 1
; LDSByteSize: 0 bytes/workgroup (compile time only)
; SGPRBlocks: 0
; VGPRBlocks: 0
; NumSGPRsForWavesPerEU: 1
; NumVGPRsForWavesPerEU: 1
; Occupancy: 16
; WaveLimiterHint : 0
; COMPUTE_PGM_RSRC2:SCRATCH_EN: 0
; COMPUTE_PGM_RSRC2:USER_SGPR: 2
; COMPUTE_PGM_RSRC2:TRAP_HANDLER: 0
; COMPUTE_PGM_RSRC2:TGID_X_EN: 1
; COMPUTE_PGM_RSRC2:TGID_Y_EN: 0
; COMPUTE_PGM_RSRC2:TGID_Z_EN: 0
; COMPUTE_PGM_RSRC2:TIDIG_COMP_CNT: 0
	.section	.text._ZN7rocprim17ROCPRIM_400000_NS6detail17trampoline_kernelINS0_13select_configILj256ELj13ELNS0_17block_load_methodE3ELS4_3ELS4_3ELNS0_20block_scan_algorithmE0ELj4294967295EEENS1_25partition_config_selectorILNS1_17partition_subalgoE3EjNS0_10empty_typeEbEEZZNS1_14partition_implILS8_3ELb0ES6_jNS0_17counting_iteratorIjlEEPS9_SE_NS0_5tupleIJPjSE_EEENSF_IJSE_SE_EEES9_SG_JZNS1_25segmented_radix_sort_implINS0_14default_configELb0EPKfPfPKlPlN2at6native12_GLOBAL__N_18offset_tEEE10hipError_tPvRmT1_PNSt15iterator_traitsISY_E10value_typeET2_T3_PNSZ_IS14_E10value_typeET4_jRbjT5_S1A_jjP12ihipStream_tbEUljE_EEESV_SW_SX_S14_S18_S1A_T6_T7_T9_mT8_S1C_bDpT10_ENKUlT_T0_E_clISt17integral_constantIbLb0EES1O_IbLb1EEEEDaS1K_S1L_EUlS1K_E_NS1_11comp_targetILNS1_3genE10ELNS1_11target_archE1200ELNS1_3gpuE4ELNS1_3repE0EEENS1_30default_config_static_selectorELNS0_4arch9wavefront6targetE0EEEvSY_,"axG",@progbits,_ZN7rocprim17ROCPRIM_400000_NS6detail17trampoline_kernelINS0_13select_configILj256ELj13ELNS0_17block_load_methodE3ELS4_3ELS4_3ELNS0_20block_scan_algorithmE0ELj4294967295EEENS1_25partition_config_selectorILNS1_17partition_subalgoE3EjNS0_10empty_typeEbEEZZNS1_14partition_implILS8_3ELb0ES6_jNS0_17counting_iteratorIjlEEPS9_SE_NS0_5tupleIJPjSE_EEENSF_IJSE_SE_EEES9_SG_JZNS1_25segmented_radix_sort_implINS0_14default_configELb0EPKfPfPKlPlN2at6native12_GLOBAL__N_18offset_tEEE10hipError_tPvRmT1_PNSt15iterator_traitsISY_E10value_typeET2_T3_PNSZ_IS14_E10value_typeET4_jRbjT5_S1A_jjP12ihipStream_tbEUljE_EEESV_SW_SX_S14_S18_S1A_T6_T7_T9_mT8_S1C_bDpT10_ENKUlT_T0_E_clISt17integral_constantIbLb0EES1O_IbLb1EEEEDaS1K_S1L_EUlS1K_E_NS1_11comp_targetILNS1_3genE10ELNS1_11target_archE1200ELNS1_3gpuE4ELNS1_3repE0EEENS1_30default_config_static_selectorELNS0_4arch9wavefront6targetE0EEEvSY_,comdat
	.globl	_ZN7rocprim17ROCPRIM_400000_NS6detail17trampoline_kernelINS0_13select_configILj256ELj13ELNS0_17block_load_methodE3ELS4_3ELS4_3ELNS0_20block_scan_algorithmE0ELj4294967295EEENS1_25partition_config_selectorILNS1_17partition_subalgoE3EjNS0_10empty_typeEbEEZZNS1_14partition_implILS8_3ELb0ES6_jNS0_17counting_iteratorIjlEEPS9_SE_NS0_5tupleIJPjSE_EEENSF_IJSE_SE_EEES9_SG_JZNS1_25segmented_radix_sort_implINS0_14default_configELb0EPKfPfPKlPlN2at6native12_GLOBAL__N_18offset_tEEE10hipError_tPvRmT1_PNSt15iterator_traitsISY_E10value_typeET2_T3_PNSZ_IS14_E10value_typeET4_jRbjT5_S1A_jjP12ihipStream_tbEUljE_EEESV_SW_SX_S14_S18_S1A_T6_T7_T9_mT8_S1C_bDpT10_ENKUlT_T0_E_clISt17integral_constantIbLb0EES1O_IbLb1EEEEDaS1K_S1L_EUlS1K_E_NS1_11comp_targetILNS1_3genE10ELNS1_11target_archE1200ELNS1_3gpuE4ELNS1_3repE0EEENS1_30default_config_static_selectorELNS0_4arch9wavefront6targetE0EEEvSY_ ; -- Begin function _ZN7rocprim17ROCPRIM_400000_NS6detail17trampoline_kernelINS0_13select_configILj256ELj13ELNS0_17block_load_methodE3ELS4_3ELS4_3ELNS0_20block_scan_algorithmE0ELj4294967295EEENS1_25partition_config_selectorILNS1_17partition_subalgoE3EjNS0_10empty_typeEbEEZZNS1_14partition_implILS8_3ELb0ES6_jNS0_17counting_iteratorIjlEEPS9_SE_NS0_5tupleIJPjSE_EEENSF_IJSE_SE_EEES9_SG_JZNS1_25segmented_radix_sort_implINS0_14default_configELb0EPKfPfPKlPlN2at6native12_GLOBAL__N_18offset_tEEE10hipError_tPvRmT1_PNSt15iterator_traitsISY_E10value_typeET2_T3_PNSZ_IS14_E10value_typeET4_jRbjT5_S1A_jjP12ihipStream_tbEUljE_EEESV_SW_SX_S14_S18_S1A_T6_T7_T9_mT8_S1C_bDpT10_ENKUlT_T0_E_clISt17integral_constantIbLb0EES1O_IbLb1EEEEDaS1K_S1L_EUlS1K_E_NS1_11comp_targetILNS1_3genE10ELNS1_11target_archE1200ELNS1_3gpuE4ELNS1_3repE0EEENS1_30default_config_static_selectorELNS0_4arch9wavefront6targetE0EEEvSY_
	.p2align	8
	.type	_ZN7rocprim17ROCPRIM_400000_NS6detail17trampoline_kernelINS0_13select_configILj256ELj13ELNS0_17block_load_methodE3ELS4_3ELS4_3ELNS0_20block_scan_algorithmE0ELj4294967295EEENS1_25partition_config_selectorILNS1_17partition_subalgoE3EjNS0_10empty_typeEbEEZZNS1_14partition_implILS8_3ELb0ES6_jNS0_17counting_iteratorIjlEEPS9_SE_NS0_5tupleIJPjSE_EEENSF_IJSE_SE_EEES9_SG_JZNS1_25segmented_radix_sort_implINS0_14default_configELb0EPKfPfPKlPlN2at6native12_GLOBAL__N_18offset_tEEE10hipError_tPvRmT1_PNSt15iterator_traitsISY_E10value_typeET2_T3_PNSZ_IS14_E10value_typeET4_jRbjT5_S1A_jjP12ihipStream_tbEUljE_EEESV_SW_SX_S14_S18_S1A_T6_T7_T9_mT8_S1C_bDpT10_ENKUlT_T0_E_clISt17integral_constantIbLb0EES1O_IbLb1EEEEDaS1K_S1L_EUlS1K_E_NS1_11comp_targetILNS1_3genE10ELNS1_11target_archE1200ELNS1_3gpuE4ELNS1_3repE0EEENS1_30default_config_static_selectorELNS0_4arch9wavefront6targetE0EEEvSY_,@function
_ZN7rocprim17ROCPRIM_400000_NS6detail17trampoline_kernelINS0_13select_configILj256ELj13ELNS0_17block_load_methodE3ELS4_3ELS4_3ELNS0_20block_scan_algorithmE0ELj4294967295EEENS1_25partition_config_selectorILNS1_17partition_subalgoE3EjNS0_10empty_typeEbEEZZNS1_14partition_implILS8_3ELb0ES6_jNS0_17counting_iteratorIjlEEPS9_SE_NS0_5tupleIJPjSE_EEENSF_IJSE_SE_EEES9_SG_JZNS1_25segmented_radix_sort_implINS0_14default_configELb0EPKfPfPKlPlN2at6native12_GLOBAL__N_18offset_tEEE10hipError_tPvRmT1_PNSt15iterator_traitsISY_E10value_typeET2_T3_PNSZ_IS14_E10value_typeET4_jRbjT5_S1A_jjP12ihipStream_tbEUljE_EEESV_SW_SX_S14_S18_S1A_T6_T7_T9_mT8_S1C_bDpT10_ENKUlT_T0_E_clISt17integral_constantIbLb0EES1O_IbLb1EEEEDaS1K_S1L_EUlS1K_E_NS1_11comp_targetILNS1_3genE10ELNS1_11target_archE1200ELNS1_3gpuE4ELNS1_3repE0EEENS1_30default_config_static_selectorELNS0_4arch9wavefront6targetE0EEEvSY_: ; @_ZN7rocprim17ROCPRIM_400000_NS6detail17trampoline_kernelINS0_13select_configILj256ELj13ELNS0_17block_load_methodE3ELS4_3ELS4_3ELNS0_20block_scan_algorithmE0ELj4294967295EEENS1_25partition_config_selectorILNS1_17partition_subalgoE3EjNS0_10empty_typeEbEEZZNS1_14partition_implILS8_3ELb0ES6_jNS0_17counting_iteratorIjlEEPS9_SE_NS0_5tupleIJPjSE_EEENSF_IJSE_SE_EEES9_SG_JZNS1_25segmented_radix_sort_implINS0_14default_configELb0EPKfPfPKlPlN2at6native12_GLOBAL__N_18offset_tEEE10hipError_tPvRmT1_PNSt15iterator_traitsISY_E10value_typeET2_T3_PNSZ_IS14_E10value_typeET4_jRbjT5_S1A_jjP12ihipStream_tbEUljE_EEESV_SW_SX_S14_S18_S1A_T6_T7_T9_mT8_S1C_bDpT10_ENKUlT_T0_E_clISt17integral_constantIbLb0EES1O_IbLb1EEEEDaS1K_S1L_EUlS1K_E_NS1_11comp_targetILNS1_3genE10ELNS1_11target_archE1200ELNS1_3gpuE4ELNS1_3repE0EEENS1_30default_config_static_selectorELNS0_4arch9wavefront6targetE0EEEvSY_
; %bb.0:
	s_clause 0x6
	s_load_b64 s[16:17], s[0:1], 0x10
	s_load_b64 s[10:11], s[0:1], 0x28
	;; [unrolled: 1-line block ×3, first 2 shown]
	s_load_b128 s[12:15], s[0:1], 0x48
	s_load_b32 s3, s[0:1], 0x90
	s_load_b64 s[20:21], s[0:1], 0x68
	s_load_b128 s[4:7], s[0:1], 0x80
	v_cmp_eq_u32_e64 s2, 0, v0
	s_and_saveexec_b32 s8, s2
	s_cbranch_execz .LBB1425_4
; %bb.1:
	s_mov_b32 s22, exec_lo
	s_mov_b32 s9, exec_lo
	v_mbcnt_lo_u32_b32 v1, s22, 0
                                        ; implicit-def: $vgpr2
	s_delay_alu instid0(VALU_DEP_1)
	v_cmpx_eq_u32_e32 0, v1
	s_cbranch_execz .LBB1425_3
; %bb.2:
	s_load_b64 s[24:25], s[0:1], 0x78
	s_bcnt1_i32_b32 s22, s22
	s_wait_alu 0xfffe
	v_dual_mov_b32 v2, 0 :: v_dual_mov_b32 v3, s22
	s_wait_kmcnt 0x0
	global_atomic_add_u32 v2, v2, v3, s[24:25] th:TH_ATOMIC_RETURN scope:SCOPE_DEV
.LBB1425_3:
	s_or_b32 exec_lo, exec_lo, s9
	s_wait_loadcnt 0x0
	v_readfirstlane_b32 s9, v2
	s_delay_alu instid0(VALU_DEP_1)
	v_dual_mov_b32 v2, 0 :: v_dual_add_nc_u32 v1, s9, v1
	ds_store_b32 v2, v1
.LBB1425_4:
	s_or_b32 exec_lo, exec_lo, s8
	v_mov_b32_e32 v1, 0
	s_clause 0x1
	s_load_b32 s8, s[0:1], 0x8
	s_load_b32 s0, s[0:1], 0x70
	s_wait_dscnt 0x0
	s_barrier_signal -1
	s_barrier_wait -1
	global_inv scope:SCOPE_SE
	ds_load_b32 v2, v1
	s_wait_loadcnt_dscnt 0x0
	s_barrier_signal -1
	s_barrier_wait -1
	global_inv scope:SCOPE_SE
	s_wait_kmcnt 0x0
	global_load_b64 v[17:18], v1, s[14:15]
	s_mov_b32 s1, 0
	v_lshlrev_b32_e32 v45, 2, v0
	s_mov_b32 s23, -1
	s_add_co_i32 s8, s8, s16
	s_add_co_i32 s9, s0, -1
	s_mulk_i32 s0, 0xd00
	s_delay_alu instid0(SALU_CYCLE_1)
	s_add_co_i32 s14, s0, s16
	s_add_nc_u64 s[0:1], s[16:17], s[0:1]
	v_readfirstlane_b32 s15, v2
	v_cmp_gt_u64_e64 s0, s[18:19], s[0:1]
	s_sub_co_i32 s22, s18, s14
	s_wait_alu 0xfffe
	v_cmp_ne_u32_e32 vcc_lo, s9, v2
	s_addk_co_i32 s22, 0xd00
	s_cmp_eq_u32 s15, s9
	s_mul_i32 s14, s15, 0xd00
	s_cselect_b32 s9, -1, 0
	s_or_b32 s1, s0, vcc_lo
	s_wait_alu 0xfffe
	s_and_b32 vcc_lo, exec_lo, s1
	s_cbranch_vccz .LBB1425_6
; %bb.5:
	v_add3_u32 v1, s14, s8, v0
	s_mov_b32 s23, 0
	s_delay_alu instid0(VALU_DEP_1)
	v_add_nc_u32_e32 v2, 0x100, v1
	v_add_nc_u32_e32 v3, 0x200, v1
	;; [unrolled: 1-line block ×12, first 2 shown]
	ds_store_2addr_stride64_b32 v45, v1, v2 offset1:4
	ds_store_2addr_stride64_b32 v45, v3, v4 offset0:8 offset1:12
	ds_store_2addr_stride64_b32 v45, v5, v6 offset0:16 offset1:20
	;; [unrolled: 1-line block ×5, first 2 shown]
	ds_store_b32 v45, v13 offset:12288
	s_wait_loadcnt_dscnt 0x0
	s_barrier_signal -1
	s_barrier_wait -1
.LBB1425_6:
	v_cmp_gt_u32_e64 s0, s22, v0
	v_or_b32_e32 v44, 0x100, v0
	v_or_b32_e32 v43, 0x200, v0
	;; [unrolled: 1-line block ×12, first 2 shown]
	s_wait_alu 0xfffe
	s_and_not1_b32 vcc_lo, exec_lo, s23
	s_cbranch_vccnz .LBB1425_8
; %bb.7:
	s_add_co_i32 s8, s14, s8
	v_cmp_gt_u32_e32 vcc_lo, s22, v44
	s_wait_alu 0xfffe
	v_add_nc_u32_e32 v13, s8, v33
	v_add_nc_u32_e32 v12, s8, v34
	;; [unrolled: 1-line block ×12, first 2 shown]
	s_delay_alu instid0(VALU_DEP_1) | instskip(SKIP_1) | instid1(VALU_DEP_2)
	v_dual_cndmask_b32 v2, 0, v2 :: v_dual_add_nc_u32 v1, s8, v0
	v_cmp_gt_u32_e32 vcc_lo, s22, v43
	v_cndmask_b32_e64 v1, 0, v1, s0
	s_wait_alu 0xfffd
	v_cndmask_b32_e32 v3, 0, v3, vcc_lo
	v_cmp_gt_u32_e32 vcc_lo, s22, v42
	s_wait_alu 0xfffd
	v_cndmask_b32_e32 v4, 0, v4, vcc_lo
	v_cmp_gt_u32_e32 vcc_lo, s22, v41
	;; [unrolled: 3-line block ×10, first 2 shown]
	s_wait_alu 0xfffd
	v_cndmask_b32_e32 v13, 0, v13, vcc_lo
	ds_store_2addr_stride64_b32 v45, v1, v2 offset1:4
	ds_store_2addr_stride64_b32 v45, v3, v4 offset0:8 offset1:12
	ds_store_2addr_stride64_b32 v45, v5, v6 offset0:16 offset1:20
	;; [unrolled: 1-line block ×5, first 2 shown]
	ds_store_b32 v45, v13 offset:12288
	s_wait_loadcnt_dscnt 0x0
	s_barrier_signal -1
	s_barrier_wait -1
.LBB1425_8:
	v_mul_u32_u24_e32 v48, 13, v0
	s_wait_loadcnt 0x0
	global_inv scope:SCOPE_SE
	v_cndmask_b32_e64 v46, 0, 1, s1
	s_and_not1_b32 vcc_lo, exec_lo, s1
	v_lshlrev_b32_e32 v1, 2, v48
	ds_load_2addr_b32 v[29:30], v1 offset0:2 offset1:3
	ds_load_2addr_b32 v[25:26], v1 offset0:6 offset1:7
	;; [unrolled: 1-line block ×3, first 2 shown]
	ds_load_2addr_b32 v[31:32], v1 offset1:1
	ds_load_2addr_b32 v[21:22], v1 offset0:10 offset1:11
	ds_load_b32 v47, v1 offset:48
	ds_load_2addr_b32 v[23:24], v1 offset0:8 offset1:9
	s_wait_loadcnt_dscnt 0x0
	s_barrier_signal -1
	s_barrier_wait -1
	global_inv scope:SCOPE_SE
	s_wait_alu 0xfffe
	s_cbranch_vccnz .LBB1425_10
; %bb.9:
	v_add_nc_u32_e32 v1, s5, v30
	v_add_nc_u32_e32 v2, s7, v30
	;; [unrolled: 1-line block ×5, first 2 shown]
	v_mul_lo_u32 v1, v1, s4
	v_mul_lo_u32 v2, v2, s6
	v_add_nc_u32_e32 v8, s7, v29
	v_add_nc_u32_e32 v3, s5, v32
	;; [unrolled: 1-line block ×3, first 2 shown]
	v_mul_lo_u32 v5, v5, s4
	v_mul_lo_u32 v4, v4, s4
	v_add_nc_u32_e32 v9, s5, v27
	v_mul_lo_u32 v3, v3, s4
	v_sub_nc_u32_e32 v1, v1, v2
	v_mul_lo_u32 v2, v7, s6
	v_mul_lo_u32 v7, v8, s6
	v_mul_lo_u32 v6, v6, s6
	v_add_nc_u32_e32 v8, s5, v28
	v_add_nc_u32_e32 v10, s7, v27
	v_mul_lo_u32 v9, v9, s4
	v_cmp_lt_u32_e32 vcc_lo, s3, v1
	v_add_nc_u32_e32 v14, s7, v22
	v_sub_nc_u32_e32 v2, v4, v2
	v_sub_nc_u32_e32 v4, v5, v7
	v_add_nc_u32_e32 v5, s7, v28
	v_sub_nc_u32_e32 v3, v3, v6
	v_add_nc_u32_e32 v6, s5, v26
	v_add_nc_u32_e32 v7, s7, v26
	v_mul_lo_u32 v8, v8, s4
	v_mul_lo_u32 v5, v5, s6
	v_mul_lo_u32 v10, v10, s6
	v_mul_lo_u32 v6, v6, s4
	v_mul_lo_u32 v7, v7, s6
	s_wait_alu 0xfffd
	v_cndmask_b32_e64 v1, 0, 1, vcc_lo
	v_cmp_lt_u32_e32 vcc_lo, s3, v3
	v_mul_lo_u32 v14, v14, s6
	v_add_nc_u32_e32 v15, s7, v24
	v_sub_nc_u32_e32 v5, v8, v5
	v_add_nc_u32_e32 v8, s7, v25
	s_wait_alu 0xfffd
	v_cndmask_b32_e64 v3, 0, 1, vcc_lo
	v_sub_nc_u32_e32 v6, v6, v7
	v_mul_lo_u32 v15, v15, s6
	v_cmp_lt_u32_e32 vcc_lo, s3, v5
	v_mul_lo_u32 v7, v8, s6
	v_sub_nc_u32_e32 v8, v9, v10
	v_add_nc_u32_e32 v9, s5, v22
	v_add_nc_u32_e32 v10, s5, v24
	s_wait_alu 0xfffd
	v_cndmask_b32_e64 v5, 0, 1, vcc_lo
	v_cmp_lt_u32_e32 vcc_lo, s3, v6
	v_add_nc_u32_e32 v11, s5, v25
	v_mul_lo_u32 v9, v9, s4
	v_mul_lo_u32 v10, v10, s4
	v_add_nc_u32_e32 v12, s5, v23
	s_wait_alu 0xfffd
	v_cndmask_b32_e64 v6, 0, 1, vcc_lo
	v_mul_lo_u32 v11, v11, s4
	v_add_nc_u32_e32 v16, s7, v23
	v_lshlrev_b16 v3, 8, v3
	v_add_nc_u32_e32 v13, s5, v21
	v_sub_nc_u32_e32 v9, v9, v14
	v_sub_nc_u32_e32 v10, v10, v15
	v_add_nc_u32_e32 v19, s7, v21
	v_mul_lo_u32 v12, v12, s4
	v_mul_lo_u32 v16, v16, s6
	v_cmp_lt_u32_e32 vcc_lo, s3, v9
	v_sub_nc_u32_e32 v7, v11, v7
	v_lshrrev_b32_e32 v3, 8, v3
	v_mul_lo_u32 v11, v13, s4
	v_mul_lo_u32 v13, v19, s6
	s_wait_alu 0xfffd
	v_cndmask_b32_e64 v9, 0, 1, vcc_lo
	v_cmp_lt_u32_e32 vcc_lo, s3, v2
	v_sub_nc_u32_e32 v12, v12, v16
	v_lshlrev_b16 v3, 8, v3
	v_lshlrev_b16 v1, 8, v1
	;; [unrolled: 1-line block ×3, first 2 shown]
	s_wait_alu 0xfffd
	v_cndmask_b32_e64 v2, 0, 1, vcc_lo
	v_cmp_lt_u32_e32 vcc_lo, s3, v10
	v_sub_nc_u32_e32 v11, v11, v13
	v_add_nc_u32_e32 v14, s5, v47
	v_add_nc_u32_e32 v15, s7, v47
	v_or_b32_e32 v2, v2, v3
	s_wait_alu 0xfffd
	v_cndmask_b32_e64 v10, 0, 1, vcc_lo
	v_cmp_lt_u32_e32 vcc_lo, s3, v4
	v_lshlrev_b16 v3, 8, v9
	v_lshrrev_b32_e32 v5, 8, v5
	v_lshrrev_b32_e32 v1, 8, v1
	v_lshlrev_b16 v9, 8, v10
	s_wait_alu 0xfffd
	v_cndmask_b32_e64 v4, 0, 1, vcc_lo
	v_cmp_lt_u32_e32 vcc_lo, s3, v8
	v_lshrrev_b32_e32 v3, 8, v3
	v_mul_lo_u32 v14, v14, s4
	v_lshrrev_b32_e32 v9, 8, v9
	v_mul_lo_u32 v15, v15, s6
	s_wait_alu 0xfffd
	v_cndmask_b32_e64 v8, 0, 1, vcc_lo
	v_cmp_lt_u32_e32 vcc_lo, s3, v7
	v_lshlrev_b16 v6, 8, v6
	v_lshlrev_b16 v1, 8, v1
	;; [unrolled: 1-line block ×4, first 2 shown]
	s_wait_alu 0xfffd
	v_cndmask_b32_e64 v7, 0, 1, vcc_lo
	v_cmp_lt_u32_e32 vcc_lo, s3, v12
	v_lshlrev_b16 v3, 8, v3
	v_sub_nc_u32_e32 v10, v14, v15
	v_or_b32_e32 v1, v4, v1
	v_or_b32_e32 v4, v8, v5
	s_wait_alu 0xfffd
	v_cndmask_b32_e64 v12, 0, 1, vcc_lo
	v_cmp_lt_u32_e32 vcc_lo, s3, v11
	v_or_b32_e32 v5, v7, v6
	v_and_b32_e32 v2, 0xffff, v2
	v_lshlrev_b32_e32 v1, 16, v1
	v_or_b32_e32 v6, v12, v9
	s_wait_alu 0xfffd
	v_cndmask_b32_e64 v11, 0, 1, vcc_lo
	v_and_b32_e32 v4, 0xffff, v4
	v_lshlrev_b32_e32 v5, 16, v5
	v_cmp_lt_u32_e32 vcc_lo, s3, v10
	v_and_b32_e32 v6, 0xffff, v6
	v_or_b32_e32 v3, v11, v3
	v_or_b32_e32 v54, v2, v1
	;; [unrolled: 1-line block ×3, first 2 shown]
	s_wait_alu 0xfffd
	v_cndmask_b32_e64 v49, 0, 1, vcc_lo
	v_lshlrev_b32_e32 v3, 16, v3
	s_delay_alu instid0(VALU_DEP_1)
	v_or_b32_e32 v50, v6, v3
	s_cbranch_execz .LBB1425_11
	s_branch .LBB1425_38
.LBB1425_10:
                                        ; implicit-def: $vgpr49
                                        ; implicit-def: $vgpr50
                                        ; implicit-def: $vgpr52
                                        ; implicit-def: $vgpr54
.LBB1425_11:
	v_dual_mov_b32 v2, 0 :: v_dual_mov_b32 v1, 0
	s_mov_b32 s0, exec_lo
	v_cmpx_gt_u32_e64 s22, v48
	s_cbranch_execz .LBB1425_13
; %bb.12:
	v_add_nc_u32_e32 v1, s5, v31
	v_add_nc_u32_e32 v3, s7, v31
	s_delay_alu instid0(VALU_DEP_2) | instskip(NEXT) | instid1(VALU_DEP_2)
	v_mul_lo_u32 v1, v1, s4
	v_mul_lo_u32 v3, v3, s6
	s_delay_alu instid0(VALU_DEP_1) | instskip(NEXT) | instid1(VALU_DEP_1)
	v_sub_nc_u32_e32 v1, v1, v3
	v_cmp_lt_u32_e32 vcc_lo, s3, v1
	s_wait_alu 0xfffd
	v_cndmask_b32_e64 v1, 0, 1, vcc_lo
.LBB1425_13:
	s_wait_alu 0xfffe
	s_or_b32 exec_lo, exec_lo, s0
	v_add_nc_u32_e32 v3, 1, v48
	s_mov_b32 s0, exec_lo
	s_delay_alu instid0(VALU_DEP_1)
	v_cmpx_gt_u32_e64 s22, v3
	s_cbranch_execz .LBB1425_15
; %bb.14:
	v_add_nc_u32_e32 v2, s5, v32
	v_add_nc_u32_e32 v3, s7, v32
	s_delay_alu instid0(VALU_DEP_2) | instskip(NEXT) | instid1(VALU_DEP_2)
	v_mul_lo_u32 v2, v2, s4
	v_mul_lo_u32 v3, v3, s6
	s_delay_alu instid0(VALU_DEP_1) | instskip(NEXT) | instid1(VALU_DEP_1)
	v_sub_nc_u32_e32 v2, v2, v3
	v_cmp_lt_u32_e32 vcc_lo, s3, v2
	s_wait_alu 0xfffd
	v_cndmask_b32_e64 v2, 0, 1, vcc_lo
.LBB1425_15:
	s_wait_alu 0xfffe
	s_or_b32 exec_lo, exec_lo, s0
	v_dual_mov_b32 v4, 0 :: v_dual_add_nc_u32 v3, 2, v48
	s_delay_alu instid0(VALU_DEP_1)
	v_cmp_gt_u32_e32 vcc_lo, s22, v3
	v_mov_b32_e32 v3, 0
	s_and_saveexec_b32 s0, vcc_lo
	s_cbranch_execz .LBB1425_17
; %bb.16:
	v_add_nc_u32_e32 v3, s5, v29
	v_add_nc_u32_e32 v5, s7, v29
	s_delay_alu instid0(VALU_DEP_2) | instskip(NEXT) | instid1(VALU_DEP_2)
	v_mul_lo_u32 v3, v3, s4
	v_mul_lo_u32 v5, v5, s6
	s_delay_alu instid0(VALU_DEP_1) | instskip(NEXT) | instid1(VALU_DEP_1)
	v_sub_nc_u32_e32 v3, v3, v5
	v_cmp_lt_u32_e32 vcc_lo, s3, v3
	s_wait_alu 0xfffd
	v_cndmask_b32_e64 v3, 0, 1, vcc_lo
.LBB1425_17:
	s_wait_alu 0xfffe
	s_or_b32 exec_lo, exec_lo, s0
	v_add_nc_u32_e32 v5, 3, v48
	s_mov_b32 s0, exec_lo
	s_delay_alu instid0(VALU_DEP_1)
	v_cmpx_gt_u32_e64 s22, v5
	s_cbranch_execz .LBB1425_19
; %bb.18:
	v_add_nc_u32_e32 v4, s5, v30
	v_add_nc_u32_e32 v5, s7, v30
	s_delay_alu instid0(VALU_DEP_2) | instskip(NEXT) | instid1(VALU_DEP_2)
	v_mul_lo_u32 v4, v4, s4
	v_mul_lo_u32 v5, v5, s6
	s_delay_alu instid0(VALU_DEP_1) | instskip(NEXT) | instid1(VALU_DEP_1)
	v_sub_nc_u32_e32 v4, v4, v5
	v_cmp_lt_u32_e32 vcc_lo, s3, v4
	s_wait_alu 0xfffd
	v_cndmask_b32_e64 v4, 0, 1, vcc_lo
.LBB1425_19:
	s_wait_alu 0xfffe
	s_or_b32 exec_lo, exec_lo, s0
	v_dual_mov_b32 v6, 0 :: v_dual_add_nc_u32 v5, 4, v48
	s_delay_alu instid0(VALU_DEP_1)
	v_cmp_gt_u32_e32 vcc_lo, s22, v5
	v_mov_b32_e32 v5, 0
	s_and_saveexec_b32 s0, vcc_lo
	;; [unrolled: 39-line block ×5, first 2 shown]
	s_cbranch_execz .LBB1425_33
; %bb.32:
	v_add_nc_u32_e32 v11, s5, v21
	v_add_nc_u32_e32 v13, s7, v21
	s_delay_alu instid0(VALU_DEP_2) | instskip(NEXT) | instid1(VALU_DEP_2)
	v_mul_lo_u32 v11, v11, s4
	v_mul_lo_u32 v13, v13, s6
	s_delay_alu instid0(VALU_DEP_1) | instskip(NEXT) | instid1(VALU_DEP_1)
	v_sub_nc_u32_e32 v11, v11, v13
	v_cmp_lt_u32_e32 vcc_lo, s3, v11
	s_wait_alu 0xfffd
	v_cndmask_b32_e64 v11, 0, 1, vcc_lo
.LBB1425_33:
	s_wait_alu 0xfffe
	s_or_b32 exec_lo, exec_lo, s0
	v_add_nc_u32_e32 v13, 11, v48
	s_mov_b32 s0, exec_lo
	s_delay_alu instid0(VALU_DEP_1)
	v_cmpx_gt_u32_e64 s22, v13
	s_cbranch_execz .LBB1425_35
; %bb.34:
	v_add_nc_u32_e32 v12, s5, v22
	v_add_nc_u32_e32 v13, s7, v22
	s_delay_alu instid0(VALU_DEP_2) | instskip(NEXT) | instid1(VALU_DEP_2)
	v_mul_lo_u32 v12, v12, s4
	v_mul_lo_u32 v13, v13, s6
	s_delay_alu instid0(VALU_DEP_1) | instskip(NEXT) | instid1(VALU_DEP_1)
	v_sub_nc_u32_e32 v12, v12, v13
	v_cmp_lt_u32_e32 vcc_lo, s3, v12
	s_wait_alu 0xfffd
	v_cndmask_b32_e64 v12, 0, 1, vcc_lo
.LBB1425_35:
	s_wait_alu 0xfffe
	s_or_b32 exec_lo, exec_lo, s0
	v_add_nc_u32_e32 v13, 12, v48
	v_mov_b32_e32 v49, 0
	s_mov_b32 s0, exec_lo
	s_delay_alu instid0(VALU_DEP_2)
	v_cmpx_gt_u32_e64 s22, v13
	s_cbranch_execz .LBB1425_37
; %bb.36:
	v_add_nc_u32_e32 v13, s5, v47
	v_add_nc_u32_e32 v14, s7, v47
	s_delay_alu instid0(VALU_DEP_2) | instskip(NEXT) | instid1(VALU_DEP_2)
	v_mul_lo_u32 v13, v13, s4
	v_mul_lo_u32 v14, v14, s6
	s_delay_alu instid0(VALU_DEP_1) | instskip(NEXT) | instid1(VALU_DEP_1)
	v_sub_nc_u32_e32 v13, v13, v14
	v_cmp_lt_u32_e32 vcc_lo, s3, v13
	s_wait_alu 0xfffd
	v_cndmask_b32_e64 v49, 0, 1, vcc_lo
.LBB1425_37:
	s_wait_alu 0xfffe
	s_or_b32 exec_lo, exec_lo, s0
	v_lshlrev_b16 v2, 8, v2
	v_lshlrev_b16 v4, 8, v4
	;; [unrolled: 1-line block ×5, first 2 shown]
	v_or_b32_e32 v1, v1, v2
	v_lshlrev_b16 v2, 8, v12
	v_or_b32_e32 v3, v3, v4
	v_or_b32_e32 v4, v5, v6
	;; [unrolled: 1-line block ×5, first 2 shown]
	v_and_b32_e32 v1, 0xffff, v1
	v_lshlrev_b32_e32 v3, 16, v3
	v_and_b32_e32 v4, 0xffff, v4
	v_lshlrev_b32_e32 v5, 16, v5
	;; [unrolled: 2-line block ×3, first 2 shown]
	v_or_b32_e32 v54, v1, v3
	s_delay_alu instid0(VALU_DEP_4) | instskip(NEXT) | instid1(VALU_DEP_3)
	v_or_b32_e32 v52, v4, v5
	v_or_b32_e32 v50, v6, v2
.LBB1425_38:
	s_delay_alu instid0(VALU_DEP_3)
	v_and_b32_e32 v56, 0xff, v54
	v_bfe_u32 v57, v54, 8, 8
	v_bfe_u32 v58, v54, 16, 8
	v_lshrrev_b32_e32 v55, 24, v54
	v_and_b32_e32 v59, 0xff, v52
	v_bfe_u32 v60, v52, 8, 8
	v_bfe_u32 v61, v52, 16, 8
	v_add3_u32 v1, v57, v56, v58
	v_lshrrev_b32_e32 v53, 24, v52
	v_and_b32_e32 v62, 0xff, v50
	v_bfe_u32 v63, v50, 8, 8
	v_mbcnt_lo_u32_b32 v65, -1, 0
	v_add3_u32 v1, v1, v55, v59
	v_bfe_u32 v64, v50, 16, 8
	v_lshrrev_b32_e32 v51, 24, v50
	v_and_b32_e32 v2, 0xff, v49
	v_and_b32_e32 v3, 15, v65
	v_add3_u32 v1, v1, v60, v61
	v_or_b32_e32 v4, 31, v0
	v_and_b32_e32 v5, 16, v65
	v_lshrrev_b32_e32 v66, 5, v0
	v_cmp_eq_u32_e64 s6, 0, v3
	v_add3_u32 v1, v1, v53, v62
	v_cmp_lt_u32_e64 s5, 1, v3
	v_cmp_lt_u32_e64 s4, 3, v3
	;; [unrolled: 1-line block ×3, first 2 shown]
	v_cmp_eq_u32_e64 s1, 0, v5
	v_add3_u32 v1, v1, v63, v64
	v_cmp_eq_u32_e64 s0, v0, v4
	s_cmp_lg_u32 s15, 0
	s_mov_b32 s7, -1
	v_add3_u32 v67, v1, v51, v2
	s_cbranch_scc0 .LBB1425_59
; %bb.39:
	s_delay_alu instid0(VALU_DEP_1) | instskip(NEXT) | instid1(VALU_DEP_1)
	v_mov_b32_dpp v1, v67 row_shr:1 row_mask:0xf bank_mask:0xf
	v_cndmask_b32_e64 v1, v1, 0, s6
	s_delay_alu instid0(VALU_DEP_1) | instskip(NEXT) | instid1(VALU_DEP_1)
	v_add_nc_u32_e32 v1, v1, v67
	v_mov_b32_dpp v2, v1 row_shr:2 row_mask:0xf bank_mask:0xf
	s_delay_alu instid0(VALU_DEP_1) | instskip(NEXT) | instid1(VALU_DEP_1)
	v_cndmask_b32_e64 v2, 0, v2, s5
	v_add_nc_u32_e32 v1, v1, v2
	s_delay_alu instid0(VALU_DEP_1) | instskip(NEXT) | instid1(VALU_DEP_1)
	v_mov_b32_dpp v2, v1 row_shr:4 row_mask:0xf bank_mask:0xf
	v_cndmask_b32_e64 v2, 0, v2, s4
	s_delay_alu instid0(VALU_DEP_1) | instskip(NEXT) | instid1(VALU_DEP_1)
	v_add_nc_u32_e32 v1, v1, v2
	v_mov_b32_dpp v2, v1 row_shr:8 row_mask:0xf bank_mask:0xf
	s_delay_alu instid0(VALU_DEP_1) | instskip(NEXT) | instid1(VALU_DEP_1)
	v_cndmask_b32_e64 v2, 0, v2, s3
	v_add_nc_u32_e32 v1, v1, v2
	ds_swizzle_b32 v2, v1 offset:swizzle(BROADCAST,32,15)
	s_wait_dscnt 0x0
	v_cndmask_b32_e64 v2, v2, 0, s1
	s_delay_alu instid0(VALU_DEP_1)
	v_add_nc_u32_e32 v1, v1, v2
	s_and_saveexec_b32 s7, s0
; %bb.40:
	v_lshlrev_b32_e32 v2, 2, v66
	ds_store_b32 v2, v1
; %bb.41:
	s_wait_alu 0xfffe
	s_or_b32 exec_lo, exec_lo, s7
	s_delay_alu instid0(SALU_CYCLE_1)
	s_mov_b32 s7, exec_lo
	s_wait_loadcnt_dscnt 0x0
	s_barrier_signal -1
	s_barrier_wait -1
	global_inv scope:SCOPE_SE
	v_cmpx_gt_u32_e32 8, v0
	s_cbranch_execz .LBB1425_43
; %bb.42:
	ds_load_b32 v2, v45
	s_wait_dscnt 0x0
	v_mov_b32_dpp v4, v2 row_shr:1 row_mask:0xf bank_mask:0xf
	v_and_b32_e32 v3, 7, v65
	s_delay_alu instid0(VALU_DEP_1) | instskip(SKIP_1) | instid1(VALU_DEP_3)
	v_cmp_ne_u32_e32 vcc_lo, 0, v3
	s_wait_alu 0xfffd
	v_cndmask_b32_e32 v4, 0, v4, vcc_lo
	v_cmp_lt_u32_e32 vcc_lo, 1, v3
	s_delay_alu instid0(VALU_DEP_2) | instskip(NEXT) | instid1(VALU_DEP_1)
	v_add_nc_u32_e32 v2, v4, v2
	v_mov_b32_dpp v4, v2 row_shr:2 row_mask:0xf bank_mask:0xf
	s_wait_alu 0xfffd
	s_delay_alu instid0(VALU_DEP_1) | instskip(SKIP_1) | instid1(VALU_DEP_2)
	v_cndmask_b32_e32 v4, 0, v4, vcc_lo
	v_cmp_lt_u32_e32 vcc_lo, 3, v3
	v_add_nc_u32_e32 v2, v2, v4
	s_delay_alu instid0(VALU_DEP_1) | instskip(SKIP_1) | instid1(VALU_DEP_1)
	v_mov_b32_dpp v4, v2 row_shr:4 row_mask:0xf bank_mask:0xf
	s_wait_alu 0xfffd
	v_cndmask_b32_e32 v3, 0, v4, vcc_lo
	s_delay_alu instid0(VALU_DEP_1)
	v_add_nc_u32_e32 v2, v2, v3
	ds_store_b32 v45, v2
.LBB1425_43:
	s_wait_alu 0xfffe
	s_or_b32 exec_lo, exec_lo, s7
	s_delay_alu instid0(SALU_CYCLE_1)
	s_mov_b32 s8, exec_lo
	v_cmp_gt_u32_e32 vcc_lo, 32, v0
	s_wait_loadcnt_dscnt 0x0
	s_barrier_signal -1
	s_barrier_wait -1
	global_inv scope:SCOPE_SE
                                        ; implicit-def: $vgpr9
	v_cmpx_lt_u32_e32 31, v0
	s_cbranch_execz .LBB1425_45
; %bb.44:
	v_lshl_add_u32 v2, v66, 2, -4
	ds_load_b32 v9, v2
	s_wait_dscnt 0x0
	v_add_nc_u32_e32 v1, v9, v1
.LBB1425_45:
	s_wait_alu 0xfffe
	s_or_b32 exec_lo, exec_lo, s8
	v_sub_co_u32 v2, s7, v65, 1
	s_delay_alu instid0(VALU_DEP_1) | instskip(SKIP_1) | instid1(VALU_DEP_1)
	v_cmp_gt_i32_e64 s8, 0, v2
	s_wait_alu 0xf1ff
	v_cndmask_b32_e64 v2, v2, v65, s8
	s_delay_alu instid0(VALU_DEP_1)
	v_lshlrev_b32_e32 v2, 2, v2
	ds_bpermute_b32 v10, v2, v1
	s_and_saveexec_b32 s8, vcc_lo
	s_cbranch_execz .LBB1425_64
; %bb.46:
	v_mov_b32_e32 v5, 0
	ds_load_b32 v1, v5 offset:28
	s_and_saveexec_b32 s23, s7
	s_cbranch_execz .LBB1425_48
; %bb.47:
	s_add_co_i32 s24, s15, 32
	s_mov_b32 s25, 0
	v_mov_b32_e32 v2, 1
	s_lshl_b64 s[24:25], s[24:25], 3
	s_delay_alu instid0(SALU_CYCLE_1)
	s_add_nc_u64 s[24:25], s[20:21], s[24:25]
	s_wait_dscnt 0x0
	global_store_b64 v5, v[1:2], s[24:25] scope:SCOPE_DEV
.LBB1425_48:
	s_wait_alu 0xfffe
	s_or_b32 exec_lo, exec_lo, s23
	v_xad_u32 v3, v65, -1, s15
	s_mov_b32 s24, 0
	s_mov_b32 s23, exec_lo
	s_delay_alu instid0(VALU_DEP_1) | instskip(NEXT) | instid1(VALU_DEP_1)
	v_add_nc_u32_e32 v4, 32, v3
	v_lshlrev_b64_e32 v[4:5], 3, v[4:5]
	s_delay_alu instid0(VALU_DEP_1) | instskip(SKIP_1) | instid1(VALU_DEP_2)
	v_add_co_u32 v7, vcc_lo, s20, v4
	s_wait_alu 0xfffd
	v_add_co_ci_u32_e64 v8, null, s21, v5, vcc_lo
	global_load_b64 v[5:6], v[7:8], off scope:SCOPE_DEV
	s_wait_loadcnt 0x0
	v_and_b32_e32 v2, 0xff, v6
	s_delay_alu instid0(VALU_DEP_1)
	v_cmpx_eq_u16_e32 0, v2
	s_cbranch_execz .LBB1425_51
.LBB1425_49:                            ; =>This Inner Loop Header: Depth=1
	global_load_b64 v[5:6], v[7:8], off scope:SCOPE_DEV
	s_wait_loadcnt 0x0
	v_and_b32_e32 v2, 0xff, v6
	s_delay_alu instid0(VALU_DEP_1) | instskip(SKIP_1) | instid1(SALU_CYCLE_1)
	v_cmp_ne_u16_e32 vcc_lo, 0, v2
	s_or_b32 s24, vcc_lo, s24
	s_and_not1_b32 exec_lo, exec_lo, s24
	s_cbranch_execnz .LBB1425_49
; %bb.50:
	s_or_b32 exec_lo, exec_lo, s24
.LBB1425_51:
	s_wait_alu 0xfffe
	s_or_b32 exec_lo, exec_lo, s23
	v_cmp_ne_u32_e32 vcc_lo, 31, v65
	v_lshlrev_b32_e64 v12, v65, -1
	v_add_nc_u32_e32 v14, 2, v65
	v_add_nc_u32_e32 v16, 4, v65
	;; [unrolled: 1-line block ×3, first 2 shown]
	s_wait_alu 0xfffd
	v_add_co_ci_u32_e64 v2, null, 0, v65, vcc_lo
	v_lshl_or_b32 v68, v65, 2, 64
	v_add_nc_u32_e32 v69, 16, v65
	s_delay_alu instid0(VALU_DEP_3)
	v_lshlrev_b32_e32 v11, 2, v2
	v_and_b32_e32 v2, 0xff, v6
	ds_bpermute_b32 v4, v11, v5
	v_cmp_eq_u16_e32 vcc_lo, 2, v2
	s_wait_alu 0xfffd
	v_and_or_b32 v2, vcc_lo, v12, 0x80000000
	v_cmp_gt_u32_e32 vcc_lo, 30, v65
	s_delay_alu instid0(VALU_DEP_2) | instskip(SKIP_2) | instid1(VALU_DEP_2)
	v_ctz_i32_b32_e32 v2, v2
	s_wait_alu 0xfffd
	v_cndmask_b32_e64 v7, 0, 2, vcc_lo
	v_cmp_lt_u32_e32 vcc_lo, v65, v2
	s_delay_alu instid0(VALU_DEP_2) | instskip(SKIP_4) | instid1(VALU_DEP_2)
	v_add_lshl_u32 v13, v7, v65, 2
	s_wait_dscnt 0x0
	s_wait_alu 0xfffd
	v_cndmask_b32_e32 v4, 0, v4, vcc_lo
	v_cmp_gt_u32_e32 vcc_lo, 28, v65
	v_add_nc_u32_e32 v4, v4, v5
	s_wait_alu 0xfffd
	v_cndmask_b32_e64 v7, 0, 4, vcc_lo
	v_cmp_le_u32_e32 vcc_lo, v14, v2
	ds_bpermute_b32 v5, v13, v4
	v_add_lshl_u32 v15, v7, v65, 2
	s_wait_dscnt 0x0
	s_wait_alu 0xfffd
	v_cndmask_b32_e32 v5, 0, v5, vcc_lo
	v_cmp_gt_u32_e32 vcc_lo, 24, v65
	s_delay_alu instid0(VALU_DEP_2)
	v_add_nc_u32_e32 v4, v4, v5
	s_wait_alu 0xfffd
	v_cndmask_b32_e64 v7, 0, 8, vcc_lo
	v_cmp_le_u32_e32 vcc_lo, v16, v2
	ds_bpermute_b32 v5, v15, v4
	v_add_lshl_u32 v19, v7, v65, 2
	s_wait_dscnt 0x0
	s_wait_alu 0xfffd
	v_cndmask_b32_e32 v5, 0, v5, vcc_lo
	v_cmp_le_u32_e32 vcc_lo, v20, v2
	s_delay_alu instid0(VALU_DEP_2)
	v_add_nc_u32_e32 v4, v4, v5
	ds_bpermute_b32 v5, v19, v4
	s_wait_dscnt 0x0
	s_wait_alu 0xfffd
	v_cndmask_b32_e32 v5, 0, v5, vcc_lo
	v_cmp_le_u32_e32 vcc_lo, v69, v2
	s_delay_alu instid0(VALU_DEP_2) | instskip(SKIP_4) | instid1(VALU_DEP_1)
	v_add_nc_u32_e32 v4, v4, v5
	ds_bpermute_b32 v5, v68, v4
	s_wait_dscnt 0x0
	s_wait_alu 0xfffd
	v_cndmask_b32_e32 v2, 0, v5, vcc_lo
	v_dual_mov_b32 v4, 0 :: v_dual_add_nc_u32 v5, v4, v2
	s_branch .LBB1425_55
.LBB1425_52:                            ;   in Loop: Header=BB1425_55 Depth=1
	s_or_b32 exec_lo, exec_lo, s24
.LBB1425_53:                            ;   in Loop: Header=BB1425_55 Depth=1
	s_wait_alu 0xfffe
	s_or_b32 exec_lo, exec_lo, s23
	ds_bpermute_b32 v8, v11, v5
	v_and_b32_e32 v7, 0xff, v6
	v_subrev_nc_u32_e32 v3, 32, v3
	s_mov_b32 s23, 0
	s_delay_alu instid0(VALU_DEP_2) | instskip(SKIP_2) | instid1(VALU_DEP_1)
	v_cmp_eq_u16_e32 vcc_lo, 2, v7
	s_wait_alu 0xfffd
	v_and_or_b32 v7, vcc_lo, v12, 0x80000000
	v_ctz_i32_b32_e32 v7, v7
	s_delay_alu instid0(VALU_DEP_1) | instskip(SKIP_4) | instid1(VALU_DEP_2)
	v_cmp_lt_u32_e32 vcc_lo, v65, v7
	s_wait_dscnt 0x0
	s_wait_alu 0xfffd
	v_cndmask_b32_e32 v8, 0, v8, vcc_lo
	v_cmp_le_u32_e32 vcc_lo, v14, v7
	v_add_nc_u32_e32 v5, v8, v5
	ds_bpermute_b32 v8, v13, v5
	s_wait_dscnt 0x0
	s_wait_alu 0xfffd
	v_cndmask_b32_e32 v8, 0, v8, vcc_lo
	v_cmp_le_u32_e32 vcc_lo, v16, v7
	s_delay_alu instid0(VALU_DEP_2)
	v_add_nc_u32_e32 v5, v5, v8
	ds_bpermute_b32 v8, v15, v5
	s_wait_dscnt 0x0
	s_wait_alu 0xfffd
	v_cndmask_b32_e32 v8, 0, v8, vcc_lo
	v_cmp_le_u32_e32 vcc_lo, v20, v7
	s_delay_alu instid0(VALU_DEP_2)
	v_add_nc_u32_e32 v5, v5, v8
	ds_bpermute_b32 v8, v19, v5
	s_wait_dscnt 0x0
	s_wait_alu 0xfffd
	v_cndmask_b32_e32 v8, 0, v8, vcc_lo
	v_cmp_le_u32_e32 vcc_lo, v69, v7
	s_delay_alu instid0(VALU_DEP_2) | instskip(SKIP_4) | instid1(VALU_DEP_1)
	v_add_nc_u32_e32 v5, v5, v8
	ds_bpermute_b32 v8, v68, v5
	s_wait_dscnt 0x0
	s_wait_alu 0xfffd
	v_cndmask_b32_e32 v7, 0, v8, vcc_lo
	v_add3_u32 v5, v7, v2, v5
.LBB1425_54:                            ;   in Loop: Header=BB1425_55 Depth=1
	s_wait_alu 0xfffe
	s_and_b32 vcc_lo, exec_lo, s23
	s_wait_alu 0xfffe
	s_cbranch_vccnz .LBB1425_60
.LBB1425_55:                            ; =>This Loop Header: Depth=1
                                        ;     Child Loop BB1425_58 Depth 2
	v_and_b32_e32 v2, 0xff, v6
	s_mov_b32 s23, -1
                                        ; implicit-def: $vgpr6
	s_delay_alu instid0(VALU_DEP_1)
	v_cmp_ne_u16_e32 vcc_lo, 2, v2
	v_mov_b32_e32 v2, v5
                                        ; implicit-def: $vgpr5
	s_cmp_lg_u32 vcc_lo, exec_lo
	s_cbranch_scc1 .LBB1425_54
; %bb.56:                               ;   in Loop: Header=BB1425_55 Depth=1
	v_lshlrev_b64_e32 v[5:6], 3, v[3:4]
	s_mov_b32 s23, exec_lo
	s_delay_alu instid0(VALU_DEP_1) | instskip(SKIP_1) | instid1(VALU_DEP_2)
	v_add_co_u32 v7, vcc_lo, s20, v5
	s_wait_alu 0xfffd
	v_add_co_ci_u32_e64 v8, null, s21, v6, vcc_lo
	global_load_b64 v[5:6], v[7:8], off scope:SCOPE_DEV
	s_wait_loadcnt 0x0
	v_and_b32_e32 v70, 0xff, v6
	s_delay_alu instid0(VALU_DEP_1)
	v_cmpx_eq_u16_e32 0, v70
	s_cbranch_execz .LBB1425_53
; %bb.57:                               ;   in Loop: Header=BB1425_55 Depth=1
	s_mov_b32 s24, 0
.LBB1425_58:                            ;   Parent Loop BB1425_55 Depth=1
                                        ; =>  This Inner Loop Header: Depth=2
	global_load_b64 v[5:6], v[7:8], off scope:SCOPE_DEV
	s_wait_loadcnt 0x0
	v_and_b32_e32 v70, 0xff, v6
	s_delay_alu instid0(VALU_DEP_1) | instskip(SKIP_1) | instid1(SALU_CYCLE_1)
	v_cmp_ne_u16_e32 vcc_lo, 0, v70
	s_or_b32 s24, vcc_lo, s24
	s_and_not1_b32 exec_lo, exec_lo, s24
	s_cbranch_execnz .LBB1425_58
	s_branch .LBB1425_52
.LBB1425_59:
                                        ; implicit-def: $vgpr20
                                        ; implicit-def: $vgpr1_vgpr2_vgpr3_vgpr4_vgpr5_vgpr6_vgpr7_vgpr8_vgpr9_vgpr10_vgpr11_vgpr12_vgpr13_vgpr14_vgpr15_vgpr16
	s_wait_alu 0xfffe
	s_and_b32 vcc_lo, exec_lo, s7
	s_wait_alu 0xfffe
	s_cbranch_vccnz .LBB1425_65
	s_branch .LBB1425_74
.LBB1425_60:
	s_and_saveexec_b32 s23, s7
	s_cbranch_execz .LBB1425_62
; %bb.61:
	s_add_co_i32 s24, s15, 32
	s_mov_b32 s25, 0
	v_dual_mov_b32 v4, 2 :: v_dual_add_nc_u32 v3, v2, v1
	v_mov_b32_e32 v5, 0
	s_lshl_b64 s[24:25], s[24:25], 3
	s_delay_alu instid0(SALU_CYCLE_1)
	s_add_nc_u64 s[24:25], s[20:21], s[24:25]
	global_store_b64 v5, v[3:4], s[24:25] scope:SCOPE_DEV
	ds_store_b64 v5, v[1:2] offset:13312
.LBB1425_62:
	s_wait_alu 0xfffe
	s_or_b32 exec_lo, exec_lo, s23
	s_delay_alu instid0(SALU_CYCLE_1)
	s_and_b32 exec_lo, exec_lo, s2
; %bb.63:
	v_mov_b32_e32 v1, 0
	ds_store_b32 v1, v2 offset:28
.LBB1425_64:
	s_wait_alu 0xfffe
	s_or_b32 exec_lo, exec_lo, s8
	v_mov_b32_e32 v11, 0
	s_wait_storecnt 0x0
	s_wait_loadcnt_dscnt 0x0
	s_barrier_signal -1
	s_barrier_wait -1
	global_inv scope:SCOPE_SE
	ds_load_b32 v1, v11 offset:28
	v_cndmask_b32_e64 v2, v10, v9, s7
	s_wait_loadcnt_dscnt 0x0
	s_barrier_signal -1
	s_barrier_wait -1
	global_inv scope:SCOPE_SE
	v_cndmask_b32_e64 v2, v2, 0, s2
	s_delay_alu instid0(VALU_DEP_1) | instskip(NEXT) | instid1(VALU_DEP_1)
	v_add_nc_u32_e32 v1, v1, v2
	v_add_nc_u32_e32 v2, v1, v56
	ds_load_b64 v[19:20], v11 offset:13312
	v_add_nc_u32_e32 v3, v2, v57
	s_delay_alu instid0(VALU_DEP_1) | instskip(NEXT) | instid1(VALU_DEP_1)
	v_add_nc_u32_e32 v4, v3, v58
	v_add_nc_u32_e32 v5, v4, v55
	s_delay_alu instid0(VALU_DEP_1) | instskip(NEXT) | instid1(VALU_DEP_1)
	v_add_nc_u32_e32 v6, v5, v59
	;; [unrolled: 3-line block ×5, first 2 shown]
	v_add_nc_u32_e32 v13, v12, v51
	s_branch .LBB1425_74
.LBB1425_65:
	v_mov_b32_dpp v1, v67 row_shr:1 row_mask:0xf bank_mask:0xf
	s_delay_alu instid0(VALU_DEP_1) | instskip(NEXT) | instid1(VALU_DEP_1)
	v_cndmask_b32_e64 v1, v1, 0, s6
	v_add_nc_u32_e32 v1, v1, v67
	s_delay_alu instid0(VALU_DEP_1) | instskip(NEXT) | instid1(VALU_DEP_1)
	v_mov_b32_dpp v2, v1 row_shr:2 row_mask:0xf bank_mask:0xf
	v_cndmask_b32_e64 v2, 0, v2, s5
	s_delay_alu instid0(VALU_DEP_1) | instskip(NEXT) | instid1(VALU_DEP_1)
	v_add_nc_u32_e32 v1, v1, v2
	v_mov_b32_dpp v2, v1 row_shr:4 row_mask:0xf bank_mask:0xf
	s_delay_alu instid0(VALU_DEP_1) | instskip(NEXT) | instid1(VALU_DEP_1)
	v_cndmask_b32_e64 v2, 0, v2, s4
	v_add_nc_u32_e32 v1, v1, v2
	s_delay_alu instid0(VALU_DEP_1) | instskip(NEXT) | instid1(VALU_DEP_1)
	v_mov_b32_dpp v2, v1 row_shr:8 row_mask:0xf bank_mask:0xf
	v_cndmask_b32_e64 v2, 0, v2, s3
	s_delay_alu instid0(VALU_DEP_1) | instskip(SKIP_3) | instid1(VALU_DEP_1)
	v_add_nc_u32_e32 v1, v1, v2
	ds_swizzle_b32 v2, v1 offset:swizzle(BROADCAST,32,15)
	s_wait_dscnt 0x0
	v_cndmask_b32_e64 v2, v2, 0, s1
	v_add_nc_u32_e32 v1, v1, v2
	s_and_saveexec_b32 s1, s0
; %bb.66:
	v_lshlrev_b32_e32 v2, 2, v66
	ds_store_b32 v2, v1
; %bb.67:
	s_wait_alu 0xfffe
	s_or_b32 exec_lo, exec_lo, s1
	s_delay_alu instid0(SALU_CYCLE_1)
	s_mov_b32 s0, exec_lo
	s_wait_loadcnt_dscnt 0x0
	s_barrier_signal -1
	s_barrier_wait -1
	global_inv scope:SCOPE_SE
	v_cmpx_gt_u32_e32 8, v0
	s_cbranch_execz .LBB1425_69
; %bb.68:
	ds_load_b32 v2, v45
	s_wait_dscnt 0x0
	v_mov_b32_dpp v4, v2 row_shr:1 row_mask:0xf bank_mask:0xf
	v_and_b32_e32 v3, 7, v65
	s_delay_alu instid0(VALU_DEP_1) | instskip(SKIP_1) | instid1(VALU_DEP_3)
	v_cmp_ne_u32_e32 vcc_lo, 0, v3
	s_wait_alu 0xfffd
	v_cndmask_b32_e32 v4, 0, v4, vcc_lo
	v_cmp_lt_u32_e32 vcc_lo, 1, v3
	s_delay_alu instid0(VALU_DEP_2) | instskip(NEXT) | instid1(VALU_DEP_1)
	v_add_nc_u32_e32 v2, v4, v2
	v_mov_b32_dpp v4, v2 row_shr:2 row_mask:0xf bank_mask:0xf
	s_wait_alu 0xfffd
	s_delay_alu instid0(VALU_DEP_1) | instskip(SKIP_1) | instid1(VALU_DEP_2)
	v_cndmask_b32_e32 v4, 0, v4, vcc_lo
	v_cmp_lt_u32_e32 vcc_lo, 3, v3
	v_add_nc_u32_e32 v2, v2, v4
	s_delay_alu instid0(VALU_DEP_1) | instskip(SKIP_1) | instid1(VALU_DEP_1)
	v_mov_b32_dpp v4, v2 row_shr:4 row_mask:0xf bank_mask:0xf
	s_wait_alu 0xfffd
	v_cndmask_b32_e32 v3, 0, v4, vcc_lo
	s_delay_alu instid0(VALU_DEP_1)
	v_add_nc_u32_e32 v2, v2, v3
	ds_store_b32 v45, v2
.LBB1425_69:
	s_wait_alu 0xfffe
	s_or_b32 exec_lo, exec_lo, s0
	v_dual_mov_b32 v3, 0 :: v_dual_mov_b32 v2, 0
	s_mov_b32 s0, exec_lo
	s_wait_loadcnt_dscnt 0x0
	s_barrier_signal -1
	s_barrier_wait -1
	global_inv scope:SCOPE_SE
	v_cmpx_lt_u32_e32 31, v0
; %bb.70:
	v_lshl_add_u32 v2, v66, 2, -4
	ds_load_b32 v2, v2
; %bb.71:
	s_wait_alu 0xfffe
	s_or_b32 exec_lo, exec_lo, s0
	v_sub_co_u32 v4, vcc_lo, v65, 1
	s_wait_dscnt 0x0
	v_add_nc_u32_e32 v1, v2, v1
	ds_load_b32 v19, v3 offset:28
	v_cmp_gt_i32_e64 s0, 0, v4
	s_wait_alu 0xf1ff
	s_delay_alu instid0(VALU_DEP_1) | instskip(NEXT) | instid1(VALU_DEP_1)
	v_cndmask_b32_e64 v4, v4, v65, s0
	v_lshlrev_b32_e32 v4, 2, v4
	ds_bpermute_b32 v1, v4, v1
	s_and_saveexec_b32 s0, s2
	s_cbranch_execz .LBB1425_73
; %bb.72:
	v_dual_mov_b32 v3, 0 :: v_dual_mov_b32 v20, 2
	s_wait_dscnt 0x1
	global_store_b64 v3, v[19:20], s[20:21] offset:256 scope:SCOPE_DEV
.LBB1425_73:
	s_wait_alu 0xfffe
	s_or_b32 exec_lo, exec_lo, s0
	s_wait_dscnt 0x0
	s_wait_alu 0xfffd
	v_cndmask_b32_e32 v1, v1, v2, vcc_lo
	s_wait_loadcnt 0x0
	s_wait_storecnt 0x0
	s_barrier_signal -1
	s_barrier_wait -1
	global_inv scope:SCOPE_SE
	v_cndmask_b32_e64 v1, v1, 0, s2
	v_mov_b32_e32 v20, 0
	s_delay_alu instid0(VALU_DEP_2) | instskip(NEXT) | instid1(VALU_DEP_1)
	v_add_nc_u32_e32 v2, v1, v56
	v_add_nc_u32_e32 v3, v2, v57
	s_delay_alu instid0(VALU_DEP_1) | instskip(NEXT) | instid1(VALU_DEP_1)
	v_add_nc_u32_e32 v4, v3, v58
	v_add_nc_u32_e32 v5, v4, v55
	s_delay_alu instid0(VALU_DEP_1) | instskip(NEXT) | instid1(VALU_DEP_1)
	;; [unrolled: 3-line block ×5, first 2 shown]
	v_add_nc_u32_e32 v12, v11, v64
	v_add_nc_u32_e32 v13, v12, v51
.LBB1425_74:
	s_wait_dscnt 0x0
	v_sub_nc_u32_e32 v1, v1, v20
	v_sub_nc_u32_e32 v2, v2, v20
	v_add_nc_u32_e32 v48, v19, v48
	v_lshrrev_b32_e32 v58, 8, v54
	v_lshrrev_b32_e32 v57, 16, v54
	v_sub_nc_u32_e32 v4, v4, v20
	v_sub_nc_u32_e32 v3, v3, v20
	;; [unrolled: 1-line block ×3, first 2 shown]
	v_and_b32_e32 v54, 1, v54
	v_and_b32_e32 v58, 1, v58
	;; [unrolled: 1-line block ×3, first 2 shown]
	v_lshrrev_b32_e32 v56, 8, v52
	v_lshrrev_b32_e32 v16, 16, v52
	v_cmp_eq_u32_e32 vcc_lo, 1, v54
	v_and_b32_e32 v54, 1, v57
	v_sub_nc_u32_e32 v57, v48, v2
	v_lshrrev_b32_e32 v15, 8, v50
	v_lshrrev_b32_e32 v14, 16, v50
	s_wait_alu 0xfffd
	v_cndmask_b32_e32 v1, v59, v1, vcc_lo
	v_cmp_eq_u32_e32 vcc_lo, 1, v58
	v_add_nc_u32_e32 v57, 1, v57
	s_delay_alu instid0(VALU_DEP_3)
	v_lshlrev_b32_e32 v1, 2, v1
	ds_store_b32 v1, v31
	s_wait_alu 0xfffd
	v_cndmask_b32_e32 v1, v57, v2, vcc_lo
	v_sub_nc_u32_e32 v59, v48, v3
	v_sub_nc_u32_e32 v60, v48, v4
	v_cmp_eq_u32_e32 vcc_lo, 1, v54
	s_delay_alu instid0(VALU_DEP_4) | instskip(NEXT) | instid1(VALU_DEP_4)
	v_lshlrev_b32_e32 v1, 2, v1
	v_add_nc_u32_e32 v59, 2, v59
	s_delay_alu instid0(VALU_DEP_4)
	v_add_nc_u32_e32 v60, 3, v60
	ds_store_b32 v1, v32
	s_wait_alu 0xfffd
	v_cndmask_b32_e32 v2, v59, v3, vcc_lo
	v_cmp_eq_u32_e32 vcc_lo, 1, v55
	s_wait_alu 0xfffd
	s_delay_alu instid0(VALU_DEP_2) | instskip(SKIP_2) | instid1(VALU_DEP_3)
	v_dual_cndmask_b32 v3, v60, v4 :: v_dual_lshlrev_b32 v2, 2, v2
	v_sub_nc_u32_e32 v4, v5, v20
	v_sub_nc_u32_e32 v5, v6, v20
	v_lshlrev_b32_e32 v3, 2, v3
	s_delay_alu instid0(VALU_DEP_3) | instskip(NEXT) | instid1(VALU_DEP_3)
	v_sub_nc_u32_e32 v1, v48, v4
	v_sub_nc_u32_e32 v6, v48, v5
	ds_store_b32 v2, v29
	ds_store_b32 v3, v30
	v_and_b32_e32 v2, 1, v52
	v_add_nc_u32_e32 v1, 4, v1
	v_add_nc_u32_e32 v3, 5, v6
	v_sub_nc_u32_e32 v6, v7, v20
	v_and_b32_e32 v7, 1, v56
	v_cmp_eq_u32_e32 vcc_lo, 1, v2
	v_sub_nc_u32_e32 v2, v8, v20
	s_wait_alu 0xfffd
	v_dual_cndmask_b32 v1, v1, v4 :: v_dual_and_b32 v8, 1, v53
	v_sub_nc_u32_e32 v4, v48, v6
	v_cmp_eq_u32_e32 vcc_lo, 1, v7
	v_and_b32_e32 v7, 1, v16
	s_delay_alu instid0(VALU_DEP_4)
	v_lshlrev_b32_e32 v1, 2, v1
	s_wait_alu 0xfffd
	v_dual_cndmask_b32 v3, v3, v5 :: v_dual_add_nc_u32 v4, 6, v4
	v_sub_nc_u32_e32 v5, v48, v2
	v_cmp_eq_u32_e32 vcc_lo, 1, v7
	v_sub_nc_u32_e32 v7, v13, v20
	s_delay_alu instid0(VALU_DEP_4)
	v_lshlrev_b32_e32 v3, 2, v3
	s_wait_alu 0xfffd
	v_dual_cndmask_b32 v4, v4, v6 :: v_dual_add_nc_u32 v5, 7, v5
	v_cmp_eq_u32_e32 vcc_lo, 1, v8
	v_sub_nc_u32_e32 v6, v9, v20
	ds_store_b32 v1, v27
	ds_store_b32 v3, v28
	s_wait_alu 0xfffd
	v_dual_cndmask_b32 v2, v5, v2 :: v_dual_lshlrev_b32 v3, 2, v4
	v_sub_nc_u32_e32 v1, v48, v6
	v_and_b32_e32 v5, 1, v50
	v_sub_nc_u32_e32 v4, v10, v20
	v_and_b32_e32 v10, 1, v51
	v_lshlrev_b32_e32 v2, 2, v2
	v_add_nc_u32_e32 v1, 8, v1
	ds_store_b32 v3, v25
	ds_store_b32 v2, v26
	v_cmp_eq_u32_e32 vcc_lo, 1, v5
	v_sub_nc_u32_e32 v3, v11, v20
	v_sub_nc_u32_e32 v2, v48, v4
	;; [unrolled: 1-line block ×3, first 2 shown]
	v_and_b32_e32 v11, 1, v49
	s_wait_alu 0xfffd
	v_dual_cndmask_b32 v1, v1, v6 :: v_dual_and_b32 v6, 1, v15
	v_sub_nc_u32_e32 v8, v48, v3
	v_add_nc_u32_e32 v2, 9, v2
	v_sub_nc_u32_e32 v9, v48, v5
	s_delay_alu instid0(VALU_DEP_4)
	v_lshlrev_b32_e32 v1, 2, v1
	v_cmp_eq_u32_e32 vcc_lo, 1, v6
	v_add_nc_u32_e32 v6, 10, v8
	v_and_b32_e32 v8, 1, v14
	v_add_nc_u32_e32 v9, 11, v9
	v_add_co_u32 v15, s0, v17, v20
	s_wait_alu 0xfffd
	v_cndmask_b32_e32 v2, v2, v4, vcc_lo
	v_cmp_eq_u32_e32 vcc_lo, 1, v8
	v_sub_nc_u32_e32 v4, v48, v7
	s_wait_alu 0xf1ff
	v_add_co_ci_u32_e64 v16, null, 0, v18, s0
	s_wait_alu 0xfffd
	v_dual_cndmask_b32 v3, v6, v3 :: v_dual_lshlrev_b32 v2, 2, v2
	v_cmp_eq_u32_e32 vcc_lo, 1, v10
	v_add_nc_u32_e32 v4, 12, v4
	s_delay_alu instid0(VALU_DEP_3) | instskip(SKIP_4) | instid1(VALU_DEP_2)
	v_lshlrev_b32_e32 v3, 2, v3
	s_wait_alu 0xfffd
	v_cndmask_b32_e32 v5, v9, v5, vcc_lo
	v_cmp_eq_u32_e32 vcc_lo, 1, v11
	s_wait_alu 0xfffd
	v_dual_cndmask_b32 v4, v4, v7 :: v_dual_lshlrev_b32 v5, 2, v5
	v_cmp_ne_u32_e32 vcc_lo, 1, v46
	s_delay_alu instid0(VALU_DEP_2)
	v_lshlrev_b32_e32 v4, 2, v4
	ds_store_b32 v1, v23
	ds_store_b32 v2, v24
	;; [unrolled: 1-line block ×5, first 2 shown]
	s_wait_loadcnt_dscnt 0x0
	s_barrier_signal -1
	s_barrier_wait -1
	global_inv scope:SCOPE_SE
	ds_load_2addr_stride64_b32 v[11:12], v45 offset1:4
	ds_load_2addr_stride64_b32 v[9:10], v45 offset0:8 offset1:12
	ds_load_2addr_stride64_b32 v[7:8], v45 offset0:16 offset1:20
	;; [unrolled: 1-line block ×5, first 2 shown]
	ds_load_b32 v21, v45 offset:12288
	s_cbranch_vccnz .LBB1425_131
; %bb.75:
	s_mov_b32 s15, 0
	v_sub_co_u32 v13, vcc_lo, v15, s16
	s_wait_alu 0xfffe
	s_sub_nc_u64 s[0:1], s[18:19], s[14:15]
	s_wait_alu 0xfffd
	v_subrev_co_ci_u32_e64 v14, null, s17, v16, vcc_lo
	s_wait_alu 0xfffe
	v_add_co_u32 v17, s0, s0, v19
	s_wait_alu 0xf1ff
	v_add_co_ci_u32_e64 v18, null, s1, 0, s0
	s_mov_b32 s0, exec_lo
	v_add_co_u32 v17, vcc_lo, v17, v13
	s_wait_alu 0xfffd
	v_add_co_ci_u32_e64 v18, null, v18, v14, vcc_lo
                                        ; implicit-def: $vgpr13_vgpr14
	v_cmpx_ge_u32_e64 v0, v19
	s_wait_alu 0xfffe
	s_xor_b32 s0, exec_lo, s0
; %bb.76:
	v_not_b32_e32 v13, v0
	s_delay_alu instid0(VALU_DEP_1) | instskip(SKIP_2) | instid1(VALU_DEP_2)
	v_ashrrev_i32_e32 v14, 31, v13
	v_add_co_u32 v13, vcc_lo, v17, v13
	s_wait_alu 0xfffd
	v_add_co_ci_u32_e64 v14, null, v18, v14, vcc_lo
; %bb.77:
	s_wait_alu 0xfffe
	s_and_not1_saveexec_b32 s0, s0
; %bb.78:
	v_add_co_u32 v13, vcc_lo, v15, v0
	s_wait_alu 0xfffd
	v_add_co_ci_u32_e64 v14, null, 0, v16, vcc_lo
; %bb.79:
	s_wait_alu 0xfffe
	s_or_b32 exec_lo, exec_lo, s0
	s_delay_alu instid0(VALU_DEP_1) | instskip(SKIP_1) | instid1(VALU_DEP_1)
	v_lshlrev_b64_e32 v[13:14], 2, v[13:14]
	s_mov_b32 s0, exec_lo
	v_add_co_u32 v13, vcc_lo, s10, v13
	s_wait_alu 0xfffd
	s_delay_alu instid0(VALU_DEP_2)
	v_add_co_ci_u32_e64 v14, null, s11, v14, vcc_lo
	s_wait_dscnt 0x6
	global_store_b32 v[13:14], v11, off
                                        ; implicit-def: $vgpr13_vgpr14
	v_cmpx_ge_u32_e64 v44, v19
	s_wait_alu 0xfffe
	s_xor_b32 s0, exec_lo, s0
; %bb.80:
	v_xor_b32_e32 v13, 0xfffffeff, v0
	s_delay_alu instid0(VALU_DEP_1) | instskip(SKIP_2) | instid1(VALU_DEP_2)
	v_ashrrev_i32_e32 v14, 31, v13
	v_add_co_u32 v13, vcc_lo, v17, v13
	s_wait_alu 0xfffd
	v_add_co_ci_u32_e64 v14, null, v18, v14, vcc_lo
; %bb.81:
	s_wait_alu 0xfffe
	s_and_not1_saveexec_b32 s0, s0
; %bb.82:
	v_add_co_u32 v13, vcc_lo, v15, v44
	s_wait_alu 0xfffd
	v_add_co_ci_u32_e64 v14, null, 0, v16, vcc_lo
; %bb.83:
	s_wait_alu 0xfffe
	s_or_b32 exec_lo, exec_lo, s0
	s_delay_alu instid0(VALU_DEP_1) | instskip(SKIP_1) | instid1(VALU_DEP_1)
	v_lshlrev_b64_e32 v[13:14], 2, v[13:14]
	s_mov_b32 s0, exec_lo
	v_add_co_u32 v13, vcc_lo, s10, v13
	s_wait_alu 0xfffd
	s_delay_alu instid0(VALU_DEP_2)
	v_add_co_ci_u32_e64 v14, null, s11, v14, vcc_lo
	global_store_b32 v[13:14], v12, off
                                        ; implicit-def: $vgpr13_vgpr14
	v_cmpx_ge_u32_e64 v43, v19
	s_wait_alu 0xfffe
	s_xor_b32 s0, exec_lo, s0
; %bb.84:
	v_xor_b32_e32 v13, 0xfffffdff, v0
	s_delay_alu instid0(VALU_DEP_1) | instskip(SKIP_2) | instid1(VALU_DEP_2)
	v_ashrrev_i32_e32 v14, 31, v13
	v_add_co_u32 v13, vcc_lo, v17, v13
	s_wait_alu 0xfffd
	v_add_co_ci_u32_e64 v14, null, v18, v14, vcc_lo
; %bb.85:
	s_wait_alu 0xfffe
	s_and_not1_saveexec_b32 s0, s0
; %bb.86:
	v_add_co_u32 v13, vcc_lo, v15, v43
	s_wait_alu 0xfffd
	v_add_co_ci_u32_e64 v14, null, 0, v16, vcc_lo
; %bb.87:
	s_wait_alu 0xfffe
	s_or_b32 exec_lo, exec_lo, s0
	s_delay_alu instid0(VALU_DEP_1) | instskip(SKIP_1) | instid1(VALU_DEP_1)
	v_lshlrev_b64_e32 v[13:14], 2, v[13:14]
	s_mov_b32 s0, exec_lo
	v_add_co_u32 v13, vcc_lo, s10, v13
	s_wait_alu 0xfffd
	s_delay_alu instid0(VALU_DEP_2)
	v_add_co_ci_u32_e64 v14, null, s11, v14, vcc_lo
	s_wait_dscnt 0x5
	global_store_b32 v[13:14], v9, off
                                        ; implicit-def: $vgpr13_vgpr14
	v_cmpx_ge_u32_e64 v42, v19
	s_wait_alu 0xfffe
	s_xor_b32 s0, exec_lo, s0
; %bb.88:
	v_xor_b32_e32 v13, 0xfffffcff, v0
	s_delay_alu instid0(VALU_DEP_1) | instskip(SKIP_2) | instid1(VALU_DEP_2)
	v_ashrrev_i32_e32 v14, 31, v13
	v_add_co_u32 v13, vcc_lo, v17, v13
	s_wait_alu 0xfffd
	v_add_co_ci_u32_e64 v14, null, v18, v14, vcc_lo
; %bb.89:
	s_wait_alu 0xfffe
	s_and_not1_saveexec_b32 s0, s0
; %bb.90:
	v_add_co_u32 v13, vcc_lo, v15, v42
	s_wait_alu 0xfffd
	v_add_co_ci_u32_e64 v14, null, 0, v16, vcc_lo
; %bb.91:
	s_wait_alu 0xfffe
	s_or_b32 exec_lo, exec_lo, s0
	s_delay_alu instid0(VALU_DEP_1) | instskip(SKIP_1) | instid1(VALU_DEP_1)
	v_lshlrev_b64_e32 v[13:14], 2, v[13:14]
	s_mov_b32 s0, exec_lo
	v_add_co_u32 v13, vcc_lo, s10, v13
	s_wait_alu 0xfffd
	s_delay_alu instid0(VALU_DEP_2)
	v_add_co_ci_u32_e64 v14, null, s11, v14, vcc_lo
	global_store_b32 v[13:14], v10, off
                                        ; implicit-def: $vgpr13_vgpr14
	v_cmpx_ge_u32_e64 v41, v19
	s_wait_alu 0xfffe
	s_xor_b32 s0, exec_lo, s0
; %bb.92:
	v_xor_b32_e32 v13, 0xfffffbff, v0
	;; [unrolled: 59-line block ×6, first 2 shown]
	s_delay_alu instid0(VALU_DEP_1) | instskip(SKIP_2) | instid1(VALU_DEP_2)
	v_ashrrev_i32_e32 v14, 31, v13
	v_add_co_u32 v13, vcc_lo, v17, v13
	s_wait_alu 0xfffd
	v_add_co_ci_u32_e64 v14, null, v18, v14, vcc_lo
; %bb.125:
	s_wait_alu 0xfffe
	s_and_not1_saveexec_b32 s0, s0
; %bb.126:
	v_add_co_u32 v13, vcc_lo, v15, v33
	s_wait_alu 0xfffd
	v_add_co_ci_u32_e64 v14, null, 0, v16, vcc_lo
; %bb.127:
	s_wait_alu 0xfffe
	s_or_b32 exec_lo, exec_lo, s0
	s_mov_b32 s0, -1
.LBB1425_128:
	s_wait_alu 0xfffe
	s_and_saveexec_b32 s1, s0
	s_cbranch_execz .LBB1425_211
.LBB1425_129:
	s_wait_dscnt 0x1
	v_lshlrev_b64_e32 v[0:1], 2, v[13:14]
	s_delay_alu instid0(VALU_DEP_1) | instskip(SKIP_1) | instid1(VALU_DEP_2)
	v_add_co_u32 v0, vcc_lo, s10, v0
	s_wait_alu 0xfffd
	v_add_co_ci_u32_e64 v1, null, s11, v1, vcc_lo
	s_wait_dscnt 0x0
	global_store_b32 v[0:1], v21, off
	s_wait_alu 0xfffe
	s_or_b32 exec_lo, exec_lo, s1
	s_and_b32 s0, s2, s9
	s_wait_alu 0xfffe
	s_and_saveexec_b32 s1, s0
	s_cbranch_execnz .LBB1425_212
.LBB1425_130:
	s_endpgm
.LBB1425_131:
	s_mov_b32 s0, 0
                                        ; implicit-def: $vgpr13_vgpr14
	s_cbranch_execz .LBB1425_128
; %bb.132:
	s_mov_b32 s15, 0
	s_wait_alu 0xfffe
	s_add_nc_u64 s[4:5], s[16:17], s[14:15]
	s_wait_alu 0xfffe
	s_sub_nc_u64 s[4:5], s[18:19], s[4:5]
	s_wait_alu 0xfffe
	v_add_co_u32 v13, s1, s4, v19
	s_wait_alu 0xf1ff
	v_add_co_ci_u32_e64 v14, null, s5, 0, s1
	s_mov_b32 s1, exec_lo
	v_add_co_u32 v17, vcc_lo, v13, v15
	s_wait_alu 0xfffd
	v_add_co_ci_u32_e64 v18, null, v14, v16, vcc_lo
	v_cmpx_gt_u32_e64 s22, v0
	s_cbranch_execz .LBB1425_168
; %bb.133:
	s_mov_b32 s3, exec_lo
                                        ; implicit-def: $vgpr13_vgpr14
	v_cmpx_ge_u32_e64 v0, v19
	s_wait_alu 0xfffe
	s_xor_b32 s3, exec_lo, s3
; %bb.134:
	v_not_b32_e32 v13, v0
	s_delay_alu instid0(VALU_DEP_1) | instskip(SKIP_2) | instid1(VALU_DEP_2)
	v_ashrrev_i32_e32 v14, 31, v13
	v_add_co_u32 v13, vcc_lo, v17, v13
	s_wait_alu 0xfffd
	v_add_co_ci_u32_e64 v14, null, v18, v14, vcc_lo
; %bb.135:
	s_wait_alu 0xfffe
	s_and_not1_saveexec_b32 s3, s3
; %bb.136:
	v_add_co_u32 v13, vcc_lo, v15, v0
	s_wait_alu 0xfffd
	v_add_co_ci_u32_e64 v14, null, 0, v16, vcc_lo
; %bb.137:
	s_wait_alu 0xfffe
	s_or_b32 exec_lo, exec_lo, s3
	s_delay_alu instid0(VALU_DEP_1) | instskip(NEXT) | instid1(VALU_DEP_1)
	v_lshlrev_b64_e32 v[13:14], 2, v[13:14]
	v_add_co_u32 v13, vcc_lo, s10, v13
	s_wait_alu 0xfffd
	s_delay_alu instid0(VALU_DEP_2) | instskip(SKIP_3) | instid1(SALU_CYCLE_1)
	v_add_co_ci_u32_e64 v14, null, s11, v14, vcc_lo
	s_wait_dscnt 0x6
	global_store_b32 v[13:14], v11, off
	s_or_b32 exec_lo, exec_lo, s1
	s_mov_b32 s1, exec_lo
	v_cmpx_gt_u32_e64 s22, v44
	s_cbranch_execnz .LBB1425_169
.LBB1425_138:
	s_wait_alu 0xfffe
	s_or_b32 exec_lo, exec_lo, s1
	s_delay_alu instid0(SALU_CYCLE_1)
	s_mov_b32 s1, exec_lo
	v_cmpx_gt_u32_e64 s22, v43
	s_cbranch_execz .LBB1425_174
.LBB1425_139:
	s_mov_b32 s3, exec_lo
                                        ; implicit-def: $vgpr11_vgpr12
	v_cmpx_ge_u32_e64 v43, v19
	s_wait_alu 0xfffe
	s_xor_b32 s3, exec_lo, s3
	s_cbranch_execz .LBB1425_141
; %bb.140:
	s_wait_dscnt 0x6
	v_xor_b32_e32 v11, 0xfffffdff, v0
                                        ; implicit-def: $vgpr43
	s_delay_alu instid0(VALU_DEP_1) | instskip(SKIP_2) | instid1(VALU_DEP_2)
	v_ashrrev_i32_e32 v12, 31, v11
	v_add_co_u32 v11, vcc_lo, v17, v11
	s_wait_alu 0xfffd
	v_add_co_ci_u32_e64 v12, null, v18, v12, vcc_lo
.LBB1425_141:
	s_wait_alu 0xfffe
	s_and_not1_saveexec_b32 s3, s3
	s_cbranch_execz .LBB1425_143
; %bb.142:
	s_wait_dscnt 0x6
	v_add_co_u32 v11, vcc_lo, v15, v43
	s_wait_alu 0xfffd
	v_add_co_ci_u32_e64 v12, null, 0, v16, vcc_lo
.LBB1425_143:
	s_wait_alu 0xfffe
	s_or_b32 exec_lo, exec_lo, s3
	s_wait_dscnt 0x6
	s_delay_alu instid0(VALU_DEP_1) | instskip(NEXT) | instid1(VALU_DEP_1)
	v_lshlrev_b64_e32 v[11:12], 2, v[11:12]
	v_add_co_u32 v11, vcc_lo, s10, v11
	s_wait_alu 0xfffd
	s_delay_alu instid0(VALU_DEP_2) | instskip(SKIP_3) | instid1(SALU_CYCLE_1)
	v_add_co_ci_u32_e64 v12, null, s11, v12, vcc_lo
	s_wait_dscnt 0x5
	global_store_b32 v[11:12], v9, off
	s_or_b32 exec_lo, exec_lo, s1
	s_mov_b32 s1, exec_lo
	v_cmpx_gt_u32_e64 s22, v42
	s_cbranch_execnz .LBB1425_175
.LBB1425_144:
	s_wait_alu 0xfffe
	s_or_b32 exec_lo, exec_lo, s1
	s_delay_alu instid0(SALU_CYCLE_1)
	s_mov_b32 s1, exec_lo
	v_cmpx_gt_u32_e64 s22, v41
	s_cbranch_execz .LBB1425_180
.LBB1425_145:
	s_mov_b32 s3, exec_lo
                                        ; implicit-def: $vgpr9_vgpr10
	v_cmpx_ge_u32_e64 v41, v19
	s_wait_alu 0xfffe
	s_xor_b32 s3, exec_lo, s3
	s_cbranch_execz .LBB1425_147
; %bb.146:
	s_wait_dscnt 0x5
	v_xor_b32_e32 v9, 0xfffffbff, v0
                                        ; implicit-def: $vgpr41
	s_delay_alu instid0(VALU_DEP_1) | instskip(SKIP_2) | instid1(VALU_DEP_2)
	v_ashrrev_i32_e32 v10, 31, v9
	v_add_co_u32 v9, vcc_lo, v17, v9
	s_wait_alu 0xfffd
	v_add_co_ci_u32_e64 v10, null, v18, v10, vcc_lo
.LBB1425_147:
	s_wait_alu 0xfffe
	s_and_not1_saveexec_b32 s3, s3
	s_cbranch_execz .LBB1425_149
; %bb.148:
	s_wait_dscnt 0x5
	v_add_co_u32 v9, vcc_lo, v15, v41
	s_wait_alu 0xfffd
	v_add_co_ci_u32_e64 v10, null, 0, v16, vcc_lo
.LBB1425_149:
	s_wait_alu 0xfffe
	s_or_b32 exec_lo, exec_lo, s3
	s_wait_dscnt 0x5
	s_delay_alu instid0(VALU_DEP_1) | instskip(NEXT) | instid1(VALU_DEP_1)
	v_lshlrev_b64_e32 v[9:10], 2, v[9:10]
	v_add_co_u32 v9, vcc_lo, s10, v9
	s_wait_alu 0xfffd
	s_delay_alu instid0(VALU_DEP_2) | instskip(SKIP_3) | instid1(SALU_CYCLE_1)
	v_add_co_ci_u32_e64 v10, null, s11, v10, vcc_lo
	s_wait_dscnt 0x4
	global_store_b32 v[9:10], v7, off
	s_or_b32 exec_lo, exec_lo, s1
	s_mov_b32 s1, exec_lo
	v_cmpx_gt_u32_e64 s22, v40
	s_cbranch_execnz .LBB1425_181
.LBB1425_150:
	s_wait_alu 0xfffe
	s_or_b32 exec_lo, exec_lo, s1
	s_delay_alu instid0(SALU_CYCLE_1)
	s_mov_b32 s1, exec_lo
	v_cmpx_gt_u32_e64 s22, v39
	s_cbranch_execz .LBB1425_186
.LBB1425_151:
	s_mov_b32 s3, exec_lo
                                        ; implicit-def: $vgpr7_vgpr8
	v_cmpx_ge_u32_e64 v39, v19
	s_wait_alu 0xfffe
	s_xor_b32 s3, exec_lo, s3
	s_cbranch_execz .LBB1425_153
; %bb.152:
	s_wait_dscnt 0x4
	v_xor_b32_e32 v7, 0xfffff9ff, v0
                                        ; implicit-def: $vgpr39
	s_delay_alu instid0(VALU_DEP_1) | instskip(SKIP_2) | instid1(VALU_DEP_2)
	v_ashrrev_i32_e32 v8, 31, v7
	v_add_co_u32 v7, vcc_lo, v17, v7
	s_wait_alu 0xfffd
	v_add_co_ci_u32_e64 v8, null, v18, v8, vcc_lo
.LBB1425_153:
	s_wait_alu 0xfffe
	s_and_not1_saveexec_b32 s3, s3
	s_cbranch_execz .LBB1425_155
; %bb.154:
	s_wait_dscnt 0x4
	v_add_co_u32 v7, vcc_lo, v15, v39
	s_wait_alu 0xfffd
	v_add_co_ci_u32_e64 v8, null, 0, v16, vcc_lo
.LBB1425_155:
	s_wait_alu 0xfffe
	s_or_b32 exec_lo, exec_lo, s3
	s_wait_dscnt 0x4
	s_delay_alu instid0(VALU_DEP_1) | instskip(NEXT) | instid1(VALU_DEP_1)
	v_lshlrev_b64_e32 v[7:8], 2, v[7:8]
	v_add_co_u32 v7, vcc_lo, s10, v7
	s_wait_alu 0xfffd
	s_delay_alu instid0(VALU_DEP_2) | instskip(SKIP_3) | instid1(SALU_CYCLE_1)
	v_add_co_ci_u32_e64 v8, null, s11, v8, vcc_lo
	s_wait_dscnt 0x3
	global_store_b32 v[7:8], v5, off
	s_or_b32 exec_lo, exec_lo, s1
	s_mov_b32 s1, exec_lo
	v_cmpx_gt_u32_e64 s22, v38
	s_cbranch_execnz .LBB1425_187
.LBB1425_156:
	s_wait_alu 0xfffe
	s_or_b32 exec_lo, exec_lo, s1
	s_delay_alu instid0(SALU_CYCLE_1)
	s_mov_b32 s1, exec_lo
	v_cmpx_gt_u32_e64 s22, v37
	s_cbranch_execz .LBB1425_192
.LBB1425_157:
	s_mov_b32 s3, exec_lo
                                        ; implicit-def: $vgpr5_vgpr6
	v_cmpx_ge_u32_e64 v37, v19
	s_wait_alu 0xfffe
	s_xor_b32 s3, exec_lo, s3
	s_cbranch_execz .LBB1425_159
; %bb.158:
	s_wait_dscnt 0x3
	v_xor_b32_e32 v5, 0xfffff7ff, v0
                                        ; implicit-def: $vgpr37
	s_delay_alu instid0(VALU_DEP_1) | instskip(SKIP_2) | instid1(VALU_DEP_2)
	v_ashrrev_i32_e32 v6, 31, v5
	v_add_co_u32 v5, vcc_lo, v17, v5
	s_wait_alu 0xfffd
	v_add_co_ci_u32_e64 v6, null, v18, v6, vcc_lo
.LBB1425_159:
	s_wait_alu 0xfffe
	s_and_not1_saveexec_b32 s3, s3
	s_cbranch_execz .LBB1425_161
; %bb.160:
	s_wait_dscnt 0x3
	v_add_co_u32 v5, vcc_lo, v15, v37
	s_wait_alu 0xfffd
	v_add_co_ci_u32_e64 v6, null, 0, v16, vcc_lo
.LBB1425_161:
	s_wait_alu 0xfffe
	s_or_b32 exec_lo, exec_lo, s3
	s_wait_dscnt 0x3
	s_delay_alu instid0(VALU_DEP_1) | instskip(NEXT) | instid1(VALU_DEP_1)
	v_lshlrev_b64_e32 v[5:6], 2, v[5:6]
	v_add_co_u32 v5, vcc_lo, s10, v5
	s_wait_alu 0xfffd
	s_delay_alu instid0(VALU_DEP_2) | instskip(SKIP_3) | instid1(SALU_CYCLE_1)
	v_add_co_ci_u32_e64 v6, null, s11, v6, vcc_lo
	s_wait_dscnt 0x2
	global_store_b32 v[5:6], v3, off
	s_or_b32 exec_lo, exec_lo, s1
	s_mov_b32 s1, exec_lo
	v_cmpx_gt_u32_e64 s22, v36
	s_cbranch_execnz .LBB1425_193
.LBB1425_162:
	s_wait_alu 0xfffe
	s_or_b32 exec_lo, exec_lo, s1
	s_delay_alu instid0(SALU_CYCLE_1)
	s_mov_b32 s1, exec_lo
	v_cmpx_gt_u32_e64 s22, v35
	s_cbranch_execz .LBB1425_198
.LBB1425_163:
	s_mov_b32 s3, exec_lo
                                        ; implicit-def: $vgpr3_vgpr4
	v_cmpx_ge_u32_e64 v35, v19
	s_wait_alu 0xfffe
	s_xor_b32 s3, exec_lo, s3
	s_cbranch_execz .LBB1425_165
; %bb.164:
	s_wait_dscnt 0x2
	v_xor_b32_e32 v3, 0xfffff5ff, v0
                                        ; implicit-def: $vgpr35
	s_delay_alu instid0(VALU_DEP_1) | instskip(SKIP_2) | instid1(VALU_DEP_2)
	v_ashrrev_i32_e32 v4, 31, v3
	v_add_co_u32 v3, vcc_lo, v17, v3
	s_wait_alu 0xfffd
	v_add_co_ci_u32_e64 v4, null, v18, v4, vcc_lo
.LBB1425_165:
	s_wait_alu 0xfffe
	s_and_not1_saveexec_b32 s3, s3
	s_cbranch_execz .LBB1425_167
; %bb.166:
	s_wait_dscnt 0x2
	v_add_co_u32 v3, vcc_lo, v15, v35
	s_wait_alu 0xfffd
	v_add_co_ci_u32_e64 v4, null, 0, v16, vcc_lo
.LBB1425_167:
	s_wait_alu 0xfffe
	s_or_b32 exec_lo, exec_lo, s3
	s_wait_dscnt 0x2
	s_delay_alu instid0(VALU_DEP_1) | instskip(NEXT) | instid1(VALU_DEP_1)
	v_lshlrev_b64_e32 v[3:4], 2, v[3:4]
	v_add_co_u32 v3, vcc_lo, s10, v3
	s_wait_alu 0xfffd
	s_delay_alu instid0(VALU_DEP_2) | instskip(SKIP_3) | instid1(SALU_CYCLE_1)
	v_add_co_ci_u32_e64 v4, null, s11, v4, vcc_lo
	s_wait_dscnt 0x1
	global_store_b32 v[3:4], v1, off
	s_or_b32 exec_lo, exec_lo, s1
	s_mov_b32 s1, exec_lo
	v_cmpx_gt_u32_e64 s22, v34
	s_cbranch_execz .LBB1425_204
	s_branch .LBB1425_199
.LBB1425_168:
	s_wait_alu 0xfffe
	s_or_b32 exec_lo, exec_lo, s1
	s_delay_alu instid0(SALU_CYCLE_1)
	s_mov_b32 s1, exec_lo
	v_cmpx_gt_u32_e64 s22, v44
	s_cbranch_execz .LBB1425_138
.LBB1425_169:
	s_mov_b32 s3, exec_lo
                                        ; implicit-def: $vgpr13_vgpr14
	v_cmpx_ge_u32_e64 v44, v19
	s_wait_alu 0xfffe
	s_xor_b32 s3, exec_lo, s3
	s_cbranch_execz .LBB1425_171
; %bb.170:
	s_wait_dscnt 0x6
	v_xor_b32_e32 v11, 0xfffffeff, v0
                                        ; implicit-def: $vgpr44
	s_delay_alu instid0(VALU_DEP_1) | instskip(SKIP_2) | instid1(VALU_DEP_2)
	v_ashrrev_i32_e32 v14, 31, v11
	v_add_co_u32 v13, vcc_lo, v17, v11
	s_wait_alu 0xfffd
	v_add_co_ci_u32_e64 v14, null, v18, v14, vcc_lo
.LBB1425_171:
	s_wait_alu 0xfffe
	s_and_not1_saveexec_b32 s3, s3
; %bb.172:
	v_add_co_u32 v13, vcc_lo, v15, v44
	s_wait_alu 0xfffd
	v_add_co_ci_u32_e64 v14, null, 0, v16, vcc_lo
; %bb.173:
	s_wait_alu 0xfffe
	s_or_b32 exec_lo, exec_lo, s3
	s_delay_alu instid0(VALU_DEP_1) | instskip(NEXT) | instid1(VALU_DEP_1)
	v_lshlrev_b64_e32 v[13:14], 2, v[13:14]
	v_add_co_u32 v13, vcc_lo, s10, v13
	s_wait_alu 0xfffd
	s_delay_alu instid0(VALU_DEP_2) | instskip(SKIP_3) | instid1(SALU_CYCLE_1)
	v_add_co_ci_u32_e64 v14, null, s11, v14, vcc_lo
	s_wait_dscnt 0x6
	global_store_b32 v[13:14], v12, off
	s_or_b32 exec_lo, exec_lo, s1
	s_mov_b32 s1, exec_lo
	v_cmpx_gt_u32_e64 s22, v43
	s_cbranch_execnz .LBB1425_139
.LBB1425_174:
	s_wait_alu 0xfffe
	s_or_b32 exec_lo, exec_lo, s1
	s_delay_alu instid0(SALU_CYCLE_1)
	s_mov_b32 s1, exec_lo
	v_cmpx_gt_u32_e64 s22, v42
	s_cbranch_execz .LBB1425_144
.LBB1425_175:
	s_mov_b32 s3, exec_lo
                                        ; implicit-def: $vgpr11_vgpr12
	v_cmpx_ge_u32_e64 v42, v19
	s_wait_alu 0xfffe
	s_xor_b32 s3, exec_lo, s3
	s_cbranch_execz .LBB1425_177
; %bb.176:
	s_wait_dscnt 0x5
	v_xor_b32_e32 v9, 0xfffffcff, v0
                                        ; implicit-def: $vgpr42
	s_delay_alu instid0(VALU_DEP_1) | instskip(SKIP_2) | instid1(VALU_DEP_2)
	v_ashrrev_i32_e32 v12, 31, v9
	v_add_co_u32 v11, vcc_lo, v17, v9
	s_wait_alu 0xfffd
	v_add_co_ci_u32_e64 v12, null, v18, v12, vcc_lo
.LBB1425_177:
	s_wait_alu 0xfffe
	s_and_not1_saveexec_b32 s3, s3
	s_cbranch_execz .LBB1425_179
; %bb.178:
	s_wait_dscnt 0x6
	v_add_co_u32 v11, vcc_lo, v15, v42
	s_wait_alu 0xfffd
	v_add_co_ci_u32_e64 v12, null, 0, v16, vcc_lo
.LBB1425_179:
	s_wait_alu 0xfffe
	s_or_b32 exec_lo, exec_lo, s3
	s_wait_dscnt 0x6
	s_delay_alu instid0(VALU_DEP_1) | instskip(NEXT) | instid1(VALU_DEP_1)
	v_lshlrev_b64_e32 v[11:12], 2, v[11:12]
	v_add_co_u32 v11, vcc_lo, s10, v11
	s_wait_alu 0xfffd
	s_delay_alu instid0(VALU_DEP_2) | instskip(SKIP_3) | instid1(SALU_CYCLE_1)
	v_add_co_ci_u32_e64 v12, null, s11, v12, vcc_lo
	s_wait_dscnt 0x5
	global_store_b32 v[11:12], v10, off
	s_or_b32 exec_lo, exec_lo, s1
	s_mov_b32 s1, exec_lo
	v_cmpx_gt_u32_e64 s22, v41
	s_cbranch_execnz .LBB1425_145
.LBB1425_180:
	s_wait_alu 0xfffe
	s_or_b32 exec_lo, exec_lo, s1
	s_delay_alu instid0(SALU_CYCLE_1)
	s_mov_b32 s1, exec_lo
	v_cmpx_gt_u32_e64 s22, v40
	s_cbranch_execz .LBB1425_150
.LBB1425_181:
	s_mov_b32 s3, exec_lo
                                        ; implicit-def: $vgpr9_vgpr10
	v_cmpx_ge_u32_e64 v40, v19
	s_wait_alu 0xfffe
	s_xor_b32 s3, exec_lo, s3
	s_cbranch_execz .LBB1425_183
; %bb.182:
	s_wait_dscnt 0x4
	v_xor_b32_e32 v7, 0xfffffaff, v0
                                        ; implicit-def: $vgpr40
	s_delay_alu instid0(VALU_DEP_1) | instskip(SKIP_2) | instid1(VALU_DEP_2)
	v_ashrrev_i32_e32 v10, 31, v7
	v_add_co_u32 v9, vcc_lo, v17, v7
	s_wait_alu 0xfffd
	v_add_co_ci_u32_e64 v10, null, v18, v10, vcc_lo
.LBB1425_183:
	s_wait_alu 0xfffe
	s_and_not1_saveexec_b32 s3, s3
	s_cbranch_execz .LBB1425_185
; %bb.184:
	s_wait_dscnt 0x5
	v_add_co_u32 v9, vcc_lo, v15, v40
	s_wait_alu 0xfffd
	v_add_co_ci_u32_e64 v10, null, 0, v16, vcc_lo
.LBB1425_185:
	s_wait_alu 0xfffe
	s_or_b32 exec_lo, exec_lo, s3
	s_wait_dscnt 0x5
	s_delay_alu instid0(VALU_DEP_1) | instskip(NEXT) | instid1(VALU_DEP_1)
	v_lshlrev_b64_e32 v[9:10], 2, v[9:10]
	v_add_co_u32 v9, vcc_lo, s10, v9
	s_wait_alu 0xfffd
	s_delay_alu instid0(VALU_DEP_2) | instskip(SKIP_3) | instid1(SALU_CYCLE_1)
	v_add_co_ci_u32_e64 v10, null, s11, v10, vcc_lo
	s_wait_dscnt 0x4
	global_store_b32 v[9:10], v8, off
	s_or_b32 exec_lo, exec_lo, s1
	s_mov_b32 s1, exec_lo
	v_cmpx_gt_u32_e64 s22, v39
	s_cbranch_execnz .LBB1425_151
.LBB1425_186:
	s_wait_alu 0xfffe
	s_or_b32 exec_lo, exec_lo, s1
	s_delay_alu instid0(SALU_CYCLE_1)
	s_mov_b32 s1, exec_lo
	v_cmpx_gt_u32_e64 s22, v38
	s_cbranch_execz .LBB1425_156
.LBB1425_187:
	s_mov_b32 s3, exec_lo
                                        ; implicit-def: $vgpr7_vgpr8
	v_cmpx_ge_u32_e64 v38, v19
	s_wait_alu 0xfffe
	s_xor_b32 s3, exec_lo, s3
	s_cbranch_execz .LBB1425_189
; %bb.188:
	s_wait_dscnt 0x3
	v_xor_b32_e32 v5, 0xfffff8ff, v0
                                        ; implicit-def: $vgpr38
	s_delay_alu instid0(VALU_DEP_1) | instskip(SKIP_2) | instid1(VALU_DEP_2)
	v_ashrrev_i32_e32 v8, 31, v5
	v_add_co_u32 v7, vcc_lo, v17, v5
	s_wait_alu 0xfffd
	v_add_co_ci_u32_e64 v8, null, v18, v8, vcc_lo
.LBB1425_189:
	s_wait_alu 0xfffe
	s_and_not1_saveexec_b32 s3, s3
	s_cbranch_execz .LBB1425_191
; %bb.190:
	s_wait_dscnt 0x4
	v_add_co_u32 v7, vcc_lo, v15, v38
	s_wait_alu 0xfffd
	v_add_co_ci_u32_e64 v8, null, 0, v16, vcc_lo
.LBB1425_191:
	s_wait_alu 0xfffe
	s_or_b32 exec_lo, exec_lo, s3
	s_wait_dscnt 0x4
	s_delay_alu instid0(VALU_DEP_1) | instskip(NEXT) | instid1(VALU_DEP_1)
	v_lshlrev_b64_e32 v[7:8], 2, v[7:8]
	v_add_co_u32 v7, vcc_lo, s10, v7
	s_wait_alu 0xfffd
	s_delay_alu instid0(VALU_DEP_2) | instskip(SKIP_3) | instid1(SALU_CYCLE_1)
	v_add_co_ci_u32_e64 v8, null, s11, v8, vcc_lo
	s_wait_dscnt 0x3
	global_store_b32 v[7:8], v6, off
	s_or_b32 exec_lo, exec_lo, s1
	s_mov_b32 s1, exec_lo
	v_cmpx_gt_u32_e64 s22, v37
	s_cbranch_execnz .LBB1425_157
.LBB1425_192:
	s_wait_alu 0xfffe
	s_or_b32 exec_lo, exec_lo, s1
	s_delay_alu instid0(SALU_CYCLE_1)
	s_mov_b32 s1, exec_lo
	v_cmpx_gt_u32_e64 s22, v36
	s_cbranch_execz .LBB1425_162
.LBB1425_193:
	s_mov_b32 s3, exec_lo
                                        ; implicit-def: $vgpr5_vgpr6
	v_cmpx_ge_u32_e64 v36, v19
	s_wait_alu 0xfffe
	s_xor_b32 s3, exec_lo, s3
	s_cbranch_execz .LBB1425_195
; %bb.194:
	s_wait_dscnt 0x2
	v_xor_b32_e32 v3, 0xfffff6ff, v0
                                        ; implicit-def: $vgpr36
	s_delay_alu instid0(VALU_DEP_1) | instskip(SKIP_2) | instid1(VALU_DEP_2)
	v_ashrrev_i32_e32 v6, 31, v3
	v_add_co_u32 v5, vcc_lo, v17, v3
	s_wait_alu 0xfffd
	v_add_co_ci_u32_e64 v6, null, v18, v6, vcc_lo
.LBB1425_195:
	s_wait_alu 0xfffe
	s_and_not1_saveexec_b32 s3, s3
	s_cbranch_execz .LBB1425_197
; %bb.196:
	s_wait_dscnt 0x3
	v_add_co_u32 v5, vcc_lo, v15, v36
	s_wait_alu 0xfffd
	v_add_co_ci_u32_e64 v6, null, 0, v16, vcc_lo
.LBB1425_197:
	s_wait_alu 0xfffe
	s_or_b32 exec_lo, exec_lo, s3
	s_wait_dscnt 0x3
	s_delay_alu instid0(VALU_DEP_1) | instskip(NEXT) | instid1(VALU_DEP_1)
	v_lshlrev_b64_e32 v[5:6], 2, v[5:6]
	v_add_co_u32 v5, vcc_lo, s10, v5
	s_wait_alu 0xfffd
	s_delay_alu instid0(VALU_DEP_2) | instskip(SKIP_3) | instid1(SALU_CYCLE_1)
	v_add_co_ci_u32_e64 v6, null, s11, v6, vcc_lo
	s_wait_dscnt 0x2
	global_store_b32 v[5:6], v4, off
	s_or_b32 exec_lo, exec_lo, s1
	s_mov_b32 s1, exec_lo
	v_cmpx_gt_u32_e64 s22, v35
	s_cbranch_execnz .LBB1425_163
.LBB1425_198:
	s_wait_alu 0xfffe
	s_or_b32 exec_lo, exec_lo, s1
	s_delay_alu instid0(SALU_CYCLE_1)
	s_mov_b32 s1, exec_lo
	v_cmpx_gt_u32_e64 s22, v34
	s_cbranch_execz .LBB1425_204
.LBB1425_199:
	s_mov_b32 s3, exec_lo
                                        ; implicit-def: $vgpr3_vgpr4
	v_cmpx_ge_u32_e64 v34, v19
	s_wait_alu 0xfffe
	s_xor_b32 s3, exec_lo, s3
	s_cbranch_execz .LBB1425_201
; %bb.200:
	s_wait_dscnt 0x1
	v_xor_b32_e32 v1, 0xfffff4ff, v0
                                        ; implicit-def: $vgpr34
	s_delay_alu instid0(VALU_DEP_1) | instskip(SKIP_2) | instid1(VALU_DEP_2)
	v_ashrrev_i32_e32 v4, 31, v1
	v_add_co_u32 v3, vcc_lo, v17, v1
	s_wait_alu 0xfffd
	v_add_co_ci_u32_e64 v4, null, v18, v4, vcc_lo
.LBB1425_201:
	s_wait_alu 0xfffe
	s_and_not1_saveexec_b32 s3, s3
	s_cbranch_execz .LBB1425_203
; %bb.202:
	s_wait_dscnt 0x2
	v_add_co_u32 v3, vcc_lo, v15, v34
	s_wait_alu 0xfffd
	v_add_co_ci_u32_e64 v4, null, 0, v16, vcc_lo
.LBB1425_203:
	s_wait_alu 0xfffe
	s_or_b32 exec_lo, exec_lo, s3
	s_wait_dscnt 0x2
	s_delay_alu instid0(VALU_DEP_1) | instskip(NEXT) | instid1(VALU_DEP_1)
	v_lshlrev_b64_e32 v[3:4], 2, v[3:4]
	v_add_co_u32 v3, vcc_lo, s10, v3
	s_wait_alu 0xfffd
	s_delay_alu instid0(VALU_DEP_2)
	v_add_co_ci_u32_e64 v4, null, s11, v4, vcc_lo
	s_wait_dscnt 0x1
	global_store_b32 v[3:4], v2, off
.LBB1425_204:
	s_wait_alu 0xfffe
	s_or_b32 exec_lo, exec_lo, s1
	s_delay_alu instid0(SALU_CYCLE_1)
	s_mov_b32 s1, exec_lo
                                        ; implicit-def: $vgpr13_vgpr14
	v_cmpx_gt_u32_e64 s22, v33
	s_cbranch_execz .LBB1425_210
; %bb.205:
	s_mov_b32 s3, exec_lo
                                        ; implicit-def: $vgpr13_vgpr14
	v_cmpx_ge_u32_e64 v33, v19
	s_wait_alu 0xfffe
	s_xor_b32 s3, exec_lo, s3
	s_cbranch_execz .LBB1425_207
; %bb.206:
	v_xor_b32_e32 v0, 0xfffff3ff, v0
                                        ; implicit-def: $vgpr33
	s_wait_dscnt 0x1
	s_delay_alu instid0(VALU_DEP_1) | instskip(SKIP_2) | instid1(VALU_DEP_2)
	v_ashrrev_i32_e32 v1, 31, v0
	v_add_co_u32 v13, vcc_lo, v17, v0
	s_wait_alu 0xfffd
	v_add_co_ci_u32_e64 v14, null, v18, v1, vcc_lo
.LBB1425_207:
	s_wait_alu 0xfffe
	s_and_not1_saveexec_b32 s3, s3
; %bb.208:
	v_add_co_u32 v13, vcc_lo, v15, v33
	s_wait_alu 0xfffd
	v_add_co_ci_u32_e64 v14, null, 0, v16, vcc_lo
; %bb.209:
	s_wait_alu 0xfffe
	s_or_b32 exec_lo, exec_lo, s3
	s_delay_alu instid0(SALU_CYCLE_1)
	s_or_b32 s0, s0, exec_lo
.LBB1425_210:
	s_wait_alu 0xfffe
	s_or_b32 exec_lo, exec_lo, s1
	s_and_saveexec_b32 s1, s0
	s_cbranch_execnz .LBB1425_129
.LBB1425_211:
	s_wait_alu 0xfffe
	s_or_b32 exec_lo, exec_lo, s1
	s_and_b32 s0, s2, s9
	s_wait_alu 0xfffe
	s_and_saveexec_b32 s1, s0
	s_cbranch_execz .LBB1425_130
.LBB1425_212:
	v_add_co_u32 v0, vcc_lo, v15, v19
	s_wait_dscnt 0x1
	v_mov_b32_e32 v2, 0
	s_wait_alu 0xfffd
	v_add_co_ci_u32_e64 v1, null, 0, v16, vcc_lo
	global_store_b64 v2, v[0:1], s[12:13]
	s_endpgm
	.section	.rodata,"a",@progbits
	.p2align	6, 0x0
	.amdhsa_kernel _ZN7rocprim17ROCPRIM_400000_NS6detail17trampoline_kernelINS0_13select_configILj256ELj13ELNS0_17block_load_methodE3ELS4_3ELS4_3ELNS0_20block_scan_algorithmE0ELj4294967295EEENS1_25partition_config_selectorILNS1_17partition_subalgoE3EjNS0_10empty_typeEbEEZZNS1_14partition_implILS8_3ELb0ES6_jNS0_17counting_iteratorIjlEEPS9_SE_NS0_5tupleIJPjSE_EEENSF_IJSE_SE_EEES9_SG_JZNS1_25segmented_radix_sort_implINS0_14default_configELb0EPKfPfPKlPlN2at6native12_GLOBAL__N_18offset_tEEE10hipError_tPvRmT1_PNSt15iterator_traitsISY_E10value_typeET2_T3_PNSZ_IS14_E10value_typeET4_jRbjT5_S1A_jjP12ihipStream_tbEUljE_EEESV_SW_SX_S14_S18_S1A_T6_T7_T9_mT8_S1C_bDpT10_ENKUlT_T0_E_clISt17integral_constantIbLb0EES1O_IbLb1EEEEDaS1K_S1L_EUlS1K_E_NS1_11comp_targetILNS1_3genE10ELNS1_11target_archE1200ELNS1_3gpuE4ELNS1_3repE0EEENS1_30default_config_static_selectorELNS0_4arch9wavefront6targetE0EEEvSY_
		.amdhsa_group_segment_fixed_size 13320
		.amdhsa_private_segment_fixed_size 0
		.amdhsa_kernarg_size 152
		.amdhsa_user_sgpr_count 2
		.amdhsa_user_sgpr_dispatch_ptr 0
		.amdhsa_user_sgpr_queue_ptr 0
		.amdhsa_user_sgpr_kernarg_segment_ptr 1
		.amdhsa_user_sgpr_dispatch_id 0
		.amdhsa_user_sgpr_private_segment_size 0
		.amdhsa_wavefront_size32 1
		.amdhsa_uses_dynamic_stack 0
		.amdhsa_enable_private_segment 0
		.amdhsa_system_sgpr_workgroup_id_x 1
		.amdhsa_system_sgpr_workgroup_id_y 0
		.amdhsa_system_sgpr_workgroup_id_z 0
		.amdhsa_system_sgpr_workgroup_info 0
		.amdhsa_system_vgpr_workitem_id 0
		.amdhsa_next_free_vgpr 71
		.amdhsa_next_free_sgpr 26
		.amdhsa_reserve_vcc 1
		.amdhsa_float_round_mode_32 0
		.amdhsa_float_round_mode_16_64 0
		.amdhsa_float_denorm_mode_32 3
		.amdhsa_float_denorm_mode_16_64 3
		.amdhsa_fp16_overflow 0
		.amdhsa_workgroup_processor_mode 1
		.amdhsa_memory_ordered 1
		.amdhsa_forward_progress 1
		.amdhsa_inst_pref_size 86
		.amdhsa_round_robin_scheduling 0
		.amdhsa_exception_fp_ieee_invalid_op 0
		.amdhsa_exception_fp_denorm_src 0
		.amdhsa_exception_fp_ieee_div_zero 0
		.amdhsa_exception_fp_ieee_overflow 0
		.amdhsa_exception_fp_ieee_underflow 0
		.amdhsa_exception_fp_ieee_inexact 0
		.amdhsa_exception_int_div_zero 0
	.end_amdhsa_kernel
	.section	.text._ZN7rocprim17ROCPRIM_400000_NS6detail17trampoline_kernelINS0_13select_configILj256ELj13ELNS0_17block_load_methodE3ELS4_3ELS4_3ELNS0_20block_scan_algorithmE0ELj4294967295EEENS1_25partition_config_selectorILNS1_17partition_subalgoE3EjNS0_10empty_typeEbEEZZNS1_14partition_implILS8_3ELb0ES6_jNS0_17counting_iteratorIjlEEPS9_SE_NS0_5tupleIJPjSE_EEENSF_IJSE_SE_EEES9_SG_JZNS1_25segmented_radix_sort_implINS0_14default_configELb0EPKfPfPKlPlN2at6native12_GLOBAL__N_18offset_tEEE10hipError_tPvRmT1_PNSt15iterator_traitsISY_E10value_typeET2_T3_PNSZ_IS14_E10value_typeET4_jRbjT5_S1A_jjP12ihipStream_tbEUljE_EEESV_SW_SX_S14_S18_S1A_T6_T7_T9_mT8_S1C_bDpT10_ENKUlT_T0_E_clISt17integral_constantIbLb0EES1O_IbLb1EEEEDaS1K_S1L_EUlS1K_E_NS1_11comp_targetILNS1_3genE10ELNS1_11target_archE1200ELNS1_3gpuE4ELNS1_3repE0EEENS1_30default_config_static_selectorELNS0_4arch9wavefront6targetE0EEEvSY_,"axG",@progbits,_ZN7rocprim17ROCPRIM_400000_NS6detail17trampoline_kernelINS0_13select_configILj256ELj13ELNS0_17block_load_methodE3ELS4_3ELS4_3ELNS0_20block_scan_algorithmE0ELj4294967295EEENS1_25partition_config_selectorILNS1_17partition_subalgoE3EjNS0_10empty_typeEbEEZZNS1_14partition_implILS8_3ELb0ES6_jNS0_17counting_iteratorIjlEEPS9_SE_NS0_5tupleIJPjSE_EEENSF_IJSE_SE_EEES9_SG_JZNS1_25segmented_radix_sort_implINS0_14default_configELb0EPKfPfPKlPlN2at6native12_GLOBAL__N_18offset_tEEE10hipError_tPvRmT1_PNSt15iterator_traitsISY_E10value_typeET2_T3_PNSZ_IS14_E10value_typeET4_jRbjT5_S1A_jjP12ihipStream_tbEUljE_EEESV_SW_SX_S14_S18_S1A_T6_T7_T9_mT8_S1C_bDpT10_ENKUlT_T0_E_clISt17integral_constantIbLb0EES1O_IbLb1EEEEDaS1K_S1L_EUlS1K_E_NS1_11comp_targetILNS1_3genE10ELNS1_11target_archE1200ELNS1_3gpuE4ELNS1_3repE0EEENS1_30default_config_static_selectorELNS0_4arch9wavefront6targetE0EEEvSY_,comdat
.Lfunc_end1425:
	.size	_ZN7rocprim17ROCPRIM_400000_NS6detail17trampoline_kernelINS0_13select_configILj256ELj13ELNS0_17block_load_methodE3ELS4_3ELS4_3ELNS0_20block_scan_algorithmE0ELj4294967295EEENS1_25partition_config_selectorILNS1_17partition_subalgoE3EjNS0_10empty_typeEbEEZZNS1_14partition_implILS8_3ELb0ES6_jNS0_17counting_iteratorIjlEEPS9_SE_NS0_5tupleIJPjSE_EEENSF_IJSE_SE_EEES9_SG_JZNS1_25segmented_radix_sort_implINS0_14default_configELb0EPKfPfPKlPlN2at6native12_GLOBAL__N_18offset_tEEE10hipError_tPvRmT1_PNSt15iterator_traitsISY_E10value_typeET2_T3_PNSZ_IS14_E10value_typeET4_jRbjT5_S1A_jjP12ihipStream_tbEUljE_EEESV_SW_SX_S14_S18_S1A_T6_T7_T9_mT8_S1C_bDpT10_ENKUlT_T0_E_clISt17integral_constantIbLb0EES1O_IbLb1EEEEDaS1K_S1L_EUlS1K_E_NS1_11comp_targetILNS1_3genE10ELNS1_11target_archE1200ELNS1_3gpuE4ELNS1_3repE0EEENS1_30default_config_static_selectorELNS0_4arch9wavefront6targetE0EEEvSY_, .Lfunc_end1425-_ZN7rocprim17ROCPRIM_400000_NS6detail17trampoline_kernelINS0_13select_configILj256ELj13ELNS0_17block_load_methodE3ELS4_3ELS4_3ELNS0_20block_scan_algorithmE0ELj4294967295EEENS1_25partition_config_selectorILNS1_17partition_subalgoE3EjNS0_10empty_typeEbEEZZNS1_14partition_implILS8_3ELb0ES6_jNS0_17counting_iteratorIjlEEPS9_SE_NS0_5tupleIJPjSE_EEENSF_IJSE_SE_EEES9_SG_JZNS1_25segmented_radix_sort_implINS0_14default_configELb0EPKfPfPKlPlN2at6native12_GLOBAL__N_18offset_tEEE10hipError_tPvRmT1_PNSt15iterator_traitsISY_E10value_typeET2_T3_PNSZ_IS14_E10value_typeET4_jRbjT5_S1A_jjP12ihipStream_tbEUljE_EEESV_SW_SX_S14_S18_S1A_T6_T7_T9_mT8_S1C_bDpT10_ENKUlT_T0_E_clISt17integral_constantIbLb0EES1O_IbLb1EEEEDaS1K_S1L_EUlS1K_E_NS1_11comp_targetILNS1_3genE10ELNS1_11target_archE1200ELNS1_3gpuE4ELNS1_3repE0EEENS1_30default_config_static_selectorELNS0_4arch9wavefront6targetE0EEEvSY_
                                        ; -- End function
	.set _ZN7rocprim17ROCPRIM_400000_NS6detail17trampoline_kernelINS0_13select_configILj256ELj13ELNS0_17block_load_methodE3ELS4_3ELS4_3ELNS0_20block_scan_algorithmE0ELj4294967295EEENS1_25partition_config_selectorILNS1_17partition_subalgoE3EjNS0_10empty_typeEbEEZZNS1_14partition_implILS8_3ELb0ES6_jNS0_17counting_iteratorIjlEEPS9_SE_NS0_5tupleIJPjSE_EEENSF_IJSE_SE_EEES9_SG_JZNS1_25segmented_radix_sort_implINS0_14default_configELb0EPKfPfPKlPlN2at6native12_GLOBAL__N_18offset_tEEE10hipError_tPvRmT1_PNSt15iterator_traitsISY_E10value_typeET2_T3_PNSZ_IS14_E10value_typeET4_jRbjT5_S1A_jjP12ihipStream_tbEUljE_EEESV_SW_SX_S14_S18_S1A_T6_T7_T9_mT8_S1C_bDpT10_ENKUlT_T0_E_clISt17integral_constantIbLb0EES1O_IbLb1EEEEDaS1K_S1L_EUlS1K_E_NS1_11comp_targetILNS1_3genE10ELNS1_11target_archE1200ELNS1_3gpuE4ELNS1_3repE0EEENS1_30default_config_static_selectorELNS0_4arch9wavefront6targetE0EEEvSY_.num_vgpr, 71
	.set _ZN7rocprim17ROCPRIM_400000_NS6detail17trampoline_kernelINS0_13select_configILj256ELj13ELNS0_17block_load_methodE3ELS4_3ELS4_3ELNS0_20block_scan_algorithmE0ELj4294967295EEENS1_25partition_config_selectorILNS1_17partition_subalgoE3EjNS0_10empty_typeEbEEZZNS1_14partition_implILS8_3ELb0ES6_jNS0_17counting_iteratorIjlEEPS9_SE_NS0_5tupleIJPjSE_EEENSF_IJSE_SE_EEES9_SG_JZNS1_25segmented_radix_sort_implINS0_14default_configELb0EPKfPfPKlPlN2at6native12_GLOBAL__N_18offset_tEEE10hipError_tPvRmT1_PNSt15iterator_traitsISY_E10value_typeET2_T3_PNSZ_IS14_E10value_typeET4_jRbjT5_S1A_jjP12ihipStream_tbEUljE_EEESV_SW_SX_S14_S18_S1A_T6_T7_T9_mT8_S1C_bDpT10_ENKUlT_T0_E_clISt17integral_constantIbLb0EES1O_IbLb1EEEEDaS1K_S1L_EUlS1K_E_NS1_11comp_targetILNS1_3genE10ELNS1_11target_archE1200ELNS1_3gpuE4ELNS1_3repE0EEENS1_30default_config_static_selectorELNS0_4arch9wavefront6targetE0EEEvSY_.num_agpr, 0
	.set _ZN7rocprim17ROCPRIM_400000_NS6detail17trampoline_kernelINS0_13select_configILj256ELj13ELNS0_17block_load_methodE3ELS4_3ELS4_3ELNS0_20block_scan_algorithmE0ELj4294967295EEENS1_25partition_config_selectorILNS1_17partition_subalgoE3EjNS0_10empty_typeEbEEZZNS1_14partition_implILS8_3ELb0ES6_jNS0_17counting_iteratorIjlEEPS9_SE_NS0_5tupleIJPjSE_EEENSF_IJSE_SE_EEES9_SG_JZNS1_25segmented_radix_sort_implINS0_14default_configELb0EPKfPfPKlPlN2at6native12_GLOBAL__N_18offset_tEEE10hipError_tPvRmT1_PNSt15iterator_traitsISY_E10value_typeET2_T3_PNSZ_IS14_E10value_typeET4_jRbjT5_S1A_jjP12ihipStream_tbEUljE_EEESV_SW_SX_S14_S18_S1A_T6_T7_T9_mT8_S1C_bDpT10_ENKUlT_T0_E_clISt17integral_constantIbLb0EES1O_IbLb1EEEEDaS1K_S1L_EUlS1K_E_NS1_11comp_targetILNS1_3genE10ELNS1_11target_archE1200ELNS1_3gpuE4ELNS1_3repE0EEENS1_30default_config_static_selectorELNS0_4arch9wavefront6targetE0EEEvSY_.numbered_sgpr, 26
	.set _ZN7rocprim17ROCPRIM_400000_NS6detail17trampoline_kernelINS0_13select_configILj256ELj13ELNS0_17block_load_methodE3ELS4_3ELS4_3ELNS0_20block_scan_algorithmE0ELj4294967295EEENS1_25partition_config_selectorILNS1_17partition_subalgoE3EjNS0_10empty_typeEbEEZZNS1_14partition_implILS8_3ELb0ES6_jNS0_17counting_iteratorIjlEEPS9_SE_NS0_5tupleIJPjSE_EEENSF_IJSE_SE_EEES9_SG_JZNS1_25segmented_radix_sort_implINS0_14default_configELb0EPKfPfPKlPlN2at6native12_GLOBAL__N_18offset_tEEE10hipError_tPvRmT1_PNSt15iterator_traitsISY_E10value_typeET2_T3_PNSZ_IS14_E10value_typeET4_jRbjT5_S1A_jjP12ihipStream_tbEUljE_EEESV_SW_SX_S14_S18_S1A_T6_T7_T9_mT8_S1C_bDpT10_ENKUlT_T0_E_clISt17integral_constantIbLb0EES1O_IbLb1EEEEDaS1K_S1L_EUlS1K_E_NS1_11comp_targetILNS1_3genE10ELNS1_11target_archE1200ELNS1_3gpuE4ELNS1_3repE0EEENS1_30default_config_static_selectorELNS0_4arch9wavefront6targetE0EEEvSY_.num_named_barrier, 0
	.set _ZN7rocprim17ROCPRIM_400000_NS6detail17trampoline_kernelINS0_13select_configILj256ELj13ELNS0_17block_load_methodE3ELS4_3ELS4_3ELNS0_20block_scan_algorithmE0ELj4294967295EEENS1_25partition_config_selectorILNS1_17partition_subalgoE3EjNS0_10empty_typeEbEEZZNS1_14partition_implILS8_3ELb0ES6_jNS0_17counting_iteratorIjlEEPS9_SE_NS0_5tupleIJPjSE_EEENSF_IJSE_SE_EEES9_SG_JZNS1_25segmented_radix_sort_implINS0_14default_configELb0EPKfPfPKlPlN2at6native12_GLOBAL__N_18offset_tEEE10hipError_tPvRmT1_PNSt15iterator_traitsISY_E10value_typeET2_T3_PNSZ_IS14_E10value_typeET4_jRbjT5_S1A_jjP12ihipStream_tbEUljE_EEESV_SW_SX_S14_S18_S1A_T6_T7_T9_mT8_S1C_bDpT10_ENKUlT_T0_E_clISt17integral_constantIbLb0EES1O_IbLb1EEEEDaS1K_S1L_EUlS1K_E_NS1_11comp_targetILNS1_3genE10ELNS1_11target_archE1200ELNS1_3gpuE4ELNS1_3repE0EEENS1_30default_config_static_selectorELNS0_4arch9wavefront6targetE0EEEvSY_.private_seg_size, 0
	.set _ZN7rocprim17ROCPRIM_400000_NS6detail17trampoline_kernelINS0_13select_configILj256ELj13ELNS0_17block_load_methodE3ELS4_3ELS4_3ELNS0_20block_scan_algorithmE0ELj4294967295EEENS1_25partition_config_selectorILNS1_17partition_subalgoE3EjNS0_10empty_typeEbEEZZNS1_14partition_implILS8_3ELb0ES6_jNS0_17counting_iteratorIjlEEPS9_SE_NS0_5tupleIJPjSE_EEENSF_IJSE_SE_EEES9_SG_JZNS1_25segmented_radix_sort_implINS0_14default_configELb0EPKfPfPKlPlN2at6native12_GLOBAL__N_18offset_tEEE10hipError_tPvRmT1_PNSt15iterator_traitsISY_E10value_typeET2_T3_PNSZ_IS14_E10value_typeET4_jRbjT5_S1A_jjP12ihipStream_tbEUljE_EEESV_SW_SX_S14_S18_S1A_T6_T7_T9_mT8_S1C_bDpT10_ENKUlT_T0_E_clISt17integral_constantIbLb0EES1O_IbLb1EEEEDaS1K_S1L_EUlS1K_E_NS1_11comp_targetILNS1_3genE10ELNS1_11target_archE1200ELNS1_3gpuE4ELNS1_3repE0EEENS1_30default_config_static_selectorELNS0_4arch9wavefront6targetE0EEEvSY_.uses_vcc, 1
	.set _ZN7rocprim17ROCPRIM_400000_NS6detail17trampoline_kernelINS0_13select_configILj256ELj13ELNS0_17block_load_methodE3ELS4_3ELS4_3ELNS0_20block_scan_algorithmE0ELj4294967295EEENS1_25partition_config_selectorILNS1_17partition_subalgoE3EjNS0_10empty_typeEbEEZZNS1_14partition_implILS8_3ELb0ES6_jNS0_17counting_iteratorIjlEEPS9_SE_NS0_5tupleIJPjSE_EEENSF_IJSE_SE_EEES9_SG_JZNS1_25segmented_radix_sort_implINS0_14default_configELb0EPKfPfPKlPlN2at6native12_GLOBAL__N_18offset_tEEE10hipError_tPvRmT1_PNSt15iterator_traitsISY_E10value_typeET2_T3_PNSZ_IS14_E10value_typeET4_jRbjT5_S1A_jjP12ihipStream_tbEUljE_EEESV_SW_SX_S14_S18_S1A_T6_T7_T9_mT8_S1C_bDpT10_ENKUlT_T0_E_clISt17integral_constantIbLb0EES1O_IbLb1EEEEDaS1K_S1L_EUlS1K_E_NS1_11comp_targetILNS1_3genE10ELNS1_11target_archE1200ELNS1_3gpuE4ELNS1_3repE0EEENS1_30default_config_static_selectorELNS0_4arch9wavefront6targetE0EEEvSY_.uses_flat_scratch, 0
	.set _ZN7rocprim17ROCPRIM_400000_NS6detail17trampoline_kernelINS0_13select_configILj256ELj13ELNS0_17block_load_methodE3ELS4_3ELS4_3ELNS0_20block_scan_algorithmE0ELj4294967295EEENS1_25partition_config_selectorILNS1_17partition_subalgoE3EjNS0_10empty_typeEbEEZZNS1_14partition_implILS8_3ELb0ES6_jNS0_17counting_iteratorIjlEEPS9_SE_NS0_5tupleIJPjSE_EEENSF_IJSE_SE_EEES9_SG_JZNS1_25segmented_radix_sort_implINS0_14default_configELb0EPKfPfPKlPlN2at6native12_GLOBAL__N_18offset_tEEE10hipError_tPvRmT1_PNSt15iterator_traitsISY_E10value_typeET2_T3_PNSZ_IS14_E10value_typeET4_jRbjT5_S1A_jjP12ihipStream_tbEUljE_EEESV_SW_SX_S14_S18_S1A_T6_T7_T9_mT8_S1C_bDpT10_ENKUlT_T0_E_clISt17integral_constantIbLb0EES1O_IbLb1EEEEDaS1K_S1L_EUlS1K_E_NS1_11comp_targetILNS1_3genE10ELNS1_11target_archE1200ELNS1_3gpuE4ELNS1_3repE0EEENS1_30default_config_static_selectorELNS0_4arch9wavefront6targetE0EEEvSY_.has_dyn_sized_stack, 0
	.set _ZN7rocprim17ROCPRIM_400000_NS6detail17trampoline_kernelINS0_13select_configILj256ELj13ELNS0_17block_load_methodE3ELS4_3ELS4_3ELNS0_20block_scan_algorithmE0ELj4294967295EEENS1_25partition_config_selectorILNS1_17partition_subalgoE3EjNS0_10empty_typeEbEEZZNS1_14partition_implILS8_3ELb0ES6_jNS0_17counting_iteratorIjlEEPS9_SE_NS0_5tupleIJPjSE_EEENSF_IJSE_SE_EEES9_SG_JZNS1_25segmented_radix_sort_implINS0_14default_configELb0EPKfPfPKlPlN2at6native12_GLOBAL__N_18offset_tEEE10hipError_tPvRmT1_PNSt15iterator_traitsISY_E10value_typeET2_T3_PNSZ_IS14_E10value_typeET4_jRbjT5_S1A_jjP12ihipStream_tbEUljE_EEESV_SW_SX_S14_S18_S1A_T6_T7_T9_mT8_S1C_bDpT10_ENKUlT_T0_E_clISt17integral_constantIbLb0EES1O_IbLb1EEEEDaS1K_S1L_EUlS1K_E_NS1_11comp_targetILNS1_3genE10ELNS1_11target_archE1200ELNS1_3gpuE4ELNS1_3repE0EEENS1_30default_config_static_selectorELNS0_4arch9wavefront6targetE0EEEvSY_.has_recursion, 0
	.set _ZN7rocprim17ROCPRIM_400000_NS6detail17trampoline_kernelINS0_13select_configILj256ELj13ELNS0_17block_load_methodE3ELS4_3ELS4_3ELNS0_20block_scan_algorithmE0ELj4294967295EEENS1_25partition_config_selectorILNS1_17partition_subalgoE3EjNS0_10empty_typeEbEEZZNS1_14partition_implILS8_3ELb0ES6_jNS0_17counting_iteratorIjlEEPS9_SE_NS0_5tupleIJPjSE_EEENSF_IJSE_SE_EEES9_SG_JZNS1_25segmented_radix_sort_implINS0_14default_configELb0EPKfPfPKlPlN2at6native12_GLOBAL__N_18offset_tEEE10hipError_tPvRmT1_PNSt15iterator_traitsISY_E10value_typeET2_T3_PNSZ_IS14_E10value_typeET4_jRbjT5_S1A_jjP12ihipStream_tbEUljE_EEESV_SW_SX_S14_S18_S1A_T6_T7_T9_mT8_S1C_bDpT10_ENKUlT_T0_E_clISt17integral_constantIbLb0EES1O_IbLb1EEEEDaS1K_S1L_EUlS1K_E_NS1_11comp_targetILNS1_3genE10ELNS1_11target_archE1200ELNS1_3gpuE4ELNS1_3repE0EEENS1_30default_config_static_selectorELNS0_4arch9wavefront6targetE0EEEvSY_.has_indirect_call, 0
	.section	.AMDGPU.csdata,"",@progbits
; Kernel info:
; codeLenInByte = 10900
; TotalNumSgprs: 28
; NumVgprs: 71
; ScratchSize: 0
; MemoryBound: 0
; FloatMode: 240
; IeeeMode: 1
; LDSByteSize: 13320 bytes/workgroup (compile time only)
; SGPRBlocks: 0
; VGPRBlocks: 8
; NumSGPRsForWavesPerEU: 28
; NumVGPRsForWavesPerEU: 71
; Occupancy: 16
; WaveLimiterHint : 0
; COMPUTE_PGM_RSRC2:SCRATCH_EN: 0
; COMPUTE_PGM_RSRC2:USER_SGPR: 2
; COMPUTE_PGM_RSRC2:TRAP_HANDLER: 0
; COMPUTE_PGM_RSRC2:TGID_X_EN: 1
; COMPUTE_PGM_RSRC2:TGID_Y_EN: 0
; COMPUTE_PGM_RSRC2:TGID_Z_EN: 0
; COMPUTE_PGM_RSRC2:TIDIG_COMP_CNT: 0
	.section	.text._ZN7rocprim17ROCPRIM_400000_NS6detail17trampoline_kernelINS0_13select_configILj256ELj13ELNS0_17block_load_methodE3ELS4_3ELS4_3ELNS0_20block_scan_algorithmE0ELj4294967295EEENS1_25partition_config_selectorILNS1_17partition_subalgoE3EjNS0_10empty_typeEbEEZZNS1_14partition_implILS8_3ELb0ES6_jNS0_17counting_iteratorIjlEEPS9_SE_NS0_5tupleIJPjSE_EEENSF_IJSE_SE_EEES9_SG_JZNS1_25segmented_radix_sort_implINS0_14default_configELb0EPKfPfPKlPlN2at6native12_GLOBAL__N_18offset_tEEE10hipError_tPvRmT1_PNSt15iterator_traitsISY_E10value_typeET2_T3_PNSZ_IS14_E10value_typeET4_jRbjT5_S1A_jjP12ihipStream_tbEUljE_EEESV_SW_SX_S14_S18_S1A_T6_T7_T9_mT8_S1C_bDpT10_ENKUlT_T0_E_clISt17integral_constantIbLb0EES1O_IbLb1EEEEDaS1K_S1L_EUlS1K_E_NS1_11comp_targetILNS1_3genE9ELNS1_11target_archE1100ELNS1_3gpuE3ELNS1_3repE0EEENS1_30default_config_static_selectorELNS0_4arch9wavefront6targetE0EEEvSY_,"axG",@progbits,_ZN7rocprim17ROCPRIM_400000_NS6detail17trampoline_kernelINS0_13select_configILj256ELj13ELNS0_17block_load_methodE3ELS4_3ELS4_3ELNS0_20block_scan_algorithmE0ELj4294967295EEENS1_25partition_config_selectorILNS1_17partition_subalgoE3EjNS0_10empty_typeEbEEZZNS1_14partition_implILS8_3ELb0ES6_jNS0_17counting_iteratorIjlEEPS9_SE_NS0_5tupleIJPjSE_EEENSF_IJSE_SE_EEES9_SG_JZNS1_25segmented_radix_sort_implINS0_14default_configELb0EPKfPfPKlPlN2at6native12_GLOBAL__N_18offset_tEEE10hipError_tPvRmT1_PNSt15iterator_traitsISY_E10value_typeET2_T3_PNSZ_IS14_E10value_typeET4_jRbjT5_S1A_jjP12ihipStream_tbEUljE_EEESV_SW_SX_S14_S18_S1A_T6_T7_T9_mT8_S1C_bDpT10_ENKUlT_T0_E_clISt17integral_constantIbLb0EES1O_IbLb1EEEEDaS1K_S1L_EUlS1K_E_NS1_11comp_targetILNS1_3genE9ELNS1_11target_archE1100ELNS1_3gpuE3ELNS1_3repE0EEENS1_30default_config_static_selectorELNS0_4arch9wavefront6targetE0EEEvSY_,comdat
	.globl	_ZN7rocprim17ROCPRIM_400000_NS6detail17trampoline_kernelINS0_13select_configILj256ELj13ELNS0_17block_load_methodE3ELS4_3ELS4_3ELNS0_20block_scan_algorithmE0ELj4294967295EEENS1_25partition_config_selectorILNS1_17partition_subalgoE3EjNS0_10empty_typeEbEEZZNS1_14partition_implILS8_3ELb0ES6_jNS0_17counting_iteratorIjlEEPS9_SE_NS0_5tupleIJPjSE_EEENSF_IJSE_SE_EEES9_SG_JZNS1_25segmented_radix_sort_implINS0_14default_configELb0EPKfPfPKlPlN2at6native12_GLOBAL__N_18offset_tEEE10hipError_tPvRmT1_PNSt15iterator_traitsISY_E10value_typeET2_T3_PNSZ_IS14_E10value_typeET4_jRbjT5_S1A_jjP12ihipStream_tbEUljE_EEESV_SW_SX_S14_S18_S1A_T6_T7_T9_mT8_S1C_bDpT10_ENKUlT_T0_E_clISt17integral_constantIbLb0EES1O_IbLb1EEEEDaS1K_S1L_EUlS1K_E_NS1_11comp_targetILNS1_3genE9ELNS1_11target_archE1100ELNS1_3gpuE3ELNS1_3repE0EEENS1_30default_config_static_selectorELNS0_4arch9wavefront6targetE0EEEvSY_ ; -- Begin function _ZN7rocprim17ROCPRIM_400000_NS6detail17trampoline_kernelINS0_13select_configILj256ELj13ELNS0_17block_load_methodE3ELS4_3ELS4_3ELNS0_20block_scan_algorithmE0ELj4294967295EEENS1_25partition_config_selectorILNS1_17partition_subalgoE3EjNS0_10empty_typeEbEEZZNS1_14partition_implILS8_3ELb0ES6_jNS0_17counting_iteratorIjlEEPS9_SE_NS0_5tupleIJPjSE_EEENSF_IJSE_SE_EEES9_SG_JZNS1_25segmented_radix_sort_implINS0_14default_configELb0EPKfPfPKlPlN2at6native12_GLOBAL__N_18offset_tEEE10hipError_tPvRmT1_PNSt15iterator_traitsISY_E10value_typeET2_T3_PNSZ_IS14_E10value_typeET4_jRbjT5_S1A_jjP12ihipStream_tbEUljE_EEESV_SW_SX_S14_S18_S1A_T6_T7_T9_mT8_S1C_bDpT10_ENKUlT_T0_E_clISt17integral_constantIbLb0EES1O_IbLb1EEEEDaS1K_S1L_EUlS1K_E_NS1_11comp_targetILNS1_3genE9ELNS1_11target_archE1100ELNS1_3gpuE3ELNS1_3repE0EEENS1_30default_config_static_selectorELNS0_4arch9wavefront6targetE0EEEvSY_
	.p2align	8
	.type	_ZN7rocprim17ROCPRIM_400000_NS6detail17trampoline_kernelINS0_13select_configILj256ELj13ELNS0_17block_load_methodE3ELS4_3ELS4_3ELNS0_20block_scan_algorithmE0ELj4294967295EEENS1_25partition_config_selectorILNS1_17partition_subalgoE3EjNS0_10empty_typeEbEEZZNS1_14partition_implILS8_3ELb0ES6_jNS0_17counting_iteratorIjlEEPS9_SE_NS0_5tupleIJPjSE_EEENSF_IJSE_SE_EEES9_SG_JZNS1_25segmented_radix_sort_implINS0_14default_configELb0EPKfPfPKlPlN2at6native12_GLOBAL__N_18offset_tEEE10hipError_tPvRmT1_PNSt15iterator_traitsISY_E10value_typeET2_T3_PNSZ_IS14_E10value_typeET4_jRbjT5_S1A_jjP12ihipStream_tbEUljE_EEESV_SW_SX_S14_S18_S1A_T6_T7_T9_mT8_S1C_bDpT10_ENKUlT_T0_E_clISt17integral_constantIbLb0EES1O_IbLb1EEEEDaS1K_S1L_EUlS1K_E_NS1_11comp_targetILNS1_3genE9ELNS1_11target_archE1100ELNS1_3gpuE3ELNS1_3repE0EEENS1_30default_config_static_selectorELNS0_4arch9wavefront6targetE0EEEvSY_,@function
_ZN7rocprim17ROCPRIM_400000_NS6detail17trampoline_kernelINS0_13select_configILj256ELj13ELNS0_17block_load_methodE3ELS4_3ELS4_3ELNS0_20block_scan_algorithmE0ELj4294967295EEENS1_25partition_config_selectorILNS1_17partition_subalgoE3EjNS0_10empty_typeEbEEZZNS1_14partition_implILS8_3ELb0ES6_jNS0_17counting_iteratorIjlEEPS9_SE_NS0_5tupleIJPjSE_EEENSF_IJSE_SE_EEES9_SG_JZNS1_25segmented_radix_sort_implINS0_14default_configELb0EPKfPfPKlPlN2at6native12_GLOBAL__N_18offset_tEEE10hipError_tPvRmT1_PNSt15iterator_traitsISY_E10value_typeET2_T3_PNSZ_IS14_E10value_typeET4_jRbjT5_S1A_jjP12ihipStream_tbEUljE_EEESV_SW_SX_S14_S18_S1A_T6_T7_T9_mT8_S1C_bDpT10_ENKUlT_T0_E_clISt17integral_constantIbLb0EES1O_IbLb1EEEEDaS1K_S1L_EUlS1K_E_NS1_11comp_targetILNS1_3genE9ELNS1_11target_archE1100ELNS1_3gpuE3ELNS1_3repE0EEENS1_30default_config_static_selectorELNS0_4arch9wavefront6targetE0EEEvSY_: ; @_ZN7rocprim17ROCPRIM_400000_NS6detail17trampoline_kernelINS0_13select_configILj256ELj13ELNS0_17block_load_methodE3ELS4_3ELS4_3ELNS0_20block_scan_algorithmE0ELj4294967295EEENS1_25partition_config_selectorILNS1_17partition_subalgoE3EjNS0_10empty_typeEbEEZZNS1_14partition_implILS8_3ELb0ES6_jNS0_17counting_iteratorIjlEEPS9_SE_NS0_5tupleIJPjSE_EEENSF_IJSE_SE_EEES9_SG_JZNS1_25segmented_radix_sort_implINS0_14default_configELb0EPKfPfPKlPlN2at6native12_GLOBAL__N_18offset_tEEE10hipError_tPvRmT1_PNSt15iterator_traitsISY_E10value_typeET2_T3_PNSZ_IS14_E10value_typeET4_jRbjT5_S1A_jjP12ihipStream_tbEUljE_EEESV_SW_SX_S14_S18_S1A_T6_T7_T9_mT8_S1C_bDpT10_ENKUlT_T0_E_clISt17integral_constantIbLb0EES1O_IbLb1EEEEDaS1K_S1L_EUlS1K_E_NS1_11comp_targetILNS1_3genE9ELNS1_11target_archE1100ELNS1_3gpuE3ELNS1_3repE0EEENS1_30default_config_static_selectorELNS0_4arch9wavefront6targetE0EEEvSY_
; %bb.0:
	.section	.rodata,"a",@progbits
	.p2align	6, 0x0
	.amdhsa_kernel _ZN7rocprim17ROCPRIM_400000_NS6detail17trampoline_kernelINS0_13select_configILj256ELj13ELNS0_17block_load_methodE3ELS4_3ELS4_3ELNS0_20block_scan_algorithmE0ELj4294967295EEENS1_25partition_config_selectorILNS1_17partition_subalgoE3EjNS0_10empty_typeEbEEZZNS1_14partition_implILS8_3ELb0ES6_jNS0_17counting_iteratorIjlEEPS9_SE_NS0_5tupleIJPjSE_EEENSF_IJSE_SE_EEES9_SG_JZNS1_25segmented_radix_sort_implINS0_14default_configELb0EPKfPfPKlPlN2at6native12_GLOBAL__N_18offset_tEEE10hipError_tPvRmT1_PNSt15iterator_traitsISY_E10value_typeET2_T3_PNSZ_IS14_E10value_typeET4_jRbjT5_S1A_jjP12ihipStream_tbEUljE_EEESV_SW_SX_S14_S18_S1A_T6_T7_T9_mT8_S1C_bDpT10_ENKUlT_T0_E_clISt17integral_constantIbLb0EES1O_IbLb1EEEEDaS1K_S1L_EUlS1K_E_NS1_11comp_targetILNS1_3genE9ELNS1_11target_archE1100ELNS1_3gpuE3ELNS1_3repE0EEENS1_30default_config_static_selectorELNS0_4arch9wavefront6targetE0EEEvSY_
		.amdhsa_group_segment_fixed_size 0
		.amdhsa_private_segment_fixed_size 0
		.amdhsa_kernarg_size 152
		.amdhsa_user_sgpr_count 2
		.amdhsa_user_sgpr_dispatch_ptr 0
		.amdhsa_user_sgpr_queue_ptr 0
		.amdhsa_user_sgpr_kernarg_segment_ptr 1
		.amdhsa_user_sgpr_dispatch_id 0
		.amdhsa_user_sgpr_private_segment_size 0
		.amdhsa_wavefront_size32 1
		.amdhsa_uses_dynamic_stack 0
		.amdhsa_enable_private_segment 0
		.amdhsa_system_sgpr_workgroup_id_x 1
		.amdhsa_system_sgpr_workgroup_id_y 0
		.amdhsa_system_sgpr_workgroup_id_z 0
		.amdhsa_system_sgpr_workgroup_info 0
		.amdhsa_system_vgpr_workitem_id 0
		.amdhsa_next_free_vgpr 1
		.amdhsa_next_free_sgpr 1
		.amdhsa_reserve_vcc 0
		.amdhsa_float_round_mode_32 0
		.amdhsa_float_round_mode_16_64 0
		.amdhsa_float_denorm_mode_32 3
		.amdhsa_float_denorm_mode_16_64 3
		.amdhsa_fp16_overflow 0
		.amdhsa_workgroup_processor_mode 1
		.amdhsa_memory_ordered 1
		.amdhsa_forward_progress 1
		.amdhsa_inst_pref_size 0
		.amdhsa_round_robin_scheduling 0
		.amdhsa_exception_fp_ieee_invalid_op 0
		.amdhsa_exception_fp_denorm_src 0
		.amdhsa_exception_fp_ieee_div_zero 0
		.amdhsa_exception_fp_ieee_overflow 0
		.amdhsa_exception_fp_ieee_underflow 0
		.amdhsa_exception_fp_ieee_inexact 0
		.amdhsa_exception_int_div_zero 0
	.end_amdhsa_kernel
	.section	.text._ZN7rocprim17ROCPRIM_400000_NS6detail17trampoline_kernelINS0_13select_configILj256ELj13ELNS0_17block_load_methodE3ELS4_3ELS4_3ELNS0_20block_scan_algorithmE0ELj4294967295EEENS1_25partition_config_selectorILNS1_17partition_subalgoE3EjNS0_10empty_typeEbEEZZNS1_14partition_implILS8_3ELb0ES6_jNS0_17counting_iteratorIjlEEPS9_SE_NS0_5tupleIJPjSE_EEENSF_IJSE_SE_EEES9_SG_JZNS1_25segmented_radix_sort_implINS0_14default_configELb0EPKfPfPKlPlN2at6native12_GLOBAL__N_18offset_tEEE10hipError_tPvRmT1_PNSt15iterator_traitsISY_E10value_typeET2_T3_PNSZ_IS14_E10value_typeET4_jRbjT5_S1A_jjP12ihipStream_tbEUljE_EEESV_SW_SX_S14_S18_S1A_T6_T7_T9_mT8_S1C_bDpT10_ENKUlT_T0_E_clISt17integral_constantIbLb0EES1O_IbLb1EEEEDaS1K_S1L_EUlS1K_E_NS1_11comp_targetILNS1_3genE9ELNS1_11target_archE1100ELNS1_3gpuE3ELNS1_3repE0EEENS1_30default_config_static_selectorELNS0_4arch9wavefront6targetE0EEEvSY_,"axG",@progbits,_ZN7rocprim17ROCPRIM_400000_NS6detail17trampoline_kernelINS0_13select_configILj256ELj13ELNS0_17block_load_methodE3ELS4_3ELS4_3ELNS0_20block_scan_algorithmE0ELj4294967295EEENS1_25partition_config_selectorILNS1_17partition_subalgoE3EjNS0_10empty_typeEbEEZZNS1_14partition_implILS8_3ELb0ES6_jNS0_17counting_iteratorIjlEEPS9_SE_NS0_5tupleIJPjSE_EEENSF_IJSE_SE_EEES9_SG_JZNS1_25segmented_radix_sort_implINS0_14default_configELb0EPKfPfPKlPlN2at6native12_GLOBAL__N_18offset_tEEE10hipError_tPvRmT1_PNSt15iterator_traitsISY_E10value_typeET2_T3_PNSZ_IS14_E10value_typeET4_jRbjT5_S1A_jjP12ihipStream_tbEUljE_EEESV_SW_SX_S14_S18_S1A_T6_T7_T9_mT8_S1C_bDpT10_ENKUlT_T0_E_clISt17integral_constantIbLb0EES1O_IbLb1EEEEDaS1K_S1L_EUlS1K_E_NS1_11comp_targetILNS1_3genE9ELNS1_11target_archE1100ELNS1_3gpuE3ELNS1_3repE0EEENS1_30default_config_static_selectorELNS0_4arch9wavefront6targetE0EEEvSY_,comdat
.Lfunc_end1426:
	.size	_ZN7rocprim17ROCPRIM_400000_NS6detail17trampoline_kernelINS0_13select_configILj256ELj13ELNS0_17block_load_methodE3ELS4_3ELS4_3ELNS0_20block_scan_algorithmE0ELj4294967295EEENS1_25partition_config_selectorILNS1_17partition_subalgoE3EjNS0_10empty_typeEbEEZZNS1_14partition_implILS8_3ELb0ES6_jNS0_17counting_iteratorIjlEEPS9_SE_NS0_5tupleIJPjSE_EEENSF_IJSE_SE_EEES9_SG_JZNS1_25segmented_radix_sort_implINS0_14default_configELb0EPKfPfPKlPlN2at6native12_GLOBAL__N_18offset_tEEE10hipError_tPvRmT1_PNSt15iterator_traitsISY_E10value_typeET2_T3_PNSZ_IS14_E10value_typeET4_jRbjT5_S1A_jjP12ihipStream_tbEUljE_EEESV_SW_SX_S14_S18_S1A_T6_T7_T9_mT8_S1C_bDpT10_ENKUlT_T0_E_clISt17integral_constantIbLb0EES1O_IbLb1EEEEDaS1K_S1L_EUlS1K_E_NS1_11comp_targetILNS1_3genE9ELNS1_11target_archE1100ELNS1_3gpuE3ELNS1_3repE0EEENS1_30default_config_static_selectorELNS0_4arch9wavefront6targetE0EEEvSY_, .Lfunc_end1426-_ZN7rocprim17ROCPRIM_400000_NS6detail17trampoline_kernelINS0_13select_configILj256ELj13ELNS0_17block_load_methodE3ELS4_3ELS4_3ELNS0_20block_scan_algorithmE0ELj4294967295EEENS1_25partition_config_selectorILNS1_17partition_subalgoE3EjNS0_10empty_typeEbEEZZNS1_14partition_implILS8_3ELb0ES6_jNS0_17counting_iteratorIjlEEPS9_SE_NS0_5tupleIJPjSE_EEENSF_IJSE_SE_EEES9_SG_JZNS1_25segmented_radix_sort_implINS0_14default_configELb0EPKfPfPKlPlN2at6native12_GLOBAL__N_18offset_tEEE10hipError_tPvRmT1_PNSt15iterator_traitsISY_E10value_typeET2_T3_PNSZ_IS14_E10value_typeET4_jRbjT5_S1A_jjP12ihipStream_tbEUljE_EEESV_SW_SX_S14_S18_S1A_T6_T7_T9_mT8_S1C_bDpT10_ENKUlT_T0_E_clISt17integral_constantIbLb0EES1O_IbLb1EEEEDaS1K_S1L_EUlS1K_E_NS1_11comp_targetILNS1_3genE9ELNS1_11target_archE1100ELNS1_3gpuE3ELNS1_3repE0EEENS1_30default_config_static_selectorELNS0_4arch9wavefront6targetE0EEEvSY_
                                        ; -- End function
	.set _ZN7rocprim17ROCPRIM_400000_NS6detail17trampoline_kernelINS0_13select_configILj256ELj13ELNS0_17block_load_methodE3ELS4_3ELS4_3ELNS0_20block_scan_algorithmE0ELj4294967295EEENS1_25partition_config_selectorILNS1_17partition_subalgoE3EjNS0_10empty_typeEbEEZZNS1_14partition_implILS8_3ELb0ES6_jNS0_17counting_iteratorIjlEEPS9_SE_NS0_5tupleIJPjSE_EEENSF_IJSE_SE_EEES9_SG_JZNS1_25segmented_radix_sort_implINS0_14default_configELb0EPKfPfPKlPlN2at6native12_GLOBAL__N_18offset_tEEE10hipError_tPvRmT1_PNSt15iterator_traitsISY_E10value_typeET2_T3_PNSZ_IS14_E10value_typeET4_jRbjT5_S1A_jjP12ihipStream_tbEUljE_EEESV_SW_SX_S14_S18_S1A_T6_T7_T9_mT8_S1C_bDpT10_ENKUlT_T0_E_clISt17integral_constantIbLb0EES1O_IbLb1EEEEDaS1K_S1L_EUlS1K_E_NS1_11comp_targetILNS1_3genE9ELNS1_11target_archE1100ELNS1_3gpuE3ELNS1_3repE0EEENS1_30default_config_static_selectorELNS0_4arch9wavefront6targetE0EEEvSY_.num_vgpr, 0
	.set _ZN7rocprim17ROCPRIM_400000_NS6detail17trampoline_kernelINS0_13select_configILj256ELj13ELNS0_17block_load_methodE3ELS4_3ELS4_3ELNS0_20block_scan_algorithmE0ELj4294967295EEENS1_25partition_config_selectorILNS1_17partition_subalgoE3EjNS0_10empty_typeEbEEZZNS1_14partition_implILS8_3ELb0ES6_jNS0_17counting_iteratorIjlEEPS9_SE_NS0_5tupleIJPjSE_EEENSF_IJSE_SE_EEES9_SG_JZNS1_25segmented_radix_sort_implINS0_14default_configELb0EPKfPfPKlPlN2at6native12_GLOBAL__N_18offset_tEEE10hipError_tPvRmT1_PNSt15iterator_traitsISY_E10value_typeET2_T3_PNSZ_IS14_E10value_typeET4_jRbjT5_S1A_jjP12ihipStream_tbEUljE_EEESV_SW_SX_S14_S18_S1A_T6_T7_T9_mT8_S1C_bDpT10_ENKUlT_T0_E_clISt17integral_constantIbLb0EES1O_IbLb1EEEEDaS1K_S1L_EUlS1K_E_NS1_11comp_targetILNS1_3genE9ELNS1_11target_archE1100ELNS1_3gpuE3ELNS1_3repE0EEENS1_30default_config_static_selectorELNS0_4arch9wavefront6targetE0EEEvSY_.num_agpr, 0
	.set _ZN7rocprim17ROCPRIM_400000_NS6detail17trampoline_kernelINS0_13select_configILj256ELj13ELNS0_17block_load_methodE3ELS4_3ELS4_3ELNS0_20block_scan_algorithmE0ELj4294967295EEENS1_25partition_config_selectorILNS1_17partition_subalgoE3EjNS0_10empty_typeEbEEZZNS1_14partition_implILS8_3ELb0ES6_jNS0_17counting_iteratorIjlEEPS9_SE_NS0_5tupleIJPjSE_EEENSF_IJSE_SE_EEES9_SG_JZNS1_25segmented_radix_sort_implINS0_14default_configELb0EPKfPfPKlPlN2at6native12_GLOBAL__N_18offset_tEEE10hipError_tPvRmT1_PNSt15iterator_traitsISY_E10value_typeET2_T3_PNSZ_IS14_E10value_typeET4_jRbjT5_S1A_jjP12ihipStream_tbEUljE_EEESV_SW_SX_S14_S18_S1A_T6_T7_T9_mT8_S1C_bDpT10_ENKUlT_T0_E_clISt17integral_constantIbLb0EES1O_IbLb1EEEEDaS1K_S1L_EUlS1K_E_NS1_11comp_targetILNS1_3genE9ELNS1_11target_archE1100ELNS1_3gpuE3ELNS1_3repE0EEENS1_30default_config_static_selectorELNS0_4arch9wavefront6targetE0EEEvSY_.numbered_sgpr, 0
	.set _ZN7rocprim17ROCPRIM_400000_NS6detail17trampoline_kernelINS0_13select_configILj256ELj13ELNS0_17block_load_methodE3ELS4_3ELS4_3ELNS0_20block_scan_algorithmE0ELj4294967295EEENS1_25partition_config_selectorILNS1_17partition_subalgoE3EjNS0_10empty_typeEbEEZZNS1_14partition_implILS8_3ELb0ES6_jNS0_17counting_iteratorIjlEEPS9_SE_NS0_5tupleIJPjSE_EEENSF_IJSE_SE_EEES9_SG_JZNS1_25segmented_radix_sort_implINS0_14default_configELb0EPKfPfPKlPlN2at6native12_GLOBAL__N_18offset_tEEE10hipError_tPvRmT1_PNSt15iterator_traitsISY_E10value_typeET2_T3_PNSZ_IS14_E10value_typeET4_jRbjT5_S1A_jjP12ihipStream_tbEUljE_EEESV_SW_SX_S14_S18_S1A_T6_T7_T9_mT8_S1C_bDpT10_ENKUlT_T0_E_clISt17integral_constantIbLb0EES1O_IbLb1EEEEDaS1K_S1L_EUlS1K_E_NS1_11comp_targetILNS1_3genE9ELNS1_11target_archE1100ELNS1_3gpuE3ELNS1_3repE0EEENS1_30default_config_static_selectorELNS0_4arch9wavefront6targetE0EEEvSY_.num_named_barrier, 0
	.set _ZN7rocprim17ROCPRIM_400000_NS6detail17trampoline_kernelINS0_13select_configILj256ELj13ELNS0_17block_load_methodE3ELS4_3ELS4_3ELNS0_20block_scan_algorithmE0ELj4294967295EEENS1_25partition_config_selectorILNS1_17partition_subalgoE3EjNS0_10empty_typeEbEEZZNS1_14partition_implILS8_3ELb0ES6_jNS0_17counting_iteratorIjlEEPS9_SE_NS0_5tupleIJPjSE_EEENSF_IJSE_SE_EEES9_SG_JZNS1_25segmented_radix_sort_implINS0_14default_configELb0EPKfPfPKlPlN2at6native12_GLOBAL__N_18offset_tEEE10hipError_tPvRmT1_PNSt15iterator_traitsISY_E10value_typeET2_T3_PNSZ_IS14_E10value_typeET4_jRbjT5_S1A_jjP12ihipStream_tbEUljE_EEESV_SW_SX_S14_S18_S1A_T6_T7_T9_mT8_S1C_bDpT10_ENKUlT_T0_E_clISt17integral_constantIbLb0EES1O_IbLb1EEEEDaS1K_S1L_EUlS1K_E_NS1_11comp_targetILNS1_3genE9ELNS1_11target_archE1100ELNS1_3gpuE3ELNS1_3repE0EEENS1_30default_config_static_selectorELNS0_4arch9wavefront6targetE0EEEvSY_.private_seg_size, 0
	.set _ZN7rocprim17ROCPRIM_400000_NS6detail17trampoline_kernelINS0_13select_configILj256ELj13ELNS0_17block_load_methodE3ELS4_3ELS4_3ELNS0_20block_scan_algorithmE0ELj4294967295EEENS1_25partition_config_selectorILNS1_17partition_subalgoE3EjNS0_10empty_typeEbEEZZNS1_14partition_implILS8_3ELb0ES6_jNS0_17counting_iteratorIjlEEPS9_SE_NS0_5tupleIJPjSE_EEENSF_IJSE_SE_EEES9_SG_JZNS1_25segmented_radix_sort_implINS0_14default_configELb0EPKfPfPKlPlN2at6native12_GLOBAL__N_18offset_tEEE10hipError_tPvRmT1_PNSt15iterator_traitsISY_E10value_typeET2_T3_PNSZ_IS14_E10value_typeET4_jRbjT5_S1A_jjP12ihipStream_tbEUljE_EEESV_SW_SX_S14_S18_S1A_T6_T7_T9_mT8_S1C_bDpT10_ENKUlT_T0_E_clISt17integral_constantIbLb0EES1O_IbLb1EEEEDaS1K_S1L_EUlS1K_E_NS1_11comp_targetILNS1_3genE9ELNS1_11target_archE1100ELNS1_3gpuE3ELNS1_3repE0EEENS1_30default_config_static_selectorELNS0_4arch9wavefront6targetE0EEEvSY_.uses_vcc, 0
	.set _ZN7rocprim17ROCPRIM_400000_NS6detail17trampoline_kernelINS0_13select_configILj256ELj13ELNS0_17block_load_methodE3ELS4_3ELS4_3ELNS0_20block_scan_algorithmE0ELj4294967295EEENS1_25partition_config_selectorILNS1_17partition_subalgoE3EjNS0_10empty_typeEbEEZZNS1_14partition_implILS8_3ELb0ES6_jNS0_17counting_iteratorIjlEEPS9_SE_NS0_5tupleIJPjSE_EEENSF_IJSE_SE_EEES9_SG_JZNS1_25segmented_radix_sort_implINS0_14default_configELb0EPKfPfPKlPlN2at6native12_GLOBAL__N_18offset_tEEE10hipError_tPvRmT1_PNSt15iterator_traitsISY_E10value_typeET2_T3_PNSZ_IS14_E10value_typeET4_jRbjT5_S1A_jjP12ihipStream_tbEUljE_EEESV_SW_SX_S14_S18_S1A_T6_T7_T9_mT8_S1C_bDpT10_ENKUlT_T0_E_clISt17integral_constantIbLb0EES1O_IbLb1EEEEDaS1K_S1L_EUlS1K_E_NS1_11comp_targetILNS1_3genE9ELNS1_11target_archE1100ELNS1_3gpuE3ELNS1_3repE0EEENS1_30default_config_static_selectorELNS0_4arch9wavefront6targetE0EEEvSY_.uses_flat_scratch, 0
	.set _ZN7rocprim17ROCPRIM_400000_NS6detail17trampoline_kernelINS0_13select_configILj256ELj13ELNS0_17block_load_methodE3ELS4_3ELS4_3ELNS0_20block_scan_algorithmE0ELj4294967295EEENS1_25partition_config_selectorILNS1_17partition_subalgoE3EjNS0_10empty_typeEbEEZZNS1_14partition_implILS8_3ELb0ES6_jNS0_17counting_iteratorIjlEEPS9_SE_NS0_5tupleIJPjSE_EEENSF_IJSE_SE_EEES9_SG_JZNS1_25segmented_radix_sort_implINS0_14default_configELb0EPKfPfPKlPlN2at6native12_GLOBAL__N_18offset_tEEE10hipError_tPvRmT1_PNSt15iterator_traitsISY_E10value_typeET2_T3_PNSZ_IS14_E10value_typeET4_jRbjT5_S1A_jjP12ihipStream_tbEUljE_EEESV_SW_SX_S14_S18_S1A_T6_T7_T9_mT8_S1C_bDpT10_ENKUlT_T0_E_clISt17integral_constantIbLb0EES1O_IbLb1EEEEDaS1K_S1L_EUlS1K_E_NS1_11comp_targetILNS1_3genE9ELNS1_11target_archE1100ELNS1_3gpuE3ELNS1_3repE0EEENS1_30default_config_static_selectorELNS0_4arch9wavefront6targetE0EEEvSY_.has_dyn_sized_stack, 0
	.set _ZN7rocprim17ROCPRIM_400000_NS6detail17trampoline_kernelINS0_13select_configILj256ELj13ELNS0_17block_load_methodE3ELS4_3ELS4_3ELNS0_20block_scan_algorithmE0ELj4294967295EEENS1_25partition_config_selectorILNS1_17partition_subalgoE3EjNS0_10empty_typeEbEEZZNS1_14partition_implILS8_3ELb0ES6_jNS0_17counting_iteratorIjlEEPS9_SE_NS0_5tupleIJPjSE_EEENSF_IJSE_SE_EEES9_SG_JZNS1_25segmented_radix_sort_implINS0_14default_configELb0EPKfPfPKlPlN2at6native12_GLOBAL__N_18offset_tEEE10hipError_tPvRmT1_PNSt15iterator_traitsISY_E10value_typeET2_T3_PNSZ_IS14_E10value_typeET4_jRbjT5_S1A_jjP12ihipStream_tbEUljE_EEESV_SW_SX_S14_S18_S1A_T6_T7_T9_mT8_S1C_bDpT10_ENKUlT_T0_E_clISt17integral_constantIbLb0EES1O_IbLb1EEEEDaS1K_S1L_EUlS1K_E_NS1_11comp_targetILNS1_3genE9ELNS1_11target_archE1100ELNS1_3gpuE3ELNS1_3repE0EEENS1_30default_config_static_selectorELNS0_4arch9wavefront6targetE0EEEvSY_.has_recursion, 0
	.set _ZN7rocprim17ROCPRIM_400000_NS6detail17trampoline_kernelINS0_13select_configILj256ELj13ELNS0_17block_load_methodE3ELS4_3ELS4_3ELNS0_20block_scan_algorithmE0ELj4294967295EEENS1_25partition_config_selectorILNS1_17partition_subalgoE3EjNS0_10empty_typeEbEEZZNS1_14partition_implILS8_3ELb0ES6_jNS0_17counting_iteratorIjlEEPS9_SE_NS0_5tupleIJPjSE_EEENSF_IJSE_SE_EEES9_SG_JZNS1_25segmented_radix_sort_implINS0_14default_configELb0EPKfPfPKlPlN2at6native12_GLOBAL__N_18offset_tEEE10hipError_tPvRmT1_PNSt15iterator_traitsISY_E10value_typeET2_T3_PNSZ_IS14_E10value_typeET4_jRbjT5_S1A_jjP12ihipStream_tbEUljE_EEESV_SW_SX_S14_S18_S1A_T6_T7_T9_mT8_S1C_bDpT10_ENKUlT_T0_E_clISt17integral_constantIbLb0EES1O_IbLb1EEEEDaS1K_S1L_EUlS1K_E_NS1_11comp_targetILNS1_3genE9ELNS1_11target_archE1100ELNS1_3gpuE3ELNS1_3repE0EEENS1_30default_config_static_selectorELNS0_4arch9wavefront6targetE0EEEvSY_.has_indirect_call, 0
	.section	.AMDGPU.csdata,"",@progbits
; Kernel info:
; codeLenInByte = 0
; TotalNumSgprs: 0
; NumVgprs: 0
; ScratchSize: 0
; MemoryBound: 0
; FloatMode: 240
; IeeeMode: 1
; LDSByteSize: 0 bytes/workgroup (compile time only)
; SGPRBlocks: 0
; VGPRBlocks: 0
; NumSGPRsForWavesPerEU: 1
; NumVGPRsForWavesPerEU: 1
; Occupancy: 16
; WaveLimiterHint : 0
; COMPUTE_PGM_RSRC2:SCRATCH_EN: 0
; COMPUTE_PGM_RSRC2:USER_SGPR: 2
; COMPUTE_PGM_RSRC2:TRAP_HANDLER: 0
; COMPUTE_PGM_RSRC2:TGID_X_EN: 1
; COMPUTE_PGM_RSRC2:TGID_Y_EN: 0
; COMPUTE_PGM_RSRC2:TGID_Z_EN: 0
; COMPUTE_PGM_RSRC2:TIDIG_COMP_CNT: 0
	.section	.text._ZN7rocprim17ROCPRIM_400000_NS6detail17trampoline_kernelINS0_13select_configILj256ELj13ELNS0_17block_load_methodE3ELS4_3ELS4_3ELNS0_20block_scan_algorithmE0ELj4294967295EEENS1_25partition_config_selectorILNS1_17partition_subalgoE3EjNS0_10empty_typeEbEEZZNS1_14partition_implILS8_3ELb0ES6_jNS0_17counting_iteratorIjlEEPS9_SE_NS0_5tupleIJPjSE_EEENSF_IJSE_SE_EEES9_SG_JZNS1_25segmented_radix_sort_implINS0_14default_configELb0EPKfPfPKlPlN2at6native12_GLOBAL__N_18offset_tEEE10hipError_tPvRmT1_PNSt15iterator_traitsISY_E10value_typeET2_T3_PNSZ_IS14_E10value_typeET4_jRbjT5_S1A_jjP12ihipStream_tbEUljE_EEESV_SW_SX_S14_S18_S1A_T6_T7_T9_mT8_S1C_bDpT10_ENKUlT_T0_E_clISt17integral_constantIbLb0EES1O_IbLb1EEEEDaS1K_S1L_EUlS1K_E_NS1_11comp_targetILNS1_3genE8ELNS1_11target_archE1030ELNS1_3gpuE2ELNS1_3repE0EEENS1_30default_config_static_selectorELNS0_4arch9wavefront6targetE0EEEvSY_,"axG",@progbits,_ZN7rocprim17ROCPRIM_400000_NS6detail17trampoline_kernelINS0_13select_configILj256ELj13ELNS0_17block_load_methodE3ELS4_3ELS4_3ELNS0_20block_scan_algorithmE0ELj4294967295EEENS1_25partition_config_selectorILNS1_17partition_subalgoE3EjNS0_10empty_typeEbEEZZNS1_14partition_implILS8_3ELb0ES6_jNS0_17counting_iteratorIjlEEPS9_SE_NS0_5tupleIJPjSE_EEENSF_IJSE_SE_EEES9_SG_JZNS1_25segmented_radix_sort_implINS0_14default_configELb0EPKfPfPKlPlN2at6native12_GLOBAL__N_18offset_tEEE10hipError_tPvRmT1_PNSt15iterator_traitsISY_E10value_typeET2_T3_PNSZ_IS14_E10value_typeET4_jRbjT5_S1A_jjP12ihipStream_tbEUljE_EEESV_SW_SX_S14_S18_S1A_T6_T7_T9_mT8_S1C_bDpT10_ENKUlT_T0_E_clISt17integral_constantIbLb0EES1O_IbLb1EEEEDaS1K_S1L_EUlS1K_E_NS1_11comp_targetILNS1_3genE8ELNS1_11target_archE1030ELNS1_3gpuE2ELNS1_3repE0EEENS1_30default_config_static_selectorELNS0_4arch9wavefront6targetE0EEEvSY_,comdat
	.globl	_ZN7rocprim17ROCPRIM_400000_NS6detail17trampoline_kernelINS0_13select_configILj256ELj13ELNS0_17block_load_methodE3ELS4_3ELS4_3ELNS0_20block_scan_algorithmE0ELj4294967295EEENS1_25partition_config_selectorILNS1_17partition_subalgoE3EjNS0_10empty_typeEbEEZZNS1_14partition_implILS8_3ELb0ES6_jNS0_17counting_iteratorIjlEEPS9_SE_NS0_5tupleIJPjSE_EEENSF_IJSE_SE_EEES9_SG_JZNS1_25segmented_radix_sort_implINS0_14default_configELb0EPKfPfPKlPlN2at6native12_GLOBAL__N_18offset_tEEE10hipError_tPvRmT1_PNSt15iterator_traitsISY_E10value_typeET2_T3_PNSZ_IS14_E10value_typeET4_jRbjT5_S1A_jjP12ihipStream_tbEUljE_EEESV_SW_SX_S14_S18_S1A_T6_T7_T9_mT8_S1C_bDpT10_ENKUlT_T0_E_clISt17integral_constantIbLb0EES1O_IbLb1EEEEDaS1K_S1L_EUlS1K_E_NS1_11comp_targetILNS1_3genE8ELNS1_11target_archE1030ELNS1_3gpuE2ELNS1_3repE0EEENS1_30default_config_static_selectorELNS0_4arch9wavefront6targetE0EEEvSY_ ; -- Begin function _ZN7rocprim17ROCPRIM_400000_NS6detail17trampoline_kernelINS0_13select_configILj256ELj13ELNS0_17block_load_methodE3ELS4_3ELS4_3ELNS0_20block_scan_algorithmE0ELj4294967295EEENS1_25partition_config_selectorILNS1_17partition_subalgoE3EjNS0_10empty_typeEbEEZZNS1_14partition_implILS8_3ELb0ES6_jNS0_17counting_iteratorIjlEEPS9_SE_NS0_5tupleIJPjSE_EEENSF_IJSE_SE_EEES9_SG_JZNS1_25segmented_radix_sort_implINS0_14default_configELb0EPKfPfPKlPlN2at6native12_GLOBAL__N_18offset_tEEE10hipError_tPvRmT1_PNSt15iterator_traitsISY_E10value_typeET2_T3_PNSZ_IS14_E10value_typeET4_jRbjT5_S1A_jjP12ihipStream_tbEUljE_EEESV_SW_SX_S14_S18_S1A_T6_T7_T9_mT8_S1C_bDpT10_ENKUlT_T0_E_clISt17integral_constantIbLb0EES1O_IbLb1EEEEDaS1K_S1L_EUlS1K_E_NS1_11comp_targetILNS1_3genE8ELNS1_11target_archE1030ELNS1_3gpuE2ELNS1_3repE0EEENS1_30default_config_static_selectorELNS0_4arch9wavefront6targetE0EEEvSY_
	.p2align	8
	.type	_ZN7rocprim17ROCPRIM_400000_NS6detail17trampoline_kernelINS0_13select_configILj256ELj13ELNS0_17block_load_methodE3ELS4_3ELS4_3ELNS0_20block_scan_algorithmE0ELj4294967295EEENS1_25partition_config_selectorILNS1_17partition_subalgoE3EjNS0_10empty_typeEbEEZZNS1_14partition_implILS8_3ELb0ES6_jNS0_17counting_iteratorIjlEEPS9_SE_NS0_5tupleIJPjSE_EEENSF_IJSE_SE_EEES9_SG_JZNS1_25segmented_radix_sort_implINS0_14default_configELb0EPKfPfPKlPlN2at6native12_GLOBAL__N_18offset_tEEE10hipError_tPvRmT1_PNSt15iterator_traitsISY_E10value_typeET2_T3_PNSZ_IS14_E10value_typeET4_jRbjT5_S1A_jjP12ihipStream_tbEUljE_EEESV_SW_SX_S14_S18_S1A_T6_T7_T9_mT8_S1C_bDpT10_ENKUlT_T0_E_clISt17integral_constantIbLb0EES1O_IbLb1EEEEDaS1K_S1L_EUlS1K_E_NS1_11comp_targetILNS1_3genE8ELNS1_11target_archE1030ELNS1_3gpuE2ELNS1_3repE0EEENS1_30default_config_static_selectorELNS0_4arch9wavefront6targetE0EEEvSY_,@function
_ZN7rocprim17ROCPRIM_400000_NS6detail17trampoline_kernelINS0_13select_configILj256ELj13ELNS0_17block_load_methodE3ELS4_3ELS4_3ELNS0_20block_scan_algorithmE0ELj4294967295EEENS1_25partition_config_selectorILNS1_17partition_subalgoE3EjNS0_10empty_typeEbEEZZNS1_14partition_implILS8_3ELb0ES6_jNS0_17counting_iteratorIjlEEPS9_SE_NS0_5tupleIJPjSE_EEENSF_IJSE_SE_EEES9_SG_JZNS1_25segmented_radix_sort_implINS0_14default_configELb0EPKfPfPKlPlN2at6native12_GLOBAL__N_18offset_tEEE10hipError_tPvRmT1_PNSt15iterator_traitsISY_E10value_typeET2_T3_PNSZ_IS14_E10value_typeET4_jRbjT5_S1A_jjP12ihipStream_tbEUljE_EEESV_SW_SX_S14_S18_S1A_T6_T7_T9_mT8_S1C_bDpT10_ENKUlT_T0_E_clISt17integral_constantIbLb0EES1O_IbLb1EEEEDaS1K_S1L_EUlS1K_E_NS1_11comp_targetILNS1_3genE8ELNS1_11target_archE1030ELNS1_3gpuE2ELNS1_3repE0EEENS1_30default_config_static_selectorELNS0_4arch9wavefront6targetE0EEEvSY_: ; @_ZN7rocprim17ROCPRIM_400000_NS6detail17trampoline_kernelINS0_13select_configILj256ELj13ELNS0_17block_load_methodE3ELS4_3ELS4_3ELNS0_20block_scan_algorithmE0ELj4294967295EEENS1_25partition_config_selectorILNS1_17partition_subalgoE3EjNS0_10empty_typeEbEEZZNS1_14partition_implILS8_3ELb0ES6_jNS0_17counting_iteratorIjlEEPS9_SE_NS0_5tupleIJPjSE_EEENSF_IJSE_SE_EEES9_SG_JZNS1_25segmented_radix_sort_implINS0_14default_configELb0EPKfPfPKlPlN2at6native12_GLOBAL__N_18offset_tEEE10hipError_tPvRmT1_PNSt15iterator_traitsISY_E10value_typeET2_T3_PNSZ_IS14_E10value_typeET4_jRbjT5_S1A_jjP12ihipStream_tbEUljE_EEESV_SW_SX_S14_S18_S1A_T6_T7_T9_mT8_S1C_bDpT10_ENKUlT_T0_E_clISt17integral_constantIbLb0EES1O_IbLb1EEEEDaS1K_S1L_EUlS1K_E_NS1_11comp_targetILNS1_3genE8ELNS1_11target_archE1030ELNS1_3gpuE2ELNS1_3repE0EEENS1_30default_config_static_selectorELNS0_4arch9wavefront6targetE0EEEvSY_
; %bb.0:
	.section	.rodata,"a",@progbits
	.p2align	6, 0x0
	.amdhsa_kernel _ZN7rocprim17ROCPRIM_400000_NS6detail17trampoline_kernelINS0_13select_configILj256ELj13ELNS0_17block_load_methodE3ELS4_3ELS4_3ELNS0_20block_scan_algorithmE0ELj4294967295EEENS1_25partition_config_selectorILNS1_17partition_subalgoE3EjNS0_10empty_typeEbEEZZNS1_14partition_implILS8_3ELb0ES6_jNS0_17counting_iteratorIjlEEPS9_SE_NS0_5tupleIJPjSE_EEENSF_IJSE_SE_EEES9_SG_JZNS1_25segmented_radix_sort_implINS0_14default_configELb0EPKfPfPKlPlN2at6native12_GLOBAL__N_18offset_tEEE10hipError_tPvRmT1_PNSt15iterator_traitsISY_E10value_typeET2_T3_PNSZ_IS14_E10value_typeET4_jRbjT5_S1A_jjP12ihipStream_tbEUljE_EEESV_SW_SX_S14_S18_S1A_T6_T7_T9_mT8_S1C_bDpT10_ENKUlT_T0_E_clISt17integral_constantIbLb0EES1O_IbLb1EEEEDaS1K_S1L_EUlS1K_E_NS1_11comp_targetILNS1_3genE8ELNS1_11target_archE1030ELNS1_3gpuE2ELNS1_3repE0EEENS1_30default_config_static_selectorELNS0_4arch9wavefront6targetE0EEEvSY_
		.amdhsa_group_segment_fixed_size 0
		.amdhsa_private_segment_fixed_size 0
		.amdhsa_kernarg_size 152
		.amdhsa_user_sgpr_count 2
		.amdhsa_user_sgpr_dispatch_ptr 0
		.amdhsa_user_sgpr_queue_ptr 0
		.amdhsa_user_sgpr_kernarg_segment_ptr 1
		.amdhsa_user_sgpr_dispatch_id 0
		.amdhsa_user_sgpr_private_segment_size 0
		.amdhsa_wavefront_size32 1
		.amdhsa_uses_dynamic_stack 0
		.amdhsa_enable_private_segment 0
		.amdhsa_system_sgpr_workgroup_id_x 1
		.amdhsa_system_sgpr_workgroup_id_y 0
		.amdhsa_system_sgpr_workgroup_id_z 0
		.amdhsa_system_sgpr_workgroup_info 0
		.amdhsa_system_vgpr_workitem_id 0
		.amdhsa_next_free_vgpr 1
		.amdhsa_next_free_sgpr 1
		.amdhsa_reserve_vcc 0
		.amdhsa_float_round_mode_32 0
		.amdhsa_float_round_mode_16_64 0
		.amdhsa_float_denorm_mode_32 3
		.amdhsa_float_denorm_mode_16_64 3
		.amdhsa_fp16_overflow 0
		.amdhsa_workgroup_processor_mode 1
		.amdhsa_memory_ordered 1
		.amdhsa_forward_progress 1
		.amdhsa_inst_pref_size 0
		.amdhsa_round_robin_scheduling 0
		.amdhsa_exception_fp_ieee_invalid_op 0
		.amdhsa_exception_fp_denorm_src 0
		.amdhsa_exception_fp_ieee_div_zero 0
		.amdhsa_exception_fp_ieee_overflow 0
		.amdhsa_exception_fp_ieee_underflow 0
		.amdhsa_exception_fp_ieee_inexact 0
		.amdhsa_exception_int_div_zero 0
	.end_amdhsa_kernel
	.section	.text._ZN7rocprim17ROCPRIM_400000_NS6detail17trampoline_kernelINS0_13select_configILj256ELj13ELNS0_17block_load_methodE3ELS4_3ELS4_3ELNS0_20block_scan_algorithmE0ELj4294967295EEENS1_25partition_config_selectorILNS1_17partition_subalgoE3EjNS0_10empty_typeEbEEZZNS1_14partition_implILS8_3ELb0ES6_jNS0_17counting_iteratorIjlEEPS9_SE_NS0_5tupleIJPjSE_EEENSF_IJSE_SE_EEES9_SG_JZNS1_25segmented_radix_sort_implINS0_14default_configELb0EPKfPfPKlPlN2at6native12_GLOBAL__N_18offset_tEEE10hipError_tPvRmT1_PNSt15iterator_traitsISY_E10value_typeET2_T3_PNSZ_IS14_E10value_typeET4_jRbjT5_S1A_jjP12ihipStream_tbEUljE_EEESV_SW_SX_S14_S18_S1A_T6_T7_T9_mT8_S1C_bDpT10_ENKUlT_T0_E_clISt17integral_constantIbLb0EES1O_IbLb1EEEEDaS1K_S1L_EUlS1K_E_NS1_11comp_targetILNS1_3genE8ELNS1_11target_archE1030ELNS1_3gpuE2ELNS1_3repE0EEENS1_30default_config_static_selectorELNS0_4arch9wavefront6targetE0EEEvSY_,"axG",@progbits,_ZN7rocprim17ROCPRIM_400000_NS6detail17trampoline_kernelINS0_13select_configILj256ELj13ELNS0_17block_load_methodE3ELS4_3ELS4_3ELNS0_20block_scan_algorithmE0ELj4294967295EEENS1_25partition_config_selectorILNS1_17partition_subalgoE3EjNS0_10empty_typeEbEEZZNS1_14partition_implILS8_3ELb0ES6_jNS0_17counting_iteratorIjlEEPS9_SE_NS0_5tupleIJPjSE_EEENSF_IJSE_SE_EEES9_SG_JZNS1_25segmented_radix_sort_implINS0_14default_configELb0EPKfPfPKlPlN2at6native12_GLOBAL__N_18offset_tEEE10hipError_tPvRmT1_PNSt15iterator_traitsISY_E10value_typeET2_T3_PNSZ_IS14_E10value_typeET4_jRbjT5_S1A_jjP12ihipStream_tbEUljE_EEESV_SW_SX_S14_S18_S1A_T6_T7_T9_mT8_S1C_bDpT10_ENKUlT_T0_E_clISt17integral_constantIbLb0EES1O_IbLb1EEEEDaS1K_S1L_EUlS1K_E_NS1_11comp_targetILNS1_3genE8ELNS1_11target_archE1030ELNS1_3gpuE2ELNS1_3repE0EEENS1_30default_config_static_selectorELNS0_4arch9wavefront6targetE0EEEvSY_,comdat
.Lfunc_end1427:
	.size	_ZN7rocprim17ROCPRIM_400000_NS6detail17trampoline_kernelINS0_13select_configILj256ELj13ELNS0_17block_load_methodE3ELS4_3ELS4_3ELNS0_20block_scan_algorithmE0ELj4294967295EEENS1_25partition_config_selectorILNS1_17partition_subalgoE3EjNS0_10empty_typeEbEEZZNS1_14partition_implILS8_3ELb0ES6_jNS0_17counting_iteratorIjlEEPS9_SE_NS0_5tupleIJPjSE_EEENSF_IJSE_SE_EEES9_SG_JZNS1_25segmented_radix_sort_implINS0_14default_configELb0EPKfPfPKlPlN2at6native12_GLOBAL__N_18offset_tEEE10hipError_tPvRmT1_PNSt15iterator_traitsISY_E10value_typeET2_T3_PNSZ_IS14_E10value_typeET4_jRbjT5_S1A_jjP12ihipStream_tbEUljE_EEESV_SW_SX_S14_S18_S1A_T6_T7_T9_mT8_S1C_bDpT10_ENKUlT_T0_E_clISt17integral_constantIbLb0EES1O_IbLb1EEEEDaS1K_S1L_EUlS1K_E_NS1_11comp_targetILNS1_3genE8ELNS1_11target_archE1030ELNS1_3gpuE2ELNS1_3repE0EEENS1_30default_config_static_selectorELNS0_4arch9wavefront6targetE0EEEvSY_, .Lfunc_end1427-_ZN7rocprim17ROCPRIM_400000_NS6detail17trampoline_kernelINS0_13select_configILj256ELj13ELNS0_17block_load_methodE3ELS4_3ELS4_3ELNS0_20block_scan_algorithmE0ELj4294967295EEENS1_25partition_config_selectorILNS1_17partition_subalgoE3EjNS0_10empty_typeEbEEZZNS1_14partition_implILS8_3ELb0ES6_jNS0_17counting_iteratorIjlEEPS9_SE_NS0_5tupleIJPjSE_EEENSF_IJSE_SE_EEES9_SG_JZNS1_25segmented_radix_sort_implINS0_14default_configELb0EPKfPfPKlPlN2at6native12_GLOBAL__N_18offset_tEEE10hipError_tPvRmT1_PNSt15iterator_traitsISY_E10value_typeET2_T3_PNSZ_IS14_E10value_typeET4_jRbjT5_S1A_jjP12ihipStream_tbEUljE_EEESV_SW_SX_S14_S18_S1A_T6_T7_T9_mT8_S1C_bDpT10_ENKUlT_T0_E_clISt17integral_constantIbLb0EES1O_IbLb1EEEEDaS1K_S1L_EUlS1K_E_NS1_11comp_targetILNS1_3genE8ELNS1_11target_archE1030ELNS1_3gpuE2ELNS1_3repE0EEENS1_30default_config_static_selectorELNS0_4arch9wavefront6targetE0EEEvSY_
                                        ; -- End function
	.set _ZN7rocprim17ROCPRIM_400000_NS6detail17trampoline_kernelINS0_13select_configILj256ELj13ELNS0_17block_load_methodE3ELS4_3ELS4_3ELNS0_20block_scan_algorithmE0ELj4294967295EEENS1_25partition_config_selectorILNS1_17partition_subalgoE3EjNS0_10empty_typeEbEEZZNS1_14partition_implILS8_3ELb0ES6_jNS0_17counting_iteratorIjlEEPS9_SE_NS0_5tupleIJPjSE_EEENSF_IJSE_SE_EEES9_SG_JZNS1_25segmented_radix_sort_implINS0_14default_configELb0EPKfPfPKlPlN2at6native12_GLOBAL__N_18offset_tEEE10hipError_tPvRmT1_PNSt15iterator_traitsISY_E10value_typeET2_T3_PNSZ_IS14_E10value_typeET4_jRbjT5_S1A_jjP12ihipStream_tbEUljE_EEESV_SW_SX_S14_S18_S1A_T6_T7_T9_mT8_S1C_bDpT10_ENKUlT_T0_E_clISt17integral_constantIbLb0EES1O_IbLb1EEEEDaS1K_S1L_EUlS1K_E_NS1_11comp_targetILNS1_3genE8ELNS1_11target_archE1030ELNS1_3gpuE2ELNS1_3repE0EEENS1_30default_config_static_selectorELNS0_4arch9wavefront6targetE0EEEvSY_.num_vgpr, 0
	.set _ZN7rocprim17ROCPRIM_400000_NS6detail17trampoline_kernelINS0_13select_configILj256ELj13ELNS0_17block_load_methodE3ELS4_3ELS4_3ELNS0_20block_scan_algorithmE0ELj4294967295EEENS1_25partition_config_selectorILNS1_17partition_subalgoE3EjNS0_10empty_typeEbEEZZNS1_14partition_implILS8_3ELb0ES6_jNS0_17counting_iteratorIjlEEPS9_SE_NS0_5tupleIJPjSE_EEENSF_IJSE_SE_EEES9_SG_JZNS1_25segmented_radix_sort_implINS0_14default_configELb0EPKfPfPKlPlN2at6native12_GLOBAL__N_18offset_tEEE10hipError_tPvRmT1_PNSt15iterator_traitsISY_E10value_typeET2_T3_PNSZ_IS14_E10value_typeET4_jRbjT5_S1A_jjP12ihipStream_tbEUljE_EEESV_SW_SX_S14_S18_S1A_T6_T7_T9_mT8_S1C_bDpT10_ENKUlT_T0_E_clISt17integral_constantIbLb0EES1O_IbLb1EEEEDaS1K_S1L_EUlS1K_E_NS1_11comp_targetILNS1_3genE8ELNS1_11target_archE1030ELNS1_3gpuE2ELNS1_3repE0EEENS1_30default_config_static_selectorELNS0_4arch9wavefront6targetE0EEEvSY_.num_agpr, 0
	.set _ZN7rocprim17ROCPRIM_400000_NS6detail17trampoline_kernelINS0_13select_configILj256ELj13ELNS0_17block_load_methodE3ELS4_3ELS4_3ELNS0_20block_scan_algorithmE0ELj4294967295EEENS1_25partition_config_selectorILNS1_17partition_subalgoE3EjNS0_10empty_typeEbEEZZNS1_14partition_implILS8_3ELb0ES6_jNS0_17counting_iteratorIjlEEPS9_SE_NS0_5tupleIJPjSE_EEENSF_IJSE_SE_EEES9_SG_JZNS1_25segmented_radix_sort_implINS0_14default_configELb0EPKfPfPKlPlN2at6native12_GLOBAL__N_18offset_tEEE10hipError_tPvRmT1_PNSt15iterator_traitsISY_E10value_typeET2_T3_PNSZ_IS14_E10value_typeET4_jRbjT5_S1A_jjP12ihipStream_tbEUljE_EEESV_SW_SX_S14_S18_S1A_T6_T7_T9_mT8_S1C_bDpT10_ENKUlT_T0_E_clISt17integral_constantIbLb0EES1O_IbLb1EEEEDaS1K_S1L_EUlS1K_E_NS1_11comp_targetILNS1_3genE8ELNS1_11target_archE1030ELNS1_3gpuE2ELNS1_3repE0EEENS1_30default_config_static_selectorELNS0_4arch9wavefront6targetE0EEEvSY_.numbered_sgpr, 0
	.set _ZN7rocprim17ROCPRIM_400000_NS6detail17trampoline_kernelINS0_13select_configILj256ELj13ELNS0_17block_load_methodE3ELS4_3ELS4_3ELNS0_20block_scan_algorithmE0ELj4294967295EEENS1_25partition_config_selectorILNS1_17partition_subalgoE3EjNS0_10empty_typeEbEEZZNS1_14partition_implILS8_3ELb0ES6_jNS0_17counting_iteratorIjlEEPS9_SE_NS0_5tupleIJPjSE_EEENSF_IJSE_SE_EEES9_SG_JZNS1_25segmented_radix_sort_implINS0_14default_configELb0EPKfPfPKlPlN2at6native12_GLOBAL__N_18offset_tEEE10hipError_tPvRmT1_PNSt15iterator_traitsISY_E10value_typeET2_T3_PNSZ_IS14_E10value_typeET4_jRbjT5_S1A_jjP12ihipStream_tbEUljE_EEESV_SW_SX_S14_S18_S1A_T6_T7_T9_mT8_S1C_bDpT10_ENKUlT_T0_E_clISt17integral_constantIbLb0EES1O_IbLb1EEEEDaS1K_S1L_EUlS1K_E_NS1_11comp_targetILNS1_3genE8ELNS1_11target_archE1030ELNS1_3gpuE2ELNS1_3repE0EEENS1_30default_config_static_selectorELNS0_4arch9wavefront6targetE0EEEvSY_.num_named_barrier, 0
	.set _ZN7rocprim17ROCPRIM_400000_NS6detail17trampoline_kernelINS0_13select_configILj256ELj13ELNS0_17block_load_methodE3ELS4_3ELS4_3ELNS0_20block_scan_algorithmE0ELj4294967295EEENS1_25partition_config_selectorILNS1_17partition_subalgoE3EjNS0_10empty_typeEbEEZZNS1_14partition_implILS8_3ELb0ES6_jNS0_17counting_iteratorIjlEEPS9_SE_NS0_5tupleIJPjSE_EEENSF_IJSE_SE_EEES9_SG_JZNS1_25segmented_radix_sort_implINS0_14default_configELb0EPKfPfPKlPlN2at6native12_GLOBAL__N_18offset_tEEE10hipError_tPvRmT1_PNSt15iterator_traitsISY_E10value_typeET2_T3_PNSZ_IS14_E10value_typeET4_jRbjT5_S1A_jjP12ihipStream_tbEUljE_EEESV_SW_SX_S14_S18_S1A_T6_T7_T9_mT8_S1C_bDpT10_ENKUlT_T0_E_clISt17integral_constantIbLb0EES1O_IbLb1EEEEDaS1K_S1L_EUlS1K_E_NS1_11comp_targetILNS1_3genE8ELNS1_11target_archE1030ELNS1_3gpuE2ELNS1_3repE0EEENS1_30default_config_static_selectorELNS0_4arch9wavefront6targetE0EEEvSY_.private_seg_size, 0
	.set _ZN7rocprim17ROCPRIM_400000_NS6detail17trampoline_kernelINS0_13select_configILj256ELj13ELNS0_17block_load_methodE3ELS4_3ELS4_3ELNS0_20block_scan_algorithmE0ELj4294967295EEENS1_25partition_config_selectorILNS1_17partition_subalgoE3EjNS0_10empty_typeEbEEZZNS1_14partition_implILS8_3ELb0ES6_jNS0_17counting_iteratorIjlEEPS9_SE_NS0_5tupleIJPjSE_EEENSF_IJSE_SE_EEES9_SG_JZNS1_25segmented_radix_sort_implINS0_14default_configELb0EPKfPfPKlPlN2at6native12_GLOBAL__N_18offset_tEEE10hipError_tPvRmT1_PNSt15iterator_traitsISY_E10value_typeET2_T3_PNSZ_IS14_E10value_typeET4_jRbjT5_S1A_jjP12ihipStream_tbEUljE_EEESV_SW_SX_S14_S18_S1A_T6_T7_T9_mT8_S1C_bDpT10_ENKUlT_T0_E_clISt17integral_constantIbLb0EES1O_IbLb1EEEEDaS1K_S1L_EUlS1K_E_NS1_11comp_targetILNS1_3genE8ELNS1_11target_archE1030ELNS1_3gpuE2ELNS1_3repE0EEENS1_30default_config_static_selectorELNS0_4arch9wavefront6targetE0EEEvSY_.uses_vcc, 0
	.set _ZN7rocprim17ROCPRIM_400000_NS6detail17trampoline_kernelINS0_13select_configILj256ELj13ELNS0_17block_load_methodE3ELS4_3ELS4_3ELNS0_20block_scan_algorithmE0ELj4294967295EEENS1_25partition_config_selectorILNS1_17partition_subalgoE3EjNS0_10empty_typeEbEEZZNS1_14partition_implILS8_3ELb0ES6_jNS0_17counting_iteratorIjlEEPS9_SE_NS0_5tupleIJPjSE_EEENSF_IJSE_SE_EEES9_SG_JZNS1_25segmented_radix_sort_implINS0_14default_configELb0EPKfPfPKlPlN2at6native12_GLOBAL__N_18offset_tEEE10hipError_tPvRmT1_PNSt15iterator_traitsISY_E10value_typeET2_T3_PNSZ_IS14_E10value_typeET4_jRbjT5_S1A_jjP12ihipStream_tbEUljE_EEESV_SW_SX_S14_S18_S1A_T6_T7_T9_mT8_S1C_bDpT10_ENKUlT_T0_E_clISt17integral_constantIbLb0EES1O_IbLb1EEEEDaS1K_S1L_EUlS1K_E_NS1_11comp_targetILNS1_3genE8ELNS1_11target_archE1030ELNS1_3gpuE2ELNS1_3repE0EEENS1_30default_config_static_selectorELNS0_4arch9wavefront6targetE0EEEvSY_.uses_flat_scratch, 0
	.set _ZN7rocprim17ROCPRIM_400000_NS6detail17trampoline_kernelINS0_13select_configILj256ELj13ELNS0_17block_load_methodE3ELS4_3ELS4_3ELNS0_20block_scan_algorithmE0ELj4294967295EEENS1_25partition_config_selectorILNS1_17partition_subalgoE3EjNS0_10empty_typeEbEEZZNS1_14partition_implILS8_3ELb0ES6_jNS0_17counting_iteratorIjlEEPS9_SE_NS0_5tupleIJPjSE_EEENSF_IJSE_SE_EEES9_SG_JZNS1_25segmented_radix_sort_implINS0_14default_configELb0EPKfPfPKlPlN2at6native12_GLOBAL__N_18offset_tEEE10hipError_tPvRmT1_PNSt15iterator_traitsISY_E10value_typeET2_T3_PNSZ_IS14_E10value_typeET4_jRbjT5_S1A_jjP12ihipStream_tbEUljE_EEESV_SW_SX_S14_S18_S1A_T6_T7_T9_mT8_S1C_bDpT10_ENKUlT_T0_E_clISt17integral_constantIbLb0EES1O_IbLb1EEEEDaS1K_S1L_EUlS1K_E_NS1_11comp_targetILNS1_3genE8ELNS1_11target_archE1030ELNS1_3gpuE2ELNS1_3repE0EEENS1_30default_config_static_selectorELNS0_4arch9wavefront6targetE0EEEvSY_.has_dyn_sized_stack, 0
	.set _ZN7rocprim17ROCPRIM_400000_NS6detail17trampoline_kernelINS0_13select_configILj256ELj13ELNS0_17block_load_methodE3ELS4_3ELS4_3ELNS0_20block_scan_algorithmE0ELj4294967295EEENS1_25partition_config_selectorILNS1_17partition_subalgoE3EjNS0_10empty_typeEbEEZZNS1_14partition_implILS8_3ELb0ES6_jNS0_17counting_iteratorIjlEEPS9_SE_NS0_5tupleIJPjSE_EEENSF_IJSE_SE_EEES9_SG_JZNS1_25segmented_radix_sort_implINS0_14default_configELb0EPKfPfPKlPlN2at6native12_GLOBAL__N_18offset_tEEE10hipError_tPvRmT1_PNSt15iterator_traitsISY_E10value_typeET2_T3_PNSZ_IS14_E10value_typeET4_jRbjT5_S1A_jjP12ihipStream_tbEUljE_EEESV_SW_SX_S14_S18_S1A_T6_T7_T9_mT8_S1C_bDpT10_ENKUlT_T0_E_clISt17integral_constantIbLb0EES1O_IbLb1EEEEDaS1K_S1L_EUlS1K_E_NS1_11comp_targetILNS1_3genE8ELNS1_11target_archE1030ELNS1_3gpuE2ELNS1_3repE0EEENS1_30default_config_static_selectorELNS0_4arch9wavefront6targetE0EEEvSY_.has_recursion, 0
	.set _ZN7rocprim17ROCPRIM_400000_NS6detail17trampoline_kernelINS0_13select_configILj256ELj13ELNS0_17block_load_methodE3ELS4_3ELS4_3ELNS0_20block_scan_algorithmE0ELj4294967295EEENS1_25partition_config_selectorILNS1_17partition_subalgoE3EjNS0_10empty_typeEbEEZZNS1_14partition_implILS8_3ELb0ES6_jNS0_17counting_iteratorIjlEEPS9_SE_NS0_5tupleIJPjSE_EEENSF_IJSE_SE_EEES9_SG_JZNS1_25segmented_radix_sort_implINS0_14default_configELb0EPKfPfPKlPlN2at6native12_GLOBAL__N_18offset_tEEE10hipError_tPvRmT1_PNSt15iterator_traitsISY_E10value_typeET2_T3_PNSZ_IS14_E10value_typeET4_jRbjT5_S1A_jjP12ihipStream_tbEUljE_EEESV_SW_SX_S14_S18_S1A_T6_T7_T9_mT8_S1C_bDpT10_ENKUlT_T0_E_clISt17integral_constantIbLb0EES1O_IbLb1EEEEDaS1K_S1L_EUlS1K_E_NS1_11comp_targetILNS1_3genE8ELNS1_11target_archE1030ELNS1_3gpuE2ELNS1_3repE0EEENS1_30default_config_static_selectorELNS0_4arch9wavefront6targetE0EEEvSY_.has_indirect_call, 0
	.section	.AMDGPU.csdata,"",@progbits
; Kernel info:
; codeLenInByte = 0
; TotalNumSgprs: 0
; NumVgprs: 0
; ScratchSize: 0
; MemoryBound: 0
; FloatMode: 240
; IeeeMode: 1
; LDSByteSize: 0 bytes/workgroup (compile time only)
; SGPRBlocks: 0
; VGPRBlocks: 0
; NumSGPRsForWavesPerEU: 1
; NumVGPRsForWavesPerEU: 1
; Occupancy: 16
; WaveLimiterHint : 0
; COMPUTE_PGM_RSRC2:SCRATCH_EN: 0
; COMPUTE_PGM_RSRC2:USER_SGPR: 2
; COMPUTE_PGM_RSRC2:TRAP_HANDLER: 0
; COMPUTE_PGM_RSRC2:TGID_X_EN: 1
; COMPUTE_PGM_RSRC2:TGID_Y_EN: 0
; COMPUTE_PGM_RSRC2:TGID_Z_EN: 0
; COMPUTE_PGM_RSRC2:TIDIG_COMP_CNT: 0
	.section	.text._ZN7rocprim17ROCPRIM_400000_NS6detail17trampoline_kernelINS0_14default_configENS1_36segmented_radix_sort_config_selectorIflEEZNS1_25segmented_radix_sort_implIS3_Lb0EPKfPfPKlPlN2at6native12_GLOBAL__N_18offset_tEEE10hipError_tPvRmT1_PNSt15iterator_traitsISK_E10value_typeET2_T3_PNSL_ISQ_E10value_typeET4_jRbjT5_SW_jjP12ihipStream_tbEUlT_E_NS1_11comp_targetILNS1_3genE0ELNS1_11target_archE4294967295ELNS1_3gpuE0ELNS1_3repE0EEENS1_30default_config_static_selectorELNS0_4arch9wavefront6targetE0EEEvSK_,"axG",@progbits,_ZN7rocprim17ROCPRIM_400000_NS6detail17trampoline_kernelINS0_14default_configENS1_36segmented_radix_sort_config_selectorIflEEZNS1_25segmented_radix_sort_implIS3_Lb0EPKfPfPKlPlN2at6native12_GLOBAL__N_18offset_tEEE10hipError_tPvRmT1_PNSt15iterator_traitsISK_E10value_typeET2_T3_PNSL_ISQ_E10value_typeET4_jRbjT5_SW_jjP12ihipStream_tbEUlT_E_NS1_11comp_targetILNS1_3genE0ELNS1_11target_archE4294967295ELNS1_3gpuE0ELNS1_3repE0EEENS1_30default_config_static_selectorELNS0_4arch9wavefront6targetE0EEEvSK_,comdat
	.globl	_ZN7rocprim17ROCPRIM_400000_NS6detail17trampoline_kernelINS0_14default_configENS1_36segmented_radix_sort_config_selectorIflEEZNS1_25segmented_radix_sort_implIS3_Lb0EPKfPfPKlPlN2at6native12_GLOBAL__N_18offset_tEEE10hipError_tPvRmT1_PNSt15iterator_traitsISK_E10value_typeET2_T3_PNSL_ISQ_E10value_typeET4_jRbjT5_SW_jjP12ihipStream_tbEUlT_E_NS1_11comp_targetILNS1_3genE0ELNS1_11target_archE4294967295ELNS1_3gpuE0ELNS1_3repE0EEENS1_30default_config_static_selectorELNS0_4arch9wavefront6targetE0EEEvSK_ ; -- Begin function _ZN7rocprim17ROCPRIM_400000_NS6detail17trampoline_kernelINS0_14default_configENS1_36segmented_radix_sort_config_selectorIflEEZNS1_25segmented_radix_sort_implIS3_Lb0EPKfPfPKlPlN2at6native12_GLOBAL__N_18offset_tEEE10hipError_tPvRmT1_PNSt15iterator_traitsISK_E10value_typeET2_T3_PNSL_ISQ_E10value_typeET4_jRbjT5_SW_jjP12ihipStream_tbEUlT_E_NS1_11comp_targetILNS1_3genE0ELNS1_11target_archE4294967295ELNS1_3gpuE0ELNS1_3repE0EEENS1_30default_config_static_selectorELNS0_4arch9wavefront6targetE0EEEvSK_
	.p2align	8
	.type	_ZN7rocprim17ROCPRIM_400000_NS6detail17trampoline_kernelINS0_14default_configENS1_36segmented_radix_sort_config_selectorIflEEZNS1_25segmented_radix_sort_implIS3_Lb0EPKfPfPKlPlN2at6native12_GLOBAL__N_18offset_tEEE10hipError_tPvRmT1_PNSt15iterator_traitsISK_E10value_typeET2_T3_PNSL_ISQ_E10value_typeET4_jRbjT5_SW_jjP12ihipStream_tbEUlT_E_NS1_11comp_targetILNS1_3genE0ELNS1_11target_archE4294967295ELNS1_3gpuE0ELNS1_3repE0EEENS1_30default_config_static_selectorELNS0_4arch9wavefront6targetE0EEEvSK_,@function
_ZN7rocprim17ROCPRIM_400000_NS6detail17trampoline_kernelINS0_14default_configENS1_36segmented_radix_sort_config_selectorIflEEZNS1_25segmented_radix_sort_implIS3_Lb0EPKfPfPKlPlN2at6native12_GLOBAL__N_18offset_tEEE10hipError_tPvRmT1_PNSt15iterator_traitsISK_E10value_typeET2_T3_PNSL_ISQ_E10value_typeET4_jRbjT5_SW_jjP12ihipStream_tbEUlT_E_NS1_11comp_targetILNS1_3genE0ELNS1_11target_archE4294967295ELNS1_3gpuE0ELNS1_3repE0EEENS1_30default_config_static_selectorELNS0_4arch9wavefront6targetE0EEEvSK_: ; @_ZN7rocprim17ROCPRIM_400000_NS6detail17trampoline_kernelINS0_14default_configENS1_36segmented_radix_sort_config_selectorIflEEZNS1_25segmented_radix_sort_implIS3_Lb0EPKfPfPKlPlN2at6native12_GLOBAL__N_18offset_tEEE10hipError_tPvRmT1_PNSt15iterator_traitsISK_E10value_typeET2_T3_PNSL_ISQ_E10value_typeET4_jRbjT5_SW_jjP12ihipStream_tbEUlT_E_NS1_11comp_targetILNS1_3genE0ELNS1_11target_archE4294967295ELNS1_3gpuE0ELNS1_3repE0EEENS1_30default_config_static_selectorELNS0_4arch9wavefront6targetE0EEEvSK_
; %bb.0:
	.section	.rodata,"a",@progbits
	.p2align	6, 0x0
	.amdhsa_kernel _ZN7rocprim17ROCPRIM_400000_NS6detail17trampoline_kernelINS0_14default_configENS1_36segmented_radix_sort_config_selectorIflEEZNS1_25segmented_radix_sort_implIS3_Lb0EPKfPfPKlPlN2at6native12_GLOBAL__N_18offset_tEEE10hipError_tPvRmT1_PNSt15iterator_traitsISK_E10value_typeET2_T3_PNSL_ISQ_E10value_typeET4_jRbjT5_SW_jjP12ihipStream_tbEUlT_E_NS1_11comp_targetILNS1_3genE0ELNS1_11target_archE4294967295ELNS1_3gpuE0ELNS1_3repE0EEENS1_30default_config_static_selectorELNS0_4arch9wavefront6targetE0EEEvSK_
		.amdhsa_group_segment_fixed_size 0
		.amdhsa_private_segment_fixed_size 0
		.amdhsa_kernarg_size 96
		.amdhsa_user_sgpr_count 2
		.amdhsa_user_sgpr_dispatch_ptr 0
		.amdhsa_user_sgpr_queue_ptr 0
		.amdhsa_user_sgpr_kernarg_segment_ptr 1
		.amdhsa_user_sgpr_dispatch_id 0
		.amdhsa_user_sgpr_private_segment_size 0
		.amdhsa_wavefront_size32 1
		.amdhsa_uses_dynamic_stack 0
		.amdhsa_enable_private_segment 0
		.amdhsa_system_sgpr_workgroup_id_x 1
		.amdhsa_system_sgpr_workgroup_id_y 0
		.amdhsa_system_sgpr_workgroup_id_z 0
		.amdhsa_system_sgpr_workgroup_info 0
		.amdhsa_system_vgpr_workitem_id 0
		.amdhsa_next_free_vgpr 1
		.amdhsa_next_free_sgpr 1
		.amdhsa_reserve_vcc 0
		.amdhsa_float_round_mode_32 0
		.amdhsa_float_round_mode_16_64 0
		.amdhsa_float_denorm_mode_32 3
		.amdhsa_float_denorm_mode_16_64 3
		.amdhsa_fp16_overflow 0
		.amdhsa_workgroup_processor_mode 1
		.amdhsa_memory_ordered 1
		.amdhsa_forward_progress 1
		.amdhsa_inst_pref_size 0
		.amdhsa_round_robin_scheduling 0
		.amdhsa_exception_fp_ieee_invalid_op 0
		.amdhsa_exception_fp_denorm_src 0
		.amdhsa_exception_fp_ieee_div_zero 0
		.amdhsa_exception_fp_ieee_overflow 0
		.amdhsa_exception_fp_ieee_underflow 0
		.amdhsa_exception_fp_ieee_inexact 0
		.amdhsa_exception_int_div_zero 0
	.end_amdhsa_kernel
	.section	.text._ZN7rocprim17ROCPRIM_400000_NS6detail17trampoline_kernelINS0_14default_configENS1_36segmented_radix_sort_config_selectorIflEEZNS1_25segmented_radix_sort_implIS3_Lb0EPKfPfPKlPlN2at6native12_GLOBAL__N_18offset_tEEE10hipError_tPvRmT1_PNSt15iterator_traitsISK_E10value_typeET2_T3_PNSL_ISQ_E10value_typeET4_jRbjT5_SW_jjP12ihipStream_tbEUlT_E_NS1_11comp_targetILNS1_3genE0ELNS1_11target_archE4294967295ELNS1_3gpuE0ELNS1_3repE0EEENS1_30default_config_static_selectorELNS0_4arch9wavefront6targetE0EEEvSK_,"axG",@progbits,_ZN7rocprim17ROCPRIM_400000_NS6detail17trampoline_kernelINS0_14default_configENS1_36segmented_radix_sort_config_selectorIflEEZNS1_25segmented_radix_sort_implIS3_Lb0EPKfPfPKlPlN2at6native12_GLOBAL__N_18offset_tEEE10hipError_tPvRmT1_PNSt15iterator_traitsISK_E10value_typeET2_T3_PNSL_ISQ_E10value_typeET4_jRbjT5_SW_jjP12ihipStream_tbEUlT_E_NS1_11comp_targetILNS1_3genE0ELNS1_11target_archE4294967295ELNS1_3gpuE0ELNS1_3repE0EEENS1_30default_config_static_selectorELNS0_4arch9wavefront6targetE0EEEvSK_,comdat
.Lfunc_end1428:
	.size	_ZN7rocprim17ROCPRIM_400000_NS6detail17trampoline_kernelINS0_14default_configENS1_36segmented_radix_sort_config_selectorIflEEZNS1_25segmented_radix_sort_implIS3_Lb0EPKfPfPKlPlN2at6native12_GLOBAL__N_18offset_tEEE10hipError_tPvRmT1_PNSt15iterator_traitsISK_E10value_typeET2_T3_PNSL_ISQ_E10value_typeET4_jRbjT5_SW_jjP12ihipStream_tbEUlT_E_NS1_11comp_targetILNS1_3genE0ELNS1_11target_archE4294967295ELNS1_3gpuE0ELNS1_3repE0EEENS1_30default_config_static_selectorELNS0_4arch9wavefront6targetE0EEEvSK_, .Lfunc_end1428-_ZN7rocprim17ROCPRIM_400000_NS6detail17trampoline_kernelINS0_14default_configENS1_36segmented_radix_sort_config_selectorIflEEZNS1_25segmented_radix_sort_implIS3_Lb0EPKfPfPKlPlN2at6native12_GLOBAL__N_18offset_tEEE10hipError_tPvRmT1_PNSt15iterator_traitsISK_E10value_typeET2_T3_PNSL_ISQ_E10value_typeET4_jRbjT5_SW_jjP12ihipStream_tbEUlT_E_NS1_11comp_targetILNS1_3genE0ELNS1_11target_archE4294967295ELNS1_3gpuE0ELNS1_3repE0EEENS1_30default_config_static_selectorELNS0_4arch9wavefront6targetE0EEEvSK_
                                        ; -- End function
	.set _ZN7rocprim17ROCPRIM_400000_NS6detail17trampoline_kernelINS0_14default_configENS1_36segmented_radix_sort_config_selectorIflEEZNS1_25segmented_radix_sort_implIS3_Lb0EPKfPfPKlPlN2at6native12_GLOBAL__N_18offset_tEEE10hipError_tPvRmT1_PNSt15iterator_traitsISK_E10value_typeET2_T3_PNSL_ISQ_E10value_typeET4_jRbjT5_SW_jjP12ihipStream_tbEUlT_E_NS1_11comp_targetILNS1_3genE0ELNS1_11target_archE4294967295ELNS1_3gpuE0ELNS1_3repE0EEENS1_30default_config_static_selectorELNS0_4arch9wavefront6targetE0EEEvSK_.num_vgpr, 0
	.set _ZN7rocprim17ROCPRIM_400000_NS6detail17trampoline_kernelINS0_14default_configENS1_36segmented_radix_sort_config_selectorIflEEZNS1_25segmented_radix_sort_implIS3_Lb0EPKfPfPKlPlN2at6native12_GLOBAL__N_18offset_tEEE10hipError_tPvRmT1_PNSt15iterator_traitsISK_E10value_typeET2_T3_PNSL_ISQ_E10value_typeET4_jRbjT5_SW_jjP12ihipStream_tbEUlT_E_NS1_11comp_targetILNS1_3genE0ELNS1_11target_archE4294967295ELNS1_3gpuE0ELNS1_3repE0EEENS1_30default_config_static_selectorELNS0_4arch9wavefront6targetE0EEEvSK_.num_agpr, 0
	.set _ZN7rocprim17ROCPRIM_400000_NS6detail17trampoline_kernelINS0_14default_configENS1_36segmented_radix_sort_config_selectorIflEEZNS1_25segmented_radix_sort_implIS3_Lb0EPKfPfPKlPlN2at6native12_GLOBAL__N_18offset_tEEE10hipError_tPvRmT1_PNSt15iterator_traitsISK_E10value_typeET2_T3_PNSL_ISQ_E10value_typeET4_jRbjT5_SW_jjP12ihipStream_tbEUlT_E_NS1_11comp_targetILNS1_3genE0ELNS1_11target_archE4294967295ELNS1_3gpuE0ELNS1_3repE0EEENS1_30default_config_static_selectorELNS0_4arch9wavefront6targetE0EEEvSK_.numbered_sgpr, 0
	.set _ZN7rocprim17ROCPRIM_400000_NS6detail17trampoline_kernelINS0_14default_configENS1_36segmented_radix_sort_config_selectorIflEEZNS1_25segmented_radix_sort_implIS3_Lb0EPKfPfPKlPlN2at6native12_GLOBAL__N_18offset_tEEE10hipError_tPvRmT1_PNSt15iterator_traitsISK_E10value_typeET2_T3_PNSL_ISQ_E10value_typeET4_jRbjT5_SW_jjP12ihipStream_tbEUlT_E_NS1_11comp_targetILNS1_3genE0ELNS1_11target_archE4294967295ELNS1_3gpuE0ELNS1_3repE0EEENS1_30default_config_static_selectorELNS0_4arch9wavefront6targetE0EEEvSK_.num_named_barrier, 0
	.set _ZN7rocprim17ROCPRIM_400000_NS6detail17trampoline_kernelINS0_14default_configENS1_36segmented_radix_sort_config_selectorIflEEZNS1_25segmented_radix_sort_implIS3_Lb0EPKfPfPKlPlN2at6native12_GLOBAL__N_18offset_tEEE10hipError_tPvRmT1_PNSt15iterator_traitsISK_E10value_typeET2_T3_PNSL_ISQ_E10value_typeET4_jRbjT5_SW_jjP12ihipStream_tbEUlT_E_NS1_11comp_targetILNS1_3genE0ELNS1_11target_archE4294967295ELNS1_3gpuE0ELNS1_3repE0EEENS1_30default_config_static_selectorELNS0_4arch9wavefront6targetE0EEEvSK_.private_seg_size, 0
	.set _ZN7rocprim17ROCPRIM_400000_NS6detail17trampoline_kernelINS0_14default_configENS1_36segmented_radix_sort_config_selectorIflEEZNS1_25segmented_radix_sort_implIS3_Lb0EPKfPfPKlPlN2at6native12_GLOBAL__N_18offset_tEEE10hipError_tPvRmT1_PNSt15iterator_traitsISK_E10value_typeET2_T3_PNSL_ISQ_E10value_typeET4_jRbjT5_SW_jjP12ihipStream_tbEUlT_E_NS1_11comp_targetILNS1_3genE0ELNS1_11target_archE4294967295ELNS1_3gpuE0ELNS1_3repE0EEENS1_30default_config_static_selectorELNS0_4arch9wavefront6targetE0EEEvSK_.uses_vcc, 0
	.set _ZN7rocprim17ROCPRIM_400000_NS6detail17trampoline_kernelINS0_14default_configENS1_36segmented_radix_sort_config_selectorIflEEZNS1_25segmented_radix_sort_implIS3_Lb0EPKfPfPKlPlN2at6native12_GLOBAL__N_18offset_tEEE10hipError_tPvRmT1_PNSt15iterator_traitsISK_E10value_typeET2_T3_PNSL_ISQ_E10value_typeET4_jRbjT5_SW_jjP12ihipStream_tbEUlT_E_NS1_11comp_targetILNS1_3genE0ELNS1_11target_archE4294967295ELNS1_3gpuE0ELNS1_3repE0EEENS1_30default_config_static_selectorELNS0_4arch9wavefront6targetE0EEEvSK_.uses_flat_scratch, 0
	.set _ZN7rocprim17ROCPRIM_400000_NS6detail17trampoline_kernelINS0_14default_configENS1_36segmented_radix_sort_config_selectorIflEEZNS1_25segmented_radix_sort_implIS3_Lb0EPKfPfPKlPlN2at6native12_GLOBAL__N_18offset_tEEE10hipError_tPvRmT1_PNSt15iterator_traitsISK_E10value_typeET2_T3_PNSL_ISQ_E10value_typeET4_jRbjT5_SW_jjP12ihipStream_tbEUlT_E_NS1_11comp_targetILNS1_3genE0ELNS1_11target_archE4294967295ELNS1_3gpuE0ELNS1_3repE0EEENS1_30default_config_static_selectorELNS0_4arch9wavefront6targetE0EEEvSK_.has_dyn_sized_stack, 0
	.set _ZN7rocprim17ROCPRIM_400000_NS6detail17trampoline_kernelINS0_14default_configENS1_36segmented_radix_sort_config_selectorIflEEZNS1_25segmented_radix_sort_implIS3_Lb0EPKfPfPKlPlN2at6native12_GLOBAL__N_18offset_tEEE10hipError_tPvRmT1_PNSt15iterator_traitsISK_E10value_typeET2_T3_PNSL_ISQ_E10value_typeET4_jRbjT5_SW_jjP12ihipStream_tbEUlT_E_NS1_11comp_targetILNS1_3genE0ELNS1_11target_archE4294967295ELNS1_3gpuE0ELNS1_3repE0EEENS1_30default_config_static_selectorELNS0_4arch9wavefront6targetE0EEEvSK_.has_recursion, 0
	.set _ZN7rocprim17ROCPRIM_400000_NS6detail17trampoline_kernelINS0_14default_configENS1_36segmented_radix_sort_config_selectorIflEEZNS1_25segmented_radix_sort_implIS3_Lb0EPKfPfPKlPlN2at6native12_GLOBAL__N_18offset_tEEE10hipError_tPvRmT1_PNSt15iterator_traitsISK_E10value_typeET2_T3_PNSL_ISQ_E10value_typeET4_jRbjT5_SW_jjP12ihipStream_tbEUlT_E_NS1_11comp_targetILNS1_3genE0ELNS1_11target_archE4294967295ELNS1_3gpuE0ELNS1_3repE0EEENS1_30default_config_static_selectorELNS0_4arch9wavefront6targetE0EEEvSK_.has_indirect_call, 0
	.section	.AMDGPU.csdata,"",@progbits
; Kernel info:
; codeLenInByte = 0
; TotalNumSgprs: 0
; NumVgprs: 0
; ScratchSize: 0
; MemoryBound: 0
; FloatMode: 240
; IeeeMode: 1
; LDSByteSize: 0 bytes/workgroup (compile time only)
; SGPRBlocks: 0
; VGPRBlocks: 0
; NumSGPRsForWavesPerEU: 1
; NumVGPRsForWavesPerEU: 1
; Occupancy: 16
; WaveLimiterHint : 0
; COMPUTE_PGM_RSRC2:SCRATCH_EN: 0
; COMPUTE_PGM_RSRC2:USER_SGPR: 2
; COMPUTE_PGM_RSRC2:TRAP_HANDLER: 0
; COMPUTE_PGM_RSRC2:TGID_X_EN: 1
; COMPUTE_PGM_RSRC2:TGID_Y_EN: 0
; COMPUTE_PGM_RSRC2:TGID_Z_EN: 0
; COMPUTE_PGM_RSRC2:TIDIG_COMP_CNT: 0
	.section	.text._ZN7rocprim17ROCPRIM_400000_NS6detail17trampoline_kernelINS0_14default_configENS1_36segmented_radix_sort_config_selectorIflEEZNS1_25segmented_radix_sort_implIS3_Lb0EPKfPfPKlPlN2at6native12_GLOBAL__N_18offset_tEEE10hipError_tPvRmT1_PNSt15iterator_traitsISK_E10value_typeET2_T3_PNSL_ISQ_E10value_typeET4_jRbjT5_SW_jjP12ihipStream_tbEUlT_E_NS1_11comp_targetILNS1_3genE5ELNS1_11target_archE942ELNS1_3gpuE9ELNS1_3repE0EEENS1_30default_config_static_selectorELNS0_4arch9wavefront6targetE0EEEvSK_,"axG",@progbits,_ZN7rocprim17ROCPRIM_400000_NS6detail17trampoline_kernelINS0_14default_configENS1_36segmented_radix_sort_config_selectorIflEEZNS1_25segmented_radix_sort_implIS3_Lb0EPKfPfPKlPlN2at6native12_GLOBAL__N_18offset_tEEE10hipError_tPvRmT1_PNSt15iterator_traitsISK_E10value_typeET2_T3_PNSL_ISQ_E10value_typeET4_jRbjT5_SW_jjP12ihipStream_tbEUlT_E_NS1_11comp_targetILNS1_3genE5ELNS1_11target_archE942ELNS1_3gpuE9ELNS1_3repE0EEENS1_30default_config_static_selectorELNS0_4arch9wavefront6targetE0EEEvSK_,comdat
	.globl	_ZN7rocprim17ROCPRIM_400000_NS6detail17trampoline_kernelINS0_14default_configENS1_36segmented_radix_sort_config_selectorIflEEZNS1_25segmented_radix_sort_implIS3_Lb0EPKfPfPKlPlN2at6native12_GLOBAL__N_18offset_tEEE10hipError_tPvRmT1_PNSt15iterator_traitsISK_E10value_typeET2_T3_PNSL_ISQ_E10value_typeET4_jRbjT5_SW_jjP12ihipStream_tbEUlT_E_NS1_11comp_targetILNS1_3genE5ELNS1_11target_archE942ELNS1_3gpuE9ELNS1_3repE0EEENS1_30default_config_static_selectorELNS0_4arch9wavefront6targetE0EEEvSK_ ; -- Begin function _ZN7rocprim17ROCPRIM_400000_NS6detail17trampoline_kernelINS0_14default_configENS1_36segmented_radix_sort_config_selectorIflEEZNS1_25segmented_radix_sort_implIS3_Lb0EPKfPfPKlPlN2at6native12_GLOBAL__N_18offset_tEEE10hipError_tPvRmT1_PNSt15iterator_traitsISK_E10value_typeET2_T3_PNSL_ISQ_E10value_typeET4_jRbjT5_SW_jjP12ihipStream_tbEUlT_E_NS1_11comp_targetILNS1_3genE5ELNS1_11target_archE942ELNS1_3gpuE9ELNS1_3repE0EEENS1_30default_config_static_selectorELNS0_4arch9wavefront6targetE0EEEvSK_
	.p2align	8
	.type	_ZN7rocprim17ROCPRIM_400000_NS6detail17trampoline_kernelINS0_14default_configENS1_36segmented_radix_sort_config_selectorIflEEZNS1_25segmented_radix_sort_implIS3_Lb0EPKfPfPKlPlN2at6native12_GLOBAL__N_18offset_tEEE10hipError_tPvRmT1_PNSt15iterator_traitsISK_E10value_typeET2_T3_PNSL_ISQ_E10value_typeET4_jRbjT5_SW_jjP12ihipStream_tbEUlT_E_NS1_11comp_targetILNS1_3genE5ELNS1_11target_archE942ELNS1_3gpuE9ELNS1_3repE0EEENS1_30default_config_static_selectorELNS0_4arch9wavefront6targetE0EEEvSK_,@function
_ZN7rocprim17ROCPRIM_400000_NS6detail17trampoline_kernelINS0_14default_configENS1_36segmented_radix_sort_config_selectorIflEEZNS1_25segmented_radix_sort_implIS3_Lb0EPKfPfPKlPlN2at6native12_GLOBAL__N_18offset_tEEE10hipError_tPvRmT1_PNSt15iterator_traitsISK_E10value_typeET2_T3_PNSL_ISQ_E10value_typeET4_jRbjT5_SW_jjP12ihipStream_tbEUlT_E_NS1_11comp_targetILNS1_3genE5ELNS1_11target_archE942ELNS1_3gpuE9ELNS1_3repE0EEENS1_30default_config_static_selectorELNS0_4arch9wavefront6targetE0EEEvSK_: ; @_ZN7rocprim17ROCPRIM_400000_NS6detail17trampoline_kernelINS0_14default_configENS1_36segmented_radix_sort_config_selectorIflEEZNS1_25segmented_radix_sort_implIS3_Lb0EPKfPfPKlPlN2at6native12_GLOBAL__N_18offset_tEEE10hipError_tPvRmT1_PNSt15iterator_traitsISK_E10value_typeET2_T3_PNSL_ISQ_E10value_typeET4_jRbjT5_SW_jjP12ihipStream_tbEUlT_E_NS1_11comp_targetILNS1_3genE5ELNS1_11target_archE942ELNS1_3gpuE9ELNS1_3repE0EEENS1_30default_config_static_selectorELNS0_4arch9wavefront6targetE0EEEvSK_
; %bb.0:
	.section	.rodata,"a",@progbits
	.p2align	6, 0x0
	.amdhsa_kernel _ZN7rocprim17ROCPRIM_400000_NS6detail17trampoline_kernelINS0_14default_configENS1_36segmented_radix_sort_config_selectorIflEEZNS1_25segmented_radix_sort_implIS3_Lb0EPKfPfPKlPlN2at6native12_GLOBAL__N_18offset_tEEE10hipError_tPvRmT1_PNSt15iterator_traitsISK_E10value_typeET2_T3_PNSL_ISQ_E10value_typeET4_jRbjT5_SW_jjP12ihipStream_tbEUlT_E_NS1_11comp_targetILNS1_3genE5ELNS1_11target_archE942ELNS1_3gpuE9ELNS1_3repE0EEENS1_30default_config_static_selectorELNS0_4arch9wavefront6targetE0EEEvSK_
		.amdhsa_group_segment_fixed_size 0
		.amdhsa_private_segment_fixed_size 0
		.amdhsa_kernarg_size 96
		.amdhsa_user_sgpr_count 2
		.amdhsa_user_sgpr_dispatch_ptr 0
		.amdhsa_user_sgpr_queue_ptr 0
		.amdhsa_user_sgpr_kernarg_segment_ptr 1
		.amdhsa_user_sgpr_dispatch_id 0
		.amdhsa_user_sgpr_private_segment_size 0
		.amdhsa_wavefront_size32 1
		.amdhsa_uses_dynamic_stack 0
		.amdhsa_enable_private_segment 0
		.amdhsa_system_sgpr_workgroup_id_x 1
		.amdhsa_system_sgpr_workgroup_id_y 0
		.amdhsa_system_sgpr_workgroup_id_z 0
		.amdhsa_system_sgpr_workgroup_info 0
		.amdhsa_system_vgpr_workitem_id 0
		.amdhsa_next_free_vgpr 1
		.amdhsa_next_free_sgpr 1
		.amdhsa_reserve_vcc 0
		.amdhsa_float_round_mode_32 0
		.amdhsa_float_round_mode_16_64 0
		.amdhsa_float_denorm_mode_32 3
		.amdhsa_float_denorm_mode_16_64 3
		.amdhsa_fp16_overflow 0
		.amdhsa_workgroup_processor_mode 1
		.amdhsa_memory_ordered 1
		.amdhsa_forward_progress 1
		.amdhsa_inst_pref_size 0
		.amdhsa_round_robin_scheduling 0
		.amdhsa_exception_fp_ieee_invalid_op 0
		.amdhsa_exception_fp_denorm_src 0
		.amdhsa_exception_fp_ieee_div_zero 0
		.amdhsa_exception_fp_ieee_overflow 0
		.amdhsa_exception_fp_ieee_underflow 0
		.amdhsa_exception_fp_ieee_inexact 0
		.amdhsa_exception_int_div_zero 0
	.end_amdhsa_kernel
	.section	.text._ZN7rocprim17ROCPRIM_400000_NS6detail17trampoline_kernelINS0_14default_configENS1_36segmented_radix_sort_config_selectorIflEEZNS1_25segmented_radix_sort_implIS3_Lb0EPKfPfPKlPlN2at6native12_GLOBAL__N_18offset_tEEE10hipError_tPvRmT1_PNSt15iterator_traitsISK_E10value_typeET2_T3_PNSL_ISQ_E10value_typeET4_jRbjT5_SW_jjP12ihipStream_tbEUlT_E_NS1_11comp_targetILNS1_3genE5ELNS1_11target_archE942ELNS1_3gpuE9ELNS1_3repE0EEENS1_30default_config_static_selectorELNS0_4arch9wavefront6targetE0EEEvSK_,"axG",@progbits,_ZN7rocprim17ROCPRIM_400000_NS6detail17trampoline_kernelINS0_14default_configENS1_36segmented_radix_sort_config_selectorIflEEZNS1_25segmented_radix_sort_implIS3_Lb0EPKfPfPKlPlN2at6native12_GLOBAL__N_18offset_tEEE10hipError_tPvRmT1_PNSt15iterator_traitsISK_E10value_typeET2_T3_PNSL_ISQ_E10value_typeET4_jRbjT5_SW_jjP12ihipStream_tbEUlT_E_NS1_11comp_targetILNS1_3genE5ELNS1_11target_archE942ELNS1_3gpuE9ELNS1_3repE0EEENS1_30default_config_static_selectorELNS0_4arch9wavefront6targetE0EEEvSK_,comdat
.Lfunc_end1429:
	.size	_ZN7rocprim17ROCPRIM_400000_NS6detail17trampoline_kernelINS0_14default_configENS1_36segmented_radix_sort_config_selectorIflEEZNS1_25segmented_radix_sort_implIS3_Lb0EPKfPfPKlPlN2at6native12_GLOBAL__N_18offset_tEEE10hipError_tPvRmT1_PNSt15iterator_traitsISK_E10value_typeET2_T3_PNSL_ISQ_E10value_typeET4_jRbjT5_SW_jjP12ihipStream_tbEUlT_E_NS1_11comp_targetILNS1_3genE5ELNS1_11target_archE942ELNS1_3gpuE9ELNS1_3repE0EEENS1_30default_config_static_selectorELNS0_4arch9wavefront6targetE0EEEvSK_, .Lfunc_end1429-_ZN7rocprim17ROCPRIM_400000_NS6detail17trampoline_kernelINS0_14default_configENS1_36segmented_radix_sort_config_selectorIflEEZNS1_25segmented_radix_sort_implIS3_Lb0EPKfPfPKlPlN2at6native12_GLOBAL__N_18offset_tEEE10hipError_tPvRmT1_PNSt15iterator_traitsISK_E10value_typeET2_T3_PNSL_ISQ_E10value_typeET4_jRbjT5_SW_jjP12ihipStream_tbEUlT_E_NS1_11comp_targetILNS1_3genE5ELNS1_11target_archE942ELNS1_3gpuE9ELNS1_3repE0EEENS1_30default_config_static_selectorELNS0_4arch9wavefront6targetE0EEEvSK_
                                        ; -- End function
	.set _ZN7rocprim17ROCPRIM_400000_NS6detail17trampoline_kernelINS0_14default_configENS1_36segmented_radix_sort_config_selectorIflEEZNS1_25segmented_radix_sort_implIS3_Lb0EPKfPfPKlPlN2at6native12_GLOBAL__N_18offset_tEEE10hipError_tPvRmT1_PNSt15iterator_traitsISK_E10value_typeET2_T3_PNSL_ISQ_E10value_typeET4_jRbjT5_SW_jjP12ihipStream_tbEUlT_E_NS1_11comp_targetILNS1_3genE5ELNS1_11target_archE942ELNS1_3gpuE9ELNS1_3repE0EEENS1_30default_config_static_selectorELNS0_4arch9wavefront6targetE0EEEvSK_.num_vgpr, 0
	.set _ZN7rocprim17ROCPRIM_400000_NS6detail17trampoline_kernelINS0_14default_configENS1_36segmented_radix_sort_config_selectorIflEEZNS1_25segmented_radix_sort_implIS3_Lb0EPKfPfPKlPlN2at6native12_GLOBAL__N_18offset_tEEE10hipError_tPvRmT1_PNSt15iterator_traitsISK_E10value_typeET2_T3_PNSL_ISQ_E10value_typeET4_jRbjT5_SW_jjP12ihipStream_tbEUlT_E_NS1_11comp_targetILNS1_3genE5ELNS1_11target_archE942ELNS1_3gpuE9ELNS1_3repE0EEENS1_30default_config_static_selectorELNS0_4arch9wavefront6targetE0EEEvSK_.num_agpr, 0
	.set _ZN7rocprim17ROCPRIM_400000_NS6detail17trampoline_kernelINS0_14default_configENS1_36segmented_radix_sort_config_selectorIflEEZNS1_25segmented_radix_sort_implIS3_Lb0EPKfPfPKlPlN2at6native12_GLOBAL__N_18offset_tEEE10hipError_tPvRmT1_PNSt15iterator_traitsISK_E10value_typeET2_T3_PNSL_ISQ_E10value_typeET4_jRbjT5_SW_jjP12ihipStream_tbEUlT_E_NS1_11comp_targetILNS1_3genE5ELNS1_11target_archE942ELNS1_3gpuE9ELNS1_3repE0EEENS1_30default_config_static_selectorELNS0_4arch9wavefront6targetE0EEEvSK_.numbered_sgpr, 0
	.set _ZN7rocprim17ROCPRIM_400000_NS6detail17trampoline_kernelINS0_14default_configENS1_36segmented_radix_sort_config_selectorIflEEZNS1_25segmented_radix_sort_implIS3_Lb0EPKfPfPKlPlN2at6native12_GLOBAL__N_18offset_tEEE10hipError_tPvRmT1_PNSt15iterator_traitsISK_E10value_typeET2_T3_PNSL_ISQ_E10value_typeET4_jRbjT5_SW_jjP12ihipStream_tbEUlT_E_NS1_11comp_targetILNS1_3genE5ELNS1_11target_archE942ELNS1_3gpuE9ELNS1_3repE0EEENS1_30default_config_static_selectorELNS0_4arch9wavefront6targetE0EEEvSK_.num_named_barrier, 0
	.set _ZN7rocprim17ROCPRIM_400000_NS6detail17trampoline_kernelINS0_14default_configENS1_36segmented_radix_sort_config_selectorIflEEZNS1_25segmented_radix_sort_implIS3_Lb0EPKfPfPKlPlN2at6native12_GLOBAL__N_18offset_tEEE10hipError_tPvRmT1_PNSt15iterator_traitsISK_E10value_typeET2_T3_PNSL_ISQ_E10value_typeET4_jRbjT5_SW_jjP12ihipStream_tbEUlT_E_NS1_11comp_targetILNS1_3genE5ELNS1_11target_archE942ELNS1_3gpuE9ELNS1_3repE0EEENS1_30default_config_static_selectorELNS0_4arch9wavefront6targetE0EEEvSK_.private_seg_size, 0
	.set _ZN7rocprim17ROCPRIM_400000_NS6detail17trampoline_kernelINS0_14default_configENS1_36segmented_radix_sort_config_selectorIflEEZNS1_25segmented_radix_sort_implIS3_Lb0EPKfPfPKlPlN2at6native12_GLOBAL__N_18offset_tEEE10hipError_tPvRmT1_PNSt15iterator_traitsISK_E10value_typeET2_T3_PNSL_ISQ_E10value_typeET4_jRbjT5_SW_jjP12ihipStream_tbEUlT_E_NS1_11comp_targetILNS1_3genE5ELNS1_11target_archE942ELNS1_3gpuE9ELNS1_3repE0EEENS1_30default_config_static_selectorELNS0_4arch9wavefront6targetE0EEEvSK_.uses_vcc, 0
	.set _ZN7rocprim17ROCPRIM_400000_NS6detail17trampoline_kernelINS0_14default_configENS1_36segmented_radix_sort_config_selectorIflEEZNS1_25segmented_radix_sort_implIS3_Lb0EPKfPfPKlPlN2at6native12_GLOBAL__N_18offset_tEEE10hipError_tPvRmT1_PNSt15iterator_traitsISK_E10value_typeET2_T3_PNSL_ISQ_E10value_typeET4_jRbjT5_SW_jjP12ihipStream_tbEUlT_E_NS1_11comp_targetILNS1_3genE5ELNS1_11target_archE942ELNS1_3gpuE9ELNS1_3repE0EEENS1_30default_config_static_selectorELNS0_4arch9wavefront6targetE0EEEvSK_.uses_flat_scratch, 0
	.set _ZN7rocprim17ROCPRIM_400000_NS6detail17trampoline_kernelINS0_14default_configENS1_36segmented_radix_sort_config_selectorIflEEZNS1_25segmented_radix_sort_implIS3_Lb0EPKfPfPKlPlN2at6native12_GLOBAL__N_18offset_tEEE10hipError_tPvRmT1_PNSt15iterator_traitsISK_E10value_typeET2_T3_PNSL_ISQ_E10value_typeET4_jRbjT5_SW_jjP12ihipStream_tbEUlT_E_NS1_11comp_targetILNS1_3genE5ELNS1_11target_archE942ELNS1_3gpuE9ELNS1_3repE0EEENS1_30default_config_static_selectorELNS0_4arch9wavefront6targetE0EEEvSK_.has_dyn_sized_stack, 0
	.set _ZN7rocprim17ROCPRIM_400000_NS6detail17trampoline_kernelINS0_14default_configENS1_36segmented_radix_sort_config_selectorIflEEZNS1_25segmented_radix_sort_implIS3_Lb0EPKfPfPKlPlN2at6native12_GLOBAL__N_18offset_tEEE10hipError_tPvRmT1_PNSt15iterator_traitsISK_E10value_typeET2_T3_PNSL_ISQ_E10value_typeET4_jRbjT5_SW_jjP12ihipStream_tbEUlT_E_NS1_11comp_targetILNS1_3genE5ELNS1_11target_archE942ELNS1_3gpuE9ELNS1_3repE0EEENS1_30default_config_static_selectorELNS0_4arch9wavefront6targetE0EEEvSK_.has_recursion, 0
	.set _ZN7rocprim17ROCPRIM_400000_NS6detail17trampoline_kernelINS0_14default_configENS1_36segmented_radix_sort_config_selectorIflEEZNS1_25segmented_radix_sort_implIS3_Lb0EPKfPfPKlPlN2at6native12_GLOBAL__N_18offset_tEEE10hipError_tPvRmT1_PNSt15iterator_traitsISK_E10value_typeET2_T3_PNSL_ISQ_E10value_typeET4_jRbjT5_SW_jjP12ihipStream_tbEUlT_E_NS1_11comp_targetILNS1_3genE5ELNS1_11target_archE942ELNS1_3gpuE9ELNS1_3repE0EEENS1_30default_config_static_selectorELNS0_4arch9wavefront6targetE0EEEvSK_.has_indirect_call, 0
	.section	.AMDGPU.csdata,"",@progbits
; Kernel info:
; codeLenInByte = 0
; TotalNumSgprs: 0
; NumVgprs: 0
; ScratchSize: 0
; MemoryBound: 0
; FloatMode: 240
; IeeeMode: 1
; LDSByteSize: 0 bytes/workgroup (compile time only)
; SGPRBlocks: 0
; VGPRBlocks: 0
; NumSGPRsForWavesPerEU: 1
; NumVGPRsForWavesPerEU: 1
; Occupancy: 16
; WaveLimiterHint : 0
; COMPUTE_PGM_RSRC2:SCRATCH_EN: 0
; COMPUTE_PGM_RSRC2:USER_SGPR: 2
; COMPUTE_PGM_RSRC2:TRAP_HANDLER: 0
; COMPUTE_PGM_RSRC2:TGID_X_EN: 1
; COMPUTE_PGM_RSRC2:TGID_Y_EN: 0
; COMPUTE_PGM_RSRC2:TGID_Z_EN: 0
; COMPUTE_PGM_RSRC2:TIDIG_COMP_CNT: 0
	.section	.text._ZN7rocprim17ROCPRIM_400000_NS6detail17trampoline_kernelINS0_14default_configENS1_36segmented_radix_sort_config_selectorIflEEZNS1_25segmented_radix_sort_implIS3_Lb0EPKfPfPKlPlN2at6native12_GLOBAL__N_18offset_tEEE10hipError_tPvRmT1_PNSt15iterator_traitsISK_E10value_typeET2_T3_PNSL_ISQ_E10value_typeET4_jRbjT5_SW_jjP12ihipStream_tbEUlT_E_NS1_11comp_targetILNS1_3genE4ELNS1_11target_archE910ELNS1_3gpuE8ELNS1_3repE0EEENS1_30default_config_static_selectorELNS0_4arch9wavefront6targetE0EEEvSK_,"axG",@progbits,_ZN7rocprim17ROCPRIM_400000_NS6detail17trampoline_kernelINS0_14default_configENS1_36segmented_radix_sort_config_selectorIflEEZNS1_25segmented_radix_sort_implIS3_Lb0EPKfPfPKlPlN2at6native12_GLOBAL__N_18offset_tEEE10hipError_tPvRmT1_PNSt15iterator_traitsISK_E10value_typeET2_T3_PNSL_ISQ_E10value_typeET4_jRbjT5_SW_jjP12ihipStream_tbEUlT_E_NS1_11comp_targetILNS1_3genE4ELNS1_11target_archE910ELNS1_3gpuE8ELNS1_3repE0EEENS1_30default_config_static_selectorELNS0_4arch9wavefront6targetE0EEEvSK_,comdat
	.globl	_ZN7rocprim17ROCPRIM_400000_NS6detail17trampoline_kernelINS0_14default_configENS1_36segmented_radix_sort_config_selectorIflEEZNS1_25segmented_radix_sort_implIS3_Lb0EPKfPfPKlPlN2at6native12_GLOBAL__N_18offset_tEEE10hipError_tPvRmT1_PNSt15iterator_traitsISK_E10value_typeET2_T3_PNSL_ISQ_E10value_typeET4_jRbjT5_SW_jjP12ihipStream_tbEUlT_E_NS1_11comp_targetILNS1_3genE4ELNS1_11target_archE910ELNS1_3gpuE8ELNS1_3repE0EEENS1_30default_config_static_selectorELNS0_4arch9wavefront6targetE0EEEvSK_ ; -- Begin function _ZN7rocprim17ROCPRIM_400000_NS6detail17trampoline_kernelINS0_14default_configENS1_36segmented_radix_sort_config_selectorIflEEZNS1_25segmented_radix_sort_implIS3_Lb0EPKfPfPKlPlN2at6native12_GLOBAL__N_18offset_tEEE10hipError_tPvRmT1_PNSt15iterator_traitsISK_E10value_typeET2_T3_PNSL_ISQ_E10value_typeET4_jRbjT5_SW_jjP12ihipStream_tbEUlT_E_NS1_11comp_targetILNS1_3genE4ELNS1_11target_archE910ELNS1_3gpuE8ELNS1_3repE0EEENS1_30default_config_static_selectorELNS0_4arch9wavefront6targetE0EEEvSK_
	.p2align	8
	.type	_ZN7rocprim17ROCPRIM_400000_NS6detail17trampoline_kernelINS0_14default_configENS1_36segmented_radix_sort_config_selectorIflEEZNS1_25segmented_radix_sort_implIS3_Lb0EPKfPfPKlPlN2at6native12_GLOBAL__N_18offset_tEEE10hipError_tPvRmT1_PNSt15iterator_traitsISK_E10value_typeET2_T3_PNSL_ISQ_E10value_typeET4_jRbjT5_SW_jjP12ihipStream_tbEUlT_E_NS1_11comp_targetILNS1_3genE4ELNS1_11target_archE910ELNS1_3gpuE8ELNS1_3repE0EEENS1_30default_config_static_selectorELNS0_4arch9wavefront6targetE0EEEvSK_,@function
_ZN7rocprim17ROCPRIM_400000_NS6detail17trampoline_kernelINS0_14default_configENS1_36segmented_radix_sort_config_selectorIflEEZNS1_25segmented_radix_sort_implIS3_Lb0EPKfPfPKlPlN2at6native12_GLOBAL__N_18offset_tEEE10hipError_tPvRmT1_PNSt15iterator_traitsISK_E10value_typeET2_T3_PNSL_ISQ_E10value_typeET4_jRbjT5_SW_jjP12ihipStream_tbEUlT_E_NS1_11comp_targetILNS1_3genE4ELNS1_11target_archE910ELNS1_3gpuE8ELNS1_3repE0EEENS1_30default_config_static_selectorELNS0_4arch9wavefront6targetE0EEEvSK_: ; @_ZN7rocprim17ROCPRIM_400000_NS6detail17trampoline_kernelINS0_14default_configENS1_36segmented_radix_sort_config_selectorIflEEZNS1_25segmented_radix_sort_implIS3_Lb0EPKfPfPKlPlN2at6native12_GLOBAL__N_18offset_tEEE10hipError_tPvRmT1_PNSt15iterator_traitsISK_E10value_typeET2_T3_PNSL_ISQ_E10value_typeET4_jRbjT5_SW_jjP12ihipStream_tbEUlT_E_NS1_11comp_targetILNS1_3genE4ELNS1_11target_archE910ELNS1_3gpuE8ELNS1_3repE0EEENS1_30default_config_static_selectorELNS0_4arch9wavefront6targetE0EEEvSK_
; %bb.0:
	.section	.rodata,"a",@progbits
	.p2align	6, 0x0
	.amdhsa_kernel _ZN7rocprim17ROCPRIM_400000_NS6detail17trampoline_kernelINS0_14default_configENS1_36segmented_radix_sort_config_selectorIflEEZNS1_25segmented_radix_sort_implIS3_Lb0EPKfPfPKlPlN2at6native12_GLOBAL__N_18offset_tEEE10hipError_tPvRmT1_PNSt15iterator_traitsISK_E10value_typeET2_T3_PNSL_ISQ_E10value_typeET4_jRbjT5_SW_jjP12ihipStream_tbEUlT_E_NS1_11comp_targetILNS1_3genE4ELNS1_11target_archE910ELNS1_3gpuE8ELNS1_3repE0EEENS1_30default_config_static_selectorELNS0_4arch9wavefront6targetE0EEEvSK_
		.amdhsa_group_segment_fixed_size 0
		.amdhsa_private_segment_fixed_size 0
		.amdhsa_kernarg_size 96
		.amdhsa_user_sgpr_count 2
		.amdhsa_user_sgpr_dispatch_ptr 0
		.amdhsa_user_sgpr_queue_ptr 0
		.amdhsa_user_sgpr_kernarg_segment_ptr 1
		.amdhsa_user_sgpr_dispatch_id 0
		.amdhsa_user_sgpr_private_segment_size 0
		.amdhsa_wavefront_size32 1
		.amdhsa_uses_dynamic_stack 0
		.amdhsa_enable_private_segment 0
		.amdhsa_system_sgpr_workgroup_id_x 1
		.amdhsa_system_sgpr_workgroup_id_y 0
		.amdhsa_system_sgpr_workgroup_id_z 0
		.amdhsa_system_sgpr_workgroup_info 0
		.amdhsa_system_vgpr_workitem_id 0
		.amdhsa_next_free_vgpr 1
		.amdhsa_next_free_sgpr 1
		.amdhsa_reserve_vcc 0
		.amdhsa_float_round_mode_32 0
		.amdhsa_float_round_mode_16_64 0
		.amdhsa_float_denorm_mode_32 3
		.amdhsa_float_denorm_mode_16_64 3
		.amdhsa_fp16_overflow 0
		.amdhsa_workgroup_processor_mode 1
		.amdhsa_memory_ordered 1
		.amdhsa_forward_progress 1
		.amdhsa_inst_pref_size 0
		.amdhsa_round_robin_scheduling 0
		.amdhsa_exception_fp_ieee_invalid_op 0
		.amdhsa_exception_fp_denorm_src 0
		.amdhsa_exception_fp_ieee_div_zero 0
		.amdhsa_exception_fp_ieee_overflow 0
		.amdhsa_exception_fp_ieee_underflow 0
		.amdhsa_exception_fp_ieee_inexact 0
		.amdhsa_exception_int_div_zero 0
	.end_amdhsa_kernel
	.section	.text._ZN7rocprim17ROCPRIM_400000_NS6detail17trampoline_kernelINS0_14default_configENS1_36segmented_radix_sort_config_selectorIflEEZNS1_25segmented_radix_sort_implIS3_Lb0EPKfPfPKlPlN2at6native12_GLOBAL__N_18offset_tEEE10hipError_tPvRmT1_PNSt15iterator_traitsISK_E10value_typeET2_T3_PNSL_ISQ_E10value_typeET4_jRbjT5_SW_jjP12ihipStream_tbEUlT_E_NS1_11comp_targetILNS1_3genE4ELNS1_11target_archE910ELNS1_3gpuE8ELNS1_3repE0EEENS1_30default_config_static_selectorELNS0_4arch9wavefront6targetE0EEEvSK_,"axG",@progbits,_ZN7rocprim17ROCPRIM_400000_NS6detail17trampoline_kernelINS0_14default_configENS1_36segmented_radix_sort_config_selectorIflEEZNS1_25segmented_radix_sort_implIS3_Lb0EPKfPfPKlPlN2at6native12_GLOBAL__N_18offset_tEEE10hipError_tPvRmT1_PNSt15iterator_traitsISK_E10value_typeET2_T3_PNSL_ISQ_E10value_typeET4_jRbjT5_SW_jjP12ihipStream_tbEUlT_E_NS1_11comp_targetILNS1_3genE4ELNS1_11target_archE910ELNS1_3gpuE8ELNS1_3repE0EEENS1_30default_config_static_selectorELNS0_4arch9wavefront6targetE0EEEvSK_,comdat
.Lfunc_end1430:
	.size	_ZN7rocprim17ROCPRIM_400000_NS6detail17trampoline_kernelINS0_14default_configENS1_36segmented_radix_sort_config_selectorIflEEZNS1_25segmented_radix_sort_implIS3_Lb0EPKfPfPKlPlN2at6native12_GLOBAL__N_18offset_tEEE10hipError_tPvRmT1_PNSt15iterator_traitsISK_E10value_typeET2_T3_PNSL_ISQ_E10value_typeET4_jRbjT5_SW_jjP12ihipStream_tbEUlT_E_NS1_11comp_targetILNS1_3genE4ELNS1_11target_archE910ELNS1_3gpuE8ELNS1_3repE0EEENS1_30default_config_static_selectorELNS0_4arch9wavefront6targetE0EEEvSK_, .Lfunc_end1430-_ZN7rocprim17ROCPRIM_400000_NS6detail17trampoline_kernelINS0_14default_configENS1_36segmented_radix_sort_config_selectorIflEEZNS1_25segmented_radix_sort_implIS3_Lb0EPKfPfPKlPlN2at6native12_GLOBAL__N_18offset_tEEE10hipError_tPvRmT1_PNSt15iterator_traitsISK_E10value_typeET2_T3_PNSL_ISQ_E10value_typeET4_jRbjT5_SW_jjP12ihipStream_tbEUlT_E_NS1_11comp_targetILNS1_3genE4ELNS1_11target_archE910ELNS1_3gpuE8ELNS1_3repE0EEENS1_30default_config_static_selectorELNS0_4arch9wavefront6targetE0EEEvSK_
                                        ; -- End function
	.set _ZN7rocprim17ROCPRIM_400000_NS6detail17trampoline_kernelINS0_14default_configENS1_36segmented_radix_sort_config_selectorIflEEZNS1_25segmented_radix_sort_implIS3_Lb0EPKfPfPKlPlN2at6native12_GLOBAL__N_18offset_tEEE10hipError_tPvRmT1_PNSt15iterator_traitsISK_E10value_typeET2_T3_PNSL_ISQ_E10value_typeET4_jRbjT5_SW_jjP12ihipStream_tbEUlT_E_NS1_11comp_targetILNS1_3genE4ELNS1_11target_archE910ELNS1_3gpuE8ELNS1_3repE0EEENS1_30default_config_static_selectorELNS0_4arch9wavefront6targetE0EEEvSK_.num_vgpr, 0
	.set _ZN7rocprim17ROCPRIM_400000_NS6detail17trampoline_kernelINS0_14default_configENS1_36segmented_radix_sort_config_selectorIflEEZNS1_25segmented_radix_sort_implIS3_Lb0EPKfPfPKlPlN2at6native12_GLOBAL__N_18offset_tEEE10hipError_tPvRmT1_PNSt15iterator_traitsISK_E10value_typeET2_T3_PNSL_ISQ_E10value_typeET4_jRbjT5_SW_jjP12ihipStream_tbEUlT_E_NS1_11comp_targetILNS1_3genE4ELNS1_11target_archE910ELNS1_3gpuE8ELNS1_3repE0EEENS1_30default_config_static_selectorELNS0_4arch9wavefront6targetE0EEEvSK_.num_agpr, 0
	.set _ZN7rocprim17ROCPRIM_400000_NS6detail17trampoline_kernelINS0_14default_configENS1_36segmented_radix_sort_config_selectorIflEEZNS1_25segmented_radix_sort_implIS3_Lb0EPKfPfPKlPlN2at6native12_GLOBAL__N_18offset_tEEE10hipError_tPvRmT1_PNSt15iterator_traitsISK_E10value_typeET2_T3_PNSL_ISQ_E10value_typeET4_jRbjT5_SW_jjP12ihipStream_tbEUlT_E_NS1_11comp_targetILNS1_3genE4ELNS1_11target_archE910ELNS1_3gpuE8ELNS1_3repE0EEENS1_30default_config_static_selectorELNS0_4arch9wavefront6targetE0EEEvSK_.numbered_sgpr, 0
	.set _ZN7rocprim17ROCPRIM_400000_NS6detail17trampoline_kernelINS0_14default_configENS1_36segmented_radix_sort_config_selectorIflEEZNS1_25segmented_radix_sort_implIS3_Lb0EPKfPfPKlPlN2at6native12_GLOBAL__N_18offset_tEEE10hipError_tPvRmT1_PNSt15iterator_traitsISK_E10value_typeET2_T3_PNSL_ISQ_E10value_typeET4_jRbjT5_SW_jjP12ihipStream_tbEUlT_E_NS1_11comp_targetILNS1_3genE4ELNS1_11target_archE910ELNS1_3gpuE8ELNS1_3repE0EEENS1_30default_config_static_selectorELNS0_4arch9wavefront6targetE0EEEvSK_.num_named_barrier, 0
	.set _ZN7rocprim17ROCPRIM_400000_NS6detail17trampoline_kernelINS0_14default_configENS1_36segmented_radix_sort_config_selectorIflEEZNS1_25segmented_radix_sort_implIS3_Lb0EPKfPfPKlPlN2at6native12_GLOBAL__N_18offset_tEEE10hipError_tPvRmT1_PNSt15iterator_traitsISK_E10value_typeET2_T3_PNSL_ISQ_E10value_typeET4_jRbjT5_SW_jjP12ihipStream_tbEUlT_E_NS1_11comp_targetILNS1_3genE4ELNS1_11target_archE910ELNS1_3gpuE8ELNS1_3repE0EEENS1_30default_config_static_selectorELNS0_4arch9wavefront6targetE0EEEvSK_.private_seg_size, 0
	.set _ZN7rocprim17ROCPRIM_400000_NS6detail17trampoline_kernelINS0_14default_configENS1_36segmented_radix_sort_config_selectorIflEEZNS1_25segmented_radix_sort_implIS3_Lb0EPKfPfPKlPlN2at6native12_GLOBAL__N_18offset_tEEE10hipError_tPvRmT1_PNSt15iterator_traitsISK_E10value_typeET2_T3_PNSL_ISQ_E10value_typeET4_jRbjT5_SW_jjP12ihipStream_tbEUlT_E_NS1_11comp_targetILNS1_3genE4ELNS1_11target_archE910ELNS1_3gpuE8ELNS1_3repE0EEENS1_30default_config_static_selectorELNS0_4arch9wavefront6targetE0EEEvSK_.uses_vcc, 0
	.set _ZN7rocprim17ROCPRIM_400000_NS6detail17trampoline_kernelINS0_14default_configENS1_36segmented_radix_sort_config_selectorIflEEZNS1_25segmented_radix_sort_implIS3_Lb0EPKfPfPKlPlN2at6native12_GLOBAL__N_18offset_tEEE10hipError_tPvRmT1_PNSt15iterator_traitsISK_E10value_typeET2_T3_PNSL_ISQ_E10value_typeET4_jRbjT5_SW_jjP12ihipStream_tbEUlT_E_NS1_11comp_targetILNS1_3genE4ELNS1_11target_archE910ELNS1_3gpuE8ELNS1_3repE0EEENS1_30default_config_static_selectorELNS0_4arch9wavefront6targetE0EEEvSK_.uses_flat_scratch, 0
	.set _ZN7rocprim17ROCPRIM_400000_NS6detail17trampoline_kernelINS0_14default_configENS1_36segmented_radix_sort_config_selectorIflEEZNS1_25segmented_radix_sort_implIS3_Lb0EPKfPfPKlPlN2at6native12_GLOBAL__N_18offset_tEEE10hipError_tPvRmT1_PNSt15iterator_traitsISK_E10value_typeET2_T3_PNSL_ISQ_E10value_typeET4_jRbjT5_SW_jjP12ihipStream_tbEUlT_E_NS1_11comp_targetILNS1_3genE4ELNS1_11target_archE910ELNS1_3gpuE8ELNS1_3repE0EEENS1_30default_config_static_selectorELNS0_4arch9wavefront6targetE0EEEvSK_.has_dyn_sized_stack, 0
	.set _ZN7rocprim17ROCPRIM_400000_NS6detail17trampoline_kernelINS0_14default_configENS1_36segmented_radix_sort_config_selectorIflEEZNS1_25segmented_radix_sort_implIS3_Lb0EPKfPfPKlPlN2at6native12_GLOBAL__N_18offset_tEEE10hipError_tPvRmT1_PNSt15iterator_traitsISK_E10value_typeET2_T3_PNSL_ISQ_E10value_typeET4_jRbjT5_SW_jjP12ihipStream_tbEUlT_E_NS1_11comp_targetILNS1_3genE4ELNS1_11target_archE910ELNS1_3gpuE8ELNS1_3repE0EEENS1_30default_config_static_selectorELNS0_4arch9wavefront6targetE0EEEvSK_.has_recursion, 0
	.set _ZN7rocprim17ROCPRIM_400000_NS6detail17trampoline_kernelINS0_14default_configENS1_36segmented_radix_sort_config_selectorIflEEZNS1_25segmented_radix_sort_implIS3_Lb0EPKfPfPKlPlN2at6native12_GLOBAL__N_18offset_tEEE10hipError_tPvRmT1_PNSt15iterator_traitsISK_E10value_typeET2_T3_PNSL_ISQ_E10value_typeET4_jRbjT5_SW_jjP12ihipStream_tbEUlT_E_NS1_11comp_targetILNS1_3genE4ELNS1_11target_archE910ELNS1_3gpuE8ELNS1_3repE0EEENS1_30default_config_static_selectorELNS0_4arch9wavefront6targetE0EEEvSK_.has_indirect_call, 0
	.section	.AMDGPU.csdata,"",@progbits
; Kernel info:
; codeLenInByte = 0
; TotalNumSgprs: 0
; NumVgprs: 0
; ScratchSize: 0
; MemoryBound: 0
; FloatMode: 240
; IeeeMode: 1
; LDSByteSize: 0 bytes/workgroup (compile time only)
; SGPRBlocks: 0
; VGPRBlocks: 0
; NumSGPRsForWavesPerEU: 1
; NumVGPRsForWavesPerEU: 1
; Occupancy: 16
; WaveLimiterHint : 0
; COMPUTE_PGM_RSRC2:SCRATCH_EN: 0
; COMPUTE_PGM_RSRC2:USER_SGPR: 2
; COMPUTE_PGM_RSRC2:TRAP_HANDLER: 0
; COMPUTE_PGM_RSRC2:TGID_X_EN: 1
; COMPUTE_PGM_RSRC2:TGID_Y_EN: 0
; COMPUTE_PGM_RSRC2:TGID_Z_EN: 0
; COMPUTE_PGM_RSRC2:TIDIG_COMP_CNT: 0
	.section	.text._ZN7rocprim17ROCPRIM_400000_NS6detail17trampoline_kernelINS0_14default_configENS1_36segmented_radix_sort_config_selectorIflEEZNS1_25segmented_radix_sort_implIS3_Lb0EPKfPfPKlPlN2at6native12_GLOBAL__N_18offset_tEEE10hipError_tPvRmT1_PNSt15iterator_traitsISK_E10value_typeET2_T3_PNSL_ISQ_E10value_typeET4_jRbjT5_SW_jjP12ihipStream_tbEUlT_E_NS1_11comp_targetILNS1_3genE3ELNS1_11target_archE908ELNS1_3gpuE7ELNS1_3repE0EEENS1_30default_config_static_selectorELNS0_4arch9wavefront6targetE0EEEvSK_,"axG",@progbits,_ZN7rocprim17ROCPRIM_400000_NS6detail17trampoline_kernelINS0_14default_configENS1_36segmented_radix_sort_config_selectorIflEEZNS1_25segmented_radix_sort_implIS3_Lb0EPKfPfPKlPlN2at6native12_GLOBAL__N_18offset_tEEE10hipError_tPvRmT1_PNSt15iterator_traitsISK_E10value_typeET2_T3_PNSL_ISQ_E10value_typeET4_jRbjT5_SW_jjP12ihipStream_tbEUlT_E_NS1_11comp_targetILNS1_3genE3ELNS1_11target_archE908ELNS1_3gpuE7ELNS1_3repE0EEENS1_30default_config_static_selectorELNS0_4arch9wavefront6targetE0EEEvSK_,comdat
	.globl	_ZN7rocprim17ROCPRIM_400000_NS6detail17trampoline_kernelINS0_14default_configENS1_36segmented_radix_sort_config_selectorIflEEZNS1_25segmented_radix_sort_implIS3_Lb0EPKfPfPKlPlN2at6native12_GLOBAL__N_18offset_tEEE10hipError_tPvRmT1_PNSt15iterator_traitsISK_E10value_typeET2_T3_PNSL_ISQ_E10value_typeET4_jRbjT5_SW_jjP12ihipStream_tbEUlT_E_NS1_11comp_targetILNS1_3genE3ELNS1_11target_archE908ELNS1_3gpuE7ELNS1_3repE0EEENS1_30default_config_static_selectorELNS0_4arch9wavefront6targetE0EEEvSK_ ; -- Begin function _ZN7rocprim17ROCPRIM_400000_NS6detail17trampoline_kernelINS0_14default_configENS1_36segmented_radix_sort_config_selectorIflEEZNS1_25segmented_radix_sort_implIS3_Lb0EPKfPfPKlPlN2at6native12_GLOBAL__N_18offset_tEEE10hipError_tPvRmT1_PNSt15iterator_traitsISK_E10value_typeET2_T3_PNSL_ISQ_E10value_typeET4_jRbjT5_SW_jjP12ihipStream_tbEUlT_E_NS1_11comp_targetILNS1_3genE3ELNS1_11target_archE908ELNS1_3gpuE7ELNS1_3repE0EEENS1_30default_config_static_selectorELNS0_4arch9wavefront6targetE0EEEvSK_
	.p2align	8
	.type	_ZN7rocprim17ROCPRIM_400000_NS6detail17trampoline_kernelINS0_14default_configENS1_36segmented_radix_sort_config_selectorIflEEZNS1_25segmented_radix_sort_implIS3_Lb0EPKfPfPKlPlN2at6native12_GLOBAL__N_18offset_tEEE10hipError_tPvRmT1_PNSt15iterator_traitsISK_E10value_typeET2_T3_PNSL_ISQ_E10value_typeET4_jRbjT5_SW_jjP12ihipStream_tbEUlT_E_NS1_11comp_targetILNS1_3genE3ELNS1_11target_archE908ELNS1_3gpuE7ELNS1_3repE0EEENS1_30default_config_static_selectorELNS0_4arch9wavefront6targetE0EEEvSK_,@function
_ZN7rocprim17ROCPRIM_400000_NS6detail17trampoline_kernelINS0_14default_configENS1_36segmented_radix_sort_config_selectorIflEEZNS1_25segmented_radix_sort_implIS3_Lb0EPKfPfPKlPlN2at6native12_GLOBAL__N_18offset_tEEE10hipError_tPvRmT1_PNSt15iterator_traitsISK_E10value_typeET2_T3_PNSL_ISQ_E10value_typeET4_jRbjT5_SW_jjP12ihipStream_tbEUlT_E_NS1_11comp_targetILNS1_3genE3ELNS1_11target_archE908ELNS1_3gpuE7ELNS1_3repE0EEENS1_30default_config_static_selectorELNS0_4arch9wavefront6targetE0EEEvSK_: ; @_ZN7rocprim17ROCPRIM_400000_NS6detail17trampoline_kernelINS0_14default_configENS1_36segmented_radix_sort_config_selectorIflEEZNS1_25segmented_radix_sort_implIS3_Lb0EPKfPfPKlPlN2at6native12_GLOBAL__N_18offset_tEEE10hipError_tPvRmT1_PNSt15iterator_traitsISK_E10value_typeET2_T3_PNSL_ISQ_E10value_typeET4_jRbjT5_SW_jjP12ihipStream_tbEUlT_E_NS1_11comp_targetILNS1_3genE3ELNS1_11target_archE908ELNS1_3gpuE7ELNS1_3repE0EEENS1_30default_config_static_selectorELNS0_4arch9wavefront6targetE0EEEvSK_
; %bb.0:
	.section	.rodata,"a",@progbits
	.p2align	6, 0x0
	.amdhsa_kernel _ZN7rocprim17ROCPRIM_400000_NS6detail17trampoline_kernelINS0_14default_configENS1_36segmented_radix_sort_config_selectorIflEEZNS1_25segmented_radix_sort_implIS3_Lb0EPKfPfPKlPlN2at6native12_GLOBAL__N_18offset_tEEE10hipError_tPvRmT1_PNSt15iterator_traitsISK_E10value_typeET2_T3_PNSL_ISQ_E10value_typeET4_jRbjT5_SW_jjP12ihipStream_tbEUlT_E_NS1_11comp_targetILNS1_3genE3ELNS1_11target_archE908ELNS1_3gpuE7ELNS1_3repE0EEENS1_30default_config_static_selectorELNS0_4arch9wavefront6targetE0EEEvSK_
		.amdhsa_group_segment_fixed_size 0
		.amdhsa_private_segment_fixed_size 0
		.amdhsa_kernarg_size 96
		.amdhsa_user_sgpr_count 2
		.amdhsa_user_sgpr_dispatch_ptr 0
		.amdhsa_user_sgpr_queue_ptr 0
		.amdhsa_user_sgpr_kernarg_segment_ptr 1
		.amdhsa_user_sgpr_dispatch_id 0
		.amdhsa_user_sgpr_private_segment_size 0
		.amdhsa_wavefront_size32 1
		.amdhsa_uses_dynamic_stack 0
		.amdhsa_enable_private_segment 0
		.amdhsa_system_sgpr_workgroup_id_x 1
		.amdhsa_system_sgpr_workgroup_id_y 0
		.amdhsa_system_sgpr_workgroup_id_z 0
		.amdhsa_system_sgpr_workgroup_info 0
		.amdhsa_system_vgpr_workitem_id 0
		.amdhsa_next_free_vgpr 1
		.amdhsa_next_free_sgpr 1
		.amdhsa_reserve_vcc 0
		.amdhsa_float_round_mode_32 0
		.amdhsa_float_round_mode_16_64 0
		.amdhsa_float_denorm_mode_32 3
		.amdhsa_float_denorm_mode_16_64 3
		.amdhsa_fp16_overflow 0
		.amdhsa_workgroup_processor_mode 1
		.amdhsa_memory_ordered 1
		.amdhsa_forward_progress 1
		.amdhsa_inst_pref_size 0
		.amdhsa_round_robin_scheduling 0
		.amdhsa_exception_fp_ieee_invalid_op 0
		.amdhsa_exception_fp_denorm_src 0
		.amdhsa_exception_fp_ieee_div_zero 0
		.amdhsa_exception_fp_ieee_overflow 0
		.amdhsa_exception_fp_ieee_underflow 0
		.amdhsa_exception_fp_ieee_inexact 0
		.amdhsa_exception_int_div_zero 0
	.end_amdhsa_kernel
	.section	.text._ZN7rocprim17ROCPRIM_400000_NS6detail17trampoline_kernelINS0_14default_configENS1_36segmented_radix_sort_config_selectorIflEEZNS1_25segmented_radix_sort_implIS3_Lb0EPKfPfPKlPlN2at6native12_GLOBAL__N_18offset_tEEE10hipError_tPvRmT1_PNSt15iterator_traitsISK_E10value_typeET2_T3_PNSL_ISQ_E10value_typeET4_jRbjT5_SW_jjP12ihipStream_tbEUlT_E_NS1_11comp_targetILNS1_3genE3ELNS1_11target_archE908ELNS1_3gpuE7ELNS1_3repE0EEENS1_30default_config_static_selectorELNS0_4arch9wavefront6targetE0EEEvSK_,"axG",@progbits,_ZN7rocprim17ROCPRIM_400000_NS6detail17trampoline_kernelINS0_14default_configENS1_36segmented_radix_sort_config_selectorIflEEZNS1_25segmented_radix_sort_implIS3_Lb0EPKfPfPKlPlN2at6native12_GLOBAL__N_18offset_tEEE10hipError_tPvRmT1_PNSt15iterator_traitsISK_E10value_typeET2_T3_PNSL_ISQ_E10value_typeET4_jRbjT5_SW_jjP12ihipStream_tbEUlT_E_NS1_11comp_targetILNS1_3genE3ELNS1_11target_archE908ELNS1_3gpuE7ELNS1_3repE0EEENS1_30default_config_static_selectorELNS0_4arch9wavefront6targetE0EEEvSK_,comdat
.Lfunc_end1431:
	.size	_ZN7rocprim17ROCPRIM_400000_NS6detail17trampoline_kernelINS0_14default_configENS1_36segmented_radix_sort_config_selectorIflEEZNS1_25segmented_radix_sort_implIS3_Lb0EPKfPfPKlPlN2at6native12_GLOBAL__N_18offset_tEEE10hipError_tPvRmT1_PNSt15iterator_traitsISK_E10value_typeET2_T3_PNSL_ISQ_E10value_typeET4_jRbjT5_SW_jjP12ihipStream_tbEUlT_E_NS1_11comp_targetILNS1_3genE3ELNS1_11target_archE908ELNS1_3gpuE7ELNS1_3repE0EEENS1_30default_config_static_selectorELNS0_4arch9wavefront6targetE0EEEvSK_, .Lfunc_end1431-_ZN7rocprim17ROCPRIM_400000_NS6detail17trampoline_kernelINS0_14default_configENS1_36segmented_radix_sort_config_selectorIflEEZNS1_25segmented_radix_sort_implIS3_Lb0EPKfPfPKlPlN2at6native12_GLOBAL__N_18offset_tEEE10hipError_tPvRmT1_PNSt15iterator_traitsISK_E10value_typeET2_T3_PNSL_ISQ_E10value_typeET4_jRbjT5_SW_jjP12ihipStream_tbEUlT_E_NS1_11comp_targetILNS1_3genE3ELNS1_11target_archE908ELNS1_3gpuE7ELNS1_3repE0EEENS1_30default_config_static_selectorELNS0_4arch9wavefront6targetE0EEEvSK_
                                        ; -- End function
	.set _ZN7rocprim17ROCPRIM_400000_NS6detail17trampoline_kernelINS0_14default_configENS1_36segmented_radix_sort_config_selectorIflEEZNS1_25segmented_radix_sort_implIS3_Lb0EPKfPfPKlPlN2at6native12_GLOBAL__N_18offset_tEEE10hipError_tPvRmT1_PNSt15iterator_traitsISK_E10value_typeET2_T3_PNSL_ISQ_E10value_typeET4_jRbjT5_SW_jjP12ihipStream_tbEUlT_E_NS1_11comp_targetILNS1_3genE3ELNS1_11target_archE908ELNS1_3gpuE7ELNS1_3repE0EEENS1_30default_config_static_selectorELNS0_4arch9wavefront6targetE0EEEvSK_.num_vgpr, 0
	.set _ZN7rocprim17ROCPRIM_400000_NS6detail17trampoline_kernelINS0_14default_configENS1_36segmented_radix_sort_config_selectorIflEEZNS1_25segmented_radix_sort_implIS3_Lb0EPKfPfPKlPlN2at6native12_GLOBAL__N_18offset_tEEE10hipError_tPvRmT1_PNSt15iterator_traitsISK_E10value_typeET2_T3_PNSL_ISQ_E10value_typeET4_jRbjT5_SW_jjP12ihipStream_tbEUlT_E_NS1_11comp_targetILNS1_3genE3ELNS1_11target_archE908ELNS1_3gpuE7ELNS1_3repE0EEENS1_30default_config_static_selectorELNS0_4arch9wavefront6targetE0EEEvSK_.num_agpr, 0
	.set _ZN7rocprim17ROCPRIM_400000_NS6detail17trampoline_kernelINS0_14default_configENS1_36segmented_radix_sort_config_selectorIflEEZNS1_25segmented_radix_sort_implIS3_Lb0EPKfPfPKlPlN2at6native12_GLOBAL__N_18offset_tEEE10hipError_tPvRmT1_PNSt15iterator_traitsISK_E10value_typeET2_T3_PNSL_ISQ_E10value_typeET4_jRbjT5_SW_jjP12ihipStream_tbEUlT_E_NS1_11comp_targetILNS1_3genE3ELNS1_11target_archE908ELNS1_3gpuE7ELNS1_3repE0EEENS1_30default_config_static_selectorELNS0_4arch9wavefront6targetE0EEEvSK_.numbered_sgpr, 0
	.set _ZN7rocprim17ROCPRIM_400000_NS6detail17trampoline_kernelINS0_14default_configENS1_36segmented_radix_sort_config_selectorIflEEZNS1_25segmented_radix_sort_implIS3_Lb0EPKfPfPKlPlN2at6native12_GLOBAL__N_18offset_tEEE10hipError_tPvRmT1_PNSt15iterator_traitsISK_E10value_typeET2_T3_PNSL_ISQ_E10value_typeET4_jRbjT5_SW_jjP12ihipStream_tbEUlT_E_NS1_11comp_targetILNS1_3genE3ELNS1_11target_archE908ELNS1_3gpuE7ELNS1_3repE0EEENS1_30default_config_static_selectorELNS0_4arch9wavefront6targetE0EEEvSK_.num_named_barrier, 0
	.set _ZN7rocprim17ROCPRIM_400000_NS6detail17trampoline_kernelINS0_14default_configENS1_36segmented_radix_sort_config_selectorIflEEZNS1_25segmented_radix_sort_implIS3_Lb0EPKfPfPKlPlN2at6native12_GLOBAL__N_18offset_tEEE10hipError_tPvRmT1_PNSt15iterator_traitsISK_E10value_typeET2_T3_PNSL_ISQ_E10value_typeET4_jRbjT5_SW_jjP12ihipStream_tbEUlT_E_NS1_11comp_targetILNS1_3genE3ELNS1_11target_archE908ELNS1_3gpuE7ELNS1_3repE0EEENS1_30default_config_static_selectorELNS0_4arch9wavefront6targetE0EEEvSK_.private_seg_size, 0
	.set _ZN7rocprim17ROCPRIM_400000_NS6detail17trampoline_kernelINS0_14default_configENS1_36segmented_radix_sort_config_selectorIflEEZNS1_25segmented_radix_sort_implIS3_Lb0EPKfPfPKlPlN2at6native12_GLOBAL__N_18offset_tEEE10hipError_tPvRmT1_PNSt15iterator_traitsISK_E10value_typeET2_T3_PNSL_ISQ_E10value_typeET4_jRbjT5_SW_jjP12ihipStream_tbEUlT_E_NS1_11comp_targetILNS1_3genE3ELNS1_11target_archE908ELNS1_3gpuE7ELNS1_3repE0EEENS1_30default_config_static_selectorELNS0_4arch9wavefront6targetE0EEEvSK_.uses_vcc, 0
	.set _ZN7rocprim17ROCPRIM_400000_NS6detail17trampoline_kernelINS0_14default_configENS1_36segmented_radix_sort_config_selectorIflEEZNS1_25segmented_radix_sort_implIS3_Lb0EPKfPfPKlPlN2at6native12_GLOBAL__N_18offset_tEEE10hipError_tPvRmT1_PNSt15iterator_traitsISK_E10value_typeET2_T3_PNSL_ISQ_E10value_typeET4_jRbjT5_SW_jjP12ihipStream_tbEUlT_E_NS1_11comp_targetILNS1_3genE3ELNS1_11target_archE908ELNS1_3gpuE7ELNS1_3repE0EEENS1_30default_config_static_selectorELNS0_4arch9wavefront6targetE0EEEvSK_.uses_flat_scratch, 0
	.set _ZN7rocprim17ROCPRIM_400000_NS6detail17trampoline_kernelINS0_14default_configENS1_36segmented_radix_sort_config_selectorIflEEZNS1_25segmented_radix_sort_implIS3_Lb0EPKfPfPKlPlN2at6native12_GLOBAL__N_18offset_tEEE10hipError_tPvRmT1_PNSt15iterator_traitsISK_E10value_typeET2_T3_PNSL_ISQ_E10value_typeET4_jRbjT5_SW_jjP12ihipStream_tbEUlT_E_NS1_11comp_targetILNS1_3genE3ELNS1_11target_archE908ELNS1_3gpuE7ELNS1_3repE0EEENS1_30default_config_static_selectorELNS0_4arch9wavefront6targetE0EEEvSK_.has_dyn_sized_stack, 0
	.set _ZN7rocprim17ROCPRIM_400000_NS6detail17trampoline_kernelINS0_14default_configENS1_36segmented_radix_sort_config_selectorIflEEZNS1_25segmented_radix_sort_implIS3_Lb0EPKfPfPKlPlN2at6native12_GLOBAL__N_18offset_tEEE10hipError_tPvRmT1_PNSt15iterator_traitsISK_E10value_typeET2_T3_PNSL_ISQ_E10value_typeET4_jRbjT5_SW_jjP12ihipStream_tbEUlT_E_NS1_11comp_targetILNS1_3genE3ELNS1_11target_archE908ELNS1_3gpuE7ELNS1_3repE0EEENS1_30default_config_static_selectorELNS0_4arch9wavefront6targetE0EEEvSK_.has_recursion, 0
	.set _ZN7rocprim17ROCPRIM_400000_NS6detail17trampoline_kernelINS0_14default_configENS1_36segmented_radix_sort_config_selectorIflEEZNS1_25segmented_radix_sort_implIS3_Lb0EPKfPfPKlPlN2at6native12_GLOBAL__N_18offset_tEEE10hipError_tPvRmT1_PNSt15iterator_traitsISK_E10value_typeET2_T3_PNSL_ISQ_E10value_typeET4_jRbjT5_SW_jjP12ihipStream_tbEUlT_E_NS1_11comp_targetILNS1_3genE3ELNS1_11target_archE908ELNS1_3gpuE7ELNS1_3repE0EEENS1_30default_config_static_selectorELNS0_4arch9wavefront6targetE0EEEvSK_.has_indirect_call, 0
	.section	.AMDGPU.csdata,"",@progbits
; Kernel info:
; codeLenInByte = 0
; TotalNumSgprs: 0
; NumVgprs: 0
; ScratchSize: 0
; MemoryBound: 0
; FloatMode: 240
; IeeeMode: 1
; LDSByteSize: 0 bytes/workgroup (compile time only)
; SGPRBlocks: 0
; VGPRBlocks: 0
; NumSGPRsForWavesPerEU: 1
; NumVGPRsForWavesPerEU: 1
; Occupancy: 16
; WaveLimiterHint : 0
; COMPUTE_PGM_RSRC2:SCRATCH_EN: 0
; COMPUTE_PGM_RSRC2:USER_SGPR: 2
; COMPUTE_PGM_RSRC2:TRAP_HANDLER: 0
; COMPUTE_PGM_RSRC2:TGID_X_EN: 1
; COMPUTE_PGM_RSRC2:TGID_Y_EN: 0
; COMPUTE_PGM_RSRC2:TGID_Z_EN: 0
; COMPUTE_PGM_RSRC2:TIDIG_COMP_CNT: 0
	.section	.text._ZN7rocprim17ROCPRIM_400000_NS6detail17trampoline_kernelINS0_14default_configENS1_36segmented_radix_sort_config_selectorIflEEZNS1_25segmented_radix_sort_implIS3_Lb0EPKfPfPKlPlN2at6native12_GLOBAL__N_18offset_tEEE10hipError_tPvRmT1_PNSt15iterator_traitsISK_E10value_typeET2_T3_PNSL_ISQ_E10value_typeET4_jRbjT5_SW_jjP12ihipStream_tbEUlT_E_NS1_11comp_targetILNS1_3genE2ELNS1_11target_archE906ELNS1_3gpuE6ELNS1_3repE0EEENS1_30default_config_static_selectorELNS0_4arch9wavefront6targetE0EEEvSK_,"axG",@progbits,_ZN7rocprim17ROCPRIM_400000_NS6detail17trampoline_kernelINS0_14default_configENS1_36segmented_radix_sort_config_selectorIflEEZNS1_25segmented_radix_sort_implIS3_Lb0EPKfPfPKlPlN2at6native12_GLOBAL__N_18offset_tEEE10hipError_tPvRmT1_PNSt15iterator_traitsISK_E10value_typeET2_T3_PNSL_ISQ_E10value_typeET4_jRbjT5_SW_jjP12ihipStream_tbEUlT_E_NS1_11comp_targetILNS1_3genE2ELNS1_11target_archE906ELNS1_3gpuE6ELNS1_3repE0EEENS1_30default_config_static_selectorELNS0_4arch9wavefront6targetE0EEEvSK_,comdat
	.globl	_ZN7rocprim17ROCPRIM_400000_NS6detail17trampoline_kernelINS0_14default_configENS1_36segmented_radix_sort_config_selectorIflEEZNS1_25segmented_radix_sort_implIS3_Lb0EPKfPfPKlPlN2at6native12_GLOBAL__N_18offset_tEEE10hipError_tPvRmT1_PNSt15iterator_traitsISK_E10value_typeET2_T3_PNSL_ISQ_E10value_typeET4_jRbjT5_SW_jjP12ihipStream_tbEUlT_E_NS1_11comp_targetILNS1_3genE2ELNS1_11target_archE906ELNS1_3gpuE6ELNS1_3repE0EEENS1_30default_config_static_selectorELNS0_4arch9wavefront6targetE0EEEvSK_ ; -- Begin function _ZN7rocprim17ROCPRIM_400000_NS6detail17trampoline_kernelINS0_14default_configENS1_36segmented_radix_sort_config_selectorIflEEZNS1_25segmented_radix_sort_implIS3_Lb0EPKfPfPKlPlN2at6native12_GLOBAL__N_18offset_tEEE10hipError_tPvRmT1_PNSt15iterator_traitsISK_E10value_typeET2_T3_PNSL_ISQ_E10value_typeET4_jRbjT5_SW_jjP12ihipStream_tbEUlT_E_NS1_11comp_targetILNS1_3genE2ELNS1_11target_archE906ELNS1_3gpuE6ELNS1_3repE0EEENS1_30default_config_static_selectorELNS0_4arch9wavefront6targetE0EEEvSK_
	.p2align	8
	.type	_ZN7rocprim17ROCPRIM_400000_NS6detail17trampoline_kernelINS0_14default_configENS1_36segmented_radix_sort_config_selectorIflEEZNS1_25segmented_radix_sort_implIS3_Lb0EPKfPfPKlPlN2at6native12_GLOBAL__N_18offset_tEEE10hipError_tPvRmT1_PNSt15iterator_traitsISK_E10value_typeET2_T3_PNSL_ISQ_E10value_typeET4_jRbjT5_SW_jjP12ihipStream_tbEUlT_E_NS1_11comp_targetILNS1_3genE2ELNS1_11target_archE906ELNS1_3gpuE6ELNS1_3repE0EEENS1_30default_config_static_selectorELNS0_4arch9wavefront6targetE0EEEvSK_,@function
_ZN7rocprim17ROCPRIM_400000_NS6detail17trampoline_kernelINS0_14default_configENS1_36segmented_radix_sort_config_selectorIflEEZNS1_25segmented_radix_sort_implIS3_Lb0EPKfPfPKlPlN2at6native12_GLOBAL__N_18offset_tEEE10hipError_tPvRmT1_PNSt15iterator_traitsISK_E10value_typeET2_T3_PNSL_ISQ_E10value_typeET4_jRbjT5_SW_jjP12ihipStream_tbEUlT_E_NS1_11comp_targetILNS1_3genE2ELNS1_11target_archE906ELNS1_3gpuE6ELNS1_3repE0EEENS1_30default_config_static_selectorELNS0_4arch9wavefront6targetE0EEEvSK_: ; @_ZN7rocprim17ROCPRIM_400000_NS6detail17trampoline_kernelINS0_14default_configENS1_36segmented_radix_sort_config_selectorIflEEZNS1_25segmented_radix_sort_implIS3_Lb0EPKfPfPKlPlN2at6native12_GLOBAL__N_18offset_tEEE10hipError_tPvRmT1_PNSt15iterator_traitsISK_E10value_typeET2_T3_PNSL_ISQ_E10value_typeET4_jRbjT5_SW_jjP12ihipStream_tbEUlT_E_NS1_11comp_targetILNS1_3genE2ELNS1_11target_archE906ELNS1_3gpuE6ELNS1_3repE0EEENS1_30default_config_static_selectorELNS0_4arch9wavefront6targetE0EEEvSK_
; %bb.0:
	.section	.rodata,"a",@progbits
	.p2align	6, 0x0
	.amdhsa_kernel _ZN7rocprim17ROCPRIM_400000_NS6detail17trampoline_kernelINS0_14default_configENS1_36segmented_radix_sort_config_selectorIflEEZNS1_25segmented_radix_sort_implIS3_Lb0EPKfPfPKlPlN2at6native12_GLOBAL__N_18offset_tEEE10hipError_tPvRmT1_PNSt15iterator_traitsISK_E10value_typeET2_T3_PNSL_ISQ_E10value_typeET4_jRbjT5_SW_jjP12ihipStream_tbEUlT_E_NS1_11comp_targetILNS1_3genE2ELNS1_11target_archE906ELNS1_3gpuE6ELNS1_3repE0EEENS1_30default_config_static_selectorELNS0_4arch9wavefront6targetE0EEEvSK_
		.amdhsa_group_segment_fixed_size 0
		.amdhsa_private_segment_fixed_size 0
		.amdhsa_kernarg_size 96
		.amdhsa_user_sgpr_count 2
		.amdhsa_user_sgpr_dispatch_ptr 0
		.amdhsa_user_sgpr_queue_ptr 0
		.amdhsa_user_sgpr_kernarg_segment_ptr 1
		.amdhsa_user_sgpr_dispatch_id 0
		.amdhsa_user_sgpr_private_segment_size 0
		.amdhsa_wavefront_size32 1
		.amdhsa_uses_dynamic_stack 0
		.amdhsa_enable_private_segment 0
		.amdhsa_system_sgpr_workgroup_id_x 1
		.amdhsa_system_sgpr_workgroup_id_y 0
		.amdhsa_system_sgpr_workgroup_id_z 0
		.amdhsa_system_sgpr_workgroup_info 0
		.amdhsa_system_vgpr_workitem_id 0
		.amdhsa_next_free_vgpr 1
		.amdhsa_next_free_sgpr 1
		.amdhsa_reserve_vcc 0
		.amdhsa_float_round_mode_32 0
		.amdhsa_float_round_mode_16_64 0
		.amdhsa_float_denorm_mode_32 3
		.amdhsa_float_denorm_mode_16_64 3
		.amdhsa_fp16_overflow 0
		.amdhsa_workgroup_processor_mode 1
		.amdhsa_memory_ordered 1
		.amdhsa_forward_progress 1
		.amdhsa_inst_pref_size 0
		.amdhsa_round_robin_scheduling 0
		.amdhsa_exception_fp_ieee_invalid_op 0
		.amdhsa_exception_fp_denorm_src 0
		.amdhsa_exception_fp_ieee_div_zero 0
		.amdhsa_exception_fp_ieee_overflow 0
		.amdhsa_exception_fp_ieee_underflow 0
		.amdhsa_exception_fp_ieee_inexact 0
		.amdhsa_exception_int_div_zero 0
	.end_amdhsa_kernel
	.section	.text._ZN7rocprim17ROCPRIM_400000_NS6detail17trampoline_kernelINS0_14default_configENS1_36segmented_radix_sort_config_selectorIflEEZNS1_25segmented_radix_sort_implIS3_Lb0EPKfPfPKlPlN2at6native12_GLOBAL__N_18offset_tEEE10hipError_tPvRmT1_PNSt15iterator_traitsISK_E10value_typeET2_T3_PNSL_ISQ_E10value_typeET4_jRbjT5_SW_jjP12ihipStream_tbEUlT_E_NS1_11comp_targetILNS1_3genE2ELNS1_11target_archE906ELNS1_3gpuE6ELNS1_3repE0EEENS1_30default_config_static_selectorELNS0_4arch9wavefront6targetE0EEEvSK_,"axG",@progbits,_ZN7rocprim17ROCPRIM_400000_NS6detail17trampoline_kernelINS0_14default_configENS1_36segmented_radix_sort_config_selectorIflEEZNS1_25segmented_radix_sort_implIS3_Lb0EPKfPfPKlPlN2at6native12_GLOBAL__N_18offset_tEEE10hipError_tPvRmT1_PNSt15iterator_traitsISK_E10value_typeET2_T3_PNSL_ISQ_E10value_typeET4_jRbjT5_SW_jjP12ihipStream_tbEUlT_E_NS1_11comp_targetILNS1_3genE2ELNS1_11target_archE906ELNS1_3gpuE6ELNS1_3repE0EEENS1_30default_config_static_selectorELNS0_4arch9wavefront6targetE0EEEvSK_,comdat
.Lfunc_end1432:
	.size	_ZN7rocprim17ROCPRIM_400000_NS6detail17trampoline_kernelINS0_14default_configENS1_36segmented_radix_sort_config_selectorIflEEZNS1_25segmented_radix_sort_implIS3_Lb0EPKfPfPKlPlN2at6native12_GLOBAL__N_18offset_tEEE10hipError_tPvRmT1_PNSt15iterator_traitsISK_E10value_typeET2_T3_PNSL_ISQ_E10value_typeET4_jRbjT5_SW_jjP12ihipStream_tbEUlT_E_NS1_11comp_targetILNS1_3genE2ELNS1_11target_archE906ELNS1_3gpuE6ELNS1_3repE0EEENS1_30default_config_static_selectorELNS0_4arch9wavefront6targetE0EEEvSK_, .Lfunc_end1432-_ZN7rocprim17ROCPRIM_400000_NS6detail17trampoline_kernelINS0_14default_configENS1_36segmented_radix_sort_config_selectorIflEEZNS1_25segmented_radix_sort_implIS3_Lb0EPKfPfPKlPlN2at6native12_GLOBAL__N_18offset_tEEE10hipError_tPvRmT1_PNSt15iterator_traitsISK_E10value_typeET2_T3_PNSL_ISQ_E10value_typeET4_jRbjT5_SW_jjP12ihipStream_tbEUlT_E_NS1_11comp_targetILNS1_3genE2ELNS1_11target_archE906ELNS1_3gpuE6ELNS1_3repE0EEENS1_30default_config_static_selectorELNS0_4arch9wavefront6targetE0EEEvSK_
                                        ; -- End function
	.set _ZN7rocprim17ROCPRIM_400000_NS6detail17trampoline_kernelINS0_14default_configENS1_36segmented_radix_sort_config_selectorIflEEZNS1_25segmented_radix_sort_implIS3_Lb0EPKfPfPKlPlN2at6native12_GLOBAL__N_18offset_tEEE10hipError_tPvRmT1_PNSt15iterator_traitsISK_E10value_typeET2_T3_PNSL_ISQ_E10value_typeET4_jRbjT5_SW_jjP12ihipStream_tbEUlT_E_NS1_11comp_targetILNS1_3genE2ELNS1_11target_archE906ELNS1_3gpuE6ELNS1_3repE0EEENS1_30default_config_static_selectorELNS0_4arch9wavefront6targetE0EEEvSK_.num_vgpr, 0
	.set _ZN7rocprim17ROCPRIM_400000_NS6detail17trampoline_kernelINS0_14default_configENS1_36segmented_radix_sort_config_selectorIflEEZNS1_25segmented_radix_sort_implIS3_Lb0EPKfPfPKlPlN2at6native12_GLOBAL__N_18offset_tEEE10hipError_tPvRmT1_PNSt15iterator_traitsISK_E10value_typeET2_T3_PNSL_ISQ_E10value_typeET4_jRbjT5_SW_jjP12ihipStream_tbEUlT_E_NS1_11comp_targetILNS1_3genE2ELNS1_11target_archE906ELNS1_3gpuE6ELNS1_3repE0EEENS1_30default_config_static_selectorELNS0_4arch9wavefront6targetE0EEEvSK_.num_agpr, 0
	.set _ZN7rocprim17ROCPRIM_400000_NS6detail17trampoline_kernelINS0_14default_configENS1_36segmented_radix_sort_config_selectorIflEEZNS1_25segmented_radix_sort_implIS3_Lb0EPKfPfPKlPlN2at6native12_GLOBAL__N_18offset_tEEE10hipError_tPvRmT1_PNSt15iterator_traitsISK_E10value_typeET2_T3_PNSL_ISQ_E10value_typeET4_jRbjT5_SW_jjP12ihipStream_tbEUlT_E_NS1_11comp_targetILNS1_3genE2ELNS1_11target_archE906ELNS1_3gpuE6ELNS1_3repE0EEENS1_30default_config_static_selectorELNS0_4arch9wavefront6targetE0EEEvSK_.numbered_sgpr, 0
	.set _ZN7rocprim17ROCPRIM_400000_NS6detail17trampoline_kernelINS0_14default_configENS1_36segmented_radix_sort_config_selectorIflEEZNS1_25segmented_radix_sort_implIS3_Lb0EPKfPfPKlPlN2at6native12_GLOBAL__N_18offset_tEEE10hipError_tPvRmT1_PNSt15iterator_traitsISK_E10value_typeET2_T3_PNSL_ISQ_E10value_typeET4_jRbjT5_SW_jjP12ihipStream_tbEUlT_E_NS1_11comp_targetILNS1_3genE2ELNS1_11target_archE906ELNS1_3gpuE6ELNS1_3repE0EEENS1_30default_config_static_selectorELNS0_4arch9wavefront6targetE0EEEvSK_.num_named_barrier, 0
	.set _ZN7rocprim17ROCPRIM_400000_NS6detail17trampoline_kernelINS0_14default_configENS1_36segmented_radix_sort_config_selectorIflEEZNS1_25segmented_radix_sort_implIS3_Lb0EPKfPfPKlPlN2at6native12_GLOBAL__N_18offset_tEEE10hipError_tPvRmT1_PNSt15iterator_traitsISK_E10value_typeET2_T3_PNSL_ISQ_E10value_typeET4_jRbjT5_SW_jjP12ihipStream_tbEUlT_E_NS1_11comp_targetILNS1_3genE2ELNS1_11target_archE906ELNS1_3gpuE6ELNS1_3repE0EEENS1_30default_config_static_selectorELNS0_4arch9wavefront6targetE0EEEvSK_.private_seg_size, 0
	.set _ZN7rocprim17ROCPRIM_400000_NS6detail17trampoline_kernelINS0_14default_configENS1_36segmented_radix_sort_config_selectorIflEEZNS1_25segmented_radix_sort_implIS3_Lb0EPKfPfPKlPlN2at6native12_GLOBAL__N_18offset_tEEE10hipError_tPvRmT1_PNSt15iterator_traitsISK_E10value_typeET2_T3_PNSL_ISQ_E10value_typeET4_jRbjT5_SW_jjP12ihipStream_tbEUlT_E_NS1_11comp_targetILNS1_3genE2ELNS1_11target_archE906ELNS1_3gpuE6ELNS1_3repE0EEENS1_30default_config_static_selectorELNS0_4arch9wavefront6targetE0EEEvSK_.uses_vcc, 0
	.set _ZN7rocprim17ROCPRIM_400000_NS6detail17trampoline_kernelINS0_14default_configENS1_36segmented_radix_sort_config_selectorIflEEZNS1_25segmented_radix_sort_implIS3_Lb0EPKfPfPKlPlN2at6native12_GLOBAL__N_18offset_tEEE10hipError_tPvRmT1_PNSt15iterator_traitsISK_E10value_typeET2_T3_PNSL_ISQ_E10value_typeET4_jRbjT5_SW_jjP12ihipStream_tbEUlT_E_NS1_11comp_targetILNS1_3genE2ELNS1_11target_archE906ELNS1_3gpuE6ELNS1_3repE0EEENS1_30default_config_static_selectorELNS0_4arch9wavefront6targetE0EEEvSK_.uses_flat_scratch, 0
	.set _ZN7rocprim17ROCPRIM_400000_NS6detail17trampoline_kernelINS0_14default_configENS1_36segmented_radix_sort_config_selectorIflEEZNS1_25segmented_radix_sort_implIS3_Lb0EPKfPfPKlPlN2at6native12_GLOBAL__N_18offset_tEEE10hipError_tPvRmT1_PNSt15iterator_traitsISK_E10value_typeET2_T3_PNSL_ISQ_E10value_typeET4_jRbjT5_SW_jjP12ihipStream_tbEUlT_E_NS1_11comp_targetILNS1_3genE2ELNS1_11target_archE906ELNS1_3gpuE6ELNS1_3repE0EEENS1_30default_config_static_selectorELNS0_4arch9wavefront6targetE0EEEvSK_.has_dyn_sized_stack, 0
	.set _ZN7rocprim17ROCPRIM_400000_NS6detail17trampoline_kernelINS0_14default_configENS1_36segmented_radix_sort_config_selectorIflEEZNS1_25segmented_radix_sort_implIS3_Lb0EPKfPfPKlPlN2at6native12_GLOBAL__N_18offset_tEEE10hipError_tPvRmT1_PNSt15iterator_traitsISK_E10value_typeET2_T3_PNSL_ISQ_E10value_typeET4_jRbjT5_SW_jjP12ihipStream_tbEUlT_E_NS1_11comp_targetILNS1_3genE2ELNS1_11target_archE906ELNS1_3gpuE6ELNS1_3repE0EEENS1_30default_config_static_selectorELNS0_4arch9wavefront6targetE0EEEvSK_.has_recursion, 0
	.set _ZN7rocprim17ROCPRIM_400000_NS6detail17trampoline_kernelINS0_14default_configENS1_36segmented_radix_sort_config_selectorIflEEZNS1_25segmented_radix_sort_implIS3_Lb0EPKfPfPKlPlN2at6native12_GLOBAL__N_18offset_tEEE10hipError_tPvRmT1_PNSt15iterator_traitsISK_E10value_typeET2_T3_PNSL_ISQ_E10value_typeET4_jRbjT5_SW_jjP12ihipStream_tbEUlT_E_NS1_11comp_targetILNS1_3genE2ELNS1_11target_archE906ELNS1_3gpuE6ELNS1_3repE0EEENS1_30default_config_static_selectorELNS0_4arch9wavefront6targetE0EEEvSK_.has_indirect_call, 0
	.section	.AMDGPU.csdata,"",@progbits
; Kernel info:
; codeLenInByte = 0
; TotalNumSgprs: 0
; NumVgprs: 0
; ScratchSize: 0
; MemoryBound: 0
; FloatMode: 240
; IeeeMode: 1
; LDSByteSize: 0 bytes/workgroup (compile time only)
; SGPRBlocks: 0
; VGPRBlocks: 0
; NumSGPRsForWavesPerEU: 1
; NumVGPRsForWavesPerEU: 1
; Occupancy: 16
; WaveLimiterHint : 0
; COMPUTE_PGM_RSRC2:SCRATCH_EN: 0
; COMPUTE_PGM_RSRC2:USER_SGPR: 2
; COMPUTE_PGM_RSRC2:TRAP_HANDLER: 0
; COMPUTE_PGM_RSRC2:TGID_X_EN: 1
; COMPUTE_PGM_RSRC2:TGID_Y_EN: 0
; COMPUTE_PGM_RSRC2:TGID_Z_EN: 0
; COMPUTE_PGM_RSRC2:TIDIG_COMP_CNT: 0
	.text
	.p2align	2                               ; -- Begin function _ZN7rocprim17ROCPRIM_400000_NS6detail40segmented_radix_sort_single_block_helperIflLj256ELj16ELb0EE4sortIPKfPfPKlPlEEbT_T0_T1_T2_jjjjRNS3_12storage_typeE
	.type	_ZN7rocprim17ROCPRIM_400000_NS6detail40segmented_radix_sort_single_block_helperIflLj256ELj16ELb0EE4sortIPKfPfPKlPlEEbT_T0_T1_T2_jjjjRNS3_12storage_typeE,@function
_ZN7rocprim17ROCPRIM_400000_NS6detail40segmented_radix_sort_single_block_helperIflLj256ELj16ELb0EE4sortIPKfPfPKlPlEEbT_T0_T1_T2_jjjjRNS3_12storage_typeE: ; @_ZN7rocprim17ROCPRIM_400000_NS6detail40segmented_radix_sort_single_block_helperIflLj256ELj16ELb0EE4sortIPKfPfPKlPlEEbT_T0_T1_T2_jjjjRNS3_12storage_typeE
; %bb.0:
	s_wait_loadcnt_dscnt 0x0
	s_wait_expcnt 0x0
	s_wait_samplecnt 0x0
	s_wait_bvhcnt 0x0
	s_wait_kmcnt 0x0
	s_clause 0x17
	scratch_store_b32 off, v40, s32 offset:92
	; meta instruction
	scratch_store_b32 off, v41, s32 offset:88
	; meta instruction
	;; [unrolled: 2-line block ×23, first 2 shown]
	scratch_store_b32 off, v79, s32
	v_sub_nc_u32_e32 v119, v9, v8
	s_mov_b32 s18, exec_lo
	s_delay_alu instid0(VALU_DEP_1)
	v_cmpx_gt_u32_e32 0x1001, v119
	s_cbranch_execz .LBB1433_372
; %bb.1:
	v_bfe_u32 v9, v31, 10, 10
	v_bfe_u32 v13, v31, 20, 10
	v_and_b32_e32 v21, 0x3ff, v31
	v_mbcnt_lo_u32_b32 v114, -1, 0
	s_mov_b32 s0, exec_lo
	v_cmpx_lt_u32_e32 0x800, v119
	s_wait_alu 0xfffe
	s_xor_b32 s19, exec_lo, s0
	s_cbranch_execz .LBB1433_143
; %bb.2:
	s_load_b64 s[0:1], s[8:9], 0x0
	s_and_b32 s2, ttmp7, 0xffff
	s_mov_b32 s3, 0
	v_bfrev_b32_e32 v15, -2
	v_lshlrev_b32_e32 v16, 2, v114
	s_wait_kmcnt 0x0
	s_wait_alu 0xfffe
	s_cmp_lt_u32 s2, s1
	s_cselect_b32 s2, 14, 20
	s_cmp_lt_u32 ttmp9, s0
	s_wait_alu 0xfffe
	s_add_nc_u64 s[4:5], s[8:9], s[2:3]
	s_cselect_b32 s2, 12, 18
	s_load_u16 s4, s[4:5], 0x0
	s_add_nc_u64 s[0:1], s[8:9], s[2:3]
	s_load_u16 s0, s[0:1], 0x0
	s_wait_kmcnt 0x0
	v_mad_u32_u24 v9, v13, s4, v9
	s_delay_alu instid0(VALU_DEP_1) | instskip(SKIP_1) | instid1(VALU_DEP_1)
	v_mad_co_u64_u32 v[48:49], null, v9, s0, v[21:22]
	v_mov_b32_e32 v9, 0
	v_lshlrev_b64_e32 v[50:51], 2, v[8:9]
	s_delay_alu instid0(VALU_DEP_3) | instskip(NEXT) | instid1(VALU_DEP_2)
	v_dual_mov_b32 v14, v9 :: v_dual_lshlrev_b32 v13, 4, v48
	v_add_co_u32 v17, vcc_lo, v0, v50
	s_delay_alu instid0(VALU_DEP_2) | instskip(SKIP_1) | instid1(VALU_DEP_4)
	v_and_b32_e32 v13, 0xfffffe00, v13
	s_wait_alu 0xfffd
	v_add_co_ci_u32_e64 v18, null, v1, v51, vcc_lo
	s_delay_alu instid0(VALU_DEP_3) | instskip(NEXT) | instid1(VALU_DEP_3)
	v_add_co_u32 v16, vcc_lo, v17, v16
	v_lshlrev_b64_e32 v[0:1], 2, v[13:14]
	v_or_b32_e32 v32, v13, v114
	s_wait_alu 0xfffd
	v_add_co_ci_u32_e64 v17, null, 0, v18, vcc_lo
	s_delay_alu instid0(VALU_DEP_3) | instskip(NEXT) | instid1(VALU_DEP_3)
	v_add_co_u32 v0, s0, v16, v0
	v_cmp_lt_u32_e32 vcc_lo, v32, v119
	s_wait_alu 0xf1ff
	s_delay_alu instid0(VALU_DEP_3)
	v_add_co_ci_u32_e64 v1, null, v17, v1, s0
	v_bfrev_b32_e32 v16, -2
	s_and_saveexec_b32 s0, vcc_lo
	s_cbranch_execz .LBB1433_4
; %bb.3:
	flat_load_b32 v16, v[0:1]
.LBB1433_4:
	s_wait_alu 0xfffe
	s_or_b32 exec_lo, exec_lo, s0
	v_or_b32_e32 v17, 32, v32
	s_delay_alu instid0(VALU_DEP_1)
	v_cmp_lt_u32_e64 s0, v17, v119
	s_and_saveexec_b32 s1, s0
	s_cbranch_execz .LBB1433_6
; %bb.5:
	flat_load_b32 v15, v[0:1] offset:128
.LBB1433_6:
	s_wait_alu 0xfffe
	s_or_b32 exec_lo, exec_lo, s1
	v_or_b32_e32 v18, 64, v32
	v_bfrev_b32_e32 v17, -2
	s_delay_alu instid0(VALU_DEP_2)
	v_cmp_lt_u32_e64 s1, v18, v119
	v_bfrev_b32_e32 v18, -2
	s_and_saveexec_b32 s2, s1
	s_cbranch_execz .LBB1433_8
; %bb.7:
	flat_load_b32 v18, v[0:1] offset:256
.LBB1433_8:
	s_wait_alu 0xfffe
	s_or_b32 exec_lo, exec_lo, s2
	v_or_b32_e32 v19, 0x60, v32
	s_delay_alu instid0(VALU_DEP_1)
	v_cmp_lt_u32_e64 s2, v19, v119
	s_and_saveexec_b32 s3, s2
	s_cbranch_execz .LBB1433_10
; %bb.9:
	flat_load_b32 v17, v[0:1] offset:384
.LBB1433_10:
	s_wait_alu 0xfffe
	s_or_b32 exec_lo, exec_lo, s3
	v_or_b32_e32 v20, 0x80, v32
	v_bfrev_b32_e32 v19, -2
	s_delay_alu instid0(VALU_DEP_2)
	v_cmp_lt_u32_e64 s3, v20, v119
	v_bfrev_b32_e32 v20, -2
	s_and_saveexec_b32 s4, s3
	s_cbranch_execz .LBB1433_12
; %bb.11:
	flat_load_b32 v20, v[0:1] offset:512
.LBB1433_12:
	;; [unrolled: 22-line block ×7, first 2 shown]
	s_wait_alu 0xfffe
	s_or_b32 exec_lo, exec_lo, s16
	v_or_b32_e32 v32, 0x1e0, v32
	s_delay_alu instid0(VALU_DEP_1)
	v_cmp_lt_u32_e64 s16, v32, v119
	s_and_saveexec_b32 s17, s16
	s_cbranch_execz .LBB1433_34
; %bb.33:
	flat_load_b32 v30, v[0:1] offset:1920
.LBB1433_34:
	s_wait_alu 0xfffe
	s_or_b32 exec_lo, exec_lo, s17
	v_lshlrev_b64_e32 v[0:1], 3, v[8:9]
	v_lshlrev_b32_e32 v8, 3, v114
                                        ; implicit-def: $vgpr64_vgpr65
	s_delay_alu instid0(VALU_DEP_2) | instskip(SKIP_1) | instid1(VALU_DEP_3)
	v_add_co_u32 v9, s17, v4, v0
	s_wait_alu 0xf1ff
	v_add_co_ci_u32_e64 v32, null, v5, v1, s17
	v_lshlrev_b64_e32 v[4:5], 3, v[13:14]
	s_delay_alu instid0(VALU_DEP_3) | instskip(SKIP_1) | instid1(VALU_DEP_3)
	v_add_co_u32 v8, s17, v9, v8
	s_wait_alu 0xf1ff
	v_add_co_ci_u32_e64 v9, null, 0, v32, s17
	s_delay_alu instid0(VALU_DEP_2) | instskip(SKIP_1) | instid1(VALU_DEP_2)
	v_add_co_u32 v4, s17, v8, v4
	s_wait_alu 0xf1ff
	v_add_co_ci_u32_e64 v5, null, v9, v5, s17
	s_and_saveexec_b32 s17, vcc_lo
	s_cbranch_execnz .LBB1433_196
; %bb.35:
	s_wait_alu 0xfffe
	s_or_b32 exec_lo, exec_lo, s17
                                        ; implicit-def: $vgpr70_vgpr71
	s_and_saveexec_b32 s17, s0
	s_cbranch_execnz .LBB1433_197
.LBB1433_36:
	s_wait_alu 0xfffe
	s_or_b32 exec_lo, exec_lo, s17
                                        ; implicit-def: $vgpr66_vgpr67
	s_and_saveexec_b32 s0, s1
	s_cbranch_execnz .LBB1433_198
.LBB1433_37:
	s_wait_alu 0xfffe
	s_or_b32 exec_lo, exec_lo, s0
                                        ; implicit-def: $vgpr68_vgpr69
	s_and_saveexec_b32 s0, s2
	s_cbranch_execnz .LBB1433_199
.LBB1433_38:
	s_wait_alu 0xfffe
	s_or_b32 exec_lo, exec_lo, s0
                                        ; implicit-def: $vgpr82_vgpr83
	s_and_saveexec_b32 s0, s3
	s_cbranch_execnz .LBB1433_200
.LBB1433_39:
	s_wait_alu 0xfffe
	s_or_b32 exec_lo, exec_lo, s0
                                        ; implicit-def: $vgpr80_vgpr81
	s_and_saveexec_b32 s0, s4
	s_cbranch_execnz .LBB1433_201
.LBB1433_40:
	s_wait_alu 0xfffe
	s_or_b32 exec_lo, exec_lo, s0
                                        ; implicit-def: $vgpr84_vgpr85
	s_and_saveexec_b32 s0, s5
	s_cbranch_execnz .LBB1433_202
.LBB1433_41:
	s_wait_alu 0xfffe
	s_or_b32 exec_lo, exec_lo, s0
                                        ; implicit-def: $vgpr86_vgpr87
	s_and_saveexec_b32 s0, s6
	s_cbranch_execnz .LBB1433_203
.LBB1433_42:
	s_wait_alu 0xfffe
	s_or_b32 exec_lo, exec_lo, s0
                                        ; implicit-def: $vgpr96_vgpr97
	s_and_saveexec_b32 s0, s7
	s_cbranch_execnz .LBB1433_204
.LBB1433_43:
	s_wait_alu 0xfffe
	s_or_b32 exec_lo, exec_lo, s0
                                        ; implicit-def: $vgpr98_vgpr99
	s_and_saveexec_b32 s0, s10
	s_cbranch_execnz .LBB1433_205
.LBB1433_44:
	s_wait_alu 0xfffe
	s_or_b32 exec_lo, exec_lo, s0
                                        ; implicit-def: $vgpr100_vgpr101
	s_and_saveexec_b32 s0, s11
	s_cbranch_execnz .LBB1433_206
.LBB1433_45:
	s_wait_alu 0xfffe
	s_or_b32 exec_lo, exec_lo, s0
                                        ; implicit-def: $vgpr102_vgpr103
	s_and_saveexec_b32 s0, s12
	s_cbranch_execnz .LBB1433_207
.LBB1433_46:
	s_wait_alu 0xfffe
	s_or_b32 exec_lo, exec_lo, s0
                                        ; implicit-def: $vgpr112_vgpr113
	s_and_saveexec_b32 s0, s13
	s_cbranch_execnz .LBB1433_208
.LBB1433_47:
	s_wait_alu 0xfffe
	s_or_b32 exec_lo, exec_lo, s0
                                        ; implicit-def: $vgpr117_vgpr118
	s_and_saveexec_b32 s0, s14
	s_cbranch_execnz .LBB1433_209
.LBB1433_48:
	s_wait_alu 0xfffe
	s_or_b32 exec_lo, exec_lo, s0
                                        ; implicit-def: $vgpr149_vgpr150
	s_and_saveexec_b32 s0, s15
	s_cbranch_execnz .LBB1433_210
.LBB1433_49:
	s_wait_alu 0xfffe
	s_or_b32 exec_lo, exec_lo, s0
                                        ; implicit-def: $vgpr160_vgpr161
	s_and_saveexec_b32 s0, s16
	s_cbranch_execz .LBB1433_51
.LBB1433_50:
	flat_load_b64 v[160:161], v[4:5] offset:3840
.LBB1433_51:
	s_wait_alu 0xfffe
	s_or_b32 exec_lo, exec_lo, s0
	s_wait_loadcnt_dscnt 0x0
	v_cmp_lt_i32_e32 vcc_lo, -1, v16
	s_getpc_b64 s[0:1]
	s_wait_alu 0xfffe
	s_sext_i32_i16 s1, s1
	s_add_co_u32 s0, s0, _ZN7rocprim17ROCPRIM_400000_NS16block_radix_sortIfLj256ELj16ElLj1ELj1ELj8ELNS0_26block_radix_rank_algorithmE2ELNS0_18block_padding_hintE2ELNS0_4arch9wavefront6targetE0EE19radix_bits_per_passE@rel32@lo+12
	s_wait_alu 0xfffe
	s_add_co_ci_u32 s1, s1, _ZN7rocprim17ROCPRIM_400000_NS16block_radix_sortIfLj256ELj16ElLj1ELj1ELj8ELNS0_26block_radix_rank_algorithmE2ELNS0_18block_padding_hintE2ELNS0_4arch9wavefront6targetE0EE19radix_bits_per_passE@rel32@hi+24
	v_lshrrev_b32_e32 v196, 5, v48
	s_load_b32 s16, s[0:1], 0x0
	v_cmp_lt_u32_e64 s7, 31, v21
	v_cndmask_b32_e64 v4, -1, 0x80000000, vcc_lo
	v_cmp_lt_i32_e32 vcc_lo, -1, v15
	v_cmp_eq_u32_e64 s10, 0, v21
	v_sub_nc_u32_e32 v228, v11, v10
	s_mov_b32 s17, 0
	v_xor_b32_e32 v45, v4, v16
	s_wait_alu 0xfffd
	v_cndmask_b32_e64 v5, -1, 0x80000000, vcc_lo
	v_cmp_lt_i32_e32 vcc_lo, -1, v18
	s_wait_storecnt 0x0
	s_barrier_signal -1
	s_barrier_wait -1
	v_xor_b32_e32 v115, v5, v15
	s_wait_alu 0xfffd
	v_cndmask_b32_e64 v8, -1, 0x80000000, vcc_lo
	v_cmp_lt_i32_e32 vcc_lo, -1, v17
	global_inv scope:SCOPE_SE
	v_xor_b32_e32 v129, v8, v18
	s_wait_alu 0xfffd
	v_cndmask_b32_e64 v4, -1, 0x80000000, vcc_lo
	v_cmp_lt_i32_e32 vcc_lo, -1, v20
	s_delay_alu instid0(VALU_DEP_2) | instskip(SKIP_3) | instid1(VALU_DEP_2)
	v_xor_b32_e32 v147, v4, v17
	s_wait_alu 0xfffd
	v_cndmask_b32_e64 v5, -1, 0x80000000, vcc_lo
	v_cmp_lt_i32_e32 vcc_lo, -1, v19
	v_xor_b32_e32 v145, v5, v20
	s_wait_alu 0xfffd
	v_cndmask_b32_e64 v8, -1, 0x80000000, vcc_lo
	v_cmp_lt_i32_e32 vcc_lo, -1, v23
	s_delay_alu instid0(VALU_DEP_2) | instskip(SKIP_3) | instid1(VALU_DEP_2)
	v_xor_b32_e32 v131, v8, v19
	s_wait_alu 0xfffd
	v_cndmask_b32_e64 v9, -1, 0x80000000, vcc_lo
	v_cmp_lt_i32_e32 vcc_lo, -1, v22
	;; [unrolled: 9-line block ×4, first 2 shown]
	v_xor_b32_e32 v179, v8, v27
	s_wait_alu 0xfffd
	v_cndmask_b32_e64 v9, -1, 0x80000000, vcc_lo
	v_cmp_lt_i32_e32 vcc_lo, -1, v29
	s_delay_alu instid0(VALU_DEP_2) | instskip(SKIP_4) | instid1(VALU_DEP_3)
	v_xor_b32_e32 v181, v9, v26
	s_wait_alu 0xfffd
	v_cndmask_b32_e64 v13, -1, 0x80000000, vcc_lo
	v_cmp_lt_i32_e32 vcc_lo, -1, v28
	v_lshl_add_u32 v9, v21, 5, v12
	v_xor_b32_e32 v163, v13, v29
	s_wait_alu 0xfffd
	v_cndmask_b32_e64 v4, -1, 0x80000000, vcc_lo
	v_cmp_lt_i32_e32 vcc_lo, -1, v31
	v_add_nc_u32_e32 v49, 32, v9
	v_add_nc_u32_e32 v151, 36, v9
	;; [unrolled: 1-line block ×3, first 2 shown]
	v_xor_b32_e32 v165, v4, v28
	s_wait_alu 0xfffd
	v_cndmask_b32_e64 v5, -1, 0x80000000, vcc_lo
	v_and_b32_e32 v4, 0x3e0, v21
	v_cmp_lt_i32_e32 vcc_lo, -1, v30
	v_add_nc_u32_e32 v183, 44, v9
	v_add_nc_u32_e32 v192, 48, v9
	v_xor_b32_e32 v135, v5, v31
	v_and_b32_e32 v5, 15, v114
	v_min_u32_e32 v4, 0xe0, v4
	s_wait_alu 0xfffd
	v_cndmask_b32_e64 v8, -1, 0x80000000, vcc_lo
	v_add_nc_u32_e32 v193, 52, v9
	v_add_nc_u32_e32 v194, 56, v9
	v_cmp_eq_u32_e32 vcc_lo, 0, v5
	v_cmp_lt_u32_e64 s0, 1, v5
	v_cmp_lt_u32_e64 s1, 3, v5
	v_or_b32_e32 v4, 31, v4
	v_cmp_lt_u32_e64 s2, 7, v5
	v_lshlrev_b32_e32 v5, 4, v21
	v_add_nc_u32_e32 v195, 60, v9
	v_sub_co_u32 v9, s3, v114, 1
	v_cmp_eq_u32_e64 s5, v21, v4
	s_delay_alu instid0(VALU_DEP_4)
	v_and_or_b32 v4, 0x3e00, v5, v114
	v_xor_b32_e32 v133, v8, v30
	v_and_b32_e32 v8, 16, v114
	v_cmp_gt_i32_e64 s6, 0, v9
	v_lshrrev_b32_e32 v5, 3, v21
	v_lshlrev_b32_e32 v4, 2, v4
	s_delay_alu instid0(VALU_DEP_4)
	v_cmp_eq_u32_e64 s4, 0, v8
	s_wait_alu 0xf1ff
	v_cndmask_b32_e64 v8, v9, v114, s6
	v_and_b32_e32 v5, 0x7c, v5
	v_add_nc_u32_e32 v199, v12, v4
	v_and_b32_e32 v9, 7, v114
	v_cmp_gt_u32_e64 s6, 8, v21
	v_lshlrev_b32_e32 v198, 2, v8
	v_lshlrev_b32_e32 v8, 2, v21
	v_add_nc_u32_e32 v209, v199, v4
	v_dual_mov_b32 v5, 0 :: v_dual_add_nc_u32 v208, v12, v5
	v_cmp_eq_u32_e64 s11, 0, v9
	s_delay_alu instid0(VALU_DEP_4)
	v_add_co_u32 v197, null, v12, v8
	v_cmp_lt_u32_e64 s12, 1, v9
	v_cmp_lt_u32_e64 s13, 3, v9
	v_add_nc_u32_e32 v210, 0x600, v209
	v_add_nc_u32_e32 v211, 0x700, v209
	;; [unrolled: 1-line block ×10, first 2 shown]
	s_branch .LBB1433_53
.LBB1433_52:                            ;   in Loop: Header=BB1433_53 Depth=1
	s_wait_alu 0xfffe
	s_or_b32 exec_lo, exec_lo, s15
	s_delay_alu instid0(SALU_CYCLE_1)
	s_and_b32 s14, exec_lo, s20
	s_wait_alu 0xfffe
	s_or_b32 s17, s14, s17
	s_wait_alu 0xfffe
	s_and_not1_b32 exec_lo, exec_lo, s17
	s_cbranch_execz .LBB1433_93
.LBB1433_53:                            ; =>This Inner Loop Header: Depth=1
	v_mov_b32_e32 v229, v45
	v_mov_b32_e32 v19, v66
	s_wait_kmcnt 0x0
	v_min_u32_e32 v4, s16, v228
	v_dual_mov_b32 v20, v67 :: v_dual_mov_b32 v15, v82
	v_mov_b32_e32 v54, v80
	v_cmp_ne_u32_e64 s14, 0x7fffffff, v229
	s_delay_alu instid0(VALU_DEP_4)
	v_lshlrev_b32_e64 v4, v4, -1
	v_dual_mov_b32 v17, v68 :: v_dual_mov_b32 v16, v83
	v_dual_mov_b32 v55, v81 :: v_dual_mov_b32 v34, v84
	s_wait_alu 0xf1ff
	v_cndmask_b32_e64 v22, 0x80000000, v229, s14
	v_dual_mov_b32 v18, v69 :: v_dual_mov_b32 v35, v85
	v_mov_b32_e32 v32, v86
	v_not_b32_e32 v68, v4
	s_delay_alu instid0(VALU_DEP_4)
	v_lshrrev_b32_e32 v4, v10, v22
	v_dual_mov_b32 v33, v87 :: v_dual_mov_b32 v52, v96
	v_dual_mov_b32 v53, v97 :: v_dual_mov_b32 v38, v98
	;; [unrolled: 1-line block ×4, first 2 shown]
	v_dual_mov_b32 v23, v103 :: v_dual_and_b32 v4, v4, v68
	v_dual_mov_b32 v13, v64 :: v_dual_mov_b32 v14, v65
	v_mov_b32_e32 v231, v129
	s_delay_alu instid0(VALU_DEP_3) | instskip(SKIP_3) | instid1(VALU_DEP_3)
	v_dual_mov_b32 v245, v47 :: v_dual_lshlrev_b32 v66, 30, v4
	v_and_b32_e32 v64, 1, v4
	v_dual_mov_b32 v242, v167 :: v_dual_lshlrev_b32 v67, 29, v4
	v_dual_mov_b32 v244, v177 :: v_dual_lshlrev_b32 v69, 28, v4
	v_add_co_u32 v64, s14, v64, -1
	s_wait_alu 0xf1ff
	v_cndmask_b32_e64 v65, 0, 1, s14
	v_dual_mov_b32 v8, v70 :: v_dual_mov_b32 v9, v71
	v_dual_mov_b32 v30, v112 :: v_dual_mov_b32 v31, v113
	s_delay_alu instid0(VALU_DEP_3)
	v_cmp_ne_u32_e64 s14, 0, v65
	v_not_b32_e32 v65, v66
	v_dual_mov_b32 v41, v163 :: v_dual_mov_b32 v28, v117
	v_mov_b32_e32 v29, v118
	s_wait_alu 0xf1ff
	v_xor_b32_e32 v64, s14, v64
	v_cmp_gt_i32_e64 s14, 0, v66
	v_ashrrev_i32_e32 v65, 31, v65
	v_not_b32_e32 v66, v67
	v_mov_b32_e32 v40, v181
	v_dual_mov_b32 v43, v135 :: v_dual_and_b32 v64, exec_lo, v64
	s_wait_alu 0xf1ff
	v_xor_b32_e32 v65, s14, v65
	v_cmp_gt_i32_e64 s14, 0, v67
	v_ashrrev_i32_e32 v66, 31, v66
	v_not_b32_e32 v67, v69
	v_dual_mov_b32 v26, v149 :: v_dual_mov_b32 v27, v150
	v_and_b32_e32 v64, v64, v65
	v_lshlrev_b32_e32 v65, 27, v4
	s_wait_alu 0xf1ff
	v_xor_b32_e32 v66, s14, v66
	v_cmp_gt_i32_e64 s14, 0, v69
	v_ashrrev_i32_e32 v67, 31, v67
	v_mov_b32_e32 v42, v165
	v_not_b32_e32 v69, v65
	v_and_b32_e32 v64, v64, v66
	v_lshlrev_b32_e32 v66, 26, v4
	s_wait_alu 0xf1ff
	v_xor_b32_e32 v67, s14, v67
	v_cmp_gt_i32_e64 s14, 0, v65
	v_ashrrev_i32_e32 v65, 31, v69
	v_mov_b32_e32 v44, v133
	v_not_b32_e32 v69, v66
	v_and_b32_e32 v64, v64, v67
	v_lshlrev_b32_e32 v67, 25, v4
	s_wait_alu 0xf1ff
	v_xor_b32_e32 v65, s14, v65
	v_cmp_gt_i32_e64 s14, 0, v66
	v_ashrrev_i32_e32 v66, 31, v69
	v_dual_mov_b32 v24, v160 :: v_dual_mov_b32 v25, v161
	v_not_b32_e32 v69, v67
	v_and_b32_e32 v64, v64, v65
	v_lshlrev_b32_e32 v65, 24, v4
	s_wait_alu 0xf1ff
	v_xor_b32_e32 v66, s14, v66
	v_cmp_gt_i32_e64 s14, 0, v67
	v_ashrrev_i32_e32 v67, 31, v69
	v_lshl_add_u32 v4, v4, 3, v196
	v_not_b32_e32 v69, v65
	v_and_b32_e32 v64, v64, v66
	v_dual_mov_b32 v240, v115 :: v_dual_mov_b32 v241, v145
	s_wait_alu 0xf1ff
	v_xor_b32_e32 v66, s14, v67
	v_cmp_gt_i32_e64 s14, 0, v65
	v_ashrrev_i32_e32 v65, 31, v69
	v_dual_mov_b32 v230, v147 :: v_dual_mov_b32 v243, v131
	s_delay_alu instid0(VALU_DEP_4)
	v_and_b32_e32 v64, v64, v66
	v_lshlrev_b64_e32 v[66:67], 2, v[4:5]
	s_wait_alu 0xf1ff
	v_xor_b32_e32 v65, s14, v65
	v_dual_mov_b32 v246, v46 :: v_dual_mov_b32 v247, v179
	ds_store_b32 v49, v5
	ds_store_b32 v151, v5
	ds_store_b32 v182, v5
	ds_store_b32 v183, v5
	v_and_b32_e32 v65, v64, v65
	v_add_co_u32 v64, null, v12, v66
	ds_store_b32 v192, v5
	ds_store_b32 v193, v5
	;; [unrolled: 1-line block ×3, first 2 shown]
	v_mbcnt_lo_u32_b32 v4, v65, 0
	v_cmp_ne_u32_e64 s15, 0, v65
	v_add_co_u32 v64, null, v64, 32
	ds_store_b32 v195, v5
	v_cmp_eq_u32_e64 s14, 0, v4
	s_wait_loadcnt_dscnt 0x0
	s_barrier_signal -1
	s_barrier_wait -1
	global_inv scope:SCOPE_SE
	s_and_b32 s15, s15, s14
	; wave barrier
	s_wait_alu 0xfffe
	s_and_saveexec_b32 s14, s15
; %bb.54:                               ;   in Loop: Header=BB1433_53 Depth=1
	v_bcnt_u32_b32 v65, v65, 0
	ds_store_b32 v64, v65
; %bb.55:                               ;   in Loop: Header=BB1433_53 Depth=1
	s_wait_alu 0xfffe
	s_or_b32 exec_lo, exec_lo, s14
	v_cmp_ne_u32_e64 s14, 0x7fffffff, v240
	; wave barrier
	s_wait_alu 0xf1ff
	s_delay_alu instid0(VALU_DEP_1) | instskip(NEXT) | instid1(VALU_DEP_1)
	v_cndmask_b32_e64 v65, 0x80000000, v240, s14
	v_lshrrev_b32_e32 v65, v10, v65
	s_delay_alu instid0(VALU_DEP_1) | instskip(NEXT) | instid1(VALU_DEP_1)
	v_and_b32_e32 v65, v65, v68
	v_and_b32_e32 v66, 1, v65
	v_lshlrev_b32_e32 v67, 30, v65
	v_lshlrev_b32_e32 v69, 29, v65
	;; [unrolled: 1-line block ×4, first 2 shown]
	v_add_co_u32 v66, s14, v66, -1
	s_wait_alu 0xf1ff
	v_cndmask_b32_e64 v71, 0, 1, s14
	v_not_b32_e32 v83, v67
	v_cmp_gt_i32_e64 s15, 0, v67
	v_not_b32_e32 v67, v69
	v_lshlrev_b32_e32 v81, 26, v65
	v_cmp_ne_u32_e64 s14, 0, v71
	v_ashrrev_i32_e32 v83, 31, v83
	v_lshlrev_b32_e32 v82, 25, v65
	v_ashrrev_i32_e32 v67, 31, v67
	v_lshlrev_b32_e32 v71, 24, v65
	s_wait_alu 0xf1ff
	v_xor_b32_e32 v66, s14, v66
	v_cmp_gt_i32_e64 s14, 0, v69
	v_not_b32_e32 v69, v70
	v_xor_b32_e32 v83, s15, v83
	v_cmp_gt_i32_e64 s15, 0, v70
	v_and_b32_e32 v66, exec_lo, v66
	v_not_b32_e32 v70, v80
	v_ashrrev_i32_e32 v69, 31, v69
	s_wait_alu 0xf1ff
	v_xor_b32_e32 v67, s14, v67
	v_cmp_gt_i32_e64 s14, 0, v80
	v_and_b32_e32 v66, v66, v83
	v_not_b32_e32 v80, v81
	v_ashrrev_i32_e32 v70, 31, v70
	v_xor_b32_e32 v69, s15, v69
	v_cmp_gt_i32_e64 s15, 0, v81
	v_and_b32_e32 v66, v66, v67
	v_not_b32_e32 v67, v82
	v_ashrrev_i32_e32 v80, 31, v80
	s_wait_alu 0xf1ff
	v_xor_b32_e32 v70, s14, v70
	v_cmp_gt_i32_e64 s14, 0, v82
	v_and_b32_e32 v66, v66, v69
	v_not_b32_e32 v69, v71
	v_ashrrev_i32_e32 v67, 31, v67
	v_xor_b32_e32 v80, s15, v80
	v_lshl_add_u32 v65, v65, 3, v196
	v_and_b32_e32 v66, v66, v70
	v_cmp_gt_i32_e64 s15, 0, v71
	v_ashrrev_i32_e32 v69, 31, v69
	s_wait_alu 0xf1ff
	v_xor_b32_e32 v67, s14, v67
	v_lshl_add_u32 v70, v65, 2, v12
	v_and_b32_e32 v66, v66, v80
	v_xor_b32_e32 v69, s15, v69
	ds_load_b32 v65, v70 offset:32
	v_and_b32_e32 v66, v66, v67
	v_add_nc_u32_e32 v67, 32, v70
	; wave barrier
	s_delay_alu instid0(VALU_DEP_2) | instskip(NEXT) | instid1(VALU_DEP_1)
	v_and_b32_e32 v69, v66, v69
	v_mbcnt_lo_u32_b32 v66, v69, 0
	v_cmp_ne_u32_e64 s15, 0, v69
	s_delay_alu instid0(VALU_DEP_2)
	v_cmp_eq_u32_e64 s14, 0, v66
	s_and_b32 s15, s15, s14
	s_wait_alu 0xfffe
	s_and_saveexec_b32 s14, s15
	s_cbranch_execz .LBB1433_57
; %bb.56:                               ;   in Loop: Header=BB1433_53 Depth=1
	s_wait_dscnt 0x0
	v_bcnt_u32_b32 v69, v69, v65
	ds_store_b32 v67, v69
.LBB1433_57:                            ;   in Loop: Header=BB1433_53 Depth=1
	s_wait_alu 0xfffe
	s_or_b32 exec_lo, exec_lo, s14
	v_cmp_ne_u32_e64 s14, 0x7fffffff, v231
	; wave barrier
	s_wait_alu 0xf1ff
	s_delay_alu instid0(VALU_DEP_1) | instskip(NEXT) | instid1(VALU_DEP_1)
	v_cndmask_b32_e64 v69, 0x80000000, v231, s14
	v_lshrrev_b32_e32 v69, v10, v69
	s_delay_alu instid0(VALU_DEP_1) | instskip(NEXT) | instid1(VALU_DEP_1)
	v_and_b32_e32 v69, v69, v68
	v_and_b32_e32 v70, 1, v69
	v_lshlrev_b32_e32 v71, 30, v69
	v_lshlrev_b32_e32 v80, 29, v69
	;; [unrolled: 1-line block ×4, first 2 shown]
	v_add_co_u32 v70, s14, v70, -1
	s_wait_alu 0xf1ff
	v_cndmask_b32_e64 v82, 0, 1, s14
	v_not_b32_e32 v86, v71
	v_cmp_gt_i32_e64 s15, 0, v71
	v_not_b32_e32 v71, v80
	v_lshlrev_b32_e32 v84, 26, v69
	v_cmp_ne_u32_e64 s14, 0, v82
	v_ashrrev_i32_e32 v86, 31, v86
	v_lshlrev_b32_e32 v85, 25, v69
	v_ashrrev_i32_e32 v71, 31, v71
	v_lshlrev_b32_e32 v82, 24, v69
	s_wait_alu 0xf1ff
	v_xor_b32_e32 v70, s14, v70
	v_cmp_gt_i32_e64 s14, 0, v80
	v_not_b32_e32 v80, v81
	v_xor_b32_e32 v86, s15, v86
	v_cmp_gt_i32_e64 s15, 0, v81
	v_and_b32_e32 v70, exec_lo, v70
	v_not_b32_e32 v81, v83
	v_ashrrev_i32_e32 v80, 31, v80
	s_wait_alu 0xf1ff
	v_xor_b32_e32 v71, s14, v71
	v_cmp_gt_i32_e64 s14, 0, v83
	v_and_b32_e32 v70, v70, v86
	v_not_b32_e32 v83, v84
	v_ashrrev_i32_e32 v81, 31, v81
	v_xor_b32_e32 v80, s15, v80
	v_cmp_gt_i32_e64 s15, 0, v84
	v_and_b32_e32 v70, v70, v71
	v_not_b32_e32 v71, v85
	v_ashrrev_i32_e32 v83, 31, v83
	s_wait_alu 0xf1ff
	v_xor_b32_e32 v81, s14, v81
	v_cmp_gt_i32_e64 s14, 0, v85
	v_and_b32_e32 v70, v70, v80
	v_not_b32_e32 v80, v82
	v_ashrrev_i32_e32 v71, 31, v71
	v_xor_b32_e32 v83, s15, v83
	v_lshl_add_u32 v69, v69, 3, v196
	v_and_b32_e32 v70, v70, v81
	v_cmp_gt_i32_e64 s15, 0, v82
	v_ashrrev_i32_e32 v80, 31, v80
	s_wait_alu 0xf1ff
	v_xor_b32_e32 v71, s14, v71
	v_lshl_add_u32 v81, v69, 2, v12
	v_and_b32_e32 v70, v70, v83
	v_xor_b32_e32 v80, s15, v80
	ds_load_b32 v69, v81 offset:32
	v_and_b32_e32 v70, v70, v71
	v_add_nc_u32_e32 v71, 32, v81
	; wave barrier
	s_delay_alu instid0(VALU_DEP_2) | instskip(NEXT) | instid1(VALU_DEP_1)
	v_and_b32_e32 v80, v70, v80
	v_mbcnt_lo_u32_b32 v70, v80, 0
	v_cmp_ne_u32_e64 s15, 0, v80
	s_delay_alu instid0(VALU_DEP_2)
	v_cmp_eq_u32_e64 s14, 0, v70
	s_and_b32 s15, s15, s14
	s_wait_alu 0xfffe
	s_and_saveexec_b32 s14, s15
	s_cbranch_execz .LBB1433_59
; %bb.58:                               ;   in Loop: Header=BB1433_53 Depth=1
	s_wait_dscnt 0x0
	v_bcnt_u32_b32 v80, v80, v69
	ds_store_b32 v71, v80
.LBB1433_59:                            ;   in Loop: Header=BB1433_53 Depth=1
	s_wait_alu 0xfffe
	s_or_b32 exec_lo, exec_lo, s14
	v_cmp_ne_u32_e64 s14, 0x7fffffff, v230
	; wave barrier
	s_wait_alu 0xf1ff
	s_delay_alu instid0(VALU_DEP_1) | instskip(NEXT) | instid1(VALU_DEP_1)
	v_cndmask_b32_e64 v80, 0x80000000, v230, s14
	v_lshrrev_b32_e32 v80, v10, v80
	s_delay_alu instid0(VALU_DEP_1) | instskip(NEXT) | instid1(VALU_DEP_1)
	v_and_b32_e32 v80, v80, v68
	v_and_b32_e32 v81, 1, v80
	v_lshlrev_b32_e32 v82, 30, v80
	v_lshlrev_b32_e32 v83, 29, v80
	;; [unrolled: 1-line block ×4, first 2 shown]
	v_add_co_u32 v81, s14, v81, -1
	s_wait_alu 0xf1ff
	v_cndmask_b32_e64 v85, 0, 1, s14
	v_not_b32_e32 v97, v82
	v_cmp_gt_i32_e64 s15, 0, v82
	v_not_b32_e32 v82, v83
	v_lshlrev_b32_e32 v87, 26, v80
	v_cmp_ne_u32_e64 s14, 0, v85
	v_ashrrev_i32_e32 v97, 31, v97
	v_lshlrev_b32_e32 v96, 25, v80
	v_ashrrev_i32_e32 v82, 31, v82
	v_lshlrev_b32_e32 v85, 24, v80
	s_wait_alu 0xf1ff
	v_xor_b32_e32 v81, s14, v81
	v_cmp_gt_i32_e64 s14, 0, v83
	v_not_b32_e32 v83, v84
	v_xor_b32_e32 v97, s15, v97
	v_cmp_gt_i32_e64 s15, 0, v84
	v_and_b32_e32 v81, exec_lo, v81
	v_not_b32_e32 v84, v86
	v_ashrrev_i32_e32 v83, 31, v83
	s_wait_alu 0xf1ff
	v_xor_b32_e32 v82, s14, v82
	v_cmp_gt_i32_e64 s14, 0, v86
	v_and_b32_e32 v81, v81, v97
	v_not_b32_e32 v86, v87
	v_ashrrev_i32_e32 v84, 31, v84
	v_xor_b32_e32 v83, s15, v83
	v_cmp_gt_i32_e64 s15, 0, v87
	v_and_b32_e32 v81, v81, v82
	v_not_b32_e32 v82, v96
	v_ashrrev_i32_e32 v86, 31, v86
	s_wait_alu 0xf1ff
	v_xor_b32_e32 v84, s14, v84
	v_cmp_gt_i32_e64 s14, 0, v96
	v_and_b32_e32 v81, v81, v83
	v_not_b32_e32 v83, v85
	v_ashrrev_i32_e32 v82, 31, v82
	v_xor_b32_e32 v86, s15, v86
	v_lshl_add_u32 v80, v80, 3, v196
	v_and_b32_e32 v81, v81, v84
	v_cmp_gt_i32_e64 s15, 0, v85
	v_ashrrev_i32_e32 v83, 31, v83
	s_wait_alu 0xf1ff
	v_xor_b32_e32 v82, s14, v82
	v_lshl_add_u32 v84, v80, 2, v12
	v_and_b32_e32 v81, v81, v86
	v_xor_b32_e32 v83, s15, v83
	ds_load_b32 v80, v84 offset:32
	v_and_b32_e32 v81, v81, v82
	v_add_nc_u32_e32 v82, 32, v84
	; wave barrier
	s_delay_alu instid0(VALU_DEP_2) | instskip(NEXT) | instid1(VALU_DEP_1)
	v_and_b32_e32 v83, v81, v83
	v_mbcnt_lo_u32_b32 v81, v83, 0
	v_cmp_ne_u32_e64 s15, 0, v83
	s_delay_alu instid0(VALU_DEP_2)
	v_cmp_eq_u32_e64 s14, 0, v81
	s_and_b32 s15, s15, s14
	s_wait_alu 0xfffe
	s_and_saveexec_b32 s14, s15
	s_cbranch_execz .LBB1433_61
; %bb.60:                               ;   in Loop: Header=BB1433_53 Depth=1
	s_wait_dscnt 0x0
	v_bcnt_u32_b32 v83, v83, v80
	ds_store_b32 v82, v83
.LBB1433_61:                            ;   in Loop: Header=BB1433_53 Depth=1
	s_wait_alu 0xfffe
	s_or_b32 exec_lo, exec_lo, s14
	v_cmp_ne_u32_e64 s14, 0x7fffffff, v241
	; wave barrier
	s_wait_alu 0xf1ff
	s_delay_alu instid0(VALU_DEP_1) | instskip(NEXT) | instid1(VALU_DEP_1)
	v_cndmask_b32_e64 v83, 0x80000000, v241, s14
	v_lshrrev_b32_e32 v83, v10, v83
	s_delay_alu instid0(VALU_DEP_1) | instskip(NEXT) | instid1(VALU_DEP_1)
	v_and_b32_e32 v83, v83, v68
	v_and_b32_e32 v84, 1, v83
	v_lshlrev_b32_e32 v85, 30, v83
	v_lshlrev_b32_e32 v86, 29, v83
	;; [unrolled: 1-line block ×4, first 2 shown]
	v_add_co_u32 v84, s14, v84, -1
	s_wait_alu 0xf1ff
	v_cndmask_b32_e64 v96, 0, 1, s14
	v_not_b32_e32 v100, v85
	v_cmp_gt_i32_e64 s15, 0, v85
	v_not_b32_e32 v85, v86
	v_lshlrev_b32_e32 v98, 26, v83
	v_cmp_ne_u32_e64 s14, 0, v96
	v_ashrrev_i32_e32 v100, 31, v100
	v_lshlrev_b32_e32 v99, 25, v83
	v_ashrrev_i32_e32 v85, 31, v85
	v_lshlrev_b32_e32 v96, 24, v83
	s_wait_alu 0xf1ff
	v_xor_b32_e32 v84, s14, v84
	v_cmp_gt_i32_e64 s14, 0, v86
	v_not_b32_e32 v86, v87
	v_xor_b32_e32 v100, s15, v100
	v_cmp_gt_i32_e64 s15, 0, v87
	v_and_b32_e32 v84, exec_lo, v84
	v_not_b32_e32 v87, v97
	v_ashrrev_i32_e32 v86, 31, v86
	s_wait_alu 0xf1ff
	v_xor_b32_e32 v85, s14, v85
	v_cmp_gt_i32_e64 s14, 0, v97
	v_and_b32_e32 v84, v84, v100
	v_not_b32_e32 v97, v98
	v_ashrrev_i32_e32 v87, 31, v87
	v_xor_b32_e32 v86, s15, v86
	v_cmp_gt_i32_e64 s15, 0, v98
	v_and_b32_e32 v84, v84, v85
	v_not_b32_e32 v85, v99
	v_ashrrev_i32_e32 v97, 31, v97
	s_wait_alu 0xf1ff
	v_xor_b32_e32 v87, s14, v87
	v_cmp_gt_i32_e64 s14, 0, v99
	v_and_b32_e32 v84, v84, v86
	v_not_b32_e32 v86, v96
	v_ashrrev_i32_e32 v85, 31, v85
	v_xor_b32_e32 v97, s15, v97
	v_lshl_add_u32 v83, v83, 3, v196
	v_and_b32_e32 v84, v84, v87
	v_cmp_gt_i32_e64 s15, 0, v96
	v_ashrrev_i32_e32 v86, 31, v86
	s_wait_alu 0xf1ff
	v_xor_b32_e32 v85, s14, v85
	v_lshl_add_u32 v87, v83, 2, v12
	v_and_b32_e32 v84, v84, v97
	v_xor_b32_e32 v86, s15, v86
	ds_load_b32 v83, v87 offset:32
	v_and_b32_e32 v84, v84, v85
	v_add_nc_u32_e32 v85, 32, v87
	; wave barrier
	s_delay_alu instid0(VALU_DEP_2) | instskip(NEXT) | instid1(VALU_DEP_1)
	v_and_b32_e32 v86, v84, v86
	v_mbcnt_lo_u32_b32 v84, v86, 0
	v_cmp_ne_u32_e64 s15, 0, v86
	s_delay_alu instid0(VALU_DEP_2)
	v_cmp_eq_u32_e64 s14, 0, v84
	s_and_b32 s15, s15, s14
	s_wait_alu 0xfffe
	s_and_saveexec_b32 s14, s15
	s_cbranch_execz .LBB1433_63
; %bb.62:                               ;   in Loop: Header=BB1433_53 Depth=1
	s_wait_dscnt 0x0
	v_bcnt_u32_b32 v86, v86, v83
	ds_store_b32 v85, v86
.LBB1433_63:                            ;   in Loop: Header=BB1433_53 Depth=1
	s_wait_alu 0xfffe
	s_or_b32 exec_lo, exec_lo, s14
	v_cmp_ne_u32_e64 s14, 0x7fffffff, v243
	; wave barrier
	s_wait_alu 0xf1ff
	s_delay_alu instid0(VALU_DEP_1) | instskip(NEXT) | instid1(VALU_DEP_1)
	v_cndmask_b32_e64 v86, 0x80000000, v243, s14
	v_lshrrev_b32_e32 v86, v10, v86
	s_delay_alu instid0(VALU_DEP_1) | instskip(NEXT) | instid1(VALU_DEP_1)
	v_and_b32_e32 v86, v86, v68
	v_and_b32_e32 v87, 1, v86
	v_lshlrev_b32_e32 v96, 30, v86
	v_lshlrev_b32_e32 v97, 29, v86
	;; [unrolled: 1-line block ×4, first 2 shown]
	v_add_co_u32 v87, s14, v87, -1
	s_wait_alu 0xf1ff
	v_cndmask_b32_e64 v99, 0, 1, s14
	v_not_b32_e32 v103, v96
	v_cmp_gt_i32_e64 s15, 0, v96
	v_not_b32_e32 v96, v97
	v_lshlrev_b32_e32 v101, 26, v86
	v_cmp_ne_u32_e64 s14, 0, v99
	v_ashrrev_i32_e32 v103, 31, v103
	v_lshlrev_b32_e32 v102, 25, v86
	v_ashrrev_i32_e32 v96, 31, v96
	v_lshlrev_b32_e32 v99, 24, v86
	s_wait_alu 0xf1ff
	v_xor_b32_e32 v87, s14, v87
	v_cmp_gt_i32_e64 s14, 0, v97
	v_not_b32_e32 v97, v98
	v_xor_b32_e32 v103, s15, v103
	v_cmp_gt_i32_e64 s15, 0, v98
	v_and_b32_e32 v87, exec_lo, v87
	v_not_b32_e32 v98, v100
	v_ashrrev_i32_e32 v97, 31, v97
	s_wait_alu 0xf1ff
	v_xor_b32_e32 v96, s14, v96
	v_cmp_gt_i32_e64 s14, 0, v100
	v_and_b32_e32 v87, v87, v103
	v_not_b32_e32 v100, v101
	v_ashrrev_i32_e32 v98, 31, v98
	v_xor_b32_e32 v97, s15, v97
	v_cmp_gt_i32_e64 s15, 0, v101
	v_and_b32_e32 v87, v87, v96
	v_not_b32_e32 v96, v102
	v_ashrrev_i32_e32 v100, 31, v100
	s_wait_alu 0xf1ff
	v_xor_b32_e32 v98, s14, v98
	v_cmp_gt_i32_e64 s14, 0, v102
	v_and_b32_e32 v87, v87, v97
	v_not_b32_e32 v97, v99
	v_ashrrev_i32_e32 v96, 31, v96
	v_xor_b32_e32 v100, s15, v100
	v_lshl_add_u32 v86, v86, 3, v196
	v_and_b32_e32 v87, v87, v98
	v_cmp_gt_i32_e64 s15, 0, v99
	v_ashrrev_i32_e32 v97, 31, v97
	s_wait_alu 0xf1ff
	v_xor_b32_e32 v96, s14, v96
	v_lshl_add_u32 v98, v86, 2, v12
	v_and_b32_e32 v87, v87, v100
	v_xor_b32_e32 v97, s15, v97
	ds_load_b32 v86, v98 offset:32
	v_and_b32_e32 v87, v87, v96
	v_add_nc_u32_e32 v96, 32, v98
	; wave barrier
	s_delay_alu instid0(VALU_DEP_2) | instskip(NEXT) | instid1(VALU_DEP_1)
	v_and_b32_e32 v97, v87, v97
	v_mbcnt_lo_u32_b32 v87, v97, 0
	v_cmp_ne_u32_e64 s15, 0, v97
	s_delay_alu instid0(VALU_DEP_2)
	v_cmp_eq_u32_e64 s14, 0, v87
	s_and_b32 s15, s15, s14
	s_wait_alu 0xfffe
	s_and_saveexec_b32 s14, s15
	s_cbranch_execz .LBB1433_65
; %bb.64:                               ;   in Loop: Header=BB1433_53 Depth=1
	s_wait_dscnt 0x0
	v_bcnt_u32_b32 v97, v97, v86
	ds_store_b32 v96, v97
.LBB1433_65:                            ;   in Loop: Header=BB1433_53 Depth=1
	s_wait_alu 0xfffe
	s_or_b32 exec_lo, exec_lo, s14
	v_cmp_ne_u32_e64 s14, 0x7fffffff, v242
	; wave barrier
	s_wait_alu 0xf1ff
	s_delay_alu instid0(VALU_DEP_1) | instskip(NEXT) | instid1(VALU_DEP_1)
	v_cndmask_b32_e64 v97, 0x80000000, v242, s14
	v_lshrrev_b32_e32 v97, v10, v97
	s_delay_alu instid0(VALU_DEP_1) | instskip(NEXT) | instid1(VALU_DEP_1)
	v_and_b32_e32 v97, v97, v68
	v_and_b32_e32 v98, 1, v97
	v_lshlrev_b32_e32 v99, 30, v97
	v_lshlrev_b32_e32 v100, 29, v97
	;; [unrolled: 1-line block ×4, first 2 shown]
	v_add_co_u32 v98, s14, v98, -1
	s_wait_alu 0xf1ff
	v_cndmask_b32_e64 v102, 0, 1, s14
	v_not_b32_e32 v114, v99
	v_cmp_gt_i32_e64 s15, 0, v99
	v_not_b32_e32 v99, v100
	v_lshlrev_b32_e32 v112, 26, v97
	v_cmp_ne_u32_e64 s14, 0, v102
	v_ashrrev_i32_e32 v114, 31, v114
	v_lshlrev_b32_e32 v113, 25, v97
	v_ashrrev_i32_e32 v99, 31, v99
	v_lshlrev_b32_e32 v102, 24, v97
	s_wait_alu 0xf1ff
	v_xor_b32_e32 v98, s14, v98
	v_cmp_gt_i32_e64 s14, 0, v100
	v_not_b32_e32 v100, v101
	v_xor_b32_e32 v114, s15, v114
	v_cmp_gt_i32_e64 s15, 0, v101
	v_and_b32_e32 v98, exec_lo, v98
	v_not_b32_e32 v101, v103
	v_ashrrev_i32_e32 v100, 31, v100
	s_wait_alu 0xf1ff
	v_xor_b32_e32 v99, s14, v99
	v_cmp_gt_i32_e64 s14, 0, v103
	v_and_b32_e32 v98, v98, v114
	v_not_b32_e32 v103, v112
	v_ashrrev_i32_e32 v101, 31, v101
	v_xor_b32_e32 v100, s15, v100
	v_cmp_gt_i32_e64 s15, 0, v112
	v_and_b32_e32 v98, v98, v99
	v_not_b32_e32 v99, v113
	v_ashrrev_i32_e32 v103, 31, v103
	s_wait_alu 0xf1ff
	v_xor_b32_e32 v101, s14, v101
	v_cmp_gt_i32_e64 s14, 0, v113
	v_and_b32_e32 v98, v98, v100
	v_not_b32_e32 v100, v102
	v_ashrrev_i32_e32 v99, 31, v99
	v_xor_b32_e32 v103, s15, v103
	v_lshl_add_u32 v97, v97, 3, v196
	v_and_b32_e32 v98, v98, v101
	v_cmp_gt_i32_e64 s15, 0, v102
	v_ashrrev_i32_e32 v100, 31, v100
	s_wait_alu 0xf1ff
	v_xor_b32_e32 v99, s14, v99
	v_lshl_add_u32 v101, v97, 2, v12
	v_and_b32_e32 v98, v98, v103
	v_xor_b32_e32 v100, s15, v100
	ds_load_b32 v97, v101 offset:32
	v_and_b32_e32 v98, v98, v99
	v_add_nc_u32_e32 v99, 32, v101
	; wave barrier
	s_delay_alu instid0(VALU_DEP_2) | instskip(NEXT) | instid1(VALU_DEP_1)
	v_and_b32_e32 v100, v98, v100
	v_mbcnt_lo_u32_b32 v98, v100, 0
	v_cmp_ne_u32_e64 s15, 0, v100
	s_delay_alu instid0(VALU_DEP_2)
	v_cmp_eq_u32_e64 s14, 0, v98
	s_and_b32 s15, s15, s14
	s_wait_alu 0xfffe
	s_and_saveexec_b32 s14, s15
	s_cbranch_execz .LBB1433_67
; %bb.66:                               ;   in Loop: Header=BB1433_53 Depth=1
	s_wait_dscnt 0x0
	v_bcnt_u32_b32 v100, v100, v97
	ds_store_b32 v99, v100
.LBB1433_67:                            ;   in Loop: Header=BB1433_53 Depth=1
	s_wait_alu 0xfffe
	s_or_b32 exec_lo, exec_lo, s14
	v_cmp_ne_u32_e64 s14, 0x7fffffff, v244
	; wave barrier
	s_wait_alu 0xf1ff
	s_delay_alu instid0(VALU_DEP_1) | instskip(NEXT) | instid1(VALU_DEP_1)
	v_cndmask_b32_e64 v100, 0x80000000, v244, s14
	v_lshrrev_b32_e32 v100, v10, v100
	s_delay_alu instid0(VALU_DEP_1) | instskip(NEXT) | instid1(VALU_DEP_1)
	v_and_b32_e32 v100, v100, v68
	v_and_b32_e32 v101, 1, v100
	v_lshlrev_b32_e32 v102, 30, v100
	v_lshlrev_b32_e32 v103, 29, v100
	;; [unrolled: 1-line block ×4, first 2 shown]
	v_add_co_u32 v101, s14, v101, -1
	s_wait_alu 0xf1ff
	v_cndmask_b32_e64 v113, 0, 1, s14
	v_not_b32_e32 v117, v102
	v_cmp_gt_i32_e64 s15, 0, v102
	v_not_b32_e32 v102, v103
	v_lshlrev_b32_e32 v115, 26, v100
	v_cmp_ne_u32_e64 s14, 0, v113
	v_ashrrev_i32_e32 v117, 31, v117
	v_lshlrev_b32_e32 v116, 25, v100
	v_ashrrev_i32_e32 v102, 31, v102
	v_lshlrev_b32_e32 v113, 24, v100
	s_wait_alu 0xf1ff
	v_xor_b32_e32 v101, s14, v101
	v_cmp_gt_i32_e64 s14, 0, v103
	v_not_b32_e32 v103, v112
	v_xor_b32_e32 v117, s15, v117
	v_cmp_gt_i32_e64 s15, 0, v112
	v_and_b32_e32 v101, exec_lo, v101
	v_not_b32_e32 v112, v114
	v_ashrrev_i32_e32 v103, 31, v103
	s_wait_alu 0xf1ff
	v_xor_b32_e32 v102, s14, v102
	v_cmp_gt_i32_e64 s14, 0, v114
	v_and_b32_e32 v101, v101, v117
	v_not_b32_e32 v114, v115
	v_ashrrev_i32_e32 v112, 31, v112
	v_xor_b32_e32 v103, s15, v103
	v_cmp_gt_i32_e64 s15, 0, v115
	v_and_b32_e32 v101, v101, v102
	v_not_b32_e32 v102, v116
	v_ashrrev_i32_e32 v114, 31, v114
	s_wait_alu 0xf1ff
	v_xor_b32_e32 v112, s14, v112
	v_cmp_gt_i32_e64 s14, 0, v116
	v_and_b32_e32 v101, v101, v103
	v_not_b32_e32 v103, v113
	v_ashrrev_i32_e32 v102, 31, v102
	v_xor_b32_e32 v114, s15, v114
	v_lshl_add_u32 v100, v100, 3, v196
	v_and_b32_e32 v101, v101, v112
	v_cmp_gt_i32_e64 s15, 0, v113
	v_ashrrev_i32_e32 v103, 31, v103
	s_wait_alu 0xf1ff
	v_xor_b32_e32 v102, s14, v102
	v_lshl_add_u32 v112, v100, 2, v12
	v_and_b32_e32 v101, v101, v114
	v_xor_b32_e32 v103, s15, v103
	ds_load_b32 v100, v112 offset:32
	v_and_b32_e32 v101, v101, v102
	v_add_nc_u32_e32 v102, 32, v112
	; wave barrier
	s_delay_alu instid0(VALU_DEP_2) | instskip(NEXT) | instid1(VALU_DEP_1)
	v_and_b32_e32 v103, v101, v103
	v_mbcnt_lo_u32_b32 v101, v103, 0
	v_cmp_ne_u32_e64 s15, 0, v103
	s_delay_alu instid0(VALU_DEP_2)
	v_cmp_eq_u32_e64 s14, 0, v101
	s_and_b32 s15, s15, s14
	s_wait_alu 0xfffe
	s_and_saveexec_b32 s14, s15
	s_cbranch_execz .LBB1433_69
; %bb.68:                               ;   in Loop: Header=BB1433_53 Depth=1
	s_wait_dscnt 0x0
	v_bcnt_u32_b32 v103, v103, v100
	ds_store_b32 v102, v103
.LBB1433_69:                            ;   in Loop: Header=BB1433_53 Depth=1
	s_wait_alu 0xfffe
	s_or_b32 exec_lo, exec_lo, s14
	v_cmp_ne_u32_e64 s14, 0x7fffffff, v245
	; wave barrier
	s_wait_alu 0xf1ff
	s_delay_alu instid0(VALU_DEP_1) | instskip(NEXT) | instid1(VALU_DEP_1)
	v_cndmask_b32_e64 v103, 0x80000000, v245, s14
	v_lshrrev_b32_e32 v103, v10, v103
	s_delay_alu instid0(VALU_DEP_1) | instskip(NEXT) | instid1(VALU_DEP_1)
	v_and_b32_e32 v103, v103, v68
	v_and_b32_e32 v112, 1, v103
	v_lshlrev_b32_e32 v113, 30, v103
	v_lshlrev_b32_e32 v114, 29, v103
	;; [unrolled: 1-line block ×4, first 2 shown]
	v_add_co_u32 v112, s14, v112, -1
	s_wait_alu 0xf1ff
	v_cndmask_b32_e64 v116, 0, 1, s14
	v_not_b32_e32 v129, v113
	v_cmp_gt_i32_e64 s15, 0, v113
	v_not_b32_e32 v113, v114
	v_lshlrev_b32_e32 v118, 26, v103
	v_cmp_ne_u32_e64 s14, 0, v116
	v_ashrrev_i32_e32 v129, 31, v129
	v_lshlrev_b32_e32 v128, 25, v103
	v_ashrrev_i32_e32 v113, 31, v113
	v_lshlrev_b32_e32 v116, 24, v103
	s_wait_alu 0xf1ff
	v_xor_b32_e32 v112, s14, v112
	v_cmp_gt_i32_e64 s14, 0, v114
	v_not_b32_e32 v114, v115
	v_xor_b32_e32 v129, s15, v129
	v_cmp_gt_i32_e64 s15, 0, v115
	v_and_b32_e32 v112, exec_lo, v112
	v_not_b32_e32 v115, v117
	v_ashrrev_i32_e32 v114, 31, v114
	s_wait_alu 0xf1ff
	v_xor_b32_e32 v113, s14, v113
	v_cmp_gt_i32_e64 s14, 0, v117
	v_and_b32_e32 v112, v112, v129
	v_not_b32_e32 v117, v118
	v_ashrrev_i32_e32 v115, 31, v115
	v_xor_b32_e32 v114, s15, v114
	v_cmp_gt_i32_e64 s15, 0, v118
	v_and_b32_e32 v112, v112, v113
	v_not_b32_e32 v113, v128
	v_ashrrev_i32_e32 v117, 31, v117
	s_wait_alu 0xf1ff
	v_xor_b32_e32 v115, s14, v115
	v_cmp_gt_i32_e64 s14, 0, v128
	v_and_b32_e32 v112, v112, v114
	v_not_b32_e32 v114, v116
	v_ashrrev_i32_e32 v113, 31, v113
	v_xor_b32_e32 v117, s15, v117
	v_lshl_add_u32 v103, v103, 3, v196
	v_and_b32_e32 v112, v112, v115
	v_cmp_gt_i32_e64 s15, 0, v116
	v_ashrrev_i32_e32 v114, 31, v114
	s_wait_alu 0xf1ff
	v_xor_b32_e32 v113, s14, v113
	v_lshl_add_u32 v115, v103, 2, v12
	v_and_b32_e32 v112, v112, v117
	v_xor_b32_e32 v114, s15, v114
	ds_load_b32 v103, v115 offset:32
	v_and_b32_e32 v112, v112, v113
	v_add_nc_u32_e32 v113, 32, v115
	; wave barrier
	s_delay_alu instid0(VALU_DEP_2) | instskip(NEXT) | instid1(VALU_DEP_1)
	v_and_b32_e32 v114, v112, v114
	v_mbcnt_lo_u32_b32 v112, v114, 0
	v_cmp_ne_u32_e64 s15, 0, v114
	s_delay_alu instid0(VALU_DEP_2)
	v_cmp_eq_u32_e64 s14, 0, v112
	s_and_b32 s15, s15, s14
	s_wait_alu 0xfffe
	s_and_saveexec_b32 s14, s15
	s_cbranch_execz .LBB1433_71
; %bb.70:                               ;   in Loop: Header=BB1433_53 Depth=1
	s_wait_dscnt 0x0
	v_bcnt_u32_b32 v114, v114, v103
	ds_store_b32 v113, v114
.LBB1433_71:                            ;   in Loop: Header=BB1433_53 Depth=1
	s_wait_alu 0xfffe
	s_or_b32 exec_lo, exec_lo, s14
	v_cmp_ne_u32_e64 s14, 0x7fffffff, v246
	; wave barrier
	s_wait_alu 0xf1ff
	s_delay_alu instid0(VALU_DEP_1) | instskip(NEXT) | instid1(VALU_DEP_1)
	v_cndmask_b32_e64 v114, 0x80000000, v246, s14
	v_lshrrev_b32_e32 v114, v10, v114
	s_delay_alu instid0(VALU_DEP_1) | instskip(NEXT) | instid1(VALU_DEP_1)
	v_and_b32_e32 v114, v114, v68
	v_and_b32_e32 v115, 1, v114
	v_lshlrev_b32_e32 v116, 30, v114
	v_lshlrev_b32_e32 v117, 29, v114
	;; [unrolled: 1-line block ×4, first 2 shown]
	v_add_co_u32 v115, s14, v115, -1
	s_wait_alu 0xf1ff
	v_cndmask_b32_e64 v128, 0, 1, s14
	v_not_b32_e32 v132, v116
	v_cmp_gt_i32_e64 s15, 0, v116
	v_not_b32_e32 v116, v117
	v_lshlrev_b32_e32 v130, 26, v114
	v_cmp_ne_u32_e64 s14, 0, v128
	v_ashrrev_i32_e32 v132, 31, v132
	v_lshlrev_b32_e32 v131, 25, v114
	v_ashrrev_i32_e32 v116, 31, v116
	v_lshlrev_b32_e32 v128, 24, v114
	s_wait_alu 0xf1ff
	v_xor_b32_e32 v115, s14, v115
	v_cmp_gt_i32_e64 s14, 0, v117
	v_not_b32_e32 v117, v118
	v_xor_b32_e32 v132, s15, v132
	v_cmp_gt_i32_e64 s15, 0, v118
	v_and_b32_e32 v115, exec_lo, v115
	v_not_b32_e32 v118, v129
	v_ashrrev_i32_e32 v117, 31, v117
	s_wait_alu 0xf1ff
	v_xor_b32_e32 v116, s14, v116
	v_cmp_gt_i32_e64 s14, 0, v129
	v_and_b32_e32 v115, v115, v132
	v_not_b32_e32 v129, v130
	v_ashrrev_i32_e32 v118, 31, v118
	v_xor_b32_e32 v117, s15, v117
	v_cmp_gt_i32_e64 s15, 0, v130
	v_and_b32_e32 v115, v115, v116
	v_not_b32_e32 v116, v131
	v_ashrrev_i32_e32 v129, 31, v129
	s_wait_alu 0xf1ff
	v_xor_b32_e32 v118, s14, v118
	v_cmp_gt_i32_e64 s14, 0, v131
	v_and_b32_e32 v115, v115, v117
	v_not_b32_e32 v117, v128
	v_ashrrev_i32_e32 v116, 31, v116
	v_xor_b32_e32 v129, s15, v129
	v_lshl_add_u32 v114, v114, 3, v196
	v_and_b32_e32 v115, v115, v118
	v_cmp_gt_i32_e64 s15, 0, v128
	v_ashrrev_i32_e32 v117, 31, v117
	s_wait_alu 0xf1ff
	v_xor_b32_e32 v116, s14, v116
	v_lshl_add_u32 v114, v114, 2, v12
	v_and_b32_e32 v115, v115, v129
	v_xor_b32_e32 v117, s15, v117
	ds_load_b32 v118, v114 offset:32
	v_and_b32_e32 v115, v115, v116
	v_add_nc_u32_e32 v114, 32, v114
	; wave barrier
	s_delay_alu instid0(VALU_DEP_2) | instskip(NEXT) | instid1(VALU_DEP_1)
	v_and_b32_e32 v115, v115, v117
	v_mbcnt_lo_u32_b32 v148, v115, 0
	v_cmp_ne_u32_e64 s15, 0, v115
	s_delay_alu instid0(VALU_DEP_2)
	v_cmp_eq_u32_e64 s14, 0, v148
	s_and_b32 s15, s15, s14
	s_wait_alu 0xfffe
	s_and_saveexec_b32 s14, s15
	s_cbranch_execz .LBB1433_73
; %bb.72:                               ;   in Loop: Header=BB1433_53 Depth=1
	s_wait_dscnt 0x0
	v_bcnt_u32_b32 v115, v115, v118
	ds_store_b32 v114, v115
.LBB1433_73:                            ;   in Loop: Header=BB1433_53 Depth=1
	s_wait_alu 0xfffe
	s_or_b32 exec_lo, exec_lo, s14
	v_cmp_ne_u32_e64 s14, 0x7fffffff, v247
	; wave barrier
	s_wait_alu 0xf1ff
	s_delay_alu instid0(VALU_DEP_1) | instskip(NEXT) | instid1(VALU_DEP_1)
	v_cndmask_b32_e64 v115, 0x80000000, v247, s14
	v_lshrrev_b32_e32 v115, v10, v115
	s_delay_alu instid0(VALU_DEP_1) | instskip(NEXT) | instid1(VALU_DEP_1)
	v_and_b32_e32 v115, v115, v68
	v_and_b32_e32 v116, 1, v115
	v_lshlrev_b32_e32 v117, 30, v115
	v_lshlrev_b32_e32 v128, 29, v115
	;; [unrolled: 1-line block ×4, first 2 shown]
	v_add_co_u32 v116, s14, v116, -1
	s_wait_alu 0xf1ff
	v_cndmask_b32_e64 v130, 0, 1, s14
	v_not_b32_e32 v134, v117
	v_cmp_gt_i32_e64 s15, 0, v117
	v_not_b32_e32 v117, v128
	v_lshlrev_b32_e32 v132, 26, v115
	v_cmp_ne_u32_e64 s14, 0, v130
	v_ashrrev_i32_e32 v134, 31, v134
	v_lshlrev_b32_e32 v133, 25, v115
	v_ashrrev_i32_e32 v117, 31, v117
	v_lshlrev_b32_e32 v130, 24, v115
	s_wait_alu 0xf1ff
	v_xor_b32_e32 v116, s14, v116
	v_cmp_gt_i32_e64 s14, 0, v128
	v_not_b32_e32 v128, v129
	v_xor_b32_e32 v134, s15, v134
	v_cmp_gt_i32_e64 s15, 0, v129
	v_and_b32_e32 v116, exec_lo, v116
	v_not_b32_e32 v129, v131
	v_ashrrev_i32_e32 v128, 31, v128
	s_wait_alu 0xf1ff
	v_xor_b32_e32 v117, s14, v117
	v_cmp_gt_i32_e64 s14, 0, v131
	v_and_b32_e32 v116, v116, v134
	v_not_b32_e32 v131, v132
	v_ashrrev_i32_e32 v129, 31, v129
	v_xor_b32_e32 v128, s15, v128
	v_cmp_gt_i32_e64 s15, 0, v132
	v_and_b32_e32 v116, v116, v117
	v_not_b32_e32 v117, v133
	v_ashrrev_i32_e32 v131, 31, v131
	s_wait_alu 0xf1ff
	v_xor_b32_e32 v129, s14, v129
	v_cmp_gt_i32_e64 s14, 0, v133
	v_and_b32_e32 v116, v116, v128
	v_not_b32_e32 v128, v130
	v_ashrrev_i32_e32 v117, 31, v117
	v_xor_b32_e32 v131, s15, v131
	v_lshl_add_u32 v115, v115, 3, v196
	v_and_b32_e32 v116, v116, v129
	v_cmp_gt_i32_e64 s15, 0, v130
	v_ashrrev_i32_e32 v128, 31, v128
	s_wait_alu 0xf1ff
	v_xor_b32_e32 v117, s14, v117
	v_lshl_add_u32 v129, v115, 2, v12
	v_and_b32_e32 v116, v116, v131
	v_xor_b32_e32 v115, s15, v128
	ds_load_b32 v150, v129 offset:32
	v_and_b32_e32 v116, v116, v117
	; wave barrier
	s_delay_alu instid0(VALU_DEP_1) | instskip(SKIP_1) | instid1(VALU_DEP_2)
	v_and_b32_e32 v115, v116, v115
	v_add_nc_u32_e32 v116, 32, v129
	v_mbcnt_lo_u32_b32 v160, v115, 0
	v_cmp_ne_u32_e64 s15, 0, v115
	s_delay_alu instid0(VALU_DEP_2)
	v_cmp_eq_u32_e64 s14, 0, v160
	s_and_b32 s15, s15, s14
	s_wait_alu 0xfffe
	s_and_saveexec_b32 s14, s15
	s_cbranch_execz .LBB1433_75
; %bb.74:                               ;   in Loop: Header=BB1433_53 Depth=1
	s_wait_dscnt 0x0
	v_bcnt_u32_b32 v115, v115, v150
	ds_store_b32 v116, v115
.LBB1433_75:                            ;   in Loop: Header=BB1433_53 Depth=1
	s_wait_alu 0xfffe
	s_or_b32 exec_lo, exec_lo, s14
	v_cmp_ne_u32_e64 s14, 0x7fffffff, v40
	; wave barrier
	s_wait_alu 0xf1ff
	s_delay_alu instid0(VALU_DEP_1) | instskip(NEXT) | instid1(VALU_DEP_1)
	v_cndmask_b32_e64 v115, 0x80000000, v40, s14
	v_lshrrev_b32_e32 v115, v10, v115
	s_delay_alu instid0(VALU_DEP_1) | instskip(NEXT) | instid1(VALU_DEP_1)
	v_and_b32_e32 v115, v115, v68
	v_and_b32_e32 v117, 1, v115
	v_lshlrev_b32_e32 v128, 30, v115
	v_lshlrev_b32_e32 v129, 29, v115
	;; [unrolled: 1-line block ×4, first 2 shown]
	v_add_co_u32 v117, s14, v117, -1
	s_wait_alu 0xf1ff
	v_cndmask_b32_e64 v131, 0, 1, s14
	v_not_b32_e32 v135, v128
	v_cmp_gt_i32_e64 s15, 0, v128
	v_not_b32_e32 v128, v129
	v_lshlrev_b32_e32 v133, 26, v115
	v_cmp_ne_u32_e64 s14, 0, v131
	v_ashrrev_i32_e32 v135, 31, v135
	v_lshlrev_b32_e32 v134, 25, v115
	v_ashrrev_i32_e32 v128, 31, v128
	v_lshlrev_b32_e32 v131, 24, v115
	s_wait_alu 0xf1ff
	v_xor_b32_e32 v117, s14, v117
	v_cmp_gt_i32_e64 s14, 0, v129
	v_not_b32_e32 v129, v130
	v_xor_b32_e32 v135, s15, v135
	v_cmp_gt_i32_e64 s15, 0, v130
	v_and_b32_e32 v117, exec_lo, v117
	v_not_b32_e32 v130, v132
	v_ashrrev_i32_e32 v129, 31, v129
	s_wait_alu 0xf1ff
	v_xor_b32_e32 v128, s14, v128
	v_cmp_gt_i32_e64 s14, 0, v132
	v_and_b32_e32 v117, v117, v135
	v_not_b32_e32 v132, v133
	v_ashrrev_i32_e32 v130, 31, v130
	v_xor_b32_e32 v129, s15, v129
	v_cmp_gt_i32_e64 s15, 0, v133
	v_and_b32_e32 v117, v117, v128
	v_not_b32_e32 v128, v134
	v_ashrrev_i32_e32 v132, 31, v132
	s_wait_alu 0xf1ff
	v_xor_b32_e32 v130, s14, v130
	v_cmp_gt_i32_e64 s14, 0, v134
	v_and_b32_e32 v117, v117, v129
	v_not_b32_e32 v129, v131
	v_ashrrev_i32_e32 v128, 31, v128
	v_xor_b32_e32 v132, s15, v132
	v_lshl_add_u32 v115, v115, 3, v196
	v_and_b32_e32 v117, v117, v130
	v_cmp_gt_i32_e64 s15, 0, v131
	v_ashrrev_i32_e32 v129, 31, v129
	s_wait_alu 0xf1ff
	v_xor_b32_e32 v128, s14, v128
	v_lshl_add_u32 v130, v115, 2, v12
	v_and_b32_e32 v117, v117, v132
	v_xor_b32_e32 v115, s15, v129
	ds_load_b32 v161, v130 offset:32
	v_and_b32_e32 v117, v117, v128
	v_add_nc_u32_e32 v128, 32, v130
	; wave barrier
	s_delay_alu instid0(VALU_DEP_2) | instskip(NEXT) | instid1(VALU_DEP_1)
	v_and_b32_e32 v115, v117, v115
	v_mbcnt_lo_u32_b32 v162, v115, 0
	v_cmp_ne_u32_e64 s15, 0, v115
	s_delay_alu instid0(VALU_DEP_2)
	v_cmp_eq_u32_e64 s14, 0, v162
	s_and_b32 s15, s15, s14
	s_wait_alu 0xfffe
	s_and_saveexec_b32 s14, s15
	s_cbranch_execz .LBB1433_77
; %bb.76:                               ;   in Loop: Header=BB1433_53 Depth=1
	s_wait_dscnt 0x0
	v_bcnt_u32_b32 v115, v115, v161
	ds_store_b32 v128, v115
.LBB1433_77:                            ;   in Loop: Header=BB1433_53 Depth=1
	s_wait_alu 0xfffe
	s_or_b32 exec_lo, exec_lo, s14
	v_cmp_ne_u32_e64 s14, 0x7fffffff, v41
	; wave barrier
	s_wait_alu 0xf1ff
	s_delay_alu instid0(VALU_DEP_1) | instskip(NEXT) | instid1(VALU_DEP_1)
	v_cndmask_b32_e64 v115, 0x80000000, v41, s14
	v_lshrrev_b32_e32 v115, v10, v115
	s_delay_alu instid0(VALU_DEP_1) | instskip(NEXT) | instid1(VALU_DEP_1)
	v_and_b32_e32 v115, v115, v68
	v_and_b32_e32 v117, 1, v115
	v_lshlrev_b32_e32 v129, 30, v115
	v_lshlrev_b32_e32 v130, 29, v115
	;; [unrolled: 1-line block ×4, first 2 shown]
	v_add_co_u32 v117, s14, v117, -1
	s_wait_alu 0xf1ff
	v_cndmask_b32_e64 v132, 0, 1, s14
	v_not_b32_e32 v144, v129
	v_cmp_gt_i32_e64 s15, 0, v129
	v_not_b32_e32 v129, v130
	v_lshlrev_b32_e32 v134, 26, v115
	v_cmp_ne_u32_e64 s14, 0, v132
	v_ashrrev_i32_e32 v144, 31, v144
	v_lshlrev_b32_e32 v135, 25, v115
	v_ashrrev_i32_e32 v129, 31, v129
	v_lshlrev_b32_e32 v132, 24, v115
	s_wait_alu 0xf1ff
	v_xor_b32_e32 v117, s14, v117
	v_cmp_gt_i32_e64 s14, 0, v130
	v_not_b32_e32 v130, v131
	v_xor_b32_e32 v144, s15, v144
	v_cmp_gt_i32_e64 s15, 0, v131
	v_and_b32_e32 v117, exec_lo, v117
	v_not_b32_e32 v131, v133
	v_ashrrev_i32_e32 v130, 31, v130
	s_wait_alu 0xf1ff
	v_xor_b32_e32 v129, s14, v129
	v_cmp_gt_i32_e64 s14, 0, v133
	v_and_b32_e32 v117, v117, v144
	v_not_b32_e32 v133, v134
	v_ashrrev_i32_e32 v131, 31, v131
	v_xor_b32_e32 v130, s15, v130
	v_cmp_gt_i32_e64 s15, 0, v134
	v_and_b32_e32 v117, v117, v129
	v_not_b32_e32 v129, v135
	v_ashrrev_i32_e32 v133, 31, v133
	s_wait_alu 0xf1ff
	v_xor_b32_e32 v131, s14, v131
	v_cmp_gt_i32_e64 s14, 0, v135
	v_and_b32_e32 v117, v117, v130
	v_not_b32_e32 v130, v132
	v_ashrrev_i32_e32 v129, 31, v129
	v_xor_b32_e32 v133, s15, v133
	v_lshl_add_u32 v115, v115, 3, v196
	v_and_b32_e32 v117, v117, v131
	v_cmp_gt_i32_e64 s15, 0, v132
	v_ashrrev_i32_e32 v130, 31, v130
	s_wait_alu 0xf1ff
	v_xor_b32_e32 v129, s14, v129
	v_lshl_add_u32 v131, v115, 2, v12
	v_and_b32_e32 v117, v117, v133
	v_xor_b32_e32 v115, s15, v130
	ds_load_b32 v164, v131 offset:32
	v_and_b32_e32 v117, v117, v129
	v_add_nc_u32_e32 v130, 32, v131
	; wave barrier
	s_delay_alu instid0(VALU_DEP_2) | instskip(NEXT) | instid1(VALU_DEP_1)
	v_and_b32_e32 v115, v117, v115
	v_mbcnt_lo_u32_b32 v176, v115, 0
	v_cmp_ne_u32_e64 s15, 0, v115
	s_delay_alu instid0(VALU_DEP_2)
	v_cmp_eq_u32_e64 s14, 0, v176
	s_and_b32 s15, s15, s14
	s_wait_alu 0xfffe
	s_and_saveexec_b32 s14, s15
	s_cbranch_execz .LBB1433_79
; %bb.78:                               ;   in Loop: Header=BB1433_53 Depth=1
	s_wait_dscnt 0x0
	v_bcnt_u32_b32 v115, v115, v164
	ds_store_b32 v130, v115
.LBB1433_79:                            ;   in Loop: Header=BB1433_53 Depth=1
	s_wait_alu 0xfffe
	s_or_b32 exec_lo, exec_lo, s14
	v_cmp_ne_u32_e64 s14, 0x7fffffff, v42
	; wave barrier
	s_wait_alu 0xf1ff
	s_delay_alu instid0(VALU_DEP_1) | instskip(NEXT) | instid1(VALU_DEP_1)
	v_cndmask_b32_e64 v115, 0x80000000, v42, s14
	v_lshrrev_b32_e32 v115, v10, v115
	s_delay_alu instid0(VALU_DEP_1) | instskip(NEXT) | instid1(VALU_DEP_1)
	v_and_b32_e32 v115, v115, v68
	v_and_b32_e32 v117, 1, v115
	v_lshlrev_b32_e32 v129, 30, v115
	v_lshlrev_b32_e32 v131, 29, v115
	;; [unrolled: 1-line block ×4, first 2 shown]
	v_add_co_u32 v117, s14, v117, -1
	s_wait_alu 0xf1ff
	v_cndmask_b32_e64 v133, 0, 1, s14
	v_not_b32_e32 v145, v129
	v_cmp_gt_i32_e64 s15, 0, v129
	v_not_b32_e32 v129, v131
	v_lshlrev_b32_e32 v135, 26, v115
	v_cmp_ne_u32_e64 s14, 0, v133
	v_ashrrev_i32_e32 v145, 31, v145
	v_lshlrev_b32_e32 v144, 25, v115
	v_ashrrev_i32_e32 v129, 31, v129
	v_lshlrev_b32_e32 v133, 24, v115
	s_wait_alu 0xf1ff
	v_xor_b32_e32 v117, s14, v117
	v_cmp_gt_i32_e64 s14, 0, v131
	v_not_b32_e32 v131, v132
	v_xor_b32_e32 v145, s15, v145
	v_cmp_gt_i32_e64 s15, 0, v132
	v_and_b32_e32 v117, exec_lo, v117
	v_not_b32_e32 v132, v134
	v_ashrrev_i32_e32 v131, 31, v131
	s_wait_alu 0xf1ff
	v_xor_b32_e32 v129, s14, v129
	v_cmp_gt_i32_e64 s14, 0, v134
	v_and_b32_e32 v117, v117, v145
	v_not_b32_e32 v134, v135
	v_ashrrev_i32_e32 v132, 31, v132
	v_xor_b32_e32 v131, s15, v131
	v_cmp_gt_i32_e64 s15, 0, v135
	v_and_b32_e32 v117, v117, v129
	v_not_b32_e32 v129, v144
	v_ashrrev_i32_e32 v134, 31, v134
	s_wait_alu 0xf1ff
	v_xor_b32_e32 v132, s14, v132
	v_cmp_gt_i32_e64 s14, 0, v144
	v_and_b32_e32 v117, v117, v131
	v_not_b32_e32 v131, v133
	v_ashrrev_i32_e32 v129, 31, v129
	v_xor_b32_e32 v134, s15, v134
	v_lshl_add_u32 v115, v115, 3, v196
	v_and_b32_e32 v117, v117, v132
	v_cmp_gt_i32_e64 s15, 0, v133
	v_ashrrev_i32_e32 v131, 31, v131
	s_wait_alu 0xf1ff
	v_xor_b32_e32 v129, s14, v129
	v_lshl_add_u32 v132, v115, 2, v12
	v_and_b32_e32 v117, v117, v134
	v_xor_b32_e32 v115, s15, v131
	ds_load_b32 v177, v132 offset:32
	v_and_b32_e32 v117, v117, v129
	v_add_nc_u32_e32 v132, 32, v132
	; wave barrier
	s_delay_alu instid0(VALU_DEP_2) | instskip(NEXT) | instid1(VALU_DEP_1)
	v_and_b32_e32 v115, v117, v115
	v_mbcnt_lo_u32_b32 v178, v115, 0
	v_cmp_ne_u32_e64 s15, 0, v115
	s_delay_alu instid0(VALU_DEP_2)
	v_cmp_eq_u32_e64 s14, 0, v178
	s_and_b32 s15, s15, s14
	s_wait_alu 0xfffe
	s_and_saveexec_b32 s14, s15
	s_cbranch_execz .LBB1433_81
; %bb.80:                               ;   in Loop: Header=BB1433_53 Depth=1
	s_wait_dscnt 0x0
	v_bcnt_u32_b32 v115, v115, v177
	ds_store_b32 v132, v115
.LBB1433_81:                            ;   in Loop: Header=BB1433_53 Depth=1
	s_wait_alu 0xfffe
	s_or_b32 exec_lo, exec_lo, s14
	v_cmp_ne_u32_e64 s14, 0x7fffffff, v43
	; wave barrier
	s_wait_alu 0xf1ff
	s_delay_alu instid0(VALU_DEP_1) | instskip(NEXT) | instid1(VALU_DEP_1)
	v_cndmask_b32_e64 v115, 0x80000000, v43, s14
	v_lshrrev_b32_e32 v115, v10, v115
	s_delay_alu instid0(VALU_DEP_1) | instskip(NEXT) | instid1(VALU_DEP_1)
	v_and_b32_e32 v115, v115, v68
	v_and_b32_e32 v117, 1, v115
	v_lshlrev_b32_e32 v129, 30, v115
	v_lshlrev_b32_e32 v131, 29, v115
	;; [unrolled: 1-line block ×4, first 2 shown]
	v_add_co_u32 v117, s14, v117, -1
	s_wait_alu 0xf1ff
	v_cndmask_b32_e64 v134, 0, 1, s14
	v_not_b32_e32 v146, v129
	v_cmp_gt_i32_e64 s15, 0, v129
	v_not_b32_e32 v129, v131
	v_lshlrev_b32_e32 v144, 26, v115
	v_cmp_ne_u32_e64 s14, 0, v134
	v_ashrrev_i32_e32 v146, 31, v146
	v_lshlrev_b32_e32 v145, 25, v115
	v_ashrrev_i32_e32 v129, 31, v129
	v_lshlrev_b32_e32 v134, 24, v115
	s_wait_alu 0xf1ff
	v_xor_b32_e32 v117, s14, v117
	v_cmp_gt_i32_e64 s14, 0, v131
	v_not_b32_e32 v131, v133
	v_xor_b32_e32 v146, s15, v146
	v_cmp_gt_i32_e64 s15, 0, v133
	v_and_b32_e32 v117, exec_lo, v117
	v_not_b32_e32 v133, v135
	v_ashrrev_i32_e32 v131, 31, v131
	s_wait_alu 0xf1ff
	v_xor_b32_e32 v129, s14, v129
	v_cmp_gt_i32_e64 s14, 0, v135
	v_and_b32_e32 v117, v117, v146
	v_not_b32_e32 v135, v144
	v_ashrrev_i32_e32 v133, 31, v133
	v_xor_b32_e32 v131, s15, v131
	v_cmp_gt_i32_e64 s15, 0, v144
	v_and_b32_e32 v117, v117, v129
	v_not_b32_e32 v129, v145
	v_ashrrev_i32_e32 v135, 31, v135
	s_wait_alu 0xf1ff
	v_xor_b32_e32 v133, s14, v133
	v_cmp_gt_i32_e64 s14, 0, v145
	v_and_b32_e32 v117, v117, v131
	v_not_b32_e32 v131, v134
	v_ashrrev_i32_e32 v129, 31, v129
	v_xor_b32_e32 v135, s15, v135
	v_lshl_add_u32 v115, v115, 3, v196
	v_and_b32_e32 v117, v117, v133
	v_cmp_gt_i32_e64 s15, 0, v134
	v_ashrrev_i32_e32 v131, 31, v131
	s_wait_alu 0xf1ff
	v_xor_b32_e32 v129, s14, v129
	v_lshl_add_u32 v133, v115, 2, v12
	v_and_b32_e32 v117, v117, v135
	v_xor_b32_e32 v115, s15, v131
	ds_load_b32 v179, v133 offset:32
	v_and_b32_e32 v117, v117, v129
	v_add_nc_u32_e32 v134, 32, v133
	; wave barrier
	s_delay_alu instid0(VALU_DEP_2) | instskip(NEXT) | instid1(VALU_DEP_1)
	v_and_b32_e32 v115, v117, v115
	v_mbcnt_lo_u32_b32 v181, v115, 0
	v_cmp_ne_u32_e64 s15, 0, v115
	s_delay_alu instid0(VALU_DEP_2)
	v_cmp_eq_u32_e64 s14, 0, v181
	s_and_b32 s15, s15, s14
	s_wait_alu 0xfffe
	s_and_saveexec_b32 s14, s15
	s_cbranch_execz .LBB1433_83
; %bb.82:                               ;   in Loop: Header=BB1433_53 Depth=1
	s_wait_dscnt 0x0
	v_bcnt_u32_b32 v115, v115, v179
	ds_store_b32 v134, v115
.LBB1433_83:                            ;   in Loop: Header=BB1433_53 Depth=1
	s_wait_alu 0xfffe
	s_or_b32 exec_lo, exec_lo, s14
	v_cmp_ne_u32_e64 s14, 0x7fffffff, v44
	; wave barrier
	s_wait_alu 0xf1ff
	s_delay_alu instid0(VALU_DEP_1) | instskip(NEXT) | instid1(VALU_DEP_1)
	v_cndmask_b32_e64 v115, 0x80000000, v44, s14
	v_lshrrev_b32_e32 v115, v10, v115
	s_delay_alu instid0(VALU_DEP_1) | instskip(NEXT) | instid1(VALU_DEP_1)
	v_and_b32_e32 v68, v115, v68
	v_and_b32_e32 v115, 1, v68
	v_lshlrev_b32_e32 v117, 30, v68
	v_lshlrev_b32_e32 v129, 29, v68
	;; [unrolled: 1-line block ×4, first 2 shown]
	v_add_co_u32 v115, s14, v115, -1
	s_wait_alu 0xf1ff
	v_cndmask_b32_e64 v133, 0, 1, s14
	v_not_b32_e32 v146, v117
	v_cmp_gt_i32_e64 s15, 0, v117
	v_not_b32_e32 v117, v129
	v_lshlrev_b32_e32 v144, 26, v68
	v_cmp_ne_u32_e64 s14, 0, v133
	v_ashrrev_i32_e32 v146, 31, v146
	v_lshlrev_b32_e32 v145, 25, v68
	v_ashrrev_i32_e32 v117, 31, v117
	v_lshlrev_b32_e32 v133, 24, v68
	s_wait_alu 0xf1ff
	v_xor_b32_e32 v115, s14, v115
	v_cmp_gt_i32_e64 s14, 0, v129
	v_not_b32_e32 v129, v131
	v_xor_b32_e32 v146, s15, v146
	v_cmp_gt_i32_e64 s15, 0, v131
	v_and_b32_e32 v115, exec_lo, v115
	v_not_b32_e32 v131, v135
	v_ashrrev_i32_e32 v129, 31, v129
	s_wait_alu 0xf1ff
	v_xor_b32_e32 v117, s14, v117
	v_cmp_gt_i32_e64 s14, 0, v135
	v_and_b32_e32 v115, v115, v146
	v_not_b32_e32 v135, v144
	v_ashrrev_i32_e32 v131, 31, v131
	v_xor_b32_e32 v129, s15, v129
	v_cmp_gt_i32_e64 s15, 0, v144
	v_and_b32_e32 v115, v115, v117
	v_not_b32_e32 v117, v145
	v_ashrrev_i32_e32 v135, 31, v135
	s_wait_alu 0xf1ff
	v_xor_b32_e32 v131, s14, v131
	v_cmp_gt_i32_e64 s14, 0, v145
	v_and_b32_e32 v115, v115, v129
	v_not_b32_e32 v129, v133
	v_ashrrev_i32_e32 v117, 31, v117
	v_xor_b32_e32 v135, s15, v135
	v_lshl_add_u32 v68, v68, 3, v196
	v_and_b32_e32 v115, v115, v131
	v_cmp_gt_i32_e64 s15, 0, v133
	v_ashrrev_i32_e32 v129, 31, v129
	s_wait_alu 0xf1ff
	v_xor_b32_e32 v117, s14, v117
	v_lshl_add_u32 v131, v68, 2, v12
	v_and_b32_e32 v115, v115, v135
	v_xor_b32_e32 v129, s15, v129
	ds_load_b32 v68, v131 offset:32
	v_and_b32_e32 v115, v115, v117
	v_add_nc_u32_e32 v144, 32, v131
	; wave barrier
	s_delay_alu instid0(VALU_DEP_2) | instskip(NEXT) | instid1(VALU_DEP_1)
	v_and_b32_e32 v115, v115, v129
	v_mbcnt_lo_u32_b32 v45, v115, 0
	v_cmp_ne_u32_e64 s15, 0, v115
	s_delay_alu instid0(VALU_DEP_2)
	v_cmp_eq_u32_e64 s14, 0, v45
	s_and_b32 s15, s15, s14
	s_wait_alu 0xfffe
	s_and_saveexec_b32 s14, s15
	s_cbranch_execz .LBB1433_85
; %bb.84:                               ;   in Loop: Header=BB1433_53 Depth=1
	s_wait_dscnt 0x0
	v_bcnt_u32_b32 v115, v115, v68
	ds_store_b32 v144, v115
.LBB1433_85:                            ;   in Loop: Header=BB1433_53 Depth=1
	s_wait_alu 0xfffe
	s_or_b32 exec_lo, exec_lo, s14
	; wave barrier
	s_wait_loadcnt_dscnt 0x0
	s_barrier_signal -1
	s_barrier_wait -1
	global_inv scope:SCOPE_SE
	ds_load_b32 v117, v49
	ds_load_b32 v129, v151
	;; [unrolled: 1-line block ×8, first 2 shown]
	s_wait_dscnt 0x6
	v_add_nc_u32_e32 v145, v129, v117
	s_wait_dscnt 0x4
	s_delay_alu instid0(VALU_DEP_1) | instskip(SKIP_1) | instid1(VALU_DEP_1)
	v_add3_u32 v145, v145, v131, v115
	s_wait_dscnt 0x2
	v_add3_u32 v145, v145, v133, v149
	s_wait_dscnt 0x0
	s_delay_alu instid0(VALU_DEP_1) | instskip(NEXT) | instid1(VALU_DEP_1)
	v_add3_u32 v135, v145, v146, v135
	v_mov_b32_dpp v145, v135 row_shr:1 row_mask:0xf bank_mask:0xf
	s_wait_alu 0xfffd
	s_delay_alu instid0(VALU_DEP_1) | instskip(NEXT) | instid1(VALU_DEP_1)
	v_cndmask_b32_e64 v145, v145, 0, vcc_lo
	v_add_nc_u32_e32 v135, v145, v135
	s_delay_alu instid0(VALU_DEP_1) | instskip(NEXT) | instid1(VALU_DEP_1)
	v_mov_b32_dpp v145, v135 row_shr:2 row_mask:0xf bank_mask:0xf
	v_cndmask_b32_e64 v145, 0, v145, s0
	s_delay_alu instid0(VALU_DEP_1) | instskip(NEXT) | instid1(VALU_DEP_1)
	v_add_nc_u32_e32 v135, v135, v145
	v_mov_b32_dpp v145, v135 row_shr:4 row_mask:0xf bank_mask:0xf
	s_delay_alu instid0(VALU_DEP_1) | instskip(NEXT) | instid1(VALU_DEP_1)
	v_cndmask_b32_e64 v145, 0, v145, s1
	v_add_nc_u32_e32 v135, v135, v145
	s_delay_alu instid0(VALU_DEP_1) | instskip(NEXT) | instid1(VALU_DEP_1)
	v_mov_b32_dpp v145, v135 row_shr:8 row_mask:0xf bank_mask:0xf
	v_cndmask_b32_e64 v145, 0, v145, s2
	s_delay_alu instid0(VALU_DEP_1) | instskip(SKIP_3) | instid1(VALU_DEP_1)
	v_add_nc_u32_e32 v135, v135, v145
	ds_swizzle_b32 v145, v135 offset:swizzle(BROADCAST,32,15)
	s_wait_dscnt 0x0
	v_cndmask_b32_e64 v145, v145, 0, s4
	v_add_nc_u32_e32 v135, v135, v145
	s_and_saveexec_b32 s14, s5
; %bb.86:                               ;   in Loop: Header=BB1433_53 Depth=1
	ds_store_b32 v208, v135
; %bb.87:                               ;   in Loop: Header=BB1433_53 Depth=1
	s_wait_alu 0xfffe
	s_or_b32 exec_lo, exec_lo, s14
	s_wait_loadcnt_dscnt 0x0
	s_barrier_signal -1
	s_barrier_wait -1
	global_inv scope:SCOPE_SE
	s_and_saveexec_b32 s14, s6
	s_cbranch_execz .LBB1433_89
; %bb.88:                               ;   in Loop: Header=BB1433_53 Depth=1
	ds_load_b32 v145, v197
	s_wait_dscnt 0x0
	v_mov_b32_dpp v147, v145 row_shr:1 row_mask:0xf bank_mask:0xf
	s_delay_alu instid0(VALU_DEP_1) | instskip(NEXT) | instid1(VALU_DEP_1)
	v_cndmask_b32_e64 v147, v147, 0, s11
	v_add_nc_u32_e32 v145, v147, v145
	s_delay_alu instid0(VALU_DEP_1) | instskip(NEXT) | instid1(VALU_DEP_1)
	v_mov_b32_dpp v147, v145 row_shr:2 row_mask:0xf bank_mask:0xf
	v_cndmask_b32_e64 v147, 0, v147, s12
	s_delay_alu instid0(VALU_DEP_1) | instskip(NEXT) | instid1(VALU_DEP_1)
	v_add_nc_u32_e32 v145, v145, v147
	v_mov_b32_dpp v147, v145 row_shr:4 row_mask:0xf bank_mask:0xf
	s_delay_alu instid0(VALU_DEP_1) | instskip(NEXT) | instid1(VALU_DEP_1)
	v_cndmask_b32_e64 v147, 0, v147, s13
	v_add_nc_u32_e32 v145, v145, v147
	ds_store_b32 v197, v145
.LBB1433_89:                            ;   in Loop: Header=BB1433_53 Depth=1
	s_wait_alu 0xfffe
	s_or_b32 exec_lo, exec_lo, s14
	v_mov_b32_e32 v145, 0
	s_wait_loadcnt_dscnt 0x0
	s_barrier_signal -1
	s_barrier_wait -1
	global_inv scope:SCOPE_SE
	s_and_saveexec_b32 s14, s7
; %bb.90:                               ;   in Loop: Header=BB1433_53 Depth=1
	v_add_nc_u32_e32 v145, -4, v208
	ds_load_b32 v145, v145
; %bb.91:                               ;   in Loop: Header=BB1433_53 Depth=1
	s_wait_alu 0xfffe
	s_or_b32 exec_lo, exec_lo, s14
	s_wait_dscnt 0x0
	v_add_nc_u32_e32 v135, v145, v135
	v_dual_mov_b32 v147, v5 :: v_dual_add_nc_u32 v10, 8, v10
	s_mov_b32 s20, -1
	ds_bpermute_b32 v135, v198, v135
	s_wait_dscnt 0x0
	v_cndmask_b32_e64 v135, v135, v145, s3
	s_delay_alu instid0(VALU_DEP_1) | instskip(SKIP_1) | instid1(VALU_DEP_2)
	v_cndmask_b32_e64 v163, v135, 0, s10
	v_mov_b32_e32 v135, v5
	v_add_nc_u32_e32 v165, v163, v117
	v_mov_b32_e32 v117, v5
	s_delay_alu instid0(VALU_DEP_2)
	v_add_nc_u32_e32 v166, v165, v129
	ds_store_b32 v49, v163
	ds_store_b32 v151, v165
	;; [unrolled: 1-line block ×3, first 2 shown]
	v_mov_b32_e32 v165, v5
	v_add_nc_u32_e32 v167, v166, v131
	s_delay_alu instid0(VALU_DEP_1) | instskip(SKIP_3) | instid1(VALU_DEP_4)
	v_dual_mov_b32 v163, v5 :: v_dual_add_nc_u32 v180, v167, v115
	v_mov_b32_e32 v129, v5
	v_mov_b32_e32 v115, v5
	v_cmp_lt_u32_e64 s14, v10, v11
	v_dual_mov_b32 v133, v5 :: v_dual_add_nc_u32 v46, v180, v133
	s_delay_alu instid0(VALU_DEP_1) | instskip(SKIP_1) | instid1(VALU_DEP_2)
	v_add_nc_u32_e32 v47, v46, v149
	v_mov_b32_e32 v131, v5
	v_dual_mov_b32 v149, v5 :: v_dual_add_nc_u32 v146, v47, v146
	ds_store_b32 v183, v167
	ds_store_b32 v192, v180
	;; [unrolled: 1-line block ×5, first 2 shown]
	s_wait_loadcnt_dscnt 0x0
	s_barrier_signal -1
	s_barrier_wait -1
	global_inv scope:SCOPE_SE
	ds_load_b32 v64, v64
	ds_load_b32 v67, v67
	;; [unrolled: 1-line block ×16, first 2 shown]
	v_mov_b32_e32 v145, v5
	v_mov_b32_e32 v167, v5
	s_wait_loadcnt_dscnt 0x0
	v_add_nc_u32_e32 v4, v64, v4
	v_add3_u32 v114, v66, v65, v67
	v_add3_u32 v116, v70, v69, v71
	;; [unrolled: 1-line block ×4, first 2 shown]
	v_lshlrev_b64_e32 v[64:65], 2, v[4:5]
	v_lshlrev_b64_e32 v[65:66], 2, v[114:115]
	v_add3_u32 v134, v101, v100, v102
	v_add3_u32 v146, v112, v103, v113
	v_lshlrev_b64_e32 v[66:67], 2, v[116:117]
	v_add3_u32 v148, v148, v118, v166
	v_add3_u32 v166, v160, v150, v180
	;; [unrolled: 1-line block ×6, first 2 shown]
	v_lshlrev_b64_e32 v[67:68], 2, v[128:129]
	v_mov_b32_e32 v181, v5
	v_add3_u32 v144, v87, v86, v96
	v_lshlrev_b64_e32 v[68:69], 2, v[130:131]
	v_mov_b32_e32 v179, v5
	v_add3_u32 v132, v98, v97, v99
	v_add3_u32 v162, v162, v161, v46
	v_mov_b32_e32 v177, v5
	v_lshlrev_b64_e32 v[80:81], 2, v[134:135]
	v_lshlrev_b64_e32 v[81:82], 2, v[146:147]
	v_add_co_u32 v79, null, v12, v64
	v_add_co_u32 v78, null, v12, v65
	v_lshlrev_b64_e32 v[64:65], 2, v[164:165]
	v_lshlrev_b64_e32 v[82:83], 2, v[148:149]
	v_add_co_u32 v77, null, v12, v66
	v_lshlrev_b64_e32 v[65:66], 2, v[180:181]
	v_lshlrev_b64_e32 v[69:70], 2, v[144:145]
	v_lshlrev_b64_e32 v[83:84], 2, v[166:167]
	v_add_co_u32 v76, null, v12, v67
	v_lshlrev_b64_e32 v[66:67], 2, v[178:179]
	;; [unrolled: 4-line block ×3, first 2 shown]
	v_add_co_u32 v74, null, v12, v69
	v_add_co_u32 v61, null, v12, v70
	;; [unrolled: 1-line block ×11, first 2 shown]
                                        ; implicit-def: $vgpr64_vgpr65
                                        ; implicit-def: $vgpr70_vgpr71
                                        ; implicit-def: $vgpr66_vgpr67
                                        ; implicit-def: $vgpr68_vgpr69
                                        ; implicit-def: $vgpr82_vgpr83
                                        ; implicit-def: $vgpr80_vgpr81
                                        ; implicit-def: $vgpr84_vgpr85
                                        ; implicit-def: $vgpr86_vgpr87
                                        ; implicit-def: $vgpr96_vgpr97
                                        ; implicit-def: $vgpr98_vgpr99
                                        ; implicit-def: $vgpr100_vgpr101
                                        ; implicit-def: $vgpr102_vgpr103
                                        ; implicit-def: $vgpr112_vgpr113
                                        ; implicit-def: $vgpr117_vgpr118
                                        ; implicit-def: $vgpr149_vgpr150
                                        ; implicit-def: $vgpr160_vgpr161
                                        ; implicit-def: $vgpr45
                                        ; implicit-def: $vgpr115
                                        ; implicit-def: $vgpr129
                                        ; implicit-def: $vgpr147
                                        ; implicit-def: $vgpr145
                                        ; implicit-def: $vgpr131
                                        ; implicit-def: $vgpr167
                                        ; implicit-def: $vgpr177
                                        ; implicit-def: $vgpr47
                                        ; implicit-def: $vgpr46
                                        ; implicit-def: $vgpr179
                                        ; implicit-def: $vgpr181
                                        ; implicit-def: $vgpr163
                                        ; implicit-def: $vgpr165
                                        ; implicit-def: $vgpr135
                                        ; implicit-def: $vgpr133
	s_and_saveexec_b32 s15, s14
	s_cbranch_execz .LBB1433_52
; %bb.92:                               ;   in Loop: Header=BB1433_53 Depth=1
	v_add_nc_u32_e32 v64, 0x80, v199
	v_add_nc_u32_e32 v65, 0x100, v199
	;; [unrolled: 1-line block ×5, first 2 shown]
	s_barrier_signal -1
	s_barrier_wait -1
	global_inv scope:SCOPE_SE
	ds_store_b32 v79, v229
	ds_store_b32 v78, v240
	;; [unrolled: 1-line block ×16, first 2 shown]
	s_wait_loadcnt_dscnt 0x0
	s_barrier_signal -1
	s_barrier_wait -1
	global_inv scope:SCOPE_SE
	ds_load_b32 v45, v199
	ds_load_b32 v115, v64
	;; [unrolled: 1-line block ×6, first 2 shown]
	v_add_nc_u32_e32 v64, 0x300, v199
	v_add_nc_u32_e32 v65, 0x380, v199
	;; [unrolled: 1-line block ×5, first 2 shown]
	ds_load_b32 v167, v64
	ds_load_b32 v177, v65
	;; [unrolled: 1-line block ×5, first 2 shown]
	v_add_nc_u32_e32 v64, 0x580, v199
	v_add_nc_u32_e32 v65, 0x600, v199
	;; [unrolled: 1-line block ×5, first 2 shown]
	ds_load_b32 v181, v64
	ds_load_b32 v163, v65
	;; [unrolled: 1-line block ×5, first 2 shown]
	v_lshl_add_u32 v64, v4, 2, v79
	s_wait_loadcnt_dscnt 0x0
	s_barrier_signal -1
	s_barrier_wait -1
	global_inv scope:SCOPE_SE
	ds_store_b64 v64, v[13:14]
	v_lshl_add_u32 v64, v114, 2, v78
	v_lshl_add_u32 v65, v116, 2, v77
	v_lshl_add_u32 v66, v128, 2, v76
	v_lshl_add_u32 v67, v130, 2, v75
	v_lshl_add_u32 v68, v144, 2, v74
	ds_store_b64 v64, v[8:9]
	ds_store_b64 v65, v[19:20]
	ds_store_b64 v66, v[17:18]
	ds_store_b64 v67, v[15:16]
	ds_store_b64 v68, v[54:55]
	v_lshl_add_u32 v64, v132, 2, v61
	v_lshl_add_u32 v65, v134, 2, v59
	v_lshl_add_u32 v66, v146, 2, v58
	v_lshl_add_u32 v67, v148, 2, v57
	v_lshl_add_u32 v68, v166, 2, v56
	ds_store_b64 v64, v[34:35]
	ds_store_b64 v65, v[32:33]
	ds_store_b64 v66, v[52:53]
	ds_store_b64 v67, v[38:39]
	ds_store_b64 v68, v[36:37]
	v_lshl_add_u32 v64, v162, 2, v60
	v_lshl_add_u32 v65, v164, 2, v72
	v_lshl_add_u32 v66, v180, 2, v73
	v_lshl_add_u32 v67, v178, 2, v63
	v_lshl_add_u32 v68, v176, 2, v62
	ds_store_b64 v64, v[22:23]
	ds_store_b64 v65, v[30:31]
	ds_store_b64 v66, v[28:29]
	ds_store_b64 v67, v[26:27]
	ds_store_b64 v68, v[24:25]
	v_add_nc_u32_e32 v66, 0x100, v209
	v_add_nc_u32_e32 v67, 0x200, v209
	;; [unrolled: 1-line block ×5, first 2 shown]
	s_wait_loadcnt_dscnt 0x0
	s_barrier_signal -1
	s_barrier_wait -1
	global_inv scope:SCOPE_SE
	ds_load_b64 v[64:65], v209
	ds_load_b64 v[70:71], v66
	;; [unrolled: 1-line block ×16, first 2 shown]
	v_add_nc_u32_e32 v228, -8, v228
	s_xor_b32 s20, exec_lo, -1
	s_wait_loadcnt_dscnt 0x0
	s_barrier_signal -1
	s_barrier_wait -1
	global_inv scope:SCOPE_SE
	s_branch .LBB1433_52
.LBB1433_93:
	s_or_b32 exec_lo, exec_lo, s17
	v_lshl_add_u32 v4, v4, 2, v79
	s_barrier_signal -1
	s_barrier_wait -1
	s_wait_loadcnt 0x0
	global_inv scope:SCOPE_SE
	ds_store_b32 v79, v229
	ds_store_b32 v78, v240
	;; [unrolled: 1-line block ×16, first 2 shown]
	s_wait_loadcnt_dscnt 0x0
	s_barrier_signal -1
	s_barrier_wait -1
	global_inv scope:SCOPE_SE
	ds_load_2addr_stride64_b32 v[86:87], v197 offset1:4
	ds_load_2addr_stride64_b32 v[84:85], v197 offset0:8 offset1:12
	ds_load_2addr_stride64_b32 v[82:83], v197 offset0:16 offset1:20
	;; [unrolled: 1-line block ×7, first 2 shown]
	s_wait_loadcnt_dscnt 0x0
	s_barrier_signal -1
	s_barrier_wait -1
	global_inv scope:SCOPE_SE
	ds_store_b64 v4, v[13:14]
	v_lshl_add_u32 v4, v114, 2, v78
	v_lshl_add_u32 v5, v116, 2, v77
	v_lshl_add_u32 v10, v128, 2, v76
	v_lshl_add_u32 v11, v130, 2, v75
	v_lshl_add_u32 v13, v144, 2, v74
	ds_store_b64 v4, v[8:9]
	ds_store_b64 v5, v[19:20]
	ds_store_b64 v10, v[17:18]
	ds_store_b64 v11, v[15:16]
	ds_store_b64 v13, v[54:55]
	v_lshl_add_u32 v4, v132, 2, v61
	v_lshl_add_u32 v5, v134, 2, v59
	v_lshl_add_u32 v8, v146, 2, v58
	v_lshl_add_u32 v9, v148, 2, v57
	v_lshl_add_u32 v10, v166, 2, v56
	ds_store_b64 v4, v[34:35]
	ds_store_b64 v5, v[32:33]
	ds_store_b64 v8, v[52:53]
	ds_store_b64 v9, v[38:39]
	;; [unrolled: 10-line block ×3, first 2 shown]
	ds_store_b64 v10, v[24:25]
	v_lshl_add_u32 v4, v21, 3, v12
	s_wait_loadcnt_dscnt 0x0
	s_barrier_signal -1
	s_barrier_wait -1
	global_inv scope:SCOPE_SE
	ds_load_2addr_stride64_b64 v[36:39], v4 offset1:4
	ds_load_2addr_stride64_b64 v[32:35], v4 offset0:8 offset1:12
	ds_load_2addr_stride64_b64 v[28:31], v4 offset0:16 offset1:20
	;; [unrolled: 1-line block ×7, first 2 shown]
	v_mov_b32_e32 v49, 0
	v_add_co_u32 v2, vcc_lo, v2, v50
	s_wait_alu 0xfffd
	v_add_co_ci_u32_e64 v3, null, v3, v51, vcc_lo
	s_delay_alu instid0(VALU_DEP_3)
	v_lshlrev_b64_e32 v[4:5], 2, v[48:49]
	s_wait_loadcnt_dscnt 0x0
	s_barrier_signal -1
	s_barrier_wait -1
	global_inv scope:SCOPE_SE
	v_add_co_u32 v2, vcc_lo, v2, v4
	s_wait_alu 0xfffd
	v_add_co_ci_u32_e64 v3, null, v3, v5, vcc_lo
	v_cmp_lt_u32_e32 vcc_lo, v48, v119
	s_and_saveexec_b32 s1, vcc_lo
	s_cbranch_execz .LBB1433_95
; %bb.94:
	v_cmp_lt_i32_e64 s0, -1, v86
	s_wait_alu 0xf1ff
	s_delay_alu instid0(VALU_DEP_1) | instskip(NEXT) | instid1(VALU_DEP_1)
	v_cndmask_b32_e64 v4, 0x80000000, -1, s0
	v_xor_b32_e32 v4, v4, v86
	flat_store_b32 v[2:3], v4
.LBB1433_95:
	s_wait_alu 0xfffe
	s_or_b32 exec_lo, exec_lo, s1
	v_add_nc_u32_e32 v4, 0x100, v48
	s_delay_alu instid0(VALU_DEP_1)
	v_cmp_lt_u32_e64 s0, v4, v119
	s_and_saveexec_b32 s2, s0
	s_cbranch_execz .LBB1433_97
; %bb.96:
	v_cmp_lt_i32_e64 s1, -1, v87
	s_wait_alu 0xf1ff
	s_delay_alu instid0(VALU_DEP_1) | instskip(NEXT) | instid1(VALU_DEP_1)
	v_cndmask_b32_e64 v4, 0x80000000, -1, s1
	v_xor_b32_e32 v4, v4, v87
	flat_store_b32 v[2:3], v4 offset:1024
.LBB1433_97:
	s_wait_alu 0xfffe
	s_or_b32 exec_lo, exec_lo, s2
	v_add_nc_u32_e32 v4, 0x200, v48
	s_delay_alu instid0(VALU_DEP_1)
	v_cmp_lt_u32_e64 s1, v4, v119
	s_and_saveexec_b32 s3, s1
	s_cbranch_execz .LBB1433_99
; %bb.98:
	v_cmp_lt_i32_e64 s2, -1, v84
	s_wait_alu 0xf1ff
	s_delay_alu instid0(VALU_DEP_1) | instskip(NEXT) | instid1(VALU_DEP_1)
	v_cndmask_b32_e64 v4, 0x80000000, -1, s2
	v_xor_b32_e32 v4, v4, v84
	flat_store_b32 v[2:3], v4 offset:2048
.LBB1433_99:
	;; [unrolled: 15-line block ×15, first 2 shown]
	s_wait_alu 0xfffe
	s_or_b32 exec_lo, exec_lo, s20
	v_lshlrev_b64_e32 v[2:3], 3, v[48:49]
	v_add_co_u32 v0, s17, v6, v0
	s_wait_alu 0xf1ff
	v_add_co_ci_u32_e64 v1, null, v7, v1, s17
	s_delay_alu instid0(VALU_DEP_2) | instskip(SKIP_1) | instid1(VALU_DEP_2)
	v_add_co_u32 v0, s17, v0, v2
	s_wait_alu 0xf1ff
	v_add_co_ci_u32_e64 v1, null, v1, v3, s17
	s_and_saveexec_b32 s17, vcc_lo
	s_cbranch_execnz .LBB1433_211
; %bb.126:
	s_wait_alu 0xfffe
	s_or_b32 exec_lo, exec_lo, s17
	s_and_saveexec_b32 s17, s0
	s_cbranch_execnz .LBB1433_212
.LBB1433_127:
	s_wait_alu 0xfffe
	s_or_b32 exec_lo, exec_lo, s17
	s_and_saveexec_b32 s0, s1
	s_cbranch_execnz .LBB1433_213
.LBB1433_128:
	s_wait_alu 0xfffe
	s_or_b32 exec_lo, exec_lo, s0
	s_and_saveexec_b32 s0, s2
	s_cbranch_execnz .LBB1433_214
.LBB1433_129:
	s_wait_alu 0xfffe
	s_or_b32 exec_lo, exec_lo, s0
	s_and_saveexec_b32 s0, s3
	s_cbranch_execnz .LBB1433_215
.LBB1433_130:
	s_wait_alu 0xfffe
	s_or_b32 exec_lo, exec_lo, s0
	s_and_saveexec_b32 s0, s4
	s_cbranch_execnz .LBB1433_216
.LBB1433_131:
	s_wait_alu 0xfffe
	s_or_b32 exec_lo, exec_lo, s0
	s_and_saveexec_b32 s0, s5
	s_cbranch_execnz .LBB1433_217
.LBB1433_132:
	s_wait_alu 0xfffe
	s_or_b32 exec_lo, exec_lo, s0
	s_and_saveexec_b32 s0, s6
	s_cbranch_execnz .LBB1433_218
.LBB1433_133:
	s_wait_alu 0xfffe
	s_or_b32 exec_lo, exec_lo, s0
	s_and_saveexec_b32 s0, s7
	s_cbranch_execnz .LBB1433_219
.LBB1433_134:
	s_wait_alu 0xfffe
	s_or_b32 exec_lo, exec_lo, s0
	s_and_saveexec_b32 s0, s10
	s_cbranch_execnz .LBB1433_220
.LBB1433_135:
	s_wait_alu 0xfffe
	s_or_b32 exec_lo, exec_lo, s0
	s_and_saveexec_b32 s0, s11
	s_cbranch_execnz .LBB1433_221
.LBB1433_136:
	s_wait_alu 0xfffe
	s_or_b32 exec_lo, exec_lo, s0
	s_and_saveexec_b32 s0, s12
	s_cbranch_execnz .LBB1433_222
.LBB1433_137:
	s_wait_alu 0xfffe
	s_or_b32 exec_lo, exec_lo, s0
	s_and_saveexec_b32 s0, s13
	s_cbranch_execnz .LBB1433_223
.LBB1433_138:
	s_wait_alu 0xfffe
	s_or_b32 exec_lo, exec_lo, s0
	s_and_saveexec_b32 s0, s14
	s_cbranch_execnz .LBB1433_224
.LBB1433_139:
	s_wait_alu 0xfffe
	s_or_b32 exec_lo, exec_lo, s0
	s_and_saveexec_b32 s0, s15
	s_cbranch_execnz .LBB1433_225
.LBB1433_140:
	s_wait_alu 0xfffe
	s_or_b32 exec_lo, exec_lo, s0
	s_and_saveexec_b32 s0, s16
	s_cbranch_execz .LBB1433_142
.LBB1433_141:
	flat_store_b64 v[0:1], v[10:11] offset:30720
.LBB1433_142:
	s_wait_alu 0xfffe
	s_or_b32 exec_lo, exec_lo, s0
                                        ; implicit-def: $vgpr119
                                        ; implicit-def: $vgpr0
                                        ; implicit-def: $vgpr1
                                        ; implicit-def: $vgpr2
                                        ; implicit-def: $vgpr3
                                        ; implicit-def: $vgpr4
                                        ; implicit-def: $vgpr5
                                        ; implicit-def: $vgpr6
                                        ; implicit-def: $vgpr7
                                        ; implicit-def: $vgpr8
                                        ; implicit-def: $vgpr10
                                        ; implicit-def: $vgpr11
                                        ; implicit-def: $vgpr12
                                        ; implicit-def: $vgpr9
                                        ; implicit-def: $vgpr13
                                        ; implicit-def: $vgpr21
                                        ; implicit-def: $vgpr114
.LBB1433_143:
	s_wait_alu 0xfffe
	s_and_not1_saveexec_b32 s0, s19
	s_cbranch_execz .LBB1433_372
; %bb.144:
	s_mov_b32 s0, exec_lo
	v_cmpx_lt_u32_e32 0x400, v119
	s_wait_alu 0xfffe
	s_xor_b32 s16, exec_lo, s0
	s_cbranch_execz .LBB1433_252
; %bb.145:
	s_load_b64 s[0:1], s[8:9], 0x0
	s_and_b32 s2, ttmp7, 0xffff
	s_mov_b32 s3, 0
	v_lshlrev_b32_e32 v20, 2, v114
	s_wait_kmcnt 0x0
	s_wait_alu 0xfffe
	s_cmp_lt_u32 s2, s1
	s_cselect_b32 s2, 14, 20
	s_cmp_lt_u32 ttmp9, s0
	s_wait_alu 0xfffe
	s_add_nc_u64 s[4:5], s[8:9], s[2:3]
	s_cselect_b32 s2, 12, 18
	s_load_u16 s4, s[4:5], 0x0
	s_add_nc_u64 s[0:1], s[8:9], s[2:3]
	s_load_u16 s0, s[0:1], 0x0
	s_wait_kmcnt 0x0
	v_mad_u32_u24 v13, v13, s4, v9
	v_mov_b32_e32 v9, 0
	s_delay_alu instid0(VALU_DEP_2) | instskip(SKIP_1) | instid1(VALU_DEP_3)
	v_mad_co_u64_u32 v[24:25], null, v13, s0, v[21:22]
	v_bfrev_b32_e32 v13, -2
	v_lshlrev_b64_e32 v[26:27], 2, v[8:9]
	s_delay_alu instid0(VALU_DEP_2) | instskip(NEXT) | instid1(VALU_DEP_4)
	v_dual_mov_b32 v23, v9 :: v_dual_mov_b32 v14, v13
	v_dual_mov_b32 v15, v13 :: v_dual_lshlrev_b32 v22, 3, v24
	s_delay_alu instid0(VALU_DEP_3) | instskip(SKIP_1) | instid1(VALU_DEP_4)
	v_add_co_u32 v28, vcc_lo, v0, v26
	s_wait_alu 0xfffd
	v_add_co_ci_u32_e64 v29, null, v1, v27, vcc_lo
	s_delay_alu instid0(VALU_DEP_3) | instskip(NEXT) | instid1(VALU_DEP_3)
	v_and_b32_e32 v22, 0xffffff00, v22
	v_add_co_u32 v20, vcc_lo, v28, v20
	s_wait_alu 0xfffd
	s_delay_alu instid0(VALU_DEP_3) | instskip(NEXT) | instid1(VALU_DEP_3)
	v_add_co_ci_u32_e64 v28, null, 0, v29, vcc_lo
	v_lshlrev_b64_e32 v[0:1], 2, v[22:23]
	v_or_b32_e32 v25, v22, v114
	v_dual_mov_b32 v16, v13 :: v_dual_mov_b32 v17, v13
	v_dual_mov_b32 v18, v13 :: v_dual_mov_b32 v19, v13
	s_delay_alu instid0(VALU_DEP_4) | instskip(NEXT) | instid1(VALU_DEP_4)
	v_add_co_u32 v0, s0, v20, v0
	v_cmp_lt_u32_e32 vcc_lo, v25, v119
	s_wait_alu 0xf1ff
	v_add_co_ci_u32_e64 v1, null, v28, v1, s0
	v_mov_b32_e32 v20, v13
	s_and_saveexec_b32 s0, vcc_lo
	s_cbranch_execz .LBB1433_147
; %bb.146:
	flat_load_b32 v28, v[0:1]
	v_dual_mov_b32 v29, v13 :: v_dual_mov_b32 v30, v13
	v_dual_mov_b32 v31, v13 :: v_dual_mov_b32 v32, v13
	;; [unrolled: 1-line block ×3, first 2 shown]
	v_mov_b32_e32 v35, v13
	s_wait_loadcnt_dscnt 0x0
	v_dual_mov_b32 v13, v28 :: v_dual_mov_b32 v14, v29
	v_dual_mov_b32 v15, v30 :: v_dual_mov_b32 v16, v31
	;; [unrolled: 1-line block ×4, first 2 shown]
.LBB1433_147:
	s_wait_alu 0xfffe
	s_or_b32 exec_lo, exec_lo, s0
	v_or_b32_e32 v28, 32, v25
	s_delay_alu instid0(VALU_DEP_1)
	v_cmp_lt_u32_e64 s0, v28, v119
	s_and_saveexec_b32 s1, s0
	s_cbranch_execz .LBB1433_149
; %bb.148:
	flat_load_b32 v14, v[0:1] offset:128
.LBB1433_149:
	s_wait_alu 0xfffe
	s_or_b32 exec_lo, exec_lo, s1
	v_or_b32_e32 v28, 64, v25
	s_delay_alu instid0(VALU_DEP_1)
	v_cmp_lt_u32_e64 s1, v28, v119
	s_and_saveexec_b32 s2, s1
	s_cbranch_execz .LBB1433_151
; %bb.150:
	flat_load_b32 v15, v[0:1] offset:256
.LBB1433_151:
	;; [unrolled: 10-line block ×7, first 2 shown]
	s_wait_alu 0xfffe
	s_or_b32 exec_lo, exec_lo, s7
	v_lshlrev_b64_e32 v[0:1], 3, v[8:9]
	v_lshlrev_b32_e32 v8, 3, v114
                                        ; implicit-def: $vgpr34_vgpr35
	s_delay_alu instid0(VALU_DEP_2) | instskip(SKIP_1) | instid1(VALU_DEP_3)
	v_add_co_u32 v9, s7, v4, v0
	s_wait_alu 0xf1ff
	v_add_co_ci_u32_e64 v25, null, v5, v1, s7
	v_lshlrev_b64_e32 v[4:5], 3, v[22:23]
	s_delay_alu instid0(VALU_DEP_3) | instskip(SKIP_1) | instid1(VALU_DEP_3)
	v_add_co_u32 v8, s7, v9, v8
	s_wait_alu 0xf1ff
	v_add_co_ci_u32_e64 v9, null, 0, v25, s7
	s_delay_alu instid0(VALU_DEP_2) | instskip(SKIP_1) | instid1(VALU_DEP_2)
	v_add_co_u32 v4, s7, v8, v4
	s_wait_alu 0xf1ff
	v_add_co_ci_u32_e64 v5, null, v9, v5, s7
	s_and_saveexec_b32 s7, vcc_lo
	s_cbranch_execnz .LBB1433_285
; %bb.162:
	s_wait_alu 0xfffe
	s_or_b32 exec_lo, exec_lo, s7
                                        ; implicit-def: $vgpr38_vgpr39
	s_and_saveexec_b32 s7, s0
	s_cbranch_execnz .LBB1433_286
.LBB1433_163:
	s_wait_alu 0xfffe
	s_or_b32 exec_lo, exec_lo, s7
                                        ; implicit-def: $vgpr48_vgpr49
	s_and_saveexec_b32 s0, s1
	s_cbranch_execnz .LBB1433_287
.LBB1433_164:
	s_wait_alu 0xfffe
	s_or_b32 exec_lo, exec_lo, s0
                                        ; implicit-def: $vgpr50_vgpr51
	s_and_saveexec_b32 s0, s2
	s_cbranch_execnz .LBB1433_288
.LBB1433_165:
	s_wait_alu 0xfffe
	s_or_b32 exec_lo, exec_lo, s0
                                        ; implicit-def: $vgpr52_vgpr53
	s_and_saveexec_b32 s0, s3
	s_cbranch_execnz .LBB1433_289
.LBB1433_166:
	s_wait_alu 0xfffe
	s_or_b32 exec_lo, exec_lo, s0
                                        ; implicit-def: $vgpr54_vgpr55
	s_and_saveexec_b32 s0, s4
	s_cbranch_execnz .LBB1433_290
.LBB1433_167:
	s_wait_alu 0xfffe
	s_or_b32 exec_lo, exec_lo, s0
                                        ; implicit-def: $vgpr32_vgpr33
	s_and_saveexec_b32 s0, s5
	s_cbranch_execnz .LBB1433_291
.LBB1433_168:
	s_wait_alu 0xfffe
	s_or_b32 exec_lo, exec_lo, s0
                                        ; implicit-def: $vgpr36_vgpr37
	s_and_saveexec_b32 s0, s6
	s_cbranch_execz .LBB1433_170
.LBB1433_169:
	flat_load_b64 v[36:37], v[4:5] offset:1792
.LBB1433_170:
	s_wait_alu 0xfffe
	s_or_b32 exec_lo, exec_lo, s0
	v_cmp_lt_i32_e32 vcc_lo, -1, v13
	s_getpc_b64 s[0:1]
	s_wait_alu 0xfffe
	s_sext_i32_i16 s1, s1
	s_add_co_u32 s0, s0, _ZN7rocprim17ROCPRIM_400000_NS16block_radix_sortIfLj256ELj8ElLj1ELj1ELj8ELNS0_26block_radix_rank_algorithmE2ELNS0_18block_padding_hintE2ELNS0_4arch9wavefront6targetE0EE19radix_bits_per_passE@rel32@lo+12
	s_wait_alu 0xfffe
	s_add_co_ci_u32 s1, s1, _ZN7rocprim17ROCPRIM_400000_NS16block_radix_sortIfLj256ELj8ElLj1ELj1ELj8ELNS0_26block_radix_rank_algorithmE2ELNS0_18block_padding_hintE2ELNS0_4arch9wavefront6targetE0EE19radix_bits_per_passE@rel32@hi+24
	v_lshrrev_b32_e32 v101, 5, v24
	s_load_b32 s17, s[0:1], 0x0
	v_cmp_lt_u32_e64 s7, 31, v21
	v_cndmask_b32_e64 v4, -1, 0x80000000, vcc_lo
	s_wait_loadcnt_dscnt 0x0
	v_cmp_lt_i32_e32 vcc_lo, -1, v14
	v_cmp_eq_u32_e64 s10, 0, v21
	v_sub_nc_u32_e32 v147, v11, v10
	s_mov_b32 s19, 0
	v_xor_b32_e32 v83, v4, v13
	s_wait_alu 0xfffd
	v_cndmask_b32_e64 v5, -1, 0x80000000, vcc_lo
	v_cmp_lt_i32_e32 vcc_lo, -1, v15
	v_sub_co_u32 v13, s2, v114, 1
	s_wait_storecnt 0x0
	s_delay_alu instid0(VALU_DEP_3)
	v_xor_b32_e32 v65, v5, v14
	s_wait_alu 0xfffd
	v_cndmask_b32_e64 v8, -1, 0x80000000, vcc_lo
	v_cmp_lt_i32_e32 vcc_lo, -1, v16
	v_cmp_gt_i32_e64 s6, 0, v13
	s_barrier_signal -1
	s_barrier_wait -1
	v_xor_b32_e32 v67, v8, v15
	s_wait_alu 0xfffd
	v_cndmask_b32_e64 v9, -1, 0x80000000, vcc_lo
	v_cmp_lt_i32_e32 vcc_lo, -1, v17
	global_inv scope:SCOPE_SE
	v_xor_b32_e32 v69, v9, v16
	s_wait_alu 0xfffd
	v_cndmask_b32_e64 v22, -1, 0x80000000, vcc_lo
	v_cmp_lt_i32_e32 vcc_lo, -1, v18
	v_and_b32_e32 v9, 15, v114
	s_delay_alu instid0(VALU_DEP_3)
	v_xor_b32_e32 v71, v22, v17
	s_wait_alu 0xfffd
	v_cndmask_b32_e64 v4, -1, 0x80000000, vcc_lo
	v_cmp_lt_i32_e32 vcc_lo, -1, v19
	v_cmp_lt_u32_e64 s0, 1, v9
	v_cmp_lt_u32_e64 s1, 3, v9
	;; [unrolled: 1-line block ×3, first 2 shown]
	v_xor_b32_e32 v81, v4, v18
	s_wait_alu 0xfffd
	v_cndmask_b32_e64 v5, -1, 0x80000000, vcc_lo
	v_cmp_lt_i32_e32 vcc_lo, -1, v20
	v_lshl_add_u32 v4, v21, 5, v12
	s_delay_alu instid0(VALU_DEP_3) | instskip(SKIP_2) | instid1(VALU_DEP_3)
	v_xor_b32_e32 v85, v5, v19
	s_wait_alu 0xfffd
	v_cndmask_b32_e64 v8, -1, 0x80000000, vcc_lo
	v_add_nc_u32_e32 v25, 32, v4
	v_add_nc_u32_e32 v86, 36, v4
	;; [unrolled: 1-line block ×4, first 2 shown]
	v_xor_b32_e32 v164, v8, v20
	v_and_b32_e32 v8, 0x3e0, v21
	v_add_nc_u32_e32 v97, 48, v4
	v_add_nc_u32_e32 v98, 52, v4
	;; [unrolled: 1-line block ×4, first 2 shown]
	v_min_u32_e32 v4, 0xe0, v8
	v_and_b32_e32 v8, 16, v114
	v_lshlrev_b32_e32 v5, 3, v21
	v_cmp_eq_u32_e32 vcc_lo, 0, v9
	v_and_b32_e32 v9, 7, v114
	v_or_b32_e32 v4, 31, v4
	v_cmp_eq_u32_e64 s4, 0, v8
	v_lshrrev_b32_e32 v8, 3, v21
	v_and_or_b32 v5, 0x1f00, v5, v114
	v_cmp_eq_u32_e64 s11, 0, v9
	v_cmp_eq_u32_e64 s5, v21, v4
	s_wait_alu 0xf1ff
	v_cndmask_b32_e64 v4, v13, v114, s6
	v_and_b32_e32 v8, 0x7c, v8
	v_cmp_gt_u32_e64 s6, 8, v21
	v_cmp_lt_u32_e64 s12, 1, v9
	v_cmp_lt_u32_e64 s13, 3, v9
	v_lshlrev_b32_e32 v103, 2, v4
	v_add_nc_u32_e32 v112, v12, v8
	v_lshlrev_b32_e32 v8, 2, v5
	v_dual_mov_b32 v5, 0 :: v_dual_lshlrev_b32 v4, 2, v21
	s_delay_alu instid0(VALU_DEP_3) | instskip(NEXT) | instid1(VALU_DEP_3)
	v_add_nc_u32_e32 v114, -4, v112
	v_add_nc_u32_e32 v113, v12, v8
	s_delay_alu instid0(VALU_DEP_3) | instskip(NEXT) | instid1(VALU_DEP_2)
	v_add_co_u32 v102, null, v12, v4
	v_add_nc_u32_e32 v118, v113, v8
	v_add_nc_u32_e32 v115, 0x80, v113
	;; [unrolled: 1-line block ×15, first 2 shown]
	s_branch .LBB1433_172
.LBB1433_171:                           ;   in Loop: Header=BB1433_172 Depth=1
	s_wait_alu 0xfffe
	s_or_b32 exec_lo, exec_lo, s15
	s_delay_alu instid0(SALU_CYCLE_1)
	s_and_b32 s14, exec_lo, s20
	s_wait_alu 0xfffe
	s_or_b32 s19, s14, s19
	s_wait_alu 0xfffe
	s_and_not1_b32 exec_lo, exec_lo, s19
	s_cbranch_execz .LBB1433_226
.LBB1433_172:                           ; =>This Inner Loop Header: Depth=1
	v_dual_mov_b32 v148, v83 :: v_dual_mov_b32 v149, v164
	s_wait_kmcnt 0x0
	v_min_u32_e32 v4, s17, v147
	v_dual_mov_b32 v22, v34 :: v_dual_mov_b32 v19, v38
	s_delay_alu instid0(VALU_DEP_3) | instskip(SKIP_1) | instid1(VALU_DEP_4)
	v_cmp_ne_u32_e64 s14, 0x7fffffff, v148
	v_dual_mov_b32 v20, v39 :: v_dual_mov_b32 v17, v48
	v_lshlrev_b32_e64 v4, v4, -1
	v_dual_mov_b32 v150, v85 :: v_dual_mov_b32 v151, v81
	s_wait_alu 0xf1ff
	v_cndmask_b32_e64 v8, 0x80000000, v148, s14
	v_dual_mov_b32 v160, v71 :: v_dual_mov_b32 v161, v69
	v_not_b32_e32 v64, v4
	v_mov_b32_e32 v15, v52
	s_delay_alu instid0(VALU_DEP_4) | instskip(SKIP_2) | instid1(VALU_DEP_3)
	v_lshrrev_b32_e32 v4, v10, v8
	v_mov_b32_e32 v8, v50
	v_dual_mov_b32 v162, v67 :: v_dual_mov_b32 v163, v65
	v_dual_mov_b32 v23, v35 :: v_dual_and_b32 v4, v4, v64
	v_mov_b32_e32 v16, v53
	v_dual_mov_b32 v18, v49 :: v_dual_mov_b32 v9, v51
	s_delay_alu instid0(VALU_DEP_3) | instskip(SKIP_3) | instid1(VALU_DEP_4)
	v_dual_mov_b32 v13, v54 :: v_dual_and_b32 v28, 1, v4
	v_dual_mov_b32 v14, v55 :: v_dual_lshlrev_b32 v29, 30, v4
	v_lshlrev_b32_e32 v31, 29, v4
	v_lshlrev_b32_e32 v34, 28, v4
	v_add_co_u32 v28, s14, v28, -1
	s_wait_alu 0xf1ff
	v_cndmask_b32_e64 v30, 0, 1, s14
	v_not_b32_e32 v38, v29
	v_cmp_gt_i32_e64 s15, 0, v29
	v_not_b32_e32 v29, v31
	v_lshlrev_b32_e32 v35, 27, v4
	v_cmp_ne_u32_e64 s14, 0, v30
	v_ashrrev_i32_e32 v38, 31, v38
	v_lshlrev_b32_e32 v30, 26, v4
	v_ashrrev_i32_e32 v29, 31, v29
	ds_store_b32 v25, v5
	ds_store_b32 v86, v5
	;; [unrolled: 1-line block ×3, first 2 shown]
	s_wait_alu 0xf1ff
	v_xor_b32_e32 v28, s14, v28
	v_cmp_gt_i32_e64 s14, 0, v31
	v_not_b32_e32 v31, v34
	v_xor_b32_e32 v38, s15, v38
	v_cmp_gt_i32_e64 s15, 0, v34
	v_and_b32_e32 v28, exec_lo, v28
	v_not_b32_e32 v34, v35
	v_ashrrev_i32_e32 v31, 31, v31
	s_wait_alu 0xf1ff
	v_xor_b32_e32 v29, s14, v29
	v_cmp_gt_i32_e64 s14, 0, v35
	v_and_b32_e32 v28, v28, v38
	v_not_b32_e32 v35, v30
	v_ashrrev_i32_e32 v34, 31, v34
	v_xor_b32_e32 v31, s15, v31
	v_cmp_gt_i32_e64 s15, 0, v30
	v_and_b32_e32 v28, v28, v29
	v_lshlrev_b32_e32 v29, 25, v4
	v_ashrrev_i32_e32 v30, 31, v35
	s_wait_alu 0xf1ff
	v_xor_b32_e32 v34, s14, v34
	v_lshlrev_b32_e32 v35, 24, v4
	v_and_b32_e32 v28, v28, v31
	v_not_b32_e32 v31, v29
	v_xor_b32_e32 v38, s15, v30
	v_lshl_add_u32 v4, v4, 3, v101
	ds_store_b32 v96, v5
	v_and_b32_e32 v34, v28, v34
	v_ashrrev_i32_e32 v39, 31, v31
	v_mov_b32_e32 v30, v36
	v_cmp_gt_i32_e64 s14, 0, v29
	v_dual_mov_b32 v28, v32 :: v_dual_mov_b32 v29, v33
	v_not_b32_e32 v32, v35
	v_and_b32_e32 v33, v34, v38
	s_wait_alu 0xf1ff
	v_xor_b32_e32 v34, s14, v39
	v_cmp_gt_i32_e64 s14, 0, v35
	v_mov_b32_e32 v31, v37
	v_ashrrev_i32_e32 v32, 31, v32
	ds_store_b32 v97, v5
	ds_store_b32 v98, v5
	v_and_b32_e32 v33, v33, v34
	v_lshlrev_b64_e32 v[34:35], 2, v[4:5]
	ds_store_b32 v99, v5
	s_wait_alu 0xf1ff
	v_xor_b32_e32 v32, s14, v32
	ds_store_b32 v100, v5
	s_wait_loadcnt_dscnt 0x0
	s_barrier_signal -1
	s_barrier_wait -1
	v_and_b32_e32 v33, v33, v32
	v_add_co_u32 v32, null, v12, v34
	global_inv scope:SCOPE_SE
	v_mbcnt_lo_u32_b32 v4, v33, 0
	v_cmp_ne_u32_e64 s15, 0, v33
	v_add_co_u32 v32, null, v32, 32
	; wave barrier
	s_delay_alu instid0(VALU_DEP_3)
	v_cmp_eq_u32_e64 s14, 0, v4
	s_and_b32 s15, s15, s14
	s_wait_alu 0xfffe
	s_and_saveexec_b32 s14, s15
; %bb.173:                              ;   in Loop: Header=BB1433_172 Depth=1
	v_bcnt_u32_b32 v33, v33, 0
	ds_store_b32 v32, v33
; %bb.174:                              ;   in Loop: Header=BB1433_172 Depth=1
	s_wait_alu 0xfffe
	s_or_b32 exec_lo, exec_lo, s14
	v_cmp_ne_u32_e64 s14, 0x7fffffff, v163
	; wave barrier
	s_wait_alu 0xf1ff
	s_delay_alu instid0(VALU_DEP_1) | instskip(NEXT) | instid1(VALU_DEP_1)
	v_cndmask_b32_e64 v33, 0x80000000, v163, s14
	v_lshrrev_b32_e32 v33, v10, v33
	s_delay_alu instid0(VALU_DEP_1) | instskip(NEXT) | instid1(VALU_DEP_1)
	v_and_b32_e32 v33, v33, v64
	v_and_b32_e32 v34, 1, v33
	v_lshlrev_b32_e32 v35, 30, v33
	v_lshlrev_b32_e32 v36, 29, v33
	;; [unrolled: 1-line block ×4, first 2 shown]
	v_add_co_u32 v34, s14, v34, -1
	s_wait_alu 0xf1ff
	v_cndmask_b32_e64 v38, 0, 1, s14
	v_not_b32_e32 v50, v35
	v_cmp_gt_i32_e64 s15, 0, v35
	v_not_b32_e32 v35, v36
	v_lshlrev_b32_e32 v48, 26, v33
	v_cmp_ne_u32_e64 s14, 0, v38
	v_ashrrev_i32_e32 v50, 31, v50
	v_lshlrev_b32_e32 v49, 25, v33
	v_ashrrev_i32_e32 v35, 31, v35
	v_lshlrev_b32_e32 v38, 24, v33
	s_wait_alu 0xf1ff
	v_xor_b32_e32 v34, s14, v34
	v_cmp_gt_i32_e64 s14, 0, v36
	v_not_b32_e32 v36, v37
	v_xor_b32_e32 v50, s15, v50
	v_cmp_gt_i32_e64 s15, 0, v37
	v_and_b32_e32 v34, exec_lo, v34
	v_not_b32_e32 v37, v39
	v_ashrrev_i32_e32 v36, 31, v36
	s_wait_alu 0xf1ff
	v_xor_b32_e32 v35, s14, v35
	v_cmp_gt_i32_e64 s14, 0, v39
	v_and_b32_e32 v34, v34, v50
	v_not_b32_e32 v39, v48
	v_ashrrev_i32_e32 v37, 31, v37
	v_xor_b32_e32 v36, s15, v36
	v_cmp_gt_i32_e64 s15, 0, v48
	v_and_b32_e32 v34, v34, v35
	v_not_b32_e32 v35, v49
	v_ashrrev_i32_e32 v39, 31, v39
	s_wait_alu 0xf1ff
	v_xor_b32_e32 v37, s14, v37
	v_cmp_gt_i32_e64 s14, 0, v49
	v_and_b32_e32 v34, v34, v36
	v_not_b32_e32 v36, v38
	v_ashrrev_i32_e32 v35, 31, v35
	v_xor_b32_e32 v39, s15, v39
	v_lshl_add_u32 v33, v33, 3, v101
	v_and_b32_e32 v34, v34, v37
	v_cmp_gt_i32_e64 s15, 0, v38
	v_ashrrev_i32_e32 v36, 31, v36
	s_wait_alu 0xf1ff
	v_xor_b32_e32 v35, s14, v35
	v_lshl_add_u32 v37, v33, 2, v12
	v_and_b32_e32 v34, v34, v39
	v_xor_b32_e32 v36, s15, v36
	ds_load_b32 v33, v37 offset:32
	v_and_b32_e32 v34, v34, v35
	v_add_nc_u32_e32 v35, 32, v37
	; wave barrier
	s_delay_alu instid0(VALU_DEP_2) | instskip(NEXT) | instid1(VALU_DEP_1)
	v_and_b32_e32 v36, v34, v36
	v_mbcnt_lo_u32_b32 v34, v36, 0
	v_cmp_ne_u32_e64 s15, 0, v36
	s_delay_alu instid0(VALU_DEP_2)
	v_cmp_eq_u32_e64 s14, 0, v34
	s_and_b32 s15, s15, s14
	s_wait_alu 0xfffe
	s_and_saveexec_b32 s14, s15
	s_cbranch_execz .LBB1433_176
; %bb.175:                              ;   in Loop: Header=BB1433_172 Depth=1
	s_wait_dscnt 0x0
	v_bcnt_u32_b32 v36, v36, v33
	ds_store_b32 v35, v36
.LBB1433_176:                           ;   in Loop: Header=BB1433_172 Depth=1
	s_wait_alu 0xfffe
	s_or_b32 exec_lo, exec_lo, s14
	v_cmp_ne_u32_e64 s14, 0x7fffffff, v162
	; wave barrier
	s_wait_alu 0xf1ff
	s_delay_alu instid0(VALU_DEP_1) | instskip(NEXT) | instid1(VALU_DEP_1)
	v_cndmask_b32_e64 v36, 0x80000000, v162, s14
	v_lshrrev_b32_e32 v36, v10, v36
	s_delay_alu instid0(VALU_DEP_1) | instskip(NEXT) | instid1(VALU_DEP_1)
	v_and_b32_e32 v36, v36, v64
	v_and_b32_e32 v37, 1, v36
	v_lshlrev_b32_e32 v38, 30, v36
	v_lshlrev_b32_e32 v39, 29, v36
	;; [unrolled: 1-line block ×4, first 2 shown]
	v_add_co_u32 v37, s14, v37, -1
	s_wait_alu 0xf1ff
	v_cndmask_b32_e64 v49, 0, 1, s14
	v_not_b32_e32 v53, v38
	v_cmp_gt_i32_e64 s15, 0, v38
	v_not_b32_e32 v38, v39
	v_lshlrev_b32_e32 v51, 26, v36
	v_cmp_ne_u32_e64 s14, 0, v49
	v_ashrrev_i32_e32 v53, 31, v53
	v_lshlrev_b32_e32 v52, 25, v36
	v_ashrrev_i32_e32 v38, 31, v38
	v_lshlrev_b32_e32 v49, 24, v36
	s_wait_alu 0xf1ff
	v_xor_b32_e32 v37, s14, v37
	v_cmp_gt_i32_e64 s14, 0, v39
	v_not_b32_e32 v39, v48
	v_xor_b32_e32 v53, s15, v53
	v_cmp_gt_i32_e64 s15, 0, v48
	v_and_b32_e32 v37, exec_lo, v37
	v_not_b32_e32 v48, v50
	v_ashrrev_i32_e32 v39, 31, v39
	s_wait_alu 0xf1ff
	v_xor_b32_e32 v38, s14, v38
	v_cmp_gt_i32_e64 s14, 0, v50
	v_and_b32_e32 v37, v37, v53
	v_not_b32_e32 v50, v51
	v_ashrrev_i32_e32 v48, 31, v48
	v_xor_b32_e32 v39, s15, v39
	v_cmp_gt_i32_e64 s15, 0, v51
	v_and_b32_e32 v37, v37, v38
	v_not_b32_e32 v38, v52
	v_ashrrev_i32_e32 v50, 31, v50
	s_wait_alu 0xf1ff
	v_xor_b32_e32 v48, s14, v48
	v_cmp_gt_i32_e64 s14, 0, v52
	v_and_b32_e32 v37, v37, v39
	v_not_b32_e32 v39, v49
	v_ashrrev_i32_e32 v38, 31, v38
	v_xor_b32_e32 v50, s15, v50
	v_lshl_add_u32 v36, v36, 3, v101
	v_and_b32_e32 v37, v37, v48
	v_cmp_gt_i32_e64 s15, 0, v49
	v_ashrrev_i32_e32 v39, 31, v39
	s_wait_alu 0xf1ff
	v_xor_b32_e32 v38, s14, v38
	v_lshl_add_u32 v48, v36, 2, v12
	v_and_b32_e32 v37, v37, v50
	v_xor_b32_e32 v39, s15, v39
	ds_load_b32 v36, v48 offset:32
	v_and_b32_e32 v37, v37, v38
	v_add_nc_u32_e32 v38, 32, v48
	; wave barrier
	s_delay_alu instid0(VALU_DEP_2) | instskip(NEXT) | instid1(VALU_DEP_1)
	v_and_b32_e32 v39, v37, v39
	v_mbcnt_lo_u32_b32 v37, v39, 0
	v_cmp_ne_u32_e64 s15, 0, v39
	s_delay_alu instid0(VALU_DEP_2)
	v_cmp_eq_u32_e64 s14, 0, v37
	s_and_b32 s15, s15, s14
	s_wait_alu 0xfffe
	s_and_saveexec_b32 s14, s15
	s_cbranch_execz .LBB1433_178
; %bb.177:                              ;   in Loop: Header=BB1433_172 Depth=1
	s_wait_dscnt 0x0
	v_bcnt_u32_b32 v39, v39, v36
	ds_store_b32 v38, v39
.LBB1433_178:                           ;   in Loop: Header=BB1433_172 Depth=1
	s_wait_alu 0xfffe
	s_or_b32 exec_lo, exec_lo, s14
	v_cmp_ne_u32_e64 s14, 0x7fffffff, v161
	; wave barrier
	s_wait_alu 0xf1ff
	s_delay_alu instid0(VALU_DEP_1) | instskip(NEXT) | instid1(VALU_DEP_1)
	v_cndmask_b32_e64 v39, 0x80000000, v161, s14
	v_lshrrev_b32_e32 v39, v10, v39
	s_delay_alu instid0(VALU_DEP_1) | instskip(NEXT) | instid1(VALU_DEP_1)
	v_and_b32_e32 v39, v39, v64
	v_and_b32_e32 v48, 1, v39
	v_lshlrev_b32_e32 v49, 30, v39
	v_lshlrev_b32_e32 v50, 29, v39
	;; [unrolled: 1-line block ×4, first 2 shown]
	v_add_co_u32 v48, s14, v48, -1
	s_wait_alu 0xf1ff
	v_cndmask_b32_e64 v52, 0, 1, s14
	v_not_b32_e32 v65, v49
	v_cmp_gt_i32_e64 s15, 0, v49
	v_not_b32_e32 v49, v50
	v_lshlrev_b32_e32 v54, 26, v39
	v_cmp_ne_u32_e64 s14, 0, v52
	v_ashrrev_i32_e32 v65, 31, v65
	v_lshlrev_b32_e32 v55, 25, v39
	v_ashrrev_i32_e32 v49, 31, v49
	v_lshlrev_b32_e32 v52, 24, v39
	s_wait_alu 0xf1ff
	v_xor_b32_e32 v48, s14, v48
	v_cmp_gt_i32_e64 s14, 0, v50
	v_not_b32_e32 v50, v51
	v_xor_b32_e32 v65, s15, v65
	v_cmp_gt_i32_e64 s15, 0, v51
	v_and_b32_e32 v48, exec_lo, v48
	v_not_b32_e32 v51, v53
	v_ashrrev_i32_e32 v50, 31, v50
	s_wait_alu 0xf1ff
	v_xor_b32_e32 v49, s14, v49
	v_cmp_gt_i32_e64 s14, 0, v53
	v_and_b32_e32 v48, v48, v65
	v_not_b32_e32 v53, v54
	v_ashrrev_i32_e32 v51, 31, v51
	v_xor_b32_e32 v50, s15, v50
	v_cmp_gt_i32_e64 s15, 0, v54
	v_and_b32_e32 v48, v48, v49
	v_not_b32_e32 v49, v55
	v_ashrrev_i32_e32 v53, 31, v53
	s_wait_alu 0xf1ff
	v_xor_b32_e32 v51, s14, v51
	v_cmp_gt_i32_e64 s14, 0, v55
	v_and_b32_e32 v48, v48, v50
	v_not_b32_e32 v50, v52
	v_ashrrev_i32_e32 v49, 31, v49
	v_xor_b32_e32 v53, s15, v53
	v_lshl_add_u32 v39, v39, 3, v101
	v_and_b32_e32 v48, v48, v51
	v_cmp_gt_i32_e64 s15, 0, v52
	v_ashrrev_i32_e32 v50, 31, v50
	s_wait_alu 0xf1ff
	v_xor_b32_e32 v49, s14, v49
	v_lshl_add_u32 v51, v39, 2, v12
	v_and_b32_e32 v48, v48, v53
	v_xor_b32_e32 v50, s15, v50
	ds_load_b32 v39, v51 offset:32
	v_and_b32_e32 v48, v48, v49
	v_add_nc_u32_e32 v49, 32, v51
	; wave barrier
	s_delay_alu instid0(VALU_DEP_2) | instskip(NEXT) | instid1(VALU_DEP_1)
	v_and_b32_e32 v50, v48, v50
	v_mbcnt_lo_u32_b32 v48, v50, 0
	v_cmp_ne_u32_e64 s15, 0, v50
	s_delay_alu instid0(VALU_DEP_2)
	v_cmp_eq_u32_e64 s14, 0, v48
	s_and_b32 s15, s15, s14
	s_wait_alu 0xfffe
	s_and_saveexec_b32 s14, s15
	s_cbranch_execz .LBB1433_180
; %bb.179:                              ;   in Loop: Header=BB1433_172 Depth=1
	s_wait_dscnt 0x0
	v_bcnt_u32_b32 v50, v50, v39
	ds_store_b32 v49, v50
.LBB1433_180:                           ;   in Loop: Header=BB1433_172 Depth=1
	s_wait_alu 0xfffe
	s_or_b32 exec_lo, exec_lo, s14
	v_cmp_ne_u32_e64 s14, 0x7fffffff, v160
	; wave barrier
	s_wait_alu 0xf1ff
	s_delay_alu instid0(VALU_DEP_1) | instskip(NEXT) | instid1(VALU_DEP_1)
	v_cndmask_b32_e64 v50, 0x80000000, v160, s14
	v_lshrrev_b32_e32 v50, v10, v50
	s_delay_alu instid0(VALU_DEP_1) | instskip(NEXT) | instid1(VALU_DEP_1)
	v_and_b32_e32 v50, v50, v64
	v_and_b32_e32 v51, 1, v50
	v_lshlrev_b32_e32 v52, 30, v50
	v_lshlrev_b32_e32 v53, 29, v50
	;; [unrolled: 1-line block ×4, first 2 shown]
	v_add_co_u32 v51, s14, v51, -1
	s_wait_alu 0xf1ff
	v_cndmask_b32_e64 v55, 0, 1, s14
	v_not_b32_e32 v68, v52
	v_cmp_gt_i32_e64 s15, 0, v52
	v_not_b32_e32 v52, v53
	v_lshlrev_b32_e32 v66, 26, v50
	v_cmp_ne_u32_e64 s14, 0, v55
	v_ashrrev_i32_e32 v68, 31, v68
	v_lshlrev_b32_e32 v67, 25, v50
	v_ashrrev_i32_e32 v52, 31, v52
	v_lshlrev_b32_e32 v55, 24, v50
	s_wait_alu 0xf1ff
	v_xor_b32_e32 v51, s14, v51
	v_cmp_gt_i32_e64 s14, 0, v53
	v_not_b32_e32 v53, v54
	v_xor_b32_e32 v68, s15, v68
	v_cmp_gt_i32_e64 s15, 0, v54
	v_and_b32_e32 v51, exec_lo, v51
	v_not_b32_e32 v54, v65
	v_ashrrev_i32_e32 v53, 31, v53
	s_wait_alu 0xf1ff
	v_xor_b32_e32 v52, s14, v52
	v_cmp_gt_i32_e64 s14, 0, v65
	v_and_b32_e32 v51, v51, v68
	v_not_b32_e32 v65, v66
	v_ashrrev_i32_e32 v54, 31, v54
	v_xor_b32_e32 v53, s15, v53
	v_cmp_gt_i32_e64 s15, 0, v66
	v_and_b32_e32 v51, v51, v52
	v_not_b32_e32 v52, v67
	v_ashrrev_i32_e32 v65, 31, v65
	s_wait_alu 0xf1ff
	v_xor_b32_e32 v54, s14, v54
	v_cmp_gt_i32_e64 s14, 0, v67
	v_and_b32_e32 v51, v51, v53
	v_not_b32_e32 v53, v55
	v_ashrrev_i32_e32 v52, 31, v52
	v_xor_b32_e32 v65, s15, v65
	v_lshl_add_u32 v50, v50, 3, v101
	v_and_b32_e32 v51, v51, v54
	v_cmp_gt_i32_e64 s15, 0, v55
	v_ashrrev_i32_e32 v53, 31, v53
	s_wait_alu 0xf1ff
	v_xor_b32_e32 v52, s14, v52
	v_lshl_add_u32 v54, v50, 2, v12
	v_and_b32_e32 v51, v51, v65
	v_xor_b32_e32 v53, s15, v53
	ds_load_b32 v50, v54 offset:32
	v_and_b32_e32 v51, v51, v52
	v_add_nc_u32_e32 v52, 32, v54
	; wave barrier
	s_delay_alu instid0(VALU_DEP_2) | instskip(NEXT) | instid1(VALU_DEP_1)
	v_and_b32_e32 v53, v51, v53
	v_mbcnt_lo_u32_b32 v51, v53, 0
	v_cmp_ne_u32_e64 s15, 0, v53
	s_delay_alu instid0(VALU_DEP_2)
	v_cmp_eq_u32_e64 s14, 0, v51
	s_and_b32 s15, s15, s14
	s_wait_alu 0xfffe
	s_and_saveexec_b32 s14, s15
	s_cbranch_execz .LBB1433_182
; %bb.181:                              ;   in Loop: Header=BB1433_172 Depth=1
	s_wait_dscnt 0x0
	v_bcnt_u32_b32 v53, v53, v50
	ds_store_b32 v52, v53
.LBB1433_182:                           ;   in Loop: Header=BB1433_172 Depth=1
	s_wait_alu 0xfffe
	s_or_b32 exec_lo, exec_lo, s14
	v_cmp_ne_u32_e64 s14, 0x7fffffff, v151
	; wave barrier
	s_wait_alu 0xf1ff
	s_delay_alu instid0(VALU_DEP_1) | instskip(NEXT) | instid1(VALU_DEP_1)
	v_cndmask_b32_e64 v53, 0x80000000, v151, s14
	v_lshrrev_b32_e32 v53, v10, v53
	s_delay_alu instid0(VALU_DEP_1) | instskip(NEXT) | instid1(VALU_DEP_1)
	v_and_b32_e32 v53, v53, v64
	v_and_b32_e32 v54, 1, v53
	v_lshlrev_b32_e32 v55, 30, v53
	v_lshlrev_b32_e32 v65, 29, v53
	;; [unrolled: 1-line block ×4, first 2 shown]
	v_add_co_u32 v54, s14, v54, -1
	s_wait_alu 0xf1ff
	v_cndmask_b32_e64 v67, 0, 1, s14
	v_not_b32_e32 v71, v55
	v_cmp_gt_i32_e64 s15, 0, v55
	v_not_b32_e32 v55, v65
	v_lshlrev_b32_e32 v69, 26, v53
	v_cmp_ne_u32_e64 s14, 0, v67
	v_ashrrev_i32_e32 v71, 31, v71
	v_lshlrev_b32_e32 v70, 25, v53
	v_ashrrev_i32_e32 v55, 31, v55
	v_lshlrev_b32_e32 v67, 24, v53
	s_wait_alu 0xf1ff
	v_xor_b32_e32 v54, s14, v54
	v_cmp_gt_i32_e64 s14, 0, v65
	v_not_b32_e32 v65, v66
	v_xor_b32_e32 v71, s15, v71
	v_cmp_gt_i32_e64 s15, 0, v66
	v_and_b32_e32 v54, exec_lo, v54
	v_not_b32_e32 v66, v68
	v_ashrrev_i32_e32 v65, 31, v65
	s_wait_alu 0xf1ff
	v_xor_b32_e32 v55, s14, v55
	v_cmp_gt_i32_e64 s14, 0, v68
	v_and_b32_e32 v54, v54, v71
	v_not_b32_e32 v68, v69
	v_ashrrev_i32_e32 v66, 31, v66
	v_xor_b32_e32 v65, s15, v65
	v_cmp_gt_i32_e64 s15, 0, v69
	v_and_b32_e32 v54, v54, v55
	v_not_b32_e32 v55, v70
	v_ashrrev_i32_e32 v68, 31, v68
	s_wait_alu 0xf1ff
	v_xor_b32_e32 v66, s14, v66
	v_cmp_gt_i32_e64 s14, 0, v70
	v_and_b32_e32 v54, v54, v65
	v_not_b32_e32 v65, v67
	v_ashrrev_i32_e32 v55, 31, v55
	v_xor_b32_e32 v68, s15, v68
	v_lshl_add_u32 v53, v53, 3, v101
	v_and_b32_e32 v54, v54, v66
	v_cmp_gt_i32_e64 s15, 0, v67
	v_ashrrev_i32_e32 v65, 31, v65
	s_wait_alu 0xf1ff
	v_xor_b32_e32 v55, s14, v55
	v_lshl_add_u32 v66, v53, 2, v12
	v_and_b32_e32 v54, v54, v68
	v_xor_b32_e32 v65, s15, v65
	ds_load_b32 v53, v66 offset:32
	v_and_b32_e32 v54, v54, v55
	v_add_nc_u32_e32 v55, 32, v66
	; wave barrier
	s_delay_alu instid0(VALU_DEP_2) | instskip(NEXT) | instid1(VALU_DEP_1)
	v_and_b32_e32 v65, v54, v65
	v_mbcnt_lo_u32_b32 v54, v65, 0
	v_cmp_ne_u32_e64 s15, 0, v65
	s_delay_alu instid0(VALU_DEP_2)
	v_cmp_eq_u32_e64 s14, 0, v54
	s_and_b32 s15, s15, s14
	s_wait_alu 0xfffe
	s_and_saveexec_b32 s14, s15
	s_cbranch_execz .LBB1433_184
; %bb.183:                              ;   in Loop: Header=BB1433_172 Depth=1
	s_wait_dscnt 0x0
	v_bcnt_u32_b32 v65, v65, v53
	ds_store_b32 v55, v65
.LBB1433_184:                           ;   in Loop: Header=BB1433_172 Depth=1
	s_wait_alu 0xfffe
	s_or_b32 exec_lo, exec_lo, s14
	v_cmp_ne_u32_e64 s14, 0x7fffffff, v150
	; wave barrier
	s_wait_alu 0xf1ff
	s_delay_alu instid0(VALU_DEP_1) | instskip(NEXT) | instid1(VALU_DEP_1)
	v_cndmask_b32_e64 v65, 0x80000000, v150, s14
	v_lshrrev_b32_e32 v65, v10, v65
	s_delay_alu instid0(VALU_DEP_1) | instskip(NEXT) | instid1(VALU_DEP_1)
	v_and_b32_e32 v65, v65, v64
	v_and_b32_e32 v66, 1, v65
	v_lshlrev_b32_e32 v67, 30, v65
	v_lshlrev_b32_e32 v68, 29, v65
	;; [unrolled: 1-line block ×4, first 2 shown]
	v_add_co_u32 v66, s14, v66, -1
	s_wait_alu 0xf1ff
	v_cndmask_b32_e64 v70, 0, 1, s14
	v_not_b32_e32 v82, v67
	v_cmp_gt_i32_e64 s15, 0, v67
	v_not_b32_e32 v67, v68
	v_lshlrev_b32_e32 v80, 26, v65
	v_cmp_ne_u32_e64 s14, 0, v70
	v_ashrrev_i32_e32 v82, 31, v82
	v_lshlrev_b32_e32 v81, 25, v65
	v_ashrrev_i32_e32 v67, 31, v67
	v_lshlrev_b32_e32 v70, 24, v65
	s_wait_alu 0xf1ff
	v_xor_b32_e32 v66, s14, v66
	v_cmp_gt_i32_e64 s14, 0, v68
	v_not_b32_e32 v68, v69
	v_xor_b32_e32 v82, s15, v82
	v_cmp_gt_i32_e64 s15, 0, v69
	v_and_b32_e32 v66, exec_lo, v66
	v_not_b32_e32 v69, v71
	v_ashrrev_i32_e32 v68, 31, v68
	s_wait_alu 0xf1ff
	v_xor_b32_e32 v67, s14, v67
	v_cmp_gt_i32_e64 s14, 0, v71
	v_and_b32_e32 v66, v66, v82
	v_not_b32_e32 v71, v80
	v_ashrrev_i32_e32 v69, 31, v69
	v_xor_b32_e32 v68, s15, v68
	v_cmp_gt_i32_e64 s15, 0, v80
	v_and_b32_e32 v66, v66, v67
	v_not_b32_e32 v67, v81
	v_ashrrev_i32_e32 v71, 31, v71
	s_wait_alu 0xf1ff
	v_xor_b32_e32 v69, s14, v69
	v_cmp_gt_i32_e64 s14, 0, v81
	v_and_b32_e32 v66, v66, v68
	v_not_b32_e32 v68, v70
	v_ashrrev_i32_e32 v67, 31, v67
	v_xor_b32_e32 v71, s15, v71
	v_lshl_add_u32 v65, v65, 3, v101
	v_and_b32_e32 v66, v66, v69
	v_cmp_gt_i32_e64 s15, 0, v70
	v_ashrrev_i32_e32 v68, 31, v68
	s_wait_alu 0xf1ff
	v_xor_b32_e32 v67, s14, v67
	v_lshl_add_u32 v65, v65, 2, v12
	v_and_b32_e32 v66, v66, v71
	v_xor_b32_e32 v68, s15, v68
	ds_load_b32 v82, v65 offset:32
	v_and_b32_e32 v66, v66, v67
	v_add_nc_u32_e32 v65, 32, v65
	; wave barrier
	s_delay_alu instid0(VALU_DEP_2) | instskip(NEXT) | instid1(VALU_DEP_1)
	v_and_b32_e32 v66, v66, v68
	v_mbcnt_lo_u32_b32 v84, v66, 0
	v_cmp_ne_u32_e64 s15, 0, v66
	s_delay_alu instid0(VALU_DEP_2)
	v_cmp_eq_u32_e64 s14, 0, v84
	s_and_b32 s15, s15, s14
	s_wait_alu 0xfffe
	s_and_saveexec_b32 s14, s15
	s_cbranch_execz .LBB1433_186
; %bb.185:                              ;   in Loop: Header=BB1433_172 Depth=1
	s_wait_dscnt 0x0
	v_bcnt_u32_b32 v66, v66, v82
	ds_store_b32 v65, v66
.LBB1433_186:                           ;   in Loop: Header=BB1433_172 Depth=1
	s_wait_alu 0xfffe
	s_or_b32 exec_lo, exec_lo, s14
	v_cmp_ne_u32_e64 s14, 0x7fffffff, v149
	; wave barrier
	s_wait_alu 0xf1ff
	s_delay_alu instid0(VALU_DEP_1) | instskip(NEXT) | instid1(VALU_DEP_1)
	v_cndmask_b32_e64 v66, 0x80000000, v149, s14
	v_lshrrev_b32_e32 v66, v10, v66
	s_delay_alu instid0(VALU_DEP_1) | instskip(NEXT) | instid1(VALU_DEP_1)
	v_and_b32_e32 v64, v66, v64
	v_and_b32_e32 v66, 1, v64
	v_lshlrev_b32_e32 v67, 30, v64
	v_lshlrev_b32_e32 v68, 29, v64
	;; [unrolled: 1-line block ×4, first 2 shown]
	v_add_co_u32 v66, s14, v66, -1
	s_wait_alu 0xf1ff
	v_cndmask_b32_e64 v70, 0, 1, s14
	v_not_b32_e32 v83, v67
	v_cmp_gt_i32_e64 s15, 0, v67
	v_not_b32_e32 v67, v68
	v_lshlrev_b32_e32 v80, 26, v64
	v_cmp_ne_u32_e64 s14, 0, v70
	v_ashrrev_i32_e32 v83, 31, v83
	v_lshlrev_b32_e32 v81, 25, v64
	v_ashrrev_i32_e32 v67, 31, v67
	v_lshlrev_b32_e32 v70, 24, v64
	s_wait_alu 0xf1ff
	v_xor_b32_e32 v66, s14, v66
	v_cmp_gt_i32_e64 s14, 0, v68
	v_not_b32_e32 v68, v69
	v_xor_b32_e32 v83, s15, v83
	v_cmp_gt_i32_e64 s15, 0, v69
	v_and_b32_e32 v66, exec_lo, v66
	v_not_b32_e32 v69, v71
	v_ashrrev_i32_e32 v68, 31, v68
	s_wait_alu 0xf1ff
	v_xor_b32_e32 v67, s14, v67
	v_cmp_gt_i32_e64 s14, 0, v71
	v_and_b32_e32 v66, v66, v83
	v_not_b32_e32 v71, v80
	v_ashrrev_i32_e32 v69, 31, v69
	v_xor_b32_e32 v68, s15, v68
	v_cmp_gt_i32_e64 s15, 0, v80
	v_and_b32_e32 v66, v66, v67
	v_not_b32_e32 v67, v81
	v_ashrrev_i32_e32 v71, 31, v71
	s_wait_alu 0xf1ff
	v_xor_b32_e32 v69, s14, v69
	v_cmp_gt_i32_e64 s14, 0, v81
	v_and_b32_e32 v66, v66, v68
	v_not_b32_e32 v68, v70
	v_ashrrev_i32_e32 v67, 31, v67
	v_xor_b32_e32 v71, s15, v71
	v_lshl_add_u32 v64, v64, 3, v101
	v_and_b32_e32 v66, v66, v69
	v_cmp_gt_i32_e64 s15, 0, v70
	v_ashrrev_i32_e32 v68, 31, v68
	s_wait_alu 0xf1ff
	v_xor_b32_e32 v67, s14, v67
	v_lshl_add_u32 v64, v64, 2, v12
	v_and_b32_e32 v66, v66, v71
	v_xor_b32_e32 v68, s15, v68
	ds_load_b32 v164, v64 offset:32
	v_and_b32_e32 v66, v66, v67
	v_add_nc_u32_e32 v64, 32, v64
	; wave barrier
	s_delay_alu instid0(VALU_DEP_2) | instskip(NEXT) | instid1(VALU_DEP_1)
	v_and_b32_e32 v66, v66, v68
	v_mbcnt_lo_u32_b32 v165, v66, 0
	v_cmp_ne_u32_e64 s15, 0, v66
	s_delay_alu instid0(VALU_DEP_2)
	v_cmp_eq_u32_e64 s14, 0, v165
	s_and_b32 s15, s15, s14
	s_wait_alu 0xfffe
	s_and_saveexec_b32 s14, s15
	s_cbranch_execz .LBB1433_188
; %bb.187:                              ;   in Loop: Header=BB1433_172 Depth=1
	s_wait_dscnt 0x0
	v_bcnt_u32_b32 v66, v66, v164
	ds_store_b32 v64, v66
.LBB1433_188:                           ;   in Loop: Header=BB1433_172 Depth=1
	s_wait_alu 0xfffe
	s_or_b32 exec_lo, exec_lo, s14
	; wave barrier
	s_wait_loadcnt_dscnt 0x0
	s_barrier_signal -1
	s_barrier_wait -1
	global_inv scope:SCOPE_SE
	ds_load_b32 v67, v25
	ds_load_b32 v68, v86
	ds_load_b32 v69, v87
	ds_load_b32 v70, v96
	ds_load_b32 v71, v97
	ds_load_b32 v80, v98
	ds_load_b32 v66, v99
	ds_load_b32 v81, v100
	s_wait_dscnt 0x6
	v_add_nc_u32_e32 v83, v68, v67
	s_wait_dscnt 0x4
	s_delay_alu instid0(VALU_DEP_1) | instskip(SKIP_1) | instid1(VALU_DEP_1)
	v_add3_u32 v83, v83, v69, v70
	s_wait_dscnt 0x2
	v_add3_u32 v83, v83, v71, v80
	s_wait_dscnt 0x0
	s_delay_alu instid0(VALU_DEP_1) | instskip(NEXT) | instid1(VALU_DEP_1)
	v_add3_u32 v81, v83, v66, v81
	v_mov_b32_dpp v83, v81 row_shr:1 row_mask:0xf bank_mask:0xf
	s_wait_alu 0xfffd
	s_delay_alu instid0(VALU_DEP_1) | instskip(NEXT) | instid1(VALU_DEP_1)
	v_cndmask_b32_e64 v83, v83, 0, vcc_lo
	v_add_nc_u32_e32 v81, v83, v81
	s_delay_alu instid0(VALU_DEP_1) | instskip(NEXT) | instid1(VALU_DEP_1)
	v_mov_b32_dpp v83, v81 row_shr:2 row_mask:0xf bank_mask:0xf
	v_cndmask_b32_e64 v83, 0, v83, s0
	s_delay_alu instid0(VALU_DEP_1) | instskip(NEXT) | instid1(VALU_DEP_1)
	v_add_nc_u32_e32 v81, v81, v83
	v_mov_b32_dpp v83, v81 row_shr:4 row_mask:0xf bank_mask:0xf
	s_delay_alu instid0(VALU_DEP_1) | instskip(NEXT) | instid1(VALU_DEP_1)
	v_cndmask_b32_e64 v83, 0, v83, s1
	v_add_nc_u32_e32 v81, v81, v83
	s_delay_alu instid0(VALU_DEP_1) | instskip(NEXT) | instid1(VALU_DEP_1)
	v_mov_b32_dpp v83, v81 row_shr:8 row_mask:0xf bank_mask:0xf
	v_cndmask_b32_e64 v83, 0, v83, s3
	s_delay_alu instid0(VALU_DEP_1) | instskip(SKIP_3) | instid1(VALU_DEP_1)
	v_add_nc_u32_e32 v81, v81, v83
	ds_swizzle_b32 v83, v81 offset:swizzle(BROADCAST,32,15)
	s_wait_dscnt 0x0
	v_cndmask_b32_e64 v83, v83, 0, s4
	v_add_nc_u32_e32 v81, v81, v83
	s_and_saveexec_b32 s14, s5
; %bb.189:                              ;   in Loop: Header=BB1433_172 Depth=1
	ds_store_b32 v112, v81
; %bb.190:                              ;   in Loop: Header=BB1433_172 Depth=1
	s_wait_alu 0xfffe
	s_or_b32 exec_lo, exec_lo, s14
	s_wait_loadcnt_dscnt 0x0
	s_barrier_signal -1
	s_barrier_wait -1
	global_inv scope:SCOPE_SE
	s_and_saveexec_b32 s14, s6
	s_cbranch_execz .LBB1433_192
; %bb.191:                              ;   in Loop: Header=BB1433_172 Depth=1
	ds_load_b32 v83, v102
	s_wait_dscnt 0x0
	v_mov_b32_dpp v85, v83 row_shr:1 row_mask:0xf bank_mask:0xf
	s_delay_alu instid0(VALU_DEP_1) | instskip(NEXT) | instid1(VALU_DEP_1)
	v_cndmask_b32_e64 v85, v85, 0, s11
	v_add_nc_u32_e32 v83, v85, v83
	s_delay_alu instid0(VALU_DEP_1) | instskip(NEXT) | instid1(VALU_DEP_1)
	v_mov_b32_dpp v85, v83 row_shr:2 row_mask:0xf bank_mask:0xf
	v_cndmask_b32_e64 v85, 0, v85, s12
	s_delay_alu instid0(VALU_DEP_1) | instskip(NEXT) | instid1(VALU_DEP_1)
	v_add_nc_u32_e32 v83, v83, v85
	v_mov_b32_dpp v85, v83 row_shr:4 row_mask:0xf bank_mask:0xf
	s_delay_alu instid0(VALU_DEP_1) | instskip(NEXT) | instid1(VALU_DEP_1)
	v_cndmask_b32_e64 v85, 0, v85, s13
	v_add_nc_u32_e32 v83, v83, v85
	ds_store_b32 v102, v83
.LBB1433_192:                           ;   in Loop: Header=BB1433_172 Depth=1
	s_wait_alu 0xfffe
	s_or_b32 exec_lo, exec_lo, s14
	v_mov_b32_e32 v83, 0
	s_wait_loadcnt_dscnt 0x0
	s_barrier_signal -1
	s_barrier_wait -1
	global_inv scope:SCOPE_SE
	s_and_saveexec_b32 s14, s7
; %bb.193:                              ;   in Loop: Header=BB1433_172 Depth=1
	ds_load_b32 v83, v114
; %bb.194:                              ;   in Loop: Header=BB1433_172 Depth=1
	s_wait_alu 0xfffe
	s_or_b32 exec_lo, exec_lo, s14
	s_wait_dscnt 0x0
	v_add_nc_u32_e32 v81, v83, v81
	v_dual_mov_b32 v85, v5 :: v_dual_add_nc_u32 v10, 8, v10
	s_mov_b32 s20, -1
	ds_bpermute_b32 v81, v103, v81
	s_wait_dscnt 0x0
	v_cndmask_b32_e64 v81, v81, v83, s2
	v_mov_b32_e32 v83, v5
	s_delay_alu instid0(VALU_DEP_2) | instskip(NEXT) | instid1(VALU_DEP_1)
	v_cndmask_b32_e64 v81, v81, 0, s10
	v_add_nc_u32_e32 v67, v81, v67
	s_delay_alu instid0(VALU_DEP_1)
	v_add_nc_u32_e32 v68, v67, v68
	ds_store_b32 v25, v81
	ds_store_b32 v86, v67
	;; [unrolled: 1-line block ×3, first 2 shown]
	v_mov_b32_e32 v67, v5
	v_add_nc_u32_e32 v69, v68, v69
	s_delay_alu instid0(VALU_DEP_1) | instskip(NEXT) | instid1(VALU_DEP_1)
	v_add_nc_u32_e32 v70, v69, v70
	v_add_nc_u32_e32 v71, v70, v71
	s_delay_alu instid0(VALU_DEP_1) | instskip(NEXT) | instid1(VALU_DEP_1)
	v_add_nc_u32_e32 v80, v71, v80
	v_add_nc_u32_e32 v66, v80, v66
	ds_store_b32 v96, v69
	ds_store_b32 v97, v70
	;; [unrolled: 1-line block ×5, first 2 shown]
	s_wait_loadcnt_dscnt 0x0
	s_barrier_signal -1
	s_barrier_wait -1
	global_inv scope:SCOPE_SE
	ds_load_b32 v32, v32
	ds_load_b32 v35, v35
	;; [unrolled: 1-line block ×8, first 2 shown]
	v_mov_b32_e32 v81, v5
	v_mov_b32_e32 v71, v5
	;; [unrolled: 1-line block ×4, first 2 shown]
	v_cmp_lt_u32_e64 s14, v10, v11
	s_wait_loadcnt_dscnt 0x0
	v_add_nc_u32_e32 v4, v32, v4
	v_add3_u32 v66, v34, v33, v35
	v_add3_u32 v70, v37, v36, v38
	;; [unrolled: 1-line block ×5, first 2 shown]
	v_lshlrev_b64_e32 v[32:33], 2, v[4:5]
	v_add3_u32 v82, v84, v82, v166
	v_add3_u32 v84, v165, v164, v167
	v_lshlrev_b64_e32 v[33:34], 2, v[66:67]
	v_lshlrev_b64_e32 v[34:35], 2, v[70:71]
	;; [unrolled: 1-line block ×7, first 2 shown]
	v_add_co_u32 v180, null, v12, v32
	v_add_co_u32 v179, null, v12, v33
	;; [unrolled: 1-line block ×8, first 2 shown]
                                        ; implicit-def: $vgpr164
                                        ; implicit-def: $vgpr85
                                        ; implicit-def: $vgpr81
                                        ; implicit-def: $vgpr71
                                        ; implicit-def: $vgpr69
                                        ; implicit-def: $vgpr67
                                        ; implicit-def: $vgpr65
                                        ; implicit-def: $vgpr83
                                        ; implicit-def: $vgpr34_vgpr35
                                        ; implicit-def: $vgpr38_vgpr39
                                        ; implicit-def: $vgpr48_vgpr49
                                        ; implicit-def: $vgpr50_vgpr51
                                        ; implicit-def: $vgpr52_vgpr53
                                        ; implicit-def: $vgpr54_vgpr55
                                        ; implicit-def: $vgpr32_vgpr33
                                        ; implicit-def: $vgpr36_vgpr37
	s_and_saveexec_b32 s15, s14
	s_cbranch_execz .LBB1433_171
; %bb.195:                              ;   in Loop: Header=BB1433_172 Depth=1
	v_lshl_add_u32 v32, v4, 2, v180
	v_lshl_add_u32 v33, v66, 2, v179
	;; [unrolled: 1-line block ×3, first 2 shown]
	s_barrier_signal -1
	s_barrier_wait -1
	global_inv scope:SCOPE_SE
	ds_store_b32 v180, v148
	ds_store_b32 v179, v163
	;; [unrolled: 1-line block ×8, first 2 shown]
	s_wait_loadcnt_dscnt 0x0
	s_barrier_signal -1
	s_barrier_wait -1
	global_inv scope:SCOPE_SE
	ds_load_b32 v83, v113
	ds_load_b32 v65, v115
	;; [unrolled: 1-line block ×8, first 2 shown]
	s_wait_loadcnt_dscnt 0x0
	s_barrier_signal -1
	s_barrier_wait -1
	global_inv scope:SCOPE_SE
	ds_store_b64 v32, v[22:23]
	ds_store_b64 v33, v[19:20]
	;; [unrolled: 1-line block ×3, first 2 shown]
	v_lshl_add_u32 v32, v64, 2, v177
	v_lshl_add_u32 v33, v68, 2, v176
	;; [unrolled: 1-line block ×5, first 2 shown]
	ds_store_b64 v32, v[8:9]
	ds_store_b64 v33, v[15:16]
	;; [unrolled: 1-line block ×5, first 2 shown]
	s_wait_loadcnt_dscnt 0x0
	s_barrier_signal -1
	s_barrier_wait -1
	global_inv scope:SCOPE_SE
	ds_load_b64 v[34:35], v118
	ds_load_b64 v[38:39], v132
	;; [unrolled: 1-line block ×8, first 2 shown]
	v_add_nc_u32_e32 v147, -8, v147
	s_xor_b32 s20, exec_lo, -1
	s_wait_loadcnt_dscnt 0x0
	s_barrier_signal -1
	s_barrier_wait -1
	global_inv scope:SCOPE_SE
	s_branch .LBB1433_171
.LBB1433_196:
	flat_load_b64 v[64:65], v[4:5]
	s_wait_alu 0xfffe
	s_or_b32 exec_lo, exec_lo, s17
                                        ; implicit-def: $vgpr70_vgpr71
	s_and_saveexec_b32 s17, s0
	s_cbranch_execz .LBB1433_36
.LBB1433_197:
	flat_load_b64 v[70:71], v[4:5] offset:256
	s_wait_alu 0xfffe
	s_or_b32 exec_lo, exec_lo, s17
                                        ; implicit-def: $vgpr66_vgpr67
	s_and_saveexec_b32 s0, s1
	s_cbranch_execz .LBB1433_37
.LBB1433_198:
	flat_load_b64 v[66:67], v[4:5] offset:512
	s_wait_alu 0xfffe
	s_or_b32 exec_lo, exec_lo, s0
                                        ; implicit-def: $vgpr68_vgpr69
	s_and_saveexec_b32 s0, s2
	s_cbranch_execz .LBB1433_38
.LBB1433_199:
	flat_load_b64 v[68:69], v[4:5] offset:768
	s_wait_alu 0xfffe
	s_or_b32 exec_lo, exec_lo, s0
                                        ; implicit-def: $vgpr82_vgpr83
	s_and_saveexec_b32 s0, s3
	s_cbranch_execz .LBB1433_39
.LBB1433_200:
	flat_load_b64 v[82:83], v[4:5] offset:1024
	s_wait_alu 0xfffe
	s_or_b32 exec_lo, exec_lo, s0
                                        ; implicit-def: $vgpr80_vgpr81
	s_and_saveexec_b32 s0, s4
	s_cbranch_execz .LBB1433_40
.LBB1433_201:
	flat_load_b64 v[80:81], v[4:5] offset:1280
	s_wait_alu 0xfffe
	s_or_b32 exec_lo, exec_lo, s0
                                        ; implicit-def: $vgpr84_vgpr85
	s_and_saveexec_b32 s0, s5
	s_cbranch_execz .LBB1433_41
.LBB1433_202:
	flat_load_b64 v[84:85], v[4:5] offset:1536
	s_wait_alu 0xfffe
	s_or_b32 exec_lo, exec_lo, s0
                                        ; implicit-def: $vgpr86_vgpr87
	s_and_saveexec_b32 s0, s6
	s_cbranch_execz .LBB1433_42
.LBB1433_203:
	flat_load_b64 v[86:87], v[4:5] offset:1792
	s_wait_alu 0xfffe
	s_or_b32 exec_lo, exec_lo, s0
                                        ; implicit-def: $vgpr96_vgpr97
	s_and_saveexec_b32 s0, s7
	s_cbranch_execz .LBB1433_43
.LBB1433_204:
	flat_load_b64 v[96:97], v[4:5] offset:2048
	s_wait_alu 0xfffe
	s_or_b32 exec_lo, exec_lo, s0
                                        ; implicit-def: $vgpr98_vgpr99
	s_and_saveexec_b32 s0, s10
	s_cbranch_execz .LBB1433_44
.LBB1433_205:
	flat_load_b64 v[98:99], v[4:5] offset:2304
	s_wait_alu 0xfffe
	s_or_b32 exec_lo, exec_lo, s0
                                        ; implicit-def: $vgpr100_vgpr101
	s_and_saveexec_b32 s0, s11
	s_cbranch_execz .LBB1433_45
.LBB1433_206:
	flat_load_b64 v[100:101], v[4:5] offset:2560
	s_wait_alu 0xfffe
	s_or_b32 exec_lo, exec_lo, s0
                                        ; implicit-def: $vgpr102_vgpr103
	s_and_saveexec_b32 s0, s12
	s_cbranch_execz .LBB1433_46
.LBB1433_207:
	flat_load_b64 v[102:103], v[4:5] offset:2816
	s_wait_alu 0xfffe
	s_or_b32 exec_lo, exec_lo, s0
                                        ; implicit-def: $vgpr112_vgpr113
	s_and_saveexec_b32 s0, s13
	s_cbranch_execz .LBB1433_47
.LBB1433_208:
	flat_load_b64 v[112:113], v[4:5] offset:3072
	s_wait_alu 0xfffe
	s_or_b32 exec_lo, exec_lo, s0
                                        ; implicit-def: $vgpr117_vgpr118
	s_and_saveexec_b32 s0, s14
	s_cbranch_execz .LBB1433_48
.LBB1433_209:
	flat_load_b64 v[117:118], v[4:5] offset:3328
	s_wait_alu 0xfffe
	s_or_b32 exec_lo, exec_lo, s0
                                        ; implicit-def: $vgpr149_vgpr150
	s_and_saveexec_b32 s0, s15
	s_cbranch_execz .LBB1433_49
.LBB1433_210:
	flat_load_b64 v[149:150], v[4:5] offset:3584
	s_wait_alu 0xfffe
	s_or_b32 exec_lo, exec_lo, s0
                                        ; implicit-def: $vgpr160_vgpr161
	s_and_saveexec_b32 s0, s16
	s_cbranch_execnz .LBB1433_50
	s_branch .LBB1433_51
.LBB1433_211:
	flat_store_b64 v[0:1], v[36:37]
	s_wait_alu 0xfffe
	s_or_b32 exec_lo, exec_lo, s17
	s_and_saveexec_b32 s17, s0
	s_cbranch_execz .LBB1433_127
.LBB1433_212:
	flat_store_b64 v[0:1], v[38:39] offset:2048
	s_wait_alu 0xfffe
	s_or_b32 exec_lo, exec_lo, s17
	s_and_saveexec_b32 s0, s1
	s_cbranch_execz .LBB1433_128
.LBB1433_213:
	flat_store_b64 v[0:1], v[32:33] offset:4096
	s_wait_alu 0xfffe
	s_or_b32 exec_lo, exec_lo, s0
	s_and_saveexec_b32 s0, s2
	s_cbranch_execz .LBB1433_129
.LBB1433_214:
	flat_store_b64 v[0:1], v[34:35] offset:6144
	s_wait_alu 0xfffe
	s_or_b32 exec_lo, exec_lo, s0
	s_and_saveexec_b32 s0, s3
	s_cbranch_execz .LBB1433_130
.LBB1433_215:
	flat_store_b64 v[0:1], v[28:29] offset:8192
	s_wait_alu 0xfffe
	s_or_b32 exec_lo, exec_lo, s0
	s_and_saveexec_b32 s0, s4
	s_cbranch_execz .LBB1433_131
.LBB1433_216:
	flat_store_b64 v[0:1], v[30:31] offset:10240
	s_wait_alu 0xfffe
	s_or_b32 exec_lo, exec_lo, s0
	s_and_saveexec_b32 s0, s5
	s_cbranch_execz .LBB1433_132
.LBB1433_217:
	flat_store_b64 v[0:1], v[24:25] offset:12288
	s_wait_alu 0xfffe
	s_or_b32 exec_lo, exec_lo, s0
	s_and_saveexec_b32 s0, s6
	s_cbranch_execz .LBB1433_133
.LBB1433_218:
	flat_store_b64 v[0:1], v[26:27] offset:14336
	s_wait_alu 0xfffe
	s_or_b32 exec_lo, exec_lo, s0
	s_and_saveexec_b32 s0, s7
	s_cbranch_execz .LBB1433_134
.LBB1433_219:
	flat_store_b64 v[0:1], v[20:21] offset:16384
	s_wait_alu 0xfffe
	s_or_b32 exec_lo, exec_lo, s0
	s_and_saveexec_b32 s0, s10
	s_cbranch_execz .LBB1433_135
.LBB1433_220:
	flat_store_b64 v[0:1], v[22:23] offset:18432
	s_wait_alu 0xfffe
	s_or_b32 exec_lo, exec_lo, s0
	s_and_saveexec_b32 s0, s11
	s_cbranch_execz .LBB1433_136
.LBB1433_221:
	flat_store_b64 v[0:1], v[16:17] offset:20480
	s_wait_alu 0xfffe
	s_or_b32 exec_lo, exec_lo, s0
	s_and_saveexec_b32 s0, s12
	s_cbranch_execz .LBB1433_137
.LBB1433_222:
	flat_store_b64 v[0:1], v[18:19] offset:22528
	s_wait_alu 0xfffe
	s_or_b32 exec_lo, exec_lo, s0
	s_and_saveexec_b32 s0, s13
	s_cbranch_execz .LBB1433_138
.LBB1433_223:
	flat_store_b64 v[0:1], v[12:13] offset:24576
	s_wait_alu 0xfffe
	s_or_b32 exec_lo, exec_lo, s0
	s_and_saveexec_b32 s0, s14
	s_cbranch_execz .LBB1433_139
.LBB1433_224:
	flat_store_b64 v[0:1], v[14:15] offset:26624
	s_wait_alu 0xfffe
	s_or_b32 exec_lo, exec_lo, s0
	s_and_saveexec_b32 s0, s15
	s_cbranch_execz .LBB1433_140
.LBB1433_225:
	flat_store_b64 v[0:1], v[8:9] offset:28672
	s_wait_alu 0xfffe
	s_or_b32 exec_lo, exec_lo, s0
	s_and_saveexec_b32 s0, s16
	s_cbranch_execnz .LBB1433_141
	s_branch .LBB1433_142
.LBB1433_226:
	s_or_b32 exec_lo, exec_lo, s19
	v_lshl_add_u32 v4, v4, 2, v180
	v_lshl_add_u32 v5, v66, 2, v179
	;; [unrolled: 1-line block ×3, first 2 shown]
	s_barrier_signal -1
	s_barrier_wait -1
	s_wait_loadcnt 0x0
	global_inv scope:SCOPE_SE
	ds_store_b32 v180, v148
	ds_store_b32 v179, v163
	;; [unrolled: 1-line block ×8, first 2 shown]
	s_wait_loadcnt_dscnt 0x0
	s_barrier_signal -1
	s_barrier_wait -1
	global_inv scope:SCOPE_SE
	ds_load_2addr_stride64_b32 v[38:39], v102 offset1:4
	ds_load_2addr_stride64_b32 v[36:37], v102 offset0:8 offset1:12
	ds_load_2addr_stride64_b32 v[34:35], v102 offset0:16 offset1:20
	;; [unrolled: 1-line block ×3, first 2 shown]
	s_wait_loadcnt_dscnt 0x0
	s_barrier_signal -1
	s_barrier_wait -1
	global_inv scope:SCOPE_SE
	ds_store_b64 v4, v[22:23]
	ds_store_b64 v5, v[19:20]
	;; [unrolled: 1-line block ×3, first 2 shown]
	v_lshl_add_u32 v4, v64, 2, v177
	v_lshl_add_u32 v5, v68, 2, v176
	;; [unrolled: 1-line block ×5, first 2 shown]
	ds_store_b64 v4, v[8:9]
	ds_store_b64 v5, v[15:16]
	;; [unrolled: 1-line block ×5, first 2 shown]
	v_lshl_add_u32 v4, v21, 3, v12
	s_wait_loadcnt_dscnt 0x0
	s_barrier_signal -1
	s_barrier_wait -1
	global_inv scope:SCOPE_SE
	ds_load_2addr_stride64_b64 v[20:23], v4 offset1:4
	ds_load_2addr_stride64_b64 v[16:19], v4 offset0:8 offset1:12
	ds_load_2addr_stride64_b64 v[12:15], v4 offset0:16 offset1:20
	ds_load_2addr_stride64_b64 v[8:11], v4 offset0:24 offset1:28
	v_mov_b32_e32 v25, 0
	v_add_co_u32 v2, vcc_lo, v2, v26
	s_wait_alu 0xfffd
	v_add_co_ci_u32_e64 v3, null, v3, v27, vcc_lo
	s_delay_alu instid0(VALU_DEP_3)
	v_lshlrev_b64_e32 v[4:5], 2, v[24:25]
	s_wait_loadcnt_dscnt 0x0
	s_barrier_signal -1
	s_barrier_wait -1
	global_inv scope:SCOPE_SE
	v_add_co_u32 v2, vcc_lo, v2, v4
	s_wait_alu 0xfffd
	v_add_co_ci_u32_e64 v3, null, v3, v5, vcc_lo
	v_cmp_lt_u32_e32 vcc_lo, v24, v119
	s_and_saveexec_b32 s1, vcc_lo
	s_cbranch_execz .LBB1433_228
; %bb.227:
	v_cmp_lt_i32_e64 s0, -1, v38
	s_wait_alu 0xf1ff
	s_delay_alu instid0(VALU_DEP_1) | instskip(NEXT) | instid1(VALU_DEP_1)
	v_cndmask_b32_e64 v4, 0x80000000, -1, s0
	v_xor_b32_e32 v4, v4, v38
	flat_store_b32 v[2:3], v4
.LBB1433_228:
	s_wait_alu 0xfffe
	s_or_b32 exec_lo, exec_lo, s1
	v_add_nc_u32_e32 v4, 0x100, v24
	s_delay_alu instid0(VALU_DEP_1)
	v_cmp_lt_u32_e64 s0, v4, v119
	s_and_saveexec_b32 s2, s0
	s_cbranch_execz .LBB1433_230
; %bb.229:
	v_cmp_lt_i32_e64 s1, -1, v39
	s_wait_alu 0xf1ff
	s_delay_alu instid0(VALU_DEP_1) | instskip(NEXT) | instid1(VALU_DEP_1)
	v_cndmask_b32_e64 v4, 0x80000000, -1, s1
	v_xor_b32_e32 v4, v4, v39
	flat_store_b32 v[2:3], v4 offset:1024
.LBB1433_230:
	s_wait_alu 0xfffe
	s_or_b32 exec_lo, exec_lo, s2
	v_add_nc_u32_e32 v4, 0x200, v24
	s_delay_alu instid0(VALU_DEP_1)
	v_cmp_lt_u32_e64 s1, v4, v119
	s_and_saveexec_b32 s3, s1
	s_cbranch_execz .LBB1433_232
; %bb.231:
	v_cmp_lt_i32_e64 s2, -1, v36
	s_wait_alu 0xf1ff
	s_delay_alu instid0(VALU_DEP_1) | instskip(NEXT) | instid1(VALU_DEP_1)
	v_cndmask_b32_e64 v4, 0x80000000, -1, s2
	v_xor_b32_e32 v4, v4, v36
	flat_store_b32 v[2:3], v4 offset:2048
.LBB1433_232:
	;; [unrolled: 15-line block ×7, first 2 shown]
	s_wait_alu 0xfffe
	s_or_b32 exec_lo, exec_lo, s10
	v_lshlrev_b64_e32 v[2:3], 3, v[24:25]
	v_add_co_u32 v0, s7, v6, v0
	s_wait_alu 0xf1ff
	v_add_co_ci_u32_e64 v1, null, v7, v1, s7
	s_delay_alu instid0(VALU_DEP_2) | instskip(SKIP_1) | instid1(VALU_DEP_2)
	v_add_co_u32 v0, s7, v0, v2
	s_wait_alu 0xf1ff
	v_add_co_ci_u32_e64 v1, null, v1, v3, s7
	s_and_saveexec_b32 s7, vcc_lo
	s_cbranch_execnz .LBB1433_292
; %bb.243:
	s_wait_alu 0xfffe
	s_or_b32 exec_lo, exec_lo, s7
	s_and_saveexec_b32 s7, s0
	s_cbranch_execnz .LBB1433_293
.LBB1433_244:
	s_wait_alu 0xfffe
	s_or_b32 exec_lo, exec_lo, s7
	s_and_saveexec_b32 s0, s1
	s_cbranch_execnz .LBB1433_294
.LBB1433_245:
	s_wait_alu 0xfffe
	s_or_b32 exec_lo, exec_lo, s0
	s_and_saveexec_b32 s0, s2
	s_cbranch_execnz .LBB1433_295
.LBB1433_246:
	s_wait_alu 0xfffe
	s_or_b32 exec_lo, exec_lo, s0
	s_and_saveexec_b32 s0, s3
	s_cbranch_execnz .LBB1433_296
.LBB1433_247:
	s_wait_alu 0xfffe
	s_or_b32 exec_lo, exec_lo, s0
	s_and_saveexec_b32 s0, s4
	s_cbranch_execnz .LBB1433_297
.LBB1433_248:
	s_wait_alu 0xfffe
	s_or_b32 exec_lo, exec_lo, s0
	s_and_saveexec_b32 s0, s5
	s_cbranch_execnz .LBB1433_298
.LBB1433_249:
	s_wait_alu 0xfffe
	s_or_b32 exec_lo, exec_lo, s0
	s_and_saveexec_b32 s0, s6
	s_cbranch_execz .LBB1433_251
.LBB1433_250:
	flat_store_b64 v[0:1], v[10:11] offset:14336
.LBB1433_251:
	s_wait_alu 0xfffe
	s_or_b32 exec_lo, exec_lo, s0
                                        ; implicit-def: $vgpr119
                                        ; implicit-def: $vgpr0
                                        ; implicit-def: $vgpr1
                                        ; implicit-def: $vgpr2
                                        ; implicit-def: $vgpr3
                                        ; implicit-def: $vgpr4
                                        ; implicit-def: $vgpr5
                                        ; implicit-def: $vgpr6
                                        ; implicit-def: $vgpr7
                                        ; implicit-def: $vgpr8
                                        ; implicit-def: $vgpr10
                                        ; implicit-def: $vgpr11
                                        ; implicit-def: $vgpr12
                                        ; implicit-def: $vgpr9
                                        ; implicit-def: $vgpr13
                                        ; implicit-def: $vgpr21
                                        ; implicit-def: $vgpr114
.LBB1433_252:
	s_wait_alu 0xfffe
	s_and_not1_saveexec_b32 s0, s16
	s_cbranch_execz .LBB1433_372
; %bb.253:
	s_mov_b32 s0, exec_lo
	v_cmpx_lt_u32_e32 0x200, v119
	s_wait_alu 0xfffe
	s_xor_b32 s16, exec_lo, s0
	s_cbranch_execz .LBB1433_313
; %bb.254:
	s_load_b64 s[0:1], s[8:9], 0x0
	s_and_b32 s2, ttmp7, 0xffff
	s_mov_b32 s3, 0
	v_lshlrev_b32_e32 v16, 2, v114
	s_wait_kmcnt 0x0
	s_wait_alu 0xfffe
	s_cmp_lt_u32 s2, s1
	s_cselect_b32 s2, 14, 20
	s_cmp_lt_u32 ttmp9, s0
	s_wait_alu 0xfffe
	s_add_nc_u64 s[4:5], s[8:9], s[2:3]
	s_cselect_b32 s2, 12, 18
	s_load_u16 s4, s[4:5], 0x0
	s_add_nc_u64 s[0:1], s[8:9], s[2:3]
	s_load_u16 s0, s[0:1], 0x0
	s_wait_kmcnt 0x0
	v_mad_u32_u24 v9, v13, s4, v9
	v_bfrev_b32_e32 v13, -2
	s_delay_alu instid0(VALU_DEP_2) | instskip(NEXT) | instid1(VALU_DEP_2)
	v_mad_co_u64_u32 v[17:18], null, v9, s0, v[21:22]
	v_dual_mov_b32 v9, 0 :: v_dual_mov_b32 v14, v13
	v_mov_b32_e32 v15, v13
	s_delay_alu instid0(VALU_DEP_2) | instskip(NEXT) | instid1(VALU_DEP_4)
	v_lshlrev_b64_e32 v[19:20], 2, v[8:9]
	v_dual_mov_b32 v23, v9 :: v_dual_lshlrev_b32 v18, 2, v17
	s_delay_alu instid0(VALU_DEP_2) | instskip(NEXT) | instid1(VALU_DEP_2)
	v_add_co_u32 v24, vcc_lo, v0, v19
	v_and_b32_e32 v22, 0xffffff80, v18
	s_wait_alu 0xfffd
	s_delay_alu instid0(VALU_DEP_4) | instskip(NEXT) | instid1(VALU_DEP_3)
	v_add_co_ci_u32_e64 v25, null, v1, v20, vcc_lo
	v_add_co_u32 v16, vcc_lo, v24, v16
	s_delay_alu instid0(VALU_DEP_3) | instskip(SKIP_3) | instid1(VALU_DEP_3)
	v_lshlrev_b64_e32 v[0:1], 2, v[22:23]
	v_or_b32_e32 v18, v22, v114
	s_wait_alu 0xfffd
	v_add_co_ci_u32_e64 v24, null, 0, v25, vcc_lo
	v_add_co_u32 v0, s0, v16, v0
	s_delay_alu instid0(VALU_DEP_3) | instskip(SKIP_1) | instid1(VALU_DEP_3)
	v_cmp_lt_u32_e32 vcc_lo, v18, v119
	s_wait_alu 0xf1ff
	v_add_co_ci_u32_e64 v1, null, v24, v1, s0
	v_mov_b32_e32 v16, v13
	s_and_saveexec_b32 s0, vcc_lo
	s_cbranch_execz .LBB1433_256
; %bb.255:
	flat_load_b32 v24, v[0:1]
	v_dual_mov_b32 v25, v13 :: v_dual_mov_b32 v26, v13
	v_mov_b32_e32 v27, v13
	s_wait_loadcnt_dscnt 0x0
	s_delay_alu instid0(VALU_DEP_2) | instskip(NEXT) | instid1(VALU_DEP_2)
	v_dual_mov_b32 v13, v24 :: v_dual_mov_b32 v14, v25
	v_dual_mov_b32 v15, v26 :: v_dual_mov_b32 v16, v27
.LBB1433_256:
	s_wait_alu 0xfffe
	s_or_b32 exec_lo, exec_lo, s0
	v_or_b32_e32 v24, 32, v18
	s_delay_alu instid0(VALU_DEP_1)
	v_cmp_lt_u32_e64 s0, v24, v119
	s_and_saveexec_b32 s1, s0
	s_cbranch_execz .LBB1433_258
; %bb.257:
	flat_load_b32 v14, v[0:1] offset:128
.LBB1433_258:
	s_wait_alu 0xfffe
	s_or_b32 exec_lo, exec_lo, s1
	v_or_b32_e32 v24, 64, v18
	s_delay_alu instid0(VALU_DEP_1)
	v_cmp_lt_u32_e64 s1, v24, v119
	s_and_saveexec_b32 s2, s1
	s_cbranch_execz .LBB1433_260
; %bb.259:
	flat_load_b32 v15, v[0:1] offset:256
.LBB1433_260:
	;; [unrolled: 10-line block ×3, first 2 shown]
	s_wait_alu 0xfffe
	s_or_b32 exec_lo, exec_lo, s3
	v_lshlrev_b64_e32 v[0:1], 3, v[8:9]
	v_lshlrev_b32_e32 v8, 3, v114
                                        ; implicit-def: $vgpr26_vgpr27
	s_delay_alu instid0(VALU_DEP_2) | instskip(SKIP_1) | instid1(VALU_DEP_3)
	v_add_co_u32 v9, s3, v4, v0
	s_wait_alu 0xf1ff
	v_add_co_ci_u32_e64 v18, null, v5, v1, s3
	v_lshlrev_b64_e32 v[4:5], 3, v[22:23]
	s_delay_alu instid0(VALU_DEP_3) | instskip(SKIP_1) | instid1(VALU_DEP_3)
	v_add_co_u32 v8, s3, v9, v8
	s_wait_alu 0xf1ff
	v_add_co_ci_u32_e64 v9, null, 0, v18, s3
	s_delay_alu instid0(VALU_DEP_2) | instskip(SKIP_1) | instid1(VALU_DEP_2)
	v_add_co_u32 v4, s3, v8, v4
	s_wait_alu 0xf1ff
	v_add_co_ci_u32_e64 v5, null, v9, v5, s3
	s_and_saveexec_b32 s3, vcc_lo
	s_cbranch_execnz .LBB1433_337
; %bb.263:
	s_wait_alu 0xfffe
	s_or_b32 exec_lo, exec_lo, s3
                                        ; implicit-def: $vgpr28_vgpr29
	s_and_saveexec_b32 s3, s0
	s_cbranch_execnz .LBB1433_338
.LBB1433_264:
	s_wait_alu 0xfffe
	s_or_b32 exec_lo, exec_lo, s3
                                        ; implicit-def: $vgpr30_vgpr31
	s_and_saveexec_b32 s0, s1
	s_cbranch_execnz .LBB1433_339
.LBB1433_265:
	s_wait_alu 0xfffe
	s_or_b32 exec_lo, exec_lo, s0
                                        ; implicit-def: $vgpr24_vgpr25
	s_and_saveexec_b32 s0, s2
	s_cbranch_execz .LBB1433_267
.LBB1433_266:
	flat_load_b64 v[24:25], v[4:5] offset:768
.LBB1433_267:
	s_wait_alu 0xfffe
	s_or_b32 exec_lo, exec_lo, s0
	v_cmp_lt_i32_e32 vcc_lo, -1, v13
	v_lshl_add_u32 v9, v21, 5, v12
	s_getpc_b64 s[0:1]
	s_wait_alu 0xfffe
	s_sext_i32_i16 s1, s1
	s_add_co_u32 s0, s0, _ZN7rocprim17ROCPRIM_400000_NS16block_radix_sortIfLj256ELj4ElLj1ELj1ELj8ELNS0_26block_radix_rank_algorithmE2ELNS0_18block_padding_hintE2ELNS0_4arch9wavefront6targetE0EE19radix_bits_per_passE@rel32@lo+12
	s_wait_alu 0xfffe
	s_add_co_ci_u32 s1, s1, _ZN7rocprim17ROCPRIM_400000_NS16block_radix_sortIfLj256ELj4ElLj1ELj1ELj8ELNS0_26block_radix_rank_algorithmE2ELNS0_18block_padding_hintE2ELNS0_4arch9wavefront6targetE0EE19radix_bits_per_passE@rel32@hi+24
	v_lshrrev_b32_e32 v53, 5, v17
	s_load_b32 s17, s[0:1], 0x0
	v_cndmask_b32_e64 v4, -1, 0x80000000, vcc_lo
	s_wait_loadcnt_dscnt 0x0
	v_cmp_lt_i32_e32 vcc_lo, -1, v14
	v_add_nc_u32_e32 v18, 32, v9
	v_add_nc_u32_e32 v38, 36, v9
	;; [unrolled: 1-line block ×3, first 2 shown]
	v_xor_b32_e32 v87, v4, v13
	s_wait_alu 0xfffd
	v_cndmask_b32_e64 v5, -1, 0x80000000, vcc_lo
	v_cmp_lt_i32_e32 vcc_lo, -1, v15
	v_add_nc_u32_e32 v48, 44, v9
	v_add_nc_u32_e32 v49, 48, v9
	;; [unrolled: 1-line block ×3, first 2 shown]
	v_xor_b32_e32 v33, v5, v14
	s_wait_alu 0xfffd
	v_cndmask_b32_e64 v4, -1, 0x80000000, vcc_lo
	v_cmp_lt_i32_e32 vcc_lo, -1, v16
	v_and_b32_e32 v5, 0x3e0, v21
	v_add_nc_u32_e32 v51, 56, v9
	v_add_nc_u32_e32 v52, 60, v9
	v_xor_b32_e32 v35, v4, v15
	s_wait_alu 0xfffd
	v_cndmask_b32_e64 v8, -1, 0x80000000, vcc_lo
	v_and_b32_e32 v4, 15, v114
	v_min_u32_e32 v5, 0xe0, v5
	v_cmp_lt_u32_e64 s7, 31, v21
	v_cmp_eq_u32_e64 s10, 0, v21
	v_xor_b32_e32 v37, v8, v16
	v_and_b32_e32 v8, 16, v114
	v_cmp_eq_u32_e32 vcc_lo, 0, v4
	v_cmp_lt_u32_e64 s0, 1, v4
	v_cmp_lt_u32_e64 s1, 3, v4
	;; [unrolled: 1-line block ×3, first 2 shown]
	v_cmp_eq_u32_e64 s4, 0, v8
	v_lshlrev_b32_e32 v8, 2, v21
	v_or_b32_e32 v4, 31, v5
	v_sub_co_u32 v5, s3, v114, 1
	v_sub_nc_u32_e32 v82, v11, v10
	s_delay_alu instid0(VALU_DEP_4) | instskip(NEXT) | instid1(VALU_DEP_4)
	v_and_or_b32 v9, 0xf80, v8, v114
	v_cmp_eq_u32_e64 s5, v21, v4
	v_lshrrev_b32_e32 v4, 3, v21
	v_cmp_gt_i32_e64 s6, 0, v5
	v_add_co_u32 v54, null, v12, v8
	v_lshlrev_b32_e32 v9, 2, v9
	s_delay_alu instid0(VALU_DEP_4)
	v_and_b32_e32 v4, 0x7c, v4
	s_wait_alu 0xf1ff
	v_cndmask_b32_e64 v5, v5, v114, s6
	v_cmp_gt_u32_e64 s6, 8, v21
	s_mov_b32 s19, 0
	v_add_nc_u32_e32 v65, v12, v9
	v_add_nc_u32_e32 v64, v12, v4
	v_and_b32_e32 v4, 7, v114
	v_lshlrev_b32_e32 v55, 2, v5
	s_delay_alu instid0(VALU_DEP_4) | instskip(NEXT) | instid1(VALU_DEP_4)
	v_dual_mov_b32 v5, 0 :: v_dual_add_nc_u32 v66, v65, v9
	v_add_nc_u32_e32 v67, -4, v64
	s_delay_alu instid0(VALU_DEP_4)
	v_cmp_eq_u32_e64 s11, 0, v4
	v_cmp_lt_u32_e64 s12, 1, v4
	v_cmp_lt_u32_e64 s13, 3, v4
	v_add_nc_u32_e32 v68, 0x80, v65
	v_add_nc_u32_e32 v69, 0x100, v65
	;; [unrolled: 1-line block ×6, first 2 shown]
	s_wait_storecnt 0x0
	s_barrier_signal -1
	s_barrier_wait -1
	global_inv scope:SCOPE_SE
	s_branch .LBB1433_269
.LBB1433_268:                           ;   in Loop: Header=BB1433_269 Depth=1
	s_wait_alu 0xfffe
	s_or_b32 exec_lo, exec_lo, s15
	s_delay_alu instid0(SALU_CYCLE_1)
	s_and_b32 s14, exec_lo, s20
	s_wait_alu 0xfffe
	s_or_b32 s19, s14, s19
	s_wait_alu 0xfffe
	s_and_not1_b32 exec_lo, exec_lo, s19
	s_cbranch_execz .LBB1433_299
.LBB1433_269:                           ; =>This Inner Loop Header: Depth=1
	v_dual_mov_b32 v83, v87 :: v_dual_mov_b32 v84, v37
	s_wait_kmcnt 0x0
	v_min_u32_e32 v4, s17, v82
	v_dual_mov_b32 v86, v33 :: v_dual_mov_b32 v15, v26
	s_delay_alu instid0(VALU_DEP_3) | instskip(SKIP_1) | instid1(VALU_DEP_4)
	v_cmp_ne_u32_e64 s14, 0x7fffffff, v83
	v_dual_mov_b32 v16, v27 :: v_dual_mov_b32 v13, v28
	v_lshlrev_b32_e64 v4, v4, -1
	v_mov_b32_e32 v14, v29
	s_wait_alu 0xf1ff
	v_cndmask_b32_e64 v8, 0x80000000, v83, s14
	ds_store_b32 v18, v5
	ds_store_b32 v38, v5
	;; [unrolled: 1-line block ×4, first 2 shown]
	v_not_b32_e32 v32, v4
	ds_store_b32 v49, v5
	ds_store_b32 v50, v5
	v_lshrrev_b32_e32 v4, v10, v8
	v_mov_b32_e32 v85, v35
	ds_store_b32 v51, v5
	ds_store_b32 v52, v5
	s_wait_loadcnt_dscnt 0x0
	v_and_b32_e32 v4, v4, v32
	v_dual_mov_b32 v8, v30 :: v_dual_mov_b32 v9, v31
	s_barrier_signal -1
	s_barrier_wait -1
	s_delay_alu instid0(VALU_DEP_2)
	v_and_b32_e32 v22, 1, v4
	v_lshlrev_b32_e32 v23, 30, v4
	v_lshlrev_b32_e32 v26, 29, v4
	;; [unrolled: 1-line block ×4, first 2 shown]
	v_add_co_u32 v22, s14, v22, -1
	s_wait_alu 0xf1ff
	v_cndmask_b32_e64 v28, 0, 1, s14
	v_not_b32_e32 v33, v23
	v_cmp_gt_i32_e64 s15, 0, v23
	v_not_b32_e32 v23, v26
	v_lshlrev_b32_e32 v30, 26, v4
	v_cmp_ne_u32_e64 s14, 0, v28
	v_ashrrev_i32_e32 v33, 31, v33
	v_lshlrev_b32_e32 v31, 25, v4
	v_ashrrev_i32_e32 v23, 31, v23
	v_lshlrev_b32_e32 v28, 24, v4
	s_wait_alu 0xf1ff
	v_xor_b32_e32 v22, s14, v22
	v_cmp_gt_i32_e64 s14, 0, v26
	v_not_b32_e32 v26, v27
	v_xor_b32_e32 v33, s15, v33
	v_cmp_gt_i32_e64 s15, 0, v27
	v_and_b32_e32 v22, exec_lo, v22
	v_not_b32_e32 v27, v29
	v_ashrrev_i32_e32 v26, 31, v26
	s_wait_alu 0xf1ff
	v_xor_b32_e32 v23, s14, v23
	v_cmp_gt_i32_e64 s14, 0, v29
	v_and_b32_e32 v22, v22, v33
	v_not_b32_e32 v29, v30
	v_ashrrev_i32_e32 v27, 31, v27
	v_xor_b32_e32 v26, s15, v26
	v_cmp_gt_i32_e64 s15, 0, v30
	v_and_b32_e32 v22, v22, v23
	v_not_b32_e32 v23, v31
	v_ashrrev_i32_e32 v29, 31, v29
	s_wait_alu 0xf1ff
	v_xor_b32_e32 v27, s14, v27
	v_cmp_gt_i32_e64 s14, 0, v31
	v_and_b32_e32 v22, v22, v26
	v_not_b32_e32 v26, v28
	v_ashrrev_i32_e32 v30, 31, v23
	v_xor_b32_e32 v29, s15, v29
	v_cmp_gt_i32_e64 s15, 0, v28
	v_dual_mov_b32 v22, v24 :: v_dual_and_b32 v27, v22, v27
	v_mov_b32_e32 v23, v25
	v_ashrrev_i32_e32 v24, 31, v26
	s_wait_alu 0xf1ff
	v_xor_b32_e32 v25, s14, v30
	v_and_b32_e32 v26, v27, v29
	v_lshl_add_u32 v4, v4, 3, v53
	global_inv scope:SCOPE_SE
	v_xor_b32_e32 v24, s15, v24
	v_and_b32_e32 v25, v26, v25
	v_lshlrev_b64_e32 v[26:27], 2, v[4:5]
	; wave barrier
	s_delay_alu instid0(VALU_DEP_2) | instskip(NEXT) | instid1(VALU_DEP_2)
	v_and_b32_e32 v25, v25, v24
	v_add_co_u32 v24, null, v12, v26
	s_delay_alu instid0(VALU_DEP_2) | instskip(SKIP_1) | instid1(VALU_DEP_3)
	v_mbcnt_lo_u32_b32 v4, v25, 0
	v_cmp_ne_u32_e64 s15, 0, v25
	v_add_co_u32 v24, null, v24, 32
	s_delay_alu instid0(VALU_DEP_3)
	v_cmp_eq_u32_e64 s14, 0, v4
	s_and_b32 s15, s15, s14
	s_wait_alu 0xfffe
	s_and_saveexec_b32 s14, s15
; %bb.270:                              ;   in Loop: Header=BB1433_269 Depth=1
	v_bcnt_u32_b32 v25, v25, 0
	ds_store_b32 v24, v25
; %bb.271:                              ;   in Loop: Header=BB1433_269 Depth=1
	s_wait_alu 0xfffe
	s_or_b32 exec_lo, exec_lo, s14
	v_cmp_ne_u32_e64 s14, 0x7fffffff, v86
	; wave barrier
	s_wait_alu 0xf1ff
	s_delay_alu instid0(VALU_DEP_1) | instskip(NEXT) | instid1(VALU_DEP_1)
	v_cndmask_b32_e64 v25, 0x80000000, v86, s14
	v_lshrrev_b32_e32 v25, v10, v25
	s_delay_alu instid0(VALU_DEP_1) | instskip(NEXT) | instid1(VALU_DEP_1)
	v_and_b32_e32 v25, v25, v32
	v_and_b32_e32 v26, 1, v25
	v_lshlrev_b32_e32 v27, 30, v25
	v_lshlrev_b32_e32 v28, 29, v25
	;; [unrolled: 1-line block ×4, first 2 shown]
	v_add_co_u32 v26, s14, v26, -1
	s_wait_alu 0xf1ff
	v_cndmask_b32_e64 v30, 0, 1, s14
	v_not_b32_e32 v35, v27
	v_cmp_gt_i32_e64 s15, 0, v27
	v_not_b32_e32 v27, v28
	v_lshlrev_b32_e32 v33, 26, v25
	v_cmp_ne_u32_e64 s14, 0, v30
	v_ashrrev_i32_e32 v35, 31, v35
	v_lshlrev_b32_e32 v34, 25, v25
	v_ashrrev_i32_e32 v27, 31, v27
	v_lshlrev_b32_e32 v30, 24, v25
	s_wait_alu 0xf1ff
	v_xor_b32_e32 v26, s14, v26
	v_cmp_gt_i32_e64 s14, 0, v28
	v_not_b32_e32 v28, v29
	v_xor_b32_e32 v35, s15, v35
	v_cmp_gt_i32_e64 s15, 0, v29
	v_and_b32_e32 v26, exec_lo, v26
	v_not_b32_e32 v29, v31
	v_ashrrev_i32_e32 v28, 31, v28
	s_wait_alu 0xf1ff
	v_xor_b32_e32 v27, s14, v27
	v_cmp_gt_i32_e64 s14, 0, v31
	v_and_b32_e32 v26, v26, v35
	v_not_b32_e32 v31, v33
	v_ashrrev_i32_e32 v29, 31, v29
	v_xor_b32_e32 v28, s15, v28
	v_cmp_gt_i32_e64 s15, 0, v33
	v_and_b32_e32 v26, v26, v27
	v_not_b32_e32 v27, v34
	v_ashrrev_i32_e32 v31, 31, v31
	s_wait_alu 0xf1ff
	v_xor_b32_e32 v29, s14, v29
	v_cmp_gt_i32_e64 s14, 0, v34
	v_and_b32_e32 v26, v26, v28
	v_not_b32_e32 v28, v30
	v_ashrrev_i32_e32 v27, 31, v27
	v_xor_b32_e32 v31, s15, v31
	v_lshl_add_u32 v25, v25, 3, v53
	v_and_b32_e32 v26, v26, v29
	v_cmp_gt_i32_e64 s15, 0, v30
	v_ashrrev_i32_e32 v28, 31, v28
	s_wait_alu 0xf1ff
	v_xor_b32_e32 v27, s14, v27
	v_lshl_add_u32 v29, v25, 2, v12
	v_and_b32_e32 v26, v26, v31
	v_xor_b32_e32 v28, s15, v28
	ds_load_b32 v25, v29 offset:32
	v_and_b32_e32 v26, v26, v27
	v_add_nc_u32_e32 v27, 32, v29
	; wave barrier
	s_delay_alu instid0(VALU_DEP_2) | instskip(NEXT) | instid1(VALU_DEP_1)
	v_and_b32_e32 v28, v26, v28
	v_mbcnt_lo_u32_b32 v26, v28, 0
	v_cmp_ne_u32_e64 s15, 0, v28
	s_delay_alu instid0(VALU_DEP_2)
	v_cmp_eq_u32_e64 s14, 0, v26
	s_and_b32 s15, s15, s14
	s_wait_alu 0xfffe
	s_and_saveexec_b32 s14, s15
	s_cbranch_execz .LBB1433_273
; %bb.272:                              ;   in Loop: Header=BB1433_269 Depth=1
	s_wait_dscnt 0x0
	v_bcnt_u32_b32 v28, v28, v25
	ds_store_b32 v27, v28
.LBB1433_273:                           ;   in Loop: Header=BB1433_269 Depth=1
	s_wait_alu 0xfffe
	s_or_b32 exec_lo, exec_lo, s14
	v_cmp_ne_u32_e64 s14, 0x7fffffff, v85
	; wave barrier
	s_wait_alu 0xf1ff
	s_delay_alu instid0(VALU_DEP_1) | instskip(NEXT) | instid1(VALU_DEP_1)
	v_cndmask_b32_e64 v28, 0x80000000, v85, s14
	v_lshrrev_b32_e32 v28, v10, v28
	s_delay_alu instid0(VALU_DEP_1) | instskip(NEXT) | instid1(VALU_DEP_1)
	v_and_b32_e32 v28, v28, v32
	v_and_b32_e32 v29, 1, v28
	v_lshlrev_b32_e32 v30, 30, v28
	v_lshlrev_b32_e32 v31, 29, v28
	;; [unrolled: 1-line block ×4, first 2 shown]
	v_add_co_u32 v29, s14, v29, -1
	s_wait_alu 0xf1ff
	v_cndmask_b32_e64 v34, 0, 1, s14
	v_not_b32_e32 v87, v30
	v_cmp_gt_i32_e64 s15, 0, v30
	v_not_b32_e32 v30, v31
	v_lshlrev_b32_e32 v36, 26, v28
	v_cmp_ne_u32_e64 s14, 0, v34
	v_ashrrev_i32_e32 v87, 31, v87
	v_lshlrev_b32_e32 v37, 25, v28
	v_ashrrev_i32_e32 v30, 31, v30
	v_lshlrev_b32_e32 v34, 24, v28
	s_wait_alu 0xf1ff
	v_xor_b32_e32 v29, s14, v29
	v_cmp_gt_i32_e64 s14, 0, v31
	v_not_b32_e32 v31, v33
	v_xor_b32_e32 v87, s15, v87
	v_cmp_gt_i32_e64 s15, 0, v33
	v_and_b32_e32 v29, exec_lo, v29
	v_not_b32_e32 v33, v35
	v_ashrrev_i32_e32 v31, 31, v31
	s_wait_alu 0xf1ff
	v_xor_b32_e32 v30, s14, v30
	v_cmp_gt_i32_e64 s14, 0, v35
	v_and_b32_e32 v29, v29, v87
	v_not_b32_e32 v35, v36
	v_ashrrev_i32_e32 v33, 31, v33
	v_xor_b32_e32 v31, s15, v31
	v_cmp_gt_i32_e64 s15, 0, v36
	v_and_b32_e32 v29, v29, v30
	v_not_b32_e32 v30, v37
	v_ashrrev_i32_e32 v35, 31, v35
	s_wait_alu 0xf1ff
	v_xor_b32_e32 v33, s14, v33
	v_cmp_gt_i32_e64 s14, 0, v37
	v_and_b32_e32 v29, v29, v31
	v_not_b32_e32 v31, v34
	v_ashrrev_i32_e32 v30, 31, v30
	v_xor_b32_e32 v35, s15, v35
	v_lshl_add_u32 v28, v28, 3, v53
	v_and_b32_e32 v29, v29, v33
	v_cmp_gt_i32_e64 s15, 0, v34
	v_ashrrev_i32_e32 v31, 31, v31
	s_wait_alu 0xf1ff
	v_xor_b32_e32 v30, s14, v30
	v_lshl_add_u32 v33, v28, 2, v12
	v_and_b32_e32 v29, v29, v35
	v_xor_b32_e32 v31, s15, v31
	ds_load_b32 v28, v33 offset:32
	v_and_b32_e32 v29, v29, v30
	v_add_nc_u32_e32 v30, 32, v33
	; wave barrier
	s_delay_alu instid0(VALU_DEP_2) | instskip(NEXT) | instid1(VALU_DEP_1)
	v_and_b32_e32 v31, v29, v31
	v_mbcnt_lo_u32_b32 v29, v31, 0
	v_cmp_ne_u32_e64 s15, 0, v31
	s_delay_alu instid0(VALU_DEP_2)
	v_cmp_eq_u32_e64 s14, 0, v29
	s_and_b32 s15, s15, s14
	s_wait_alu 0xfffe
	s_and_saveexec_b32 s14, s15
	s_cbranch_execz .LBB1433_275
; %bb.274:                              ;   in Loop: Header=BB1433_269 Depth=1
	s_wait_dscnt 0x0
	v_bcnt_u32_b32 v31, v31, v28
	ds_store_b32 v30, v31
.LBB1433_275:                           ;   in Loop: Header=BB1433_269 Depth=1
	s_wait_alu 0xfffe
	s_or_b32 exec_lo, exec_lo, s14
	v_cmp_ne_u32_e64 s14, 0x7fffffff, v84
	; wave barrier
	s_wait_alu 0xf1ff
	s_delay_alu instid0(VALU_DEP_1) | instskip(NEXT) | instid1(VALU_DEP_1)
	v_cndmask_b32_e64 v31, 0x80000000, v84, s14
	v_lshrrev_b32_e32 v31, v10, v31
	s_delay_alu instid0(VALU_DEP_1) | instskip(NEXT) | instid1(VALU_DEP_1)
	v_and_b32_e32 v31, v31, v32
	v_and_b32_e32 v32, 1, v31
	v_lshlrev_b32_e32 v33, 30, v31
	v_lshlrev_b32_e32 v34, 29, v31
	;; [unrolled: 1-line block ×4, first 2 shown]
	v_add_co_u32 v32, s14, v32, -1
	s_wait_alu 0xf1ff
	v_cndmask_b32_e64 v36, 0, 1, s14
	v_not_b32_e32 v97, v33
	v_cmp_gt_i32_e64 s15, 0, v33
	v_not_b32_e32 v33, v34
	v_lshlrev_b32_e32 v87, 26, v31
	v_cmp_ne_u32_e64 s14, 0, v36
	v_ashrrev_i32_e32 v97, 31, v97
	v_lshlrev_b32_e32 v96, 25, v31
	v_ashrrev_i32_e32 v33, 31, v33
	v_lshlrev_b32_e32 v36, 24, v31
	s_wait_alu 0xf1ff
	v_xor_b32_e32 v32, s14, v32
	v_cmp_gt_i32_e64 s14, 0, v34
	v_not_b32_e32 v34, v35
	v_xor_b32_e32 v97, s15, v97
	v_cmp_gt_i32_e64 s15, 0, v35
	v_and_b32_e32 v32, exec_lo, v32
	v_not_b32_e32 v35, v37
	v_ashrrev_i32_e32 v34, 31, v34
	s_wait_alu 0xf1ff
	v_xor_b32_e32 v33, s14, v33
	v_cmp_gt_i32_e64 s14, 0, v37
	v_and_b32_e32 v32, v32, v97
	v_not_b32_e32 v37, v87
	v_ashrrev_i32_e32 v35, 31, v35
	v_xor_b32_e32 v34, s15, v34
	v_cmp_gt_i32_e64 s15, 0, v87
	v_and_b32_e32 v32, v32, v33
	v_not_b32_e32 v33, v96
	v_ashrrev_i32_e32 v37, 31, v37
	s_wait_alu 0xf1ff
	v_xor_b32_e32 v35, s14, v35
	v_cmp_gt_i32_e64 s14, 0, v96
	v_and_b32_e32 v32, v32, v34
	v_not_b32_e32 v34, v36
	v_ashrrev_i32_e32 v33, 31, v33
	v_xor_b32_e32 v37, s15, v37
	v_lshl_add_u32 v31, v31, 3, v53
	v_and_b32_e32 v32, v32, v35
	v_cmp_gt_i32_e64 s15, 0, v36
	v_ashrrev_i32_e32 v34, 31, v34
	s_wait_alu 0xf1ff
	v_xor_b32_e32 v33, s14, v33
	v_lshl_add_u32 v35, v31, 2, v12
	v_and_b32_e32 v32, v32, v37
	v_xor_b32_e32 v34, s15, v34
	ds_load_b32 v31, v35 offset:32
	v_and_b32_e32 v32, v32, v33
	; wave barrier
	s_delay_alu instid0(VALU_DEP_1) | instskip(SKIP_1) | instid1(VALU_DEP_2)
	v_and_b32_e32 v33, v32, v34
	v_add_nc_u32_e32 v32, 32, v35
	v_mbcnt_lo_u32_b32 v36, v33, 0
	v_cmp_ne_u32_e64 s15, 0, v33
	s_delay_alu instid0(VALU_DEP_2)
	v_cmp_eq_u32_e64 s14, 0, v36
	s_and_b32 s15, s15, s14
	s_wait_alu 0xfffe
	s_and_saveexec_b32 s14, s15
	s_cbranch_execz .LBB1433_277
; %bb.276:                              ;   in Loop: Header=BB1433_269 Depth=1
	s_wait_dscnt 0x0
	v_bcnt_u32_b32 v33, v33, v31
	ds_store_b32 v32, v33
.LBB1433_277:                           ;   in Loop: Header=BB1433_269 Depth=1
	s_wait_alu 0xfffe
	s_or_b32 exec_lo, exec_lo, s14
	; wave barrier
	s_wait_loadcnt_dscnt 0x0
	s_barrier_signal -1
	s_barrier_wait -1
	global_inv scope:SCOPE_SE
	ds_load_b32 v34, v18
	ds_load_b32 v35, v38
	;; [unrolled: 1-line block ×8, first 2 shown]
	s_wait_dscnt 0x6
	v_add_nc_u32_e32 v99, v35, v34
	s_wait_dscnt 0x4
	s_delay_alu instid0(VALU_DEP_1) | instskip(SKIP_1) | instid1(VALU_DEP_1)
	v_add3_u32 v99, v99, v37, v87
	s_wait_dscnt 0x2
	v_add3_u32 v99, v99, v96, v97
	s_wait_dscnt 0x0
	s_delay_alu instid0(VALU_DEP_1) | instskip(NEXT) | instid1(VALU_DEP_1)
	v_add3_u32 v98, v99, v33, v98
	v_mov_b32_dpp v99, v98 row_shr:1 row_mask:0xf bank_mask:0xf
	s_wait_alu 0xfffd
	s_delay_alu instid0(VALU_DEP_1) | instskip(NEXT) | instid1(VALU_DEP_1)
	v_cndmask_b32_e64 v99, v99, 0, vcc_lo
	v_add_nc_u32_e32 v98, v99, v98
	s_delay_alu instid0(VALU_DEP_1) | instskip(NEXT) | instid1(VALU_DEP_1)
	v_mov_b32_dpp v99, v98 row_shr:2 row_mask:0xf bank_mask:0xf
	v_cndmask_b32_e64 v99, 0, v99, s0
	s_delay_alu instid0(VALU_DEP_1) | instskip(NEXT) | instid1(VALU_DEP_1)
	v_add_nc_u32_e32 v98, v98, v99
	v_mov_b32_dpp v99, v98 row_shr:4 row_mask:0xf bank_mask:0xf
	s_delay_alu instid0(VALU_DEP_1) | instskip(NEXT) | instid1(VALU_DEP_1)
	v_cndmask_b32_e64 v99, 0, v99, s1
	v_add_nc_u32_e32 v98, v98, v99
	s_delay_alu instid0(VALU_DEP_1) | instskip(NEXT) | instid1(VALU_DEP_1)
	v_mov_b32_dpp v99, v98 row_shr:8 row_mask:0xf bank_mask:0xf
	v_cndmask_b32_e64 v99, 0, v99, s2
	s_delay_alu instid0(VALU_DEP_1) | instskip(SKIP_3) | instid1(VALU_DEP_1)
	v_add_nc_u32_e32 v98, v98, v99
	ds_swizzle_b32 v99, v98 offset:swizzle(BROADCAST,32,15)
	s_wait_dscnt 0x0
	v_cndmask_b32_e64 v99, v99, 0, s4
	v_add_nc_u32_e32 v98, v98, v99
	s_and_saveexec_b32 s14, s5
; %bb.278:                              ;   in Loop: Header=BB1433_269 Depth=1
	ds_store_b32 v64, v98
; %bb.279:                              ;   in Loop: Header=BB1433_269 Depth=1
	s_wait_alu 0xfffe
	s_or_b32 exec_lo, exec_lo, s14
	s_wait_loadcnt_dscnt 0x0
	s_barrier_signal -1
	s_barrier_wait -1
	global_inv scope:SCOPE_SE
	s_and_saveexec_b32 s14, s6
	s_cbranch_execz .LBB1433_281
; %bb.280:                              ;   in Loop: Header=BB1433_269 Depth=1
	ds_load_b32 v99, v54
	s_wait_dscnt 0x0
	v_mov_b32_dpp v100, v99 row_shr:1 row_mask:0xf bank_mask:0xf
	s_delay_alu instid0(VALU_DEP_1) | instskip(NEXT) | instid1(VALU_DEP_1)
	v_cndmask_b32_e64 v100, v100, 0, s11
	v_add_nc_u32_e32 v99, v100, v99
	s_delay_alu instid0(VALU_DEP_1) | instskip(NEXT) | instid1(VALU_DEP_1)
	v_mov_b32_dpp v100, v99 row_shr:2 row_mask:0xf bank_mask:0xf
	v_cndmask_b32_e64 v100, 0, v100, s12
	s_delay_alu instid0(VALU_DEP_1) | instskip(NEXT) | instid1(VALU_DEP_1)
	v_add_nc_u32_e32 v99, v99, v100
	v_mov_b32_dpp v100, v99 row_shr:4 row_mask:0xf bank_mask:0xf
	s_delay_alu instid0(VALU_DEP_1) | instskip(NEXT) | instid1(VALU_DEP_1)
	v_cndmask_b32_e64 v100, 0, v100, s13
	v_add_nc_u32_e32 v99, v99, v100
	ds_store_b32 v54, v99
.LBB1433_281:                           ;   in Loop: Header=BB1433_269 Depth=1
	s_wait_alu 0xfffe
	s_or_b32 exec_lo, exec_lo, s14
	v_mov_b32_e32 v99, 0
	s_wait_loadcnt_dscnt 0x0
	s_barrier_signal -1
	s_barrier_wait -1
	global_inv scope:SCOPE_SE
	s_and_saveexec_b32 s14, s7
; %bb.282:                              ;   in Loop: Header=BB1433_269 Depth=1
	ds_load_b32 v99, v67
; %bb.283:                              ;   in Loop: Header=BB1433_269 Depth=1
	s_wait_alu 0xfffe
	s_or_b32 exec_lo, exec_lo, s14
	s_wait_dscnt 0x0
	v_add_nc_u32_e32 v98, v99, v98
	v_add_nc_u32_e32 v10, 8, v10
	s_mov_b32 s20, -1
	s_mov_b32 s15, exec_lo
	ds_bpermute_b32 v98, v55, v98
	s_wait_dscnt 0x0
	v_cndmask_b32_e64 v98, v98, v99, s3
	s_delay_alu instid0(VALU_DEP_1) | instskip(NEXT) | instid1(VALU_DEP_1)
	v_cndmask_b32_e64 v98, v98, 0, s10
	v_add_nc_u32_e32 v34, v98, v34
	s_delay_alu instid0(VALU_DEP_1)
	v_add_nc_u32_e32 v35, v34, v35
	ds_store_b32 v18, v98
	ds_store_b32 v38, v34
	;; [unrolled: 1-line block ×3, first 2 shown]
	v_add_nc_u32_e32 v37, v35, v37
	v_mov_b32_e32 v35, v5
	s_delay_alu instid0(VALU_DEP_2) | instskip(NEXT) | instid1(VALU_DEP_1)
	v_add_nc_u32_e32 v87, v37, v87
	v_add_nc_u32_e32 v96, v87, v96
	s_delay_alu instid0(VALU_DEP_1) | instskip(NEXT) | instid1(VALU_DEP_1)
	v_add_nc_u32_e32 v97, v96, v97
	v_add_nc_u32_e32 v33, v97, v33
	ds_store_b32 v48, v37
	ds_store_b32 v49, v87
	;; [unrolled: 1-line block ×5, first 2 shown]
	s_wait_loadcnt_dscnt 0x0
	s_barrier_signal -1
	s_barrier_wait -1
	global_inv scope:SCOPE_SE
	ds_load_b32 v24, v24
	ds_load_b32 v27, v27
	ds_load_b32 v30, v30
	ds_load_b32 v87, v32
	v_mov_b32_e32 v33, v5
	v_mov_b32_e32 v37, v5
	s_wait_loadcnt_dscnt 0x0
	v_add_nc_u32_e32 v4, v24, v4
	v_add3_u32 v32, v26, v25, v27
	v_add3_u32 v34, v29, v28, v30
	;; [unrolled: 1-line block ×3, first 2 shown]
                                        ; implicit-def: $vgpr87
                                        ; implicit-def: $vgpr30_vgpr31
	s_delay_alu instid0(VALU_DEP_4) | instskip(NEXT) | instid1(VALU_DEP_4)
	v_lshlrev_b64_e32 v[24:25], 2, v[4:5]
	v_lshlrev_b64_e32 v[25:26], 2, v[32:33]
	s_delay_alu instid0(VALU_DEP_4) | instskip(NEXT) | instid1(VALU_DEP_4)
	v_lshlrev_b64_e32 v[26:27], 2, v[34:35]
	v_lshlrev_b64_e32 v[27:28], 2, v[36:37]
                                        ; implicit-def: $vgpr37
                                        ; implicit-def: $vgpr35
                                        ; implicit-def: $vgpr33
                                        ; implicit-def: $vgpr28_vgpr29
	s_delay_alu instid0(VALU_DEP_4) | instskip(NEXT) | instid1(VALU_DEP_4)
	v_add_co_u32 v99, null, v12, v24
	v_add_co_u32 v98, null, v12, v25
	s_delay_alu instid0(VALU_DEP_4) | instskip(NEXT) | instid1(VALU_DEP_4)
	v_add_co_u32 v97, null, v12, v26
	v_add_co_u32 v96, null, v12, v27
                                        ; implicit-def: $vgpr26_vgpr27
                                        ; implicit-def: $vgpr24_vgpr25
	v_cmpx_lt_u32_e64 v10, v11
	s_cbranch_execz .LBB1433_268
; %bb.284:                              ;   in Loop: Header=BB1433_269 Depth=1
	v_lshl_add_u32 v24, v4, 2, v99
	v_lshl_add_u32 v25, v32, 2, v98
	;; [unrolled: 1-line block ×4, first 2 shown]
	s_barrier_signal -1
	s_barrier_wait -1
	global_inv scope:SCOPE_SE
	ds_store_b32 v99, v83
	ds_store_b32 v98, v86
	;; [unrolled: 1-line block ×4, first 2 shown]
	s_wait_loadcnt_dscnt 0x0
	s_barrier_signal -1
	s_barrier_wait -1
	global_inv scope:SCOPE_SE
	ds_load_b32 v87, v65
	ds_load_b32 v33, v68
	;; [unrolled: 1-line block ×4, first 2 shown]
	s_wait_loadcnt_dscnt 0x0
	s_barrier_signal -1
	s_barrier_wait -1
	global_inv scope:SCOPE_SE
	ds_store_b64 v24, v[15:16]
	ds_store_b64 v25, v[13:14]
	;; [unrolled: 1-line block ×4, first 2 shown]
	s_wait_loadcnt_dscnt 0x0
	s_barrier_signal -1
	s_barrier_wait -1
	global_inv scope:SCOPE_SE
	ds_load_b64 v[26:27], v66
	ds_load_b64 v[28:29], v71
	;; [unrolled: 1-line block ×4, first 2 shown]
	v_add_nc_u32_e32 v82, -8, v82
	s_xor_b32 s20, exec_lo, -1
	s_wait_loadcnt_dscnt 0x0
	s_barrier_signal -1
	s_barrier_wait -1
	global_inv scope:SCOPE_SE
	s_branch .LBB1433_268
.LBB1433_285:
	flat_load_b64 v[34:35], v[4:5]
	s_wait_alu 0xfffe
	s_or_b32 exec_lo, exec_lo, s7
                                        ; implicit-def: $vgpr38_vgpr39
	s_and_saveexec_b32 s7, s0
	s_cbranch_execz .LBB1433_163
.LBB1433_286:
	flat_load_b64 v[38:39], v[4:5] offset:256
	s_wait_alu 0xfffe
	s_or_b32 exec_lo, exec_lo, s7
                                        ; implicit-def: $vgpr48_vgpr49
	s_and_saveexec_b32 s0, s1
	s_cbranch_execz .LBB1433_164
.LBB1433_287:
	flat_load_b64 v[48:49], v[4:5] offset:512
	s_wait_alu 0xfffe
	s_or_b32 exec_lo, exec_lo, s0
                                        ; implicit-def: $vgpr50_vgpr51
	s_and_saveexec_b32 s0, s2
	s_cbranch_execz .LBB1433_165
.LBB1433_288:
	flat_load_b64 v[50:51], v[4:5] offset:768
	s_wait_alu 0xfffe
	s_or_b32 exec_lo, exec_lo, s0
                                        ; implicit-def: $vgpr52_vgpr53
	s_and_saveexec_b32 s0, s3
	s_cbranch_execz .LBB1433_166
.LBB1433_289:
	flat_load_b64 v[52:53], v[4:5] offset:1024
	s_wait_alu 0xfffe
	s_or_b32 exec_lo, exec_lo, s0
                                        ; implicit-def: $vgpr54_vgpr55
	s_and_saveexec_b32 s0, s4
	s_cbranch_execz .LBB1433_167
.LBB1433_290:
	flat_load_b64 v[54:55], v[4:5] offset:1280
	s_wait_alu 0xfffe
	s_or_b32 exec_lo, exec_lo, s0
                                        ; implicit-def: $vgpr32_vgpr33
	s_and_saveexec_b32 s0, s5
	s_cbranch_execz .LBB1433_168
.LBB1433_291:
	flat_load_b64 v[32:33], v[4:5] offset:1536
	s_wait_alu 0xfffe
	s_or_b32 exec_lo, exec_lo, s0
                                        ; implicit-def: $vgpr36_vgpr37
	s_and_saveexec_b32 s0, s6
	s_cbranch_execnz .LBB1433_169
	s_branch .LBB1433_170
.LBB1433_292:
	flat_store_b64 v[0:1], v[20:21]
	s_wait_alu 0xfffe
	s_or_b32 exec_lo, exec_lo, s7
	s_and_saveexec_b32 s7, s0
	s_cbranch_execz .LBB1433_244
.LBB1433_293:
	flat_store_b64 v[0:1], v[22:23] offset:2048
	s_wait_alu 0xfffe
	s_or_b32 exec_lo, exec_lo, s7
	s_and_saveexec_b32 s0, s1
	s_cbranch_execz .LBB1433_245
.LBB1433_294:
	flat_store_b64 v[0:1], v[16:17] offset:4096
	s_wait_alu 0xfffe
	s_or_b32 exec_lo, exec_lo, s0
	s_and_saveexec_b32 s0, s2
	s_cbranch_execz .LBB1433_246
.LBB1433_295:
	flat_store_b64 v[0:1], v[18:19] offset:6144
	s_wait_alu 0xfffe
	s_or_b32 exec_lo, exec_lo, s0
	s_and_saveexec_b32 s0, s3
	s_cbranch_execz .LBB1433_247
.LBB1433_296:
	flat_store_b64 v[0:1], v[12:13] offset:8192
	s_wait_alu 0xfffe
	s_or_b32 exec_lo, exec_lo, s0
	s_and_saveexec_b32 s0, s4
	s_cbranch_execz .LBB1433_248
.LBB1433_297:
	flat_store_b64 v[0:1], v[14:15] offset:10240
	s_wait_alu 0xfffe
	s_or_b32 exec_lo, exec_lo, s0
	s_and_saveexec_b32 s0, s5
	s_cbranch_execz .LBB1433_249
.LBB1433_298:
	flat_store_b64 v[0:1], v[8:9] offset:12288
	s_wait_alu 0xfffe
	s_or_b32 exec_lo, exec_lo, s0
	s_and_saveexec_b32 s0, s6
	s_cbranch_execnz .LBB1433_250
	s_branch .LBB1433_251
.LBB1433_299:
	s_or_b32 exec_lo, exec_lo, s19
	v_lshl_add_u32 v4, v4, 2, v99
	v_lshl_add_u32 v5, v32, 2, v98
	;; [unrolled: 1-line block ×4, first 2 shown]
	s_barrier_signal -1
	s_barrier_wait -1
	s_wait_loadcnt 0x0
	global_inv scope:SCOPE_SE
	ds_store_b32 v99, v83
	ds_store_b32 v98, v86
	;; [unrolled: 1-line block ×4, first 2 shown]
	s_wait_loadcnt_dscnt 0x0
	s_barrier_signal -1
	s_barrier_wait -1
	global_inv scope:SCOPE_SE
	ds_load_2addr_stride64_b32 v[26:27], v54 offset1:4
	ds_load_2addr_stride64_b32 v[24:25], v54 offset0:8 offset1:12
	s_wait_loadcnt_dscnt 0x0
	s_barrier_signal -1
	s_barrier_wait -1
	global_inv scope:SCOPE_SE
	ds_store_b64 v4, v[15:16]
	ds_store_b64 v5, v[13:14]
	;; [unrolled: 1-line block ×4, first 2 shown]
	v_lshl_add_u32 v4, v21, 3, v12
	s_wait_loadcnt_dscnt 0x0
	s_barrier_signal -1
	s_barrier_wait -1
	global_inv scope:SCOPE_SE
	ds_load_2addr_stride64_b64 v[12:15], v4 offset1:4
	ds_load_2addr_stride64_b64 v[8:11], v4 offset0:8 offset1:12
	v_mov_b32_e32 v18, 0
	v_add_co_u32 v2, vcc_lo, v2, v19
	s_wait_alu 0xfffd
	v_add_co_ci_u32_e64 v3, null, v3, v20, vcc_lo
	s_delay_alu instid0(VALU_DEP_3)
	v_lshlrev_b64_e32 v[4:5], 2, v[17:18]
	s_wait_loadcnt_dscnt 0x0
	s_barrier_signal -1
	s_barrier_wait -1
	global_inv scope:SCOPE_SE
	v_add_co_u32 v2, vcc_lo, v2, v4
	s_wait_alu 0xfffd
	v_add_co_ci_u32_e64 v3, null, v3, v5, vcc_lo
	v_cmp_lt_u32_e32 vcc_lo, v17, v119
	s_and_saveexec_b32 s1, vcc_lo
	s_cbranch_execz .LBB1433_301
; %bb.300:
	v_cmp_lt_i32_e64 s0, -1, v26
	s_wait_alu 0xf1ff
	s_delay_alu instid0(VALU_DEP_1) | instskip(NEXT) | instid1(VALU_DEP_1)
	v_cndmask_b32_e64 v4, 0x80000000, -1, s0
	v_xor_b32_e32 v4, v4, v26
	flat_store_b32 v[2:3], v4
.LBB1433_301:
	s_wait_alu 0xfffe
	s_or_b32 exec_lo, exec_lo, s1
	v_add_nc_u32_e32 v4, 0x100, v17
	s_delay_alu instid0(VALU_DEP_1)
	v_cmp_lt_u32_e64 s0, v4, v119
	s_and_saveexec_b32 s2, s0
	s_cbranch_execz .LBB1433_303
; %bb.302:
	v_cmp_lt_i32_e64 s1, -1, v27
	s_wait_alu 0xf1ff
	s_delay_alu instid0(VALU_DEP_1) | instskip(NEXT) | instid1(VALU_DEP_1)
	v_cndmask_b32_e64 v4, 0x80000000, -1, s1
	v_xor_b32_e32 v4, v4, v27
	flat_store_b32 v[2:3], v4 offset:1024
.LBB1433_303:
	s_wait_alu 0xfffe
	s_or_b32 exec_lo, exec_lo, s2
	v_add_nc_u32_e32 v4, 0x200, v17
	s_delay_alu instid0(VALU_DEP_1)
	v_cmp_lt_u32_e64 s1, v4, v119
	s_and_saveexec_b32 s3, s1
	s_cbranch_execz .LBB1433_305
; %bb.304:
	v_cmp_lt_i32_e64 s2, -1, v24
	s_wait_alu 0xf1ff
	s_delay_alu instid0(VALU_DEP_1) | instskip(NEXT) | instid1(VALU_DEP_1)
	v_cndmask_b32_e64 v4, 0x80000000, -1, s2
	v_xor_b32_e32 v4, v4, v24
	flat_store_b32 v[2:3], v4 offset:2048
.LBB1433_305:
	;; [unrolled: 15-line block ×3, first 2 shown]
	s_wait_alu 0xfffe
	s_or_b32 exec_lo, exec_lo, s4
	v_lshlrev_b64_e32 v[2:3], 3, v[17:18]
	v_add_co_u32 v0, s3, v6, v0
	s_wait_alu 0xf1ff
	v_add_co_ci_u32_e64 v1, null, v7, v1, s3
	s_delay_alu instid0(VALU_DEP_2) | instskip(SKIP_1) | instid1(VALU_DEP_2)
	v_add_co_u32 v0, s3, v0, v2
	s_wait_alu 0xf1ff
	v_add_co_ci_u32_e64 v1, null, v1, v3, s3
	s_and_saveexec_b32 s3, vcc_lo
	s_cbranch_execnz .LBB1433_340
; %bb.308:
	s_wait_alu 0xfffe
	s_or_b32 exec_lo, exec_lo, s3
	s_and_saveexec_b32 s3, s0
	s_cbranch_execnz .LBB1433_341
.LBB1433_309:
	s_wait_alu 0xfffe
	s_or_b32 exec_lo, exec_lo, s3
	s_and_saveexec_b32 s0, s1
	s_cbranch_execnz .LBB1433_342
.LBB1433_310:
	s_wait_alu 0xfffe
	s_or_b32 exec_lo, exec_lo, s0
	s_and_saveexec_b32 s0, s2
	s_cbranch_execz .LBB1433_312
.LBB1433_311:
	flat_store_b64 v[0:1], v[10:11] offset:6144
.LBB1433_312:
	s_wait_alu 0xfffe
	s_or_b32 exec_lo, exec_lo, s0
                                        ; implicit-def: $vgpr119
                                        ; implicit-def: $vgpr0
                                        ; implicit-def: $vgpr1
                                        ; implicit-def: $vgpr2
                                        ; implicit-def: $vgpr3
                                        ; implicit-def: $vgpr4
                                        ; implicit-def: $vgpr5
                                        ; implicit-def: $vgpr6
                                        ; implicit-def: $vgpr7
                                        ; implicit-def: $vgpr8
                                        ; implicit-def: $vgpr10
                                        ; implicit-def: $vgpr11
                                        ; implicit-def: $vgpr12
                                        ; implicit-def: $vgpr9
                                        ; implicit-def: $vgpr13
                                        ; implicit-def: $vgpr21
                                        ; implicit-def: $vgpr114
.LBB1433_313:
	s_wait_alu 0xfffe
	s_and_not1_saveexec_b32 s0, s16
	s_cbranch_execz .LBB1433_372
; %bb.314:
	s_load_b64 s[0:1], s[8:9], 0x0
	s_and_b32 s2, ttmp7, 0xffff
	s_mov_b32 s3, 0
	s_wait_kmcnt 0x0
	s_wait_alu 0xfffe
	s_cmp_lt_u32 s2, s1
	s_cselect_b32 s2, 14, 20
	s_cmp_lt_u32 ttmp9, s0
	s_wait_alu 0xfffe
	s_add_nc_u64 s[4:5], s[8:9], s[2:3]
	s_cselect_b32 s2, 12, 18
	s_load_u16 s4, s[4:5], 0x0
	s_add_nc_u64 s[0:1], s[8:9], s[2:3]
	s_load_u16 s0, s[0:1], 0x0
	s_wait_kmcnt 0x0
	v_mad_u32_u24 v13, v13, s4, v9
	v_mov_b32_e32 v9, 0
	s_delay_alu instid0(VALU_DEP_2) | instskip(NEXT) | instid1(VALU_DEP_2)
	v_mad_co_u64_u32 v[13:14], null, v13, s0, v[21:22]
	v_lshlrev_b64_e32 v[15:16], 2, v[8:9]
	s_mov_b32 s0, exec_lo
	v_cmpx_lt_u32_e32 0x100, v119
	s_wait_alu 0xfffe
	s_xor_b32 s14, exec_lo, s0
	s_cbranch_execz .LBB1433_352
; %bb.315:
	s_delay_alu instid0(VALU_DEP_3) | instskip(SKIP_3) | instid1(VALU_DEP_4)
	v_lshlrev_b32_e32 v14, 1, v13
	v_mov_b32_e32 v20, v9
	v_lshlrev_b32_e32 v18, 2, v114
	v_bfrev_b32_e32 v17, -2
	v_and_b32_e32 v19, 0xffffffc0, v14
	v_add_co_u32 v14, vcc_lo, v0, v15
	s_wait_alu 0xfffd
	v_add_co_ci_u32_e64 v22, null, v1, v16, vcc_lo
	s_delay_alu instid0(VALU_DEP_3) | instskip(NEXT) | instid1(VALU_DEP_3)
	v_lshlrev_b64_e32 v[0:1], 2, v[19:20]
	v_add_co_u32 v18, vcc_lo, v14, v18
	s_wait_alu 0xfffd
	s_delay_alu instid0(VALU_DEP_3) | instskip(SKIP_1) | instid1(VALU_DEP_3)
	v_add_co_ci_u32_e64 v22, null, 0, v22, vcc_lo
	v_or_b32_e32 v14, v114, v19
	v_add_co_u32 v0, vcc_lo, v18, v0
	s_wait_alu 0xfffd
	s_delay_alu instid0(VALU_DEP_3) | instskip(NEXT) | instid1(VALU_DEP_3)
	v_add_co_ci_u32_e64 v1, null, v22, v1, vcc_lo
	v_cmp_lt_u32_e32 vcc_lo, v14, v119
	v_mov_b32_e32 v18, v17
	s_and_saveexec_b32 s0, vcc_lo
	s_cbranch_execz .LBB1433_317
; %bb.316:
	flat_load_b32 v22, v[0:1]
	v_mov_b32_e32 v23, v17
	s_wait_loadcnt_dscnt 0x0
	s_delay_alu instid0(VALU_DEP_1)
	v_dual_mov_b32 v17, v22 :: v_dual_mov_b32 v18, v23
.LBB1433_317:
	s_wait_alu 0xfffe
	s_or_b32 exec_lo, exec_lo, s0
	v_or_b32_e32 v14, 32, v14
	s_delay_alu instid0(VALU_DEP_1)
	v_cmp_lt_u32_e64 s0, v14, v119
	s_and_saveexec_b32 s1, s0
	s_cbranch_execz .LBB1433_319
; %bb.318:
	flat_load_b32 v18, v[0:1] offset:128
.LBB1433_319:
	s_wait_alu 0xfffe
	s_or_b32 exec_lo, exec_lo, s1
	v_lshlrev_b64_e32 v[0:1], 3, v[8:9]
	v_lshlrev_b32_e32 v14, 3, v114
	v_lshlrev_b64_e32 v[8:9], 3, v[19:20]
	v_dual_mov_b32 v22, 0 :: v_dual_mov_b32 v19, 0
	v_mov_b32_e32 v23, 0
	v_add_co_u32 v4, s1, v4, v0
	s_wait_alu 0xf1ff
	v_add_co_ci_u32_e64 v5, null, v5, v1, s1
	v_mov_b32_e32 v20, 0
	s_delay_alu instid0(VALU_DEP_3) | instskip(SKIP_1) | instid1(VALU_DEP_3)
	v_add_co_u32 v4, s1, v4, v14
	s_wait_alu 0xf1ff
	v_add_co_ci_u32_e64 v5, null, 0, v5, s1
	s_delay_alu instid0(VALU_DEP_2) | instskip(SKIP_1) | instid1(VALU_DEP_2)
	v_add_co_u32 v4, s1, v4, v8
	s_wait_alu 0xf1ff
	v_add_co_ci_u32_e64 v5, null, v5, v9, s1
	s_and_saveexec_b32 s1, vcc_lo
	s_cbranch_execz .LBB1433_321
; %bb.320:
	flat_load_b64 v[19:20], v[4:5]
.LBB1433_321:
	s_wait_alu 0xfffe
	s_or_b32 exec_lo, exec_lo, s1
	s_and_saveexec_b32 s1, s0
	s_cbranch_execz .LBB1433_323
; %bb.322:
	flat_load_b64 v[22:23], v[4:5] offset:256
.LBB1433_323:
	s_wait_alu 0xfffe
	s_or_b32 exec_lo, exec_lo, s1
	v_cmp_lt_i32_e32 vcc_lo, -1, v17
	v_lshl_add_u32 v8, v21, 5, v12
	s_getpc_b64 s[0:1]
	s_wait_alu 0xfffe
	s_sext_i32_i16 s1, s1
	s_add_co_u32 s0, s0, _ZN7rocprim17ROCPRIM_400000_NS16block_radix_sortIfLj256ELj2ElLj1ELj1ELj8ELNS0_26block_radix_rank_algorithmE2ELNS0_18block_padding_hintE2ELNS0_4arch9wavefront6targetE0EE19radix_bits_per_passE@rel32@lo+12
	s_wait_alu 0xfffe
	s_add_co_ci_u32 s1, s1, _ZN7rocprim17ROCPRIM_400000_NS16block_radix_sortIfLj256ELj2ElLj1ELj1ELj8ELNS0_26block_radix_rank_algorithmE2ELNS0_18block_padding_hintE2ELNS0_4arch9wavefront6targetE0EE19radix_bits_per_passE@rel32@hi+24
	v_and_b32_e32 v9, 7, v114
	s_load_b32 s15, s[0:1], 0x0
	v_cndmask_b32_e64 v4, -1, 0x80000000, vcc_lo
	s_wait_loadcnt_dscnt 0x0
	v_cmp_lt_i32_e32 vcc_lo, -1, v18
	v_add_nc_u32_e32 v14, 32, v8
	v_add_nc_u32_e32 v26, 36, v8
	;; [unrolled: 1-line block ×4, first 2 shown]
	s_wait_alu 0xfffd
	v_cndmask_b32_e64 v5, -1, 0x80000000, vcc_lo
	v_add_nc_u32_e32 v29, 48, v8
	v_add_nc_u32_e32 v30, 52, v8
	v_add_nc_u32_e32 v31, 56, v8
	v_add_nc_u32_e32 v32, 60, v8
	v_xor_b32_e32 v25, v5, v18
	v_and_b32_e32 v5, 0x3e0, v21
	v_and_b32_e32 v8, 16, v114
	v_xor_b32_e32 v53, v4, v17
	v_and_b32_e32 v4, 15, v114
	v_lshrrev_b32_e32 v33, 5, v13
	v_min_u32_e32 v5, 0xe0, v5
	v_cmp_eq_u32_e64 s4, 0, v8
	v_lshlrev_b32_e32 v8, 1, v21
	v_cmp_eq_u32_e32 vcc_lo, 0, v4
	v_cmp_lt_u32_e64 s0, 1, v4
	v_cmp_lt_u32_e64 s1, 3, v4
	;; [unrolled: 1-line block ×3, first 2 shown]
	v_or_b32_e32 v4, 31, v5
	v_and_or_b32 v8, 0x7c0, v8, v114
	v_sub_co_u32 v5, s3, v114, 1
	v_cmp_lt_u32_e64 s7, 31, v21
	s_delay_alu instid0(VALU_DEP_4)
	v_cmp_eq_u32_e64 s5, v21, v4
	v_lshrrev_b32_e32 v4, 3, v21
	v_lshlrev_b32_e32 v8, 2, v8
	v_cmp_gt_i32_e64 s6, 0, v5
	v_cmp_eq_u32_e64 s8, 0, v21
	v_cmp_eq_u32_e64 s9, 0, v9
	v_and_b32_e32 v4, 0x7c, v4
	v_add_nc_u32_e32 v37, v12, v8
	s_wait_alu 0xf1ff
	v_cndmask_b32_e64 v5, v5, v114, s6
	v_cmp_gt_u32_e64 s6, 8, v21
	v_cmp_lt_u32_e64 s10, 1, v9
	v_add_nc_u32_e32 v36, v12, v4
	v_lshlrev_b32_e32 v4, 2, v21
	v_add_nc_u32_e32 v38, v37, v8
	v_lshlrev_b32_e32 v35, 2, v5
	v_mov_b32_e32 v5, 0
	v_cmp_lt_u32_e64 s11, 3, v9
	v_add_co_u32 v34, null, v12, v4
	v_add_nc_u32_e32 v39, -4, v36
	v_add_nc_u32_e32 v48, 0x80, v37
	v_add_nc_u32_e32 v49, 0x100, v38
	v_sub_nc_u32_e32 v50, v11, v10
	s_mov_b32 s16, 0
	s_wait_storecnt 0x0
	s_barrier_signal -1
	s_barrier_wait -1
	global_inv scope:SCOPE_SE
	s_branch .LBB1433_325
.LBB1433_324:                           ;   in Loop: Header=BB1433_325 Depth=1
	s_wait_alu 0xfffe
	s_or_b32 exec_lo, exec_lo, s13
	s_delay_alu instid0(SALU_CYCLE_1)
	s_and_b32 s12, exec_lo, s17
	s_wait_alu 0xfffe
	s_or_b32 s16, s12, s16
	s_wait_alu 0xfffe
	s_and_not1_b32 exec_lo, exec_lo, s16
	s_cbranch_execz .LBB1433_343
.LBB1433_325:                           ; =>This Inner Loop Header: Depth=1
	s_wait_kmcnt 0x0
	v_min_u32_e32 v4, s15, v50
	v_mov_b32_e32 v52, v25
	ds_store_b32 v14, v5
	ds_store_b32 v26, v5
	;; [unrolled: 1-line block ×6, first 2 shown]
	v_lshlrev_b32_e64 v4, v4, -1
	ds_store_b32 v31, v5
	ds_store_b32 v32, v5
	s_wait_loadcnt_dscnt 0x0
	s_barrier_signal -1
	v_not_b32_e32 v24, v4
	v_mov_b32_e32 v51, v53
	s_barrier_wait -1
	global_inv scope:SCOPE_SE
	; wave barrier
	v_cmp_ne_u32_e64 s12, 0x7fffffff, v51
	s_wait_alu 0xf1ff
	s_delay_alu instid0(VALU_DEP_1) | instskip(NEXT) | instid1(VALU_DEP_1)
	v_cndmask_b32_e64 v8, 0x80000000, v51, s12
	v_lshrrev_b32_e32 v4, v10, v8
	s_delay_alu instid0(VALU_DEP_1) | instskip(SKIP_1) | instid1(VALU_DEP_2)
	v_and_b32_e32 v4, v4, v24
	v_dual_mov_b32 v8, v22 :: v_dual_mov_b32 v9, v23
	v_and_b32_e32 v17, 1, v4
	v_lshlrev_b32_e32 v18, 30, v4
	v_lshlrev_b32_e32 v22, 29, v4
	;; [unrolled: 1-line block ×4, first 2 shown]
	v_add_co_u32 v17, s12, v17, -1
	s_wait_alu 0xf1ff
	v_cndmask_b32_e64 v25, 0, 1, s12
	v_not_b32_e32 v64, v18
	v_cmp_gt_i32_e64 s13, 0, v18
	v_not_b32_e32 v18, v22
	v_lshlrev_b32_e32 v54, 26, v4
	v_cmp_ne_u32_e64 s12, 0, v25
	v_ashrrev_i32_e32 v64, 31, v64
	v_lshlrev_b32_e32 v55, 25, v4
	v_ashrrev_i32_e32 v18, 31, v18
	v_lshlrev_b32_e32 v25, 24, v4
	s_wait_alu 0xf1ff
	v_xor_b32_e32 v17, s12, v17
	v_cmp_gt_i32_e64 s12, 0, v22
	v_not_b32_e32 v22, v23
	v_xor_b32_e32 v64, s13, v64
	v_cmp_gt_i32_e64 s13, 0, v23
	v_and_b32_e32 v17, exec_lo, v17
	v_not_b32_e32 v23, v53
	v_ashrrev_i32_e32 v22, 31, v22
	s_wait_alu 0xf1ff
	v_xor_b32_e32 v18, s12, v18
	v_cmp_gt_i32_e64 s12, 0, v53
	v_and_b32_e32 v17, v17, v64
	v_not_b32_e32 v53, v54
	v_ashrrev_i32_e32 v23, 31, v23
	v_xor_b32_e32 v22, s13, v22
	v_cmp_gt_i32_e64 s13, 0, v54
	v_and_b32_e32 v17, v17, v18
	v_not_b32_e32 v18, v55
	v_ashrrev_i32_e32 v53, 31, v53
	s_wait_alu 0xf1ff
	v_xor_b32_e32 v23, s12, v23
	v_cmp_gt_i32_e64 s12, 0, v55
	v_and_b32_e32 v17, v17, v22
	v_not_b32_e32 v22, v25
	v_ashrrev_i32_e32 v54, 31, v18
	v_xor_b32_e32 v53, s13, v53
	v_cmp_gt_i32_e64 s13, 0, v25
	v_and_b32_e32 v23, v17, v23
	v_dual_mov_b32 v17, v19 :: v_dual_mov_b32 v18, v20
	v_ashrrev_i32_e32 v19, 31, v22
	s_wait_alu 0xf1ff
	v_xor_b32_e32 v20, s12, v54
	v_and_b32_e32 v22, v23, v53
	v_lshl_add_u32 v4, v4, 3, v33
	v_xor_b32_e32 v19, s13, v19
	s_delay_alu instid0(VALU_DEP_3) | instskip(NEXT) | instid1(VALU_DEP_3)
	v_and_b32_e32 v20, v22, v20
	v_lshlrev_b64_e32 v[22:23], 2, v[4:5]
	s_delay_alu instid0(VALU_DEP_2) | instskip(NEXT) | instid1(VALU_DEP_2)
	v_and_b32_e32 v20, v20, v19
	v_add_co_u32 v19, null, v12, v22
	s_delay_alu instid0(VALU_DEP_2) | instskip(SKIP_1) | instid1(VALU_DEP_3)
	v_mbcnt_lo_u32_b32 v4, v20, 0
	v_cmp_ne_u32_e64 s13, 0, v20
	v_add_co_u32 v19, null, v19, 32
	s_delay_alu instid0(VALU_DEP_3)
	v_cmp_eq_u32_e64 s12, 0, v4
	s_and_b32 s13, s13, s12
	s_wait_alu 0xfffe
	s_and_saveexec_b32 s12, s13
; %bb.326:                              ;   in Loop: Header=BB1433_325 Depth=1
	v_bcnt_u32_b32 v20, v20, 0
	ds_store_b32 v19, v20
; %bb.327:                              ;   in Loop: Header=BB1433_325 Depth=1
	s_wait_alu 0xfffe
	s_or_b32 exec_lo, exec_lo, s12
	v_cmp_ne_u32_e64 s12, 0x7fffffff, v52
	; wave barrier
	s_wait_alu 0xf1ff
	s_delay_alu instid0(VALU_DEP_1) | instskip(NEXT) | instid1(VALU_DEP_1)
	v_cndmask_b32_e64 v20, 0x80000000, v52, s12
	v_lshrrev_b32_e32 v20, v10, v20
	s_delay_alu instid0(VALU_DEP_1) | instskip(NEXT) | instid1(VALU_DEP_1)
	v_and_b32_e32 v20, v20, v24
	v_and_b32_e32 v22, 1, v20
	v_lshlrev_b32_e32 v23, 30, v20
	v_lshlrev_b32_e32 v24, 29, v20
	;; [unrolled: 1-line block ×4, first 2 shown]
	v_add_co_u32 v22, s12, v22, -1
	s_wait_alu 0xf1ff
	v_cndmask_b32_e64 v53, 0, 1, s12
	v_not_b32_e32 v65, v23
	v_cmp_gt_i32_e64 s13, 0, v23
	v_not_b32_e32 v23, v24
	v_lshlrev_b32_e32 v55, 26, v20
	v_cmp_ne_u32_e64 s12, 0, v53
	v_ashrrev_i32_e32 v65, 31, v65
	v_lshlrev_b32_e32 v64, 25, v20
	v_ashrrev_i32_e32 v23, 31, v23
	v_lshlrev_b32_e32 v53, 24, v20
	s_wait_alu 0xf1ff
	v_xor_b32_e32 v22, s12, v22
	v_cmp_gt_i32_e64 s12, 0, v24
	v_not_b32_e32 v24, v25
	v_xor_b32_e32 v65, s13, v65
	v_cmp_gt_i32_e64 s13, 0, v25
	v_and_b32_e32 v22, exec_lo, v22
	v_not_b32_e32 v25, v54
	v_ashrrev_i32_e32 v24, 31, v24
	s_wait_alu 0xf1ff
	v_xor_b32_e32 v23, s12, v23
	v_cmp_gt_i32_e64 s12, 0, v54
	v_and_b32_e32 v22, v22, v65
	v_not_b32_e32 v54, v55
	v_ashrrev_i32_e32 v25, 31, v25
	v_xor_b32_e32 v24, s13, v24
	v_cmp_gt_i32_e64 s13, 0, v55
	v_and_b32_e32 v22, v22, v23
	v_not_b32_e32 v23, v64
	v_ashrrev_i32_e32 v54, 31, v54
	s_wait_alu 0xf1ff
	v_xor_b32_e32 v25, s12, v25
	v_cmp_gt_i32_e64 s12, 0, v64
	v_and_b32_e32 v22, v22, v24
	v_not_b32_e32 v24, v53
	v_ashrrev_i32_e32 v23, 31, v23
	v_xor_b32_e32 v54, s13, v54
	v_lshl_add_u32 v20, v20, 3, v33
	v_and_b32_e32 v22, v22, v25
	v_cmp_gt_i32_e64 s13, 0, v53
	v_ashrrev_i32_e32 v24, 31, v24
	s_wait_alu 0xf1ff
	v_xor_b32_e32 v23, s12, v23
	v_lshl_add_u32 v25, v20, 2, v12
	v_and_b32_e32 v22, v22, v54
	v_xor_b32_e32 v24, s13, v24
	ds_load_b32 v20, v25 offset:32
	v_and_b32_e32 v22, v22, v23
	v_add_nc_u32_e32 v23, 32, v25
	; wave barrier
	s_delay_alu instid0(VALU_DEP_2) | instskip(NEXT) | instid1(VALU_DEP_1)
	v_and_b32_e32 v24, v22, v24
	v_mbcnt_lo_u32_b32 v22, v24, 0
	v_cmp_ne_u32_e64 s13, 0, v24
	s_delay_alu instid0(VALU_DEP_2)
	v_cmp_eq_u32_e64 s12, 0, v22
	s_and_b32 s13, s13, s12
	s_wait_alu 0xfffe
	s_and_saveexec_b32 s12, s13
	s_cbranch_execz .LBB1433_329
; %bb.328:                              ;   in Loop: Header=BB1433_325 Depth=1
	s_wait_dscnt 0x0
	v_bcnt_u32_b32 v24, v24, v20
	ds_store_b32 v23, v24
.LBB1433_329:                           ;   in Loop: Header=BB1433_325 Depth=1
	s_wait_alu 0xfffe
	s_or_b32 exec_lo, exec_lo, s12
	; wave barrier
	s_wait_loadcnt_dscnt 0x0
	s_barrier_signal -1
	s_barrier_wait -1
	global_inv scope:SCOPE_SE
	ds_load_b32 v25, v14
	ds_load_b32 v53, v26
	ds_load_b32 v54, v27
	ds_load_b32 v55, v28
	ds_load_b32 v64, v29
	ds_load_b32 v65, v30
	ds_load_b32 v24, v31
	ds_load_b32 v66, v32
	s_wait_dscnt 0x6
	v_add_nc_u32_e32 v67, v53, v25
	s_wait_dscnt 0x4
	s_delay_alu instid0(VALU_DEP_1) | instskip(SKIP_1) | instid1(VALU_DEP_1)
	v_add3_u32 v67, v67, v54, v55
	s_wait_dscnt 0x2
	v_add3_u32 v67, v67, v64, v65
	s_wait_dscnt 0x0
	s_delay_alu instid0(VALU_DEP_1) | instskip(NEXT) | instid1(VALU_DEP_1)
	v_add3_u32 v66, v67, v24, v66
	v_mov_b32_dpp v67, v66 row_shr:1 row_mask:0xf bank_mask:0xf
	s_wait_alu 0xfffd
	s_delay_alu instid0(VALU_DEP_1) | instskip(NEXT) | instid1(VALU_DEP_1)
	v_cndmask_b32_e64 v67, v67, 0, vcc_lo
	v_add_nc_u32_e32 v66, v67, v66
	s_delay_alu instid0(VALU_DEP_1) | instskip(NEXT) | instid1(VALU_DEP_1)
	v_mov_b32_dpp v67, v66 row_shr:2 row_mask:0xf bank_mask:0xf
	v_cndmask_b32_e64 v67, 0, v67, s0
	s_delay_alu instid0(VALU_DEP_1) | instskip(NEXT) | instid1(VALU_DEP_1)
	v_add_nc_u32_e32 v66, v66, v67
	v_mov_b32_dpp v67, v66 row_shr:4 row_mask:0xf bank_mask:0xf
	s_delay_alu instid0(VALU_DEP_1) | instskip(NEXT) | instid1(VALU_DEP_1)
	v_cndmask_b32_e64 v67, 0, v67, s1
	v_add_nc_u32_e32 v66, v66, v67
	s_delay_alu instid0(VALU_DEP_1) | instskip(NEXT) | instid1(VALU_DEP_1)
	v_mov_b32_dpp v67, v66 row_shr:8 row_mask:0xf bank_mask:0xf
	v_cndmask_b32_e64 v67, 0, v67, s2
	s_delay_alu instid0(VALU_DEP_1) | instskip(SKIP_3) | instid1(VALU_DEP_1)
	v_add_nc_u32_e32 v66, v66, v67
	ds_swizzle_b32 v67, v66 offset:swizzle(BROADCAST,32,15)
	s_wait_dscnt 0x0
	v_cndmask_b32_e64 v67, v67, 0, s4
	v_add_nc_u32_e32 v66, v66, v67
	s_and_saveexec_b32 s12, s5
; %bb.330:                              ;   in Loop: Header=BB1433_325 Depth=1
	ds_store_b32 v36, v66
; %bb.331:                              ;   in Loop: Header=BB1433_325 Depth=1
	s_wait_alu 0xfffe
	s_or_b32 exec_lo, exec_lo, s12
	s_wait_loadcnt_dscnt 0x0
	s_barrier_signal -1
	s_barrier_wait -1
	global_inv scope:SCOPE_SE
	s_and_saveexec_b32 s12, s6
	s_cbranch_execz .LBB1433_333
; %bb.332:                              ;   in Loop: Header=BB1433_325 Depth=1
	ds_load_b32 v67, v34
	s_wait_dscnt 0x0
	v_mov_b32_dpp v68, v67 row_shr:1 row_mask:0xf bank_mask:0xf
	s_delay_alu instid0(VALU_DEP_1) | instskip(NEXT) | instid1(VALU_DEP_1)
	v_cndmask_b32_e64 v68, v68, 0, s9
	v_add_nc_u32_e32 v67, v68, v67
	s_delay_alu instid0(VALU_DEP_1) | instskip(NEXT) | instid1(VALU_DEP_1)
	v_mov_b32_dpp v68, v67 row_shr:2 row_mask:0xf bank_mask:0xf
	v_cndmask_b32_e64 v68, 0, v68, s10
	s_delay_alu instid0(VALU_DEP_1) | instskip(NEXT) | instid1(VALU_DEP_1)
	v_add_nc_u32_e32 v67, v67, v68
	v_mov_b32_dpp v68, v67 row_shr:4 row_mask:0xf bank_mask:0xf
	s_delay_alu instid0(VALU_DEP_1) | instskip(NEXT) | instid1(VALU_DEP_1)
	v_cndmask_b32_e64 v68, 0, v68, s11
	v_add_nc_u32_e32 v67, v67, v68
	ds_store_b32 v34, v67
.LBB1433_333:                           ;   in Loop: Header=BB1433_325 Depth=1
	s_wait_alu 0xfffe
	s_or_b32 exec_lo, exec_lo, s12
	v_mov_b32_e32 v67, 0
	s_wait_loadcnt_dscnt 0x0
	s_barrier_signal -1
	s_barrier_wait -1
	global_inv scope:SCOPE_SE
	s_and_saveexec_b32 s12, s7
; %bb.334:                              ;   in Loop: Header=BB1433_325 Depth=1
	ds_load_b32 v67, v39
; %bb.335:                              ;   in Loop: Header=BB1433_325 Depth=1
	s_wait_alu 0xfffe
	s_or_b32 exec_lo, exec_lo, s12
	s_wait_dscnt 0x0
	v_add_nc_u32_e32 v66, v67, v66
	v_add_nc_u32_e32 v10, 8, v10
	s_mov_b32 s17, -1
	s_mov_b32 s13, exec_lo
	ds_bpermute_b32 v66, v35, v66
	s_wait_dscnt 0x0
	v_cndmask_b32_e64 v66, v66, v67, s3
	s_delay_alu instid0(VALU_DEP_1) | instskip(NEXT) | instid1(VALU_DEP_1)
	v_cndmask_b32_e64 v66, v66, 0, s8
	v_add_nc_u32_e32 v25, v66, v25
	s_delay_alu instid0(VALU_DEP_1)
	v_add_nc_u32_e32 v53, v25, v53
	ds_store_b32 v14, v66
	ds_store_b32 v26, v25
	;; [unrolled: 1-line block ×3, first 2 shown]
	v_mov_b32_e32 v25, v5
	v_add_nc_u32_e32 v54, v53, v54
                                        ; implicit-def: $vgpr53
	s_delay_alu instid0(VALU_DEP_1) | instskip(NEXT) | instid1(VALU_DEP_1)
	v_add_nc_u32_e32 v55, v54, v55
	v_add_nc_u32_e32 v64, v55, v64
	s_delay_alu instid0(VALU_DEP_1) | instskip(NEXT) | instid1(VALU_DEP_1)
	v_add_nc_u32_e32 v65, v64, v65
	v_add_nc_u32_e32 v24, v65, v24
	ds_store_b32 v28, v54
	ds_store_b32 v29, v55
	ds_store_b32 v30, v64
	ds_store_b32 v31, v65
	ds_store_b32 v32, v24
	s_wait_loadcnt_dscnt 0x0
	s_barrier_signal -1
	s_barrier_wait -1
	global_inv scope:SCOPE_SE
	ds_load_b32 v19, v19
	ds_load_b32 v23, v23
	s_wait_loadcnt_dscnt 0x0
	v_add_nc_u32_e32 v4, v19, v4
	v_add3_u32 v24, v22, v20, v23
	s_delay_alu instid0(VALU_DEP_2) | instskip(NEXT) | instid1(VALU_DEP_2)
	v_lshlrev_b64_e32 v[19:20], 2, v[4:5]
	v_lshlrev_b64_e32 v[22:23], 2, v[24:25]
                                        ; implicit-def: $vgpr25
	s_delay_alu instid0(VALU_DEP_2) | instskip(NEXT) | instid1(VALU_DEP_2)
	v_add_co_u32 v55, null, v12, v19
	v_add_co_u32 v54, null, v12, v22
                                        ; implicit-def: $vgpr22_vgpr23
                                        ; implicit-def: $vgpr19_vgpr20
	v_cmpx_lt_u32_e64 v10, v11
	s_cbranch_execz .LBB1433_324
; %bb.336:                              ;   in Loop: Header=BB1433_325 Depth=1
	s_delay_alu instid0(VALU_DEP_3) | instskip(NEXT) | instid1(VALU_DEP_3)
	v_lshl_add_u32 v19, v4, 2, v55
	v_lshl_add_u32 v20, v24, 2, v54
	s_barrier_signal -1
	s_barrier_wait -1
	global_inv scope:SCOPE_SE
	ds_store_b32 v55, v51
	ds_store_b32 v54, v52
	s_wait_loadcnt_dscnt 0x0
	s_barrier_signal -1
	s_barrier_wait -1
	global_inv scope:SCOPE_SE
	ds_load_b32 v53, v37
	ds_load_b32 v25, v48
	s_wait_loadcnt_dscnt 0x0
	s_barrier_signal -1
	s_barrier_wait -1
	global_inv scope:SCOPE_SE
	ds_store_b64 v19, v[17:18]
	ds_store_b64 v20, v[8:9]
	s_wait_loadcnt_dscnt 0x0
	s_barrier_signal -1
	s_barrier_wait -1
	global_inv scope:SCOPE_SE
	ds_load_b64 v[19:20], v38
	ds_load_b64 v[22:23], v49
	v_add_nc_u32_e32 v50, -8, v50
	s_xor_b32 s17, exec_lo, -1
	s_wait_loadcnt_dscnt 0x0
	s_barrier_signal -1
	s_barrier_wait -1
	global_inv scope:SCOPE_SE
	s_branch .LBB1433_324
.LBB1433_337:
	flat_load_b64 v[26:27], v[4:5]
	s_wait_alu 0xfffe
	s_or_b32 exec_lo, exec_lo, s3
                                        ; implicit-def: $vgpr28_vgpr29
	s_and_saveexec_b32 s3, s0
	s_cbranch_execz .LBB1433_264
.LBB1433_338:
	flat_load_b64 v[28:29], v[4:5] offset:256
	s_wait_alu 0xfffe
	s_or_b32 exec_lo, exec_lo, s3
                                        ; implicit-def: $vgpr30_vgpr31
	s_and_saveexec_b32 s0, s1
	s_cbranch_execz .LBB1433_265
.LBB1433_339:
	flat_load_b64 v[30:31], v[4:5] offset:512
	s_wait_alu 0xfffe
	s_or_b32 exec_lo, exec_lo, s0
                                        ; implicit-def: $vgpr24_vgpr25
	s_and_saveexec_b32 s0, s2
	s_cbranch_execnz .LBB1433_266
	s_branch .LBB1433_267
.LBB1433_340:
	flat_store_b64 v[0:1], v[12:13]
	s_wait_alu 0xfffe
	s_or_b32 exec_lo, exec_lo, s3
	s_and_saveexec_b32 s3, s0
	s_cbranch_execz .LBB1433_309
.LBB1433_341:
	flat_store_b64 v[0:1], v[14:15] offset:2048
	s_wait_alu 0xfffe
	s_or_b32 exec_lo, exec_lo, s3
	s_and_saveexec_b32 s0, s1
	s_cbranch_execz .LBB1433_310
.LBB1433_342:
	flat_store_b64 v[0:1], v[8:9] offset:4096
	s_wait_alu 0xfffe
	s_or_b32 exec_lo, exec_lo, s0
	s_and_saveexec_b32 s0, s2
	s_cbranch_execnz .LBB1433_311
	s_branch .LBB1433_312
.LBB1433_343:
	s_or_b32 exec_lo, exec_lo, s16
	v_lshl_add_u32 v4, v4, 2, v55
	v_lshl_add_u32 v5, v24, 2, v54
	s_barrier_signal -1
	s_barrier_wait -1
	s_wait_loadcnt 0x0
	global_inv scope:SCOPE_SE
	ds_store_b32 v55, v51
	ds_store_b32 v54, v52
	s_wait_loadcnt_dscnt 0x0
	s_barrier_signal -1
	s_barrier_wait -1
	global_inv scope:SCOPE_SE
	ds_load_2addr_stride64_b32 v[19:20], v34 offset1:4
	s_wait_loadcnt_dscnt 0x0
	s_barrier_signal -1
	s_barrier_wait -1
	global_inv scope:SCOPE_SE
	ds_store_b64 v4, v[17:18]
	ds_store_b64 v5, v[8:9]
	v_lshl_add_u32 v4, v21, 3, v12
	s_wait_loadcnt_dscnt 0x0
	s_barrier_signal -1
	s_barrier_wait -1
	global_inv scope:SCOPE_SE
	ds_load_2addr_stride64_b64 v[8:11], v4 offset1:4
	v_mov_b32_e32 v14, 0
	v_add_co_u32 v2, vcc_lo, v2, v15
	s_wait_alu 0xfffd
	v_add_co_ci_u32_e64 v3, null, v3, v16, vcc_lo
	s_delay_alu instid0(VALU_DEP_3)
	v_lshlrev_b64_e32 v[4:5], 2, v[13:14]
	s_wait_loadcnt_dscnt 0x0
	s_barrier_signal -1
	s_barrier_wait -1
	global_inv scope:SCOPE_SE
	v_add_co_u32 v2, vcc_lo, v2, v4
	s_wait_alu 0xfffd
	v_add_co_ci_u32_e64 v3, null, v3, v5, vcc_lo
	v_cmp_lt_u32_e32 vcc_lo, v13, v119
	s_and_saveexec_b32 s1, vcc_lo
	s_cbranch_execz .LBB1433_345
; %bb.344:
	v_cmp_lt_i32_e64 s0, -1, v19
	s_wait_alu 0xf1ff
	s_delay_alu instid0(VALU_DEP_1) | instskip(NEXT) | instid1(VALU_DEP_1)
	v_cndmask_b32_e64 v4, 0x80000000, -1, s0
	v_xor_b32_e32 v4, v4, v19
	flat_store_b32 v[2:3], v4
.LBB1433_345:
	s_wait_alu 0xfffe
	s_or_b32 exec_lo, exec_lo, s1
	v_add_nc_u32_e32 v4, 0x100, v13
	s_delay_alu instid0(VALU_DEP_1)
	v_cmp_lt_u32_e64 s0, v4, v119
	s_and_saveexec_b32 s2, s0
	s_cbranch_execz .LBB1433_347
; %bb.346:
	v_cmp_lt_i32_e64 s1, -1, v20
	s_wait_alu 0xf1ff
	s_delay_alu instid0(VALU_DEP_1) | instskip(NEXT) | instid1(VALU_DEP_1)
	v_cndmask_b32_e64 v4, 0x80000000, -1, s1
	v_xor_b32_e32 v4, v4, v20
	flat_store_b32 v[2:3], v4 offset:1024
.LBB1433_347:
	s_wait_alu 0xfffe
	s_or_b32 exec_lo, exec_lo, s2
	v_lshlrev_b64_e32 v[2:3], 3, v[13:14]
	v_add_co_u32 v0, s1, v6, v0
	s_wait_alu 0xf1ff
	v_add_co_ci_u32_e64 v1, null, v7, v1, s1
	s_delay_alu instid0(VALU_DEP_2) | instskip(SKIP_1) | instid1(VALU_DEP_2)
	v_add_co_u32 v0, s1, v0, v2
	s_wait_alu 0xf1ff
	v_add_co_ci_u32_e64 v1, null, v1, v3, s1
	s_and_saveexec_b32 s1, vcc_lo
	s_cbranch_execz .LBB1433_349
; %bb.348:
	flat_store_b64 v[0:1], v[8:9]
.LBB1433_349:
	s_wait_alu 0xfffe
	s_or_b32 exec_lo, exec_lo, s1
	s_and_saveexec_b32 s1, s0
	s_cbranch_execz .LBB1433_351
; %bb.350:
	flat_store_b64 v[0:1], v[10:11] offset:2048
.LBB1433_351:
	s_wait_alu 0xfffe
	s_or_b32 exec_lo, exec_lo, s1
                                        ; implicit-def: $vgpr13_vgpr14
                                        ; implicit-def: $vgpr8_vgpr9
                                        ; implicit-def: $vgpr15_vgpr16
                                        ; implicit-def: $vgpr119
                                        ; implicit-def: $vgpr0
                                        ; implicit-def: $vgpr1
                                        ; implicit-def: $vgpr2
                                        ; implicit-def: $vgpr3
                                        ; implicit-def: $vgpr4
                                        ; implicit-def: $vgpr5
                                        ; implicit-def: $vgpr6
                                        ; implicit-def: $vgpr7
                                        ; implicit-def: $vgpr10
                                        ; implicit-def: $vgpr11
                                        ; implicit-def: $vgpr12
                                        ; implicit-def: $vgpr21
                                        ; implicit-def: $vgpr114
.LBB1433_352:
	s_wait_alu 0xfffe
	s_and_not1_saveexec_b32 s0, s14
	s_cbranch_execz .LBB1433_372
; %bb.353:
	v_and_b32_e32 v17, 0xffffffe0, v13
	s_delay_alu instid0(VALU_DEP_1) | instskip(NEXT) | instid1(VALU_DEP_1)
	v_or_b32_e32 v14, v114, v17
	v_cmp_lt_u32_e32 vcc_lo, v14, v119
	v_bfrev_b32_e32 v14, -2
	s_and_saveexec_b32 s1, vcc_lo
	s_cbranch_execz .LBB1433_355
; %bb.354:
	v_mov_b32_e32 v18, 0
	v_lshlrev_b32_e32 v14, 2, v114
	v_add_co_u32 v19, s0, v0, v15
	s_wait_alu 0xf1fe
	v_add_co_ci_u32_e64 v20, null, v1, v16, s0
	v_lshlrev_b64_e32 v[0:1], 2, v[17:18]
	s_delay_alu instid0(VALU_DEP_3) | instskip(SKIP_1) | instid1(VALU_DEP_3)
	v_add_co_u32 v14, s0, v19, v14
	s_wait_alu 0xf1ff
	v_add_co_ci_u32_e64 v18, null, 0, v20, s0
	s_delay_alu instid0(VALU_DEP_2) | instskip(SKIP_1) | instid1(VALU_DEP_2)
	v_add_co_u32 v0, s0, v14, v0
	s_wait_alu 0xf1ff
	v_add_co_ci_u32_e64 v1, null, v18, v1, s0
	flat_load_b32 v14, v[0:1]
.LBB1433_355:
	s_wait_alu 0xfffe
	s_or_b32 exec_lo, exec_lo, s1
	v_lshlrev_b64_e32 v[0:1], 3, v[8:9]
                                        ; implicit-def: $vgpr8_vgpr9
	s_and_saveexec_b32 s0, vcc_lo
	s_cbranch_execz .LBB1433_357
; %bb.356:
	v_mov_b32_e32 v18, 0
	v_lshlrev_b32_e32 v8, 3, v114
	s_delay_alu instid0(VALU_DEP_3) | instskip(SKIP_3) | instid1(VALU_DEP_3)
	v_add_co_u32 v9, vcc_lo, v4, v0
	s_wait_alu 0xfffd
	v_add_co_ci_u32_e64 v19, null, v5, v1, vcc_lo
	v_lshlrev_b64_e32 v[4:5], 3, v[17:18]
	v_add_co_u32 v8, vcc_lo, v9, v8
	s_wait_alu 0xfffd
	s_delay_alu instid0(VALU_DEP_3) | instskip(NEXT) | instid1(VALU_DEP_2)
	v_add_co_ci_u32_e64 v9, null, 0, v19, vcc_lo
	v_add_co_u32 v4, vcc_lo, v8, v4
	s_wait_alu 0xfffd
	s_delay_alu instid0(VALU_DEP_2)
	v_add_co_ci_u32_e64 v5, null, v9, v5, vcc_lo
	flat_load_b64 v[8:9], v[4:5]
.LBB1433_357:
	s_wait_alu 0xfffe
	s_or_b32 exec_lo, exec_lo, s0
	s_wait_loadcnt_dscnt 0x0
	v_cmp_lt_i32_e32 vcc_lo, -1, v14
	v_lshl_add_u32 v5, v21, 5, v12
	v_and_b32_e32 v17, 0x3e0, v21
	v_sub_co_u32 v29, s2, v114, 1
	s_wait_alu 0xfffd
	v_cndmask_b32_e64 v4, -1, 0x80000000, vcc_lo
	v_add_nc_u32_e32 v19, 36, v5
	v_add_nc_u32_e32 v20, 40, v5
	v_add_nc_u32_e32 v22, 44, v5
	v_add_nc_u32_e32 v23, 48, v5
	v_xor_b32_e32 v4, v4, v14
	v_add_nc_u32_e32 v14, 32, v5
	v_add_nc_u32_e32 v24, 52, v5
	;; [unrolled: 1-line block ×4, first 2 shown]
	v_min_u32_e32 v5, 0xe0, v17
	s_getpc_b64 s[0:1]
	s_wait_alu 0xfffe
	s_sext_i32_i16 s1, s1
	s_add_co_u32 s0, s0, _ZN7rocprim17ROCPRIM_400000_NS16block_radix_sortIfLj256ELj1ElLj1ELj1ELj8ELNS0_26block_radix_rank_algorithmE2ELNS0_18block_padding_hintE2ELNS0_4arch9wavefront6targetE0EE19radix_bits_per_passE@rel32@lo+12
	s_wait_alu 0xfffe
	s_add_co_ci_u32 s1, s1, _ZN7rocprim17ROCPRIM_400000_NS16block_radix_sortIfLj256ELj1ElLj1ELj1ELj8ELNS0_26block_radix_rank_algorithmE2ELNS0_18block_padding_hintE2ELNS0_4arch9wavefront6targetE0EE19radix_bits_per_passE@rel32@hi+24
	v_and_b32_e32 v18, 15, v114
	s_load_b32 s14, s[0:1], 0x0
	v_cmp_gt_i32_e64 s6, 0, v29
	v_or_b32_e32 v5, 31, v5
	v_or_b32_e32 v17, v114, v17
	v_cmp_eq_u32_e32 vcc_lo, 0, v18
	v_cmp_lt_u32_e64 s0, 1, v18
	v_cmp_lt_u32_e64 s1, 3, v18
	v_cmp_eq_u32_e64 s5, v21, v5
	v_lshrrev_b32_e32 v5, 3, v21
	v_cmp_lt_u32_e64 s3, 7, v18
	s_wait_alu 0xf1ff
	v_cndmask_b32_e64 v18, v29, v114, s6
	v_lshlrev_b32_e32 v17, 2, v17
	v_and_b32_e32 v28, 16, v114
	v_and_b32_e32 v5, 0x7c, v5
	v_lshrrev_b32_e32 v27, 5, v13
	v_lshlrev_b32_e32 v29, 2, v18
	v_and_b32_e32 v18, 7, v114
	v_add_nc_u32_e32 v31, v12, v17
	v_add_nc_u32_e32 v30, v12, v5
	v_cmp_eq_u32_e64 s4, 0, v28
	v_cmp_gt_u32_e64 s6, 8, v21
	v_cmp_lt_u32_e64 s7, 31, v21
	v_cmp_eq_u32_e64 s8, 0, v21
	v_mov_b32_e32 v5, 0
	v_lshl_add_u32 v28, v21, 2, v12
	v_cmp_eq_u32_e64 s9, 0, v18
	v_cmp_lt_u32_e64 s10, 1, v18
	v_cmp_lt_u32_e64 s11, 3, v18
	v_add_nc_u32_e32 v32, -4, v30
	v_add_nc_u32_e32 v33, v31, v17
	v_sub_nc_u32_e32 v34, v11, v10
	s_mov_b32 s15, 0
	s_wait_storecnt 0x0
	s_barrier_signal -1
	s_barrier_wait -1
	global_inv scope:SCOPE_SE
	s_branch .LBB1433_359
.LBB1433_358:                           ;   in Loop: Header=BB1433_359 Depth=1
	s_wait_alu 0xfffe
	s_or_b32 exec_lo, exec_lo, s13
	s_delay_alu instid0(SALU_CYCLE_1)
	s_and_b32 s12, exec_lo, s16
	s_wait_alu 0xfffe
	s_or_b32 s15, s12, s15
	s_wait_alu 0xfffe
	s_and_not1_b32 exec_lo, exec_lo, s15
	s_cbranch_execz .LBB1433_369
.LBB1433_359:                           ; =>This Inner Loop Header: Depth=1
	v_mov_b32_e32 v35, v4
	s_wait_kmcnt 0x0
	v_min_u32_e32 v17, s14, v34
	ds_store_b32 v14, v5
	ds_store_b32 v19, v5
	;; [unrolled: 1-line block ×6, first 2 shown]
	v_cmp_ne_u32_e64 s12, 0x7fffffff, v35
	ds_store_b32 v25, v5
	ds_store_b32 v26, v5
	s_wait_loadcnt_dscnt 0x0
	s_barrier_signal -1
	s_wait_alu 0xf1ff
	v_cndmask_b32_e64 v4, 0x80000000, v35, s12
	s_barrier_wait -1
	global_inv scope:SCOPE_SE
	; wave barrier
	v_lshrrev_b32_e32 v4, v10, v4
	s_delay_alu instid0(VALU_DEP_1) | instskip(NEXT) | instid1(VALU_DEP_1)
	v_bfe_u32 v4, v4, 0, v17
	v_and_b32_e32 v17, 1, v4
	v_lshlrev_b32_e32 v18, 30, v4
	v_lshlrev_b32_e32 v36, 29, v4
	;; [unrolled: 1-line block ×4, first 2 shown]
	v_add_co_u32 v17, s12, v17, -1
	s_wait_alu 0xf1ff
	v_cndmask_b32_e64 v38, 0, 1, s12
	v_not_b32_e32 v50, v18
	v_cmp_gt_i32_e64 s13, 0, v18
	v_not_b32_e32 v18, v36
	v_lshlrev_b32_e32 v48, 26, v4
	v_cmp_ne_u32_e64 s12, 0, v38
	v_ashrrev_i32_e32 v50, 31, v50
	v_lshlrev_b32_e32 v49, 25, v4
	v_ashrrev_i32_e32 v18, 31, v18
	v_lshlrev_b32_e32 v38, 24, v4
	s_wait_alu 0xf1ff
	v_xor_b32_e32 v17, s12, v17
	v_cmp_gt_i32_e64 s12, 0, v36
	v_not_b32_e32 v36, v37
	v_xor_b32_e32 v50, s13, v50
	v_cmp_gt_i32_e64 s13, 0, v37
	v_and_b32_e32 v17, exec_lo, v17
	v_not_b32_e32 v37, v39
	v_ashrrev_i32_e32 v36, 31, v36
	s_wait_alu 0xf1ff
	v_xor_b32_e32 v18, s12, v18
	v_cmp_gt_i32_e64 s12, 0, v39
	v_and_b32_e32 v17, v17, v50
	v_not_b32_e32 v39, v48
	v_ashrrev_i32_e32 v37, 31, v37
	v_xor_b32_e32 v36, s13, v36
	v_cmp_gt_i32_e64 s13, 0, v48
	v_and_b32_e32 v17, v17, v18
	v_not_b32_e32 v18, v49
	v_ashrrev_i32_e32 v39, 31, v39
	s_wait_alu 0xf1ff
	v_xor_b32_e32 v37, s12, v37
	v_cmp_gt_i32_e64 s12, 0, v49
	v_and_b32_e32 v17, v17, v36
	v_not_b32_e32 v36, v38
	v_ashrrev_i32_e32 v48, 31, v18
	v_xor_b32_e32 v39, s13, v39
	v_cmp_gt_i32_e64 s13, 0, v38
	v_and_b32_e32 v37, v17, v37
	v_dual_mov_b32 v18, v9 :: v_dual_mov_b32 v17, v8
	v_ashrrev_i32_e32 v8, 31, v36
	s_wait_alu 0xf1ff
	v_xor_b32_e32 v9, s12, v48
	v_and_b32_e32 v36, v37, v39
	v_lshl_add_u32 v4, v4, 3, v27
	v_xor_b32_e32 v8, s13, v8
	s_delay_alu instid0(VALU_DEP_3) | instskip(NEXT) | instid1(VALU_DEP_3)
	v_and_b32_e32 v9, v36, v9
	v_lshlrev_b64_e32 v[36:37], 2, v[4:5]
	s_delay_alu instid0(VALU_DEP_2) | instskip(NEXT) | instid1(VALU_DEP_2)
	v_and_b32_e32 v9, v9, v8
	v_add_co_u32 v8, null, v12, v36
	s_delay_alu instid0(VALU_DEP_2) | instskip(SKIP_1) | instid1(VALU_DEP_3)
	v_mbcnt_lo_u32_b32 v4, v9, 0
	v_cmp_ne_u32_e64 s13, 0, v9
	v_add_co_u32 v8, null, v8, 32
	s_delay_alu instid0(VALU_DEP_3)
	v_cmp_eq_u32_e64 s12, 0, v4
	s_and_b32 s13, s13, s12
	s_wait_alu 0xfffe
	s_and_saveexec_b32 s12, s13
; %bb.360:                              ;   in Loop: Header=BB1433_359 Depth=1
	v_bcnt_u32_b32 v9, v9, 0
	ds_store_b32 v8, v9
; %bb.361:                              ;   in Loop: Header=BB1433_359 Depth=1
	s_wait_alu 0xfffe
	s_or_b32 exec_lo, exec_lo, s12
	; wave barrier
	s_wait_loadcnt_dscnt 0x0
	s_barrier_signal -1
	s_barrier_wait -1
	global_inv scope:SCOPE_SE
	ds_load_b32 v36, v14
	ds_load_b32 v37, v19
	ds_load_b32 v38, v20
	ds_load_b32 v39, v22
	ds_load_b32 v48, v23
	ds_load_b32 v49, v24
	ds_load_b32 v9, v25
	ds_load_b32 v50, v26
	s_wait_dscnt 0x6
	v_add_nc_u32_e32 v51, v37, v36
	s_wait_dscnt 0x4
	s_delay_alu instid0(VALU_DEP_1) | instskip(SKIP_1) | instid1(VALU_DEP_1)
	v_add3_u32 v51, v51, v38, v39
	s_wait_dscnt 0x2
	v_add3_u32 v51, v51, v48, v49
	s_wait_dscnt 0x0
	s_delay_alu instid0(VALU_DEP_1) | instskip(NEXT) | instid1(VALU_DEP_1)
	v_add3_u32 v50, v51, v9, v50
	v_mov_b32_dpp v51, v50 row_shr:1 row_mask:0xf bank_mask:0xf
	s_wait_alu 0xfffd
	s_delay_alu instid0(VALU_DEP_1) | instskip(NEXT) | instid1(VALU_DEP_1)
	v_cndmask_b32_e64 v51, v51, 0, vcc_lo
	v_add_nc_u32_e32 v50, v51, v50
	s_delay_alu instid0(VALU_DEP_1) | instskip(NEXT) | instid1(VALU_DEP_1)
	v_mov_b32_dpp v51, v50 row_shr:2 row_mask:0xf bank_mask:0xf
	v_cndmask_b32_e64 v51, 0, v51, s0
	s_delay_alu instid0(VALU_DEP_1) | instskip(NEXT) | instid1(VALU_DEP_1)
	v_add_nc_u32_e32 v50, v50, v51
	v_mov_b32_dpp v51, v50 row_shr:4 row_mask:0xf bank_mask:0xf
	s_delay_alu instid0(VALU_DEP_1) | instskip(NEXT) | instid1(VALU_DEP_1)
	v_cndmask_b32_e64 v51, 0, v51, s1
	v_add_nc_u32_e32 v50, v50, v51
	s_delay_alu instid0(VALU_DEP_1) | instskip(NEXT) | instid1(VALU_DEP_1)
	v_mov_b32_dpp v51, v50 row_shr:8 row_mask:0xf bank_mask:0xf
	v_cndmask_b32_e64 v51, 0, v51, s3
	s_delay_alu instid0(VALU_DEP_1) | instskip(SKIP_3) | instid1(VALU_DEP_1)
	v_add_nc_u32_e32 v50, v50, v51
	ds_swizzle_b32 v51, v50 offset:swizzle(BROADCAST,32,15)
	s_wait_dscnt 0x0
	v_cndmask_b32_e64 v51, v51, 0, s4
	v_add_nc_u32_e32 v50, v50, v51
	s_and_saveexec_b32 s12, s5
; %bb.362:                              ;   in Loop: Header=BB1433_359 Depth=1
	ds_store_b32 v30, v50
; %bb.363:                              ;   in Loop: Header=BB1433_359 Depth=1
	s_wait_alu 0xfffe
	s_or_b32 exec_lo, exec_lo, s12
	s_wait_loadcnt_dscnt 0x0
	s_barrier_signal -1
	s_barrier_wait -1
	global_inv scope:SCOPE_SE
	s_and_saveexec_b32 s12, s6
	s_cbranch_execz .LBB1433_365
; %bb.364:                              ;   in Loop: Header=BB1433_359 Depth=1
	ds_load_b32 v51, v28
	s_wait_dscnt 0x0
	v_mov_b32_dpp v52, v51 row_shr:1 row_mask:0xf bank_mask:0xf
	s_delay_alu instid0(VALU_DEP_1) | instskip(NEXT) | instid1(VALU_DEP_1)
	v_cndmask_b32_e64 v52, v52, 0, s9
	v_add_nc_u32_e32 v51, v52, v51
	s_delay_alu instid0(VALU_DEP_1) | instskip(NEXT) | instid1(VALU_DEP_1)
	v_mov_b32_dpp v52, v51 row_shr:2 row_mask:0xf bank_mask:0xf
	v_cndmask_b32_e64 v52, 0, v52, s10
	s_delay_alu instid0(VALU_DEP_1) | instskip(NEXT) | instid1(VALU_DEP_1)
	v_add_nc_u32_e32 v51, v51, v52
	v_mov_b32_dpp v52, v51 row_shr:4 row_mask:0xf bank_mask:0xf
	s_delay_alu instid0(VALU_DEP_1) | instskip(NEXT) | instid1(VALU_DEP_1)
	v_cndmask_b32_e64 v52, 0, v52, s11
	v_add_nc_u32_e32 v51, v51, v52
	ds_store_b32 v28, v51
.LBB1433_365:                           ;   in Loop: Header=BB1433_359 Depth=1
	s_wait_alu 0xfffe
	s_or_b32 exec_lo, exec_lo, s12
	v_mov_b32_e32 v51, 0
	s_wait_loadcnt_dscnt 0x0
	s_barrier_signal -1
	s_barrier_wait -1
	global_inv scope:SCOPE_SE
	s_and_saveexec_b32 s12, s7
; %bb.366:                              ;   in Loop: Header=BB1433_359 Depth=1
	ds_load_b32 v51, v32
; %bb.367:                              ;   in Loop: Header=BB1433_359 Depth=1
	s_wait_alu 0xfffe
	s_or_b32 exec_lo, exec_lo, s12
	s_wait_dscnt 0x0
	v_add_nc_u32_e32 v50, v51, v50
	v_add_nc_u32_e32 v10, 8, v10
	s_mov_b32 s16, -1
	s_mov_b32 s13, exec_lo
	ds_bpermute_b32 v50, v29, v50
	s_wait_dscnt 0x0
	v_cndmask_b32_e64 v50, v50, v51, s2
	s_delay_alu instid0(VALU_DEP_1) | instskip(NEXT) | instid1(VALU_DEP_1)
	v_cndmask_b32_e64 v50, v50, 0, s8
	v_add_nc_u32_e32 v36, v50, v36
	s_delay_alu instid0(VALU_DEP_1) | instskip(SKIP_4) | instid1(VALU_DEP_1)
	v_add_nc_u32_e32 v37, v36, v37
	ds_store_b32 v14, v50
	ds_store_b32 v19, v36
	;; [unrolled: 1-line block ×3, first 2 shown]
	v_add_nc_u32_e32 v38, v37, v38
	v_add_nc_u32_e32 v39, v38, v39
	s_delay_alu instid0(VALU_DEP_1) | instskip(NEXT) | instid1(VALU_DEP_1)
	v_add_nc_u32_e32 v48, v39, v48
	v_add_nc_u32_e32 v49, v48, v49
	s_delay_alu instid0(VALU_DEP_1)
	v_add_nc_u32_e32 v9, v49, v9
	ds_store_b32 v22, v38
	ds_store_b32 v23, v39
	;; [unrolled: 1-line block ×5, first 2 shown]
	s_wait_loadcnt_dscnt 0x0
	s_barrier_signal -1
	s_barrier_wait -1
	global_inv scope:SCOPE_SE
	ds_load_b32 v8, v8
	s_wait_loadcnt_dscnt 0x0
	v_add_nc_u32_e32 v4, v8, v4
	s_delay_alu instid0(VALU_DEP_1) | instskip(NEXT) | instid1(VALU_DEP_1)
	v_lshlrev_b64_e32 v[8:9], 2, v[4:5]
                                        ; implicit-def: $vgpr4
	v_add_co_u32 v37, null, v12, v8
	s_delay_alu instid0(VALU_DEP_1)
	v_add_co_u32 v36, null, v37, v8
                                        ; implicit-def: $vgpr8_vgpr9
	v_cmpx_lt_u32_e64 v10, v11
	s_cbranch_execz .LBB1433_358
; %bb.368:                              ;   in Loop: Header=BB1433_359 Depth=1
	s_barrier_signal -1
	s_barrier_wait -1
	global_inv scope:SCOPE_SE
	ds_store_b32 v37, v35
	s_wait_loadcnt_dscnt 0x0
	s_barrier_signal -1
	s_barrier_wait -1
	global_inv scope:SCOPE_SE
	ds_load_b32 v4, v31
	s_wait_loadcnt_dscnt 0x0
	s_barrier_signal -1
	s_barrier_wait -1
	global_inv scope:SCOPE_SE
	ds_store_b64 v36, v[17:18]
	s_wait_loadcnt_dscnt 0x0
	s_barrier_signal -1
	s_barrier_wait -1
	global_inv scope:SCOPE_SE
	ds_load_b64 v[8:9], v33
	v_add_nc_u32_e32 v34, -8, v34
	s_xor_b32 s16, exec_lo, -1
	s_wait_loadcnt_dscnt 0x0
	s_barrier_signal -1
	s_barrier_wait -1
	global_inv scope:SCOPE_SE
	s_branch .LBB1433_358
.LBB1433_369:
	s_or_b32 exec_lo, exec_lo, s15
	v_lshl_add_u32 v4, v21, 3, v12
	s_barrier_signal -1
	s_barrier_wait -1
	s_wait_loadcnt 0x0
	global_inv scope:SCOPE_SE
	ds_store_b32 v37, v35
	s_wait_loadcnt_dscnt 0x0
	s_barrier_signal -1
	s_barrier_wait -1
	global_inv scope:SCOPE_SE
	ds_load_b32 v8, v28
	s_wait_loadcnt_dscnt 0x0
	s_barrier_signal -1
	s_barrier_wait -1
	global_inv scope:SCOPE_SE
	ds_store_b64 v36, v[17:18]
	s_wait_loadcnt_dscnt 0x0
	s_barrier_signal -1
	s_barrier_wait -1
	global_inv scope:SCOPE_SE
	ds_load_b64 v[4:5], v4
	s_mov_b32 s0, exec_lo
	s_wait_loadcnt_dscnt 0x0
	s_barrier_signal -1
	s_barrier_wait -1
	global_inv scope:SCOPE_SE
	v_cmpx_lt_u32_e64 v13, v119
	s_cbranch_execz .LBB1433_371
; %bb.370:
	v_mov_b32_e32 v14, 0
	v_add_co_u32 v2, vcc_lo, v2, v15
	s_wait_alu 0xfffd
	v_add_co_ci_u32_e64 v3, null, v3, v16, vcc_lo
	s_delay_alu instid0(VALU_DEP_3) | instskip(SKIP_3) | instid1(VALU_DEP_3)
	v_lshlrev_b64_e32 v[9:10], 2, v[13:14]
	v_cmp_lt_i32_e32 vcc_lo, -1, v8
	s_wait_alu 0xfffd
	v_cndmask_b32_e64 v11, 0x80000000, -1, vcc_lo
	v_add_co_u32 v2, vcc_lo, v2, v9
	s_wait_alu 0xfffd
	v_add_co_ci_u32_e64 v3, null, v3, v10, vcc_lo
	v_lshlrev_b64_e32 v[9:10], 3, v[13:14]
	v_add_co_u32 v0, vcc_lo, v6, v0
	s_wait_alu 0xfffd
	v_add_co_ci_u32_e64 v1, null, v7, v1, vcc_lo
	v_xor_b32_e32 v6, v11, v8
	s_delay_alu instid0(VALU_DEP_3) | instskip(SKIP_1) | instid1(VALU_DEP_3)
	v_add_co_u32 v0, vcc_lo, v0, v9
	s_wait_alu 0xfffd
	v_add_co_ci_u32_e64 v1, null, v1, v10, vcc_lo
	flat_store_b32 v[2:3], v6
	flat_store_b64 v[0:1], v[4:5]
.LBB1433_371:
	s_wait_alu 0xfffe
	s_or_b32 exec_lo, exec_lo, s0
.LBB1433_372:
	s_wait_alu 0xfffe
	s_or_b32 exec_lo, exec_lo, s18
	s_clause 0x17
	scratch_load_b32 v79, off, s32
	scratch_load_b32 v78, off, s32 offset:4
	scratch_load_b32 v77, off, s32 offset:8
	;; [unrolled: 1-line block ×23, first 2 shown]
	s_wait_loadcnt_dscnt 0x0
	s_setpc_b64 s[30:31]
.Lfunc_end1433:
	.size	_ZN7rocprim17ROCPRIM_400000_NS6detail40segmented_radix_sort_single_block_helperIflLj256ELj16ELb0EE4sortIPKfPfPKlPlEEbT_T0_T1_T2_jjjjRNS3_12storage_typeE, .Lfunc_end1433-_ZN7rocprim17ROCPRIM_400000_NS6detail40segmented_radix_sort_single_block_helperIflLj256ELj16ELb0EE4sortIPKfPfPKlPlEEbT_T0_T1_T2_jjjjRNS3_12storage_typeE
                                        ; -- End function
	.set .L_ZN7rocprim17ROCPRIM_400000_NS6detail40segmented_radix_sort_single_block_helperIflLj256ELj16ELb0EE4sortIPKfPfPKlPlEEbT_T0_T1_T2_jjjjRNS3_12storage_typeE.num_vgpr, 248
	.set .L_ZN7rocprim17ROCPRIM_400000_NS6detail40segmented_radix_sort_single_block_helperIflLj256ELj16ELb0EE4sortIPKfPfPKlPlEEbT_T0_T1_T2_jjjjRNS3_12storage_typeE.num_agpr, 0
	.set .L_ZN7rocprim17ROCPRIM_400000_NS6detail40segmented_radix_sort_single_block_helperIflLj256ELj16ELb0EE4sortIPKfPfPKlPlEEbT_T0_T1_T2_jjjjRNS3_12storage_typeE.numbered_sgpr, 33
	.set .L_ZN7rocprim17ROCPRIM_400000_NS6detail40segmented_radix_sort_single_block_helperIflLj256ELj16ELb0EE4sortIPKfPfPKlPlEEbT_T0_T1_T2_jjjjRNS3_12storage_typeE.num_named_barrier, 0
	.set .L_ZN7rocprim17ROCPRIM_400000_NS6detail40segmented_radix_sort_single_block_helperIflLj256ELj16ELb0EE4sortIPKfPfPKlPlEEbT_T0_T1_T2_jjjjRNS3_12storage_typeE.private_seg_size, 100
	.set .L_ZN7rocprim17ROCPRIM_400000_NS6detail40segmented_radix_sort_single_block_helperIflLj256ELj16ELb0EE4sortIPKfPfPKlPlEEbT_T0_T1_T2_jjjjRNS3_12storage_typeE.uses_vcc, 1
	.set .L_ZN7rocprim17ROCPRIM_400000_NS6detail40segmented_radix_sort_single_block_helperIflLj256ELj16ELb0EE4sortIPKfPfPKlPlEEbT_T0_T1_T2_jjjjRNS3_12storage_typeE.uses_flat_scratch, 1
	.set .L_ZN7rocprim17ROCPRIM_400000_NS6detail40segmented_radix_sort_single_block_helperIflLj256ELj16ELb0EE4sortIPKfPfPKlPlEEbT_T0_T1_T2_jjjjRNS3_12storage_typeE.has_dyn_sized_stack, 0
	.set .L_ZN7rocprim17ROCPRIM_400000_NS6detail40segmented_radix_sort_single_block_helperIflLj256ELj16ELb0EE4sortIPKfPfPKlPlEEbT_T0_T1_T2_jjjjRNS3_12storage_typeE.has_recursion, 0
	.set .L_ZN7rocprim17ROCPRIM_400000_NS6detail40segmented_radix_sort_single_block_helperIflLj256ELj16ELb0EE4sortIPKfPfPKlPlEEbT_T0_T1_T2_jjjjRNS3_12storage_typeE.has_indirect_call, 0
	.section	.AMDGPU.csdata,"",@progbits
; Function info:
; codeLenInByte = 33540
; TotalNumSgprs: 35
; NumVgprs: 248
; ScratchSize: 100
; MemoryBound: 1
	.section	.text._ZN7rocprim17ROCPRIM_400000_NS6detail17trampoline_kernelINS0_14default_configENS1_36segmented_radix_sort_config_selectorIflEEZNS1_25segmented_radix_sort_implIS3_Lb0EPKfPfPKlPlN2at6native12_GLOBAL__N_18offset_tEEE10hipError_tPvRmT1_PNSt15iterator_traitsISK_E10value_typeET2_T3_PNSL_ISQ_E10value_typeET4_jRbjT5_SW_jjP12ihipStream_tbEUlT_E_NS1_11comp_targetILNS1_3genE10ELNS1_11target_archE1201ELNS1_3gpuE5ELNS1_3repE0EEENS1_30default_config_static_selectorELNS0_4arch9wavefront6targetE0EEEvSK_,"axG",@progbits,_ZN7rocprim17ROCPRIM_400000_NS6detail17trampoline_kernelINS0_14default_configENS1_36segmented_radix_sort_config_selectorIflEEZNS1_25segmented_radix_sort_implIS3_Lb0EPKfPfPKlPlN2at6native12_GLOBAL__N_18offset_tEEE10hipError_tPvRmT1_PNSt15iterator_traitsISK_E10value_typeET2_T3_PNSL_ISQ_E10value_typeET4_jRbjT5_SW_jjP12ihipStream_tbEUlT_E_NS1_11comp_targetILNS1_3genE10ELNS1_11target_archE1201ELNS1_3gpuE5ELNS1_3repE0EEENS1_30default_config_static_selectorELNS0_4arch9wavefront6targetE0EEEvSK_,comdat
	.globl	_ZN7rocprim17ROCPRIM_400000_NS6detail17trampoline_kernelINS0_14default_configENS1_36segmented_radix_sort_config_selectorIflEEZNS1_25segmented_radix_sort_implIS3_Lb0EPKfPfPKlPlN2at6native12_GLOBAL__N_18offset_tEEE10hipError_tPvRmT1_PNSt15iterator_traitsISK_E10value_typeET2_T3_PNSL_ISQ_E10value_typeET4_jRbjT5_SW_jjP12ihipStream_tbEUlT_E_NS1_11comp_targetILNS1_3genE10ELNS1_11target_archE1201ELNS1_3gpuE5ELNS1_3repE0EEENS1_30default_config_static_selectorELNS0_4arch9wavefront6targetE0EEEvSK_ ; -- Begin function _ZN7rocprim17ROCPRIM_400000_NS6detail17trampoline_kernelINS0_14default_configENS1_36segmented_radix_sort_config_selectorIflEEZNS1_25segmented_radix_sort_implIS3_Lb0EPKfPfPKlPlN2at6native12_GLOBAL__N_18offset_tEEE10hipError_tPvRmT1_PNSt15iterator_traitsISK_E10value_typeET2_T3_PNSL_ISQ_E10value_typeET4_jRbjT5_SW_jjP12ihipStream_tbEUlT_E_NS1_11comp_targetILNS1_3genE10ELNS1_11target_archE1201ELNS1_3gpuE5ELNS1_3repE0EEENS1_30default_config_static_selectorELNS0_4arch9wavefront6targetE0EEEvSK_
	.p2align	8
	.type	_ZN7rocprim17ROCPRIM_400000_NS6detail17trampoline_kernelINS0_14default_configENS1_36segmented_radix_sort_config_selectorIflEEZNS1_25segmented_radix_sort_implIS3_Lb0EPKfPfPKlPlN2at6native12_GLOBAL__N_18offset_tEEE10hipError_tPvRmT1_PNSt15iterator_traitsISK_E10value_typeET2_T3_PNSL_ISQ_E10value_typeET4_jRbjT5_SW_jjP12ihipStream_tbEUlT_E_NS1_11comp_targetILNS1_3genE10ELNS1_11target_archE1201ELNS1_3gpuE5ELNS1_3repE0EEENS1_30default_config_static_selectorELNS0_4arch9wavefront6targetE0EEEvSK_,@function
_ZN7rocprim17ROCPRIM_400000_NS6detail17trampoline_kernelINS0_14default_configENS1_36segmented_radix_sort_config_selectorIflEEZNS1_25segmented_radix_sort_implIS3_Lb0EPKfPfPKlPlN2at6native12_GLOBAL__N_18offset_tEEE10hipError_tPvRmT1_PNSt15iterator_traitsISK_E10value_typeET2_T3_PNSL_ISQ_E10value_typeET4_jRbjT5_SW_jjP12ihipStream_tbEUlT_E_NS1_11comp_targetILNS1_3genE10ELNS1_11target_archE1201ELNS1_3gpuE5ELNS1_3repE0EEENS1_30default_config_static_selectorELNS0_4arch9wavefront6targetE0EEEvSK_: ; @_ZN7rocprim17ROCPRIM_400000_NS6detail17trampoline_kernelINS0_14default_configENS1_36segmented_radix_sort_config_selectorIflEEZNS1_25segmented_radix_sort_implIS3_Lb0EPKfPfPKlPlN2at6native12_GLOBAL__N_18offset_tEEE10hipError_tPvRmT1_PNSt15iterator_traitsISK_E10value_typeET2_T3_PNSL_ISQ_E10value_typeET4_jRbjT5_SW_jjP12ihipStream_tbEUlT_E_NS1_11comp_targetILNS1_3genE10ELNS1_11target_archE1201ELNS1_3gpuE5ELNS1_3repE0EEENS1_30default_config_static_selectorELNS0_4arch9wavefront6targetE0EEEvSK_
; %bb.0:
	s_clause 0x1
	s_load_b64 s[8:9], s[0:1], 0x38
	s_load_b128 s[4:7], s[0:1], 0x40
	s_mov_b32 s2, ttmp9
	s_mov_b32 s3, 0
	s_mov_b32 s32, 0
	s_lshl_b64 s[2:3], s[2:3], 2
	s_wait_kmcnt 0x0
	s_add_nc_u64 s[2:3], s[8:9], s[2:3]
	s_load_b32 s2, s[2:3], 0x0
	s_wait_kmcnt 0x0
	s_add_co_i32 s33, s2, s5
	s_add_co_i32 s51, s2, s7
	s_mul_i32 s33, s33, s4
	s_mul_i32 s51, s51, s6
	s_delay_alu instid0(SALU_CYCLE_1)
	s_cmp_le_u32 s51, s33
	s_cbranch_scc1 .LBB1434_1182
; %bb.1:
	s_clause 0x3
	s_load_b32 s2, s[0:1], 0x30
	s_load_b128 s[44:47], s[0:1], 0x20
	s_load_b96 s[48:50], s[0:1], 0x50
	s_load_b256 s[36:43], s[0:1], 0x0
	s_wait_kmcnt 0x0
	s_bitcmp1_b32 s2, 0
	s_mov_b32 s2, -1
	s_cselect_b32 s52, -1, 0
	s_sub_co_i32 s53, s51, s33
	s_delay_alu instid0(SALU_CYCLE_1)
	s_cmp_lt_u32 s53, 0x1001
	s_cbranch_scc0 .LBB1434_7
; %bb.2:
	v_cndmask_b32_e64 v1, 0, 1, s52
	s_and_b32 s2, s48, 1
	s_delay_alu instid0(VALU_DEP_1) | instid1(SALU_CYCLE_1)
	v_cmp_ne_u32_e32 vcc_lo, s2, v1
	s_mov_b32 s2, -1
	s_cbranch_vccnz .LBB1434_4
; %bb.3:
	s_mov_b64 s[2:3], src_shared_base
	v_dual_mov_b32 v31, v0 :: v_dual_mov_b32 v40, v0
	v_dual_mov_b32 v0, s36 :: v_dual_mov_b32 v1, s37
	;; [unrolled: 1-line block ×7, first 2 shown]
	s_wait_alu 0xfffe
	v_dual_mov_b32 v12, 0 :: v_dual_mov_b32 v13, s3
	s_add_nc_u64 s[8:9], s[0:1], 0x60
	s_getpc_b64 s[4:5]
	s_sext_i32_i16 s5, s5
	s_add_co_u32 s4, s4, _ZN7rocprim17ROCPRIM_400000_NS6detail40segmented_radix_sort_single_block_helperIflLj256ELj16ELb0EE4sortIPKfPfPKlPlEEbT_T0_T1_T2_jjjjRNS3_12storage_typeE@rel32@lo+8
	s_add_co_ci_u32 s5, s5, _ZN7rocprim17ROCPRIM_400000_NS6detail40segmented_radix_sort_single_block_helperIflLj256ELj16ELb0EE4sortIPKfPfPKlPlEEbT_T0_T1_T2_jjjjRNS3_12storage_typeE@rel32@hi+16
	s_mov_b64 s[22:23], s[0:1]
	s_swappc_b64 s[30:31], s[4:5]
	v_mov_b32_e32 v0, v40
	s_mov_b64 s[0:1], s[22:23]
	s_mov_b32 s2, 0
.LBB1434_4:
	s_wait_alu 0xfffe
	s_and_not1_b32 vcc_lo, exec_lo, s2
	s_wait_alu 0xfffe
	s_cbranch_vccnz .LBB1434_6
; %bb.5:
	s_mov_b64 s[2:3], src_shared_base
	v_dual_mov_b32 v31, v0 :: v_dual_mov_b32 v40, v0
	v_dual_mov_b32 v0, s36 :: v_dual_mov_b32 v1, s37
	;; [unrolled: 1-line block ×7, first 2 shown]
	s_wait_alu 0xfffe
	v_dual_mov_b32 v12, 0 :: v_dual_mov_b32 v13, s3
	s_add_nc_u64 s[8:9], s[0:1], 0x60
	s_getpc_b64 s[4:5]
	s_wait_alu 0xfffe
	s_sext_i32_i16 s5, s5
	s_add_co_u32 s4, s4, _ZN7rocprim17ROCPRIM_400000_NS6detail40segmented_radix_sort_single_block_helperIflLj256ELj16ELb0EE4sortIPKfPfPKlPlEEbT_T0_T1_T2_jjjjRNS3_12storage_typeE@rel32@lo+12
	s_wait_alu 0xfffe
	s_add_co_ci_u32 s5, s5, _ZN7rocprim17ROCPRIM_400000_NS6detail40segmented_radix_sort_single_block_helperIflLj256ELj16ELb0EE4sortIPKfPfPKlPlEEbT_T0_T1_T2_jjjjRNS3_12storage_typeE@rel32@hi+24
	s_mov_b64 s[22:23], s[0:1]
	s_wait_alu 0xfffe
	s_swappc_b64 s[30:31], s[4:5]
	v_mov_b32_e32 v0, v40
	s_mov_b64 s[0:1], s[22:23]
.LBB1434_6:
	s_mov_b32 s2, 0
.LBB1434_7:
	s_wait_alu 0xfffe
	s_and_not1_b32 vcc_lo, exec_lo, s2
	s_wait_alu 0xfffe
	s_cbranch_vccnz .LBB1434_1182
; %bb.8:
	s_cmp_ge_u32 s49, s50
	s_cbranch_scc1 .LBB1434_1182
; %bb.9:
	v_dual_mov_b32 v84, 1 :: v_dual_and_b32 v1, 0x3ff, v0
	v_dual_mov_b32 v3, 0 :: v_dual_and_b32 v2, 3, v0
	v_lshrrev_b32_e32 v4, 3, v0
	s_delay_alu instid0(VALU_DEP_3)
	v_lshlrev_b32_e32 v44, 2, v1
	v_mbcnt_lo_u32_b32 v81, -1, 0
	v_or_b32_e32 v45, 0x100, v1
	v_lshlrev_b32_e32 v62, 2, v2
	v_or_b32_e32 v2, 31, v1
	v_and_b32_e32 v63, 28, v4
	v_lshlrev_b32_e32 v4, 4, v1
	v_mad_u32_u24 v64, v1, 12, v44
	v_lshlrev_b32_e32 v91, 3, v81
	v_cmp_eq_u32_e64 s3, v1, v2
	v_lshlrev_b32_e32 v2, 5, v1
	v_and_b32_e32 v4, 0xe00, v4
	v_mad_u32_u24 v67, v1, 20, v64
	v_lshlrev_b32_e32 v107, 2, v81
	v_add_co_u32 v48, s2, s40, v44
	s_delay_alu instid0(VALU_DEP_4) | instskip(NEXT) | instid1(VALU_DEP_4)
	v_lshlrev_b32_e32 v5, 2, v4
	v_sub_nc_u32_e32 v70, v67, v2
	v_lshlrev_b32_e32 v2, 3, v4
	v_or_b32_e32 v88, v81, v4
	v_or_b32_e32 v46, 0x200, v1
	v_or_b32_e32 v47, 0x300, v1
	s_wait_alu 0xf1ff
	v_add_co_ci_u32_e64 v49, null, s41, 0, s2
	v_add_co_u32 v6, s8, s46, v2
	s_wait_alu 0xf1ff
	v_add_co_ci_u32_e64 v7, null, s47, 0, s8
	v_add_co_u32 v8, s8, s40, v5
	;; [unrolled: 3-line block ×7, first 2 shown]
	v_add_co_u32 v109, vcc_lo, v6, v91
	s_wait_alu 0xf1ff
	v_add_co_ci_u32_e64 v80, null, s43, 0, s8
	v_add_co_u32 v82, s8, s36, v5
	s_wait_alu 0xfffd
	v_add_co_ci_u32_e64 v110, null, 0, v7, vcc_lo
	v_add_co_u32 v111, vcc_lo, v8, v107
	v_or_b32_e32 v50, 0x400, v1
	v_or_b32_e32 v51, 0x500, v1
	v_or_b32_e32 v52, 0x600, v1
	v_or_b32_e32 v53, 0x700, v1
	v_or_b32_e32 v54, 0x800, v1
	v_or_b32_e32 v55, 0x900, v1
	v_or_b32_e32 v56, 0xa00, v1
	v_or_b32_e32 v57, 0xb00, v1
	v_or_b32_e32 v58, 0xc00, v1
	v_or_b32_e32 v59, 0xd00, v1
	v_or_b32_e32 v60, 0xe00, v1
	v_or_b32_e32 v61, 0xf00, v1
	v_cmp_gt_u32_e64 s2, 0x100, v1
	v_or_b32_e32 v65, 0x8400, v63
	v_cmp_gt_u32_e64 s4, 8, v1
	v_add_nc_u32_e32 v66, 0x8400, v44
	v_cmp_lt_u32_e64 s5, 31, v1
	v_add_nc_u32_e32 v68, 0x83fc, v63
	v_bfe_u32 v69, v0, 20, 10
	v_bfe_u32 v0, v0, 10, 10
	v_cmp_eq_u32_e64 s6, 0, v1
	v_cmp_ne_u32_e64 s7, 0xff, v1
	s_wait_alu 0xf1ff
	v_add_co_ci_u32_e64 v83, null, s37, 0, s8
	v_and_b32_e32 v85, 15, v81
	v_bfe_i32 v86, v81, 4, 1
	v_and_b32_e32 v87, 16, v81
	v_and_b32_e32 v89, 7, v81
	v_sub_co_u32 v90, s8, v81, 1
	v_or_b32_e32 v92, 32, v88
	v_or_b32_e32 v93, 64, v88
	;; [unrolled: 1-line block ×15, first 2 shown]
	v_lshlrev_b32_e32 v108, 2, v1
	s_wait_alu 0xfffd
	v_add_co_ci_u32_e64 v112, null, 0, v9, vcc_lo
	s_add_nc_u64 s[34:35], s[0:1], 0x60
	s_mov_b32 s43, 0
	s_mov_b32 s31, s49
	s_branch .LBB1434_12
.LBB1434_10:                            ;   in Loop: Header=BB1434_12 Depth=1
	s_wait_loadcnt_dscnt 0x0
	s_barrier_signal -1
	s_barrier_wait -1
.LBB1434_11:                            ;   in Loop: Header=BB1434_12 Depth=1
	s_add_co_i32 s31, s31, 8
	global_inv scope:SCOPE_SE
	s_wait_alu 0xfffe
	s_cmp_ge_u32 s31, s50
	s_cbranch_scc1 .LBB1434_1182
.LBB1434_12:                            ; =>This Loop Header: Depth=1
                                        ;     Child Loop BB1434_16 Depth 2
                                        ;     Child Loop BB1434_96 Depth 2
	;; [unrolled: 1-line block ×8, first 2 shown]
	s_wait_alu 0xfffe
	s_sub_co_i32 s0, s50, s31
	s_xor_b32 s52, s52, -1
	s_wait_alu 0xfffe
	s_min_u32 s0, s0, 8
	ds_store_2addr_stride64_b32 v44, v3, v3 offset1:4
	s_wait_alu 0xfffe
	s_lshl_b32 s0, -1, s0
	ds_store_2addr_stride64_b32 v44, v3, v3 offset0:8 offset1:12
	s_wait_alu 0xfffe
	s_not_b32 s48, s0
	s_cmp_lg_u32 s31, s49
	s_mov_b32 s0, -1
	s_wait_storecnt_dscnt 0x0
	s_cbranch_scc0 .LBB1434_598
; %bb.13:                               ;   in Loop: Header=BB1434_12 Depth=1
	s_and_b32 vcc_lo, exec_lo, s52
	s_wait_alu 0xfffe
	s_cbranch_vccz .LBB1434_305
; %bb.14:                               ;   in Loop: Header=BB1434_12 Depth=1
	s_mov_b32 s9, s53
	s_mov_b32 s42, s33
	s_barrier_signal -1
	s_barrier_wait -1
	global_inv scope:SCOPE_SE
                                        ; implicit-def: $vgpr2
                                        ; implicit-def: $vgpr4
                                        ; implicit-def: $vgpr5
                                        ; implicit-def: $vgpr6
                                        ; implicit-def: $vgpr7
                                        ; implicit-def: $vgpr8
                                        ; implicit-def: $vgpr9
                                        ; implicit-def: $vgpr10
                                        ; implicit-def: $vgpr11
                                        ; implicit-def: $vgpr12
                                        ; implicit-def: $vgpr13
                                        ; implicit-def: $vgpr14
                                        ; implicit-def: $vgpr15
                                        ; implicit-def: $vgpr16
                                        ; implicit-def: $vgpr17
                                        ; implicit-def: $vgpr18
	s_branch .LBB1434_16
.LBB1434_15:                            ;   in Loop: Header=BB1434_16 Depth=2
	s_wait_alu 0xfffe
	s_or_b32 exec_lo, exec_lo, s0
	s_addk_co_i32 s9, 0xf000
	s_cmp_ge_u32 s10, s51
	s_mov_b32 s42, s10
	s_cbranch_scc1 .LBB1434_84
.LBB1434_16:                            ;   Parent Loop BB1434_12 Depth=1
                                        ; =>  This Inner Loop Header: Depth=2
	s_wait_alu 0xfffe
	s_add_co_i32 s10, s42, 0x1000
	s_mov_b32 s0, -1
	s_wait_alu 0xfffe
	s_cmp_gt_u32 s10, s51
                                        ; implicit-def: $vgpr19
                                        ; implicit-def: $vgpr20
                                        ; implicit-def: $vgpr21
                                        ; implicit-def: $vgpr22
                                        ; implicit-def: $vgpr23
                                        ; implicit-def: $vgpr24
                                        ; implicit-def: $vgpr25
                                        ; implicit-def: $vgpr26
                                        ; implicit-def: $vgpr27
                                        ; implicit-def: $vgpr28
                                        ; implicit-def: $vgpr29
                                        ; implicit-def: $vgpr30
                                        ; implicit-def: $vgpr31
                                        ; implicit-def: $vgpr32
                                        ; implicit-def: $vgpr33
                                        ; implicit-def: $vgpr34
	s_cbranch_scc1 .LBB1434_18
; %bb.17:                               ;   in Loop: Header=BB1434_16 Depth=2
	s_lshl_b64 s[0:1], s[42:43], 2
	s_wait_alu 0xfffe
	v_add_co_u32 v34, vcc_lo, v48, s0
	s_wait_alu 0xfffd
	v_add_co_ci_u32_e64 v35, null, s1, v49, vcc_lo
	s_mov_b32 s0, 0
	s_clause 0xf
	global_load_b32 v19, v[34:35], off
	global_load_b32 v20, v[34:35], off offset:1024
	global_load_b32 v21, v[34:35], off offset:2048
	;; [unrolled: 1-line block ×15, first 2 shown]
.LBB1434_18:                            ;   in Loop: Header=BB1434_16 Depth=2
	s_wait_alu 0xfffe
	s_and_not1_b32 vcc_lo, exec_lo, s0
	s_movk_i32 s0, 0x1000
	s_wait_alu 0xfffe
	s_cbranch_vccnz .LBB1434_37
; %bb.19:                               ;   in Loop: Header=BB1434_16 Depth=2
	s_lshl_b64 s[0:1], s[42:43], 2
	s_mov_b32 s11, exec_lo
	s_wait_alu 0xfffe
	s_add_nc_u64 s[0:1], s[40:41], s[0:1]
	v_cmpx_gt_u32_e64 s9, v1
	s_cbranch_execnz .LBB1434_69
; %bb.20:                               ;   in Loop: Header=BB1434_16 Depth=2
	s_or_b32 exec_lo, exec_lo, s11
	s_delay_alu instid0(SALU_CYCLE_1)
	s_mov_b32 s11, exec_lo
	v_cmpx_gt_u32_e64 s9, v45
	s_cbranch_execnz .LBB1434_70
.LBB1434_21:                            ;   in Loop: Header=BB1434_16 Depth=2
	s_wait_alu 0xfffe
	s_or_b32 exec_lo, exec_lo, s11
	s_delay_alu instid0(SALU_CYCLE_1)
	s_mov_b32 s11, exec_lo
	v_cmpx_gt_u32_e64 s9, v46
	s_cbranch_execnz .LBB1434_71
.LBB1434_22:                            ;   in Loop: Header=BB1434_16 Depth=2
	s_wait_alu 0xfffe
	s_or_b32 exec_lo, exec_lo, s11
	s_delay_alu instid0(SALU_CYCLE_1)
	s_mov_b32 s11, exec_lo
	v_cmpx_gt_u32_e64 s9, v47
	s_cbranch_execnz .LBB1434_72
.LBB1434_23:                            ;   in Loop: Header=BB1434_16 Depth=2
	s_wait_alu 0xfffe
	s_or_b32 exec_lo, exec_lo, s11
	s_delay_alu instid0(SALU_CYCLE_1)
	s_mov_b32 s11, exec_lo
	v_cmpx_gt_u32_e64 s9, v50
	s_cbranch_execnz .LBB1434_73
.LBB1434_24:                            ;   in Loop: Header=BB1434_16 Depth=2
	s_wait_alu 0xfffe
	s_or_b32 exec_lo, exec_lo, s11
	s_delay_alu instid0(SALU_CYCLE_1)
	s_mov_b32 s11, exec_lo
	v_cmpx_gt_u32_e64 s9, v51
	s_cbranch_execnz .LBB1434_74
.LBB1434_25:                            ;   in Loop: Header=BB1434_16 Depth=2
	s_wait_alu 0xfffe
	s_or_b32 exec_lo, exec_lo, s11
	s_delay_alu instid0(SALU_CYCLE_1)
	s_mov_b32 s11, exec_lo
	v_cmpx_gt_u32_e64 s9, v52
	s_cbranch_execnz .LBB1434_75
.LBB1434_26:                            ;   in Loop: Header=BB1434_16 Depth=2
	s_wait_alu 0xfffe
	s_or_b32 exec_lo, exec_lo, s11
	s_delay_alu instid0(SALU_CYCLE_1)
	s_mov_b32 s11, exec_lo
	v_cmpx_gt_u32_e64 s9, v53
	s_cbranch_execnz .LBB1434_76
.LBB1434_27:                            ;   in Loop: Header=BB1434_16 Depth=2
	s_wait_alu 0xfffe
	s_or_b32 exec_lo, exec_lo, s11
	s_delay_alu instid0(SALU_CYCLE_1)
	s_mov_b32 s11, exec_lo
	v_cmpx_gt_u32_e64 s9, v54
	s_cbranch_execnz .LBB1434_77
.LBB1434_28:                            ;   in Loop: Header=BB1434_16 Depth=2
	s_wait_alu 0xfffe
	s_or_b32 exec_lo, exec_lo, s11
	s_delay_alu instid0(SALU_CYCLE_1)
	s_mov_b32 s11, exec_lo
	v_cmpx_gt_u32_e64 s9, v55
	s_cbranch_execnz .LBB1434_78
.LBB1434_29:                            ;   in Loop: Header=BB1434_16 Depth=2
	s_wait_alu 0xfffe
	s_or_b32 exec_lo, exec_lo, s11
	s_delay_alu instid0(SALU_CYCLE_1)
	s_mov_b32 s11, exec_lo
	v_cmpx_gt_u32_e64 s9, v56
	s_cbranch_execnz .LBB1434_79
.LBB1434_30:                            ;   in Loop: Header=BB1434_16 Depth=2
	s_wait_alu 0xfffe
	s_or_b32 exec_lo, exec_lo, s11
	s_delay_alu instid0(SALU_CYCLE_1)
	s_mov_b32 s11, exec_lo
	v_cmpx_gt_u32_e64 s9, v57
	s_cbranch_execnz .LBB1434_80
.LBB1434_31:                            ;   in Loop: Header=BB1434_16 Depth=2
	s_wait_alu 0xfffe
	s_or_b32 exec_lo, exec_lo, s11
	s_delay_alu instid0(SALU_CYCLE_1)
	s_mov_b32 s11, exec_lo
	v_cmpx_gt_u32_e64 s9, v58
	s_cbranch_execnz .LBB1434_81
.LBB1434_32:                            ;   in Loop: Header=BB1434_16 Depth=2
	s_wait_alu 0xfffe
	s_or_b32 exec_lo, exec_lo, s11
	s_delay_alu instid0(SALU_CYCLE_1)
	s_mov_b32 s11, exec_lo
	v_cmpx_gt_u32_e64 s9, v59
	s_cbranch_execnz .LBB1434_82
.LBB1434_33:                            ;   in Loop: Header=BB1434_16 Depth=2
	s_wait_alu 0xfffe
	s_or_b32 exec_lo, exec_lo, s11
	s_delay_alu instid0(SALU_CYCLE_1)
	s_mov_b32 s11, exec_lo
	v_cmpx_gt_u32_e64 s9, v60
	s_cbranch_execnz .LBB1434_83
.LBB1434_34:                            ;   in Loop: Header=BB1434_16 Depth=2
	s_wait_alu 0xfffe
	s_or_b32 exec_lo, exec_lo, s11
	s_delay_alu instid0(SALU_CYCLE_1)
	s_mov_b32 s11, exec_lo
	v_cmpx_gt_u32_e64 s9, v61
	s_cbranch_execz .LBB1434_36
.LBB1434_35:                            ;   in Loop: Header=BB1434_16 Depth=2
	global_load_b32 v2, v108, s[0:1] offset:15360
.LBB1434_36:                            ;   in Loop: Header=BB1434_16 Depth=2
	s_wait_alu 0xfffe
	s_or_b32 exec_lo, exec_lo, s11
	s_wait_loadcnt 0x0
	v_dual_mov_b32 v19, v18 :: v_dual_mov_b32 v20, v17
	v_dual_mov_b32 v21, v16 :: v_dual_mov_b32 v22, v15
	v_dual_mov_b32 v23, v14 :: v_dual_mov_b32 v24, v13
	v_dual_mov_b32 v25, v12 :: v_dual_mov_b32 v26, v11
	v_dual_mov_b32 v27, v10 :: v_dual_mov_b32 v28, v9
	v_dual_mov_b32 v29, v8 :: v_dual_mov_b32 v30, v7
	v_dual_mov_b32 v31, v6 :: v_dual_mov_b32 v32, v5
	v_dual_mov_b32 v33, v4 :: v_dual_mov_b32 v34, v2
	s_mov_b32 s0, s9
.LBB1434_37:                            ;   in Loop: Header=BB1434_16 Depth=2
	s_wait_loadcnt 0x0
	s_delay_alu instid0(VALU_DEP_1) | instskip(NEXT) | instid1(VALU_DEP_2)
	v_dual_mov_b32 v2, v34 :: v_dual_mov_b32 v5, v32
	v_dual_mov_b32 v4, v33 :: v_dual_mov_b32 v7, v30
	;; [unrolled: 1-line block ×7, first 2 shown]
	v_mov_b32_e32 v16, v21
	v_mov_b32_e32 v18, v19
	s_mov_b32 s1, exec_lo
	s_wait_alu 0xfffe
	v_cmpx_gt_u32_e64 s0, v1
	s_cbranch_execnz .LBB1434_53
; %bb.38:                               ;   in Loop: Header=BB1434_16 Depth=2
	s_or_b32 exec_lo, exec_lo, s1
	s_delay_alu instid0(SALU_CYCLE_1)
	s_mov_b32 s1, exec_lo
	v_cmpx_gt_u32_e64 s0, v45
	s_cbranch_execnz .LBB1434_54
.LBB1434_39:                            ;   in Loop: Header=BB1434_16 Depth=2
	s_wait_alu 0xfffe
	s_or_b32 exec_lo, exec_lo, s1
	s_delay_alu instid0(SALU_CYCLE_1)
	s_mov_b32 s1, exec_lo
	v_cmpx_gt_u32_e64 s0, v46
	s_cbranch_execnz .LBB1434_55
.LBB1434_40:                            ;   in Loop: Header=BB1434_16 Depth=2
	s_wait_alu 0xfffe
	s_or_b32 exec_lo, exec_lo, s1
	s_delay_alu instid0(SALU_CYCLE_1)
	s_mov_b32 s1, exec_lo
	v_cmpx_gt_u32_e64 s0, v47
	s_cbranch_execnz .LBB1434_56
.LBB1434_41:                            ;   in Loop: Header=BB1434_16 Depth=2
	s_wait_alu 0xfffe
	s_or_b32 exec_lo, exec_lo, s1
	s_delay_alu instid0(SALU_CYCLE_1)
	s_mov_b32 s1, exec_lo
	v_cmpx_gt_u32_e64 s0, v50
	s_cbranch_execnz .LBB1434_57
.LBB1434_42:                            ;   in Loop: Header=BB1434_16 Depth=2
	s_wait_alu 0xfffe
	s_or_b32 exec_lo, exec_lo, s1
	s_delay_alu instid0(SALU_CYCLE_1)
	s_mov_b32 s1, exec_lo
	v_cmpx_gt_u32_e64 s0, v51
	s_cbranch_execnz .LBB1434_58
.LBB1434_43:                            ;   in Loop: Header=BB1434_16 Depth=2
	s_wait_alu 0xfffe
	s_or_b32 exec_lo, exec_lo, s1
	s_delay_alu instid0(SALU_CYCLE_1)
	s_mov_b32 s1, exec_lo
	v_cmpx_gt_u32_e64 s0, v52
	s_cbranch_execnz .LBB1434_59
.LBB1434_44:                            ;   in Loop: Header=BB1434_16 Depth=2
	s_wait_alu 0xfffe
	s_or_b32 exec_lo, exec_lo, s1
	s_delay_alu instid0(SALU_CYCLE_1)
	s_mov_b32 s1, exec_lo
	v_cmpx_gt_u32_e64 s0, v53
	s_cbranch_execnz .LBB1434_60
.LBB1434_45:                            ;   in Loop: Header=BB1434_16 Depth=2
	s_wait_alu 0xfffe
	s_or_b32 exec_lo, exec_lo, s1
	s_delay_alu instid0(SALU_CYCLE_1)
	s_mov_b32 s1, exec_lo
	v_cmpx_gt_u32_e64 s0, v54
	s_cbranch_execnz .LBB1434_61
.LBB1434_46:                            ;   in Loop: Header=BB1434_16 Depth=2
	s_wait_alu 0xfffe
	s_or_b32 exec_lo, exec_lo, s1
	s_delay_alu instid0(SALU_CYCLE_1)
	s_mov_b32 s1, exec_lo
	v_cmpx_gt_u32_e64 s0, v55
	s_cbranch_execnz .LBB1434_62
.LBB1434_47:                            ;   in Loop: Header=BB1434_16 Depth=2
	s_wait_alu 0xfffe
	s_or_b32 exec_lo, exec_lo, s1
	s_delay_alu instid0(SALU_CYCLE_1)
	s_mov_b32 s1, exec_lo
	v_cmpx_gt_u32_e64 s0, v56
	s_cbranch_execnz .LBB1434_63
.LBB1434_48:                            ;   in Loop: Header=BB1434_16 Depth=2
	s_wait_alu 0xfffe
	s_or_b32 exec_lo, exec_lo, s1
	s_delay_alu instid0(SALU_CYCLE_1)
	s_mov_b32 s1, exec_lo
	v_cmpx_gt_u32_e64 s0, v57
	s_cbranch_execnz .LBB1434_64
.LBB1434_49:                            ;   in Loop: Header=BB1434_16 Depth=2
	s_wait_alu 0xfffe
	s_or_b32 exec_lo, exec_lo, s1
	s_delay_alu instid0(SALU_CYCLE_1)
	s_mov_b32 s1, exec_lo
	v_cmpx_gt_u32_e64 s0, v58
	s_cbranch_execnz .LBB1434_65
.LBB1434_50:                            ;   in Loop: Header=BB1434_16 Depth=2
	s_wait_alu 0xfffe
	s_or_b32 exec_lo, exec_lo, s1
	s_delay_alu instid0(SALU_CYCLE_1)
	s_mov_b32 s1, exec_lo
	v_cmpx_gt_u32_e64 s0, v59
	s_cbranch_execnz .LBB1434_66
.LBB1434_51:                            ;   in Loop: Header=BB1434_16 Depth=2
	s_wait_alu 0xfffe
	s_or_b32 exec_lo, exec_lo, s1
	s_delay_alu instid0(SALU_CYCLE_1)
	s_mov_b32 s1, exec_lo
	v_cmpx_gt_u32_e64 s0, v60
	s_cbranch_execnz .LBB1434_67
.LBB1434_52:                            ;   in Loop: Header=BB1434_16 Depth=2
	s_wait_alu 0xfffe
	s_or_b32 exec_lo, exec_lo, s1
	v_cmp_gt_u32_e32 vcc_lo, s0, v61
	s_and_saveexec_b32 s0, vcc_lo
	s_cbranch_execz .LBB1434_15
	s_branch .LBB1434_68
.LBB1434_53:                            ;   in Loop: Header=BB1434_16 Depth=2
	v_cmp_lt_i32_e32 vcc_lo, -1, v18
	s_wait_alu 0xfffd
	v_cndmask_b32_e64 v19, -1, 0x80000000, vcc_lo
	s_delay_alu instid0(VALU_DEP_1) | instskip(NEXT) | instid1(VALU_DEP_1)
	v_xor_b32_e32 v19, v19, v18
	v_cmp_ne_u32_e32 vcc_lo, 0x7fffffff, v19
	s_wait_alu 0xfffd
	v_cndmask_b32_e32 v19, 0x80000000, v19, vcc_lo
	s_delay_alu instid0(VALU_DEP_1) | instskip(NEXT) | instid1(VALU_DEP_1)
	v_lshrrev_b32_e32 v19, s31, v19
	v_and_b32_e32 v19, s48, v19
	s_delay_alu instid0(VALU_DEP_1) | instskip(SKIP_2) | instid1(SALU_CYCLE_1)
	v_lshl_or_b32 v19, v19, 4, v62
	ds_add_u32 v19, v84
	s_or_b32 exec_lo, exec_lo, s1
	s_mov_b32 s1, exec_lo
	v_cmpx_gt_u32_e64 s0, v45
	s_cbranch_execz .LBB1434_39
.LBB1434_54:                            ;   in Loop: Header=BB1434_16 Depth=2
	v_cmp_lt_i32_e32 vcc_lo, -1, v17
	s_wait_alu 0xfffd
	v_cndmask_b32_e64 v19, -1, 0x80000000, vcc_lo
	s_delay_alu instid0(VALU_DEP_1) | instskip(NEXT) | instid1(VALU_DEP_1)
	v_xor_b32_e32 v19, v19, v17
	v_cmp_ne_u32_e32 vcc_lo, 0x7fffffff, v19
	s_wait_alu 0xfffd
	v_cndmask_b32_e32 v19, 0x80000000, v19, vcc_lo
	s_delay_alu instid0(VALU_DEP_1) | instskip(NEXT) | instid1(VALU_DEP_1)
	v_lshrrev_b32_e32 v19, s31, v19
	v_and_b32_e32 v19, s48, v19
	s_delay_alu instid0(VALU_DEP_1) | instskip(SKIP_3) | instid1(SALU_CYCLE_1)
	v_lshl_or_b32 v19, v19, 4, v62
	ds_add_u32 v19, v84
	s_wait_alu 0xfffe
	s_or_b32 exec_lo, exec_lo, s1
	s_mov_b32 s1, exec_lo
	v_cmpx_gt_u32_e64 s0, v46
	s_cbranch_execz .LBB1434_40
.LBB1434_55:                            ;   in Loop: Header=BB1434_16 Depth=2
	v_cmp_lt_i32_e32 vcc_lo, -1, v16
	s_wait_alu 0xfffd
	v_cndmask_b32_e64 v19, -1, 0x80000000, vcc_lo
	s_delay_alu instid0(VALU_DEP_1) | instskip(NEXT) | instid1(VALU_DEP_1)
	v_xor_b32_e32 v19, v19, v16
	v_cmp_ne_u32_e32 vcc_lo, 0x7fffffff, v19
	s_wait_alu 0xfffd
	v_cndmask_b32_e32 v19, 0x80000000, v19, vcc_lo
	s_delay_alu instid0(VALU_DEP_1) | instskip(NEXT) | instid1(VALU_DEP_1)
	v_lshrrev_b32_e32 v19, s31, v19
	v_and_b32_e32 v19, s48, v19
	s_delay_alu instid0(VALU_DEP_1) | instskip(SKIP_3) | instid1(SALU_CYCLE_1)
	v_lshl_or_b32 v19, v19, 4, v62
	ds_add_u32 v19, v84
	s_wait_alu 0xfffe
	s_or_b32 exec_lo, exec_lo, s1
	s_mov_b32 s1, exec_lo
	v_cmpx_gt_u32_e64 s0, v47
	s_cbranch_execz .LBB1434_41
.LBB1434_56:                            ;   in Loop: Header=BB1434_16 Depth=2
	v_cmp_lt_i32_e32 vcc_lo, -1, v15
	s_wait_alu 0xfffd
	v_cndmask_b32_e64 v19, -1, 0x80000000, vcc_lo
	s_delay_alu instid0(VALU_DEP_1) | instskip(NEXT) | instid1(VALU_DEP_1)
	v_xor_b32_e32 v19, v19, v15
	v_cmp_ne_u32_e32 vcc_lo, 0x7fffffff, v19
	s_wait_alu 0xfffd
	v_cndmask_b32_e32 v19, 0x80000000, v19, vcc_lo
	s_delay_alu instid0(VALU_DEP_1) | instskip(NEXT) | instid1(VALU_DEP_1)
	v_lshrrev_b32_e32 v19, s31, v19
	v_and_b32_e32 v19, s48, v19
	s_delay_alu instid0(VALU_DEP_1) | instskip(SKIP_3) | instid1(SALU_CYCLE_1)
	v_lshl_or_b32 v19, v19, 4, v62
	ds_add_u32 v19, v84
	s_wait_alu 0xfffe
	s_or_b32 exec_lo, exec_lo, s1
	s_mov_b32 s1, exec_lo
	v_cmpx_gt_u32_e64 s0, v50
	s_cbranch_execz .LBB1434_42
.LBB1434_57:                            ;   in Loop: Header=BB1434_16 Depth=2
	v_cmp_lt_i32_e32 vcc_lo, -1, v14
	s_wait_alu 0xfffd
	v_cndmask_b32_e64 v19, -1, 0x80000000, vcc_lo
	s_delay_alu instid0(VALU_DEP_1) | instskip(NEXT) | instid1(VALU_DEP_1)
	v_xor_b32_e32 v19, v19, v14
	v_cmp_ne_u32_e32 vcc_lo, 0x7fffffff, v19
	s_wait_alu 0xfffd
	v_cndmask_b32_e32 v19, 0x80000000, v19, vcc_lo
	s_delay_alu instid0(VALU_DEP_1) | instskip(NEXT) | instid1(VALU_DEP_1)
	v_lshrrev_b32_e32 v19, s31, v19
	v_and_b32_e32 v19, s48, v19
	s_delay_alu instid0(VALU_DEP_1) | instskip(SKIP_3) | instid1(SALU_CYCLE_1)
	v_lshl_or_b32 v19, v19, 4, v62
	ds_add_u32 v19, v84
	s_wait_alu 0xfffe
	s_or_b32 exec_lo, exec_lo, s1
	s_mov_b32 s1, exec_lo
	v_cmpx_gt_u32_e64 s0, v51
	s_cbranch_execz .LBB1434_43
.LBB1434_58:                            ;   in Loop: Header=BB1434_16 Depth=2
	v_cmp_lt_i32_e32 vcc_lo, -1, v13
	s_wait_alu 0xfffd
	v_cndmask_b32_e64 v19, -1, 0x80000000, vcc_lo
	s_delay_alu instid0(VALU_DEP_1) | instskip(NEXT) | instid1(VALU_DEP_1)
	v_xor_b32_e32 v19, v19, v13
	v_cmp_ne_u32_e32 vcc_lo, 0x7fffffff, v19
	s_wait_alu 0xfffd
	v_cndmask_b32_e32 v19, 0x80000000, v19, vcc_lo
	s_delay_alu instid0(VALU_DEP_1) | instskip(NEXT) | instid1(VALU_DEP_1)
	v_lshrrev_b32_e32 v19, s31, v19
	v_and_b32_e32 v19, s48, v19
	s_delay_alu instid0(VALU_DEP_1) | instskip(SKIP_3) | instid1(SALU_CYCLE_1)
	v_lshl_or_b32 v19, v19, 4, v62
	ds_add_u32 v19, v84
	s_wait_alu 0xfffe
	s_or_b32 exec_lo, exec_lo, s1
	s_mov_b32 s1, exec_lo
	v_cmpx_gt_u32_e64 s0, v52
	s_cbranch_execz .LBB1434_44
.LBB1434_59:                            ;   in Loop: Header=BB1434_16 Depth=2
	v_cmp_lt_i32_e32 vcc_lo, -1, v12
	s_wait_alu 0xfffd
	v_cndmask_b32_e64 v19, -1, 0x80000000, vcc_lo
	s_delay_alu instid0(VALU_DEP_1) | instskip(NEXT) | instid1(VALU_DEP_1)
	v_xor_b32_e32 v19, v19, v12
	v_cmp_ne_u32_e32 vcc_lo, 0x7fffffff, v19
	s_wait_alu 0xfffd
	v_cndmask_b32_e32 v19, 0x80000000, v19, vcc_lo
	s_delay_alu instid0(VALU_DEP_1) | instskip(NEXT) | instid1(VALU_DEP_1)
	v_lshrrev_b32_e32 v19, s31, v19
	v_and_b32_e32 v19, s48, v19
	s_delay_alu instid0(VALU_DEP_1) | instskip(SKIP_3) | instid1(SALU_CYCLE_1)
	v_lshl_or_b32 v19, v19, 4, v62
	ds_add_u32 v19, v84
	s_wait_alu 0xfffe
	s_or_b32 exec_lo, exec_lo, s1
	s_mov_b32 s1, exec_lo
	v_cmpx_gt_u32_e64 s0, v53
	s_cbranch_execz .LBB1434_45
.LBB1434_60:                            ;   in Loop: Header=BB1434_16 Depth=2
	v_cmp_lt_i32_e32 vcc_lo, -1, v11
	s_wait_alu 0xfffd
	v_cndmask_b32_e64 v19, -1, 0x80000000, vcc_lo
	s_delay_alu instid0(VALU_DEP_1) | instskip(NEXT) | instid1(VALU_DEP_1)
	v_xor_b32_e32 v19, v19, v11
	v_cmp_ne_u32_e32 vcc_lo, 0x7fffffff, v19
	s_wait_alu 0xfffd
	v_cndmask_b32_e32 v19, 0x80000000, v19, vcc_lo
	s_delay_alu instid0(VALU_DEP_1) | instskip(NEXT) | instid1(VALU_DEP_1)
	v_lshrrev_b32_e32 v19, s31, v19
	v_and_b32_e32 v19, s48, v19
	s_delay_alu instid0(VALU_DEP_1) | instskip(SKIP_3) | instid1(SALU_CYCLE_1)
	v_lshl_or_b32 v19, v19, 4, v62
	ds_add_u32 v19, v84
	s_wait_alu 0xfffe
	s_or_b32 exec_lo, exec_lo, s1
	s_mov_b32 s1, exec_lo
	v_cmpx_gt_u32_e64 s0, v54
	s_cbranch_execz .LBB1434_46
.LBB1434_61:                            ;   in Loop: Header=BB1434_16 Depth=2
	v_cmp_lt_i32_e32 vcc_lo, -1, v10
	s_wait_alu 0xfffd
	v_cndmask_b32_e64 v19, -1, 0x80000000, vcc_lo
	s_delay_alu instid0(VALU_DEP_1) | instskip(NEXT) | instid1(VALU_DEP_1)
	v_xor_b32_e32 v19, v19, v10
	v_cmp_ne_u32_e32 vcc_lo, 0x7fffffff, v19
	s_wait_alu 0xfffd
	v_cndmask_b32_e32 v19, 0x80000000, v19, vcc_lo
	s_delay_alu instid0(VALU_DEP_1) | instskip(NEXT) | instid1(VALU_DEP_1)
	v_lshrrev_b32_e32 v19, s31, v19
	v_and_b32_e32 v19, s48, v19
	s_delay_alu instid0(VALU_DEP_1) | instskip(SKIP_3) | instid1(SALU_CYCLE_1)
	v_lshl_or_b32 v19, v19, 4, v62
	ds_add_u32 v19, v84
	s_wait_alu 0xfffe
	s_or_b32 exec_lo, exec_lo, s1
	s_mov_b32 s1, exec_lo
	v_cmpx_gt_u32_e64 s0, v55
	s_cbranch_execz .LBB1434_47
.LBB1434_62:                            ;   in Loop: Header=BB1434_16 Depth=2
	v_cmp_lt_i32_e32 vcc_lo, -1, v9
	s_wait_alu 0xfffd
	v_cndmask_b32_e64 v19, -1, 0x80000000, vcc_lo
	s_delay_alu instid0(VALU_DEP_1) | instskip(NEXT) | instid1(VALU_DEP_1)
	v_xor_b32_e32 v19, v19, v9
	v_cmp_ne_u32_e32 vcc_lo, 0x7fffffff, v19
	s_wait_alu 0xfffd
	v_cndmask_b32_e32 v19, 0x80000000, v19, vcc_lo
	s_delay_alu instid0(VALU_DEP_1) | instskip(NEXT) | instid1(VALU_DEP_1)
	v_lshrrev_b32_e32 v19, s31, v19
	v_and_b32_e32 v19, s48, v19
	s_delay_alu instid0(VALU_DEP_1) | instskip(SKIP_3) | instid1(SALU_CYCLE_1)
	v_lshl_or_b32 v19, v19, 4, v62
	ds_add_u32 v19, v84
	s_wait_alu 0xfffe
	s_or_b32 exec_lo, exec_lo, s1
	s_mov_b32 s1, exec_lo
	v_cmpx_gt_u32_e64 s0, v56
	s_cbranch_execz .LBB1434_48
.LBB1434_63:                            ;   in Loop: Header=BB1434_16 Depth=2
	v_cmp_lt_i32_e32 vcc_lo, -1, v8
	s_wait_alu 0xfffd
	v_cndmask_b32_e64 v19, -1, 0x80000000, vcc_lo
	s_delay_alu instid0(VALU_DEP_1) | instskip(NEXT) | instid1(VALU_DEP_1)
	v_xor_b32_e32 v19, v19, v8
	v_cmp_ne_u32_e32 vcc_lo, 0x7fffffff, v19
	s_wait_alu 0xfffd
	v_cndmask_b32_e32 v19, 0x80000000, v19, vcc_lo
	s_delay_alu instid0(VALU_DEP_1) | instskip(NEXT) | instid1(VALU_DEP_1)
	v_lshrrev_b32_e32 v19, s31, v19
	v_and_b32_e32 v19, s48, v19
	s_delay_alu instid0(VALU_DEP_1) | instskip(SKIP_3) | instid1(SALU_CYCLE_1)
	v_lshl_or_b32 v19, v19, 4, v62
	ds_add_u32 v19, v84
	s_wait_alu 0xfffe
	s_or_b32 exec_lo, exec_lo, s1
	s_mov_b32 s1, exec_lo
	v_cmpx_gt_u32_e64 s0, v57
	s_cbranch_execz .LBB1434_49
.LBB1434_64:                            ;   in Loop: Header=BB1434_16 Depth=2
	v_cmp_lt_i32_e32 vcc_lo, -1, v7
	s_wait_alu 0xfffd
	v_cndmask_b32_e64 v19, -1, 0x80000000, vcc_lo
	s_delay_alu instid0(VALU_DEP_1) | instskip(NEXT) | instid1(VALU_DEP_1)
	v_xor_b32_e32 v19, v19, v7
	v_cmp_ne_u32_e32 vcc_lo, 0x7fffffff, v19
	s_wait_alu 0xfffd
	v_cndmask_b32_e32 v19, 0x80000000, v19, vcc_lo
	s_delay_alu instid0(VALU_DEP_1) | instskip(NEXT) | instid1(VALU_DEP_1)
	v_lshrrev_b32_e32 v19, s31, v19
	v_and_b32_e32 v19, s48, v19
	s_delay_alu instid0(VALU_DEP_1) | instskip(SKIP_3) | instid1(SALU_CYCLE_1)
	v_lshl_or_b32 v19, v19, 4, v62
	ds_add_u32 v19, v84
	s_wait_alu 0xfffe
	s_or_b32 exec_lo, exec_lo, s1
	s_mov_b32 s1, exec_lo
	v_cmpx_gt_u32_e64 s0, v58
	s_cbranch_execz .LBB1434_50
.LBB1434_65:                            ;   in Loop: Header=BB1434_16 Depth=2
	v_cmp_lt_i32_e32 vcc_lo, -1, v6
	s_wait_alu 0xfffd
	v_cndmask_b32_e64 v19, -1, 0x80000000, vcc_lo
	s_delay_alu instid0(VALU_DEP_1) | instskip(NEXT) | instid1(VALU_DEP_1)
	v_xor_b32_e32 v19, v19, v6
	v_cmp_ne_u32_e32 vcc_lo, 0x7fffffff, v19
	s_wait_alu 0xfffd
	v_cndmask_b32_e32 v19, 0x80000000, v19, vcc_lo
	s_delay_alu instid0(VALU_DEP_1) | instskip(NEXT) | instid1(VALU_DEP_1)
	v_lshrrev_b32_e32 v19, s31, v19
	v_and_b32_e32 v19, s48, v19
	s_delay_alu instid0(VALU_DEP_1) | instskip(SKIP_3) | instid1(SALU_CYCLE_1)
	v_lshl_or_b32 v19, v19, 4, v62
	ds_add_u32 v19, v84
	s_wait_alu 0xfffe
	s_or_b32 exec_lo, exec_lo, s1
	s_mov_b32 s1, exec_lo
	v_cmpx_gt_u32_e64 s0, v59
	s_cbranch_execz .LBB1434_51
.LBB1434_66:                            ;   in Loop: Header=BB1434_16 Depth=2
	v_cmp_lt_i32_e32 vcc_lo, -1, v5
	s_wait_alu 0xfffd
	v_cndmask_b32_e64 v19, -1, 0x80000000, vcc_lo
	s_delay_alu instid0(VALU_DEP_1) | instskip(NEXT) | instid1(VALU_DEP_1)
	v_xor_b32_e32 v19, v19, v5
	v_cmp_ne_u32_e32 vcc_lo, 0x7fffffff, v19
	s_wait_alu 0xfffd
	v_cndmask_b32_e32 v19, 0x80000000, v19, vcc_lo
	s_delay_alu instid0(VALU_DEP_1) | instskip(NEXT) | instid1(VALU_DEP_1)
	v_lshrrev_b32_e32 v19, s31, v19
	v_and_b32_e32 v19, s48, v19
	s_delay_alu instid0(VALU_DEP_1) | instskip(SKIP_3) | instid1(SALU_CYCLE_1)
	v_lshl_or_b32 v19, v19, 4, v62
	ds_add_u32 v19, v84
	s_wait_alu 0xfffe
	s_or_b32 exec_lo, exec_lo, s1
	s_mov_b32 s1, exec_lo
	v_cmpx_gt_u32_e64 s0, v60
	s_cbranch_execz .LBB1434_52
.LBB1434_67:                            ;   in Loop: Header=BB1434_16 Depth=2
	v_cmp_lt_i32_e32 vcc_lo, -1, v4
	s_wait_alu 0xfffd
	v_cndmask_b32_e64 v19, -1, 0x80000000, vcc_lo
	s_delay_alu instid0(VALU_DEP_1) | instskip(NEXT) | instid1(VALU_DEP_1)
	v_xor_b32_e32 v19, v19, v4
	v_cmp_ne_u32_e32 vcc_lo, 0x7fffffff, v19
	s_wait_alu 0xfffd
	v_cndmask_b32_e32 v19, 0x80000000, v19, vcc_lo
	s_delay_alu instid0(VALU_DEP_1) | instskip(NEXT) | instid1(VALU_DEP_1)
	v_lshrrev_b32_e32 v19, s31, v19
	v_and_b32_e32 v19, s48, v19
	s_delay_alu instid0(VALU_DEP_1)
	v_lshl_or_b32 v19, v19, 4, v62
	ds_add_u32 v19, v84
	s_wait_alu 0xfffe
	s_or_b32 exec_lo, exec_lo, s1
	v_cmp_gt_u32_e32 vcc_lo, s0, v61
	s_and_saveexec_b32 s0, vcc_lo
	s_cbranch_execz .LBB1434_15
.LBB1434_68:                            ;   in Loop: Header=BB1434_16 Depth=2
	v_cmp_lt_i32_e32 vcc_lo, -1, v2
	s_wait_alu 0xfffd
	v_cndmask_b32_e64 v19, -1, 0x80000000, vcc_lo
	s_delay_alu instid0(VALU_DEP_1) | instskip(NEXT) | instid1(VALU_DEP_1)
	v_xor_b32_e32 v19, v19, v2
	v_cmp_ne_u32_e32 vcc_lo, 0x7fffffff, v19
	s_wait_alu 0xfffd
	v_cndmask_b32_e32 v19, 0x80000000, v19, vcc_lo
	s_delay_alu instid0(VALU_DEP_1) | instskip(NEXT) | instid1(VALU_DEP_1)
	v_lshrrev_b32_e32 v19, s31, v19
	v_and_b32_e32 v19, s48, v19
	s_delay_alu instid0(VALU_DEP_1)
	v_lshl_or_b32 v19, v19, 4, v62
	ds_add_u32 v19, v84
	s_branch .LBB1434_15
.LBB1434_69:                            ;   in Loop: Header=BB1434_16 Depth=2
	global_load_b32 v18, v108, s[0:1]
	s_or_b32 exec_lo, exec_lo, s11
	s_delay_alu instid0(SALU_CYCLE_1)
	s_mov_b32 s11, exec_lo
	v_cmpx_gt_u32_e64 s9, v45
	s_cbranch_execz .LBB1434_21
.LBB1434_70:                            ;   in Loop: Header=BB1434_16 Depth=2
	global_load_b32 v17, v108, s[0:1] offset:1024
	s_wait_alu 0xfffe
	s_or_b32 exec_lo, exec_lo, s11
	s_delay_alu instid0(SALU_CYCLE_1)
	s_mov_b32 s11, exec_lo
	v_cmpx_gt_u32_e64 s9, v46
	s_cbranch_execz .LBB1434_22
.LBB1434_71:                            ;   in Loop: Header=BB1434_16 Depth=2
	global_load_b32 v16, v108, s[0:1] offset:2048
	s_wait_alu 0xfffe
	s_or_b32 exec_lo, exec_lo, s11
	s_delay_alu instid0(SALU_CYCLE_1)
	s_mov_b32 s11, exec_lo
	v_cmpx_gt_u32_e64 s9, v47
	s_cbranch_execz .LBB1434_23
.LBB1434_72:                            ;   in Loop: Header=BB1434_16 Depth=2
	global_load_b32 v15, v108, s[0:1] offset:3072
	s_wait_alu 0xfffe
	s_or_b32 exec_lo, exec_lo, s11
	s_delay_alu instid0(SALU_CYCLE_1)
	s_mov_b32 s11, exec_lo
	v_cmpx_gt_u32_e64 s9, v50
	s_cbranch_execz .LBB1434_24
.LBB1434_73:                            ;   in Loop: Header=BB1434_16 Depth=2
	global_load_b32 v14, v108, s[0:1] offset:4096
	s_wait_alu 0xfffe
	s_or_b32 exec_lo, exec_lo, s11
	s_delay_alu instid0(SALU_CYCLE_1)
	s_mov_b32 s11, exec_lo
	v_cmpx_gt_u32_e64 s9, v51
	s_cbranch_execz .LBB1434_25
.LBB1434_74:                            ;   in Loop: Header=BB1434_16 Depth=2
	global_load_b32 v13, v108, s[0:1] offset:5120
	s_wait_alu 0xfffe
	s_or_b32 exec_lo, exec_lo, s11
	s_delay_alu instid0(SALU_CYCLE_1)
	s_mov_b32 s11, exec_lo
	v_cmpx_gt_u32_e64 s9, v52
	s_cbranch_execz .LBB1434_26
.LBB1434_75:                            ;   in Loop: Header=BB1434_16 Depth=2
	global_load_b32 v12, v108, s[0:1] offset:6144
	s_wait_alu 0xfffe
	s_or_b32 exec_lo, exec_lo, s11
	s_delay_alu instid0(SALU_CYCLE_1)
	s_mov_b32 s11, exec_lo
	v_cmpx_gt_u32_e64 s9, v53
	s_cbranch_execz .LBB1434_27
.LBB1434_76:                            ;   in Loop: Header=BB1434_16 Depth=2
	global_load_b32 v11, v108, s[0:1] offset:7168
	s_wait_alu 0xfffe
	s_or_b32 exec_lo, exec_lo, s11
	s_delay_alu instid0(SALU_CYCLE_1)
	s_mov_b32 s11, exec_lo
	v_cmpx_gt_u32_e64 s9, v54
	s_cbranch_execz .LBB1434_28
.LBB1434_77:                            ;   in Loop: Header=BB1434_16 Depth=2
	global_load_b32 v10, v108, s[0:1] offset:8192
	s_wait_alu 0xfffe
	s_or_b32 exec_lo, exec_lo, s11
	s_delay_alu instid0(SALU_CYCLE_1)
	s_mov_b32 s11, exec_lo
	v_cmpx_gt_u32_e64 s9, v55
	s_cbranch_execz .LBB1434_29
.LBB1434_78:                            ;   in Loop: Header=BB1434_16 Depth=2
	global_load_b32 v9, v108, s[0:1] offset:9216
	s_wait_alu 0xfffe
	s_or_b32 exec_lo, exec_lo, s11
	s_delay_alu instid0(SALU_CYCLE_1)
	s_mov_b32 s11, exec_lo
	v_cmpx_gt_u32_e64 s9, v56
	s_cbranch_execz .LBB1434_30
.LBB1434_79:                            ;   in Loop: Header=BB1434_16 Depth=2
	global_load_b32 v8, v108, s[0:1] offset:10240
	s_wait_alu 0xfffe
	s_or_b32 exec_lo, exec_lo, s11
	s_delay_alu instid0(SALU_CYCLE_1)
	s_mov_b32 s11, exec_lo
	v_cmpx_gt_u32_e64 s9, v57
	s_cbranch_execz .LBB1434_31
.LBB1434_80:                            ;   in Loop: Header=BB1434_16 Depth=2
	global_load_b32 v7, v108, s[0:1] offset:11264
	s_wait_alu 0xfffe
	s_or_b32 exec_lo, exec_lo, s11
	s_delay_alu instid0(SALU_CYCLE_1)
	s_mov_b32 s11, exec_lo
	v_cmpx_gt_u32_e64 s9, v58
	s_cbranch_execz .LBB1434_32
.LBB1434_81:                            ;   in Loop: Header=BB1434_16 Depth=2
	global_load_b32 v6, v108, s[0:1] offset:12288
	s_wait_alu 0xfffe
	s_or_b32 exec_lo, exec_lo, s11
	s_delay_alu instid0(SALU_CYCLE_1)
	s_mov_b32 s11, exec_lo
	v_cmpx_gt_u32_e64 s9, v59
	s_cbranch_execz .LBB1434_33
.LBB1434_82:                            ;   in Loop: Header=BB1434_16 Depth=2
	global_load_b32 v5, v108, s[0:1] offset:13312
	s_wait_alu 0xfffe
	s_or_b32 exec_lo, exec_lo, s11
	s_delay_alu instid0(SALU_CYCLE_1)
	s_mov_b32 s11, exec_lo
	v_cmpx_gt_u32_e64 s9, v60
	s_cbranch_execz .LBB1434_34
.LBB1434_83:                            ;   in Loop: Header=BB1434_16 Depth=2
	global_load_b32 v4, v108, s[0:1] offset:14336
	s_wait_alu 0xfffe
	s_or_b32 exec_lo, exec_lo, s11
	s_delay_alu instid0(SALU_CYCLE_1)
	s_mov_b32 s11, exec_lo
	v_cmpx_gt_u32_e64 s9, v61
	s_cbranch_execnz .LBB1434_35
	s_branch .LBB1434_36
.LBB1434_84:                            ;   in Loop: Header=BB1434_12 Depth=1
	v_mov_b32_e32 v2, 0
	s_wait_dscnt 0x0
	s_barrier_signal -1
	s_barrier_wait -1
	global_inv scope:SCOPE_SE
	s_and_saveexec_b32 s0, s2
	s_cbranch_execz .LBB1434_86
; %bb.85:                               ;   in Loop: Header=BB1434_12 Depth=1
	ds_load_2addr_b64 v[4:7], v64 offset1:1
	s_wait_dscnt 0x0
	v_add_nc_u32_e32 v2, v5, v4
	s_delay_alu instid0(VALU_DEP_1)
	v_add3_u32 v2, v2, v6, v7
.LBB1434_86:                            ;   in Loop: Header=BB1434_12 Depth=1
	s_wait_alu 0xfffe
	s_or_b32 exec_lo, exec_lo, s0
	s_delay_alu instid0(VALU_DEP_1)
	v_mov_b32_dpp v4, v2 row_shr:1 row_mask:0xf bank_mask:0xf
	v_cmp_eq_u32_e64 s0, 0, v85
	v_cmp_lt_u32_e64 s1, 1, v85
	v_cmp_lt_u32_e64 s9, 3, v85
	;; [unrolled: 1-line block ×3, first 2 shown]
	v_cmp_eq_u32_e64 s11, 0, v87
	s_wait_alu 0xf1ff
	v_cndmask_b32_e64 v4, v4, 0, s0
	s_delay_alu instid0(VALU_DEP_1) | instskip(NEXT) | instid1(VALU_DEP_1)
	v_add_nc_u32_e32 v2, v4, v2
	v_mov_b32_dpp v4, v2 row_shr:2 row_mask:0xf bank_mask:0xf
	s_delay_alu instid0(VALU_DEP_1) | instskip(NEXT) | instid1(VALU_DEP_1)
	v_cndmask_b32_e64 v4, 0, v4, s1
	v_add_nc_u32_e32 v2, v2, v4
	s_delay_alu instid0(VALU_DEP_1) | instskip(NEXT) | instid1(VALU_DEP_1)
	v_mov_b32_dpp v4, v2 row_shr:4 row_mask:0xf bank_mask:0xf
	v_cndmask_b32_e64 v4, 0, v4, s9
	s_delay_alu instid0(VALU_DEP_1) | instskip(NEXT) | instid1(VALU_DEP_1)
	v_add_nc_u32_e32 v2, v2, v4
	v_mov_b32_dpp v4, v2 row_shr:8 row_mask:0xf bank_mask:0xf
	s_delay_alu instid0(VALU_DEP_1) | instskip(NEXT) | instid1(VALU_DEP_1)
	v_cndmask_b32_e64 v4, 0, v4, s10
	v_add_nc_u32_e32 v2, v2, v4
	ds_swizzle_b32 v4, v2 offset:swizzle(BROADCAST,32,15)
	s_wait_dscnt 0x0
	v_and_b32_e32 v4, v86, v4
	s_delay_alu instid0(VALU_DEP_1)
	v_add_nc_u32_e32 v2, v2, v4
	s_and_saveexec_b32 s12, s3
; %bb.87:                               ;   in Loop: Header=BB1434_12 Depth=1
	ds_store_b32 v65, v2
; %bb.88:                               ;   in Loop: Header=BB1434_12 Depth=1
	s_wait_alu 0xfffe
	s_or_b32 exec_lo, exec_lo, s12
	s_wait_loadcnt_dscnt 0x0
	s_barrier_signal -1
	s_barrier_wait -1
	global_inv scope:SCOPE_SE
	s_and_saveexec_b32 s12, s4
	s_cbranch_execz .LBB1434_90
; %bb.89:                               ;   in Loop: Header=BB1434_12 Depth=1
	ds_load_b32 v4, v66
	v_cmp_ne_u32_e32 vcc_lo, 0, v89
	s_wait_dscnt 0x0
	v_mov_b32_dpp v5, v4 row_shr:1 row_mask:0xf bank_mask:0xf
	s_wait_alu 0xfffd
	s_delay_alu instid0(VALU_DEP_1) | instskip(SKIP_1) | instid1(VALU_DEP_2)
	v_cndmask_b32_e32 v5, 0, v5, vcc_lo
	v_cmp_lt_u32_e32 vcc_lo, 1, v89
	v_add_nc_u32_e32 v4, v5, v4
	s_delay_alu instid0(VALU_DEP_1) | instskip(SKIP_1) | instid1(VALU_DEP_1)
	v_mov_b32_dpp v5, v4 row_shr:2 row_mask:0xf bank_mask:0xf
	s_wait_alu 0xfffd
	v_cndmask_b32_e32 v5, 0, v5, vcc_lo
	v_cmp_lt_u32_e32 vcc_lo, 3, v89
	s_delay_alu instid0(VALU_DEP_2) | instskip(NEXT) | instid1(VALU_DEP_1)
	v_add_nc_u32_e32 v4, v4, v5
	v_mov_b32_dpp v5, v4 row_shr:4 row_mask:0xf bank_mask:0xf
	s_wait_alu 0xfffd
	s_delay_alu instid0(VALU_DEP_1) | instskip(NEXT) | instid1(VALU_DEP_1)
	v_cndmask_b32_e32 v5, 0, v5, vcc_lo
	v_add_nc_u32_e32 v4, v4, v5
	ds_store_b32 v66, v4
.LBB1434_90:                            ;   in Loop: Header=BB1434_12 Depth=1
	s_wait_alu 0xfffe
	s_or_b32 exec_lo, exec_lo, s12
	v_mov_b32_e32 v4, 0
	s_wait_loadcnt_dscnt 0x0
	s_barrier_signal -1
	s_barrier_wait -1
	global_inv scope:SCOPE_SE
	s_and_saveexec_b32 s12, s5
; %bb.91:                               ;   in Loop: Header=BB1434_12 Depth=1
	ds_load_b32 v4, v68
; %bb.92:                               ;   in Loop: Header=BB1434_12 Depth=1
	s_wait_alu 0xfffe
	s_or_b32 exec_lo, exec_lo, s12
	v_cmp_gt_i32_e32 vcc_lo, 0, v90
	s_wait_loadcnt_dscnt 0x0
	s_barrier_signal -1
	s_barrier_wait -1
	global_inv scope:SCOPE_SE
	s_wait_alu 0xfffd
	v_dual_cndmask_b32 v5, v90, v81 :: v_dual_add_nc_u32 v2, v4, v2
	s_delay_alu instid0(VALU_DEP_1)
	v_lshlrev_b32_e32 v113, 2, v5
	ds_bpermute_b32 v2, v113, v2
	s_and_saveexec_b32 s12, s2
	s_cbranch_execz .LBB1434_94
; %bb.93:                               ;   in Loop: Header=BB1434_12 Depth=1
	s_wait_dscnt 0x0
	v_cndmask_b32_e64 v2, v2, v4, s8
	s_delay_alu instid0(VALU_DEP_1)
	v_add_nc_u32_e32 v2, s33, v2
	ds_store_b32 v44, v2
.LBB1434_94:                            ;   in Loop: Header=BB1434_12 Depth=1
	s_wait_alu 0xfffe
	s_or_b32 exec_lo, exec_lo, s12
	s_clause 0x1
	s_load_b32 s12, s[34:35], 0x4
	s_load_b32 s14, s[34:35], 0xc
	s_mov_b32 s54, s53
                                        ; implicit-def: $vgpr6_vgpr7
                                        ; implicit-def: $vgpr8_vgpr9
                                        ; implicit-def: $vgpr10_vgpr11
                                        ; implicit-def: $vgpr12_vgpr13
                                        ; implicit-def: $vgpr14_vgpr15
                                        ; implicit-def: $vgpr16_vgpr17
                                        ; implicit-def: $vgpr18_vgpr19
                                        ; implicit-def: $vgpr20_vgpr21
                                        ; implicit-def: $vgpr22_vgpr23
                                        ; implicit-def: $vgpr24_vgpr25
                                        ; implicit-def: $vgpr26_vgpr27
                                        ; implicit-def: $vgpr28_vgpr29
                                        ; implicit-def: $vgpr30_vgpr31
                                        ; implicit-def: $vgpr32_vgpr33
                                        ; implicit-def: $vgpr34_vgpr35
                                        ; implicit-def: $vgpr115
                                        ; implicit-def: $vgpr116
                                        ; implicit-def: $vgpr117
                                        ; implicit-def: $vgpr118
                                        ; implicit-def: $vgpr119
                                        ; implicit-def: $vgpr120
                                        ; implicit-def: $vgpr121
                                        ; implicit-def: $vgpr122
                                        ; implicit-def: $vgpr123
                                        ; implicit-def: $vgpr124
                                        ; implicit-def: $vgpr125
                                        ; implicit-def: $vgpr126
                                        ; implicit-def: $vgpr127
                                        ; implicit-def: $vgpr128
                                        ; implicit-def: $vgpr129
                                        ; implicit-def: $vgpr130
	s_wait_kmcnt 0x0
	s_cmp_lt_u32 ttmp7, s12
	s_cselect_b32 s42, 14, 20
	s_wait_alu 0xfffe
	s_add_nc_u64 s[12:13], s[34:35], s[42:43]
	s_mov_b32 s42, s33
	s_load_u16 s12, s[12:13], 0x0
	v_cmp_lt_u32_e64 s13, 1, v89
	s_wait_dscnt 0x0
	s_wait_kmcnt 0x0
	v_mad_u32_u24 v2, v69, s12, v0
	s_and_b32 s12, s14, 0xffff
	v_cmp_lt_u32_e64 s14, 3, v89
	s_wait_alu 0xfffe
	s_delay_alu instid0(VALU_DEP_2) | instskip(SKIP_1) | instid1(VALU_DEP_2)
	v_mad_co_u64_u32 v[4:5], null, v2, s12, v[1:2]
	v_cmp_eq_u32_e64 s12, 0, v89
	v_lshrrev_b32_e32 v2, 3, v4
                                        ; implicit-def: $vgpr4_vgpr5
	s_delay_alu instid0(VALU_DEP_1)
	v_and_b32_e32 v114, 0x1ffffffc, v2
	s_branch .LBB1434_96
.LBB1434_95:                            ;   in Loop: Header=BB1434_96 Depth=2
	s_wait_alu 0xfffe
	s_or_b32 exec_lo, exec_lo, s15
	s_addk_co_i32 s54, 0xf000
	s_cmp_lt_u32 s55, s51
	s_mov_b32 s42, s55
	s_cbranch_scc0 .LBB1434_304
.LBB1434_96:                            ;   Parent Loop BB1434_12 Depth=1
                                        ; =>  This Inner Loop Header: Depth=2
	s_wait_alu 0xfffe
	s_add_co_i32 s55, s42, 0x1000
	s_wait_alu 0xfffe
	s_cmp_gt_u32 s55, s51
	s_cbranch_scc1 .LBB1434_98
; %bb.97:                               ;   in Loop: Header=BB1434_96 Depth=2
	s_lshl_b64 s[16:17], s[42:43], 2
	s_mov_b32 s15, -1
	s_wait_alu 0xfffe
	v_add_co_u32 v36, vcc_lo, v111, s16
	s_wait_alu 0xfffd
	v_add_co_ci_u32_e64 v37, null, s17, v112, vcc_lo
	s_clause 0xe
	global_load_b32 v2, v[36:37], off
	global_load_b32 v132, v[36:37], off offset:128
	global_load_b32 v139, v[36:37], off offset:256
	;; [unrolled: 1-line block ×14, first 2 shown]
	s_movk_i32 s16, 0x1000
	s_cbranch_execz .LBB1434_99
	s_branch .LBB1434_130
.LBB1434_98:                            ;   in Loop: Header=BB1434_96 Depth=2
	s_mov_b32 s15, 0
                                        ; implicit-def: $vgpr2
                                        ; implicit-def: $vgpr132
                                        ; implicit-def: $vgpr139
                                        ; implicit-def: $vgpr143
                                        ; implicit-def: $vgpr147
                                        ; implicit-def: $vgpr151
                                        ; implicit-def: $vgpr155
                                        ; implicit-def: $vgpr159
                                        ; implicit-def: $vgpr162
                                        ; implicit-def: $vgpr43
                                        ; implicit-def: $vgpr42
                                        ; implicit-def: $vgpr41
                                        ; implicit-def: $vgpr40
                                        ; implicit-def: $vgpr39
                                        ; implicit-def: $vgpr38
	s_movk_i32 s16, 0x1000
.LBB1434_99:                            ;   in Loop: Header=BB1434_96 Depth=2
	s_lshl_b64 s[16:17], s[42:43], 2
	s_wait_loadcnt 0xd
	v_bfrev_b32_e32 v132, -2
	s_wait_alu 0xfffe
	v_add_co_u32 v36, vcc_lo, v111, s16
	s_wait_alu 0xfffd
	v_add_co_ci_u32_e64 v37, null, s17, v112, vcc_lo
	v_bfrev_b32_e32 v2, -2
	s_mov_b32 s15, exec_lo
	v_cmpx_gt_u32_e64 s54, v88
	s_cbranch_execz .LBB1434_101
; %bb.100:                              ;   in Loop: Header=BB1434_96 Depth=2
	global_load_b32 v2, v[36:37], off
.LBB1434_101:                           ;   in Loop: Header=BB1434_96 Depth=2
	s_wait_alu 0xfffe
	s_or_b32 exec_lo, exec_lo, s15
	s_delay_alu instid0(SALU_CYCLE_1)
	s_mov_b32 s15, exec_lo
	v_cmpx_gt_u32_e64 s54, v92
	s_cbranch_execz .LBB1434_103
; %bb.102:                              ;   in Loop: Header=BB1434_96 Depth=2
	global_load_b32 v132, v[36:37], off offset:128
.LBB1434_103:                           ;   in Loop: Header=BB1434_96 Depth=2
	s_wait_alu 0xfffe
	s_or_b32 exec_lo, exec_lo, s15
	s_wait_loadcnt 0xb
	v_bfrev_b32_e32 v143, -2
	v_bfrev_b32_e32 v139, -2
	s_mov_b32 s15, exec_lo
	v_cmpx_gt_u32_e64 s54, v93
	s_cbranch_execz .LBB1434_105
; %bb.104:                              ;   in Loop: Header=BB1434_96 Depth=2
	global_load_b32 v139, v[36:37], off offset:256
.LBB1434_105:                           ;   in Loop: Header=BB1434_96 Depth=2
	s_wait_alu 0xfffe
	s_or_b32 exec_lo, exec_lo, s15
	s_delay_alu instid0(SALU_CYCLE_1)
	s_mov_b32 s15, exec_lo
	v_cmpx_gt_u32_e64 s54, v94
	s_cbranch_execz .LBB1434_107
; %bb.106:                              ;   in Loop: Header=BB1434_96 Depth=2
	global_load_b32 v143, v[36:37], off offset:384
.LBB1434_107:                           ;   in Loop: Header=BB1434_96 Depth=2
	s_wait_alu 0xfffe
	s_or_b32 exec_lo, exec_lo, s15
	s_wait_loadcnt 0x9
	v_bfrev_b32_e32 v151, -2
	v_bfrev_b32_e32 v147, -2
	s_mov_b32 s15, exec_lo
	v_cmpx_gt_u32_e64 s54, v95
	s_cbranch_execz .LBB1434_109
; %bb.108:                              ;   in Loop: Header=BB1434_96 Depth=2
	global_load_b32 v147, v[36:37], off offset:512
.LBB1434_109:                           ;   in Loop: Header=BB1434_96 Depth=2
	;; [unrolled: 20-line block ×6, first 2 shown]
	s_wait_alu 0xfffe
	s_or_b32 exec_lo, exec_lo, s15
	s_delay_alu instid0(SALU_CYCLE_1)
	s_mov_b32 s15, exec_lo
	v_cmpx_gt_u32_e64 s54, v104
	s_cbranch_execz .LBB1434_127
; %bb.126:                              ;   in Loop: Header=BB1434_96 Depth=2
	global_load_b32 v39, v[36:37], off offset:1664
.LBB1434_127:                           ;   in Loop: Header=BB1434_96 Depth=2
	s_wait_alu 0xfffe
	s_or_b32 exec_lo, exec_lo, s15
	s_wait_loadcnt 0x0
	v_bfrev_b32_e32 v38, -2
	s_mov_b32 s15, exec_lo
	v_cmpx_gt_u32_e64 s54, v105
	s_cbranch_execz .LBB1434_129
; %bb.128:                              ;   in Loop: Header=BB1434_96 Depth=2
	global_load_b32 v38, v[36:37], off offset:1792
.LBB1434_129:                           ;   in Loop: Header=BB1434_96 Depth=2
	s_wait_alu 0xfffe
	s_or_b32 exec_lo, exec_lo, s15
	v_cmp_gt_u32_e64 s15, s54, v106
	s_sub_co_i32 s16, s51, s42
.LBB1434_130:                           ;   in Loop: Header=BB1434_96 Depth=2
	v_bfrev_b32_e32 v36, -2
	v_mov_b32_e32 v131, s54
	s_and_saveexec_b32 s17, s15
	s_cbranch_execz .LBB1434_132
; %bb.131:                              ;   in Loop: Header=BB1434_96 Depth=2
	s_lshl_b64 s[18:19], s[42:43], 2
	s_wait_alu 0xfffe
	v_mov_b32_e32 v131, s16
	v_add_co_u32 v36, vcc_lo, v111, s18
	s_wait_alu 0xfffd
	v_add_co_ci_u32_e64 v37, null, s19, v112, vcc_lo
	global_load_b32 v36, v[36:37], off offset:1920
.LBB1434_132:                           ;   in Loop: Header=BB1434_96 Depth=2
	s_wait_alu 0xfffe
	s_or_b32 exec_lo, exec_lo, s17
	s_wait_loadcnt 0xe
	v_cmp_lt_i32_e32 vcc_lo, -1, v2
	s_wait_alu 0xfffd
	v_cndmask_b32_e64 v37, -1, 0x80000000, vcc_lo
	s_delay_alu instid0(VALU_DEP_1) | instskip(NEXT) | instid1(VALU_DEP_1)
	v_xor_b32_e32 v2, v37, v2
	v_cmp_ne_u32_e32 vcc_lo, 0x7fffffff, v2
	s_wait_alu 0xfffd
	v_cndmask_b32_e32 v37, 0x80000000, v2, vcc_lo
	s_delay_alu instid0(VALU_DEP_1) | instskip(NEXT) | instid1(VALU_DEP_1)
	v_lshrrev_b32_e32 v37, s31, v37
	v_and_b32_e32 v138, s48, v37
	s_delay_alu instid0(VALU_DEP_1)
	v_and_b32_e32 v37, 1, v138
	v_lshlrev_b32_e32 v133, 30, v138
	v_lshlrev_b32_e32 v134, 29, v138
	;; [unrolled: 1-line block ×4, first 2 shown]
	v_add_co_u32 v37, s15, v37, -1
	s_wait_alu 0xf1ff
	v_cndmask_b32_e64 v136, 0, 1, s15
	v_not_b32_e32 v142, v133
	v_cmp_gt_i32_e64 s15, 0, v133
	v_not_b32_e32 v133, v134
	v_lshlrev_b32_e32 v140, 26, v138
	v_cmp_ne_u32_e32 vcc_lo, 0, v136
	v_ashrrev_i32_e32 v142, 31, v142
	v_lshlrev_b32_e32 v141, 25, v138
	v_ashrrev_i32_e32 v133, 31, v133
	v_lshlrev_b32_e32 v136, 24, v138
	s_wait_alu 0xfffd
	v_xor_b32_e32 v37, vcc_lo, v37
	v_cmp_gt_i32_e32 vcc_lo, 0, v134
	v_not_b32_e32 v134, v135
	s_wait_alu 0xf1ff
	v_xor_b32_e32 v142, s15, v142
	v_cmp_gt_i32_e64 s15, 0, v135
	v_and_b32_e32 v37, exec_lo, v37
	v_not_b32_e32 v135, v137
	v_ashrrev_i32_e32 v134, 31, v134
	s_wait_alu 0xfffd
	v_xor_b32_e32 v133, vcc_lo, v133
	v_cmp_gt_i32_e32 vcc_lo, 0, v137
	v_and_b32_e32 v37, v37, v142
	v_not_b32_e32 v137, v140
	v_ashrrev_i32_e32 v135, 31, v135
	s_wait_alu 0xf1ff
	v_xor_b32_e32 v134, s15, v134
	v_cmp_gt_i32_e64 s15, 0, v140
	v_and_b32_e32 v37, v37, v133
	v_not_b32_e32 v133, v141
	v_ashrrev_i32_e32 v137, 31, v137
	s_wait_alu 0xfffd
	v_xor_b32_e32 v135, vcc_lo, v135
	v_cmp_gt_i32_e32 vcc_lo, 0, v141
	v_and_b32_e32 v37, v37, v134
	v_not_b32_e32 v134, v136
	v_ashrrev_i32_e32 v133, 31, v133
	s_wait_alu 0xf1ff
	v_xor_b32_e32 v137, s15, v137
	v_cmp_gt_i32_e64 s15, 0, v136
	v_and_b32_e32 v37, v37, v135
	v_ashrrev_i32_e32 v134, 31, v134
	s_wait_alu 0xfffd
	v_xor_b32_e32 v133, vcc_lo, v133
	v_mul_u32_u24_e32 v138, 36, v138
	v_add_nc_u32_e32 v136, 0x428, v67
	v_and_b32_e32 v37, v37, v137
	s_wait_alu 0xf1ff
	v_xor_b32_e32 v135, s15, v134
	v_add_nc_u32_e32 v134, 0x438, v67
	v_add_nc_u32_e32 v137, 0x430, v67
	;; [unrolled: 1-line block ×3, first 2 shown]
	v_and_b32_e32 v37, v37, v133
	ds_store_2addr_b32 v134, v3, v3 offset1:1
	v_and_b32_e32 v37, v37, v135
	v_add_nc_u32_e32 v135, 0x420, v67
	ds_store_2addr_b32 v135, v3, v3 offset1:1
	ds_store_2addr_b32 v136, v3, v3 offset1:1
	;; [unrolled: 1-line block ×3, first 2 shown]
	ds_store_b32 v67, v3 offset:1088
	v_mbcnt_lo_u32_b32 v133, v37, 0
	v_cmp_ne_u32_e64 s15, 0, v37
	s_wait_loadcnt_dscnt 0x0
	s_barrier_signal -1
	s_barrier_wait -1
	v_cmp_eq_u32_e32 vcc_lo, 0, v133
	global_inv scope:SCOPE_SE
	; wave barrier
	s_and_b32 s16, s15, vcc_lo
	s_wait_alu 0xfffe
	s_and_saveexec_b32 s15, s16
; %bb.133:                              ;   in Loop: Header=BB1434_96 Depth=2
	v_bcnt_u32_b32 v37, v37, 0
	ds_store_b32 v138, v37 offset:1056
; %bb.134:                              ;   in Loop: Header=BB1434_96 Depth=2
	s_wait_alu 0xfffe
	s_or_b32 exec_lo, exec_lo, s15
	v_cmp_lt_i32_e32 vcc_lo, -1, v132
	; wave barrier
	s_wait_alu 0xfffd
	v_cndmask_b32_e64 v37, -1, 0x80000000, vcc_lo
	s_delay_alu instid0(VALU_DEP_1) | instskip(NEXT) | instid1(VALU_DEP_1)
	v_xor_b32_e32 v132, v37, v132
	v_cmp_ne_u32_e32 vcc_lo, 0x7fffffff, v132
	s_wait_alu 0xfffd
	v_cndmask_b32_e32 v37, 0x80000000, v132, vcc_lo
	s_delay_alu instid0(VALU_DEP_1) | instskip(NEXT) | instid1(VALU_DEP_1)
	v_lshrrev_b32_e32 v37, s31, v37
	v_and_b32_e32 v142, s48, v37
	s_delay_alu instid0(VALU_DEP_1)
	v_and_b32_e32 v37, 1, v142
	v_lshlrev_b32_e32 v140, 30, v142
	v_lshlrev_b32_e32 v141, 29, v142
	;; [unrolled: 1-line block ×4, first 2 shown]
	v_add_co_u32 v37, s15, v37, -1
	s_wait_alu 0xf1ff
	v_cndmask_b32_e64 v145, 0, 1, s15
	v_not_b32_e32 v150, v140
	v_cmp_gt_i32_e64 s15, 0, v140
	v_not_b32_e32 v140, v141
	v_lshlrev_b32_e32 v148, 26, v142
	v_cmp_ne_u32_e32 vcc_lo, 0, v145
	v_ashrrev_i32_e32 v150, 31, v150
	v_lshlrev_b32_e32 v149, 25, v142
	v_ashrrev_i32_e32 v140, 31, v140
	v_lshlrev_b32_e32 v145, 24, v142
	s_wait_alu 0xfffd
	v_xor_b32_e32 v37, vcc_lo, v37
	v_cmp_gt_i32_e32 vcc_lo, 0, v141
	v_not_b32_e32 v141, v144
	s_wait_alu 0xf1ff
	v_xor_b32_e32 v150, s15, v150
	v_cmp_gt_i32_e64 s15, 0, v144
	v_and_b32_e32 v37, exec_lo, v37
	v_not_b32_e32 v144, v146
	v_ashrrev_i32_e32 v141, 31, v141
	s_wait_alu 0xfffd
	v_xor_b32_e32 v140, vcc_lo, v140
	v_cmp_gt_i32_e32 vcc_lo, 0, v146
	v_and_b32_e32 v37, v37, v150
	v_not_b32_e32 v146, v148
	v_ashrrev_i32_e32 v144, 31, v144
	s_wait_alu 0xf1ff
	v_xor_b32_e32 v141, s15, v141
	v_cmp_gt_i32_e64 s15, 0, v148
	v_and_b32_e32 v37, v37, v140
	v_not_b32_e32 v140, v149
	v_ashrrev_i32_e32 v146, 31, v146
	s_wait_alu 0xfffd
	v_xor_b32_e32 v144, vcc_lo, v144
	v_cmp_gt_i32_e32 vcc_lo, 0, v149
	v_and_b32_e32 v37, v37, v141
	v_not_b32_e32 v141, v145
	v_ashrrev_i32_e32 v140, 31, v140
	s_wait_alu 0xf1ff
	v_xor_b32_e32 v146, s15, v146
	v_cmp_gt_i32_e64 s15, 0, v145
	v_and_b32_e32 v37, v37, v144
	v_ashrrev_i32_e32 v141, 31, v141
	s_wait_alu 0xfffd
	v_xor_b32_e32 v140, vcc_lo, v140
	v_mad_u32_u24 v144, v142, 36, v114
	v_mul_u32_u24_e32 v142, 36, v142
	v_and_b32_e32 v37, v37, v146
	s_wait_alu 0xf1ff
	v_xor_b32_e32 v141, s15, v141
	s_delay_alu instid0(VALU_DEP_3) | instskip(NEXT) | instid1(VALU_DEP_3)
	v_add_nc_u32_e32 v142, v114, v142
	v_and_b32_e32 v37, v37, v140
	ds_load_b32 v140, v144 offset:1056
	; wave barrier
	v_and_b32_e32 v37, v37, v141
	s_delay_alu instid0(VALU_DEP_1) | instskip(SKIP_1) | instid1(VALU_DEP_2)
	v_mbcnt_lo_u32_b32 v141, v37, 0
	v_cmp_ne_u32_e64 s15, 0, v37
	v_cmp_eq_u32_e32 vcc_lo, 0, v141
	s_and_b32 s16, s15, vcc_lo
	s_wait_alu 0xfffe
	s_and_saveexec_b32 s15, s16
	s_cbranch_execz .LBB1434_136
; %bb.135:                              ;   in Loop: Header=BB1434_96 Depth=2
	s_wait_dscnt 0x0
	v_bcnt_u32_b32 v37, v37, v140
	ds_store_b32 v142, v37 offset:1056
.LBB1434_136:                           ;   in Loop: Header=BB1434_96 Depth=2
	s_wait_alu 0xfffe
	s_or_b32 exec_lo, exec_lo, s15
	v_cmp_lt_i32_e32 vcc_lo, -1, v139
	; wave barrier
	s_wait_alu 0xfffd
	v_cndmask_b32_e64 v37, -1, 0x80000000, vcc_lo
	s_delay_alu instid0(VALU_DEP_1) | instskip(NEXT) | instid1(VALU_DEP_1)
	v_xor_b32_e32 v139, v37, v139
	v_cmp_ne_u32_e32 vcc_lo, 0x7fffffff, v139
	s_wait_alu 0xfffd
	v_cndmask_b32_e32 v37, 0x80000000, v139, vcc_lo
	s_delay_alu instid0(VALU_DEP_1) | instskip(NEXT) | instid1(VALU_DEP_1)
	v_lshrrev_b32_e32 v37, s31, v37
	v_and_b32_e32 v146, s48, v37
	s_delay_alu instid0(VALU_DEP_1)
	v_and_b32_e32 v37, 1, v146
	v_lshlrev_b32_e32 v144, 30, v146
	v_lshlrev_b32_e32 v145, 29, v146
	;; [unrolled: 1-line block ×4, first 2 shown]
	v_add_co_u32 v37, s15, v37, -1
	s_wait_alu 0xf1ff
	v_cndmask_b32_e64 v149, 0, 1, s15
	v_not_b32_e32 v154, v144
	v_cmp_gt_i32_e64 s15, 0, v144
	v_not_b32_e32 v144, v145
	v_lshlrev_b32_e32 v152, 26, v146
	v_cmp_ne_u32_e32 vcc_lo, 0, v149
	v_ashrrev_i32_e32 v154, 31, v154
	v_lshlrev_b32_e32 v153, 25, v146
	v_ashrrev_i32_e32 v144, 31, v144
	v_lshlrev_b32_e32 v149, 24, v146
	s_wait_alu 0xfffd
	v_xor_b32_e32 v37, vcc_lo, v37
	v_cmp_gt_i32_e32 vcc_lo, 0, v145
	v_not_b32_e32 v145, v148
	s_wait_alu 0xf1ff
	v_xor_b32_e32 v154, s15, v154
	v_cmp_gt_i32_e64 s15, 0, v148
	v_and_b32_e32 v37, exec_lo, v37
	v_not_b32_e32 v148, v150
	v_ashrrev_i32_e32 v145, 31, v145
	s_wait_alu 0xfffd
	v_xor_b32_e32 v144, vcc_lo, v144
	v_cmp_gt_i32_e32 vcc_lo, 0, v150
	v_and_b32_e32 v37, v37, v154
	v_not_b32_e32 v150, v152
	v_ashrrev_i32_e32 v148, 31, v148
	s_wait_alu 0xf1ff
	v_xor_b32_e32 v145, s15, v145
	v_cmp_gt_i32_e64 s15, 0, v152
	v_and_b32_e32 v37, v37, v144
	v_not_b32_e32 v144, v153
	v_ashrrev_i32_e32 v150, 31, v150
	s_wait_alu 0xfffd
	v_xor_b32_e32 v148, vcc_lo, v148
	v_cmp_gt_i32_e32 vcc_lo, 0, v153
	v_and_b32_e32 v37, v37, v145
	v_not_b32_e32 v145, v149
	v_ashrrev_i32_e32 v144, 31, v144
	s_wait_alu 0xf1ff
	v_xor_b32_e32 v150, s15, v150
	v_cmp_gt_i32_e64 s15, 0, v149
	v_and_b32_e32 v37, v37, v148
	v_ashrrev_i32_e32 v145, 31, v145
	s_wait_alu 0xfffd
	v_xor_b32_e32 v144, vcc_lo, v144
	v_mad_u32_u24 v148, v146, 36, v114
	v_mul_u32_u24_e32 v146, 36, v146
	v_and_b32_e32 v37, v37, v150
	s_wait_alu 0xf1ff
	v_xor_b32_e32 v145, s15, v145
	s_delay_alu instid0(VALU_DEP_3) | instskip(NEXT) | instid1(VALU_DEP_3)
	v_add_nc_u32_e32 v146, v114, v146
	v_and_b32_e32 v37, v37, v144
	ds_load_b32 v144, v148 offset:1056
	; wave barrier
	v_and_b32_e32 v37, v37, v145
	s_delay_alu instid0(VALU_DEP_1) | instskip(SKIP_1) | instid1(VALU_DEP_2)
	v_mbcnt_lo_u32_b32 v145, v37, 0
	v_cmp_ne_u32_e64 s15, 0, v37
	v_cmp_eq_u32_e32 vcc_lo, 0, v145
	s_and_b32 s16, s15, vcc_lo
	s_wait_alu 0xfffe
	s_and_saveexec_b32 s15, s16
	s_cbranch_execz .LBB1434_138
; %bb.137:                              ;   in Loop: Header=BB1434_96 Depth=2
	s_wait_dscnt 0x0
	v_bcnt_u32_b32 v37, v37, v144
	ds_store_b32 v146, v37 offset:1056
.LBB1434_138:                           ;   in Loop: Header=BB1434_96 Depth=2
	s_wait_alu 0xfffe
	s_or_b32 exec_lo, exec_lo, s15
	v_cmp_lt_i32_e32 vcc_lo, -1, v143
	; wave barrier
	s_wait_alu 0xfffd
	v_cndmask_b32_e64 v37, -1, 0x80000000, vcc_lo
	s_delay_alu instid0(VALU_DEP_1) | instskip(NEXT) | instid1(VALU_DEP_1)
	v_xor_b32_e32 v143, v37, v143
	v_cmp_ne_u32_e32 vcc_lo, 0x7fffffff, v143
	s_wait_alu 0xfffd
	v_cndmask_b32_e32 v37, 0x80000000, v143, vcc_lo
	s_delay_alu instid0(VALU_DEP_1) | instskip(NEXT) | instid1(VALU_DEP_1)
	v_lshrrev_b32_e32 v37, s31, v37
	v_and_b32_e32 v150, s48, v37
	s_delay_alu instid0(VALU_DEP_1)
	v_and_b32_e32 v37, 1, v150
	v_lshlrev_b32_e32 v148, 30, v150
	v_lshlrev_b32_e32 v149, 29, v150
	;; [unrolled: 1-line block ×4, first 2 shown]
	v_add_co_u32 v37, s15, v37, -1
	s_wait_alu 0xf1ff
	v_cndmask_b32_e64 v153, 0, 1, s15
	v_not_b32_e32 v158, v148
	v_cmp_gt_i32_e64 s15, 0, v148
	v_not_b32_e32 v148, v149
	v_lshlrev_b32_e32 v156, 26, v150
	v_cmp_ne_u32_e32 vcc_lo, 0, v153
	v_ashrrev_i32_e32 v158, 31, v158
	v_lshlrev_b32_e32 v157, 25, v150
	v_ashrrev_i32_e32 v148, 31, v148
	v_lshlrev_b32_e32 v153, 24, v150
	s_wait_alu 0xfffd
	v_xor_b32_e32 v37, vcc_lo, v37
	v_cmp_gt_i32_e32 vcc_lo, 0, v149
	v_not_b32_e32 v149, v152
	s_wait_alu 0xf1ff
	v_xor_b32_e32 v158, s15, v158
	v_cmp_gt_i32_e64 s15, 0, v152
	v_and_b32_e32 v37, exec_lo, v37
	v_not_b32_e32 v152, v154
	v_ashrrev_i32_e32 v149, 31, v149
	s_wait_alu 0xfffd
	v_xor_b32_e32 v148, vcc_lo, v148
	v_cmp_gt_i32_e32 vcc_lo, 0, v154
	v_and_b32_e32 v37, v37, v158
	v_not_b32_e32 v154, v156
	v_ashrrev_i32_e32 v152, 31, v152
	s_wait_alu 0xf1ff
	v_xor_b32_e32 v149, s15, v149
	v_cmp_gt_i32_e64 s15, 0, v156
	v_and_b32_e32 v37, v37, v148
	v_not_b32_e32 v148, v157
	v_ashrrev_i32_e32 v154, 31, v154
	s_wait_alu 0xfffd
	v_xor_b32_e32 v152, vcc_lo, v152
	v_cmp_gt_i32_e32 vcc_lo, 0, v157
	v_and_b32_e32 v37, v37, v149
	v_not_b32_e32 v149, v153
	v_ashrrev_i32_e32 v148, 31, v148
	s_wait_alu 0xf1ff
	v_xor_b32_e32 v154, s15, v154
	v_cmp_gt_i32_e64 s15, 0, v153
	v_and_b32_e32 v37, v37, v152
	v_ashrrev_i32_e32 v149, 31, v149
	s_wait_alu 0xfffd
	v_xor_b32_e32 v148, vcc_lo, v148
	v_mad_u32_u24 v152, v150, 36, v114
	v_mul_u32_u24_e32 v150, 36, v150
	v_and_b32_e32 v37, v37, v154
	s_wait_alu 0xf1ff
	v_xor_b32_e32 v149, s15, v149
	s_delay_alu instid0(VALU_DEP_3) | instskip(NEXT) | instid1(VALU_DEP_3)
	v_add_nc_u32_e32 v150, v114, v150
	v_and_b32_e32 v37, v37, v148
	ds_load_b32 v148, v152 offset:1056
	; wave barrier
	v_and_b32_e32 v37, v37, v149
	s_delay_alu instid0(VALU_DEP_1) | instskip(SKIP_1) | instid1(VALU_DEP_2)
	v_mbcnt_lo_u32_b32 v149, v37, 0
	v_cmp_ne_u32_e64 s15, 0, v37
	v_cmp_eq_u32_e32 vcc_lo, 0, v149
	s_and_b32 s16, s15, vcc_lo
	s_wait_alu 0xfffe
	s_and_saveexec_b32 s15, s16
	s_cbranch_execz .LBB1434_140
; %bb.139:                              ;   in Loop: Header=BB1434_96 Depth=2
	s_wait_dscnt 0x0
	v_bcnt_u32_b32 v37, v37, v148
	ds_store_b32 v150, v37 offset:1056
.LBB1434_140:                           ;   in Loop: Header=BB1434_96 Depth=2
	s_wait_alu 0xfffe
	s_or_b32 exec_lo, exec_lo, s15
	v_cmp_lt_i32_e32 vcc_lo, -1, v147
	; wave barrier
	s_wait_alu 0xfffd
	v_cndmask_b32_e64 v37, -1, 0x80000000, vcc_lo
	s_delay_alu instid0(VALU_DEP_1) | instskip(NEXT) | instid1(VALU_DEP_1)
	v_xor_b32_e32 v147, v37, v147
	v_cmp_ne_u32_e32 vcc_lo, 0x7fffffff, v147
	s_wait_alu 0xfffd
	v_cndmask_b32_e32 v37, 0x80000000, v147, vcc_lo
	s_delay_alu instid0(VALU_DEP_1) | instskip(NEXT) | instid1(VALU_DEP_1)
	v_lshrrev_b32_e32 v37, s31, v37
	v_and_b32_e32 v154, s48, v37
	s_delay_alu instid0(VALU_DEP_1)
	v_and_b32_e32 v37, 1, v154
	v_lshlrev_b32_e32 v152, 30, v154
	v_lshlrev_b32_e32 v153, 29, v154
	;; [unrolled: 1-line block ×4, first 2 shown]
	v_add_co_u32 v37, s15, v37, -1
	s_wait_alu 0xf1ff
	v_cndmask_b32_e64 v157, 0, 1, s15
	v_not_b32_e32 v163, v152
	v_cmp_gt_i32_e64 s15, 0, v152
	v_not_b32_e32 v152, v153
	v_lshlrev_b32_e32 v160, 26, v154
	v_cmp_ne_u32_e32 vcc_lo, 0, v157
	v_ashrrev_i32_e32 v163, 31, v163
	v_lshlrev_b32_e32 v161, 25, v154
	v_ashrrev_i32_e32 v152, 31, v152
	v_lshlrev_b32_e32 v157, 24, v154
	s_wait_alu 0xfffd
	v_xor_b32_e32 v37, vcc_lo, v37
	v_cmp_gt_i32_e32 vcc_lo, 0, v153
	v_not_b32_e32 v153, v156
	s_wait_alu 0xf1ff
	v_xor_b32_e32 v163, s15, v163
	v_cmp_gt_i32_e64 s15, 0, v156
	v_and_b32_e32 v37, exec_lo, v37
	v_not_b32_e32 v156, v158
	v_ashrrev_i32_e32 v153, 31, v153
	s_wait_alu 0xfffd
	v_xor_b32_e32 v152, vcc_lo, v152
	v_cmp_gt_i32_e32 vcc_lo, 0, v158
	v_and_b32_e32 v37, v37, v163
	v_not_b32_e32 v158, v160
	v_ashrrev_i32_e32 v156, 31, v156
	s_wait_alu 0xf1ff
	v_xor_b32_e32 v153, s15, v153
	v_cmp_gt_i32_e64 s15, 0, v160
	v_and_b32_e32 v37, v37, v152
	v_not_b32_e32 v152, v161
	v_ashrrev_i32_e32 v158, 31, v158
	s_wait_alu 0xfffd
	v_xor_b32_e32 v156, vcc_lo, v156
	v_cmp_gt_i32_e32 vcc_lo, 0, v161
	v_and_b32_e32 v37, v37, v153
	v_not_b32_e32 v153, v157
	v_ashrrev_i32_e32 v152, 31, v152
	s_wait_alu 0xf1ff
	v_xor_b32_e32 v158, s15, v158
	v_cmp_gt_i32_e64 s15, 0, v157
	v_and_b32_e32 v37, v37, v156
	v_ashrrev_i32_e32 v153, 31, v153
	s_wait_alu 0xfffd
	v_xor_b32_e32 v152, vcc_lo, v152
	v_mad_u32_u24 v156, v154, 36, v114
	v_mul_u32_u24_e32 v154, 36, v154
	v_and_b32_e32 v37, v37, v158
	s_wait_alu 0xf1ff
	v_xor_b32_e32 v153, s15, v153
	s_delay_alu instid0(VALU_DEP_3) | instskip(NEXT) | instid1(VALU_DEP_3)
	v_add_nc_u32_e32 v154, v114, v154
	v_and_b32_e32 v37, v37, v152
	ds_load_b32 v152, v156 offset:1056
	; wave barrier
	v_and_b32_e32 v37, v37, v153
	s_delay_alu instid0(VALU_DEP_1) | instskip(SKIP_1) | instid1(VALU_DEP_2)
	v_mbcnt_lo_u32_b32 v153, v37, 0
	v_cmp_ne_u32_e64 s15, 0, v37
	v_cmp_eq_u32_e32 vcc_lo, 0, v153
	s_and_b32 s16, s15, vcc_lo
	s_wait_alu 0xfffe
	s_and_saveexec_b32 s15, s16
	s_cbranch_execz .LBB1434_142
; %bb.141:                              ;   in Loop: Header=BB1434_96 Depth=2
	s_wait_dscnt 0x0
	v_bcnt_u32_b32 v37, v37, v152
	ds_store_b32 v154, v37 offset:1056
.LBB1434_142:                           ;   in Loop: Header=BB1434_96 Depth=2
	s_wait_alu 0xfffe
	s_or_b32 exec_lo, exec_lo, s15
	v_cmp_lt_i32_e32 vcc_lo, -1, v151
	; wave barrier
	s_wait_alu 0xfffd
	v_cndmask_b32_e64 v37, -1, 0x80000000, vcc_lo
	s_delay_alu instid0(VALU_DEP_1) | instskip(NEXT) | instid1(VALU_DEP_1)
	v_xor_b32_e32 v151, v37, v151
	v_cmp_ne_u32_e32 vcc_lo, 0x7fffffff, v151
	s_wait_alu 0xfffd
	v_cndmask_b32_e32 v37, 0x80000000, v151, vcc_lo
	s_delay_alu instid0(VALU_DEP_1) | instskip(NEXT) | instid1(VALU_DEP_1)
	v_lshrrev_b32_e32 v37, s31, v37
	v_and_b32_e32 v158, s48, v37
	s_delay_alu instid0(VALU_DEP_1)
	v_and_b32_e32 v37, 1, v158
	v_lshlrev_b32_e32 v156, 30, v158
	v_lshlrev_b32_e32 v157, 29, v158
	;; [unrolled: 1-line block ×4, first 2 shown]
	v_add_co_u32 v37, s15, v37, -1
	s_wait_alu 0xf1ff
	v_cndmask_b32_e64 v161, 0, 1, s15
	v_not_b32_e32 v166, v156
	v_cmp_gt_i32_e64 s15, 0, v156
	v_not_b32_e32 v156, v157
	v_lshlrev_b32_e32 v164, 26, v158
	v_cmp_ne_u32_e32 vcc_lo, 0, v161
	v_ashrrev_i32_e32 v166, 31, v166
	v_lshlrev_b32_e32 v165, 25, v158
	v_ashrrev_i32_e32 v156, 31, v156
	v_lshlrev_b32_e32 v161, 24, v158
	s_wait_alu 0xfffd
	v_xor_b32_e32 v37, vcc_lo, v37
	v_cmp_gt_i32_e32 vcc_lo, 0, v157
	v_not_b32_e32 v157, v160
	s_wait_alu 0xf1ff
	v_xor_b32_e32 v166, s15, v166
	v_cmp_gt_i32_e64 s15, 0, v160
	v_and_b32_e32 v37, exec_lo, v37
	v_not_b32_e32 v160, v163
	v_ashrrev_i32_e32 v157, 31, v157
	s_wait_alu 0xfffd
	v_xor_b32_e32 v156, vcc_lo, v156
	v_cmp_gt_i32_e32 vcc_lo, 0, v163
	v_and_b32_e32 v37, v37, v166
	v_not_b32_e32 v163, v164
	v_ashrrev_i32_e32 v160, 31, v160
	s_wait_alu 0xf1ff
	v_xor_b32_e32 v157, s15, v157
	v_cmp_gt_i32_e64 s15, 0, v164
	v_and_b32_e32 v37, v37, v156
	v_not_b32_e32 v156, v165
	v_ashrrev_i32_e32 v163, 31, v163
	s_wait_alu 0xfffd
	v_xor_b32_e32 v160, vcc_lo, v160
	v_cmp_gt_i32_e32 vcc_lo, 0, v165
	v_and_b32_e32 v37, v37, v157
	v_not_b32_e32 v157, v161
	v_ashrrev_i32_e32 v156, 31, v156
	s_wait_alu 0xf1ff
	v_xor_b32_e32 v163, s15, v163
	v_cmp_gt_i32_e64 s15, 0, v161
	v_and_b32_e32 v37, v37, v160
	v_ashrrev_i32_e32 v157, 31, v157
	s_wait_alu 0xfffd
	v_xor_b32_e32 v156, vcc_lo, v156
	v_mad_u32_u24 v160, v158, 36, v114
	v_mul_u32_u24_e32 v158, 36, v158
	v_and_b32_e32 v37, v37, v163
	s_wait_alu 0xf1ff
	v_xor_b32_e32 v157, s15, v157
	s_delay_alu instid0(VALU_DEP_3) | instskip(NEXT) | instid1(VALU_DEP_3)
	v_add_nc_u32_e32 v158, v114, v158
	v_and_b32_e32 v37, v37, v156
	ds_load_b32 v156, v160 offset:1056
	; wave barrier
	v_and_b32_e32 v37, v37, v157
	s_delay_alu instid0(VALU_DEP_1) | instskip(SKIP_1) | instid1(VALU_DEP_2)
	v_mbcnt_lo_u32_b32 v157, v37, 0
	v_cmp_ne_u32_e64 s15, 0, v37
	v_cmp_eq_u32_e32 vcc_lo, 0, v157
	s_and_b32 s16, s15, vcc_lo
	s_wait_alu 0xfffe
	s_and_saveexec_b32 s15, s16
	s_cbranch_execz .LBB1434_144
; %bb.143:                              ;   in Loop: Header=BB1434_96 Depth=2
	s_wait_dscnt 0x0
	v_bcnt_u32_b32 v37, v37, v156
	ds_store_b32 v158, v37 offset:1056
.LBB1434_144:                           ;   in Loop: Header=BB1434_96 Depth=2
	s_wait_alu 0xfffe
	s_or_b32 exec_lo, exec_lo, s15
	v_cmp_lt_i32_e32 vcc_lo, -1, v155
	; wave barrier
	s_wait_alu 0xfffd
	v_cndmask_b32_e64 v37, -1, 0x80000000, vcc_lo
	s_delay_alu instid0(VALU_DEP_1) | instskip(NEXT) | instid1(VALU_DEP_1)
	v_xor_b32_e32 v155, v37, v155
	v_cmp_ne_u32_e32 vcc_lo, 0x7fffffff, v155
	s_wait_alu 0xfffd
	v_cndmask_b32_e32 v37, 0x80000000, v155, vcc_lo
	s_delay_alu instid0(VALU_DEP_1) | instskip(NEXT) | instid1(VALU_DEP_1)
	v_lshrrev_b32_e32 v37, s31, v37
	v_and_b32_e32 v163, s48, v37
	s_delay_alu instid0(VALU_DEP_1)
	v_and_b32_e32 v37, 1, v163
	v_lshlrev_b32_e32 v160, 30, v163
	v_lshlrev_b32_e32 v161, 29, v163
	v_lshlrev_b32_e32 v164, 28, v163
	v_lshlrev_b32_e32 v166, 27, v163
	v_add_co_u32 v37, s15, v37, -1
	s_wait_alu 0xf1ff
	v_cndmask_b32_e64 v165, 0, 1, s15
	v_not_b32_e32 v169, v160
	v_cmp_gt_i32_e64 s15, 0, v160
	v_not_b32_e32 v160, v161
	v_lshlrev_b32_e32 v167, 26, v163
	v_cmp_ne_u32_e32 vcc_lo, 0, v165
	v_ashrrev_i32_e32 v169, 31, v169
	v_lshlrev_b32_e32 v168, 25, v163
	v_ashrrev_i32_e32 v160, 31, v160
	v_lshlrev_b32_e32 v165, 24, v163
	s_wait_alu 0xfffd
	v_xor_b32_e32 v37, vcc_lo, v37
	v_cmp_gt_i32_e32 vcc_lo, 0, v161
	v_not_b32_e32 v161, v164
	s_wait_alu 0xf1ff
	v_xor_b32_e32 v169, s15, v169
	v_cmp_gt_i32_e64 s15, 0, v164
	v_and_b32_e32 v37, exec_lo, v37
	v_not_b32_e32 v164, v166
	v_ashrrev_i32_e32 v161, 31, v161
	s_wait_alu 0xfffd
	v_xor_b32_e32 v160, vcc_lo, v160
	v_cmp_gt_i32_e32 vcc_lo, 0, v166
	v_and_b32_e32 v37, v37, v169
	v_not_b32_e32 v166, v167
	v_ashrrev_i32_e32 v164, 31, v164
	s_wait_alu 0xf1ff
	v_xor_b32_e32 v161, s15, v161
	v_cmp_gt_i32_e64 s15, 0, v167
	v_and_b32_e32 v37, v37, v160
	v_not_b32_e32 v160, v168
	v_ashrrev_i32_e32 v166, 31, v166
	s_wait_alu 0xfffd
	v_xor_b32_e32 v164, vcc_lo, v164
	v_cmp_gt_i32_e32 vcc_lo, 0, v168
	v_and_b32_e32 v37, v37, v161
	v_not_b32_e32 v161, v165
	v_ashrrev_i32_e32 v160, 31, v160
	s_wait_alu 0xf1ff
	v_xor_b32_e32 v166, s15, v166
	v_cmp_gt_i32_e64 s15, 0, v165
	v_and_b32_e32 v37, v37, v164
	v_ashrrev_i32_e32 v161, 31, v161
	s_wait_alu 0xfffd
	v_xor_b32_e32 v160, vcc_lo, v160
	v_mad_u32_u24 v164, v163, 36, v114
	v_mul_u32_u24_e32 v163, 36, v163
	v_and_b32_e32 v37, v37, v166
	s_wait_alu 0xf1ff
	v_xor_b32_e32 v161, s15, v161
	s_delay_alu instid0(VALU_DEP_3) | instskip(NEXT) | instid1(VALU_DEP_3)
	v_add_nc_u32_e32 v163, v114, v163
	v_and_b32_e32 v37, v37, v160
	ds_load_b32 v160, v164 offset:1056
	; wave barrier
	v_and_b32_e32 v37, v37, v161
	s_delay_alu instid0(VALU_DEP_1) | instskip(SKIP_1) | instid1(VALU_DEP_2)
	v_mbcnt_lo_u32_b32 v161, v37, 0
	v_cmp_ne_u32_e64 s15, 0, v37
	v_cmp_eq_u32_e32 vcc_lo, 0, v161
	s_and_b32 s16, s15, vcc_lo
	s_wait_alu 0xfffe
	s_and_saveexec_b32 s15, s16
	s_cbranch_execz .LBB1434_146
; %bb.145:                              ;   in Loop: Header=BB1434_96 Depth=2
	s_wait_dscnt 0x0
	v_bcnt_u32_b32 v37, v37, v160
	ds_store_b32 v163, v37 offset:1056
.LBB1434_146:                           ;   in Loop: Header=BB1434_96 Depth=2
	s_wait_alu 0xfffe
	s_or_b32 exec_lo, exec_lo, s15
	v_cmp_lt_i32_e32 vcc_lo, -1, v159
	; wave barrier
	s_wait_alu 0xfffd
	v_cndmask_b32_e64 v37, -1, 0x80000000, vcc_lo
	s_delay_alu instid0(VALU_DEP_1) | instskip(NEXT) | instid1(VALU_DEP_1)
	v_xor_b32_e32 v159, v37, v159
	v_cmp_ne_u32_e32 vcc_lo, 0x7fffffff, v159
	s_wait_alu 0xfffd
	v_cndmask_b32_e32 v37, 0x80000000, v159, vcc_lo
	s_delay_alu instid0(VALU_DEP_1) | instskip(NEXT) | instid1(VALU_DEP_1)
	v_lshrrev_b32_e32 v37, s31, v37
	v_and_b32_e32 v166, s48, v37
	s_delay_alu instid0(VALU_DEP_1)
	v_and_b32_e32 v37, 1, v166
	v_lshlrev_b32_e32 v164, 30, v166
	v_lshlrev_b32_e32 v165, 29, v166
	v_lshlrev_b32_e32 v167, 28, v166
	v_lshlrev_b32_e32 v169, 27, v166
	v_add_co_u32 v37, s15, v37, -1
	s_wait_alu 0xf1ff
	v_cndmask_b32_e64 v168, 0, 1, s15
	v_not_b32_e32 v172, v164
	v_cmp_gt_i32_e64 s15, 0, v164
	v_not_b32_e32 v164, v165
	v_lshlrev_b32_e32 v170, 26, v166
	v_cmp_ne_u32_e32 vcc_lo, 0, v168
	v_ashrrev_i32_e32 v172, 31, v172
	v_lshlrev_b32_e32 v171, 25, v166
	v_ashrrev_i32_e32 v164, 31, v164
	v_lshlrev_b32_e32 v168, 24, v166
	s_wait_alu 0xfffd
	v_xor_b32_e32 v37, vcc_lo, v37
	v_cmp_gt_i32_e32 vcc_lo, 0, v165
	v_not_b32_e32 v165, v167
	s_wait_alu 0xf1ff
	v_xor_b32_e32 v172, s15, v172
	v_cmp_gt_i32_e64 s15, 0, v167
	v_and_b32_e32 v37, exec_lo, v37
	v_not_b32_e32 v167, v169
	v_ashrrev_i32_e32 v165, 31, v165
	s_wait_alu 0xfffd
	v_xor_b32_e32 v164, vcc_lo, v164
	v_cmp_gt_i32_e32 vcc_lo, 0, v169
	v_and_b32_e32 v37, v37, v172
	v_not_b32_e32 v169, v170
	v_ashrrev_i32_e32 v167, 31, v167
	s_wait_alu 0xf1ff
	v_xor_b32_e32 v165, s15, v165
	v_cmp_gt_i32_e64 s15, 0, v170
	v_and_b32_e32 v37, v37, v164
	v_not_b32_e32 v164, v171
	v_ashrrev_i32_e32 v169, 31, v169
	s_wait_alu 0xfffd
	v_xor_b32_e32 v167, vcc_lo, v167
	v_cmp_gt_i32_e32 vcc_lo, 0, v171
	v_and_b32_e32 v37, v37, v165
	v_not_b32_e32 v165, v168
	v_ashrrev_i32_e32 v164, 31, v164
	s_wait_alu 0xf1ff
	v_xor_b32_e32 v169, s15, v169
	v_cmp_gt_i32_e64 s15, 0, v168
	v_and_b32_e32 v37, v37, v167
	v_ashrrev_i32_e32 v165, 31, v165
	s_wait_alu 0xfffd
	v_xor_b32_e32 v164, vcc_lo, v164
	v_mad_u32_u24 v167, v166, 36, v114
	v_mul_u32_u24_e32 v166, 36, v166
	v_and_b32_e32 v37, v37, v169
	s_wait_alu 0xf1ff
	v_xor_b32_e32 v165, s15, v165
	s_delay_alu instid0(VALU_DEP_3) | instskip(NEXT) | instid1(VALU_DEP_3)
	v_add_nc_u32_e32 v166, v114, v166
	v_and_b32_e32 v37, v37, v164
	ds_load_b32 v164, v167 offset:1056
	; wave barrier
	v_and_b32_e32 v37, v37, v165
	s_delay_alu instid0(VALU_DEP_1) | instskip(SKIP_1) | instid1(VALU_DEP_2)
	v_mbcnt_lo_u32_b32 v165, v37, 0
	v_cmp_ne_u32_e64 s15, 0, v37
	v_cmp_eq_u32_e32 vcc_lo, 0, v165
	s_and_b32 s16, s15, vcc_lo
	s_wait_alu 0xfffe
	s_and_saveexec_b32 s15, s16
	s_cbranch_execz .LBB1434_148
; %bb.147:                              ;   in Loop: Header=BB1434_96 Depth=2
	s_wait_dscnt 0x0
	v_bcnt_u32_b32 v37, v37, v164
	ds_store_b32 v166, v37 offset:1056
.LBB1434_148:                           ;   in Loop: Header=BB1434_96 Depth=2
	s_wait_alu 0xfffe
	s_or_b32 exec_lo, exec_lo, s15
	v_cmp_lt_i32_e32 vcc_lo, -1, v162
	; wave barrier
	s_wait_alu 0xfffd
	v_cndmask_b32_e64 v37, -1, 0x80000000, vcc_lo
	s_delay_alu instid0(VALU_DEP_1) | instskip(NEXT) | instid1(VALU_DEP_1)
	v_xor_b32_e32 v162, v37, v162
	v_cmp_ne_u32_e32 vcc_lo, 0x7fffffff, v162
	s_wait_alu 0xfffd
	v_cndmask_b32_e32 v37, 0x80000000, v162, vcc_lo
	s_delay_alu instid0(VALU_DEP_1) | instskip(NEXT) | instid1(VALU_DEP_1)
	v_lshrrev_b32_e32 v37, s31, v37
	v_and_b32_e32 v167, s48, v37
	s_delay_alu instid0(VALU_DEP_1)
	v_and_b32_e32 v37, 1, v167
	v_lshlrev_b32_e32 v168, 30, v167
	v_lshlrev_b32_e32 v169, 29, v167
	;; [unrolled: 1-line block ×4, first 2 shown]
	v_add_co_u32 v37, s15, v37, -1
	s_wait_alu 0xf1ff
	v_cndmask_b32_e64 v171, 0, 1, s15
	v_not_b32_e32 v175, v168
	v_cmp_gt_i32_e64 s15, 0, v168
	v_not_b32_e32 v168, v169
	v_lshlrev_b32_e32 v173, 26, v167
	v_cmp_ne_u32_e32 vcc_lo, 0, v171
	v_ashrrev_i32_e32 v175, 31, v175
	v_lshlrev_b32_e32 v174, 25, v167
	v_ashrrev_i32_e32 v168, 31, v168
	v_lshlrev_b32_e32 v171, 24, v167
	s_wait_alu 0xfffd
	v_xor_b32_e32 v37, vcc_lo, v37
	v_cmp_gt_i32_e32 vcc_lo, 0, v169
	v_not_b32_e32 v169, v170
	s_wait_alu 0xf1ff
	v_xor_b32_e32 v175, s15, v175
	v_cmp_gt_i32_e64 s15, 0, v170
	v_and_b32_e32 v37, exec_lo, v37
	v_not_b32_e32 v170, v172
	v_ashrrev_i32_e32 v169, 31, v169
	s_wait_alu 0xfffd
	v_xor_b32_e32 v168, vcc_lo, v168
	v_cmp_gt_i32_e32 vcc_lo, 0, v172
	v_and_b32_e32 v37, v37, v175
	v_not_b32_e32 v172, v173
	v_ashrrev_i32_e32 v170, 31, v170
	s_wait_alu 0xf1ff
	v_xor_b32_e32 v169, s15, v169
	v_cmp_gt_i32_e64 s15, 0, v173
	v_and_b32_e32 v37, v37, v168
	v_not_b32_e32 v168, v174
	v_ashrrev_i32_e32 v172, 31, v172
	s_wait_alu 0xfffd
	v_xor_b32_e32 v170, vcc_lo, v170
	v_cmp_gt_i32_e32 vcc_lo, 0, v174
	v_and_b32_e32 v37, v37, v169
	v_not_b32_e32 v169, v171
	v_ashrrev_i32_e32 v168, 31, v168
	s_wait_alu 0xf1ff
	v_xor_b32_e32 v172, s15, v172
	v_cmp_gt_i32_e64 s15, 0, v171
	v_and_b32_e32 v37, v37, v170
	v_ashrrev_i32_e32 v169, 31, v169
	s_wait_alu 0xfffd
	v_xor_b32_e32 v168, vcc_lo, v168
	v_mad_u32_u24 v170, v167, 36, v114
	v_mul_u32_u24_e32 v167, 36, v167
	v_and_b32_e32 v37, v37, v172
	s_wait_alu 0xf1ff
	v_xor_b32_e32 v169, s15, v169
	s_delay_alu instid0(VALU_DEP_2) | instskip(SKIP_3) | instid1(VALU_DEP_1)
	v_and_b32_e32 v37, v37, v168
	ds_load_b32 v168, v170 offset:1056
	v_add_nc_u32_e32 v170, v114, v167
	; wave barrier
	v_and_b32_e32 v37, v37, v169
	v_mbcnt_lo_u32_b32 v169, v37, 0
	v_cmp_ne_u32_e64 s15, 0, v37
	s_delay_alu instid0(VALU_DEP_2)
	v_cmp_eq_u32_e32 vcc_lo, 0, v169
	s_and_b32 s16, s15, vcc_lo
	s_wait_alu 0xfffe
	s_and_saveexec_b32 s15, s16
	s_cbranch_execz .LBB1434_150
; %bb.149:                              ;   in Loop: Header=BB1434_96 Depth=2
	s_wait_dscnt 0x0
	v_bcnt_u32_b32 v37, v37, v168
	ds_store_b32 v170, v37 offset:1056
.LBB1434_150:                           ;   in Loop: Header=BB1434_96 Depth=2
	s_wait_alu 0xfffe
	s_or_b32 exec_lo, exec_lo, s15
	v_cmp_lt_i32_e32 vcc_lo, -1, v43
	; wave barrier
	s_wait_alu 0xfffd
	v_cndmask_b32_e64 v37, -1, 0x80000000, vcc_lo
	s_delay_alu instid0(VALU_DEP_1) | instskip(NEXT) | instid1(VALU_DEP_1)
	v_xor_b32_e32 v167, v37, v43
	v_cmp_ne_u32_e32 vcc_lo, 0x7fffffff, v167
	s_wait_alu 0xfffd
	v_cndmask_b32_e32 v37, 0x80000000, v167, vcc_lo
	s_delay_alu instid0(VALU_DEP_1) | instskip(NEXT) | instid1(VALU_DEP_1)
	v_lshrrev_b32_e32 v37, s31, v37
	v_and_b32_e32 v43, s48, v37
	s_delay_alu instid0(VALU_DEP_1)
	v_and_b32_e32 v37, 1, v43
	v_lshlrev_b32_e32 v171, 30, v43
	v_lshlrev_b32_e32 v172, 29, v43
	;; [unrolled: 1-line block ×4, first 2 shown]
	v_add_co_u32 v37, s15, v37, -1
	s_wait_alu 0xf1ff
	v_cndmask_b32_e64 v174, 0, 1, s15
	v_not_b32_e32 v178, v171
	v_cmp_gt_i32_e64 s15, 0, v171
	v_not_b32_e32 v171, v172
	v_lshlrev_b32_e32 v176, 26, v43
	v_cmp_ne_u32_e32 vcc_lo, 0, v174
	v_ashrrev_i32_e32 v178, 31, v178
	v_lshlrev_b32_e32 v177, 25, v43
	v_ashrrev_i32_e32 v171, 31, v171
	v_lshlrev_b32_e32 v174, 24, v43
	s_wait_alu 0xfffd
	v_xor_b32_e32 v37, vcc_lo, v37
	v_cmp_gt_i32_e32 vcc_lo, 0, v172
	v_not_b32_e32 v172, v173
	s_wait_alu 0xf1ff
	v_xor_b32_e32 v178, s15, v178
	v_cmp_gt_i32_e64 s15, 0, v173
	v_and_b32_e32 v37, exec_lo, v37
	v_not_b32_e32 v173, v175
	v_ashrrev_i32_e32 v172, 31, v172
	s_wait_alu 0xfffd
	v_xor_b32_e32 v171, vcc_lo, v171
	v_cmp_gt_i32_e32 vcc_lo, 0, v175
	v_and_b32_e32 v37, v37, v178
	v_not_b32_e32 v175, v176
	v_ashrrev_i32_e32 v173, 31, v173
	s_wait_alu 0xf1ff
	v_xor_b32_e32 v172, s15, v172
	v_cmp_gt_i32_e64 s15, 0, v176
	v_and_b32_e32 v37, v37, v171
	v_not_b32_e32 v171, v177
	v_ashrrev_i32_e32 v175, 31, v175
	s_wait_alu 0xfffd
	v_xor_b32_e32 v173, vcc_lo, v173
	v_cmp_gt_i32_e32 vcc_lo, 0, v177
	v_and_b32_e32 v37, v37, v172
	v_not_b32_e32 v172, v174
	v_ashrrev_i32_e32 v171, 31, v171
	s_wait_alu 0xf1ff
	v_xor_b32_e32 v175, s15, v175
	v_cmp_gt_i32_e64 s15, 0, v174
	v_and_b32_e32 v37, v37, v173
	v_ashrrev_i32_e32 v172, 31, v172
	s_wait_alu 0xfffd
	v_xor_b32_e32 v171, vcc_lo, v171
	v_mad_u32_u24 v173, v43, 36, v114
	v_mul_u32_u24_e32 v43, 36, v43
	v_and_b32_e32 v37, v37, v175
	s_wait_alu 0xf1ff
	v_xor_b32_e32 v174, s15, v172
	ds_load_b32 v172, v173 offset:1056
	v_and_b32_e32 v37, v37, v171
	; wave barrier
	s_delay_alu instid0(VALU_DEP_1) | instskip(SKIP_1) | instid1(VALU_DEP_2)
	v_and_b32_e32 v37, v37, v174
	v_add_nc_u32_e32 v174, v114, v43
	v_mbcnt_lo_u32_b32 v173, v37, 0
	v_cmp_ne_u32_e64 s15, 0, v37
	s_delay_alu instid0(VALU_DEP_2)
	v_cmp_eq_u32_e32 vcc_lo, 0, v173
	s_and_b32 s16, s15, vcc_lo
	s_wait_alu 0xfffe
	s_and_saveexec_b32 s15, s16
	s_cbranch_execz .LBB1434_152
; %bb.151:                              ;   in Loop: Header=BB1434_96 Depth=2
	s_wait_dscnt 0x0
	v_bcnt_u32_b32 v37, v37, v172
	ds_store_b32 v174, v37 offset:1056
.LBB1434_152:                           ;   in Loop: Header=BB1434_96 Depth=2
	s_wait_alu 0xfffe
	s_or_b32 exec_lo, exec_lo, s15
	v_cmp_lt_i32_e32 vcc_lo, -1, v42
	; wave barrier
	s_wait_alu 0xfffd
	v_cndmask_b32_e64 v37, -1, 0x80000000, vcc_lo
	s_delay_alu instid0(VALU_DEP_1) | instskip(NEXT) | instid1(VALU_DEP_1)
	v_xor_b32_e32 v171, v37, v42
	v_cmp_ne_u32_e32 vcc_lo, 0x7fffffff, v171
	s_wait_alu 0xfffd
	v_cndmask_b32_e32 v37, 0x80000000, v171, vcc_lo
	s_delay_alu instid0(VALU_DEP_1) | instskip(NEXT) | instid1(VALU_DEP_1)
	v_lshrrev_b32_e32 v37, s31, v37
	v_and_b32_e32 v42, s48, v37
	s_delay_alu instid0(VALU_DEP_1)
	v_and_b32_e32 v37, 1, v42
	v_lshlrev_b32_e32 v43, 30, v42
	v_lshlrev_b32_e32 v175, 29, v42
	;; [unrolled: 1-line block ×4, first 2 shown]
	v_add_co_u32 v37, s15, v37, -1
	s_wait_alu 0xf1ff
	v_cndmask_b32_e64 v177, 0, 1, s15
	v_not_b32_e32 v181, v43
	v_cmp_gt_i32_e64 s15, 0, v43
	v_not_b32_e32 v43, v175
	v_lshlrev_b32_e32 v179, 26, v42
	v_cmp_ne_u32_e32 vcc_lo, 0, v177
	v_ashrrev_i32_e32 v181, 31, v181
	v_lshlrev_b32_e32 v180, 25, v42
	v_ashrrev_i32_e32 v43, 31, v43
	v_lshlrev_b32_e32 v177, 24, v42
	s_wait_alu 0xfffd
	v_xor_b32_e32 v37, vcc_lo, v37
	v_cmp_gt_i32_e32 vcc_lo, 0, v175
	v_not_b32_e32 v175, v176
	s_wait_alu 0xf1ff
	v_xor_b32_e32 v181, s15, v181
	v_cmp_gt_i32_e64 s15, 0, v176
	v_and_b32_e32 v37, exec_lo, v37
	v_not_b32_e32 v176, v178
	v_ashrrev_i32_e32 v175, 31, v175
	s_wait_alu 0xfffd
	v_xor_b32_e32 v43, vcc_lo, v43
	v_cmp_gt_i32_e32 vcc_lo, 0, v178
	v_and_b32_e32 v37, v37, v181
	v_not_b32_e32 v178, v179
	v_ashrrev_i32_e32 v176, 31, v176
	s_wait_alu 0xf1ff
	v_xor_b32_e32 v175, s15, v175
	v_cmp_gt_i32_e64 s15, 0, v179
	v_and_b32_e32 v37, v37, v43
	v_not_b32_e32 v43, v180
	v_ashrrev_i32_e32 v178, 31, v178
	s_wait_alu 0xfffd
	v_xor_b32_e32 v176, vcc_lo, v176
	v_cmp_gt_i32_e32 vcc_lo, 0, v180
	v_and_b32_e32 v37, v37, v175
	v_not_b32_e32 v175, v177
	v_ashrrev_i32_e32 v43, 31, v43
	s_wait_alu 0xf1ff
	v_xor_b32_e32 v178, s15, v178
	v_cmp_gt_i32_e64 s15, 0, v177
	v_and_b32_e32 v37, v37, v176
	v_ashrrev_i32_e32 v175, 31, v175
	s_wait_alu 0xfffd
	v_xor_b32_e32 v43, vcc_lo, v43
	v_mad_u32_u24 v176, v42, 36, v114
	v_mul_u32_u24_e32 v42, 36, v42
	v_and_b32_e32 v37, v37, v178
	s_wait_alu 0xf1ff
	v_xor_b32_e32 v175, s15, v175
	ds_load_b32 v176, v176 offset:1056
	v_add_nc_u32_e32 v178, v114, v42
	v_and_b32_e32 v37, v37, v43
	; wave barrier
	s_delay_alu instid0(VALU_DEP_1) | instskip(NEXT) | instid1(VALU_DEP_1)
	v_and_b32_e32 v37, v37, v175
	v_mbcnt_lo_u32_b32 v177, v37, 0
	v_cmp_ne_u32_e64 s15, 0, v37
	s_delay_alu instid0(VALU_DEP_2)
	v_cmp_eq_u32_e32 vcc_lo, 0, v177
	s_and_b32 s16, s15, vcc_lo
	s_wait_alu 0xfffe
	s_and_saveexec_b32 s15, s16
	s_cbranch_execz .LBB1434_154
; %bb.153:                              ;   in Loop: Header=BB1434_96 Depth=2
	s_wait_dscnt 0x0
	v_bcnt_u32_b32 v37, v37, v176
	ds_store_b32 v178, v37 offset:1056
.LBB1434_154:                           ;   in Loop: Header=BB1434_96 Depth=2
	s_wait_alu 0xfffe
	s_or_b32 exec_lo, exec_lo, s15
	v_cmp_lt_i32_e32 vcc_lo, -1, v41
	; wave barrier
	s_wait_alu 0xfffd
	v_cndmask_b32_e64 v37, -1, 0x80000000, vcc_lo
	s_delay_alu instid0(VALU_DEP_1) | instskip(NEXT) | instid1(VALU_DEP_1)
	v_xor_b32_e32 v175, v37, v41
	v_cmp_ne_u32_e32 vcc_lo, 0x7fffffff, v175
	s_wait_alu 0xfffd
	v_cndmask_b32_e32 v37, 0x80000000, v175, vcc_lo
	s_delay_alu instid0(VALU_DEP_1) | instskip(NEXT) | instid1(VALU_DEP_1)
	v_lshrrev_b32_e32 v37, s31, v37
	v_and_b32_e32 v41, s48, v37
	s_delay_alu instid0(VALU_DEP_1)
	v_and_b32_e32 v37, 1, v41
	v_lshlrev_b32_e32 v42, 30, v41
	v_lshlrev_b32_e32 v43, 29, v41
	v_lshlrev_b32_e32 v179, 28, v41
	v_lshlrev_b32_e32 v181, 27, v41
	v_add_co_u32 v37, s15, v37, -1
	s_wait_alu 0xf1ff
	v_cndmask_b32_e64 v180, 0, 1, s15
	v_not_b32_e32 v184, v42
	v_cmp_gt_i32_e64 s15, 0, v42
	v_not_b32_e32 v42, v43
	v_lshlrev_b32_e32 v182, 26, v41
	v_cmp_ne_u32_e32 vcc_lo, 0, v180
	v_ashrrev_i32_e32 v184, 31, v184
	v_lshlrev_b32_e32 v183, 25, v41
	v_ashrrev_i32_e32 v42, 31, v42
	v_lshlrev_b32_e32 v180, 24, v41
	s_wait_alu 0xfffd
	v_xor_b32_e32 v37, vcc_lo, v37
	v_cmp_gt_i32_e32 vcc_lo, 0, v43
	v_not_b32_e32 v43, v179
	s_wait_alu 0xf1ff
	v_xor_b32_e32 v184, s15, v184
	v_cmp_gt_i32_e64 s15, 0, v179
	v_and_b32_e32 v37, exec_lo, v37
	v_not_b32_e32 v179, v181
	v_ashrrev_i32_e32 v43, 31, v43
	s_wait_alu 0xfffd
	v_xor_b32_e32 v42, vcc_lo, v42
	v_cmp_gt_i32_e32 vcc_lo, 0, v181
	v_and_b32_e32 v37, v37, v184
	v_not_b32_e32 v181, v182
	v_ashrrev_i32_e32 v179, 31, v179
	s_wait_alu 0xf1ff
	v_xor_b32_e32 v43, s15, v43
	v_cmp_gt_i32_e64 s15, 0, v182
	v_and_b32_e32 v37, v37, v42
	v_not_b32_e32 v42, v183
	v_ashrrev_i32_e32 v181, 31, v181
	s_wait_alu 0xfffd
	v_xor_b32_e32 v179, vcc_lo, v179
	v_cmp_gt_i32_e32 vcc_lo, 0, v183
	v_and_b32_e32 v37, v37, v43
	v_not_b32_e32 v43, v180
	v_ashrrev_i32_e32 v42, 31, v42
	s_wait_alu 0xf1ff
	v_xor_b32_e32 v181, s15, v181
	v_cmp_gt_i32_e64 s15, 0, v180
	v_and_b32_e32 v37, v37, v179
	v_ashrrev_i32_e32 v43, 31, v43
	s_wait_alu 0xfffd
	v_xor_b32_e32 v42, vcc_lo, v42
	v_mad_u32_u24 v179, v41, 36, v114
	v_mul_u32_u24_e32 v41, 36, v41
	v_and_b32_e32 v37, v37, v181
	s_wait_alu 0xf1ff
	v_xor_b32_e32 v43, s15, v43
	ds_load_b32 v180, v179 offset:1056
	v_add_nc_u32_e32 v182, v114, v41
	v_and_b32_e32 v37, v37, v42
	; wave barrier
	s_delay_alu instid0(VALU_DEP_1) | instskip(NEXT) | instid1(VALU_DEP_1)
	v_and_b32_e32 v37, v37, v43
	v_mbcnt_lo_u32_b32 v181, v37, 0
	v_cmp_ne_u32_e64 s15, 0, v37
	s_delay_alu instid0(VALU_DEP_2)
	v_cmp_eq_u32_e32 vcc_lo, 0, v181
	s_and_b32 s16, s15, vcc_lo
	s_wait_alu 0xfffe
	s_and_saveexec_b32 s15, s16
	s_cbranch_execz .LBB1434_156
; %bb.155:                              ;   in Loop: Header=BB1434_96 Depth=2
	s_wait_dscnt 0x0
	v_bcnt_u32_b32 v37, v37, v180
	ds_store_b32 v182, v37 offset:1056
.LBB1434_156:                           ;   in Loop: Header=BB1434_96 Depth=2
	s_wait_alu 0xfffe
	s_or_b32 exec_lo, exec_lo, s15
	v_cmp_lt_i32_e32 vcc_lo, -1, v40
	; wave barrier
	s_wait_alu 0xfffd
	v_cndmask_b32_e64 v37, -1, 0x80000000, vcc_lo
	s_delay_alu instid0(VALU_DEP_1) | instskip(NEXT) | instid1(VALU_DEP_1)
	v_xor_b32_e32 v179, v37, v40
	v_cmp_ne_u32_e32 vcc_lo, 0x7fffffff, v179
	s_wait_alu 0xfffd
	v_cndmask_b32_e32 v37, 0x80000000, v179, vcc_lo
	s_delay_alu instid0(VALU_DEP_1) | instskip(NEXT) | instid1(VALU_DEP_1)
	v_lshrrev_b32_e32 v37, s31, v37
	v_and_b32_e32 v40, s48, v37
	s_delay_alu instid0(VALU_DEP_1)
	v_and_b32_e32 v37, 1, v40
	v_lshlrev_b32_e32 v41, 30, v40
	v_lshlrev_b32_e32 v42, 29, v40
	v_lshlrev_b32_e32 v43, 28, v40
	v_lshlrev_b32_e32 v184, 27, v40
	v_add_co_u32 v37, s15, v37, -1
	s_wait_alu 0xf1ff
	v_cndmask_b32_e64 v183, 0, 1, s15
	v_not_b32_e32 v187, v41
	v_cmp_gt_i32_e64 s15, 0, v41
	v_not_b32_e32 v41, v42
	v_lshlrev_b32_e32 v185, 26, v40
	v_cmp_ne_u32_e32 vcc_lo, 0, v183
	v_ashrrev_i32_e32 v187, 31, v187
	v_lshlrev_b32_e32 v186, 25, v40
	v_ashrrev_i32_e32 v41, 31, v41
	v_lshlrev_b32_e32 v183, 24, v40
	s_wait_alu 0xfffd
	v_xor_b32_e32 v37, vcc_lo, v37
	v_cmp_gt_i32_e32 vcc_lo, 0, v42
	v_not_b32_e32 v42, v43
	s_wait_alu 0xf1ff
	v_xor_b32_e32 v187, s15, v187
	v_cmp_gt_i32_e64 s15, 0, v43
	v_and_b32_e32 v37, exec_lo, v37
	v_not_b32_e32 v43, v184
	v_ashrrev_i32_e32 v42, 31, v42
	s_wait_alu 0xfffd
	v_xor_b32_e32 v41, vcc_lo, v41
	v_cmp_gt_i32_e32 vcc_lo, 0, v184
	v_and_b32_e32 v37, v37, v187
	v_not_b32_e32 v184, v185
	v_ashrrev_i32_e32 v43, 31, v43
	s_wait_alu 0xf1ff
	v_xor_b32_e32 v42, s15, v42
	v_cmp_gt_i32_e64 s15, 0, v185
	v_and_b32_e32 v37, v37, v41
	v_not_b32_e32 v41, v186
	v_ashrrev_i32_e32 v184, 31, v184
	s_wait_alu 0xfffd
	v_xor_b32_e32 v43, vcc_lo, v43
	v_cmp_gt_i32_e32 vcc_lo, 0, v186
	v_and_b32_e32 v37, v37, v42
	v_not_b32_e32 v42, v183
	v_ashrrev_i32_e32 v41, 31, v41
	s_wait_alu 0xf1ff
	v_xor_b32_e32 v184, s15, v184
	v_cmp_gt_i32_e64 s15, 0, v183
	v_and_b32_e32 v37, v37, v43
	v_ashrrev_i32_e32 v42, 31, v42
	s_wait_alu 0xfffd
	v_xor_b32_e32 v41, vcc_lo, v41
	v_mad_u32_u24 v43, v40, 36, v114
	v_mul_u32_u24_e32 v40, 36, v40
	v_and_b32_e32 v37, v37, v184
	s_wait_alu 0xf1ff
	v_xor_b32_e32 v42, s15, v42
	ds_load_b32 v184, v43 offset:1056
	v_add_nc_u32_e32 v186, v114, v40
	v_and_b32_e32 v37, v37, v41
	; wave barrier
	s_delay_alu instid0(VALU_DEP_1) | instskip(NEXT) | instid1(VALU_DEP_1)
	v_and_b32_e32 v37, v37, v42
	v_mbcnt_lo_u32_b32 v185, v37, 0
	v_cmp_ne_u32_e64 s15, 0, v37
	s_delay_alu instid0(VALU_DEP_2)
	v_cmp_eq_u32_e32 vcc_lo, 0, v185
	s_and_b32 s16, s15, vcc_lo
	s_wait_alu 0xfffe
	s_and_saveexec_b32 s15, s16
	s_cbranch_execz .LBB1434_158
; %bb.157:                              ;   in Loop: Header=BB1434_96 Depth=2
	s_wait_dscnt 0x0
	v_bcnt_u32_b32 v37, v37, v184
	ds_store_b32 v186, v37 offset:1056
.LBB1434_158:                           ;   in Loop: Header=BB1434_96 Depth=2
	s_wait_alu 0xfffe
	s_or_b32 exec_lo, exec_lo, s15
	v_cmp_lt_i32_e32 vcc_lo, -1, v39
	; wave barrier
	s_wait_alu 0xfffd
	v_cndmask_b32_e64 v37, -1, 0x80000000, vcc_lo
	s_delay_alu instid0(VALU_DEP_1) | instskip(NEXT) | instid1(VALU_DEP_1)
	v_xor_b32_e32 v183, v37, v39
	v_cmp_ne_u32_e32 vcc_lo, 0x7fffffff, v183
	s_wait_alu 0xfffd
	v_cndmask_b32_e32 v37, 0x80000000, v183, vcc_lo
	s_delay_alu instid0(VALU_DEP_1) | instskip(NEXT) | instid1(VALU_DEP_1)
	v_lshrrev_b32_e32 v37, s31, v37
	v_and_b32_e32 v39, s48, v37
	s_delay_alu instid0(VALU_DEP_1)
	v_and_b32_e32 v37, 1, v39
	v_lshlrev_b32_e32 v40, 30, v39
	v_lshlrev_b32_e32 v41, 29, v39
	;; [unrolled: 1-line block ×4, first 2 shown]
	v_add_co_u32 v37, s15, v37, -1
	s_wait_alu 0xf1ff
	v_cndmask_b32_e64 v43, 0, 1, s15
	v_not_b32_e32 v190, v40
	v_cmp_gt_i32_e64 s15, 0, v40
	v_not_b32_e32 v40, v41
	v_lshlrev_b32_e32 v188, 26, v39
	v_cmp_ne_u32_e32 vcc_lo, 0, v43
	v_ashrrev_i32_e32 v190, 31, v190
	v_lshlrev_b32_e32 v189, 25, v39
	v_ashrrev_i32_e32 v40, 31, v40
	v_lshlrev_b32_e32 v43, 24, v39
	s_wait_alu 0xfffd
	v_xor_b32_e32 v37, vcc_lo, v37
	v_cmp_gt_i32_e32 vcc_lo, 0, v41
	v_not_b32_e32 v41, v42
	s_wait_alu 0xf1ff
	v_xor_b32_e32 v190, s15, v190
	v_cmp_gt_i32_e64 s15, 0, v42
	v_and_b32_e32 v37, exec_lo, v37
	v_not_b32_e32 v42, v187
	v_ashrrev_i32_e32 v41, 31, v41
	s_wait_alu 0xfffd
	v_xor_b32_e32 v40, vcc_lo, v40
	v_cmp_gt_i32_e32 vcc_lo, 0, v187
	v_and_b32_e32 v37, v37, v190
	v_not_b32_e32 v187, v188
	v_ashrrev_i32_e32 v42, 31, v42
	s_wait_alu 0xf1ff
	v_xor_b32_e32 v41, s15, v41
	v_cmp_gt_i32_e64 s15, 0, v188
	v_and_b32_e32 v37, v37, v40
	v_not_b32_e32 v40, v189
	v_ashrrev_i32_e32 v187, 31, v187
	s_wait_alu 0xfffd
	v_xor_b32_e32 v42, vcc_lo, v42
	v_cmp_gt_i32_e32 vcc_lo, 0, v189
	v_and_b32_e32 v37, v37, v41
	v_not_b32_e32 v41, v43
	v_ashrrev_i32_e32 v40, 31, v40
	s_wait_alu 0xf1ff
	v_xor_b32_e32 v187, s15, v187
	v_cmp_gt_i32_e64 s15, 0, v43
	v_and_b32_e32 v37, v37, v42
	v_ashrrev_i32_e32 v41, 31, v41
	s_wait_alu 0xfffd
	v_xor_b32_e32 v40, vcc_lo, v40
	v_mad_u32_u24 v42, v39, 36, v114
	v_mul_u32_u24_e32 v39, 36, v39
	v_and_b32_e32 v37, v37, v187
	s_wait_alu 0xf1ff
	v_xor_b32_e32 v41, s15, v41
	ds_load_b32 v188, v42 offset:1056
	v_add_nc_u32_e32 v190, v114, v39
	v_and_b32_e32 v37, v37, v40
	; wave barrier
	s_delay_alu instid0(VALU_DEP_1) | instskip(NEXT) | instid1(VALU_DEP_1)
	v_and_b32_e32 v37, v37, v41
	v_mbcnt_lo_u32_b32 v189, v37, 0
	v_cmp_ne_u32_e64 s15, 0, v37
	s_delay_alu instid0(VALU_DEP_2)
	v_cmp_eq_u32_e32 vcc_lo, 0, v189
	s_and_b32 s16, s15, vcc_lo
	s_wait_alu 0xfffe
	s_and_saveexec_b32 s15, s16
	s_cbranch_execz .LBB1434_160
; %bb.159:                              ;   in Loop: Header=BB1434_96 Depth=2
	s_wait_dscnt 0x0
	v_bcnt_u32_b32 v37, v37, v188
	ds_store_b32 v190, v37 offset:1056
.LBB1434_160:                           ;   in Loop: Header=BB1434_96 Depth=2
	s_wait_alu 0xfffe
	s_or_b32 exec_lo, exec_lo, s15
	v_cmp_lt_i32_e32 vcc_lo, -1, v38
	; wave barrier
	s_wait_alu 0xfffd
	v_cndmask_b32_e64 v37, -1, 0x80000000, vcc_lo
	s_delay_alu instid0(VALU_DEP_1) | instskip(NEXT) | instid1(VALU_DEP_1)
	v_xor_b32_e32 v187, v37, v38
	v_cmp_ne_u32_e32 vcc_lo, 0x7fffffff, v187
	s_wait_alu 0xfffd
	v_cndmask_b32_e32 v37, 0x80000000, v187, vcc_lo
	s_delay_alu instid0(VALU_DEP_1) | instskip(NEXT) | instid1(VALU_DEP_1)
	v_lshrrev_b32_e32 v37, s31, v37
	v_and_b32_e32 v38, s48, v37
	s_delay_alu instid0(VALU_DEP_1)
	v_and_b32_e32 v37, 1, v38
	v_lshlrev_b32_e32 v39, 30, v38
	v_lshlrev_b32_e32 v40, 29, v38
	;; [unrolled: 1-line block ×4, first 2 shown]
	v_add_co_u32 v37, s15, v37, -1
	s_wait_alu 0xf1ff
	v_cndmask_b32_e64 v42, 0, 1, s15
	v_not_b32_e32 v193, v39
	v_cmp_gt_i32_e64 s15, 0, v39
	v_not_b32_e32 v39, v40
	v_lshlrev_b32_e32 v191, 26, v38
	v_cmp_ne_u32_e32 vcc_lo, 0, v42
	v_ashrrev_i32_e32 v193, 31, v193
	v_lshlrev_b32_e32 v192, 25, v38
	v_ashrrev_i32_e32 v39, 31, v39
	v_lshlrev_b32_e32 v42, 24, v38
	s_wait_alu 0xfffd
	v_xor_b32_e32 v37, vcc_lo, v37
	v_cmp_gt_i32_e32 vcc_lo, 0, v40
	v_not_b32_e32 v40, v41
	s_wait_alu 0xf1ff
	v_xor_b32_e32 v193, s15, v193
	v_cmp_gt_i32_e64 s15, 0, v41
	v_and_b32_e32 v37, exec_lo, v37
	v_not_b32_e32 v41, v43
	v_ashrrev_i32_e32 v40, 31, v40
	s_wait_alu 0xfffd
	v_xor_b32_e32 v39, vcc_lo, v39
	v_cmp_gt_i32_e32 vcc_lo, 0, v43
	v_and_b32_e32 v37, v37, v193
	v_not_b32_e32 v43, v191
	v_ashrrev_i32_e32 v41, 31, v41
	s_wait_alu 0xf1ff
	v_xor_b32_e32 v40, s15, v40
	v_cmp_gt_i32_e64 s15, 0, v191
	v_and_b32_e32 v37, v37, v39
	v_not_b32_e32 v39, v192
	v_ashrrev_i32_e32 v43, 31, v43
	s_wait_alu 0xfffd
	v_xor_b32_e32 v41, vcc_lo, v41
	v_cmp_gt_i32_e32 vcc_lo, 0, v192
	v_and_b32_e32 v37, v37, v40
	v_not_b32_e32 v40, v42
	v_ashrrev_i32_e32 v39, 31, v39
	s_wait_alu 0xf1ff
	v_xor_b32_e32 v43, s15, v43
	v_cmp_gt_i32_e64 s15, 0, v42
	v_and_b32_e32 v37, v37, v41
	v_ashrrev_i32_e32 v40, 31, v40
	s_wait_alu 0xfffd
	v_xor_b32_e32 v39, vcc_lo, v39
	v_mad_u32_u24 v41, v38, 36, v114
	v_mul_u32_u24_e32 v38, 36, v38
	v_and_b32_e32 v37, v37, v43
	s_wait_alu 0xf1ff
	v_xor_b32_e32 v40, s15, v40
	ds_load_b32 v192, v41 offset:1056
	v_add_nc_u32_e32 v194, v114, v38
	v_and_b32_e32 v37, v37, v39
	; wave barrier
	s_delay_alu instid0(VALU_DEP_1) | instskip(NEXT) | instid1(VALU_DEP_1)
	v_and_b32_e32 v37, v37, v40
	v_mbcnt_lo_u32_b32 v193, v37, 0
	v_cmp_ne_u32_e64 s15, 0, v37
	s_delay_alu instid0(VALU_DEP_2)
	v_cmp_eq_u32_e32 vcc_lo, 0, v193
	s_and_b32 s16, s15, vcc_lo
	s_wait_alu 0xfffe
	s_and_saveexec_b32 s15, s16
	s_cbranch_execz .LBB1434_162
; %bb.161:                              ;   in Loop: Header=BB1434_96 Depth=2
	s_wait_dscnt 0x0
	v_bcnt_u32_b32 v37, v37, v192
	ds_store_b32 v194, v37 offset:1056
.LBB1434_162:                           ;   in Loop: Header=BB1434_96 Depth=2
	s_wait_alu 0xfffe
	s_or_b32 exec_lo, exec_lo, s15
	v_cmp_lt_i32_e32 vcc_lo, -1, v36
	; wave barrier
	s_wait_alu 0xfffd
	v_cndmask_b32_e64 v37, -1, 0x80000000, vcc_lo
	s_delay_alu instid0(VALU_DEP_1) | instskip(NEXT) | instid1(VALU_DEP_1)
	v_xor_b32_e32 v191, v37, v36
	v_cmp_ne_u32_e32 vcc_lo, 0x7fffffff, v191
	s_wait_alu 0xfffd
	v_cndmask_b32_e32 v36, 0x80000000, v191, vcc_lo
	s_delay_alu instid0(VALU_DEP_1) | instskip(NEXT) | instid1(VALU_DEP_1)
	v_lshrrev_b32_e32 v36, s31, v36
	v_and_b32_e32 v37, s48, v36
	s_delay_alu instid0(VALU_DEP_1)
	v_and_b32_e32 v36, 1, v37
	v_lshlrev_b32_e32 v38, 30, v37
	v_lshlrev_b32_e32 v39, 29, v37
	v_lshlrev_b32_e32 v40, 28, v37
	v_lshlrev_b32_e32 v42, 27, v37
	v_add_co_u32 v36, s15, v36, -1
	s_wait_alu 0xf1ff
	v_cndmask_b32_e64 v41, 0, 1, s15
	v_not_b32_e32 v196, v38
	v_cmp_gt_i32_e64 s15, 0, v38
	v_not_b32_e32 v38, v39
	v_lshlrev_b32_e32 v43, 26, v37
	v_cmp_ne_u32_e32 vcc_lo, 0, v41
	v_ashrrev_i32_e32 v196, 31, v196
	v_lshlrev_b32_e32 v195, 25, v37
	v_ashrrev_i32_e32 v38, 31, v38
	v_lshlrev_b32_e32 v41, 24, v37
	s_wait_alu 0xfffd
	v_xor_b32_e32 v36, vcc_lo, v36
	v_cmp_gt_i32_e32 vcc_lo, 0, v39
	v_not_b32_e32 v39, v40
	s_wait_alu 0xf1ff
	v_xor_b32_e32 v196, s15, v196
	v_cmp_gt_i32_e64 s15, 0, v40
	v_and_b32_e32 v36, exec_lo, v36
	v_not_b32_e32 v40, v42
	v_ashrrev_i32_e32 v39, 31, v39
	s_wait_alu 0xfffd
	v_xor_b32_e32 v38, vcc_lo, v38
	v_cmp_gt_i32_e32 vcc_lo, 0, v42
	v_and_b32_e32 v36, v36, v196
	v_not_b32_e32 v42, v43
	v_ashrrev_i32_e32 v40, 31, v40
	s_wait_alu 0xf1ff
	v_xor_b32_e32 v39, s15, v39
	v_cmp_gt_i32_e64 s15, 0, v43
	v_and_b32_e32 v36, v36, v38
	v_not_b32_e32 v38, v195
	v_ashrrev_i32_e32 v42, 31, v42
	s_wait_alu 0xfffd
	v_xor_b32_e32 v40, vcc_lo, v40
	v_cmp_gt_i32_e32 vcc_lo, 0, v195
	v_and_b32_e32 v36, v36, v39
	v_not_b32_e32 v39, v41
	v_ashrrev_i32_e32 v38, 31, v38
	s_wait_alu 0xf1ff
	v_xor_b32_e32 v42, s15, v42
	v_cmp_gt_i32_e64 s15, 0, v41
	v_and_b32_e32 v36, v36, v40
	v_ashrrev_i32_e32 v39, 31, v39
	s_wait_alu 0xfffd
	v_xor_b32_e32 v38, vcc_lo, v38
	v_mad_u32_u24 v40, v37, 36, v114
	v_mul_u32_u24_e32 v37, 36, v37
	v_and_b32_e32 v36, v36, v42
	s_wait_alu 0xf1ff
	v_xor_b32_e32 v39, s15, v39
	ds_load_b32 v195, v40 offset:1056
	v_add_nc_u32_e32 v197, v114, v37
	v_and_b32_e32 v36, v36, v38
	; wave barrier
	s_delay_alu instid0(VALU_DEP_1) | instskip(NEXT) | instid1(VALU_DEP_1)
	v_and_b32_e32 v36, v36, v39
	v_mbcnt_lo_u32_b32 v196, v36, 0
	v_cmp_ne_u32_e64 s15, 0, v36
	s_delay_alu instid0(VALU_DEP_2)
	v_cmp_eq_u32_e32 vcc_lo, 0, v196
	s_and_b32 s16, s15, vcc_lo
	s_wait_alu 0xfffe
	s_and_saveexec_b32 s15, s16
	s_cbranch_execz .LBB1434_164
; %bb.163:                              ;   in Loop: Header=BB1434_96 Depth=2
	s_wait_dscnt 0x0
	v_bcnt_u32_b32 v36, v36, v195
	ds_store_b32 v197, v36 offset:1056
.LBB1434_164:                           ;   in Loop: Header=BB1434_96 Depth=2
	s_wait_alu 0xfffe
	s_or_b32 exec_lo, exec_lo, s15
	; wave barrier
	s_wait_loadcnt_dscnt 0x0
	s_barrier_signal -1
	s_barrier_wait -1
	global_inv scope:SCOPE_SE
	ds_load_2addr_b32 v[42:43], v135 offset1:1
	ds_load_2addr_b32 v[40:41], v136 offset1:1
	ds_load_2addr_b32 v[38:39], v137 offset1:1
	ds_load_2addr_b32 v[36:37], v134 offset1:1
	ds_load_b32 v198, v67 offset:1088
	s_wait_dscnt 0x3
	v_add3_u32 v199, v43, v42, v40
	s_wait_dscnt 0x2
	s_delay_alu instid0(VALU_DEP_1) | instskip(SKIP_1) | instid1(VALU_DEP_1)
	v_add3_u32 v199, v199, v41, v38
	s_wait_dscnt 0x1
	v_add3_u32 v199, v199, v39, v36
	s_wait_dscnt 0x0
	s_delay_alu instid0(VALU_DEP_1) | instskip(NEXT) | instid1(VALU_DEP_1)
	v_add3_u32 v198, v199, v37, v198
	v_mov_b32_dpp v199, v198 row_shr:1 row_mask:0xf bank_mask:0xf
	s_delay_alu instid0(VALU_DEP_1) | instskip(NEXT) | instid1(VALU_DEP_1)
	v_cndmask_b32_e64 v199, v199, 0, s0
	v_add_nc_u32_e32 v198, v199, v198
	s_delay_alu instid0(VALU_DEP_1) | instskip(NEXT) | instid1(VALU_DEP_1)
	v_mov_b32_dpp v199, v198 row_shr:2 row_mask:0xf bank_mask:0xf
	v_cndmask_b32_e64 v199, 0, v199, s1
	s_delay_alu instid0(VALU_DEP_1) | instskip(NEXT) | instid1(VALU_DEP_1)
	v_add_nc_u32_e32 v198, v198, v199
	v_mov_b32_dpp v199, v198 row_shr:4 row_mask:0xf bank_mask:0xf
	s_delay_alu instid0(VALU_DEP_1) | instskip(NEXT) | instid1(VALU_DEP_1)
	v_cndmask_b32_e64 v199, 0, v199, s9
	v_add_nc_u32_e32 v198, v198, v199
	s_delay_alu instid0(VALU_DEP_1) | instskip(NEXT) | instid1(VALU_DEP_1)
	v_mov_b32_dpp v199, v198 row_shr:8 row_mask:0xf bank_mask:0xf
	v_cndmask_b32_e64 v199, 0, v199, s10
	s_delay_alu instid0(VALU_DEP_1) | instskip(SKIP_3) | instid1(VALU_DEP_1)
	v_add_nc_u32_e32 v198, v198, v199
	ds_swizzle_b32 v199, v198 offset:swizzle(BROADCAST,32,15)
	s_wait_dscnt 0x0
	v_cndmask_b32_e64 v199, v199, 0, s11
	v_add_nc_u32_e32 v198, v198, v199
	s_and_saveexec_b32 s15, s3
; %bb.165:                              ;   in Loop: Header=BB1434_96 Depth=2
	ds_store_b32 v63, v198 offset:1024
; %bb.166:                              ;   in Loop: Header=BB1434_96 Depth=2
	s_wait_alu 0xfffe
	s_or_b32 exec_lo, exec_lo, s15
	s_wait_loadcnt_dscnt 0x0
	s_barrier_signal -1
	s_barrier_wait -1
	global_inv scope:SCOPE_SE
	s_and_saveexec_b32 s15, s4
	s_cbranch_execz .LBB1434_168
; %bb.167:                              ;   in Loop: Header=BB1434_96 Depth=2
	ds_load_b32 v199, v70 offset:1024
	s_wait_dscnt 0x0
	v_mov_b32_dpp v200, v199 row_shr:1 row_mask:0xf bank_mask:0xf
	s_delay_alu instid0(VALU_DEP_1) | instskip(NEXT) | instid1(VALU_DEP_1)
	v_cndmask_b32_e64 v200, v200, 0, s12
	v_add_nc_u32_e32 v199, v200, v199
	s_delay_alu instid0(VALU_DEP_1) | instskip(NEXT) | instid1(VALU_DEP_1)
	v_mov_b32_dpp v200, v199 row_shr:2 row_mask:0xf bank_mask:0xf
	v_cndmask_b32_e64 v200, 0, v200, s13
	s_delay_alu instid0(VALU_DEP_1) | instskip(NEXT) | instid1(VALU_DEP_1)
	v_add_nc_u32_e32 v199, v199, v200
	v_mov_b32_dpp v200, v199 row_shr:4 row_mask:0xf bank_mask:0xf
	s_delay_alu instid0(VALU_DEP_1) | instskip(NEXT) | instid1(VALU_DEP_1)
	v_cndmask_b32_e64 v200, 0, v200, s14
	v_add_nc_u32_e32 v199, v199, v200
	ds_store_b32 v70, v199 offset:1024
.LBB1434_168:                           ;   in Loop: Header=BB1434_96 Depth=2
	s_wait_alu 0xfffe
	s_or_b32 exec_lo, exec_lo, s15
	v_mov_b32_e32 v199, 0
	s_wait_loadcnt_dscnt 0x0
	s_barrier_signal -1
	s_barrier_wait -1
	global_inv scope:SCOPE_SE
	s_and_saveexec_b32 s15, s5
; %bb.169:                              ;   in Loop: Header=BB1434_96 Depth=2
	ds_load_b32 v199, v63 offset:1020
; %bb.170:                              ;   in Loop: Header=BB1434_96 Depth=2
	s_wait_alu 0xfffe
	s_or_b32 exec_lo, exec_lo, s15
	s_wait_dscnt 0x0
	v_add_nc_u32_e32 v198, v199, v198
	ds_bpermute_b32 v198, v113, v198
	s_wait_dscnt 0x0
	v_cndmask_b32_e64 v198, v198, v199, s8
	s_delay_alu instid0(VALU_DEP_1) | instskip(NEXT) | instid1(VALU_DEP_1)
	v_cndmask_b32_e64 v198, v198, 0, s6
	v_add_nc_u32_e32 v42, v198, v42
	s_delay_alu instid0(VALU_DEP_1) | instskip(NEXT) | instid1(VALU_DEP_1)
	v_add_nc_u32_e32 v43, v42, v43
	v_add_nc_u32_e32 v40, v43, v40
	s_delay_alu instid0(VALU_DEP_1) | instskip(NEXT) | instid1(VALU_DEP_1)
	v_add_nc_u32_e32 v41, v40, v41
	;; [unrolled: 3-line block ×3, first 2 shown]
	v_add_nc_u32_e32 v36, v39, v36
	s_delay_alu instid0(VALU_DEP_1)
	v_add_nc_u32_e32 v37, v36, v37
	ds_store_2addr_b32 v134, v39, v36 offset1:1
	ds_store_2addr_b32 v135, v198, v42 offset1:1
	;; [unrolled: 1-line block ×4, first 2 shown]
	ds_store_b32 v67, v37 offset:1088
	s_wait_loadcnt_dscnt 0x0
	s_barrier_signal -1
	s_barrier_wait -1
	global_inv scope:SCOPE_SE
	ds_load_b32 v39, v138 offset:1056
	ds_load_b32 v41, v142 offset:1056
	ds_load_b32 v42, v146 offset:1056
	ds_load_b32 v43, v150 offset:1056
	ds_load_b32 v134, v154 offset:1056
	ds_load_b32 v135, v158 offset:1056
	ds_load_b32 v136, v163 offset:1056
	ds_load_b32 v158, v166 offset:1056
	ds_load_b32 v163, v170 offset:1056
	ds_load_b32 v166, v174 offset:1056
	ds_load_b32 v170, v178 offset:1056
	ds_load_b32 v174, v182 offset:1056
	ds_load_b32 v36, v186 offset:1056
	ds_load_b32 v37, v190 offset:1056
	ds_load_b32 v40, v194 offset:1056
	ds_load_b32 v154, v197 offset:1056
	ds_load_b32 v137, v67 offset:1056
	v_mov_b32_e32 v38, 0x1000
	s_and_saveexec_b32 s15, s7
; %bb.171:                              ;   in Loop: Header=BB1434_96 Depth=2
	ds_load_b32 v38, v67 offset:1092
; %bb.172:                              ;   in Loop: Header=BB1434_96 Depth=2
	s_wait_alu 0xfffe
	s_or_b32 exec_lo, exec_lo, s15
	s_wait_loadcnt_dscnt 0x0
	s_barrier_signal -1
	s_barrier_wait -1
	global_inv scope:SCOPE_SE
	s_and_saveexec_b32 s15, s2
	s_cbranch_execz .LBB1434_174
; %bb.173:                              ;   in Loop: Header=BB1434_96 Depth=2
	ds_load_b32 v138, v44
	s_wait_dscnt 0x0
	v_sub_nc_u32_e32 v137, v138, v137
	ds_store_b32 v44, v137
.LBB1434_174:                           ;   in Loop: Header=BB1434_96 Depth=2
	s_wait_alu 0xfffe
	s_or_b32 exec_lo, exec_lo, s15
	v_add_nc_u32_e32 v150, v39, v133
	v_add3_u32 v146, v141, v140, v41
	v_add3_u32 v142, v145, v144, v42
	;; [unrolled: 1-line block ×4, first 2 shown]
	v_lshlrev_b32_e32 v144, 2, v150
	v_add3_u32 v138, v157, v156, v135
	v_add3_u32 v137, v161, v160, v136
	;; [unrolled: 1-line block ×4, first 2 shown]
	ds_store_b32 v144, v2 offset:1024
	v_lshlrev_b32_e32 v2, 2, v146
	v_lshlrev_b32_e32 v36, 2, v142
	v_add3_u32 v135, v169, v168, v163
	v_add3_u32 v42, v189, v188, v37
	v_lshlrev_b32_e32 v37, 2, v141
	v_add3_u32 v134, v173, v172, v166
	v_lshlrev_b32_e32 v144, 2, v140
	;; [unrolled: 2-line block ×3, first 2 shown]
	v_add3_u32 v39, v181, v180, v174
	ds_store_b32 v2, v132 offset:1024
	ds_store_b32 v36, v139 offset:1024
	;; [unrolled: 1-line block ×5, first 2 shown]
	v_lshlrev_b32_e32 v2, 2, v137
	v_lshlrev_b32_e32 v36, 2, v136
	;; [unrolled: 1-line block ×3, first 2 shown]
	v_add3_u32 v41, v193, v192, v40
	v_lshlrev_b32_e32 v132, 2, v134
	v_add3_u32 v40, v196, v195, v154
	v_lshlrev_b32_e32 v139, 2, v133
	ds_store_b32 v2, v155 offset:1024
	ds_store_b32 v36, v159 offset:1024
	;; [unrolled: 1-line block ×5, first 2 shown]
	v_lshlrev_b32_e32 v2, 2, v39
	v_cmp_lt_u32_e32 vcc_lo, v1, v131
	v_lshlrev_b32_e32 v36, 2, v43
	v_lshlrev_b32_e32 v37, 2, v42
	;; [unrolled: 1-line block ×4, first 2 shown]
	ds_store_b32 v2, v175 offset:1024
	ds_store_b32 v36, v179 offset:1024
	;; [unrolled: 1-line block ×5, first 2 shown]
	s_wait_loadcnt_dscnt 0x0
	s_barrier_signal -1
	s_barrier_wait -1
	global_inv scope:SCOPE_SE
	s_and_saveexec_b32 s16, vcc_lo
	s_cbranch_execnz .LBB1434_243
; %bb.175:                              ;   in Loop: Header=BB1434_96 Depth=2
	s_wait_alu 0xfffe
	s_or_b32 exec_lo, exec_lo, s16
	v_cmp_lt_u32_e64 s15, v45, v131
	s_and_saveexec_b32 s17, s15
	s_cbranch_execnz .LBB1434_244
.LBB1434_176:                           ;   in Loop: Header=BB1434_96 Depth=2
	s_wait_alu 0xfffe
	s_or_b32 exec_lo, exec_lo, s17
	v_cmp_lt_u32_e64 s16, v46, v131
	s_and_saveexec_b32 s18, s16
	s_cbranch_execnz .LBB1434_245
.LBB1434_177:                           ;   in Loop: Header=BB1434_96 Depth=2
	s_wait_alu 0xfffe
	s_or_b32 exec_lo, exec_lo, s18
	v_cmp_lt_u32_e64 s17, v47, v131
	s_and_saveexec_b32 s19, s17
	s_cbranch_execnz .LBB1434_246
.LBB1434_178:                           ;   in Loop: Header=BB1434_96 Depth=2
	s_wait_alu 0xfffe
	s_or_b32 exec_lo, exec_lo, s19
	v_cmp_lt_u32_e64 s18, v50, v131
	s_and_saveexec_b32 s20, s18
	s_cbranch_execnz .LBB1434_247
.LBB1434_179:                           ;   in Loop: Header=BB1434_96 Depth=2
	s_wait_alu 0xfffe
	s_or_b32 exec_lo, exec_lo, s20
	v_cmp_lt_u32_e64 s19, v51, v131
	s_and_saveexec_b32 s21, s19
	s_cbranch_execnz .LBB1434_248
.LBB1434_180:                           ;   in Loop: Header=BB1434_96 Depth=2
	s_wait_alu 0xfffe
	s_or_b32 exec_lo, exec_lo, s21
	v_cmp_lt_u32_e64 s20, v52, v131
	s_and_saveexec_b32 s22, s20
	s_cbranch_execnz .LBB1434_249
.LBB1434_181:                           ;   in Loop: Header=BB1434_96 Depth=2
	s_wait_alu 0xfffe
	s_or_b32 exec_lo, exec_lo, s22
	v_cmp_lt_u32_e64 s21, v53, v131
	s_and_saveexec_b32 s23, s21
	s_cbranch_execnz .LBB1434_250
.LBB1434_182:                           ;   in Loop: Header=BB1434_96 Depth=2
	s_wait_alu 0xfffe
	s_or_b32 exec_lo, exec_lo, s23
	v_cmp_lt_u32_e64 s22, v54, v131
	s_and_saveexec_b32 s24, s22
	s_cbranch_execnz .LBB1434_251
.LBB1434_183:                           ;   in Loop: Header=BB1434_96 Depth=2
	s_wait_alu 0xfffe
	s_or_b32 exec_lo, exec_lo, s24
	v_cmp_lt_u32_e64 s23, v55, v131
	s_and_saveexec_b32 s25, s23
	s_cbranch_execnz .LBB1434_252
.LBB1434_184:                           ;   in Loop: Header=BB1434_96 Depth=2
	s_wait_alu 0xfffe
	s_or_b32 exec_lo, exec_lo, s25
	v_cmp_lt_u32_e64 s24, v56, v131
	s_and_saveexec_b32 s26, s24
	s_cbranch_execnz .LBB1434_253
.LBB1434_185:                           ;   in Loop: Header=BB1434_96 Depth=2
	s_wait_alu 0xfffe
	s_or_b32 exec_lo, exec_lo, s26
	v_cmp_lt_u32_e64 s25, v57, v131
	s_and_saveexec_b32 s27, s25
	s_cbranch_execnz .LBB1434_254
.LBB1434_186:                           ;   in Loop: Header=BB1434_96 Depth=2
	s_wait_alu 0xfffe
	s_or_b32 exec_lo, exec_lo, s27
	v_cmp_lt_u32_e64 s26, v58, v131
	s_and_saveexec_b32 s28, s26
	s_cbranch_execnz .LBB1434_255
.LBB1434_187:                           ;   in Loop: Header=BB1434_96 Depth=2
	s_wait_alu 0xfffe
	s_or_b32 exec_lo, exec_lo, s28
	v_cmp_lt_u32_e64 s27, v59, v131
	s_and_saveexec_b32 s29, s27
	s_cbranch_execnz .LBB1434_256
.LBB1434_188:                           ;   in Loop: Header=BB1434_96 Depth=2
	s_wait_alu 0xfffe
	s_or_b32 exec_lo, exec_lo, s29
	v_cmp_lt_u32_e64 s28, v60, v131
	s_and_saveexec_b32 s30, s28
	s_cbranch_execnz .LBB1434_257
.LBB1434_189:                           ;   in Loop: Header=BB1434_96 Depth=2
	s_wait_alu 0xfffe
	s_or_b32 exec_lo, exec_lo, s30
	v_cmp_lt_u32_e64 s29, v61, v131
	s_and_saveexec_b32 s56, s29
	s_cbranch_execz .LBB1434_191
.LBB1434_190:                           ;   in Loop: Header=BB1434_96 Depth=2
	ds_load_b32 v132, v70 offset:16384
	s_wait_dscnt 0x0
	v_cmp_ne_u32_e64 s30, 0x7fffffff, v132
	s_wait_alu 0xf1ff
	s_delay_alu instid0(VALU_DEP_1) | instskip(SKIP_1) | instid1(VALU_DEP_2)
	v_cndmask_b32_e64 v2, 0x80000000, v132, s30
	v_cmp_lt_i32_e64 s30, -1, v132
	v_lshrrev_b32_e32 v2, s31, v2
	s_wait_alu 0xf1ff
	s_delay_alu instid0(VALU_DEP_2) | instskip(NEXT) | instid1(VALU_DEP_2)
	v_cndmask_b32_e64 v139, 0x80000000, -1, s30
	v_and_b32_e32 v2, s48, v2
	s_delay_alu instid0(VALU_DEP_1) | instskip(SKIP_3) | instid1(VALU_DEP_1)
	v_lshlrev_b32_e32 v2, 2, v2
	ds_load_b32 v2, v2
	s_wait_dscnt 0x0
	v_add_nc_u32_e32 v2, v2, v61
	v_lshlrev_b64_e32 v[36:37], 2, v[2:3]
	v_xor_b32_e32 v2, v139, v132
	s_delay_alu instid0(VALU_DEP_2) | instskip(SKIP_1) | instid1(VALU_DEP_3)
	v_add_co_u32 v36, s30, s38, v36
	s_wait_alu 0xf1ff
	v_add_co_ci_u32_e64 v37, null, s39, v37, s30
	global_store_b32 v[36:37], v2, off
.LBB1434_191:                           ;   in Loop: Header=BB1434_96 Depth=2
	s_wait_alu 0xfffe
	s_or_b32 exec_lo, exec_lo, s56
	s_lshl_b64 s[56:57], s[42:43], 3
	s_wait_alu 0xfffe
	v_add_co_u32 v36, s30, v109, s56
	s_wait_alu 0xf1ff
	v_add_co_ci_u32_e64 v37, null, s57, v110, s30
	v_cmp_lt_u32_e64 s30, v88, v131
	s_and_saveexec_b32 s42, s30
	s_wait_alu 0xfffe
	s_xor_b32 s30, exec_lo, s42
	s_cbranch_execnz .LBB1434_258
; %bb.192:                              ;   in Loop: Header=BB1434_96 Depth=2
	s_wait_alu 0xfffe
	s_or_b32 exec_lo, exec_lo, s30
	s_delay_alu instid0(SALU_CYCLE_1)
	s_mov_b32 s42, exec_lo
	v_cmpx_lt_u32_e64 v92, v131
	s_cbranch_execnz .LBB1434_259
.LBB1434_193:                           ;   in Loop: Header=BB1434_96 Depth=2
	s_wait_alu 0xfffe
	s_or_b32 exec_lo, exec_lo, s42
	s_delay_alu instid0(SALU_CYCLE_1)
	s_mov_b32 s42, exec_lo
	v_cmpx_lt_u32_e64 v93, v131
	s_cbranch_execnz .LBB1434_260
.LBB1434_194:                           ;   in Loop: Header=BB1434_96 Depth=2
	s_wait_alu 0xfffe
	s_or_b32 exec_lo, exec_lo, s42
	s_delay_alu instid0(SALU_CYCLE_1)
	s_mov_b32 s42, exec_lo
	v_cmpx_lt_u32_e64 v94, v131
	s_cbranch_execnz .LBB1434_261
.LBB1434_195:                           ;   in Loop: Header=BB1434_96 Depth=2
	s_wait_alu 0xfffe
	s_or_b32 exec_lo, exec_lo, s42
	s_delay_alu instid0(SALU_CYCLE_1)
	s_mov_b32 s42, exec_lo
	v_cmpx_lt_u32_e64 v95, v131
	s_cbranch_execnz .LBB1434_262
.LBB1434_196:                           ;   in Loop: Header=BB1434_96 Depth=2
	s_wait_alu 0xfffe
	s_or_b32 exec_lo, exec_lo, s42
	s_delay_alu instid0(SALU_CYCLE_1)
	s_mov_b32 s42, exec_lo
	v_cmpx_lt_u32_e64 v96, v131
	s_cbranch_execnz .LBB1434_263
.LBB1434_197:                           ;   in Loop: Header=BB1434_96 Depth=2
	s_wait_alu 0xfffe
	s_or_b32 exec_lo, exec_lo, s42
	s_delay_alu instid0(SALU_CYCLE_1)
	s_mov_b32 s42, exec_lo
	v_cmpx_lt_u32_e64 v97, v131
	s_cbranch_execnz .LBB1434_264
.LBB1434_198:                           ;   in Loop: Header=BB1434_96 Depth=2
	s_wait_alu 0xfffe
	s_or_b32 exec_lo, exec_lo, s42
	s_delay_alu instid0(SALU_CYCLE_1)
	s_mov_b32 s42, exec_lo
	v_cmpx_lt_u32_e64 v98, v131
	s_cbranch_execnz .LBB1434_265
.LBB1434_199:                           ;   in Loop: Header=BB1434_96 Depth=2
	s_wait_alu 0xfffe
	s_or_b32 exec_lo, exec_lo, s42
	s_delay_alu instid0(SALU_CYCLE_1)
	s_mov_b32 s42, exec_lo
	v_cmpx_lt_u32_e64 v99, v131
	s_cbranch_execnz .LBB1434_266
.LBB1434_200:                           ;   in Loop: Header=BB1434_96 Depth=2
	s_wait_alu 0xfffe
	s_or_b32 exec_lo, exec_lo, s42
	s_delay_alu instid0(SALU_CYCLE_1)
	s_mov_b32 s42, exec_lo
	v_cmpx_lt_u32_e64 v100, v131
	s_cbranch_execnz .LBB1434_267
.LBB1434_201:                           ;   in Loop: Header=BB1434_96 Depth=2
	s_wait_alu 0xfffe
	s_or_b32 exec_lo, exec_lo, s42
	s_delay_alu instid0(SALU_CYCLE_1)
	s_mov_b32 s42, exec_lo
	v_cmpx_lt_u32_e64 v101, v131
	s_cbranch_execnz .LBB1434_268
.LBB1434_202:                           ;   in Loop: Header=BB1434_96 Depth=2
	s_wait_alu 0xfffe
	s_or_b32 exec_lo, exec_lo, s42
	s_delay_alu instid0(SALU_CYCLE_1)
	s_mov_b32 s42, exec_lo
	v_cmpx_lt_u32_e64 v102, v131
	s_cbranch_execnz .LBB1434_269
.LBB1434_203:                           ;   in Loop: Header=BB1434_96 Depth=2
	s_wait_alu 0xfffe
	s_or_b32 exec_lo, exec_lo, s42
	s_delay_alu instid0(SALU_CYCLE_1)
	s_mov_b32 s42, exec_lo
	v_cmpx_lt_u32_e64 v103, v131
	s_cbranch_execnz .LBB1434_270
.LBB1434_204:                           ;   in Loop: Header=BB1434_96 Depth=2
	s_wait_alu 0xfffe
	s_or_b32 exec_lo, exec_lo, s42
	s_delay_alu instid0(SALU_CYCLE_1)
	s_mov_b32 s42, exec_lo
	v_cmpx_lt_u32_e64 v104, v131
	s_cbranch_execnz .LBB1434_271
.LBB1434_205:                           ;   in Loop: Header=BB1434_96 Depth=2
	s_wait_alu 0xfffe
	s_or_b32 exec_lo, exec_lo, s42
	s_delay_alu instid0(SALU_CYCLE_1)
	s_mov_b32 s42, exec_lo
	v_cmpx_lt_u32_e64 v105, v131
	s_cbranch_execnz .LBB1434_272
.LBB1434_206:                           ;   in Loop: Header=BB1434_96 Depth=2
	s_wait_alu 0xfffe
	s_or_b32 exec_lo, exec_lo, s42
	s_delay_alu instid0(SALU_CYCLE_1)
	s_mov_b32 s42, exec_lo
	v_cmpx_lt_u32_e64 v106, v131
	s_cbranch_execnz .LBB1434_273
.LBB1434_207:                           ;   in Loop: Header=BB1434_96 Depth=2
	s_wait_alu 0xfffe
	s_or_b32 exec_lo, exec_lo, s42
	s_and_saveexec_b32 s42, vcc_lo
	s_cbranch_execnz .LBB1434_274
.LBB1434_208:                           ;   in Loop: Header=BB1434_96 Depth=2
	s_wait_alu 0xfffe
	s_or_b32 exec_lo, exec_lo, s42
	s_and_saveexec_b32 s42, s15
	s_cbranch_execnz .LBB1434_275
.LBB1434_209:                           ;   in Loop: Header=BB1434_96 Depth=2
	s_wait_alu 0xfffe
	s_or_b32 exec_lo, exec_lo, s42
	s_and_saveexec_b32 s42, s16
	s_cbranch_execnz .LBB1434_276
.LBB1434_210:                           ;   in Loop: Header=BB1434_96 Depth=2
	s_wait_alu 0xfffe
	s_or_b32 exec_lo, exec_lo, s42
	s_and_saveexec_b32 s42, s17
	s_cbranch_execnz .LBB1434_277
.LBB1434_211:                           ;   in Loop: Header=BB1434_96 Depth=2
	s_wait_alu 0xfffe
	s_or_b32 exec_lo, exec_lo, s42
	s_and_saveexec_b32 s42, s18
	s_cbranch_execnz .LBB1434_278
.LBB1434_212:                           ;   in Loop: Header=BB1434_96 Depth=2
	s_wait_alu 0xfffe
	s_or_b32 exec_lo, exec_lo, s42
	s_and_saveexec_b32 s42, s19
	s_cbranch_execnz .LBB1434_279
.LBB1434_213:                           ;   in Loop: Header=BB1434_96 Depth=2
	s_wait_alu 0xfffe
	s_or_b32 exec_lo, exec_lo, s42
	s_and_saveexec_b32 s42, s20
	s_cbranch_execnz .LBB1434_280
.LBB1434_214:                           ;   in Loop: Header=BB1434_96 Depth=2
	s_wait_alu 0xfffe
	s_or_b32 exec_lo, exec_lo, s42
	s_and_saveexec_b32 s42, s21
	s_cbranch_execnz .LBB1434_281
.LBB1434_215:                           ;   in Loop: Header=BB1434_96 Depth=2
	s_wait_alu 0xfffe
	s_or_b32 exec_lo, exec_lo, s42
	s_and_saveexec_b32 s42, s22
	s_cbranch_execnz .LBB1434_282
.LBB1434_216:                           ;   in Loop: Header=BB1434_96 Depth=2
	s_wait_alu 0xfffe
	s_or_b32 exec_lo, exec_lo, s42
	s_and_saveexec_b32 s42, s23
	s_cbranch_execnz .LBB1434_283
.LBB1434_217:                           ;   in Loop: Header=BB1434_96 Depth=2
	s_wait_alu 0xfffe
	s_or_b32 exec_lo, exec_lo, s42
	s_and_saveexec_b32 s42, s24
	s_cbranch_execnz .LBB1434_284
.LBB1434_218:                           ;   in Loop: Header=BB1434_96 Depth=2
	s_wait_alu 0xfffe
	s_or_b32 exec_lo, exec_lo, s42
	s_and_saveexec_b32 s42, s25
	s_cbranch_execnz .LBB1434_285
.LBB1434_219:                           ;   in Loop: Header=BB1434_96 Depth=2
	s_wait_alu 0xfffe
	s_or_b32 exec_lo, exec_lo, s42
	s_and_saveexec_b32 s42, s26
	s_cbranch_execnz .LBB1434_286
.LBB1434_220:                           ;   in Loop: Header=BB1434_96 Depth=2
	s_wait_alu 0xfffe
	s_or_b32 exec_lo, exec_lo, s42
	s_and_saveexec_b32 s42, s27
	s_cbranch_execnz .LBB1434_287
.LBB1434_221:                           ;   in Loop: Header=BB1434_96 Depth=2
	s_wait_alu 0xfffe
	s_or_b32 exec_lo, exec_lo, s42
	s_and_saveexec_b32 s42, s28
	s_cbranch_execnz .LBB1434_288
.LBB1434_222:                           ;   in Loop: Header=BB1434_96 Depth=2
	s_wait_alu 0xfffe
	s_or_b32 exec_lo, exec_lo, s42
	s_and_saveexec_b32 s42, s29
	s_cbranch_execz .LBB1434_224
.LBB1434_223:                           ;   in Loop: Header=BB1434_96 Depth=2
	ds_load_b32 v2, v70 offset:16384
	s_wait_dscnt 0x0
	v_cmp_ne_u32_e64 s30, 0x7fffffff, v2
	s_wait_alu 0xf1ff
	s_delay_alu instid0(VALU_DEP_1) | instskip(NEXT) | instid1(VALU_DEP_1)
	v_cndmask_b32_e64 v2, 0x80000000, v2, s30
	v_lshrrev_b32_e32 v2, s31, v2
	s_delay_alu instid0(VALU_DEP_1)
	v_and_b32_e32 v115, s48, v2
.LBB1434_224:                           ;   in Loop: Header=BB1434_96 Depth=2
	s_wait_alu 0xfffe
	s_or_b32 exec_lo, exec_lo, s42
	v_lshlrev_b32_e32 v2, 3, v150
	s_wait_loadcnt 0x0
	s_wait_storecnt 0x0
	s_barrier_signal -1
	s_barrier_wait -1
	global_inv scope:SCOPE_SE
	ds_store_b64 v2, v[34:35] offset:1024
	v_lshlrev_b32_e32 v2, 3, v146
	v_lshlrev_b32_e32 v36, 3, v142
	v_lshlrev_b32_e32 v37, 3, v141
	v_lshlrev_b32_e32 v131, 3, v140
	v_lshlrev_b32_e32 v132, 3, v138
	ds_store_b64 v2, v[32:33] offset:1024
	ds_store_b64 v36, v[30:31] offset:1024
	ds_store_b64 v37, v[28:29] offset:1024
	ds_store_b64 v131, v[26:27] offset:1024
	ds_store_b64 v132, v[24:25] offset:1024
	v_lshlrev_b32_e32 v2, 3, v137
	v_lshlrev_b32_e32 v36, 3, v136
	v_lshlrev_b32_e32 v37, 3, v135
	v_lshlrev_b32_e32 v131, 3, v134
	v_lshlrev_b32_e32 v132, 3, v133
	ds_store_b64 v2, v[22:23] offset:1024
	ds_store_b64 v36, v[20:21] offset:1024
	ds_store_b64 v37, v[18:19] offset:1024
	ds_store_b64 v131, v[16:17] offset:1024
	;; [unrolled: 10-line block ×3, first 2 shown]
	ds_store_b64 v40, v[4:5] offset:1024
	s_wait_loadcnt_dscnt 0x0
	s_barrier_signal -1
	s_barrier_wait -1
	global_inv scope:SCOPE_SE
	s_and_saveexec_b32 s30, vcc_lo
	s_cbranch_execnz .LBB1434_289
; %bb.225:                              ;   in Loop: Header=BB1434_96 Depth=2
	s_wait_alu 0xfffe
	s_or_b32 exec_lo, exec_lo, s30
	s_and_saveexec_b32 s30, s15
	s_cbranch_execnz .LBB1434_290
.LBB1434_226:                           ;   in Loop: Header=BB1434_96 Depth=2
	s_wait_alu 0xfffe
	s_or_b32 exec_lo, exec_lo, s30
	s_and_saveexec_b32 s15, s16
	s_cbranch_execnz .LBB1434_291
.LBB1434_227:                           ;   in Loop: Header=BB1434_96 Depth=2
	s_wait_alu 0xfffe
	s_or_b32 exec_lo, exec_lo, s15
	s_and_saveexec_b32 s15, s17
	s_cbranch_execnz .LBB1434_292
.LBB1434_228:                           ;   in Loop: Header=BB1434_96 Depth=2
	s_wait_alu 0xfffe
	s_or_b32 exec_lo, exec_lo, s15
	s_and_saveexec_b32 s15, s18
	s_cbranch_execnz .LBB1434_293
.LBB1434_229:                           ;   in Loop: Header=BB1434_96 Depth=2
	s_wait_alu 0xfffe
	s_or_b32 exec_lo, exec_lo, s15
	s_and_saveexec_b32 s15, s19
	s_cbranch_execnz .LBB1434_294
.LBB1434_230:                           ;   in Loop: Header=BB1434_96 Depth=2
	s_wait_alu 0xfffe
	s_or_b32 exec_lo, exec_lo, s15
	s_and_saveexec_b32 s15, s20
	s_cbranch_execnz .LBB1434_295
.LBB1434_231:                           ;   in Loop: Header=BB1434_96 Depth=2
	s_wait_alu 0xfffe
	s_or_b32 exec_lo, exec_lo, s15
	s_and_saveexec_b32 s15, s21
	s_cbranch_execnz .LBB1434_296
.LBB1434_232:                           ;   in Loop: Header=BB1434_96 Depth=2
	s_wait_alu 0xfffe
	s_or_b32 exec_lo, exec_lo, s15
	s_and_saveexec_b32 s15, s22
	s_cbranch_execnz .LBB1434_297
.LBB1434_233:                           ;   in Loop: Header=BB1434_96 Depth=2
	s_wait_alu 0xfffe
	s_or_b32 exec_lo, exec_lo, s15
	s_and_saveexec_b32 s15, s23
	s_cbranch_execnz .LBB1434_298
.LBB1434_234:                           ;   in Loop: Header=BB1434_96 Depth=2
	s_wait_alu 0xfffe
	s_or_b32 exec_lo, exec_lo, s15
	s_and_saveexec_b32 s15, s24
	s_cbranch_execnz .LBB1434_299
.LBB1434_235:                           ;   in Loop: Header=BB1434_96 Depth=2
	s_wait_alu 0xfffe
	s_or_b32 exec_lo, exec_lo, s15
	s_and_saveexec_b32 s15, s25
	s_cbranch_execnz .LBB1434_300
.LBB1434_236:                           ;   in Loop: Header=BB1434_96 Depth=2
	s_wait_alu 0xfffe
	s_or_b32 exec_lo, exec_lo, s15
	s_and_saveexec_b32 s15, s26
	s_cbranch_execnz .LBB1434_301
.LBB1434_237:                           ;   in Loop: Header=BB1434_96 Depth=2
	s_wait_alu 0xfffe
	s_or_b32 exec_lo, exec_lo, s15
	s_and_saveexec_b32 s15, s27
	s_cbranch_execnz .LBB1434_302
.LBB1434_238:                           ;   in Loop: Header=BB1434_96 Depth=2
	s_wait_alu 0xfffe
	s_or_b32 exec_lo, exec_lo, s15
	s_and_saveexec_b32 s15, s28
	s_cbranch_execnz .LBB1434_303
.LBB1434_239:                           ;   in Loop: Header=BB1434_96 Depth=2
	s_wait_alu 0xfffe
	s_or_b32 exec_lo, exec_lo, s15
	s_and_saveexec_b32 s15, s29
	s_cbranch_execz .LBB1434_241
.LBB1434_240:                           ;   in Loop: Header=BB1434_96 Depth=2
	v_lshlrev_b32_e32 v2, 2, v115
	v_add_nc_u32_e32 v36, v70, v44
	ds_load_b32 v2, v2
	ds_load_b64 v[36:37], v36 offset:31744
	s_wait_dscnt 0x1
	v_add_nc_u32_e32 v2, v2, v61
	s_delay_alu instid0(VALU_DEP_1) | instskip(NEXT) | instid1(VALU_DEP_1)
	v_lshlrev_b64_e32 v[39:40], 3, v[2:3]
	v_add_co_u32 v39, vcc_lo, s44, v39
	s_wait_alu 0xfffd
	s_delay_alu instid0(VALU_DEP_2)
	v_add_co_ci_u32_e64 v40, null, s45, v40, vcc_lo
	s_wait_dscnt 0x0
	global_store_b64 v[39:40], v[36:37], off
.LBB1434_241:                           ;   in Loop: Header=BB1434_96 Depth=2
	s_wait_alu 0xfffe
	s_or_b32 exec_lo, exec_lo, s15
	s_wait_loadcnt 0x0
	s_wait_storecnt 0x0
	s_barrier_signal -1
	s_barrier_wait -1
	global_inv scope:SCOPE_SE
	s_and_saveexec_b32 s15, s2
	s_cbranch_execz .LBB1434_95
; %bb.242:                              ;   in Loop: Header=BB1434_96 Depth=2
	ds_load_b32 v2, v44
	s_wait_dscnt 0x0
	v_add_nc_u32_e32 v2, v2, v38
	ds_store_b32 v44, v2
	s_branch .LBB1434_95
.LBB1434_243:                           ;   in Loop: Header=BB1434_96 Depth=2
	ds_load_b32 v132, v70 offset:1024
	s_wait_dscnt 0x0
	v_cmp_ne_u32_e64 s15, 0x7fffffff, v132
	s_wait_alu 0xf1ff
	s_delay_alu instid0(VALU_DEP_1) | instskip(SKIP_1) | instid1(VALU_DEP_2)
	v_cndmask_b32_e64 v2, 0x80000000, v132, s15
	v_cmp_lt_i32_e64 s15, -1, v132
	v_lshrrev_b32_e32 v2, s31, v2
	s_wait_alu 0xf1ff
	s_delay_alu instid0(VALU_DEP_2) | instskip(NEXT) | instid1(VALU_DEP_2)
	v_cndmask_b32_e64 v139, 0x80000000, -1, s15
	v_and_b32_e32 v2, s48, v2
	s_delay_alu instid0(VALU_DEP_1) | instskip(SKIP_3) | instid1(VALU_DEP_1)
	v_lshlrev_b32_e32 v2, 2, v2
	ds_load_b32 v2, v2
	s_wait_dscnt 0x0
	v_add_nc_u32_e32 v2, v2, v1
	v_lshlrev_b64_e32 v[36:37], 2, v[2:3]
	v_xor_b32_e32 v2, v139, v132
	s_delay_alu instid0(VALU_DEP_2) | instskip(SKIP_1) | instid1(VALU_DEP_3)
	v_add_co_u32 v36, s15, s38, v36
	s_wait_alu 0xf1ff
	v_add_co_ci_u32_e64 v37, null, s39, v37, s15
	global_store_b32 v[36:37], v2, off
	s_wait_alu 0xfffe
	s_or_b32 exec_lo, exec_lo, s16
	v_cmp_lt_u32_e64 s15, v45, v131
	s_and_saveexec_b32 s17, s15
	s_cbranch_execz .LBB1434_176
.LBB1434_244:                           ;   in Loop: Header=BB1434_96 Depth=2
	ds_load_b32 v132, v70 offset:2048
	s_wait_dscnt 0x0
	v_cmp_ne_u32_e64 s16, 0x7fffffff, v132
	s_wait_alu 0xf1ff
	s_delay_alu instid0(VALU_DEP_1) | instskip(SKIP_1) | instid1(VALU_DEP_2)
	v_cndmask_b32_e64 v2, 0x80000000, v132, s16
	v_cmp_lt_i32_e64 s16, -1, v132
	v_lshrrev_b32_e32 v2, s31, v2
	s_wait_alu 0xf1ff
	s_delay_alu instid0(VALU_DEP_2) | instskip(NEXT) | instid1(VALU_DEP_2)
	v_cndmask_b32_e64 v139, 0x80000000, -1, s16
	v_and_b32_e32 v2, s48, v2
	s_delay_alu instid0(VALU_DEP_1) | instskip(SKIP_3) | instid1(VALU_DEP_1)
	v_lshlrev_b32_e32 v2, 2, v2
	ds_load_b32 v2, v2
	s_wait_dscnt 0x0
	v_add_nc_u32_e32 v2, v2, v45
	v_lshlrev_b64_e32 v[36:37], 2, v[2:3]
	v_xor_b32_e32 v2, v139, v132
	s_delay_alu instid0(VALU_DEP_2) | instskip(SKIP_1) | instid1(VALU_DEP_3)
	v_add_co_u32 v36, s16, s38, v36
	s_wait_alu 0xf1ff
	v_add_co_ci_u32_e64 v37, null, s39, v37, s16
	global_store_b32 v[36:37], v2, off
	s_wait_alu 0xfffe
	s_or_b32 exec_lo, exec_lo, s17
	v_cmp_lt_u32_e64 s16, v46, v131
	s_and_saveexec_b32 s18, s16
	s_cbranch_execz .LBB1434_177
.LBB1434_245:                           ;   in Loop: Header=BB1434_96 Depth=2
	ds_load_b32 v132, v70 offset:3072
	s_wait_dscnt 0x0
	v_cmp_ne_u32_e64 s17, 0x7fffffff, v132
	s_wait_alu 0xf1ff
	s_delay_alu instid0(VALU_DEP_1) | instskip(SKIP_1) | instid1(VALU_DEP_2)
	v_cndmask_b32_e64 v2, 0x80000000, v132, s17
	v_cmp_lt_i32_e64 s17, -1, v132
	v_lshrrev_b32_e32 v2, s31, v2
	s_wait_alu 0xf1ff
	s_delay_alu instid0(VALU_DEP_2) | instskip(NEXT) | instid1(VALU_DEP_2)
	v_cndmask_b32_e64 v139, 0x80000000, -1, s17
	v_and_b32_e32 v2, s48, v2
	s_delay_alu instid0(VALU_DEP_1) | instskip(SKIP_3) | instid1(VALU_DEP_1)
	v_lshlrev_b32_e32 v2, 2, v2
	ds_load_b32 v2, v2
	s_wait_dscnt 0x0
	v_add_nc_u32_e32 v2, v2, v46
	v_lshlrev_b64_e32 v[36:37], 2, v[2:3]
	v_xor_b32_e32 v2, v139, v132
	s_delay_alu instid0(VALU_DEP_2) | instskip(SKIP_1) | instid1(VALU_DEP_3)
	v_add_co_u32 v36, s17, s38, v36
	s_wait_alu 0xf1ff
	v_add_co_ci_u32_e64 v37, null, s39, v37, s17
	global_store_b32 v[36:37], v2, off
	s_wait_alu 0xfffe
	s_or_b32 exec_lo, exec_lo, s18
	v_cmp_lt_u32_e64 s17, v47, v131
	s_and_saveexec_b32 s19, s17
	s_cbranch_execz .LBB1434_178
.LBB1434_246:                           ;   in Loop: Header=BB1434_96 Depth=2
	ds_load_b32 v132, v70 offset:4096
	s_wait_dscnt 0x0
	v_cmp_ne_u32_e64 s18, 0x7fffffff, v132
	s_wait_alu 0xf1ff
	s_delay_alu instid0(VALU_DEP_1) | instskip(SKIP_1) | instid1(VALU_DEP_2)
	v_cndmask_b32_e64 v2, 0x80000000, v132, s18
	v_cmp_lt_i32_e64 s18, -1, v132
	v_lshrrev_b32_e32 v2, s31, v2
	s_wait_alu 0xf1ff
	s_delay_alu instid0(VALU_DEP_2) | instskip(NEXT) | instid1(VALU_DEP_2)
	v_cndmask_b32_e64 v139, 0x80000000, -1, s18
	v_and_b32_e32 v2, s48, v2
	s_delay_alu instid0(VALU_DEP_1) | instskip(SKIP_3) | instid1(VALU_DEP_1)
	v_lshlrev_b32_e32 v2, 2, v2
	ds_load_b32 v2, v2
	s_wait_dscnt 0x0
	v_add_nc_u32_e32 v2, v2, v47
	v_lshlrev_b64_e32 v[36:37], 2, v[2:3]
	v_xor_b32_e32 v2, v139, v132
	s_delay_alu instid0(VALU_DEP_2) | instskip(SKIP_1) | instid1(VALU_DEP_3)
	v_add_co_u32 v36, s18, s38, v36
	s_wait_alu 0xf1ff
	v_add_co_ci_u32_e64 v37, null, s39, v37, s18
	global_store_b32 v[36:37], v2, off
	s_wait_alu 0xfffe
	s_or_b32 exec_lo, exec_lo, s19
	v_cmp_lt_u32_e64 s18, v50, v131
	s_and_saveexec_b32 s20, s18
	s_cbranch_execz .LBB1434_179
.LBB1434_247:                           ;   in Loop: Header=BB1434_96 Depth=2
	ds_load_b32 v132, v70 offset:5120
	s_wait_dscnt 0x0
	v_cmp_ne_u32_e64 s19, 0x7fffffff, v132
	s_wait_alu 0xf1ff
	s_delay_alu instid0(VALU_DEP_1) | instskip(SKIP_1) | instid1(VALU_DEP_2)
	v_cndmask_b32_e64 v2, 0x80000000, v132, s19
	v_cmp_lt_i32_e64 s19, -1, v132
	v_lshrrev_b32_e32 v2, s31, v2
	s_wait_alu 0xf1ff
	s_delay_alu instid0(VALU_DEP_2) | instskip(NEXT) | instid1(VALU_DEP_2)
	v_cndmask_b32_e64 v139, 0x80000000, -1, s19
	v_and_b32_e32 v2, s48, v2
	s_delay_alu instid0(VALU_DEP_1) | instskip(SKIP_3) | instid1(VALU_DEP_1)
	v_lshlrev_b32_e32 v2, 2, v2
	ds_load_b32 v2, v2
	s_wait_dscnt 0x0
	v_add_nc_u32_e32 v2, v2, v50
	v_lshlrev_b64_e32 v[36:37], 2, v[2:3]
	v_xor_b32_e32 v2, v139, v132
	s_delay_alu instid0(VALU_DEP_2) | instskip(SKIP_1) | instid1(VALU_DEP_3)
	v_add_co_u32 v36, s19, s38, v36
	s_wait_alu 0xf1ff
	v_add_co_ci_u32_e64 v37, null, s39, v37, s19
	global_store_b32 v[36:37], v2, off
	s_wait_alu 0xfffe
	s_or_b32 exec_lo, exec_lo, s20
	v_cmp_lt_u32_e64 s19, v51, v131
	s_and_saveexec_b32 s21, s19
	s_cbranch_execz .LBB1434_180
.LBB1434_248:                           ;   in Loop: Header=BB1434_96 Depth=2
	ds_load_b32 v132, v70 offset:6144
	s_wait_dscnt 0x0
	v_cmp_ne_u32_e64 s20, 0x7fffffff, v132
	s_wait_alu 0xf1ff
	s_delay_alu instid0(VALU_DEP_1) | instskip(SKIP_1) | instid1(VALU_DEP_2)
	v_cndmask_b32_e64 v2, 0x80000000, v132, s20
	v_cmp_lt_i32_e64 s20, -1, v132
	v_lshrrev_b32_e32 v2, s31, v2
	s_wait_alu 0xf1ff
	s_delay_alu instid0(VALU_DEP_2) | instskip(NEXT) | instid1(VALU_DEP_2)
	v_cndmask_b32_e64 v139, 0x80000000, -1, s20
	v_and_b32_e32 v2, s48, v2
	s_delay_alu instid0(VALU_DEP_1) | instskip(SKIP_3) | instid1(VALU_DEP_1)
	v_lshlrev_b32_e32 v2, 2, v2
	ds_load_b32 v2, v2
	s_wait_dscnt 0x0
	v_add_nc_u32_e32 v2, v2, v51
	v_lshlrev_b64_e32 v[36:37], 2, v[2:3]
	v_xor_b32_e32 v2, v139, v132
	s_delay_alu instid0(VALU_DEP_2) | instskip(SKIP_1) | instid1(VALU_DEP_3)
	v_add_co_u32 v36, s20, s38, v36
	s_wait_alu 0xf1ff
	v_add_co_ci_u32_e64 v37, null, s39, v37, s20
	global_store_b32 v[36:37], v2, off
	s_wait_alu 0xfffe
	s_or_b32 exec_lo, exec_lo, s21
	v_cmp_lt_u32_e64 s20, v52, v131
	s_and_saveexec_b32 s22, s20
	s_cbranch_execz .LBB1434_181
.LBB1434_249:                           ;   in Loop: Header=BB1434_96 Depth=2
	ds_load_b32 v132, v70 offset:7168
	s_wait_dscnt 0x0
	v_cmp_ne_u32_e64 s21, 0x7fffffff, v132
	s_wait_alu 0xf1ff
	s_delay_alu instid0(VALU_DEP_1) | instskip(SKIP_1) | instid1(VALU_DEP_2)
	v_cndmask_b32_e64 v2, 0x80000000, v132, s21
	v_cmp_lt_i32_e64 s21, -1, v132
	v_lshrrev_b32_e32 v2, s31, v2
	s_wait_alu 0xf1ff
	s_delay_alu instid0(VALU_DEP_2) | instskip(NEXT) | instid1(VALU_DEP_2)
	v_cndmask_b32_e64 v139, 0x80000000, -1, s21
	v_and_b32_e32 v2, s48, v2
	s_delay_alu instid0(VALU_DEP_1) | instskip(SKIP_3) | instid1(VALU_DEP_1)
	v_lshlrev_b32_e32 v2, 2, v2
	ds_load_b32 v2, v2
	s_wait_dscnt 0x0
	v_add_nc_u32_e32 v2, v2, v52
	v_lshlrev_b64_e32 v[36:37], 2, v[2:3]
	v_xor_b32_e32 v2, v139, v132
	s_delay_alu instid0(VALU_DEP_2) | instskip(SKIP_1) | instid1(VALU_DEP_3)
	v_add_co_u32 v36, s21, s38, v36
	s_wait_alu 0xf1ff
	v_add_co_ci_u32_e64 v37, null, s39, v37, s21
	global_store_b32 v[36:37], v2, off
	s_wait_alu 0xfffe
	s_or_b32 exec_lo, exec_lo, s22
	v_cmp_lt_u32_e64 s21, v53, v131
	s_and_saveexec_b32 s23, s21
	s_cbranch_execz .LBB1434_182
.LBB1434_250:                           ;   in Loop: Header=BB1434_96 Depth=2
	ds_load_b32 v132, v70 offset:8192
	s_wait_dscnt 0x0
	v_cmp_ne_u32_e64 s22, 0x7fffffff, v132
	s_wait_alu 0xf1ff
	s_delay_alu instid0(VALU_DEP_1) | instskip(SKIP_1) | instid1(VALU_DEP_2)
	v_cndmask_b32_e64 v2, 0x80000000, v132, s22
	v_cmp_lt_i32_e64 s22, -1, v132
	v_lshrrev_b32_e32 v2, s31, v2
	s_wait_alu 0xf1ff
	s_delay_alu instid0(VALU_DEP_2) | instskip(NEXT) | instid1(VALU_DEP_2)
	v_cndmask_b32_e64 v139, 0x80000000, -1, s22
	v_and_b32_e32 v2, s48, v2
	s_delay_alu instid0(VALU_DEP_1) | instskip(SKIP_3) | instid1(VALU_DEP_1)
	v_lshlrev_b32_e32 v2, 2, v2
	ds_load_b32 v2, v2
	s_wait_dscnt 0x0
	v_add_nc_u32_e32 v2, v2, v53
	v_lshlrev_b64_e32 v[36:37], 2, v[2:3]
	v_xor_b32_e32 v2, v139, v132
	s_delay_alu instid0(VALU_DEP_2) | instskip(SKIP_1) | instid1(VALU_DEP_3)
	v_add_co_u32 v36, s22, s38, v36
	s_wait_alu 0xf1ff
	v_add_co_ci_u32_e64 v37, null, s39, v37, s22
	global_store_b32 v[36:37], v2, off
	s_wait_alu 0xfffe
	s_or_b32 exec_lo, exec_lo, s23
	v_cmp_lt_u32_e64 s22, v54, v131
	s_and_saveexec_b32 s24, s22
	s_cbranch_execz .LBB1434_183
.LBB1434_251:                           ;   in Loop: Header=BB1434_96 Depth=2
	ds_load_b32 v132, v70 offset:9216
	s_wait_dscnt 0x0
	v_cmp_ne_u32_e64 s23, 0x7fffffff, v132
	s_wait_alu 0xf1ff
	s_delay_alu instid0(VALU_DEP_1) | instskip(SKIP_1) | instid1(VALU_DEP_2)
	v_cndmask_b32_e64 v2, 0x80000000, v132, s23
	v_cmp_lt_i32_e64 s23, -1, v132
	v_lshrrev_b32_e32 v2, s31, v2
	s_wait_alu 0xf1ff
	s_delay_alu instid0(VALU_DEP_2) | instskip(NEXT) | instid1(VALU_DEP_2)
	v_cndmask_b32_e64 v139, 0x80000000, -1, s23
	v_and_b32_e32 v2, s48, v2
	s_delay_alu instid0(VALU_DEP_1) | instskip(SKIP_3) | instid1(VALU_DEP_1)
	v_lshlrev_b32_e32 v2, 2, v2
	ds_load_b32 v2, v2
	s_wait_dscnt 0x0
	v_add_nc_u32_e32 v2, v2, v54
	v_lshlrev_b64_e32 v[36:37], 2, v[2:3]
	v_xor_b32_e32 v2, v139, v132
	s_delay_alu instid0(VALU_DEP_2) | instskip(SKIP_1) | instid1(VALU_DEP_3)
	v_add_co_u32 v36, s23, s38, v36
	s_wait_alu 0xf1ff
	v_add_co_ci_u32_e64 v37, null, s39, v37, s23
	global_store_b32 v[36:37], v2, off
	s_wait_alu 0xfffe
	s_or_b32 exec_lo, exec_lo, s24
	v_cmp_lt_u32_e64 s23, v55, v131
	s_and_saveexec_b32 s25, s23
	s_cbranch_execz .LBB1434_184
.LBB1434_252:                           ;   in Loop: Header=BB1434_96 Depth=2
	ds_load_b32 v132, v70 offset:10240
	s_wait_dscnt 0x0
	v_cmp_ne_u32_e64 s24, 0x7fffffff, v132
	s_wait_alu 0xf1ff
	s_delay_alu instid0(VALU_DEP_1) | instskip(SKIP_1) | instid1(VALU_DEP_2)
	v_cndmask_b32_e64 v2, 0x80000000, v132, s24
	v_cmp_lt_i32_e64 s24, -1, v132
	v_lshrrev_b32_e32 v2, s31, v2
	s_wait_alu 0xf1ff
	s_delay_alu instid0(VALU_DEP_2) | instskip(NEXT) | instid1(VALU_DEP_2)
	v_cndmask_b32_e64 v139, 0x80000000, -1, s24
	v_and_b32_e32 v2, s48, v2
	s_delay_alu instid0(VALU_DEP_1) | instskip(SKIP_3) | instid1(VALU_DEP_1)
	v_lshlrev_b32_e32 v2, 2, v2
	ds_load_b32 v2, v2
	s_wait_dscnt 0x0
	v_add_nc_u32_e32 v2, v2, v55
	v_lshlrev_b64_e32 v[36:37], 2, v[2:3]
	v_xor_b32_e32 v2, v139, v132
	s_delay_alu instid0(VALU_DEP_2) | instskip(SKIP_1) | instid1(VALU_DEP_3)
	v_add_co_u32 v36, s24, s38, v36
	s_wait_alu 0xf1ff
	v_add_co_ci_u32_e64 v37, null, s39, v37, s24
	global_store_b32 v[36:37], v2, off
	s_wait_alu 0xfffe
	s_or_b32 exec_lo, exec_lo, s25
	v_cmp_lt_u32_e64 s24, v56, v131
	s_and_saveexec_b32 s26, s24
	s_cbranch_execz .LBB1434_185
.LBB1434_253:                           ;   in Loop: Header=BB1434_96 Depth=2
	ds_load_b32 v132, v70 offset:11264
	s_wait_dscnt 0x0
	v_cmp_ne_u32_e64 s25, 0x7fffffff, v132
	s_wait_alu 0xf1ff
	s_delay_alu instid0(VALU_DEP_1) | instskip(SKIP_1) | instid1(VALU_DEP_2)
	v_cndmask_b32_e64 v2, 0x80000000, v132, s25
	v_cmp_lt_i32_e64 s25, -1, v132
	v_lshrrev_b32_e32 v2, s31, v2
	s_wait_alu 0xf1ff
	s_delay_alu instid0(VALU_DEP_2) | instskip(NEXT) | instid1(VALU_DEP_2)
	v_cndmask_b32_e64 v139, 0x80000000, -1, s25
	v_and_b32_e32 v2, s48, v2
	s_delay_alu instid0(VALU_DEP_1) | instskip(SKIP_3) | instid1(VALU_DEP_1)
	v_lshlrev_b32_e32 v2, 2, v2
	ds_load_b32 v2, v2
	s_wait_dscnt 0x0
	v_add_nc_u32_e32 v2, v2, v56
	v_lshlrev_b64_e32 v[36:37], 2, v[2:3]
	v_xor_b32_e32 v2, v139, v132
	s_delay_alu instid0(VALU_DEP_2) | instskip(SKIP_1) | instid1(VALU_DEP_3)
	v_add_co_u32 v36, s25, s38, v36
	s_wait_alu 0xf1ff
	v_add_co_ci_u32_e64 v37, null, s39, v37, s25
	global_store_b32 v[36:37], v2, off
	s_wait_alu 0xfffe
	s_or_b32 exec_lo, exec_lo, s26
	v_cmp_lt_u32_e64 s25, v57, v131
	s_and_saveexec_b32 s27, s25
	s_cbranch_execz .LBB1434_186
.LBB1434_254:                           ;   in Loop: Header=BB1434_96 Depth=2
	ds_load_b32 v132, v70 offset:12288
	s_wait_dscnt 0x0
	v_cmp_ne_u32_e64 s26, 0x7fffffff, v132
	s_wait_alu 0xf1ff
	s_delay_alu instid0(VALU_DEP_1) | instskip(SKIP_1) | instid1(VALU_DEP_2)
	v_cndmask_b32_e64 v2, 0x80000000, v132, s26
	v_cmp_lt_i32_e64 s26, -1, v132
	v_lshrrev_b32_e32 v2, s31, v2
	s_wait_alu 0xf1ff
	s_delay_alu instid0(VALU_DEP_2) | instskip(NEXT) | instid1(VALU_DEP_2)
	v_cndmask_b32_e64 v139, 0x80000000, -1, s26
	v_and_b32_e32 v2, s48, v2
	s_delay_alu instid0(VALU_DEP_1) | instskip(SKIP_3) | instid1(VALU_DEP_1)
	v_lshlrev_b32_e32 v2, 2, v2
	ds_load_b32 v2, v2
	s_wait_dscnt 0x0
	v_add_nc_u32_e32 v2, v2, v57
	v_lshlrev_b64_e32 v[36:37], 2, v[2:3]
	v_xor_b32_e32 v2, v139, v132
	s_delay_alu instid0(VALU_DEP_2) | instskip(SKIP_1) | instid1(VALU_DEP_3)
	v_add_co_u32 v36, s26, s38, v36
	s_wait_alu 0xf1ff
	v_add_co_ci_u32_e64 v37, null, s39, v37, s26
	global_store_b32 v[36:37], v2, off
	s_wait_alu 0xfffe
	s_or_b32 exec_lo, exec_lo, s27
	v_cmp_lt_u32_e64 s26, v58, v131
	s_and_saveexec_b32 s28, s26
	s_cbranch_execz .LBB1434_187
.LBB1434_255:                           ;   in Loop: Header=BB1434_96 Depth=2
	ds_load_b32 v132, v70 offset:13312
	s_wait_dscnt 0x0
	v_cmp_ne_u32_e64 s27, 0x7fffffff, v132
	s_wait_alu 0xf1ff
	s_delay_alu instid0(VALU_DEP_1) | instskip(SKIP_1) | instid1(VALU_DEP_2)
	v_cndmask_b32_e64 v2, 0x80000000, v132, s27
	v_cmp_lt_i32_e64 s27, -1, v132
	v_lshrrev_b32_e32 v2, s31, v2
	s_wait_alu 0xf1ff
	s_delay_alu instid0(VALU_DEP_2) | instskip(NEXT) | instid1(VALU_DEP_2)
	v_cndmask_b32_e64 v139, 0x80000000, -1, s27
	v_and_b32_e32 v2, s48, v2
	s_delay_alu instid0(VALU_DEP_1) | instskip(SKIP_3) | instid1(VALU_DEP_1)
	v_lshlrev_b32_e32 v2, 2, v2
	ds_load_b32 v2, v2
	s_wait_dscnt 0x0
	v_add_nc_u32_e32 v2, v2, v58
	v_lshlrev_b64_e32 v[36:37], 2, v[2:3]
	v_xor_b32_e32 v2, v139, v132
	s_delay_alu instid0(VALU_DEP_2) | instskip(SKIP_1) | instid1(VALU_DEP_3)
	v_add_co_u32 v36, s27, s38, v36
	s_wait_alu 0xf1ff
	v_add_co_ci_u32_e64 v37, null, s39, v37, s27
	global_store_b32 v[36:37], v2, off
	s_wait_alu 0xfffe
	s_or_b32 exec_lo, exec_lo, s28
	v_cmp_lt_u32_e64 s27, v59, v131
	s_and_saveexec_b32 s29, s27
	s_cbranch_execz .LBB1434_188
.LBB1434_256:                           ;   in Loop: Header=BB1434_96 Depth=2
	ds_load_b32 v132, v70 offset:14336
	s_wait_dscnt 0x0
	v_cmp_ne_u32_e64 s28, 0x7fffffff, v132
	s_wait_alu 0xf1ff
	s_delay_alu instid0(VALU_DEP_1) | instskip(SKIP_1) | instid1(VALU_DEP_2)
	v_cndmask_b32_e64 v2, 0x80000000, v132, s28
	v_cmp_lt_i32_e64 s28, -1, v132
	v_lshrrev_b32_e32 v2, s31, v2
	s_wait_alu 0xf1ff
	s_delay_alu instid0(VALU_DEP_2) | instskip(NEXT) | instid1(VALU_DEP_2)
	v_cndmask_b32_e64 v139, 0x80000000, -1, s28
	v_and_b32_e32 v2, s48, v2
	s_delay_alu instid0(VALU_DEP_1) | instskip(SKIP_3) | instid1(VALU_DEP_1)
	v_lshlrev_b32_e32 v2, 2, v2
	ds_load_b32 v2, v2
	s_wait_dscnt 0x0
	v_add_nc_u32_e32 v2, v2, v59
	v_lshlrev_b64_e32 v[36:37], 2, v[2:3]
	v_xor_b32_e32 v2, v139, v132
	s_delay_alu instid0(VALU_DEP_2) | instskip(SKIP_1) | instid1(VALU_DEP_3)
	v_add_co_u32 v36, s28, s38, v36
	s_wait_alu 0xf1ff
	v_add_co_ci_u32_e64 v37, null, s39, v37, s28
	global_store_b32 v[36:37], v2, off
	s_wait_alu 0xfffe
	s_or_b32 exec_lo, exec_lo, s29
	v_cmp_lt_u32_e64 s28, v60, v131
	s_and_saveexec_b32 s30, s28
	s_cbranch_execz .LBB1434_189
.LBB1434_257:                           ;   in Loop: Header=BB1434_96 Depth=2
	ds_load_b32 v132, v70 offset:15360
	s_wait_dscnt 0x0
	v_cmp_ne_u32_e64 s29, 0x7fffffff, v132
	s_wait_alu 0xf1ff
	s_delay_alu instid0(VALU_DEP_1) | instskip(SKIP_1) | instid1(VALU_DEP_2)
	v_cndmask_b32_e64 v2, 0x80000000, v132, s29
	v_cmp_lt_i32_e64 s29, -1, v132
	v_lshrrev_b32_e32 v2, s31, v2
	s_wait_alu 0xf1ff
	s_delay_alu instid0(VALU_DEP_2) | instskip(NEXT) | instid1(VALU_DEP_2)
	v_cndmask_b32_e64 v139, 0x80000000, -1, s29
	v_and_b32_e32 v2, s48, v2
	s_delay_alu instid0(VALU_DEP_1) | instskip(SKIP_3) | instid1(VALU_DEP_1)
	v_lshlrev_b32_e32 v2, 2, v2
	ds_load_b32 v2, v2
	s_wait_dscnt 0x0
	v_add_nc_u32_e32 v2, v2, v60
	v_lshlrev_b64_e32 v[36:37], 2, v[2:3]
	v_xor_b32_e32 v2, v139, v132
	s_delay_alu instid0(VALU_DEP_2) | instskip(SKIP_1) | instid1(VALU_DEP_3)
	v_add_co_u32 v36, s29, s38, v36
	s_wait_alu 0xf1ff
	v_add_co_ci_u32_e64 v37, null, s39, v37, s29
	global_store_b32 v[36:37], v2, off
	s_wait_alu 0xfffe
	s_or_b32 exec_lo, exec_lo, s30
	v_cmp_lt_u32_e64 s29, v61, v131
	s_and_saveexec_b32 s56, s29
	s_cbranch_execnz .LBB1434_190
	s_branch .LBB1434_191
.LBB1434_258:                           ;   in Loop: Header=BB1434_96 Depth=2
	global_load_b64 v[34:35], v[36:37], off
	s_wait_alu 0xfffe
	s_or_b32 exec_lo, exec_lo, s30
	s_delay_alu instid0(SALU_CYCLE_1)
	s_mov_b32 s42, exec_lo
	v_cmpx_lt_u32_e64 v92, v131
	s_cbranch_execz .LBB1434_193
.LBB1434_259:                           ;   in Loop: Header=BB1434_96 Depth=2
	global_load_b64 v[32:33], v[36:37], off offset:256
	s_wait_alu 0xfffe
	s_or_b32 exec_lo, exec_lo, s42
	s_delay_alu instid0(SALU_CYCLE_1)
	s_mov_b32 s42, exec_lo
	v_cmpx_lt_u32_e64 v93, v131
	s_cbranch_execz .LBB1434_194
.LBB1434_260:                           ;   in Loop: Header=BB1434_96 Depth=2
	global_load_b64 v[30:31], v[36:37], off offset:512
	s_wait_alu 0xfffe
	s_or_b32 exec_lo, exec_lo, s42
	s_delay_alu instid0(SALU_CYCLE_1)
	s_mov_b32 s42, exec_lo
	v_cmpx_lt_u32_e64 v94, v131
	s_cbranch_execz .LBB1434_195
.LBB1434_261:                           ;   in Loop: Header=BB1434_96 Depth=2
	global_load_b64 v[28:29], v[36:37], off offset:768
	s_wait_alu 0xfffe
	s_or_b32 exec_lo, exec_lo, s42
	s_delay_alu instid0(SALU_CYCLE_1)
	s_mov_b32 s42, exec_lo
	v_cmpx_lt_u32_e64 v95, v131
	s_cbranch_execz .LBB1434_196
.LBB1434_262:                           ;   in Loop: Header=BB1434_96 Depth=2
	global_load_b64 v[26:27], v[36:37], off offset:1024
	s_wait_alu 0xfffe
	s_or_b32 exec_lo, exec_lo, s42
	s_delay_alu instid0(SALU_CYCLE_1)
	s_mov_b32 s42, exec_lo
	v_cmpx_lt_u32_e64 v96, v131
	s_cbranch_execz .LBB1434_197
.LBB1434_263:                           ;   in Loop: Header=BB1434_96 Depth=2
	global_load_b64 v[24:25], v[36:37], off offset:1280
	s_wait_alu 0xfffe
	s_or_b32 exec_lo, exec_lo, s42
	s_delay_alu instid0(SALU_CYCLE_1)
	s_mov_b32 s42, exec_lo
	v_cmpx_lt_u32_e64 v97, v131
	s_cbranch_execz .LBB1434_198
.LBB1434_264:                           ;   in Loop: Header=BB1434_96 Depth=2
	global_load_b64 v[22:23], v[36:37], off offset:1536
	s_wait_alu 0xfffe
	s_or_b32 exec_lo, exec_lo, s42
	s_delay_alu instid0(SALU_CYCLE_1)
	s_mov_b32 s42, exec_lo
	v_cmpx_lt_u32_e64 v98, v131
	s_cbranch_execz .LBB1434_199
.LBB1434_265:                           ;   in Loop: Header=BB1434_96 Depth=2
	global_load_b64 v[20:21], v[36:37], off offset:1792
	s_wait_alu 0xfffe
	s_or_b32 exec_lo, exec_lo, s42
	s_delay_alu instid0(SALU_CYCLE_1)
	s_mov_b32 s42, exec_lo
	v_cmpx_lt_u32_e64 v99, v131
	s_cbranch_execz .LBB1434_200
.LBB1434_266:                           ;   in Loop: Header=BB1434_96 Depth=2
	global_load_b64 v[18:19], v[36:37], off offset:2048
	s_wait_alu 0xfffe
	s_or_b32 exec_lo, exec_lo, s42
	s_delay_alu instid0(SALU_CYCLE_1)
	s_mov_b32 s42, exec_lo
	v_cmpx_lt_u32_e64 v100, v131
	s_cbranch_execz .LBB1434_201
.LBB1434_267:                           ;   in Loop: Header=BB1434_96 Depth=2
	global_load_b64 v[16:17], v[36:37], off offset:2304
	s_wait_alu 0xfffe
	s_or_b32 exec_lo, exec_lo, s42
	s_delay_alu instid0(SALU_CYCLE_1)
	s_mov_b32 s42, exec_lo
	v_cmpx_lt_u32_e64 v101, v131
	s_cbranch_execz .LBB1434_202
.LBB1434_268:                           ;   in Loop: Header=BB1434_96 Depth=2
	global_load_b64 v[14:15], v[36:37], off offset:2560
	s_wait_alu 0xfffe
	s_or_b32 exec_lo, exec_lo, s42
	s_delay_alu instid0(SALU_CYCLE_1)
	s_mov_b32 s42, exec_lo
	v_cmpx_lt_u32_e64 v102, v131
	s_cbranch_execz .LBB1434_203
.LBB1434_269:                           ;   in Loop: Header=BB1434_96 Depth=2
	global_load_b64 v[12:13], v[36:37], off offset:2816
	s_wait_alu 0xfffe
	s_or_b32 exec_lo, exec_lo, s42
	s_delay_alu instid0(SALU_CYCLE_1)
	s_mov_b32 s42, exec_lo
	v_cmpx_lt_u32_e64 v103, v131
	s_cbranch_execz .LBB1434_204
.LBB1434_270:                           ;   in Loop: Header=BB1434_96 Depth=2
	global_load_b64 v[10:11], v[36:37], off offset:3072
	s_wait_alu 0xfffe
	s_or_b32 exec_lo, exec_lo, s42
	s_delay_alu instid0(SALU_CYCLE_1)
	s_mov_b32 s42, exec_lo
	v_cmpx_lt_u32_e64 v104, v131
	s_cbranch_execz .LBB1434_205
.LBB1434_271:                           ;   in Loop: Header=BB1434_96 Depth=2
	global_load_b64 v[8:9], v[36:37], off offset:3328
	s_wait_alu 0xfffe
	s_or_b32 exec_lo, exec_lo, s42
	s_delay_alu instid0(SALU_CYCLE_1)
	s_mov_b32 s42, exec_lo
	v_cmpx_lt_u32_e64 v105, v131
	s_cbranch_execz .LBB1434_206
.LBB1434_272:                           ;   in Loop: Header=BB1434_96 Depth=2
	global_load_b64 v[6:7], v[36:37], off offset:3584
	s_wait_alu 0xfffe
	s_or_b32 exec_lo, exec_lo, s42
	s_delay_alu instid0(SALU_CYCLE_1)
	s_mov_b32 s42, exec_lo
	v_cmpx_lt_u32_e64 v106, v131
	s_cbranch_execz .LBB1434_207
.LBB1434_273:                           ;   in Loop: Header=BB1434_96 Depth=2
	global_load_b64 v[4:5], v[36:37], off offset:3840
	s_wait_alu 0xfffe
	s_or_b32 exec_lo, exec_lo, s42
	s_and_saveexec_b32 s42, vcc_lo
	s_cbranch_execz .LBB1434_208
.LBB1434_274:                           ;   in Loop: Header=BB1434_96 Depth=2
	ds_load_b32 v2, v70 offset:1024
	s_wait_dscnt 0x0
	v_cmp_ne_u32_e64 s30, 0x7fffffff, v2
	s_wait_alu 0xf1ff
	s_delay_alu instid0(VALU_DEP_1) | instskip(NEXT) | instid1(VALU_DEP_1)
	v_cndmask_b32_e64 v2, 0x80000000, v2, s30
	v_lshrrev_b32_e32 v2, s31, v2
	s_delay_alu instid0(VALU_DEP_1)
	v_and_b32_e32 v130, s48, v2
	s_wait_alu 0xfffe
	s_or_b32 exec_lo, exec_lo, s42
	s_and_saveexec_b32 s42, s15
	s_cbranch_execz .LBB1434_209
.LBB1434_275:                           ;   in Loop: Header=BB1434_96 Depth=2
	ds_load_b32 v2, v70 offset:2048
	s_wait_dscnt 0x0
	v_cmp_ne_u32_e64 s30, 0x7fffffff, v2
	s_wait_alu 0xf1ff
	s_delay_alu instid0(VALU_DEP_1) | instskip(NEXT) | instid1(VALU_DEP_1)
	v_cndmask_b32_e64 v2, 0x80000000, v2, s30
	v_lshrrev_b32_e32 v2, s31, v2
	s_delay_alu instid0(VALU_DEP_1)
	v_and_b32_e32 v129, s48, v2
	s_wait_alu 0xfffe
	s_or_b32 exec_lo, exec_lo, s42
	s_and_saveexec_b32 s42, s16
	s_cbranch_execz .LBB1434_210
.LBB1434_276:                           ;   in Loop: Header=BB1434_96 Depth=2
	ds_load_b32 v2, v70 offset:3072
	s_wait_dscnt 0x0
	v_cmp_ne_u32_e64 s30, 0x7fffffff, v2
	s_wait_alu 0xf1ff
	s_delay_alu instid0(VALU_DEP_1) | instskip(NEXT) | instid1(VALU_DEP_1)
	v_cndmask_b32_e64 v2, 0x80000000, v2, s30
	v_lshrrev_b32_e32 v2, s31, v2
	s_delay_alu instid0(VALU_DEP_1)
	v_and_b32_e32 v128, s48, v2
	s_wait_alu 0xfffe
	s_or_b32 exec_lo, exec_lo, s42
	s_and_saveexec_b32 s42, s17
	s_cbranch_execz .LBB1434_211
.LBB1434_277:                           ;   in Loop: Header=BB1434_96 Depth=2
	ds_load_b32 v2, v70 offset:4096
	s_wait_dscnt 0x0
	v_cmp_ne_u32_e64 s30, 0x7fffffff, v2
	s_wait_alu 0xf1ff
	s_delay_alu instid0(VALU_DEP_1) | instskip(NEXT) | instid1(VALU_DEP_1)
	v_cndmask_b32_e64 v2, 0x80000000, v2, s30
	v_lshrrev_b32_e32 v2, s31, v2
	s_delay_alu instid0(VALU_DEP_1)
	v_and_b32_e32 v127, s48, v2
	s_wait_alu 0xfffe
	s_or_b32 exec_lo, exec_lo, s42
	s_and_saveexec_b32 s42, s18
	s_cbranch_execz .LBB1434_212
.LBB1434_278:                           ;   in Loop: Header=BB1434_96 Depth=2
	ds_load_b32 v2, v70 offset:5120
	s_wait_dscnt 0x0
	v_cmp_ne_u32_e64 s30, 0x7fffffff, v2
	s_wait_alu 0xf1ff
	s_delay_alu instid0(VALU_DEP_1) | instskip(NEXT) | instid1(VALU_DEP_1)
	v_cndmask_b32_e64 v2, 0x80000000, v2, s30
	v_lshrrev_b32_e32 v2, s31, v2
	s_delay_alu instid0(VALU_DEP_1)
	v_and_b32_e32 v126, s48, v2
	s_wait_alu 0xfffe
	s_or_b32 exec_lo, exec_lo, s42
	s_and_saveexec_b32 s42, s19
	s_cbranch_execz .LBB1434_213
.LBB1434_279:                           ;   in Loop: Header=BB1434_96 Depth=2
	ds_load_b32 v2, v70 offset:6144
	s_wait_dscnt 0x0
	v_cmp_ne_u32_e64 s30, 0x7fffffff, v2
	s_wait_alu 0xf1ff
	s_delay_alu instid0(VALU_DEP_1) | instskip(NEXT) | instid1(VALU_DEP_1)
	v_cndmask_b32_e64 v2, 0x80000000, v2, s30
	v_lshrrev_b32_e32 v2, s31, v2
	s_delay_alu instid0(VALU_DEP_1)
	v_and_b32_e32 v125, s48, v2
	s_wait_alu 0xfffe
	s_or_b32 exec_lo, exec_lo, s42
	s_and_saveexec_b32 s42, s20
	s_cbranch_execz .LBB1434_214
.LBB1434_280:                           ;   in Loop: Header=BB1434_96 Depth=2
	ds_load_b32 v2, v70 offset:7168
	s_wait_dscnt 0x0
	v_cmp_ne_u32_e64 s30, 0x7fffffff, v2
	s_wait_alu 0xf1ff
	s_delay_alu instid0(VALU_DEP_1) | instskip(NEXT) | instid1(VALU_DEP_1)
	v_cndmask_b32_e64 v2, 0x80000000, v2, s30
	v_lshrrev_b32_e32 v2, s31, v2
	s_delay_alu instid0(VALU_DEP_1)
	v_and_b32_e32 v124, s48, v2
	s_wait_alu 0xfffe
	s_or_b32 exec_lo, exec_lo, s42
	s_and_saveexec_b32 s42, s21
	s_cbranch_execz .LBB1434_215
.LBB1434_281:                           ;   in Loop: Header=BB1434_96 Depth=2
	ds_load_b32 v2, v70 offset:8192
	s_wait_dscnt 0x0
	v_cmp_ne_u32_e64 s30, 0x7fffffff, v2
	s_wait_alu 0xf1ff
	s_delay_alu instid0(VALU_DEP_1) | instskip(NEXT) | instid1(VALU_DEP_1)
	v_cndmask_b32_e64 v2, 0x80000000, v2, s30
	v_lshrrev_b32_e32 v2, s31, v2
	s_delay_alu instid0(VALU_DEP_1)
	v_and_b32_e32 v123, s48, v2
	s_wait_alu 0xfffe
	s_or_b32 exec_lo, exec_lo, s42
	s_and_saveexec_b32 s42, s22
	s_cbranch_execz .LBB1434_216
.LBB1434_282:                           ;   in Loop: Header=BB1434_96 Depth=2
	ds_load_b32 v2, v70 offset:9216
	s_wait_dscnt 0x0
	v_cmp_ne_u32_e64 s30, 0x7fffffff, v2
	s_wait_alu 0xf1ff
	s_delay_alu instid0(VALU_DEP_1) | instskip(NEXT) | instid1(VALU_DEP_1)
	v_cndmask_b32_e64 v2, 0x80000000, v2, s30
	v_lshrrev_b32_e32 v2, s31, v2
	s_delay_alu instid0(VALU_DEP_1)
	v_and_b32_e32 v122, s48, v2
	s_wait_alu 0xfffe
	s_or_b32 exec_lo, exec_lo, s42
	s_and_saveexec_b32 s42, s23
	s_cbranch_execz .LBB1434_217
.LBB1434_283:                           ;   in Loop: Header=BB1434_96 Depth=2
	ds_load_b32 v2, v70 offset:10240
	s_wait_dscnt 0x0
	v_cmp_ne_u32_e64 s30, 0x7fffffff, v2
	s_wait_alu 0xf1ff
	s_delay_alu instid0(VALU_DEP_1) | instskip(NEXT) | instid1(VALU_DEP_1)
	v_cndmask_b32_e64 v2, 0x80000000, v2, s30
	v_lshrrev_b32_e32 v2, s31, v2
	s_delay_alu instid0(VALU_DEP_1)
	v_and_b32_e32 v121, s48, v2
	s_wait_alu 0xfffe
	s_or_b32 exec_lo, exec_lo, s42
	s_and_saveexec_b32 s42, s24
	s_cbranch_execz .LBB1434_218
.LBB1434_284:                           ;   in Loop: Header=BB1434_96 Depth=2
	ds_load_b32 v2, v70 offset:11264
	s_wait_dscnt 0x0
	v_cmp_ne_u32_e64 s30, 0x7fffffff, v2
	s_wait_alu 0xf1ff
	s_delay_alu instid0(VALU_DEP_1) | instskip(NEXT) | instid1(VALU_DEP_1)
	v_cndmask_b32_e64 v2, 0x80000000, v2, s30
	v_lshrrev_b32_e32 v2, s31, v2
	s_delay_alu instid0(VALU_DEP_1)
	v_and_b32_e32 v120, s48, v2
	s_wait_alu 0xfffe
	s_or_b32 exec_lo, exec_lo, s42
	s_and_saveexec_b32 s42, s25
	s_cbranch_execz .LBB1434_219
.LBB1434_285:                           ;   in Loop: Header=BB1434_96 Depth=2
	ds_load_b32 v2, v70 offset:12288
	s_wait_dscnt 0x0
	v_cmp_ne_u32_e64 s30, 0x7fffffff, v2
	s_wait_alu 0xf1ff
	s_delay_alu instid0(VALU_DEP_1) | instskip(NEXT) | instid1(VALU_DEP_1)
	v_cndmask_b32_e64 v2, 0x80000000, v2, s30
	v_lshrrev_b32_e32 v2, s31, v2
	s_delay_alu instid0(VALU_DEP_1)
	v_and_b32_e32 v119, s48, v2
	s_wait_alu 0xfffe
	s_or_b32 exec_lo, exec_lo, s42
	s_and_saveexec_b32 s42, s26
	s_cbranch_execz .LBB1434_220
.LBB1434_286:                           ;   in Loop: Header=BB1434_96 Depth=2
	ds_load_b32 v2, v70 offset:13312
	s_wait_dscnt 0x0
	v_cmp_ne_u32_e64 s30, 0x7fffffff, v2
	s_wait_alu 0xf1ff
	s_delay_alu instid0(VALU_DEP_1) | instskip(NEXT) | instid1(VALU_DEP_1)
	v_cndmask_b32_e64 v2, 0x80000000, v2, s30
	v_lshrrev_b32_e32 v2, s31, v2
	s_delay_alu instid0(VALU_DEP_1)
	v_and_b32_e32 v118, s48, v2
	s_wait_alu 0xfffe
	s_or_b32 exec_lo, exec_lo, s42
	s_and_saveexec_b32 s42, s27
	s_cbranch_execz .LBB1434_221
.LBB1434_287:                           ;   in Loop: Header=BB1434_96 Depth=2
	ds_load_b32 v2, v70 offset:14336
	s_wait_dscnt 0x0
	v_cmp_ne_u32_e64 s30, 0x7fffffff, v2
	s_wait_alu 0xf1ff
	s_delay_alu instid0(VALU_DEP_1) | instskip(NEXT) | instid1(VALU_DEP_1)
	v_cndmask_b32_e64 v2, 0x80000000, v2, s30
	v_lshrrev_b32_e32 v2, s31, v2
	s_delay_alu instid0(VALU_DEP_1)
	v_and_b32_e32 v117, s48, v2
	s_wait_alu 0xfffe
	s_or_b32 exec_lo, exec_lo, s42
	s_and_saveexec_b32 s42, s28
	s_cbranch_execz .LBB1434_222
.LBB1434_288:                           ;   in Loop: Header=BB1434_96 Depth=2
	ds_load_b32 v2, v70 offset:15360
	s_wait_dscnt 0x0
	v_cmp_ne_u32_e64 s30, 0x7fffffff, v2
	s_wait_alu 0xf1ff
	s_delay_alu instid0(VALU_DEP_1) | instskip(NEXT) | instid1(VALU_DEP_1)
	v_cndmask_b32_e64 v2, 0x80000000, v2, s30
	v_lshrrev_b32_e32 v2, s31, v2
	s_delay_alu instid0(VALU_DEP_1)
	v_and_b32_e32 v116, s48, v2
	s_wait_alu 0xfffe
	s_or_b32 exec_lo, exec_lo, s42
	s_and_saveexec_b32 s42, s29
	s_cbranch_execnz .LBB1434_223
	s_branch .LBB1434_224
.LBB1434_289:                           ;   in Loop: Header=BB1434_96 Depth=2
	v_lshlrev_b32_e32 v2, 2, v130
	v_add_nc_u32_e32 v36, v70, v44
	ds_load_b32 v2, v2
	ds_load_b64 v[36:37], v36 offset:1024
	s_wait_dscnt 0x1
	v_add_nc_u32_e32 v2, v2, v1
	s_delay_alu instid0(VALU_DEP_1) | instskip(NEXT) | instid1(VALU_DEP_1)
	v_lshlrev_b64_e32 v[39:40], 3, v[2:3]
	v_add_co_u32 v39, vcc_lo, s44, v39
	s_wait_alu 0xfffd
	s_delay_alu instid0(VALU_DEP_2)
	v_add_co_ci_u32_e64 v40, null, s45, v40, vcc_lo
	s_wait_dscnt 0x0
	global_store_b64 v[39:40], v[36:37], off
	s_wait_alu 0xfffe
	s_or_b32 exec_lo, exec_lo, s30
	s_and_saveexec_b32 s30, s15
	s_cbranch_execz .LBB1434_226
.LBB1434_290:                           ;   in Loop: Header=BB1434_96 Depth=2
	v_lshlrev_b32_e32 v2, 2, v129
	v_add_nc_u32_e32 v36, v70, v44
	ds_load_b32 v2, v2
	ds_load_b64 v[36:37], v36 offset:3072
	s_wait_dscnt 0x1
	v_add_nc_u32_e32 v2, v2, v45
	s_delay_alu instid0(VALU_DEP_1) | instskip(NEXT) | instid1(VALU_DEP_1)
	v_lshlrev_b64_e32 v[39:40], 3, v[2:3]
	v_add_co_u32 v39, vcc_lo, s44, v39
	s_wait_alu 0xfffd
	s_delay_alu instid0(VALU_DEP_2)
	v_add_co_ci_u32_e64 v40, null, s45, v40, vcc_lo
	s_wait_dscnt 0x0
	global_store_b64 v[39:40], v[36:37], off
	s_wait_alu 0xfffe
	s_or_b32 exec_lo, exec_lo, s30
	s_and_saveexec_b32 s15, s16
	s_cbranch_execz .LBB1434_227
.LBB1434_291:                           ;   in Loop: Header=BB1434_96 Depth=2
	v_lshlrev_b32_e32 v2, 2, v128
	v_add_nc_u32_e32 v36, v70, v44
	ds_load_b32 v2, v2
	ds_load_b64 v[36:37], v36 offset:5120
	s_wait_dscnt 0x1
	v_add_nc_u32_e32 v2, v2, v46
	s_delay_alu instid0(VALU_DEP_1) | instskip(NEXT) | instid1(VALU_DEP_1)
	v_lshlrev_b64_e32 v[39:40], 3, v[2:3]
	v_add_co_u32 v39, vcc_lo, s44, v39
	s_wait_alu 0xfffd
	s_delay_alu instid0(VALU_DEP_2)
	v_add_co_ci_u32_e64 v40, null, s45, v40, vcc_lo
	s_wait_dscnt 0x0
	global_store_b64 v[39:40], v[36:37], off
	s_wait_alu 0xfffe
	s_or_b32 exec_lo, exec_lo, s15
	s_and_saveexec_b32 s15, s17
	s_cbranch_execz .LBB1434_228
.LBB1434_292:                           ;   in Loop: Header=BB1434_96 Depth=2
	v_lshlrev_b32_e32 v2, 2, v127
	v_add_nc_u32_e32 v36, v70, v44
	ds_load_b32 v2, v2
	ds_load_b64 v[36:37], v36 offset:7168
	s_wait_dscnt 0x1
	v_add_nc_u32_e32 v2, v2, v47
	s_delay_alu instid0(VALU_DEP_1) | instskip(NEXT) | instid1(VALU_DEP_1)
	v_lshlrev_b64_e32 v[39:40], 3, v[2:3]
	v_add_co_u32 v39, vcc_lo, s44, v39
	s_wait_alu 0xfffd
	s_delay_alu instid0(VALU_DEP_2)
	v_add_co_ci_u32_e64 v40, null, s45, v40, vcc_lo
	s_wait_dscnt 0x0
	global_store_b64 v[39:40], v[36:37], off
	s_wait_alu 0xfffe
	s_or_b32 exec_lo, exec_lo, s15
	s_and_saveexec_b32 s15, s18
	s_cbranch_execz .LBB1434_229
.LBB1434_293:                           ;   in Loop: Header=BB1434_96 Depth=2
	v_lshlrev_b32_e32 v2, 2, v126
	v_add_nc_u32_e32 v36, v70, v44
	ds_load_b32 v2, v2
	ds_load_b64 v[36:37], v36 offset:9216
	s_wait_dscnt 0x1
	v_add_nc_u32_e32 v2, v2, v50
	s_delay_alu instid0(VALU_DEP_1) | instskip(NEXT) | instid1(VALU_DEP_1)
	v_lshlrev_b64_e32 v[39:40], 3, v[2:3]
	v_add_co_u32 v39, vcc_lo, s44, v39
	s_wait_alu 0xfffd
	s_delay_alu instid0(VALU_DEP_2)
	v_add_co_ci_u32_e64 v40, null, s45, v40, vcc_lo
	s_wait_dscnt 0x0
	global_store_b64 v[39:40], v[36:37], off
	s_wait_alu 0xfffe
	s_or_b32 exec_lo, exec_lo, s15
	s_and_saveexec_b32 s15, s19
	s_cbranch_execz .LBB1434_230
.LBB1434_294:                           ;   in Loop: Header=BB1434_96 Depth=2
	v_lshlrev_b32_e32 v2, 2, v125
	v_add_nc_u32_e32 v36, v70, v44
	ds_load_b32 v2, v2
	ds_load_b64 v[36:37], v36 offset:11264
	s_wait_dscnt 0x1
	v_add_nc_u32_e32 v2, v2, v51
	s_delay_alu instid0(VALU_DEP_1) | instskip(NEXT) | instid1(VALU_DEP_1)
	v_lshlrev_b64_e32 v[39:40], 3, v[2:3]
	v_add_co_u32 v39, vcc_lo, s44, v39
	s_wait_alu 0xfffd
	s_delay_alu instid0(VALU_DEP_2)
	v_add_co_ci_u32_e64 v40, null, s45, v40, vcc_lo
	s_wait_dscnt 0x0
	global_store_b64 v[39:40], v[36:37], off
	s_wait_alu 0xfffe
	s_or_b32 exec_lo, exec_lo, s15
	s_and_saveexec_b32 s15, s20
	s_cbranch_execz .LBB1434_231
.LBB1434_295:                           ;   in Loop: Header=BB1434_96 Depth=2
	v_lshlrev_b32_e32 v2, 2, v124
	v_add_nc_u32_e32 v36, v70, v44
	ds_load_b32 v2, v2
	ds_load_b64 v[36:37], v36 offset:13312
	s_wait_dscnt 0x1
	v_add_nc_u32_e32 v2, v2, v52
	s_delay_alu instid0(VALU_DEP_1) | instskip(NEXT) | instid1(VALU_DEP_1)
	v_lshlrev_b64_e32 v[39:40], 3, v[2:3]
	v_add_co_u32 v39, vcc_lo, s44, v39
	s_wait_alu 0xfffd
	s_delay_alu instid0(VALU_DEP_2)
	v_add_co_ci_u32_e64 v40, null, s45, v40, vcc_lo
	s_wait_dscnt 0x0
	global_store_b64 v[39:40], v[36:37], off
	s_wait_alu 0xfffe
	s_or_b32 exec_lo, exec_lo, s15
	s_and_saveexec_b32 s15, s21
	s_cbranch_execz .LBB1434_232
.LBB1434_296:                           ;   in Loop: Header=BB1434_96 Depth=2
	v_lshlrev_b32_e32 v2, 2, v123
	v_add_nc_u32_e32 v36, v70, v44
	ds_load_b32 v2, v2
	ds_load_b64 v[36:37], v36 offset:15360
	s_wait_dscnt 0x1
	v_add_nc_u32_e32 v2, v2, v53
	s_delay_alu instid0(VALU_DEP_1) | instskip(NEXT) | instid1(VALU_DEP_1)
	v_lshlrev_b64_e32 v[39:40], 3, v[2:3]
	v_add_co_u32 v39, vcc_lo, s44, v39
	s_wait_alu 0xfffd
	s_delay_alu instid0(VALU_DEP_2)
	v_add_co_ci_u32_e64 v40, null, s45, v40, vcc_lo
	s_wait_dscnt 0x0
	global_store_b64 v[39:40], v[36:37], off
	s_wait_alu 0xfffe
	s_or_b32 exec_lo, exec_lo, s15
	s_and_saveexec_b32 s15, s22
	s_cbranch_execz .LBB1434_233
.LBB1434_297:                           ;   in Loop: Header=BB1434_96 Depth=2
	v_lshlrev_b32_e32 v2, 2, v122
	v_add_nc_u32_e32 v36, v70, v44
	ds_load_b32 v2, v2
	ds_load_b64 v[36:37], v36 offset:17408
	s_wait_dscnt 0x1
	v_add_nc_u32_e32 v2, v2, v54
	s_delay_alu instid0(VALU_DEP_1) | instskip(NEXT) | instid1(VALU_DEP_1)
	v_lshlrev_b64_e32 v[39:40], 3, v[2:3]
	v_add_co_u32 v39, vcc_lo, s44, v39
	s_wait_alu 0xfffd
	s_delay_alu instid0(VALU_DEP_2)
	v_add_co_ci_u32_e64 v40, null, s45, v40, vcc_lo
	s_wait_dscnt 0x0
	global_store_b64 v[39:40], v[36:37], off
	s_wait_alu 0xfffe
	s_or_b32 exec_lo, exec_lo, s15
	s_and_saveexec_b32 s15, s23
	s_cbranch_execz .LBB1434_234
.LBB1434_298:                           ;   in Loop: Header=BB1434_96 Depth=2
	v_lshlrev_b32_e32 v2, 2, v121
	v_add_nc_u32_e32 v36, v70, v44
	ds_load_b32 v2, v2
	ds_load_b64 v[36:37], v36 offset:19456
	s_wait_dscnt 0x1
	v_add_nc_u32_e32 v2, v2, v55
	s_delay_alu instid0(VALU_DEP_1) | instskip(NEXT) | instid1(VALU_DEP_1)
	v_lshlrev_b64_e32 v[39:40], 3, v[2:3]
	v_add_co_u32 v39, vcc_lo, s44, v39
	s_wait_alu 0xfffd
	s_delay_alu instid0(VALU_DEP_2)
	v_add_co_ci_u32_e64 v40, null, s45, v40, vcc_lo
	s_wait_dscnt 0x0
	global_store_b64 v[39:40], v[36:37], off
	s_wait_alu 0xfffe
	s_or_b32 exec_lo, exec_lo, s15
	s_and_saveexec_b32 s15, s24
	s_cbranch_execz .LBB1434_235
.LBB1434_299:                           ;   in Loop: Header=BB1434_96 Depth=2
	v_lshlrev_b32_e32 v2, 2, v120
	v_add_nc_u32_e32 v36, v70, v44
	ds_load_b32 v2, v2
	ds_load_b64 v[36:37], v36 offset:21504
	s_wait_dscnt 0x1
	v_add_nc_u32_e32 v2, v2, v56
	s_delay_alu instid0(VALU_DEP_1) | instskip(NEXT) | instid1(VALU_DEP_1)
	v_lshlrev_b64_e32 v[39:40], 3, v[2:3]
	v_add_co_u32 v39, vcc_lo, s44, v39
	s_wait_alu 0xfffd
	s_delay_alu instid0(VALU_DEP_2)
	v_add_co_ci_u32_e64 v40, null, s45, v40, vcc_lo
	s_wait_dscnt 0x0
	global_store_b64 v[39:40], v[36:37], off
	s_wait_alu 0xfffe
	s_or_b32 exec_lo, exec_lo, s15
	s_and_saveexec_b32 s15, s25
	s_cbranch_execz .LBB1434_236
.LBB1434_300:                           ;   in Loop: Header=BB1434_96 Depth=2
	v_lshlrev_b32_e32 v2, 2, v119
	v_add_nc_u32_e32 v36, v70, v44
	ds_load_b32 v2, v2
	ds_load_b64 v[36:37], v36 offset:23552
	s_wait_dscnt 0x1
	v_add_nc_u32_e32 v2, v2, v57
	s_delay_alu instid0(VALU_DEP_1) | instskip(NEXT) | instid1(VALU_DEP_1)
	v_lshlrev_b64_e32 v[39:40], 3, v[2:3]
	v_add_co_u32 v39, vcc_lo, s44, v39
	s_wait_alu 0xfffd
	s_delay_alu instid0(VALU_DEP_2)
	v_add_co_ci_u32_e64 v40, null, s45, v40, vcc_lo
	s_wait_dscnt 0x0
	global_store_b64 v[39:40], v[36:37], off
	s_wait_alu 0xfffe
	s_or_b32 exec_lo, exec_lo, s15
	s_and_saveexec_b32 s15, s26
	s_cbranch_execz .LBB1434_237
.LBB1434_301:                           ;   in Loop: Header=BB1434_96 Depth=2
	v_lshlrev_b32_e32 v2, 2, v118
	v_add_nc_u32_e32 v36, v70, v44
	ds_load_b32 v2, v2
	ds_load_b64 v[36:37], v36 offset:25600
	s_wait_dscnt 0x1
	v_add_nc_u32_e32 v2, v2, v58
	s_delay_alu instid0(VALU_DEP_1) | instskip(NEXT) | instid1(VALU_DEP_1)
	v_lshlrev_b64_e32 v[39:40], 3, v[2:3]
	v_add_co_u32 v39, vcc_lo, s44, v39
	s_wait_alu 0xfffd
	s_delay_alu instid0(VALU_DEP_2)
	v_add_co_ci_u32_e64 v40, null, s45, v40, vcc_lo
	s_wait_dscnt 0x0
	global_store_b64 v[39:40], v[36:37], off
	s_wait_alu 0xfffe
	s_or_b32 exec_lo, exec_lo, s15
	s_and_saveexec_b32 s15, s27
	s_cbranch_execz .LBB1434_238
.LBB1434_302:                           ;   in Loop: Header=BB1434_96 Depth=2
	v_lshlrev_b32_e32 v2, 2, v117
	v_add_nc_u32_e32 v36, v70, v44
	ds_load_b32 v2, v2
	ds_load_b64 v[36:37], v36 offset:27648
	s_wait_dscnt 0x1
	v_add_nc_u32_e32 v2, v2, v59
	s_delay_alu instid0(VALU_DEP_1) | instskip(NEXT) | instid1(VALU_DEP_1)
	v_lshlrev_b64_e32 v[39:40], 3, v[2:3]
	v_add_co_u32 v39, vcc_lo, s44, v39
	s_wait_alu 0xfffd
	s_delay_alu instid0(VALU_DEP_2)
	v_add_co_ci_u32_e64 v40, null, s45, v40, vcc_lo
	s_wait_dscnt 0x0
	global_store_b64 v[39:40], v[36:37], off
	s_wait_alu 0xfffe
	s_or_b32 exec_lo, exec_lo, s15
	s_and_saveexec_b32 s15, s28
	s_cbranch_execz .LBB1434_239
.LBB1434_303:                           ;   in Loop: Header=BB1434_96 Depth=2
	v_lshlrev_b32_e32 v2, 2, v116
	v_add_nc_u32_e32 v36, v70, v44
	ds_load_b32 v2, v2
	ds_load_b64 v[36:37], v36 offset:29696
	s_wait_dscnt 0x1
	v_add_nc_u32_e32 v2, v2, v60
	s_delay_alu instid0(VALU_DEP_1) | instskip(NEXT) | instid1(VALU_DEP_1)
	v_lshlrev_b64_e32 v[39:40], 3, v[2:3]
	v_add_co_u32 v39, vcc_lo, s44, v39
	s_wait_alu 0xfffd
	s_delay_alu instid0(VALU_DEP_2)
	v_add_co_ci_u32_e64 v40, null, s45, v40, vcc_lo
	s_wait_dscnt 0x0
	global_store_b64 v[39:40], v[36:37], off
	s_wait_alu 0xfffe
	s_or_b32 exec_lo, exec_lo, s15
	s_and_saveexec_b32 s15, s29
	s_cbranch_execnz .LBB1434_240
	s_branch .LBB1434_241
.LBB1434_304:                           ;   in Loop: Header=BB1434_12 Depth=1
	s_wait_loadcnt_dscnt 0x0
	s_barrier_signal -1
	s_mov_b32 s0, 0
	s_barrier_wait -1
.LBB1434_305:                           ;   in Loop: Header=BB1434_12 Depth=1
	s_wait_alu 0xfffe
	s_and_b32 vcc_lo, exec_lo, s0
	s_wait_alu 0xfffe
	s_cbranch_vccz .LBB1434_597
; %bb.306:                              ;   in Loop: Header=BB1434_12 Depth=1
	s_mov_b32 s9, s53
	s_mov_b32 s42, s33
	s_barrier_signal -1
	s_barrier_wait -1
	global_inv scope:SCOPE_SE
                                        ; implicit-def: $vgpr2
                                        ; implicit-def: $vgpr4
                                        ; implicit-def: $vgpr5
                                        ; implicit-def: $vgpr6
                                        ; implicit-def: $vgpr7
                                        ; implicit-def: $vgpr8
                                        ; implicit-def: $vgpr9
                                        ; implicit-def: $vgpr10
                                        ; implicit-def: $vgpr11
                                        ; implicit-def: $vgpr12
                                        ; implicit-def: $vgpr13
                                        ; implicit-def: $vgpr14
                                        ; implicit-def: $vgpr15
                                        ; implicit-def: $vgpr16
                                        ; implicit-def: $vgpr17
                                        ; implicit-def: $vgpr18
	s_branch .LBB1434_308
.LBB1434_307:                           ;   in Loop: Header=BB1434_308 Depth=2
	s_wait_alu 0xfffe
	s_or_b32 exec_lo, exec_lo, s0
	s_addk_co_i32 s9, 0xf000
	s_cmp_ge_u32 s10, s51
	s_mov_b32 s42, s10
	s_cbranch_scc1 .LBB1434_376
.LBB1434_308:                           ;   Parent Loop BB1434_12 Depth=1
                                        ; =>  This Inner Loop Header: Depth=2
	s_wait_alu 0xfffe
	s_add_co_i32 s10, s42, 0x1000
	s_mov_b32 s0, -1
	s_wait_alu 0xfffe
	s_cmp_gt_u32 s10, s51
                                        ; implicit-def: $vgpr19
                                        ; implicit-def: $vgpr20
                                        ; implicit-def: $vgpr21
                                        ; implicit-def: $vgpr22
                                        ; implicit-def: $vgpr23
                                        ; implicit-def: $vgpr24
                                        ; implicit-def: $vgpr25
                                        ; implicit-def: $vgpr26
                                        ; implicit-def: $vgpr27
                                        ; implicit-def: $vgpr28
                                        ; implicit-def: $vgpr29
                                        ; implicit-def: $vgpr30
                                        ; implicit-def: $vgpr31
                                        ; implicit-def: $vgpr32
                                        ; implicit-def: $vgpr33
                                        ; implicit-def: $vgpr34
	s_cbranch_scc1 .LBB1434_310
; %bb.309:                              ;   in Loop: Header=BB1434_308 Depth=2
	s_lshl_b64 s[0:1], s[42:43], 2
	s_wait_alu 0xfffe
	v_add_co_u32 v34, vcc_lo, v71, s0
	s_wait_alu 0xfffd
	v_add_co_ci_u32_e64 v35, null, s1, v72, vcc_lo
	s_mov_b32 s0, 0
	s_clause 0xf
	global_load_b32 v19, v[34:35], off
	global_load_b32 v20, v[34:35], off offset:1024
	global_load_b32 v21, v[34:35], off offset:2048
	;; [unrolled: 1-line block ×15, first 2 shown]
.LBB1434_310:                           ;   in Loop: Header=BB1434_308 Depth=2
	s_wait_alu 0xfffe
	s_and_not1_b32 vcc_lo, exec_lo, s0
	s_movk_i32 s0, 0x1000
	s_wait_alu 0xfffe
	s_cbranch_vccnz .LBB1434_329
; %bb.311:                              ;   in Loop: Header=BB1434_308 Depth=2
	s_lshl_b64 s[0:1], s[42:43], 2
	s_mov_b32 s11, exec_lo
	s_wait_alu 0xfffe
	s_add_nc_u64 s[0:1], s[38:39], s[0:1]
	v_cmpx_gt_u32_e64 s9, v1
	s_cbranch_execnz .LBB1434_361
; %bb.312:                              ;   in Loop: Header=BB1434_308 Depth=2
	s_or_b32 exec_lo, exec_lo, s11
	s_delay_alu instid0(SALU_CYCLE_1)
	s_mov_b32 s11, exec_lo
	v_cmpx_gt_u32_e64 s9, v45
	s_cbranch_execnz .LBB1434_362
.LBB1434_313:                           ;   in Loop: Header=BB1434_308 Depth=2
	s_wait_alu 0xfffe
	s_or_b32 exec_lo, exec_lo, s11
	s_delay_alu instid0(SALU_CYCLE_1)
	s_mov_b32 s11, exec_lo
	v_cmpx_gt_u32_e64 s9, v46
	s_cbranch_execnz .LBB1434_363
.LBB1434_314:                           ;   in Loop: Header=BB1434_308 Depth=2
	s_wait_alu 0xfffe
	s_or_b32 exec_lo, exec_lo, s11
	s_delay_alu instid0(SALU_CYCLE_1)
	s_mov_b32 s11, exec_lo
	v_cmpx_gt_u32_e64 s9, v47
	s_cbranch_execnz .LBB1434_364
.LBB1434_315:                           ;   in Loop: Header=BB1434_308 Depth=2
	s_wait_alu 0xfffe
	s_or_b32 exec_lo, exec_lo, s11
	s_delay_alu instid0(SALU_CYCLE_1)
	s_mov_b32 s11, exec_lo
	v_cmpx_gt_u32_e64 s9, v50
	s_cbranch_execnz .LBB1434_365
.LBB1434_316:                           ;   in Loop: Header=BB1434_308 Depth=2
	s_wait_alu 0xfffe
	s_or_b32 exec_lo, exec_lo, s11
	s_delay_alu instid0(SALU_CYCLE_1)
	s_mov_b32 s11, exec_lo
	v_cmpx_gt_u32_e64 s9, v51
	s_cbranch_execnz .LBB1434_366
.LBB1434_317:                           ;   in Loop: Header=BB1434_308 Depth=2
	s_wait_alu 0xfffe
	s_or_b32 exec_lo, exec_lo, s11
	s_delay_alu instid0(SALU_CYCLE_1)
	s_mov_b32 s11, exec_lo
	v_cmpx_gt_u32_e64 s9, v52
	s_cbranch_execnz .LBB1434_367
.LBB1434_318:                           ;   in Loop: Header=BB1434_308 Depth=2
	s_wait_alu 0xfffe
	s_or_b32 exec_lo, exec_lo, s11
	s_delay_alu instid0(SALU_CYCLE_1)
	s_mov_b32 s11, exec_lo
	v_cmpx_gt_u32_e64 s9, v53
	s_cbranch_execnz .LBB1434_368
.LBB1434_319:                           ;   in Loop: Header=BB1434_308 Depth=2
	s_wait_alu 0xfffe
	s_or_b32 exec_lo, exec_lo, s11
	s_delay_alu instid0(SALU_CYCLE_1)
	s_mov_b32 s11, exec_lo
	v_cmpx_gt_u32_e64 s9, v54
	s_cbranch_execnz .LBB1434_369
.LBB1434_320:                           ;   in Loop: Header=BB1434_308 Depth=2
	s_wait_alu 0xfffe
	s_or_b32 exec_lo, exec_lo, s11
	s_delay_alu instid0(SALU_CYCLE_1)
	s_mov_b32 s11, exec_lo
	v_cmpx_gt_u32_e64 s9, v55
	s_cbranch_execnz .LBB1434_370
.LBB1434_321:                           ;   in Loop: Header=BB1434_308 Depth=2
	s_wait_alu 0xfffe
	s_or_b32 exec_lo, exec_lo, s11
	s_delay_alu instid0(SALU_CYCLE_1)
	s_mov_b32 s11, exec_lo
	v_cmpx_gt_u32_e64 s9, v56
	s_cbranch_execnz .LBB1434_371
.LBB1434_322:                           ;   in Loop: Header=BB1434_308 Depth=2
	s_wait_alu 0xfffe
	s_or_b32 exec_lo, exec_lo, s11
	s_delay_alu instid0(SALU_CYCLE_1)
	s_mov_b32 s11, exec_lo
	v_cmpx_gt_u32_e64 s9, v57
	s_cbranch_execnz .LBB1434_372
.LBB1434_323:                           ;   in Loop: Header=BB1434_308 Depth=2
	s_wait_alu 0xfffe
	s_or_b32 exec_lo, exec_lo, s11
	s_delay_alu instid0(SALU_CYCLE_1)
	s_mov_b32 s11, exec_lo
	v_cmpx_gt_u32_e64 s9, v58
	s_cbranch_execnz .LBB1434_373
.LBB1434_324:                           ;   in Loop: Header=BB1434_308 Depth=2
	s_wait_alu 0xfffe
	s_or_b32 exec_lo, exec_lo, s11
	s_delay_alu instid0(SALU_CYCLE_1)
	s_mov_b32 s11, exec_lo
	v_cmpx_gt_u32_e64 s9, v59
	s_cbranch_execnz .LBB1434_374
.LBB1434_325:                           ;   in Loop: Header=BB1434_308 Depth=2
	s_wait_alu 0xfffe
	s_or_b32 exec_lo, exec_lo, s11
	s_delay_alu instid0(SALU_CYCLE_1)
	s_mov_b32 s11, exec_lo
	v_cmpx_gt_u32_e64 s9, v60
	s_cbranch_execnz .LBB1434_375
.LBB1434_326:                           ;   in Loop: Header=BB1434_308 Depth=2
	s_wait_alu 0xfffe
	s_or_b32 exec_lo, exec_lo, s11
	s_delay_alu instid0(SALU_CYCLE_1)
	s_mov_b32 s11, exec_lo
	v_cmpx_gt_u32_e64 s9, v61
	s_cbranch_execz .LBB1434_328
.LBB1434_327:                           ;   in Loop: Header=BB1434_308 Depth=2
	global_load_b32 v2, v108, s[0:1] offset:15360
.LBB1434_328:                           ;   in Loop: Header=BB1434_308 Depth=2
	s_wait_alu 0xfffe
	s_or_b32 exec_lo, exec_lo, s11
	s_wait_loadcnt 0x0
	v_dual_mov_b32 v19, v18 :: v_dual_mov_b32 v20, v17
	v_dual_mov_b32 v21, v16 :: v_dual_mov_b32 v22, v15
	;; [unrolled: 1-line block ×8, first 2 shown]
	s_mov_b32 s0, s9
.LBB1434_329:                           ;   in Loop: Header=BB1434_308 Depth=2
	s_wait_loadcnt 0x0
	s_delay_alu instid0(VALU_DEP_1) | instskip(NEXT) | instid1(VALU_DEP_2)
	v_dual_mov_b32 v2, v34 :: v_dual_mov_b32 v5, v32
	v_dual_mov_b32 v4, v33 :: v_dual_mov_b32 v7, v30
	;; [unrolled: 1-line block ×7, first 2 shown]
	v_mov_b32_e32 v16, v21
	v_mov_b32_e32 v18, v19
	s_mov_b32 s1, exec_lo
	s_wait_alu 0xfffe
	v_cmpx_gt_u32_e64 s0, v1
	s_cbranch_execnz .LBB1434_345
; %bb.330:                              ;   in Loop: Header=BB1434_308 Depth=2
	s_or_b32 exec_lo, exec_lo, s1
	s_delay_alu instid0(SALU_CYCLE_1)
	s_mov_b32 s1, exec_lo
	v_cmpx_gt_u32_e64 s0, v45
	s_cbranch_execnz .LBB1434_346
.LBB1434_331:                           ;   in Loop: Header=BB1434_308 Depth=2
	s_wait_alu 0xfffe
	s_or_b32 exec_lo, exec_lo, s1
	s_delay_alu instid0(SALU_CYCLE_1)
	s_mov_b32 s1, exec_lo
	v_cmpx_gt_u32_e64 s0, v46
	s_cbranch_execnz .LBB1434_347
.LBB1434_332:                           ;   in Loop: Header=BB1434_308 Depth=2
	s_wait_alu 0xfffe
	s_or_b32 exec_lo, exec_lo, s1
	s_delay_alu instid0(SALU_CYCLE_1)
	s_mov_b32 s1, exec_lo
	v_cmpx_gt_u32_e64 s0, v47
	s_cbranch_execnz .LBB1434_348
.LBB1434_333:                           ;   in Loop: Header=BB1434_308 Depth=2
	s_wait_alu 0xfffe
	s_or_b32 exec_lo, exec_lo, s1
	s_delay_alu instid0(SALU_CYCLE_1)
	s_mov_b32 s1, exec_lo
	v_cmpx_gt_u32_e64 s0, v50
	s_cbranch_execnz .LBB1434_349
.LBB1434_334:                           ;   in Loop: Header=BB1434_308 Depth=2
	s_wait_alu 0xfffe
	s_or_b32 exec_lo, exec_lo, s1
	s_delay_alu instid0(SALU_CYCLE_1)
	s_mov_b32 s1, exec_lo
	v_cmpx_gt_u32_e64 s0, v51
	s_cbranch_execnz .LBB1434_350
.LBB1434_335:                           ;   in Loop: Header=BB1434_308 Depth=2
	s_wait_alu 0xfffe
	s_or_b32 exec_lo, exec_lo, s1
	s_delay_alu instid0(SALU_CYCLE_1)
	s_mov_b32 s1, exec_lo
	v_cmpx_gt_u32_e64 s0, v52
	s_cbranch_execnz .LBB1434_351
.LBB1434_336:                           ;   in Loop: Header=BB1434_308 Depth=2
	s_wait_alu 0xfffe
	s_or_b32 exec_lo, exec_lo, s1
	s_delay_alu instid0(SALU_CYCLE_1)
	s_mov_b32 s1, exec_lo
	v_cmpx_gt_u32_e64 s0, v53
	s_cbranch_execnz .LBB1434_352
.LBB1434_337:                           ;   in Loop: Header=BB1434_308 Depth=2
	s_wait_alu 0xfffe
	s_or_b32 exec_lo, exec_lo, s1
	s_delay_alu instid0(SALU_CYCLE_1)
	s_mov_b32 s1, exec_lo
	v_cmpx_gt_u32_e64 s0, v54
	s_cbranch_execnz .LBB1434_353
.LBB1434_338:                           ;   in Loop: Header=BB1434_308 Depth=2
	s_wait_alu 0xfffe
	s_or_b32 exec_lo, exec_lo, s1
	s_delay_alu instid0(SALU_CYCLE_1)
	s_mov_b32 s1, exec_lo
	v_cmpx_gt_u32_e64 s0, v55
	s_cbranch_execnz .LBB1434_354
.LBB1434_339:                           ;   in Loop: Header=BB1434_308 Depth=2
	s_wait_alu 0xfffe
	s_or_b32 exec_lo, exec_lo, s1
	s_delay_alu instid0(SALU_CYCLE_1)
	s_mov_b32 s1, exec_lo
	v_cmpx_gt_u32_e64 s0, v56
	s_cbranch_execnz .LBB1434_355
.LBB1434_340:                           ;   in Loop: Header=BB1434_308 Depth=2
	s_wait_alu 0xfffe
	s_or_b32 exec_lo, exec_lo, s1
	s_delay_alu instid0(SALU_CYCLE_1)
	s_mov_b32 s1, exec_lo
	v_cmpx_gt_u32_e64 s0, v57
	s_cbranch_execnz .LBB1434_356
.LBB1434_341:                           ;   in Loop: Header=BB1434_308 Depth=2
	s_wait_alu 0xfffe
	s_or_b32 exec_lo, exec_lo, s1
	s_delay_alu instid0(SALU_CYCLE_1)
	s_mov_b32 s1, exec_lo
	v_cmpx_gt_u32_e64 s0, v58
	s_cbranch_execnz .LBB1434_357
.LBB1434_342:                           ;   in Loop: Header=BB1434_308 Depth=2
	s_wait_alu 0xfffe
	s_or_b32 exec_lo, exec_lo, s1
	s_delay_alu instid0(SALU_CYCLE_1)
	s_mov_b32 s1, exec_lo
	v_cmpx_gt_u32_e64 s0, v59
	s_cbranch_execnz .LBB1434_358
.LBB1434_343:                           ;   in Loop: Header=BB1434_308 Depth=2
	s_wait_alu 0xfffe
	s_or_b32 exec_lo, exec_lo, s1
	s_delay_alu instid0(SALU_CYCLE_1)
	s_mov_b32 s1, exec_lo
	v_cmpx_gt_u32_e64 s0, v60
	s_cbranch_execnz .LBB1434_359
.LBB1434_344:                           ;   in Loop: Header=BB1434_308 Depth=2
	s_wait_alu 0xfffe
	s_or_b32 exec_lo, exec_lo, s1
	v_cmp_gt_u32_e32 vcc_lo, s0, v61
	s_and_saveexec_b32 s0, vcc_lo
	s_cbranch_execz .LBB1434_307
	s_branch .LBB1434_360
.LBB1434_345:                           ;   in Loop: Header=BB1434_308 Depth=2
	v_cmp_lt_i32_e32 vcc_lo, -1, v18
	s_wait_alu 0xfffd
	v_cndmask_b32_e64 v19, -1, 0x80000000, vcc_lo
	s_delay_alu instid0(VALU_DEP_1) | instskip(NEXT) | instid1(VALU_DEP_1)
	v_xor_b32_e32 v19, v19, v18
	v_cmp_ne_u32_e32 vcc_lo, 0x7fffffff, v19
	s_wait_alu 0xfffd
	v_cndmask_b32_e32 v19, 0x80000000, v19, vcc_lo
	s_delay_alu instid0(VALU_DEP_1) | instskip(NEXT) | instid1(VALU_DEP_1)
	v_lshrrev_b32_e32 v19, s31, v19
	v_and_b32_e32 v19, s48, v19
	s_delay_alu instid0(VALU_DEP_1) | instskip(SKIP_2) | instid1(SALU_CYCLE_1)
	v_lshl_or_b32 v19, v19, 4, v62
	ds_add_u32 v19, v84
	s_or_b32 exec_lo, exec_lo, s1
	s_mov_b32 s1, exec_lo
	v_cmpx_gt_u32_e64 s0, v45
	s_cbranch_execz .LBB1434_331
.LBB1434_346:                           ;   in Loop: Header=BB1434_308 Depth=2
	v_cmp_lt_i32_e32 vcc_lo, -1, v17
	s_wait_alu 0xfffd
	v_cndmask_b32_e64 v19, -1, 0x80000000, vcc_lo
	s_delay_alu instid0(VALU_DEP_1) | instskip(NEXT) | instid1(VALU_DEP_1)
	v_xor_b32_e32 v19, v19, v17
	v_cmp_ne_u32_e32 vcc_lo, 0x7fffffff, v19
	s_wait_alu 0xfffd
	v_cndmask_b32_e32 v19, 0x80000000, v19, vcc_lo
	s_delay_alu instid0(VALU_DEP_1) | instskip(NEXT) | instid1(VALU_DEP_1)
	v_lshrrev_b32_e32 v19, s31, v19
	v_and_b32_e32 v19, s48, v19
	s_delay_alu instid0(VALU_DEP_1) | instskip(SKIP_3) | instid1(SALU_CYCLE_1)
	v_lshl_or_b32 v19, v19, 4, v62
	ds_add_u32 v19, v84
	s_wait_alu 0xfffe
	s_or_b32 exec_lo, exec_lo, s1
	s_mov_b32 s1, exec_lo
	v_cmpx_gt_u32_e64 s0, v46
	s_cbranch_execz .LBB1434_332
.LBB1434_347:                           ;   in Loop: Header=BB1434_308 Depth=2
	v_cmp_lt_i32_e32 vcc_lo, -1, v16
	s_wait_alu 0xfffd
	v_cndmask_b32_e64 v19, -1, 0x80000000, vcc_lo
	s_delay_alu instid0(VALU_DEP_1) | instskip(NEXT) | instid1(VALU_DEP_1)
	v_xor_b32_e32 v19, v19, v16
	v_cmp_ne_u32_e32 vcc_lo, 0x7fffffff, v19
	s_wait_alu 0xfffd
	v_cndmask_b32_e32 v19, 0x80000000, v19, vcc_lo
	s_delay_alu instid0(VALU_DEP_1) | instskip(NEXT) | instid1(VALU_DEP_1)
	v_lshrrev_b32_e32 v19, s31, v19
	v_and_b32_e32 v19, s48, v19
	s_delay_alu instid0(VALU_DEP_1) | instskip(SKIP_3) | instid1(SALU_CYCLE_1)
	v_lshl_or_b32 v19, v19, 4, v62
	ds_add_u32 v19, v84
	s_wait_alu 0xfffe
	s_or_b32 exec_lo, exec_lo, s1
	s_mov_b32 s1, exec_lo
	v_cmpx_gt_u32_e64 s0, v47
	s_cbranch_execz .LBB1434_333
.LBB1434_348:                           ;   in Loop: Header=BB1434_308 Depth=2
	v_cmp_lt_i32_e32 vcc_lo, -1, v15
	s_wait_alu 0xfffd
	v_cndmask_b32_e64 v19, -1, 0x80000000, vcc_lo
	s_delay_alu instid0(VALU_DEP_1) | instskip(NEXT) | instid1(VALU_DEP_1)
	v_xor_b32_e32 v19, v19, v15
	v_cmp_ne_u32_e32 vcc_lo, 0x7fffffff, v19
	s_wait_alu 0xfffd
	v_cndmask_b32_e32 v19, 0x80000000, v19, vcc_lo
	s_delay_alu instid0(VALU_DEP_1) | instskip(NEXT) | instid1(VALU_DEP_1)
	v_lshrrev_b32_e32 v19, s31, v19
	v_and_b32_e32 v19, s48, v19
	s_delay_alu instid0(VALU_DEP_1) | instskip(SKIP_3) | instid1(SALU_CYCLE_1)
	v_lshl_or_b32 v19, v19, 4, v62
	ds_add_u32 v19, v84
	s_wait_alu 0xfffe
	s_or_b32 exec_lo, exec_lo, s1
	s_mov_b32 s1, exec_lo
	v_cmpx_gt_u32_e64 s0, v50
	s_cbranch_execz .LBB1434_334
.LBB1434_349:                           ;   in Loop: Header=BB1434_308 Depth=2
	v_cmp_lt_i32_e32 vcc_lo, -1, v14
	s_wait_alu 0xfffd
	v_cndmask_b32_e64 v19, -1, 0x80000000, vcc_lo
	s_delay_alu instid0(VALU_DEP_1) | instskip(NEXT) | instid1(VALU_DEP_1)
	v_xor_b32_e32 v19, v19, v14
	v_cmp_ne_u32_e32 vcc_lo, 0x7fffffff, v19
	s_wait_alu 0xfffd
	v_cndmask_b32_e32 v19, 0x80000000, v19, vcc_lo
	s_delay_alu instid0(VALU_DEP_1) | instskip(NEXT) | instid1(VALU_DEP_1)
	v_lshrrev_b32_e32 v19, s31, v19
	v_and_b32_e32 v19, s48, v19
	s_delay_alu instid0(VALU_DEP_1) | instskip(SKIP_3) | instid1(SALU_CYCLE_1)
	v_lshl_or_b32 v19, v19, 4, v62
	ds_add_u32 v19, v84
	s_wait_alu 0xfffe
	s_or_b32 exec_lo, exec_lo, s1
	s_mov_b32 s1, exec_lo
	v_cmpx_gt_u32_e64 s0, v51
	s_cbranch_execz .LBB1434_335
.LBB1434_350:                           ;   in Loop: Header=BB1434_308 Depth=2
	v_cmp_lt_i32_e32 vcc_lo, -1, v13
	s_wait_alu 0xfffd
	v_cndmask_b32_e64 v19, -1, 0x80000000, vcc_lo
	s_delay_alu instid0(VALU_DEP_1) | instskip(NEXT) | instid1(VALU_DEP_1)
	v_xor_b32_e32 v19, v19, v13
	v_cmp_ne_u32_e32 vcc_lo, 0x7fffffff, v19
	s_wait_alu 0xfffd
	v_cndmask_b32_e32 v19, 0x80000000, v19, vcc_lo
	s_delay_alu instid0(VALU_DEP_1) | instskip(NEXT) | instid1(VALU_DEP_1)
	v_lshrrev_b32_e32 v19, s31, v19
	v_and_b32_e32 v19, s48, v19
	s_delay_alu instid0(VALU_DEP_1) | instskip(SKIP_3) | instid1(SALU_CYCLE_1)
	v_lshl_or_b32 v19, v19, 4, v62
	ds_add_u32 v19, v84
	s_wait_alu 0xfffe
	s_or_b32 exec_lo, exec_lo, s1
	s_mov_b32 s1, exec_lo
	v_cmpx_gt_u32_e64 s0, v52
	s_cbranch_execz .LBB1434_336
.LBB1434_351:                           ;   in Loop: Header=BB1434_308 Depth=2
	v_cmp_lt_i32_e32 vcc_lo, -1, v12
	s_wait_alu 0xfffd
	v_cndmask_b32_e64 v19, -1, 0x80000000, vcc_lo
	s_delay_alu instid0(VALU_DEP_1) | instskip(NEXT) | instid1(VALU_DEP_1)
	v_xor_b32_e32 v19, v19, v12
	v_cmp_ne_u32_e32 vcc_lo, 0x7fffffff, v19
	s_wait_alu 0xfffd
	v_cndmask_b32_e32 v19, 0x80000000, v19, vcc_lo
	s_delay_alu instid0(VALU_DEP_1) | instskip(NEXT) | instid1(VALU_DEP_1)
	v_lshrrev_b32_e32 v19, s31, v19
	v_and_b32_e32 v19, s48, v19
	s_delay_alu instid0(VALU_DEP_1) | instskip(SKIP_3) | instid1(SALU_CYCLE_1)
	v_lshl_or_b32 v19, v19, 4, v62
	ds_add_u32 v19, v84
	s_wait_alu 0xfffe
	s_or_b32 exec_lo, exec_lo, s1
	s_mov_b32 s1, exec_lo
	v_cmpx_gt_u32_e64 s0, v53
	s_cbranch_execz .LBB1434_337
.LBB1434_352:                           ;   in Loop: Header=BB1434_308 Depth=2
	v_cmp_lt_i32_e32 vcc_lo, -1, v11
	s_wait_alu 0xfffd
	v_cndmask_b32_e64 v19, -1, 0x80000000, vcc_lo
	s_delay_alu instid0(VALU_DEP_1) | instskip(NEXT) | instid1(VALU_DEP_1)
	v_xor_b32_e32 v19, v19, v11
	v_cmp_ne_u32_e32 vcc_lo, 0x7fffffff, v19
	s_wait_alu 0xfffd
	v_cndmask_b32_e32 v19, 0x80000000, v19, vcc_lo
	s_delay_alu instid0(VALU_DEP_1) | instskip(NEXT) | instid1(VALU_DEP_1)
	v_lshrrev_b32_e32 v19, s31, v19
	v_and_b32_e32 v19, s48, v19
	s_delay_alu instid0(VALU_DEP_1) | instskip(SKIP_3) | instid1(SALU_CYCLE_1)
	v_lshl_or_b32 v19, v19, 4, v62
	ds_add_u32 v19, v84
	s_wait_alu 0xfffe
	s_or_b32 exec_lo, exec_lo, s1
	s_mov_b32 s1, exec_lo
	v_cmpx_gt_u32_e64 s0, v54
	s_cbranch_execz .LBB1434_338
.LBB1434_353:                           ;   in Loop: Header=BB1434_308 Depth=2
	v_cmp_lt_i32_e32 vcc_lo, -1, v10
	s_wait_alu 0xfffd
	v_cndmask_b32_e64 v19, -1, 0x80000000, vcc_lo
	s_delay_alu instid0(VALU_DEP_1) | instskip(NEXT) | instid1(VALU_DEP_1)
	v_xor_b32_e32 v19, v19, v10
	v_cmp_ne_u32_e32 vcc_lo, 0x7fffffff, v19
	s_wait_alu 0xfffd
	v_cndmask_b32_e32 v19, 0x80000000, v19, vcc_lo
	s_delay_alu instid0(VALU_DEP_1) | instskip(NEXT) | instid1(VALU_DEP_1)
	v_lshrrev_b32_e32 v19, s31, v19
	v_and_b32_e32 v19, s48, v19
	s_delay_alu instid0(VALU_DEP_1) | instskip(SKIP_3) | instid1(SALU_CYCLE_1)
	v_lshl_or_b32 v19, v19, 4, v62
	ds_add_u32 v19, v84
	s_wait_alu 0xfffe
	s_or_b32 exec_lo, exec_lo, s1
	s_mov_b32 s1, exec_lo
	v_cmpx_gt_u32_e64 s0, v55
	s_cbranch_execz .LBB1434_339
.LBB1434_354:                           ;   in Loop: Header=BB1434_308 Depth=2
	v_cmp_lt_i32_e32 vcc_lo, -1, v9
	s_wait_alu 0xfffd
	v_cndmask_b32_e64 v19, -1, 0x80000000, vcc_lo
	s_delay_alu instid0(VALU_DEP_1) | instskip(NEXT) | instid1(VALU_DEP_1)
	v_xor_b32_e32 v19, v19, v9
	v_cmp_ne_u32_e32 vcc_lo, 0x7fffffff, v19
	s_wait_alu 0xfffd
	v_cndmask_b32_e32 v19, 0x80000000, v19, vcc_lo
	s_delay_alu instid0(VALU_DEP_1) | instskip(NEXT) | instid1(VALU_DEP_1)
	v_lshrrev_b32_e32 v19, s31, v19
	v_and_b32_e32 v19, s48, v19
	s_delay_alu instid0(VALU_DEP_1) | instskip(SKIP_3) | instid1(SALU_CYCLE_1)
	v_lshl_or_b32 v19, v19, 4, v62
	ds_add_u32 v19, v84
	s_wait_alu 0xfffe
	s_or_b32 exec_lo, exec_lo, s1
	s_mov_b32 s1, exec_lo
	v_cmpx_gt_u32_e64 s0, v56
	s_cbranch_execz .LBB1434_340
.LBB1434_355:                           ;   in Loop: Header=BB1434_308 Depth=2
	v_cmp_lt_i32_e32 vcc_lo, -1, v8
	s_wait_alu 0xfffd
	v_cndmask_b32_e64 v19, -1, 0x80000000, vcc_lo
	s_delay_alu instid0(VALU_DEP_1) | instskip(NEXT) | instid1(VALU_DEP_1)
	v_xor_b32_e32 v19, v19, v8
	v_cmp_ne_u32_e32 vcc_lo, 0x7fffffff, v19
	s_wait_alu 0xfffd
	v_cndmask_b32_e32 v19, 0x80000000, v19, vcc_lo
	s_delay_alu instid0(VALU_DEP_1) | instskip(NEXT) | instid1(VALU_DEP_1)
	v_lshrrev_b32_e32 v19, s31, v19
	v_and_b32_e32 v19, s48, v19
	s_delay_alu instid0(VALU_DEP_1) | instskip(SKIP_3) | instid1(SALU_CYCLE_1)
	v_lshl_or_b32 v19, v19, 4, v62
	ds_add_u32 v19, v84
	s_wait_alu 0xfffe
	s_or_b32 exec_lo, exec_lo, s1
	s_mov_b32 s1, exec_lo
	v_cmpx_gt_u32_e64 s0, v57
	s_cbranch_execz .LBB1434_341
.LBB1434_356:                           ;   in Loop: Header=BB1434_308 Depth=2
	v_cmp_lt_i32_e32 vcc_lo, -1, v7
	s_wait_alu 0xfffd
	v_cndmask_b32_e64 v19, -1, 0x80000000, vcc_lo
	s_delay_alu instid0(VALU_DEP_1) | instskip(NEXT) | instid1(VALU_DEP_1)
	v_xor_b32_e32 v19, v19, v7
	v_cmp_ne_u32_e32 vcc_lo, 0x7fffffff, v19
	s_wait_alu 0xfffd
	v_cndmask_b32_e32 v19, 0x80000000, v19, vcc_lo
	s_delay_alu instid0(VALU_DEP_1) | instskip(NEXT) | instid1(VALU_DEP_1)
	v_lshrrev_b32_e32 v19, s31, v19
	v_and_b32_e32 v19, s48, v19
	s_delay_alu instid0(VALU_DEP_1) | instskip(SKIP_3) | instid1(SALU_CYCLE_1)
	v_lshl_or_b32 v19, v19, 4, v62
	ds_add_u32 v19, v84
	s_wait_alu 0xfffe
	s_or_b32 exec_lo, exec_lo, s1
	s_mov_b32 s1, exec_lo
	v_cmpx_gt_u32_e64 s0, v58
	s_cbranch_execz .LBB1434_342
.LBB1434_357:                           ;   in Loop: Header=BB1434_308 Depth=2
	v_cmp_lt_i32_e32 vcc_lo, -1, v6
	s_wait_alu 0xfffd
	v_cndmask_b32_e64 v19, -1, 0x80000000, vcc_lo
	s_delay_alu instid0(VALU_DEP_1) | instskip(NEXT) | instid1(VALU_DEP_1)
	v_xor_b32_e32 v19, v19, v6
	v_cmp_ne_u32_e32 vcc_lo, 0x7fffffff, v19
	s_wait_alu 0xfffd
	v_cndmask_b32_e32 v19, 0x80000000, v19, vcc_lo
	s_delay_alu instid0(VALU_DEP_1) | instskip(NEXT) | instid1(VALU_DEP_1)
	v_lshrrev_b32_e32 v19, s31, v19
	v_and_b32_e32 v19, s48, v19
	s_delay_alu instid0(VALU_DEP_1) | instskip(SKIP_3) | instid1(SALU_CYCLE_1)
	v_lshl_or_b32 v19, v19, 4, v62
	ds_add_u32 v19, v84
	s_wait_alu 0xfffe
	s_or_b32 exec_lo, exec_lo, s1
	s_mov_b32 s1, exec_lo
	v_cmpx_gt_u32_e64 s0, v59
	s_cbranch_execz .LBB1434_343
.LBB1434_358:                           ;   in Loop: Header=BB1434_308 Depth=2
	v_cmp_lt_i32_e32 vcc_lo, -1, v5
	s_wait_alu 0xfffd
	v_cndmask_b32_e64 v19, -1, 0x80000000, vcc_lo
	s_delay_alu instid0(VALU_DEP_1) | instskip(NEXT) | instid1(VALU_DEP_1)
	v_xor_b32_e32 v19, v19, v5
	v_cmp_ne_u32_e32 vcc_lo, 0x7fffffff, v19
	s_wait_alu 0xfffd
	v_cndmask_b32_e32 v19, 0x80000000, v19, vcc_lo
	s_delay_alu instid0(VALU_DEP_1) | instskip(NEXT) | instid1(VALU_DEP_1)
	v_lshrrev_b32_e32 v19, s31, v19
	v_and_b32_e32 v19, s48, v19
	s_delay_alu instid0(VALU_DEP_1) | instskip(SKIP_3) | instid1(SALU_CYCLE_1)
	v_lshl_or_b32 v19, v19, 4, v62
	ds_add_u32 v19, v84
	s_wait_alu 0xfffe
	s_or_b32 exec_lo, exec_lo, s1
	s_mov_b32 s1, exec_lo
	v_cmpx_gt_u32_e64 s0, v60
	s_cbranch_execz .LBB1434_344
.LBB1434_359:                           ;   in Loop: Header=BB1434_308 Depth=2
	v_cmp_lt_i32_e32 vcc_lo, -1, v4
	s_wait_alu 0xfffd
	v_cndmask_b32_e64 v19, -1, 0x80000000, vcc_lo
	s_delay_alu instid0(VALU_DEP_1) | instskip(NEXT) | instid1(VALU_DEP_1)
	v_xor_b32_e32 v19, v19, v4
	v_cmp_ne_u32_e32 vcc_lo, 0x7fffffff, v19
	s_wait_alu 0xfffd
	v_cndmask_b32_e32 v19, 0x80000000, v19, vcc_lo
	s_delay_alu instid0(VALU_DEP_1) | instskip(NEXT) | instid1(VALU_DEP_1)
	v_lshrrev_b32_e32 v19, s31, v19
	v_and_b32_e32 v19, s48, v19
	s_delay_alu instid0(VALU_DEP_1)
	v_lshl_or_b32 v19, v19, 4, v62
	ds_add_u32 v19, v84
	s_wait_alu 0xfffe
	s_or_b32 exec_lo, exec_lo, s1
	v_cmp_gt_u32_e32 vcc_lo, s0, v61
	s_and_saveexec_b32 s0, vcc_lo
	s_cbranch_execz .LBB1434_307
.LBB1434_360:                           ;   in Loop: Header=BB1434_308 Depth=2
	v_cmp_lt_i32_e32 vcc_lo, -1, v2
	s_wait_alu 0xfffd
	v_cndmask_b32_e64 v19, -1, 0x80000000, vcc_lo
	s_delay_alu instid0(VALU_DEP_1) | instskip(NEXT) | instid1(VALU_DEP_1)
	v_xor_b32_e32 v19, v19, v2
	v_cmp_ne_u32_e32 vcc_lo, 0x7fffffff, v19
	s_wait_alu 0xfffd
	v_cndmask_b32_e32 v19, 0x80000000, v19, vcc_lo
	s_delay_alu instid0(VALU_DEP_1) | instskip(NEXT) | instid1(VALU_DEP_1)
	v_lshrrev_b32_e32 v19, s31, v19
	v_and_b32_e32 v19, s48, v19
	s_delay_alu instid0(VALU_DEP_1)
	v_lshl_or_b32 v19, v19, 4, v62
	ds_add_u32 v19, v84
	s_branch .LBB1434_307
.LBB1434_361:                           ;   in Loop: Header=BB1434_308 Depth=2
	global_load_b32 v18, v108, s[0:1]
	s_or_b32 exec_lo, exec_lo, s11
	s_delay_alu instid0(SALU_CYCLE_1)
	s_mov_b32 s11, exec_lo
	v_cmpx_gt_u32_e64 s9, v45
	s_cbranch_execz .LBB1434_313
.LBB1434_362:                           ;   in Loop: Header=BB1434_308 Depth=2
	global_load_b32 v17, v108, s[0:1] offset:1024
	s_wait_alu 0xfffe
	s_or_b32 exec_lo, exec_lo, s11
	s_delay_alu instid0(SALU_CYCLE_1)
	s_mov_b32 s11, exec_lo
	v_cmpx_gt_u32_e64 s9, v46
	s_cbranch_execz .LBB1434_314
.LBB1434_363:                           ;   in Loop: Header=BB1434_308 Depth=2
	global_load_b32 v16, v108, s[0:1] offset:2048
	s_wait_alu 0xfffe
	s_or_b32 exec_lo, exec_lo, s11
	s_delay_alu instid0(SALU_CYCLE_1)
	s_mov_b32 s11, exec_lo
	v_cmpx_gt_u32_e64 s9, v47
	s_cbranch_execz .LBB1434_315
.LBB1434_364:                           ;   in Loop: Header=BB1434_308 Depth=2
	global_load_b32 v15, v108, s[0:1] offset:3072
	s_wait_alu 0xfffe
	s_or_b32 exec_lo, exec_lo, s11
	s_delay_alu instid0(SALU_CYCLE_1)
	s_mov_b32 s11, exec_lo
	v_cmpx_gt_u32_e64 s9, v50
	s_cbranch_execz .LBB1434_316
.LBB1434_365:                           ;   in Loop: Header=BB1434_308 Depth=2
	global_load_b32 v14, v108, s[0:1] offset:4096
	s_wait_alu 0xfffe
	s_or_b32 exec_lo, exec_lo, s11
	s_delay_alu instid0(SALU_CYCLE_1)
	s_mov_b32 s11, exec_lo
	v_cmpx_gt_u32_e64 s9, v51
	s_cbranch_execz .LBB1434_317
.LBB1434_366:                           ;   in Loop: Header=BB1434_308 Depth=2
	global_load_b32 v13, v108, s[0:1] offset:5120
	s_wait_alu 0xfffe
	s_or_b32 exec_lo, exec_lo, s11
	s_delay_alu instid0(SALU_CYCLE_1)
	s_mov_b32 s11, exec_lo
	v_cmpx_gt_u32_e64 s9, v52
	s_cbranch_execz .LBB1434_318
.LBB1434_367:                           ;   in Loop: Header=BB1434_308 Depth=2
	global_load_b32 v12, v108, s[0:1] offset:6144
	s_wait_alu 0xfffe
	s_or_b32 exec_lo, exec_lo, s11
	s_delay_alu instid0(SALU_CYCLE_1)
	s_mov_b32 s11, exec_lo
	v_cmpx_gt_u32_e64 s9, v53
	s_cbranch_execz .LBB1434_319
.LBB1434_368:                           ;   in Loop: Header=BB1434_308 Depth=2
	global_load_b32 v11, v108, s[0:1] offset:7168
	s_wait_alu 0xfffe
	s_or_b32 exec_lo, exec_lo, s11
	s_delay_alu instid0(SALU_CYCLE_1)
	s_mov_b32 s11, exec_lo
	v_cmpx_gt_u32_e64 s9, v54
	s_cbranch_execz .LBB1434_320
.LBB1434_369:                           ;   in Loop: Header=BB1434_308 Depth=2
	global_load_b32 v10, v108, s[0:1] offset:8192
	s_wait_alu 0xfffe
	s_or_b32 exec_lo, exec_lo, s11
	s_delay_alu instid0(SALU_CYCLE_1)
	s_mov_b32 s11, exec_lo
	v_cmpx_gt_u32_e64 s9, v55
	s_cbranch_execz .LBB1434_321
.LBB1434_370:                           ;   in Loop: Header=BB1434_308 Depth=2
	global_load_b32 v9, v108, s[0:1] offset:9216
	s_wait_alu 0xfffe
	s_or_b32 exec_lo, exec_lo, s11
	s_delay_alu instid0(SALU_CYCLE_1)
	s_mov_b32 s11, exec_lo
	v_cmpx_gt_u32_e64 s9, v56
	s_cbranch_execz .LBB1434_322
.LBB1434_371:                           ;   in Loop: Header=BB1434_308 Depth=2
	global_load_b32 v8, v108, s[0:1] offset:10240
	s_wait_alu 0xfffe
	s_or_b32 exec_lo, exec_lo, s11
	s_delay_alu instid0(SALU_CYCLE_1)
	s_mov_b32 s11, exec_lo
	v_cmpx_gt_u32_e64 s9, v57
	s_cbranch_execz .LBB1434_323
.LBB1434_372:                           ;   in Loop: Header=BB1434_308 Depth=2
	global_load_b32 v7, v108, s[0:1] offset:11264
	s_wait_alu 0xfffe
	s_or_b32 exec_lo, exec_lo, s11
	s_delay_alu instid0(SALU_CYCLE_1)
	s_mov_b32 s11, exec_lo
	v_cmpx_gt_u32_e64 s9, v58
	s_cbranch_execz .LBB1434_324
.LBB1434_373:                           ;   in Loop: Header=BB1434_308 Depth=2
	global_load_b32 v6, v108, s[0:1] offset:12288
	s_wait_alu 0xfffe
	s_or_b32 exec_lo, exec_lo, s11
	s_delay_alu instid0(SALU_CYCLE_1)
	s_mov_b32 s11, exec_lo
	v_cmpx_gt_u32_e64 s9, v59
	s_cbranch_execz .LBB1434_325
.LBB1434_374:                           ;   in Loop: Header=BB1434_308 Depth=2
	global_load_b32 v5, v108, s[0:1] offset:13312
	s_wait_alu 0xfffe
	s_or_b32 exec_lo, exec_lo, s11
	s_delay_alu instid0(SALU_CYCLE_1)
	s_mov_b32 s11, exec_lo
	v_cmpx_gt_u32_e64 s9, v60
	s_cbranch_execz .LBB1434_326
.LBB1434_375:                           ;   in Loop: Header=BB1434_308 Depth=2
	global_load_b32 v4, v108, s[0:1] offset:14336
	s_wait_alu 0xfffe
	s_or_b32 exec_lo, exec_lo, s11
	s_delay_alu instid0(SALU_CYCLE_1)
	s_mov_b32 s11, exec_lo
	v_cmpx_gt_u32_e64 s9, v61
	s_cbranch_execnz .LBB1434_327
	s_branch .LBB1434_328
.LBB1434_376:                           ;   in Loop: Header=BB1434_12 Depth=1
	v_mov_b32_e32 v2, 0
	s_wait_dscnt 0x0
	s_barrier_signal -1
	s_barrier_wait -1
	global_inv scope:SCOPE_SE
	s_and_saveexec_b32 s0, s2
	s_cbranch_execz .LBB1434_378
; %bb.377:                              ;   in Loop: Header=BB1434_12 Depth=1
	ds_load_2addr_b64 v[4:7], v64 offset1:1
	s_wait_dscnt 0x0
	v_add_nc_u32_e32 v2, v5, v4
	s_delay_alu instid0(VALU_DEP_1)
	v_add3_u32 v2, v2, v6, v7
.LBB1434_378:                           ;   in Loop: Header=BB1434_12 Depth=1
	s_wait_alu 0xfffe
	s_or_b32 exec_lo, exec_lo, s0
	s_delay_alu instid0(VALU_DEP_1)
	v_mov_b32_dpp v4, v2 row_shr:1 row_mask:0xf bank_mask:0xf
	v_cmp_eq_u32_e64 s0, 0, v85
	v_cmp_lt_u32_e64 s1, 1, v85
	v_cmp_lt_u32_e64 s9, 3, v85
	;; [unrolled: 1-line block ×3, first 2 shown]
	v_cmp_eq_u32_e64 s11, 0, v87
	s_wait_alu 0xf1ff
	v_cndmask_b32_e64 v4, v4, 0, s0
	s_delay_alu instid0(VALU_DEP_1) | instskip(NEXT) | instid1(VALU_DEP_1)
	v_add_nc_u32_e32 v2, v4, v2
	v_mov_b32_dpp v4, v2 row_shr:2 row_mask:0xf bank_mask:0xf
	s_delay_alu instid0(VALU_DEP_1) | instskip(NEXT) | instid1(VALU_DEP_1)
	v_cndmask_b32_e64 v4, 0, v4, s1
	v_add_nc_u32_e32 v2, v2, v4
	s_delay_alu instid0(VALU_DEP_1) | instskip(NEXT) | instid1(VALU_DEP_1)
	v_mov_b32_dpp v4, v2 row_shr:4 row_mask:0xf bank_mask:0xf
	v_cndmask_b32_e64 v4, 0, v4, s9
	s_delay_alu instid0(VALU_DEP_1) | instskip(NEXT) | instid1(VALU_DEP_1)
	v_add_nc_u32_e32 v2, v2, v4
	v_mov_b32_dpp v4, v2 row_shr:8 row_mask:0xf bank_mask:0xf
	s_delay_alu instid0(VALU_DEP_1) | instskip(NEXT) | instid1(VALU_DEP_1)
	v_cndmask_b32_e64 v4, 0, v4, s10
	v_add_nc_u32_e32 v2, v2, v4
	ds_swizzle_b32 v4, v2 offset:swizzle(BROADCAST,32,15)
	s_wait_dscnt 0x0
	v_and_b32_e32 v4, v86, v4
	s_delay_alu instid0(VALU_DEP_1)
	v_add_nc_u32_e32 v2, v2, v4
	s_and_saveexec_b32 s12, s3
; %bb.379:                              ;   in Loop: Header=BB1434_12 Depth=1
	ds_store_b32 v65, v2
; %bb.380:                              ;   in Loop: Header=BB1434_12 Depth=1
	s_wait_alu 0xfffe
	s_or_b32 exec_lo, exec_lo, s12
	s_wait_loadcnt_dscnt 0x0
	s_barrier_signal -1
	s_barrier_wait -1
	global_inv scope:SCOPE_SE
	s_and_saveexec_b32 s12, s4
	s_cbranch_execz .LBB1434_382
; %bb.381:                              ;   in Loop: Header=BB1434_12 Depth=1
	ds_load_b32 v4, v66
	v_cmp_ne_u32_e32 vcc_lo, 0, v89
	s_wait_dscnt 0x0
	v_mov_b32_dpp v5, v4 row_shr:1 row_mask:0xf bank_mask:0xf
	s_wait_alu 0xfffd
	s_delay_alu instid0(VALU_DEP_1) | instskip(SKIP_1) | instid1(VALU_DEP_2)
	v_cndmask_b32_e32 v5, 0, v5, vcc_lo
	v_cmp_lt_u32_e32 vcc_lo, 1, v89
	v_add_nc_u32_e32 v4, v5, v4
	s_delay_alu instid0(VALU_DEP_1) | instskip(SKIP_1) | instid1(VALU_DEP_1)
	v_mov_b32_dpp v5, v4 row_shr:2 row_mask:0xf bank_mask:0xf
	s_wait_alu 0xfffd
	v_cndmask_b32_e32 v5, 0, v5, vcc_lo
	v_cmp_lt_u32_e32 vcc_lo, 3, v89
	s_delay_alu instid0(VALU_DEP_2) | instskip(NEXT) | instid1(VALU_DEP_1)
	v_add_nc_u32_e32 v4, v4, v5
	v_mov_b32_dpp v5, v4 row_shr:4 row_mask:0xf bank_mask:0xf
	s_wait_alu 0xfffd
	s_delay_alu instid0(VALU_DEP_1) | instskip(NEXT) | instid1(VALU_DEP_1)
	v_cndmask_b32_e32 v5, 0, v5, vcc_lo
	v_add_nc_u32_e32 v4, v4, v5
	ds_store_b32 v66, v4
.LBB1434_382:                           ;   in Loop: Header=BB1434_12 Depth=1
	s_wait_alu 0xfffe
	s_or_b32 exec_lo, exec_lo, s12
	v_mov_b32_e32 v4, 0
	s_wait_loadcnt_dscnt 0x0
	s_barrier_signal -1
	s_barrier_wait -1
	global_inv scope:SCOPE_SE
	s_and_saveexec_b32 s12, s5
; %bb.383:                              ;   in Loop: Header=BB1434_12 Depth=1
	ds_load_b32 v4, v68
; %bb.384:                              ;   in Loop: Header=BB1434_12 Depth=1
	s_wait_alu 0xfffe
	s_or_b32 exec_lo, exec_lo, s12
	v_cmp_gt_i32_e32 vcc_lo, 0, v90
	s_wait_loadcnt_dscnt 0x0
	s_barrier_signal -1
	s_barrier_wait -1
	global_inv scope:SCOPE_SE
	s_wait_alu 0xfffd
	v_dual_cndmask_b32 v5, v90, v81 :: v_dual_add_nc_u32 v2, v4, v2
	s_delay_alu instid0(VALU_DEP_1)
	v_lshlrev_b32_e32 v113, 2, v5
	ds_bpermute_b32 v2, v113, v2
	s_and_saveexec_b32 s12, s2
	s_cbranch_execz .LBB1434_386
; %bb.385:                              ;   in Loop: Header=BB1434_12 Depth=1
	s_wait_dscnt 0x0
	v_cndmask_b32_e64 v2, v2, v4, s8
	s_delay_alu instid0(VALU_DEP_1)
	v_add_nc_u32_e32 v2, s33, v2
	ds_store_b32 v44, v2
.LBB1434_386:                           ;   in Loop: Header=BB1434_12 Depth=1
	s_wait_alu 0xfffe
	s_or_b32 exec_lo, exec_lo, s12
	s_load_b64 s[12:13], s[34:35], 0x0
	v_add_co_u32 v114, vcc_lo, v73, v91
	s_wait_alu 0xfffd
	v_add_co_ci_u32_e64 v115, null, 0, v74, vcc_lo
	v_add_co_u32 v116, vcc_lo, v75, v107
	s_wait_alu 0xfffd
	v_add_co_ci_u32_e64 v117, null, 0, v76, vcc_lo
	s_mov_b32 s54, s53
                                        ; implicit-def: $vgpr6_vgpr7
                                        ; implicit-def: $vgpr8_vgpr9
                                        ; implicit-def: $vgpr10_vgpr11
                                        ; implicit-def: $vgpr12_vgpr13
                                        ; implicit-def: $vgpr14_vgpr15
                                        ; implicit-def: $vgpr16_vgpr17
                                        ; implicit-def: $vgpr18_vgpr19
                                        ; implicit-def: $vgpr20_vgpr21
                                        ; implicit-def: $vgpr22_vgpr23
                                        ; implicit-def: $vgpr24_vgpr25
                                        ; implicit-def: $vgpr26_vgpr27
                                        ; implicit-def: $vgpr28_vgpr29
                                        ; implicit-def: $vgpr30_vgpr31
                                        ; implicit-def: $vgpr32_vgpr33
                                        ; implicit-def: $vgpr34_vgpr35
                                        ; implicit-def: $vgpr119
                                        ; implicit-def: $vgpr120
                                        ; implicit-def: $vgpr121
                                        ; implicit-def: $vgpr122
                                        ; implicit-def: $vgpr123
                                        ; implicit-def: $vgpr124
                                        ; implicit-def: $vgpr125
                                        ; implicit-def: $vgpr126
                                        ; implicit-def: $vgpr127
                                        ; implicit-def: $vgpr128
                                        ; implicit-def: $vgpr129
                                        ; implicit-def: $vgpr130
                                        ; implicit-def: $vgpr131
                                        ; implicit-def: $vgpr132
                                        ; implicit-def: $vgpr133
                                        ; implicit-def: $vgpr134
	s_wait_kmcnt 0x0
	s_cmp_lt_u32 ttmp7, s13
	s_cselect_b32 s42, 14, 20
	s_cmp_lt_u32 ttmp9, s12
	s_wait_alu 0xfffe
	s_add_nc_u64 s[14:15], s[34:35], s[42:43]
	s_cselect_b32 s42, 12, 18
	s_load_u16 s14, s[14:15], 0x0
	s_add_nc_u64 s[12:13], s[34:35], s[42:43]
	s_mov_b32 s42, s33
	s_load_u16 s12, s[12:13], 0x0
	v_cmp_lt_u32_e64 s13, 1, v89
	s_wait_dscnt 0x0
	s_wait_kmcnt 0x0
	v_mad_u32_u24 v2, v69, s14, v0
	v_cmp_lt_u32_e64 s14, 3, v89
	s_delay_alu instid0(VALU_DEP_2) | instskip(SKIP_1) | instid1(VALU_DEP_2)
	v_mad_co_u64_u32 v[4:5], null, v2, s12, v[1:2]
	v_cmp_eq_u32_e64 s12, 0, v89
	v_lshrrev_b32_e32 v2, 3, v4
                                        ; implicit-def: $vgpr4_vgpr5
	s_delay_alu instid0(VALU_DEP_1)
	v_and_b32_e32 v118, 0x1ffffffc, v2
	s_branch .LBB1434_388
.LBB1434_387:                           ;   in Loop: Header=BB1434_388 Depth=2
	s_wait_alu 0xfffe
	s_or_b32 exec_lo, exec_lo, s15
	s_addk_co_i32 s54, 0xf000
	s_cmp_lt_u32 s55, s51
	s_mov_b32 s42, s55
	s_cbranch_scc0 .LBB1434_596
.LBB1434_388:                           ;   Parent Loop BB1434_12 Depth=1
                                        ; =>  This Inner Loop Header: Depth=2
	s_wait_alu 0xfffe
	s_add_co_i32 s55, s42, 0x1000
	s_wait_alu 0xfffe
	s_cmp_gt_u32 s55, s51
	s_cbranch_scc1 .LBB1434_390
; %bb.389:                              ;   in Loop: Header=BB1434_388 Depth=2
	s_lshl_b64 s[16:17], s[42:43], 2
	s_mov_b32 s15, -1
	s_wait_alu 0xfffe
	v_add_co_u32 v36, vcc_lo, v116, s16
	s_wait_alu 0xfffd
	v_add_co_ci_u32_e64 v37, null, s17, v117, vcc_lo
	s_clause 0xe
	global_load_b32 v2, v[36:37], off
	global_load_b32 v136, v[36:37], off offset:128
	global_load_b32 v143, v[36:37], off offset:256
	;; [unrolled: 1-line block ×14, first 2 shown]
	s_movk_i32 s16, 0x1000
	s_cbranch_execz .LBB1434_391
	s_branch .LBB1434_422
.LBB1434_390:                           ;   in Loop: Header=BB1434_388 Depth=2
	s_mov_b32 s15, 0
                                        ; implicit-def: $vgpr2
                                        ; implicit-def: $vgpr136
                                        ; implicit-def: $vgpr143
                                        ; implicit-def: $vgpr147
                                        ; implicit-def: $vgpr151
                                        ; implicit-def: $vgpr155
                                        ; implicit-def: $vgpr159
                                        ; implicit-def: $vgpr163
                                        ; implicit-def: $vgpr166
                                        ; implicit-def: $vgpr43
                                        ; implicit-def: $vgpr42
                                        ; implicit-def: $vgpr41
                                        ; implicit-def: $vgpr40
                                        ; implicit-def: $vgpr39
                                        ; implicit-def: $vgpr38
	s_movk_i32 s16, 0x1000
.LBB1434_391:                           ;   in Loop: Header=BB1434_388 Depth=2
	s_lshl_b64 s[16:17], s[42:43], 2
	s_wait_loadcnt 0xd
	v_bfrev_b32_e32 v136, -2
	s_wait_alu 0xfffe
	v_add_co_u32 v36, vcc_lo, v116, s16
	s_wait_alu 0xfffd
	v_add_co_ci_u32_e64 v37, null, s17, v117, vcc_lo
	v_bfrev_b32_e32 v2, -2
	s_mov_b32 s15, exec_lo
	v_cmpx_gt_u32_e64 s54, v88
	s_cbranch_execz .LBB1434_393
; %bb.392:                              ;   in Loop: Header=BB1434_388 Depth=2
	global_load_b32 v2, v[36:37], off
.LBB1434_393:                           ;   in Loop: Header=BB1434_388 Depth=2
	s_wait_alu 0xfffe
	s_or_b32 exec_lo, exec_lo, s15
	s_delay_alu instid0(SALU_CYCLE_1)
	s_mov_b32 s15, exec_lo
	v_cmpx_gt_u32_e64 s54, v92
	s_cbranch_execz .LBB1434_395
; %bb.394:                              ;   in Loop: Header=BB1434_388 Depth=2
	global_load_b32 v136, v[36:37], off offset:128
.LBB1434_395:                           ;   in Loop: Header=BB1434_388 Depth=2
	s_wait_alu 0xfffe
	s_or_b32 exec_lo, exec_lo, s15
	s_wait_loadcnt 0xb
	v_bfrev_b32_e32 v147, -2
	v_bfrev_b32_e32 v143, -2
	s_mov_b32 s15, exec_lo
	v_cmpx_gt_u32_e64 s54, v93
	s_cbranch_execz .LBB1434_397
; %bb.396:                              ;   in Loop: Header=BB1434_388 Depth=2
	global_load_b32 v143, v[36:37], off offset:256
.LBB1434_397:                           ;   in Loop: Header=BB1434_388 Depth=2
	s_wait_alu 0xfffe
	s_or_b32 exec_lo, exec_lo, s15
	s_delay_alu instid0(SALU_CYCLE_1)
	s_mov_b32 s15, exec_lo
	v_cmpx_gt_u32_e64 s54, v94
	s_cbranch_execz .LBB1434_399
; %bb.398:                              ;   in Loop: Header=BB1434_388 Depth=2
	global_load_b32 v147, v[36:37], off offset:384
.LBB1434_399:                           ;   in Loop: Header=BB1434_388 Depth=2
	s_wait_alu 0xfffe
	s_or_b32 exec_lo, exec_lo, s15
	s_wait_loadcnt 0x9
	v_bfrev_b32_e32 v155, -2
	v_bfrev_b32_e32 v151, -2
	s_mov_b32 s15, exec_lo
	v_cmpx_gt_u32_e64 s54, v95
	s_cbranch_execz .LBB1434_401
; %bb.400:                              ;   in Loop: Header=BB1434_388 Depth=2
	global_load_b32 v151, v[36:37], off offset:512
.LBB1434_401:                           ;   in Loop: Header=BB1434_388 Depth=2
	;; [unrolled: 20-line block ×6, first 2 shown]
	s_wait_alu 0xfffe
	s_or_b32 exec_lo, exec_lo, s15
	s_delay_alu instid0(SALU_CYCLE_1)
	s_mov_b32 s15, exec_lo
	v_cmpx_gt_u32_e64 s54, v104
	s_cbranch_execz .LBB1434_419
; %bb.418:                              ;   in Loop: Header=BB1434_388 Depth=2
	global_load_b32 v39, v[36:37], off offset:1664
.LBB1434_419:                           ;   in Loop: Header=BB1434_388 Depth=2
	s_wait_alu 0xfffe
	s_or_b32 exec_lo, exec_lo, s15
	s_wait_loadcnt 0x0
	v_bfrev_b32_e32 v38, -2
	s_mov_b32 s15, exec_lo
	v_cmpx_gt_u32_e64 s54, v105
	s_cbranch_execz .LBB1434_421
; %bb.420:                              ;   in Loop: Header=BB1434_388 Depth=2
	global_load_b32 v38, v[36:37], off offset:1792
.LBB1434_421:                           ;   in Loop: Header=BB1434_388 Depth=2
	s_wait_alu 0xfffe
	s_or_b32 exec_lo, exec_lo, s15
	v_cmp_gt_u32_e64 s15, s54, v106
	s_sub_co_i32 s16, s51, s42
.LBB1434_422:                           ;   in Loop: Header=BB1434_388 Depth=2
	v_bfrev_b32_e32 v36, -2
	v_mov_b32_e32 v135, s54
	s_and_saveexec_b32 s17, s15
	s_cbranch_execz .LBB1434_424
; %bb.423:                              ;   in Loop: Header=BB1434_388 Depth=2
	s_lshl_b64 s[18:19], s[42:43], 2
	s_wait_alu 0xfffe
	v_mov_b32_e32 v135, s16
	v_add_co_u32 v36, vcc_lo, v116, s18
	s_wait_alu 0xfffd
	v_add_co_ci_u32_e64 v37, null, s19, v117, vcc_lo
	global_load_b32 v36, v[36:37], off offset:1920
.LBB1434_424:                           ;   in Loop: Header=BB1434_388 Depth=2
	s_wait_alu 0xfffe
	s_or_b32 exec_lo, exec_lo, s17
	s_wait_loadcnt 0xe
	v_cmp_lt_i32_e32 vcc_lo, -1, v2
	s_wait_alu 0xfffd
	v_cndmask_b32_e64 v37, -1, 0x80000000, vcc_lo
	s_delay_alu instid0(VALU_DEP_1) | instskip(NEXT) | instid1(VALU_DEP_1)
	v_xor_b32_e32 v2, v37, v2
	v_cmp_ne_u32_e32 vcc_lo, 0x7fffffff, v2
	s_wait_alu 0xfffd
	v_cndmask_b32_e32 v37, 0x80000000, v2, vcc_lo
	s_delay_alu instid0(VALU_DEP_1) | instskip(NEXT) | instid1(VALU_DEP_1)
	v_lshrrev_b32_e32 v37, s31, v37
	v_and_b32_e32 v142, s48, v37
	s_delay_alu instid0(VALU_DEP_1)
	v_and_b32_e32 v37, 1, v142
	v_lshlrev_b32_e32 v137, 30, v142
	v_lshlrev_b32_e32 v138, 29, v142
	;; [unrolled: 1-line block ×4, first 2 shown]
	v_add_co_u32 v37, s15, v37, -1
	s_wait_alu 0xf1ff
	v_cndmask_b32_e64 v140, 0, 1, s15
	v_not_b32_e32 v146, v137
	v_cmp_gt_i32_e64 s15, 0, v137
	v_not_b32_e32 v137, v138
	v_lshlrev_b32_e32 v144, 26, v142
	v_cmp_ne_u32_e32 vcc_lo, 0, v140
	v_ashrrev_i32_e32 v146, 31, v146
	v_lshlrev_b32_e32 v145, 25, v142
	v_ashrrev_i32_e32 v137, 31, v137
	v_lshlrev_b32_e32 v140, 24, v142
	s_wait_alu 0xfffd
	v_xor_b32_e32 v37, vcc_lo, v37
	v_cmp_gt_i32_e32 vcc_lo, 0, v138
	v_not_b32_e32 v138, v139
	s_wait_alu 0xf1ff
	v_xor_b32_e32 v146, s15, v146
	v_cmp_gt_i32_e64 s15, 0, v139
	v_and_b32_e32 v37, exec_lo, v37
	v_not_b32_e32 v139, v141
	v_ashrrev_i32_e32 v138, 31, v138
	s_wait_alu 0xfffd
	v_xor_b32_e32 v137, vcc_lo, v137
	v_cmp_gt_i32_e32 vcc_lo, 0, v141
	v_and_b32_e32 v37, v37, v146
	v_not_b32_e32 v141, v144
	v_ashrrev_i32_e32 v139, 31, v139
	s_wait_alu 0xf1ff
	v_xor_b32_e32 v138, s15, v138
	v_cmp_gt_i32_e64 s15, 0, v144
	v_and_b32_e32 v37, v37, v137
	v_not_b32_e32 v137, v145
	v_ashrrev_i32_e32 v141, 31, v141
	s_wait_alu 0xfffd
	v_xor_b32_e32 v139, vcc_lo, v139
	v_cmp_gt_i32_e32 vcc_lo, 0, v145
	v_and_b32_e32 v37, v37, v138
	v_not_b32_e32 v138, v140
	v_ashrrev_i32_e32 v137, 31, v137
	s_wait_alu 0xf1ff
	v_xor_b32_e32 v141, s15, v141
	v_cmp_gt_i32_e64 s15, 0, v140
	v_and_b32_e32 v37, v37, v139
	v_ashrrev_i32_e32 v138, 31, v138
	s_wait_alu 0xfffd
	v_xor_b32_e32 v137, vcc_lo, v137
	v_mul_u32_u24_e32 v142, 36, v142
	v_add_nc_u32_e32 v140, 0x428, v67
	v_and_b32_e32 v37, v37, v141
	s_wait_alu 0xf1ff
	v_xor_b32_e32 v139, s15, v138
	v_add_nc_u32_e32 v138, 0x438, v67
	v_add_nc_u32_e32 v141, 0x430, v67
	;; [unrolled: 1-line block ×3, first 2 shown]
	v_and_b32_e32 v37, v37, v137
	ds_store_2addr_b32 v138, v3, v3 offset1:1
	v_and_b32_e32 v37, v37, v139
	v_add_nc_u32_e32 v139, 0x420, v67
	ds_store_2addr_b32 v139, v3, v3 offset1:1
	ds_store_2addr_b32 v140, v3, v3 offset1:1
	;; [unrolled: 1-line block ×3, first 2 shown]
	ds_store_b32 v67, v3 offset:1088
	v_mbcnt_lo_u32_b32 v137, v37, 0
	v_cmp_ne_u32_e64 s15, 0, v37
	s_wait_loadcnt_dscnt 0x0
	s_barrier_signal -1
	s_barrier_wait -1
	v_cmp_eq_u32_e32 vcc_lo, 0, v137
	global_inv scope:SCOPE_SE
	; wave barrier
	s_and_b32 s16, s15, vcc_lo
	s_wait_alu 0xfffe
	s_and_saveexec_b32 s15, s16
; %bb.425:                              ;   in Loop: Header=BB1434_388 Depth=2
	v_bcnt_u32_b32 v37, v37, 0
	ds_store_b32 v142, v37 offset:1056
; %bb.426:                              ;   in Loop: Header=BB1434_388 Depth=2
	s_wait_alu 0xfffe
	s_or_b32 exec_lo, exec_lo, s15
	v_cmp_lt_i32_e32 vcc_lo, -1, v136
	; wave barrier
	s_wait_alu 0xfffd
	v_cndmask_b32_e64 v37, -1, 0x80000000, vcc_lo
	s_delay_alu instid0(VALU_DEP_1) | instskip(NEXT) | instid1(VALU_DEP_1)
	v_xor_b32_e32 v136, v37, v136
	v_cmp_ne_u32_e32 vcc_lo, 0x7fffffff, v136
	s_wait_alu 0xfffd
	v_cndmask_b32_e32 v37, 0x80000000, v136, vcc_lo
	s_delay_alu instid0(VALU_DEP_1) | instskip(NEXT) | instid1(VALU_DEP_1)
	v_lshrrev_b32_e32 v37, s31, v37
	v_and_b32_e32 v146, s48, v37
	s_delay_alu instid0(VALU_DEP_1)
	v_and_b32_e32 v37, 1, v146
	v_lshlrev_b32_e32 v144, 30, v146
	v_lshlrev_b32_e32 v145, 29, v146
	;; [unrolled: 1-line block ×4, first 2 shown]
	v_add_co_u32 v37, s15, v37, -1
	s_wait_alu 0xf1ff
	v_cndmask_b32_e64 v149, 0, 1, s15
	v_not_b32_e32 v154, v144
	v_cmp_gt_i32_e64 s15, 0, v144
	v_not_b32_e32 v144, v145
	v_lshlrev_b32_e32 v152, 26, v146
	v_cmp_ne_u32_e32 vcc_lo, 0, v149
	v_ashrrev_i32_e32 v154, 31, v154
	v_lshlrev_b32_e32 v153, 25, v146
	v_ashrrev_i32_e32 v144, 31, v144
	v_lshlrev_b32_e32 v149, 24, v146
	s_wait_alu 0xfffd
	v_xor_b32_e32 v37, vcc_lo, v37
	v_cmp_gt_i32_e32 vcc_lo, 0, v145
	v_not_b32_e32 v145, v148
	s_wait_alu 0xf1ff
	v_xor_b32_e32 v154, s15, v154
	v_cmp_gt_i32_e64 s15, 0, v148
	v_and_b32_e32 v37, exec_lo, v37
	v_not_b32_e32 v148, v150
	v_ashrrev_i32_e32 v145, 31, v145
	s_wait_alu 0xfffd
	v_xor_b32_e32 v144, vcc_lo, v144
	v_cmp_gt_i32_e32 vcc_lo, 0, v150
	v_and_b32_e32 v37, v37, v154
	v_not_b32_e32 v150, v152
	v_ashrrev_i32_e32 v148, 31, v148
	s_wait_alu 0xf1ff
	v_xor_b32_e32 v145, s15, v145
	v_cmp_gt_i32_e64 s15, 0, v152
	v_and_b32_e32 v37, v37, v144
	v_not_b32_e32 v144, v153
	v_ashrrev_i32_e32 v150, 31, v150
	s_wait_alu 0xfffd
	v_xor_b32_e32 v148, vcc_lo, v148
	v_cmp_gt_i32_e32 vcc_lo, 0, v153
	v_and_b32_e32 v37, v37, v145
	v_not_b32_e32 v145, v149
	v_ashrrev_i32_e32 v144, 31, v144
	s_wait_alu 0xf1ff
	v_xor_b32_e32 v150, s15, v150
	v_cmp_gt_i32_e64 s15, 0, v149
	v_and_b32_e32 v37, v37, v148
	v_ashrrev_i32_e32 v145, 31, v145
	s_wait_alu 0xfffd
	v_xor_b32_e32 v144, vcc_lo, v144
	v_mad_u32_u24 v148, v146, 36, v118
	v_mul_u32_u24_e32 v146, 36, v146
	v_and_b32_e32 v37, v37, v150
	s_wait_alu 0xf1ff
	v_xor_b32_e32 v145, s15, v145
	s_delay_alu instid0(VALU_DEP_3) | instskip(NEXT) | instid1(VALU_DEP_3)
	v_add_nc_u32_e32 v146, v118, v146
	v_and_b32_e32 v37, v37, v144
	ds_load_b32 v144, v148 offset:1056
	; wave barrier
	v_and_b32_e32 v37, v37, v145
	s_delay_alu instid0(VALU_DEP_1) | instskip(SKIP_1) | instid1(VALU_DEP_2)
	v_mbcnt_lo_u32_b32 v145, v37, 0
	v_cmp_ne_u32_e64 s15, 0, v37
	v_cmp_eq_u32_e32 vcc_lo, 0, v145
	s_and_b32 s16, s15, vcc_lo
	s_wait_alu 0xfffe
	s_and_saveexec_b32 s15, s16
	s_cbranch_execz .LBB1434_428
; %bb.427:                              ;   in Loop: Header=BB1434_388 Depth=2
	s_wait_dscnt 0x0
	v_bcnt_u32_b32 v37, v37, v144
	ds_store_b32 v146, v37 offset:1056
.LBB1434_428:                           ;   in Loop: Header=BB1434_388 Depth=2
	s_wait_alu 0xfffe
	s_or_b32 exec_lo, exec_lo, s15
	v_cmp_lt_i32_e32 vcc_lo, -1, v143
	; wave barrier
	s_wait_alu 0xfffd
	v_cndmask_b32_e64 v37, -1, 0x80000000, vcc_lo
	s_delay_alu instid0(VALU_DEP_1) | instskip(NEXT) | instid1(VALU_DEP_1)
	v_xor_b32_e32 v143, v37, v143
	v_cmp_ne_u32_e32 vcc_lo, 0x7fffffff, v143
	s_wait_alu 0xfffd
	v_cndmask_b32_e32 v37, 0x80000000, v143, vcc_lo
	s_delay_alu instid0(VALU_DEP_1) | instskip(NEXT) | instid1(VALU_DEP_1)
	v_lshrrev_b32_e32 v37, s31, v37
	v_and_b32_e32 v150, s48, v37
	s_delay_alu instid0(VALU_DEP_1)
	v_and_b32_e32 v37, 1, v150
	v_lshlrev_b32_e32 v148, 30, v150
	v_lshlrev_b32_e32 v149, 29, v150
	;; [unrolled: 1-line block ×4, first 2 shown]
	v_add_co_u32 v37, s15, v37, -1
	s_wait_alu 0xf1ff
	v_cndmask_b32_e64 v153, 0, 1, s15
	v_not_b32_e32 v158, v148
	v_cmp_gt_i32_e64 s15, 0, v148
	v_not_b32_e32 v148, v149
	v_lshlrev_b32_e32 v156, 26, v150
	v_cmp_ne_u32_e32 vcc_lo, 0, v153
	v_ashrrev_i32_e32 v158, 31, v158
	v_lshlrev_b32_e32 v157, 25, v150
	v_ashrrev_i32_e32 v148, 31, v148
	v_lshlrev_b32_e32 v153, 24, v150
	s_wait_alu 0xfffd
	v_xor_b32_e32 v37, vcc_lo, v37
	v_cmp_gt_i32_e32 vcc_lo, 0, v149
	v_not_b32_e32 v149, v152
	s_wait_alu 0xf1ff
	v_xor_b32_e32 v158, s15, v158
	v_cmp_gt_i32_e64 s15, 0, v152
	v_and_b32_e32 v37, exec_lo, v37
	v_not_b32_e32 v152, v154
	v_ashrrev_i32_e32 v149, 31, v149
	s_wait_alu 0xfffd
	v_xor_b32_e32 v148, vcc_lo, v148
	v_cmp_gt_i32_e32 vcc_lo, 0, v154
	v_and_b32_e32 v37, v37, v158
	v_not_b32_e32 v154, v156
	v_ashrrev_i32_e32 v152, 31, v152
	s_wait_alu 0xf1ff
	v_xor_b32_e32 v149, s15, v149
	v_cmp_gt_i32_e64 s15, 0, v156
	v_and_b32_e32 v37, v37, v148
	v_not_b32_e32 v148, v157
	v_ashrrev_i32_e32 v154, 31, v154
	s_wait_alu 0xfffd
	v_xor_b32_e32 v152, vcc_lo, v152
	v_cmp_gt_i32_e32 vcc_lo, 0, v157
	v_and_b32_e32 v37, v37, v149
	v_not_b32_e32 v149, v153
	v_ashrrev_i32_e32 v148, 31, v148
	s_wait_alu 0xf1ff
	v_xor_b32_e32 v154, s15, v154
	v_cmp_gt_i32_e64 s15, 0, v153
	v_and_b32_e32 v37, v37, v152
	v_ashrrev_i32_e32 v149, 31, v149
	s_wait_alu 0xfffd
	v_xor_b32_e32 v148, vcc_lo, v148
	v_mad_u32_u24 v152, v150, 36, v118
	v_mul_u32_u24_e32 v150, 36, v150
	v_and_b32_e32 v37, v37, v154
	s_wait_alu 0xf1ff
	v_xor_b32_e32 v149, s15, v149
	s_delay_alu instid0(VALU_DEP_3) | instskip(NEXT) | instid1(VALU_DEP_3)
	v_add_nc_u32_e32 v150, v118, v150
	v_and_b32_e32 v37, v37, v148
	ds_load_b32 v148, v152 offset:1056
	; wave barrier
	v_and_b32_e32 v37, v37, v149
	s_delay_alu instid0(VALU_DEP_1) | instskip(SKIP_1) | instid1(VALU_DEP_2)
	v_mbcnt_lo_u32_b32 v149, v37, 0
	v_cmp_ne_u32_e64 s15, 0, v37
	v_cmp_eq_u32_e32 vcc_lo, 0, v149
	s_and_b32 s16, s15, vcc_lo
	s_wait_alu 0xfffe
	s_and_saveexec_b32 s15, s16
	s_cbranch_execz .LBB1434_430
; %bb.429:                              ;   in Loop: Header=BB1434_388 Depth=2
	s_wait_dscnt 0x0
	v_bcnt_u32_b32 v37, v37, v148
	ds_store_b32 v150, v37 offset:1056
.LBB1434_430:                           ;   in Loop: Header=BB1434_388 Depth=2
	s_wait_alu 0xfffe
	s_or_b32 exec_lo, exec_lo, s15
	v_cmp_lt_i32_e32 vcc_lo, -1, v147
	; wave barrier
	s_wait_alu 0xfffd
	v_cndmask_b32_e64 v37, -1, 0x80000000, vcc_lo
	s_delay_alu instid0(VALU_DEP_1) | instskip(NEXT) | instid1(VALU_DEP_1)
	v_xor_b32_e32 v147, v37, v147
	v_cmp_ne_u32_e32 vcc_lo, 0x7fffffff, v147
	s_wait_alu 0xfffd
	v_cndmask_b32_e32 v37, 0x80000000, v147, vcc_lo
	s_delay_alu instid0(VALU_DEP_1) | instskip(NEXT) | instid1(VALU_DEP_1)
	v_lshrrev_b32_e32 v37, s31, v37
	v_and_b32_e32 v154, s48, v37
	s_delay_alu instid0(VALU_DEP_1)
	v_and_b32_e32 v37, 1, v154
	v_lshlrev_b32_e32 v152, 30, v154
	v_lshlrev_b32_e32 v153, 29, v154
	;; [unrolled: 1-line block ×4, first 2 shown]
	v_add_co_u32 v37, s15, v37, -1
	s_wait_alu 0xf1ff
	v_cndmask_b32_e64 v157, 0, 1, s15
	v_not_b32_e32 v162, v152
	v_cmp_gt_i32_e64 s15, 0, v152
	v_not_b32_e32 v152, v153
	v_lshlrev_b32_e32 v160, 26, v154
	v_cmp_ne_u32_e32 vcc_lo, 0, v157
	v_ashrrev_i32_e32 v162, 31, v162
	v_lshlrev_b32_e32 v161, 25, v154
	v_ashrrev_i32_e32 v152, 31, v152
	v_lshlrev_b32_e32 v157, 24, v154
	s_wait_alu 0xfffd
	v_xor_b32_e32 v37, vcc_lo, v37
	v_cmp_gt_i32_e32 vcc_lo, 0, v153
	v_not_b32_e32 v153, v156
	s_wait_alu 0xf1ff
	v_xor_b32_e32 v162, s15, v162
	v_cmp_gt_i32_e64 s15, 0, v156
	v_and_b32_e32 v37, exec_lo, v37
	v_not_b32_e32 v156, v158
	v_ashrrev_i32_e32 v153, 31, v153
	s_wait_alu 0xfffd
	v_xor_b32_e32 v152, vcc_lo, v152
	v_cmp_gt_i32_e32 vcc_lo, 0, v158
	v_and_b32_e32 v37, v37, v162
	v_not_b32_e32 v158, v160
	v_ashrrev_i32_e32 v156, 31, v156
	s_wait_alu 0xf1ff
	v_xor_b32_e32 v153, s15, v153
	v_cmp_gt_i32_e64 s15, 0, v160
	v_and_b32_e32 v37, v37, v152
	v_not_b32_e32 v152, v161
	v_ashrrev_i32_e32 v158, 31, v158
	s_wait_alu 0xfffd
	v_xor_b32_e32 v156, vcc_lo, v156
	v_cmp_gt_i32_e32 vcc_lo, 0, v161
	v_and_b32_e32 v37, v37, v153
	v_not_b32_e32 v153, v157
	v_ashrrev_i32_e32 v152, 31, v152
	s_wait_alu 0xf1ff
	v_xor_b32_e32 v158, s15, v158
	v_cmp_gt_i32_e64 s15, 0, v157
	v_and_b32_e32 v37, v37, v156
	v_ashrrev_i32_e32 v153, 31, v153
	s_wait_alu 0xfffd
	v_xor_b32_e32 v152, vcc_lo, v152
	v_mad_u32_u24 v156, v154, 36, v118
	v_mul_u32_u24_e32 v154, 36, v154
	v_and_b32_e32 v37, v37, v158
	s_wait_alu 0xf1ff
	v_xor_b32_e32 v153, s15, v153
	s_delay_alu instid0(VALU_DEP_3) | instskip(NEXT) | instid1(VALU_DEP_3)
	v_add_nc_u32_e32 v154, v118, v154
	v_and_b32_e32 v37, v37, v152
	ds_load_b32 v152, v156 offset:1056
	; wave barrier
	v_and_b32_e32 v37, v37, v153
	s_delay_alu instid0(VALU_DEP_1) | instskip(SKIP_1) | instid1(VALU_DEP_2)
	v_mbcnt_lo_u32_b32 v153, v37, 0
	v_cmp_ne_u32_e64 s15, 0, v37
	v_cmp_eq_u32_e32 vcc_lo, 0, v153
	s_and_b32 s16, s15, vcc_lo
	s_wait_alu 0xfffe
	s_and_saveexec_b32 s15, s16
	s_cbranch_execz .LBB1434_432
; %bb.431:                              ;   in Loop: Header=BB1434_388 Depth=2
	s_wait_dscnt 0x0
	v_bcnt_u32_b32 v37, v37, v152
	ds_store_b32 v154, v37 offset:1056
.LBB1434_432:                           ;   in Loop: Header=BB1434_388 Depth=2
	s_wait_alu 0xfffe
	s_or_b32 exec_lo, exec_lo, s15
	v_cmp_lt_i32_e32 vcc_lo, -1, v151
	; wave barrier
	s_wait_alu 0xfffd
	v_cndmask_b32_e64 v37, -1, 0x80000000, vcc_lo
	s_delay_alu instid0(VALU_DEP_1) | instskip(NEXT) | instid1(VALU_DEP_1)
	v_xor_b32_e32 v151, v37, v151
	v_cmp_ne_u32_e32 vcc_lo, 0x7fffffff, v151
	s_wait_alu 0xfffd
	v_cndmask_b32_e32 v37, 0x80000000, v151, vcc_lo
	s_delay_alu instid0(VALU_DEP_1) | instskip(NEXT) | instid1(VALU_DEP_1)
	v_lshrrev_b32_e32 v37, s31, v37
	v_and_b32_e32 v158, s48, v37
	s_delay_alu instid0(VALU_DEP_1)
	v_and_b32_e32 v37, 1, v158
	v_lshlrev_b32_e32 v156, 30, v158
	v_lshlrev_b32_e32 v157, 29, v158
	;; [unrolled: 1-line block ×4, first 2 shown]
	v_add_co_u32 v37, s15, v37, -1
	s_wait_alu 0xf1ff
	v_cndmask_b32_e64 v161, 0, 1, s15
	v_not_b32_e32 v167, v156
	v_cmp_gt_i32_e64 s15, 0, v156
	v_not_b32_e32 v156, v157
	v_lshlrev_b32_e32 v164, 26, v158
	v_cmp_ne_u32_e32 vcc_lo, 0, v161
	v_ashrrev_i32_e32 v167, 31, v167
	v_lshlrev_b32_e32 v165, 25, v158
	v_ashrrev_i32_e32 v156, 31, v156
	v_lshlrev_b32_e32 v161, 24, v158
	s_wait_alu 0xfffd
	v_xor_b32_e32 v37, vcc_lo, v37
	v_cmp_gt_i32_e32 vcc_lo, 0, v157
	v_not_b32_e32 v157, v160
	s_wait_alu 0xf1ff
	v_xor_b32_e32 v167, s15, v167
	v_cmp_gt_i32_e64 s15, 0, v160
	v_and_b32_e32 v37, exec_lo, v37
	v_not_b32_e32 v160, v162
	v_ashrrev_i32_e32 v157, 31, v157
	s_wait_alu 0xfffd
	v_xor_b32_e32 v156, vcc_lo, v156
	v_cmp_gt_i32_e32 vcc_lo, 0, v162
	v_and_b32_e32 v37, v37, v167
	v_not_b32_e32 v162, v164
	v_ashrrev_i32_e32 v160, 31, v160
	s_wait_alu 0xf1ff
	v_xor_b32_e32 v157, s15, v157
	v_cmp_gt_i32_e64 s15, 0, v164
	v_and_b32_e32 v37, v37, v156
	v_not_b32_e32 v156, v165
	v_ashrrev_i32_e32 v162, 31, v162
	s_wait_alu 0xfffd
	v_xor_b32_e32 v160, vcc_lo, v160
	v_cmp_gt_i32_e32 vcc_lo, 0, v165
	v_and_b32_e32 v37, v37, v157
	v_not_b32_e32 v157, v161
	v_ashrrev_i32_e32 v156, 31, v156
	s_wait_alu 0xf1ff
	v_xor_b32_e32 v162, s15, v162
	v_cmp_gt_i32_e64 s15, 0, v161
	v_and_b32_e32 v37, v37, v160
	v_ashrrev_i32_e32 v157, 31, v157
	s_wait_alu 0xfffd
	v_xor_b32_e32 v156, vcc_lo, v156
	v_mad_u32_u24 v160, v158, 36, v118
	v_mul_u32_u24_e32 v158, 36, v158
	v_and_b32_e32 v37, v37, v162
	s_wait_alu 0xf1ff
	v_xor_b32_e32 v157, s15, v157
	s_delay_alu instid0(VALU_DEP_3) | instskip(NEXT) | instid1(VALU_DEP_3)
	v_add_nc_u32_e32 v158, v118, v158
	v_and_b32_e32 v37, v37, v156
	ds_load_b32 v156, v160 offset:1056
	; wave barrier
	v_and_b32_e32 v37, v37, v157
	s_delay_alu instid0(VALU_DEP_1) | instskip(SKIP_1) | instid1(VALU_DEP_2)
	v_mbcnt_lo_u32_b32 v157, v37, 0
	v_cmp_ne_u32_e64 s15, 0, v37
	v_cmp_eq_u32_e32 vcc_lo, 0, v157
	s_and_b32 s16, s15, vcc_lo
	s_wait_alu 0xfffe
	s_and_saveexec_b32 s15, s16
	s_cbranch_execz .LBB1434_434
; %bb.433:                              ;   in Loop: Header=BB1434_388 Depth=2
	s_wait_dscnt 0x0
	v_bcnt_u32_b32 v37, v37, v156
	ds_store_b32 v158, v37 offset:1056
.LBB1434_434:                           ;   in Loop: Header=BB1434_388 Depth=2
	s_wait_alu 0xfffe
	s_or_b32 exec_lo, exec_lo, s15
	v_cmp_lt_i32_e32 vcc_lo, -1, v155
	; wave barrier
	s_wait_alu 0xfffd
	v_cndmask_b32_e64 v37, -1, 0x80000000, vcc_lo
	s_delay_alu instid0(VALU_DEP_1) | instskip(NEXT) | instid1(VALU_DEP_1)
	v_xor_b32_e32 v155, v37, v155
	v_cmp_ne_u32_e32 vcc_lo, 0x7fffffff, v155
	s_wait_alu 0xfffd
	v_cndmask_b32_e32 v37, 0x80000000, v155, vcc_lo
	s_delay_alu instid0(VALU_DEP_1) | instskip(NEXT) | instid1(VALU_DEP_1)
	v_lshrrev_b32_e32 v37, s31, v37
	v_and_b32_e32 v162, s48, v37
	s_delay_alu instid0(VALU_DEP_1)
	v_and_b32_e32 v37, 1, v162
	v_lshlrev_b32_e32 v160, 30, v162
	v_lshlrev_b32_e32 v161, 29, v162
	;; [unrolled: 1-line block ×4, first 2 shown]
	v_add_co_u32 v37, s15, v37, -1
	s_wait_alu 0xf1ff
	v_cndmask_b32_e64 v165, 0, 1, s15
	v_not_b32_e32 v170, v160
	v_cmp_gt_i32_e64 s15, 0, v160
	v_not_b32_e32 v160, v161
	v_lshlrev_b32_e32 v168, 26, v162
	v_cmp_ne_u32_e32 vcc_lo, 0, v165
	v_ashrrev_i32_e32 v170, 31, v170
	v_lshlrev_b32_e32 v169, 25, v162
	v_ashrrev_i32_e32 v160, 31, v160
	v_lshlrev_b32_e32 v165, 24, v162
	s_wait_alu 0xfffd
	v_xor_b32_e32 v37, vcc_lo, v37
	v_cmp_gt_i32_e32 vcc_lo, 0, v161
	v_not_b32_e32 v161, v164
	s_wait_alu 0xf1ff
	v_xor_b32_e32 v170, s15, v170
	v_cmp_gt_i32_e64 s15, 0, v164
	v_and_b32_e32 v37, exec_lo, v37
	v_not_b32_e32 v164, v167
	v_ashrrev_i32_e32 v161, 31, v161
	s_wait_alu 0xfffd
	v_xor_b32_e32 v160, vcc_lo, v160
	v_cmp_gt_i32_e32 vcc_lo, 0, v167
	v_and_b32_e32 v37, v37, v170
	v_not_b32_e32 v167, v168
	v_ashrrev_i32_e32 v164, 31, v164
	s_wait_alu 0xf1ff
	v_xor_b32_e32 v161, s15, v161
	v_cmp_gt_i32_e64 s15, 0, v168
	v_and_b32_e32 v37, v37, v160
	v_not_b32_e32 v160, v169
	v_ashrrev_i32_e32 v167, 31, v167
	s_wait_alu 0xfffd
	v_xor_b32_e32 v164, vcc_lo, v164
	v_cmp_gt_i32_e32 vcc_lo, 0, v169
	v_and_b32_e32 v37, v37, v161
	v_not_b32_e32 v161, v165
	v_ashrrev_i32_e32 v160, 31, v160
	s_wait_alu 0xf1ff
	v_xor_b32_e32 v167, s15, v167
	v_cmp_gt_i32_e64 s15, 0, v165
	v_and_b32_e32 v37, v37, v164
	v_ashrrev_i32_e32 v161, 31, v161
	s_wait_alu 0xfffd
	v_xor_b32_e32 v160, vcc_lo, v160
	v_mad_u32_u24 v164, v162, 36, v118
	v_mul_u32_u24_e32 v162, 36, v162
	v_and_b32_e32 v37, v37, v167
	s_wait_alu 0xf1ff
	v_xor_b32_e32 v161, s15, v161
	s_delay_alu instid0(VALU_DEP_3) | instskip(NEXT) | instid1(VALU_DEP_3)
	v_add_nc_u32_e32 v162, v118, v162
	v_and_b32_e32 v37, v37, v160
	ds_load_b32 v160, v164 offset:1056
	; wave barrier
	v_and_b32_e32 v37, v37, v161
	s_delay_alu instid0(VALU_DEP_1) | instskip(SKIP_1) | instid1(VALU_DEP_2)
	v_mbcnt_lo_u32_b32 v161, v37, 0
	v_cmp_ne_u32_e64 s15, 0, v37
	v_cmp_eq_u32_e32 vcc_lo, 0, v161
	s_and_b32 s16, s15, vcc_lo
	s_wait_alu 0xfffe
	s_and_saveexec_b32 s15, s16
	s_cbranch_execz .LBB1434_436
; %bb.435:                              ;   in Loop: Header=BB1434_388 Depth=2
	s_wait_dscnt 0x0
	v_bcnt_u32_b32 v37, v37, v160
	ds_store_b32 v162, v37 offset:1056
.LBB1434_436:                           ;   in Loop: Header=BB1434_388 Depth=2
	s_wait_alu 0xfffe
	s_or_b32 exec_lo, exec_lo, s15
	v_cmp_lt_i32_e32 vcc_lo, -1, v159
	; wave barrier
	s_wait_alu 0xfffd
	v_cndmask_b32_e64 v37, -1, 0x80000000, vcc_lo
	s_delay_alu instid0(VALU_DEP_1) | instskip(NEXT) | instid1(VALU_DEP_1)
	v_xor_b32_e32 v159, v37, v159
	v_cmp_ne_u32_e32 vcc_lo, 0x7fffffff, v159
	s_wait_alu 0xfffd
	v_cndmask_b32_e32 v37, 0x80000000, v159, vcc_lo
	s_delay_alu instid0(VALU_DEP_1) | instskip(NEXT) | instid1(VALU_DEP_1)
	v_lshrrev_b32_e32 v37, s31, v37
	v_and_b32_e32 v167, s48, v37
	s_delay_alu instid0(VALU_DEP_1)
	v_and_b32_e32 v37, 1, v167
	v_lshlrev_b32_e32 v164, 30, v167
	v_lshlrev_b32_e32 v165, 29, v167
	;; [unrolled: 1-line block ×4, first 2 shown]
	v_add_co_u32 v37, s15, v37, -1
	s_wait_alu 0xf1ff
	v_cndmask_b32_e64 v169, 0, 1, s15
	v_not_b32_e32 v173, v164
	v_cmp_gt_i32_e64 s15, 0, v164
	v_not_b32_e32 v164, v165
	v_lshlrev_b32_e32 v171, 26, v167
	v_cmp_ne_u32_e32 vcc_lo, 0, v169
	v_ashrrev_i32_e32 v173, 31, v173
	v_lshlrev_b32_e32 v172, 25, v167
	v_ashrrev_i32_e32 v164, 31, v164
	v_lshlrev_b32_e32 v169, 24, v167
	s_wait_alu 0xfffd
	v_xor_b32_e32 v37, vcc_lo, v37
	v_cmp_gt_i32_e32 vcc_lo, 0, v165
	v_not_b32_e32 v165, v168
	s_wait_alu 0xf1ff
	v_xor_b32_e32 v173, s15, v173
	v_cmp_gt_i32_e64 s15, 0, v168
	v_and_b32_e32 v37, exec_lo, v37
	v_not_b32_e32 v168, v170
	v_ashrrev_i32_e32 v165, 31, v165
	s_wait_alu 0xfffd
	v_xor_b32_e32 v164, vcc_lo, v164
	v_cmp_gt_i32_e32 vcc_lo, 0, v170
	v_and_b32_e32 v37, v37, v173
	v_not_b32_e32 v170, v171
	v_ashrrev_i32_e32 v168, 31, v168
	s_wait_alu 0xf1ff
	v_xor_b32_e32 v165, s15, v165
	v_cmp_gt_i32_e64 s15, 0, v171
	v_and_b32_e32 v37, v37, v164
	v_not_b32_e32 v164, v172
	v_ashrrev_i32_e32 v170, 31, v170
	s_wait_alu 0xfffd
	v_xor_b32_e32 v168, vcc_lo, v168
	v_cmp_gt_i32_e32 vcc_lo, 0, v172
	v_and_b32_e32 v37, v37, v165
	v_not_b32_e32 v165, v169
	v_ashrrev_i32_e32 v164, 31, v164
	s_wait_alu 0xf1ff
	v_xor_b32_e32 v170, s15, v170
	v_cmp_gt_i32_e64 s15, 0, v169
	v_and_b32_e32 v37, v37, v168
	v_ashrrev_i32_e32 v165, 31, v165
	s_wait_alu 0xfffd
	v_xor_b32_e32 v164, vcc_lo, v164
	v_mad_u32_u24 v168, v167, 36, v118
	v_mul_u32_u24_e32 v167, 36, v167
	v_and_b32_e32 v37, v37, v170
	s_wait_alu 0xf1ff
	v_xor_b32_e32 v165, s15, v165
	s_delay_alu instid0(VALU_DEP_3) | instskip(NEXT) | instid1(VALU_DEP_3)
	v_add_nc_u32_e32 v167, v118, v167
	v_and_b32_e32 v37, v37, v164
	ds_load_b32 v164, v168 offset:1056
	; wave barrier
	v_and_b32_e32 v37, v37, v165
	s_delay_alu instid0(VALU_DEP_1) | instskip(SKIP_1) | instid1(VALU_DEP_2)
	v_mbcnt_lo_u32_b32 v165, v37, 0
	v_cmp_ne_u32_e64 s15, 0, v37
	v_cmp_eq_u32_e32 vcc_lo, 0, v165
	s_and_b32 s16, s15, vcc_lo
	s_wait_alu 0xfffe
	s_and_saveexec_b32 s15, s16
	s_cbranch_execz .LBB1434_438
; %bb.437:                              ;   in Loop: Header=BB1434_388 Depth=2
	s_wait_dscnt 0x0
	v_bcnt_u32_b32 v37, v37, v164
	ds_store_b32 v167, v37 offset:1056
.LBB1434_438:                           ;   in Loop: Header=BB1434_388 Depth=2
	s_wait_alu 0xfffe
	s_or_b32 exec_lo, exec_lo, s15
	v_cmp_lt_i32_e32 vcc_lo, -1, v163
	; wave barrier
	s_wait_alu 0xfffd
	v_cndmask_b32_e64 v37, -1, 0x80000000, vcc_lo
	s_delay_alu instid0(VALU_DEP_1) | instskip(NEXT) | instid1(VALU_DEP_1)
	v_xor_b32_e32 v163, v37, v163
	v_cmp_ne_u32_e32 vcc_lo, 0x7fffffff, v163
	s_wait_alu 0xfffd
	v_cndmask_b32_e32 v37, 0x80000000, v163, vcc_lo
	s_delay_alu instid0(VALU_DEP_1) | instskip(NEXT) | instid1(VALU_DEP_1)
	v_lshrrev_b32_e32 v37, s31, v37
	v_and_b32_e32 v170, s48, v37
	s_delay_alu instid0(VALU_DEP_1)
	v_and_b32_e32 v37, 1, v170
	v_lshlrev_b32_e32 v168, 30, v170
	v_lshlrev_b32_e32 v169, 29, v170
	;; [unrolled: 1-line block ×4, first 2 shown]
	v_add_co_u32 v37, s15, v37, -1
	s_wait_alu 0xf1ff
	v_cndmask_b32_e64 v172, 0, 1, s15
	v_not_b32_e32 v176, v168
	v_cmp_gt_i32_e64 s15, 0, v168
	v_not_b32_e32 v168, v169
	v_lshlrev_b32_e32 v174, 26, v170
	v_cmp_ne_u32_e32 vcc_lo, 0, v172
	v_ashrrev_i32_e32 v176, 31, v176
	v_lshlrev_b32_e32 v175, 25, v170
	v_ashrrev_i32_e32 v168, 31, v168
	v_lshlrev_b32_e32 v172, 24, v170
	s_wait_alu 0xfffd
	v_xor_b32_e32 v37, vcc_lo, v37
	v_cmp_gt_i32_e32 vcc_lo, 0, v169
	v_not_b32_e32 v169, v171
	s_wait_alu 0xf1ff
	v_xor_b32_e32 v176, s15, v176
	v_cmp_gt_i32_e64 s15, 0, v171
	v_and_b32_e32 v37, exec_lo, v37
	v_not_b32_e32 v171, v173
	v_ashrrev_i32_e32 v169, 31, v169
	s_wait_alu 0xfffd
	v_xor_b32_e32 v168, vcc_lo, v168
	v_cmp_gt_i32_e32 vcc_lo, 0, v173
	v_and_b32_e32 v37, v37, v176
	v_not_b32_e32 v173, v174
	v_ashrrev_i32_e32 v171, 31, v171
	s_wait_alu 0xf1ff
	v_xor_b32_e32 v169, s15, v169
	v_cmp_gt_i32_e64 s15, 0, v174
	v_and_b32_e32 v37, v37, v168
	v_not_b32_e32 v168, v175
	v_ashrrev_i32_e32 v173, 31, v173
	s_wait_alu 0xfffd
	v_xor_b32_e32 v171, vcc_lo, v171
	v_cmp_gt_i32_e32 vcc_lo, 0, v175
	v_and_b32_e32 v37, v37, v169
	v_not_b32_e32 v169, v172
	v_ashrrev_i32_e32 v168, 31, v168
	s_wait_alu 0xf1ff
	v_xor_b32_e32 v173, s15, v173
	v_cmp_gt_i32_e64 s15, 0, v172
	v_and_b32_e32 v37, v37, v171
	v_ashrrev_i32_e32 v169, 31, v169
	s_wait_alu 0xfffd
	v_xor_b32_e32 v168, vcc_lo, v168
	v_mad_u32_u24 v171, v170, 36, v118
	v_mul_u32_u24_e32 v170, 36, v170
	v_and_b32_e32 v37, v37, v173
	s_wait_alu 0xf1ff
	v_xor_b32_e32 v169, s15, v169
	s_delay_alu instid0(VALU_DEP_3) | instskip(NEXT) | instid1(VALU_DEP_3)
	v_add_nc_u32_e32 v170, v118, v170
	v_and_b32_e32 v37, v37, v168
	ds_load_b32 v168, v171 offset:1056
	; wave barrier
	v_and_b32_e32 v37, v37, v169
	s_delay_alu instid0(VALU_DEP_1) | instskip(SKIP_1) | instid1(VALU_DEP_2)
	v_mbcnt_lo_u32_b32 v169, v37, 0
	v_cmp_ne_u32_e64 s15, 0, v37
	v_cmp_eq_u32_e32 vcc_lo, 0, v169
	s_and_b32 s16, s15, vcc_lo
	s_wait_alu 0xfffe
	s_and_saveexec_b32 s15, s16
	s_cbranch_execz .LBB1434_440
; %bb.439:                              ;   in Loop: Header=BB1434_388 Depth=2
	s_wait_dscnt 0x0
	v_bcnt_u32_b32 v37, v37, v168
	ds_store_b32 v170, v37 offset:1056
.LBB1434_440:                           ;   in Loop: Header=BB1434_388 Depth=2
	s_wait_alu 0xfffe
	s_or_b32 exec_lo, exec_lo, s15
	v_cmp_lt_i32_e32 vcc_lo, -1, v166
	; wave barrier
	s_wait_alu 0xfffd
	v_cndmask_b32_e64 v37, -1, 0x80000000, vcc_lo
	s_delay_alu instid0(VALU_DEP_1) | instskip(NEXT) | instid1(VALU_DEP_1)
	v_xor_b32_e32 v166, v37, v166
	v_cmp_ne_u32_e32 vcc_lo, 0x7fffffff, v166
	s_wait_alu 0xfffd
	v_cndmask_b32_e32 v37, 0x80000000, v166, vcc_lo
	s_delay_alu instid0(VALU_DEP_1) | instskip(NEXT) | instid1(VALU_DEP_1)
	v_lshrrev_b32_e32 v37, s31, v37
	v_and_b32_e32 v171, s48, v37
	s_delay_alu instid0(VALU_DEP_1)
	v_and_b32_e32 v37, 1, v171
	v_lshlrev_b32_e32 v172, 30, v171
	v_lshlrev_b32_e32 v173, 29, v171
	;; [unrolled: 1-line block ×4, first 2 shown]
	v_add_co_u32 v37, s15, v37, -1
	s_wait_alu 0xf1ff
	v_cndmask_b32_e64 v175, 0, 1, s15
	v_not_b32_e32 v179, v172
	v_cmp_gt_i32_e64 s15, 0, v172
	v_not_b32_e32 v172, v173
	v_lshlrev_b32_e32 v177, 26, v171
	v_cmp_ne_u32_e32 vcc_lo, 0, v175
	v_ashrrev_i32_e32 v179, 31, v179
	v_lshlrev_b32_e32 v178, 25, v171
	v_ashrrev_i32_e32 v172, 31, v172
	v_lshlrev_b32_e32 v175, 24, v171
	s_wait_alu 0xfffd
	v_xor_b32_e32 v37, vcc_lo, v37
	v_cmp_gt_i32_e32 vcc_lo, 0, v173
	v_not_b32_e32 v173, v174
	s_wait_alu 0xf1ff
	v_xor_b32_e32 v179, s15, v179
	v_cmp_gt_i32_e64 s15, 0, v174
	v_and_b32_e32 v37, exec_lo, v37
	v_not_b32_e32 v174, v176
	v_ashrrev_i32_e32 v173, 31, v173
	s_wait_alu 0xfffd
	v_xor_b32_e32 v172, vcc_lo, v172
	v_cmp_gt_i32_e32 vcc_lo, 0, v176
	v_and_b32_e32 v37, v37, v179
	v_not_b32_e32 v176, v177
	v_ashrrev_i32_e32 v174, 31, v174
	s_wait_alu 0xf1ff
	v_xor_b32_e32 v173, s15, v173
	v_cmp_gt_i32_e64 s15, 0, v177
	v_and_b32_e32 v37, v37, v172
	v_not_b32_e32 v172, v178
	v_ashrrev_i32_e32 v176, 31, v176
	s_wait_alu 0xfffd
	v_xor_b32_e32 v174, vcc_lo, v174
	v_cmp_gt_i32_e32 vcc_lo, 0, v178
	v_and_b32_e32 v37, v37, v173
	v_not_b32_e32 v173, v175
	v_ashrrev_i32_e32 v172, 31, v172
	s_wait_alu 0xf1ff
	v_xor_b32_e32 v176, s15, v176
	v_cmp_gt_i32_e64 s15, 0, v175
	v_and_b32_e32 v37, v37, v174
	v_ashrrev_i32_e32 v173, 31, v173
	s_wait_alu 0xfffd
	v_xor_b32_e32 v172, vcc_lo, v172
	v_mad_u32_u24 v174, v171, 36, v118
	v_mul_u32_u24_e32 v171, 36, v171
	v_and_b32_e32 v37, v37, v176
	s_wait_alu 0xf1ff
	v_xor_b32_e32 v173, s15, v173
	s_delay_alu instid0(VALU_DEP_2) | instskip(SKIP_3) | instid1(VALU_DEP_1)
	v_and_b32_e32 v37, v37, v172
	ds_load_b32 v172, v174 offset:1056
	v_add_nc_u32_e32 v174, v118, v171
	; wave barrier
	v_and_b32_e32 v37, v37, v173
	v_mbcnt_lo_u32_b32 v173, v37, 0
	v_cmp_ne_u32_e64 s15, 0, v37
	s_delay_alu instid0(VALU_DEP_2)
	v_cmp_eq_u32_e32 vcc_lo, 0, v173
	s_and_b32 s16, s15, vcc_lo
	s_wait_alu 0xfffe
	s_and_saveexec_b32 s15, s16
	s_cbranch_execz .LBB1434_442
; %bb.441:                              ;   in Loop: Header=BB1434_388 Depth=2
	s_wait_dscnt 0x0
	v_bcnt_u32_b32 v37, v37, v172
	ds_store_b32 v174, v37 offset:1056
.LBB1434_442:                           ;   in Loop: Header=BB1434_388 Depth=2
	s_wait_alu 0xfffe
	s_or_b32 exec_lo, exec_lo, s15
	v_cmp_lt_i32_e32 vcc_lo, -1, v43
	; wave barrier
	s_wait_alu 0xfffd
	v_cndmask_b32_e64 v37, -1, 0x80000000, vcc_lo
	s_delay_alu instid0(VALU_DEP_1) | instskip(NEXT) | instid1(VALU_DEP_1)
	v_xor_b32_e32 v171, v37, v43
	v_cmp_ne_u32_e32 vcc_lo, 0x7fffffff, v171
	s_wait_alu 0xfffd
	v_cndmask_b32_e32 v37, 0x80000000, v171, vcc_lo
	s_delay_alu instid0(VALU_DEP_1) | instskip(NEXT) | instid1(VALU_DEP_1)
	v_lshrrev_b32_e32 v37, s31, v37
	v_and_b32_e32 v43, s48, v37
	s_delay_alu instid0(VALU_DEP_1)
	v_and_b32_e32 v37, 1, v43
	v_lshlrev_b32_e32 v175, 30, v43
	v_lshlrev_b32_e32 v176, 29, v43
	v_lshlrev_b32_e32 v177, 28, v43
	v_lshlrev_b32_e32 v179, 27, v43
	v_add_co_u32 v37, s15, v37, -1
	s_wait_alu 0xf1ff
	v_cndmask_b32_e64 v178, 0, 1, s15
	v_not_b32_e32 v182, v175
	v_cmp_gt_i32_e64 s15, 0, v175
	v_not_b32_e32 v175, v176
	v_lshlrev_b32_e32 v180, 26, v43
	v_cmp_ne_u32_e32 vcc_lo, 0, v178
	v_ashrrev_i32_e32 v182, 31, v182
	v_lshlrev_b32_e32 v181, 25, v43
	v_ashrrev_i32_e32 v175, 31, v175
	v_lshlrev_b32_e32 v178, 24, v43
	s_wait_alu 0xfffd
	v_xor_b32_e32 v37, vcc_lo, v37
	v_cmp_gt_i32_e32 vcc_lo, 0, v176
	v_not_b32_e32 v176, v177
	s_wait_alu 0xf1ff
	v_xor_b32_e32 v182, s15, v182
	v_cmp_gt_i32_e64 s15, 0, v177
	v_and_b32_e32 v37, exec_lo, v37
	v_not_b32_e32 v177, v179
	v_ashrrev_i32_e32 v176, 31, v176
	s_wait_alu 0xfffd
	v_xor_b32_e32 v175, vcc_lo, v175
	v_cmp_gt_i32_e32 vcc_lo, 0, v179
	v_and_b32_e32 v37, v37, v182
	v_not_b32_e32 v179, v180
	v_ashrrev_i32_e32 v177, 31, v177
	s_wait_alu 0xf1ff
	v_xor_b32_e32 v176, s15, v176
	v_cmp_gt_i32_e64 s15, 0, v180
	v_and_b32_e32 v37, v37, v175
	v_not_b32_e32 v175, v181
	v_ashrrev_i32_e32 v179, 31, v179
	s_wait_alu 0xfffd
	v_xor_b32_e32 v177, vcc_lo, v177
	v_cmp_gt_i32_e32 vcc_lo, 0, v181
	v_and_b32_e32 v37, v37, v176
	v_not_b32_e32 v176, v178
	v_ashrrev_i32_e32 v175, 31, v175
	s_wait_alu 0xf1ff
	v_xor_b32_e32 v179, s15, v179
	v_cmp_gt_i32_e64 s15, 0, v178
	v_and_b32_e32 v37, v37, v177
	v_ashrrev_i32_e32 v176, 31, v176
	s_wait_alu 0xfffd
	v_xor_b32_e32 v175, vcc_lo, v175
	v_mad_u32_u24 v177, v43, 36, v118
	v_mul_u32_u24_e32 v43, 36, v43
	v_and_b32_e32 v37, v37, v179
	s_wait_alu 0xf1ff
	v_xor_b32_e32 v178, s15, v176
	ds_load_b32 v176, v177 offset:1056
	v_and_b32_e32 v37, v37, v175
	; wave barrier
	s_delay_alu instid0(VALU_DEP_1) | instskip(SKIP_1) | instid1(VALU_DEP_2)
	v_and_b32_e32 v37, v37, v178
	v_add_nc_u32_e32 v178, v118, v43
	v_mbcnt_lo_u32_b32 v177, v37, 0
	v_cmp_ne_u32_e64 s15, 0, v37
	s_delay_alu instid0(VALU_DEP_2)
	v_cmp_eq_u32_e32 vcc_lo, 0, v177
	s_and_b32 s16, s15, vcc_lo
	s_wait_alu 0xfffe
	s_and_saveexec_b32 s15, s16
	s_cbranch_execz .LBB1434_444
; %bb.443:                              ;   in Loop: Header=BB1434_388 Depth=2
	s_wait_dscnt 0x0
	v_bcnt_u32_b32 v37, v37, v176
	ds_store_b32 v178, v37 offset:1056
.LBB1434_444:                           ;   in Loop: Header=BB1434_388 Depth=2
	s_wait_alu 0xfffe
	s_or_b32 exec_lo, exec_lo, s15
	v_cmp_lt_i32_e32 vcc_lo, -1, v42
	; wave barrier
	s_wait_alu 0xfffd
	v_cndmask_b32_e64 v37, -1, 0x80000000, vcc_lo
	s_delay_alu instid0(VALU_DEP_1) | instskip(NEXT) | instid1(VALU_DEP_1)
	v_xor_b32_e32 v175, v37, v42
	v_cmp_ne_u32_e32 vcc_lo, 0x7fffffff, v175
	s_wait_alu 0xfffd
	v_cndmask_b32_e32 v37, 0x80000000, v175, vcc_lo
	s_delay_alu instid0(VALU_DEP_1) | instskip(NEXT) | instid1(VALU_DEP_1)
	v_lshrrev_b32_e32 v37, s31, v37
	v_and_b32_e32 v42, s48, v37
	s_delay_alu instid0(VALU_DEP_1)
	v_and_b32_e32 v37, 1, v42
	v_lshlrev_b32_e32 v43, 30, v42
	v_lshlrev_b32_e32 v179, 29, v42
	;; [unrolled: 1-line block ×4, first 2 shown]
	v_add_co_u32 v37, s15, v37, -1
	s_wait_alu 0xf1ff
	v_cndmask_b32_e64 v181, 0, 1, s15
	v_not_b32_e32 v185, v43
	v_cmp_gt_i32_e64 s15, 0, v43
	v_not_b32_e32 v43, v179
	v_lshlrev_b32_e32 v183, 26, v42
	v_cmp_ne_u32_e32 vcc_lo, 0, v181
	v_ashrrev_i32_e32 v185, 31, v185
	v_lshlrev_b32_e32 v184, 25, v42
	v_ashrrev_i32_e32 v43, 31, v43
	v_lshlrev_b32_e32 v181, 24, v42
	s_wait_alu 0xfffd
	v_xor_b32_e32 v37, vcc_lo, v37
	v_cmp_gt_i32_e32 vcc_lo, 0, v179
	v_not_b32_e32 v179, v180
	s_wait_alu 0xf1ff
	v_xor_b32_e32 v185, s15, v185
	v_cmp_gt_i32_e64 s15, 0, v180
	v_and_b32_e32 v37, exec_lo, v37
	v_not_b32_e32 v180, v182
	v_ashrrev_i32_e32 v179, 31, v179
	s_wait_alu 0xfffd
	v_xor_b32_e32 v43, vcc_lo, v43
	v_cmp_gt_i32_e32 vcc_lo, 0, v182
	v_and_b32_e32 v37, v37, v185
	v_not_b32_e32 v182, v183
	v_ashrrev_i32_e32 v180, 31, v180
	s_wait_alu 0xf1ff
	v_xor_b32_e32 v179, s15, v179
	v_cmp_gt_i32_e64 s15, 0, v183
	v_and_b32_e32 v37, v37, v43
	v_not_b32_e32 v43, v184
	v_ashrrev_i32_e32 v182, 31, v182
	s_wait_alu 0xfffd
	v_xor_b32_e32 v180, vcc_lo, v180
	v_cmp_gt_i32_e32 vcc_lo, 0, v184
	v_and_b32_e32 v37, v37, v179
	v_not_b32_e32 v179, v181
	v_ashrrev_i32_e32 v43, 31, v43
	s_wait_alu 0xf1ff
	v_xor_b32_e32 v182, s15, v182
	v_cmp_gt_i32_e64 s15, 0, v181
	v_and_b32_e32 v37, v37, v180
	v_ashrrev_i32_e32 v179, 31, v179
	s_wait_alu 0xfffd
	v_xor_b32_e32 v43, vcc_lo, v43
	v_mad_u32_u24 v180, v42, 36, v118
	v_mul_u32_u24_e32 v42, 36, v42
	v_and_b32_e32 v37, v37, v182
	s_wait_alu 0xf1ff
	v_xor_b32_e32 v179, s15, v179
	ds_load_b32 v180, v180 offset:1056
	v_add_nc_u32_e32 v182, v118, v42
	v_and_b32_e32 v37, v37, v43
	; wave barrier
	s_delay_alu instid0(VALU_DEP_1) | instskip(NEXT) | instid1(VALU_DEP_1)
	v_and_b32_e32 v37, v37, v179
	v_mbcnt_lo_u32_b32 v181, v37, 0
	v_cmp_ne_u32_e64 s15, 0, v37
	s_delay_alu instid0(VALU_DEP_2)
	v_cmp_eq_u32_e32 vcc_lo, 0, v181
	s_and_b32 s16, s15, vcc_lo
	s_wait_alu 0xfffe
	s_and_saveexec_b32 s15, s16
	s_cbranch_execz .LBB1434_446
; %bb.445:                              ;   in Loop: Header=BB1434_388 Depth=2
	s_wait_dscnt 0x0
	v_bcnt_u32_b32 v37, v37, v180
	ds_store_b32 v182, v37 offset:1056
.LBB1434_446:                           ;   in Loop: Header=BB1434_388 Depth=2
	s_wait_alu 0xfffe
	s_or_b32 exec_lo, exec_lo, s15
	v_cmp_lt_i32_e32 vcc_lo, -1, v41
	; wave barrier
	s_wait_alu 0xfffd
	v_cndmask_b32_e64 v37, -1, 0x80000000, vcc_lo
	s_delay_alu instid0(VALU_DEP_1) | instskip(NEXT) | instid1(VALU_DEP_1)
	v_xor_b32_e32 v179, v37, v41
	v_cmp_ne_u32_e32 vcc_lo, 0x7fffffff, v179
	s_wait_alu 0xfffd
	v_cndmask_b32_e32 v37, 0x80000000, v179, vcc_lo
	s_delay_alu instid0(VALU_DEP_1) | instskip(NEXT) | instid1(VALU_DEP_1)
	v_lshrrev_b32_e32 v37, s31, v37
	v_and_b32_e32 v41, s48, v37
	s_delay_alu instid0(VALU_DEP_1)
	v_and_b32_e32 v37, 1, v41
	v_lshlrev_b32_e32 v42, 30, v41
	v_lshlrev_b32_e32 v43, 29, v41
	;; [unrolled: 1-line block ×4, first 2 shown]
	v_add_co_u32 v37, s15, v37, -1
	s_wait_alu 0xf1ff
	v_cndmask_b32_e64 v184, 0, 1, s15
	v_not_b32_e32 v188, v42
	v_cmp_gt_i32_e64 s15, 0, v42
	v_not_b32_e32 v42, v43
	v_lshlrev_b32_e32 v186, 26, v41
	v_cmp_ne_u32_e32 vcc_lo, 0, v184
	v_ashrrev_i32_e32 v188, 31, v188
	v_lshlrev_b32_e32 v187, 25, v41
	v_ashrrev_i32_e32 v42, 31, v42
	v_lshlrev_b32_e32 v184, 24, v41
	s_wait_alu 0xfffd
	v_xor_b32_e32 v37, vcc_lo, v37
	v_cmp_gt_i32_e32 vcc_lo, 0, v43
	v_not_b32_e32 v43, v183
	s_wait_alu 0xf1ff
	v_xor_b32_e32 v188, s15, v188
	v_cmp_gt_i32_e64 s15, 0, v183
	v_and_b32_e32 v37, exec_lo, v37
	v_not_b32_e32 v183, v185
	v_ashrrev_i32_e32 v43, 31, v43
	s_wait_alu 0xfffd
	v_xor_b32_e32 v42, vcc_lo, v42
	v_cmp_gt_i32_e32 vcc_lo, 0, v185
	v_and_b32_e32 v37, v37, v188
	v_not_b32_e32 v185, v186
	v_ashrrev_i32_e32 v183, 31, v183
	s_wait_alu 0xf1ff
	v_xor_b32_e32 v43, s15, v43
	v_cmp_gt_i32_e64 s15, 0, v186
	v_and_b32_e32 v37, v37, v42
	v_not_b32_e32 v42, v187
	v_ashrrev_i32_e32 v185, 31, v185
	s_wait_alu 0xfffd
	v_xor_b32_e32 v183, vcc_lo, v183
	v_cmp_gt_i32_e32 vcc_lo, 0, v187
	v_and_b32_e32 v37, v37, v43
	v_not_b32_e32 v43, v184
	v_ashrrev_i32_e32 v42, 31, v42
	s_wait_alu 0xf1ff
	v_xor_b32_e32 v185, s15, v185
	v_cmp_gt_i32_e64 s15, 0, v184
	v_and_b32_e32 v37, v37, v183
	v_ashrrev_i32_e32 v43, 31, v43
	s_wait_alu 0xfffd
	v_xor_b32_e32 v42, vcc_lo, v42
	v_mad_u32_u24 v183, v41, 36, v118
	v_mul_u32_u24_e32 v41, 36, v41
	v_and_b32_e32 v37, v37, v185
	s_wait_alu 0xf1ff
	v_xor_b32_e32 v43, s15, v43
	ds_load_b32 v184, v183 offset:1056
	v_add_nc_u32_e32 v186, v118, v41
	v_and_b32_e32 v37, v37, v42
	; wave barrier
	s_delay_alu instid0(VALU_DEP_1) | instskip(NEXT) | instid1(VALU_DEP_1)
	v_and_b32_e32 v37, v37, v43
	v_mbcnt_lo_u32_b32 v185, v37, 0
	v_cmp_ne_u32_e64 s15, 0, v37
	s_delay_alu instid0(VALU_DEP_2)
	v_cmp_eq_u32_e32 vcc_lo, 0, v185
	s_and_b32 s16, s15, vcc_lo
	s_wait_alu 0xfffe
	s_and_saveexec_b32 s15, s16
	s_cbranch_execz .LBB1434_448
; %bb.447:                              ;   in Loop: Header=BB1434_388 Depth=2
	s_wait_dscnt 0x0
	v_bcnt_u32_b32 v37, v37, v184
	ds_store_b32 v186, v37 offset:1056
.LBB1434_448:                           ;   in Loop: Header=BB1434_388 Depth=2
	s_wait_alu 0xfffe
	s_or_b32 exec_lo, exec_lo, s15
	v_cmp_lt_i32_e32 vcc_lo, -1, v40
	; wave barrier
	s_wait_alu 0xfffd
	v_cndmask_b32_e64 v37, -1, 0x80000000, vcc_lo
	s_delay_alu instid0(VALU_DEP_1) | instskip(NEXT) | instid1(VALU_DEP_1)
	v_xor_b32_e32 v183, v37, v40
	v_cmp_ne_u32_e32 vcc_lo, 0x7fffffff, v183
	s_wait_alu 0xfffd
	v_cndmask_b32_e32 v37, 0x80000000, v183, vcc_lo
	s_delay_alu instid0(VALU_DEP_1) | instskip(NEXT) | instid1(VALU_DEP_1)
	v_lshrrev_b32_e32 v37, s31, v37
	v_and_b32_e32 v40, s48, v37
	s_delay_alu instid0(VALU_DEP_1)
	v_and_b32_e32 v37, 1, v40
	v_lshlrev_b32_e32 v41, 30, v40
	v_lshlrev_b32_e32 v42, 29, v40
	v_lshlrev_b32_e32 v43, 28, v40
	v_lshlrev_b32_e32 v188, 27, v40
	v_add_co_u32 v37, s15, v37, -1
	s_wait_alu 0xf1ff
	v_cndmask_b32_e64 v187, 0, 1, s15
	v_not_b32_e32 v191, v41
	v_cmp_gt_i32_e64 s15, 0, v41
	v_not_b32_e32 v41, v42
	v_lshlrev_b32_e32 v189, 26, v40
	v_cmp_ne_u32_e32 vcc_lo, 0, v187
	v_ashrrev_i32_e32 v191, 31, v191
	v_lshlrev_b32_e32 v190, 25, v40
	v_ashrrev_i32_e32 v41, 31, v41
	v_lshlrev_b32_e32 v187, 24, v40
	s_wait_alu 0xfffd
	v_xor_b32_e32 v37, vcc_lo, v37
	v_cmp_gt_i32_e32 vcc_lo, 0, v42
	v_not_b32_e32 v42, v43
	s_wait_alu 0xf1ff
	v_xor_b32_e32 v191, s15, v191
	v_cmp_gt_i32_e64 s15, 0, v43
	v_and_b32_e32 v37, exec_lo, v37
	v_not_b32_e32 v43, v188
	v_ashrrev_i32_e32 v42, 31, v42
	s_wait_alu 0xfffd
	v_xor_b32_e32 v41, vcc_lo, v41
	v_cmp_gt_i32_e32 vcc_lo, 0, v188
	v_and_b32_e32 v37, v37, v191
	v_not_b32_e32 v188, v189
	v_ashrrev_i32_e32 v43, 31, v43
	s_wait_alu 0xf1ff
	v_xor_b32_e32 v42, s15, v42
	v_cmp_gt_i32_e64 s15, 0, v189
	v_and_b32_e32 v37, v37, v41
	v_not_b32_e32 v41, v190
	v_ashrrev_i32_e32 v188, 31, v188
	s_wait_alu 0xfffd
	v_xor_b32_e32 v43, vcc_lo, v43
	v_cmp_gt_i32_e32 vcc_lo, 0, v190
	v_and_b32_e32 v37, v37, v42
	v_not_b32_e32 v42, v187
	v_ashrrev_i32_e32 v41, 31, v41
	s_wait_alu 0xf1ff
	v_xor_b32_e32 v188, s15, v188
	v_cmp_gt_i32_e64 s15, 0, v187
	v_and_b32_e32 v37, v37, v43
	v_ashrrev_i32_e32 v42, 31, v42
	s_wait_alu 0xfffd
	v_xor_b32_e32 v41, vcc_lo, v41
	v_mad_u32_u24 v43, v40, 36, v118
	v_mul_u32_u24_e32 v40, 36, v40
	v_and_b32_e32 v37, v37, v188
	s_wait_alu 0xf1ff
	v_xor_b32_e32 v42, s15, v42
	ds_load_b32 v188, v43 offset:1056
	v_add_nc_u32_e32 v190, v118, v40
	v_and_b32_e32 v37, v37, v41
	; wave barrier
	s_delay_alu instid0(VALU_DEP_1) | instskip(NEXT) | instid1(VALU_DEP_1)
	v_and_b32_e32 v37, v37, v42
	v_mbcnt_lo_u32_b32 v189, v37, 0
	v_cmp_ne_u32_e64 s15, 0, v37
	s_delay_alu instid0(VALU_DEP_2)
	v_cmp_eq_u32_e32 vcc_lo, 0, v189
	s_and_b32 s16, s15, vcc_lo
	s_wait_alu 0xfffe
	s_and_saveexec_b32 s15, s16
	s_cbranch_execz .LBB1434_450
; %bb.449:                              ;   in Loop: Header=BB1434_388 Depth=2
	s_wait_dscnt 0x0
	v_bcnt_u32_b32 v37, v37, v188
	ds_store_b32 v190, v37 offset:1056
.LBB1434_450:                           ;   in Loop: Header=BB1434_388 Depth=2
	s_wait_alu 0xfffe
	s_or_b32 exec_lo, exec_lo, s15
	v_cmp_lt_i32_e32 vcc_lo, -1, v39
	; wave barrier
	s_wait_alu 0xfffd
	v_cndmask_b32_e64 v37, -1, 0x80000000, vcc_lo
	s_delay_alu instid0(VALU_DEP_1) | instskip(NEXT) | instid1(VALU_DEP_1)
	v_xor_b32_e32 v187, v37, v39
	v_cmp_ne_u32_e32 vcc_lo, 0x7fffffff, v187
	s_wait_alu 0xfffd
	v_cndmask_b32_e32 v37, 0x80000000, v187, vcc_lo
	s_delay_alu instid0(VALU_DEP_1) | instskip(NEXT) | instid1(VALU_DEP_1)
	v_lshrrev_b32_e32 v37, s31, v37
	v_and_b32_e32 v39, s48, v37
	s_delay_alu instid0(VALU_DEP_1)
	v_and_b32_e32 v37, 1, v39
	v_lshlrev_b32_e32 v40, 30, v39
	v_lshlrev_b32_e32 v41, 29, v39
	;; [unrolled: 1-line block ×4, first 2 shown]
	v_add_co_u32 v37, s15, v37, -1
	s_wait_alu 0xf1ff
	v_cndmask_b32_e64 v43, 0, 1, s15
	v_not_b32_e32 v194, v40
	v_cmp_gt_i32_e64 s15, 0, v40
	v_not_b32_e32 v40, v41
	v_lshlrev_b32_e32 v192, 26, v39
	v_cmp_ne_u32_e32 vcc_lo, 0, v43
	v_ashrrev_i32_e32 v194, 31, v194
	v_lshlrev_b32_e32 v193, 25, v39
	v_ashrrev_i32_e32 v40, 31, v40
	v_lshlrev_b32_e32 v43, 24, v39
	s_wait_alu 0xfffd
	v_xor_b32_e32 v37, vcc_lo, v37
	v_cmp_gt_i32_e32 vcc_lo, 0, v41
	v_not_b32_e32 v41, v42
	s_wait_alu 0xf1ff
	v_xor_b32_e32 v194, s15, v194
	v_cmp_gt_i32_e64 s15, 0, v42
	v_and_b32_e32 v37, exec_lo, v37
	v_not_b32_e32 v42, v191
	v_ashrrev_i32_e32 v41, 31, v41
	s_wait_alu 0xfffd
	v_xor_b32_e32 v40, vcc_lo, v40
	v_cmp_gt_i32_e32 vcc_lo, 0, v191
	v_and_b32_e32 v37, v37, v194
	v_not_b32_e32 v191, v192
	v_ashrrev_i32_e32 v42, 31, v42
	s_wait_alu 0xf1ff
	v_xor_b32_e32 v41, s15, v41
	v_cmp_gt_i32_e64 s15, 0, v192
	v_and_b32_e32 v37, v37, v40
	v_not_b32_e32 v40, v193
	v_ashrrev_i32_e32 v191, 31, v191
	s_wait_alu 0xfffd
	v_xor_b32_e32 v42, vcc_lo, v42
	v_cmp_gt_i32_e32 vcc_lo, 0, v193
	v_and_b32_e32 v37, v37, v41
	v_not_b32_e32 v41, v43
	v_ashrrev_i32_e32 v40, 31, v40
	s_wait_alu 0xf1ff
	v_xor_b32_e32 v191, s15, v191
	v_cmp_gt_i32_e64 s15, 0, v43
	v_and_b32_e32 v37, v37, v42
	v_ashrrev_i32_e32 v41, 31, v41
	s_wait_alu 0xfffd
	v_xor_b32_e32 v40, vcc_lo, v40
	v_mad_u32_u24 v42, v39, 36, v118
	v_mul_u32_u24_e32 v39, 36, v39
	v_and_b32_e32 v37, v37, v191
	s_wait_alu 0xf1ff
	v_xor_b32_e32 v41, s15, v41
	ds_load_b32 v192, v42 offset:1056
	v_add_nc_u32_e32 v194, v118, v39
	v_and_b32_e32 v37, v37, v40
	; wave barrier
	s_delay_alu instid0(VALU_DEP_1) | instskip(NEXT) | instid1(VALU_DEP_1)
	v_and_b32_e32 v37, v37, v41
	v_mbcnt_lo_u32_b32 v193, v37, 0
	v_cmp_ne_u32_e64 s15, 0, v37
	s_delay_alu instid0(VALU_DEP_2)
	v_cmp_eq_u32_e32 vcc_lo, 0, v193
	s_and_b32 s16, s15, vcc_lo
	s_wait_alu 0xfffe
	s_and_saveexec_b32 s15, s16
	s_cbranch_execz .LBB1434_452
; %bb.451:                              ;   in Loop: Header=BB1434_388 Depth=2
	s_wait_dscnt 0x0
	v_bcnt_u32_b32 v37, v37, v192
	ds_store_b32 v194, v37 offset:1056
.LBB1434_452:                           ;   in Loop: Header=BB1434_388 Depth=2
	s_wait_alu 0xfffe
	s_or_b32 exec_lo, exec_lo, s15
	v_cmp_lt_i32_e32 vcc_lo, -1, v38
	; wave barrier
	s_wait_alu 0xfffd
	v_cndmask_b32_e64 v37, -1, 0x80000000, vcc_lo
	s_delay_alu instid0(VALU_DEP_1) | instskip(NEXT) | instid1(VALU_DEP_1)
	v_xor_b32_e32 v191, v37, v38
	v_cmp_ne_u32_e32 vcc_lo, 0x7fffffff, v191
	s_wait_alu 0xfffd
	v_cndmask_b32_e32 v37, 0x80000000, v191, vcc_lo
	s_delay_alu instid0(VALU_DEP_1) | instskip(NEXT) | instid1(VALU_DEP_1)
	v_lshrrev_b32_e32 v37, s31, v37
	v_and_b32_e32 v38, s48, v37
	s_delay_alu instid0(VALU_DEP_1)
	v_and_b32_e32 v37, 1, v38
	v_lshlrev_b32_e32 v39, 30, v38
	v_lshlrev_b32_e32 v40, 29, v38
	;; [unrolled: 1-line block ×4, first 2 shown]
	v_add_co_u32 v37, s15, v37, -1
	s_wait_alu 0xf1ff
	v_cndmask_b32_e64 v42, 0, 1, s15
	v_not_b32_e32 v197, v39
	v_cmp_gt_i32_e64 s15, 0, v39
	v_not_b32_e32 v39, v40
	v_lshlrev_b32_e32 v195, 26, v38
	v_cmp_ne_u32_e32 vcc_lo, 0, v42
	v_ashrrev_i32_e32 v197, 31, v197
	v_lshlrev_b32_e32 v196, 25, v38
	v_ashrrev_i32_e32 v39, 31, v39
	v_lshlrev_b32_e32 v42, 24, v38
	s_wait_alu 0xfffd
	v_xor_b32_e32 v37, vcc_lo, v37
	v_cmp_gt_i32_e32 vcc_lo, 0, v40
	v_not_b32_e32 v40, v41
	s_wait_alu 0xf1ff
	v_xor_b32_e32 v197, s15, v197
	v_cmp_gt_i32_e64 s15, 0, v41
	v_and_b32_e32 v37, exec_lo, v37
	v_not_b32_e32 v41, v43
	v_ashrrev_i32_e32 v40, 31, v40
	s_wait_alu 0xfffd
	v_xor_b32_e32 v39, vcc_lo, v39
	v_cmp_gt_i32_e32 vcc_lo, 0, v43
	v_and_b32_e32 v37, v37, v197
	v_not_b32_e32 v43, v195
	v_ashrrev_i32_e32 v41, 31, v41
	s_wait_alu 0xf1ff
	v_xor_b32_e32 v40, s15, v40
	v_cmp_gt_i32_e64 s15, 0, v195
	v_and_b32_e32 v37, v37, v39
	v_not_b32_e32 v39, v196
	v_ashrrev_i32_e32 v43, 31, v43
	s_wait_alu 0xfffd
	v_xor_b32_e32 v41, vcc_lo, v41
	v_cmp_gt_i32_e32 vcc_lo, 0, v196
	v_and_b32_e32 v37, v37, v40
	v_not_b32_e32 v40, v42
	v_ashrrev_i32_e32 v39, 31, v39
	s_wait_alu 0xf1ff
	v_xor_b32_e32 v43, s15, v43
	v_cmp_gt_i32_e64 s15, 0, v42
	v_and_b32_e32 v37, v37, v41
	v_ashrrev_i32_e32 v40, 31, v40
	s_wait_alu 0xfffd
	v_xor_b32_e32 v39, vcc_lo, v39
	v_mad_u32_u24 v41, v38, 36, v118
	v_mul_u32_u24_e32 v38, 36, v38
	v_and_b32_e32 v37, v37, v43
	s_wait_alu 0xf1ff
	v_xor_b32_e32 v40, s15, v40
	ds_load_b32 v196, v41 offset:1056
	v_add_nc_u32_e32 v198, v118, v38
	v_and_b32_e32 v37, v37, v39
	; wave barrier
	s_delay_alu instid0(VALU_DEP_1) | instskip(NEXT) | instid1(VALU_DEP_1)
	v_and_b32_e32 v37, v37, v40
	v_mbcnt_lo_u32_b32 v197, v37, 0
	v_cmp_ne_u32_e64 s15, 0, v37
	s_delay_alu instid0(VALU_DEP_2)
	v_cmp_eq_u32_e32 vcc_lo, 0, v197
	s_and_b32 s16, s15, vcc_lo
	s_wait_alu 0xfffe
	s_and_saveexec_b32 s15, s16
	s_cbranch_execz .LBB1434_454
; %bb.453:                              ;   in Loop: Header=BB1434_388 Depth=2
	s_wait_dscnt 0x0
	v_bcnt_u32_b32 v37, v37, v196
	ds_store_b32 v198, v37 offset:1056
.LBB1434_454:                           ;   in Loop: Header=BB1434_388 Depth=2
	s_wait_alu 0xfffe
	s_or_b32 exec_lo, exec_lo, s15
	v_cmp_lt_i32_e32 vcc_lo, -1, v36
	; wave barrier
	s_wait_alu 0xfffd
	v_cndmask_b32_e64 v37, -1, 0x80000000, vcc_lo
	s_delay_alu instid0(VALU_DEP_1) | instskip(NEXT) | instid1(VALU_DEP_1)
	v_xor_b32_e32 v195, v37, v36
	v_cmp_ne_u32_e32 vcc_lo, 0x7fffffff, v195
	s_wait_alu 0xfffd
	v_cndmask_b32_e32 v36, 0x80000000, v195, vcc_lo
	s_delay_alu instid0(VALU_DEP_1) | instskip(NEXT) | instid1(VALU_DEP_1)
	v_lshrrev_b32_e32 v36, s31, v36
	v_and_b32_e32 v37, s48, v36
	s_delay_alu instid0(VALU_DEP_1)
	v_and_b32_e32 v36, 1, v37
	v_lshlrev_b32_e32 v38, 30, v37
	v_lshlrev_b32_e32 v39, 29, v37
	;; [unrolled: 1-line block ×4, first 2 shown]
	v_add_co_u32 v36, s15, v36, -1
	s_wait_alu 0xf1ff
	v_cndmask_b32_e64 v41, 0, 1, s15
	v_not_b32_e32 v200, v38
	v_cmp_gt_i32_e64 s15, 0, v38
	v_not_b32_e32 v38, v39
	v_lshlrev_b32_e32 v43, 26, v37
	v_cmp_ne_u32_e32 vcc_lo, 0, v41
	v_ashrrev_i32_e32 v200, 31, v200
	v_lshlrev_b32_e32 v199, 25, v37
	v_ashrrev_i32_e32 v38, 31, v38
	v_lshlrev_b32_e32 v41, 24, v37
	s_wait_alu 0xfffd
	v_xor_b32_e32 v36, vcc_lo, v36
	v_cmp_gt_i32_e32 vcc_lo, 0, v39
	v_not_b32_e32 v39, v40
	s_wait_alu 0xf1ff
	v_xor_b32_e32 v200, s15, v200
	v_cmp_gt_i32_e64 s15, 0, v40
	v_and_b32_e32 v36, exec_lo, v36
	v_not_b32_e32 v40, v42
	v_ashrrev_i32_e32 v39, 31, v39
	s_wait_alu 0xfffd
	v_xor_b32_e32 v38, vcc_lo, v38
	v_cmp_gt_i32_e32 vcc_lo, 0, v42
	v_and_b32_e32 v36, v36, v200
	v_not_b32_e32 v42, v43
	v_ashrrev_i32_e32 v40, 31, v40
	s_wait_alu 0xf1ff
	v_xor_b32_e32 v39, s15, v39
	v_cmp_gt_i32_e64 s15, 0, v43
	v_and_b32_e32 v36, v36, v38
	v_not_b32_e32 v38, v199
	v_ashrrev_i32_e32 v42, 31, v42
	s_wait_alu 0xfffd
	v_xor_b32_e32 v40, vcc_lo, v40
	v_cmp_gt_i32_e32 vcc_lo, 0, v199
	v_and_b32_e32 v36, v36, v39
	v_not_b32_e32 v39, v41
	v_ashrrev_i32_e32 v38, 31, v38
	s_wait_alu 0xf1ff
	v_xor_b32_e32 v42, s15, v42
	v_cmp_gt_i32_e64 s15, 0, v41
	v_and_b32_e32 v36, v36, v40
	v_ashrrev_i32_e32 v39, 31, v39
	s_wait_alu 0xfffd
	v_xor_b32_e32 v38, vcc_lo, v38
	v_mad_u32_u24 v40, v37, 36, v118
	v_mul_u32_u24_e32 v37, 36, v37
	v_and_b32_e32 v36, v36, v42
	s_wait_alu 0xf1ff
	v_xor_b32_e32 v39, s15, v39
	ds_load_b32 v199, v40 offset:1056
	v_add_nc_u32_e32 v201, v118, v37
	v_and_b32_e32 v36, v36, v38
	; wave barrier
	s_delay_alu instid0(VALU_DEP_1) | instskip(NEXT) | instid1(VALU_DEP_1)
	v_and_b32_e32 v36, v36, v39
	v_mbcnt_lo_u32_b32 v200, v36, 0
	v_cmp_ne_u32_e64 s15, 0, v36
	s_delay_alu instid0(VALU_DEP_2)
	v_cmp_eq_u32_e32 vcc_lo, 0, v200
	s_and_b32 s16, s15, vcc_lo
	s_wait_alu 0xfffe
	s_and_saveexec_b32 s15, s16
	s_cbranch_execz .LBB1434_456
; %bb.455:                              ;   in Loop: Header=BB1434_388 Depth=2
	s_wait_dscnt 0x0
	v_bcnt_u32_b32 v36, v36, v199
	ds_store_b32 v201, v36 offset:1056
.LBB1434_456:                           ;   in Loop: Header=BB1434_388 Depth=2
	s_wait_alu 0xfffe
	s_or_b32 exec_lo, exec_lo, s15
	; wave barrier
	s_wait_loadcnt_dscnt 0x0
	s_barrier_signal -1
	s_barrier_wait -1
	global_inv scope:SCOPE_SE
	ds_load_2addr_b32 v[42:43], v139 offset1:1
	ds_load_2addr_b32 v[40:41], v140 offset1:1
	;; [unrolled: 1-line block ×4, first 2 shown]
	ds_load_b32 v202, v67 offset:1088
	s_wait_dscnt 0x3
	v_add3_u32 v203, v43, v42, v40
	s_wait_dscnt 0x2
	s_delay_alu instid0(VALU_DEP_1) | instskip(SKIP_1) | instid1(VALU_DEP_1)
	v_add3_u32 v203, v203, v41, v38
	s_wait_dscnt 0x1
	v_add3_u32 v203, v203, v39, v36
	s_wait_dscnt 0x0
	s_delay_alu instid0(VALU_DEP_1) | instskip(NEXT) | instid1(VALU_DEP_1)
	v_add3_u32 v202, v203, v37, v202
	v_mov_b32_dpp v203, v202 row_shr:1 row_mask:0xf bank_mask:0xf
	s_delay_alu instid0(VALU_DEP_1) | instskip(NEXT) | instid1(VALU_DEP_1)
	v_cndmask_b32_e64 v203, v203, 0, s0
	v_add_nc_u32_e32 v202, v203, v202
	s_delay_alu instid0(VALU_DEP_1) | instskip(NEXT) | instid1(VALU_DEP_1)
	v_mov_b32_dpp v203, v202 row_shr:2 row_mask:0xf bank_mask:0xf
	v_cndmask_b32_e64 v203, 0, v203, s1
	s_delay_alu instid0(VALU_DEP_1) | instskip(NEXT) | instid1(VALU_DEP_1)
	v_add_nc_u32_e32 v202, v202, v203
	v_mov_b32_dpp v203, v202 row_shr:4 row_mask:0xf bank_mask:0xf
	s_delay_alu instid0(VALU_DEP_1) | instskip(NEXT) | instid1(VALU_DEP_1)
	v_cndmask_b32_e64 v203, 0, v203, s9
	v_add_nc_u32_e32 v202, v202, v203
	s_delay_alu instid0(VALU_DEP_1) | instskip(NEXT) | instid1(VALU_DEP_1)
	v_mov_b32_dpp v203, v202 row_shr:8 row_mask:0xf bank_mask:0xf
	v_cndmask_b32_e64 v203, 0, v203, s10
	s_delay_alu instid0(VALU_DEP_1) | instskip(SKIP_3) | instid1(VALU_DEP_1)
	v_add_nc_u32_e32 v202, v202, v203
	ds_swizzle_b32 v203, v202 offset:swizzle(BROADCAST,32,15)
	s_wait_dscnt 0x0
	v_cndmask_b32_e64 v203, v203, 0, s11
	v_add_nc_u32_e32 v202, v202, v203
	s_and_saveexec_b32 s15, s3
; %bb.457:                              ;   in Loop: Header=BB1434_388 Depth=2
	ds_store_b32 v63, v202 offset:1024
; %bb.458:                              ;   in Loop: Header=BB1434_388 Depth=2
	s_wait_alu 0xfffe
	s_or_b32 exec_lo, exec_lo, s15
	s_wait_loadcnt_dscnt 0x0
	s_barrier_signal -1
	s_barrier_wait -1
	global_inv scope:SCOPE_SE
	s_and_saveexec_b32 s15, s4
	s_cbranch_execz .LBB1434_460
; %bb.459:                              ;   in Loop: Header=BB1434_388 Depth=2
	ds_load_b32 v203, v70 offset:1024
	s_wait_dscnt 0x0
	v_mov_b32_dpp v204, v203 row_shr:1 row_mask:0xf bank_mask:0xf
	s_delay_alu instid0(VALU_DEP_1) | instskip(NEXT) | instid1(VALU_DEP_1)
	v_cndmask_b32_e64 v204, v204, 0, s12
	v_add_nc_u32_e32 v203, v204, v203
	s_delay_alu instid0(VALU_DEP_1) | instskip(NEXT) | instid1(VALU_DEP_1)
	v_mov_b32_dpp v204, v203 row_shr:2 row_mask:0xf bank_mask:0xf
	v_cndmask_b32_e64 v204, 0, v204, s13
	s_delay_alu instid0(VALU_DEP_1) | instskip(NEXT) | instid1(VALU_DEP_1)
	v_add_nc_u32_e32 v203, v203, v204
	v_mov_b32_dpp v204, v203 row_shr:4 row_mask:0xf bank_mask:0xf
	s_delay_alu instid0(VALU_DEP_1) | instskip(NEXT) | instid1(VALU_DEP_1)
	v_cndmask_b32_e64 v204, 0, v204, s14
	v_add_nc_u32_e32 v203, v203, v204
	ds_store_b32 v70, v203 offset:1024
.LBB1434_460:                           ;   in Loop: Header=BB1434_388 Depth=2
	s_wait_alu 0xfffe
	s_or_b32 exec_lo, exec_lo, s15
	v_mov_b32_e32 v203, 0
	s_wait_loadcnt_dscnt 0x0
	s_barrier_signal -1
	s_barrier_wait -1
	global_inv scope:SCOPE_SE
	s_and_saveexec_b32 s15, s5
; %bb.461:                              ;   in Loop: Header=BB1434_388 Depth=2
	ds_load_b32 v203, v63 offset:1020
; %bb.462:                              ;   in Loop: Header=BB1434_388 Depth=2
	s_wait_alu 0xfffe
	s_or_b32 exec_lo, exec_lo, s15
	s_wait_dscnt 0x0
	v_add_nc_u32_e32 v202, v203, v202
	ds_bpermute_b32 v202, v113, v202
	s_wait_dscnt 0x0
	v_cndmask_b32_e64 v202, v202, v203, s8
	s_delay_alu instid0(VALU_DEP_1) | instskip(NEXT) | instid1(VALU_DEP_1)
	v_cndmask_b32_e64 v202, v202, 0, s6
	v_add_nc_u32_e32 v42, v202, v42
	s_delay_alu instid0(VALU_DEP_1) | instskip(NEXT) | instid1(VALU_DEP_1)
	v_add_nc_u32_e32 v43, v42, v43
	v_add_nc_u32_e32 v40, v43, v40
	s_delay_alu instid0(VALU_DEP_1) | instskip(NEXT) | instid1(VALU_DEP_1)
	v_add_nc_u32_e32 v41, v40, v41
	;; [unrolled: 3-line block ×3, first 2 shown]
	v_add_nc_u32_e32 v36, v39, v36
	s_delay_alu instid0(VALU_DEP_1)
	v_add_nc_u32_e32 v37, v36, v37
	ds_store_2addr_b32 v138, v39, v36 offset1:1
	ds_store_2addr_b32 v139, v202, v42 offset1:1
	;; [unrolled: 1-line block ×4, first 2 shown]
	ds_store_b32 v67, v37 offset:1088
	s_wait_loadcnt_dscnt 0x0
	s_barrier_signal -1
	s_barrier_wait -1
	global_inv scope:SCOPE_SE
	ds_load_b32 v39, v142 offset:1056
	ds_load_b32 v41, v146 offset:1056
	;; [unrolled: 1-line block ×17, first 2 shown]
	v_mov_b32_e32 v38, 0x1000
	s_and_saveexec_b32 s15, s7
; %bb.463:                              ;   in Loop: Header=BB1434_388 Depth=2
	ds_load_b32 v38, v67 offset:1092
; %bb.464:                              ;   in Loop: Header=BB1434_388 Depth=2
	s_wait_alu 0xfffe
	s_or_b32 exec_lo, exec_lo, s15
	s_wait_loadcnt_dscnt 0x0
	s_barrier_signal -1
	s_barrier_wait -1
	global_inv scope:SCOPE_SE
	s_and_saveexec_b32 s15, s2
	s_cbranch_execz .LBB1434_466
; %bb.465:                              ;   in Loop: Header=BB1434_388 Depth=2
	ds_load_b32 v142, v44
	s_wait_dscnt 0x0
	v_sub_nc_u32_e32 v141, v142, v141
	ds_store_b32 v44, v141
.LBB1434_466:                           ;   in Loop: Header=BB1434_388 Depth=2
	s_wait_alu 0xfffe
	s_or_b32 exec_lo, exec_lo, s15
	v_add_nc_u32_e32 v154, v39, v137
	v_add3_u32 v150, v145, v144, v41
	v_add3_u32 v146, v149, v148, v42
	;; [unrolled: 1-line block ×4, first 2 shown]
	v_lshlrev_b32_e32 v148, 2, v154
	v_add3_u32 v142, v161, v160, v139
	v_add3_u32 v141, v165, v164, v140
	;; [unrolled: 1-line block ×4, first 2 shown]
	ds_store_b32 v148, v2 offset:1024
	v_lshlrev_b32_e32 v2, 2, v150
	v_lshlrev_b32_e32 v36, 2, v146
	v_add3_u32 v139, v173, v172, v167
	v_add3_u32 v42, v193, v192, v37
	v_lshlrev_b32_e32 v37, 2, v145
	v_add3_u32 v138, v177, v176, v170
	v_lshlrev_b32_e32 v148, 2, v144
	;; [unrolled: 2-line block ×3, first 2 shown]
	v_add3_u32 v39, v185, v184, v178
	ds_store_b32 v2, v136 offset:1024
	ds_store_b32 v36, v143 offset:1024
	;; [unrolled: 1-line block ×5, first 2 shown]
	v_lshlrev_b32_e32 v2, 2, v141
	v_lshlrev_b32_e32 v36, 2, v140
	;; [unrolled: 1-line block ×3, first 2 shown]
	v_add3_u32 v41, v197, v196, v40
	v_lshlrev_b32_e32 v136, 2, v138
	v_add3_u32 v40, v200, v199, v158
	v_lshlrev_b32_e32 v143, 2, v137
	ds_store_b32 v2, v159 offset:1024
	ds_store_b32 v36, v163 offset:1024
	;; [unrolled: 1-line block ×5, first 2 shown]
	v_lshlrev_b32_e32 v2, 2, v39
	v_cmp_lt_u32_e32 vcc_lo, v1, v135
	v_lshlrev_b32_e32 v36, 2, v43
	v_lshlrev_b32_e32 v37, 2, v42
	;; [unrolled: 1-line block ×4, first 2 shown]
	ds_store_b32 v2, v179 offset:1024
	ds_store_b32 v36, v183 offset:1024
	ds_store_b32 v37, v187 offset:1024
	ds_store_b32 v136, v191 offset:1024
	ds_store_b32 v143, v195 offset:1024
	s_wait_loadcnt_dscnt 0x0
	s_barrier_signal -1
	s_barrier_wait -1
	global_inv scope:SCOPE_SE
	s_and_saveexec_b32 s16, vcc_lo
	s_cbranch_execnz .LBB1434_535
; %bb.467:                              ;   in Loop: Header=BB1434_388 Depth=2
	s_wait_alu 0xfffe
	s_or_b32 exec_lo, exec_lo, s16
	v_cmp_lt_u32_e64 s15, v45, v135
	s_and_saveexec_b32 s17, s15
	s_cbranch_execnz .LBB1434_536
.LBB1434_468:                           ;   in Loop: Header=BB1434_388 Depth=2
	s_wait_alu 0xfffe
	s_or_b32 exec_lo, exec_lo, s17
	v_cmp_lt_u32_e64 s16, v46, v135
	s_and_saveexec_b32 s18, s16
	s_cbranch_execnz .LBB1434_537
.LBB1434_469:                           ;   in Loop: Header=BB1434_388 Depth=2
	s_wait_alu 0xfffe
	s_or_b32 exec_lo, exec_lo, s18
	v_cmp_lt_u32_e64 s17, v47, v135
	s_and_saveexec_b32 s19, s17
	s_cbranch_execnz .LBB1434_538
.LBB1434_470:                           ;   in Loop: Header=BB1434_388 Depth=2
	s_wait_alu 0xfffe
	s_or_b32 exec_lo, exec_lo, s19
	v_cmp_lt_u32_e64 s18, v50, v135
	s_and_saveexec_b32 s20, s18
	s_cbranch_execnz .LBB1434_539
.LBB1434_471:                           ;   in Loop: Header=BB1434_388 Depth=2
	s_wait_alu 0xfffe
	s_or_b32 exec_lo, exec_lo, s20
	v_cmp_lt_u32_e64 s19, v51, v135
	s_and_saveexec_b32 s21, s19
	s_cbranch_execnz .LBB1434_540
.LBB1434_472:                           ;   in Loop: Header=BB1434_388 Depth=2
	s_wait_alu 0xfffe
	s_or_b32 exec_lo, exec_lo, s21
	v_cmp_lt_u32_e64 s20, v52, v135
	s_and_saveexec_b32 s22, s20
	s_cbranch_execnz .LBB1434_541
.LBB1434_473:                           ;   in Loop: Header=BB1434_388 Depth=2
	s_wait_alu 0xfffe
	s_or_b32 exec_lo, exec_lo, s22
	v_cmp_lt_u32_e64 s21, v53, v135
	s_and_saveexec_b32 s23, s21
	s_cbranch_execnz .LBB1434_542
.LBB1434_474:                           ;   in Loop: Header=BB1434_388 Depth=2
	s_wait_alu 0xfffe
	s_or_b32 exec_lo, exec_lo, s23
	v_cmp_lt_u32_e64 s22, v54, v135
	s_and_saveexec_b32 s24, s22
	s_cbranch_execnz .LBB1434_543
.LBB1434_475:                           ;   in Loop: Header=BB1434_388 Depth=2
	s_wait_alu 0xfffe
	s_or_b32 exec_lo, exec_lo, s24
	v_cmp_lt_u32_e64 s23, v55, v135
	s_and_saveexec_b32 s25, s23
	s_cbranch_execnz .LBB1434_544
.LBB1434_476:                           ;   in Loop: Header=BB1434_388 Depth=2
	s_wait_alu 0xfffe
	s_or_b32 exec_lo, exec_lo, s25
	v_cmp_lt_u32_e64 s24, v56, v135
	s_and_saveexec_b32 s26, s24
	s_cbranch_execnz .LBB1434_545
.LBB1434_477:                           ;   in Loop: Header=BB1434_388 Depth=2
	s_wait_alu 0xfffe
	s_or_b32 exec_lo, exec_lo, s26
	v_cmp_lt_u32_e64 s25, v57, v135
	s_and_saveexec_b32 s27, s25
	s_cbranch_execnz .LBB1434_546
.LBB1434_478:                           ;   in Loop: Header=BB1434_388 Depth=2
	s_wait_alu 0xfffe
	s_or_b32 exec_lo, exec_lo, s27
	v_cmp_lt_u32_e64 s26, v58, v135
	s_and_saveexec_b32 s28, s26
	s_cbranch_execnz .LBB1434_547
.LBB1434_479:                           ;   in Loop: Header=BB1434_388 Depth=2
	s_wait_alu 0xfffe
	s_or_b32 exec_lo, exec_lo, s28
	v_cmp_lt_u32_e64 s27, v59, v135
	s_and_saveexec_b32 s29, s27
	s_cbranch_execnz .LBB1434_548
.LBB1434_480:                           ;   in Loop: Header=BB1434_388 Depth=2
	s_wait_alu 0xfffe
	s_or_b32 exec_lo, exec_lo, s29
	v_cmp_lt_u32_e64 s28, v60, v135
	s_and_saveexec_b32 s30, s28
	s_cbranch_execnz .LBB1434_549
.LBB1434_481:                           ;   in Loop: Header=BB1434_388 Depth=2
	s_wait_alu 0xfffe
	s_or_b32 exec_lo, exec_lo, s30
	v_cmp_lt_u32_e64 s29, v61, v135
	s_and_saveexec_b32 s56, s29
	s_cbranch_execz .LBB1434_483
.LBB1434_482:                           ;   in Loop: Header=BB1434_388 Depth=2
	ds_load_b32 v136, v70 offset:16384
	s_wait_dscnt 0x0
	v_cmp_ne_u32_e64 s30, 0x7fffffff, v136
	s_wait_alu 0xf1ff
	s_delay_alu instid0(VALU_DEP_1) | instskip(SKIP_1) | instid1(VALU_DEP_2)
	v_cndmask_b32_e64 v2, 0x80000000, v136, s30
	v_cmp_lt_i32_e64 s30, -1, v136
	v_lshrrev_b32_e32 v2, s31, v2
	s_wait_alu 0xf1ff
	s_delay_alu instid0(VALU_DEP_2) | instskip(NEXT) | instid1(VALU_DEP_2)
	v_cndmask_b32_e64 v143, 0x80000000, -1, s30
	v_and_b32_e32 v2, s48, v2
	s_delay_alu instid0(VALU_DEP_1) | instskip(SKIP_3) | instid1(VALU_DEP_1)
	v_lshlrev_b32_e32 v2, 2, v2
	ds_load_b32 v2, v2
	s_wait_dscnt 0x0
	v_add_nc_u32_e32 v2, v2, v61
	v_lshlrev_b64_e32 v[36:37], 2, v[2:3]
	v_xor_b32_e32 v2, v143, v136
	s_delay_alu instid0(VALU_DEP_2) | instskip(SKIP_1) | instid1(VALU_DEP_3)
	v_add_co_u32 v36, s30, s40, v36
	s_wait_alu 0xf1ff
	v_add_co_ci_u32_e64 v37, null, s41, v37, s30
	global_store_b32 v[36:37], v2, off
.LBB1434_483:                           ;   in Loop: Header=BB1434_388 Depth=2
	s_wait_alu 0xfffe
	s_or_b32 exec_lo, exec_lo, s56
	s_lshl_b64 s[56:57], s[42:43], 3
	s_wait_alu 0xfffe
	v_add_co_u32 v36, s30, v114, s56
	s_wait_alu 0xf1ff
	v_add_co_ci_u32_e64 v37, null, s57, v115, s30
	v_cmp_lt_u32_e64 s30, v88, v135
	s_and_saveexec_b32 s42, s30
	s_wait_alu 0xfffe
	s_xor_b32 s30, exec_lo, s42
	s_cbranch_execnz .LBB1434_550
; %bb.484:                              ;   in Loop: Header=BB1434_388 Depth=2
	s_wait_alu 0xfffe
	s_or_b32 exec_lo, exec_lo, s30
	s_delay_alu instid0(SALU_CYCLE_1)
	s_mov_b32 s42, exec_lo
	v_cmpx_lt_u32_e64 v92, v135
	s_cbranch_execnz .LBB1434_551
.LBB1434_485:                           ;   in Loop: Header=BB1434_388 Depth=2
	s_wait_alu 0xfffe
	s_or_b32 exec_lo, exec_lo, s42
	s_delay_alu instid0(SALU_CYCLE_1)
	s_mov_b32 s42, exec_lo
	v_cmpx_lt_u32_e64 v93, v135
	s_cbranch_execnz .LBB1434_552
.LBB1434_486:                           ;   in Loop: Header=BB1434_388 Depth=2
	s_wait_alu 0xfffe
	s_or_b32 exec_lo, exec_lo, s42
	s_delay_alu instid0(SALU_CYCLE_1)
	s_mov_b32 s42, exec_lo
	v_cmpx_lt_u32_e64 v94, v135
	s_cbranch_execnz .LBB1434_553
.LBB1434_487:                           ;   in Loop: Header=BB1434_388 Depth=2
	s_wait_alu 0xfffe
	s_or_b32 exec_lo, exec_lo, s42
	s_delay_alu instid0(SALU_CYCLE_1)
	s_mov_b32 s42, exec_lo
	v_cmpx_lt_u32_e64 v95, v135
	s_cbranch_execnz .LBB1434_554
.LBB1434_488:                           ;   in Loop: Header=BB1434_388 Depth=2
	s_wait_alu 0xfffe
	s_or_b32 exec_lo, exec_lo, s42
	s_delay_alu instid0(SALU_CYCLE_1)
	s_mov_b32 s42, exec_lo
	v_cmpx_lt_u32_e64 v96, v135
	s_cbranch_execnz .LBB1434_555
.LBB1434_489:                           ;   in Loop: Header=BB1434_388 Depth=2
	s_wait_alu 0xfffe
	s_or_b32 exec_lo, exec_lo, s42
	s_delay_alu instid0(SALU_CYCLE_1)
	s_mov_b32 s42, exec_lo
	v_cmpx_lt_u32_e64 v97, v135
	s_cbranch_execnz .LBB1434_556
.LBB1434_490:                           ;   in Loop: Header=BB1434_388 Depth=2
	s_wait_alu 0xfffe
	s_or_b32 exec_lo, exec_lo, s42
	s_delay_alu instid0(SALU_CYCLE_1)
	s_mov_b32 s42, exec_lo
	v_cmpx_lt_u32_e64 v98, v135
	s_cbranch_execnz .LBB1434_557
.LBB1434_491:                           ;   in Loop: Header=BB1434_388 Depth=2
	s_wait_alu 0xfffe
	s_or_b32 exec_lo, exec_lo, s42
	s_delay_alu instid0(SALU_CYCLE_1)
	s_mov_b32 s42, exec_lo
	v_cmpx_lt_u32_e64 v99, v135
	s_cbranch_execnz .LBB1434_558
.LBB1434_492:                           ;   in Loop: Header=BB1434_388 Depth=2
	s_wait_alu 0xfffe
	s_or_b32 exec_lo, exec_lo, s42
	s_delay_alu instid0(SALU_CYCLE_1)
	s_mov_b32 s42, exec_lo
	v_cmpx_lt_u32_e64 v100, v135
	s_cbranch_execnz .LBB1434_559
.LBB1434_493:                           ;   in Loop: Header=BB1434_388 Depth=2
	s_wait_alu 0xfffe
	s_or_b32 exec_lo, exec_lo, s42
	s_delay_alu instid0(SALU_CYCLE_1)
	s_mov_b32 s42, exec_lo
	v_cmpx_lt_u32_e64 v101, v135
	s_cbranch_execnz .LBB1434_560
.LBB1434_494:                           ;   in Loop: Header=BB1434_388 Depth=2
	s_wait_alu 0xfffe
	s_or_b32 exec_lo, exec_lo, s42
	s_delay_alu instid0(SALU_CYCLE_1)
	s_mov_b32 s42, exec_lo
	v_cmpx_lt_u32_e64 v102, v135
	s_cbranch_execnz .LBB1434_561
.LBB1434_495:                           ;   in Loop: Header=BB1434_388 Depth=2
	s_wait_alu 0xfffe
	s_or_b32 exec_lo, exec_lo, s42
	s_delay_alu instid0(SALU_CYCLE_1)
	s_mov_b32 s42, exec_lo
	v_cmpx_lt_u32_e64 v103, v135
	s_cbranch_execnz .LBB1434_562
.LBB1434_496:                           ;   in Loop: Header=BB1434_388 Depth=2
	s_wait_alu 0xfffe
	s_or_b32 exec_lo, exec_lo, s42
	s_delay_alu instid0(SALU_CYCLE_1)
	s_mov_b32 s42, exec_lo
	v_cmpx_lt_u32_e64 v104, v135
	s_cbranch_execnz .LBB1434_563
.LBB1434_497:                           ;   in Loop: Header=BB1434_388 Depth=2
	s_wait_alu 0xfffe
	s_or_b32 exec_lo, exec_lo, s42
	s_delay_alu instid0(SALU_CYCLE_1)
	s_mov_b32 s42, exec_lo
	v_cmpx_lt_u32_e64 v105, v135
	s_cbranch_execnz .LBB1434_564
.LBB1434_498:                           ;   in Loop: Header=BB1434_388 Depth=2
	s_wait_alu 0xfffe
	s_or_b32 exec_lo, exec_lo, s42
	s_delay_alu instid0(SALU_CYCLE_1)
	s_mov_b32 s42, exec_lo
	v_cmpx_lt_u32_e64 v106, v135
	s_cbranch_execnz .LBB1434_565
.LBB1434_499:                           ;   in Loop: Header=BB1434_388 Depth=2
	s_wait_alu 0xfffe
	s_or_b32 exec_lo, exec_lo, s42
	s_and_saveexec_b32 s42, vcc_lo
	s_cbranch_execnz .LBB1434_566
.LBB1434_500:                           ;   in Loop: Header=BB1434_388 Depth=2
	s_wait_alu 0xfffe
	s_or_b32 exec_lo, exec_lo, s42
	s_and_saveexec_b32 s42, s15
	s_cbranch_execnz .LBB1434_567
.LBB1434_501:                           ;   in Loop: Header=BB1434_388 Depth=2
	s_wait_alu 0xfffe
	s_or_b32 exec_lo, exec_lo, s42
	s_and_saveexec_b32 s42, s16
	s_cbranch_execnz .LBB1434_568
.LBB1434_502:                           ;   in Loop: Header=BB1434_388 Depth=2
	s_wait_alu 0xfffe
	s_or_b32 exec_lo, exec_lo, s42
	s_and_saveexec_b32 s42, s17
	s_cbranch_execnz .LBB1434_569
.LBB1434_503:                           ;   in Loop: Header=BB1434_388 Depth=2
	s_wait_alu 0xfffe
	s_or_b32 exec_lo, exec_lo, s42
	s_and_saveexec_b32 s42, s18
	s_cbranch_execnz .LBB1434_570
.LBB1434_504:                           ;   in Loop: Header=BB1434_388 Depth=2
	s_wait_alu 0xfffe
	s_or_b32 exec_lo, exec_lo, s42
	s_and_saveexec_b32 s42, s19
	s_cbranch_execnz .LBB1434_571
.LBB1434_505:                           ;   in Loop: Header=BB1434_388 Depth=2
	s_wait_alu 0xfffe
	s_or_b32 exec_lo, exec_lo, s42
	s_and_saveexec_b32 s42, s20
	s_cbranch_execnz .LBB1434_572
.LBB1434_506:                           ;   in Loop: Header=BB1434_388 Depth=2
	s_wait_alu 0xfffe
	s_or_b32 exec_lo, exec_lo, s42
	s_and_saveexec_b32 s42, s21
	s_cbranch_execnz .LBB1434_573
.LBB1434_507:                           ;   in Loop: Header=BB1434_388 Depth=2
	s_wait_alu 0xfffe
	s_or_b32 exec_lo, exec_lo, s42
	s_and_saveexec_b32 s42, s22
	s_cbranch_execnz .LBB1434_574
.LBB1434_508:                           ;   in Loop: Header=BB1434_388 Depth=2
	s_wait_alu 0xfffe
	s_or_b32 exec_lo, exec_lo, s42
	s_and_saveexec_b32 s42, s23
	s_cbranch_execnz .LBB1434_575
.LBB1434_509:                           ;   in Loop: Header=BB1434_388 Depth=2
	s_wait_alu 0xfffe
	s_or_b32 exec_lo, exec_lo, s42
	s_and_saveexec_b32 s42, s24
	s_cbranch_execnz .LBB1434_576
.LBB1434_510:                           ;   in Loop: Header=BB1434_388 Depth=2
	s_wait_alu 0xfffe
	s_or_b32 exec_lo, exec_lo, s42
	s_and_saveexec_b32 s42, s25
	s_cbranch_execnz .LBB1434_577
.LBB1434_511:                           ;   in Loop: Header=BB1434_388 Depth=2
	s_wait_alu 0xfffe
	s_or_b32 exec_lo, exec_lo, s42
	s_and_saveexec_b32 s42, s26
	s_cbranch_execnz .LBB1434_578
.LBB1434_512:                           ;   in Loop: Header=BB1434_388 Depth=2
	s_wait_alu 0xfffe
	s_or_b32 exec_lo, exec_lo, s42
	s_and_saveexec_b32 s42, s27
	s_cbranch_execnz .LBB1434_579
.LBB1434_513:                           ;   in Loop: Header=BB1434_388 Depth=2
	s_wait_alu 0xfffe
	s_or_b32 exec_lo, exec_lo, s42
	s_and_saveexec_b32 s42, s28
	s_cbranch_execnz .LBB1434_580
.LBB1434_514:                           ;   in Loop: Header=BB1434_388 Depth=2
	s_wait_alu 0xfffe
	s_or_b32 exec_lo, exec_lo, s42
	s_and_saveexec_b32 s42, s29
	s_cbranch_execz .LBB1434_516
.LBB1434_515:                           ;   in Loop: Header=BB1434_388 Depth=2
	ds_load_b32 v2, v70 offset:16384
	s_wait_dscnt 0x0
	v_cmp_ne_u32_e64 s30, 0x7fffffff, v2
	s_wait_alu 0xf1ff
	s_delay_alu instid0(VALU_DEP_1) | instskip(NEXT) | instid1(VALU_DEP_1)
	v_cndmask_b32_e64 v2, 0x80000000, v2, s30
	v_lshrrev_b32_e32 v2, s31, v2
	s_delay_alu instid0(VALU_DEP_1)
	v_and_b32_e32 v119, s48, v2
.LBB1434_516:                           ;   in Loop: Header=BB1434_388 Depth=2
	s_wait_alu 0xfffe
	s_or_b32 exec_lo, exec_lo, s42
	v_lshlrev_b32_e32 v2, 3, v154
	s_wait_loadcnt 0x0
	s_wait_storecnt 0x0
	s_barrier_signal -1
	s_barrier_wait -1
	global_inv scope:SCOPE_SE
	ds_store_b64 v2, v[34:35] offset:1024
	v_lshlrev_b32_e32 v2, 3, v150
	v_lshlrev_b32_e32 v36, 3, v146
	v_lshlrev_b32_e32 v37, 3, v145
	v_lshlrev_b32_e32 v135, 3, v144
	v_lshlrev_b32_e32 v136, 3, v142
	ds_store_b64 v2, v[32:33] offset:1024
	ds_store_b64 v36, v[30:31] offset:1024
	ds_store_b64 v37, v[28:29] offset:1024
	ds_store_b64 v135, v[26:27] offset:1024
	ds_store_b64 v136, v[24:25] offset:1024
	v_lshlrev_b32_e32 v2, 3, v141
	v_lshlrev_b32_e32 v36, 3, v140
	v_lshlrev_b32_e32 v37, 3, v139
	v_lshlrev_b32_e32 v135, 3, v138
	v_lshlrev_b32_e32 v136, 3, v137
	ds_store_b64 v2, v[22:23] offset:1024
	ds_store_b64 v36, v[20:21] offset:1024
	ds_store_b64 v37, v[18:19] offset:1024
	ds_store_b64 v135, v[16:17] offset:1024
	;; [unrolled: 10-line block ×3, first 2 shown]
	ds_store_b64 v40, v[4:5] offset:1024
	s_wait_loadcnt_dscnt 0x0
	s_barrier_signal -1
	s_barrier_wait -1
	global_inv scope:SCOPE_SE
	s_and_saveexec_b32 s30, vcc_lo
	s_cbranch_execnz .LBB1434_581
; %bb.517:                              ;   in Loop: Header=BB1434_388 Depth=2
	s_wait_alu 0xfffe
	s_or_b32 exec_lo, exec_lo, s30
	s_and_saveexec_b32 s30, s15
	s_cbranch_execnz .LBB1434_582
.LBB1434_518:                           ;   in Loop: Header=BB1434_388 Depth=2
	s_wait_alu 0xfffe
	s_or_b32 exec_lo, exec_lo, s30
	s_and_saveexec_b32 s15, s16
	s_cbranch_execnz .LBB1434_583
.LBB1434_519:                           ;   in Loop: Header=BB1434_388 Depth=2
	s_wait_alu 0xfffe
	s_or_b32 exec_lo, exec_lo, s15
	s_and_saveexec_b32 s15, s17
	s_cbranch_execnz .LBB1434_584
.LBB1434_520:                           ;   in Loop: Header=BB1434_388 Depth=2
	s_wait_alu 0xfffe
	s_or_b32 exec_lo, exec_lo, s15
	s_and_saveexec_b32 s15, s18
	s_cbranch_execnz .LBB1434_585
.LBB1434_521:                           ;   in Loop: Header=BB1434_388 Depth=2
	s_wait_alu 0xfffe
	s_or_b32 exec_lo, exec_lo, s15
	s_and_saveexec_b32 s15, s19
	s_cbranch_execnz .LBB1434_586
.LBB1434_522:                           ;   in Loop: Header=BB1434_388 Depth=2
	s_wait_alu 0xfffe
	s_or_b32 exec_lo, exec_lo, s15
	s_and_saveexec_b32 s15, s20
	s_cbranch_execnz .LBB1434_587
.LBB1434_523:                           ;   in Loop: Header=BB1434_388 Depth=2
	s_wait_alu 0xfffe
	s_or_b32 exec_lo, exec_lo, s15
	s_and_saveexec_b32 s15, s21
	s_cbranch_execnz .LBB1434_588
.LBB1434_524:                           ;   in Loop: Header=BB1434_388 Depth=2
	s_wait_alu 0xfffe
	s_or_b32 exec_lo, exec_lo, s15
	s_and_saveexec_b32 s15, s22
	s_cbranch_execnz .LBB1434_589
.LBB1434_525:                           ;   in Loop: Header=BB1434_388 Depth=2
	s_wait_alu 0xfffe
	s_or_b32 exec_lo, exec_lo, s15
	s_and_saveexec_b32 s15, s23
	s_cbranch_execnz .LBB1434_590
.LBB1434_526:                           ;   in Loop: Header=BB1434_388 Depth=2
	s_wait_alu 0xfffe
	s_or_b32 exec_lo, exec_lo, s15
	s_and_saveexec_b32 s15, s24
	s_cbranch_execnz .LBB1434_591
.LBB1434_527:                           ;   in Loop: Header=BB1434_388 Depth=2
	s_wait_alu 0xfffe
	s_or_b32 exec_lo, exec_lo, s15
	s_and_saveexec_b32 s15, s25
	s_cbranch_execnz .LBB1434_592
.LBB1434_528:                           ;   in Loop: Header=BB1434_388 Depth=2
	s_wait_alu 0xfffe
	s_or_b32 exec_lo, exec_lo, s15
	s_and_saveexec_b32 s15, s26
	s_cbranch_execnz .LBB1434_593
.LBB1434_529:                           ;   in Loop: Header=BB1434_388 Depth=2
	s_wait_alu 0xfffe
	s_or_b32 exec_lo, exec_lo, s15
	s_and_saveexec_b32 s15, s27
	s_cbranch_execnz .LBB1434_594
.LBB1434_530:                           ;   in Loop: Header=BB1434_388 Depth=2
	s_wait_alu 0xfffe
	s_or_b32 exec_lo, exec_lo, s15
	s_and_saveexec_b32 s15, s28
	s_cbranch_execnz .LBB1434_595
.LBB1434_531:                           ;   in Loop: Header=BB1434_388 Depth=2
	s_wait_alu 0xfffe
	s_or_b32 exec_lo, exec_lo, s15
	s_and_saveexec_b32 s15, s29
	s_cbranch_execz .LBB1434_533
.LBB1434_532:                           ;   in Loop: Header=BB1434_388 Depth=2
	v_lshlrev_b32_e32 v2, 2, v119
	v_add_nc_u32_e32 v36, v70, v44
	ds_load_b32 v2, v2
	ds_load_b64 v[36:37], v36 offset:31744
	s_wait_dscnt 0x1
	v_add_nc_u32_e32 v2, v2, v61
	s_delay_alu instid0(VALU_DEP_1) | instskip(NEXT) | instid1(VALU_DEP_1)
	v_lshlrev_b64_e32 v[39:40], 3, v[2:3]
	v_add_co_u32 v39, vcc_lo, s46, v39
	s_wait_alu 0xfffd
	s_delay_alu instid0(VALU_DEP_2)
	v_add_co_ci_u32_e64 v40, null, s47, v40, vcc_lo
	s_wait_dscnt 0x0
	global_store_b64 v[39:40], v[36:37], off
.LBB1434_533:                           ;   in Loop: Header=BB1434_388 Depth=2
	s_wait_alu 0xfffe
	s_or_b32 exec_lo, exec_lo, s15
	s_wait_loadcnt 0x0
	s_wait_storecnt 0x0
	s_barrier_signal -1
	s_barrier_wait -1
	global_inv scope:SCOPE_SE
	s_and_saveexec_b32 s15, s2
	s_cbranch_execz .LBB1434_387
; %bb.534:                              ;   in Loop: Header=BB1434_388 Depth=2
	ds_load_b32 v2, v44
	s_wait_dscnt 0x0
	v_add_nc_u32_e32 v2, v2, v38
	ds_store_b32 v44, v2
	s_branch .LBB1434_387
.LBB1434_535:                           ;   in Loop: Header=BB1434_388 Depth=2
	ds_load_b32 v136, v70 offset:1024
	s_wait_dscnt 0x0
	v_cmp_ne_u32_e64 s15, 0x7fffffff, v136
	s_wait_alu 0xf1ff
	s_delay_alu instid0(VALU_DEP_1) | instskip(SKIP_1) | instid1(VALU_DEP_2)
	v_cndmask_b32_e64 v2, 0x80000000, v136, s15
	v_cmp_lt_i32_e64 s15, -1, v136
	v_lshrrev_b32_e32 v2, s31, v2
	s_wait_alu 0xf1ff
	s_delay_alu instid0(VALU_DEP_2) | instskip(NEXT) | instid1(VALU_DEP_2)
	v_cndmask_b32_e64 v143, 0x80000000, -1, s15
	v_and_b32_e32 v2, s48, v2
	s_delay_alu instid0(VALU_DEP_1) | instskip(SKIP_3) | instid1(VALU_DEP_1)
	v_lshlrev_b32_e32 v2, 2, v2
	ds_load_b32 v2, v2
	s_wait_dscnt 0x0
	v_add_nc_u32_e32 v2, v2, v1
	v_lshlrev_b64_e32 v[36:37], 2, v[2:3]
	v_xor_b32_e32 v2, v143, v136
	s_delay_alu instid0(VALU_DEP_2) | instskip(SKIP_1) | instid1(VALU_DEP_3)
	v_add_co_u32 v36, s15, s40, v36
	s_wait_alu 0xf1ff
	v_add_co_ci_u32_e64 v37, null, s41, v37, s15
	global_store_b32 v[36:37], v2, off
	s_wait_alu 0xfffe
	s_or_b32 exec_lo, exec_lo, s16
	v_cmp_lt_u32_e64 s15, v45, v135
	s_and_saveexec_b32 s17, s15
	s_cbranch_execz .LBB1434_468
.LBB1434_536:                           ;   in Loop: Header=BB1434_388 Depth=2
	ds_load_b32 v136, v70 offset:2048
	s_wait_dscnt 0x0
	v_cmp_ne_u32_e64 s16, 0x7fffffff, v136
	s_wait_alu 0xf1ff
	s_delay_alu instid0(VALU_DEP_1) | instskip(SKIP_1) | instid1(VALU_DEP_2)
	v_cndmask_b32_e64 v2, 0x80000000, v136, s16
	v_cmp_lt_i32_e64 s16, -1, v136
	v_lshrrev_b32_e32 v2, s31, v2
	s_wait_alu 0xf1ff
	s_delay_alu instid0(VALU_DEP_2) | instskip(NEXT) | instid1(VALU_DEP_2)
	v_cndmask_b32_e64 v143, 0x80000000, -1, s16
	v_and_b32_e32 v2, s48, v2
	s_delay_alu instid0(VALU_DEP_1) | instskip(SKIP_3) | instid1(VALU_DEP_1)
	v_lshlrev_b32_e32 v2, 2, v2
	ds_load_b32 v2, v2
	s_wait_dscnt 0x0
	v_add_nc_u32_e32 v2, v2, v45
	v_lshlrev_b64_e32 v[36:37], 2, v[2:3]
	v_xor_b32_e32 v2, v143, v136
	s_delay_alu instid0(VALU_DEP_2) | instskip(SKIP_1) | instid1(VALU_DEP_3)
	v_add_co_u32 v36, s16, s40, v36
	s_wait_alu 0xf1ff
	v_add_co_ci_u32_e64 v37, null, s41, v37, s16
	global_store_b32 v[36:37], v2, off
	s_wait_alu 0xfffe
	s_or_b32 exec_lo, exec_lo, s17
	v_cmp_lt_u32_e64 s16, v46, v135
	s_and_saveexec_b32 s18, s16
	s_cbranch_execz .LBB1434_469
.LBB1434_537:                           ;   in Loop: Header=BB1434_388 Depth=2
	ds_load_b32 v136, v70 offset:3072
	s_wait_dscnt 0x0
	v_cmp_ne_u32_e64 s17, 0x7fffffff, v136
	s_wait_alu 0xf1ff
	s_delay_alu instid0(VALU_DEP_1) | instskip(SKIP_1) | instid1(VALU_DEP_2)
	v_cndmask_b32_e64 v2, 0x80000000, v136, s17
	v_cmp_lt_i32_e64 s17, -1, v136
	v_lshrrev_b32_e32 v2, s31, v2
	s_wait_alu 0xf1ff
	s_delay_alu instid0(VALU_DEP_2) | instskip(NEXT) | instid1(VALU_DEP_2)
	v_cndmask_b32_e64 v143, 0x80000000, -1, s17
	v_and_b32_e32 v2, s48, v2
	s_delay_alu instid0(VALU_DEP_1) | instskip(SKIP_3) | instid1(VALU_DEP_1)
	v_lshlrev_b32_e32 v2, 2, v2
	ds_load_b32 v2, v2
	s_wait_dscnt 0x0
	v_add_nc_u32_e32 v2, v2, v46
	v_lshlrev_b64_e32 v[36:37], 2, v[2:3]
	v_xor_b32_e32 v2, v143, v136
	s_delay_alu instid0(VALU_DEP_2) | instskip(SKIP_1) | instid1(VALU_DEP_3)
	v_add_co_u32 v36, s17, s40, v36
	s_wait_alu 0xf1ff
	v_add_co_ci_u32_e64 v37, null, s41, v37, s17
	global_store_b32 v[36:37], v2, off
	s_wait_alu 0xfffe
	s_or_b32 exec_lo, exec_lo, s18
	v_cmp_lt_u32_e64 s17, v47, v135
	s_and_saveexec_b32 s19, s17
	s_cbranch_execz .LBB1434_470
.LBB1434_538:                           ;   in Loop: Header=BB1434_388 Depth=2
	ds_load_b32 v136, v70 offset:4096
	s_wait_dscnt 0x0
	v_cmp_ne_u32_e64 s18, 0x7fffffff, v136
	s_wait_alu 0xf1ff
	s_delay_alu instid0(VALU_DEP_1) | instskip(SKIP_1) | instid1(VALU_DEP_2)
	v_cndmask_b32_e64 v2, 0x80000000, v136, s18
	v_cmp_lt_i32_e64 s18, -1, v136
	v_lshrrev_b32_e32 v2, s31, v2
	s_wait_alu 0xf1ff
	s_delay_alu instid0(VALU_DEP_2) | instskip(NEXT) | instid1(VALU_DEP_2)
	v_cndmask_b32_e64 v143, 0x80000000, -1, s18
	v_and_b32_e32 v2, s48, v2
	s_delay_alu instid0(VALU_DEP_1) | instskip(SKIP_3) | instid1(VALU_DEP_1)
	v_lshlrev_b32_e32 v2, 2, v2
	ds_load_b32 v2, v2
	s_wait_dscnt 0x0
	v_add_nc_u32_e32 v2, v2, v47
	v_lshlrev_b64_e32 v[36:37], 2, v[2:3]
	v_xor_b32_e32 v2, v143, v136
	s_delay_alu instid0(VALU_DEP_2) | instskip(SKIP_1) | instid1(VALU_DEP_3)
	v_add_co_u32 v36, s18, s40, v36
	s_wait_alu 0xf1ff
	v_add_co_ci_u32_e64 v37, null, s41, v37, s18
	global_store_b32 v[36:37], v2, off
	s_wait_alu 0xfffe
	s_or_b32 exec_lo, exec_lo, s19
	v_cmp_lt_u32_e64 s18, v50, v135
	s_and_saveexec_b32 s20, s18
	s_cbranch_execz .LBB1434_471
.LBB1434_539:                           ;   in Loop: Header=BB1434_388 Depth=2
	ds_load_b32 v136, v70 offset:5120
	s_wait_dscnt 0x0
	v_cmp_ne_u32_e64 s19, 0x7fffffff, v136
	s_wait_alu 0xf1ff
	s_delay_alu instid0(VALU_DEP_1) | instskip(SKIP_1) | instid1(VALU_DEP_2)
	v_cndmask_b32_e64 v2, 0x80000000, v136, s19
	v_cmp_lt_i32_e64 s19, -1, v136
	v_lshrrev_b32_e32 v2, s31, v2
	s_wait_alu 0xf1ff
	s_delay_alu instid0(VALU_DEP_2) | instskip(NEXT) | instid1(VALU_DEP_2)
	v_cndmask_b32_e64 v143, 0x80000000, -1, s19
	v_and_b32_e32 v2, s48, v2
	s_delay_alu instid0(VALU_DEP_1) | instskip(SKIP_3) | instid1(VALU_DEP_1)
	v_lshlrev_b32_e32 v2, 2, v2
	ds_load_b32 v2, v2
	s_wait_dscnt 0x0
	v_add_nc_u32_e32 v2, v2, v50
	v_lshlrev_b64_e32 v[36:37], 2, v[2:3]
	v_xor_b32_e32 v2, v143, v136
	s_delay_alu instid0(VALU_DEP_2) | instskip(SKIP_1) | instid1(VALU_DEP_3)
	v_add_co_u32 v36, s19, s40, v36
	s_wait_alu 0xf1ff
	v_add_co_ci_u32_e64 v37, null, s41, v37, s19
	global_store_b32 v[36:37], v2, off
	s_wait_alu 0xfffe
	s_or_b32 exec_lo, exec_lo, s20
	v_cmp_lt_u32_e64 s19, v51, v135
	s_and_saveexec_b32 s21, s19
	s_cbranch_execz .LBB1434_472
.LBB1434_540:                           ;   in Loop: Header=BB1434_388 Depth=2
	ds_load_b32 v136, v70 offset:6144
	s_wait_dscnt 0x0
	v_cmp_ne_u32_e64 s20, 0x7fffffff, v136
	s_wait_alu 0xf1ff
	s_delay_alu instid0(VALU_DEP_1) | instskip(SKIP_1) | instid1(VALU_DEP_2)
	v_cndmask_b32_e64 v2, 0x80000000, v136, s20
	v_cmp_lt_i32_e64 s20, -1, v136
	v_lshrrev_b32_e32 v2, s31, v2
	s_wait_alu 0xf1ff
	s_delay_alu instid0(VALU_DEP_2) | instskip(NEXT) | instid1(VALU_DEP_2)
	v_cndmask_b32_e64 v143, 0x80000000, -1, s20
	v_and_b32_e32 v2, s48, v2
	s_delay_alu instid0(VALU_DEP_1) | instskip(SKIP_3) | instid1(VALU_DEP_1)
	v_lshlrev_b32_e32 v2, 2, v2
	ds_load_b32 v2, v2
	s_wait_dscnt 0x0
	v_add_nc_u32_e32 v2, v2, v51
	v_lshlrev_b64_e32 v[36:37], 2, v[2:3]
	v_xor_b32_e32 v2, v143, v136
	s_delay_alu instid0(VALU_DEP_2) | instskip(SKIP_1) | instid1(VALU_DEP_3)
	v_add_co_u32 v36, s20, s40, v36
	s_wait_alu 0xf1ff
	v_add_co_ci_u32_e64 v37, null, s41, v37, s20
	global_store_b32 v[36:37], v2, off
	s_wait_alu 0xfffe
	s_or_b32 exec_lo, exec_lo, s21
	v_cmp_lt_u32_e64 s20, v52, v135
	s_and_saveexec_b32 s22, s20
	s_cbranch_execz .LBB1434_473
.LBB1434_541:                           ;   in Loop: Header=BB1434_388 Depth=2
	ds_load_b32 v136, v70 offset:7168
	s_wait_dscnt 0x0
	v_cmp_ne_u32_e64 s21, 0x7fffffff, v136
	s_wait_alu 0xf1ff
	s_delay_alu instid0(VALU_DEP_1) | instskip(SKIP_1) | instid1(VALU_DEP_2)
	v_cndmask_b32_e64 v2, 0x80000000, v136, s21
	v_cmp_lt_i32_e64 s21, -1, v136
	v_lshrrev_b32_e32 v2, s31, v2
	s_wait_alu 0xf1ff
	s_delay_alu instid0(VALU_DEP_2) | instskip(NEXT) | instid1(VALU_DEP_2)
	v_cndmask_b32_e64 v143, 0x80000000, -1, s21
	v_and_b32_e32 v2, s48, v2
	s_delay_alu instid0(VALU_DEP_1) | instskip(SKIP_3) | instid1(VALU_DEP_1)
	v_lshlrev_b32_e32 v2, 2, v2
	ds_load_b32 v2, v2
	s_wait_dscnt 0x0
	v_add_nc_u32_e32 v2, v2, v52
	v_lshlrev_b64_e32 v[36:37], 2, v[2:3]
	v_xor_b32_e32 v2, v143, v136
	s_delay_alu instid0(VALU_DEP_2) | instskip(SKIP_1) | instid1(VALU_DEP_3)
	v_add_co_u32 v36, s21, s40, v36
	s_wait_alu 0xf1ff
	v_add_co_ci_u32_e64 v37, null, s41, v37, s21
	global_store_b32 v[36:37], v2, off
	s_wait_alu 0xfffe
	s_or_b32 exec_lo, exec_lo, s22
	v_cmp_lt_u32_e64 s21, v53, v135
	s_and_saveexec_b32 s23, s21
	s_cbranch_execz .LBB1434_474
.LBB1434_542:                           ;   in Loop: Header=BB1434_388 Depth=2
	ds_load_b32 v136, v70 offset:8192
	s_wait_dscnt 0x0
	v_cmp_ne_u32_e64 s22, 0x7fffffff, v136
	s_wait_alu 0xf1ff
	s_delay_alu instid0(VALU_DEP_1) | instskip(SKIP_1) | instid1(VALU_DEP_2)
	v_cndmask_b32_e64 v2, 0x80000000, v136, s22
	v_cmp_lt_i32_e64 s22, -1, v136
	v_lshrrev_b32_e32 v2, s31, v2
	s_wait_alu 0xf1ff
	s_delay_alu instid0(VALU_DEP_2) | instskip(NEXT) | instid1(VALU_DEP_2)
	v_cndmask_b32_e64 v143, 0x80000000, -1, s22
	v_and_b32_e32 v2, s48, v2
	s_delay_alu instid0(VALU_DEP_1) | instskip(SKIP_3) | instid1(VALU_DEP_1)
	v_lshlrev_b32_e32 v2, 2, v2
	ds_load_b32 v2, v2
	s_wait_dscnt 0x0
	v_add_nc_u32_e32 v2, v2, v53
	v_lshlrev_b64_e32 v[36:37], 2, v[2:3]
	v_xor_b32_e32 v2, v143, v136
	s_delay_alu instid0(VALU_DEP_2) | instskip(SKIP_1) | instid1(VALU_DEP_3)
	v_add_co_u32 v36, s22, s40, v36
	s_wait_alu 0xf1ff
	v_add_co_ci_u32_e64 v37, null, s41, v37, s22
	global_store_b32 v[36:37], v2, off
	s_wait_alu 0xfffe
	s_or_b32 exec_lo, exec_lo, s23
	v_cmp_lt_u32_e64 s22, v54, v135
	s_and_saveexec_b32 s24, s22
	s_cbranch_execz .LBB1434_475
.LBB1434_543:                           ;   in Loop: Header=BB1434_388 Depth=2
	ds_load_b32 v136, v70 offset:9216
	s_wait_dscnt 0x0
	v_cmp_ne_u32_e64 s23, 0x7fffffff, v136
	s_wait_alu 0xf1ff
	s_delay_alu instid0(VALU_DEP_1) | instskip(SKIP_1) | instid1(VALU_DEP_2)
	v_cndmask_b32_e64 v2, 0x80000000, v136, s23
	v_cmp_lt_i32_e64 s23, -1, v136
	v_lshrrev_b32_e32 v2, s31, v2
	s_wait_alu 0xf1ff
	s_delay_alu instid0(VALU_DEP_2) | instskip(NEXT) | instid1(VALU_DEP_2)
	v_cndmask_b32_e64 v143, 0x80000000, -1, s23
	v_and_b32_e32 v2, s48, v2
	s_delay_alu instid0(VALU_DEP_1) | instskip(SKIP_3) | instid1(VALU_DEP_1)
	v_lshlrev_b32_e32 v2, 2, v2
	ds_load_b32 v2, v2
	s_wait_dscnt 0x0
	v_add_nc_u32_e32 v2, v2, v54
	v_lshlrev_b64_e32 v[36:37], 2, v[2:3]
	v_xor_b32_e32 v2, v143, v136
	s_delay_alu instid0(VALU_DEP_2) | instskip(SKIP_1) | instid1(VALU_DEP_3)
	v_add_co_u32 v36, s23, s40, v36
	s_wait_alu 0xf1ff
	v_add_co_ci_u32_e64 v37, null, s41, v37, s23
	global_store_b32 v[36:37], v2, off
	s_wait_alu 0xfffe
	s_or_b32 exec_lo, exec_lo, s24
	v_cmp_lt_u32_e64 s23, v55, v135
	s_and_saveexec_b32 s25, s23
	s_cbranch_execz .LBB1434_476
.LBB1434_544:                           ;   in Loop: Header=BB1434_388 Depth=2
	ds_load_b32 v136, v70 offset:10240
	s_wait_dscnt 0x0
	v_cmp_ne_u32_e64 s24, 0x7fffffff, v136
	s_wait_alu 0xf1ff
	s_delay_alu instid0(VALU_DEP_1) | instskip(SKIP_1) | instid1(VALU_DEP_2)
	v_cndmask_b32_e64 v2, 0x80000000, v136, s24
	v_cmp_lt_i32_e64 s24, -1, v136
	v_lshrrev_b32_e32 v2, s31, v2
	s_wait_alu 0xf1ff
	s_delay_alu instid0(VALU_DEP_2) | instskip(NEXT) | instid1(VALU_DEP_2)
	v_cndmask_b32_e64 v143, 0x80000000, -1, s24
	v_and_b32_e32 v2, s48, v2
	s_delay_alu instid0(VALU_DEP_1) | instskip(SKIP_3) | instid1(VALU_DEP_1)
	v_lshlrev_b32_e32 v2, 2, v2
	ds_load_b32 v2, v2
	s_wait_dscnt 0x0
	v_add_nc_u32_e32 v2, v2, v55
	v_lshlrev_b64_e32 v[36:37], 2, v[2:3]
	v_xor_b32_e32 v2, v143, v136
	s_delay_alu instid0(VALU_DEP_2) | instskip(SKIP_1) | instid1(VALU_DEP_3)
	v_add_co_u32 v36, s24, s40, v36
	s_wait_alu 0xf1ff
	v_add_co_ci_u32_e64 v37, null, s41, v37, s24
	global_store_b32 v[36:37], v2, off
	s_wait_alu 0xfffe
	s_or_b32 exec_lo, exec_lo, s25
	v_cmp_lt_u32_e64 s24, v56, v135
	s_and_saveexec_b32 s26, s24
	s_cbranch_execz .LBB1434_477
.LBB1434_545:                           ;   in Loop: Header=BB1434_388 Depth=2
	ds_load_b32 v136, v70 offset:11264
	s_wait_dscnt 0x0
	v_cmp_ne_u32_e64 s25, 0x7fffffff, v136
	s_wait_alu 0xf1ff
	s_delay_alu instid0(VALU_DEP_1) | instskip(SKIP_1) | instid1(VALU_DEP_2)
	v_cndmask_b32_e64 v2, 0x80000000, v136, s25
	v_cmp_lt_i32_e64 s25, -1, v136
	v_lshrrev_b32_e32 v2, s31, v2
	s_wait_alu 0xf1ff
	s_delay_alu instid0(VALU_DEP_2) | instskip(NEXT) | instid1(VALU_DEP_2)
	v_cndmask_b32_e64 v143, 0x80000000, -1, s25
	v_and_b32_e32 v2, s48, v2
	s_delay_alu instid0(VALU_DEP_1) | instskip(SKIP_3) | instid1(VALU_DEP_1)
	v_lshlrev_b32_e32 v2, 2, v2
	ds_load_b32 v2, v2
	s_wait_dscnt 0x0
	v_add_nc_u32_e32 v2, v2, v56
	v_lshlrev_b64_e32 v[36:37], 2, v[2:3]
	v_xor_b32_e32 v2, v143, v136
	s_delay_alu instid0(VALU_DEP_2) | instskip(SKIP_1) | instid1(VALU_DEP_3)
	v_add_co_u32 v36, s25, s40, v36
	s_wait_alu 0xf1ff
	v_add_co_ci_u32_e64 v37, null, s41, v37, s25
	global_store_b32 v[36:37], v2, off
	s_wait_alu 0xfffe
	s_or_b32 exec_lo, exec_lo, s26
	v_cmp_lt_u32_e64 s25, v57, v135
	s_and_saveexec_b32 s27, s25
	s_cbranch_execz .LBB1434_478
.LBB1434_546:                           ;   in Loop: Header=BB1434_388 Depth=2
	ds_load_b32 v136, v70 offset:12288
	s_wait_dscnt 0x0
	v_cmp_ne_u32_e64 s26, 0x7fffffff, v136
	s_wait_alu 0xf1ff
	s_delay_alu instid0(VALU_DEP_1) | instskip(SKIP_1) | instid1(VALU_DEP_2)
	v_cndmask_b32_e64 v2, 0x80000000, v136, s26
	v_cmp_lt_i32_e64 s26, -1, v136
	v_lshrrev_b32_e32 v2, s31, v2
	s_wait_alu 0xf1ff
	s_delay_alu instid0(VALU_DEP_2) | instskip(NEXT) | instid1(VALU_DEP_2)
	v_cndmask_b32_e64 v143, 0x80000000, -1, s26
	v_and_b32_e32 v2, s48, v2
	s_delay_alu instid0(VALU_DEP_1) | instskip(SKIP_3) | instid1(VALU_DEP_1)
	v_lshlrev_b32_e32 v2, 2, v2
	ds_load_b32 v2, v2
	s_wait_dscnt 0x0
	v_add_nc_u32_e32 v2, v2, v57
	v_lshlrev_b64_e32 v[36:37], 2, v[2:3]
	v_xor_b32_e32 v2, v143, v136
	s_delay_alu instid0(VALU_DEP_2) | instskip(SKIP_1) | instid1(VALU_DEP_3)
	v_add_co_u32 v36, s26, s40, v36
	s_wait_alu 0xf1ff
	v_add_co_ci_u32_e64 v37, null, s41, v37, s26
	global_store_b32 v[36:37], v2, off
	s_wait_alu 0xfffe
	s_or_b32 exec_lo, exec_lo, s27
	v_cmp_lt_u32_e64 s26, v58, v135
	s_and_saveexec_b32 s28, s26
	s_cbranch_execz .LBB1434_479
.LBB1434_547:                           ;   in Loop: Header=BB1434_388 Depth=2
	ds_load_b32 v136, v70 offset:13312
	s_wait_dscnt 0x0
	v_cmp_ne_u32_e64 s27, 0x7fffffff, v136
	s_wait_alu 0xf1ff
	s_delay_alu instid0(VALU_DEP_1) | instskip(SKIP_1) | instid1(VALU_DEP_2)
	v_cndmask_b32_e64 v2, 0x80000000, v136, s27
	v_cmp_lt_i32_e64 s27, -1, v136
	v_lshrrev_b32_e32 v2, s31, v2
	s_wait_alu 0xf1ff
	s_delay_alu instid0(VALU_DEP_2) | instskip(NEXT) | instid1(VALU_DEP_2)
	v_cndmask_b32_e64 v143, 0x80000000, -1, s27
	v_and_b32_e32 v2, s48, v2
	s_delay_alu instid0(VALU_DEP_1) | instskip(SKIP_3) | instid1(VALU_DEP_1)
	v_lshlrev_b32_e32 v2, 2, v2
	ds_load_b32 v2, v2
	s_wait_dscnt 0x0
	v_add_nc_u32_e32 v2, v2, v58
	v_lshlrev_b64_e32 v[36:37], 2, v[2:3]
	v_xor_b32_e32 v2, v143, v136
	s_delay_alu instid0(VALU_DEP_2) | instskip(SKIP_1) | instid1(VALU_DEP_3)
	v_add_co_u32 v36, s27, s40, v36
	s_wait_alu 0xf1ff
	v_add_co_ci_u32_e64 v37, null, s41, v37, s27
	global_store_b32 v[36:37], v2, off
	s_wait_alu 0xfffe
	s_or_b32 exec_lo, exec_lo, s28
	v_cmp_lt_u32_e64 s27, v59, v135
	s_and_saveexec_b32 s29, s27
	s_cbranch_execz .LBB1434_480
.LBB1434_548:                           ;   in Loop: Header=BB1434_388 Depth=2
	ds_load_b32 v136, v70 offset:14336
	s_wait_dscnt 0x0
	v_cmp_ne_u32_e64 s28, 0x7fffffff, v136
	s_wait_alu 0xf1ff
	s_delay_alu instid0(VALU_DEP_1) | instskip(SKIP_1) | instid1(VALU_DEP_2)
	v_cndmask_b32_e64 v2, 0x80000000, v136, s28
	v_cmp_lt_i32_e64 s28, -1, v136
	v_lshrrev_b32_e32 v2, s31, v2
	s_wait_alu 0xf1ff
	s_delay_alu instid0(VALU_DEP_2) | instskip(NEXT) | instid1(VALU_DEP_2)
	v_cndmask_b32_e64 v143, 0x80000000, -1, s28
	v_and_b32_e32 v2, s48, v2
	s_delay_alu instid0(VALU_DEP_1) | instskip(SKIP_3) | instid1(VALU_DEP_1)
	v_lshlrev_b32_e32 v2, 2, v2
	ds_load_b32 v2, v2
	s_wait_dscnt 0x0
	v_add_nc_u32_e32 v2, v2, v59
	v_lshlrev_b64_e32 v[36:37], 2, v[2:3]
	v_xor_b32_e32 v2, v143, v136
	s_delay_alu instid0(VALU_DEP_2) | instskip(SKIP_1) | instid1(VALU_DEP_3)
	v_add_co_u32 v36, s28, s40, v36
	s_wait_alu 0xf1ff
	v_add_co_ci_u32_e64 v37, null, s41, v37, s28
	global_store_b32 v[36:37], v2, off
	s_wait_alu 0xfffe
	s_or_b32 exec_lo, exec_lo, s29
	v_cmp_lt_u32_e64 s28, v60, v135
	s_and_saveexec_b32 s30, s28
	s_cbranch_execz .LBB1434_481
.LBB1434_549:                           ;   in Loop: Header=BB1434_388 Depth=2
	ds_load_b32 v136, v70 offset:15360
	s_wait_dscnt 0x0
	v_cmp_ne_u32_e64 s29, 0x7fffffff, v136
	s_wait_alu 0xf1ff
	s_delay_alu instid0(VALU_DEP_1) | instskip(SKIP_1) | instid1(VALU_DEP_2)
	v_cndmask_b32_e64 v2, 0x80000000, v136, s29
	v_cmp_lt_i32_e64 s29, -1, v136
	v_lshrrev_b32_e32 v2, s31, v2
	s_wait_alu 0xf1ff
	s_delay_alu instid0(VALU_DEP_2) | instskip(NEXT) | instid1(VALU_DEP_2)
	v_cndmask_b32_e64 v143, 0x80000000, -1, s29
	v_and_b32_e32 v2, s48, v2
	s_delay_alu instid0(VALU_DEP_1) | instskip(SKIP_3) | instid1(VALU_DEP_1)
	v_lshlrev_b32_e32 v2, 2, v2
	ds_load_b32 v2, v2
	s_wait_dscnt 0x0
	v_add_nc_u32_e32 v2, v2, v60
	v_lshlrev_b64_e32 v[36:37], 2, v[2:3]
	v_xor_b32_e32 v2, v143, v136
	s_delay_alu instid0(VALU_DEP_2) | instskip(SKIP_1) | instid1(VALU_DEP_3)
	v_add_co_u32 v36, s29, s40, v36
	s_wait_alu 0xf1ff
	v_add_co_ci_u32_e64 v37, null, s41, v37, s29
	global_store_b32 v[36:37], v2, off
	s_wait_alu 0xfffe
	s_or_b32 exec_lo, exec_lo, s30
	v_cmp_lt_u32_e64 s29, v61, v135
	s_and_saveexec_b32 s56, s29
	s_cbranch_execnz .LBB1434_482
	s_branch .LBB1434_483
.LBB1434_550:                           ;   in Loop: Header=BB1434_388 Depth=2
	global_load_b64 v[34:35], v[36:37], off
	s_wait_alu 0xfffe
	s_or_b32 exec_lo, exec_lo, s30
	s_delay_alu instid0(SALU_CYCLE_1)
	s_mov_b32 s42, exec_lo
	v_cmpx_lt_u32_e64 v92, v135
	s_cbranch_execz .LBB1434_485
.LBB1434_551:                           ;   in Loop: Header=BB1434_388 Depth=2
	global_load_b64 v[32:33], v[36:37], off offset:256
	s_wait_alu 0xfffe
	s_or_b32 exec_lo, exec_lo, s42
	s_delay_alu instid0(SALU_CYCLE_1)
	s_mov_b32 s42, exec_lo
	v_cmpx_lt_u32_e64 v93, v135
	s_cbranch_execz .LBB1434_486
.LBB1434_552:                           ;   in Loop: Header=BB1434_388 Depth=2
	global_load_b64 v[30:31], v[36:37], off offset:512
	s_wait_alu 0xfffe
	s_or_b32 exec_lo, exec_lo, s42
	s_delay_alu instid0(SALU_CYCLE_1)
	s_mov_b32 s42, exec_lo
	v_cmpx_lt_u32_e64 v94, v135
	s_cbranch_execz .LBB1434_487
.LBB1434_553:                           ;   in Loop: Header=BB1434_388 Depth=2
	global_load_b64 v[28:29], v[36:37], off offset:768
	s_wait_alu 0xfffe
	s_or_b32 exec_lo, exec_lo, s42
	s_delay_alu instid0(SALU_CYCLE_1)
	s_mov_b32 s42, exec_lo
	v_cmpx_lt_u32_e64 v95, v135
	s_cbranch_execz .LBB1434_488
.LBB1434_554:                           ;   in Loop: Header=BB1434_388 Depth=2
	global_load_b64 v[26:27], v[36:37], off offset:1024
	s_wait_alu 0xfffe
	s_or_b32 exec_lo, exec_lo, s42
	s_delay_alu instid0(SALU_CYCLE_1)
	s_mov_b32 s42, exec_lo
	v_cmpx_lt_u32_e64 v96, v135
	s_cbranch_execz .LBB1434_489
.LBB1434_555:                           ;   in Loop: Header=BB1434_388 Depth=2
	global_load_b64 v[24:25], v[36:37], off offset:1280
	s_wait_alu 0xfffe
	s_or_b32 exec_lo, exec_lo, s42
	s_delay_alu instid0(SALU_CYCLE_1)
	s_mov_b32 s42, exec_lo
	v_cmpx_lt_u32_e64 v97, v135
	s_cbranch_execz .LBB1434_490
.LBB1434_556:                           ;   in Loop: Header=BB1434_388 Depth=2
	global_load_b64 v[22:23], v[36:37], off offset:1536
	s_wait_alu 0xfffe
	s_or_b32 exec_lo, exec_lo, s42
	s_delay_alu instid0(SALU_CYCLE_1)
	s_mov_b32 s42, exec_lo
	v_cmpx_lt_u32_e64 v98, v135
	s_cbranch_execz .LBB1434_491
.LBB1434_557:                           ;   in Loop: Header=BB1434_388 Depth=2
	global_load_b64 v[20:21], v[36:37], off offset:1792
	s_wait_alu 0xfffe
	s_or_b32 exec_lo, exec_lo, s42
	s_delay_alu instid0(SALU_CYCLE_1)
	s_mov_b32 s42, exec_lo
	v_cmpx_lt_u32_e64 v99, v135
	s_cbranch_execz .LBB1434_492
.LBB1434_558:                           ;   in Loop: Header=BB1434_388 Depth=2
	global_load_b64 v[18:19], v[36:37], off offset:2048
	s_wait_alu 0xfffe
	s_or_b32 exec_lo, exec_lo, s42
	s_delay_alu instid0(SALU_CYCLE_1)
	s_mov_b32 s42, exec_lo
	v_cmpx_lt_u32_e64 v100, v135
	s_cbranch_execz .LBB1434_493
.LBB1434_559:                           ;   in Loop: Header=BB1434_388 Depth=2
	global_load_b64 v[16:17], v[36:37], off offset:2304
	s_wait_alu 0xfffe
	s_or_b32 exec_lo, exec_lo, s42
	s_delay_alu instid0(SALU_CYCLE_1)
	s_mov_b32 s42, exec_lo
	v_cmpx_lt_u32_e64 v101, v135
	s_cbranch_execz .LBB1434_494
.LBB1434_560:                           ;   in Loop: Header=BB1434_388 Depth=2
	global_load_b64 v[14:15], v[36:37], off offset:2560
	s_wait_alu 0xfffe
	s_or_b32 exec_lo, exec_lo, s42
	s_delay_alu instid0(SALU_CYCLE_1)
	s_mov_b32 s42, exec_lo
	v_cmpx_lt_u32_e64 v102, v135
	s_cbranch_execz .LBB1434_495
.LBB1434_561:                           ;   in Loop: Header=BB1434_388 Depth=2
	global_load_b64 v[12:13], v[36:37], off offset:2816
	s_wait_alu 0xfffe
	s_or_b32 exec_lo, exec_lo, s42
	s_delay_alu instid0(SALU_CYCLE_1)
	s_mov_b32 s42, exec_lo
	v_cmpx_lt_u32_e64 v103, v135
	s_cbranch_execz .LBB1434_496
.LBB1434_562:                           ;   in Loop: Header=BB1434_388 Depth=2
	global_load_b64 v[10:11], v[36:37], off offset:3072
	s_wait_alu 0xfffe
	s_or_b32 exec_lo, exec_lo, s42
	s_delay_alu instid0(SALU_CYCLE_1)
	s_mov_b32 s42, exec_lo
	v_cmpx_lt_u32_e64 v104, v135
	s_cbranch_execz .LBB1434_497
.LBB1434_563:                           ;   in Loop: Header=BB1434_388 Depth=2
	global_load_b64 v[8:9], v[36:37], off offset:3328
	s_wait_alu 0xfffe
	s_or_b32 exec_lo, exec_lo, s42
	s_delay_alu instid0(SALU_CYCLE_1)
	s_mov_b32 s42, exec_lo
	v_cmpx_lt_u32_e64 v105, v135
	s_cbranch_execz .LBB1434_498
.LBB1434_564:                           ;   in Loop: Header=BB1434_388 Depth=2
	global_load_b64 v[6:7], v[36:37], off offset:3584
	s_wait_alu 0xfffe
	s_or_b32 exec_lo, exec_lo, s42
	s_delay_alu instid0(SALU_CYCLE_1)
	s_mov_b32 s42, exec_lo
	v_cmpx_lt_u32_e64 v106, v135
	s_cbranch_execz .LBB1434_499
.LBB1434_565:                           ;   in Loop: Header=BB1434_388 Depth=2
	global_load_b64 v[4:5], v[36:37], off offset:3840
	s_wait_alu 0xfffe
	s_or_b32 exec_lo, exec_lo, s42
	s_and_saveexec_b32 s42, vcc_lo
	s_cbranch_execz .LBB1434_500
.LBB1434_566:                           ;   in Loop: Header=BB1434_388 Depth=2
	ds_load_b32 v2, v70 offset:1024
	s_wait_dscnt 0x0
	v_cmp_ne_u32_e64 s30, 0x7fffffff, v2
	s_wait_alu 0xf1ff
	s_delay_alu instid0(VALU_DEP_1) | instskip(NEXT) | instid1(VALU_DEP_1)
	v_cndmask_b32_e64 v2, 0x80000000, v2, s30
	v_lshrrev_b32_e32 v2, s31, v2
	s_delay_alu instid0(VALU_DEP_1)
	v_and_b32_e32 v134, s48, v2
	s_wait_alu 0xfffe
	s_or_b32 exec_lo, exec_lo, s42
	s_and_saveexec_b32 s42, s15
	s_cbranch_execz .LBB1434_501
.LBB1434_567:                           ;   in Loop: Header=BB1434_388 Depth=2
	ds_load_b32 v2, v70 offset:2048
	s_wait_dscnt 0x0
	v_cmp_ne_u32_e64 s30, 0x7fffffff, v2
	s_wait_alu 0xf1ff
	s_delay_alu instid0(VALU_DEP_1) | instskip(NEXT) | instid1(VALU_DEP_1)
	v_cndmask_b32_e64 v2, 0x80000000, v2, s30
	v_lshrrev_b32_e32 v2, s31, v2
	s_delay_alu instid0(VALU_DEP_1)
	v_and_b32_e32 v133, s48, v2
	s_wait_alu 0xfffe
	s_or_b32 exec_lo, exec_lo, s42
	s_and_saveexec_b32 s42, s16
	s_cbranch_execz .LBB1434_502
.LBB1434_568:                           ;   in Loop: Header=BB1434_388 Depth=2
	ds_load_b32 v2, v70 offset:3072
	s_wait_dscnt 0x0
	v_cmp_ne_u32_e64 s30, 0x7fffffff, v2
	s_wait_alu 0xf1ff
	s_delay_alu instid0(VALU_DEP_1) | instskip(NEXT) | instid1(VALU_DEP_1)
	v_cndmask_b32_e64 v2, 0x80000000, v2, s30
	v_lshrrev_b32_e32 v2, s31, v2
	s_delay_alu instid0(VALU_DEP_1)
	v_and_b32_e32 v132, s48, v2
	s_wait_alu 0xfffe
	s_or_b32 exec_lo, exec_lo, s42
	s_and_saveexec_b32 s42, s17
	s_cbranch_execz .LBB1434_503
.LBB1434_569:                           ;   in Loop: Header=BB1434_388 Depth=2
	ds_load_b32 v2, v70 offset:4096
	s_wait_dscnt 0x0
	v_cmp_ne_u32_e64 s30, 0x7fffffff, v2
	s_wait_alu 0xf1ff
	s_delay_alu instid0(VALU_DEP_1) | instskip(NEXT) | instid1(VALU_DEP_1)
	v_cndmask_b32_e64 v2, 0x80000000, v2, s30
	v_lshrrev_b32_e32 v2, s31, v2
	s_delay_alu instid0(VALU_DEP_1)
	v_and_b32_e32 v131, s48, v2
	s_wait_alu 0xfffe
	s_or_b32 exec_lo, exec_lo, s42
	s_and_saveexec_b32 s42, s18
	s_cbranch_execz .LBB1434_504
.LBB1434_570:                           ;   in Loop: Header=BB1434_388 Depth=2
	ds_load_b32 v2, v70 offset:5120
	s_wait_dscnt 0x0
	v_cmp_ne_u32_e64 s30, 0x7fffffff, v2
	s_wait_alu 0xf1ff
	s_delay_alu instid0(VALU_DEP_1) | instskip(NEXT) | instid1(VALU_DEP_1)
	v_cndmask_b32_e64 v2, 0x80000000, v2, s30
	v_lshrrev_b32_e32 v2, s31, v2
	s_delay_alu instid0(VALU_DEP_1)
	v_and_b32_e32 v130, s48, v2
	s_wait_alu 0xfffe
	s_or_b32 exec_lo, exec_lo, s42
	s_and_saveexec_b32 s42, s19
	s_cbranch_execz .LBB1434_505
.LBB1434_571:                           ;   in Loop: Header=BB1434_388 Depth=2
	ds_load_b32 v2, v70 offset:6144
	s_wait_dscnt 0x0
	v_cmp_ne_u32_e64 s30, 0x7fffffff, v2
	s_wait_alu 0xf1ff
	s_delay_alu instid0(VALU_DEP_1) | instskip(NEXT) | instid1(VALU_DEP_1)
	v_cndmask_b32_e64 v2, 0x80000000, v2, s30
	v_lshrrev_b32_e32 v2, s31, v2
	s_delay_alu instid0(VALU_DEP_1)
	v_and_b32_e32 v129, s48, v2
	s_wait_alu 0xfffe
	s_or_b32 exec_lo, exec_lo, s42
	s_and_saveexec_b32 s42, s20
	s_cbranch_execz .LBB1434_506
.LBB1434_572:                           ;   in Loop: Header=BB1434_388 Depth=2
	ds_load_b32 v2, v70 offset:7168
	s_wait_dscnt 0x0
	v_cmp_ne_u32_e64 s30, 0x7fffffff, v2
	s_wait_alu 0xf1ff
	s_delay_alu instid0(VALU_DEP_1) | instskip(NEXT) | instid1(VALU_DEP_1)
	v_cndmask_b32_e64 v2, 0x80000000, v2, s30
	v_lshrrev_b32_e32 v2, s31, v2
	s_delay_alu instid0(VALU_DEP_1)
	v_and_b32_e32 v128, s48, v2
	s_wait_alu 0xfffe
	s_or_b32 exec_lo, exec_lo, s42
	s_and_saveexec_b32 s42, s21
	s_cbranch_execz .LBB1434_507
.LBB1434_573:                           ;   in Loop: Header=BB1434_388 Depth=2
	ds_load_b32 v2, v70 offset:8192
	s_wait_dscnt 0x0
	v_cmp_ne_u32_e64 s30, 0x7fffffff, v2
	s_wait_alu 0xf1ff
	s_delay_alu instid0(VALU_DEP_1) | instskip(NEXT) | instid1(VALU_DEP_1)
	v_cndmask_b32_e64 v2, 0x80000000, v2, s30
	v_lshrrev_b32_e32 v2, s31, v2
	s_delay_alu instid0(VALU_DEP_1)
	v_and_b32_e32 v127, s48, v2
	s_wait_alu 0xfffe
	s_or_b32 exec_lo, exec_lo, s42
	s_and_saveexec_b32 s42, s22
	s_cbranch_execz .LBB1434_508
.LBB1434_574:                           ;   in Loop: Header=BB1434_388 Depth=2
	ds_load_b32 v2, v70 offset:9216
	s_wait_dscnt 0x0
	v_cmp_ne_u32_e64 s30, 0x7fffffff, v2
	s_wait_alu 0xf1ff
	s_delay_alu instid0(VALU_DEP_1) | instskip(NEXT) | instid1(VALU_DEP_1)
	v_cndmask_b32_e64 v2, 0x80000000, v2, s30
	v_lshrrev_b32_e32 v2, s31, v2
	s_delay_alu instid0(VALU_DEP_1)
	v_and_b32_e32 v126, s48, v2
	s_wait_alu 0xfffe
	s_or_b32 exec_lo, exec_lo, s42
	s_and_saveexec_b32 s42, s23
	s_cbranch_execz .LBB1434_509
.LBB1434_575:                           ;   in Loop: Header=BB1434_388 Depth=2
	ds_load_b32 v2, v70 offset:10240
	s_wait_dscnt 0x0
	v_cmp_ne_u32_e64 s30, 0x7fffffff, v2
	s_wait_alu 0xf1ff
	s_delay_alu instid0(VALU_DEP_1) | instskip(NEXT) | instid1(VALU_DEP_1)
	v_cndmask_b32_e64 v2, 0x80000000, v2, s30
	v_lshrrev_b32_e32 v2, s31, v2
	s_delay_alu instid0(VALU_DEP_1)
	v_and_b32_e32 v125, s48, v2
	s_wait_alu 0xfffe
	s_or_b32 exec_lo, exec_lo, s42
	s_and_saveexec_b32 s42, s24
	s_cbranch_execz .LBB1434_510
.LBB1434_576:                           ;   in Loop: Header=BB1434_388 Depth=2
	ds_load_b32 v2, v70 offset:11264
	s_wait_dscnt 0x0
	v_cmp_ne_u32_e64 s30, 0x7fffffff, v2
	s_wait_alu 0xf1ff
	s_delay_alu instid0(VALU_DEP_1) | instskip(NEXT) | instid1(VALU_DEP_1)
	v_cndmask_b32_e64 v2, 0x80000000, v2, s30
	v_lshrrev_b32_e32 v2, s31, v2
	s_delay_alu instid0(VALU_DEP_1)
	v_and_b32_e32 v124, s48, v2
	s_wait_alu 0xfffe
	s_or_b32 exec_lo, exec_lo, s42
	s_and_saveexec_b32 s42, s25
	s_cbranch_execz .LBB1434_511
.LBB1434_577:                           ;   in Loop: Header=BB1434_388 Depth=2
	ds_load_b32 v2, v70 offset:12288
	s_wait_dscnt 0x0
	v_cmp_ne_u32_e64 s30, 0x7fffffff, v2
	s_wait_alu 0xf1ff
	s_delay_alu instid0(VALU_DEP_1) | instskip(NEXT) | instid1(VALU_DEP_1)
	v_cndmask_b32_e64 v2, 0x80000000, v2, s30
	v_lshrrev_b32_e32 v2, s31, v2
	s_delay_alu instid0(VALU_DEP_1)
	v_and_b32_e32 v123, s48, v2
	s_wait_alu 0xfffe
	s_or_b32 exec_lo, exec_lo, s42
	s_and_saveexec_b32 s42, s26
	s_cbranch_execz .LBB1434_512
.LBB1434_578:                           ;   in Loop: Header=BB1434_388 Depth=2
	ds_load_b32 v2, v70 offset:13312
	s_wait_dscnt 0x0
	v_cmp_ne_u32_e64 s30, 0x7fffffff, v2
	s_wait_alu 0xf1ff
	s_delay_alu instid0(VALU_DEP_1) | instskip(NEXT) | instid1(VALU_DEP_1)
	v_cndmask_b32_e64 v2, 0x80000000, v2, s30
	v_lshrrev_b32_e32 v2, s31, v2
	s_delay_alu instid0(VALU_DEP_1)
	v_and_b32_e32 v122, s48, v2
	s_wait_alu 0xfffe
	s_or_b32 exec_lo, exec_lo, s42
	s_and_saveexec_b32 s42, s27
	s_cbranch_execz .LBB1434_513
.LBB1434_579:                           ;   in Loop: Header=BB1434_388 Depth=2
	ds_load_b32 v2, v70 offset:14336
	s_wait_dscnt 0x0
	v_cmp_ne_u32_e64 s30, 0x7fffffff, v2
	s_wait_alu 0xf1ff
	s_delay_alu instid0(VALU_DEP_1) | instskip(NEXT) | instid1(VALU_DEP_1)
	v_cndmask_b32_e64 v2, 0x80000000, v2, s30
	v_lshrrev_b32_e32 v2, s31, v2
	s_delay_alu instid0(VALU_DEP_1)
	v_and_b32_e32 v121, s48, v2
	s_wait_alu 0xfffe
	s_or_b32 exec_lo, exec_lo, s42
	s_and_saveexec_b32 s42, s28
	s_cbranch_execz .LBB1434_514
.LBB1434_580:                           ;   in Loop: Header=BB1434_388 Depth=2
	ds_load_b32 v2, v70 offset:15360
	s_wait_dscnt 0x0
	v_cmp_ne_u32_e64 s30, 0x7fffffff, v2
	s_wait_alu 0xf1ff
	s_delay_alu instid0(VALU_DEP_1) | instskip(NEXT) | instid1(VALU_DEP_1)
	v_cndmask_b32_e64 v2, 0x80000000, v2, s30
	v_lshrrev_b32_e32 v2, s31, v2
	s_delay_alu instid0(VALU_DEP_1)
	v_and_b32_e32 v120, s48, v2
	s_wait_alu 0xfffe
	s_or_b32 exec_lo, exec_lo, s42
	s_and_saveexec_b32 s42, s29
	s_cbranch_execnz .LBB1434_515
	s_branch .LBB1434_516
.LBB1434_581:                           ;   in Loop: Header=BB1434_388 Depth=2
	v_lshlrev_b32_e32 v2, 2, v134
	v_add_nc_u32_e32 v36, v70, v44
	ds_load_b32 v2, v2
	ds_load_b64 v[36:37], v36 offset:1024
	s_wait_dscnt 0x1
	v_add_nc_u32_e32 v2, v2, v1
	s_delay_alu instid0(VALU_DEP_1) | instskip(NEXT) | instid1(VALU_DEP_1)
	v_lshlrev_b64_e32 v[39:40], 3, v[2:3]
	v_add_co_u32 v39, vcc_lo, s46, v39
	s_wait_alu 0xfffd
	s_delay_alu instid0(VALU_DEP_2)
	v_add_co_ci_u32_e64 v40, null, s47, v40, vcc_lo
	s_wait_dscnt 0x0
	global_store_b64 v[39:40], v[36:37], off
	s_wait_alu 0xfffe
	s_or_b32 exec_lo, exec_lo, s30
	s_and_saveexec_b32 s30, s15
	s_cbranch_execz .LBB1434_518
.LBB1434_582:                           ;   in Loop: Header=BB1434_388 Depth=2
	v_lshlrev_b32_e32 v2, 2, v133
	v_add_nc_u32_e32 v36, v70, v44
	ds_load_b32 v2, v2
	ds_load_b64 v[36:37], v36 offset:3072
	s_wait_dscnt 0x1
	v_add_nc_u32_e32 v2, v2, v45
	s_delay_alu instid0(VALU_DEP_1) | instskip(NEXT) | instid1(VALU_DEP_1)
	v_lshlrev_b64_e32 v[39:40], 3, v[2:3]
	v_add_co_u32 v39, vcc_lo, s46, v39
	s_wait_alu 0xfffd
	s_delay_alu instid0(VALU_DEP_2)
	v_add_co_ci_u32_e64 v40, null, s47, v40, vcc_lo
	s_wait_dscnt 0x0
	global_store_b64 v[39:40], v[36:37], off
	s_wait_alu 0xfffe
	s_or_b32 exec_lo, exec_lo, s30
	s_and_saveexec_b32 s15, s16
	s_cbranch_execz .LBB1434_519
.LBB1434_583:                           ;   in Loop: Header=BB1434_388 Depth=2
	v_lshlrev_b32_e32 v2, 2, v132
	v_add_nc_u32_e32 v36, v70, v44
	ds_load_b32 v2, v2
	ds_load_b64 v[36:37], v36 offset:5120
	s_wait_dscnt 0x1
	v_add_nc_u32_e32 v2, v2, v46
	s_delay_alu instid0(VALU_DEP_1) | instskip(NEXT) | instid1(VALU_DEP_1)
	v_lshlrev_b64_e32 v[39:40], 3, v[2:3]
	v_add_co_u32 v39, vcc_lo, s46, v39
	s_wait_alu 0xfffd
	s_delay_alu instid0(VALU_DEP_2)
	v_add_co_ci_u32_e64 v40, null, s47, v40, vcc_lo
	s_wait_dscnt 0x0
	global_store_b64 v[39:40], v[36:37], off
	s_wait_alu 0xfffe
	s_or_b32 exec_lo, exec_lo, s15
	s_and_saveexec_b32 s15, s17
	s_cbranch_execz .LBB1434_520
.LBB1434_584:                           ;   in Loop: Header=BB1434_388 Depth=2
	v_lshlrev_b32_e32 v2, 2, v131
	v_add_nc_u32_e32 v36, v70, v44
	ds_load_b32 v2, v2
	ds_load_b64 v[36:37], v36 offset:7168
	s_wait_dscnt 0x1
	v_add_nc_u32_e32 v2, v2, v47
	s_delay_alu instid0(VALU_DEP_1) | instskip(NEXT) | instid1(VALU_DEP_1)
	v_lshlrev_b64_e32 v[39:40], 3, v[2:3]
	v_add_co_u32 v39, vcc_lo, s46, v39
	s_wait_alu 0xfffd
	s_delay_alu instid0(VALU_DEP_2)
	v_add_co_ci_u32_e64 v40, null, s47, v40, vcc_lo
	s_wait_dscnt 0x0
	global_store_b64 v[39:40], v[36:37], off
	s_wait_alu 0xfffe
	s_or_b32 exec_lo, exec_lo, s15
	s_and_saveexec_b32 s15, s18
	s_cbranch_execz .LBB1434_521
.LBB1434_585:                           ;   in Loop: Header=BB1434_388 Depth=2
	v_lshlrev_b32_e32 v2, 2, v130
	v_add_nc_u32_e32 v36, v70, v44
	ds_load_b32 v2, v2
	ds_load_b64 v[36:37], v36 offset:9216
	s_wait_dscnt 0x1
	v_add_nc_u32_e32 v2, v2, v50
	s_delay_alu instid0(VALU_DEP_1) | instskip(NEXT) | instid1(VALU_DEP_1)
	v_lshlrev_b64_e32 v[39:40], 3, v[2:3]
	v_add_co_u32 v39, vcc_lo, s46, v39
	s_wait_alu 0xfffd
	s_delay_alu instid0(VALU_DEP_2)
	v_add_co_ci_u32_e64 v40, null, s47, v40, vcc_lo
	s_wait_dscnt 0x0
	global_store_b64 v[39:40], v[36:37], off
	s_wait_alu 0xfffe
	s_or_b32 exec_lo, exec_lo, s15
	s_and_saveexec_b32 s15, s19
	s_cbranch_execz .LBB1434_522
.LBB1434_586:                           ;   in Loop: Header=BB1434_388 Depth=2
	v_lshlrev_b32_e32 v2, 2, v129
	v_add_nc_u32_e32 v36, v70, v44
	ds_load_b32 v2, v2
	ds_load_b64 v[36:37], v36 offset:11264
	s_wait_dscnt 0x1
	v_add_nc_u32_e32 v2, v2, v51
	s_delay_alu instid0(VALU_DEP_1) | instskip(NEXT) | instid1(VALU_DEP_1)
	v_lshlrev_b64_e32 v[39:40], 3, v[2:3]
	v_add_co_u32 v39, vcc_lo, s46, v39
	s_wait_alu 0xfffd
	s_delay_alu instid0(VALU_DEP_2)
	v_add_co_ci_u32_e64 v40, null, s47, v40, vcc_lo
	s_wait_dscnt 0x0
	global_store_b64 v[39:40], v[36:37], off
	s_wait_alu 0xfffe
	s_or_b32 exec_lo, exec_lo, s15
	s_and_saveexec_b32 s15, s20
	s_cbranch_execz .LBB1434_523
.LBB1434_587:                           ;   in Loop: Header=BB1434_388 Depth=2
	v_lshlrev_b32_e32 v2, 2, v128
	v_add_nc_u32_e32 v36, v70, v44
	ds_load_b32 v2, v2
	ds_load_b64 v[36:37], v36 offset:13312
	s_wait_dscnt 0x1
	v_add_nc_u32_e32 v2, v2, v52
	s_delay_alu instid0(VALU_DEP_1) | instskip(NEXT) | instid1(VALU_DEP_1)
	v_lshlrev_b64_e32 v[39:40], 3, v[2:3]
	v_add_co_u32 v39, vcc_lo, s46, v39
	s_wait_alu 0xfffd
	s_delay_alu instid0(VALU_DEP_2)
	v_add_co_ci_u32_e64 v40, null, s47, v40, vcc_lo
	s_wait_dscnt 0x0
	global_store_b64 v[39:40], v[36:37], off
	s_wait_alu 0xfffe
	s_or_b32 exec_lo, exec_lo, s15
	s_and_saveexec_b32 s15, s21
	s_cbranch_execz .LBB1434_524
.LBB1434_588:                           ;   in Loop: Header=BB1434_388 Depth=2
	v_lshlrev_b32_e32 v2, 2, v127
	v_add_nc_u32_e32 v36, v70, v44
	ds_load_b32 v2, v2
	ds_load_b64 v[36:37], v36 offset:15360
	s_wait_dscnt 0x1
	v_add_nc_u32_e32 v2, v2, v53
	s_delay_alu instid0(VALU_DEP_1) | instskip(NEXT) | instid1(VALU_DEP_1)
	v_lshlrev_b64_e32 v[39:40], 3, v[2:3]
	v_add_co_u32 v39, vcc_lo, s46, v39
	s_wait_alu 0xfffd
	s_delay_alu instid0(VALU_DEP_2)
	v_add_co_ci_u32_e64 v40, null, s47, v40, vcc_lo
	s_wait_dscnt 0x0
	global_store_b64 v[39:40], v[36:37], off
	s_wait_alu 0xfffe
	s_or_b32 exec_lo, exec_lo, s15
	s_and_saveexec_b32 s15, s22
	s_cbranch_execz .LBB1434_525
.LBB1434_589:                           ;   in Loop: Header=BB1434_388 Depth=2
	v_lshlrev_b32_e32 v2, 2, v126
	v_add_nc_u32_e32 v36, v70, v44
	ds_load_b32 v2, v2
	ds_load_b64 v[36:37], v36 offset:17408
	s_wait_dscnt 0x1
	v_add_nc_u32_e32 v2, v2, v54
	s_delay_alu instid0(VALU_DEP_1) | instskip(NEXT) | instid1(VALU_DEP_1)
	v_lshlrev_b64_e32 v[39:40], 3, v[2:3]
	v_add_co_u32 v39, vcc_lo, s46, v39
	s_wait_alu 0xfffd
	s_delay_alu instid0(VALU_DEP_2)
	v_add_co_ci_u32_e64 v40, null, s47, v40, vcc_lo
	s_wait_dscnt 0x0
	global_store_b64 v[39:40], v[36:37], off
	s_wait_alu 0xfffe
	s_or_b32 exec_lo, exec_lo, s15
	s_and_saveexec_b32 s15, s23
	s_cbranch_execz .LBB1434_526
.LBB1434_590:                           ;   in Loop: Header=BB1434_388 Depth=2
	v_lshlrev_b32_e32 v2, 2, v125
	v_add_nc_u32_e32 v36, v70, v44
	ds_load_b32 v2, v2
	ds_load_b64 v[36:37], v36 offset:19456
	s_wait_dscnt 0x1
	v_add_nc_u32_e32 v2, v2, v55
	s_delay_alu instid0(VALU_DEP_1) | instskip(NEXT) | instid1(VALU_DEP_1)
	v_lshlrev_b64_e32 v[39:40], 3, v[2:3]
	v_add_co_u32 v39, vcc_lo, s46, v39
	s_wait_alu 0xfffd
	s_delay_alu instid0(VALU_DEP_2)
	v_add_co_ci_u32_e64 v40, null, s47, v40, vcc_lo
	s_wait_dscnt 0x0
	global_store_b64 v[39:40], v[36:37], off
	s_wait_alu 0xfffe
	s_or_b32 exec_lo, exec_lo, s15
	s_and_saveexec_b32 s15, s24
	s_cbranch_execz .LBB1434_527
.LBB1434_591:                           ;   in Loop: Header=BB1434_388 Depth=2
	v_lshlrev_b32_e32 v2, 2, v124
	v_add_nc_u32_e32 v36, v70, v44
	ds_load_b32 v2, v2
	ds_load_b64 v[36:37], v36 offset:21504
	s_wait_dscnt 0x1
	v_add_nc_u32_e32 v2, v2, v56
	s_delay_alu instid0(VALU_DEP_1) | instskip(NEXT) | instid1(VALU_DEP_1)
	v_lshlrev_b64_e32 v[39:40], 3, v[2:3]
	v_add_co_u32 v39, vcc_lo, s46, v39
	s_wait_alu 0xfffd
	s_delay_alu instid0(VALU_DEP_2)
	v_add_co_ci_u32_e64 v40, null, s47, v40, vcc_lo
	s_wait_dscnt 0x0
	global_store_b64 v[39:40], v[36:37], off
	s_wait_alu 0xfffe
	s_or_b32 exec_lo, exec_lo, s15
	s_and_saveexec_b32 s15, s25
	s_cbranch_execz .LBB1434_528
.LBB1434_592:                           ;   in Loop: Header=BB1434_388 Depth=2
	v_lshlrev_b32_e32 v2, 2, v123
	v_add_nc_u32_e32 v36, v70, v44
	ds_load_b32 v2, v2
	ds_load_b64 v[36:37], v36 offset:23552
	s_wait_dscnt 0x1
	v_add_nc_u32_e32 v2, v2, v57
	s_delay_alu instid0(VALU_DEP_1) | instskip(NEXT) | instid1(VALU_DEP_1)
	v_lshlrev_b64_e32 v[39:40], 3, v[2:3]
	v_add_co_u32 v39, vcc_lo, s46, v39
	s_wait_alu 0xfffd
	s_delay_alu instid0(VALU_DEP_2)
	v_add_co_ci_u32_e64 v40, null, s47, v40, vcc_lo
	s_wait_dscnt 0x0
	global_store_b64 v[39:40], v[36:37], off
	s_wait_alu 0xfffe
	s_or_b32 exec_lo, exec_lo, s15
	s_and_saveexec_b32 s15, s26
	s_cbranch_execz .LBB1434_529
.LBB1434_593:                           ;   in Loop: Header=BB1434_388 Depth=2
	v_lshlrev_b32_e32 v2, 2, v122
	v_add_nc_u32_e32 v36, v70, v44
	ds_load_b32 v2, v2
	ds_load_b64 v[36:37], v36 offset:25600
	s_wait_dscnt 0x1
	v_add_nc_u32_e32 v2, v2, v58
	s_delay_alu instid0(VALU_DEP_1) | instskip(NEXT) | instid1(VALU_DEP_1)
	v_lshlrev_b64_e32 v[39:40], 3, v[2:3]
	v_add_co_u32 v39, vcc_lo, s46, v39
	s_wait_alu 0xfffd
	s_delay_alu instid0(VALU_DEP_2)
	v_add_co_ci_u32_e64 v40, null, s47, v40, vcc_lo
	s_wait_dscnt 0x0
	global_store_b64 v[39:40], v[36:37], off
	s_wait_alu 0xfffe
	s_or_b32 exec_lo, exec_lo, s15
	s_and_saveexec_b32 s15, s27
	s_cbranch_execz .LBB1434_530
.LBB1434_594:                           ;   in Loop: Header=BB1434_388 Depth=2
	v_lshlrev_b32_e32 v2, 2, v121
	v_add_nc_u32_e32 v36, v70, v44
	ds_load_b32 v2, v2
	ds_load_b64 v[36:37], v36 offset:27648
	s_wait_dscnt 0x1
	v_add_nc_u32_e32 v2, v2, v59
	s_delay_alu instid0(VALU_DEP_1) | instskip(NEXT) | instid1(VALU_DEP_1)
	v_lshlrev_b64_e32 v[39:40], 3, v[2:3]
	v_add_co_u32 v39, vcc_lo, s46, v39
	s_wait_alu 0xfffd
	s_delay_alu instid0(VALU_DEP_2)
	v_add_co_ci_u32_e64 v40, null, s47, v40, vcc_lo
	s_wait_dscnt 0x0
	global_store_b64 v[39:40], v[36:37], off
	s_wait_alu 0xfffe
	s_or_b32 exec_lo, exec_lo, s15
	s_and_saveexec_b32 s15, s28
	s_cbranch_execz .LBB1434_531
.LBB1434_595:                           ;   in Loop: Header=BB1434_388 Depth=2
	v_lshlrev_b32_e32 v2, 2, v120
	v_add_nc_u32_e32 v36, v70, v44
	ds_load_b32 v2, v2
	ds_load_b64 v[36:37], v36 offset:29696
	s_wait_dscnt 0x1
	v_add_nc_u32_e32 v2, v2, v60
	s_delay_alu instid0(VALU_DEP_1) | instskip(NEXT) | instid1(VALU_DEP_1)
	v_lshlrev_b64_e32 v[39:40], 3, v[2:3]
	v_add_co_u32 v39, vcc_lo, s46, v39
	s_wait_alu 0xfffd
	s_delay_alu instid0(VALU_DEP_2)
	v_add_co_ci_u32_e64 v40, null, s47, v40, vcc_lo
	s_wait_dscnt 0x0
	global_store_b64 v[39:40], v[36:37], off
	s_wait_alu 0xfffe
	s_or_b32 exec_lo, exec_lo, s15
	s_and_saveexec_b32 s15, s29
	s_cbranch_execnz .LBB1434_532
	s_branch .LBB1434_533
.LBB1434_596:                           ;   in Loop: Header=BB1434_12 Depth=1
	s_wait_loadcnt_dscnt 0x0
	s_barrier_signal -1
	s_barrier_wait -1
.LBB1434_597:                           ;   in Loop: Header=BB1434_12 Depth=1
	s_mov_b32 s0, 0
.LBB1434_598:                           ;   in Loop: Header=BB1434_12 Depth=1
	s_wait_alu 0xfffe
	s_and_not1_b32 vcc_lo, exec_lo, s0
	s_wait_alu 0xfffe
	s_cbranch_vccnz .LBB1434_11
; %bb.599:                              ;   in Loop: Header=BB1434_12 Depth=1
	s_and_b32 vcc_lo, exec_lo, s52
	s_mov_b32 s0, -1
	s_wait_alu 0xfffe
	s_cbranch_vccz .LBB1434_891
; %bb.600:                              ;   in Loop: Header=BB1434_12 Depth=1
	s_mov_b32 s9, s53
	s_mov_b32 s42, s33
	s_barrier_signal -1
	s_barrier_wait -1
	global_inv scope:SCOPE_SE
                                        ; implicit-def: $vgpr2
                                        ; implicit-def: $vgpr4
                                        ; implicit-def: $vgpr5
                                        ; implicit-def: $vgpr6
                                        ; implicit-def: $vgpr7
                                        ; implicit-def: $vgpr8
                                        ; implicit-def: $vgpr9
                                        ; implicit-def: $vgpr10
                                        ; implicit-def: $vgpr11
                                        ; implicit-def: $vgpr12
                                        ; implicit-def: $vgpr13
                                        ; implicit-def: $vgpr14
                                        ; implicit-def: $vgpr15
                                        ; implicit-def: $vgpr16
                                        ; implicit-def: $vgpr17
                                        ; implicit-def: $vgpr18
	s_branch .LBB1434_602
.LBB1434_601:                           ;   in Loop: Header=BB1434_602 Depth=2
	s_wait_alu 0xfffe
	s_or_b32 exec_lo, exec_lo, s0
	s_addk_co_i32 s9, 0xf000
	s_cmp_ge_u32 s10, s51
	s_mov_b32 s42, s10
	s_cbranch_scc1 .LBB1434_670
.LBB1434_602:                           ;   Parent Loop BB1434_12 Depth=1
                                        ; =>  This Inner Loop Header: Depth=2
	s_wait_alu 0xfffe
	s_add_co_i32 s10, s42, 0x1000
	s_mov_b32 s0, -1
	s_wait_alu 0xfffe
	s_cmp_gt_u32 s10, s51
                                        ; implicit-def: $vgpr19
                                        ; implicit-def: $vgpr20
                                        ; implicit-def: $vgpr21
                                        ; implicit-def: $vgpr22
                                        ; implicit-def: $vgpr23
                                        ; implicit-def: $vgpr24
                                        ; implicit-def: $vgpr25
                                        ; implicit-def: $vgpr26
                                        ; implicit-def: $vgpr27
                                        ; implicit-def: $vgpr28
                                        ; implicit-def: $vgpr29
                                        ; implicit-def: $vgpr30
                                        ; implicit-def: $vgpr31
                                        ; implicit-def: $vgpr32
                                        ; implicit-def: $vgpr33
                                        ; implicit-def: $vgpr34
	s_cbranch_scc1 .LBB1434_604
; %bb.603:                              ;   in Loop: Header=BB1434_602 Depth=2
	s_lshl_b64 s[0:1], s[42:43], 2
	s_wait_alu 0xfffe
	v_add_co_u32 v34, vcc_lo, v77, s0
	s_wait_alu 0xfffd
	v_add_co_ci_u32_e64 v35, null, s1, v78, vcc_lo
	s_mov_b32 s0, 0
	s_clause 0xf
	global_load_b32 v19, v[34:35], off
	global_load_b32 v20, v[34:35], off offset:1024
	global_load_b32 v21, v[34:35], off offset:2048
	;; [unrolled: 1-line block ×15, first 2 shown]
.LBB1434_604:                           ;   in Loop: Header=BB1434_602 Depth=2
	s_wait_alu 0xfffe
	s_and_not1_b32 vcc_lo, exec_lo, s0
	s_movk_i32 s0, 0x1000
	s_wait_alu 0xfffe
	s_cbranch_vccnz .LBB1434_623
; %bb.605:                              ;   in Loop: Header=BB1434_602 Depth=2
	s_lshl_b64 s[0:1], s[42:43], 2
	s_mov_b32 s11, exec_lo
	s_wait_alu 0xfffe
	s_add_nc_u64 s[0:1], s[36:37], s[0:1]
	v_cmpx_gt_u32_e64 s9, v1
	s_cbranch_execnz .LBB1434_655
; %bb.606:                              ;   in Loop: Header=BB1434_602 Depth=2
	s_or_b32 exec_lo, exec_lo, s11
	s_delay_alu instid0(SALU_CYCLE_1)
	s_mov_b32 s11, exec_lo
	v_cmpx_gt_u32_e64 s9, v45
	s_cbranch_execnz .LBB1434_656
.LBB1434_607:                           ;   in Loop: Header=BB1434_602 Depth=2
	s_wait_alu 0xfffe
	s_or_b32 exec_lo, exec_lo, s11
	s_delay_alu instid0(SALU_CYCLE_1)
	s_mov_b32 s11, exec_lo
	v_cmpx_gt_u32_e64 s9, v46
	s_cbranch_execnz .LBB1434_657
.LBB1434_608:                           ;   in Loop: Header=BB1434_602 Depth=2
	s_wait_alu 0xfffe
	s_or_b32 exec_lo, exec_lo, s11
	s_delay_alu instid0(SALU_CYCLE_1)
	s_mov_b32 s11, exec_lo
	v_cmpx_gt_u32_e64 s9, v47
	s_cbranch_execnz .LBB1434_658
.LBB1434_609:                           ;   in Loop: Header=BB1434_602 Depth=2
	s_wait_alu 0xfffe
	s_or_b32 exec_lo, exec_lo, s11
	s_delay_alu instid0(SALU_CYCLE_1)
	s_mov_b32 s11, exec_lo
	v_cmpx_gt_u32_e64 s9, v50
	s_cbranch_execnz .LBB1434_659
.LBB1434_610:                           ;   in Loop: Header=BB1434_602 Depth=2
	s_wait_alu 0xfffe
	s_or_b32 exec_lo, exec_lo, s11
	s_delay_alu instid0(SALU_CYCLE_1)
	s_mov_b32 s11, exec_lo
	v_cmpx_gt_u32_e64 s9, v51
	s_cbranch_execnz .LBB1434_660
.LBB1434_611:                           ;   in Loop: Header=BB1434_602 Depth=2
	s_wait_alu 0xfffe
	s_or_b32 exec_lo, exec_lo, s11
	s_delay_alu instid0(SALU_CYCLE_1)
	s_mov_b32 s11, exec_lo
	v_cmpx_gt_u32_e64 s9, v52
	s_cbranch_execnz .LBB1434_661
.LBB1434_612:                           ;   in Loop: Header=BB1434_602 Depth=2
	s_wait_alu 0xfffe
	s_or_b32 exec_lo, exec_lo, s11
	s_delay_alu instid0(SALU_CYCLE_1)
	s_mov_b32 s11, exec_lo
	v_cmpx_gt_u32_e64 s9, v53
	s_cbranch_execnz .LBB1434_662
.LBB1434_613:                           ;   in Loop: Header=BB1434_602 Depth=2
	s_wait_alu 0xfffe
	s_or_b32 exec_lo, exec_lo, s11
	s_delay_alu instid0(SALU_CYCLE_1)
	s_mov_b32 s11, exec_lo
	v_cmpx_gt_u32_e64 s9, v54
	s_cbranch_execnz .LBB1434_663
.LBB1434_614:                           ;   in Loop: Header=BB1434_602 Depth=2
	s_wait_alu 0xfffe
	s_or_b32 exec_lo, exec_lo, s11
	s_delay_alu instid0(SALU_CYCLE_1)
	s_mov_b32 s11, exec_lo
	v_cmpx_gt_u32_e64 s9, v55
	s_cbranch_execnz .LBB1434_664
.LBB1434_615:                           ;   in Loop: Header=BB1434_602 Depth=2
	s_wait_alu 0xfffe
	s_or_b32 exec_lo, exec_lo, s11
	s_delay_alu instid0(SALU_CYCLE_1)
	s_mov_b32 s11, exec_lo
	v_cmpx_gt_u32_e64 s9, v56
	s_cbranch_execnz .LBB1434_665
.LBB1434_616:                           ;   in Loop: Header=BB1434_602 Depth=2
	s_wait_alu 0xfffe
	s_or_b32 exec_lo, exec_lo, s11
	s_delay_alu instid0(SALU_CYCLE_1)
	s_mov_b32 s11, exec_lo
	v_cmpx_gt_u32_e64 s9, v57
	s_cbranch_execnz .LBB1434_666
.LBB1434_617:                           ;   in Loop: Header=BB1434_602 Depth=2
	s_wait_alu 0xfffe
	s_or_b32 exec_lo, exec_lo, s11
	s_delay_alu instid0(SALU_CYCLE_1)
	s_mov_b32 s11, exec_lo
	v_cmpx_gt_u32_e64 s9, v58
	s_cbranch_execnz .LBB1434_667
.LBB1434_618:                           ;   in Loop: Header=BB1434_602 Depth=2
	s_wait_alu 0xfffe
	s_or_b32 exec_lo, exec_lo, s11
	s_delay_alu instid0(SALU_CYCLE_1)
	s_mov_b32 s11, exec_lo
	v_cmpx_gt_u32_e64 s9, v59
	s_cbranch_execnz .LBB1434_668
.LBB1434_619:                           ;   in Loop: Header=BB1434_602 Depth=2
	s_wait_alu 0xfffe
	s_or_b32 exec_lo, exec_lo, s11
	s_delay_alu instid0(SALU_CYCLE_1)
	s_mov_b32 s11, exec_lo
	v_cmpx_gt_u32_e64 s9, v60
	s_cbranch_execnz .LBB1434_669
.LBB1434_620:                           ;   in Loop: Header=BB1434_602 Depth=2
	s_wait_alu 0xfffe
	s_or_b32 exec_lo, exec_lo, s11
	s_delay_alu instid0(SALU_CYCLE_1)
	s_mov_b32 s11, exec_lo
	v_cmpx_gt_u32_e64 s9, v61
	s_cbranch_execz .LBB1434_622
.LBB1434_621:                           ;   in Loop: Header=BB1434_602 Depth=2
	global_load_b32 v2, v108, s[0:1] offset:15360
.LBB1434_622:                           ;   in Loop: Header=BB1434_602 Depth=2
	s_wait_alu 0xfffe
	s_or_b32 exec_lo, exec_lo, s11
	s_wait_loadcnt 0x0
	v_dual_mov_b32 v19, v18 :: v_dual_mov_b32 v20, v17
	v_dual_mov_b32 v21, v16 :: v_dual_mov_b32 v22, v15
	;; [unrolled: 1-line block ×8, first 2 shown]
	s_mov_b32 s0, s9
.LBB1434_623:                           ;   in Loop: Header=BB1434_602 Depth=2
	s_wait_loadcnt 0x0
	s_delay_alu instid0(VALU_DEP_1) | instskip(NEXT) | instid1(VALU_DEP_2)
	v_dual_mov_b32 v2, v34 :: v_dual_mov_b32 v5, v32
	v_dual_mov_b32 v4, v33 :: v_dual_mov_b32 v7, v30
	;; [unrolled: 1-line block ×7, first 2 shown]
	v_mov_b32_e32 v16, v21
	v_mov_b32_e32 v18, v19
	s_mov_b32 s1, exec_lo
	s_wait_alu 0xfffe
	v_cmpx_gt_u32_e64 s0, v1
	s_cbranch_execnz .LBB1434_639
; %bb.624:                              ;   in Loop: Header=BB1434_602 Depth=2
	s_or_b32 exec_lo, exec_lo, s1
	s_delay_alu instid0(SALU_CYCLE_1)
	s_mov_b32 s1, exec_lo
	v_cmpx_gt_u32_e64 s0, v45
	s_cbranch_execnz .LBB1434_640
.LBB1434_625:                           ;   in Loop: Header=BB1434_602 Depth=2
	s_wait_alu 0xfffe
	s_or_b32 exec_lo, exec_lo, s1
	s_delay_alu instid0(SALU_CYCLE_1)
	s_mov_b32 s1, exec_lo
	v_cmpx_gt_u32_e64 s0, v46
	s_cbranch_execnz .LBB1434_641
.LBB1434_626:                           ;   in Loop: Header=BB1434_602 Depth=2
	s_wait_alu 0xfffe
	s_or_b32 exec_lo, exec_lo, s1
	s_delay_alu instid0(SALU_CYCLE_1)
	s_mov_b32 s1, exec_lo
	v_cmpx_gt_u32_e64 s0, v47
	s_cbranch_execnz .LBB1434_642
.LBB1434_627:                           ;   in Loop: Header=BB1434_602 Depth=2
	s_wait_alu 0xfffe
	s_or_b32 exec_lo, exec_lo, s1
	s_delay_alu instid0(SALU_CYCLE_1)
	s_mov_b32 s1, exec_lo
	v_cmpx_gt_u32_e64 s0, v50
	s_cbranch_execnz .LBB1434_643
.LBB1434_628:                           ;   in Loop: Header=BB1434_602 Depth=2
	s_wait_alu 0xfffe
	s_or_b32 exec_lo, exec_lo, s1
	s_delay_alu instid0(SALU_CYCLE_1)
	s_mov_b32 s1, exec_lo
	v_cmpx_gt_u32_e64 s0, v51
	s_cbranch_execnz .LBB1434_644
.LBB1434_629:                           ;   in Loop: Header=BB1434_602 Depth=2
	s_wait_alu 0xfffe
	s_or_b32 exec_lo, exec_lo, s1
	s_delay_alu instid0(SALU_CYCLE_1)
	s_mov_b32 s1, exec_lo
	v_cmpx_gt_u32_e64 s0, v52
	s_cbranch_execnz .LBB1434_645
.LBB1434_630:                           ;   in Loop: Header=BB1434_602 Depth=2
	s_wait_alu 0xfffe
	s_or_b32 exec_lo, exec_lo, s1
	s_delay_alu instid0(SALU_CYCLE_1)
	s_mov_b32 s1, exec_lo
	v_cmpx_gt_u32_e64 s0, v53
	s_cbranch_execnz .LBB1434_646
.LBB1434_631:                           ;   in Loop: Header=BB1434_602 Depth=2
	s_wait_alu 0xfffe
	s_or_b32 exec_lo, exec_lo, s1
	s_delay_alu instid0(SALU_CYCLE_1)
	s_mov_b32 s1, exec_lo
	v_cmpx_gt_u32_e64 s0, v54
	s_cbranch_execnz .LBB1434_647
.LBB1434_632:                           ;   in Loop: Header=BB1434_602 Depth=2
	s_wait_alu 0xfffe
	s_or_b32 exec_lo, exec_lo, s1
	s_delay_alu instid0(SALU_CYCLE_1)
	s_mov_b32 s1, exec_lo
	v_cmpx_gt_u32_e64 s0, v55
	s_cbranch_execnz .LBB1434_648
.LBB1434_633:                           ;   in Loop: Header=BB1434_602 Depth=2
	s_wait_alu 0xfffe
	s_or_b32 exec_lo, exec_lo, s1
	s_delay_alu instid0(SALU_CYCLE_1)
	s_mov_b32 s1, exec_lo
	v_cmpx_gt_u32_e64 s0, v56
	s_cbranch_execnz .LBB1434_649
.LBB1434_634:                           ;   in Loop: Header=BB1434_602 Depth=2
	s_wait_alu 0xfffe
	s_or_b32 exec_lo, exec_lo, s1
	s_delay_alu instid0(SALU_CYCLE_1)
	s_mov_b32 s1, exec_lo
	v_cmpx_gt_u32_e64 s0, v57
	s_cbranch_execnz .LBB1434_650
.LBB1434_635:                           ;   in Loop: Header=BB1434_602 Depth=2
	s_wait_alu 0xfffe
	s_or_b32 exec_lo, exec_lo, s1
	s_delay_alu instid0(SALU_CYCLE_1)
	s_mov_b32 s1, exec_lo
	v_cmpx_gt_u32_e64 s0, v58
	s_cbranch_execnz .LBB1434_651
.LBB1434_636:                           ;   in Loop: Header=BB1434_602 Depth=2
	s_wait_alu 0xfffe
	s_or_b32 exec_lo, exec_lo, s1
	s_delay_alu instid0(SALU_CYCLE_1)
	s_mov_b32 s1, exec_lo
	v_cmpx_gt_u32_e64 s0, v59
	s_cbranch_execnz .LBB1434_652
.LBB1434_637:                           ;   in Loop: Header=BB1434_602 Depth=2
	s_wait_alu 0xfffe
	s_or_b32 exec_lo, exec_lo, s1
	s_delay_alu instid0(SALU_CYCLE_1)
	s_mov_b32 s1, exec_lo
	v_cmpx_gt_u32_e64 s0, v60
	s_cbranch_execnz .LBB1434_653
.LBB1434_638:                           ;   in Loop: Header=BB1434_602 Depth=2
	s_wait_alu 0xfffe
	s_or_b32 exec_lo, exec_lo, s1
	v_cmp_gt_u32_e32 vcc_lo, s0, v61
	s_and_saveexec_b32 s0, vcc_lo
	s_cbranch_execz .LBB1434_601
	s_branch .LBB1434_654
.LBB1434_639:                           ;   in Loop: Header=BB1434_602 Depth=2
	v_cmp_lt_i32_e32 vcc_lo, -1, v18
	s_wait_alu 0xfffd
	v_cndmask_b32_e64 v19, -1, 0x80000000, vcc_lo
	s_delay_alu instid0(VALU_DEP_1) | instskip(NEXT) | instid1(VALU_DEP_1)
	v_xor_b32_e32 v19, v19, v18
	v_cmp_ne_u32_e32 vcc_lo, 0x7fffffff, v19
	s_wait_alu 0xfffd
	v_cndmask_b32_e32 v19, 0x80000000, v19, vcc_lo
	s_delay_alu instid0(VALU_DEP_1) | instskip(NEXT) | instid1(VALU_DEP_1)
	v_lshrrev_b32_e32 v19, s49, v19
	v_and_b32_e32 v19, s48, v19
	s_delay_alu instid0(VALU_DEP_1) | instskip(SKIP_2) | instid1(SALU_CYCLE_1)
	v_lshl_or_b32 v19, v19, 4, v62
	ds_add_u32 v19, v84
	s_or_b32 exec_lo, exec_lo, s1
	s_mov_b32 s1, exec_lo
	v_cmpx_gt_u32_e64 s0, v45
	s_cbranch_execz .LBB1434_625
.LBB1434_640:                           ;   in Loop: Header=BB1434_602 Depth=2
	v_cmp_lt_i32_e32 vcc_lo, -1, v17
	s_wait_alu 0xfffd
	v_cndmask_b32_e64 v19, -1, 0x80000000, vcc_lo
	s_delay_alu instid0(VALU_DEP_1) | instskip(NEXT) | instid1(VALU_DEP_1)
	v_xor_b32_e32 v19, v19, v17
	v_cmp_ne_u32_e32 vcc_lo, 0x7fffffff, v19
	s_wait_alu 0xfffd
	v_cndmask_b32_e32 v19, 0x80000000, v19, vcc_lo
	s_delay_alu instid0(VALU_DEP_1) | instskip(NEXT) | instid1(VALU_DEP_1)
	v_lshrrev_b32_e32 v19, s49, v19
	v_and_b32_e32 v19, s48, v19
	s_delay_alu instid0(VALU_DEP_1) | instskip(SKIP_3) | instid1(SALU_CYCLE_1)
	v_lshl_or_b32 v19, v19, 4, v62
	ds_add_u32 v19, v84
	s_wait_alu 0xfffe
	s_or_b32 exec_lo, exec_lo, s1
	s_mov_b32 s1, exec_lo
	v_cmpx_gt_u32_e64 s0, v46
	s_cbranch_execz .LBB1434_626
.LBB1434_641:                           ;   in Loop: Header=BB1434_602 Depth=2
	v_cmp_lt_i32_e32 vcc_lo, -1, v16
	s_wait_alu 0xfffd
	v_cndmask_b32_e64 v19, -1, 0x80000000, vcc_lo
	s_delay_alu instid0(VALU_DEP_1) | instskip(NEXT) | instid1(VALU_DEP_1)
	v_xor_b32_e32 v19, v19, v16
	v_cmp_ne_u32_e32 vcc_lo, 0x7fffffff, v19
	s_wait_alu 0xfffd
	v_cndmask_b32_e32 v19, 0x80000000, v19, vcc_lo
	s_delay_alu instid0(VALU_DEP_1) | instskip(NEXT) | instid1(VALU_DEP_1)
	v_lshrrev_b32_e32 v19, s49, v19
	v_and_b32_e32 v19, s48, v19
	s_delay_alu instid0(VALU_DEP_1) | instskip(SKIP_3) | instid1(SALU_CYCLE_1)
	v_lshl_or_b32 v19, v19, 4, v62
	ds_add_u32 v19, v84
	s_wait_alu 0xfffe
	s_or_b32 exec_lo, exec_lo, s1
	s_mov_b32 s1, exec_lo
	v_cmpx_gt_u32_e64 s0, v47
	s_cbranch_execz .LBB1434_627
.LBB1434_642:                           ;   in Loop: Header=BB1434_602 Depth=2
	v_cmp_lt_i32_e32 vcc_lo, -1, v15
	s_wait_alu 0xfffd
	v_cndmask_b32_e64 v19, -1, 0x80000000, vcc_lo
	s_delay_alu instid0(VALU_DEP_1) | instskip(NEXT) | instid1(VALU_DEP_1)
	v_xor_b32_e32 v19, v19, v15
	v_cmp_ne_u32_e32 vcc_lo, 0x7fffffff, v19
	s_wait_alu 0xfffd
	v_cndmask_b32_e32 v19, 0x80000000, v19, vcc_lo
	s_delay_alu instid0(VALU_DEP_1) | instskip(NEXT) | instid1(VALU_DEP_1)
	v_lshrrev_b32_e32 v19, s49, v19
	v_and_b32_e32 v19, s48, v19
	s_delay_alu instid0(VALU_DEP_1) | instskip(SKIP_3) | instid1(SALU_CYCLE_1)
	v_lshl_or_b32 v19, v19, 4, v62
	ds_add_u32 v19, v84
	s_wait_alu 0xfffe
	s_or_b32 exec_lo, exec_lo, s1
	s_mov_b32 s1, exec_lo
	v_cmpx_gt_u32_e64 s0, v50
	s_cbranch_execz .LBB1434_628
.LBB1434_643:                           ;   in Loop: Header=BB1434_602 Depth=2
	v_cmp_lt_i32_e32 vcc_lo, -1, v14
	s_wait_alu 0xfffd
	v_cndmask_b32_e64 v19, -1, 0x80000000, vcc_lo
	s_delay_alu instid0(VALU_DEP_1) | instskip(NEXT) | instid1(VALU_DEP_1)
	v_xor_b32_e32 v19, v19, v14
	v_cmp_ne_u32_e32 vcc_lo, 0x7fffffff, v19
	s_wait_alu 0xfffd
	v_cndmask_b32_e32 v19, 0x80000000, v19, vcc_lo
	s_delay_alu instid0(VALU_DEP_1) | instskip(NEXT) | instid1(VALU_DEP_1)
	v_lshrrev_b32_e32 v19, s49, v19
	v_and_b32_e32 v19, s48, v19
	s_delay_alu instid0(VALU_DEP_1) | instskip(SKIP_3) | instid1(SALU_CYCLE_1)
	v_lshl_or_b32 v19, v19, 4, v62
	ds_add_u32 v19, v84
	s_wait_alu 0xfffe
	s_or_b32 exec_lo, exec_lo, s1
	s_mov_b32 s1, exec_lo
	v_cmpx_gt_u32_e64 s0, v51
	s_cbranch_execz .LBB1434_629
.LBB1434_644:                           ;   in Loop: Header=BB1434_602 Depth=2
	v_cmp_lt_i32_e32 vcc_lo, -1, v13
	s_wait_alu 0xfffd
	v_cndmask_b32_e64 v19, -1, 0x80000000, vcc_lo
	s_delay_alu instid0(VALU_DEP_1) | instskip(NEXT) | instid1(VALU_DEP_1)
	v_xor_b32_e32 v19, v19, v13
	v_cmp_ne_u32_e32 vcc_lo, 0x7fffffff, v19
	s_wait_alu 0xfffd
	v_cndmask_b32_e32 v19, 0x80000000, v19, vcc_lo
	s_delay_alu instid0(VALU_DEP_1) | instskip(NEXT) | instid1(VALU_DEP_1)
	v_lshrrev_b32_e32 v19, s49, v19
	v_and_b32_e32 v19, s48, v19
	s_delay_alu instid0(VALU_DEP_1) | instskip(SKIP_3) | instid1(SALU_CYCLE_1)
	v_lshl_or_b32 v19, v19, 4, v62
	ds_add_u32 v19, v84
	s_wait_alu 0xfffe
	s_or_b32 exec_lo, exec_lo, s1
	s_mov_b32 s1, exec_lo
	v_cmpx_gt_u32_e64 s0, v52
	s_cbranch_execz .LBB1434_630
.LBB1434_645:                           ;   in Loop: Header=BB1434_602 Depth=2
	v_cmp_lt_i32_e32 vcc_lo, -1, v12
	s_wait_alu 0xfffd
	v_cndmask_b32_e64 v19, -1, 0x80000000, vcc_lo
	s_delay_alu instid0(VALU_DEP_1) | instskip(NEXT) | instid1(VALU_DEP_1)
	v_xor_b32_e32 v19, v19, v12
	v_cmp_ne_u32_e32 vcc_lo, 0x7fffffff, v19
	s_wait_alu 0xfffd
	v_cndmask_b32_e32 v19, 0x80000000, v19, vcc_lo
	s_delay_alu instid0(VALU_DEP_1) | instskip(NEXT) | instid1(VALU_DEP_1)
	v_lshrrev_b32_e32 v19, s49, v19
	v_and_b32_e32 v19, s48, v19
	s_delay_alu instid0(VALU_DEP_1) | instskip(SKIP_3) | instid1(SALU_CYCLE_1)
	v_lshl_or_b32 v19, v19, 4, v62
	ds_add_u32 v19, v84
	s_wait_alu 0xfffe
	s_or_b32 exec_lo, exec_lo, s1
	s_mov_b32 s1, exec_lo
	v_cmpx_gt_u32_e64 s0, v53
	s_cbranch_execz .LBB1434_631
.LBB1434_646:                           ;   in Loop: Header=BB1434_602 Depth=2
	v_cmp_lt_i32_e32 vcc_lo, -1, v11
	s_wait_alu 0xfffd
	v_cndmask_b32_e64 v19, -1, 0x80000000, vcc_lo
	s_delay_alu instid0(VALU_DEP_1) | instskip(NEXT) | instid1(VALU_DEP_1)
	v_xor_b32_e32 v19, v19, v11
	v_cmp_ne_u32_e32 vcc_lo, 0x7fffffff, v19
	s_wait_alu 0xfffd
	v_cndmask_b32_e32 v19, 0x80000000, v19, vcc_lo
	s_delay_alu instid0(VALU_DEP_1) | instskip(NEXT) | instid1(VALU_DEP_1)
	v_lshrrev_b32_e32 v19, s49, v19
	v_and_b32_e32 v19, s48, v19
	s_delay_alu instid0(VALU_DEP_1) | instskip(SKIP_3) | instid1(SALU_CYCLE_1)
	v_lshl_or_b32 v19, v19, 4, v62
	ds_add_u32 v19, v84
	s_wait_alu 0xfffe
	s_or_b32 exec_lo, exec_lo, s1
	s_mov_b32 s1, exec_lo
	v_cmpx_gt_u32_e64 s0, v54
	s_cbranch_execz .LBB1434_632
.LBB1434_647:                           ;   in Loop: Header=BB1434_602 Depth=2
	v_cmp_lt_i32_e32 vcc_lo, -1, v10
	s_wait_alu 0xfffd
	v_cndmask_b32_e64 v19, -1, 0x80000000, vcc_lo
	s_delay_alu instid0(VALU_DEP_1) | instskip(NEXT) | instid1(VALU_DEP_1)
	v_xor_b32_e32 v19, v19, v10
	v_cmp_ne_u32_e32 vcc_lo, 0x7fffffff, v19
	s_wait_alu 0xfffd
	v_cndmask_b32_e32 v19, 0x80000000, v19, vcc_lo
	s_delay_alu instid0(VALU_DEP_1) | instskip(NEXT) | instid1(VALU_DEP_1)
	v_lshrrev_b32_e32 v19, s49, v19
	v_and_b32_e32 v19, s48, v19
	s_delay_alu instid0(VALU_DEP_1) | instskip(SKIP_3) | instid1(SALU_CYCLE_1)
	v_lshl_or_b32 v19, v19, 4, v62
	ds_add_u32 v19, v84
	s_wait_alu 0xfffe
	s_or_b32 exec_lo, exec_lo, s1
	s_mov_b32 s1, exec_lo
	v_cmpx_gt_u32_e64 s0, v55
	s_cbranch_execz .LBB1434_633
.LBB1434_648:                           ;   in Loop: Header=BB1434_602 Depth=2
	v_cmp_lt_i32_e32 vcc_lo, -1, v9
	s_wait_alu 0xfffd
	v_cndmask_b32_e64 v19, -1, 0x80000000, vcc_lo
	s_delay_alu instid0(VALU_DEP_1) | instskip(NEXT) | instid1(VALU_DEP_1)
	v_xor_b32_e32 v19, v19, v9
	v_cmp_ne_u32_e32 vcc_lo, 0x7fffffff, v19
	s_wait_alu 0xfffd
	v_cndmask_b32_e32 v19, 0x80000000, v19, vcc_lo
	s_delay_alu instid0(VALU_DEP_1) | instskip(NEXT) | instid1(VALU_DEP_1)
	v_lshrrev_b32_e32 v19, s49, v19
	v_and_b32_e32 v19, s48, v19
	s_delay_alu instid0(VALU_DEP_1) | instskip(SKIP_3) | instid1(SALU_CYCLE_1)
	v_lshl_or_b32 v19, v19, 4, v62
	ds_add_u32 v19, v84
	s_wait_alu 0xfffe
	s_or_b32 exec_lo, exec_lo, s1
	s_mov_b32 s1, exec_lo
	v_cmpx_gt_u32_e64 s0, v56
	s_cbranch_execz .LBB1434_634
.LBB1434_649:                           ;   in Loop: Header=BB1434_602 Depth=2
	v_cmp_lt_i32_e32 vcc_lo, -1, v8
	s_wait_alu 0xfffd
	v_cndmask_b32_e64 v19, -1, 0x80000000, vcc_lo
	s_delay_alu instid0(VALU_DEP_1) | instskip(NEXT) | instid1(VALU_DEP_1)
	v_xor_b32_e32 v19, v19, v8
	v_cmp_ne_u32_e32 vcc_lo, 0x7fffffff, v19
	s_wait_alu 0xfffd
	v_cndmask_b32_e32 v19, 0x80000000, v19, vcc_lo
	s_delay_alu instid0(VALU_DEP_1) | instskip(NEXT) | instid1(VALU_DEP_1)
	v_lshrrev_b32_e32 v19, s49, v19
	v_and_b32_e32 v19, s48, v19
	s_delay_alu instid0(VALU_DEP_1) | instskip(SKIP_3) | instid1(SALU_CYCLE_1)
	v_lshl_or_b32 v19, v19, 4, v62
	ds_add_u32 v19, v84
	s_wait_alu 0xfffe
	s_or_b32 exec_lo, exec_lo, s1
	s_mov_b32 s1, exec_lo
	v_cmpx_gt_u32_e64 s0, v57
	s_cbranch_execz .LBB1434_635
.LBB1434_650:                           ;   in Loop: Header=BB1434_602 Depth=2
	v_cmp_lt_i32_e32 vcc_lo, -1, v7
	s_wait_alu 0xfffd
	v_cndmask_b32_e64 v19, -1, 0x80000000, vcc_lo
	s_delay_alu instid0(VALU_DEP_1) | instskip(NEXT) | instid1(VALU_DEP_1)
	v_xor_b32_e32 v19, v19, v7
	v_cmp_ne_u32_e32 vcc_lo, 0x7fffffff, v19
	s_wait_alu 0xfffd
	v_cndmask_b32_e32 v19, 0x80000000, v19, vcc_lo
	s_delay_alu instid0(VALU_DEP_1) | instskip(NEXT) | instid1(VALU_DEP_1)
	v_lshrrev_b32_e32 v19, s49, v19
	v_and_b32_e32 v19, s48, v19
	s_delay_alu instid0(VALU_DEP_1) | instskip(SKIP_3) | instid1(SALU_CYCLE_1)
	v_lshl_or_b32 v19, v19, 4, v62
	ds_add_u32 v19, v84
	s_wait_alu 0xfffe
	s_or_b32 exec_lo, exec_lo, s1
	s_mov_b32 s1, exec_lo
	v_cmpx_gt_u32_e64 s0, v58
	s_cbranch_execz .LBB1434_636
.LBB1434_651:                           ;   in Loop: Header=BB1434_602 Depth=2
	v_cmp_lt_i32_e32 vcc_lo, -1, v6
	s_wait_alu 0xfffd
	v_cndmask_b32_e64 v19, -1, 0x80000000, vcc_lo
	s_delay_alu instid0(VALU_DEP_1) | instskip(NEXT) | instid1(VALU_DEP_1)
	v_xor_b32_e32 v19, v19, v6
	v_cmp_ne_u32_e32 vcc_lo, 0x7fffffff, v19
	s_wait_alu 0xfffd
	v_cndmask_b32_e32 v19, 0x80000000, v19, vcc_lo
	s_delay_alu instid0(VALU_DEP_1) | instskip(NEXT) | instid1(VALU_DEP_1)
	v_lshrrev_b32_e32 v19, s49, v19
	v_and_b32_e32 v19, s48, v19
	s_delay_alu instid0(VALU_DEP_1) | instskip(SKIP_3) | instid1(SALU_CYCLE_1)
	v_lshl_or_b32 v19, v19, 4, v62
	ds_add_u32 v19, v84
	s_wait_alu 0xfffe
	s_or_b32 exec_lo, exec_lo, s1
	s_mov_b32 s1, exec_lo
	v_cmpx_gt_u32_e64 s0, v59
	s_cbranch_execz .LBB1434_637
.LBB1434_652:                           ;   in Loop: Header=BB1434_602 Depth=2
	v_cmp_lt_i32_e32 vcc_lo, -1, v5
	s_wait_alu 0xfffd
	v_cndmask_b32_e64 v19, -1, 0x80000000, vcc_lo
	s_delay_alu instid0(VALU_DEP_1) | instskip(NEXT) | instid1(VALU_DEP_1)
	v_xor_b32_e32 v19, v19, v5
	v_cmp_ne_u32_e32 vcc_lo, 0x7fffffff, v19
	s_wait_alu 0xfffd
	v_cndmask_b32_e32 v19, 0x80000000, v19, vcc_lo
	s_delay_alu instid0(VALU_DEP_1) | instskip(NEXT) | instid1(VALU_DEP_1)
	v_lshrrev_b32_e32 v19, s49, v19
	v_and_b32_e32 v19, s48, v19
	s_delay_alu instid0(VALU_DEP_1) | instskip(SKIP_3) | instid1(SALU_CYCLE_1)
	v_lshl_or_b32 v19, v19, 4, v62
	ds_add_u32 v19, v84
	s_wait_alu 0xfffe
	s_or_b32 exec_lo, exec_lo, s1
	s_mov_b32 s1, exec_lo
	v_cmpx_gt_u32_e64 s0, v60
	s_cbranch_execz .LBB1434_638
.LBB1434_653:                           ;   in Loop: Header=BB1434_602 Depth=2
	v_cmp_lt_i32_e32 vcc_lo, -1, v4
	s_wait_alu 0xfffd
	v_cndmask_b32_e64 v19, -1, 0x80000000, vcc_lo
	s_delay_alu instid0(VALU_DEP_1) | instskip(NEXT) | instid1(VALU_DEP_1)
	v_xor_b32_e32 v19, v19, v4
	v_cmp_ne_u32_e32 vcc_lo, 0x7fffffff, v19
	s_wait_alu 0xfffd
	v_cndmask_b32_e32 v19, 0x80000000, v19, vcc_lo
	s_delay_alu instid0(VALU_DEP_1) | instskip(NEXT) | instid1(VALU_DEP_1)
	v_lshrrev_b32_e32 v19, s49, v19
	v_and_b32_e32 v19, s48, v19
	s_delay_alu instid0(VALU_DEP_1)
	v_lshl_or_b32 v19, v19, 4, v62
	ds_add_u32 v19, v84
	s_wait_alu 0xfffe
	s_or_b32 exec_lo, exec_lo, s1
	v_cmp_gt_u32_e32 vcc_lo, s0, v61
	s_and_saveexec_b32 s0, vcc_lo
	s_cbranch_execz .LBB1434_601
.LBB1434_654:                           ;   in Loop: Header=BB1434_602 Depth=2
	v_cmp_lt_i32_e32 vcc_lo, -1, v2
	s_wait_alu 0xfffd
	v_cndmask_b32_e64 v19, -1, 0x80000000, vcc_lo
	s_delay_alu instid0(VALU_DEP_1) | instskip(NEXT) | instid1(VALU_DEP_1)
	v_xor_b32_e32 v19, v19, v2
	v_cmp_ne_u32_e32 vcc_lo, 0x7fffffff, v19
	s_wait_alu 0xfffd
	v_cndmask_b32_e32 v19, 0x80000000, v19, vcc_lo
	s_delay_alu instid0(VALU_DEP_1) | instskip(NEXT) | instid1(VALU_DEP_1)
	v_lshrrev_b32_e32 v19, s49, v19
	v_and_b32_e32 v19, s48, v19
	s_delay_alu instid0(VALU_DEP_1)
	v_lshl_or_b32 v19, v19, 4, v62
	ds_add_u32 v19, v84
	s_branch .LBB1434_601
.LBB1434_655:                           ;   in Loop: Header=BB1434_602 Depth=2
	global_load_b32 v18, v108, s[0:1]
	s_or_b32 exec_lo, exec_lo, s11
	s_delay_alu instid0(SALU_CYCLE_1)
	s_mov_b32 s11, exec_lo
	v_cmpx_gt_u32_e64 s9, v45
	s_cbranch_execz .LBB1434_607
.LBB1434_656:                           ;   in Loop: Header=BB1434_602 Depth=2
	global_load_b32 v17, v108, s[0:1] offset:1024
	s_wait_alu 0xfffe
	s_or_b32 exec_lo, exec_lo, s11
	s_delay_alu instid0(SALU_CYCLE_1)
	s_mov_b32 s11, exec_lo
	v_cmpx_gt_u32_e64 s9, v46
	s_cbranch_execz .LBB1434_608
.LBB1434_657:                           ;   in Loop: Header=BB1434_602 Depth=2
	global_load_b32 v16, v108, s[0:1] offset:2048
	s_wait_alu 0xfffe
	s_or_b32 exec_lo, exec_lo, s11
	s_delay_alu instid0(SALU_CYCLE_1)
	s_mov_b32 s11, exec_lo
	v_cmpx_gt_u32_e64 s9, v47
	s_cbranch_execz .LBB1434_609
.LBB1434_658:                           ;   in Loop: Header=BB1434_602 Depth=2
	global_load_b32 v15, v108, s[0:1] offset:3072
	s_wait_alu 0xfffe
	s_or_b32 exec_lo, exec_lo, s11
	s_delay_alu instid0(SALU_CYCLE_1)
	s_mov_b32 s11, exec_lo
	v_cmpx_gt_u32_e64 s9, v50
	s_cbranch_execz .LBB1434_610
.LBB1434_659:                           ;   in Loop: Header=BB1434_602 Depth=2
	global_load_b32 v14, v108, s[0:1] offset:4096
	s_wait_alu 0xfffe
	s_or_b32 exec_lo, exec_lo, s11
	s_delay_alu instid0(SALU_CYCLE_1)
	s_mov_b32 s11, exec_lo
	v_cmpx_gt_u32_e64 s9, v51
	s_cbranch_execz .LBB1434_611
.LBB1434_660:                           ;   in Loop: Header=BB1434_602 Depth=2
	global_load_b32 v13, v108, s[0:1] offset:5120
	s_wait_alu 0xfffe
	s_or_b32 exec_lo, exec_lo, s11
	s_delay_alu instid0(SALU_CYCLE_1)
	s_mov_b32 s11, exec_lo
	v_cmpx_gt_u32_e64 s9, v52
	s_cbranch_execz .LBB1434_612
.LBB1434_661:                           ;   in Loop: Header=BB1434_602 Depth=2
	global_load_b32 v12, v108, s[0:1] offset:6144
	s_wait_alu 0xfffe
	s_or_b32 exec_lo, exec_lo, s11
	s_delay_alu instid0(SALU_CYCLE_1)
	s_mov_b32 s11, exec_lo
	v_cmpx_gt_u32_e64 s9, v53
	s_cbranch_execz .LBB1434_613
.LBB1434_662:                           ;   in Loop: Header=BB1434_602 Depth=2
	global_load_b32 v11, v108, s[0:1] offset:7168
	s_wait_alu 0xfffe
	s_or_b32 exec_lo, exec_lo, s11
	s_delay_alu instid0(SALU_CYCLE_1)
	s_mov_b32 s11, exec_lo
	v_cmpx_gt_u32_e64 s9, v54
	s_cbranch_execz .LBB1434_614
.LBB1434_663:                           ;   in Loop: Header=BB1434_602 Depth=2
	global_load_b32 v10, v108, s[0:1] offset:8192
	s_wait_alu 0xfffe
	s_or_b32 exec_lo, exec_lo, s11
	s_delay_alu instid0(SALU_CYCLE_1)
	s_mov_b32 s11, exec_lo
	v_cmpx_gt_u32_e64 s9, v55
	s_cbranch_execz .LBB1434_615
.LBB1434_664:                           ;   in Loop: Header=BB1434_602 Depth=2
	global_load_b32 v9, v108, s[0:1] offset:9216
	s_wait_alu 0xfffe
	s_or_b32 exec_lo, exec_lo, s11
	s_delay_alu instid0(SALU_CYCLE_1)
	s_mov_b32 s11, exec_lo
	v_cmpx_gt_u32_e64 s9, v56
	s_cbranch_execz .LBB1434_616
.LBB1434_665:                           ;   in Loop: Header=BB1434_602 Depth=2
	global_load_b32 v8, v108, s[0:1] offset:10240
	s_wait_alu 0xfffe
	s_or_b32 exec_lo, exec_lo, s11
	s_delay_alu instid0(SALU_CYCLE_1)
	s_mov_b32 s11, exec_lo
	v_cmpx_gt_u32_e64 s9, v57
	s_cbranch_execz .LBB1434_617
.LBB1434_666:                           ;   in Loop: Header=BB1434_602 Depth=2
	global_load_b32 v7, v108, s[0:1] offset:11264
	s_wait_alu 0xfffe
	s_or_b32 exec_lo, exec_lo, s11
	s_delay_alu instid0(SALU_CYCLE_1)
	s_mov_b32 s11, exec_lo
	v_cmpx_gt_u32_e64 s9, v58
	s_cbranch_execz .LBB1434_618
.LBB1434_667:                           ;   in Loop: Header=BB1434_602 Depth=2
	global_load_b32 v6, v108, s[0:1] offset:12288
	s_wait_alu 0xfffe
	s_or_b32 exec_lo, exec_lo, s11
	s_delay_alu instid0(SALU_CYCLE_1)
	s_mov_b32 s11, exec_lo
	v_cmpx_gt_u32_e64 s9, v59
	s_cbranch_execz .LBB1434_619
.LBB1434_668:                           ;   in Loop: Header=BB1434_602 Depth=2
	global_load_b32 v5, v108, s[0:1] offset:13312
	s_wait_alu 0xfffe
	s_or_b32 exec_lo, exec_lo, s11
	s_delay_alu instid0(SALU_CYCLE_1)
	s_mov_b32 s11, exec_lo
	v_cmpx_gt_u32_e64 s9, v60
	s_cbranch_execz .LBB1434_620
.LBB1434_669:                           ;   in Loop: Header=BB1434_602 Depth=2
	global_load_b32 v4, v108, s[0:1] offset:14336
	s_wait_alu 0xfffe
	s_or_b32 exec_lo, exec_lo, s11
	s_delay_alu instid0(SALU_CYCLE_1)
	s_mov_b32 s11, exec_lo
	v_cmpx_gt_u32_e64 s9, v61
	s_cbranch_execnz .LBB1434_621
	s_branch .LBB1434_622
.LBB1434_670:                           ;   in Loop: Header=BB1434_12 Depth=1
	v_mov_b32_e32 v2, 0
	s_wait_dscnt 0x0
	s_barrier_signal -1
	s_barrier_wait -1
	global_inv scope:SCOPE_SE
	s_and_saveexec_b32 s0, s2
	s_cbranch_execz .LBB1434_672
; %bb.671:                              ;   in Loop: Header=BB1434_12 Depth=1
	ds_load_2addr_b64 v[4:7], v64 offset1:1
	s_wait_dscnt 0x0
	v_add_nc_u32_e32 v2, v5, v4
	s_delay_alu instid0(VALU_DEP_1)
	v_add3_u32 v2, v2, v6, v7
.LBB1434_672:                           ;   in Loop: Header=BB1434_12 Depth=1
	s_wait_alu 0xfffe
	s_or_b32 exec_lo, exec_lo, s0
	s_delay_alu instid0(VALU_DEP_1)
	v_mov_b32_dpp v4, v2 row_shr:1 row_mask:0xf bank_mask:0xf
	v_cmp_eq_u32_e64 s0, 0, v85
	v_cmp_lt_u32_e64 s1, 1, v85
	v_cmp_lt_u32_e64 s9, 3, v85
	;; [unrolled: 1-line block ×3, first 2 shown]
	v_cmp_eq_u32_e64 s11, 0, v87
	s_wait_alu 0xf1ff
	v_cndmask_b32_e64 v4, v4, 0, s0
	s_delay_alu instid0(VALU_DEP_1) | instskip(NEXT) | instid1(VALU_DEP_1)
	v_add_nc_u32_e32 v2, v4, v2
	v_mov_b32_dpp v4, v2 row_shr:2 row_mask:0xf bank_mask:0xf
	s_delay_alu instid0(VALU_DEP_1) | instskip(NEXT) | instid1(VALU_DEP_1)
	v_cndmask_b32_e64 v4, 0, v4, s1
	v_add_nc_u32_e32 v2, v2, v4
	s_delay_alu instid0(VALU_DEP_1) | instskip(NEXT) | instid1(VALU_DEP_1)
	v_mov_b32_dpp v4, v2 row_shr:4 row_mask:0xf bank_mask:0xf
	v_cndmask_b32_e64 v4, 0, v4, s9
	s_delay_alu instid0(VALU_DEP_1) | instskip(NEXT) | instid1(VALU_DEP_1)
	v_add_nc_u32_e32 v2, v2, v4
	v_mov_b32_dpp v4, v2 row_shr:8 row_mask:0xf bank_mask:0xf
	s_delay_alu instid0(VALU_DEP_1) | instskip(NEXT) | instid1(VALU_DEP_1)
	v_cndmask_b32_e64 v4, 0, v4, s10
	v_add_nc_u32_e32 v2, v2, v4
	ds_swizzle_b32 v4, v2 offset:swizzle(BROADCAST,32,15)
	s_wait_dscnt 0x0
	v_and_b32_e32 v4, v86, v4
	s_delay_alu instid0(VALU_DEP_1)
	v_add_nc_u32_e32 v2, v2, v4
	s_and_saveexec_b32 s12, s3
; %bb.673:                              ;   in Loop: Header=BB1434_12 Depth=1
	ds_store_b32 v65, v2
; %bb.674:                              ;   in Loop: Header=BB1434_12 Depth=1
	s_wait_alu 0xfffe
	s_or_b32 exec_lo, exec_lo, s12
	s_wait_loadcnt_dscnt 0x0
	s_barrier_signal -1
	s_barrier_wait -1
	global_inv scope:SCOPE_SE
	s_and_saveexec_b32 s12, s4
	s_cbranch_execz .LBB1434_676
; %bb.675:                              ;   in Loop: Header=BB1434_12 Depth=1
	ds_load_b32 v4, v66
	v_cmp_ne_u32_e32 vcc_lo, 0, v89
	s_wait_dscnt 0x0
	v_mov_b32_dpp v5, v4 row_shr:1 row_mask:0xf bank_mask:0xf
	s_wait_alu 0xfffd
	s_delay_alu instid0(VALU_DEP_1) | instskip(SKIP_1) | instid1(VALU_DEP_2)
	v_cndmask_b32_e32 v5, 0, v5, vcc_lo
	v_cmp_lt_u32_e32 vcc_lo, 1, v89
	v_add_nc_u32_e32 v4, v5, v4
	s_delay_alu instid0(VALU_DEP_1) | instskip(SKIP_1) | instid1(VALU_DEP_1)
	v_mov_b32_dpp v5, v4 row_shr:2 row_mask:0xf bank_mask:0xf
	s_wait_alu 0xfffd
	v_cndmask_b32_e32 v5, 0, v5, vcc_lo
	v_cmp_lt_u32_e32 vcc_lo, 3, v89
	s_delay_alu instid0(VALU_DEP_2) | instskip(NEXT) | instid1(VALU_DEP_1)
	v_add_nc_u32_e32 v4, v4, v5
	v_mov_b32_dpp v5, v4 row_shr:4 row_mask:0xf bank_mask:0xf
	s_wait_alu 0xfffd
	s_delay_alu instid0(VALU_DEP_1) | instskip(NEXT) | instid1(VALU_DEP_1)
	v_cndmask_b32_e32 v5, 0, v5, vcc_lo
	v_add_nc_u32_e32 v4, v4, v5
	ds_store_b32 v66, v4
.LBB1434_676:                           ;   in Loop: Header=BB1434_12 Depth=1
	s_wait_alu 0xfffe
	s_or_b32 exec_lo, exec_lo, s12
	v_mov_b32_e32 v4, 0
	s_wait_loadcnt_dscnt 0x0
	s_barrier_signal -1
	s_barrier_wait -1
	global_inv scope:SCOPE_SE
	s_and_saveexec_b32 s12, s5
; %bb.677:                              ;   in Loop: Header=BB1434_12 Depth=1
	ds_load_b32 v4, v68
; %bb.678:                              ;   in Loop: Header=BB1434_12 Depth=1
	s_wait_alu 0xfffe
	s_or_b32 exec_lo, exec_lo, s12
	v_cmp_gt_i32_e32 vcc_lo, 0, v90
	s_wait_loadcnt_dscnt 0x0
	s_barrier_signal -1
	s_barrier_wait -1
	global_inv scope:SCOPE_SE
	s_wait_alu 0xfffd
	v_dual_cndmask_b32 v5, v90, v81 :: v_dual_add_nc_u32 v2, v4, v2
	s_delay_alu instid0(VALU_DEP_1)
	v_lshlrev_b32_e32 v113, 2, v5
	ds_bpermute_b32 v2, v113, v2
	s_and_saveexec_b32 s12, s2
	s_cbranch_execz .LBB1434_680
; %bb.679:                              ;   in Loop: Header=BB1434_12 Depth=1
	s_wait_dscnt 0x0
	v_cndmask_b32_e64 v2, v2, v4, s8
	s_delay_alu instid0(VALU_DEP_1)
	v_add_nc_u32_e32 v2, s33, v2
	ds_store_b32 v44, v2
.LBB1434_680:                           ;   in Loop: Header=BB1434_12 Depth=1
	s_wait_alu 0xfffe
	s_or_b32 exec_lo, exec_lo, s12
	s_load_b64 s[12:13], s[34:35], 0x0
	v_add_co_u32 v114, vcc_lo, v79, v91
	s_wait_alu 0xfffd
	v_add_co_ci_u32_e64 v115, null, 0, v80, vcc_lo
	v_add_co_u32 v116, vcc_lo, v82, v107
	s_wait_alu 0xfffd
	v_add_co_ci_u32_e64 v117, null, 0, v83, vcc_lo
	s_mov_b32 s54, s53
                                        ; implicit-def: $vgpr6_vgpr7
                                        ; implicit-def: $vgpr8_vgpr9
                                        ; implicit-def: $vgpr10_vgpr11
                                        ; implicit-def: $vgpr12_vgpr13
                                        ; implicit-def: $vgpr14_vgpr15
                                        ; implicit-def: $vgpr16_vgpr17
                                        ; implicit-def: $vgpr18_vgpr19
                                        ; implicit-def: $vgpr20_vgpr21
                                        ; implicit-def: $vgpr22_vgpr23
                                        ; implicit-def: $vgpr24_vgpr25
                                        ; implicit-def: $vgpr26_vgpr27
                                        ; implicit-def: $vgpr28_vgpr29
                                        ; implicit-def: $vgpr30_vgpr31
                                        ; implicit-def: $vgpr32_vgpr33
                                        ; implicit-def: $vgpr34_vgpr35
                                        ; implicit-def: $vgpr119
                                        ; implicit-def: $vgpr120
                                        ; implicit-def: $vgpr121
                                        ; implicit-def: $vgpr122
                                        ; implicit-def: $vgpr123
                                        ; implicit-def: $vgpr124
                                        ; implicit-def: $vgpr125
                                        ; implicit-def: $vgpr126
                                        ; implicit-def: $vgpr127
                                        ; implicit-def: $vgpr128
                                        ; implicit-def: $vgpr129
                                        ; implicit-def: $vgpr130
                                        ; implicit-def: $vgpr131
                                        ; implicit-def: $vgpr132
                                        ; implicit-def: $vgpr133
                                        ; implicit-def: $vgpr134
	s_wait_kmcnt 0x0
	s_cmp_lt_u32 ttmp7, s13
	s_cselect_b32 s42, 14, 20
	s_cmp_lt_u32 ttmp9, s12
	s_wait_alu 0xfffe
	s_add_nc_u64 s[14:15], s[34:35], s[42:43]
	s_cselect_b32 s42, 12, 18
	s_load_u16 s14, s[14:15], 0x0
	s_add_nc_u64 s[12:13], s[34:35], s[42:43]
	s_mov_b32 s42, s33
	s_load_u16 s12, s[12:13], 0x0
	v_cmp_lt_u32_e64 s13, 1, v89
	s_wait_dscnt 0x0
	s_wait_kmcnt 0x0
	v_mad_u32_u24 v2, v69, s14, v0
	v_cmp_lt_u32_e64 s14, 3, v89
	s_delay_alu instid0(VALU_DEP_2) | instskip(SKIP_1) | instid1(VALU_DEP_2)
	v_mad_co_u64_u32 v[4:5], null, v2, s12, v[1:2]
	v_cmp_eq_u32_e64 s12, 0, v89
	v_lshrrev_b32_e32 v2, 3, v4
                                        ; implicit-def: $vgpr4_vgpr5
	s_delay_alu instid0(VALU_DEP_1)
	v_and_b32_e32 v118, 0x1ffffffc, v2
	s_branch .LBB1434_682
.LBB1434_681:                           ;   in Loop: Header=BB1434_682 Depth=2
	s_wait_alu 0xfffe
	s_or_b32 exec_lo, exec_lo, s15
	s_addk_co_i32 s54, 0xf000
	s_cmp_lt_u32 s55, s51
	s_mov_b32 s42, s55
	s_cbranch_scc0 .LBB1434_890
.LBB1434_682:                           ;   Parent Loop BB1434_12 Depth=1
                                        ; =>  This Inner Loop Header: Depth=2
	s_wait_alu 0xfffe
	s_add_co_i32 s55, s42, 0x1000
	s_wait_alu 0xfffe
	s_cmp_gt_u32 s55, s51
	s_cbranch_scc1 .LBB1434_684
; %bb.683:                              ;   in Loop: Header=BB1434_682 Depth=2
	s_lshl_b64 s[16:17], s[42:43], 2
	s_mov_b32 s15, -1
	s_wait_alu 0xfffe
	v_add_co_u32 v36, vcc_lo, v116, s16
	s_wait_alu 0xfffd
	v_add_co_ci_u32_e64 v37, null, s17, v117, vcc_lo
	s_clause 0xe
	global_load_b32 v2, v[36:37], off
	global_load_b32 v136, v[36:37], off offset:128
	global_load_b32 v143, v[36:37], off offset:256
	;; [unrolled: 1-line block ×14, first 2 shown]
	s_movk_i32 s16, 0x1000
	s_cbranch_execz .LBB1434_685
	s_branch .LBB1434_716
.LBB1434_684:                           ;   in Loop: Header=BB1434_682 Depth=2
	s_mov_b32 s15, 0
                                        ; implicit-def: $vgpr2
                                        ; implicit-def: $vgpr136
                                        ; implicit-def: $vgpr143
                                        ; implicit-def: $vgpr147
                                        ; implicit-def: $vgpr151
                                        ; implicit-def: $vgpr155
                                        ; implicit-def: $vgpr159
                                        ; implicit-def: $vgpr163
                                        ; implicit-def: $vgpr166
                                        ; implicit-def: $vgpr43
                                        ; implicit-def: $vgpr42
                                        ; implicit-def: $vgpr41
                                        ; implicit-def: $vgpr40
                                        ; implicit-def: $vgpr39
                                        ; implicit-def: $vgpr38
	s_movk_i32 s16, 0x1000
.LBB1434_685:                           ;   in Loop: Header=BB1434_682 Depth=2
	s_lshl_b64 s[16:17], s[42:43], 2
	s_wait_loadcnt 0xd
	v_bfrev_b32_e32 v136, -2
	s_wait_alu 0xfffe
	v_add_co_u32 v36, vcc_lo, v116, s16
	s_wait_alu 0xfffd
	v_add_co_ci_u32_e64 v37, null, s17, v117, vcc_lo
	v_bfrev_b32_e32 v2, -2
	s_mov_b32 s15, exec_lo
	v_cmpx_gt_u32_e64 s54, v88
	s_cbranch_execz .LBB1434_687
; %bb.686:                              ;   in Loop: Header=BB1434_682 Depth=2
	global_load_b32 v2, v[36:37], off
.LBB1434_687:                           ;   in Loop: Header=BB1434_682 Depth=2
	s_wait_alu 0xfffe
	s_or_b32 exec_lo, exec_lo, s15
	s_delay_alu instid0(SALU_CYCLE_1)
	s_mov_b32 s15, exec_lo
	v_cmpx_gt_u32_e64 s54, v92
	s_cbranch_execz .LBB1434_689
; %bb.688:                              ;   in Loop: Header=BB1434_682 Depth=2
	global_load_b32 v136, v[36:37], off offset:128
.LBB1434_689:                           ;   in Loop: Header=BB1434_682 Depth=2
	s_wait_alu 0xfffe
	s_or_b32 exec_lo, exec_lo, s15
	s_wait_loadcnt 0xb
	v_bfrev_b32_e32 v147, -2
	v_bfrev_b32_e32 v143, -2
	s_mov_b32 s15, exec_lo
	v_cmpx_gt_u32_e64 s54, v93
	s_cbranch_execz .LBB1434_691
; %bb.690:                              ;   in Loop: Header=BB1434_682 Depth=2
	global_load_b32 v143, v[36:37], off offset:256
.LBB1434_691:                           ;   in Loop: Header=BB1434_682 Depth=2
	s_wait_alu 0xfffe
	s_or_b32 exec_lo, exec_lo, s15
	s_delay_alu instid0(SALU_CYCLE_1)
	s_mov_b32 s15, exec_lo
	v_cmpx_gt_u32_e64 s54, v94
	s_cbranch_execz .LBB1434_693
; %bb.692:                              ;   in Loop: Header=BB1434_682 Depth=2
	global_load_b32 v147, v[36:37], off offset:384
.LBB1434_693:                           ;   in Loop: Header=BB1434_682 Depth=2
	s_wait_alu 0xfffe
	s_or_b32 exec_lo, exec_lo, s15
	s_wait_loadcnt 0x9
	v_bfrev_b32_e32 v155, -2
	v_bfrev_b32_e32 v151, -2
	s_mov_b32 s15, exec_lo
	v_cmpx_gt_u32_e64 s54, v95
	s_cbranch_execz .LBB1434_695
; %bb.694:                              ;   in Loop: Header=BB1434_682 Depth=2
	global_load_b32 v151, v[36:37], off offset:512
.LBB1434_695:                           ;   in Loop: Header=BB1434_682 Depth=2
	;; [unrolled: 20-line block ×6, first 2 shown]
	s_wait_alu 0xfffe
	s_or_b32 exec_lo, exec_lo, s15
	s_delay_alu instid0(SALU_CYCLE_1)
	s_mov_b32 s15, exec_lo
	v_cmpx_gt_u32_e64 s54, v104
	s_cbranch_execz .LBB1434_713
; %bb.712:                              ;   in Loop: Header=BB1434_682 Depth=2
	global_load_b32 v39, v[36:37], off offset:1664
.LBB1434_713:                           ;   in Loop: Header=BB1434_682 Depth=2
	s_wait_alu 0xfffe
	s_or_b32 exec_lo, exec_lo, s15
	s_wait_loadcnt 0x0
	v_bfrev_b32_e32 v38, -2
	s_mov_b32 s15, exec_lo
	v_cmpx_gt_u32_e64 s54, v105
	s_cbranch_execz .LBB1434_715
; %bb.714:                              ;   in Loop: Header=BB1434_682 Depth=2
	global_load_b32 v38, v[36:37], off offset:1792
.LBB1434_715:                           ;   in Loop: Header=BB1434_682 Depth=2
	s_wait_alu 0xfffe
	s_or_b32 exec_lo, exec_lo, s15
	v_cmp_gt_u32_e64 s15, s54, v106
	s_sub_co_i32 s16, s51, s42
.LBB1434_716:                           ;   in Loop: Header=BB1434_682 Depth=2
	v_bfrev_b32_e32 v36, -2
	v_mov_b32_e32 v135, s54
	s_and_saveexec_b32 s17, s15
	s_cbranch_execz .LBB1434_718
; %bb.717:                              ;   in Loop: Header=BB1434_682 Depth=2
	s_lshl_b64 s[18:19], s[42:43], 2
	s_wait_alu 0xfffe
	v_mov_b32_e32 v135, s16
	v_add_co_u32 v36, vcc_lo, v116, s18
	s_wait_alu 0xfffd
	v_add_co_ci_u32_e64 v37, null, s19, v117, vcc_lo
	global_load_b32 v36, v[36:37], off offset:1920
.LBB1434_718:                           ;   in Loop: Header=BB1434_682 Depth=2
	s_wait_alu 0xfffe
	s_or_b32 exec_lo, exec_lo, s17
	s_wait_loadcnt 0xe
	v_cmp_lt_i32_e32 vcc_lo, -1, v2
	s_wait_alu 0xfffd
	v_cndmask_b32_e64 v37, -1, 0x80000000, vcc_lo
	s_delay_alu instid0(VALU_DEP_1) | instskip(NEXT) | instid1(VALU_DEP_1)
	v_xor_b32_e32 v2, v37, v2
	v_cmp_ne_u32_e32 vcc_lo, 0x7fffffff, v2
	s_wait_alu 0xfffd
	v_cndmask_b32_e32 v37, 0x80000000, v2, vcc_lo
	s_delay_alu instid0(VALU_DEP_1) | instskip(NEXT) | instid1(VALU_DEP_1)
	v_lshrrev_b32_e32 v37, s49, v37
	v_and_b32_e32 v142, s48, v37
	s_delay_alu instid0(VALU_DEP_1)
	v_and_b32_e32 v37, 1, v142
	v_lshlrev_b32_e32 v137, 30, v142
	v_lshlrev_b32_e32 v138, 29, v142
	v_lshlrev_b32_e32 v139, 28, v142
	v_lshlrev_b32_e32 v141, 27, v142
	v_add_co_u32 v37, s15, v37, -1
	s_wait_alu 0xf1ff
	v_cndmask_b32_e64 v140, 0, 1, s15
	v_not_b32_e32 v146, v137
	v_cmp_gt_i32_e64 s15, 0, v137
	v_not_b32_e32 v137, v138
	v_lshlrev_b32_e32 v144, 26, v142
	v_cmp_ne_u32_e32 vcc_lo, 0, v140
	v_ashrrev_i32_e32 v146, 31, v146
	v_lshlrev_b32_e32 v145, 25, v142
	v_ashrrev_i32_e32 v137, 31, v137
	v_lshlrev_b32_e32 v140, 24, v142
	s_wait_alu 0xfffd
	v_xor_b32_e32 v37, vcc_lo, v37
	v_cmp_gt_i32_e32 vcc_lo, 0, v138
	v_not_b32_e32 v138, v139
	s_wait_alu 0xf1ff
	v_xor_b32_e32 v146, s15, v146
	v_cmp_gt_i32_e64 s15, 0, v139
	v_and_b32_e32 v37, exec_lo, v37
	v_not_b32_e32 v139, v141
	v_ashrrev_i32_e32 v138, 31, v138
	s_wait_alu 0xfffd
	v_xor_b32_e32 v137, vcc_lo, v137
	v_cmp_gt_i32_e32 vcc_lo, 0, v141
	v_and_b32_e32 v37, v37, v146
	v_not_b32_e32 v141, v144
	v_ashrrev_i32_e32 v139, 31, v139
	s_wait_alu 0xf1ff
	v_xor_b32_e32 v138, s15, v138
	v_cmp_gt_i32_e64 s15, 0, v144
	v_and_b32_e32 v37, v37, v137
	v_not_b32_e32 v137, v145
	v_ashrrev_i32_e32 v141, 31, v141
	s_wait_alu 0xfffd
	v_xor_b32_e32 v139, vcc_lo, v139
	v_cmp_gt_i32_e32 vcc_lo, 0, v145
	v_and_b32_e32 v37, v37, v138
	v_not_b32_e32 v138, v140
	v_ashrrev_i32_e32 v137, 31, v137
	s_wait_alu 0xf1ff
	v_xor_b32_e32 v141, s15, v141
	v_cmp_gt_i32_e64 s15, 0, v140
	v_and_b32_e32 v37, v37, v139
	v_ashrrev_i32_e32 v138, 31, v138
	s_wait_alu 0xfffd
	v_xor_b32_e32 v137, vcc_lo, v137
	v_mul_u32_u24_e32 v142, 36, v142
	v_add_nc_u32_e32 v140, 0x428, v67
	v_and_b32_e32 v37, v37, v141
	s_wait_alu 0xf1ff
	v_xor_b32_e32 v139, s15, v138
	v_add_nc_u32_e32 v138, 0x438, v67
	v_add_nc_u32_e32 v141, 0x430, v67
	;; [unrolled: 1-line block ×3, first 2 shown]
	v_and_b32_e32 v37, v37, v137
	ds_store_2addr_b32 v138, v3, v3 offset1:1
	v_and_b32_e32 v37, v37, v139
	v_add_nc_u32_e32 v139, 0x420, v67
	ds_store_2addr_b32 v139, v3, v3 offset1:1
	ds_store_2addr_b32 v140, v3, v3 offset1:1
	;; [unrolled: 1-line block ×3, first 2 shown]
	ds_store_b32 v67, v3 offset:1088
	v_mbcnt_lo_u32_b32 v137, v37, 0
	v_cmp_ne_u32_e64 s15, 0, v37
	s_wait_loadcnt_dscnt 0x0
	s_barrier_signal -1
	s_barrier_wait -1
	v_cmp_eq_u32_e32 vcc_lo, 0, v137
	global_inv scope:SCOPE_SE
	; wave barrier
	s_and_b32 s16, s15, vcc_lo
	s_wait_alu 0xfffe
	s_and_saveexec_b32 s15, s16
; %bb.719:                              ;   in Loop: Header=BB1434_682 Depth=2
	v_bcnt_u32_b32 v37, v37, 0
	ds_store_b32 v142, v37 offset:1056
; %bb.720:                              ;   in Loop: Header=BB1434_682 Depth=2
	s_wait_alu 0xfffe
	s_or_b32 exec_lo, exec_lo, s15
	v_cmp_lt_i32_e32 vcc_lo, -1, v136
	; wave barrier
	s_wait_alu 0xfffd
	v_cndmask_b32_e64 v37, -1, 0x80000000, vcc_lo
	s_delay_alu instid0(VALU_DEP_1) | instskip(NEXT) | instid1(VALU_DEP_1)
	v_xor_b32_e32 v136, v37, v136
	v_cmp_ne_u32_e32 vcc_lo, 0x7fffffff, v136
	s_wait_alu 0xfffd
	v_cndmask_b32_e32 v37, 0x80000000, v136, vcc_lo
	s_delay_alu instid0(VALU_DEP_1) | instskip(NEXT) | instid1(VALU_DEP_1)
	v_lshrrev_b32_e32 v37, s49, v37
	v_and_b32_e32 v146, s48, v37
	s_delay_alu instid0(VALU_DEP_1)
	v_and_b32_e32 v37, 1, v146
	v_lshlrev_b32_e32 v144, 30, v146
	v_lshlrev_b32_e32 v145, 29, v146
	;; [unrolled: 1-line block ×4, first 2 shown]
	v_add_co_u32 v37, s15, v37, -1
	s_wait_alu 0xf1ff
	v_cndmask_b32_e64 v149, 0, 1, s15
	v_not_b32_e32 v154, v144
	v_cmp_gt_i32_e64 s15, 0, v144
	v_not_b32_e32 v144, v145
	v_lshlrev_b32_e32 v152, 26, v146
	v_cmp_ne_u32_e32 vcc_lo, 0, v149
	v_ashrrev_i32_e32 v154, 31, v154
	v_lshlrev_b32_e32 v153, 25, v146
	v_ashrrev_i32_e32 v144, 31, v144
	v_lshlrev_b32_e32 v149, 24, v146
	s_wait_alu 0xfffd
	v_xor_b32_e32 v37, vcc_lo, v37
	v_cmp_gt_i32_e32 vcc_lo, 0, v145
	v_not_b32_e32 v145, v148
	s_wait_alu 0xf1ff
	v_xor_b32_e32 v154, s15, v154
	v_cmp_gt_i32_e64 s15, 0, v148
	v_and_b32_e32 v37, exec_lo, v37
	v_not_b32_e32 v148, v150
	v_ashrrev_i32_e32 v145, 31, v145
	s_wait_alu 0xfffd
	v_xor_b32_e32 v144, vcc_lo, v144
	v_cmp_gt_i32_e32 vcc_lo, 0, v150
	v_and_b32_e32 v37, v37, v154
	v_not_b32_e32 v150, v152
	v_ashrrev_i32_e32 v148, 31, v148
	s_wait_alu 0xf1ff
	v_xor_b32_e32 v145, s15, v145
	v_cmp_gt_i32_e64 s15, 0, v152
	v_and_b32_e32 v37, v37, v144
	v_not_b32_e32 v144, v153
	v_ashrrev_i32_e32 v150, 31, v150
	s_wait_alu 0xfffd
	v_xor_b32_e32 v148, vcc_lo, v148
	v_cmp_gt_i32_e32 vcc_lo, 0, v153
	v_and_b32_e32 v37, v37, v145
	v_not_b32_e32 v145, v149
	v_ashrrev_i32_e32 v144, 31, v144
	s_wait_alu 0xf1ff
	v_xor_b32_e32 v150, s15, v150
	v_cmp_gt_i32_e64 s15, 0, v149
	v_and_b32_e32 v37, v37, v148
	v_ashrrev_i32_e32 v145, 31, v145
	s_wait_alu 0xfffd
	v_xor_b32_e32 v144, vcc_lo, v144
	v_mad_u32_u24 v148, v146, 36, v118
	v_mul_u32_u24_e32 v146, 36, v146
	v_and_b32_e32 v37, v37, v150
	s_wait_alu 0xf1ff
	v_xor_b32_e32 v145, s15, v145
	s_delay_alu instid0(VALU_DEP_3) | instskip(NEXT) | instid1(VALU_DEP_3)
	v_add_nc_u32_e32 v146, v118, v146
	v_and_b32_e32 v37, v37, v144
	ds_load_b32 v144, v148 offset:1056
	; wave barrier
	v_and_b32_e32 v37, v37, v145
	s_delay_alu instid0(VALU_DEP_1) | instskip(SKIP_1) | instid1(VALU_DEP_2)
	v_mbcnt_lo_u32_b32 v145, v37, 0
	v_cmp_ne_u32_e64 s15, 0, v37
	v_cmp_eq_u32_e32 vcc_lo, 0, v145
	s_and_b32 s16, s15, vcc_lo
	s_wait_alu 0xfffe
	s_and_saveexec_b32 s15, s16
	s_cbranch_execz .LBB1434_722
; %bb.721:                              ;   in Loop: Header=BB1434_682 Depth=2
	s_wait_dscnt 0x0
	v_bcnt_u32_b32 v37, v37, v144
	ds_store_b32 v146, v37 offset:1056
.LBB1434_722:                           ;   in Loop: Header=BB1434_682 Depth=2
	s_wait_alu 0xfffe
	s_or_b32 exec_lo, exec_lo, s15
	v_cmp_lt_i32_e32 vcc_lo, -1, v143
	; wave barrier
	s_wait_alu 0xfffd
	v_cndmask_b32_e64 v37, -1, 0x80000000, vcc_lo
	s_delay_alu instid0(VALU_DEP_1) | instskip(NEXT) | instid1(VALU_DEP_1)
	v_xor_b32_e32 v143, v37, v143
	v_cmp_ne_u32_e32 vcc_lo, 0x7fffffff, v143
	s_wait_alu 0xfffd
	v_cndmask_b32_e32 v37, 0x80000000, v143, vcc_lo
	s_delay_alu instid0(VALU_DEP_1) | instskip(NEXT) | instid1(VALU_DEP_1)
	v_lshrrev_b32_e32 v37, s49, v37
	v_and_b32_e32 v150, s48, v37
	s_delay_alu instid0(VALU_DEP_1)
	v_and_b32_e32 v37, 1, v150
	v_lshlrev_b32_e32 v148, 30, v150
	v_lshlrev_b32_e32 v149, 29, v150
	;; [unrolled: 1-line block ×4, first 2 shown]
	v_add_co_u32 v37, s15, v37, -1
	s_wait_alu 0xf1ff
	v_cndmask_b32_e64 v153, 0, 1, s15
	v_not_b32_e32 v158, v148
	v_cmp_gt_i32_e64 s15, 0, v148
	v_not_b32_e32 v148, v149
	v_lshlrev_b32_e32 v156, 26, v150
	v_cmp_ne_u32_e32 vcc_lo, 0, v153
	v_ashrrev_i32_e32 v158, 31, v158
	v_lshlrev_b32_e32 v157, 25, v150
	v_ashrrev_i32_e32 v148, 31, v148
	v_lshlrev_b32_e32 v153, 24, v150
	s_wait_alu 0xfffd
	v_xor_b32_e32 v37, vcc_lo, v37
	v_cmp_gt_i32_e32 vcc_lo, 0, v149
	v_not_b32_e32 v149, v152
	s_wait_alu 0xf1ff
	v_xor_b32_e32 v158, s15, v158
	v_cmp_gt_i32_e64 s15, 0, v152
	v_and_b32_e32 v37, exec_lo, v37
	v_not_b32_e32 v152, v154
	v_ashrrev_i32_e32 v149, 31, v149
	s_wait_alu 0xfffd
	v_xor_b32_e32 v148, vcc_lo, v148
	v_cmp_gt_i32_e32 vcc_lo, 0, v154
	v_and_b32_e32 v37, v37, v158
	v_not_b32_e32 v154, v156
	v_ashrrev_i32_e32 v152, 31, v152
	s_wait_alu 0xf1ff
	v_xor_b32_e32 v149, s15, v149
	v_cmp_gt_i32_e64 s15, 0, v156
	v_and_b32_e32 v37, v37, v148
	v_not_b32_e32 v148, v157
	v_ashrrev_i32_e32 v154, 31, v154
	s_wait_alu 0xfffd
	v_xor_b32_e32 v152, vcc_lo, v152
	v_cmp_gt_i32_e32 vcc_lo, 0, v157
	v_and_b32_e32 v37, v37, v149
	v_not_b32_e32 v149, v153
	v_ashrrev_i32_e32 v148, 31, v148
	s_wait_alu 0xf1ff
	v_xor_b32_e32 v154, s15, v154
	v_cmp_gt_i32_e64 s15, 0, v153
	v_and_b32_e32 v37, v37, v152
	v_ashrrev_i32_e32 v149, 31, v149
	s_wait_alu 0xfffd
	v_xor_b32_e32 v148, vcc_lo, v148
	v_mad_u32_u24 v152, v150, 36, v118
	v_mul_u32_u24_e32 v150, 36, v150
	v_and_b32_e32 v37, v37, v154
	s_wait_alu 0xf1ff
	v_xor_b32_e32 v149, s15, v149
	s_delay_alu instid0(VALU_DEP_3) | instskip(NEXT) | instid1(VALU_DEP_3)
	v_add_nc_u32_e32 v150, v118, v150
	v_and_b32_e32 v37, v37, v148
	ds_load_b32 v148, v152 offset:1056
	; wave barrier
	v_and_b32_e32 v37, v37, v149
	s_delay_alu instid0(VALU_DEP_1) | instskip(SKIP_1) | instid1(VALU_DEP_2)
	v_mbcnt_lo_u32_b32 v149, v37, 0
	v_cmp_ne_u32_e64 s15, 0, v37
	v_cmp_eq_u32_e32 vcc_lo, 0, v149
	s_and_b32 s16, s15, vcc_lo
	s_wait_alu 0xfffe
	s_and_saveexec_b32 s15, s16
	s_cbranch_execz .LBB1434_724
; %bb.723:                              ;   in Loop: Header=BB1434_682 Depth=2
	s_wait_dscnt 0x0
	v_bcnt_u32_b32 v37, v37, v148
	ds_store_b32 v150, v37 offset:1056
.LBB1434_724:                           ;   in Loop: Header=BB1434_682 Depth=2
	s_wait_alu 0xfffe
	s_or_b32 exec_lo, exec_lo, s15
	v_cmp_lt_i32_e32 vcc_lo, -1, v147
	; wave barrier
	s_wait_alu 0xfffd
	v_cndmask_b32_e64 v37, -1, 0x80000000, vcc_lo
	s_delay_alu instid0(VALU_DEP_1) | instskip(NEXT) | instid1(VALU_DEP_1)
	v_xor_b32_e32 v147, v37, v147
	v_cmp_ne_u32_e32 vcc_lo, 0x7fffffff, v147
	s_wait_alu 0xfffd
	v_cndmask_b32_e32 v37, 0x80000000, v147, vcc_lo
	s_delay_alu instid0(VALU_DEP_1) | instskip(NEXT) | instid1(VALU_DEP_1)
	v_lshrrev_b32_e32 v37, s49, v37
	v_and_b32_e32 v154, s48, v37
	s_delay_alu instid0(VALU_DEP_1)
	v_and_b32_e32 v37, 1, v154
	v_lshlrev_b32_e32 v152, 30, v154
	v_lshlrev_b32_e32 v153, 29, v154
	;; [unrolled: 1-line block ×4, first 2 shown]
	v_add_co_u32 v37, s15, v37, -1
	s_wait_alu 0xf1ff
	v_cndmask_b32_e64 v157, 0, 1, s15
	v_not_b32_e32 v162, v152
	v_cmp_gt_i32_e64 s15, 0, v152
	v_not_b32_e32 v152, v153
	v_lshlrev_b32_e32 v160, 26, v154
	v_cmp_ne_u32_e32 vcc_lo, 0, v157
	v_ashrrev_i32_e32 v162, 31, v162
	v_lshlrev_b32_e32 v161, 25, v154
	v_ashrrev_i32_e32 v152, 31, v152
	v_lshlrev_b32_e32 v157, 24, v154
	s_wait_alu 0xfffd
	v_xor_b32_e32 v37, vcc_lo, v37
	v_cmp_gt_i32_e32 vcc_lo, 0, v153
	v_not_b32_e32 v153, v156
	s_wait_alu 0xf1ff
	v_xor_b32_e32 v162, s15, v162
	v_cmp_gt_i32_e64 s15, 0, v156
	v_and_b32_e32 v37, exec_lo, v37
	v_not_b32_e32 v156, v158
	v_ashrrev_i32_e32 v153, 31, v153
	s_wait_alu 0xfffd
	v_xor_b32_e32 v152, vcc_lo, v152
	v_cmp_gt_i32_e32 vcc_lo, 0, v158
	v_and_b32_e32 v37, v37, v162
	v_not_b32_e32 v158, v160
	v_ashrrev_i32_e32 v156, 31, v156
	s_wait_alu 0xf1ff
	v_xor_b32_e32 v153, s15, v153
	v_cmp_gt_i32_e64 s15, 0, v160
	v_and_b32_e32 v37, v37, v152
	v_not_b32_e32 v152, v161
	v_ashrrev_i32_e32 v158, 31, v158
	s_wait_alu 0xfffd
	v_xor_b32_e32 v156, vcc_lo, v156
	v_cmp_gt_i32_e32 vcc_lo, 0, v161
	v_and_b32_e32 v37, v37, v153
	v_not_b32_e32 v153, v157
	v_ashrrev_i32_e32 v152, 31, v152
	s_wait_alu 0xf1ff
	v_xor_b32_e32 v158, s15, v158
	v_cmp_gt_i32_e64 s15, 0, v157
	v_and_b32_e32 v37, v37, v156
	v_ashrrev_i32_e32 v153, 31, v153
	s_wait_alu 0xfffd
	v_xor_b32_e32 v152, vcc_lo, v152
	v_mad_u32_u24 v156, v154, 36, v118
	v_mul_u32_u24_e32 v154, 36, v154
	v_and_b32_e32 v37, v37, v158
	s_wait_alu 0xf1ff
	v_xor_b32_e32 v153, s15, v153
	s_delay_alu instid0(VALU_DEP_3) | instskip(NEXT) | instid1(VALU_DEP_3)
	v_add_nc_u32_e32 v154, v118, v154
	v_and_b32_e32 v37, v37, v152
	ds_load_b32 v152, v156 offset:1056
	; wave barrier
	v_and_b32_e32 v37, v37, v153
	s_delay_alu instid0(VALU_DEP_1) | instskip(SKIP_1) | instid1(VALU_DEP_2)
	v_mbcnt_lo_u32_b32 v153, v37, 0
	v_cmp_ne_u32_e64 s15, 0, v37
	v_cmp_eq_u32_e32 vcc_lo, 0, v153
	s_and_b32 s16, s15, vcc_lo
	s_wait_alu 0xfffe
	s_and_saveexec_b32 s15, s16
	s_cbranch_execz .LBB1434_726
; %bb.725:                              ;   in Loop: Header=BB1434_682 Depth=2
	s_wait_dscnt 0x0
	v_bcnt_u32_b32 v37, v37, v152
	ds_store_b32 v154, v37 offset:1056
.LBB1434_726:                           ;   in Loop: Header=BB1434_682 Depth=2
	s_wait_alu 0xfffe
	s_or_b32 exec_lo, exec_lo, s15
	v_cmp_lt_i32_e32 vcc_lo, -1, v151
	; wave barrier
	s_wait_alu 0xfffd
	v_cndmask_b32_e64 v37, -1, 0x80000000, vcc_lo
	s_delay_alu instid0(VALU_DEP_1) | instskip(NEXT) | instid1(VALU_DEP_1)
	v_xor_b32_e32 v151, v37, v151
	v_cmp_ne_u32_e32 vcc_lo, 0x7fffffff, v151
	s_wait_alu 0xfffd
	v_cndmask_b32_e32 v37, 0x80000000, v151, vcc_lo
	s_delay_alu instid0(VALU_DEP_1) | instskip(NEXT) | instid1(VALU_DEP_1)
	v_lshrrev_b32_e32 v37, s49, v37
	v_and_b32_e32 v158, s48, v37
	s_delay_alu instid0(VALU_DEP_1)
	v_and_b32_e32 v37, 1, v158
	v_lshlrev_b32_e32 v156, 30, v158
	v_lshlrev_b32_e32 v157, 29, v158
	;; [unrolled: 1-line block ×4, first 2 shown]
	v_add_co_u32 v37, s15, v37, -1
	s_wait_alu 0xf1ff
	v_cndmask_b32_e64 v161, 0, 1, s15
	v_not_b32_e32 v167, v156
	v_cmp_gt_i32_e64 s15, 0, v156
	v_not_b32_e32 v156, v157
	v_lshlrev_b32_e32 v164, 26, v158
	v_cmp_ne_u32_e32 vcc_lo, 0, v161
	v_ashrrev_i32_e32 v167, 31, v167
	v_lshlrev_b32_e32 v165, 25, v158
	v_ashrrev_i32_e32 v156, 31, v156
	v_lshlrev_b32_e32 v161, 24, v158
	s_wait_alu 0xfffd
	v_xor_b32_e32 v37, vcc_lo, v37
	v_cmp_gt_i32_e32 vcc_lo, 0, v157
	v_not_b32_e32 v157, v160
	s_wait_alu 0xf1ff
	v_xor_b32_e32 v167, s15, v167
	v_cmp_gt_i32_e64 s15, 0, v160
	v_and_b32_e32 v37, exec_lo, v37
	v_not_b32_e32 v160, v162
	v_ashrrev_i32_e32 v157, 31, v157
	s_wait_alu 0xfffd
	v_xor_b32_e32 v156, vcc_lo, v156
	v_cmp_gt_i32_e32 vcc_lo, 0, v162
	v_and_b32_e32 v37, v37, v167
	v_not_b32_e32 v162, v164
	v_ashrrev_i32_e32 v160, 31, v160
	s_wait_alu 0xf1ff
	v_xor_b32_e32 v157, s15, v157
	v_cmp_gt_i32_e64 s15, 0, v164
	v_and_b32_e32 v37, v37, v156
	v_not_b32_e32 v156, v165
	v_ashrrev_i32_e32 v162, 31, v162
	s_wait_alu 0xfffd
	v_xor_b32_e32 v160, vcc_lo, v160
	v_cmp_gt_i32_e32 vcc_lo, 0, v165
	v_and_b32_e32 v37, v37, v157
	v_not_b32_e32 v157, v161
	v_ashrrev_i32_e32 v156, 31, v156
	s_wait_alu 0xf1ff
	v_xor_b32_e32 v162, s15, v162
	v_cmp_gt_i32_e64 s15, 0, v161
	v_and_b32_e32 v37, v37, v160
	v_ashrrev_i32_e32 v157, 31, v157
	s_wait_alu 0xfffd
	v_xor_b32_e32 v156, vcc_lo, v156
	v_mad_u32_u24 v160, v158, 36, v118
	v_mul_u32_u24_e32 v158, 36, v158
	v_and_b32_e32 v37, v37, v162
	s_wait_alu 0xf1ff
	v_xor_b32_e32 v157, s15, v157
	s_delay_alu instid0(VALU_DEP_3) | instskip(NEXT) | instid1(VALU_DEP_3)
	v_add_nc_u32_e32 v158, v118, v158
	v_and_b32_e32 v37, v37, v156
	ds_load_b32 v156, v160 offset:1056
	; wave barrier
	v_and_b32_e32 v37, v37, v157
	s_delay_alu instid0(VALU_DEP_1) | instskip(SKIP_1) | instid1(VALU_DEP_2)
	v_mbcnt_lo_u32_b32 v157, v37, 0
	v_cmp_ne_u32_e64 s15, 0, v37
	v_cmp_eq_u32_e32 vcc_lo, 0, v157
	s_and_b32 s16, s15, vcc_lo
	s_wait_alu 0xfffe
	s_and_saveexec_b32 s15, s16
	s_cbranch_execz .LBB1434_728
; %bb.727:                              ;   in Loop: Header=BB1434_682 Depth=2
	s_wait_dscnt 0x0
	v_bcnt_u32_b32 v37, v37, v156
	ds_store_b32 v158, v37 offset:1056
.LBB1434_728:                           ;   in Loop: Header=BB1434_682 Depth=2
	s_wait_alu 0xfffe
	s_or_b32 exec_lo, exec_lo, s15
	v_cmp_lt_i32_e32 vcc_lo, -1, v155
	; wave barrier
	s_wait_alu 0xfffd
	v_cndmask_b32_e64 v37, -1, 0x80000000, vcc_lo
	s_delay_alu instid0(VALU_DEP_1) | instskip(NEXT) | instid1(VALU_DEP_1)
	v_xor_b32_e32 v155, v37, v155
	v_cmp_ne_u32_e32 vcc_lo, 0x7fffffff, v155
	s_wait_alu 0xfffd
	v_cndmask_b32_e32 v37, 0x80000000, v155, vcc_lo
	s_delay_alu instid0(VALU_DEP_1) | instskip(NEXT) | instid1(VALU_DEP_1)
	v_lshrrev_b32_e32 v37, s49, v37
	v_and_b32_e32 v162, s48, v37
	s_delay_alu instid0(VALU_DEP_1)
	v_and_b32_e32 v37, 1, v162
	v_lshlrev_b32_e32 v160, 30, v162
	v_lshlrev_b32_e32 v161, 29, v162
	;; [unrolled: 1-line block ×4, first 2 shown]
	v_add_co_u32 v37, s15, v37, -1
	s_wait_alu 0xf1ff
	v_cndmask_b32_e64 v165, 0, 1, s15
	v_not_b32_e32 v170, v160
	v_cmp_gt_i32_e64 s15, 0, v160
	v_not_b32_e32 v160, v161
	v_lshlrev_b32_e32 v168, 26, v162
	v_cmp_ne_u32_e32 vcc_lo, 0, v165
	v_ashrrev_i32_e32 v170, 31, v170
	v_lshlrev_b32_e32 v169, 25, v162
	v_ashrrev_i32_e32 v160, 31, v160
	v_lshlrev_b32_e32 v165, 24, v162
	s_wait_alu 0xfffd
	v_xor_b32_e32 v37, vcc_lo, v37
	v_cmp_gt_i32_e32 vcc_lo, 0, v161
	v_not_b32_e32 v161, v164
	s_wait_alu 0xf1ff
	v_xor_b32_e32 v170, s15, v170
	v_cmp_gt_i32_e64 s15, 0, v164
	v_and_b32_e32 v37, exec_lo, v37
	v_not_b32_e32 v164, v167
	v_ashrrev_i32_e32 v161, 31, v161
	s_wait_alu 0xfffd
	v_xor_b32_e32 v160, vcc_lo, v160
	v_cmp_gt_i32_e32 vcc_lo, 0, v167
	v_and_b32_e32 v37, v37, v170
	v_not_b32_e32 v167, v168
	v_ashrrev_i32_e32 v164, 31, v164
	s_wait_alu 0xf1ff
	v_xor_b32_e32 v161, s15, v161
	v_cmp_gt_i32_e64 s15, 0, v168
	v_and_b32_e32 v37, v37, v160
	v_not_b32_e32 v160, v169
	v_ashrrev_i32_e32 v167, 31, v167
	s_wait_alu 0xfffd
	v_xor_b32_e32 v164, vcc_lo, v164
	v_cmp_gt_i32_e32 vcc_lo, 0, v169
	v_and_b32_e32 v37, v37, v161
	v_not_b32_e32 v161, v165
	v_ashrrev_i32_e32 v160, 31, v160
	s_wait_alu 0xf1ff
	v_xor_b32_e32 v167, s15, v167
	v_cmp_gt_i32_e64 s15, 0, v165
	v_and_b32_e32 v37, v37, v164
	v_ashrrev_i32_e32 v161, 31, v161
	s_wait_alu 0xfffd
	v_xor_b32_e32 v160, vcc_lo, v160
	v_mad_u32_u24 v164, v162, 36, v118
	v_mul_u32_u24_e32 v162, 36, v162
	v_and_b32_e32 v37, v37, v167
	s_wait_alu 0xf1ff
	v_xor_b32_e32 v161, s15, v161
	s_delay_alu instid0(VALU_DEP_3) | instskip(NEXT) | instid1(VALU_DEP_3)
	v_add_nc_u32_e32 v162, v118, v162
	v_and_b32_e32 v37, v37, v160
	ds_load_b32 v160, v164 offset:1056
	; wave barrier
	v_and_b32_e32 v37, v37, v161
	s_delay_alu instid0(VALU_DEP_1) | instskip(SKIP_1) | instid1(VALU_DEP_2)
	v_mbcnt_lo_u32_b32 v161, v37, 0
	v_cmp_ne_u32_e64 s15, 0, v37
	v_cmp_eq_u32_e32 vcc_lo, 0, v161
	s_and_b32 s16, s15, vcc_lo
	s_wait_alu 0xfffe
	s_and_saveexec_b32 s15, s16
	s_cbranch_execz .LBB1434_730
; %bb.729:                              ;   in Loop: Header=BB1434_682 Depth=2
	s_wait_dscnt 0x0
	v_bcnt_u32_b32 v37, v37, v160
	ds_store_b32 v162, v37 offset:1056
.LBB1434_730:                           ;   in Loop: Header=BB1434_682 Depth=2
	s_wait_alu 0xfffe
	s_or_b32 exec_lo, exec_lo, s15
	v_cmp_lt_i32_e32 vcc_lo, -1, v159
	; wave barrier
	s_wait_alu 0xfffd
	v_cndmask_b32_e64 v37, -1, 0x80000000, vcc_lo
	s_delay_alu instid0(VALU_DEP_1) | instskip(NEXT) | instid1(VALU_DEP_1)
	v_xor_b32_e32 v159, v37, v159
	v_cmp_ne_u32_e32 vcc_lo, 0x7fffffff, v159
	s_wait_alu 0xfffd
	v_cndmask_b32_e32 v37, 0x80000000, v159, vcc_lo
	s_delay_alu instid0(VALU_DEP_1) | instskip(NEXT) | instid1(VALU_DEP_1)
	v_lshrrev_b32_e32 v37, s49, v37
	v_and_b32_e32 v167, s48, v37
	s_delay_alu instid0(VALU_DEP_1)
	v_and_b32_e32 v37, 1, v167
	v_lshlrev_b32_e32 v164, 30, v167
	v_lshlrev_b32_e32 v165, 29, v167
	;; [unrolled: 1-line block ×4, first 2 shown]
	v_add_co_u32 v37, s15, v37, -1
	s_wait_alu 0xf1ff
	v_cndmask_b32_e64 v169, 0, 1, s15
	v_not_b32_e32 v173, v164
	v_cmp_gt_i32_e64 s15, 0, v164
	v_not_b32_e32 v164, v165
	v_lshlrev_b32_e32 v171, 26, v167
	v_cmp_ne_u32_e32 vcc_lo, 0, v169
	v_ashrrev_i32_e32 v173, 31, v173
	v_lshlrev_b32_e32 v172, 25, v167
	v_ashrrev_i32_e32 v164, 31, v164
	v_lshlrev_b32_e32 v169, 24, v167
	s_wait_alu 0xfffd
	v_xor_b32_e32 v37, vcc_lo, v37
	v_cmp_gt_i32_e32 vcc_lo, 0, v165
	v_not_b32_e32 v165, v168
	s_wait_alu 0xf1ff
	v_xor_b32_e32 v173, s15, v173
	v_cmp_gt_i32_e64 s15, 0, v168
	v_and_b32_e32 v37, exec_lo, v37
	v_not_b32_e32 v168, v170
	v_ashrrev_i32_e32 v165, 31, v165
	s_wait_alu 0xfffd
	v_xor_b32_e32 v164, vcc_lo, v164
	v_cmp_gt_i32_e32 vcc_lo, 0, v170
	v_and_b32_e32 v37, v37, v173
	v_not_b32_e32 v170, v171
	v_ashrrev_i32_e32 v168, 31, v168
	s_wait_alu 0xf1ff
	v_xor_b32_e32 v165, s15, v165
	v_cmp_gt_i32_e64 s15, 0, v171
	v_and_b32_e32 v37, v37, v164
	v_not_b32_e32 v164, v172
	v_ashrrev_i32_e32 v170, 31, v170
	s_wait_alu 0xfffd
	v_xor_b32_e32 v168, vcc_lo, v168
	v_cmp_gt_i32_e32 vcc_lo, 0, v172
	v_and_b32_e32 v37, v37, v165
	v_not_b32_e32 v165, v169
	v_ashrrev_i32_e32 v164, 31, v164
	s_wait_alu 0xf1ff
	v_xor_b32_e32 v170, s15, v170
	v_cmp_gt_i32_e64 s15, 0, v169
	v_and_b32_e32 v37, v37, v168
	v_ashrrev_i32_e32 v165, 31, v165
	s_wait_alu 0xfffd
	v_xor_b32_e32 v164, vcc_lo, v164
	v_mad_u32_u24 v168, v167, 36, v118
	v_mul_u32_u24_e32 v167, 36, v167
	v_and_b32_e32 v37, v37, v170
	s_wait_alu 0xf1ff
	v_xor_b32_e32 v165, s15, v165
	s_delay_alu instid0(VALU_DEP_3) | instskip(NEXT) | instid1(VALU_DEP_3)
	v_add_nc_u32_e32 v167, v118, v167
	v_and_b32_e32 v37, v37, v164
	ds_load_b32 v164, v168 offset:1056
	; wave barrier
	v_and_b32_e32 v37, v37, v165
	s_delay_alu instid0(VALU_DEP_1) | instskip(SKIP_1) | instid1(VALU_DEP_2)
	v_mbcnt_lo_u32_b32 v165, v37, 0
	v_cmp_ne_u32_e64 s15, 0, v37
	v_cmp_eq_u32_e32 vcc_lo, 0, v165
	s_and_b32 s16, s15, vcc_lo
	s_wait_alu 0xfffe
	s_and_saveexec_b32 s15, s16
	s_cbranch_execz .LBB1434_732
; %bb.731:                              ;   in Loop: Header=BB1434_682 Depth=2
	s_wait_dscnt 0x0
	v_bcnt_u32_b32 v37, v37, v164
	ds_store_b32 v167, v37 offset:1056
.LBB1434_732:                           ;   in Loop: Header=BB1434_682 Depth=2
	s_wait_alu 0xfffe
	s_or_b32 exec_lo, exec_lo, s15
	v_cmp_lt_i32_e32 vcc_lo, -1, v163
	; wave barrier
	s_wait_alu 0xfffd
	v_cndmask_b32_e64 v37, -1, 0x80000000, vcc_lo
	s_delay_alu instid0(VALU_DEP_1) | instskip(NEXT) | instid1(VALU_DEP_1)
	v_xor_b32_e32 v163, v37, v163
	v_cmp_ne_u32_e32 vcc_lo, 0x7fffffff, v163
	s_wait_alu 0xfffd
	v_cndmask_b32_e32 v37, 0x80000000, v163, vcc_lo
	s_delay_alu instid0(VALU_DEP_1) | instskip(NEXT) | instid1(VALU_DEP_1)
	v_lshrrev_b32_e32 v37, s49, v37
	v_and_b32_e32 v170, s48, v37
	s_delay_alu instid0(VALU_DEP_1)
	v_and_b32_e32 v37, 1, v170
	v_lshlrev_b32_e32 v168, 30, v170
	v_lshlrev_b32_e32 v169, 29, v170
	;; [unrolled: 1-line block ×4, first 2 shown]
	v_add_co_u32 v37, s15, v37, -1
	s_wait_alu 0xf1ff
	v_cndmask_b32_e64 v172, 0, 1, s15
	v_not_b32_e32 v176, v168
	v_cmp_gt_i32_e64 s15, 0, v168
	v_not_b32_e32 v168, v169
	v_lshlrev_b32_e32 v174, 26, v170
	v_cmp_ne_u32_e32 vcc_lo, 0, v172
	v_ashrrev_i32_e32 v176, 31, v176
	v_lshlrev_b32_e32 v175, 25, v170
	v_ashrrev_i32_e32 v168, 31, v168
	v_lshlrev_b32_e32 v172, 24, v170
	s_wait_alu 0xfffd
	v_xor_b32_e32 v37, vcc_lo, v37
	v_cmp_gt_i32_e32 vcc_lo, 0, v169
	v_not_b32_e32 v169, v171
	s_wait_alu 0xf1ff
	v_xor_b32_e32 v176, s15, v176
	v_cmp_gt_i32_e64 s15, 0, v171
	v_and_b32_e32 v37, exec_lo, v37
	v_not_b32_e32 v171, v173
	v_ashrrev_i32_e32 v169, 31, v169
	s_wait_alu 0xfffd
	v_xor_b32_e32 v168, vcc_lo, v168
	v_cmp_gt_i32_e32 vcc_lo, 0, v173
	v_and_b32_e32 v37, v37, v176
	v_not_b32_e32 v173, v174
	v_ashrrev_i32_e32 v171, 31, v171
	s_wait_alu 0xf1ff
	v_xor_b32_e32 v169, s15, v169
	v_cmp_gt_i32_e64 s15, 0, v174
	v_and_b32_e32 v37, v37, v168
	v_not_b32_e32 v168, v175
	v_ashrrev_i32_e32 v173, 31, v173
	s_wait_alu 0xfffd
	v_xor_b32_e32 v171, vcc_lo, v171
	v_cmp_gt_i32_e32 vcc_lo, 0, v175
	v_and_b32_e32 v37, v37, v169
	v_not_b32_e32 v169, v172
	v_ashrrev_i32_e32 v168, 31, v168
	s_wait_alu 0xf1ff
	v_xor_b32_e32 v173, s15, v173
	v_cmp_gt_i32_e64 s15, 0, v172
	v_and_b32_e32 v37, v37, v171
	v_ashrrev_i32_e32 v169, 31, v169
	s_wait_alu 0xfffd
	v_xor_b32_e32 v168, vcc_lo, v168
	v_mad_u32_u24 v171, v170, 36, v118
	v_mul_u32_u24_e32 v170, 36, v170
	v_and_b32_e32 v37, v37, v173
	s_wait_alu 0xf1ff
	v_xor_b32_e32 v169, s15, v169
	s_delay_alu instid0(VALU_DEP_3) | instskip(NEXT) | instid1(VALU_DEP_3)
	v_add_nc_u32_e32 v170, v118, v170
	v_and_b32_e32 v37, v37, v168
	ds_load_b32 v168, v171 offset:1056
	; wave barrier
	v_and_b32_e32 v37, v37, v169
	s_delay_alu instid0(VALU_DEP_1) | instskip(SKIP_1) | instid1(VALU_DEP_2)
	v_mbcnt_lo_u32_b32 v169, v37, 0
	v_cmp_ne_u32_e64 s15, 0, v37
	v_cmp_eq_u32_e32 vcc_lo, 0, v169
	s_and_b32 s16, s15, vcc_lo
	s_wait_alu 0xfffe
	s_and_saveexec_b32 s15, s16
	s_cbranch_execz .LBB1434_734
; %bb.733:                              ;   in Loop: Header=BB1434_682 Depth=2
	s_wait_dscnt 0x0
	v_bcnt_u32_b32 v37, v37, v168
	ds_store_b32 v170, v37 offset:1056
.LBB1434_734:                           ;   in Loop: Header=BB1434_682 Depth=2
	s_wait_alu 0xfffe
	s_or_b32 exec_lo, exec_lo, s15
	v_cmp_lt_i32_e32 vcc_lo, -1, v166
	; wave barrier
	s_wait_alu 0xfffd
	v_cndmask_b32_e64 v37, -1, 0x80000000, vcc_lo
	s_delay_alu instid0(VALU_DEP_1) | instskip(NEXT) | instid1(VALU_DEP_1)
	v_xor_b32_e32 v166, v37, v166
	v_cmp_ne_u32_e32 vcc_lo, 0x7fffffff, v166
	s_wait_alu 0xfffd
	v_cndmask_b32_e32 v37, 0x80000000, v166, vcc_lo
	s_delay_alu instid0(VALU_DEP_1) | instskip(NEXT) | instid1(VALU_DEP_1)
	v_lshrrev_b32_e32 v37, s49, v37
	v_and_b32_e32 v171, s48, v37
	s_delay_alu instid0(VALU_DEP_1)
	v_and_b32_e32 v37, 1, v171
	v_lshlrev_b32_e32 v172, 30, v171
	v_lshlrev_b32_e32 v173, 29, v171
	;; [unrolled: 1-line block ×4, first 2 shown]
	v_add_co_u32 v37, s15, v37, -1
	s_wait_alu 0xf1ff
	v_cndmask_b32_e64 v175, 0, 1, s15
	v_not_b32_e32 v179, v172
	v_cmp_gt_i32_e64 s15, 0, v172
	v_not_b32_e32 v172, v173
	v_lshlrev_b32_e32 v177, 26, v171
	v_cmp_ne_u32_e32 vcc_lo, 0, v175
	v_ashrrev_i32_e32 v179, 31, v179
	v_lshlrev_b32_e32 v178, 25, v171
	v_ashrrev_i32_e32 v172, 31, v172
	v_lshlrev_b32_e32 v175, 24, v171
	s_wait_alu 0xfffd
	v_xor_b32_e32 v37, vcc_lo, v37
	v_cmp_gt_i32_e32 vcc_lo, 0, v173
	v_not_b32_e32 v173, v174
	s_wait_alu 0xf1ff
	v_xor_b32_e32 v179, s15, v179
	v_cmp_gt_i32_e64 s15, 0, v174
	v_and_b32_e32 v37, exec_lo, v37
	v_not_b32_e32 v174, v176
	v_ashrrev_i32_e32 v173, 31, v173
	s_wait_alu 0xfffd
	v_xor_b32_e32 v172, vcc_lo, v172
	v_cmp_gt_i32_e32 vcc_lo, 0, v176
	v_and_b32_e32 v37, v37, v179
	v_not_b32_e32 v176, v177
	v_ashrrev_i32_e32 v174, 31, v174
	s_wait_alu 0xf1ff
	v_xor_b32_e32 v173, s15, v173
	v_cmp_gt_i32_e64 s15, 0, v177
	v_and_b32_e32 v37, v37, v172
	v_not_b32_e32 v172, v178
	v_ashrrev_i32_e32 v176, 31, v176
	s_wait_alu 0xfffd
	v_xor_b32_e32 v174, vcc_lo, v174
	v_cmp_gt_i32_e32 vcc_lo, 0, v178
	v_and_b32_e32 v37, v37, v173
	v_not_b32_e32 v173, v175
	v_ashrrev_i32_e32 v172, 31, v172
	s_wait_alu 0xf1ff
	v_xor_b32_e32 v176, s15, v176
	v_cmp_gt_i32_e64 s15, 0, v175
	v_and_b32_e32 v37, v37, v174
	v_ashrrev_i32_e32 v173, 31, v173
	s_wait_alu 0xfffd
	v_xor_b32_e32 v172, vcc_lo, v172
	v_mad_u32_u24 v174, v171, 36, v118
	v_mul_u32_u24_e32 v171, 36, v171
	v_and_b32_e32 v37, v37, v176
	s_wait_alu 0xf1ff
	v_xor_b32_e32 v173, s15, v173
	s_delay_alu instid0(VALU_DEP_2) | instskip(SKIP_3) | instid1(VALU_DEP_1)
	v_and_b32_e32 v37, v37, v172
	ds_load_b32 v172, v174 offset:1056
	v_add_nc_u32_e32 v174, v118, v171
	; wave barrier
	v_and_b32_e32 v37, v37, v173
	v_mbcnt_lo_u32_b32 v173, v37, 0
	v_cmp_ne_u32_e64 s15, 0, v37
	s_delay_alu instid0(VALU_DEP_2)
	v_cmp_eq_u32_e32 vcc_lo, 0, v173
	s_and_b32 s16, s15, vcc_lo
	s_wait_alu 0xfffe
	s_and_saveexec_b32 s15, s16
	s_cbranch_execz .LBB1434_736
; %bb.735:                              ;   in Loop: Header=BB1434_682 Depth=2
	s_wait_dscnt 0x0
	v_bcnt_u32_b32 v37, v37, v172
	ds_store_b32 v174, v37 offset:1056
.LBB1434_736:                           ;   in Loop: Header=BB1434_682 Depth=2
	s_wait_alu 0xfffe
	s_or_b32 exec_lo, exec_lo, s15
	v_cmp_lt_i32_e32 vcc_lo, -1, v43
	; wave barrier
	s_wait_alu 0xfffd
	v_cndmask_b32_e64 v37, -1, 0x80000000, vcc_lo
	s_delay_alu instid0(VALU_DEP_1) | instskip(NEXT) | instid1(VALU_DEP_1)
	v_xor_b32_e32 v171, v37, v43
	v_cmp_ne_u32_e32 vcc_lo, 0x7fffffff, v171
	s_wait_alu 0xfffd
	v_cndmask_b32_e32 v37, 0x80000000, v171, vcc_lo
	s_delay_alu instid0(VALU_DEP_1) | instskip(NEXT) | instid1(VALU_DEP_1)
	v_lshrrev_b32_e32 v37, s49, v37
	v_and_b32_e32 v43, s48, v37
	s_delay_alu instid0(VALU_DEP_1)
	v_and_b32_e32 v37, 1, v43
	v_lshlrev_b32_e32 v175, 30, v43
	v_lshlrev_b32_e32 v176, 29, v43
	;; [unrolled: 1-line block ×4, first 2 shown]
	v_add_co_u32 v37, s15, v37, -1
	s_wait_alu 0xf1ff
	v_cndmask_b32_e64 v178, 0, 1, s15
	v_not_b32_e32 v182, v175
	v_cmp_gt_i32_e64 s15, 0, v175
	v_not_b32_e32 v175, v176
	v_lshlrev_b32_e32 v180, 26, v43
	v_cmp_ne_u32_e32 vcc_lo, 0, v178
	v_ashrrev_i32_e32 v182, 31, v182
	v_lshlrev_b32_e32 v181, 25, v43
	v_ashrrev_i32_e32 v175, 31, v175
	v_lshlrev_b32_e32 v178, 24, v43
	s_wait_alu 0xfffd
	v_xor_b32_e32 v37, vcc_lo, v37
	v_cmp_gt_i32_e32 vcc_lo, 0, v176
	v_not_b32_e32 v176, v177
	s_wait_alu 0xf1ff
	v_xor_b32_e32 v182, s15, v182
	v_cmp_gt_i32_e64 s15, 0, v177
	v_and_b32_e32 v37, exec_lo, v37
	v_not_b32_e32 v177, v179
	v_ashrrev_i32_e32 v176, 31, v176
	s_wait_alu 0xfffd
	v_xor_b32_e32 v175, vcc_lo, v175
	v_cmp_gt_i32_e32 vcc_lo, 0, v179
	v_and_b32_e32 v37, v37, v182
	v_not_b32_e32 v179, v180
	v_ashrrev_i32_e32 v177, 31, v177
	s_wait_alu 0xf1ff
	v_xor_b32_e32 v176, s15, v176
	v_cmp_gt_i32_e64 s15, 0, v180
	v_and_b32_e32 v37, v37, v175
	v_not_b32_e32 v175, v181
	v_ashrrev_i32_e32 v179, 31, v179
	s_wait_alu 0xfffd
	v_xor_b32_e32 v177, vcc_lo, v177
	v_cmp_gt_i32_e32 vcc_lo, 0, v181
	v_and_b32_e32 v37, v37, v176
	v_not_b32_e32 v176, v178
	v_ashrrev_i32_e32 v175, 31, v175
	s_wait_alu 0xf1ff
	v_xor_b32_e32 v179, s15, v179
	v_cmp_gt_i32_e64 s15, 0, v178
	v_and_b32_e32 v37, v37, v177
	v_ashrrev_i32_e32 v176, 31, v176
	s_wait_alu 0xfffd
	v_xor_b32_e32 v175, vcc_lo, v175
	v_mad_u32_u24 v177, v43, 36, v118
	v_mul_u32_u24_e32 v43, 36, v43
	v_and_b32_e32 v37, v37, v179
	s_wait_alu 0xf1ff
	v_xor_b32_e32 v178, s15, v176
	ds_load_b32 v176, v177 offset:1056
	v_and_b32_e32 v37, v37, v175
	; wave barrier
	s_delay_alu instid0(VALU_DEP_1) | instskip(SKIP_1) | instid1(VALU_DEP_2)
	v_and_b32_e32 v37, v37, v178
	v_add_nc_u32_e32 v178, v118, v43
	v_mbcnt_lo_u32_b32 v177, v37, 0
	v_cmp_ne_u32_e64 s15, 0, v37
	s_delay_alu instid0(VALU_DEP_2)
	v_cmp_eq_u32_e32 vcc_lo, 0, v177
	s_and_b32 s16, s15, vcc_lo
	s_wait_alu 0xfffe
	s_and_saveexec_b32 s15, s16
	s_cbranch_execz .LBB1434_738
; %bb.737:                              ;   in Loop: Header=BB1434_682 Depth=2
	s_wait_dscnt 0x0
	v_bcnt_u32_b32 v37, v37, v176
	ds_store_b32 v178, v37 offset:1056
.LBB1434_738:                           ;   in Loop: Header=BB1434_682 Depth=2
	s_wait_alu 0xfffe
	s_or_b32 exec_lo, exec_lo, s15
	v_cmp_lt_i32_e32 vcc_lo, -1, v42
	; wave barrier
	s_wait_alu 0xfffd
	v_cndmask_b32_e64 v37, -1, 0x80000000, vcc_lo
	s_delay_alu instid0(VALU_DEP_1) | instskip(NEXT) | instid1(VALU_DEP_1)
	v_xor_b32_e32 v175, v37, v42
	v_cmp_ne_u32_e32 vcc_lo, 0x7fffffff, v175
	s_wait_alu 0xfffd
	v_cndmask_b32_e32 v37, 0x80000000, v175, vcc_lo
	s_delay_alu instid0(VALU_DEP_1) | instskip(NEXT) | instid1(VALU_DEP_1)
	v_lshrrev_b32_e32 v37, s49, v37
	v_and_b32_e32 v42, s48, v37
	s_delay_alu instid0(VALU_DEP_1)
	v_and_b32_e32 v37, 1, v42
	v_lshlrev_b32_e32 v43, 30, v42
	v_lshlrev_b32_e32 v179, 29, v42
	;; [unrolled: 1-line block ×4, first 2 shown]
	v_add_co_u32 v37, s15, v37, -1
	s_wait_alu 0xf1ff
	v_cndmask_b32_e64 v181, 0, 1, s15
	v_not_b32_e32 v185, v43
	v_cmp_gt_i32_e64 s15, 0, v43
	v_not_b32_e32 v43, v179
	v_lshlrev_b32_e32 v183, 26, v42
	v_cmp_ne_u32_e32 vcc_lo, 0, v181
	v_ashrrev_i32_e32 v185, 31, v185
	v_lshlrev_b32_e32 v184, 25, v42
	v_ashrrev_i32_e32 v43, 31, v43
	v_lshlrev_b32_e32 v181, 24, v42
	s_wait_alu 0xfffd
	v_xor_b32_e32 v37, vcc_lo, v37
	v_cmp_gt_i32_e32 vcc_lo, 0, v179
	v_not_b32_e32 v179, v180
	s_wait_alu 0xf1ff
	v_xor_b32_e32 v185, s15, v185
	v_cmp_gt_i32_e64 s15, 0, v180
	v_and_b32_e32 v37, exec_lo, v37
	v_not_b32_e32 v180, v182
	v_ashrrev_i32_e32 v179, 31, v179
	s_wait_alu 0xfffd
	v_xor_b32_e32 v43, vcc_lo, v43
	v_cmp_gt_i32_e32 vcc_lo, 0, v182
	v_and_b32_e32 v37, v37, v185
	v_not_b32_e32 v182, v183
	v_ashrrev_i32_e32 v180, 31, v180
	s_wait_alu 0xf1ff
	v_xor_b32_e32 v179, s15, v179
	v_cmp_gt_i32_e64 s15, 0, v183
	v_and_b32_e32 v37, v37, v43
	v_not_b32_e32 v43, v184
	v_ashrrev_i32_e32 v182, 31, v182
	s_wait_alu 0xfffd
	v_xor_b32_e32 v180, vcc_lo, v180
	v_cmp_gt_i32_e32 vcc_lo, 0, v184
	v_and_b32_e32 v37, v37, v179
	v_not_b32_e32 v179, v181
	v_ashrrev_i32_e32 v43, 31, v43
	s_wait_alu 0xf1ff
	v_xor_b32_e32 v182, s15, v182
	v_cmp_gt_i32_e64 s15, 0, v181
	v_and_b32_e32 v37, v37, v180
	v_ashrrev_i32_e32 v179, 31, v179
	s_wait_alu 0xfffd
	v_xor_b32_e32 v43, vcc_lo, v43
	v_mad_u32_u24 v180, v42, 36, v118
	v_mul_u32_u24_e32 v42, 36, v42
	v_and_b32_e32 v37, v37, v182
	s_wait_alu 0xf1ff
	v_xor_b32_e32 v179, s15, v179
	ds_load_b32 v180, v180 offset:1056
	v_add_nc_u32_e32 v182, v118, v42
	v_and_b32_e32 v37, v37, v43
	; wave barrier
	s_delay_alu instid0(VALU_DEP_1) | instskip(NEXT) | instid1(VALU_DEP_1)
	v_and_b32_e32 v37, v37, v179
	v_mbcnt_lo_u32_b32 v181, v37, 0
	v_cmp_ne_u32_e64 s15, 0, v37
	s_delay_alu instid0(VALU_DEP_2)
	v_cmp_eq_u32_e32 vcc_lo, 0, v181
	s_and_b32 s16, s15, vcc_lo
	s_wait_alu 0xfffe
	s_and_saveexec_b32 s15, s16
	s_cbranch_execz .LBB1434_740
; %bb.739:                              ;   in Loop: Header=BB1434_682 Depth=2
	s_wait_dscnt 0x0
	v_bcnt_u32_b32 v37, v37, v180
	ds_store_b32 v182, v37 offset:1056
.LBB1434_740:                           ;   in Loop: Header=BB1434_682 Depth=2
	s_wait_alu 0xfffe
	s_or_b32 exec_lo, exec_lo, s15
	v_cmp_lt_i32_e32 vcc_lo, -1, v41
	; wave barrier
	s_wait_alu 0xfffd
	v_cndmask_b32_e64 v37, -1, 0x80000000, vcc_lo
	s_delay_alu instid0(VALU_DEP_1) | instskip(NEXT) | instid1(VALU_DEP_1)
	v_xor_b32_e32 v179, v37, v41
	v_cmp_ne_u32_e32 vcc_lo, 0x7fffffff, v179
	s_wait_alu 0xfffd
	v_cndmask_b32_e32 v37, 0x80000000, v179, vcc_lo
	s_delay_alu instid0(VALU_DEP_1) | instskip(NEXT) | instid1(VALU_DEP_1)
	v_lshrrev_b32_e32 v37, s49, v37
	v_and_b32_e32 v41, s48, v37
	s_delay_alu instid0(VALU_DEP_1)
	v_and_b32_e32 v37, 1, v41
	v_lshlrev_b32_e32 v42, 30, v41
	v_lshlrev_b32_e32 v43, 29, v41
	;; [unrolled: 1-line block ×4, first 2 shown]
	v_add_co_u32 v37, s15, v37, -1
	s_wait_alu 0xf1ff
	v_cndmask_b32_e64 v184, 0, 1, s15
	v_not_b32_e32 v188, v42
	v_cmp_gt_i32_e64 s15, 0, v42
	v_not_b32_e32 v42, v43
	v_lshlrev_b32_e32 v186, 26, v41
	v_cmp_ne_u32_e32 vcc_lo, 0, v184
	v_ashrrev_i32_e32 v188, 31, v188
	v_lshlrev_b32_e32 v187, 25, v41
	v_ashrrev_i32_e32 v42, 31, v42
	v_lshlrev_b32_e32 v184, 24, v41
	s_wait_alu 0xfffd
	v_xor_b32_e32 v37, vcc_lo, v37
	v_cmp_gt_i32_e32 vcc_lo, 0, v43
	v_not_b32_e32 v43, v183
	s_wait_alu 0xf1ff
	v_xor_b32_e32 v188, s15, v188
	v_cmp_gt_i32_e64 s15, 0, v183
	v_and_b32_e32 v37, exec_lo, v37
	v_not_b32_e32 v183, v185
	v_ashrrev_i32_e32 v43, 31, v43
	s_wait_alu 0xfffd
	v_xor_b32_e32 v42, vcc_lo, v42
	v_cmp_gt_i32_e32 vcc_lo, 0, v185
	v_and_b32_e32 v37, v37, v188
	v_not_b32_e32 v185, v186
	v_ashrrev_i32_e32 v183, 31, v183
	s_wait_alu 0xf1ff
	v_xor_b32_e32 v43, s15, v43
	v_cmp_gt_i32_e64 s15, 0, v186
	v_and_b32_e32 v37, v37, v42
	v_not_b32_e32 v42, v187
	v_ashrrev_i32_e32 v185, 31, v185
	s_wait_alu 0xfffd
	v_xor_b32_e32 v183, vcc_lo, v183
	v_cmp_gt_i32_e32 vcc_lo, 0, v187
	v_and_b32_e32 v37, v37, v43
	v_not_b32_e32 v43, v184
	v_ashrrev_i32_e32 v42, 31, v42
	s_wait_alu 0xf1ff
	v_xor_b32_e32 v185, s15, v185
	v_cmp_gt_i32_e64 s15, 0, v184
	v_and_b32_e32 v37, v37, v183
	v_ashrrev_i32_e32 v43, 31, v43
	s_wait_alu 0xfffd
	v_xor_b32_e32 v42, vcc_lo, v42
	v_mad_u32_u24 v183, v41, 36, v118
	v_mul_u32_u24_e32 v41, 36, v41
	v_and_b32_e32 v37, v37, v185
	s_wait_alu 0xf1ff
	v_xor_b32_e32 v43, s15, v43
	ds_load_b32 v184, v183 offset:1056
	v_add_nc_u32_e32 v186, v118, v41
	v_and_b32_e32 v37, v37, v42
	; wave barrier
	s_delay_alu instid0(VALU_DEP_1) | instskip(NEXT) | instid1(VALU_DEP_1)
	v_and_b32_e32 v37, v37, v43
	v_mbcnt_lo_u32_b32 v185, v37, 0
	v_cmp_ne_u32_e64 s15, 0, v37
	s_delay_alu instid0(VALU_DEP_2)
	v_cmp_eq_u32_e32 vcc_lo, 0, v185
	s_and_b32 s16, s15, vcc_lo
	s_wait_alu 0xfffe
	s_and_saveexec_b32 s15, s16
	s_cbranch_execz .LBB1434_742
; %bb.741:                              ;   in Loop: Header=BB1434_682 Depth=2
	s_wait_dscnt 0x0
	v_bcnt_u32_b32 v37, v37, v184
	ds_store_b32 v186, v37 offset:1056
.LBB1434_742:                           ;   in Loop: Header=BB1434_682 Depth=2
	s_wait_alu 0xfffe
	s_or_b32 exec_lo, exec_lo, s15
	v_cmp_lt_i32_e32 vcc_lo, -1, v40
	; wave barrier
	s_wait_alu 0xfffd
	v_cndmask_b32_e64 v37, -1, 0x80000000, vcc_lo
	s_delay_alu instid0(VALU_DEP_1) | instskip(NEXT) | instid1(VALU_DEP_1)
	v_xor_b32_e32 v183, v37, v40
	v_cmp_ne_u32_e32 vcc_lo, 0x7fffffff, v183
	s_wait_alu 0xfffd
	v_cndmask_b32_e32 v37, 0x80000000, v183, vcc_lo
	s_delay_alu instid0(VALU_DEP_1) | instskip(NEXT) | instid1(VALU_DEP_1)
	v_lshrrev_b32_e32 v37, s49, v37
	v_and_b32_e32 v40, s48, v37
	s_delay_alu instid0(VALU_DEP_1)
	v_and_b32_e32 v37, 1, v40
	v_lshlrev_b32_e32 v41, 30, v40
	v_lshlrev_b32_e32 v42, 29, v40
	;; [unrolled: 1-line block ×4, first 2 shown]
	v_add_co_u32 v37, s15, v37, -1
	s_wait_alu 0xf1ff
	v_cndmask_b32_e64 v187, 0, 1, s15
	v_not_b32_e32 v191, v41
	v_cmp_gt_i32_e64 s15, 0, v41
	v_not_b32_e32 v41, v42
	v_lshlrev_b32_e32 v189, 26, v40
	v_cmp_ne_u32_e32 vcc_lo, 0, v187
	v_ashrrev_i32_e32 v191, 31, v191
	v_lshlrev_b32_e32 v190, 25, v40
	v_ashrrev_i32_e32 v41, 31, v41
	v_lshlrev_b32_e32 v187, 24, v40
	s_wait_alu 0xfffd
	v_xor_b32_e32 v37, vcc_lo, v37
	v_cmp_gt_i32_e32 vcc_lo, 0, v42
	v_not_b32_e32 v42, v43
	s_wait_alu 0xf1ff
	v_xor_b32_e32 v191, s15, v191
	v_cmp_gt_i32_e64 s15, 0, v43
	v_and_b32_e32 v37, exec_lo, v37
	v_not_b32_e32 v43, v188
	v_ashrrev_i32_e32 v42, 31, v42
	s_wait_alu 0xfffd
	v_xor_b32_e32 v41, vcc_lo, v41
	v_cmp_gt_i32_e32 vcc_lo, 0, v188
	v_and_b32_e32 v37, v37, v191
	v_not_b32_e32 v188, v189
	v_ashrrev_i32_e32 v43, 31, v43
	s_wait_alu 0xf1ff
	v_xor_b32_e32 v42, s15, v42
	v_cmp_gt_i32_e64 s15, 0, v189
	v_and_b32_e32 v37, v37, v41
	v_not_b32_e32 v41, v190
	v_ashrrev_i32_e32 v188, 31, v188
	s_wait_alu 0xfffd
	v_xor_b32_e32 v43, vcc_lo, v43
	v_cmp_gt_i32_e32 vcc_lo, 0, v190
	v_and_b32_e32 v37, v37, v42
	v_not_b32_e32 v42, v187
	v_ashrrev_i32_e32 v41, 31, v41
	s_wait_alu 0xf1ff
	v_xor_b32_e32 v188, s15, v188
	v_cmp_gt_i32_e64 s15, 0, v187
	v_and_b32_e32 v37, v37, v43
	v_ashrrev_i32_e32 v42, 31, v42
	s_wait_alu 0xfffd
	v_xor_b32_e32 v41, vcc_lo, v41
	v_mad_u32_u24 v43, v40, 36, v118
	v_mul_u32_u24_e32 v40, 36, v40
	v_and_b32_e32 v37, v37, v188
	s_wait_alu 0xf1ff
	v_xor_b32_e32 v42, s15, v42
	ds_load_b32 v188, v43 offset:1056
	v_add_nc_u32_e32 v190, v118, v40
	v_and_b32_e32 v37, v37, v41
	; wave barrier
	s_delay_alu instid0(VALU_DEP_1) | instskip(NEXT) | instid1(VALU_DEP_1)
	v_and_b32_e32 v37, v37, v42
	v_mbcnt_lo_u32_b32 v189, v37, 0
	v_cmp_ne_u32_e64 s15, 0, v37
	s_delay_alu instid0(VALU_DEP_2)
	v_cmp_eq_u32_e32 vcc_lo, 0, v189
	s_and_b32 s16, s15, vcc_lo
	s_wait_alu 0xfffe
	s_and_saveexec_b32 s15, s16
	s_cbranch_execz .LBB1434_744
; %bb.743:                              ;   in Loop: Header=BB1434_682 Depth=2
	s_wait_dscnt 0x0
	v_bcnt_u32_b32 v37, v37, v188
	ds_store_b32 v190, v37 offset:1056
.LBB1434_744:                           ;   in Loop: Header=BB1434_682 Depth=2
	s_wait_alu 0xfffe
	s_or_b32 exec_lo, exec_lo, s15
	v_cmp_lt_i32_e32 vcc_lo, -1, v39
	; wave barrier
	s_wait_alu 0xfffd
	v_cndmask_b32_e64 v37, -1, 0x80000000, vcc_lo
	s_delay_alu instid0(VALU_DEP_1) | instskip(NEXT) | instid1(VALU_DEP_1)
	v_xor_b32_e32 v187, v37, v39
	v_cmp_ne_u32_e32 vcc_lo, 0x7fffffff, v187
	s_wait_alu 0xfffd
	v_cndmask_b32_e32 v37, 0x80000000, v187, vcc_lo
	s_delay_alu instid0(VALU_DEP_1) | instskip(NEXT) | instid1(VALU_DEP_1)
	v_lshrrev_b32_e32 v37, s49, v37
	v_and_b32_e32 v39, s48, v37
	s_delay_alu instid0(VALU_DEP_1)
	v_and_b32_e32 v37, 1, v39
	v_lshlrev_b32_e32 v40, 30, v39
	v_lshlrev_b32_e32 v41, 29, v39
	;; [unrolled: 1-line block ×4, first 2 shown]
	v_add_co_u32 v37, s15, v37, -1
	s_wait_alu 0xf1ff
	v_cndmask_b32_e64 v43, 0, 1, s15
	v_not_b32_e32 v194, v40
	v_cmp_gt_i32_e64 s15, 0, v40
	v_not_b32_e32 v40, v41
	v_lshlrev_b32_e32 v192, 26, v39
	v_cmp_ne_u32_e32 vcc_lo, 0, v43
	v_ashrrev_i32_e32 v194, 31, v194
	v_lshlrev_b32_e32 v193, 25, v39
	v_ashrrev_i32_e32 v40, 31, v40
	v_lshlrev_b32_e32 v43, 24, v39
	s_wait_alu 0xfffd
	v_xor_b32_e32 v37, vcc_lo, v37
	v_cmp_gt_i32_e32 vcc_lo, 0, v41
	v_not_b32_e32 v41, v42
	s_wait_alu 0xf1ff
	v_xor_b32_e32 v194, s15, v194
	v_cmp_gt_i32_e64 s15, 0, v42
	v_and_b32_e32 v37, exec_lo, v37
	v_not_b32_e32 v42, v191
	v_ashrrev_i32_e32 v41, 31, v41
	s_wait_alu 0xfffd
	v_xor_b32_e32 v40, vcc_lo, v40
	v_cmp_gt_i32_e32 vcc_lo, 0, v191
	v_and_b32_e32 v37, v37, v194
	v_not_b32_e32 v191, v192
	v_ashrrev_i32_e32 v42, 31, v42
	s_wait_alu 0xf1ff
	v_xor_b32_e32 v41, s15, v41
	v_cmp_gt_i32_e64 s15, 0, v192
	v_and_b32_e32 v37, v37, v40
	v_not_b32_e32 v40, v193
	v_ashrrev_i32_e32 v191, 31, v191
	s_wait_alu 0xfffd
	v_xor_b32_e32 v42, vcc_lo, v42
	v_cmp_gt_i32_e32 vcc_lo, 0, v193
	v_and_b32_e32 v37, v37, v41
	v_not_b32_e32 v41, v43
	v_ashrrev_i32_e32 v40, 31, v40
	s_wait_alu 0xf1ff
	v_xor_b32_e32 v191, s15, v191
	v_cmp_gt_i32_e64 s15, 0, v43
	v_and_b32_e32 v37, v37, v42
	v_ashrrev_i32_e32 v41, 31, v41
	s_wait_alu 0xfffd
	v_xor_b32_e32 v40, vcc_lo, v40
	v_mad_u32_u24 v42, v39, 36, v118
	v_mul_u32_u24_e32 v39, 36, v39
	v_and_b32_e32 v37, v37, v191
	s_wait_alu 0xf1ff
	v_xor_b32_e32 v41, s15, v41
	ds_load_b32 v192, v42 offset:1056
	v_add_nc_u32_e32 v194, v118, v39
	v_and_b32_e32 v37, v37, v40
	; wave barrier
	s_delay_alu instid0(VALU_DEP_1) | instskip(NEXT) | instid1(VALU_DEP_1)
	v_and_b32_e32 v37, v37, v41
	v_mbcnt_lo_u32_b32 v193, v37, 0
	v_cmp_ne_u32_e64 s15, 0, v37
	s_delay_alu instid0(VALU_DEP_2)
	v_cmp_eq_u32_e32 vcc_lo, 0, v193
	s_and_b32 s16, s15, vcc_lo
	s_wait_alu 0xfffe
	s_and_saveexec_b32 s15, s16
	s_cbranch_execz .LBB1434_746
; %bb.745:                              ;   in Loop: Header=BB1434_682 Depth=2
	s_wait_dscnt 0x0
	v_bcnt_u32_b32 v37, v37, v192
	ds_store_b32 v194, v37 offset:1056
.LBB1434_746:                           ;   in Loop: Header=BB1434_682 Depth=2
	s_wait_alu 0xfffe
	s_or_b32 exec_lo, exec_lo, s15
	v_cmp_lt_i32_e32 vcc_lo, -1, v38
	; wave barrier
	s_wait_alu 0xfffd
	v_cndmask_b32_e64 v37, -1, 0x80000000, vcc_lo
	s_delay_alu instid0(VALU_DEP_1) | instskip(NEXT) | instid1(VALU_DEP_1)
	v_xor_b32_e32 v191, v37, v38
	v_cmp_ne_u32_e32 vcc_lo, 0x7fffffff, v191
	s_wait_alu 0xfffd
	v_cndmask_b32_e32 v37, 0x80000000, v191, vcc_lo
	s_delay_alu instid0(VALU_DEP_1) | instskip(NEXT) | instid1(VALU_DEP_1)
	v_lshrrev_b32_e32 v37, s49, v37
	v_and_b32_e32 v38, s48, v37
	s_delay_alu instid0(VALU_DEP_1)
	v_and_b32_e32 v37, 1, v38
	v_lshlrev_b32_e32 v39, 30, v38
	v_lshlrev_b32_e32 v40, 29, v38
	;; [unrolled: 1-line block ×4, first 2 shown]
	v_add_co_u32 v37, s15, v37, -1
	s_wait_alu 0xf1ff
	v_cndmask_b32_e64 v42, 0, 1, s15
	v_not_b32_e32 v197, v39
	v_cmp_gt_i32_e64 s15, 0, v39
	v_not_b32_e32 v39, v40
	v_lshlrev_b32_e32 v195, 26, v38
	v_cmp_ne_u32_e32 vcc_lo, 0, v42
	v_ashrrev_i32_e32 v197, 31, v197
	v_lshlrev_b32_e32 v196, 25, v38
	v_ashrrev_i32_e32 v39, 31, v39
	v_lshlrev_b32_e32 v42, 24, v38
	s_wait_alu 0xfffd
	v_xor_b32_e32 v37, vcc_lo, v37
	v_cmp_gt_i32_e32 vcc_lo, 0, v40
	v_not_b32_e32 v40, v41
	s_wait_alu 0xf1ff
	v_xor_b32_e32 v197, s15, v197
	v_cmp_gt_i32_e64 s15, 0, v41
	v_and_b32_e32 v37, exec_lo, v37
	v_not_b32_e32 v41, v43
	v_ashrrev_i32_e32 v40, 31, v40
	s_wait_alu 0xfffd
	v_xor_b32_e32 v39, vcc_lo, v39
	v_cmp_gt_i32_e32 vcc_lo, 0, v43
	v_and_b32_e32 v37, v37, v197
	v_not_b32_e32 v43, v195
	v_ashrrev_i32_e32 v41, 31, v41
	s_wait_alu 0xf1ff
	v_xor_b32_e32 v40, s15, v40
	v_cmp_gt_i32_e64 s15, 0, v195
	v_and_b32_e32 v37, v37, v39
	v_not_b32_e32 v39, v196
	v_ashrrev_i32_e32 v43, 31, v43
	s_wait_alu 0xfffd
	v_xor_b32_e32 v41, vcc_lo, v41
	v_cmp_gt_i32_e32 vcc_lo, 0, v196
	v_and_b32_e32 v37, v37, v40
	v_not_b32_e32 v40, v42
	v_ashrrev_i32_e32 v39, 31, v39
	s_wait_alu 0xf1ff
	v_xor_b32_e32 v43, s15, v43
	v_cmp_gt_i32_e64 s15, 0, v42
	v_and_b32_e32 v37, v37, v41
	v_ashrrev_i32_e32 v40, 31, v40
	s_wait_alu 0xfffd
	v_xor_b32_e32 v39, vcc_lo, v39
	v_mad_u32_u24 v41, v38, 36, v118
	v_mul_u32_u24_e32 v38, 36, v38
	v_and_b32_e32 v37, v37, v43
	s_wait_alu 0xf1ff
	v_xor_b32_e32 v40, s15, v40
	ds_load_b32 v196, v41 offset:1056
	v_add_nc_u32_e32 v198, v118, v38
	v_and_b32_e32 v37, v37, v39
	; wave barrier
	s_delay_alu instid0(VALU_DEP_1) | instskip(NEXT) | instid1(VALU_DEP_1)
	v_and_b32_e32 v37, v37, v40
	v_mbcnt_lo_u32_b32 v197, v37, 0
	v_cmp_ne_u32_e64 s15, 0, v37
	s_delay_alu instid0(VALU_DEP_2)
	v_cmp_eq_u32_e32 vcc_lo, 0, v197
	s_and_b32 s16, s15, vcc_lo
	s_wait_alu 0xfffe
	s_and_saveexec_b32 s15, s16
	s_cbranch_execz .LBB1434_748
; %bb.747:                              ;   in Loop: Header=BB1434_682 Depth=2
	s_wait_dscnt 0x0
	v_bcnt_u32_b32 v37, v37, v196
	ds_store_b32 v198, v37 offset:1056
.LBB1434_748:                           ;   in Loop: Header=BB1434_682 Depth=2
	s_wait_alu 0xfffe
	s_or_b32 exec_lo, exec_lo, s15
	v_cmp_lt_i32_e32 vcc_lo, -1, v36
	; wave barrier
	s_wait_alu 0xfffd
	v_cndmask_b32_e64 v37, -1, 0x80000000, vcc_lo
	s_delay_alu instid0(VALU_DEP_1) | instskip(NEXT) | instid1(VALU_DEP_1)
	v_xor_b32_e32 v195, v37, v36
	v_cmp_ne_u32_e32 vcc_lo, 0x7fffffff, v195
	s_wait_alu 0xfffd
	v_cndmask_b32_e32 v36, 0x80000000, v195, vcc_lo
	s_delay_alu instid0(VALU_DEP_1) | instskip(NEXT) | instid1(VALU_DEP_1)
	v_lshrrev_b32_e32 v36, s49, v36
	v_and_b32_e32 v37, s48, v36
	s_delay_alu instid0(VALU_DEP_1)
	v_and_b32_e32 v36, 1, v37
	v_lshlrev_b32_e32 v38, 30, v37
	v_lshlrev_b32_e32 v39, 29, v37
	;; [unrolled: 1-line block ×4, first 2 shown]
	v_add_co_u32 v36, s15, v36, -1
	s_wait_alu 0xf1ff
	v_cndmask_b32_e64 v41, 0, 1, s15
	v_not_b32_e32 v200, v38
	v_cmp_gt_i32_e64 s15, 0, v38
	v_not_b32_e32 v38, v39
	v_lshlrev_b32_e32 v43, 26, v37
	v_cmp_ne_u32_e32 vcc_lo, 0, v41
	v_ashrrev_i32_e32 v200, 31, v200
	v_lshlrev_b32_e32 v199, 25, v37
	v_ashrrev_i32_e32 v38, 31, v38
	v_lshlrev_b32_e32 v41, 24, v37
	s_wait_alu 0xfffd
	v_xor_b32_e32 v36, vcc_lo, v36
	v_cmp_gt_i32_e32 vcc_lo, 0, v39
	v_not_b32_e32 v39, v40
	s_wait_alu 0xf1ff
	v_xor_b32_e32 v200, s15, v200
	v_cmp_gt_i32_e64 s15, 0, v40
	v_and_b32_e32 v36, exec_lo, v36
	v_not_b32_e32 v40, v42
	v_ashrrev_i32_e32 v39, 31, v39
	s_wait_alu 0xfffd
	v_xor_b32_e32 v38, vcc_lo, v38
	v_cmp_gt_i32_e32 vcc_lo, 0, v42
	v_and_b32_e32 v36, v36, v200
	v_not_b32_e32 v42, v43
	v_ashrrev_i32_e32 v40, 31, v40
	s_wait_alu 0xf1ff
	v_xor_b32_e32 v39, s15, v39
	v_cmp_gt_i32_e64 s15, 0, v43
	v_and_b32_e32 v36, v36, v38
	v_not_b32_e32 v38, v199
	v_ashrrev_i32_e32 v42, 31, v42
	s_wait_alu 0xfffd
	v_xor_b32_e32 v40, vcc_lo, v40
	v_cmp_gt_i32_e32 vcc_lo, 0, v199
	v_and_b32_e32 v36, v36, v39
	v_not_b32_e32 v39, v41
	v_ashrrev_i32_e32 v38, 31, v38
	s_wait_alu 0xf1ff
	v_xor_b32_e32 v42, s15, v42
	v_cmp_gt_i32_e64 s15, 0, v41
	v_and_b32_e32 v36, v36, v40
	v_ashrrev_i32_e32 v39, 31, v39
	s_wait_alu 0xfffd
	v_xor_b32_e32 v38, vcc_lo, v38
	v_mad_u32_u24 v40, v37, 36, v118
	v_mul_u32_u24_e32 v37, 36, v37
	v_and_b32_e32 v36, v36, v42
	s_wait_alu 0xf1ff
	v_xor_b32_e32 v39, s15, v39
	ds_load_b32 v199, v40 offset:1056
	v_add_nc_u32_e32 v201, v118, v37
	v_and_b32_e32 v36, v36, v38
	; wave barrier
	s_delay_alu instid0(VALU_DEP_1) | instskip(NEXT) | instid1(VALU_DEP_1)
	v_and_b32_e32 v36, v36, v39
	v_mbcnt_lo_u32_b32 v200, v36, 0
	v_cmp_ne_u32_e64 s15, 0, v36
	s_delay_alu instid0(VALU_DEP_2)
	v_cmp_eq_u32_e32 vcc_lo, 0, v200
	s_and_b32 s16, s15, vcc_lo
	s_wait_alu 0xfffe
	s_and_saveexec_b32 s15, s16
	s_cbranch_execz .LBB1434_750
; %bb.749:                              ;   in Loop: Header=BB1434_682 Depth=2
	s_wait_dscnt 0x0
	v_bcnt_u32_b32 v36, v36, v199
	ds_store_b32 v201, v36 offset:1056
.LBB1434_750:                           ;   in Loop: Header=BB1434_682 Depth=2
	s_wait_alu 0xfffe
	s_or_b32 exec_lo, exec_lo, s15
	; wave barrier
	s_wait_loadcnt_dscnt 0x0
	s_barrier_signal -1
	s_barrier_wait -1
	global_inv scope:SCOPE_SE
	ds_load_2addr_b32 v[42:43], v139 offset1:1
	ds_load_2addr_b32 v[40:41], v140 offset1:1
	;; [unrolled: 1-line block ×4, first 2 shown]
	ds_load_b32 v202, v67 offset:1088
	s_wait_dscnt 0x3
	v_add3_u32 v203, v43, v42, v40
	s_wait_dscnt 0x2
	s_delay_alu instid0(VALU_DEP_1) | instskip(SKIP_1) | instid1(VALU_DEP_1)
	v_add3_u32 v203, v203, v41, v38
	s_wait_dscnt 0x1
	v_add3_u32 v203, v203, v39, v36
	s_wait_dscnt 0x0
	s_delay_alu instid0(VALU_DEP_1) | instskip(NEXT) | instid1(VALU_DEP_1)
	v_add3_u32 v202, v203, v37, v202
	v_mov_b32_dpp v203, v202 row_shr:1 row_mask:0xf bank_mask:0xf
	s_delay_alu instid0(VALU_DEP_1) | instskip(NEXT) | instid1(VALU_DEP_1)
	v_cndmask_b32_e64 v203, v203, 0, s0
	v_add_nc_u32_e32 v202, v203, v202
	s_delay_alu instid0(VALU_DEP_1) | instskip(NEXT) | instid1(VALU_DEP_1)
	v_mov_b32_dpp v203, v202 row_shr:2 row_mask:0xf bank_mask:0xf
	v_cndmask_b32_e64 v203, 0, v203, s1
	s_delay_alu instid0(VALU_DEP_1) | instskip(NEXT) | instid1(VALU_DEP_1)
	v_add_nc_u32_e32 v202, v202, v203
	v_mov_b32_dpp v203, v202 row_shr:4 row_mask:0xf bank_mask:0xf
	s_delay_alu instid0(VALU_DEP_1) | instskip(NEXT) | instid1(VALU_DEP_1)
	v_cndmask_b32_e64 v203, 0, v203, s9
	v_add_nc_u32_e32 v202, v202, v203
	s_delay_alu instid0(VALU_DEP_1) | instskip(NEXT) | instid1(VALU_DEP_1)
	v_mov_b32_dpp v203, v202 row_shr:8 row_mask:0xf bank_mask:0xf
	v_cndmask_b32_e64 v203, 0, v203, s10
	s_delay_alu instid0(VALU_DEP_1) | instskip(SKIP_3) | instid1(VALU_DEP_1)
	v_add_nc_u32_e32 v202, v202, v203
	ds_swizzle_b32 v203, v202 offset:swizzle(BROADCAST,32,15)
	s_wait_dscnt 0x0
	v_cndmask_b32_e64 v203, v203, 0, s11
	v_add_nc_u32_e32 v202, v202, v203
	s_and_saveexec_b32 s15, s3
; %bb.751:                              ;   in Loop: Header=BB1434_682 Depth=2
	ds_store_b32 v63, v202 offset:1024
; %bb.752:                              ;   in Loop: Header=BB1434_682 Depth=2
	s_wait_alu 0xfffe
	s_or_b32 exec_lo, exec_lo, s15
	s_wait_loadcnt_dscnt 0x0
	s_barrier_signal -1
	s_barrier_wait -1
	global_inv scope:SCOPE_SE
	s_and_saveexec_b32 s15, s4
	s_cbranch_execz .LBB1434_754
; %bb.753:                              ;   in Loop: Header=BB1434_682 Depth=2
	ds_load_b32 v203, v70 offset:1024
	s_wait_dscnt 0x0
	v_mov_b32_dpp v204, v203 row_shr:1 row_mask:0xf bank_mask:0xf
	s_delay_alu instid0(VALU_DEP_1) | instskip(NEXT) | instid1(VALU_DEP_1)
	v_cndmask_b32_e64 v204, v204, 0, s12
	v_add_nc_u32_e32 v203, v204, v203
	s_delay_alu instid0(VALU_DEP_1) | instskip(NEXT) | instid1(VALU_DEP_1)
	v_mov_b32_dpp v204, v203 row_shr:2 row_mask:0xf bank_mask:0xf
	v_cndmask_b32_e64 v204, 0, v204, s13
	s_delay_alu instid0(VALU_DEP_1) | instskip(NEXT) | instid1(VALU_DEP_1)
	v_add_nc_u32_e32 v203, v203, v204
	v_mov_b32_dpp v204, v203 row_shr:4 row_mask:0xf bank_mask:0xf
	s_delay_alu instid0(VALU_DEP_1) | instskip(NEXT) | instid1(VALU_DEP_1)
	v_cndmask_b32_e64 v204, 0, v204, s14
	v_add_nc_u32_e32 v203, v203, v204
	ds_store_b32 v70, v203 offset:1024
.LBB1434_754:                           ;   in Loop: Header=BB1434_682 Depth=2
	s_wait_alu 0xfffe
	s_or_b32 exec_lo, exec_lo, s15
	v_mov_b32_e32 v203, 0
	s_wait_loadcnt_dscnt 0x0
	s_barrier_signal -1
	s_barrier_wait -1
	global_inv scope:SCOPE_SE
	s_and_saveexec_b32 s15, s5
; %bb.755:                              ;   in Loop: Header=BB1434_682 Depth=2
	ds_load_b32 v203, v63 offset:1020
; %bb.756:                              ;   in Loop: Header=BB1434_682 Depth=2
	s_wait_alu 0xfffe
	s_or_b32 exec_lo, exec_lo, s15
	s_wait_dscnt 0x0
	v_add_nc_u32_e32 v202, v203, v202
	ds_bpermute_b32 v202, v113, v202
	s_wait_dscnt 0x0
	v_cndmask_b32_e64 v202, v202, v203, s8
	s_delay_alu instid0(VALU_DEP_1) | instskip(NEXT) | instid1(VALU_DEP_1)
	v_cndmask_b32_e64 v202, v202, 0, s6
	v_add_nc_u32_e32 v42, v202, v42
	s_delay_alu instid0(VALU_DEP_1) | instskip(NEXT) | instid1(VALU_DEP_1)
	v_add_nc_u32_e32 v43, v42, v43
	v_add_nc_u32_e32 v40, v43, v40
	s_delay_alu instid0(VALU_DEP_1) | instskip(NEXT) | instid1(VALU_DEP_1)
	v_add_nc_u32_e32 v41, v40, v41
	;; [unrolled: 3-line block ×3, first 2 shown]
	v_add_nc_u32_e32 v36, v39, v36
	s_delay_alu instid0(VALU_DEP_1)
	v_add_nc_u32_e32 v37, v36, v37
	ds_store_2addr_b32 v138, v39, v36 offset1:1
	ds_store_2addr_b32 v139, v202, v42 offset1:1
	;; [unrolled: 1-line block ×4, first 2 shown]
	ds_store_b32 v67, v37 offset:1088
	s_wait_loadcnt_dscnt 0x0
	s_barrier_signal -1
	s_barrier_wait -1
	global_inv scope:SCOPE_SE
	ds_load_b32 v39, v142 offset:1056
	ds_load_b32 v41, v146 offset:1056
	;; [unrolled: 1-line block ×17, first 2 shown]
	v_mov_b32_e32 v38, 0x1000
	s_and_saveexec_b32 s15, s7
; %bb.757:                              ;   in Loop: Header=BB1434_682 Depth=2
	ds_load_b32 v38, v67 offset:1092
; %bb.758:                              ;   in Loop: Header=BB1434_682 Depth=2
	s_wait_alu 0xfffe
	s_or_b32 exec_lo, exec_lo, s15
	s_wait_loadcnt_dscnt 0x0
	s_barrier_signal -1
	s_barrier_wait -1
	global_inv scope:SCOPE_SE
	s_and_saveexec_b32 s15, s2
	s_cbranch_execz .LBB1434_760
; %bb.759:                              ;   in Loop: Header=BB1434_682 Depth=2
	ds_load_b32 v142, v44
	s_wait_dscnt 0x0
	v_sub_nc_u32_e32 v141, v142, v141
	ds_store_b32 v44, v141
.LBB1434_760:                           ;   in Loop: Header=BB1434_682 Depth=2
	s_wait_alu 0xfffe
	s_or_b32 exec_lo, exec_lo, s15
	v_add_nc_u32_e32 v154, v39, v137
	v_add3_u32 v150, v145, v144, v41
	v_add3_u32 v146, v149, v148, v42
	;; [unrolled: 1-line block ×4, first 2 shown]
	v_lshlrev_b32_e32 v148, 2, v154
	v_add3_u32 v142, v161, v160, v139
	v_add3_u32 v141, v165, v164, v140
	v_add3_u32 v140, v169, v168, v162
	v_add3_u32 v43, v189, v188, v36
	ds_store_b32 v148, v2 offset:1024
	v_lshlrev_b32_e32 v2, 2, v150
	v_lshlrev_b32_e32 v36, 2, v146
	v_add3_u32 v139, v173, v172, v167
	v_add3_u32 v42, v193, v192, v37
	v_lshlrev_b32_e32 v37, 2, v145
	v_add3_u32 v138, v177, v176, v170
	v_lshlrev_b32_e32 v148, 2, v144
	;; [unrolled: 2-line block ×3, first 2 shown]
	v_add3_u32 v39, v185, v184, v178
	ds_store_b32 v2, v136 offset:1024
	ds_store_b32 v36, v143 offset:1024
	;; [unrolled: 1-line block ×5, first 2 shown]
	v_lshlrev_b32_e32 v2, 2, v141
	v_lshlrev_b32_e32 v36, 2, v140
	;; [unrolled: 1-line block ×3, first 2 shown]
	v_add3_u32 v41, v197, v196, v40
	v_lshlrev_b32_e32 v136, 2, v138
	v_add3_u32 v40, v200, v199, v158
	v_lshlrev_b32_e32 v143, 2, v137
	ds_store_b32 v2, v159 offset:1024
	ds_store_b32 v36, v163 offset:1024
	;; [unrolled: 1-line block ×5, first 2 shown]
	v_lshlrev_b32_e32 v2, 2, v39
	v_cmp_lt_u32_e32 vcc_lo, v1, v135
	v_lshlrev_b32_e32 v36, 2, v43
	v_lshlrev_b32_e32 v37, 2, v42
	v_lshlrev_b32_e32 v136, 2, v41
	v_lshlrev_b32_e32 v143, 2, v40
	ds_store_b32 v2, v179 offset:1024
	ds_store_b32 v36, v183 offset:1024
	;; [unrolled: 1-line block ×5, first 2 shown]
	s_wait_loadcnt_dscnt 0x0
	s_barrier_signal -1
	s_barrier_wait -1
	global_inv scope:SCOPE_SE
	s_and_saveexec_b32 s16, vcc_lo
	s_cbranch_execnz .LBB1434_829
; %bb.761:                              ;   in Loop: Header=BB1434_682 Depth=2
	s_wait_alu 0xfffe
	s_or_b32 exec_lo, exec_lo, s16
	v_cmp_lt_u32_e64 s15, v45, v135
	s_and_saveexec_b32 s17, s15
	s_cbranch_execnz .LBB1434_830
.LBB1434_762:                           ;   in Loop: Header=BB1434_682 Depth=2
	s_wait_alu 0xfffe
	s_or_b32 exec_lo, exec_lo, s17
	v_cmp_lt_u32_e64 s16, v46, v135
	s_and_saveexec_b32 s18, s16
	s_cbranch_execnz .LBB1434_831
.LBB1434_763:                           ;   in Loop: Header=BB1434_682 Depth=2
	s_wait_alu 0xfffe
	s_or_b32 exec_lo, exec_lo, s18
	v_cmp_lt_u32_e64 s17, v47, v135
	s_and_saveexec_b32 s19, s17
	s_cbranch_execnz .LBB1434_832
.LBB1434_764:                           ;   in Loop: Header=BB1434_682 Depth=2
	s_wait_alu 0xfffe
	s_or_b32 exec_lo, exec_lo, s19
	v_cmp_lt_u32_e64 s18, v50, v135
	s_and_saveexec_b32 s20, s18
	s_cbranch_execnz .LBB1434_833
.LBB1434_765:                           ;   in Loop: Header=BB1434_682 Depth=2
	s_wait_alu 0xfffe
	s_or_b32 exec_lo, exec_lo, s20
	v_cmp_lt_u32_e64 s19, v51, v135
	s_and_saveexec_b32 s21, s19
	s_cbranch_execnz .LBB1434_834
.LBB1434_766:                           ;   in Loop: Header=BB1434_682 Depth=2
	s_wait_alu 0xfffe
	s_or_b32 exec_lo, exec_lo, s21
	v_cmp_lt_u32_e64 s20, v52, v135
	s_and_saveexec_b32 s22, s20
	s_cbranch_execnz .LBB1434_835
.LBB1434_767:                           ;   in Loop: Header=BB1434_682 Depth=2
	s_wait_alu 0xfffe
	s_or_b32 exec_lo, exec_lo, s22
	v_cmp_lt_u32_e64 s21, v53, v135
	s_and_saveexec_b32 s23, s21
	s_cbranch_execnz .LBB1434_836
.LBB1434_768:                           ;   in Loop: Header=BB1434_682 Depth=2
	s_wait_alu 0xfffe
	s_or_b32 exec_lo, exec_lo, s23
	v_cmp_lt_u32_e64 s22, v54, v135
	s_and_saveexec_b32 s24, s22
	s_cbranch_execnz .LBB1434_837
.LBB1434_769:                           ;   in Loop: Header=BB1434_682 Depth=2
	s_wait_alu 0xfffe
	s_or_b32 exec_lo, exec_lo, s24
	v_cmp_lt_u32_e64 s23, v55, v135
	s_and_saveexec_b32 s25, s23
	s_cbranch_execnz .LBB1434_838
.LBB1434_770:                           ;   in Loop: Header=BB1434_682 Depth=2
	s_wait_alu 0xfffe
	s_or_b32 exec_lo, exec_lo, s25
	v_cmp_lt_u32_e64 s24, v56, v135
	s_and_saveexec_b32 s26, s24
	s_cbranch_execnz .LBB1434_839
.LBB1434_771:                           ;   in Loop: Header=BB1434_682 Depth=2
	s_wait_alu 0xfffe
	s_or_b32 exec_lo, exec_lo, s26
	v_cmp_lt_u32_e64 s25, v57, v135
	s_and_saveexec_b32 s27, s25
	s_cbranch_execnz .LBB1434_840
.LBB1434_772:                           ;   in Loop: Header=BB1434_682 Depth=2
	s_wait_alu 0xfffe
	s_or_b32 exec_lo, exec_lo, s27
	v_cmp_lt_u32_e64 s26, v58, v135
	s_and_saveexec_b32 s28, s26
	s_cbranch_execnz .LBB1434_841
.LBB1434_773:                           ;   in Loop: Header=BB1434_682 Depth=2
	s_wait_alu 0xfffe
	s_or_b32 exec_lo, exec_lo, s28
	v_cmp_lt_u32_e64 s27, v59, v135
	s_and_saveexec_b32 s29, s27
	s_cbranch_execnz .LBB1434_842
.LBB1434_774:                           ;   in Loop: Header=BB1434_682 Depth=2
	s_wait_alu 0xfffe
	s_or_b32 exec_lo, exec_lo, s29
	v_cmp_lt_u32_e64 s28, v60, v135
	s_and_saveexec_b32 s30, s28
	s_cbranch_execnz .LBB1434_843
.LBB1434_775:                           ;   in Loop: Header=BB1434_682 Depth=2
	s_wait_alu 0xfffe
	s_or_b32 exec_lo, exec_lo, s30
	v_cmp_lt_u32_e64 s29, v61, v135
	s_and_saveexec_b32 s56, s29
	s_cbranch_execz .LBB1434_777
.LBB1434_776:                           ;   in Loop: Header=BB1434_682 Depth=2
	ds_load_b32 v136, v70 offset:16384
	s_wait_dscnt 0x0
	v_cmp_ne_u32_e64 s30, 0x7fffffff, v136
	s_wait_alu 0xf1ff
	s_delay_alu instid0(VALU_DEP_1) | instskip(SKIP_1) | instid1(VALU_DEP_2)
	v_cndmask_b32_e64 v2, 0x80000000, v136, s30
	v_cmp_lt_i32_e64 s30, -1, v136
	v_lshrrev_b32_e32 v2, s49, v2
	s_wait_alu 0xf1ff
	s_delay_alu instid0(VALU_DEP_2) | instskip(NEXT) | instid1(VALU_DEP_2)
	v_cndmask_b32_e64 v143, 0x80000000, -1, s30
	v_and_b32_e32 v2, s48, v2
	s_delay_alu instid0(VALU_DEP_1) | instskip(SKIP_3) | instid1(VALU_DEP_1)
	v_lshlrev_b32_e32 v2, 2, v2
	ds_load_b32 v2, v2
	s_wait_dscnt 0x0
	v_add_nc_u32_e32 v2, v2, v61
	v_lshlrev_b64_e32 v[36:37], 2, v[2:3]
	v_xor_b32_e32 v2, v143, v136
	s_delay_alu instid0(VALU_DEP_2) | instskip(SKIP_1) | instid1(VALU_DEP_3)
	v_add_co_u32 v36, s30, s38, v36
	s_wait_alu 0xf1ff
	v_add_co_ci_u32_e64 v37, null, s39, v37, s30
	global_store_b32 v[36:37], v2, off
.LBB1434_777:                           ;   in Loop: Header=BB1434_682 Depth=2
	s_wait_alu 0xfffe
	s_or_b32 exec_lo, exec_lo, s56
	s_lshl_b64 s[56:57], s[42:43], 3
	s_wait_alu 0xfffe
	v_add_co_u32 v36, s30, v114, s56
	s_wait_alu 0xf1ff
	v_add_co_ci_u32_e64 v37, null, s57, v115, s30
	v_cmp_lt_u32_e64 s30, v88, v135
	s_and_saveexec_b32 s42, s30
	s_wait_alu 0xfffe
	s_xor_b32 s30, exec_lo, s42
	s_cbranch_execnz .LBB1434_844
; %bb.778:                              ;   in Loop: Header=BB1434_682 Depth=2
	s_wait_alu 0xfffe
	s_or_b32 exec_lo, exec_lo, s30
	s_delay_alu instid0(SALU_CYCLE_1)
	s_mov_b32 s42, exec_lo
	v_cmpx_lt_u32_e64 v92, v135
	s_cbranch_execnz .LBB1434_845
.LBB1434_779:                           ;   in Loop: Header=BB1434_682 Depth=2
	s_wait_alu 0xfffe
	s_or_b32 exec_lo, exec_lo, s42
	s_delay_alu instid0(SALU_CYCLE_1)
	s_mov_b32 s42, exec_lo
	v_cmpx_lt_u32_e64 v93, v135
	s_cbranch_execnz .LBB1434_846
.LBB1434_780:                           ;   in Loop: Header=BB1434_682 Depth=2
	s_wait_alu 0xfffe
	s_or_b32 exec_lo, exec_lo, s42
	s_delay_alu instid0(SALU_CYCLE_1)
	s_mov_b32 s42, exec_lo
	v_cmpx_lt_u32_e64 v94, v135
	s_cbranch_execnz .LBB1434_847
.LBB1434_781:                           ;   in Loop: Header=BB1434_682 Depth=2
	s_wait_alu 0xfffe
	s_or_b32 exec_lo, exec_lo, s42
	s_delay_alu instid0(SALU_CYCLE_1)
	s_mov_b32 s42, exec_lo
	v_cmpx_lt_u32_e64 v95, v135
	s_cbranch_execnz .LBB1434_848
.LBB1434_782:                           ;   in Loop: Header=BB1434_682 Depth=2
	s_wait_alu 0xfffe
	s_or_b32 exec_lo, exec_lo, s42
	s_delay_alu instid0(SALU_CYCLE_1)
	s_mov_b32 s42, exec_lo
	v_cmpx_lt_u32_e64 v96, v135
	s_cbranch_execnz .LBB1434_849
.LBB1434_783:                           ;   in Loop: Header=BB1434_682 Depth=2
	s_wait_alu 0xfffe
	s_or_b32 exec_lo, exec_lo, s42
	s_delay_alu instid0(SALU_CYCLE_1)
	s_mov_b32 s42, exec_lo
	v_cmpx_lt_u32_e64 v97, v135
	s_cbranch_execnz .LBB1434_850
.LBB1434_784:                           ;   in Loop: Header=BB1434_682 Depth=2
	s_wait_alu 0xfffe
	s_or_b32 exec_lo, exec_lo, s42
	s_delay_alu instid0(SALU_CYCLE_1)
	s_mov_b32 s42, exec_lo
	v_cmpx_lt_u32_e64 v98, v135
	s_cbranch_execnz .LBB1434_851
.LBB1434_785:                           ;   in Loop: Header=BB1434_682 Depth=2
	s_wait_alu 0xfffe
	s_or_b32 exec_lo, exec_lo, s42
	s_delay_alu instid0(SALU_CYCLE_1)
	s_mov_b32 s42, exec_lo
	v_cmpx_lt_u32_e64 v99, v135
	s_cbranch_execnz .LBB1434_852
.LBB1434_786:                           ;   in Loop: Header=BB1434_682 Depth=2
	s_wait_alu 0xfffe
	s_or_b32 exec_lo, exec_lo, s42
	s_delay_alu instid0(SALU_CYCLE_1)
	s_mov_b32 s42, exec_lo
	v_cmpx_lt_u32_e64 v100, v135
	s_cbranch_execnz .LBB1434_853
.LBB1434_787:                           ;   in Loop: Header=BB1434_682 Depth=2
	s_wait_alu 0xfffe
	s_or_b32 exec_lo, exec_lo, s42
	s_delay_alu instid0(SALU_CYCLE_1)
	s_mov_b32 s42, exec_lo
	v_cmpx_lt_u32_e64 v101, v135
	s_cbranch_execnz .LBB1434_854
.LBB1434_788:                           ;   in Loop: Header=BB1434_682 Depth=2
	s_wait_alu 0xfffe
	s_or_b32 exec_lo, exec_lo, s42
	s_delay_alu instid0(SALU_CYCLE_1)
	s_mov_b32 s42, exec_lo
	v_cmpx_lt_u32_e64 v102, v135
	s_cbranch_execnz .LBB1434_855
.LBB1434_789:                           ;   in Loop: Header=BB1434_682 Depth=2
	s_wait_alu 0xfffe
	s_or_b32 exec_lo, exec_lo, s42
	s_delay_alu instid0(SALU_CYCLE_1)
	s_mov_b32 s42, exec_lo
	v_cmpx_lt_u32_e64 v103, v135
	s_cbranch_execnz .LBB1434_856
.LBB1434_790:                           ;   in Loop: Header=BB1434_682 Depth=2
	s_wait_alu 0xfffe
	s_or_b32 exec_lo, exec_lo, s42
	s_delay_alu instid0(SALU_CYCLE_1)
	s_mov_b32 s42, exec_lo
	v_cmpx_lt_u32_e64 v104, v135
	s_cbranch_execnz .LBB1434_857
.LBB1434_791:                           ;   in Loop: Header=BB1434_682 Depth=2
	s_wait_alu 0xfffe
	s_or_b32 exec_lo, exec_lo, s42
	s_delay_alu instid0(SALU_CYCLE_1)
	s_mov_b32 s42, exec_lo
	v_cmpx_lt_u32_e64 v105, v135
	s_cbranch_execnz .LBB1434_858
.LBB1434_792:                           ;   in Loop: Header=BB1434_682 Depth=2
	s_wait_alu 0xfffe
	s_or_b32 exec_lo, exec_lo, s42
	s_delay_alu instid0(SALU_CYCLE_1)
	s_mov_b32 s42, exec_lo
	v_cmpx_lt_u32_e64 v106, v135
	s_cbranch_execnz .LBB1434_859
.LBB1434_793:                           ;   in Loop: Header=BB1434_682 Depth=2
	s_wait_alu 0xfffe
	s_or_b32 exec_lo, exec_lo, s42
	s_and_saveexec_b32 s42, vcc_lo
	s_cbranch_execnz .LBB1434_860
.LBB1434_794:                           ;   in Loop: Header=BB1434_682 Depth=2
	s_wait_alu 0xfffe
	s_or_b32 exec_lo, exec_lo, s42
	s_and_saveexec_b32 s42, s15
	s_cbranch_execnz .LBB1434_861
.LBB1434_795:                           ;   in Loop: Header=BB1434_682 Depth=2
	s_wait_alu 0xfffe
	s_or_b32 exec_lo, exec_lo, s42
	s_and_saveexec_b32 s42, s16
	s_cbranch_execnz .LBB1434_862
.LBB1434_796:                           ;   in Loop: Header=BB1434_682 Depth=2
	s_wait_alu 0xfffe
	s_or_b32 exec_lo, exec_lo, s42
	s_and_saveexec_b32 s42, s17
	s_cbranch_execnz .LBB1434_863
.LBB1434_797:                           ;   in Loop: Header=BB1434_682 Depth=2
	s_wait_alu 0xfffe
	s_or_b32 exec_lo, exec_lo, s42
	s_and_saveexec_b32 s42, s18
	s_cbranch_execnz .LBB1434_864
.LBB1434_798:                           ;   in Loop: Header=BB1434_682 Depth=2
	s_wait_alu 0xfffe
	s_or_b32 exec_lo, exec_lo, s42
	s_and_saveexec_b32 s42, s19
	s_cbranch_execnz .LBB1434_865
.LBB1434_799:                           ;   in Loop: Header=BB1434_682 Depth=2
	s_wait_alu 0xfffe
	s_or_b32 exec_lo, exec_lo, s42
	s_and_saveexec_b32 s42, s20
	s_cbranch_execnz .LBB1434_866
.LBB1434_800:                           ;   in Loop: Header=BB1434_682 Depth=2
	s_wait_alu 0xfffe
	s_or_b32 exec_lo, exec_lo, s42
	s_and_saveexec_b32 s42, s21
	s_cbranch_execnz .LBB1434_867
.LBB1434_801:                           ;   in Loop: Header=BB1434_682 Depth=2
	s_wait_alu 0xfffe
	s_or_b32 exec_lo, exec_lo, s42
	s_and_saveexec_b32 s42, s22
	s_cbranch_execnz .LBB1434_868
.LBB1434_802:                           ;   in Loop: Header=BB1434_682 Depth=2
	s_wait_alu 0xfffe
	s_or_b32 exec_lo, exec_lo, s42
	s_and_saveexec_b32 s42, s23
	s_cbranch_execnz .LBB1434_869
.LBB1434_803:                           ;   in Loop: Header=BB1434_682 Depth=2
	s_wait_alu 0xfffe
	s_or_b32 exec_lo, exec_lo, s42
	s_and_saveexec_b32 s42, s24
	s_cbranch_execnz .LBB1434_870
.LBB1434_804:                           ;   in Loop: Header=BB1434_682 Depth=2
	s_wait_alu 0xfffe
	s_or_b32 exec_lo, exec_lo, s42
	s_and_saveexec_b32 s42, s25
	s_cbranch_execnz .LBB1434_871
.LBB1434_805:                           ;   in Loop: Header=BB1434_682 Depth=2
	s_wait_alu 0xfffe
	s_or_b32 exec_lo, exec_lo, s42
	s_and_saveexec_b32 s42, s26
	s_cbranch_execnz .LBB1434_872
.LBB1434_806:                           ;   in Loop: Header=BB1434_682 Depth=2
	s_wait_alu 0xfffe
	s_or_b32 exec_lo, exec_lo, s42
	s_and_saveexec_b32 s42, s27
	s_cbranch_execnz .LBB1434_873
.LBB1434_807:                           ;   in Loop: Header=BB1434_682 Depth=2
	s_wait_alu 0xfffe
	s_or_b32 exec_lo, exec_lo, s42
	s_and_saveexec_b32 s42, s28
	s_cbranch_execnz .LBB1434_874
.LBB1434_808:                           ;   in Loop: Header=BB1434_682 Depth=2
	s_wait_alu 0xfffe
	s_or_b32 exec_lo, exec_lo, s42
	s_and_saveexec_b32 s42, s29
	s_cbranch_execz .LBB1434_810
.LBB1434_809:                           ;   in Loop: Header=BB1434_682 Depth=2
	ds_load_b32 v2, v70 offset:16384
	s_wait_dscnt 0x0
	v_cmp_ne_u32_e64 s30, 0x7fffffff, v2
	s_wait_alu 0xf1ff
	s_delay_alu instid0(VALU_DEP_1) | instskip(NEXT) | instid1(VALU_DEP_1)
	v_cndmask_b32_e64 v2, 0x80000000, v2, s30
	v_lshrrev_b32_e32 v2, s49, v2
	s_delay_alu instid0(VALU_DEP_1)
	v_and_b32_e32 v119, s48, v2
.LBB1434_810:                           ;   in Loop: Header=BB1434_682 Depth=2
	s_wait_alu 0xfffe
	s_or_b32 exec_lo, exec_lo, s42
	v_lshlrev_b32_e32 v2, 3, v154
	s_wait_loadcnt 0x0
	s_wait_storecnt 0x0
	s_barrier_signal -1
	s_barrier_wait -1
	global_inv scope:SCOPE_SE
	ds_store_b64 v2, v[34:35] offset:1024
	v_lshlrev_b32_e32 v2, 3, v150
	v_lshlrev_b32_e32 v36, 3, v146
	v_lshlrev_b32_e32 v37, 3, v145
	v_lshlrev_b32_e32 v135, 3, v144
	v_lshlrev_b32_e32 v136, 3, v142
	ds_store_b64 v2, v[32:33] offset:1024
	ds_store_b64 v36, v[30:31] offset:1024
	ds_store_b64 v37, v[28:29] offset:1024
	ds_store_b64 v135, v[26:27] offset:1024
	ds_store_b64 v136, v[24:25] offset:1024
	v_lshlrev_b32_e32 v2, 3, v141
	v_lshlrev_b32_e32 v36, 3, v140
	v_lshlrev_b32_e32 v37, 3, v139
	v_lshlrev_b32_e32 v135, 3, v138
	v_lshlrev_b32_e32 v136, 3, v137
	ds_store_b64 v2, v[22:23] offset:1024
	ds_store_b64 v36, v[20:21] offset:1024
	ds_store_b64 v37, v[18:19] offset:1024
	ds_store_b64 v135, v[16:17] offset:1024
	;; [unrolled: 10-line block ×3, first 2 shown]
	ds_store_b64 v40, v[4:5] offset:1024
	s_wait_loadcnt_dscnt 0x0
	s_barrier_signal -1
	s_barrier_wait -1
	global_inv scope:SCOPE_SE
	s_and_saveexec_b32 s30, vcc_lo
	s_cbranch_execnz .LBB1434_875
; %bb.811:                              ;   in Loop: Header=BB1434_682 Depth=2
	s_wait_alu 0xfffe
	s_or_b32 exec_lo, exec_lo, s30
	s_and_saveexec_b32 s30, s15
	s_cbranch_execnz .LBB1434_876
.LBB1434_812:                           ;   in Loop: Header=BB1434_682 Depth=2
	s_wait_alu 0xfffe
	s_or_b32 exec_lo, exec_lo, s30
	s_and_saveexec_b32 s15, s16
	s_cbranch_execnz .LBB1434_877
.LBB1434_813:                           ;   in Loop: Header=BB1434_682 Depth=2
	s_wait_alu 0xfffe
	s_or_b32 exec_lo, exec_lo, s15
	s_and_saveexec_b32 s15, s17
	s_cbranch_execnz .LBB1434_878
.LBB1434_814:                           ;   in Loop: Header=BB1434_682 Depth=2
	s_wait_alu 0xfffe
	s_or_b32 exec_lo, exec_lo, s15
	s_and_saveexec_b32 s15, s18
	s_cbranch_execnz .LBB1434_879
.LBB1434_815:                           ;   in Loop: Header=BB1434_682 Depth=2
	s_wait_alu 0xfffe
	s_or_b32 exec_lo, exec_lo, s15
	s_and_saveexec_b32 s15, s19
	s_cbranch_execnz .LBB1434_880
.LBB1434_816:                           ;   in Loop: Header=BB1434_682 Depth=2
	s_wait_alu 0xfffe
	s_or_b32 exec_lo, exec_lo, s15
	s_and_saveexec_b32 s15, s20
	s_cbranch_execnz .LBB1434_881
.LBB1434_817:                           ;   in Loop: Header=BB1434_682 Depth=2
	s_wait_alu 0xfffe
	s_or_b32 exec_lo, exec_lo, s15
	s_and_saveexec_b32 s15, s21
	s_cbranch_execnz .LBB1434_882
.LBB1434_818:                           ;   in Loop: Header=BB1434_682 Depth=2
	s_wait_alu 0xfffe
	s_or_b32 exec_lo, exec_lo, s15
	s_and_saveexec_b32 s15, s22
	s_cbranch_execnz .LBB1434_883
.LBB1434_819:                           ;   in Loop: Header=BB1434_682 Depth=2
	s_wait_alu 0xfffe
	s_or_b32 exec_lo, exec_lo, s15
	s_and_saveexec_b32 s15, s23
	s_cbranch_execnz .LBB1434_884
.LBB1434_820:                           ;   in Loop: Header=BB1434_682 Depth=2
	s_wait_alu 0xfffe
	s_or_b32 exec_lo, exec_lo, s15
	s_and_saveexec_b32 s15, s24
	s_cbranch_execnz .LBB1434_885
.LBB1434_821:                           ;   in Loop: Header=BB1434_682 Depth=2
	s_wait_alu 0xfffe
	s_or_b32 exec_lo, exec_lo, s15
	s_and_saveexec_b32 s15, s25
	s_cbranch_execnz .LBB1434_886
.LBB1434_822:                           ;   in Loop: Header=BB1434_682 Depth=2
	s_wait_alu 0xfffe
	s_or_b32 exec_lo, exec_lo, s15
	s_and_saveexec_b32 s15, s26
	s_cbranch_execnz .LBB1434_887
.LBB1434_823:                           ;   in Loop: Header=BB1434_682 Depth=2
	s_wait_alu 0xfffe
	s_or_b32 exec_lo, exec_lo, s15
	s_and_saveexec_b32 s15, s27
	s_cbranch_execnz .LBB1434_888
.LBB1434_824:                           ;   in Loop: Header=BB1434_682 Depth=2
	s_wait_alu 0xfffe
	s_or_b32 exec_lo, exec_lo, s15
	s_and_saveexec_b32 s15, s28
	s_cbranch_execnz .LBB1434_889
.LBB1434_825:                           ;   in Loop: Header=BB1434_682 Depth=2
	s_wait_alu 0xfffe
	s_or_b32 exec_lo, exec_lo, s15
	s_and_saveexec_b32 s15, s29
	s_cbranch_execz .LBB1434_827
.LBB1434_826:                           ;   in Loop: Header=BB1434_682 Depth=2
	v_lshlrev_b32_e32 v2, 2, v119
	v_add_nc_u32_e32 v36, v70, v44
	ds_load_b32 v2, v2
	ds_load_b64 v[36:37], v36 offset:31744
	s_wait_dscnt 0x1
	v_add_nc_u32_e32 v2, v2, v61
	s_delay_alu instid0(VALU_DEP_1) | instskip(NEXT) | instid1(VALU_DEP_1)
	v_lshlrev_b64_e32 v[39:40], 3, v[2:3]
	v_add_co_u32 v39, vcc_lo, s44, v39
	s_wait_alu 0xfffd
	s_delay_alu instid0(VALU_DEP_2)
	v_add_co_ci_u32_e64 v40, null, s45, v40, vcc_lo
	s_wait_dscnt 0x0
	global_store_b64 v[39:40], v[36:37], off
.LBB1434_827:                           ;   in Loop: Header=BB1434_682 Depth=2
	s_wait_alu 0xfffe
	s_or_b32 exec_lo, exec_lo, s15
	s_wait_loadcnt 0x0
	s_wait_storecnt 0x0
	s_barrier_signal -1
	s_barrier_wait -1
	global_inv scope:SCOPE_SE
	s_and_saveexec_b32 s15, s2
	s_cbranch_execz .LBB1434_681
; %bb.828:                              ;   in Loop: Header=BB1434_682 Depth=2
	ds_load_b32 v2, v44
	s_wait_dscnt 0x0
	v_add_nc_u32_e32 v2, v2, v38
	ds_store_b32 v44, v2
	s_branch .LBB1434_681
.LBB1434_829:                           ;   in Loop: Header=BB1434_682 Depth=2
	ds_load_b32 v136, v70 offset:1024
	s_wait_dscnt 0x0
	v_cmp_ne_u32_e64 s15, 0x7fffffff, v136
	s_wait_alu 0xf1ff
	s_delay_alu instid0(VALU_DEP_1) | instskip(SKIP_1) | instid1(VALU_DEP_2)
	v_cndmask_b32_e64 v2, 0x80000000, v136, s15
	v_cmp_lt_i32_e64 s15, -1, v136
	v_lshrrev_b32_e32 v2, s49, v2
	s_wait_alu 0xf1ff
	s_delay_alu instid0(VALU_DEP_2) | instskip(NEXT) | instid1(VALU_DEP_2)
	v_cndmask_b32_e64 v143, 0x80000000, -1, s15
	v_and_b32_e32 v2, s48, v2
	s_delay_alu instid0(VALU_DEP_1) | instskip(SKIP_3) | instid1(VALU_DEP_1)
	v_lshlrev_b32_e32 v2, 2, v2
	ds_load_b32 v2, v2
	s_wait_dscnt 0x0
	v_add_nc_u32_e32 v2, v2, v1
	v_lshlrev_b64_e32 v[36:37], 2, v[2:3]
	v_xor_b32_e32 v2, v143, v136
	s_delay_alu instid0(VALU_DEP_2) | instskip(SKIP_1) | instid1(VALU_DEP_3)
	v_add_co_u32 v36, s15, s38, v36
	s_wait_alu 0xf1ff
	v_add_co_ci_u32_e64 v37, null, s39, v37, s15
	global_store_b32 v[36:37], v2, off
	s_wait_alu 0xfffe
	s_or_b32 exec_lo, exec_lo, s16
	v_cmp_lt_u32_e64 s15, v45, v135
	s_and_saveexec_b32 s17, s15
	s_cbranch_execz .LBB1434_762
.LBB1434_830:                           ;   in Loop: Header=BB1434_682 Depth=2
	ds_load_b32 v136, v70 offset:2048
	s_wait_dscnt 0x0
	v_cmp_ne_u32_e64 s16, 0x7fffffff, v136
	s_wait_alu 0xf1ff
	s_delay_alu instid0(VALU_DEP_1) | instskip(SKIP_1) | instid1(VALU_DEP_2)
	v_cndmask_b32_e64 v2, 0x80000000, v136, s16
	v_cmp_lt_i32_e64 s16, -1, v136
	v_lshrrev_b32_e32 v2, s49, v2
	s_wait_alu 0xf1ff
	s_delay_alu instid0(VALU_DEP_2) | instskip(NEXT) | instid1(VALU_DEP_2)
	v_cndmask_b32_e64 v143, 0x80000000, -1, s16
	v_and_b32_e32 v2, s48, v2
	s_delay_alu instid0(VALU_DEP_1) | instskip(SKIP_3) | instid1(VALU_DEP_1)
	v_lshlrev_b32_e32 v2, 2, v2
	ds_load_b32 v2, v2
	s_wait_dscnt 0x0
	v_add_nc_u32_e32 v2, v2, v45
	v_lshlrev_b64_e32 v[36:37], 2, v[2:3]
	v_xor_b32_e32 v2, v143, v136
	s_delay_alu instid0(VALU_DEP_2) | instskip(SKIP_1) | instid1(VALU_DEP_3)
	v_add_co_u32 v36, s16, s38, v36
	s_wait_alu 0xf1ff
	v_add_co_ci_u32_e64 v37, null, s39, v37, s16
	global_store_b32 v[36:37], v2, off
	s_wait_alu 0xfffe
	s_or_b32 exec_lo, exec_lo, s17
	v_cmp_lt_u32_e64 s16, v46, v135
	s_and_saveexec_b32 s18, s16
	s_cbranch_execz .LBB1434_763
.LBB1434_831:                           ;   in Loop: Header=BB1434_682 Depth=2
	ds_load_b32 v136, v70 offset:3072
	s_wait_dscnt 0x0
	v_cmp_ne_u32_e64 s17, 0x7fffffff, v136
	s_wait_alu 0xf1ff
	s_delay_alu instid0(VALU_DEP_1) | instskip(SKIP_1) | instid1(VALU_DEP_2)
	v_cndmask_b32_e64 v2, 0x80000000, v136, s17
	v_cmp_lt_i32_e64 s17, -1, v136
	v_lshrrev_b32_e32 v2, s49, v2
	s_wait_alu 0xf1ff
	s_delay_alu instid0(VALU_DEP_2) | instskip(NEXT) | instid1(VALU_DEP_2)
	v_cndmask_b32_e64 v143, 0x80000000, -1, s17
	v_and_b32_e32 v2, s48, v2
	s_delay_alu instid0(VALU_DEP_1) | instskip(SKIP_3) | instid1(VALU_DEP_1)
	v_lshlrev_b32_e32 v2, 2, v2
	ds_load_b32 v2, v2
	s_wait_dscnt 0x0
	v_add_nc_u32_e32 v2, v2, v46
	v_lshlrev_b64_e32 v[36:37], 2, v[2:3]
	v_xor_b32_e32 v2, v143, v136
	s_delay_alu instid0(VALU_DEP_2) | instskip(SKIP_1) | instid1(VALU_DEP_3)
	v_add_co_u32 v36, s17, s38, v36
	s_wait_alu 0xf1ff
	v_add_co_ci_u32_e64 v37, null, s39, v37, s17
	global_store_b32 v[36:37], v2, off
	s_wait_alu 0xfffe
	s_or_b32 exec_lo, exec_lo, s18
	v_cmp_lt_u32_e64 s17, v47, v135
	s_and_saveexec_b32 s19, s17
	s_cbranch_execz .LBB1434_764
.LBB1434_832:                           ;   in Loop: Header=BB1434_682 Depth=2
	ds_load_b32 v136, v70 offset:4096
	s_wait_dscnt 0x0
	v_cmp_ne_u32_e64 s18, 0x7fffffff, v136
	s_wait_alu 0xf1ff
	s_delay_alu instid0(VALU_DEP_1) | instskip(SKIP_1) | instid1(VALU_DEP_2)
	v_cndmask_b32_e64 v2, 0x80000000, v136, s18
	v_cmp_lt_i32_e64 s18, -1, v136
	v_lshrrev_b32_e32 v2, s49, v2
	s_wait_alu 0xf1ff
	s_delay_alu instid0(VALU_DEP_2) | instskip(NEXT) | instid1(VALU_DEP_2)
	v_cndmask_b32_e64 v143, 0x80000000, -1, s18
	v_and_b32_e32 v2, s48, v2
	s_delay_alu instid0(VALU_DEP_1) | instskip(SKIP_3) | instid1(VALU_DEP_1)
	v_lshlrev_b32_e32 v2, 2, v2
	ds_load_b32 v2, v2
	s_wait_dscnt 0x0
	v_add_nc_u32_e32 v2, v2, v47
	v_lshlrev_b64_e32 v[36:37], 2, v[2:3]
	v_xor_b32_e32 v2, v143, v136
	s_delay_alu instid0(VALU_DEP_2) | instskip(SKIP_1) | instid1(VALU_DEP_3)
	v_add_co_u32 v36, s18, s38, v36
	s_wait_alu 0xf1ff
	v_add_co_ci_u32_e64 v37, null, s39, v37, s18
	global_store_b32 v[36:37], v2, off
	s_wait_alu 0xfffe
	s_or_b32 exec_lo, exec_lo, s19
	v_cmp_lt_u32_e64 s18, v50, v135
	s_and_saveexec_b32 s20, s18
	s_cbranch_execz .LBB1434_765
.LBB1434_833:                           ;   in Loop: Header=BB1434_682 Depth=2
	ds_load_b32 v136, v70 offset:5120
	s_wait_dscnt 0x0
	v_cmp_ne_u32_e64 s19, 0x7fffffff, v136
	s_wait_alu 0xf1ff
	s_delay_alu instid0(VALU_DEP_1) | instskip(SKIP_1) | instid1(VALU_DEP_2)
	v_cndmask_b32_e64 v2, 0x80000000, v136, s19
	v_cmp_lt_i32_e64 s19, -1, v136
	v_lshrrev_b32_e32 v2, s49, v2
	s_wait_alu 0xf1ff
	s_delay_alu instid0(VALU_DEP_2) | instskip(NEXT) | instid1(VALU_DEP_2)
	v_cndmask_b32_e64 v143, 0x80000000, -1, s19
	v_and_b32_e32 v2, s48, v2
	s_delay_alu instid0(VALU_DEP_1) | instskip(SKIP_3) | instid1(VALU_DEP_1)
	v_lshlrev_b32_e32 v2, 2, v2
	ds_load_b32 v2, v2
	s_wait_dscnt 0x0
	v_add_nc_u32_e32 v2, v2, v50
	v_lshlrev_b64_e32 v[36:37], 2, v[2:3]
	v_xor_b32_e32 v2, v143, v136
	s_delay_alu instid0(VALU_DEP_2) | instskip(SKIP_1) | instid1(VALU_DEP_3)
	v_add_co_u32 v36, s19, s38, v36
	s_wait_alu 0xf1ff
	v_add_co_ci_u32_e64 v37, null, s39, v37, s19
	global_store_b32 v[36:37], v2, off
	s_wait_alu 0xfffe
	s_or_b32 exec_lo, exec_lo, s20
	v_cmp_lt_u32_e64 s19, v51, v135
	s_and_saveexec_b32 s21, s19
	s_cbranch_execz .LBB1434_766
.LBB1434_834:                           ;   in Loop: Header=BB1434_682 Depth=2
	ds_load_b32 v136, v70 offset:6144
	s_wait_dscnt 0x0
	v_cmp_ne_u32_e64 s20, 0x7fffffff, v136
	s_wait_alu 0xf1ff
	s_delay_alu instid0(VALU_DEP_1) | instskip(SKIP_1) | instid1(VALU_DEP_2)
	v_cndmask_b32_e64 v2, 0x80000000, v136, s20
	v_cmp_lt_i32_e64 s20, -1, v136
	v_lshrrev_b32_e32 v2, s49, v2
	s_wait_alu 0xf1ff
	s_delay_alu instid0(VALU_DEP_2) | instskip(NEXT) | instid1(VALU_DEP_2)
	v_cndmask_b32_e64 v143, 0x80000000, -1, s20
	v_and_b32_e32 v2, s48, v2
	s_delay_alu instid0(VALU_DEP_1) | instskip(SKIP_3) | instid1(VALU_DEP_1)
	v_lshlrev_b32_e32 v2, 2, v2
	ds_load_b32 v2, v2
	s_wait_dscnt 0x0
	v_add_nc_u32_e32 v2, v2, v51
	v_lshlrev_b64_e32 v[36:37], 2, v[2:3]
	v_xor_b32_e32 v2, v143, v136
	s_delay_alu instid0(VALU_DEP_2) | instskip(SKIP_1) | instid1(VALU_DEP_3)
	v_add_co_u32 v36, s20, s38, v36
	s_wait_alu 0xf1ff
	v_add_co_ci_u32_e64 v37, null, s39, v37, s20
	global_store_b32 v[36:37], v2, off
	s_wait_alu 0xfffe
	s_or_b32 exec_lo, exec_lo, s21
	v_cmp_lt_u32_e64 s20, v52, v135
	s_and_saveexec_b32 s22, s20
	s_cbranch_execz .LBB1434_767
.LBB1434_835:                           ;   in Loop: Header=BB1434_682 Depth=2
	ds_load_b32 v136, v70 offset:7168
	s_wait_dscnt 0x0
	v_cmp_ne_u32_e64 s21, 0x7fffffff, v136
	s_wait_alu 0xf1ff
	s_delay_alu instid0(VALU_DEP_1) | instskip(SKIP_1) | instid1(VALU_DEP_2)
	v_cndmask_b32_e64 v2, 0x80000000, v136, s21
	v_cmp_lt_i32_e64 s21, -1, v136
	v_lshrrev_b32_e32 v2, s49, v2
	s_wait_alu 0xf1ff
	s_delay_alu instid0(VALU_DEP_2) | instskip(NEXT) | instid1(VALU_DEP_2)
	v_cndmask_b32_e64 v143, 0x80000000, -1, s21
	v_and_b32_e32 v2, s48, v2
	s_delay_alu instid0(VALU_DEP_1) | instskip(SKIP_3) | instid1(VALU_DEP_1)
	v_lshlrev_b32_e32 v2, 2, v2
	ds_load_b32 v2, v2
	s_wait_dscnt 0x0
	v_add_nc_u32_e32 v2, v2, v52
	v_lshlrev_b64_e32 v[36:37], 2, v[2:3]
	v_xor_b32_e32 v2, v143, v136
	s_delay_alu instid0(VALU_DEP_2) | instskip(SKIP_1) | instid1(VALU_DEP_3)
	v_add_co_u32 v36, s21, s38, v36
	s_wait_alu 0xf1ff
	v_add_co_ci_u32_e64 v37, null, s39, v37, s21
	global_store_b32 v[36:37], v2, off
	s_wait_alu 0xfffe
	s_or_b32 exec_lo, exec_lo, s22
	v_cmp_lt_u32_e64 s21, v53, v135
	s_and_saveexec_b32 s23, s21
	s_cbranch_execz .LBB1434_768
.LBB1434_836:                           ;   in Loop: Header=BB1434_682 Depth=2
	ds_load_b32 v136, v70 offset:8192
	s_wait_dscnt 0x0
	v_cmp_ne_u32_e64 s22, 0x7fffffff, v136
	s_wait_alu 0xf1ff
	s_delay_alu instid0(VALU_DEP_1) | instskip(SKIP_1) | instid1(VALU_DEP_2)
	v_cndmask_b32_e64 v2, 0x80000000, v136, s22
	v_cmp_lt_i32_e64 s22, -1, v136
	v_lshrrev_b32_e32 v2, s49, v2
	s_wait_alu 0xf1ff
	s_delay_alu instid0(VALU_DEP_2) | instskip(NEXT) | instid1(VALU_DEP_2)
	v_cndmask_b32_e64 v143, 0x80000000, -1, s22
	v_and_b32_e32 v2, s48, v2
	s_delay_alu instid0(VALU_DEP_1) | instskip(SKIP_3) | instid1(VALU_DEP_1)
	v_lshlrev_b32_e32 v2, 2, v2
	ds_load_b32 v2, v2
	s_wait_dscnt 0x0
	v_add_nc_u32_e32 v2, v2, v53
	v_lshlrev_b64_e32 v[36:37], 2, v[2:3]
	v_xor_b32_e32 v2, v143, v136
	s_delay_alu instid0(VALU_DEP_2) | instskip(SKIP_1) | instid1(VALU_DEP_3)
	v_add_co_u32 v36, s22, s38, v36
	s_wait_alu 0xf1ff
	v_add_co_ci_u32_e64 v37, null, s39, v37, s22
	global_store_b32 v[36:37], v2, off
	s_wait_alu 0xfffe
	s_or_b32 exec_lo, exec_lo, s23
	v_cmp_lt_u32_e64 s22, v54, v135
	s_and_saveexec_b32 s24, s22
	s_cbranch_execz .LBB1434_769
.LBB1434_837:                           ;   in Loop: Header=BB1434_682 Depth=2
	ds_load_b32 v136, v70 offset:9216
	s_wait_dscnt 0x0
	v_cmp_ne_u32_e64 s23, 0x7fffffff, v136
	s_wait_alu 0xf1ff
	s_delay_alu instid0(VALU_DEP_1) | instskip(SKIP_1) | instid1(VALU_DEP_2)
	v_cndmask_b32_e64 v2, 0x80000000, v136, s23
	v_cmp_lt_i32_e64 s23, -1, v136
	v_lshrrev_b32_e32 v2, s49, v2
	s_wait_alu 0xf1ff
	s_delay_alu instid0(VALU_DEP_2) | instskip(NEXT) | instid1(VALU_DEP_2)
	v_cndmask_b32_e64 v143, 0x80000000, -1, s23
	v_and_b32_e32 v2, s48, v2
	s_delay_alu instid0(VALU_DEP_1) | instskip(SKIP_3) | instid1(VALU_DEP_1)
	v_lshlrev_b32_e32 v2, 2, v2
	ds_load_b32 v2, v2
	s_wait_dscnt 0x0
	v_add_nc_u32_e32 v2, v2, v54
	v_lshlrev_b64_e32 v[36:37], 2, v[2:3]
	v_xor_b32_e32 v2, v143, v136
	s_delay_alu instid0(VALU_DEP_2) | instskip(SKIP_1) | instid1(VALU_DEP_3)
	v_add_co_u32 v36, s23, s38, v36
	s_wait_alu 0xf1ff
	v_add_co_ci_u32_e64 v37, null, s39, v37, s23
	global_store_b32 v[36:37], v2, off
	s_wait_alu 0xfffe
	s_or_b32 exec_lo, exec_lo, s24
	v_cmp_lt_u32_e64 s23, v55, v135
	s_and_saveexec_b32 s25, s23
	s_cbranch_execz .LBB1434_770
.LBB1434_838:                           ;   in Loop: Header=BB1434_682 Depth=2
	ds_load_b32 v136, v70 offset:10240
	s_wait_dscnt 0x0
	v_cmp_ne_u32_e64 s24, 0x7fffffff, v136
	s_wait_alu 0xf1ff
	s_delay_alu instid0(VALU_DEP_1) | instskip(SKIP_1) | instid1(VALU_DEP_2)
	v_cndmask_b32_e64 v2, 0x80000000, v136, s24
	v_cmp_lt_i32_e64 s24, -1, v136
	v_lshrrev_b32_e32 v2, s49, v2
	s_wait_alu 0xf1ff
	s_delay_alu instid0(VALU_DEP_2) | instskip(NEXT) | instid1(VALU_DEP_2)
	v_cndmask_b32_e64 v143, 0x80000000, -1, s24
	v_and_b32_e32 v2, s48, v2
	s_delay_alu instid0(VALU_DEP_1) | instskip(SKIP_3) | instid1(VALU_DEP_1)
	v_lshlrev_b32_e32 v2, 2, v2
	ds_load_b32 v2, v2
	s_wait_dscnt 0x0
	v_add_nc_u32_e32 v2, v2, v55
	v_lshlrev_b64_e32 v[36:37], 2, v[2:3]
	v_xor_b32_e32 v2, v143, v136
	s_delay_alu instid0(VALU_DEP_2) | instskip(SKIP_1) | instid1(VALU_DEP_3)
	v_add_co_u32 v36, s24, s38, v36
	s_wait_alu 0xf1ff
	v_add_co_ci_u32_e64 v37, null, s39, v37, s24
	global_store_b32 v[36:37], v2, off
	s_wait_alu 0xfffe
	s_or_b32 exec_lo, exec_lo, s25
	v_cmp_lt_u32_e64 s24, v56, v135
	s_and_saveexec_b32 s26, s24
	s_cbranch_execz .LBB1434_771
.LBB1434_839:                           ;   in Loop: Header=BB1434_682 Depth=2
	ds_load_b32 v136, v70 offset:11264
	s_wait_dscnt 0x0
	v_cmp_ne_u32_e64 s25, 0x7fffffff, v136
	s_wait_alu 0xf1ff
	s_delay_alu instid0(VALU_DEP_1) | instskip(SKIP_1) | instid1(VALU_DEP_2)
	v_cndmask_b32_e64 v2, 0x80000000, v136, s25
	v_cmp_lt_i32_e64 s25, -1, v136
	v_lshrrev_b32_e32 v2, s49, v2
	s_wait_alu 0xf1ff
	s_delay_alu instid0(VALU_DEP_2) | instskip(NEXT) | instid1(VALU_DEP_2)
	v_cndmask_b32_e64 v143, 0x80000000, -1, s25
	v_and_b32_e32 v2, s48, v2
	s_delay_alu instid0(VALU_DEP_1) | instskip(SKIP_3) | instid1(VALU_DEP_1)
	v_lshlrev_b32_e32 v2, 2, v2
	ds_load_b32 v2, v2
	s_wait_dscnt 0x0
	v_add_nc_u32_e32 v2, v2, v56
	v_lshlrev_b64_e32 v[36:37], 2, v[2:3]
	v_xor_b32_e32 v2, v143, v136
	s_delay_alu instid0(VALU_DEP_2) | instskip(SKIP_1) | instid1(VALU_DEP_3)
	v_add_co_u32 v36, s25, s38, v36
	s_wait_alu 0xf1ff
	v_add_co_ci_u32_e64 v37, null, s39, v37, s25
	global_store_b32 v[36:37], v2, off
	s_wait_alu 0xfffe
	s_or_b32 exec_lo, exec_lo, s26
	v_cmp_lt_u32_e64 s25, v57, v135
	s_and_saveexec_b32 s27, s25
	s_cbranch_execz .LBB1434_772
.LBB1434_840:                           ;   in Loop: Header=BB1434_682 Depth=2
	ds_load_b32 v136, v70 offset:12288
	s_wait_dscnt 0x0
	v_cmp_ne_u32_e64 s26, 0x7fffffff, v136
	s_wait_alu 0xf1ff
	s_delay_alu instid0(VALU_DEP_1) | instskip(SKIP_1) | instid1(VALU_DEP_2)
	v_cndmask_b32_e64 v2, 0x80000000, v136, s26
	v_cmp_lt_i32_e64 s26, -1, v136
	v_lshrrev_b32_e32 v2, s49, v2
	s_wait_alu 0xf1ff
	s_delay_alu instid0(VALU_DEP_2) | instskip(NEXT) | instid1(VALU_DEP_2)
	v_cndmask_b32_e64 v143, 0x80000000, -1, s26
	v_and_b32_e32 v2, s48, v2
	s_delay_alu instid0(VALU_DEP_1) | instskip(SKIP_3) | instid1(VALU_DEP_1)
	v_lshlrev_b32_e32 v2, 2, v2
	ds_load_b32 v2, v2
	s_wait_dscnt 0x0
	v_add_nc_u32_e32 v2, v2, v57
	v_lshlrev_b64_e32 v[36:37], 2, v[2:3]
	v_xor_b32_e32 v2, v143, v136
	s_delay_alu instid0(VALU_DEP_2) | instskip(SKIP_1) | instid1(VALU_DEP_3)
	v_add_co_u32 v36, s26, s38, v36
	s_wait_alu 0xf1ff
	v_add_co_ci_u32_e64 v37, null, s39, v37, s26
	global_store_b32 v[36:37], v2, off
	s_wait_alu 0xfffe
	s_or_b32 exec_lo, exec_lo, s27
	v_cmp_lt_u32_e64 s26, v58, v135
	s_and_saveexec_b32 s28, s26
	s_cbranch_execz .LBB1434_773
.LBB1434_841:                           ;   in Loop: Header=BB1434_682 Depth=2
	ds_load_b32 v136, v70 offset:13312
	s_wait_dscnt 0x0
	v_cmp_ne_u32_e64 s27, 0x7fffffff, v136
	s_wait_alu 0xf1ff
	s_delay_alu instid0(VALU_DEP_1) | instskip(SKIP_1) | instid1(VALU_DEP_2)
	v_cndmask_b32_e64 v2, 0x80000000, v136, s27
	v_cmp_lt_i32_e64 s27, -1, v136
	v_lshrrev_b32_e32 v2, s49, v2
	s_wait_alu 0xf1ff
	s_delay_alu instid0(VALU_DEP_2) | instskip(NEXT) | instid1(VALU_DEP_2)
	v_cndmask_b32_e64 v143, 0x80000000, -1, s27
	v_and_b32_e32 v2, s48, v2
	s_delay_alu instid0(VALU_DEP_1) | instskip(SKIP_3) | instid1(VALU_DEP_1)
	v_lshlrev_b32_e32 v2, 2, v2
	ds_load_b32 v2, v2
	s_wait_dscnt 0x0
	v_add_nc_u32_e32 v2, v2, v58
	v_lshlrev_b64_e32 v[36:37], 2, v[2:3]
	v_xor_b32_e32 v2, v143, v136
	s_delay_alu instid0(VALU_DEP_2) | instskip(SKIP_1) | instid1(VALU_DEP_3)
	v_add_co_u32 v36, s27, s38, v36
	s_wait_alu 0xf1ff
	v_add_co_ci_u32_e64 v37, null, s39, v37, s27
	global_store_b32 v[36:37], v2, off
	s_wait_alu 0xfffe
	s_or_b32 exec_lo, exec_lo, s28
	v_cmp_lt_u32_e64 s27, v59, v135
	s_and_saveexec_b32 s29, s27
	s_cbranch_execz .LBB1434_774
.LBB1434_842:                           ;   in Loop: Header=BB1434_682 Depth=2
	ds_load_b32 v136, v70 offset:14336
	s_wait_dscnt 0x0
	v_cmp_ne_u32_e64 s28, 0x7fffffff, v136
	s_wait_alu 0xf1ff
	s_delay_alu instid0(VALU_DEP_1) | instskip(SKIP_1) | instid1(VALU_DEP_2)
	v_cndmask_b32_e64 v2, 0x80000000, v136, s28
	v_cmp_lt_i32_e64 s28, -1, v136
	v_lshrrev_b32_e32 v2, s49, v2
	s_wait_alu 0xf1ff
	s_delay_alu instid0(VALU_DEP_2) | instskip(NEXT) | instid1(VALU_DEP_2)
	v_cndmask_b32_e64 v143, 0x80000000, -1, s28
	v_and_b32_e32 v2, s48, v2
	s_delay_alu instid0(VALU_DEP_1) | instskip(SKIP_3) | instid1(VALU_DEP_1)
	v_lshlrev_b32_e32 v2, 2, v2
	ds_load_b32 v2, v2
	s_wait_dscnt 0x0
	v_add_nc_u32_e32 v2, v2, v59
	v_lshlrev_b64_e32 v[36:37], 2, v[2:3]
	v_xor_b32_e32 v2, v143, v136
	s_delay_alu instid0(VALU_DEP_2) | instskip(SKIP_1) | instid1(VALU_DEP_3)
	v_add_co_u32 v36, s28, s38, v36
	s_wait_alu 0xf1ff
	v_add_co_ci_u32_e64 v37, null, s39, v37, s28
	global_store_b32 v[36:37], v2, off
	s_wait_alu 0xfffe
	s_or_b32 exec_lo, exec_lo, s29
	v_cmp_lt_u32_e64 s28, v60, v135
	s_and_saveexec_b32 s30, s28
	s_cbranch_execz .LBB1434_775
.LBB1434_843:                           ;   in Loop: Header=BB1434_682 Depth=2
	ds_load_b32 v136, v70 offset:15360
	s_wait_dscnt 0x0
	v_cmp_ne_u32_e64 s29, 0x7fffffff, v136
	s_wait_alu 0xf1ff
	s_delay_alu instid0(VALU_DEP_1) | instskip(SKIP_1) | instid1(VALU_DEP_2)
	v_cndmask_b32_e64 v2, 0x80000000, v136, s29
	v_cmp_lt_i32_e64 s29, -1, v136
	v_lshrrev_b32_e32 v2, s49, v2
	s_wait_alu 0xf1ff
	s_delay_alu instid0(VALU_DEP_2) | instskip(NEXT) | instid1(VALU_DEP_2)
	v_cndmask_b32_e64 v143, 0x80000000, -1, s29
	v_and_b32_e32 v2, s48, v2
	s_delay_alu instid0(VALU_DEP_1) | instskip(SKIP_3) | instid1(VALU_DEP_1)
	v_lshlrev_b32_e32 v2, 2, v2
	ds_load_b32 v2, v2
	s_wait_dscnt 0x0
	v_add_nc_u32_e32 v2, v2, v60
	v_lshlrev_b64_e32 v[36:37], 2, v[2:3]
	v_xor_b32_e32 v2, v143, v136
	s_delay_alu instid0(VALU_DEP_2) | instskip(SKIP_1) | instid1(VALU_DEP_3)
	v_add_co_u32 v36, s29, s38, v36
	s_wait_alu 0xf1ff
	v_add_co_ci_u32_e64 v37, null, s39, v37, s29
	global_store_b32 v[36:37], v2, off
	s_wait_alu 0xfffe
	s_or_b32 exec_lo, exec_lo, s30
	v_cmp_lt_u32_e64 s29, v61, v135
	s_and_saveexec_b32 s56, s29
	s_cbranch_execnz .LBB1434_776
	s_branch .LBB1434_777
.LBB1434_844:                           ;   in Loop: Header=BB1434_682 Depth=2
	global_load_b64 v[34:35], v[36:37], off
	s_wait_alu 0xfffe
	s_or_b32 exec_lo, exec_lo, s30
	s_delay_alu instid0(SALU_CYCLE_1)
	s_mov_b32 s42, exec_lo
	v_cmpx_lt_u32_e64 v92, v135
	s_cbranch_execz .LBB1434_779
.LBB1434_845:                           ;   in Loop: Header=BB1434_682 Depth=2
	global_load_b64 v[32:33], v[36:37], off offset:256
	s_wait_alu 0xfffe
	s_or_b32 exec_lo, exec_lo, s42
	s_delay_alu instid0(SALU_CYCLE_1)
	s_mov_b32 s42, exec_lo
	v_cmpx_lt_u32_e64 v93, v135
	s_cbranch_execz .LBB1434_780
.LBB1434_846:                           ;   in Loop: Header=BB1434_682 Depth=2
	global_load_b64 v[30:31], v[36:37], off offset:512
	s_wait_alu 0xfffe
	s_or_b32 exec_lo, exec_lo, s42
	s_delay_alu instid0(SALU_CYCLE_1)
	s_mov_b32 s42, exec_lo
	v_cmpx_lt_u32_e64 v94, v135
	s_cbranch_execz .LBB1434_781
.LBB1434_847:                           ;   in Loop: Header=BB1434_682 Depth=2
	global_load_b64 v[28:29], v[36:37], off offset:768
	s_wait_alu 0xfffe
	s_or_b32 exec_lo, exec_lo, s42
	s_delay_alu instid0(SALU_CYCLE_1)
	s_mov_b32 s42, exec_lo
	v_cmpx_lt_u32_e64 v95, v135
	s_cbranch_execz .LBB1434_782
.LBB1434_848:                           ;   in Loop: Header=BB1434_682 Depth=2
	global_load_b64 v[26:27], v[36:37], off offset:1024
	s_wait_alu 0xfffe
	s_or_b32 exec_lo, exec_lo, s42
	s_delay_alu instid0(SALU_CYCLE_1)
	s_mov_b32 s42, exec_lo
	v_cmpx_lt_u32_e64 v96, v135
	s_cbranch_execz .LBB1434_783
.LBB1434_849:                           ;   in Loop: Header=BB1434_682 Depth=2
	global_load_b64 v[24:25], v[36:37], off offset:1280
	s_wait_alu 0xfffe
	s_or_b32 exec_lo, exec_lo, s42
	s_delay_alu instid0(SALU_CYCLE_1)
	s_mov_b32 s42, exec_lo
	v_cmpx_lt_u32_e64 v97, v135
	s_cbranch_execz .LBB1434_784
.LBB1434_850:                           ;   in Loop: Header=BB1434_682 Depth=2
	global_load_b64 v[22:23], v[36:37], off offset:1536
	s_wait_alu 0xfffe
	s_or_b32 exec_lo, exec_lo, s42
	s_delay_alu instid0(SALU_CYCLE_1)
	s_mov_b32 s42, exec_lo
	v_cmpx_lt_u32_e64 v98, v135
	s_cbranch_execz .LBB1434_785
.LBB1434_851:                           ;   in Loop: Header=BB1434_682 Depth=2
	global_load_b64 v[20:21], v[36:37], off offset:1792
	s_wait_alu 0xfffe
	s_or_b32 exec_lo, exec_lo, s42
	s_delay_alu instid0(SALU_CYCLE_1)
	s_mov_b32 s42, exec_lo
	v_cmpx_lt_u32_e64 v99, v135
	s_cbranch_execz .LBB1434_786
.LBB1434_852:                           ;   in Loop: Header=BB1434_682 Depth=2
	global_load_b64 v[18:19], v[36:37], off offset:2048
	s_wait_alu 0xfffe
	s_or_b32 exec_lo, exec_lo, s42
	s_delay_alu instid0(SALU_CYCLE_1)
	s_mov_b32 s42, exec_lo
	v_cmpx_lt_u32_e64 v100, v135
	s_cbranch_execz .LBB1434_787
.LBB1434_853:                           ;   in Loop: Header=BB1434_682 Depth=2
	global_load_b64 v[16:17], v[36:37], off offset:2304
	s_wait_alu 0xfffe
	s_or_b32 exec_lo, exec_lo, s42
	s_delay_alu instid0(SALU_CYCLE_1)
	s_mov_b32 s42, exec_lo
	v_cmpx_lt_u32_e64 v101, v135
	s_cbranch_execz .LBB1434_788
.LBB1434_854:                           ;   in Loop: Header=BB1434_682 Depth=2
	global_load_b64 v[14:15], v[36:37], off offset:2560
	s_wait_alu 0xfffe
	s_or_b32 exec_lo, exec_lo, s42
	s_delay_alu instid0(SALU_CYCLE_1)
	s_mov_b32 s42, exec_lo
	v_cmpx_lt_u32_e64 v102, v135
	s_cbranch_execz .LBB1434_789
.LBB1434_855:                           ;   in Loop: Header=BB1434_682 Depth=2
	global_load_b64 v[12:13], v[36:37], off offset:2816
	s_wait_alu 0xfffe
	s_or_b32 exec_lo, exec_lo, s42
	s_delay_alu instid0(SALU_CYCLE_1)
	s_mov_b32 s42, exec_lo
	v_cmpx_lt_u32_e64 v103, v135
	s_cbranch_execz .LBB1434_790
.LBB1434_856:                           ;   in Loop: Header=BB1434_682 Depth=2
	global_load_b64 v[10:11], v[36:37], off offset:3072
	s_wait_alu 0xfffe
	s_or_b32 exec_lo, exec_lo, s42
	s_delay_alu instid0(SALU_CYCLE_1)
	s_mov_b32 s42, exec_lo
	v_cmpx_lt_u32_e64 v104, v135
	s_cbranch_execz .LBB1434_791
.LBB1434_857:                           ;   in Loop: Header=BB1434_682 Depth=2
	global_load_b64 v[8:9], v[36:37], off offset:3328
	s_wait_alu 0xfffe
	s_or_b32 exec_lo, exec_lo, s42
	s_delay_alu instid0(SALU_CYCLE_1)
	s_mov_b32 s42, exec_lo
	v_cmpx_lt_u32_e64 v105, v135
	s_cbranch_execz .LBB1434_792
.LBB1434_858:                           ;   in Loop: Header=BB1434_682 Depth=2
	global_load_b64 v[6:7], v[36:37], off offset:3584
	s_wait_alu 0xfffe
	s_or_b32 exec_lo, exec_lo, s42
	s_delay_alu instid0(SALU_CYCLE_1)
	s_mov_b32 s42, exec_lo
	v_cmpx_lt_u32_e64 v106, v135
	s_cbranch_execz .LBB1434_793
.LBB1434_859:                           ;   in Loop: Header=BB1434_682 Depth=2
	global_load_b64 v[4:5], v[36:37], off offset:3840
	s_wait_alu 0xfffe
	s_or_b32 exec_lo, exec_lo, s42
	s_and_saveexec_b32 s42, vcc_lo
	s_cbranch_execz .LBB1434_794
.LBB1434_860:                           ;   in Loop: Header=BB1434_682 Depth=2
	ds_load_b32 v2, v70 offset:1024
	s_wait_dscnt 0x0
	v_cmp_ne_u32_e64 s30, 0x7fffffff, v2
	s_wait_alu 0xf1ff
	s_delay_alu instid0(VALU_DEP_1) | instskip(NEXT) | instid1(VALU_DEP_1)
	v_cndmask_b32_e64 v2, 0x80000000, v2, s30
	v_lshrrev_b32_e32 v2, s49, v2
	s_delay_alu instid0(VALU_DEP_1)
	v_and_b32_e32 v134, s48, v2
	s_wait_alu 0xfffe
	s_or_b32 exec_lo, exec_lo, s42
	s_and_saveexec_b32 s42, s15
	s_cbranch_execz .LBB1434_795
.LBB1434_861:                           ;   in Loop: Header=BB1434_682 Depth=2
	ds_load_b32 v2, v70 offset:2048
	s_wait_dscnt 0x0
	v_cmp_ne_u32_e64 s30, 0x7fffffff, v2
	s_wait_alu 0xf1ff
	s_delay_alu instid0(VALU_DEP_1) | instskip(NEXT) | instid1(VALU_DEP_1)
	v_cndmask_b32_e64 v2, 0x80000000, v2, s30
	v_lshrrev_b32_e32 v2, s49, v2
	s_delay_alu instid0(VALU_DEP_1)
	v_and_b32_e32 v133, s48, v2
	s_wait_alu 0xfffe
	s_or_b32 exec_lo, exec_lo, s42
	s_and_saveexec_b32 s42, s16
	s_cbranch_execz .LBB1434_796
.LBB1434_862:                           ;   in Loop: Header=BB1434_682 Depth=2
	ds_load_b32 v2, v70 offset:3072
	s_wait_dscnt 0x0
	v_cmp_ne_u32_e64 s30, 0x7fffffff, v2
	s_wait_alu 0xf1ff
	s_delay_alu instid0(VALU_DEP_1) | instskip(NEXT) | instid1(VALU_DEP_1)
	v_cndmask_b32_e64 v2, 0x80000000, v2, s30
	v_lshrrev_b32_e32 v2, s49, v2
	s_delay_alu instid0(VALU_DEP_1)
	v_and_b32_e32 v132, s48, v2
	s_wait_alu 0xfffe
	s_or_b32 exec_lo, exec_lo, s42
	s_and_saveexec_b32 s42, s17
	s_cbranch_execz .LBB1434_797
.LBB1434_863:                           ;   in Loop: Header=BB1434_682 Depth=2
	ds_load_b32 v2, v70 offset:4096
	s_wait_dscnt 0x0
	v_cmp_ne_u32_e64 s30, 0x7fffffff, v2
	s_wait_alu 0xf1ff
	s_delay_alu instid0(VALU_DEP_1) | instskip(NEXT) | instid1(VALU_DEP_1)
	v_cndmask_b32_e64 v2, 0x80000000, v2, s30
	v_lshrrev_b32_e32 v2, s49, v2
	s_delay_alu instid0(VALU_DEP_1)
	v_and_b32_e32 v131, s48, v2
	s_wait_alu 0xfffe
	s_or_b32 exec_lo, exec_lo, s42
	s_and_saveexec_b32 s42, s18
	s_cbranch_execz .LBB1434_798
.LBB1434_864:                           ;   in Loop: Header=BB1434_682 Depth=2
	ds_load_b32 v2, v70 offset:5120
	s_wait_dscnt 0x0
	v_cmp_ne_u32_e64 s30, 0x7fffffff, v2
	s_wait_alu 0xf1ff
	s_delay_alu instid0(VALU_DEP_1) | instskip(NEXT) | instid1(VALU_DEP_1)
	v_cndmask_b32_e64 v2, 0x80000000, v2, s30
	v_lshrrev_b32_e32 v2, s49, v2
	s_delay_alu instid0(VALU_DEP_1)
	v_and_b32_e32 v130, s48, v2
	s_wait_alu 0xfffe
	s_or_b32 exec_lo, exec_lo, s42
	s_and_saveexec_b32 s42, s19
	s_cbranch_execz .LBB1434_799
.LBB1434_865:                           ;   in Loop: Header=BB1434_682 Depth=2
	ds_load_b32 v2, v70 offset:6144
	s_wait_dscnt 0x0
	v_cmp_ne_u32_e64 s30, 0x7fffffff, v2
	s_wait_alu 0xf1ff
	s_delay_alu instid0(VALU_DEP_1) | instskip(NEXT) | instid1(VALU_DEP_1)
	v_cndmask_b32_e64 v2, 0x80000000, v2, s30
	v_lshrrev_b32_e32 v2, s49, v2
	s_delay_alu instid0(VALU_DEP_1)
	v_and_b32_e32 v129, s48, v2
	s_wait_alu 0xfffe
	s_or_b32 exec_lo, exec_lo, s42
	s_and_saveexec_b32 s42, s20
	s_cbranch_execz .LBB1434_800
.LBB1434_866:                           ;   in Loop: Header=BB1434_682 Depth=2
	ds_load_b32 v2, v70 offset:7168
	s_wait_dscnt 0x0
	v_cmp_ne_u32_e64 s30, 0x7fffffff, v2
	s_wait_alu 0xf1ff
	s_delay_alu instid0(VALU_DEP_1) | instskip(NEXT) | instid1(VALU_DEP_1)
	v_cndmask_b32_e64 v2, 0x80000000, v2, s30
	v_lshrrev_b32_e32 v2, s49, v2
	s_delay_alu instid0(VALU_DEP_1)
	v_and_b32_e32 v128, s48, v2
	s_wait_alu 0xfffe
	s_or_b32 exec_lo, exec_lo, s42
	s_and_saveexec_b32 s42, s21
	s_cbranch_execz .LBB1434_801
.LBB1434_867:                           ;   in Loop: Header=BB1434_682 Depth=2
	ds_load_b32 v2, v70 offset:8192
	s_wait_dscnt 0x0
	v_cmp_ne_u32_e64 s30, 0x7fffffff, v2
	s_wait_alu 0xf1ff
	s_delay_alu instid0(VALU_DEP_1) | instskip(NEXT) | instid1(VALU_DEP_1)
	v_cndmask_b32_e64 v2, 0x80000000, v2, s30
	v_lshrrev_b32_e32 v2, s49, v2
	s_delay_alu instid0(VALU_DEP_1)
	v_and_b32_e32 v127, s48, v2
	s_wait_alu 0xfffe
	s_or_b32 exec_lo, exec_lo, s42
	s_and_saveexec_b32 s42, s22
	s_cbranch_execz .LBB1434_802
.LBB1434_868:                           ;   in Loop: Header=BB1434_682 Depth=2
	ds_load_b32 v2, v70 offset:9216
	s_wait_dscnt 0x0
	v_cmp_ne_u32_e64 s30, 0x7fffffff, v2
	s_wait_alu 0xf1ff
	s_delay_alu instid0(VALU_DEP_1) | instskip(NEXT) | instid1(VALU_DEP_1)
	v_cndmask_b32_e64 v2, 0x80000000, v2, s30
	v_lshrrev_b32_e32 v2, s49, v2
	s_delay_alu instid0(VALU_DEP_1)
	v_and_b32_e32 v126, s48, v2
	s_wait_alu 0xfffe
	s_or_b32 exec_lo, exec_lo, s42
	s_and_saveexec_b32 s42, s23
	s_cbranch_execz .LBB1434_803
.LBB1434_869:                           ;   in Loop: Header=BB1434_682 Depth=2
	ds_load_b32 v2, v70 offset:10240
	s_wait_dscnt 0x0
	v_cmp_ne_u32_e64 s30, 0x7fffffff, v2
	s_wait_alu 0xf1ff
	s_delay_alu instid0(VALU_DEP_1) | instskip(NEXT) | instid1(VALU_DEP_1)
	v_cndmask_b32_e64 v2, 0x80000000, v2, s30
	v_lshrrev_b32_e32 v2, s49, v2
	s_delay_alu instid0(VALU_DEP_1)
	v_and_b32_e32 v125, s48, v2
	s_wait_alu 0xfffe
	s_or_b32 exec_lo, exec_lo, s42
	s_and_saveexec_b32 s42, s24
	s_cbranch_execz .LBB1434_804
.LBB1434_870:                           ;   in Loop: Header=BB1434_682 Depth=2
	ds_load_b32 v2, v70 offset:11264
	s_wait_dscnt 0x0
	v_cmp_ne_u32_e64 s30, 0x7fffffff, v2
	s_wait_alu 0xf1ff
	s_delay_alu instid0(VALU_DEP_1) | instskip(NEXT) | instid1(VALU_DEP_1)
	v_cndmask_b32_e64 v2, 0x80000000, v2, s30
	v_lshrrev_b32_e32 v2, s49, v2
	s_delay_alu instid0(VALU_DEP_1)
	v_and_b32_e32 v124, s48, v2
	s_wait_alu 0xfffe
	s_or_b32 exec_lo, exec_lo, s42
	s_and_saveexec_b32 s42, s25
	s_cbranch_execz .LBB1434_805
.LBB1434_871:                           ;   in Loop: Header=BB1434_682 Depth=2
	ds_load_b32 v2, v70 offset:12288
	s_wait_dscnt 0x0
	v_cmp_ne_u32_e64 s30, 0x7fffffff, v2
	s_wait_alu 0xf1ff
	s_delay_alu instid0(VALU_DEP_1) | instskip(NEXT) | instid1(VALU_DEP_1)
	v_cndmask_b32_e64 v2, 0x80000000, v2, s30
	v_lshrrev_b32_e32 v2, s49, v2
	s_delay_alu instid0(VALU_DEP_1)
	v_and_b32_e32 v123, s48, v2
	s_wait_alu 0xfffe
	s_or_b32 exec_lo, exec_lo, s42
	s_and_saveexec_b32 s42, s26
	s_cbranch_execz .LBB1434_806
.LBB1434_872:                           ;   in Loop: Header=BB1434_682 Depth=2
	ds_load_b32 v2, v70 offset:13312
	s_wait_dscnt 0x0
	v_cmp_ne_u32_e64 s30, 0x7fffffff, v2
	s_wait_alu 0xf1ff
	s_delay_alu instid0(VALU_DEP_1) | instskip(NEXT) | instid1(VALU_DEP_1)
	v_cndmask_b32_e64 v2, 0x80000000, v2, s30
	v_lshrrev_b32_e32 v2, s49, v2
	s_delay_alu instid0(VALU_DEP_1)
	v_and_b32_e32 v122, s48, v2
	s_wait_alu 0xfffe
	s_or_b32 exec_lo, exec_lo, s42
	s_and_saveexec_b32 s42, s27
	s_cbranch_execz .LBB1434_807
.LBB1434_873:                           ;   in Loop: Header=BB1434_682 Depth=2
	ds_load_b32 v2, v70 offset:14336
	s_wait_dscnt 0x0
	v_cmp_ne_u32_e64 s30, 0x7fffffff, v2
	s_wait_alu 0xf1ff
	s_delay_alu instid0(VALU_DEP_1) | instskip(NEXT) | instid1(VALU_DEP_1)
	v_cndmask_b32_e64 v2, 0x80000000, v2, s30
	v_lshrrev_b32_e32 v2, s49, v2
	s_delay_alu instid0(VALU_DEP_1)
	v_and_b32_e32 v121, s48, v2
	s_wait_alu 0xfffe
	s_or_b32 exec_lo, exec_lo, s42
	s_and_saveexec_b32 s42, s28
	s_cbranch_execz .LBB1434_808
.LBB1434_874:                           ;   in Loop: Header=BB1434_682 Depth=2
	ds_load_b32 v2, v70 offset:15360
	s_wait_dscnt 0x0
	v_cmp_ne_u32_e64 s30, 0x7fffffff, v2
	s_wait_alu 0xf1ff
	s_delay_alu instid0(VALU_DEP_1) | instskip(NEXT) | instid1(VALU_DEP_1)
	v_cndmask_b32_e64 v2, 0x80000000, v2, s30
	v_lshrrev_b32_e32 v2, s49, v2
	s_delay_alu instid0(VALU_DEP_1)
	v_and_b32_e32 v120, s48, v2
	s_wait_alu 0xfffe
	s_or_b32 exec_lo, exec_lo, s42
	s_and_saveexec_b32 s42, s29
	s_cbranch_execnz .LBB1434_809
	s_branch .LBB1434_810
.LBB1434_875:                           ;   in Loop: Header=BB1434_682 Depth=2
	v_lshlrev_b32_e32 v2, 2, v134
	v_add_nc_u32_e32 v36, v70, v44
	ds_load_b32 v2, v2
	ds_load_b64 v[36:37], v36 offset:1024
	s_wait_dscnt 0x1
	v_add_nc_u32_e32 v2, v2, v1
	s_delay_alu instid0(VALU_DEP_1) | instskip(NEXT) | instid1(VALU_DEP_1)
	v_lshlrev_b64_e32 v[39:40], 3, v[2:3]
	v_add_co_u32 v39, vcc_lo, s44, v39
	s_wait_alu 0xfffd
	s_delay_alu instid0(VALU_DEP_2)
	v_add_co_ci_u32_e64 v40, null, s45, v40, vcc_lo
	s_wait_dscnt 0x0
	global_store_b64 v[39:40], v[36:37], off
	s_wait_alu 0xfffe
	s_or_b32 exec_lo, exec_lo, s30
	s_and_saveexec_b32 s30, s15
	s_cbranch_execz .LBB1434_812
.LBB1434_876:                           ;   in Loop: Header=BB1434_682 Depth=2
	v_lshlrev_b32_e32 v2, 2, v133
	v_add_nc_u32_e32 v36, v70, v44
	ds_load_b32 v2, v2
	ds_load_b64 v[36:37], v36 offset:3072
	s_wait_dscnt 0x1
	v_add_nc_u32_e32 v2, v2, v45
	s_delay_alu instid0(VALU_DEP_1) | instskip(NEXT) | instid1(VALU_DEP_1)
	v_lshlrev_b64_e32 v[39:40], 3, v[2:3]
	v_add_co_u32 v39, vcc_lo, s44, v39
	s_wait_alu 0xfffd
	s_delay_alu instid0(VALU_DEP_2)
	v_add_co_ci_u32_e64 v40, null, s45, v40, vcc_lo
	s_wait_dscnt 0x0
	global_store_b64 v[39:40], v[36:37], off
	s_wait_alu 0xfffe
	s_or_b32 exec_lo, exec_lo, s30
	s_and_saveexec_b32 s15, s16
	s_cbranch_execz .LBB1434_813
.LBB1434_877:                           ;   in Loop: Header=BB1434_682 Depth=2
	v_lshlrev_b32_e32 v2, 2, v132
	v_add_nc_u32_e32 v36, v70, v44
	ds_load_b32 v2, v2
	ds_load_b64 v[36:37], v36 offset:5120
	s_wait_dscnt 0x1
	v_add_nc_u32_e32 v2, v2, v46
	s_delay_alu instid0(VALU_DEP_1) | instskip(NEXT) | instid1(VALU_DEP_1)
	v_lshlrev_b64_e32 v[39:40], 3, v[2:3]
	v_add_co_u32 v39, vcc_lo, s44, v39
	s_wait_alu 0xfffd
	s_delay_alu instid0(VALU_DEP_2)
	v_add_co_ci_u32_e64 v40, null, s45, v40, vcc_lo
	s_wait_dscnt 0x0
	global_store_b64 v[39:40], v[36:37], off
	s_wait_alu 0xfffe
	s_or_b32 exec_lo, exec_lo, s15
	s_and_saveexec_b32 s15, s17
	s_cbranch_execz .LBB1434_814
.LBB1434_878:                           ;   in Loop: Header=BB1434_682 Depth=2
	v_lshlrev_b32_e32 v2, 2, v131
	v_add_nc_u32_e32 v36, v70, v44
	ds_load_b32 v2, v2
	ds_load_b64 v[36:37], v36 offset:7168
	s_wait_dscnt 0x1
	v_add_nc_u32_e32 v2, v2, v47
	s_delay_alu instid0(VALU_DEP_1) | instskip(NEXT) | instid1(VALU_DEP_1)
	v_lshlrev_b64_e32 v[39:40], 3, v[2:3]
	v_add_co_u32 v39, vcc_lo, s44, v39
	s_wait_alu 0xfffd
	s_delay_alu instid0(VALU_DEP_2)
	v_add_co_ci_u32_e64 v40, null, s45, v40, vcc_lo
	s_wait_dscnt 0x0
	global_store_b64 v[39:40], v[36:37], off
	s_wait_alu 0xfffe
	s_or_b32 exec_lo, exec_lo, s15
	s_and_saveexec_b32 s15, s18
	s_cbranch_execz .LBB1434_815
.LBB1434_879:                           ;   in Loop: Header=BB1434_682 Depth=2
	v_lshlrev_b32_e32 v2, 2, v130
	v_add_nc_u32_e32 v36, v70, v44
	ds_load_b32 v2, v2
	ds_load_b64 v[36:37], v36 offset:9216
	s_wait_dscnt 0x1
	v_add_nc_u32_e32 v2, v2, v50
	s_delay_alu instid0(VALU_DEP_1) | instskip(NEXT) | instid1(VALU_DEP_1)
	v_lshlrev_b64_e32 v[39:40], 3, v[2:3]
	v_add_co_u32 v39, vcc_lo, s44, v39
	s_wait_alu 0xfffd
	s_delay_alu instid0(VALU_DEP_2)
	v_add_co_ci_u32_e64 v40, null, s45, v40, vcc_lo
	s_wait_dscnt 0x0
	global_store_b64 v[39:40], v[36:37], off
	s_wait_alu 0xfffe
	s_or_b32 exec_lo, exec_lo, s15
	s_and_saveexec_b32 s15, s19
	s_cbranch_execz .LBB1434_816
.LBB1434_880:                           ;   in Loop: Header=BB1434_682 Depth=2
	v_lshlrev_b32_e32 v2, 2, v129
	v_add_nc_u32_e32 v36, v70, v44
	ds_load_b32 v2, v2
	ds_load_b64 v[36:37], v36 offset:11264
	s_wait_dscnt 0x1
	v_add_nc_u32_e32 v2, v2, v51
	s_delay_alu instid0(VALU_DEP_1) | instskip(NEXT) | instid1(VALU_DEP_1)
	v_lshlrev_b64_e32 v[39:40], 3, v[2:3]
	v_add_co_u32 v39, vcc_lo, s44, v39
	s_wait_alu 0xfffd
	s_delay_alu instid0(VALU_DEP_2)
	v_add_co_ci_u32_e64 v40, null, s45, v40, vcc_lo
	s_wait_dscnt 0x0
	global_store_b64 v[39:40], v[36:37], off
	s_wait_alu 0xfffe
	s_or_b32 exec_lo, exec_lo, s15
	s_and_saveexec_b32 s15, s20
	s_cbranch_execz .LBB1434_817
.LBB1434_881:                           ;   in Loop: Header=BB1434_682 Depth=2
	v_lshlrev_b32_e32 v2, 2, v128
	v_add_nc_u32_e32 v36, v70, v44
	ds_load_b32 v2, v2
	ds_load_b64 v[36:37], v36 offset:13312
	s_wait_dscnt 0x1
	v_add_nc_u32_e32 v2, v2, v52
	s_delay_alu instid0(VALU_DEP_1) | instskip(NEXT) | instid1(VALU_DEP_1)
	v_lshlrev_b64_e32 v[39:40], 3, v[2:3]
	v_add_co_u32 v39, vcc_lo, s44, v39
	s_wait_alu 0xfffd
	s_delay_alu instid0(VALU_DEP_2)
	v_add_co_ci_u32_e64 v40, null, s45, v40, vcc_lo
	s_wait_dscnt 0x0
	global_store_b64 v[39:40], v[36:37], off
	s_wait_alu 0xfffe
	s_or_b32 exec_lo, exec_lo, s15
	s_and_saveexec_b32 s15, s21
	s_cbranch_execz .LBB1434_818
.LBB1434_882:                           ;   in Loop: Header=BB1434_682 Depth=2
	v_lshlrev_b32_e32 v2, 2, v127
	v_add_nc_u32_e32 v36, v70, v44
	ds_load_b32 v2, v2
	ds_load_b64 v[36:37], v36 offset:15360
	s_wait_dscnt 0x1
	v_add_nc_u32_e32 v2, v2, v53
	s_delay_alu instid0(VALU_DEP_1) | instskip(NEXT) | instid1(VALU_DEP_1)
	v_lshlrev_b64_e32 v[39:40], 3, v[2:3]
	v_add_co_u32 v39, vcc_lo, s44, v39
	s_wait_alu 0xfffd
	s_delay_alu instid0(VALU_DEP_2)
	v_add_co_ci_u32_e64 v40, null, s45, v40, vcc_lo
	s_wait_dscnt 0x0
	global_store_b64 v[39:40], v[36:37], off
	s_wait_alu 0xfffe
	s_or_b32 exec_lo, exec_lo, s15
	s_and_saveexec_b32 s15, s22
	s_cbranch_execz .LBB1434_819
.LBB1434_883:                           ;   in Loop: Header=BB1434_682 Depth=2
	v_lshlrev_b32_e32 v2, 2, v126
	v_add_nc_u32_e32 v36, v70, v44
	ds_load_b32 v2, v2
	ds_load_b64 v[36:37], v36 offset:17408
	s_wait_dscnt 0x1
	v_add_nc_u32_e32 v2, v2, v54
	s_delay_alu instid0(VALU_DEP_1) | instskip(NEXT) | instid1(VALU_DEP_1)
	v_lshlrev_b64_e32 v[39:40], 3, v[2:3]
	v_add_co_u32 v39, vcc_lo, s44, v39
	s_wait_alu 0xfffd
	s_delay_alu instid0(VALU_DEP_2)
	v_add_co_ci_u32_e64 v40, null, s45, v40, vcc_lo
	s_wait_dscnt 0x0
	global_store_b64 v[39:40], v[36:37], off
	s_wait_alu 0xfffe
	s_or_b32 exec_lo, exec_lo, s15
	s_and_saveexec_b32 s15, s23
	s_cbranch_execz .LBB1434_820
.LBB1434_884:                           ;   in Loop: Header=BB1434_682 Depth=2
	v_lshlrev_b32_e32 v2, 2, v125
	v_add_nc_u32_e32 v36, v70, v44
	ds_load_b32 v2, v2
	ds_load_b64 v[36:37], v36 offset:19456
	s_wait_dscnt 0x1
	v_add_nc_u32_e32 v2, v2, v55
	s_delay_alu instid0(VALU_DEP_1) | instskip(NEXT) | instid1(VALU_DEP_1)
	v_lshlrev_b64_e32 v[39:40], 3, v[2:3]
	v_add_co_u32 v39, vcc_lo, s44, v39
	s_wait_alu 0xfffd
	s_delay_alu instid0(VALU_DEP_2)
	v_add_co_ci_u32_e64 v40, null, s45, v40, vcc_lo
	s_wait_dscnt 0x0
	global_store_b64 v[39:40], v[36:37], off
	s_wait_alu 0xfffe
	s_or_b32 exec_lo, exec_lo, s15
	s_and_saveexec_b32 s15, s24
	s_cbranch_execz .LBB1434_821
.LBB1434_885:                           ;   in Loop: Header=BB1434_682 Depth=2
	v_lshlrev_b32_e32 v2, 2, v124
	v_add_nc_u32_e32 v36, v70, v44
	ds_load_b32 v2, v2
	ds_load_b64 v[36:37], v36 offset:21504
	s_wait_dscnt 0x1
	v_add_nc_u32_e32 v2, v2, v56
	s_delay_alu instid0(VALU_DEP_1) | instskip(NEXT) | instid1(VALU_DEP_1)
	v_lshlrev_b64_e32 v[39:40], 3, v[2:3]
	v_add_co_u32 v39, vcc_lo, s44, v39
	s_wait_alu 0xfffd
	s_delay_alu instid0(VALU_DEP_2)
	v_add_co_ci_u32_e64 v40, null, s45, v40, vcc_lo
	s_wait_dscnt 0x0
	global_store_b64 v[39:40], v[36:37], off
	s_wait_alu 0xfffe
	s_or_b32 exec_lo, exec_lo, s15
	s_and_saveexec_b32 s15, s25
	s_cbranch_execz .LBB1434_822
.LBB1434_886:                           ;   in Loop: Header=BB1434_682 Depth=2
	v_lshlrev_b32_e32 v2, 2, v123
	v_add_nc_u32_e32 v36, v70, v44
	ds_load_b32 v2, v2
	ds_load_b64 v[36:37], v36 offset:23552
	s_wait_dscnt 0x1
	v_add_nc_u32_e32 v2, v2, v57
	s_delay_alu instid0(VALU_DEP_1) | instskip(NEXT) | instid1(VALU_DEP_1)
	v_lshlrev_b64_e32 v[39:40], 3, v[2:3]
	v_add_co_u32 v39, vcc_lo, s44, v39
	s_wait_alu 0xfffd
	s_delay_alu instid0(VALU_DEP_2)
	v_add_co_ci_u32_e64 v40, null, s45, v40, vcc_lo
	s_wait_dscnt 0x0
	global_store_b64 v[39:40], v[36:37], off
	s_wait_alu 0xfffe
	s_or_b32 exec_lo, exec_lo, s15
	s_and_saveexec_b32 s15, s26
	s_cbranch_execz .LBB1434_823
.LBB1434_887:                           ;   in Loop: Header=BB1434_682 Depth=2
	v_lshlrev_b32_e32 v2, 2, v122
	v_add_nc_u32_e32 v36, v70, v44
	ds_load_b32 v2, v2
	ds_load_b64 v[36:37], v36 offset:25600
	s_wait_dscnt 0x1
	v_add_nc_u32_e32 v2, v2, v58
	s_delay_alu instid0(VALU_DEP_1) | instskip(NEXT) | instid1(VALU_DEP_1)
	v_lshlrev_b64_e32 v[39:40], 3, v[2:3]
	v_add_co_u32 v39, vcc_lo, s44, v39
	s_wait_alu 0xfffd
	s_delay_alu instid0(VALU_DEP_2)
	v_add_co_ci_u32_e64 v40, null, s45, v40, vcc_lo
	s_wait_dscnt 0x0
	global_store_b64 v[39:40], v[36:37], off
	s_wait_alu 0xfffe
	s_or_b32 exec_lo, exec_lo, s15
	s_and_saveexec_b32 s15, s27
	s_cbranch_execz .LBB1434_824
.LBB1434_888:                           ;   in Loop: Header=BB1434_682 Depth=2
	v_lshlrev_b32_e32 v2, 2, v121
	v_add_nc_u32_e32 v36, v70, v44
	ds_load_b32 v2, v2
	ds_load_b64 v[36:37], v36 offset:27648
	s_wait_dscnt 0x1
	v_add_nc_u32_e32 v2, v2, v59
	s_delay_alu instid0(VALU_DEP_1) | instskip(NEXT) | instid1(VALU_DEP_1)
	v_lshlrev_b64_e32 v[39:40], 3, v[2:3]
	v_add_co_u32 v39, vcc_lo, s44, v39
	s_wait_alu 0xfffd
	s_delay_alu instid0(VALU_DEP_2)
	v_add_co_ci_u32_e64 v40, null, s45, v40, vcc_lo
	s_wait_dscnt 0x0
	global_store_b64 v[39:40], v[36:37], off
	s_wait_alu 0xfffe
	s_or_b32 exec_lo, exec_lo, s15
	s_and_saveexec_b32 s15, s28
	s_cbranch_execz .LBB1434_825
.LBB1434_889:                           ;   in Loop: Header=BB1434_682 Depth=2
	v_lshlrev_b32_e32 v2, 2, v120
	v_add_nc_u32_e32 v36, v70, v44
	ds_load_b32 v2, v2
	ds_load_b64 v[36:37], v36 offset:29696
	s_wait_dscnt 0x1
	v_add_nc_u32_e32 v2, v2, v60
	s_delay_alu instid0(VALU_DEP_1) | instskip(NEXT) | instid1(VALU_DEP_1)
	v_lshlrev_b64_e32 v[39:40], 3, v[2:3]
	v_add_co_u32 v39, vcc_lo, s44, v39
	s_wait_alu 0xfffd
	s_delay_alu instid0(VALU_DEP_2)
	v_add_co_ci_u32_e64 v40, null, s45, v40, vcc_lo
	s_wait_dscnt 0x0
	global_store_b64 v[39:40], v[36:37], off
	s_wait_alu 0xfffe
	s_or_b32 exec_lo, exec_lo, s15
	s_and_saveexec_b32 s15, s29
	s_cbranch_execnz .LBB1434_826
	s_branch .LBB1434_827
.LBB1434_890:                           ;   in Loop: Header=BB1434_12 Depth=1
	s_wait_loadcnt_dscnt 0x0
	s_barrier_signal -1
	s_mov_b32 s0, 0
	s_barrier_wait -1
.LBB1434_891:                           ;   in Loop: Header=BB1434_12 Depth=1
	s_wait_alu 0xfffe
	s_and_b32 vcc_lo, exec_lo, s0
	s_wait_alu 0xfffe
	s_cbranch_vccz .LBB1434_11
; %bb.892:                              ;   in Loop: Header=BB1434_12 Depth=1
	s_mov_b32 s9, s53
	s_mov_b32 s42, s33
	s_barrier_signal -1
	s_barrier_wait -1
	global_inv scope:SCOPE_SE
                                        ; implicit-def: $vgpr2
                                        ; implicit-def: $vgpr4
                                        ; implicit-def: $vgpr5
                                        ; implicit-def: $vgpr6
                                        ; implicit-def: $vgpr7
                                        ; implicit-def: $vgpr8
                                        ; implicit-def: $vgpr9
                                        ; implicit-def: $vgpr10
                                        ; implicit-def: $vgpr11
                                        ; implicit-def: $vgpr12
                                        ; implicit-def: $vgpr13
                                        ; implicit-def: $vgpr14
                                        ; implicit-def: $vgpr15
                                        ; implicit-def: $vgpr16
                                        ; implicit-def: $vgpr17
                                        ; implicit-def: $vgpr18
	s_branch .LBB1434_894
.LBB1434_893:                           ;   in Loop: Header=BB1434_894 Depth=2
	s_wait_alu 0xfffe
	s_or_b32 exec_lo, exec_lo, s0
	s_addk_co_i32 s9, 0xf000
	s_cmp_ge_u32 s10, s51
	s_mov_b32 s42, s10
	s_cbranch_scc1 .LBB1434_962
.LBB1434_894:                           ;   Parent Loop BB1434_12 Depth=1
                                        ; =>  This Inner Loop Header: Depth=2
	s_wait_alu 0xfffe
	s_add_co_i32 s10, s42, 0x1000
	s_mov_b32 s0, -1
	s_wait_alu 0xfffe
	s_cmp_gt_u32 s10, s51
                                        ; implicit-def: $vgpr19
                                        ; implicit-def: $vgpr20
                                        ; implicit-def: $vgpr21
                                        ; implicit-def: $vgpr22
                                        ; implicit-def: $vgpr23
                                        ; implicit-def: $vgpr24
                                        ; implicit-def: $vgpr25
                                        ; implicit-def: $vgpr26
                                        ; implicit-def: $vgpr27
                                        ; implicit-def: $vgpr28
                                        ; implicit-def: $vgpr29
                                        ; implicit-def: $vgpr30
                                        ; implicit-def: $vgpr31
                                        ; implicit-def: $vgpr32
                                        ; implicit-def: $vgpr33
                                        ; implicit-def: $vgpr34
	s_cbranch_scc1 .LBB1434_896
; %bb.895:                              ;   in Loop: Header=BB1434_894 Depth=2
	s_lshl_b64 s[0:1], s[42:43], 2
	s_wait_alu 0xfffe
	v_add_co_u32 v34, vcc_lo, v77, s0
	s_wait_alu 0xfffd
	v_add_co_ci_u32_e64 v35, null, s1, v78, vcc_lo
	s_mov_b32 s0, 0
	s_clause 0xf
	global_load_b32 v19, v[34:35], off
	global_load_b32 v20, v[34:35], off offset:1024
	global_load_b32 v21, v[34:35], off offset:2048
	;; [unrolled: 1-line block ×15, first 2 shown]
.LBB1434_896:                           ;   in Loop: Header=BB1434_894 Depth=2
	s_wait_alu 0xfffe
	s_and_not1_b32 vcc_lo, exec_lo, s0
	s_movk_i32 s0, 0x1000
	s_wait_alu 0xfffe
	s_cbranch_vccnz .LBB1434_915
; %bb.897:                              ;   in Loop: Header=BB1434_894 Depth=2
	s_lshl_b64 s[0:1], s[42:43], 2
	s_mov_b32 s11, exec_lo
	s_wait_alu 0xfffe
	s_add_nc_u64 s[0:1], s[36:37], s[0:1]
	v_cmpx_gt_u32_e64 s9, v1
	s_cbranch_execnz .LBB1434_947
; %bb.898:                              ;   in Loop: Header=BB1434_894 Depth=2
	s_or_b32 exec_lo, exec_lo, s11
	s_delay_alu instid0(SALU_CYCLE_1)
	s_mov_b32 s11, exec_lo
	v_cmpx_gt_u32_e64 s9, v45
	s_cbranch_execnz .LBB1434_948
.LBB1434_899:                           ;   in Loop: Header=BB1434_894 Depth=2
	s_wait_alu 0xfffe
	s_or_b32 exec_lo, exec_lo, s11
	s_delay_alu instid0(SALU_CYCLE_1)
	s_mov_b32 s11, exec_lo
	v_cmpx_gt_u32_e64 s9, v46
	s_cbranch_execnz .LBB1434_949
.LBB1434_900:                           ;   in Loop: Header=BB1434_894 Depth=2
	s_wait_alu 0xfffe
	s_or_b32 exec_lo, exec_lo, s11
	s_delay_alu instid0(SALU_CYCLE_1)
	s_mov_b32 s11, exec_lo
	v_cmpx_gt_u32_e64 s9, v47
	s_cbranch_execnz .LBB1434_950
.LBB1434_901:                           ;   in Loop: Header=BB1434_894 Depth=2
	s_wait_alu 0xfffe
	s_or_b32 exec_lo, exec_lo, s11
	s_delay_alu instid0(SALU_CYCLE_1)
	s_mov_b32 s11, exec_lo
	v_cmpx_gt_u32_e64 s9, v50
	s_cbranch_execnz .LBB1434_951
.LBB1434_902:                           ;   in Loop: Header=BB1434_894 Depth=2
	s_wait_alu 0xfffe
	s_or_b32 exec_lo, exec_lo, s11
	s_delay_alu instid0(SALU_CYCLE_1)
	s_mov_b32 s11, exec_lo
	v_cmpx_gt_u32_e64 s9, v51
	s_cbranch_execnz .LBB1434_952
.LBB1434_903:                           ;   in Loop: Header=BB1434_894 Depth=2
	s_wait_alu 0xfffe
	s_or_b32 exec_lo, exec_lo, s11
	s_delay_alu instid0(SALU_CYCLE_1)
	s_mov_b32 s11, exec_lo
	v_cmpx_gt_u32_e64 s9, v52
	s_cbranch_execnz .LBB1434_953
.LBB1434_904:                           ;   in Loop: Header=BB1434_894 Depth=2
	s_wait_alu 0xfffe
	s_or_b32 exec_lo, exec_lo, s11
	s_delay_alu instid0(SALU_CYCLE_1)
	s_mov_b32 s11, exec_lo
	v_cmpx_gt_u32_e64 s9, v53
	s_cbranch_execnz .LBB1434_954
.LBB1434_905:                           ;   in Loop: Header=BB1434_894 Depth=2
	s_wait_alu 0xfffe
	s_or_b32 exec_lo, exec_lo, s11
	s_delay_alu instid0(SALU_CYCLE_1)
	s_mov_b32 s11, exec_lo
	v_cmpx_gt_u32_e64 s9, v54
	s_cbranch_execnz .LBB1434_955
.LBB1434_906:                           ;   in Loop: Header=BB1434_894 Depth=2
	s_wait_alu 0xfffe
	s_or_b32 exec_lo, exec_lo, s11
	s_delay_alu instid0(SALU_CYCLE_1)
	s_mov_b32 s11, exec_lo
	v_cmpx_gt_u32_e64 s9, v55
	s_cbranch_execnz .LBB1434_956
.LBB1434_907:                           ;   in Loop: Header=BB1434_894 Depth=2
	s_wait_alu 0xfffe
	s_or_b32 exec_lo, exec_lo, s11
	s_delay_alu instid0(SALU_CYCLE_1)
	s_mov_b32 s11, exec_lo
	v_cmpx_gt_u32_e64 s9, v56
	s_cbranch_execnz .LBB1434_957
.LBB1434_908:                           ;   in Loop: Header=BB1434_894 Depth=2
	s_wait_alu 0xfffe
	s_or_b32 exec_lo, exec_lo, s11
	s_delay_alu instid0(SALU_CYCLE_1)
	s_mov_b32 s11, exec_lo
	v_cmpx_gt_u32_e64 s9, v57
	s_cbranch_execnz .LBB1434_958
.LBB1434_909:                           ;   in Loop: Header=BB1434_894 Depth=2
	s_wait_alu 0xfffe
	s_or_b32 exec_lo, exec_lo, s11
	s_delay_alu instid0(SALU_CYCLE_1)
	s_mov_b32 s11, exec_lo
	v_cmpx_gt_u32_e64 s9, v58
	s_cbranch_execnz .LBB1434_959
.LBB1434_910:                           ;   in Loop: Header=BB1434_894 Depth=2
	s_wait_alu 0xfffe
	s_or_b32 exec_lo, exec_lo, s11
	s_delay_alu instid0(SALU_CYCLE_1)
	s_mov_b32 s11, exec_lo
	v_cmpx_gt_u32_e64 s9, v59
	s_cbranch_execnz .LBB1434_960
.LBB1434_911:                           ;   in Loop: Header=BB1434_894 Depth=2
	s_wait_alu 0xfffe
	s_or_b32 exec_lo, exec_lo, s11
	s_delay_alu instid0(SALU_CYCLE_1)
	s_mov_b32 s11, exec_lo
	v_cmpx_gt_u32_e64 s9, v60
	s_cbranch_execnz .LBB1434_961
.LBB1434_912:                           ;   in Loop: Header=BB1434_894 Depth=2
	s_wait_alu 0xfffe
	s_or_b32 exec_lo, exec_lo, s11
	s_delay_alu instid0(SALU_CYCLE_1)
	s_mov_b32 s11, exec_lo
	v_cmpx_gt_u32_e64 s9, v61
	s_cbranch_execz .LBB1434_914
.LBB1434_913:                           ;   in Loop: Header=BB1434_894 Depth=2
	global_load_b32 v2, v108, s[0:1] offset:15360
.LBB1434_914:                           ;   in Loop: Header=BB1434_894 Depth=2
	s_wait_alu 0xfffe
	s_or_b32 exec_lo, exec_lo, s11
	s_wait_loadcnt 0x0
	v_dual_mov_b32 v19, v18 :: v_dual_mov_b32 v20, v17
	v_dual_mov_b32 v21, v16 :: v_dual_mov_b32 v22, v15
	;; [unrolled: 1-line block ×8, first 2 shown]
	s_mov_b32 s0, s9
.LBB1434_915:                           ;   in Loop: Header=BB1434_894 Depth=2
	s_wait_loadcnt 0x0
	s_delay_alu instid0(VALU_DEP_1) | instskip(NEXT) | instid1(VALU_DEP_2)
	v_dual_mov_b32 v2, v34 :: v_dual_mov_b32 v5, v32
	v_dual_mov_b32 v4, v33 :: v_dual_mov_b32 v7, v30
	;; [unrolled: 1-line block ×7, first 2 shown]
	v_mov_b32_e32 v16, v21
	v_mov_b32_e32 v18, v19
	s_mov_b32 s1, exec_lo
	s_wait_alu 0xfffe
	v_cmpx_gt_u32_e64 s0, v1
	s_cbranch_execnz .LBB1434_931
; %bb.916:                              ;   in Loop: Header=BB1434_894 Depth=2
	s_or_b32 exec_lo, exec_lo, s1
	s_delay_alu instid0(SALU_CYCLE_1)
	s_mov_b32 s1, exec_lo
	v_cmpx_gt_u32_e64 s0, v45
	s_cbranch_execnz .LBB1434_932
.LBB1434_917:                           ;   in Loop: Header=BB1434_894 Depth=2
	s_wait_alu 0xfffe
	s_or_b32 exec_lo, exec_lo, s1
	s_delay_alu instid0(SALU_CYCLE_1)
	s_mov_b32 s1, exec_lo
	v_cmpx_gt_u32_e64 s0, v46
	s_cbranch_execnz .LBB1434_933
.LBB1434_918:                           ;   in Loop: Header=BB1434_894 Depth=2
	s_wait_alu 0xfffe
	s_or_b32 exec_lo, exec_lo, s1
	s_delay_alu instid0(SALU_CYCLE_1)
	s_mov_b32 s1, exec_lo
	v_cmpx_gt_u32_e64 s0, v47
	s_cbranch_execnz .LBB1434_934
.LBB1434_919:                           ;   in Loop: Header=BB1434_894 Depth=2
	s_wait_alu 0xfffe
	s_or_b32 exec_lo, exec_lo, s1
	s_delay_alu instid0(SALU_CYCLE_1)
	s_mov_b32 s1, exec_lo
	v_cmpx_gt_u32_e64 s0, v50
	s_cbranch_execnz .LBB1434_935
.LBB1434_920:                           ;   in Loop: Header=BB1434_894 Depth=2
	s_wait_alu 0xfffe
	s_or_b32 exec_lo, exec_lo, s1
	s_delay_alu instid0(SALU_CYCLE_1)
	s_mov_b32 s1, exec_lo
	v_cmpx_gt_u32_e64 s0, v51
	s_cbranch_execnz .LBB1434_936
.LBB1434_921:                           ;   in Loop: Header=BB1434_894 Depth=2
	s_wait_alu 0xfffe
	s_or_b32 exec_lo, exec_lo, s1
	s_delay_alu instid0(SALU_CYCLE_1)
	s_mov_b32 s1, exec_lo
	v_cmpx_gt_u32_e64 s0, v52
	s_cbranch_execnz .LBB1434_937
.LBB1434_922:                           ;   in Loop: Header=BB1434_894 Depth=2
	s_wait_alu 0xfffe
	s_or_b32 exec_lo, exec_lo, s1
	s_delay_alu instid0(SALU_CYCLE_1)
	s_mov_b32 s1, exec_lo
	v_cmpx_gt_u32_e64 s0, v53
	s_cbranch_execnz .LBB1434_938
.LBB1434_923:                           ;   in Loop: Header=BB1434_894 Depth=2
	s_wait_alu 0xfffe
	s_or_b32 exec_lo, exec_lo, s1
	s_delay_alu instid0(SALU_CYCLE_1)
	s_mov_b32 s1, exec_lo
	v_cmpx_gt_u32_e64 s0, v54
	s_cbranch_execnz .LBB1434_939
.LBB1434_924:                           ;   in Loop: Header=BB1434_894 Depth=2
	s_wait_alu 0xfffe
	s_or_b32 exec_lo, exec_lo, s1
	s_delay_alu instid0(SALU_CYCLE_1)
	s_mov_b32 s1, exec_lo
	v_cmpx_gt_u32_e64 s0, v55
	s_cbranch_execnz .LBB1434_940
.LBB1434_925:                           ;   in Loop: Header=BB1434_894 Depth=2
	s_wait_alu 0xfffe
	s_or_b32 exec_lo, exec_lo, s1
	s_delay_alu instid0(SALU_CYCLE_1)
	s_mov_b32 s1, exec_lo
	v_cmpx_gt_u32_e64 s0, v56
	s_cbranch_execnz .LBB1434_941
.LBB1434_926:                           ;   in Loop: Header=BB1434_894 Depth=2
	s_wait_alu 0xfffe
	s_or_b32 exec_lo, exec_lo, s1
	s_delay_alu instid0(SALU_CYCLE_1)
	s_mov_b32 s1, exec_lo
	v_cmpx_gt_u32_e64 s0, v57
	s_cbranch_execnz .LBB1434_942
.LBB1434_927:                           ;   in Loop: Header=BB1434_894 Depth=2
	s_wait_alu 0xfffe
	s_or_b32 exec_lo, exec_lo, s1
	s_delay_alu instid0(SALU_CYCLE_1)
	s_mov_b32 s1, exec_lo
	v_cmpx_gt_u32_e64 s0, v58
	s_cbranch_execnz .LBB1434_943
.LBB1434_928:                           ;   in Loop: Header=BB1434_894 Depth=2
	s_wait_alu 0xfffe
	s_or_b32 exec_lo, exec_lo, s1
	s_delay_alu instid0(SALU_CYCLE_1)
	s_mov_b32 s1, exec_lo
	v_cmpx_gt_u32_e64 s0, v59
	s_cbranch_execnz .LBB1434_944
.LBB1434_929:                           ;   in Loop: Header=BB1434_894 Depth=2
	s_wait_alu 0xfffe
	s_or_b32 exec_lo, exec_lo, s1
	s_delay_alu instid0(SALU_CYCLE_1)
	s_mov_b32 s1, exec_lo
	v_cmpx_gt_u32_e64 s0, v60
	s_cbranch_execnz .LBB1434_945
.LBB1434_930:                           ;   in Loop: Header=BB1434_894 Depth=2
	s_wait_alu 0xfffe
	s_or_b32 exec_lo, exec_lo, s1
	v_cmp_gt_u32_e32 vcc_lo, s0, v61
	s_and_saveexec_b32 s0, vcc_lo
	s_cbranch_execz .LBB1434_893
	s_branch .LBB1434_946
.LBB1434_931:                           ;   in Loop: Header=BB1434_894 Depth=2
	v_cmp_lt_i32_e32 vcc_lo, -1, v18
	s_wait_alu 0xfffd
	v_cndmask_b32_e64 v19, -1, 0x80000000, vcc_lo
	s_delay_alu instid0(VALU_DEP_1) | instskip(NEXT) | instid1(VALU_DEP_1)
	v_xor_b32_e32 v19, v19, v18
	v_cmp_ne_u32_e32 vcc_lo, 0x7fffffff, v19
	s_wait_alu 0xfffd
	v_cndmask_b32_e32 v19, 0x80000000, v19, vcc_lo
	s_delay_alu instid0(VALU_DEP_1) | instskip(NEXT) | instid1(VALU_DEP_1)
	v_lshrrev_b32_e32 v19, s49, v19
	v_and_b32_e32 v19, s48, v19
	s_delay_alu instid0(VALU_DEP_1) | instskip(SKIP_2) | instid1(SALU_CYCLE_1)
	v_lshl_or_b32 v19, v19, 4, v62
	ds_add_u32 v19, v84
	s_or_b32 exec_lo, exec_lo, s1
	s_mov_b32 s1, exec_lo
	v_cmpx_gt_u32_e64 s0, v45
	s_cbranch_execz .LBB1434_917
.LBB1434_932:                           ;   in Loop: Header=BB1434_894 Depth=2
	v_cmp_lt_i32_e32 vcc_lo, -1, v17
	s_wait_alu 0xfffd
	v_cndmask_b32_e64 v19, -1, 0x80000000, vcc_lo
	s_delay_alu instid0(VALU_DEP_1) | instskip(NEXT) | instid1(VALU_DEP_1)
	v_xor_b32_e32 v19, v19, v17
	v_cmp_ne_u32_e32 vcc_lo, 0x7fffffff, v19
	s_wait_alu 0xfffd
	v_cndmask_b32_e32 v19, 0x80000000, v19, vcc_lo
	s_delay_alu instid0(VALU_DEP_1) | instskip(NEXT) | instid1(VALU_DEP_1)
	v_lshrrev_b32_e32 v19, s49, v19
	v_and_b32_e32 v19, s48, v19
	s_delay_alu instid0(VALU_DEP_1) | instskip(SKIP_3) | instid1(SALU_CYCLE_1)
	v_lshl_or_b32 v19, v19, 4, v62
	ds_add_u32 v19, v84
	s_wait_alu 0xfffe
	s_or_b32 exec_lo, exec_lo, s1
	s_mov_b32 s1, exec_lo
	v_cmpx_gt_u32_e64 s0, v46
	s_cbranch_execz .LBB1434_918
.LBB1434_933:                           ;   in Loop: Header=BB1434_894 Depth=2
	v_cmp_lt_i32_e32 vcc_lo, -1, v16
	s_wait_alu 0xfffd
	v_cndmask_b32_e64 v19, -1, 0x80000000, vcc_lo
	s_delay_alu instid0(VALU_DEP_1) | instskip(NEXT) | instid1(VALU_DEP_1)
	v_xor_b32_e32 v19, v19, v16
	v_cmp_ne_u32_e32 vcc_lo, 0x7fffffff, v19
	s_wait_alu 0xfffd
	v_cndmask_b32_e32 v19, 0x80000000, v19, vcc_lo
	s_delay_alu instid0(VALU_DEP_1) | instskip(NEXT) | instid1(VALU_DEP_1)
	v_lshrrev_b32_e32 v19, s49, v19
	v_and_b32_e32 v19, s48, v19
	s_delay_alu instid0(VALU_DEP_1) | instskip(SKIP_3) | instid1(SALU_CYCLE_1)
	v_lshl_or_b32 v19, v19, 4, v62
	ds_add_u32 v19, v84
	s_wait_alu 0xfffe
	s_or_b32 exec_lo, exec_lo, s1
	s_mov_b32 s1, exec_lo
	v_cmpx_gt_u32_e64 s0, v47
	s_cbranch_execz .LBB1434_919
.LBB1434_934:                           ;   in Loop: Header=BB1434_894 Depth=2
	v_cmp_lt_i32_e32 vcc_lo, -1, v15
	s_wait_alu 0xfffd
	v_cndmask_b32_e64 v19, -1, 0x80000000, vcc_lo
	s_delay_alu instid0(VALU_DEP_1) | instskip(NEXT) | instid1(VALU_DEP_1)
	v_xor_b32_e32 v19, v19, v15
	v_cmp_ne_u32_e32 vcc_lo, 0x7fffffff, v19
	s_wait_alu 0xfffd
	v_cndmask_b32_e32 v19, 0x80000000, v19, vcc_lo
	s_delay_alu instid0(VALU_DEP_1) | instskip(NEXT) | instid1(VALU_DEP_1)
	v_lshrrev_b32_e32 v19, s49, v19
	v_and_b32_e32 v19, s48, v19
	s_delay_alu instid0(VALU_DEP_1) | instskip(SKIP_3) | instid1(SALU_CYCLE_1)
	v_lshl_or_b32 v19, v19, 4, v62
	ds_add_u32 v19, v84
	s_wait_alu 0xfffe
	s_or_b32 exec_lo, exec_lo, s1
	s_mov_b32 s1, exec_lo
	v_cmpx_gt_u32_e64 s0, v50
	s_cbranch_execz .LBB1434_920
.LBB1434_935:                           ;   in Loop: Header=BB1434_894 Depth=2
	v_cmp_lt_i32_e32 vcc_lo, -1, v14
	s_wait_alu 0xfffd
	v_cndmask_b32_e64 v19, -1, 0x80000000, vcc_lo
	s_delay_alu instid0(VALU_DEP_1) | instskip(NEXT) | instid1(VALU_DEP_1)
	v_xor_b32_e32 v19, v19, v14
	v_cmp_ne_u32_e32 vcc_lo, 0x7fffffff, v19
	s_wait_alu 0xfffd
	v_cndmask_b32_e32 v19, 0x80000000, v19, vcc_lo
	s_delay_alu instid0(VALU_DEP_1) | instskip(NEXT) | instid1(VALU_DEP_1)
	v_lshrrev_b32_e32 v19, s49, v19
	v_and_b32_e32 v19, s48, v19
	s_delay_alu instid0(VALU_DEP_1) | instskip(SKIP_3) | instid1(SALU_CYCLE_1)
	v_lshl_or_b32 v19, v19, 4, v62
	ds_add_u32 v19, v84
	s_wait_alu 0xfffe
	s_or_b32 exec_lo, exec_lo, s1
	s_mov_b32 s1, exec_lo
	v_cmpx_gt_u32_e64 s0, v51
	s_cbranch_execz .LBB1434_921
.LBB1434_936:                           ;   in Loop: Header=BB1434_894 Depth=2
	v_cmp_lt_i32_e32 vcc_lo, -1, v13
	s_wait_alu 0xfffd
	v_cndmask_b32_e64 v19, -1, 0x80000000, vcc_lo
	s_delay_alu instid0(VALU_DEP_1) | instskip(NEXT) | instid1(VALU_DEP_1)
	v_xor_b32_e32 v19, v19, v13
	v_cmp_ne_u32_e32 vcc_lo, 0x7fffffff, v19
	s_wait_alu 0xfffd
	v_cndmask_b32_e32 v19, 0x80000000, v19, vcc_lo
	s_delay_alu instid0(VALU_DEP_1) | instskip(NEXT) | instid1(VALU_DEP_1)
	v_lshrrev_b32_e32 v19, s49, v19
	v_and_b32_e32 v19, s48, v19
	s_delay_alu instid0(VALU_DEP_1) | instskip(SKIP_3) | instid1(SALU_CYCLE_1)
	v_lshl_or_b32 v19, v19, 4, v62
	ds_add_u32 v19, v84
	s_wait_alu 0xfffe
	s_or_b32 exec_lo, exec_lo, s1
	s_mov_b32 s1, exec_lo
	v_cmpx_gt_u32_e64 s0, v52
	s_cbranch_execz .LBB1434_922
.LBB1434_937:                           ;   in Loop: Header=BB1434_894 Depth=2
	v_cmp_lt_i32_e32 vcc_lo, -1, v12
	s_wait_alu 0xfffd
	v_cndmask_b32_e64 v19, -1, 0x80000000, vcc_lo
	s_delay_alu instid0(VALU_DEP_1) | instskip(NEXT) | instid1(VALU_DEP_1)
	v_xor_b32_e32 v19, v19, v12
	v_cmp_ne_u32_e32 vcc_lo, 0x7fffffff, v19
	s_wait_alu 0xfffd
	v_cndmask_b32_e32 v19, 0x80000000, v19, vcc_lo
	s_delay_alu instid0(VALU_DEP_1) | instskip(NEXT) | instid1(VALU_DEP_1)
	v_lshrrev_b32_e32 v19, s49, v19
	v_and_b32_e32 v19, s48, v19
	s_delay_alu instid0(VALU_DEP_1) | instskip(SKIP_3) | instid1(SALU_CYCLE_1)
	v_lshl_or_b32 v19, v19, 4, v62
	ds_add_u32 v19, v84
	s_wait_alu 0xfffe
	s_or_b32 exec_lo, exec_lo, s1
	s_mov_b32 s1, exec_lo
	v_cmpx_gt_u32_e64 s0, v53
	s_cbranch_execz .LBB1434_923
.LBB1434_938:                           ;   in Loop: Header=BB1434_894 Depth=2
	v_cmp_lt_i32_e32 vcc_lo, -1, v11
	s_wait_alu 0xfffd
	v_cndmask_b32_e64 v19, -1, 0x80000000, vcc_lo
	s_delay_alu instid0(VALU_DEP_1) | instskip(NEXT) | instid1(VALU_DEP_1)
	v_xor_b32_e32 v19, v19, v11
	v_cmp_ne_u32_e32 vcc_lo, 0x7fffffff, v19
	s_wait_alu 0xfffd
	v_cndmask_b32_e32 v19, 0x80000000, v19, vcc_lo
	s_delay_alu instid0(VALU_DEP_1) | instskip(NEXT) | instid1(VALU_DEP_1)
	v_lshrrev_b32_e32 v19, s49, v19
	v_and_b32_e32 v19, s48, v19
	s_delay_alu instid0(VALU_DEP_1) | instskip(SKIP_3) | instid1(SALU_CYCLE_1)
	v_lshl_or_b32 v19, v19, 4, v62
	ds_add_u32 v19, v84
	s_wait_alu 0xfffe
	s_or_b32 exec_lo, exec_lo, s1
	s_mov_b32 s1, exec_lo
	v_cmpx_gt_u32_e64 s0, v54
	s_cbranch_execz .LBB1434_924
.LBB1434_939:                           ;   in Loop: Header=BB1434_894 Depth=2
	v_cmp_lt_i32_e32 vcc_lo, -1, v10
	s_wait_alu 0xfffd
	v_cndmask_b32_e64 v19, -1, 0x80000000, vcc_lo
	s_delay_alu instid0(VALU_DEP_1) | instskip(NEXT) | instid1(VALU_DEP_1)
	v_xor_b32_e32 v19, v19, v10
	v_cmp_ne_u32_e32 vcc_lo, 0x7fffffff, v19
	s_wait_alu 0xfffd
	v_cndmask_b32_e32 v19, 0x80000000, v19, vcc_lo
	s_delay_alu instid0(VALU_DEP_1) | instskip(NEXT) | instid1(VALU_DEP_1)
	v_lshrrev_b32_e32 v19, s49, v19
	v_and_b32_e32 v19, s48, v19
	s_delay_alu instid0(VALU_DEP_1) | instskip(SKIP_3) | instid1(SALU_CYCLE_1)
	v_lshl_or_b32 v19, v19, 4, v62
	ds_add_u32 v19, v84
	s_wait_alu 0xfffe
	s_or_b32 exec_lo, exec_lo, s1
	s_mov_b32 s1, exec_lo
	v_cmpx_gt_u32_e64 s0, v55
	s_cbranch_execz .LBB1434_925
.LBB1434_940:                           ;   in Loop: Header=BB1434_894 Depth=2
	v_cmp_lt_i32_e32 vcc_lo, -1, v9
	s_wait_alu 0xfffd
	v_cndmask_b32_e64 v19, -1, 0x80000000, vcc_lo
	s_delay_alu instid0(VALU_DEP_1) | instskip(NEXT) | instid1(VALU_DEP_1)
	v_xor_b32_e32 v19, v19, v9
	v_cmp_ne_u32_e32 vcc_lo, 0x7fffffff, v19
	s_wait_alu 0xfffd
	v_cndmask_b32_e32 v19, 0x80000000, v19, vcc_lo
	s_delay_alu instid0(VALU_DEP_1) | instskip(NEXT) | instid1(VALU_DEP_1)
	v_lshrrev_b32_e32 v19, s49, v19
	v_and_b32_e32 v19, s48, v19
	s_delay_alu instid0(VALU_DEP_1) | instskip(SKIP_3) | instid1(SALU_CYCLE_1)
	v_lshl_or_b32 v19, v19, 4, v62
	ds_add_u32 v19, v84
	s_wait_alu 0xfffe
	s_or_b32 exec_lo, exec_lo, s1
	s_mov_b32 s1, exec_lo
	v_cmpx_gt_u32_e64 s0, v56
	s_cbranch_execz .LBB1434_926
.LBB1434_941:                           ;   in Loop: Header=BB1434_894 Depth=2
	v_cmp_lt_i32_e32 vcc_lo, -1, v8
	s_wait_alu 0xfffd
	v_cndmask_b32_e64 v19, -1, 0x80000000, vcc_lo
	s_delay_alu instid0(VALU_DEP_1) | instskip(NEXT) | instid1(VALU_DEP_1)
	v_xor_b32_e32 v19, v19, v8
	v_cmp_ne_u32_e32 vcc_lo, 0x7fffffff, v19
	s_wait_alu 0xfffd
	v_cndmask_b32_e32 v19, 0x80000000, v19, vcc_lo
	s_delay_alu instid0(VALU_DEP_1) | instskip(NEXT) | instid1(VALU_DEP_1)
	v_lshrrev_b32_e32 v19, s49, v19
	v_and_b32_e32 v19, s48, v19
	s_delay_alu instid0(VALU_DEP_1) | instskip(SKIP_3) | instid1(SALU_CYCLE_1)
	v_lshl_or_b32 v19, v19, 4, v62
	ds_add_u32 v19, v84
	s_wait_alu 0xfffe
	s_or_b32 exec_lo, exec_lo, s1
	s_mov_b32 s1, exec_lo
	v_cmpx_gt_u32_e64 s0, v57
	s_cbranch_execz .LBB1434_927
.LBB1434_942:                           ;   in Loop: Header=BB1434_894 Depth=2
	v_cmp_lt_i32_e32 vcc_lo, -1, v7
	s_wait_alu 0xfffd
	v_cndmask_b32_e64 v19, -1, 0x80000000, vcc_lo
	s_delay_alu instid0(VALU_DEP_1) | instskip(NEXT) | instid1(VALU_DEP_1)
	v_xor_b32_e32 v19, v19, v7
	v_cmp_ne_u32_e32 vcc_lo, 0x7fffffff, v19
	s_wait_alu 0xfffd
	v_cndmask_b32_e32 v19, 0x80000000, v19, vcc_lo
	s_delay_alu instid0(VALU_DEP_1) | instskip(NEXT) | instid1(VALU_DEP_1)
	v_lshrrev_b32_e32 v19, s49, v19
	v_and_b32_e32 v19, s48, v19
	s_delay_alu instid0(VALU_DEP_1) | instskip(SKIP_3) | instid1(SALU_CYCLE_1)
	v_lshl_or_b32 v19, v19, 4, v62
	ds_add_u32 v19, v84
	s_wait_alu 0xfffe
	s_or_b32 exec_lo, exec_lo, s1
	s_mov_b32 s1, exec_lo
	v_cmpx_gt_u32_e64 s0, v58
	s_cbranch_execz .LBB1434_928
.LBB1434_943:                           ;   in Loop: Header=BB1434_894 Depth=2
	v_cmp_lt_i32_e32 vcc_lo, -1, v6
	s_wait_alu 0xfffd
	v_cndmask_b32_e64 v19, -1, 0x80000000, vcc_lo
	s_delay_alu instid0(VALU_DEP_1) | instskip(NEXT) | instid1(VALU_DEP_1)
	v_xor_b32_e32 v19, v19, v6
	v_cmp_ne_u32_e32 vcc_lo, 0x7fffffff, v19
	s_wait_alu 0xfffd
	v_cndmask_b32_e32 v19, 0x80000000, v19, vcc_lo
	s_delay_alu instid0(VALU_DEP_1) | instskip(NEXT) | instid1(VALU_DEP_1)
	v_lshrrev_b32_e32 v19, s49, v19
	v_and_b32_e32 v19, s48, v19
	s_delay_alu instid0(VALU_DEP_1) | instskip(SKIP_3) | instid1(SALU_CYCLE_1)
	v_lshl_or_b32 v19, v19, 4, v62
	ds_add_u32 v19, v84
	s_wait_alu 0xfffe
	s_or_b32 exec_lo, exec_lo, s1
	s_mov_b32 s1, exec_lo
	v_cmpx_gt_u32_e64 s0, v59
	s_cbranch_execz .LBB1434_929
.LBB1434_944:                           ;   in Loop: Header=BB1434_894 Depth=2
	v_cmp_lt_i32_e32 vcc_lo, -1, v5
	s_wait_alu 0xfffd
	v_cndmask_b32_e64 v19, -1, 0x80000000, vcc_lo
	s_delay_alu instid0(VALU_DEP_1) | instskip(NEXT) | instid1(VALU_DEP_1)
	v_xor_b32_e32 v19, v19, v5
	v_cmp_ne_u32_e32 vcc_lo, 0x7fffffff, v19
	s_wait_alu 0xfffd
	v_cndmask_b32_e32 v19, 0x80000000, v19, vcc_lo
	s_delay_alu instid0(VALU_DEP_1) | instskip(NEXT) | instid1(VALU_DEP_1)
	v_lshrrev_b32_e32 v19, s49, v19
	v_and_b32_e32 v19, s48, v19
	s_delay_alu instid0(VALU_DEP_1) | instskip(SKIP_3) | instid1(SALU_CYCLE_1)
	v_lshl_or_b32 v19, v19, 4, v62
	ds_add_u32 v19, v84
	s_wait_alu 0xfffe
	s_or_b32 exec_lo, exec_lo, s1
	s_mov_b32 s1, exec_lo
	v_cmpx_gt_u32_e64 s0, v60
	s_cbranch_execz .LBB1434_930
.LBB1434_945:                           ;   in Loop: Header=BB1434_894 Depth=2
	v_cmp_lt_i32_e32 vcc_lo, -1, v4
	s_wait_alu 0xfffd
	v_cndmask_b32_e64 v19, -1, 0x80000000, vcc_lo
	s_delay_alu instid0(VALU_DEP_1) | instskip(NEXT) | instid1(VALU_DEP_1)
	v_xor_b32_e32 v19, v19, v4
	v_cmp_ne_u32_e32 vcc_lo, 0x7fffffff, v19
	s_wait_alu 0xfffd
	v_cndmask_b32_e32 v19, 0x80000000, v19, vcc_lo
	s_delay_alu instid0(VALU_DEP_1) | instskip(NEXT) | instid1(VALU_DEP_1)
	v_lshrrev_b32_e32 v19, s49, v19
	v_and_b32_e32 v19, s48, v19
	s_delay_alu instid0(VALU_DEP_1)
	v_lshl_or_b32 v19, v19, 4, v62
	ds_add_u32 v19, v84
	s_wait_alu 0xfffe
	s_or_b32 exec_lo, exec_lo, s1
	v_cmp_gt_u32_e32 vcc_lo, s0, v61
	s_and_saveexec_b32 s0, vcc_lo
	s_cbranch_execz .LBB1434_893
.LBB1434_946:                           ;   in Loop: Header=BB1434_894 Depth=2
	v_cmp_lt_i32_e32 vcc_lo, -1, v2
	s_wait_alu 0xfffd
	v_cndmask_b32_e64 v19, -1, 0x80000000, vcc_lo
	s_delay_alu instid0(VALU_DEP_1) | instskip(NEXT) | instid1(VALU_DEP_1)
	v_xor_b32_e32 v19, v19, v2
	v_cmp_ne_u32_e32 vcc_lo, 0x7fffffff, v19
	s_wait_alu 0xfffd
	v_cndmask_b32_e32 v19, 0x80000000, v19, vcc_lo
	s_delay_alu instid0(VALU_DEP_1) | instskip(NEXT) | instid1(VALU_DEP_1)
	v_lshrrev_b32_e32 v19, s49, v19
	v_and_b32_e32 v19, s48, v19
	s_delay_alu instid0(VALU_DEP_1)
	v_lshl_or_b32 v19, v19, 4, v62
	ds_add_u32 v19, v84
	s_branch .LBB1434_893
.LBB1434_947:                           ;   in Loop: Header=BB1434_894 Depth=2
	global_load_b32 v18, v108, s[0:1]
	s_or_b32 exec_lo, exec_lo, s11
	s_delay_alu instid0(SALU_CYCLE_1)
	s_mov_b32 s11, exec_lo
	v_cmpx_gt_u32_e64 s9, v45
	s_cbranch_execz .LBB1434_899
.LBB1434_948:                           ;   in Loop: Header=BB1434_894 Depth=2
	global_load_b32 v17, v108, s[0:1] offset:1024
	s_wait_alu 0xfffe
	s_or_b32 exec_lo, exec_lo, s11
	s_delay_alu instid0(SALU_CYCLE_1)
	s_mov_b32 s11, exec_lo
	v_cmpx_gt_u32_e64 s9, v46
	s_cbranch_execz .LBB1434_900
.LBB1434_949:                           ;   in Loop: Header=BB1434_894 Depth=2
	global_load_b32 v16, v108, s[0:1] offset:2048
	s_wait_alu 0xfffe
	s_or_b32 exec_lo, exec_lo, s11
	s_delay_alu instid0(SALU_CYCLE_1)
	s_mov_b32 s11, exec_lo
	v_cmpx_gt_u32_e64 s9, v47
	s_cbranch_execz .LBB1434_901
.LBB1434_950:                           ;   in Loop: Header=BB1434_894 Depth=2
	global_load_b32 v15, v108, s[0:1] offset:3072
	s_wait_alu 0xfffe
	s_or_b32 exec_lo, exec_lo, s11
	s_delay_alu instid0(SALU_CYCLE_1)
	s_mov_b32 s11, exec_lo
	v_cmpx_gt_u32_e64 s9, v50
	s_cbranch_execz .LBB1434_902
.LBB1434_951:                           ;   in Loop: Header=BB1434_894 Depth=2
	global_load_b32 v14, v108, s[0:1] offset:4096
	s_wait_alu 0xfffe
	s_or_b32 exec_lo, exec_lo, s11
	s_delay_alu instid0(SALU_CYCLE_1)
	s_mov_b32 s11, exec_lo
	v_cmpx_gt_u32_e64 s9, v51
	s_cbranch_execz .LBB1434_903
.LBB1434_952:                           ;   in Loop: Header=BB1434_894 Depth=2
	global_load_b32 v13, v108, s[0:1] offset:5120
	s_wait_alu 0xfffe
	s_or_b32 exec_lo, exec_lo, s11
	s_delay_alu instid0(SALU_CYCLE_1)
	s_mov_b32 s11, exec_lo
	v_cmpx_gt_u32_e64 s9, v52
	s_cbranch_execz .LBB1434_904
.LBB1434_953:                           ;   in Loop: Header=BB1434_894 Depth=2
	global_load_b32 v12, v108, s[0:1] offset:6144
	s_wait_alu 0xfffe
	s_or_b32 exec_lo, exec_lo, s11
	s_delay_alu instid0(SALU_CYCLE_1)
	s_mov_b32 s11, exec_lo
	v_cmpx_gt_u32_e64 s9, v53
	s_cbranch_execz .LBB1434_905
.LBB1434_954:                           ;   in Loop: Header=BB1434_894 Depth=2
	global_load_b32 v11, v108, s[0:1] offset:7168
	s_wait_alu 0xfffe
	s_or_b32 exec_lo, exec_lo, s11
	s_delay_alu instid0(SALU_CYCLE_1)
	s_mov_b32 s11, exec_lo
	v_cmpx_gt_u32_e64 s9, v54
	s_cbranch_execz .LBB1434_906
.LBB1434_955:                           ;   in Loop: Header=BB1434_894 Depth=2
	global_load_b32 v10, v108, s[0:1] offset:8192
	s_wait_alu 0xfffe
	s_or_b32 exec_lo, exec_lo, s11
	s_delay_alu instid0(SALU_CYCLE_1)
	s_mov_b32 s11, exec_lo
	v_cmpx_gt_u32_e64 s9, v55
	s_cbranch_execz .LBB1434_907
.LBB1434_956:                           ;   in Loop: Header=BB1434_894 Depth=2
	global_load_b32 v9, v108, s[0:1] offset:9216
	s_wait_alu 0xfffe
	s_or_b32 exec_lo, exec_lo, s11
	s_delay_alu instid0(SALU_CYCLE_1)
	s_mov_b32 s11, exec_lo
	v_cmpx_gt_u32_e64 s9, v56
	s_cbranch_execz .LBB1434_908
.LBB1434_957:                           ;   in Loop: Header=BB1434_894 Depth=2
	global_load_b32 v8, v108, s[0:1] offset:10240
	s_wait_alu 0xfffe
	s_or_b32 exec_lo, exec_lo, s11
	s_delay_alu instid0(SALU_CYCLE_1)
	s_mov_b32 s11, exec_lo
	v_cmpx_gt_u32_e64 s9, v57
	s_cbranch_execz .LBB1434_909
.LBB1434_958:                           ;   in Loop: Header=BB1434_894 Depth=2
	global_load_b32 v7, v108, s[0:1] offset:11264
	s_wait_alu 0xfffe
	s_or_b32 exec_lo, exec_lo, s11
	s_delay_alu instid0(SALU_CYCLE_1)
	s_mov_b32 s11, exec_lo
	v_cmpx_gt_u32_e64 s9, v58
	s_cbranch_execz .LBB1434_910
.LBB1434_959:                           ;   in Loop: Header=BB1434_894 Depth=2
	global_load_b32 v6, v108, s[0:1] offset:12288
	s_wait_alu 0xfffe
	s_or_b32 exec_lo, exec_lo, s11
	s_delay_alu instid0(SALU_CYCLE_1)
	s_mov_b32 s11, exec_lo
	v_cmpx_gt_u32_e64 s9, v59
	s_cbranch_execz .LBB1434_911
.LBB1434_960:                           ;   in Loop: Header=BB1434_894 Depth=2
	global_load_b32 v5, v108, s[0:1] offset:13312
	s_wait_alu 0xfffe
	s_or_b32 exec_lo, exec_lo, s11
	s_delay_alu instid0(SALU_CYCLE_1)
	s_mov_b32 s11, exec_lo
	v_cmpx_gt_u32_e64 s9, v60
	s_cbranch_execz .LBB1434_912
.LBB1434_961:                           ;   in Loop: Header=BB1434_894 Depth=2
	global_load_b32 v4, v108, s[0:1] offset:14336
	s_wait_alu 0xfffe
	s_or_b32 exec_lo, exec_lo, s11
	s_delay_alu instid0(SALU_CYCLE_1)
	s_mov_b32 s11, exec_lo
	v_cmpx_gt_u32_e64 s9, v61
	s_cbranch_execnz .LBB1434_913
	s_branch .LBB1434_914
.LBB1434_962:                           ;   in Loop: Header=BB1434_12 Depth=1
	v_mov_b32_e32 v2, 0
	s_wait_dscnt 0x0
	s_barrier_signal -1
	s_barrier_wait -1
	global_inv scope:SCOPE_SE
	s_and_saveexec_b32 s0, s2
	s_cbranch_execz .LBB1434_964
; %bb.963:                              ;   in Loop: Header=BB1434_12 Depth=1
	ds_load_2addr_b64 v[4:7], v64 offset1:1
	s_wait_dscnt 0x0
	v_add_nc_u32_e32 v2, v5, v4
	s_delay_alu instid0(VALU_DEP_1)
	v_add3_u32 v2, v2, v6, v7
.LBB1434_964:                           ;   in Loop: Header=BB1434_12 Depth=1
	s_wait_alu 0xfffe
	s_or_b32 exec_lo, exec_lo, s0
	s_delay_alu instid0(VALU_DEP_1)
	v_mov_b32_dpp v4, v2 row_shr:1 row_mask:0xf bank_mask:0xf
	v_cmp_eq_u32_e64 s0, 0, v85
	v_cmp_lt_u32_e64 s1, 1, v85
	v_cmp_lt_u32_e64 s9, 3, v85
	;; [unrolled: 1-line block ×3, first 2 shown]
	v_cmp_eq_u32_e64 s11, 0, v87
	s_wait_alu 0xf1ff
	v_cndmask_b32_e64 v4, v4, 0, s0
	s_delay_alu instid0(VALU_DEP_1) | instskip(NEXT) | instid1(VALU_DEP_1)
	v_add_nc_u32_e32 v2, v4, v2
	v_mov_b32_dpp v4, v2 row_shr:2 row_mask:0xf bank_mask:0xf
	s_delay_alu instid0(VALU_DEP_1) | instskip(NEXT) | instid1(VALU_DEP_1)
	v_cndmask_b32_e64 v4, 0, v4, s1
	v_add_nc_u32_e32 v2, v2, v4
	s_delay_alu instid0(VALU_DEP_1) | instskip(NEXT) | instid1(VALU_DEP_1)
	v_mov_b32_dpp v4, v2 row_shr:4 row_mask:0xf bank_mask:0xf
	v_cndmask_b32_e64 v4, 0, v4, s9
	s_delay_alu instid0(VALU_DEP_1) | instskip(NEXT) | instid1(VALU_DEP_1)
	v_add_nc_u32_e32 v2, v2, v4
	v_mov_b32_dpp v4, v2 row_shr:8 row_mask:0xf bank_mask:0xf
	s_delay_alu instid0(VALU_DEP_1) | instskip(NEXT) | instid1(VALU_DEP_1)
	v_cndmask_b32_e64 v4, 0, v4, s10
	v_add_nc_u32_e32 v2, v2, v4
	ds_swizzle_b32 v4, v2 offset:swizzle(BROADCAST,32,15)
	s_wait_dscnt 0x0
	v_and_b32_e32 v4, v86, v4
	s_delay_alu instid0(VALU_DEP_1)
	v_add_nc_u32_e32 v2, v2, v4
	s_and_saveexec_b32 s12, s3
; %bb.965:                              ;   in Loop: Header=BB1434_12 Depth=1
	ds_store_b32 v65, v2
; %bb.966:                              ;   in Loop: Header=BB1434_12 Depth=1
	s_wait_alu 0xfffe
	s_or_b32 exec_lo, exec_lo, s12
	s_wait_loadcnt_dscnt 0x0
	s_barrier_signal -1
	s_barrier_wait -1
	global_inv scope:SCOPE_SE
	s_and_saveexec_b32 s12, s4
	s_cbranch_execz .LBB1434_968
; %bb.967:                              ;   in Loop: Header=BB1434_12 Depth=1
	ds_load_b32 v4, v66
	v_cmp_ne_u32_e32 vcc_lo, 0, v89
	s_wait_dscnt 0x0
	v_mov_b32_dpp v5, v4 row_shr:1 row_mask:0xf bank_mask:0xf
	s_wait_alu 0xfffd
	s_delay_alu instid0(VALU_DEP_1) | instskip(SKIP_1) | instid1(VALU_DEP_2)
	v_cndmask_b32_e32 v5, 0, v5, vcc_lo
	v_cmp_lt_u32_e32 vcc_lo, 1, v89
	v_add_nc_u32_e32 v4, v5, v4
	s_delay_alu instid0(VALU_DEP_1) | instskip(SKIP_1) | instid1(VALU_DEP_1)
	v_mov_b32_dpp v5, v4 row_shr:2 row_mask:0xf bank_mask:0xf
	s_wait_alu 0xfffd
	v_cndmask_b32_e32 v5, 0, v5, vcc_lo
	v_cmp_lt_u32_e32 vcc_lo, 3, v89
	s_delay_alu instid0(VALU_DEP_2) | instskip(NEXT) | instid1(VALU_DEP_1)
	v_add_nc_u32_e32 v4, v4, v5
	v_mov_b32_dpp v5, v4 row_shr:4 row_mask:0xf bank_mask:0xf
	s_wait_alu 0xfffd
	s_delay_alu instid0(VALU_DEP_1) | instskip(NEXT) | instid1(VALU_DEP_1)
	v_cndmask_b32_e32 v5, 0, v5, vcc_lo
	v_add_nc_u32_e32 v4, v4, v5
	ds_store_b32 v66, v4
.LBB1434_968:                           ;   in Loop: Header=BB1434_12 Depth=1
	s_wait_alu 0xfffe
	s_or_b32 exec_lo, exec_lo, s12
	v_mov_b32_e32 v4, 0
	s_wait_loadcnt_dscnt 0x0
	s_barrier_signal -1
	s_barrier_wait -1
	global_inv scope:SCOPE_SE
	s_and_saveexec_b32 s12, s5
; %bb.969:                              ;   in Loop: Header=BB1434_12 Depth=1
	ds_load_b32 v4, v68
; %bb.970:                              ;   in Loop: Header=BB1434_12 Depth=1
	s_wait_alu 0xfffe
	s_or_b32 exec_lo, exec_lo, s12
	v_cmp_gt_i32_e32 vcc_lo, 0, v90
	s_wait_loadcnt_dscnt 0x0
	s_barrier_signal -1
	s_barrier_wait -1
	global_inv scope:SCOPE_SE
	s_wait_alu 0xfffd
	v_dual_cndmask_b32 v5, v90, v81 :: v_dual_add_nc_u32 v2, v4, v2
	s_delay_alu instid0(VALU_DEP_1)
	v_lshlrev_b32_e32 v113, 2, v5
	ds_bpermute_b32 v2, v113, v2
	s_and_saveexec_b32 s12, s2
	s_cbranch_execz .LBB1434_972
; %bb.971:                              ;   in Loop: Header=BB1434_12 Depth=1
	s_wait_dscnt 0x0
	v_cndmask_b32_e64 v2, v2, v4, s8
	s_delay_alu instid0(VALU_DEP_1)
	v_add_nc_u32_e32 v2, s33, v2
	ds_store_b32 v44, v2
.LBB1434_972:                           ;   in Loop: Header=BB1434_12 Depth=1
	s_wait_alu 0xfffe
	s_or_b32 exec_lo, exec_lo, s12
	s_load_b64 s[12:13], s[34:35], 0x0
	v_add_co_u32 v114, vcc_lo, v79, v91
	s_wait_alu 0xfffd
	v_add_co_ci_u32_e64 v115, null, 0, v80, vcc_lo
	v_add_co_u32 v116, vcc_lo, v82, v107
	s_wait_alu 0xfffd
	v_add_co_ci_u32_e64 v117, null, 0, v83, vcc_lo
	s_mov_b32 s54, s53
                                        ; implicit-def: $vgpr6_vgpr7
                                        ; implicit-def: $vgpr8_vgpr9
                                        ; implicit-def: $vgpr10_vgpr11
                                        ; implicit-def: $vgpr12_vgpr13
                                        ; implicit-def: $vgpr14_vgpr15
                                        ; implicit-def: $vgpr16_vgpr17
                                        ; implicit-def: $vgpr18_vgpr19
                                        ; implicit-def: $vgpr20_vgpr21
                                        ; implicit-def: $vgpr22_vgpr23
                                        ; implicit-def: $vgpr24_vgpr25
                                        ; implicit-def: $vgpr26_vgpr27
                                        ; implicit-def: $vgpr28_vgpr29
                                        ; implicit-def: $vgpr30_vgpr31
                                        ; implicit-def: $vgpr32_vgpr33
                                        ; implicit-def: $vgpr34_vgpr35
                                        ; implicit-def: $vgpr119
                                        ; implicit-def: $vgpr120
                                        ; implicit-def: $vgpr121
                                        ; implicit-def: $vgpr122
                                        ; implicit-def: $vgpr123
                                        ; implicit-def: $vgpr124
                                        ; implicit-def: $vgpr125
                                        ; implicit-def: $vgpr126
                                        ; implicit-def: $vgpr127
                                        ; implicit-def: $vgpr128
                                        ; implicit-def: $vgpr129
                                        ; implicit-def: $vgpr130
                                        ; implicit-def: $vgpr131
                                        ; implicit-def: $vgpr132
                                        ; implicit-def: $vgpr133
                                        ; implicit-def: $vgpr134
	s_wait_kmcnt 0x0
	s_cmp_lt_u32 ttmp7, s13
	s_cselect_b32 s42, 14, 20
	s_cmp_lt_u32 ttmp9, s12
	s_wait_alu 0xfffe
	s_add_nc_u64 s[14:15], s[34:35], s[42:43]
	s_cselect_b32 s42, 12, 18
	s_load_u16 s14, s[14:15], 0x0
	s_add_nc_u64 s[12:13], s[34:35], s[42:43]
	s_mov_b32 s42, s33
	s_load_u16 s12, s[12:13], 0x0
	v_cmp_lt_u32_e64 s13, 1, v89
	s_wait_dscnt 0x0
	s_wait_kmcnt 0x0
	v_mad_u32_u24 v2, v69, s14, v0
	v_cmp_lt_u32_e64 s14, 3, v89
	s_delay_alu instid0(VALU_DEP_2) | instskip(SKIP_1) | instid1(VALU_DEP_2)
	v_mad_co_u64_u32 v[4:5], null, v2, s12, v[1:2]
	v_cmp_eq_u32_e64 s12, 0, v89
	v_lshrrev_b32_e32 v2, 3, v4
                                        ; implicit-def: $vgpr4_vgpr5
	s_delay_alu instid0(VALU_DEP_1)
	v_and_b32_e32 v118, 0x1ffffffc, v2
	s_branch .LBB1434_974
.LBB1434_973:                           ;   in Loop: Header=BB1434_974 Depth=2
	s_wait_alu 0xfffe
	s_or_b32 exec_lo, exec_lo, s15
	s_addk_co_i32 s54, 0xf000
	s_cmp_lt_u32 s55, s51
	s_mov_b32 s42, s55
	s_cbranch_scc0 .LBB1434_10
.LBB1434_974:                           ;   Parent Loop BB1434_12 Depth=1
                                        ; =>  This Inner Loop Header: Depth=2
	s_wait_alu 0xfffe
	s_add_co_i32 s55, s42, 0x1000
	s_wait_alu 0xfffe
	s_cmp_gt_u32 s55, s51
	s_cbranch_scc1 .LBB1434_976
; %bb.975:                              ;   in Loop: Header=BB1434_974 Depth=2
	s_lshl_b64 s[16:17], s[42:43], 2
	s_mov_b32 s15, -1
	s_wait_alu 0xfffe
	v_add_co_u32 v36, vcc_lo, v116, s16
	s_wait_alu 0xfffd
	v_add_co_ci_u32_e64 v37, null, s17, v117, vcc_lo
	s_clause 0xe
	global_load_b32 v2, v[36:37], off
	global_load_b32 v136, v[36:37], off offset:128
	global_load_b32 v143, v[36:37], off offset:256
	;; [unrolled: 1-line block ×14, first 2 shown]
	s_movk_i32 s16, 0x1000
	s_cbranch_execz .LBB1434_977
	s_branch .LBB1434_1008
.LBB1434_976:                           ;   in Loop: Header=BB1434_974 Depth=2
	s_mov_b32 s15, 0
                                        ; implicit-def: $vgpr2
                                        ; implicit-def: $vgpr136
                                        ; implicit-def: $vgpr143
                                        ; implicit-def: $vgpr147
                                        ; implicit-def: $vgpr151
                                        ; implicit-def: $vgpr155
                                        ; implicit-def: $vgpr159
                                        ; implicit-def: $vgpr163
                                        ; implicit-def: $vgpr166
                                        ; implicit-def: $vgpr43
                                        ; implicit-def: $vgpr42
                                        ; implicit-def: $vgpr41
                                        ; implicit-def: $vgpr40
                                        ; implicit-def: $vgpr39
                                        ; implicit-def: $vgpr38
	s_movk_i32 s16, 0x1000
.LBB1434_977:                           ;   in Loop: Header=BB1434_974 Depth=2
	s_lshl_b64 s[16:17], s[42:43], 2
	s_wait_loadcnt 0xd
	v_bfrev_b32_e32 v136, -2
	s_wait_alu 0xfffe
	v_add_co_u32 v36, vcc_lo, v116, s16
	s_wait_alu 0xfffd
	v_add_co_ci_u32_e64 v37, null, s17, v117, vcc_lo
	v_bfrev_b32_e32 v2, -2
	s_mov_b32 s15, exec_lo
	v_cmpx_gt_u32_e64 s54, v88
	s_cbranch_execz .LBB1434_979
; %bb.978:                              ;   in Loop: Header=BB1434_974 Depth=2
	global_load_b32 v2, v[36:37], off
.LBB1434_979:                           ;   in Loop: Header=BB1434_974 Depth=2
	s_wait_alu 0xfffe
	s_or_b32 exec_lo, exec_lo, s15
	s_delay_alu instid0(SALU_CYCLE_1)
	s_mov_b32 s15, exec_lo
	v_cmpx_gt_u32_e64 s54, v92
	s_cbranch_execz .LBB1434_981
; %bb.980:                              ;   in Loop: Header=BB1434_974 Depth=2
	global_load_b32 v136, v[36:37], off offset:128
.LBB1434_981:                           ;   in Loop: Header=BB1434_974 Depth=2
	s_wait_alu 0xfffe
	s_or_b32 exec_lo, exec_lo, s15
	s_wait_loadcnt 0xb
	v_bfrev_b32_e32 v147, -2
	v_bfrev_b32_e32 v143, -2
	s_mov_b32 s15, exec_lo
	v_cmpx_gt_u32_e64 s54, v93
	s_cbranch_execz .LBB1434_983
; %bb.982:                              ;   in Loop: Header=BB1434_974 Depth=2
	global_load_b32 v143, v[36:37], off offset:256
.LBB1434_983:                           ;   in Loop: Header=BB1434_974 Depth=2
	s_wait_alu 0xfffe
	s_or_b32 exec_lo, exec_lo, s15
	s_delay_alu instid0(SALU_CYCLE_1)
	s_mov_b32 s15, exec_lo
	v_cmpx_gt_u32_e64 s54, v94
	s_cbranch_execz .LBB1434_985
; %bb.984:                              ;   in Loop: Header=BB1434_974 Depth=2
	global_load_b32 v147, v[36:37], off offset:384
.LBB1434_985:                           ;   in Loop: Header=BB1434_974 Depth=2
	s_wait_alu 0xfffe
	s_or_b32 exec_lo, exec_lo, s15
	s_wait_loadcnt 0x9
	v_bfrev_b32_e32 v155, -2
	v_bfrev_b32_e32 v151, -2
	s_mov_b32 s15, exec_lo
	v_cmpx_gt_u32_e64 s54, v95
	s_cbranch_execz .LBB1434_987
; %bb.986:                              ;   in Loop: Header=BB1434_974 Depth=2
	global_load_b32 v151, v[36:37], off offset:512
.LBB1434_987:                           ;   in Loop: Header=BB1434_974 Depth=2
	s_wait_alu 0xfffe
	s_or_b32 exec_lo, exec_lo, s15
	s_delay_alu instid0(SALU_CYCLE_1)
	s_mov_b32 s15, exec_lo
	v_cmpx_gt_u32_e64 s54, v96
	s_cbranch_execz .LBB1434_989
; %bb.988:                              ;   in Loop: Header=BB1434_974 Depth=2
	global_load_b32 v155, v[36:37], off offset:640
.LBB1434_989:                           ;   in Loop: Header=BB1434_974 Depth=2
	s_wait_alu 0xfffe
	s_or_b32 exec_lo, exec_lo, s15
	s_wait_loadcnt 0x7
	v_bfrev_b32_e32 v163, -2
	v_bfrev_b32_e32 v159, -2
	s_mov_b32 s15, exec_lo
	v_cmpx_gt_u32_e64 s54, v97
	s_cbranch_execz .LBB1434_991
; %bb.990:                              ;   in Loop: Header=BB1434_974 Depth=2
	global_load_b32 v159, v[36:37], off offset:768
.LBB1434_991:                           ;   in Loop: Header=BB1434_974 Depth=2
	s_wait_alu 0xfffe
	s_or_b32 exec_lo, exec_lo, s15
	s_delay_alu instid0(SALU_CYCLE_1)
	s_mov_b32 s15, exec_lo
	v_cmpx_gt_u32_e64 s54, v98
	s_cbranch_execz .LBB1434_993
; %bb.992:                              ;   in Loop: Header=BB1434_974 Depth=2
	global_load_b32 v163, v[36:37], off offset:896
.LBB1434_993:                           ;   in Loop: Header=BB1434_974 Depth=2
	s_wait_alu 0xfffe
	s_or_b32 exec_lo, exec_lo, s15
	s_wait_loadcnt 0x5
	v_bfrev_b32_e32 v43, -2
	v_bfrev_b32_e32 v166, -2
	s_mov_b32 s15, exec_lo
	v_cmpx_gt_u32_e64 s54, v99
	s_cbranch_execz .LBB1434_995
; %bb.994:                              ;   in Loop: Header=BB1434_974 Depth=2
	global_load_b32 v166, v[36:37], off offset:1024
.LBB1434_995:                           ;   in Loop: Header=BB1434_974 Depth=2
	s_wait_alu 0xfffe
	s_or_b32 exec_lo, exec_lo, s15
	s_delay_alu instid0(SALU_CYCLE_1)
	s_mov_b32 s15, exec_lo
	v_cmpx_gt_u32_e64 s54, v100
	s_cbranch_execz .LBB1434_997
; %bb.996:                              ;   in Loop: Header=BB1434_974 Depth=2
	global_load_b32 v43, v[36:37], off offset:1152
.LBB1434_997:                           ;   in Loop: Header=BB1434_974 Depth=2
	s_wait_alu 0xfffe
	s_or_b32 exec_lo, exec_lo, s15
	s_wait_loadcnt 0x3
	v_bfrev_b32_e32 v41, -2
	v_bfrev_b32_e32 v42, -2
	s_mov_b32 s15, exec_lo
	v_cmpx_gt_u32_e64 s54, v101
	s_cbranch_execz .LBB1434_999
; %bb.998:                              ;   in Loop: Header=BB1434_974 Depth=2
	global_load_b32 v42, v[36:37], off offset:1280
.LBB1434_999:                           ;   in Loop: Header=BB1434_974 Depth=2
	s_wait_alu 0xfffe
	s_or_b32 exec_lo, exec_lo, s15
	s_delay_alu instid0(SALU_CYCLE_1)
	s_mov_b32 s15, exec_lo
	v_cmpx_gt_u32_e64 s54, v102
	s_cbranch_execz .LBB1434_1001
; %bb.1000:                             ;   in Loop: Header=BB1434_974 Depth=2
	global_load_b32 v41, v[36:37], off offset:1408
.LBB1434_1001:                          ;   in Loop: Header=BB1434_974 Depth=2
	s_wait_alu 0xfffe
	s_or_b32 exec_lo, exec_lo, s15
	s_wait_loadcnt 0x1
	v_bfrev_b32_e32 v39, -2
	v_bfrev_b32_e32 v40, -2
	s_mov_b32 s15, exec_lo
	v_cmpx_gt_u32_e64 s54, v103
	s_cbranch_execz .LBB1434_1003
; %bb.1002:                             ;   in Loop: Header=BB1434_974 Depth=2
	global_load_b32 v40, v[36:37], off offset:1536
.LBB1434_1003:                          ;   in Loop: Header=BB1434_974 Depth=2
	s_wait_alu 0xfffe
	s_or_b32 exec_lo, exec_lo, s15
	s_delay_alu instid0(SALU_CYCLE_1)
	s_mov_b32 s15, exec_lo
	v_cmpx_gt_u32_e64 s54, v104
	s_cbranch_execz .LBB1434_1005
; %bb.1004:                             ;   in Loop: Header=BB1434_974 Depth=2
	global_load_b32 v39, v[36:37], off offset:1664
.LBB1434_1005:                          ;   in Loop: Header=BB1434_974 Depth=2
	s_wait_alu 0xfffe
	s_or_b32 exec_lo, exec_lo, s15
	s_wait_loadcnt 0x0
	v_bfrev_b32_e32 v38, -2
	s_mov_b32 s15, exec_lo
	v_cmpx_gt_u32_e64 s54, v105
	s_cbranch_execz .LBB1434_1007
; %bb.1006:                             ;   in Loop: Header=BB1434_974 Depth=2
	global_load_b32 v38, v[36:37], off offset:1792
.LBB1434_1007:                          ;   in Loop: Header=BB1434_974 Depth=2
	s_wait_alu 0xfffe
	s_or_b32 exec_lo, exec_lo, s15
	v_cmp_gt_u32_e64 s15, s54, v106
	s_sub_co_i32 s16, s51, s42
.LBB1434_1008:                          ;   in Loop: Header=BB1434_974 Depth=2
	v_bfrev_b32_e32 v36, -2
	v_mov_b32_e32 v135, s54
	s_and_saveexec_b32 s17, s15
	s_cbranch_execz .LBB1434_1010
; %bb.1009:                             ;   in Loop: Header=BB1434_974 Depth=2
	s_lshl_b64 s[18:19], s[42:43], 2
	s_wait_alu 0xfffe
	v_mov_b32_e32 v135, s16
	v_add_co_u32 v36, vcc_lo, v116, s18
	s_wait_alu 0xfffd
	v_add_co_ci_u32_e64 v37, null, s19, v117, vcc_lo
	global_load_b32 v36, v[36:37], off offset:1920
.LBB1434_1010:                          ;   in Loop: Header=BB1434_974 Depth=2
	s_wait_alu 0xfffe
	s_or_b32 exec_lo, exec_lo, s17
	s_wait_loadcnt 0xe
	v_cmp_lt_i32_e32 vcc_lo, -1, v2
	s_wait_alu 0xfffd
	v_cndmask_b32_e64 v37, -1, 0x80000000, vcc_lo
	s_delay_alu instid0(VALU_DEP_1) | instskip(NEXT) | instid1(VALU_DEP_1)
	v_xor_b32_e32 v2, v37, v2
	v_cmp_ne_u32_e32 vcc_lo, 0x7fffffff, v2
	s_wait_alu 0xfffd
	v_cndmask_b32_e32 v37, 0x80000000, v2, vcc_lo
	s_delay_alu instid0(VALU_DEP_1) | instskip(NEXT) | instid1(VALU_DEP_1)
	v_lshrrev_b32_e32 v37, s49, v37
	v_and_b32_e32 v142, s48, v37
	s_delay_alu instid0(VALU_DEP_1)
	v_and_b32_e32 v37, 1, v142
	v_lshlrev_b32_e32 v137, 30, v142
	v_lshlrev_b32_e32 v138, 29, v142
	;; [unrolled: 1-line block ×4, first 2 shown]
	v_add_co_u32 v37, s15, v37, -1
	s_wait_alu 0xf1ff
	v_cndmask_b32_e64 v140, 0, 1, s15
	v_not_b32_e32 v146, v137
	v_cmp_gt_i32_e64 s15, 0, v137
	v_not_b32_e32 v137, v138
	v_lshlrev_b32_e32 v144, 26, v142
	v_cmp_ne_u32_e32 vcc_lo, 0, v140
	v_ashrrev_i32_e32 v146, 31, v146
	v_lshlrev_b32_e32 v145, 25, v142
	v_ashrrev_i32_e32 v137, 31, v137
	v_lshlrev_b32_e32 v140, 24, v142
	s_wait_alu 0xfffd
	v_xor_b32_e32 v37, vcc_lo, v37
	v_cmp_gt_i32_e32 vcc_lo, 0, v138
	v_not_b32_e32 v138, v139
	s_wait_alu 0xf1ff
	v_xor_b32_e32 v146, s15, v146
	v_cmp_gt_i32_e64 s15, 0, v139
	v_and_b32_e32 v37, exec_lo, v37
	v_not_b32_e32 v139, v141
	v_ashrrev_i32_e32 v138, 31, v138
	s_wait_alu 0xfffd
	v_xor_b32_e32 v137, vcc_lo, v137
	v_cmp_gt_i32_e32 vcc_lo, 0, v141
	v_and_b32_e32 v37, v37, v146
	v_not_b32_e32 v141, v144
	v_ashrrev_i32_e32 v139, 31, v139
	s_wait_alu 0xf1ff
	v_xor_b32_e32 v138, s15, v138
	v_cmp_gt_i32_e64 s15, 0, v144
	v_and_b32_e32 v37, v37, v137
	v_not_b32_e32 v137, v145
	v_ashrrev_i32_e32 v141, 31, v141
	s_wait_alu 0xfffd
	v_xor_b32_e32 v139, vcc_lo, v139
	v_cmp_gt_i32_e32 vcc_lo, 0, v145
	v_and_b32_e32 v37, v37, v138
	v_not_b32_e32 v138, v140
	v_ashrrev_i32_e32 v137, 31, v137
	s_wait_alu 0xf1ff
	v_xor_b32_e32 v141, s15, v141
	v_cmp_gt_i32_e64 s15, 0, v140
	v_and_b32_e32 v37, v37, v139
	v_ashrrev_i32_e32 v138, 31, v138
	s_wait_alu 0xfffd
	v_xor_b32_e32 v137, vcc_lo, v137
	v_mul_u32_u24_e32 v142, 36, v142
	v_add_nc_u32_e32 v140, 0x428, v67
	v_and_b32_e32 v37, v37, v141
	s_wait_alu 0xf1ff
	v_xor_b32_e32 v139, s15, v138
	v_add_nc_u32_e32 v138, 0x438, v67
	v_add_nc_u32_e32 v141, 0x430, v67
	;; [unrolled: 1-line block ×3, first 2 shown]
	v_and_b32_e32 v37, v37, v137
	ds_store_2addr_b32 v138, v3, v3 offset1:1
	v_and_b32_e32 v37, v37, v139
	v_add_nc_u32_e32 v139, 0x420, v67
	ds_store_2addr_b32 v139, v3, v3 offset1:1
	ds_store_2addr_b32 v140, v3, v3 offset1:1
	;; [unrolled: 1-line block ×3, first 2 shown]
	ds_store_b32 v67, v3 offset:1088
	v_mbcnt_lo_u32_b32 v137, v37, 0
	v_cmp_ne_u32_e64 s15, 0, v37
	s_wait_loadcnt_dscnt 0x0
	s_barrier_signal -1
	s_barrier_wait -1
	v_cmp_eq_u32_e32 vcc_lo, 0, v137
	global_inv scope:SCOPE_SE
	; wave barrier
	s_and_b32 s16, s15, vcc_lo
	s_wait_alu 0xfffe
	s_and_saveexec_b32 s15, s16
; %bb.1011:                             ;   in Loop: Header=BB1434_974 Depth=2
	v_bcnt_u32_b32 v37, v37, 0
	ds_store_b32 v142, v37 offset:1056
; %bb.1012:                             ;   in Loop: Header=BB1434_974 Depth=2
	s_wait_alu 0xfffe
	s_or_b32 exec_lo, exec_lo, s15
	v_cmp_lt_i32_e32 vcc_lo, -1, v136
	; wave barrier
	s_wait_alu 0xfffd
	v_cndmask_b32_e64 v37, -1, 0x80000000, vcc_lo
	s_delay_alu instid0(VALU_DEP_1) | instskip(NEXT) | instid1(VALU_DEP_1)
	v_xor_b32_e32 v136, v37, v136
	v_cmp_ne_u32_e32 vcc_lo, 0x7fffffff, v136
	s_wait_alu 0xfffd
	v_cndmask_b32_e32 v37, 0x80000000, v136, vcc_lo
	s_delay_alu instid0(VALU_DEP_1) | instskip(NEXT) | instid1(VALU_DEP_1)
	v_lshrrev_b32_e32 v37, s49, v37
	v_and_b32_e32 v146, s48, v37
	s_delay_alu instid0(VALU_DEP_1)
	v_and_b32_e32 v37, 1, v146
	v_lshlrev_b32_e32 v144, 30, v146
	v_lshlrev_b32_e32 v145, 29, v146
	;; [unrolled: 1-line block ×4, first 2 shown]
	v_add_co_u32 v37, s15, v37, -1
	s_wait_alu 0xf1ff
	v_cndmask_b32_e64 v149, 0, 1, s15
	v_not_b32_e32 v154, v144
	v_cmp_gt_i32_e64 s15, 0, v144
	v_not_b32_e32 v144, v145
	v_lshlrev_b32_e32 v152, 26, v146
	v_cmp_ne_u32_e32 vcc_lo, 0, v149
	v_ashrrev_i32_e32 v154, 31, v154
	v_lshlrev_b32_e32 v153, 25, v146
	v_ashrrev_i32_e32 v144, 31, v144
	v_lshlrev_b32_e32 v149, 24, v146
	s_wait_alu 0xfffd
	v_xor_b32_e32 v37, vcc_lo, v37
	v_cmp_gt_i32_e32 vcc_lo, 0, v145
	v_not_b32_e32 v145, v148
	s_wait_alu 0xf1ff
	v_xor_b32_e32 v154, s15, v154
	v_cmp_gt_i32_e64 s15, 0, v148
	v_and_b32_e32 v37, exec_lo, v37
	v_not_b32_e32 v148, v150
	v_ashrrev_i32_e32 v145, 31, v145
	s_wait_alu 0xfffd
	v_xor_b32_e32 v144, vcc_lo, v144
	v_cmp_gt_i32_e32 vcc_lo, 0, v150
	v_and_b32_e32 v37, v37, v154
	v_not_b32_e32 v150, v152
	v_ashrrev_i32_e32 v148, 31, v148
	s_wait_alu 0xf1ff
	v_xor_b32_e32 v145, s15, v145
	v_cmp_gt_i32_e64 s15, 0, v152
	v_and_b32_e32 v37, v37, v144
	v_not_b32_e32 v144, v153
	v_ashrrev_i32_e32 v150, 31, v150
	s_wait_alu 0xfffd
	v_xor_b32_e32 v148, vcc_lo, v148
	v_cmp_gt_i32_e32 vcc_lo, 0, v153
	v_and_b32_e32 v37, v37, v145
	v_not_b32_e32 v145, v149
	v_ashrrev_i32_e32 v144, 31, v144
	s_wait_alu 0xf1ff
	v_xor_b32_e32 v150, s15, v150
	v_cmp_gt_i32_e64 s15, 0, v149
	v_and_b32_e32 v37, v37, v148
	v_ashrrev_i32_e32 v145, 31, v145
	s_wait_alu 0xfffd
	v_xor_b32_e32 v144, vcc_lo, v144
	v_mad_u32_u24 v148, v146, 36, v118
	v_mul_u32_u24_e32 v146, 36, v146
	v_and_b32_e32 v37, v37, v150
	s_wait_alu 0xf1ff
	v_xor_b32_e32 v145, s15, v145
	s_delay_alu instid0(VALU_DEP_3) | instskip(NEXT) | instid1(VALU_DEP_3)
	v_add_nc_u32_e32 v146, v118, v146
	v_and_b32_e32 v37, v37, v144
	ds_load_b32 v144, v148 offset:1056
	; wave barrier
	v_and_b32_e32 v37, v37, v145
	s_delay_alu instid0(VALU_DEP_1) | instskip(SKIP_1) | instid1(VALU_DEP_2)
	v_mbcnt_lo_u32_b32 v145, v37, 0
	v_cmp_ne_u32_e64 s15, 0, v37
	v_cmp_eq_u32_e32 vcc_lo, 0, v145
	s_and_b32 s16, s15, vcc_lo
	s_wait_alu 0xfffe
	s_and_saveexec_b32 s15, s16
	s_cbranch_execz .LBB1434_1014
; %bb.1013:                             ;   in Loop: Header=BB1434_974 Depth=2
	s_wait_dscnt 0x0
	v_bcnt_u32_b32 v37, v37, v144
	ds_store_b32 v146, v37 offset:1056
.LBB1434_1014:                          ;   in Loop: Header=BB1434_974 Depth=2
	s_wait_alu 0xfffe
	s_or_b32 exec_lo, exec_lo, s15
	v_cmp_lt_i32_e32 vcc_lo, -1, v143
	; wave barrier
	s_wait_alu 0xfffd
	v_cndmask_b32_e64 v37, -1, 0x80000000, vcc_lo
	s_delay_alu instid0(VALU_DEP_1) | instskip(NEXT) | instid1(VALU_DEP_1)
	v_xor_b32_e32 v143, v37, v143
	v_cmp_ne_u32_e32 vcc_lo, 0x7fffffff, v143
	s_wait_alu 0xfffd
	v_cndmask_b32_e32 v37, 0x80000000, v143, vcc_lo
	s_delay_alu instid0(VALU_DEP_1) | instskip(NEXT) | instid1(VALU_DEP_1)
	v_lshrrev_b32_e32 v37, s49, v37
	v_and_b32_e32 v150, s48, v37
	s_delay_alu instid0(VALU_DEP_1)
	v_and_b32_e32 v37, 1, v150
	v_lshlrev_b32_e32 v148, 30, v150
	v_lshlrev_b32_e32 v149, 29, v150
	;; [unrolled: 1-line block ×4, first 2 shown]
	v_add_co_u32 v37, s15, v37, -1
	s_wait_alu 0xf1ff
	v_cndmask_b32_e64 v153, 0, 1, s15
	v_not_b32_e32 v158, v148
	v_cmp_gt_i32_e64 s15, 0, v148
	v_not_b32_e32 v148, v149
	v_lshlrev_b32_e32 v156, 26, v150
	v_cmp_ne_u32_e32 vcc_lo, 0, v153
	v_ashrrev_i32_e32 v158, 31, v158
	v_lshlrev_b32_e32 v157, 25, v150
	v_ashrrev_i32_e32 v148, 31, v148
	v_lshlrev_b32_e32 v153, 24, v150
	s_wait_alu 0xfffd
	v_xor_b32_e32 v37, vcc_lo, v37
	v_cmp_gt_i32_e32 vcc_lo, 0, v149
	v_not_b32_e32 v149, v152
	s_wait_alu 0xf1ff
	v_xor_b32_e32 v158, s15, v158
	v_cmp_gt_i32_e64 s15, 0, v152
	v_and_b32_e32 v37, exec_lo, v37
	v_not_b32_e32 v152, v154
	v_ashrrev_i32_e32 v149, 31, v149
	s_wait_alu 0xfffd
	v_xor_b32_e32 v148, vcc_lo, v148
	v_cmp_gt_i32_e32 vcc_lo, 0, v154
	v_and_b32_e32 v37, v37, v158
	v_not_b32_e32 v154, v156
	v_ashrrev_i32_e32 v152, 31, v152
	s_wait_alu 0xf1ff
	v_xor_b32_e32 v149, s15, v149
	v_cmp_gt_i32_e64 s15, 0, v156
	v_and_b32_e32 v37, v37, v148
	v_not_b32_e32 v148, v157
	v_ashrrev_i32_e32 v154, 31, v154
	s_wait_alu 0xfffd
	v_xor_b32_e32 v152, vcc_lo, v152
	v_cmp_gt_i32_e32 vcc_lo, 0, v157
	v_and_b32_e32 v37, v37, v149
	v_not_b32_e32 v149, v153
	v_ashrrev_i32_e32 v148, 31, v148
	s_wait_alu 0xf1ff
	v_xor_b32_e32 v154, s15, v154
	v_cmp_gt_i32_e64 s15, 0, v153
	v_and_b32_e32 v37, v37, v152
	v_ashrrev_i32_e32 v149, 31, v149
	s_wait_alu 0xfffd
	v_xor_b32_e32 v148, vcc_lo, v148
	v_mad_u32_u24 v152, v150, 36, v118
	v_mul_u32_u24_e32 v150, 36, v150
	v_and_b32_e32 v37, v37, v154
	s_wait_alu 0xf1ff
	v_xor_b32_e32 v149, s15, v149
	s_delay_alu instid0(VALU_DEP_3) | instskip(NEXT) | instid1(VALU_DEP_3)
	v_add_nc_u32_e32 v150, v118, v150
	v_and_b32_e32 v37, v37, v148
	ds_load_b32 v148, v152 offset:1056
	; wave barrier
	v_and_b32_e32 v37, v37, v149
	s_delay_alu instid0(VALU_DEP_1) | instskip(SKIP_1) | instid1(VALU_DEP_2)
	v_mbcnt_lo_u32_b32 v149, v37, 0
	v_cmp_ne_u32_e64 s15, 0, v37
	v_cmp_eq_u32_e32 vcc_lo, 0, v149
	s_and_b32 s16, s15, vcc_lo
	s_wait_alu 0xfffe
	s_and_saveexec_b32 s15, s16
	s_cbranch_execz .LBB1434_1016
; %bb.1015:                             ;   in Loop: Header=BB1434_974 Depth=2
	s_wait_dscnt 0x0
	v_bcnt_u32_b32 v37, v37, v148
	ds_store_b32 v150, v37 offset:1056
.LBB1434_1016:                          ;   in Loop: Header=BB1434_974 Depth=2
	s_wait_alu 0xfffe
	s_or_b32 exec_lo, exec_lo, s15
	v_cmp_lt_i32_e32 vcc_lo, -1, v147
	; wave barrier
	s_wait_alu 0xfffd
	v_cndmask_b32_e64 v37, -1, 0x80000000, vcc_lo
	s_delay_alu instid0(VALU_DEP_1) | instskip(NEXT) | instid1(VALU_DEP_1)
	v_xor_b32_e32 v147, v37, v147
	v_cmp_ne_u32_e32 vcc_lo, 0x7fffffff, v147
	s_wait_alu 0xfffd
	v_cndmask_b32_e32 v37, 0x80000000, v147, vcc_lo
	s_delay_alu instid0(VALU_DEP_1) | instskip(NEXT) | instid1(VALU_DEP_1)
	v_lshrrev_b32_e32 v37, s49, v37
	v_and_b32_e32 v154, s48, v37
	s_delay_alu instid0(VALU_DEP_1)
	v_and_b32_e32 v37, 1, v154
	v_lshlrev_b32_e32 v152, 30, v154
	v_lshlrev_b32_e32 v153, 29, v154
	;; [unrolled: 1-line block ×4, first 2 shown]
	v_add_co_u32 v37, s15, v37, -1
	s_wait_alu 0xf1ff
	v_cndmask_b32_e64 v157, 0, 1, s15
	v_not_b32_e32 v162, v152
	v_cmp_gt_i32_e64 s15, 0, v152
	v_not_b32_e32 v152, v153
	v_lshlrev_b32_e32 v160, 26, v154
	v_cmp_ne_u32_e32 vcc_lo, 0, v157
	v_ashrrev_i32_e32 v162, 31, v162
	v_lshlrev_b32_e32 v161, 25, v154
	v_ashrrev_i32_e32 v152, 31, v152
	v_lshlrev_b32_e32 v157, 24, v154
	s_wait_alu 0xfffd
	v_xor_b32_e32 v37, vcc_lo, v37
	v_cmp_gt_i32_e32 vcc_lo, 0, v153
	v_not_b32_e32 v153, v156
	s_wait_alu 0xf1ff
	v_xor_b32_e32 v162, s15, v162
	v_cmp_gt_i32_e64 s15, 0, v156
	v_and_b32_e32 v37, exec_lo, v37
	v_not_b32_e32 v156, v158
	v_ashrrev_i32_e32 v153, 31, v153
	s_wait_alu 0xfffd
	v_xor_b32_e32 v152, vcc_lo, v152
	v_cmp_gt_i32_e32 vcc_lo, 0, v158
	v_and_b32_e32 v37, v37, v162
	v_not_b32_e32 v158, v160
	v_ashrrev_i32_e32 v156, 31, v156
	s_wait_alu 0xf1ff
	v_xor_b32_e32 v153, s15, v153
	v_cmp_gt_i32_e64 s15, 0, v160
	v_and_b32_e32 v37, v37, v152
	v_not_b32_e32 v152, v161
	v_ashrrev_i32_e32 v158, 31, v158
	s_wait_alu 0xfffd
	v_xor_b32_e32 v156, vcc_lo, v156
	v_cmp_gt_i32_e32 vcc_lo, 0, v161
	v_and_b32_e32 v37, v37, v153
	v_not_b32_e32 v153, v157
	v_ashrrev_i32_e32 v152, 31, v152
	s_wait_alu 0xf1ff
	v_xor_b32_e32 v158, s15, v158
	v_cmp_gt_i32_e64 s15, 0, v157
	v_and_b32_e32 v37, v37, v156
	v_ashrrev_i32_e32 v153, 31, v153
	s_wait_alu 0xfffd
	v_xor_b32_e32 v152, vcc_lo, v152
	v_mad_u32_u24 v156, v154, 36, v118
	v_mul_u32_u24_e32 v154, 36, v154
	v_and_b32_e32 v37, v37, v158
	s_wait_alu 0xf1ff
	v_xor_b32_e32 v153, s15, v153
	s_delay_alu instid0(VALU_DEP_3) | instskip(NEXT) | instid1(VALU_DEP_3)
	v_add_nc_u32_e32 v154, v118, v154
	v_and_b32_e32 v37, v37, v152
	ds_load_b32 v152, v156 offset:1056
	; wave barrier
	v_and_b32_e32 v37, v37, v153
	s_delay_alu instid0(VALU_DEP_1) | instskip(SKIP_1) | instid1(VALU_DEP_2)
	v_mbcnt_lo_u32_b32 v153, v37, 0
	v_cmp_ne_u32_e64 s15, 0, v37
	v_cmp_eq_u32_e32 vcc_lo, 0, v153
	s_and_b32 s16, s15, vcc_lo
	s_wait_alu 0xfffe
	s_and_saveexec_b32 s15, s16
	s_cbranch_execz .LBB1434_1018
; %bb.1017:                             ;   in Loop: Header=BB1434_974 Depth=2
	s_wait_dscnt 0x0
	v_bcnt_u32_b32 v37, v37, v152
	ds_store_b32 v154, v37 offset:1056
.LBB1434_1018:                          ;   in Loop: Header=BB1434_974 Depth=2
	s_wait_alu 0xfffe
	s_or_b32 exec_lo, exec_lo, s15
	v_cmp_lt_i32_e32 vcc_lo, -1, v151
	; wave barrier
	s_wait_alu 0xfffd
	v_cndmask_b32_e64 v37, -1, 0x80000000, vcc_lo
	s_delay_alu instid0(VALU_DEP_1) | instskip(NEXT) | instid1(VALU_DEP_1)
	v_xor_b32_e32 v151, v37, v151
	v_cmp_ne_u32_e32 vcc_lo, 0x7fffffff, v151
	s_wait_alu 0xfffd
	v_cndmask_b32_e32 v37, 0x80000000, v151, vcc_lo
	s_delay_alu instid0(VALU_DEP_1) | instskip(NEXT) | instid1(VALU_DEP_1)
	v_lshrrev_b32_e32 v37, s49, v37
	v_and_b32_e32 v158, s48, v37
	s_delay_alu instid0(VALU_DEP_1)
	v_and_b32_e32 v37, 1, v158
	v_lshlrev_b32_e32 v156, 30, v158
	v_lshlrev_b32_e32 v157, 29, v158
	;; [unrolled: 1-line block ×4, first 2 shown]
	v_add_co_u32 v37, s15, v37, -1
	s_wait_alu 0xf1ff
	v_cndmask_b32_e64 v161, 0, 1, s15
	v_not_b32_e32 v167, v156
	v_cmp_gt_i32_e64 s15, 0, v156
	v_not_b32_e32 v156, v157
	v_lshlrev_b32_e32 v164, 26, v158
	v_cmp_ne_u32_e32 vcc_lo, 0, v161
	v_ashrrev_i32_e32 v167, 31, v167
	v_lshlrev_b32_e32 v165, 25, v158
	v_ashrrev_i32_e32 v156, 31, v156
	v_lshlrev_b32_e32 v161, 24, v158
	s_wait_alu 0xfffd
	v_xor_b32_e32 v37, vcc_lo, v37
	v_cmp_gt_i32_e32 vcc_lo, 0, v157
	v_not_b32_e32 v157, v160
	s_wait_alu 0xf1ff
	v_xor_b32_e32 v167, s15, v167
	v_cmp_gt_i32_e64 s15, 0, v160
	v_and_b32_e32 v37, exec_lo, v37
	v_not_b32_e32 v160, v162
	v_ashrrev_i32_e32 v157, 31, v157
	s_wait_alu 0xfffd
	v_xor_b32_e32 v156, vcc_lo, v156
	v_cmp_gt_i32_e32 vcc_lo, 0, v162
	v_and_b32_e32 v37, v37, v167
	v_not_b32_e32 v162, v164
	v_ashrrev_i32_e32 v160, 31, v160
	s_wait_alu 0xf1ff
	v_xor_b32_e32 v157, s15, v157
	v_cmp_gt_i32_e64 s15, 0, v164
	v_and_b32_e32 v37, v37, v156
	v_not_b32_e32 v156, v165
	v_ashrrev_i32_e32 v162, 31, v162
	s_wait_alu 0xfffd
	v_xor_b32_e32 v160, vcc_lo, v160
	v_cmp_gt_i32_e32 vcc_lo, 0, v165
	v_and_b32_e32 v37, v37, v157
	v_not_b32_e32 v157, v161
	v_ashrrev_i32_e32 v156, 31, v156
	s_wait_alu 0xf1ff
	v_xor_b32_e32 v162, s15, v162
	v_cmp_gt_i32_e64 s15, 0, v161
	v_and_b32_e32 v37, v37, v160
	v_ashrrev_i32_e32 v157, 31, v157
	s_wait_alu 0xfffd
	v_xor_b32_e32 v156, vcc_lo, v156
	v_mad_u32_u24 v160, v158, 36, v118
	v_mul_u32_u24_e32 v158, 36, v158
	v_and_b32_e32 v37, v37, v162
	s_wait_alu 0xf1ff
	v_xor_b32_e32 v157, s15, v157
	s_delay_alu instid0(VALU_DEP_3) | instskip(NEXT) | instid1(VALU_DEP_3)
	v_add_nc_u32_e32 v158, v118, v158
	v_and_b32_e32 v37, v37, v156
	ds_load_b32 v156, v160 offset:1056
	; wave barrier
	v_and_b32_e32 v37, v37, v157
	s_delay_alu instid0(VALU_DEP_1) | instskip(SKIP_1) | instid1(VALU_DEP_2)
	v_mbcnt_lo_u32_b32 v157, v37, 0
	v_cmp_ne_u32_e64 s15, 0, v37
	v_cmp_eq_u32_e32 vcc_lo, 0, v157
	s_and_b32 s16, s15, vcc_lo
	s_wait_alu 0xfffe
	s_and_saveexec_b32 s15, s16
	s_cbranch_execz .LBB1434_1020
; %bb.1019:                             ;   in Loop: Header=BB1434_974 Depth=2
	s_wait_dscnt 0x0
	v_bcnt_u32_b32 v37, v37, v156
	ds_store_b32 v158, v37 offset:1056
.LBB1434_1020:                          ;   in Loop: Header=BB1434_974 Depth=2
	s_wait_alu 0xfffe
	s_or_b32 exec_lo, exec_lo, s15
	v_cmp_lt_i32_e32 vcc_lo, -1, v155
	; wave barrier
	s_wait_alu 0xfffd
	v_cndmask_b32_e64 v37, -1, 0x80000000, vcc_lo
	s_delay_alu instid0(VALU_DEP_1) | instskip(NEXT) | instid1(VALU_DEP_1)
	v_xor_b32_e32 v155, v37, v155
	v_cmp_ne_u32_e32 vcc_lo, 0x7fffffff, v155
	s_wait_alu 0xfffd
	v_cndmask_b32_e32 v37, 0x80000000, v155, vcc_lo
	s_delay_alu instid0(VALU_DEP_1) | instskip(NEXT) | instid1(VALU_DEP_1)
	v_lshrrev_b32_e32 v37, s49, v37
	v_and_b32_e32 v162, s48, v37
	s_delay_alu instid0(VALU_DEP_1)
	v_and_b32_e32 v37, 1, v162
	v_lshlrev_b32_e32 v160, 30, v162
	v_lshlrev_b32_e32 v161, 29, v162
	;; [unrolled: 1-line block ×4, first 2 shown]
	v_add_co_u32 v37, s15, v37, -1
	s_wait_alu 0xf1ff
	v_cndmask_b32_e64 v165, 0, 1, s15
	v_not_b32_e32 v170, v160
	v_cmp_gt_i32_e64 s15, 0, v160
	v_not_b32_e32 v160, v161
	v_lshlrev_b32_e32 v168, 26, v162
	v_cmp_ne_u32_e32 vcc_lo, 0, v165
	v_ashrrev_i32_e32 v170, 31, v170
	v_lshlrev_b32_e32 v169, 25, v162
	v_ashrrev_i32_e32 v160, 31, v160
	v_lshlrev_b32_e32 v165, 24, v162
	s_wait_alu 0xfffd
	v_xor_b32_e32 v37, vcc_lo, v37
	v_cmp_gt_i32_e32 vcc_lo, 0, v161
	v_not_b32_e32 v161, v164
	s_wait_alu 0xf1ff
	v_xor_b32_e32 v170, s15, v170
	v_cmp_gt_i32_e64 s15, 0, v164
	v_and_b32_e32 v37, exec_lo, v37
	v_not_b32_e32 v164, v167
	v_ashrrev_i32_e32 v161, 31, v161
	s_wait_alu 0xfffd
	v_xor_b32_e32 v160, vcc_lo, v160
	v_cmp_gt_i32_e32 vcc_lo, 0, v167
	v_and_b32_e32 v37, v37, v170
	v_not_b32_e32 v167, v168
	v_ashrrev_i32_e32 v164, 31, v164
	s_wait_alu 0xf1ff
	v_xor_b32_e32 v161, s15, v161
	v_cmp_gt_i32_e64 s15, 0, v168
	v_and_b32_e32 v37, v37, v160
	v_not_b32_e32 v160, v169
	v_ashrrev_i32_e32 v167, 31, v167
	s_wait_alu 0xfffd
	v_xor_b32_e32 v164, vcc_lo, v164
	v_cmp_gt_i32_e32 vcc_lo, 0, v169
	v_and_b32_e32 v37, v37, v161
	v_not_b32_e32 v161, v165
	v_ashrrev_i32_e32 v160, 31, v160
	s_wait_alu 0xf1ff
	v_xor_b32_e32 v167, s15, v167
	v_cmp_gt_i32_e64 s15, 0, v165
	v_and_b32_e32 v37, v37, v164
	v_ashrrev_i32_e32 v161, 31, v161
	s_wait_alu 0xfffd
	v_xor_b32_e32 v160, vcc_lo, v160
	v_mad_u32_u24 v164, v162, 36, v118
	v_mul_u32_u24_e32 v162, 36, v162
	v_and_b32_e32 v37, v37, v167
	s_wait_alu 0xf1ff
	v_xor_b32_e32 v161, s15, v161
	s_delay_alu instid0(VALU_DEP_3) | instskip(NEXT) | instid1(VALU_DEP_3)
	v_add_nc_u32_e32 v162, v118, v162
	v_and_b32_e32 v37, v37, v160
	ds_load_b32 v160, v164 offset:1056
	; wave barrier
	v_and_b32_e32 v37, v37, v161
	s_delay_alu instid0(VALU_DEP_1) | instskip(SKIP_1) | instid1(VALU_DEP_2)
	v_mbcnt_lo_u32_b32 v161, v37, 0
	v_cmp_ne_u32_e64 s15, 0, v37
	v_cmp_eq_u32_e32 vcc_lo, 0, v161
	s_and_b32 s16, s15, vcc_lo
	s_wait_alu 0xfffe
	s_and_saveexec_b32 s15, s16
	s_cbranch_execz .LBB1434_1022
; %bb.1021:                             ;   in Loop: Header=BB1434_974 Depth=2
	s_wait_dscnt 0x0
	v_bcnt_u32_b32 v37, v37, v160
	ds_store_b32 v162, v37 offset:1056
.LBB1434_1022:                          ;   in Loop: Header=BB1434_974 Depth=2
	s_wait_alu 0xfffe
	s_or_b32 exec_lo, exec_lo, s15
	v_cmp_lt_i32_e32 vcc_lo, -1, v159
	; wave barrier
	s_wait_alu 0xfffd
	v_cndmask_b32_e64 v37, -1, 0x80000000, vcc_lo
	s_delay_alu instid0(VALU_DEP_1) | instskip(NEXT) | instid1(VALU_DEP_1)
	v_xor_b32_e32 v159, v37, v159
	v_cmp_ne_u32_e32 vcc_lo, 0x7fffffff, v159
	s_wait_alu 0xfffd
	v_cndmask_b32_e32 v37, 0x80000000, v159, vcc_lo
	s_delay_alu instid0(VALU_DEP_1) | instskip(NEXT) | instid1(VALU_DEP_1)
	v_lshrrev_b32_e32 v37, s49, v37
	v_and_b32_e32 v167, s48, v37
	s_delay_alu instid0(VALU_DEP_1)
	v_and_b32_e32 v37, 1, v167
	v_lshlrev_b32_e32 v164, 30, v167
	v_lshlrev_b32_e32 v165, 29, v167
	;; [unrolled: 1-line block ×4, first 2 shown]
	v_add_co_u32 v37, s15, v37, -1
	s_wait_alu 0xf1ff
	v_cndmask_b32_e64 v169, 0, 1, s15
	v_not_b32_e32 v173, v164
	v_cmp_gt_i32_e64 s15, 0, v164
	v_not_b32_e32 v164, v165
	v_lshlrev_b32_e32 v171, 26, v167
	v_cmp_ne_u32_e32 vcc_lo, 0, v169
	v_ashrrev_i32_e32 v173, 31, v173
	v_lshlrev_b32_e32 v172, 25, v167
	v_ashrrev_i32_e32 v164, 31, v164
	v_lshlrev_b32_e32 v169, 24, v167
	s_wait_alu 0xfffd
	v_xor_b32_e32 v37, vcc_lo, v37
	v_cmp_gt_i32_e32 vcc_lo, 0, v165
	v_not_b32_e32 v165, v168
	s_wait_alu 0xf1ff
	v_xor_b32_e32 v173, s15, v173
	v_cmp_gt_i32_e64 s15, 0, v168
	v_and_b32_e32 v37, exec_lo, v37
	v_not_b32_e32 v168, v170
	v_ashrrev_i32_e32 v165, 31, v165
	s_wait_alu 0xfffd
	v_xor_b32_e32 v164, vcc_lo, v164
	v_cmp_gt_i32_e32 vcc_lo, 0, v170
	v_and_b32_e32 v37, v37, v173
	v_not_b32_e32 v170, v171
	v_ashrrev_i32_e32 v168, 31, v168
	s_wait_alu 0xf1ff
	v_xor_b32_e32 v165, s15, v165
	v_cmp_gt_i32_e64 s15, 0, v171
	v_and_b32_e32 v37, v37, v164
	v_not_b32_e32 v164, v172
	v_ashrrev_i32_e32 v170, 31, v170
	s_wait_alu 0xfffd
	v_xor_b32_e32 v168, vcc_lo, v168
	v_cmp_gt_i32_e32 vcc_lo, 0, v172
	v_and_b32_e32 v37, v37, v165
	v_not_b32_e32 v165, v169
	v_ashrrev_i32_e32 v164, 31, v164
	s_wait_alu 0xf1ff
	v_xor_b32_e32 v170, s15, v170
	v_cmp_gt_i32_e64 s15, 0, v169
	v_and_b32_e32 v37, v37, v168
	v_ashrrev_i32_e32 v165, 31, v165
	s_wait_alu 0xfffd
	v_xor_b32_e32 v164, vcc_lo, v164
	v_mad_u32_u24 v168, v167, 36, v118
	v_mul_u32_u24_e32 v167, 36, v167
	v_and_b32_e32 v37, v37, v170
	s_wait_alu 0xf1ff
	v_xor_b32_e32 v165, s15, v165
	s_delay_alu instid0(VALU_DEP_3) | instskip(NEXT) | instid1(VALU_DEP_3)
	v_add_nc_u32_e32 v167, v118, v167
	v_and_b32_e32 v37, v37, v164
	ds_load_b32 v164, v168 offset:1056
	; wave barrier
	v_and_b32_e32 v37, v37, v165
	s_delay_alu instid0(VALU_DEP_1) | instskip(SKIP_1) | instid1(VALU_DEP_2)
	v_mbcnt_lo_u32_b32 v165, v37, 0
	v_cmp_ne_u32_e64 s15, 0, v37
	v_cmp_eq_u32_e32 vcc_lo, 0, v165
	s_and_b32 s16, s15, vcc_lo
	s_wait_alu 0xfffe
	s_and_saveexec_b32 s15, s16
	s_cbranch_execz .LBB1434_1024
; %bb.1023:                             ;   in Loop: Header=BB1434_974 Depth=2
	s_wait_dscnt 0x0
	v_bcnt_u32_b32 v37, v37, v164
	ds_store_b32 v167, v37 offset:1056
.LBB1434_1024:                          ;   in Loop: Header=BB1434_974 Depth=2
	s_wait_alu 0xfffe
	s_or_b32 exec_lo, exec_lo, s15
	v_cmp_lt_i32_e32 vcc_lo, -1, v163
	; wave barrier
	s_wait_alu 0xfffd
	v_cndmask_b32_e64 v37, -1, 0x80000000, vcc_lo
	s_delay_alu instid0(VALU_DEP_1) | instskip(NEXT) | instid1(VALU_DEP_1)
	v_xor_b32_e32 v163, v37, v163
	v_cmp_ne_u32_e32 vcc_lo, 0x7fffffff, v163
	s_wait_alu 0xfffd
	v_cndmask_b32_e32 v37, 0x80000000, v163, vcc_lo
	s_delay_alu instid0(VALU_DEP_1) | instskip(NEXT) | instid1(VALU_DEP_1)
	v_lshrrev_b32_e32 v37, s49, v37
	v_and_b32_e32 v170, s48, v37
	s_delay_alu instid0(VALU_DEP_1)
	v_and_b32_e32 v37, 1, v170
	v_lshlrev_b32_e32 v168, 30, v170
	v_lshlrev_b32_e32 v169, 29, v170
	v_lshlrev_b32_e32 v171, 28, v170
	v_lshlrev_b32_e32 v173, 27, v170
	v_add_co_u32 v37, s15, v37, -1
	s_wait_alu 0xf1ff
	v_cndmask_b32_e64 v172, 0, 1, s15
	v_not_b32_e32 v176, v168
	v_cmp_gt_i32_e64 s15, 0, v168
	v_not_b32_e32 v168, v169
	v_lshlrev_b32_e32 v174, 26, v170
	v_cmp_ne_u32_e32 vcc_lo, 0, v172
	v_ashrrev_i32_e32 v176, 31, v176
	v_lshlrev_b32_e32 v175, 25, v170
	v_ashrrev_i32_e32 v168, 31, v168
	v_lshlrev_b32_e32 v172, 24, v170
	s_wait_alu 0xfffd
	v_xor_b32_e32 v37, vcc_lo, v37
	v_cmp_gt_i32_e32 vcc_lo, 0, v169
	v_not_b32_e32 v169, v171
	s_wait_alu 0xf1ff
	v_xor_b32_e32 v176, s15, v176
	v_cmp_gt_i32_e64 s15, 0, v171
	v_and_b32_e32 v37, exec_lo, v37
	v_not_b32_e32 v171, v173
	v_ashrrev_i32_e32 v169, 31, v169
	s_wait_alu 0xfffd
	v_xor_b32_e32 v168, vcc_lo, v168
	v_cmp_gt_i32_e32 vcc_lo, 0, v173
	v_and_b32_e32 v37, v37, v176
	v_not_b32_e32 v173, v174
	v_ashrrev_i32_e32 v171, 31, v171
	s_wait_alu 0xf1ff
	v_xor_b32_e32 v169, s15, v169
	v_cmp_gt_i32_e64 s15, 0, v174
	v_and_b32_e32 v37, v37, v168
	v_not_b32_e32 v168, v175
	v_ashrrev_i32_e32 v173, 31, v173
	s_wait_alu 0xfffd
	v_xor_b32_e32 v171, vcc_lo, v171
	v_cmp_gt_i32_e32 vcc_lo, 0, v175
	v_and_b32_e32 v37, v37, v169
	v_not_b32_e32 v169, v172
	v_ashrrev_i32_e32 v168, 31, v168
	s_wait_alu 0xf1ff
	v_xor_b32_e32 v173, s15, v173
	v_cmp_gt_i32_e64 s15, 0, v172
	v_and_b32_e32 v37, v37, v171
	v_ashrrev_i32_e32 v169, 31, v169
	s_wait_alu 0xfffd
	v_xor_b32_e32 v168, vcc_lo, v168
	v_mad_u32_u24 v171, v170, 36, v118
	v_mul_u32_u24_e32 v170, 36, v170
	v_and_b32_e32 v37, v37, v173
	s_wait_alu 0xf1ff
	v_xor_b32_e32 v169, s15, v169
	s_delay_alu instid0(VALU_DEP_3) | instskip(NEXT) | instid1(VALU_DEP_3)
	v_add_nc_u32_e32 v170, v118, v170
	v_and_b32_e32 v37, v37, v168
	ds_load_b32 v168, v171 offset:1056
	; wave barrier
	v_and_b32_e32 v37, v37, v169
	s_delay_alu instid0(VALU_DEP_1) | instskip(SKIP_1) | instid1(VALU_DEP_2)
	v_mbcnt_lo_u32_b32 v169, v37, 0
	v_cmp_ne_u32_e64 s15, 0, v37
	v_cmp_eq_u32_e32 vcc_lo, 0, v169
	s_and_b32 s16, s15, vcc_lo
	s_wait_alu 0xfffe
	s_and_saveexec_b32 s15, s16
	s_cbranch_execz .LBB1434_1026
; %bb.1025:                             ;   in Loop: Header=BB1434_974 Depth=2
	s_wait_dscnt 0x0
	v_bcnt_u32_b32 v37, v37, v168
	ds_store_b32 v170, v37 offset:1056
.LBB1434_1026:                          ;   in Loop: Header=BB1434_974 Depth=2
	s_wait_alu 0xfffe
	s_or_b32 exec_lo, exec_lo, s15
	v_cmp_lt_i32_e32 vcc_lo, -1, v166
	; wave barrier
	s_wait_alu 0xfffd
	v_cndmask_b32_e64 v37, -1, 0x80000000, vcc_lo
	s_delay_alu instid0(VALU_DEP_1) | instskip(NEXT) | instid1(VALU_DEP_1)
	v_xor_b32_e32 v166, v37, v166
	v_cmp_ne_u32_e32 vcc_lo, 0x7fffffff, v166
	s_wait_alu 0xfffd
	v_cndmask_b32_e32 v37, 0x80000000, v166, vcc_lo
	s_delay_alu instid0(VALU_DEP_1) | instskip(NEXT) | instid1(VALU_DEP_1)
	v_lshrrev_b32_e32 v37, s49, v37
	v_and_b32_e32 v171, s48, v37
	s_delay_alu instid0(VALU_DEP_1)
	v_and_b32_e32 v37, 1, v171
	v_lshlrev_b32_e32 v172, 30, v171
	v_lshlrev_b32_e32 v173, 29, v171
	;; [unrolled: 1-line block ×4, first 2 shown]
	v_add_co_u32 v37, s15, v37, -1
	s_wait_alu 0xf1ff
	v_cndmask_b32_e64 v175, 0, 1, s15
	v_not_b32_e32 v179, v172
	v_cmp_gt_i32_e64 s15, 0, v172
	v_not_b32_e32 v172, v173
	v_lshlrev_b32_e32 v177, 26, v171
	v_cmp_ne_u32_e32 vcc_lo, 0, v175
	v_ashrrev_i32_e32 v179, 31, v179
	v_lshlrev_b32_e32 v178, 25, v171
	v_ashrrev_i32_e32 v172, 31, v172
	v_lshlrev_b32_e32 v175, 24, v171
	s_wait_alu 0xfffd
	v_xor_b32_e32 v37, vcc_lo, v37
	v_cmp_gt_i32_e32 vcc_lo, 0, v173
	v_not_b32_e32 v173, v174
	s_wait_alu 0xf1ff
	v_xor_b32_e32 v179, s15, v179
	v_cmp_gt_i32_e64 s15, 0, v174
	v_and_b32_e32 v37, exec_lo, v37
	v_not_b32_e32 v174, v176
	v_ashrrev_i32_e32 v173, 31, v173
	s_wait_alu 0xfffd
	v_xor_b32_e32 v172, vcc_lo, v172
	v_cmp_gt_i32_e32 vcc_lo, 0, v176
	v_and_b32_e32 v37, v37, v179
	v_not_b32_e32 v176, v177
	v_ashrrev_i32_e32 v174, 31, v174
	s_wait_alu 0xf1ff
	v_xor_b32_e32 v173, s15, v173
	v_cmp_gt_i32_e64 s15, 0, v177
	v_and_b32_e32 v37, v37, v172
	v_not_b32_e32 v172, v178
	v_ashrrev_i32_e32 v176, 31, v176
	s_wait_alu 0xfffd
	v_xor_b32_e32 v174, vcc_lo, v174
	v_cmp_gt_i32_e32 vcc_lo, 0, v178
	v_and_b32_e32 v37, v37, v173
	v_not_b32_e32 v173, v175
	v_ashrrev_i32_e32 v172, 31, v172
	s_wait_alu 0xf1ff
	v_xor_b32_e32 v176, s15, v176
	v_cmp_gt_i32_e64 s15, 0, v175
	v_and_b32_e32 v37, v37, v174
	v_ashrrev_i32_e32 v173, 31, v173
	s_wait_alu 0xfffd
	v_xor_b32_e32 v172, vcc_lo, v172
	v_mad_u32_u24 v174, v171, 36, v118
	v_mul_u32_u24_e32 v171, 36, v171
	v_and_b32_e32 v37, v37, v176
	s_wait_alu 0xf1ff
	v_xor_b32_e32 v173, s15, v173
	s_delay_alu instid0(VALU_DEP_2) | instskip(SKIP_3) | instid1(VALU_DEP_1)
	v_and_b32_e32 v37, v37, v172
	ds_load_b32 v172, v174 offset:1056
	v_add_nc_u32_e32 v174, v118, v171
	; wave barrier
	v_and_b32_e32 v37, v37, v173
	v_mbcnt_lo_u32_b32 v173, v37, 0
	v_cmp_ne_u32_e64 s15, 0, v37
	s_delay_alu instid0(VALU_DEP_2)
	v_cmp_eq_u32_e32 vcc_lo, 0, v173
	s_and_b32 s16, s15, vcc_lo
	s_wait_alu 0xfffe
	s_and_saveexec_b32 s15, s16
	s_cbranch_execz .LBB1434_1028
; %bb.1027:                             ;   in Loop: Header=BB1434_974 Depth=2
	s_wait_dscnt 0x0
	v_bcnt_u32_b32 v37, v37, v172
	ds_store_b32 v174, v37 offset:1056
.LBB1434_1028:                          ;   in Loop: Header=BB1434_974 Depth=2
	s_wait_alu 0xfffe
	s_or_b32 exec_lo, exec_lo, s15
	v_cmp_lt_i32_e32 vcc_lo, -1, v43
	; wave barrier
	s_wait_alu 0xfffd
	v_cndmask_b32_e64 v37, -1, 0x80000000, vcc_lo
	s_delay_alu instid0(VALU_DEP_1) | instskip(NEXT) | instid1(VALU_DEP_1)
	v_xor_b32_e32 v171, v37, v43
	v_cmp_ne_u32_e32 vcc_lo, 0x7fffffff, v171
	s_wait_alu 0xfffd
	v_cndmask_b32_e32 v37, 0x80000000, v171, vcc_lo
	s_delay_alu instid0(VALU_DEP_1) | instskip(NEXT) | instid1(VALU_DEP_1)
	v_lshrrev_b32_e32 v37, s49, v37
	v_and_b32_e32 v43, s48, v37
	s_delay_alu instid0(VALU_DEP_1)
	v_and_b32_e32 v37, 1, v43
	v_lshlrev_b32_e32 v175, 30, v43
	v_lshlrev_b32_e32 v176, 29, v43
	;; [unrolled: 1-line block ×4, first 2 shown]
	v_add_co_u32 v37, s15, v37, -1
	s_wait_alu 0xf1ff
	v_cndmask_b32_e64 v178, 0, 1, s15
	v_not_b32_e32 v182, v175
	v_cmp_gt_i32_e64 s15, 0, v175
	v_not_b32_e32 v175, v176
	v_lshlrev_b32_e32 v180, 26, v43
	v_cmp_ne_u32_e32 vcc_lo, 0, v178
	v_ashrrev_i32_e32 v182, 31, v182
	v_lshlrev_b32_e32 v181, 25, v43
	v_ashrrev_i32_e32 v175, 31, v175
	v_lshlrev_b32_e32 v178, 24, v43
	s_wait_alu 0xfffd
	v_xor_b32_e32 v37, vcc_lo, v37
	v_cmp_gt_i32_e32 vcc_lo, 0, v176
	v_not_b32_e32 v176, v177
	s_wait_alu 0xf1ff
	v_xor_b32_e32 v182, s15, v182
	v_cmp_gt_i32_e64 s15, 0, v177
	v_and_b32_e32 v37, exec_lo, v37
	v_not_b32_e32 v177, v179
	v_ashrrev_i32_e32 v176, 31, v176
	s_wait_alu 0xfffd
	v_xor_b32_e32 v175, vcc_lo, v175
	v_cmp_gt_i32_e32 vcc_lo, 0, v179
	v_and_b32_e32 v37, v37, v182
	v_not_b32_e32 v179, v180
	v_ashrrev_i32_e32 v177, 31, v177
	s_wait_alu 0xf1ff
	v_xor_b32_e32 v176, s15, v176
	v_cmp_gt_i32_e64 s15, 0, v180
	v_and_b32_e32 v37, v37, v175
	v_not_b32_e32 v175, v181
	v_ashrrev_i32_e32 v179, 31, v179
	s_wait_alu 0xfffd
	v_xor_b32_e32 v177, vcc_lo, v177
	v_cmp_gt_i32_e32 vcc_lo, 0, v181
	v_and_b32_e32 v37, v37, v176
	v_not_b32_e32 v176, v178
	v_ashrrev_i32_e32 v175, 31, v175
	s_wait_alu 0xf1ff
	v_xor_b32_e32 v179, s15, v179
	v_cmp_gt_i32_e64 s15, 0, v178
	v_and_b32_e32 v37, v37, v177
	v_ashrrev_i32_e32 v176, 31, v176
	s_wait_alu 0xfffd
	v_xor_b32_e32 v175, vcc_lo, v175
	v_mad_u32_u24 v177, v43, 36, v118
	v_mul_u32_u24_e32 v43, 36, v43
	v_and_b32_e32 v37, v37, v179
	s_wait_alu 0xf1ff
	v_xor_b32_e32 v178, s15, v176
	ds_load_b32 v176, v177 offset:1056
	v_and_b32_e32 v37, v37, v175
	; wave barrier
	s_delay_alu instid0(VALU_DEP_1) | instskip(SKIP_1) | instid1(VALU_DEP_2)
	v_and_b32_e32 v37, v37, v178
	v_add_nc_u32_e32 v178, v118, v43
	v_mbcnt_lo_u32_b32 v177, v37, 0
	v_cmp_ne_u32_e64 s15, 0, v37
	s_delay_alu instid0(VALU_DEP_2)
	v_cmp_eq_u32_e32 vcc_lo, 0, v177
	s_and_b32 s16, s15, vcc_lo
	s_wait_alu 0xfffe
	s_and_saveexec_b32 s15, s16
	s_cbranch_execz .LBB1434_1030
; %bb.1029:                             ;   in Loop: Header=BB1434_974 Depth=2
	s_wait_dscnt 0x0
	v_bcnt_u32_b32 v37, v37, v176
	ds_store_b32 v178, v37 offset:1056
.LBB1434_1030:                          ;   in Loop: Header=BB1434_974 Depth=2
	s_wait_alu 0xfffe
	s_or_b32 exec_lo, exec_lo, s15
	v_cmp_lt_i32_e32 vcc_lo, -1, v42
	; wave barrier
	s_wait_alu 0xfffd
	v_cndmask_b32_e64 v37, -1, 0x80000000, vcc_lo
	s_delay_alu instid0(VALU_DEP_1) | instskip(NEXT) | instid1(VALU_DEP_1)
	v_xor_b32_e32 v175, v37, v42
	v_cmp_ne_u32_e32 vcc_lo, 0x7fffffff, v175
	s_wait_alu 0xfffd
	v_cndmask_b32_e32 v37, 0x80000000, v175, vcc_lo
	s_delay_alu instid0(VALU_DEP_1) | instskip(NEXT) | instid1(VALU_DEP_1)
	v_lshrrev_b32_e32 v37, s49, v37
	v_and_b32_e32 v42, s48, v37
	s_delay_alu instid0(VALU_DEP_1)
	v_and_b32_e32 v37, 1, v42
	v_lshlrev_b32_e32 v43, 30, v42
	v_lshlrev_b32_e32 v179, 29, v42
	;; [unrolled: 1-line block ×4, first 2 shown]
	v_add_co_u32 v37, s15, v37, -1
	s_wait_alu 0xf1ff
	v_cndmask_b32_e64 v181, 0, 1, s15
	v_not_b32_e32 v185, v43
	v_cmp_gt_i32_e64 s15, 0, v43
	v_not_b32_e32 v43, v179
	v_lshlrev_b32_e32 v183, 26, v42
	v_cmp_ne_u32_e32 vcc_lo, 0, v181
	v_ashrrev_i32_e32 v185, 31, v185
	v_lshlrev_b32_e32 v184, 25, v42
	v_ashrrev_i32_e32 v43, 31, v43
	v_lshlrev_b32_e32 v181, 24, v42
	s_wait_alu 0xfffd
	v_xor_b32_e32 v37, vcc_lo, v37
	v_cmp_gt_i32_e32 vcc_lo, 0, v179
	v_not_b32_e32 v179, v180
	s_wait_alu 0xf1ff
	v_xor_b32_e32 v185, s15, v185
	v_cmp_gt_i32_e64 s15, 0, v180
	v_and_b32_e32 v37, exec_lo, v37
	v_not_b32_e32 v180, v182
	v_ashrrev_i32_e32 v179, 31, v179
	s_wait_alu 0xfffd
	v_xor_b32_e32 v43, vcc_lo, v43
	v_cmp_gt_i32_e32 vcc_lo, 0, v182
	v_and_b32_e32 v37, v37, v185
	v_not_b32_e32 v182, v183
	v_ashrrev_i32_e32 v180, 31, v180
	s_wait_alu 0xf1ff
	v_xor_b32_e32 v179, s15, v179
	v_cmp_gt_i32_e64 s15, 0, v183
	v_and_b32_e32 v37, v37, v43
	v_not_b32_e32 v43, v184
	v_ashrrev_i32_e32 v182, 31, v182
	s_wait_alu 0xfffd
	v_xor_b32_e32 v180, vcc_lo, v180
	v_cmp_gt_i32_e32 vcc_lo, 0, v184
	v_and_b32_e32 v37, v37, v179
	v_not_b32_e32 v179, v181
	v_ashrrev_i32_e32 v43, 31, v43
	s_wait_alu 0xf1ff
	v_xor_b32_e32 v182, s15, v182
	v_cmp_gt_i32_e64 s15, 0, v181
	v_and_b32_e32 v37, v37, v180
	v_ashrrev_i32_e32 v179, 31, v179
	s_wait_alu 0xfffd
	v_xor_b32_e32 v43, vcc_lo, v43
	v_mad_u32_u24 v180, v42, 36, v118
	v_mul_u32_u24_e32 v42, 36, v42
	v_and_b32_e32 v37, v37, v182
	s_wait_alu 0xf1ff
	v_xor_b32_e32 v179, s15, v179
	ds_load_b32 v180, v180 offset:1056
	v_add_nc_u32_e32 v182, v118, v42
	v_and_b32_e32 v37, v37, v43
	; wave barrier
	s_delay_alu instid0(VALU_DEP_1) | instskip(NEXT) | instid1(VALU_DEP_1)
	v_and_b32_e32 v37, v37, v179
	v_mbcnt_lo_u32_b32 v181, v37, 0
	v_cmp_ne_u32_e64 s15, 0, v37
	s_delay_alu instid0(VALU_DEP_2)
	v_cmp_eq_u32_e32 vcc_lo, 0, v181
	s_and_b32 s16, s15, vcc_lo
	s_wait_alu 0xfffe
	s_and_saveexec_b32 s15, s16
	s_cbranch_execz .LBB1434_1032
; %bb.1031:                             ;   in Loop: Header=BB1434_974 Depth=2
	s_wait_dscnt 0x0
	v_bcnt_u32_b32 v37, v37, v180
	ds_store_b32 v182, v37 offset:1056
.LBB1434_1032:                          ;   in Loop: Header=BB1434_974 Depth=2
	s_wait_alu 0xfffe
	s_or_b32 exec_lo, exec_lo, s15
	v_cmp_lt_i32_e32 vcc_lo, -1, v41
	; wave barrier
	s_wait_alu 0xfffd
	v_cndmask_b32_e64 v37, -1, 0x80000000, vcc_lo
	s_delay_alu instid0(VALU_DEP_1) | instskip(NEXT) | instid1(VALU_DEP_1)
	v_xor_b32_e32 v179, v37, v41
	v_cmp_ne_u32_e32 vcc_lo, 0x7fffffff, v179
	s_wait_alu 0xfffd
	v_cndmask_b32_e32 v37, 0x80000000, v179, vcc_lo
	s_delay_alu instid0(VALU_DEP_1) | instskip(NEXT) | instid1(VALU_DEP_1)
	v_lshrrev_b32_e32 v37, s49, v37
	v_and_b32_e32 v41, s48, v37
	s_delay_alu instid0(VALU_DEP_1)
	v_and_b32_e32 v37, 1, v41
	v_lshlrev_b32_e32 v42, 30, v41
	v_lshlrev_b32_e32 v43, 29, v41
	;; [unrolled: 1-line block ×4, first 2 shown]
	v_add_co_u32 v37, s15, v37, -1
	s_wait_alu 0xf1ff
	v_cndmask_b32_e64 v184, 0, 1, s15
	v_not_b32_e32 v188, v42
	v_cmp_gt_i32_e64 s15, 0, v42
	v_not_b32_e32 v42, v43
	v_lshlrev_b32_e32 v186, 26, v41
	v_cmp_ne_u32_e32 vcc_lo, 0, v184
	v_ashrrev_i32_e32 v188, 31, v188
	v_lshlrev_b32_e32 v187, 25, v41
	v_ashrrev_i32_e32 v42, 31, v42
	v_lshlrev_b32_e32 v184, 24, v41
	s_wait_alu 0xfffd
	v_xor_b32_e32 v37, vcc_lo, v37
	v_cmp_gt_i32_e32 vcc_lo, 0, v43
	v_not_b32_e32 v43, v183
	s_wait_alu 0xf1ff
	v_xor_b32_e32 v188, s15, v188
	v_cmp_gt_i32_e64 s15, 0, v183
	v_and_b32_e32 v37, exec_lo, v37
	v_not_b32_e32 v183, v185
	v_ashrrev_i32_e32 v43, 31, v43
	s_wait_alu 0xfffd
	v_xor_b32_e32 v42, vcc_lo, v42
	v_cmp_gt_i32_e32 vcc_lo, 0, v185
	v_and_b32_e32 v37, v37, v188
	v_not_b32_e32 v185, v186
	v_ashrrev_i32_e32 v183, 31, v183
	s_wait_alu 0xf1ff
	v_xor_b32_e32 v43, s15, v43
	v_cmp_gt_i32_e64 s15, 0, v186
	v_and_b32_e32 v37, v37, v42
	v_not_b32_e32 v42, v187
	v_ashrrev_i32_e32 v185, 31, v185
	s_wait_alu 0xfffd
	v_xor_b32_e32 v183, vcc_lo, v183
	v_cmp_gt_i32_e32 vcc_lo, 0, v187
	v_and_b32_e32 v37, v37, v43
	v_not_b32_e32 v43, v184
	v_ashrrev_i32_e32 v42, 31, v42
	s_wait_alu 0xf1ff
	v_xor_b32_e32 v185, s15, v185
	v_cmp_gt_i32_e64 s15, 0, v184
	v_and_b32_e32 v37, v37, v183
	v_ashrrev_i32_e32 v43, 31, v43
	s_wait_alu 0xfffd
	v_xor_b32_e32 v42, vcc_lo, v42
	v_mad_u32_u24 v183, v41, 36, v118
	v_mul_u32_u24_e32 v41, 36, v41
	v_and_b32_e32 v37, v37, v185
	s_wait_alu 0xf1ff
	v_xor_b32_e32 v43, s15, v43
	ds_load_b32 v184, v183 offset:1056
	v_add_nc_u32_e32 v186, v118, v41
	v_and_b32_e32 v37, v37, v42
	; wave barrier
	s_delay_alu instid0(VALU_DEP_1) | instskip(NEXT) | instid1(VALU_DEP_1)
	v_and_b32_e32 v37, v37, v43
	v_mbcnt_lo_u32_b32 v185, v37, 0
	v_cmp_ne_u32_e64 s15, 0, v37
	s_delay_alu instid0(VALU_DEP_2)
	v_cmp_eq_u32_e32 vcc_lo, 0, v185
	s_and_b32 s16, s15, vcc_lo
	s_wait_alu 0xfffe
	s_and_saveexec_b32 s15, s16
	s_cbranch_execz .LBB1434_1034
; %bb.1033:                             ;   in Loop: Header=BB1434_974 Depth=2
	s_wait_dscnt 0x0
	v_bcnt_u32_b32 v37, v37, v184
	ds_store_b32 v186, v37 offset:1056
.LBB1434_1034:                          ;   in Loop: Header=BB1434_974 Depth=2
	s_wait_alu 0xfffe
	s_or_b32 exec_lo, exec_lo, s15
	v_cmp_lt_i32_e32 vcc_lo, -1, v40
	; wave barrier
	s_wait_alu 0xfffd
	v_cndmask_b32_e64 v37, -1, 0x80000000, vcc_lo
	s_delay_alu instid0(VALU_DEP_1) | instskip(NEXT) | instid1(VALU_DEP_1)
	v_xor_b32_e32 v183, v37, v40
	v_cmp_ne_u32_e32 vcc_lo, 0x7fffffff, v183
	s_wait_alu 0xfffd
	v_cndmask_b32_e32 v37, 0x80000000, v183, vcc_lo
	s_delay_alu instid0(VALU_DEP_1) | instskip(NEXT) | instid1(VALU_DEP_1)
	v_lshrrev_b32_e32 v37, s49, v37
	v_and_b32_e32 v40, s48, v37
	s_delay_alu instid0(VALU_DEP_1)
	v_and_b32_e32 v37, 1, v40
	v_lshlrev_b32_e32 v41, 30, v40
	v_lshlrev_b32_e32 v42, 29, v40
	;; [unrolled: 1-line block ×4, first 2 shown]
	v_add_co_u32 v37, s15, v37, -1
	s_wait_alu 0xf1ff
	v_cndmask_b32_e64 v187, 0, 1, s15
	v_not_b32_e32 v191, v41
	v_cmp_gt_i32_e64 s15, 0, v41
	v_not_b32_e32 v41, v42
	v_lshlrev_b32_e32 v189, 26, v40
	v_cmp_ne_u32_e32 vcc_lo, 0, v187
	v_ashrrev_i32_e32 v191, 31, v191
	v_lshlrev_b32_e32 v190, 25, v40
	v_ashrrev_i32_e32 v41, 31, v41
	v_lshlrev_b32_e32 v187, 24, v40
	s_wait_alu 0xfffd
	v_xor_b32_e32 v37, vcc_lo, v37
	v_cmp_gt_i32_e32 vcc_lo, 0, v42
	v_not_b32_e32 v42, v43
	s_wait_alu 0xf1ff
	v_xor_b32_e32 v191, s15, v191
	v_cmp_gt_i32_e64 s15, 0, v43
	v_and_b32_e32 v37, exec_lo, v37
	v_not_b32_e32 v43, v188
	v_ashrrev_i32_e32 v42, 31, v42
	s_wait_alu 0xfffd
	v_xor_b32_e32 v41, vcc_lo, v41
	v_cmp_gt_i32_e32 vcc_lo, 0, v188
	v_and_b32_e32 v37, v37, v191
	v_not_b32_e32 v188, v189
	v_ashrrev_i32_e32 v43, 31, v43
	s_wait_alu 0xf1ff
	v_xor_b32_e32 v42, s15, v42
	v_cmp_gt_i32_e64 s15, 0, v189
	v_and_b32_e32 v37, v37, v41
	v_not_b32_e32 v41, v190
	v_ashrrev_i32_e32 v188, 31, v188
	s_wait_alu 0xfffd
	v_xor_b32_e32 v43, vcc_lo, v43
	v_cmp_gt_i32_e32 vcc_lo, 0, v190
	v_and_b32_e32 v37, v37, v42
	v_not_b32_e32 v42, v187
	v_ashrrev_i32_e32 v41, 31, v41
	s_wait_alu 0xf1ff
	v_xor_b32_e32 v188, s15, v188
	v_cmp_gt_i32_e64 s15, 0, v187
	v_and_b32_e32 v37, v37, v43
	v_ashrrev_i32_e32 v42, 31, v42
	s_wait_alu 0xfffd
	v_xor_b32_e32 v41, vcc_lo, v41
	v_mad_u32_u24 v43, v40, 36, v118
	v_mul_u32_u24_e32 v40, 36, v40
	v_and_b32_e32 v37, v37, v188
	s_wait_alu 0xf1ff
	v_xor_b32_e32 v42, s15, v42
	ds_load_b32 v188, v43 offset:1056
	v_add_nc_u32_e32 v190, v118, v40
	v_and_b32_e32 v37, v37, v41
	; wave barrier
	s_delay_alu instid0(VALU_DEP_1) | instskip(NEXT) | instid1(VALU_DEP_1)
	v_and_b32_e32 v37, v37, v42
	v_mbcnt_lo_u32_b32 v189, v37, 0
	v_cmp_ne_u32_e64 s15, 0, v37
	s_delay_alu instid0(VALU_DEP_2)
	v_cmp_eq_u32_e32 vcc_lo, 0, v189
	s_and_b32 s16, s15, vcc_lo
	s_wait_alu 0xfffe
	s_and_saveexec_b32 s15, s16
	s_cbranch_execz .LBB1434_1036
; %bb.1035:                             ;   in Loop: Header=BB1434_974 Depth=2
	s_wait_dscnt 0x0
	v_bcnt_u32_b32 v37, v37, v188
	ds_store_b32 v190, v37 offset:1056
.LBB1434_1036:                          ;   in Loop: Header=BB1434_974 Depth=2
	s_wait_alu 0xfffe
	s_or_b32 exec_lo, exec_lo, s15
	v_cmp_lt_i32_e32 vcc_lo, -1, v39
	; wave barrier
	s_wait_alu 0xfffd
	v_cndmask_b32_e64 v37, -1, 0x80000000, vcc_lo
	s_delay_alu instid0(VALU_DEP_1) | instskip(NEXT) | instid1(VALU_DEP_1)
	v_xor_b32_e32 v187, v37, v39
	v_cmp_ne_u32_e32 vcc_lo, 0x7fffffff, v187
	s_wait_alu 0xfffd
	v_cndmask_b32_e32 v37, 0x80000000, v187, vcc_lo
	s_delay_alu instid0(VALU_DEP_1) | instskip(NEXT) | instid1(VALU_DEP_1)
	v_lshrrev_b32_e32 v37, s49, v37
	v_and_b32_e32 v39, s48, v37
	s_delay_alu instid0(VALU_DEP_1)
	v_and_b32_e32 v37, 1, v39
	v_lshlrev_b32_e32 v40, 30, v39
	v_lshlrev_b32_e32 v41, 29, v39
	;; [unrolled: 1-line block ×4, first 2 shown]
	v_add_co_u32 v37, s15, v37, -1
	s_wait_alu 0xf1ff
	v_cndmask_b32_e64 v43, 0, 1, s15
	v_not_b32_e32 v194, v40
	v_cmp_gt_i32_e64 s15, 0, v40
	v_not_b32_e32 v40, v41
	v_lshlrev_b32_e32 v192, 26, v39
	v_cmp_ne_u32_e32 vcc_lo, 0, v43
	v_ashrrev_i32_e32 v194, 31, v194
	v_lshlrev_b32_e32 v193, 25, v39
	v_ashrrev_i32_e32 v40, 31, v40
	v_lshlrev_b32_e32 v43, 24, v39
	s_wait_alu 0xfffd
	v_xor_b32_e32 v37, vcc_lo, v37
	v_cmp_gt_i32_e32 vcc_lo, 0, v41
	v_not_b32_e32 v41, v42
	s_wait_alu 0xf1ff
	v_xor_b32_e32 v194, s15, v194
	v_cmp_gt_i32_e64 s15, 0, v42
	v_and_b32_e32 v37, exec_lo, v37
	v_not_b32_e32 v42, v191
	v_ashrrev_i32_e32 v41, 31, v41
	s_wait_alu 0xfffd
	v_xor_b32_e32 v40, vcc_lo, v40
	v_cmp_gt_i32_e32 vcc_lo, 0, v191
	v_and_b32_e32 v37, v37, v194
	v_not_b32_e32 v191, v192
	v_ashrrev_i32_e32 v42, 31, v42
	s_wait_alu 0xf1ff
	v_xor_b32_e32 v41, s15, v41
	v_cmp_gt_i32_e64 s15, 0, v192
	v_and_b32_e32 v37, v37, v40
	v_not_b32_e32 v40, v193
	v_ashrrev_i32_e32 v191, 31, v191
	s_wait_alu 0xfffd
	v_xor_b32_e32 v42, vcc_lo, v42
	v_cmp_gt_i32_e32 vcc_lo, 0, v193
	v_and_b32_e32 v37, v37, v41
	v_not_b32_e32 v41, v43
	v_ashrrev_i32_e32 v40, 31, v40
	s_wait_alu 0xf1ff
	v_xor_b32_e32 v191, s15, v191
	v_cmp_gt_i32_e64 s15, 0, v43
	v_and_b32_e32 v37, v37, v42
	v_ashrrev_i32_e32 v41, 31, v41
	s_wait_alu 0xfffd
	v_xor_b32_e32 v40, vcc_lo, v40
	v_mad_u32_u24 v42, v39, 36, v118
	v_mul_u32_u24_e32 v39, 36, v39
	v_and_b32_e32 v37, v37, v191
	s_wait_alu 0xf1ff
	v_xor_b32_e32 v41, s15, v41
	ds_load_b32 v192, v42 offset:1056
	v_add_nc_u32_e32 v194, v118, v39
	v_and_b32_e32 v37, v37, v40
	; wave barrier
	s_delay_alu instid0(VALU_DEP_1) | instskip(NEXT) | instid1(VALU_DEP_1)
	v_and_b32_e32 v37, v37, v41
	v_mbcnt_lo_u32_b32 v193, v37, 0
	v_cmp_ne_u32_e64 s15, 0, v37
	s_delay_alu instid0(VALU_DEP_2)
	v_cmp_eq_u32_e32 vcc_lo, 0, v193
	s_and_b32 s16, s15, vcc_lo
	s_wait_alu 0xfffe
	s_and_saveexec_b32 s15, s16
	s_cbranch_execz .LBB1434_1038
; %bb.1037:                             ;   in Loop: Header=BB1434_974 Depth=2
	s_wait_dscnt 0x0
	v_bcnt_u32_b32 v37, v37, v192
	ds_store_b32 v194, v37 offset:1056
.LBB1434_1038:                          ;   in Loop: Header=BB1434_974 Depth=2
	s_wait_alu 0xfffe
	s_or_b32 exec_lo, exec_lo, s15
	v_cmp_lt_i32_e32 vcc_lo, -1, v38
	; wave barrier
	s_wait_alu 0xfffd
	v_cndmask_b32_e64 v37, -1, 0x80000000, vcc_lo
	s_delay_alu instid0(VALU_DEP_1) | instskip(NEXT) | instid1(VALU_DEP_1)
	v_xor_b32_e32 v191, v37, v38
	v_cmp_ne_u32_e32 vcc_lo, 0x7fffffff, v191
	s_wait_alu 0xfffd
	v_cndmask_b32_e32 v37, 0x80000000, v191, vcc_lo
	s_delay_alu instid0(VALU_DEP_1) | instskip(NEXT) | instid1(VALU_DEP_1)
	v_lshrrev_b32_e32 v37, s49, v37
	v_and_b32_e32 v38, s48, v37
	s_delay_alu instid0(VALU_DEP_1)
	v_and_b32_e32 v37, 1, v38
	v_lshlrev_b32_e32 v39, 30, v38
	v_lshlrev_b32_e32 v40, 29, v38
	;; [unrolled: 1-line block ×4, first 2 shown]
	v_add_co_u32 v37, s15, v37, -1
	s_wait_alu 0xf1ff
	v_cndmask_b32_e64 v42, 0, 1, s15
	v_not_b32_e32 v197, v39
	v_cmp_gt_i32_e64 s15, 0, v39
	v_not_b32_e32 v39, v40
	v_lshlrev_b32_e32 v195, 26, v38
	v_cmp_ne_u32_e32 vcc_lo, 0, v42
	v_ashrrev_i32_e32 v197, 31, v197
	v_lshlrev_b32_e32 v196, 25, v38
	v_ashrrev_i32_e32 v39, 31, v39
	v_lshlrev_b32_e32 v42, 24, v38
	s_wait_alu 0xfffd
	v_xor_b32_e32 v37, vcc_lo, v37
	v_cmp_gt_i32_e32 vcc_lo, 0, v40
	v_not_b32_e32 v40, v41
	s_wait_alu 0xf1ff
	v_xor_b32_e32 v197, s15, v197
	v_cmp_gt_i32_e64 s15, 0, v41
	v_and_b32_e32 v37, exec_lo, v37
	v_not_b32_e32 v41, v43
	v_ashrrev_i32_e32 v40, 31, v40
	s_wait_alu 0xfffd
	v_xor_b32_e32 v39, vcc_lo, v39
	v_cmp_gt_i32_e32 vcc_lo, 0, v43
	v_and_b32_e32 v37, v37, v197
	v_not_b32_e32 v43, v195
	v_ashrrev_i32_e32 v41, 31, v41
	s_wait_alu 0xf1ff
	v_xor_b32_e32 v40, s15, v40
	v_cmp_gt_i32_e64 s15, 0, v195
	v_and_b32_e32 v37, v37, v39
	v_not_b32_e32 v39, v196
	v_ashrrev_i32_e32 v43, 31, v43
	s_wait_alu 0xfffd
	v_xor_b32_e32 v41, vcc_lo, v41
	v_cmp_gt_i32_e32 vcc_lo, 0, v196
	v_and_b32_e32 v37, v37, v40
	v_not_b32_e32 v40, v42
	v_ashrrev_i32_e32 v39, 31, v39
	s_wait_alu 0xf1ff
	v_xor_b32_e32 v43, s15, v43
	v_cmp_gt_i32_e64 s15, 0, v42
	v_and_b32_e32 v37, v37, v41
	v_ashrrev_i32_e32 v40, 31, v40
	s_wait_alu 0xfffd
	v_xor_b32_e32 v39, vcc_lo, v39
	v_mad_u32_u24 v41, v38, 36, v118
	v_mul_u32_u24_e32 v38, 36, v38
	v_and_b32_e32 v37, v37, v43
	s_wait_alu 0xf1ff
	v_xor_b32_e32 v40, s15, v40
	ds_load_b32 v196, v41 offset:1056
	v_add_nc_u32_e32 v198, v118, v38
	v_and_b32_e32 v37, v37, v39
	; wave barrier
	s_delay_alu instid0(VALU_DEP_1) | instskip(NEXT) | instid1(VALU_DEP_1)
	v_and_b32_e32 v37, v37, v40
	v_mbcnt_lo_u32_b32 v197, v37, 0
	v_cmp_ne_u32_e64 s15, 0, v37
	s_delay_alu instid0(VALU_DEP_2)
	v_cmp_eq_u32_e32 vcc_lo, 0, v197
	s_and_b32 s16, s15, vcc_lo
	s_wait_alu 0xfffe
	s_and_saveexec_b32 s15, s16
	s_cbranch_execz .LBB1434_1040
; %bb.1039:                             ;   in Loop: Header=BB1434_974 Depth=2
	s_wait_dscnt 0x0
	v_bcnt_u32_b32 v37, v37, v196
	ds_store_b32 v198, v37 offset:1056
.LBB1434_1040:                          ;   in Loop: Header=BB1434_974 Depth=2
	s_wait_alu 0xfffe
	s_or_b32 exec_lo, exec_lo, s15
	v_cmp_lt_i32_e32 vcc_lo, -1, v36
	; wave barrier
	s_wait_alu 0xfffd
	v_cndmask_b32_e64 v37, -1, 0x80000000, vcc_lo
	s_delay_alu instid0(VALU_DEP_1) | instskip(NEXT) | instid1(VALU_DEP_1)
	v_xor_b32_e32 v195, v37, v36
	v_cmp_ne_u32_e32 vcc_lo, 0x7fffffff, v195
	s_wait_alu 0xfffd
	v_cndmask_b32_e32 v36, 0x80000000, v195, vcc_lo
	s_delay_alu instid0(VALU_DEP_1) | instskip(NEXT) | instid1(VALU_DEP_1)
	v_lshrrev_b32_e32 v36, s49, v36
	v_and_b32_e32 v37, s48, v36
	s_delay_alu instid0(VALU_DEP_1)
	v_and_b32_e32 v36, 1, v37
	v_lshlrev_b32_e32 v38, 30, v37
	v_lshlrev_b32_e32 v39, 29, v37
	;; [unrolled: 1-line block ×4, first 2 shown]
	v_add_co_u32 v36, s15, v36, -1
	s_wait_alu 0xf1ff
	v_cndmask_b32_e64 v41, 0, 1, s15
	v_not_b32_e32 v200, v38
	v_cmp_gt_i32_e64 s15, 0, v38
	v_not_b32_e32 v38, v39
	v_lshlrev_b32_e32 v43, 26, v37
	v_cmp_ne_u32_e32 vcc_lo, 0, v41
	v_ashrrev_i32_e32 v200, 31, v200
	v_lshlrev_b32_e32 v199, 25, v37
	v_ashrrev_i32_e32 v38, 31, v38
	v_lshlrev_b32_e32 v41, 24, v37
	s_wait_alu 0xfffd
	v_xor_b32_e32 v36, vcc_lo, v36
	v_cmp_gt_i32_e32 vcc_lo, 0, v39
	v_not_b32_e32 v39, v40
	s_wait_alu 0xf1ff
	v_xor_b32_e32 v200, s15, v200
	v_cmp_gt_i32_e64 s15, 0, v40
	v_and_b32_e32 v36, exec_lo, v36
	v_not_b32_e32 v40, v42
	v_ashrrev_i32_e32 v39, 31, v39
	s_wait_alu 0xfffd
	v_xor_b32_e32 v38, vcc_lo, v38
	v_cmp_gt_i32_e32 vcc_lo, 0, v42
	v_and_b32_e32 v36, v36, v200
	v_not_b32_e32 v42, v43
	v_ashrrev_i32_e32 v40, 31, v40
	s_wait_alu 0xf1ff
	v_xor_b32_e32 v39, s15, v39
	v_cmp_gt_i32_e64 s15, 0, v43
	v_and_b32_e32 v36, v36, v38
	v_not_b32_e32 v38, v199
	v_ashrrev_i32_e32 v42, 31, v42
	s_wait_alu 0xfffd
	v_xor_b32_e32 v40, vcc_lo, v40
	v_cmp_gt_i32_e32 vcc_lo, 0, v199
	v_and_b32_e32 v36, v36, v39
	v_not_b32_e32 v39, v41
	v_ashrrev_i32_e32 v38, 31, v38
	s_wait_alu 0xf1ff
	v_xor_b32_e32 v42, s15, v42
	v_cmp_gt_i32_e64 s15, 0, v41
	v_and_b32_e32 v36, v36, v40
	v_ashrrev_i32_e32 v39, 31, v39
	s_wait_alu 0xfffd
	v_xor_b32_e32 v38, vcc_lo, v38
	v_mad_u32_u24 v40, v37, 36, v118
	v_mul_u32_u24_e32 v37, 36, v37
	v_and_b32_e32 v36, v36, v42
	s_wait_alu 0xf1ff
	v_xor_b32_e32 v39, s15, v39
	ds_load_b32 v199, v40 offset:1056
	v_add_nc_u32_e32 v201, v118, v37
	v_and_b32_e32 v36, v36, v38
	; wave barrier
	s_delay_alu instid0(VALU_DEP_1) | instskip(NEXT) | instid1(VALU_DEP_1)
	v_and_b32_e32 v36, v36, v39
	v_mbcnt_lo_u32_b32 v200, v36, 0
	v_cmp_ne_u32_e64 s15, 0, v36
	s_delay_alu instid0(VALU_DEP_2)
	v_cmp_eq_u32_e32 vcc_lo, 0, v200
	s_and_b32 s16, s15, vcc_lo
	s_wait_alu 0xfffe
	s_and_saveexec_b32 s15, s16
	s_cbranch_execz .LBB1434_1042
; %bb.1041:                             ;   in Loop: Header=BB1434_974 Depth=2
	s_wait_dscnt 0x0
	v_bcnt_u32_b32 v36, v36, v199
	ds_store_b32 v201, v36 offset:1056
.LBB1434_1042:                          ;   in Loop: Header=BB1434_974 Depth=2
	s_wait_alu 0xfffe
	s_or_b32 exec_lo, exec_lo, s15
	; wave barrier
	s_wait_loadcnt_dscnt 0x0
	s_barrier_signal -1
	s_barrier_wait -1
	global_inv scope:SCOPE_SE
	ds_load_2addr_b32 v[42:43], v139 offset1:1
	ds_load_2addr_b32 v[40:41], v140 offset1:1
	;; [unrolled: 1-line block ×4, first 2 shown]
	ds_load_b32 v202, v67 offset:1088
	s_wait_dscnt 0x3
	v_add3_u32 v203, v43, v42, v40
	s_wait_dscnt 0x2
	s_delay_alu instid0(VALU_DEP_1) | instskip(SKIP_1) | instid1(VALU_DEP_1)
	v_add3_u32 v203, v203, v41, v38
	s_wait_dscnt 0x1
	v_add3_u32 v203, v203, v39, v36
	s_wait_dscnt 0x0
	s_delay_alu instid0(VALU_DEP_1) | instskip(NEXT) | instid1(VALU_DEP_1)
	v_add3_u32 v202, v203, v37, v202
	v_mov_b32_dpp v203, v202 row_shr:1 row_mask:0xf bank_mask:0xf
	s_delay_alu instid0(VALU_DEP_1) | instskip(NEXT) | instid1(VALU_DEP_1)
	v_cndmask_b32_e64 v203, v203, 0, s0
	v_add_nc_u32_e32 v202, v203, v202
	s_delay_alu instid0(VALU_DEP_1) | instskip(NEXT) | instid1(VALU_DEP_1)
	v_mov_b32_dpp v203, v202 row_shr:2 row_mask:0xf bank_mask:0xf
	v_cndmask_b32_e64 v203, 0, v203, s1
	s_delay_alu instid0(VALU_DEP_1) | instskip(NEXT) | instid1(VALU_DEP_1)
	v_add_nc_u32_e32 v202, v202, v203
	v_mov_b32_dpp v203, v202 row_shr:4 row_mask:0xf bank_mask:0xf
	s_delay_alu instid0(VALU_DEP_1) | instskip(NEXT) | instid1(VALU_DEP_1)
	v_cndmask_b32_e64 v203, 0, v203, s9
	v_add_nc_u32_e32 v202, v202, v203
	s_delay_alu instid0(VALU_DEP_1) | instskip(NEXT) | instid1(VALU_DEP_1)
	v_mov_b32_dpp v203, v202 row_shr:8 row_mask:0xf bank_mask:0xf
	v_cndmask_b32_e64 v203, 0, v203, s10
	s_delay_alu instid0(VALU_DEP_1) | instskip(SKIP_3) | instid1(VALU_DEP_1)
	v_add_nc_u32_e32 v202, v202, v203
	ds_swizzle_b32 v203, v202 offset:swizzle(BROADCAST,32,15)
	s_wait_dscnt 0x0
	v_cndmask_b32_e64 v203, v203, 0, s11
	v_add_nc_u32_e32 v202, v202, v203
	s_and_saveexec_b32 s15, s3
; %bb.1043:                             ;   in Loop: Header=BB1434_974 Depth=2
	ds_store_b32 v63, v202 offset:1024
; %bb.1044:                             ;   in Loop: Header=BB1434_974 Depth=2
	s_wait_alu 0xfffe
	s_or_b32 exec_lo, exec_lo, s15
	s_wait_loadcnt_dscnt 0x0
	s_barrier_signal -1
	s_barrier_wait -1
	global_inv scope:SCOPE_SE
	s_and_saveexec_b32 s15, s4
	s_cbranch_execz .LBB1434_1046
; %bb.1045:                             ;   in Loop: Header=BB1434_974 Depth=2
	ds_load_b32 v203, v70 offset:1024
	s_wait_dscnt 0x0
	v_mov_b32_dpp v204, v203 row_shr:1 row_mask:0xf bank_mask:0xf
	s_delay_alu instid0(VALU_DEP_1) | instskip(NEXT) | instid1(VALU_DEP_1)
	v_cndmask_b32_e64 v204, v204, 0, s12
	v_add_nc_u32_e32 v203, v204, v203
	s_delay_alu instid0(VALU_DEP_1) | instskip(NEXT) | instid1(VALU_DEP_1)
	v_mov_b32_dpp v204, v203 row_shr:2 row_mask:0xf bank_mask:0xf
	v_cndmask_b32_e64 v204, 0, v204, s13
	s_delay_alu instid0(VALU_DEP_1) | instskip(NEXT) | instid1(VALU_DEP_1)
	v_add_nc_u32_e32 v203, v203, v204
	v_mov_b32_dpp v204, v203 row_shr:4 row_mask:0xf bank_mask:0xf
	s_delay_alu instid0(VALU_DEP_1) | instskip(NEXT) | instid1(VALU_DEP_1)
	v_cndmask_b32_e64 v204, 0, v204, s14
	v_add_nc_u32_e32 v203, v203, v204
	ds_store_b32 v70, v203 offset:1024
.LBB1434_1046:                          ;   in Loop: Header=BB1434_974 Depth=2
	s_wait_alu 0xfffe
	s_or_b32 exec_lo, exec_lo, s15
	v_mov_b32_e32 v203, 0
	s_wait_loadcnt_dscnt 0x0
	s_barrier_signal -1
	s_barrier_wait -1
	global_inv scope:SCOPE_SE
	s_and_saveexec_b32 s15, s5
; %bb.1047:                             ;   in Loop: Header=BB1434_974 Depth=2
	ds_load_b32 v203, v63 offset:1020
; %bb.1048:                             ;   in Loop: Header=BB1434_974 Depth=2
	s_wait_alu 0xfffe
	s_or_b32 exec_lo, exec_lo, s15
	s_wait_dscnt 0x0
	v_add_nc_u32_e32 v202, v203, v202
	ds_bpermute_b32 v202, v113, v202
	s_wait_dscnt 0x0
	v_cndmask_b32_e64 v202, v202, v203, s8
	s_delay_alu instid0(VALU_DEP_1) | instskip(NEXT) | instid1(VALU_DEP_1)
	v_cndmask_b32_e64 v202, v202, 0, s6
	v_add_nc_u32_e32 v42, v202, v42
	s_delay_alu instid0(VALU_DEP_1) | instskip(NEXT) | instid1(VALU_DEP_1)
	v_add_nc_u32_e32 v43, v42, v43
	v_add_nc_u32_e32 v40, v43, v40
	s_delay_alu instid0(VALU_DEP_1) | instskip(NEXT) | instid1(VALU_DEP_1)
	v_add_nc_u32_e32 v41, v40, v41
	;; [unrolled: 3-line block ×3, first 2 shown]
	v_add_nc_u32_e32 v36, v39, v36
	s_delay_alu instid0(VALU_DEP_1)
	v_add_nc_u32_e32 v37, v36, v37
	ds_store_2addr_b32 v138, v39, v36 offset1:1
	ds_store_2addr_b32 v139, v202, v42 offset1:1
	;; [unrolled: 1-line block ×4, first 2 shown]
	ds_store_b32 v67, v37 offset:1088
	s_wait_loadcnt_dscnt 0x0
	s_barrier_signal -1
	s_barrier_wait -1
	global_inv scope:SCOPE_SE
	ds_load_b32 v39, v142 offset:1056
	ds_load_b32 v41, v146 offset:1056
	;; [unrolled: 1-line block ×17, first 2 shown]
	v_mov_b32_e32 v38, 0x1000
	s_and_saveexec_b32 s15, s7
; %bb.1049:                             ;   in Loop: Header=BB1434_974 Depth=2
	ds_load_b32 v38, v67 offset:1092
; %bb.1050:                             ;   in Loop: Header=BB1434_974 Depth=2
	s_wait_alu 0xfffe
	s_or_b32 exec_lo, exec_lo, s15
	s_wait_loadcnt_dscnt 0x0
	s_barrier_signal -1
	s_barrier_wait -1
	global_inv scope:SCOPE_SE
	s_and_saveexec_b32 s15, s2
	s_cbranch_execz .LBB1434_1052
; %bb.1051:                             ;   in Loop: Header=BB1434_974 Depth=2
	ds_load_b32 v142, v44
	s_wait_dscnt 0x0
	v_sub_nc_u32_e32 v141, v142, v141
	ds_store_b32 v44, v141
.LBB1434_1052:                          ;   in Loop: Header=BB1434_974 Depth=2
	s_wait_alu 0xfffe
	s_or_b32 exec_lo, exec_lo, s15
	v_add_nc_u32_e32 v154, v39, v137
	v_add3_u32 v150, v145, v144, v41
	v_add3_u32 v146, v149, v148, v42
	;; [unrolled: 1-line block ×4, first 2 shown]
	v_lshlrev_b32_e32 v148, 2, v154
	v_add3_u32 v142, v161, v160, v139
	v_add3_u32 v141, v165, v164, v140
	;; [unrolled: 1-line block ×4, first 2 shown]
	ds_store_b32 v148, v2 offset:1024
	v_lshlrev_b32_e32 v2, 2, v150
	v_lshlrev_b32_e32 v36, 2, v146
	v_add3_u32 v139, v173, v172, v167
	v_add3_u32 v42, v193, v192, v37
	v_lshlrev_b32_e32 v37, 2, v145
	v_add3_u32 v138, v177, v176, v170
	v_lshlrev_b32_e32 v148, 2, v144
	;; [unrolled: 2-line block ×3, first 2 shown]
	v_add3_u32 v39, v185, v184, v178
	ds_store_b32 v2, v136 offset:1024
	ds_store_b32 v36, v143 offset:1024
	;; [unrolled: 1-line block ×5, first 2 shown]
	v_lshlrev_b32_e32 v2, 2, v141
	v_lshlrev_b32_e32 v36, 2, v140
	;; [unrolled: 1-line block ×3, first 2 shown]
	v_add3_u32 v41, v197, v196, v40
	v_lshlrev_b32_e32 v136, 2, v138
	v_add3_u32 v40, v200, v199, v158
	v_lshlrev_b32_e32 v143, 2, v137
	ds_store_b32 v2, v159 offset:1024
	ds_store_b32 v36, v163 offset:1024
	;; [unrolled: 1-line block ×5, first 2 shown]
	v_lshlrev_b32_e32 v2, 2, v39
	v_cmp_lt_u32_e32 vcc_lo, v1, v135
	v_lshlrev_b32_e32 v36, 2, v43
	v_lshlrev_b32_e32 v37, 2, v42
	;; [unrolled: 1-line block ×4, first 2 shown]
	ds_store_b32 v2, v179 offset:1024
	ds_store_b32 v36, v183 offset:1024
	;; [unrolled: 1-line block ×5, first 2 shown]
	s_wait_loadcnt_dscnt 0x0
	s_barrier_signal -1
	s_barrier_wait -1
	global_inv scope:SCOPE_SE
	s_and_saveexec_b32 s16, vcc_lo
	s_cbranch_execnz .LBB1434_1121
; %bb.1053:                             ;   in Loop: Header=BB1434_974 Depth=2
	s_wait_alu 0xfffe
	s_or_b32 exec_lo, exec_lo, s16
	v_cmp_lt_u32_e64 s15, v45, v135
	s_and_saveexec_b32 s17, s15
	s_cbranch_execnz .LBB1434_1122
.LBB1434_1054:                          ;   in Loop: Header=BB1434_974 Depth=2
	s_wait_alu 0xfffe
	s_or_b32 exec_lo, exec_lo, s17
	v_cmp_lt_u32_e64 s16, v46, v135
	s_and_saveexec_b32 s18, s16
	s_cbranch_execnz .LBB1434_1123
.LBB1434_1055:                          ;   in Loop: Header=BB1434_974 Depth=2
	s_wait_alu 0xfffe
	s_or_b32 exec_lo, exec_lo, s18
	v_cmp_lt_u32_e64 s17, v47, v135
	s_and_saveexec_b32 s19, s17
	s_cbranch_execnz .LBB1434_1124
.LBB1434_1056:                          ;   in Loop: Header=BB1434_974 Depth=2
	s_wait_alu 0xfffe
	s_or_b32 exec_lo, exec_lo, s19
	v_cmp_lt_u32_e64 s18, v50, v135
	s_and_saveexec_b32 s20, s18
	s_cbranch_execnz .LBB1434_1125
.LBB1434_1057:                          ;   in Loop: Header=BB1434_974 Depth=2
	s_wait_alu 0xfffe
	s_or_b32 exec_lo, exec_lo, s20
	v_cmp_lt_u32_e64 s19, v51, v135
	s_and_saveexec_b32 s21, s19
	s_cbranch_execnz .LBB1434_1126
.LBB1434_1058:                          ;   in Loop: Header=BB1434_974 Depth=2
	s_wait_alu 0xfffe
	s_or_b32 exec_lo, exec_lo, s21
	v_cmp_lt_u32_e64 s20, v52, v135
	s_and_saveexec_b32 s22, s20
	s_cbranch_execnz .LBB1434_1127
.LBB1434_1059:                          ;   in Loop: Header=BB1434_974 Depth=2
	s_wait_alu 0xfffe
	s_or_b32 exec_lo, exec_lo, s22
	v_cmp_lt_u32_e64 s21, v53, v135
	s_and_saveexec_b32 s23, s21
	s_cbranch_execnz .LBB1434_1128
.LBB1434_1060:                          ;   in Loop: Header=BB1434_974 Depth=2
	s_wait_alu 0xfffe
	s_or_b32 exec_lo, exec_lo, s23
	v_cmp_lt_u32_e64 s22, v54, v135
	s_and_saveexec_b32 s24, s22
	s_cbranch_execnz .LBB1434_1129
.LBB1434_1061:                          ;   in Loop: Header=BB1434_974 Depth=2
	s_wait_alu 0xfffe
	s_or_b32 exec_lo, exec_lo, s24
	v_cmp_lt_u32_e64 s23, v55, v135
	s_and_saveexec_b32 s25, s23
	s_cbranch_execnz .LBB1434_1130
.LBB1434_1062:                          ;   in Loop: Header=BB1434_974 Depth=2
	s_wait_alu 0xfffe
	s_or_b32 exec_lo, exec_lo, s25
	v_cmp_lt_u32_e64 s24, v56, v135
	s_and_saveexec_b32 s26, s24
	s_cbranch_execnz .LBB1434_1131
.LBB1434_1063:                          ;   in Loop: Header=BB1434_974 Depth=2
	s_wait_alu 0xfffe
	s_or_b32 exec_lo, exec_lo, s26
	v_cmp_lt_u32_e64 s25, v57, v135
	s_and_saveexec_b32 s27, s25
	s_cbranch_execnz .LBB1434_1132
.LBB1434_1064:                          ;   in Loop: Header=BB1434_974 Depth=2
	s_wait_alu 0xfffe
	s_or_b32 exec_lo, exec_lo, s27
	v_cmp_lt_u32_e64 s26, v58, v135
	s_and_saveexec_b32 s28, s26
	s_cbranch_execnz .LBB1434_1133
.LBB1434_1065:                          ;   in Loop: Header=BB1434_974 Depth=2
	s_wait_alu 0xfffe
	s_or_b32 exec_lo, exec_lo, s28
	v_cmp_lt_u32_e64 s27, v59, v135
	s_and_saveexec_b32 s29, s27
	s_cbranch_execnz .LBB1434_1134
.LBB1434_1066:                          ;   in Loop: Header=BB1434_974 Depth=2
	s_wait_alu 0xfffe
	s_or_b32 exec_lo, exec_lo, s29
	v_cmp_lt_u32_e64 s28, v60, v135
	s_and_saveexec_b32 s30, s28
	s_cbranch_execnz .LBB1434_1135
.LBB1434_1067:                          ;   in Loop: Header=BB1434_974 Depth=2
	s_wait_alu 0xfffe
	s_or_b32 exec_lo, exec_lo, s30
	v_cmp_lt_u32_e64 s29, v61, v135
	s_and_saveexec_b32 s56, s29
	s_cbranch_execz .LBB1434_1069
.LBB1434_1068:                          ;   in Loop: Header=BB1434_974 Depth=2
	ds_load_b32 v136, v70 offset:16384
	s_wait_dscnt 0x0
	v_cmp_ne_u32_e64 s30, 0x7fffffff, v136
	s_wait_alu 0xf1ff
	s_delay_alu instid0(VALU_DEP_1) | instskip(SKIP_1) | instid1(VALU_DEP_2)
	v_cndmask_b32_e64 v2, 0x80000000, v136, s30
	v_cmp_lt_i32_e64 s30, -1, v136
	v_lshrrev_b32_e32 v2, s49, v2
	s_wait_alu 0xf1ff
	s_delay_alu instid0(VALU_DEP_2) | instskip(NEXT) | instid1(VALU_DEP_2)
	v_cndmask_b32_e64 v143, 0x80000000, -1, s30
	v_and_b32_e32 v2, s48, v2
	s_delay_alu instid0(VALU_DEP_1) | instskip(SKIP_3) | instid1(VALU_DEP_1)
	v_lshlrev_b32_e32 v2, 2, v2
	ds_load_b32 v2, v2
	s_wait_dscnt 0x0
	v_add_nc_u32_e32 v2, v2, v61
	v_lshlrev_b64_e32 v[36:37], 2, v[2:3]
	v_xor_b32_e32 v2, v143, v136
	s_delay_alu instid0(VALU_DEP_2) | instskip(SKIP_1) | instid1(VALU_DEP_3)
	v_add_co_u32 v36, s30, s40, v36
	s_wait_alu 0xf1ff
	v_add_co_ci_u32_e64 v37, null, s41, v37, s30
	global_store_b32 v[36:37], v2, off
.LBB1434_1069:                          ;   in Loop: Header=BB1434_974 Depth=2
	s_wait_alu 0xfffe
	s_or_b32 exec_lo, exec_lo, s56
	s_lshl_b64 s[56:57], s[42:43], 3
	s_wait_alu 0xfffe
	v_add_co_u32 v36, s30, v114, s56
	s_wait_alu 0xf1ff
	v_add_co_ci_u32_e64 v37, null, s57, v115, s30
	v_cmp_lt_u32_e64 s30, v88, v135
	s_and_saveexec_b32 s42, s30
	s_wait_alu 0xfffe
	s_xor_b32 s30, exec_lo, s42
	s_cbranch_execnz .LBB1434_1136
; %bb.1070:                             ;   in Loop: Header=BB1434_974 Depth=2
	s_wait_alu 0xfffe
	s_or_b32 exec_lo, exec_lo, s30
	s_delay_alu instid0(SALU_CYCLE_1)
	s_mov_b32 s42, exec_lo
	v_cmpx_lt_u32_e64 v92, v135
	s_cbranch_execnz .LBB1434_1137
.LBB1434_1071:                          ;   in Loop: Header=BB1434_974 Depth=2
	s_wait_alu 0xfffe
	s_or_b32 exec_lo, exec_lo, s42
	s_delay_alu instid0(SALU_CYCLE_1)
	s_mov_b32 s42, exec_lo
	v_cmpx_lt_u32_e64 v93, v135
	s_cbranch_execnz .LBB1434_1138
.LBB1434_1072:                          ;   in Loop: Header=BB1434_974 Depth=2
	s_wait_alu 0xfffe
	s_or_b32 exec_lo, exec_lo, s42
	s_delay_alu instid0(SALU_CYCLE_1)
	s_mov_b32 s42, exec_lo
	v_cmpx_lt_u32_e64 v94, v135
	s_cbranch_execnz .LBB1434_1139
.LBB1434_1073:                          ;   in Loop: Header=BB1434_974 Depth=2
	s_wait_alu 0xfffe
	s_or_b32 exec_lo, exec_lo, s42
	s_delay_alu instid0(SALU_CYCLE_1)
	s_mov_b32 s42, exec_lo
	v_cmpx_lt_u32_e64 v95, v135
	s_cbranch_execnz .LBB1434_1140
.LBB1434_1074:                          ;   in Loop: Header=BB1434_974 Depth=2
	s_wait_alu 0xfffe
	s_or_b32 exec_lo, exec_lo, s42
	s_delay_alu instid0(SALU_CYCLE_1)
	s_mov_b32 s42, exec_lo
	v_cmpx_lt_u32_e64 v96, v135
	s_cbranch_execnz .LBB1434_1141
.LBB1434_1075:                          ;   in Loop: Header=BB1434_974 Depth=2
	s_wait_alu 0xfffe
	s_or_b32 exec_lo, exec_lo, s42
	s_delay_alu instid0(SALU_CYCLE_1)
	s_mov_b32 s42, exec_lo
	v_cmpx_lt_u32_e64 v97, v135
	s_cbranch_execnz .LBB1434_1142
.LBB1434_1076:                          ;   in Loop: Header=BB1434_974 Depth=2
	s_wait_alu 0xfffe
	s_or_b32 exec_lo, exec_lo, s42
	s_delay_alu instid0(SALU_CYCLE_1)
	s_mov_b32 s42, exec_lo
	v_cmpx_lt_u32_e64 v98, v135
	s_cbranch_execnz .LBB1434_1143
.LBB1434_1077:                          ;   in Loop: Header=BB1434_974 Depth=2
	s_wait_alu 0xfffe
	s_or_b32 exec_lo, exec_lo, s42
	s_delay_alu instid0(SALU_CYCLE_1)
	s_mov_b32 s42, exec_lo
	v_cmpx_lt_u32_e64 v99, v135
	s_cbranch_execnz .LBB1434_1144
.LBB1434_1078:                          ;   in Loop: Header=BB1434_974 Depth=2
	s_wait_alu 0xfffe
	s_or_b32 exec_lo, exec_lo, s42
	s_delay_alu instid0(SALU_CYCLE_1)
	s_mov_b32 s42, exec_lo
	v_cmpx_lt_u32_e64 v100, v135
	s_cbranch_execnz .LBB1434_1145
.LBB1434_1079:                          ;   in Loop: Header=BB1434_974 Depth=2
	s_wait_alu 0xfffe
	s_or_b32 exec_lo, exec_lo, s42
	s_delay_alu instid0(SALU_CYCLE_1)
	s_mov_b32 s42, exec_lo
	v_cmpx_lt_u32_e64 v101, v135
	s_cbranch_execnz .LBB1434_1146
.LBB1434_1080:                          ;   in Loop: Header=BB1434_974 Depth=2
	s_wait_alu 0xfffe
	s_or_b32 exec_lo, exec_lo, s42
	s_delay_alu instid0(SALU_CYCLE_1)
	s_mov_b32 s42, exec_lo
	v_cmpx_lt_u32_e64 v102, v135
	s_cbranch_execnz .LBB1434_1147
.LBB1434_1081:                          ;   in Loop: Header=BB1434_974 Depth=2
	s_wait_alu 0xfffe
	s_or_b32 exec_lo, exec_lo, s42
	s_delay_alu instid0(SALU_CYCLE_1)
	s_mov_b32 s42, exec_lo
	v_cmpx_lt_u32_e64 v103, v135
	s_cbranch_execnz .LBB1434_1148
.LBB1434_1082:                          ;   in Loop: Header=BB1434_974 Depth=2
	s_wait_alu 0xfffe
	s_or_b32 exec_lo, exec_lo, s42
	s_delay_alu instid0(SALU_CYCLE_1)
	s_mov_b32 s42, exec_lo
	v_cmpx_lt_u32_e64 v104, v135
	s_cbranch_execnz .LBB1434_1149
.LBB1434_1083:                          ;   in Loop: Header=BB1434_974 Depth=2
	s_wait_alu 0xfffe
	s_or_b32 exec_lo, exec_lo, s42
	s_delay_alu instid0(SALU_CYCLE_1)
	s_mov_b32 s42, exec_lo
	v_cmpx_lt_u32_e64 v105, v135
	s_cbranch_execnz .LBB1434_1150
.LBB1434_1084:                          ;   in Loop: Header=BB1434_974 Depth=2
	s_wait_alu 0xfffe
	s_or_b32 exec_lo, exec_lo, s42
	s_delay_alu instid0(SALU_CYCLE_1)
	s_mov_b32 s42, exec_lo
	v_cmpx_lt_u32_e64 v106, v135
	s_cbranch_execnz .LBB1434_1151
.LBB1434_1085:                          ;   in Loop: Header=BB1434_974 Depth=2
	s_wait_alu 0xfffe
	s_or_b32 exec_lo, exec_lo, s42
	s_and_saveexec_b32 s42, vcc_lo
	s_cbranch_execnz .LBB1434_1152
.LBB1434_1086:                          ;   in Loop: Header=BB1434_974 Depth=2
	s_wait_alu 0xfffe
	s_or_b32 exec_lo, exec_lo, s42
	s_and_saveexec_b32 s42, s15
	s_cbranch_execnz .LBB1434_1153
.LBB1434_1087:                          ;   in Loop: Header=BB1434_974 Depth=2
	s_wait_alu 0xfffe
	s_or_b32 exec_lo, exec_lo, s42
	s_and_saveexec_b32 s42, s16
	s_cbranch_execnz .LBB1434_1154
.LBB1434_1088:                          ;   in Loop: Header=BB1434_974 Depth=2
	s_wait_alu 0xfffe
	s_or_b32 exec_lo, exec_lo, s42
	s_and_saveexec_b32 s42, s17
	s_cbranch_execnz .LBB1434_1155
.LBB1434_1089:                          ;   in Loop: Header=BB1434_974 Depth=2
	s_wait_alu 0xfffe
	s_or_b32 exec_lo, exec_lo, s42
	s_and_saveexec_b32 s42, s18
	s_cbranch_execnz .LBB1434_1156
.LBB1434_1090:                          ;   in Loop: Header=BB1434_974 Depth=2
	s_wait_alu 0xfffe
	s_or_b32 exec_lo, exec_lo, s42
	s_and_saveexec_b32 s42, s19
	s_cbranch_execnz .LBB1434_1157
.LBB1434_1091:                          ;   in Loop: Header=BB1434_974 Depth=2
	s_wait_alu 0xfffe
	s_or_b32 exec_lo, exec_lo, s42
	s_and_saveexec_b32 s42, s20
	s_cbranch_execnz .LBB1434_1158
.LBB1434_1092:                          ;   in Loop: Header=BB1434_974 Depth=2
	s_wait_alu 0xfffe
	s_or_b32 exec_lo, exec_lo, s42
	s_and_saveexec_b32 s42, s21
	s_cbranch_execnz .LBB1434_1159
.LBB1434_1093:                          ;   in Loop: Header=BB1434_974 Depth=2
	s_wait_alu 0xfffe
	s_or_b32 exec_lo, exec_lo, s42
	s_and_saveexec_b32 s42, s22
	s_cbranch_execnz .LBB1434_1160
.LBB1434_1094:                          ;   in Loop: Header=BB1434_974 Depth=2
	s_wait_alu 0xfffe
	s_or_b32 exec_lo, exec_lo, s42
	s_and_saveexec_b32 s42, s23
	s_cbranch_execnz .LBB1434_1161
.LBB1434_1095:                          ;   in Loop: Header=BB1434_974 Depth=2
	s_wait_alu 0xfffe
	s_or_b32 exec_lo, exec_lo, s42
	s_and_saveexec_b32 s42, s24
	s_cbranch_execnz .LBB1434_1162
.LBB1434_1096:                          ;   in Loop: Header=BB1434_974 Depth=2
	s_wait_alu 0xfffe
	s_or_b32 exec_lo, exec_lo, s42
	s_and_saveexec_b32 s42, s25
	s_cbranch_execnz .LBB1434_1163
.LBB1434_1097:                          ;   in Loop: Header=BB1434_974 Depth=2
	s_wait_alu 0xfffe
	s_or_b32 exec_lo, exec_lo, s42
	s_and_saveexec_b32 s42, s26
	s_cbranch_execnz .LBB1434_1164
.LBB1434_1098:                          ;   in Loop: Header=BB1434_974 Depth=2
	s_wait_alu 0xfffe
	s_or_b32 exec_lo, exec_lo, s42
	s_and_saveexec_b32 s42, s27
	s_cbranch_execnz .LBB1434_1165
.LBB1434_1099:                          ;   in Loop: Header=BB1434_974 Depth=2
	s_wait_alu 0xfffe
	s_or_b32 exec_lo, exec_lo, s42
	s_and_saveexec_b32 s42, s28
	s_cbranch_execnz .LBB1434_1166
.LBB1434_1100:                          ;   in Loop: Header=BB1434_974 Depth=2
	s_wait_alu 0xfffe
	s_or_b32 exec_lo, exec_lo, s42
	s_and_saveexec_b32 s42, s29
	s_cbranch_execz .LBB1434_1102
.LBB1434_1101:                          ;   in Loop: Header=BB1434_974 Depth=2
	ds_load_b32 v2, v70 offset:16384
	s_wait_dscnt 0x0
	v_cmp_ne_u32_e64 s30, 0x7fffffff, v2
	s_wait_alu 0xf1ff
	s_delay_alu instid0(VALU_DEP_1) | instskip(NEXT) | instid1(VALU_DEP_1)
	v_cndmask_b32_e64 v2, 0x80000000, v2, s30
	v_lshrrev_b32_e32 v2, s49, v2
	s_delay_alu instid0(VALU_DEP_1)
	v_and_b32_e32 v119, s48, v2
.LBB1434_1102:                          ;   in Loop: Header=BB1434_974 Depth=2
	s_wait_alu 0xfffe
	s_or_b32 exec_lo, exec_lo, s42
	v_lshlrev_b32_e32 v2, 3, v154
	s_wait_loadcnt 0x0
	s_wait_storecnt 0x0
	s_barrier_signal -1
	s_barrier_wait -1
	global_inv scope:SCOPE_SE
	ds_store_b64 v2, v[34:35] offset:1024
	v_lshlrev_b32_e32 v2, 3, v150
	v_lshlrev_b32_e32 v36, 3, v146
	v_lshlrev_b32_e32 v37, 3, v145
	v_lshlrev_b32_e32 v135, 3, v144
	v_lshlrev_b32_e32 v136, 3, v142
	ds_store_b64 v2, v[32:33] offset:1024
	ds_store_b64 v36, v[30:31] offset:1024
	ds_store_b64 v37, v[28:29] offset:1024
	ds_store_b64 v135, v[26:27] offset:1024
	ds_store_b64 v136, v[24:25] offset:1024
	v_lshlrev_b32_e32 v2, 3, v141
	v_lshlrev_b32_e32 v36, 3, v140
	v_lshlrev_b32_e32 v37, 3, v139
	v_lshlrev_b32_e32 v135, 3, v138
	v_lshlrev_b32_e32 v136, 3, v137
	ds_store_b64 v2, v[22:23] offset:1024
	ds_store_b64 v36, v[20:21] offset:1024
	ds_store_b64 v37, v[18:19] offset:1024
	ds_store_b64 v135, v[16:17] offset:1024
	;; [unrolled: 10-line block ×3, first 2 shown]
	ds_store_b64 v40, v[4:5] offset:1024
	v_add_nc_u32_e32 v36, v70, v44
	s_wait_loadcnt_dscnt 0x0
	s_barrier_signal -1
	s_barrier_wait -1
	global_inv scope:SCOPE_SE
	s_and_saveexec_b32 s30, vcc_lo
	s_cbranch_execnz .LBB1434_1167
; %bb.1103:                             ;   in Loop: Header=BB1434_974 Depth=2
	s_wait_alu 0xfffe
	s_or_b32 exec_lo, exec_lo, s30
	s_and_saveexec_b32 s30, s15
	s_cbranch_execnz .LBB1434_1168
.LBB1434_1104:                          ;   in Loop: Header=BB1434_974 Depth=2
	s_wait_alu 0xfffe
	s_or_b32 exec_lo, exec_lo, s30
	s_and_saveexec_b32 s15, s16
	s_cbranch_execnz .LBB1434_1169
.LBB1434_1105:                          ;   in Loop: Header=BB1434_974 Depth=2
	s_wait_alu 0xfffe
	s_or_b32 exec_lo, exec_lo, s15
	s_and_saveexec_b32 s15, s17
	s_cbranch_execnz .LBB1434_1170
.LBB1434_1106:                          ;   in Loop: Header=BB1434_974 Depth=2
	s_wait_alu 0xfffe
	s_or_b32 exec_lo, exec_lo, s15
	s_and_saveexec_b32 s15, s18
	s_cbranch_execnz .LBB1434_1171
.LBB1434_1107:                          ;   in Loop: Header=BB1434_974 Depth=2
	s_wait_alu 0xfffe
	s_or_b32 exec_lo, exec_lo, s15
	s_and_saveexec_b32 s15, s19
	s_cbranch_execnz .LBB1434_1172
.LBB1434_1108:                          ;   in Loop: Header=BB1434_974 Depth=2
	s_wait_alu 0xfffe
	s_or_b32 exec_lo, exec_lo, s15
	s_and_saveexec_b32 s15, s20
	s_cbranch_execnz .LBB1434_1173
.LBB1434_1109:                          ;   in Loop: Header=BB1434_974 Depth=2
	s_wait_alu 0xfffe
	s_or_b32 exec_lo, exec_lo, s15
	s_and_saveexec_b32 s15, s21
	s_cbranch_execnz .LBB1434_1174
.LBB1434_1110:                          ;   in Loop: Header=BB1434_974 Depth=2
	s_wait_alu 0xfffe
	s_or_b32 exec_lo, exec_lo, s15
	s_and_saveexec_b32 s15, s22
	s_cbranch_execnz .LBB1434_1175
.LBB1434_1111:                          ;   in Loop: Header=BB1434_974 Depth=2
	s_wait_alu 0xfffe
	s_or_b32 exec_lo, exec_lo, s15
	s_and_saveexec_b32 s15, s23
	s_cbranch_execnz .LBB1434_1176
.LBB1434_1112:                          ;   in Loop: Header=BB1434_974 Depth=2
	s_wait_alu 0xfffe
	s_or_b32 exec_lo, exec_lo, s15
	s_and_saveexec_b32 s15, s24
	s_cbranch_execnz .LBB1434_1177
.LBB1434_1113:                          ;   in Loop: Header=BB1434_974 Depth=2
	s_wait_alu 0xfffe
	s_or_b32 exec_lo, exec_lo, s15
	s_and_saveexec_b32 s15, s25
	s_cbranch_execnz .LBB1434_1178
.LBB1434_1114:                          ;   in Loop: Header=BB1434_974 Depth=2
	s_wait_alu 0xfffe
	s_or_b32 exec_lo, exec_lo, s15
	s_and_saveexec_b32 s15, s26
	s_cbranch_execnz .LBB1434_1179
.LBB1434_1115:                          ;   in Loop: Header=BB1434_974 Depth=2
	s_wait_alu 0xfffe
	s_or_b32 exec_lo, exec_lo, s15
	s_and_saveexec_b32 s15, s27
	s_cbranch_execnz .LBB1434_1180
.LBB1434_1116:                          ;   in Loop: Header=BB1434_974 Depth=2
	s_wait_alu 0xfffe
	s_or_b32 exec_lo, exec_lo, s15
	s_and_saveexec_b32 s15, s28
	s_cbranch_execnz .LBB1434_1181
.LBB1434_1117:                          ;   in Loop: Header=BB1434_974 Depth=2
	s_wait_alu 0xfffe
	s_or_b32 exec_lo, exec_lo, s15
	s_and_saveexec_b32 s15, s29
	s_cbranch_execz .LBB1434_1119
.LBB1434_1118:                          ;   in Loop: Header=BB1434_974 Depth=2
	v_lshlrev_b32_e32 v2, 2, v119
	ds_load_b32 v2, v2
	ds_load_b64 v[36:37], v36 offset:31744
	s_wait_dscnt 0x1
	v_add_nc_u32_e32 v2, v2, v61
	s_delay_alu instid0(VALU_DEP_1) | instskip(NEXT) | instid1(VALU_DEP_1)
	v_lshlrev_b64_e32 v[39:40], 3, v[2:3]
	v_add_co_u32 v39, vcc_lo, s46, v39
	s_wait_alu 0xfffd
	s_delay_alu instid0(VALU_DEP_2)
	v_add_co_ci_u32_e64 v40, null, s47, v40, vcc_lo
	s_wait_dscnt 0x0
	global_store_b64 v[39:40], v[36:37], off
.LBB1434_1119:                          ;   in Loop: Header=BB1434_974 Depth=2
	s_wait_alu 0xfffe
	s_or_b32 exec_lo, exec_lo, s15
	s_wait_loadcnt 0x0
	s_wait_storecnt 0x0
	s_barrier_signal -1
	s_barrier_wait -1
	global_inv scope:SCOPE_SE
	s_and_saveexec_b32 s15, s2
	s_cbranch_execz .LBB1434_973
; %bb.1120:                             ;   in Loop: Header=BB1434_974 Depth=2
	ds_load_b32 v2, v44
	s_wait_dscnt 0x0
	v_add_nc_u32_e32 v2, v2, v38
	ds_store_b32 v44, v2
	s_branch .LBB1434_973
.LBB1434_1121:                          ;   in Loop: Header=BB1434_974 Depth=2
	ds_load_b32 v136, v70 offset:1024
	s_wait_dscnt 0x0
	v_cmp_ne_u32_e64 s15, 0x7fffffff, v136
	s_wait_alu 0xf1ff
	s_delay_alu instid0(VALU_DEP_1) | instskip(SKIP_1) | instid1(VALU_DEP_2)
	v_cndmask_b32_e64 v2, 0x80000000, v136, s15
	v_cmp_lt_i32_e64 s15, -1, v136
	v_lshrrev_b32_e32 v2, s49, v2
	s_wait_alu 0xf1ff
	s_delay_alu instid0(VALU_DEP_2) | instskip(NEXT) | instid1(VALU_DEP_2)
	v_cndmask_b32_e64 v143, 0x80000000, -1, s15
	v_and_b32_e32 v2, s48, v2
	s_delay_alu instid0(VALU_DEP_1) | instskip(SKIP_3) | instid1(VALU_DEP_1)
	v_lshlrev_b32_e32 v2, 2, v2
	ds_load_b32 v2, v2
	s_wait_dscnt 0x0
	v_add_nc_u32_e32 v2, v2, v1
	v_lshlrev_b64_e32 v[36:37], 2, v[2:3]
	v_xor_b32_e32 v2, v143, v136
	s_delay_alu instid0(VALU_DEP_2) | instskip(SKIP_1) | instid1(VALU_DEP_3)
	v_add_co_u32 v36, s15, s40, v36
	s_wait_alu 0xf1ff
	v_add_co_ci_u32_e64 v37, null, s41, v37, s15
	global_store_b32 v[36:37], v2, off
	s_wait_alu 0xfffe
	s_or_b32 exec_lo, exec_lo, s16
	v_cmp_lt_u32_e64 s15, v45, v135
	s_and_saveexec_b32 s17, s15
	s_cbranch_execz .LBB1434_1054
.LBB1434_1122:                          ;   in Loop: Header=BB1434_974 Depth=2
	ds_load_b32 v136, v70 offset:2048
	s_wait_dscnt 0x0
	v_cmp_ne_u32_e64 s16, 0x7fffffff, v136
	s_wait_alu 0xf1ff
	s_delay_alu instid0(VALU_DEP_1) | instskip(SKIP_1) | instid1(VALU_DEP_2)
	v_cndmask_b32_e64 v2, 0x80000000, v136, s16
	v_cmp_lt_i32_e64 s16, -1, v136
	v_lshrrev_b32_e32 v2, s49, v2
	s_wait_alu 0xf1ff
	s_delay_alu instid0(VALU_DEP_2) | instskip(NEXT) | instid1(VALU_DEP_2)
	v_cndmask_b32_e64 v143, 0x80000000, -1, s16
	v_and_b32_e32 v2, s48, v2
	s_delay_alu instid0(VALU_DEP_1) | instskip(SKIP_3) | instid1(VALU_DEP_1)
	v_lshlrev_b32_e32 v2, 2, v2
	ds_load_b32 v2, v2
	s_wait_dscnt 0x0
	v_add_nc_u32_e32 v2, v2, v45
	v_lshlrev_b64_e32 v[36:37], 2, v[2:3]
	v_xor_b32_e32 v2, v143, v136
	s_delay_alu instid0(VALU_DEP_2) | instskip(SKIP_1) | instid1(VALU_DEP_3)
	v_add_co_u32 v36, s16, s40, v36
	s_wait_alu 0xf1ff
	v_add_co_ci_u32_e64 v37, null, s41, v37, s16
	global_store_b32 v[36:37], v2, off
	s_wait_alu 0xfffe
	s_or_b32 exec_lo, exec_lo, s17
	v_cmp_lt_u32_e64 s16, v46, v135
	s_and_saveexec_b32 s18, s16
	s_cbranch_execz .LBB1434_1055
.LBB1434_1123:                          ;   in Loop: Header=BB1434_974 Depth=2
	ds_load_b32 v136, v70 offset:3072
	s_wait_dscnt 0x0
	v_cmp_ne_u32_e64 s17, 0x7fffffff, v136
	s_wait_alu 0xf1ff
	s_delay_alu instid0(VALU_DEP_1) | instskip(SKIP_1) | instid1(VALU_DEP_2)
	v_cndmask_b32_e64 v2, 0x80000000, v136, s17
	v_cmp_lt_i32_e64 s17, -1, v136
	v_lshrrev_b32_e32 v2, s49, v2
	s_wait_alu 0xf1ff
	s_delay_alu instid0(VALU_DEP_2) | instskip(NEXT) | instid1(VALU_DEP_2)
	v_cndmask_b32_e64 v143, 0x80000000, -1, s17
	v_and_b32_e32 v2, s48, v2
	s_delay_alu instid0(VALU_DEP_1) | instskip(SKIP_3) | instid1(VALU_DEP_1)
	v_lshlrev_b32_e32 v2, 2, v2
	ds_load_b32 v2, v2
	s_wait_dscnt 0x0
	v_add_nc_u32_e32 v2, v2, v46
	v_lshlrev_b64_e32 v[36:37], 2, v[2:3]
	v_xor_b32_e32 v2, v143, v136
	s_delay_alu instid0(VALU_DEP_2) | instskip(SKIP_1) | instid1(VALU_DEP_3)
	v_add_co_u32 v36, s17, s40, v36
	s_wait_alu 0xf1ff
	v_add_co_ci_u32_e64 v37, null, s41, v37, s17
	global_store_b32 v[36:37], v2, off
	s_wait_alu 0xfffe
	s_or_b32 exec_lo, exec_lo, s18
	v_cmp_lt_u32_e64 s17, v47, v135
	s_and_saveexec_b32 s19, s17
	s_cbranch_execz .LBB1434_1056
.LBB1434_1124:                          ;   in Loop: Header=BB1434_974 Depth=2
	ds_load_b32 v136, v70 offset:4096
	s_wait_dscnt 0x0
	v_cmp_ne_u32_e64 s18, 0x7fffffff, v136
	s_wait_alu 0xf1ff
	s_delay_alu instid0(VALU_DEP_1) | instskip(SKIP_1) | instid1(VALU_DEP_2)
	v_cndmask_b32_e64 v2, 0x80000000, v136, s18
	v_cmp_lt_i32_e64 s18, -1, v136
	v_lshrrev_b32_e32 v2, s49, v2
	s_wait_alu 0xf1ff
	s_delay_alu instid0(VALU_DEP_2) | instskip(NEXT) | instid1(VALU_DEP_2)
	v_cndmask_b32_e64 v143, 0x80000000, -1, s18
	v_and_b32_e32 v2, s48, v2
	s_delay_alu instid0(VALU_DEP_1) | instskip(SKIP_3) | instid1(VALU_DEP_1)
	v_lshlrev_b32_e32 v2, 2, v2
	ds_load_b32 v2, v2
	s_wait_dscnt 0x0
	v_add_nc_u32_e32 v2, v2, v47
	v_lshlrev_b64_e32 v[36:37], 2, v[2:3]
	v_xor_b32_e32 v2, v143, v136
	s_delay_alu instid0(VALU_DEP_2) | instskip(SKIP_1) | instid1(VALU_DEP_3)
	v_add_co_u32 v36, s18, s40, v36
	s_wait_alu 0xf1ff
	v_add_co_ci_u32_e64 v37, null, s41, v37, s18
	global_store_b32 v[36:37], v2, off
	s_wait_alu 0xfffe
	s_or_b32 exec_lo, exec_lo, s19
	v_cmp_lt_u32_e64 s18, v50, v135
	s_and_saveexec_b32 s20, s18
	s_cbranch_execz .LBB1434_1057
.LBB1434_1125:                          ;   in Loop: Header=BB1434_974 Depth=2
	ds_load_b32 v136, v70 offset:5120
	s_wait_dscnt 0x0
	v_cmp_ne_u32_e64 s19, 0x7fffffff, v136
	s_wait_alu 0xf1ff
	s_delay_alu instid0(VALU_DEP_1) | instskip(SKIP_1) | instid1(VALU_DEP_2)
	v_cndmask_b32_e64 v2, 0x80000000, v136, s19
	v_cmp_lt_i32_e64 s19, -1, v136
	v_lshrrev_b32_e32 v2, s49, v2
	s_wait_alu 0xf1ff
	s_delay_alu instid0(VALU_DEP_2) | instskip(NEXT) | instid1(VALU_DEP_2)
	v_cndmask_b32_e64 v143, 0x80000000, -1, s19
	v_and_b32_e32 v2, s48, v2
	s_delay_alu instid0(VALU_DEP_1) | instskip(SKIP_3) | instid1(VALU_DEP_1)
	v_lshlrev_b32_e32 v2, 2, v2
	ds_load_b32 v2, v2
	s_wait_dscnt 0x0
	v_add_nc_u32_e32 v2, v2, v50
	v_lshlrev_b64_e32 v[36:37], 2, v[2:3]
	v_xor_b32_e32 v2, v143, v136
	s_delay_alu instid0(VALU_DEP_2) | instskip(SKIP_1) | instid1(VALU_DEP_3)
	v_add_co_u32 v36, s19, s40, v36
	s_wait_alu 0xf1ff
	v_add_co_ci_u32_e64 v37, null, s41, v37, s19
	global_store_b32 v[36:37], v2, off
	s_wait_alu 0xfffe
	s_or_b32 exec_lo, exec_lo, s20
	v_cmp_lt_u32_e64 s19, v51, v135
	s_and_saveexec_b32 s21, s19
	s_cbranch_execz .LBB1434_1058
.LBB1434_1126:                          ;   in Loop: Header=BB1434_974 Depth=2
	ds_load_b32 v136, v70 offset:6144
	s_wait_dscnt 0x0
	v_cmp_ne_u32_e64 s20, 0x7fffffff, v136
	s_wait_alu 0xf1ff
	s_delay_alu instid0(VALU_DEP_1) | instskip(SKIP_1) | instid1(VALU_DEP_2)
	v_cndmask_b32_e64 v2, 0x80000000, v136, s20
	v_cmp_lt_i32_e64 s20, -1, v136
	v_lshrrev_b32_e32 v2, s49, v2
	s_wait_alu 0xf1ff
	s_delay_alu instid0(VALU_DEP_2) | instskip(NEXT) | instid1(VALU_DEP_2)
	v_cndmask_b32_e64 v143, 0x80000000, -1, s20
	v_and_b32_e32 v2, s48, v2
	s_delay_alu instid0(VALU_DEP_1) | instskip(SKIP_3) | instid1(VALU_DEP_1)
	v_lshlrev_b32_e32 v2, 2, v2
	ds_load_b32 v2, v2
	s_wait_dscnt 0x0
	v_add_nc_u32_e32 v2, v2, v51
	v_lshlrev_b64_e32 v[36:37], 2, v[2:3]
	v_xor_b32_e32 v2, v143, v136
	s_delay_alu instid0(VALU_DEP_2) | instskip(SKIP_1) | instid1(VALU_DEP_3)
	v_add_co_u32 v36, s20, s40, v36
	s_wait_alu 0xf1ff
	v_add_co_ci_u32_e64 v37, null, s41, v37, s20
	global_store_b32 v[36:37], v2, off
	s_wait_alu 0xfffe
	s_or_b32 exec_lo, exec_lo, s21
	v_cmp_lt_u32_e64 s20, v52, v135
	s_and_saveexec_b32 s22, s20
	s_cbranch_execz .LBB1434_1059
.LBB1434_1127:                          ;   in Loop: Header=BB1434_974 Depth=2
	ds_load_b32 v136, v70 offset:7168
	s_wait_dscnt 0x0
	v_cmp_ne_u32_e64 s21, 0x7fffffff, v136
	s_wait_alu 0xf1ff
	s_delay_alu instid0(VALU_DEP_1) | instskip(SKIP_1) | instid1(VALU_DEP_2)
	v_cndmask_b32_e64 v2, 0x80000000, v136, s21
	v_cmp_lt_i32_e64 s21, -1, v136
	v_lshrrev_b32_e32 v2, s49, v2
	s_wait_alu 0xf1ff
	s_delay_alu instid0(VALU_DEP_2) | instskip(NEXT) | instid1(VALU_DEP_2)
	v_cndmask_b32_e64 v143, 0x80000000, -1, s21
	v_and_b32_e32 v2, s48, v2
	s_delay_alu instid0(VALU_DEP_1) | instskip(SKIP_3) | instid1(VALU_DEP_1)
	v_lshlrev_b32_e32 v2, 2, v2
	ds_load_b32 v2, v2
	s_wait_dscnt 0x0
	v_add_nc_u32_e32 v2, v2, v52
	v_lshlrev_b64_e32 v[36:37], 2, v[2:3]
	v_xor_b32_e32 v2, v143, v136
	s_delay_alu instid0(VALU_DEP_2) | instskip(SKIP_1) | instid1(VALU_DEP_3)
	v_add_co_u32 v36, s21, s40, v36
	s_wait_alu 0xf1ff
	v_add_co_ci_u32_e64 v37, null, s41, v37, s21
	global_store_b32 v[36:37], v2, off
	s_wait_alu 0xfffe
	s_or_b32 exec_lo, exec_lo, s22
	v_cmp_lt_u32_e64 s21, v53, v135
	s_and_saveexec_b32 s23, s21
	s_cbranch_execz .LBB1434_1060
.LBB1434_1128:                          ;   in Loop: Header=BB1434_974 Depth=2
	ds_load_b32 v136, v70 offset:8192
	s_wait_dscnt 0x0
	v_cmp_ne_u32_e64 s22, 0x7fffffff, v136
	s_wait_alu 0xf1ff
	s_delay_alu instid0(VALU_DEP_1) | instskip(SKIP_1) | instid1(VALU_DEP_2)
	v_cndmask_b32_e64 v2, 0x80000000, v136, s22
	v_cmp_lt_i32_e64 s22, -1, v136
	v_lshrrev_b32_e32 v2, s49, v2
	s_wait_alu 0xf1ff
	s_delay_alu instid0(VALU_DEP_2) | instskip(NEXT) | instid1(VALU_DEP_2)
	v_cndmask_b32_e64 v143, 0x80000000, -1, s22
	v_and_b32_e32 v2, s48, v2
	s_delay_alu instid0(VALU_DEP_1) | instskip(SKIP_3) | instid1(VALU_DEP_1)
	v_lshlrev_b32_e32 v2, 2, v2
	ds_load_b32 v2, v2
	s_wait_dscnt 0x0
	v_add_nc_u32_e32 v2, v2, v53
	v_lshlrev_b64_e32 v[36:37], 2, v[2:3]
	v_xor_b32_e32 v2, v143, v136
	s_delay_alu instid0(VALU_DEP_2) | instskip(SKIP_1) | instid1(VALU_DEP_3)
	v_add_co_u32 v36, s22, s40, v36
	s_wait_alu 0xf1ff
	v_add_co_ci_u32_e64 v37, null, s41, v37, s22
	global_store_b32 v[36:37], v2, off
	s_wait_alu 0xfffe
	s_or_b32 exec_lo, exec_lo, s23
	v_cmp_lt_u32_e64 s22, v54, v135
	s_and_saveexec_b32 s24, s22
	s_cbranch_execz .LBB1434_1061
.LBB1434_1129:                          ;   in Loop: Header=BB1434_974 Depth=2
	ds_load_b32 v136, v70 offset:9216
	s_wait_dscnt 0x0
	v_cmp_ne_u32_e64 s23, 0x7fffffff, v136
	s_wait_alu 0xf1ff
	s_delay_alu instid0(VALU_DEP_1) | instskip(SKIP_1) | instid1(VALU_DEP_2)
	v_cndmask_b32_e64 v2, 0x80000000, v136, s23
	v_cmp_lt_i32_e64 s23, -1, v136
	v_lshrrev_b32_e32 v2, s49, v2
	s_wait_alu 0xf1ff
	s_delay_alu instid0(VALU_DEP_2) | instskip(NEXT) | instid1(VALU_DEP_2)
	v_cndmask_b32_e64 v143, 0x80000000, -1, s23
	v_and_b32_e32 v2, s48, v2
	s_delay_alu instid0(VALU_DEP_1) | instskip(SKIP_3) | instid1(VALU_DEP_1)
	v_lshlrev_b32_e32 v2, 2, v2
	ds_load_b32 v2, v2
	s_wait_dscnt 0x0
	v_add_nc_u32_e32 v2, v2, v54
	v_lshlrev_b64_e32 v[36:37], 2, v[2:3]
	v_xor_b32_e32 v2, v143, v136
	s_delay_alu instid0(VALU_DEP_2) | instskip(SKIP_1) | instid1(VALU_DEP_3)
	v_add_co_u32 v36, s23, s40, v36
	s_wait_alu 0xf1ff
	v_add_co_ci_u32_e64 v37, null, s41, v37, s23
	global_store_b32 v[36:37], v2, off
	s_wait_alu 0xfffe
	s_or_b32 exec_lo, exec_lo, s24
	v_cmp_lt_u32_e64 s23, v55, v135
	s_and_saveexec_b32 s25, s23
	s_cbranch_execz .LBB1434_1062
.LBB1434_1130:                          ;   in Loop: Header=BB1434_974 Depth=2
	ds_load_b32 v136, v70 offset:10240
	s_wait_dscnt 0x0
	v_cmp_ne_u32_e64 s24, 0x7fffffff, v136
	s_wait_alu 0xf1ff
	s_delay_alu instid0(VALU_DEP_1) | instskip(SKIP_1) | instid1(VALU_DEP_2)
	v_cndmask_b32_e64 v2, 0x80000000, v136, s24
	v_cmp_lt_i32_e64 s24, -1, v136
	v_lshrrev_b32_e32 v2, s49, v2
	s_wait_alu 0xf1ff
	s_delay_alu instid0(VALU_DEP_2) | instskip(NEXT) | instid1(VALU_DEP_2)
	v_cndmask_b32_e64 v143, 0x80000000, -1, s24
	v_and_b32_e32 v2, s48, v2
	s_delay_alu instid0(VALU_DEP_1) | instskip(SKIP_3) | instid1(VALU_DEP_1)
	v_lshlrev_b32_e32 v2, 2, v2
	ds_load_b32 v2, v2
	s_wait_dscnt 0x0
	v_add_nc_u32_e32 v2, v2, v55
	v_lshlrev_b64_e32 v[36:37], 2, v[2:3]
	v_xor_b32_e32 v2, v143, v136
	s_delay_alu instid0(VALU_DEP_2) | instskip(SKIP_1) | instid1(VALU_DEP_3)
	v_add_co_u32 v36, s24, s40, v36
	s_wait_alu 0xf1ff
	v_add_co_ci_u32_e64 v37, null, s41, v37, s24
	global_store_b32 v[36:37], v2, off
	s_wait_alu 0xfffe
	s_or_b32 exec_lo, exec_lo, s25
	v_cmp_lt_u32_e64 s24, v56, v135
	s_and_saveexec_b32 s26, s24
	s_cbranch_execz .LBB1434_1063
.LBB1434_1131:                          ;   in Loop: Header=BB1434_974 Depth=2
	ds_load_b32 v136, v70 offset:11264
	s_wait_dscnt 0x0
	v_cmp_ne_u32_e64 s25, 0x7fffffff, v136
	s_wait_alu 0xf1ff
	s_delay_alu instid0(VALU_DEP_1) | instskip(SKIP_1) | instid1(VALU_DEP_2)
	v_cndmask_b32_e64 v2, 0x80000000, v136, s25
	v_cmp_lt_i32_e64 s25, -1, v136
	v_lshrrev_b32_e32 v2, s49, v2
	s_wait_alu 0xf1ff
	s_delay_alu instid0(VALU_DEP_2) | instskip(NEXT) | instid1(VALU_DEP_2)
	v_cndmask_b32_e64 v143, 0x80000000, -1, s25
	v_and_b32_e32 v2, s48, v2
	s_delay_alu instid0(VALU_DEP_1) | instskip(SKIP_3) | instid1(VALU_DEP_1)
	v_lshlrev_b32_e32 v2, 2, v2
	ds_load_b32 v2, v2
	s_wait_dscnt 0x0
	v_add_nc_u32_e32 v2, v2, v56
	v_lshlrev_b64_e32 v[36:37], 2, v[2:3]
	v_xor_b32_e32 v2, v143, v136
	s_delay_alu instid0(VALU_DEP_2) | instskip(SKIP_1) | instid1(VALU_DEP_3)
	v_add_co_u32 v36, s25, s40, v36
	s_wait_alu 0xf1ff
	v_add_co_ci_u32_e64 v37, null, s41, v37, s25
	global_store_b32 v[36:37], v2, off
	s_wait_alu 0xfffe
	s_or_b32 exec_lo, exec_lo, s26
	v_cmp_lt_u32_e64 s25, v57, v135
	s_and_saveexec_b32 s27, s25
	s_cbranch_execz .LBB1434_1064
.LBB1434_1132:                          ;   in Loop: Header=BB1434_974 Depth=2
	ds_load_b32 v136, v70 offset:12288
	s_wait_dscnt 0x0
	v_cmp_ne_u32_e64 s26, 0x7fffffff, v136
	s_wait_alu 0xf1ff
	s_delay_alu instid0(VALU_DEP_1) | instskip(SKIP_1) | instid1(VALU_DEP_2)
	v_cndmask_b32_e64 v2, 0x80000000, v136, s26
	v_cmp_lt_i32_e64 s26, -1, v136
	v_lshrrev_b32_e32 v2, s49, v2
	s_wait_alu 0xf1ff
	s_delay_alu instid0(VALU_DEP_2) | instskip(NEXT) | instid1(VALU_DEP_2)
	v_cndmask_b32_e64 v143, 0x80000000, -1, s26
	v_and_b32_e32 v2, s48, v2
	s_delay_alu instid0(VALU_DEP_1) | instskip(SKIP_3) | instid1(VALU_DEP_1)
	v_lshlrev_b32_e32 v2, 2, v2
	ds_load_b32 v2, v2
	s_wait_dscnt 0x0
	v_add_nc_u32_e32 v2, v2, v57
	v_lshlrev_b64_e32 v[36:37], 2, v[2:3]
	v_xor_b32_e32 v2, v143, v136
	s_delay_alu instid0(VALU_DEP_2) | instskip(SKIP_1) | instid1(VALU_DEP_3)
	v_add_co_u32 v36, s26, s40, v36
	s_wait_alu 0xf1ff
	v_add_co_ci_u32_e64 v37, null, s41, v37, s26
	global_store_b32 v[36:37], v2, off
	s_wait_alu 0xfffe
	s_or_b32 exec_lo, exec_lo, s27
	v_cmp_lt_u32_e64 s26, v58, v135
	s_and_saveexec_b32 s28, s26
	s_cbranch_execz .LBB1434_1065
.LBB1434_1133:                          ;   in Loop: Header=BB1434_974 Depth=2
	ds_load_b32 v136, v70 offset:13312
	s_wait_dscnt 0x0
	v_cmp_ne_u32_e64 s27, 0x7fffffff, v136
	s_wait_alu 0xf1ff
	s_delay_alu instid0(VALU_DEP_1) | instskip(SKIP_1) | instid1(VALU_DEP_2)
	v_cndmask_b32_e64 v2, 0x80000000, v136, s27
	v_cmp_lt_i32_e64 s27, -1, v136
	v_lshrrev_b32_e32 v2, s49, v2
	s_wait_alu 0xf1ff
	s_delay_alu instid0(VALU_DEP_2) | instskip(NEXT) | instid1(VALU_DEP_2)
	v_cndmask_b32_e64 v143, 0x80000000, -1, s27
	v_and_b32_e32 v2, s48, v2
	s_delay_alu instid0(VALU_DEP_1) | instskip(SKIP_3) | instid1(VALU_DEP_1)
	v_lshlrev_b32_e32 v2, 2, v2
	ds_load_b32 v2, v2
	s_wait_dscnt 0x0
	v_add_nc_u32_e32 v2, v2, v58
	v_lshlrev_b64_e32 v[36:37], 2, v[2:3]
	v_xor_b32_e32 v2, v143, v136
	s_delay_alu instid0(VALU_DEP_2) | instskip(SKIP_1) | instid1(VALU_DEP_3)
	v_add_co_u32 v36, s27, s40, v36
	s_wait_alu 0xf1ff
	v_add_co_ci_u32_e64 v37, null, s41, v37, s27
	global_store_b32 v[36:37], v2, off
	s_wait_alu 0xfffe
	s_or_b32 exec_lo, exec_lo, s28
	v_cmp_lt_u32_e64 s27, v59, v135
	s_and_saveexec_b32 s29, s27
	s_cbranch_execz .LBB1434_1066
.LBB1434_1134:                          ;   in Loop: Header=BB1434_974 Depth=2
	ds_load_b32 v136, v70 offset:14336
	s_wait_dscnt 0x0
	v_cmp_ne_u32_e64 s28, 0x7fffffff, v136
	s_wait_alu 0xf1ff
	s_delay_alu instid0(VALU_DEP_1) | instskip(SKIP_1) | instid1(VALU_DEP_2)
	v_cndmask_b32_e64 v2, 0x80000000, v136, s28
	v_cmp_lt_i32_e64 s28, -1, v136
	v_lshrrev_b32_e32 v2, s49, v2
	s_wait_alu 0xf1ff
	s_delay_alu instid0(VALU_DEP_2) | instskip(NEXT) | instid1(VALU_DEP_2)
	v_cndmask_b32_e64 v143, 0x80000000, -1, s28
	v_and_b32_e32 v2, s48, v2
	s_delay_alu instid0(VALU_DEP_1) | instskip(SKIP_3) | instid1(VALU_DEP_1)
	v_lshlrev_b32_e32 v2, 2, v2
	ds_load_b32 v2, v2
	s_wait_dscnt 0x0
	v_add_nc_u32_e32 v2, v2, v59
	v_lshlrev_b64_e32 v[36:37], 2, v[2:3]
	v_xor_b32_e32 v2, v143, v136
	s_delay_alu instid0(VALU_DEP_2) | instskip(SKIP_1) | instid1(VALU_DEP_3)
	v_add_co_u32 v36, s28, s40, v36
	s_wait_alu 0xf1ff
	v_add_co_ci_u32_e64 v37, null, s41, v37, s28
	global_store_b32 v[36:37], v2, off
	s_wait_alu 0xfffe
	s_or_b32 exec_lo, exec_lo, s29
	v_cmp_lt_u32_e64 s28, v60, v135
	s_and_saveexec_b32 s30, s28
	s_cbranch_execz .LBB1434_1067
.LBB1434_1135:                          ;   in Loop: Header=BB1434_974 Depth=2
	ds_load_b32 v136, v70 offset:15360
	s_wait_dscnt 0x0
	v_cmp_ne_u32_e64 s29, 0x7fffffff, v136
	s_wait_alu 0xf1ff
	s_delay_alu instid0(VALU_DEP_1) | instskip(SKIP_1) | instid1(VALU_DEP_2)
	v_cndmask_b32_e64 v2, 0x80000000, v136, s29
	v_cmp_lt_i32_e64 s29, -1, v136
	v_lshrrev_b32_e32 v2, s49, v2
	s_wait_alu 0xf1ff
	s_delay_alu instid0(VALU_DEP_2) | instskip(NEXT) | instid1(VALU_DEP_2)
	v_cndmask_b32_e64 v143, 0x80000000, -1, s29
	v_and_b32_e32 v2, s48, v2
	s_delay_alu instid0(VALU_DEP_1) | instskip(SKIP_3) | instid1(VALU_DEP_1)
	v_lshlrev_b32_e32 v2, 2, v2
	ds_load_b32 v2, v2
	s_wait_dscnt 0x0
	v_add_nc_u32_e32 v2, v2, v60
	v_lshlrev_b64_e32 v[36:37], 2, v[2:3]
	v_xor_b32_e32 v2, v143, v136
	s_delay_alu instid0(VALU_DEP_2) | instskip(SKIP_1) | instid1(VALU_DEP_3)
	v_add_co_u32 v36, s29, s40, v36
	s_wait_alu 0xf1ff
	v_add_co_ci_u32_e64 v37, null, s41, v37, s29
	global_store_b32 v[36:37], v2, off
	s_wait_alu 0xfffe
	s_or_b32 exec_lo, exec_lo, s30
	v_cmp_lt_u32_e64 s29, v61, v135
	s_and_saveexec_b32 s56, s29
	s_cbranch_execnz .LBB1434_1068
	s_branch .LBB1434_1069
.LBB1434_1136:                          ;   in Loop: Header=BB1434_974 Depth=2
	global_load_b64 v[34:35], v[36:37], off
	s_wait_alu 0xfffe
	s_or_b32 exec_lo, exec_lo, s30
	s_delay_alu instid0(SALU_CYCLE_1)
	s_mov_b32 s42, exec_lo
	v_cmpx_lt_u32_e64 v92, v135
	s_cbranch_execz .LBB1434_1071
.LBB1434_1137:                          ;   in Loop: Header=BB1434_974 Depth=2
	global_load_b64 v[32:33], v[36:37], off offset:256
	s_wait_alu 0xfffe
	s_or_b32 exec_lo, exec_lo, s42
	s_delay_alu instid0(SALU_CYCLE_1)
	s_mov_b32 s42, exec_lo
	v_cmpx_lt_u32_e64 v93, v135
	s_cbranch_execz .LBB1434_1072
.LBB1434_1138:                          ;   in Loop: Header=BB1434_974 Depth=2
	global_load_b64 v[30:31], v[36:37], off offset:512
	s_wait_alu 0xfffe
	s_or_b32 exec_lo, exec_lo, s42
	s_delay_alu instid0(SALU_CYCLE_1)
	s_mov_b32 s42, exec_lo
	v_cmpx_lt_u32_e64 v94, v135
	s_cbranch_execz .LBB1434_1073
.LBB1434_1139:                          ;   in Loop: Header=BB1434_974 Depth=2
	global_load_b64 v[28:29], v[36:37], off offset:768
	s_wait_alu 0xfffe
	s_or_b32 exec_lo, exec_lo, s42
	s_delay_alu instid0(SALU_CYCLE_1)
	s_mov_b32 s42, exec_lo
	v_cmpx_lt_u32_e64 v95, v135
	s_cbranch_execz .LBB1434_1074
.LBB1434_1140:                          ;   in Loop: Header=BB1434_974 Depth=2
	global_load_b64 v[26:27], v[36:37], off offset:1024
	s_wait_alu 0xfffe
	s_or_b32 exec_lo, exec_lo, s42
	s_delay_alu instid0(SALU_CYCLE_1)
	s_mov_b32 s42, exec_lo
	v_cmpx_lt_u32_e64 v96, v135
	s_cbranch_execz .LBB1434_1075
.LBB1434_1141:                          ;   in Loop: Header=BB1434_974 Depth=2
	global_load_b64 v[24:25], v[36:37], off offset:1280
	s_wait_alu 0xfffe
	s_or_b32 exec_lo, exec_lo, s42
	s_delay_alu instid0(SALU_CYCLE_1)
	s_mov_b32 s42, exec_lo
	v_cmpx_lt_u32_e64 v97, v135
	s_cbranch_execz .LBB1434_1076
.LBB1434_1142:                          ;   in Loop: Header=BB1434_974 Depth=2
	global_load_b64 v[22:23], v[36:37], off offset:1536
	s_wait_alu 0xfffe
	s_or_b32 exec_lo, exec_lo, s42
	s_delay_alu instid0(SALU_CYCLE_1)
	s_mov_b32 s42, exec_lo
	v_cmpx_lt_u32_e64 v98, v135
	s_cbranch_execz .LBB1434_1077
.LBB1434_1143:                          ;   in Loop: Header=BB1434_974 Depth=2
	global_load_b64 v[20:21], v[36:37], off offset:1792
	s_wait_alu 0xfffe
	s_or_b32 exec_lo, exec_lo, s42
	s_delay_alu instid0(SALU_CYCLE_1)
	s_mov_b32 s42, exec_lo
	v_cmpx_lt_u32_e64 v99, v135
	s_cbranch_execz .LBB1434_1078
.LBB1434_1144:                          ;   in Loop: Header=BB1434_974 Depth=2
	global_load_b64 v[18:19], v[36:37], off offset:2048
	s_wait_alu 0xfffe
	s_or_b32 exec_lo, exec_lo, s42
	s_delay_alu instid0(SALU_CYCLE_1)
	s_mov_b32 s42, exec_lo
	v_cmpx_lt_u32_e64 v100, v135
	s_cbranch_execz .LBB1434_1079
.LBB1434_1145:                          ;   in Loop: Header=BB1434_974 Depth=2
	global_load_b64 v[16:17], v[36:37], off offset:2304
	s_wait_alu 0xfffe
	s_or_b32 exec_lo, exec_lo, s42
	s_delay_alu instid0(SALU_CYCLE_1)
	s_mov_b32 s42, exec_lo
	v_cmpx_lt_u32_e64 v101, v135
	s_cbranch_execz .LBB1434_1080
.LBB1434_1146:                          ;   in Loop: Header=BB1434_974 Depth=2
	global_load_b64 v[14:15], v[36:37], off offset:2560
	s_wait_alu 0xfffe
	s_or_b32 exec_lo, exec_lo, s42
	s_delay_alu instid0(SALU_CYCLE_1)
	s_mov_b32 s42, exec_lo
	v_cmpx_lt_u32_e64 v102, v135
	s_cbranch_execz .LBB1434_1081
.LBB1434_1147:                          ;   in Loop: Header=BB1434_974 Depth=2
	global_load_b64 v[12:13], v[36:37], off offset:2816
	s_wait_alu 0xfffe
	s_or_b32 exec_lo, exec_lo, s42
	s_delay_alu instid0(SALU_CYCLE_1)
	s_mov_b32 s42, exec_lo
	v_cmpx_lt_u32_e64 v103, v135
	s_cbranch_execz .LBB1434_1082
.LBB1434_1148:                          ;   in Loop: Header=BB1434_974 Depth=2
	global_load_b64 v[10:11], v[36:37], off offset:3072
	s_wait_alu 0xfffe
	s_or_b32 exec_lo, exec_lo, s42
	s_delay_alu instid0(SALU_CYCLE_1)
	s_mov_b32 s42, exec_lo
	v_cmpx_lt_u32_e64 v104, v135
	s_cbranch_execz .LBB1434_1083
.LBB1434_1149:                          ;   in Loop: Header=BB1434_974 Depth=2
	global_load_b64 v[8:9], v[36:37], off offset:3328
	s_wait_alu 0xfffe
	s_or_b32 exec_lo, exec_lo, s42
	s_delay_alu instid0(SALU_CYCLE_1)
	s_mov_b32 s42, exec_lo
	v_cmpx_lt_u32_e64 v105, v135
	s_cbranch_execz .LBB1434_1084
.LBB1434_1150:                          ;   in Loop: Header=BB1434_974 Depth=2
	global_load_b64 v[6:7], v[36:37], off offset:3584
	s_wait_alu 0xfffe
	s_or_b32 exec_lo, exec_lo, s42
	s_delay_alu instid0(SALU_CYCLE_1)
	s_mov_b32 s42, exec_lo
	v_cmpx_lt_u32_e64 v106, v135
	s_cbranch_execz .LBB1434_1085
.LBB1434_1151:                          ;   in Loop: Header=BB1434_974 Depth=2
	global_load_b64 v[4:5], v[36:37], off offset:3840
	s_wait_alu 0xfffe
	s_or_b32 exec_lo, exec_lo, s42
	s_and_saveexec_b32 s42, vcc_lo
	s_cbranch_execz .LBB1434_1086
.LBB1434_1152:                          ;   in Loop: Header=BB1434_974 Depth=2
	ds_load_b32 v2, v70 offset:1024
	s_wait_dscnt 0x0
	v_cmp_ne_u32_e64 s30, 0x7fffffff, v2
	s_wait_alu 0xf1ff
	s_delay_alu instid0(VALU_DEP_1) | instskip(NEXT) | instid1(VALU_DEP_1)
	v_cndmask_b32_e64 v2, 0x80000000, v2, s30
	v_lshrrev_b32_e32 v2, s49, v2
	s_delay_alu instid0(VALU_DEP_1)
	v_and_b32_e32 v134, s48, v2
	s_wait_alu 0xfffe
	s_or_b32 exec_lo, exec_lo, s42
	s_and_saveexec_b32 s42, s15
	s_cbranch_execz .LBB1434_1087
.LBB1434_1153:                          ;   in Loop: Header=BB1434_974 Depth=2
	ds_load_b32 v2, v70 offset:2048
	s_wait_dscnt 0x0
	v_cmp_ne_u32_e64 s30, 0x7fffffff, v2
	s_wait_alu 0xf1ff
	s_delay_alu instid0(VALU_DEP_1) | instskip(NEXT) | instid1(VALU_DEP_1)
	v_cndmask_b32_e64 v2, 0x80000000, v2, s30
	v_lshrrev_b32_e32 v2, s49, v2
	s_delay_alu instid0(VALU_DEP_1)
	v_and_b32_e32 v133, s48, v2
	s_wait_alu 0xfffe
	s_or_b32 exec_lo, exec_lo, s42
	s_and_saveexec_b32 s42, s16
	s_cbranch_execz .LBB1434_1088
.LBB1434_1154:                          ;   in Loop: Header=BB1434_974 Depth=2
	ds_load_b32 v2, v70 offset:3072
	s_wait_dscnt 0x0
	v_cmp_ne_u32_e64 s30, 0x7fffffff, v2
	s_wait_alu 0xf1ff
	s_delay_alu instid0(VALU_DEP_1) | instskip(NEXT) | instid1(VALU_DEP_1)
	v_cndmask_b32_e64 v2, 0x80000000, v2, s30
	v_lshrrev_b32_e32 v2, s49, v2
	s_delay_alu instid0(VALU_DEP_1)
	v_and_b32_e32 v132, s48, v2
	s_wait_alu 0xfffe
	s_or_b32 exec_lo, exec_lo, s42
	s_and_saveexec_b32 s42, s17
	s_cbranch_execz .LBB1434_1089
.LBB1434_1155:                          ;   in Loop: Header=BB1434_974 Depth=2
	ds_load_b32 v2, v70 offset:4096
	s_wait_dscnt 0x0
	v_cmp_ne_u32_e64 s30, 0x7fffffff, v2
	s_wait_alu 0xf1ff
	s_delay_alu instid0(VALU_DEP_1) | instskip(NEXT) | instid1(VALU_DEP_1)
	v_cndmask_b32_e64 v2, 0x80000000, v2, s30
	v_lshrrev_b32_e32 v2, s49, v2
	s_delay_alu instid0(VALU_DEP_1)
	v_and_b32_e32 v131, s48, v2
	s_wait_alu 0xfffe
	s_or_b32 exec_lo, exec_lo, s42
	s_and_saveexec_b32 s42, s18
	s_cbranch_execz .LBB1434_1090
.LBB1434_1156:                          ;   in Loop: Header=BB1434_974 Depth=2
	ds_load_b32 v2, v70 offset:5120
	s_wait_dscnt 0x0
	v_cmp_ne_u32_e64 s30, 0x7fffffff, v2
	s_wait_alu 0xf1ff
	s_delay_alu instid0(VALU_DEP_1) | instskip(NEXT) | instid1(VALU_DEP_1)
	v_cndmask_b32_e64 v2, 0x80000000, v2, s30
	v_lshrrev_b32_e32 v2, s49, v2
	s_delay_alu instid0(VALU_DEP_1)
	v_and_b32_e32 v130, s48, v2
	s_wait_alu 0xfffe
	s_or_b32 exec_lo, exec_lo, s42
	s_and_saveexec_b32 s42, s19
	s_cbranch_execz .LBB1434_1091
.LBB1434_1157:                          ;   in Loop: Header=BB1434_974 Depth=2
	ds_load_b32 v2, v70 offset:6144
	s_wait_dscnt 0x0
	v_cmp_ne_u32_e64 s30, 0x7fffffff, v2
	s_wait_alu 0xf1ff
	s_delay_alu instid0(VALU_DEP_1) | instskip(NEXT) | instid1(VALU_DEP_1)
	v_cndmask_b32_e64 v2, 0x80000000, v2, s30
	v_lshrrev_b32_e32 v2, s49, v2
	s_delay_alu instid0(VALU_DEP_1)
	v_and_b32_e32 v129, s48, v2
	s_wait_alu 0xfffe
	s_or_b32 exec_lo, exec_lo, s42
	s_and_saveexec_b32 s42, s20
	s_cbranch_execz .LBB1434_1092
.LBB1434_1158:                          ;   in Loop: Header=BB1434_974 Depth=2
	ds_load_b32 v2, v70 offset:7168
	s_wait_dscnt 0x0
	v_cmp_ne_u32_e64 s30, 0x7fffffff, v2
	s_wait_alu 0xf1ff
	s_delay_alu instid0(VALU_DEP_1) | instskip(NEXT) | instid1(VALU_DEP_1)
	v_cndmask_b32_e64 v2, 0x80000000, v2, s30
	v_lshrrev_b32_e32 v2, s49, v2
	s_delay_alu instid0(VALU_DEP_1)
	v_and_b32_e32 v128, s48, v2
	s_wait_alu 0xfffe
	s_or_b32 exec_lo, exec_lo, s42
	s_and_saveexec_b32 s42, s21
	s_cbranch_execz .LBB1434_1093
.LBB1434_1159:                          ;   in Loop: Header=BB1434_974 Depth=2
	ds_load_b32 v2, v70 offset:8192
	s_wait_dscnt 0x0
	v_cmp_ne_u32_e64 s30, 0x7fffffff, v2
	s_wait_alu 0xf1ff
	s_delay_alu instid0(VALU_DEP_1) | instskip(NEXT) | instid1(VALU_DEP_1)
	v_cndmask_b32_e64 v2, 0x80000000, v2, s30
	v_lshrrev_b32_e32 v2, s49, v2
	s_delay_alu instid0(VALU_DEP_1)
	v_and_b32_e32 v127, s48, v2
	s_wait_alu 0xfffe
	s_or_b32 exec_lo, exec_lo, s42
	s_and_saveexec_b32 s42, s22
	s_cbranch_execz .LBB1434_1094
.LBB1434_1160:                          ;   in Loop: Header=BB1434_974 Depth=2
	ds_load_b32 v2, v70 offset:9216
	s_wait_dscnt 0x0
	v_cmp_ne_u32_e64 s30, 0x7fffffff, v2
	s_wait_alu 0xf1ff
	s_delay_alu instid0(VALU_DEP_1) | instskip(NEXT) | instid1(VALU_DEP_1)
	v_cndmask_b32_e64 v2, 0x80000000, v2, s30
	v_lshrrev_b32_e32 v2, s49, v2
	s_delay_alu instid0(VALU_DEP_1)
	v_and_b32_e32 v126, s48, v2
	s_wait_alu 0xfffe
	s_or_b32 exec_lo, exec_lo, s42
	s_and_saveexec_b32 s42, s23
	s_cbranch_execz .LBB1434_1095
.LBB1434_1161:                          ;   in Loop: Header=BB1434_974 Depth=2
	ds_load_b32 v2, v70 offset:10240
	s_wait_dscnt 0x0
	v_cmp_ne_u32_e64 s30, 0x7fffffff, v2
	s_wait_alu 0xf1ff
	s_delay_alu instid0(VALU_DEP_1) | instskip(NEXT) | instid1(VALU_DEP_1)
	v_cndmask_b32_e64 v2, 0x80000000, v2, s30
	v_lshrrev_b32_e32 v2, s49, v2
	s_delay_alu instid0(VALU_DEP_1)
	v_and_b32_e32 v125, s48, v2
	s_wait_alu 0xfffe
	s_or_b32 exec_lo, exec_lo, s42
	s_and_saveexec_b32 s42, s24
	s_cbranch_execz .LBB1434_1096
.LBB1434_1162:                          ;   in Loop: Header=BB1434_974 Depth=2
	ds_load_b32 v2, v70 offset:11264
	s_wait_dscnt 0x0
	v_cmp_ne_u32_e64 s30, 0x7fffffff, v2
	s_wait_alu 0xf1ff
	s_delay_alu instid0(VALU_DEP_1) | instskip(NEXT) | instid1(VALU_DEP_1)
	v_cndmask_b32_e64 v2, 0x80000000, v2, s30
	v_lshrrev_b32_e32 v2, s49, v2
	s_delay_alu instid0(VALU_DEP_1)
	v_and_b32_e32 v124, s48, v2
	s_wait_alu 0xfffe
	s_or_b32 exec_lo, exec_lo, s42
	s_and_saveexec_b32 s42, s25
	s_cbranch_execz .LBB1434_1097
.LBB1434_1163:                          ;   in Loop: Header=BB1434_974 Depth=2
	ds_load_b32 v2, v70 offset:12288
	s_wait_dscnt 0x0
	v_cmp_ne_u32_e64 s30, 0x7fffffff, v2
	s_wait_alu 0xf1ff
	s_delay_alu instid0(VALU_DEP_1) | instskip(NEXT) | instid1(VALU_DEP_1)
	v_cndmask_b32_e64 v2, 0x80000000, v2, s30
	v_lshrrev_b32_e32 v2, s49, v2
	s_delay_alu instid0(VALU_DEP_1)
	v_and_b32_e32 v123, s48, v2
	s_wait_alu 0xfffe
	s_or_b32 exec_lo, exec_lo, s42
	s_and_saveexec_b32 s42, s26
	s_cbranch_execz .LBB1434_1098
.LBB1434_1164:                          ;   in Loop: Header=BB1434_974 Depth=2
	ds_load_b32 v2, v70 offset:13312
	s_wait_dscnt 0x0
	v_cmp_ne_u32_e64 s30, 0x7fffffff, v2
	s_wait_alu 0xf1ff
	s_delay_alu instid0(VALU_DEP_1) | instskip(NEXT) | instid1(VALU_DEP_1)
	v_cndmask_b32_e64 v2, 0x80000000, v2, s30
	v_lshrrev_b32_e32 v2, s49, v2
	s_delay_alu instid0(VALU_DEP_1)
	v_and_b32_e32 v122, s48, v2
	s_wait_alu 0xfffe
	s_or_b32 exec_lo, exec_lo, s42
	s_and_saveexec_b32 s42, s27
	s_cbranch_execz .LBB1434_1099
.LBB1434_1165:                          ;   in Loop: Header=BB1434_974 Depth=2
	ds_load_b32 v2, v70 offset:14336
	s_wait_dscnt 0x0
	v_cmp_ne_u32_e64 s30, 0x7fffffff, v2
	s_wait_alu 0xf1ff
	s_delay_alu instid0(VALU_DEP_1) | instskip(NEXT) | instid1(VALU_DEP_1)
	v_cndmask_b32_e64 v2, 0x80000000, v2, s30
	v_lshrrev_b32_e32 v2, s49, v2
	s_delay_alu instid0(VALU_DEP_1)
	v_and_b32_e32 v121, s48, v2
	s_wait_alu 0xfffe
	s_or_b32 exec_lo, exec_lo, s42
	s_and_saveexec_b32 s42, s28
	s_cbranch_execz .LBB1434_1100
.LBB1434_1166:                          ;   in Loop: Header=BB1434_974 Depth=2
	ds_load_b32 v2, v70 offset:15360
	s_wait_dscnt 0x0
	v_cmp_ne_u32_e64 s30, 0x7fffffff, v2
	s_wait_alu 0xf1ff
	s_delay_alu instid0(VALU_DEP_1) | instskip(NEXT) | instid1(VALU_DEP_1)
	v_cndmask_b32_e64 v2, 0x80000000, v2, s30
	v_lshrrev_b32_e32 v2, s49, v2
	s_delay_alu instid0(VALU_DEP_1)
	v_and_b32_e32 v120, s48, v2
	s_wait_alu 0xfffe
	s_or_b32 exec_lo, exec_lo, s42
	s_and_saveexec_b32 s42, s29
	s_cbranch_execnz .LBB1434_1101
	s_branch .LBB1434_1102
.LBB1434_1167:                          ;   in Loop: Header=BB1434_974 Depth=2
	v_lshlrev_b32_e32 v2, 2, v134
	ds_load_b32 v2, v2
	ds_load_b64 v[39:40], v36 offset:1024
	s_wait_dscnt 0x1
	v_add_nc_u32_e32 v2, v2, v1
	s_delay_alu instid0(VALU_DEP_1) | instskip(NEXT) | instid1(VALU_DEP_1)
	v_lshlrev_b64_e32 v[41:42], 3, v[2:3]
	v_add_co_u32 v41, vcc_lo, s46, v41
	s_wait_alu 0xfffd
	s_delay_alu instid0(VALU_DEP_2)
	v_add_co_ci_u32_e64 v42, null, s47, v42, vcc_lo
	s_wait_dscnt 0x0
	global_store_b64 v[41:42], v[39:40], off
	s_wait_alu 0xfffe
	s_or_b32 exec_lo, exec_lo, s30
	s_and_saveexec_b32 s30, s15
	s_cbranch_execz .LBB1434_1104
.LBB1434_1168:                          ;   in Loop: Header=BB1434_974 Depth=2
	v_lshlrev_b32_e32 v2, 2, v133
	ds_load_b32 v2, v2
	ds_load_b64 v[39:40], v36 offset:3072
	s_wait_dscnt 0x1
	v_add_nc_u32_e32 v2, v2, v45
	s_delay_alu instid0(VALU_DEP_1) | instskip(NEXT) | instid1(VALU_DEP_1)
	v_lshlrev_b64_e32 v[41:42], 3, v[2:3]
	v_add_co_u32 v41, vcc_lo, s46, v41
	s_wait_alu 0xfffd
	s_delay_alu instid0(VALU_DEP_2)
	v_add_co_ci_u32_e64 v42, null, s47, v42, vcc_lo
	s_wait_dscnt 0x0
	global_store_b64 v[41:42], v[39:40], off
	s_wait_alu 0xfffe
	s_or_b32 exec_lo, exec_lo, s30
	s_and_saveexec_b32 s15, s16
	s_cbranch_execz .LBB1434_1105
.LBB1434_1169:                          ;   in Loop: Header=BB1434_974 Depth=2
	v_lshlrev_b32_e32 v2, 2, v132
	ds_load_b32 v2, v2
	ds_load_b64 v[39:40], v36 offset:5120
	s_wait_dscnt 0x1
	v_add_nc_u32_e32 v2, v2, v46
	s_delay_alu instid0(VALU_DEP_1) | instskip(NEXT) | instid1(VALU_DEP_1)
	v_lshlrev_b64_e32 v[41:42], 3, v[2:3]
	v_add_co_u32 v41, vcc_lo, s46, v41
	s_wait_alu 0xfffd
	s_delay_alu instid0(VALU_DEP_2)
	v_add_co_ci_u32_e64 v42, null, s47, v42, vcc_lo
	s_wait_dscnt 0x0
	global_store_b64 v[41:42], v[39:40], off
	s_wait_alu 0xfffe
	s_or_b32 exec_lo, exec_lo, s15
	s_and_saveexec_b32 s15, s17
	s_cbranch_execz .LBB1434_1106
.LBB1434_1170:                          ;   in Loop: Header=BB1434_974 Depth=2
	v_lshlrev_b32_e32 v2, 2, v131
	ds_load_b32 v2, v2
	ds_load_b64 v[39:40], v36 offset:7168
	s_wait_dscnt 0x1
	v_add_nc_u32_e32 v2, v2, v47
	s_delay_alu instid0(VALU_DEP_1) | instskip(NEXT) | instid1(VALU_DEP_1)
	v_lshlrev_b64_e32 v[41:42], 3, v[2:3]
	v_add_co_u32 v41, vcc_lo, s46, v41
	s_wait_alu 0xfffd
	s_delay_alu instid0(VALU_DEP_2)
	v_add_co_ci_u32_e64 v42, null, s47, v42, vcc_lo
	s_wait_dscnt 0x0
	global_store_b64 v[41:42], v[39:40], off
	s_wait_alu 0xfffe
	s_or_b32 exec_lo, exec_lo, s15
	s_and_saveexec_b32 s15, s18
	s_cbranch_execz .LBB1434_1107
.LBB1434_1171:                          ;   in Loop: Header=BB1434_974 Depth=2
	v_lshlrev_b32_e32 v2, 2, v130
	ds_load_b32 v2, v2
	ds_load_b64 v[39:40], v36 offset:9216
	s_wait_dscnt 0x1
	v_add_nc_u32_e32 v2, v2, v50
	s_delay_alu instid0(VALU_DEP_1) | instskip(NEXT) | instid1(VALU_DEP_1)
	v_lshlrev_b64_e32 v[41:42], 3, v[2:3]
	v_add_co_u32 v41, vcc_lo, s46, v41
	s_wait_alu 0xfffd
	s_delay_alu instid0(VALU_DEP_2)
	v_add_co_ci_u32_e64 v42, null, s47, v42, vcc_lo
	s_wait_dscnt 0x0
	global_store_b64 v[41:42], v[39:40], off
	s_wait_alu 0xfffe
	s_or_b32 exec_lo, exec_lo, s15
	s_and_saveexec_b32 s15, s19
	s_cbranch_execz .LBB1434_1108
.LBB1434_1172:                          ;   in Loop: Header=BB1434_974 Depth=2
	v_lshlrev_b32_e32 v2, 2, v129
	ds_load_b32 v2, v2
	ds_load_b64 v[39:40], v36 offset:11264
	s_wait_dscnt 0x1
	v_add_nc_u32_e32 v2, v2, v51
	s_delay_alu instid0(VALU_DEP_1) | instskip(NEXT) | instid1(VALU_DEP_1)
	v_lshlrev_b64_e32 v[41:42], 3, v[2:3]
	v_add_co_u32 v41, vcc_lo, s46, v41
	s_wait_alu 0xfffd
	s_delay_alu instid0(VALU_DEP_2)
	v_add_co_ci_u32_e64 v42, null, s47, v42, vcc_lo
	s_wait_dscnt 0x0
	global_store_b64 v[41:42], v[39:40], off
	s_wait_alu 0xfffe
	s_or_b32 exec_lo, exec_lo, s15
	s_and_saveexec_b32 s15, s20
	s_cbranch_execz .LBB1434_1109
.LBB1434_1173:                          ;   in Loop: Header=BB1434_974 Depth=2
	v_lshlrev_b32_e32 v2, 2, v128
	ds_load_b32 v2, v2
	ds_load_b64 v[39:40], v36 offset:13312
	s_wait_dscnt 0x1
	v_add_nc_u32_e32 v2, v2, v52
	s_delay_alu instid0(VALU_DEP_1) | instskip(NEXT) | instid1(VALU_DEP_1)
	v_lshlrev_b64_e32 v[41:42], 3, v[2:3]
	v_add_co_u32 v41, vcc_lo, s46, v41
	s_wait_alu 0xfffd
	s_delay_alu instid0(VALU_DEP_2)
	v_add_co_ci_u32_e64 v42, null, s47, v42, vcc_lo
	s_wait_dscnt 0x0
	global_store_b64 v[41:42], v[39:40], off
	s_wait_alu 0xfffe
	s_or_b32 exec_lo, exec_lo, s15
	s_and_saveexec_b32 s15, s21
	s_cbranch_execz .LBB1434_1110
.LBB1434_1174:                          ;   in Loop: Header=BB1434_974 Depth=2
	v_lshlrev_b32_e32 v2, 2, v127
	ds_load_b32 v2, v2
	ds_load_b64 v[39:40], v36 offset:15360
	s_wait_dscnt 0x1
	v_add_nc_u32_e32 v2, v2, v53
	s_delay_alu instid0(VALU_DEP_1) | instskip(NEXT) | instid1(VALU_DEP_1)
	v_lshlrev_b64_e32 v[41:42], 3, v[2:3]
	v_add_co_u32 v41, vcc_lo, s46, v41
	s_wait_alu 0xfffd
	s_delay_alu instid0(VALU_DEP_2)
	v_add_co_ci_u32_e64 v42, null, s47, v42, vcc_lo
	s_wait_dscnt 0x0
	global_store_b64 v[41:42], v[39:40], off
	s_wait_alu 0xfffe
	s_or_b32 exec_lo, exec_lo, s15
	s_and_saveexec_b32 s15, s22
	s_cbranch_execz .LBB1434_1111
.LBB1434_1175:                          ;   in Loop: Header=BB1434_974 Depth=2
	v_lshlrev_b32_e32 v2, 2, v126
	ds_load_b32 v2, v2
	ds_load_b64 v[39:40], v36 offset:17408
	s_wait_dscnt 0x1
	v_add_nc_u32_e32 v2, v2, v54
	s_delay_alu instid0(VALU_DEP_1) | instskip(NEXT) | instid1(VALU_DEP_1)
	v_lshlrev_b64_e32 v[41:42], 3, v[2:3]
	v_add_co_u32 v41, vcc_lo, s46, v41
	s_wait_alu 0xfffd
	s_delay_alu instid0(VALU_DEP_2)
	v_add_co_ci_u32_e64 v42, null, s47, v42, vcc_lo
	s_wait_dscnt 0x0
	global_store_b64 v[41:42], v[39:40], off
	s_wait_alu 0xfffe
	s_or_b32 exec_lo, exec_lo, s15
	s_and_saveexec_b32 s15, s23
	s_cbranch_execz .LBB1434_1112
.LBB1434_1176:                          ;   in Loop: Header=BB1434_974 Depth=2
	v_lshlrev_b32_e32 v2, 2, v125
	ds_load_b32 v2, v2
	ds_load_b64 v[39:40], v36 offset:19456
	s_wait_dscnt 0x1
	v_add_nc_u32_e32 v2, v2, v55
	s_delay_alu instid0(VALU_DEP_1) | instskip(NEXT) | instid1(VALU_DEP_1)
	v_lshlrev_b64_e32 v[41:42], 3, v[2:3]
	v_add_co_u32 v41, vcc_lo, s46, v41
	s_wait_alu 0xfffd
	s_delay_alu instid0(VALU_DEP_2)
	v_add_co_ci_u32_e64 v42, null, s47, v42, vcc_lo
	s_wait_dscnt 0x0
	global_store_b64 v[41:42], v[39:40], off
	s_wait_alu 0xfffe
	s_or_b32 exec_lo, exec_lo, s15
	s_and_saveexec_b32 s15, s24
	s_cbranch_execz .LBB1434_1113
.LBB1434_1177:                          ;   in Loop: Header=BB1434_974 Depth=2
	v_lshlrev_b32_e32 v2, 2, v124
	ds_load_b32 v2, v2
	ds_load_b64 v[39:40], v36 offset:21504
	s_wait_dscnt 0x1
	v_add_nc_u32_e32 v2, v2, v56
	s_delay_alu instid0(VALU_DEP_1) | instskip(NEXT) | instid1(VALU_DEP_1)
	v_lshlrev_b64_e32 v[41:42], 3, v[2:3]
	v_add_co_u32 v41, vcc_lo, s46, v41
	s_wait_alu 0xfffd
	s_delay_alu instid0(VALU_DEP_2)
	v_add_co_ci_u32_e64 v42, null, s47, v42, vcc_lo
	s_wait_dscnt 0x0
	global_store_b64 v[41:42], v[39:40], off
	s_wait_alu 0xfffe
	s_or_b32 exec_lo, exec_lo, s15
	s_and_saveexec_b32 s15, s25
	s_cbranch_execz .LBB1434_1114
.LBB1434_1178:                          ;   in Loop: Header=BB1434_974 Depth=2
	v_lshlrev_b32_e32 v2, 2, v123
	ds_load_b32 v2, v2
	ds_load_b64 v[39:40], v36 offset:23552
	s_wait_dscnt 0x1
	v_add_nc_u32_e32 v2, v2, v57
	s_delay_alu instid0(VALU_DEP_1) | instskip(NEXT) | instid1(VALU_DEP_1)
	v_lshlrev_b64_e32 v[41:42], 3, v[2:3]
	v_add_co_u32 v41, vcc_lo, s46, v41
	s_wait_alu 0xfffd
	s_delay_alu instid0(VALU_DEP_2)
	v_add_co_ci_u32_e64 v42, null, s47, v42, vcc_lo
	s_wait_dscnt 0x0
	global_store_b64 v[41:42], v[39:40], off
	s_wait_alu 0xfffe
	s_or_b32 exec_lo, exec_lo, s15
	s_and_saveexec_b32 s15, s26
	s_cbranch_execz .LBB1434_1115
.LBB1434_1179:                          ;   in Loop: Header=BB1434_974 Depth=2
	v_lshlrev_b32_e32 v2, 2, v122
	ds_load_b32 v2, v2
	ds_load_b64 v[39:40], v36 offset:25600
	s_wait_dscnt 0x1
	v_add_nc_u32_e32 v2, v2, v58
	s_delay_alu instid0(VALU_DEP_1) | instskip(NEXT) | instid1(VALU_DEP_1)
	v_lshlrev_b64_e32 v[41:42], 3, v[2:3]
	v_add_co_u32 v41, vcc_lo, s46, v41
	s_wait_alu 0xfffd
	s_delay_alu instid0(VALU_DEP_2)
	v_add_co_ci_u32_e64 v42, null, s47, v42, vcc_lo
	s_wait_dscnt 0x0
	global_store_b64 v[41:42], v[39:40], off
	s_wait_alu 0xfffe
	s_or_b32 exec_lo, exec_lo, s15
	s_and_saveexec_b32 s15, s27
	s_cbranch_execz .LBB1434_1116
.LBB1434_1180:                          ;   in Loop: Header=BB1434_974 Depth=2
	v_lshlrev_b32_e32 v2, 2, v121
	ds_load_b32 v2, v2
	ds_load_b64 v[39:40], v36 offset:27648
	s_wait_dscnt 0x1
	v_add_nc_u32_e32 v2, v2, v59
	s_delay_alu instid0(VALU_DEP_1) | instskip(NEXT) | instid1(VALU_DEP_1)
	v_lshlrev_b64_e32 v[41:42], 3, v[2:3]
	v_add_co_u32 v41, vcc_lo, s46, v41
	s_wait_alu 0xfffd
	s_delay_alu instid0(VALU_DEP_2)
	v_add_co_ci_u32_e64 v42, null, s47, v42, vcc_lo
	s_wait_dscnt 0x0
	global_store_b64 v[41:42], v[39:40], off
	s_wait_alu 0xfffe
	s_or_b32 exec_lo, exec_lo, s15
	s_and_saveexec_b32 s15, s28
	s_cbranch_execz .LBB1434_1117
.LBB1434_1181:                          ;   in Loop: Header=BB1434_974 Depth=2
	v_lshlrev_b32_e32 v2, 2, v120
	ds_load_b32 v2, v2
	ds_load_b64 v[39:40], v36 offset:29696
	s_wait_dscnt 0x1
	v_add_nc_u32_e32 v2, v2, v60
	s_delay_alu instid0(VALU_DEP_1) | instskip(NEXT) | instid1(VALU_DEP_1)
	v_lshlrev_b64_e32 v[41:42], 3, v[2:3]
	v_add_co_u32 v41, vcc_lo, s46, v41
	s_wait_alu 0xfffd
	s_delay_alu instid0(VALU_DEP_2)
	v_add_co_ci_u32_e64 v42, null, s47, v42, vcc_lo
	s_wait_dscnt 0x0
	global_store_b64 v[41:42], v[39:40], off
	s_wait_alu 0xfffe
	s_or_b32 exec_lo, exec_lo, s15
	s_and_saveexec_b32 s15, s29
	s_cbranch_execnz .LBB1434_1118
	s_branch .LBB1434_1119
.LBB1434_1182:
	s_endpgm
	.section	.rodata,"a",@progbits
	.p2align	6, 0x0
	.amdhsa_kernel _ZN7rocprim17ROCPRIM_400000_NS6detail17trampoline_kernelINS0_14default_configENS1_36segmented_radix_sort_config_selectorIflEEZNS1_25segmented_radix_sort_implIS3_Lb0EPKfPfPKlPlN2at6native12_GLOBAL__N_18offset_tEEE10hipError_tPvRmT1_PNSt15iterator_traitsISK_E10value_typeET2_T3_PNSL_ISQ_E10value_typeET4_jRbjT5_SW_jjP12ihipStream_tbEUlT_E_NS1_11comp_targetILNS1_3genE10ELNS1_11target_archE1201ELNS1_3gpuE5ELNS1_3repE0EEENS1_30default_config_static_selectorELNS0_4arch9wavefront6targetE0EEEvSK_
		.amdhsa_group_segment_fixed_size 33824
		.amdhsa_private_segment_fixed_size 100
		.amdhsa_kernarg_size 352
		.amdhsa_user_sgpr_count 2
		.amdhsa_user_sgpr_dispatch_ptr 0
		.amdhsa_user_sgpr_queue_ptr 0
		.amdhsa_user_sgpr_kernarg_segment_ptr 1
		.amdhsa_user_sgpr_dispatch_id 0
		.amdhsa_user_sgpr_private_segment_size 0
		.amdhsa_wavefront_size32 1
		.amdhsa_uses_dynamic_stack 0
		.amdhsa_enable_private_segment 1
		.amdhsa_system_sgpr_workgroup_id_x 1
		.amdhsa_system_sgpr_workgroup_id_y 1
		.amdhsa_system_sgpr_workgroup_id_z 0
		.amdhsa_system_sgpr_workgroup_info 0
		.amdhsa_system_vgpr_workitem_id 2
		.amdhsa_next_free_vgpr 248
		.amdhsa_next_free_sgpr 58
		.amdhsa_reserve_vcc 1
		.amdhsa_float_round_mode_32 0
		.amdhsa_float_round_mode_16_64 0
		.amdhsa_float_denorm_mode_32 3
		.amdhsa_float_denorm_mode_16_64 3
		.amdhsa_fp16_overflow 0
		.amdhsa_workgroup_processor_mode 1
		.amdhsa_memory_ordered 1
		.amdhsa_forward_progress 1
		.amdhsa_inst_pref_size 255
		.amdhsa_round_robin_scheduling 0
		.amdhsa_exception_fp_ieee_invalid_op 0
		.amdhsa_exception_fp_denorm_src 0
		.amdhsa_exception_fp_ieee_div_zero 0
		.amdhsa_exception_fp_ieee_overflow 0
		.amdhsa_exception_fp_ieee_underflow 0
		.amdhsa_exception_fp_ieee_inexact 0
		.amdhsa_exception_int_div_zero 0
	.end_amdhsa_kernel
	.section	.text._ZN7rocprim17ROCPRIM_400000_NS6detail17trampoline_kernelINS0_14default_configENS1_36segmented_radix_sort_config_selectorIflEEZNS1_25segmented_radix_sort_implIS3_Lb0EPKfPfPKlPlN2at6native12_GLOBAL__N_18offset_tEEE10hipError_tPvRmT1_PNSt15iterator_traitsISK_E10value_typeET2_T3_PNSL_ISQ_E10value_typeET4_jRbjT5_SW_jjP12ihipStream_tbEUlT_E_NS1_11comp_targetILNS1_3genE10ELNS1_11target_archE1201ELNS1_3gpuE5ELNS1_3repE0EEENS1_30default_config_static_selectorELNS0_4arch9wavefront6targetE0EEEvSK_,"axG",@progbits,_ZN7rocprim17ROCPRIM_400000_NS6detail17trampoline_kernelINS0_14default_configENS1_36segmented_radix_sort_config_selectorIflEEZNS1_25segmented_radix_sort_implIS3_Lb0EPKfPfPKlPlN2at6native12_GLOBAL__N_18offset_tEEE10hipError_tPvRmT1_PNSt15iterator_traitsISK_E10value_typeET2_T3_PNSL_ISQ_E10value_typeET4_jRbjT5_SW_jjP12ihipStream_tbEUlT_E_NS1_11comp_targetILNS1_3genE10ELNS1_11target_archE1201ELNS1_3gpuE5ELNS1_3repE0EEENS1_30default_config_static_selectorELNS0_4arch9wavefront6targetE0EEEvSK_,comdat
.Lfunc_end1434:
	.size	_ZN7rocprim17ROCPRIM_400000_NS6detail17trampoline_kernelINS0_14default_configENS1_36segmented_radix_sort_config_selectorIflEEZNS1_25segmented_radix_sort_implIS3_Lb0EPKfPfPKlPlN2at6native12_GLOBAL__N_18offset_tEEE10hipError_tPvRmT1_PNSt15iterator_traitsISK_E10value_typeET2_T3_PNSL_ISQ_E10value_typeET4_jRbjT5_SW_jjP12ihipStream_tbEUlT_E_NS1_11comp_targetILNS1_3genE10ELNS1_11target_archE1201ELNS1_3gpuE5ELNS1_3repE0EEENS1_30default_config_static_selectorELNS0_4arch9wavefront6targetE0EEEvSK_, .Lfunc_end1434-_ZN7rocprim17ROCPRIM_400000_NS6detail17trampoline_kernelINS0_14default_configENS1_36segmented_radix_sort_config_selectorIflEEZNS1_25segmented_radix_sort_implIS3_Lb0EPKfPfPKlPlN2at6native12_GLOBAL__N_18offset_tEEE10hipError_tPvRmT1_PNSt15iterator_traitsISK_E10value_typeET2_T3_PNSL_ISQ_E10value_typeET4_jRbjT5_SW_jjP12ihipStream_tbEUlT_E_NS1_11comp_targetILNS1_3genE10ELNS1_11target_archE1201ELNS1_3gpuE5ELNS1_3repE0EEENS1_30default_config_static_selectorELNS0_4arch9wavefront6targetE0EEEvSK_
                                        ; -- End function
	.set _ZN7rocprim17ROCPRIM_400000_NS6detail17trampoline_kernelINS0_14default_configENS1_36segmented_radix_sort_config_selectorIflEEZNS1_25segmented_radix_sort_implIS3_Lb0EPKfPfPKlPlN2at6native12_GLOBAL__N_18offset_tEEE10hipError_tPvRmT1_PNSt15iterator_traitsISK_E10value_typeET2_T3_PNSL_ISQ_E10value_typeET4_jRbjT5_SW_jjP12ihipStream_tbEUlT_E_NS1_11comp_targetILNS1_3genE10ELNS1_11target_archE1201ELNS1_3gpuE5ELNS1_3repE0EEENS1_30default_config_static_selectorELNS0_4arch9wavefront6targetE0EEEvSK_.num_vgpr, max(205, .L_ZN7rocprim17ROCPRIM_400000_NS6detail40segmented_radix_sort_single_block_helperIflLj256ELj16ELb0EE4sortIPKfPfPKlPlEEbT_T0_T1_T2_jjjjRNS3_12storage_typeE.num_vgpr)
	.set _ZN7rocprim17ROCPRIM_400000_NS6detail17trampoline_kernelINS0_14default_configENS1_36segmented_radix_sort_config_selectorIflEEZNS1_25segmented_radix_sort_implIS3_Lb0EPKfPfPKlPlN2at6native12_GLOBAL__N_18offset_tEEE10hipError_tPvRmT1_PNSt15iterator_traitsISK_E10value_typeET2_T3_PNSL_ISQ_E10value_typeET4_jRbjT5_SW_jjP12ihipStream_tbEUlT_E_NS1_11comp_targetILNS1_3genE10ELNS1_11target_archE1201ELNS1_3gpuE5ELNS1_3repE0EEENS1_30default_config_static_selectorELNS0_4arch9wavefront6targetE0EEEvSK_.num_agpr, max(0, .L_ZN7rocprim17ROCPRIM_400000_NS6detail40segmented_radix_sort_single_block_helperIflLj256ELj16ELb0EE4sortIPKfPfPKlPlEEbT_T0_T1_T2_jjjjRNS3_12storage_typeE.num_agpr)
	.set _ZN7rocprim17ROCPRIM_400000_NS6detail17trampoline_kernelINS0_14default_configENS1_36segmented_radix_sort_config_selectorIflEEZNS1_25segmented_radix_sort_implIS3_Lb0EPKfPfPKlPlN2at6native12_GLOBAL__N_18offset_tEEE10hipError_tPvRmT1_PNSt15iterator_traitsISK_E10value_typeET2_T3_PNSL_ISQ_E10value_typeET4_jRbjT5_SW_jjP12ihipStream_tbEUlT_E_NS1_11comp_targetILNS1_3genE10ELNS1_11target_archE1201ELNS1_3gpuE5ELNS1_3repE0EEENS1_30default_config_static_selectorELNS0_4arch9wavefront6targetE0EEEvSK_.numbered_sgpr, max(58, .L_ZN7rocprim17ROCPRIM_400000_NS6detail40segmented_radix_sort_single_block_helperIflLj256ELj16ELb0EE4sortIPKfPfPKlPlEEbT_T0_T1_T2_jjjjRNS3_12storage_typeE.numbered_sgpr)
	.set _ZN7rocprim17ROCPRIM_400000_NS6detail17trampoline_kernelINS0_14default_configENS1_36segmented_radix_sort_config_selectorIflEEZNS1_25segmented_radix_sort_implIS3_Lb0EPKfPfPKlPlN2at6native12_GLOBAL__N_18offset_tEEE10hipError_tPvRmT1_PNSt15iterator_traitsISK_E10value_typeET2_T3_PNSL_ISQ_E10value_typeET4_jRbjT5_SW_jjP12ihipStream_tbEUlT_E_NS1_11comp_targetILNS1_3genE10ELNS1_11target_archE1201ELNS1_3gpuE5ELNS1_3repE0EEENS1_30default_config_static_selectorELNS0_4arch9wavefront6targetE0EEEvSK_.num_named_barrier, max(0, .L_ZN7rocprim17ROCPRIM_400000_NS6detail40segmented_radix_sort_single_block_helperIflLj256ELj16ELb0EE4sortIPKfPfPKlPlEEbT_T0_T1_T2_jjjjRNS3_12storage_typeE.num_named_barrier)
	.set _ZN7rocprim17ROCPRIM_400000_NS6detail17trampoline_kernelINS0_14default_configENS1_36segmented_radix_sort_config_selectorIflEEZNS1_25segmented_radix_sort_implIS3_Lb0EPKfPfPKlPlN2at6native12_GLOBAL__N_18offset_tEEE10hipError_tPvRmT1_PNSt15iterator_traitsISK_E10value_typeET2_T3_PNSL_ISQ_E10value_typeET4_jRbjT5_SW_jjP12ihipStream_tbEUlT_E_NS1_11comp_targetILNS1_3genE10ELNS1_11target_archE1201ELNS1_3gpuE5ELNS1_3repE0EEENS1_30default_config_static_selectorELNS0_4arch9wavefront6targetE0EEEvSK_.private_seg_size, 0+max(.L_ZN7rocprim17ROCPRIM_400000_NS6detail40segmented_radix_sort_single_block_helperIflLj256ELj16ELb0EE4sortIPKfPfPKlPlEEbT_T0_T1_T2_jjjjRNS3_12storage_typeE.private_seg_size)
	.set _ZN7rocprim17ROCPRIM_400000_NS6detail17trampoline_kernelINS0_14default_configENS1_36segmented_radix_sort_config_selectorIflEEZNS1_25segmented_radix_sort_implIS3_Lb0EPKfPfPKlPlN2at6native12_GLOBAL__N_18offset_tEEE10hipError_tPvRmT1_PNSt15iterator_traitsISK_E10value_typeET2_T3_PNSL_ISQ_E10value_typeET4_jRbjT5_SW_jjP12ihipStream_tbEUlT_E_NS1_11comp_targetILNS1_3genE10ELNS1_11target_archE1201ELNS1_3gpuE5ELNS1_3repE0EEENS1_30default_config_static_selectorELNS0_4arch9wavefront6targetE0EEEvSK_.uses_vcc, or(1, .L_ZN7rocprim17ROCPRIM_400000_NS6detail40segmented_radix_sort_single_block_helperIflLj256ELj16ELb0EE4sortIPKfPfPKlPlEEbT_T0_T1_T2_jjjjRNS3_12storage_typeE.uses_vcc)
	.set _ZN7rocprim17ROCPRIM_400000_NS6detail17trampoline_kernelINS0_14default_configENS1_36segmented_radix_sort_config_selectorIflEEZNS1_25segmented_radix_sort_implIS3_Lb0EPKfPfPKlPlN2at6native12_GLOBAL__N_18offset_tEEE10hipError_tPvRmT1_PNSt15iterator_traitsISK_E10value_typeET2_T3_PNSL_ISQ_E10value_typeET4_jRbjT5_SW_jjP12ihipStream_tbEUlT_E_NS1_11comp_targetILNS1_3genE10ELNS1_11target_archE1201ELNS1_3gpuE5ELNS1_3repE0EEENS1_30default_config_static_selectorELNS0_4arch9wavefront6targetE0EEEvSK_.uses_flat_scratch, or(0, .L_ZN7rocprim17ROCPRIM_400000_NS6detail40segmented_radix_sort_single_block_helperIflLj256ELj16ELb0EE4sortIPKfPfPKlPlEEbT_T0_T1_T2_jjjjRNS3_12storage_typeE.uses_flat_scratch)
	.set _ZN7rocprim17ROCPRIM_400000_NS6detail17trampoline_kernelINS0_14default_configENS1_36segmented_radix_sort_config_selectorIflEEZNS1_25segmented_radix_sort_implIS3_Lb0EPKfPfPKlPlN2at6native12_GLOBAL__N_18offset_tEEE10hipError_tPvRmT1_PNSt15iterator_traitsISK_E10value_typeET2_T3_PNSL_ISQ_E10value_typeET4_jRbjT5_SW_jjP12ihipStream_tbEUlT_E_NS1_11comp_targetILNS1_3genE10ELNS1_11target_archE1201ELNS1_3gpuE5ELNS1_3repE0EEENS1_30default_config_static_selectorELNS0_4arch9wavefront6targetE0EEEvSK_.has_dyn_sized_stack, or(0, .L_ZN7rocprim17ROCPRIM_400000_NS6detail40segmented_radix_sort_single_block_helperIflLj256ELj16ELb0EE4sortIPKfPfPKlPlEEbT_T0_T1_T2_jjjjRNS3_12storage_typeE.has_dyn_sized_stack)
	.set _ZN7rocprim17ROCPRIM_400000_NS6detail17trampoline_kernelINS0_14default_configENS1_36segmented_radix_sort_config_selectorIflEEZNS1_25segmented_radix_sort_implIS3_Lb0EPKfPfPKlPlN2at6native12_GLOBAL__N_18offset_tEEE10hipError_tPvRmT1_PNSt15iterator_traitsISK_E10value_typeET2_T3_PNSL_ISQ_E10value_typeET4_jRbjT5_SW_jjP12ihipStream_tbEUlT_E_NS1_11comp_targetILNS1_3genE10ELNS1_11target_archE1201ELNS1_3gpuE5ELNS1_3repE0EEENS1_30default_config_static_selectorELNS0_4arch9wavefront6targetE0EEEvSK_.has_recursion, or(0, .L_ZN7rocprim17ROCPRIM_400000_NS6detail40segmented_radix_sort_single_block_helperIflLj256ELj16ELb0EE4sortIPKfPfPKlPlEEbT_T0_T1_T2_jjjjRNS3_12storage_typeE.has_recursion)
	.set _ZN7rocprim17ROCPRIM_400000_NS6detail17trampoline_kernelINS0_14default_configENS1_36segmented_radix_sort_config_selectorIflEEZNS1_25segmented_radix_sort_implIS3_Lb0EPKfPfPKlPlN2at6native12_GLOBAL__N_18offset_tEEE10hipError_tPvRmT1_PNSt15iterator_traitsISK_E10value_typeET2_T3_PNSL_ISQ_E10value_typeET4_jRbjT5_SW_jjP12ihipStream_tbEUlT_E_NS1_11comp_targetILNS1_3genE10ELNS1_11target_archE1201ELNS1_3gpuE5ELNS1_3repE0EEENS1_30default_config_static_selectorELNS0_4arch9wavefront6targetE0EEEvSK_.has_indirect_call, or(0, .L_ZN7rocprim17ROCPRIM_400000_NS6detail40segmented_radix_sort_single_block_helperIflLj256ELj16ELb0EE4sortIPKfPfPKlPlEEbT_T0_T1_T2_jjjjRNS3_12storage_typeE.has_indirect_call)
	.section	.AMDGPU.csdata,"",@progbits
; Kernel info:
; codeLenInByte = 85064
; TotalNumSgprs: 60
; NumVgprs: 248
; ScratchSize: 100
; MemoryBound: 0
; FloatMode: 240
; IeeeMode: 1
; LDSByteSize: 33824 bytes/workgroup (compile time only)
; SGPRBlocks: 0
; VGPRBlocks: 30
; NumSGPRsForWavesPerEU: 60
; NumVGPRsForWavesPerEU: 248
; Occupancy: 5
; WaveLimiterHint : 1
; COMPUTE_PGM_RSRC2:SCRATCH_EN: 1
; COMPUTE_PGM_RSRC2:USER_SGPR: 2
; COMPUTE_PGM_RSRC2:TRAP_HANDLER: 0
; COMPUTE_PGM_RSRC2:TGID_X_EN: 1
; COMPUTE_PGM_RSRC2:TGID_Y_EN: 1
; COMPUTE_PGM_RSRC2:TGID_Z_EN: 0
; COMPUTE_PGM_RSRC2:TIDIG_COMP_CNT: 2
	.section	.text._ZN7rocprim17ROCPRIM_400000_NS6detail17trampoline_kernelINS0_14default_configENS1_36segmented_radix_sort_config_selectorIflEEZNS1_25segmented_radix_sort_implIS3_Lb0EPKfPfPKlPlN2at6native12_GLOBAL__N_18offset_tEEE10hipError_tPvRmT1_PNSt15iterator_traitsISK_E10value_typeET2_T3_PNSL_ISQ_E10value_typeET4_jRbjT5_SW_jjP12ihipStream_tbEUlT_E_NS1_11comp_targetILNS1_3genE10ELNS1_11target_archE1200ELNS1_3gpuE4ELNS1_3repE0EEENS1_30default_config_static_selectorELNS0_4arch9wavefront6targetE0EEEvSK_,"axG",@progbits,_ZN7rocprim17ROCPRIM_400000_NS6detail17trampoline_kernelINS0_14default_configENS1_36segmented_radix_sort_config_selectorIflEEZNS1_25segmented_radix_sort_implIS3_Lb0EPKfPfPKlPlN2at6native12_GLOBAL__N_18offset_tEEE10hipError_tPvRmT1_PNSt15iterator_traitsISK_E10value_typeET2_T3_PNSL_ISQ_E10value_typeET4_jRbjT5_SW_jjP12ihipStream_tbEUlT_E_NS1_11comp_targetILNS1_3genE10ELNS1_11target_archE1200ELNS1_3gpuE4ELNS1_3repE0EEENS1_30default_config_static_selectorELNS0_4arch9wavefront6targetE0EEEvSK_,comdat
	.globl	_ZN7rocprim17ROCPRIM_400000_NS6detail17trampoline_kernelINS0_14default_configENS1_36segmented_radix_sort_config_selectorIflEEZNS1_25segmented_radix_sort_implIS3_Lb0EPKfPfPKlPlN2at6native12_GLOBAL__N_18offset_tEEE10hipError_tPvRmT1_PNSt15iterator_traitsISK_E10value_typeET2_T3_PNSL_ISQ_E10value_typeET4_jRbjT5_SW_jjP12ihipStream_tbEUlT_E_NS1_11comp_targetILNS1_3genE10ELNS1_11target_archE1200ELNS1_3gpuE4ELNS1_3repE0EEENS1_30default_config_static_selectorELNS0_4arch9wavefront6targetE0EEEvSK_ ; -- Begin function _ZN7rocprim17ROCPRIM_400000_NS6detail17trampoline_kernelINS0_14default_configENS1_36segmented_radix_sort_config_selectorIflEEZNS1_25segmented_radix_sort_implIS3_Lb0EPKfPfPKlPlN2at6native12_GLOBAL__N_18offset_tEEE10hipError_tPvRmT1_PNSt15iterator_traitsISK_E10value_typeET2_T3_PNSL_ISQ_E10value_typeET4_jRbjT5_SW_jjP12ihipStream_tbEUlT_E_NS1_11comp_targetILNS1_3genE10ELNS1_11target_archE1200ELNS1_3gpuE4ELNS1_3repE0EEENS1_30default_config_static_selectorELNS0_4arch9wavefront6targetE0EEEvSK_
	.p2align	8
	.type	_ZN7rocprim17ROCPRIM_400000_NS6detail17trampoline_kernelINS0_14default_configENS1_36segmented_radix_sort_config_selectorIflEEZNS1_25segmented_radix_sort_implIS3_Lb0EPKfPfPKlPlN2at6native12_GLOBAL__N_18offset_tEEE10hipError_tPvRmT1_PNSt15iterator_traitsISK_E10value_typeET2_T3_PNSL_ISQ_E10value_typeET4_jRbjT5_SW_jjP12ihipStream_tbEUlT_E_NS1_11comp_targetILNS1_3genE10ELNS1_11target_archE1200ELNS1_3gpuE4ELNS1_3repE0EEENS1_30default_config_static_selectorELNS0_4arch9wavefront6targetE0EEEvSK_,@function
_ZN7rocprim17ROCPRIM_400000_NS6detail17trampoline_kernelINS0_14default_configENS1_36segmented_radix_sort_config_selectorIflEEZNS1_25segmented_radix_sort_implIS3_Lb0EPKfPfPKlPlN2at6native12_GLOBAL__N_18offset_tEEE10hipError_tPvRmT1_PNSt15iterator_traitsISK_E10value_typeET2_T3_PNSL_ISQ_E10value_typeET4_jRbjT5_SW_jjP12ihipStream_tbEUlT_E_NS1_11comp_targetILNS1_3genE10ELNS1_11target_archE1200ELNS1_3gpuE4ELNS1_3repE0EEENS1_30default_config_static_selectorELNS0_4arch9wavefront6targetE0EEEvSK_: ; @_ZN7rocprim17ROCPRIM_400000_NS6detail17trampoline_kernelINS0_14default_configENS1_36segmented_radix_sort_config_selectorIflEEZNS1_25segmented_radix_sort_implIS3_Lb0EPKfPfPKlPlN2at6native12_GLOBAL__N_18offset_tEEE10hipError_tPvRmT1_PNSt15iterator_traitsISK_E10value_typeET2_T3_PNSL_ISQ_E10value_typeET4_jRbjT5_SW_jjP12ihipStream_tbEUlT_E_NS1_11comp_targetILNS1_3genE10ELNS1_11target_archE1200ELNS1_3gpuE4ELNS1_3repE0EEENS1_30default_config_static_selectorELNS0_4arch9wavefront6targetE0EEEvSK_
; %bb.0:
	.section	.rodata,"a",@progbits
	.p2align	6, 0x0
	.amdhsa_kernel _ZN7rocprim17ROCPRIM_400000_NS6detail17trampoline_kernelINS0_14default_configENS1_36segmented_radix_sort_config_selectorIflEEZNS1_25segmented_radix_sort_implIS3_Lb0EPKfPfPKlPlN2at6native12_GLOBAL__N_18offset_tEEE10hipError_tPvRmT1_PNSt15iterator_traitsISK_E10value_typeET2_T3_PNSL_ISQ_E10value_typeET4_jRbjT5_SW_jjP12ihipStream_tbEUlT_E_NS1_11comp_targetILNS1_3genE10ELNS1_11target_archE1200ELNS1_3gpuE4ELNS1_3repE0EEENS1_30default_config_static_selectorELNS0_4arch9wavefront6targetE0EEEvSK_
		.amdhsa_group_segment_fixed_size 0
		.amdhsa_private_segment_fixed_size 0
		.amdhsa_kernarg_size 96
		.amdhsa_user_sgpr_count 2
		.amdhsa_user_sgpr_dispatch_ptr 0
		.amdhsa_user_sgpr_queue_ptr 0
		.amdhsa_user_sgpr_kernarg_segment_ptr 1
		.amdhsa_user_sgpr_dispatch_id 0
		.amdhsa_user_sgpr_private_segment_size 0
		.amdhsa_wavefront_size32 1
		.amdhsa_uses_dynamic_stack 0
		.amdhsa_enable_private_segment 0
		.amdhsa_system_sgpr_workgroup_id_x 1
		.amdhsa_system_sgpr_workgroup_id_y 0
		.amdhsa_system_sgpr_workgroup_id_z 0
		.amdhsa_system_sgpr_workgroup_info 0
		.amdhsa_system_vgpr_workitem_id 0
		.amdhsa_next_free_vgpr 1
		.amdhsa_next_free_sgpr 1
		.amdhsa_reserve_vcc 0
		.amdhsa_float_round_mode_32 0
		.amdhsa_float_round_mode_16_64 0
		.amdhsa_float_denorm_mode_32 3
		.amdhsa_float_denorm_mode_16_64 3
		.amdhsa_fp16_overflow 0
		.amdhsa_workgroup_processor_mode 1
		.amdhsa_memory_ordered 1
		.amdhsa_forward_progress 1
		.amdhsa_inst_pref_size 0
		.amdhsa_round_robin_scheduling 0
		.amdhsa_exception_fp_ieee_invalid_op 0
		.amdhsa_exception_fp_denorm_src 0
		.amdhsa_exception_fp_ieee_div_zero 0
		.amdhsa_exception_fp_ieee_overflow 0
		.amdhsa_exception_fp_ieee_underflow 0
		.amdhsa_exception_fp_ieee_inexact 0
		.amdhsa_exception_int_div_zero 0
	.end_amdhsa_kernel
	.section	.text._ZN7rocprim17ROCPRIM_400000_NS6detail17trampoline_kernelINS0_14default_configENS1_36segmented_radix_sort_config_selectorIflEEZNS1_25segmented_radix_sort_implIS3_Lb0EPKfPfPKlPlN2at6native12_GLOBAL__N_18offset_tEEE10hipError_tPvRmT1_PNSt15iterator_traitsISK_E10value_typeET2_T3_PNSL_ISQ_E10value_typeET4_jRbjT5_SW_jjP12ihipStream_tbEUlT_E_NS1_11comp_targetILNS1_3genE10ELNS1_11target_archE1200ELNS1_3gpuE4ELNS1_3repE0EEENS1_30default_config_static_selectorELNS0_4arch9wavefront6targetE0EEEvSK_,"axG",@progbits,_ZN7rocprim17ROCPRIM_400000_NS6detail17trampoline_kernelINS0_14default_configENS1_36segmented_radix_sort_config_selectorIflEEZNS1_25segmented_radix_sort_implIS3_Lb0EPKfPfPKlPlN2at6native12_GLOBAL__N_18offset_tEEE10hipError_tPvRmT1_PNSt15iterator_traitsISK_E10value_typeET2_T3_PNSL_ISQ_E10value_typeET4_jRbjT5_SW_jjP12ihipStream_tbEUlT_E_NS1_11comp_targetILNS1_3genE10ELNS1_11target_archE1200ELNS1_3gpuE4ELNS1_3repE0EEENS1_30default_config_static_selectorELNS0_4arch9wavefront6targetE0EEEvSK_,comdat
.Lfunc_end1435:
	.size	_ZN7rocprim17ROCPRIM_400000_NS6detail17trampoline_kernelINS0_14default_configENS1_36segmented_radix_sort_config_selectorIflEEZNS1_25segmented_radix_sort_implIS3_Lb0EPKfPfPKlPlN2at6native12_GLOBAL__N_18offset_tEEE10hipError_tPvRmT1_PNSt15iterator_traitsISK_E10value_typeET2_T3_PNSL_ISQ_E10value_typeET4_jRbjT5_SW_jjP12ihipStream_tbEUlT_E_NS1_11comp_targetILNS1_3genE10ELNS1_11target_archE1200ELNS1_3gpuE4ELNS1_3repE0EEENS1_30default_config_static_selectorELNS0_4arch9wavefront6targetE0EEEvSK_, .Lfunc_end1435-_ZN7rocprim17ROCPRIM_400000_NS6detail17trampoline_kernelINS0_14default_configENS1_36segmented_radix_sort_config_selectorIflEEZNS1_25segmented_radix_sort_implIS3_Lb0EPKfPfPKlPlN2at6native12_GLOBAL__N_18offset_tEEE10hipError_tPvRmT1_PNSt15iterator_traitsISK_E10value_typeET2_T3_PNSL_ISQ_E10value_typeET4_jRbjT5_SW_jjP12ihipStream_tbEUlT_E_NS1_11comp_targetILNS1_3genE10ELNS1_11target_archE1200ELNS1_3gpuE4ELNS1_3repE0EEENS1_30default_config_static_selectorELNS0_4arch9wavefront6targetE0EEEvSK_
                                        ; -- End function
	.set _ZN7rocprim17ROCPRIM_400000_NS6detail17trampoline_kernelINS0_14default_configENS1_36segmented_radix_sort_config_selectorIflEEZNS1_25segmented_radix_sort_implIS3_Lb0EPKfPfPKlPlN2at6native12_GLOBAL__N_18offset_tEEE10hipError_tPvRmT1_PNSt15iterator_traitsISK_E10value_typeET2_T3_PNSL_ISQ_E10value_typeET4_jRbjT5_SW_jjP12ihipStream_tbEUlT_E_NS1_11comp_targetILNS1_3genE10ELNS1_11target_archE1200ELNS1_3gpuE4ELNS1_3repE0EEENS1_30default_config_static_selectorELNS0_4arch9wavefront6targetE0EEEvSK_.num_vgpr, 0
	.set _ZN7rocprim17ROCPRIM_400000_NS6detail17trampoline_kernelINS0_14default_configENS1_36segmented_radix_sort_config_selectorIflEEZNS1_25segmented_radix_sort_implIS3_Lb0EPKfPfPKlPlN2at6native12_GLOBAL__N_18offset_tEEE10hipError_tPvRmT1_PNSt15iterator_traitsISK_E10value_typeET2_T3_PNSL_ISQ_E10value_typeET4_jRbjT5_SW_jjP12ihipStream_tbEUlT_E_NS1_11comp_targetILNS1_3genE10ELNS1_11target_archE1200ELNS1_3gpuE4ELNS1_3repE0EEENS1_30default_config_static_selectorELNS0_4arch9wavefront6targetE0EEEvSK_.num_agpr, 0
	.set _ZN7rocprim17ROCPRIM_400000_NS6detail17trampoline_kernelINS0_14default_configENS1_36segmented_radix_sort_config_selectorIflEEZNS1_25segmented_radix_sort_implIS3_Lb0EPKfPfPKlPlN2at6native12_GLOBAL__N_18offset_tEEE10hipError_tPvRmT1_PNSt15iterator_traitsISK_E10value_typeET2_T3_PNSL_ISQ_E10value_typeET4_jRbjT5_SW_jjP12ihipStream_tbEUlT_E_NS1_11comp_targetILNS1_3genE10ELNS1_11target_archE1200ELNS1_3gpuE4ELNS1_3repE0EEENS1_30default_config_static_selectorELNS0_4arch9wavefront6targetE0EEEvSK_.numbered_sgpr, 0
	.set _ZN7rocprim17ROCPRIM_400000_NS6detail17trampoline_kernelINS0_14default_configENS1_36segmented_radix_sort_config_selectorIflEEZNS1_25segmented_radix_sort_implIS3_Lb0EPKfPfPKlPlN2at6native12_GLOBAL__N_18offset_tEEE10hipError_tPvRmT1_PNSt15iterator_traitsISK_E10value_typeET2_T3_PNSL_ISQ_E10value_typeET4_jRbjT5_SW_jjP12ihipStream_tbEUlT_E_NS1_11comp_targetILNS1_3genE10ELNS1_11target_archE1200ELNS1_3gpuE4ELNS1_3repE0EEENS1_30default_config_static_selectorELNS0_4arch9wavefront6targetE0EEEvSK_.num_named_barrier, 0
	.set _ZN7rocprim17ROCPRIM_400000_NS6detail17trampoline_kernelINS0_14default_configENS1_36segmented_radix_sort_config_selectorIflEEZNS1_25segmented_radix_sort_implIS3_Lb0EPKfPfPKlPlN2at6native12_GLOBAL__N_18offset_tEEE10hipError_tPvRmT1_PNSt15iterator_traitsISK_E10value_typeET2_T3_PNSL_ISQ_E10value_typeET4_jRbjT5_SW_jjP12ihipStream_tbEUlT_E_NS1_11comp_targetILNS1_3genE10ELNS1_11target_archE1200ELNS1_3gpuE4ELNS1_3repE0EEENS1_30default_config_static_selectorELNS0_4arch9wavefront6targetE0EEEvSK_.private_seg_size, 0
	.set _ZN7rocprim17ROCPRIM_400000_NS6detail17trampoline_kernelINS0_14default_configENS1_36segmented_radix_sort_config_selectorIflEEZNS1_25segmented_radix_sort_implIS3_Lb0EPKfPfPKlPlN2at6native12_GLOBAL__N_18offset_tEEE10hipError_tPvRmT1_PNSt15iterator_traitsISK_E10value_typeET2_T3_PNSL_ISQ_E10value_typeET4_jRbjT5_SW_jjP12ihipStream_tbEUlT_E_NS1_11comp_targetILNS1_3genE10ELNS1_11target_archE1200ELNS1_3gpuE4ELNS1_3repE0EEENS1_30default_config_static_selectorELNS0_4arch9wavefront6targetE0EEEvSK_.uses_vcc, 0
	.set _ZN7rocprim17ROCPRIM_400000_NS6detail17trampoline_kernelINS0_14default_configENS1_36segmented_radix_sort_config_selectorIflEEZNS1_25segmented_radix_sort_implIS3_Lb0EPKfPfPKlPlN2at6native12_GLOBAL__N_18offset_tEEE10hipError_tPvRmT1_PNSt15iterator_traitsISK_E10value_typeET2_T3_PNSL_ISQ_E10value_typeET4_jRbjT5_SW_jjP12ihipStream_tbEUlT_E_NS1_11comp_targetILNS1_3genE10ELNS1_11target_archE1200ELNS1_3gpuE4ELNS1_3repE0EEENS1_30default_config_static_selectorELNS0_4arch9wavefront6targetE0EEEvSK_.uses_flat_scratch, 0
	.set _ZN7rocprim17ROCPRIM_400000_NS6detail17trampoline_kernelINS0_14default_configENS1_36segmented_radix_sort_config_selectorIflEEZNS1_25segmented_radix_sort_implIS3_Lb0EPKfPfPKlPlN2at6native12_GLOBAL__N_18offset_tEEE10hipError_tPvRmT1_PNSt15iterator_traitsISK_E10value_typeET2_T3_PNSL_ISQ_E10value_typeET4_jRbjT5_SW_jjP12ihipStream_tbEUlT_E_NS1_11comp_targetILNS1_3genE10ELNS1_11target_archE1200ELNS1_3gpuE4ELNS1_3repE0EEENS1_30default_config_static_selectorELNS0_4arch9wavefront6targetE0EEEvSK_.has_dyn_sized_stack, 0
	.set _ZN7rocprim17ROCPRIM_400000_NS6detail17trampoline_kernelINS0_14default_configENS1_36segmented_radix_sort_config_selectorIflEEZNS1_25segmented_radix_sort_implIS3_Lb0EPKfPfPKlPlN2at6native12_GLOBAL__N_18offset_tEEE10hipError_tPvRmT1_PNSt15iterator_traitsISK_E10value_typeET2_T3_PNSL_ISQ_E10value_typeET4_jRbjT5_SW_jjP12ihipStream_tbEUlT_E_NS1_11comp_targetILNS1_3genE10ELNS1_11target_archE1200ELNS1_3gpuE4ELNS1_3repE0EEENS1_30default_config_static_selectorELNS0_4arch9wavefront6targetE0EEEvSK_.has_recursion, 0
	.set _ZN7rocprim17ROCPRIM_400000_NS6detail17trampoline_kernelINS0_14default_configENS1_36segmented_radix_sort_config_selectorIflEEZNS1_25segmented_radix_sort_implIS3_Lb0EPKfPfPKlPlN2at6native12_GLOBAL__N_18offset_tEEE10hipError_tPvRmT1_PNSt15iterator_traitsISK_E10value_typeET2_T3_PNSL_ISQ_E10value_typeET4_jRbjT5_SW_jjP12ihipStream_tbEUlT_E_NS1_11comp_targetILNS1_3genE10ELNS1_11target_archE1200ELNS1_3gpuE4ELNS1_3repE0EEENS1_30default_config_static_selectorELNS0_4arch9wavefront6targetE0EEEvSK_.has_indirect_call, 0
	.section	.AMDGPU.csdata,"",@progbits
; Kernel info:
; codeLenInByte = 0
; TotalNumSgprs: 0
; NumVgprs: 0
; ScratchSize: 0
; MemoryBound: 0
; FloatMode: 240
; IeeeMode: 1
; LDSByteSize: 0 bytes/workgroup (compile time only)
; SGPRBlocks: 0
; VGPRBlocks: 0
; NumSGPRsForWavesPerEU: 1
; NumVGPRsForWavesPerEU: 1
; Occupancy: 16
; WaveLimiterHint : 0
; COMPUTE_PGM_RSRC2:SCRATCH_EN: 0
; COMPUTE_PGM_RSRC2:USER_SGPR: 2
; COMPUTE_PGM_RSRC2:TRAP_HANDLER: 0
; COMPUTE_PGM_RSRC2:TGID_X_EN: 1
; COMPUTE_PGM_RSRC2:TGID_Y_EN: 0
; COMPUTE_PGM_RSRC2:TGID_Z_EN: 0
; COMPUTE_PGM_RSRC2:TIDIG_COMP_CNT: 0
	.section	.text._ZN7rocprim17ROCPRIM_400000_NS6detail17trampoline_kernelINS0_14default_configENS1_36segmented_radix_sort_config_selectorIflEEZNS1_25segmented_radix_sort_implIS3_Lb0EPKfPfPKlPlN2at6native12_GLOBAL__N_18offset_tEEE10hipError_tPvRmT1_PNSt15iterator_traitsISK_E10value_typeET2_T3_PNSL_ISQ_E10value_typeET4_jRbjT5_SW_jjP12ihipStream_tbEUlT_E_NS1_11comp_targetILNS1_3genE9ELNS1_11target_archE1100ELNS1_3gpuE3ELNS1_3repE0EEENS1_30default_config_static_selectorELNS0_4arch9wavefront6targetE0EEEvSK_,"axG",@progbits,_ZN7rocprim17ROCPRIM_400000_NS6detail17trampoline_kernelINS0_14default_configENS1_36segmented_radix_sort_config_selectorIflEEZNS1_25segmented_radix_sort_implIS3_Lb0EPKfPfPKlPlN2at6native12_GLOBAL__N_18offset_tEEE10hipError_tPvRmT1_PNSt15iterator_traitsISK_E10value_typeET2_T3_PNSL_ISQ_E10value_typeET4_jRbjT5_SW_jjP12ihipStream_tbEUlT_E_NS1_11comp_targetILNS1_3genE9ELNS1_11target_archE1100ELNS1_3gpuE3ELNS1_3repE0EEENS1_30default_config_static_selectorELNS0_4arch9wavefront6targetE0EEEvSK_,comdat
	.globl	_ZN7rocprim17ROCPRIM_400000_NS6detail17trampoline_kernelINS0_14default_configENS1_36segmented_radix_sort_config_selectorIflEEZNS1_25segmented_radix_sort_implIS3_Lb0EPKfPfPKlPlN2at6native12_GLOBAL__N_18offset_tEEE10hipError_tPvRmT1_PNSt15iterator_traitsISK_E10value_typeET2_T3_PNSL_ISQ_E10value_typeET4_jRbjT5_SW_jjP12ihipStream_tbEUlT_E_NS1_11comp_targetILNS1_3genE9ELNS1_11target_archE1100ELNS1_3gpuE3ELNS1_3repE0EEENS1_30default_config_static_selectorELNS0_4arch9wavefront6targetE0EEEvSK_ ; -- Begin function _ZN7rocprim17ROCPRIM_400000_NS6detail17trampoline_kernelINS0_14default_configENS1_36segmented_radix_sort_config_selectorIflEEZNS1_25segmented_radix_sort_implIS3_Lb0EPKfPfPKlPlN2at6native12_GLOBAL__N_18offset_tEEE10hipError_tPvRmT1_PNSt15iterator_traitsISK_E10value_typeET2_T3_PNSL_ISQ_E10value_typeET4_jRbjT5_SW_jjP12ihipStream_tbEUlT_E_NS1_11comp_targetILNS1_3genE9ELNS1_11target_archE1100ELNS1_3gpuE3ELNS1_3repE0EEENS1_30default_config_static_selectorELNS0_4arch9wavefront6targetE0EEEvSK_
	.p2align	8
	.type	_ZN7rocprim17ROCPRIM_400000_NS6detail17trampoline_kernelINS0_14default_configENS1_36segmented_radix_sort_config_selectorIflEEZNS1_25segmented_radix_sort_implIS3_Lb0EPKfPfPKlPlN2at6native12_GLOBAL__N_18offset_tEEE10hipError_tPvRmT1_PNSt15iterator_traitsISK_E10value_typeET2_T3_PNSL_ISQ_E10value_typeET4_jRbjT5_SW_jjP12ihipStream_tbEUlT_E_NS1_11comp_targetILNS1_3genE9ELNS1_11target_archE1100ELNS1_3gpuE3ELNS1_3repE0EEENS1_30default_config_static_selectorELNS0_4arch9wavefront6targetE0EEEvSK_,@function
_ZN7rocprim17ROCPRIM_400000_NS6detail17trampoline_kernelINS0_14default_configENS1_36segmented_radix_sort_config_selectorIflEEZNS1_25segmented_radix_sort_implIS3_Lb0EPKfPfPKlPlN2at6native12_GLOBAL__N_18offset_tEEE10hipError_tPvRmT1_PNSt15iterator_traitsISK_E10value_typeET2_T3_PNSL_ISQ_E10value_typeET4_jRbjT5_SW_jjP12ihipStream_tbEUlT_E_NS1_11comp_targetILNS1_3genE9ELNS1_11target_archE1100ELNS1_3gpuE3ELNS1_3repE0EEENS1_30default_config_static_selectorELNS0_4arch9wavefront6targetE0EEEvSK_: ; @_ZN7rocprim17ROCPRIM_400000_NS6detail17trampoline_kernelINS0_14default_configENS1_36segmented_radix_sort_config_selectorIflEEZNS1_25segmented_radix_sort_implIS3_Lb0EPKfPfPKlPlN2at6native12_GLOBAL__N_18offset_tEEE10hipError_tPvRmT1_PNSt15iterator_traitsISK_E10value_typeET2_T3_PNSL_ISQ_E10value_typeET4_jRbjT5_SW_jjP12ihipStream_tbEUlT_E_NS1_11comp_targetILNS1_3genE9ELNS1_11target_archE1100ELNS1_3gpuE3ELNS1_3repE0EEENS1_30default_config_static_selectorELNS0_4arch9wavefront6targetE0EEEvSK_
; %bb.0:
	.section	.rodata,"a",@progbits
	.p2align	6, 0x0
	.amdhsa_kernel _ZN7rocprim17ROCPRIM_400000_NS6detail17trampoline_kernelINS0_14default_configENS1_36segmented_radix_sort_config_selectorIflEEZNS1_25segmented_radix_sort_implIS3_Lb0EPKfPfPKlPlN2at6native12_GLOBAL__N_18offset_tEEE10hipError_tPvRmT1_PNSt15iterator_traitsISK_E10value_typeET2_T3_PNSL_ISQ_E10value_typeET4_jRbjT5_SW_jjP12ihipStream_tbEUlT_E_NS1_11comp_targetILNS1_3genE9ELNS1_11target_archE1100ELNS1_3gpuE3ELNS1_3repE0EEENS1_30default_config_static_selectorELNS0_4arch9wavefront6targetE0EEEvSK_
		.amdhsa_group_segment_fixed_size 0
		.amdhsa_private_segment_fixed_size 0
		.amdhsa_kernarg_size 96
		.amdhsa_user_sgpr_count 2
		.amdhsa_user_sgpr_dispatch_ptr 0
		.amdhsa_user_sgpr_queue_ptr 0
		.amdhsa_user_sgpr_kernarg_segment_ptr 1
		.amdhsa_user_sgpr_dispatch_id 0
		.amdhsa_user_sgpr_private_segment_size 0
		.amdhsa_wavefront_size32 1
		.amdhsa_uses_dynamic_stack 0
		.amdhsa_enable_private_segment 0
		.amdhsa_system_sgpr_workgroup_id_x 1
		.amdhsa_system_sgpr_workgroup_id_y 0
		.amdhsa_system_sgpr_workgroup_id_z 0
		.amdhsa_system_sgpr_workgroup_info 0
		.amdhsa_system_vgpr_workitem_id 0
		.amdhsa_next_free_vgpr 1
		.amdhsa_next_free_sgpr 1
		.amdhsa_reserve_vcc 0
		.amdhsa_float_round_mode_32 0
		.amdhsa_float_round_mode_16_64 0
		.amdhsa_float_denorm_mode_32 3
		.amdhsa_float_denorm_mode_16_64 3
		.amdhsa_fp16_overflow 0
		.amdhsa_workgroup_processor_mode 1
		.amdhsa_memory_ordered 1
		.amdhsa_forward_progress 1
		.amdhsa_inst_pref_size 0
		.amdhsa_round_robin_scheduling 0
		.amdhsa_exception_fp_ieee_invalid_op 0
		.amdhsa_exception_fp_denorm_src 0
		.amdhsa_exception_fp_ieee_div_zero 0
		.amdhsa_exception_fp_ieee_overflow 0
		.amdhsa_exception_fp_ieee_underflow 0
		.amdhsa_exception_fp_ieee_inexact 0
		.amdhsa_exception_int_div_zero 0
	.end_amdhsa_kernel
	.section	.text._ZN7rocprim17ROCPRIM_400000_NS6detail17trampoline_kernelINS0_14default_configENS1_36segmented_radix_sort_config_selectorIflEEZNS1_25segmented_radix_sort_implIS3_Lb0EPKfPfPKlPlN2at6native12_GLOBAL__N_18offset_tEEE10hipError_tPvRmT1_PNSt15iterator_traitsISK_E10value_typeET2_T3_PNSL_ISQ_E10value_typeET4_jRbjT5_SW_jjP12ihipStream_tbEUlT_E_NS1_11comp_targetILNS1_3genE9ELNS1_11target_archE1100ELNS1_3gpuE3ELNS1_3repE0EEENS1_30default_config_static_selectorELNS0_4arch9wavefront6targetE0EEEvSK_,"axG",@progbits,_ZN7rocprim17ROCPRIM_400000_NS6detail17trampoline_kernelINS0_14default_configENS1_36segmented_radix_sort_config_selectorIflEEZNS1_25segmented_radix_sort_implIS3_Lb0EPKfPfPKlPlN2at6native12_GLOBAL__N_18offset_tEEE10hipError_tPvRmT1_PNSt15iterator_traitsISK_E10value_typeET2_T3_PNSL_ISQ_E10value_typeET4_jRbjT5_SW_jjP12ihipStream_tbEUlT_E_NS1_11comp_targetILNS1_3genE9ELNS1_11target_archE1100ELNS1_3gpuE3ELNS1_3repE0EEENS1_30default_config_static_selectorELNS0_4arch9wavefront6targetE0EEEvSK_,comdat
.Lfunc_end1436:
	.size	_ZN7rocprim17ROCPRIM_400000_NS6detail17trampoline_kernelINS0_14default_configENS1_36segmented_radix_sort_config_selectorIflEEZNS1_25segmented_radix_sort_implIS3_Lb0EPKfPfPKlPlN2at6native12_GLOBAL__N_18offset_tEEE10hipError_tPvRmT1_PNSt15iterator_traitsISK_E10value_typeET2_T3_PNSL_ISQ_E10value_typeET4_jRbjT5_SW_jjP12ihipStream_tbEUlT_E_NS1_11comp_targetILNS1_3genE9ELNS1_11target_archE1100ELNS1_3gpuE3ELNS1_3repE0EEENS1_30default_config_static_selectorELNS0_4arch9wavefront6targetE0EEEvSK_, .Lfunc_end1436-_ZN7rocprim17ROCPRIM_400000_NS6detail17trampoline_kernelINS0_14default_configENS1_36segmented_radix_sort_config_selectorIflEEZNS1_25segmented_radix_sort_implIS3_Lb0EPKfPfPKlPlN2at6native12_GLOBAL__N_18offset_tEEE10hipError_tPvRmT1_PNSt15iterator_traitsISK_E10value_typeET2_T3_PNSL_ISQ_E10value_typeET4_jRbjT5_SW_jjP12ihipStream_tbEUlT_E_NS1_11comp_targetILNS1_3genE9ELNS1_11target_archE1100ELNS1_3gpuE3ELNS1_3repE0EEENS1_30default_config_static_selectorELNS0_4arch9wavefront6targetE0EEEvSK_
                                        ; -- End function
	.set _ZN7rocprim17ROCPRIM_400000_NS6detail17trampoline_kernelINS0_14default_configENS1_36segmented_radix_sort_config_selectorIflEEZNS1_25segmented_radix_sort_implIS3_Lb0EPKfPfPKlPlN2at6native12_GLOBAL__N_18offset_tEEE10hipError_tPvRmT1_PNSt15iterator_traitsISK_E10value_typeET2_T3_PNSL_ISQ_E10value_typeET4_jRbjT5_SW_jjP12ihipStream_tbEUlT_E_NS1_11comp_targetILNS1_3genE9ELNS1_11target_archE1100ELNS1_3gpuE3ELNS1_3repE0EEENS1_30default_config_static_selectorELNS0_4arch9wavefront6targetE0EEEvSK_.num_vgpr, 0
	.set _ZN7rocprim17ROCPRIM_400000_NS6detail17trampoline_kernelINS0_14default_configENS1_36segmented_radix_sort_config_selectorIflEEZNS1_25segmented_radix_sort_implIS3_Lb0EPKfPfPKlPlN2at6native12_GLOBAL__N_18offset_tEEE10hipError_tPvRmT1_PNSt15iterator_traitsISK_E10value_typeET2_T3_PNSL_ISQ_E10value_typeET4_jRbjT5_SW_jjP12ihipStream_tbEUlT_E_NS1_11comp_targetILNS1_3genE9ELNS1_11target_archE1100ELNS1_3gpuE3ELNS1_3repE0EEENS1_30default_config_static_selectorELNS0_4arch9wavefront6targetE0EEEvSK_.num_agpr, 0
	.set _ZN7rocprim17ROCPRIM_400000_NS6detail17trampoline_kernelINS0_14default_configENS1_36segmented_radix_sort_config_selectorIflEEZNS1_25segmented_radix_sort_implIS3_Lb0EPKfPfPKlPlN2at6native12_GLOBAL__N_18offset_tEEE10hipError_tPvRmT1_PNSt15iterator_traitsISK_E10value_typeET2_T3_PNSL_ISQ_E10value_typeET4_jRbjT5_SW_jjP12ihipStream_tbEUlT_E_NS1_11comp_targetILNS1_3genE9ELNS1_11target_archE1100ELNS1_3gpuE3ELNS1_3repE0EEENS1_30default_config_static_selectorELNS0_4arch9wavefront6targetE0EEEvSK_.numbered_sgpr, 0
	.set _ZN7rocprim17ROCPRIM_400000_NS6detail17trampoline_kernelINS0_14default_configENS1_36segmented_radix_sort_config_selectorIflEEZNS1_25segmented_radix_sort_implIS3_Lb0EPKfPfPKlPlN2at6native12_GLOBAL__N_18offset_tEEE10hipError_tPvRmT1_PNSt15iterator_traitsISK_E10value_typeET2_T3_PNSL_ISQ_E10value_typeET4_jRbjT5_SW_jjP12ihipStream_tbEUlT_E_NS1_11comp_targetILNS1_3genE9ELNS1_11target_archE1100ELNS1_3gpuE3ELNS1_3repE0EEENS1_30default_config_static_selectorELNS0_4arch9wavefront6targetE0EEEvSK_.num_named_barrier, 0
	.set _ZN7rocprim17ROCPRIM_400000_NS6detail17trampoline_kernelINS0_14default_configENS1_36segmented_radix_sort_config_selectorIflEEZNS1_25segmented_radix_sort_implIS3_Lb0EPKfPfPKlPlN2at6native12_GLOBAL__N_18offset_tEEE10hipError_tPvRmT1_PNSt15iterator_traitsISK_E10value_typeET2_T3_PNSL_ISQ_E10value_typeET4_jRbjT5_SW_jjP12ihipStream_tbEUlT_E_NS1_11comp_targetILNS1_3genE9ELNS1_11target_archE1100ELNS1_3gpuE3ELNS1_3repE0EEENS1_30default_config_static_selectorELNS0_4arch9wavefront6targetE0EEEvSK_.private_seg_size, 0
	.set _ZN7rocprim17ROCPRIM_400000_NS6detail17trampoline_kernelINS0_14default_configENS1_36segmented_radix_sort_config_selectorIflEEZNS1_25segmented_radix_sort_implIS3_Lb0EPKfPfPKlPlN2at6native12_GLOBAL__N_18offset_tEEE10hipError_tPvRmT1_PNSt15iterator_traitsISK_E10value_typeET2_T3_PNSL_ISQ_E10value_typeET4_jRbjT5_SW_jjP12ihipStream_tbEUlT_E_NS1_11comp_targetILNS1_3genE9ELNS1_11target_archE1100ELNS1_3gpuE3ELNS1_3repE0EEENS1_30default_config_static_selectorELNS0_4arch9wavefront6targetE0EEEvSK_.uses_vcc, 0
	.set _ZN7rocprim17ROCPRIM_400000_NS6detail17trampoline_kernelINS0_14default_configENS1_36segmented_radix_sort_config_selectorIflEEZNS1_25segmented_radix_sort_implIS3_Lb0EPKfPfPKlPlN2at6native12_GLOBAL__N_18offset_tEEE10hipError_tPvRmT1_PNSt15iterator_traitsISK_E10value_typeET2_T3_PNSL_ISQ_E10value_typeET4_jRbjT5_SW_jjP12ihipStream_tbEUlT_E_NS1_11comp_targetILNS1_3genE9ELNS1_11target_archE1100ELNS1_3gpuE3ELNS1_3repE0EEENS1_30default_config_static_selectorELNS0_4arch9wavefront6targetE0EEEvSK_.uses_flat_scratch, 0
	.set _ZN7rocprim17ROCPRIM_400000_NS6detail17trampoline_kernelINS0_14default_configENS1_36segmented_radix_sort_config_selectorIflEEZNS1_25segmented_radix_sort_implIS3_Lb0EPKfPfPKlPlN2at6native12_GLOBAL__N_18offset_tEEE10hipError_tPvRmT1_PNSt15iterator_traitsISK_E10value_typeET2_T3_PNSL_ISQ_E10value_typeET4_jRbjT5_SW_jjP12ihipStream_tbEUlT_E_NS1_11comp_targetILNS1_3genE9ELNS1_11target_archE1100ELNS1_3gpuE3ELNS1_3repE0EEENS1_30default_config_static_selectorELNS0_4arch9wavefront6targetE0EEEvSK_.has_dyn_sized_stack, 0
	.set _ZN7rocprim17ROCPRIM_400000_NS6detail17trampoline_kernelINS0_14default_configENS1_36segmented_radix_sort_config_selectorIflEEZNS1_25segmented_radix_sort_implIS3_Lb0EPKfPfPKlPlN2at6native12_GLOBAL__N_18offset_tEEE10hipError_tPvRmT1_PNSt15iterator_traitsISK_E10value_typeET2_T3_PNSL_ISQ_E10value_typeET4_jRbjT5_SW_jjP12ihipStream_tbEUlT_E_NS1_11comp_targetILNS1_3genE9ELNS1_11target_archE1100ELNS1_3gpuE3ELNS1_3repE0EEENS1_30default_config_static_selectorELNS0_4arch9wavefront6targetE0EEEvSK_.has_recursion, 0
	.set _ZN7rocprim17ROCPRIM_400000_NS6detail17trampoline_kernelINS0_14default_configENS1_36segmented_radix_sort_config_selectorIflEEZNS1_25segmented_radix_sort_implIS3_Lb0EPKfPfPKlPlN2at6native12_GLOBAL__N_18offset_tEEE10hipError_tPvRmT1_PNSt15iterator_traitsISK_E10value_typeET2_T3_PNSL_ISQ_E10value_typeET4_jRbjT5_SW_jjP12ihipStream_tbEUlT_E_NS1_11comp_targetILNS1_3genE9ELNS1_11target_archE1100ELNS1_3gpuE3ELNS1_3repE0EEENS1_30default_config_static_selectorELNS0_4arch9wavefront6targetE0EEEvSK_.has_indirect_call, 0
	.section	.AMDGPU.csdata,"",@progbits
; Kernel info:
; codeLenInByte = 0
; TotalNumSgprs: 0
; NumVgprs: 0
; ScratchSize: 0
; MemoryBound: 0
; FloatMode: 240
; IeeeMode: 1
; LDSByteSize: 0 bytes/workgroup (compile time only)
; SGPRBlocks: 0
; VGPRBlocks: 0
; NumSGPRsForWavesPerEU: 1
; NumVGPRsForWavesPerEU: 1
; Occupancy: 16
; WaveLimiterHint : 0
; COMPUTE_PGM_RSRC2:SCRATCH_EN: 0
; COMPUTE_PGM_RSRC2:USER_SGPR: 2
; COMPUTE_PGM_RSRC2:TRAP_HANDLER: 0
; COMPUTE_PGM_RSRC2:TGID_X_EN: 1
; COMPUTE_PGM_RSRC2:TGID_Y_EN: 0
; COMPUTE_PGM_RSRC2:TGID_Z_EN: 0
; COMPUTE_PGM_RSRC2:TIDIG_COMP_CNT: 0
	.section	.text._ZN7rocprim17ROCPRIM_400000_NS6detail17trampoline_kernelINS0_14default_configENS1_36segmented_radix_sort_config_selectorIflEEZNS1_25segmented_radix_sort_implIS3_Lb0EPKfPfPKlPlN2at6native12_GLOBAL__N_18offset_tEEE10hipError_tPvRmT1_PNSt15iterator_traitsISK_E10value_typeET2_T3_PNSL_ISQ_E10value_typeET4_jRbjT5_SW_jjP12ihipStream_tbEUlT_E_NS1_11comp_targetILNS1_3genE8ELNS1_11target_archE1030ELNS1_3gpuE2ELNS1_3repE0EEENS1_30default_config_static_selectorELNS0_4arch9wavefront6targetE0EEEvSK_,"axG",@progbits,_ZN7rocprim17ROCPRIM_400000_NS6detail17trampoline_kernelINS0_14default_configENS1_36segmented_radix_sort_config_selectorIflEEZNS1_25segmented_radix_sort_implIS3_Lb0EPKfPfPKlPlN2at6native12_GLOBAL__N_18offset_tEEE10hipError_tPvRmT1_PNSt15iterator_traitsISK_E10value_typeET2_T3_PNSL_ISQ_E10value_typeET4_jRbjT5_SW_jjP12ihipStream_tbEUlT_E_NS1_11comp_targetILNS1_3genE8ELNS1_11target_archE1030ELNS1_3gpuE2ELNS1_3repE0EEENS1_30default_config_static_selectorELNS0_4arch9wavefront6targetE0EEEvSK_,comdat
	.globl	_ZN7rocprim17ROCPRIM_400000_NS6detail17trampoline_kernelINS0_14default_configENS1_36segmented_radix_sort_config_selectorIflEEZNS1_25segmented_radix_sort_implIS3_Lb0EPKfPfPKlPlN2at6native12_GLOBAL__N_18offset_tEEE10hipError_tPvRmT1_PNSt15iterator_traitsISK_E10value_typeET2_T3_PNSL_ISQ_E10value_typeET4_jRbjT5_SW_jjP12ihipStream_tbEUlT_E_NS1_11comp_targetILNS1_3genE8ELNS1_11target_archE1030ELNS1_3gpuE2ELNS1_3repE0EEENS1_30default_config_static_selectorELNS0_4arch9wavefront6targetE0EEEvSK_ ; -- Begin function _ZN7rocprim17ROCPRIM_400000_NS6detail17trampoline_kernelINS0_14default_configENS1_36segmented_radix_sort_config_selectorIflEEZNS1_25segmented_radix_sort_implIS3_Lb0EPKfPfPKlPlN2at6native12_GLOBAL__N_18offset_tEEE10hipError_tPvRmT1_PNSt15iterator_traitsISK_E10value_typeET2_T3_PNSL_ISQ_E10value_typeET4_jRbjT5_SW_jjP12ihipStream_tbEUlT_E_NS1_11comp_targetILNS1_3genE8ELNS1_11target_archE1030ELNS1_3gpuE2ELNS1_3repE0EEENS1_30default_config_static_selectorELNS0_4arch9wavefront6targetE0EEEvSK_
	.p2align	8
	.type	_ZN7rocprim17ROCPRIM_400000_NS6detail17trampoline_kernelINS0_14default_configENS1_36segmented_radix_sort_config_selectorIflEEZNS1_25segmented_radix_sort_implIS3_Lb0EPKfPfPKlPlN2at6native12_GLOBAL__N_18offset_tEEE10hipError_tPvRmT1_PNSt15iterator_traitsISK_E10value_typeET2_T3_PNSL_ISQ_E10value_typeET4_jRbjT5_SW_jjP12ihipStream_tbEUlT_E_NS1_11comp_targetILNS1_3genE8ELNS1_11target_archE1030ELNS1_3gpuE2ELNS1_3repE0EEENS1_30default_config_static_selectorELNS0_4arch9wavefront6targetE0EEEvSK_,@function
_ZN7rocprim17ROCPRIM_400000_NS6detail17trampoline_kernelINS0_14default_configENS1_36segmented_radix_sort_config_selectorIflEEZNS1_25segmented_radix_sort_implIS3_Lb0EPKfPfPKlPlN2at6native12_GLOBAL__N_18offset_tEEE10hipError_tPvRmT1_PNSt15iterator_traitsISK_E10value_typeET2_T3_PNSL_ISQ_E10value_typeET4_jRbjT5_SW_jjP12ihipStream_tbEUlT_E_NS1_11comp_targetILNS1_3genE8ELNS1_11target_archE1030ELNS1_3gpuE2ELNS1_3repE0EEENS1_30default_config_static_selectorELNS0_4arch9wavefront6targetE0EEEvSK_: ; @_ZN7rocprim17ROCPRIM_400000_NS6detail17trampoline_kernelINS0_14default_configENS1_36segmented_radix_sort_config_selectorIflEEZNS1_25segmented_radix_sort_implIS3_Lb0EPKfPfPKlPlN2at6native12_GLOBAL__N_18offset_tEEE10hipError_tPvRmT1_PNSt15iterator_traitsISK_E10value_typeET2_T3_PNSL_ISQ_E10value_typeET4_jRbjT5_SW_jjP12ihipStream_tbEUlT_E_NS1_11comp_targetILNS1_3genE8ELNS1_11target_archE1030ELNS1_3gpuE2ELNS1_3repE0EEENS1_30default_config_static_selectorELNS0_4arch9wavefront6targetE0EEEvSK_
; %bb.0:
	.section	.rodata,"a",@progbits
	.p2align	6, 0x0
	.amdhsa_kernel _ZN7rocprim17ROCPRIM_400000_NS6detail17trampoline_kernelINS0_14default_configENS1_36segmented_radix_sort_config_selectorIflEEZNS1_25segmented_radix_sort_implIS3_Lb0EPKfPfPKlPlN2at6native12_GLOBAL__N_18offset_tEEE10hipError_tPvRmT1_PNSt15iterator_traitsISK_E10value_typeET2_T3_PNSL_ISQ_E10value_typeET4_jRbjT5_SW_jjP12ihipStream_tbEUlT_E_NS1_11comp_targetILNS1_3genE8ELNS1_11target_archE1030ELNS1_3gpuE2ELNS1_3repE0EEENS1_30default_config_static_selectorELNS0_4arch9wavefront6targetE0EEEvSK_
		.amdhsa_group_segment_fixed_size 0
		.amdhsa_private_segment_fixed_size 0
		.amdhsa_kernarg_size 96
		.amdhsa_user_sgpr_count 2
		.amdhsa_user_sgpr_dispatch_ptr 0
		.amdhsa_user_sgpr_queue_ptr 0
		.amdhsa_user_sgpr_kernarg_segment_ptr 1
		.amdhsa_user_sgpr_dispatch_id 0
		.amdhsa_user_sgpr_private_segment_size 0
		.amdhsa_wavefront_size32 1
		.amdhsa_uses_dynamic_stack 0
		.amdhsa_enable_private_segment 0
		.amdhsa_system_sgpr_workgroup_id_x 1
		.amdhsa_system_sgpr_workgroup_id_y 0
		.amdhsa_system_sgpr_workgroup_id_z 0
		.amdhsa_system_sgpr_workgroup_info 0
		.amdhsa_system_vgpr_workitem_id 0
		.amdhsa_next_free_vgpr 1
		.amdhsa_next_free_sgpr 1
		.amdhsa_reserve_vcc 0
		.amdhsa_float_round_mode_32 0
		.amdhsa_float_round_mode_16_64 0
		.amdhsa_float_denorm_mode_32 3
		.amdhsa_float_denorm_mode_16_64 3
		.amdhsa_fp16_overflow 0
		.amdhsa_workgroup_processor_mode 1
		.amdhsa_memory_ordered 1
		.amdhsa_forward_progress 1
		.amdhsa_inst_pref_size 0
		.amdhsa_round_robin_scheduling 0
		.amdhsa_exception_fp_ieee_invalid_op 0
		.amdhsa_exception_fp_denorm_src 0
		.amdhsa_exception_fp_ieee_div_zero 0
		.amdhsa_exception_fp_ieee_overflow 0
		.amdhsa_exception_fp_ieee_underflow 0
		.amdhsa_exception_fp_ieee_inexact 0
		.amdhsa_exception_int_div_zero 0
	.end_amdhsa_kernel
	.section	.text._ZN7rocprim17ROCPRIM_400000_NS6detail17trampoline_kernelINS0_14default_configENS1_36segmented_radix_sort_config_selectorIflEEZNS1_25segmented_radix_sort_implIS3_Lb0EPKfPfPKlPlN2at6native12_GLOBAL__N_18offset_tEEE10hipError_tPvRmT1_PNSt15iterator_traitsISK_E10value_typeET2_T3_PNSL_ISQ_E10value_typeET4_jRbjT5_SW_jjP12ihipStream_tbEUlT_E_NS1_11comp_targetILNS1_3genE8ELNS1_11target_archE1030ELNS1_3gpuE2ELNS1_3repE0EEENS1_30default_config_static_selectorELNS0_4arch9wavefront6targetE0EEEvSK_,"axG",@progbits,_ZN7rocprim17ROCPRIM_400000_NS6detail17trampoline_kernelINS0_14default_configENS1_36segmented_radix_sort_config_selectorIflEEZNS1_25segmented_radix_sort_implIS3_Lb0EPKfPfPKlPlN2at6native12_GLOBAL__N_18offset_tEEE10hipError_tPvRmT1_PNSt15iterator_traitsISK_E10value_typeET2_T3_PNSL_ISQ_E10value_typeET4_jRbjT5_SW_jjP12ihipStream_tbEUlT_E_NS1_11comp_targetILNS1_3genE8ELNS1_11target_archE1030ELNS1_3gpuE2ELNS1_3repE0EEENS1_30default_config_static_selectorELNS0_4arch9wavefront6targetE0EEEvSK_,comdat
.Lfunc_end1437:
	.size	_ZN7rocprim17ROCPRIM_400000_NS6detail17trampoline_kernelINS0_14default_configENS1_36segmented_radix_sort_config_selectorIflEEZNS1_25segmented_radix_sort_implIS3_Lb0EPKfPfPKlPlN2at6native12_GLOBAL__N_18offset_tEEE10hipError_tPvRmT1_PNSt15iterator_traitsISK_E10value_typeET2_T3_PNSL_ISQ_E10value_typeET4_jRbjT5_SW_jjP12ihipStream_tbEUlT_E_NS1_11comp_targetILNS1_3genE8ELNS1_11target_archE1030ELNS1_3gpuE2ELNS1_3repE0EEENS1_30default_config_static_selectorELNS0_4arch9wavefront6targetE0EEEvSK_, .Lfunc_end1437-_ZN7rocprim17ROCPRIM_400000_NS6detail17trampoline_kernelINS0_14default_configENS1_36segmented_radix_sort_config_selectorIflEEZNS1_25segmented_radix_sort_implIS3_Lb0EPKfPfPKlPlN2at6native12_GLOBAL__N_18offset_tEEE10hipError_tPvRmT1_PNSt15iterator_traitsISK_E10value_typeET2_T3_PNSL_ISQ_E10value_typeET4_jRbjT5_SW_jjP12ihipStream_tbEUlT_E_NS1_11comp_targetILNS1_3genE8ELNS1_11target_archE1030ELNS1_3gpuE2ELNS1_3repE0EEENS1_30default_config_static_selectorELNS0_4arch9wavefront6targetE0EEEvSK_
                                        ; -- End function
	.set _ZN7rocprim17ROCPRIM_400000_NS6detail17trampoline_kernelINS0_14default_configENS1_36segmented_radix_sort_config_selectorIflEEZNS1_25segmented_radix_sort_implIS3_Lb0EPKfPfPKlPlN2at6native12_GLOBAL__N_18offset_tEEE10hipError_tPvRmT1_PNSt15iterator_traitsISK_E10value_typeET2_T3_PNSL_ISQ_E10value_typeET4_jRbjT5_SW_jjP12ihipStream_tbEUlT_E_NS1_11comp_targetILNS1_3genE8ELNS1_11target_archE1030ELNS1_3gpuE2ELNS1_3repE0EEENS1_30default_config_static_selectorELNS0_4arch9wavefront6targetE0EEEvSK_.num_vgpr, 0
	.set _ZN7rocprim17ROCPRIM_400000_NS6detail17trampoline_kernelINS0_14default_configENS1_36segmented_radix_sort_config_selectorIflEEZNS1_25segmented_radix_sort_implIS3_Lb0EPKfPfPKlPlN2at6native12_GLOBAL__N_18offset_tEEE10hipError_tPvRmT1_PNSt15iterator_traitsISK_E10value_typeET2_T3_PNSL_ISQ_E10value_typeET4_jRbjT5_SW_jjP12ihipStream_tbEUlT_E_NS1_11comp_targetILNS1_3genE8ELNS1_11target_archE1030ELNS1_3gpuE2ELNS1_3repE0EEENS1_30default_config_static_selectorELNS0_4arch9wavefront6targetE0EEEvSK_.num_agpr, 0
	.set _ZN7rocprim17ROCPRIM_400000_NS6detail17trampoline_kernelINS0_14default_configENS1_36segmented_radix_sort_config_selectorIflEEZNS1_25segmented_radix_sort_implIS3_Lb0EPKfPfPKlPlN2at6native12_GLOBAL__N_18offset_tEEE10hipError_tPvRmT1_PNSt15iterator_traitsISK_E10value_typeET2_T3_PNSL_ISQ_E10value_typeET4_jRbjT5_SW_jjP12ihipStream_tbEUlT_E_NS1_11comp_targetILNS1_3genE8ELNS1_11target_archE1030ELNS1_3gpuE2ELNS1_3repE0EEENS1_30default_config_static_selectorELNS0_4arch9wavefront6targetE0EEEvSK_.numbered_sgpr, 0
	.set _ZN7rocprim17ROCPRIM_400000_NS6detail17trampoline_kernelINS0_14default_configENS1_36segmented_radix_sort_config_selectorIflEEZNS1_25segmented_radix_sort_implIS3_Lb0EPKfPfPKlPlN2at6native12_GLOBAL__N_18offset_tEEE10hipError_tPvRmT1_PNSt15iterator_traitsISK_E10value_typeET2_T3_PNSL_ISQ_E10value_typeET4_jRbjT5_SW_jjP12ihipStream_tbEUlT_E_NS1_11comp_targetILNS1_3genE8ELNS1_11target_archE1030ELNS1_3gpuE2ELNS1_3repE0EEENS1_30default_config_static_selectorELNS0_4arch9wavefront6targetE0EEEvSK_.num_named_barrier, 0
	.set _ZN7rocprim17ROCPRIM_400000_NS6detail17trampoline_kernelINS0_14default_configENS1_36segmented_radix_sort_config_selectorIflEEZNS1_25segmented_radix_sort_implIS3_Lb0EPKfPfPKlPlN2at6native12_GLOBAL__N_18offset_tEEE10hipError_tPvRmT1_PNSt15iterator_traitsISK_E10value_typeET2_T3_PNSL_ISQ_E10value_typeET4_jRbjT5_SW_jjP12ihipStream_tbEUlT_E_NS1_11comp_targetILNS1_3genE8ELNS1_11target_archE1030ELNS1_3gpuE2ELNS1_3repE0EEENS1_30default_config_static_selectorELNS0_4arch9wavefront6targetE0EEEvSK_.private_seg_size, 0
	.set _ZN7rocprim17ROCPRIM_400000_NS6detail17trampoline_kernelINS0_14default_configENS1_36segmented_radix_sort_config_selectorIflEEZNS1_25segmented_radix_sort_implIS3_Lb0EPKfPfPKlPlN2at6native12_GLOBAL__N_18offset_tEEE10hipError_tPvRmT1_PNSt15iterator_traitsISK_E10value_typeET2_T3_PNSL_ISQ_E10value_typeET4_jRbjT5_SW_jjP12ihipStream_tbEUlT_E_NS1_11comp_targetILNS1_3genE8ELNS1_11target_archE1030ELNS1_3gpuE2ELNS1_3repE0EEENS1_30default_config_static_selectorELNS0_4arch9wavefront6targetE0EEEvSK_.uses_vcc, 0
	.set _ZN7rocprim17ROCPRIM_400000_NS6detail17trampoline_kernelINS0_14default_configENS1_36segmented_radix_sort_config_selectorIflEEZNS1_25segmented_radix_sort_implIS3_Lb0EPKfPfPKlPlN2at6native12_GLOBAL__N_18offset_tEEE10hipError_tPvRmT1_PNSt15iterator_traitsISK_E10value_typeET2_T3_PNSL_ISQ_E10value_typeET4_jRbjT5_SW_jjP12ihipStream_tbEUlT_E_NS1_11comp_targetILNS1_3genE8ELNS1_11target_archE1030ELNS1_3gpuE2ELNS1_3repE0EEENS1_30default_config_static_selectorELNS0_4arch9wavefront6targetE0EEEvSK_.uses_flat_scratch, 0
	.set _ZN7rocprim17ROCPRIM_400000_NS6detail17trampoline_kernelINS0_14default_configENS1_36segmented_radix_sort_config_selectorIflEEZNS1_25segmented_radix_sort_implIS3_Lb0EPKfPfPKlPlN2at6native12_GLOBAL__N_18offset_tEEE10hipError_tPvRmT1_PNSt15iterator_traitsISK_E10value_typeET2_T3_PNSL_ISQ_E10value_typeET4_jRbjT5_SW_jjP12ihipStream_tbEUlT_E_NS1_11comp_targetILNS1_3genE8ELNS1_11target_archE1030ELNS1_3gpuE2ELNS1_3repE0EEENS1_30default_config_static_selectorELNS0_4arch9wavefront6targetE0EEEvSK_.has_dyn_sized_stack, 0
	.set _ZN7rocprim17ROCPRIM_400000_NS6detail17trampoline_kernelINS0_14default_configENS1_36segmented_radix_sort_config_selectorIflEEZNS1_25segmented_radix_sort_implIS3_Lb0EPKfPfPKlPlN2at6native12_GLOBAL__N_18offset_tEEE10hipError_tPvRmT1_PNSt15iterator_traitsISK_E10value_typeET2_T3_PNSL_ISQ_E10value_typeET4_jRbjT5_SW_jjP12ihipStream_tbEUlT_E_NS1_11comp_targetILNS1_3genE8ELNS1_11target_archE1030ELNS1_3gpuE2ELNS1_3repE0EEENS1_30default_config_static_selectorELNS0_4arch9wavefront6targetE0EEEvSK_.has_recursion, 0
	.set _ZN7rocprim17ROCPRIM_400000_NS6detail17trampoline_kernelINS0_14default_configENS1_36segmented_radix_sort_config_selectorIflEEZNS1_25segmented_radix_sort_implIS3_Lb0EPKfPfPKlPlN2at6native12_GLOBAL__N_18offset_tEEE10hipError_tPvRmT1_PNSt15iterator_traitsISK_E10value_typeET2_T3_PNSL_ISQ_E10value_typeET4_jRbjT5_SW_jjP12ihipStream_tbEUlT_E_NS1_11comp_targetILNS1_3genE8ELNS1_11target_archE1030ELNS1_3gpuE2ELNS1_3repE0EEENS1_30default_config_static_selectorELNS0_4arch9wavefront6targetE0EEEvSK_.has_indirect_call, 0
	.section	.AMDGPU.csdata,"",@progbits
; Kernel info:
; codeLenInByte = 0
; TotalNumSgprs: 0
; NumVgprs: 0
; ScratchSize: 0
; MemoryBound: 0
; FloatMode: 240
; IeeeMode: 1
; LDSByteSize: 0 bytes/workgroup (compile time only)
; SGPRBlocks: 0
; VGPRBlocks: 0
; NumSGPRsForWavesPerEU: 1
; NumVGPRsForWavesPerEU: 1
; Occupancy: 16
; WaveLimiterHint : 0
; COMPUTE_PGM_RSRC2:SCRATCH_EN: 0
; COMPUTE_PGM_RSRC2:USER_SGPR: 2
; COMPUTE_PGM_RSRC2:TRAP_HANDLER: 0
; COMPUTE_PGM_RSRC2:TGID_X_EN: 1
; COMPUTE_PGM_RSRC2:TGID_Y_EN: 0
; COMPUTE_PGM_RSRC2:TGID_Z_EN: 0
; COMPUTE_PGM_RSRC2:TIDIG_COMP_CNT: 0
	.section	.text._ZN7rocprim17ROCPRIM_400000_NS6detail17trampoline_kernelINS0_14default_configENS1_36segmented_radix_sort_config_selectorIflEEZNS1_25segmented_radix_sort_implIS3_Lb0EPKfPfPKlPlN2at6native12_GLOBAL__N_18offset_tEEE10hipError_tPvRmT1_PNSt15iterator_traitsISK_E10value_typeET2_T3_PNSL_ISQ_E10value_typeET4_jRbjT5_SW_jjP12ihipStream_tbEUlT_E0_NS1_11comp_targetILNS1_3genE0ELNS1_11target_archE4294967295ELNS1_3gpuE0ELNS1_3repE0EEENS1_60segmented_radix_sort_warp_sort_medium_config_static_selectorELNS0_4arch9wavefront6targetE0EEEvSK_,"axG",@progbits,_ZN7rocprim17ROCPRIM_400000_NS6detail17trampoline_kernelINS0_14default_configENS1_36segmented_radix_sort_config_selectorIflEEZNS1_25segmented_radix_sort_implIS3_Lb0EPKfPfPKlPlN2at6native12_GLOBAL__N_18offset_tEEE10hipError_tPvRmT1_PNSt15iterator_traitsISK_E10value_typeET2_T3_PNSL_ISQ_E10value_typeET4_jRbjT5_SW_jjP12ihipStream_tbEUlT_E0_NS1_11comp_targetILNS1_3genE0ELNS1_11target_archE4294967295ELNS1_3gpuE0ELNS1_3repE0EEENS1_60segmented_radix_sort_warp_sort_medium_config_static_selectorELNS0_4arch9wavefront6targetE0EEEvSK_,comdat
	.globl	_ZN7rocprim17ROCPRIM_400000_NS6detail17trampoline_kernelINS0_14default_configENS1_36segmented_radix_sort_config_selectorIflEEZNS1_25segmented_radix_sort_implIS3_Lb0EPKfPfPKlPlN2at6native12_GLOBAL__N_18offset_tEEE10hipError_tPvRmT1_PNSt15iterator_traitsISK_E10value_typeET2_T3_PNSL_ISQ_E10value_typeET4_jRbjT5_SW_jjP12ihipStream_tbEUlT_E0_NS1_11comp_targetILNS1_3genE0ELNS1_11target_archE4294967295ELNS1_3gpuE0ELNS1_3repE0EEENS1_60segmented_radix_sort_warp_sort_medium_config_static_selectorELNS0_4arch9wavefront6targetE0EEEvSK_ ; -- Begin function _ZN7rocprim17ROCPRIM_400000_NS6detail17trampoline_kernelINS0_14default_configENS1_36segmented_radix_sort_config_selectorIflEEZNS1_25segmented_radix_sort_implIS3_Lb0EPKfPfPKlPlN2at6native12_GLOBAL__N_18offset_tEEE10hipError_tPvRmT1_PNSt15iterator_traitsISK_E10value_typeET2_T3_PNSL_ISQ_E10value_typeET4_jRbjT5_SW_jjP12ihipStream_tbEUlT_E0_NS1_11comp_targetILNS1_3genE0ELNS1_11target_archE4294967295ELNS1_3gpuE0ELNS1_3repE0EEENS1_60segmented_radix_sort_warp_sort_medium_config_static_selectorELNS0_4arch9wavefront6targetE0EEEvSK_
	.p2align	8
	.type	_ZN7rocprim17ROCPRIM_400000_NS6detail17trampoline_kernelINS0_14default_configENS1_36segmented_radix_sort_config_selectorIflEEZNS1_25segmented_radix_sort_implIS3_Lb0EPKfPfPKlPlN2at6native12_GLOBAL__N_18offset_tEEE10hipError_tPvRmT1_PNSt15iterator_traitsISK_E10value_typeET2_T3_PNSL_ISQ_E10value_typeET4_jRbjT5_SW_jjP12ihipStream_tbEUlT_E0_NS1_11comp_targetILNS1_3genE0ELNS1_11target_archE4294967295ELNS1_3gpuE0ELNS1_3repE0EEENS1_60segmented_radix_sort_warp_sort_medium_config_static_selectorELNS0_4arch9wavefront6targetE0EEEvSK_,@function
_ZN7rocprim17ROCPRIM_400000_NS6detail17trampoline_kernelINS0_14default_configENS1_36segmented_radix_sort_config_selectorIflEEZNS1_25segmented_radix_sort_implIS3_Lb0EPKfPfPKlPlN2at6native12_GLOBAL__N_18offset_tEEE10hipError_tPvRmT1_PNSt15iterator_traitsISK_E10value_typeET2_T3_PNSL_ISQ_E10value_typeET4_jRbjT5_SW_jjP12ihipStream_tbEUlT_E0_NS1_11comp_targetILNS1_3genE0ELNS1_11target_archE4294967295ELNS1_3gpuE0ELNS1_3repE0EEENS1_60segmented_radix_sort_warp_sort_medium_config_static_selectorELNS0_4arch9wavefront6targetE0EEEvSK_: ; @_ZN7rocprim17ROCPRIM_400000_NS6detail17trampoline_kernelINS0_14default_configENS1_36segmented_radix_sort_config_selectorIflEEZNS1_25segmented_radix_sort_implIS3_Lb0EPKfPfPKlPlN2at6native12_GLOBAL__N_18offset_tEEE10hipError_tPvRmT1_PNSt15iterator_traitsISK_E10value_typeET2_T3_PNSL_ISQ_E10value_typeET4_jRbjT5_SW_jjP12ihipStream_tbEUlT_E0_NS1_11comp_targetILNS1_3genE0ELNS1_11target_archE4294967295ELNS1_3gpuE0ELNS1_3repE0EEENS1_60segmented_radix_sort_warp_sort_medium_config_static_selectorELNS0_4arch9wavefront6targetE0EEEvSK_
; %bb.0:
	.section	.rodata,"a",@progbits
	.p2align	6, 0x0
	.amdhsa_kernel _ZN7rocprim17ROCPRIM_400000_NS6detail17trampoline_kernelINS0_14default_configENS1_36segmented_radix_sort_config_selectorIflEEZNS1_25segmented_radix_sort_implIS3_Lb0EPKfPfPKlPlN2at6native12_GLOBAL__N_18offset_tEEE10hipError_tPvRmT1_PNSt15iterator_traitsISK_E10value_typeET2_T3_PNSL_ISQ_E10value_typeET4_jRbjT5_SW_jjP12ihipStream_tbEUlT_E0_NS1_11comp_targetILNS1_3genE0ELNS1_11target_archE4294967295ELNS1_3gpuE0ELNS1_3repE0EEENS1_60segmented_radix_sort_warp_sort_medium_config_static_selectorELNS0_4arch9wavefront6targetE0EEEvSK_
		.amdhsa_group_segment_fixed_size 0
		.amdhsa_private_segment_fixed_size 0
		.amdhsa_kernarg_size 88
		.amdhsa_user_sgpr_count 2
		.amdhsa_user_sgpr_dispatch_ptr 0
		.amdhsa_user_sgpr_queue_ptr 0
		.amdhsa_user_sgpr_kernarg_segment_ptr 1
		.amdhsa_user_sgpr_dispatch_id 0
		.amdhsa_user_sgpr_private_segment_size 0
		.amdhsa_wavefront_size32 1
		.amdhsa_uses_dynamic_stack 0
		.amdhsa_enable_private_segment 0
		.amdhsa_system_sgpr_workgroup_id_x 1
		.amdhsa_system_sgpr_workgroup_id_y 0
		.amdhsa_system_sgpr_workgroup_id_z 0
		.amdhsa_system_sgpr_workgroup_info 0
		.amdhsa_system_vgpr_workitem_id 0
		.amdhsa_next_free_vgpr 1
		.amdhsa_next_free_sgpr 1
		.amdhsa_reserve_vcc 0
		.amdhsa_float_round_mode_32 0
		.amdhsa_float_round_mode_16_64 0
		.amdhsa_float_denorm_mode_32 3
		.amdhsa_float_denorm_mode_16_64 3
		.amdhsa_fp16_overflow 0
		.amdhsa_workgroup_processor_mode 1
		.amdhsa_memory_ordered 1
		.amdhsa_forward_progress 1
		.amdhsa_inst_pref_size 0
		.amdhsa_round_robin_scheduling 0
		.amdhsa_exception_fp_ieee_invalid_op 0
		.amdhsa_exception_fp_denorm_src 0
		.amdhsa_exception_fp_ieee_div_zero 0
		.amdhsa_exception_fp_ieee_overflow 0
		.amdhsa_exception_fp_ieee_underflow 0
		.amdhsa_exception_fp_ieee_inexact 0
		.amdhsa_exception_int_div_zero 0
	.end_amdhsa_kernel
	.section	.text._ZN7rocprim17ROCPRIM_400000_NS6detail17trampoline_kernelINS0_14default_configENS1_36segmented_radix_sort_config_selectorIflEEZNS1_25segmented_radix_sort_implIS3_Lb0EPKfPfPKlPlN2at6native12_GLOBAL__N_18offset_tEEE10hipError_tPvRmT1_PNSt15iterator_traitsISK_E10value_typeET2_T3_PNSL_ISQ_E10value_typeET4_jRbjT5_SW_jjP12ihipStream_tbEUlT_E0_NS1_11comp_targetILNS1_3genE0ELNS1_11target_archE4294967295ELNS1_3gpuE0ELNS1_3repE0EEENS1_60segmented_radix_sort_warp_sort_medium_config_static_selectorELNS0_4arch9wavefront6targetE0EEEvSK_,"axG",@progbits,_ZN7rocprim17ROCPRIM_400000_NS6detail17trampoline_kernelINS0_14default_configENS1_36segmented_radix_sort_config_selectorIflEEZNS1_25segmented_radix_sort_implIS3_Lb0EPKfPfPKlPlN2at6native12_GLOBAL__N_18offset_tEEE10hipError_tPvRmT1_PNSt15iterator_traitsISK_E10value_typeET2_T3_PNSL_ISQ_E10value_typeET4_jRbjT5_SW_jjP12ihipStream_tbEUlT_E0_NS1_11comp_targetILNS1_3genE0ELNS1_11target_archE4294967295ELNS1_3gpuE0ELNS1_3repE0EEENS1_60segmented_radix_sort_warp_sort_medium_config_static_selectorELNS0_4arch9wavefront6targetE0EEEvSK_,comdat
.Lfunc_end1438:
	.size	_ZN7rocprim17ROCPRIM_400000_NS6detail17trampoline_kernelINS0_14default_configENS1_36segmented_radix_sort_config_selectorIflEEZNS1_25segmented_radix_sort_implIS3_Lb0EPKfPfPKlPlN2at6native12_GLOBAL__N_18offset_tEEE10hipError_tPvRmT1_PNSt15iterator_traitsISK_E10value_typeET2_T3_PNSL_ISQ_E10value_typeET4_jRbjT5_SW_jjP12ihipStream_tbEUlT_E0_NS1_11comp_targetILNS1_3genE0ELNS1_11target_archE4294967295ELNS1_3gpuE0ELNS1_3repE0EEENS1_60segmented_radix_sort_warp_sort_medium_config_static_selectorELNS0_4arch9wavefront6targetE0EEEvSK_, .Lfunc_end1438-_ZN7rocprim17ROCPRIM_400000_NS6detail17trampoline_kernelINS0_14default_configENS1_36segmented_radix_sort_config_selectorIflEEZNS1_25segmented_radix_sort_implIS3_Lb0EPKfPfPKlPlN2at6native12_GLOBAL__N_18offset_tEEE10hipError_tPvRmT1_PNSt15iterator_traitsISK_E10value_typeET2_T3_PNSL_ISQ_E10value_typeET4_jRbjT5_SW_jjP12ihipStream_tbEUlT_E0_NS1_11comp_targetILNS1_3genE0ELNS1_11target_archE4294967295ELNS1_3gpuE0ELNS1_3repE0EEENS1_60segmented_radix_sort_warp_sort_medium_config_static_selectorELNS0_4arch9wavefront6targetE0EEEvSK_
                                        ; -- End function
	.set _ZN7rocprim17ROCPRIM_400000_NS6detail17trampoline_kernelINS0_14default_configENS1_36segmented_radix_sort_config_selectorIflEEZNS1_25segmented_radix_sort_implIS3_Lb0EPKfPfPKlPlN2at6native12_GLOBAL__N_18offset_tEEE10hipError_tPvRmT1_PNSt15iterator_traitsISK_E10value_typeET2_T3_PNSL_ISQ_E10value_typeET4_jRbjT5_SW_jjP12ihipStream_tbEUlT_E0_NS1_11comp_targetILNS1_3genE0ELNS1_11target_archE4294967295ELNS1_3gpuE0ELNS1_3repE0EEENS1_60segmented_radix_sort_warp_sort_medium_config_static_selectorELNS0_4arch9wavefront6targetE0EEEvSK_.num_vgpr, 0
	.set _ZN7rocprim17ROCPRIM_400000_NS6detail17trampoline_kernelINS0_14default_configENS1_36segmented_radix_sort_config_selectorIflEEZNS1_25segmented_radix_sort_implIS3_Lb0EPKfPfPKlPlN2at6native12_GLOBAL__N_18offset_tEEE10hipError_tPvRmT1_PNSt15iterator_traitsISK_E10value_typeET2_T3_PNSL_ISQ_E10value_typeET4_jRbjT5_SW_jjP12ihipStream_tbEUlT_E0_NS1_11comp_targetILNS1_3genE0ELNS1_11target_archE4294967295ELNS1_3gpuE0ELNS1_3repE0EEENS1_60segmented_radix_sort_warp_sort_medium_config_static_selectorELNS0_4arch9wavefront6targetE0EEEvSK_.num_agpr, 0
	.set _ZN7rocprim17ROCPRIM_400000_NS6detail17trampoline_kernelINS0_14default_configENS1_36segmented_radix_sort_config_selectorIflEEZNS1_25segmented_radix_sort_implIS3_Lb0EPKfPfPKlPlN2at6native12_GLOBAL__N_18offset_tEEE10hipError_tPvRmT1_PNSt15iterator_traitsISK_E10value_typeET2_T3_PNSL_ISQ_E10value_typeET4_jRbjT5_SW_jjP12ihipStream_tbEUlT_E0_NS1_11comp_targetILNS1_3genE0ELNS1_11target_archE4294967295ELNS1_3gpuE0ELNS1_3repE0EEENS1_60segmented_radix_sort_warp_sort_medium_config_static_selectorELNS0_4arch9wavefront6targetE0EEEvSK_.numbered_sgpr, 0
	.set _ZN7rocprim17ROCPRIM_400000_NS6detail17trampoline_kernelINS0_14default_configENS1_36segmented_radix_sort_config_selectorIflEEZNS1_25segmented_radix_sort_implIS3_Lb0EPKfPfPKlPlN2at6native12_GLOBAL__N_18offset_tEEE10hipError_tPvRmT1_PNSt15iterator_traitsISK_E10value_typeET2_T3_PNSL_ISQ_E10value_typeET4_jRbjT5_SW_jjP12ihipStream_tbEUlT_E0_NS1_11comp_targetILNS1_3genE0ELNS1_11target_archE4294967295ELNS1_3gpuE0ELNS1_3repE0EEENS1_60segmented_radix_sort_warp_sort_medium_config_static_selectorELNS0_4arch9wavefront6targetE0EEEvSK_.num_named_barrier, 0
	.set _ZN7rocprim17ROCPRIM_400000_NS6detail17trampoline_kernelINS0_14default_configENS1_36segmented_radix_sort_config_selectorIflEEZNS1_25segmented_radix_sort_implIS3_Lb0EPKfPfPKlPlN2at6native12_GLOBAL__N_18offset_tEEE10hipError_tPvRmT1_PNSt15iterator_traitsISK_E10value_typeET2_T3_PNSL_ISQ_E10value_typeET4_jRbjT5_SW_jjP12ihipStream_tbEUlT_E0_NS1_11comp_targetILNS1_3genE0ELNS1_11target_archE4294967295ELNS1_3gpuE0ELNS1_3repE0EEENS1_60segmented_radix_sort_warp_sort_medium_config_static_selectorELNS0_4arch9wavefront6targetE0EEEvSK_.private_seg_size, 0
	.set _ZN7rocprim17ROCPRIM_400000_NS6detail17trampoline_kernelINS0_14default_configENS1_36segmented_radix_sort_config_selectorIflEEZNS1_25segmented_radix_sort_implIS3_Lb0EPKfPfPKlPlN2at6native12_GLOBAL__N_18offset_tEEE10hipError_tPvRmT1_PNSt15iterator_traitsISK_E10value_typeET2_T3_PNSL_ISQ_E10value_typeET4_jRbjT5_SW_jjP12ihipStream_tbEUlT_E0_NS1_11comp_targetILNS1_3genE0ELNS1_11target_archE4294967295ELNS1_3gpuE0ELNS1_3repE0EEENS1_60segmented_radix_sort_warp_sort_medium_config_static_selectorELNS0_4arch9wavefront6targetE0EEEvSK_.uses_vcc, 0
	.set _ZN7rocprim17ROCPRIM_400000_NS6detail17trampoline_kernelINS0_14default_configENS1_36segmented_radix_sort_config_selectorIflEEZNS1_25segmented_radix_sort_implIS3_Lb0EPKfPfPKlPlN2at6native12_GLOBAL__N_18offset_tEEE10hipError_tPvRmT1_PNSt15iterator_traitsISK_E10value_typeET2_T3_PNSL_ISQ_E10value_typeET4_jRbjT5_SW_jjP12ihipStream_tbEUlT_E0_NS1_11comp_targetILNS1_3genE0ELNS1_11target_archE4294967295ELNS1_3gpuE0ELNS1_3repE0EEENS1_60segmented_radix_sort_warp_sort_medium_config_static_selectorELNS0_4arch9wavefront6targetE0EEEvSK_.uses_flat_scratch, 0
	.set _ZN7rocprim17ROCPRIM_400000_NS6detail17trampoline_kernelINS0_14default_configENS1_36segmented_radix_sort_config_selectorIflEEZNS1_25segmented_radix_sort_implIS3_Lb0EPKfPfPKlPlN2at6native12_GLOBAL__N_18offset_tEEE10hipError_tPvRmT1_PNSt15iterator_traitsISK_E10value_typeET2_T3_PNSL_ISQ_E10value_typeET4_jRbjT5_SW_jjP12ihipStream_tbEUlT_E0_NS1_11comp_targetILNS1_3genE0ELNS1_11target_archE4294967295ELNS1_3gpuE0ELNS1_3repE0EEENS1_60segmented_radix_sort_warp_sort_medium_config_static_selectorELNS0_4arch9wavefront6targetE0EEEvSK_.has_dyn_sized_stack, 0
	.set _ZN7rocprim17ROCPRIM_400000_NS6detail17trampoline_kernelINS0_14default_configENS1_36segmented_radix_sort_config_selectorIflEEZNS1_25segmented_radix_sort_implIS3_Lb0EPKfPfPKlPlN2at6native12_GLOBAL__N_18offset_tEEE10hipError_tPvRmT1_PNSt15iterator_traitsISK_E10value_typeET2_T3_PNSL_ISQ_E10value_typeET4_jRbjT5_SW_jjP12ihipStream_tbEUlT_E0_NS1_11comp_targetILNS1_3genE0ELNS1_11target_archE4294967295ELNS1_3gpuE0ELNS1_3repE0EEENS1_60segmented_radix_sort_warp_sort_medium_config_static_selectorELNS0_4arch9wavefront6targetE0EEEvSK_.has_recursion, 0
	.set _ZN7rocprim17ROCPRIM_400000_NS6detail17trampoline_kernelINS0_14default_configENS1_36segmented_radix_sort_config_selectorIflEEZNS1_25segmented_radix_sort_implIS3_Lb0EPKfPfPKlPlN2at6native12_GLOBAL__N_18offset_tEEE10hipError_tPvRmT1_PNSt15iterator_traitsISK_E10value_typeET2_T3_PNSL_ISQ_E10value_typeET4_jRbjT5_SW_jjP12ihipStream_tbEUlT_E0_NS1_11comp_targetILNS1_3genE0ELNS1_11target_archE4294967295ELNS1_3gpuE0ELNS1_3repE0EEENS1_60segmented_radix_sort_warp_sort_medium_config_static_selectorELNS0_4arch9wavefront6targetE0EEEvSK_.has_indirect_call, 0
	.section	.AMDGPU.csdata,"",@progbits
; Kernel info:
; codeLenInByte = 0
; TotalNumSgprs: 0
; NumVgprs: 0
; ScratchSize: 0
; MemoryBound: 0
; FloatMode: 240
; IeeeMode: 1
; LDSByteSize: 0 bytes/workgroup (compile time only)
; SGPRBlocks: 0
; VGPRBlocks: 0
; NumSGPRsForWavesPerEU: 1
; NumVGPRsForWavesPerEU: 1
; Occupancy: 16
; WaveLimiterHint : 0
; COMPUTE_PGM_RSRC2:SCRATCH_EN: 0
; COMPUTE_PGM_RSRC2:USER_SGPR: 2
; COMPUTE_PGM_RSRC2:TRAP_HANDLER: 0
; COMPUTE_PGM_RSRC2:TGID_X_EN: 1
; COMPUTE_PGM_RSRC2:TGID_Y_EN: 0
; COMPUTE_PGM_RSRC2:TGID_Z_EN: 0
; COMPUTE_PGM_RSRC2:TIDIG_COMP_CNT: 0
	.section	.text._ZN7rocprim17ROCPRIM_400000_NS6detail17trampoline_kernelINS0_14default_configENS1_36segmented_radix_sort_config_selectorIflEEZNS1_25segmented_radix_sort_implIS3_Lb0EPKfPfPKlPlN2at6native12_GLOBAL__N_18offset_tEEE10hipError_tPvRmT1_PNSt15iterator_traitsISK_E10value_typeET2_T3_PNSL_ISQ_E10value_typeET4_jRbjT5_SW_jjP12ihipStream_tbEUlT_E0_NS1_11comp_targetILNS1_3genE5ELNS1_11target_archE942ELNS1_3gpuE9ELNS1_3repE0EEENS1_60segmented_radix_sort_warp_sort_medium_config_static_selectorELNS0_4arch9wavefront6targetE0EEEvSK_,"axG",@progbits,_ZN7rocprim17ROCPRIM_400000_NS6detail17trampoline_kernelINS0_14default_configENS1_36segmented_radix_sort_config_selectorIflEEZNS1_25segmented_radix_sort_implIS3_Lb0EPKfPfPKlPlN2at6native12_GLOBAL__N_18offset_tEEE10hipError_tPvRmT1_PNSt15iterator_traitsISK_E10value_typeET2_T3_PNSL_ISQ_E10value_typeET4_jRbjT5_SW_jjP12ihipStream_tbEUlT_E0_NS1_11comp_targetILNS1_3genE5ELNS1_11target_archE942ELNS1_3gpuE9ELNS1_3repE0EEENS1_60segmented_radix_sort_warp_sort_medium_config_static_selectorELNS0_4arch9wavefront6targetE0EEEvSK_,comdat
	.globl	_ZN7rocprim17ROCPRIM_400000_NS6detail17trampoline_kernelINS0_14default_configENS1_36segmented_radix_sort_config_selectorIflEEZNS1_25segmented_radix_sort_implIS3_Lb0EPKfPfPKlPlN2at6native12_GLOBAL__N_18offset_tEEE10hipError_tPvRmT1_PNSt15iterator_traitsISK_E10value_typeET2_T3_PNSL_ISQ_E10value_typeET4_jRbjT5_SW_jjP12ihipStream_tbEUlT_E0_NS1_11comp_targetILNS1_3genE5ELNS1_11target_archE942ELNS1_3gpuE9ELNS1_3repE0EEENS1_60segmented_radix_sort_warp_sort_medium_config_static_selectorELNS0_4arch9wavefront6targetE0EEEvSK_ ; -- Begin function _ZN7rocprim17ROCPRIM_400000_NS6detail17trampoline_kernelINS0_14default_configENS1_36segmented_radix_sort_config_selectorIflEEZNS1_25segmented_radix_sort_implIS3_Lb0EPKfPfPKlPlN2at6native12_GLOBAL__N_18offset_tEEE10hipError_tPvRmT1_PNSt15iterator_traitsISK_E10value_typeET2_T3_PNSL_ISQ_E10value_typeET4_jRbjT5_SW_jjP12ihipStream_tbEUlT_E0_NS1_11comp_targetILNS1_3genE5ELNS1_11target_archE942ELNS1_3gpuE9ELNS1_3repE0EEENS1_60segmented_radix_sort_warp_sort_medium_config_static_selectorELNS0_4arch9wavefront6targetE0EEEvSK_
	.p2align	8
	.type	_ZN7rocprim17ROCPRIM_400000_NS6detail17trampoline_kernelINS0_14default_configENS1_36segmented_radix_sort_config_selectorIflEEZNS1_25segmented_radix_sort_implIS3_Lb0EPKfPfPKlPlN2at6native12_GLOBAL__N_18offset_tEEE10hipError_tPvRmT1_PNSt15iterator_traitsISK_E10value_typeET2_T3_PNSL_ISQ_E10value_typeET4_jRbjT5_SW_jjP12ihipStream_tbEUlT_E0_NS1_11comp_targetILNS1_3genE5ELNS1_11target_archE942ELNS1_3gpuE9ELNS1_3repE0EEENS1_60segmented_radix_sort_warp_sort_medium_config_static_selectorELNS0_4arch9wavefront6targetE0EEEvSK_,@function
_ZN7rocprim17ROCPRIM_400000_NS6detail17trampoline_kernelINS0_14default_configENS1_36segmented_radix_sort_config_selectorIflEEZNS1_25segmented_radix_sort_implIS3_Lb0EPKfPfPKlPlN2at6native12_GLOBAL__N_18offset_tEEE10hipError_tPvRmT1_PNSt15iterator_traitsISK_E10value_typeET2_T3_PNSL_ISQ_E10value_typeET4_jRbjT5_SW_jjP12ihipStream_tbEUlT_E0_NS1_11comp_targetILNS1_3genE5ELNS1_11target_archE942ELNS1_3gpuE9ELNS1_3repE0EEENS1_60segmented_radix_sort_warp_sort_medium_config_static_selectorELNS0_4arch9wavefront6targetE0EEEvSK_: ; @_ZN7rocprim17ROCPRIM_400000_NS6detail17trampoline_kernelINS0_14default_configENS1_36segmented_radix_sort_config_selectorIflEEZNS1_25segmented_radix_sort_implIS3_Lb0EPKfPfPKlPlN2at6native12_GLOBAL__N_18offset_tEEE10hipError_tPvRmT1_PNSt15iterator_traitsISK_E10value_typeET2_T3_PNSL_ISQ_E10value_typeET4_jRbjT5_SW_jjP12ihipStream_tbEUlT_E0_NS1_11comp_targetILNS1_3genE5ELNS1_11target_archE942ELNS1_3gpuE9ELNS1_3repE0EEENS1_60segmented_radix_sort_warp_sort_medium_config_static_selectorELNS0_4arch9wavefront6targetE0EEEvSK_
; %bb.0:
	.section	.rodata,"a",@progbits
	.p2align	6, 0x0
	.amdhsa_kernel _ZN7rocprim17ROCPRIM_400000_NS6detail17trampoline_kernelINS0_14default_configENS1_36segmented_radix_sort_config_selectorIflEEZNS1_25segmented_radix_sort_implIS3_Lb0EPKfPfPKlPlN2at6native12_GLOBAL__N_18offset_tEEE10hipError_tPvRmT1_PNSt15iterator_traitsISK_E10value_typeET2_T3_PNSL_ISQ_E10value_typeET4_jRbjT5_SW_jjP12ihipStream_tbEUlT_E0_NS1_11comp_targetILNS1_3genE5ELNS1_11target_archE942ELNS1_3gpuE9ELNS1_3repE0EEENS1_60segmented_radix_sort_warp_sort_medium_config_static_selectorELNS0_4arch9wavefront6targetE0EEEvSK_
		.amdhsa_group_segment_fixed_size 0
		.amdhsa_private_segment_fixed_size 0
		.amdhsa_kernarg_size 88
		.amdhsa_user_sgpr_count 2
		.amdhsa_user_sgpr_dispatch_ptr 0
		.amdhsa_user_sgpr_queue_ptr 0
		.amdhsa_user_sgpr_kernarg_segment_ptr 1
		.amdhsa_user_sgpr_dispatch_id 0
		.amdhsa_user_sgpr_private_segment_size 0
		.amdhsa_wavefront_size32 1
		.amdhsa_uses_dynamic_stack 0
		.amdhsa_enable_private_segment 0
		.amdhsa_system_sgpr_workgroup_id_x 1
		.amdhsa_system_sgpr_workgroup_id_y 0
		.amdhsa_system_sgpr_workgroup_id_z 0
		.amdhsa_system_sgpr_workgroup_info 0
		.amdhsa_system_vgpr_workitem_id 0
		.amdhsa_next_free_vgpr 1
		.amdhsa_next_free_sgpr 1
		.amdhsa_reserve_vcc 0
		.amdhsa_float_round_mode_32 0
		.amdhsa_float_round_mode_16_64 0
		.amdhsa_float_denorm_mode_32 3
		.amdhsa_float_denorm_mode_16_64 3
		.amdhsa_fp16_overflow 0
		.amdhsa_workgroup_processor_mode 1
		.amdhsa_memory_ordered 1
		.amdhsa_forward_progress 1
		.amdhsa_inst_pref_size 0
		.amdhsa_round_robin_scheduling 0
		.amdhsa_exception_fp_ieee_invalid_op 0
		.amdhsa_exception_fp_denorm_src 0
		.amdhsa_exception_fp_ieee_div_zero 0
		.amdhsa_exception_fp_ieee_overflow 0
		.amdhsa_exception_fp_ieee_underflow 0
		.amdhsa_exception_fp_ieee_inexact 0
		.amdhsa_exception_int_div_zero 0
	.end_amdhsa_kernel
	.section	.text._ZN7rocprim17ROCPRIM_400000_NS6detail17trampoline_kernelINS0_14default_configENS1_36segmented_radix_sort_config_selectorIflEEZNS1_25segmented_radix_sort_implIS3_Lb0EPKfPfPKlPlN2at6native12_GLOBAL__N_18offset_tEEE10hipError_tPvRmT1_PNSt15iterator_traitsISK_E10value_typeET2_T3_PNSL_ISQ_E10value_typeET4_jRbjT5_SW_jjP12ihipStream_tbEUlT_E0_NS1_11comp_targetILNS1_3genE5ELNS1_11target_archE942ELNS1_3gpuE9ELNS1_3repE0EEENS1_60segmented_radix_sort_warp_sort_medium_config_static_selectorELNS0_4arch9wavefront6targetE0EEEvSK_,"axG",@progbits,_ZN7rocprim17ROCPRIM_400000_NS6detail17trampoline_kernelINS0_14default_configENS1_36segmented_radix_sort_config_selectorIflEEZNS1_25segmented_radix_sort_implIS3_Lb0EPKfPfPKlPlN2at6native12_GLOBAL__N_18offset_tEEE10hipError_tPvRmT1_PNSt15iterator_traitsISK_E10value_typeET2_T3_PNSL_ISQ_E10value_typeET4_jRbjT5_SW_jjP12ihipStream_tbEUlT_E0_NS1_11comp_targetILNS1_3genE5ELNS1_11target_archE942ELNS1_3gpuE9ELNS1_3repE0EEENS1_60segmented_radix_sort_warp_sort_medium_config_static_selectorELNS0_4arch9wavefront6targetE0EEEvSK_,comdat
.Lfunc_end1439:
	.size	_ZN7rocprim17ROCPRIM_400000_NS6detail17trampoline_kernelINS0_14default_configENS1_36segmented_radix_sort_config_selectorIflEEZNS1_25segmented_radix_sort_implIS3_Lb0EPKfPfPKlPlN2at6native12_GLOBAL__N_18offset_tEEE10hipError_tPvRmT1_PNSt15iterator_traitsISK_E10value_typeET2_T3_PNSL_ISQ_E10value_typeET4_jRbjT5_SW_jjP12ihipStream_tbEUlT_E0_NS1_11comp_targetILNS1_3genE5ELNS1_11target_archE942ELNS1_3gpuE9ELNS1_3repE0EEENS1_60segmented_radix_sort_warp_sort_medium_config_static_selectorELNS0_4arch9wavefront6targetE0EEEvSK_, .Lfunc_end1439-_ZN7rocprim17ROCPRIM_400000_NS6detail17trampoline_kernelINS0_14default_configENS1_36segmented_radix_sort_config_selectorIflEEZNS1_25segmented_radix_sort_implIS3_Lb0EPKfPfPKlPlN2at6native12_GLOBAL__N_18offset_tEEE10hipError_tPvRmT1_PNSt15iterator_traitsISK_E10value_typeET2_T3_PNSL_ISQ_E10value_typeET4_jRbjT5_SW_jjP12ihipStream_tbEUlT_E0_NS1_11comp_targetILNS1_3genE5ELNS1_11target_archE942ELNS1_3gpuE9ELNS1_3repE0EEENS1_60segmented_radix_sort_warp_sort_medium_config_static_selectorELNS0_4arch9wavefront6targetE0EEEvSK_
                                        ; -- End function
	.set _ZN7rocprim17ROCPRIM_400000_NS6detail17trampoline_kernelINS0_14default_configENS1_36segmented_radix_sort_config_selectorIflEEZNS1_25segmented_radix_sort_implIS3_Lb0EPKfPfPKlPlN2at6native12_GLOBAL__N_18offset_tEEE10hipError_tPvRmT1_PNSt15iterator_traitsISK_E10value_typeET2_T3_PNSL_ISQ_E10value_typeET4_jRbjT5_SW_jjP12ihipStream_tbEUlT_E0_NS1_11comp_targetILNS1_3genE5ELNS1_11target_archE942ELNS1_3gpuE9ELNS1_3repE0EEENS1_60segmented_radix_sort_warp_sort_medium_config_static_selectorELNS0_4arch9wavefront6targetE0EEEvSK_.num_vgpr, 0
	.set _ZN7rocprim17ROCPRIM_400000_NS6detail17trampoline_kernelINS0_14default_configENS1_36segmented_radix_sort_config_selectorIflEEZNS1_25segmented_radix_sort_implIS3_Lb0EPKfPfPKlPlN2at6native12_GLOBAL__N_18offset_tEEE10hipError_tPvRmT1_PNSt15iterator_traitsISK_E10value_typeET2_T3_PNSL_ISQ_E10value_typeET4_jRbjT5_SW_jjP12ihipStream_tbEUlT_E0_NS1_11comp_targetILNS1_3genE5ELNS1_11target_archE942ELNS1_3gpuE9ELNS1_3repE0EEENS1_60segmented_radix_sort_warp_sort_medium_config_static_selectorELNS0_4arch9wavefront6targetE0EEEvSK_.num_agpr, 0
	.set _ZN7rocprim17ROCPRIM_400000_NS6detail17trampoline_kernelINS0_14default_configENS1_36segmented_radix_sort_config_selectorIflEEZNS1_25segmented_radix_sort_implIS3_Lb0EPKfPfPKlPlN2at6native12_GLOBAL__N_18offset_tEEE10hipError_tPvRmT1_PNSt15iterator_traitsISK_E10value_typeET2_T3_PNSL_ISQ_E10value_typeET4_jRbjT5_SW_jjP12ihipStream_tbEUlT_E0_NS1_11comp_targetILNS1_3genE5ELNS1_11target_archE942ELNS1_3gpuE9ELNS1_3repE0EEENS1_60segmented_radix_sort_warp_sort_medium_config_static_selectorELNS0_4arch9wavefront6targetE0EEEvSK_.numbered_sgpr, 0
	.set _ZN7rocprim17ROCPRIM_400000_NS6detail17trampoline_kernelINS0_14default_configENS1_36segmented_radix_sort_config_selectorIflEEZNS1_25segmented_radix_sort_implIS3_Lb0EPKfPfPKlPlN2at6native12_GLOBAL__N_18offset_tEEE10hipError_tPvRmT1_PNSt15iterator_traitsISK_E10value_typeET2_T3_PNSL_ISQ_E10value_typeET4_jRbjT5_SW_jjP12ihipStream_tbEUlT_E0_NS1_11comp_targetILNS1_3genE5ELNS1_11target_archE942ELNS1_3gpuE9ELNS1_3repE0EEENS1_60segmented_radix_sort_warp_sort_medium_config_static_selectorELNS0_4arch9wavefront6targetE0EEEvSK_.num_named_barrier, 0
	.set _ZN7rocprim17ROCPRIM_400000_NS6detail17trampoline_kernelINS0_14default_configENS1_36segmented_radix_sort_config_selectorIflEEZNS1_25segmented_radix_sort_implIS3_Lb0EPKfPfPKlPlN2at6native12_GLOBAL__N_18offset_tEEE10hipError_tPvRmT1_PNSt15iterator_traitsISK_E10value_typeET2_T3_PNSL_ISQ_E10value_typeET4_jRbjT5_SW_jjP12ihipStream_tbEUlT_E0_NS1_11comp_targetILNS1_3genE5ELNS1_11target_archE942ELNS1_3gpuE9ELNS1_3repE0EEENS1_60segmented_radix_sort_warp_sort_medium_config_static_selectorELNS0_4arch9wavefront6targetE0EEEvSK_.private_seg_size, 0
	.set _ZN7rocprim17ROCPRIM_400000_NS6detail17trampoline_kernelINS0_14default_configENS1_36segmented_radix_sort_config_selectorIflEEZNS1_25segmented_radix_sort_implIS3_Lb0EPKfPfPKlPlN2at6native12_GLOBAL__N_18offset_tEEE10hipError_tPvRmT1_PNSt15iterator_traitsISK_E10value_typeET2_T3_PNSL_ISQ_E10value_typeET4_jRbjT5_SW_jjP12ihipStream_tbEUlT_E0_NS1_11comp_targetILNS1_3genE5ELNS1_11target_archE942ELNS1_3gpuE9ELNS1_3repE0EEENS1_60segmented_radix_sort_warp_sort_medium_config_static_selectorELNS0_4arch9wavefront6targetE0EEEvSK_.uses_vcc, 0
	.set _ZN7rocprim17ROCPRIM_400000_NS6detail17trampoline_kernelINS0_14default_configENS1_36segmented_radix_sort_config_selectorIflEEZNS1_25segmented_radix_sort_implIS3_Lb0EPKfPfPKlPlN2at6native12_GLOBAL__N_18offset_tEEE10hipError_tPvRmT1_PNSt15iterator_traitsISK_E10value_typeET2_T3_PNSL_ISQ_E10value_typeET4_jRbjT5_SW_jjP12ihipStream_tbEUlT_E0_NS1_11comp_targetILNS1_3genE5ELNS1_11target_archE942ELNS1_3gpuE9ELNS1_3repE0EEENS1_60segmented_radix_sort_warp_sort_medium_config_static_selectorELNS0_4arch9wavefront6targetE0EEEvSK_.uses_flat_scratch, 0
	.set _ZN7rocprim17ROCPRIM_400000_NS6detail17trampoline_kernelINS0_14default_configENS1_36segmented_radix_sort_config_selectorIflEEZNS1_25segmented_radix_sort_implIS3_Lb0EPKfPfPKlPlN2at6native12_GLOBAL__N_18offset_tEEE10hipError_tPvRmT1_PNSt15iterator_traitsISK_E10value_typeET2_T3_PNSL_ISQ_E10value_typeET4_jRbjT5_SW_jjP12ihipStream_tbEUlT_E0_NS1_11comp_targetILNS1_3genE5ELNS1_11target_archE942ELNS1_3gpuE9ELNS1_3repE0EEENS1_60segmented_radix_sort_warp_sort_medium_config_static_selectorELNS0_4arch9wavefront6targetE0EEEvSK_.has_dyn_sized_stack, 0
	.set _ZN7rocprim17ROCPRIM_400000_NS6detail17trampoline_kernelINS0_14default_configENS1_36segmented_radix_sort_config_selectorIflEEZNS1_25segmented_radix_sort_implIS3_Lb0EPKfPfPKlPlN2at6native12_GLOBAL__N_18offset_tEEE10hipError_tPvRmT1_PNSt15iterator_traitsISK_E10value_typeET2_T3_PNSL_ISQ_E10value_typeET4_jRbjT5_SW_jjP12ihipStream_tbEUlT_E0_NS1_11comp_targetILNS1_3genE5ELNS1_11target_archE942ELNS1_3gpuE9ELNS1_3repE0EEENS1_60segmented_radix_sort_warp_sort_medium_config_static_selectorELNS0_4arch9wavefront6targetE0EEEvSK_.has_recursion, 0
	.set _ZN7rocprim17ROCPRIM_400000_NS6detail17trampoline_kernelINS0_14default_configENS1_36segmented_radix_sort_config_selectorIflEEZNS1_25segmented_radix_sort_implIS3_Lb0EPKfPfPKlPlN2at6native12_GLOBAL__N_18offset_tEEE10hipError_tPvRmT1_PNSt15iterator_traitsISK_E10value_typeET2_T3_PNSL_ISQ_E10value_typeET4_jRbjT5_SW_jjP12ihipStream_tbEUlT_E0_NS1_11comp_targetILNS1_3genE5ELNS1_11target_archE942ELNS1_3gpuE9ELNS1_3repE0EEENS1_60segmented_radix_sort_warp_sort_medium_config_static_selectorELNS0_4arch9wavefront6targetE0EEEvSK_.has_indirect_call, 0
	.section	.AMDGPU.csdata,"",@progbits
; Kernel info:
; codeLenInByte = 0
; TotalNumSgprs: 0
; NumVgprs: 0
; ScratchSize: 0
; MemoryBound: 0
; FloatMode: 240
; IeeeMode: 1
; LDSByteSize: 0 bytes/workgroup (compile time only)
; SGPRBlocks: 0
; VGPRBlocks: 0
; NumSGPRsForWavesPerEU: 1
; NumVGPRsForWavesPerEU: 1
; Occupancy: 16
; WaveLimiterHint : 0
; COMPUTE_PGM_RSRC2:SCRATCH_EN: 0
; COMPUTE_PGM_RSRC2:USER_SGPR: 2
; COMPUTE_PGM_RSRC2:TRAP_HANDLER: 0
; COMPUTE_PGM_RSRC2:TGID_X_EN: 1
; COMPUTE_PGM_RSRC2:TGID_Y_EN: 0
; COMPUTE_PGM_RSRC2:TGID_Z_EN: 0
; COMPUTE_PGM_RSRC2:TIDIG_COMP_CNT: 0
	.section	.text._ZN7rocprim17ROCPRIM_400000_NS6detail17trampoline_kernelINS0_14default_configENS1_36segmented_radix_sort_config_selectorIflEEZNS1_25segmented_radix_sort_implIS3_Lb0EPKfPfPKlPlN2at6native12_GLOBAL__N_18offset_tEEE10hipError_tPvRmT1_PNSt15iterator_traitsISK_E10value_typeET2_T3_PNSL_ISQ_E10value_typeET4_jRbjT5_SW_jjP12ihipStream_tbEUlT_E0_NS1_11comp_targetILNS1_3genE4ELNS1_11target_archE910ELNS1_3gpuE8ELNS1_3repE0EEENS1_60segmented_radix_sort_warp_sort_medium_config_static_selectorELNS0_4arch9wavefront6targetE0EEEvSK_,"axG",@progbits,_ZN7rocprim17ROCPRIM_400000_NS6detail17trampoline_kernelINS0_14default_configENS1_36segmented_radix_sort_config_selectorIflEEZNS1_25segmented_radix_sort_implIS3_Lb0EPKfPfPKlPlN2at6native12_GLOBAL__N_18offset_tEEE10hipError_tPvRmT1_PNSt15iterator_traitsISK_E10value_typeET2_T3_PNSL_ISQ_E10value_typeET4_jRbjT5_SW_jjP12ihipStream_tbEUlT_E0_NS1_11comp_targetILNS1_3genE4ELNS1_11target_archE910ELNS1_3gpuE8ELNS1_3repE0EEENS1_60segmented_radix_sort_warp_sort_medium_config_static_selectorELNS0_4arch9wavefront6targetE0EEEvSK_,comdat
	.globl	_ZN7rocprim17ROCPRIM_400000_NS6detail17trampoline_kernelINS0_14default_configENS1_36segmented_radix_sort_config_selectorIflEEZNS1_25segmented_radix_sort_implIS3_Lb0EPKfPfPKlPlN2at6native12_GLOBAL__N_18offset_tEEE10hipError_tPvRmT1_PNSt15iterator_traitsISK_E10value_typeET2_T3_PNSL_ISQ_E10value_typeET4_jRbjT5_SW_jjP12ihipStream_tbEUlT_E0_NS1_11comp_targetILNS1_3genE4ELNS1_11target_archE910ELNS1_3gpuE8ELNS1_3repE0EEENS1_60segmented_radix_sort_warp_sort_medium_config_static_selectorELNS0_4arch9wavefront6targetE0EEEvSK_ ; -- Begin function _ZN7rocprim17ROCPRIM_400000_NS6detail17trampoline_kernelINS0_14default_configENS1_36segmented_radix_sort_config_selectorIflEEZNS1_25segmented_radix_sort_implIS3_Lb0EPKfPfPKlPlN2at6native12_GLOBAL__N_18offset_tEEE10hipError_tPvRmT1_PNSt15iterator_traitsISK_E10value_typeET2_T3_PNSL_ISQ_E10value_typeET4_jRbjT5_SW_jjP12ihipStream_tbEUlT_E0_NS1_11comp_targetILNS1_3genE4ELNS1_11target_archE910ELNS1_3gpuE8ELNS1_3repE0EEENS1_60segmented_radix_sort_warp_sort_medium_config_static_selectorELNS0_4arch9wavefront6targetE0EEEvSK_
	.p2align	8
	.type	_ZN7rocprim17ROCPRIM_400000_NS6detail17trampoline_kernelINS0_14default_configENS1_36segmented_radix_sort_config_selectorIflEEZNS1_25segmented_radix_sort_implIS3_Lb0EPKfPfPKlPlN2at6native12_GLOBAL__N_18offset_tEEE10hipError_tPvRmT1_PNSt15iterator_traitsISK_E10value_typeET2_T3_PNSL_ISQ_E10value_typeET4_jRbjT5_SW_jjP12ihipStream_tbEUlT_E0_NS1_11comp_targetILNS1_3genE4ELNS1_11target_archE910ELNS1_3gpuE8ELNS1_3repE0EEENS1_60segmented_radix_sort_warp_sort_medium_config_static_selectorELNS0_4arch9wavefront6targetE0EEEvSK_,@function
_ZN7rocprim17ROCPRIM_400000_NS6detail17trampoline_kernelINS0_14default_configENS1_36segmented_radix_sort_config_selectorIflEEZNS1_25segmented_radix_sort_implIS3_Lb0EPKfPfPKlPlN2at6native12_GLOBAL__N_18offset_tEEE10hipError_tPvRmT1_PNSt15iterator_traitsISK_E10value_typeET2_T3_PNSL_ISQ_E10value_typeET4_jRbjT5_SW_jjP12ihipStream_tbEUlT_E0_NS1_11comp_targetILNS1_3genE4ELNS1_11target_archE910ELNS1_3gpuE8ELNS1_3repE0EEENS1_60segmented_radix_sort_warp_sort_medium_config_static_selectorELNS0_4arch9wavefront6targetE0EEEvSK_: ; @_ZN7rocprim17ROCPRIM_400000_NS6detail17trampoline_kernelINS0_14default_configENS1_36segmented_radix_sort_config_selectorIflEEZNS1_25segmented_radix_sort_implIS3_Lb0EPKfPfPKlPlN2at6native12_GLOBAL__N_18offset_tEEE10hipError_tPvRmT1_PNSt15iterator_traitsISK_E10value_typeET2_T3_PNSL_ISQ_E10value_typeET4_jRbjT5_SW_jjP12ihipStream_tbEUlT_E0_NS1_11comp_targetILNS1_3genE4ELNS1_11target_archE910ELNS1_3gpuE8ELNS1_3repE0EEENS1_60segmented_radix_sort_warp_sort_medium_config_static_selectorELNS0_4arch9wavefront6targetE0EEEvSK_
; %bb.0:
	.section	.rodata,"a",@progbits
	.p2align	6, 0x0
	.amdhsa_kernel _ZN7rocprim17ROCPRIM_400000_NS6detail17trampoline_kernelINS0_14default_configENS1_36segmented_radix_sort_config_selectorIflEEZNS1_25segmented_radix_sort_implIS3_Lb0EPKfPfPKlPlN2at6native12_GLOBAL__N_18offset_tEEE10hipError_tPvRmT1_PNSt15iterator_traitsISK_E10value_typeET2_T3_PNSL_ISQ_E10value_typeET4_jRbjT5_SW_jjP12ihipStream_tbEUlT_E0_NS1_11comp_targetILNS1_3genE4ELNS1_11target_archE910ELNS1_3gpuE8ELNS1_3repE0EEENS1_60segmented_radix_sort_warp_sort_medium_config_static_selectorELNS0_4arch9wavefront6targetE0EEEvSK_
		.amdhsa_group_segment_fixed_size 0
		.amdhsa_private_segment_fixed_size 0
		.amdhsa_kernarg_size 88
		.amdhsa_user_sgpr_count 2
		.amdhsa_user_sgpr_dispatch_ptr 0
		.amdhsa_user_sgpr_queue_ptr 0
		.amdhsa_user_sgpr_kernarg_segment_ptr 1
		.amdhsa_user_sgpr_dispatch_id 0
		.amdhsa_user_sgpr_private_segment_size 0
		.amdhsa_wavefront_size32 1
		.amdhsa_uses_dynamic_stack 0
		.amdhsa_enable_private_segment 0
		.amdhsa_system_sgpr_workgroup_id_x 1
		.amdhsa_system_sgpr_workgroup_id_y 0
		.amdhsa_system_sgpr_workgroup_id_z 0
		.amdhsa_system_sgpr_workgroup_info 0
		.amdhsa_system_vgpr_workitem_id 0
		.amdhsa_next_free_vgpr 1
		.amdhsa_next_free_sgpr 1
		.amdhsa_reserve_vcc 0
		.amdhsa_float_round_mode_32 0
		.amdhsa_float_round_mode_16_64 0
		.amdhsa_float_denorm_mode_32 3
		.amdhsa_float_denorm_mode_16_64 3
		.amdhsa_fp16_overflow 0
		.amdhsa_workgroup_processor_mode 1
		.amdhsa_memory_ordered 1
		.amdhsa_forward_progress 1
		.amdhsa_inst_pref_size 0
		.amdhsa_round_robin_scheduling 0
		.amdhsa_exception_fp_ieee_invalid_op 0
		.amdhsa_exception_fp_denorm_src 0
		.amdhsa_exception_fp_ieee_div_zero 0
		.amdhsa_exception_fp_ieee_overflow 0
		.amdhsa_exception_fp_ieee_underflow 0
		.amdhsa_exception_fp_ieee_inexact 0
		.amdhsa_exception_int_div_zero 0
	.end_amdhsa_kernel
	.section	.text._ZN7rocprim17ROCPRIM_400000_NS6detail17trampoline_kernelINS0_14default_configENS1_36segmented_radix_sort_config_selectorIflEEZNS1_25segmented_radix_sort_implIS3_Lb0EPKfPfPKlPlN2at6native12_GLOBAL__N_18offset_tEEE10hipError_tPvRmT1_PNSt15iterator_traitsISK_E10value_typeET2_T3_PNSL_ISQ_E10value_typeET4_jRbjT5_SW_jjP12ihipStream_tbEUlT_E0_NS1_11comp_targetILNS1_3genE4ELNS1_11target_archE910ELNS1_3gpuE8ELNS1_3repE0EEENS1_60segmented_radix_sort_warp_sort_medium_config_static_selectorELNS0_4arch9wavefront6targetE0EEEvSK_,"axG",@progbits,_ZN7rocprim17ROCPRIM_400000_NS6detail17trampoline_kernelINS0_14default_configENS1_36segmented_radix_sort_config_selectorIflEEZNS1_25segmented_radix_sort_implIS3_Lb0EPKfPfPKlPlN2at6native12_GLOBAL__N_18offset_tEEE10hipError_tPvRmT1_PNSt15iterator_traitsISK_E10value_typeET2_T3_PNSL_ISQ_E10value_typeET4_jRbjT5_SW_jjP12ihipStream_tbEUlT_E0_NS1_11comp_targetILNS1_3genE4ELNS1_11target_archE910ELNS1_3gpuE8ELNS1_3repE0EEENS1_60segmented_radix_sort_warp_sort_medium_config_static_selectorELNS0_4arch9wavefront6targetE0EEEvSK_,comdat
.Lfunc_end1440:
	.size	_ZN7rocprim17ROCPRIM_400000_NS6detail17trampoline_kernelINS0_14default_configENS1_36segmented_radix_sort_config_selectorIflEEZNS1_25segmented_radix_sort_implIS3_Lb0EPKfPfPKlPlN2at6native12_GLOBAL__N_18offset_tEEE10hipError_tPvRmT1_PNSt15iterator_traitsISK_E10value_typeET2_T3_PNSL_ISQ_E10value_typeET4_jRbjT5_SW_jjP12ihipStream_tbEUlT_E0_NS1_11comp_targetILNS1_3genE4ELNS1_11target_archE910ELNS1_3gpuE8ELNS1_3repE0EEENS1_60segmented_radix_sort_warp_sort_medium_config_static_selectorELNS0_4arch9wavefront6targetE0EEEvSK_, .Lfunc_end1440-_ZN7rocprim17ROCPRIM_400000_NS6detail17trampoline_kernelINS0_14default_configENS1_36segmented_radix_sort_config_selectorIflEEZNS1_25segmented_radix_sort_implIS3_Lb0EPKfPfPKlPlN2at6native12_GLOBAL__N_18offset_tEEE10hipError_tPvRmT1_PNSt15iterator_traitsISK_E10value_typeET2_T3_PNSL_ISQ_E10value_typeET4_jRbjT5_SW_jjP12ihipStream_tbEUlT_E0_NS1_11comp_targetILNS1_3genE4ELNS1_11target_archE910ELNS1_3gpuE8ELNS1_3repE0EEENS1_60segmented_radix_sort_warp_sort_medium_config_static_selectorELNS0_4arch9wavefront6targetE0EEEvSK_
                                        ; -- End function
	.set _ZN7rocprim17ROCPRIM_400000_NS6detail17trampoline_kernelINS0_14default_configENS1_36segmented_radix_sort_config_selectorIflEEZNS1_25segmented_radix_sort_implIS3_Lb0EPKfPfPKlPlN2at6native12_GLOBAL__N_18offset_tEEE10hipError_tPvRmT1_PNSt15iterator_traitsISK_E10value_typeET2_T3_PNSL_ISQ_E10value_typeET4_jRbjT5_SW_jjP12ihipStream_tbEUlT_E0_NS1_11comp_targetILNS1_3genE4ELNS1_11target_archE910ELNS1_3gpuE8ELNS1_3repE0EEENS1_60segmented_radix_sort_warp_sort_medium_config_static_selectorELNS0_4arch9wavefront6targetE0EEEvSK_.num_vgpr, 0
	.set _ZN7rocprim17ROCPRIM_400000_NS6detail17trampoline_kernelINS0_14default_configENS1_36segmented_radix_sort_config_selectorIflEEZNS1_25segmented_radix_sort_implIS3_Lb0EPKfPfPKlPlN2at6native12_GLOBAL__N_18offset_tEEE10hipError_tPvRmT1_PNSt15iterator_traitsISK_E10value_typeET2_T3_PNSL_ISQ_E10value_typeET4_jRbjT5_SW_jjP12ihipStream_tbEUlT_E0_NS1_11comp_targetILNS1_3genE4ELNS1_11target_archE910ELNS1_3gpuE8ELNS1_3repE0EEENS1_60segmented_radix_sort_warp_sort_medium_config_static_selectorELNS0_4arch9wavefront6targetE0EEEvSK_.num_agpr, 0
	.set _ZN7rocprim17ROCPRIM_400000_NS6detail17trampoline_kernelINS0_14default_configENS1_36segmented_radix_sort_config_selectorIflEEZNS1_25segmented_radix_sort_implIS3_Lb0EPKfPfPKlPlN2at6native12_GLOBAL__N_18offset_tEEE10hipError_tPvRmT1_PNSt15iterator_traitsISK_E10value_typeET2_T3_PNSL_ISQ_E10value_typeET4_jRbjT5_SW_jjP12ihipStream_tbEUlT_E0_NS1_11comp_targetILNS1_3genE4ELNS1_11target_archE910ELNS1_3gpuE8ELNS1_3repE0EEENS1_60segmented_radix_sort_warp_sort_medium_config_static_selectorELNS0_4arch9wavefront6targetE0EEEvSK_.numbered_sgpr, 0
	.set _ZN7rocprim17ROCPRIM_400000_NS6detail17trampoline_kernelINS0_14default_configENS1_36segmented_radix_sort_config_selectorIflEEZNS1_25segmented_radix_sort_implIS3_Lb0EPKfPfPKlPlN2at6native12_GLOBAL__N_18offset_tEEE10hipError_tPvRmT1_PNSt15iterator_traitsISK_E10value_typeET2_T3_PNSL_ISQ_E10value_typeET4_jRbjT5_SW_jjP12ihipStream_tbEUlT_E0_NS1_11comp_targetILNS1_3genE4ELNS1_11target_archE910ELNS1_3gpuE8ELNS1_3repE0EEENS1_60segmented_radix_sort_warp_sort_medium_config_static_selectorELNS0_4arch9wavefront6targetE0EEEvSK_.num_named_barrier, 0
	.set _ZN7rocprim17ROCPRIM_400000_NS6detail17trampoline_kernelINS0_14default_configENS1_36segmented_radix_sort_config_selectorIflEEZNS1_25segmented_radix_sort_implIS3_Lb0EPKfPfPKlPlN2at6native12_GLOBAL__N_18offset_tEEE10hipError_tPvRmT1_PNSt15iterator_traitsISK_E10value_typeET2_T3_PNSL_ISQ_E10value_typeET4_jRbjT5_SW_jjP12ihipStream_tbEUlT_E0_NS1_11comp_targetILNS1_3genE4ELNS1_11target_archE910ELNS1_3gpuE8ELNS1_3repE0EEENS1_60segmented_radix_sort_warp_sort_medium_config_static_selectorELNS0_4arch9wavefront6targetE0EEEvSK_.private_seg_size, 0
	.set _ZN7rocprim17ROCPRIM_400000_NS6detail17trampoline_kernelINS0_14default_configENS1_36segmented_radix_sort_config_selectorIflEEZNS1_25segmented_radix_sort_implIS3_Lb0EPKfPfPKlPlN2at6native12_GLOBAL__N_18offset_tEEE10hipError_tPvRmT1_PNSt15iterator_traitsISK_E10value_typeET2_T3_PNSL_ISQ_E10value_typeET4_jRbjT5_SW_jjP12ihipStream_tbEUlT_E0_NS1_11comp_targetILNS1_3genE4ELNS1_11target_archE910ELNS1_3gpuE8ELNS1_3repE0EEENS1_60segmented_radix_sort_warp_sort_medium_config_static_selectorELNS0_4arch9wavefront6targetE0EEEvSK_.uses_vcc, 0
	.set _ZN7rocprim17ROCPRIM_400000_NS6detail17trampoline_kernelINS0_14default_configENS1_36segmented_radix_sort_config_selectorIflEEZNS1_25segmented_radix_sort_implIS3_Lb0EPKfPfPKlPlN2at6native12_GLOBAL__N_18offset_tEEE10hipError_tPvRmT1_PNSt15iterator_traitsISK_E10value_typeET2_T3_PNSL_ISQ_E10value_typeET4_jRbjT5_SW_jjP12ihipStream_tbEUlT_E0_NS1_11comp_targetILNS1_3genE4ELNS1_11target_archE910ELNS1_3gpuE8ELNS1_3repE0EEENS1_60segmented_radix_sort_warp_sort_medium_config_static_selectorELNS0_4arch9wavefront6targetE0EEEvSK_.uses_flat_scratch, 0
	.set _ZN7rocprim17ROCPRIM_400000_NS6detail17trampoline_kernelINS0_14default_configENS1_36segmented_radix_sort_config_selectorIflEEZNS1_25segmented_radix_sort_implIS3_Lb0EPKfPfPKlPlN2at6native12_GLOBAL__N_18offset_tEEE10hipError_tPvRmT1_PNSt15iterator_traitsISK_E10value_typeET2_T3_PNSL_ISQ_E10value_typeET4_jRbjT5_SW_jjP12ihipStream_tbEUlT_E0_NS1_11comp_targetILNS1_3genE4ELNS1_11target_archE910ELNS1_3gpuE8ELNS1_3repE0EEENS1_60segmented_radix_sort_warp_sort_medium_config_static_selectorELNS0_4arch9wavefront6targetE0EEEvSK_.has_dyn_sized_stack, 0
	.set _ZN7rocprim17ROCPRIM_400000_NS6detail17trampoline_kernelINS0_14default_configENS1_36segmented_radix_sort_config_selectorIflEEZNS1_25segmented_radix_sort_implIS3_Lb0EPKfPfPKlPlN2at6native12_GLOBAL__N_18offset_tEEE10hipError_tPvRmT1_PNSt15iterator_traitsISK_E10value_typeET2_T3_PNSL_ISQ_E10value_typeET4_jRbjT5_SW_jjP12ihipStream_tbEUlT_E0_NS1_11comp_targetILNS1_3genE4ELNS1_11target_archE910ELNS1_3gpuE8ELNS1_3repE0EEENS1_60segmented_radix_sort_warp_sort_medium_config_static_selectorELNS0_4arch9wavefront6targetE0EEEvSK_.has_recursion, 0
	.set _ZN7rocprim17ROCPRIM_400000_NS6detail17trampoline_kernelINS0_14default_configENS1_36segmented_radix_sort_config_selectorIflEEZNS1_25segmented_radix_sort_implIS3_Lb0EPKfPfPKlPlN2at6native12_GLOBAL__N_18offset_tEEE10hipError_tPvRmT1_PNSt15iterator_traitsISK_E10value_typeET2_T3_PNSL_ISQ_E10value_typeET4_jRbjT5_SW_jjP12ihipStream_tbEUlT_E0_NS1_11comp_targetILNS1_3genE4ELNS1_11target_archE910ELNS1_3gpuE8ELNS1_3repE0EEENS1_60segmented_radix_sort_warp_sort_medium_config_static_selectorELNS0_4arch9wavefront6targetE0EEEvSK_.has_indirect_call, 0
	.section	.AMDGPU.csdata,"",@progbits
; Kernel info:
; codeLenInByte = 0
; TotalNumSgprs: 0
; NumVgprs: 0
; ScratchSize: 0
; MemoryBound: 0
; FloatMode: 240
; IeeeMode: 1
; LDSByteSize: 0 bytes/workgroup (compile time only)
; SGPRBlocks: 0
; VGPRBlocks: 0
; NumSGPRsForWavesPerEU: 1
; NumVGPRsForWavesPerEU: 1
; Occupancy: 16
; WaveLimiterHint : 0
; COMPUTE_PGM_RSRC2:SCRATCH_EN: 0
; COMPUTE_PGM_RSRC2:USER_SGPR: 2
; COMPUTE_PGM_RSRC2:TRAP_HANDLER: 0
; COMPUTE_PGM_RSRC2:TGID_X_EN: 1
; COMPUTE_PGM_RSRC2:TGID_Y_EN: 0
; COMPUTE_PGM_RSRC2:TGID_Z_EN: 0
; COMPUTE_PGM_RSRC2:TIDIG_COMP_CNT: 0
	.section	.text._ZN7rocprim17ROCPRIM_400000_NS6detail17trampoline_kernelINS0_14default_configENS1_36segmented_radix_sort_config_selectorIflEEZNS1_25segmented_radix_sort_implIS3_Lb0EPKfPfPKlPlN2at6native12_GLOBAL__N_18offset_tEEE10hipError_tPvRmT1_PNSt15iterator_traitsISK_E10value_typeET2_T3_PNSL_ISQ_E10value_typeET4_jRbjT5_SW_jjP12ihipStream_tbEUlT_E0_NS1_11comp_targetILNS1_3genE3ELNS1_11target_archE908ELNS1_3gpuE7ELNS1_3repE0EEENS1_60segmented_radix_sort_warp_sort_medium_config_static_selectorELNS0_4arch9wavefront6targetE0EEEvSK_,"axG",@progbits,_ZN7rocprim17ROCPRIM_400000_NS6detail17trampoline_kernelINS0_14default_configENS1_36segmented_radix_sort_config_selectorIflEEZNS1_25segmented_radix_sort_implIS3_Lb0EPKfPfPKlPlN2at6native12_GLOBAL__N_18offset_tEEE10hipError_tPvRmT1_PNSt15iterator_traitsISK_E10value_typeET2_T3_PNSL_ISQ_E10value_typeET4_jRbjT5_SW_jjP12ihipStream_tbEUlT_E0_NS1_11comp_targetILNS1_3genE3ELNS1_11target_archE908ELNS1_3gpuE7ELNS1_3repE0EEENS1_60segmented_radix_sort_warp_sort_medium_config_static_selectorELNS0_4arch9wavefront6targetE0EEEvSK_,comdat
	.globl	_ZN7rocprim17ROCPRIM_400000_NS6detail17trampoline_kernelINS0_14default_configENS1_36segmented_radix_sort_config_selectorIflEEZNS1_25segmented_radix_sort_implIS3_Lb0EPKfPfPKlPlN2at6native12_GLOBAL__N_18offset_tEEE10hipError_tPvRmT1_PNSt15iterator_traitsISK_E10value_typeET2_T3_PNSL_ISQ_E10value_typeET4_jRbjT5_SW_jjP12ihipStream_tbEUlT_E0_NS1_11comp_targetILNS1_3genE3ELNS1_11target_archE908ELNS1_3gpuE7ELNS1_3repE0EEENS1_60segmented_radix_sort_warp_sort_medium_config_static_selectorELNS0_4arch9wavefront6targetE0EEEvSK_ ; -- Begin function _ZN7rocprim17ROCPRIM_400000_NS6detail17trampoline_kernelINS0_14default_configENS1_36segmented_radix_sort_config_selectorIflEEZNS1_25segmented_radix_sort_implIS3_Lb0EPKfPfPKlPlN2at6native12_GLOBAL__N_18offset_tEEE10hipError_tPvRmT1_PNSt15iterator_traitsISK_E10value_typeET2_T3_PNSL_ISQ_E10value_typeET4_jRbjT5_SW_jjP12ihipStream_tbEUlT_E0_NS1_11comp_targetILNS1_3genE3ELNS1_11target_archE908ELNS1_3gpuE7ELNS1_3repE0EEENS1_60segmented_radix_sort_warp_sort_medium_config_static_selectorELNS0_4arch9wavefront6targetE0EEEvSK_
	.p2align	8
	.type	_ZN7rocprim17ROCPRIM_400000_NS6detail17trampoline_kernelINS0_14default_configENS1_36segmented_radix_sort_config_selectorIflEEZNS1_25segmented_radix_sort_implIS3_Lb0EPKfPfPKlPlN2at6native12_GLOBAL__N_18offset_tEEE10hipError_tPvRmT1_PNSt15iterator_traitsISK_E10value_typeET2_T3_PNSL_ISQ_E10value_typeET4_jRbjT5_SW_jjP12ihipStream_tbEUlT_E0_NS1_11comp_targetILNS1_3genE3ELNS1_11target_archE908ELNS1_3gpuE7ELNS1_3repE0EEENS1_60segmented_radix_sort_warp_sort_medium_config_static_selectorELNS0_4arch9wavefront6targetE0EEEvSK_,@function
_ZN7rocprim17ROCPRIM_400000_NS6detail17trampoline_kernelINS0_14default_configENS1_36segmented_radix_sort_config_selectorIflEEZNS1_25segmented_radix_sort_implIS3_Lb0EPKfPfPKlPlN2at6native12_GLOBAL__N_18offset_tEEE10hipError_tPvRmT1_PNSt15iterator_traitsISK_E10value_typeET2_T3_PNSL_ISQ_E10value_typeET4_jRbjT5_SW_jjP12ihipStream_tbEUlT_E0_NS1_11comp_targetILNS1_3genE3ELNS1_11target_archE908ELNS1_3gpuE7ELNS1_3repE0EEENS1_60segmented_radix_sort_warp_sort_medium_config_static_selectorELNS0_4arch9wavefront6targetE0EEEvSK_: ; @_ZN7rocprim17ROCPRIM_400000_NS6detail17trampoline_kernelINS0_14default_configENS1_36segmented_radix_sort_config_selectorIflEEZNS1_25segmented_radix_sort_implIS3_Lb0EPKfPfPKlPlN2at6native12_GLOBAL__N_18offset_tEEE10hipError_tPvRmT1_PNSt15iterator_traitsISK_E10value_typeET2_T3_PNSL_ISQ_E10value_typeET4_jRbjT5_SW_jjP12ihipStream_tbEUlT_E0_NS1_11comp_targetILNS1_3genE3ELNS1_11target_archE908ELNS1_3gpuE7ELNS1_3repE0EEENS1_60segmented_radix_sort_warp_sort_medium_config_static_selectorELNS0_4arch9wavefront6targetE0EEEvSK_
; %bb.0:
	.section	.rodata,"a",@progbits
	.p2align	6, 0x0
	.amdhsa_kernel _ZN7rocprim17ROCPRIM_400000_NS6detail17trampoline_kernelINS0_14default_configENS1_36segmented_radix_sort_config_selectorIflEEZNS1_25segmented_radix_sort_implIS3_Lb0EPKfPfPKlPlN2at6native12_GLOBAL__N_18offset_tEEE10hipError_tPvRmT1_PNSt15iterator_traitsISK_E10value_typeET2_T3_PNSL_ISQ_E10value_typeET4_jRbjT5_SW_jjP12ihipStream_tbEUlT_E0_NS1_11comp_targetILNS1_3genE3ELNS1_11target_archE908ELNS1_3gpuE7ELNS1_3repE0EEENS1_60segmented_radix_sort_warp_sort_medium_config_static_selectorELNS0_4arch9wavefront6targetE0EEEvSK_
		.amdhsa_group_segment_fixed_size 0
		.amdhsa_private_segment_fixed_size 0
		.amdhsa_kernarg_size 88
		.amdhsa_user_sgpr_count 2
		.amdhsa_user_sgpr_dispatch_ptr 0
		.amdhsa_user_sgpr_queue_ptr 0
		.amdhsa_user_sgpr_kernarg_segment_ptr 1
		.amdhsa_user_sgpr_dispatch_id 0
		.amdhsa_user_sgpr_private_segment_size 0
		.amdhsa_wavefront_size32 1
		.amdhsa_uses_dynamic_stack 0
		.amdhsa_enable_private_segment 0
		.amdhsa_system_sgpr_workgroup_id_x 1
		.amdhsa_system_sgpr_workgroup_id_y 0
		.amdhsa_system_sgpr_workgroup_id_z 0
		.amdhsa_system_sgpr_workgroup_info 0
		.amdhsa_system_vgpr_workitem_id 0
		.amdhsa_next_free_vgpr 1
		.amdhsa_next_free_sgpr 1
		.amdhsa_reserve_vcc 0
		.amdhsa_float_round_mode_32 0
		.amdhsa_float_round_mode_16_64 0
		.amdhsa_float_denorm_mode_32 3
		.amdhsa_float_denorm_mode_16_64 3
		.amdhsa_fp16_overflow 0
		.amdhsa_workgroup_processor_mode 1
		.amdhsa_memory_ordered 1
		.amdhsa_forward_progress 1
		.amdhsa_inst_pref_size 0
		.amdhsa_round_robin_scheduling 0
		.amdhsa_exception_fp_ieee_invalid_op 0
		.amdhsa_exception_fp_denorm_src 0
		.amdhsa_exception_fp_ieee_div_zero 0
		.amdhsa_exception_fp_ieee_overflow 0
		.amdhsa_exception_fp_ieee_underflow 0
		.amdhsa_exception_fp_ieee_inexact 0
		.amdhsa_exception_int_div_zero 0
	.end_amdhsa_kernel
	.section	.text._ZN7rocprim17ROCPRIM_400000_NS6detail17trampoline_kernelINS0_14default_configENS1_36segmented_radix_sort_config_selectorIflEEZNS1_25segmented_radix_sort_implIS3_Lb0EPKfPfPKlPlN2at6native12_GLOBAL__N_18offset_tEEE10hipError_tPvRmT1_PNSt15iterator_traitsISK_E10value_typeET2_T3_PNSL_ISQ_E10value_typeET4_jRbjT5_SW_jjP12ihipStream_tbEUlT_E0_NS1_11comp_targetILNS1_3genE3ELNS1_11target_archE908ELNS1_3gpuE7ELNS1_3repE0EEENS1_60segmented_radix_sort_warp_sort_medium_config_static_selectorELNS0_4arch9wavefront6targetE0EEEvSK_,"axG",@progbits,_ZN7rocprim17ROCPRIM_400000_NS6detail17trampoline_kernelINS0_14default_configENS1_36segmented_radix_sort_config_selectorIflEEZNS1_25segmented_radix_sort_implIS3_Lb0EPKfPfPKlPlN2at6native12_GLOBAL__N_18offset_tEEE10hipError_tPvRmT1_PNSt15iterator_traitsISK_E10value_typeET2_T3_PNSL_ISQ_E10value_typeET4_jRbjT5_SW_jjP12ihipStream_tbEUlT_E0_NS1_11comp_targetILNS1_3genE3ELNS1_11target_archE908ELNS1_3gpuE7ELNS1_3repE0EEENS1_60segmented_radix_sort_warp_sort_medium_config_static_selectorELNS0_4arch9wavefront6targetE0EEEvSK_,comdat
.Lfunc_end1441:
	.size	_ZN7rocprim17ROCPRIM_400000_NS6detail17trampoline_kernelINS0_14default_configENS1_36segmented_radix_sort_config_selectorIflEEZNS1_25segmented_radix_sort_implIS3_Lb0EPKfPfPKlPlN2at6native12_GLOBAL__N_18offset_tEEE10hipError_tPvRmT1_PNSt15iterator_traitsISK_E10value_typeET2_T3_PNSL_ISQ_E10value_typeET4_jRbjT5_SW_jjP12ihipStream_tbEUlT_E0_NS1_11comp_targetILNS1_3genE3ELNS1_11target_archE908ELNS1_3gpuE7ELNS1_3repE0EEENS1_60segmented_radix_sort_warp_sort_medium_config_static_selectorELNS0_4arch9wavefront6targetE0EEEvSK_, .Lfunc_end1441-_ZN7rocprim17ROCPRIM_400000_NS6detail17trampoline_kernelINS0_14default_configENS1_36segmented_radix_sort_config_selectorIflEEZNS1_25segmented_radix_sort_implIS3_Lb0EPKfPfPKlPlN2at6native12_GLOBAL__N_18offset_tEEE10hipError_tPvRmT1_PNSt15iterator_traitsISK_E10value_typeET2_T3_PNSL_ISQ_E10value_typeET4_jRbjT5_SW_jjP12ihipStream_tbEUlT_E0_NS1_11comp_targetILNS1_3genE3ELNS1_11target_archE908ELNS1_3gpuE7ELNS1_3repE0EEENS1_60segmented_radix_sort_warp_sort_medium_config_static_selectorELNS0_4arch9wavefront6targetE0EEEvSK_
                                        ; -- End function
	.set _ZN7rocprim17ROCPRIM_400000_NS6detail17trampoline_kernelINS0_14default_configENS1_36segmented_radix_sort_config_selectorIflEEZNS1_25segmented_radix_sort_implIS3_Lb0EPKfPfPKlPlN2at6native12_GLOBAL__N_18offset_tEEE10hipError_tPvRmT1_PNSt15iterator_traitsISK_E10value_typeET2_T3_PNSL_ISQ_E10value_typeET4_jRbjT5_SW_jjP12ihipStream_tbEUlT_E0_NS1_11comp_targetILNS1_3genE3ELNS1_11target_archE908ELNS1_3gpuE7ELNS1_3repE0EEENS1_60segmented_radix_sort_warp_sort_medium_config_static_selectorELNS0_4arch9wavefront6targetE0EEEvSK_.num_vgpr, 0
	.set _ZN7rocprim17ROCPRIM_400000_NS6detail17trampoline_kernelINS0_14default_configENS1_36segmented_radix_sort_config_selectorIflEEZNS1_25segmented_radix_sort_implIS3_Lb0EPKfPfPKlPlN2at6native12_GLOBAL__N_18offset_tEEE10hipError_tPvRmT1_PNSt15iterator_traitsISK_E10value_typeET2_T3_PNSL_ISQ_E10value_typeET4_jRbjT5_SW_jjP12ihipStream_tbEUlT_E0_NS1_11comp_targetILNS1_3genE3ELNS1_11target_archE908ELNS1_3gpuE7ELNS1_3repE0EEENS1_60segmented_radix_sort_warp_sort_medium_config_static_selectorELNS0_4arch9wavefront6targetE0EEEvSK_.num_agpr, 0
	.set _ZN7rocprim17ROCPRIM_400000_NS6detail17trampoline_kernelINS0_14default_configENS1_36segmented_radix_sort_config_selectorIflEEZNS1_25segmented_radix_sort_implIS3_Lb0EPKfPfPKlPlN2at6native12_GLOBAL__N_18offset_tEEE10hipError_tPvRmT1_PNSt15iterator_traitsISK_E10value_typeET2_T3_PNSL_ISQ_E10value_typeET4_jRbjT5_SW_jjP12ihipStream_tbEUlT_E0_NS1_11comp_targetILNS1_3genE3ELNS1_11target_archE908ELNS1_3gpuE7ELNS1_3repE0EEENS1_60segmented_radix_sort_warp_sort_medium_config_static_selectorELNS0_4arch9wavefront6targetE0EEEvSK_.numbered_sgpr, 0
	.set _ZN7rocprim17ROCPRIM_400000_NS6detail17trampoline_kernelINS0_14default_configENS1_36segmented_radix_sort_config_selectorIflEEZNS1_25segmented_radix_sort_implIS3_Lb0EPKfPfPKlPlN2at6native12_GLOBAL__N_18offset_tEEE10hipError_tPvRmT1_PNSt15iterator_traitsISK_E10value_typeET2_T3_PNSL_ISQ_E10value_typeET4_jRbjT5_SW_jjP12ihipStream_tbEUlT_E0_NS1_11comp_targetILNS1_3genE3ELNS1_11target_archE908ELNS1_3gpuE7ELNS1_3repE0EEENS1_60segmented_radix_sort_warp_sort_medium_config_static_selectorELNS0_4arch9wavefront6targetE0EEEvSK_.num_named_barrier, 0
	.set _ZN7rocprim17ROCPRIM_400000_NS6detail17trampoline_kernelINS0_14default_configENS1_36segmented_radix_sort_config_selectorIflEEZNS1_25segmented_radix_sort_implIS3_Lb0EPKfPfPKlPlN2at6native12_GLOBAL__N_18offset_tEEE10hipError_tPvRmT1_PNSt15iterator_traitsISK_E10value_typeET2_T3_PNSL_ISQ_E10value_typeET4_jRbjT5_SW_jjP12ihipStream_tbEUlT_E0_NS1_11comp_targetILNS1_3genE3ELNS1_11target_archE908ELNS1_3gpuE7ELNS1_3repE0EEENS1_60segmented_radix_sort_warp_sort_medium_config_static_selectorELNS0_4arch9wavefront6targetE0EEEvSK_.private_seg_size, 0
	.set _ZN7rocprim17ROCPRIM_400000_NS6detail17trampoline_kernelINS0_14default_configENS1_36segmented_radix_sort_config_selectorIflEEZNS1_25segmented_radix_sort_implIS3_Lb0EPKfPfPKlPlN2at6native12_GLOBAL__N_18offset_tEEE10hipError_tPvRmT1_PNSt15iterator_traitsISK_E10value_typeET2_T3_PNSL_ISQ_E10value_typeET4_jRbjT5_SW_jjP12ihipStream_tbEUlT_E0_NS1_11comp_targetILNS1_3genE3ELNS1_11target_archE908ELNS1_3gpuE7ELNS1_3repE0EEENS1_60segmented_radix_sort_warp_sort_medium_config_static_selectorELNS0_4arch9wavefront6targetE0EEEvSK_.uses_vcc, 0
	.set _ZN7rocprim17ROCPRIM_400000_NS6detail17trampoline_kernelINS0_14default_configENS1_36segmented_radix_sort_config_selectorIflEEZNS1_25segmented_radix_sort_implIS3_Lb0EPKfPfPKlPlN2at6native12_GLOBAL__N_18offset_tEEE10hipError_tPvRmT1_PNSt15iterator_traitsISK_E10value_typeET2_T3_PNSL_ISQ_E10value_typeET4_jRbjT5_SW_jjP12ihipStream_tbEUlT_E0_NS1_11comp_targetILNS1_3genE3ELNS1_11target_archE908ELNS1_3gpuE7ELNS1_3repE0EEENS1_60segmented_radix_sort_warp_sort_medium_config_static_selectorELNS0_4arch9wavefront6targetE0EEEvSK_.uses_flat_scratch, 0
	.set _ZN7rocprim17ROCPRIM_400000_NS6detail17trampoline_kernelINS0_14default_configENS1_36segmented_radix_sort_config_selectorIflEEZNS1_25segmented_radix_sort_implIS3_Lb0EPKfPfPKlPlN2at6native12_GLOBAL__N_18offset_tEEE10hipError_tPvRmT1_PNSt15iterator_traitsISK_E10value_typeET2_T3_PNSL_ISQ_E10value_typeET4_jRbjT5_SW_jjP12ihipStream_tbEUlT_E0_NS1_11comp_targetILNS1_3genE3ELNS1_11target_archE908ELNS1_3gpuE7ELNS1_3repE0EEENS1_60segmented_radix_sort_warp_sort_medium_config_static_selectorELNS0_4arch9wavefront6targetE0EEEvSK_.has_dyn_sized_stack, 0
	.set _ZN7rocprim17ROCPRIM_400000_NS6detail17trampoline_kernelINS0_14default_configENS1_36segmented_radix_sort_config_selectorIflEEZNS1_25segmented_radix_sort_implIS3_Lb0EPKfPfPKlPlN2at6native12_GLOBAL__N_18offset_tEEE10hipError_tPvRmT1_PNSt15iterator_traitsISK_E10value_typeET2_T3_PNSL_ISQ_E10value_typeET4_jRbjT5_SW_jjP12ihipStream_tbEUlT_E0_NS1_11comp_targetILNS1_3genE3ELNS1_11target_archE908ELNS1_3gpuE7ELNS1_3repE0EEENS1_60segmented_radix_sort_warp_sort_medium_config_static_selectorELNS0_4arch9wavefront6targetE0EEEvSK_.has_recursion, 0
	.set _ZN7rocprim17ROCPRIM_400000_NS6detail17trampoline_kernelINS0_14default_configENS1_36segmented_radix_sort_config_selectorIflEEZNS1_25segmented_radix_sort_implIS3_Lb0EPKfPfPKlPlN2at6native12_GLOBAL__N_18offset_tEEE10hipError_tPvRmT1_PNSt15iterator_traitsISK_E10value_typeET2_T3_PNSL_ISQ_E10value_typeET4_jRbjT5_SW_jjP12ihipStream_tbEUlT_E0_NS1_11comp_targetILNS1_3genE3ELNS1_11target_archE908ELNS1_3gpuE7ELNS1_3repE0EEENS1_60segmented_radix_sort_warp_sort_medium_config_static_selectorELNS0_4arch9wavefront6targetE0EEEvSK_.has_indirect_call, 0
	.section	.AMDGPU.csdata,"",@progbits
; Kernel info:
; codeLenInByte = 0
; TotalNumSgprs: 0
; NumVgprs: 0
; ScratchSize: 0
; MemoryBound: 0
; FloatMode: 240
; IeeeMode: 1
; LDSByteSize: 0 bytes/workgroup (compile time only)
; SGPRBlocks: 0
; VGPRBlocks: 0
; NumSGPRsForWavesPerEU: 1
; NumVGPRsForWavesPerEU: 1
; Occupancy: 16
; WaveLimiterHint : 0
; COMPUTE_PGM_RSRC2:SCRATCH_EN: 0
; COMPUTE_PGM_RSRC2:USER_SGPR: 2
; COMPUTE_PGM_RSRC2:TRAP_HANDLER: 0
; COMPUTE_PGM_RSRC2:TGID_X_EN: 1
; COMPUTE_PGM_RSRC2:TGID_Y_EN: 0
; COMPUTE_PGM_RSRC2:TGID_Z_EN: 0
; COMPUTE_PGM_RSRC2:TIDIG_COMP_CNT: 0
	.section	.text._ZN7rocprim17ROCPRIM_400000_NS6detail17trampoline_kernelINS0_14default_configENS1_36segmented_radix_sort_config_selectorIflEEZNS1_25segmented_radix_sort_implIS3_Lb0EPKfPfPKlPlN2at6native12_GLOBAL__N_18offset_tEEE10hipError_tPvRmT1_PNSt15iterator_traitsISK_E10value_typeET2_T3_PNSL_ISQ_E10value_typeET4_jRbjT5_SW_jjP12ihipStream_tbEUlT_E0_NS1_11comp_targetILNS1_3genE2ELNS1_11target_archE906ELNS1_3gpuE6ELNS1_3repE0EEENS1_60segmented_radix_sort_warp_sort_medium_config_static_selectorELNS0_4arch9wavefront6targetE0EEEvSK_,"axG",@progbits,_ZN7rocprim17ROCPRIM_400000_NS6detail17trampoline_kernelINS0_14default_configENS1_36segmented_radix_sort_config_selectorIflEEZNS1_25segmented_radix_sort_implIS3_Lb0EPKfPfPKlPlN2at6native12_GLOBAL__N_18offset_tEEE10hipError_tPvRmT1_PNSt15iterator_traitsISK_E10value_typeET2_T3_PNSL_ISQ_E10value_typeET4_jRbjT5_SW_jjP12ihipStream_tbEUlT_E0_NS1_11comp_targetILNS1_3genE2ELNS1_11target_archE906ELNS1_3gpuE6ELNS1_3repE0EEENS1_60segmented_radix_sort_warp_sort_medium_config_static_selectorELNS0_4arch9wavefront6targetE0EEEvSK_,comdat
	.globl	_ZN7rocprim17ROCPRIM_400000_NS6detail17trampoline_kernelINS0_14default_configENS1_36segmented_radix_sort_config_selectorIflEEZNS1_25segmented_radix_sort_implIS3_Lb0EPKfPfPKlPlN2at6native12_GLOBAL__N_18offset_tEEE10hipError_tPvRmT1_PNSt15iterator_traitsISK_E10value_typeET2_T3_PNSL_ISQ_E10value_typeET4_jRbjT5_SW_jjP12ihipStream_tbEUlT_E0_NS1_11comp_targetILNS1_3genE2ELNS1_11target_archE906ELNS1_3gpuE6ELNS1_3repE0EEENS1_60segmented_radix_sort_warp_sort_medium_config_static_selectorELNS0_4arch9wavefront6targetE0EEEvSK_ ; -- Begin function _ZN7rocprim17ROCPRIM_400000_NS6detail17trampoline_kernelINS0_14default_configENS1_36segmented_radix_sort_config_selectorIflEEZNS1_25segmented_radix_sort_implIS3_Lb0EPKfPfPKlPlN2at6native12_GLOBAL__N_18offset_tEEE10hipError_tPvRmT1_PNSt15iterator_traitsISK_E10value_typeET2_T3_PNSL_ISQ_E10value_typeET4_jRbjT5_SW_jjP12ihipStream_tbEUlT_E0_NS1_11comp_targetILNS1_3genE2ELNS1_11target_archE906ELNS1_3gpuE6ELNS1_3repE0EEENS1_60segmented_radix_sort_warp_sort_medium_config_static_selectorELNS0_4arch9wavefront6targetE0EEEvSK_
	.p2align	8
	.type	_ZN7rocprim17ROCPRIM_400000_NS6detail17trampoline_kernelINS0_14default_configENS1_36segmented_radix_sort_config_selectorIflEEZNS1_25segmented_radix_sort_implIS3_Lb0EPKfPfPKlPlN2at6native12_GLOBAL__N_18offset_tEEE10hipError_tPvRmT1_PNSt15iterator_traitsISK_E10value_typeET2_T3_PNSL_ISQ_E10value_typeET4_jRbjT5_SW_jjP12ihipStream_tbEUlT_E0_NS1_11comp_targetILNS1_3genE2ELNS1_11target_archE906ELNS1_3gpuE6ELNS1_3repE0EEENS1_60segmented_radix_sort_warp_sort_medium_config_static_selectorELNS0_4arch9wavefront6targetE0EEEvSK_,@function
_ZN7rocprim17ROCPRIM_400000_NS6detail17trampoline_kernelINS0_14default_configENS1_36segmented_radix_sort_config_selectorIflEEZNS1_25segmented_radix_sort_implIS3_Lb0EPKfPfPKlPlN2at6native12_GLOBAL__N_18offset_tEEE10hipError_tPvRmT1_PNSt15iterator_traitsISK_E10value_typeET2_T3_PNSL_ISQ_E10value_typeET4_jRbjT5_SW_jjP12ihipStream_tbEUlT_E0_NS1_11comp_targetILNS1_3genE2ELNS1_11target_archE906ELNS1_3gpuE6ELNS1_3repE0EEENS1_60segmented_radix_sort_warp_sort_medium_config_static_selectorELNS0_4arch9wavefront6targetE0EEEvSK_: ; @_ZN7rocprim17ROCPRIM_400000_NS6detail17trampoline_kernelINS0_14default_configENS1_36segmented_radix_sort_config_selectorIflEEZNS1_25segmented_radix_sort_implIS3_Lb0EPKfPfPKlPlN2at6native12_GLOBAL__N_18offset_tEEE10hipError_tPvRmT1_PNSt15iterator_traitsISK_E10value_typeET2_T3_PNSL_ISQ_E10value_typeET4_jRbjT5_SW_jjP12ihipStream_tbEUlT_E0_NS1_11comp_targetILNS1_3genE2ELNS1_11target_archE906ELNS1_3gpuE6ELNS1_3repE0EEENS1_60segmented_radix_sort_warp_sort_medium_config_static_selectorELNS0_4arch9wavefront6targetE0EEEvSK_
; %bb.0:
	.section	.rodata,"a",@progbits
	.p2align	6, 0x0
	.amdhsa_kernel _ZN7rocprim17ROCPRIM_400000_NS6detail17trampoline_kernelINS0_14default_configENS1_36segmented_radix_sort_config_selectorIflEEZNS1_25segmented_radix_sort_implIS3_Lb0EPKfPfPKlPlN2at6native12_GLOBAL__N_18offset_tEEE10hipError_tPvRmT1_PNSt15iterator_traitsISK_E10value_typeET2_T3_PNSL_ISQ_E10value_typeET4_jRbjT5_SW_jjP12ihipStream_tbEUlT_E0_NS1_11comp_targetILNS1_3genE2ELNS1_11target_archE906ELNS1_3gpuE6ELNS1_3repE0EEENS1_60segmented_radix_sort_warp_sort_medium_config_static_selectorELNS0_4arch9wavefront6targetE0EEEvSK_
		.amdhsa_group_segment_fixed_size 0
		.amdhsa_private_segment_fixed_size 0
		.amdhsa_kernarg_size 88
		.amdhsa_user_sgpr_count 2
		.amdhsa_user_sgpr_dispatch_ptr 0
		.amdhsa_user_sgpr_queue_ptr 0
		.amdhsa_user_sgpr_kernarg_segment_ptr 1
		.amdhsa_user_sgpr_dispatch_id 0
		.amdhsa_user_sgpr_private_segment_size 0
		.amdhsa_wavefront_size32 1
		.amdhsa_uses_dynamic_stack 0
		.amdhsa_enable_private_segment 0
		.amdhsa_system_sgpr_workgroup_id_x 1
		.amdhsa_system_sgpr_workgroup_id_y 0
		.amdhsa_system_sgpr_workgroup_id_z 0
		.amdhsa_system_sgpr_workgroup_info 0
		.amdhsa_system_vgpr_workitem_id 0
		.amdhsa_next_free_vgpr 1
		.amdhsa_next_free_sgpr 1
		.amdhsa_reserve_vcc 0
		.amdhsa_float_round_mode_32 0
		.amdhsa_float_round_mode_16_64 0
		.amdhsa_float_denorm_mode_32 3
		.amdhsa_float_denorm_mode_16_64 3
		.amdhsa_fp16_overflow 0
		.amdhsa_workgroup_processor_mode 1
		.amdhsa_memory_ordered 1
		.amdhsa_forward_progress 1
		.amdhsa_inst_pref_size 0
		.amdhsa_round_robin_scheduling 0
		.amdhsa_exception_fp_ieee_invalid_op 0
		.amdhsa_exception_fp_denorm_src 0
		.amdhsa_exception_fp_ieee_div_zero 0
		.amdhsa_exception_fp_ieee_overflow 0
		.amdhsa_exception_fp_ieee_underflow 0
		.amdhsa_exception_fp_ieee_inexact 0
		.amdhsa_exception_int_div_zero 0
	.end_amdhsa_kernel
	.section	.text._ZN7rocprim17ROCPRIM_400000_NS6detail17trampoline_kernelINS0_14default_configENS1_36segmented_radix_sort_config_selectorIflEEZNS1_25segmented_radix_sort_implIS3_Lb0EPKfPfPKlPlN2at6native12_GLOBAL__N_18offset_tEEE10hipError_tPvRmT1_PNSt15iterator_traitsISK_E10value_typeET2_T3_PNSL_ISQ_E10value_typeET4_jRbjT5_SW_jjP12ihipStream_tbEUlT_E0_NS1_11comp_targetILNS1_3genE2ELNS1_11target_archE906ELNS1_3gpuE6ELNS1_3repE0EEENS1_60segmented_radix_sort_warp_sort_medium_config_static_selectorELNS0_4arch9wavefront6targetE0EEEvSK_,"axG",@progbits,_ZN7rocprim17ROCPRIM_400000_NS6detail17trampoline_kernelINS0_14default_configENS1_36segmented_radix_sort_config_selectorIflEEZNS1_25segmented_radix_sort_implIS3_Lb0EPKfPfPKlPlN2at6native12_GLOBAL__N_18offset_tEEE10hipError_tPvRmT1_PNSt15iterator_traitsISK_E10value_typeET2_T3_PNSL_ISQ_E10value_typeET4_jRbjT5_SW_jjP12ihipStream_tbEUlT_E0_NS1_11comp_targetILNS1_3genE2ELNS1_11target_archE906ELNS1_3gpuE6ELNS1_3repE0EEENS1_60segmented_radix_sort_warp_sort_medium_config_static_selectorELNS0_4arch9wavefront6targetE0EEEvSK_,comdat
.Lfunc_end1442:
	.size	_ZN7rocprim17ROCPRIM_400000_NS6detail17trampoline_kernelINS0_14default_configENS1_36segmented_radix_sort_config_selectorIflEEZNS1_25segmented_radix_sort_implIS3_Lb0EPKfPfPKlPlN2at6native12_GLOBAL__N_18offset_tEEE10hipError_tPvRmT1_PNSt15iterator_traitsISK_E10value_typeET2_T3_PNSL_ISQ_E10value_typeET4_jRbjT5_SW_jjP12ihipStream_tbEUlT_E0_NS1_11comp_targetILNS1_3genE2ELNS1_11target_archE906ELNS1_3gpuE6ELNS1_3repE0EEENS1_60segmented_radix_sort_warp_sort_medium_config_static_selectorELNS0_4arch9wavefront6targetE0EEEvSK_, .Lfunc_end1442-_ZN7rocprim17ROCPRIM_400000_NS6detail17trampoline_kernelINS0_14default_configENS1_36segmented_radix_sort_config_selectorIflEEZNS1_25segmented_radix_sort_implIS3_Lb0EPKfPfPKlPlN2at6native12_GLOBAL__N_18offset_tEEE10hipError_tPvRmT1_PNSt15iterator_traitsISK_E10value_typeET2_T3_PNSL_ISQ_E10value_typeET4_jRbjT5_SW_jjP12ihipStream_tbEUlT_E0_NS1_11comp_targetILNS1_3genE2ELNS1_11target_archE906ELNS1_3gpuE6ELNS1_3repE0EEENS1_60segmented_radix_sort_warp_sort_medium_config_static_selectorELNS0_4arch9wavefront6targetE0EEEvSK_
                                        ; -- End function
	.set _ZN7rocprim17ROCPRIM_400000_NS6detail17trampoline_kernelINS0_14default_configENS1_36segmented_radix_sort_config_selectorIflEEZNS1_25segmented_radix_sort_implIS3_Lb0EPKfPfPKlPlN2at6native12_GLOBAL__N_18offset_tEEE10hipError_tPvRmT1_PNSt15iterator_traitsISK_E10value_typeET2_T3_PNSL_ISQ_E10value_typeET4_jRbjT5_SW_jjP12ihipStream_tbEUlT_E0_NS1_11comp_targetILNS1_3genE2ELNS1_11target_archE906ELNS1_3gpuE6ELNS1_3repE0EEENS1_60segmented_radix_sort_warp_sort_medium_config_static_selectorELNS0_4arch9wavefront6targetE0EEEvSK_.num_vgpr, 0
	.set _ZN7rocprim17ROCPRIM_400000_NS6detail17trampoline_kernelINS0_14default_configENS1_36segmented_radix_sort_config_selectorIflEEZNS1_25segmented_radix_sort_implIS3_Lb0EPKfPfPKlPlN2at6native12_GLOBAL__N_18offset_tEEE10hipError_tPvRmT1_PNSt15iterator_traitsISK_E10value_typeET2_T3_PNSL_ISQ_E10value_typeET4_jRbjT5_SW_jjP12ihipStream_tbEUlT_E0_NS1_11comp_targetILNS1_3genE2ELNS1_11target_archE906ELNS1_3gpuE6ELNS1_3repE0EEENS1_60segmented_radix_sort_warp_sort_medium_config_static_selectorELNS0_4arch9wavefront6targetE0EEEvSK_.num_agpr, 0
	.set _ZN7rocprim17ROCPRIM_400000_NS6detail17trampoline_kernelINS0_14default_configENS1_36segmented_radix_sort_config_selectorIflEEZNS1_25segmented_radix_sort_implIS3_Lb0EPKfPfPKlPlN2at6native12_GLOBAL__N_18offset_tEEE10hipError_tPvRmT1_PNSt15iterator_traitsISK_E10value_typeET2_T3_PNSL_ISQ_E10value_typeET4_jRbjT5_SW_jjP12ihipStream_tbEUlT_E0_NS1_11comp_targetILNS1_3genE2ELNS1_11target_archE906ELNS1_3gpuE6ELNS1_3repE0EEENS1_60segmented_radix_sort_warp_sort_medium_config_static_selectorELNS0_4arch9wavefront6targetE0EEEvSK_.numbered_sgpr, 0
	.set _ZN7rocprim17ROCPRIM_400000_NS6detail17trampoline_kernelINS0_14default_configENS1_36segmented_radix_sort_config_selectorIflEEZNS1_25segmented_radix_sort_implIS3_Lb0EPKfPfPKlPlN2at6native12_GLOBAL__N_18offset_tEEE10hipError_tPvRmT1_PNSt15iterator_traitsISK_E10value_typeET2_T3_PNSL_ISQ_E10value_typeET4_jRbjT5_SW_jjP12ihipStream_tbEUlT_E0_NS1_11comp_targetILNS1_3genE2ELNS1_11target_archE906ELNS1_3gpuE6ELNS1_3repE0EEENS1_60segmented_radix_sort_warp_sort_medium_config_static_selectorELNS0_4arch9wavefront6targetE0EEEvSK_.num_named_barrier, 0
	.set _ZN7rocprim17ROCPRIM_400000_NS6detail17trampoline_kernelINS0_14default_configENS1_36segmented_radix_sort_config_selectorIflEEZNS1_25segmented_radix_sort_implIS3_Lb0EPKfPfPKlPlN2at6native12_GLOBAL__N_18offset_tEEE10hipError_tPvRmT1_PNSt15iterator_traitsISK_E10value_typeET2_T3_PNSL_ISQ_E10value_typeET4_jRbjT5_SW_jjP12ihipStream_tbEUlT_E0_NS1_11comp_targetILNS1_3genE2ELNS1_11target_archE906ELNS1_3gpuE6ELNS1_3repE0EEENS1_60segmented_radix_sort_warp_sort_medium_config_static_selectorELNS0_4arch9wavefront6targetE0EEEvSK_.private_seg_size, 0
	.set _ZN7rocprim17ROCPRIM_400000_NS6detail17trampoline_kernelINS0_14default_configENS1_36segmented_radix_sort_config_selectorIflEEZNS1_25segmented_radix_sort_implIS3_Lb0EPKfPfPKlPlN2at6native12_GLOBAL__N_18offset_tEEE10hipError_tPvRmT1_PNSt15iterator_traitsISK_E10value_typeET2_T3_PNSL_ISQ_E10value_typeET4_jRbjT5_SW_jjP12ihipStream_tbEUlT_E0_NS1_11comp_targetILNS1_3genE2ELNS1_11target_archE906ELNS1_3gpuE6ELNS1_3repE0EEENS1_60segmented_radix_sort_warp_sort_medium_config_static_selectorELNS0_4arch9wavefront6targetE0EEEvSK_.uses_vcc, 0
	.set _ZN7rocprim17ROCPRIM_400000_NS6detail17trampoline_kernelINS0_14default_configENS1_36segmented_radix_sort_config_selectorIflEEZNS1_25segmented_radix_sort_implIS3_Lb0EPKfPfPKlPlN2at6native12_GLOBAL__N_18offset_tEEE10hipError_tPvRmT1_PNSt15iterator_traitsISK_E10value_typeET2_T3_PNSL_ISQ_E10value_typeET4_jRbjT5_SW_jjP12ihipStream_tbEUlT_E0_NS1_11comp_targetILNS1_3genE2ELNS1_11target_archE906ELNS1_3gpuE6ELNS1_3repE0EEENS1_60segmented_radix_sort_warp_sort_medium_config_static_selectorELNS0_4arch9wavefront6targetE0EEEvSK_.uses_flat_scratch, 0
	.set _ZN7rocprim17ROCPRIM_400000_NS6detail17trampoline_kernelINS0_14default_configENS1_36segmented_radix_sort_config_selectorIflEEZNS1_25segmented_radix_sort_implIS3_Lb0EPKfPfPKlPlN2at6native12_GLOBAL__N_18offset_tEEE10hipError_tPvRmT1_PNSt15iterator_traitsISK_E10value_typeET2_T3_PNSL_ISQ_E10value_typeET4_jRbjT5_SW_jjP12ihipStream_tbEUlT_E0_NS1_11comp_targetILNS1_3genE2ELNS1_11target_archE906ELNS1_3gpuE6ELNS1_3repE0EEENS1_60segmented_radix_sort_warp_sort_medium_config_static_selectorELNS0_4arch9wavefront6targetE0EEEvSK_.has_dyn_sized_stack, 0
	.set _ZN7rocprim17ROCPRIM_400000_NS6detail17trampoline_kernelINS0_14default_configENS1_36segmented_radix_sort_config_selectorIflEEZNS1_25segmented_radix_sort_implIS3_Lb0EPKfPfPKlPlN2at6native12_GLOBAL__N_18offset_tEEE10hipError_tPvRmT1_PNSt15iterator_traitsISK_E10value_typeET2_T3_PNSL_ISQ_E10value_typeET4_jRbjT5_SW_jjP12ihipStream_tbEUlT_E0_NS1_11comp_targetILNS1_3genE2ELNS1_11target_archE906ELNS1_3gpuE6ELNS1_3repE0EEENS1_60segmented_radix_sort_warp_sort_medium_config_static_selectorELNS0_4arch9wavefront6targetE0EEEvSK_.has_recursion, 0
	.set _ZN7rocprim17ROCPRIM_400000_NS6detail17trampoline_kernelINS0_14default_configENS1_36segmented_radix_sort_config_selectorIflEEZNS1_25segmented_radix_sort_implIS3_Lb0EPKfPfPKlPlN2at6native12_GLOBAL__N_18offset_tEEE10hipError_tPvRmT1_PNSt15iterator_traitsISK_E10value_typeET2_T3_PNSL_ISQ_E10value_typeET4_jRbjT5_SW_jjP12ihipStream_tbEUlT_E0_NS1_11comp_targetILNS1_3genE2ELNS1_11target_archE906ELNS1_3gpuE6ELNS1_3repE0EEENS1_60segmented_radix_sort_warp_sort_medium_config_static_selectorELNS0_4arch9wavefront6targetE0EEEvSK_.has_indirect_call, 0
	.section	.AMDGPU.csdata,"",@progbits
; Kernel info:
; codeLenInByte = 0
; TotalNumSgprs: 0
; NumVgprs: 0
; ScratchSize: 0
; MemoryBound: 0
; FloatMode: 240
; IeeeMode: 1
; LDSByteSize: 0 bytes/workgroup (compile time only)
; SGPRBlocks: 0
; VGPRBlocks: 0
; NumSGPRsForWavesPerEU: 1
; NumVGPRsForWavesPerEU: 1
; Occupancy: 16
; WaveLimiterHint : 0
; COMPUTE_PGM_RSRC2:SCRATCH_EN: 0
; COMPUTE_PGM_RSRC2:USER_SGPR: 2
; COMPUTE_PGM_RSRC2:TRAP_HANDLER: 0
; COMPUTE_PGM_RSRC2:TGID_X_EN: 1
; COMPUTE_PGM_RSRC2:TGID_Y_EN: 0
; COMPUTE_PGM_RSRC2:TGID_Z_EN: 0
; COMPUTE_PGM_RSRC2:TIDIG_COMP_CNT: 0
	.text
	.p2align	2                               ; -- Begin function _ZN7rocprim17ROCPRIM_400000_NS6detail26segmented_warp_sort_helperINS1_20WarpSortHelperConfigILj16ELj8ELj256EEEflLi256ELb0EvE4sortIPKfPfPKlPlEEvT_T0_T1_T2_jjjjRNS5_12storage_typeE
	.type	_ZN7rocprim17ROCPRIM_400000_NS6detail26segmented_warp_sort_helperINS1_20WarpSortHelperConfigILj16ELj8ELj256EEEflLi256ELb0EvE4sortIPKfPfPKlPlEEvT_T0_T1_T2_jjjjRNS5_12storage_typeE,@function
_ZN7rocprim17ROCPRIM_400000_NS6detail26segmented_warp_sort_helperINS1_20WarpSortHelperConfigILj16ELj8ELj256EEEflLi256ELb0EvE4sortIPKfPfPKlPlEEvT_T0_T1_T2_jjjjRNS5_12storage_typeE: ; @_ZN7rocprim17ROCPRIM_400000_NS6detail26segmented_warp_sort_helperINS1_20WarpSortHelperConfigILj16ELj8ELj256EEEflLi256ELb0EvE4sortIPKfPfPKlPlEEvT_T0_T1_T2_jjjjRNS5_12storage_typeE
; %bb.0:
	s_wait_loadcnt_dscnt 0x0
	s_wait_expcnt 0x0
	s_wait_samplecnt 0x0
	s_wait_bvhcnt 0x0
	s_wait_kmcnt 0x0
	v_mov_b32_e32 v10, v9
	v_mbcnt_lo_u32_b32 v9, -1, 0
	v_bfrev_b32_e32 v18, -2
	v_bfrev_b32_e32 v17, -2
	s_delay_alu instid0(VALU_DEP_3) | instskip(SKIP_1) | instid1(VALU_DEP_2)
	v_dual_mov_b32 v9, 0 :: v_dual_lshlrev_b32 v50, 3, v9
	v_sub_nc_u32_e32 v10, v10, v8
	v_and_b32_e32 v49, 0x78, v50
	s_delay_alu instid0(VALU_DEP_3) | instskip(NEXT) | instid1(VALU_DEP_2)
	v_lshlrev_b64_e32 v[11:12], 2, v[8:9]
	v_lshlrev_b32_e32 v48, 2, v49
	s_delay_alu instid0(VALU_DEP_2) | instskip(SKIP_1) | instid1(VALU_DEP_3)
	v_add_co_u32 v0, vcc_lo, v0, v11
	s_wait_alu 0xfffd
	v_add_co_ci_u32_e64 v1, null, v1, v12, vcc_lo
	s_delay_alu instid0(VALU_DEP_2) | instskip(SKIP_1) | instid1(VALU_DEP_2)
	v_add_co_u32 v0, vcc_lo, v0, v48
	s_wait_alu 0xfffd
	v_add_co_ci_u32_e64 v1, null, 0, v1, vcc_lo
	v_cmp_lt_u32_e32 vcc_lo, v49, v10
	s_and_saveexec_b32 s0, vcc_lo
	s_cbranch_execz .LBB1443_2
; %bb.1:
	flat_load_b32 v17, v[0:1]
.LBB1443_2:
	s_wait_alu 0xfffe
	s_or_b32 exec_lo, exec_lo, s0
	v_or_b32_e32 v13, 1, v49
	s_delay_alu instid0(VALU_DEP_1)
	v_cmp_lt_u32_e64 s0, v13, v10
	s_and_saveexec_b32 s1, s0
	s_cbranch_execz .LBB1443_4
; %bb.3:
	flat_load_b32 v18, v[0:1] offset:4
.LBB1443_4:
	s_wait_alu 0xfffe
	s_or_b32 exec_lo, exec_lo, s1
	v_or_b32_e32 v13, 2, v49
	v_bfrev_b32_e32 v30, -2
	v_bfrev_b32_e32 v29, -2
	s_delay_alu instid0(VALU_DEP_3)
	v_cmp_lt_u32_e64 s1, v13, v10
	s_and_saveexec_b32 s2, s1
	s_cbranch_execz .LBB1443_6
; %bb.5:
	flat_load_b32 v29, v[0:1] offset:8
.LBB1443_6:
	s_wait_alu 0xfffe
	s_or_b32 exec_lo, exec_lo, s2
	v_or_b32_e32 v13, 3, v49
	s_delay_alu instid0(VALU_DEP_1)
	v_cmp_lt_u32_e64 s2, v13, v10
	s_and_saveexec_b32 s3, s2
	s_cbranch_execz .LBB1443_8
; %bb.7:
	flat_load_b32 v30, v[0:1] offset:12
.LBB1443_8:
	s_wait_alu 0xfffe
	s_or_b32 exec_lo, exec_lo, s3
	v_or_b32_e32 v13, 4, v49
	v_bfrev_b32_e32 v28, -2
	v_bfrev_b32_e32 v27, -2
	s_delay_alu instid0(VALU_DEP_3)
	v_cmp_lt_u32_e64 s3, v13, v10
	s_and_saveexec_b32 s4, s3
	s_cbranch_execz .LBB1443_10
; %bb.9:
	flat_load_b32 v27, v[0:1] offset:16
.LBB1443_10:
	;; [unrolled: 22-line block ×3, first 2 shown]
	s_wait_alu 0xfffe
	s_or_b32 exec_lo, exec_lo, s6
	v_or_b32_e32 v13, 7, v49
	s_delay_alu instid0(VALU_DEP_1)
	v_cmp_lt_u32_e64 s6, v13, v10
	s_and_saveexec_b32 s7, s6
	s_cbranch_execz .LBB1443_16
; %bb.15:
	flat_load_b32 v20, v[0:1] offset:28
.LBB1443_16:
	s_wait_alu 0xfffe
	s_or_b32 exec_lo, exec_lo, s7
	v_lshlrev_b64_e32 v[0:1], 3, v[8:9]
	v_lshlrev_b32_e32 v10, 3, v49
	; wave barrier
	s_delay_alu instid0(VALU_DEP_2) | instskip(SKIP_1) | instid1(VALU_DEP_3)
	v_add_co_u32 v4, s7, v4, v0
	s_wait_alu 0xf1ff
	v_add_co_ci_u32_e64 v5, null, v5, v1, s7
	s_delay_alu instid0(VALU_DEP_2) | instskip(SKIP_1) | instid1(VALU_DEP_2)
	v_add_co_u32 v34, s7, v4, v10
	s_wait_alu 0xf1ff
	v_add_co_ci_u32_e64 v35, null, 0, v5, s7
                                        ; implicit-def: $vgpr4_vgpr5
	s_and_saveexec_b32 s7, vcc_lo
	s_cbranch_execnz .LBB1443_261
; %bb.17:
	s_wait_alu 0xfffe
	s_or_b32 exec_lo, exec_lo, s7
	s_and_saveexec_b32 s7, s0
                                        ; implicit-def: $vgpr8_vgpr9
	s_cbranch_execnz .LBB1443_262
.LBB1443_18:
	s_wait_alu 0xfffe
	s_or_b32 exec_lo, exec_lo, s7
                                        ; implicit-def: $vgpr13_vgpr14
	s_and_saveexec_b32 s7, s1
	s_cbranch_execnz .LBB1443_263
.LBB1443_19:
	s_wait_alu 0xfffe
	s_or_b32 exec_lo, exec_lo, s7
	s_and_saveexec_b32 s7, s2
                                        ; implicit-def: $vgpr15_vgpr16
	s_cbranch_execnz .LBB1443_264
.LBB1443_20:
	s_wait_alu 0xfffe
	s_or_b32 exec_lo, exec_lo, s7
                                        ; implicit-def: $vgpr21_vgpr22
	s_and_saveexec_b32 s7, s3
	s_cbranch_execnz .LBB1443_265
.LBB1443_21:
	s_wait_alu 0xfffe
	s_or_b32 exec_lo, exec_lo, s7
	s_and_saveexec_b32 s7, s4
                                        ; implicit-def: $vgpr25_vgpr26
	s_cbranch_execnz .LBB1443_266
.LBB1443_22:
	s_wait_alu 0xfffe
	s_or_b32 exec_lo, exec_lo, s7
                                        ; implicit-def: $vgpr23_vgpr24
	s_and_saveexec_b32 s7, s5
	s_cbranch_execnz .LBB1443_267
.LBB1443_23:
	s_wait_alu 0xfffe
	s_or_b32 exec_lo, exec_lo, s7
	s_and_saveexec_b32 s7, s6
                                        ; implicit-def: $vgpr32_vgpr33
	s_cbranch_execz .LBB1443_25
.LBB1443_24:
	flat_load_b64 v[32:33], v[34:35] offset:56
.LBB1443_25:
	s_wait_alu 0xfffe
	s_or_b32 exec_lo, exec_lo, s7
	; wave barrier
	s_load_b64 s[10:11], s[8:9], 0x0
	s_and_b32 s7, ttmp7, 0xffff
	s_mov_b32 s13, 0
	v_bfe_u32 v34, v31, 10, 10
	v_bfe_u32 v35, v31, 20, 10
	v_and_b32_e32 v31, 0x3ff, v31
	s_wait_kmcnt 0x0
	s_wait_alu 0xfffe
	s_cmp_lt_u32 s7, s11
	s_cselect_b32 s12, 14, 20
	s_cmp_lt_u32 ttmp9, s10
	s_wait_alu 0xfffe
	s_add_nc_u64 s[14:15], s[8:9], s[12:13]
	s_cselect_b32 s12, 12, 18
	s_load_u16 s7, s[14:15], 0x0
	s_add_nc_u64 s[8:9], s[8:9], s[12:13]
	s_load_u16 s8, s[8:9], 0x0
	s_wait_kmcnt 0x0
	v_mad_u32_u24 v34, v35, s7, v34
	s_delay_alu instid0(VALU_DEP_1) | instskip(SKIP_1) | instid1(VALU_DEP_1)
	v_mul_lo_u32 v34, v34, s8
	s_mov_b32 s8, exec_lo
	v_add_lshl_u32 v51, v34, v31, 3
	s_delay_alu instid0(VALU_DEP_1)
	v_cmpx_gt_u32_e32 0x800, v51
	s_cbranch_execz .LBB1443_83
; %bb.26:
	s_wait_loadcnt_dscnt 0x0
	v_dual_add_f32 v31, 0, v17 :: v_dual_add_f32 v34, 0, v18
	s_delay_alu instid0(VALU_DEP_1) | instskip(NEXT) | instid1(VALU_DEP_2)
	v_ashrrev_i32_e32 v35, 31, v31
	v_ashrrev_i32_e32 v36, 31, v34
	s_delay_alu instid0(VALU_DEP_2) | instskip(NEXT) | instid1(VALU_DEP_2)
	v_or_b32_e32 v35, 0x80000000, v35
	v_or_b32_e32 v36, 0x80000000, v36
	s_delay_alu instid0(VALU_DEP_2) | instskip(NEXT) | instid1(VALU_DEP_2)
	v_xor_b32_e32 v35, v35, v31
	v_xor_b32_e32 v34, v36, v34
	v_mov_b32_e32 v31, v18
	s_delay_alu instid0(VALU_DEP_2)
	v_cmp_gt_u32_e64 s7, v35, v34
	v_dual_mov_b32 v35, v9 :: v_dual_mov_b32 v34, v8
	s_and_saveexec_b32 s9, s7
; %bb.27:
	v_mov_b32_e32 v35, v5
	v_dual_mov_b32 v31, v17 :: v_dual_mov_b32 v34, v4
	v_dual_mov_b32 v17, v18 :: v_dual_mov_b32 v4, v8
	v_mov_b32_e32 v5, v9
; %bb.28:
	s_wait_alu 0xfffe
	s_or_b32 exec_lo, exec_lo, s9
	v_dual_add_f32 v8, 0, v29 :: v_dual_add_f32 v9, 0, v30
	s_mov_b32 s9, exec_lo
	s_delay_alu instid0(VALU_DEP_1) | instskip(NEXT) | instid1(VALU_DEP_2)
	v_ashrrev_i32_e32 v18, 31, v8
	v_ashrrev_i32_e32 v36, 31, v9
	s_delay_alu instid0(VALU_DEP_2) | instskip(NEXT) | instid1(VALU_DEP_2)
	v_or_b32_e32 v18, 0x80000000, v18
	v_or_b32_e32 v36, 0x80000000, v36
	s_delay_alu instid0(VALU_DEP_2) | instskip(NEXT) | instid1(VALU_DEP_2)
	v_xor_b32_e32 v8, v18, v8
	v_xor_b32_e32 v9, v36, v9
	v_dual_mov_b32 v18, v30 :: v_dual_mov_b32 v37, v16
	v_mov_b32_e32 v36, v15
	s_delay_alu instid0(VALU_DEP_3)
	v_cmpx_gt_u32_e64 v8, v9
; %bb.29:
	v_dual_mov_b32 v18, v29 :: v_dual_mov_b32 v29, v30
	v_dual_mov_b32 v37, v14 :: v_dual_mov_b32 v36, v13
	;; [unrolled: 1-line block ×3, first 2 shown]
; %bb.30:
	s_wait_alu 0xfffe
	s_or_b32 exec_lo, exec_lo, s9
	v_dual_add_f32 v8, 0, v27 :: v_dual_add_f32 v9, 0, v28
	v_mov_b32_e32 v53, v27
	s_mov_b32 s9, exec_lo
	s_delay_alu instid0(VALU_DEP_2) | instskip(NEXT) | instid1(VALU_DEP_3)
	v_ashrrev_i32_e32 v15, 31, v8
	v_ashrrev_i32_e32 v16, 31, v9
	s_delay_alu instid0(VALU_DEP_2) | instskip(NEXT) | instid1(VALU_DEP_2)
	v_or_b32_e32 v15, 0x80000000, v15
	v_or_b32_e32 v16, 0x80000000, v16
	s_delay_alu instid0(VALU_DEP_2) | instskip(NEXT) | instid1(VALU_DEP_2)
	v_xor_b32_e32 v8, v15, v8
	v_xor_b32_e32 v9, v16, v9
	v_dual_mov_b32 v15, v25 :: v_dual_mov_b32 v16, v26
	s_delay_alu instid0(VALU_DEP_2)
	v_cmpx_gt_u32_e64 v8, v9
; %bb.31:
	v_dual_mov_b32 v15, v21 :: v_dual_mov_b32 v16, v22
	v_dual_mov_b32 v21, v25 :: v_dual_mov_b32 v22, v26
	;; [unrolled: 1-line block ×3, first 2 shown]
; %bb.32:
	s_wait_alu 0xfffe
	s_or_b32 exec_lo, exec_lo, s9
	v_dual_add_f32 v8, 0, v19 :: v_dual_add_f32 v9, 0, v20
	v_mov_b32_e32 v39, v19
	s_mov_b32 s9, exec_lo
	s_delay_alu instid0(VALU_DEP_2) | instskip(NEXT) | instid1(VALU_DEP_3)
	v_ashrrev_i32_e32 v25, 31, v8
	v_ashrrev_i32_e32 v26, 31, v9
	s_delay_alu instid0(VALU_DEP_2) | instskip(NEXT) | instid1(VALU_DEP_2)
	v_or_b32_e32 v25, 0x80000000, v25
	v_or_b32_e32 v26, 0x80000000, v26
	s_delay_alu instid0(VALU_DEP_2) | instskip(NEXT) | instid1(VALU_DEP_2)
	v_xor_b32_e32 v25, v25, v8
	v_xor_b32_e32 v26, v26, v9
	v_dual_mov_b32 v8, v32 :: v_dual_mov_b32 v9, v33
	s_delay_alu instid0(VALU_DEP_2)
	v_cmpx_gt_u32_e64 v25, v26
; %bb.33:
	v_dual_mov_b32 v8, v23 :: v_dual_mov_b32 v9, v24
	v_dual_mov_b32 v23, v32 :: v_dual_mov_b32 v24, v33
	;; [unrolled: 1-line block ×3, first 2 shown]
; %bb.34:
	s_wait_alu 0xfffe
	s_or_b32 exec_lo, exec_lo, s9
	v_add_f32_e32 v19, 0, v31
	v_add_f32_e32 v25, 0, v29
	v_mov_b32_e32 v33, v29
	s_delay_alu instid0(VALU_DEP_3) | instskip(NEXT) | instid1(VALU_DEP_3)
	v_ashrrev_i32_e32 v26, 31, v19
	v_ashrrev_i32_e32 v27, 31, v25
	s_delay_alu instid0(VALU_DEP_2) | instskip(NEXT) | instid1(VALU_DEP_2)
	v_or_b32_e32 v26, 0x80000000, v26
	v_or_b32_e32 v27, 0x80000000, v27
	s_delay_alu instid0(VALU_DEP_2) | instskip(NEXT) | instid1(VALU_DEP_2)
	v_xor_b32_e32 v19, v26, v19
	v_xor_b32_e32 v25, v27, v25
	s_delay_alu instid0(VALU_DEP_1)
	v_cmp_gt_u32_e64 s7, v19, v25
	v_dual_mov_b32 v26, v14 :: v_dual_mov_b32 v25, v13
	s_and_saveexec_b32 s9, s7
	s_wait_alu 0xfffe
	s_xor_b32 s7, exec_lo, s9
; %bb.35:
	v_mov_b32_e32 v25, v34
	v_dual_mov_b32 v33, v31 :: v_dual_mov_b32 v26, v35
	v_mov_b32_e32 v35, v14
	v_dual_mov_b32 v31, v29 :: v_dual_mov_b32 v34, v13
; %bb.36:
	s_wait_alu 0xfffe
	s_or_b32 exec_lo, exec_lo, s7
	v_dual_add_f32 v13, 0, v18 :: v_dual_add_f32 v14, 0, v53
	s_mov_b32 s9, exec_lo
	v_dual_mov_b32 v30, v22 :: v_dual_mov_b32 v29, v21
	s_delay_alu instid0(VALU_DEP_2) | instskip(NEXT) | instid1(VALU_DEP_3)
	v_ashrrev_i32_e32 v19, 31, v13
	v_ashrrev_i32_e32 v27, 31, v14
	s_delay_alu instid0(VALU_DEP_2) | instskip(NEXT) | instid1(VALU_DEP_2)
	v_or_b32_e32 v19, 0x80000000, v19
	v_or_b32_e32 v27, 0x80000000, v27
	s_delay_alu instid0(VALU_DEP_2) | instskip(SKIP_1) | instid1(VALU_DEP_3)
	v_xor_b32_e32 v19, v19, v13
	v_mov_b32_e32 v13, v18
	v_xor_b32_e32 v14, v27, v14
	s_delay_alu instid0(VALU_DEP_1)
	v_cmpx_gt_u32_e64 v19, v14
; %bb.37:
	v_mov_b32_e32 v29, v36
	v_dual_mov_b32 v13, v53 :: v_dual_mov_b32 v30, v37
	v_dual_mov_b32 v37, v22 :: v_dual_mov_b32 v36, v21
	v_mov_b32_e32 v53, v18
; %bb.38:
	s_wait_alu 0xfffe
	s_or_b32 exec_lo, exec_lo, s9
	v_add_f32_e32 v14, 0, v28
	v_add_f32_e32 v18, 0, v39
	v_mov_b32_e32 v52, v28
	s_mov_b32 s9, exec_lo
	s_delay_alu instid0(VALU_DEP_3) | instskip(NEXT) | instid1(VALU_DEP_3)
	v_ashrrev_i32_e32 v19, 31, v14
	v_ashrrev_i32_e32 v21, 31, v18
	s_delay_alu instid0(VALU_DEP_2) | instskip(NEXT) | instid1(VALU_DEP_2)
	v_or_b32_e32 v19, 0x80000000, v19
	v_or_b32_e32 v21, 0x80000000, v21
	s_delay_alu instid0(VALU_DEP_2) | instskip(NEXT) | instid1(VALU_DEP_2)
	v_xor_b32_e32 v14, v19, v14
	v_xor_b32_e32 v21, v21, v18
	v_dual_mov_b32 v18, v23 :: v_dual_mov_b32 v19, v24
	s_delay_alu instid0(VALU_DEP_2)
	v_cmpx_gt_u32_e64 v14, v21
; %bb.39:
	v_dual_mov_b32 v19, v16 :: v_dual_mov_b32 v18, v15
	v_dual_mov_b32 v15, v23 :: v_dual_mov_b32 v16, v24
	;; [unrolled: 1-line block ×3, first 2 shown]
; %bb.40:
	s_wait_alu 0xfffe
	s_or_b32 exec_lo, exec_lo, s9
	v_dual_add_f32 v14, 0, v17 :: v_dual_add_f32 v21, 0, v31
	v_mov_b32_e32 v38, v31
	s_mov_b32 s9, exec_lo
	s_delay_alu instid0(VALU_DEP_2) | instskip(NEXT) | instid1(VALU_DEP_3)
	v_ashrrev_i32_e32 v22, 31, v14
	v_ashrrev_i32_e32 v23, 31, v21
	s_delay_alu instid0(VALU_DEP_2) | instskip(NEXT) | instid1(VALU_DEP_2)
	v_or_b32_e32 v22, 0x80000000, v22
	v_or_b32_e32 v23, 0x80000000, v23
	s_delay_alu instid0(VALU_DEP_2) | instskip(NEXT) | instid1(VALU_DEP_2)
	v_xor_b32_e32 v14, v22, v14
	v_xor_b32_e32 v21, v23, v21
	v_dual_mov_b32 v23, v34 :: v_dual_mov_b32 v24, v35
	s_delay_alu instid0(VALU_DEP_2)
	v_cmpx_gt_u32_e64 v14, v21
; %bb.41:
	v_dual_mov_b32 v38, v17 :: v_dual_mov_b32 v17, v31
	v_dual_mov_b32 v24, v5 :: v_dual_mov_b32 v23, v4
	;; [unrolled: 1-line block ×3, first 2 shown]
; %bb.42:
	s_wait_alu 0xfffe
	s_or_b32 exec_lo, exec_lo, s9
	v_add_f32_e32 v21, 0, v13
	v_dual_add_f32 v14, 0, v33 :: v_dual_mov_b32 v55, v13
	s_mov_b32 s9, exec_lo
	s_delay_alu instid0(VALU_DEP_2) | instskip(NEXT) | instid1(VALU_DEP_2)
	v_ashrrev_i32_e32 v27, 31, v21
	v_ashrrev_i32_e32 v22, 31, v14
	s_delay_alu instid0(VALU_DEP_2) | instskip(NEXT) | instid1(VALU_DEP_2)
	v_or_b32_e32 v27, 0x80000000, v27
	v_or_b32_e32 v22, 0x80000000, v22
	s_delay_alu instid0(VALU_DEP_2) | instskip(SKIP_1) | instid1(VALU_DEP_3)
	v_xor_b32_e32 v21, v27, v21
	v_mov_b32_e32 v27, v36
	v_xor_b32_e32 v14, v22, v14
	v_mov_b32_e32 v28, v37
	s_delay_alu instid0(VALU_DEP_2)
	v_cmpx_gt_u32_e64 v14, v21
; %bb.43:
	v_dual_mov_b32 v55, v33 :: v_dual_mov_b32 v28, v26
	v_mov_b32_e32 v27, v25
	v_mov_b32_e32 v25, v36
	v_dual_mov_b32 v33, v13 :: v_dual_mov_b32 v26, v37
; %bb.44:
	s_wait_alu 0xfffe
	s_or_b32 exec_lo, exec_lo, s9
	v_dual_add_f32 v13, 0, v53 :: v_dual_add_f32 v14, 0, v52
	v_mov_b32_e32 v54, v53
	s_mov_b32 s9, exec_lo
	s_delay_alu instid0(VALU_DEP_2) | instskip(NEXT) | instid1(VALU_DEP_3)
	v_ashrrev_i32_e32 v21, 31, v13
	v_ashrrev_i32_e32 v22, 31, v14
	s_delay_alu instid0(VALU_DEP_2) | instskip(NEXT) | instid1(VALU_DEP_2)
	v_or_b32_e32 v21, 0x80000000, v21
	v_or_b32_e32 v22, 0x80000000, v22
	s_delay_alu instid0(VALU_DEP_2) | instskip(NEXT) | instid1(VALU_DEP_2)
	v_xor_b32_e32 v13, v21, v13
	v_xor_b32_e32 v14, v22, v14
	v_dual_mov_b32 v22, v16 :: v_dual_mov_b32 v21, v15
	s_delay_alu instid0(VALU_DEP_2)
	v_cmpx_gt_u32_e64 v13, v14
; %bb.45:
	v_dual_mov_b32 v21, v29 :: v_dual_mov_b32 v22, v30
	v_dual_mov_b32 v30, v16 :: v_dual_mov_b32 v29, v15
	v_mov_b32_e32 v54, v52
	v_mov_b32_e32 v52, v53
; %bb.46:
	s_wait_alu 0xfffe
	s_or_b32 exec_lo, exec_lo, s9
	v_dual_add_f32 v13, 0, v39 :: v_dual_add_f32 v14, 0, v20
	v_mov_b32_e32 v35, v39
	s_mov_b32 s9, exec_lo
	s_delay_alu instid0(VALU_DEP_2) | instskip(NEXT) | instid1(VALU_DEP_3)
	v_ashrrev_i32_e32 v15, 31, v13
	v_ashrrev_i32_e32 v16, 31, v14
	s_delay_alu instid0(VALU_DEP_2) | instskip(NEXT) | instid1(VALU_DEP_2)
	v_or_b32_e32 v15, 0x80000000, v15
	v_or_b32_e32 v16, 0x80000000, v16
	s_delay_alu instid0(VALU_DEP_2) | instskip(NEXT) | instid1(VALU_DEP_2)
	v_xor_b32_e32 v15, v15, v13
	v_xor_b32_e32 v16, v16, v14
	v_dual_mov_b32 v14, v9 :: v_dual_mov_b32 v13, v8
	s_delay_alu instid0(VALU_DEP_2)
	v_cmpx_gt_u32_e64 v15, v16
; %bb.47:
	v_dual_mov_b32 v13, v18 :: v_dual_mov_b32 v14, v19
	v_dual_mov_b32 v19, v9 :: v_dual_mov_b32 v18, v8
	;; [unrolled: 1-line block ×3, first 2 shown]
; %bb.48:
	s_wait_alu 0xfffe
	s_or_b32 exec_lo, exec_lo, s9
	v_dual_add_f32 v8, 0, v38 :: v_dual_add_f32 v9, 0, v33
	v_mov_b32_e32 v32, v26
	v_dual_mov_b32 v34, v33 :: v_dual_mov_b32 v31, v25
	s_delay_alu instid0(VALU_DEP_3) | instskip(NEXT) | instid1(VALU_DEP_4)
	v_ashrrev_i32_e32 v15, 31, v8
	v_ashrrev_i32_e32 v16, 31, v9
	s_mov_b32 s9, exec_lo
	s_delay_alu instid0(VALU_DEP_2) | instskip(NEXT) | instid1(VALU_DEP_2)
	v_or_b32_e32 v15, 0x80000000, v15
	v_or_b32_e32 v16, 0x80000000, v16
	s_delay_alu instid0(VALU_DEP_2) | instskip(NEXT) | instid1(VALU_DEP_2)
	v_xor_b32_e32 v8, v15, v8
	v_xor_b32_e32 v9, v16, v9
	s_delay_alu instid0(VALU_DEP_1)
	v_cmpx_gt_u32_e64 v8, v9
; %bb.49:
	v_mov_b32_e32 v32, v24
	v_dual_mov_b32 v34, v38 :: v_dual_mov_b32 v31, v23
	v_dual_mov_b32 v38, v33 :: v_dual_mov_b32 v23, v25
	v_mov_b32_e32 v24, v26
; %bb.50:
	s_wait_alu 0xfffe
	s_or_b32 exec_lo, exec_lo, s9
	v_dual_add_f32 v8, 0, v55 :: v_dual_add_f32 v9, 0, v54
	v_mov_b32_e32 v25, v55
	s_mov_b32 s9, exec_lo
	s_delay_alu instid0(VALU_DEP_2) | instskip(NEXT) | instid1(VALU_DEP_3)
	v_ashrrev_i32_e32 v15, 31, v8
	v_ashrrev_i32_e32 v16, 31, v9
	s_delay_alu instid0(VALU_DEP_2) | instskip(NEXT) | instid1(VALU_DEP_2)
	v_or_b32_e32 v15, 0x80000000, v15
	v_or_b32_e32 v16, 0x80000000, v16
	s_delay_alu instid0(VALU_DEP_2) | instskip(NEXT) | instid1(VALU_DEP_2)
	v_xor_b32_e32 v8, v15, v8
	v_xor_b32_e32 v9, v16, v9
	v_dual_mov_b32 v15, v29 :: v_dual_mov_b32 v16, v30
	s_delay_alu instid0(VALU_DEP_2)
	v_cmpx_gt_u32_e64 v8, v9
; %bb.51:
	v_mov_b32_e32 v15, v27
	v_dual_mov_b32 v25, v54 :: v_dual_mov_b32 v16, v28
	v_dual_mov_b32 v27, v29 :: v_dual_mov_b32 v54, v55
	v_mov_b32_e32 v28, v30
; %bb.52:
	s_wait_alu 0xfffe
	s_or_b32 exec_lo, exec_lo, s9
	v_dual_add_f32 v8, 0, v52 :: v_dual_add_f32 v9, 0, v35
	v_mov_b32_e32 v33, v52
	s_mov_b32 s9, exec_lo
	s_delay_alu instid0(VALU_DEP_2) | instskip(NEXT) | instid1(VALU_DEP_3)
	v_ashrrev_i32_e32 v26, 31, v8
	v_ashrrev_i32_e32 v29, 31, v9
	s_delay_alu instid0(VALU_DEP_2) | instskip(NEXT) | instid1(VALU_DEP_2)
	v_or_b32_e32 v26, 0x80000000, v26
	v_or_b32_e32 v29, 0x80000000, v29
	s_delay_alu instid0(VALU_DEP_2) | instskip(NEXT) | instid1(VALU_DEP_2)
	v_xor_b32_e32 v26, v26, v8
	v_xor_b32_e32 v29, v29, v9
	v_dual_mov_b32 v8, v18 :: v_dual_mov_b32 v9, v19
	s_delay_alu instid0(VALU_DEP_2)
	v_cmpx_gt_u32_e64 v26, v29
; %bb.53:
	v_dual_mov_b32 v8, v21 :: v_dual_mov_b32 v9, v22
	v_dual_mov_b32 v22, v19 :: v_dual_mov_b32 v21, v18
	v_mov_b32_e32 v33, v35
	v_mov_b32_e32 v35, v52
; %bb.54:
	s_wait_alu 0xfffe
	s_or_b32 exec_lo, exec_lo, s9
	v_dual_add_f32 v18, 0, v17 :: v_dual_add_f32 v19, 0, v38
	s_mov_b32 s9, exec_lo
	s_delay_alu instid0(VALU_DEP_1) | instskip(NEXT) | instid1(VALU_DEP_2)
	v_ashrrev_i32_e32 v26, 31, v18
	v_ashrrev_i32_e32 v29, 31, v19
	s_delay_alu instid0(VALU_DEP_2) | instskip(NEXT) | instid1(VALU_DEP_2)
	v_or_b32_e32 v26, 0x80000000, v26
	v_or_b32_e32 v29, 0x80000000, v29
	s_delay_alu instid0(VALU_DEP_2) | instskip(NEXT) | instid1(VALU_DEP_2)
	v_xor_b32_e32 v18, v26, v18
	v_xor_b32_e32 v26, v29, v19
	v_dual_mov_b32 v19, v38 :: v_dual_mov_b32 v30, v24
	v_mov_b32_e32 v29, v23
	s_delay_alu instid0(VALU_DEP_3)
	v_cmpx_gt_u32_e64 v18, v26
; %bb.55:
	v_dual_mov_b32 v19, v17 :: v_dual_mov_b32 v30, v5
	v_mov_b32_e32 v17, v38
	v_dual_mov_b32 v29, v4 :: v_dual_mov_b32 v4, v23
	v_mov_b32_e32 v5, v24
; %bb.56:
	s_wait_alu 0xfffe
	s_or_b32 exec_lo, exec_lo, s9
	v_dual_add_f32 v18, 0, v34 :: v_dual_add_f32 v23, 0, v25
	s_mov_b32 s9, exec_lo
	v_dual_mov_b32 v37, v28 :: v_dual_mov_b32 v36, v27
	s_delay_alu instid0(VALU_DEP_2) | instskip(NEXT) | instid1(VALU_DEP_3)
	v_ashrrev_i32_e32 v24, 31, v18
	v_ashrrev_i32_e32 v26, 31, v23
	s_delay_alu instid0(VALU_DEP_2) | instskip(NEXT) | instid1(VALU_DEP_2)
	v_or_b32_e32 v24, 0x80000000, v24
	v_or_b32_e32 v26, 0x80000000, v26
	s_delay_alu instid0(VALU_DEP_2) | instskip(SKIP_1) | instid1(VALU_DEP_3)
	v_xor_b32_e32 v24, v24, v18
	v_mov_b32_e32 v18, v25
	v_xor_b32_e32 v23, v26, v23
	s_delay_alu instid0(VALU_DEP_1)
	v_cmpx_gt_u32_e64 v24, v23
; %bb.57:
	v_dual_mov_b32 v18, v34 :: v_dual_mov_b32 v37, v32
	v_mov_b32_e32 v36, v31
	v_mov_b32_e32 v32, v28
	v_dual_mov_b32 v34, v25 :: v_dual_mov_b32 v31, v27
; %bb.58:
	s_wait_alu 0xfffe
	s_or_b32 exec_lo, exec_lo, s9
	v_dual_add_f32 v23, 0, v54 :: v_dual_add_f32 v24, 0, v33
	v_mov_b32_e32 v55, v54
	s_mov_b32 s9, exec_lo
	s_delay_alu instid0(VALU_DEP_2) | instskip(NEXT) | instid1(VALU_DEP_3)
	v_ashrrev_i32_e32 v25, 31, v23
	v_ashrrev_i32_e32 v26, 31, v24
	s_delay_alu instid0(VALU_DEP_2) | instskip(NEXT) | instid1(VALU_DEP_2)
	v_or_b32_e32 v25, 0x80000000, v25
	v_or_b32_e32 v26, 0x80000000, v26
	s_delay_alu instid0(VALU_DEP_2) | instskip(NEXT) | instid1(VALU_DEP_2)
	v_xor_b32_e32 v23, v25, v23
	v_xor_b32_e32 v24, v26, v24
	v_dual_mov_b32 v26, v22 :: v_dual_mov_b32 v25, v21
	s_delay_alu instid0(VALU_DEP_2)
	v_cmpx_gt_u32_e64 v23, v24
; %bb.59:
	v_dual_mov_b32 v26, v16 :: v_dual_mov_b32 v25, v15
	v_dual_mov_b32 v15, v21 :: v_dual_mov_b32 v16, v22
	v_mov_b32_e32 v55, v33
	v_mov_b32_e32 v33, v54
; %bb.60:
	s_wait_alu 0xfffe
	s_or_b32 exec_lo, exec_lo, s9
	v_dual_add_f32 v21, 0, v35 :: v_dual_add_f32 v22, 0, v20
	v_mov_b32_e32 v53, v35
	s_mov_b32 s9, exec_lo
	s_delay_alu instid0(VALU_DEP_2) | instskip(NEXT) | instid1(VALU_DEP_3)
	v_ashrrev_i32_e32 v23, 31, v21
	v_ashrrev_i32_e32 v24, 31, v22
	s_delay_alu instid0(VALU_DEP_2) | instskip(NEXT) | instid1(VALU_DEP_2)
	v_or_b32_e32 v23, 0x80000000, v23
	v_or_b32_e32 v24, 0x80000000, v24
	s_delay_alu instid0(VALU_DEP_2) | instskip(NEXT) | instid1(VALU_DEP_2)
	v_xor_b32_e32 v23, v23, v21
	v_xor_b32_e32 v24, v24, v22
	v_dual_mov_b32 v22, v14 :: v_dual_mov_b32 v21, v13
	s_delay_alu instid0(VALU_DEP_2)
	v_cmpx_gt_u32_e64 v23, v24
; %bb.61:
	v_dual_mov_b32 v22, v9 :: v_dual_mov_b32 v21, v8
	v_dual_mov_b32 v8, v13 :: v_dual_mov_b32 v9, v14
	;; [unrolled: 1-line block ×3, first 2 shown]
; %bb.62:
	s_wait_alu 0xfffe
	s_or_b32 exec_lo, exec_lo, s9
	v_dual_add_f32 v13, 0, v19 :: v_dual_add_f32 v14, 0, v34
	v_dual_mov_b32 v52, v34 :: v_dual_mov_b32 v39, v32
	v_mov_b32_e32 v38, v31
	s_delay_alu instid0(VALU_DEP_3) | instskip(NEXT) | instid1(VALU_DEP_4)
	v_ashrrev_i32_e32 v23, 31, v13
	v_ashrrev_i32_e32 v24, 31, v14
	s_mov_b32 s9, exec_lo
	s_delay_alu instid0(VALU_DEP_2) | instskip(NEXT) | instid1(VALU_DEP_2)
	v_or_b32_e32 v23, 0x80000000, v23
	v_or_b32_e32 v24, 0x80000000, v24
	s_delay_alu instid0(VALU_DEP_2) | instskip(NEXT) | instid1(VALU_DEP_2)
	v_xor_b32_e32 v13, v23, v13
	v_xor_b32_e32 v14, v24, v14
	s_delay_alu instid0(VALU_DEP_1)
	v_cmpx_gt_u32_e64 v13, v14
; %bb.63:
	v_dual_mov_b32 v52, v19 :: v_dual_mov_b32 v19, v34
	v_dual_mov_b32 v39, v30 :: v_dual_mov_b32 v38, v29
	;; [unrolled: 1-line block ×3, first 2 shown]
; %bb.64:
	s_wait_alu 0xfffe
	s_or_b32 exec_lo, exec_lo, s9
	v_dual_add_f32 v13, 0, v18 :: v_dual_add_f32 v14, 0, v55
	v_mov_b32_e32 v35, v16
	s_mov_b32 s9, exec_lo
	v_mov_b32_e32 v34, v15
	s_delay_alu instid0(VALU_DEP_3) | instskip(SKIP_1) | instid1(VALU_DEP_2)
	v_ashrrev_i32_e32 v23, 31, v13
	v_ashrrev_i32_e32 v24, 31, v14
	v_or_b32_e32 v23, 0x80000000, v23
	s_delay_alu instid0(VALU_DEP_2) | instskip(NEXT) | instid1(VALU_DEP_2)
	v_or_b32_e32 v24, 0x80000000, v24
	v_xor_b32_e32 v23, v23, v13
	s_delay_alu instid0(VALU_DEP_2) | instskip(SKIP_1) | instid1(VALU_DEP_2)
	v_xor_b32_e32 v14, v24, v14
	v_mov_b32_e32 v13, v18
	v_cmpx_gt_u32_e64 v23, v14
; %bb.65:
	v_dual_mov_b32 v13, v55 :: v_dual_mov_b32 v34, v36
	v_mov_b32_e32 v35, v37
	v_dual_mov_b32 v37, v16 :: v_dual_mov_b32 v36, v15
	v_mov_b32_e32 v55, v18
; %bb.66:
	s_wait_alu 0xfffe
	s_or_b32 exec_lo, exec_lo, s9
	v_add_f32_e32 v14, 0, v33
	v_dual_add_f32 v15, 0, v53 :: v_dual_mov_b32 v24, v9
	v_dual_mov_b32 v23, v8 :: v_dual_mov_b32 v28, v33
	s_delay_alu instid0(VALU_DEP_3) | instskip(NEXT) | instid1(VALU_DEP_3)
	v_ashrrev_i32_e32 v16, 31, v14
	v_ashrrev_i32_e32 v18, 31, v15
	s_mov_b32 s9, exec_lo
	s_delay_alu instid0(VALU_DEP_2) | instskip(NEXT) | instid1(VALU_DEP_2)
	v_or_b32_e32 v16, 0x80000000, v16
	v_or_b32_e32 v18, 0x80000000, v18
	s_delay_alu instid0(VALU_DEP_2) | instskip(NEXT) | instid1(VALU_DEP_2)
	v_xor_b32_e32 v14, v16, v14
	v_xor_b32_e32 v15, v18, v15
	s_delay_alu instid0(VALU_DEP_1)
	v_cmpx_gt_u32_e64 v14, v15
; %bb.67:
	v_dual_mov_b32 v23, v25 :: v_dual_mov_b32 v24, v26
	v_dual_mov_b32 v26, v9 :: v_dual_mov_b32 v25, v8
	;; [unrolled: 1-line block ×3, first 2 shown]
; %bb.68:
	s_wait_alu 0xfffe
	s_or_b32 exec_lo, exec_lo, s9
	v_dual_add_f32 v8, 0, v17 :: v_dual_add_f32 v9, 0, v19
	v_mov_b32_e32 v18, v19
	s_delay_alu instid0(VALU_DEP_2) | instskip(NEXT) | instid1(VALU_DEP_3)
	v_ashrrev_i32_e32 v14, 31, v8
	v_ashrrev_i32_e32 v15, 31, v9
	s_delay_alu instid0(VALU_DEP_2) | instskip(NEXT) | instid1(VALU_DEP_2)
	v_or_b32_e32 v14, 0x80000000, v14
	v_or_b32_e32 v15, 0x80000000, v15
	s_delay_alu instid0(VALU_DEP_2) | instskip(NEXT) | instid1(VALU_DEP_2)
	v_xor_b32_e32 v8, v14, v8
	v_xor_b32_e32 v9, v15, v9
	s_delay_alu instid0(VALU_DEP_1)
	v_cmp_gt_u32_e64 s7, v8, v9
	v_dual_mov_b32 v8, v29 :: v_dual_mov_b32 v9, v30
	s_and_saveexec_b32 s9, s7
; %bb.69:
	v_dual_mov_b32 v18, v17 :: v_dual_mov_b32 v17, v19
	v_dual_mov_b32 v9, v5 :: v_dual_mov_b32 v8, v4
	;; [unrolled: 1-line block ×3, first 2 shown]
; %bb.70:
	s_wait_alu 0xfffe
	s_or_b32 exec_lo, exec_lo, s9
	v_dual_add_f32 v14, 0, v52 :: v_dual_add_f32 v15, 0, v13
	s_delay_alu instid0(VALU_DEP_1) | instskip(NEXT) | instid1(VALU_DEP_2)
	v_ashrrev_i32_e32 v16, 31, v14
	v_ashrrev_i32_e32 v19, 31, v15
	s_delay_alu instid0(VALU_DEP_2) | instskip(NEXT) | instid1(VALU_DEP_2)
	v_or_b32_e32 v16, 0x80000000, v16
	v_or_b32_e32 v19, 0x80000000, v19
	s_delay_alu instid0(VALU_DEP_2) | instskip(NEXT) | instid1(VALU_DEP_2)
	v_xor_b32_e32 v14, v16, v14
	v_xor_b32_e32 v15, v19, v15
	v_mov_b32_e32 v19, v13
	s_delay_alu instid0(VALU_DEP_2)
	v_cmp_gt_u32_e64 s7, v14, v15
	v_dual_mov_b32 v15, v36 :: v_dual_mov_b32 v16, v37
	s_and_saveexec_b32 s9, s7
; %bb.71:
	v_dual_mov_b32 v19, v52 :: v_dual_mov_b32 v52, v13
	v_dual_mov_b32 v15, v38 :: v_dual_mov_b32 v16, v39
	;; [unrolled: 1-line block ×3, first 2 shown]
; %bb.72:
	s_wait_alu 0xfffe
	s_or_b32 exec_lo, exec_lo, s9
	v_dual_add_f32 v13, 0, v55 :: v_dual_add_f32 v14, 0, v28
	v_dual_mov_b32 v37, v26 :: v_dual_mov_b32 v36, v25
	s_mov_b32 s9, exec_lo
	s_delay_alu instid0(VALU_DEP_2) | instskip(NEXT) | instid1(VALU_DEP_3)
	v_ashrrev_i32_e32 v27, 31, v13
	v_ashrrev_i32_e32 v29, 31, v14
	s_delay_alu instid0(VALU_DEP_2) | instskip(NEXT) | instid1(VALU_DEP_2)
	v_or_b32_e32 v27, 0x80000000, v27
	v_or_b32_e32 v29, 0x80000000, v29
	s_delay_alu instid0(VALU_DEP_2) | instskip(NEXT) | instid1(VALU_DEP_2)
	v_xor_b32_e32 v13, v27, v13
	v_xor_b32_e32 v14, v29, v14
	v_mov_b32_e32 v27, v55
	s_delay_alu instid0(VALU_DEP_2)
	v_cmpx_gt_u32_e64 v13, v14
; %bb.73:
	v_dual_mov_b32 v37, v35 :: v_dual_mov_b32 v36, v34
	v_dual_mov_b32 v35, v26 :: v_dual_mov_b32 v34, v25
	;; [unrolled: 1-line block ×3, first 2 shown]
; %bb.74:
	s_wait_alu 0xfffe
	s_or_b32 exec_lo, exec_lo, s9
	v_dual_add_f32 v13, 0, v53 :: v_dual_add_f32 v14, 0, v20
	v_dual_mov_b32 v33, v22 :: v_dual_mov_b32 v32, v21
	v_mov_b32_e32 v31, v53
	s_delay_alu instid0(VALU_DEP_3) | instskip(NEXT) | instid1(VALU_DEP_4)
	v_ashrrev_i32_e32 v25, 31, v13
	v_ashrrev_i32_e32 v26, 31, v14
	s_mov_b32 s9, exec_lo
	s_delay_alu instid0(VALU_DEP_2) | instskip(NEXT) | instid1(VALU_DEP_2)
	v_or_b32_e32 v25, 0x80000000, v25
	v_or_b32_e32 v26, 0x80000000, v26
	s_delay_alu instid0(VALU_DEP_2) | instskip(NEXT) | instid1(VALU_DEP_2)
	v_xor_b32_e32 v13, v25, v13
	v_xor_b32_e32 v14, v26, v14
	s_delay_alu instid0(VALU_DEP_1)
	v_cmpx_gt_u32_e64 v13, v14
; %bb.75:
	v_dual_mov_b32 v33, v24 :: v_dual_mov_b32 v32, v23
	v_dual_mov_b32 v24, v22 :: v_dual_mov_b32 v23, v21
	;; [unrolled: 1-line block ×3, first 2 shown]
; %bb.76:
	s_wait_alu 0xfffe
	s_or_b32 exec_lo, exec_lo, s9
	v_dual_add_f32 v13, 0, v18 :: v_dual_add_f32 v14, 0, v52
	v_mov_b32_e32 v29, v52
	s_delay_alu instid0(VALU_DEP_2) | instskip(NEXT) | instid1(VALU_DEP_3)
	v_ashrrev_i32_e32 v21, 31, v13
	v_ashrrev_i32_e32 v22, 31, v14
	s_delay_alu instid0(VALU_DEP_2) | instskip(NEXT) | instid1(VALU_DEP_2)
	v_or_b32_e32 v21, 0x80000000, v21
	v_or_b32_e32 v22, 0x80000000, v22
	s_delay_alu instid0(VALU_DEP_2) | instskip(NEXT) | instid1(VALU_DEP_2)
	v_xor_b32_e32 v13, v21, v13
	v_xor_b32_e32 v14, v22, v14
	s_delay_alu instid0(VALU_DEP_1)
	v_cmp_gt_u32_e64 s7, v13, v14
	v_dual_mov_b32 v13, v38 :: v_dual_mov_b32 v14, v39
	s_and_saveexec_b32 s9, s7
; %bb.77:
	v_dual_mov_b32 v29, v18 :: v_dual_mov_b32 v18, v52
	v_dual_mov_b32 v14, v9 :: v_dual_mov_b32 v13, v8
	;; [unrolled: 1-line block ×3, first 2 shown]
; %bb.78:
	s_wait_alu 0xfffe
	s_or_b32 exec_lo, exec_lo, s9
	v_dual_add_f32 v21, 0, v19 :: v_dual_mov_b32 v30, v19
	v_add_f32_e32 v22, 0, v27
	s_delay_alu instid0(VALU_DEP_2) | instskip(NEXT) | instid1(VALU_DEP_2)
	v_ashrrev_i32_e32 v25, 31, v21
	v_ashrrev_i32_e32 v26, 31, v22
	s_delay_alu instid0(VALU_DEP_2) | instskip(NEXT) | instid1(VALU_DEP_2)
	v_or_b32_e32 v25, 0x80000000, v25
	v_or_b32_e32 v26, 0x80000000, v26
	s_delay_alu instid0(VALU_DEP_2) | instskip(NEXT) | instid1(VALU_DEP_2)
	v_xor_b32_e32 v21, v25, v21
	v_xor_b32_e32 v22, v26, v22
	s_delay_alu instid0(VALU_DEP_1)
	v_cmp_gt_u32_e64 s7, v21, v22
	v_dual_mov_b32 v21, v34 :: v_dual_mov_b32 v22, v35
	s_and_saveexec_b32 s9, s7
; %bb.79:
	v_mov_b32_e32 v22, v16
	v_dual_mov_b32 v30, v27 :: v_dual_mov_b32 v21, v15
	v_dual_mov_b32 v15, v34 :: v_dual_mov_b32 v16, v35
	v_mov_b32_e32 v27, v19
; %bb.80:
	s_wait_alu 0xfffe
	s_or_b32 exec_lo, exec_lo, s9
	v_add_f32_e32 v19, 0, v28
	v_add_f32_e32 v25, 0, v31
	s_delay_alu instid0(VALU_DEP_2) | instskip(NEXT) | instid1(VALU_DEP_2)
	v_ashrrev_i32_e32 v26, 31, v19
	v_ashrrev_i32_e32 v34, 31, v25
	s_delay_alu instid0(VALU_DEP_2) | instskip(NEXT) | instid1(VALU_DEP_2)
	v_or_b32_e32 v26, 0x80000000, v26
	v_or_b32_e32 v34, 0x80000000, v34
	s_delay_alu instid0(VALU_DEP_2) | instskip(NEXT) | instid1(VALU_DEP_2)
	v_xor_b32_e32 v26, v26, v19
	v_xor_b32_e32 v25, v34, v25
	v_mov_b32_e32 v19, v31
	s_delay_alu instid0(VALU_DEP_2)
	v_cmp_gt_u32_e64 s7, v26, v25
	v_dual_mov_b32 v25, v36 :: v_dual_mov_b32 v26, v37
	s_and_saveexec_b32 s9, s7
; %bb.81:
	v_dual_mov_b32 v19, v28 :: v_dual_mov_b32 v28, v31
	v_dual_mov_b32 v26, v24 :: v_dual_mov_b32 v25, v23
	;; [unrolled: 1-line block ×3, first 2 shown]
; %bb.82:
	s_wait_alu 0xfffe
	s_or_b32 exec_lo, exec_lo, s9
.LBB1443_83:
	s_wait_alu 0xfffe
	s_or_b32 exec_lo, exec_lo, s8
	v_and_b32_e32 v31, 0xffffff00, v51
	v_or_b32_e32 v35, 8, v50
	v_and_b32_e32 v37, 8, v50
	v_and_b32_e32 v64, 0xf0, v50
	s_mov_b32 s8, exec_lo
	v_sub_nc_u32_e64 v36, 0x800, v31 clamp
	v_lshlrev_b32_e32 v34, 2, v31
	s_delay_alu instid0(VALU_DEP_2) | instskip(NEXT) | instid1(VALU_DEP_2)
	v_min_u32_e32 v52, v36, v35
	v_add_nc_u32_e32 v31, v34, v34
	v_min_u32_e32 v65, v36, v37
	s_delay_alu instid0(VALU_DEP_3) | instskip(NEXT) | instid1(VALU_DEP_3)
	v_add_nc_u32_e32 v35, 8, v52
	v_lshl_add_u32 v51, v50, 3, v31
	v_sub_nc_u32_e32 v55, v52, v64
	s_delay_alu instid0(VALU_DEP_3) | instskip(SKIP_1) | instid1(VALU_DEP_4)
	v_min_u32_e32 v53, v36, v35
	v_lshl_or_b32 v35, v50, 2, v34
	v_add_nc_u32_e32 v37, 0x2000, v51
	v_add_nc_u32_e32 v38, 0x2010, v51
	;; [unrolled: 1-line block ×3, first 2 shown]
	v_sub_nc_u32_e32 v54, v53, v52
	v_min_u32_e32 v66, v65, v55
	v_add_nc_u32_e32 v51, 0x2030, v51
	v_lshl_or_b32 v55, v64, 2, v34
	s_wait_loadcnt_dscnt 0x0
	ds_store_2addr_b64 v37, v[4:5], v[8:9] offset1:1
	ds_store_2addr_b64 v38, v[13:14], v[15:16] offset1:1
	v_sub_nc_u32_e64 v54, v65, v54 clamp
	ds_store_2addr_b64 v35, v[17:18], v[29:30] offset1:1
	ds_store_2addr_b64 v35, v[27:28], v[19:20] offset0:2 offset1:3
	ds_store_2addr_b64 v39, v[21:22], v[25:26] offset1:1
	ds_store_2addr_b64 v51, v[23:24], v[32:33] offset1:1
	; wave barrier
	v_cmpx_lt_u32_e64 v54, v66
	s_cbranch_execz .LBB1443_87
; %bb.84:
	v_lshlrev_b32_e32 v67, 2, v52
	v_lshlrev_b32_e32 v68, 2, v65
	s_mov_b32 s9, 0
	s_delay_alu instid0(VALU_DEP_1)
	v_add3_u32 v67, v34, v67, v68
.LBB1443_85:                            ; =>This Inner Loop Header: Depth=1
	v_add_nc_u32_e32 v68, v66, v54
	s_delay_alu instid0(VALU_DEP_1) | instskip(NEXT) | instid1(VALU_DEP_1)
	v_lshrrev_b32_e32 v68, 1, v68
	v_not_b32_e32 v69, v68
	v_lshl_add_u32 v70, v68, 2, v55
	s_delay_alu instid0(VALU_DEP_2) | instskip(SKIP_4) | instid1(VALU_DEP_1)
	v_lshl_add_u32 v69, v69, 2, v67
	ds_load_b32 v70, v70
	ds_load_b32 v69, v69
	s_wait_dscnt 0x0
	v_dual_add_f32 v70, 0, v70 :: v_dual_add_f32 v69, 0, v69
	v_ashrrev_i32_e32 v71, 31, v70
	s_delay_alu instid0(VALU_DEP_2) | instskip(NEXT) | instid1(VALU_DEP_2)
	v_ashrrev_i32_e32 v80, 31, v69
	v_or_b32_e32 v71, 0x80000000, v71
	s_delay_alu instid0(VALU_DEP_2) | instskip(NEXT) | instid1(VALU_DEP_2)
	v_or_b32_e32 v80, 0x80000000, v80
	v_xor_b32_e32 v70, v71, v70
	s_delay_alu instid0(VALU_DEP_2) | instskip(SKIP_1) | instid1(VALU_DEP_2)
	v_xor_b32_e32 v69, v80, v69
	v_add_nc_u32_e32 v71, 1, v68
	v_cmp_gt_u32_e64 s7, v70, v69
	s_wait_alu 0xf1ff
	s_delay_alu instid0(VALU_DEP_1) | instskip(NEXT) | instid1(VALU_DEP_3)
	v_cndmask_b32_e64 v66, v66, v68, s7
	v_cndmask_b32_e64 v54, v71, v54, s7
	s_delay_alu instid0(VALU_DEP_1)
	v_cmp_ge_u32_e64 s7, v54, v66
	s_wait_alu 0xfffe
	s_or_b32 s9, s7, s9
	s_wait_alu 0xfffe
	s_and_not1_b32 exec_lo, exec_lo, s9
	s_cbranch_execnz .LBB1443_85
; %bb.86:
	s_or_b32 exec_lo, exec_lo, s9
.LBB1443_87:
	s_wait_alu 0xfffe
	s_or_b32 exec_lo, exec_lo, s8
	v_add_nc_u32_e32 v65, v52, v65
	v_add_nc_u32_e32 v64, v54, v64
	s_delay_alu instid0(VALU_DEP_2) | instskip(NEXT) | instid1(VALU_DEP_2)
	v_sub_nc_u32_e32 v65, v65, v54
	v_cmp_le_u32_e64 s7, v64, v52
	s_delay_alu instid0(VALU_DEP_2)
	v_cmp_le_u32_e64 s8, v65, v53
	s_or_b32 s7, s7, s8
	s_wait_alu 0xfffe
	s_and_saveexec_b32 s9, s7
	s_cbranch_execz .LBB1443_123
; %bb.88:
	v_cmp_ge_u32_e64 s7, v64, v52
	s_mov_b32 s10, exec_lo
                                        ; implicit-def: $vgpr17
	v_cmpx_lt_u32_e64 v64, v52
; %bb.89:
	v_lshl_add_u32 v4, v54, 2, v55
	ds_load_b32 v17, v4
; %bb.90:
	s_wait_alu 0xfffe
	s_or_b32 exec_lo, exec_lo, s10
	v_cmp_ge_u32_e64 s10, v65, v53
	s_mov_b32 s11, exec_lo
                                        ; implicit-def: $vgpr20
	v_cmpx_lt_u32_e64 v65, v53
; %bb.91:
	v_lshl_add_u32 v4, v65, 2, v34
	ds_load_b32 v20, v4
; %bb.92:
	s_wait_alu 0xfffe
	s_or_b32 exec_lo, exec_lo, s11
	s_nor_b32 s7, s7, s10
	s_wait_alu 0xfffe
	s_and_saveexec_b32 s8, s7
	s_cbranch_execz .LBB1443_94
; %bb.93:
	s_wait_dscnt 0x0
	v_dual_add_f32 v4, 0, v17 :: v_dual_add_f32 v5, 0, v20
	s_and_not1_b32 s10, s10, exec_lo
	s_delay_alu instid0(VALU_DEP_1) | instskip(NEXT) | instid1(VALU_DEP_2)
	v_ashrrev_i32_e32 v8, 31, v4
	v_ashrrev_i32_e32 v9, 31, v5
	s_delay_alu instid0(VALU_DEP_2) | instskip(NEXT) | instid1(VALU_DEP_2)
	v_or_b32_e32 v8, 0x80000000, v8
	v_or_b32_e32 v9, 0x80000000, v9
	s_delay_alu instid0(VALU_DEP_2) | instskip(NEXT) | instid1(VALU_DEP_2)
	v_xor_b32_e32 v4, v8, v4
	v_xor_b32_e32 v5, v9, v5
	s_delay_alu instid0(VALU_DEP_1)
	v_cmp_le_u32_e64 s7, v4, v5
	s_and_b32 s7, s7, exec_lo
	s_wait_alu 0xfffe
	s_or_b32 s10, s10, s7
.LBB1443_94:
	s_wait_alu 0xfffe
	s_or_b32 exec_lo, exec_lo, s8
	v_cndmask_b32_e64 v4, v65, v64, s10
	v_cndmask_b32_e64 v5, v53, v52, s10
	s_mov_b32 s11, -1
	s_mov_b32 s8, -1
	s_mov_b32 s12, exec_lo
	v_add_nc_u32_e32 v8, 1, v4
	v_add_nc_u32_e32 v5, -1, v5
	v_lshl_add_u32 v4, v4, 3, v31
	s_delay_alu instid0(VALU_DEP_3) | instskip(NEXT) | instid1(VALU_DEP_3)
	v_cndmask_b32_e64 v13, v8, v65, s10
	v_min_u32_e32 v5, v8, v5
	v_cndmask_b32_e64 v14, v64, v8, s10
	s_delay_alu instid0(VALU_DEP_2)
	v_lshl_add_u32 v5, v5, 2, v34
	ds_load_b32 v9, v5
	ds_load_b64 v[4:5], v4 offset:8192
	s_wait_dscnt 0x1
	v_cndmask_b32_e64 v18, v9, v20, s10
	v_cndmask_b32_e64 v54, v17, v9, s10
	v_cmpx_lt_u32_e64 v13, v53
	s_cbranch_execz .LBB1443_98
; %bb.95:
	s_mov_b32 s13, 0
	s_mov_b32 s8, exec_lo
	v_cmpx_lt_u32_e64 v14, v52
	s_cbranch_execz .LBB1443_97
; %bb.96:
	v_add_f32_e32 v8, 0, v54
	v_add_f32_e32 v9, 0, v18
	s_delay_alu instid0(VALU_DEP_2) | instskip(NEXT) | instid1(VALU_DEP_2)
	v_ashrrev_i32_e32 v15, 31, v8
	v_ashrrev_i32_e32 v16, 31, v9
	s_delay_alu instid0(VALU_DEP_2) | instskip(NEXT) | instid1(VALU_DEP_2)
	v_or_b32_e32 v15, 0x80000000, v15
	v_or_b32_e32 v16, 0x80000000, v16
	s_delay_alu instid0(VALU_DEP_2) | instskip(NEXT) | instid1(VALU_DEP_2)
	v_xor_b32_e32 v8, v15, v8
	v_xor_b32_e32 v9, v16, v9
	s_delay_alu instid0(VALU_DEP_1)
	v_cmp_le_u32_e64 s7, v8, v9
	s_and_b32 s13, s7, exec_lo
.LBB1443_97:
	s_wait_alu 0xfffe
	s_or_b32 exec_lo, exec_lo, s8
	s_delay_alu instid0(SALU_CYCLE_1)
	s_or_not1_b32 s8, s13, exec_lo
.LBB1443_98:
	s_wait_alu 0xfffe
	s_or_b32 exec_lo, exec_lo, s12
	v_cndmask_b32_e64 v8, v13, v14, s8
	v_cndmask_b32_e64 v9, v53, v52, s8
	s_mov_b32 s12, exec_lo
	s_delay_alu instid0(VALU_DEP_2) | instskip(NEXT) | instid1(VALU_DEP_2)
	v_add_nc_u32_e32 v16, 1, v8
	v_add_nc_u32_e32 v9, -1, v9
	v_lshl_add_u32 v8, v8, 3, v31
	s_delay_alu instid0(VALU_DEP_3) | instskip(NEXT) | instid1(VALU_DEP_3)
	v_cndmask_b32_e64 v15, v16, v13, s8
	v_min_u32_e32 v9, v16, v9
	v_cndmask_b32_e64 v16, v14, v16, s8
	s_delay_alu instid0(VALU_DEP_2)
	v_lshl_add_u32 v9, v9, 2, v34
	ds_load_b32 v19, v9
	ds_load_b64 v[8:9], v8 offset:8192
	s_wait_dscnt 0x1
	v_cndmask_b32_e64 v29, v19, v18, s8
	v_cndmask_b32_e64 v55, v54, v19, s8
	v_cmpx_lt_u32_e64 v15, v53
	s_cbranch_execz .LBB1443_102
; %bb.99:
	s_mov_b32 s13, 0
	s_mov_b32 s11, exec_lo
	v_cmpx_lt_u32_e64 v16, v52
	s_cbranch_execz .LBB1443_101
; %bb.100:
	v_dual_add_f32 v13, 0, v55 :: v_dual_add_f32 v14, 0, v29
	s_delay_alu instid0(VALU_DEP_1) | instskip(NEXT) | instid1(VALU_DEP_2)
	v_ashrrev_i32_e32 v19, 31, v13
	v_ashrrev_i32_e32 v21, 31, v14
	s_delay_alu instid0(VALU_DEP_2) | instskip(NEXT) | instid1(VALU_DEP_2)
	v_or_b32_e32 v19, 0x80000000, v19
	v_or_b32_e32 v21, 0x80000000, v21
	s_delay_alu instid0(VALU_DEP_2) | instskip(NEXT) | instid1(VALU_DEP_2)
	v_xor_b32_e32 v13, v19, v13
	v_xor_b32_e32 v14, v21, v14
	s_delay_alu instid0(VALU_DEP_1)
	v_cmp_le_u32_e64 s7, v13, v14
	s_and_b32 s13, s7, exec_lo
.LBB1443_101:
	s_wait_alu 0xfffe
	s_or_b32 exec_lo, exec_lo, s11
	s_delay_alu instid0(SALU_CYCLE_1)
	s_or_not1_b32 s11, s13, exec_lo
.LBB1443_102:
	s_wait_alu 0xfffe
	s_or_b32 exec_lo, exec_lo, s12
	v_cndmask_b32_e64 v13, v15, v16, s11
	v_cndmask_b32_e64 v14, v53, v52, s11
	s_mov_b32 s13, -1
	s_mov_b32 s12, -1
	s_mov_b32 s14, exec_lo
	v_add_nc_u32_e32 v21, 1, v13
	v_add_nc_u32_e32 v14, -1, v14
	v_lshl_add_u32 v13, v13, 3, v31
	s_delay_alu instid0(VALU_DEP_3) | instskip(NEXT) | instid1(VALU_DEP_3)
	v_cndmask_b32_e64 v19, v21, v15, s11
	v_min_u32_e32 v14, v21, v14
	v_cndmask_b32_e64 v21, v16, v21, s11
	s_delay_alu instid0(VALU_DEP_2)
	v_lshl_add_u32 v14, v14, 2, v34
	ds_load_b32 v22, v14
	ds_load_b64 v[13:14], v13 offset:8192
	s_wait_dscnt 0x1
	v_cndmask_b32_e64 v30, v22, v29, s11
	v_cndmask_b32_e64 v64, v55, v22, s11
	v_cmpx_lt_u32_e64 v19, v53
	s_cbranch_execz .LBB1443_106
; %bb.103:
	s_mov_b32 s15, 0
	s_mov_b32 s12, exec_lo
	v_cmpx_lt_u32_e64 v21, v52
	s_cbranch_execz .LBB1443_105
; %bb.104:
	v_dual_add_f32 v15, 0, v64 :: v_dual_add_f32 v16, 0, v30
	s_delay_alu instid0(VALU_DEP_1) | instskip(NEXT) | instid1(VALU_DEP_2)
	v_ashrrev_i32_e32 v22, 31, v15
	v_ashrrev_i32_e32 v23, 31, v16
	s_delay_alu instid0(VALU_DEP_2) | instskip(NEXT) | instid1(VALU_DEP_2)
	v_or_b32_e32 v22, 0x80000000, v22
	v_or_b32_e32 v23, 0x80000000, v23
	s_delay_alu instid0(VALU_DEP_2) | instskip(NEXT) | instid1(VALU_DEP_2)
	v_xor_b32_e32 v15, v22, v15
	v_xor_b32_e32 v16, v23, v16
	s_delay_alu instid0(VALU_DEP_1)
	v_cmp_le_u32_e64 s7, v15, v16
	s_and_b32 s15, s7, exec_lo
.LBB1443_105:
	s_wait_alu 0xfffe
	s_or_b32 exec_lo, exec_lo, s12
	s_delay_alu instid0(SALU_CYCLE_1)
	s_or_not1_b32 s12, s15, exec_lo
.LBB1443_106:
	s_wait_alu 0xfffe
	s_or_b32 exec_lo, exec_lo, s14
	v_cndmask_b32_e64 v15, v19, v21, s12
	v_cndmask_b32_e64 v16, v53, v52, s12
	s_mov_b32 s14, exec_lo
	s_delay_alu instid0(VALU_DEP_2) | instskip(NEXT) | instid1(VALU_DEP_2)
	v_add_nc_u32_e32 v22, 1, v15
	v_add_nc_u32_e32 v16, -1, v16
	v_lshl_add_u32 v15, v15, 3, v31
	s_delay_alu instid0(VALU_DEP_3) | instskip(NEXT) | instid1(VALU_DEP_3)
	v_cndmask_b32_e64 v19, v22, v19, s12
	v_min_u32_e32 v16, v22, v16
	v_cndmask_b32_e64 v23, v21, v22, s12
	s_delay_alu instid0(VALU_DEP_2)
	v_lshl_add_u32 v16, v16, 2, v34
	ds_load_b32 v24, v16
	ds_load_b64 v[15:16], v15 offset:8192
	s_wait_dscnt 0x1
	v_cndmask_b32_e64 v27, v24, v30, s12
	v_cndmask_b32_e64 v65, v64, v24, s12
	v_cmpx_lt_u32_e64 v19, v53
	s_cbranch_execz .LBB1443_110
; %bb.107:
	s_mov_b32 s15, 0
	s_mov_b32 s13, exec_lo
	v_cmpx_lt_u32_e64 v23, v52
	s_cbranch_execz .LBB1443_109
; %bb.108:
	v_dual_add_f32 v21, 0, v65 :: v_dual_add_f32 v22, 0, v27
	s_delay_alu instid0(VALU_DEP_1) | instskip(NEXT) | instid1(VALU_DEP_2)
	v_ashrrev_i32_e32 v24, 31, v21
	v_ashrrev_i32_e32 v25, 31, v22
	s_delay_alu instid0(VALU_DEP_2) | instskip(NEXT) | instid1(VALU_DEP_2)
	v_or_b32_e32 v24, 0x80000000, v24
	v_or_b32_e32 v25, 0x80000000, v25
	s_delay_alu instid0(VALU_DEP_2) | instskip(NEXT) | instid1(VALU_DEP_2)
	v_xor_b32_e32 v21, v24, v21
	v_xor_b32_e32 v22, v25, v22
	s_delay_alu instid0(VALU_DEP_1)
	v_cmp_le_u32_e64 s7, v21, v22
	s_and_b32 s15, s7, exec_lo
.LBB1443_109:
	s_wait_alu 0xfffe
	s_or_b32 exec_lo, exec_lo, s13
	s_delay_alu instid0(SALU_CYCLE_1)
	s_or_not1_b32 s13, s15, exec_lo
.LBB1443_110:
	s_wait_alu 0xfffe
	s_or_b32 exec_lo, exec_lo, s14
	v_cndmask_b32_e64 v21, v19, v23, s13
	v_cndmask_b32_e64 v22, v53, v52, s13
	s_mov_b32 s15, -1
	s_mov_b32 s14, -1
	s_mov_b32 s16, exec_lo
	v_add_nc_u32_e32 v24, 1, v21
	v_add_nc_u32_e32 v22, -1, v22
	v_lshl_add_u32 v21, v21, 3, v31
	s_delay_alu instid0(VALU_DEP_3) | instskip(NEXT) | instid1(VALU_DEP_3)
	v_cndmask_b32_e64 v19, v24, v19, s13
	v_min_u32_e32 v22, v24, v22
	v_cndmask_b32_e64 v23, v23, v24, s13
	s_delay_alu instid0(VALU_DEP_2)
	v_lshl_add_u32 v22, v22, 2, v34
	ds_load_b32 v25, v22
	ds_load_b64 v[21:22], v21 offset:8192
	s_wait_dscnt 0x1
	v_cndmask_b32_e64 v28, v25, v27, s13
	v_cndmask_b32_e64 v66, v65, v25, s13
	v_cmpx_lt_u32_e64 v19, v53
	s_cbranch_execz .LBB1443_114
; %bb.111:
	s_mov_b32 s17, 0
	s_mov_b32 s14, exec_lo
	v_cmpx_lt_u32_e64 v23, v52
	s_cbranch_execz .LBB1443_113
; %bb.112:
	v_dual_add_f32 v24, 0, v66 :: v_dual_add_f32 v25, 0, v28
	s_delay_alu instid0(VALU_DEP_1) | instskip(NEXT) | instid1(VALU_DEP_2)
	v_ashrrev_i32_e32 v26, 31, v24
	v_ashrrev_i32_e32 v32, 31, v25
	s_delay_alu instid0(VALU_DEP_2) | instskip(NEXT) | instid1(VALU_DEP_2)
	v_or_b32_e32 v26, 0x80000000, v26
	v_or_b32_e32 v32, 0x80000000, v32
	s_delay_alu instid0(VALU_DEP_2) | instskip(NEXT) | instid1(VALU_DEP_2)
	v_xor_b32_e32 v24, v26, v24
	v_xor_b32_e32 v25, v32, v25
	s_delay_alu instid0(VALU_DEP_1)
	v_cmp_le_u32_e64 s7, v24, v25
	s_and_b32 s17, s7, exec_lo
.LBB1443_113:
	s_wait_alu 0xfffe
	s_or_b32 exec_lo, exec_lo, s14
	s_delay_alu instid0(SALU_CYCLE_1)
	s_or_not1_b32 s14, s17, exec_lo
.LBB1443_114:
	s_wait_alu 0xfffe
	s_or_b32 exec_lo, exec_lo, s16
	v_cndmask_b32_e64 v24, v19, v23, s14
	v_cndmask_b32_e64 v25, v53, v52, s14
	s_mov_b32 s16, exec_lo
	s_delay_alu instid0(VALU_DEP_2) | instskip(NEXT) | instid1(VALU_DEP_2)
	v_add_nc_u32_e32 v33, 1, v24
	v_add_nc_u32_e32 v25, -1, v25
	v_lshl_add_u32 v24, v24, 3, v31
	s_delay_alu instid0(VALU_DEP_3) | instskip(NEXT) | instid1(VALU_DEP_3)
	v_cndmask_b32_e64 v32, v33, v19, s14
	v_min_u32_e32 v25, v33, v25
	v_cndmask_b32_e64 v33, v23, v33, s14
	s_delay_alu instid0(VALU_DEP_2)
	v_lshl_add_u32 v25, v25, 2, v34
	ds_load_b32 v67, v25
	ds_load_b64 v[25:26], v24 offset:8192
	s_wait_dscnt 0x1
	v_cndmask_b32_e64 v19, v67, v28, s14
	v_cndmask_b32_e64 v67, v66, v67, s14
	v_cmpx_lt_u32_e64 v32, v53
	s_cbranch_execz .LBB1443_118
; %bb.115:
	s_mov_b32 s17, 0
	s_mov_b32 s15, exec_lo
	v_cmpx_lt_u32_e64 v33, v52
	s_cbranch_execz .LBB1443_117
; %bb.116:
	v_add_f32_e32 v23, 0, v67
	v_add_f32_e32 v24, 0, v19
	s_delay_alu instid0(VALU_DEP_2) | instskip(NEXT) | instid1(VALU_DEP_2)
	v_ashrrev_i32_e32 v68, 31, v23
	v_ashrrev_i32_e32 v69, 31, v24
	s_delay_alu instid0(VALU_DEP_2) | instskip(NEXT) | instid1(VALU_DEP_2)
	v_or_b32_e32 v68, 0x80000000, v68
	v_or_b32_e32 v69, 0x80000000, v69
	s_delay_alu instid0(VALU_DEP_2) | instskip(NEXT) | instid1(VALU_DEP_2)
	v_xor_b32_e32 v23, v68, v23
	v_xor_b32_e32 v24, v69, v24
	s_delay_alu instid0(VALU_DEP_1)
	v_cmp_le_u32_e64 s7, v23, v24
	s_and_b32 s17, s7, exec_lo
.LBB1443_117:
	s_wait_alu 0xfffe
	s_or_b32 exec_lo, exec_lo, s15
	s_delay_alu instid0(SALU_CYCLE_1)
	s_or_not1_b32 s15, s17, exec_lo
.LBB1443_118:
	s_wait_alu 0xfffe
	s_or_b32 exec_lo, exec_lo, s16
	v_cndmask_b32_e64 v23, v32, v33, s15
	v_cndmask_b32_e64 v24, v53, v52, s15
	s_mov_b32 s17, -1
	s_mov_b32 s16, exec_lo
	s_delay_alu instid0(VALU_DEP_2) | instskip(NEXT) | instid1(VALU_DEP_2)
	v_add_nc_u32_e32 v68, 1, v23
	v_add_nc_u32_e32 v24, -1, v24
	v_lshl_add_u32 v23, v23, 3, v31
	s_delay_alu instid0(VALU_DEP_3) | instskip(NEXT) | instid1(VALU_DEP_3)
	v_cndmask_b32_e64 v32, v68, v32, s15
	v_min_u32_e32 v24, v68, v24
	v_cndmask_b32_e64 v33, v33, v68, s15
	s_delay_alu instid0(VALU_DEP_2)
	v_lshl_add_u32 v24, v24, 2, v34
	ds_load_b32 v69, v24
	ds_load_b64 v[23:24], v23 offset:8192
	s_wait_dscnt 0x1
	v_cndmask_b32_e64 v68, v69, v19, s15
	v_cndmask_b32_e64 v69, v67, v69, s15
	v_cmpx_lt_u32_e64 v32, v53
	s_cbranch_execz .LBB1443_122
; %bb.119:
	s_mov_b32 s18, 0
	s_mov_b32 s17, exec_lo
	v_cmpx_lt_u32_e64 v33, v52
	s_cbranch_execz .LBB1443_121
; %bb.120:
	v_dual_add_f32 v52, 0, v69 :: v_dual_add_f32 v53, 0, v68
	s_delay_alu instid0(VALU_DEP_1) | instskip(NEXT) | instid1(VALU_DEP_2)
	v_ashrrev_i32_e32 v70, 31, v52
	v_ashrrev_i32_e32 v71, 31, v53
	s_delay_alu instid0(VALU_DEP_2) | instskip(NEXT) | instid1(VALU_DEP_2)
	v_or_b32_e32 v70, 0x80000000, v70
	v_or_b32_e32 v71, 0x80000000, v71
	s_delay_alu instid0(VALU_DEP_2) | instskip(NEXT) | instid1(VALU_DEP_2)
	v_xor_b32_e32 v52, v70, v52
	v_xor_b32_e32 v53, v71, v53
	s_delay_alu instid0(VALU_DEP_1)
	v_cmp_le_u32_e64 s7, v52, v53
	s_and_b32 s18, s7, exec_lo
.LBB1443_121:
	s_wait_alu 0xfffe
	s_or_b32 exec_lo, exec_lo, s17
	s_delay_alu instid0(SALU_CYCLE_1)
	s_or_not1_b32 s17, s18, exec_lo
.LBB1443_122:
	s_wait_alu 0xfffe
	s_or_b32 exec_lo, exec_lo, s16
	v_cndmask_b32_e64 v32, v32, v33, s17
	v_cndmask_b32_e64 v19, v19, v67, s15
	;; [unrolled: 1-line block ×5, first 2 shown]
	v_lshl_add_u32 v32, v32, 3, v31
	v_cndmask_b32_e64 v29, v29, v55, s11
	v_cndmask_b32_e64 v18, v18, v54, s8
	;; [unrolled: 1-line block ×4, first 2 shown]
	ds_load_b64 v[32:33], v32 offset:8192
.LBB1443_123:
	s_wait_alu 0xfffe
	s_or_b32 exec_lo, exec_lo, s9
	v_and_b32_e32 v64, 0xe0, v50
	v_and_b32_e32 v54, 24, v50
	s_mov_b32 s8, exec_lo
	; wave barrier
	s_delay_alu instid0(VALU_DEP_2) | instskip(NEXT) | instid1(VALU_DEP_2)
	v_or_b32_e32 v52, 16, v64
	v_min_u32_e32 v65, v36, v54
	ds_store_2addr_b64 v37, v[4:5], v[8:9] offset1:1
	ds_store_2addr_b64 v38, v[13:14], v[15:16] offset1:1
	ds_store_2addr_b64 v35, v[17:18], v[29:30] offset1:1
	ds_store_2addr_b64 v35, v[27:28], v[19:20] offset0:2 offset1:3
	ds_store_2addr_b64 v39, v[21:22], v[25:26] offset1:1
	s_wait_dscnt 0x5
	ds_store_2addr_b64 v51, v[23:24], v[32:33] offset1:1
	v_min_u32_e32 v52, v36, v52
	; wave barrier
	s_delay_alu instid0(VALU_DEP_1) | instskip(SKIP_1) | instid1(VALU_DEP_2)
	v_add_nc_u32_e32 v53, 16, v52
	v_sub_nc_u32_e32 v54, v52, v64
	v_min_u32_e32 v53, v36, v53
	s_delay_alu instid0(VALU_DEP_2) | instskip(NEXT) | instid1(VALU_DEP_2)
	v_min_u32_e32 v66, v65, v54
	v_sub_nc_u32_e32 v55, v53, v52
	s_delay_alu instid0(VALU_DEP_1) | instskip(SKIP_1) | instid1(VALU_DEP_2)
	v_sub_nc_u32_e64 v54, v65, v55 clamp
	v_lshl_add_u32 v55, v64, 2, v34
	v_cmpx_lt_u32_e64 v54, v66
	s_cbranch_execz .LBB1443_127
; %bb.124:
	v_lshlrev_b32_e32 v67, 2, v52
	v_lshlrev_b32_e32 v68, 2, v65
	s_mov_b32 s9, 0
	s_delay_alu instid0(VALU_DEP_1)
	v_add3_u32 v67, v34, v67, v68
.LBB1443_125:                           ; =>This Inner Loop Header: Depth=1
	v_add_nc_u32_e32 v68, v66, v54
	s_delay_alu instid0(VALU_DEP_1) | instskip(NEXT) | instid1(VALU_DEP_1)
	v_lshrrev_b32_e32 v68, 1, v68
	v_not_b32_e32 v69, v68
	v_lshl_add_u32 v70, v68, 2, v55
	s_delay_alu instid0(VALU_DEP_2) | instskip(SKIP_4) | instid1(VALU_DEP_1)
	v_lshl_add_u32 v69, v69, 2, v67
	ds_load_b32 v70, v70
	ds_load_b32 v69, v69
	s_wait_dscnt 0x0
	v_dual_add_f32 v70, 0, v70 :: v_dual_add_f32 v69, 0, v69
	v_ashrrev_i32_e32 v71, 31, v70
	s_delay_alu instid0(VALU_DEP_2) | instskip(NEXT) | instid1(VALU_DEP_2)
	v_ashrrev_i32_e32 v80, 31, v69
	v_or_b32_e32 v71, 0x80000000, v71
	s_delay_alu instid0(VALU_DEP_2) | instskip(NEXT) | instid1(VALU_DEP_2)
	v_or_b32_e32 v80, 0x80000000, v80
	v_xor_b32_e32 v70, v71, v70
	s_delay_alu instid0(VALU_DEP_2) | instskip(SKIP_1) | instid1(VALU_DEP_2)
	v_xor_b32_e32 v69, v80, v69
	v_add_nc_u32_e32 v71, 1, v68
	v_cmp_gt_u32_e64 s7, v70, v69
	s_wait_alu 0xf1ff
	s_delay_alu instid0(VALU_DEP_1) | instskip(NEXT) | instid1(VALU_DEP_3)
	v_cndmask_b32_e64 v66, v66, v68, s7
	v_cndmask_b32_e64 v54, v71, v54, s7
	s_delay_alu instid0(VALU_DEP_1)
	v_cmp_ge_u32_e64 s7, v54, v66
	s_wait_alu 0xfffe
	s_or_b32 s9, s7, s9
	s_wait_alu 0xfffe
	s_and_not1_b32 exec_lo, exec_lo, s9
	s_cbranch_execnz .LBB1443_125
; %bb.126:
	s_or_b32 exec_lo, exec_lo, s9
.LBB1443_127:
	s_wait_alu 0xfffe
	s_or_b32 exec_lo, exec_lo, s8
	v_add_nc_u32_e32 v65, v52, v65
	v_add_nc_u32_e32 v64, v54, v64
	s_delay_alu instid0(VALU_DEP_2) | instskip(NEXT) | instid1(VALU_DEP_2)
	v_sub_nc_u32_e32 v65, v65, v54
	v_cmp_le_u32_e64 s7, v64, v52
	s_delay_alu instid0(VALU_DEP_2)
	v_cmp_le_u32_e64 s8, v65, v53
	s_or_b32 s7, s7, s8
	s_wait_alu 0xfffe
	s_and_saveexec_b32 s9, s7
	s_cbranch_execz .LBB1443_163
; %bb.128:
	v_cmp_ge_u32_e64 s7, v64, v52
	s_mov_b32 s10, exec_lo
                                        ; implicit-def: $vgpr17
	v_cmpx_lt_u32_e64 v64, v52
; %bb.129:
	v_lshl_add_u32 v4, v54, 2, v55
	ds_load_b32 v17, v4
; %bb.130:
	s_wait_alu 0xfffe
	s_or_b32 exec_lo, exec_lo, s10
	v_cmp_ge_u32_e64 s10, v65, v53
	s_mov_b32 s11, exec_lo
                                        ; implicit-def: $vgpr20
	v_cmpx_lt_u32_e64 v65, v53
; %bb.131:
	v_lshl_add_u32 v4, v65, 2, v34
	ds_load_b32 v20, v4
; %bb.132:
	s_wait_alu 0xfffe
	s_or_b32 exec_lo, exec_lo, s11
	s_nor_b32 s7, s7, s10
	s_wait_alu 0xfffe
	s_and_saveexec_b32 s8, s7
	s_cbranch_execz .LBB1443_134
; %bb.133:
	s_wait_dscnt 0x0
	v_dual_add_f32 v4, 0, v17 :: v_dual_add_f32 v5, 0, v20
	s_and_not1_b32 s10, s10, exec_lo
	s_delay_alu instid0(VALU_DEP_1) | instskip(NEXT) | instid1(VALU_DEP_2)
	v_ashrrev_i32_e32 v8, 31, v4
	v_ashrrev_i32_e32 v9, 31, v5
	s_delay_alu instid0(VALU_DEP_2) | instskip(NEXT) | instid1(VALU_DEP_2)
	v_or_b32_e32 v8, 0x80000000, v8
	v_or_b32_e32 v9, 0x80000000, v9
	s_delay_alu instid0(VALU_DEP_2) | instskip(NEXT) | instid1(VALU_DEP_2)
	v_xor_b32_e32 v4, v8, v4
	v_xor_b32_e32 v5, v9, v5
	s_delay_alu instid0(VALU_DEP_1)
	v_cmp_le_u32_e64 s7, v4, v5
	s_and_b32 s7, s7, exec_lo
	s_wait_alu 0xfffe
	s_or_b32 s10, s10, s7
.LBB1443_134:
	s_wait_alu 0xfffe
	s_or_b32 exec_lo, exec_lo, s8
	v_cndmask_b32_e64 v4, v65, v64, s10
	v_cndmask_b32_e64 v5, v53, v52, s10
	s_mov_b32 s11, -1
	s_mov_b32 s8, -1
	s_mov_b32 s12, exec_lo
	v_add_nc_u32_e32 v8, 1, v4
	v_add_nc_u32_e32 v5, -1, v5
	v_lshl_add_u32 v4, v4, 3, v31
	s_delay_alu instid0(VALU_DEP_3) | instskip(NEXT) | instid1(VALU_DEP_3)
	v_cndmask_b32_e64 v13, v8, v65, s10
	v_min_u32_e32 v5, v8, v5
	v_cndmask_b32_e64 v14, v64, v8, s10
	s_delay_alu instid0(VALU_DEP_2)
	v_lshl_add_u32 v5, v5, 2, v34
	ds_load_b32 v9, v5
	ds_load_b64 v[4:5], v4 offset:8192
	s_wait_dscnt 0x1
	v_cndmask_b32_e64 v18, v9, v20, s10
	v_cndmask_b32_e64 v54, v17, v9, s10
	v_cmpx_lt_u32_e64 v13, v53
	s_cbranch_execz .LBB1443_138
; %bb.135:
	s_mov_b32 s13, 0
	s_mov_b32 s8, exec_lo
	v_cmpx_lt_u32_e64 v14, v52
	s_cbranch_execz .LBB1443_137
; %bb.136:
	v_add_f32_e32 v8, 0, v54
	v_add_f32_e32 v9, 0, v18
	s_delay_alu instid0(VALU_DEP_2) | instskip(NEXT) | instid1(VALU_DEP_2)
	v_ashrrev_i32_e32 v15, 31, v8
	v_ashrrev_i32_e32 v16, 31, v9
	s_delay_alu instid0(VALU_DEP_2) | instskip(NEXT) | instid1(VALU_DEP_2)
	v_or_b32_e32 v15, 0x80000000, v15
	v_or_b32_e32 v16, 0x80000000, v16
	s_delay_alu instid0(VALU_DEP_2) | instskip(NEXT) | instid1(VALU_DEP_2)
	v_xor_b32_e32 v8, v15, v8
	v_xor_b32_e32 v9, v16, v9
	s_delay_alu instid0(VALU_DEP_1)
	v_cmp_le_u32_e64 s7, v8, v9
	s_and_b32 s13, s7, exec_lo
.LBB1443_137:
	s_wait_alu 0xfffe
	s_or_b32 exec_lo, exec_lo, s8
	s_delay_alu instid0(SALU_CYCLE_1)
	s_or_not1_b32 s8, s13, exec_lo
.LBB1443_138:
	s_wait_alu 0xfffe
	s_or_b32 exec_lo, exec_lo, s12
	v_cndmask_b32_e64 v8, v13, v14, s8
	v_cndmask_b32_e64 v9, v53, v52, s8
	s_mov_b32 s12, exec_lo
	s_delay_alu instid0(VALU_DEP_2) | instskip(NEXT) | instid1(VALU_DEP_2)
	v_add_nc_u32_e32 v16, 1, v8
	v_add_nc_u32_e32 v9, -1, v9
	v_lshl_add_u32 v8, v8, 3, v31
	s_delay_alu instid0(VALU_DEP_3) | instskip(NEXT) | instid1(VALU_DEP_3)
	v_cndmask_b32_e64 v15, v16, v13, s8
	v_min_u32_e32 v9, v16, v9
	v_cndmask_b32_e64 v16, v14, v16, s8
	s_delay_alu instid0(VALU_DEP_2)
	v_lshl_add_u32 v9, v9, 2, v34
	ds_load_b32 v19, v9
	ds_load_b64 v[8:9], v8 offset:8192
	s_wait_dscnt 0x1
	v_cndmask_b32_e64 v29, v19, v18, s8
	v_cndmask_b32_e64 v55, v54, v19, s8
	v_cmpx_lt_u32_e64 v15, v53
	s_cbranch_execz .LBB1443_142
; %bb.139:
	s_mov_b32 s13, 0
	s_mov_b32 s11, exec_lo
	v_cmpx_lt_u32_e64 v16, v52
	s_cbranch_execz .LBB1443_141
; %bb.140:
	v_dual_add_f32 v13, 0, v55 :: v_dual_add_f32 v14, 0, v29
	s_delay_alu instid0(VALU_DEP_1) | instskip(NEXT) | instid1(VALU_DEP_2)
	v_ashrrev_i32_e32 v19, 31, v13
	v_ashrrev_i32_e32 v21, 31, v14
	s_delay_alu instid0(VALU_DEP_2) | instskip(NEXT) | instid1(VALU_DEP_2)
	v_or_b32_e32 v19, 0x80000000, v19
	v_or_b32_e32 v21, 0x80000000, v21
	s_delay_alu instid0(VALU_DEP_2) | instskip(NEXT) | instid1(VALU_DEP_2)
	v_xor_b32_e32 v13, v19, v13
	v_xor_b32_e32 v14, v21, v14
	s_delay_alu instid0(VALU_DEP_1)
	v_cmp_le_u32_e64 s7, v13, v14
	s_and_b32 s13, s7, exec_lo
.LBB1443_141:
	s_wait_alu 0xfffe
	s_or_b32 exec_lo, exec_lo, s11
	s_delay_alu instid0(SALU_CYCLE_1)
	s_or_not1_b32 s11, s13, exec_lo
.LBB1443_142:
	s_wait_alu 0xfffe
	s_or_b32 exec_lo, exec_lo, s12
	v_cndmask_b32_e64 v13, v15, v16, s11
	v_cndmask_b32_e64 v14, v53, v52, s11
	s_mov_b32 s13, -1
	s_mov_b32 s12, -1
	s_mov_b32 s14, exec_lo
	v_add_nc_u32_e32 v21, 1, v13
	v_add_nc_u32_e32 v14, -1, v14
	v_lshl_add_u32 v13, v13, 3, v31
	s_delay_alu instid0(VALU_DEP_3) | instskip(NEXT) | instid1(VALU_DEP_3)
	v_cndmask_b32_e64 v19, v21, v15, s11
	v_min_u32_e32 v14, v21, v14
	v_cndmask_b32_e64 v21, v16, v21, s11
	s_delay_alu instid0(VALU_DEP_2)
	v_lshl_add_u32 v14, v14, 2, v34
	ds_load_b32 v22, v14
	ds_load_b64 v[13:14], v13 offset:8192
	s_wait_dscnt 0x1
	v_cndmask_b32_e64 v30, v22, v29, s11
	v_cndmask_b32_e64 v64, v55, v22, s11
	v_cmpx_lt_u32_e64 v19, v53
	s_cbranch_execz .LBB1443_146
; %bb.143:
	s_mov_b32 s15, 0
	s_mov_b32 s12, exec_lo
	v_cmpx_lt_u32_e64 v21, v52
	s_cbranch_execz .LBB1443_145
; %bb.144:
	v_dual_add_f32 v15, 0, v64 :: v_dual_add_f32 v16, 0, v30
	s_delay_alu instid0(VALU_DEP_1) | instskip(NEXT) | instid1(VALU_DEP_2)
	v_ashrrev_i32_e32 v22, 31, v15
	v_ashrrev_i32_e32 v23, 31, v16
	s_delay_alu instid0(VALU_DEP_2) | instskip(NEXT) | instid1(VALU_DEP_2)
	v_or_b32_e32 v22, 0x80000000, v22
	v_or_b32_e32 v23, 0x80000000, v23
	s_delay_alu instid0(VALU_DEP_2) | instskip(NEXT) | instid1(VALU_DEP_2)
	v_xor_b32_e32 v15, v22, v15
	v_xor_b32_e32 v16, v23, v16
	s_delay_alu instid0(VALU_DEP_1)
	v_cmp_le_u32_e64 s7, v15, v16
	s_and_b32 s15, s7, exec_lo
.LBB1443_145:
	s_wait_alu 0xfffe
	s_or_b32 exec_lo, exec_lo, s12
	s_delay_alu instid0(SALU_CYCLE_1)
	s_or_not1_b32 s12, s15, exec_lo
.LBB1443_146:
	s_wait_alu 0xfffe
	s_or_b32 exec_lo, exec_lo, s14
	v_cndmask_b32_e64 v15, v19, v21, s12
	v_cndmask_b32_e64 v16, v53, v52, s12
	s_mov_b32 s14, exec_lo
	s_delay_alu instid0(VALU_DEP_2) | instskip(NEXT) | instid1(VALU_DEP_2)
	v_add_nc_u32_e32 v22, 1, v15
	v_add_nc_u32_e32 v16, -1, v16
	v_lshl_add_u32 v15, v15, 3, v31
	s_delay_alu instid0(VALU_DEP_3) | instskip(NEXT) | instid1(VALU_DEP_3)
	v_cndmask_b32_e64 v19, v22, v19, s12
	v_min_u32_e32 v16, v22, v16
	v_cndmask_b32_e64 v23, v21, v22, s12
	s_delay_alu instid0(VALU_DEP_2)
	v_lshl_add_u32 v16, v16, 2, v34
	ds_load_b32 v24, v16
	ds_load_b64 v[15:16], v15 offset:8192
	s_wait_dscnt 0x1
	v_cndmask_b32_e64 v27, v24, v30, s12
	v_cndmask_b32_e64 v65, v64, v24, s12
	v_cmpx_lt_u32_e64 v19, v53
	s_cbranch_execz .LBB1443_150
; %bb.147:
	s_mov_b32 s15, 0
	s_mov_b32 s13, exec_lo
	v_cmpx_lt_u32_e64 v23, v52
	s_cbranch_execz .LBB1443_149
; %bb.148:
	v_dual_add_f32 v21, 0, v65 :: v_dual_add_f32 v22, 0, v27
	s_delay_alu instid0(VALU_DEP_1) | instskip(NEXT) | instid1(VALU_DEP_2)
	v_ashrrev_i32_e32 v24, 31, v21
	v_ashrrev_i32_e32 v25, 31, v22
	s_delay_alu instid0(VALU_DEP_2) | instskip(NEXT) | instid1(VALU_DEP_2)
	v_or_b32_e32 v24, 0x80000000, v24
	v_or_b32_e32 v25, 0x80000000, v25
	s_delay_alu instid0(VALU_DEP_2) | instskip(NEXT) | instid1(VALU_DEP_2)
	v_xor_b32_e32 v21, v24, v21
	v_xor_b32_e32 v22, v25, v22
	s_delay_alu instid0(VALU_DEP_1)
	v_cmp_le_u32_e64 s7, v21, v22
	s_and_b32 s15, s7, exec_lo
.LBB1443_149:
	s_wait_alu 0xfffe
	s_or_b32 exec_lo, exec_lo, s13
	s_delay_alu instid0(SALU_CYCLE_1)
	s_or_not1_b32 s13, s15, exec_lo
.LBB1443_150:
	s_wait_alu 0xfffe
	s_or_b32 exec_lo, exec_lo, s14
	v_cndmask_b32_e64 v21, v19, v23, s13
	v_cndmask_b32_e64 v22, v53, v52, s13
	s_mov_b32 s15, -1
	s_mov_b32 s14, -1
	s_mov_b32 s16, exec_lo
	v_add_nc_u32_e32 v24, 1, v21
	v_add_nc_u32_e32 v22, -1, v22
	v_lshl_add_u32 v21, v21, 3, v31
	s_delay_alu instid0(VALU_DEP_3) | instskip(NEXT) | instid1(VALU_DEP_3)
	v_cndmask_b32_e64 v19, v24, v19, s13
	v_min_u32_e32 v22, v24, v22
	v_cndmask_b32_e64 v23, v23, v24, s13
	s_delay_alu instid0(VALU_DEP_2)
	v_lshl_add_u32 v22, v22, 2, v34
	ds_load_b32 v25, v22
	ds_load_b64 v[21:22], v21 offset:8192
	s_wait_dscnt 0x1
	v_cndmask_b32_e64 v28, v25, v27, s13
	v_cndmask_b32_e64 v66, v65, v25, s13
	v_cmpx_lt_u32_e64 v19, v53
	s_cbranch_execz .LBB1443_154
; %bb.151:
	s_mov_b32 s17, 0
	s_mov_b32 s14, exec_lo
	v_cmpx_lt_u32_e64 v23, v52
	s_cbranch_execz .LBB1443_153
; %bb.152:
	v_dual_add_f32 v24, 0, v66 :: v_dual_add_f32 v25, 0, v28
	s_delay_alu instid0(VALU_DEP_1) | instskip(NEXT) | instid1(VALU_DEP_2)
	v_ashrrev_i32_e32 v26, 31, v24
	v_ashrrev_i32_e32 v32, 31, v25
	s_delay_alu instid0(VALU_DEP_2) | instskip(NEXT) | instid1(VALU_DEP_2)
	v_or_b32_e32 v26, 0x80000000, v26
	v_or_b32_e32 v32, 0x80000000, v32
	s_delay_alu instid0(VALU_DEP_2) | instskip(NEXT) | instid1(VALU_DEP_2)
	v_xor_b32_e32 v24, v26, v24
	v_xor_b32_e32 v25, v32, v25
	s_delay_alu instid0(VALU_DEP_1)
	v_cmp_le_u32_e64 s7, v24, v25
	s_and_b32 s17, s7, exec_lo
.LBB1443_153:
	s_wait_alu 0xfffe
	s_or_b32 exec_lo, exec_lo, s14
	s_delay_alu instid0(SALU_CYCLE_1)
	s_or_not1_b32 s14, s17, exec_lo
.LBB1443_154:
	s_wait_alu 0xfffe
	s_or_b32 exec_lo, exec_lo, s16
	v_cndmask_b32_e64 v24, v19, v23, s14
	v_cndmask_b32_e64 v25, v53, v52, s14
	s_mov_b32 s16, exec_lo
	s_delay_alu instid0(VALU_DEP_2) | instskip(NEXT) | instid1(VALU_DEP_2)
	v_add_nc_u32_e32 v33, 1, v24
	v_add_nc_u32_e32 v25, -1, v25
	v_lshl_add_u32 v24, v24, 3, v31
	s_delay_alu instid0(VALU_DEP_3) | instskip(NEXT) | instid1(VALU_DEP_3)
	v_cndmask_b32_e64 v32, v33, v19, s14
	v_min_u32_e32 v25, v33, v25
	v_cndmask_b32_e64 v33, v23, v33, s14
	s_delay_alu instid0(VALU_DEP_2)
	v_lshl_add_u32 v25, v25, 2, v34
	ds_load_b32 v67, v25
	ds_load_b64 v[25:26], v24 offset:8192
	s_wait_dscnt 0x1
	v_cndmask_b32_e64 v19, v67, v28, s14
	v_cndmask_b32_e64 v67, v66, v67, s14
	v_cmpx_lt_u32_e64 v32, v53
	s_cbranch_execz .LBB1443_158
; %bb.155:
	s_mov_b32 s17, 0
	s_mov_b32 s15, exec_lo
	v_cmpx_lt_u32_e64 v33, v52
	s_cbranch_execz .LBB1443_157
; %bb.156:
	v_add_f32_e32 v23, 0, v67
	v_add_f32_e32 v24, 0, v19
	s_delay_alu instid0(VALU_DEP_2) | instskip(NEXT) | instid1(VALU_DEP_2)
	v_ashrrev_i32_e32 v68, 31, v23
	v_ashrrev_i32_e32 v69, 31, v24
	s_delay_alu instid0(VALU_DEP_2) | instskip(NEXT) | instid1(VALU_DEP_2)
	v_or_b32_e32 v68, 0x80000000, v68
	v_or_b32_e32 v69, 0x80000000, v69
	s_delay_alu instid0(VALU_DEP_2) | instskip(NEXT) | instid1(VALU_DEP_2)
	v_xor_b32_e32 v23, v68, v23
	v_xor_b32_e32 v24, v69, v24
	s_delay_alu instid0(VALU_DEP_1)
	v_cmp_le_u32_e64 s7, v23, v24
	s_and_b32 s17, s7, exec_lo
.LBB1443_157:
	s_wait_alu 0xfffe
	s_or_b32 exec_lo, exec_lo, s15
	s_delay_alu instid0(SALU_CYCLE_1)
	s_or_not1_b32 s15, s17, exec_lo
.LBB1443_158:
	s_wait_alu 0xfffe
	s_or_b32 exec_lo, exec_lo, s16
	v_cndmask_b32_e64 v23, v32, v33, s15
	v_cndmask_b32_e64 v24, v53, v52, s15
	s_mov_b32 s17, -1
	s_mov_b32 s16, exec_lo
	s_delay_alu instid0(VALU_DEP_2) | instskip(NEXT) | instid1(VALU_DEP_2)
	v_add_nc_u32_e32 v68, 1, v23
	v_add_nc_u32_e32 v24, -1, v24
	v_lshl_add_u32 v23, v23, 3, v31
	s_delay_alu instid0(VALU_DEP_3) | instskip(NEXT) | instid1(VALU_DEP_3)
	v_cndmask_b32_e64 v32, v68, v32, s15
	v_min_u32_e32 v24, v68, v24
	v_cndmask_b32_e64 v33, v33, v68, s15
	s_delay_alu instid0(VALU_DEP_2)
	v_lshl_add_u32 v24, v24, 2, v34
	ds_load_b32 v69, v24
	ds_load_b64 v[23:24], v23 offset:8192
	s_wait_dscnt 0x1
	v_cndmask_b32_e64 v68, v69, v19, s15
	v_cndmask_b32_e64 v69, v67, v69, s15
	v_cmpx_lt_u32_e64 v32, v53
	s_cbranch_execz .LBB1443_162
; %bb.159:
	s_mov_b32 s18, 0
	s_mov_b32 s17, exec_lo
	v_cmpx_lt_u32_e64 v33, v52
	s_cbranch_execz .LBB1443_161
; %bb.160:
	v_dual_add_f32 v52, 0, v69 :: v_dual_add_f32 v53, 0, v68
	s_delay_alu instid0(VALU_DEP_1) | instskip(NEXT) | instid1(VALU_DEP_2)
	v_ashrrev_i32_e32 v70, 31, v52
	v_ashrrev_i32_e32 v71, 31, v53
	s_delay_alu instid0(VALU_DEP_2) | instskip(NEXT) | instid1(VALU_DEP_2)
	v_or_b32_e32 v70, 0x80000000, v70
	v_or_b32_e32 v71, 0x80000000, v71
	s_delay_alu instid0(VALU_DEP_2) | instskip(NEXT) | instid1(VALU_DEP_2)
	v_xor_b32_e32 v52, v70, v52
	v_xor_b32_e32 v53, v71, v53
	s_delay_alu instid0(VALU_DEP_1)
	v_cmp_le_u32_e64 s7, v52, v53
	s_and_b32 s18, s7, exec_lo
.LBB1443_161:
	s_wait_alu 0xfffe
	s_or_b32 exec_lo, exec_lo, s17
	s_delay_alu instid0(SALU_CYCLE_1)
	s_or_not1_b32 s17, s18, exec_lo
.LBB1443_162:
	s_wait_alu 0xfffe
	s_or_b32 exec_lo, exec_lo, s16
	v_cndmask_b32_e64 v32, v32, v33, s17
	v_cndmask_b32_e64 v19, v19, v67, s15
	;; [unrolled: 1-line block ×5, first 2 shown]
	v_lshl_add_u32 v32, v32, 3, v31
	v_cndmask_b32_e64 v29, v29, v55, s11
	v_cndmask_b32_e64 v18, v18, v54, s8
	;; [unrolled: 1-line block ×4, first 2 shown]
	ds_load_b64 v[32:33], v32 offset:8192
.LBB1443_163:
	s_wait_alu 0xfffe
	s_or_b32 exec_lo, exec_lo, s9
	v_and_b32_e32 v64, 0xc0, v50
	v_and_b32_e32 v54, 56, v50
	s_mov_b32 s8, exec_lo
	; wave barrier
	s_delay_alu instid0(VALU_DEP_2) | instskip(NEXT) | instid1(VALU_DEP_2)
	v_or_b32_e32 v52, 32, v64
	v_min_u32_e32 v65, v36, v54
	ds_store_2addr_b64 v37, v[4:5], v[8:9] offset1:1
	ds_store_2addr_b64 v38, v[13:14], v[15:16] offset1:1
	;; [unrolled: 1-line block ×3, first 2 shown]
	ds_store_2addr_b64 v35, v[27:28], v[19:20] offset0:2 offset1:3
	ds_store_2addr_b64 v39, v[21:22], v[25:26] offset1:1
	s_wait_dscnt 0x5
	ds_store_2addr_b64 v51, v[23:24], v[32:33] offset1:1
	v_min_u32_e32 v52, v36, v52
	; wave barrier
	s_delay_alu instid0(VALU_DEP_1) | instskip(SKIP_1) | instid1(VALU_DEP_2)
	v_add_nc_u32_e32 v53, 32, v52
	v_sub_nc_u32_e32 v54, v52, v64
	v_min_u32_e32 v53, v36, v53
	s_delay_alu instid0(VALU_DEP_2) | instskip(NEXT) | instid1(VALU_DEP_2)
	v_min_u32_e32 v66, v65, v54
	v_sub_nc_u32_e32 v55, v53, v52
	s_delay_alu instid0(VALU_DEP_1) | instskip(SKIP_1) | instid1(VALU_DEP_2)
	v_sub_nc_u32_e64 v54, v65, v55 clamp
	v_lshl_add_u32 v55, v64, 2, v34
	v_cmpx_lt_u32_e64 v54, v66
	s_cbranch_execz .LBB1443_167
; %bb.164:
	v_lshlrev_b32_e32 v67, 2, v52
	v_lshlrev_b32_e32 v68, 2, v65
	s_mov_b32 s9, 0
	s_delay_alu instid0(VALU_DEP_1)
	v_add3_u32 v67, v34, v67, v68
.LBB1443_165:                           ; =>This Inner Loop Header: Depth=1
	v_add_nc_u32_e32 v68, v66, v54
	s_delay_alu instid0(VALU_DEP_1) | instskip(NEXT) | instid1(VALU_DEP_1)
	v_lshrrev_b32_e32 v68, 1, v68
	v_not_b32_e32 v69, v68
	v_lshl_add_u32 v70, v68, 2, v55
	s_delay_alu instid0(VALU_DEP_2) | instskip(SKIP_4) | instid1(VALU_DEP_1)
	v_lshl_add_u32 v69, v69, 2, v67
	ds_load_b32 v70, v70
	ds_load_b32 v69, v69
	s_wait_dscnt 0x0
	v_dual_add_f32 v70, 0, v70 :: v_dual_add_f32 v69, 0, v69
	v_ashrrev_i32_e32 v71, 31, v70
	s_delay_alu instid0(VALU_DEP_2) | instskip(NEXT) | instid1(VALU_DEP_2)
	v_ashrrev_i32_e32 v80, 31, v69
	v_or_b32_e32 v71, 0x80000000, v71
	s_delay_alu instid0(VALU_DEP_2) | instskip(NEXT) | instid1(VALU_DEP_2)
	v_or_b32_e32 v80, 0x80000000, v80
	v_xor_b32_e32 v70, v71, v70
	s_delay_alu instid0(VALU_DEP_2) | instskip(SKIP_1) | instid1(VALU_DEP_2)
	v_xor_b32_e32 v69, v80, v69
	v_add_nc_u32_e32 v71, 1, v68
	v_cmp_gt_u32_e64 s7, v70, v69
	s_wait_alu 0xf1ff
	s_delay_alu instid0(VALU_DEP_1) | instskip(NEXT) | instid1(VALU_DEP_3)
	v_cndmask_b32_e64 v66, v66, v68, s7
	v_cndmask_b32_e64 v54, v71, v54, s7
	s_delay_alu instid0(VALU_DEP_1)
	v_cmp_ge_u32_e64 s7, v54, v66
	s_wait_alu 0xfffe
	s_or_b32 s9, s7, s9
	s_wait_alu 0xfffe
	s_and_not1_b32 exec_lo, exec_lo, s9
	s_cbranch_execnz .LBB1443_165
; %bb.166:
	s_or_b32 exec_lo, exec_lo, s9
.LBB1443_167:
	s_wait_alu 0xfffe
	s_or_b32 exec_lo, exec_lo, s8
	v_add_nc_u32_e32 v65, v52, v65
	v_add_nc_u32_e32 v64, v54, v64
	s_delay_alu instid0(VALU_DEP_2) | instskip(NEXT) | instid1(VALU_DEP_2)
	v_sub_nc_u32_e32 v65, v65, v54
	v_cmp_le_u32_e64 s7, v64, v52
	s_delay_alu instid0(VALU_DEP_2)
	v_cmp_le_u32_e64 s8, v65, v53
	s_or_b32 s7, s7, s8
	s_wait_alu 0xfffe
	s_and_saveexec_b32 s9, s7
	s_cbranch_execz .LBB1443_203
; %bb.168:
	v_cmp_ge_u32_e64 s7, v64, v52
	s_mov_b32 s10, exec_lo
                                        ; implicit-def: $vgpr17
	v_cmpx_lt_u32_e64 v64, v52
; %bb.169:
	v_lshl_add_u32 v4, v54, 2, v55
	ds_load_b32 v17, v4
; %bb.170:
	s_wait_alu 0xfffe
	s_or_b32 exec_lo, exec_lo, s10
	v_cmp_ge_u32_e64 s10, v65, v53
	s_mov_b32 s11, exec_lo
                                        ; implicit-def: $vgpr20
	v_cmpx_lt_u32_e64 v65, v53
; %bb.171:
	v_lshl_add_u32 v4, v65, 2, v34
	ds_load_b32 v20, v4
; %bb.172:
	s_wait_alu 0xfffe
	s_or_b32 exec_lo, exec_lo, s11
	s_nor_b32 s7, s7, s10
	s_wait_alu 0xfffe
	s_and_saveexec_b32 s8, s7
	s_cbranch_execz .LBB1443_174
; %bb.173:
	s_wait_dscnt 0x0
	v_dual_add_f32 v4, 0, v17 :: v_dual_add_f32 v5, 0, v20
	s_and_not1_b32 s10, s10, exec_lo
	s_delay_alu instid0(VALU_DEP_1) | instskip(NEXT) | instid1(VALU_DEP_2)
	v_ashrrev_i32_e32 v8, 31, v4
	v_ashrrev_i32_e32 v9, 31, v5
	s_delay_alu instid0(VALU_DEP_2) | instskip(NEXT) | instid1(VALU_DEP_2)
	v_or_b32_e32 v8, 0x80000000, v8
	v_or_b32_e32 v9, 0x80000000, v9
	s_delay_alu instid0(VALU_DEP_2) | instskip(NEXT) | instid1(VALU_DEP_2)
	v_xor_b32_e32 v4, v8, v4
	v_xor_b32_e32 v5, v9, v5
	s_delay_alu instid0(VALU_DEP_1)
	v_cmp_le_u32_e64 s7, v4, v5
	s_and_b32 s7, s7, exec_lo
	s_wait_alu 0xfffe
	s_or_b32 s10, s10, s7
.LBB1443_174:
	s_wait_alu 0xfffe
	s_or_b32 exec_lo, exec_lo, s8
	v_cndmask_b32_e64 v4, v65, v64, s10
	v_cndmask_b32_e64 v5, v53, v52, s10
	s_mov_b32 s11, -1
	s_mov_b32 s8, -1
	s_mov_b32 s12, exec_lo
	v_add_nc_u32_e32 v8, 1, v4
	v_add_nc_u32_e32 v5, -1, v5
	v_lshl_add_u32 v4, v4, 3, v31
	s_delay_alu instid0(VALU_DEP_3) | instskip(NEXT) | instid1(VALU_DEP_3)
	v_cndmask_b32_e64 v13, v8, v65, s10
	v_min_u32_e32 v5, v8, v5
	v_cndmask_b32_e64 v14, v64, v8, s10
	s_delay_alu instid0(VALU_DEP_2)
	v_lshl_add_u32 v5, v5, 2, v34
	ds_load_b32 v9, v5
	ds_load_b64 v[4:5], v4 offset:8192
	s_wait_dscnt 0x1
	v_cndmask_b32_e64 v18, v9, v20, s10
	v_cndmask_b32_e64 v54, v17, v9, s10
	v_cmpx_lt_u32_e64 v13, v53
	s_cbranch_execz .LBB1443_178
; %bb.175:
	s_mov_b32 s13, 0
	s_mov_b32 s8, exec_lo
	v_cmpx_lt_u32_e64 v14, v52
	s_cbranch_execz .LBB1443_177
; %bb.176:
	v_add_f32_e32 v8, 0, v54
	v_add_f32_e32 v9, 0, v18
	s_delay_alu instid0(VALU_DEP_2) | instskip(NEXT) | instid1(VALU_DEP_2)
	v_ashrrev_i32_e32 v15, 31, v8
	v_ashrrev_i32_e32 v16, 31, v9
	s_delay_alu instid0(VALU_DEP_2) | instskip(NEXT) | instid1(VALU_DEP_2)
	v_or_b32_e32 v15, 0x80000000, v15
	v_or_b32_e32 v16, 0x80000000, v16
	s_delay_alu instid0(VALU_DEP_2) | instskip(NEXT) | instid1(VALU_DEP_2)
	v_xor_b32_e32 v8, v15, v8
	v_xor_b32_e32 v9, v16, v9
	s_delay_alu instid0(VALU_DEP_1)
	v_cmp_le_u32_e64 s7, v8, v9
	s_and_b32 s13, s7, exec_lo
.LBB1443_177:
	s_wait_alu 0xfffe
	s_or_b32 exec_lo, exec_lo, s8
	s_delay_alu instid0(SALU_CYCLE_1)
	s_or_not1_b32 s8, s13, exec_lo
.LBB1443_178:
	s_wait_alu 0xfffe
	s_or_b32 exec_lo, exec_lo, s12
	v_cndmask_b32_e64 v8, v13, v14, s8
	v_cndmask_b32_e64 v9, v53, v52, s8
	s_mov_b32 s12, exec_lo
	s_delay_alu instid0(VALU_DEP_2) | instskip(NEXT) | instid1(VALU_DEP_2)
	v_add_nc_u32_e32 v16, 1, v8
	v_add_nc_u32_e32 v9, -1, v9
	v_lshl_add_u32 v8, v8, 3, v31
	s_delay_alu instid0(VALU_DEP_3) | instskip(NEXT) | instid1(VALU_DEP_3)
	v_cndmask_b32_e64 v15, v16, v13, s8
	v_min_u32_e32 v9, v16, v9
	v_cndmask_b32_e64 v16, v14, v16, s8
	s_delay_alu instid0(VALU_DEP_2)
	v_lshl_add_u32 v9, v9, 2, v34
	ds_load_b32 v19, v9
	ds_load_b64 v[8:9], v8 offset:8192
	s_wait_dscnt 0x1
	v_cndmask_b32_e64 v29, v19, v18, s8
	v_cndmask_b32_e64 v55, v54, v19, s8
	v_cmpx_lt_u32_e64 v15, v53
	s_cbranch_execz .LBB1443_182
; %bb.179:
	s_mov_b32 s13, 0
	s_mov_b32 s11, exec_lo
	v_cmpx_lt_u32_e64 v16, v52
	s_cbranch_execz .LBB1443_181
; %bb.180:
	v_dual_add_f32 v13, 0, v55 :: v_dual_add_f32 v14, 0, v29
	s_delay_alu instid0(VALU_DEP_1) | instskip(NEXT) | instid1(VALU_DEP_2)
	v_ashrrev_i32_e32 v19, 31, v13
	v_ashrrev_i32_e32 v21, 31, v14
	s_delay_alu instid0(VALU_DEP_2) | instskip(NEXT) | instid1(VALU_DEP_2)
	v_or_b32_e32 v19, 0x80000000, v19
	v_or_b32_e32 v21, 0x80000000, v21
	s_delay_alu instid0(VALU_DEP_2) | instskip(NEXT) | instid1(VALU_DEP_2)
	v_xor_b32_e32 v13, v19, v13
	v_xor_b32_e32 v14, v21, v14
	s_delay_alu instid0(VALU_DEP_1)
	v_cmp_le_u32_e64 s7, v13, v14
	s_and_b32 s13, s7, exec_lo
.LBB1443_181:
	s_wait_alu 0xfffe
	s_or_b32 exec_lo, exec_lo, s11
	s_delay_alu instid0(SALU_CYCLE_1)
	s_or_not1_b32 s11, s13, exec_lo
.LBB1443_182:
	s_wait_alu 0xfffe
	s_or_b32 exec_lo, exec_lo, s12
	v_cndmask_b32_e64 v13, v15, v16, s11
	v_cndmask_b32_e64 v14, v53, v52, s11
	s_mov_b32 s13, -1
	s_mov_b32 s12, -1
	s_mov_b32 s14, exec_lo
	v_add_nc_u32_e32 v21, 1, v13
	v_add_nc_u32_e32 v14, -1, v14
	v_lshl_add_u32 v13, v13, 3, v31
	s_delay_alu instid0(VALU_DEP_3) | instskip(NEXT) | instid1(VALU_DEP_3)
	v_cndmask_b32_e64 v19, v21, v15, s11
	v_min_u32_e32 v14, v21, v14
	v_cndmask_b32_e64 v21, v16, v21, s11
	s_delay_alu instid0(VALU_DEP_2)
	v_lshl_add_u32 v14, v14, 2, v34
	ds_load_b32 v22, v14
	ds_load_b64 v[13:14], v13 offset:8192
	s_wait_dscnt 0x1
	v_cndmask_b32_e64 v30, v22, v29, s11
	v_cndmask_b32_e64 v64, v55, v22, s11
	v_cmpx_lt_u32_e64 v19, v53
	s_cbranch_execz .LBB1443_186
; %bb.183:
	s_mov_b32 s15, 0
	s_mov_b32 s12, exec_lo
	v_cmpx_lt_u32_e64 v21, v52
	s_cbranch_execz .LBB1443_185
; %bb.184:
	v_dual_add_f32 v15, 0, v64 :: v_dual_add_f32 v16, 0, v30
	s_delay_alu instid0(VALU_DEP_1) | instskip(NEXT) | instid1(VALU_DEP_2)
	v_ashrrev_i32_e32 v22, 31, v15
	v_ashrrev_i32_e32 v23, 31, v16
	s_delay_alu instid0(VALU_DEP_2) | instskip(NEXT) | instid1(VALU_DEP_2)
	v_or_b32_e32 v22, 0x80000000, v22
	v_or_b32_e32 v23, 0x80000000, v23
	s_delay_alu instid0(VALU_DEP_2) | instskip(NEXT) | instid1(VALU_DEP_2)
	v_xor_b32_e32 v15, v22, v15
	v_xor_b32_e32 v16, v23, v16
	s_delay_alu instid0(VALU_DEP_1)
	v_cmp_le_u32_e64 s7, v15, v16
	s_and_b32 s15, s7, exec_lo
.LBB1443_185:
	s_wait_alu 0xfffe
	s_or_b32 exec_lo, exec_lo, s12
	s_delay_alu instid0(SALU_CYCLE_1)
	s_or_not1_b32 s12, s15, exec_lo
.LBB1443_186:
	s_wait_alu 0xfffe
	s_or_b32 exec_lo, exec_lo, s14
	v_cndmask_b32_e64 v15, v19, v21, s12
	v_cndmask_b32_e64 v16, v53, v52, s12
	s_mov_b32 s14, exec_lo
	s_delay_alu instid0(VALU_DEP_2) | instskip(NEXT) | instid1(VALU_DEP_2)
	v_add_nc_u32_e32 v22, 1, v15
	v_add_nc_u32_e32 v16, -1, v16
	v_lshl_add_u32 v15, v15, 3, v31
	s_delay_alu instid0(VALU_DEP_3) | instskip(NEXT) | instid1(VALU_DEP_3)
	v_cndmask_b32_e64 v19, v22, v19, s12
	v_min_u32_e32 v16, v22, v16
	v_cndmask_b32_e64 v23, v21, v22, s12
	s_delay_alu instid0(VALU_DEP_2)
	v_lshl_add_u32 v16, v16, 2, v34
	ds_load_b32 v24, v16
	ds_load_b64 v[15:16], v15 offset:8192
	s_wait_dscnt 0x1
	v_cndmask_b32_e64 v27, v24, v30, s12
	v_cndmask_b32_e64 v65, v64, v24, s12
	v_cmpx_lt_u32_e64 v19, v53
	s_cbranch_execz .LBB1443_190
; %bb.187:
	s_mov_b32 s15, 0
	s_mov_b32 s13, exec_lo
	v_cmpx_lt_u32_e64 v23, v52
	s_cbranch_execz .LBB1443_189
; %bb.188:
	v_dual_add_f32 v21, 0, v65 :: v_dual_add_f32 v22, 0, v27
	s_delay_alu instid0(VALU_DEP_1) | instskip(NEXT) | instid1(VALU_DEP_2)
	v_ashrrev_i32_e32 v24, 31, v21
	v_ashrrev_i32_e32 v25, 31, v22
	s_delay_alu instid0(VALU_DEP_2) | instskip(NEXT) | instid1(VALU_DEP_2)
	v_or_b32_e32 v24, 0x80000000, v24
	v_or_b32_e32 v25, 0x80000000, v25
	s_delay_alu instid0(VALU_DEP_2) | instskip(NEXT) | instid1(VALU_DEP_2)
	v_xor_b32_e32 v21, v24, v21
	v_xor_b32_e32 v22, v25, v22
	s_delay_alu instid0(VALU_DEP_1)
	v_cmp_le_u32_e64 s7, v21, v22
	s_and_b32 s15, s7, exec_lo
.LBB1443_189:
	s_wait_alu 0xfffe
	s_or_b32 exec_lo, exec_lo, s13
	s_delay_alu instid0(SALU_CYCLE_1)
	s_or_not1_b32 s13, s15, exec_lo
.LBB1443_190:
	s_wait_alu 0xfffe
	s_or_b32 exec_lo, exec_lo, s14
	v_cndmask_b32_e64 v21, v19, v23, s13
	v_cndmask_b32_e64 v22, v53, v52, s13
	s_mov_b32 s15, -1
	s_mov_b32 s14, -1
	s_mov_b32 s16, exec_lo
	v_add_nc_u32_e32 v24, 1, v21
	v_add_nc_u32_e32 v22, -1, v22
	v_lshl_add_u32 v21, v21, 3, v31
	s_delay_alu instid0(VALU_DEP_3) | instskip(NEXT) | instid1(VALU_DEP_3)
	v_cndmask_b32_e64 v19, v24, v19, s13
	v_min_u32_e32 v22, v24, v22
	v_cndmask_b32_e64 v23, v23, v24, s13
	s_delay_alu instid0(VALU_DEP_2)
	v_lshl_add_u32 v22, v22, 2, v34
	ds_load_b32 v25, v22
	ds_load_b64 v[21:22], v21 offset:8192
	s_wait_dscnt 0x1
	v_cndmask_b32_e64 v28, v25, v27, s13
	v_cndmask_b32_e64 v66, v65, v25, s13
	v_cmpx_lt_u32_e64 v19, v53
	s_cbranch_execz .LBB1443_194
; %bb.191:
	s_mov_b32 s17, 0
	s_mov_b32 s14, exec_lo
	v_cmpx_lt_u32_e64 v23, v52
	s_cbranch_execz .LBB1443_193
; %bb.192:
	v_dual_add_f32 v24, 0, v66 :: v_dual_add_f32 v25, 0, v28
	s_delay_alu instid0(VALU_DEP_1) | instskip(NEXT) | instid1(VALU_DEP_2)
	v_ashrrev_i32_e32 v26, 31, v24
	v_ashrrev_i32_e32 v32, 31, v25
	s_delay_alu instid0(VALU_DEP_2) | instskip(NEXT) | instid1(VALU_DEP_2)
	v_or_b32_e32 v26, 0x80000000, v26
	v_or_b32_e32 v32, 0x80000000, v32
	s_delay_alu instid0(VALU_DEP_2) | instskip(NEXT) | instid1(VALU_DEP_2)
	v_xor_b32_e32 v24, v26, v24
	v_xor_b32_e32 v25, v32, v25
	s_delay_alu instid0(VALU_DEP_1)
	v_cmp_le_u32_e64 s7, v24, v25
	s_and_b32 s17, s7, exec_lo
.LBB1443_193:
	s_wait_alu 0xfffe
	s_or_b32 exec_lo, exec_lo, s14
	s_delay_alu instid0(SALU_CYCLE_1)
	s_or_not1_b32 s14, s17, exec_lo
.LBB1443_194:
	s_wait_alu 0xfffe
	s_or_b32 exec_lo, exec_lo, s16
	v_cndmask_b32_e64 v24, v19, v23, s14
	v_cndmask_b32_e64 v25, v53, v52, s14
	s_mov_b32 s16, exec_lo
	s_delay_alu instid0(VALU_DEP_2) | instskip(NEXT) | instid1(VALU_DEP_2)
	v_add_nc_u32_e32 v33, 1, v24
	v_add_nc_u32_e32 v25, -1, v25
	v_lshl_add_u32 v24, v24, 3, v31
	s_delay_alu instid0(VALU_DEP_3) | instskip(NEXT) | instid1(VALU_DEP_3)
	v_cndmask_b32_e64 v32, v33, v19, s14
	v_min_u32_e32 v25, v33, v25
	v_cndmask_b32_e64 v33, v23, v33, s14
	s_delay_alu instid0(VALU_DEP_2)
	v_lshl_add_u32 v25, v25, 2, v34
	ds_load_b32 v67, v25
	ds_load_b64 v[25:26], v24 offset:8192
	s_wait_dscnt 0x1
	v_cndmask_b32_e64 v19, v67, v28, s14
	v_cndmask_b32_e64 v67, v66, v67, s14
	v_cmpx_lt_u32_e64 v32, v53
	s_cbranch_execz .LBB1443_198
; %bb.195:
	s_mov_b32 s17, 0
	s_mov_b32 s15, exec_lo
	v_cmpx_lt_u32_e64 v33, v52
	s_cbranch_execz .LBB1443_197
; %bb.196:
	v_add_f32_e32 v23, 0, v67
	v_add_f32_e32 v24, 0, v19
	s_delay_alu instid0(VALU_DEP_2) | instskip(NEXT) | instid1(VALU_DEP_2)
	v_ashrrev_i32_e32 v68, 31, v23
	v_ashrrev_i32_e32 v69, 31, v24
	s_delay_alu instid0(VALU_DEP_2) | instskip(NEXT) | instid1(VALU_DEP_2)
	v_or_b32_e32 v68, 0x80000000, v68
	v_or_b32_e32 v69, 0x80000000, v69
	s_delay_alu instid0(VALU_DEP_2) | instskip(NEXT) | instid1(VALU_DEP_2)
	v_xor_b32_e32 v23, v68, v23
	v_xor_b32_e32 v24, v69, v24
	s_delay_alu instid0(VALU_DEP_1)
	v_cmp_le_u32_e64 s7, v23, v24
	s_and_b32 s17, s7, exec_lo
.LBB1443_197:
	s_wait_alu 0xfffe
	s_or_b32 exec_lo, exec_lo, s15
	s_delay_alu instid0(SALU_CYCLE_1)
	s_or_not1_b32 s15, s17, exec_lo
.LBB1443_198:
	s_wait_alu 0xfffe
	s_or_b32 exec_lo, exec_lo, s16
	v_cndmask_b32_e64 v23, v32, v33, s15
	v_cndmask_b32_e64 v24, v53, v52, s15
	s_mov_b32 s17, -1
	s_mov_b32 s16, exec_lo
	s_delay_alu instid0(VALU_DEP_2) | instskip(NEXT) | instid1(VALU_DEP_2)
	v_add_nc_u32_e32 v68, 1, v23
	v_add_nc_u32_e32 v24, -1, v24
	v_lshl_add_u32 v23, v23, 3, v31
	s_delay_alu instid0(VALU_DEP_3) | instskip(NEXT) | instid1(VALU_DEP_3)
	v_cndmask_b32_e64 v32, v68, v32, s15
	v_min_u32_e32 v24, v68, v24
	v_cndmask_b32_e64 v33, v33, v68, s15
	s_delay_alu instid0(VALU_DEP_2)
	v_lshl_add_u32 v24, v24, 2, v34
	ds_load_b32 v69, v24
	ds_load_b64 v[23:24], v23 offset:8192
	s_wait_dscnt 0x1
	v_cndmask_b32_e64 v68, v69, v19, s15
	v_cndmask_b32_e64 v69, v67, v69, s15
	v_cmpx_lt_u32_e64 v32, v53
	s_cbranch_execz .LBB1443_202
; %bb.199:
	s_mov_b32 s18, 0
	s_mov_b32 s17, exec_lo
	v_cmpx_lt_u32_e64 v33, v52
	s_cbranch_execz .LBB1443_201
; %bb.200:
	v_dual_add_f32 v52, 0, v69 :: v_dual_add_f32 v53, 0, v68
	s_delay_alu instid0(VALU_DEP_1) | instskip(NEXT) | instid1(VALU_DEP_2)
	v_ashrrev_i32_e32 v70, 31, v52
	v_ashrrev_i32_e32 v71, 31, v53
	s_delay_alu instid0(VALU_DEP_2) | instskip(NEXT) | instid1(VALU_DEP_2)
	v_or_b32_e32 v70, 0x80000000, v70
	v_or_b32_e32 v71, 0x80000000, v71
	s_delay_alu instid0(VALU_DEP_2) | instskip(NEXT) | instid1(VALU_DEP_2)
	v_xor_b32_e32 v52, v70, v52
	v_xor_b32_e32 v53, v71, v53
	s_delay_alu instid0(VALU_DEP_1)
	v_cmp_le_u32_e64 s7, v52, v53
	s_and_b32 s18, s7, exec_lo
.LBB1443_201:
	s_wait_alu 0xfffe
	s_or_b32 exec_lo, exec_lo, s17
	s_delay_alu instid0(SALU_CYCLE_1)
	s_or_not1_b32 s17, s18, exec_lo
.LBB1443_202:
	s_wait_alu 0xfffe
	s_or_b32 exec_lo, exec_lo, s16
	v_cndmask_b32_e64 v32, v32, v33, s17
	v_cndmask_b32_e64 v19, v19, v67, s15
	;; [unrolled: 1-line block ×5, first 2 shown]
	v_lshl_add_u32 v32, v32, 3, v31
	v_cndmask_b32_e64 v29, v29, v55, s11
	v_cndmask_b32_e64 v18, v18, v54, s8
	;; [unrolled: 1-line block ×4, first 2 shown]
	ds_load_b64 v[32:33], v32 offset:8192
.LBB1443_203:
	s_wait_alu 0xfffe
	s_or_b32 exec_lo, exec_lo, s9
	v_and_b32_e32 v53, 0x80, v50
	v_min_u32_e32 v49, v36, v49
	; wave barrier
	ds_store_2addr_b64 v37, v[4:5], v[8:9] offset1:1
	ds_store_2addr_b64 v38, v[13:14], v[15:16] offset1:1
	;; [unrolled: 1-line block ×3, first 2 shown]
	ds_store_2addr_b64 v35, v[27:28], v[19:20] offset0:2 offset1:3
	v_or_b32_e32 v50, 64, v53
	v_lshl_add_u32 v35, v53, 2, v34
	s_mov_b32 s8, exec_lo
	ds_store_2addr_b64 v39, v[21:22], v[25:26] offset1:1
	s_wait_dscnt 0x5
	ds_store_2addr_b64 v51, v[23:24], v[32:33] offset1:1
	v_min_u32_e32 v50, v36, v50
	; wave barrier
	s_delay_alu instid0(VALU_DEP_1) | instskip(NEXT) | instid1(VALU_DEP_1)
	v_add_nc_u32_e32 v52, 64, v50
	v_min_u32_e32 v52, v36, v52
	v_sub_nc_u32_e32 v36, v50, v53
	s_delay_alu instid0(VALU_DEP_2) | instskip(NEXT) | instid1(VALU_DEP_2)
	v_sub_nc_u32_e32 v55, v52, v50
	v_min_u32_e32 v54, v49, v36
	s_delay_alu instid0(VALU_DEP_2) | instskip(NEXT) | instid1(VALU_DEP_1)
	v_sub_nc_u32_e64 v36, v49, v55 clamp
	v_cmpx_lt_u32_e64 v36, v54
	s_cbranch_execz .LBB1443_207
; %bb.204:
	v_lshlrev_b32_e32 v37, 2, v50
	v_lshlrev_b32_e32 v38, 2, v49
	s_mov_b32 s9, 0
	s_delay_alu instid0(VALU_DEP_1)
	v_add3_u32 v37, v34, v37, v38
.LBB1443_205:                           ; =>This Inner Loop Header: Depth=1
	v_add_nc_u32_e32 v38, v54, v36
	s_delay_alu instid0(VALU_DEP_1) | instskip(NEXT) | instid1(VALU_DEP_1)
	v_lshrrev_b32_e32 v38, 1, v38
	v_not_b32_e32 v39, v38
	v_lshl_add_u32 v51, v38, 2, v35
	s_delay_alu instid0(VALU_DEP_2)
	v_lshl_add_u32 v39, v39, 2, v37
	ds_load_b32 v51, v51
	ds_load_b32 v39, v39
	s_wait_dscnt 0x1
	v_add_f32_e32 v51, 0, v51
	s_wait_dscnt 0x0
	v_add_f32_e32 v39, 0, v39
	s_delay_alu instid0(VALU_DEP_2) | instskip(NEXT) | instid1(VALU_DEP_2)
	v_ashrrev_i32_e32 v55, 31, v51
	v_ashrrev_i32_e32 v64, 31, v39
	s_delay_alu instid0(VALU_DEP_2) | instskip(NEXT) | instid1(VALU_DEP_2)
	v_or_b32_e32 v55, 0x80000000, v55
	v_or_b32_e32 v64, 0x80000000, v64
	s_delay_alu instid0(VALU_DEP_2) | instskip(NEXT) | instid1(VALU_DEP_2)
	v_xor_b32_e32 v51, v55, v51
	v_xor_b32_e32 v39, v64, v39
	v_add_nc_u32_e32 v55, 1, v38
	s_delay_alu instid0(VALU_DEP_2) | instskip(SKIP_1) | instid1(VALU_DEP_1)
	v_cmp_gt_u32_e64 s7, v51, v39
	s_wait_alu 0xf1ff
	v_cndmask_b32_e64 v54, v54, v38, s7
	s_delay_alu instid0(VALU_DEP_3) | instskip(NEXT) | instid1(VALU_DEP_1)
	v_cndmask_b32_e64 v36, v55, v36, s7
	v_cmp_ge_u32_e64 s7, v36, v54
	s_wait_alu 0xfffe
	s_or_b32 s9, s7, s9
	s_wait_alu 0xfffe
	s_and_not1_b32 exec_lo, exec_lo, s9
	s_cbranch_execnz .LBB1443_205
; %bb.206:
	s_or_b32 exec_lo, exec_lo, s9
.LBB1443_207:
	s_wait_alu 0xfffe
	s_or_b32 exec_lo, exec_lo, s8
	v_add_nc_u32_e32 v38, v50, v49
	v_add_nc_u32_e32 v37, v36, v53
	s_delay_alu instid0(VALU_DEP_2) | instskip(NEXT) | instid1(VALU_DEP_2)
	v_sub_nc_u32_e32 v38, v38, v36
	v_cmp_le_u32_e64 s7, v37, v50
	s_delay_alu instid0(VALU_DEP_2)
	v_cmp_le_u32_e64 s8, v38, v52
	s_or_b32 s7, s7, s8
	s_wait_alu 0xfffe
	s_and_saveexec_b32 s9, s7
	s_cbranch_execz .LBB1443_243
; %bb.208:
	v_cmp_ge_u32_e64 s7, v37, v50
	s_mov_b32 s10, exec_lo
                                        ; implicit-def: $vgpr17
	v_cmpx_lt_u32_e64 v37, v50
; %bb.209:
	v_lshl_add_u32 v4, v36, 2, v35
	ds_load_b32 v17, v4
; %bb.210:
	s_wait_alu 0xfffe
	s_or_b32 exec_lo, exec_lo, s10
	v_cmp_ge_u32_e64 s10, v38, v52
	s_mov_b32 s11, exec_lo
                                        ; implicit-def: $vgpr20
	v_cmpx_lt_u32_e64 v38, v52
; %bb.211:
	v_lshl_add_u32 v4, v38, 2, v34
	ds_load_b32 v20, v4
; %bb.212:
	s_wait_alu 0xfffe
	s_or_b32 exec_lo, exec_lo, s11
	s_nor_b32 s7, s7, s10
	s_wait_alu 0xfffe
	s_and_saveexec_b32 s8, s7
	s_cbranch_execz .LBB1443_214
; %bb.213:
	s_wait_dscnt 0x0
	v_dual_add_f32 v4, 0, v17 :: v_dual_add_f32 v5, 0, v20
	s_and_not1_b32 s10, s10, exec_lo
	s_delay_alu instid0(VALU_DEP_1) | instskip(NEXT) | instid1(VALU_DEP_2)
	v_ashrrev_i32_e32 v8, 31, v4
	v_ashrrev_i32_e32 v9, 31, v5
	s_delay_alu instid0(VALU_DEP_2) | instskip(NEXT) | instid1(VALU_DEP_2)
	v_or_b32_e32 v8, 0x80000000, v8
	v_or_b32_e32 v9, 0x80000000, v9
	s_delay_alu instid0(VALU_DEP_2) | instskip(NEXT) | instid1(VALU_DEP_2)
	v_xor_b32_e32 v4, v8, v4
	v_xor_b32_e32 v5, v9, v5
	s_delay_alu instid0(VALU_DEP_1)
	v_cmp_le_u32_e64 s7, v4, v5
	s_and_b32 s7, s7, exec_lo
	s_wait_alu 0xfffe
	s_or_b32 s10, s10, s7
.LBB1443_214:
	s_wait_alu 0xfffe
	s_or_b32 exec_lo, exec_lo, s8
	v_cndmask_b32_e64 v4, v38, v37, s10
	v_cndmask_b32_e64 v5, v52, v50, s10
	s_mov_b32 s11, -1
	s_mov_b32 s8, -1
	s_mov_b32 s12, exec_lo
	v_add_nc_u32_e32 v8, 1, v4
	v_add_nc_u32_e32 v5, -1, v5
	v_lshl_add_u32 v4, v4, 3, v31
	s_delay_alu instid0(VALU_DEP_3) | instskip(NEXT) | instid1(VALU_DEP_3)
	v_cndmask_b32_e64 v13, v8, v38, s10
	v_min_u32_e32 v5, v8, v5
	v_cndmask_b32_e64 v14, v37, v8, s10
	s_delay_alu instid0(VALU_DEP_2)
	v_lshl_add_u32 v5, v5, 2, v34
	ds_load_b32 v9, v5
	ds_load_b64 v[4:5], v4 offset:8192
	s_wait_dscnt 0x1
	v_cndmask_b32_e64 v18, v9, v20, s10
	v_cndmask_b32_e64 v35, v17, v9, s10
	v_cmpx_lt_u32_e64 v13, v52
	s_cbranch_execz .LBB1443_218
; %bb.215:
	s_mov_b32 s13, 0
	s_mov_b32 s8, exec_lo
	v_cmpx_lt_u32_e64 v14, v50
	s_cbranch_execz .LBB1443_217
; %bb.216:
	v_dual_add_f32 v8, 0, v35 :: v_dual_add_f32 v9, 0, v18
	s_delay_alu instid0(VALU_DEP_1) | instskip(NEXT) | instid1(VALU_DEP_2)
	v_ashrrev_i32_e32 v15, 31, v8
	v_ashrrev_i32_e32 v16, 31, v9
	s_delay_alu instid0(VALU_DEP_2) | instskip(NEXT) | instid1(VALU_DEP_2)
	v_or_b32_e32 v15, 0x80000000, v15
	v_or_b32_e32 v16, 0x80000000, v16
	s_delay_alu instid0(VALU_DEP_2) | instskip(NEXT) | instid1(VALU_DEP_2)
	v_xor_b32_e32 v8, v15, v8
	v_xor_b32_e32 v9, v16, v9
	s_delay_alu instid0(VALU_DEP_1)
	v_cmp_le_u32_e64 s7, v8, v9
	s_and_b32 s13, s7, exec_lo
.LBB1443_217:
	s_wait_alu 0xfffe
	s_or_b32 exec_lo, exec_lo, s8
	s_delay_alu instid0(SALU_CYCLE_1)
	s_or_not1_b32 s8, s13, exec_lo
.LBB1443_218:
	s_wait_alu 0xfffe
	s_or_b32 exec_lo, exec_lo, s12
	v_cndmask_b32_e64 v8, v13, v14, s8
	v_cndmask_b32_e64 v9, v52, v50, s8
	s_mov_b32 s12, exec_lo
	s_delay_alu instid0(VALU_DEP_2) | instskip(NEXT) | instid1(VALU_DEP_2)
	v_add_nc_u32_e32 v16, 1, v8
	v_add_nc_u32_e32 v9, -1, v9
	v_lshl_add_u32 v8, v8, 3, v31
	s_delay_alu instid0(VALU_DEP_3) | instskip(NEXT) | instid1(VALU_DEP_3)
	v_cndmask_b32_e64 v15, v16, v13, s8
	v_min_u32_e32 v9, v16, v9
	v_cndmask_b32_e64 v16, v14, v16, s8
	s_delay_alu instid0(VALU_DEP_2)
	v_lshl_add_u32 v9, v9, 2, v34
	ds_load_b32 v19, v9
	ds_load_b64 v[8:9], v8 offset:8192
	s_wait_dscnt 0x1
	v_cndmask_b32_e64 v29, v19, v18, s8
	v_cndmask_b32_e64 v36, v35, v19, s8
	v_cmpx_lt_u32_e64 v15, v52
	s_cbranch_execz .LBB1443_222
; %bb.219:
	s_mov_b32 s13, 0
	s_mov_b32 s11, exec_lo
	v_cmpx_lt_u32_e64 v16, v50
	s_cbranch_execz .LBB1443_221
; %bb.220:
	v_dual_add_f32 v13, 0, v36 :: v_dual_add_f32 v14, 0, v29
	s_delay_alu instid0(VALU_DEP_1) | instskip(NEXT) | instid1(VALU_DEP_2)
	v_ashrrev_i32_e32 v19, 31, v13
	v_ashrrev_i32_e32 v21, 31, v14
	s_delay_alu instid0(VALU_DEP_2) | instskip(NEXT) | instid1(VALU_DEP_2)
	v_or_b32_e32 v19, 0x80000000, v19
	v_or_b32_e32 v21, 0x80000000, v21
	s_delay_alu instid0(VALU_DEP_2) | instskip(NEXT) | instid1(VALU_DEP_2)
	v_xor_b32_e32 v13, v19, v13
	v_xor_b32_e32 v14, v21, v14
	s_delay_alu instid0(VALU_DEP_1)
	v_cmp_le_u32_e64 s7, v13, v14
	s_and_b32 s13, s7, exec_lo
.LBB1443_221:
	s_wait_alu 0xfffe
	s_or_b32 exec_lo, exec_lo, s11
	s_delay_alu instid0(SALU_CYCLE_1)
	s_or_not1_b32 s11, s13, exec_lo
.LBB1443_222:
	s_wait_alu 0xfffe
	s_or_b32 exec_lo, exec_lo, s12
	v_cndmask_b32_e64 v13, v15, v16, s11
	v_cndmask_b32_e64 v14, v52, v50, s11
	s_mov_b32 s13, -1
	s_mov_b32 s12, -1
	s_mov_b32 s14, exec_lo
	v_add_nc_u32_e32 v21, 1, v13
	v_add_nc_u32_e32 v14, -1, v14
	v_lshl_add_u32 v13, v13, 3, v31
	s_delay_alu instid0(VALU_DEP_3) | instskip(NEXT) | instid1(VALU_DEP_3)
	v_cndmask_b32_e64 v19, v21, v15, s11
	v_min_u32_e32 v14, v21, v14
	v_cndmask_b32_e64 v21, v16, v21, s11
	s_delay_alu instid0(VALU_DEP_2)
	v_lshl_add_u32 v14, v14, 2, v34
	ds_load_b32 v22, v14
	ds_load_b64 v[13:14], v13 offset:8192
	s_wait_dscnt 0x1
	v_cndmask_b32_e64 v30, v22, v29, s11
	v_cndmask_b32_e64 v37, v36, v22, s11
	v_cmpx_lt_u32_e64 v19, v52
	s_cbranch_execz .LBB1443_226
; %bb.223:
	s_mov_b32 s15, 0
	s_mov_b32 s12, exec_lo
	v_cmpx_lt_u32_e64 v21, v50
	s_cbranch_execz .LBB1443_225
; %bb.224:
	v_dual_add_f32 v15, 0, v37 :: v_dual_add_f32 v16, 0, v30
	s_delay_alu instid0(VALU_DEP_1) | instskip(NEXT) | instid1(VALU_DEP_2)
	v_ashrrev_i32_e32 v22, 31, v15
	v_ashrrev_i32_e32 v23, 31, v16
	s_delay_alu instid0(VALU_DEP_2) | instskip(NEXT) | instid1(VALU_DEP_2)
	v_or_b32_e32 v22, 0x80000000, v22
	v_or_b32_e32 v23, 0x80000000, v23
	s_delay_alu instid0(VALU_DEP_2) | instskip(NEXT) | instid1(VALU_DEP_2)
	v_xor_b32_e32 v15, v22, v15
	v_xor_b32_e32 v16, v23, v16
	s_delay_alu instid0(VALU_DEP_1)
	v_cmp_le_u32_e64 s7, v15, v16
	s_and_b32 s15, s7, exec_lo
.LBB1443_225:
	s_wait_alu 0xfffe
	s_or_b32 exec_lo, exec_lo, s12
	s_delay_alu instid0(SALU_CYCLE_1)
	s_or_not1_b32 s12, s15, exec_lo
.LBB1443_226:
	s_wait_alu 0xfffe
	s_or_b32 exec_lo, exec_lo, s14
	v_cndmask_b32_e64 v15, v19, v21, s12
	v_cndmask_b32_e64 v16, v52, v50, s12
	s_mov_b32 s14, exec_lo
	s_delay_alu instid0(VALU_DEP_2) | instskip(NEXT) | instid1(VALU_DEP_2)
	v_add_nc_u32_e32 v22, 1, v15
	v_add_nc_u32_e32 v16, -1, v16
	v_lshl_add_u32 v15, v15, 3, v31
	s_delay_alu instid0(VALU_DEP_3) | instskip(NEXT) | instid1(VALU_DEP_3)
	v_cndmask_b32_e64 v19, v22, v19, s12
	v_min_u32_e32 v16, v22, v16
	v_cndmask_b32_e64 v23, v21, v22, s12
	s_delay_alu instid0(VALU_DEP_2)
	v_lshl_add_u32 v16, v16, 2, v34
	ds_load_b32 v24, v16
	ds_load_b64 v[15:16], v15 offset:8192
	s_wait_dscnt 0x1
	v_cndmask_b32_e64 v27, v24, v30, s12
	v_cndmask_b32_e64 v38, v37, v24, s12
	v_cmpx_lt_u32_e64 v19, v52
	s_cbranch_execz .LBB1443_230
; %bb.227:
	s_mov_b32 s15, 0
	s_mov_b32 s13, exec_lo
	v_cmpx_lt_u32_e64 v23, v50
	s_cbranch_execz .LBB1443_229
; %bb.228:
	v_dual_add_f32 v21, 0, v38 :: v_dual_add_f32 v22, 0, v27
	s_delay_alu instid0(VALU_DEP_1) | instskip(NEXT) | instid1(VALU_DEP_2)
	v_ashrrev_i32_e32 v24, 31, v21
	v_ashrrev_i32_e32 v25, 31, v22
	s_delay_alu instid0(VALU_DEP_2) | instskip(NEXT) | instid1(VALU_DEP_2)
	v_or_b32_e32 v24, 0x80000000, v24
	v_or_b32_e32 v25, 0x80000000, v25
	s_delay_alu instid0(VALU_DEP_2) | instskip(NEXT) | instid1(VALU_DEP_2)
	v_xor_b32_e32 v21, v24, v21
	v_xor_b32_e32 v22, v25, v22
	s_delay_alu instid0(VALU_DEP_1)
	v_cmp_le_u32_e64 s7, v21, v22
	s_and_b32 s15, s7, exec_lo
.LBB1443_229:
	s_wait_alu 0xfffe
	s_or_b32 exec_lo, exec_lo, s13
	s_delay_alu instid0(SALU_CYCLE_1)
	s_or_not1_b32 s13, s15, exec_lo
.LBB1443_230:
	s_wait_alu 0xfffe
	s_or_b32 exec_lo, exec_lo, s14
	v_cndmask_b32_e64 v21, v19, v23, s13
	v_cndmask_b32_e64 v22, v52, v50, s13
	s_mov_b32 s15, -1
	s_mov_b32 s14, -1
	s_mov_b32 s16, exec_lo
	v_add_nc_u32_e32 v24, 1, v21
	v_add_nc_u32_e32 v22, -1, v22
	v_lshl_add_u32 v21, v21, 3, v31
	s_delay_alu instid0(VALU_DEP_3) | instskip(NEXT) | instid1(VALU_DEP_3)
	v_cndmask_b32_e64 v19, v24, v19, s13
	v_min_u32_e32 v22, v24, v22
	v_cndmask_b32_e64 v23, v23, v24, s13
	s_delay_alu instid0(VALU_DEP_2)
	v_lshl_add_u32 v22, v22, 2, v34
	ds_load_b32 v25, v22
	ds_load_b64 v[21:22], v21 offset:8192
	s_wait_dscnt 0x1
	v_cndmask_b32_e64 v28, v25, v27, s13
	v_cndmask_b32_e64 v39, v38, v25, s13
	v_cmpx_lt_u32_e64 v19, v52
	s_cbranch_execz .LBB1443_234
; %bb.231:
	s_mov_b32 s17, 0
	s_mov_b32 s14, exec_lo
	v_cmpx_lt_u32_e64 v23, v50
	s_cbranch_execz .LBB1443_233
; %bb.232:
	v_dual_add_f32 v24, 0, v39 :: v_dual_add_f32 v25, 0, v28
	s_delay_alu instid0(VALU_DEP_1) | instskip(NEXT) | instid1(VALU_DEP_2)
	v_ashrrev_i32_e32 v26, 31, v24
	v_ashrrev_i32_e32 v32, 31, v25
	s_delay_alu instid0(VALU_DEP_2) | instskip(NEXT) | instid1(VALU_DEP_2)
	v_or_b32_e32 v26, 0x80000000, v26
	v_or_b32_e32 v32, 0x80000000, v32
	s_delay_alu instid0(VALU_DEP_2) | instskip(NEXT) | instid1(VALU_DEP_2)
	v_xor_b32_e32 v24, v26, v24
	v_xor_b32_e32 v25, v32, v25
	s_delay_alu instid0(VALU_DEP_1)
	v_cmp_le_u32_e64 s7, v24, v25
	s_and_b32 s17, s7, exec_lo
.LBB1443_233:
	s_wait_alu 0xfffe
	s_or_b32 exec_lo, exec_lo, s14
	s_delay_alu instid0(SALU_CYCLE_1)
	s_or_not1_b32 s14, s17, exec_lo
.LBB1443_234:
	s_wait_alu 0xfffe
	s_or_b32 exec_lo, exec_lo, s16
	v_cndmask_b32_e64 v24, v19, v23, s14
	v_cndmask_b32_e64 v25, v52, v50, s14
	s_mov_b32 s16, exec_lo
	s_delay_alu instid0(VALU_DEP_2) | instskip(NEXT) | instid1(VALU_DEP_2)
	v_add_nc_u32_e32 v33, 1, v24
	v_add_nc_u32_e32 v25, -1, v25
	v_lshl_add_u32 v24, v24, 3, v31
	s_delay_alu instid0(VALU_DEP_3) | instskip(NEXT) | instid1(VALU_DEP_3)
	v_cndmask_b32_e64 v32, v33, v19, s14
	v_min_u32_e32 v25, v33, v25
	v_cndmask_b32_e64 v33, v23, v33, s14
	s_delay_alu instid0(VALU_DEP_2)
	v_lshl_add_u32 v25, v25, 2, v34
	ds_load_b32 v49, v25
	ds_load_b64 v[25:26], v24 offset:8192
	s_wait_dscnt 0x1
	v_cndmask_b32_e64 v19, v49, v28, s14
	v_cndmask_b32_e64 v49, v39, v49, s14
	v_cmpx_lt_u32_e64 v32, v52
	s_cbranch_execz .LBB1443_238
; %bb.235:
	s_mov_b32 s17, 0
	s_mov_b32 s15, exec_lo
	v_cmpx_lt_u32_e64 v33, v50
	s_cbranch_execz .LBB1443_237
; %bb.236:
	v_dual_add_f32 v23, 0, v49 :: v_dual_add_f32 v24, 0, v19
	s_delay_alu instid0(VALU_DEP_1) | instskip(NEXT) | instid1(VALU_DEP_2)
	v_ashrrev_i32_e32 v51, 31, v23
	v_ashrrev_i32_e32 v53, 31, v24
	s_delay_alu instid0(VALU_DEP_2) | instskip(NEXT) | instid1(VALU_DEP_2)
	v_or_b32_e32 v51, 0x80000000, v51
	v_or_b32_e32 v53, 0x80000000, v53
	s_delay_alu instid0(VALU_DEP_2) | instskip(NEXT) | instid1(VALU_DEP_2)
	v_xor_b32_e32 v23, v51, v23
	v_xor_b32_e32 v24, v53, v24
	s_delay_alu instid0(VALU_DEP_1)
	v_cmp_le_u32_e64 s7, v23, v24
	s_and_b32 s17, s7, exec_lo
.LBB1443_237:
	s_wait_alu 0xfffe
	s_or_b32 exec_lo, exec_lo, s15
	s_delay_alu instid0(SALU_CYCLE_1)
	s_or_not1_b32 s15, s17, exec_lo
.LBB1443_238:
	s_wait_alu 0xfffe
	s_or_b32 exec_lo, exec_lo, s16
	v_cndmask_b32_e64 v23, v32, v33, s15
	v_cndmask_b32_e64 v24, v52, v50, s15
	s_mov_b32 s17, -1
	s_mov_b32 s16, exec_lo
	s_delay_alu instid0(VALU_DEP_2) | instskip(NEXT) | instid1(VALU_DEP_2)
	v_add_nc_u32_e32 v51, 1, v23
	v_add_nc_u32_e32 v24, -1, v24
	v_lshl_add_u32 v23, v23, 3, v31
	s_delay_alu instid0(VALU_DEP_3) | instskip(NEXT) | instid1(VALU_DEP_3)
	v_cndmask_b32_e64 v32, v51, v32, s15
	v_min_u32_e32 v24, v51, v24
	v_cndmask_b32_e64 v33, v33, v51, s15
	s_delay_alu instid0(VALU_DEP_2)
	v_lshl_add_u32 v24, v24, 2, v34
	ds_load_b32 v53, v24
	ds_load_b64 v[23:24], v23 offset:8192
	s_wait_dscnt 0x1
	v_cndmask_b32_e64 v34, v53, v19, s15
	v_cndmask_b32_e64 v51, v49, v53, s15
	v_cmpx_lt_u32_e64 v32, v52
	s_cbranch_execz .LBB1443_242
; %bb.239:
	s_mov_b32 s18, 0
	s_mov_b32 s17, exec_lo
	v_cmpx_lt_u32_e64 v33, v50
	s_cbranch_execz .LBB1443_241
; %bb.240:
	v_add_f32_e32 v50, 0, v51
	v_add_f32_e32 v52, 0, v34
	s_delay_alu instid0(VALU_DEP_2) | instskip(NEXT) | instid1(VALU_DEP_2)
	v_ashrrev_i32_e32 v53, 31, v50
	v_ashrrev_i32_e32 v54, 31, v52
	s_delay_alu instid0(VALU_DEP_2) | instskip(NEXT) | instid1(VALU_DEP_2)
	v_or_b32_e32 v53, 0x80000000, v53
	v_or_b32_e32 v54, 0x80000000, v54
	s_delay_alu instid0(VALU_DEP_2) | instskip(NEXT) | instid1(VALU_DEP_2)
	v_xor_b32_e32 v50, v53, v50
	v_xor_b32_e32 v52, v54, v52
	s_delay_alu instid0(VALU_DEP_1)
	v_cmp_le_u32_e64 s7, v50, v52
	s_and_b32 s18, s7, exec_lo
.LBB1443_241:
	s_wait_alu 0xfffe
	s_or_b32 exec_lo, exec_lo, s17
	s_delay_alu instid0(SALU_CYCLE_1)
	s_or_not1_b32 s17, s18, exec_lo
.LBB1443_242:
	s_wait_alu 0xfffe
	s_or_b32 exec_lo, exec_lo, s16
	v_cndmask_b32_e64 v32, v32, v33, s17
	v_cndmask_b32_e64 v19, v19, v49, s15
	;; [unrolled: 1-line block ×5, first 2 shown]
	v_lshl_add_u32 v31, v32, 3, v31
	v_cndmask_b32_e64 v29, v29, v36, s11
	v_cndmask_b32_e64 v18, v18, v35, s8
	;; [unrolled: 1-line block ×4, first 2 shown]
	ds_load_b64 v[32:33], v31 offset:8192
.LBB1443_243:
	s_wait_alu 0xfffe
	s_or_b32 exec_lo, exec_lo, s9
	v_add_co_u32 v2, s7, v2, v11
	s_wait_alu 0xf1ff
	v_add_co_ci_u32_e64 v3, null, v3, v12, s7
	s_delay_alu instid0(VALU_DEP_2) | instskip(SKIP_1) | instid1(VALU_DEP_2)
	v_add_co_u32 v2, s7, v2, v48
	s_wait_alu 0xf1ff
	v_add_co_ci_u32_e64 v3, null, 0, v3, s7
	; wave barrier
	s_wait_storecnt_dscnt 0x0
	s_barrier_signal -1
	s_barrier_wait -1
	global_inv scope:SCOPE_SE
	; wave barrier
	s_and_saveexec_b32 s7, vcc_lo
	s_cbranch_execnz .LBB1443_268
; %bb.244:
	s_wait_alu 0xfffe
	s_or_b32 exec_lo, exec_lo, s7
	s_and_saveexec_b32 s7, s0
	s_cbranch_execnz .LBB1443_269
.LBB1443_245:
	s_wait_alu 0xfffe
	s_or_b32 exec_lo, exec_lo, s7
	s_and_saveexec_b32 s7, s1
	s_cbranch_execnz .LBB1443_270
.LBB1443_246:
	s_wait_alu 0xfffe
	s_or_b32 exec_lo, exec_lo, s7
	s_and_saveexec_b32 s7, s2
	s_cbranch_execnz .LBB1443_271
.LBB1443_247:
	s_wait_alu 0xfffe
	s_or_b32 exec_lo, exec_lo, s7
	s_and_saveexec_b32 s7, s3
	s_cbranch_execnz .LBB1443_272
.LBB1443_248:
	s_wait_alu 0xfffe
	s_or_b32 exec_lo, exec_lo, s7
	s_and_saveexec_b32 s7, s4
	s_cbranch_execnz .LBB1443_273
.LBB1443_249:
	s_wait_alu 0xfffe
	s_or_b32 exec_lo, exec_lo, s7
	s_and_saveexec_b32 s7, s5
	s_cbranch_execnz .LBB1443_274
.LBB1443_250:
	s_wait_alu 0xfffe
	s_or_b32 exec_lo, exec_lo, s7
	s_and_saveexec_b32 s7, s6
	s_cbranch_execz .LBB1443_252
.LBB1443_251:
	flat_store_b32 v[2:3], v20 offset:28
.LBB1443_252:
	s_wait_alu 0xfffe
	s_or_b32 exec_lo, exec_lo, s7
	v_add_co_u32 v0, s7, v6, v0
	s_wait_alu 0xf1ff
	v_add_co_ci_u32_e64 v1, null, v7, v1, s7
	s_delay_alu instid0(VALU_DEP_2) | instskip(SKIP_1) | instid1(VALU_DEP_2)
	v_add_co_u32 v0, s7, v0, v10
	s_wait_alu 0xf1ff
	v_add_co_ci_u32_e64 v1, null, 0, v1, s7
	; wave barrier
	s_and_saveexec_b32 s7, vcc_lo
	s_cbranch_execnz .LBB1443_275
; %bb.253:
	s_wait_alu 0xfffe
	s_or_b32 exec_lo, exec_lo, s7
	s_and_saveexec_b32 s7, s0
	s_cbranch_execnz .LBB1443_276
.LBB1443_254:
	s_wait_alu 0xfffe
	s_or_b32 exec_lo, exec_lo, s7
	s_and_saveexec_b32 s0, s1
	s_cbranch_execnz .LBB1443_277
.LBB1443_255:
	s_wait_alu 0xfffe
	s_or_b32 exec_lo, exec_lo, s0
	s_and_saveexec_b32 s0, s2
	s_cbranch_execnz .LBB1443_278
.LBB1443_256:
	s_wait_alu 0xfffe
	s_or_b32 exec_lo, exec_lo, s0
	s_and_saveexec_b32 s0, s3
	s_cbranch_execnz .LBB1443_279
.LBB1443_257:
	s_wait_alu 0xfffe
	s_or_b32 exec_lo, exec_lo, s0
	s_and_saveexec_b32 s0, s4
	s_cbranch_execnz .LBB1443_280
.LBB1443_258:
	s_wait_alu 0xfffe
	s_or_b32 exec_lo, exec_lo, s0
	s_and_saveexec_b32 s0, s5
	s_cbranch_execnz .LBB1443_281
.LBB1443_259:
	s_wait_alu 0xfffe
	s_or_b32 exec_lo, exec_lo, s0
	s_and_saveexec_b32 s0, s6
	s_cbranch_execnz .LBB1443_282
.LBB1443_260:
	s_wait_alu 0xfffe
	s_or_b32 exec_lo, exec_lo, s0
	s_wait_loadcnt_dscnt 0x0
	s_setpc_b64 s[30:31]
.LBB1443_261:
	flat_load_b64 v[4:5], v[34:35]
	s_wait_alu 0xfffe
	s_or_b32 exec_lo, exec_lo, s7
	s_and_saveexec_b32 s7, s0
                                        ; implicit-def: $vgpr8_vgpr9
	s_cbranch_execz .LBB1443_18
.LBB1443_262:
	flat_load_b64 v[8:9], v[34:35] offset:8
	s_wait_alu 0xfffe
	s_or_b32 exec_lo, exec_lo, s7
                                        ; implicit-def: $vgpr13_vgpr14
	s_and_saveexec_b32 s7, s1
	s_cbranch_execz .LBB1443_19
.LBB1443_263:
	flat_load_b64 v[13:14], v[34:35] offset:16
	s_wait_alu 0xfffe
	s_or_b32 exec_lo, exec_lo, s7
	s_and_saveexec_b32 s7, s2
                                        ; implicit-def: $vgpr15_vgpr16
	s_cbranch_execz .LBB1443_20
.LBB1443_264:
	flat_load_b64 v[15:16], v[34:35] offset:24
	s_wait_alu 0xfffe
	s_or_b32 exec_lo, exec_lo, s7
                                        ; implicit-def: $vgpr21_vgpr22
	s_and_saveexec_b32 s7, s3
	s_cbranch_execz .LBB1443_21
.LBB1443_265:
	flat_load_b64 v[21:22], v[34:35] offset:32
	s_wait_alu 0xfffe
	s_or_b32 exec_lo, exec_lo, s7
	s_and_saveexec_b32 s7, s4
                                        ; implicit-def: $vgpr25_vgpr26
	s_cbranch_execz .LBB1443_22
.LBB1443_266:
	flat_load_b64 v[25:26], v[34:35] offset:40
	s_wait_alu 0xfffe
	s_or_b32 exec_lo, exec_lo, s7
                                        ; implicit-def: $vgpr23_vgpr24
	s_and_saveexec_b32 s7, s5
	s_cbranch_execz .LBB1443_23
.LBB1443_267:
	flat_load_b64 v[23:24], v[34:35] offset:48
	s_wait_alu 0xfffe
	s_or_b32 exec_lo, exec_lo, s7
	s_and_saveexec_b32 s7, s6
                                        ; implicit-def: $vgpr32_vgpr33
	s_cbranch_execnz .LBB1443_24
	s_branch .LBB1443_25
.LBB1443_268:
	flat_store_b32 v[2:3], v17
	s_wait_alu 0xfffe
	s_or_b32 exec_lo, exec_lo, s7
	s_and_saveexec_b32 s7, s0
	s_cbranch_execz .LBB1443_245
.LBB1443_269:
	flat_store_b32 v[2:3], v18 offset:4
	s_wait_alu 0xfffe
	s_or_b32 exec_lo, exec_lo, s7
	s_and_saveexec_b32 s7, s1
	s_cbranch_execz .LBB1443_246
.LBB1443_270:
	flat_store_b32 v[2:3], v29 offset:8
	s_wait_alu 0xfffe
	s_or_b32 exec_lo, exec_lo, s7
	s_and_saveexec_b32 s7, s2
	s_cbranch_execz .LBB1443_247
.LBB1443_271:
	flat_store_b32 v[2:3], v30 offset:12
	s_wait_alu 0xfffe
	s_or_b32 exec_lo, exec_lo, s7
	s_and_saveexec_b32 s7, s3
	s_cbranch_execz .LBB1443_248
.LBB1443_272:
	flat_store_b32 v[2:3], v27 offset:16
	s_wait_alu 0xfffe
	s_or_b32 exec_lo, exec_lo, s7
	s_and_saveexec_b32 s7, s4
	s_cbranch_execz .LBB1443_249
.LBB1443_273:
	flat_store_b32 v[2:3], v28 offset:20
	s_wait_alu 0xfffe
	s_or_b32 exec_lo, exec_lo, s7
	s_and_saveexec_b32 s7, s5
	s_cbranch_execz .LBB1443_250
.LBB1443_274:
	flat_store_b32 v[2:3], v19 offset:24
	s_wait_alu 0xfffe
	s_or_b32 exec_lo, exec_lo, s7
	s_and_saveexec_b32 s7, s6
	s_cbranch_execnz .LBB1443_251
	s_branch .LBB1443_252
.LBB1443_275:
	flat_store_b64 v[0:1], v[4:5]
	s_wait_alu 0xfffe
	s_or_b32 exec_lo, exec_lo, s7
	s_and_saveexec_b32 s7, s0
	s_cbranch_execz .LBB1443_254
.LBB1443_276:
	flat_store_b64 v[0:1], v[8:9] offset:8
	s_wait_alu 0xfffe
	s_or_b32 exec_lo, exec_lo, s7
	s_and_saveexec_b32 s0, s1
	s_cbranch_execz .LBB1443_255
.LBB1443_277:
	flat_store_b64 v[0:1], v[13:14] offset:16
	s_wait_alu 0xfffe
	s_or_b32 exec_lo, exec_lo, s0
	s_and_saveexec_b32 s0, s2
	s_cbranch_execz .LBB1443_256
.LBB1443_278:
	flat_store_b64 v[0:1], v[15:16] offset:24
	s_wait_alu 0xfffe
	s_or_b32 exec_lo, exec_lo, s0
	s_and_saveexec_b32 s0, s3
	s_cbranch_execz .LBB1443_257
.LBB1443_279:
	flat_store_b64 v[0:1], v[21:22] offset:32
	s_wait_alu 0xfffe
	s_or_b32 exec_lo, exec_lo, s0
	s_and_saveexec_b32 s0, s4
	s_cbranch_execz .LBB1443_258
.LBB1443_280:
	flat_store_b64 v[0:1], v[25:26] offset:40
	s_wait_alu 0xfffe
	s_or_b32 exec_lo, exec_lo, s0
	s_and_saveexec_b32 s0, s5
	s_cbranch_execz .LBB1443_259
.LBB1443_281:
	flat_store_b64 v[0:1], v[23:24] offset:48
	s_wait_alu 0xfffe
	s_or_b32 exec_lo, exec_lo, s0
	s_and_saveexec_b32 s0, s6
	s_cbranch_execz .LBB1443_260
.LBB1443_282:
	flat_store_b64 v[0:1], v[32:33] offset:56
	s_wait_alu 0xfffe
	s_or_b32 exec_lo, exec_lo, s0
	s_wait_loadcnt_dscnt 0x0
	s_setpc_b64 s[30:31]
.Lfunc_end1443:
	.size	_ZN7rocprim17ROCPRIM_400000_NS6detail26segmented_warp_sort_helperINS1_20WarpSortHelperConfigILj16ELj8ELj256EEEflLi256ELb0EvE4sortIPKfPfPKlPlEEvT_T0_T1_T2_jjjjRNS5_12storage_typeE, .Lfunc_end1443-_ZN7rocprim17ROCPRIM_400000_NS6detail26segmented_warp_sort_helperINS1_20WarpSortHelperConfigILj16ELj8ELj256EEEflLi256ELb0EvE4sortIPKfPfPKlPlEEvT_T0_T1_T2_jjjjRNS5_12storage_typeE
                                        ; -- End function
	.set .L_ZN7rocprim17ROCPRIM_400000_NS6detail26segmented_warp_sort_helperINS1_20WarpSortHelperConfigILj16ELj8ELj256EEEflLi256ELb0EvE4sortIPKfPfPKlPlEEvT_T0_T1_T2_jjjjRNS5_12storage_typeE.num_vgpr, 81
	.set .L_ZN7rocprim17ROCPRIM_400000_NS6detail26segmented_warp_sort_helperINS1_20WarpSortHelperConfigILj16ELj8ELj256EEEflLi256ELb0EvE4sortIPKfPfPKlPlEEvT_T0_T1_T2_jjjjRNS5_12storage_typeE.num_agpr, 0
	.set .L_ZN7rocprim17ROCPRIM_400000_NS6detail26segmented_warp_sort_helperINS1_20WarpSortHelperConfigILj16ELj8ELj256EEEflLi256ELb0EvE4sortIPKfPfPKlPlEEvT_T0_T1_T2_jjjjRNS5_12storage_typeE.numbered_sgpr, 32
	.set .L_ZN7rocprim17ROCPRIM_400000_NS6detail26segmented_warp_sort_helperINS1_20WarpSortHelperConfigILj16ELj8ELj256EEEflLi256ELb0EvE4sortIPKfPfPKlPlEEvT_T0_T1_T2_jjjjRNS5_12storage_typeE.num_named_barrier, 0
	.set .L_ZN7rocprim17ROCPRIM_400000_NS6detail26segmented_warp_sort_helperINS1_20WarpSortHelperConfigILj16ELj8ELj256EEEflLi256ELb0EvE4sortIPKfPfPKlPlEEvT_T0_T1_T2_jjjjRNS5_12storage_typeE.private_seg_size, 0
	.set .L_ZN7rocprim17ROCPRIM_400000_NS6detail26segmented_warp_sort_helperINS1_20WarpSortHelperConfigILj16ELj8ELj256EEEflLi256ELb0EvE4sortIPKfPfPKlPlEEvT_T0_T1_T2_jjjjRNS5_12storage_typeE.uses_vcc, 1
	.set .L_ZN7rocprim17ROCPRIM_400000_NS6detail26segmented_warp_sort_helperINS1_20WarpSortHelperConfigILj16ELj8ELj256EEEflLi256ELb0EvE4sortIPKfPfPKlPlEEvT_T0_T1_T2_jjjjRNS5_12storage_typeE.uses_flat_scratch, 0
	.set .L_ZN7rocprim17ROCPRIM_400000_NS6detail26segmented_warp_sort_helperINS1_20WarpSortHelperConfigILj16ELj8ELj256EEEflLi256ELb0EvE4sortIPKfPfPKlPlEEvT_T0_T1_T2_jjjjRNS5_12storage_typeE.has_dyn_sized_stack, 0
	.set .L_ZN7rocprim17ROCPRIM_400000_NS6detail26segmented_warp_sort_helperINS1_20WarpSortHelperConfigILj16ELj8ELj256EEEflLi256ELb0EvE4sortIPKfPfPKlPlEEvT_T0_T1_T2_jjjjRNS5_12storage_typeE.has_recursion, 0
	.set .L_ZN7rocprim17ROCPRIM_400000_NS6detail26segmented_warp_sort_helperINS1_20WarpSortHelperConfigILj16ELj8ELj256EEEflLi256ELb0EvE4sortIPKfPfPKlPlEEvT_T0_T1_T2_jjjjRNS5_12storage_typeE.has_indirect_call, 0
	.section	.AMDGPU.csdata,"",@progbits
; Function info:
; codeLenInByte = 14536
; TotalNumSgprs: 34
; NumVgprs: 81
; ScratchSize: 0
; MemoryBound: 0
	.section	.text._ZN7rocprim17ROCPRIM_400000_NS6detail17trampoline_kernelINS0_14default_configENS1_36segmented_radix_sort_config_selectorIflEEZNS1_25segmented_radix_sort_implIS3_Lb0EPKfPfPKlPlN2at6native12_GLOBAL__N_18offset_tEEE10hipError_tPvRmT1_PNSt15iterator_traitsISK_E10value_typeET2_T3_PNSL_ISQ_E10value_typeET4_jRbjT5_SW_jjP12ihipStream_tbEUlT_E0_NS1_11comp_targetILNS1_3genE10ELNS1_11target_archE1201ELNS1_3gpuE5ELNS1_3repE0EEENS1_60segmented_radix_sort_warp_sort_medium_config_static_selectorELNS0_4arch9wavefront6targetE0EEEvSK_,"axG",@progbits,_ZN7rocprim17ROCPRIM_400000_NS6detail17trampoline_kernelINS0_14default_configENS1_36segmented_radix_sort_config_selectorIflEEZNS1_25segmented_radix_sort_implIS3_Lb0EPKfPfPKlPlN2at6native12_GLOBAL__N_18offset_tEEE10hipError_tPvRmT1_PNSt15iterator_traitsISK_E10value_typeET2_T3_PNSL_ISQ_E10value_typeET4_jRbjT5_SW_jjP12ihipStream_tbEUlT_E0_NS1_11comp_targetILNS1_3genE10ELNS1_11target_archE1201ELNS1_3gpuE5ELNS1_3repE0EEENS1_60segmented_radix_sort_warp_sort_medium_config_static_selectorELNS0_4arch9wavefront6targetE0EEEvSK_,comdat
	.globl	_ZN7rocprim17ROCPRIM_400000_NS6detail17trampoline_kernelINS0_14default_configENS1_36segmented_radix_sort_config_selectorIflEEZNS1_25segmented_radix_sort_implIS3_Lb0EPKfPfPKlPlN2at6native12_GLOBAL__N_18offset_tEEE10hipError_tPvRmT1_PNSt15iterator_traitsISK_E10value_typeET2_T3_PNSL_ISQ_E10value_typeET4_jRbjT5_SW_jjP12ihipStream_tbEUlT_E0_NS1_11comp_targetILNS1_3genE10ELNS1_11target_archE1201ELNS1_3gpuE5ELNS1_3repE0EEENS1_60segmented_radix_sort_warp_sort_medium_config_static_selectorELNS0_4arch9wavefront6targetE0EEEvSK_ ; -- Begin function _ZN7rocprim17ROCPRIM_400000_NS6detail17trampoline_kernelINS0_14default_configENS1_36segmented_radix_sort_config_selectorIflEEZNS1_25segmented_radix_sort_implIS3_Lb0EPKfPfPKlPlN2at6native12_GLOBAL__N_18offset_tEEE10hipError_tPvRmT1_PNSt15iterator_traitsISK_E10value_typeET2_T3_PNSL_ISQ_E10value_typeET4_jRbjT5_SW_jjP12ihipStream_tbEUlT_E0_NS1_11comp_targetILNS1_3genE10ELNS1_11target_archE1201ELNS1_3gpuE5ELNS1_3repE0EEENS1_60segmented_radix_sort_warp_sort_medium_config_static_selectorELNS0_4arch9wavefront6targetE0EEEvSK_
	.p2align	8
	.type	_ZN7rocprim17ROCPRIM_400000_NS6detail17trampoline_kernelINS0_14default_configENS1_36segmented_radix_sort_config_selectorIflEEZNS1_25segmented_radix_sort_implIS3_Lb0EPKfPfPKlPlN2at6native12_GLOBAL__N_18offset_tEEE10hipError_tPvRmT1_PNSt15iterator_traitsISK_E10value_typeET2_T3_PNSL_ISQ_E10value_typeET4_jRbjT5_SW_jjP12ihipStream_tbEUlT_E0_NS1_11comp_targetILNS1_3genE10ELNS1_11target_archE1201ELNS1_3gpuE5ELNS1_3repE0EEENS1_60segmented_radix_sort_warp_sort_medium_config_static_selectorELNS0_4arch9wavefront6targetE0EEEvSK_,@function
_ZN7rocprim17ROCPRIM_400000_NS6detail17trampoline_kernelINS0_14default_configENS1_36segmented_radix_sort_config_selectorIflEEZNS1_25segmented_radix_sort_implIS3_Lb0EPKfPfPKlPlN2at6native12_GLOBAL__N_18offset_tEEE10hipError_tPvRmT1_PNSt15iterator_traitsISK_E10value_typeET2_T3_PNSL_ISQ_E10value_typeET4_jRbjT5_SW_jjP12ihipStream_tbEUlT_E0_NS1_11comp_targetILNS1_3genE10ELNS1_11target_archE1201ELNS1_3gpuE5ELNS1_3repE0EEENS1_60segmented_radix_sort_warp_sort_medium_config_static_selectorELNS0_4arch9wavefront6targetE0EEEvSK_: ; @_ZN7rocprim17ROCPRIM_400000_NS6detail17trampoline_kernelINS0_14default_configENS1_36segmented_radix_sort_config_selectorIflEEZNS1_25segmented_radix_sort_implIS3_Lb0EPKfPfPKlPlN2at6native12_GLOBAL__N_18offset_tEEE10hipError_tPvRmT1_PNSt15iterator_traitsISK_E10value_typeET2_T3_PNSL_ISQ_E10value_typeET4_jRbjT5_SW_jjP12ihipStream_tbEUlT_E0_NS1_11comp_targetILNS1_3genE10ELNS1_11target_archE1201ELNS1_3gpuE5ELNS1_3repE0EEENS1_60segmented_radix_sort_warp_sort_medium_config_static_selectorELNS0_4arch9wavefront6targetE0EEEvSK_
; %bb.0:
	s_load_b32 s2, s[0:1], 0x64
	v_bfe_u32 v1, v0, 10, 10
	v_bfe_u32 v2, v0, 20, 10
	s_mov_b32 s32, 0
	s_wait_kmcnt 0x0
	s_lshr_b32 s3, s2, 16
	s_and_b32 s2, s2, 0xffff
	v_mad_u32_u24 v2, v2, s3, v1
	v_and_b32_e32 v1, 0x3ff, v0
	s_load_b32 s3, s[0:1], 0x34
	s_delay_alu instid0(VALU_DEP_1) | instskip(SKIP_2) | instid1(VALU_DEP_1)
	v_mad_co_u64_u32 v[1:2], null, v2, s2, v[1:2]
	s_mov_b32 s2, exec_lo
	v_lshrrev_b32_e32 v1, 4, v1
	v_lshl_add_u32 v1, ttmp9, 4, v1
	s_wait_kmcnt 0x0
	s_delay_alu instid0(VALU_DEP_1)
	v_cmpx_gt_u32_e64 s3, v1
	s_cbranch_execz .LBB1444_6
; %bb.1:
	s_clause 0x1
	s_load_b64 s[2:3], s[0:1], 0x38
	s_load_b128 s[4:7], s[0:1], 0x40
	v_mov_b32_e32 v2, 0
	s_delay_alu instid0(VALU_DEP_1) | instskip(SKIP_1) | instid1(VALU_DEP_1)
	v_lshlrev_b64_e32 v[1:2], 2, v[1:2]
	s_wait_kmcnt 0x0
	v_add_co_u32 v1, vcc_lo, s2, v1
	s_delay_alu instid0(VALU_DEP_1) | instskip(SKIP_4) | instid1(VALU_DEP_2)
	v_add_co_ci_u32_e64 v2, null, s3, v2, vcc_lo
	global_load_b32 v1, v[1:2], off
	s_wait_loadcnt 0x0
	v_add_nc_u32_e32 v2, s5, v1
	v_add_nc_u32_e32 v1, s7, v1
	v_mul_lo_u32 v40, v2, s4
	s_delay_alu instid0(VALU_DEP_2) | instskip(NEXT) | instid1(VALU_DEP_1)
	v_mul_lo_u32 v41, v1, s6
	v_cmp_gt_u32_e32 vcc_lo, v41, v40
	s_and_b32 exec_lo, exec_lo, vcc_lo
	s_cbranch_execz .LBB1444_6
; %bb.2:
	s_clause 0x2
	s_load_b32 s2, s[0:1], 0x30
	s_load_b128 s[24:27], s[0:1], 0x20
	s_load_b256 s[36:43], s[0:1], 0x0
	s_add_nc_u64 s[20:21], s[0:1], 0x58
	s_wait_kmcnt 0x0
	s_bitcmp0_b32 s2, 0
	s_mov_b32 s2, -1
	s_cbranch_scc0 .LBB1444_4
; %bb.3:
	v_dual_mov_b32 v31, v0 :: v_dual_mov_b32 v42, v0
	v_dual_mov_b32 v0, s36 :: v_dual_mov_b32 v1, s37
	;; [unrolled: 1-line block ×6, first 2 shown]
	s_getpc_b64 s[0:1]
	s_wait_alu 0xfffe
	s_sext_i32_i16 s1, s1
	s_add_co_u32 s0, s0, _ZN7rocprim17ROCPRIM_400000_NS6detail26segmented_warp_sort_helperINS1_20WarpSortHelperConfigILj16ELj8ELj256EEEflLi256ELb0EvE4sortIPKfPfPKlPlEEvT_T0_T1_T2_jjjjRNS5_12storage_typeE@rel32@lo+12
	s_wait_alu 0xfffe
	s_add_co_ci_u32 s1, s1, _ZN7rocprim17ROCPRIM_400000_NS6detail26segmented_warp_sort_helperINS1_20WarpSortHelperConfigILj16ELj8ELj256EEEflLi256ELb0EvE4sortIPKfPfPKlPlEEvT_T0_T1_T2_jjjjRNS5_12storage_typeE@rel32@hi+24
	s_mov_b64 s[8:9], s[20:21]
	s_wait_alu 0xfffe
	s_swappc_b64 s[30:31], s[0:1]
	v_mov_b32_e32 v0, v42
	s_mov_b32 s2, 0
.LBB1444_4:
	s_wait_alu 0xfffe
	s_and_not1_b32 vcc_lo, exec_lo, s2
	s_wait_alu 0xfffe
	s_cbranch_vccnz .LBB1444_6
; %bb.5:
	v_dual_mov_b32 v31, v0 :: v_dual_mov_b32 v0, s36
	v_dual_mov_b32 v1, s37 :: v_dual_mov_b32 v2, s40
	;; [unrolled: 1-line block ×5, first 2 shown]
	v_mov_b32_e32 v9, v41
	s_getpc_b64 s[0:1]
	s_wait_alu 0xfffe
	s_sext_i32_i16 s1, s1
	s_add_co_u32 s0, s0, _ZN7rocprim17ROCPRIM_400000_NS6detail26segmented_warp_sort_helperINS1_20WarpSortHelperConfigILj16ELj8ELj256EEEflLi256ELb0EvE4sortIPKfPfPKlPlEEvT_T0_T1_T2_jjjjRNS5_12storage_typeE@rel32@lo+12
	s_wait_alu 0xfffe
	s_add_co_ci_u32 s1, s1, _ZN7rocprim17ROCPRIM_400000_NS6detail26segmented_warp_sort_helperINS1_20WarpSortHelperConfigILj16ELj8ELj256EEEflLi256ELb0EvE4sortIPKfPfPKlPlEEvT_T0_T1_T2_jjjjRNS5_12storage_typeE@rel32@hi+24
	s_mov_b64 s[8:9], s[20:21]
	s_wait_alu 0xfffe
	s_swappc_b64 s[30:31], s[0:1]
.LBB1444_6:
	s_endpgm
	.section	.rodata,"a",@progbits
	.p2align	6, 0x0
	.amdhsa_kernel _ZN7rocprim17ROCPRIM_400000_NS6detail17trampoline_kernelINS0_14default_configENS1_36segmented_radix_sort_config_selectorIflEEZNS1_25segmented_radix_sort_implIS3_Lb0EPKfPfPKlPlN2at6native12_GLOBAL__N_18offset_tEEE10hipError_tPvRmT1_PNSt15iterator_traitsISK_E10value_typeET2_T3_PNSL_ISQ_E10value_typeET4_jRbjT5_SW_jjP12ihipStream_tbEUlT_E0_NS1_11comp_targetILNS1_3genE10ELNS1_11target_archE1201ELNS1_3gpuE5ELNS1_3repE0EEENS1_60segmented_radix_sort_warp_sort_medium_config_static_selectorELNS0_4arch9wavefront6targetE0EEEvSK_
		.amdhsa_group_segment_fixed_size 24576
		.amdhsa_private_segment_fixed_size 0
		.amdhsa_kernarg_size 344
		.amdhsa_user_sgpr_count 2
		.amdhsa_user_sgpr_dispatch_ptr 0
		.amdhsa_user_sgpr_queue_ptr 0
		.amdhsa_user_sgpr_kernarg_segment_ptr 1
		.amdhsa_user_sgpr_dispatch_id 0
		.amdhsa_user_sgpr_private_segment_size 0
		.amdhsa_wavefront_size32 1
		.amdhsa_uses_dynamic_stack 0
		.amdhsa_enable_private_segment 0
		.amdhsa_system_sgpr_workgroup_id_x 1
		.amdhsa_system_sgpr_workgroup_id_y 1
		.amdhsa_system_sgpr_workgroup_id_z 0
		.amdhsa_system_sgpr_workgroup_info 0
		.amdhsa_system_vgpr_workitem_id 2
		.amdhsa_next_free_vgpr 121
		.amdhsa_next_free_sgpr 44
		.amdhsa_reserve_vcc 1
		.amdhsa_float_round_mode_32 0
		.amdhsa_float_round_mode_16_64 0
		.amdhsa_float_denorm_mode_32 3
		.amdhsa_float_denorm_mode_16_64 3
		.amdhsa_fp16_overflow 0
		.amdhsa_workgroup_processor_mode 1
		.amdhsa_memory_ordered 1
		.amdhsa_forward_progress 1
		.amdhsa_inst_pref_size 4
		.amdhsa_round_robin_scheduling 0
		.amdhsa_exception_fp_ieee_invalid_op 0
		.amdhsa_exception_fp_denorm_src 0
		.amdhsa_exception_fp_ieee_div_zero 0
		.amdhsa_exception_fp_ieee_overflow 0
		.amdhsa_exception_fp_ieee_underflow 0
		.amdhsa_exception_fp_ieee_inexact 0
		.amdhsa_exception_int_div_zero 0
	.end_amdhsa_kernel
	.section	.text._ZN7rocprim17ROCPRIM_400000_NS6detail17trampoline_kernelINS0_14default_configENS1_36segmented_radix_sort_config_selectorIflEEZNS1_25segmented_radix_sort_implIS3_Lb0EPKfPfPKlPlN2at6native12_GLOBAL__N_18offset_tEEE10hipError_tPvRmT1_PNSt15iterator_traitsISK_E10value_typeET2_T3_PNSL_ISQ_E10value_typeET4_jRbjT5_SW_jjP12ihipStream_tbEUlT_E0_NS1_11comp_targetILNS1_3genE10ELNS1_11target_archE1201ELNS1_3gpuE5ELNS1_3repE0EEENS1_60segmented_radix_sort_warp_sort_medium_config_static_selectorELNS0_4arch9wavefront6targetE0EEEvSK_,"axG",@progbits,_ZN7rocprim17ROCPRIM_400000_NS6detail17trampoline_kernelINS0_14default_configENS1_36segmented_radix_sort_config_selectorIflEEZNS1_25segmented_radix_sort_implIS3_Lb0EPKfPfPKlPlN2at6native12_GLOBAL__N_18offset_tEEE10hipError_tPvRmT1_PNSt15iterator_traitsISK_E10value_typeET2_T3_PNSL_ISQ_E10value_typeET4_jRbjT5_SW_jjP12ihipStream_tbEUlT_E0_NS1_11comp_targetILNS1_3genE10ELNS1_11target_archE1201ELNS1_3gpuE5ELNS1_3repE0EEENS1_60segmented_radix_sort_warp_sort_medium_config_static_selectorELNS0_4arch9wavefront6targetE0EEEvSK_,comdat
.Lfunc_end1444:
	.size	_ZN7rocprim17ROCPRIM_400000_NS6detail17trampoline_kernelINS0_14default_configENS1_36segmented_radix_sort_config_selectorIflEEZNS1_25segmented_radix_sort_implIS3_Lb0EPKfPfPKlPlN2at6native12_GLOBAL__N_18offset_tEEE10hipError_tPvRmT1_PNSt15iterator_traitsISK_E10value_typeET2_T3_PNSL_ISQ_E10value_typeET4_jRbjT5_SW_jjP12ihipStream_tbEUlT_E0_NS1_11comp_targetILNS1_3genE10ELNS1_11target_archE1201ELNS1_3gpuE5ELNS1_3repE0EEENS1_60segmented_radix_sort_warp_sort_medium_config_static_selectorELNS0_4arch9wavefront6targetE0EEEvSK_, .Lfunc_end1444-_ZN7rocprim17ROCPRIM_400000_NS6detail17trampoline_kernelINS0_14default_configENS1_36segmented_radix_sort_config_selectorIflEEZNS1_25segmented_radix_sort_implIS3_Lb0EPKfPfPKlPlN2at6native12_GLOBAL__N_18offset_tEEE10hipError_tPvRmT1_PNSt15iterator_traitsISK_E10value_typeET2_T3_PNSL_ISQ_E10value_typeET4_jRbjT5_SW_jjP12ihipStream_tbEUlT_E0_NS1_11comp_targetILNS1_3genE10ELNS1_11target_archE1201ELNS1_3gpuE5ELNS1_3repE0EEENS1_60segmented_radix_sort_warp_sort_medium_config_static_selectorELNS0_4arch9wavefront6targetE0EEEvSK_
                                        ; -- End function
	.set _ZN7rocprim17ROCPRIM_400000_NS6detail17trampoline_kernelINS0_14default_configENS1_36segmented_radix_sort_config_selectorIflEEZNS1_25segmented_radix_sort_implIS3_Lb0EPKfPfPKlPlN2at6native12_GLOBAL__N_18offset_tEEE10hipError_tPvRmT1_PNSt15iterator_traitsISK_E10value_typeET2_T3_PNSL_ISQ_E10value_typeET4_jRbjT5_SW_jjP12ihipStream_tbEUlT_E0_NS1_11comp_targetILNS1_3genE10ELNS1_11target_archE1201ELNS1_3gpuE5ELNS1_3repE0EEENS1_60segmented_radix_sort_warp_sort_medium_config_static_selectorELNS0_4arch9wavefront6targetE0EEEvSK_.num_vgpr, max(43, .L_ZN7rocprim17ROCPRIM_400000_NS6detail26segmented_warp_sort_helperINS1_20WarpSortHelperConfigILj16ELj8ELj256EEEflLi256ELb0EvE4sortIPKfPfPKlPlEEvT_T0_T1_T2_jjjjRNS5_12storage_typeE.num_vgpr)
	.set _ZN7rocprim17ROCPRIM_400000_NS6detail17trampoline_kernelINS0_14default_configENS1_36segmented_radix_sort_config_selectorIflEEZNS1_25segmented_radix_sort_implIS3_Lb0EPKfPfPKlPlN2at6native12_GLOBAL__N_18offset_tEEE10hipError_tPvRmT1_PNSt15iterator_traitsISK_E10value_typeET2_T3_PNSL_ISQ_E10value_typeET4_jRbjT5_SW_jjP12ihipStream_tbEUlT_E0_NS1_11comp_targetILNS1_3genE10ELNS1_11target_archE1201ELNS1_3gpuE5ELNS1_3repE0EEENS1_60segmented_radix_sort_warp_sort_medium_config_static_selectorELNS0_4arch9wavefront6targetE0EEEvSK_.num_agpr, max(0, .L_ZN7rocprim17ROCPRIM_400000_NS6detail26segmented_warp_sort_helperINS1_20WarpSortHelperConfigILj16ELj8ELj256EEEflLi256ELb0EvE4sortIPKfPfPKlPlEEvT_T0_T1_T2_jjjjRNS5_12storage_typeE.num_agpr)
	.set _ZN7rocprim17ROCPRIM_400000_NS6detail17trampoline_kernelINS0_14default_configENS1_36segmented_radix_sort_config_selectorIflEEZNS1_25segmented_radix_sort_implIS3_Lb0EPKfPfPKlPlN2at6native12_GLOBAL__N_18offset_tEEE10hipError_tPvRmT1_PNSt15iterator_traitsISK_E10value_typeET2_T3_PNSL_ISQ_E10value_typeET4_jRbjT5_SW_jjP12ihipStream_tbEUlT_E0_NS1_11comp_targetILNS1_3genE10ELNS1_11target_archE1201ELNS1_3gpuE5ELNS1_3repE0EEENS1_60segmented_radix_sort_warp_sort_medium_config_static_selectorELNS0_4arch9wavefront6targetE0EEEvSK_.numbered_sgpr, max(44, .L_ZN7rocprim17ROCPRIM_400000_NS6detail26segmented_warp_sort_helperINS1_20WarpSortHelperConfigILj16ELj8ELj256EEEflLi256ELb0EvE4sortIPKfPfPKlPlEEvT_T0_T1_T2_jjjjRNS5_12storage_typeE.numbered_sgpr)
	.set _ZN7rocprim17ROCPRIM_400000_NS6detail17trampoline_kernelINS0_14default_configENS1_36segmented_radix_sort_config_selectorIflEEZNS1_25segmented_radix_sort_implIS3_Lb0EPKfPfPKlPlN2at6native12_GLOBAL__N_18offset_tEEE10hipError_tPvRmT1_PNSt15iterator_traitsISK_E10value_typeET2_T3_PNSL_ISQ_E10value_typeET4_jRbjT5_SW_jjP12ihipStream_tbEUlT_E0_NS1_11comp_targetILNS1_3genE10ELNS1_11target_archE1201ELNS1_3gpuE5ELNS1_3repE0EEENS1_60segmented_radix_sort_warp_sort_medium_config_static_selectorELNS0_4arch9wavefront6targetE0EEEvSK_.num_named_barrier, max(0, .L_ZN7rocprim17ROCPRIM_400000_NS6detail26segmented_warp_sort_helperINS1_20WarpSortHelperConfigILj16ELj8ELj256EEEflLi256ELb0EvE4sortIPKfPfPKlPlEEvT_T0_T1_T2_jjjjRNS5_12storage_typeE.num_named_barrier)
	.set _ZN7rocprim17ROCPRIM_400000_NS6detail17trampoline_kernelINS0_14default_configENS1_36segmented_radix_sort_config_selectorIflEEZNS1_25segmented_radix_sort_implIS3_Lb0EPKfPfPKlPlN2at6native12_GLOBAL__N_18offset_tEEE10hipError_tPvRmT1_PNSt15iterator_traitsISK_E10value_typeET2_T3_PNSL_ISQ_E10value_typeET4_jRbjT5_SW_jjP12ihipStream_tbEUlT_E0_NS1_11comp_targetILNS1_3genE10ELNS1_11target_archE1201ELNS1_3gpuE5ELNS1_3repE0EEENS1_60segmented_radix_sort_warp_sort_medium_config_static_selectorELNS0_4arch9wavefront6targetE0EEEvSK_.private_seg_size, 0+max(.L_ZN7rocprim17ROCPRIM_400000_NS6detail26segmented_warp_sort_helperINS1_20WarpSortHelperConfigILj16ELj8ELj256EEEflLi256ELb0EvE4sortIPKfPfPKlPlEEvT_T0_T1_T2_jjjjRNS5_12storage_typeE.private_seg_size)
	.set _ZN7rocprim17ROCPRIM_400000_NS6detail17trampoline_kernelINS0_14default_configENS1_36segmented_radix_sort_config_selectorIflEEZNS1_25segmented_radix_sort_implIS3_Lb0EPKfPfPKlPlN2at6native12_GLOBAL__N_18offset_tEEE10hipError_tPvRmT1_PNSt15iterator_traitsISK_E10value_typeET2_T3_PNSL_ISQ_E10value_typeET4_jRbjT5_SW_jjP12ihipStream_tbEUlT_E0_NS1_11comp_targetILNS1_3genE10ELNS1_11target_archE1201ELNS1_3gpuE5ELNS1_3repE0EEENS1_60segmented_radix_sort_warp_sort_medium_config_static_selectorELNS0_4arch9wavefront6targetE0EEEvSK_.uses_vcc, or(1, .L_ZN7rocprim17ROCPRIM_400000_NS6detail26segmented_warp_sort_helperINS1_20WarpSortHelperConfigILj16ELj8ELj256EEEflLi256ELb0EvE4sortIPKfPfPKlPlEEvT_T0_T1_T2_jjjjRNS5_12storage_typeE.uses_vcc)
	.set _ZN7rocprim17ROCPRIM_400000_NS6detail17trampoline_kernelINS0_14default_configENS1_36segmented_radix_sort_config_selectorIflEEZNS1_25segmented_radix_sort_implIS3_Lb0EPKfPfPKlPlN2at6native12_GLOBAL__N_18offset_tEEE10hipError_tPvRmT1_PNSt15iterator_traitsISK_E10value_typeET2_T3_PNSL_ISQ_E10value_typeET4_jRbjT5_SW_jjP12ihipStream_tbEUlT_E0_NS1_11comp_targetILNS1_3genE10ELNS1_11target_archE1201ELNS1_3gpuE5ELNS1_3repE0EEENS1_60segmented_radix_sort_warp_sort_medium_config_static_selectorELNS0_4arch9wavefront6targetE0EEEvSK_.uses_flat_scratch, or(0, .L_ZN7rocprim17ROCPRIM_400000_NS6detail26segmented_warp_sort_helperINS1_20WarpSortHelperConfigILj16ELj8ELj256EEEflLi256ELb0EvE4sortIPKfPfPKlPlEEvT_T0_T1_T2_jjjjRNS5_12storage_typeE.uses_flat_scratch)
	.set _ZN7rocprim17ROCPRIM_400000_NS6detail17trampoline_kernelINS0_14default_configENS1_36segmented_radix_sort_config_selectorIflEEZNS1_25segmented_radix_sort_implIS3_Lb0EPKfPfPKlPlN2at6native12_GLOBAL__N_18offset_tEEE10hipError_tPvRmT1_PNSt15iterator_traitsISK_E10value_typeET2_T3_PNSL_ISQ_E10value_typeET4_jRbjT5_SW_jjP12ihipStream_tbEUlT_E0_NS1_11comp_targetILNS1_3genE10ELNS1_11target_archE1201ELNS1_3gpuE5ELNS1_3repE0EEENS1_60segmented_radix_sort_warp_sort_medium_config_static_selectorELNS0_4arch9wavefront6targetE0EEEvSK_.has_dyn_sized_stack, or(0, .L_ZN7rocprim17ROCPRIM_400000_NS6detail26segmented_warp_sort_helperINS1_20WarpSortHelperConfigILj16ELj8ELj256EEEflLi256ELb0EvE4sortIPKfPfPKlPlEEvT_T0_T1_T2_jjjjRNS5_12storage_typeE.has_dyn_sized_stack)
	.set _ZN7rocprim17ROCPRIM_400000_NS6detail17trampoline_kernelINS0_14default_configENS1_36segmented_radix_sort_config_selectorIflEEZNS1_25segmented_radix_sort_implIS3_Lb0EPKfPfPKlPlN2at6native12_GLOBAL__N_18offset_tEEE10hipError_tPvRmT1_PNSt15iterator_traitsISK_E10value_typeET2_T3_PNSL_ISQ_E10value_typeET4_jRbjT5_SW_jjP12ihipStream_tbEUlT_E0_NS1_11comp_targetILNS1_3genE10ELNS1_11target_archE1201ELNS1_3gpuE5ELNS1_3repE0EEENS1_60segmented_radix_sort_warp_sort_medium_config_static_selectorELNS0_4arch9wavefront6targetE0EEEvSK_.has_recursion, or(0, .L_ZN7rocprim17ROCPRIM_400000_NS6detail26segmented_warp_sort_helperINS1_20WarpSortHelperConfigILj16ELj8ELj256EEEflLi256ELb0EvE4sortIPKfPfPKlPlEEvT_T0_T1_T2_jjjjRNS5_12storage_typeE.has_recursion)
	.set _ZN7rocprim17ROCPRIM_400000_NS6detail17trampoline_kernelINS0_14default_configENS1_36segmented_radix_sort_config_selectorIflEEZNS1_25segmented_radix_sort_implIS3_Lb0EPKfPfPKlPlN2at6native12_GLOBAL__N_18offset_tEEE10hipError_tPvRmT1_PNSt15iterator_traitsISK_E10value_typeET2_T3_PNSL_ISQ_E10value_typeET4_jRbjT5_SW_jjP12ihipStream_tbEUlT_E0_NS1_11comp_targetILNS1_3genE10ELNS1_11target_archE1201ELNS1_3gpuE5ELNS1_3repE0EEENS1_60segmented_radix_sort_warp_sort_medium_config_static_selectorELNS0_4arch9wavefront6targetE0EEEvSK_.has_indirect_call, or(0, .L_ZN7rocprim17ROCPRIM_400000_NS6detail26segmented_warp_sort_helperINS1_20WarpSortHelperConfigILj16ELj8ELj256EEEflLi256ELb0EvE4sortIPKfPfPKlPlEEvT_T0_T1_T2_jjjjRNS5_12storage_typeE.has_indirect_call)
	.section	.AMDGPU.csdata,"",@progbits
; Kernel info:
; codeLenInByte = 488
; TotalNumSgprs: 46
; NumVgprs: 81
; ScratchSize: 0
; MemoryBound: 0
; FloatMode: 240
; IeeeMode: 1
; LDSByteSize: 24576 bytes/workgroup (compile time only)
; SGPRBlocks: 0
; VGPRBlocks: 15
; NumSGPRsForWavesPerEU: 46
; NumVGPRsForWavesPerEU: 121
; Occupancy: 10
; WaveLimiterHint : 0
; COMPUTE_PGM_RSRC2:SCRATCH_EN: 0
; COMPUTE_PGM_RSRC2:USER_SGPR: 2
; COMPUTE_PGM_RSRC2:TRAP_HANDLER: 0
; COMPUTE_PGM_RSRC2:TGID_X_EN: 1
; COMPUTE_PGM_RSRC2:TGID_Y_EN: 1
; COMPUTE_PGM_RSRC2:TGID_Z_EN: 0
; COMPUTE_PGM_RSRC2:TIDIG_COMP_CNT: 2
	.section	.text._ZN7rocprim17ROCPRIM_400000_NS6detail17trampoline_kernelINS0_14default_configENS1_36segmented_radix_sort_config_selectorIflEEZNS1_25segmented_radix_sort_implIS3_Lb0EPKfPfPKlPlN2at6native12_GLOBAL__N_18offset_tEEE10hipError_tPvRmT1_PNSt15iterator_traitsISK_E10value_typeET2_T3_PNSL_ISQ_E10value_typeET4_jRbjT5_SW_jjP12ihipStream_tbEUlT_E0_NS1_11comp_targetILNS1_3genE10ELNS1_11target_archE1200ELNS1_3gpuE4ELNS1_3repE0EEENS1_60segmented_radix_sort_warp_sort_medium_config_static_selectorELNS0_4arch9wavefront6targetE0EEEvSK_,"axG",@progbits,_ZN7rocprim17ROCPRIM_400000_NS6detail17trampoline_kernelINS0_14default_configENS1_36segmented_radix_sort_config_selectorIflEEZNS1_25segmented_radix_sort_implIS3_Lb0EPKfPfPKlPlN2at6native12_GLOBAL__N_18offset_tEEE10hipError_tPvRmT1_PNSt15iterator_traitsISK_E10value_typeET2_T3_PNSL_ISQ_E10value_typeET4_jRbjT5_SW_jjP12ihipStream_tbEUlT_E0_NS1_11comp_targetILNS1_3genE10ELNS1_11target_archE1200ELNS1_3gpuE4ELNS1_3repE0EEENS1_60segmented_radix_sort_warp_sort_medium_config_static_selectorELNS0_4arch9wavefront6targetE0EEEvSK_,comdat
	.globl	_ZN7rocprim17ROCPRIM_400000_NS6detail17trampoline_kernelINS0_14default_configENS1_36segmented_radix_sort_config_selectorIflEEZNS1_25segmented_radix_sort_implIS3_Lb0EPKfPfPKlPlN2at6native12_GLOBAL__N_18offset_tEEE10hipError_tPvRmT1_PNSt15iterator_traitsISK_E10value_typeET2_T3_PNSL_ISQ_E10value_typeET4_jRbjT5_SW_jjP12ihipStream_tbEUlT_E0_NS1_11comp_targetILNS1_3genE10ELNS1_11target_archE1200ELNS1_3gpuE4ELNS1_3repE0EEENS1_60segmented_radix_sort_warp_sort_medium_config_static_selectorELNS0_4arch9wavefront6targetE0EEEvSK_ ; -- Begin function _ZN7rocprim17ROCPRIM_400000_NS6detail17trampoline_kernelINS0_14default_configENS1_36segmented_radix_sort_config_selectorIflEEZNS1_25segmented_radix_sort_implIS3_Lb0EPKfPfPKlPlN2at6native12_GLOBAL__N_18offset_tEEE10hipError_tPvRmT1_PNSt15iterator_traitsISK_E10value_typeET2_T3_PNSL_ISQ_E10value_typeET4_jRbjT5_SW_jjP12ihipStream_tbEUlT_E0_NS1_11comp_targetILNS1_3genE10ELNS1_11target_archE1200ELNS1_3gpuE4ELNS1_3repE0EEENS1_60segmented_radix_sort_warp_sort_medium_config_static_selectorELNS0_4arch9wavefront6targetE0EEEvSK_
	.p2align	8
	.type	_ZN7rocprim17ROCPRIM_400000_NS6detail17trampoline_kernelINS0_14default_configENS1_36segmented_radix_sort_config_selectorIflEEZNS1_25segmented_radix_sort_implIS3_Lb0EPKfPfPKlPlN2at6native12_GLOBAL__N_18offset_tEEE10hipError_tPvRmT1_PNSt15iterator_traitsISK_E10value_typeET2_T3_PNSL_ISQ_E10value_typeET4_jRbjT5_SW_jjP12ihipStream_tbEUlT_E0_NS1_11comp_targetILNS1_3genE10ELNS1_11target_archE1200ELNS1_3gpuE4ELNS1_3repE0EEENS1_60segmented_radix_sort_warp_sort_medium_config_static_selectorELNS0_4arch9wavefront6targetE0EEEvSK_,@function
_ZN7rocprim17ROCPRIM_400000_NS6detail17trampoline_kernelINS0_14default_configENS1_36segmented_radix_sort_config_selectorIflEEZNS1_25segmented_radix_sort_implIS3_Lb0EPKfPfPKlPlN2at6native12_GLOBAL__N_18offset_tEEE10hipError_tPvRmT1_PNSt15iterator_traitsISK_E10value_typeET2_T3_PNSL_ISQ_E10value_typeET4_jRbjT5_SW_jjP12ihipStream_tbEUlT_E0_NS1_11comp_targetILNS1_3genE10ELNS1_11target_archE1200ELNS1_3gpuE4ELNS1_3repE0EEENS1_60segmented_radix_sort_warp_sort_medium_config_static_selectorELNS0_4arch9wavefront6targetE0EEEvSK_: ; @_ZN7rocprim17ROCPRIM_400000_NS6detail17trampoline_kernelINS0_14default_configENS1_36segmented_radix_sort_config_selectorIflEEZNS1_25segmented_radix_sort_implIS3_Lb0EPKfPfPKlPlN2at6native12_GLOBAL__N_18offset_tEEE10hipError_tPvRmT1_PNSt15iterator_traitsISK_E10value_typeET2_T3_PNSL_ISQ_E10value_typeET4_jRbjT5_SW_jjP12ihipStream_tbEUlT_E0_NS1_11comp_targetILNS1_3genE10ELNS1_11target_archE1200ELNS1_3gpuE4ELNS1_3repE0EEENS1_60segmented_radix_sort_warp_sort_medium_config_static_selectorELNS0_4arch9wavefront6targetE0EEEvSK_
; %bb.0:
	.section	.rodata,"a",@progbits
	.p2align	6, 0x0
	.amdhsa_kernel _ZN7rocprim17ROCPRIM_400000_NS6detail17trampoline_kernelINS0_14default_configENS1_36segmented_radix_sort_config_selectorIflEEZNS1_25segmented_radix_sort_implIS3_Lb0EPKfPfPKlPlN2at6native12_GLOBAL__N_18offset_tEEE10hipError_tPvRmT1_PNSt15iterator_traitsISK_E10value_typeET2_T3_PNSL_ISQ_E10value_typeET4_jRbjT5_SW_jjP12ihipStream_tbEUlT_E0_NS1_11comp_targetILNS1_3genE10ELNS1_11target_archE1200ELNS1_3gpuE4ELNS1_3repE0EEENS1_60segmented_radix_sort_warp_sort_medium_config_static_selectorELNS0_4arch9wavefront6targetE0EEEvSK_
		.amdhsa_group_segment_fixed_size 0
		.amdhsa_private_segment_fixed_size 0
		.amdhsa_kernarg_size 88
		.amdhsa_user_sgpr_count 2
		.amdhsa_user_sgpr_dispatch_ptr 0
		.amdhsa_user_sgpr_queue_ptr 0
		.amdhsa_user_sgpr_kernarg_segment_ptr 1
		.amdhsa_user_sgpr_dispatch_id 0
		.amdhsa_user_sgpr_private_segment_size 0
		.amdhsa_wavefront_size32 1
		.amdhsa_uses_dynamic_stack 0
		.amdhsa_enable_private_segment 0
		.amdhsa_system_sgpr_workgroup_id_x 1
		.amdhsa_system_sgpr_workgroup_id_y 0
		.amdhsa_system_sgpr_workgroup_id_z 0
		.amdhsa_system_sgpr_workgroup_info 0
		.amdhsa_system_vgpr_workitem_id 0
		.amdhsa_next_free_vgpr 1
		.amdhsa_next_free_sgpr 1
		.amdhsa_reserve_vcc 0
		.amdhsa_float_round_mode_32 0
		.amdhsa_float_round_mode_16_64 0
		.amdhsa_float_denorm_mode_32 3
		.amdhsa_float_denorm_mode_16_64 3
		.amdhsa_fp16_overflow 0
		.amdhsa_workgroup_processor_mode 1
		.amdhsa_memory_ordered 1
		.amdhsa_forward_progress 1
		.amdhsa_inst_pref_size 0
		.amdhsa_round_robin_scheduling 0
		.amdhsa_exception_fp_ieee_invalid_op 0
		.amdhsa_exception_fp_denorm_src 0
		.amdhsa_exception_fp_ieee_div_zero 0
		.amdhsa_exception_fp_ieee_overflow 0
		.amdhsa_exception_fp_ieee_underflow 0
		.amdhsa_exception_fp_ieee_inexact 0
		.amdhsa_exception_int_div_zero 0
	.end_amdhsa_kernel
	.section	.text._ZN7rocprim17ROCPRIM_400000_NS6detail17trampoline_kernelINS0_14default_configENS1_36segmented_radix_sort_config_selectorIflEEZNS1_25segmented_radix_sort_implIS3_Lb0EPKfPfPKlPlN2at6native12_GLOBAL__N_18offset_tEEE10hipError_tPvRmT1_PNSt15iterator_traitsISK_E10value_typeET2_T3_PNSL_ISQ_E10value_typeET4_jRbjT5_SW_jjP12ihipStream_tbEUlT_E0_NS1_11comp_targetILNS1_3genE10ELNS1_11target_archE1200ELNS1_3gpuE4ELNS1_3repE0EEENS1_60segmented_radix_sort_warp_sort_medium_config_static_selectorELNS0_4arch9wavefront6targetE0EEEvSK_,"axG",@progbits,_ZN7rocprim17ROCPRIM_400000_NS6detail17trampoline_kernelINS0_14default_configENS1_36segmented_radix_sort_config_selectorIflEEZNS1_25segmented_radix_sort_implIS3_Lb0EPKfPfPKlPlN2at6native12_GLOBAL__N_18offset_tEEE10hipError_tPvRmT1_PNSt15iterator_traitsISK_E10value_typeET2_T3_PNSL_ISQ_E10value_typeET4_jRbjT5_SW_jjP12ihipStream_tbEUlT_E0_NS1_11comp_targetILNS1_3genE10ELNS1_11target_archE1200ELNS1_3gpuE4ELNS1_3repE0EEENS1_60segmented_radix_sort_warp_sort_medium_config_static_selectorELNS0_4arch9wavefront6targetE0EEEvSK_,comdat
.Lfunc_end1445:
	.size	_ZN7rocprim17ROCPRIM_400000_NS6detail17trampoline_kernelINS0_14default_configENS1_36segmented_radix_sort_config_selectorIflEEZNS1_25segmented_radix_sort_implIS3_Lb0EPKfPfPKlPlN2at6native12_GLOBAL__N_18offset_tEEE10hipError_tPvRmT1_PNSt15iterator_traitsISK_E10value_typeET2_T3_PNSL_ISQ_E10value_typeET4_jRbjT5_SW_jjP12ihipStream_tbEUlT_E0_NS1_11comp_targetILNS1_3genE10ELNS1_11target_archE1200ELNS1_3gpuE4ELNS1_3repE0EEENS1_60segmented_radix_sort_warp_sort_medium_config_static_selectorELNS0_4arch9wavefront6targetE0EEEvSK_, .Lfunc_end1445-_ZN7rocprim17ROCPRIM_400000_NS6detail17trampoline_kernelINS0_14default_configENS1_36segmented_radix_sort_config_selectorIflEEZNS1_25segmented_radix_sort_implIS3_Lb0EPKfPfPKlPlN2at6native12_GLOBAL__N_18offset_tEEE10hipError_tPvRmT1_PNSt15iterator_traitsISK_E10value_typeET2_T3_PNSL_ISQ_E10value_typeET4_jRbjT5_SW_jjP12ihipStream_tbEUlT_E0_NS1_11comp_targetILNS1_3genE10ELNS1_11target_archE1200ELNS1_3gpuE4ELNS1_3repE0EEENS1_60segmented_radix_sort_warp_sort_medium_config_static_selectorELNS0_4arch9wavefront6targetE0EEEvSK_
                                        ; -- End function
	.set _ZN7rocprim17ROCPRIM_400000_NS6detail17trampoline_kernelINS0_14default_configENS1_36segmented_radix_sort_config_selectorIflEEZNS1_25segmented_radix_sort_implIS3_Lb0EPKfPfPKlPlN2at6native12_GLOBAL__N_18offset_tEEE10hipError_tPvRmT1_PNSt15iterator_traitsISK_E10value_typeET2_T3_PNSL_ISQ_E10value_typeET4_jRbjT5_SW_jjP12ihipStream_tbEUlT_E0_NS1_11comp_targetILNS1_3genE10ELNS1_11target_archE1200ELNS1_3gpuE4ELNS1_3repE0EEENS1_60segmented_radix_sort_warp_sort_medium_config_static_selectorELNS0_4arch9wavefront6targetE0EEEvSK_.num_vgpr, 0
	.set _ZN7rocprim17ROCPRIM_400000_NS6detail17trampoline_kernelINS0_14default_configENS1_36segmented_radix_sort_config_selectorIflEEZNS1_25segmented_radix_sort_implIS3_Lb0EPKfPfPKlPlN2at6native12_GLOBAL__N_18offset_tEEE10hipError_tPvRmT1_PNSt15iterator_traitsISK_E10value_typeET2_T3_PNSL_ISQ_E10value_typeET4_jRbjT5_SW_jjP12ihipStream_tbEUlT_E0_NS1_11comp_targetILNS1_3genE10ELNS1_11target_archE1200ELNS1_3gpuE4ELNS1_3repE0EEENS1_60segmented_radix_sort_warp_sort_medium_config_static_selectorELNS0_4arch9wavefront6targetE0EEEvSK_.num_agpr, 0
	.set _ZN7rocprim17ROCPRIM_400000_NS6detail17trampoline_kernelINS0_14default_configENS1_36segmented_radix_sort_config_selectorIflEEZNS1_25segmented_radix_sort_implIS3_Lb0EPKfPfPKlPlN2at6native12_GLOBAL__N_18offset_tEEE10hipError_tPvRmT1_PNSt15iterator_traitsISK_E10value_typeET2_T3_PNSL_ISQ_E10value_typeET4_jRbjT5_SW_jjP12ihipStream_tbEUlT_E0_NS1_11comp_targetILNS1_3genE10ELNS1_11target_archE1200ELNS1_3gpuE4ELNS1_3repE0EEENS1_60segmented_radix_sort_warp_sort_medium_config_static_selectorELNS0_4arch9wavefront6targetE0EEEvSK_.numbered_sgpr, 0
	.set _ZN7rocprim17ROCPRIM_400000_NS6detail17trampoline_kernelINS0_14default_configENS1_36segmented_radix_sort_config_selectorIflEEZNS1_25segmented_radix_sort_implIS3_Lb0EPKfPfPKlPlN2at6native12_GLOBAL__N_18offset_tEEE10hipError_tPvRmT1_PNSt15iterator_traitsISK_E10value_typeET2_T3_PNSL_ISQ_E10value_typeET4_jRbjT5_SW_jjP12ihipStream_tbEUlT_E0_NS1_11comp_targetILNS1_3genE10ELNS1_11target_archE1200ELNS1_3gpuE4ELNS1_3repE0EEENS1_60segmented_radix_sort_warp_sort_medium_config_static_selectorELNS0_4arch9wavefront6targetE0EEEvSK_.num_named_barrier, 0
	.set _ZN7rocprim17ROCPRIM_400000_NS6detail17trampoline_kernelINS0_14default_configENS1_36segmented_radix_sort_config_selectorIflEEZNS1_25segmented_radix_sort_implIS3_Lb0EPKfPfPKlPlN2at6native12_GLOBAL__N_18offset_tEEE10hipError_tPvRmT1_PNSt15iterator_traitsISK_E10value_typeET2_T3_PNSL_ISQ_E10value_typeET4_jRbjT5_SW_jjP12ihipStream_tbEUlT_E0_NS1_11comp_targetILNS1_3genE10ELNS1_11target_archE1200ELNS1_3gpuE4ELNS1_3repE0EEENS1_60segmented_radix_sort_warp_sort_medium_config_static_selectorELNS0_4arch9wavefront6targetE0EEEvSK_.private_seg_size, 0
	.set _ZN7rocprim17ROCPRIM_400000_NS6detail17trampoline_kernelINS0_14default_configENS1_36segmented_radix_sort_config_selectorIflEEZNS1_25segmented_radix_sort_implIS3_Lb0EPKfPfPKlPlN2at6native12_GLOBAL__N_18offset_tEEE10hipError_tPvRmT1_PNSt15iterator_traitsISK_E10value_typeET2_T3_PNSL_ISQ_E10value_typeET4_jRbjT5_SW_jjP12ihipStream_tbEUlT_E0_NS1_11comp_targetILNS1_3genE10ELNS1_11target_archE1200ELNS1_3gpuE4ELNS1_3repE0EEENS1_60segmented_radix_sort_warp_sort_medium_config_static_selectorELNS0_4arch9wavefront6targetE0EEEvSK_.uses_vcc, 0
	.set _ZN7rocprim17ROCPRIM_400000_NS6detail17trampoline_kernelINS0_14default_configENS1_36segmented_radix_sort_config_selectorIflEEZNS1_25segmented_radix_sort_implIS3_Lb0EPKfPfPKlPlN2at6native12_GLOBAL__N_18offset_tEEE10hipError_tPvRmT1_PNSt15iterator_traitsISK_E10value_typeET2_T3_PNSL_ISQ_E10value_typeET4_jRbjT5_SW_jjP12ihipStream_tbEUlT_E0_NS1_11comp_targetILNS1_3genE10ELNS1_11target_archE1200ELNS1_3gpuE4ELNS1_3repE0EEENS1_60segmented_radix_sort_warp_sort_medium_config_static_selectorELNS0_4arch9wavefront6targetE0EEEvSK_.uses_flat_scratch, 0
	.set _ZN7rocprim17ROCPRIM_400000_NS6detail17trampoline_kernelINS0_14default_configENS1_36segmented_radix_sort_config_selectorIflEEZNS1_25segmented_radix_sort_implIS3_Lb0EPKfPfPKlPlN2at6native12_GLOBAL__N_18offset_tEEE10hipError_tPvRmT1_PNSt15iterator_traitsISK_E10value_typeET2_T3_PNSL_ISQ_E10value_typeET4_jRbjT5_SW_jjP12ihipStream_tbEUlT_E0_NS1_11comp_targetILNS1_3genE10ELNS1_11target_archE1200ELNS1_3gpuE4ELNS1_3repE0EEENS1_60segmented_radix_sort_warp_sort_medium_config_static_selectorELNS0_4arch9wavefront6targetE0EEEvSK_.has_dyn_sized_stack, 0
	.set _ZN7rocprim17ROCPRIM_400000_NS6detail17trampoline_kernelINS0_14default_configENS1_36segmented_radix_sort_config_selectorIflEEZNS1_25segmented_radix_sort_implIS3_Lb0EPKfPfPKlPlN2at6native12_GLOBAL__N_18offset_tEEE10hipError_tPvRmT1_PNSt15iterator_traitsISK_E10value_typeET2_T3_PNSL_ISQ_E10value_typeET4_jRbjT5_SW_jjP12ihipStream_tbEUlT_E0_NS1_11comp_targetILNS1_3genE10ELNS1_11target_archE1200ELNS1_3gpuE4ELNS1_3repE0EEENS1_60segmented_radix_sort_warp_sort_medium_config_static_selectorELNS0_4arch9wavefront6targetE0EEEvSK_.has_recursion, 0
	.set _ZN7rocprim17ROCPRIM_400000_NS6detail17trampoline_kernelINS0_14default_configENS1_36segmented_radix_sort_config_selectorIflEEZNS1_25segmented_radix_sort_implIS3_Lb0EPKfPfPKlPlN2at6native12_GLOBAL__N_18offset_tEEE10hipError_tPvRmT1_PNSt15iterator_traitsISK_E10value_typeET2_T3_PNSL_ISQ_E10value_typeET4_jRbjT5_SW_jjP12ihipStream_tbEUlT_E0_NS1_11comp_targetILNS1_3genE10ELNS1_11target_archE1200ELNS1_3gpuE4ELNS1_3repE0EEENS1_60segmented_radix_sort_warp_sort_medium_config_static_selectorELNS0_4arch9wavefront6targetE0EEEvSK_.has_indirect_call, 0
	.section	.AMDGPU.csdata,"",@progbits
; Kernel info:
; codeLenInByte = 0
; TotalNumSgprs: 0
; NumVgprs: 0
; ScratchSize: 0
; MemoryBound: 0
; FloatMode: 240
; IeeeMode: 1
; LDSByteSize: 0 bytes/workgroup (compile time only)
; SGPRBlocks: 0
; VGPRBlocks: 0
; NumSGPRsForWavesPerEU: 1
; NumVGPRsForWavesPerEU: 1
; Occupancy: 16
; WaveLimiterHint : 0
; COMPUTE_PGM_RSRC2:SCRATCH_EN: 0
; COMPUTE_PGM_RSRC2:USER_SGPR: 2
; COMPUTE_PGM_RSRC2:TRAP_HANDLER: 0
; COMPUTE_PGM_RSRC2:TGID_X_EN: 1
; COMPUTE_PGM_RSRC2:TGID_Y_EN: 0
; COMPUTE_PGM_RSRC2:TGID_Z_EN: 0
; COMPUTE_PGM_RSRC2:TIDIG_COMP_CNT: 0
	.section	.text._ZN7rocprim17ROCPRIM_400000_NS6detail17trampoline_kernelINS0_14default_configENS1_36segmented_radix_sort_config_selectorIflEEZNS1_25segmented_radix_sort_implIS3_Lb0EPKfPfPKlPlN2at6native12_GLOBAL__N_18offset_tEEE10hipError_tPvRmT1_PNSt15iterator_traitsISK_E10value_typeET2_T3_PNSL_ISQ_E10value_typeET4_jRbjT5_SW_jjP12ihipStream_tbEUlT_E0_NS1_11comp_targetILNS1_3genE9ELNS1_11target_archE1100ELNS1_3gpuE3ELNS1_3repE0EEENS1_60segmented_radix_sort_warp_sort_medium_config_static_selectorELNS0_4arch9wavefront6targetE0EEEvSK_,"axG",@progbits,_ZN7rocprim17ROCPRIM_400000_NS6detail17trampoline_kernelINS0_14default_configENS1_36segmented_radix_sort_config_selectorIflEEZNS1_25segmented_radix_sort_implIS3_Lb0EPKfPfPKlPlN2at6native12_GLOBAL__N_18offset_tEEE10hipError_tPvRmT1_PNSt15iterator_traitsISK_E10value_typeET2_T3_PNSL_ISQ_E10value_typeET4_jRbjT5_SW_jjP12ihipStream_tbEUlT_E0_NS1_11comp_targetILNS1_3genE9ELNS1_11target_archE1100ELNS1_3gpuE3ELNS1_3repE0EEENS1_60segmented_radix_sort_warp_sort_medium_config_static_selectorELNS0_4arch9wavefront6targetE0EEEvSK_,comdat
	.globl	_ZN7rocprim17ROCPRIM_400000_NS6detail17trampoline_kernelINS0_14default_configENS1_36segmented_radix_sort_config_selectorIflEEZNS1_25segmented_radix_sort_implIS3_Lb0EPKfPfPKlPlN2at6native12_GLOBAL__N_18offset_tEEE10hipError_tPvRmT1_PNSt15iterator_traitsISK_E10value_typeET2_T3_PNSL_ISQ_E10value_typeET4_jRbjT5_SW_jjP12ihipStream_tbEUlT_E0_NS1_11comp_targetILNS1_3genE9ELNS1_11target_archE1100ELNS1_3gpuE3ELNS1_3repE0EEENS1_60segmented_radix_sort_warp_sort_medium_config_static_selectorELNS0_4arch9wavefront6targetE0EEEvSK_ ; -- Begin function _ZN7rocprim17ROCPRIM_400000_NS6detail17trampoline_kernelINS0_14default_configENS1_36segmented_radix_sort_config_selectorIflEEZNS1_25segmented_radix_sort_implIS3_Lb0EPKfPfPKlPlN2at6native12_GLOBAL__N_18offset_tEEE10hipError_tPvRmT1_PNSt15iterator_traitsISK_E10value_typeET2_T3_PNSL_ISQ_E10value_typeET4_jRbjT5_SW_jjP12ihipStream_tbEUlT_E0_NS1_11comp_targetILNS1_3genE9ELNS1_11target_archE1100ELNS1_3gpuE3ELNS1_3repE0EEENS1_60segmented_radix_sort_warp_sort_medium_config_static_selectorELNS0_4arch9wavefront6targetE0EEEvSK_
	.p2align	8
	.type	_ZN7rocprim17ROCPRIM_400000_NS6detail17trampoline_kernelINS0_14default_configENS1_36segmented_radix_sort_config_selectorIflEEZNS1_25segmented_radix_sort_implIS3_Lb0EPKfPfPKlPlN2at6native12_GLOBAL__N_18offset_tEEE10hipError_tPvRmT1_PNSt15iterator_traitsISK_E10value_typeET2_T3_PNSL_ISQ_E10value_typeET4_jRbjT5_SW_jjP12ihipStream_tbEUlT_E0_NS1_11comp_targetILNS1_3genE9ELNS1_11target_archE1100ELNS1_3gpuE3ELNS1_3repE0EEENS1_60segmented_radix_sort_warp_sort_medium_config_static_selectorELNS0_4arch9wavefront6targetE0EEEvSK_,@function
_ZN7rocprim17ROCPRIM_400000_NS6detail17trampoline_kernelINS0_14default_configENS1_36segmented_radix_sort_config_selectorIflEEZNS1_25segmented_radix_sort_implIS3_Lb0EPKfPfPKlPlN2at6native12_GLOBAL__N_18offset_tEEE10hipError_tPvRmT1_PNSt15iterator_traitsISK_E10value_typeET2_T3_PNSL_ISQ_E10value_typeET4_jRbjT5_SW_jjP12ihipStream_tbEUlT_E0_NS1_11comp_targetILNS1_3genE9ELNS1_11target_archE1100ELNS1_3gpuE3ELNS1_3repE0EEENS1_60segmented_radix_sort_warp_sort_medium_config_static_selectorELNS0_4arch9wavefront6targetE0EEEvSK_: ; @_ZN7rocprim17ROCPRIM_400000_NS6detail17trampoline_kernelINS0_14default_configENS1_36segmented_radix_sort_config_selectorIflEEZNS1_25segmented_radix_sort_implIS3_Lb0EPKfPfPKlPlN2at6native12_GLOBAL__N_18offset_tEEE10hipError_tPvRmT1_PNSt15iterator_traitsISK_E10value_typeET2_T3_PNSL_ISQ_E10value_typeET4_jRbjT5_SW_jjP12ihipStream_tbEUlT_E0_NS1_11comp_targetILNS1_3genE9ELNS1_11target_archE1100ELNS1_3gpuE3ELNS1_3repE0EEENS1_60segmented_radix_sort_warp_sort_medium_config_static_selectorELNS0_4arch9wavefront6targetE0EEEvSK_
; %bb.0:
	.section	.rodata,"a",@progbits
	.p2align	6, 0x0
	.amdhsa_kernel _ZN7rocprim17ROCPRIM_400000_NS6detail17trampoline_kernelINS0_14default_configENS1_36segmented_radix_sort_config_selectorIflEEZNS1_25segmented_radix_sort_implIS3_Lb0EPKfPfPKlPlN2at6native12_GLOBAL__N_18offset_tEEE10hipError_tPvRmT1_PNSt15iterator_traitsISK_E10value_typeET2_T3_PNSL_ISQ_E10value_typeET4_jRbjT5_SW_jjP12ihipStream_tbEUlT_E0_NS1_11comp_targetILNS1_3genE9ELNS1_11target_archE1100ELNS1_3gpuE3ELNS1_3repE0EEENS1_60segmented_radix_sort_warp_sort_medium_config_static_selectorELNS0_4arch9wavefront6targetE0EEEvSK_
		.amdhsa_group_segment_fixed_size 0
		.amdhsa_private_segment_fixed_size 0
		.amdhsa_kernarg_size 88
		.amdhsa_user_sgpr_count 2
		.amdhsa_user_sgpr_dispatch_ptr 0
		.amdhsa_user_sgpr_queue_ptr 0
		.amdhsa_user_sgpr_kernarg_segment_ptr 1
		.amdhsa_user_sgpr_dispatch_id 0
		.amdhsa_user_sgpr_private_segment_size 0
		.amdhsa_wavefront_size32 1
		.amdhsa_uses_dynamic_stack 0
		.amdhsa_enable_private_segment 0
		.amdhsa_system_sgpr_workgroup_id_x 1
		.amdhsa_system_sgpr_workgroup_id_y 0
		.amdhsa_system_sgpr_workgroup_id_z 0
		.amdhsa_system_sgpr_workgroup_info 0
		.amdhsa_system_vgpr_workitem_id 0
		.amdhsa_next_free_vgpr 1
		.amdhsa_next_free_sgpr 1
		.amdhsa_reserve_vcc 0
		.amdhsa_float_round_mode_32 0
		.amdhsa_float_round_mode_16_64 0
		.amdhsa_float_denorm_mode_32 3
		.amdhsa_float_denorm_mode_16_64 3
		.amdhsa_fp16_overflow 0
		.amdhsa_workgroup_processor_mode 1
		.amdhsa_memory_ordered 1
		.amdhsa_forward_progress 1
		.amdhsa_inst_pref_size 0
		.amdhsa_round_robin_scheduling 0
		.amdhsa_exception_fp_ieee_invalid_op 0
		.amdhsa_exception_fp_denorm_src 0
		.amdhsa_exception_fp_ieee_div_zero 0
		.amdhsa_exception_fp_ieee_overflow 0
		.amdhsa_exception_fp_ieee_underflow 0
		.amdhsa_exception_fp_ieee_inexact 0
		.amdhsa_exception_int_div_zero 0
	.end_amdhsa_kernel
	.section	.text._ZN7rocprim17ROCPRIM_400000_NS6detail17trampoline_kernelINS0_14default_configENS1_36segmented_radix_sort_config_selectorIflEEZNS1_25segmented_radix_sort_implIS3_Lb0EPKfPfPKlPlN2at6native12_GLOBAL__N_18offset_tEEE10hipError_tPvRmT1_PNSt15iterator_traitsISK_E10value_typeET2_T3_PNSL_ISQ_E10value_typeET4_jRbjT5_SW_jjP12ihipStream_tbEUlT_E0_NS1_11comp_targetILNS1_3genE9ELNS1_11target_archE1100ELNS1_3gpuE3ELNS1_3repE0EEENS1_60segmented_radix_sort_warp_sort_medium_config_static_selectorELNS0_4arch9wavefront6targetE0EEEvSK_,"axG",@progbits,_ZN7rocprim17ROCPRIM_400000_NS6detail17trampoline_kernelINS0_14default_configENS1_36segmented_radix_sort_config_selectorIflEEZNS1_25segmented_radix_sort_implIS3_Lb0EPKfPfPKlPlN2at6native12_GLOBAL__N_18offset_tEEE10hipError_tPvRmT1_PNSt15iterator_traitsISK_E10value_typeET2_T3_PNSL_ISQ_E10value_typeET4_jRbjT5_SW_jjP12ihipStream_tbEUlT_E0_NS1_11comp_targetILNS1_3genE9ELNS1_11target_archE1100ELNS1_3gpuE3ELNS1_3repE0EEENS1_60segmented_radix_sort_warp_sort_medium_config_static_selectorELNS0_4arch9wavefront6targetE0EEEvSK_,comdat
.Lfunc_end1446:
	.size	_ZN7rocprim17ROCPRIM_400000_NS6detail17trampoline_kernelINS0_14default_configENS1_36segmented_radix_sort_config_selectorIflEEZNS1_25segmented_radix_sort_implIS3_Lb0EPKfPfPKlPlN2at6native12_GLOBAL__N_18offset_tEEE10hipError_tPvRmT1_PNSt15iterator_traitsISK_E10value_typeET2_T3_PNSL_ISQ_E10value_typeET4_jRbjT5_SW_jjP12ihipStream_tbEUlT_E0_NS1_11comp_targetILNS1_3genE9ELNS1_11target_archE1100ELNS1_3gpuE3ELNS1_3repE0EEENS1_60segmented_radix_sort_warp_sort_medium_config_static_selectorELNS0_4arch9wavefront6targetE0EEEvSK_, .Lfunc_end1446-_ZN7rocprim17ROCPRIM_400000_NS6detail17trampoline_kernelINS0_14default_configENS1_36segmented_radix_sort_config_selectorIflEEZNS1_25segmented_radix_sort_implIS3_Lb0EPKfPfPKlPlN2at6native12_GLOBAL__N_18offset_tEEE10hipError_tPvRmT1_PNSt15iterator_traitsISK_E10value_typeET2_T3_PNSL_ISQ_E10value_typeET4_jRbjT5_SW_jjP12ihipStream_tbEUlT_E0_NS1_11comp_targetILNS1_3genE9ELNS1_11target_archE1100ELNS1_3gpuE3ELNS1_3repE0EEENS1_60segmented_radix_sort_warp_sort_medium_config_static_selectorELNS0_4arch9wavefront6targetE0EEEvSK_
                                        ; -- End function
	.set _ZN7rocprim17ROCPRIM_400000_NS6detail17trampoline_kernelINS0_14default_configENS1_36segmented_radix_sort_config_selectorIflEEZNS1_25segmented_radix_sort_implIS3_Lb0EPKfPfPKlPlN2at6native12_GLOBAL__N_18offset_tEEE10hipError_tPvRmT1_PNSt15iterator_traitsISK_E10value_typeET2_T3_PNSL_ISQ_E10value_typeET4_jRbjT5_SW_jjP12ihipStream_tbEUlT_E0_NS1_11comp_targetILNS1_3genE9ELNS1_11target_archE1100ELNS1_3gpuE3ELNS1_3repE0EEENS1_60segmented_radix_sort_warp_sort_medium_config_static_selectorELNS0_4arch9wavefront6targetE0EEEvSK_.num_vgpr, 0
	.set _ZN7rocprim17ROCPRIM_400000_NS6detail17trampoline_kernelINS0_14default_configENS1_36segmented_radix_sort_config_selectorIflEEZNS1_25segmented_radix_sort_implIS3_Lb0EPKfPfPKlPlN2at6native12_GLOBAL__N_18offset_tEEE10hipError_tPvRmT1_PNSt15iterator_traitsISK_E10value_typeET2_T3_PNSL_ISQ_E10value_typeET4_jRbjT5_SW_jjP12ihipStream_tbEUlT_E0_NS1_11comp_targetILNS1_3genE9ELNS1_11target_archE1100ELNS1_3gpuE3ELNS1_3repE0EEENS1_60segmented_radix_sort_warp_sort_medium_config_static_selectorELNS0_4arch9wavefront6targetE0EEEvSK_.num_agpr, 0
	.set _ZN7rocprim17ROCPRIM_400000_NS6detail17trampoline_kernelINS0_14default_configENS1_36segmented_radix_sort_config_selectorIflEEZNS1_25segmented_radix_sort_implIS3_Lb0EPKfPfPKlPlN2at6native12_GLOBAL__N_18offset_tEEE10hipError_tPvRmT1_PNSt15iterator_traitsISK_E10value_typeET2_T3_PNSL_ISQ_E10value_typeET4_jRbjT5_SW_jjP12ihipStream_tbEUlT_E0_NS1_11comp_targetILNS1_3genE9ELNS1_11target_archE1100ELNS1_3gpuE3ELNS1_3repE0EEENS1_60segmented_radix_sort_warp_sort_medium_config_static_selectorELNS0_4arch9wavefront6targetE0EEEvSK_.numbered_sgpr, 0
	.set _ZN7rocprim17ROCPRIM_400000_NS6detail17trampoline_kernelINS0_14default_configENS1_36segmented_radix_sort_config_selectorIflEEZNS1_25segmented_radix_sort_implIS3_Lb0EPKfPfPKlPlN2at6native12_GLOBAL__N_18offset_tEEE10hipError_tPvRmT1_PNSt15iterator_traitsISK_E10value_typeET2_T3_PNSL_ISQ_E10value_typeET4_jRbjT5_SW_jjP12ihipStream_tbEUlT_E0_NS1_11comp_targetILNS1_3genE9ELNS1_11target_archE1100ELNS1_3gpuE3ELNS1_3repE0EEENS1_60segmented_radix_sort_warp_sort_medium_config_static_selectorELNS0_4arch9wavefront6targetE0EEEvSK_.num_named_barrier, 0
	.set _ZN7rocprim17ROCPRIM_400000_NS6detail17trampoline_kernelINS0_14default_configENS1_36segmented_radix_sort_config_selectorIflEEZNS1_25segmented_radix_sort_implIS3_Lb0EPKfPfPKlPlN2at6native12_GLOBAL__N_18offset_tEEE10hipError_tPvRmT1_PNSt15iterator_traitsISK_E10value_typeET2_T3_PNSL_ISQ_E10value_typeET4_jRbjT5_SW_jjP12ihipStream_tbEUlT_E0_NS1_11comp_targetILNS1_3genE9ELNS1_11target_archE1100ELNS1_3gpuE3ELNS1_3repE0EEENS1_60segmented_radix_sort_warp_sort_medium_config_static_selectorELNS0_4arch9wavefront6targetE0EEEvSK_.private_seg_size, 0
	.set _ZN7rocprim17ROCPRIM_400000_NS6detail17trampoline_kernelINS0_14default_configENS1_36segmented_radix_sort_config_selectorIflEEZNS1_25segmented_radix_sort_implIS3_Lb0EPKfPfPKlPlN2at6native12_GLOBAL__N_18offset_tEEE10hipError_tPvRmT1_PNSt15iterator_traitsISK_E10value_typeET2_T3_PNSL_ISQ_E10value_typeET4_jRbjT5_SW_jjP12ihipStream_tbEUlT_E0_NS1_11comp_targetILNS1_3genE9ELNS1_11target_archE1100ELNS1_3gpuE3ELNS1_3repE0EEENS1_60segmented_radix_sort_warp_sort_medium_config_static_selectorELNS0_4arch9wavefront6targetE0EEEvSK_.uses_vcc, 0
	.set _ZN7rocprim17ROCPRIM_400000_NS6detail17trampoline_kernelINS0_14default_configENS1_36segmented_radix_sort_config_selectorIflEEZNS1_25segmented_radix_sort_implIS3_Lb0EPKfPfPKlPlN2at6native12_GLOBAL__N_18offset_tEEE10hipError_tPvRmT1_PNSt15iterator_traitsISK_E10value_typeET2_T3_PNSL_ISQ_E10value_typeET4_jRbjT5_SW_jjP12ihipStream_tbEUlT_E0_NS1_11comp_targetILNS1_3genE9ELNS1_11target_archE1100ELNS1_3gpuE3ELNS1_3repE0EEENS1_60segmented_radix_sort_warp_sort_medium_config_static_selectorELNS0_4arch9wavefront6targetE0EEEvSK_.uses_flat_scratch, 0
	.set _ZN7rocprim17ROCPRIM_400000_NS6detail17trampoline_kernelINS0_14default_configENS1_36segmented_radix_sort_config_selectorIflEEZNS1_25segmented_radix_sort_implIS3_Lb0EPKfPfPKlPlN2at6native12_GLOBAL__N_18offset_tEEE10hipError_tPvRmT1_PNSt15iterator_traitsISK_E10value_typeET2_T3_PNSL_ISQ_E10value_typeET4_jRbjT5_SW_jjP12ihipStream_tbEUlT_E0_NS1_11comp_targetILNS1_3genE9ELNS1_11target_archE1100ELNS1_3gpuE3ELNS1_3repE0EEENS1_60segmented_radix_sort_warp_sort_medium_config_static_selectorELNS0_4arch9wavefront6targetE0EEEvSK_.has_dyn_sized_stack, 0
	.set _ZN7rocprim17ROCPRIM_400000_NS6detail17trampoline_kernelINS0_14default_configENS1_36segmented_radix_sort_config_selectorIflEEZNS1_25segmented_radix_sort_implIS3_Lb0EPKfPfPKlPlN2at6native12_GLOBAL__N_18offset_tEEE10hipError_tPvRmT1_PNSt15iterator_traitsISK_E10value_typeET2_T3_PNSL_ISQ_E10value_typeET4_jRbjT5_SW_jjP12ihipStream_tbEUlT_E0_NS1_11comp_targetILNS1_3genE9ELNS1_11target_archE1100ELNS1_3gpuE3ELNS1_3repE0EEENS1_60segmented_radix_sort_warp_sort_medium_config_static_selectorELNS0_4arch9wavefront6targetE0EEEvSK_.has_recursion, 0
	.set _ZN7rocprim17ROCPRIM_400000_NS6detail17trampoline_kernelINS0_14default_configENS1_36segmented_radix_sort_config_selectorIflEEZNS1_25segmented_radix_sort_implIS3_Lb0EPKfPfPKlPlN2at6native12_GLOBAL__N_18offset_tEEE10hipError_tPvRmT1_PNSt15iterator_traitsISK_E10value_typeET2_T3_PNSL_ISQ_E10value_typeET4_jRbjT5_SW_jjP12ihipStream_tbEUlT_E0_NS1_11comp_targetILNS1_3genE9ELNS1_11target_archE1100ELNS1_3gpuE3ELNS1_3repE0EEENS1_60segmented_radix_sort_warp_sort_medium_config_static_selectorELNS0_4arch9wavefront6targetE0EEEvSK_.has_indirect_call, 0
	.section	.AMDGPU.csdata,"",@progbits
; Kernel info:
; codeLenInByte = 0
; TotalNumSgprs: 0
; NumVgprs: 0
; ScratchSize: 0
; MemoryBound: 0
; FloatMode: 240
; IeeeMode: 1
; LDSByteSize: 0 bytes/workgroup (compile time only)
; SGPRBlocks: 0
; VGPRBlocks: 0
; NumSGPRsForWavesPerEU: 1
; NumVGPRsForWavesPerEU: 1
; Occupancy: 16
; WaveLimiterHint : 0
; COMPUTE_PGM_RSRC2:SCRATCH_EN: 0
; COMPUTE_PGM_RSRC2:USER_SGPR: 2
; COMPUTE_PGM_RSRC2:TRAP_HANDLER: 0
; COMPUTE_PGM_RSRC2:TGID_X_EN: 1
; COMPUTE_PGM_RSRC2:TGID_Y_EN: 0
; COMPUTE_PGM_RSRC2:TGID_Z_EN: 0
; COMPUTE_PGM_RSRC2:TIDIG_COMP_CNT: 0
	.section	.text._ZN7rocprim17ROCPRIM_400000_NS6detail17trampoline_kernelINS0_14default_configENS1_36segmented_radix_sort_config_selectorIflEEZNS1_25segmented_radix_sort_implIS3_Lb0EPKfPfPKlPlN2at6native12_GLOBAL__N_18offset_tEEE10hipError_tPvRmT1_PNSt15iterator_traitsISK_E10value_typeET2_T3_PNSL_ISQ_E10value_typeET4_jRbjT5_SW_jjP12ihipStream_tbEUlT_E0_NS1_11comp_targetILNS1_3genE8ELNS1_11target_archE1030ELNS1_3gpuE2ELNS1_3repE0EEENS1_60segmented_radix_sort_warp_sort_medium_config_static_selectorELNS0_4arch9wavefront6targetE0EEEvSK_,"axG",@progbits,_ZN7rocprim17ROCPRIM_400000_NS6detail17trampoline_kernelINS0_14default_configENS1_36segmented_radix_sort_config_selectorIflEEZNS1_25segmented_radix_sort_implIS3_Lb0EPKfPfPKlPlN2at6native12_GLOBAL__N_18offset_tEEE10hipError_tPvRmT1_PNSt15iterator_traitsISK_E10value_typeET2_T3_PNSL_ISQ_E10value_typeET4_jRbjT5_SW_jjP12ihipStream_tbEUlT_E0_NS1_11comp_targetILNS1_3genE8ELNS1_11target_archE1030ELNS1_3gpuE2ELNS1_3repE0EEENS1_60segmented_radix_sort_warp_sort_medium_config_static_selectorELNS0_4arch9wavefront6targetE0EEEvSK_,comdat
	.globl	_ZN7rocprim17ROCPRIM_400000_NS6detail17trampoline_kernelINS0_14default_configENS1_36segmented_radix_sort_config_selectorIflEEZNS1_25segmented_radix_sort_implIS3_Lb0EPKfPfPKlPlN2at6native12_GLOBAL__N_18offset_tEEE10hipError_tPvRmT1_PNSt15iterator_traitsISK_E10value_typeET2_T3_PNSL_ISQ_E10value_typeET4_jRbjT5_SW_jjP12ihipStream_tbEUlT_E0_NS1_11comp_targetILNS1_3genE8ELNS1_11target_archE1030ELNS1_3gpuE2ELNS1_3repE0EEENS1_60segmented_radix_sort_warp_sort_medium_config_static_selectorELNS0_4arch9wavefront6targetE0EEEvSK_ ; -- Begin function _ZN7rocprim17ROCPRIM_400000_NS6detail17trampoline_kernelINS0_14default_configENS1_36segmented_radix_sort_config_selectorIflEEZNS1_25segmented_radix_sort_implIS3_Lb0EPKfPfPKlPlN2at6native12_GLOBAL__N_18offset_tEEE10hipError_tPvRmT1_PNSt15iterator_traitsISK_E10value_typeET2_T3_PNSL_ISQ_E10value_typeET4_jRbjT5_SW_jjP12ihipStream_tbEUlT_E0_NS1_11comp_targetILNS1_3genE8ELNS1_11target_archE1030ELNS1_3gpuE2ELNS1_3repE0EEENS1_60segmented_radix_sort_warp_sort_medium_config_static_selectorELNS0_4arch9wavefront6targetE0EEEvSK_
	.p2align	8
	.type	_ZN7rocprim17ROCPRIM_400000_NS6detail17trampoline_kernelINS0_14default_configENS1_36segmented_radix_sort_config_selectorIflEEZNS1_25segmented_radix_sort_implIS3_Lb0EPKfPfPKlPlN2at6native12_GLOBAL__N_18offset_tEEE10hipError_tPvRmT1_PNSt15iterator_traitsISK_E10value_typeET2_T3_PNSL_ISQ_E10value_typeET4_jRbjT5_SW_jjP12ihipStream_tbEUlT_E0_NS1_11comp_targetILNS1_3genE8ELNS1_11target_archE1030ELNS1_3gpuE2ELNS1_3repE0EEENS1_60segmented_radix_sort_warp_sort_medium_config_static_selectorELNS0_4arch9wavefront6targetE0EEEvSK_,@function
_ZN7rocprim17ROCPRIM_400000_NS6detail17trampoline_kernelINS0_14default_configENS1_36segmented_radix_sort_config_selectorIflEEZNS1_25segmented_radix_sort_implIS3_Lb0EPKfPfPKlPlN2at6native12_GLOBAL__N_18offset_tEEE10hipError_tPvRmT1_PNSt15iterator_traitsISK_E10value_typeET2_T3_PNSL_ISQ_E10value_typeET4_jRbjT5_SW_jjP12ihipStream_tbEUlT_E0_NS1_11comp_targetILNS1_3genE8ELNS1_11target_archE1030ELNS1_3gpuE2ELNS1_3repE0EEENS1_60segmented_radix_sort_warp_sort_medium_config_static_selectorELNS0_4arch9wavefront6targetE0EEEvSK_: ; @_ZN7rocprim17ROCPRIM_400000_NS6detail17trampoline_kernelINS0_14default_configENS1_36segmented_radix_sort_config_selectorIflEEZNS1_25segmented_radix_sort_implIS3_Lb0EPKfPfPKlPlN2at6native12_GLOBAL__N_18offset_tEEE10hipError_tPvRmT1_PNSt15iterator_traitsISK_E10value_typeET2_T3_PNSL_ISQ_E10value_typeET4_jRbjT5_SW_jjP12ihipStream_tbEUlT_E0_NS1_11comp_targetILNS1_3genE8ELNS1_11target_archE1030ELNS1_3gpuE2ELNS1_3repE0EEENS1_60segmented_radix_sort_warp_sort_medium_config_static_selectorELNS0_4arch9wavefront6targetE0EEEvSK_
; %bb.0:
	.section	.rodata,"a",@progbits
	.p2align	6, 0x0
	.amdhsa_kernel _ZN7rocprim17ROCPRIM_400000_NS6detail17trampoline_kernelINS0_14default_configENS1_36segmented_radix_sort_config_selectorIflEEZNS1_25segmented_radix_sort_implIS3_Lb0EPKfPfPKlPlN2at6native12_GLOBAL__N_18offset_tEEE10hipError_tPvRmT1_PNSt15iterator_traitsISK_E10value_typeET2_T3_PNSL_ISQ_E10value_typeET4_jRbjT5_SW_jjP12ihipStream_tbEUlT_E0_NS1_11comp_targetILNS1_3genE8ELNS1_11target_archE1030ELNS1_3gpuE2ELNS1_3repE0EEENS1_60segmented_radix_sort_warp_sort_medium_config_static_selectorELNS0_4arch9wavefront6targetE0EEEvSK_
		.amdhsa_group_segment_fixed_size 0
		.amdhsa_private_segment_fixed_size 0
		.amdhsa_kernarg_size 88
		.amdhsa_user_sgpr_count 2
		.amdhsa_user_sgpr_dispatch_ptr 0
		.amdhsa_user_sgpr_queue_ptr 0
		.amdhsa_user_sgpr_kernarg_segment_ptr 1
		.amdhsa_user_sgpr_dispatch_id 0
		.amdhsa_user_sgpr_private_segment_size 0
		.amdhsa_wavefront_size32 1
		.amdhsa_uses_dynamic_stack 0
		.amdhsa_enable_private_segment 0
		.amdhsa_system_sgpr_workgroup_id_x 1
		.amdhsa_system_sgpr_workgroup_id_y 0
		.amdhsa_system_sgpr_workgroup_id_z 0
		.amdhsa_system_sgpr_workgroup_info 0
		.amdhsa_system_vgpr_workitem_id 0
		.amdhsa_next_free_vgpr 1
		.amdhsa_next_free_sgpr 1
		.amdhsa_reserve_vcc 0
		.amdhsa_float_round_mode_32 0
		.amdhsa_float_round_mode_16_64 0
		.amdhsa_float_denorm_mode_32 3
		.amdhsa_float_denorm_mode_16_64 3
		.amdhsa_fp16_overflow 0
		.amdhsa_workgroup_processor_mode 1
		.amdhsa_memory_ordered 1
		.amdhsa_forward_progress 1
		.amdhsa_inst_pref_size 0
		.amdhsa_round_robin_scheduling 0
		.amdhsa_exception_fp_ieee_invalid_op 0
		.amdhsa_exception_fp_denorm_src 0
		.amdhsa_exception_fp_ieee_div_zero 0
		.amdhsa_exception_fp_ieee_overflow 0
		.amdhsa_exception_fp_ieee_underflow 0
		.amdhsa_exception_fp_ieee_inexact 0
		.amdhsa_exception_int_div_zero 0
	.end_amdhsa_kernel
	.section	.text._ZN7rocprim17ROCPRIM_400000_NS6detail17trampoline_kernelINS0_14default_configENS1_36segmented_radix_sort_config_selectorIflEEZNS1_25segmented_radix_sort_implIS3_Lb0EPKfPfPKlPlN2at6native12_GLOBAL__N_18offset_tEEE10hipError_tPvRmT1_PNSt15iterator_traitsISK_E10value_typeET2_T3_PNSL_ISQ_E10value_typeET4_jRbjT5_SW_jjP12ihipStream_tbEUlT_E0_NS1_11comp_targetILNS1_3genE8ELNS1_11target_archE1030ELNS1_3gpuE2ELNS1_3repE0EEENS1_60segmented_radix_sort_warp_sort_medium_config_static_selectorELNS0_4arch9wavefront6targetE0EEEvSK_,"axG",@progbits,_ZN7rocprim17ROCPRIM_400000_NS6detail17trampoline_kernelINS0_14default_configENS1_36segmented_radix_sort_config_selectorIflEEZNS1_25segmented_radix_sort_implIS3_Lb0EPKfPfPKlPlN2at6native12_GLOBAL__N_18offset_tEEE10hipError_tPvRmT1_PNSt15iterator_traitsISK_E10value_typeET2_T3_PNSL_ISQ_E10value_typeET4_jRbjT5_SW_jjP12ihipStream_tbEUlT_E0_NS1_11comp_targetILNS1_3genE8ELNS1_11target_archE1030ELNS1_3gpuE2ELNS1_3repE0EEENS1_60segmented_radix_sort_warp_sort_medium_config_static_selectorELNS0_4arch9wavefront6targetE0EEEvSK_,comdat
.Lfunc_end1447:
	.size	_ZN7rocprim17ROCPRIM_400000_NS6detail17trampoline_kernelINS0_14default_configENS1_36segmented_radix_sort_config_selectorIflEEZNS1_25segmented_radix_sort_implIS3_Lb0EPKfPfPKlPlN2at6native12_GLOBAL__N_18offset_tEEE10hipError_tPvRmT1_PNSt15iterator_traitsISK_E10value_typeET2_T3_PNSL_ISQ_E10value_typeET4_jRbjT5_SW_jjP12ihipStream_tbEUlT_E0_NS1_11comp_targetILNS1_3genE8ELNS1_11target_archE1030ELNS1_3gpuE2ELNS1_3repE0EEENS1_60segmented_radix_sort_warp_sort_medium_config_static_selectorELNS0_4arch9wavefront6targetE0EEEvSK_, .Lfunc_end1447-_ZN7rocprim17ROCPRIM_400000_NS6detail17trampoline_kernelINS0_14default_configENS1_36segmented_radix_sort_config_selectorIflEEZNS1_25segmented_radix_sort_implIS3_Lb0EPKfPfPKlPlN2at6native12_GLOBAL__N_18offset_tEEE10hipError_tPvRmT1_PNSt15iterator_traitsISK_E10value_typeET2_T3_PNSL_ISQ_E10value_typeET4_jRbjT5_SW_jjP12ihipStream_tbEUlT_E0_NS1_11comp_targetILNS1_3genE8ELNS1_11target_archE1030ELNS1_3gpuE2ELNS1_3repE0EEENS1_60segmented_radix_sort_warp_sort_medium_config_static_selectorELNS0_4arch9wavefront6targetE0EEEvSK_
                                        ; -- End function
	.set _ZN7rocprim17ROCPRIM_400000_NS6detail17trampoline_kernelINS0_14default_configENS1_36segmented_radix_sort_config_selectorIflEEZNS1_25segmented_radix_sort_implIS3_Lb0EPKfPfPKlPlN2at6native12_GLOBAL__N_18offset_tEEE10hipError_tPvRmT1_PNSt15iterator_traitsISK_E10value_typeET2_T3_PNSL_ISQ_E10value_typeET4_jRbjT5_SW_jjP12ihipStream_tbEUlT_E0_NS1_11comp_targetILNS1_3genE8ELNS1_11target_archE1030ELNS1_3gpuE2ELNS1_3repE0EEENS1_60segmented_radix_sort_warp_sort_medium_config_static_selectorELNS0_4arch9wavefront6targetE0EEEvSK_.num_vgpr, 0
	.set _ZN7rocprim17ROCPRIM_400000_NS6detail17trampoline_kernelINS0_14default_configENS1_36segmented_radix_sort_config_selectorIflEEZNS1_25segmented_radix_sort_implIS3_Lb0EPKfPfPKlPlN2at6native12_GLOBAL__N_18offset_tEEE10hipError_tPvRmT1_PNSt15iterator_traitsISK_E10value_typeET2_T3_PNSL_ISQ_E10value_typeET4_jRbjT5_SW_jjP12ihipStream_tbEUlT_E0_NS1_11comp_targetILNS1_3genE8ELNS1_11target_archE1030ELNS1_3gpuE2ELNS1_3repE0EEENS1_60segmented_radix_sort_warp_sort_medium_config_static_selectorELNS0_4arch9wavefront6targetE0EEEvSK_.num_agpr, 0
	.set _ZN7rocprim17ROCPRIM_400000_NS6detail17trampoline_kernelINS0_14default_configENS1_36segmented_radix_sort_config_selectorIflEEZNS1_25segmented_radix_sort_implIS3_Lb0EPKfPfPKlPlN2at6native12_GLOBAL__N_18offset_tEEE10hipError_tPvRmT1_PNSt15iterator_traitsISK_E10value_typeET2_T3_PNSL_ISQ_E10value_typeET4_jRbjT5_SW_jjP12ihipStream_tbEUlT_E0_NS1_11comp_targetILNS1_3genE8ELNS1_11target_archE1030ELNS1_3gpuE2ELNS1_3repE0EEENS1_60segmented_radix_sort_warp_sort_medium_config_static_selectorELNS0_4arch9wavefront6targetE0EEEvSK_.numbered_sgpr, 0
	.set _ZN7rocprim17ROCPRIM_400000_NS6detail17trampoline_kernelINS0_14default_configENS1_36segmented_radix_sort_config_selectorIflEEZNS1_25segmented_radix_sort_implIS3_Lb0EPKfPfPKlPlN2at6native12_GLOBAL__N_18offset_tEEE10hipError_tPvRmT1_PNSt15iterator_traitsISK_E10value_typeET2_T3_PNSL_ISQ_E10value_typeET4_jRbjT5_SW_jjP12ihipStream_tbEUlT_E0_NS1_11comp_targetILNS1_3genE8ELNS1_11target_archE1030ELNS1_3gpuE2ELNS1_3repE0EEENS1_60segmented_radix_sort_warp_sort_medium_config_static_selectorELNS0_4arch9wavefront6targetE0EEEvSK_.num_named_barrier, 0
	.set _ZN7rocprim17ROCPRIM_400000_NS6detail17trampoline_kernelINS0_14default_configENS1_36segmented_radix_sort_config_selectorIflEEZNS1_25segmented_radix_sort_implIS3_Lb0EPKfPfPKlPlN2at6native12_GLOBAL__N_18offset_tEEE10hipError_tPvRmT1_PNSt15iterator_traitsISK_E10value_typeET2_T3_PNSL_ISQ_E10value_typeET4_jRbjT5_SW_jjP12ihipStream_tbEUlT_E0_NS1_11comp_targetILNS1_3genE8ELNS1_11target_archE1030ELNS1_3gpuE2ELNS1_3repE0EEENS1_60segmented_radix_sort_warp_sort_medium_config_static_selectorELNS0_4arch9wavefront6targetE0EEEvSK_.private_seg_size, 0
	.set _ZN7rocprim17ROCPRIM_400000_NS6detail17trampoline_kernelINS0_14default_configENS1_36segmented_radix_sort_config_selectorIflEEZNS1_25segmented_radix_sort_implIS3_Lb0EPKfPfPKlPlN2at6native12_GLOBAL__N_18offset_tEEE10hipError_tPvRmT1_PNSt15iterator_traitsISK_E10value_typeET2_T3_PNSL_ISQ_E10value_typeET4_jRbjT5_SW_jjP12ihipStream_tbEUlT_E0_NS1_11comp_targetILNS1_3genE8ELNS1_11target_archE1030ELNS1_3gpuE2ELNS1_3repE0EEENS1_60segmented_radix_sort_warp_sort_medium_config_static_selectorELNS0_4arch9wavefront6targetE0EEEvSK_.uses_vcc, 0
	.set _ZN7rocprim17ROCPRIM_400000_NS6detail17trampoline_kernelINS0_14default_configENS1_36segmented_radix_sort_config_selectorIflEEZNS1_25segmented_radix_sort_implIS3_Lb0EPKfPfPKlPlN2at6native12_GLOBAL__N_18offset_tEEE10hipError_tPvRmT1_PNSt15iterator_traitsISK_E10value_typeET2_T3_PNSL_ISQ_E10value_typeET4_jRbjT5_SW_jjP12ihipStream_tbEUlT_E0_NS1_11comp_targetILNS1_3genE8ELNS1_11target_archE1030ELNS1_3gpuE2ELNS1_3repE0EEENS1_60segmented_radix_sort_warp_sort_medium_config_static_selectorELNS0_4arch9wavefront6targetE0EEEvSK_.uses_flat_scratch, 0
	.set _ZN7rocprim17ROCPRIM_400000_NS6detail17trampoline_kernelINS0_14default_configENS1_36segmented_radix_sort_config_selectorIflEEZNS1_25segmented_radix_sort_implIS3_Lb0EPKfPfPKlPlN2at6native12_GLOBAL__N_18offset_tEEE10hipError_tPvRmT1_PNSt15iterator_traitsISK_E10value_typeET2_T3_PNSL_ISQ_E10value_typeET4_jRbjT5_SW_jjP12ihipStream_tbEUlT_E0_NS1_11comp_targetILNS1_3genE8ELNS1_11target_archE1030ELNS1_3gpuE2ELNS1_3repE0EEENS1_60segmented_radix_sort_warp_sort_medium_config_static_selectorELNS0_4arch9wavefront6targetE0EEEvSK_.has_dyn_sized_stack, 0
	.set _ZN7rocprim17ROCPRIM_400000_NS6detail17trampoline_kernelINS0_14default_configENS1_36segmented_radix_sort_config_selectorIflEEZNS1_25segmented_radix_sort_implIS3_Lb0EPKfPfPKlPlN2at6native12_GLOBAL__N_18offset_tEEE10hipError_tPvRmT1_PNSt15iterator_traitsISK_E10value_typeET2_T3_PNSL_ISQ_E10value_typeET4_jRbjT5_SW_jjP12ihipStream_tbEUlT_E0_NS1_11comp_targetILNS1_3genE8ELNS1_11target_archE1030ELNS1_3gpuE2ELNS1_3repE0EEENS1_60segmented_radix_sort_warp_sort_medium_config_static_selectorELNS0_4arch9wavefront6targetE0EEEvSK_.has_recursion, 0
	.set _ZN7rocprim17ROCPRIM_400000_NS6detail17trampoline_kernelINS0_14default_configENS1_36segmented_radix_sort_config_selectorIflEEZNS1_25segmented_radix_sort_implIS3_Lb0EPKfPfPKlPlN2at6native12_GLOBAL__N_18offset_tEEE10hipError_tPvRmT1_PNSt15iterator_traitsISK_E10value_typeET2_T3_PNSL_ISQ_E10value_typeET4_jRbjT5_SW_jjP12ihipStream_tbEUlT_E0_NS1_11comp_targetILNS1_3genE8ELNS1_11target_archE1030ELNS1_3gpuE2ELNS1_3repE0EEENS1_60segmented_radix_sort_warp_sort_medium_config_static_selectorELNS0_4arch9wavefront6targetE0EEEvSK_.has_indirect_call, 0
	.section	.AMDGPU.csdata,"",@progbits
; Kernel info:
; codeLenInByte = 0
; TotalNumSgprs: 0
; NumVgprs: 0
; ScratchSize: 0
; MemoryBound: 0
; FloatMode: 240
; IeeeMode: 1
; LDSByteSize: 0 bytes/workgroup (compile time only)
; SGPRBlocks: 0
; VGPRBlocks: 0
; NumSGPRsForWavesPerEU: 1
; NumVGPRsForWavesPerEU: 1
; Occupancy: 16
; WaveLimiterHint : 0
; COMPUTE_PGM_RSRC2:SCRATCH_EN: 0
; COMPUTE_PGM_RSRC2:USER_SGPR: 2
; COMPUTE_PGM_RSRC2:TRAP_HANDLER: 0
; COMPUTE_PGM_RSRC2:TGID_X_EN: 1
; COMPUTE_PGM_RSRC2:TGID_Y_EN: 0
; COMPUTE_PGM_RSRC2:TGID_Z_EN: 0
; COMPUTE_PGM_RSRC2:TIDIG_COMP_CNT: 0
	.section	.text._ZN7rocprim17ROCPRIM_400000_NS6detail17trampoline_kernelINS0_14default_configENS1_36segmented_radix_sort_config_selectorIflEEZNS1_25segmented_radix_sort_implIS3_Lb0EPKfPfPKlPlN2at6native12_GLOBAL__N_18offset_tEEE10hipError_tPvRmT1_PNSt15iterator_traitsISK_E10value_typeET2_T3_PNSL_ISQ_E10value_typeET4_jRbjT5_SW_jjP12ihipStream_tbEUlT_E1_NS1_11comp_targetILNS1_3genE0ELNS1_11target_archE4294967295ELNS1_3gpuE0ELNS1_3repE0EEENS1_59segmented_radix_sort_warp_sort_small_config_static_selectorELNS0_4arch9wavefront6targetE0EEEvSK_,"axG",@progbits,_ZN7rocprim17ROCPRIM_400000_NS6detail17trampoline_kernelINS0_14default_configENS1_36segmented_radix_sort_config_selectorIflEEZNS1_25segmented_radix_sort_implIS3_Lb0EPKfPfPKlPlN2at6native12_GLOBAL__N_18offset_tEEE10hipError_tPvRmT1_PNSt15iterator_traitsISK_E10value_typeET2_T3_PNSL_ISQ_E10value_typeET4_jRbjT5_SW_jjP12ihipStream_tbEUlT_E1_NS1_11comp_targetILNS1_3genE0ELNS1_11target_archE4294967295ELNS1_3gpuE0ELNS1_3repE0EEENS1_59segmented_radix_sort_warp_sort_small_config_static_selectorELNS0_4arch9wavefront6targetE0EEEvSK_,comdat
	.globl	_ZN7rocprim17ROCPRIM_400000_NS6detail17trampoline_kernelINS0_14default_configENS1_36segmented_radix_sort_config_selectorIflEEZNS1_25segmented_radix_sort_implIS3_Lb0EPKfPfPKlPlN2at6native12_GLOBAL__N_18offset_tEEE10hipError_tPvRmT1_PNSt15iterator_traitsISK_E10value_typeET2_T3_PNSL_ISQ_E10value_typeET4_jRbjT5_SW_jjP12ihipStream_tbEUlT_E1_NS1_11comp_targetILNS1_3genE0ELNS1_11target_archE4294967295ELNS1_3gpuE0ELNS1_3repE0EEENS1_59segmented_radix_sort_warp_sort_small_config_static_selectorELNS0_4arch9wavefront6targetE0EEEvSK_ ; -- Begin function _ZN7rocprim17ROCPRIM_400000_NS6detail17trampoline_kernelINS0_14default_configENS1_36segmented_radix_sort_config_selectorIflEEZNS1_25segmented_radix_sort_implIS3_Lb0EPKfPfPKlPlN2at6native12_GLOBAL__N_18offset_tEEE10hipError_tPvRmT1_PNSt15iterator_traitsISK_E10value_typeET2_T3_PNSL_ISQ_E10value_typeET4_jRbjT5_SW_jjP12ihipStream_tbEUlT_E1_NS1_11comp_targetILNS1_3genE0ELNS1_11target_archE4294967295ELNS1_3gpuE0ELNS1_3repE0EEENS1_59segmented_radix_sort_warp_sort_small_config_static_selectorELNS0_4arch9wavefront6targetE0EEEvSK_
	.p2align	8
	.type	_ZN7rocprim17ROCPRIM_400000_NS6detail17trampoline_kernelINS0_14default_configENS1_36segmented_radix_sort_config_selectorIflEEZNS1_25segmented_radix_sort_implIS3_Lb0EPKfPfPKlPlN2at6native12_GLOBAL__N_18offset_tEEE10hipError_tPvRmT1_PNSt15iterator_traitsISK_E10value_typeET2_T3_PNSL_ISQ_E10value_typeET4_jRbjT5_SW_jjP12ihipStream_tbEUlT_E1_NS1_11comp_targetILNS1_3genE0ELNS1_11target_archE4294967295ELNS1_3gpuE0ELNS1_3repE0EEENS1_59segmented_radix_sort_warp_sort_small_config_static_selectorELNS0_4arch9wavefront6targetE0EEEvSK_,@function
_ZN7rocprim17ROCPRIM_400000_NS6detail17trampoline_kernelINS0_14default_configENS1_36segmented_radix_sort_config_selectorIflEEZNS1_25segmented_radix_sort_implIS3_Lb0EPKfPfPKlPlN2at6native12_GLOBAL__N_18offset_tEEE10hipError_tPvRmT1_PNSt15iterator_traitsISK_E10value_typeET2_T3_PNSL_ISQ_E10value_typeET4_jRbjT5_SW_jjP12ihipStream_tbEUlT_E1_NS1_11comp_targetILNS1_3genE0ELNS1_11target_archE4294967295ELNS1_3gpuE0ELNS1_3repE0EEENS1_59segmented_radix_sort_warp_sort_small_config_static_selectorELNS0_4arch9wavefront6targetE0EEEvSK_: ; @_ZN7rocprim17ROCPRIM_400000_NS6detail17trampoline_kernelINS0_14default_configENS1_36segmented_radix_sort_config_selectorIflEEZNS1_25segmented_radix_sort_implIS3_Lb0EPKfPfPKlPlN2at6native12_GLOBAL__N_18offset_tEEE10hipError_tPvRmT1_PNSt15iterator_traitsISK_E10value_typeET2_T3_PNSL_ISQ_E10value_typeET4_jRbjT5_SW_jjP12ihipStream_tbEUlT_E1_NS1_11comp_targetILNS1_3genE0ELNS1_11target_archE4294967295ELNS1_3gpuE0ELNS1_3repE0EEENS1_59segmented_radix_sort_warp_sort_small_config_static_selectorELNS0_4arch9wavefront6targetE0EEEvSK_
; %bb.0:
	.section	.rodata,"a",@progbits
	.p2align	6, 0x0
	.amdhsa_kernel _ZN7rocprim17ROCPRIM_400000_NS6detail17trampoline_kernelINS0_14default_configENS1_36segmented_radix_sort_config_selectorIflEEZNS1_25segmented_radix_sort_implIS3_Lb0EPKfPfPKlPlN2at6native12_GLOBAL__N_18offset_tEEE10hipError_tPvRmT1_PNSt15iterator_traitsISK_E10value_typeET2_T3_PNSL_ISQ_E10value_typeET4_jRbjT5_SW_jjP12ihipStream_tbEUlT_E1_NS1_11comp_targetILNS1_3genE0ELNS1_11target_archE4294967295ELNS1_3gpuE0ELNS1_3repE0EEENS1_59segmented_radix_sort_warp_sort_small_config_static_selectorELNS0_4arch9wavefront6targetE0EEEvSK_
		.amdhsa_group_segment_fixed_size 0
		.amdhsa_private_segment_fixed_size 0
		.amdhsa_kernarg_size 88
		.amdhsa_user_sgpr_count 2
		.amdhsa_user_sgpr_dispatch_ptr 0
		.amdhsa_user_sgpr_queue_ptr 0
		.amdhsa_user_sgpr_kernarg_segment_ptr 1
		.amdhsa_user_sgpr_dispatch_id 0
		.amdhsa_user_sgpr_private_segment_size 0
		.amdhsa_wavefront_size32 1
		.amdhsa_uses_dynamic_stack 0
		.amdhsa_enable_private_segment 0
		.amdhsa_system_sgpr_workgroup_id_x 1
		.amdhsa_system_sgpr_workgroup_id_y 0
		.amdhsa_system_sgpr_workgroup_id_z 0
		.amdhsa_system_sgpr_workgroup_info 0
		.amdhsa_system_vgpr_workitem_id 0
		.amdhsa_next_free_vgpr 1
		.amdhsa_next_free_sgpr 1
		.amdhsa_reserve_vcc 0
		.amdhsa_float_round_mode_32 0
		.amdhsa_float_round_mode_16_64 0
		.amdhsa_float_denorm_mode_32 3
		.amdhsa_float_denorm_mode_16_64 3
		.amdhsa_fp16_overflow 0
		.amdhsa_workgroup_processor_mode 1
		.amdhsa_memory_ordered 1
		.amdhsa_forward_progress 1
		.amdhsa_inst_pref_size 0
		.amdhsa_round_robin_scheduling 0
		.amdhsa_exception_fp_ieee_invalid_op 0
		.amdhsa_exception_fp_denorm_src 0
		.amdhsa_exception_fp_ieee_div_zero 0
		.amdhsa_exception_fp_ieee_overflow 0
		.amdhsa_exception_fp_ieee_underflow 0
		.amdhsa_exception_fp_ieee_inexact 0
		.amdhsa_exception_int_div_zero 0
	.end_amdhsa_kernel
	.section	.text._ZN7rocprim17ROCPRIM_400000_NS6detail17trampoline_kernelINS0_14default_configENS1_36segmented_radix_sort_config_selectorIflEEZNS1_25segmented_radix_sort_implIS3_Lb0EPKfPfPKlPlN2at6native12_GLOBAL__N_18offset_tEEE10hipError_tPvRmT1_PNSt15iterator_traitsISK_E10value_typeET2_T3_PNSL_ISQ_E10value_typeET4_jRbjT5_SW_jjP12ihipStream_tbEUlT_E1_NS1_11comp_targetILNS1_3genE0ELNS1_11target_archE4294967295ELNS1_3gpuE0ELNS1_3repE0EEENS1_59segmented_radix_sort_warp_sort_small_config_static_selectorELNS0_4arch9wavefront6targetE0EEEvSK_,"axG",@progbits,_ZN7rocprim17ROCPRIM_400000_NS6detail17trampoline_kernelINS0_14default_configENS1_36segmented_radix_sort_config_selectorIflEEZNS1_25segmented_radix_sort_implIS3_Lb0EPKfPfPKlPlN2at6native12_GLOBAL__N_18offset_tEEE10hipError_tPvRmT1_PNSt15iterator_traitsISK_E10value_typeET2_T3_PNSL_ISQ_E10value_typeET4_jRbjT5_SW_jjP12ihipStream_tbEUlT_E1_NS1_11comp_targetILNS1_3genE0ELNS1_11target_archE4294967295ELNS1_3gpuE0ELNS1_3repE0EEENS1_59segmented_radix_sort_warp_sort_small_config_static_selectorELNS0_4arch9wavefront6targetE0EEEvSK_,comdat
.Lfunc_end1448:
	.size	_ZN7rocprim17ROCPRIM_400000_NS6detail17trampoline_kernelINS0_14default_configENS1_36segmented_radix_sort_config_selectorIflEEZNS1_25segmented_radix_sort_implIS3_Lb0EPKfPfPKlPlN2at6native12_GLOBAL__N_18offset_tEEE10hipError_tPvRmT1_PNSt15iterator_traitsISK_E10value_typeET2_T3_PNSL_ISQ_E10value_typeET4_jRbjT5_SW_jjP12ihipStream_tbEUlT_E1_NS1_11comp_targetILNS1_3genE0ELNS1_11target_archE4294967295ELNS1_3gpuE0ELNS1_3repE0EEENS1_59segmented_radix_sort_warp_sort_small_config_static_selectorELNS0_4arch9wavefront6targetE0EEEvSK_, .Lfunc_end1448-_ZN7rocprim17ROCPRIM_400000_NS6detail17trampoline_kernelINS0_14default_configENS1_36segmented_radix_sort_config_selectorIflEEZNS1_25segmented_radix_sort_implIS3_Lb0EPKfPfPKlPlN2at6native12_GLOBAL__N_18offset_tEEE10hipError_tPvRmT1_PNSt15iterator_traitsISK_E10value_typeET2_T3_PNSL_ISQ_E10value_typeET4_jRbjT5_SW_jjP12ihipStream_tbEUlT_E1_NS1_11comp_targetILNS1_3genE0ELNS1_11target_archE4294967295ELNS1_3gpuE0ELNS1_3repE0EEENS1_59segmented_radix_sort_warp_sort_small_config_static_selectorELNS0_4arch9wavefront6targetE0EEEvSK_
                                        ; -- End function
	.set _ZN7rocprim17ROCPRIM_400000_NS6detail17trampoline_kernelINS0_14default_configENS1_36segmented_radix_sort_config_selectorIflEEZNS1_25segmented_radix_sort_implIS3_Lb0EPKfPfPKlPlN2at6native12_GLOBAL__N_18offset_tEEE10hipError_tPvRmT1_PNSt15iterator_traitsISK_E10value_typeET2_T3_PNSL_ISQ_E10value_typeET4_jRbjT5_SW_jjP12ihipStream_tbEUlT_E1_NS1_11comp_targetILNS1_3genE0ELNS1_11target_archE4294967295ELNS1_3gpuE0ELNS1_3repE0EEENS1_59segmented_radix_sort_warp_sort_small_config_static_selectorELNS0_4arch9wavefront6targetE0EEEvSK_.num_vgpr, 0
	.set _ZN7rocprim17ROCPRIM_400000_NS6detail17trampoline_kernelINS0_14default_configENS1_36segmented_radix_sort_config_selectorIflEEZNS1_25segmented_radix_sort_implIS3_Lb0EPKfPfPKlPlN2at6native12_GLOBAL__N_18offset_tEEE10hipError_tPvRmT1_PNSt15iterator_traitsISK_E10value_typeET2_T3_PNSL_ISQ_E10value_typeET4_jRbjT5_SW_jjP12ihipStream_tbEUlT_E1_NS1_11comp_targetILNS1_3genE0ELNS1_11target_archE4294967295ELNS1_3gpuE0ELNS1_3repE0EEENS1_59segmented_radix_sort_warp_sort_small_config_static_selectorELNS0_4arch9wavefront6targetE0EEEvSK_.num_agpr, 0
	.set _ZN7rocprim17ROCPRIM_400000_NS6detail17trampoline_kernelINS0_14default_configENS1_36segmented_radix_sort_config_selectorIflEEZNS1_25segmented_radix_sort_implIS3_Lb0EPKfPfPKlPlN2at6native12_GLOBAL__N_18offset_tEEE10hipError_tPvRmT1_PNSt15iterator_traitsISK_E10value_typeET2_T3_PNSL_ISQ_E10value_typeET4_jRbjT5_SW_jjP12ihipStream_tbEUlT_E1_NS1_11comp_targetILNS1_3genE0ELNS1_11target_archE4294967295ELNS1_3gpuE0ELNS1_3repE0EEENS1_59segmented_radix_sort_warp_sort_small_config_static_selectorELNS0_4arch9wavefront6targetE0EEEvSK_.numbered_sgpr, 0
	.set _ZN7rocprim17ROCPRIM_400000_NS6detail17trampoline_kernelINS0_14default_configENS1_36segmented_radix_sort_config_selectorIflEEZNS1_25segmented_radix_sort_implIS3_Lb0EPKfPfPKlPlN2at6native12_GLOBAL__N_18offset_tEEE10hipError_tPvRmT1_PNSt15iterator_traitsISK_E10value_typeET2_T3_PNSL_ISQ_E10value_typeET4_jRbjT5_SW_jjP12ihipStream_tbEUlT_E1_NS1_11comp_targetILNS1_3genE0ELNS1_11target_archE4294967295ELNS1_3gpuE0ELNS1_3repE0EEENS1_59segmented_radix_sort_warp_sort_small_config_static_selectorELNS0_4arch9wavefront6targetE0EEEvSK_.num_named_barrier, 0
	.set _ZN7rocprim17ROCPRIM_400000_NS6detail17trampoline_kernelINS0_14default_configENS1_36segmented_radix_sort_config_selectorIflEEZNS1_25segmented_radix_sort_implIS3_Lb0EPKfPfPKlPlN2at6native12_GLOBAL__N_18offset_tEEE10hipError_tPvRmT1_PNSt15iterator_traitsISK_E10value_typeET2_T3_PNSL_ISQ_E10value_typeET4_jRbjT5_SW_jjP12ihipStream_tbEUlT_E1_NS1_11comp_targetILNS1_3genE0ELNS1_11target_archE4294967295ELNS1_3gpuE0ELNS1_3repE0EEENS1_59segmented_radix_sort_warp_sort_small_config_static_selectorELNS0_4arch9wavefront6targetE0EEEvSK_.private_seg_size, 0
	.set _ZN7rocprim17ROCPRIM_400000_NS6detail17trampoline_kernelINS0_14default_configENS1_36segmented_radix_sort_config_selectorIflEEZNS1_25segmented_radix_sort_implIS3_Lb0EPKfPfPKlPlN2at6native12_GLOBAL__N_18offset_tEEE10hipError_tPvRmT1_PNSt15iterator_traitsISK_E10value_typeET2_T3_PNSL_ISQ_E10value_typeET4_jRbjT5_SW_jjP12ihipStream_tbEUlT_E1_NS1_11comp_targetILNS1_3genE0ELNS1_11target_archE4294967295ELNS1_3gpuE0ELNS1_3repE0EEENS1_59segmented_radix_sort_warp_sort_small_config_static_selectorELNS0_4arch9wavefront6targetE0EEEvSK_.uses_vcc, 0
	.set _ZN7rocprim17ROCPRIM_400000_NS6detail17trampoline_kernelINS0_14default_configENS1_36segmented_radix_sort_config_selectorIflEEZNS1_25segmented_radix_sort_implIS3_Lb0EPKfPfPKlPlN2at6native12_GLOBAL__N_18offset_tEEE10hipError_tPvRmT1_PNSt15iterator_traitsISK_E10value_typeET2_T3_PNSL_ISQ_E10value_typeET4_jRbjT5_SW_jjP12ihipStream_tbEUlT_E1_NS1_11comp_targetILNS1_3genE0ELNS1_11target_archE4294967295ELNS1_3gpuE0ELNS1_3repE0EEENS1_59segmented_radix_sort_warp_sort_small_config_static_selectorELNS0_4arch9wavefront6targetE0EEEvSK_.uses_flat_scratch, 0
	.set _ZN7rocprim17ROCPRIM_400000_NS6detail17trampoline_kernelINS0_14default_configENS1_36segmented_radix_sort_config_selectorIflEEZNS1_25segmented_radix_sort_implIS3_Lb0EPKfPfPKlPlN2at6native12_GLOBAL__N_18offset_tEEE10hipError_tPvRmT1_PNSt15iterator_traitsISK_E10value_typeET2_T3_PNSL_ISQ_E10value_typeET4_jRbjT5_SW_jjP12ihipStream_tbEUlT_E1_NS1_11comp_targetILNS1_3genE0ELNS1_11target_archE4294967295ELNS1_3gpuE0ELNS1_3repE0EEENS1_59segmented_radix_sort_warp_sort_small_config_static_selectorELNS0_4arch9wavefront6targetE0EEEvSK_.has_dyn_sized_stack, 0
	.set _ZN7rocprim17ROCPRIM_400000_NS6detail17trampoline_kernelINS0_14default_configENS1_36segmented_radix_sort_config_selectorIflEEZNS1_25segmented_radix_sort_implIS3_Lb0EPKfPfPKlPlN2at6native12_GLOBAL__N_18offset_tEEE10hipError_tPvRmT1_PNSt15iterator_traitsISK_E10value_typeET2_T3_PNSL_ISQ_E10value_typeET4_jRbjT5_SW_jjP12ihipStream_tbEUlT_E1_NS1_11comp_targetILNS1_3genE0ELNS1_11target_archE4294967295ELNS1_3gpuE0ELNS1_3repE0EEENS1_59segmented_radix_sort_warp_sort_small_config_static_selectorELNS0_4arch9wavefront6targetE0EEEvSK_.has_recursion, 0
	.set _ZN7rocprim17ROCPRIM_400000_NS6detail17trampoline_kernelINS0_14default_configENS1_36segmented_radix_sort_config_selectorIflEEZNS1_25segmented_radix_sort_implIS3_Lb0EPKfPfPKlPlN2at6native12_GLOBAL__N_18offset_tEEE10hipError_tPvRmT1_PNSt15iterator_traitsISK_E10value_typeET2_T3_PNSL_ISQ_E10value_typeET4_jRbjT5_SW_jjP12ihipStream_tbEUlT_E1_NS1_11comp_targetILNS1_3genE0ELNS1_11target_archE4294967295ELNS1_3gpuE0ELNS1_3repE0EEENS1_59segmented_radix_sort_warp_sort_small_config_static_selectorELNS0_4arch9wavefront6targetE0EEEvSK_.has_indirect_call, 0
	.section	.AMDGPU.csdata,"",@progbits
; Kernel info:
; codeLenInByte = 0
; TotalNumSgprs: 0
; NumVgprs: 0
; ScratchSize: 0
; MemoryBound: 0
; FloatMode: 240
; IeeeMode: 1
; LDSByteSize: 0 bytes/workgroup (compile time only)
; SGPRBlocks: 0
; VGPRBlocks: 0
; NumSGPRsForWavesPerEU: 1
; NumVGPRsForWavesPerEU: 1
; Occupancy: 16
; WaveLimiterHint : 0
; COMPUTE_PGM_RSRC2:SCRATCH_EN: 0
; COMPUTE_PGM_RSRC2:USER_SGPR: 2
; COMPUTE_PGM_RSRC2:TRAP_HANDLER: 0
; COMPUTE_PGM_RSRC2:TGID_X_EN: 1
; COMPUTE_PGM_RSRC2:TGID_Y_EN: 0
; COMPUTE_PGM_RSRC2:TGID_Z_EN: 0
; COMPUTE_PGM_RSRC2:TIDIG_COMP_CNT: 0
	.section	.text._ZN7rocprim17ROCPRIM_400000_NS6detail17trampoline_kernelINS0_14default_configENS1_36segmented_radix_sort_config_selectorIflEEZNS1_25segmented_radix_sort_implIS3_Lb0EPKfPfPKlPlN2at6native12_GLOBAL__N_18offset_tEEE10hipError_tPvRmT1_PNSt15iterator_traitsISK_E10value_typeET2_T3_PNSL_ISQ_E10value_typeET4_jRbjT5_SW_jjP12ihipStream_tbEUlT_E1_NS1_11comp_targetILNS1_3genE5ELNS1_11target_archE942ELNS1_3gpuE9ELNS1_3repE0EEENS1_59segmented_radix_sort_warp_sort_small_config_static_selectorELNS0_4arch9wavefront6targetE0EEEvSK_,"axG",@progbits,_ZN7rocprim17ROCPRIM_400000_NS6detail17trampoline_kernelINS0_14default_configENS1_36segmented_radix_sort_config_selectorIflEEZNS1_25segmented_radix_sort_implIS3_Lb0EPKfPfPKlPlN2at6native12_GLOBAL__N_18offset_tEEE10hipError_tPvRmT1_PNSt15iterator_traitsISK_E10value_typeET2_T3_PNSL_ISQ_E10value_typeET4_jRbjT5_SW_jjP12ihipStream_tbEUlT_E1_NS1_11comp_targetILNS1_3genE5ELNS1_11target_archE942ELNS1_3gpuE9ELNS1_3repE0EEENS1_59segmented_radix_sort_warp_sort_small_config_static_selectorELNS0_4arch9wavefront6targetE0EEEvSK_,comdat
	.globl	_ZN7rocprim17ROCPRIM_400000_NS6detail17trampoline_kernelINS0_14default_configENS1_36segmented_radix_sort_config_selectorIflEEZNS1_25segmented_radix_sort_implIS3_Lb0EPKfPfPKlPlN2at6native12_GLOBAL__N_18offset_tEEE10hipError_tPvRmT1_PNSt15iterator_traitsISK_E10value_typeET2_T3_PNSL_ISQ_E10value_typeET4_jRbjT5_SW_jjP12ihipStream_tbEUlT_E1_NS1_11comp_targetILNS1_3genE5ELNS1_11target_archE942ELNS1_3gpuE9ELNS1_3repE0EEENS1_59segmented_radix_sort_warp_sort_small_config_static_selectorELNS0_4arch9wavefront6targetE0EEEvSK_ ; -- Begin function _ZN7rocprim17ROCPRIM_400000_NS6detail17trampoline_kernelINS0_14default_configENS1_36segmented_radix_sort_config_selectorIflEEZNS1_25segmented_radix_sort_implIS3_Lb0EPKfPfPKlPlN2at6native12_GLOBAL__N_18offset_tEEE10hipError_tPvRmT1_PNSt15iterator_traitsISK_E10value_typeET2_T3_PNSL_ISQ_E10value_typeET4_jRbjT5_SW_jjP12ihipStream_tbEUlT_E1_NS1_11comp_targetILNS1_3genE5ELNS1_11target_archE942ELNS1_3gpuE9ELNS1_3repE0EEENS1_59segmented_radix_sort_warp_sort_small_config_static_selectorELNS0_4arch9wavefront6targetE0EEEvSK_
	.p2align	8
	.type	_ZN7rocprim17ROCPRIM_400000_NS6detail17trampoline_kernelINS0_14default_configENS1_36segmented_radix_sort_config_selectorIflEEZNS1_25segmented_radix_sort_implIS3_Lb0EPKfPfPKlPlN2at6native12_GLOBAL__N_18offset_tEEE10hipError_tPvRmT1_PNSt15iterator_traitsISK_E10value_typeET2_T3_PNSL_ISQ_E10value_typeET4_jRbjT5_SW_jjP12ihipStream_tbEUlT_E1_NS1_11comp_targetILNS1_3genE5ELNS1_11target_archE942ELNS1_3gpuE9ELNS1_3repE0EEENS1_59segmented_radix_sort_warp_sort_small_config_static_selectorELNS0_4arch9wavefront6targetE0EEEvSK_,@function
_ZN7rocprim17ROCPRIM_400000_NS6detail17trampoline_kernelINS0_14default_configENS1_36segmented_radix_sort_config_selectorIflEEZNS1_25segmented_radix_sort_implIS3_Lb0EPKfPfPKlPlN2at6native12_GLOBAL__N_18offset_tEEE10hipError_tPvRmT1_PNSt15iterator_traitsISK_E10value_typeET2_T3_PNSL_ISQ_E10value_typeET4_jRbjT5_SW_jjP12ihipStream_tbEUlT_E1_NS1_11comp_targetILNS1_3genE5ELNS1_11target_archE942ELNS1_3gpuE9ELNS1_3repE0EEENS1_59segmented_radix_sort_warp_sort_small_config_static_selectorELNS0_4arch9wavefront6targetE0EEEvSK_: ; @_ZN7rocprim17ROCPRIM_400000_NS6detail17trampoline_kernelINS0_14default_configENS1_36segmented_radix_sort_config_selectorIflEEZNS1_25segmented_radix_sort_implIS3_Lb0EPKfPfPKlPlN2at6native12_GLOBAL__N_18offset_tEEE10hipError_tPvRmT1_PNSt15iterator_traitsISK_E10value_typeET2_T3_PNSL_ISQ_E10value_typeET4_jRbjT5_SW_jjP12ihipStream_tbEUlT_E1_NS1_11comp_targetILNS1_3genE5ELNS1_11target_archE942ELNS1_3gpuE9ELNS1_3repE0EEENS1_59segmented_radix_sort_warp_sort_small_config_static_selectorELNS0_4arch9wavefront6targetE0EEEvSK_
; %bb.0:
	.section	.rodata,"a",@progbits
	.p2align	6, 0x0
	.amdhsa_kernel _ZN7rocprim17ROCPRIM_400000_NS6detail17trampoline_kernelINS0_14default_configENS1_36segmented_radix_sort_config_selectorIflEEZNS1_25segmented_radix_sort_implIS3_Lb0EPKfPfPKlPlN2at6native12_GLOBAL__N_18offset_tEEE10hipError_tPvRmT1_PNSt15iterator_traitsISK_E10value_typeET2_T3_PNSL_ISQ_E10value_typeET4_jRbjT5_SW_jjP12ihipStream_tbEUlT_E1_NS1_11comp_targetILNS1_3genE5ELNS1_11target_archE942ELNS1_3gpuE9ELNS1_3repE0EEENS1_59segmented_radix_sort_warp_sort_small_config_static_selectorELNS0_4arch9wavefront6targetE0EEEvSK_
		.amdhsa_group_segment_fixed_size 0
		.amdhsa_private_segment_fixed_size 0
		.amdhsa_kernarg_size 88
		.amdhsa_user_sgpr_count 2
		.amdhsa_user_sgpr_dispatch_ptr 0
		.amdhsa_user_sgpr_queue_ptr 0
		.amdhsa_user_sgpr_kernarg_segment_ptr 1
		.amdhsa_user_sgpr_dispatch_id 0
		.amdhsa_user_sgpr_private_segment_size 0
		.amdhsa_wavefront_size32 1
		.amdhsa_uses_dynamic_stack 0
		.amdhsa_enable_private_segment 0
		.amdhsa_system_sgpr_workgroup_id_x 1
		.amdhsa_system_sgpr_workgroup_id_y 0
		.amdhsa_system_sgpr_workgroup_id_z 0
		.amdhsa_system_sgpr_workgroup_info 0
		.amdhsa_system_vgpr_workitem_id 0
		.amdhsa_next_free_vgpr 1
		.amdhsa_next_free_sgpr 1
		.amdhsa_reserve_vcc 0
		.amdhsa_float_round_mode_32 0
		.amdhsa_float_round_mode_16_64 0
		.amdhsa_float_denorm_mode_32 3
		.amdhsa_float_denorm_mode_16_64 3
		.amdhsa_fp16_overflow 0
		.amdhsa_workgroup_processor_mode 1
		.amdhsa_memory_ordered 1
		.amdhsa_forward_progress 1
		.amdhsa_inst_pref_size 0
		.amdhsa_round_robin_scheduling 0
		.amdhsa_exception_fp_ieee_invalid_op 0
		.amdhsa_exception_fp_denorm_src 0
		.amdhsa_exception_fp_ieee_div_zero 0
		.amdhsa_exception_fp_ieee_overflow 0
		.amdhsa_exception_fp_ieee_underflow 0
		.amdhsa_exception_fp_ieee_inexact 0
		.amdhsa_exception_int_div_zero 0
	.end_amdhsa_kernel
	.section	.text._ZN7rocprim17ROCPRIM_400000_NS6detail17trampoline_kernelINS0_14default_configENS1_36segmented_radix_sort_config_selectorIflEEZNS1_25segmented_radix_sort_implIS3_Lb0EPKfPfPKlPlN2at6native12_GLOBAL__N_18offset_tEEE10hipError_tPvRmT1_PNSt15iterator_traitsISK_E10value_typeET2_T3_PNSL_ISQ_E10value_typeET4_jRbjT5_SW_jjP12ihipStream_tbEUlT_E1_NS1_11comp_targetILNS1_3genE5ELNS1_11target_archE942ELNS1_3gpuE9ELNS1_3repE0EEENS1_59segmented_radix_sort_warp_sort_small_config_static_selectorELNS0_4arch9wavefront6targetE0EEEvSK_,"axG",@progbits,_ZN7rocprim17ROCPRIM_400000_NS6detail17trampoline_kernelINS0_14default_configENS1_36segmented_radix_sort_config_selectorIflEEZNS1_25segmented_radix_sort_implIS3_Lb0EPKfPfPKlPlN2at6native12_GLOBAL__N_18offset_tEEE10hipError_tPvRmT1_PNSt15iterator_traitsISK_E10value_typeET2_T3_PNSL_ISQ_E10value_typeET4_jRbjT5_SW_jjP12ihipStream_tbEUlT_E1_NS1_11comp_targetILNS1_3genE5ELNS1_11target_archE942ELNS1_3gpuE9ELNS1_3repE0EEENS1_59segmented_radix_sort_warp_sort_small_config_static_selectorELNS0_4arch9wavefront6targetE0EEEvSK_,comdat
.Lfunc_end1449:
	.size	_ZN7rocprim17ROCPRIM_400000_NS6detail17trampoline_kernelINS0_14default_configENS1_36segmented_radix_sort_config_selectorIflEEZNS1_25segmented_radix_sort_implIS3_Lb0EPKfPfPKlPlN2at6native12_GLOBAL__N_18offset_tEEE10hipError_tPvRmT1_PNSt15iterator_traitsISK_E10value_typeET2_T3_PNSL_ISQ_E10value_typeET4_jRbjT5_SW_jjP12ihipStream_tbEUlT_E1_NS1_11comp_targetILNS1_3genE5ELNS1_11target_archE942ELNS1_3gpuE9ELNS1_3repE0EEENS1_59segmented_radix_sort_warp_sort_small_config_static_selectorELNS0_4arch9wavefront6targetE0EEEvSK_, .Lfunc_end1449-_ZN7rocprim17ROCPRIM_400000_NS6detail17trampoline_kernelINS0_14default_configENS1_36segmented_radix_sort_config_selectorIflEEZNS1_25segmented_radix_sort_implIS3_Lb0EPKfPfPKlPlN2at6native12_GLOBAL__N_18offset_tEEE10hipError_tPvRmT1_PNSt15iterator_traitsISK_E10value_typeET2_T3_PNSL_ISQ_E10value_typeET4_jRbjT5_SW_jjP12ihipStream_tbEUlT_E1_NS1_11comp_targetILNS1_3genE5ELNS1_11target_archE942ELNS1_3gpuE9ELNS1_3repE0EEENS1_59segmented_radix_sort_warp_sort_small_config_static_selectorELNS0_4arch9wavefront6targetE0EEEvSK_
                                        ; -- End function
	.set _ZN7rocprim17ROCPRIM_400000_NS6detail17trampoline_kernelINS0_14default_configENS1_36segmented_radix_sort_config_selectorIflEEZNS1_25segmented_radix_sort_implIS3_Lb0EPKfPfPKlPlN2at6native12_GLOBAL__N_18offset_tEEE10hipError_tPvRmT1_PNSt15iterator_traitsISK_E10value_typeET2_T3_PNSL_ISQ_E10value_typeET4_jRbjT5_SW_jjP12ihipStream_tbEUlT_E1_NS1_11comp_targetILNS1_3genE5ELNS1_11target_archE942ELNS1_3gpuE9ELNS1_3repE0EEENS1_59segmented_radix_sort_warp_sort_small_config_static_selectorELNS0_4arch9wavefront6targetE0EEEvSK_.num_vgpr, 0
	.set _ZN7rocprim17ROCPRIM_400000_NS6detail17trampoline_kernelINS0_14default_configENS1_36segmented_radix_sort_config_selectorIflEEZNS1_25segmented_radix_sort_implIS3_Lb0EPKfPfPKlPlN2at6native12_GLOBAL__N_18offset_tEEE10hipError_tPvRmT1_PNSt15iterator_traitsISK_E10value_typeET2_T3_PNSL_ISQ_E10value_typeET4_jRbjT5_SW_jjP12ihipStream_tbEUlT_E1_NS1_11comp_targetILNS1_3genE5ELNS1_11target_archE942ELNS1_3gpuE9ELNS1_3repE0EEENS1_59segmented_radix_sort_warp_sort_small_config_static_selectorELNS0_4arch9wavefront6targetE0EEEvSK_.num_agpr, 0
	.set _ZN7rocprim17ROCPRIM_400000_NS6detail17trampoline_kernelINS0_14default_configENS1_36segmented_radix_sort_config_selectorIflEEZNS1_25segmented_radix_sort_implIS3_Lb0EPKfPfPKlPlN2at6native12_GLOBAL__N_18offset_tEEE10hipError_tPvRmT1_PNSt15iterator_traitsISK_E10value_typeET2_T3_PNSL_ISQ_E10value_typeET4_jRbjT5_SW_jjP12ihipStream_tbEUlT_E1_NS1_11comp_targetILNS1_3genE5ELNS1_11target_archE942ELNS1_3gpuE9ELNS1_3repE0EEENS1_59segmented_radix_sort_warp_sort_small_config_static_selectorELNS0_4arch9wavefront6targetE0EEEvSK_.numbered_sgpr, 0
	.set _ZN7rocprim17ROCPRIM_400000_NS6detail17trampoline_kernelINS0_14default_configENS1_36segmented_radix_sort_config_selectorIflEEZNS1_25segmented_radix_sort_implIS3_Lb0EPKfPfPKlPlN2at6native12_GLOBAL__N_18offset_tEEE10hipError_tPvRmT1_PNSt15iterator_traitsISK_E10value_typeET2_T3_PNSL_ISQ_E10value_typeET4_jRbjT5_SW_jjP12ihipStream_tbEUlT_E1_NS1_11comp_targetILNS1_3genE5ELNS1_11target_archE942ELNS1_3gpuE9ELNS1_3repE0EEENS1_59segmented_radix_sort_warp_sort_small_config_static_selectorELNS0_4arch9wavefront6targetE0EEEvSK_.num_named_barrier, 0
	.set _ZN7rocprim17ROCPRIM_400000_NS6detail17trampoline_kernelINS0_14default_configENS1_36segmented_radix_sort_config_selectorIflEEZNS1_25segmented_radix_sort_implIS3_Lb0EPKfPfPKlPlN2at6native12_GLOBAL__N_18offset_tEEE10hipError_tPvRmT1_PNSt15iterator_traitsISK_E10value_typeET2_T3_PNSL_ISQ_E10value_typeET4_jRbjT5_SW_jjP12ihipStream_tbEUlT_E1_NS1_11comp_targetILNS1_3genE5ELNS1_11target_archE942ELNS1_3gpuE9ELNS1_3repE0EEENS1_59segmented_radix_sort_warp_sort_small_config_static_selectorELNS0_4arch9wavefront6targetE0EEEvSK_.private_seg_size, 0
	.set _ZN7rocprim17ROCPRIM_400000_NS6detail17trampoline_kernelINS0_14default_configENS1_36segmented_radix_sort_config_selectorIflEEZNS1_25segmented_radix_sort_implIS3_Lb0EPKfPfPKlPlN2at6native12_GLOBAL__N_18offset_tEEE10hipError_tPvRmT1_PNSt15iterator_traitsISK_E10value_typeET2_T3_PNSL_ISQ_E10value_typeET4_jRbjT5_SW_jjP12ihipStream_tbEUlT_E1_NS1_11comp_targetILNS1_3genE5ELNS1_11target_archE942ELNS1_3gpuE9ELNS1_3repE0EEENS1_59segmented_radix_sort_warp_sort_small_config_static_selectorELNS0_4arch9wavefront6targetE0EEEvSK_.uses_vcc, 0
	.set _ZN7rocprim17ROCPRIM_400000_NS6detail17trampoline_kernelINS0_14default_configENS1_36segmented_radix_sort_config_selectorIflEEZNS1_25segmented_radix_sort_implIS3_Lb0EPKfPfPKlPlN2at6native12_GLOBAL__N_18offset_tEEE10hipError_tPvRmT1_PNSt15iterator_traitsISK_E10value_typeET2_T3_PNSL_ISQ_E10value_typeET4_jRbjT5_SW_jjP12ihipStream_tbEUlT_E1_NS1_11comp_targetILNS1_3genE5ELNS1_11target_archE942ELNS1_3gpuE9ELNS1_3repE0EEENS1_59segmented_radix_sort_warp_sort_small_config_static_selectorELNS0_4arch9wavefront6targetE0EEEvSK_.uses_flat_scratch, 0
	.set _ZN7rocprim17ROCPRIM_400000_NS6detail17trampoline_kernelINS0_14default_configENS1_36segmented_radix_sort_config_selectorIflEEZNS1_25segmented_radix_sort_implIS3_Lb0EPKfPfPKlPlN2at6native12_GLOBAL__N_18offset_tEEE10hipError_tPvRmT1_PNSt15iterator_traitsISK_E10value_typeET2_T3_PNSL_ISQ_E10value_typeET4_jRbjT5_SW_jjP12ihipStream_tbEUlT_E1_NS1_11comp_targetILNS1_3genE5ELNS1_11target_archE942ELNS1_3gpuE9ELNS1_3repE0EEENS1_59segmented_radix_sort_warp_sort_small_config_static_selectorELNS0_4arch9wavefront6targetE0EEEvSK_.has_dyn_sized_stack, 0
	.set _ZN7rocprim17ROCPRIM_400000_NS6detail17trampoline_kernelINS0_14default_configENS1_36segmented_radix_sort_config_selectorIflEEZNS1_25segmented_radix_sort_implIS3_Lb0EPKfPfPKlPlN2at6native12_GLOBAL__N_18offset_tEEE10hipError_tPvRmT1_PNSt15iterator_traitsISK_E10value_typeET2_T3_PNSL_ISQ_E10value_typeET4_jRbjT5_SW_jjP12ihipStream_tbEUlT_E1_NS1_11comp_targetILNS1_3genE5ELNS1_11target_archE942ELNS1_3gpuE9ELNS1_3repE0EEENS1_59segmented_radix_sort_warp_sort_small_config_static_selectorELNS0_4arch9wavefront6targetE0EEEvSK_.has_recursion, 0
	.set _ZN7rocprim17ROCPRIM_400000_NS6detail17trampoline_kernelINS0_14default_configENS1_36segmented_radix_sort_config_selectorIflEEZNS1_25segmented_radix_sort_implIS3_Lb0EPKfPfPKlPlN2at6native12_GLOBAL__N_18offset_tEEE10hipError_tPvRmT1_PNSt15iterator_traitsISK_E10value_typeET2_T3_PNSL_ISQ_E10value_typeET4_jRbjT5_SW_jjP12ihipStream_tbEUlT_E1_NS1_11comp_targetILNS1_3genE5ELNS1_11target_archE942ELNS1_3gpuE9ELNS1_3repE0EEENS1_59segmented_radix_sort_warp_sort_small_config_static_selectorELNS0_4arch9wavefront6targetE0EEEvSK_.has_indirect_call, 0
	.section	.AMDGPU.csdata,"",@progbits
; Kernel info:
; codeLenInByte = 0
; TotalNumSgprs: 0
; NumVgprs: 0
; ScratchSize: 0
; MemoryBound: 0
; FloatMode: 240
; IeeeMode: 1
; LDSByteSize: 0 bytes/workgroup (compile time only)
; SGPRBlocks: 0
; VGPRBlocks: 0
; NumSGPRsForWavesPerEU: 1
; NumVGPRsForWavesPerEU: 1
; Occupancy: 16
; WaveLimiterHint : 0
; COMPUTE_PGM_RSRC2:SCRATCH_EN: 0
; COMPUTE_PGM_RSRC2:USER_SGPR: 2
; COMPUTE_PGM_RSRC2:TRAP_HANDLER: 0
; COMPUTE_PGM_RSRC2:TGID_X_EN: 1
; COMPUTE_PGM_RSRC2:TGID_Y_EN: 0
; COMPUTE_PGM_RSRC2:TGID_Z_EN: 0
; COMPUTE_PGM_RSRC2:TIDIG_COMP_CNT: 0
	.section	.text._ZN7rocprim17ROCPRIM_400000_NS6detail17trampoline_kernelINS0_14default_configENS1_36segmented_radix_sort_config_selectorIflEEZNS1_25segmented_radix_sort_implIS3_Lb0EPKfPfPKlPlN2at6native12_GLOBAL__N_18offset_tEEE10hipError_tPvRmT1_PNSt15iterator_traitsISK_E10value_typeET2_T3_PNSL_ISQ_E10value_typeET4_jRbjT5_SW_jjP12ihipStream_tbEUlT_E1_NS1_11comp_targetILNS1_3genE4ELNS1_11target_archE910ELNS1_3gpuE8ELNS1_3repE0EEENS1_59segmented_radix_sort_warp_sort_small_config_static_selectorELNS0_4arch9wavefront6targetE0EEEvSK_,"axG",@progbits,_ZN7rocprim17ROCPRIM_400000_NS6detail17trampoline_kernelINS0_14default_configENS1_36segmented_radix_sort_config_selectorIflEEZNS1_25segmented_radix_sort_implIS3_Lb0EPKfPfPKlPlN2at6native12_GLOBAL__N_18offset_tEEE10hipError_tPvRmT1_PNSt15iterator_traitsISK_E10value_typeET2_T3_PNSL_ISQ_E10value_typeET4_jRbjT5_SW_jjP12ihipStream_tbEUlT_E1_NS1_11comp_targetILNS1_3genE4ELNS1_11target_archE910ELNS1_3gpuE8ELNS1_3repE0EEENS1_59segmented_radix_sort_warp_sort_small_config_static_selectorELNS0_4arch9wavefront6targetE0EEEvSK_,comdat
	.globl	_ZN7rocprim17ROCPRIM_400000_NS6detail17trampoline_kernelINS0_14default_configENS1_36segmented_radix_sort_config_selectorIflEEZNS1_25segmented_radix_sort_implIS3_Lb0EPKfPfPKlPlN2at6native12_GLOBAL__N_18offset_tEEE10hipError_tPvRmT1_PNSt15iterator_traitsISK_E10value_typeET2_T3_PNSL_ISQ_E10value_typeET4_jRbjT5_SW_jjP12ihipStream_tbEUlT_E1_NS1_11comp_targetILNS1_3genE4ELNS1_11target_archE910ELNS1_3gpuE8ELNS1_3repE0EEENS1_59segmented_radix_sort_warp_sort_small_config_static_selectorELNS0_4arch9wavefront6targetE0EEEvSK_ ; -- Begin function _ZN7rocprim17ROCPRIM_400000_NS6detail17trampoline_kernelINS0_14default_configENS1_36segmented_radix_sort_config_selectorIflEEZNS1_25segmented_radix_sort_implIS3_Lb0EPKfPfPKlPlN2at6native12_GLOBAL__N_18offset_tEEE10hipError_tPvRmT1_PNSt15iterator_traitsISK_E10value_typeET2_T3_PNSL_ISQ_E10value_typeET4_jRbjT5_SW_jjP12ihipStream_tbEUlT_E1_NS1_11comp_targetILNS1_3genE4ELNS1_11target_archE910ELNS1_3gpuE8ELNS1_3repE0EEENS1_59segmented_radix_sort_warp_sort_small_config_static_selectorELNS0_4arch9wavefront6targetE0EEEvSK_
	.p2align	8
	.type	_ZN7rocprim17ROCPRIM_400000_NS6detail17trampoline_kernelINS0_14default_configENS1_36segmented_radix_sort_config_selectorIflEEZNS1_25segmented_radix_sort_implIS3_Lb0EPKfPfPKlPlN2at6native12_GLOBAL__N_18offset_tEEE10hipError_tPvRmT1_PNSt15iterator_traitsISK_E10value_typeET2_T3_PNSL_ISQ_E10value_typeET4_jRbjT5_SW_jjP12ihipStream_tbEUlT_E1_NS1_11comp_targetILNS1_3genE4ELNS1_11target_archE910ELNS1_3gpuE8ELNS1_3repE0EEENS1_59segmented_radix_sort_warp_sort_small_config_static_selectorELNS0_4arch9wavefront6targetE0EEEvSK_,@function
_ZN7rocprim17ROCPRIM_400000_NS6detail17trampoline_kernelINS0_14default_configENS1_36segmented_radix_sort_config_selectorIflEEZNS1_25segmented_radix_sort_implIS3_Lb0EPKfPfPKlPlN2at6native12_GLOBAL__N_18offset_tEEE10hipError_tPvRmT1_PNSt15iterator_traitsISK_E10value_typeET2_T3_PNSL_ISQ_E10value_typeET4_jRbjT5_SW_jjP12ihipStream_tbEUlT_E1_NS1_11comp_targetILNS1_3genE4ELNS1_11target_archE910ELNS1_3gpuE8ELNS1_3repE0EEENS1_59segmented_radix_sort_warp_sort_small_config_static_selectorELNS0_4arch9wavefront6targetE0EEEvSK_: ; @_ZN7rocprim17ROCPRIM_400000_NS6detail17trampoline_kernelINS0_14default_configENS1_36segmented_radix_sort_config_selectorIflEEZNS1_25segmented_radix_sort_implIS3_Lb0EPKfPfPKlPlN2at6native12_GLOBAL__N_18offset_tEEE10hipError_tPvRmT1_PNSt15iterator_traitsISK_E10value_typeET2_T3_PNSL_ISQ_E10value_typeET4_jRbjT5_SW_jjP12ihipStream_tbEUlT_E1_NS1_11comp_targetILNS1_3genE4ELNS1_11target_archE910ELNS1_3gpuE8ELNS1_3repE0EEENS1_59segmented_radix_sort_warp_sort_small_config_static_selectorELNS0_4arch9wavefront6targetE0EEEvSK_
; %bb.0:
	.section	.rodata,"a",@progbits
	.p2align	6, 0x0
	.amdhsa_kernel _ZN7rocprim17ROCPRIM_400000_NS6detail17trampoline_kernelINS0_14default_configENS1_36segmented_radix_sort_config_selectorIflEEZNS1_25segmented_radix_sort_implIS3_Lb0EPKfPfPKlPlN2at6native12_GLOBAL__N_18offset_tEEE10hipError_tPvRmT1_PNSt15iterator_traitsISK_E10value_typeET2_T3_PNSL_ISQ_E10value_typeET4_jRbjT5_SW_jjP12ihipStream_tbEUlT_E1_NS1_11comp_targetILNS1_3genE4ELNS1_11target_archE910ELNS1_3gpuE8ELNS1_3repE0EEENS1_59segmented_radix_sort_warp_sort_small_config_static_selectorELNS0_4arch9wavefront6targetE0EEEvSK_
		.amdhsa_group_segment_fixed_size 0
		.amdhsa_private_segment_fixed_size 0
		.amdhsa_kernarg_size 88
		.amdhsa_user_sgpr_count 2
		.amdhsa_user_sgpr_dispatch_ptr 0
		.amdhsa_user_sgpr_queue_ptr 0
		.amdhsa_user_sgpr_kernarg_segment_ptr 1
		.amdhsa_user_sgpr_dispatch_id 0
		.amdhsa_user_sgpr_private_segment_size 0
		.amdhsa_wavefront_size32 1
		.amdhsa_uses_dynamic_stack 0
		.amdhsa_enable_private_segment 0
		.amdhsa_system_sgpr_workgroup_id_x 1
		.amdhsa_system_sgpr_workgroup_id_y 0
		.amdhsa_system_sgpr_workgroup_id_z 0
		.amdhsa_system_sgpr_workgroup_info 0
		.amdhsa_system_vgpr_workitem_id 0
		.amdhsa_next_free_vgpr 1
		.amdhsa_next_free_sgpr 1
		.amdhsa_reserve_vcc 0
		.amdhsa_float_round_mode_32 0
		.amdhsa_float_round_mode_16_64 0
		.amdhsa_float_denorm_mode_32 3
		.amdhsa_float_denorm_mode_16_64 3
		.amdhsa_fp16_overflow 0
		.amdhsa_workgroup_processor_mode 1
		.amdhsa_memory_ordered 1
		.amdhsa_forward_progress 1
		.amdhsa_inst_pref_size 0
		.amdhsa_round_robin_scheduling 0
		.amdhsa_exception_fp_ieee_invalid_op 0
		.amdhsa_exception_fp_denorm_src 0
		.amdhsa_exception_fp_ieee_div_zero 0
		.amdhsa_exception_fp_ieee_overflow 0
		.amdhsa_exception_fp_ieee_underflow 0
		.amdhsa_exception_fp_ieee_inexact 0
		.amdhsa_exception_int_div_zero 0
	.end_amdhsa_kernel
	.section	.text._ZN7rocprim17ROCPRIM_400000_NS6detail17trampoline_kernelINS0_14default_configENS1_36segmented_radix_sort_config_selectorIflEEZNS1_25segmented_radix_sort_implIS3_Lb0EPKfPfPKlPlN2at6native12_GLOBAL__N_18offset_tEEE10hipError_tPvRmT1_PNSt15iterator_traitsISK_E10value_typeET2_T3_PNSL_ISQ_E10value_typeET4_jRbjT5_SW_jjP12ihipStream_tbEUlT_E1_NS1_11comp_targetILNS1_3genE4ELNS1_11target_archE910ELNS1_3gpuE8ELNS1_3repE0EEENS1_59segmented_radix_sort_warp_sort_small_config_static_selectorELNS0_4arch9wavefront6targetE0EEEvSK_,"axG",@progbits,_ZN7rocprim17ROCPRIM_400000_NS6detail17trampoline_kernelINS0_14default_configENS1_36segmented_radix_sort_config_selectorIflEEZNS1_25segmented_radix_sort_implIS3_Lb0EPKfPfPKlPlN2at6native12_GLOBAL__N_18offset_tEEE10hipError_tPvRmT1_PNSt15iterator_traitsISK_E10value_typeET2_T3_PNSL_ISQ_E10value_typeET4_jRbjT5_SW_jjP12ihipStream_tbEUlT_E1_NS1_11comp_targetILNS1_3genE4ELNS1_11target_archE910ELNS1_3gpuE8ELNS1_3repE0EEENS1_59segmented_radix_sort_warp_sort_small_config_static_selectorELNS0_4arch9wavefront6targetE0EEEvSK_,comdat
.Lfunc_end1450:
	.size	_ZN7rocprim17ROCPRIM_400000_NS6detail17trampoline_kernelINS0_14default_configENS1_36segmented_radix_sort_config_selectorIflEEZNS1_25segmented_radix_sort_implIS3_Lb0EPKfPfPKlPlN2at6native12_GLOBAL__N_18offset_tEEE10hipError_tPvRmT1_PNSt15iterator_traitsISK_E10value_typeET2_T3_PNSL_ISQ_E10value_typeET4_jRbjT5_SW_jjP12ihipStream_tbEUlT_E1_NS1_11comp_targetILNS1_3genE4ELNS1_11target_archE910ELNS1_3gpuE8ELNS1_3repE0EEENS1_59segmented_radix_sort_warp_sort_small_config_static_selectorELNS0_4arch9wavefront6targetE0EEEvSK_, .Lfunc_end1450-_ZN7rocprim17ROCPRIM_400000_NS6detail17trampoline_kernelINS0_14default_configENS1_36segmented_radix_sort_config_selectorIflEEZNS1_25segmented_radix_sort_implIS3_Lb0EPKfPfPKlPlN2at6native12_GLOBAL__N_18offset_tEEE10hipError_tPvRmT1_PNSt15iterator_traitsISK_E10value_typeET2_T3_PNSL_ISQ_E10value_typeET4_jRbjT5_SW_jjP12ihipStream_tbEUlT_E1_NS1_11comp_targetILNS1_3genE4ELNS1_11target_archE910ELNS1_3gpuE8ELNS1_3repE0EEENS1_59segmented_radix_sort_warp_sort_small_config_static_selectorELNS0_4arch9wavefront6targetE0EEEvSK_
                                        ; -- End function
	.set _ZN7rocprim17ROCPRIM_400000_NS6detail17trampoline_kernelINS0_14default_configENS1_36segmented_radix_sort_config_selectorIflEEZNS1_25segmented_radix_sort_implIS3_Lb0EPKfPfPKlPlN2at6native12_GLOBAL__N_18offset_tEEE10hipError_tPvRmT1_PNSt15iterator_traitsISK_E10value_typeET2_T3_PNSL_ISQ_E10value_typeET4_jRbjT5_SW_jjP12ihipStream_tbEUlT_E1_NS1_11comp_targetILNS1_3genE4ELNS1_11target_archE910ELNS1_3gpuE8ELNS1_3repE0EEENS1_59segmented_radix_sort_warp_sort_small_config_static_selectorELNS0_4arch9wavefront6targetE0EEEvSK_.num_vgpr, 0
	.set _ZN7rocprim17ROCPRIM_400000_NS6detail17trampoline_kernelINS0_14default_configENS1_36segmented_radix_sort_config_selectorIflEEZNS1_25segmented_radix_sort_implIS3_Lb0EPKfPfPKlPlN2at6native12_GLOBAL__N_18offset_tEEE10hipError_tPvRmT1_PNSt15iterator_traitsISK_E10value_typeET2_T3_PNSL_ISQ_E10value_typeET4_jRbjT5_SW_jjP12ihipStream_tbEUlT_E1_NS1_11comp_targetILNS1_3genE4ELNS1_11target_archE910ELNS1_3gpuE8ELNS1_3repE0EEENS1_59segmented_radix_sort_warp_sort_small_config_static_selectorELNS0_4arch9wavefront6targetE0EEEvSK_.num_agpr, 0
	.set _ZN7rocprim17ROCPRIM_400000_NS6detail17trampoline_kernelINS0_14default_configENS1_36segmented_radix_sort_config_selectorIflEEZNS1_25segmented_radix_sort_implIS3_Lb0EPKfPfPKlPlN2at6native12_GLOBAL__N_18offset_tEEE10hipError_tPvRmT1_PNSt15iterator_traitsISK_E10value_typeET2_T3_PNSL_ISQ_E10value_typeET4_jRbjT5_SW_jjP12ihipStream_tbEUlT_E1_NS1_11comp_targetILNS1_3genE4ELNS1_11target_archE910ELNS1_3gpuE8ELNS1_3repE0EEENS1_59segmented_radix_sort_warp_sort_small_config_static_selectorELNS0_4arch9wavefront6targetE0EEEvSK_.numbered_sgpr, 0
	.set _ZN7rocprim17ROCPRIM_400000_NS6detail17trampoline_kernelINS0_14default_configENS1_36segmented_radix_sort_config_selectorIflEEZNS1_25segmented_radix_sort_implIS3_Lb0EPKfPfPKlPlN2at6native12_GLOBAL__N_18offset_tEEE10hipError_tPvRmT1_PNSt15iterator_traitsISK_E10value_typeET2_T3_PNSL_ISQ_E10value_typeET4_jRbjT5_SW_jjP12ihipStream_tbEUlT_E1_NS1_11comp_targetILNS1_3genE4ELNS1_11target_archE910ELNS1_3gpuE8ELNS1_3repE0EEENS1_59segmented_radix_sort_warp_sort_small_config_static_selectorELNS0_4arch9wavefront6targetE0EEEvSK_.num_named_barrier, 0
	.set _ZN7rocprim17ROCPRIM_400000_NS6detail17trampoline_kernelINS0_14default_configENS1_36segmented_radix_sort_config_selectorIflEEZNS1_25segmented_radix_sort_implIS3_Lb0EPKfPfPKlPlN2at6native12_GLOBAL__N_18offset_tEEE10hipError_tPvRmT1_PNSt15iterator_traitsISK_E10value_typeET2_T3_PNSL_ISQ_E10value_typeET4_jRbjT5_SW_jjP12ihipStream_tbEUlT_E1_NS1_11comp_targetILNS1_3genE4ELNS1_11target_archE910ELNS1_3gpuE8ELNS1_3repE0EEENS1_59segmented_radix_sort_warp_sort_small_config_static_selectorELNS0_4arch9wavefront6targetE0EEEvSK_.private_seg_size, 0
	.set _ZN7rocprim17ROCPRIM_400000_NS6detail17trampoline_kernelINS0_14default_configENS1_36segmented_radix_sort_config_selectorIflEEZNS1_25segmented_radix_sort_implIS3_Lb0EPKfPfPKlPlN2at6native12_GLOBAL__N_18offset_tEEE10hipError_tPvRmT1_PNSt15iterator_traitsISK_E10value_typeET2_T3_PNSL_ISQ_E10value_typeET4_jRbjT5_SW_jjP12ihipStream_tbEUlT_E1_NS1_11comp_targetILNS1_3genE4ELNS1_11target_archE910ELNS1_3gpuE8ELNS1_3repE0EEENS1_59segmented_radix_sort_warp_sort_small_config_static_selectorELNS0_4arch9wavefront6targetE0EEEvSK_.uses_vcc, 0
	.set _ZN7rocprim17ROCPRIM_400000_NS6detail17trampoline_kernelINS0_14default_configENS1_36segmented_radix_sort_config_selectorIflEEZNS1_25segmented_radix_sort_implIS3_Lb0EPKfPfPKlPlN2at6native12_GLOBAL__N_18offset_tEEE10hipError_tPvRmT1_PNSt15iterator_traitsISK_E10value_typeET2_T3_PNSL_ISQ_E10value_typeET4_jRbjT5_SW_jjP12ihipStream_tbEUlT_E1_NS1_11comp_targetILNS1_3genE4ELNS1_11target_archE910ELNS1_3gpuE8ELNS1_3repE0EEENS1_59segmented_radix_sort_warp_sort_small_config_static_selectorELNS0_4arch9wavefront6targetE0EEEvSK_.uses_flat_scratch, 0
	.set _ZN7rocprim17ROCPRIM_400000_NS6detail17trampoline_kernelINS0_14default_configENS1_36segmented_radix_sort_config_selectorIflEEZNS1_25segmented_radix_sort_implIS3_Lb0EPKfPfPKlPlN2at6native12_GLOBAL__N_18offset_tEEE10hipError_tPvRmT1_PNSt15iterator_traitsISK_E10value_typeET2_T3_PNSL_ISQ_E10value_typeET4_jRbjT5_SW_jjP12ihipStream_tbEUlT_E1_NS1_11comp_targetILNS1_3genE4ELNS1_11target_archE910ELNS1_3gpuE8ELNS1_3repE0EEENS1_59segmented_radix_sort_warp_sort_small_config_static_selectorELNS0_4arch9wavefront6targetE0EEEvSK_.has_dyn_sized_stack, 0
	.set _ZN7rocprim17ROCPRIM_400000_NS6detail17trampoline_kernelINS0_14default_configENS1_36segmented_radix_sort_config_selectorIflEEZNS1_25segmented_radix_sort_implIS3_Lb0EPKfPfPKlPlN2at6native12_GLOBAL__N_18offset_tEEE10hipError_tPvRmT1_PNSt15iterator_traitsISK_E10value_typeET2_T3_PNSL_ISQ_E10value_typeET4_jRbjT5_SW_jjP12ihipStream_tbEUlT_E1_NS1_11comp_targetILNS1_3genE4ELNS1_11target_archE910ELNS1_3gpuE8ELNS1_3repE0EEENS1_59segmented_radix_sort_warp_sort_small_config_static_selectorELNS0_4arch9wavefront6targetE0EEEvSK_.has_recursion, 0
	.set _ZN7rocprim17ROCPRIM_400000_NS6detail17trampoline_kernelINS0_14default_configENS1_36segmented_radix_sort_config_selectorIflEEZNS1_25segmented_radix_sort_implIS3_Lb0EPKfPfPKlPlN2at6native12_GLOBAL__N_18offset_tEEE10hipError_tPvRmT1_PNSt15iterator_traitsISK_E10value_typeET2_T3_PNSL_ISQ_E10value_typeET4_jRbjT5_SW_jjP12ihipStream_tbEUlT_E1_NS1_11comp_targetILNS1_3genE4ELNS1_11target_archE910ELNS1_3gpuE8ELNS1_3repE0EEENS1_59segmented_radix_sort_warp_sort_small_config_static_selectorELNS0_4arch9wavefront6targetE0EEEvSK_.has_indirect_call, 0
	.section	.AMDGPU.csdata,"",@progbits
; Kernel info:
; codeLenInByte = 0
; TotalNumSgprs: 0
; NumVgprs: 0
; ScratchSize: 0
; MemoryBound: 0
; FloatMode: 240
; IeeeMode: 1
; LDSByteSize: 0 bytes/workgroup (compile time only)
; SGPRBlocks: 0
; VGPRBlocks: 0
; NumSGPRsForWavesPerEU: 1
; NumVGPRsForWavesPerEU: 1
; Occupancy: 16
; WaveLimiterHint : 0
; COMPUTE_PGM_RSRC2:SCRATCH_EN: 0
; COMPUTE_PGM_RSRC2:USER_SGPR: 2
; COMPUTE_PGM_RSRC2:TRAP_HANDLER: 0
; COMPUTE_PGM_RSRC2:TGID_X_EN: 1
; COMPUTE_PGM_RSRC2:TGID_Y_EN: 0
; COMPUTE_PGM_RSRC2:TGID_Z_EN: 0
; COMPUTE_PGM_RSRC2:TIDIG_COMP_CNT: 0
	.section	.text._ZN7rocprim17ROCPRIM_400000_NS6detail17trampoline_kernelINS0_14default_configENS1_36segmented_radix_sort_config_selectorIflEEZNS1_25segmented_radix_sort_implIS3_Lb0EPKfPfPKlPlN2at6native12_GLOBAL__N_18offset_tEEE10hipError_tPvRmT1_PNSt15iterator_traitsISK_E10value_typeET2_T3_PNSL_ISQ_E10value_typeET4_jRbjT5_SW_jjP12ihipStream_tbEUlT_E1_NS1_11comp_targetILNS1_3genE3ELNS1_11target_archE908ELNS1_3gpuE7ELNS1_3repE0EEENS1_59segmented_radix_sort_warp_sort_small_config_static_selectorELNS0_4arch9wavefront6targetE0EEEvSK_,"axG",@progbits,_ZN7rocprim17ROCPRIM_400000_NS6detail17trampoline_kernelINS0_14default_configENS1_36segmented_radix_sort_config_selectorIflEEZNS1_25segmented_radix_sort_implIS3_Lb0EPKfPfPKlPlN2at6native12_GLOBAL__N_18offset_tEEE10hipError_tPvRmT1_PNSt15iterator_traitsISK_E10value_typeET2_T3_PNSL_ISQ_E10value_typeET4_jRbjT5_SW_jjP12ihipStream_tbEUlT_E1_NS1_11comp_targetILNS1_3genE3ELNS1_11target_archE908ELNS1_3gpuE7ELNS1_3repE0EEENS1_59segmented_radix_sort_warp_sort_small_config_static_selectorELNS0_4arch9wavefront6targetE0EEEvSK_,comdat
	.globl	_ZN7rocprim17ROCPRIM_400000_NS6detail17trampoline_kernelINS0_14default_configENS1_36segmented_radix_sort_config_selectorIflEEZNS1_25segmented_radix_sort_implIS3_Lb0EPKfPfPKlPlN2at6native12_GLOBAL__N_18offset_tEEE10hipError_tPvRmT1_PNSt15iterator_traitsISK_E10value_typeET2_T3_PNSL_ISQ_E10value_typeET4_jRbjT5_SW_jjP12ihipStream_tbEUlT_E1_NS1_11comp_targetILNS1_3genE3ELNS1_11target_archE908ELNS1_3gpuE7ELNS1_3repE0EEENS1_59segmented_radix_sort_warp_sort_small_config_static_selectorELNS0_4arch9wavefront6targetE0EEEvSK_ ; -- Begin function _ZN7rocprim17ROCPRIM_400000_NS6detail17trampoline_kernelINS0_14default_configENS1_36segmented_radix_sort_config_selectorIflEEZNS1_25segmented_radix_sort_implIS3_Lb0EPKfPfPKlPlN2at6native12_GLOBAL__N_18offset_tEEE10hipError_tPvRmT1_PNSt15iterator_traitsISK_E10value_typeET2_T3_PNSL_ISQ_E10value_typeET4_jRbjT5_SW_jjP12ihipStream_tbEUlT_E1_NS1_11comp_targetILNS1_3genE3ELNS1_11target_archE908ELNS1_3gpuE7ELNS1_3repE0EEENS1_59segmented_radix_sort_warp_sort_small_config_static_selectorELNS0_4arch9wavefront6targetE0EEEvSK_
	.p2align	8
	.type	_ZN7rocprim17ROCPRIM_400000_NS6detail17trampoline_kernelINS0_14default_configENS1_36segmented_radix_sort_config_selectorIflEEZNS1_25segmented_radix_sort_implIS3_Lb0EPKfPfPKlPlN2at6native12_GLOBAL__N_18offset_tEEE10hipError_tPvRmT1_PNSt15iterator_traitsISK_E10value_typeET2_T3_PNSL_ISQ_E10value_typeET4_jRbjT5_SW_jjP12ihipStream_tbEUlT_E1_NS1_11comp_targetILNS1_3genE3ELNS1_11target_archE908ELNS1_3gpuE7ELNS1_3repE0EEENS1_59segmented_radix_sort_warp_sort_small_config_static_selectorELNS0_4arch9wavefront6targetE0EEEvSK_,@function
_ZN7rocprim17ROCPRIM_400000_NS6detail17trampoline_kernelINS0_14default_configENS1_36segmented_radix_sort_config_selectorIflEEZNS1_25segmented_radix_sort_implIS3_Lb0EPKfPfPKlPlN2at6native12_GLOBAL__N_18offset_tEEE10hipError_tPvRmT1_PNSt15iterator_traitsISK_E10value_typeET2_T3_PNSL_ISQ_E10value_typeET4_jRbjT5_SW_jjP12ihipStream_tbEUlT_E1_NS1_11comp_targetILNS1_3genE3ELNS1_11target_archE908ELNS1_3gpuE7ELNS1_3repE0EEENS1_59segmented_radix_sort_warp_sort_small_config_static_selectorELNS0_4arch9wavefront6targetE0EEEvSK_: ; @_ZN7rocprim17ROCPRIM_400000_NS6detail17trampoline_kernelINS0_14default_configENS1_36segmented_radix_sort_config_selectorIflEEZNS1_25segmented_radix_sort_implIS3_Lb0EPKfPfPKlPlN2at6native12_GLOBAL__N_18offset_tEEE10hipError_tPvRmT1_PNSt15iterator_traitsISK_E10value_typeET2_T3_PNSL_ISQ_E10value_typeET4_jRbjT5_SW_jjP12ihipStream_tbEUlT_E1_NS1_11comp_targetILNS1_3genE3ELNS1_11target_archE908ELNS1_3gpuE7ELNS1_3repE0EEENS1_59segmented_radix_sort_warp_sort_small_config_static_selectorELNS0_4arch9wavefront6targetE0EEEvSK_
; %bb.0:
	.section	.rodata,"a",@progbits
	.p2align	6, 0x0
	.amdhsa_kernel _ZN7rocprim17ROCPRIM_400000_NS6detail17trampoline_kernelINS0_14default_configENS1_36segmented_radix_sort_config_selectorIflEEZNS1_25segmented_radix_sort_implIS3_Lb0EPKfPfPKlPlN2at6native12_GLOBAL__N_18offset_tEEE10hipError_tPvRmT1_PNSt15iterator_traitsISK_E10value_typeET2_T3_PNSL_ISQ_E10value_typeET4_jRbjT5_SW_jjP12ihipStream_tbEUlT_E1_NS1_11comp_targetILNS1_3genE3ELNS1_11target_archE908ELNS1_3gpuE7ELNS1_3repE0EEENS1_59segmented_radix_sort_warp_sort_small_config_static_selectorELNS0_4arch9wavefront6targetE0EEEvSK_
		.amdhsa_group_segment_fixed_size 0
		.amdhsa_private_segment_fixed_size 0
		.amdhsa_kernarg_size 88
		.amdhsa_user_sgpr_count 2
		.amdhsa_user_sgpr_dispatch_ptr 0
		.amdhsa_user_sgpr_queue_ptr 0
		.amdhsa_user_sgpr_kernarg_segment_ptr 1
		.amdhsa_user_sgpr_dispatch_id 0
		.amdhsa_user_sgpr_private_segment_size 0
		.amdhsa_wavefront_size32 1
		.amdhsa_uses_dynamic_stack 0
		.amdhsa_enable_private_segment 0
		.amdhsa_system_sgpr_workgroup_id_x 1
		.amdhsa_system_sgpr_workgroup_id_y 0
		.amdhsa_system_sgpr_workgroup_id_z 0
		.amdhsa_system_sgpr_workgroup_info 0
		.amdhsa_system_vgpr_workitem_id 0
		.amdhsa_next_free_vgpr 1
		.amdhsa_next_free_sgpr 1
		.amdhsa_reserve_vcc 0
		.amdhsa_float_round_mode_32 0
		.amdhsa_float_round_mode_16_64 0
		.amdhsa_float_denorm_mode_32 3
		.amdhsa_float_denorm_mode_16_64 3
		.amdhsa_fp16_overflow 0
		.amdhsa_workgroup_processor_mode 1
		.amdhsa_memory_ordered 1
		.amdhsa_forward_progress 1
		.amdhsa_inst_pref_size 0
		.amdhsa_round_robin_scheduling 0
		.amdhsa_exception_fp_ieee_invalid_op 0
		.amdhsa_exception_fp_denorm_src 0
		.amdhsa_exception_fp_ieee_div_zero 0
		.amdhsa_exception_fp_ieee_overflow 0
		.amdhsa_exception_fp_ieee_underflow 0
		.amdhsa_exception_fp_ieee_inexact 0
		.amdhsa_exception_int_div_zero 0
	.end_amdhsa_kernel
	.section	.text._ZN7rocprim17ROCPRIM_400000_NS6detail17trampoline_kernelINS0_14default_configENS1_36segmented_radix_sort_config_selectorIflEEZNS1_25segmented_radix_sort_implIS3_Lb0EPKfPfPKlPlN2at6native12_GLOBAL__N_18offset_tEEE10hipError_tPvRmT1_PNSt15iterator_traitsISK_E10value_typeET2_T3_PNSL_ISQ_E10value_typeET4_jRbjT5_SW_jjP12ihipStream_tbEUlT_E1_NS1_11comp_targetILNS1_3genE3ELNS1_11target_archE908ELNS1_3gpuE7ELNS1_3repE0EEENS1_59segmented_radix_sort_warp_sort_small_config_static_selectorELNS0_4arch9wavefront6targetE0EEEvSK_,"axG",@progbits,_ZN7rocprim17ROCPRIM_400000_NS6detail17trampoline_kernelINS0_14default_configENS1_36segmented_radix_sort_config_selectorIflEEZNS1_25segmented_radix_sort_implIS3_Lb0EPKfPfPKlPlN2at6native12_GLOBAL__N_18offset_tEEE10hipError_tPvRmT1_PNSt15iterator_traitsISK_E10value_typeET2_T3_PNSL_ISQ_E10value_typeET4_jRbjT5_SW_jjP12ihipStream_tbEUlT_E1_NS1_11comp_targetILNS1_3genE3ELNS1_11target_archE908ELNS1_3gpuE7ELNS1_3repE0EEENS1_59segmented_radix_sort_warp_sort_small_config_static_selectorELNS0_4arch9wavefront6targetE0EEEvSK_,comdat
.Lfunc_end1451:
	.size	_ZN7rocprim17ROCPRIM_400000_NS6detail17trampoline_kernelINS0_14default_configENS1_36segmented_radix_sort_config_selectorIflEEZNS1_25segmented_radix_sort_implIS3_Lb0EPKfPfPKlPlN2at6native12_GLOBAL__N_18offset_tEEE10hipError_tPvRmT1_PNSt15iterator_traitsISK_E10value_typeET2_T3_PNSL_ISQ_E10value_typeET4_jRbjT5_SW_jjP12ihipStream_tbEUlT_E1_NS1_11comp_targetILNS1_3genE3ELNS1_11target_archE908ELNS1_3gpuE7ELNS1_3repE0EEENS1_59segmented_radix_sort_warp_sort_small_config_static_selectorELNS0_4arch9wavefront6targetE0EEEvSK_, .Lfunc_end1451-_ZN7rocprim17ROCPRIM_400000_NS6detail17trampoline_kernelINS0_14default_configENS1_36segmented_radix_sort_config_selectorIflEEZNS1_25segmented_radix_sort_implIS3_Lb0EPKfPfPKlPlN2at6native12_GLOBAL__N_18offset_tEEE10hipError_tPvRmT1_PNSt15iterator_traitsISK_E10value_typeET2_T3_PNSL_ISQ_E10value_typeET4_jRbjT5_SW_jjP12ihipStream_tbEUlT_E1_NS1_11comp_targetILNS1_3genE3ELNS1_11target_archE908ELNS1_3gpuE7ELNS1_3repE0EEENS1_59segmented_radix_sort_warp_sort_small_config_static_selectorELNS0_4arch9wavefront6targetE0EEEvSK_
                                        ; -- End function
	.set _ZN7rocprim17ROCPRIM_400000_NS6detail17trampoline_kernelINS0_14default_configENS1_36segmented_radix_sort_config_selectorIflEEZNS1_25segmented_radix_sort_implIS3_Lb0EPKfPfPKlPlN2at6native12_GLOBAL__N_18offset_tEEE10hipError_tPvRmT1_PNSt15iterator_traitsISK_E10value_typeET2_T3_PNSL_ISQ_E10value_typeET4_jRbjT5_SW_jjP12ihipStream_tbEUlT_E1_NS1_11comp_targetILNS1_3genE3ELNS1_11target_archE908ELNS1_3gpuE7ELNS1_3repE0EEENS1_59segmented_radix_sort_warp_sort_small_config_static_selectorELNS0_4arch9wavefront6targetE0EEEvSK_.num_vgpr, 0
	.set _ZN7rocprim17ROCPRIM_400000_NS6detail17trampoline_kernelINS0_14default_configENS1_36segmented_radix_sort_config_selectorIflEEZNS1_25segmented_radix_sort_implIS3_Lb0EPKfPfPKlPlN2at6native12_GLOBAL__N_18offset_tEEE10hipError_tPvRmT1_PNSt15iterator_traitsISK_E10value_typeET2_T3_PNSL_ISQ_E10value_typeET4_jRbjT5_SW_jjP12ihipStream_tbEUlT_E1_NS1_11comp_targetILNS1_3genE3ELNS1_11target_archE908ELNS1_3gpuE7ELNS1_3repE0EEENS1_59segmented_radix_sort_warp_sort_small_config_static_selectorELNS0_4arch9wavefront6targetE0EEEvSK_.num_agpr, 0
	.set _ZN7rocprim17ROCPRIM_400000_NS6detail17trampoline_kernelINS0_14default_configENS1_36segmented_radix_sort_config_selectorIflEEZNS1_25segmented_radix_sort_implIS3_Lb0EPKfPfPKlPlN2at6native12_GLOBAL__N_18offset_tEEE10hipError_tPvRmT1_PNSt15iterator_traitsISK_E10value_typeET2_T3_PNSL_ISQ_E10value_typeET4_jRbjT5_SW_jjP12ihipStream_tbEUlT_E1_NS1_11comp_targetILNS1_3genE3ELNS1_11target_archE908ELNS1_3gpuE7ELNS1_3repE0EEENS1_59segmented_radix_sort_warp_sort_small_config_static_selectorELNS0_4arch9wavefront6targetE0EEEvSK_.numbered_sgpr, 0
	.set _ZN7rocprim17ROCPRIM_400000_NS6detail17trampoline_kernelINS0_14default_configENS1_36segmented_radix_sort_config_selectorIflEEZNS1_25segmented_radix_sort_implIS3_Lb0EPKfPfPKlPlN2at6native12_GLOBAL__N_18offset_tEEE10hipError_tPvRmT1_PNSt15iterator_traitsISK_E10value_typeET2_T3_PNSL_ISQ_E10value_typeET4_jRbjT5_SW_jjP12ihipStream_tbEUlT_E1_NS1_11comp_targetILNS1_3genE3ELNS1_11target_archE908ELNS1_3gpuE7ELNS1_3repE0EEENS1_59segmented_radix_sort_warp_sort_small_config_static_selectorELNS0_4arch9wavefront6targetE0EEEvSK_.num_named_barrier, 0
	.set _ZN7rocprim17ROCPRIM_400000_NS6detail17trampoline_kernelINS0_14default_configENS1_36segmented_radix_sort_config_selectorIflEEZNS1_25segmented_radix_sort_implIS3_Lb0EPKfPfPKlPlN2at6native12_GLOBAL__N_18offset_tEEE10hipError_tPvRmT1_PNSt15iterator_traitsISK_E10value_typeET2_T3_PNSL_ISQ_E10value_typeET4_jRbjT5_SW_jjP12ihipStream_tbEUlT_E1_NS1_11comp_targetILNS1_3genE3ELNS1_11target_archE908ELNS1_3gpuE7ELNS1_3repE0EEENS1_59segmented_radix_sort_warp_sort_small_config_static_selectorELNS0_4arch9wavefront6targetE0EEEvSK_.private_seg_size, 0
	.set _ZN7rocprim17ROCPRIM_400000_NS6detail17trampoline_kernelINS0_14default_configENS1_36segmented_radix_sort_config_selectorIflEEZNS1_25segmented_radix_sort_implIS3_Lb0EPKfPfPKlPlN2at6native12_GLOBAL__N_18offset_tEEE10hipError_tPvRmT1_PNSt15iterator_traitsISK_E10value_typeET2_T3_PNSL_ISQ_E10value_typeET4_jRbjT5_SW_jjP12ihipStream_tbEUlT_E1_NS1_11comp_targetILNS1_3genE3ELNS1_11target_archE908ELNS1_3gpuE7ELNS1_3repE0EEENS1_59segmented_radix_sort_warp_sort_small_config_static_selectorELNS0_4arch9wavefront6targetE0EEEvSK_.uses_vcc, 0
	.set _ZN7rocprim17ROCPRIM_400000_NS6detail17trampoline_kernelINS0_14default_configENS1_36segmented_radix_sort_config_selectorIflEEZNS1_25segmented_radix_sort_implIS3_Lb0EPKfPfPKlPlN2at6native12_GLOBAL__N_18offset_tEEE10hipError_tPvRmT1_PNSt15iterator_traitsISK_E10value_typeET2_T3_PNSL_ISQ_E10value_typeET4_jRbjT5_SW_jjP12ihipStream_tbEUlT_E1_NS1_11comp_targetILNS1_3genE3ELNS1_11target_archE908ELNS1_3gpuE7ELNS1_3repE0EEENS1_59segmented_radix_sort_warp_sort_small_config_static_selectorELNS0_4arch9wavefront6targetE0EEEvSK_.uses_flat_scratch, 0
	.set _ZN7rocprim17ROCPRIM_400000_NS6detail17trampoline_kernelINS0_14default_configENS1_36segmented_radix_sort_config_selectorIflEEZNS1_25segmented_radix_sort_implIS3_Lb0EPKfPfPKlPlN2at6native12_GLOBAL__N_18offset_tEEE10hipError_tPvRmT1_PNSt15iterator_traitsISK_E10value_typeET2_T3_PNSL_ISQ_E10value_typeET4_jRbjT5_SW_jjP12ihipStream_tbEUlT_E1_NS1_11comp_targetILNS1_3genE3ELNS1_11target_archE908ELNS1_3gpuE7ELNS1_3repE0EEENS1_59segmented_radix_sort_warp_sort_small_config_static_selectorELNS0_4arch9wavefront6targetE0EEEvSK_.has_dyn_sized_stack, 0
	.set _ZN7rocprim17ROCPRIM_400000_NS6detail17trampoline_kernelINS0_14default_configENS1_36segmented_radix_sort_config_selectorIflEEZNS1_25segmented_radix_sort_implIS3_Lb0EPKfPfPKlPlN2at6native12_GLOBAL__N_18offset_tEEE10hipError_tPvRmT1_PNSt15iterator_traitsISK_E10value_typeET2_T3_PNSL_ISQ_E10value_typeET4_jRbjT5_SW_jjP12ihipStream_tbEUlT_E1_NS1_11comp_targetILNS1_3genE3ELNS1_11target_archE908ELNS1_3gpuE7ELNS1_3repE0EEENS1_59segmented_radix_sort_warp_sort_small_config_static_selectorELNS0_4arch9wavefront6targetE0EEEvSK_.has_recursion, 0
	.set _ZN7rocprim17ROCPRIM_400000_NS6detail17trampoline_kernelINS0_14default_configENS1_36segmented_radix_sort_config_selectorIflEEZNS1_25segmented_radix_sort_implIS3_Lb0EPKfPfPKlPlN2at6native12_GLOBAL__N_18offset_tEEE10hipError_tPvRmT1_PNSt15iterator_traitsISK_E10value_typeET2_T3_PNSL_ISQ_E10value_typeET4_jRbjT5_SW_jjP12ihipStream_tbEUlT_E1_NS1_11comp_targetILNS1_3genE3ELNS1_11target_archE908ELNS1_3gpuE7ELNS1_3repE0EEENS1_59segmented_radix_sort_warp_sort_small_config_static_selectorELNS0_4arch9wavefront6targetE0EEEvSK_.has_indirect_call, 0
	.section	.AMDGPU.csdata,"",@progbits
; Kernel info:
; codeLenInByte = 0
; TotalNumSgprs: 0
; NumVgprs: 0
; ScratchSize: 0
; MemoryBound: 0
; FloatMode: 240
; IeeeMode: 1
; LDSByteSize: 0 bytes/workgroup (compile time only)
; SGPRBlocks: 0
; VGPRBlocks: 0
; NumSGPRsForWavesPerEU: 1
; NumVGPRsForWavesPerEU: 1
; Occupancy: 16
; WaveLimiterHint : 0
; COMPUTE_PGM_RSRC2:SCRATCH_EN: 0
; COMPUTE_PGM_RSRC2:USER_SGPR: 2
; COMPUTE_PGM_RSRC2:TRAP_HANDLER: 0
; COMPUTE_PGM_RSRC2:TGID_X_EN: 1
; COMPUTE_PGM_RSRC2:TGID_Y_EN: 0
; COMPUTE_PGM_RSRC2:TGID_Z_EN: 0
; COMPUTE_PGM_RSRC2:TIDIG_COMP_CNT: 0
	.section	.text._ZN7rocprim17ROCPRIM_400000_NS6detail17trampoline_kernelINS0_14default_configENS1_36segmented_radix_sort_config_selectorIflEEZNS1_25segmented_radix_sort_implIS3_Lb0EPKfPfPKlPlN2at6native12_GLOBAL__N_18offset_tEEE10hipError_tPvRmT1_PNSt15iterator_traitsISK_E10value_typeET2_T3_PNSL_ISQ_E10value_typeET4_jRbjT5_SW_jjP12ihipStream_tbEUlT_E1_NS1_11comp_targetILNS1_3genE2ELNS1_11target_archE906ELNS1_3gpuE6ELNS1_3repE0EEENS1_59segmented_radix_sort_warp_sort_small_config_static_selectorELNS0_4arch9wavefront6targetE0EEEvSK_,"axG",@progbits,_ZN7rocprim17ROCPRIM_400000_NS6detail17trampoline_kernelINS0_14default_configENS1_36segmented_radix_sort_config_selectorIflEEZNS1_25segmented_radix_sort_implIS3_Lb0EPKfPfPKlPlN2at6native12_GLOBAL__N_18offset_tEEE10hipError_tPvRmT1_PNSt15iterator_traitsISK_E10value_typeET2_T3_PNSL_ISQ_E10value_typeET4_jRbjT5_SW_jjP12ihipStream_tbEUlT_E1_NS1_11comp_targetILNS1_3genE2ELNS1_11target_archE906ELNS1_3gpuE6ELNS1_3repE0EEENS1_59segmented_radix_sort_warp_sort_small_config_static_selectorELNS0_4arch9wavefront6targetE0EEEvSK_,comdat
	.globl	_ZN7rocprim17ROCPRIM_400000_NS6detail17trampoline_kernelINS0_14default_configENS1_36segmented_radix_sort_config_selectorIflEEZNS1_25segmented_radix_sort_implIS3_Lb0EPKfPfPKlPlN2at6native12_GLOBAL__N_18offset_tEEE10hipError_tPvRmT1_PNSt15iterator_traitsISK_E10value_typeET2_T3_PNSL_ISQ_E10value_typeET4_jRbjT5_SW_jjP12ihipStream_tbEUlT_E1_NS1_11comp_targetILNS1_3genE2ELNS1_11target_archE906ELNS1_3gpuE6ELNS1_3repE0EEENS1_59segmented_radix_sort_warp_sort_small_config_static_selectorELNS0_4arch9wavefront6targetE0EEEvSK_ ; -- Begin function _ZN7rocprim17ROCPRIM_400000_NS6detail17trampoline_kernelINS0_14default_configENS1_36segmented_radix_sort_config_selectorIflEEZNS1_25segmented_radix_sort_implIS3_Lb0EPKfPfPKlPlN2at6native12_GLOBAL__N_18offset_tEEE10hipError_tPvRmT1_PNSt15iterator_traitsISK_E10value_typeET2_T3_PNSL_ISQ_E10value_typeET4_jRbjT5_SW_jjP12ihipStream_tbEUlT_E1_NS1_11comp_targetILNS1_3genE2ELNS1_11target_archE906ELNS1_3gpuE6ELNS1_3repE0EEENS1_59segmented_radix_sort_warp_sort_small_config_static_selectorELNS0_4arch9wavefront6targetE0EEEvSK_
	.p2align	8
	.type	_ZN7rocprim17ROCPRIM_400000_NS6detail17trampoline_kernelINS0_14default_configENS1_36segmented_radix_sort_config_selectorIflEEZNS1_25segmented_radix_sort_implIS3_Lb0EPKfPfPKlPlN2at6native12_GLOBAL__N_18offset_tEEE10hipError_tPvRmT1_PNSt15iterator_traitsISK_E10value_typeET2_T3_PNSL_ISQ_E10value_typeET4_jRbjT5_SW_jjP12ihipStream_tbEUlT_E1_NS1_11comp_targetILNS1_3genE2ELNS1_11target_archE906ELNS1_3gpuE6ELNS1_3repE0EEENS1_59segmented_radix_sort_warp_sort_small_config_static_selectorELNS0_4arch9wavefront6targetE0EEEvSK_,@function
_ZN7rocprim17ROCPRIM_400000_NS6detail17trampoline_kernelINS0_14default_configENS1_36segmented_radix_sort_config_selectorIflEEZNS1_25segmented_radix_sort_implIS3_Lb0EPKfPfPKlPlN2at6native12_GLOBAL__N_18offset_tEEE10hipError_tPvRmT1_PNSt15iterator_traitsISK_E10value_typeET2_T3_PNSL_ISQ_E10value_typeET4_jRbjT5_SW_jjP12ihipStream_tbEUlT_E1_NS1_11comp_targetILNS1_3genE2ELNS1_11target_archE906ELNS1_3gpuE6ELNS1_3repE0EEENS1_59segmented_radix_sort_warp_sort_small_config_static_selectorELNS0_4arch9wavefront6targetE0EEEvSK_: ; @_ZN7rocprim17ROCPRIM_400000_NS6detail17trampoline_kernelINS0_14default_configENS1_36segmented_radix_sort_config_selectorIflEEZNS1_25segmented_radix_sort_implIS3_Lb0EPKfPfPKlPlN2at6native12_GLOBAL__N_18offset_tEEE10hipError_tPvRmT1_PNSt15iterator_traitsISK_E10value_typeET2_T3_PNSL_ISQ_E10value_typeET4_jRbjT5_SW_jjP12ihipStream_tbEUlT_E1_NS1_11comp_targetILNS1_3genE2ELNS1_11target_archE906ELNS1_3gpuE6ELNS1_3repE0EEENS1_59segmented_radix_sort_warp_sort_small_config_static_selectorELNS0_4arch9wavefront6targetE0EEEvSK_
; %bb.0:
	.section	.rodata,"a",@progbits
	.p2align	6, 0x0
	.amdhsa_kernel _ZN7rocprim17ROCPRIM_400000_NS6detail17trampoline_kernelINS0_14default_configENS1_36segmented_radix_sort_config_selectorIflEEZNS1_25segmented_radix_sort_implIS3_Lb0EPKfPfPKlPlN2at6native12_GLOBAL__N_18offset_tEEE10hipError_tPvRmT1_PNSt15iterator_traitsISK_E10value_typeET2_T3_PNSL_ISQ_E10value_typeET4_jRbjT5_SW_jjP12ihipStream_tbEUlT_E1_NS1_11comp_targetILNS1_3genE2ELNS1_11target_archE906ELNS1_3gpuE6ELNS1_3repE0EEENS1_59segmented_radix_sort_warp_sort_small_config_static_selectorELNS0_4arch9wavefront6targetE0EEEvSK_
		.amdhsa_group_segment_fixed_size 0
		.amdhsa_private_segment_fixed_size 0
		.amdhsa_kernarg_size 88
		.amdhsa_user_sgpr_count 2
		.amdhsa_user_sgpr_dispatch_ptr 0
		.amdhsa_user_sgpr_queue_ptr 0
		.amdhsa_user_sgpr_kernarg_segment_ptr 1
		.amdhsa_user_sgpr_dispatch_id 0
		.amdhsa_user_sgpr_private_segment_size 0
		.amdhsa_wavefront_size32 1
		.amdhsa_uses_dynamic_stack 0
		.amdhsa_enable_private_segment 0
		.amdhsa_system_sgpr_workgroup_id_x 1
		.amdhsa_system_sgpr_workgroup_id_y 0
		.amdhsa_system_sgpr_workgroup_id_z 0
		.amdhsa_system_sgpr_workgroup_info 0
		.amdhsa_system_vgpr_workitem_id 0
		.amdhsa_next_free_vgpr 1
		.amdhsa_next_free_sgpr 1
		.amdhsa_reserve_vcc 0
		.amdhsa_float_round_mode_32 0
		.amdhsa_float_round_mode_16_64 0
		.amdhsa_float_denorm_mode_32 3
		.amdhsa_float_denorm_mode_16_64 3
		.amdhsa_fp16_overflow 0
		.amdhsa_workgroup_processor_mode 1
		.amdhsa_memory_ordered 1
		.amdhsa_forward_progress 1
		.amdhsa_inst_pref_size 0
		.amdhsa_round_robin_scheduling 0
		.amdhsa_exception_fp_ieee_invalid_op 0
		.amdhsa_exception_fp_denorm_src 0
		.amdhsa_exception_fp_ieee_div_zero 0
		.amdhsa_exception_fp_ieee_overflow 0
		.amdhsa_exception_fp_ieee_underflow 0
		.amdhsa_exception_fp_ieee_inexact 0
		.amdhsa_exception_int_div_zero 0
	.end_amdhsa_kernel
	.section	.text._ZN7rocprim17ROCPRIM_400000_NS6detail17trampoline_kernelINS0_14default_configENS1_36segmented_radix_sort_config_selectorIflEEZNS1_25segmented_radix_sort_implIS3_Lb0EPKfPfPKlPlN2at6native12_GLOBAL__N_18offset_tEEE10hipError_tPvRmT1_PNSt15iterator_traitsISK_E10value_typeET2_T3_PNSL_ISQ_E10value_typeET4_jRbjT5_SW_jjP12ihipStream_tbEUlT_E1_NS1_11comp_targetILNS1_3genE2ELNS1_11target_archE906ELNS1_3gpuE6ELNS1_3repE0EEENS1_59segmented_radix_sort_warp_sort_small_config_static_selectorELNS0_4arch9wavefront6targetE0EEEvSK_,"axG",@progbits,_ZN7rocprim17ROCPRIM_400000_NS6detail17trampoline_kernelINS0_14default_configENS1_36segmented_radix_sort_config_selectorIflEEZNS1_25segmented_radix_sort_implIS3_Lb0EPKfPfPKlPlN2at6native12_GLOBAL__N_18offset_tEEE10hipError_tPvRmT1_PNSt15iterator_traitsISK_E10value_typeET2_T3_PNSL_ISQ_E10value_typeET4_jRbjT5_SW_jjP12ihipStream_tbEUlT_E1_NS1_11comp_targetILNS1_3genE2ELNS1_11target_archE906ELNS1_3gpuE6ELNS1_3repE0EEENS1_59segmented_radix_sort_warp_sort_small_config_static_selectorELNS0_4arch9wavefront6targetE0EEEvSK_,comdat
.Lfunc_end1452:
	.size	_ZN7rocprim17ROCPRIM_400000_NS6detail17trampoline_kernelINS0_14default_configENS1_36segmented_radix_sort_config_selectorIflEEZNS1_25segmented_radix_sort_implIS3_Lb0EPKfPfPKlPlN2at6native12_GLOBAL__N_18offset_tEEE10hipError_tPvRmT1_PNSt15iterator_traitsISK_E10value_typeET2_T3_PNSL_ISQ_E10value_typeET4_jRbjT5_SW_jjP12ihipStream_tbEUlT_E1_NS1_11comp_targetILNS1_3genE2ELNS1_11target_archE906ELNS1_3gpuE6ELNS1_3repE0EEENS1_59segmented_radix_sort_warp_sort_small_config_static_selectorELNS0_4arch9wavefront6targetE0EEEvSK_, .Lfunc_end1452-_ZN7rocprim17ROCPRIM_400000_NS6detail17trampoline_kernelINS0_14default_configENS1_36segmented_radix_sort_config_selectorIflEEZNS1_25segmented_radix_sort_implIS3_Lb0EPKfPfPKlPlN2at6native12_GLOBAL__N_18offset_tEEE10hipError_tPvRmT1_PNSt15iterator_traitsISK_E10value_typeET2_T3_PNSL_ISQ_E10value_typeET4_jRbjT5_SW_jjP12ihipStream_tbEUlT_E1_NS1_11comp_targetILNS1_3genE2ELNS1_11target_archE906ELNS1_3gpuE6ELNS1_3repE0EEENS1_59segmented_radix_sort_warp_sort_small_config_static_selectorELNS0_4arch9wavefront6targetE0EEEvSK_
                                        ; -- End function
	.set _ZN7rocprim17ROCPRIM_400000_NS6detail17trampoline_kernelINS0_14default_configENS1_36segmented_radix_sort_config_selectorIflEEZNS1_25segmented_radix_sort_implIS3_Lb0EPKfPfPKlPlN2at6native12_GLOBAL__N_18offset_tEEE10hipError_tPvRmT1_PNSt15iterator_traitsISK_E10value_typeET2_T3_PNSL_ISQ_E10value_typeET4_jRbjT5_SW_jjP12ihipStream_tbEUlT_E1_NS1_11comp_targetILNS1_3genE2ELNS1_11target_archE906ELNS1_3gpuE6ELNS1_3repE0EEENS1_59segmented_radix_sort_warp_sort_small_config_static_selectorELNS0_4arch9wavefront6targetE0EEEvSK_.num_vgpr, 0
	.set _ZN7rocprim17ROCPRIM_400000_NS6detail17trampoline_kernelINS0_14default_configENS1_36segmented_radix_sort_config_selectorIflEEZNS1_25segmented_radix_sort_implIS3_Lb0EPKfPfPKlPlN2at6native12_GLOBAL__N_18offset_tEEE10hipError_tPvRmT1_PNSt15iterator_traitsISK_E10value_typeET2_T3_PNSL_ISQ_E10value_typeET4_jRbjT5_SW_jjP12ihipStream_tbEUlT_E1_NS1_11comp_targetILNS1_3genE2ELNS1_11target_archE906ELNS1_3gpuE6ELNS1_3repE0EEENS1_59segmented_radix_sort_warp_sort_small_config_static_selectorELNS0_4arch9wavefront6targetE0EEEvSK_.num_agpr, 0
	.set _ZN7rocprim17ROCPRIM_400000_NS6detail17trampoline_kernelINS0_14default_configENS1_36segmented_radix_sort_config_selectorIflEEZNS1_25segmented_radix_sort_implIS3_Lb0EPKfPfPKlPlN2at6native12_GLOBAL__N_18offset_tEEE10hipError_tPvRmT1_PNSt15iterator_traitsISK_E10value_typeET2_T3_PNSL_ISQ_E10value_typeET4_jRbjT5_SW_jjP12ihipStream_tbEUlT_E1_NS1_11comp_targetILNS1_3genE2ELNS1_11target_archE906ELNS1_3gpuE6ELNS1_3repE0EEENS1_59segmented_radix_sort_warp_sort_small_config_static_selectorELNS0_4arch9wavefront6targetE0EEEvSK_.numbered_sgpr, 0
	.set _ZN7rocprim17ROCPRIM_400000_NS6detail17trampoline_kernelINS0_14default_configENS1_36segmented_radix_sort_config_selectorIflEEZNS1_25segmented_radix_sort_implIS3_Lb0EPKfPfPKlPlN2at6native12_GLOBAL__N_18offset_tEEE10hipError_tPvRmT1_PNSt15iterator_traitsISK_E10value_typeET2_T3_PNSL_ISQ_E10value_typeET4_jRbjT5_SW_jjP12ihipStream_tbEUlT_E1_NS1_11comp_targetILNS1_3genE2ELNS1_11target_archE906ELNS1_3gpuE6ELNS1_3repE0EEENS1_59segmented_radix_sort_warp_sort_small_config_static_selectorELNS0_4arch9wavefront6targetE0EEEvSK_.num_named_barrier, 0
	.set _ZN7rocprim17ROCPRIM_400000_NS6detail17trampoline_kernelINS0_14default_configENS1_36segmented_radix_sort_config_selectorIflEEZNS1_25segmented_radix_sort_implIS3_Lb0EPKfPfPKlPlN2at6native12_GLOBAL__N_18offset_tEEE10hipError_tPvRmT1_PNSt15iterator_traitsISK_E10value_typeET2_T3_PNSL_ISQ_E10value_typeET4_jRbjT5_SW_jjP12ihipStream_tbEUlT_E1_NS1_11comp_targetILNS1_3genE2ELNS1_11target_archE906ELNS1_3gpuE6ELNS1_3repE0EEENS1_59segmented_radix_sort_warp_sort_small_config_static_selectorELNS0_4arch9wavefront6targetE0EEEvSK_.private_seg_size, 0
	.set _ZN7rocprim17ROCPRIM_400000_NS6detail17trampoline_kernelINS0_14default_configENS1_36segmented_radix_sort_config_selectorIflEEZNS1_25segmented_radix_sort_implIS3_Lb0EPKfPfPKlPlN2at6native12_GLOBAL__N_18offset_tEEE10hipError_tPvRmT1_PNSt15iterator_traitsISK_E10value_typeET2_T3_PNSL_ISQ_E10value_typeET4_jRbjT5_SW_jjP12ihipStream_tbEUlT_E1_NS1_11comp_targetILNS1_3genE2ELNS1_11target_archE906ELNS1_3gpuE6ELNS1_3repE0EEENS1_59segmented_radix_sort_warp_sort_small_config_static_selectorELNS0_4arch9wavefront6targetE0EEEvSK_.uses_vcc, 0
	.set _ZN7rocprim17ROCPRIM_400000_NS6detail17trampoline_kernelINS0_14default_configENS1_36segmented_radix_sort_config_selectorIflEEZNS1_25segmented_radix_sort_implIS3_Lb0EPKfPfPKlPlN2at6native12_GLOBAL__N_18offset_tEEE10hipError_tPvRmT1_PNSt15iterator_traitsISK_E10value_typeET2_T3_PNSL_ISQ_E10value_typeET4_jRbjT5_SW_jjP12ihipStream_tbEUlT_E1_NS1_11comp_targetILNS1_3genE2ELNS1_11target_archE906ELNS1_3gpuE6ELNS1_3repE0EEENS1_59segmented_radix_sort_warp_sort_small_config_static_selectorELNS0_4arch9wavefront6targetE0EEEvSK_.uses_flat_scratch, 0
	.set _ZN7rocprim17ROCPRIM_400000_NS6detail17trampoline_kernelINS0_14default_configENS1_36segmented_radix_sort_config_selectorIflEEZNS1_25segmented_radix_sort_implIS3_Lb0EPKfPfPKlPlN2at6native12_GLOBAL__N_18offset_tEEE10hipError_tPvRmT1_PNSt15iterator_traitsISK_E10value_typeET2_T3_PNSL_ISQ_E10value_typeET4_jRbjT5_SW_jjP12ihipStream_tbEUlT_E1_NS1_11comp_targetILNS1_3genE2ELNS1_11target_archE906ELNS1_3gpuE6ELNS1_3repE0EEENS1_59segmented_radix_sort_warp_sort_small_config_static_selectorELNS0_4arch9wavefront6targetE0EEEvSK_.has_dyn_sized_stack, 0
	.set _ZN7rocprim17ROCPRIM_400000_NS6detail17trampoline_kernelINS0_14default_configENS1_36segmented_radix_sort_config_selectorIflEEZNS1_25segmented_radix_sort_implIS3_Lb0EPKfPfPKlPlN2at6native12_GLOBAL__N_18offset_tEEE10hipError_tPvRmT1_PNSt15iterator_traitsISK_E10value_typeET2_T3_PNSL_ISQ_E10value_typeET4_jRbjT5_SW_jjP12ihipStream_tbEUlT_E1_NS1_11comp_targetILNS1_3genE2ELNS1_11target_archE906ELNS1_3gpuE6ELNS1_3repE0EEENS1_59segmented_radix_sort_warp_sort_small_config_static_selectorELNS0_4arch9wavefront6targetE0EEEvSK_.has_recursion, 0
	.set _ZN7rocprim17ROCPRIM_400000_NS6detail17trampoline_kernelINS0_14default_configENS1_36segmented_radix_sort_config_selectorIflEEZNS1_25segmented_radix_sort_implIS3_Lb0EPKfPfPKlPlN2at6native12_GLOBAL__N_18offset_tEEE10hipError_tPvRmT1_PNSt15iterator_traitsISK_E10value_typeET2_T3_PNSL_ISQ_E10value_typeET4_jRbjT5_SW_jjP12ihipStream_tbEUlT_E1_NS1_11comp_targetILNS1_3genE2ELNS1_11target_archE906ELNS1_3gpuE6ELNS1_3repE0EEENS1_59segmented_radix_sort_warp_sort_small_config_static_selectorELNS0_4arch9wavefront6targetE0EEEvSK_.has_indirect_call, 0
	.section	.AMDGPU.csdata,"",@progbits
; Kernel info:
; codeLenInByte = 0
; TotalNumSgprs: 0
; NumVgprs: 0
; ScratchSize: 0
; MemoryBound: 0
; FloatMode: 240
; IeeeMode: 1
; LDSByteSize: 0 bytes/workgroup (compile time only)
; SGPRBlocks: 0
; VGPRBlocks: 0
; NumSGPRsForWavesPerEU: 1
; NumVGPRsForWavesPerEU: 1
; Occupancy: 16
; WaveLimiterHint : 0
; COMPUTE_PGM_RSRC2:SCRATCH_EN: 0
; COMPUTE_PGM_RSRC2:USER_SGPR: 2
; COMPUTE_PGM_RSRC2:TRAP_HANDLER: 0
; COMPUTE_PGM_RSRC2:TGID_X_EN: 1
; COMPUTE_PGM_RSRC2:TGID_Y_EN: 0
; COMPUTE_PGM_RSRC2:TGID_Z_EN: 0
; COMPUTE_PGM_RSRC2:TIDIG_COMP_CNT: 0
	.text
	.p2align	2                               ; -- Begin function _ZN7rocprim17ROCPRIM_400000_NS6detail26segmented_warp_sort_helperINS1_20WarpSortHelperConfigILj8ELj4ELj256EEEflLi256ELb0EvE4sortIPKfPfPKlPlEEvT_S9_T0_T1_SC_T2_bjjjjRNS5_12storage_typeE
	.type	_ZN7rocprim17ROCPRIM_400000_NS6detail26segmented_warp_sort_helperINS1_20WarpSortHelperConfigILj8ELj4ELj256EEEflLi256ELb0EvE4sortIPKfPfPKlPlEEvT_S9_T0_T1_SC_T2_bjjjjRNS5_12storage_typeE,@function
_ZN7rocprim17ROCPRIM_400000_NS6detail26segmented_warp_sort_helperINS1_20WarpSortHelperConfigILj8ELj4ELj256EEEflLi256ELb0EvE4sortIPKfPfPKlPlEEvT_S9_T0_T1_SC_T2_bjjjjRNS5_12storage_typeE: ; @_ZN7rocprim17ROCPRIM_400000_NS6detail26segmented_warp_sort_helperINS1_20WarpSortHelperConfigILj8ELj4ELj256EEEflLi256ELb0EvE4sortIPKfPfPKlPlEEvT_S9_T0_T1_SC_T2_bjjjjRNS5_12storage_typeE
; %bb.0:
	s_wait_loadcnt_dscnt 0x0
	s_wait_expcnt 0x0
	s_wait_samplecnt 0x0
	s_wait_bvhcnt 0x0
	s_wait_kmcnt 0x0
	v_mov_b32_e32 v16, v14
	v_mbcnt_lo_u32_b32 v14, -1, 0
	s_mov_b32 s5, 0
	v_and_b32_e32 v17, 1, v12
	s_delay_alu instid0(VALU_DEP_2) | instskip(SKIP_1) | instid1(VALU_DEP_3)
	v_dual_mov_b32 v14, 0 :: v_dual_lshlrev_b32 v51, 2, v14
	v_sub_nc_u32_e32 v24, v16, v13
	v_cmp_ne_u32_e64 s0, 1, v17
                                        ; implicit-def: $vgpr16_vgpr17_vgpr18_vgpr19_vgpr20_vgpr21_vgpr22_vgpr23
	s_delay_alu instid0(VALU_DEP_3) | instskip(NEXT) | instid1(VALU_DEP_4)
	v_and_b32_e32 v12, 28, v51
	v_lshlrev_b64_e32 v[48:49], 2, v[13:14]
	s_delay_alu instid0(VALU_DEP_2) | instskip(NEXT) | instid1(VALU_DEP_2)
	v_lshlrev_b32_e32 v50, 2, v12
	v_add_co_u32 v0, vcc_lo, v0, v48
	s_wait_alu 0xfffd
	s_delay_alu instid0(VALU_DEP_3) | instskip(NEXT) | instid1(VALU_DEP_2)
	v_add_co_ci_u32_e64 v1, null, v1, v49, vcc_lo
	v_add_co_u32 v0, vcc_lo, v0, v50
	s_wait_alu 0xfffd
	s_delay_alu instid0(VALU_DEP_2)
	v_add_co_ci_u32_e64 v1, null, 0, v1, vcc_lo
	v_cmp_lt_u32_e32 vcc_lo, v12, v24
	s_and_saveexec_b32 s1, s0
	s_wait_alu 0xfffe
	s_xor_b32 s6, exec_lo, s1
	s_cbranch_execnz .LBB1453_4
; %bb.1:
	s_wait_alu 0xfffe
	s_and_not1_saveexec_b32 s6, s6
	s_cbranch_execnz .LBB1453_111
.LBB1453_2:
	s_wait_alu 0xfffe
	s_or_b32 exec_lo, exec_lo, s6
	s_and_saveexec_b32 s0, s5
	s_cbranch_execnz .LBB1453_218
.LBB1453_3:
	s_wait_alu 0xfffe
	s_or_b32 exec_lo, exec_lo, s0
	s_wait_loadcnt_dscnt 0x0
	s_wait_alu 0xfffd
	s_setpc_b64 s[30:31]
.LBB1453_4:
	v_bfrev_b32_e32 v52, -2
	v_bfrev_b32_e32 v53, -2
	s_and_saveexec_b32 s0, vcc_lo
	s_cbranch_execz .LBB1453_6
; %bb.5:
	flat_load_b32 v53, v[0:1]
.LBB1453_6:
	s_wait_alu 0xfffe
	s_or_b32 exec_lo, exec_lo, s0
	v_or_b32_e32 v4, 1, v12
	s_delay_alu instid0(VALU_DEP_1)
	v_cmp_lt_u32_e64 s0, v4, v24
	s_and_saveexec_b32 s1, s0
	s_cbranch_execz .LBB1453_8
; %bb.7:
	flat_load_b32 v52, v[0:1] offset:4
.LBB1453_8:
	s_wait_alu 0xfffe
	s_or_b32 exec_lo, exec_lo, s1
	v_or_b32_e32 v4, 2, v12
	v_bfrev_b32_e32 v11, -2
	v_bfrev_b32_e32 v30, -2
	s_delay_alu instid0(VALU_DEP_3)
	v_cmp_lt_u32_e64 s1, v4, v24
	s_and_saveexec_b32 s2, s1
	s_cbranch_execz .LBB1453_10
; %bb.9:
	flat_load_b32 v30, v[0:1] offset:8
.LBB1453_10:
	s_wait_alu 0xfffe
	s_or_b32 exec_lo, exec_lo, s2
	v_or_b32_e32 v4, 3, v12
	s_delay_alu instid0(VALU_DEP_1)
	v_cmp_lt_u32_e64 s2, v4, v24
	s_and_saveexec_b32 s3, s2
	s_cbranch_execz .LBB1453_12
; %bb.11:
	flat_load_b32 v11, v[0:1] offset:12
.LBB1453_12:
	s_wait_alu 0xfffe
	s_or_b32 exec_lo, exec_lo, s3
	v_lshlrev_b64_e32 v[0:1], 3, v[13:14]
	v_mov_b32_e32 v16, 0
	v_lshlrev_b32_e32 v10, 3, v12
	; wave barrier
	s_delay_alu instid0(VALU_DEP_2) | instskip(NEXT) | instid1(VALU_DEP_4)
	v_mov_b32_e32 v17, v16
	v_add_co_u32 v4, s3, v6, v0
	s_wait_alu 0xf1ff
	v_add_co_ci_u32_e64 v5, null, v7, v1, s3
	v_dual_mov_b32 v18, v16 :: v_dual_mov_b32 v19, v16
	s_delay_alu instid0(VALU_DEP_3) | instskip(SKIP_1) | instid1(VALU_DEP_3)
	v_add_co_u32 v4, s3, v4, v10
	s_wait_alu 0xf1ff
	v_add_co_ci_u32_e64 v5, null, 0, v5, s3
	v_dual_mov_b32 v20, v16 :: v_dual_mov_b32 v21, v16
	v_dual_mov_b32 v22, v16 :: v_dual_mov_b32 v23, v16
	s_and_saveexec_b32 s3, vcc_lo
	s_cbranch_execnz .LBB1453_219
; %bb.13:
	s_wait_alu 0xfffe
	s_or_b32 exec_lo, exec_lo, s3
	s_and_saveexec_b32 s3, s0
	s_cbranch_execnz .LBB1453_220
.LBB1453_14:
	s_wait_alu 0xfffe
	s_or_b32 exec_lo, exec_lo, s3
	s_and_saveexec_b32 s3, s1
	s_cbranch_execnz .LBB1453_221
.LBB1453_15:
	s_wait_alu 0xfffe
	s_or_b32 exec_lo, exec_lo, s3
	s_and_saveexec_b32 s3, s2
	s_cbranch_execz .LBB1453_17
.LBB1453_16:
	flat_load_b64 v[22:23], v[4:5] offset:24
.LBB1453_17:
	s_wait_alu 0xfffe
	s_or_b32 exec_lo, exec_lo, s3
	; wave barrier
	s_load_b64 s[4:5], s[8:9], 0x0
	s_and_b32 s3, ttmp7, 0xffff
	s_mov_b32 s11, 0
	v_bfe_u32 v4, v31, 10, 10
	v_bfe_u32 v5, v31, 20, 10
	s_wait_kmcnt 0x0
	s_wait_alu 0xfffe
	s_cmp_lt_u32 s3, s5
	s_cselect_b32 s10, 14, 20
	s_cmp_lt_u32 ttmp9, s4
	s_wait_alu 0xfffe
	s_add_nc_u64 s[12:13], s[8:9], s[10:11]
	s_cselect_b32 s10, 12, 18
	s_load_u16 s3, s[12:13], 0x0
	s_add_nc_u64 s[4:5], s[8:9], s[10:11]
	s_load_u16 s4, s[4:5], 0x0
	s_mov_b32 s5, exec_lo
	s_wait_kmcnt 0x0
	v_mad_u32_u24 v4, v5, s3, v4
	v_and_b32_e32 v5, 0x3ff, v31
	s_delay_alu instid0(VALU_DEP_2) | instskip(NEXT) | instid1(VALU_DEP_1)
	v_mul_lo_u32 v4, v4, s4
	v_add_lshl_u32 v4, v4, v5, 2
	s_delay_alu instid0(VALU_DEP_1)
	v_cmpx_gt_u32_e32 0x400, v4
	s_cbranch_execz .LBB1453_29
; %bb.18:
	s_wait_loadcnt_dscnt 0x0
	v_dual_add_f32 v5, 0, v53 :: v_dual_add_f32 v6, 0, v52
	v_dual_add_f32 v7, 0, v30 :: v_dual_add_f32 v24, 0, v11
	s_mov_b32 s7, exec_lo
	s_delay_alu instid0(VALU_DEP_2) | instskip(NEXT) | instid1(VALU_DEP_3)
	v_ashrrev_i32_e32 v25, 31, v5
	v_ashrrev_i32_e32 v26, 31, v6
	s_delay_alu instid0(VALU_DEP_3) | instskip(SKIP_1) | instid1(VALU_DEP_4)
	v_ashrrev_i32_e32 v27, 31, v7
	v_ashrrev_i32_e32 v28, 31, v24
	v_or_b32_e32 v25, 0x80000000, v25
	s_delay_alu instid0(VALU_DEP_4) | instskip(NEXT) | instid1(VALU_DEP_4)
	v_or_b32_e32 v26, 0x80000000, v26
	v_or_b32_e32 v27, 0x80000000, v27
	s_delay_alu instid0(VALU_DEP_4) | instskip(NEXT) | instid1(VALU_DEP_4)
	v_or_b32_e32 v28, 0x80000000, v28
	v_xor_b32_e32 v5, v25, v5
	s_delay_alu instid0(VALU_DEP_4) | instskip(NEXT) | instid1(VALU_DEP_4)
	v_xor_b32_e32 v25, v26, v6
	v_xor_b32_e32 v7, v27, v7
	s_delay_alu instid0(VALU_DEP_4) | instskip(SKIP_1) | instid1(VALU_DEP_4)
	v_xor_b32_e32 v6, v28, v24
	v_dual_mov_b32 v29, v21 :: v_dual_mov_b32 v28, v20
	v_cmp_gt_u32_e64 s3, v5, v25
	v_mov_b32_e32 v5, v30
	s_wait_alu 0xf1ff
	s_delay_alu instid0(VALU_DEP_2)
	v_cndmask_b32_e64 v27, v19, v17, s3
	v_cndmask_b32_e64 v26, v18, v16, s3
	;; [unrolled: 1-line block ×4, first 2 shown]
	v_cmpx_gt_u32_e64 v7, v6
; %bb.19:
	v_mov_b32_e32 v29, v23
	v_dual_mov_b32 v5, v11 :: v_dual_mov_b32 v28, v22
	v_mov_b32_e32 v23, v21
	v_dual_mov_b32 v11, v30 :: v_dual_mov_b32 v22, v20
	v_mov_b32_e32 v7, v6
; %bb.20:
	s_wait_alu 0xfffe
	s_or_b32 exec_lo, exec_lo, s7
	v_cndmask_b32_e64 v17, v52, v53, s3
	v_mov_b32_e32 v30, v22
                                        ; implicit-def: $vgpr54
	v_dual_mov_b32 v39, v31 :: v_dual_mov_b32 v34, v26
	s_delay_alu instid0(VALU_DEP_3) | instskip(SKIP_1) | instid1(VALU_DEP_4)
	v_dual_mov_b32 v33, v25 :: v_dual_add_f32 v6, 0, v17
	v_mov_b32_e32 v32, v24
	v_dual_mov_b32 v38, v30 :: v_dual_mov_b32 v37, v29
	v_dual_mov_b32 v36, v28 :: v_dual_mov_b32 v35, v27
	s_delay_alu instid0(VALU_DEP_4) | instskip(NEXT) | instid1(VALU_DEP_1)
	v_ashrrev_i32_e32 v16, 31, v6
	v_or_b32_e32 v16, 0x80000000, v16
	s_delay_alu instid0(VALU_DEP_1) | instskip(NEXT) | instid1(VALU_DEP_1)
	v_xor_b32_e32 v16, v16, v6
	v_cmp_le_u32_e64 s4, v16, v7
	s_and_saveexec_b32 s7, s4
	s_wait_alu 0xfffe
	s_xor_b32 s4, exec_lo, s7
; %bb.21:
	v_add_f32_e32 v6, 0, v5
                                        ; implicit-def: $vgpr32_vgpr33_vgpr34_vgpr35_vgpr36_vgpr37_vgpr38_vgpr39
	s_delay_alu instid0(VALU_DEP_1) | instskip(NEXT) | instid1(VALU_DEP_1)
	v_ashrrev_i32_e32 v7, 31, v6
	v_or_b32_e32 v7, 0x80000000, v7
	s_delay_alu instid0(VALU_DEP_1)
	v_xor_b32_e32 v54, v7, v6
                                        ; implicit-def: $vgpr7
; %bb.22:
	s_wait_alu 0xfffe
	s_or_saveexec_b32 s4, s4
	v_dual_mov_b32 v31, v23 :: v_dual_mov_b32 v6, v17
	s_wait_alu 0xfffe
	s_xor_b32 exec_lo, exec_lo, s4
	s_cbranch_execz .LBB1453_24
; %bb.23:
	v_dual_mov_b32 v34, v28 :: v_dual_mov_b32 v35, v29
	v_dual_mov_b32 v36, v26 :: v_dual_mov_b32 v37, v27
	;; [unrolled: 1-line block ×4, first 2 shown]
	s_delay_alu instid0(VALU_DEP_4) | instskip(NEXT) | instid1(VALU_DEP_4)
	v_dual_mov_b32 v26, v34 :: v_dual_mov_b32 v27, v35
	v_dual_mov_b32 v28, v36 :: v_dual_mov_b32 v29, v37
	s_delay_alu instid0(VALU_DEP_4)
	v_dual_mov_b32 v30, v38 :: v_dual_mov_b32 v31, v39
	v_mov_b32_e32 v54, v16
	v_dual_mov_b32 v6, v5 :: v_dual_mov_b32 v5, v17
	v_mov_b32_e32 v16, v7
.LBB1453_24:
	s_or_b32 exec_lo, exec_lo, s4
	v_cndmask_b32_e64 v7, v53, v52, s3
	v_add_f32_e32 v18, 0, v11
	v_dual_mov_b32 v22, v30 :: v_dual_mov_b32 v23, v31
	s_mov_b32 s7, exec_lo
	s_delay_alu instid0(VALU_DEP_3) | instskip(NEXT) | instid1(VALU_DEP_3)
	v_add_f32_e32 v17, 0, v7
	v_ashrrev_i32_e32 v20, 31, v18
	s_delay_alu instid0(VALU_DEP_1) | instskip(SKIP_1) | instid1(VALU_DEP_4)
	v_or_b32_e32 v21, 0x80000000, v20
	v_mov_b32_e32 v20, v28
	v_ashrrev_i32_e32 v19, 31, v17
	s_delay_alu instid0(VALU_DEP_3) | instskip(SKIP_1) | instid1(VALU_DEP_3)
	v_xor_b32_e32 v32, v21, v18
	v_mov_b32_e32 v21, v29
	v_or_b32_e32 v19, 0x80000000, v19
	s_delay_alu instid0(VALU_DEP_1) | instskip(NEXT) | instid1(VALU_DEP_1)
	v_xor_b32_e32 v17, v19, v17
	v_cmp_gt_u32_e64 s3, v17, v16
	s_wait_alu 0xf1ff
	s_delay_alu instid0(VALU_DEP_1)
	v_cndmask_b32_e64 v19, v27, v25, s3
	v_cndmask_b32_e64 v18, v26, v24, s3
	;; [unrolled: 1-line block ×4, first 2 shown]
	v_mov_b32_e32 v24, v5
	v_cmpx_gt_u32_e64 v54, v32
; %bb.25:
	v_dual_mov_b32 v20, v30 :: v_dual_mov_b32 v21, v31
	v_dual_mov_b32 v22, v28 :: v_dual_mov_b32 v23, v29
	;; [unrolled: 1-line block ×3, first 2 shown]
	v_mov_b32_e32 v54, v32
; %bb.26:
	s_wait_alu 0xfffe
	s_or_b32 exec_lo, exec_lo, s7
	v_cndmask_b32_e64 v52, v6, v7, s3
	s_mov_b32 s7, exec_lo
	s_delay_alu instid0(VALU_DEP_1) | instskip(NEXT) | instid1(VALU_DEP_1)
	v_dual_mov_b32 v30, v24 :: v_dual_add_f32 v5, 0, v52
	v_ashrrev_i32_e32 v25, 31, v5
	s_delay_alu instid0(VALU_DEP_1) | instskip(NEXT) | instid1(VALU_DEP_1)
	v_or_b32_e32 v25, 0x80000000, v25
	v_xor_b32_e32 v5, v25, v5
	s_delay_alu instid0(VALU_DEP_1)
	v_cmpx_gt_u32_e64 v5, v54
	s_cbranch_execz .LBB1453_28
; %bb.27:
	v_dual_mov_b32 v25, v16 :: v_dual_mov_b32 v26, v17
	v_dual_mov_b32 v27, v20 :: v_dual_mov_b32 v28, v21
	;; [unrolled: 1-line block ×4, first 2 shown]
	s_delay_alu instid0(VALU_DEP_4) | instskip(NEXT) | instid1(VALU_DEP_4)
	v_dual_mov_b32 v16, v25 :: v_dual_mov_b32 v17, v26
	v_dual_mov_b32 v18, v27 :: v_dual_mov_b32 v19, v28
	s_delay_alu instid0(VALU_DEP_4) | instskip(NEXT) | instid1(VALU_DEP_4)
	v_dual_mov_b32 v20, v29 :: v_dual_mov_b32 v21, v30
	v_dual_mov_b32 v22, v31 :: v_dual_mov_b32 v23, v32
	v_mov_b32_e32 v30, v52
	v_mov_b32_e32 v52, v24
.LBB1453_28:
	s_wait_alu 0xfffe
	s_or_b32 exec_lo, exec_lo, s7
	v_cndmask_b32_e64 v53, v7, v6, s3
.LBB1453_29:
	s_wait_alu 0xfffe
	s_or_b32 exec_lo, exec_lo, s5
	v_dual_mov_b32 v5, 0 :: v_dual_and_b32 v4, 0xffffff80, v4
	v_or_b32_e32 v7, 4, v51
	v_and_b32_e32 v33, 0x78, v51
	s_mov_b32 s4, exec_lo
	s_delay_alu instid0(VALU_DEP_3) | instskip(SKIP_1) | instid1(VALU_DEP_2)
	v_sub_nc_u32_e64 v6, 0x400, v4 clamp
	v_lshlrev_b64_e32 v[4:5], 2, v[4:5]
	v_min_u32_e32 v31, v6, v7
	s_delay_alu instid0(VALU_DEP_2) | instskip(SKIP_1) | instid1(VALU_DEP_3)
	v_add_co_u32 v5, null, v15, v4
	v_and_b32_e32 v15, 4, v51
	v_add_nc_u32_e32 v7, 4, v31
	v_sub_nc_u32_e32 v24, v31, v33
	s_delay_alu instid0(VALU_DEP_4) | instskip(NEXT) | instid1(VALU_DEP_4)
	v_add_co_u32 v4, null, v5, v4
	v_min_u32_e32 v34, v6, v15
	s_delay_alu instid0(VALU_DEP_4) | instskip(SKIP_1) | instid1(VALU_DEP_4)
	v_min_u32_e32 v32, v6, v7
	v_lshl_add_u32 v7, v51, 2, v5
	v_lshl_add_u32 v29, v51, 3, v4
	s_delay_alu instid0(VALU_DEP_3) | instskip(NEXT) | instid1(VALU_DEP_2)
	v_sub_nc_u32_e32 v15, v32, v31
	v_add_nc_u32_e32 v25, 0x1000, v29
	s_wait_loadcnt_dscnt 0x0
	ds_store_2addr_b32 v7, v53, v52 offset1:1
	ds_store_2addr_b64 v25, v[16:17], v[18:19] offset1:1
	ds_store_2addr_b32 v7, v30, v11 offset0:2 offset1:3
	ds_store_2addr_b64 v25, v[20:21], v[22:23] offset0:2 offset1:3
	v_sub_nc_u32_e64 v35, v34, v15 clamp
	v_min_u32_e32 v15, v34, v24
	; wave barrier
	s_delay_alu instid0(VALU_DEP_1)
	v_cmpx_lt_u32_e64 v35, v15
	s_cbranch_execz .LBB1453_33
; %bb.30:
	v_lshlrev_b32_e32 v24, 2, v33
	v_lshlrev_b32_e32 v25, 2, v31
	s_mov_b32 s5, 0
	s_delay_alu instid0(VALU_DEP_2) | instskip(NEXT) | instid1(VALU_DEP_2)
	v_add_co_u32 v24, null, v5, v24
	v_add_co_u32 v25, null, v5, v25
.LBB1453_31:                            ; =>This Inner Loop Header: Depth=1
	v_add_nc_u32_e32 v26, v15, v35
	s_delay_alu instid0(VALU_DEP_1) | instskip(NEXT) | instid1(VALU_DEP_1)
	v_lshrrev_b32_e32 v26, 1, v26
	v_xad_u32 v27, v26, -1, v34
	v_lshl_add_u32 v28, v26, 2, v24
	s_delay_alu instid0(VALU_DEP_2) | instskip(SKIP_4) | instid1(VALU_DEP_1)
	v_lshl_add_u32 v27, v27, 2, v25
	ds_load_b32 v28, v28
	ds_load_b32 v27, v27
	s_wait_dscnt 0x0
	v_dual_add_f32 v28, 0, v28 :: v_dual_add_f32 v27, 0, v27
	v_ashrrev_i32_e32 v36, 31, v28
	s_delay_alu instid0(VALU_DEP_2) | instskip(NEXT) | instid1(VALU_DEP_2)
	v_ashrrev_i32_e32 v37, 31, v27
	v_or_b32_e32 v36, 0x80000000, v36
	s_delay_alu instid0(VALU_DEP_2) | instskip(NEXT) | instid1(VALU_DEP_2)
	v_or_b32_e32 v37, 0x80000000, v37
	v_xor_b32_e32 v28, v36, v28
	s_delay_alu instid0(VALU_DEP_2) | instskip(SKIP_1) | instid1(VALU_DEP_2)
	v_xor_b32_e32 v27, v37, v27
	v_add_nc_u32_e32 v36, 1, v26
	v_cmp_gt_u32_e64 s3, v28, v27
	s_wait_alu 0xf1ff
	s_delay_alu instid0(VALU_DEP_1) | instskip(NEXT) | instid1(VALU_DEP_3)
	v_cndmask_b32_e64 v15, v15, v26, s3
	v_cndmask_b32_e64 v35, v36, v35, s3
	s_delay_alu instid0(VALU_DEP_1)
	v_cmp_ge_u32_e64 s3, v35, v15
	s_wait_alu 0xfffe
	s_or_b32 s5, s3, s5
	s_wait_alu 0xfffe
	s_and_not1_b32 exec_lo, exec_lo, s5
	s_cbranch_execnz .LBB1453_31
; %bb.32:
	s_or_b32 exec_lo, exec_lo, s5
.LBB1453_33:
	s_wait_alu 0xfffe
	s_or_b32 exec_lo, exec_lo, s4
	v_add_nc_u32_e32 v36, v31, v34
	v_add_nc_u32_e32 v34, v35, v33
	;; [unrolled: 1-line block ×5, first 2 shown]
	v_sub_nc_u32_e32 v35, v36, v35
	v_cmp_le_u32_e64 s3, v34, v31
	v_add_nc_u32_e32 v25, 8, v7
	v_add_nc_u32_e32 v28, 0x1010, v29
	;; [unrolled: 1-line block ×3, first 2 shown]
	v_cmp_le_u32_e64 s4, v35, v32
	v_add_nc_u32_e32 v29, 0x1018, v29
	s_or_b32 s3, s3, s4
	s_wait_alu 0xfffe
	s_and_saveexec_b32 s5, s3
	s_cbranch_execz .LBB1453_53
; %bb.34:
	v_cmp_ge_u32_e64 s3, v34, v31
	s_mov_b32 s7, exec_lo
                                        ; implicit-def: $vgpr11
	v_cmpx_lt_u32_e64 v34, v31
; %bb.35:
	v_lshl_add_u32 v11, v34, 2, v5
	ds_load_b32 v11, v11
; %bb.36:
	s_wait_alu 0xfffe
	s_or_b32 exec_lo, exec_lo, s7
	v_cmp_ge_u32_e64 s7, v35, v32
	s_mov_b32 s10, exec_lo
                                        ; implicit-def: $vgpr33
	v_cmpx_lt_u32_e64 v35, v32
; %bb.37:
	v_lshl_add_u32 v16, v35, 2, v5
	ds_load_b32 v33, v16
; %bb.38:
	s_wait_alu 0xfffe
	s_or_b32 exec_lo, exec_lo, s10
	s_nor_b32 s3, s3, s7
	s_wait_alu 0xfffe
	s_and_saveexec_b32 s4, s3
	s_cbranch_execz .LBB1453_40
; %bb.39:
	s_wait_dscnt 0x0
	v_dual_add_f32 v16, 0, v11 :: v_dual_add_f32 v17, 0, v33
	s_and_not1_b32 s7, s7, exec_lo
	s_delay_alu instid0(VALU_DEP_1) | instskip(NEXT) | instid1(VALU_DEP_2)
	v_ashrrev_i32_e32 v18, 31, v16
	v_ashrrev_i32_e32 v19, 31, v17
	s_delay_alu instid0(VALU_DEP_2) | instskip(NEXT) | instid1(VALU_DEP_2)
	v_or_b32_e32 v18, 0x80000000, v18
	v_or_b32_e32 v19, 0x80000000, v19
	s_delay_alu instid0(VALU_DEP_2) | instskip(NEXT) | instid1(VALU_DEP_2)
	v_xor_b32_e32 v16, v18, v16
	v_xor_b32_e32 v17, v19, v17
	s_delay_alu instid0(VALU_DEP_1)
	v_cmp_le_u32_e64 s3, v16, v17
	s_and_b32 s3, s3, exec_lo
	s_wait_alu 0xfffe
	s_or_b32 s7, s7, s3
.LBB1453_40:
	s_wait_alu 0xfffe
	s_or_b32 exec_lo, exec_lo, s4
	v_cndmask_b32_e64 v16, v35, v34, s7
	v_cndmask_b32_e64 v17, v32, v31, s7
	s_mov_b32 s10, -1
	s_mov_b32 s4, -1
	s_mov_b32 s11, exec_lo
	v_add_nc_u32_e32 v18, 1, v16
	v_add_nc_u32_e32 v17, -1, v17
	v_lshl_add_u32 v16, v16, 3, v4
	s_delay_alu instid0(VALU_DEP_3) | instskip(NEXT) | instid1(VALU_DEP_3)
	v_cndmask_b32_e64 v20, v18, v35, s7
	v_min_u32_e32 v17, v18, v17
	v_cndmask_b32_e64 v21, v34, v18, s7
	s_delay_alu instid0(VALU_DEP_2)
	v_lshl_add_u32 v17, v17, 2, v5
	ds_load_b32 v19, v17
	ds_load_b64 v[16:17], v16 offset:4096
	s_wait_dscnt 0x1
	v_cndmask_b32_e64 v34, v19, v33, s7
	v_cndmask_b32_e64 v35, v11, v19, s7
	v_cmpx_lt_u32_e64 v20, v32
	s_cbranch_execz .LBB1453_44
; %bb.41:
	s_mov_b32 s12, 0
	s_mov_b32 s4, exec_lo
	v_cmpx_lt_u32_e64 v21, v31
	s_cbranch_execz .LBB1453_43
; %bb.42:
	v_dual_add_f32 v18, 0, v35 :: v_dual_add_f32 v19, 0, v34
	s_delay_alu instid0(VALU_DEP_1) | instskip(NEXT) | instid1(VALU_DEP_2)
	v_ashrrev_i32_e32 v22, 31, v18
	v_ashrrev_i32_e32 v23, 31, v19
	s_delay_alu instid0(VALU_DEP_2) | instskip(NEXT) | instid1(VALU_DEP_2)
	v_or_b32_e32 v22, 0x80000000, v22
	v_or_b32_e32 v23, 0x80000000, v23
	s_delay_alu instid0(VALU_DEP_2) | instskip(NEXT) | instid1(VALU_DEP_2)
	v_xor_b32_e32 v18, v22, v18
	v_xor_b32_e32 v19, v23, v19
	s_delay_alu instid0(VALU_DEP_1)
	v_cmp_le_u32_e64 s3, v18, v19
	s_and_b32 s12, s3, exec_lo
.LBB1453_43:
	s_wait_alu 0xfffe
	s_or_b32 exec_lo, exec_lo, s4
	s_delay_alu instid0(SALU_CYCLE_1)
	s_or_not1_b32 s4, s12, exec_lo
.LBB1453_44:
	s_wait_alu 0xfffe
	s_or_b32 exec_lo, exec_lo, s11
	v_cndmask_b32_e64 v18, v20, v21, s4
	v_cndmask_b32_e64 v19, v32, v31, s4
	s_mov_b32 s11, exec_lo
	s_delay_alu instid0(VALU_DEP_2) | instskip(NEXT) | instid1(VALU_DEP_2)
	v_add_nc_u32_e32 v23, 1, v18
	v_add_nc_u32_e32 v19, -1, v19
	v_lshl_add_u32 v18, v18, 3, v4
	s_delay_alu instid0(VALU_DEP_3) | instskip(NEXT) | instid1(VALU_DEP_3)
	v_cndmask_b32_e64 v22, v23, v20, s4
	v_min_u32_e32 v19, v23, v19
	v_cndmask_b32_e64 v23, v21, v23, s4
	s_delay_alu instid0(VALU_DEP_2)
	v_lshl_add_u32 v19, v19, 2, v5
	ds_load_b32 v36, v19
	ds_load_b64 v[18:19], v18 offset:4096
	s_wait_dscnt 0x1
	v_cndmask_b32_e64 v30, v36, v34, s4
	v_cndmask_b32_e64 v36, v35, v36, s4
	v_cmpx_lt_u32_e64 v22, v32
	s_cbranch_execz .LBB1453_48
; %bb.45:
	s_mov_b32 s12, 0
	s_mov_b32 s10, exec_lo
	v_cmpx_lt_u32_e64 v23, v31
	s_cbranch_execz .LBB1453_47
; %bb.46:
	v_dual_add_f32 v20, 0, v36 :: v_dual_add_f32 v21, 0, v30
	s_delay_alu instid0(VALU_DEP_1) | instskip(NEXT) | instid1(VALU_DEP_2)
	v_ashrrev_i32_e32 v37, 31, v20
	v_ashrrev_i32_e32 v38, 31, v21
	s_delay_alu instid0(VALU_DEP_2) | instskip(NEXT) | instid1(VALU_DEP_2)
	v_or_b32_e32 v37, 0x80000000, v37
	v_or_b32_e32 v38, 0x80000000, v38
	s_delay_alu instid0(VALU_DEP_2) | instskip(NEXT) | instid1(VALU_DEP_2)
	v_xor_b32_e32 v20, v37, v20
	v_xor_b32_e32 v21, v38, v21
	s_delay_alu instid0(VALU_DEP_1)
	v_cmp_le_u32_e64 s3, v20, v21
	s_and_b32 s12, s3, exec_lo
.LBB1453_47:
	s_wait_alu 0xfffe
	s_or_b32 exec_lo, exec_lo, s10
	s_delay_alu instid0(SALU_CYCLE_1)
	s_or_not1_b32 s10, s12, exec_lo
.LBB1453_48:
	s_wait_alu 0xfffe
	s_or_b32 exec_lo, exec_lo, s11
	v_cndmask_b32_e64 v20, v22, v23, s10
	v_cndmask_b32_e64 v21, v32, v31, s10
	s_mov_b32 s12, -1
	s_mov_b32 s11, exec_lo
	s_delay_alu instid0(VALU_DEP_2) | instskip(NEXT) | instid1(VALU_DEP_2)
	v_add_nc_u32_e32 v37, 1, v20
	v_add_nc_u32_e32 v21, -1, v21
	v_lshl_add_u32 v20, v20, 3, v4
	s_delay_alu instid0(VALU_DEP_3) | instskip(NEXT) | instid1(VALU_DEP_3)
	v_cndmask_b32_e64 v22, v37, v22, s10
	v_min_u32_e32 v21, v37, v21
	v_cndmask_b32_e64 v23, v23, v37, s10
	s_delay_alu instid0(VALU_DEP_2)
	v_lshl_add_u32 v21, v21, 2, v5
	ds_load_b32 v38, v21
	ds_load_b64 v[20:21], v20 offset:4096
	s_wait_dscnt 0x1
	v_cndmask_b32_e64 v37, v38, v30, s10
	v_cndmask_b32_e64 v38, v36, v38, s10
	v_cmpx_lt_u32_e64 v22, v32
	s_cbranch_execz .LBB1453_52
; %bb.49:
	s_mov_b32 s13, 0
	s_mov_b32 s12, exec_lo
	v_cmpx_lt_u32_e64 v23, v31
	s_cbranch_execz .LBB1453_51
; %bb.50:
	v_dual_add_f32 v31, 0, v38 :: v_dual_add_f32 v32, 0, v37
	s_delay_alu instid0(VALU_DEP_1) | instskip(NEXT) | instid1(VALU_DEP_2)
	v_ashrrev_i32_e32 v39, 31, v31
	v_ashrrev_i32_e32 v52, 31, v32
	s_delay_alu instid0(VALU_DEP_2) | instskip(NEXT) | instid1(VALU_DEP_2)
	v_or_b32_e32 v39, 0x80000000, v39
	v_or_b32_e32 v52, 0x80000000, v52
	s_delay_alu instid0(VALU_DEP_2) | instskip(NEXT) | instid1(VALU_DEP_2)
	v_xor_b32_e32 v31, v39, v31
	v_xor_b32_e32 v32, v52, v32
	s_delay_alu instid0(VALU_DEP_1)
	v_cmp_le_u32_e64 s3, v31, v32
	s_and_b32 s13, s3, exec_lo
.LBB1453_51:
	s_wait_alu 0xfffe
	s_or_b32 exec_lo, exec_lo, s12
	s_delay_alu instid0(SALU_CYCLE_1)
	s_or_not1_b32 s12, s13, exec_lo
.LBB1453_52:
	s_wait_alu 0xfffe
	s_or_b32 exec_lo, exec_lo, s11
	v_cndmask_b32_e64 v22, v22, v23, s12
	v_cndmask_b32_e64 v30, v30, v36, s10
	;; [unrolled: 1-line block ×5, first 2 shown]
	v_lshl_add_u32 v22, v22, 3, v4
	ds_load_b64 v[22:23], v22 offset:4096
.LBB1453_53:
	s_wait_alu 0xfffe
	s_or_b32 exec_lo, exec_lo, s5
	v_and_b32_e32 v33, 0x70, v51
	v_and_b32_e32 v34, 12, v51
	s_mov_b32 s4, exec_lo
	; wave barrier
	s_delay_alu instid0(VALU_DEP_2) | instskip(NEXT) | instid1(VALU_DEP_2)
	v_or_b32_e32 v31, 8, v33
	v_min_u32_e32 v34, v6, v34
	ds_store_b32 v7, v53
	ds_store_b64 v27, v[16:17]
	ds_store_b32 v15, v52
	ds_store_b64 v24, v[18:19]
	ds_store_b32 v25, v30
	s_wait_dscnt 0x6
	ds_store_b64 v28, v[20:21]
	ds_store_b32 v26, v11
	s_wait_dscnt 0x7
	ds_store_b64 v29, v[22:23]
	v_min_u32_e32 v31, v6, v31
	; wave barrier
	s_delay_alu instid0(VALU_DEP_1) | instskip(SKIP_1) | instid1(VALU_DEP_2)
	v_add_nc_u32_e32 v32, 8, v31
	v_sub_nc_u32_e32 v36, v31, v33
	v_min_u32_e32 v32, v6, v32
	s_delay_alu instid0(VALU_DEP_2) | instskip(NEXT) | instid1(VALU_DEP_2)
	v_min_u32_e32 v36, v34, v36
	v_sub_nc_u32_e32 v35, v32, v31
	s_delay_alu instid0(VALU_DEP_1) | instskip(NEXT) | instid1(VALU_DEP_1)
	v_sub_nc_u32_e64 v35, v34, v35 clamp
	v_cmpx_lt_u32_e64 v35, v36
	s_cbranch_execz .LBB1453_57
; %bb.54:
	v_lshlrev_b32_e32 v37, 2, v33
	v_lshlrev_b32_e32 v38, 2, v31
	s_mov_b32 s5, 0
	s_delay_alu instid0(VALU_DEP_2) | instskip(NEXT) | instid1(VALU_DEP_2)
	v_add_co_u32 v37, null, v5, v37
	v_add_co_u32 v38, null, v5, v38
.LBB1453_55:                            ; =>This Inner Loop Header: Depth=1
	v_add_nc_u32_e32 v39, v36, v35
	s_delay_alu instid0(VALU_DEP_1) | instskip(NEXT) | instid1(VALU_DEP_1)
	v_lshrrev_b32_e32 v39, 1, v39
	v_xad_u32 v54, v39, -1, v34
	v_lshl_add_u32 v55, v39, 2, v37
	s_delay_alu instid0(VALU_DEP_2) | instskip(SKIP_4) | instid1(VALU_DEP_1)
	v_lshl_add_u32 v54, v54, 2, v38
	ds_load_b32 v55, v55
	ds_load_b32 v54, v54
	s_wait_dscnt 0x0
	v_dual_add_f32 v55, 0, v55 :: v_dual_add_f32 v54, 0, v54
	v_ashrrev_i32_e32 v64, 31, v55
	s_delay_alu instid0(VALU_DEP_2) | instskip(NEXT) | instid1(VALU_DEP_2)
	v_ashrrev_i32_e32 v65, 31, v54
	v_or_b32_e32 v64, 0x80000000, v64
	s_delay_alu instid0(VALU_DEP_2) | instskip(NEXT) | instid1(VALU_DEP_2)
	v_or_b32_e32 v65, 0x80000000, v65
	v_xor_b32_e32 v55, v64, v55
	s_delay_alu instid0(VALU_DEP_2) | instskip(SKIP_1) | instid1(VALU_DEP_2)
	v_xor_b32_e32 v54, v65, v54
	v_add_nc_u32_e32 v64, 1, v39
	v_cmp_gt_u32_e64 s3, v55, v54
	s_wait_alu 0xf1ff
	s_delay_alu instid0(VALU_DEP_1) | instskip(NEXT) | instid1(VALU_DEP_3)
	v_cndmask_b32_e64 v36, v36, v39, s3
	v_cndmask_b32_e64 v35, v64, v35, s3
	s_delay_alu instid0(VALU_DEP_1)
	v_cmp_ge_u32_e64 s3, v35, v36
	s_wait_alu 0xfffe
	s_or_b32 s5, s3, s5
	s_wait_alu 0xfffe
	s_and_not1_b32 exec_lo, exec_lo, s5
	s_cbranch_execnz .LBB1453_55
; %bb.56:
	s_or_b32 exec_lo, exec_lo, s5
.LBB1453_57:
	s_wait_alu 0xfffe
	s_or_b32 exec_lo, exec_lo, s4
	v_add_nc_u32_e32 v36, v31, v34
	v_add_nc_u32_e32 v34, v35, v33
	s_delay_alu instid0(VALU_DEP_2) | instskip(NEXT) | instid1(VALU_DEP_2)
	v_sub_nc_u32_e32 v35, v36, v35
	v_cmp_le_u32_e64 s3, v34, v31
	s_delay_alu instid0(VALU_DEP_2)
	v_cmp_le_u32_e64 s4, v35, v32
	s_or_b32 s3, s3, s4
	s_wait_alu 0xfffe
	s_and_saveexec_b32 s5, s3
	s_cbranch_execz .LBB1453_77
; %bb.58:
	v_cmp_ge_u32_e64 s3, v34, v31
	s_mov_b32 s7, exec_lo
                                        ; implicit-def: $vgpr11
	v_cmpx_lt_u32_e64 v34, v31
; %bb.59:
	v_lshl_add_u32 v11, v34, 2, v5
	ds_load_b32 v11, v11
; %bb.60:
	s_wait_alu 0xfffe
	s_or_b32 exec_lo, exec_lo, s7
	v_cmp_ge_u32_e64 s7, v35, v32
	s_mov_b32 s10, exec_lo
                                        ; implicit-def: $vgpr33
	v_cmpx_lt_u32_e64 v35, v32
; %bb.61:
	v_lshl_add_u32 v16, v35, 2, v5
	ds_load_b32 v33, v16
; %bb.62:
	s_wait_alu 0xfffe
	s_or_b32 exec_lo, exec_lo, s10
	s_nor_b32 s3, s3, s7
	s_wait_alu 0xfffe
	s_and_saveexec_b32 s4, s3
	s_cbranch_execz .LBB1453_64
; %bb.63:
	s_wait_dscnt 0x0
	v_dual_add_f32 v16, 0, v11 :: v_dual_add_f32 v17, 0, v33
	s_and_not1_b32 s7, s7, exec_lo
	s_delay_alu instid0(VALU_DEP_1) | instskip(NEXT) | instid1(VALU_DEP_2)
	v_ashrrev_i32_e32 v18, 31, v16
	v_ashrrev_i32_e32 v19, 31, v17
	s_delay_alu instid0(VALU_DEP_2) | instskip(NEXT) | instid1(VALU_DEP_2)
	v_or_b32_e32 v18, 0x80000000, v18
	v_or_b32_e32 v19, 0x80000000, v19
	s_delay_alu instid0(VALU_DEP_2) | instskip(NEXT) | instid1(VALU_DEP_2)
	v_xor_b32_e32 v16, v18, v16
	v_xor_b32_e32 v17, v19, v17
	s_delay_alu instid0(VALU_DEP_1)
	v_cmp_le_u32_e64 s3, v16, v17
	s_and_b32 s3, s3, exec_lo
	s_wait_alu 0xfffe
	s_or_b32 s7, s7, s3
.LBB1453_64:
	s_wait_alu 0xfffe
	s_or_b32 exec_lo, exec_lo, s4
	v_cndmask_b32_e64 v16, v35, v34, s7
	v_cndmask_b32_e64 v17, v32, v31, s7
	s_mov_b32 s10, -1
	s_mov_b32 s4, -1
	s_mov_b32 s11, exec_lo
	v_add_nc_u32_e32 v18, 1, v16
	v_add_nc_u32_e32 v17, -1, v17
	v_lshl_add_u32 v16, v16, 3, v4
	s_delay_alu instid0(VALU_DEP_3) | instskip(NEXT) | instid1(VALU_DEP_3)
	v_cndmask_b32_e64 v20, v18, v35, s7
	v_min_u32_e32 v17, v18, v17
	v_cndmask_b32_e64 v21, v34, v18, s7
	s_delay_alu instid0(VALU_DEP_2)
	v_lshl_add_u32 v17, v17, 2, v5
	ds_load_b32 v19, v17
	ds_load_b64 v[16:17], v16 offset:4096
	s_wait_dscnt 0x1
	v_cndmask_b32_e64 v34, v19, v33, s7
	v_cndmask_b32_e64 v35, v11, v19, s7
	v_cmpx_lt_u32_e64 v20, v32
	s_cbranch_execz .LBB1453_68
; %bb.65:
	s_mov_b32 s12, 0
	s_mov_b32 s4, exec_lo
	v_cmpx_lt_u32_e64 v21, v31
	s_cbranch_execz .LBB1453_67
; %bb.66:
	v_dual_add_f32 v18, 0, v35 :: v_dual_add_f32 v19, 0, v34
	s_delay_alu instid0(VALU_DEP_1) | instskip(NEXT) | instid1(VALU_DEP_2)
	v_ashrrev_i32_e32 v22, 31, v18
	v_ashrrev_i32_e32 v23, 31, v19
	s_delay_alu instid0(VALU_DEP_2) | instskip(NEXT) | instid1(VALU_DEP_2)
	v_or_b32_e32 v22, 0x80000000, v22
	v_or_b32_e32 v23, 0x80000000, v23
	s_delay_alu instid0(VALU_DEP_2) | instskip(NEXT) | instid1(VALU_DEP_2)
	v_xor_b32_e32 v18, v22, v18
	v_xor_b32_e32 v19, v23, v19
	s_delay_alu instid0(VALU_DEP_1)
	v_cmp_le_u32_e64 s3, v18, v19
	s_and_b32 s12, s3, exec_lo
.LBB1453_67:
	s_wait_alu 0xfffe
	s_or_b32 exec_lo, exec_lo, s4
	s_delay_alu instid0(SALU_CYCLE_1)
	s_or_not1_b32 s4, s12, exec_lo
.LBB1453_68:
	s_wait_alu 0xfffe
	s_or_b32 exec_lo, exec_lo, s11
	v_cndmask_b32_e64 v18, v20, v21, s4
	v_cndmask_b32_e64 v19, v32, v31, s4
	s_mov_b32 s11, exec_lo
	s_delay_alu instid0(VALU_DEP_2) | instskip(NEXT) | instid1(VALU_DEP_2)
	v_add_nc_u32_e32 v23, 1, v18
	v_add_nc_u32_e32 v19, -1, v19
	v_lshl_add_u32 v18, v18, 3, v4
	s_delay_alu instid0(VALU_DEP_3) | instskip(NEXT) | instid1(VALU_DEP_3)
	v_cndmask_b32_e64 v22, v23, v20, s4
	v_min_u32_e32 v19, v23, v19
	v_cndmask_b32_e64 v23, v21, v23, s4
	s_delay_alu instid0(VALU_DEP_2)
	v_lshl_add_u32 v19, v19, 2, v5
	ds_load_b32 v36, v19
	ds_load_b64 v[18:19], v18 offset:4096
	s_wait_dscnt 0x1
	v_cndmask_b32_e64 v30, v36, v34, s4
	v_cndmask_b32_e64 v36, v35, v36, s4
	v_cmpx_lt_u32_e64 v22, v32
	s_cbranch_execz .LBB1453_72
; %bb.69:
	s_mov_b32 s12, 0
	s_mov_b32 s10, exec_lo
	v_cmpx_lt_u32_e64 v23, v31
	s_cbranch_execz .LBB1453_71
; %bb.70:
	v_dual_add_f32 v20, 0, v36 :: v_dual_add_f32 v21, 0, v30
	s_delay_alu instid0(VALU_DEP_1) | instskip(NEXT) | instid1(VALU_DEP_2)
	v_ashrrev_i32_e32 v37, 31, v20
	v_ashrrev_i32_e32 v38, 31, v21
	s_delay_alu instid0(VALU_DEP_2) | instskip(NEXT) | instid1(VALU_DEP_2)
	v_or_b32_e32 v37, 0x80000000, v37
	v_or_b32_e32 v38, 0x80000000, v38
	s_delay_alu instid0(VALU_DEP_2) | instskip(NEXT) | instid1(VALU_DEP_2)
	v_xor_b32_e32 v20, v37, v20
	v_xor_b32_e32 v21, v38, v21
	s_delay_alu instid0(VALU_DEP_1)
	v_cmp_le_u32_e64 s3, v20, v21
	s_and_b32 s12, s3, exec_lo
.LBB1453_71:
	s_wait_alu 0xfffe
	s_or_b32 exec_lo, exec_lo, s10
	s_delay_alu instid0(SALU_CYCLE_1)
	s_or_not1_b32 s10, s12, exec_lo
.LBB1453_72:
	s_wait_alu 0xfffe
	s_or_b32 exec_lo, exec_lo, s11
	v_cndmask_b32_e64 v20, v22, v23, s10
	v_cndmask_b32_e64 v21, v32, v31, s10
	s_mov_b32 s12, -1
	s_mov_b32 s11, exec_lo
	s_delay_alu instid0(VALU_DEP_2) | instskip(NEXT) | instid1(VALU_DEP_2)
	v_add_nc_u32_e32 v37, 1, v20
	v_add_nc_u32_e32 v21, -1, v21
	v_lshl_add_u32 v20, v20, 3, v4
	s_delay_alu instid0(VALU_DEP_3) | instskip(NEXT) | instid1(VALU_DEP_3)
	v_cndmask_b32_e64 v22, v37, v22, s10
	v_min_u32_e32 v21, v37, v21
	v_cndmask_b32_e64 v23, v23, v37, s10
	s_delay_alu instid0(VALU_DEP_2)
	v_lshl_add_u32 v21, v21, 2, v5
	ds_load_b32 v38, v21
	ds_load_b64 v[20:21], v20 offset:4096
	s_wait_dscnt 0x1
	v_cndmask_b32_e64 v37, v38, v30, s10
	v_cndmask_b32_e64 v38, v36, v38, s10
	v_cmpx_lt_u32_e64 v22, v32
	s_cbranch_execz .LBB1453_76
; %bb.73:
	s_mov_b32 s13, 0
	s_mov_b32 s12, exec_lo
	v_cmpx_lt_u32_e64 v23, v31
	s_cbranch_execz .LBB1453_75
; %bb.74:
	v_dual_add_f32 v31, 0, v38 :: v_dual_add_f32 v32, 0, v37
	s_delay_alu instid0(VALU_DEP_1) | instskip(NEXT) | instid1(VALU_DEP_2)
	v_ashrrev_i32_e32 v39, 31, v31
	v_ashrrev_i32_e32 v52, 31, v32
	s_delay_alu instid0(VALU_DEP_2) | instskip(NEXT) | instid1(VALU_DEP_2)
	v_or_b32_e32 v39, 0x80000000, v39
	v_or_b32_e32 v52, 0x80000000, v52
	s_delay_alu instid0(VALU_DEP_2) | instskip(NEXT) | instid1(VALU_DEP_2)
	v_xor_b32_e32 v31, v39, v31
	v_xor_b32_e32 v32, v52, v32
	s_delay_alu instid0(VALU_DEP_1)
	v_cmp_le_u32_e64 s3, v31, v32
	s_and_b32 s13, s3, exec_lo
.LBB1453_75:
	s_wait_alu 0xfffe
	s_or_b32 exec_lo, exec_lo, s12
	s_delay_alu instid0(SALU_CYCLE_1)
	s_or_not1_b32 s12, s13, exec_lo
.LBB1453_76:
	s_wait_alu 0xfffe
	s_or_b32 exec_lo, exec_lo, s11
	v_cndmask_b32_e64 v22, v22, v23, s12
	v_cndmask_b32_e64 v30, v30, v36, s10
	v_cndmask_b32_e64 v52, v34, v35, s4
	v_cndmask_b32_e64 v53, v33, v11, s7
	v_cndmask_b32_e64 v11, v37, v38, s12
	v_lshl_add_u32 v22, v22, 3, v4
	ds_load_b64 v[22:23], v22 offset:4096
.LBB1453_77:
	s_wait_alu 0xfffe
	s_or_b32 exec_lo, exec_lo, s5
	v_and_b32_e32 v33, 0x60, v51
	; wave barrier
	ds_store_b32 v7, v53
	ds_store_b64 v27, v[16:17]
	s_mov_b32 s4, exec_lo
	v_or_b32_e32 v31, 16, v33
	ds_store_b32 v15, v52
	ds_store_b64 v24, v[18:19]
	ds_store_b32 v25, v30
	s_wait_dscnt 0x6
	ds_store_b64 v28, v[20:21]
	ds_store_b32 v26, v11
	s_wait_dscnt 0x7
	ds_store_b64 v29, v[22:23]
	; wave barrier
	v_min_u32_e32 v31, v6, v31
	s_delay_alu instid0(VALU_DEP_1) | instskip(SKIP_1) | instid1(VALU_DEP_2)
	v_add_nc_u32_e32 v32, 16, v31
	v_sub_nc_u32_e32 v35, v31, v33
	v_min_u32_e32 v32, v6, v32
	v_min_u32_e32 v6, v6, v12
	s_delay_alu instid0(VALU_DEP_2) | instskip(NEXT) | instid1(VALU_DEP_2)
	v_sub_nc_u32_e32 v34, v32, v31
	v_min_u32_e32 v27, v6, v35
	s_delay_alu instid0(VALU_DEP_2) | instskip(NEXT) | instid1(VALU_DEP_1)
	v_sub_nc_u32_e64 v7, v6, v34 clamp
	v_cmpx_lt_u32_e64 v7, v27
	s_cbranch_execz .LBB1453_81
; %bb.78:
	v_lshlrev_b32_e32 v15, 2, v33
	v_lshlrev_b32_e32 v24, 2, v31
	s_mov_b32 s5, 0
	s_delay_alu instid0(VALU_DEP_2) | instskip(NEXT) | instid1(VALU_DEP_2)
	v_add_co_u32 v15, null, v5, v15
	v_add_co_u32 v24, null, v5, v24
.LBB1453_79:                            ; =>This Inner Loop Header: Depth=1
	v_add_nc_u32_e32 v25, v27, v7
	s_delay_alu instid0(VALU_DEP_1) | instskip(NEXT) | instid1(VALU_DEP_1)
	v_lshrrev_b32_e32 v25, 1, v25
	v_xad_u32 v26, v25, -1, v6
	v_lshl_add_u32 v28, v25, 2, v15
	s_delay_alu instid0(VALU_DEP_2)
	v_lshl_add_u32 v26, v26, 2, v24
	ds_load_b32 v28, v28
	ds_load_b32 v26, v26
	s_wait_dscnt 0x1
	v_add_f32_e32 v28, 0, v28
	s_wait_dscnt 0x0
	v_add_f32_e32 v26, 0, v26
	s_delay_alu instid0(VALU_DEP_2) | instskip(NEXT) | instid1(VALU_DEP_1)
	v_ashrrev_i32_e32 v29, 31, v28
	v_or_b32_e32 v29, 0x80000000, v29
	s_delay_alu instid0(VALU_DEP_1) | instskip(SKIP_2) | instid1(VALU_DEP_1)
	v_xor_b32_e32 v28, v29, v28
	v_add_nc_u32_e32 v29, 1, v25
	v_ashrrev_i32_e32 v34, 31, v26
	v_or_b32_e32 v34, 0x80000000, v34
	s_delay_alu instid0(VALU_DEP_1) | instskip(NEXT) | instid1(VALU_DEP_1)
	v_xor_b32_e32 v26, v34, v26
	v_cmp_gt_u32_e64 s3, v28, v26
	s_wait_alu 0xf1ff
	s_delay_alu instid0(VALU_DEP_1) | instskip(SKIP_1) | instid1(VALU_DEP_1)
	v_cndmask_b32_e64 v27, v27, v25, s3
	v_cndmask_b32_e64 v7, v29, v7, s3
	v_cmp_ge_u32_e64 s3, v7, v27
	s_wait_alu 0xfffe
	s_or_b32 s5, s3, s5
	s_wait_alu 0xfffe
	s_and_not1_b32 exec_lo, exec_lo, s5
	s_cbranch_execnz .LBB1453_79
; %bb.80:
	s_or_b32 exec_lo, exec_lo, s5
.LBB1453_81:
	s_wait_alu 0xfffe
	s_or_b32 exec_lo, exec_lo, s4
	v_add_nc_u32_e32 v6, v31, v6
	v_add_nc_u32_e32 v15, v7, v33
	s_delay_alu instid0(VALU_DEP_2) | instskip(NEXT) | instid1(VALU_DEP_2)
	v_sub_nc_u32_e32 v24, v6, v7
	v_cmp_le_u32_e64 s3, v15, v31
	s_delay_alu instid0(VALU_DEP_2)
	v_cmp_le_u32_e64 s4, v24, v32
	s_or_b32 s3, s3, s4
	s_wait_alu 0xfffe
	s_and_saveexec_b32 s5, s3
	s_cbranch_execz .LBB1453_101
; %bb.82:
	v_cmp_ge_u32_e64 s3, v15, v31
	s_mov_b32 s7, exec_lo
                                        ; implicit-def: $vgpr6
	v_cmpx_lt_u32_e64 v15, v31
; %bb.83:
	v_lshl_add_u32 v6, v15, 2, v5
	ds_load_b32 v6, v6
; %bb.84:
	s_wait_alu 0xfffe
	s_or_b32 exec_lo, exec_lo, s7
	v_cmp_ge_u32_e64 s7, v24, v32
	s_mov_b32 s10, exec_lo
                                        ; implicit-def: $vgpr7
	v_cmpx_lt_u32_e64 v24, v32
; %bb.85:
	v_lshl_add_u32 v7, v24, 2, v5
	ds_load_b32 v7, v7
; %bb.86:
	s_wait_alu 0xfffe
	s_or_b32 exec_lo, exec_lo, s10
	s_nor_b32 s3, s3, s7
	s_wait_alu 0xfffe
	s_and_saveexec_b32 s4, s3
	s_cbranch_execz .LBB1453_88
; %bb.87:
	s_wait_dscnt 0x0
	v_dual_add_f32 v11, 0, v6 :: v_dual_add_f32 v16, 0, v7
	s_and_not1_b32 s7, s7, exec_lo
	s_delay_alu instid0(VALU_DEP_1) | instskip(NEXT) | instid1(VALU_DEP_2)
	v_ashrrev_i32_e32 v17, 31, v11
	v_ashrrev_i32_e32 v18, 31, v16
	s_delay_alu instid0(VALU_DEP_2) | instskip(NEXT) | instid1(VALU_DEP_2)
	v_or_b32_e32 v17, 0x80000000, v17
	v_or_b32_e32 v18, 0x80000000, v18
	s_delay_alu instid0(VALU_DEP_2) | instskip(NEXT) | instid1(VALU_DEP_2)
	v_xor_b32_e32 v11, v17, v11
	v_xor_b32_e32 v16, v18, v16
	s_delay_alu instid0(VALU_DEP_1)
	v_cmp_le_u32_e64 s3, v11, v16
	s_and_b32 s3, s3, exec_lo
	s_wait_alu 0xfffe
	s_or_b32 s7, s7, s3
.LBB1453_88:
	s_wait_alu 0xfffe
	s_or_b32 exec_lo, exec_lo, s4
	v_cndmask_b32_e64 v11, v24, v15, s7
	v_cndmask_b32_e64 v16, v32, v31, s7
	s_mov_b32 s10, -1
	s_mov_b32 s4, -1
	s_mov_b32 s11, exec_lo
	v_add_nc_u32_e32 v18, 1, v11
	v_add_nc_u32_e32 v16, -1, v16
	v_lshl_add_u32 v11, v11, 3, v4
	s_delay_alu instid0(VALU_DEP_3) | instskip(NEXT) | instid1(VALU_DEP_3)
	v_cndmask_b32_e64 v20, v18, v24, s7
	v_min_u32_e32 v16, v18, v16
	v_cndmask_b32_e64 v21, v15, v18, s7
	s_delay_alu instid0(VALU_DEP_2)
	v_lshl_add_u32 v16, v16, 2, v5
	ds_load_b32 v19, v16
	ds_load_b64 v[16:17], v11 offset:4096
	s_wait_dscnt 0x1
	v_cndmask_b32_e64 v11, v19, v7, s7
	v_cndmask_b32_e64 v15, v6, v19, s7
	v_cmpx_lt_u32_e64 v20, v32
	s_cbranch_execz .LBB1453_92
; %bb.89:
	s_mov_b32 s12, 0
	s_mov_b32 s4, exec_lo
	v_cmpx_lt_u32_e64 v21, v31
	s_cbranch_execz .LBB1453_91
; %bb.90:
	v_add_f32_e32 v18, 0, v15
	v_add_f32_e32 v19, 0, v11
	s_delay_alu instid0(VALU_DEP_2) | instskip(NEXT) | instid1(VALU_DEP_2)
	v_ashrrev_i32_e32 v22, 31, v18
	v_ashrrev_i32_e32 v23, 31, v19
	s_delay_alu instid0(VALU_DEP_2) | instskip(NEXT) | instid1(VALU_DEP_2)
	v_or_b32_e32 v22, 0x80000000, v22
	v_or_b32_e32 v23, 0x80000000, v23
	s_delay_alu instid0(VALU_DEP_2) | instskip(NEXT) | instid1(VALU_DEP_2)
	v_xor_b32_e32 v18, v22, v18
	v_xor_b32_e32 v19, v23, v19
	s_delay_alu instid0(VALU_DEP_1)
	v_cmp_le_u32_e64 s3, v18, v19
	s_and_b32 s12, s3, exec_lo
.LBB1453_91:
	s_wait_alu 0xfffe
	s_or_b32 exec_lo, exec_lo, s4
	s_delay_alu instid0(SALU_CYCLE_1)
	s_or_not1_b32 s4, s12, exec_lo
.LBB1453_92:
	s_wait_alu 0xfffe
	s_or_b32 exec_lo, exec_lo, s11
	v_cndmask_b32_e64 v18, v20, v21, s4
	v_cndmask_b32_e64 v19, v32, v31, s4
	s_mov_b32 s11, exec_lo
	s_delay_alu instid0(VALU_DEP_2) | instskip(NEXT) | instid1(VALU_DEP_2)
	v_add_nc_u32_e32 v23, 1, v18
	v_add_nc_u32_e32 v19, -1, v19
	v_lshl_add_u32 v18, v18, 3, v4
	s_delay_alu instid0(VALU_DEP_3) | instskip(NEXT) | instid1(VALU_DEP_3)
	v_cndmask_b32_e64 v22, v23, v20, s4
	v_min_u32_e32 v19, v23, v19
	v_cndmask_b32_e64 v23, v21, v23, s4
	s_delay_alu instid0(VALU_DEP_2)
	v_lshl_add_u32 v19, v19, 2, v5
	ds_load_b32 v25, v19
	ds_load_b64 v[18:19], v18 offset:4096
	s_wait_dscnt 0x1
	v_cndmask_b32_e64 v24, v25, v11, s4
	v_cndmask_b32_e64 v25, v15, v25, s4
	v_cmpx_lt_u32_e64 v22, v32
	s_cbranch_execz .LBB1453_96
; %bb.93:
	s_mov_b32 s12, 0
	s_mov_b32 s10, exec_lo
	v_cmpx_lt_u32_e64 v23, v31
	s_cbranch_execz .LBB1453_95
; %bb.94:
	v_dual_add_f32 v20, 0, v25 :: v_dual_add_f32 v21, 0, v24
	s_delay_alu instid0(VALU_DEP_1) | instskip(NEXT) | instid1(VALU_DEP_2)
	v_ashrrev_i32_e32 v26, 31, v20
	v_ashrrev_i32_e32 v27, 31, v21
	s_delay_alu instid0(VALU_DEP_2) | instskip(NEXT) | instid1(VALU_DEP_2)
	v_or_b32_e32 v26, 0x80000000, v26
	v_or_b32_e32 v27, 0x80000000, v27
	s_delay_alu instid0(VALU_DEP_2) | instskip(NEXT) | instid1(VALU_DEP_2)
	v_xor_b32_e32 v20, v26, v20
	v_xor_b32_e32 v21, v27, v21
	s_delay_alu instid0(VALU_DEP_1)
	v_cmp_le_u32_e64 s3, v20, v21
	s_and_b32 s12, s3, exec_lo
.LBB1453_95:
	s_wait_alu 0xfffe
	s_or_b32 exec_lo, exec_lo, s10
	s_delay_alu instid0(SALU_CYCLE_1)
	s_or_not1_b32 s10, s12, exec_lo
.LBB1453_96:
	s_wait_alu 0xfffe
	s_or_b32 exec_lo, exec_lo, s11
	v_cndmask_b32_e64 v20, v22, v23, s10
	v_cndmask_b32_e64 v21, v32, v31, s10
	s_mov_b32 s12, -1
	s_mov_b32 s11, exec_lo
	s_delay_alu instid0(VALU_DEP_2) | instskip(NEXT) | instid1(VALU_DEP_2)
	v_add_nc_u32_e32 v26, 1, v20
	v_add_nc_u32_e32 v21, -1, v21
	s_delay_alu instid0(VALU_DEP_2) | instskip(NEXT) | instid1(VALU_DEP_2)
	v_cndmask_b32_e64 v22, v26, v22, s10
	v_min_u32_e32 v21, v26, v21
	v_cndmask_b32_e64 v23, v23, v26, s10
	s_delay_alu instid0(VALU_DEP_2)
	v_lshl_add_u32 v5, v21, 2, v5
	ds_load_b32 v27, v5
	v_lshl_add_u32 v5, v20, 3, v4
	ds_load_b64 v[20:21], v5 offset:4096
	s_wait_dscnt 0x1
	v_cndmask_b32_e64 v5, v27, v24, s10
	v_cndmask_b32_e64 v26, v25, v27, s10
	v_cmpx_lt_u32_e64 v22, v32
	s_cbranch_execz .LBB1453_100
; %bb.97:
	s_mov_b32 s13, 0
	s_mov_b32 s12, exec_lo
	v_cmpx_lt_u32_e64 v23, v31
	s_cbranch_execz .LBB1453_99
; %bb.98:
	v_dual_add_f32 v27, 0, v26 :: v_dual_add_f32 v28, 0, v5
	s_delay_alu instid0(VALU_DEP_1) | instskip(NEXT) | instid1(VALU_DEP_2)
	v_ashrrev_i32_e32 v29, 31, v27
	v_ashrrev_i32_e32 v30, 31, v28
	s_delay_alu instid0(VALU_DEP_2) | instskip(NEXT) | instid1(VALU_DEP_2)
	v_or_b32_e32 v29, 0x80000000, v29
	v_or_b32_e32 v30, 0x80000000, v30
	s_delay_alu instid0(VALU_DEP_2) | instskip(NEXT) | instid1(VALU_DEP_2)
	v_xor_b32_e32 v27, v29, v27
	v_xor_b32_e32 v28, v30, v28
	s_delay_alu instid0(VALU_DEP_1)
	v_cmp_le_u32_e64 s3, v27, v28
	s_and_b32 s13, s3, exec_lo
.LBB1453_99:
	s_wait_alu 0xfffe
	s_or_b32 exec_lo, exec_lo, s12
	s_delay_alu instid0(SALU_CYCLE_1)
	s_or_not1_b32 s12, s13, exec_lo
.LBB1453_100:
	s_wait_alu 0xfffe
	s_or_b32 exec_lo, exec_lo, s11
	v_cndmask_b32_e64 v22, v22, v23, s12
	v_cndmask_b32_e64 v30, v24, v25, s10
	;; [unrolled: 1-line block ×5, first 2 shown]
	v_lshl_add_u32 v4, v22, 3, v4
	ds_load_b64 v[22:23], v4 offset:4096
.LBB1453_101:
	s_wait_alu 0xfffe
	s_or_b32 exec_lo, exec_lo, s5
	v_add_co_u32 v2, s3, v2, v48
	s_wait_alu 0xf1ff
	v_add_co_ci_u32_e64 v3, null, v3, v49, s3
	s_delay_alu instid0(VALU_DEP_2) | instskip(SKIP_1) | instid1(VALU_DEP_2)
	v_add_co_u32 v2, s3, v2, v50
	s_wait_alu 0xf1ff
	v_add_co_ci_u32_e64 v3, null, 0, v3, s3
	; wave barrier
	s_wait_storecnt_dscnt 0x0
	s_barrier_signal -1
	s_barrier_wait -1
	global_inv scope:SCOPE_SE
	; wave barrier
	s_and_saveexec_b32 s3, vcc_lo
	s_cbranch_execnz .LBB1453_222
; %bb.102:
	s_wait_alu 0xfffe
	s_or_b32 exec_lo, exec_lo, s3
	s_and_saveexec_b32 s3, s0
	s_cbranch_execnz .LBB1453_223
.LBB1453_103:
	s_wait_alu 0xfffe
	s_or_b32 exec_lo, exec_lo, s3
	s_and_saveexec_b32 s3, s1
	s_cbranch_execnz .LBB1453_224
.LBB1453_104:
	s_wait_alu 0xfffe
	s_or_b32 exec_lo, exec_lo, s3
	s_and_saveexec_b32 s3, s2
	s_cbranch_execz .LBB1453_106
.LBB1453_105:
	flat_store_b32 v[2:3], v11 offset:12
.LBB1453_106:
	s_wait_alu 0xfffe
	s_or_b32 exec_lo, exec_lo, s3
	v_add_co_u32 v0, s3, v8, v0
	s_wait_alu 0xf1ff
	v_add_co_ci_u32_e64 v1, null, v9, v1, s3
	s_delay_alu instid0(VALU_DEP_2) | instskip(SKIP_1) | instid1(VALU_DEP_2)
	v_add_co_u32 v0, s3, v0, v10
	s_wait_alu 0xf1ff
	v_add_co_ci_u32_e64 v1, null, 0, v1, s3
	; wave barrier
	s_and_saveexec_b32 s3, vcc_lo
	s_cbranch_execnz .LBB1453_225
; %bb.107:
	s_wait_alu 0xfffe
	s_or_b32 exec_lo, exec_lo, s3
	s_and_saveexec_b32 s3, s0
	s_cbranch_execnz .LBB1453_226
.LBB1453_108:
	s_wait_alu 0xfffe
	s_or_b32 exec_lo, exec_lo, s3
	s_and_saveexec_b32 s0, s1
	s_cbranch_execz .LBB1453_110
.LBB1453_109:
	flat_store_b64 v[0:1], v[20:21] offset:16
.LBB1453_110:
	s_wait_alu 0xfffe
	s_or_b32 exec_lo, exec_lo, s0
	s_delay_alu instid0(SALU_CYCLE_1)
	s_and_b32 s5, s2, exec_lo
                                        ; implicit-def: $vgpr24
                                        ; implicit-def: $vgpr51
                                        ; implicit-def: $vgpr0_vgpr1
                                        ; implicit-def: $vgpr4
                                        ; implicit-def: $vgpr5
                                        ; implicit-def: $vgpr6
                                        ; implicit-def: $vgpr7
                                        ; implicit-def: $vgpr10
                                        ; implicit-def: $vgpr15
                                        ; implicit-def: $vgpr48_vgpr49
                                        ; implicit-def: $vgpr50
                                        ; implicit-def: $vgpr31
	s_and_not1_saveexec_b32 s6, s6
	s_cbranch_execz .LBB1453_2
.LBB1453_111:
	v_bfrev_b32_e32 v52, -2
	v_bfrev_b32_e32 v53, -2
	s_and_saveexec_b32 s0, vcc_lo
	s_cbranch_execz .LBB1453_113
; %bb.112:
	flat_load_b32 v53, v[0:1]
.LBB1453_113:
	s_wait_alu 0xfffe
	s_or_b32 exec_lo, exec_lo, s0
	v_or_b32_e32 v2, 1, v12
	s_delay_alu instid0(VALU_DEP_1)
	v_cmp_lt_u32_e64 s0, v2, v24
	s_and_saveexec_b32 s1, s0
	s_cbranch_execz .LBB1453_115
; %bb.114:
	flat_load_b32 v52, v[0:1] offset:4
.LBB1453_115:
	s_wait_alu 0xfffe
	s_or_b32 exec_lo, exec_lo, s1
	v_or_b32_e32 v2, 2, v12
	v_bfrev_b32_e32 v9, -2
	v_bfrev_b32_e32 v30, -2
	s_delay_alu instid0(VALU_DEP_3)
	v_cmp_lt_u32_e64 s2, v2, v24
	s_and_saveexec_b32 s1, s2
	s_cbranch_execz .LBB1453_117
; %bb.116:
	flat_load_b32 v30, v[0:1] offset:8
.LBB1453_117:
	s_wait_alu 0xfffe
	s_or_b32 exec_lo, exec_lo, s1
	v_or_b32_e32 v2, 3, v12
	s_delay_alu instid0(VALU_DEP_1)
	v_cmp_lt_u32_e64 s1, v2, v24
	s_and_saveexec_b32 s3, s1
	s_cbranch_execz .LBB1453_119
; %bb.118:
	flat_load_b32 v9, v[0:1] offset:12
.LBB1453_119:
	s_wait_alu 0xfffe
	s_or_b32 exec_lo, exec_lo, s3
	v_lshlrev_b64_e32 v[0:1], 3, v[13:14]
	v_mov_b32_e32 v16, 0
	v_lshlrev_b32_e32 v8, 3, v12
	; wave barrier
	s_delay_alu instid0(VALU_DEP_2) | instskip(NEXT) | instid1(VALU_DEP_4)
	v_mov_b32_e32 v17, v16
	v_add_co_u32 v2, s3, v6, v0
	s_wait_alu 0xf1ff
	v_add_co_ci_u32_e64 v3, null, v7, v1, s3
	v_dual_mov_b32 v18, v16 :: v_dual_mov_b32 v19, v16
	s_delay_alu instid0(VALU_DEP_3) | instskip(SKIP_1) | instid1(VALU_DEP_3)
	v_add_co_u32 v2, s3, v2, v8
	s_wait_alu 0xf1ff
	v_add_co_ci_u32_e64 v3, null, 0, v3, s3
	v_dual_mov_b32 v20, v16 :: v_dual_mov_b32 v21, v16
	v_dual_mov_b32 v22, v16 :: v_dual_mov_b32 v23, v16
	s_and_saveexec_b32 s3, vcc_lo
	s_cbranch_execnz .LBB1453_227
; %bb.120:
	s_wait_alu 0xfffe
	s_or_b32 exec_lo, exec_lo, s3
	s_and_saveexec_b32 s3, s0
	s_cbranch_execnz .LBB1453_228
.LBB1453_121:
	s_wait_alu 0xfffe
	s_or_b32 exec_lo, exec_lo, s3
	s_and_saveexec_b32 s3, s2
	s_cbranch_execnz .LBB1453_229
.LBB1453_122:
	s_wait_alu 0xfffe
	s_or_b32 exec_lo, exec_lo, s3
	s_and_saveexec_b32 s3, s1
	s_cbranch_execz .LBB1453_124
.LBB1453_123:
	flat_load_b64 v[22:23], v[2:3] offset:24
.LBB1453_124:
	s_wait_alu 0xfffe
	s_or_b32 exec_lo, exec_lo, s3
	; wave barrier
	s_load_b64 s[10:11], s[8:9], 0x0
	s_and_b32 s3, ttmp7, 0xffff
	s_mov_b32 s13, 0
	v_bfe_u32 v2, v31, 10, 10
	v_bfe_u32 v3, v31, 20, 10
	s_mov_b32 s7, exec_lo
	s_wait_kmcnt 0x0
	s_wait_alu 0xfffe
	s_cmp_lt_u32 s3, s11
	s_cselect_b32 s12, 14, 20
	s_cmp_lt_u32 ttmp9, s10
	s_wait_alu 0xfffe
	s_add_nc_u64 s[14:15], s[8:9], s[12:13]
	s_cselect_b32 s12, 12, 18
	s_load_u16 s3, s[14:15], 0x0
	s_add_nc_u64 s[8:9], s[8:9], s[12:13]
	s_load_u16 s4, s[8:9], 0x0
	s_wait_kmcnt 0x0
	v_mad_u32_u24 v2, v3, s3, v2
	v_and_b32_e32 v3, 0x3ff, v31
	s_delay_alu instid0(VALU_DEP_2) | instskip(NEXT) | instid1(VALU_DEP_1)
	v_mul_lo_u32 v2, v2, s4
	v_add_lshl_u32 v2, v2, v3, 2
	s_delay_alu instid0(VALU_DEP_1)
	v_cmpx_gt_u32_e32 0x400, v2
	s_cbranch_execz .LBB1453_136
; %bb.125:
	s_wait_loadcnt_dscnt 0x0
	v_dual_add_f32 v3, 0, v53 :: v_dual_add_f32 v6, 0, v52
	v_dual_add_f32 v7, 0, v30 :: v_dual_add_f32 v24, 0, v9
	s_mov_b32 s8, exec_lo
	s_delay_alu instid0(VALU_DEP_2) | instskip(NEXT) | instid1(VALU_DEP_3)
	v_ashrrev_i32_e32 v25, 31, v3
	v_ashrrev_i32_e32 v26, 31, v6
	s_delay_alu instid0(VALU_DEP_3) | instskip(SKIP_1) | instid1(VALU_DEP_4)
	v_ashrrev_i32_e32 v27, 31, v7
	v_ashrrev_i32_e32 v28, 31, v24
	v_or_b32_e32 v25, 0x80000000, v25
	s_delay_alu instid0(VALU_DEP_4) | instskip(NEXT) | instid1(VALU_DEP_4)
	v_or_b32_e32 v26, 0x80000000, v26
	v_or_b32_e32 v27, 0x80000000, v27
	s_delay_alu instid0(VALU_DEP_4) | instskip(NEXT) | instid1(VALU_DEP_4)
	v_or_b32_e32 v28, 0x80000000, v28
	v_xor_b32_e32 v3, v25, v3
	s_delay_alu instid0(VALU_DEP_4) | instskip(NEXT) | instid1(VALU_DEP_4)
	v_xor_b32_e32 v25, v26, v6
	v_xor_b32_e32 v7, v27, v7
	s_delay_alu instid0(VALU_DEP_4) | instskip(SKIP_1) | instid1(VALU_DEP_4)
	v_xor_b32_e32 v6, v28, v24
	v_dual_mov_b32 v29, v21 :: v_dual_mov_b32 v28, v20
	v_cmp_gt_u32_e64 s3, v3, v25
	v_mov_b32_e32 v3, v30
	s_wait_alu 0xf1ff
	s_delay_alu instid0(VALU_DEP_2)
	v_cndmask_b32_e64 v27, v19, v17, s3
	v_cndmask_b32_e64 v26, v18, v16, s3
	v_cndmask_b32_e64 v25, v17, v19, s3
	v_cndmask_b32_e64 v24, v16, v18, s3
	v_cmpx_gt_u32_e64 v7, v6
; %bb.126:
	v_mov_b32_e32 v29, v23
	v_dual_mov_b32 v3, v9 :: v_dual_mov_b32 v28, v22
	v_mov_b32_e32 v23, v21
	v_dual_mov_b32 v9, v30 :: v_dual_mov_b32 v22, v20
	v_mov_b32_e32 v7, v6
; %bb.127:
	s_wait_alu 0xfffe
	s_or_b32 exec_lo, exec_lo, s8
	v_cndmask_b32_e64 v17, v52, v53, s3
	v_mov_b32_e32 v30, v22
                                        ; implicit-def: $vgpr54
	v_dual_mov_b32 v39, v31 :: v_dual_mov_b32 v34, v26
	s_delay_alu instid0(VALU_DEP_3) | instskip(SKIP_1) | instid1(VALU_DEP_4)
	v_dual_mov_b32 v33, v25 :: v_dual_add_f32 v6, 0, v17
	v_mov_b32_e32 v32, v24
	v_dual_mov_b32 v38, v30 :: v_dual_mov_b32 v37, v29
	v_dual_mov_b32 v36, v28 :: v_dual_mov_b32 v35, v27
	s_delay_alu instid0(VALU_DEP_4) | instskip(NEXT) | instid1(VALU_DEP_1)
	v_ashrrev_i32_e32 v16, 31, v6
	v_or_b32_e32 v16, 0x80000000, v16
	s_delay_alu instid0(VALU_DEP_1) | instskip(NEXT) | instid1(VALU_DEP_1)
	v_xor_b32_e32 v16, v16, v6
	v_cmp_le_u32_e64 s4, v16, v7
	s_and_saveexec_b32 s8, s4
	s_wait_alu 0xfffe
	s_xor_b32 s4, exec_lo, s8
; %bb.128:
	v_add_f32_e32 v6, 0, v3
                                        ; implicit-def: $vgpr32_vgpr33_vgpr34_vgpr35_vgpr36_vgpr37_vgpr38_vgpr39
	s_delay_alu instid0(VALU_DEP_1) | instskip(NEXT) | instid1(VALU_DEP_1)
	v_ashrrev_i32_e32 v7, 31, v6
	v_or_b32_e32 v7, 0x80000000, v7
	s_delay_alu instid0(VALU_DEP_1)
	v_xor_b32_e32 v54, v7, v6
                                        ; implicit-def: $vgpr7
; %bb.129:
	s_wait_alu 0xfffe
	s_or_saveexec_b32 s4, s4
	v_dual_mov_b32 v31, v23 :: v_dual_mov_b32 v6, v17
	s_wait_alu 0xfffe
	s_xor_b32 exec_lo, exec_lo, s4
	s_cbranch_execz .LBB1453_131
; %bb.130:
	v_dual_mov_b32 v34, v28 :: v_dual_mov_b32 v35, v29
	v_dual_mov_b32 v36, v26 :: v_dual_mov_b32 v37, v27
	v_dual_mov_b32 v38, v22 :: v_dual_mov_b32 v39, v23
	v_dual_mov_b32 v24, v32 :: v_dual_mov_b32 v25, v33
	s_delay_alu instid0(VALU_DEP_4) | instskip(NEXT) | instid1(VALU_DEP_4)
	v_dual_mov_b32 v26, v34 :: v_dual_mov_b32 v27, v35
	v_dual_mov_b32 v28, v36 :: v_dual_mov_b32 v29, v37
	s_delay_alu instid0(VALU_DEP_4)
	v_dual_mov_b32 v30, v38 :: v_dual_mov_b32 v31, v39
	v_mov_b32_e32 v54, v16
	v_dual_mov_b32 v6, v3 :: v_dual_mov_b32 v3, v17
	v_mov_b32_e32 v16, v7
.LBB1453_131:
	s_or_b32 exec_lo, exec_lo, s4
	v_cndmask_b32_e64 v7, v53, v52, s3
	v_dual_mov_b32 v22, v30 :: v_dual_mov_b32 v23, v31
	s_mov_b32 s8, exec_lo
	s_delay_alu instid0(VALU_DEP_2) | instskip(NEXT) | instid1(VALU_DEP_1)
	v_dual_add_f32 v18, 0, v9 :: v_dual_add_f32 v17, 0, v7
	v_ashrrev_i32_e32 v20, 31, v18
	s_delay_alu instid0(VALU_DEP_2) | instskip(NEXT) | instid1(VALU_DEP_2)
	v_ashrrev_i32_e32 v19, 31, v17
	v_or_b32_e32 v21, 0x80000000, v20
	s_delay_alu instid0(VALU_DEP_2) | instskip(SKIP_1) | instid1(VALU_DEP_3)
	v_or_b32_e32 v19, 0x80000000, v19
	v_mov_b32_e32 v20, v28
	v_xor_b32_e32 v32, v21, v18
	s_delay_alu instid0(VALU_DEP_3) | instskip(SKIP_1) | instid1(VALU_DEP_2)
	v_xor_b32_e32 v17, v19, v17
	v_mov_b32_e32 v21, v29
	v_cmp_gt_u32_e64 s3, v17, v16
	s_wait_alu 0xf1ff
	s_delay_alu instid0(VALU_DEP_1)
	v_cndmask_b32_e64 v19, v27, v25, s3
	v_cndmask_b32_e64 v18, v26, v24, s3
	v_cndmask_b32_e64 v17, v25, v27, s3
	v_cndmask_b32_e64 v16, v24, v26, s3
	v_mov_b32_e32 v24, v3
	v_cmpx_gt_u32_e64 v54, v32
; %bb.132:
	v_dual_mov_b32 v20, v30 :: v_dual_mov_b32 v21, v31
	v_dual_mov_b32 v22, v28 :: v_dual_mov_b32 v23, v29
	;; [unrolled: 1-line block ×3, first 2 shown]
	v_mov_b32_e32 v54, v32
; %bb.133:
	s_wait_alu 0xfffe
	s_or_b32 exec_lo, exec_lo, s8
	v_cndmask_b32_e64 v52, v6, v7, s3
	s_mov_b32 s8, exec_lo
	s_delay_alu instid0(VALU_DEP_1) | instskip(NEXT) | instid1(VALU_DEP_1)
	v_dual_mov_b32 v30, v24 :: v_dual_add_f32 v3, 0, v52
	v_ashrrev_i32_e32 v25, 31, v3
	s_delay_alu instid0(VALU_DEP_1) | instskip(NEXT) | instid1(VALU_DEP_1)
	v_or_b32_e32 v25, 0x80000000, v25
	v_xor_b32_e32 v3, v25, v3
	s_delay_alu instid0(VALU_DEP_1)
	v_cmpx_gt_u32_e64 v3, v54
	s_cbranch_execz .LBB1453_135
; %bb.134:
	v_dual_mov_b32 v25, v16 :: v_dual_mov_b32 v26, v17
	v_dual_mov_b32 v27, v20 :: v_dual_mov_b32 v28, v21
	;; [unrolled: 1-line block ×4, first 2 shown]
	s_delay_alu instid0(VALU_DEP_4) | instskip(NEXT) | instid1(VALU_DEP_4)
	v_dual_mov_b32 v16, v25 :: v_dual_mov_b32 v17, v26
	v_dual_mov_b32 v18, v27 :: v_dual_mov_b32 v19, v28
	s_delay_alu instid0(VALU_DEP_4) | instskip(NEXT) | instid1(VALU_DEP_4)
	v_dual_mov_b32 v20, v29 :: v_dual_mov_b32 v21, v30
	v_dual_mov_b32 v22, v31 :: v_dual_mov_b32 v23, v32
	v_mov_b32_e32 v30, v52
	v_mov_b32_e32 v52, v24
.LBB1453_135:
	s_wait_alu 0xfffe
	s_or_b32 exec_lo, exec_lo, s8
	v_cndmask_b32_e64 v53, v7, v6, s3
.LBB1453_136:
	s_or_b32 exec_lo, exec_lo, s7
	v_dual_mov_b32 v3, 0 :: v_dual_and_b32 v2, 0xffffff80, v2
	v_or_b32_e32 v7, 4, v51
	v_and_b32_e32 v33, 0x78, v51
	s_mov_b32 s4, exec_lo
	s_delay_alu instid0(VALU_DEP_3) | instskip(SKIP_1) | instid1(VALU_DEP_2)
	v_sub_nc_u32_e64 v6, 0x400, v2 clamp
	v_lshlrev_b64_e32 v[2:3], 2, v[2:3]
	v_min_u32_e32 v31, v6, v7
	s_delay_alu instid0(VALU_DEP_2) | instskip(SKIP_1) | instid1(VALU_DEP_3)
	v_add_co_u32 v3, null, v15, v2
	v_and_b32_e32 v15, 4, v51
	v_add_nc_u32_e32 v7, 4, v31
	v_sub_nc_u32_e32 v24, v31, v33
	s_delay_alu instid0(VALU_DEP_4) | instskip(NEXT) | instid1(VALU_DEP_4)
	v_add_co_u32 v2, null, v3, v2
	v_min_u32_e32 v34, v6, v15
	s_delay_alu instid0(VALU_DEP_4) | instskip(SKIP_1) | instid1(VALU_DEP_4)
	v_min_u32_e32 v32, v6, v7
	v_lshl_add_u32 v7, v51, 2, v3
	v_lshl_add_u32 v29, v51, 3, v2
	s_delay_alu instid0(VALU_DEP_3) | instskip(NEXT) | instid1(VALU_DEP_2)
	v_sub_nc_u32_e32 v15, v32, v31
	v_add_nc_u32_e32 v25, 0x1000, v29
	s_wait_loadcnt_dscnt 0x0
	ds_store_2addr_b32 v7, v53, v52 offset1:1
	ds_store_2addr_b64 v25, v[16:17], v[18:19] offset1:1
	ds_store_2addr_b32 v7, v30, v9 offset0:2 offset1:3
	ds_store_2addr_b64 v25, v[20:21], v[22:23] offset0:2 offset1:3
	v_sub_nc_u32_e64 v35, v34, v15 clamp
	v_min_u32_e32 v15, v34, v24
	; wave barrier
	s_delay_alu instid0(VALU_DEP_1)
	v_cmpx_lt_u32_e64 v35, v15
	s_cbranch_execz .LBB1453_140
; %bb.137:
	v_lshlrev_b32_e32 v24, 2, v33
	v_lshlrev_b32_e32 v25, 2, v31
	s_mov_b32 s7, 0
	s_delay_alu instid0(VALU_DEP_2) | instskip(NEXT) | instid1(VALU_DEP_2)
	v_add_co_u32 v24, null, v3, v24
	v_add_co_u32 v25, null, v3, v25
.LBB1453_138:                           ; =>This Inner Loop Header: Depth=1
	v_add_nc_u32_e32 v26, v15, v35
	s_delay_alu instid0(VALU_DEP_1) | instskip(NEXT) | instid1(VALU_DEP_1)
	v_lshrrev_b32_e32 v26, 1, v26
	v_xad_u32 v27, v26, -1, v34
	v_lshl_add_u32 v28, v26, 2, v24
	s_delay_alu instid0(VALU_DEP_2) | instskip(SKIP_4) | instid1(VALU_DEP_1)
	v_lshl_add_u32 v27, v27, 2, v25
	ds_load_b32 v28, v28
	ds_load_b32 v27, v27
	s_wait_dscnt 0x0
	v_dual_add_f32 v28, 0, v28 :: v_dual_add_f32 v27, 0, v27
	v_ashrrev_i32_e32 v36, 31, v28
	s_delay_alu instid0(VALU_DEP_2) | instskip(NEXT) | instid1(VALU_DEP_2)
	v_ashrrev_i32_e32 v37, 31, v27
	v_or_b32_e32 v36, 0x80000000, v36
	s_delay_alu instid0(VALU_DEP_2) | instskip(NEXT) | instid1(VALU_DEP_2)
	v_or_b32_e32 v37, 0x80000000, v37
	v_xor_b32_e32 v28, v36, v28
	s_delay_alu instid0(VALU_DEP_2) | instskip(SKIP_1) | instid1(VALU_DEP_2)
	v_xor_b32_e32 v27, v37, v27
	v_add_nc_u32_e32 v36, 1, v26
	v_cmp_gt_u32_e64 s3, v28, v27
	s_wait_alu 0xf1ff
	s_delay_alu instid0(VALU_DEP_1) | instskip(NEXT) | instid1(VALU_DEP_3)
	v_cndmask_b32_e64 v15, v15, v26, s3
	v_cndmask_b32_e64 v35, v36, v35, s3
	s_delay_alu instid0(VALU_DEP_1)
	v_cmp_ge_u32_e64 s3, v35, v15
	s_wait_alu 0xfffe
	s_or_b32 s7, s3, s7
	s_wait_alu 0xfffe
	s_and_not1_b32 exec_lo, exec_lo, s7
	s_cbranch_execnz .LBB1453_138
; %bb.139:
	s_or_b32 exec_lo, exec_lo, s7
.LBB1453_140:
	s_wait_alu 0xfffe
	s_or_b32 exec_lo, exec_lo, s4
	v_add_nc_u32_e32 v36, v31, v34
	v_add_nc_u32_e32 v34, v35, v33
	;; [unrolled: 1-line block ×5, first 2 shown]
	v_sub_nc_u32_e32 v35, v36, v35
	v_cmp_le_u32_e64 s3, v34, v31
	v_add_nc_u32_e32 v25, 8, v7
	v_add_nc_u32_e32 v28, 0x1010, v29
	;; [unrolled: 1-line block ×3, first 2 shown]
	v_cmp_le_u32_e64 s4, v35, v32
	v_add_nc_u32_e32 v29, 0x1018, v29
	s_or_b32 s3, s3, s4
	s_wait_alu 0xfffe
	s_and_saveexec_b32 s7, s3
	s_cbranch_execz .LBB1453_160
; %bb.141:
	v_cmp_ge_u32_e64 s3, v34, v31
	s_mov_b32 s8, exec_lo
                                        ; implicit-def: $vgpr9
	v_cmpx_lt_u32_e64 v34, v31
; %bb.142:
	v_lshl_add_u32 v9, v34, 2, v3
	ds_load_b32 v9, v9
; %bb.143:
	s_wait_alu 0xfffe
	s_or_b32 exec_lo, exec_lo, s8
	v_cmp_ge_u32_e64 s8, v35, v32
	s_mov_b32 s9, exec_lo
                                        ; implicit-def: $vgpr33
	v_cmpx_lt_u32_e64 v35, v32
; %bb.144:
	v_lshl_add_u32 v16, v35, 2, v3
	ds_load_b32 v33, v16
; %bb.145:
	s_wait_alu 0xfffe
	s_or_b32 exec_lo, exec_lo, s9
	s_nor_b32 s3, s3, s8
	s_wait_alu 0xfffe
	s_and_saveexec_b32 s4, s3
	s_cbranch_execz .LBB1453_147
; %bb.146:
	s_wait_dscnt 0x0
	v_add_f32_e32 v16, 0, v9
	v_add_f32_e32 v17, 0, v33
	s_and_not1_b32 s8, s8, exec_lo
	s_delay_alu instid0(VALU_DEP_2) | instskip(NEXT) | instid1(VALU_DEP_2)
	v_ashrrev_i32_e32 v18, 31, v16
	v_ashrrev_i32_e32 v19, 31, v17
	s_delay_alu instid0(VALU_DEP_2) | instskip(NEXT) | instid1(VALU_DEP_2)
	v_or_b32_e32 v18, 0x80000000, v18
	v_or_b32_e32 v19, 0x80000000, v19
	s_delay_alu instid0(VALU_DEP_2) | instskip(NEXT) | instid1(VALU_DEP_2)
	v_xor_b32_e32 v16, v18, v16
	v_xor_b32_e32 v17, v19, v17
	s_delay_alu instid0(VALU_DEP_1)
	v_cmp_le_u32_e64 s3, v16, v17
	s_and_b32 s3, s3, exec_lo
	s_wait_alu 0xfffe
	s_or_b32 s8, s8, s3
.LBB1453_147:
	s_wait_alu 0xfffe
	s_or_b32 exec_lo, exec_lo, s4
	v_cndmask_b32_e64 v16, v35, v34, s8
	v_cndmask_b32_e64 v17, v32, v31, s8
	s_mov_b32 s9, -1
	s_mov_b32 s4, -1
	s_mov_b32 s10, exec_lo
	v_add_nc_u32_e32 v18, 1, v16
	v_add_nc_u32_e32 v17, -1, v17
	v_lshl_add_u32 v16, v16, 3, v2
	s_delay_alu instid0(VALU_DEP_3) | instskip(NEXT) | instid1(VALU_DEP_3)
	v_cndmask_b32_e64 v20, v18, v35, s8
	v_min_u32_e32 v17, v18, v17
	v_cndmask_b32_e64 v21, v34, v18, s8
	s_delay_alu instid0(VALU_DEP_2)
	v_lshl_add_u32 v17, v17, 2, v3
	ds_load_b32 v19, v17
	ds_load_b64 v[16:17], v16 offset:4096
	s_wait_dscnt 0x1
	v_cndmask_b32_e64 v34, v19, v33, s8
	v_cndmask_b32_e64 v35, v9, v19, s8
	v_cmpx_lt_u32_e64 v20, v32
	s_cbranch_execz .LBB1453_151
; %bb.148:
	s_mov_b32 s11, 0
	s_mov_b32 s4, exec_lo
	v_cmpx_lt_u32_e64 v21, v31
	s_cbranch_execz .LBB1453_150
; %bb.149:
	v_dual_add_f32 v18, 0, v35 :: v_dual_add_f32 v19, 0, v34
	s_delay_alu instid0(VALU_DEP_1) | instskip(NEXT) | instid1(VALU_DEP_2)
	v_ashrrev_i32_e32 v22, 31, v18
	v_ashrrev_i32_e32 v23, 31, v19
	s_delay_alu instid0(VALU_DEP_2) | instskip(NEXT) | instid1(VALU_DEP_2)
	v_or_b32_e32 v22, 0x80000000, v22
	v_or_b32_e32 v23, 0x80000000, v23
	s_delay_alu instid0(VALU_DEP_2) | instskip(NEXT) | instid1(VALU_DEP_2)
	v_xor_b32_e32 v18, v22, v18
	v_xor_b32_e32 v19, v23, v19
	s_delay_alu instid0(VALU_DEP_1)
	v_cmp_le_u32_e64 s3, v18, v19
	s_and_b32 s11, s3, exec_lo
.LBB1453_150:
	s_wait_alu 0xfffe
	s_or_b32 exec_lo, exec_lo, s4
	s_delay_alu instid0(SALU_CYCLE_1)
	s_or_not1_b32 s4, s11, exec_lo
.LBB1453_151:
	s_wait_alu 0xfffe
	s_or_b32 exec_lo, exec_lo, s10
	v_cndmask_b32_e64 v18, v20, v21, s4
	v_cndmask_b32_e64 v19, v32, v31, s4
	s_mov_b32 s10, exec_lo
	s_delay_alu instid0(VALU_DEP_2) | instskip(NEXT) | instid1(VALU_DEP_2)
	v_add_nc_u32_e32 v23, 1, v18
	v_add_nc_u32_e32 v19, -1, v19
	v_lshl_add_u32 v18, v18, 3, v2
	s_delay_alu instid0(VALU_DEP_3) | instskip(NEXT) | instid1(VALU_DEP_3)
	v_cndmask_b32_e64 v22, v23, v20, s4
	v_min_u32_e32 v19, v23, v19
	v_cndmask_b32_e64 v23, v21, v23, s4
	s_delay_alu instid0(VALU_DEP_2)
	v_lshl_add_u32 v19, v19, 2, v3
	ds_load_b32 v36, v19
	ds_load_b64 v[18:19], v18 offset:4096
	s_wait_dscnt 0x1
	v_cndmask_b32_e64 v30, v36, v34, s4
	v_cndmask_b32_e64 v36, v35, v36, s4
	v_cmpx_lt_u32_e64 v22, v32
	s_cbranch_execz .LBB1453_155
; %bb.152:
	s_mov_b32 s11, 0
	s_mov_b32 s9, exec_lo
	v_cmpx_lt_u32_e64 v23, v31
	s_cbranch_execz .LBB1453_154
; %bb.153:
	v_dual_add_f32 v20, 0, v36 :: v_dual_add_f32 v21, 0, v30
	s_delay_alu instid0(VALU_DEP_1) | instskip(NEXT) | instid1(VALU_DEP_2)
	v_ashrrev_i32_e32 v37, 31, v20
	v_ashrrev_i32_e32 v38, 31, v21
	s_delay_alu instid0(VALU_DEP_2) | instskip(NEXT) | instid1(VALU_DEP_2)
	v_or_b32_e32 v37, 0x80000000, v37
	v_or_b32_e32 v38, 0x80000000, v38
	s_delay_alu instid0(VALU_DEP_2) | instskip(NEXT) | instid1(VALU_DEP_2)
	v_xor_b32_e32 v20, v37, v20
	v_xor_b32_e32 v21, v38, v21
	s_delay_alu instid0(VALU_DEP_1)
	v_cmp_le_u32_e64 s3, v20, v21
	s_and_b32 s11, s3, exec_lo
.LBB1453_154:
	s_wait_alu 0xfffe
	s_or_b32 exec_lo, exec_lo, s9
	s_delay_alu instid0(SALU_CYCLE_1)
	s_or_not1_b32 s9, s11, exec_lo
.LBB1453_155:
	s_wait_alu 0xfffe
	s_or_b32 exec_lo, exec_lo, s10
	v_cndmask_b32_e64 v20, v22, v23, s9
	v_cndmask_b32_e64 v21, v32, v31, s9
	s_mov_b32 s11, -1
	s_mov_b32 s10, exec_lo
	s_delay_alu instid0(VALU_DEP_2) | instskip(NEXT) | instid1(VALU_DEP_2)
	v_add_nc_u32_e32 v37, 1, v20
	v_add_nc_u32_e32 v21, -1, v21
	v_lshl_add_u32 v20, v20, 3, v2
	s_delay_alu instid0(VALU_DEP_3) | instskip(NEXT) | instid1(VALU_DEP_3)
	v_cndmask_b32_e64 v22, v37, v22, s9
	v_min_u32_e32 v21, v37, v21
	v_cndmask_b32_e64 v23, v23, v37, s9
	s_delay_alu instid0(VALU_DEP_2)
	v_lshl_add_u32 v21, v21, 2, v3
	ds_load_b32 v38, v21
	ds_load_b64 v[20:21], v20 offset:4096
	s_wait_dscnt 0x1
	v_cndmask_b32_e64 v37, v38, v30, s9
	v_cndmask_b32_e64 v38, v36, v38, s9
	v_cmpx_lt_u32_e64 v22, v32
	s_cbranch_execz .LBB1453_159
; %bb.156:
	s_mov_b32 s12, 0
	s_mov_b32 s11, exec_lo
	v_cmpx_lt_u32_e64 v23, v31
	s_cbranch_execz .LBB1453_158
; %bb.157:
	v_dual_add_f32 v31, 0, v38 :: v_dual_add_f32 v32, 0, v37
	s_delay_alu instid0(VALU_DEP_1) | instskip(NEXT) | instid1(VALU_DEP_2)
	v_ashrrev_i32_e32 v39, 31, v31
	v_ashrrev_i32_e32 v52, 31, v32
	s_delay_alu instid0(VALU_DEP_2) | instskip(NEXT) | instid1(VALU_DEP_2)
	v_or_b32_e32 v39, 0x80000000, v39
	v_or_b32_e32 v52, 0x80000000, v52
	s_delay_alu instid0(VALU_DEP_2) | instskip(NEXT) | instid1(VALU_DEP_2)
	v_xor_b32_e32 v31, v39, v31
	v_xor_b32_e32 v32, v52, v32
	s_delay_alu instid0(VALU_DEP_1)
	v_cmp_le_u32_e64 s3, v31, v32
	s_and_b32 s12, s3, exec_lo
.LBB1453_158:
	s_wait_alu 0xfffe
	s_or_b32 exec_lo, exec_lo, s11
	s_delay_alu instid0(SALU_CYCLE_1)
	s_or_not1_b32 s11, s12, exec_lo
.LBB1453_159:
	s_wait_alu 0xfffe
	s_or_b32 exec_lo, exec_lo, s10
	v_cndmask_b32_e64 v22, v22, v23, s11
	v_cndmask_b32_e64 v30, v30, v36, s9
	;; [unrolled: 1-line block ×5, first 2 shown]
	v_lshl_add_u32 v22, v22, 3, v2
	ds_load_b64 v[22:23], v22 offset:4096
.LBB1453_160:
	s_wait_alu 0xfffe
	s_or_b32 exec_lo, exec_lo, s7
	v_and_b32_e32 v33, 0x70, v51
	v_and_b32_e32 v34, 12, v51
	s_mov_b32 s4, exec_lo
	; wave barrier
	s_delay_alu instid0(VALU_DEP_2) | instskip(NEXT) | instid1(VALU_DEP_2)
	v_or_b32_e32 v31, 8, v33
	v_min_u32_e32 v34, v6, v34
	ds_store_b32 v7, v53
	ds_store_b64 v27, v[16:17]
	ds_store_b32 v15, v52
	ds_store_b64 v24, v[18:19]
	ds_store_b32 v25, v30
	s_wait_dscnt 0x6
	ds_store_b64 v28, v[20:21]
	ds_store_b32 v26, v9
	s_wait_dscnt 0x7
	ds_store_b64 v29, v[22:23]
	v_min_u32_e32 v31, v6, v31
	; wave barrier
	s_delay_alu instid0(VALU_DEP_1) | instskip(SKIP_1) | instid1(VALU_DEP_2)
	v_add_nc_u32_e32 v32, 8, v31
	v_sub_nc_u32_e32 v36, v31, v33
	v_min_u32_e32 v32, v6, v32
	s_delay_alu instid0(VALU_DEP_2) | instskip(NEXT) | instid1(VALU_DEP_2)
	v_min_u32_e32 v36, v34, v36
	v_sub_nc_u32_e32 v35, v32, v31
	s_delay_alu instid0(VALU_DEP_1) | instskip(NEXT) | instid1(VALU_DEP_1)
	v_sub_nc_u32_e64 v35, v34, v35 clamp
	v_cmpx_lt_u32_e64 v35, v36
	s_cbranch_execz .LBB1453_164
; %bb.161:
	v_lshlrev_b32_e32 v37, 2, v33
	v_lshlrev_b32_e32 v38, 2, v31
	s_mov_b32 s7, 0
	s_delay_alu instid0(VALU_DEP_2) | instskip(NEXT) | instid1(VALU_DEP_2)
	v_add_co_u32 v37, null, v3, v37
	v_add_co_u32 v38, null, v3, v38
.LBB1453_162:                           ; =>This Inner Loop Header: Depth=1
	v_add_nc_u32_e32 v39, v36, v35
	s_delay_alu instid0(VALU_DEP_1) | instskip(NEXT) | instid1(VALU_DEP_1)
	v_lshrrev_b32_e32 v39, 1, v39
	v_xad_u32 v54, v39, -1, v34
	v_lshl_add_u32 v55, v39, 2, v37
	s_delay_alu instid0(VALU_DEP_2) | instskip(SKIP_4) | instid1(VALU_DEP_1)
	v_lshl_add_u32 v54, v54, 2, v38
	ds_load_b32 v55, v55
	ds_load_b32 v54, v54
	s_wait_dscnt 0x0
	v_dual_add_f32 v55, 0, v55 :: v_dual_add_f32 v54, 0, v54
	v_ashrrev_i32_e32 v64, 31, v55
	s_delay_alu instid0(VALU_DEP_2) | instskip(NEXT) | instid1(VALU_DEP_2)
	v_ashrrev_i32_e32 v65, 31, v54
	v_or_b32_e32 v64, 0x80000000, v64
	s_delay_alu instid0(VALU_DEP_2) | instskip(NEXT) | instid1(VALU_DEP_2)
	v_or_b32_e32 v65, 0x80000000, v65
	v_xor_b32_e32 v55, v64, v55
	s_delay_alu instid0(VALU_DEP_2) | instskip(SKIP_1) | instid1(VALU_DEP_2)
	v_xor_b32_e32 v54, v65, v54
	v_add_nc_u32_e32 v64, 1, v39
	v_cmp_gt_u32_e64 s3, v55, v54
	s_wait_alu 0xf1ff
	s_delay_alu instid0(VALU_DEP_1) | instskip(NEXT) | instid1(VALU_DEP_3)
	v_cndmask_b32_e64 v36, v36, v39, s3
	v_cndmask_b32_e64 v35, v64, v35, s3
	s_delay_alu instid0(VALU_DEP_1)
	v_cmp_ge_u32_e64 s3, v35, v36
	s_wait_alu 0xfffe
	s_or_b32 s7, s3, s7
	s_wait_alu 0xfffe
	s_and_not1_b32 exec_lo, exec_lo, s7
	s_cbranch_execnz .LBB1453_162
; %bb.163:
	s_or_b32 exec_lo, exec_lo, s7
.LBB1453_164:
	s_wait_alu 0xfffe
	s_or_b32 exec_lo, exec_lo, s4
	v_add_nc_u32_e32 v36, v31, v34
	v_add_nc_u32_e32 v34, v35, v33
	s_delay_alu instid0(VALU_DEP_2) | instskip(NEXT) | instid1(VALU_DEP_2)
	v_sub_nc_u32_e32 v35, v36, v35
	v_cmp_le_u32_e64 s3, v34, v31
	s_delay_alu instid0(VALU_DEP_2)
	v_cmp_le_u32_e64 s4, v35, v32
	s_or_b32 s3, s3, s4
	s_wait_alu 0xfffe
	s_and_saveexec_b32 s7, s3
	s_cbranch_execz .LBB1453_184
; %bb.165:
	v_cmp_ge_u32_e64 s3, v34, v31
	s_mov_b32 s8, exec_lo
                                        ; implicit-def: $vgpr9
	v_cmpx_lt_u32_e64 v34, v31
; %bb.166:
	v_lshl_add_u32 v9, v34, 2, v3
	ds_load_b32 v9, v9
; %bb.167:
	s_wait_alu 0xfffe
	s_or_b32 exec_lo, exec_lo, s8
	v_cmp_ge_u32_e64 s8, v35, v32
	s_mov_b32 s9, exec_lo
                                        ; implicit-def: $vgpr33
	v_cmpx_lt_u32_e64 v35, v32
; %bb.168:
	v_lshl_add_u32 v16, v35, 2, v3
	ds_load_b32 v33, v16
; %bb.169:
	s_wait_alu 0xfffe
	s_or_b32 exec_lo, exec_lo, s9
	s_nor_b32 s3, s3, s8
	s_wait_alu 0xfffe
	s_and_saveexec_b32 s4, s3
	s_cbranch_execz .LBB1453_171
; %bb.170:
	s_wait_dscnt 0x0
	v_add_f32_e32 v16, 0, v9
	v_add_f32_e32 v17, 0, v33
	s_and_not1_b32 s8, s8, exec_lo
	s_delay_alu instid0(VALU_DEP_2) | instskip(NEXT) | instid1(VALU_DEP_2)
	v_ashrrev_i32_e32 v18, 31, v16
	v_ashrrev_i32_e32 v19, 31, v17
	s_delay_alu instid0(VALU_DEP_2) | instskip(NEXT) | instid1(VALU_DEP_2)
	v_or_b32_e32 v18, 0x80000000, v18
	v_or_b32_e32 v19, 0x80000000, v19
	s_delay_alu instid0(VALU_DEP_2) | instskip(NEXT) | instid1(VALU_DEP_2)
	v_xor_b32_e32 v16, v18, v16
	v_xor_b32_e32 v17, v19, v17
	s_delay_alu instid0(VALU_DEP_1)
	v_cmp_le_u32_e64 s3, v16, v17
	s_and_b32 s3, s3, exec_lo
	s_wait_alu 0xfffe
	s_or_b32 s8, s8, s3
.LBB1453_171:
	s_wait_alu 0xfffe
	s_or_b32 exec_lo, exec_lo, s4
	v_cndmask_b32_e64 v16, v35, v34, s8
	v_cndmask_b32_e64 v17, v32, v31, s8
	s_mov_b32 s9, -1
	s_mov_b32 s4, -1
	s_mov_b32 s10, exec_lo
	v_add_nc_u32_e32 v18, 1, v16
	v_add_nc_u32_e32 v17, -1, v17
	v_lshl_add_u32 v16, v16, 3, v2
	s_delay_alu instid0(VALU_DEP_3) | instskip(NEXT) | instid1(VALU_DEP_3)
	v_cndmask_b32_e64 v20, v18, v35, s8
	v_min_u32_e32 v17, v18, v17
	v_cndmask_b32_e64 v21, v34, v18, s8
	s_delay_alu instid0(VALU_DEP_2)
	v_lshl_add_u32 v17, v17, 2, v3
	ds_load_b32 v19, v17
	ds_load_b64 v[16:17], v16 offset:4096
	s_wait_dscnt 0x1
	v_cndmask_b32_e64 v34, v19, v33, s8
	v_cndmask_b32_e64 v35, v9, v19, s8
	v_cmpx_lt_u32_e64 v20, v32
	s_cbranch_execz .LBB1453_175
; %bb.172:
	s_mov_b32 s11, 0
	s_mov_b32 s4, exec_lo
	v_cmpx_lt_u32_e64 v21, v31
	s_cbranch_execz .LBB1453_174
; %bb.173:
	v_dual_add_f32 v18, 0, v35 :: v_dual_add_f32 v19, 0, v34
	s_delay_alu instid0(VALU_DEP_1) | instskip(NEXT) | instid1(VALU_DEP_2)
	v_ashrrev_i32_e32 v22, 31, v18
	v_ashrrev_i32_e32 v23, 31, v19
	s_delay_alu instid0(VALU_DEP_2) | instskip(NEXT) | instid1(VALU_DEP_2)
	v_or_b32_e32 v22, 0x80000000, v22
	v_or_b32_e32 v23, 0x80000000, v23
	s_delay_alu instid0(VALU_DEP_2) | instskip(NEXT) | instid1(VALU_DEP_2)
	v_xor_b32_e32 v18, v22, v18
	v_xor_b32_e32 v19, v23, v19
	s_delay_alu instid0(VALU_DEP_1)
	v_cmp_le_u32_e64 s3, v18, v19
	s_and_b32 s11, s3, exec_lo
.LBB1453_174:
	s_wait_alu 0xfffe
	s_or_b32 exec_lo, exec_lo, s4
	s_delay_alu instid0(SALU_CYCLE_1)
	s_or_not1_b32 s4, s11, exec_lo
.LBB1453_175:
	s_wait_alu 0xfffe
	s_or_b32 exec_lo, exec_lo, s10
	v_cndmask_b32_e64 v18, v20, v21, s4
	v_cndmask_b32_e64 v19, v32, v31, s4
	s_mov_b32 s10, exec_lo
	s_delay_alu instid0(VALU_DEP_2) | instskip(NEXT) | instid1(VALU_DEP_2)
	v_add_nc_u32_e32 v23, 1, v18
	v_add_nc_u32_e32 v19, -1, v19
	v_lshl_add_u32 v18, v18, 3, v2
	s_delay_alu instid0(VALU_DEP_3) | instskip(NEXT) | instid1(VALU_DEP_3)
	v_cndmask_b32_e64 v22, v23, v20, s4
	v_min_u32_e32 v19, v23, v19
	v_cndmask_b32_e64 v23, v21, v23, s4
	s_delay_alu instid0(VALU_DEP_2)
	v_lshl_add_u32 v19, v19, 2, v3
	ds_load_b32 v36, v19
	ds_load_b64 v[18:19], v18 offset:4096
	s_wait_dscnt 0x1
	v_cndmask_b32_e64 v30, v36, v34, s4
	v_cndmask_b32_e64 v36, v35, v36, s4
	v_cmpx_lt_u32_e64 v22, v32
	s_cbranch_execz .LBB1453_179
; %bb.176:
	s_mov_b32 s11, 0
	s_mov_b32 s9, exec_lo
	v_cmpx_lt_u32_e64 v23, v31
	s_cbranch_execz .LBB1453_178
; %bb.177:
	v_dual_add_f32 v20, 0, v36 :: v_dual_add_f32 v21, 0, v30
	s_delay_alu instid0(VALU_DEP_1) | instskip(NEXT) | instid1(VALU_DEP_2)
	v_ashrrev_i32_e32 v37, 31, v20
	v_ashrrev_i32_e32 v38, 31, v21
	s_delay_alu instid0(VALU_DEP_2) | instskip(NEXT) | instid1(VALU_DEP_2)
	v_or_b32_e32 v37, 0x80000000, v37
	v_or_b32_e32 v38, 0x80000000, v38
	s_delay_alu instid0(VALU_DEP_2) | instskip(NEXT) | instid1(VALU_DEP_2)
	v_xor_b32_e32 v20, v37, v20
	v_xor_b32_e32 v21, v38, v21
	s_delay_alu instid0(VALU_DEP_1)
	v_cmp_le_u32_e64 s3, v20, v21
	s_and_b32 s11, s3, exec_lo
.LBB1453_178:
	s_wait_alu 0xfffe
	s_or_b32 exec_lo, exec_lo, s9
	s_delay_alu instid0(SALU_CYCLE_1)
	s_or_not1_b32 s9, s11, exec_lo
.LBB1453_179:
	s_wait_alu 0xfffe
	s_or_b32 exec_lo, exec_lo, s10
	v_cndmask_b32_e64 v20, v22, v23, s9
	v_cndmask_b32_e64 v21, v32, v31, s9
	s_mov_b32 s11, -1
	s_mov_b32 s10, exec_lo
	s_delay_alu instid0(VALU_DEP_2) | instskip(NEXT) | instid1(VALU_DEP_2)
	v_add_nc_u32_e32 v37, 1, v20
	v_add_nc_u32_e32 v21, -1, v21
	v_lshl_add_u32 v20, v20, 3, v2
	s_delay_alu instid0(VALU_DEP_3) | instskip(NEXT) | instid1(VALU_DEP_3)
	v_cndmask_b32_e64 v22, v37, v22, s9
	v_min_u32_e32 v21, v37, v21
	v_cndmask_b32_e64 v23, v23, v37, s9
	s_delay_alu instid0(VALU_DEP_2)
	v_lshl_add_u32 v21, v21, 2, v3
	ds_load_b32 v38, v21
	ds_load_b64 v[20:21], v20 offset:4096
	s_wait_dscnt 0x1
	v_cndmask_b32_e64 v37, v38, v30, s9
	v_cndmask_b32_e64 v38, v36, v38, s9
	v_cmpx_lt_u32_e64 v22, v32
	s_cbranch_execz .LBB1453_183
; %bb.180:
	s_mov_b32 s12, 0
	s_mov_b32 s11, exec_lo
	v_cmpx_lt_u32_e64 v23, v31
	s_cbranch_execz .LBB1453_182
; %bb.181:
	v_dual_add_f32 v31, 0, v38 :: v_dual_add_f32 v32, 0, v37
	s_delay_alu instid0(VALU_DEP_1) | instskip(NEXT) | instid1(VALU_DEP_2)
	v_ashrrev_i32_e32 v39, 31, v31
	v_ashrrev_i32_e32 v52, 31, v32
	s_delay_alu instid0(VALU_DEP_2) | instskip(NEXT) | instid1(VALU_DEP_2)
	v_or_b32_e32 v39, 0x80000000, v39
	v_or_b32_e32 v52, 0x80000000, v52
	s_delay_alu instid0(VALU_DEP_2) | instskip(NEXT) | instid1(VALU_DEP_2)
	v_xor_b32_e32 v31, v39, v31
	v_xor_b32_e32 v32, v52, v32
	s_delay_alu instid0(VALU_DEP_1)
	v_cmp_le_u32_e64 s3, v31, v32
	s_and_b32 s12, s3, exec_lo
.LBB1453_182:
	s_wait_alu 0xfffe
	s_or_b32 exec_lo, exec_lo, s11
	s_delay_alu instid0(SALU_CYCLE_1)
	s_or_not1_b32 s11, s12, exec_lo
.LBB1453_183:
	s_wait_alu 0xfffe
	s_or_b32 exec_lo, exec_lo, s10
	v_cndmask_b32_e64 v22, v22, v23, s11
	v_cndmask_b32_e64 v30, v30, v36, s9
	;; [unrolled: 1-line block ×5, first 2 shown]
	v_lshl_add_u32 v22, v22, 3, v2
	ds_load_b64 v[22:23], v22 offset:4096
.LBB1453_184:
	s_wait_alu 0xfffe
	s_or_b32 exec_lo, exec_lo, s7
	v_and_b32_e32 v33, 0x60, v51
	; wave barrier
	ds_store_b32 v7, v53
	ds_store_b64 v27, v[16:17]
	s_mov_b32 s4, exec_lo
	v_or_b32_e32 v31, 16, v33
	ds_store_b32 v15, v52
	ds_store_b64 v24, v[18:19]
	ds_store_b32 v25, v30
	s_wait_dscnt 0x6
	ds_store_b64 v28, v[20:21]
	ds_store_b32 v26, v9
	s_wait_dscnt 0x7
	ds_store_b64 v29, v[22:23]
	; wave barrier
	v_min_u32_e32 v31, v6, v31
	s_delay_alu instid0(VALU_DEP_1) | instskip(SKIP_1) | instid1(VALU_DEP_2)
	v_add_nc_u32_e32 v32, 16, v31
	v_sub_nc_u32_e32 v35, v31, v33
	v_min_u32_e32 v32, v6, v32
	v_min_u32_e32 v6, v6, v12
	s_delay_alu instid0(VALU_DEP_2) | instskip(NEXT) | instid1(VALU_DEP_2)
	v_sub_nc_u32_e32 v34, v32, v31
	v_min_u32_e32 v27, v6, v35
	s_delay_alu instid0(VALU_DEP_2) | instskip(NEXT) | instid1(VALU_DEP_1)
	v_sub_nc_u32_e64 v7, v6, v34 clamp
	v_cmpx_lt_u32_e64 v7, v27
	s_cbranch_execz .LBB1453_188
; %bb.185:
	v_lshlrev_b32_e32 v15, 2, v33
	v_lshlrev_b32_e32 v24, 2, v31
	s_mov_b32 s7, 0
	s_delay_alu instid0(VALU_DEP_2) | instskip(NEXT) | instid1(VALU_DEP_2)
	v_add_co_u32 v15, null, v3, v15
	v_add_co_u32 v24, null, v3, v24
.LBB1453_186:                           ; =>This Inner Loop Header: Depth=1
	v_add_nc_u32_e32 v25, v27, v7
	s_delay_alu instid0(VALU_DEP_1) | instskip(NEXT) | instid1(VALU_DEP_1)
	v_lshrrev_b32_e32 v25, 1, v25
	v_xad_u32 v26, v25, -1, v6
	v_lshl_add_u32 v28, v25, 2, v15
	s_delay_alu instid0(VALU_DEP_2)
	v_lshl_add_u32 v26, v26, 2, v24
	ds_load_b32 v28, v28
	ds_load_b32 v26, v26
	s_wait_dscnt 0x1
	v_add_f32_e32 v28, 0, v28
	s_wait_dscnt 0x0
	v_add_f32_e32 v26, 0, v26
	s_delay_alu instid0(VALU_DEP_2) | instskip(NEXT) | instid1(VALU_DEP_1)
	v_ashrrev_i32_e32 v29, 31, v28
	v_or_b32_e32 v29, 0x80000000, v29
	s_delay_alu instid0(VALU_DEP_1) | instskip(SKIP_2) | instid1(VALU_DEP_1)
	v_xor_b32_e32 v28, v29, v28
	v_add_nc_u32_e32 v29, 1, v25
	v_ashrrev_i32_e32 v34, 31, v26
	v_or_b32_e32 v34, 0x80000000, v34
	s_delay_alu instid0(VALU_DEP_1) | instskip(NEXT) | instid1(VALU_DEP_1)
	v_xor_b32_e32 v26, v34, v26
	v_cmp_gt_u32_e64 s3, v28, v26
	s_wait_alu 0xf1ff
	s_delay_alu instid0(VALU_DEP_1) | instskip(SKIP_1) | instid1(VALU_DEP_1)
	v_cndmask_b32_e64 v27, v27, v25, s3
	v_cndmask_b32_e64 v7, v29, v7, s3
	v_cmp_ge_u32_e64 s3, v7, v27
	s_wait_alu 0xfffe
	s_or_b32 s7, s3, s7
	s_wait_alu 0xfffe
	s_and_not1_b32 exec_lo, exec_lo, s7
	s_cbranch_execnz .LBB1453_186
; %bb.187:
	s_or_b32 exec_lo, exec_lo, s7
.LBB1453_188:
	s_wait_alu 0xfffe
	s_or_b32 exec_lo, exec_lo, s4
	v_add_nc_u32_e32 v6, v31, v6
	v_add_nc_u32_e32 v15, v7, v33
	s_delay_alu instid0(VALU_DEP_2) | instskip(NEXT) | instid1(VALU_DEP_2)
	v_sub_nc_u32_e32 v24, v6, v7
	v_cmp_le_u32_e64 s3, v15, v31
	s_delay_alu instid0(VALU_DEP_2)
	v_cmp_le_u32_e64 s4, v24, v32
	s_or_b32 s3, s3, s4
	s_wait_alu 0xfffe
	s_and_saveexec_b32 s7, s3
	s_cbranch_execz .LBB1453_208
; %bb.189:
	v_cmp_ge_u32_e64 s3, v15, v31
	s_mov_b32 s8, exec_lo
                                        ; implicit-def: $vgpr6
	v_cmpx_lt_u32_e64 v15, v31
; %bb.190:
	v_lshl_add_u32 v6, v15, 2, v3
	ds_load_b32 v6, v6
; %bb.191:
	s_wait_alu 0xfffe
	s_or_b32 exec_lo, exec_lo, s8
	v_cmp_ge_u32_e64 s8, v24, v32
	s_mov_b32 s9, exec_lo
                                        ; implicit-def: $vgpr7
	v_cmpx_lt_u32_e64 v24, v32
; %bb.192:
	v_lshl_add_u32 v7, v24, 2, v3
	ds_load_b32 v7, v7
; %bb.193:
	s_wait_alu 0xfffe
	s_or_b32 exec_lo, exec_lo, s9
	s_nor_b32 s3, s3, s8
	s_wait_alu 0xfffe
	s_and_saveexec_b32 s4, s3
	s_cbranch_execz .LBB1453_195
; %bb.194:
	s_wait_dscnt 0x0
	v_dual_add_f32 v9, 0, v6 :: v_dual_add_f32 v16, 0, v7
	s_and_not1_b32 s8, s8, exec_lo
	s_delay_alu instid0(VALU_DEP_1) | instskip(NEXT) | instid1(VALU_DEP_2)
	v_ashrrev_i32_e32 v17, 31, v9
	v_ashrrev_i32_e32 v18, 31, v16
	s_delay_alu instid0(VALU_DEP_2) | instskip(NEXT) | instid1(VALU_DEP_2)
	v_or_b32_e32 v17, 0x80000000, v17
	v_or_b32_e32 v18, 0x80000000, v18
	s_delay_alu instid0(VALU_DEP_2) | instskip(NEXT) | instid1(VALU_DEP_2)
	v_xor_b32_e32 v9, v17, v9
	v_xor_b32_e32 v16, v18, v16
	s_delay_alu instid0(VALU_DEP_1)
	v_cmp_le_u32_e64 s3, v9, v16
	s_and_b32 s3, s3, exec_lo
	s_wait_alu 0xfffe
	s_or_b32 s8, s8, s3
.LBB1453_195:
	s_wait_alu 0xfffe
	s_or_b32 exec_lo, exec_lo, s4
	v_cndmask_b32_e64 v9, v24, v15, s8
	v_cndmask_b32_e64 v16, v32, v31, s8
	s_mov_b32 s9, -1
	s_mov_b32 s4, -1
	s_mov_b32 s10, exec_lo
	v_add_nc_u32_e32 v18, 1, v9
	v_add_nc_u32_e32 v16, -1, v16
	v_lshl_add_u32 v9, v9, 3, v2
	s_delay_alu instid0(VALU_DEP_3) | instskip(NEXT) | instid1(VALU_DEP_3)
	v_cndmask_b32_e64 v20, v18, v24, s8
	v_min_u32_e32 v16, v18, v16
	v_cndmask_b32_e64 v21, v15, v18, s8
	s_delay_alu instid0(VALU_DEP_2)
	v_lshl_add_u32 v16, v16, 2, v3
	ds_load_b32 v19, v16
	ds_load_b64 v[16:17], v9 offset:4096
	s_wait_dscnt 0x1
	v_cndmask_b32_e64 v9, v19, v7, s8
	v_cndmask_b32_e64 v15, v6, v19, s8
	v_cmpx_lt_u32_e64 v20, v32
	s_cbranch_execz .LBB1453_199
; %bb.196:
	s_mov_b32 s11, 0
	s_mov_b32 s4, exec_lo
	v_cmpx_lt_u32_e64 v21, v31
	s_cbranch_execz .LBB1453_198
; %bb.197:
	v_dual_add_f32 v18, 0, v15 :: v_dual_add_f32 v19, 0, v9
	s_delay_alu instid0(VALU_DEP_1) | instskip(NEXT) | instid1(VALU_DEP_2)
	v_ashrrev_i32_e32 v22, 31, v18
	v_ashrrev_i32_e32 v23, 31, v19
	s_delay_alu instid0(VALU_DEP_2) | instskip(NEXT) | instid1(VALU_DEP_2)
	v_or_b32_e32 v22, 0x80000000, v22
	v_or_b32_e32 v23, 0x80000000, v23
	s_delay_alu instid0(VALU_DEP_2) | instskip(NEXT) | instid1(VALU_DEP_2)
	v_xor_b32_e32 v18, v22, v18
	v_xor_b32_e32 v19, v23, v19
	s_delay_alu instid0(VALU_DEP_1)
	v_cmp_le_u32_e64 s3, v18, v19
	s_and_b32 s11, s3, exec_lo
.LBB1453_198:
	s_wait_alu 0xfffe
	s_or_b32 exec_lo, exec_lo, s4
	s_delay_alu instid0(SALU_CYCLE_1)
	s_or_not1_b32 s4, s11, exec_lo
.LBB1453_199:
	s_wait_alu 0xfffe
	s_or_b32 exec_lo, exec_lo, s10
	v_cndmask_b32_e64 v18, v20, v21, s4
	v_cndmask_b32_e64 v19, v32, v31, s4
	s_mov_b32 s10, exec_lo
	s_delay_alu instid0(VALU_DEP_2) | instskip(NEXT) | instid1(VALU_DEP_2)
	v_add_nc_u32_e32 v23, 1, v18
	v_add_nc_u32_e32 v19, -1, v19
	v_lshl_add_u32 v18, v18, 3, v2
	s_delay_alu instid0(VALU_DEP_3) | instskip(NEXT) | instid1(VALU_DEP_3)
	v_cndmask_b32_e64 v22, v23, v20, s4
	v_min_u32_e32 v19, v23, v19
	v_cndmask_b32_e64 v23, v21, v23, s4
	s_delay_alu instid0(VALU_DEP_2)
	v_lshl_add_u32 v19, v19, 2, v3
	ds_load_b32 v25, v19
	ds_load_b64 v[18:19], v18 offset:4096
	s_wait_dscnt 0x1
	v_cndmask_b32_e64 v24, v25, v9, s4
	v_cndmask_b32_e64 v25, v15, v25, s4
	v_cmpx_lt_u32_e64 v22, v32
	s_cbranch_execz .LBB1453_203
; %bb.200:
	s_mov_b32 s11, 0
	s_mov_b32 s9, exec_lo
	v_cmpx_lt_u32_e64 v23, v31
	s_cbranch_execz .LBB1453_202
; %bb.201:
	v_dual_add_f32 v20, 0, v25 :: v_dual_add_f32 v21, 0, v24
	s_delay_alu instid0(VALU_DEP_1) | instskip(NEXT) | instid1(VALU_DEP_2)
	v_ashrrev_i32_e32 v26, 31, v20
	v_ashrrev_i32_e32 v27, 31, v21
	s_delay_alu instid0(VALU_DEP_2) | instskip(NEXT) | instid1(VALU_DEP_2)
	v_or_b32_e32 v26, 0x80000000, v26
	v_or_b32_e32 v27, 0x80000000, v27
	s_delay_alu instid0(VALU_DEP_2) | instskip(NEXT) | instid1(VALU_DEP_2)
	v_xor_b32_e32 v20, v26, v20
	v_xor_b32_e32 v21, v27, v21
	s_delay_alu instid0(VALU_DEP_1)
	v_cmp_le_u32_e64 s3, v20, v21
	s_and_b32 s11, s3, exec_lo
.LBB1453_202:
	s_wait_alu 0xfffe
	s_or_b32 exec_lo, exec_lo, s9
	s_delay_alu instid0(SALU_CYCLE_1)
	s_or_not1_b32 s9, s11, exec_lo
.LBB1453_203:
	s_wait_alu 0xfffe
	s_or_b32 exec_lo, exec_lo, s10
	v_cndmask_b32_e64 v20, v22, v23, s9
	v_cndmask_b32_e64 v21, v32, v31, s9
	s_mov_b32 s11, -1
	s_mov_b32 s10, exec_lo
	s_delay_alu instid0(VALU_DEP_2) | instskip(NEXT) | instid1(VALU_DEP_2)
	v_add_nc_u32_e32 v26, 1, v20
	v_add_nc_u32_e32 v21, -1, v21
	s_delay_alu instid0(VALU_DEP_2) | instskip(NEXT) | instid1(VALU_DEP_2)
	v_cndmask_b32_e64 v22, v26, v22, s9
	v_min_u32_e32 v21, v26, v21
	v_cndmask_b32_e64 v23, v23, v26, s9
	s_delay_alu instid0(VALU_DEP_2)
	v_lshl_add_u32 v3, v21, 2, v3
	ds_load_b32 v27, v3
	v_lshl_add_u32 v3, v20, 3, v2
	ds_load_b64 v[20:21], v3 offset:4096
	s_wait_dscnt 0x1
	v_cndmask_b32_e64 v3, v27, v24, s9
	v_cndmask_b32_e64 v26, v25, v27, s9
	v_cmpx_lt_u32_e64 v22, v32
	s_cbranch_execz .LBB1453_207
; %bb.204:
	s_mov_b32 s12, 0
	s_mov_b32 s11, exec_lo
	v_cmpx_lt_u32_e64 v23, v31
	s_cbranch_execz .LBB1453_206
; %bb.205:
	v_dual_add_f32 v27, 0, v26 :: v_dual_add_f32 v28, 0, v3
	s_delay_alu instid0(VALU_DEP_1) | instskip(NEXT) | instid1(VALU_DEP_2)
	v_ashrrev_i32_e32 v29, 31, v27
	v_ashrrev_i32_e32 v30, 31, v28
	s_delay_alu instid0(VALU_DEP_2) | instskip(NEXT) | instid1(VALU_DEP_2)
	v_or_b32_e32 v29, 0x80000000, v29
	v_or_b32_e32 v30, 0x80000000, v30
	s_delay_alu instid0(VALU_DEP_2) | instskip(NEXT) | instid1(VALU_DEP_2)
	v_xor_b32_e32 v27, v29, v27
	v_xor_b32_e32 v28, v30, v28
	s_delay_alu instid0(VALU_DEP_1)
	v_cmp_le_u32_e64 s3, v27, v28
	s_and_b32 s12, s3, exec_lo
.LBB1453_206:
	s_wait_alu 0xfffe
	s_or_b32 exec_lo, exec_lo, s11
	s_delay_alu instid0(SALU_CYCLE_1)
	s_or_not1_b32 s11, s12, exec_lo
.LBB1453_207:
	s_wait_alu 0xfffe
	s_or_b32 exec_lo, exec_lo, s10
	v_cndmask_b32_e64 v22, v22, v23, s11
	v_cndmask_b32_e64 v30, v24, v25, s9
	;; [unrolled: 1-line block ×5, first 2 shown]
	v_lshl_add_u32 v2, v22, 3, v2
	ds_load_b64 v[22:23], v2 offset:4096
.LBB1453_208:
	s_wait_alu 0xfffe
	s_or_b32 exec_lo, exec_lo, s7
	v_add_co_u32 v2, s3, v4, v48
	s_wait_alu 0xf1ff
	v_add_co_ci_u32_e64 v3, null, v5, v49, s3
	s_delay_alu instid0(VALU_DEP_2) | instskip(SKIP_1) | instid1(VALU_DEP_2)
	v_add_co_u32 v2, s3, v2, v50
	s_wait_alu 0xf1ff
	v_add_co_ci_u32_e64 v3, null, 0, v3, s3
	; wave barrier
	s_wait_storecnt_dscnt 0x0
	s_barrier_signal -1
	s_barrier_wait -1
	global_inv scope:SCOPE_SE
	; wave barrier
	s_and_saveexec_b32 s3, vcc_lo
	s_cbranch_execnz .LBB1453_230
; %bb.209:
	s_wait_alu 0xfffe
	s_or_b32 exec_lo, exec_lo, s3
	s_and_saveexec_b32 s3, s0
	s_cbranch_execnz .LBB1453_231
.LBB1453_210:
	s_wait_alu 0xfffe
	s_or_b32 exec_lo, exec_lo, s3
	s_and_saveexec_b32 s3, s2
	s_cbranch_execnz .LBB1453_232
.LBB1453_211:
	s_wait_alu 0xfffe
	s_or_b32 exec_lo, exec_lo, s3
	s_and_saveexec_b32 s3, s1
	s_cbranch_execz .LBB1453_213
.LBB1453_212:
	flat_store_b32 v[2:3], v9 offset:12
.LBB1453_213:
	s_wait_alu 0xfffe
	s_or_b32 exec_lo, exec_lo, s3
	v_add_co_u32 v0, s3, v10, v0
	s_wait_alu 0xf1ff
	v_add_co_ci_u32_e64 v1, null, v11, v1, s3
	s_delay_alu instid0(VALU_DEP_2) | instskip(SKIP_1) | instid1(VALU_DEP_2)
	v_add_co_u32 v0, s3, v0, v8
	s_wait_alu 0xf1ff
	v_add_co_ci_u32_e64 v1, null, 0, v1, s3
	; wave barrier
	s_and_saveexec_b32 s3, vcc_lo
	s_cbranch_execnz .LBB1453_233
; %bb.214:
	s_wait_alu 0xfffe
	s_or_b32 exec_lo, exec_lo, s3
	s_and_saveexec_b32 s3, s0
	s_cbranch_execnz .LBB1453_234
.LBB1453_215:
	s_wait_alu 0xfffe
	s_or_b32 exec_lo, exec_lo, s3
	s_and_saveexec_b32 s0, s2
	s_cbranch_execz .LBB1453_217
.LBB1453_216:
	flat_store_b64 v[0:1], v[20:21] offset:16
.LBB1453_217:
	s_wait_alu 0xfffe
	s_or_b32 exec_lo, exec_lo, s0
	v_dual_mov_b32 v8, v10 :: v_dual_mov_b32 v9, v11
	s_and_not1_b32 s0, s5, exec_lo
	s_and_b32 s1, s1, exec_lo
	s_wait_alu 0xfffe
	s_or_b32 s5, s0, s1
	s_or_b32 exec_lo, exec_lo, s6
	s_wait_alu 0xfffe
	s_and_saveexec_b32 s0, s5
	s_cbranch_execz .LBB1453_3
.LBB1453_218:
	v_lshlrev_b64_e32 v[0:1], 3, v[13:14]
	v_lshlrev_b32_e32 v2, 3, v12
	s_delay_alu instid0(VALU_DEP_2) | instskip(SKIP_1) | instid1(VALU_DEP_3)
	v_add_co_u32 v0, vcc_lo, v8, v0
	s_wait_alu 0xfffd
	v_add_co_ci_u32_e64 v1, null, v9, v1, vcc_lo
	s_delay_alu instid0(VALU_DEP_2) | instskip(SKIP_1) | instid1(VALU_DEP_2)
	v_add_co_u32 v0, vcc_lo, v0, v2
	s_wait_alu 0xfffd
	v_add_co_ci_u32_e64 v1, null, 0, v1, vcc_lo
	flat_store_b64 v[0:1], v[22:23] offset:24
	s_wait_alu 0xfffe
	s_or_b32 exec_lo, exec_lo, s0
	s_wait_loadcnt_dscnt 0x0
	s_setpc_b64 s[30:31]
.LBB1453_219:
	flat_load_b64 v[17:18], v[4:5]
	v_dual_mov_b32 v23, v16 :: v_dual_mov_b32 v24, v16
	v_dual_mov_b32 v19, v16 :: v_dual_mov_b32 v20, v16
	;; [unrolled: 1-line block ×3, first 2 shown]
	s_wait_loadcnt_dscnt 0x0
	v_mov_b32_e32 v16, v17
	v_mov_b32_e32 v17, v18
	;; [unrolled: 1-line block ×8, first 2 shown]
	s_wait_alu 0xfffe
	s_or_b32 exec_lo, exec_lo, s3
	s_and_saveexec_b32 s3, s0
	s_cbranch_execz .LBB1453_14
.LBB1453_220:
	flat_load_b64 v[18:19], v[4:5] offset:8
	s_wait_alu 0xfffe
	s_or_b32 exec_lo, exec_lo, s3
	s_and_saveexec_b32 s3, s1
	s_cbranch_execz .LBB1453_15
.LBB1453_221:
	flat_load_b64 v[20:21], v[4:5] offset:16
	s_wait_alu 0xfffe
	s_or_b32 exec_lo, exec_lo, s3
	s_and_saveexec_b32 s3, s2
	s_cbranch_execnz .LBB1453_16
	s_branch .LBB1453_17
.LBB1453_222:
	flat_store_b32 v[2:3], v53
	s_wait_alu 0xfffe
	s_or_b32 exec_lo, exec_lo, s3
	s_and_saveexec_b32 s3, s0
	s_cbranch_execz .LBB1453_103
.LBB1453_223:
	flat_store_b32 v[2:3], v52 offset:4
	s_wait_alu 0xfffe
	s_or_b32 exec_lo, exec_lo, s3
	s_and_saveexec_b32 s3, s1
	s_cbranch_execz .LBB1453_104
.LBB1453_224:
	flat_store_b32 v[2:3], v30 offset:8
	s_wait_alu 0xfffe
	s_or_b32 exec_lo, exec_lo, s3
	s_and_saveexec_b32 s3, s2
	s_cbranch_execnz .LBB1453_105
	s_branch .LBB1453_106
.LBB1453_225:
	flat_store_b64 v[0:1], v[16:17]
	s_wait_alu 0xfffe
	s_or_b32 exec_lo, exec_lo, s3
	s_and_saveexec_b32 s3, s0
	s_cbranch_execz .LBB1453_108
.LBB1453_226:
	flat_store_b64 v[0:1], v[18:19] offset:8
	s_wait_alu 0xfffe
	s_or_b32 exec_lo, exec_lo, s3
	s_and_saveexec_b32 s0, s1
	s_cbranch_execnz .LBB1453_109
	s_branch .LBB1453_110
.LBB1453_227:
	flat_load_b64 v[17:18], v[2:3]
	v_dual_mov_b32 v23, v16 :: v_dual_mov_b32 v24, v16
	v_dual_mov_b32 v19, v16 :: v_dual_mov_b32 v20, v16
	v_dual_mov_b32 v21, v16 :: v_dual_mov_b32 v22, v16
	s_wait_loadcnt_dscnt 0x0
	v_mov_b32_e32 v16, v17
	v_mov_b32_e32 v17, v18
	;; [unrolled: 1-line block ×8, first 2 shown]
	s_wait_alu 0xfffe
	s_or_b32 exec_lo, exec_lo, s3
	s_and_saveexec_b32 s3, s0
	s_cbranch_execz .LBB1453_121
.LBB1453_228:
	flat_load_b64 v[18:19], v[2:3] offset:8
	s_wait_alu 0xfffe
	s_or_b32 exec_lo, exec_lo, s3
	s_and_saveexec_b32 s3, s2
	s_cbranch_execz .LBB1453_122
.LBB1453_229:
	flat_load_b64 v[20:21], v[2:3] offset:16
	s_wait_alu 0xfffe
	s_or_b32 exec_lo, exec_lo, s3
	s_and_saveexec_b32 s3, s1
	s_cbranch_execnz .LBB1453_123
	s_branch .LBB1453_124
.LBB1453_230:
	flat_store_b32 v[2:3], v53
	s_wait_alu 0xfffe
	s_or_b32 exec_lo, exec_lo, s3
	s_and_saveexec_b32 s3, s0
	s_cbranch_execz .LBB1453_210
.LBB1453_231:
	flat_store_b32 v[2:3], v52 offset:4
	s_wait_alu 0xfffe
	s_or_b32 exec_lo, exec_lo, s3
	s_and_saveexec_b32 s3, s2
	s_cbranch_execz .LBB1453_211
.LBB1453_232:
	flat_store_b32 v[2:3], v30 offset:8
	s_wait_alu 0xfffe
	s_or_b32 exec_lo, exec_lo, s3
	s_and_saveexec_b32 s3, s1
	s_cbranch_execnz .LBB1453_212
	s_branch .LBB1453_213
.LBB1453_233:
	flat_store_b64 v[0:1], v[16:17]
	s_wait_alu 0xfffe
	s_or_b32 exec_lo, exec_lo, s3
	s_and_saveexec_b32 s3, s0
	s_cbranch_execz .LBB1453_215
.LBB1453_234:
	flat_store_b64 v[0:1], v[18:19] offset:8
	s_wait_alu 0xfffe
	s_or_b32 exec_lo, exec_lo, s3
	s_and_saveexec_b32 s0, s2
	s_cbranch_execnz .LBB1453_216
	s_branch .LBB1453_217
.Lfunc_end1453:
	.size	_ZN7rocprim17ROCPRIM_400000_NS6detail26segmented_warp_sort_helperINS1_20WarpSortHelperConfigILj8ELj4ELj256EEEflLi256ELb0EvE4sortIPKfPfPKlPlEEvT_S9_T0_T1_SC_T2_bjjjjRNS5_12storage_typeE, .Lfunc_end1453-_ZN7rocprim17ROCPRIM_400000_NS6detail26segmented_warp_sort_helperINS1_20WarpSortHelperConfigILj8ELj4ELj256EEEflLi256ELb0EvE4sortIPKfPfPKlPlEEvT_S9_T0_T1_SC_T2_bjjjjRNS5_12storage_typeE
                                        ; -- End function
	.set .L_ZN7rocprim17ROCPRIM_400000_NS6detail26segmented_warp_sort_helperINS1_20WarpSortHelperConfigILj8ELj4ELj256EEEflLi256ELb0EvE4sortIPKfPfPKlPlEEvT_S9_T0_T1_SC_T2_bjjjjRNS5_12storage_typeE.num_vgpr, 66
	.set .L_ZN7rocprim17ROCPRIM_400000_NS6detail26segmented_warp_sort_helperINS1_20WarpSortHelperConfigILj8ELj4ELj256EEEflLi256ELb0EvE4sortIPKfPfPKlPlEEvT_S9_T0_T1_SC_T2_bjjjjRNS5_12storage_typeE.num_agpr, 0
	.set .L_ZN7rocprim17ROCPRIM_400000_NS6detail26segmented_warp_sort_helperINS1_20WarpSortHelperConfigILj8ELj4ELj256EEEflLi256ELb0EvE4sortIPKfPfPKlPlEEvT_S9_T0_T1_SC_T2_bjjjjRNS5_12storage_typeE.numbered_sgpr, 32
	.set .L_ZN7rocprim17ROCPRIM_400000_NS6detail26segmented_warp_sort_helperINS1_20WarpSortHelperConfigILj8ELj4ELj256EEEflLi256ELb0EvE4sortIPKfPfPKlPlEEvT_S9_T0_T1_SC_T2_bjjjjRNS5_12storage_typeE.num_named_barrier, 0
	.set .L_ZN7rocprim17ROCPRIM_400000_NS6detail26segmented_warp_sort_helperINS1_20WarpSortHelperConfigILj8ELj4ELj256EEEflLi256ELb0EvE4sortIPKfPfPKlPlEEvT_S9_T0_T1_SC_T2_bjjjjRNS5_12storage_typeE.private_seg_size, 0
	.set .L_ZN7rocprim17ROCPRIM_400000_NS6detail26segmented_warp_sort_helperINS1_20WarpSortHelperConfigILj8ELj4ELj256EEEflLi256ELb0EvE4sortIPKfPfPKlPlEEvT_S9_T0_T1_SC_T2_bjjjjRNS5_12storage_typeE.uses_vcc, 1
	.set .L_ZN7rocprim17ROCPRIM_400000_NS6detail26segmented_warp_sort_helperINS1_20WarpSortHelperConfigILj8ELj4ELj256EEEflLi256ELb0EvE4sortIPKfPfPKlPlEEvT_S9_T0_T1_SC_T2_bjjjjRNS5_12storage_typeE.uses_flat_scratch, 0
	.set .L_ZN7rocprim17ROCPRIM_400000_NS6detail26segmented_warp_sort_helperINS1_20WarpSortHelperConfigILj8ELj4ELj256EEEflLi256ELb0EvE4sortIPKfPfPKlPlEEvT_S9_T0_T1_SC_T2_bjjjjRNS5_12storage_typeE.has_dyn_sized_stack, 0
	.set .L_ZN7rocprim17ROCPRIM_400000_NS6detail26segmented_warp_sort_helperINS1_20WarpSortHelperConfigILj8ELj4ELj256EEEflLi256ELb0EvE4sortIPKfPfPKlPlEEvT_S9_T0_T1_SC_T2_bjjjjRNS5_12storage_typeE.has_recursion, 0
	.set .L_ZN7rocprim17ROCPRIM_400000_NS6detail26segmented_warp_sort_helperINS1_20WarpSortHelperConfigILj8ELj4ELj256EEEflLi256ELb0EvE4sortIPKfPfPKlPlEEvT_S9_T0_T1_SC_T2_bjjjjRNS5_12storage_typeE.has_indirect_call, 0
	.section	.AMDGPU.csdata,"",@progbits
; Function info:
; codeLenInByte = 12576
; TotalNumSgprs: 34
; NumVgprs: 66
; ScratchSize: 0
; MemoryBound: 1
	.section	.text._ZN7rocprim17ROCPRIM_400000_NS6detail17trampoline_kernelINS0_14default_configENS1_36segmented_radix_sort_config_selectorIflEEZNS1_25segmented_radix_sort_implIS3_Lb0EPKfPfPKlPlN2at6native12_GLOBAL__N_18offset_tEEE10hipError_tPvRmT1_PNSt15iterator_traitsISK_E10value_typeET2_T3_PNSL_ISQ_E10value_typeET4_jRbjT5_SW_jjP12ihipStream_tbEUlT_E1_NS1_11comp_targetILNS1_3genE10ELNS1_11target_archE1201ELNS1_3gpuE5ELNS1_3repE0EEENS1_59segmented_radix_sort_warp_sort_small_config_static_selectorELNS0_4arch9wavefront6targetE0EEEvSK_,"axG",@progbits,_ZN7rocprim17ROCPRIM_400000_NS6detail17trampoline_kernelINS0_14default_configENS1_36segmented_radix_sort_config_selectorIflEEZNS1_25segmented_radix_sort_implIS3_Lb0EPKfPfPKlPlN2at6native12_GLOBAL__N_18offset_tEEE10hipError_tPvRmT1_PNSt15iterator_traitsISK_E10value_typeET2_T3_PNSL_ISQ_E10value_typeET4_jRbjT5_SW_jjP12ihipStream_tbEUlT_E1_NS1_11comp_targetILNS1_3genE10ELNS1_11target_archE1201ELNS1_3gpuE5ELNS1_3repE0EEENS1_59segmented_radix_sort_warp_sort_small_config_static_selectorELNS0_4arch9wavefront6targetE0EEEvSK_,comdat
	.globl	_ZN7rocprim17ROCPRIM_400000_NS6detail17trampoline_kernelINS0_14default_configENS1_36segmented_radix_sort_config_selectorIflEEZNS1_25segmented_radix_sort_implIS3_Lb0EPKfPfPKlPlN2at6native12_GLOBAL__N_18offset_tEEE10hipError_tPvRmT1_PNSt15iterator_traitsISK_E10value_typeET2_T3_PNSL_ISQ_E10value_typeET4_jRbjT5_SW_jjP12ihipStream_tbEUlT_E1_NS1_11comp_targetILNS1_3genE10ELNS1_11target_archE1201ELNS1_3gpuE5ELNS1_3repE0EEENS1_59segmented_radix_sort_warp_sort_small_config_static_selectorELNS0_4arch9wavefront6targetE0EEEvSK_ ; -- Begin function _ZN7rocprim17ROCPRIM_400000_NS6detail17trampoline_kernelINS0_14default_configENS1_36segmented_radix_sort_config_selectorIflEEZNS1_25segmented_radix_sort_implIS3_Lb0EPKfPfPKlPlN2at6native12_GLOBAL__N_18offset_tEEE10hipError_tPvRmT1_PNSt15iterator_traitsISK_E10value_typeET2_T3_PNSL_ISQ_E10value_typeET4_jRbjT5_SW_jjP12ihipStream_tbEUlT_E1_NS1_11comp_targetILNS1_3genE10ELNS1_11target_archE1201ELNS1_3gpuE5ELNS1_3repE0EEENS1_59segmented_radix_sort_warp_sort_small_config_static_selectorELNS0_4arch9wavefront6targetE0EEEvSK_
	.p2align	8
	.type	_ZN7rocprim17ROCPRIM_400000_NS6detail17trampoline_kernelINS0_14default_configENS1_36segmented_radix_sort_config_selectorIflEEZNS1_25segmented_radix_sort_implIS3_Lb0EPKfPfPKlPlN2at6native12_GLOBAL__N_18offset_tEEE10hipError_tPvRmT1_PNSt15iterator_traitsISK_E10value_typeET2_T3_PNSL_ISQ_E10value_typeET4_jRbjT5_SW_jjP12ihipStream_tbEUlT_E1_NS1_11comp_targetILNS1_3genE10ELNS1_11target_archE1201ELNS1_3gpuE5ELNS1_3repE0EEENS1_59segmented_radix_sort_warp_sort_small_config_static_selectorELNS0_4arch9wavefront6targetE0EEEvSK_,@function
_ZN7rocprim17ROCPRIM_400000_NS6detail17trampoline_kernelINS0_14default_configENS1_36segmented_radix_sort_config_selectorIflEEZNS1_25segmented_radix_sort_implIS3_Lb0EPKfPfPKlPlN2at6native12_GLOBAL__N_18offset_tEEE10hipError_tPvRmT1_PNSt15iterator_traitsISK_E10value_typeET2_T3_PNSL_ISQ_E10value_typeET4_jRbjT5_SW_jjP12ihipStream_tbEUlT_E1_NS1_11comp_targetILNS1_3genE10ELNS1_11target_archE1201ELNS1_3gpuE5ELNS1_3repE0EEENS1_59segmented_radix_sort_warp_sort_small_config_static_selectorELNS0_4arch9wavefront6targetE0EEEvSK_: ; @_ZN7rocprim17ROCPRIM_400000_NS6detail17trampoline_kernelINS0_14default_configENS1_36segmented_radix_sort_config_selectorIflEEZNS1_25segmented_radix_sort_implIS3_Lb0EPKfPfPKlPlN2at6native12_GLOBAL__N_18offset_tEEE10hipError_tPvRmT1_PNSt15iterator_traitsISK_E10value_typeET2_T3_PNSL_ISQ_E10value_typeET4_jRbjT5_SW_jjP12ihipStream_tbEUlT_E1_NS1_11comp_targetILNS1_3genE10ELNS1_11target_archE1201ELNS1_3gpuE5ELNS1_3repE0EEENS1_59segmented_radix_sort_warp_sort_small_config_static_selectorELNS0_4arch9wavefront6targetE0EEEvSK_
; %bb.0:
	s_load_b32 s2, s[0:1], 0x64
	v_bfe_u32 v1, v0, 10, 10
	v_bfe_u32 v2, v0, 20, 10
	s_mov_b32 s32, 0
	s_wait_kmcnt 0x0
	s_lshr_b32 s3, s2, 16
	s_and_b32 s2, s2, 0xffff
	v_mad_u32_u24 v2, v2, s3, v1
	v_and_b32_e32 v1, 0x3ff, v0
	s_load_b32 s3, s[0:1], 0x34
	s_delay_alu instid0(VALU_DEP_1) | instskip(SKIP_2) | instid1(VALU_DEP_1)
	v_mad_co_u64_u32 v[1:2], null, v2, s2, v[1:2]
	s_mov_b32 s2, exec_lo
	v_lshrrev_b32_e32 v1, 3, v1
	v_lshl_add_u32 v1, ttmp9, 5, v1
	s_wait_kmcnt 0x0
	s_delay_alu instid0(VALU_DEP_1)
	v_cmpx_gt_u32_e64 s3, v1
	s_cbranch_execz .LBB1454_3
; %bb.1:
	s_clause 0x1
	s_load_b64 s[2:3], s[0:1], 0x38
	s_load_b128 s[4:7], s[0:1], 0x40
	v_mov_b32_e32 v2, 0
	s_delay_alu instid0(VALU_DEP_1) | instskip(SKIP_1) | instid1(VALU_DEP_1)
	v_lshlrev_b64_e32 v[1:2], 2, v[1:2]
	s_wait_kmcnt 0x0
	v_sub_co_u32 v1, vcc_lo, s2, v1
	s_delay_alu instid0(VALU_DEP_1) | instskip(SKIP_4) | instid1(VALU_DEP_2)
	v_sub_co_ci_u32_e64 v2, null, s3, v2, vcc_lo
	global_load_b32 v1, v[1:2], off offset:-4
	s_wait_loadcnt 0x0
	v_add_nc_u32_e32 v2, s5, v1
	v_add_nc_u32_e32 v1, s7, v1
	v_mul_lo_u32 v13, v2, s4
	s_delay_alu instid0(VALU_DEP_2) | instskip(NEXT) | instid1(VALU_DEP_1)
	v_mul_lo_u32 v14, v1, s6
	v_cmp_gt_u32_e32 vcc_lo, v14, v13
	s_and_b32 exec_lo, exec_lo, vcc_lo
	s_cbranch_execz .LBB1454_3
; %bb.2:
	s_mov_b64 s[2:3], src_shared_base
	s_clause 0x2
	s_load_b32 s2, s[0:1], 0x30
	s_load_b256 s[12:19], s[0:1], 0x0
	s_load_b128 s[4:7], s[0:1], 0x20
	s_add_nc_u64 s[8:9], s[0:1], 0x58
	s_getpc_b64 s[0:1]
	s_wait_alu 0xfffe
	s_sext_i32_i16 s1, s1
	s_add_co_u32 s0, s0, _ZN7rocprim17ROCPRIM_400000_NS6detail26segmented_warp_sort_helperINS1_20WarpSortHelperConfigILj8ELj4ELj256EEEflLi256ELb0EvE4sortIPKfPfPKlPlEEvT_S9_T0_T1_SC_T2_bjjjjRNS5_12storage_typeE@rel32@lo+12
	s_wait_alu 0xfffe
	s_add_co_ci_u32 s1, s1, _ZN7rocprim17ROCPRIM_400000_NS6detail26segmented_warp_sort_helperINS1_20WarpSortHelperConfigILj8ELj4ELj256EEEflLi256ELb0EvE4sortIPKfPfPKlPlEEvT_S9_T0_T1_SC_T2_bjjjjRNS5_12storage_typeE@rel32@hi+24
	v_mov_b32_e32 v31, v0
	v_dual_mov_b32 v15, 0 :: v_dual_mov_b32 v16, s3
	s_wait_kmcnt 0x0
	s_and_b32 s2, s2, 0xff
	v_dual_mov_b32 v0, s12 :: v_dual_mov_b32 v1, s13
	v_dual_mov_b32 v2, s14 :: v_dual_mov_b32 v3, s15
	;; [unrolled: 1-line block ×6, first 2 shown]
	s_wait_alu 0xfffe
	v_mov_b32_e32 v12, s2
	s_swappc_b64 s[30:31], s[0:1]
.LBB1454_3:
	s_endpgm
	.section	.rodata,"a",@progbits
	.p2align	6, 0x0
	.amdhsa_kernel _ZN7rocprim17ROCPRIM_400000_NS6detail17trampoline_kernelINS0_14default_configENS1_36segmented_radix_sort_config_selectorIflEEZNS1_25segmented_radix_sort_implIS3_Lb0EPKfPfPKlPlN2at6native12_GLOBAL__N_18offset_tEEE10hipError_tPvRmT1_PNSt15iterator_traitsISK_E10value_typeET2_T3_PNSL_ISQ_E10value_typeET4_jRbjT5_SW_jjP12ihipStream_tbEUlT_E1_NS1_11comp_targetILNS1_3genE10ELNS1_11target_archE1201ELNS1_3gpuE5ELNS1_3repE0EEENS1_59segmented_radix_sort_warp_sort_small_config_static_selectorELNS0_4arch9wavefront6targetE0EEEvSK_
		.amdhsa_group_segment_fixed_size 12288
		.amdhsa_private_segment_fixed_size 0
		.amdhsa_kernarg_size 344
		.amdhsa_user_sgpr_count 2
		.amdhsa_user_sgpr_dispatch_ptr 0
		.amdhsa_user_sgpr_queue_ptr 0
		.amdhsa_user_sgpr_kernarg_segment_ptr 1
		.amdhsa_user_sgpr_dispatch_id 0
		.amdhsa_user_sgpr_private_segment_size 0
		.amdhsa_wavefront_size32 1
		.amdhsa_uses_dynamic_stack 0
		.amdhsa_enable_private_segment 0
		.amdhsa_system_sgpr_workgroup_id_x 1
		.amdhsa_system_sgpr_workgroup_id_y 1
		.amdhsa_system_sgpr_workgroup_id_z 0
		.amdhsa_system_sgpr_workgroup_info 0
		.amdhsa_system_vgpr_workitem_id 2
		.amdhsa_next_free_vgpr 66
		.amdhsa_next_free_sgpr 33
		.amdhsa_reserve_vcc 1
		.amdhsa_float_round_mode_32 0
		.amdhsa_float_round_mode_16_64 0
		.amdhsa_float_denorm_mode_32 3
		.amdhsa_float_denorm_mode_16_64 3
		.amdhsa_fp16_overflow 0
		.amdhsa_workgroup_processor_mode 1
		.amdhsa_memory_ordered 1
		.amdhsa_forward_progress 1
		.amdhsa_inst_pref_size 4
		.amdhsa_round_robin_scheduling 0
		.amdhsa_exception_fp_ieee_invalid_op 0
		.amdhsa_exception_fp_denorm_src 0
		.amdhsa_exception_fp_ieee_div_zero 0
		.amdhsa_exception_fp_ieee_overflow 0
		.amdhsa_exception_fp_ieee_underflow 0
		.amdhsa_exception_fp_ieee_inexact 0
		.amdhsa_exception_int_div_zero 0
	.end_amdhsa_kernel
	.section	.text._ZN7rocprim17ROCPRIM_400000_NS6detail17trampoline_kernelINS0_14default_configENS1_36segmented_radix_sort_config_selectorIflEEZNS1_25segmented_radix_sort_implIS3_Lb0EPKfPfPKlPlN2at6native12_GLOBAL__N_18offset_tEEE10hipError_tPvRmT1_PNSt15iterator_traitsISK_E10value_typeET2_T3_PNSL_ISQ_E10value_typeET4_jRbjT5_SW_jjP12ihipStream_tbEUlT_E1_NS1_11comp_targetILNS1_3genE10ELNS1_11target_archE1201ELNS1_3gpuE5ELNS1_3repE0EEENS1_59segmented_radix_sort_warp_sort_small_config_static_selectorELNS0_4arch9wavefront6targetE0EEEvSK_,"axG",@progbits,_ZN7rocprim17ROCPRIM_400000_NS6detail17trampoline_kernelINS0_14default_configENS1_36segmented_radix_sort_config_selectorIflEEZNS1_25segmented_radix_sort_implIS3_Lb0EPKfPfPKlPlN2at6native12_GLOBAL__N_18offset_tEEE10hipError_tPvRmT1_PNSt15iterator_traitsISK_E10value_typeET2_T3_PNSL_ISQ_E10value_typeET4_jRbjT5_SW_jjP12ihipStream_tbEUlT_E1_NS1_11comp_targetILNS1_3genE10ELNS1_11target_archE1201ELNS1_3gpuE5ELNS1_3repE0EEENS1_59segmented_radix_sort_warp_sort_small_config_static_selectorELNS0_4arch9wavefront6targetE0EEEvSK_,comdat
.Lfunc_end1454:
	.size	_ZN7rocprim17ROCPRIM_400000_NS6detail17trampoline_kernelINS0_14default_configENS1_36segmented_radix_sort_config_selectorIflEEZNS1_25segmented_radix_sort_implIS3_Lb0EPKfPfPKlPlN2at6native12_GLOBAL__N_18offset_tEEE10hipError_tPvRmT1_PNSt15iterator_traitsISK_E10value_typeET2_T3_PNSL_ISQ_E10value_typeET4_jRbjT5_SW_jjP12ihipStream_tbEUlT_E1_NS1_11comp_targetILNS1_3genE10ELNS1_11target_archE1201ELNS1_3gpuE5ELNS1_3repE0EEENS1_59segmented_radix_sort_warp_sort_small_config_static_selectorELNS0_4arch9wavefront6targetE0EEEvSK_, .Lfunc_end1454-_ZN7rocprim17ROCPRIM_400000_NS6detail17trampoline_kernelINS0_14default_configENS1_36segmented_radix_sort_config_selectorIflEEZNS1_25segmented_radix_sort_implIS3_Lb0EPKfPfPKlPlN2at6native12_GLOBAL__N_18offset_tEEE10hipError_tPvRmT1_PNSt15iterator_traitsISK_E10value_typeET2_T3_PNSL_ISQ_E10value_typeET4_jRbjT5_SW_jjP12ihipStream_tbEUlT_E1_NS1_11comp_targetILNS1_3genE10ELNS1_11target_archE1201ELNS1_3gpuE5ELNS1_3repE0EEENS1_59segmented_radix_sort_warp_sort_small_config_static_selectorELNS0_4arch9wavefront6targetE0EEEvSK_
                                        ; -- End function
	.set _ZN7rocprim17ROCPRIM_400000_NS6detail17trampoline_kernelINS0_14default_configENS1_36segmented_radix_sort_config_selectorIflEEZNS1_25segmented_radix_sort_implIS3_Lb0EPKfPfPKlPlN2at6native12_GLOBAL__N_18offset_tEEE10hipError_tPvRmT1_PNSt15iterator_traitsISK_E10value_typeET2_T3_PNSL_ISQ_E10value_typeET4_jRbjT5_SW_jjP12ihipStream_tbEUlT_E1_NS1_11comp_targetILNS1_3genE10ELNS1_11target_archE1201ELNS1_3gpuE5ELNS1_3repE0EEENS1_59segmented_radix_sort_warp_sort_small_config_static_selectorELNS0_4arch9wavefront6targetE0EEEvSK_.num_vgpr, max(32, .L_ZN7rocprim17ROCPRIM_400000_NS6detail26segmented_warp_sort_helperINS1_20WarpSortHelperConfigILj8ELj4ELj256EEEflLi256ELb0EvE4sortIPKfPfPKlPlEEvT_S9_T0_T1_SC_T2_bjjjjRNS5_12storage_typeE.num_vgpr)
	.set _ZN7rocprim17ROCPRIM_400000_NS6detail17trampoline_kernelINS0_14default_configENS1_36segmented_radix_sort_config_selectorIflEEZNS1_25segmented_radix_sort_implIS3_Lb0EPKfPfPKlPlN2at6native12_GLOBAL__N_18offset_tEEE10hipError_tPvRmT1_PNSt15iterator_traitsISK_E10value_typeET2_T3_PNSL_ISQ_E10value_typeET4_jRbjT5_SW_jjP12ihipStream_tbEUlT_E1_NS1_11comp_targetILNS1_3genE10ELNS1_11target_archE1201ELNS1_3gpuE5ELNS1_3repE0EEENS1_59segmented_radix_sort_warp_sort_small_config_static_selectorELNS0_4arch9wavefront6targetE0EEEvSK_.num_agpr, max(0, .L_ZN7rocprim17ROCPRIM_400000_NS6detail26segmented_warp_sort_helperINS1_20WarpSortHelperConfigILj8ELj4ELj256EEEflLi256ELb0EvE4sortIPKfPfPKlPlEEvT_S9_T0_T1_SC_T2_bjjjjRNS5_12storage_typeE.num_agpr)
	.set _ZN7rocprim17ROCPRIM_400000_NS6detail17trampoline_kernelINS0_14default_configENS1_36segmented_radix_sort_config_selectorIflEEZNS1_25segmented_radix_sort_implIS3_Lb0EPKfPfPKlPlN2at6native12_GLOBAL__N_18offset_tEEE10hipError_tPvRmT1_PNSt15iterator_traitsISK_E10value_typeET2_T3_PNSL_ISQ_E10value_typeET4_jRbjT5_SW_jjP12ihipStream_tbEUlT_E1_NS1_11comp_targetILNS1_3genE10ELNS1_11target_archE1201ELNS1_3gpuE5ELNS1_3repE0EEENS1_59segmented_radix_sort_warp_sort_small_config_static_selectorELNS0_4arch9wavefront6targetE0EEEvSK_.numbered_sgpr, max(33, .L_ZN7rocprim17ROCPRIM_400000_NS6detail26segmented_warp_sort_helperINS1_20WarpSortHelperConfigILj8ELj4ELj256EEEflLi256ELb0EvE4sortIPKfPfPKlPlEEvT_S9_T0_T1_SC_T2_bjjjjRNS5_12storage_typeE.numbered_sgpr)
	.set _ZN7rocprim17ROCPRIM_400000_NS6detail17trampoline_kernelINS0_14default_configENS1_36segmented_radix_sort_config_selectorIflEEZNS1_25segmented_radix_sort_implIS3_Lb0EPKfPfPKlPlN2at6native12_GLOBAL__N_18offset_tEEE10hipError_tPvRmT1_PNSt15iterator_traitsISK_E10value_typeET2_T3_PNSL_ISQ_E10value_typeET4_jRbjT5_SW_jjP12ihipStream_tbEUlT_E1_NS1_11comp_targetILNS1_3genE10ELNS1_11target_archE1201ELNS1_3gpuE5ELNS1_3repE0EEENS1_59segmented_radix_sort_warp_sort_small_config_static_selectorELNS0_4arch9wavefront6targetE0EEEvSK_.num_named_barrier, max(0, .L_ZN7rocprim17ROCPRIM_400000_NS6detail26segmented_warp_sort_helperINS1_20WarpSortHelperConfigILj8ELj4ELj256EEEflLi256ELb0EvE4sortIPKfPfPKlPlEEvT_S9_T0_T1_SC_T2_bjjjjRNS5_12storage_typeE.num_named_barrier)
	.set _ZN7rocprim17ROCPRIM_400000_NS6detail17trampoline_kernelINS0_14default_configENS1_36segmented_radix_sort_config_selectorIflEEZNS1_25segmented_radix_sort_implIS3_Lb0EPKfPfPKlPlN2at6native12_GLOBAL__N_18offset_tEEE10hipError_tPvRmT1_PNSt15iterator_traitsISK_E10value_typeET2_T3_PNSL_ISQ_E10value_typeET4_jRbjT5_SW_jjP12ihipStream_tbEUlT_E1_NS1_11comp_targetILNS1_3genE10ELNS1_11target_archE1201ELNS1_3gpuE5ELNS1_3repE0EEENS1_59segmented_radix_sort_warp_sort_small_config_static_selectorELNS0_4arch9wavefront6targetE0EEEvSK_.private_seg_size, 0+max(.L_ZN7rocprim17ROCPRIM_400000_NS6detail26segmented_warp_sort_helperINS1_20WarpSortHelperConfigILj8ELj4ELj256EEEflLi256ELb0EvE4sortIPKfPfPKlPlEEvT_S9_T0_T1_SC_T2_bjjjjRNS5_12storage_typeE.private_seg_size)
	.set _ZN7rocprim17ROCPRIM_400000_NS6detail17trampoline_kernelINS0_14default_configENS1_36segmented_radix_sort_config_selectorIflEEZNS1_25segmented_radix_sort_implIS3_Lb0EPKfPfPKlPlN2at6native12_GLOBAL__N_18offset_tEEE10hipError_tPvRmT1_PNSt15iterator_traitsISK_E10value_typeET2_T3_PNSL_ISQ_E10value_typeET4_jRbjT5_SW_jjP12ihipStream_tbEUlT_E1_NS1_11comp_targetILNS1_3genE10ELNS1_11target_archE1201ELNS1_3gpuE5ELNS1_3repE0EEENS1_59segmented_radix_sort_warp_sort_small_config_static_selectorELNS0_4arch9wavefront6targetE0EEEvSK_.uses_vcc, or(1, .L_ZN7rocprim17ROCPRIM_400000_NS6detail26segmented_warp_sort_helperINS1_20WarpSortHelperConfigILj8ELj4ELj256EEEflLi256ELb0EvE4sortIPKfPfPKlPlEEvT_S9_T0_T1_SC_T2_bjjjjRNS5_12storage_typeE.uses_vcc)
	.set _ZN7rocprim17ROCPRIM_400000_NS6detail17trampoline_kernelINS0_14default_configENS1_36segmented_radix_sort_config_selectorIflEEZNS1_25segmented_radix_sort_implIS3_Lb0EPKfPfPKlPlN2at6native12_GLOBAL__N_18offset_tEEE10hipError_tPvRmT1_PNSt15iterator_traitsISK_E10value_typeET2_T3_PNSL_ISQ_E10value_typeET4_jRbjT5_SW_jjP12ihipStream_tbEUlT_E1_NS1_11comp_targetILNS1_3genE10ELNS1_11target_archE1201ELNS1_3gpuE5ELNS1_3repE0EEENS1_59segmented_radix_sort_warp_sort_small_config_static_selectorELNS0_4arch9wavefront6targetE0EEEvSK_.uses_flat_scratch, or(0, .L_ZN7rocprim17ROCPRIM_400000_NS6detail26segmented_warp_sort_helperINS1_20WarpSortHelperConfigILj8ELj4ELj256EEEflLi256ELb0EvE4sortIPKfPfPKlPlEEvT_S9_T0_T1_SC_T2_bjjjjRNS5_12storage_typeE.uses_flat_scratch)
	.set _ZN7rocprim17ROCPRIM_400000_NS6detail17trampoline_kernelINS0_14default_configENS1_36segmented_radix_sort_config_selectorIflEEZNS1_25segmented_radix_sort_implIS3_Lb0EPKfPfPKlPlN2at6native12_GLOBAL__N_18offset_tEEE10hipError_tPvRmT1_PNSt15iterator_traitsISK_E10value_typeET2_T3_PNSL_ISQ_E10value_typeET4_jRbjT5_SW_jjP12ihipStream_tbEUlT_E1_NS1_11comp_targetILNS1_3genE10ELNS1_11target_archE1201ELNS1_3gpuE5ELNS1_3repE0EEENS1_59segmented_radix_sort_warp_sort_small_config_static_selectorELNS0_4arch9wavefront6targetE0EEEvSK_.has_dyn_sized_stack, or(0, .L_ZN7rocprim17ROCPRIM_400000_NS6detail26segmented_warp_sort_helperINS1_20WarpSortHelperConfigILj8ELj4ELj256EEEflLi256ELb0EvE4sortIPKfPfPKlPlEEvT_S9_T0_T1_SC_T2_bjjjjRNS5_12storage_typeE.has_dyn_sized_stack)
	.set _ZN7rocprim17ROCPRIM_400000_NS6detail17trampoline_kernelINS0_14default_configENS1_36segmented_radix_sort_config_selectorIflEEZNS1_25segmented_radix_sort_implIS3_Lb0EPKfPfPKlPlN2at6native12_GLOBAL__N_18offset_tEEE10hipError_tPvRmT1_PNSt15iterator_traitsISK_E10value_typeET2_T3_PNSL_ISQ_E10value_typeET4_jRbjT5_SW_jjP12ihipStream_tbEUlT_E1_NS1_11comp_targetILNS1_3genE10ELNS1_11target_archE1201ELNS1_3gpuE5ELNS1_3repE0EEENS1_59segmented_radix_sort_warp_sort_small_config_static_selectorELNS0_4arch9wavefront6targetE0EEEvSK_.has_recursion, or(0, .L_ZN7rocprim17ROCPRIM_400000_NS6detail26segmented_warp_sort_helperINS1_20WarpSortHelperConfigILj8ELj4ELj256EEEflLi256ELb0EvE4sortIPKfPfPKlPlEEvT_S9_T0_T1_SC_T2_bjjjjRNS5_12storage_typeE.has_recursion)
	.set _ZN7rocprim17ROCPRIM_400000_NS6detail17trampoline_kernelINS0_14default_configENS1_36segmented_radix_sort_config_selectorIflEEZNS1_25segmented_radix_sort_implIS3_Lb0EPKfPfPKlPlN2at6native12_GLOBAL__N_18offset_tEEE10hipError_tPvRmT1_PNSt15iterator_traitsISK_E10value_typeET2_T3_PNSL_ISQ_E10value_typeET4_jRbjT5_SW_jjP12ihipStream_tbEUlT_E1_NS1_11comp_targetILNS1_3genE10ELNS1_11target_archE1201ELNS1_3gpuE5ELNS1_3repE0EEENS1_59segmented_radix_sort_warp_sort_small_config_static_selectorELNS0_4arch9wavefront6targetE0EEEvSK_.has_indirect_call, or(0, .L_ZN7rocprim17ROCPRIM_400000_NS6detail26segmented_warp_sort_helperINS1_20WarpSortHelperConfigILj8ELj4ELj256EEEflLi256ELb0EvE4sortIPKfPfPKlPlEEvT_S9_T0_T1_SC_T2_bjjjjRNS5_12storage_typeE.has_indirect_call)
	.section	.AMDGPU.csdata,"",@progbits
; Kernel info:
; codeLenInByte = 388
; TotalNumSgprs: 35
; NumVgprs: 66
; ScratchSize: 0
; MemoryBound: 0
; FloatMode: 240
; IeeeMode: 1
; LDSByteSize: 12288 bytes/workgroup (compile time only)
; SGPRBlocks: 0
; VGPRBlocks: 8
; NumSGPRsForWavesPerEU: 35
; NumVGPRsForWavesPerEU: 66
; Occupancy: 16
; WaveLimiterHint : 0
; COMPUTE_PGM_RSRC2:SCRATCH_EN: 0
; COMPUTE_PGM_RSRC2:USER_SGPR: 2
; COMPUTE_PGM_RSRC2:TRAP_HANDLER: 0
; COMPUTE_PGM_RSRC2:TGID_X_EN: 1
; COMPUTE_PGM_RSRC2:TGID_Y_EN: 1
; COMPUTE_PGM_RSRC2:TGID_Z_EN: 0
; COMPUTE_PGM_RSRC2:TIDIG_COMP_CNT: 2
	.section	.text._ZN7rocprim17ROCPRIM_400000_NS6detail17trampoline_kernelINS0_14default_configENS1_36segmented_radix_sort_config_selectorIflEEZNS1_25segmented_radix_sort_implIS3_Lb0EPKfPfPKlPlN2at6native12_GLOBAL__N_18offset_tEEE10hipError_tPvRmT1_PNSt15iterator_traitsISK_E10value_typeET2_T3_PNSL_ISQ_E10value_typeET4_jRbjT5_SW_jjP12ihipStream_tbEUlT_E1_NS1_11comp_targetILNS1_3genE10ELNS1_11target_archE1200ELNS1_3gpuE4ELNS1_3repE0EEENS1_59segmented_radix_sort_warp_sort_small_config_static_selectorELNS0_4arch9wavefront6targetE0EEEvSK_,"axG",@progbits,_ZN7rocprim17ROCPRIM_400000_NS6detail17trampoline_kernelINS0_14default_configENS1_36segmented_radix_sort_config_selectorIflEEZNS1_25segmented_radix_sort_implIS3_Lb0EPKfPfPKlPlN2at6native12_GLOBAL__N_18offset_tEEE10hipError_tPvRmT1_PNSt15iterator_traitsISK_E10value_typeET2_T3_PNSL_ISQ_E10value_typeET4_jRbjT5_SW_jjP12ihipStream_tbEUlT_E1_NS1_11comp_targetILNS1_3genE10ELNS1_11target_archE1200ELNS1_3gpuE4ELNS1_3repE0EEENS1_59segmented_radix_sort_warp_sort_small_config_static_selectorELNS0_4arch9wavefront6targetE0EEEvSK_,comdat
	.globl	_ZN7rocprim17ROCPRIM_400000_NS6detail17trampoline_kernelINS0_14default_configENS1_36segmented_radix_sort_config_selectorIflEEZNS1_25segmented_radix_sort_implIS3_Lb0EPKfPfPKlPlN2at6native12_GLOBAL__N_18offset_tEEE10hipError_tPvRmT1_PNSt15iterator_traitsISK_E10value_typeET2_T3_PNSL_ISQ_E10value_typeET4_jRbjT5_SW_jjP12ihipStream_tbEUlT_E1_NS1_11comp_targetILNS1_3genE10ELNS1_11target_archE1200ELNS1_3gpuE4ELNS1_3repE0EEENS1_59segmented_radix_sort_warp_sort_small_config_static_selectorELNS0_4arch9wavefront6targetE0EEEvSK_ ; -- Begin function _ZN7rocprim17ROCPRIM_400000_NS6detail17trampoline_kernelINS0_14default_configENS1_36segmented_radix_sort_config_selectorIflEEZNS1_25segmented_radix_sort_implIS3_Lb0EPKfPfPKlPlN2at6native12_GLOBAL__N_18offset_tEEE10hipError_tPvRmT1_PNSt15iterator_traitsISK_E10value_typeET2_T3_PNSL_ISQ_E10value_typeET4_jRbjT5_SW_jjP12ihipStream_tbEUlT_E1_NS1_11comp_targetILNS1_3genE10ELNS1_11target_archE1200ELNS1_3gpuE4ELNS1_3repE0EEENS1_59segmented_radix_sort_warp_sort_small_config_static_selectorELNS0_4arch9wavefront6targetE0EEEvSK_
	.p2align	8
	.type	_ZN7rocprim17ROCPRIM_400000_NS6detail17trampoline_kernelINS0_14default_configENS1_36segmented_radix_sort_config_selectorIflEEZNS1_25segmented_radix_sort_implIS3_Lb0EPKfPfPKlPlN2at6native12_GLOBAL__N_18offset_tEEE10hipError_tPvRmT1_PNSt15iterator_traitsISK_E10value_typeET2_T3_PNSL_ISQ_E10value_typeET4_jRbjT5_SW_jjP12ihipStream_tbEUlT_E1_NS1_11comp_targetILNS1_3genE10ELNS1_11target_archE1200ELNS1_3gpuE4ELNS1_3repE0EEENS1_59segmented_radix_sort_warp_sort_small_config_static_selectorELNS0_4arch9wavefront6targetE0EEEvSK_,@function
_ZN7rocprim17ROCPRIM_400000_NS6detail17trampoline_kernelINS0_14default_configENS1_36segmented_radix_sort_config_selectorIflEEZNS1_25segmented_radix_sort_implIS3_Lb0EPKfPfPKlPlN2at6native12_GLOBAL__N_18offset_tEEE10hipError_tPvRmT1_PNSt15iterator_traitsISK_E10value_typeET2_T3_PNSL_ISQ_E10value_typeET4_jRbjT5_SW_jjP12ihipStream_tbEUlT_E1_NS1_11comp_targetILNS1_3genE10ELNS1_11target_archE1200ELNS1_3gpuE4ELNS1_3repE0EEENS1_59segmented_radix_sort_warp_sort_small_config_static_selectorELNS0_4arch9wavefront6targetE0EEEvSK_: ; @_ZN7rocprim17ROCPRIM_400000_NS6detail17trampoline_kernelINS0_14default_configENS1_36segmented_radix_sort_config_selectorIflEEZNS1_25segmented_radix_sort_implIS3_Lb0EPKfPfPKlPlN2at6native12_GLOBAL__N_18offset_tEEE10hipError_tPvRmT1_PNSt15iterator_traitsISK_E10value_typeET2_T3_PNSL_ISQ_E10value_typeET4_jRbjT5_SW_jjP12ihipStream_tbEUlT_E1_NS1_11comp_targetILNS1_3genE10ELNS1_11target_archE1200ELNS1_3gpuE4ELNS1_3repE0EEENS1_59segmented_radix_sort_warp_sort_small_config_static_selectorELNS0_4arch9wavefront6targetE0EEEvSK_
; %bb.0:
	.section	.rodata,"a",@progbits
	.p2align	6, 0x0
	.amdhsa_kernel _ZN7rocprim17ROCPRIM_400000_NS6detail17trampoline_kernelINS0_14default_configENS1_36segmented_radix_sort_config_selectorIflEEZNS1_25segmented_radix_sort_implIS3_Lb0EPKfPfPKlPlN2at6native12_GLOBAL__N_18offset_tEEE10hipError_tPvRmT1_PNSt15iterator_traitsISK_E10value_typeET2_T3_PNSL_ISQ_E10value_typeET4_jRbjT5_SW_jjP12ihipStream_tbEUlT_E1_NS1_11comp_targetILNS1_3genE10ELNS1_11target_archE1200ELNS1_3gpuE4ELNS1_3repE0EEENS1_59segmented_radix_sort_warp_sort_small_config_static_selectorELNS0_4arch9wavefront6targetE0EEEvSK_
		.amdhsa_group_segment_fixed_size 0
		.amdhsa_private_segment_fixed_size 0
		.amdhsa_kernarg_size 88
		.amdhsa_user_sgpr_count 2
		.amdhsa_user_sgpr_dispatch_ptr 0
		.amdhsa_user_sgpr_queue_ptr 0
		.amdhsa_user_sgpr_kernarg_segment_ptr 1
		.amdhsa_user_sgpr_dispatch_id 0
		.amdhsa_user_sgpr_private_segment_size 0
		.amdhsa_wavefront_size32 1
		.amdhsa_uses_dynamic_stack 0
		.amdhsa_enable_private_segment 0
		.amdhsa_system_sgpr_workgroup_id_x 1
		.amdhsa_system_sgpr_workgroup_id_y 0
		.amdhsa_system_sgpr_workgroup_id_z 0
		.amdhsa_system_sgpr_workgroup_info 0
		.amdhsa_system_vgpr_workitem_id 0
		.amdhsa_next_free_vgpr 1
		.amdhsa_next_free_sgpr 1
		.amdhsa_reserve_vcc 0
		.amdhsa_float_round_mode_32 0
		.amdhsa_float_round_mode_16_64 0
		.amdhsa_float_denorm_mode_32 3
		.amdhsa_float_denorm_mode_16_64 3
		.amdhsa_fp16_overflow 0
		.amdhsa_workgroup_processor_mode 1
		.amdhsa_memory_ordered 1
		.amdhsa_forward_progress 1
		.amdhsa_inst_pref_size 0
		.amdhsa_round_robin_scheduling 0
		.amdhsa_exception_fp_ieee_invalid_op 0
		.amdhsa_exception_fp_denorm_src 0
		.amdhsa_exception_fp_ieee_div_zero 0
		.amdhsa_exception_fp_ieee_overflow 0
		.amdhsa_exception_fp_ieee_underflow 0
		.amdhsa_exception_fp_ieee_inexact 0
		.amdhsa_exception_int_div_zero 0
	.end_amdhsa_kernel
	.section	.text._ZN7rocprim17ROCPRIM_400000_NS6detail17trampoline_kernelINS0_14default_configENS1_36segmented_radix_sort_config_selectorIflEEZNS1_25segmented_radix_sort_implIS3_Lb0EPKfPfPKlPlN2at6native12_GLOBAL__N_18offset_tEEE10hipError_tPvRmT1_PNSt15iterator_traitsISK_E10value_typeET2_T3_PNSL_ISQ_E10value_typeET4_jRbjT5_SW_jjP12ihipStream_tbEUlT_E1_NS1_11comp_targetILNS1_3genE10ELNS1_11target_archE1200ELNS1_3gpuE4ELNS1_3repE0EEENS1_59segmented_radix_sort_warp_sort_small_config_static_selectorELNS0_4arch9wavefront6targetE0EEEvSK_,"axG",@progbits,_ZN7rocprim17ROCPRIM_400000_NS6detail17trampoline_kernelINS0_14default_configENS1_36segmented_radix_sort_config_selectorIflEEZNS1_25segmented_radix_sort_implIS3_Lb0EPKfPfPKlPlN2at6native12_GLOBAL__N_18offset_tEEE10hipError_tPvRmT1_PNSt15iterator_traitsISK_E10value_typeET2_T3_PNSL_ISQ_E10value_typeET4_jRbjT5_SW_jjP12ihipStream_tbEUlT_E1_NS1_11comp_targetILNS1_3genE10ELNS1_11target_archE1200ELNS1_3gpuE4ELNS1_3repE0EEENS1_59segmented_radix_sort_warp_sort_small_config_static_selectorELNS0_4arch9wavefront6targetE0EEEvSK_,comdat
.Lfunc_end1455:
	.size	_ZN7rocprim17ROCPRIM_400000_NS6detail17trampoline_kernelINS0_14default_configENS1_36segmented_radix_sort_config_selectorIflEEZNS1_25segmented_radix_sort_implIS3_Lb0EPKfPfPKlPlN2at6native12_GLOBAL__N_18offset_tEEE10hipError_tPvRmT1_PNSt15iterator_traitsISK_E10value_typeET2_T3_PNSL_ISQ_E10value_typeET4_jRbjT5_SW_jjP12ihipStream_tbEUlT_E1_NS1_11comp_targetILNS1_3genE10ELNS1_11target_archE1200ELNS1_3gpuE4ELNS1_3repE0EEENS1_59segmented_radix_sort_warp_sort_small_config_static_selectorELNS0_4arch9wavefront6targetE0EEEvSK_, .Lfunc_end1455-_ZN7rocprim17ROCPRIM_400000_NS6detail17trampoline_kernelINS0_14default_configENS1_36segmented_radix_sort_config_selectorIflEEZNS1_25segmented_radix_sort_implIS3_Lb0EPKfPfPKlPlN2at6native12_GLOBAL__N_18offset_tEEE10hipError_tPvRmT1_PNSt15iterator_traitsISK_E10value_typeET2_T3_PNSL_ISQ_E10value_typeET4_jRbjT5_SW_jjP12ihipStream_tbEUlT_E1_NS1_11comp_targetILNS1_3genE10ELNS1_11target_archE1200ELNS1_3gpuE4ELNS1_3repE0EEENS1_59segmented_radix_sort_warp_sort_small_config_static_selectorELNS0_4arch9wavefront6targetE0EEEvSK_
                                        ; -- End function
	.set _ZN7rocprim17ROCPRIM_400000_NS6detail17trampoline_kernelINS0_14default_configENS1_36segmented_radix_sort_config_selectorIflEEZNS1_25segmented_radix_sort_implIS3_Lb0EPKfPfPKlPlN2at6native12_GLOBAL__N_18offset_tEEE10hipError_tPvRmT1_PNSt15iterator_traitsISK_E10value_typeET2_T3_PNSL_ISQ_E10value_typeET4_jRbjT5_SW_jjP12ihipStream_tbEUlT_E1_NS1_11comp_targetILNS1_3genE10ELNS1_11target_archE1200ELNS1_3gpuE4ELNS1_3repE0EEENS1_59segmented_radix_sort_warp_sort_small_config_static_selectorELNS0_4arch9wavefront6targetE0EEEvSK_.num_vgpr, 0
	.set _ZN7rocprim17ROCPRIM_400000_NS6detail17trampoline_kernelINS0_14default_configENS1_36segmented_radix_sort_config_selectorIflEEZNS1_25segmented_radix_sort_implIS3_Lb0EPKfPfPKlPlN2at6native12_GLOBAL__N_18offset_tEEE10hipError_tPvRmT1_PNSt15iterator_traitsISK_E10value_typeET2_T3_PNSL_ISQ_E10value_typeET4_jRbjT5_SW_jjP12ihipStream_tbEUlT_E1_NS1_11comp_targetILNS1_3genE10ELNS1_11target_archE1200ELNS1_3gpuE4ELNS1_3repE0EEENS1_59segmented_radix_sort_warp_sort_small_config_static_selectorELNS0_4arch9wavefront6targetE0EEEvSK_.num_agpr, 0
	.set _ZN7rocprim17ROCPRIM_400000_NS6detail17trampoline_kernelINS0_14default_configENS1_36segmented_radix_sort_config_selectorIflEEZNS1_25segmented_radix_sort_implIS3_Lb0EPKfPfPKlPlN2at6native12_GLOBAL__N_18offset_tEEE10hipError_tPvRmT1_PNSt15iterator_traitsISK_E10value_typeET2_T3_PNSL_ISQ_E10value_typeET4_jRbjT5_SW_jjP12ihipStream_tbEUlT_E1_NS1_11comp_targetILNS1_3genE10ELNS1_11target_archE1200ELNS1_3gpuE4ELNS1_3repE0EEENS1_59segmented_radix_sort_warp_sort_small_config_static_selectorELNS0_4arch9wavefront6targetE0EEEvSK_.numbered_sgpr, 0
	.set _ZN7rocprim17ROCPRIM_400000_NS6detail17trampoline_kernelINS0_14default_configENS1_36segmented_radix_sort_config_selectorIflEEZNS1_25segmented_radix_sort_implIS3_Lb0EPKfPfPKlPlN2at6native12_GLOBAL__N_18offset_tEEE10hipError_tPvRmT1_PNSt15iterator_traitsISK_E10value_typeET2_T3_PNSL_ISQ_E10value_typeET4_jRbjT5_SW_jjP12ihipStream_tbEUlT_E1_NS1_11comp_targetILNS1_3genE10ELNS1_11target_archE1200ELNS1_3gpuE4ELNS1_3repE0EEENS1_59segmented_radix_sort_warp_sort_small_config_static_selectorELNS0_4arch9wavefront6targetE0EEEvSK_.num_named_barrier, 0
	.set _ZN7rocprim17ROCPRIM_400000_NS6detail17trampoline_kernelINS0_14default_configENS1_36segmented_radix_sort_config_selectorIflEEZNS1_25segmented_radix_sort_implIS3_Lb0EPKfPfPKlPlN2at6native12_GLOBAL__N_18offset_tEEE10hipError_tPvRmT1_PNSt15iterator_traitsISK_E10value_typeET2_T3_PNSL_ISQ_E10value_typeET4_jRbjT5_SW_jjP12ihipStream_tbEUlT_E1_NS1_11comp_targetILNS1_3genE10ELNS1_11target_archE1200ELNS1_3gpuE4ELNS1_3repE0EEENS1_59segmented_radix_sort_warp_sort_small_config_static_selectorELNS0_4arch9wavefront6targetE0EEEvSK_.private_seg_size, 0
	.set _ZN7rocprim17ROCPRIM_400000_NS6detail17trampoline_kernelINS0_14default_configENS1_36segmented_radix_sort_config_selectorIflEEZNS1_25segmented_radix_sort_implIS3_Lb0EPKfPfPKlPlN2at6native12_GLOBAL__N_18offset_tEEE10hipError_tPvRmT1_PNSt15iterator_traitsISK_E10value_typeET2_T3_PNSL_ISQ_E10value_typeET4_jRbjT5_SW_jjP12ihipStream_tbEUlT_E1_NS1_11comp_targetILNS1_3genE10ELNS1_11target_archE1200ELNS1_3gpuE4ELNS1_3repE0EEENS1_59segmented_radix_sort_warp_sort_small_config_static_selectorELNS0_4arch9wavefront6targetE0EEEvSK_.uses_vcc, 0
	.set _ZN7rocprim17ROCPRIM_400000_NS6detail17trampoline_kernelINS0_14default_configENS1_36segmented_radix_sort_config_selectorIflEEZNS1_25segmented_radix_sort_implIS3_Lb0EPKfPfPKlPlN2at6native12_GLOBAL__N_18offset_tEEE10hipError_tPvRmT1_PNSt15iterator_traitsISK_E10value_typeET2_T3_PNSL_ISQ_E10value_typeET4_jRbjT5_SW_jjP12ihipStream_tbEUlT_E1_NS1_11comp_targetILNS1_3genE10ELNS1_11target_archE1200ELNS1_3gpuE4ELNS1_3repE0EEENS1_59segmented_radix_sort_warp_sort_small_config_static_selectorELNS0_4arch9wavefront6targetE0EEEvSK_.uses_flat_scratch, 0
	.set _ZN7rocprim17ROCPRIM_400000_NS6detail17trampoline_kernelINS0_14default_configENS1_36segmented_radix_sort_config_selectorIflEEZNS1_25segmented_radix_sort_implIS3_Lb0EPKfPfPKlPlN2at6native12_GLOBAL__N_18offset_tEEE10hipError_tPvRmT1_PNSt15iterator_traitsISK_E10value_typeET2_T3_PNSL_ISQ_E10value_typeET4_jRbjT5_SW_jjP12ihipStream_tbEUlT_E1_NS1_11comp_targetILNS1_3genE10ELNS1_11target_archE1200ELNS1_3gpuE4ELNS1_3repE0EEENS1_59segmented_radix_sort_warp_sort_small_config_static_selectorELNS0_4arch9wavefront6targetE0EEEvSK_.has_dyn_sized_stack, 0
	.set _ZN7rocprim17ROCPRIM_400000_NS6detail17trampoline_kernelINS0_14default_configENS1_36segmented_radix_sort_config_selectorIflEEZNS1_25segmented_radix_sort_implIS3_Lb0EPKfPfPKlPlN2at6native12_GLOBAL__N_18offset_tEEE10hipError_tPvRmT1_PNSt15iterator_traitsISK_E10value_typeET2_T3_PNSL_ISQ_E10value_typeET4_jRbjT5_SW_jjP12ihipStream_tbEUlT_E1_NS1_11comp_targetILNS1_3genE10ELNS1_11target_archE1200ELNS1_3gpuE4ELNS1_3repE0EEENS1_59segmented_radix_sort_warp_sort_small_config_static_selectorELNS0_4arch9wavefront6targetE0EEEvSK_.has_recursion, 0
	.set _ZN7rocprim17ROCPRIM_400000_NS6detail17trampoline_kernelINS0_14default_configENS1_36segmented_radix_sort_config_selectorIflEEZNS1_25segmented_radix_sort_implIS3_Lb0EPKfPfPKlPlN2at6native12_GLOBAL__N_18offset_tEEE10hipError_tPvRmT1_PNSt15iterator_traitsISK_E10value_typeET2_T3_PNSL_ISQ_E10value_typeET4_jRbjT5_SW_jjP12ihipStream_tbEUlT_E1_NS1_11comp_targetILNS1_3genE10ELNS1_11target_archE1200ELNS1_3gpuE4ELNS1_3repE0EEENS1_59segmented_radix_sort_warp_sort_small_config_static_selectorELNS0_4arch9wavefront6targetE0EEEvSK_.has_indirect_call, 0
	.section	.AMDGPU.csdata,"",@progbits
; Kernel info:
; codeLenInByte = 0
; TotalNumSgprs: 0
; NumVgprs: 0
; ScratchSize: 0
; MemoryBound: 0
; FloatMode: 240
; IeeeMode: 1
; LDSByteSize: 0 bytes/workgroup (compile time only)
; SGPRBlocks: 0
; VGPRBlocks: 0
; NumSGPRsForWavesPerEU: 1
; NumVGPRsForWavesPerEU: 1
; Occupancy: 16
; WaveLimiterHint : 0
; COMPUTE_PGM_RSRC2:SCRATCH_EN: 0
; COMPUTE_PGM_RSRC2:USER_SGPR: 2
; COMPUTE_PGM_RSRC2:TRAP_HANDLER: 0
; COMPUTE_PGM_RSRC2:TGID_X_EN: 1
; COMPUTE_PGM_RSRC2:TGID_Y_EN: 0
; COMPUTE_PGM_RSRC2:TGID_Z_EN: 0
; COMPUTE_PGM_RSRC2:TIDIG_COMP_CNT: 0
	.section	.text._ZN7rocprim17ROCPRIM_400000_NS6detail17trampoline_kernelINS0_14default_configENS1_36segmented_radix_sort_config_selectorIflEEZNS1_25segmented_radix_sort_implIS3_Lb0EPKfPfPKlPlN2at6native12_GLOBAL__N_18offset_tEEE10hipError_tPvRmT1_PNSt15iterator_traitsISK_E10value_typeET2_T3_PNSL_ISQ_E10value_typeET4_jRbjT5_SW_jjP12ihipStream_tbEUlT_E1_NS1_11comp_targetILNS1_3genE9ELNS1_11target_archE1100ELNS1_3gpuE3ELNS1_3repE0EEENS1_59segmented_radix_sort_warp_sort_small_config_static_selectorELNS0_4arch9wavefront6targetE0EEEvSK_,"axG",@progbits,_ZN7rocprim17ROCPRIM_400000_NS6detail17trampoline_kernelINS0_14default_configENS1_36segmented_radix_sort_config_selectorIflEEZNS1_25segmented_radix_sort_implIS3_Lb0EPKfPfPKlPlN2at6native12_GLOBAL__N_18offset_tEEE10hipError_tPvRmT1_PNSt15iterator_traitsISK_E10value_typeET2_T3_PNSL_ISQ_E10value_typeET4_jRbjT5_SW_jjP12ihipStream_tbEUlT_E1_NS1_11comp_targetILNS1_3genE9ELNS1_11target_archE1100ELNS1_3gpuE3ELNS1_3repE0EEENS1_59segmented_radix_sort_warp_sort_small_config_static_selectorELNS0_4arch9wavefront6targetE0EEEvSK_,comdat
	.globl	_ZN7rocprim17ROCPRIM_400000_NS6detail17trampoline_kernelINS0_14default_configENS1_36segmented_radix_sort_config_selectorIflEEZNS1_25segmented_radix_sort_implIS3_Lb0EPKfPfPKlPlN2at6native12_GLOBAL__N_18offset_tEEE10hipError_tPvRmT1_PNSt15iterator_traitsISK_E10value_typeET2_T3_PNSL_ISQ_E10value_typeET4_jRbjT5_SW_jjP12ihipStream_tbEUlT_E1_NS1_11comp_targetILNS1_3genE9ELNS1_11target_archE1100ELNS1_3gpuE3ELNS1_3repE0EEENS1_59segmented_radix_sort_warp_sort_small_config_static_selectorELNS0_4arch9wavefront6targetE0EEEvSK_ ; -- Begin function _ZN7rocprim17ROCPRIM_400000_NS6detail17trampoline_kernelINS0_14default_configENS1_36segmented_radix_sort_config_selectorIflEEZNS1_25segmented_radix_sort_implIS3_Lb0EPKfPfPKlPlN2at6native12_GLOBAL__N_18offset_tEEE10hipError_tPvRmT1_PNSt15iterator_traitsISK_E10value_typeET2_T3_PNSL_ISQ_E10value_typeET4_jRbjT5_SW_jjP12ihipStream_tbEUlT_E1_NS1_11comp_targetILNS1_3genE9ELNS1_11target_archE1100ELNS1_3gpuE3ELNS1_3repE0EEENS1_59segmented_radix_sort_warp_sort_small_config_static_selectorELNS0_4arch9wavefront6targetE0EEEvSK_
	.p2align	8
	.type	_ZN7rocprim17ROCPRIM_400000_NS6detail17trampoline_kernelINS0_14default_configENS1_36segmented_radix_sort_config_selectorIflEEZNS1_25segmented_radix_sort_implIS3_Lb0EPKfPfPKlPlN2at6native12_GLOBAL__N_18offset_tEEE10hipError_tPvRmT1_PNSt15iterator_traitsISK_E10value_typeET2_T3_PNSL_ISQ_E10value_typeET4_jRbjT5_SW_jjP12ihipStream_tbEUlT_E1_NS1_11comp_targetILNS1_3genE9ELNS1_11target_archE1100ELNS1_3gpuE3ELNS1_3repE0EEENS1_59segmented_radix_sort_warp_sort_small_config_static_selectorELNS0_4arch9wavefront6targetE0EEEvSK_,@function
_ZN7rocprim17ROCPRIM_400000_NS6detail17trampoline_kernelINS0_14default_configENS1_36segmented_radix_sort_config_selectorIflEEZNS1_25segmented_radix_sort_implIS3_Lb0EPKfPfPKlPlN2at6native12_GLOBAL__N_18offset_tEEE10hipError_tPvRmT1_PNSt15iterator_traitsISK_E10value_typeET2_T3_PNSL_ISQ_E10value_typeET4_jRbjT5_SW_jjP12ihipStream_tbEUlT_E1_NS1_11comp_targetILNS1_3genE9ELNS1_11target_archE1100ELNS1_3gpuE3ELNS1_3repE0EEENS1_59segmented_radix_sort_warp_sort_small_config_static_selectorELNS0_4arch9wavefront6targetE0EEEvSK_: ; @_ZN7rocprim17ROCPRIM_400000_NS6detail17trampoline_kernelINS0_14default_configENS1_36segmented_radix_sort_config_selectorIflEEZNS1_25segmented_radix_sort_implIS3_Lb0EPKfPfPKlPlN2at6native12_GLOBAL__N_18offset_tEEE10hipError_tPvRmT1_PNSt15iterator_traitsISK_E10value_typeET2_T3_PNSL_ISQ_E10value_typeET4_jRbjT5_SW_jjP12ihipStream_tbEUlT_E1_NS1_11comp_targetILNS1_3genE9ELNS1_11target_archE1100ELNS1_3gpuE3ELNS1_3repE0EEENS1_59segmented_radix_sort_warp_sort_small_config_static_selectorELNS0_4arch9wavefront6targetE0EEEvSK_
; %bb.0:
	.section	.rodata,"a",@progbits
	.p2align	6, 0x0
	.amdhsa_kernel _ZN7rocprim17ROCPRIM_400000_NS6detail17trampoline_kernelINS0_14default_configENS1_36segmented_radix_sort_config_selectorIflEEZNS1_25segmented_radix_sort_implIS3_Lb0EPKfPfPKlPlN2at6native12_GLOBAL__N_18offset_tEEE10hipError_tPvRmT1_PNSt15iterator_traitsISK_E10value_typeET2_T3_PNSL_ISQ_E10value_typeET4_jRbjT5_SW_jjP12ihipStream_tbEUlT_E1_NS1_11comp_targetILNS1_3genE9ELNS1_11target_archE1100ELNS1_3gpuE3ELNS1_3repE0EEENS1_59segmented_radix_sort_warp_sort_small_config_static_selectorELNS0_4arch9wavefront6targetE0EEEvSK_
		.amdhsa_group_segment_fixed_size 0
		.amdhsa_private_segment_fixed_size 0
		.amdhsa_kernarg_size 88
		.amdhsa_user_sgpr_count 2
		.amdhsa_user_sgpr_dispatch_ptr 0
		.amdhsa_user_sgpr_queue_ptr 0
		.amdhsa_user_sgpr_kernarg_segment_ptr 1
		.amdhsa_user_sgpr_dispatch_id 0
		.amdhsa_user_sgpr_private_segment_size 0
		.amdhsa_wavefront_size32 1
		.amdhsa_uses_dynamic_stack 0
		.amdhsa_enable_private_segment 0
		.amdhsa_system_sgpr_workgroup_id_x 1
		.amdhsa_system_sgpr_workgroup_id_y 0
		.amdhsa_system_sgpr_workgroup_id_z 0
		.amdhsa_system_sgpr_workgroup_info 0
		.amdhsa_system_vgpr_workitem_id 0
		.amdhsa_next_free_vgpr 1
		.amdhsa_next_free_sgpr 1
		.amdhsa_reserve_vcc 0
		.amdhsa_float_round_mode_32 0
		.amdhsa_float_round_mode_16_64 0
		.amdhsa_float_denorm_mode_32 3
		.amdhsa_float_denorm_mode_16_64 3
		.amdhsa_fp16_overflow 0
		.amdhsa_workgroup_processor_mode 1
		.amdhsa_memory_ordered 1
		.amdhsa_forward_progress 1
		.amdhsa_inst_pref_size 0
		.amdhsa_round_robin_scheduling 0
		.amdhsa_exception_fp_ieee_invalid_op 0
		.amdhsa_exception_fp_denorm_src 0
		.amdhsa_exception_fp_ieee_div_zero 0
		.amdhsa_exception_fp_ieee_overflow 0
		.amdhsa_exception_fp_ieee_underflow 0
		.amdhsa_exception_fp_ieee_inexact 0
		.amdhsa_exception_int_div_zero 0
	.end_amdhsa_kernel
	.section	.text._ZN7rocprim17ROCPRIM_400000_NS6detail17trampoline_kernelINS0_14default_configENS1_36segmented_radix_sort_config_selectorIflEEZNS1_25segmented_radix_sort_implIS3_Lb0EPKfPfPKlPlN2at6native12_GLOBAL__N_18offset_tEEE10hipError_tPvRmT1_PNSt15iterator_traitsISK_E10value_typeET2_T3_PNSL_ISQ_E10value_typeET4_jRbjT5_SW_jjP12ihipStream_tbEUlT_E1_NS1_11comp_targetILNS1_3genE9ELNS1_11target_archE1100ELNS1_3gpuE3ELNS1_3repE0EEENS1_59segmented_radix_sort_warp_sort_small_config_static_selectorELNS0_4arch9wavefront6targetE0EEEvSK_,"axG",@progbits,_ZN7rocprim17ROCPRIM_400000_NS6detail17trampoline_kernelINS0_14default_configENS1_36segmented_radix_sort_config_selectorIflEEZNS1_25segmented_radix_sort_implIS3_Lb0EPKfPfPKlPlN2at6native12_GLOBAL__N_18offset_tEEE10hipError_tPvRmT1_PNSt15iterator_traitsISK_E10value_typeET2_T3_PNSL_ISQ_E10value_typeET4_jRbjT5_SW_jjP12ihipStream_tbEUlT_E1_NS1_11comp_targetILNS1_3genE9ELNS1_11target_archE1100ELNS1_3gpuE3ELNS1_3repE0EEENS1_59segmented_radix_sort_warp_sort_small_config_static_selectorELNS0_4arch9wavefront6targetE0EEEvSK_,comdat
.Lfunc_end1456:
	.size	_ZN7rocprim17ROCPRIM_400000_NS6detail17trampoline_kernelINS0_14default_configENS1_36segmented_radix_sort_config_selectorIflEEZNS1_25segmented_radix_sort_implIS3_Lb0EPKfPfPKlPlN2at6native12_GLOBAL__N_18offset_tEEE10hipError_tPvRmT1_PNSt15iterator_traitsISK_E10value_typeET2_T3_PNSL_ISQ_E10value_typeET4_jRbjT5_SW_jjP12ihipStream_tbEUlT_E1_NS1_11comp_targetILNS1_3genE9ELNS1_11target_archE1100ELNS1_3gpuE3ELNS1_3repE0EEENS1_59segmented_radix_sort_warp_sort_small_config_static_selectorELNS0_4arch9wavefront6targetE0EEEvSK_, .Lfunc_end1456-_ZN7rocprim17ROCPRIM_400000_NS6detail17trampoline_kernelINS0_14default_configENS1_36segmented_radix_sort_config_selectorIflEEZNS1_25segmented_radix_sort_implIS3_Lb0EPKfPfPKlPlN2at6native12_GLOBAL__N_18offset_tEEE10hipError_tPvRmT1_PNSt15iterator_traitsISK_E10value_typeET2_T3_PNSL_ISQ_E10value_typeET4_jRbjT5_SW_jjP12ihipStream_tbEUlT_E1_NS1_11comp_targetILNS1_3genE9ELNS1_11target_archE1100ELNS1_3gpuE3ELNS1_3repE0EEENS1_59segmented_radix_sort_warp_sort_small_config_static_selectorELNS0_4arch9wavefront6targetE0EEEvSK_
                                        ; -- End function
	.set _ZN7rocprim17ROCPRIM_400000_NS6detail17trampoline_kernelINS0_14default_configENS1_36segmented_radix_sort_config_selectorIflEEZNS1_25segmented_radix_sort_implIS3_Lb0EPKfPfPKlPlN2at6native12_GLOBAL__N_18offset_tEEE10hipError_tPvRmT1_PNSt15iterator_traitsISK_E10value_typeET2_T3_PNSL_ISQ_E10value_typeET4_jRbjT5_SW_jjP12ihipStream_tbEUlT_E1_NS1_11comp_targetILNS1_3genE9ELNS1_11target_archE1100ELNS1_3gpuE3ELNS1_3repE0EEENS1_59segmented_radix_sort_warp_sort_small_config_static_selectorELNS0_4arch9wavefront6targetE0EEEvSK_.num_vgpr, 0
	.set _ZN7rocprim17ROCPRIM_400000_NS6detail17trampoline_kernelINS0_14default_configENS1_36segmented_radix_sort_config_selectorIflEEZNS1_25segmented_radix_sort_implIS3_Lb0EPKfPfPKlPlN2at6native12_GLOBAL__N_18offset_tEEE10hipError_tPvRmT1_PNSt15iterator_traitsISK_E10value_typeET2_T3_PNSL_ISQ_E10value_typeET4_jRbjT5_SW_jjP12ihipStream_tbEUlT_E1_NS1_11comp_targetILNS1_3genE9ELNS1_11target_archE1100ELNS1_3gpuE3ELNS1_3repE0EEENS1_59segmented_radix_sort_warp_sort_small_config_static_selectorELNS0_4arch9wavefront6targetE0EEEvSK_.num_agpr, 0
	.set _ZN7rocprim17ROCPRIM_400000_NS6detail17trampoline_kernelINS0_14default_configENS1_36segmented_radix_sort_config_selectorIflEEZNS1_25segmented_radix_sort_implIS3_Lb0EPKfPfPKlPlN2at6native12_GLOBAL__N_18offset_tEEE10hipError_tPvRmT1_PNSt15iterator_traitsISK_E10value_typeET2_T3_PNSL_ISQ_E10value_typeET4_jRbjT5_SW_jjP12ihipStream_tbEUlT_E1_NS1_11comp_targetILNS1_3genE9ELNS1_11target_archE1100ELNS1_3gpuE3ELNS1_3repE0EEENS1_59segmented_radix_sort_warp_sort_small_config_static_selectorELNS0_4arch9wavefront6targetE0EEEvSK_.numbered_sgpr, 0
	.set _ZN7rocprim17ROCPRIM_400000_NS6detail17trampoline_kernelINS0_14default_configENS1_36segmented_radix_sort_config_selectorIflEEZNS1_25segmented_radix_sort_implIS3_Lb0EPKfPfPKlPlN2at6native12_GLOBAL__N_18offset_tEEE10hipError_tPvRmT1_PNSt15iterator_traitsISK_E10value_typeET2_T3_PNSL_ISQ_E10value_typeET4_jRbjT5_SW_jjP12ihipStream_tbEUlT_E1_NS1_11comp_targetILNS1_3genE9ELNS1_11target_archE1100ELNS1_3gpuE3ELNS1_3repE0EEENS1_59segmented_radix_sort_warp_sort_small_config_static_selectorELNS0_4arch9wavefront6targetE0EEEvSK_.num_named_barrier, 0
	.set _ZN7rocprim17ROCPRIM_400000_NS6detail17trampoline_kernelINS0_14default_configENS1_36segmented_radix_sort_config_selectorIflEEZNS1_25segmented_radix_sort_implIS3_Lb0EPKfPfPKlPlN2at6native12_GLOBAL__N_18offset_tEEE10hipError_tPvRmT1_PNSt15iterator_traitsISK_E10value_typeET2_T3_PNSL_ISQ_E10value_typeET4_jRbjT5_SW_jjP12ihipStream_tbEUlT_E1_NS1_11comp_targetILNS1_3genE9ELNS1_11target_archE1100ELNS1_3gpuE3ELNS1_3repE0EEENS1_59segmented_radix_sort_warp_sort_small_config_static_selectorELNS0_4arch9wavefront6targetE0EEEvSK_.private_seg_size, 0
	.set _ZN7rocprim17ROCPRIM_400000_NS6detail17trampoline_kernelINS0_14default_configENS1_36segmented_radix_sort_config_selectorIflEEZNS1_25segmented_radix_sort_implIS3_Lb0EPKfPfPKlPlN2at6native12_GLOBAL__N_18offset_tEEE10hipError_tPvRmT1_PNSt15iterator_traitsISK_E10value_typeET2_T3_PNSL_ISQ_E10value_typeET4_jRbjT5_SW_jjP12ihipStream_tbEUlT_E1_NS1_11comp_targetILNS1_3genE9ELNS1_11target_archE1100ELNS1_3gpuE3ELNS1_3repE0EEENS1_59segmented_radix_sort_warp_sort_small_config_static_selectorELNS0_4arch9wavefront6targetE0EEEvSK_.uses_vcc, 0
	.set _ZN7rocprim17ROCPRIM_400000_NS6detail17trampoline_kernelINS0_14default_configENS1_36segmented_radix_sort_config_selectorIflEEZNS1_25segmented_radix_sort_implIS3_Lb0EPKfPfPKlPlN2at6native12_GLOBAL__N_18offset_tEEE10hipError_tPvRmT1_PNSt15iterator_traitsISK_E10value_typeET2_T3_PNSL_ISQ_E10value_typeET4_jRbjT5_SW_jjP12ihipStream_tbEUlT_E1_NS1_11comp_targetILNS1_3genE9ELNS1_11target_archE1100ELNS1_3gpuE3ELNS1_3repE0EEENS1_59segmented_radix_sort_warp_sort_small_config_static_selectorELNS0_4arch9wavefront6targetE0EEEvSK_.uses_flat_scratch, 0
	.set _ZN7rocprim17ROCPRIM_400000_NS6detail17trampoline_kernelINS0_14default_configENS1_36segmented_radix_sort_config_selectorIflEEZNS1_25segmented_radix_sort_implIS3_Lb0EPKfPfPKlPlN2at6native12_GLOBAL__N_18offset_tEEE10hipError_tPvRmT1_PNSt15iterator_traitsISK_E10value_typeET2_T3_PNSL_ISQ_E10value_typeET4_jRbjT5_SW_jjP12ihipStream_tbEUlT_E1_NS1_11comp_targetILNS1_3genE9ELNS1_11target_archE1100ELNS1_3gpuE3ELNS1_3repE0EEENS1_59segmented_radix_sort_warp_sort_small_config_static_selectorELNS0_4arch9wavefront6targetE0EEEvSK_.has_dyn_sized_stack, 0
	.set _ZN7rocprim17ROCPRIM_400000_NS6detail17trampoline_kernelINS0_14default_configENS1_36segmented_radix_sort_config_selectorIflEEZNS1_25segmented_radix_sort_implIS3_Lb0EPKfPfPKlPlN2at6native12_GLOBAL__N_18offset_tEEE10hipError_tPvRmT1_PNSt15iterator_traitsISK_E10value_typeET2_T3_PNSL_ISQ_E10value_typeET4_jRbjT5_SW_jjP12ihipStream_tbEUlT_E1_NS1_11comp_targetILNS1_3genE9ELNS1_11target_archE1100ELNS1_3gpuE3ELNS1_3repE0EEENS1_59segmented_radix_sort_warp_sort_small_config_static_selectorELNS0_4arch9wavefront6targetE0EEEvSK_.has_recursion, 0
	.set _ZN7rocprim17ROCPRIM_400000_NS6detail17trampoline_kernelINS0_14default_configENS1_36segmented_radix_sort_config_selectorIflEEZNS1_25segmented_radix_sort_implIS3_Lb0EPKfPfPKlPlN2at6native12_GLOBAL__N_18offset_tEEE10hipError_tPvRmT1_PNSt15iterator_traitsISK_E10value_typeET2_T3_PNSL_ISQ_E10value_typeET4_jRbjT5_SW_jjP12ihipStream_tbEUlT_E1_NS1_11comp_targetILNS1_3genE9ELNS1_11target_archE1100ELNS1_3gpuE3ELNS1_3repE0EEENS1_59segmented_radix_sort_warp_sort_small_config_static_selectorELNS0_4arch9wavefront6targetE0EEEvSK_.has_indirect_call, 0
	.section	.AMDGPU.csdata,"",@progbits
; Kernel info:
; codeLenInByte = 0
; TotalNumSgprs: 0
; NumVgprs: 0
; ScratchSize: 0
; MemoryBound: 0
; FloatMode: 240
; IeeeMode: 1
; LDSByteSize: 0 bytes/workgroup (compile time only)
; SGPRBlocks: 0
; VGPRBlocks: 0
; NumSGPRsForWavesPerEU: 1
; NumVGPRsForWavesPerEU: 1
; Occupancy: 16
; WaveLimiterHint : 0
; COMPUTE_PGM_RSRC2:SCRATCH_EN: 0
; COMPUTE_PGM_RSRC2:USER_SGPR: 2
; COMPUTE_PGM_RSRC2:TRAP_HANDLER: 0
; COMPUTE_PGM_RSRC2:TGID_X_EN: 1
; COMPUTE_PGM_RSRC2:TGID_Y_EN: 0
; COMPUTE_PGM_RSRC2:TGID_Z_EN: 0
; COMPUTE_PGM_RSRC2:TIDIG_COMP_CNT: 0
	.section	.text._ZN7rocprim17ROCPRIM_400000_NS6detail17trampoline_kernelINS0_14default_configENS1_36segmented_radix_sort_config_selectorIflEEZNS1_25segmented_radix_sort_implIS3_Lb0EPKfPfPKlPlN2at6native12_GLOBAL__N_18offset_tEEE10hipError_tPvRmT1_PNSt15iterator_traitsISK_E10value_typeET2_T3_PNSL_ISQ_E10value_typeET4_jRbjT5_SW_jjP12ihipStream_tbEUlT_E1_NS1_11comp_targetILNS1_3genE8ELNS1_11target_archE1030ELNS1_3gpuE2ELNS1_3repE0EEENS1_59segmented_radix_sort_warp_sort_small_config_static_selectorELNS0_4arch9wavefront6targetE0EEEvSK_,"axG",@progbits,_ZN7rocprim17ROCPRIM_400000_NS6detail17trampoline_kernelINS0_14default_configENS1_36segmented_radix_sort_config_selectorIflEEZNS1_25segmented_radix_sort_implIS3_Lb0EPKfPfPKlPlN2at6native12_GLOBAL__N_18offset_tEEE10hipError_tPvRmT1_PNSt15iterator_traitsISK_E10value_typeET2_T3_PNSL_ISQ_E10value_typeET4_jRbjT5_SW_jjP12ihipStream_tbEUlT_E1_NS1_11comp_targetILNS1_3genE8ELNS1_11target_archE1030ELNS1_3gpuE2ELNS1_3repE0EEENS1_59segmented_radix_sort_warp_sort_small_config_static_selectorELNS0_4arch9wavefront6targetE0EEEvSK_,comdat
	.globl	_ZN7rocprim17ROCPRIM_400000_NS6detail17trampoline_kernelINS0_14default_configENS1_36segmented_radix_sort_config_selectorIflEEZNS1_25segmented_radix_sort_implIS3_Lb0EPKfPfPKlPlN2at6native12_GLOBAL__N_18offset_tEEE10hipError_tPvRmT1_PNSt15iterator_traitsISK_E10value_typeET2_T3_PNSL_ISQ_E10value_typeET4_jRbjT5_SW_jjP12ihipStream_tbEUlT_E1_NS1_11comp_targetILNS1_3genE8ELNS1_11target_archE1030ELNS1_3gpuE2ELNS1_3repE0EEENS1_59segmented_radix_sort_warp_sort_small_config_static_selectorELNS0_4arch9wavefront6targetE0EEEvSK_ ; -- Begin function _ZN7rocprim17ROCPRIM_400000_NS6detail17trampoline_kernelINS0_14default_configENS1_36segmented_radix_sort_config_selectorIflEEZNS1_25segmented_radix_sort_implIS3_Lb0EPKfPfPKlPlN2at6native12_GLOBAL__N_18offset_tEEE10hipError_tPvRmT1_PNSt15iterator_traitsISK_E10value_typeET2_T3_PNSL_ISQ_E10value_typeET4_jRbjT5_SW_jjP12ihipStream_tbEUlT_E1_NS1_11comp_targetILNS1_3genE8ELNS1_11target_archE1030ELNS1_3gpuE2ELNS1_3repE0EEENS1_59segmented_radix_sort_warp_sort_small_config_static_selectorELNS0_4arch9wavefront6targetE0EEEvSK_
	.p2align	8
	.type	_ZN7rocprim17ROCPRIM_400000_NS6detail17trampoline_kernelINS0_14default_configENS1_36segmented_radix_sort_config_selectorIflEEZNS1_25segmented_radix_sort_implIS3_Lb0EPKfPfPKlPlN2at6native12_GLOBAL__N_18offset_tEEE10hipError_tPvRmT1_PNSt15iterator_traitsISK_E10value_typeET2_T3_PNSL_ISQ_E10value_typeET4_jRbjT5_SW_jjP12ihipStream_tbEUlT_E1_NS1_11comp_targetILNS1_3genE8ELNS1_11target_archE1030ELNS1_3gpuE2ELNS1_3repE0EEENS1_59segmented_radix_sort_warp_sort_small_config_static_selectorELNS0_4arch9wavefront6targetE0EEEvSK_,@function
_ZN7rocprim17ROCPRIM_400000_NS6detail17trampoline_kernelINS0_14default_configENS1_36segmented_radix_sort_config_selectorIflEEZNS1_25segmented_radix_sort_implIS3_Lb0EPKfPfPKlPlN2at6native12_GLOBAL__N_18offset_tEEE10hipError_tPvRmT1_PNSt15iterator_traitsISK_E10value_typeET2_T3_PNSL_ISQ_E10value_typeET4_jRbjT5_SW_jjP12ihipStream_tbEUlT_E1_NS1_11comp_targetILNS1_3genE8ELNS1_11target_archE1030ELNS1_3gpuE2ELNS1_3repE0EEENS1_59segmented_radix_sort_warp_sort_small_config_static_selectorELNS0_4arch9wavefront6targetE0EEEvSK_: ; @_ZN7rocprim17ROCPRIM_400000_NS6detail17trampoline_kernelINS0_14default_configENS1_36segmented_radix_sort_config_selectorIflEEZNS1_25segmented_radix_sort_implIS3_Lb0EPKfPfPKlPlN2at6native12_GLOBAL__N_18offset_tEEE10hipError_tPvRmT1_PNSt15iterator_traitsISK_E10value_typeET2_T3_PNSL_ISQ_E10value_typeET4_jRbjT5_SW_jjP12ihipStream_tbEUlT_E1_NS1_11comp_targetILNS1_3genE8ELNS1_11target_archE1030ELNS1_3gpuE2ELNS1_3repE0EEENS1_59segmented_radix_sort_warp_sort_small_config_static_selectorELNS0_4arch9wavefront6targetE0EEEvSK_
; %bb.0:
	.section	.rodata,"a",@progbits
	.p2align	6, 0x0
	.amdhsa_kernel _ZN7rocprim17ROCPRIM_400000_NS6detail17trampoline_kernelINS0_14default_configENS1_36segmented_radix_sort_config_selectorIflEEZNS1_25segmented_radix_sort_implIS3_Lb0EPKfPfPKlPlN2at6native12_GLOBAL__N_18offset_tEEE10hipError_tPvRmT1_PNSt15iterator_traitsISK_E10value_typeET2_T3_PNSL_ISQ_E10value_typeET4_jRbjT5_SW_jjP12ihipStream_tbEUlT_E1_NS1_11comp_targetILNS1_3genE8ELNS1_11target_archE1030ELNS1_3gpuE2ELNS1_3repE0EEENS1_59segmented_radix_sort_warp_sort_small_config_static_selectorELNS0_4arch9wavefront6targetE0EEEvSK_
		.amdhsa_group_segment_fixed_size 0
		.amdhsa_private_segment_fixed_size 0
		.amdhsa_kernarg_size 88
		.amdhsa_user_sgpr_count 2
		.amdhsa_user_sgpr_dispatch_ptr 0
		.amdhsa_user_sgpr_queue_ptr 0
		.amdhsa_user_sgpr_kernarg_segment_ptr 1
		.amdhsa_user_sgpr_dispatch_id 0
		.amdhsa_user_sgpr_private_segment_size 0
		.amdhsa_wavefront_size32 1
		.amdhsa_uses_dynamic_stack 0
		.amdhsa_enable_private_segment 0
		.amdhsa_system_sgpr_workgroup_id_x 1
		.amdhsa_system_sgpr_workgroup_id_y 0
		.amdhsa_system_sgpr_workgroup_id_z 0
		.amdhsa_system_sgpr_workgroup_info 0
		.amdhsa_system_vgpr_workitem_id 0
		.amdhsa_next_free_vgpr 1
		.amdhsa_next_free_sgpr 1
		.amdhsa_reserve_vcc 0
		.amdhsa_float_round_mode_32 0
		.amdhsa_float_round_mode_16_64 0
		.amdhsa_float_denorm_mode_32 3
		.amdhsa_float_denorm_mode_16_64 3
		.amdhsa_fp16_overflow 0
		.amdhsa_workgroup_processor_mode 1
		.amdhsa_memory_ordered 1
		.amdhsa_forward_progress 1
		.amdhsa_inst_pref_size 0
		.amdhsa_round_robin_scheduling 0
		.amdhsa_exception_fp_ieee_invalid_op 0
		.amdhsa_exception_fp_denorm_src 0
		.amdhsa_exception_fp_ieee_div_zero 0
		.amdhsa_exception_fp_ieee_overflow 0
		.amdhsa_exception_fp_ieee_underflow 0
		.amdhsa_exception_fp_ieee_inexact 0
		.amdhsa_exception_int_div_zero 0
	.end_amdhsa_kernel
	.section	.text._ZN7rocprim17ROCPRIM_400000_NS6detail17trampoline_kernelINS0_14default_configENS1_36segmented_radix_sort_config_selectorIflEEZNS1_25segmented_radix_sort_implIS3_Lb0EPKfPfPKlPlN2at6native12_GLOBAL__N_18offset_tEEE10hipError_tPvRmT1_PNSt15iterator_traitsISK_E10value_typeET2_T3_PNSL_ISQ_E10value_typeET4_jRbjT5_SW_jjP12ihipStream_tbEUlT_E1_NS1_11comp_targetILNS1_3genE8ELNS1_11target_archE1030ELNS1_3gpuE2ELNS1_3repE0EEENS1_59segmented_radix_sort_warp_sort_small_config_static_selectorELNS0_4arch9wavefront6targetE0EEEvSK_,"axG",@progbits,_ZN7rocprim17ROCPRIM_400000_NS6detail17trampoline_kernelINS0_14default_configENS1_36segmented_radix_sort_config_selectorIflEEZNS1_25segmented_radix_sort_implIS3_Lb0EPKfPfPKlPlN2at6native12_GLOBAL__N_18offset_tEEE10hipError_tPvRmT1_PNSt15iterator_traitsISK_E10value_typeET2_T3_PNSL_ISQ_E10value_typeET4_jRbjT5_SW_jjP12ihipStream_tbEUlT_E1_NS1_11comp_targetILNS1_3genE8ELNS1_11target_archE1030ELNS1_3gpuE2ELNS1_3repE0EEENS1_59segmented_radix_sort_warp_sort_small_config_static_selectorELNS0_4arch9wavefront6targetE0EEEvSK_,comdat
.Lfunc_end1457:
	.size	_ZN7rocprim17ROCPRIM_400000_NS6detail17trampoline_kernelINS0_14default_configENS1_36segmented_radix_sort_config_selectorIflEEZNS1_25segmented_radix_sort_implIS3_Lb0EPKfPfPKlPlN2at6native12_GLOBAL__N_18offset_tEEE10hipError_tPvRmT1_PNSt15iterator_traitsISK_E10value_typeET2_T3_PNSL_ISQ_E10value_typeET4_jRbjT5_SW_jjP12ihipStream_tbEUlT_E1_NS1_11comp_targetILNS1_3genE8ELNS1_11target_archE1030ELNS1_3gpuE2ELNS1_3repE0EEENS1_59segmented_radix_sort_warp_sort_small_config_static_selectorELNS0_4arch9wavefront6targetE0EEEvSK_, .Lfunc_end1457-_ZN7rocprim17ROCPRIM_400000_NS6detail17trampoline_kernelINS0_14default_configENS1_36segmented_radix_sort_config_selectorIflEEZNS1_25segmented_radix_sort_implIS3_Lb0EPKfPfPKlPlN2at6native12_GLOBAL__N_18offset_tEEE10hipError_tPvRmT1_PNSt15iterator_traitsISK_E10value_typeET2_T3_PNSL_ISQ_E10value_typeET4_jRbjT5_SW_jjP12ihipStream_tbEUlT_E1_NS1_11comp_targetILNS1_3genE8ELNS1_11target_archE1030ELNS1_3gpuE2ELNS1_3repE0EEENS1_59segmented_radix_sort_warp_sort_small_config_static_selectorELNS0_4arch9wavefront6targetE0EEEvSK_
                                        ; -- End function
	.set _ZN7rocprim17ROCPRIM_400000_NS6detail17trampoline_kernelINS0_14default_configENS1_36segmented_radix_sort_config_selectorIflEEZNS1_25segmented_radix_sort_implIS3_Lb0EPKfPfPKlPlN2at6native12_GLOBAL__N_18offset_tEEE10hipError_tPvRmT1_PNSt15iterator_traitsISK_E10value_typeET2_T3_PNSL_ISQ_E10value_typeET4_jRbjT5_SW_jjP12ihipStream_tbEUlT_E1_NS1_11comp_targetILNS1_3genE8ELNS1_11target_archE1030ELNS1_3gpuE2ELNS1_3repE0EEENS1_59segmented_radix_sort_warp_sort_small_config_static_selectorELNS0_4arch9wavefront6targetE0EEEvSK_.num_vgpr, 0
	.set _ZN7rocprim17ROCPRIM_400000_NS6detail17trampoline_kernelINS0_14default_configENS1_36segmented_radix_sort_config_selectorIflEEZNS1_25segmented_radix_sort_implIS3_Lb0EPKfPfPKlPlN2at6native12_GLOBAL__N_18offset_tEEE10hipError_tPvRmT1_PNSt15iterator_traitsISK_E10value_typeET2_T3_PNSL_ISQ_E10value_typeET4_jRbjT5_SW_jjP12ihipStream_tbEUlT_E1_NS1_11comp_targetILNS1_3genE8ELNS1_11target_archE1030ELNS1_3gpuE2ELNS1_3repE0EEENS1_59segmented_radix_sort_warp_sort_small_config_static_selectorELNS0_4arch9wavefront6targetE0EEEvSK_.num_agpr, 0
	.set _ZN7rocprim17ROCPRIM_400000_NS6detail17trampoline_kernelINS0_14default_configENS1_36segmented_radix_sort_config_selectorIflEEZNS1_25segmented_radix_sort_implIS3_Lb0EPKfPfPKlPlN2at6native12_GLOBAL__N_18offset_tEEE10hipError_tPvRmT1_PNSt15iterator_traitsISK_E10value_typeET2_T3_PNSL_ISQ_E10value_typeET4_jRbjT5_SW_jjP12ihipStream_tbEUlT_E1_NS1_11comp_targetILNS1_3genE8ELNS1_11target_archE1030ELNS1_3gpuE2ELNS1_3repE0EEENS1_59segmented_radix_sort_warp_sort_small_config_static_selectorELNS0_4arch9wavefront6targetE0EEEvSK_.numbered_sgpr, 0
	.set _ZN7rocprim17ROCPRIM_400000_NS6detail17trampoline_kernelINS0_14default_configENS1_36segmented_radix_sort_config_selectorIflEEZNS1_25segmented_radix_sort_implIS3_Lb0EPKfPfPKlPlN2at6native12_GLOBAL__N_18offset_tEEE10hipError_tPvRmT1_PNSt15iterator_traitsISK_E10value_typeET2_T3_PNSL_ISQ_E10value_typeET4_jRbjT5_SW_jjP12ihipStream_tbEUlT_E1_NS1_11comp_targetILNS1_3genE8ELNS1_11target_archE1030ELNS1_3gpuE2ELNS1_3repE0EEENS1_59segmented_radix_sort_warp_sort_small_config_static_selectorELNS0_4arch9wavefront6targetE0EEEvSK_.num_named_barrier, 0
	.set _ZN7rocprim17ROCPRIM_400000_NS6detail17trampoline_kernelINS0_14default_configENS1_36segmented_radix_sort_config_selectorIflEEZNS1_25segmented_radix_sort_implIS3_Lb0EPKfPfPKlPlN2at6native12_GLOBAL__N_18offset_tEEE10hipError_tPvRmT1_PNSt15iterator_traitsISK_E10value_typeET2_T3_PNSL_ISQ_E10value_typeET4_jRbjT5_SW_jjP12ihipStream_tbEUlT_E1_NS1_11comp_targetILNS1_3genE8ELNS1_11target_archE1030ELNS1_3gpuE2ELNS1_3repE0EEENS1_59segmented_radix_sort_warp_sort_small_config_static_selectorELNS0_4arch9wavefront6targetE0EEEvSK_.private_seg_size, 0
	.set _ZN7rocprim17ROCPRIM_400000_NS6detail17trampoline_kernelINS0_14default_configENS1_36segmented_radix_sort_config_selectorIflEEZNS1_25segmented_radix_sort_implIS3_Lb0EPKfPfPKlPlN2at6native12_GLOBAL__N_18offset_tEEE10hipError_tPvRmT1_PNSt15iterator_traitsISK_E10value_typeET2_T3_PNSL_ISQ_E10value_typeET4_jRbjT5_SW_jjP12ihipStream_tbEUlT_E1_NS1_11comp_targetILNS1_3genE8ELNS1_11target_archE1030ELNS1_3gpuE2ELNS1_3repE0EEENS1_59segmented_radix_sort_warp_sort_small_config_static_selectorELNS0_4arch9wavefront6targetE0EEEvSK_.uses_vcc, 0
	.set _ZN7rocprim17ROCPRIM_400000_NS6detail17trampoline_kernelINS0_14default_configENS1_36segmented_radix_sort_config_selectorIflEEZNS1_25segmented_radix_sort_implIS3_Lb0EPKfPfPKlPlN2at6native12_GLOBAL__N_18offset_tEEE10hipError_tPvRmT1_PNSt15iterator_traitsISK_E10value_typeET2_T3_PNSL_ISQ_E10value_typeET4_jRbjT5_SW_jjP12ihipStream_tbEUlT_E1_NS1_11comp_targetILNS1_3genE8ELNS1_11target_archE1030ELNS1_3gpuE2ELNS1_3repE0EEENS1_59segmented_radix_sort_warp_sort_small_config_static_selectorELNS0_4arch9wavefront6targetE0EEEvSK_.uses_flat_scratch, 0
	.set _ZN7rocprim17ROCPRIM_400000_NS6detail17trampoline_kernelINS0_14default_configENS1_36segmented_radix_sort_config_selectorIflEEZNS1_25segmented_radix_sort_implIS3_Lb0EPKfPfPKlPlN2at6native12_GLOBAL__N_18offset_tEEE10hipError_tPvRmT1_PNSt15iterator_traitsISK_E10value_typeET2_T3_PNSL_ISQ_E10value_typeET4_jRbjT5_SW_jjP12ihipStream_tbEUlT_E1_NS1_11comp_targetILNS1_3genE8ELNS1_11target_archE1030ELNS1_3gpuE2ELNS1_3repE0EEENS1_59segmented_radix_sort_warp_sort_small_config_static_selectorELNS0_4arch9wavefront6targetE0EEEvSK_.has_dyn_sized_stack, 0
	.set _ZN7rocprim17ROCPRIM_400000_NS6detail17trampoline_kernelINS0_14default_configENS1_36segmented_radix_sort_config_selectorIflEEZNS1_25segmented_radix_sort_implIS3_Lb0EPKfPfPKlPlN2at6native12_GLOBAL__N_18offset_tEEE10hipError_tPvRmT1_PNSt15iterator_traitsISK_E10value_typeET2_T3_PNSL_ISQ_E10value_typeET4_jRbjT5_SW_jjP12ihipStream_tbEUlT_E1_NS1_11comp_targetILNS1_3genE8ELNS1_11target_archE1030ELNS1_3gpuE2ELNS1_3repE0EEENS1_59segmented_radix_sort_warp_sort_small_config_static_selectorELNS0_4arch9wavefront6targetE0EEEvSK_.has_recursion, 0
	.set _ZN7rocprim17ROCPRIM_400000_NS6detail17trampoline_kernelINS0_14default_configENS1_36segmented_radix_sort_config_selectorIflEEZNS1_25segmented_radix_sort_implIS3_Lb0EPKfPfPKlPlN2at6native12_GLOBAL__N_18offset_tEEE10hipError_tPvRmT1_PNSt15iterator_traitsISK_E10value_typeET2_T3_PNSL_ISQ_E10value_typeET4_jRbjT5_SW_jjP12ihipStream_tbEUlT_E1_NS1_11comp_targetILNS1_3genE8ELNS1_11target_archE1030ELNS1_3gpuE2ELNS1_3repE0EEENS1_59segmented_radix_sort_warp_sort_small_config_static_selectorELNS0_4arch9wavefront6targetE0EEEvSK_.has_indirect_call, 0
	.section	.AMDGPU.csdata,"",@progbits
; Kernel info:
; codeLenInByte = 0
; TotalNumSgprs: 0
; NumVgprs: 0
; ScratchSize: 0
; MemoryBound: 0
; FloatMode: 240
; IeeeMode: 1
; LDSByteSize: 0 bytes/workgroup (compile time only)
; SGPRBlocks: 0
; VGPRBlocks: 0
; NumSGPRsForWavesPerEU: 1
; NumVGPRsForWavesPerEU: 1
; Occupancy: 16
; WaveLimiterHint : 0
; COMPUTE_PGM_RSRC2:SCRATCH_EN: 0
; COMPUTE_PGM_RSRC2:USER_SGPR: 2
; COMPUTE_PGM_RSRC2:TRAP_HANDLER: 0
; COMPUTE_PGM_RSRC2:TGID_X_EN: 1
; COMPUTE_PGM_RSRC2:TGID_Y_EN: 0
; COMPUTE_PGM_RSRC2:TGID_Z_EN: 0
; COMPUTE_PGM_RSRC2:TIDIG_COMP_CNT: 0
	.section	.text._ZN7rocprim17ROCPRIM_400000_NS6detail17trampoline_kernelINS0_14default_configENS1_36segmented_radix_sort_config_selectorIflEEZNS1_25segmented_radix_sort_implIS3_Lb0EPKfPfPKlPlN2at6native12_GLOBAL__N_18offset_tEEE10hipError_tPvRmT1_PNSt15iterator_traitsISK_E10value_typeET2_T3_PNSL_ISQ_E10value_typeET4_jRbjT5_SW_jjP12ihipStream_tbEUlT_E2_NS1_11comp_targetILNS1_3genE0ELNS1_11target_archE4294967295ELNS1_3gpuE0ELNS1_3repE0EEENS1_30default_config_static_selectorELNS0_4arch9wavefront6targetE0EEEvSK_,"axG",@progbits,_ZN7rocprim17ROCPRIM_400000_NS6detail17trampoline_kernelINS0_14default_configENS1_36segmented_radix_sort_config_selectorIflEEZNS1_25segmented_radix_sort_implIS3_Lb0EPKfPfPKlPlN2at6native12_GLOBAL__N_18offset_tEEE10hipError_tPvRmT1_PNSt15iterator_traitsISK_E10value_typeET2_T3_PNSL_ISQ_E10value_typeET4_jRbjT5_SW_jjP12ihipStream_tbEUlT_E2_NS1_11comp_targetILNS1_3genE0ELNS1_11target_archE4294967295ELNS1_3gpuE0ELNS1_3repE0EEENS1_30default_config_static_selectorELNS0_4arch9wavefront6targetE0EEEvSK_,comdat
	.globl	_ZN7rocprim17ROCPRIM_400000_NS6detail17trampoline_kernelINS0_14default_configENS1_36segmented_radix_sort_config_selectorIflEEZNS1_25segmented_radix_sort_implIS3_Lb0EPKfPfPKlPlN2at6native12_GLOBAL__N_18offset_tEEE10hipError_tPvRmT1_PNSt15iterator_traitsISK_E10value_typeET2_T3_PNSL_ISQ_E10value_typeET4_jRbjT5_SW_jjP12ihipStream_tbEUlT_E2_NS1_11comp_targetILNS1_3genE0ELNS1_11target_archE4294967295ELNS1_3gpuE0ELNS1_3repE0EEENS1_30default_config_static_selectorELNS0_4arch9wavefront6targetE0EEEvSK_ ; -- Begin function _ZN7rocprim17ROCPRIM_400000_NS6detail17trampoline_kernelINS0_14default_configENS1_36segmented_radix_sort_config_selectorIflEEZNS1_25segmented_radix_sort_implIS3_Lb0EPKfPfPKlPlN2at6native12_GLOBAL__N_18offset_tEEE10hipError_tPvRmT1_PNSt15iterator_traitsISK_E10value_typeET2_T3_PNSL_ISQ_E10value_typeET4_jRbjT5_SW_jjP12ihipStream_tbEUlT_E2_NS1_11comp_targetILNS1_3genE0ELNS1_11target_archE4294967295ELNS1_3gpuE0ELNS1_3repE0EEENS1_30default_config_static_selectorELNS0_4arch9wavefront6targetE0EEEvSK_
	.p2align	8
	.type	_ZN7rocprim17ROCPRIM_400000_NS6detail17trampoline_kernelINS0_14default_configENS1_36segmented_radix_sort_config_selectorIflEEZNS1_25segmented_radix_sort_implIS3_Lb0EPKfPfPKlPlN2at6native12_GLOBAL__N_18offset_tEEE10hipError_tPvRmT1_PNSt15iterator_traitsISK_E10value_typeET2_T3_PNSL_ISQ_E10value_typeET4_jRbjT5_SW_jjP12ihipStream_tbEUlT_E2_NS1_11comp_targetILNS1_3genE0ELNS1_11target_archE4294967295ELNS1_3gpuE0ELNS1_3repE0EEENS1_30default_config_static_selectorELNS0_4arch9wavefront6targetE0EEEvSK_,@function
_ZN7rocprim17ROCPRIM_400000_NS6detail17trampoline_kernelINS0_14default_configENS1_36segmented_radix_sort_config_selectorIflEEZNS1_25segmented_radix_sort_implIS3_Lb0EPKfPfPKlPlN2at6native12_GLOBAL__N_18offset_tEEE10hipError_tPvRmT1_PNSt15iterator_traitsISK_E10value_typeET2_T3_PNSL_ISQ_E10value_typeET4_jRbjT5_SW_jjP12ihipStream_tbEUlT_E2_NS1_11comp_targetILNS1_3genE0ELNS1_11target_archE4294967295ELNS1_3gpuE0ELNS1_3repE0EEENS1_30default_config_static_selectorELNS0_4arch9wavefront6targetE0EEEvSK_: ; @_ZN7rocprim17ROCPRIM_400000_NS6detail17trampoline_kernelINS0_14default_configENS1_36segmented_radix_sort_config_selectorIflEEZNS1_25segmented_radix_sort_implIS3_Lb0EPKfPfPKlPlN2at6native12_GLOBAL__N_18offset_tEEE10hipError_tPvRmT1_PNSt15iterator_traitsISK_E10value_typeET2_T3_PNSL_ISQ_E10value_typeET4_jRbjT5_SW_jjP12ihipStream_tbEUlT_E2_NS1_11comp_targetILNS1_3genE0ELNS1_11target_archE4294967295ELNS1_3gpuE0ELNS1_3repE0EEENS1_30default_config_static_selectorELNS0_4arch9wavefront6targetE0EEEvSK_
; %bb.0:
	.section	.rodata,"a",@progbits
	.p2align	6, 0x0
	.amdhsa_kernel _ZN7rocprim17ROCPRIM_400000_NS6detail17trampoline_kernelINS0_14default_configENS1_36segmented_radix_sort_config_selectorIflEEZNS1_25segmented_radix_sort_implIS3_Lb0EPKfPfPKlPlN2at6native12_GLOBAL__N_18offset_tEEE10hipError_tPvRmT1_PNSt15iterator_traitsISK_E10value_typeET2_T3_PNSL_ISQ_E10value_typeET4_jRbjT5_SW_jjP12ihipStream_tbEUlT_E2_NS1_11comp_targetILNS1_3genE0ELNS1_11target_archE4294967295ELNS1_3gpuE0ELNS1_3repE0EEENS1_30default_config_static_selectorELNS0_4arch9wavefront6targetE0EEEvSK_
		.amdhsa_group_segment_fixed_size 0
		.amdhsa_private_segment_fixed_size 0
		.amdhsa_kernarg_size 80
		.amdhsa_user_sgpr_count 2
		.amdhsa_user_sgpr_dispatch_ptr 0
		.amdhsa_user_sgpr_queue_ptr 0
		.amdhsa_user_sgpr_kernarg_segment_ptr 1
		.amdhsa_user_sgpr_dispatch_id 0
		.amdhsa_user_sgpr_private_segment_size 0
		.amdhsa_wavefront_size32 1
		.amdhsa_uses_dynamic_stack 0
		.amdhsa_enable_private_segment 0
		.amdhsa_system_sgpr_workgroup_id_x 1
		.amdhsa_system_sgpr_workgroup_id_y 0
		.amdhsa_system_sgpr_workgroup_id_z 0
		.amdhsa_system_sgpr_workgroup_info 0
		.amdhsa_system_vgpr_workitem_id 0
		.amdhsa_next_free_vgpr 1
		.amdhsa_next_free_sgpr 1
		.amdhsa_reserve_vcc 0
		.amdhsa_float_round_mode_32 0
		.amdhsa_float_round_mode_16_64 0
		.amdhsa_float_denorm_mode_32 3
		.amdhsa_float_denorm_mode_16_64 3
		.amdhsa_fp16_overflow 0
		.amdhsa_workgroup_processor_mode 1
		.amdhsa_memory_ordered 1
		.amdhsa_forward_progress 1
		.amdhsa_inst_pref_size 0
		.amdhsa_round_robin_scheduling 0
		.amdhsa_exception_fp_ieee_invalid_op 0
		.amdhsa_exception_fp_denorm_src 0
		.amdhsa_exception_fp_ieee_div_zero 0
		.amdhsa_exception_fp_ieee_overflow 0
		.amdhsa_exception_fp_ieee_underflow 0
		.amdhsa_exception_fp_ieee_inexact 0
		.amdhsa_exception_int_div_zero 0
	.end_amdhsa_kernel
	.section	.text._ZN7rocprim17ROCPRIM_400000_NS6detail17trampoline_kernelINS0_14default_configENS1_36segmented_radix_sort_config_selectorIflEEZNS1_25segmented_radix_sort_implIS3_Lb0EPKfPfPKlPlN2at6native12_GLOBAL__N_18offset_tEEE10hipError_tPvRmT1_PNSt15iterator_traitsISK_E10value_typeET2_T3_PNSL_ISQ_E10value_typeET4_jRbjT5_SW_jjP12ihipStream_tbEUlT_E2_NS1_11comp_targetILNS1_3genE0ELNS1_11target_archE4294967295ELNS1_3gpuE0ELNS1_3repE0EEENS1_30default_config_static_selectorELNS0_4arch9wavefront6targetE0EEEvSK_,"axG",@progbits,_ZN7rocprim17ROCPRIM_400000_NS6detail17trampoline_kernelINS0_14default_configENS1_36segmented_radix_sort_config_selectorIflEEZNS1_25segmented_radix_sort_implIS3_Lb0EPKfPfPKlPlN2at6native12_GLOBAL__N_18offset_tEEE10hipError_tPvRmT1_PNSt15iterator_traitsISK_E10value_typeET2_T3_PNSL_ISQ_E10value_typeET4_jRbjT5_SW_jjP12ihipStream_tbEUlT_E2_NS1_11comp_targetILNS1_3genE0ELNS1_11target_archE4294967295ELNS1_3gpuE0ELNS1_3repE0EEENS1_30default_config_static_selectorELNS0_4arch9wavefront6targetE0EEEvSK_,comdat
.Lfunc_end1458:
	.size	_ZN7rocprim17ROCPRIM_400000_NS6detail17trampoline_kernelINS0_14default_configENS1_36segmented_radix_sort_config_selectorIflEEZNS1_25segmented_radix_sort_implIS3_Lb0EPKfPfPKlPlN2at6native12_GLOBAL__N_18offset_tEEE10hipError_tPvRmT1_PNSt15iterator_traitsISK_E10value_typeET2_T3_PNSL_ISQ_E10value_typeET4_jRbjT5_SW_jjP12ihipStream_tbEUlT_E2_NS1_11comp_targetILNS1_3genE0ELNS1_11target_archE4294967295ELNS1_3gpuE0ELNS1_3repE0EEENS1_30default_config_static_selectorELNS0_4arch9wavefront6targetE0EEEvSK_, .Lfunc_end1458-_ZN7rocprim17ROCPRIM_400000_NS6detail17trampoline_kernelINS0_14default_configENS1_36segmented_radix_sort_config_selectorIflEEZNS1_25segmented_radix_sort_implIS3_Lb0EPKfPfPKlPlN2at6native12_GLOBAL__N_18offset_tEEE10hipError_tPvRmT1_PNSt15iterator_traitsISK_E10value_typeET2_T3_PNSL_ISQ_E10value_typeET4_jRbjT5_SW_jjP12ihipStream_tbEUlT_E2_NS1_11comp_targetILNS1_3genE0ELNS1_11target_archE4294967295ELNS1_3gpuE0ELNS1_3repE0EEENS1_30default_config_static_selectorELNS0_4arch9wavefront6targetE0EEEvSK_
                                        ; -- End function
	.set _ZN7rocprim17ROCPRIM_400000_NS6detail17trampoline_kernelINS0_14default_configENS1_36segmented_radix_sort_config_selectorIflEEZNS1_25segmented_radix_sort_implIS3_Lb0EPKfPfPKlPlN2at6native12_GLOBAL__N_18offset_tEEE10hipError_tPvRmT1_PNSt15iterator_traitsISK_E10value_typeET2_T3_PNSL_ISQ_E10value_typeET4_jRbjT5_SW_jjP12ihipStream_tbEUlT_E2_NS1_11comp_targetILNS1_3genE0ELNS1_11target_archE4294967295ELNS1_3gpuE0ELNS1_3repE0EEENS1_30default_config_static_selectorELNS0_4arch9wavefront6targetE0EEEvSK_.num_vgpr, 0
	.set _ZN7rocprim17ROCPRIM_400000_NS6detail17trampoline_kernelINS0_14default_configENS1_36segmented_radix_sort_config_selectorIflEEZNS1_25segmented_radix_sort_implIS3_Lb0EPKfPfPKlPlN2at6native12_GLOBAL__N_18offset_tEEE10hipError_tPvRmT1_PNSt15iterator_traitsISK_E10value_typeET2_T3_PNSL_ISQ_E10value_typeET4_jRbjT5_SW_jjP12ihipStream_tbEUlT_E2_NS1_11comp_targetILNS1_3genE0ELNS1_11target_archE4294967295ELNS1_3gpuE0ELNS1_3repE0EEENS1_30default_config_static_selectorELNS0_4arch9wavefront6targetE0EEEvSK_.num_agpr, 0
	.set _ZN7rocprim17ROCPRIM_400000_NS6detail17trampoline_kernelINS0_14default_configENS1_36segmented_radix_sort_config_selectorIflEEZNS1_25segmented_radix_sort_implIS3_Lb0EPKfPfPKlPlN2at6native12_GLOBAL__N_18offset_tEEE10hipError_tPvRmT1_PNSt15iterator_traitsISK_E10value_typeET2_T3_PNSL_ISQ_E10value_typeET4_jRbjT5_SW_jjP12ihipStream_tbEUlT_E2_NS1_11comp_targetILNS1_3genE0ELNS1_11target_archE4294967295ELNS1_3gpuE0ELNS1_3repE0EEENS1_30default_config_static_selectorELNS0_4arch9wavefront6targetE0EEEvSK_.numbered_sgpr, 0
	.set _ZN7rocprim17ROCPRIM_400000_NS6detail17trampoline_kernelINS0_14default_configENS1_36segmented_radix_sort_config_selectorIflEEZNS1_25segmented_radix_sort_implIS3_Lb0EPKfPfPKlPlN2at6native12_GLOBAL__N_18offset_tEEE10hipError_tPvRmT1_PNSt15iterator_traitsISK_E10value_typeET2_T3_PNSL_ISQ_E10value_typeET4_jRbjT5_SW_jjP12ihipStream_tbEUlT_E2_NS1_11comp_targetILNS1_3genE0ELNS1_11target_archE4294967295ELNS1_3gpuE0ELNS1_3repE0EEENS1_30default_config_static_selectorELNS0_4arch9wavefront6targetE0EEEvSK_.num_named_barrier, 0
	.set _ZN7rocprim17ROCPRIM_400000_NS6detail17trampoline_kernelINS0_14default_configENS1_36segmented_radix_sort_config_selectorIflEEZNS1_25segmented_radix_sort_implIS3_Lb0EPKfPfPKlPlN2at6native12_GLOBAL__N_18offset_tEEE10hipError_tPvRmT1_PNSt15iterator_traitsISK_E10value_typeET2_T3_PNSL_ISQ_E10value_typeET4_jRbjT5_SW_jjP12ihipStream_tbEUlT_E2_NS1_11comp_targetILNS1_3genE0ELNS1_11target_archE4294967295ELNS1_3gpuE0ELNS1_3repE0EEENS1_30default_config_static_selectorELNS0_4arch9wavefront6targetE0EEEvSK_.private_seg_size, 0
	.set _ZN7rocprim17ROCPRIM_400000_NS6detail17trampoline_kernelINS0_14default_configENS1_36segmented_radix_sort_config_selectorIflEEZNS1_25segmented_radix_sort_implIS3_Lb0EPKfPfPKlPlN2at6native12_GLOBAL__N_18offset_tEEE10hipError_tPvRmT1_PNSt15iterator_traitsISK_E10value_typeET2_T3_PNSL_ISQ_E10value_typeET4_jRbjT5_SW_jjP12ihipStream_tbEUlT_E2_NS1_11comp_targetILNS1_3genE0ELNS1_11target_archE4294967295ELNS1_3gpuE0ELNS1_3repE0EEENS1_30default_config_static_selectorELNS0_4arch9wavefront6targetE0EEEvSK_.uses_vcc, 0
	.set _ZN7rocprim17ROCPRIM_400000_NS6detail17trampoline_kernelINS0_14default_configENS1_36segmented_radix_sort_config_selectorIflEEZNS1_25segmented_radix_sort_implIS3_Lb0EPKfPfPKlPlN2at6native12_GLOBAL__N_18offset_tEEE10hipError_tPvRmT1_PNSt15iterator_traitsISK_E10value_typeET2_T3_PNSL_ISQ_E10value_typeET4_jRbjT5_SW_jjP12ihipStream_tbEUlT_E2_NS1_11comp_targetILNS1_3genE0ELNS1_11target_archE4294967295ELNS1_3gpuE0ELNS1_3repE0EEENS1_30default_config_static_selectorELNS0_4arch9wavefront6targetE0EEEvSK_.uses_flat_scratch, 0
	.set _ZN7rocprim17ROCPRIM_400000_NS6detail17trampoline_kernelINS0_14default_configENS1_36segmented_radix_sort_config_selectorIflEEZNS1_25segmented_radix_sort_implIS3_Lb0EPKfPfPKlPlN2at6native12_GLOBAL__N_18offset_tEEE10hipError_tPvRmT1_PNSt15iterator_traitsISK_E10value_typeET2_T3_PNSL_ISQ_E10value_typeET4_jRbjT5_SW_jjP12ihipStream_tbEUlT_E2_NS1_11comp_targetILNS1_3genE0ELNS1_11target_archE4294967295ELNS1_3gpuE0ELNS1_3repE0EEENS1_30default_config_static_selectorELNS0_4arch9wavefront6targetE0EEEvSK_.has_dyn_sized_stack, 0
	.set _ZN7rocprim17ROCPRIM_400000_NS6detail17trampoline_kernelINS0_14default_configENS1_36segmented_radix_sort_config_selectorIflEEZNS1_25segmented_radix_sort_implIS3_Lb0EPKfPfPKlPlN2at6native12_GLOBAL__N_18offset_tEEE10hipError_tPvRmT1_PNSt15iterator_traitsISK_E10value_typeET2_T3_PNSL_ISQ_E10value_typeET4_jRbjT5_SW_jjP12ihipStream_tbEUlT_E2_NS1_11comp_targetILNS1_3genE0ELNS1_11target_archE4294967295ELNS1_3gpuE0ELNS1_3repE0EEENS1_30default_config_static_selectorELNS0_4arch9wavefront6targetE0EEEvSK_.has_recursion, 0
	.set _ZN7rocprim17ROCPRIM_400000_NS6detail17trampoline_kernelINS0_14default_configENS1_36segmented_radix_sort_config_selectorIflEEZNS1_25segmented_radix_sort_implIS3_Lb0EPKfPfPKlPlN2at6native12_GLOBAL__N_18offset_tEEE10hipError_tPvRmT1_PNSt15iterator_traitsISK_E10value_typeET2_T3_PNSL_ISQ_E10value_typeET4_jRbjT5_SW_jjP12ihipStream_tbEUlT_E2_NS1_11comp_targetILNS1_3genE0ELNS1_11target_archE4294967295ELNS1_3gpuE0ELNS1_3repE0EEENS1_30default_config_static_selectorELNS0_4arch9wavefront6targetE0EEEvSK_.has_indirect_call, 0
	.section	.AMDGPU.csdata,"",@progbits
; Kernel info:
; codeLenInByte = 0
; TotalNumSgprs: 0
; NumVgprs: 0
; ScratchSize: 0
; MemoryBound: 0
; FloatMode: 240
; IeeeMode: 1
; LDSByteSize: 0 bytes/workgroup (compile time only)
; SGPRBlocks: 0
; VGPRBlocks: 0
; NumSGPRsForWavesPerEU: 1
; NumVGPRsForWavesPerEU: 1
; Occupancy: 16
; WaveLimiterHint : 0
; COMPUTE_PGM_RSRC2:SCRATCH_EN: 0
; COMPUTE_PGM_RSRC2:USER_SGPR: 2
; COMPUTE_PGM_RSRC2:TRAP_HANDLER: 0
; COMPUTE_PGM_RSRC2:TGID_X_EN: 1
; COMPUTE_PGM_RSRC2:TGID_Y_EN: 0
; COMPUTE_PGM_RSRC2:TGID_Z_EN: 0
; COMPUTE_PGM_RSRC2:TIDIG_COMP_CNT: 0
	.section	.text._ZN7rocprim17ROCPRIM_400000_NS6detail17trampoline_kernelINS0_14default_configENS1_36segmented_radix_sort_config_selectorIflEEZNS1_25segmented_radix_sort_implIS3_Lb0EPKfPfPKlPlN2at6native12_GLOBAL__N_18offset_tEEE10hipError_tPvRmT1_PNSt15iterator_traitsISK_E10value_typeET2_T3_PNSL_ISQ_E10value_typeET4_jRbjT5_SW_jjP12ihipStream_tbEUlT_E2_NS1_11comp_targetILNS1_3genE5ELNS1_11target_archE942ELNS1_3gpuE9ELNS1_3repE0EEENS1_30default_config_static_selectorELNS0_4arch9wavefront6targetE0EEEvSK_,"axG",@progbits,_ZN7rocprim17ROCPRIM_400000_NS6detail17trampoline_kernelINS0_14default_configENS1_36segmented_radix_sort_config_selectorIflEEZNS1_25segmented_radix_sort_implIS3_Lb0EPKfPfPKlPlN2at6native12_GLOBAL__N_18offset_tEEE10hipError_tPvRmT1_PNSt15iterator_traitsISK_E10value_typeET2_T3_PNSL_ISQ_E10value_typeET4_jRbjT5_SW_jjP12ihipStream_tbEUlT_E2_NS1_11comp_targetILNS1_3genE5ELNS1_11target_archE942ELNS1_3gpuE9ELNS1_3repE0EEENS1_30default_config_static_selectorELNS0_4arch9wavefront6targetE0EEEvSK_,comdat
	.globl	_ZN7rocprim17ROCPRIM_400000_NS6detail17trampoline_kernelINS0_14default_configENS1_36segmented_radix_sort_config_selectorIflEEZNS1_25segmented_radix_sort_implIS3_Lb0EPKfPfPKlPlN2at6native12_GLOBAL__N_18offset_tEEE10hipError_tPvRmT1_PNSt15iterator_traitsISK_E10value_typeET2_T3_PNSL_ISQ_E10value_typeET4_jRbjT5_SW_jjP12ihipStream_tbEUlT_E2_NS1_11comp_targetILNS1_3genE5ELNS1_11target_archE942ELNS1_3gpuE9ELNS1_3repE0EEENS1_30default_config_static_selectorELNS0_4arch9wavefront6targetE0EEEvSK_ ; -- Begin function _ZN7rocprim17ROCPRIM_400000_NS6detail17trampoline_kernelINS0_14default_configENS1_36segmented_radix_sort_config_selectorIflEEZNS1_25segmented_radix_sort_implIS3_Lb0EPKfPfPKlPlN2at6native12_GLOBAL__N_18offset_tEEE10hipError_tPvRmT1_PNSt15iterator_traitsISK_E10value_typeET2_T3_PNSL_ISQ_E10value_typeET4_jRbjT5_SW_jjP12ihipStream_tbEUlT_E2_NS1_11comp_targetILNS1_3genE5ELNS1_11target_archE942ELNS1_3gpuE9ELNS1_3repE0EEENS1_30default_config_static_selectorELNS0_4arch9wavefront6targetE0EEEvSK_
	.p2align	8
	.type	_ZN7rocprim17ROCPRIM_400000_NS6detail17trampoline_kernelINS0_14default_configENS1_36segmented_radix_sort_config_selectorIflEEZNS1_25segmented_radix_sort_implIS3_Lb0EPKfPfPKlPlN2at6native12_GLOBAL__N_18offset_tEEE10hipError_tPvRmT1_PNSt15iterator_traitsISK_E10value_typeET2_T3_PNSL_ISQ_E10value_typeET4_jRbjT5_SW_jjP12ihipStream_tbEUlT_E2_NS1_11comp_targetILNS1_3genE5ELNS1_11target_archE942ELNS1_3gpuE9ELNS1_3repE0EEENS1_30default_config_static_selectorELNS0_4arch9wavefront6targetE0EEEvSK_,@function
_ZN7rocprim17ROCPRIM_400000_NS6detail17trampoline_kernelINS0_14default_configENS1_36segmented_radix_sort_config_selectorIflEEZNS1_25segmented_radix_sort_implIS3_Lb0EPKfPfPKlPlN2at6native12_GLOBAL__N_18offset_tEEE10hipError_tPvRmT1_PNSt15iterator_traitsISK_E10value_typeET2_T3_PNSL_ISQ_E10value_typeET4_jRbjT5_SW_jjP12ihipStream_tbEUlT_E2_NS1_11comp_targetILNS1_3genE5ELNS1_11target_archE942ELNS1_3gpuE9ELNS1_3repE0EEENS1_30default_config_static_selectorELNS0_4arch9wavefront6targetE0EEEvSK_: ; @_ZN7rocprim17ROCPRIM_400000_NS6detail17trampoline_kernelINS0_14default_configENS1_36segmented_radix_sort_config_selectorIflEEZNS1_25segmented_radix_sort_implIS3_Lb0EPKfPfPKlPlN2at6native12_GLOBAL__N_18offset_tEEE10hipError_tPvRmT1_PNSt15iterator_traitsISK_E10value_typeET2_T3_PNSL_ISQ_E10value_typeET4_jRbjT5_SW_jjP12ihipStream_tbEUlT_E2_NS1_11comp_targetILNS1_3genE5ELNS1_11target_archE942ELNS1_3gpuE9ELNS1_3repE0EEENS1_30default_config_static_selectorELNS0_4arch9wavefront6targetE0EEEvSK_
; %bb.0:
	.section	.rodata,"a",@progbits
	.p2align	6, 0x0
	.amdhsa_kernel _ZN7rocprim17ROCPRIM_400000_NS6detail17trampoline_kernelINS0_14default_configENS1_36segmented_radix_sort_config_selectorIflEEZNS1_25segmented_radix_sort_implIS3_Lb0EPKfPfPKlPlN2at6native12_GLOBAL__N_18offset_tEEE10hipError_tPvRmT1_PNSt15iterator_traitsISK_E10value_typeET2_T3_PNSL_ISQ_E10value_typeET4_jRbjT5_SW_jjP12ihipStream_tbEUlT_E2_NS1_11comp_targetILNS1_3genE5ELNS1_11target_archE942ELNS1_3gpuE9ELNS1_3repE0EEENS1_30default_config_static_selectorELNS0_4arch9wavefront6targetE0EEEvSK_
		.amdhsa_group_segment_fixed_size 0
		.amdhsa_private_segment_fixed_size 0
		.amdhsa_kernarg_size 80
		.amdhsa_user_sgpr_count 2
		.amdhsa_user_sgpr_dispatch_ptr 0
		.amdhsa_user_sgpr_queue_ptr 0
		.amdhsa_user_sgpr_kernarg_segment_ptr 1
		.amdhsa_user_sgpr_dispatch_id 0
		.amdhsa_user_sgpr_private_segment_size 0
		.amdhsa_wavefront_size32 1
		.amdhsa_uses_dynamic_stack 0
		.amdhsa_enable_private_segment 0
		.amdhsa_system_sgpr_workgroup_id_x 1
		.amdhsa_system_sgpr_workgroup_id_y 0
		.amdhsa_system_sgpr_workgroup_id_z 0
		.amdhsa_system_sgpr_workgroup_info 0
		.amdhsa_system_vgpr_workitem_id 0
		.amdhsa_next_free_vgpr 1
		.amdhsa_next_free_sgpr 1
		.amdhsa_reserve_vcc 0
		.amdhsa_float_round_mode_32 0
		.amdhsa_float_round_mode_16_64 0
		.amdhsa_float_denorm_mode_32 3
		.amdhsa_float_denorm_mode_16_64 3
		.amdhsa_fp16_overflow 0
		.amdhsa_workgroup_processor_mode 1
		.amdhsa_memory_ordered 1
		.amdhsa_forward_progress 1
		.amdhsa_inst_pref_size 0
		.amdhsa_round_robin_scheduling 0
		.amdhsa_exception_fp_ieee_invalid_op 0
		.amdhsa_exception_fp_denorm_src 0
		.amdhsa_exception_fp_ieee_div_zero 0
		.amdhsa_exception_fp_ieee_overflow 0
		.amdhsa_exception_fp_ieee_underflow 0
		.amdhsa_exception_fp_ieee_inexact 0
		.amdhsa_exception_int_div_zero 0
	.end_amdhsa_kernel
	.section	.text._ZN7rocprim17ROCPRIM_400000_NS6detail17trampoline_kernelINS0_14default_configENS1_36segmented_radix_sort_config_selectorIflEEZNS1_25segmented_radix_sort_implIS3_Lb0EPKfPfPKlPlN2at6native12_GLOBAL__N_18offset_tEEE10hipError_tPvRmT1_PNSt15iterator_traitsISK_E10value_typeET2_T3_PNSL_ISQ_E10value_typeET4_jRbjT5_SW_jjP12ihipStream_tbEUlT_E2_NS1_11comp_targetILNS1_3genE5ELNS1_11target_archE942ELNS1_3gpuE9ELNS1_3repE0EEENS1_30default_config_static_selectorELNS0_4arch9wavefront6targetE0EEEvSK_,"axG",@progbits,_ZN7rocprim17ROCPRIM_400000_NS6detail17trampoline_kernelINS0_14default_configENS1_36segmented_radix_sort_config_selectorIflEEZNS1_25segmented_radix_sort_implIS3_Lb0EPKfPfPKlPlN2at6native12_GLOBAL__N_18offset_tEEE10hipError_tPvRmT1_PNSt15iterator_traitsISK_E10value_typeET2_T3_PNSL_ISQ_E10value_typeET4_jRbjT5_SW_jjP12ihipStream_tbEUlT_E2_NS1_11comp_targetILNS1_3genE5ELNS1_11target_archE942ELNS1_3gpuE9ELNS1_3repE0EEENS1_30default_config_static_selectorELNS0_4arch9wavefront6targetE0EEEvSK_,comdat
.Lfunc_end1459:
	.size	_ZN7rocprim17ROCPRIM_400000_NS6detail17trampoline_kernelINS0_14default_configENS1_36segmented_radix_sort_config_selectorIflEEZNS1_25segmented_radix_sort_implIS3_Lb0EPKfPfPKlPlN2at6native12_GLOBAL__N_18offset_tEEE10hipError_tPvRmT1_PNSt15iterator_traitsISK_E10value_typeET2_T3_PNSL_ISQ_E10value_typeET4_jRbjT5_SW_jjP12ihipStream_tbEUlT_E2_NS1_11comp_targetILNS1_3genE5ELNS1_11target_archE942ELNS1_3gpuE9ELNS1_3repE0EEENS1_30default_config_static_selectorELNS0_4arch9wavefront6targetE0EEEvSK_, .Lfunc_end1459-_ZN7rocprim17ROCPRIM_400000_NS6detail17trampoline_kernelINS0_14default_configENS1_36segmented_radix_sort_config_selectorIflEEZNS1_25segmented_radix_sort_implIS3_Lb0EPKfPfPKlPlN2at6native12_GLOBAL__N_18offset_tEEE10hipError_tPvRmT1_PNSt15iterator_traitsISK_E10value_typeET2_T3_PNSL_ISQ_E10value_typeET4_jRbjT5_SW_jjP12ihipStream_tbEUlT_E2_NS1_11comp_targetILNS1_3genE5ELNS1_11target_archE942ELNS1_3gpuE9ELNS1_3repE0EEENS1_30default_config_static_selectorELNS0_4arch9wavefront6targetE0EEEvSK_
                                        ; -- End function
	.set _ZN7rocprim17ROCPRIM_400000_NS6detail17trampoline_kernelINS0_14default_configENS1_36segmented_radix_sort_config_selectorIflEEZNS1_25segmented_radix_sort_implIS3_Lb0EPKfPfPKlPlN2at6native12_GLOBAL__N_18offset_tEEE10hipError_tPvRmT1_PNSt15iterator_traitsISK_E10value_typeET2_T3_PNSL_ISQ_E10value_typeET4_jRbjT5_SW_jjP12ihipStream_tbEUlT_E2_NS1_11comp_targetILNS1_3genE5ELNS1_11target_archE942ELNS1_3gpuE9ELNS1_3repE0EEENS1_30default_config_static_selectorELNS0_4arch9wavefront6targetE0EEEvSK_.num_vgpr, 0
	.set _ZN7rocprim17ROCPRIM_400000_NS6detail17trampoline_kernelINS0_14default_configENS1_36segmented_radix_sort_config_selectorIflEEZNS1_25segmented_radix_sort_implIS3_Lb0EPKfPfPKlPlN2at6native12_GLOBAL__N_18offset_tEEE10hipError_tPvRmT1_PNSt15iterator_traitsISK_E10value_typeET2_T3_PNSL_ISQ_E10value_typeET4_jRbjT5_SW_jjP12ihipStream_tbEUlT_E2_NS1_11comp_targetILNS1_3genE5ELNS1_11target_archE942ELNS1_3gpuE9ELNS1_3repE0EEENS1_30default_config_static_selectorELNS0_4arch9wavefront6targetE0EEEvSK_.num_agpr, 0
	.set _ZN7rocprim17ROCPRIM_400000_NS6detail17trampoline_kernelINS0_14default_configENS1_36segmented_radix_sort_config_selectorIflEEZNS1_25segmented_radix_sort_implIS3_Lb0EPKfPfPKlPlN2at6native12_GLOBAL__N_18offset_tEEE10hipError_tPvRmT1_PNSt15iterator_traitsISK_E10value_typeET2_T3_PNSL_ISQ_E10value_typeET4_jRbjT5_SW_jjP12ihipStream_tbEUlT_E2_NS1_11comp_targetILNS1_3genE5ELNS1_11target_archE942ELNS1_3gpuE9ELNS1_3repE0EEENS1_30default_config_static_selectorELNS0_4arch9wavefront6targetE0EEEvSK_.numbered_sgpr, 0
	.set _ZN7rocprim17ROCPRIM_400000_NS6detail17trampoline_kernelINS0_14default_configENS1_36segmented_radix_sort_config_selectorIflEEZNS1_25segmented_radix_sort_implIS3_Lb0EPKfPfPKlPlN2at6native12_GLOBAL__N_18offset_tEEE10hipError_tPvRmT1_PNSt15iterator_traitsISK_E10value_typeET2_T3_PNSL_ISQ_E10value_typeET4_jRbjT5_SW_jjP12ihipStream_tbEUlT_E2_NS1_11comp_targetILNS1_3genE5ELNS1_11target_archE942ELNS1_3gpuE9ELNS1_3repE0EEENS1_30default_config_static_selectorELNS0_4arch9wavefront6targetE0EEEvSK_.num_named_barrier, 0
	.set _ZN7rocprim17ROCPRIM_400000_NS6detail17trampoline_kernelINS0_14default_configENS1_36segmented_radix_sort_config_selectorIflEEZNS1_25segmented_radix_sort_implIS3_Lb0EPKfPfPKlPlN2at6native12_GLOBAL__N_18offset_tEEE10hipError_tPvRmT1_PNSt15iterator_traitsISK_E10value_typeET2_T3_PNSL_ISQ_E10value_typeET4_jRbjT5_SW_jjP12ihipStream_tbEUlT_E2_NS1_11comp_targetILNS1_3genE5ELNS1_11target_archE942ELNS1_3gpuE9ELNS1_3repE0EEENS1_30default_config_static_selectorELNS0_4arch9wavefront6targetE0EEEvSK_.private_seg_size, 0
	.set _ZN7rocprim17ROCPRIM_400000_NS6detail17trampoline_kernelINS0_14default_configENS1_36segmented_radix_sort_config_selectorIflEEZNS1_25segmented_radix_sort_implIS3_Lb0EPKfPfPKlPlN2at6native12_GLOBAL__N_18offset_tEEE10hipError_tPvRmT1_PNSt15iterator_traitsISK_E10value_typeET2_T3_PNSL_ISQ_E10value_typeET4_jRbjT5_SW_jjP12ihipStream_tbEUlT_E2_NS1_11comp_targetILNS1_3genE5ELNS1_11target_archE942ELNS1_3gpuE9ELNS1_3repE0EEENS1_30default_config_static_selectorELNS0_4arch9wavefront6targetE0EEEvSK_.uses_vcc, 0
	.set _ZN7rocprim17ROCPRIM_400000_NS6detail17trampoline_kernelINS0_14default_configENS1_36segmented_radix_sort_config_selectorIflEEZNS1_25segmented_radix_sort_implIS3_Lb0EPKfPfPKlPlN2at6native12_GLOBAL__N_18offset_tEEE10hipError_tPvRmT1_PNSt15iterator_traitsISK_E10value_typeET2_T3_PNSL_ISQ_E10value_typeET4_jRbjT5_SW_jjP12ihipStream_tbEUlT_E2_NS1_11comp_targetILNS1_3genE5ELNS1_11target_archE942ELNS1_3gpuE9ELNS1_3repE0EEENS1_30default_config_static_selectorELNS0_4arch9wavefront6targetE0EEEvSK_.uses_flat_scratch, 0
	.set _ZN7rocprim17ROCPRIM_400000_NS6detail17trampoline_kernelINS0_14default_configENS1_36segmented_radix_sort_config_selectorIflEEZNS1_25segmented_radix_sort_implIS3_Lb0EPKfPfPKlPlN2at6native12_GLOBAL__N_18offset_tEEE10hipError_tPvRmT1_PNSt15iterator_traitsISK_E10value_typeET2_T3_PNSL_ISQ_E10value_typeET4_jRbjT5_SW_jjP12ihipStream_tbEUlT_E2_NS1_11comp_targetILNS1_3genE5ELNS1_11target_archE942ELNS1_3gpuE9ELNS1_3repE0EEENS1_30default_config_static_selectorELNS0_4arch9wavefront6targetE0EEEvSK_.has_dyn_sized_stack, 0
	.set _ZN7rocprim17ROCPRIM_400000_NS6detail17trampoline_kernelINS0_14default_configENS1_36segmented_radix_sort_config_selectorIflEEZNS1_25segmented_radix_sort_implIS3_Lb0EPKfPfPKlPlN2at6native12_GLOBAL__N_18offset_tEEE10hipError_tPvRmT1_PNSt15iterator_traitsISK_E10value_typeET2_T3_PNSL_ISQ_E10value_typeET4_jRbjT5_SW_jjP12ihipStream_tbEUlT_E2_NS1_11comp_targetILNS1_3genE5ELNS1_11target_archE942ELNS1_3gpuE9ELNS1_3repE0EEENS1_30default_config_static_selectorELNS0_4arch9wavefront6targetE0EEEvSK_.has_recursion, 0
	.set _ZN7rocprim17ROCPRIM_400000_NS6detail17trampoline_kernelINS0_14default_configENS1_36segmented_radix_sort_config_selectorIflEEZNS1_25segmented_radix_sort_implIS3_Lb0EPKfPfPKlPlN2at6native12_GLOBAL__N_18offset_tEEE10hipError_tPvRmT1_PNSt15iterator_traitsISK_E10value_typeET2_T3_PNSL_ISQ_E10value_typeET4_jRbjT5_SW_jjP12ihipStream_tbEUlT_E2_NS1_11comp_targetILNS1_3genE5ELNS1_11target_archE942ELNS1_3gpuE9ELNS1_3repE0EEENS1_30default_config_static_selectorELNS0_4arch9wavefront6targetE0EEEvSK_.has_indirect_call, 0
	.section	.AMDGPU.csdata,"",@progbits
; Kernel info:
; codeLenInByte = 0
; TotalNumSgprs: 0
; NumVgprs: 0
; ScratchSize: 0
; MemoryBound: 0
; FloatMode: 240
; IeeeMode: 1
; LDSByteSize: 0 bytes/workgroup (compile time only)
; SGPRBlocks: 0
; VGPRBlocks: 0
; NumSGPRsForWavesPerEU: 1
; NumVGPRsForWavesPerEU: 1
; Occupancy: 16
; WaveLimiterHint : 0
; COMPUTE_PGM_RSRC2:SCRATCH_EN: 0
; COMPUTE_PGM_RSRC2:USER_SGPR: 2
; COMPUTE_PGM_RSRC2:TRAP_HANDLER: 0
; COMPUTE_PGM_RSRC2:TGID_X_EN: 1
; COMPUTE_PGM_RSRC2:TGID_Y_EN: 0
; COMPUTE_PGM_RSRC2:TGID_Z_EN: 0
; COMPUTE_PGM_RSRC2:TIDIG_COMP_CNT: 0
	.section	.text._ZN7rocprim17ROCPRIM_400000_NS6detail17trampoline_kernelINS0_14default_configENS1_36segmented_radix_sort_config_selectorIflEEZNS1_25segmented_radix_sort_implIS3_Lb0EPKfPfPKlPlN2at6native12_GLOBAL__N_18offset_tEEE10hipError_tPvRmT1_PNSt15iterator_traitsISK_E10value_typeET2_T3_PNSL_ISQ_E10value_typeET4_jRbjT5_SW_jjP12ihipStream_tbEUlT_E2_NS1_11comp_targetILNS1_3genE4ELNS1_11target_archE910ELNS1_3gpuE8ELNS1_3repE0EEENS1_30default_config_static_selectorELNS0_4arch9wavefront6targetE0EEEvSK_,"axG",@progbits,_ZN7rocprim17ROCPRIM_400000_NS6detail17trampoline_kernelINS0_14default_configENS1_36segmented_radix_sort_config_selectorIflEEZNS1_25segmented_radix_sort_implIS3_Lb0EPKfPfPKlPlN2at6native12_GLOBAL__N_18offset_tEEE10hipError_tPvRmT1_PNSt15iterator_traitsISK_E10value_typeET2_T3_PNSL_ISQ_E10value_typeET4_jRbjT5_SW_jjP12ihipStream_tbEUlT_E2_NS1_11comp_targetILNS1_3genE4ELNS1_11target_archE910ELNS1_3gpuE8ELNS1_3repE0EEENS1_30default_config_static_selectorELNS0_4arch9wavefront6targetE0EEEvSK_,comdat
	.globl	_ZN7rocprim17ROCPRIM_400000_NS6detail17trampoline_kernelINS0_14default_configENS1_36segmented_radix_sort_config_selectorIflEEZNS1_25segmented_radix_sort_implIS3_Lb0EPKfPfPKlPlN2at6native12_GLOBAL__N_18offset_tEEE10hipError_tPvRmT1_PNSt15iterator_traitsISK_E10value_typeET2_T3_PNSL_ISQ_E10value_typeET4_jRbjT5_SW_jjP12ihipStream_tbEUlT_E2_NS1_11comp_targetILNS1_3genE4ELNS1_11target_archE910ELNS1_3gpuE8ELNS1_3repE0EEENS1_30default_config_static_selectorELNS0_4arch9wavefront6targetE0EEEvSK_ ; -- Begin function _ZN7rocprim17ROCPRIM_400000_NS6detail17trampoline_kernelINS0_14default_configENS1_36segmented_radix_sort_config_selectorIflEEZNS1_25segmented_radix_sort_implIS3_Lb0EPKfPfPKlPlN2at6native12_GLOBAL__N_18offset_tEEE10hipError_tPvRmT1_PNSt15iterator_traitsISK_E10value_typeET2_T3_PNSL_ISQ_E10value_typeET4_jRbjT5_SW_jjP12ihipStream_tbEUlT_E2_NS1_11comp_targetILNS1_3genE4ELNS1_11target_archE910ELNS1_3gpuE8ELNS1_3repE0EEENS1_30default_config_static_selectorELNS0_4arch9wavefront6targetE0EEEvSK_
	.p2align	8
	.type	_ZN7rocprim17ROCPRIM_400000_NS6detail17trampoline_kernelINS0_14default_configENS1_36segmented_radix_sort_config_selectorIflEEZNS1_25segmented_radix_sort_implIS3_Lb0EPKfPfPKlPlN2at6native12_GLOBAL__N_18offset_tEEE10hipError_tPvRmT1_PNSt15iterator_traitsISK_E10value_typeET2_T3_PNSL_ISQ_E10value_typeET4_jRbjT5_SW_jjP12ihipStream_tbEUlT_E2_NS1_11comp_targetILNS1_3genE4ELNS1_11target_archE910ELNS1_3gpuE8ELNS1_3repE0EEENS1_30default_config_static_selectorELNS0_4arch9wavefront6targetE0EEEvSK_,@function
_ZN7rocprim17ROCPRIM_400000_NS6detail17trampoline_kernelINS0_14default_configENS1_36segmented_radix_sort_config_selectorIflEEZNS1_25segmented_radix_sort_implIS3_Lb0EPKfPfPKlPlN2at6native12_GLOBAL__N_18offset_tEEE10hipError_tPvRmT1_PNSt15iterator_traitsISK_E10value_typeET2_T3_PNSL_ISQ_E10value_typeET4_jRbjT5_SW_jjP12ihipStream_tbEUlT_E2_NS1_11comp_targetILNS1_3genE4ELNS1_11target_archE910ELNS1_3gpuE8ELNS1_3repE0EEENS1_30default_config_static_selectorELNS0_4arch9wavefront6targetE0EEEvSK_: ; @_ZN7rocprim17ROCPRIM_400000_NS6detail17trampoline_kernelINS0_14default_configENS1_36segmented_radix_sort_config_selectorIflEEZNS1_25segmented_radix_sort_implIS3_Lb0EPKfPfPKlPlN2at6native12_GLOBAL__N_18offset_tEEE10hipError_tPvRmT1_PNSt15iterator_traitsISK_E10value_typeET2_T3_PNSL_ISQ_E10value_typeET4_jRbjT5_SW_jjP12ihipStream_tbEUlT_E2_NS1_11comp_targetILNS1_3genE4ELNS1_11target_archE910ELNS1_3gpuE8ELNS1_3repE0EEENS1_30default_config_static_selectorELNS0_4arch9wavefront6targetE0EEEvSK_
; %bb.0:
	.section	.rodata,"a",@progbits
	.p2align	6, 0x0
	.amdhsa_kernel _ZN7rocprim17ROCPRIM_400000_NS6detail17trampoline_kernelINS0_14default_configENS1_36segmented_radix_sort_config_selectorIflEEZNS1_25segmented_radix_sort_implIS3_Lb0EPKfPfPKlPlN2at6native12_GLOBAL__N_18offset_tEEE10hipError_tPvRmT1_PNSt15iterator_traitsISK_E10value_typeET2_T3_PNSL_ISQ_E10value_typeET4_jRbjT5_SW_jjP12ihipStream_tbEUlT_E2_NS1_11comp_targetILNS1_3genE4ELNS1_11target_archE910ELNS1_3gpuE8ELNS1_3repE0EEENS1_30default_config_static_selectorELNS0_4arch9wavefront6targetE0EEEvSK_
		.amdhsa_group_segment_fixed_size 0
		.amdhsa_private_segment_fixed_size 0
		.amdhsa_kernarg_size 80
		.amdhsa_user_sgpr_count 2
		.amdhsa_user_sgpr_dispatch_ptr 0
		.amdhsa_user_sgpr_queue_ptr 0
		.amdhsa_user_sgpr_kernarg_segment_ptr 1
		.amdhsa_user_sgpr_dispatch_id 0
		.amdhsa_user_sgpr_private_segment_size 0
		.amdhsa_wavefront_size32 1
		.amdhsa_uses_dynamic_stack 0
		.amdhsa_enable_private_segment 0
		.amdhsa_system_sgpr_workgroup_id_x 1
		.amdhsa_system_sgpr_workgroup_id_y 0
		.amdhsa_system_sgpr_workgroup_id_z 0
		.amdhsa_system_sgpr_workgroup_info 0
		.amdhsa_system_vgpr_workitem_id 0
		.amdhsa_next_free_vgpr 1
		.amdhsa_next_free_sgpr 1
		.amdhsa_reserve_vcc 0
		.amdhsa_float_round_mode_32 0
		.amdhsa_float_round_mode_16_64 0
		.amdhsa_float_denorm_mode_32 3
		.amdhsa_float_denorm_mode_16_64 3
		.amdhsa_fp16_overflow 0
		.amdhsa_workgroup_processor_mode 1
		.amdhsa_memory_ordered 1
		.amdhsa_forward_progress 1
		.amdhsa_inst_pref_size 0
		.amdhsa_round_robin_scheduling 0
		.amdhsa_exception_fp_ieee_invalid_op 0
		.amdhsa_exception_fp_denorm_src 0
		.amdhsa_exception_fp_ieee_div_zero 0
		.amdhsa_exception_fp_ieee_overflow 0
		.amdhsa_exception_fp_ieee_underflow 0
		.amdhsa_exception_fp_ieee_inexact 0
		.amdhsa_exception_int_div_zero 0
	.end_amdhsa_kernel
	.section	.text._ZN7rocprim17ROCPRIM_400000_NS6detail17trampoline_kernelINS0_14default_configENS1_36segmented_radix_sort_config_selectorIflEEZNS1_25segmented_radix_sort_implIS3_Lb0EPKfPfPKlPlN2at6native12_GLOBAL__N_18offset_tEEE10hipError_tPvRmT1_PNSt15iterator_traitsISK_E10value_typeET2_T3_PNSL_ISQ_E10value_typeET4_jRbjT5_SW_jjP12ihipStream_tbEUlT_E2_NS1_11comp_targetILNS1_3genE4ELNS1_11target_archE910ELNS1_3gpuE8ELNS1_3repE0EEENS1_30default_config_static_selectorELNS0_4arch9wavefront6targetE0EEEvSK_,"axG",@progbits,_ZN7rocprim17ROCPRIM_400000_NS6detail17trampoline_kernelINS0_14default_configENS1_36segmented_radix_sort_config_selectorIflEEZNS1_25segmented_radix_sort_implIS3_Lb0EPKfPfPKlPlN2at6native12_GLOBAL__N_18offset_tEEE10hipError_tPvRmT1_PNSt15iterator_traitsISK_E10value_typeET2_T3_PNSL_ISQ_E10value_typeET4_jRbjT5_SW_jjP12ihipStream_tbEUlT_E2_NS1_11comp_targetILNS1_3genE4ELNS1_11target_archE910ELNS1_3gpuE8ELNS1_3repE0EEENS1_30default_config_static_selectorELNS0_4arch9wavefront6targetE0EEEvSK_,comdat
.Lfunc_end1460:
	.size	_ZN7rocprim17ROCPRIM_400000_NS6detail17trampoline_kernelINS0_14default_configENS1_36segmented_radix_sort_config_selectorIflEEZNS1_25segmented_radix_sort_implIS3_Lb0EPKfPfPKlPlN2at6native12_GLOBAL__N_18offset_tEEE10hipError_tPvRmT1_PNSt15iterator_traitsISK_E10value_typeET2_T3_PNSL_ISQ_E10value_typeET4_jRbjT5_SW_jjP12ihipStream_tbEUlT_E2_NS1_11comp_targetILNS1_3genE4ELNS1_11target_archE910ELNS1_3gpuE8ELNS1_3repE0EEENS1_30default_config_static_selectorELNS0_4arch9wavefront6targetE0EEEvSK_, .Lfunc_end1460-_ZN7rocprim17ROCPRIM_400000_NS6detail17trampoline_kernelINS0_14default_configENS1_36segmented_radix_sort_config_selectorIflEEZNS1_25segmented_radix_sort_implIS3_Lb0EPKfPfPKlPlN2at6native12_GLOBAL__N_18offset_tEEE10hipError_tPvRmT1_PNSt15iterator_traitsISK_E10value_typeET2_T3_PNSL_ISQ_E10value_typeET4_jRbjT5_SW_jjP12ihipStream_tbEUlT_E2_NS1_11comp_targetILNS1_3genE4ELNS1_11target_archE910ELNS1_3gpuE8ELNS1_3repE0EEENS1_30default_config_static_selectorELNS0_4arch9wavefront6targetE0EEEvSK_
                                        ; -- End function
	.set _ZN7rocprim17ROCPRIM_400000_NS6detail17trampoline_kernelINS0_14default_configENS1_36segmented_radix_sort_config_selectorIflEEZNS1_25segmented_radix_sort_implIS3_Lb0EPKfPfPKlPlN2at6native12_GLOBAL__N_18offset_tEEE10hipError_tPvRmT1_PNSt15iterator_traitsISK_E10value_typeET2_T3_PNSL_ISQ_E10value_typeET4_jRbjT5_SW_jjP12ihipStream_tbEUlT_E2_NS1_11comp_targetILNS1_3genE4ELNS1_11target_archE910ELNS1_3gpuE8ELNS1_3repE0EEENS1_30default_config_static_selectorELNS0_4arch9wavefront6targetE0EEEvSK_.num_vgpr, 0
	.set _ZN7rocprim17ROCPRIM_400000_NS6detail17trampoline_kernelINS0_14default_configENS1_36segmented_radix_sort_config_selectorIflEEZNS1_25segmented_radix_sort_implIS3_Lb0EPKfPfPKlPlN2at6native12_GLOBAL__N_18offset_tEEE10hipError_tPvRmT1_PNSt15iterator_traitsISK_E10value_typeET2_T3_PNSL_ISQ_E10value_typeET4_jRbjT5_SW_jjP12ihipStream_tbEUlT_E2_NS1_11comp_targetILNS1_3genE4ELNS1_11target_archE910ELNS1_3gpuE8ELNS1_3repE0EEENS1_30default_config_static_selectorELNS0_4arch9wavefront6targetE0EEEvSK_.num_agpr, 0
	.set _ZN7rocprim17ROCPRIM_400000_NS6detail17trampoline_kernelINS0_14default_configENS1_36segmented_radix_sort_config_selectorIflEEZNS1_25segmented_radix_sort_implIS3_Lb0EPKfPfPKlPlN2at6native12_GLOBAL__N_18offset_tEEE10hipError_tPvRmT1_PNSt15iterator_traitsISK_E10value_typeET2_T3_PNSL_ISQ_E10value_typeET4_jRbjT5_SW_jjP12ihipStream_tbEUlT_E2_NS1_11comp_targetILNS1_3genE4ELNS1_11target_archE910ELNS1_3gpuE8ELNS1_3repE0EEENS1_30default_config_static_selectorELNS0_4arch9wavefront6targetE0EEEvSK_.numbered_sgpr, 0
	.set _ZN7rocprim17ROCPRIM_400000_NS6detail17trampoline_kernelINS0_14default_configENS1_36segmented_radix_sort_config_selectorIflEEZNS1_25segmented_radix_sort_implIS3_Lb0EPKfPfPKlPlN2at6native12_GLOBAL__N_18offset_tEEE10hipError_tPvRmT1_PNSt15iterator_traitsISK_E10value_typeET2_T3_PNSL_ISQ_E10value_typeET4_jRbjT5_SW_jjP12ihipStream_tbEUlT_E2_NS1_11comp_targetILNS1_3genE4ELNS1_11target_archE910ELNS1_3gpuE8ELNS1_3repE0EEENS1_30default_config_static_selectorELNS0_4arch9wavefront6targetE0EEEvSK_.num_named_barrier, 0
	.set _ZN7rocprim17ROCPRIM_400000_NS6detail17trampoline_kernelINS0_14default_configENS1_36segmented_radix_sort_config_selectorIflEEZNS1_25segmented_radix_sort_implIS3_Lb0EPKfPfPKlPlN2at6native12_GLOBAL__N_18offset_tEEE10hipError_tPvRmT1_PNSt15iterator_traitsISK_E10value_typeET2_T3_PNSL_ISQ_E10value_typeET4_jRbjT5_SW_jjP12ihipStream_tbEUlT_E2_NS1_11comp_targetILNS1_3genE4ELNS1_11target_archE910ELNS1_3gpuE8ELNS1_3repE0EEENS1_30default_config_static_selectorELNS0_4arch9wavefront6targetE0EEEvSK_.private_seg_size, 0
	.set _ZN7rocprim17ROCPRIM_400000_NS6detail17trampoline_kernelINS0_14default_configENS1_36segmented_radix_sort_config_selectorIflEEZNS1_25segmented_radix_sort_implIS3_Lb0EPKfPfPKlPlN2at6native12_GLOBAL__N_18offset_tEEE10hipError_tPvRmT1_PNSt15iterator_traitsISK_E10value_typeET2_T3_PNSL_ISQ_E10value_typeET4_jRbjT5_SW_jjP12ihipStream_tbEUlT_E2_NS1_11comp_targetILNS1_3genE4ELNS1_11target_archE910ELNS1_3gpuE8ELNS1_3repE0EEENS1_30default_config_static_selectorELNS0_4arch9wavefront6targetE0EEEvSK_.uses_vcc, 0
	.set _ZN7rocprim17ROCPRIM_400000_NS6detail17trampoline_kernelINS0_14default_configENS1_36segmented_radix_sort_config_selectorIflEEZNS1_25segmented_radix_sort_implIS3_Lb0EPKfPfPKlPlN2at6native12_GLOBAL__N_18offset_tEEE10hipError_tPvRmT1_PNSt15iterator_traitsISK_E10value_typeET2_T3_PNSL_ISQ_E10value_typeET4_jRbjT5_SW_jjP12ihipStream_tbEUlT_E2_NS1_11comp_targetILNS1_3genE4ELNS1_11target_archE910ELNS1_3gpuE8ELNS1_3repE0EEENS1_30default_config_static_selectorELNS0_4arch9wavefront6targetE0EEEvSK_.uses_flat_scratch, 0
	.set _ZN7rocprim17ROCPRIM_400000_NS6detail17trampoline_kernelINS0_14default_configENS1_36segmented_radix_sort_config_selectorIflEEZNS1_25segmented_radix_sort_implIS3_Lb0EPKfPfPKlPlN2at6native12_GLOBAL__N_18offset_tEEE10hipError_tPvRmT1_PNSt15iterator_traitsISK_E10value_typeET2_T3_PNSL_ISQ_E10value_typeET4_jRbjT5_SW_jjP12ihipStream_tbEUlT_E2_NS1_11comp_targetILNS1_3genE4ELNS1_11target_archE910ELNS1_3gpuE8ELNS1_3repE0EEENS1_30default_config_static_selectorELNS0_4arch9wavefront6targetE0EEEvSK_.has_dyn_sized_stack, 0
	.set _ZN7rocprim17ROCPRIM_400000_NS6detail17trampoline_kernelINS0_14default_configENS1_36segmented_radix_sort_config_selectorIflEEZNS1_25segmented_radix_sort_implIS3_Lb0EPKfPfPKlPlN2at6native12_GLOBAL__N_18offset_tEEE10hipError_tPvRmT1_PNSt15iterator_traitsISK_E10value_typeET2_T3_PNSL_ISQ_E10value_typeET4_jRbjT5_SW_jjP12ihipStream_tbEUlT_E2_NS1_11comp_targetILNS1_3genE4ELNS1_11target_archE910ELNS1_3gpuE8ELNS1_3repE0EEENS1_30default_config_static_selectorELNS0_4arch9wavefront6targetE0EEEvSK_.has_recursion, 0
	.set _ZN7rocprim17ROCPRIM_400000_NS6detail17trampoline_kernelINS0_14default_configENS1_36segmented_radix_sort_config_selectorIflEEZNS1_25segmented_radix_sort_implIS3_Lb0EPKfPfPKlPlN2at6native12_GLOBAL__N_18offset_tEEE10hipError_tPvRmT1_PNSt15iterator_traitsISK_E10value_typeET2_T3_PNSL_ISQ_E10value_typeET4_jRbjT5_SW_jjP12ihipStream_tbEUlT_E2_NS1_11comp_targetILNS1_3genE4ELNS1_11target_archE910ELNS1_3gpuE8ELNS1_3repE0EEENS1_30default_config_static_selectorELNS0_4arch9wavefront6targetE0EEEvSK_.has_indirect_call, 0
	.section	.AMDGPU.csdata,"",@progbits
; Kernel info:
; codeLenInByte = 0
; TotalNumSgprs: 0
; NumVgprs: 0
; ScratchSize: 0
; MemoryBound: 0
; FloatMode: 240
; IeeeMode: 1
; LDSByteSize: 0 bytes/workgroup (compile time only)
; SGPRBlocks: 0
; VGPRBlocks: 0
; NumSGPRsForWavesPerEU: 1
; NumVGPRsForWavesPerEU: 1
; Occupancy: 16
; WaveLimiterHint : 0
; COMPUTE_PGM_RSRC2:SCRATCH_EN: 0
; COMPUTE_PGM_RSRC2:USER_SGPR: 2
; COMPUTE_PGM_RSRC2:TRAP_HANDLER: 0
; COMPUTE_PGM_RSRC2:TGID_X_EN: 1
; COMPUTE_PGM_RSRC2:TGID_Y_EN: 0
; COMPUTE_PGM_RSRC2:TGID_Z_EN: 0
; COMPUTE_PGM_RSRC2:TIDIG_COMP_CNT: 0
	.section	.text._ZN7rocprim17ROCPRIM_400000_NS6detail17trampoline_kernelINS0_14default_configENS1_36segmented_radix_sort_config_selectorIflEEZNS1_25segmented_radix_sort_implIS3_Lb0EPKfPfPKlPlN2at6native12_GLOBAL__N_18offset_tEEE10hipError_tPvRmT1_PNSt15iterator_traitsISK_E10value_typeET2_T3_PNSL_ISQ_E10value_typeET4_jRbjT5_SW_jjP12ihipStream_tbEUlT_E2_NS1_11comp_targetILNS1_3genE3ELNS1_11target_archE908ELNS1_3gpuE7ELNS1_3repE0EEENS1_30default_config_static_selectorELNS0_4arch9wavefront6targetE0EEEvSK_,"axG",@progbits,_ZN7rocprim17ROCPRIM_400000_NS6detail17trampoline_kernelINS0_14default_configENS1_36segmented_radix_sort_config_selectorIflEEZNS1_25segmented_radix_sort_implIS3_Lb0EPKfPfPKlPlN2at6native12_GLOBAL__N_18offset_tEEE10hipError_tPvRmT1_PNSt15iterator_traitsISK_E10value_typeET2_T3_PNSL_ISQ_E10value_typeET4_jRbjT5_SW_jjP12ihipStream_tbEUlT_E2_NS1_11comp_targetILNS1_3genE3ELNS1_11target_archE908ELNS1_3gpuE7ELNS1_3repE0EEENS1_30default_config_static_selectorELNS0_4arch9wavefront6targetE0EEEvSK_,comdat
	.globl	_ZN7rocprim17ROCPRIM_400000_NS6detail17trampoline_kernelINS0_14default_configENS1_36segmented_radix_sort_config_selectorIflEEZNS1_25segmented_radix_sort_implIS3_Lb0EPKfPfPKlPlN2at6native12_GLOBAL__N_18offset_tEEE10hipError_tPvRmT1_PNSt15iterator_traitsISK_E10value_typeET2_T3_PNSL_ISQ_E10value_typeET4_jRbjT5_SW_jjP12ihipStream_tbEUlT_E2_NS1_11comp_targetILNS1_3genE3ELNS1_11target_archE908ELNS1_3gpuE7ELNS1_3repE0EEENS1_30default_config_static_selectorELNS0_4arch9wavefront6targetE0EEEvSK_ ; -- Begin function _ZN7rocprim17ROCPRIM_400000_NS6detail17trampoline_kernelINS0_14default_configENS1_36segmented_radix_sort_config_selectorIflEEZNS1_25segmented_radix_sort_implIS3_Lb0EPKfPfPKlPlN2at6native12_GLOBAL__N_18offset_tEEE10hipError_tPvRmT1_PNSt15iterator_traitsISK_E10value_typeET2_T3_PNSL_ISQ_E10value_typeET4_jRbjT5_SW_jjP12ihipStream_tbEUlT_E2_NS1_11comp_targetILNS1_3genE3ELNS1_11target_archE908ELNS1_3gpuE7ELNS1_3repE0EEENS1_30default_config_static_selectorELNS0_4arch9wavefront6targetE0EEEvSK_
	.p2align	8
	.type	_ZN7rocprim17ROCPRIM_400000_NS6detail17trampoline_kernelINS0_14default_configENS1_36segmented_radix_sort_config_selectorIflEEZNS1_25segmented_radix_sort_implIS3_Lb0EPKfPfPKlPlN2at6native12_GLOBAL__N_18offset_tEEE10hipError_tPvRmT1_PNSt15iterator_traitsISK_E10value_typeET2_T3_PNSL_ISQ_E10value_typeET4_jRbjT5_SW_jjP12ihipStream_tbEUlT_E2_NS1_11comp_targetILNS1_3genE3ELNS1_11target_archE908ELNS1_3gpuE7ELNS1_3repE0EEENS1_30default_config_static_selectorELNS0_4arch9wavefront6targetE0EEEvSK_,@function
_ZN7rocprim17ROCPRIM_400000_NS6detail17trampoline_kernelINS0_14default_configENS1_36segmented_radix_sort_config_selectorIflEEZNS1_25segmented_radix_sort_implIS3_Lb0EPKfPfPKlPlN2at6native12_GLOBAL__N_18offset_tEEE10hipError_tPvRmT1_PNSt15iterator_traitsISK_E10value_typeET2_T3_PNSL_ISQ_E10value_typeET4_jRbjT5_SW_jjP12ihipStream_tbEUlT_E2_NS1_11comp_targetILNS1_3genE3ELNS1_11target_archE908ELNS1_3gpuE7ELNS1_3repE0EEENS1_30default_config_static_selectorELNS0_4arch9wavefront6targetE0EEEvSK_: ; @_ZN7rocprim17ROCPRIM_400000_NS6detail17trampoline_kernelINS0_14default_configENS1_36segmented_radix_sort_config_selectorIflEEZNS1_25segmented_radix_sort_implIS3_Lb0EPKfPfPKlPlN2at6native12_GLOBAL__N_18offset_tEEE10hipError_tPvRmT1_PNSt15iterator_traitsISK_E10value_typeET2_T3_PNSL_ISQ_E10value_typeET4_jRbjT5_SW_jjP12ihipStream_tbEUlT_E2_NS1_11comp_targetILNS1_3genE3ELNS1_11target_archE908ELNS1_3gpuE7ELNS1_3repE0EEENS1_30default_config_static_selectorELNS0_4arch9wavefront6targetE0EEEvSK_
; %bb.0:
	.section	.rodata,"a",@progbits
	.p2align	6, 0x0
	.amdhsa_kernel _ZN7rocprim17ROCPRIM_400000_NS6detail17trampoline_kernelINS0_14default_configENS1_36segmented_radix_sort_config_selectorIflEEZNS1_25segmented_radix_sort_implIS3_Lb0EPKfPfPKlPlN2at6native12_GLOBAL__N_18offset_tEEE10hipError_tPvRmT1_PNSt15iterator_traitsISK_E10value_typeET2_T3_PNSL_ISQ_E10value_typeET4_jRbjT5_SW_jjP12ihipStream_tbEUlT_E2_NS1_11comp_targetILNS1_3genE3ELNS1_11target_archE908ELNS1_3gpuE7ELNS1_3repE0EEENS1_30default_config_static_selectorELNS0_4arch9wavefront6targetE0EEEvSK_
		.amdhsa_group_segment_fixed_size 0
		.amdhsa_private_segment_fixed_size 0
		.amdhsa_kernarg_size 80
		.amdhsa_user_sgpr_count 2
		.amdhsa_user_sgpr_dispatch_ptr 0
		.amdhsa_user_sgpr_queue_ptr 0
		.amdhsa_user_sgpr_kernarg_segment_ptr 1
		.amdhsa_user_sgpr_dispatch_id 0
		.amdhsa_user_sgpr_private_segment_size 0
		.amdhsa_wavefront_size32 1
		.amdhsa_uses_dynamic_stack 0
		.amdhsa_enable_private_segment 0
		.amdhsa_system_sgpr_workgroup_id_x 1
		.amdhsa_system_sgpr_workgroup_id_y 0
		.amdhsa_system_sgpr_workgroup_id_z 0
		.amdhsa_system_sgpr_workgroup_info 0
		.amdhsa_system_vgpr_workitem_id 0
		.amdhsa_next_free_vgpr 1
		.amdhsa_next_free_sgpr 1
		.amdhsa_reserve_vcc 0
		.amdhsa_float_round_mode_32 0
		.amdhsa_float_round_mode_16_64 0
		.amdhsa_float_denorm_mode_32 3
		.amdhsa_float_denorm_mode_16_64 3
		.amdhsa_fp16_overflow 0
		.amdhsa_workgroup_processor_mode 1
		.amdhsa_memory_ordered 1
		.amdhsa_forward_progress 1
		.amdhsa_inst_pref_size 0
		.amdhsa_round_robin_scheduling 0
		.amdhsa_exception_fp_ieee_invalid_op 0
		.amdhsa_exception_fp_denorm_src 0
		.amdhsa_exception_fp_ieee_div_zero 0
		.amdhsa_exception_fp_ieee_overflow 0
		.amdhsa_exception_fp_ieee_underflow 0
		.amdhsa_exception_fp_ieee_inexact 0
		.amdhsa_exception_int_div_zero 0
	.end_amdhsa_kernel
	.section	.text._ZN7rocprim17ROCPRIM_400000_NS6detail17trampoline_kernelINS0_14default_configENS1_36segmented_radix_sort_config_selectorIflEEZNS1_25segmented_radix_sort_implIS3_Lb0EPKfPfPKlPlN2at6native12_GLOBAL__N_18offset_tEEE10hipError_tPvRmT1_PNSt15iterator_traitsISK_E10value_typeET2_T3_PNSL_ISQ_E10value_typeET4_jRbjT5_SW_jjP12ihipStream_tbEUlT_E2_NS1_11comp_targetILNS1_3genE3ELNS1_11target_archE908ELNS1_3gpuE7ELNS1_3repE0EEENS1_30default_config_static_selectorELNS0_4arch9wavefront6targetE0EEEvSK_,"axG",@progbits,_ZN7rocprim17ROCPRIM_400000_NS6detail17trampoline_kernelINS0_14default_configENS1_36segmented_radix_sort_config_selectorIflEEZNS1_25segmented_radix_sort_implIS3_Lb0EPKfPfPKlPlN2at6native12_GLOBAL__N_18offset_tEEE10hipError_tPvRmT1_PNSt15iterator_traitsISK_E10value_typeET2_T3_PNSL_ISQ_E10value_typeET4_jRbjT5_SW_jjP12ihipStream_tbEUlT_E2_NS1_11comp_targetILNS1_3genE3ELNS1_11target_archE908ELNS1_3gpuE7ELNS1_3repE0EEENS1_30default_config_static_selectorELNS0_4arch9wavefront6targetE0EEEvSK_,comdat
.Lfunc_end1461:
	.size	_ZN7rocprim17ROCPRIM_400000_NS6detail17trampoline_kernelINS0_14default_configENS1_36segmented_radix_sort_config_selectorIflEEZNS1_25segmented_radix_sort_implIS3_Lb0EPKfPfPKlPlN2at6native12_GLOBAL__N_18offset_tEEE10hipError_tPvRmT1_PNSt15iterator_traitsISK_E10value_typeET2_T3_PNSL_ISQ_E10value_typeET4_jRbjT5_SW_jjP12ihipStream_tbEUlT_E2_NS1_11comp_targetILNS1_3genE3ELNS1_11target_archE908ELNS1_3gpuE7ELNS1_3repE0EEENS1_30default_config_static_selectorELNS0_4arch9wavefront6targetE0EEEvSK_, .Lfunc_end1461-_ZN7rocprim17ROCPRIM_400000_NS6detail17trampoline_kernelINS0_14default_configENS1_36segmented_radix_sort_config_selectorIflEEZNS1_25segmented_radix_sort_implIS3_Lb0EPKfPfPKlPlN2at6native12_GLOBAL__N_18offset_tEEE10hipError_tPvRmT1_PNSt15iterator_traitsISK_E10value_typeET2_T3_PNSL_ISQ_E10value_typeET4_jRbjT5_SW_jjP12ihipStream_tbEUlT_E2_NS1_11comp_targetILNS1_3genE3ELNS1_11target_archE908ELNS1_3gpuE7ELNS1_3repE0EEENS1_30default_config_static_selectorELNS0_4arch9wavefront6targetE0EEEvSK_
                                        ; -- End function
	.set _ZN7rocprim17ROCPRIM_400000_NS6detail17trampoline_kernelINS0_14default_configENS1_36segmented_radix_sort_config_selectorIflEEZNS1_25segmented_radix_sort_implIS3_Lb0EPKfPfPKlPlN2at6native12_GLOBAL__N_18offset_tEEE10hipError_tPvRmT1_PNSt15iterator_traitsISK_E10value_typeET2_T3_PNSL_ISQ_E10value_typeET4_jRbjT5_SW_jjP12ihipStream_tbEUlT_E2_NS1_11comp_targetILNS1_3genE3ELNS1_11target_archE908ELNS1_3gpuE7ELNS1_3repE0EEENS1_30default_config_static_selectorELNS0_4arch9wavefront6targetE0EEEvSK_.num_vgpr, 0
	.set _ZN7rocprim17ROCPRIM_400000_NS6detail17trampoline_kernelINS0_14default_configENS1_36segmented_radix_sort_config_selectorIflEEZNS1_25segmented_radix_sort_implIS3_Lb0EPKfPfPKlPlN2at6native12_GLOBAL__N_18offset_tEEE10hipError_tPvRmT1_PNSt15iterator_traitsISK_E10value_typeET2_T3_PNSL_ISQ_E10value_typeET4_jRbjT5_SW_jjP12ihipStream_tbEUlT_E2_NS1_11comp_targetILNS1_3genE3ELNS1_11target_archE908ELNS1_3gpuE7ELNS1_3repE0EEENS1_30default_config_static_selectorELNS0_4arch9wavefront6targetE0EEEvSK_.num_agpr, 0
	.set _ZN7rocprim17ROCPRIM_400000_NS6detail17trampoline_kernelINS0_14default_configENS1_36segmented_radix_sort_config_selectorIflEEZNS1_25segmented_radix_sort_implIS3_Lb0EPKfPfPKlPlN2at6native12_GLOBAL__N_18offset_tEEE10hipError_tPvRmT1_PNSt15iterator_traitsISK_E10value_typeET2_T3_PNSL_ISQ_E10value_typeET4_jRbjT5_SW_jjP12ihipStream_tbEUlT_E2_NS1_11comp_targetILNS1_3genE3ELNS1_11target_archE908ELNS1_3gpuE7ELNS1_3repE0EEENS1_30default_config_static_selectorELNS0_4arch9wavefront6targetE0EEEvSK_.numbered_sgpr, 0
	.set _ZN7rocprim17ROCPRIM_400000_NS6detail17trampoline_kernelINS0_14default_configENS1_36segmented_radix_sort_config_selectorIflEEZNS1_25segmented_radix_sort_implIS3_Lb0EPKfPfPKlPlN2at6native12_GLOBAL__N_18offset_tEEE10hipError_tPvRmT1_PNSt15iterator_traitsISK_E10value_typeET2_T3_PNSL_ISQ_E10value_typeET4_jRbjT5_SW_jjP12ihipStream_tbEUlT_E2_NS1_11comp_targetILNS1_3genE3ELNS1_11target_archE908ELNS1_3gpuE7ELNS1_3repE0EEENS1_30default_config_static_selectorELNS0_4arch9wavefront6targetE0EEEvSK_.num_named_barrier, 0
	.set _ZN7rocprim17ROCPRIM_400000_NS6detail17trampoline_kernelINS0_14default_configENS1_36segmented_radix_sort_config_selectorIflEEZNS1_25segmented_radix_sort_implIS3_Lb0EPKfPfPKlPlN2at6native12_GLOBAL__N_18offset_tEEE10hipError_tPvRmT1_PNSt15iterator_traitsISK_E10value_typeET2_T3_PNSL_ISQ_E10value_typeET4_jRbjT5_SW_jjP12ihipStream_tbEUlT_E2_NS1_11comp_targetILNS1_3genE3ELNS1_11target_archE908ELNS1_3gpuE7ELNS1_3repE0EEENS1_30default_config_static_selectorELNS0_4arch9wavefront6targetE0EEEvSK_.private_seg_size, 0
	.set _ZN7rocprim17ROCPRIM_400000_NS6detail17trampoline_kernelINS0_14default_configENS1_36segmented_radix_sort_config_selectorIflEEZNS1_25segmented_radix_sort_implIS3_Lb0EPKfPfPKlPlN2at6native12_GLOBAL__N_18offset_tEEE10hipError_tPvRmT1_PNSt15iterator_traitsISK_E10value_typeET2_T3_PNSL_ISQ_E10value_typeET4_jRbjT5_SW_jjP12ihipStream_tbEUlT_E2_NS1_11comp_targetILNS1_3genE3ELNS1_11target_archE908ELNS1_3gpuE7ELNS1_3repE0EEENS1_30default_config_static_selectorELNS0_4arch9wavefront6targetE0EEEvSK_.uses_vcc, 0
	.set _ZN7rocprim17ROCPRIM_400000_NS6detail17trampoline_kernelINS0_14default_configENS1_36segmented_radix_sort_config_selectorIflEEZNS1_25segmented_radix_sort_implIS3_Lb0EPKfPfPKlPlN2at6native12_GLOBAL__N_18offset_tEEE10hipError_tPvRmT1_PNSt15iterator_traitsISK_E10value_typeET2_T3_PNSL_ISQ_E10value_typeET4_jRbjT5_SW_jjP12ihipStream_tbEUlT_E2_NS1_11comp_targetILNS1_3genE3ELNS1_11target_archE908ELNS1_3gpuE7ELNS1_3repE0EEENS1_30default_config_static_selectorELNS0_4arch9wavefront6targetE0EEEvSK_.uses_flat_scratch, 0
	.set _ZN7rocprim17ROCPRIM_400000_NS6detail17trampoline_kernelINS0_14default_configENS1_36segmented_radix_sort_config_selectorIflEEZNS1_25segmented_radix_sort_implIS3_Lb0EPKfPfPKlPlN2at6native12_GLOBAL__N_18offset_tEEE10hipError_tPvRmT1_PNSt15iterator_traitsISK_E10value_typeET2_T3_PNSL_ISQ_E10value_typeET4_jRbjT5_SW_jjP12ihipStream_tbEUlT_E2_NS1_11comp_targetILNS1_3genE3ELNS1_11target_archE908ELNS1_3gpuE7ELNS1_3repE0EEENS1_30default_config_static_selectorELNS0_4arch9wavefront6targetE0EEEvSK_.has_dyn_sized_stack, 0
	.set _ZN7rocprim17ROCPRIM_400000_NS6detail17trampoline_kernelINS0_14default_configENS1_36segmented_radix_sort_config_selectorIflEEZNS1_25segmented_radix_sort_implIS3_Lb0EPKfPfPKlPlN2at6native12_GLOBAL__N_18offset_tEEE10hipError_tPvRmT1_PNSt15iterator_traitsISK_E10value_typeET2_T3_PNSL_ISQ_E10value_typeET4_jRbjT5_SW_jjP12ihipStream_tbEUlT_E2_NS1_11comp_targetILNS1_3genE3ELNS1_11target_archE908ELNS1_3gpuE7ELNS1_3repE0EEENS1_30default_config_static_selectorELNS0_4arch9wavefront6targetE0EEEvSK_.has_recursion, 0
	.set _ZN7rocprim17ROCPRIM_400000_NS6detail17trampoline_kernelINS0_14default_configENS1_36segmented_radix_sort_config_selectorIflEEZNS1_25segmented_radix_sort_implIS3_Lb0EPKfPfPKlPlN2at6native12_GLOBAL__N_18offset_tEEE10hipError_tPvRmT1_PNSt15iterator_traitsISK_E10value_typeET2_T3_PNSL_ISQ_E10value_typeET4_jRbjT5_SW_jjP12ihipStream_tbEUlT_E2_NS1_11comp_targetILNS1_3genE3ELNS1_11target_archE908ELNS1_3gpuE7ELNS1_3repE0EEENS1_30default_config_static_selectorELNS0_4arch9wavefront6targetE0EEEvSK_.has_indirect_call, 0
	.section	.AMDGPU.csdata,"",@progbits
; Kernel info:
; codeLenInByte = 0
; TotalNumSgprs: 0
; NumVgprs: 0
; ScratchSize: 0
; MemoryBound: 0
; FloatMode: 240
; IeeeMode: 1
; LDSByteSize: 0 bytes/workgroup (compile time only)
; SGPRBlocks: 0
; VGPRBlocks: 0
; NumSGPRsForWavesPerEU: 1
; NumVGPRsForWavesPerEU: 1
; Occupancy: 16
; WaveLimiterHint : 0
; COMPUTE_PGM_RSRC2:SCRATCH_EN: 0
; COMPUTE_PGM_RSRC2:USER_SGPR: 2
; COMPUTE_PGM_RSRC2:TRAP_HANDLER: 0
; COMPUTE_PGM_RSRC2:TGID_X_EN: 1
; COMPUTE_PGM_RSRC2:TGID_Y_EN: 0
; COMPUTE_PGM_RSRC2:TGID_Z_EN: 0
; COMPUTE_PGM_RSRC2:TIDIG_COMP_CNT: 0
	.section	.text._ZN7rocprim17ROCPRIM_400000_NS6detail17trampoline_kernelINS0_14default_configENS1_36segmented_radix_sort_config_selectorIflEEZNS1_25segmented_radix_sort_implIS3_Lb0EPKfPfPKlPlN2at6native12_GLOBAL__N_18offset_tEEE10hipError_tPvRmT1_PNSt15iterator_traitsISK_E10value_typeET2_T3_PNSL_ISQ_E10value_typeET4_jRbjT5_SW_jjP12ihipStream_tbEUlT_E2_NS1_11comp_targetILNS1_3genE2ELNS1_11target_archE906ELNS1_3gpuE6ELNS1_3repE0EEENS1_30default_config_static_selectorELNS0_4arch9wavefront6targetE0EEEvSK_,"axG",@progbits,_ZN7rocprim17ROCPRIM_400000_NS6detail17trampoline_kernelINS0_14default_configENS1_36segmented_radix_sort_config_selectorIflEEZNS1_25segmented_radix_sort_implIS3_Lb0EPKfPfPKlPlN2at6native12_GLOBAL__N_18offset_tEEE10hipError_tPvRmT1_PNSt15iterator_traitsISK_E10value_typeET2_T3_PNSL_ISQ_E10value_typeET4_jRbjT5_SW_jjP12ihipStream_tbEUlT_E2_NS1_11comp_targetILNS1_3genE2ELNS1_11target_archE906ELNS1_3gpuE6ELNS1_3repE0EEENS1_30default_config_static_selectorELNS0_4arch9wavefront6targetE0EEEvSK_,comdat
	.globl	_ZN7rocprim17ROCPRIM_400000_NS6detail17trampoline_kernelINS0_14default_configENS1_36segmented_radix_sort_config_selectorIflEEZNS1_25segmented_radix_sort_implIS3_Lb0EPKfPfPKlPlN2at6native12_GLOBAL__N_18offset_tEEE10hipError_tPvRmT1_PNSt15iterator_traitsISK_E10value_typeET2_T3_PNSL_ISQ_E10value_typeET4_jRbjT5_SW_jjP12ihipStream_tbEUlT_E2_NS1_11comp_targetILNS1_3genE2ELNS1_11target_archE906ELNS1_3gpuE6ELNS1_3repE0EEENS1_30default_config_static_selectorELNS0_4arch9wavefront6targetE0EEEvSK_ ; -- Begin function _ZN7rocprim17ROCPRIM_400000_NS6detail17trampoline_kernelINS0_14default_configENS1_36segmented_radix_sort_config_selectorIflEEZNS1_25segmented_radix_sort_implIS3_Lb0EPKfPfPKlPlN2at6native12_GLOBAL__N_18offset_tEEE10hipError_tPvRmT1_PNSt15iterator_traitsISK_E10value_typeET2_T3_PNSL_ISQ_E10value_typeET4_jRbjT5_SW_jjP12ihipStream_tbEUlT_E2_NS1_11comp_targetILNS1_3genE2ELNS1_11target_archE906ELNS1_3gpuE6ELNS1_3repE0EEENS1_30default_config_static_selectorELNS0_4arch9wavefront6targetE0EEEvSK_
	.p2align	8
	.type	_ZN7rocprim17ROCPRIM_400000_NS6detail17trampoline_kernelINS0_14default_configENS1_36segmented_radix_sort_config_selectorIflEEZNS1_25segmented_radix_sort_implIS3_Lb0EPKfPfPKlPlN2at6native12_GLOBAL__N_18offset_tEEE10hipError_tPvRmT1_PNSt15iterator_traitsISK_E10value_typeET2_T3_PNSL_ISQ_E10value_typeET4_jRbjT5_SW_jjP12ihipStream_tbEUlT_E2_NS1_11comp_targetILNS1_3genE2ELNS1_11target_archE906ELNS1_3gpuE6ELNS1_3repE0EEENS1_30default_config_static_selectorELNS0_4arch9wavefront6targetE0EEEvSK_,@function
_ZN7rocprim17ROCPRIM_400000_NS6detail17trampoline_kernelINS0_14default_configENS1_36segmented_radix_sort_config_selectorIflEEZNS1_25segmented_radix_sort_implIS3_Lb0EPKfPfPKlPlN2at6native12_GLOBAL__N_18offset_tEEE10hipError_tPvRmT1_PNSt15iterator_traitsISK_E10value_typeET2_T3_PNSL_ISQ_E10value_typeET4_jRbjT5_SW_jjP12ihipStream_tbEUlT_E2_NS1_11comp_targetILNS1_3genE2ELNS1_11target_archE906ELNS1_3gpuE6ELNS1_3repE0EEENS1_30default_config_static_selectorELNS0_4arch9wavefront6targetE0EEEvSK_: ; @_ZN7rocprim17ROCPRIM_400000_NS6detail17trampoline_kernelINS0_14default_configENS1_36segmented_radix_sort_config_selectorIflEEZNS1_25segmented_radix_sort_implIS3_Lb0EPKfPfPKlPlN2at6native12_GLOBAL__N_18offset_tEEE10hipError_tPvRmT1_PNSt15iterator_traitsISK_E10value_typeET2_T3_PNSL_ISQ_E10value_typeET4_jRbjT5_SW_jjP12ihipStream_tbEUlT_E2_NS1_11comp_targetILNS1_3genE2ELNS1_11target_archE906ELNS1_3gpuE6ELNS1_3repE0EEENS1_30default_config_static_selectorELNS0_4arch9wavefront6targetE0EEEvSK_
; %bb.0:
	.section	.rodata,"a",@progbits
	.p2align	6, 0x0
	.amdhsa_kernel _ZN7rocprim17ROCPRIM_400000_NS6detail17trampoline_kernelINS0_14default_configENS1_36segmented_radix_sort_config_selectorIflEEZNS1_25segmented_radix_sort_implIS3_Lb0EPKfPfPKlPlN2at6native12_GLOBAL__N_18offset_tEEE10hipError_tPvRmT1_PNSt15iterator_traitsISK_E10value_typeET2_T3_PNSL_ISQ_E10value_typeET4_jRbjT5_SW_jjP12ihipStream_tbEUlT_E2_NS1_11comp_targetILNS1_3genE2ELNS1_11target_archE906ELNS1_3gpuE6ELNS1_3repE0EEENS1_30default_config_static_selectorELNS0_4arch9wavefront6targetE0EEEvSK_
		.amdhsa_group_segment_fixed_size 0
		.amdhsa_private_segment_fixed_size 0
		.amdhsa_kernarg_size 80
		.amdhsa_user_sgpr_count 2
		.amdhsa_user_sgpr_dispatch_ptr 0
		.amdhsa_user_sgpr_queue_ptr 0
		.amdhsa_user_sgpr_kernarg_segment_ptr 1
		.amdhsa_user_sgpr_dispatch_id 0
		.amdhsa_user_sgpr_private_segment_size 0
		.amdhsa_wavefront_size32 1
		.amdhsa_uses_dynamic_stack 0
		.amdhsa_enable_private_segment 0
		.amdhsa_system_sgpr_workgroup_id_x 1
		.amdhsa_system_sgpr_workgroup_id_y 0
		.amdhsa_system_sgpr_workgroup_id_z 0
		.amdhsa_system_sgpr_workgroup_info 0
		.amdhsa_system_vgpr_workitem_id 0
		.amdhsa_next_free_vgpr 1
		.amdhsa_next_free_sgpr 1
		.amdhsa_reserve_vcc 0
		.amdhsa_float_round_mode_32 0
		.amdhsa_float_round_mode_16_64 0
		.amdhsa_float_denorm_mode_32 3
		.amdhsa_float_denorm_mode_16_64 3
		.amdhsa_fp16_overflow 0
		.amdhsa_workgroup_processor_mode 1
		.amdhsa_memory_ordered 1
		.amdhsa_forward_progress 1
		.amdhsa_inst_pref_size 0
		.amdhsa_round_robin_scheduling 0
		.amdhsa_exception_fp_ieee_invalid_op 0
		.amdhsa_exception_fp_denorm_src 0
		.amdhsa_exception_fp_ieee_div_zero 0
		.amdhsa_exception_fp_ieee_overflow 0
		.amdhsa_exception_fp_ieee_underflow 0
		.amdhsa_exception_fp_ieee_inexact 0
		.amdhsa_exception_int_div_zero 0
	.end_amdhsa_kernel
	.section	.text._ZN7rocprim17ROCPRIM_400000_NS6detail17trampoline_kernelINS0_14default_configENS1_36segmented_radix_sort_config_selectorIflEEZNS1_25segmented_radix_sort_implIS3_Lb0EPKfPfPKlPlN2at6native12_GLOBAL__N_18offset_tEEE10hipError_tPvRmT1_PNSt15iterator_traitsISK_E10value_typeET2_T3_PNSL_ISQ_E10value_typeET4_jRbjT5_SW_jjP12ihipStream_tbEUlT_E2_NS1_11comp_targetILNS1_3genE2ELNS1_11target_archE906ELNS1_3gpuE6ELNS1_3repE0EEENS1_30default_config_static_selectorELNS0_4arch9wavefront6targetE0EEEvSK_,"axG",@progbits,_ZN7rocprim17ROCPRIM_400000_NS6detail17trampoline_kernelINS0_14default_configENS1_36segmented_radix_sort_config_selectorIflEEZNS1_25segmented_radix_sort_implIS3_Lb0EPKfPfPKlPlN2at6native12_GLOBAL__N_18offset_tEEE10hipError_tPvRmT1_PNSt15iterator_traitsISK_E10value_typeET2_T3_PNSL_ISQ_E10value_typeET4_jRbjT5_SW_jjP12ihipStream_tbEUlT_E2_NS1_11comp_targetILNS1_3genE2ELNS1_11target_archE906ELNS1_3gpuE6ELNS1_3repE0EEENS1_30default_config_static_selectorELNS0_4arch9wavefront6targetE0EEEvSK_,comdat
.Lfunc_end1462:
	.size	_ZN7rocprim17ROCPRIM_400000_NS6detail17trampoline_kernelINS0_14default_configENS1_36segmented_radix_sort_config_selectorIflEEZNS1_25segmented_radix_sort_implIS3_Lb0EPKfPfPKlPlN2at6native12_GLOBAL__N_18offset_tEEE10hipError_tPvRmT1_PNSt15iterator_traitsISK_E10value_typeET2_T3_PNSL_ISQ_E10value_typeET4_jRbjT5_SW_jjP12ihipStream_tbEUlT_E2_NS1_11comp_targetILNS1_3genE2ELNS1_11target_archE906ELNS1_3gpuE6ELNS1_3repE0EEENS1_30default_config_static_selectorELNS0_4arch9wavefront6targetE0EEEvSK_, .Lfunc_end1462-_ZN7rocprim17ROCPRIM_400000_NS6detail17trampoline_kernelINS0_14default_configENS1_36segmented_radix_sort_config_selectorIflEEZNS1_25segmented_radix_sort_implIS3_Lb0EPKfPfPKlPlN2at6native12_GLOBAL__N_18offset_tEEE10hipError_tPvRmT1_PNSt15iterator_traitsISK_E10value_typeET2_T3_PNSL_ISQ_E10value_typeET4_jRbjT5_SW_jjP12ihipStream_tbEUlT_E2_NS1_11comp_targetILNS1_3genE2ELNS1_11target_archE906ELNS1_3gpuE6ELNS1_3repE0EEENS1_30default_config_static_selectorELNS0_4arch9wavefront6targetE0EEEvSK_
                                        ; -- End function
	.set _ZN7rocprim17ROCPRIM_400000_NS6detail17trampoline_kernelINS0_14default_configENS1_36segmented_radix_sort_config_selectorIflEEZNS1_25segmented_radix_sort_implIS3_Lb0EPKfPfPKlPlN2at6native12_GLOBAL__N_18offset_tEEE10hipError_tPvRmT1_PNSt15iterator_traitsISK_E10value_typeET2_T3_PNSL_ISQ_E10value_typeET4_jRbjT5_SW_jjP12ihipStream_tbEUlT_E2_NS1_11comp_targetILNS1_3genE2ELNS1_11target_archE906ELNS1_3gpuE6ELNS1_3repE0EEENS1_30default_config_static_selectorELNS0_4arch9wavefront6targetE0EEEvSK_.num_vgpr, 0
	.set _ZN7rocprim17ROCPRIM_400000_NS6detail17trampoline_kernelINS0_14default_configENS1_36segmented_radix_sort_config_selectorIflEEZNS1_25segmented_radix_sort_implIS3_Lb0EPKfPfPKlPlN2at6native12_GLOBAL__N_18offset_tEEE10hipError_tPvRmT1_PNSt15iterator_traitsISK_E10value_typeET2_T3_PNSL_ISQ_E10value_typeET4_jRbjT5_SW_jjP12ihipStream_tbEUlT_E2_NS1_11comp_targetILNS1_3genE2ELNS1_11target_archE906ELNS1_3gpuE6ELNS1_3repE0EEENS1_30default_config_static_selectorELNS0_4arch9wavefront6targetE0EEEvSK_.num_agpr, 0
	.set _ZN7rocprim17ROCPRIM_400000_NS6detail17trampoline_kernelINS0_14default_configENS1_36segmented_radix_sort_config_selectorIflEEZNS1_25segmented_radix_sort_implIS3_Lb0EPKfPfPKlPlN2at6native12_GLOBAL__N_18offset_tEEE10hipError_tPvRmT1_PNSt15iterator_traitsISK_E10value_typeET2_T3_PNSL_ISQ_E10value_typeET4_jRbjT5_SW_jjP12ihipStream_tbEUlT_E2_NS1_11comp_targetILNS1_3genE2ELNS1_11target_archE906ELNS1_3gpuE6ELNS1_3repE0EEENS1_30default_config_static_selectorELNS0_4arch9wavefront6targetE0EEEvSK_.numbered_sgpr, 0
	.set _ZN7rocprim17ROCPRIM_400000_NS6detail17trampoline_kernelINS0_14default_configENS1_36segmented_radix_sort_config_selectorIflEEZNS1_25segmented_radix_sort_implIS3_Lb0EPKfPfPKlPlN2at6native12_GLOBAL__N_18offset_tEEE10hipError_tPvRmT1_PNSt15iterator_traitsISK_E10value_typeET2_T3_PNSL_ISQ_E10value_typeET4_jRbjT5_SW_jjP12ihipStream_tbEUlT_E2_NS1_11comp_targetILNS1_3genE2ELNS1_11target_archE906ELNS1_3gpuE6ELNS1_3repE0EEENS1_30default_config_static_selectorELNS0_4arch9wavefront6targetE0EEEvSK_.num_named_barrier, 0
	.set _ZN7rocprim17ROCPRIM_400000_NS6detail17trampoline_kernelINS0_14default_configENS1_36segmented_radix_sort_config_selectorIflEEZNS1_25segmented_radix_sort_implIS3_Lb0EPKfPfPKlPlN2at6native12_GLOBAL__N_18offset_tEEE10hipError_tPvRmT1_PNSt15iterator_traitsISK_E10value_typeET2_T3_PNSL_ISQ_E10value_typeET4_jRbjT5_SW_jjP12ihipStream_tbEUlT_E2_NS1_11comp_targetILNS1_3genE2ELNS1_11target_archE906ELNS1_3gpuE6ELNS1_3repE0EEENS1_30default_config_static_selectorELNS0_4arch9wavefront6targetE0EEEvSK_.private_seg_size, 0
	.set _ZN7rocprim17ROCPRIM_400000_NS6detail17trampoline_kernelINS0_14default_configENS1_36segmented_radix_sort_config_selectorIflEEZNS1_25segmented_radix_sort_implIS3_Lb0EPKfPfPKlPlN2at6native12_GLOBAL__N_18offset_tEEE10hipError_tPvRmT1_PNSt15iterator_traitsISK_E10value_typeET2_T3_PNSL_ISQ_E10value_typeET4_jRbjT5_SW_jjP12ihipStream_tbEUlT_E2_NS1_11comp_targetILNS1_3genE2ELNS1_11target_archE906ELNS1_3gpuE6ELNS1_3repE0EEENS1_30default_config_static_selectorELNS0_4arch9wavefront6targetE0EEEvSK_.uses_vcc, 0
	.set _ZN7rocprim17ROCPRIM_400000_NS6detail17trampoline_kernelINS0_14default_configENS1_36segmented_radix_sort_config_selectorIflEEZNS1_25segmented_radix_sort_implIS3_Lb0EPKfPfPKlPlN2at6native12_GLOBAL__N_18offset_tEEE10hipError_tPvRmT1_PNSt15iterator_traitsISK_E10value_typeET2_T3_PNSL_ISQ_E10value_typeET4_jRbjT5_SW_jjP12ihipStream_tbEUlT_E2_NS1_11comp_targetILNS1_3genE2ELNS1_11target_archE906ELNS1_3gpuE6ELNS1_3repE0EEENS1_30default_config_static_selectorELNS0_4arch9wavefront6targetE0EEEvSK_.uses_flat_scratch, 0
	.set _ZN7rocprim17ROCPRIM_400000_NS6detail17trampoline_kernelINS0_14default_configENS1_36segmented_radix_sort_config_selectorIflEEZNS1_25segmented_radix_sort_implIS3_Lb0EPKfPfPKlPlN2at6native12_GLOBAL__N_18offset_tEEE10hipError_tPvRmT1_PNSt15iterator_traitsISK_E10value_typeET2_T3_PNSL_ISQ_E10value_typeET4_jRbjT5_SW_jjP12ihipStream_tbEUlT_E2_NS1_11comp_targetILNS1_3genE2ELNS1_11target_archE906ELNS1_3gpuE6ELNS1_3repE0EEENS1_30default_config_static_selectorELNS0_4arch9wavefront6targetE0EEEvSK_.has_dyn_sized_stack, 0
	.set _ZN7rocprim17ROCPRIM_400000_NS6detail17trampoline_kernelINS0_14default_configENS1_36segmented_radix_sort_config_selectorIflEEZNS1_25segmented_radix_sort_implIS3_Lb0EPKfPfPKlPlN2at6native12_GLOBAL__N_18offset_tEEE10hipError_tPvRmT1_PNSt15iterator_traitsISK_E10value_typeET2_T3_PNSL_ISQ_E10value_typeET4_jRbjT5_SW_jjP12ihipStream_tbEUlT_E2_NS1_11comp_targetILNS1_3genE2ELNS1_11target_archE906ELNS1_3gpuE6ELNS1_3repE0EEENS1_30default_config_static_selectorELNS0_4arch9wavefront6targetE0EEEvSK_.has_recursion, 0
	.set _ZN7rocprim17ROCPRIM_400000_NS6detail17trampoline_kernelINS0_14default_configENS1_36segmented_radix_sort_config_selectorIflEEZNS1_25segmented_radix_sort_implIS3_Lb0EPKfPfPKlPlN2at6native12_GLOBAL__N_18offset_tEEE10hipError_tPvRmT1_PNSt15iterator_traitsISK_E10value_typeET2_T3_PNSL_ISQ_E10value_typeET4_jRbjT5_SW_jjP12ihipStream_tbEUlT_E2_NS1_11comp_targetILNS1_3genE2ELNS1_11target_archE906ELNS1_3gpuE6ELNS1_3repE0EEENS1_30default_config_static_selectorELNS0_4arch9wavefront6targetE0EEEvSK_.has_indirect_call, 0
	.section	.AMDGPU.csdata,"",@progbits
; Kernel info:
; codeLenInByte = 0
; TotalNumSgprs: 0
; NumVgprs: 0
; ScratchSize: 0
; MemoryBound: 0
; FloatMode: 240
; IeeeMode: 1
; LDSByteSize: 0 bytes/workgroup (compile time only)
; SGPRBlocks: 0
; VGPRBlocks: 0
; NumSGPRsForWavesPerEU: 1
; NumVGPRsForWavesPerEU: 1
; Occupancy: 16
; WaveLimiterHint : 0
; COMPUTE_PGM_RSRC2:SCRATCH_EN: 0
; COMPUTE_PGM_RSRC2:USER_SGPR: 2
; COMPUTE_PGM_RSRC2:TRAP_HANDLER: 0
; COMPUTE_PGM_RSRC2:TGID_X_EN: 1
; COMPUTE_PGM_RSRC2:TGID_Y_EN: 0
; COMPUTE_PGM_RSRC2:TGID_Z_EN: 0
; COMPUTE_PGM_RSRC2:TIDIG_COMP_CNT: 0
	.section	.text._ZN7rocprim17ROCPRIM_400000_NS6detail17trampoline_kernelINS0_14default_configENS1_36segmented_radix_sort_config_selectorIflEEZNS1_25segmented_radix_sort_implIS3_Lb0EPKfPfPKlPlN2at6native12_GLOBAL__N_18offset_tEEE10hipError_tPvRmT1_PNSt15iterator_traitsISK_E10value_typeET2_T3_PNSL_ISQ_E10value_typeET4_jRbjT5_SW_jjP12ihipStream_tbEUlT_E2_NS1_11comp_targetILNS1_3genE10ELNS1_11target_archE1201ELNS1_3gpuE5ELNS1_3repE0EEENS1_30default_config_static_selectorELNS0_4arch9wavefront6targetE0EEEvSK_,"axG",@progbits,_ZN7rocprim17ROCPRIM_400000_NS6detail17trampoline_kernelINS0_14default_configENS1_36segmented_radix_sort_config_selectorIflEEZNS1_25segmented_radix_sort_implIS3_Lb0EPKfPfPKlPlN2at6native12_GLOBAL__N_18offset_tEEE10hipError_tPvRmT1_PNSt15iterator_traitsISK_E10value_typeET2_T3_PNSL_ISQ_E10value_typeET4_jRbjT5_SW_jjP12ihipStream_tbEUlT_E2_NS1_11comp_targetILNS1_3genE10ELNS1_11target_archE1201ELNS1_3gpuE5ELNS1_3repE0EEENS1_30default_config_static_selectorELNS0_4arch9wavefront6targetE0EEEvSK_,comdat
	.globl	_ZN7rocprim17ROCPRIM_400000_NS6detail17trampoline_kernelINS0_14default_configENS1_36segmented_radix_sort_config_selectorIflEEZNS1_25segmented_radix_sort_implIS3_Lb0EPKfPfPKlPlN2at6native12_GLOBAL__N_18offset_tEEE10hipError_tPvRmT1_PNSt15iterator_traitsISK_E10value_typeET2_T3_PNSL_ISQ_E10value_typeET4_jRbjT5_SW_jjP12ihipStream_tbEUlT_E2_NS1_11comp_targetILNS1_3genE10ELNS1_11target_archE1201ELNS1_3gpuE5ELNS1_3repE0EEENS1_30default_config_static_selectorELNS0_4arch9wavefront6targetE0EEEvSK_ ; -- Begin function _ZN7rocprim17ROCPRIM_400000_NS6detail17trampoline_kernelINS0_14default_configENS1_36segmented_radix_sort_config_selectorIflEEZNS1_25segmented_radix_sort_implIS3_Lb0EPKfPfPKlPlN2at6native12_GLOBAL__N_18offset_tEEE10hipError_tPvRmT1_PNSt15iterator_traitsISK_E10value_typeET2_T3_PNSL_ISQ_E10value_typeET4_jRbjT5_SW_jjP12ihipStream_tbEUlT_E2_NS1_11comp_targetILNS1_3genE10ELNS1_11target_archE1201ELNS1_3gpuE5ELNS1_3repE0EEENS1_30default_config_static_selectorELNS0_4arch9wavefront6targetE0EEEvSK_
	.p2align	8
	.type	_ZN7rocprim17ROCPRIM_400000_NS6detail17trampoline_kernelINS0_14default_configENS1_36segmented_radix_sort_config_selectorIflEEZNS1_25segmented_radix_sort_implIS3_Lb0EPKfPfPKlPlN2at6native12_GLOBAL__N_18offset_tEEE10hipError_tPvRmT1_PNSt15iterator_traitsISK_E10value_typeET2_T3_PNSL_ISQ_E10value_typeET4_jRbjT5_SW_jjP12ihipStream_tbEUlT_E2_NS1_11comp_targetILNS1_3genE10ELNS1_11target_archE1201ELNS1_3gpuE5ELNS1_3repE0EEENS1_30default_config_static_selectorELNS0_4arch9wavefront6targetE0EEEvSK_,@function
_ZN7rocprim17ROCPRIM_400000_NS6detail17trampoline_kernelINS0_14default_configENS1_36segmented_radix_sort_config_selectorIflEEZNS1_25segmented_radix_sort_implIS3_Lb0EPKfPfPKlPlN2at6native12_GLOBAL__N_18offset_tEEE10hipError_tPvRmT1_PNSt15iterator_traitsISK_E10value_typeET2_T3_PNSL_ISQ_E10value_typeET4_jRbjT5_SW_jjP12ihipStream_tbEUlT_E2_NS1_11comp_targetILNS1_3genE10ELNS1_11target_archE1201ELNS1_3gpuE5ELNS1_3repE0EEENS1_30default_config_static_selectorELNS0_4arch9wavefront6targetE0EEEvSK_: ; @_ZN7rocprim17ROCPRIM_400000_NS6detail17trampoline_kernelINS0_14default_configENS1_36segmented_radix_sort_config_selectorIflEEZNS1_25segmented_radix_sort_implIS3_Lb0EPKfPfPKlPlN2at6native12_GLOBAL__N_18offset_tEEE10hipError_tPvRmT1_PNSt15iterator_traitsISK_E10value_typeET2_T3_PNSL_ISQ_E10value_typeET4_jRbjT5_SW_jjP12ihipStream_tbEUlT_E2_NS1_11comp_targetILNS1_3genE10ELNS1_11target_archE1201ELNS1_3gpuE5ELNS1_3repE0EEENS1_30default_config_static_selectorELNS0_4arch9wavefront6targetE0EEEvSK_
; %bb.0:
	s_load_b128 s[4:7], s[0:1], 0x34
	s_mov_b32 s32, 0
	s_wait_kmcnt 0x0
	s_add_co_i32 s33, s5, ttmp9
	s_add_co_i32 s51, s7, ttmp9
	s_mul_i32 s33, s33, s4
	s_mul_i32 s51, s51, s6
	s_delay_alu instid0(SALU_CYCLE_1)
	s_cmp_le_u32 s51, s33
	s_cbranch_scc1 .LBB1463_1187
; %bb.1:
	s_clause 0x3
	s_load_b32 s2, s[0:1], 0x30
	s_load_b128 s[44:47], s[0:1], 0x20
	s_load_b96 s[48:50], s[0:1], 0x44
	s_load_b256 s[36:43], s[0:1], 0x0
	s_wait_kmcnt 0x0
	s_bitcmp1_b32 s2, 0
	s_mov_b32 s2, -1
	s_cselect_b32 s52, -1, 0
	s_sub_co_i32 s53, s51, s33
	s_delay_alu instid0(SALU_CYCLE_1)
	s_cmp_lt_u32 s53, 0x1001
	s_cbranch_scc0 .LBB1463_12
; %bb.2:
	s_cmp_lt_u32 s53, 33
	s_cbranch_scc0 .LBB1463_6
; %bb.3:
	s_load_b32 s2, s[0:1], 0x5c
	v_bfe_u32 v1, v0, 10, 10
	v_bfe_u32 v2, v0, 20, 10
	s_mov_b32 s18, exec_lo
	s_wait_kmcnt 0x0
	s_lshr_b32 s3, s2, 16
	s_and_b32 s2, s2, 0xffff
	v_mad_u32_u24 v2, v2, s3, v1
	v_and_b32_e32 v1, 0x3ff, v0
	s_delay_alu instid0(VALU_DEP_1) | instskip(NEXT) | instid1(VALU_DEP_1)
	v_mad_co_u64_u32 v[1:2], null, v2, s2, v[1:2]
	v_cmpx_gt_u32_e32 8, v1
	s_cbranch_execz .LBB1463_5
; %bb.4:
	s_bitcmp1_b32 s48, 0
	s_mov_b64 s[2:3], src_shared_base
	s_cselect_b32 s2, -1, 0
	v_dual_mov_b32 v31, v0 :: v_dual_mov_b32 v40, v0
	s_wait_alu 0xfffe
	s_xor_b32 s2, s52, s2
	v_dual_mov_b32 v0, s36 :: v_dual_mov_b32 v1, s37
	s_wait_alu 0xfffe
	s_xor_b32 s2, s2, -1
	v_dual_mov_b32 v2, s38 :: v_dual_mov_b32 v3, s39
	s_wait_alu 0xfffe
	v_cndmask_b32_e64 v12, 0, 1, s2
	v_dual_mov_b32 v4, s40 :: v_dual_mov_b32 v5, s41
	v_dual_mov_b32 v6, s42 :: v_dual_mov_b32 v7, s43
	;; [unrolled: 1-line block ×6, first 2 shown]
	s_add_nc_u64 s[8:9], s[0:1], 0x50
	s_getpc_b64 s[4:5]
	s_sext_i32_i16 s5, s5
	s_add_co_u32 s4, s4, _ZN7rocprim17ROCPRIM_400000_NS6detail26segmented_warp_sort_helperINS1_20WarpSortHelperConfigILj8ELj4ELj256EEEflLi256ELb0EvE4sortIPKfPfPKlPlEEvT_S9_T0_T1_SC_T2_bjjjjRNS5_12storage_typeE@rel32@lo+8
	s_add_co_ci_u32 s5, s5, _ZN7rocprim17ROCPRIM_400000_NS6detail26segmented_warp_sort_helperINS1_20WarpSortHelperConfigILj8ELj4ELj256EEEflLi256ELb0EvE4sortIPKfPfPKlPlEEvT_S9_T0_T1_SC_T2_bjjjjRNS5_12storage_typeE@rel32@hi+16
	s_mov_b64 s[16:17], s[0:1]
	s_swappc_b64 s[30:31], s[4:5]
	v_mov_b32_e32 v0, v40
	s_mov_b64 s[0:1], s[16:17]
.LBB1463_5:
	s_or_b32 exec_lo, exec_lo, s18
	s_mov_b32 s2, 0
.LBB1463_6:
	s_wait_alu 0xfffe
	s_and_not1_b32 vcc_lo, exec_lo, s2
	s_wait_alu 0xfffe
	s_cbranch_vccnz .LBB1463_11
; %bb.7:
	v_cndmask_b32_e64 v1, 0, 1, s52
	s_and_b32 s2, s48, 1
	s_wait_alu 0xfffe
	s_delay_alu instid0(VALU_DEP_1)
	v_cmp_ne_u32_e32 vcc_lo, s2, v1
	s_mov_b32 s2, -1
	s_cbranch_vccnz .LBB1463_9
; %bb.8:
	s_mov_b64 s[2:3], src_shared_base
	v_dual_mov_b32 v31, v0 :: v_dual_mov_b32 v40, v0
	v_dual_mov_b32 v0, s36 :: v_dual_mov_b32 v1, s37
	;; [unrolled: 1-line block ×7, first 2 shown]
	s_wait_alu 0xfffe
	v_dual_mov_b32 v12, 0 :: v_dual_mov_b32 v13, s3
	s_add_nc_u64 s[8:9], s[0:1], 0x50
	s_getpc_b64 s[4:5]
	s_wait_alu 0xfffe
	s_sext_i32_i16 s5, s5
	s_add_co_u32 s4, s4, _ZN7rocprim17ROCPRIM_400000_NS6detail40segmented_radix_sort_single_block_helperIflLj256ELj16ELb0EE4sortIPKfPfPKlPlEEbT_T0_T1_T2_jjjjRNS3_12storage_typeE@rel32@lo+12
	s_wait_alu 0xfffe
	s_add_co_ci_u32 s5, s5, _ZN7rocprim17ROCPRIM_400000_NS6detail40segmented_radix_sort_single_block_helperIflLj256ELj16ELb0EE4sortIPKfPfPKlPlEEbT_T0_T1_T2_jjjjRNS3_12storage_typeE@rel32@hi+24
	s_mov_b64 s[22:23], s[0:1]
	s_wait_alu 0xfffe
	s_swappc_b64 s[30:31], s[4:5]
	v_mov_b32_e32 v0, v40
	s_mov_b64 s[0:1], s[22:23]
	s_mov_b32 s2, 0
.LBB1463_9:
	s_wait_alu 0xfffe
	s_and_not1_b32 vcc_lo, exec_lo, s2
	s_wait_alu 0xfffe
	s_cbranch_vccnz .LBB1463_11
; %bb.10:
	s_mov_b64 s[2:3], src_shared_base
	v_dual_mov_b32 v31, v0 :: v_dual_mov_b32 v40, v0
	v_dual_mov_b32 v0, s36 :: v_dual_mov_b32 v1, s37
	;; [unrolled: 1-line block ×7, first 2 shown]
	s_wait_alu 0xfffe
	v_dual_mov_b32 v12, 0 :: v_dual_mov_b32 v13, s3
	s_add_nc_u64 s[8:9], s[0:1], 0x50
	s_getpc_b64 s[4:5]
	s_wait_alu 0xfffe
	s_sext_i32_i16 s5, s5
	s_add_co_u32 s4, s4, _ZN7rocprim17ROCPRIM_400000_NS6detail40segmented_radix_sort_single_block_helperIflLj256ELj16ELb0EE4sortIPKfPfPKlPlEEbT_T0_T1_T2_jjjjRNS3_12storage_typeE@rel32@lo+12
	s_wait_alu 0xfffe
	s_add_co_ci_u32 s5, s5, _ZN7rocprim17ROCPRIM_400000_NS6detail40segmented_radix_sort_single_block_helperIflLj256ELj16ELb0EE4sortIPKfPfPKlPlEEbT_T0_T1_T2_jjjjRNS3_12storage_typeE@rel32@hi+24
	s_mov_b64 s[22:23], s[0:1]
	s_wait_alu 0xfffe
	s_swappc_b64 s[30:31], s[4:5]
	v_mov_b32_e32 v0, v40
	s_mov_b64 s[0:1], s[22:23]
.LBB1463_11:
	s_mov_b32 s2, 0
.LBB1463_12:
	s_wait_alu 0xfffe
	s_and_not1_b32 vcc_lo, exec_lo, s2
	s_wait_alu 0xfffe
	s_cbranch_vccnz .LBB1463_1187
; %bb.13:
	s_cmp_ge_u32 s49, s50
	s_cbranch_scc1 .LBB1463_1187
; %bb.14:
	v_dual_mov_b32 v84, 1 :: v_dual_and_b32 v1, 0x3ff, v0
	v_dual_mov_b32 v3, 0 :: v_dual_and_b32 v2, 3, v0
	v_lshrrev_b32_e32 v4, 3, v0
	s_delay_alu instid0(VALU_DEP_3)
	v_lshlrev_b32_e32 v44, 2, v1
	v_mbcnt_lo_u32_b32 v81, -1, 0
	v_or_b32_e32 v45, 0x100, v1
	v_lshlrev_b32_e32 v62, 2, v2
	v_or_b32_e32 v2, 31, v1
	v_and_b32_e32 v63, 28, v4
	v_lshlrev_b32_e32 v4, 4, v1
	v_mad_u32_u24 v64, v1, 12, v44
	v_lshlrev_b32_e32 v91, 3, v81
	v_cmp_eq_u32_e64 s3, v1, v2
	v_lshlrev_b32_e32 v2, 5, v1
	v_and_b32_e32 v4, 0xe00, v4
	v_mad_u32_u24 v67, v1, 20, v64
	v_lshlrev_b32_e32 v107, 2, v81
	v_add_co_u32 v48, s2, s40, v44
	s_delay_alu instid0(VALU_DEP_4) | instskip(NEXT) | instid1(VALU_DEP_4)
	v_lshlrev_b32_e32 v5, 2, v4
	v_sub_nc_u32_e32 v70, v67, v2
	v_lshlrev_b32_e32 v2, 3, v4
	v_or_b32_e32 v88, v81, v4
	v_or_b32_e32 v46, 0x200, v1
	v_or_b32_e32 v47, 0x300, v1
	s_wait_alu 0xf1ff
	v_add_co_ci_u32_e64 v49, null, s41, 0, s2
	v_add_co_u32 v6, s8, s46, v2
	s_wait_alu 0xf1ff
	v_add_co_ci_u32_e64 v7, null, s47, 0, s8
	v_add_co_u32 v8, s8, s40, v5
	;; [unrolled: 3-line block ×7, first 2 shown]
	v_add_co_u32 v109, vcc_lo, v6, v91
	s_wait_alu 0xf1ff
	v_add_co_ci_u32_e64 v80, null, s43, 0, s8
	v_add_co_u32 v82, s8, s36, v5
	s_wait_alu 0xfffd
	v_add_co_ci_u32_e64 v110, null, 0, v7, vcc_lo
	v_add_co_u32 v111, vcc_lo, v8, v107
	v_or_b32_e32 v50, 0x400, v1
	v_or_b32_e32 v51, 0x500, v1
	;; [unrolled: 1-line block ×12, first 2 shown]
	v_cmp_gt_u32_e64 s2, 0x100, v1
	v_or_b32_e32 v65, 0x8400, v63
	v_cmp_gt_u32_e64 s4, 8, v1
	v_add_nc_u32_e32 v66, 0x8400, v44
	v_cmp_lt_u32_e64 s5, 31, v1
	v_add_nc_u32_e32 v68, 0x83fc, v63
	v_bfe_u32 v69, v0, 20, 10
	v_bfe_u32 v0, v0, 10, 10
	v_cmp_eq_u32_e64 s6, 0, v1
	v_cmp_ne_u32_e64 s7, 0xff, v1
	s_wait_alu 0xf1ff
	v_add_co_ci_u32_e64 v83, null, s37, 0, s8
	v_and_b32_e32 v85, 15, v81
	v_bfe_i32 v86, v81, 4, 1
	v_and_b32_e32 v87, 16, v81
	v_and_b32_e32 v89, 7, v81
	v_sub_co_u32 v90, s8, v81, 1
	v_or_b32_e32 v92, 32, v88
	v_or_b32_e32 v93, 64, v88
	;; [unrolled: 1-line block ×15, first 2 shown]
	v_lshlrev_b32_e32 v108, 2, v1
	s_wait_alu 0xfffd
	v_add_co_ci_u32_e64 v112, null, 0, v9, vcc_lo
	s_add_nc_u64 s[34:35], s[0:1], 0x50
	s_mov_b32 s43, 0
	s_mov_b32 s31, s49
	s_branch .LBB1463_17
.LBB1463_15:                            ;   in Loop: Header=BB1463_17 Depth=1
	s_wait_loadcnt_dscnt 0x0
	s_barrier_signal -1
	s_barrier_wait -1
.LBB1463_16:                            ;   in Loop: Header=BB1463_17 Depth=1
	s_add_co_i32 s31, s31, 8
	global_inv scope:SCOPE_SE
	s_wait_alu 0xfffe
	s_cmp_ge_u32 s31, s50
	s_cbranch_scc1 .LBB1463_1187
.LBB1463_17:                            ; =>This Loop Header: Depth=1
                                        ;     Child Loop BB1463_21 Depth 2
                                        ;     Child Loop BB1463_101 Depth 2
	;; [unrolled: 1-line block ×8, first 2 shown]
	s_wait_alu 0xfffe
	s_sub_co_i32 s0, s50, s31
	s_xor_b32 s52, s52, -1
	s_wait_alu 0xfffe
	s_min_u32 s0, s0, 8
	ds_store_2addr_stride64_b32 v44, v3, v3 offset1:4
	s_wait_alu 0xfffe
	s_lshl_b32 s0, -1, s0
	ds_store_2addr_stride64_b32 v44, v3, v3 offset0:8 offset1:12
	s_wait_alu 0xfffe
	s_not_b32 s48, s0
	s_cmp_lg_u32 s31, s49
	s_mov_b32 s0, -1
	s_wait_storecnt_dscnt 0x0
	s_cbranch_scc0 .LBB1463_603
; %bb.18:                               ;   in Loop: Header=BB1463_17 Depth=1
	s_and_b32 vcc_lo, exec_lo, s52
	s_wait_alu 0xfffe
	s_cbranch_vccz .LBB1463_310
; %bb.19:                               ;   in Loop: Header=BB1463_17 Depth=1
	s_mov_b32 s9, s53
	s_mov_b32 s42, s33
	s_barrier_signal -1
	s_barrier_wait -1
	global_inv scope:SCOPE_SE
                                        ; implicit-def: $vgpr2
                                        ; implicit-def: $vgpr4
                                        ; implicit-def: $vgpr5
                                        ; implicit-def: $vgpr6
                                        ; implicit-def: $vgpr7
                                        ; implicit-def: $vgpr8
                                        ; implicit-def: $vgpr9
                                        ; implicit-def: $vgpr10
                                        ; implicit-def: $vgpr11
                                        ; implicit-def: $vgpr12
                                        ; implicit-def: $vgpr13
                                        ; implicit-def: $vgpr14
                                        ; implicit-def: $vgpr15
                                        ; implicit-def: $vgpr16
                                        ; implicit-def: $vgpr17
                                        ; implicit-def: $vgpr18
	s_branch .LBB1463_21
.LBB1463_20:                            ;   in Loop: Header=BB1463_21 Depth=2
	s_wait_alu 0xfffe
	s_or_b32 exec_lo, exec_lo, s0
	s_addk_co_i32 s9, 0xf000
	s_cmp_ge_u32 s10, s51
	s_mov_b32 s42, s10
	s_cbranch_scc1 .LBB1463_89
.LBB1463_21:                            ;   Parent Loop BB1463_17 Depth=1
                                        ; =>  This Inner Loop Header: Depth=2
	s_wait_alu 0xfffe
	s_add_co_i32 s10, s42, 0x1000
	s_mov_b32 s0, -1
	s_wait_alu 0xfffe
	s_cmp_gt_u32 s10, s51
                                        ; implicit-def: $vgpr19
                                        ; implicit-def: $vgpr20
                                        ; implicit-def: $vgpr21
                                        ; implicit-def: $vgpr22
                                        ; implicit-def: $vgpr23
                                        ; implicit-def: $vgpr24
                                        ; implicit-def: $vgpr25
                                        ; implicit-def: $vgpr26
                                        ; implicit-def: $vgpr27
                                        ; implicit-def: $vgpr28
                                        ; implicit-def: $vgpr29
                                        ; implicit-def: $vgpr30
                                        ; implicit-def: $vgpr31
                                        ; implicit-def: $vgpr32
                                        ; implicit-def: $vgpr33
                                        ; implicit-def: $vgpr34
	s_cbranch_scc1 .LBB1463_23
; %bb.22:                               ;   in Loop: Header=BB1463_21 Depth=2
	s_lshl_b64 s[0:1], s[42:43], 2
	s_wait_alu 0xfffe
	v_add_co_u32 v34, vcc_lo, v48, s0
	s_wait_alu 0xfffd
	v_add_co_ci_u32_e64 v35, null, s1, v49, vcc_lo
	s_mov_b32 s0, 0
	s_clause 0xf
	global_load_b32 v19, v[34:35], off
	global_load_b32 v20, v[34:35], off offset:1024
	global_load_b32 v21, v[34:35], off offset:2048
	;; [unrolled: 1-line block ×15, first 2 shown]
.LBB1463_23:                            ;   in Loop: Header=BB1463_21 Depth=2
	s_wait_alu 0xfffe
	s_and_not1_b32 vcc_lo, exec_lo, s0
	s_movk_i32 s0, 0x1000
	s_wait_alu 0xfffe
	s_cbranch_vccnz .LBB1463_42
; %bb.24:                               ;   in Loop: Header=BB1463_21 Depth=2
	s_lshl_b64 s[0:1], s[42:43], 2
	s_mov_b32 s11, exec_lo
	s_wait_alu 0xfffe
	s_add_nc_u64 s[0:1], s[40:41], s[0:1]
	v_cmpx_gt_u32_e64 s9, v1
	s_cbranch_execnz .LBB1463_74
; %bb.25:                               ;   in Loop: Header=BB1463_21 Depth=2
	s_or_b32 exec_lo, exec_lo, s11
	s_delay_alu instid0(SALU_CYCLE_1)
	s_mov_b32 s11, exec_lo
	v_cmpx_gt_u32_e64 s9, v45
	s_cbranch_execnz .LBB1463_75
.LBB1463_26:                            ;   in Loop: Header=BB1463_21 Depth=2
	s_wait_alu 0xfffe
	s_or_b32 exec_lo, exec_lo, s11
	s_delay_alu instid0(SALU_CYCLE_1)
	s_mov_b32 s11, exec_lo
	v_cmpx_gt_u32_e64 s9, v46
	s_cbranch_execnz .LBB1463_76
.LBB1463_27:                            ;   in Loop: Header=BB1463_21 Depth=2
	s_wait_alu 0xfffe
	s_or_b32 exec_lo, exec_lo, s11
	s_delay_alu instid0(SALU_CYCLE_1)
	s_mov_b32 s11, exec_lo
	v_cmpx_gt_u32_e64 s9, v47
	s_cbranch_execnz .LBB1463_77
.LBB1463_28:                            ;   in Loop: Header=BB1463_21 Depth=2
	s_wait_alu 0xfffe
	s_or_b32 exec_lo, exec_lo, s11
	s_delay_alu instid0(SALU_CYCLE_1)
	s_mov_b32 s11, exec_lo
	v_cmpx_gt_u32_e64 s9, v50
	s_cbranch_execnz .LBB1463_78
.LBB1463_29:                            ;   in Loop: Header=BB1463_21 Depth=2
	s_wait_alu 0xfffe
	s_or_b32 exec_lo, exec_lo, s11
	s_delay_alu instid0(SALU_CYCLE_1)
	s_mov_b32 s11, exec_lo
	v_cmpx_gt_u32_e64 s9, v51
	s_cbranch_execnz .LBB1463_79
.LBB1463_30:                            ;   in Loop: Header=BB1463_21 Depth=2
	s_wait_alu 0xfffe
	s_or_b32 exec_lo, exec_lo, s11
	s_delay_alu instid0(SALU_CYCLE_1)
	s_mov_b32 s11, exec_lo
	v_cmpx_gt_u32_e64 s9, v52
	s_cbranch_execnz .LBB1463_80
.LBB1463_31:                            ;   in Loop: Header=BB1463_21 Depth=2
	s_wait_alu 0xfffe
	s_or_b32 exec_lo, exec_lo, s11
	s_delay_alu instid0(SALU_CYCLE_1)
	s_mov_b32 s11, exec_lo
	v_cmpx_gt_u32_e64 s9, v53
	s_cbranch_execnz .LBB1463_81
.LBB1463_32:                            ;   in Loop: Header=BB1463_21 Depth=2
	s_wait_alu 0xfffe
	s_or_b32 exec_lo, exec_lo, s11
	s_delay_alu instid0(SALU_CYCLE_1)
	s_mov_b32 s11, exec_lo
	v_cmpx_gt_u32_e64 s9, v54
	s_cbranch_execnz .LBB1463_82
.LBB1463_33:                            ;   in Loop: Header=BB1463_21 Depth=2
	s_wait_alu 0xfffe
	s_or_b32 exec_lo, exec_lo, s11
	s_delay_alu instid0(SALU_CYCLE_1)
	s_mov_b32 s11, exec_lo
	v_cmpx_gt_u32_e64 s9, v55
	s_cbranch_execnz .LBB1463_83
.LBB1463_34:                            ;   in Loop: Header=BB1463_21 Depth=2
	s_wait_alu 0xfffe
	s_or_b32 exec_lo, exec_lo, s11
	s_delay_alu instid0(SALU_CYCLE_1)
	s_mov_b32 s11, exec_lo
	v_cmpx_gt_u32_e64 s9, v56
	s_cbranch_execnz .LBB1463_84
.LBB1463_35:                            ;   in Loop: Header=BB1463_21 Depth=2
	s_wait_alu 0xfffe
	s_or_b32 exec_lo, exec_lo, s11
	s_delay_alu instid0(SALU_CYCLE_1)
	s_mov_b32 s11, exec_lo
	v_cmpx_gt_u32_e64 s9, v57
	s_cbranch_execnz .LBB1463_85
.LBB1463_36:                            ;   in Loop: Header=BB1463_21 Depth=2
	s_wait_alu 0xfffe
	s_or_b32 exec_lo, exec_lo, s11
	s_delay_alu instid0(SALU_CYCLE_1)
	s_mov_b32 s11, exec_lo
	v_cmpx_gt_u32_e64 s9, v58
	s_cbranch_execnz .LBB1463_86
.LBB1463_37:                            ;   in Loop: Header=BB1463_21 Depth=2
	s_wait_alu 0xfffe
	s_or_b32 exec_lo, exec_lo, s11
	s_delay_alu instid0(SALU_CYCLE_1)
	s_mov_b32 s11, exec_lo
	v_cmpx_gt_u32_e64 s9, v59
	s_cbranch_execnz .LBB1463_87
.LBB1463_38:                            ;   in Loop: Header=BB1463_21 Depth=2
	s_wait_alu 0xfffe
	s_or_b32 exec_lo, exec_lo, s11
	s_delay_alu instid0(SALU_CYCLE_1)
	s_mov_b32 s11, exec_lo
	v_cmpx_gt_u32_e64 s9, v60
	s_cbranch_execnz .LBB1463_88
.LBB1463_39:                            ;   in Loop: Header=BB1463_21 Depth=2
	s_wait_alu 0xfffe
	s_or_b32 exec_lo, exec_lo, s11
	s_delay_alu instid0(SALU_CYCLE_1)
	s_mov_b32 s11, exec_lo
	v_cmpx_gt_u32_e64 s9, v61
	s_cbranch_execz .LBB1463_41
.LBB1463_40:                            ;   in Loop: Header=BB1463_21 Depth=2
	global_load_b32 v2, v108, s[0:1] offset:15360
.LBB1463_41:                            ;   in Loop: Header=BB1463_21 Depth=2
	s_wait_alu 0xfffe
	s_or_b32 exec_lo, exec_lo, s11
	s_wait_loadcnt 0x0
	v_dual_mov_b32 v19, v18 :: v_dual_mov_b32 v20, v17
	v_dual_mov_b32 v21, v16 :: v_dual_mov_b32 v22, v15
	;; [unrolled: 1-line block ×8, first 2 shown]
	s_mov_b32 s0, s9
.LBB1463_42:                            ;   in Loop: Header=BB1463_21 Depth=2
	s_wait_loadcnt 0x0
	s_delay_alu instid0(VALU_DEP_1) | instskip(NEXT) | instid1(VALU_DEP_2)
	v_dual_mov_b32 v2, v34 :: v_dual_mov_b32 v5, v32
	v_dual_mov_b32 v4, v33 :: v_dual_mov_b32 v7, v30
	;; [unrolled: 1-line block ×7, first 2 shown]
	v_mov_b32_e32 v16, v21
	v_mov_b32_e32 v18, v19
	s_mov_b32 s1, exec_lo
	s_wait_alu 0xfffe
	v_cmpx_gt_u32_e64 s0, v1
	s_cbranch_execnz .LBB1463_58
; %bb.43:                               ;   in Loop: Header=BB1463_21 Depth=2
	s_or_b32 exec_lo, exec_lo, s1
	s_delay_alu instid0(SALU_CYCLE_1)
	s_mov_b32 s1, exec_lo
	v_cmpx_gt_u32_e64 s0, v45
	s_cbranch_execnz .LBB1463_59
.LBB1463_44:                            ;   in Loop: Header=BB1463_21 Depth=2
	s_wait_alu 0xfffe
	s_or_b32 exec_lo, exec_lo, s1
	s_delay_alu instid0(SALU_CYCLE_1)
	s_mov_b32 s1, exec_lo
	v_cmpx_gt_u32_e64 s0, v46
	s_cbranch_execnz .LBB1463_60
.LBB1463_45:                            ;   in Loop: Header=BB1463_21 Depth=2
	s_wait_alu 0xfffe
	s_or_b32 exec_lo, exec_lo, s1
	s_delay_alu instid0(SALU_CYCLE_1)
	s_mov_b32 s1, exec_lo
	v_cmpx_gt_u32_e64 s0, v47
	s_cbranch_execnz .LBB1463_61
.LBB1463_46:                            ;   in Loop: Header=BB1463_21 Depth=2
	s_wait_alu 0xfffe
	s_or_b32 exec_lo, exec_lo, s1
	s_delay_alu instid0(SALU_CYCLE_1)
	s_mov_b32 s1, exec_lo
	v_cmpx_gt_u32_e64 s0, v50
	s_cbranch_execnz .LBB1463_62
.LBB1463_47:                            ;   in Loop: Header=BB1463_21 Depth=2
	s_wait_alu 0xfffe
	s_or_b32 exec_lo, exec_lo, s1
	s_delay_alu instid0(SALU_CYCLE_1)
	s_mov_b32 s1, exec_lo
	v_cmpx_gt_u32_e64 s0, v51
	s_cbranch_execnz .LBB1463_63
.LBB1463_48:                            ;   in Loop: Header=BB1463_21 Depth=2
	s_wait_alu 0xfffe
	s_or_b32 exec_lo, exec_lo, s1
	s_delay_alu instid0(SALU_CYCLE_1)
	s_mov_b32 s1, exec_lo
	v_cmpx_gt_u32_e64 s0, v52
	s_cbranch_execnz .LBB1463_64
.LBB1463_49:                            ;   in Loop: Header=BB1463_21 Depth=2
	s_wait_alu 0xfffe
	s_or_b32 exec_lo, exec_lo, s1
	s_delay_alu instid0(SALU_CYCLE_1)
	s_mov_b32 s1, exec_lo
	v_cmpx_gt_u32_e64 s0, v53
	s_cbranch_execnz .LBB1463_65
.LBB1463_50:                            ;   in Loop: Header=BB1463_21 Depth=2
	s_wait_alu 0xfffe
	s_or_b32 exec_lo, exec_lo, s1
	s_delay_alu instid0(SALU_CYCLE_1)
	s_mov_b32 s1, exec_lo
	v_cmpx_gt_u32_e64 s0, v54
	s_cbranch_execnz .LBB1463_66
.LBB1463_51:                            ;   in Loop: Header=BB1463_21 Depth=2
	s_wait_alu 0xfffe
	s_or_b32 exec_lo, exec_lo, s1
	s_delay_alu instid0(SALU_CYCLE_1)
	s_mov_b32 s1, exec_lo
	v_cmpx_gt_u32_e64 s0, v55
	s_cbranch_execnz .LBB1463_67
.LBB1463_52:                            ;   in Loop: Header=BB1463_21 Depth=2
	s_wait_alu 0xfffe
	s_or_b32 exec_lo, exec_lo, s1
	s_delay_alu instid0(SALU_CYCLE_1)
	s_mov_b32 s1, exec_lo
	v_cmpx_gt_u32_e64 s0, v56
	s_cbranch_execnz .LBB1463_68
.LBB1463_53:                            ;   in Loop: Header=BB1463_21 Depth=2
	s_wait_alu 0xfffe
	s_or_b32 exec_lo, exec_lo, s1
	s_delay_alu instid0(SALU_CYCLE_1)
	s_mov_b32 s1, exec_lo
	v_cmpx_gt_u32_e64 s0, v57
	s_cbranch_execnz .LBB1463_69
.LBB1463_54:                            ;   in Loop: Header=BB1463_21 Depth=2
	s_wait_alu 0xfffe
	s_or_b32 exec_lo, exec_lo, s1
	s_delay_alu instid0(SALU_CYCLE_1)
	s_mov_b32 s1, exec_lo
	v_cmpx_gt_u32_e64 s0, v58
	s_cbranch_execnz .LBB1463_70
.LBB1463_55:                            ;   in Loop: Header=BB1463_21 Depth=2
	s_wait_alu 0xfffe
	s_or_b32 exec_lo, exec_lo, s1
	s_delay_alu instid0(SALU_CYCLE_1)
	s_mov_b32 s1, exec_lo
	v_cmpx_gt_u32_e64 s0, v59
	s_cbranch_execnz .LBB1463_71
.LBB1463_56:                            ;   in Loop: Header=BB1463_21 Depth=2
	s_wait_alu 0xfffe
	s_or_b32 exec_lo, exec_lo, s1
	s_delay_alu instid0(SALU_CYCLE_1)
	s_mov_b32 s1, exec_lo
	v_cmpx_gt_u32_e64 s0, v60
	s_cbranch_execnz .LBB1463_72
.LBB1463_57:                            ;   in Loop: Header=BB1463_21 Depth=2
	s_wait_alu 0xfffe
	s_or_b32 exec_lo, exec_lo, s1
	v_cmp_gt_u32_e32 vcc_lo, s0, v61
	s_and_saveexec_b32 s0, vcc_lo
	s_cbranch_execz .LBB1463_20
	s_branch .LBB1463_73
.LBB1463_58:                            ;   in Loop: Header=BB1463_21 Depth=2
	v_cmp_lt_i32_e32 vcc_lo, -1, v18
	s_wait_alu 0xfffd
	v_cndmask_b32_e64 v19, -1, 0x80000000, vcc_lo
	s_delay_alu instid0(VALU_DEP_1) | instskip(NEXT) | instid1(VALU_DEP_1)
	v_xor_b32_e32 v19, v19, v18
	v_cmp_ne_u32_e32 vcc_lo, 0x7fffffff, v19
	s_wait_alu 0xfffd
	v_cndmask_b32_e32 v19, 0x80000000, v19, vcc_lo
	s_delay_alu instid0(VALU_DEP_1) | instskip(NEXT) | instid1(VALU_DEP_1)
	v_lshrrev_b32_e32 v19, s31, v19
	v_and_b32_e32 v19, s48, v19
	s_delay_alu instid0(VALU_DEP_1) | instskip(SKIP_2) | instid1(SALU_CYCLE_1)
	v_lshl_or_b32 v19, v19, 4, v62
	ds_add_u32 v19, v84
	s_or_b32 exec_lo, exec_lo, s1
	s_mov_b32 s1, exec_lo
	v_cmpx_gt_u32_e64 s0, v45
	s_cbranch_execz .LBB1463_44
.LBB1463_59:                            ;   in Loop: Header=BB1463_21 Depth=2
	v_cmp_lt_i32_e32 vcc_lo, -1, v17
	s_wait_alu 0xfffd
	v_cndmask_b32_e64 v19, -1, 0x80000000, vcc_lo
	s_delay_alu instid0(VALU_DEP_1) | instskip(NEXT) | instid1(VALU_DEP_1)
	v_xor_b32_e32 v19, v19, v17
	v_cmp_ne_u32_e32 vcc_lo, 0x7fffffff, v19
	s_wait_alu 0xfffd
	v_cndmask_b32_e32 v19, 0x80000000, v19, vcc_lo
	s_delay_alu instid0(VALU_DEP_1) | instskip(NEXT) | instid1(VALU_DEP_1)
	v_lshrrev_b32_e32 v19, s31, v19
	v_and_b32_e32 v19, s48, v19
	s_delay_alu instid0(VALU_DEP_1) | instskip(SKIP_3) | instid1(SALU_CYCLE_1)
	v_lshl_or_b32 v19, v19, 4, v62
	ds_add_u32 v19, v84
	s_wait_alu 0xfffe
	s_or_b32 exec_lo, exec_lo, s1
	s_mov_b32 s1, exec_lo
	v_cmpx_gt_u32_e64 s0, v46
	s_cbranch_execz .LBB1463_45
.LBB1463_60:                            ;   in Loop: Header=BB1463_21 Depth=2
	v_cmp_lt_i32_e32 vcc_lo, -1, v16
	s_wait_alu 0xfffd
	v_cndmask_b32_e64 v19, -1, 0x80000000, vcc_lo
	s_delay_alu instid0(VALU_DEP_1) | instskip(NEXT) | instid1(VALU_DEP_1)
	v_xor_b32_e32 v19, v19, v16
	v_cmp_ne_u32_e32 vcc_lo, 0x7fffffff, v19
	s_wait_alu 0xfffd
	v_cndmask_b32_e32 v19, 0x80000000, v19, vcc_lo
	s_delay_alu instid0(VALU_DEP_1) | instskip(NEXT) | instid1(VALU_DEP_1)
	v_lshrrev_b32_e32 v19, s31, v19
	v_and_b32_e32 v19, s48, v19
	s_delay_alu instid0(VALU_DEP_1) | instskip(SKIP_3) | instid1(SALU_CYCLE_1)
	v_lshl_or_b32 v19, v19, 4, v62
	ds_add_u32 v19, v84
	s_wait_alu 0xfffe
	s_or_b32 exec_lo, exec_lo, s1
	s_mov_b32 s1, exec_lo
	v_cmpx_gt_u32_e64 s0, v47
	s_cbranch_execz .LBB1463_46
.LBB1463_61:                            ;   in Loop: Header=BB1463_21 Depth=2
	v_cmp_lt_i32_e32 vcc_lo, -1, v15
	s_wait_alu 0xfffd
	v_cndmask_b32_e64 v19, -1, 0x80000000, vcc_lo
	s_delay_alu instid0(VALU_DEP_1) | instskip(NEXT) | instid1(VALU_DEP_1)
	v_xor_b32_e32 v19, v19, v15
	v_cmp_ne_u32_e32 vcc_lo, 0x7fffffff, v19
	s_wait_alu 0xfffd
	v_cndmask_b32_e32 v19, 0x80000000, v19, vcc_lo
	s_delay_alu instid0(VALU_DEP_1) | instskip(NEXT) | instid1(VALU_DEP_1)
	v_lshrrev_b32_e32 v19, s31, v19
	v_and_b32_e32 v19, s48, v19
	s_delay_alu instid0(VALU_DEP_1) | instskip(SKIP_3) | instid1(SALU_CYCLE_1)
	v_lshl_or_b32 v19, v19, 4, v62
	ds_add_u32 v19, v84
	s_wait_alu 0xfffe
	s_or_b32 exec_lo, exec_lo, s1
	s_mov_b32 s1, exec_lo
	v_cmpx_gt_u32_e64 s0, v50
	s_cbranch_execz .LBB1463_47
.LBB1463_62:                            ;   in Loop: Header=BB1463_21 Depth=2
	v_cmp_lt_i32_e32 vcc_lo, -1, v14
	s_wait_alu 0xfffd
	v_cndmask_b32_e64 v19, -1, 0x80000000, vcc_lo
	s_delay_alu instid0(VALU_DEP_1) | instskip(NEXT) | instid1(VALU_DEP_1)
	v_xor_b32_e32 v19, v19, v14
	v_cmp_ne_u32_e32 vcc_lo, 0x7fffffff, v19
	s_wait_alu 0xfffd
	v_cndmask_b32_e32 v19, 0x80000000, v19, vcc_lo
	s_delay_alu instid0(VALU_DEP_1) | instskip(NEXT) | instid1(VALU_DEP_1)
	v_lshrrev_b32_e32 v19, s31, v19
	v_and_b32_e32 v19, s48, v19
	s_delay_alu instid0(VALU_DEP_1) | instskip(SKIP_3) | instid1(SALU_CYCLE_1)
	v_lshl_or_b32 v19, v19, 4, v62
	ds_add_u32 v19, v84
	s_wait_alu 0xfffe
	s_or_b32 exec_lo, exec_lo, s1
	s_mov_b32 s1, exec_lo
	v_cmpx_gt_u32_e64 s0, v51
	s_cbranch_execz .LBB1463_48
.LBB1463_63:                            ;   in Loop: Header=BB1463_21 Depth=2
	v_cmp_lt_i32_e32 vcc_lo, -1, v13
	s_wait_alu 0xfffd
	v_cndmask_b32_e64 v19, -1, 0x80000000, vcc_lo
	s_delay_alu instid0(VALU_DEP_1) | instskip(NEXT) | instid1(VALU_DEP_1)
	v_xor_b32_e32 v19, v19, v13
	v_cmp_ne_u32_e32 vcc_lo, 0x7fffffff, v19
	s_wait_alu 0xfffd
	v_cndmask_b32_e32 v19, 0x80000000, v19, vcc_lo
	s_delay_alu instid0(VALU_DEP_1) | instskip(NEXT) | instid1(VALU_DEP_1)
	v_lshrrev_b32_e32 v19, s31, v19
	v_and_b32_e32 v19, s48, v19
	s_delay_alu instid0(VALU_DEP_1) | instskip(SKIP_3) | instid1(SALU_CYCLE_1)
	v_lshl_or_b32 v19, v19, 4, v62
	ds_add_u32 v19, v84
	s_wait_alu 0xfffe
	s_or_b32 exec_lo, exec_lo, s1
	s_mov_b32 s1, exec_lo
	v_cmpx_gt_u32_e64 s0, v52
	s_cbranch_execz .LBB1463_49
.LBB1463_64:                            ;   in Loop: Header=BB1463_21 Depth=2
	v_cmp_lt_i32_e32 vcc_lo, -1, v12
	s_wait_alu 0xfffd
	v_cndmask_b32_e64 v19, -1, 0x80000000, vcc_lo
	s_delay_alu instid0(VALU_DEP_1) | instskip(NEXT) | instid1(VALU_DEP_1)
	v_xor_b32_e32 v19, v19, v12
	v_cmp_ne_u32_e32 vcc_lo, 0x7fffffff, v19
	s_wait_alu 0xfffd
	v_cndmask_b32_e32 v19, 0x80000000, v19, vcc_lo
	s_delay_alu instid0(VALU_DEP_1) | instskip(NEXT) | instid1(VALU_DEP_1)
	v_lshrrev_b32_e32 v19, s31, v19
	v_and_b32_e32 v19, s48, v19
	s_delay_alu instid0(VALU_DEP_1) | instskip(SKIP_3) | instid1(SALU_CYCLE_1)
	v_lshl_or_b32 v19, v19, 4, v62
	ds_add_u32 v19, v84
	s_wait_alu 0xfffe
	s_or_b32 exec_lo, exec_lo, s1
	s_mov_b32 s1, exec_lo
	v_cmpx_gt_u32_e64 s0, v53
	s_cbranch_execz .LBB1463_50
.LBB1463_65:                            ;   in Loop: Header=BB1463_21 Depth=2
	v_cmp_lt_i32_e32 vcc_lo, -1, v11
	s_wait_alu 0xfffd
	v_cndmask_b32_e64 v19, -1, 0x80000000, vcc_lo
	s_delay_alu instid0(VALU_DEP_1) | instskip(NEXT) | instid1(VALU_DEP_1)
	v_xor_b32_e32 v19, v19, v11
	v_cmp_ne_u32_e32 vcc_lo, 0x7fffffff, v19
	s_wait_alu 0xfffd
	v_cndmask_b32_e32 v19, 0x80000000, v19, vcc_lo
	s_delay_alu instid0(VALU_DEP_1) | instskip(NEXT) | instid1(VALU_DEP_1)
	v_lshrrev_b32_e32 v19, s31, v19
	v_and_b32_e32 v19, s48, v19
	s_delay_alu instid0(VALU_DEP_1) | instskip(SKIP_3) | instid1(SALU_CYCLE_1)
	v_lshl_or_b32 v19, v19, 4, v62
	ds_add_u32 v19, v84
	s_wait_alu 0xfffe
	s_or_b32 exec_lo, exec_lo, s1
	s_mov_b32 s1, exec_lo
	v_cmpx_gt_u32_e64 s0, v54
	s_cbranch_execz .LBB1463_51
.LBB1463_66:                            ;   in Loop: Header=BB1463_21 Depth=2
	v_cmp_lt_i32_e32 vcc_lo, -1, v10
	s_wait_alu 0xfffd
	v_cndmask_b32_e64 v19, -1, 0x80000000, vcc_lo
	s_delay_alu instid0(VALU_DEP_1) | instskip(NEXT) | instid1(VALU_DEP_1)
	v_xor_b32_e32 v19, v19, v10
	v_cmp_ne_u32_e32 vcc_lo, 0x7fffffff, v19
	s_wait_alu 0xfffd
	v_cndmask_b32_e32 v19, 0x80000000, v19, vcc_lo
	s_delay_alu instid0(VALU_DEP_1) | instskip(NEXT) | instid1(VALU_DEP_1)
	v_lshrrev_b32_e32 v19, s31, v19
	v_and_b32_e32 v19, s48, v19
	s_delay_alu instid0(VALU_DEP_1) | instskip(SKIP_3) | instid1(SALU_CYCLE_1)
	v_lshl_or_b32 v19, v19, 4, v62
	ds_add_u32 v19, v84
	s_wait_alu 0xfffe
	s_or_b32 exec_lo, exec_lo, s1
	s_mov_b32 s1, exec_lo
	v_cmpx_gt_u32_e64 s0, v55
	s_cbranch_execz .LBB1463_52
.LBB1463_67:                            ;   in Loop: Header=BB1463_21 Depth=2
	v_cmp_lt_i32_e32 vcc_lo, -1, v9
	s_wait_alu 0xfffd
	v_cndmask_b32_e64 v19, -1, 0x80000000, vcc_lo
	s_delay_alu instid0(VALU_DEP_1) | instskip(NEXT) | instid1(VALU_DEP_1)
	v_xor_b32_e32 v19, v19, v9
	v_cmp_ne_u32_e32 vcc_lo, 0x7fffffff, v19
	s_wait_alu 0xfffd
	v_cndmask_b32_e32 v19, 0x80000000, v19, vcc_lo
	s_delay_alu instid0(VALU_DEP_1) | instskip(NEXT) | instid1(VALU_DEP_1)
	v_lshrrev_b32_e32 v19, s31, v19
	v_and_b32_e32 v19, s48, v19
	s_delay_alu instid0(VALU_DEP_1) | instskip(SKIP_3) | instid1(SALU_CYCLE_1)
	v_lshl_or_b32 v19, v19, 4, v62
	ds_add_u32 v19, v84
	s_wait_alu 0xfffe
	s_or_b32 exec_lo, exec_lo, s1
	s_mov_b32 s1, exec_lo
	v_cmpx_gt_u32_e64 s0, v56
	s_cbranch_execz .LBB1463_53
.LBB1463_68:                            ;   in Loop: Header=BB1463_21 Depth=2
	v_cmp_lt_i32_e32 vcc_lo, -1, v8
	s_wait_alu 0xfffd
	v_cndmask_b32_e64 v19, -1, 0x80000000, vcc_lo
	s_delay_alu instid0(VALU_DEP_1) | instskip(NEXT) | instid1(VALU_DEP_1)
	v_xor_b32_e32 v19, v19, v8
	v_cmp_ne_u32_e32 vcc_lo, 0x7fffffff, v19
	s_wait_alu 0xfffd
	v_cndmask_b32_e32 v19, 0x80000000, v19, vcc_lo
	s_delay_alu instid0(VALU_DEP_1) | instskip(NEXT) | instid1(VALU_DEP_1)
	v_lshrrev_b32_e32 v19, s31, v19
	v_and_b32_e32 v19, s48, v19
	s_delay_alu instid0(VALU_DEP_1) | instskip(SKIP_3) | instid1(SALU_CYCLE_1)
	v_lshl_or_b32 v19, v19, 4, v62
	ds_add_u32 v19, v84
	s_wait_alu 0xfffe
	s_or_b32 exec_lo, exec_lo, s1
	s_mov_b32 s1, exec_lo
	v_cmpx_gt_u32_e64 s0, v57
	s_cbranch_execz .LBB1463_54
.LBB1463_69:                            ;   in Loop: Header=BB1463_21 Depth=2
	v_cmp_lt_i32_e32 vcc_lo, -1, v7
	s_wait_alu 0xfffd
	v_cndmask_b32_e64 v19, -1, 0x80000000, vcc_lo
	s_delay_alu instid0(VALU_DEP_1) | instskip(NEXT) | instid1(VALU_DEP_1)
	v_xor_b32_e32 v19, v19, v7
	v_cmp_ne_u32_e32 vcc_lo, 0x7fffffff, v19
	s_wait_alu 0xfffd
	v_cndmask_b32_e32 v19, 0x80000000, v19, vcc_lo
	s_delay_alu instid0(VALU_DEP_1) | instskip(NEXT) | instid1(VALU_DEP_1)
	v_lshrrev_b32_e32 v19, s31, v19
	v_and_b32_e32 v19, s48, v19
	s_delay_alu instid0(VALU_DEP_1) | instskip(SKIP_3) | instid1(SALU_CYCLE_1)
	v_lshl_or_b32 v19, v19, 4, v62
	ds_add_u32 v19, v84
	s_wait_alu 0xfffe
	s_or_b32 exec_lo, exec_lo, s1
	s_mov_b32 s1, exec_lo
	v_cmpx_gt_u32_e64 s0, v58
	s_cbranch_execz .LBB1463_55
.LBB1463_70:                            ;   in Loop: Header=BB1463_21 Depth=2
	v_cmp_lt_i32_e32 vcc_lo, -1, v6
	s_wait_alu 0xfffd
	v_cndmask_b32_e64 v19, -1, 0x80000000, vcc_lo
	s_delay_alu instid0(VALU_DEP_1) | instskip(NEXT) | instid1(VALU_DEP_1)
	v_xor_b32_e32 v19, v19, v6
	v_cmp_ne_u32_e32 vcc_lo, 0x7fffffff, v19
	s_wait_alu 0xfffd
	v_cndmask_b32_e32 v19, 0x80000000, v19, vcc_lo
	s_delay_alu instid0(VALU_DEP_1) | instskip(NEXT) | instid1(VALU_DEP_1)
	v_lshrrev_b32_e32 v19, s31, v19
	v_and_b32_e32 v19, s48, v19
	s_delay_alu instid0(VALU_DEP_1) | instskip(SKIP_3) | instid1(SALU_CYCLE_1)
	v_lshl_or_b32 v19, v19, 4, v62
	ds_add_u32 v19, v84
	s_wait_alu 0xfffe
	s_or_b32 exec_lo, exec_lo, s1
	s_mov_b32 s1, exec_lo
	v_cmpx_gt_u32_e64 s0, v59
	s_cbranch_execz .LBB1463_56
.LBB1463_71:                            ;   in Loop: Header=BB1463_21 Depth=2
	v_cmp_lt_i32_e32 vcc_lo, -1, v5
	s_wait_alu 0xfffd
	v_cndmask_b32_e64 v19, -1, 0x80000000, vcc_lo
	s_delay_alu instid0(VALU_DEP_1) | instskip(NEXT) | instid1(VALU_DEP_1)
	v_xor_b32_e32 v19, v19, v5
	v_cmp_ne_u32_e32 vcc_lo, 0x7fffffff, v19
	s_wait_alu 0xfffd
	v_cndmask_b32_e32 v19, 0x80000000, v19, vcc_lo
	s_delay_alu instid0(VALU_DEP_1) | instskip(NEXT) | instid1(VALU_DEP_1)
	v_lshrrev_b32_e32 v19, s31, v19
	v_and_b32_e32 v19, s48, v19
	s_delay_alu instid0(VALU_DEP_1) | instskip(SKIP_3) | instid1(SALU_CYCLE_1)
	v_lshl_or_b32 v19, v19, 4, v62
	ds_add_u32 v19, v84
	s_wait_alu 0xfffe
	s_or_b32 exec_lo, exec_lo, s1
	s_mov_b32 s1, exec_lo
	v_cmpx_gt_u32_e64 s0, v60
	s_cbranch_execz .LBB1463_57
.LBB1463_72:                            ;   in Loop: Header=BB1463_21 Depth=2
	v_cmp_lt_i32_e32 vcc_lo, -1, v4
	s_wait_alu 0xfffd
	v_cndmask_b32_e64 v19, -1, 0x80000000, vcc_lo
	s_delay_alu instid0(VALU_DEP_1) | instskip(NEXT) | instid1(VALU_DEP_1)
	v_xor_b32_e32 v19, v19, v4
	v_cmp_ne_u32_e32 vcc_lo, 0x7fffffff, v19
	s_wait_alu 0xfffd
	v_cndmask_b32_e32 v19, 0x80000000, v19, vcc_lo
	s_delay_alu instid0(VALU_DEP_1) | instskip(NEXT) | instid1(VALU_DEP_1)
	v_lshrrev_b32_e32 v19, s31, v19
	v_and_b32_e32 v19, s48, v19
	s_delay_alu instid0(VALU_DEP_1)
	v_lshl_or_b32 v19, v19, 4, v62
	ds_add_u32 v19, v84
	s_wait_alu 0xfffe
	s_or_b32 exec_lo, exec_lo, s1
	v_cmp_gt_u32_e32 vcc_lo, s0, v61
	s_and_saveexec_b32 s0, vcc_lo
	s_cbranch_execz .LBB1463_20
.LBB1463_73:                            ;   in Loop: Header=BB1463_21 Depth=2
	v_cmp_lt_i32_e32 vcc_lo, -1, v2
	s_wait_alu 0xfffd
	v_cndmask_b32_e64 v19, -1, 0x80000000, vcc_lo
	s_delay_alu instid0(VALU_DEP_1) | instskip(NEXT) | instid1(VALU_DEP_1)
	v_xor_b32_e32 v19, v19, v2
	v_cmp_ne_u32_e32 vcc_lo, 0x7fffffff, v19
	s_wait_alu 0xfffd
	v_cndmask_b32_e32 v19, 0x80000000, v19, vcc_lo
	s_delay_alu instid0(VALU_DEP_1) | instskip(NEXT) | instid1(VALU_DEP_1)
	v_lshrrev_b32_e32 v19, s31, v19
	v_and_b32_e32 v19, s48, v19
	s_delay_alu instid0(VALU_DEP_1)
	v_lshl_or_b32 v19, v19, 4, v62
	ds_add_u32 v19, v84
	s_branch .LBB1463_20
.LBB1463_74:                            ;   in Loop: Header=BB1463_21 Depth=2
	global_load_b32 v18, v108, s[0:1]
	s_or_b32 exec_lo, exec_lo, s11
	s_delay_alu instid0(SALU_CYCLE_1)
	s_mov_b32 s11, exec_lo
	v_cmpx_gt_u32_e64 s9, v45
	s_cbranch_execz .LBB1463_26
.LBB1463_75:                            ;   in Loop: Header=BB1463_21 Depth=2
	global_load_b32 v17, v108, s[0:1] offset:1024
	s_wait_alu 0xfffe
	s_or_b32 exec_lo, exec_lo, s11
	s_delay_alu instid0(SALU_CYCLE_1)
	s_mov_b32 s11, exec_lo
	v_cmpx_gt_u32_e64 s9, v46
	s_cbranch_execz .LBB1463_27
.LBB1463_76:                            ;   in Loop: Header=BB1463_21 Depth=2
	global_load_b32 v16, v108, s[0:1] offset:2048
	s_wait_alu 0xfffe
	s_or_b32 exec_lo, exec_lo, s11
	s_delay_alu instid0(SALU_CYCLE_1)
	s_mov_b32 s11, exec_lo
	v_cmpx_gt_u32_e64 s9, v47
	s_cbranch_execz .LBB1463_28
.LBB1463_77:                            ;   in Loop: Header=BB1463_21 Depth=2
	global_load_b32 v15, v108, s[0:1] offset:3072
	s_wait_alu 0xfffe
	s_or_b32 exec_lo, exec_lo, s11
	s_delay_alu instid0(SALU_CYCLE_1)
	s_mov_b32 s11, exec_lo
	v_cmpx_gt_u32_e64 s9, v50
	s_cbranch_execz .LBB1463_29
.LBB1463_78:                            ;   in Loop: Header=BB1463_21 Depth=2
	global_load_b32 v14, v108, s[0:1] offset:4096
	s_wait_alu 0xfffe
	s_or_b32 exec_lo, exec_lo, s11
	s_delay_alu instid0(SALU_CYCLE_1)
	s_mov_b32 s11, exec_lo
	v_cmpx_gt_u32_e64 s9, v51
	s_cbranch_execz .LBB1463_30
.LBB1463_79:                            ;   in Loop: Header=BB1463_21 Depth=2
	global_load_b32 v13, v108, s[0:1] offset:5120
	s_wait_alu 0xfffe
	s_or_b32 exec_lo, exec_lo, s11
	s_delay_alu instid0(SALU_CYCLE_1)
	s_mov_b32 s11, exec_lo
	v_cmpx_gt_u32_e64 s9, v52
	s_cbranch_execz .LBB1463_31
.LBB1463_80:                            ;   in Loop: Header=BB1463_21 Depth=2
	global_load_b32 v12, v108, s[0:1] offset:6144
	s_wait_alu 0xfffe
	s_or_b32 exec_lo, exec_lo, s11
	s_delay_alu instid0(SALU_CYCLE_1)
	s_mov_b32 s11, exec_lo
	v_cmpx_gt_u32_e64 s9, v53
	s_cbranch_execz .LBB1463_32
.LBB1463_81:                            ;   in Loop: Header=BB1463_21 Depth=2
	global_load_b32 v11, v108, s[0:1] offset:7168
	s_wait_alu 0xfffe
	s_or_b32 exec_lo, exec_lo, s11
	s_delay_alu instid0(SALU_CYCLE_1)
	s_mov_b32 s11, exec_lo
	v_cmpx_gt_u32_e64 s9, v54
	s_cbranch_execz .LBB1463_33
.LBB1463_82:                            ;   in Loop: Header=BB1463_21 Depth=2
	global_load_b32 v10, v108, s[0:1] offset:8192
	s_wait_alu 0xfffe
	s_or_b32 exec_lo, exec_lo, s11
	s_delay_alu instid0(SALU_CYCLE_1)
	s_mov_b32 s11, exec_lo
	v_cmpx_gt_u32_e64 s9, v55
	s_cbranch_execz .LBB1463_34
.LBB1463_83:                            ;   in Loop: Header=BB1463_21 Depth=2
	global_load_b32 v9, v108, s[0:1] offset:9216
	s_wait_alu 0xfffe
	s_or_b32 exec_lo, exec_lo, s11
	s_delay_alu instid0(SALU_CYCLE_1)
	s_mov_b32 s11, exec_lo
	v_cmpx_gt_u32_e64 s9, v56
	s_cbranch_execz .LBB1463_35
.LBB1463_84:                            ;   in Loop: Header=BB1463_21 Depth=2
	global_load_b32 v8, v108, s[0:1] offset:10240
	s_wait_alu 0xfffe
	s_or_b32 exec_lo, exec_lo, s11
	s_delay_alu instid0(SALU_CYCLE_1)
	s_mov_b32 s11, exec_lo
	v_cmpx_gt_u32_e64 s9, v57
	s_cbranch_execz .LBB1463_36
.LBB1463_85:                            ;   in Loop: Header=BB1463_21 Depth=2
	global_load_b32 v7, v108, s[0:1] offset:11264
	s_wait_alu 0xfffe
	s_or_b32 exec_lo, exec_lo, s11
	s_delay_alu instid0(SALU_CYCLE_1)
	s_mov_b32 s11, exec_lo
	v_cmpx_gt_u32_e64 s9, v58
	s_cbranch_execz .LBB1463_37
.LBB1463_86:                            ;   in Loop: Header=BB1463_21 Depth=2
	global_load_b32 v6, v108, s[0:1] offset:12288
	s_wait_alu 0xfffe
	s_or_b32 exec_lo, exec_lo, s11
	s_delay_alu instid0(SALU_CYCLE_1)
	s_mov_b32 s11, exec_lo
	v_cmpx_gt_u32_e64 s9, v59
	s_cbranch_execz .LBB1463_38
.LBB1463_87:                            ;   in Loop: Header=BB1463_21 Depth=2
	global_load_b32 v5, v108, s[0:1] offset:13312
	s_wait_alu 0xfffe
	s_or_b32 exec_lo, exec_lo, s11
	s_delay_alu instid0(SALU_CYCLE_1)
	s_mov_b32 s11, exec_lo
	v_cmpx_gt_u32_e64 s9, v60
	s_cbranch_execz .LBB1463_39
.LBB1463_88:                            ;   in Loop: Header=BB1463_21 Depth=2
	global_load_b32 v4, v108, s[0:1] offset:14336
	s_wait_alu 0xfffe
	s_or_b32 exec_lo, exec_lo, s11
	s_delay_alu instid0(SALU_CYCLE_1)
	s_mov_b32 s11, exec_lo
	v_cmpx_gt_u32_e64 s9, v61
	s_cbranch_execnz .LBB1463_40
	s_branch .LBB1463_41
.LBB1463_89:                            ;   in Loop: Header=BB1463_17 Depth=1
	v_mov_b32_e32 v2, 0
	s_wait_dscnt 0x0
	s_barrier_signal -1
	s_barrier_wait -1
	global_inv scope:SCOPE_SE
	s_and_saveexec_b32 s0, s2
	s_cbranch_execz .LBB1463_91
; %bb.90:                               ;   in Loop: Header=BB1463_17 Depth=1
	ds_load_2addr_b64 v[4:7], v64 offset1:1
	s_wait_dscnt 0x0
	v_add_nc_u32_e32 v2, v5, v4
	s_delay_alu instid0(VALU_DEP_1)
	v_add3_u32 v2, v2, v6, v7
.LBB1463_91:                            ;   in Loop: Header=BB1463_17 Depth=1
	s_wait_alu 0xfffe
	s_or_b32 exec_lo, exec_lo, s0
	s_delay_alu instid0(VALU_DEP_1)
	v_mov_b32_dpp v4, v2 row_shr:1 row_mask:0xf bank_mask:0xf
	v_cmp_eq_u32_e64 s0, 0, v85
	v_cmp_lt_u32_e64 s1, 1, v85
	v_cmp_lt_u32_e64 s9, 3, v85
	;; [unrolled: 1-line block ×3, first 2 shown]
	v_cmp_eq_u32_e64 s11, 0, v87
	s_wait_alu 0xf1ff
	v_cndmask_b32_e64 v4, v4, 0, s0
	s_delay_alu instid0(VALU_DEP_1) | instskip(NEXT) | instid1(VALU_DEP_1)
	v_add_nc_u32_e32 v2, v4, v2
	v_mov_b32_dpp v4, v2 row_shr:2 row_mask:0xf bank_mask:0xf
	s_delay_alu instid0(VALU_DEP_1) | instskip(NEXT) | instid1(VALU_DEP_1)
	v_cndmask_b32_e64 v4, 0, v4, s1
	v_add_nc_u32_e32 v2, v2, v4
	s_delay_alu instid0(VALU_DEP_1) | instskip(NEXT) | instid1(VALU_DEP_1)
	v_mov_b32_dpp v4, v2 row_shr:4 row_mask:0xf bank_mask:0xf
	v_cndmask_b32_e64 v4, 0, v4, s9
	s_delay_alu instid0(VALU_DEP_1) | instskip(NEXT) | instid1(VALU_DEP_1)
	v_add_nc_u32_e32 v2, v2, v4
	v_mov_b32_dpp v4, v2 row_shr:8 row_mask:0xf bank_mask:0xf
	s_delay_alu instid0(VALU_DEP_1) | instskip(NEXT) | instid1(VALU_DEP_1)
	v_cndmask_b32_e64 v4, 0, v4, s10
	v_add_nc_u32_e32 v2, v2, v4
	ds_swizzle_b32 v4, v2 offset:swizzle(BROADCAST,32,15)
	s_wait_dscnt 0x0
	v_and_b32_e32 v4, v86, v4
	s_delay_alu instid0(VALU_DEP_1)
	v_add_nc_u32_e32 v2, v2, v4
	s_and_saveexec_b32 s12, s3
; %bb.92:                               ;   in Loop: Header=BB1463_17 Depth=1
	ds_store_b32 v65, v2
; %bb.93:                               ;   in Loop: Header=BB1463_17 Depth=1
	s_wait_alu 0xfffe
	s_or_b32 exec_lo, exec_lo, s12
	s_wait_loadcnt_dscnt 0x0
	s_barrier_signal -1
	s_barrier_wait -1
	global_inv scope:SCOPE_SE
	s_and_saveexec_b32 s12, s4
	s_cbranch_execz .LBB1463_95
; %bb.94:                               ;   in Loop: Header=BB1463_17 Depth=1
	ds_load_b32 v4, v66
	v_cmp_ne_u32_e32 vcc_lo, 0, v89
	s_wait_dscnt 0x0
	v_mov_b32_dpp v5, v4 row_shr:1 row_mask:0xf bank_mask:0xf
	s_wait_alu 0xfffd
	s_delay_alu instid0(VALU_DEP_1) | instskip(SKIP_1) | instid1(VALU_DEP_2)
	v_cndmask_b32_e32 v5, 0, v5, vcc_lo
	v_cmp_lt_u32_e32 vcc_lo, 1, v89
	v_add_nc_u32_e32 v4, v5, v4
	s_delay_alu instid0(VALU_DEP_1) | instskip(SKIP_1) | instid1(VALU_DEP_1)
	v_mov_b32_dpp v5, v4 row_shr:2 row_mask:0xf bank_mask:0xf
	s_wait_alu 0xfffd
	v_cndmask_b32_e32 v5, 0, v5, vcc_lo
	v_cmp_lt_u32_e32 vcc_lo, 3, v89
	s_delay_alu instid0(VALU_DEP_2) | instskip(NEXT) | instid1(VALU_DEP_1)
	v_add_nc_u32_e32 v4, v4, v5
	v_mov_b32_dpp v5, v4 row_shr:4 row_mask:0xf bank_mask:0xf
	s_wait_alu 0xfffd
	s_delay_alu instid0(VALU_DEP_1) | instskip(NEXT) | instid1(VALU_DEP_1)
	v_cndmask_b32_e32 v5, 0, v5, vcc_lo
	v_add_nc_u32_e32 v4, v4, v5
	ds_store_b32 v66, v4
.LBB1463_95:                            ;   in Loop: Header=BB1463_17 Depth=1
	s_wait_alu 0xfffe
	s_or_b32 exec_lo, exec_lo, s12
	v_mov_b32_e32 v4, 0
	s_wait_loadcnt_dscnt 0x0
	s_barrier_signal -1
	s_barrier_wait -1
	global_inv scope:SCOPE_SE
	s_and_saveexec_b32 s12, s5
; %bb.96:                               ;   in Loop: Header=BB1463_17 Depth=1
	ds_load_b32 v4, v68
; %bb.97:                               ;   in Loop: Header=BB1463_17 Depth=1
	s_wait_alu 0xfffe
	s_or_b32 exec_lo, exec_lo, s12
	v_cmp_gt_i32_e32 vcc_lo, 0, v90
	s_wait_loadcnt_dscnt 0x0
	s_barrier_signal -1
	s_barrier_wait -1
	global_inv scope:SCOPE_SE
	s_wait_alu 0xfffd
	v_dual_cndmask_b32 v5, v90, v81 :: v_dual_add_nc_u32 v2, v4, v2
	s_delay_alu instid0(VALU_DEP_1)
	v_lshlrev_b32_e32 v113, 2, v5
	ds_bpermute_b32 v2, v113, v2
	s_and_saveexec_b32 s12, s2
	s_cbranch_execz .LBB1463_99
; %bb.98:                               ;   in Loop: Header=BB1463_17 Depth=1
	s_wait_dscnt 0x0
	v_cndmask_b32_e64 v2, v2, v4, s8
	s_delay_alu instid0(VALU_DEP_1)
	v_add_nc_u32_e32 v2, s33, v2
	ds_store_b32 v44, v2
.LBB1463_99:                            ;   in Loop: Header=BB1463_17 Depth=1
	s_wait_alu 0xfffe
	s_or_b32 exec_lo, exec_lo, s12
	s_clause 0x1
	s_load_b32 s12, s[34:35], 0x4
	s_load_b32 s14, s[34:35], 0xc
	s_mov_b32 s54, s53
                                        ; implicit-def: $vgpr6_vgpr7
                                        ; implicit-def: $vgpr8_vgpr9
                                        ; implicit-def: $vgpr10_vgpr11
                                        ; implicit-def: $vgpr12_vgpr13
                                        ; implicit-def: $vgpr14_vgpr15
                                        ; implicit-def: $vgpr16_vgpr17
                                        ; implicit-def: $vgpr18_vgpr19
                                        ; implicit-def: $vgpr20_vgpr21
                                        ; implicit-def: $vgpr22_vgpr23
                                        ; implicit-def: $vgpr24_vgpr25
                                        ; implicit-def: $vgpr26_vgpr27
                                        ; implicit-def: $vgpr28_vgpr29
                                        ; implicit-def: $vgpr30_vgpr31
                                        ; implicit-def: $vgpr32_vgpr33
                                        ; implicit-def: $vgpr34_vgpr35
                                        ; implicit-def: $vgpr115
                                        ; implicit-def: $vgpr116
                                        ; implicit-def: $vgpr117
                                        ; implicit-def: $vgpr118
                                        ; implicit-def: $vgpr119
                                        ; implicit-def: $vgpr120
                                        ; implicit-def: $vgpr121
                                        ; implicit-def: $vgpr122
                                        ; implicit-def: $vgpr123
                                        ; implicit-def: $vgpr124
                                        ; implicit-def: $vgpr125
                                        ; implicit-def: $vgpr126
                                        ; implicit-def: $vgpr127
                                        ; implicit-def: $vgpr128
                                        ; implicit-def: $vgpr129
                                        ; implicit-def: $vgpr130
	s_wait_kmcnt 0x0
	s_cmp_lt_u32 ttmp7, s12
	s_cselect_b32 s42, 14, 20
	s_wait_alu 0xfffe
	s_add_nc_u64 s[12:13], s[34:35], s[42:43]
	s_mov_b32 s42, s33
	s_load_u16 s12, s[12:13], 0x0
	v_cmp_lt_u32_e64 s13, 1, v89
	s_wait_dscnt 0x0
	s_wait_kmcnt 0x0
	v_mad_u32_u24 v2, v69, s12, v0
	s_and_b32 s12, s14, 0xffff
	v_cmp_lt_u32_e64 s14, 3, v89
	s_wait_alu 0xfffe
	s_delay_alu instid0(VALU_DEP_2) | instskip(SKIP_1) | instid1(VALU_DEP_2)
	v_mad_co_u64_u32 v[4:5], null, v2, s12, v[1:2]
	v_cmp_eq_u32_e64 s12, 0, v89
	v_lshrrev_b32_e32 v2, 3, v4
                                        ; implicit-def: $vgpr4_vgpr5
	s_delay_alu instid0(VALU_DEP_1)
	v_and_b32_e32 v114, 0x1ffffffc, v2
	s_branch .LBB1463_101
.LBB1463_100:                           ;   in Loop: Header=BB1463_101 Depth=2
	s_wait_alu 0xfffe
	s_or_b32 exec_lo, exec_lo, s15
	s_addk_co_i32 s54, 0xf000
	s_cmp_lt_u32 s55, s51
	s_mov_b32 s42, s55
	s_cbranch_scc0 .LBB1463_309
.LBB1463_101:                           ;   Parent Loop BB1463_17 Depth=1
                                        ; =>  This Inner Loop Header: Depth=2
	s_wait_alu 0xfffe
	s_add_co_i32 s55, s42, 0x1000
	s_wait_alu 0xfffe
	s_cmp_gt_u32 s55, s51
	s_cbranch_scc1 .LBB1463_103
; %bb.102:                              ;   in Loop: Header=BB1463_101 Depth=2
	s_lshl_b64 s[16:17], s[42:43], 2
	s_mov_b32 s15, -1
	s_wait_alu 0xfffe
	v_add_co_u32 v36, vcc_lo, v111, s16
	s_wait_alu 0xfffd
	v_add_co_ci_u32_e64 v37, null, s17, v112, vcc_lo
	s_clause 0xe
	global_load_b32 v2, v[36:37], off
	global_load_b32 v132, v[36:37], off offset:128
	global_load_b32 v139, v[36:37], off offset:256
	;; [unrolled: 1-line block ×14, first 2 shown]
	s_movk_i32 s16, 0x1000
	s_cbranch_execz .LBB1463_104
	s_branch .LBB1463_135
.LBB1463_103:                           ;   in Loop: Header=BB1463_101 Depth=2
	s_mov_b32 s15, 0
                                        ; implicit-def: $vgpr2
                                        ; implicit-def: $vgpr132
                                        ; implicit-def: $vgpr139
                                        ; implicit-def: $vgpr143
                                        ; implicit-def: $vgpr147
                                        ; implicit-def: $vgpr151
                                        ; implicit-def: $vgpr155
                                        ; implicit-def: $vgpr159
                                        ; implicit-def: $vgpr162
                                        ; implicit-def: $vgpr43
                                        ; implicit-def: $vgpr42
                                        ; implicit-def: $vgpr41
                                        ; implicit-def: $vgpr40
                                        ; implicit-def: $vgpr39
                                        ; implicit-def: $vgpr38
	s_movk_i32 s16, 0x1000
.LBB1463_104:                           ;   in Loop: Header=BB1463_101 Depth=2
	s_lshl_b64 s[16:17], s[42:43], 2
	s_wait_loadcnt 0xd
	v_bfrev_b32_e32 v132, -2
	s_wait_alu 0xfffe
	v_add_co_u32 v36, vcc_lo, v111, s16
	s_wait_alu 0xfffd
	v_add_co_ci_u32_e64 v37, null, s17, v112, vcc_lo
	v_bfrev_b32_e32 v2, -2
	s_mov_b32 s15, exec_lo
	v_cmpx_gt_u32_e64 s54, v88
	s_cbranch_execz .LBB1463_106
; %bb.105:                              ;   in Loop: Header=BB1463_101 Depth=2
	global_load_b32 v2, v[36:37], off
.LBB1463_106:                           ;   in Loop: Header=BB1463_101 Depth=2
	s_wait_alu 0xfffe
	s_or_b32 exec_lo, exec_lo, s15
	s_delay_alu instid0(SALU_CYCLE_1)
	s_mov_b32 s15, exec_lo
	v_cmpx_gt_u32_e64 s54, v92
	s_cbranch_execz .LBB1463_108
; %bb.107:                              ;   in Loop: Header=BB1463_101 Depth=2
	global_load_b32 v132, v[36:37], off offset:128
.LBB1463_108:                           ;   in Loop: Header=BB1463_101 Depth=2
	s_wait_alu 0xfffe
	s_or_b32 exec_lo, exec_lo, s15
	s_wait_loadcnt 0xb
	v_bfrev_b32_e32 v143, -2
	v_bfrev_b32_e32 v139, -2
	s_mov_b32 s15, exec_lo
	v_cmpx_gt_u32_e64 s54, v93
	s_cbranch_execz .LBB1463_110
; %bb.109:                              ;   in Loop: Header=BB1463_101 Depth=2
	global_load_b32 v139, v[36:37], off offset:256
.LBB1463_110:                           ;   in Loop: Header=BB1463_101 Depth=2
	s_wait_alu 0xfffe
	s_or_b32 exec_lo, exec_lo, s15
	s_delay_alu instid0(SALU_CYCLE_1)
	s_mov_b32 s15, exec_lo
	v_cmpx_gt_u32_e64 s54, v94
	s_cbranch_execz .LBB1463_112
; %bb.111:                              ;   in Loop: Header=BB1463_101 Depth=2
	global_load_b32 v143, v[36:37], off offset:384
.LBB1463_112:                           ;   in Loop: Header=BB1463_101 Depth=2
	s_wait_alu 0xfffe
	s_or_b32 exec_lo, exec_lo, s15
	s_wait_loadcnt 0x9
	v_bfrev_b32_e32 v151, -2
	v_bfrev_b32_e32 v147, -2
	s_mov_b32 s15, exec_lo
	v_cmpx_gt_u32_e64 s54, v95
	s_cbranch_execz .LBB1463_114
; %bb.113:                              ;   in Loop: Header=BB1463_101 Depth=2
	global_load_b32 v147, v[36:37], off offset:512
.LBB1463_114:                           ;   in Loop: Header=BB1463_101 Depth=2
	;; [unrolled: 20-line block ×6, first 2 shown]
	s_wait_alu 0xfffe
	s_or_b32 exec_lo, exec_lo, s15
	s_delay_alu instid0(SALU_CYCLE_1)
	s_mov_b32 s15, exec_lo
	v_cmpx_gt_u32_e64 s54, v104
	s_cbranch_execz .LBB1463_132
; %bb.131:                              ;   in Loop: Header=BB1463_101 Depth=2
	global_load_b32 v39, v[36:37], off offset:1664
.LBB1463_132:                           ;   in Loop: Header=BB1463_101 Depth=2
	s_wait_alu 0xfffe
	s_or_b32 exec_lo, exec_lo, s15
	s_wait_loadcnt 0x0
	v_bfrev_b32_e32 v38, -2
	s_mov_b32 s15, exec_lo
	v_cmpx_gt_u32_e64 s54, v105
	s_cbranch_execz .LBB1463_134
; %bb.133:                              ;   in Loop: Header=BB1463_101 Depth=2
	global_load_b32 v38, v[36:37], off offset:1792
.LBB1463_134:                           ;   in Loop: Header=BB1463_101 Depth=2
	s_wait_alu 0xfffe
	s_or_b32 exec_lo, exec_lo, s15
	v_cmp_gt_u32_e64 s15, s54, v106
	s_sub_co_i32 s16, s51, s42
.LBB1463_135:                           ;   in Loop: Header=BB1463_101 Depth=2
	v_bfrev_b32_e32 v36, -2
	v_mov_b32_e32 v131, s54
	s_and_saveexec_b32 s17, s15
	s_cbranch_execz .LBB1463_137
; %bb.136:                              ;   in Loop: Header=BB1463_101 Depth=2
	s_lshl_b64 s[18:19], s[42:43], 2
	s_wait_alu 0xfffe
	v_mov_b32_e32 v131, s16
	v_add_co_u32 v36, vcc_lo, v111, s18
	s_wait_alu 0xfffd
	v_add_co_ci_u32_e64 v37, null, s19, v112, vcc_lo
	global_load_b32 v36, v[36:37], off offset:1920
.LBB1463_137:                           ;   in Loop: Header=BB1463_101 Depth=2
	s_wait_alu 0xfffe
	s_or_b32 exec_lo, exec_lo, s17
	s_wait_loadcnt 0xe
	v_cmp_lt_i32_e32 vcc_lo, -1, v2
	s_wait_alu 0xfffd
	v_cndmask_b32_e64 v37, -1, 0x80000000, vcc_lo
	s_delay_alu instid0(VALU_DEP_1) | instskip(NEXT) | instid1(VALU_DEP_1)
	v_xor_b32_e32 v2, v37, v2
	v_cmp_ne_u32_e32 vcc_lo, 0x7fffffff, v2
	s_wait_alu 0xfffd
	v_cndmask_b32_e32 v37, 0x80000000, v2, vcc_lo
	s_delay_alu instid0(VALU_DEP_1) | instskip(NEXT) | instid1(VALU_DEP_1)
	v_lshrrev_b32_e32 v37, s31, v37
	v_and_b32_e32 v138, s48, v37
	s_delay_alu instid0(VALU_DEP_1)
	v_and_b32_e32 v37, 1, v138
	v_lshlrev_b32_e32 v133, 30, v138
	v_lshlrev_b32_e32 v134, 29, v138
	;; [unrolled: 1-line block ×4, first 2 shown]
	v_add_co_u32 v37, s15, v37, -1
	s_wait_alu 0xf1ff
	v_cndmask_b32_e64 v136, 0, 1, s15
	v_not_b32_e32 v142, v133
	v_cmp_gt_i32_e64 s15, 0, v133
	v_not_b32_e32 v133, v134
	v_lshlrev_b32_e32 v140, 26, v138
	v_cmp_ne_u32_e32 vcc_lo, 0, v136
	v_ashrrev_i32_e32 v142, 31, v142
	v_lshlrev_b32_e32 v141, 25, v138
	v_ashrrev_i32_e32 v133, 31, v133
	v_lshlrev_b32_e32 v136, 24, v138
	s_wait_alu 0xfffd
	v_xor_b32_e32 v37, vcc_lo, v37
	v_cmp_gt_i32_e32 vcc_lo, 0, v134
	v_not_b32_e32 v134, v135
	s_wait_alu 0xf1ff
	v_xor_b32_e32 v142, s15, v142
	v_cmp_gt_i32_e64 s15, 0, v135
	v_and_b32_e32 v37, exec_lo, v37
	v_not_b32_e32 v135, v137
	v_ashrrev_i32_e32 v134, 31, v134
	s_wait_alu 0xfffd
	v_xor_b32_e32 v133, vcc_lo, v133
	v_cmp_gt_i32_e32 vcc_lo, 0, v137
	v_and_b32_e32 v37, v37, v142
	v_not_b32_e32 v137, v140
	v_ashrrev_i32_e32 v135, 31, v135
	s_wait_alu 0xf1ff
	v_xor_b32_e32 v134, s15, v134
	v_cmp_gt_i32_e64 s15, 0, v140
	v_and_b32_e32 v37, v37, v133
	v_not_b32_e32 v133, v141
	v_ashrrev_i32_e32 v137, 31, v137
	s_wait_alu 0xfffd
	v_xor_b32_e32 v135, vcc_lo, v135
	v_cmp_gt_i32_e32 vcc_lo, 0, v141
	v_and_b32_e32 v37, v37, v134
	v_not_b32_e32 v134, v136
	v_ashrrev_i32_e32 v133, 31, v133
	s_wait_alu 0xf1ff
	v_xor_b32_e32 v137, s15, v137
	v_cmp_gt_i32_e64 s15, 0, v136
	v_and_b32_e32 v37, v37, v135
	v_ashrrev_i32_e32 v134, 31, v134
	s_wait_alu 0xfffd
	v_xor_b32_e32 v133, vcc_lo, v133
	v_mul_u32_u24_e32 v138, 36, v138
	v_add_nc_u32_e32 v136, 0x428, v67
	v_and_b32_e32 v37, v37, v137
	s_wait_alu 0xf1ff
	v_xor_b32_e32 v135, s15, v134
	v_add_nc_u32_e32 v134, 0x438, v67
	v_add_nc_u32_e32 v137, 0x430, v67
	;; [unrolled: 1-line block ×3, first 2 shown]
	v_and_b32_e32 v37, v37, v133
	ds_store_2addr_b32 v134, v3, v3 offset1:1
	v_and_b32_e32 v37, v37, v135
	v_add_nc_u32_e32 v135, 0x420, v67
	ds_store_2addr_b32 v135, v3, v3 offset1:1
	ds_store_2addr_b32 v136, v3, v3 offset1:1
	;; [unrolled: 1-line block ×3, first 2 shown]
	ds_store_b32 v67, v3 offset:1088
	v_mbcnt_lo_u32_b32 v133, v37, 0
	v_cmp_ne_u32_e64 s15, 0, v37
	s_wait_loadcnt_dscnt 0x0
	s_barrier_signal -1
	s_barrier_wait -1
	v_cmp_eq_u32_e32 vcc_lo, 0, v133
	global_inv scope:SCOPE_SE
	; wave barrier
	s_and_b32 s16, s15, vcc_lo
	s_wait_alu 0xfffe
	s_and_saveexec_b32 s15, s16
; %bb.138:                              ;   in Loop: Header=BB1463_101 Depth=2
	v_bcnt_u32_b32 v37, v37, 0
	ds_store_b32 v138, v37 offset:1056
; %bb.139:                              ;   in Loop: Header=BB1463_101 Depth=2
	s_wait_alu 0xfffe
	s_or_b32 exec_lo, exec_lo, s15
	v_cmp_lt_i32_e32 vcc_lo, -1, v132
	; wave barrier
	s_wait_alu 0xfffd
	v_cndmask_b32_e64 v37, -1, 0x80000000, vcc_lo
	s_delay_alu instid0(VALU_DEP_1) | instskip(NEXT) | instid1(VALU_DEP_1)
	v_xor_b32_e32 v132, v37, v132
	v_cmp_ne_u32_e32 vcc_lo, 0x7fffffff, v132
	s_wait_alu 0xfffd
	v_cndmask_b32_e32 v37, 0x80000000, v132, vcc_lo
	s_delay_alu instid0(VALU_DEP_1) | instskip(NEXT) | instid1(VALU_DEP_1)
	v_lshrrev_b32_e32 v37, s31, v37
	v_and_b32_e32 v142, s48, v37
	s_delay_alu instid0(VALU_DEP_1)
	v_and_b32_e32 v37, 1, v142
	v_lshlrev_b32_e32 v140, 30, v142
	v_lshlrev_b32_e32 v141, 29, v142
	;; [unrolled: 1-line block ×4, first 2 shown]
	v_add_co_u32 v37, s15, v37, -1
	s_wait_alu 0xf1ff
	v_cndmask_b32_e64 v145, 0, 1, s15
	v_not_b32_e32 v150, v140
	v_cmp_gt_i32_e64 s15, 0, v140
	v_not_b32_e32 v140, v141
	v_lshlrev_b32_e32 v148, 26, v142
	v_cmp_ne_u32_e32 vcc_lo, 0, v145
	v_ashrrev_i32_e32 v150, 31, v150
	v_lshlrev_b32_e32 v149, 25, v142
	v_ashrrev_i32_e32 v140, 31, v140
	v_lshlrev_b32_e32 v145, 24, v142
	s_wait_alu 0xfffd
	v_xor_b32_e32 v37, vcc_lo, v37
	v_cmp_gt_i32_e32 vcc_lo, 0, v141
	v_not_b32_e32 v141, v144
	s_wait_alu 0xf1ff
	v_xor_b32_e32 v150, s15, v150
	v_cmp_gt_i32_e64 s15, 0, v144
	v_and_b32_e32 v37, exec_lo, v37
	v_not_b32_e32 v144, v146
	v_ashrrev_i32_e32 v141, 31, v141
	s_wait_alu 0xfffd
	v_xor_b32_e32 v140, vcc_lo, v140
	v_cmp_gt_i32_e32 vcc_lo, 0, v146
	v_and_b32_e32 v37, v37, v150
	v_not_b32_e32 v146, v148
	v_ashrrev_i32_e32 v144, 31, v144
	s_wait_alu 0xf1ff
	v_xor_b32_e32 v141, s15, v141
	v_cmp_gt_i32_e64 s15, 0, v148
	v_and_b32_e32 v37, v37, v140
	v_not_b32_e32 v140, v149
	v_ashrrev_i32_e32 v146, 31, v146
	s_wait_alu 0xfffd
	v_xor_b32_e32 v144, vcc_lo, v144
	v_cmp_gt_i32_e32 vcc_lo, 0, v149
	v_and_b32_e32 v37, v37, v141
	v_not_b32_e32 v141, v145
	v_ashrrev_i32_e32 v140, 31, v140
	s_wait_alu 0xf1ff
	v_xor_b32_e32 v146, s15, v146
	v_cmp_gt_i32_e64 s15, 0, v145
	v_and_b32_e32 v37, v37, v144
	v_ashrrev_i32_e32 v141, 31, v141
	s_wait_alu 0xfffd
	v_xor_b32_e32 v140, vcc_lo, v140
	v_mad_u32_u24 v144, v142, 36, v114
	v_mul_u32_u24_e32 v142, 36, v142
	v_and_b32_e32 v37, v37, v146
	s_wait_alu 0xf1ff
	v_xor_b32_e32 v141, s15, v141
	s_delay_alu instid0(VALU_DEP_3) | instskip(NEXT) | instid1(VALU_DEP_3)
	v_add_nc_u32_e32 v142, v114, v142
	v_and_b32_e32 v37, v37, v140
	ds_load_b32 v140, v144 offset:1056
	; wave barrier
	v_and_b32_e32 v37, v37, v141
	s_delay_alu instid0(VALU_DEP_1) | instskip(SKIP_1) | instid1(VALU_DEP_2)
	v_mbcnt_lo_u32_b32 v141, v37, 0
	v_cmp_ne_u32_e64 s15, 0, v37
	v_cmp_eq_u32_e32 vcc_lo, 0, v141
	s_and_b32 s16, s15, vcc_lo
	s_wait_alu 0xfffe
	s_and_saveexec_b32 s15, s16
	s_cbranch_execz .LBB1463_141
; %bb.140:                              ;   in Loop: Header=BB1463_101 Depth=2
	s_wait_dscnt 0x0
	v_bcnt_u32_b32 v37, v37, v140
	ds_store_b32 v142, v37 offset:1056
.LBB1463_141:                           ;   in Loop: Header=BB1463_101 Depth=2
	s_wait_alu 0xfffe
	s_or_b32 exec_lo, exec_lo, s15
	v_cmp_lt_i32_e32 vcc_lo, -1, v139
	; wave barrier
	s_wait_alu 0xfffd
	v_cndmask_b32_e64 v37, -1, 0x80000000, vcc_lo
	s_delay_alu instid0(VALU_DEP_1) | instskip(NEXT) | instid1(VALU_DEP_1)
	v_xor_b32_e32 v139, v37, v139
	v_cmp_ne_u32_e32 vcc_lo, 0x7fffffff, v139
	s_wait_alu 0xfffd
	v_cndmask_b32_e32 v37, 0x80000000, v139, vcc_lo
	s_delay_alu instid0(VALU_DEP_1) | instskip(NEXT) | instid1(VALU_DEP_1)
	v_lshrrev_b32_e32 v37, s31, v37
	v_and_b32_e32 v146, s48, v37
	s_delay_alu instid0(VALU_DEP_1)
	v_and_b32_e32 v37, 1, v146
	v_lshlrev_b32_e32 v144, 30, v146
	v_lshlrev_b32_e32 v145, 29, v146
	;; [unrolled: 1-line block ×4, first 2 shown]
	v_add_co_u32 v37, s15, v37, -1
	s_wait_alu 0xf1ff
	v_cndmask_b32_e64 v149, 0, 1, s15
	v_not_b32_e32 v154, v144
	v_cmp_gt_i32_e64 s15, 0, v144
	v_not_b32_e32 v144, v145
	v_lshlrev_b32_e32 v152, 26, v146
	v_cmp_ne_u32_e32 vcc_lo, 0, v149
	v_ashrrev_i32_e32 v154, 31, v154
	v_lshlrev_b32_e32 v153, 25, v146
	v_ashrrev_i32_e32 v144, 31, v144
	v_lshlrev_b32_e32 v149, 24, v146
	s_wait_alu 0xfffd
	v_xor_b32_e32 v37, vcc_lo, v37
	v_cmp_gt_i32_e32 vcc_lo, 0, v145
	v_not_b32_e32 v145, v148
	s_wait_alu 0xf1ff
	v_xor_b32_e32 v154, s15, v154
	v_cmp_gt_i32_e64 s15, 0, v148
	v_and_b32_e32 v37, exec_lo, v37
	v_not_b32_e32 v148, v150
	v_ashrrev_i32_e32 v145, 31, v145
	s_wait_alu 0xfffd
	v_xor_b32_e32 v144, vcc_lo, v144
	v_cmp_gt_i32_e32 vcc_lo, 0, v150
	v_and_b32_e32 v37, v37, v154
	v_not_b32_e32 v150, v152
	v_ashrrev_i32_e32 v148, 31, v148
	s_wait_alu 0xf1ff
	v_xor_b32_e32 v145, s15, v145
	v_cmp_gt_i32_e64 s15, 0, v152
	v_and_b32_e32 v37, v37, v144
	v_not_b32_e32 v144, v153
	v_ashrrev_i32_e32 v150, 31, v150
	s_wait_alu 0xfffd
	v_xor_b32_e32 v148, vcc_lo, v148
	v_cmp_gt_i32_e32 vcc_lo, 0, v153
	v_and_b32_e32 v37, v37, v145
	v_not_b32_e32 v145, v149
	v_ashrrev_i32_e32 v144, 31, v144
	s_wait_alu 0xf1ff
	v_xor_b32_e32 v150, s15, v150
	v_cmp_gt_i32_e64 s15, 0, v149
	v_and_b32_e32 v37, v37, v148
	v_ashrrev_i32_e32 v145, 31, v145
	s_wait_alu 0xfffd
	v_xor_b32_e32 v144, vcc_lo, v144
	v_mad_u32_u24 v148, v146, 36, v114
	v_mul_u32_u24_e32 v146, 36, v146
	v_and_b32_e32 v37, v37, v150
	s_wait_alu 0xf1ff
	v_xor_b32_e32 v145, s15, v145
	s_delay_alu instid0(VALU_DEP_3) | instskip(NEXT) | instid1(VALU_DEP_3)
	v_add_nc_u32_e32 v146, v114, v146
	v_and_b32_e32 v37, v37, v144
	ds_load_b32 v144, v148 offset:1056
	; wave barrier
	v_and_b32_e32 v37, v37, v145
	s_delay_alu instid0(VALU_DEP_1) | instskip(SKIP_1) | instid1(VALU_DEP_2)
	v_mbcnt_lo_u32_b32 v145, v37, 0
	v_cmp_ne_u32_e64 s15, 0, v37
	v_cmp_eq_u32_e32 vcc_lo, 0, v145
	s_and_b32 s16, s15, vcc_lo
	s_wait_alu 0xfffe
	s_and_saveexec_b32 s15, s16
	s_cbranch_execz .LBB1463_143
; %bb.142:                              ;   in Loop: Header=BB1463_101 Depth=2
	s_wait_dscnt 0x0
	v_bcnt_u32_b32 v37, v37, v144
	ds_store_b32 v146, v37 offset:1056
.LBB1463_143:                           ;   in Loop: Header=BB1463_101 Depth=2
	s_wait_alu 0xfffe
	s_or_b32 exec_lo, exec_lo, s15
	v_cmp_lt_i32_e32 vcc_lo, -1, v143
	; wave barrier
	s_wait_alu 0xfffd
	v_cndmask_b32_e64 v37, -1, 0x80000000, vcc_lo
	s_delay_alu instid0(VALU_DEP_1) | instskip(NEXT) | instid1(VALU_DEP_1)
	v_xor_b32_e32 v143, v37, v143
	v_cmp_ne_u32_e32 vcc_lo, 0x7fffffff, v143
	s_wait_alu 0xfffd
	v_cndmask_b32_e32 v37, 0x80000000, v143, vcc_lo
	s_delay_alu instid0(VALU_DEP_1) | instskip(NEXT) | instid1(VALU_DEP_1)
	v_lshrrev_b32_e32 v37, s31, v37
	v_and_b32_e32 v150, s48, v37
	s_delay_alu instid0(VALU_DEP_1)
	v_and_b32_e32 v37, 1, v150
	v_lshlrev_b32_e32 v148, 30, v150
	v_lshlrev_b32_e32 v149, 29, v150
	v_lshlrev_b32_e32 v152, 28, v150
	v_lshlrev_b32_e32 v154, 27, v150
	v_add_co_u32 v37, s15, v37, -1
	s_wait_alu 0xf1ff
	v_cndmask_b32_e64 v153, 0, 1, s15
	v_not_b32_e32 v158, v148
	v_cmp_gt_i32_e64 s15, 0, v148
	v_not_b32_e32 v148, v149
	v_lshlrev_b32_e32 v156, 26, v150
	v_cmp_ne_u32_e32 vcc_lo, 0, v153
	v_ashrrev_i32_e32 v158, 31, v158
	v_lshlrev_b32_e32 v157, 25, v150
	v_ashrrev_i32_e32 v148, 31, v148
	v_lshlrev_b32_e32 v153, 24, v150
	s_wait_alu 0xfffd
	v_xor_b32_e32 v37, vcc_lo, v37
	v_cmp_gt_i32_e32 vcc_lo, 0, v149
	v_not_b32_e32 v149, v152
	s_wait_alu 0xf1ff
	v_xor_b32_e32 v158, s15, v158
	v_cmp_gt_i32_e64 s15, 0, v152
	v_and_b32_e32 v37, exec_lo, v37
	v_not_b32_e32 v152, v154
	v_ashrrev_i32_e32 v149, 31, v149
	s_wait_alu 0xfffd
	v_xor_b32_e32 v148, vcc_lo, v148
	v_cmp_gt_i32_e32 vcc_lo, 0, v154
	v_and_b32_e32 v37, v37, v158
	v_not_b32_e32 v154, v156
	v_ashrrev_i32_e32 v152, 31, v152
	s_wait_alu 0xf1ff
	v_xor_b32_e32 v149, s15, v149
	v_cmp_gt_i32_e64 s15, 0, v156
	v_and_b32_e32 v37, v37, v148
	v_not_b32_e32 v148, v157
	v_ashrrev_i32_e32 v154, 31, v154
	s_wait_alu 0xfffd
	v_xor_b32_e32 v152, vcc_lo, v152
	v_cmp_gt_i32_e32 vcc_lo, 0, v157
	v_and_b32_e32 v37, v37, v149
	v_not_b32_e32 v149, v153
	v_ashrrev_i32_e32 v148, 31, v148
	s_wait_alu 0xf1ff
	v_xor_b32_e32 v154, s15, v154
	v_cmp_gt_i32_e64 s15, 0, v153
	v_and_b32_e32 v37, v37, v152
	v_ashrrev_i32_e32 v149, 31, v149
	s_wait_alu 0xfffd
	v_xor_b32_e32 v148, vcc_lo, v148
	v_mad_u32_u24 v152, v150, 36, v114
	v_mul_u32_u24_e32 v150, 36, v150
	v_and_b32_e32 v37, v37, v154
	s_wait_alu 0xf1ff
	v_xor_b32_e32 v149, s15, v149
	s_delay_alu instid0(VALU_DEP_3) | instskip(NEXT) | instid1(VALU_DEP_3)
	v_add_nc_u32_e32 v150, v114, v150
	v_and_b32_e32 v37, v37, v148
	ds_load_b32 v148, v152 offset:1056
	; wave barrier
	v_and_b32_e32 v37, v37, v149
	s_delay_alu instid0(VALU_DEP_1) | instskip(SKIP_1) | instid1(VALU_DEP_2)
	v_mbcnt_lo_u32_b32 v149, v37, 0
	v_cmp_ne_u32_e64 s15, 0, v37
	v_cmp_eq_u32_e32 vcc_lo, 0, v149
	s_and_b32 s16, s15, vcc_lo
	s_wait_alu 0xfffe
	s_and_saveexec_b32 s15, s16
	s_cbranch_execz .LBB1463_145
; %bb.144:                              ;   in Loop: Header=BB1463_101 Depth=2
	s_wait_dscnt 0x0
	v_bcnt_u32_b32 v37, v37, v148
	ds_store_b32 v150, v37 offset:1056
.LBB1463_145:                           ;   in Loop: Header=BB1463_101 Depth=2
	s_wait_alu 0xfffe
	s_or_b32 exec_lo, exec_lo, s15
	v_cmp_lt_i32_e32 vcc_lo, -1, v147
	; wave barrier
	s_wait_alu 0xfffd
	v_cndmask_b32_e64 v37, -1, 0x80000000, vcc_lo
	s_delay_alu instid0(VALU_DEP_1) | instskip(NEXT) | instid1(VALU_DEP_1)
	v_xor_b32_e32 v147, v37, v147
	v_cmp_ne_u32_e32 vcc_lo, 0x7fffffff, v147
	s_wait_alu 0xfffd
	v_cndmask_b32_e32 v37, 0x80000000, v147, vcc_lo
	s_delay_alu instid0(VALU_DEP_1) | instskip(NEXT) | instid1(VALU_DEP_1)
	v_lshrrev_b32_e32 v37, s31, v37
	v_and_b32_e32 v154, s48, v37
	s_delay_alu instid0(VALU_DEP_1)
	v_and_b32_e32 v37, 1, v154
	v_lshlrev_b32_e32 v152, 30, v154
	v_lshlrev_b32_e32 v153, 29, v154
	;; [unrolled: 1-line block ×4, first 2 shown]
	v_add_co_u32 v37, s15, v37, -1
	s_wait_alu 0xf1ff
	v_cndmask_b32_e64 v157, 0, 1, s15
	v_not_b32_e32 v163, v152
	v_cmp_gt_i32_e64 s15, 0, v152
	v_not_b32_e32 v152, v153
	v_lshlrev_b32_e32 v160, 26, v154
	v_cmp_ne_u32_e32 vcc_lo, 0, v157
	v_ashrrev_i32_e32 v163, 31, v163
	v_lshlrev_b32_e32 v161, 25, v154
	v_ashrrev_i32_e32 v152, 31, v152
	v_lshlrev_b32_e32 v157, 24, v154
	s_wait_alu 0xfffd
	v_xor_b32_e32 v37, vcc_lo, v37
	v_cmp_gt_i32_e32 vcc_lo, 0, v153
	v_not_b32_e32 v153, v156
	s_wait_alu 0xf1ff
	v_xor_b32_e32 v163, s15, v163
	v_cmp_gt_i32_e64 s15, 0, v156
	v_and_b32_e32 v37, exec_lo, v37
	v_not_b32_e32 v156, v158
	v_ashrrev_i32_e32 v153, 31, v153
	s_wait_alu 0xfffd
	v_xor_b32_e32 v152, vcc_lo, v152
	v_cmp_gt_i32_e32 vcc_lo, 0, v158
	v_and_b32_e32 v37, v37, v163
	v_not_b32_e32 v158, v160
	v_ashrrev_i32_e32 v156, 31, v156
	s_wait_alu 0xf1ff
	v_xor_b32_e32 v153, s15, v153
	v_cmp_gt_i32_e64 s15, 0, v160
	v_and_b32_e32 v37, v37, v152
	v_not_b32_e32 v152, v161
	v_ashrrev_i32_e32 v158, 31, v158
	s_wait_alu 0xfffd
	v_xor_b32_e32 v156, vcc_lo, v156
	v_cmp_gt_i32_e32 vcc_lo, 0, v161
	v_and_b32_e32 v37, v37, v153
	v_not_b32_e32 v153, v157
	v_ashrrev_i32_e32 v152, 31, v152
	s_wait_alu 0xf1ff
	v_xor_b32_e32 v158, s15, v158
	v_cmp_gt_i32_e64 s15, 0, v157
	v_and_b32_e32 v37, v37, v156
	v_ashrrev_i32_e32 v153, 31, v153
	s_wait_alu 0xfffd
	v_xor_b32_e32 v152, vcc_lo, v152
	v_mad_u32_u24 v156, v154, 36, v114
	v_mul_u32_u24_e32 v154, 36, v154
	v_and_b32_e32 v37, v37, v158
	s_wait_alu 0xf1ff
	v_xor_b32_e32 v153, s15, v153
	s_delay_alu instid0(VALU_DEP_3) | instskip(NEXT) | instid1(VALU_DEP_3)
	v_add_nc_u32_e32 v154, v114, v154
	v_and_b32_e32 v37, v37, v152
	ds_load_b32 v152, v156 offset:1056
	; wave barrier
	v_and_b32_e32 v37, v37, v153
	s_delay_alu instid0(VALU_DEP_1) | instskip(SKIP_1) | instid1(VALU_DEP_2)
	v_mbcnt_lo_u32_b32 v153, v37, 0
	v_cmp_ne_u32_e64 s15, 0, v37
	v_cmp_eq_u32_e32 vcc_lo, 0, v153
	s_and_b32 s16, s15, vcc_lo
	s_wait_alu 0xfffe
	s_and_saveexec_b32 s15, s16
	s_cbranch_execz .LBB1463_147
; %bb.146:                              ;   in Loop: Header=BB1463_101 Depth=2
	s_wait_dscnt 0x0
	v_bcnt_u32_b32 v37, v37, v152
	ds_store_b32 v154, v37 offset:1056
.LBB1463_147:                           ;   in Loop: Header=BB1463_101 Depth=2
	s_wait_alu 0xfffe
	s_or_b32 exec_lo, exec_lo, s15
	v_cmp_lt_i32_e32 vcc_lo, -1, v151
	; wave barrier
	s_wait_alu 0xfffd
	v_cndmask_b32_e64 v37, -1, 0x80000000, vcc_lo
	s_delay_alu instid0(VALU_DEP_1) | instskip(NEXT) | instid1(VALU_DEP_1)
	v_xor_b32_e32 v151, v37, v151
	v_cmp_ne_u32_e32 vcc_lo, 0x7fffffff, v151
	s_wait_alu 0xfffd
	v_cndmask_b32_e32 v37, 0x80000000, v151, vcc_lo
	s_delay_alu instid0(VALU_DEP_1) | instskip(NEXT) | instid1(VALU_DEP_1)
	v_lshrrev_b32_e32 v37, s31, v37
	v_and_b32_e32 v158, s48, v37
	s_delay_alu instid0(VALU_DEP_1)
	v_and_b32_e32 v37, 1, v158
	v_lshlrev_b32_e32 v156, 30, v158
	v_lshlrev_b32_e32 v157, 29, v158
	;; [unrolled: 1-line block ×4, first 2 shown]
	v_add_co_u32 v37, s15, v37, -1
	s_wait_alu 0xf1ff
	v_cndmask_b32_e64 v161, 0, 1, s15
	v_not_b32_e32 v166, v156
	v_cmp_gt_i32_e64 s15, 0, v156
	v_not_b32_e32 v156, v157
	v_lshlrev_b32_e32 v164, 26, v158
	v_cmp_ne_u32_e32 vcc_lo, 0, v161
	v_ashrrev_i32_e32 v166, 31, v166
	v_lshlrev_b32_e32 v165, 25, v158
	v_ashrrev_i32_e32 v156, 31, v156
	v_lshlrev_b32_e32 v161, 24, v158
	s_wait_alu 0xfffd
	v_xor_b32_e32 v37, vcc_lo, v37
	v_cmp_gt_i32_e32 vcc_lo, 0, v157
	v_not_b32_e32 v157, v160
	s_wait_alu 0xf1ff
	v_xor_b32_e32 v166, s15, v166
	v_cmp_gt_i32_e64 s15, 0, v160
	v_and_b32_e32 v37, exec_lo, v37
	v_not_b32_e32 v160, v163
	v_ashrrev_i32_e32 v157, 31, v157
	s_wait_alu 0xfffd
	v_xor_b32_e32 v156, vcc_lo, v156
	v_cmp_gt_i32_e32 vcc_lo, 0, v163
	v_and_b32_e32 v37, v37, v166
	v_not_b32_e32 v163, v164
	v_ashrrev_i32_e32 v160, 31, v160
	s_wait_alu 0xf1ff
	v_xor_b32_e32 v157, s15, v157
	v_cmp_gt_i32_e64 s15, 0, v164
	v_and_b32_e32 v37, v37, v156
	v_not_b32_e32 v156, v165
	v_ashrrev_i32_e32 v163, 31, v163
	s_wait_alu 0xfffd
	v_xor_b32_e32 v160, vcc_lo, v160
	v_cmp_gt_i32_e32 vcc_lo, 0, v165
	v_and_b32_e32 v37, v37, v157
	v_not_b32_e32 v157, v161
	v_ashrrev_i32_e32 v156, 31, v156
	s_wait_alu 0xf1ff
	v_xor_b32_e32 v163, s15, v163
	v_cmp_gt_i32_e64 s15, 0, v161
	v_and_b32_e32 v37, v37, v160
	v_ashrrev_i32_e32 v157, 31, v157
	s_wait_alu 0xfffd
	v_xor_b32_e32 v156, vcc_lo, v156
	v_mad_u32_u24 v160, v158, 36, v114
	v_mul_u32_u24_e32 v158, 36, v158
	v_and_b32_e32 v37, v37, v163
	s_wait_alu 0xf1ff
	v_xor_b32_e32 v157, s15, v157
	s_delay_alu instid0(VALU_DEP_3) | instskip(NEXT) | instid1(VALU_DEP_3)
	v_add_nc_u32_e32 v158, v114, v158
	v_and_b32_e32 v37, v37, v156
	ds_load_b32 v156, v160 offset:1056
	; wave barrier
	v_and_b32_e32 v37, v37, v157
	s_delay_alu instid0(VALU_DEP_1) | instskip(SKIP_1) | instid1(VALU_DEP_2)
	v_mbcnt_lo_u32_b32 v157, v37, 0
	v_cmp_ne_u32_e64 s15, 0, v37
	v_cmp_eq_u32_e32 vcc_lo, 0, v157
	s_and_b32 s16, s15, vcc_lo
	s_wait_alu 0xfffe
	s_and_saveexec_b32 s15, s16
	s_cbranch_execz .LBB1463_149
; %bb.148:                              ;   in Loop: Header=BB1463_101 Depth=2
	s_wait_dscnt 0x0
	v_bcnt_u32_b32 v37, v37, v156
	ds_store_b32 v158, v37 offset:1056
.LBB1463_149:                           ;   in Loop: Header=BB1463_101 Depth=2
	s_wait_alu 0xfffe
	s_or_b32 exec_lo, exec_lo, s15
	v_cmp_lt_i32_e32 vcc_lo, -1, v155
	; wave barrier
	s_wait_alu 0xfffd
	v_cndmask_b32_e64 v37, -1, 0x80000000, vcc_lo
	s_delay_alu instid0(VALU_DEP_1) | instskip(NEXT) | instid1(VALU_DEP_1)
	v_xor_b32_e32 v155, v37, v155
	v_cmp_ne_u32_e32 vcc_lo, 0x7fffffff, v155
	s_wait_alu 0xfffd
	v_cndmask_b32_e32 v37, 0x80000000, v155, vcc_lo
	s_delay_alu instid0(VALU_DEP_1) | instskip(NEXT) | instid1(VALU_DEP_1)
	v_lshrrev_b32_e32 v37, s31, v37
	v_and_b32_e32 v163, s48, v37
	s_delay_alu instid0(VALU_DEP_1)
	v_and_b32_e32 v37, 1, v163
	v_lshlrev_b32_e32 v160, 30, v163
	v_lshlrev_b32_e32 v161, 29, v163
	;; [unrolled: 1-line block ×4, first 2 shown]
	v_add_co_u32 v37, s15, v37, -1
	s_wait_alu 0xf1ff
	v_cndmask_b32_e64 v165, 0, 1, s15
	v_not_b32_e32 v169, v160
	v_cmp_gt_i32_e64 s15, 0, v160
	v_not_b32_e32 v160, v161
	v_lshlrev_b32_e32 v167, 26, v163
	v_cmp_ne_u32_e32 vcc_lo, 0, v165
	v_ashrrev_i32_e32 v169, 31, v169
	v_lshlrev_b32_e32 v168, 25, v163
	v_ashrrev_i32_e32 v160, 31, v160
	v_lshlrev_b32_e32 v165, 24, v163
	s_wait_alu 0xfffd
	v_xor_b32_e32 v37, vcc_lo, v37
	v_cmp_gt_i32_e32 vcc_lo, 0, v161
	v_not_b32_e32 v161, v164
	s_wait_alu 0xf1ff
	v_xor_b32_e32 v169, s15, v169
	v_cmp_gt_i32_e64 s15, 0, v164
	v_and_b32_e32 v37, exec_lo, v37
	v_not_b32_e32 v164, v166
	v_ashrrev_i32_e32 v161, 31, v161
	s_wait_alu 0xfffd
	v_xor_b32_e32 v160, vcc_lo, v160
	v_cmp_gt_i32_e32 vcc_lo, 0, v166
	v_and_b32_e32 v37, v37, v169
	v_not_b32_e32 v166, v167
	v_ashrrev_i32_e32 v164, 31, v164
	s_wait_alu 0xf1ff
	v_xor_b32_e32 v161, s15, v161
	v_cmp_gt_i32_e64 s15, 0, v167
	v_and_b32_e32 v37, v37, v160
	v_not_b32_e32 v160, v168
	v_ashrrev_i32_e32 v166, 31, v166
	s_wait_alu 0xfffd
	v_xor_b32_e32 v164, vcc_lo, v164
	v_cmp_gt_i32_e32 vcc_lo, 0, v168
	v_and_b32_e32 v37, v37, v161
	v_not_b32_e32 v161, v165
	v_ashrrev_i32_e32 v160, 31, v160
	s_wait_alu 0xf1ff
	v_xor_b32_e32 v166, s15, v166
	v_cmp_gt_i32_e64 s15, 0, v165
	v_and_b32_e32 v37, v37, v164
	v_ashrrev_i32_e32 v161, 31, v161
	s_wait_alu 0xfffd
	v_xor_b32_e32 v160, vcc_lo, v160
	v_mad_u32_u24 v164, v163, 36, v114
	v_mul_u32_u24_e32 v163, 36, v163
	v_and_b32_e32 v37, v37, v166
	s_wait_alu 0xf1ff
	v_xor_b32_e32 v161, s15, v161
	s_delay_alu instid0(VALU_DEP_3) | instskip(NEXT) | instid1(VALU_DEP_3)
	v_add_nc_u32_e32 v163, v114, v163
	v_and_b32_e32 v37, v37, v160
	ds_load_b32 v160, v164 offset:1056
	; wave barrier
	v_and_b32_e32 v37, v37, v161
	s_delay_alu instid0(VALU_DEP_1) | instskip(SKIP_1) | instid1(VALU_DEP_2)
	v_mbcnt_lo_u32_b32 v161, v37, 0
	v_cmp_ne_u32_e64 s15, 0, v37
	v_cmp_eq_u32_e32 vcc_lo, 0, v161
	s_and_b32 s16, s15, vcc_lo
	s_wait_alu 0xfffe
	s_and_saveexec_b32 s15, s16
	s_cbranch_execz .LBB1463_151
; %bb.150:                              ;   in Loop: Header=BB1463_101 Depth=2
	s_wait_dscnt 0x0
	v_bcnt_u32_b32 v37, v37, v160
	ds_store_b32 v163, v37 offset:1056
.LBB1463_151:                           ;   in Loop: Header=BB1463_101 Depth=2
	s_wait_alu 0xfffe
	s_or_b32 exec_lo, exec_lo, s15
	v_cmp_lt_i32_e32 vcc_lo, -1, v159
	; wave barrier
	s_wait_alu 0xfffd
	v_cndmask_b32_e64 v37, -1, 0x80000000, vcc_lo
	s_delay_alu instid0(VALU_DEP_1) | instskip(NEXT) | instid1(VALU_DEP_1)
	v_xor_b32_e32 v159, v37, v159
	v_cmp_ne_u32_e32 vcc_lo, 0x7fffffff, v159
	s_wait_alu 0xfffd
	v_cndmask_b32_e32 v37, 0x80000000, v159, vcc_lo
	s_delay_alu instid0(VALU_DEP_1) | instskip(NEXT) | instid1(VALU_DEP_1)
	v_lshrrev_b32_e32 v37, s31, v37
	v_and_b32_e32 v166, s48, v37
	s_delay_alu instid0(VALU_DEP_1)
	v_and_b32_e32 v37, 1, v166
	v_lshlrev_b32_e32 v164, 30, v166
	v_lshlrev_b32_e32 v165, 29, v166
	;; [unrolled: 1-line block ×4, first 2 shown]
	v_add_co_u32 v37, s15, v37, -1
	s_wait_alu 0xf1ff
	v_cndmask_b32_e64 v168, 0, 1, s15
	v_not_b32_e32 v172, v164
	v_cmp_gt_i32_e64 s15, 0, v164
	v_not_b32_e32 v164, v165
	v_lshlrev_b32_e32 v170, 26, v166
	v_cmp_ne_u32_e32 vcc_lo, 0, v168
	v_ashrrev_i32_e32 v172, 31, v172
	v_lshlrev_b32_e32 v171, 25, v166
	v_ashrrev_i32_e32 v164, 31, v164
	v_lshlrev_b32_e32 v168, 24, v166
	s_wait_alu 0xfffd
	v_xor_b32_e32 v37, vcc_lo, v37
	v_cmp_gt_i32_e32 vcc_lo, 0, v165
	v_not_b32_e32 v165, v167
	s_wait_alu 0xf1ff
	v_xor_b32_e32 v172, s15, v172
	v_cmp_gt_i32_e64 s15, 0, v167
	v_and_b32_e32 v37, exec_lo, v37
	v_not_b32_e32 v167, v169
	v_ashrrev_i32_e32 v165, 31, v165
	s_wait_alu 0xfffd
	v_xor_b32_e32 v164, vcc_lo, v164
	v_cmp_gt_i32_e32 vcc_lo, 0, v169
	v_and_b32_e32 v37, v37, v172
	v_not_b32_e32 v169, v170
	v_ashrrev_i32_e32 v167, 31, v167
	s_wait_alu 0xf1ff
	v_xor_b32_e32 v165, s15, v165
	v_cmp_gt_i32_e64 s15, 0, v170
	v_and_b32_e32 v37, v37, v164
	v_not_b32_e32 v164, v171
	v_ashrrev_i32_e32 v169, 31, v169
	s_wait_alu 0xfffd
	v_xor_b32_e32 v167, vcc_lo, v167
	v_cmp_gt_i32_e32 vcc_lo, 0, v171
	v_and_b32_e32 v37, v37, v165
	v_not_b32_e32 v165, v168
	v_ashrrev_i32_e32 v164, 31, v164
	s_wait_alu 0xf1ff
	v_xor_b32_e32 v169, s15, v169
	v_cmp_gt_i32_e64 s15, 0, v168
	v_and_b32_e32 v37, v37, v167
	v_ashrrev_i32_e32 v165, 31, v165
	s_wait_alu 0xfffd
	v_xor_b32_e32 v164, vcc_lo, v164
	v_mad_u32_u24 v167, v166, 36, v114
	v_mul_u32_u24_e32 v166, 36, v166
	v_and_b32_e32 v37, v37, v169
	s_wait_alu 0xf1ff
	v_xor_b32_e32 v165, s15, v165
	s_delay_alu instid0(VALU_DEP_3) | instskip(NEXT) | instid1(VALU_DEP_3)
	v_add_nc_u32_e32 v166, v114, v166
	v_and_b32_e32 v37, v37, v164
	ds_load_b32 v164, v167 offset:1056
	; wave barrier
	v_and_b32_e32 v37, v37, v165
	s_delay_alu instid0(VALU_DEP_1) | instskip(SKIP_1) | instid1(VALU_DEP_2)
	v_mbcnt_lo_u32_b32 v165, v37, 0
	v_cmp_ne_u32_e64 s15, 0, v37
	v_cmp_eq_u32_e32 vcc_lo, 0, v165
	s_and_b32 s16, s15, vcc_lo
	s_wait_alu 0xfffe
	s_and_saveexec_b32 s15, s16
	s_cbranch_execz .LBB1463_153
; %bb.152:                              ;   in Loop: Header=BB1463_101 Depth=2
	s_wait_dscnt 0x0
	v_bcnt_u32_b32 v37, v37, v164
	ds_store_b32 v166, v37 offset:1056
.LBB1463_153:                           ;   in Loop: Header=BB1463_101 Depth=2
	s_wait_alu 0xfffe
	s_or_b32 exec_lo, exec_lo, s15
	v_cmp_lt_i32_e32 vcc_lo, -1, v162
	; wave barrier
	s_wait_alu 0xfffd
	v_cndmask_b32_e64 v37, -1, 0x80000000, vcc_lo
	s_delay_alu instid0(VALU_DEP_1) | instskip(NEXT) | instid1(VALU_DEP_1)
	v_xor_b32_e32 v162, v37, v162
	v_cmp_ne_u32_e32 vcc_lo, 0x7fffffff, v162
	s_wait_alu 0xfffd
	v_cndmask_b32_e32 v37, 0x80000000, v162, vcc_lo
	s_delay_alu instid0(VALU_DEP_1) | instskip(NEXT) | instid1(VALU_DEP_1)
	v_lshrrev_b32_e32 v37, s31, v37
	v_and_b32_e32 v167, s48, v37
	s_delay_alu instid0(VALU_DEP_1)
	v_and_b32_e32 v37, 1, v167
	v_lshlrev_b32_e32 v168, 30, v167
	v_lshlrev_b32_e32 v169, 29, v167
	;; [unrolled: 1-line block ×4, first 2 shown]
	v_add_co_u32 v37, s15, v37, -1
	s_wait_alu 0xf1ff
	v_cndmask_b32_e64 v171, 0, 1, s15
	v_not_b32_e32 v175, v168
	v_cmp_gt_i32_e64 s15, 0, v168
	v_not_b32_e32 v168, v169
	v_lshlrev_b32_e32 v173, 26, v167
	v_cmp_ne_u32_e32 vcc_lo, 0, v171
	v_ashrrev_i32_e32 v175, 31, v175
	v_lshlrev_b32_e32 v174, 25, v167
	v_ashrrev_i32_e32 v168, 31, v168
	v_lshlrev_b32_e32 v171, 24, v167
	s_wait_alu 0xfffd
	v_xor_b32_e32 v37, vcc_lo, v37
	v_cmp_gt_i32_e32 vcc_lo, 0, v169
	v_not_b32_e32 v169, v170
	s_wait_alu 0xf1ff
	v_xor_b32_e32 v175, s15, v175
	v_cmp_gt_i32_e64 s15, 0, v170
	v_and_b32_e32 v37, exec_lo, v37
	v_not_b32_e32 v170, v172
	v_ashrrev_i32_e32 v169, 31, v169
	s_wait_alu 0xfffd
	v_xor_b32_e32 v168, vcc_lo, v168
	v_cmp_gt_i32_e32 vcc_lo, 0, v172
	v_and_b32_e32 v37, v37, v175
	v_not_b32_e32 v172, v173
	v_ashrrev_i32_e32 v170, 31, v170
	s_wait_alu 0xf1ff
	v_xor_b32_e32 v169, s15, v169
	v_cmp_gt_i32_e64 s15, 0, v173
	v_and_b32_e32 v37, v37, v168
	v_not_b32_e32 v168, v174
	v_ashrrev_i32_e32 v172, 31, v172
	s_wait_alu 0xfffd
	v_xor_b32_e32 v170, vcc_lo, v170
	v_cmp_gt_i32_e32 vcc_lo, 0, v174
	v_and_b32_e32 v37, v37, v169
	v_not_b32_e32 v169, v171
	v_ashrrev_i32_e32 v168, 31, v168
	s_wait_alu 0xf1ff
	v_xor_b32_e32 v172, s15, v172
	v_cmp_gt_i32_e64 s15, 0, v171
	v_and_b32_e32 v37, v37, v170
	v_ashrrev_i32_e32 v169, 31, v169
	s_wait_alu 0xfffd
	v_xor_b32_e32 v168, vcc_lo, v168
	v_mad_u32_u24 v170, v167, 36, v114
	v_mul_u32_u24_e32 v167, 36, v167
	v_and_b32_e32 v37, v37, v172
	s_wait_alu 0xf1ff
	v_xor_b32_e32 v169, s15, v169
	s_delay_alu instid0(VALU_DEP_2) | instskip(SKIP_3) | instid1(VALU_DEP_1)
	v_and_b32_e32 v37, v37, v168
	ds_load_b32 v168, v170 offset:1056
	v_add_nc_u32_e32 v170, v114, v167
	; wave barrier
	v_and_b32_e32 v37, v37, v169
	v_mbcnt_lo_u32_b32 v169, v37, 0
	v_cmp_ne_u32_e64 s15, 0, v37
	s_delay_alu instid0(VALU_DEP_2)
	v_cmp_eq_u32_e32 vcc_lo, 0, v169
	s_and_b32 s16, s15, vcc_lo
	s_wait_alu 0xfffe
	s_and_saveexec_b32 s15, s16
	s_cbranch_execz .LBB1463_155
; %bb.154:                              ;   in Loop: Header=BB1463_101 Depth=2
	s_wait_dscnt 0x0
	v_bcnt_u32_b32 v37, v37, v168
	ds_store_b32 v170, v37 offset:1056
.LBB1463_155:                           ;   in Loop: Header=BB1463_101 Depth=2
	s_wait_alu 0xfffe
	s_or_b32 exec_lo, exec_lo, s15
	v_cmp_lt_i32_e32 vcc_lo, -1, v43
	; wave barrier
	s_wait_alu 0xfffd
	v_cndmask_b32_e64 v37, -1, 0x80000000, vcc_lo
	s_delay_alu instid0(VALU_DEP_1) | instskip(NEXT) | instid1(VALU_DEP_1)
	v_xor_b32_e32 v167, v37, v43
	v_cmp_ne_u32_e32 vcc_lo, 0x7fffffff, v167
	s_wait_alu 0xfffd
	v_cndmask_b32_e32 v37, 0x80000000, v167, vcc_lo
	s_delay_alu instid0(VALU_DEP_1) | instskip(NEXT) | instid1(VALU_DEP_1)
	v_lshrrev_b32_e32 v37, s31, v37
	v_and_b32_e32 v43, s48, v37
	s_delay_alu instid0(VALU_DEP_1)
	v_and_b32_e32 v37, 1, v43
	v_lshlrev_b32_e32 v171, 30, v43
	v_lshlrev_b32_e32 v172, 29, v43
	;; [unrolled: 1-line block ×4, first 2 shown]
	v_add_co_u32 v37, s15, v37, -1
	s_wait_alu 0xf1ff
	v_cndmask_b32_e64 v174, 0, 1, s15
	v_not_b32_e32 v178, v171
	v_cmp_gt_i32_e64 s15, 0, v171
	v_not_b32_e32 v171, v172
	v_lshlrev_b32_e32 v176, 26, v43
	v_cmp_ne_u32_e32 vcc_lo, 0, v174
	v_ashrrev_i32_e32 v178, 31, v178
	v_lshlrev_b32_e32 v177, 25, v43
	v_ashrrev_i32_e32 v171, 31, v171
	v_lshlrev_b32_e32 v174, 24, v43
	s_wait_alu 0xfffd
	v_xor_b32_e32 v37, vcc_lo, v37
	v_cmp_gt_i32_e32 vcc_lo, 0, v172
	v_not_b32_e32 v172, v173
	s_wait_alu 0xf1ff
	v_xor_b32_e32 v178, s15, v178
	v_cmp_gt_i32_e64 s15, 0, v173
	v_and_b32_e32 v37, exec_lo, v37
	v_not_b32_e32 v173, v175
	v_ashrrev_i32_e32 v172, 31, v172
	s_wait_alu 0xfffd
	v_xor_b32_e32 v171, vcc_lo, v171
	v_cmp_gt_i32_e32 vcc_lo, 0, v175
	v_and_b32_e32 v37, v37, v178
	v_not_b32_e32 v175, v176
	v_ashrrev_i32_e32 v173, 31, v173
	s_wait_alu 0xf1ff
	v_xor_b32_e32 v172, s15, v172
	v_cmp_gt_i32_e64 s15, 0, v176
	v_and_b32_e32 v37, v37, v171
	v_not_b32_e32 v171, v177
	v_ashrrev_i32_e32 v175, 31, v175
	s_wait_alu 0xfffd
	v_xor_b32_e32 v173, vcc_lo, v173
	v_cmp_gt_i32_e32 vcc_lo, 0, v177
	v_and_b32_e32 v37, v37, v172
	v_not_b32_e32 v172, v174
	v_ashrrev_i32_e32 v171, 31, v171
	s_wait_alu 0xf1ff
	v_xor_b32_e32 v175, s15, v175
	v_cmp_gt_i32_e64 s15, 0, v174
	v_and_b32_e32 v37, v37, v173
	v_ashrrev_i32_e32 v172, 31, v172
	s_wait_alu 0xfffd
	v_xor_b32_e32 v171, vcc_lo, v171
	v_mad_u32_u24 v173, v43, 36, v114
	v_mul_u32_u24_e32 v43, 36, v43
	v_and_b32_e32 v37, v37, v175
	s_wait_alu 0xf1ff
	v_xor_b32_e32 v174, s15, v172
	ds_load_b32 v172, v173 offset:1056
	v_and_b32_e32 v37, v37, v171
	; wave barrier
	s_delay_alu instid0(VALU_DEP_1) | instskip(SKIP_1) | instid1(VALU_DEP_2)
	v_and_b32_e32 v37, v37, v174
	v_add_nc_u32_e32 v174, v114, v43
	v_mbcnt_lo_u32_b32 v173, v37, 0
	v_cmp_ne_u32_e64 s15, 0, v37
	s_delay_alu instid0(VALU_DEP_2)
	v_cmp_eq_u32_e32 vcc_lo, 0, v173
	s_and_b32 s16, s15, vcc_lo
	s_wait_alu 0xfffe
	s_and_saveexec_b32 s15, s16
	s_cbranch_execz .LBB1463_157
; %bb.156:                              ;   in Loop: Header=BB1463_101 Depth=2
	s_wait_dscnt 0x0
	v_bcnt_u32_b32 v37, v37, v172
	ds_store_b32 v174, v37 offset:1056
.LBB1463_157:                           ;   in Loop: Header=BB1463_101 Depth=2
	s_wait_alu 0xfffe
	s_or_b32 exec_lo, exec_lo, s15
	v_cmp_lt_i32_e32 vcc_lo, -1, v42
	; wave barrier
	s_wait_alu 0xfffd
	v_cndmask_b32_e64 v37, -1, 0x80000000, vcc_lo
	s_delay_alu instid0(VALU_DEP_1) | instskip(NEXT) | instid1(VALU_DEP_1)
	v_xor_b32_e32 v171, v37, v42
	v_cmp_ne_u32_e32 vcc_lo, 0x7fffffff, v171
	s_wait_alu 0xfffd
	v_cndmask_b32_e32 v37, 0x80000000, v171, vcc_lo
	s_delay_alu instid0(VALU_DEP_1) | instskip(NEXT) | instid1(VALU_DEP_1)
	v_lshrrev_b32_e32 v37, s31, v37
	v_and_b32_e32 v42, s48, v37
	s_delay_alu instid0(VALU_DEP_1)
	v_and_b32_e32 v37, 1, v42
	v_lshlrev_b32_e32 v43, 30, v42
	v_lshlrev_b32_e32 v175, 29, v42
	;; [unrolled: 1-line block ×4, first 2 shown]
	v_add_co_u32 v37, s15, v37, -1
	s_wait_alu 0xf1ff
	v_cndmask_b32_e64 v177, 0, 1, s15
	v_not_b32_e32 v181, v43
	v_cmp_gt_i32_e64 s15, 0, v43
	v_not_b32_e32 v43, v175
	v_lshlrev_b32_e32 v179, 26, v42
	v_cmp_ne_u32_e32 vcc_lo, 0, v177
	v_ashrrev_i32_e32 v181, 31, v181
	v_lshlrev_b32_e32 v180, 25, v42
	v_ashrrev_i32_e32 v43, 31, v43
	v_lshlrev_b32_e32 v177, 24, v42
	s_wait_alu 0xfffd
	v_xor_b32_e32 v37, vcc_lo, v37
	v_cmp_gt_i32_e32 vcc_lo, 0, v175
	v_not_b32_e32 v175, v176
	s_wait_alu 0xf1ff
	v_xor_b32_e32 v181, s15, v181
	v_cmp_gt_i32_e64 s15, 0, v176
	v_and_b32_e32 v37, exec_lo, v37
	v_not_b32_e32 v176, v178
	v_ashrrev_i32_e32 v175, 31, v175
	s_wait_alu 0xfffd
	v_xor_b32_e32 v43, vcc_lo, v43
	v_cmp_gt_i32_e32 vcc_lo, 0, v178
	v_and_b32_e32 v37, v37, v181
	v_not_b32_e32 v178, v179
	v_ashrrev_i32_e32 v176, 31, v176
	s_wait_alu 0xf1ff
	v_xor_b32_e32 v175, s15, v175
	v_cmp_gt_i32_e64 s15, 0, v179
	v_and_b32_e32 v37, v37, v43
	v_not_b32_e32 v43, v180
	v_ashrrev_i32_e32 v178, 31, v178
	s_wait_alu 0xfffd
	v_xor_b32_e32 v176, vcc_lo, v176
	v_cmp_gt_i32_e32 vcc_lo, 0, v180
	v_and_b32_e32 v37, v37, v175
	v_not_b32_e32 v175, v177
	v_ashrrev_i32_e32 v43, 31, v43
	s_wait_alu 0xf1ff
	v_xor_b32_e32 v178, s15, v178
	v_cmp_gt_i32_e64 s15, 0, v177
	v_and_b32_e32 v37, v37, v176
	v_ashrrev_i32_e32 v175, 31, v175
	s_wait_alu 0xfffd
	v_xor_b32_e32 v43, vcc_lo, v43
	v_mad_u32_u24 v176, v42, 36, v114
	v_mul_u32_u24_e32 v42, 36, v42
	v_and_b32_e32 v37, v37, v178
	s_wait_alu 0xf1ff
	v_xor_b32_e32 v175, s15, v175
	ds_load_b32 v176, v176 offset:1056
	v_add_nc_u32_e32 v178, v114, v42
	v_and_b32_e32 v37, v37, v43
	; wave barrier
	s_delay_alu instid0(VALU_DEP_1) | instskip(NEXT) | instid1(VALU_DEP_1)
	v_and_b32_e32 v37, v37, v175
	v_mbcnt_lo_u32_b32 v177, v37, 0
	v_cmp_ne_u32_e64 s15, 0, v37
	s_delay_alu instid0(VALU_DEP_2)
	v_cmp_eq_u32_e32 vcc_lo, 0, v177
	s_and_b32 s16, s15, vcc_lo
	s_wait_alu 0xfffe
	s_and_saveexec_b32 s15, s16
	s_cbranch_execz .LBB1463_159
; %bb.158:                              ;   in Loop: Header=BB1463_101 Depth=2
	s_wait_dscnt 0x0
	v_bcnt_u32_b32 v37, v37, v176
	ds_store_b32 v178, v37 offset:1056
.LBB1463_159:                           ;   in Loop: Header=BB1463_101 Depth=2
	s_wait_alu 0xfffe
	s_or_b32 exec_lo, exec_lo, s15
	v_cmp_lt_i32_e32 vcc_lo, -1, v41
	; wave barrier
	s_wait_alu 0xfffd
	v_cndmask_b32_e64 v37, -1, 0x80000000, vcc_lo
	s_delay_alu instid0(VALU_DEP_1) | instskip(NEXT) | instid1(VALU_DEP_1)
	v_xor_b32_e32 v175, v37, v41
	v_cmp_ne_u32_e32 vcc_lo, 0x7fffffff, v175
	s_wait_alu 0xfffd
	v_cndmask_b32_e32 v37, 0x80000000, v175, vcc_lo
	s_delay_alu instid0(VALU_DEP_1) | instskip(NEXT) | instid1(VALU_DEP_1)
	v_lshrrev_b32_e32 v37, s31, v37
	v_and_b32_e32 v41, s48, v37
	s_delay_alu instid0(VALU_DEP_1)
	v_and_b32_e32 v37, 1, v41
	v_lshlrev_b32_e32 v42, 30, v41
	v_lshlrev_b32_e32 v43, 29, v41
	;; [unrolled: 1-line block ×4, first 2 shown]
	v_add_co_u32 v37, s15, v37, -1
	s_wait_alu 0xf1ff
	v_cndmask_b32_e64 v180, 0, 1, s15
	v_not_b32_e32 v184, v42
	v_cmp_gt_i32_e64 s15, 0, v42
	v_not_b32_e32 v42, v43
	v_lshlrev_b32_e32 v182, 26, v41
	v_cmp_ne_u32_e32 vcc_lo, 0, v180
	v_ashrrev_i32_e32 v184, 31, v184
	v_lshlrev_b32_e32 v183, 25, v41
	v_ashrrev_i32_e32 v42, 31, v42
	v_lshlrev_b32_e32 v180, 24, v41
	s_wait_alu 0xfffd
	v_xor_b32_e32 v37, vcc_lo, v37
	v_cmp_gt_i32_e32 vcc_lo, 0, v43
	v_not_b32_e32 v43, v179
	s_wait_alu 0xf1ff
	v_xor_b32_e32 v184, s15, v184
	v_cmp_gt_i32_e64 s15, 0, v179
	v_and_b32_e32 v37, exec_lo, v37
	v_not_b32_e32 v179, v181
	v_ashrrev_i32_e32 v43, 31, v43
	s_wait_alu 0xfffd
	v_xor_b32_e32 v42, vcc_lo, v42
	v_cmp_gt_i32_e32 vcc_lo, 0, v181
	v_and_b32_e32 v37, v37, v184
	v_not_b32_e32 v181, v182
	v_ashrrev_i32_e32 v179, 31, v179
	s_wait_alu 0xf1ff
	v_xor_b32_e32 v43, s15, v43
	v_cmp_gt_i32_e64 s15, 0, v182
	v_and_b32_e32 v37, v37, v42
	v_not_b32_e32 v42, v183
	v_ashrrev_i32_e32 v181, 31, v181
	s_wait_alu 0xfffd
	v_xor_b32_e32 v179, vcc_lo, v179
	v_cmp_gt_i32_e32 vcc_lo, 0, v183
	v_and_b32_e32 v37, v37, v43
	v_not_b32_e32 v43, v180
	v_ashrrev_i32_e32 v42, 31, v42
	s_wait_alu 0xf1ff
	v_xor_b32_e32 v181, s15, v181
	v_cmp_gt_i32_e64 s15, 0, v180
	v_and_b32_e32 v37, v37, v179
	v_ashrrev_i32_e32 v43, 31, v43
	s_wait_alu 0xfffd
	v_xor_b32_e32 v42, vcc_lo, v42
	v_mad_u32_u24 v179, v41, 36, v114
	v_mul_u32_u24_e32 v41, 36, v41
	v_and_b32_e32 v37, v37, v181
	s_wait_alu 0xf1ff
	v_xor_b32_e32 v43, s15, v43
	ds_load_b32 v180, v179 offset:1056
	v_add_nc_u32_e32 v182, v114, v41
	v_and_b32_e32 v37, v37, v42
	; wave barrier
	s_delay_alu instid0(VALU_DEP_1) | instskip(NEXT) | instid1(VALU_DEP_1)
	v_and_b32_e32 v37, v37, v43
	v_mbcnt_lo_u32_b32 v181, v37, 0
	v_cmp_ne_u32_e64 s15, 0, v37
	s_delay_alu instid0(VALU_DEP_2)
	v_cmp_eq_u32_e32 vcc_lo, 0, v181
	s_and_b32 s16, s15, vcc_lo
	s_wait_alu 0xfffe
	s_and_saveexec_b32 s15, s16
	s_cbranch_execz .LBB1463_161
; %bb.160:                              ;   in Loop: Header=BB1463_101 Depth=2
	s_wait_dscnt 0x0
	v_bcnt_u32_b32 v37, v37, v180
	ds_store_b32 v182, v37 offset:1056
.LBB1463_161:                           ;   in Loop: Header=BB1463_101 Depth=2
	s_wait_alu 0xfffe
	s_or_b32 exec_lo, exec_lo, s15
	v_cmp_lt_i32_e32 vcc_lo, -1, v40
	; wave barrier
	s_wait_alu 0xfffd
	v_cndmask_b32_e64 v37, -1, 0x80000000, vcc_lo
	s_delay_alu instid0(VALU_DEP_1) | instskip(NEXT) | instid1(VALU_DEP_1)
	v_xor_b32_e32 v179, v37, v40
	v_cmp_ne_u32_e32 vcc_lo, 0x7fffffff, v179
	s_wait_alu 0xfffd
	v_cndmask_b32_e32 v37, 0x80000000, v179, vcc_lo
	s_delay_alu instid0(VALU_DEP_1) | instskip(NEXT) | instid1(VALU_DEP_1)
	v_lshrrev_b32_e32 v37, s31, v37
	v_and_b32_e32 v40, s48, v37
	s_delay_alu instid0(VALU_DEP_1)
	v_and_b32_e32 v37, 1, v40
	v_lshlrev_b32_e32 v41, 30, v40
	v_lshlrev_b32_e32 v42, 29, v40
	;; [unrolled: 1-line block ×4, first 2 shown]
	v_add_co_u32 v37, s15, v37, -1
	s_wait_alu 0xf1ff
	v_cndmask_b32_e64 v183, 0, 1, s15
	v_not_b32_e32 v187, v41
	v_cmp_gt_i32_e64 s15, 0, v41
	v_not_b32_e32 v41, v42
	v_lshlrev_b32_e32 v185, 26, v40
	v_cmp_ne_u32_e32 vcc_lo, 0, v183
	v_ashrrev_i32_e32 v187, 31, v187
	v_lshlrev_b32_e32 v186, 25, v40
	v_ashrrev_i32_e32 v41, 31, v41
	v_lshlrev_b32_e32 v183, 24, v40
	s_wait_alu 0xfffd
	v_xor_b32_e32 v37, vcc_lo, v37
	v_cmp_gt_i32_e32 vcc_lo, 0, v42
	v_not_b32_e32 v42, v43
	s_wait_alu 0xf1ff
	v_xor_b32_e32 v187, s15, v187
	v_cmp_gt_i32_e64 s15, 0, v43
	v_and_b32_e32 v37, exec_lo, v37
	v_not_b32_e32 v43, v184
	v_ashrrev_i32_e32 v42, 31, v42
	s_wait_alu 0xfffd
	v_xor_b32_e32 v41, vcc_lo, v41
	v_cmp_gt_i32_e32 vcc_lo, 0, v184
	v_and_b32_e32 v37, v37, v187
	v_not_b32_e32 v184, v185
	v_ashrrev_i32_e32 v43, 31, v43
	s_wait_alu 0xf1ff
	v_xor_b32_e32 v42, s15, v42
	v_cmp_gt_i32_e64 s15, 0, v185
	v_and_b32_e32 v37, v37, v41
	v_not_b32_e32 v41, v186
	v_ashrrev_i32_e32 v184, 31, v184
	s_wait_alu 0xfffd
	v_xor_b32_e32 v43, vcc_lo, v43
	v_cmp_gt_i32_e32 vcc_lo, 0, v186
	v_and_b32_e32 v37, v37, v42
	v_not_b32_e32 v42, v183
	v_ashrrev_i32_e32 v41, 31, v41
	s_wait_alu 0xf1ff
	v_xor_b32_e32 v184, s15, v184
	v_cmp_gt_i32_e64 s15, 0, v183
	v_and_b32_e32 v37, v37, v43
	v_ashrrev_i32_e32 v42, 31, v42
	s_wait_alu 0xfffd
	v_xor_b32_e32 v41, vcc_lo, v41
	v_mad_u32_u24 v43, v40, 36, v114
	v_mul_u32_u24_e32 v40, 36, v40
	v_and_b32_e32 v37, v37, v184
	s_wait_alu 0xf1ff
	v_xor_b32_e32 v42, s15, v42
	ds_load_b32 v184, v43 offset:1056
	v_add_nc_u32_e32 v186, v114, v40
	v_and_b32_e32 v37, v37, v41
	; wave barrier
	s_delay_alu instid0(VALU_DEP_1) | instskip(NEXT) | instid1(VALU_DEP_1)
	v_and_b32_e32 v37, v37, v42
	v_mbcnt_lo_u32_b32 v185, v37, 0
	v_cmp_ne_u32_e64 s15, 0, v37
	s_delay_alu instid0(VALU_DEP_2)
	v_cmp_eq_u32_e32 vcc_lo, 0, v185
	s_and_b32 s16, s15, vcc_lo
	s_wait_alu 0xfffe
	s_and_saveexec_b32 s15, s16
	s_cbranch_execz .LBB1463_163
; %bb.162:                              ;   in Loop: Header=BB1463_101 Depth=2
	s_wait_dscnt 0x0
	v_bcnt_u32_b32 v37, v37, v184
	ds_store_b32 v186, v37 offset:1056
.LBB1463_163:                           ;   in Loop: Header=BB1463_101 Depth=2
	s_wait_alu 0xfffe
	s_or_b32 exec_lo, exec_lo, s15
	v_cmp_lt_i32_e32 vcc_lo, -1, v39
	; wave barrier
	s_wait_alu 0xfffd
	v_cndmask_b32_e64 v37, -1, 0x80000000, vcc_lo
	s_delay_alu instid0(VALU_DEP_1) | instskip(NEXT) | instid1(VALU_DEP_1)
	v_xor_b32_e32 v183, v37, v39
	v_cmp_ne_u32_e32 vcc_lo, 0x7fffffff, v183
	s_wait_alu 0xfffd
	v_cndmask_b32_e32 v37, 0x80000000, v183, vcc_lo
	s_delay_alu instid0(VALU_DEP_1) | instskip(NEXT) | instid1(VALU_DEP_1)
	v_lshrrev_b32_e32 v37, s31, v37
	v_and_b32_e32 v39, s48, v37
	s_delay_alu instid0(VALU_DEP_1)
	v_and_b32_e32 v37, 1, v39
	v_lshlrev_b32_e32 v40, 30, v39
	v_lshlrev_b32_e32 v41, 29, v39
	;; [unrolled: 1-line block ×4, first 2 shown]
	v_add_co_u32 v37, s15, v37, -1
	s_wait_alu 0xf1ff
	v_cndmask_b32_e64 v43, 0, 1, s15
	v_not_b32_e32 v190, v40
	v_cmp_gt_i32_e64 s15, 0, v40
	v_not_b32_e32 v40, v41
	v_lshlrev_b32_e32 v188, 26, v39
	v_cmp_ne_u32_e32 vcc_lo, 0, v43
	v_ashrrev_i32_e32 v190, 31, v190
	v_lshlrev_b32_e32 v189, 25, v39
	v_ashrrev_i32_e32 v40, 31, v40
	v_lshlrev_b32_e32 v43, 24, v39
	s_wait_alu 0xfffd
	v_xor_b32_e32 v37, vcc_lo, v37
	v_cmp_gt_i32_e32 vcc_lo, 0, v41
	v_not_b32_e32 v41, v42
	s_wait_alu 0xf1ff
	v_xor_b32_e32 v190, s15, v190
	v_cmp_gt_i32_e64 s15, 0, v42
	v_and_b32_e32 v37, exec_lo, v37
	v_not_b32_e32 v42, v187
	v_ashrrev_i32_e32 v41, 31, v41
	s_wait_alu 0xfffd
	v_xor_b32_e32 v40, vcc_lo, v40
	v_cmp_gt_i32_e32 vcc_lo, 0, v187
	v_and_b32_e32 v37, v37, v190
	v_not_b32_e32 v187, v188
	v_ashrrev_i32_e32 v42, 31, v42
	s_wait_alu 0xf1ff
	v_xor_b32_e32 v41, s15, v41
	v_cmp_gt_i32_e64 s15, 0, v188
	v_and_b32_e32 v37, v37, v40
	v_not_b32_e32 v40, v189
	v_ashrrev_i32_e32 v187, 31, v187
	s_wait_alu 0xfffd
	v_xor_b32_e32 v42, vcc_lo, v42
	v_cmp_gt_i32_e32 vcc_lo, 0, v189
	v_and_b32_e32 v37, v37, v41
	v_not_b32_e32 v41, v43
	v_ashrrev_i32_e32 v40, 31, v40
	s_wait_alu 0xf1ff
	v_xor_b32_e32 v187, s15, v187
	v_cmp_gt_i32_e64 s15, 0, v43
	v_and_b32_e32 v37, v37, v42
	v_ashrrev_i32_e32 v41, 31, v41
	s_wait_alu 0xfffd
	v_xor_b32_e32 v40, vcc_lo, v40
	v_mad_u32_u24 v42, v39, 36, v114
	v_mul_u32_u24_e32 v39, 36, v39
	v_and_b32_e32 v37, v37, v187
	s_wait_alu 0xf1ff
	v_xor_b32_e32 v41, s15, v41
	ds_load_b32 v188, v42 offset:1056
	v_add_nc_u32_e32 v190, v114, v39
	v_and_b32_e32 v37, v37, v40
	; wave barrier
	s_delay_alu instid0(VALU_DEP_1) | instskip(NEXT) | instid1(VALU_DEP_1)
	v_and_b32_e32 v37, v37, v41
	v_mbcnt_lo_u32_b32 v189, v37, 0
	v_cmp_ne_u32_e64 s15, 0, v37
	s_delay_alu instid0(VALU_DEP_2)
	v_cmp_eq_u32_e32 vcc_lo, 0, v189
	s_and_b32 s16, s15, vcc_lo
	s_wait_alu 0xfffe
	s_and_saveexec_b32 s15, s16
	s_cbranch_execz .LBB1463_165
; %bb.164:                              ;   in Loop: Header=BB1463_101 Depth=2
	s_wait_dscnt 0x0
	v_bcnt_u32_b32 v37, v37, v188
	ds_store_b32 v190, v37 offset:1056
.LBB1463_165:                           ;   in Loop: Header=BB1463_101 Depth=2
	s_wait_alu 0xfffe
	s_or_b32 exec_lo, exec_lo, s15
	v_cmp_lt_i32_e32 vcc_lo, -1, v38
	; wave barrier
	s_wait_alu 0xfffd
	v_cndmask_b32_e64 v37, -1, 0x80000000, vcc_lo
	s_delay_alu instid0(VALU_DEP_1) | instskip(NEXT) | instid1(VALU_DEP_1)
	v_xor_b32_e32 v187, v37, v38
	v_cmp_ne_u32_e32 vcc_lo, 0x7fffffff, v187
	s_wait_alu 0xfffd
	v_cndmask_b32_e32 v37, 0x80000000, v187, vcc_lo
	s_delay_alu instid0(VALU_DEP_1) | instskip(NEXT) | instid1(VALU_DEP_1)
	v_lshrrev_b32_e32 v37, s31, v37
	v_and_b32_e32 v38, s48, v37
	s_delay_alu instid0(VALU_DEP_1)
	v_and_b32_e32 v37, 1, v38
	v_lshlrev_b32_e32 v39, 30, v38
	v_lshlrev_b32_e32 v40, 29, v38
	;; [unrolled: 1-line block ×4, first 2 shown]
	v_add_co_u32 v37, s15, v37, -1
	s_wait_alu 0xf1ff
	v_cndmask_b32_e64 v42, 0, 1, s15
	v_not_b32_e32 v193, v39
	v_cmp_gt_i32_e64 s15, 0, v39
	v_not_b32_e32 v39, v40
	v_lshlrev_b32_e32 v191, 26, v38
	v_cmp_ne_u32_e32 vcc_lo, 0, v42
	v_ashrrev_i32_e32 v193, 31, v193
	v_lshlrev_b32_e32 v192, 25, v38
	v_ashrrev_i32_e32 v39, 31, v39
	v_lshlrev_b32_e32 v42, 24, v38
	s_wait_alu 0xfffd
	v_xor_b32_e32 v37, vcc_lo, v37
	v_cmp_gt_i32_e32 vcc_lo, 0, v40
	v_not_b32_e32 v40, v41
	s_wait_alu 0xf1ff
	v_xor_b32_e32 v193, s15, v193
	v_cmp_gt_i32_e64 s15, 0, v41
	v_and_b32_e32 v37, exec_lo, v37
	v_not_b32_e32 v41, v43
	v_ashrrev_i32_e32 v40, 31, v40
	s_wait_alu 0xfffd
	v_xor_b32_e32 v39, vcc_lo, v39
	v_cmp_gt_i32_e32 vcc_lo, 0, v43
	v_and_b32_e32 v37, v37, v193
	v_not_b32_e32 v43, v191
	v_ashrrev_i32_e32 v41, 31, v41
	s_wait_alu 0xf1ff
	v_xor_b32_e32 v40, s15, v40
	v_cmp_gt_i32_e64 s15, 0, v191
	v_and_b32_e32 v37, v37, v39
	v_not_b32_e32 v39, v192
	v_ashrrev_i32_e32 v43, 31, v43
	s_wait_alu 0xfffd
	v_xor_b32_e32 v41, vcc_lo, v41
	v_cmp_gt_i32_e32 vcc_lo, 0, v192
	v_and_b32_e32 v37, v37, v40
	v_not_b32_e32 v40, v42
	v_ashrrev_i32_e32 v39, 31, v39
	s_wait_alu 0xf1ff
	v_xor_b32_e32 v43, s15, v43
	v_cmp_gt_i32_e64 s15, 0, v42
	v_and_b32_e32 v37, v37, v41
	v_ashrrev_i32_e32 v40, 31, v40
	s_wait_alu 0xfffd
	v_xor_b32_e32 v39, vcc_lo, v39
	v_mad_u32_u24 v41, v38, 36, v114
	v_mul_u32_u24_e32 v38, 36, v38
	v_and_b32_e32 v37, v37, v43
	s_wait_alu 0xf1ff
	v_xor_b32_e32 v40, s15, v40
	ds_load_b32 v192, v41 offset:1056
	v_add_nc_u32_e32 v194, v114, v38
	v_and_b32_e32 v37, v37, v39
	; wave barrier
	s_delay_alu instid0(VALU_DEP_1) | instskip(NEXT) | instid1(VALU_DEP_1)
	v_and_b32_e32 v37, v37, v40
	v_mbcnt_lo_u32_b32 v193, v37, 0
	v_cmp_ne_u32_e64 s15, 0, v37
	s_delay_alu instid0(VALU_DEP_2)
	v_cmp_eq_u32_e32 vcc_lo, 0, v193
	s_and_b32 s16, s15, vcc_lo
	s_wait_alu 0xfffe
	s_and_saveexec_b32 s15, s16
	s_cbranch_execz .LBB1463_167
; %bb.166:                              ;   in Loop: Header=BB1463_101 Depth=2
	s_wait_dscnt 0x0
	v_bcnt_u32_b32 v37, v37, v192
	ds_store_b32 v194, v37 offset:1056
.LBB1463_167:                           ;   in Loop: Header=BB1463_101 Depth=2
	s_wait_alu 0xfffe
	s_or_b32 exec_lo, exec_lo, s15
	v_cmp_lt_i32_e32 vcc_lo, -1, v36
	; wave barrier
	s_wait_alu 0xfffd
	v_cndmask_b32_e64 v37, -1, 0x80000000, vcc_lo
	s_delay_alu instid0(VALU_DEP_1) | instskip(NEXT) | instid1(VALU_DEP_1)
	v_xor_b32_e32 v191, v37, v36
	v_cmp_ne_u32_e32 vcc_lo, 0x7fffffff, v191
	s_wait_alu 0xfffd
	v_cndmask_b32_e32 v36, 0x80000000, v191, vcc_lo
	s_delay_alu instid0(VALU_DEP_1) | instskip(NEXT) | instid1(VALU_DEP_1)
	v_lshrrev_b32_e32 v36, s31, v36
	v_and_b32_e32 v37, s48, v36
	s_delay_alu instid0(VALU_DEP_1)
	v_and_b32_e32 v36, 1, v37
	v_lshlrev_b32_e32 v38, 30, v37
	v_lshlrev_b32_e32 v39, 29, v37
	;; [unrolled: 1-line block ×4, first 2 shown]
	v_add_co_u32 v36, s15, v36, -1
	s_wait_alu 0xf1ff
	v_cndmask_b32_e64 v41, 0, 1, s15
	v_not_b32_e32 v196, v38
	v_cmp_gt_i32_e64 s15, 0, v38
	v_not_b32_e32 v38, v39
	v_lshlrev_b32_e32 v43, 26, v37
	v_cmp_ne_u32_e32 vcc_lo, 0, v41
	v_ashrrev_i32_e32 v196, 31, v196
	v_lshlrev_b32_e32 v195, 25, v37
	v_ashrrev_i32_e32 v38, 31, v38
	v_lshlrev_b32_e32 v41, 24, v37
	s_wait_alu 0xfffd
	v_xor_b32_e32 v36, vcc_lo, v36
	v_cmp_gt_i32_e32 vcc_lo, 0, v39
	v_not_b32_e32 v39, v40
	s_wait_alu 0xf1ff
	v_xor_b32_e32 v196, s15, v196
	v_cmp_gt_i32_e64 s15, 0, v40
	v_and_b32_e32 v36, exec_lo, v36
	v_not_b32_e32 v40, v42
	v_ashrrev_i32_e32 v39, 31, v39
	s_wait_alu 0xfffd
	v_xor_b32_e32 v38, vcc_lo, v38
	v_cmp_gt_i32_e32 vcc_lo, 0, v42
	v_and_b32_e32 v36, v36, v196
	v_not_b32_e32 v42, v43
	v_ashrrev_i32_e32 v40, 31, v40
	s_wait_alu 0xf1ff
	v_xor_b32_e32 v39, s15, v39
	v_cmp_gt_i32_e64 s15, 0, v43
	v_and_b32_e32 v36, v36, v38
	v_not_b32_e32 v38, v195
	v_ashrrev_i32_e32 v42, 31, v42
	s_wait_alu 0xfffd
	v_xor_b32_e32 v40, vcc_lo, v40
	v_cmp_gt_i32_e32 vcc_lo, 0, v195
	v_and_b32_e32 v36, v36, v39
	v_not_b32_e32 v39, v41
	v_ashrrev_i32_e32 v38, 31, v38
	s_wait_alu 0xf1ff
	v_xor_b32_e32 v42, s15, v42
	v_cmp_gt_i32_e64 s15, 0, v41
	v_and_b32_e32 v36, v36, v40
	v_ashrrev_i32_e32 v39, 31, v39
	s_wait_alu 0xfffd
	v_xor_b32_e32 v38, vcc_lo, v38
	v_mad_u32_u24 v40, v37, 36, v114
	v_mul_u32_u24_e32 v37, 36, v37
	v_and_b32_e32 v36, v36, v42
	s_wait_alu 0xf1ff
	v_xor_b32_e32 v39, s15, v39
	ds_load_b32 v195, v40 offset:1056
	v_add_nc_u32_e32 v197, v114, v37
	v_and_b32_e32 v36, v36, v38
	; wave barrier
	s_delay_alu instid0(VALU_DEP_1) | instskip(NEXT) | instid1(VALU_DEP_1)
	v_and_b32_e32 v36, v36, v39
	v_mbcnt_lo_u32_b32 v196, v36, 0
	v_cmp_ne_u32_e64 s15, 0, v36
	s_delay_alu instid0(VALU_DEP_2)
	v_cmp_eq_u32_e32 vcc_lo, 0, v196
	s_and_b32 s16, s15, vcc_lo
	s_wait_alu 0xfffe
	s_and_saveexec_b32 s15, s16
	s_cbranch_execz .LBB1463_169
; %bb.168:                              ;   in Loop: Header=BB1463_101 Depth=2
	s_wait_dscnt 0x0
	v_bcnt_u32_b32 v36, v36, v195
	ds_store_b32 v197, v36 offset:1056
.LBB1463_169:                           ;   in Loop: Header=BB1463_101 Depth=2
	s_wait_alu 0xfffe
	s_or_b32 exec_lo, exec_lo, s15
	; wave barrier
	s_wait_loadcnt_dscnt 0x0
	s_barrier_signal -1
	s_barrier_wait -1
	global_inv scope:SCOPE_SE
	ds_load_2addr_b32 v[42:43], v135 offset1:1
	ds_load_2addr_b32 v[40:41], v136 offset1:1
	;; [unrolled: 1-line block ×4, first 2 shown]
	ds_load_b32 v198, v67 offset:1088
	s_wait_dscnt 0x3
	v_add3_u32 v199, v43, v42, v40
	s_wait_dscnt 0x2
	s_delay_alu instid0(VALU_DEP_1) | instskip(SKIP_1) | instid1(VALU_DEP_1)
	v_add3_u32 v199, v199, v41, v38
	s_wait_dscnt 0x1
	v_add3_u32 v199, v199, v39, v36
	s_wait_dscnt 0x0
	s_delay_alu instid0(VALU_DEP_1) | instskip(NEXT) | instid1(VALU_DEP_1)
	v_add3_u32 v198, v199, v37, v198
	v_mov_b32_dpp v199, v198 row_shr:1 row_mask:0xf bank_mask:0xf
	s_delay_alu instid0(VALU_DEP_1) | instskip(NEXT) | instid1(VALU_DEP_1)
	v_cndmask_b32_e64 v199, v199, 0, s0
	v_add_nc_u32_e32 v198, v199, v198
	s_delay_alu instid0(VALU_DEP_1) | instskip(NEXT) | instid1(VALU_DEP_1)
	v_mov_b32_dpp v199, v198 row_shr:2 row_mask:0xf bank_mask:0xf
	v_cndmask_b32_e64 v199, 0, v199, s1
	s_delay_alu instid0(VALU_DEP_1) | instskip(NEXT) | instid1(VALU_DEP_1)
	v_add_nc_u32_e32 v198, v198, v199
	v_mov_b32_dpp v199, v198 row_shr:4 row_mask:0xf bank_mask:0xf
	s_delay_alu instid0(VALU_DEP_1) | instskip(NEXT) | instid1(VALU_DEP_1)
	v_cndmask_b32_e64 v199, 0, v199, s9
	v_add_nc_u32_e32 v198, v198, v199
	s_delay_alu instid0(VALU_DEP_1) | instskip(NEXT) | instid1(VALU_DEP_1)
	v_mov_b32_dpp v199, v198 row_shr:8 row_mask:0xf bank_mask:0xf
	v_cndmask_b32_e64 v199, 0, v199, s10
	s_delay_alu instid0(VALU_DEP_1) | instskip(SKIP_3) | instid1(VALU_DEP_1)
	v_add_nc_u32_e32 v198, v198, v199
	ds_swizzle_b32 v199, v198 offset:swizzle(BROADCAST,32,15)
	s_wait_dscnt 0x0
	v_cndmask_b32_e64 v199, v199, 0, s11
	v_add_nc_u32_e32 v198, v198, v199
	s_and_saveexec_b32 s15, s3
; %bb.170:                              ;   in Loop: Header=BB1463_101 Depth=2
	ds_store_b32 v63, v198 offset:1024
; %bb.171:                              ;   in Loop: Header=BB1463_101 Depth=2
	s_wait_alu 0xfffe
	s_or_b32 exec_lo, exec_lo, s15
	s_wait_loadcnt_dscnt 0x0
	s_barrier_signal -1
	s_barrier_wait -1
	global_inv scope:SCOPE_SE
	s_and_saveexec_b32 s15, s4
	s_cbranch_execz .LBB1463_173
; %bb.172:                              ;   in Loop: Header=BB1463_101 Depth=2
	ds_load_b32 v199, v70 offset:1024
	s_wait_dscnt 0x0
	v_mov_b32_dpp v200, v199 row_shr:1 row_mask:0xf bank_mask:0xf
	s_delay_alu instid0(VALU_DEP_1) | instskip(NEXT) | instid1(VALU_DEP_1)
	v_cndmask_b32_e64 v200, v200, 0, s12
	v_add_nc_u32_e32 v199, v200, v199
	s_delay_alu instid0(VALU_DEP_1) | instskip(NEXT) | instid1(VALU_DEP_1)
	v_mov_b32_dpp v200, v199 row_shr:2 row_mask:0xf bank_mask:0xf
	v_cndmask_b32_e64 v200, 0, v200, s13
	s_delay_alu instid0(VALU_DEP_1) | instskip(NEXT) | instid1(VALU_DEP_1)
	v_add_nc_u32_e32 v199, v199, v200
	v_mov_b32_dpp v200, v199 row_shr:4 row_mask:0xf bank_mask:0xf
	s_delay_alu instid0(VALU_DEP_1) | instskip(NEXT) | instid1(VALU_DEP_1)
	v_cndmask_b32_e64 v200, 0, v200, s14
	v_add_nc_u32_e32 v199, v199, v200
	ds_store_b32 v70, v199 offset:1024
.LBB1463_173:                           ;   in Loop: Header=BB1463_101 Depth=2
	s_wait_alu 0xfffe
	s_or_b32 exec_lo, exec_lo, s15
	v_mov_b32_e32 v199, 0
	s_wait_loadcnt_dscnt 0x0
	s_barrier_signal -1
	s_barrier_wait -1
	global_inv scope:SCOPE_SE
	s_and_saveexec_b32 s15, s5
; %bb.174:                              ;   in Loop: Header=BB1463_101 Depth=2
	ds_load_b32 v199, v63 offset:1020
; %bb.175:                              ;   in Loop: Header=BB1463_101 Depth=2
	s_wait_alu 0xfffe
	s_or_b32 exec_lo, exec_lo, s15
	s_wait_dscnt 0x0
	v_add_nc_u32_e32 v198, v199, v198
	ds_bpermute_b32 v198, v113, v198
	s_wait_dscnt 0x0
	v_cndmask_b32_e64 v198, v198, v199, s8
	s_delay_alu instid0(VALU_DEP_1) | instskip(NEXT) | instid1(VALU_DEP_1)
	v_cndmask_b32_e64 v198, v198, 0, s6
	v_add_nc_u32_e32 v42, v198, v42
	s_delay_alu instid0(VALU_DEP_1) | instskip(NEXT) | instid1(VALU_DEP_1)
	v_add_nc_u32_e32 v43, v42, v43
	v_add_nc_u32_e32 v40, v43, v40
	s_delay_alu instid0(VALU_DEP_1) | instskip(NEXT) | instid1(VALU_DEP_1)
	v_add_nc_u32_e32 v41, v40, v41
	;; [unrolled: 3-line block ×3, first 2 shown]
	v_add_nc_u32_e32 v36, v39, v36
	s_delay_alu instid0(VALU_DEP_1)
	v_add_nc_u32_e32 v37, v36, v37
	ds_store_2addr_b32 v134, v39, v36 offset1:1
	ds_store_2addr_b32 v135, v198, v42 offset1:1
	;; [unrolled: 1-line block ×4, first 2 shown]
	ds_store_b32 v67, v37 offset:1088
	s_wait_loadcnt_dscnt 0x0
	s_barrier_signal -1
	s_barrier_wait -1
	global_inv scope:SCOPE_SE
	ds_load_b32 v39, v138 offset:1056
	ds_load_b32 v41, v142 offset:1056
	;; [unrolled: 1-line block ×17, first 2 shown]
	v_mov_b32_e32 v38, 0x1000
	s_and_saveexec_b32 s15, s7
; %bb.176:                              ;   in Loop: Header=BB1463_101 Depth=2
	ds_load_b32 v38, v67 offset:1092
; %bb.177:                              ;   in Loop: Header=BB1463_101 Depth=2
	s_wait_alu 0xfffe
	s_or_b32 exec_lo, exec_lo, s15
	s_wait_loadcnt_dscnt 0x0
	s_barrier_signal -1
	s_barrier_wait -1
	global_inv scope:SCOPE_SE
	s_and_saveexec_b32 s15, s2
	s_cbranch_execz .LBB1463_179
; %bb.178:                              ;   in Loop: Header=BB1463_101 Depth=2
	ds_load_b32 v138, v44
	s_wait_dscnt 0x0
	v_sub_nc_u32_e32 v137, v138, v137
	ds_store_b32 v44, v137
.LBB1463_179:                           ;   in Loop: Header=BB1463_101 Depth=2
	s_wait_alu 0xfffe
	s_or_b32 exec_lo, exec_lo, s15
	v_add_nc_u32_e32 v150, v39, v133
	v_add3_u32 v146, v141, v140, v41
	v_add3_u32 v142, v145, v144, v42
	;; [unrolled: 1-line block ×4, first 2 shown]
	v_lshlrev_b32_e32 v144, 2, v150
	v_add3_u32 v138, v157, v156, v135
	v_add3_u32 v137, v161, v160, v136
	;; [unrolled: 1-line block ×4, first 2 shown]
	ds_store_b32 v144, v2 offset:1024
	v_lshlrev_b32_e32 v2, 2, v146
	v_lshlrev_b32_e32 v36, 2, v142
	v_add3_u32 v135, v169, v168, v163
	v_add3_u32 v42, v189, v188, v37
	v_lshlrev_b32_e32 v37, 2, v141
	v_add3_u32 v134, v173, v172, v166
	v_lshlrev_b32_e32 v144, 2, v140
	;; [unrolled: 2-line block ×3, first 2 shown]
	v_add3_u32 v39, v181, v180, v174
	ds_store_b32 v2, v132 offset:1024
	ds_store_b32 v36, v139 offset:1024
	;; [unrolled: 1-line block ×5, first 2 shown]
	v_lshlrev_b32_e32 v2, 2, v137
	v_lshlrev_b32_e32 v36, 2, v136
	;; [unrolled: 1-line block ×3, first 2 shown]
	v_add3_u32 v41, v193, v192, v40
	v_lshlrev_b32_e32 v132, 2, v134
	v_add3_u32 v40, v196, v195, v154
	v_lshlrev_b32_e32 v139, 2, v133
	ds_store_b32 v2, v155 offset:1024
	ds_store_b32 v36, v159 offset:1024
	;; [unrolled: 1-line block ×5, first 2 shown]
	v_lshlrev_b32_e32 v2, 2, v39
	v_cmp_lt_u32_e32 vcc_lo, v1, v131
	v_lshlrev_b32_e32 v36, 2, v43
	v_lshlrev_b32_e32 v37, 2, v42
	;; [unrolled: 1-line block ×4, first 2 shown]
	ds_store_b32 v2, v175 offset:1024
	ds_store_b32 v36, v179 offset:1024
	;; [unrolled: 1-line block ×5, first 2 shown]
	s_wait_loadcnt_dscnt 0x0
	s_barrier_signal -1
	s_barrier_wait -1
	global_inv scope:SCOPE_SE
	s_and_saveexec_b32 s16, vcc_lo
	s_cbranch_execnz .LBB1463_248
; %bb.180:                              ;   in Loop: Header=BB1463_101 Depth=2
	s_wait_alu 0xfffe
	s_or_b32 exec_lo, exec_lo, s16
	v_cmp_lt_u32_e64 s15, v45, v131
	s_and_saveexec_b32 s17, s15
	s_cbranch_execnz .LBB1463_249
.LBB1463_181:                           ;   in Loop: Header=BB1463_101 Depth=2
	s_wait_alu 0xfffe
	s_or_b32 exec_lo, exec_lo, s17
	v_cmp_lt_u32_e64 s16, v46, v131
	s_and_saveexec_b32 s18, s16
	s_cbranch_execnz .LBB1463_250
.LBB1463_182:                           ;   in Loop: Header=BB1463_101 Depth=2
	s_wait_alu 0xfffe
	s_or_b32 exec_lo, exec_lo, s18
	v_cmp_lt_u32_e64 s17, v47, v131
	s_and_saveexec_b32 s19, s17
	s_cbranch_execnz .LBB1463_251
.LBB1463_183:                           ;   in Loop: Header=BB1463_101 Depth=2
	s_wait_alu 0xfffe
	s_or_b32 exec_lo, exec_lo, s19
	v_cmp_lt_u32_e64 s18, v50, v131
	s_and_saveexec_b32 s20, s18
	s_cbranch_execnz .LBB1463_252
.LBB1463_184:                           ;   in Loop: Header=BB1463_101 Depth=2
	s_wait_alu 0xfffe
	s_or_b32 exec_lo, exec_lo, s20
	v_cmp_lt_u32_e64 s19, v51, v131
	s_and_saveexec_b32 s21, s19
	s_cbranch_execnz .LBB1463_253
.LBB1463_185:                           ;   in Loop: Header=BB1463_101 Depth=2
	s_wait_alu 0xfffe
	s_or_b32 exec_lo, exec_lo, s21
	v_cmp_lt_u32_e64 s20, v52, v131
	s_and_saveexec_b32 s22, s20
	s_cbranch_execnz .LBB1463_254
.LBB1463_186:                           ;   in Loop: Header=BB1463_101 Depth=2
	s_wait_alu 0xfffe
	s_or_b32 exec_lo, exec_lo, s22
	v_cmp_lt_u32_e64 s21, v53, v131
	s_and_saveexec_b32 s23, s21
	s_cbranch_execnz .LBB1463_255
.LBB1463_187:                           ;   in Loop: Header=BB1463_101 Depth=2
	s_wait_alu 0xfffe
	s_or_b32 exec_lo, exec_lo, s23
	v_cmp_lt_u32_e64 s22, v54, v131
	s_and_saveexec_b32 s24, s22
	s_cbranch_execnz .LBB1463_256
.LBB1463_188:                           ;   in Loop: Header=BB1463_101 Depth=2
	s_wait_alu 0xfffe
	s_or_b32 exec_lo, exec_lo, s24
	v_cmp_lt_u32_e64 s23, v55, v131
	s_and_saveexec_b32 s25, s23
	s_cbranch_execnz .LBB1463_257
.LBB1463_189:                           ;   in Loop: Header=BB1463_101 Depth=2
	s_wait_alu 0xfffe
	s_or_b32 exec_lo, exec_lo, s25
	v_cmp_lt_u32_e64 s24, v56, v131
	s_and_saveexec_b32 s26, s24
	s_cbranch_execnz .LBB1463_258
.LBB1463_190:                           ;   in Loop: Header=BB1463_101 Depth=2
	s_wait_alu 0xfffe
	s_or_b32 exec_lo, exec_lo, s26
	v_cmp_lt_u32_e64 s25, v57, v131
	s_and_saveexec_b32 s27, s25
	s_cbranch_execnz .LBB1463_259
.LBB1463_191:                           ;   in Loop: Header=BB1463_101 Depth=2
	s_wait_alu 0xfffe
	s_or_b32 exec_lo, exec_lo, s27
	v_cmp_lt_u32_e64 s26, v58, v131
	s_and_saveexec_b32 s28, s26
	s_cbranch_execnz .LBB1463_260
.LBB1463_192:                           ;   in Loop: Header=BB1463_101 Depth=2
	s_wait_alu 0xfffe
	s_or_b32 exec_lo, exec_lo, s28
	v_cmp_lt_u32_e64 s27, v59, v131
	s_and_saveexec_b32 s29, s27
	s_cbranch_execnz .LBB1463_261
.LBB1463_193:                           ;   in Loop: Header=BB1463_101 Depth=2
	s_wait_alu 0xfffe
	s_or_b32 exec_lo, exec_lo, s29
	v_cmp_lt_u32_e64 s28, v60, v131
	s_and_saveexec_b32 s30, s28
	s_cbranch_execnz .LBB1463_262
.LBB1463_194:                           ;   in Loop: Header=BB1463_101 Depth=2
	s_wait_alu 0xfffe
	s_or_b32 exec_lo, exec_lo, s30
	v_cmp_lt_u32_e64 s29, v61, v131
	s_and_saveexec_b32 s56, s29
	s_cbranch_execz .LBB1463_196
.LBB1463_195:                           ;   in Loop: Header=BB1463_101 Depth=2
	ds_load_b32 v132, v70 offset:16384
	s_wait_dscnt 0x0
	v_cmp_ne_u32_e64 s30, 0x7fffffff, v132
	s_wait_alu 0xf1ff
	s_delay_alu instid0(VALU_DEP_1) | instskip(SKIP_1) | instid1(VALU_DEP_2)
	v_cndmask_b32_e64 v2, 0x80000000, v132, s30
	v_cmp_lt_i32_e64 s30, -1, v132
	v_lshrrev_b32_e32 v2, s31, v2
	s_wait_alu 0xf1ff
	s_delay_alu instid0(VALU_DEP_2) | instskip(NEXT) | instid1(VALU_DEP_2)
	v_cndmask_b32_e64 v139, 0x80000000, -1, s30
	v_and_b32_e32 v2, s48, v2
	s_delay_alu instid0(VALU_DEP_1) | instskip(SKIP_3) | instid1(VALU_DEP_1)
	v_lshlrev_b32_e32 v2, 2, v2
	ds_load_b32 v2, v2
	s_wait_dscnt 0x0
	v_add_nc_u32_e32 v2, v2, v61
	v_lshlrev_b64_e32 v[36:37], 2, v[2:3]
	v_xor_b32_e32 v2, v139, v132
	s_delay_alu instid0(VALU_DEP_2) | instskip(SKIP_1) | instid1(VALU_DEP_3)
	v_add_co_u32 v36, s30, s38, v36
	s_wait_alu 0xf1ff
	v_add_co_ci_u32_e64 v37, null, s39, v37, s30
	global_store_b32 v[36:37], v2, off
.LBB1463_196:                           ;   in Loop: Header=BB1463_101 Depth=2
	s_wait_alu 0xfffe
	s_or_b32 exec_lo, exec_lo, s56
	s_lshl_b64 s[56:57], s[42:43], 3
	s_wait_alu 0xfffe
	v_add_co_u32 v36, s30, v109, s56
	s_wait_alu 0xf1ff
	v_add_co_ci_u32_e64 v37, null, s57, v110, s30
	v_cmp_lt_u32_e64 s30, v88, v131
	s_and_saveexec_b32 s42, s30
	s_wait_alu 0xfffe
	s_xor_b32 s30, exec_lo, s42
	s_cbranch_execnz .LBB1463_263
; %bb.197:                              ;   in Loop: Header=BB1463_101 Depth=2
	s_wait_alu 0xfffe
	s_or_b32 exec_lo, exec_lo, s30
	s_delay_alu instid0(SALU_CYCLE_1)
	s_mov_b32 s42, exec_lo
	v_cmpx_lt_u32_e64 v92, v131
	s_cbranch_execnz .LBB1463_264
.LBB1463_198:                           ;   in Loop: Header=BB1463_101 Depth=2
	s_wait_alu 0xfffe
	s_or_b32 exec_lo, exec_lo, s42
	s_delay_alu instid0(SALU_CYCLE_1)
	s_mov_b32 s42, exec_lo
	v_cmpx_lt_u32_e64 v93, v131
	s_cbranch_execnz .LBB1463_265
.LBB1463_199:                           ;   in Loop: Header=BB1463_101 Depth=2
	s_wait_alu 0xfffe
	s_or_b32 exec_lo, exec_lo, s42
	s_delay_alu instid0(SALU_CYCLE_1)
	s_mov_b32 s42, exec_lo
	v_cmpx_lt_u32_e64 v94, v131
	s_cbranch_execnz .LBB1463_266
.LBB1463_200:                           ;   in Loop: Header=BB1463_101 Depth=2
	s_wait_alu 0xfffe
	s_or_b32 exec_lo, exec_lo, s42
	s_delay_alu instid0(SALU_CYCLE_1)
	s_mov_b32 s42, exec_lo
	v_cmpx_lt_u32_e64 v95, v131
	s_cbranch_execnz .LBB1463_267
.LBB1463_201:                           ;   in Loop: Header=BB1463_101 Depth=2
	s_wait_alu 0xfffe
	s_or_b32 exec_lo, exec_lo, s42
	s_delay_alu instid0(SALU_CYCLE_1)
	s_mov_b32 s42, exec_lo
	v_cmpx_lt_u32_e64 v96, v131
	s_cbranch_execnz .LBB1463_268
.LBB1463_202:                           ;   in Loop: Header=BB1463_101 Depth=2
	s_wait_alu 0xfffe
	s_or_b32 exec_lo, exec_lo, s42
	s_delay_alu instid0(SALU_CYCLE_1)
	s_mov_b32 s42, exec_lo
	v_cmpx_lt_u32_e64 v97, v131
	s_cbranch_execnz .LBB1463_269
.LBB1463_203:                           ;   in Loop: Header=BB1463_101 Depth=2
	s_wait_alu 0xfffe
	s_or_b32 exec_lo, exec_lo, s42
	s_delay_alu instid0(SALU_CYCLE_1)
	s_mov_b32 s42, exec_lo
	v_cmpx_lt_u32_e64 v98, v131
	s_cbranch_execnz .LBB1463_270
.LBB1463_204:                           ;   in Loop: Header=BB1463_101 Depth=2
	s_wait_alu 0xfffe
	s_or_b32 exec_lo, exec_lo, s42
	s_delay_alu instid0(SALU_CYCLE_1)
	s_mov_b32 s42, exec_lo
	v_cmpx_lt_u32_e64 v99, v131
	s_cbranch_execnz .LBB1463_271
.LBB1463_205:                           ;   in Loop: Header=BB1463_101 Depth=2
	s_wait_alu 0xfffe
	s_or_b32 exec_lo, exec_lo, s42
	s_delay_alu instid0(SALU_CYCLE_1)
	s_mov_b32 s42, exec_lo
	v_cmpx_lt_u32_e64 v100, v131
	s_cbranch_execnz .LBB1463_272
.LBB1463_206:                           ;   in Loop: Header=BB1463_101 Depth=2
	s_wait_alu 0xfffe
	s_or_b32 exec_lo, exec_lo, s42
	s_delay_alu instid0(SALU_CYCLE_1)
	s_mov_b32 s42, exec_lo
	v_cmpx_lt_u32_e64 v101, v131
	s_cbranch_execnz .LBB1463_273
.LBB1463_207:                           ;   in Loop: Header=BB1463_101 Depth=2
	s_wait_alu 0xfffe
	s_or_b32 exec_lo, exec_lo, s42
	s_delay_alu instid0(SALU_CYCLE_1)
	s_mov_b32 s42, exec_lo
	v_cmpx_lt_u32_e64 v102, v131
	s_cbranch_execnz .LBB1463_274
.LBB1463_208:                           ;   in Loop: Header=BB1463_101 Depth=2
	s_wait_alu 0xfffe
	s_or_b32 exec_lo, exec_lo, s42
	s_delay_alu instid0(SALU_CYCLE_1)
	s_mov_b32 s42, exec_lo
	v_cmpx_lt_u32_e64 v103, v131
	s_cbranch_execnz .LBB1463_275
.LBB1463_209:                           ;   in Loop: Header=BB1463_101 Depth=2
	s_wait_alu 0xfffe
	s_or_b32 exec_lo, exec_lo, s42
	s_delay_alu instid0(SALU_CYCLE_1)
	s_mov_b32 s42, exec_lo
	v_cmpx_lt_u32_e64 v104, v131
	s_cbranch_execnz .LBB1463_276
.LBB1463_210:                           ;   in Loop: Header=BB1463_101 Depth=2
	s_wait_alu 0xfffe
	s_or_b32 exec_lo, exec_lo, s42
	s_delay_alu instid0(SALU_CYCLE_1)
	s_mov_b32 s42, exec_lo
	v_cmpx_lt_u32_e64 v105, v131
	s_cbranch_execnz .LBB1463_277
.LBB1463_211:                           ;   in Loop: Header=BB1463_101 Depth=2
	s_wait_alu 0xfffe
	s_or_b32 exec_lo, exec_lo, s42
	s_delay_alu instid0(SALU_CYCLE_1)
	s_mov_b32 s42, exec_lo
	v_cmpx_lt_u32_e64 v106, v131
	s_cbranch_execnz .LBB1463_278
.LBB1463_212:                           ;   in Loop: Header=BB1463_101 Depth=2
	s_wait_alu 0xfffe
	s_or_b32 exec_lo, exec_lo, s42
	s_and_saveexec_b32 s42, vcc_lo
	s_cbranch_execnz .LBB1463_279
.LBB1463_213:                           ;   in Loop: Header=BB1463_101 Depth=2
	s_wait_alu 0xfffe
	s_or_b32 exec_lo, exec_lo, s42
	s_and_saveexec_b32 s42, s15
	s_cbranch_execnz .LBB1463_280
.LBB1463_214:                           ;   in Loop: Header=BB1463_101 Depth=2
	s_wait_alu 0xfffe
	s_or_b32 exec_lo, exec_lo, s42
	s_and_saveexec_b32 s42, s16
	s_cbranch_execnz .LBB1463_281
.LBB1463_215:                           ;   in Loop: Header=BB1463_101 Depth=2
	s_wait_alu 0xfffe
	s_or_b32 exec_lo, exec_lo, s42
	s_and_saveexec_b32 s42, s17
	s_cbranch_execnz .LBB1463_282
.LBB1463_216:                           ;   in Loop: Header=BB1463_101 Depth=2
	s_wait_alu 0xfffe
	s_or_b32 exec_lo, exec_lo, s42
	s_and_saveexec_b32 s42, s18
	s_cbranch_execnz .LBB1463_283
.LBB1463_217:                           ;   in Loop: Header=BB1463_101 Depth=2
	s_wait_alu 0xfffe
	s_or_b32 exec_lo, exec_lo, s42
	s_and_saveexec_b32 s42, s19
	s_cbranch_execnz .LBB1463_284
.LBB1463_218:                           ;   in Loop: Header=BB1463_101 Depth=2
	s_wait_alu 0xfffe
	s_or_b32 exec_lo, exec_lo, s42
	s_and_saveexec_b32 s42, s20
	s_cbranch_execnz .LBB1463_285
.LBB1463_219:                           ;   in Loop: Header=BB1463_101 Depth=2
	s_wait_alu 0xfffe
	s_or_b32 exec_lo, exec_lo, s42
	s_and_saveexec_b32 s42, s21
	s_cbranch_execnz .LBB1463_286
.LBB1463_220:                           ;   in Loop: Header=BB1463_101 Depth=2
	s_wait_alu 0xfffe
	s_or_b32 exec_lo, exec_lo, s42
	s_and_saveexec_b32 s42, s22
	s_cbranch_execnz .LBB1463_287
.LBB1463_221:                           ;   in Loop: Header=BB1463_101 Depth=2
	s_wait_alu 0xfffe
	s_or_b32 exec_lo, exec_lo, s42
	s_and_saveexec_b32 s42, s23
	s_cbranch_execnz .LBB1463_288
.LBB1463_222:                           ;   in Loop: Header=BB1463_101 Depth=2
	s_wait_alu 0xfffe
	s_or_b32 exec_lo, exec_lo, s42
	s_and_saveexec_b32 s42, s24
	s_cbranch_execnz .LBB1463_289
.LBB1463_223:                           ;   in Loop: Header=BB1463_101 Depth=2
	s_wait_alu 0xfffe
	s_or_b32 exec_lo, exec_lo, s42
	s_and_saveexec_b32 s42, s25
	s_cbranch_execnz .LBB1463_290
.LBB1463_224:                           ;   in Loop: Header=BB1463_101 Depth=2
	s_wait_alu 0xfffe
	s_or_b32 exec_lo, exec_lo, s42
	s_and_saveexec_b32 s42, s26
	s_cbranch_execnz .LBB1463_291
.LBB1463_225:                           ;   in Loop: Header=BB1463_101 Depth=2
	s_wait_alu 0xfffe
	s_or_b32 exec_lo, exec_lo, s42
	s_and_saveexec_b32 s42, s27
	s_cbranch_execnz .LBB1463_292
.LBB1463_226:                           ;   in Loop: Header=BB1463_101 Depth=2
	s_wait_alu 0xfffe
	s_or_b32 exec_lo, exec_lo, s42
	s_and_saveexec_b32 s42, s28
	s_cbranch_execnz .LBB1463_293
.LBB1463_227:                           ;   in Loop: Header=BB1463_101 Depth=2
	s_wait_alu 0xfffe
	s_or_b32 exec_lo, exec_lo, s42
	s_and_saveexec_b32 s42, s29
	s_cbranch_execz .LBB1463_229
.LBB1463_228:                           ;   in Loop: Header=BB1463_101 Depth=2
	ds_load_b32 v2, v70 offset:16384
	s_wait_dscnt 0x0
	v_cmp_ne_u32_e64 s30, 0x7fffffff, v2
	s_wait_alu 0xf1ff
	s_delay_alu instid0(VALU_DEP_1) | instskip(NEXT) | instid1(VALU_DEP_1)
	v_cndmask_b32_e64 v2, 0x80000000, v2, s30
	v_lshrrev_b32_e32 v2, s31, v2
	s_delay_alu instid0(VALU_DEP_1)
	v_and_b32_e32 v115, s48, v2
.LBB1463_229:                           ;   in Loop: Header=BB1463_101 Depth=2
	s_wait_alu 0xfffe
	s_or_b32 exec_lo, exec_lo, s42
	v_lshlrev_b32_e32 v2, 3, v150
	s_wait_loadcnt 0x0
	s_wait_storecnt 0x0
	s_barrier_signal -1
	s_barrier_wait -1
	global_inv scope:SCOPE_SE
	ds_store_b64 v2, v[34:35] offset:1024
	v_lshlrev_b32_e32 v2, 3, v146
	v_lshlrev_b32_e32 v36, 3, v142
	v_lshlrev_b32_e32 v37, 3, v141
	v_lshlrev_b32_e32 v131, 3, v140
	v_lshlrev_b32_e32 v132, 3, v138
	ds_store_b64 v2, v[32:33] offset:1024
	ds_store_b64 v36, v[30:31] offset:1024
	ds_store_b64 v37, v[28:29] offset:1024
	ds_store_b64 v131, v[26:27] offset:1024
	ds_store_b64 v132, v[24:25] offset:1024
	v_lshlrev_b32_e32 v2, 3, v137
	v_lshlrev_b32_e32 v36, 3, v136
	v_lshlrev_b32_e32 v37, 3, v135
	v_lshlrev_b32_e32 v131, 3, v134
	v_lshlrev_b32_e32 v132, 3, v133
	ds_store_b64 v2, v[22:23] offset:1024
	ds_store_b64 v36, v[20:21] offset:1024
	ds_store_b64 v37, v[18:19] offset:1024
	ds_store_b64 v131, v[16:17] offset:1024
	;; [unrolled: 10-line block ×3, first 2 shown]
	ds_store_b64 v40, v[4:5] offset:1024
	s_wait_loadcnt_dscnt 0x0
	s_barrier_signal -1
	s_barrier_wait -1
	global_inv scope:SCOPE_SE
	s_and_saveexec_b32 s30, vcc_lo
	s_cbranch_execnz .LBB1463_294
; %bb.230:                              ;   in Loop: Header=BB1463_101 Depth=2
	s_wait_alu 0xfffe
	s_or_b32 exec_lo, exec_lo, s30
	s_and_saveexec_b32 s30, s15
	s_cbranch_execnz .LBB1463_295
.LBB1463_231:                           ;   in Loop: Header=BB1463_101 Depth=2
	s_wait_alu 0xfffe
	s_or_b32 exec_lo, exec_lo, s30
	s_and_saveexec_b32 s15, s16
	s_cbranch_execnz .LBB1463_296
.LBB1463_232:                           ;   in Loop: Header=BB1463_101 Depth=2
	s_wait_alu 0xfffe
	s_or_b32 exec_lo, exec_lo, s15
	s_and_saveexec_b32 s15, s17
	s_cbranch_execnz .LBB1463_297
.LBB1463_233:                           ;   in Loop: Header=BB1463_101 Depth=2
	s_wait_alu 0xfffe
	s_or_b32 exec_lo, exec_lo, s15
	s_and_saveexec_b32 s15, s18
	s_cbranch_execnz .LBB1463_298
.LBB1463_234:                           ;   in Loop: Header=BB1463_101 Depth=2
	s_wait_alu 0xfffe
	s_or_b32 exec_lo, exec_lo, s15
	s_and_saveexec_b32 s15, s19
	s_cbranch_execnz .LBB1463_299
.LBB1463_235:                           ;   in Loop: Header=BB1463_101 Depth=2
	s_wait_alu 0xfffe
	s_or_b32 exec_lo, exec_lo, s15
	s_and_saveexec_b32 s15, s20
	s_cbranch_execnz .LBB1463_300
.LBB1463_236:                           ;   in Loop: Header=BB1463_101 Depth=2
	s_wait_alu 0xfffe
	s_or_b32 exec_lo, exec_lo, s15
	s_and_saveexec_b32 s15, s21
	s_cbranch_execnz .LBB1463_301
.LBB1463_237:                           ;   in Loop: Header=BB1463_101 Depth=2
	s_wait_alu 0xfffe
	s_or_b32 exec_lo, exec_lo, s15
	s_and_saveexec_b32 s15, s22
	s_cbranch_execnz .LBB1463_302
.LBB1463_238:                           ;   in Loop: Header=BB1463_101 Depth=2
	s_wait_alu 0xfffe
	s_or_b32 exec_lo, exec_lo, s15
	s_and_saveexec_b32 s15, s23
	s_cbranch_execnz .LBB1463_303
.LBB1463_239:                           ;   in Loop: Header=BB1463_101 Depth=2
	s_wait_alu 0xfffe
	s_or_b32 exec_lo, exec_lo, s15
	s_and_saveexec_b32 s15, s24
	s_cbranch_execnz .LBB1463_304
.LBB1463_240:                           ;   in Loop: Header=BB1463_101 Depth=2
	s_wait_alu 0xfffe
	s_or_b32 exec_lo, exec_lo, s15
	s_and_saveexec_b32 s15, s25
	s_cbranch_execnz .LBB1463_305
.LBB1463_241:                           ;   in Loop: Header=BB1463_101 Depth=2
	s_wait_alu 0xfffe
	s_or_b32 exec_lo, exec_lo, s15
	s_and_saveexec_b32 s15, s26
	s_cbranch_execnz .LBB1463_306
.LBB1463_242:                           ;   in Loop: Header=BB1463_101 Depth=2
	s_wait_alu 0xfffe
	s_or_b32 exec_lo, exec_lo, s15
	s_and_saveexec_b32 s15, s27
	s_cbranch_execnz .LBB1463_307
.LBB1463_243:                           ;   in Loop: Header=BB1463_101 Depth=2
	s_wait_alu 0xfffe
	s_or_b32 exec_lo, exec_lo, s15
	s_and_saveexec_b32 s15, s28
	s_cbranch_execnz .LBB1463_308
.LBB1463_244:                           ;   in Loop: Header=BB1463_101 Depth=2
	s_wait_alu 0xfffe
	s_or_b32 exec_lo, exec_lo, s15
	s_and_saveexec_b32 s15, s29
	s_cbranch_execz .LBB1463_246
.LBB1463_245:                           ;   in Loop: Header=BB1463_101 Depth=2
	v_lshlrev_b32_e32 v2, 2, v115
	v_add_nc_u32_e32 v36, v70, v44
	ds_load_b32 v2, v2
	ds_load_b64 v[36:37], v36 offset:31744
	s_wait_dscnt 0x1
	v_add_nc_u32_e32 v2, v2, v61
	s_delay_alu instid0(VALU_DEP_1) | instskip(NEXT) | instid1(VALU_DEP_1)
	v_lshlrev_b64_e32 v[39:40], 3, v[2:3]
	v_add_co_u32 v39, vcc_lo, s44, v39
	s_wait_alu 0xfffd
	s_delay_alu instid0(VALU_DEP_2)
	v_add_co_ci_u32_e64 v40, null, s45, v40, vcc_lo
	s_wait_dscnt 0x0
	global_store_b64 v[39:40], v[36:37], off
.LBB1463_246:                           ;   in Loop: Header=BB1463_101 Depth=2
	s_wait_alu 0xfffe
	s_or_b32 exec_lo, exec_lo, s15
	s_wait_loadcnt 0x0
	s_wait_storecnt 0x0
	s_barrier_signal -1
	s_barrier_wait -1
	global_inv scope:SCOPE_SE
	s_and_saveexec_b32 s15, s2
	s_cbranch_execz .LBB1463_100
; %bb.247:                              ;   in Loop: Header=BB1463_101 Depth=2
	ds_load_b32 v2, v44
	s_wait_dscnt 0x0
	v_add_nc_u32_e32 v2, v2, v38
	ds_store_b32 v44, v2
	s_branch .LBB1463_100
.LBB1463_248:                           ;   in Loop: Header=BB1463_101 Depth=2
	ds_load_b32 v132, v70 offset:1024
	s_wait_dscnt 0x0
	v_cmp_ne_u32_e64 s15, 0x7fffffff, v132
	s_wait_alu 0xf1ff
	s_delay_alu instid0(VALU_DEP_1) | instskip(SKIP_1) | instid1(VALU_DEP_2)
	v_cndmask_b32_e64 v2, 0x80000000, v132, s15
	v_cmp_lt_i32_e64 s15, -1, v132
	v_lshrrev_b32_e32 v2, s31, v2
	s_wait_alu 0xf1ff
	s_delay_alu instid0(VALU_DEP_2) | instskip(NEXT) | instid1(VALU_DEP_2)
	v_cndmask_b32_e64 v139, 0x80000000, -1, s15
	v_and_b32_e32 v2, s48, v2
	s_delay_alu instid0(VALU_DEP_1) | instskip(SKIP_3) | instid1(VALU_DEP_1)
	v_lshlrev_b32_e32 v2, 2, v2
	ds_load_b32 v2, v2
	s_wait_dscnt 0x0
	v_add_nc_u32_e32 v2, v2, v1
	v_lshlrev_b64_e32 v[36:37], 2, v[2:3]
	v_xor_b32_e32 v2, v139, v132
	s_delay_alu instid0(VALU_DEP_2) | instskip(SKIP_1) | instid1(VALU_DEP_3)
	v_add_co_u32 v36, s15, s38, v36
	s_wait_alu 0xf1ff
	v_add_co_ci_u32_e64 v37, null, s39, v37, s15
	global_store_b32 v[36:37], v2, off
	s_wait_alu 0xfffe
	s_or_b32 exec_lo, exec_lo, s16
	v_cmp_lt_u32_e64 s15, v45, v131
	s_and_saveexec_b32 s17, s15
	s_cbranch_execz .LBB1463_181
.LBB1463_249:                           ;   in Loop: Header=BB1463_101 Depth=2
	ds_load_b32 v132, v70 offset:2048
	s_wait_dscnt 0x0
	v_cmp_ne_u32_e64 s16, 0x7fffffff, v132
	s_wait_alu 0xf1ff
	s_delay_alu instid0(VALU_DEP_1) | instskip(SKIP_1) | instid1(VALU_DEP_2)
	v_cndmask_b32_e64 v2, 0x80000000, v132, s16
	v_cmp_lt_i32_e64 s16, -1, v132
	v_lshrrev_b32_e32 v2, s31, v2
	s_wait_alu 0xf1ff
	s_delay_alu instid0(VALU_DEP_2) | instskip(NEXT) | instid1(VALU_DEP_2)
	v_cndmask_b32_e64 v139, 0x80000000, -1, s16
	v_and_b32_e32 v2, s48, v2
	s_delay_alu instid0(VALU_DEP_1) | instskip(SKIP_3) | instid1(VALU_DEP_1)
	v_lshlrev_b32_e32 v2, 2, v2
	ds_load_b32 v2, v2
	s_wait_dscnt 0x0
	v_add_nc_u32_e32 v2, v2, v45
	v_lshlrev_b64_e32 v[36:37], 2, v[2:3]
	v_xor_b32_e32 v2, v139, v132
	s_delay_alu instid0(VALU_DEP_2) | instskip(SKIP_1) | instid1(VALU_DEP_3)
	v_add_co_u32 v36, s16, s38, v36
	s_wait_alu 0xf1ff
	v_add_co_ci_u32_e64 v37, null, s39, v37, s16
	global_store_b32 v[36:37], v2, off
	s_wait_alu 0xfffe
	s_or_b32 exec_lo, exec_lo, s17
	v_cmp_lt_u32_e64 s16, v46, v131
	s_and_saveexec_b32 s18, s16
	s_cbranch_execz .LBB1463_182
.LBB1463_250:                           ;   in Loop: Header=BB1463_101 Depth=2
	ds_load_b32 v132, v70 offset:3072
	s_wait_dscnt 0x0
	v_cmp_ne_u32_e64 s17, 0x7fffffff, v132
	s_wait_alu 0xf1ff
	s_delay_alu instid0(VALU_DEP_1) | instskip(SKIP_1) | instid1(VALU_DEP_2)
	v_cndmask_b32_e64 v2, 0x80000000, v132, s17
	v_cmp_lt_i32_e64 s17, -1, v132
	v_lshrrev_b32_e32 v2, s31, v2
	s_wait_alu 0xf1ff
	s_delay_alu instid0(VALU_DEP_2) | instskip(NEXT) | instid1(VALU_DEP_2)
	v_cndmask_b32_e64 v139, 0x80000000, -1, s17
	v_and_b32_e32 v2, s48, v2
	s_delay_alu instid0(VALU_DEP_1) | instskip(SKIP_3) | instid1(VALU_DEP_1)
	v_lshlrev_b32_e32 v2, 2, v2
	ds_load_b32 v2, v2
	s_wait_dscnt 0x0
	v_add_nc_u32_e32 v2, v2, v46
	v_lshlrev_b64_e32 v[36:37], 2, v[2:3]
	v_xor_b32_e32 v2, v139, v132
	s_delay_alu instid0(VALU_DEP_2) | instskip(SKIP_1) | instid1(VALU_DEP_3)
	v_add_co_u32 v36, s17, s38, v36
	s_wait_alu 0xf1ff
	v_add_co_ci_u32_e64 v37, null, s39, v37, s17
	global_store_b32 v[36:37], v2, off
	s_wait_alu 0xfffe
	s_or_b32 exec_lo, exec_lo, s18
	v_cmp_lt_u32_e64 s17, v47, v131
	s_and_saveexec_b32 s19, s17
	s_cbranch_execz .LBB1463_183
.LBB1463_251:                           ;   in Loop: Header=BB1463_101 Depth=2
	ds_load_b32 v132, v70 offset:4096
	s_wait_dscnt 0x0
	v_cmp_ne_u32_e64 s18, 0x7fffffff, v132
	s_wait_alu 0xf1ff
	s_delay_alu instid0(VALU_DEP_1) | instskip(SKIP_1) | instid1(VALU_DEP_2)
	v_cndmask_b32_e64 v2, 0x80000000, v132, s18
	v_cmp_lt_i32_e64 s18, -1, v132
	v_lshrrev_b32_e32 v2, s31, v2
	s_wait_alu 0xf1ff
	s_delay_alu instid0(VALU_DEP_2) | instskip(NEXT) | instid1(VALU_DEP_2)
	v_cndmask_b32_e64 v139, 0x80000000, -1, s18
	v_and_b32_e32 v2, s48, v2
	s_delay_alu instid0(VALU_DEP_1) | instskip(SKIP_3) | instid1(VALU_DEP_1)
	v_lshlrev_b32_e32 v2, 2, v2
	ds_load_b32 v2, v2
	s_wait_dscnt 0x0
	v_add_nc_u32_e32 v2, v2, v47
	v_lshlrev_b64_e32 v[36:37], 2, v[2:3]
	v_xor_b32_e32 v2, v139, v132
	s_delay_alu instid0(VALU_DEP_2) | instskip(SKIP_1) | instid1(VALU_DEP_3)
	v_add_co_u32 v36, s18, s38, v36
	s_wait_alu 0xf1ff
	v_add_co_ci_u32_e64 v37, null, s39, v37, s18
	global_store_b32 v[36:37], v2, off
	s_wait_alu 0xfffe
	s_or_b32 exec_lo, exec_lo, s19
	v_cmp_lt_u32_e64 s18, v50, v131
	s_and_saveexec_b32 s20, s18
	s_cbranch_execz .LBB1463_184
.LBB1463_252:                           ;   in Loop: Header=BB1463_101 Depth=2
	ds_load_b32 v132, v70 offset:5120
	s_wait_dscnt 0x0
	v_cmp_ne_u32_e64 s19, 0x7fffffff, v132
	s_wait_alu 0xf1ff
	s_delay_alu instid0(VALU_DEP_1) | instskip(SKIP_1) | instid1(VALU_DEP_2)
	v_cndmask_b32_e64 v2, 0x80000000, v132, s19
	v_cmp_lt_i32_e64 s19, -1, v132
	v_lshrrev_b32_e32 v2, s31, v2
	s_wait_alu 0xf1ff
	s_delay_alu instid0(VALU_DEP_2) | instskip(NEXT) | instid1(VALU_DEP_2)
	v_cndmask_b32_e64 v139, 0x80000000, -1, s19
	v_and_b32_e32 v2, s48, v2
	s_delay_alu instid0(VALU_DEP_1) | instskip(SKIP_3) | instid1(VALU_DEP_1)
	v_lshlrev_b32_e32 v2, 2, v2
	ds_load_b32 v2, v2
	s_wait_dscnt 0x0
	v_add_nc_u32_e32 v2, v2, v50
	v_lshlrev_b64_e32 v[36:37], 2, v[2:3]
	v_xor_b32_e32 v2, v139, v132
	s_delay_alu instid0(VALU_DEP_2) | instskip(SKIP_1) | instid1(VALU_DEP_3)
	v_add_co_u32 v36, s19, s38, v36
	s_wait_alu 0xf1ff
	v_add_co_ci_u32_e64 v37, null, s39, v37, s19
	global_store_b32 v[36:37], v2, off
	s_wait_alu 0xfffe
	s_or_b32 exec_lo, exec_lo, s20
	v_cmp_lt_u32_e64 s19, v51, v131
	s_and_saveexec_b32 s21, s19
	s_cbranch_execz .LBB1463_185
.LBB1463_253:                           ;   in Loop: Header=BB1463_101 Depth=2
	ds_load_b32 v132, v70 offset:6144
	s_wait_dscnt 0x0
	v_cmp_ne_u32_e64 s20, 0x7fffffff, v132
	s_wait_alu 0xf1ff
	s_delay_alu instid0(VALU_DEP_1) | instskip(SKIP_1) | instid1(VALU_DEP_2)
	v_cndmask_b32_e64 v2, 0x80000000, v132, s20
	v_cmp_lt_i32_e64 s20, -1, v132
	v_lshrrev_b32_e32 v2, s31, v2
	s_wait_alu 0xf1ff
	s_delay_alu instid0(VALU_DEP_2) | instskip(NEXT) | instid1(VALU_DEP_2)
	v_cndmask_b32_e64 v139, 0x80000000, -1, s20
	v_and_b32_e32 v2, s48, v2
	s_delay_alu instid0(VALU_DEP_1) | instskip(SKIP_3) | instid1(VALU_DEP_1)
	v_lshlrev_b32_e32 v2, 2, v2
	ds_load_b32 v2, v2
	s_wait_dscnt 0x0
	v_add_nc_u32_e32 v2, v2, v51
	v_lshlrev_b64_e32 v[36:37], 2, v[2:3]
	v_xor_b32_e32 v2, v139, v132
	s_delay_alu instid0(VALU_DEP_2) | instskip(SKIP_1) | instid1(VALU_DEP_3)
	v_add_co_u32 v36, s20, s38, v36
	s_wait_alu 0xf1ff
	v_add_co_ci_u32_e64 v37, null, s39, v37, s20
	global_store_b32 v[36:37], v2, off
	s_wait_alu 0xfffe
	s_or_b32 exec_lo, exec_lo, s21
	v_cmp_lt_u32_e64 s20, v52, v131
	s_and_saveexec_b32 s22, s20
	s_cbranch_execz .LBB1463_186
.LBB1463_254:                           ;   in Loop: Header=BB1463_101 Depth=2
	ds_load_b32 v132, v70 offset:7168
	s_wait_dscnt 0x0
	v_cmp_ne_u32_e64 s21, 0x7fffffff, v132
	s_wait_alu 0xf1ff
	s_delay_alu instid0(VALU_DEP_1) | instskip(SKIP_1) | instid1(VALU_DEP_2)
	v_cndmask_b32_e64 v2, 0x80000000, v132, s21
	v_cmp_lt_i32_e64 s21, -1, v132
	v_lshrrev_b32_e32 v2, s31, v2
	s_wait_alu 0xf1ff
	s_delay_alu instid0(VALU_DEP_2) | instskip(NEXT) | instid1(VALU_DEP_2)
	v_cndmask_b32_e64 v139, 0x80000000, -1, s21
	v_and_b32_e32 v2, s48, v2
	s_delay_alu instid0(VALU_DEP_1) | instskip(SKIP_3) | instid1(VALU_DEP_1)
	v_lshlrev_b32_e32 v2, 2, v2
	ds_load_b32 v2, v2
	s_wait_dscnt 0x0
	v_add_nc_u32_e32 v2, v2, v52
	v_lshlrev_b64_e32 v[36:37], 2, v[2:3]
	v_xor_b32_e32 v2, v139, v132
	s_delay_alu instid0(VALU_DEP_2) | instskip(SKIP_1) | instid1(VALU_DEP_3)
	v_add_co_u32 v36, s21, s38, v36
	s_wait_alu 0xf1ff
	v_add_co_ci_u32_e64 v37, null, s39, v37, s21
	global_store_b32 v[36:37], v2, off
	s_wait_alu 0xfffe
	s_or_b32 exec_lo, exec_lo, s22
	v_cmp_lt_u32_e64 s21, v53, v131
	s_and_saveexec_b32 s23, s21
	s_cbranch_execz .LBB1463_187
.LBB1463_255:                           ;   in Loop: Header=BB1463_101 Depth=2
	ds_load_b32 v132, v70 offset:8192
	s_wait_dscnt 0x0
	v_cmp_ne_u32_e64 s22, 0x7fffffff, v132
	s_wait_alu 0xf1ff
	s_delay_alu instid0(VALU_DEP_1) | instskip(SKIP_1) | instid1(VALU_DEP_2)
	v_cndmask_b32_e64 v2, 0x80000000, v132, s22
	v_cmp_lt_i32_e64 s22, -1, v132
	v_lshrrev_b32_e32 v2, s31, v2
	s_wait_alu 0xf1ff
	s_delay_alu instid0(VALU_DEP_2) | instskip(NEXT) | instid1(VALU_DEP_2)
	v_cndmask_b32_e64 v139, 0x80000000, -1, s22
	v_and_b32_e32 v2, s48, v2
	s_delay_alu instid0(VALU_DEP_1) | instskip(SKIP_3) | instid1(VALU_DEP_1)
	v_lshlrev_b32_e32 v2, 2, v2
	ds_load_b32 v2, v2
	s_wait_dscnt 0x0
	v_add_nc_u32_e32 v2, v2, v53
	v_lshlrev_b64_e32 v[36:37], 2, v[2:3]
	v_xor_b32_e32 v2, v139, v132
	s_delay_alu instid0(VALU_DEP_2) | instskip(SKIP_1) | instid1(VALU_DEP_3)
	v_add_co_u32 v36, s22, s38, v36
	s_wait_alu 0xf1ff
	v_add_co_ci_u32_e64 v37, null, s39, v37, s22
	global_store_b32 v[36:37], v2, off
	s_wait_alu 0xfffe
	s_or_b32 exec_lo, exec_lo, s23
	v_cmp_lt_u32_e64 s22, v54, v131
	s_and_saveexec_b32 s24, s22
	s_cbranch_execz .LBB1463_188
.LBB1463_256:                           ;   in Loop: Header=BB1463_101 Depth=2
	ds_load_b32 v132, v70 offset:9216
	s_wait_dscnt 0x0
	v_cmp_ne_u32_e64 s23, 0x7fffffff, v132
	s_wait_alu 0xf1ff
	s_delay_alu instid0(VALU_DEP_1) | instskip(SKIP_1) | instid1(VALU_DEP_2)
	v_cndmask_b32_e64 v2, 0x80000000, v132, s23
	v_cmp_lt_i32_e64 s23, -1, v132
	v_lshrrev_b32_e32 v2, s31, v2
	s_wait_alu 0xf1ff
	s_delay_alu instid0(VALU_DEP_2) | instskip(NEXT) | instid1(VALU_DEP_2)
	v_cndmask_b32_e64 v139, 0x80000000, -1, s23
	v_and_b32_e32 v2, s48, v2
	s_delay_alu instid0(VALU_DEP_1) | instskip(SKIP_3) | instid1(VALU_DEP_1)
	v_lshlrev_b32_e32 v2, 2, v2
	ds_load_b32 v2, v2
	s_wait_dscnt 0x0
	v_add_nc_u32_e32 v2, v2, v54
	v_lshlrev_b64_e32 v[36:37], 2, v[2:3]
	v_xor_b32_e32 v2, v139, v132
	s_delay_alu instid0(VALU_DEP_2) | instskip(SKIP_1) | instid1(VALU_DEP_3)
	v_add_co_u32 v36, s23, s38, v36
	s_wait_alu 0xf1ff
	v_add_co_ci_u32_e64 v37, null, s39, v37, s23
	global_store_b32 v[36:37], v2, off
	s_wait_alu 0xfffe
	s_or_b32 exec_lo, exec_lo, s24
	v_cmp_lt_u32_e64 s23, v55, v131
	s_and_saveexec_b32 s25, s23
	s_cbranch_execz .LBB1463_189
.LBB1463_257:                           ;   in Loop: Header=BB1463_101 Depth=2
	ds_load_b32 v132, v70 offset:10240
	s_wait_dscnt 0x0
	v_cmp_ne_u32_e64 s24, 0x7fffffff, v132
	s_wait_alu 0xf1ff
	s_delay_alu instid0(VALU_DEP_1) | instskip(SKIP_1) | instid1(VALU_DEP_2)
	v_cndmask_b32_e64 v2, 0x80000000, v132, s24
	v_cmp_lt_i32_e64 s24, -1, v132
	v_lshrrev_b32_e32 v2, s31, v2
	s_wait_alu 0xf1ff
	s_delay_alu instid0(VALU_DEP_2) | instskip(NEXT) | instid1(VALU_DEP_2)
	v_cndmask_b32_e64 v139, 0x80000000, -1, s24
	v_and_b32_e32 v2, s48, v2
	s_delay_alu instid0(VALU_DEP_1) | instskip(SKIP_3) | instid1(VALU_DEP_1)
	v_lshlrev_b32_e32 v2, 2, v2
	ds_load_b32 v2, v2
	s_wait_dscnt 0x0
	v_add_nc_u32_e32 v2, v2, v55
	v_lshlrev_b64_e32 v[36:37], 2, v[2:3]
	v_xor_b32_e32 v2, v139, v132
	s_delay_alu instid0(VALU_DEP_2) | instskip(SKIP_1) | instid1(VALU_DEP_3)
	v_add_co_u32 v36, s24, s38, v36
	s_wait_alu 0xf1ff
	v_add_co_ci_u32_e64 v37, null, s39, v37, s24
	global_store_b32 v[36:37], v2, off
	s_wait_alu 0xfffe
	s_or_b32 exec_lo, exec_lo, s25
	v_cmp_lt_u32_e64 s24, v56, v131
	s_and_saveexec_b32 s26, s24
	s_cbranch_execz .LBB1463_190
.LBB1463_258:                           ;   in Loop: Header=BB1463_101 Depth=2
	ds_load_b32 v132, v70 offset:11264
	s_wait_dscnt 0x0
	v_cmp_ne_u32_e64 s25, 0x7fffffff, v132
	s_wait_alu 0xf1ff
	s_delay_alu instid0(VALU_DEP_1) | instskip(SKIP_1) | instid1(VALU_DEP_2)
	v_cndmask_b32_e64 v2, 0x80000000, v132, s25
	v_cmp_lt_i32_e64 s25, -1, v132
	v_lshrrev_b32_e32 v2, s31, v2
	s_wait_alu 0xf1ff
	s_delay_alu instid0(VALU_DEP_2) | instskip(NEXT) | instid1(VALU_DEP_2)
	v_cndmask_b32_e64 v139, 0x80000000, -1, s25
	v_and_b32_e32 v2, s48, v2
	s_delay_alu instid0(VALU_DEP_1) | instskip(SKIP_3) | instid1(VALU_DEP_1)
	v_lshlrev_b32_e32 v2, 2, v2
	ds_load_b32 v2, v2
	s_wait_dscnt 0x0
	v_add_nc_u32_e32 v2, v2, v56
	v_lshlrev_b64_e32 v[36:37], 2, v[2:3]
	v_xor_b32_e32 v2, v139, v132
	s_delay_alu instid0(VALU_DEP_2) | instskip(SKIP_1) | instid1(VALU_DEP_3)
	v_add_co_u32 v36, s25, s38, v36
	s_wait_alu 0xf1ff
	v_add_co_ci_u32_e64 v37, null, s39, v37, s25
	global_store_b32 v[36:37], v2, off
	s_wait_alu 0xfffe
	s_or_b32 exec_lo, exec_lo, s26
	v_cmp_lt_u32_e64 s25, v57, v131
	s_and_saveexec_b32 s27, s25
	s_cbranch_execz .LBB1463_191
.LBB1463_259:                           ;   in Loop: Header=BB1463_101 Depth=2
	ds_load_b32 v132, v70 offset:12288
	s_wait_dscnt 0x0
	v_cmp_ne_u32_e64 s26, 0x7fffffff, v132
	s_wait_alu 0xf1ff
	s_delay_alu instid0(VALU_DEP_1) | instskip(SKIP_1) | instid1(VALU_DEP_2)
	v_cndmask_b32_e64 v2, 0x80000000, v132, s26
	v_cmp_lt_i32_e64 s26, -1, v132
	v_lshrrev_b32_e32 v2, s31, v2
	s_wait_alu 0xf1ff
	s_delay_alu instid0(VALU_DEP_2) | instskip(NEXT) | instid1(VALU_DEP_2)
	v_cndmask_b32_e64 v139, 0x80000000, -1, s26
	v_and_b32_e32 v2, s48, v2
	s_delay_alu instid0(VALU_DEP_1) | instskip(SKIP_3) | instid1(VALU_DEP_1)
	v_lshlrev_b32_e32 v2, 2, v2
	ds_load_b32 v2, v2
	s_wait_dscnt 0x0
	v_add_nc_u32_e32 v2, v2, v57
	v_lshlrev_b64_e32 v[36:37], 2, v[2:3]
	v_xor_b32_e32 v2, v139, v132
	s_delay_alu instid0(VALU_DEP_2) | instskip(SKIP_1) | instid1(VALU_DEP_3)
	v_add_co_u32 v36, s26, s38, v36
	s_wait_alu 0xf1ff
	v_add_co_ci_u32_e64 v37, null, s39, v37, s26
	global_store_b32 v[36:37], v2, off
	s_wait_alu 0xfffe
	s_or_b32 exec_lo, exec_lo, s27
	v_cmp_lt_u32_e64 s26, v58, v131
	s_and_saveexec_b32 s28, s26
	s_cbranch_execz .LBB1463_192
.LBB1463_260:                           ;   in Loop: Header=BB1463_101 Depth=2
	ds_load_b32 v132, v70 offset:13312
	s_wait_dscnt 0x0
	v_cmp_ne_u32_e64 s27, 0x7fffffff, v132
	s_wait_alu 0xf1ff
	s_delay_alu instid0(VALU_DEP_1) | instskip(SKIP_1) | instid1(VALU_DEP_2)
	v_cndmask_b32_e64 v2, 0x80000000, v132, s27
	v_cmp_lt_i32_e64 s27, -1, v132
	v_lshrrev_b32_e32 v2, s31, v2
	s_wait_alu 0xf1ff
	s_delay_alu instid0(VALU_DEP_2) | instskip(NEXT) | instid1(VALU_DEP_2)
	v_cndmask_b32_e64 v139, 0x80000000, -1, s27
	v_and_b32_e32 v2, s48, v2
	s_delay_alu instid0(VALU_DEP_1) | instskip(SKIP_3) | instid1(VALU_DEP_1)
	v_lshlrev_b32_e32 v2, 2, v2
	ds_load_b32 v2, v2
	s_wait_dscnt 0x0
	v_add_nc_u32_e32 v2, v2, v58
	v_lshlrev_b64_e32 v[36:37], 2, v[2:3]
	v_xor_b32_e32 v2, v139, v132
	s_delay_alu instid0(VALU_DEP_2) | instskip(SKIP_1) | instid1(VALU_DEP_3)
	v_add_co_u32 v36, s27, s38, v36
	s_wait_alu 0xf1ff
	v_add_co_ci_u32_e64 v37, null, s39, v37, s27
	global_store_b32 v[36:37], v2, off
	s_wait_alu 0xfffe
	s_or_b32 exec_lo, exec_lo, s28
	v_cmp_lt_u32_e64 s27, v59, v131
	s_and_saveexec_b32 s29, s27
	s_cbranch_execz .LBB1463_193
.LBB1463_261:                           ;   in Loop: Header=BB1463_101 Depth=2
	ds_load_b32 v132, v70 offset:14336
	s_wait_dscnt 0x0
	v_cmp_ne_u32_e64 s28, 0x7fffffff, v132
	s_wait_alu 0xf1ff
	s_delay_alu instid0(VALU_DEP_1) | instskip(SKIP_1) | instid1(VALU_DEP_2)
	v_cndmask_b32_e64 v2, 0x80000000, v132, s28
	v_cmp_lt_i32_e64 s28, -1, v132
	v_lshrrev_b32_e32 v2, s31, v2
	s_wait_alu 0xf1ff
	s_delay_alu instid0(VALU_DEP_2) | instskip(NEXT) | instid1(VALU_DEP_2)
	v_cndmask_b32_e64 v139, 0x80000000, -1, s28
	v_and_b32_e32 v2, s48, v2
	s_delay_alu instid0(VALU_DEP_1) | instskip(SKIP_3) | instid1(VALU_DEP_1)
	v_lshlrev_b32_e32 v2, 2, v2
	ds_load_b32 v2, v2
	s_wait_dscnt 0x0
	v_add_nc_u32_e32 v2, v2, v59
	v_lshlrev_b64_e32 v[36:37], 2, v[2:3]
	v_xor_b32_e32 v2, v139, v132
	s_delay_alu instid0(VALU_DEP_2) | instskip(SKIP_1) | instid1(VALU_DEP_3)
	v_add_co_u32 v36, s28, s38, v36
	s_wait_alu 0xf1ff
	v_add_co_ci_u32_e64 v37, null, s39, v37, s28
	global_store_b32 v[36:37], v2, off
	s_wait_alu 0xfffe
	s_or_b32 exec_lo, exec_lo, s29
	v_cmp_lt_u32_e64 s28, v60, v131
	s_and_saveexec_b32 s30, s28
	s_cbranch_execz .LBB1463_194
.LBB1463_262:                           ;   in Loop: Header=BB1463_101 Depth=2
	ds_load_b32 v132, v70 offset:15360
	s_wait_dscnt 0x0
	v_cmp_ne_u32_e64 s29, 0x7fffffff, v132
	s_wait_alu 0xf1ff
	s_delay_alu instid0(VALU_DEP_1) | instskip(SKIP_1) | instid1(VALU_DEP_2)
	v_cndmask_b32_e64 v2, 0x80000000, v132, s29
	v_cmp_lt_i32_e64 s29, -1, v132
	v_lshrrev_b32_e32 v2, s31, v2
	s_wait_alu 0xf1ff
	s_delay_alu instid0(VALU_DEP_2) | instskip(NEXT) | instid1(VALU_DEP_2)
	v_cndmask_b32_e64 v139, 0x80000000, -1, s29
	v_and_b32_e32 v2, s48, v2
	s_delay_alu instid0(VALU_DEP_1) | instskip(SKIP_3) | instid1(VALU_DEP_1)
	v_lshlrev_b32_e32 v2, 2, v2
	ds_load_b32 v2, v2
	s_wait_dscnt 0x0
	v_add_nc_u32_e32 v2, v2, v60
	v_lshlrev_b64_e32 v[36:37], 2, v[2:3]
	v_xor_b32_e32 v2, v139, v132
	s_delay_alu instid0(VALU_DEP_2) | instskip(SKIP_1) | instid1(VALU_DEP_3)
	v_add_co_u32 v36, s29, s38, v36
	s_wait_alu 0xf1ff
	v_add_co_ci_u32_e64 v37, null, s39, v37, s29
	global_store_b32 v[36:37], v2, off
	s_wait_alu 0xfffe
	s_or_b32 exec_lo, exec_lo, s30
	v_cmp_lt_u32_e64 s29, v61, v131
	s_and_saveexec_b32 s56, s29
	s_cbranch_execnz .LBB1463_195
	s_branch .LBB1463_196
.LBB1463_263:                           ;   in Loop: Header=BB1463_101 Depth=2
	global_load_b64 v[34:35], v[36:37], off
	s_wait_alu 0xfffe
	s_or_b32 exec_lo, exec_lo, s30
	s_delay_alu instid0(SALU_CYCLE_1)
	s_mov_b32 s42, exec_lo
	v_cmpx_lt_u32_e64 v92, v131
	s_cbranch_execz .LBB1463_198
.LBB1463_264:                           ;   in Loop: Header=BB1463_101 Depth=2
	global_load_b64 v[32:33], v[36:37], off offset:256
	s_wait_alu 0xfffe
	s_or_b32 exec_lo, exec_lo, s42
	s_delay_alu instid0(SALU_CYCLE_1)
	s_mov_b32 s42, exec_lo
	v_cmpx_lt_u32_e64 v93, v131
	s_cbranch_execz .LBB1463_199
.LBB1463_265:                           ;   in Loop: Header=BB1463_101 Depth=2
	global_load_b64 v[30:31], v[36:37], off offset:512
	s_wait_alu 0xfffe
	s_or_b32 exec_lo, exec_lo, s42
	s_delay_alu instid0(SALU_CYCLE_1)
	s_mov_b32 s42, exec_lo
	v_cmpx_lt_u32_e64 v94, v131
	s_cbranch_execz .LBB1463_200
.LBB1463_266:                           ;   in Loop: Header=BB1463_101 Depth=2
	global_load_b64 v[28:29], v[36:37], off offset:768
	s_wait_alu 0xfffe
	s_or_b32 exec_lo, exec_lo, s42
	s_delay_alu instid0(SALU_CYCLE_1)
	s_mov_b32 s42, exec_lo
	v_cmpx_lt_u32_e64 v95, v131
	s_cbranch_execz .LBB1463_201
.LBB1463_267:                           ;   in Loop: Header=BB1463_101 Depth=2
	global_load_b64 v[26:27], v[36:37], off offset:1024
	s_wait_alu 0xfffe
	s_or_b32 exec_lo, exec_lo, s42
	s_delay_alu instid0(SALU_CYCLE_1)
	s_mov_b32 s42, exec_lo
	v_cmpx_lt_u32_e64 v96, v131
	s_cbranch_execz .LBB1463_202
.LBB1463_268:                           ;   in Loop: Header=BB1463_101 Depth=2
	global_load_b64 v[24:25], v[36:37], off offset:1280
	s_wait_alu 0xfffe
	s_or_b32 exec_lo, exec_lo, s42
	s_delay_alu instid0(SALU_CYCLE_1)
	s_mov_b32 s42, exec_lo
	v_cmpx_lt_u32_e64 v97, v131
	s_cbranch_execz .LBB1463_203
.LBB1463_269:                           ;   in Loop: Header=BB1463_101 Depth=2
	global_load_b64 v[22:23], v[36:37], off offset:1536
	s_wait_alu 0xfffe
	s_or_b32 exec_lo, exec_lo, s42
	s_delay_alu instid0(SALU_CYCLE_1)
	s_mov_b32 s42, exec_lo
	v_cmpx_lt_u32_e64 v98, v131
	s_cbranch_execz .LBB1463_204
.LBB1463_270:                           ;   in Loop: Header=BB1463_101 Depth=2
	global_load_b64 v[20:21], v[36:37], off offset:1792
	s_wait_alu 0xfffe
	s_or_b32 exec_lo, exec_lo, s42
	s_delay_alu instid0(SALU_CYCLE_1)
	s_mov_b32 s42, exec_lo
	v_cmpx_lt_u32_e64 v99, v131
	s_cbranch_execz .LBB1463_205
.LBB1463_271:                           ;   in Loop: Header=BB1463_101 Depth=2
	global_load_b64 v[18:19], v[36:37], off offset:2048
	s_wait_alu 0xfffe
	s_or_b32 exec_lo, exec_lo, s42
	s_delay_alu instid0(SALU_CYCLE_1)
	s_mov_b32 s42, exec_lo
	v_cmpx_lt_u32_e64 v100, v131
	s_cbranch_execz .LBB1463_206
.LBB1463_272:                           ;   in Loop: Header=BB1463_101 Depth=2
	global_load_b64 v[16:17], v[36:37], off offset:2304
	s_wait_alu 0xfffe
	s_or_b32 exec_lo, exec_lo, s42
	s_delay_alu instid0(SALU_CYCLE_1)
	s_mov_b32 s42, exec_lo
	v_cmpx_lt_u32_e64 v101, v131
	s_cbranch_execz .LBB1463_207
.LBB1463_273:                           ;   in Loop: Header=BB1463_101 Depth=2
	global_load_b64 v[14:15], v[36:37], off offset:2560
	s_wait_alu 0xfffe
	s_or_b32 exec_lo, exec_lo, s42
	s_delay_alu instid0(SALU_CYCLE_1)
	s_mov_b32 s42, exec_lo
	v_cmpx_lt_u32_e64 v102, v131
	s_cbranch_execz .LBB1463_208
.LBB1463_274:                           ;   in Loop: Header=BB1463_101 Depth=2
	global_load_b64 v[12:13], v[36:37], off offset:2816
	s_wait_alu 0xfffe
	s_or_b32 exec_lo, exec_lo, s42
	s_delay_alu instid0(SALU_CYCLE_1)
	s_mov_b32 s42, exec_lo
	v_cmpx_lt_u32_e64 v103, v131
	s_cbranch_execz .LBB1463_209
.LBB1463_275:                           ;   in Loop: Header=BB1463_101 Depth=2
	global_load_b64 v[10:11], v[36:37], off offset:3072
	s_wait_alu 0xfffe
	s_or_b32 exec_lo, exec_lo, s42
	s_delay_alu instid0(SALU_CYCLE_1)
	s_mov_b32 s42, exec_lo
	v_cmpx_lt_u32_e64 v104, v131
	s_cbranch_execz .LBB1463_210
.LBB1463_276:                           ;   in Loop: Header=BB1463_101 Depth=2
	global_load_b64 v[8:9], v[36:37], off offset:3328
	s_wait_alu 0xfffe
	s_or_b32 exec_lo, exec_lo, s42
	s_delay_alu instid0(SALU_CYCLE_1)
	s_mov_b32 s42, exec_lo
	v_cmpx_lt_u32_e64 v105, v131
	s_cbranch_execz .LBB1463_211
.LBB1463_277:                           ;   in Loop: Header=BB1463_101 Depth=2
	global_load_b64 v[6:7], v[36:37], off offset:3584
	s_wait_alu 0xfffe
	s_or_b32 exec_lo, exec_lo, s42
	s_delay_alu instid0(SALU_CYCLE_1)
	s_mov_b32 s42, exec_lo
	v_cmpx_lt_u32_e64 v106, v131
	s_cbranch_execz .LBB1463_212
.LBB1463_278:                           ;   in Loop: Header=BB1463_101 Depth=2
	global_load_b64 v[4:5], v[36:37], off offset:3840
	s_wait_alu 0xfffe
	s_or_b32 exec_lo, exec_lo, s42
	s_and_saveexec_b32 s42, vcc_lo
	s_cbranch_execz .LBB1463_213
.LBB1463_279:                           ;   in Loop: Header=BB1463_101 Depth=2
	ds_load_b32 v2, v70 offset:1024
	s_wait_dscnt 0x0
	v_cmp_ne_u32_e64 s30, 0x7fffffff, v2
	s_wait_alu 0xf1ff
	s_delay_alu instid0(VALU_DEP_1) | instskip(NEXT) | instid1(VALU_DEP_1)
	v_cndmask_b32_e64 v2, 0x80000000, v2, s30
	v_lshrrev_b32_e32 v2, s31, v2
	s_delay_alu instid0(VALU_DEP_1)
	v_and_b32_e32 v130, s48, v2
	s_wait_alu 0xfffe
	s_or_b32 exec_lo, exec_lo, s42
	s_and_saveexec_b32 s42, s15
	s_cbranch_execz .LBB1463_214
.LBB1463_280:                           ;   in Loop: Header=BB1463_101 Depth=2
	ds_load_b32 v2, v70 offset:2048
	s_wait_dscnt 0x0
	v_cmp_ne_u32_e64 s30, 0x7fffffff, v2
	s_wait_alu 0xf1ff
	s_delay_alu instid0(VALU_DEP_1) | instskip(NEXT) | instid1(VALU_DEP_1)
	v_cndmask_b32_e64 v2, 0x80000000, v2, s30
	v_lshrrev_b32_e32 v2, s31, v2
	s_delay_alu instid0(VALU_DEP_1)
	v_and_b32_e32 v129, s48, v2
	s_wait_alu 0xfffe
	s_or_b32 exec_lo, exec_lo, s42
	s_and_saveexec_b32 s42, s16
	s_cbranch_execz .LBB1463_215
.LBB1463_281:                           ;   in Loop: Header=BB1463_101 Depth=2
	ds_load_b32 v2, v70 offset:3072
	s_wait_dscnt 0x0
	v_cmp_ne_u32_e64 s30, 0x7fffffff, v2
	s_wait_alu 0xf1ff
	s_delay_alu instid0(VALU_DEP_1) | instskip(NEXT) | instid1(VALU_DEP_1)
	v_cndmask_b32_e64 v2, 0x80000000, v2, s30
	v_lshrrev_b32_e32 v2, s31, v2
	s_delay_alu instid0(VALU_DEP_1)
	v_and_b32_e32 v128, s48, v2
	s_wait_alu 0xfffe
	s_or_b32 exec_lo, exec_lo, s42
	s_and_saveexec_b32 s42, s17
	s_cbranch_execz .LBB1463_216
.LBB1463_282:                           ;   in Loop: Header=BB1463_101 Depth=2
	ds_load_b32 v2, v70 offset:4096
	s_wait_dscnt 0x0
	v_cmp_ne_u32_e64 s30, 0x7fffffff, v2
	s_wait_alu 0xf1ff
	s_delay_alu instid0(VALU_DEP_1) | instskip(NEXT) | instid1(VALU_DEP_1)
	v_cndmask_b32_e64 v2, 0x80000000, v2, s30
	v_lshrrev_b32_e32 v2, s31, v2
	s_delay_alu instid0(VALU_DEP_1)
	v_and_b32_e32 v127, s48, v2
	s_wait_alu 0xfffe
	s_or_b32 exec_lo, exec_lo, s42
	s_and_saveexec_b32 s42, s18
	s_cbranch_execz .LBB1463_217
.LBB1463_283:                           ;   in Loop: Header=BB1463_101 Depth=2
	ds_load_b32 v2, v70 offset:5120
	s_wait_dscnt 0x0
	v_cmp_ne_u32_e64 s30, 0x7fffffff, v2
	s_wait_alu 0xf1ff
	s_delay_alu instid0(VALU_DEP_1) | instskip(NEXT) | instid1(VALU_DEP_1)
	v_cndmask_b32_e64 v2, 0x80000000, v2, s30
	v_lshrrev_b32_e32 v2, s31, v2
	s_delay_alu instid0(VALU_DEP_1)
	v_and_b32_e32 v126, s48, v2
	s_wait_alu 0xfffe
	s_or_b32 exec_lo, exec_lo, s42
	s_and_saveexec_b32 s42, s19
	s_cbranch_execz .LBB1463_218
.LBB1463_284:                           ;   in Loop: Header=BB1463_101 Depth=2
	ds_load_b32 v2, v70 offset:6144
	s_wait_dscnt 0x0
	v_cmp_ne_u32_e64 s30, 0x7fffffff, v2
	s_wait_alu 0xf1ff
	s_delay_alu instid0(VALU_DEP_1) | instskip(NEXT) | instid1(VALU_DEP_1)
	v_cndmask_b32_e64 v2, 0x80000000, v2, s30
	v_lshrrev_b32_e32 v2, s31, v2
	s_delay_alu instid0(VALU_DEP_1)
	v_and_b32_e32 v125, s48, v2
	s_wait_alu 0xfffe
	s_or_b32 exec_lo, exec_lo, s42
	s_and_saveexec_b32 s42, s20
	s_cbranch_execz .LBB1463_219
.LBB1463_285:                           ;   in Loop: Header=BB1463_101 Depth=2
	ds_load_b32 v2, v70 offset:7168
	s_wait_dscnt 0x0
	v_cmp_ne_u32_e64 s30, 0x7fffffff, v2
	s_wait_alu 0xf1ff
	s_delay_alu instid0(VALU_DEP_1) | instskip(NEXT) | instid1(VALU_DEP_1)
	v_cndmask_b32_e64 v2, 0x80000000, v2, s30
	v_lshrrev_b32_e32 v2, s31, v2
	s_delay_alu instid0(VALU_DEP_1)
	v_and_b32_e32 v124, s48, v2
	s_wait_alu 0xfffe
	s_or_b32 exec_lo, exec_lo, s42
	s_and_saveexec_b32 s42, s21
	s_cbranch_execz .LBB1463_220
.LBB1463_286:                           ;   in Loop: Header=BB1463_101 Depth=2
	ds_load_b32 v2, v70 offset:8192
	s_wait_dscnt 0x0
	v_cmp_ne_u32_e64 s30, 0x7fffffff, v2
	s_wait_alu 0xf1ff
	s_delay_alu instid0(VALU_DEP_1) | instskip(NEXT) | instid1(VALU_DEP_1)
	v_cndmask_b32_e64 v2, 0x80000000, v2, s30
	v_lshrrev_b32_e32 v2, s31, v2
	s_delay_alu instid0(VALU_DEP_1)
	v_and_b32_e32 v123, s48, v2
	s_wait_alu 0xfffe
	s_or_b32 exec_lo, exec_lo, s42
	s_and_saveexec_b32 s42, s22
	s_cbranch_execz .LBB1463_221
.LBB1463_287:                           ;   in Loop: Header=BB1463_101 Depth=2
	ds_load_b32 v2, v70 offset:9216
	s_wait_dscnt 0x0
	v_cmp_ne_u32_e64 s30, 0x7fffffff, v2
	s_wait_alu 0xf1ff
	s_delay_alu instid0(VALU_DEP_1) | instskip(NEXT) | instid1(VALU_DEP_1)
	v_cndmask_b32_e64 v2, 0x80000000, v2, s30
	v_lshrrev_b32_e32 v2, s31, v2
	s_delay_alu instid0(VALU_DEP_1)
	v_and_b32_e32 v122, s48, v2
	s_wait_alu 0xfffe
	s_or_b32 exec_lo, exec_lo, s42
	s_and_saveexec_b32 s42, s23
	s_cbranch_execz .LBB1463_222
.LBB1463_288:                           ;   in Loop: Header=BB1463_101 Depth=2
	ds_load_b32 v2, v70 offset:10240
	s_wait_dscnt 0x0
	v_cmp_ne_u32_e64 s30, 0x7fffffff, v2
	s_wait_alu 0xf1ff
	s_delay_alu instid0(VALU_DEP_1) | instskip(NEXT) | instid1(VALU_DEP_1)
	v_cndmask_b32_e64 v2, 0x80000000, v2, s30
	v_lshrrev_b32_e32 v2, s31, v2
	s_delay_alu instid0(VALU_DEP_1)
	v_and_b32_e32 v121, s48, v2
	s_wait_alu 0xfffe
	s_or_b32 exec_lo, exec_lo, s42
	s_and_saveexec_b32 s42, s24
	s_cbranch_execz .LBB1463_223
.LBB1463_289:                           ;   in Loop: Header=BB1463_101 Depth=2
	ds_load_b32 v2, v70 offset:11264
	s_wait_dscnt 0x0
	v_cmp_ne_u32_e64 s30, 0x7fffffff, v2
	s_wait_alu 0xf1ff
	s_delay_alu instid0(VALU_DEP_1) | instskip(NEXT) | instid1(VALU_DEP_1)
	v_cndmask_b32_e64 v2, 0x80000000, v2, s30
	v_lshrrev_b32_e32 v2, s31, v2
	s_delay_alu instid0(VALU_DEP_1)
	v_and_b32_e32 v120, s48, v2
	s_wait_alu 0xfffe
	s_or_b32 exec_lo, exec_lo, s42
	s_and_saveexec_b32 s42, s25
	s_cbranch_execz .LBB1463_224
.LBB1463_290:                           ;   in Loop: Header=BB1463_101 Depth=2
	ds_load_b32 v2, v70 offset:12288
	s_wait_dscnt 0x0
	v_cmp_ne_u32_e64 s30, 0x7fffffff, v2
	s_wait_alu 0xf1ff
	s_delay_alu instid0(VALU_DEP_1) | instskip(NEXT) | instid1(VALU_DEP_1)
	v_cndmask_b32_e64 v2, 0x80000000, v2, s30
	v_lshrrev_b32_e32 v2, s31, v2
	s_delay_alu instid0(VALU_DEP_1)
	v_and_b32_e32 v119, s48, v2
	s_wait_alu 0xfffe
	s_or_b32 exec_lo, exec_lo, s42
	s_and_saveexec_b32 s42, s26
	s_cbranch_execz .LBB1463_225
.LBB1463_291:                           ;   in Loop: Header=BB1463_101 Depth=2
	ds_load_b32 v2, v70 offset:13312
	s_wait_dscnt 0x0
	v_cmp_ne_u32_e64 s30, 0x7fffffff, v2
	s_wait_alu 0xf1ff
	s_delay_alu instid0(VALU_DEP_1) | instskip(NEXT) | instid1(VALU_DEP_1)
	v_cndmask_b32_e64 v2, 0x80000000, v2, s30
	v_lshrrev_b32_e32 v2, s31, v2
	s_delay_alu instid0(VALU_DEP_1)
	v_and_b32_e32 v118, s48, v2
	s_wait_alu 0xfffe
	s_or_b32 exec_lo, exec_lo, s42
	s_and_saveexec_b32 s42, s27
	s_cbranch_execz .LBB1463_226
.LBB1463_292:                           ;   in Loop: Header=BB1463_101 Depth=2
	ds_load_b32 v2, v70 offset:14336
	s_wait_dscnt 0x0
	v_cmp_ne_u32_e64 s30, 0x7fffffff, v2
	s_wait_alu 0xf1ff
	s_delay_alu instid0(VALU_DEP_1) | instskip(NEXT) | instid1(VALU_DEP_1)
	v_cndmask_b32_e64 v2, 0x80000000, v2, s30
	v_lshrrev_b32_e32 v2, s31, v2
	s_delay_alu instid0(VALU_DEP_1)
	v_and_b32_e32 v117, s48, v2
	s_wait_alu 0xfffe
	s_or_b32 exec_lo, exec_lo, s42
	s_and_saveexec_b32 s42, s28
	s_cbranch_execz .LBB1463_227
.LBB1463_293:                           ;   in Loop: Header=BB1463_101 Depth=2
	ds_load_b32 v2, v70 offset:15360
	s_wait_dscnt 0x0
	v_cmp_ne_u32_e64 s30, 0x7fffffff, v2
	s_wait_alu 0xf1ff
	s_delay_alu instid0(VALU_DEP_1) | instskip(NEXT) | instid1(VALU_DEP_1)
	v_cndmask_b32_e64 v2, 0x80000000, v2, s30
	v_lshrrev_b32_e32 v2, s31, v2
	s_delay_alu instid0(VALU_DEP_1)
	v_and_b32_e32 v116, s48, v2
	s_wait_alu 0xfffe
	s_or_b32 exec_lo, exec_lo, s42
	s_and_saveexec_b32 s42, s29
	s_cbranch_execnz .LBB1463_228
	s_branch .LBB1463_229
.LBB1463_294:                           ;   in Loop: Header=BB1463_101 Depth=2
	v_lshlrev_b32_e32 v2, 2, v130
	v_add_nc_u32_e32 v36, v70, v44
	ds_load_b32 v2, v2
	ds_load_b64 v[36:37], v36 offset:1024
	s_wait_dscnt 0x1
	v_add_nc_u32_e32 v2, v2, v1
	s_delay_alu instid0(VALU_DEP_1) | instskip(NEXT) | instid1(VALU_DEP_1)
	v_lshlrev_b64_e32 v[39:40], 3, v[2:3]
	v_add_co_u32 v39, vcc_lo, s44, v39
	s_wait_alu 0xfffd
	s_delay_alu instid0(VALU_DEP_2)
	v_add_co_ci_u32_e64 v40, null, s45, v40, vcc_lo
	s_wait_dscnt 0x0
	global_store_b64 v[39:40], v[36:37], off
	s_wait_alu 0xfffe
	s_or_b32 exec_lo, exec_lo, s30
	s_and_saveexec_b32 s30, s15
	s_cbranch_execz .LBB1463_231
.LBB1463_295:                           ;   in Loop: Header=BB1463_101 Depth=2
	v_lshlrev_b32_e32 v2, 2, v129
	v_add_nc_u32_e32 v36, v70, v44
	ds_load_b32 v2, v2
	ds_load_b64 v[36:37], v36 offset:3072
	s_wait_dscnt 0x1
	v_add_nc_u32_e32 v2, v2, v45
	s_delay_alu instid0(VALU_DEP_1) | instskip(NEXT) | instid1(VALU_DEP_1)
	v_lshlrev_b64_e32 v[39:40], 3, v[2:3]
	v_add_co_u32 v39, vcc_lo, s44, v39
	s_wait_alu 0xfffd
	s_delay_alu instid0(VALU_DEP_2)
	v_add_co_ci_u32_e64 v40, null, s45, v40, vcc_lo
	s_wait_dscnt 0x0
	global_store_b64 v[39:40], v[36:37], off
	s_wait_alu 0xfffe
	s_or_b32 exec_lo, exec_lo, s30
	s_and_saveexec_b32 s15, s16
	s_cbranch_execz .LBB1463_232
.LBB1463_296:                           ;   in Loop: Header=BB1463_101 Depth=2
	v_lshlrev_b32_e32 v2, 2, v128
	v_add_nc_u32_e32 v36, v70, v44
	ds_load_b32 v2, v2
	ds_load_b64 v[36:37], v36 offset:5120
	s_wait_dscnt 0x1
	v_add_nc_u32_e32 v2, v2, v46
	s_delay_alu instid0(VALU_DEP_1) | instskip(NEXT) | instid1(VALU_DEP_1)
	v_lshlrev_b64_e32 v[39:40], 3, v[2:3]
	v_add_co_u32 v39, vcc_lo, s44, v39
	s_wait_alu 0xfffd
	s_delay_alu instid0(VALU_DEP_2)
	v_add_co_ci_u32_e64 v40, null, s45, v40, vcc_lo
	s_wait_dscnt 0x0
	global_store_b64 v[39:40], v[36:37], off
	s_wait_alu 0xfffe
	s_or_b32 exec_lo, exec_lo, s15
	s_and_saveexec_b32 s15, s17
	s_cbranch_execz .LBB1463_233
.LBB1463_297:                           ;   in Loop: Header=BB1463_101 Depth=2
	v_lshlrev_b32_e32 v2, 2, v127
	v_add_nc_u32_e32 v36, v70, v44
	ds_load_b32 v2, v2
	ds_load_b64 v[36:37], v36 offset:7168
	s_wait_dscnt 0x1
	v_add_nc_u32_e32 v2, v2, v47
	s_delay_alu instid0(VALU_DEP_1) | instskip(NEXT) | instid1(VALU_DEP_1)
	v_lshlrev_b64_e32 v[39:40], 3, v[2:3]
	v_add_co_u32 v39, vcc_lo, s44, v39
	s_wait_alu 0xfffd
	s_delay_alu instid0(VALU_DEP_2)
	v_add_co_ci_u32_e64 v40, null, s45, v40, vcc_lo
	s_wait_dscnt 0x0
	global_store_b64 v[39:40], v[36:37], off
	s_wait_alu 0xfffe
	s_or_b32 exec_lo, exec_lo, s15
	s_and_saveexec_b32 s15, s18
	s_cbranch_execz .LBB1463_234
.LBB1463_298:                           ;   in Loop: Header=BB1463_101 Depth=2
	v_lshlrev_b32_e32 v2, 2, v126
	v_add_nc_u32_e32 v36, v70, v44
	ds_load_b32 v2, v2
	ds_load_b64 v[36:37], v36 offset:9216
	s_wait_dscnt 0x1
	v_add_nc_u32_e32 v2, v2, v50
	s_delay_alu instid0(VALU_DEP_1) | instskip(NEXT) | instid1(VALU_DEP_1)
	v_lshlrev_b64_e32 v[39:40], 3, v[2:3]
	v_add_co_u32 v39, vcc_lo, s44, v39
	s_wait_alu 0xfffd
	s_delay_alu instid0(VALU_DEP_2)
	v_add_co_ci_u32_e64 v40, null, s45, v40, vcc_lo
	s_wait_dscnt 0x0
	global_store_b64 v[39:40], v[36:37], off
	s_wait_alu 0xfffe
	s_or_b32 exec_lo, exec_lo, s15
	s_and_saveexec_b32 s15, s19
	s_cbranch_execz .LBB1463_235
.LBB1463_299:                           ;   in Loop: Header=BB1463_101 Depth=2
	v_lshlrev_b32_e32 v2, 2, v125
	v_add_nc_u32_e32 v36, v70, v44
	ds_load_b32 v2, v2
	ds_load_b64 v[36:37], v36 offset:11264
	s_wait_dscnt 0x1
	v_add_nc_u32_e32 v2, v2, v51
	s_delay_alu instid0(VALU_DEP_1) | instskip(NEXT) | instid1(VALU_DEP_1)
	v_lshlrev_b64_e32 v[39:40], 3, v[2:3]
	v_add_co_u32 v39, vcc_lo, s44, v39
	s_wait_alu 0xfffd
	s_delay_alu instid0(VALU_DEP_2)
	v_add_co_ci_u32_e64 v40, null, s45, v40, vcc_lo
	s_wait_dscnt 0x0
	global_store_b64 v[39:40], v[36:37], off
	s_wait_alu 0xfffe
	s_or_b32 exec_lo, exec_lo, s15
	s_and_saveexec_b32 s15, s20
	s_cbranch_execz .LBB1463_236
.LBB1463_300:                           ;   in Loop: Header=BB1463_101 Depth=2
	v_lshlrev_b32_e32 v2, 2, v124
	v_add_nc_u32_e32 v36, v70, v44
	ds_load_b32 v2, v2
	ds_load_b64 v[36:37], v36 offset:13312
	s_wait_dscnt 0x1
	v_add_nc_u32_e32 v2, v2, v52
	s_delay_alu instid0(VALU_DEP_1) | instskip(NEXT) | instid1(VALU_DEP_1)
	v_lshlrev_b64_e32 v[39:40], 3, v[2:3]
	v_add_co_u32 v39, vcc_lo, s44, v39
	s_wait_alu 0xfffd
	s_delay_alu instid0(VALU_DEP_2)
	v_add_co_ci_u32_e64 v40, null, s45, v40, vcc_lo
	s_wait_dscnt 0x0
	global_store_b64 v[39:40], v[36:37], off
	s_wait_alu 0xfffe
	s_or_b32 exec_lo, exec_lo, s15
	s_and_saveexec_b32 s15, s21
	s_cbranch_execz .LBB1463_237
.LBB1463_301:                           ;   in Loop: Header=BB1463_101 Depth=2
	v_lshlrev_b32_e32 v2, 2, v123
	v_add_nc_u32_e32 v36, v70, v44
	ds_load_b32 v2, v2
	ds_load_b64 v[36:37], v36 offset:15360
	s_wait_dscnt 0x1
	v_add_nc_u32_e32 v2, v2, v53
	s_delay_alu instid0(VALU_DEP_1) | instskip(NEXT) | instid1(VALU_DEP_1)
	v_lshlrev_b64_e32 v[39:40], 3, v[2:3]
	v_add_co_u32 v39, vcc_lo, s44, v39
	s_wait_alu 0xfffd
	s_delay_alu instid0(VALU_DEP_2)
	v_add_co_ci_u32_e64 v40, null, s45, v40, vcc_lo
	s_wait_dscnt 0x0
	global_store_b64 v[39:40], v[36:37], off
	s_wait_alu 0xfffe
	s_or_b32 exec_lo, exec_lo, s15
	s_and_saveexec_b32 s15, s22
	s_cbranch_execz .LBB1463_238
.LBB1463_302:                           ;   in Loop: Header=BB1463_101 Depth=2
	v_lshlrev_b32_e32 v2, 2, v122
	v_add_nc_u32_e32 v36, v70, v44
	ds_load_b32 v2, v2
	ds_load_b64 v[36:37], v36 offset:17408
	s_wait_dscnt 0x1
	v_add_nc_u32_e32 v2, v2, v54
	s_delay_alu instid0(VALU_DEP_1) | instskip(NEXT) | instid1(VALU_DEP_1)
	v_lshlrev_b64_e32 v[39:40], 3, v[2:3]
	v_add_co_u32 v39, vcc_lo, s44, v39
	s_wait_alu 0xfffd
	s_delay_alu instid0(VALU_DEP_2)
	v_add_co_ci_u32_e64 v40, null, s45, v40, vcc_lo
	s_wait_dscnt 0x0
	global_store_b64 v[39:40], v[36:37], off
	s_wait_alu 0xfffe
	s_or_b32 exec_lo, exec_lo, s15
	s_and_saveexec_b32 s15, s23
	s_cbranch_execz .LBB1463_239
.LBB1463_303:                           ;   in Loop: Header=BB1463_101 Depth=2
	v_lshlrev_b32_e32 v2, 2, v121
	v_add_nc_u32_e32 v36, v70, v44
	ds_load_b32 v2, v2
	ds_load_b64 v[36:37], v36 offset:19456
	s_wait_dscnt 0x1
	v_add_nc_u32_e32 v2, v2, v55
	s_delay_alu instid0(VALU_DEP_1) | instskip(NEXT) | instid1(VALU_DEP_1)
	v_lshlrev_b64_e32 v[39:40], 3, v[2:3]
	v_add_co_u32 v39, vcc_lo, s44, v39
	s_wait_alu 0xfffd
	s_delay_alu instid0(VALU_DEP_2)
	v_add_co_ci_u32_e64 v40, null, s45, v40, vcc_lo
	s_wait_dscnt 0x0
	global_store_b64 v[39:40], v[36:37], off
	s_wait_alu 0xfffe
	s_or_b32 exec_lo, exec_lo, s15
	s_and_saveexec_b32 s15, s24
	s_cbranch_execz .LBB1463_240
.LBB1463_304:                           ;   in Loop: Header=BB1463_101 Depth=2
	v_lshlrev_b32_e32 v2, 2, v120
	v_add_nc_u32_e32 v36, v70, v44
	ds_load_b32 v2, v2
	ds_load_b64 v[36:37], v36 offset:21504
	s_wait_dscnt 0x1
	v_add_nc_u32_e32 v2, v2, v56
	s_delay_alu instid0(VALU_DEP_1) | instskip(NEXT) | instid1(VALU_DEP_1)
	v_lshlrev_b64_e32 v[39:40], 3, v[2:3]
	v_add_co_u32 v39, vcc_lo, s44, v39
	s_wait_alu 0xfffd
	s_delay_alu instid0(VALU_DEP_2)
	v_add_co_ci_u32_e64 v40, null, s45, v40, vcc_lo
	s_wait_dscnt 0x0
	global_store_b64 v[39:40], v[36:37], off
	s_wait_alu 0xfffe
	s_or_b32 exec_lo, exec_lo, s15
	s_and_saveexec_b32 s15, s25
	s_cbranch_execz .LBB1463_241
.LBB1463_305:                           ;   in Loop: Header=BB1463_101 Depth=2
	v_lshlrev_b32_e32 v2, 2, v119
	v_add_nc_u32_e32 v36, v70, v44
	ds_load_b32 v2, v2
	ds_load_b64 v[36:37], v36 offset:23552
	s_wait_dscnt 0x1
	v_add_nc_u32_e32 v2, v2, v57
	s_delay_alu instid0(VALU_DEP_1) | instskip(NEXT) | instid1(VALU_DEP_1)
	v_lshlrev_b64_e32 v[39:40], 3, v[2:3]
	v_add_co_u32 v39, vcc_lo, s44, v39
	s_wait_alu 0xfffd
	s_delay_alu instid0(VALU_DEP_2)
	v_add_co_ci_u32_e64 v40, null, s45, v40, vcc_lo
	s_wait_dscnt 0x0
	global_store_b64 v[39:40], v[36:37], off
	s_wait_alu 0xfffe
	s_or_b32 exec_lo, exec_lo, s15
	s_and_saveexec_b32 s15, s26
	s_cbranch_execz .LBB1463_242
.LBB1463_306:                           ;   in Loop: Header=BB1463_101 Depth=2
	v_lshlrev_b32_e32 v2, 2, v118
	v_add_nc_u32_e32 v36, v70, v44
	ds_load_b32 v2, v2
	ds_load_b64 v[36:37], v36 offset:25600
	s_wait_dscnt 0x1
	v_add_nc_u32_e32 v2, v2, v58
	s_delay_alu instid0(VALU_DEP_1) | instskip(NEXT) | instid1(VALU_DEP_1)
	v_lshlrev_b64_e32 v[39:40], 3, v[2:3]
	v_add_co_u32 v39, vcc_lo, s44, v39
	s_wait_alu 0xfffd
	s_delay_alu instid0(VALU_DEP_2)
	v_add_co_ci_u32_e64 v40, null, s45, v40, vcc_lo
	s_wait_dscnt 0x0
	global_store_b64 v[39:40], v[36:37], off
	s_wait_alu 0xfffe
	s_or_b32 exec_lo, exec_lo, s15
	s_and_saveexec_b32 s15, s27
	s_cbranch_execz .LBB1463_243
.LBB1463_307:                           ;   in Loop: Header=BB1463_101 Depth=2
	v_lshlrev_b32_e32 v2, 2, v117
	v_add_nc_u32_e32 v36, v70, v44
	ds_load_b32 v2, v2
	ds_load_b64 v[36:37], v36 offset:27648
	s_wait_dscnt 0x1
	v_add_nc_u32_e32 v2, v2, v59
	s_delay_alu instid0(VALU_DEP_1) | instskip(NEXT) | instid1(VALU_DEP_1)
	v_lshlrev_b64_e32 v[39:40], 3, v[2:3]
	v_add_co_u32 v39, vcc_lo, s44, v39
	s_wait_alu 0xfffd
	s_delay_alu instid0(VALU_DEP_2)
	v_add_co_ci_u32_e64 v40, null, s45, v40, vcc_lo
	s_wait_dscnt 0x0
	global_store_b64 v[39:40], v[36:37], off
	s_wait_alu 0xfffe
	s_or_b32 exec_lo, exec_lo, s15
	s_and_saveexec_b32 s15, s28
	s_cbranch_execz .LBB1463_244
.LBB1463_308:                           ;   in Loop: Header=BB1463_101 Depth=2
	v_lshlrev_b32_e32 v2, 2, v116
	v_add_nc_u32_e32 v36, v70, v44
	ds_load_b32 v2, v2
	ds_load_b64 v[36:37], v36 offset:29696
	s_wait_dscnt 0x1
	v_add_nc_u32_e32 v2, v2, v60
	s_delay_alu instid0(VALU_DEP_1) | instskip(NEXT) | instid1(VALU_DEP_1)
	v_lshlrev_b64_e32 v[39:40], 3, v[2:3]
	v_add_co_u32 v39, vcc_lo, s44, v39
	s_wait_alu 0xfffd
	s_delay_alu instid0(VALU_DEP_2)
	v_add_co_ci_u32_e64 v40, null, s45, v40, vcc_lo
	s_wait_dscnt 0x0
	global_store_b64 v[39:40], v[36:37], off
	s_wait_alu 0xfffe
	s_or_b32 exec_lo, exec_lo, s15
	s_and_saveexec_b32 s15, s29
	s_cbranch_execnz .LBB1463_245
	s_branch .LBB1463_246
.LBB1463_309:                           ;   in Loop: Header=BB1463_17 Depth=1
	s_wait_loadcnt_dscnt 0x0
	s_barrier_signal -1
	s_mov_b32 s0, 0
	s_barrier_wait -1
.LBB1463_310:                           ;   in Loop: Header=BB1463_17 Depth=1
	s_wait_alu 0xfffe
	s_and_b32 vcc_lo, exec_lo, s0
	s_wait_alu 0xfffe
	s_cbranch_vccz .LBB1463_602
; %bb.311:                              ;   in Loop: Header=BB1463_17 Depth=1
	s_mov_b32 s9, s53
	s_mov_b32 s42, s33
	s_barrier_signal -1
	s_barrier_wait -1
	global_inv scope:SCOPE_SE
                                        ; implicit-def: $vgpr2
                                        ; implicit-def: $vgpr4
                                        ; implicit-def: $vgpr5
                                        ; implicit-def: $vgpr6
                                        ; implicit-def: $vgpr7
                                        ; implicit-def: $vgpr8
                                        ; implicit-def: $vgpr9
                                        ; implicit-def: $vgpr10
                                        ; implicit-def: $vgpr11
                                        ; implicit-def: $vgpr12
                                        ; implicit-def: $vgpr13
                                        ; implicit-def: $vgpr14
                                        ; implicit-def: $vgpr15
                                        ; implicit-def: $vgpr16
                                        ; implicit-def: $vgpr17
                                        ; implicit-def: $vgpr18
	s_branch .LBB1463_313
.LBB1463_312:                           ;   in Loop: Header=BB1463_313 Depth=2
	s_wait_alu 0xfffe
	s_or_b32 exec_lo, exec_lo, s0
	s_addk_co_i32 s9, 0xf000
	s_cmp_ge_u32 s10, s51
	s_mov_b32 s42, s10
	s_cbranch_scc1 .LBB1463_381
.LBB1463_313:                           ;   Parent Loop BB1463_17 Depth=1
                                        ; =>  This Inner Loop Header: Depth=2
	s_wait_alu 0xfffe
	s_add_co_i32 s10, s42, 0x1000
	s_mov_b32 s0, -1
	s_wait_alu 0xfffe
	s_cmp_gt_u32 s10, s51
                                        ; implicit-def: $vgpr19
                                        ; implicit-def: $vgpr20
                                        ; implicit-def: $vgpr21
                                        ; implicit-def: $vgpr22
                                        ; implicit-def: $vgpr23
                                        ; implicit-def: $vgpr24
                                        ; implicit-def: $vgpr25
                                        ; implicit-def: $vgpr26
                                        ; implicit-def: $vgpr27
                                        ; implicit-def: $vgpr28
                                        ; implicit-def: $vgpr29
                                        ; implicit-def: $vgpr30
                                        ; implicit-def: $vgpr31
                                        ; implicit-def: $vgpr32
                                        ; implicit-def: $vgpr33
                                        ; implicit-def: $vgpr34
	s_cbranch_scc1 .LBB1463_315
; %bb.314:                              ;   in Loop: Header=BB1463_313 Depth=2
	s_lshl_b64 s[0:1], s[42:43], 2
	s_wait_alu 0xfffe
	v_add_co_u32 v34, vcc_lo, v71, s0
	s_wait_alu 0xfffd
	v_add_co_ci_u32_e64 v35, null, s1, v72, vcc_lo
	s_mov_b32 s0, 0
	s_clause 0xf
	global_load_b32 v19, v[34:35], off
	global_load_b32 v20, v[34:35], off offset:1024
	global_load_b32 v21, v[34:35], off offset:2048
	global_load_b32 v22, v[34:35], off offset:3072
	global_load_b32 v23, v[34:35], off offset:4096
	global_load_b32 v24, v[34:35], off offset:5120
	global_load_b32 v25, v[34:35], off offset:6144
	global_load_b32 v26, v[34:35], off offset:7168
	global_load_b32 v27, v[34:35], off offset:8192
	global_load_b32 v28, v[34:35], off offset:9216
	global_load_b32 v29, v[34:35], off offset:10240
	global_load_b32 v30, v[34:35], off offset:11264
	global_load_b32 v31, v[34:35], off offset:12288
	global_load_b32 v32, v[34:35], off offset:13312
	global_load_b32 v33, v[34:35], off offset:14336
	global_load_b32 v34, v[34:35], off offset:15360
.LBB1463_315:                           ;   in Loop: Header=BB1463_313 Depth=2
	s_wait_alu 0xfffe
	s_and_not1_b32 vcc_lo, exec_lo, s0
	s_movk_i32 s0, 0x1000
	s_wait_alu 0xfffe
	s_cbranch_vccnz .LBB1463_334
; %bb.316:                              ;   in Loop: Header=BB1463_313 Depth=2
	s_lshl_b64 s[0:1], s[42:43], 2
	s_mov_b32 s11, exec_lo
	s_wait_alu 0xfffe
	s_add_nc_u64 s[0:1], s[38:39], s[0:1]
	v_cmpx_gt_u32_e64 s9, v1
	s_cbranch_execnz .LBB1463_366
; %bb.317:                              ;   in Loop: Header=BB1463_313 Depth=2
	s_or_b32 exec_lo, exec_lo, s11
	s_delay_alu instid0(SALU_CYCLE_1)
	s_mov_b32 s11, exec_lo
	v_cmpx_gt_u32_e64 s9, v45
	s_cbranch_execnz .LBB1463_367
.LBB1463_318:                           ;   in Loop: Header=BB1463_313 Depth=2
	s_wait_alu 0xfffe
	s_or_b32 exec_lo, exec_lo, s11
	s_delay_alu instid0(SALU_CYCLE_1)
	s_mov_b32 s11, exec_lo
	v_cmpx_gt_u32_e64 s9, v46
	s_cbranch_execnz .LBB1463_368
.LBB1463_319:                           ;   in Loop: Header=BB1463_313 Depth=2
	s_wait_alu 0xfffe
	s_or_b32 exec_lo, exec_lo, s11
	s_delay_alu instid0(SALU_CYCLE_1)
	s_mov_b32 s11, exec_lo
	v_cmpx_gt_u32_e64 s9, v47
	s_cbranch_execnz .LBB1463_369
.LBB1463_320:                           ;   in Loop: Header=BB1463_313 Depth=2
	s_wait_alu 0xfffe
	s_or_b32 exec_lo, exec_lo, s11
	s_delay_alu instid0(SALU_CYCLE_1)
	s_mov_b32 s11, exec_lo
	v_cmpx_gt_u32_e64 s9, v50
	s_cbranch_execnz .LBB1463_370
.LBB1463_321:                           ;   in Loop: Header=BB1463_313 Depth=2
	s_wait_alu 0xfffe
	s_or_b32 exec_lo, exec_lo, s11
	s_delay_alu instid0(SALU_CYCLE_1)
	s_mov_b32 s11, exec_lo
	v_cmpx_gt_u32_e64 s9, v51
	s_cbranch_execnz .LBB1463_371
.LBB1463_322:                           ;   in Loop: Header=BB1463_313 Depth=2
	s_wait_alu 0xfffe
	s_or_b32 exec_lo, exec_lo, s11
	s_delay_alu instid0(SALU_CYCLE_1)
	s_mov_b32 s11, exec_lo
	v_cmpx_gt_u32_e64 s9, v52
	s_cbranch_execnz .LBB1463_372
.LBB1463_323:                           ;   in Loop: Header=BB1463_313 Depth=2
	s_wait_alu 0xfffe
	s_or_b32 exec_lo, exec_lo, s11
	s_delay_alu instid0(SALU_CYCLE_1)
	s_mov_b32 s11, exec_lo
	v_cmpx_gt_u32_e64 s9, v53
	s_cbranch_execnz .LBB1463_373
.LBB1463_324:                           ;   in Loop: Header=BB1463_313 Depth=2
	s_wait_alu 0xfffe
	s_or_b32 exec_lo, exec_lo, s11
	s_delay_alu instid0(SALU_CYCLE_1)
	s_mov_b32 s11, exec_lo
	v_cmpx_gt_u32_e64 s9, v54
	s_cbranch_execnz .LBB1463_374
.LBB1463_325:                           ;   in Loop: Header=BB1463_313 Depth=2
	s_wait_alu 0xfffe
	s_or_b32 exec_lo, exec_lo, s11
	s_delay_alu instid0(SALU_CYCLE_1)
	s_mov_b32 s11, exec_lo
	v_cmpx_gt_u32_e64 s9, v55
	s_cbranch_execnz .LBB1463_375
.LBB1463_326:                           ;   in Loop: Header=BB1463_313 Depth=2
	s_wait_alu 0xfffe
	s_or_b32 exec_lo, exec_lo, s11
	s_delay_alu instid0(SALU_CYCLE_1)
	s_mov_b32 s11, exec_lo
	v_cmpx_gt_u32_e64 s9, v56
	s_cbranch_execnz .LBB1463_376
.LBB1463_327:                           ;   in Loop: Header=BB1463_313 Depth=2
	s_wait_alu 0xfffe
	s_or_b32 exec_lo, exec_lo, s11
	s_delay_alu instid0(SALU_CYCLE_1)
	s_mov_b32 s11, exec_lo
	v_cmpx_gt_u32_e64 s9, v57
	s_cbranch_execnz .LBB1463_377
.LBB1463_328:                           ;   in Loop: Header=BB1463_313 Depth=2
	s_wait_alu 0xfffe
	s_or_b32 exec_lo, exec_lo, s11
	s_delay_alu instid0(SALU_CYCLE_1)
	s_mov_b32 s11, exec_lo
	v_cmpx_gt_u32_e64 s9, v58
	s_cbranch_execnz .LBB1463_378
.LBB1463_329:                           ;   in Loop: Header=BB1463_313 Depth=2
	s_wait_alu 0xfffe
	s_or_b32 exec_lo, exec_lo, s11
	s_delay_alu instid0(SALU_CYCLE_1)
	s_mov_b32 s11, exec_lo
	v_cmpx_gt_u32_e64 s9, v59
	s_cbranch_execnz .LBB1463_379
.LBB1463_330:                           ;   in Loop: Header=BB1463_313 Depth=2
	s_wait_alu 0xfffe
	s_or_b32 exec_lo, exec_lo, s11
	s_delay_alu instid0(SALU_CYCLE_1)
	s_mov_b32 s11, exec_lo
	v_cmpx_gt_u32_e64 s9, v60
	s_cbranch_execnz .LBB1463_380
.LBB1463_331:                           ;   in Loop: Header=BB1463_313 Depth=2
	s_wait_alu 0xfffe
	s_or_b32 exec_lo, exec_lo, s11
	s_delay_alu instid0(SALU_CYCLE_1)
	s_mov_b32 s11, exec_lo
	v_cmpx_gt_u32_e64 s9, v61
	s_cbranch_execz .LBB1463_333
.LBB1463_332:                           ;   in Loop: Header=BB1463_313 Depth=2
	global_load_b32 v2, v108, s[0:1] offset:15360
.LBB1463_333:                           ;   in Loop: Header=BB1463_313 Depth=2
	s_wait_alu 0xfffe
	s_or_b32 exec_lo, exec_lo, s11
	s_wait_loadcnt 0x0
	v_dual_mov_b32 v19, v18 :: v_dual_mov_b32 v20, v17
	v_dual_mov_b32 v21, v16 :: v_dual_mov_b32 v22, v15
	;; [unrolled: 1-line block ×8, first 2 shown]
	s_mov_b32 s0, s9
.LBB1463_334:                           ;   in Loop: Header=BB1463_313 Depth=2
	s_wait_loadcnt 0x0
	s_delay_alu instid0(VALU_DEP_1) | instskip(NEXT) | instid1(VALU_DEP_2)
	v_dual_mov_b32 v2, v34 :: v_dual_mov_b32 v5, v32
	v_dual_mov_b32 v4, v33 :: v_dual_mov_b32 v7, v30
	;; [unrolled: 1-line block ×7, first 2 shown]
	v_mov_b32_e32 v16, v21
	v_mov_b32_e32 v18, v19
	s_mov_b32 s1, exec_lo
	s_wait_alu 0xfffe
	v_cmpx_gt_u32_e64 s0, v1
	s_cbranch_execnz .LBB1463_350
; %bb.335:                              ;   in Loop: Header=BB1463_313 Depth=2
	s_or_b32 exec_lo, exec_lo, s1
	s_delay_alu instid0(SALU_CYCLE_1)
	s_mov_b32 s1, exec_lo
	v_cmpx_gt_u32_e64 s0, v45
	s_cbranch_execnz .LBB1463_351
.LBB1463_336:                           ;   in Loop: Header=BB1463_313 Depth=2
	s_wait_alu 0xfffe
	s_or_b32 exec_lo, exec_lo, s1
	s_delay_alu instid0(SALU_CYCLE_1)
	s_mov_b32 s1, exec_lo
	v_cmpx_gt_u32_e64 s0, v46
	s_cbranch_execnz .LBB1463_352
.LBB1463_337:                           ;   in Loop: Header=BB1463_313 Depth=2
	s_wait_alu 0xfffe
	s_or_b32 exec_lo, exec_lo, s1
	s_delay_alu instid0(SALU_CYCLE_1)
	s_mov_b32 s1, exec_lo
	v_cmpx_gt_u32_e64 s0, v47
	s_cbranch_execnz .LBB1463_353
.LBB1463_338:                           ;   in Loop: Header=BB1463_313 Depth=2
	s_wait_alu 0xfffe
	s_or_b32 exec_lo, exec_lo, s1
	s_delay_alu instid0(SALU_CYCLE_1)
	s_mov_b32 s1, exec_lo
	v_cmpx_gt_u32_e64 s0, v50
	s_cbranch_execnz .LBB1463_354
.LBB1463_339:                           ;   in Loop: Header=BB1463_313 Depth=2
	s_wait_alu 0xfffe
	s_or_b32 exec_lo, exec_lo, s1
	s_delay_alu instid0(SALU_CYCLE_1)
	s_mov_b32 s1, exec_lo
	v_cmpx_gt_u32_e64 s0, v51
	s_cbranch_execnz .LBB1463_355
.LBB1463_340:                           ;   in Loop: Header=BB1463_313 Depth=2
	s_wait_alu 0xfffe
	s_or_b32 exec_lo, exec_lo, s1
	s_delay_alu instid0(SALU_CYCLE_1)
	s_mov_b32 s1, exec_lo
	v_cmpx_gt_u32_e64 s0, v52
	s_cbranch_execnz .LBB1463_356
.LBB1463_341:                           ;   in Loop: Header=BB1463_313 Depth=2
	s_wait_alu 0xfffe
	s_or_b32 exec_lo, exec_lo, s1
	s_delay_alu instid0(SALU_CYCLE_1)
	s_mov_b32 s1, exec_lo
	v_cmpx_gt_u32_e64 s0, v53
	s_cbranch_execnz .LBB1463_357
.LBB1463_342:                           ;   in Loop: Header=BB1463_313 Depth=2
	s_wait_alu 0xfffe
	s_or_b32 exec_lo, exec_lo, s1
	s_delay_alu instid0(SALU_CYCLE_1)
	s_mov_b32 s1, exec_lo
	v_cmpx_gt_u32_e64 s0, v54
	s_cbranch_execnz .LBB1463_358
.LBB1463_343:                           ;   in Loop: Header=BB1463_313 Depth=2
	s_wait_alu 0xfffe
	s_or_b32 exec_lo, exec_lo, s1
	s_delay_alu instid0(SALU_CYCLE_1)
	s_mov_b32 s1, exec_lo
	v_cmpx_gt_u32_e64 s0, v55
	s_cbranch_execnz .LBB1463_359
.LBB1463_344:                           ;   in Loop: Header=BB1463_313 Depth=2
	s_wait_alu 0xfffe
	s_or_b32 exec_lo, exec_lo, s1
	s_delay_alu instid0(SALU_CYCLE_1)
	s_mov_b32 s1, exec_lo
	v_cmpx_gt_u32_e64 s0, v56
	s_cbranch_execnz .LBB1463_360
.LBB1463_345:                           ;   in Loop: Header=BB1463_313 Depth=2
	s_wait_alu 0xfffe
	s_or_b32 exec_lo, exec_lo, s1
	s_delay_alu instid0(SALU_CYCLE_1)
	s_mov_b32 s1, exec_lo
	v_cmpx_gt_u32_e64 s0, v57
	s_cbranch_execnz .LBB1463_361
.LBB1463_346:                           ;   in Loop: Header=BB1463_313 Depth=2
	s_wait_alu 0xfffe
	s_or_b32 exec_lo, exec_lo, s1
	s_delay_alu instid0(SALU_CYCLE_1)
	s_mov_b32 s1, exec_lo
	v_cmpx_gt_u32_e64 s0, v58
	s_cbranch_execnz .LBB1463_362
.LBB1463_347:                           ;   in Loop: Header=BB1463_313 Depth=2
	s_wait_alu 0xfffe
	s_or_b32 exec_lo, exec_lo, s1
	s_delay_alu instid0(SALU_CYCLE_1)
	s_mov_b32 s1, exec_lo
	v_cmpx_gt_u32_e64 s0, v59
	s_cbranch_execnz .LBB1463_363
.LBB1463_348:                           ;   in Loop: Header=BB1463_313 Depth=2
	s_wait_alu 0xfffe
	s_or_b32 exec_lo, exec_lo, s1
	s_delay_alu instid0(SALU_CYCLE_1)
	s_mov_b32 s1, exec_lo
	v_cmpx_gt_u32_e64 s0, v60
	s_cbranch_execnz .LBB1463_364
.LBB1463_349:                           ;   in Loop: Header=BB1463_313 Depth=2
	s_wait_alu 0xfffe
	s_or_b32 exec_lo, exec_lo, s1
	v_cmp_gt_u32_e32 vcc_lo, s0, v61
	s_and_saveexec_b32 s0, vcc_lo
	s_cbranch_execz .LBB1463_312
	s_branch .LBB1463_365
.LBB1463_350:                           ;   in Loop: Header=BB1463_313 Depth=2
	v_cmp_lt_i32_e32 vcc_lo, -1, v18
	s_wait_alu 0xfffd
	v_cndmask_b32_e64 v19, -1, 0x80000000, vcc_lo
	s_delay_alu instid0(VALU_DEP_1) | instskip(NEXT) | instid1(VALU_DEP_1)
	v_xor_b32_e32 v19, v19, v18
	v_cmp_ne_u32_e32 vcc_lo, 0x7fffffff, v19
	s_wait_alu 0xfffd
	v_cndmask_b32_e32 v19, 0x80000000, v19, vcc_lo
	s_delay_alu instid0(VALU_DEP_1) | instskip(NEXT) | instid1(VALU_DEP_1)
	v_lshrrev_b32_e32 v19, s31, v19
	v_and_b32_e32 v19, s48, v19
	s_delay_alu instid0(VALU_DEP_1) | instskip(SKIP_2) | instid1(SALU_CYCLE_1)
	v_lshl_or_b32 v19, v19, 4, v62
	ds_add_u32 v19, v84
	s_or_b32 exec_lo, exec_lo, s1
	s_mov_b32 s1, exec_lo
	v_cmpx_gt_u32_e64 s0, v45
	s_cbranch_execz .LBB1463_336
.LBB1463_351:                           ;   in Loop: Header=BB1463_313 Depth=2
	v_cmp_lt_i32_e32 vcc_lo, -1, v17
	s_wait_alu 0xfffd
	v_cndmask_b32_e64 v19, -1, 0x80000000, vcc_lo
	s_delay_alu instid0(VALU_DEP_1) | instskip(NEXT) | instid1(VALU_DEP_1)
	v_xor_b32_e32 v19, v19, v17
	v_cmp_ne_u32_e32 vcc_lo, 0x7fffffff, v19
	s_wait_alu 0xfffd
	v_cndmask_b32_e32 v19, 0x80000000, v19, vcc_lo
	s_delay_alu instid0(VALU_DEP_1) | instskip(NEXT) | instid1(VALU_DEP_1)
	v_lshrrev_b32_e32 v19, s31, v19
	v_and_b32_e32 v19, s48, v19
	s_delay_alu instid0(VALU_DEP_1) | instskip(SKIP_3) | instid1(SALU_CYCLE_1)
	v_lshl_or_b32 v19, v19, 4, v62
	ds_add_u32 v19, v84
	s_wait_alu 0xfffe
	s_or_b32 exec_lo, exec_lo, s1
	s_mov_b32 s1, exec_lo
	v_cmpx_gt_u32_e64 s0, v46
	s_cbranch_execz .LBB1463_337
.LBB1463_352:                           ;   in Loop: Header=BB1463_313 Depth=2
	v_cmp_lt_i32_e32 vcc_lo, -1, v16
	s_wait_alu 0xfffd
	v_cndmask_b32_e64 v19, -1, 0x80000000, vcc_lo
	s_delay_alu instid0(VALU_DEP_1) | instskip(NEXT) | instid1(VALU_DEP_1)
	v_xor_b32_e32 v19, v19, v16
	v_cmp_ne_u32_e32 vcc_lo, 0x7fffffff, v19
	s_wait_alu 0xfffd
	v_cndmask_b32_e32 v19, 0x80000000, v19, vcc_lo
	s_delay_alu instid0(VALU_DEP_1) | instskip(NEXT) | instid1(VALU_DEP_1)
	v_lshrrev_b32_e32 v19, s31, v19
	v_and_b32_e32 v19, s48, v19
	s_delay_alu instid0(VALU_DEP_1) | instskip(SKIP_3) | instid1(SALU_CYCLE_1)
	v_lshl_or_b32 v19, v19, 4, v62
	ds_add_u32 v19, v84
	s_wait_alu 0xfffe
	s_or_b32 exec_lo, exec_lo, s1
	s_mov_b32 s1, exec_lo
	v_cmpx_gt_u32_e64 s0, v47
	s_cbranch_execz .LBB1463_338
.LBB1463_353:                           ;   in Loop: Header=BB1463_313 Depth=2
	v_cmp_lt_i32_e32 vcc_lo, -1, v15
	s_wait_alu 0xfffd
	v_cndmask_b32_e64 v19, -1, 0x80000000, vcc_lo
	s_delay_alu instid0(VALU_DEP_1) | instskip(NEXT) | instid1(VALU_DEP_1)
	v_xor_b32_e32 v19, v19, v15
	v_cmp_ne_u32_e32 vcc_lo, 0x7fffffff, v19
	s_wait_alu 0xfffd
	v_cndmask_b32_e32 v19, 0x80000000, v19, vcc_lo
	s_delay_alu instid0(VALU_DEP_1) | instskip(NEXT) | instid1(VALU_DEP_1)
	v_lshrrev_b32_e32 v19, s31, v19
	v_and_b32_e32 v19, s48, v19
	s_delay_alu instid0(VALU_DEP_1) | instskip(SKIP_3) | instid1(SALU_CYCLE_1)
	v_lshl_or_b32 v19, v19, 4, v62
	ds_add_u32 v19, v84
	s_wait_alu 0xfffe
	s_or_b32 exec_lo, exec_lo, s1
	s_mov_b32 s1, exec_lo
	v_cmpx_gt_u32_e64 s0, v50
	s_cbranch_execz .LBB1463_339
.LBB1463_354:                           ;   in Loop: Header=BB1463_313 Depth=2
	v_cmp_lt_i32_e32 vcc_lo, -1, v14
	s_wait_alu 0xfffd
	v_cndmask_b32_e64 v19, -1, 0x80000000, vcc_lo
	s_delay_alu instid0(VALU_DEP_1) | instskip(NEXT) | instid1(VALU_DEP_1)
	v_xor_b32_e32 v19, v19, v14
	v_cmp_ne_u32_e32 vcc_lo, 0x7fffffff, v19
	s_wait_alu 0xfffd
	v_cndmask_b32_e32 v19, 0x80000000, v19, vcc_lo
	s_delay_alu instid0(VALU_DEP_1) | instskip(NEXT) | instid1(VALU_DEP_1)
	v_lshrrev_b32_e32 v19, s31, v19
	v_and_b32_e32 v19, s48, v19
	s_delay_alu instid0(VALU_DEP_1) | instskip(SKIP_3) | instid1(SALU_CYCLE_1)
	v_lshl_or_b32 v19, v19, 4, v62
	ds_add_u32 v19, v84
	s_wait_alu 0xfffe
	s_or_b32 exec_lo, exec_lo, s1
	s_mov_b32 s1, exec_lo
	v_cmpx_gt_u32_e64 s0, v51
	s_cbranch_execz .LBB1463_340
.LBB1463_355:                           ;   in Loop: Header=BB1463_313 Depth=2
	v_cmp_lt_i32_e32 vcc_lo, -1, v13
	s_wait_alu 0xfffd
	v_cndmask_b32_e64 v19, -1, 0x80000000, vcc_lo
	s_delay_alu instid0(VALU_DEP_1) | instskip(NEXT) | instid1(VALU_DEP_1)
	v_xor_b32_e32 v19, v19, v13
	v_cmp_ne_u32_e32 vcc_lo, 0x7fffffff, v19
	s_wait_alu 0xfffd
	v_cndmask_b32_e32 v19, 0x80000000, v19, vcc_lo
	s_delay_alu instid0(VALU_DEP_1) | instskip(NEXT) | instid1(VALU_DEP_1)
	v_lshrrev_b32_e32 v19, s31, v19
	v_and_b32_e32 v19, s48, v19
	s_delay_alu instid0(VALU_DEP_1) | instskip(SKIP_3) | instid1(SALU_CYCLE_1)
	v_lshl_or_b32 v19, v19, 4, v62
	ds_add_u32 v19, v84
	s_wait_alu 0xfffe
	s_or_b32 exec_lo, exec_lo, s1
	s_mov_b32 s1, exec_lo
	v_cmpx_gt_u32_e64 s0, v52
	s_cbranch_execz .LBB1463_341
.LBB1463_356:                           ;   in Loop: Header=BB1463_313 Depth=2
	v_cmp_lt_i32_e32 vcc_lo, -1, v12
	s_wait_alu 0xfffd
	v_cndmask_b32_e64 v19, -1, 0x80000000, vcc_lo
	s_delay_alu instid0(VALU_DEP_1) | instskip(NEXT) | instid1(VALU_DEP_1)
	v_xor_b32_e32 v19, v19, v12
	v_cmp_ne_u32_e32 vcc_lo, 0x7fffffff, v19
	s_wait_alu 0xfffd
	v_cndmask_b32_e32 v19, 0x80000000, v19, vcc_lo
	s_delay_alu instid0(VALU_DEP_1) | instskip(NEXT) | instid1(VALU_DEP_1)
	v_lshrrev_b32_e32 v19, s31, v19
	v_and_b32_e32 v19, s48, v19
	s_delay_alu instid0(VALU_DEP_1) | instskip(SKIP_3) | instid1(SALU_CYCLE_1)
	v_lshl_or_b32 v19, v19, 4, v62
	ds_add_u32 v19, v84
	s_wait_alu 0xfffe
	s_or_b32 exec_lo, exec_lo, s1
	s_mov_b32 s1, exec_lo
	v_cmpx_gt_u32_e64 s0, v53
	s_cbranch_execz .LBB1463_342
.LBB1463_357:                           ;   in Loop: Header=BB1463_313 Depth=2
	v_cmp_lt_i32_e32 vcc_lo, -1, v11
	s_wait_alu 0xfffd
	v_cndmask_b32_e64 v19, -1, 0x80000000, vcc_lo
	s_delay_alu instid0(VALU_DEP_1) | instskip(NEXT) | instid1(VALU_DEP_1)
	v_xor_b32_e32 v19, v19, v11
	v_cmp_ne_u32_e32 vcc_lo, 0x7fffffff, v19
	s_wait_alu 0xfffd
	v_cndmask_b32_e32 v19, 0x80000000, v19, vcc_lo
	s_delay_alu instid0(VALU_DEP_1) | instskip(NEXT) | instid1(VALU_DEP_1)
	v_lshrrev_b32_e32 v19, s31, v19
	v_and_b32_e32 v19, s48, v19
	s_delay_alu instid0(VALU_DEP_1) | instskip(SKIP_3) | instid1(SALU_CYCLE_1)
	v_lshl_or_b32 v19, v19, 4, v62
	ds_add_u32 v19, v84
	s_wait_alu 0xfffe
	s_or_b32 exec_lo, exec_lo, s1
	s_mov_b32 s1, exec_lo
	v_cmpx_gt_u32_e64 s0, v54
	s_cbranch_execz .LBB1463_343
.LBB1463_358:                           ;   in Loop: Header=BB1463_313 Depth=2
	v_cmp_lt_i32_e32 vcc_lo, -1, v10
	s_wait_alu 0xfffd
	v_cndmask_b32_e64 v19, -1, 0x80000000, vcc_lo
	s_delay_alu instid0(VALU_DEP_1) | instskip(NEXT) | instid1(VALU_DEP_1)
	v_xor_b32_e32 v19, v19, v10
	v_cmp_ne_u32_e32 vcc_lo, 0x7fffffff, v19
	s_wait_alu 0xfffd
	v_cndmask_b32_e32 v19, 0x80000000, v19, vcc_lo
	s_delay_alu instid0(VALU_DEP_1) | instskip(NEXT) | instid1(VALU_DEP_1)
	v_lshrrev_b32_e32 v19, s31, v19
	v_and_b32_e32 v19, s48, v19
	s_delay_alu instid0(VALU_DEP_1) | instskip(SKIP_3) | instid1(SALU_CYCLE_1)
	v_lshl_or_b32 v19, v19, 4, v62
	ds_add_u32 v19, v84
	s_wait_alu 0xfffe
	s_or_b32 exec_lo, exec_lo, s1
	s_mov_b32 s1, exec_lo
	v_cmpx_gt_u32_e64 s0, v55
	s_cbranch_execz .LBB1463_344
.LBB1463_359:                           ;   in Loop: Header=BB1463_313 Depth=2
	v_cmp_lt_i32_e32 vcc_lo, -1, v9
	s_wait_alu 0xfffd
	v_cndmask_b32_e64 v19, -1, 0x80000000, vcc_lo
	s_delay_alu instid0(VALU_DEP_1) | instskip(NEXT) | instid1(VALU_DEP_1)
	v_xor_b32_e32 v19, v19, v9
	v_cmp_ne_u32_e32 vcc_lo, 0x7fffffff, v19
	s_wait_alu 0xfffd
	v_cndmask_b32_e32 v19, 0x80000000, v19, vcc_lo
	s_delay_alu instid0(VALU_DEP_1) | instskip(NEXT) | instid1(VALU_DEP_1)
	v_lshrrev_b32_e32 v19, s31, v19
	v_and_b32_e32 v19, s48, v19
	s_delay_alu instid0(VALU_DEP_1) | instskip(SKIP_3) | instid1(SALU_CYCLE_1)
	v_lshl_or_b32 v19, v19, 4, v62
	ds_add_u32 v19, v84
	s_wait_alu 0xfffe
	s_or_b32 exec_lo, exec_lo, s1
	s_mov_b32 s1, exec_lo
	v_cmpx_gt_u32_e64 s0, v56
	s_cbranch_execz .LBB1463_345
.LBB1463_360:                           ;   in Loop: Header=BB1463_313 Depth=2
	v_cmp_lt_i32_e32 vcc_lo, -1, v8
	s_wait_alu 0xfffd
	v_cndmask_b32_e64 v19, -1, 0x80000000, vcc_lo
	s_delay_alu instid0(VALU_DEP_1) | instskip(NEXT) | instid1(VALU_DEP_1)
	v_xor_b32_e32 v19, v19, v8
	v_cmp_ne_u32_e32 vcc_lo, 0x7fffffff, v19
	s_wait_alu 0xfffd
	v_cndmask_b32_e32 v19, 0x80000000, v19, vcc_lo
	s_delay_alu instid0(VALU_DEP_1) | instskip(NEXT) | instid1(VALU_DEP_1)
	v_lshrrev_b32_e32 v19, s31, v19
	v_and_b32_e32 v19, s48, v19
	s_delay_alu instid0(VALU_DEP_1) | instskip(SKIP_3) | instid1(SALU_CYCLE_1)
	v_lshl_or_b32 v19, v19, 4, v62
	ds_add_u32 v19, v84
	s_wait_alu 0xfffe
	s_or_b32 exec_lo, exec_lo, s1
	s_mov_b32 s1, exec_lo
	v_cmpx_gt_u32_e64 s0, v57
	s_cbranch_execz .LBB1463_346
.LBB1463_361:                           ;   in Loop: Header=BB1463_313 Depth=2
	v_cmp_lt_i32_e32 vcc_lo, -1, v7
	s_wait_alu 0xfffd
	v_cndmask_b32_e64 v19, -1, 0x80000000, vcc_lo
	s_delay_alu instid0(VALU_DEP_1) | instskip(NEXT) | instid1(VALU_DEP_1)
	v_xor_b32_e32 v19, v19, v7
	v_cmp_ne_u32_e32 vcc_lo, 0x7fffffff, v19
	s_wait_alu 0xfffd
	v_cndmask_b32_e32 v19, 0x80000000, v19, vcc_lo
	s_delay_alu instid0(VALU_DEP_1) | instskip(NEXT) | instid1(VALU_DEP_1)
	v_lshrrev_b32_e32 v19, s31, v19
	v_and_b32_e32 v19, s48, v19
	s_delay_alu instid0(VALU_DEP_1) | instskip(SKIP_3) | instid1(SALU_CYCLE_1)
	v_lshl_or_b32 v19, v19, 4, v62
	ds_add_u32 v19, v84
	s_wait_alu 0xfffe
	s_or_b32 exec_lo, exec_lo, s1
	s_mov_b32 s1, exec_lo
	v_cmpx_gt_u32_e64 s0, v58
	s_cbranch_execz .LBB1463_347
.LBB1463_362:                           ;   in Loop: Header=BB1463_313 Depth=2
	v_cmp_lt_i32_e32 vcc_lo, -1, v6
	s_wait_alu 0xfffd
	v_cndmask_b32_e64 v19, -1, 0x80000000, vcc_lo
	s_delay_alu instid0(VALU_DEP_1) | instskip(NEXT) | instid1(VALU_DEP_1)
	v_xor_b32_e32 v19, v19, v6
	v_cmp_ne_u32_e32 vcc_lo, 0x7fffffff, v19
	s_wait_alu 0xfffd
	v_cndmask_b32_e32 v19, 0x80000000, v19, vcc_lo
	s_delay_alu instid0(VALU_DEP_1) | instskip(NEXT) | instid1(VALU_DEP_1)
	v_lshrrev_b32_e32 v19, s31, v19
	v_and_b32_e32 v19, s48, v19
	s_delay_alu instid0(VALU_DEP_1) | instskip(SKIP_3) | instid1(SALU_CYCLE_1)
	v_lshl_or_b32 v19, v19, 4, v62
	ds_add_u32 v19, v84
	s_wait_alu 0xfffe
	s_or_b32 exec_lo, exec_lo, s1
	s_mov_b32 s1, exec_lo
	v_cmpx_gt_u32_e64 s0, v59
	s_cbranch_execz .LBB1463_348
.LBB1463_363:                           ;   in Loop: Header=BB1463_313 Depth=2
	v_cmp_lt_i32_e32 vcc_lo, -1, v5
	s_wait_alu 0xfffd
	v_cndmask_b32_e64 v19, -1, 0x80000000, vcc_lo
	s_delay_alu instid0(VALU_DEP_1) | instskip(NEXT) | instid1(VALU_DEP_1)
	v_xor_b32_e32 v19, v19, v5
	v_cmp_ne_u32_e32 vcc_lo, 0x7fffffff, v19
	s_wait_alu 0xfffd
	v_cndmask_b32_e32 v19, 0x80000000, v19, vcc_lo
	s_delay_alu instid0(VALU_DEP_1) | instskip(NEXT) | instid1(VALU_DEP_1)
	v_lshrrev_b32_e32 v19, s31, v19
	v_and_b32_e32 v19, s48, v19
	s_delay_alu instid0(VALU_DEP_1) | instskip(SKIP_3) | instid1(SALU_CYCLE_1)
	v_lshl_or_b32 v19, v19, 4, v62
	ds_add_u32 v19, v84
	s_wait_alu 0xfffe
	s_or_b32 exec_lo, exec_lo, s1
	s_mov_b32 s1, exec_lo
	v_cmpx_gt_u32_e64 s0, v60
	s_cbranch_execz .LBB1463_349
.LBB1463_364:                           ;   in Loop: Header=BB1463_313 Depth=2
	v_cmp_lt_i32_e32 vcc_lo, -1, v4
	s_wait_alu 0xfffd
	v_cndmask_b32_e64 v19, -1, 0x80000000, vcc_lo
	s_delay_alu instid0(VALU_DEP_1) | instskip(NEXT) | instid1(VALU_DEP_1)
	v_xor_b32_e32 v19, v19, v4
	v_cmp_ne_u32_e32 vcc_lo, 0x7fffffff, v19
	s_wait_alu 0xfffd
	v_cndmask_b32_e32 v19, 0x80000000, v19, vcc_lo
	s_delay_alu instid0(VALU_DEP_1) | instskip(NEXT) | instid1(VALU_DEP_1)
	v_lshrrev_b32_e32 v19, s31, v19
	v_and_b32_e32 v19, s48, v19
	s_delay_alu instid0(VALU_DEP_1)
	v_lshl_or_b32 v19, v19, 4, v62
	ds_add_u32 v19, v84
	s_wait_alu 0xfffe
	s_or_b32 exec_lo, exec_lo, s1
	v_cmp_gt_u32_e32 vcc_lo, s0, v61
	s_and_saveexec_b32 s0, vcc_lo
	s_cbranch_execz .LBB1463_312
.LBB1463_365:                           ;   in Loop: Header=BB1463_313 Depth=2
	v_cmp_lt_i32_e32 vcc_lo, -1, v2
	s_wait_alu 0xfffd
	v_cndmask_b32_e64 v19, -1, 0x80000000, vcc_lo
	s_delay_alu instid0(VALU_DEP_1) | instskip(NEXT) | instid1(VALU_DEP_1)
	v_xor_b32_e32 v19, v19, v2
	v_cmp_ne_u32_e32 vcc_lo, 0x7fffffff, v19
	s_wait_alu 0xfffd
	v_cndmask_b32_e32 v19, 0x80000000, v19, vcc_lo
	s_delay_alu instid0(VALU_DEP_1) | instskip(NEXT) | instid1(VALU_DEP_1)
	v_lshrrev_b32_e32 v19, s31, v19
	v_and_b32_e32 v19, s48, v19
	s_delay_alu instid0(VALU_DEP_1)
	v_lshl_or_b32 v19, v19, 4, v62
	ds_add_u32 v19, v84
	s_branch .LBB1463_312
.LBB1463_366:                           ;   in Loop: Header=BB1463_313 Depth=2
	global_load_b32 v18, v108, s[0:1]
	s_or_b32 exec_lo, exec_lo, s11
	s_delay_alu instid0(SALU_CYCLE_1)
	s_mov_b32 s11, exec_lo
	v_cmpx_gt_u32_e64 s9, v45
	s_cbranch_execz .LBB1463_318
.LBB1463_367:                           ;   in Loop: Header=BB1463_313 Depth=2
	global_load_b32 v17, v108, s[0:1] offset:1024
	s_wait_alu 0xfffe
	s_or_b32 exec_lo, exec_lo, s11
	s_delay_alu instid0(SALU_CYCLE_1)
	s_mov_b32 s11, exec_lo
	v_cmpx_gt_u32_e64 s9, v46
	s_cbranch_execz .LBB1463_319
.LBB1463_368:                           ;   in Loop: Header=BB1463_313 Depth=2
	global_load_b32 v16, v108, s[0:1] offset:2048
	s_wait_alu 0xfffe
	s_or_b32 exec_lo, exec_lo, s11
	s_delay_alu instid0(SALU_CYCLE_1)
	s_mov_b32 s11, exec_lo
	v_cmpx_gt_u32_e64 s9, v47
	s_cbranch_execz .LBB1463_320
.LBB1463_369:                           ;   in Loop: Header=BB1463_313 Depth=2
	global_load_b32 v15, v108, s[0:1] offset:3072
	s_wait_alu 0xfffe
	s_or_b32 exec_lo, exec_lo, s11
	s_delay_alu instid0(SALU_CYCLE_1)
	s_mov_b32 s11, exec_lo
	v_cmpx_gt_u32_e64 s9, v50
	s_cbranch_execz .LBB1463_321
.LBB1463_370:                           ;   in Loop: Header=BB1463_313 Depth=2
	global_load_b32 v14, v108, s[0:1] offset:4096
	s_wait_alu 0xfffe
	s_or_b32 exec_lo, exec_lo, s11
	s_delay_alu instid0(SALU_CYCLE_1)
	s_mov_b32 s11, exec_lo
	v_cmpx_gt_u32_e64 s9, v51
	s_cbranch_execz .LBB1463_322
.LBB1463_371:                           ;   in Loop: Header=BB1463_313 Depth=2
	global_load_b32 v13, v108, s[0:1] offset:5120
	s_wait_alu 0xfffe
	s_or_b32 exec_lo, exec_lo, s11
	s_delay_alu instid0(SALU_CYCLE_1)
	s_mov_b32 s11, exec_lo
	v_cmpx_gt_u32_e64 s9, v52
	s_cbranch_execz .LBB1463_323
.LBB1463_372:                           ;   in Loop: Header=BB1463_313 Depth=2
	global_load_b32 v12, v108, s[0:1] offset:6144
	s_wait_alu 0xfffe
	s_or_b32 exec_lo, exec_lo, s11
	s_delay_alu instid0(SALU_CYCLE_1)
	s_mov_b32 s11, exec_lo
	v_cmpx_gt_u32_e64 s9, v53
	s_cbranch_execz .LBB1463_324
.LBB1463_373:                           ;   in Loop: Header=BB1463_313 Depth=2
	global_load_b32 v11, v108, s[0:1] offset:7168
	s_wait_alu 0xfffe
	s_or_b32 exec_lo, exec_lo, s11
	s_delay_alu instid0(SALU_CYCLE_1)
	s_mov_b32 s11, exec_lo
	v_cmpx_gt_u32_e64 s9, v54
	s_cbranch_execz .LBB1463_325
.LBB1463_374:                           ;   in Loop: Header=BB1463_313 Depth=2
	global_load_b32 v10, v108, s[0:1] offset:8192
	s_wait_alu 0xfffe
	s_or_b32 exec_lo, exec_lo, s11
	s_delay_alu instid0(SALU_CYCLE_1)
	s_mov_b32 s11, exec_lo
	v_cmpx_gt_u32_e64 s9, v55
	s_cbranch_execz .LBB1463_326
.LBB1463_375:                           ;   in Loop: Header=BB1463_313 Depth=2
	global_load_b32 v9, v108, s[0:1] offset:9216
	s_wait_alu 0xfffe
	s_or_b32 exec_lo, exec_lo, s11
	s_delay_alu instid0(SALU_CYCLE_1)
	s_mov_b32 s11, exec_lo
	v_cmpx_gt_u32_e64 s9, v56
	s_cbranch_execz .LBB1463_327
.LBB1463_376:                           ;   in Loop: Header=BB1463_313 Depth=2
	global_load_b32 v8, v108, s[0:1] offset:10240
	s_wait_alu 0xfffe
	s_or_b32 exec_lo, exec_lo, s11
	s_delay_alu instid0(SALU_CYCLE_1)
	s_mov_b32 s11, exec_lo
	v_cmpx_gt_u32_e64 s9, v57
	s_cbranch_execz .LBB1463_328
.LBB1463_377:                           ;   in Loop: Header=BB1463_313 Depth=2
	global_load_b32 v7, v108, s[0:1] offset:11264
	s_wait_alu 0xfffe
	s_or_b32 exec_lo, exec_lo, s11
	s_delay_alu instid0(SALU_CYCLE_1)
	s_mov_b32 s11, exec_lo
	v_cmpx_gt_u32_e64 s9, v58
	s_cbranch_execz .LBB1463_329
.LBB1463_378:                           ;   in Loop: Header=BB1463_313 Depth=2
	global_load_b32 v6, v108, s[0:1] offset:12288
	s_wait_alu 0xfffe
	s_or_b32 exec_lo, exec_lo, s11
	s_delay_alu instid0(SALU_CYCLE_1)
	s_mov_b32 s11, exec_lo
	v_cmpx_gt_u32_e64 s9, v59
	s_cbranch_execz .LBB1463_330
.LBB1463_379:                           ;   in Loop: Header=BB1463_313 Depth=2
	global_load_b32 v5, v108, s[0:1] offset:13312
	s_wait_alu 0xfffe
	s_or_b32 exec_lo, exec_lo, s11
	s_delay_alu instid0(SALU_CYCLE_1)
	s_mov_b32 s11, exec_lo
	v_cmpx_gt_u32_e64 s9, v60
	s_cbranch_execz .LBB1463_331
.LBB1463_380:                           ;   in Loop: Header=BB1463_313 Depth=2
	global_load_b32 v4, v108, s[0:1] offset:14336
	s_wait_alu 0xfffe
	s_or_b32 exec_lo, exec_lo, s11
	s_delay_alu instid0(SALU_CYCLE_1)
	s_mov_b32 s11, exec_lo
	v_cmpx_gt_u32_e64 s9, v61
	s_cbranch_execnz .LBB1463_332
	s_branch .LBB1463_333
.LBB1463_381:                           ;   in Loop: Header=BB1463_17 Depth=1
	v_mov_b32_e32 v2, 0
	s_wait_dscnt 0x0
	s_barrier_signal -1
	s_barrier_wait -1
	global_inv scope:SCOPE_SE
	s_and_saveexec_b32 s0, s2
	s_cbranch_execz .LBB1463_383
; %bb.382:                              ;   in Loop: Header=BB1463_17 Depth=1
	ds_load_2addr_b64 v[4:7], v64 offset1:1
	s_wait_dscnt 0x0
	v_add_nc_u32_e32 v2, v5, v4
	s_delay_alu instid0(VALU_DEP_1)
	v_add3_u32 v2, v2, v6, v7
.LBB1463_383:                           ;   in Loop: Header=BB1463_17 Depth=1
	s_wait_alu 0xfffe
	s_or_b32 exec_lo, exec_lo, s0
	s_delay_alu instid0(VALU_DEP_1)
	v_mov_b32_dpp v4, v2 row_shr:1 row_mask:0xf bank_mask:0xf
	v_cmp_eq_u32_e64 s0, 0, v85
	v_cmp_lt_u32_e64 s1, 1, v85
	v_cmp_lt_u32_e64 s9, 3, v85
	;; [unrolled: 1-line block ×3, first 2 shown]
	v_cmp_eq_u32_e64 s11, 0, v87
	s_wait_alu 0xf1ff
	v_cndmask_b32_e64 v4, v4, 0, s0
	s_delay_alu instid0(VALU_DEP_1) | instskip(NEXT) | instid1(VALU_DEP_1)
	v_add_nc_u32_e32 v2, v4, v2
	v_mov_b32_dpp v4, v2 row_shr:2 row_mask:0xf bank_mask:0xf
	s_delay_alu instid0(VALU_DEP_1) | instskip(NEXT) | instid1(VALU_DEP_1)
	v_cndmask_b32_e64 v4, 0, v4, s1
	v_add_nc_u32_e32 v2, v2, v4
	s_delay_alu instid0(VALU_DEP_1) | instskip(NEXT) | instid1(VALU_DEP_1)
	v_mov_b32_dpp v4, v2 row_shr:4 row_mask:0xf bank_mask:0xf
	v_cndmask_b32_e64 v4, 0, v4, s9
	s_delay_alu instid0(VALU_DEP_1) | instskip(NEXT) | instid1(VALU_DEP_1)
	v_add_nc_u32_e32 v2, v2, v4
	v_mov_b32_dpp v4, v2 row_shr:8 row_mask:0xf bank_mask:0xf
	s_delay_alu instid0(VALU_DEP_1) | instskip(NEXT) | instid1(VALU_DEP_1)
	v_cndmask_b32_e64 v4, 0, v4, s10
	v_add_nc_u32_e32 v2, v2, v4
	ds_swizzle_b32 v4, v2 offset:swizzle(BROADCAST,32,15)
	s_wait_dscnt 0x0
	v_and_b32_e32 v4, v86, v4
	s_delay_alu instid0(VALU_DEP_1)
	v_add_nc_u32_e32 v2, v2, v4
	s_and_saveexec_b32 s12, s3
; %bb.384:                              ;   in Loop: Header=BB1463_17 Depth=1
	ds_store_b32 v65, v2
; %bb.385:                              ;   in Loop: Header=BB1463_17 Depth=1
	s_wait_alu 0xfffe
	s_or_b32 exec_lo, exec_lo, s12
	s_wait_loadcnt_dscnt 0x0
	s_barrier_signal -1
	s_barrier_wait -1
	global_inv scope:SCOPE_SE
	s_and_saveexec_b32 s12, s4
	s_cbranch_execz .LBB1463_387
; %bb.386:                              ;   in Loop: Header=BB1463_17 Depth=1
	ds_load_b32 v4, v66
	v_cmp_ne_u32_e32 vcc_lo, 0, v89
	s_wait_dscnt 0x0
	v_mov_b32_dpp v5, v4 row_shr:1 row_mask:0xf bank_mask:0xf
	s_wait_alu 0xfffd
	s_delay_alu instid0(VALU_DEP_1) | instskip(SKIP_1) | instid1(VALU_DEP_2)
	v_cndmask_b32_e32 v5, 0, v5, vcc_lo
	v_cmp_lt_u32_e32 vcc_lo, 1, v89
	v_add_nc_u32_e32 v4, v5, v4
	s_delay_alu instid0(VALU_DEP_1) | instskip(SKIP_1) | instid1(VALU_DEP_1)
	v_mov_b32_dpp v5, v4 row_shr:2 row_mask:0xf bank_mask:0xf
	s_wait_alu 0xfffd
	v_cndmask_b32_e32 v5, 0, v5, vcc_lo
	v_cmp_lt_u32_e32 vcc_lo, 3, v89
	s_delay_alu instid0(VALU_DEP_2) | instskip(NEXT) | instid1(VALU_DEP_1)
	v_add_nc_u32_e32 v4, v4, v5
	v_mov_b32_dpp v5, v4 row_shr:4 row_mask:0xf bank_mask:0xf
	s_wait_alu 0xfffd
	s_delay_alu instid0(VALU_DEP_1) | instskip(NEXT) | instid1(VALU_DEP_1)
	v_cndmask_b32_e32 v5, 0, v5, vcc_lo
	v_add_nc_u32_e32 v4, v4, v5
	ds_store_b32 v66, v4
.LBB1463_387:                           ;   in Loop: Header=BB1463_17 Depth=1
	s_wait_alu 0xfffe
	s_or_b32 exec_lo, exec_lo, s12
	v_mov_b32_e32 v4, 0
	s_wait_loadcnt_dscnt 0x0
	s_barrier_signal -1
	s_barrier_wait -1
	global_inv scope:SCOPE_SE
	s_and_saveexec_b32 s12, s5
; %bb.388:                              ;   in Loop: Header=BB1463_17 Depth=1
	ds_load_b32 v4, v68
; %bb.389:                              ;   in Loop: Header=BB1463_17 Depth=1
	s_wait_alu 0xfffe
	s_or_b32 exec_lo, exec_lo, s12
	v_cmp_gt_i32_e32 vcc_lo, 0, v90
	s_wait_loadcnt_dscnt 0x0
	s_barrier_signal -1
	s_barrier_wait -1
	global_inv scope:SCOPE_SE
	s_wait_alu 0xfffd
	v_dual_cndmask_b32 v5, v90, v81 :: v_dual_add_nc_u32 v2, v4, v2
	s_delay_alu instid0(VALU_DEP_1)
	v_lshlrev_b32_e32 v113, 2, v5
	ds_bpermute_b32 v2, v113, v2
	s_and_saveexec_b32 s12, s2
	s_cbranch_execz .LBB1463_391
; %bb.390:                              ;   in Loop: Header=BB1463_17 Depth=1
	s_wait_dscnt 0x0
	v_cndmask_b32_e64 v2, v2, v4, s8
	s_delay_alu instid0(VALU_DEP_1)
	v_add_nc_u32_e32 v2, s33, v2
	ds_store_b32 v44, v2
.LBB1463_391:                           ;   in Loop: Header=BB1463_17 Depth=1
	s_wait_alu 0xfffe
	s_or_b32 exec_lo, exec_lo, s12
	s_load_b64 s[12:13], s[34:35], 0x0
	v_add_co_u32 v114, vcc_lo, v73, v91
	s_wait_alu 0xfffd
	v_add_co_ci_u32_e64 v115, null, 0, v74, vcc_lo
	v_add_co_u32 v116, vcc_lo, v75, v107
	s_wait_alu 0xfffd
	v_add_co_ci_u32_e64 v117, null, 0, v76, vcc_lo
	s_mov_b32 s54, s53
                                        ; implicit-def: $vgpr6_vgpr7
                                        ; implicit-def: $vgpr8_vgpr9
                                        ; implicit-def: $vgpr10_vgpr11
                                        ; implicit-def: $vgpr12_vgpr13
                                        ; implicit-def: $vgpr14_vgpr15
                                        ; implicit-def: $vgpr16_vgpr17
                                        ; implicit-def: $vgpr18_vgpr19
                                        ; implicit-def: $vgpr20_vgpr21
                                        ; implicit-def: $vgpr22_vgpr23
                                        ; implicit-def: $vgpr24_vgpr25
                                        ; implicit-def: $vgpr26_vgpr27
                                        ; implicit-def: $vgpr28_vgpr29
                                        ; implicit-def: $vgpr30_vgpr31
                                        ; implicit-def: $vgpr32_vgpr33
                                        ; implicit-def: $vgpr34_vgpr35
                                        ; implicit-def: $vgpr119
                                        ; implicit-def: $vgpr120
                                        ; implicit-def: $vgpr121
                                        ; implicit-def: $vgpr122
                                        ; implicit-def: $vgpr123
                                        ; implicit-def: $vgpr124
                                        ; implicit-def: $vgpr125
                                        ; implicit-def: $vgpr126
                                        ; implicit-def: $vgpr127
                                        ; implicit-def: $vgpr128
                                        ; implicit-def: $vgpr129
                                        ; implicit-def: $vgpr130
                                        ; implicit-def: $vgpr131
                                        ; implicit-def: $vgpr132
                                        ; implicit-def: $vgpr133
                                        ; implicit-def: $vgpr134
	s_wait_kmcnt 0x0
	s_cmp_lt_u32 ttmp7, s13
	s_cselect_b32 s42, 14, 20
	s_cmp_lt_u32 ttmp9, s12
	s_wait_alu 0xfffe
	s_add_nc_u64 s[14:15], s[34:35], s[42:43]
	s_cselect_b32 s42, 12, 18
	s_load_u16 s14, s[14:15], 0x0
	s_add_nc_u64 s[12:13], s[34:35], s[42:43]
	s_mov_b32 s42, s33
	s_load_u16 s12, s[12:13], 0x0
	v_cmp_lt_u32_e64 s13, 1, v89
	s_wait_dscnt 0x0
	s_wait_kmcnt 0x0
	v_mad_u32_u24 v2, v69, s14, v0
	v_cmp_lt_u32_e64 s14, 3, v89
	s_delay_alu instid0(VALU_DEP_2) | instskip(SKIP_1) | instid1(VALU_DEP_2)
	v_mad_co_u64_u32 v[4:5], null, v2, s12, v[1:2]
	v_cmp_eq_u32_e64 s12, 0, v89
	v_lshrrev_b32_e32 v2, 3, v4
                                        ; implicit-def: $vgpr4_vgpr5
	s_delay_alu instid0(VALU_DEP_1)
	v_and_b32_e32 v118, 0x1ffffffc, v2
	s_branch .LBB1463_393
.LBB1463_392:                           ;   in Loop: Header=BB1463_393 Depth=2
	s_wait_alu 0xfffe
	s_or_b32 exec_lo, exec_lo, s15
	s_addk_co_i32 s54, 0xf000
	s_cmp_lt_u32 s55, s51
	s_mov_b32 s42, s55
	s_cbranch_scc0 .LBB1463_601
.LBB1463_393:                           ;   Parent Loop BB1463_17 Depth=1
                                        ; =>  This Inner Loop Header: Depth=2
	s_wait_alu 0xfffe
	s_add_co_i32 s55, s42, 0x1000
	s_wait_alu 0xfffe
	s_cmp_gt_u32 s55, s51
	s_cbranch_scc1 .LBB1463_395
; %bb.394:                              ;   in Loop: Header=BB1463_393 Depth=2
	s_lshl_b64 s[16:17], s[42:43], 2
	s_mov_b32 s15, -1
	s_wait_alu 0xfffe
	v_add_co_u32 v36, vcc_lo, v116, s16
	s_wait_alu 0xfffd
	v_add_co_ci_u32_e64 v37, null, s17, v117, vcc_lo
	s_clause 0xe
	global_load_b32 v2, v[36:37], off
	global_load_b32 v136, v[36:37], off offset:128
	global_load_b32 v143, v[36:37], off offset:256
	;; [unrolled: 1-line block ×14, first 2 shown]
	s_movk_i32 s16, 0x1000
	s_cbranch_execz .LBB1463_396
	s_branch .LBB1463_427
.LBB1463_395:                           ;   in Loop: Header=BB1463_393 Depth=2
	s_mov_b32 s15, 0
                                        ; implicit-def: $vgpr2
                                        ; implicit-def: $vgpr136
                                        ; implicit-def: $vgpr143
                                        ; implicit-def: $vgpr147
                                        ; implicit-def: $vgpr151
                                        ; implicit-def: $vgpr155
                                        ; implicit-def: $vgpr159
                                        ; implicit-def: $vgpr163
                                        ; implicit-def: $vgpr166
                                        ; implicit-def: $vgpr43
                                        ; implicit-def: $vgpr42
                                        ; implicit-def: $vgpr41
                                        ; implicit-def: $vgpr40
                                        ; implicit-def: $vgpr39
                                        ; implicit-def: $vgpr38
	s_movk_i32 s16, 0x1000
.LBB1463_396:                           ;   in Loop: Header=BB1463_393 Depth=2
	s_lshl_b64 s[16:17], s[42:43], 2
	s_wait_loadcnt 0xd
	v_bfrev_b32_e32 v136, -2
	s_wait_alu 0xfffe
	v_add_co_u32 v36, vcc_lo, v116, s16
	s_wait_alu 0xfffd
	v_add_co_ci_u32_e64 v37, null, s17, v117, vcc_lo
	v_bfrev_b32_e32 v2, -2
	s_mov_b32 s15, exec_lo
	v_cmpx_gt_u32_e64 s54, v88
	s_cbranch_execz .LBB1463_398
; %bb.397:                              ;   in Loop: Header=BB1463_393 Depth=2
	global_load_b32 v2, v[36:37], off
.LBB1463_398:                           ;   in Loop: Header=BB1463_393 Depth=2
	s_wait_alu 0xfffe
	s_or_b32 exec_lo, exec_lo, s15
	s_delay_alu instid0(SALU_CYCLE_1)
	s_mov_b32 s15, exec_lo
	v_cmpx_gt_u32_e64 s54, v92
	s_cbranch_execz .LBB1463_400
; %bb.399:                              ;   in Loop: Header=BB1463_393 Depth=2
	global_load_b32 v136, v[36:37], off offset:128
.LBB1463_400:                           ;   in Loop: Header=BB1463_393 Depth=2
	s_wait_alu 0xfffe
	s_or_b32 exec_lo, exec_lo, s15
	s_wait_loadcnt 0xb
	v_bfrev_b32_e32 v147, -2
	v_bfrev_b32_e32 v143, -2
	s_mov_b32 s15, exec_lo
	v_cmpx_gt_u32_e64 s54, v93
	s_cbranch_execz .LBB1463_402
; %bb.401:                              ;   in Loop: Header=BB1463_393 Depth=2
	global_load_b32 v143, v[36:37], off offset:256
.LBB1463_402:                           ;   in Loop: Header=BB1463_393 Depth=2
	s_wait_alu 0xfffe
	s_or_b32 exec_lo, exec_lo, s15
	s_delay_alu instid0(SALU_CYCLE_1)
	s_mov_b32 s15, exec_lo
	v_cmpx_gt_u32_e64 s54, v94
	s_cbranch_execz .LBB1463_404
; %bb.403:                              ;   in Loop: Header=BB1463_393 Depth=2
	global_load_b32 v147, v[36:37], off offset:384
.LBB1463_404:                           ;   in Loop: Header=BB1463_393 Depth=2
	s_wait_alu 0xfffe
	s_or_b32 exec_lo, exec_lo, s15
	s_wait_loadcnt 0x9
	v_bfrev_b32_e32 v155, -2
	v_bfrev_b32_e32 v151, -2
	s_mov_b32 s15, exec_lo
	v_cmpx_gt_u32_e64 s54, v95
	s_cbranch_execz .LBB1463_406
; %bb.405:                              ;   in Loop: Header=BB1463_393 Depth=2
	global_load_b32 v151, v[36:37], off offset:512
.LBB1463_406:                           ;   in Loop: Header=BB1463_393 Depth=2
	;; [unrolled: 20-line block ×6, first 2 shown]
	s_wait_alu 0xfffe
	s_or_b32 exec_lo, exec_lo, s15
	s_delay_alu instid0(SALU_CYCLE_1)
	s_mov_b32 s15, exec_lo
	v_cmpx_gt_u32_e64 s54, v104
	s_cbranch_execz .LBB1463_424
; %bb.423:                              ;   in Loop: Header=BB1463_393 Depth=2
	global_load_b32 v39, v[36:37], off offset:1664
.LBB1463_424:                           ;   in Loop: Header=BB1463_393 Depth=2
	s_wait_alu 0xfffe
	s_or_b32 exec_lo, exec_lo, s15
	s_wait_loadcnt 0x0
	v_bfrev_b32_e32 v38, -2
	s_mov_b32 s15, exec_lo
	v_cmpx_gt_u32_e64 s54, v105
	s_cbranch_execz .LBB1463_426
; %bb.425:                              ;   in Loop: Header=BB1463_393 Depth=2
	global_load_b32 v38, v[36:37], off offset:1792
.LBB1463_426:                           ;   in Loop: Header=BB1463_393 Depth=2
	s_wait_alu 0xfffe
	s_or_b32 exec_lo, exec_lo, s15
	v_cmp_gt_u32_e64 s15, s54, v106
	s_sub_co_i32 s16, s51, s42
.LBB1463_427:                           ;   in Loop: Header=BB1463_393 Depth=2
	v_bfrev_b32_e32 v36, -2
	v_mov_b32_e32 v135, s54
	s_and_saveexec_b32 s17, s15
	s_cbranch_execz .LBB1463_429
; %bb.428:                              ;   in Loop: Header=BB1463_393 Depth=2
	s_lshl_b64 s[18:19], s[42:43], 2
	s_wait_alu 0xfffe
	v_mov_b32_e32 v135, s16
	v_add_co_u32 v36, vcc_lo, v116, s18
	s_wait_alu 0xfffd
	v_add_co_ci_u32_e64 v37, null, s19, v117, vcc_lo
	global_load_b32 v36, v[36:37], off offset:1920
.LBB1463_429:                           ;   in Loop: Header=BB1463_393 Depth=2
	s_wait_alu 0xfffe
	s_or_b32 exec_lo, exec_lo, s17
	s_wait_loadcnt 0xe
	v_cmp_lt_i32_e32 vcc_lo, -1, v2
	s_wait_alu 0xfffd
	v_cndmask_b32_e64 v37, -1, 0x80000000, vcc_lo
	s_delay_alu instid0(VALU_DEP_1) | instskip(NEXT) | instid1(VALU_DEP_1)
	v_xor_b32_e32 v2, v37, v2
	v_cmp_ne_u32_e32 vcc_lo, 0x7fffffff, v2
	s_wait_alu 0xfffd
	v_cndmask_b32_e32 v37, 0x80000000, v2, vcc_lo
	s_delay_alu instid0(VALU_DEP_1) | instskip(NEXT) | instid1(VALU_DEP_1)
	v_lshrrev_b32_e32 v37, s31, v37
	v_and_b32_e32 v142, s48, v37
	s_delay_alu instid0(VALU_DEP_1)
	v_and_b32_e32 v37, 1, v142
	v_lshlrev_b32_e32 v137, 30, v142
	v_lshlrev_b32_e32 v138, 29, v142
	;; [unrolled: 1-line block ×4, first 2 shown]
	v_add_co_u32 v37, s15, v37, -1
	s_wait_alu 0xf1ff
	v_cndmask_b32_e64 v140, 0, 1, s15
	v_not_b32_e32 v146, v137
	v_cmp_gt_i32_e64 s15, 0, v137
	v_not_b32_e32 v137, v138
	v_lshlrev_b32_e32 v144, 26, v142
	v_cmp_ne_u32_e32 vcc_lo, 0, v140
	v_ashrrev_i32_e32 v146, 31, v146
	v_lshlrev_b32_e32 v145, 25, v142
	v_ashrrev_i32_e32 v137, 31, v137
	v_lshlrev_b32_e32 v140, 24, v142
	s_wait_alu 0xfffd
	v_xor_b32_e32 v37, vcc_lo, v37
	v_cmp_gt_i32_e32 vcc_lo, 0, v138
	v_not_b32_e32 v138, v139
	s_wait_alu 0xf1ff
	v_xor_b32_e32 v146, s15, v146
	v_cmp_gt_i32_e64 s15, 0, v139
	v_and_b32_e32 v37, exec_lo, v37
	v_not_b32_e32 v139, v141
	v_ashrrev_i32_e32 v138, 31, v138
	s_wait_alu 0xfffd
	v_xor_b32_e32 v137, vcc_lo, v137
	v_cmp_gt_i32_e32 vcc_lo, 0, v141
	v_and_b32_e32 v37, v37, v146
	v_not_b32_e32 v141, v144
	v_ashrrev_i32_e32 v139, 31, v139
	s_wait_alu 0xf1ff
	v_xor_b32_e32 v138, s15, v138
	v_cmp_gt_i32_e64 s15, 0, v144
	v_and_b32_e32 v37, v37, v137
	v_not_b32_e32 v137, v145
	v_ashrrev_i32_e32 v141, 31, v141
	s_wait_alu 0xfffd
	v_xor_b32_e32 v139, vcc_lo, v139
	v_cmp_gt_i32_e32 vcc_lo, 0, v145
	v_and_b32_e32 v37, v37, v138
	v_not_b32_e32 v138, v140
	v_ashrrev_i32_e32 v137, 31, v137
	s_wait_alu 0xf1ff
	v_xor_b32_e32 v141, s15, v141
	v_cmp_gt_i32_e64 s15, 0, v140
	v_and_b32_e32 v37, v37, v139
	v_ashrrev_i32_e32 v138, 31, v138
	s_wait_alu 0xfffd
	v_xor_b32_e32 v137, vcc_lo, v137
	v_mul_u32_u24_e32 v142, 36, v142
	v_add_nc_u32_e32 v140, 0x428, v67
	v_and_b32_e32 v37, v37, v141
	s_wait_alu 0xf1ff
	v_xor_b32_e32 v139, s15, v138
	v_add_nc_u32_e32 v138, 0x438, v67
	v_add_nc_u32_e32 v141, 0x430, v67
	v_add_nc_u32_e32 v142, v118, v142
	v_and_b32_e32 v37, v37, v137
	ds_store_2addr_b32 v138, v3, v3 offset1:1
	v_and_b32_e32 v37, v37, v139
	v_add_nc_u32_e32 v139, 0x420, v67
	ds_store_2addr_b32 v139, v3, v3 offset1:1
	ds_store_2addr_b32 v140, v3, v3 offset1:1
	;; [unrolled: 1-line block ×3, first 2 shown]
	ds_store_b32 v67, v3 offset:1088
	v_mbcnt_lo_u32_b32 v137, v37, 0
	v_cmp_ne_u32_e64 s15, 0, v37
	s_wait_loadcnt_dscnt 0x0
	s_barrier_signal -1
	s_barrier_wait -1
	v_cmp_eq_u32_e32 vcc_lo, 0, v137
	global_inv scope:SCOPE_SE
	; wave barrier
	s_and_b32 s16, s15, vcc_lo
	s_wait_alu 0xfffe
	s_and_saveexec_b32 s15, s16
; %bb.430:                              ;   in Loop: Header=BB1463_393 Depth=2
	v_bcnt_u32_b32 v37, v37, 0
	ds_store_b32 v142, v37 offset:1056
; %bb.431:                              ;   in Loop: Header=BB1463_393 Depth=2
	s_wait_alu 0xfffe
	s_or_b32 exec_lo, exec_lo, s15
	v_cmp_lt_i32_e32 vcc_lo, -1, v136
	; wave barrier
	s_wait_alu 0xfffd
	v_cndmask_b32_e64 v37, -1, 0x80000000, vcc_lo
	s_delay_alu instid0(VALU_DEP_1) | instskip(NEXT) | instid1(VALU_DEP_1)
	v_xor_b32_e32 v136, v37, v136
	v_cmp_ne_u32_e32 vcc_lo, 0x7fffffff, v136
	s_wait_alu 0xfffd
	v_cndmask_b32_e32 v37, 0x80000000, v136, vcc_lo
	s_delay_alu instid0(VALU_DEP_1) | instskip(NEXT) | instid1(VALU_DEP_1)
	v_lshrrev_b32_e32 v37, s31, v37
	v_and_b32_e32 v146, s48, v37
	s_delay_alu instid0(VALU_DEP_1)
	v_and_b32_e32 v37, 1, v146
	v_lshlrev_b32_e32 v144, 30, v146
	v_lshlrev_b32_e32 v145, 29, v146
	;; [unrolled: 1-line block ×4, first 2 shown]
	v_add_co_u32 v37, s15, v37, -1
	s_wait_alu 0xf1ff
	v_cndmask_b32_e64 v149, 0, 1, s15
	v_not_b32_e32 v154, v144
	v_cmp_gt_i32_e64 s15, 0, v144
	v_not_b32_e32 v144, v145
	v_lshlrev_b32_e32 v152, 26, v146
	v_cmp_ne_u32_e32 vcc_lo, 0, v149
	v_ashrrev_i32_e32 v154, 31, v154
	v_lshlrev_b32_e32 v153, 25, v146
	v_ashrrev_i32_e32 v144, 31, v144
	v_lshlrev_b32_e32 v149, 24, v146
	s_wait_alu 0xfffd
	v_xor_b32_e32 v37, vcc_lo, v37
	v_cmp_gt_i32_e32 vcc_lo, 0, v145
	v_not_b32_e32 v145, v148
	s_wait_alu 0xf1ff
	v_xor_b32_e32 v154, s15, v154
	v_cmp_gt_i32_e64 s15, 0, v148
	v_and_b32_e32 v37, exec_lo, v37
	v_not_b32_e32 v148, v150
	v_ashrrev_i32_e32 v145, 31, v145
	s_wait_alu 0xfffd
	v_xor_b32_e32 v144, vcc_lo, v144
	v_cmp_gt_i32_e32 vcc_lo, 0, v150
	v_and_b32_e32 v37, v37, v154
	v_not_b32_e32 v150, v152
	v_ashrrev_i32_e32 v148, 31, v148
	s_wait_alu 0xf1ff
	v_xor_b32_e32 v145, s15, v145
	v_cmp_gt_i32_e64 s15, 0, v152
	v_and_b32_e32 v37, v37, v144
	v_not_b32_e32 v144, v153
	v_ashrrev_i32_e32 v150, 31, v150
	s_wait_alu 0xfffd
	v_xor_b32_e32 v148, vcc_lo, v148
	v_cmp_gt_i32_e32 vcc_lo, 0, v153
	v_and_b32_e32 v37, v37, v145
	v_not_b32_e32 v145, v149
	v_ashrrev_i32_e32 v144, 31, v144
	s_wait_alu 0xf1ff
	v_xor_b32_e32 v150, s15, v150
	v_cmp_gt_i32_e64 s15, 0, v149
	v_and_b32_e32 v37, v37, v148
	v_ashrrev_i32_e32 v145, 31, v145
	s_wait_alu 0xfffd
	v_xor_b32_e32 v144, vcc_lo, v144
	v_mad_u32_u24 v148, v146, 36, v118
	v_mul_u32_u24_e32 v146, 36, v146
	v_and_b32_e32 v37, v37, v150
	s_wait_alu 0xf1ff
	v_xor_b32_e32 v145, s15, v145
	s_delay_alu instid0(VALU_DEP_3) | instskip(NEXT) | instid1(VALU_DEP_3)
	v_add_nc_u32_e32 v146, v118, v146
	v_and_b32_e32 v37, v37, v144
	ds_load_b32 v144, v148 offset:1056
	; wave barrier
	v_and_b32_e32 v37, v37, v145
	s_delay_alu instid0(VALU_DEP_1) | instskip(SKIP_1) | instid1(VALU_DEP_2)
	v_mbcnt_lo_u32_b32 v145, v37, 0
	v_cmp_ne_u32_e64 s15, 0, v37
	v_cmp_eq_u32_e32 vcc_lo, 0, v145
	s_and_b32 s16, s15, vcc_lo
	s_wait_alu 0xfffe
	s_and_saveexec_b32 s15, s16
	s_cbranch_execz .LBB1463_433
; %bb.432:                              ;   in Loop: Header=BB1463_393 Depth=2
	s_wait_dscnt 0x0
	v_bcnt_u32_b32 v37, v37, v144
	ds_store_b32 v146, v37 offset:1056
.LBB1463_433:                           ;   in Loop: Header=BB1463_393 Depth=2
	s_wait_alu 0xfffe
	s_or_b32 exec_lo, exec_lo, s15
	v_cmp_lt_i32_e32 vcc_lo, -1, v143
	; wave barrier
	s_wait_alu 0xfffd
	v_cndmask_b32_e64 v37, -1, 0x80000000, vcc_lo
	s_delay_alu instid0(VALU_DEP_1) | instskip(NEXT) | instid1(VALU_DEP_1)
	v_xor_b32_e32 v143, v37, v143
	v_cmp_ne_u32_e32 vcc_lo, 0x7fffffff, v143
	s_wait_alu 0xfffd
	v_cndmask_b32_e32 v37, 0x80000000, v143, vcc_lo
	s_delay_alu instid0(VALU_DEP_1) | instskip(NEXT) | instid1(VALU_DEP_1)
	v_lshrrev_b32_e32 v37, s31, v37
	v_and_b32_e32 v150, s48, v37
	s_delay_alu instid0(VALU_DEP_1)
	v_and_b32_e32 v37, 1, v150
	v_lshlrev_b32_e32 v148, 30, v150
	v_lshlrev_b32_e32 v149, 29, v150
	;; [unrolled: 1-line block ×4, first 2 shown]
	v_add_co_u32 v37, s15, v37, -1
	s_wait_alu 0xf1ff
	v_cndmask_b32_e64 v153, 0, 1, s15
	v_not_b32_e32 v158, v148
	v_cmp_gt_i32_e64 s15, 0, v148
	v_not_b32_e32 v148, v149
	v_lshlrev_b32_e32 v156, 26, v150
	v_cmp_ne_u32_e32 vcc_lo, 0, v153
	v_ashrrev_i32_e32 v158, 31, v158
	v_lshlrev_b32_e32 v157, 25, v150
	v_ashrrev_i32_e32 v148, 31, v148
	v_lshlrev_b32_e32 v153, 24, v150
	s_wait_alu 0xfffd
	v_xor_b32_e32 v37, vcc_lo, v37
	v_cmp_gt_i32_e32 vcc_lo, 0, v149
	v_not_b32_e32 v149, v152
	s_wait_alu 0xf1ff
	v_xor_b32_e32 v158, s15, v158
	v_cmp_gt_i32_e64 s15, 0, v152
	v_and_b32_e32 v37, exec_lo, v37
	v_not_b32_e32 v152, v154
	v_ashrrev_i32_e32 v149, 31, v149
	s_wait_alu 0xfffd
	v_xor_b32_e32 v148, vcc_lo, v148
	v_cmp_gt_i32_e32 vcc_lo, 0, v154
	v_and_b32_e32 v37, v37, v158
	v_not_b32_e32 v154, v156
	v_ashrrev_i32_e32 v152, 31, v152
	s_wait_alu 0xf1ff
	v_xor_b32_e32 v149, s15, v149
	v_cmp_gt_i32_e64 s15, 0, v156
	v_and_b32_e32 v37, v37, v148
	v_not_b32_e32 v148, v157
	v_ashrrev_i32_e32 v154, 31, v154
	s_wait_alu 0xfffd
	v_xor_b32_e32 v152, vcc_lo, v152
	v_cmp_gt_i32_e32 vcc_lo, 0, v157
	v_and_b32_e32 v37, v37, v149
	v_not_b32_e32 v149, v153
	v_ashrrev_i32_e32 v148, 31, v148
	s_wait_alu 0xf1ff
	v_xor_b32_e32 v154, s15, v154
	v_cmp_gt_i32_e64 s15, 0, v153
	v_and_b32_e32 v37, v37, v152
	v_ashrrev_i32_e32 v149, 31, v149
	s_wait_alu 0xfffd
	v_xor_b32_e32 v148, vcc_lo, v148
	v_mad_u32_u24 v152, v150, 36, v118
	v_mul_u32_u24_e32 v150, 36, v150
	v_and_b32_e32 v37, v37, v154
	s_wait_alu 0xf1ff
	v_xor_b32_e32 v149, s15, v149
	s_delay_alu instid0(VALU_DEP_3) | instskip(NEXT) | instid1(VALU_DEP_3)
	v_add_nc_u32_e32 v150, v118, v150
	v_and_b32_e32 v37, v37, v148
	ds_load_b32 v148, v152 offset:1056
	; wave barrier
	v_and_b32_e32 v37, v37, v149
	s_delay_alu instid0(VALU_DEP_1) | instskip(SKIP_1) | instid1(VALU_DEP_2)
	v_mbcnt_lo_u32_b32 v149, v37, 0
	v_cmp_ne_u32_e64 s15, 0, v37
	v_cmp_eq_u32_e32 vcc_lo, 0, v149
	s_and_b32 s16, s15, vcc_lo
	s_wait_alu 0xfffe
	s_and_saveexec_b32 s15, s16
	s_cbranch_execz .LBB1463_435
; %bb.434:                              ;   in Loop: Header=BB1463_393 Depth=2
	s_wait_dscnt 0x0
	v_bcnt_u32_b32 v37, v37, v148
	ds_store_b32 v150, v37 offset:1056
.LBB1463_435:                           ;   in Loop: Header=BB1463_393 Depth=2
	s_wait_alu 0xfffe
	s_or_b32 exec_lo, exec_lo, s15
	v_cmp_lt_i32_e32 vcc_lo, -1, v147
	; wave barrier
	s_wait_alu 0xfffd
	v_cndmask_b32_e64 v37, -1, 0x80000000, vcc_lo
	s_delay_alu instid0(VALU_DEP_1) | instskip(NEXT) | instid1(VALU_DEP_1)
	v_xor_b32_e32 v147, v37, v147
	v_cmp_ne_u32_e32 vcc_lo, 0x7fffffff, v147
	s_wait_alu 0xfffd
	v_cndmask_b32_e32 v37, 0x80000000, v147, vcc_lo
	s_delay_alu instid0(VALU_DEP_1) | instskip(NEXT) | instid1(VALU_DEP_1)
	v_lshrrev_b32_e32 v37, s31, v37
	v_and_b32_e32 v154, s48, v37
	s_delay_alu instid0(VALU_DEP_1)
	v_and_b32_e32 v37, 1, v154
	v_lshlrev_b32_e32 v152, 30, v154
	v_lshlrev_b32_e32 v153, 29, v154
	;; [unrolled: 1-line block ×4, first 2 shown]
	v_add_co_u32 v37, s15, v37, -1
	s_wait_alu 0xf1ff
	v_cndmask_b32_e64 v157, 0, 1, s15
	v_not_b32_e32 v162, v152
	v_cmp_gt_i32_e64 s15, 0, v152
	v_not_b32_e32 v152, v153
	v_lshlrev_b32_e32 v160, 26, v154
	v_cmp_ne_u32_e32 vcc_lo, 0, v157
	v_ashrrev_i32_e32 v162, 31, v162
	v_lshlrev_b32_e32 v161, 25, v154
	v_ashrrev_i32_e32 v152, 31, v152
	v_lshlrev_b32_e32 v157, 24, v154
	s_wait_alu 0xfffd
	v_xor_b32_e32 v37, vcc_lo, v37
	v_cmp_gt_i32_e32 vcc_lo, 0, v153
	v_not_b32_e32 v153, v156
	s_wait_alu 0xf1ff
	v_xor_b32_e32 v162, s15, v162
	v_cmp_gt_i32_e64 s15, 0, v156
	v_and_b32_e32 v37, exec_lo, v37
	v_not_b32_e32 v156, v158
	v_ashrrev_i32_e32 v153, 31, v153
	s_wait_alu 0xfffd
	v_xor_b32_e32 v152, vcc_lo, v152
	v_cmp_gt_i32_e32 vcc_lo, 0, v158
	v_and_b32_e32 v37, v37, v162
	v_not_b32_e32 v158, v160
	v_ashrrev_i32_e32 v156, 31, v156
	s_wait_alu 0xf1ff
	v_xor_b32_e32 v153, s15, v153
	v_cmp_gt_i32_e64 s15, 0, v160
	v_and_b32_e32 v37, v37, v152
	v_not_b32_e32 v152, v161
	v_ashrrev_i32_e32 v158, 31, v158
	s_wait_alu 0xfffd
	v_xor_b32_e32 v156, vcc_lo, v156
	v_cmp_gt_i32_e32 vcc_lo, 0, v161
	v_and_b32_e32 v37, v37, v153
	v_not_b32_e32 v153, v157
	v_ashrrev_i32_e32 v152, 31, v152
	s_wait_alu 0xf1ff
	v_xor_b32_e32 v158, s15, v158
	v_cmp_gt_i32_e64 s15, 0, v157
	v_and_b32_e32 v37, v37, v156
	v_ashrrev_i32_e32 v153, 31, v153
	s_wait_alu 0xfffd
	v_xor_b32_e32 v152, vcc_lo, v152
	v_mad_u32_u24 v156, v154, 36, v118
	v_mul_u32_u24_e32 v154, 36, v154
	v_and_b32_e32 v37, v37, v158
	s_wait_alu 0xf1ff
	v_xor_b32_e32 v153, s15, v153
	s_delay_alu instid0(VALU_DEP_3) | instskip(NEXT) | instid1(VALU_DEP_3)
	v_add_nc_u32_e32 v154, v118, v154
	v_and_b32_e32 v37, v37, v152
	ds_load_b32 v152, v156 offset:1056
	; wave barrier
	v_and_b32_e32 v37, v37, v153
	s_delay_alu instid0(VALU_DEP_1) | instskip(SKIP_1) | instid1(VALU_DEP_2)
	v_mbcnt_lo_u32_b32 v153, v37, 0
	v_cmp_ne_u32_e64 s15, 0, v37
	v_cmp_eq_u32_e32 vcc_lo, 0, v153
	s_and_b32 s16, s15, vcc_lo
	s_wait_alu 0xfffe
	s_and_saveexec_b32 s15, s16
	s_cbranch_execz .LBB1463_437
; %bb.436:                              ;   in Loop: Header=BB1463_393 Depth=2
	s_wait_dscnt 0x0
	v_bcnt_u32_b32 v37, v37, v152
	ds_store_b32 v154, v37 offset:1056
.LBB1463_437:                           ;   in Loop: Header=BB1463_393 Depth=2
	s_wait_alu 0xfffe
	s_or_b32 exec_lo, exec_lo, s15
	v_cmp_lt_i32_e32 vcc_lo, -1, v151
	; wave barrier
	s_wait_alu 0xfffd
	v_cndmask_b32_e64 v37, -1, 0x80000000, vcc_lo
	s_delay_alu instid0(VALU_DEP_1) | instskip(NEXT) | instid1(VALU_DEP_1)
	v_xor_b32_e32 v151, v37, v151
	v_cmp_ne_u32_e32 vcc_lo, 0x7fffffff, v151
	s_wait_alu 0xfffd
	v_cndmask_b32_e32 v37, 0x80000000, v151, vcc_lo
	s_delay_alu instid0(VALU_DEP_1) | instskip(NEXT) | instid1(VALU_DEP_1)
	v_lshrrev_b32_e32 v37, s31, v37
	v_and_b32_e32 v158, s48, v37
	s_delay_alu instid0(VALU_DEP_1)
	v_and_b32_e32 v37, 1, v158
	v_lshlrev_b32_e32 v156, 30, v158
	v_lshlrev_b32_e32 v157, 29, v158
	;; [unrolled: 1-line block ×4, first 2 shown]
	v_add_co_u32 v37, s15, v37, -1
	s_wait_alu 0xf1ff
	v_cndmask_b32_e64 v161, 0, 1, s15
	v_not_b32_e32 v167, v156
	v_cmp_gt_i32_e64 s15, 0, v156
	v_not_b32_e32 v156, v157
	v_lshlrev_b32_e32 v164, 26, v158
	v_cmp_ne_u32_e32 vcc_lo, 0, v161
	v_ashrrev_i32_e32 v167, 31, v167
	v_lshlrev_b32_e32 v165, 25, v158
	v_ashrrev_i32_e32 v156, 31, v156
	v_lshlrev_b32_e32 v161, 24, v158
	s_wait_alu 0xfffd
	v_xor_b32_e32 v37, vcc_lo, v37
	v_cmp_gt_i32_e32 vcc_lo, 0, v157
	v_not_b32_e32 v157, v160
	s_wait_alu 0xf1ff
	v_xor_b32_e32 v167, s15, v167
	v_cmp_gt_i32_e64 s15, 0, v160
	v_and_b32_e32 v37, exec_lo, v37
	v_not_b32_e32 v160, v162
	v_ashrrev_i32_e32 v157, 31, v157
	s_wait_alu 0xfffd
	v_xor_b32_e32 v156, vcc_lo, v156
	v_cmp_gt_i32_e32 vcc_lo, 0, v162
	v_and_b32_e32 v37, v37, v167
	v_not_b32_e32 v162, v164
	v_ashrrev_i32_e32 v160, 31, v160
	s_wait_alu 0xf1ff
	v_xor_b32_e32 v157, s15, v157
	v_cmp_gt_i32_e64 s15, 0, v164
	v_and_b32_e32 v37, v37, v156
	v_not_b32_e32 v156, v165
	v_ashrrev_i32_e32 v162, 31, v162
	s_wait_alu 0xfffd
	v_xor_b32_e32 v160, vcc_lo, v160
	v_cmp_gt_i32_e32 vcc_lo, 0, v165
	v_and_b32_e32 v37, v37, v157
	v_not_b32_e32 v157, v161
	v_ashrrev_i32_e32 v156, 31, v156
	s_wait_alu 0xf1ff
	v_xor_b32_e32 v162, s15, v162
	v_cmp_gt_i32_e64 s15, 0, v161
	v_and_b32_e32 v37, v37, v160
	v_ashrrev_i32_e32 v157, 31, v157
	s_wait_alu 0xfffd
	v_xor_b32_e32 v156, vcc_lo, v156
	v_mad_u32_u24 v160, v158, 36, v118
	v_mul_u32_u24_e32 v158, 36, v158
	v_and_b32_e32 v37, v37, v162
	s_wait_alu 0xf1ff
	v_xor_b32_e32 v157, s15, v157
	s_delay_alu instid0(VALU_DEP_3) | instskip(NEXT) | instid1(VALU_DEP_3)
	v_add_nc_u32_e32 v158, v118, v158
	v_and_b32_e32 v37, v37, v156
	ds_load_b32 v156, v160 offset:1056
	; wave barrier
	v_and_b32_e32 v37, v37, v157
	s_delay_alu instid0(VALU_DEP_1) | instskip(SKIP_1) | instid1(VALU_DEP_2)
	v_mbcnt_lo_u32_b32 v157, v37, 0
	v_cmp_ne_u32_e64 s15, 0, v37
	v_cmp_eq_u32_e32 vcc_lo, 0, v157
	s_and_b32 s16, s15, vcc_lo
	s_wait_alu 0xfffe
	s_and_saveexec_b32 s15, s16
	s_cbranch_execz .LBB1463_439
; %bb.438:                              ;   in Loop: Header=BB1463_393 Depth=2
	s_wait_dscnt 0x0
	v_bcnt_u32_b32 v37, v37, v156
	ds_store_b32 v158, v37 offset:1056
.LBB1463_439:                           ;   in Loop: Header=BB1463_393 Depth=2
	s_wait_alu 0xfffe
	s_or_b32 exec_lo, exec_lo, s15
	v_cmp_lt_i32_e32 vcc_lo, -1, v155
	; wave barrier
	s_wait_alu 0xfffd
	v_cndmask_b32_e64 v37, -1, 0x80000000, vcc_lo
	s_delay_alu instid0(VALU_DEP_1) | instskip(NEXT) | instid1(VALU_DEP_1)
	v_xor_b32_e32 v155, v37, v155
	v_cmp_ne_u32_e32 vcc_lo, 0x7fffffff, v155
	s_wait_alu 0xfffd
	v_cndmask_b32_e32 v37, 0x80000000, v155, vcc_lo
	s_delay_alu instid0(VALU_DEP_1) | instskip(NEXT) | instid1(VALU_DEP_1)
	v_lshrrev_b32_e32 v37, s31, v37
	v_and_b32_e32 v162, s48, v37
	s_delay_alu instid0(VALU_DEP_1)
	v_and_b32_e32 v37, 1, v162
	v_lshlrev_b32_e32 v160, 30, v162
	v_lshlrev_b32_e32 v161, 29, v162
	;; [unrolled: 1-line block ×4, first 2 shown]
	v_add_co_u32 v37, s15, v37, -1
	s_wait_alu 0xf1ff
	v_cndmask_b32_e64 v165, 0, 1, s15
	v_not_b32_e32 v170, v160
	v_cmp_gt_i32_e64 s15, 0, v160
	v_not_b32_e32 v160, v161
	v_lshlrev_b32_e32 v168, 26, v162
	v_cmp_ne_u32_e32 vcc_lo, 0, v165
	v_ashrrev_i32_e32 v170, 31, v170
	v_lshlrev_b32_e32 v169, 25, v162
	v_ashrrev_i32_e32 v160, 31, v160
	v_lshlrev_b32_e32 v165, 24, v162
	s_wait_alu 0xfffd
	v_xor_b32_e32 v37, vcc_lo, v37
	v_cmp_gt_i32_e32 vcc_lo, 0, v161
	v_not_b32_e32 v161, v164
	s_wait_alu 0xf1ff
	v_xor_b32_e32 v170, s15, v170
	v_cmp_gt_i32_e64 s15, 0, v164
	v_and_b32_e32 v37, exec_lo, v37
	v_not_b32_e32 v164, v167
	v_ashrrev_i32_e32 v161, 31, v161
	s_wait_alu 0xfffd
	v_xor_b32_e32 v160, vcc_lo, v160
	v_cmp_gt_i32_e32 vcc_lo, 0, v167
	v_and_b32_e32 v37, v37, v170
	v_not_b32_e32 v167, v168
	v_ashrrev_i32_e32 v164, 31, v164
	s_wait_alu 0xf1ff
	v_xor_b32_e32 v161, s15, v161
	v_cmp_gt_i32_e64 s15, 0, v168
	v_and_b32_e32 v37, v37, v160
	v_not_b32_e32 v160, v169
	v_ashrrev_i32_e32 v167, 31, v167
	s_wait_alu 0xfffd
	v_xor_b32_e32 v164, vcc_lo, v164
	v_cmp_gt_i32_e32 vcc_lo, 0, v169
	v_and_b32_e32 v37, v37, v161
	v_not_b32_e32 v161, v165
	v_ashrrev_i32_e32 v160, 31, v160
	s_wait_alu 0xf1ff
	v_xor_b32_e32 v167, s15, v167
	v_cmp_gt_i32_e64 s15, 0, v165
	v_and_b32_e32 v37, v37, v164
	v_ashrrev_i32_e32 v161, 31, v161
	s_wait_alu 0xfffd
	v_xor_b32_e32 v160, vcc_lo, v160
	v_mad_u32_u24 v164, v162, 36, v118
	v_mul_u32_u24_e32 v162, 36, v162
	v_and_b32_e32 v37, v37, v167
	s_wait_alu 0xf1ff
	v_xor_b32_e32 v161, s15, v161
	s_delay_alu instid0(VALU_DEP_3) | instskip(NEXT) | instid1(VALU_DEP_3)
	v_add_nc_u32_e32 v162, v118, v162
	v_and_b32_e32 v37, v37, v160
	ds_load_b32 v160, v164 offset:1056
	; wave barrier
	v_and_b32_e32 v37, v37, v161
	s_delay_alu instid0(VALU_DEP_1) | instskip(SKIP_1) | instid1(VALU_DEP_2)
	v_mbcnt_lo_u32_b32 v161, v37, 0
	v_cmp_ne_u32_e64 s15, 0, v37
	v_cmp_eq_u32_e32 vcc_lo, 0, v161
	s_and_b32 s16, s15, vcc_lo
	s_wait_alu 0xfffe
	s_and_saveexec_b32 s15, s16
	s_cbranch_execz .LBB1463_441
; %bb.440:                              ;   in Loop: Header=BB1463_393 Depth=2
	s_wait_dscnt 0x0
	v_bcnt_u32_b32 v37, v37, v160
	ds_store_b32 v162, v37 offset:1056
.LBB1463_441:                           ;   in Loop: Header=BB1463_393 Depth=2
	s_wait_alu 0xfffe
	s_or_b32 exec_lo, exec_lo, s15
	v_cmp_lt_i32_e32 vcc_lo, -1, v159
	; wave barrier
	s_wait_alu 0xfffd
	v_cndmask_b32_e64 v37, -1, 0x80000000, vcc_lo
	s_delay_alu instid0(VALU_DEP_1) | instskip(NEXT) | instid1(VALU_DEP_1)
	v_xor_b32_e32 v159, v37, v159
	v_cmp_ne_u32_e32 vcc_lo, 0x7fffffff, v159
	s_wait_alu 0xfffd
	v_cndmask_b32_e32 v37, 0x80000000, v159, vcc_lo
	s_delay_alu instid0(VALU_DEP_1) | instskip(NEXT) | instid1(VALU_DEP_1)
	v_lshrrev_b32_e32 v37, s31, v37
	v_and_b32_e32 v167, s48, v37
	s_delay_alu instid0(VALU_DEP_1)
	v_and_b32_e32 v37, 1, v167
	v_lshlrev_b32_e32 v164, 30, v167
	v_lshlrev_b32_e32 v165, 29, v167
	;; [unrolled: 1-line block ×4, first 2 shown]
	v_add_co_u32 v37, s15, v37, -1
	s_wait_alu 0xf1ff
	v_cndmask_b32_e64 v169, 0, 1, s15
	v_not_b32_e32 v173, v164
	v_cmp_gt_i32_e64 s15, 0, v164
	v_not_b32_e32 v164, v165
	v_lshlrev_b32_e32 v171, 26, v167
	v_cmp_ne_u32_e32 vcc_lo, 0, v169
	v_ashrrev_i32_e32 v173, 31, v173
	v_lshlrev_b32_e32 v172, 25, v167
	v_ashrrev_i32_e32 v164, 31, v164
	v_lshlrev_b32_e32 v169, 24, v167
	s_wait_alu 0xfffd
	v_xor_b32_e32 v37, vcc_lo, v37
	v_cmp_gt_i32_e32 vcc_lo, 0, v165
	v_not_b32_e32 v165, v168
	s_wait_alu 0xf1ff
	v_xor_b32_e32 v173, s15, v173
	v_cmp_gt_i32_e64 s15, 0, v168
	v_and_b32_e32 v37, exec_lo, v37
	v_not_b32_e32 v168, v170
	v_ashrrev_i32_e32 v165, 31, v165
	s_wait_alu 0xfffd
	v_xor_b32_e32 v164, vcc_lo, v164
	v_cmp_gt_i32_e32 vcc_lo, 0, v170
	v_and_b32_e32 v37, v37, v173
	v_not_b32_e32 v170, v171
	v_ashrrev_i32_e32 v168, 31, v168
	s_wait_alu 0xf1ff
	v_xor_b32_e32 v165, s15, v165
	v_cmp_gt_i32_e64 s15, 0, v171
	v_and_b32_e32 v37, v37, v164
	v_not_b32_e32 v164, v172
	v_ashrrev_i32_e32 v170, 31, v170
	s_wait_alu 0xfffd
	v_xor_b32_e32 v168, vcc_lo, v168
	v_cmp_gt_i32_e32 vcc_lo, 0, v172
	v_and_b32_e32 v37, v37, v165
	v_not_b32_e32 v165, v169
	v_ashrrev_i32_e32 v164, 31, v164
	s_wait_alu 0xf1ff
	v_xor_b32_e32 v170, s15, v170
	v_cmp_gt_i32_e64 s15, 0, v169
	v_and_b32_e32 v37, v37, v168
	v_ashrrev_i32_e32 v165, 31, v165
	s_wait_alu 0xfffd
	v_xor_b32_e32 v164, vcc_lo, v164
	v_mad_u32_u24 v168, v167, 36, v118
	v_mul_u32_u24_e32 v167, 36, v167
	v_and_b32_e32 v37, v37, v170
	s_wait_alu 0xf1ff
	v_xor_b32_e32 v165, s15, v165
	s_delay_alu instid0(VALU_DEP_3) | instskip(NEXT) | instid1(VALU_DEP_3)
	v_add_nc_u32_e32 v167, v118, v167
	v_and_b32_e32 v37, v37, v164
	ds_load_b32 v164, v168 offset:1056
	; wave barrier
	v_and_b32_e32 v37, v37, v165
	s_delay_alu instid0(VALU_DEP_1) | instskip(SKIP_1) | instid1(VALU_DEP_2)
	v_mbcnt_lo_u32_b32 v165, v37, 0
	v_cmp_ne_u32_e64 s15, 0, v37
	v_cmp_eq_u32_e32 vcc_lo, 0, v165
	s_and_b32 s16, s15, vcc_lo
	s_wait_alu 0xfffe
	s_and_saveexec_b32 s15, s16
	s_cbranch_execz .LBB1463_443
; %bb.442:                              ;   in Loop: Header=BB1463_393 Depth=2
	s_wait_dscnt 0x0
	v_bcnt_u32_b32 v37, v37, v164
	ds_store_b32 v167, v37 offset:1056
.LBB1463_443:                           ;   in Loop: Header=BB1463_393 Depth=2
	s_wait_alu 0xfffe
	s_or_b32 exec_lo, exec_lo, s15
	v_cmp_lt_i32_e32 vcc_lo, -1, v163
	; wave barrier
	s_wait_alu 0xfffd
	v_cndmask_b32_e64 v37, -1, 0x80000000, vcc_lo
	s_delay_alu instid0(VALU_DEP_1) | instskip(NEXT) | instid1(VALU_DEP_1)
	v_xor_b32_e32 v163, v37, v163
	v_cmp_ne_u32_e32 vcc_lo, 0x7fffffff, v163
	s_wait_alu 0xfffd
	v_cndmask_b32_e32 v37, 0x80000000, v163, vcc_lo
	s_delay_alu instid0(VALU_DEP_1) | instskip(NEXT) | instid1(VALU_DEP_1)
	v_lshrrev_b32_e32 v37, s31, v37
	v_and_b32_e32 v170, s48, v37
	s_delay_alu instid0(VALU_DEP_1)
	v_and_b32_e32 v37, 1, v170
	v_lshlrev_b32_e32 v168, 30, v170
	v_lshlrev_b32_e32 v169, 29, v170
	;; [unrolled: 1-line block ×4, first 2 shown]
	v_add_co_u32 v37, s15, v37, -1
	s_wait_alu 0xf1ff
	v_cndmask_b32_e64 v172, 0, 1, s15
	v_not_b32_e32 v176, v168
	v_cmp_gt_i32_e64 s15, 0, v168
	v_not_b32_e32 v168, v169
	v_lshlrev_b32_e32 v174, 26, v170
	v_cmp_ne_u32_e32 vcc_lo, 0, v172
	v_ashrrev_i32_e32 v176, 31, v176
	v_lshlrev_b32_e32 v175, 25, v170
	v_ashrrev_i32_e32 v168, 31, v168
	v_lshlrev_b32_e32 v172, 24, v170
	s_wait_alu 0xfffd
	v_xor_b32_e32 v37, vcc_lo, v37
	v_cmp_gt_i32_e32 vcc_lo, 0, v169
	v_not_b32_e32 v169, v171
	s_wait_alu 0xf1ff
	v_xor_b32_e32 v176, s15, v176
	v_cmp_gt_i32_e64 s15, 0, v171
	v_and_b32_e32 v37, exec_lo, v37
	v_not_b32_e32 v171, v173
	v_ashrrev_i32_e32 v169, 31, v169
	s_wait_alu 0xfffd
	v_xor_b32_e32 v168, vcc_lo, v168
	v_cmp_gt_i32_e32 vcc_lo, 0, v173
	v_and_b32_e32 v37, v37, v176
	v_not_b32_e32 v173, v174
	v_ashrrev_i32_e32 v171, 31, v171
	s_wait_alu 0xf1ff
	v_xor_b32_e32 v169, s15, v169
	v_cmp_gt_i32_e64 s15, 0, v174
	v_and_b32_e32 v37, v37, v168
	v_not_b32_e32 v168, v175
	v_ashrrev_i32_e32 v173, 31, v173
	s_wait_alu 0xfffd
	v_xor_b32_e32 v171, vcc_lo, v171
	v_cmp_gt_i32_e32 vcc_lo, 0, v175
	v_and_b32_e32 v37, v37, v169
	v_not_b32_e32 v169, v172
	v_ashrrev_i32_e32 v168, 31, v168
	s_wait_alu 0xf1ff
	v_xor_b32_e32 v173, s15, v173
	v_cmp_gt_i32_e64 s15, 0, v172
	v_and_b32_e32 v37, v37, v171
	v_ashrrev_i32_e32 v169, 31, v169
	s_wait_alu 0xfffd
	v_xor_b32_e32 v168, vcc_lo, v168
	v_mad_u32_u24 v171, v170, 36, v118
	v_mul_u32_u24_e32 v170, 36, v170
	v_and_b32_e32 v37, v37, v173
	s_wait_alu 0xf1ff
	v_xor_b32_e32 v169, s15, v169
	s_delay_alu instid0(VALU_DEP_3) | instskip(NEXT) | instid1(VALU_DEP_3)
	v_add_nc_u32_e32 v170, v118, v170
	v_and_b32_e32 v37, v37, v168
	ds_load_b32 v168, v171 offset:1056
	; wave barrier
	v_and_b32_e32 v37, v37, v169
	s_delay_alu instid0(VALU_DEP_1) | instskip(SKIP_1) | instid1(VALU_DEP_2)
	v_mbcnt_lo_u32_b32 v169, v37, 0
	v_cmp_ne_u32_e64 s15, 0, v37
	v_cmp_eq_u32_e32 vcc_lo, 0, v169
	s_and_b32 s16, s15, vcc_lo
	s_wait_alu 0xfffe
	s_and_saveexec_b32 s15, s16
	s_cbranch_execz .LBB1463_445
; %bb.444:                              ;   in Loop: Header=BB1463_393 Depth=2
	s_wait_dscnt 0x0
	v_bcnt_u32_b32 v37, v37, v168
	ds_store_b32 v170, v37 offset:1056
.LBB1463_445:                           ;   in Loop: Header=BB1463_393 Depth=2
	s_wait_alu 0xfffe
	s_or_b32 exec_lo, exec_lo, s15
	v_cmp_lt_i32_e32 vcc_lo, -1, v166
	; wave barrier
	s_wait_alu 0xfffd
	v_cndmask_b32_e64 v37, -1, 0x80000000, vcc_lo
	s_delay_alu instid0(VALU_DEP_1) | instskip(NEXT) | instid1(VALU_DEP_1)
	v_xor_b32_e32 v166, v37, v166
	v_cmp_ne_u32_e32 vcc_lo, 0x7fffffff, v166
	s_wait_alu 0xfffd
	v_cndmask_b32_e32 v37, 0x80000000, v166, vcc_lo
	s_delay_alu instid0(VALU_DEP_1) | instskip(NEXT) | instid1(VALU_DEP_1)
	v_lshrrev_b32_e32 v37, s31, v37
	v_and_b32_e32 v171, s48, v37
	s_delay_alu instid0(VALU_DEP_1)
	v_and_b32_e32 v37, 1, v171
	v_lshlrev_b32_e32 v172, 30, v171
	v_lshlrev_b32_e32 v173, 29, v171
	;; [unrolled: 1-line block ×4, first 2 shown]
	v_add_co_u32 v37, s15, v37, -1
	s_wait_alu 0xf1ff
	v_cndmask_b32_e64 v175, 0, 1, s15
	v_not_b32_e32 v179, v172
	v_cmp_gt_i32_e64 s15, 0, v172
	v_not_b32_e32 v172, v173
	v_lshlrev_b32_e32 v177, 26, v171
	v_cmp_ne_u32_e32 vcc_lo, 0, v175
	v_ashrrev_i32_e32 v179, 31, v179
	v_lshlrev_b32_e32 v178, 25, v171
	v_ashrrev_i32_e32 v172, 31, v172
	v_lshlrev_b32_e32 v175, 24, v171
	s_wait_alu 0xfffd
	v_xor_b32_e32 v37, vcc_lo, v37
	v_cmp_gt_i32_e32 vcc_lo, 0, v173
	v_not_b32_e32 v173, v174
	s_wait_alu 0xf1ff
	v_xor_b32_e32 v179, s15, v179
	v_cmp_gt_i32_e64 s15, 0, v174
	v_and_b32_e32 v37, exec_lo, v37
	v_not_b32_e32 v174, v176
	v_ashrrev_i32_e32 v173, 31, v173
	s_wait_alu 0xfffd
	v_xor_b32_e32 v172, vcc_lo, v172
	v_cmp_gt_i32_e32 vcc_lo, 0, v176
	v_and_b32_e32 v37, v37, v179
	v_not_b32_e32 v176, v177
	v_ashrrev_i32_e32 v174, 31, v174
	s_wait_alu 0xf1ff
	v_xor_b32_e32 v173, s15, v173
	v_cmp_gt_i32_e64 s15, 0, v177
	v_and_b32_e32 v37, v37, v172
	v_not_b32_e32 v172, v178
	v_ashrrev_i32_e32 v176, 31, v176
	s_wait_alu 0xfffd
	v_xor_b32_e32 v174, vcc_lo, v174
	v_cmp_gt_i32_e32 vcc_lo, 0, v178
	v_and_b32_e32 v37, v37, v173
	v_not_b32_e32 v173, v175
	v_ashrrev_i32_e32 v172, 31, v172
	s_wait_alu 0xf1ff
	v_xor_b32_e32 v176, s15, v176
	v_cmp_gt_i32_e64 s15, 0, v175
	v_and_b32_e32 v37, v37, v174
	v_ashrrev_i32_e32 v173, 31, v173
	s_wait_alu 0xfffd
	v_xor_b32_e32 v172, vcc_lo, v172
	v_mad_u32_u24 v174, v171, 36, v118
	v_mul_u32_u24_e32 v171, 36, v171
	v_and_b32_e32 v37, v37, v176
	s_wait_alu 0xf1ff
	v_xor_b32_e32 v173, s15, v173
	s_delay_alu instid0(VALU_DEP_2) | instskip(SKIP_3) | instid1(VALU_DEP_1)
	v_and_b32_e32 v37, v37, v172
	ds_load_b32 v172, v174 offset:1056
	v_add_nc_u32_e32 v174, v118, v171
	; wave barrier
	v_and_b32_e32 v37, v37, v173
	v_mbcnt_lo_u32_b32 v173, v37, 0
	v_cmp_ne_u32_e64 s15, 0, v37
	s_delay_alu instid0(VALU_DEP_2)
	v_cmp_eq_u32_e32 vcc_lo, 0, v173
	s_and_b32 s16, s15, vcc_lo
	s_wait_alu 0xfffe
	s_and_saveexec_b32 s15, s16
	s_cbranch_execz .LBB1463_447
; %bb.446:                              ;   in Loop: Header=BB1463_393 Depth=2
	s_wait_dscnt 0x0
	v_bcnt_u32_b32 v37, v37, v172
	ds_store_b32 v174, v37 offset:1056
.LBB1463_447:                           ;   in Loop: Header=BB1463_393 Depth=2
	s_wait_alu 0xfffe
	s_or_b32 exec_lo, exec_lo, s15
	v_cmp_lt_i32_e32 vcc_lo, -1, v43
	; wave barrier
	s_wait_alu 0xfffd
	v_cndmask_b32_e64 v37, -1, 0x80000000, vcc_lo
	s_delay_alu instid0(VALU_DEP_1) | instskip(NEXT) | instid1(VALU_DEP_1)
	v_xor_b32_e32 v171, v37, v43
	v_cmp_ne_u32_e32 vcc_lo, 0x7fffffff, v171
	s_wait_alu 0xfffd
	v_cndmask_b32_e32 v37, 0x80000000, v171, vcc_lo
	s_delay_alu instid0(VALU_DEP_1) | instskip(NEXT) | instid1(VALU_DEP_1)
	v_lshrrev_b32_e32 v37, s31, v37
	v_and_b32_e32 v43, s48, v37
	s_delay_alu instid0(VALU_DEP_1)
	v_and_b32_e32 v37, 1, v43
	v_lshlrev_b32_e32 v175, 30, v43
	v_lshlrev_b32_e32 v176, 29, v43
	v_lshlrev_b32_e32 v177, 28, v43
	v_lshlrev_b32_e32 v179, 27, v43
	v_add_co_u32 v37, s15, v37, -1
	s_wait_alu 0xf1ff
	v_cndmask_b32_e64 v178, 0, 1, s15
	v_not_b32_e32 v182, v175
	v_cmp_gt_i32_e64 s15, 0, v175
	v_not_b32_e32 v175, v176
	v_lshlrev_b32_e32 v180, 26, v43
	v_cmp_ne_u32_e32 vcc_lo, 0, v178
	v_ashrrev_i32_e32 v182, 31, v182
	v_lshlrev_b32_e32 v181, 25, v43
	v_ashrrev_i32_e32 v175, 31, v175
	v_lshlrev_b32_e32 v178, 24, v43
	s_wait_alu 0xfffd
	v_xor_b32_e32 v37, vcc_lo, v37
	v_cmp_gt_i32_e32 vcc_lo, 0, v176
	v_not_b32_e32 v176, v177
	s_wait_alu 0xf1ff
	v_xor_b32_e32 v182, s15, v182
	v_cmp_gt_i32_e64 s15, 0, v177
	v_and_b32_e32 v37, exec_lo, v37
	v_not_b32_e32 v177, v179
	v_ashrrev_i32_e32 v176, 31, v176
	s_wait_alu 0xfffd
	v_xor_b32_e32 v175, vcc_lo, v175
	v_cmp_gt_i32_e32 vcc_lo, 0, v179
	v_and_b32_e32 v37, v37, v182
	v_not_b32_e32 v179, v180
	v_ashrrev_i32_e32 v177, 31, v177
	s_wait_alu 0xf1ff
	v_xor_b32_e32 v176, s15, v176
	v_cmp_gt_i32_e64 s15, 0, v180
	v_and_b32_e32 v37, v37, v175
	v_not_b32_e32 v175, v181
	v_ashrrev_i32_e32 v179, 31, v179
	s_wait_alu 0xfffd
	v_xor_b32_e32 v177, vcc_lo, v177
	v_cmp_gt_i32_e32 vcc_lo, 0, v181
	v_and_b32_e32 v37, v37, v176
	v_not_b32_e32 v176, v178
	v_ashrrev_i32_e32 v175, 31, v175
	s_wait_alu 0xf1ff
	v_xor_b32_e32 v179, s15, v179
	v_cmp_gt_i32_e64 s15, 0, v178
	v_and_b32_e32 v37, v37, v177
	v_ashrrev_i32_e32 v176, 31, v176
	s_wait_alu 0xfffd
	v_xor_b32_e32 v175, vcc_lo, v175
	v_mad_u32_u24 v177, v43, 36, v118
	v_mul_u32_u24_e32 v43, 36, v43
	v_and_b32_e32 v37, v37, v179
	s_wait_alu 0xf1ff
	v_xor_b32_e32 v178, s15, v176
	ds_load_b32 v176, v177 offset:1056
	v_and_b32_e32 v37, v37, v175
	; wave barrier
	s_delay_alu instid0(VALU_DEP_1) | instskip(SKIP_1) | instid1(VALU_DEP_2)
	v_and_b32_e32 v37, v37, v178
	v_add_nc_u32_e32 v178, v118, v43
	v_mbcnt_lo_u32_b32 v177, v37, 0
	v_cmp_ne_u32_e64 s15, 0, v37
	s_delay_alu instid0(VALU_DEP_2)
	v_cmp_eq_u32_e32 vcc_lo, 0, v177
	s_and_b32 s16, s15, vcc_lo
	s_wait_alu 0xfffe
	s_and_saveexec_b32 s15, s16
	s_cbranch_execz .LBB1463_449
; %bb.448:                              ;   in Loop: Header=BB1463_393 Depth=2
	s_wait_dscnt 0x0
	v_bcnt_u32_b32 v37, v37, v176
	ds_store_b32 v178, v37 offset:1056
.LBB1463_449:                           ;   in Loop: Header=BB1463_393 Depth=2
	s_wait_alu 0xfffe
	s_or_b32 exec_lo, exec_lo, s15
	v_cmp_lt_i32_e32 vcc_lo, -1, v42
	; wave barrier
	s_wait_alu 0xfffd
	v_cndmask_b32_e64 v37, -1, 0x80000000, vcc_lo
	s_delay_alu instid0(VALU_DEP_1) | instskip(NEXT) | instid1(VALU_DEP_1)
	v_xor_b32_e32 v175, v37, v42
	v_cmp_ne_u32_e32 vcc_lo, 0x7fffffff, v175
	s_wait_alu 0xfffd
	v_cndmask_b32_e32 v37, 0x80000000, v175, vcc_lo
	s_delay_alu instid0(VALU_DEP_1) | instskip(NEXT) | instid1(VALU_DEP_1)
	v_lshrrev_b32_e32 v37, s31, v37
	v_and_b32_e32 v42, s48, v37
	s_delay_alu instid0(VALU_DEP_1)
	v_and_b32_e32 v37, 1, v42
	v_lshlrev_b32_e32 v43, 30, v42
	v_lshlrev_b32_e32 v179, 29, v42
	;; [unrolled: 1-line block ×4, first 2 shown]
	v_add_co_u32 v37, s15, v37, -1
	s_wait_alu 0xf1ff
	v_cndmask_b32_e64 v181, 0, 1, s15
	v_not_b32_e32 v185, v43
	v_cmp_gt_i32_e64 s15, 0, v43
	v_not_b32_e32 v43, v179
	v_lshlrev_b32_e32 v183, 26, v42
	v_cmp_ne_u32_e32 vcc_lo, 0, v181
	v_ashrrev_i32_e32 v185, 31, v185
	v_lshlrev_b32_e32 v184, 25, v42
	v_ashrrev_i32_e32 v43, 31, v43
	v_lshlrev_b32_e32 v181, 24, v42
	s_wait_alu 0xfffd
	v_xor_b32_e32 v37, vcc_lo, v37
	v_cmp_gt_i32_e32 vcc_lo, 0, v179
	v_not_b32_e32 v179, v180
	s_wait_alu 0xf1ff
	v_xor_b32_e32 v185, s15, v185
	v_cmp_gt_i32_e64 s15, 0, v180
	v_and_b32_e32 v37, exec_lo, v37
	v_not_b32_e32 v180, v182
	v_ashrrev_i32_e32 v179, 31, v179
	s_wait_alu 0xfffd
	v_xor_b32_e32 v43, vcc_lo, v43
	v_cmp_gt_i32_e32 vcc_lo, 0, v182
	v_and_b32_e32 v37, v37, v185
	v_not_b32_e32 v182, v183
	v_ashrrev_i32_e32 v180, 31, v180
	s_wait_alu 0xf1ff
	v_xor_b32_e32 v179, s15, v179
	v_cmp_gt_i32_e64 s15, 0, v183
	v_and_b32_e32 v37, v37, v43
	v_not_b32_e32 v43, v184
	v_ashrrev_i32_e32 v182, 31, v182
	s_wait_alu 0xfffd
	v_xor_b32_e32 v180, vcc_lo, v180
	v_cmp_gt_i32_e32 vcc_lo, 0, v184
	v_and_b32_e32 v37, v37, v179
	v_not_b32_e32 v179, v181
	v_ashrrev_i32_e32 v43, 31, v43
	s_wait_alu 0xf1ff
	v_xor_b32_e32 v182, s15, v182
	v_cmp_gt_i32_e64 s15, 0, v181
	v_and_b32_e32 v37, v37, v180
	v_ashrrev_i32_e32 v179, 31, v179
	s_wait_alu 0xfffd
	v_xor_b32_e32 v43, vcc_lo, v43
	v_mad_u32_u24 v180, v42, 36, v118
	v_mul_u32_u24_e32 v42, 36, v42
	v_and_b32_e32 v37, v37, v182
	s_wait_alu 0xf1ff
	v_xor_b32_e32 v179, s15, v179
	ds_load_b32 v180, v180 offset:1056
	v_add_nc_u32_e32 v182, v118, v42
	v_and_b32_e32 v37, v37, v43
	; wave barrier
	s_delay_alu instid0(VALU_DEP_1) | instskip(NEXT) | instid1(VALU_DEP_1)
	v_and_b32_e32 v37, v37, v179
	v_mbcnt_lo_u32_b32 v181, v37, 0
	v_cmp_ne_u32_e64 s15, 0, v37
	s_delay_alu instid0(VALU_DEP_2)
	v_cmp_eq_u32_e32 vcc_lo, 0, v181
	s_and_b32 s16, s15, vcc_lo
	s_wait_alu 0xfffe
	s_and_saveexec_b32 s15, s16
	s_cbranch_execz .LBB1463_451
; %bb.450:                              ;   in Loop: Header=BB1463_393 Depth=2
	s_wait_dscnt 0x0
	v_bcnt_u32_b32 v37, v37, v180
	ds_store_b32 v182, v37 offset:1056
.LBB1463_451:                           ;   in Loop: Header=BB1463_393 Depth=2
	s_wait_alu 0xfffe
	s_or_b32 exec_lo, exec_lo, s15
	v_cmp_lt_i32_e32 vcc_lo, -1, v41
	; wave barrier
	s_wait_alu 0xfffd
	v_cndmask_b32_e64 v37, -1, 0x80000000, vcc_lo
	s_delay_alu instid0(VALU_DEP_1) | instskip(NEXT) | instid1(VALU_DEP_1)
	v_xor_b32_e32 v179, v37, v41
	v_cmp_ne_u32_e32 vcc_lo, 0x7fffffff, v179
	s_wait_alu 0xfffd
	v_cndmask_b32_e32 v37, 0x80000000, v179, vcc_lo
	s_delay_alu instid0(VALU_DEP_1) | instskip(NEXT) | instid1(VALU_DEP_1)
	v_lshrrev_b32_e32 v37, s31, v37
	v_and_b32_e32 v41, s48, v37
	s_delay_alu instid0(VALU_DEP_1)
	v_and_b32_e32 v37, 1, v41
	v_lshlrev_b32_e32 v42, 30, v41
	v_lshlrev_b32_e32 v43, 29, v41
	;; [unrolled: 1-line block ×4, first 2 shown]
	v_add_co_u32 v37, s15, v37, -1
	s_wait_alu 0xf1ff
	v_cndmask_b32_e64 v184, 0, 1, s15
	v_not_b32_e32 v188, v42
	v_cmp_gt_i32_e64 s15, 0, v42
	v_not_b32_e32 v42, v43
	v_lshlrev_b32_e32 v186, 26, v41
	v_cmp_ne_u32_e32 vcc_lo, 0, v184
	v_ashrrev_i32_e32 v188, 31, v188
	v_lshlrev_b32_e32 v187, 25, v41
	v_ashrrev_i32_e32 v42, 31, v42
	v_lshlrev_b32_e32 v184, 24, v41
	s_wait_alu 0xfffd
	v_xor_b32_e32 v37, vcc_lo, v37
	v_cmp_gt_i32_e32 vcc_lo, 0, v43
	v_not_b32_e32 v43, v183
	s_wait_alu 0xf1ff
	v_xor_b32_e32 v188, s15, v188
	v_cmp_gt_i32_e64 s15, 0, v183
	v_and_b32_e32 v37, exec_lo, v37
	v_not_b32_e32 v183, v185
	v_ashrrev_i32_e32 v43, 31, v43
	s_wait_alu 0xfffd
	v_xor_b32_e32 v42, vcc_lo, v42
	v_cmp_gt_i32_e32 vcc_lo, 0, v185
	v_and_b32_e32 v37, v37, v188
	v_not_b32_e32 v185, v186
	v_ashrrev_i32_e32 v183, 31, v183
	s_wait_alu 0xf1ff
	v_xor_b32_e32 v43, s15, v43
	v_cmp_gt_i32_e64 s15, 0, v186
	v_and_b32_e32 v37, v37, v42
	v_not_b32_e32 v42, v187
	v_ashrrev_i32_e32 v185, 31, v185
	s_wait_alu 0xfffd
	v_xor_b32_e32 v183, vcc_lo, v183
	v_cmp_gt_i32_e32 vcc_lo, 0, v187
	v_and_b32_e32 v37, v37, v43
	v_not_b32_e32 v43, v184
	v_ashrrev_i32_e32 v42, 31, v42
	s_wait_alu 0xf1ff
	v_xor_b32_e32 v185, s15, v185
	v_cmp_gt_i32_e64 s15, 0, v184
	v_and_b32_e32 v37, v37, v183
	v_ashrrev_i32_e32 v43, 31, v43
	s_wait_alu 0xfffd
	v_xor_b32_e32 v42, vcc_lo, v42
	v_mad_u32_u24 v183, v41, 36, v118
	v_mul_u32_u24_e32 v41, 36, v41
	v_and_b32_e32 v37, v37, v185
	s_wait_alu 0xf1ff
	v_xor_b32_e32 v43, s15, v43
	ds_load_b32 v184, v183 offset:1056
	v_add_nc_u32_e32 v186, v118, v41
	v_and_b32_e32 v37, v37, v42
	; wave barrier
	s_delay_alu instid0(VALU_DEP_1) | instskip(NEXT) | instid1(VALU_DEP_1)
	v_and_b32_e32 v37, v37, v43
	v_mbcnt_lo_u32_b32 v185, v37, 0
	v_cmp_ne_u32_e64 s15, 0, v37
	s_delay_alu instid0(VALU_DEP_2)
	v_cmp_eq_u32_e32 vcc_lo, 0, v185
	s_and_b32 s16, s15, vcc_lo
	s_wait_alu 0xfffe
	s_and_saveexec_b32 s15, s16
	s_cbranch_execz .LBB1463_453
; %bb.452:                              ;   in Loop: Header=BB1463_393 Depth=2
	s_wait_dscnt 0x0
	v_bcnt_u32_b32 v37, v37, v184
	ds_store_b32 v186, v37 offset:1056
.LBB1463_453:                           ;   in Loop: Header=BB1463_393 Depth=2
	s_wait_alu 0xfffe
	s_or_b32 exec_lo, exec_lo, s15
	v_cmp_lt_i32_e32 vcc_lo, -1, v40
	; wave barrier
	s_wait_alu 0xfffd
	v_cndmask_b32_e64 v37, -1, 0x80000000, vcc_lo
	s_delay_alu instid0(VALU_DEP_1) | instskip(NEXT) | instid1(VALU_DEP_1)
	v_xor_b32_e32 v183, v37, v40
	v_cmp_ne_u32_e32 vcc_lo, 0x7fffffff, v183
	s_wait_alu 0xfffd
	v_cndmask_b32_e32 v37, 0x80000000, v183, vcc_lo
	s_delay_alu instid0(VALU_DEP_1) | instskip(NEXT) | instid1(VALU_DEP_1)
	v_lshrrev_b32_e32 v37, s31, v37
	v_and_b32_e32 v40, s48, v37
	s_delay_alu instid0(VALU_DEP_1)
	v_and_b32_e32 v37, 1, v40
	v_lshlrev_b32_e32 v41, 30, v40
	v_lshlrev_b32_e32 v42, 29, v40
	;; [unrolled: 1-line block ×4, first 2 shown]
	v_add_co_u32 v37, s15, v37, -1
	s_wait_alu 0xf1ff
	v_cndmask_b32_e64 v187, 0, 1, s15
	v_not_b32_e32 v191, v41
	v_cmp_gt_i32_e64 s15, 0, v41
	v_not_b32_e32 v41, v42
	v_lshlrev_b32_e32 v189, 26, v40
	v_cmp_ne_u32_e32 vcc_lo, 0, v187
	v_ashrrev_i32_e32 v191, 31, v191
	v_lshlrev_b32_e32 v190, 25, v40
	v_ashrrev_i32_e32 v41, 31, v41
	v_lshlrev_b32_e32 v187, 24, v40
	s_wait_alu 0xfffd
	v_xor_b32_e32 v37, vcc_lo, v37
	v_cmp_gt_i32_e32 vcc_lo, 0, v42
	v_not_b32_e32 v42, v43
	s_wait_alu 0xf1ff
	v_xor_b32_e32 v191, s15, v191
	v_cmp_gt_i32_e64 s15, 0, v43
	v_and_b32_e32 v37, exec_lo, v37
	v_not_b32_e32 v43, v188
	v_ashrrev_i32_e32 v42, 31, v42
	s_wait_alu 0xfffd
	v_xor_b32_e32 v41, vcc_lo, v41
	v_cmp_gt_i32_e32 vcc_lo, 0, v188
	v_and_b32_e32 v37, v37, v191
	v_not_b32_e32 v188, v189
	v_ashrrev_i32_e32 v43, 31, v43
	s_wait_alu 0xf1ff
	v_xor_b32_e32 v42, s15, v42
	v_cmp_gt_i32_e64 s15, 0, v189
	v_and_b32_e32 v37, v37, v41
	v_not_b32_e32 v41, v190
	v_ashrrev_i32_e32 v188, 31, v188
	s_wait_alu 0xfffd
	v_xor_b32_e32 v43, vcc_lo, v43
	v_cmp_gt_i32_e32 vcc_lo, 0, v190
	v_and_b32_e32 v37, v37, v42
	v_not_b32_e32 v42, v187
	v_ashrrev_i32_e32 v41, 31, v41
	s_wait_alu 0xf1ff
	v_xor_b32_e32 v188, s15, v188
	v_cmp_gt_i32_e64 s15, 0, v187
	v_and_b32_e32 v37, v37, v43
	v_ashrrev_i32_e32 v42, 31, v42
	s_wait_alu 0xfffd
	v_xor_b32_e32 v41, vcc_lo, v41
	v_mad_u32_u24 v43, v40, 36, v118
	v_mul_u32_u24_e32 v40, 36, v40
	v_and_b32_e32 v37, v37, v188
	s_wait_alu 0xf1ff
	v_xor_b32_e32 v42, s15, v42
	ds_load_b32 v188, v43 offset:1056
	v_add_nc_u32_e32 v190, v118, v40
	v_and_b32_e32 v37, v37, v41
	; wave barrier
	s_delay_alu instid0(VALU_DEP_1) | instskip(NEXT) | instid1(VALU_DEP_1)
	v_and_b32_e32 v37, v37, v42
	v_mbcnt_lo_u32_b32 v189, v37, 0
	v_cmp_ne_u32_e64 s15, 0, v37
	s_delay_alu instid0(VALU_DEP_2)
	v_cmp_eq_u32_e32 vcc_lo, 0, v189
	s_and_b32 s16, s15, vcc_lo
	s_wait_alu 0xfffe
	s_and_saveexec_b32 s15, s16
	s_cbranch_execz .LBB1463_455
; %bb.454:                              ;   in Loop: Header=BB1463_393 Depth=2
	s_wait_dscnt 0x0
	v_bcnt_u32_b32 v37, v37, v188
	ds_store_b32 v190, v37 offset:1056
.LBB1463_455:                           ;   in Loop: Header=BB1463_393 Depth=2
	s_wait_alu 0xfffe
	s_or_b32 exec_lo, exec_lo, s15
	v_cmp_lt_i32_e32 vcc_lo, -1, v39
	; wave barrier
	s_wait_alu 0xfffd
	v_cndmask_b32_e64 v37, -1, 0x80000000, vcc_lo
	s_delay_alu instid0(VALU_DEP_1) | instskip(NEXT) | instid1(VALU_DEP_1)
	v_xor_b32_e32 v187, v37, v39
	v_cmp_ne_u32_e32 vcc_lo, 0x7fffffff, v187
	s_wait_alu 0xfffd
	v_cndmask_b32_e32 v37, 0x80000000, v187, vcc_lo
	s_delay_alu instid0(VALU_DEP_1) | instskip(NEXT) | instid1(VALU_DEP_1)
	v_lshrrev_b32_e32 v37, s31, v37
	v_and_b32_e32 v39, s48, v37
	s_delay_alu instid0(VALU_DEP_1)
	v_and_b32_e32 v37, 1, v39
	v_lshlrev_b32_e32 v40, 30, v39
	v_lshlrev_b32_e32 v41, 29, v39
	;; [unrolled: 1-line block ×4, first 2 shown]
	v_add_co_u32 v37, s15, v37, -1
	s_wait_alu 0xf1ff
	v_cndmask_b32_e64 v43, 0, 1, s15
	v_not_b32_e32 v194, v40
	v_cmp_gt_i32_e64 s15, 0, v40
	v_not_b32_e32 v40, v41
	v_lshlrev_b32_e32 v192, 26, v39
	v_cmp_ne_u32_e32 vcc_lo, 0, v43
	v_ashrrev_i32_e32 v194, 31, v194
	v_lshlrev_b32_e32 v193, 25, v39
	v_ashrrev_i32_e32 v40, 31, v40
	v_lshlrev_b32_e32 v43, 24, v39
	s_wait_alu 0xfffd
	v_xor_b32_e32 v37, vcc_lo, v37
	v_cmp_gt_i32_e32 vcc_lo, 0, v41
	v_not_b32_e32 v41, v42
	s_wait_alu 0xf1ff
	v_xor_b32_e32 v194, s15, v194
	v_cmp_gt_i32_e64 s15, 0, v42
	v_and_b32_e32 v37, exec_lo, v37
	v_not_b32_e32 v42, v191
	v_ashrrev_i32_e32 v41, 31, v41
	s_wait_alu 0xfffd
	v_xor_b32_e32 v40, vcc_lo, v40
	v_cmp_gt_i32_e32 vcc_lo, 0, v191
	v_and_b32_e32 v37, v37, v194
	v_not_b32_e32 v191, v192
	v_ashrrev_i32_e32 v42, 31, v42
	s_wait_alu 0xf1ff
	v_xor_b32_e32 v41, s15, v41
	v_cmp_gt_i32_e64 s15, 0, v192
	v_and_b32_e32 v37, v37, v40
	v_not_b32_e32 v40, v193
	v_ashrrev_i32_e32 v191, 31, v191
	s_wait_alu 0xfffd
	v_xor_b32_e32 v42, vcc_lo, v42
	v_cmp_gt_i32_e32 vcc_lo, 0, v193
	v_and_b32_e32 v37, v37, v41
	v_not_b32_e32 v41, v43
	v_ashrrev_i32_e32 v40, 31, v40
	s_wait_alu 0xf1ff
	v_xor_b32_e32 v191, s15, v191
	v_cmp_gt_i32_e64 s15, 0, v43
	v_and_b32_e32 v37, v37, v42
	v_ashrrev_i32_e32 v41, 31, v41
	s_wait_alu 0xfffd
	v_xor_b32_e32 v40, vcc_lo, v40
	v_mad_u32_u24 v42, v39, 36, v118
	v_mul_u32_u24_e32 v39, 36, v39
	v_and_b32_e32 v37, v37, v191
	s_wait_alu 0xf1ff
	v_xor_b32_e32 v41, s15, v41
	ds_load_b32 v192, v42 offset:1056
	v_add_nc_u32_e32 v194, v118, v39
	v_and_b32_e32 v37, v37, v40
	; wave barrier
	s_delay_alu instid0(VALU_DEP_1) | instskip(NEXT) | instid1(VALU_DEP_1)
	v_and_b32_e32 v37, v37, v41
	v_mbcnt_lo_u32_b32 v193, v37, 0
	v_cmp_ne_u32_e64 s15, 0, v37
	s_delay_alu instid0(VALU_DEP_2)
	v_cmp_eq_u32_e32 vcc_lo, 0, v193
	s_and_b32 s16, s15, vcc_lo
	s_wait_alu 0xfffe
	s_and_saveexec_b32 s15, s16
	s_cbranch_execz .LBB1463_457
; %bb.456:                              ;   in Loop: Header=BB1463_393 Depth=2
	s_wait_dscnt 0x0
	v_bcnt_u32_b32 v37, v37, v192
	ds_store_b32 v194, v37 offset:1056
.LBB1463_457:                           ;   in Loop: Header=BB1463_393 Depth=2
	s_wait_alu 0xfffe
	s_or_b32 exec_lo, exec_lo, s15
	v_cmp_lt_i32_e32 vcc_lo, -1, v38
	; wave barrier
	s_wait_alu 0xfffd
	v_cndmask_b32_e64 v37, -1, 0x80000000, vcc_lo
	s_delay_alu instid0(VALU_DEP_1) | instskip(NEXT) | instid1(VALU_DEP_1)
	v_xor_b32_e32 v191, v37, v38
	v_cmp_ne_u32_e32 vcc_lo, 0x7fffffff, v191
	s_wait_alu 0xfffd
	v_cndmask_b32_e32 v37, 0x80000000, v191, vcc_lo
	s_delay_alu instid0(VALU_DEP_1) | instskip(NEXT) | instid1(VALU_DEP_1)
	v_lshrrev_b32_e32 v37, s31, v37
	v_and_b32_e32 v38, s48, v37
	s_delay_alu instid0(VALU_DEP_1)
	v_and_b32_e32 v37, 1, v38
	v_lshlrev_b32_e32 v39, 30, v38
	v_lshlrev_b32_e32 v40, 29, v38
	;; [unrolled: 1-line block ×4, first 2 shown]
	v_add_co_u32 v37, s15, v37, -1
	s_wait_alu 0xf1ff
	v_cndmask_b32_e64 v42, 0, 1, s15
	v_not_b32_e32 v197, v39
	v_cmp_gt_i32_e64 s15, 0, v39
	v_not_b32_e32 v39, v40
	v_lshlrev_b32_e32 v195, 26, v38
	v_cmp_ne_u32_e32 vcc_lo, 0, v42
	v_ashrrev_i32_e32 v197, 31, v197
	v_lshlrev_b32_e32 v196, 25, v38
	v_ashrrev_i32_e32 v39, 31, v39
	v_lshlrev_b32_e32 v42, 24, v38
	s_wait_alu 0xfffd
	v_xor_b32_e32 v37, vcc_lo, v37
	v_cmp_gt_i32_e32 vcc_lo, 0, v40
	v_not_b32_e32 v40, v41
	s_wait_alu 0xf1ff
	v_xor_b32_e32 v197, s15, v197
	v_cmp_gt_i32_e64 s15, 0, v41
	v_and_b32_e32 v37, exec_lo, v37
	v_not_b32_e32 v41, v43
	v_ashrrev_i32_e32 v40, 31, v40
	s_wait_alu 0xfffd
	v_xor_b32_e32 v39, vcc_lo, v39
	v_cmp_gt_i32_e32 vcc_lo, 0, v43
	v_and_b32_e32 v37, v37, v197
	v_not_b32_e32 v43, v195
	v_ashrrev_i32_e32 v41, 31, v41
	s_wait_alu 0xf1ff
	v_xor_b32_e32 v40, s15, v40
	v_cmp_gt_i32_e64 s15, 0, v195
	v_and_b32_e32 v37, v37, v39
	v_not_b32_e32 v39, v196
	v_ashrrev_i32_e32 v43, 31, v43
	s_wait_alu 0xfffd
	v_xor_b32_e32 v41, vcc_lo, v41
	v_cmp_gt_i32_e32 vcc_lo, 0, v196
	v_and_b32_e32 v37, v37, v40
	v_not_b32_e32 v40, v42
	v_ashrrev_i32_e32 v39, 31, v39
	s_wait_alu 0xf1ff
	v_xor_b32_e32 v43, s15, v43
	v_cmp_gt_i32_e64 s15, 0, v42
	v_and_b32_e32 v37, v37, v41
	v_ashrrev_i32_e32 v40, 31, v40
	s_wait_alu 0xfffd
	v_xor_b32_e32 v39, vcc_lo, v39
	v_mad_u32_u24 v41, v38, 36, v118
	v_mul_u32_u24_e32 v38, 36, v38
	v_and_b32_e32 v37, v37, v43
	s_wait_alu 0xf1ff
	v_xor_b32_e32 v40, s15, v40
	ds_load_b32 v196, v41 offset:1056
	v_add_nc_u32_e32 v198, v118, v38
	v_and_b32_e32 v37, v37, v39
	; wave barrier
	s_delay_alu instid0(VALU_DEP_1) | instskip(NEXT) | instid1(VALU_DEP_1)
	v_and_b32_e32 v37, v37, v40
	v_mbcnt_lo_u32_b32 v197, v37, 0
	v_cmp_ne_u32_e64 s15, 0, v37
	s_delay_alu instid0(VALU_DEP_2)
	v_cmp_eq_u32_e32 vcc_lo, 0, v197
	s_and_b32 s16, s15, vcc_lo
	s_wait_alu 0xfffe
	s_and_saveexec_b32 s15, s16
	s_cbranch_execz .LBB1463_459
; %bb.458:                              ;   in Loop: Header=BB1463_393 Depth=2
	s_wait_dscnt 0x0
	v_bcnt_u32_b32 v37, v37, v196
	ds_store_b32 v198, v37 offset:1056
.LBB1463_459:                           ;   in Loop: Header=BB1463_393 Depth=2
	s_wait_alu 0xfffe
	s_or_b32 exec_lo, exec_lo, s15
	v_cmp_lt_i32_e32 vcc_lo, -1, v36
	; wave barrier
	s_wait_alu 0xfffd
	v_cndmask_b32_e64 v37, -1, 0x80000000, vcc_lo
	s_delay_alu instid0(VALU_DEP_1) | instskip(NEXT) | instid1(VALU_DEP_1)
	v_xor_b32_e32 v195, v37, v36
	v_cmp_ne_u32_e32 vcc_lo, 0x7fffffff, v195
	s_wait_alu 0xfffd
	v_cndmask_b32_e32 v36, 0x80000000, v195, vcc_lo
	s_delay_alu instid0(VALU_DEP_1) | instskip(NEXT) | instid1(VALU_DEP_1)
	v_lshrrev_b32_e32 v36, s31, v36
	v_and_b32_e32 v37, s48, v36
	s_delay_alu instid0(VALU_DEP_1)
	v_and_b32_e32 v36, 1, v37
	v_lshlrev_b32_e32 v38, 30, v37
	v_lshlrev_b32_e32 v39, 29, v37
	;; [unrolled: 1-line block ×4, first 2 shown]
	v_add_co_u32 v36, s15, v36, -1
	s_wait_alu 0xf1ff
	v_cndmask_b32_e64 v41, 0, 1, s15
	v_not_b32_e32 v200, v38
	v_cmp_gt_i32_e64 s15, 0, v38
	v_not_b32_e32 v38, v39
	v_lshlrev_b32_e32 v43, 26, v37
	v_cmp_ne_u32_e32 vcc_lo, 0, v41
	v_ashrrev_i32_e32 v200, 31, v200
	v_lshlrev_b32_e32 v199, 25, v37
	v_ashrrev_i32_e32 v38, 31, v38
	v_lshlrev_b32_e32 v41, 24, v37
	s_wait_alu 0xfffd
	v_xor_b32_e32 v36, vcc_lo, v36
	v_cmp_gt_i32_e32 vcc_lo, 0, v39
	v_not_b32_e32 v39, v40
	s_wait_alu 0xf1ff
	v_xor_b32_e32 v200, s15, v200
	v_cmp_gt_i32_e64 s15, 0, v40
	v_and_b32_e32 v36, exec_lo, v36
	v_not_b32_e32 v40, v42
	v_ashrrev_i32_e32 v39, 31, v39
	s_wait_alu 0xfffd
	v_xor_b32_e32 v38, vcc_lo, v38
	v_cmp_gt_i32_e32 vcc_lo, 0, v42
	v_and_b32_e32 v36, v36, v200
	v_not_b32_e32 v42, v43
	v_ashrrev_i32_e32 v40, 31, v40
	s_wait_alu 0xf1ff
	v_xor_b32_e32 v39, s15, v39
	v_cmp_gt_i32_e64 s15, 0, v43
	v_and_b32_e32 v36, v36, v38
	v_not_b32_e32 v38, v199
	v_ashrrev_i32_e32 v42, 31, v42
	s_wait_alu 0xfffd
	v_xor_b32_e32 v40, vcc_lo, v40
	v_cmp_gt_i32_e32 vcc_lo, 0, v199
	v_and_b32_e32 v36, v36, v39
	v_not_b32_e32 v39, v41
	v_ashrrev_i32_e32 v38, 31, v38
	s_wait_alu 0xf1ff
	v_xor_b32_e32 v42, s15, v42
	v_cmp_gt_i32_e64 s15, 0, v41
	v_and_b32_e32 v36, v36, v40
	v_ashrrev_i32_e32 v39, 31, v39
	s_wait_alu 0xfffd
	v_xor_b32_e32 v38, vcc_lo, v38
	v_mad_u32_u24 v40, v37, 36, v118
	v_mul_u32_u24_e32 v37, 36, v37
	v_and_b32_e32 v36, v36, v42
	s_wait_alu 0xf1ff
	v_xor_b32_e32 v39, s15, v39
	ds_load_b32 v199, v40 offset:1056
	v_add_nc_u32_e32 v201, v118, v37
	v_and_b32_e32 v36, v36, v38
	; wave barrier
	s_delay_alu instid0(VALU_DEP_1) | instskip(NEXT) | instid1(VALU_DEP_1)
	v_and_b32_e32 v36, v36, v39
	v_mbcnt_lo_u32_b32 v200, v36, 0
	v_cmp_ne_u32_e64 s15, 0, v36
	s_delay_alu instid0(VALU_DEP_2)
	v_cmp_eq_u32_e32 vcc_lo, 0, v200
	s_and_b32 s16, s15, vcc_lo
	s_wait_alu 0xfffe
	s_and_saveexec_b32 s15, s16
	s_cbranch_execz .LBB1463_461
; %bb.460:                              ;   in Loop: Header=BB1463_393 Depth=2
	s_wait_dscnt 0x0
	v_bcnt_u32_b32 v36, v36, v199
	ds_store_b32 v201, v36 offset:1056
.LBB1463_461:                           ;   in Loop: Header=BB1463_393 Depth=2
	s_wait_alu 0xfffe
	s_or_b32 exec_lo, exec_lo, s15
	; wave barrier
	s_wait_loadcnt_dscnt 0x0
	s_barrier_signal -1
	s_barrier_wait -1
	global_inv scope:SCOPE_SE
	ds_load_2addr_b32 v[42:43], v139 offset1:1
	ds_load_2addr_b32 v[40:41], v140 offset1:1
	;; [unrolled: 1-line block ×4, first 2 shown]
	ds_load_b32 v202, v67 offset:1088
	s_wait_dscnt 0x3
	v_add3_u32 v203, v43, v42, v40
	s_wait_dscnt 0x2
	s_delay_alu instid0(VALU_DEP_1) | instskip(SKIP_1) | instid1(VALU_DEP_1)
	v_add3_u32 v203, v203, v41, v38
	s_wait_dscnt 0x1
	v_add3_u32 v203, v203, v39, v36
	s_wait_dscnt 0x0
	s_delay_alu instid0(VALU_DEP_1) | instskip(NEXT) | instid1(VALU_DEP_1)
	v_add3_u32 v202, v203, v37, v202
	v_mov_b32_dpp v203, v202 row_shr:1 row_mask:0xf bank_mask:0xf
	s_delay_alu instid0(VALU_DEP_1) | instskip(NEXT) | instid1(VALU_DEP_1)
	v_cndmask_b32_e64 v203, v203, 0, s0
	v_add_nc_u32_e32 v202, v203, v202
	s_delay_alu instid0(VALU_DEP_1) | instskip(NEXT) | instid1(VALU_DEP_1)
	v_mov_b32_dpp v203, v202 row_shr:2 row_mask:0xf bank_mask:0xf
	v_cndmask_b32_e64 v203, 0, v203, s1
	s_delay_alu instid0(VALU_DEP_1) | instskip(NEXT) | instid1(VALU_DEP_1)
	v_add_nc_u32_e32 v202, v202, v203
	v_mov_b32_dpp v203, v202 row_shr:4 row_mask:0xf bank_mask:0xf
	s_delay_alu instid0(VALU_DEP_1) | instskip(NEXT) | instid1(VALU_DEP_1)
	v_cndmask_b32_e64 v203, 0, v203, s9
	v_add_nc_u32_e32 v202, v202, v203
	s_delay_alu instid0(VALU_DEP_1) | instskip(NEXT) | instid1(VALU_DEP_1)
	v_mov_b32_dpp v203, v202 row_shr:8 row_mask:0xf bank_mask:0xf
	v_cndmask_b32_e64 v203, 0, v203, s10
	s_delay_alu instid0(VALU_DEP_1) | instskip(SKIP_3) | instid1(VALU_DEP_1)
	v_add_nc_u32_e32 v202, v202, v203
	ds_swizzle_b32 v203, v202 offset:swizzle(BROADCAST,32,15)
	s_wait_dscnt 0x0
	v_cndmask_b32_e64 v203, v203, 0, s11
	v_add_nc_u32_e32 v202, v202, v203
	s_and_saveexec_b32 s15, s3
; %bb.462:                              ;   in Loop: Header=BB1463_393 Depth=2
	ds_store_b32 v63, v202 offset:1024
; %bb.463:                              ;   in Loop: Header=BB1463_393 Depth=2
	s_wait_alu 0xfffe
	s_or_b32 exec_lo, exec_lo, s15
	s_wait_loadcnt_dscnt 0x0
	s_barrier_signal -1
	s_barrier_wait -1
	global_inv scope:SCOPE_SE
	s_and_saveexec_b32 s15, s4
	s_cbranch_execz .LBB1463_465
; %bb.464:                              ;   in Loop: Header=BB1463_393 Depth=2
	ds_load_b32 v203, v70 offset:1024
	s_wait_dscnt 0x0
	v_mov_b32_dpp v204, v203 row_shr:1 row_mask:0xf bank_mask:0xf
	s_delay_alu instid0(VALU_DEP_1) | instskip(NEXT) | instid1(VALU_DEP_1)
	v_cndmask_b32_e64 v204, v204, 0, s12
	v_add_nc_u32_e32 v203, v204, v203
	s_delay_alu instid0(VALU_DEP_1) | instskip(NEXT) | instid1(VALU_DEP_1)
	v_mov_b32_dpp v204, v203 row_shr:2 row_mask:0xf bank_mask:0xf
	v_cndmask_b32_e64 v204, 0, v204, s13
	s_delay_alu instid0(VALU_DEP_1) | instskip(NEXT) | instid1(VALU_DEP_1)
	v_add_nc_u32_e32 v203, v203, v204
	v_mov_b32_dpp v204, v203 row_shr:4 row_mask:0xf bank_mask:0xf
	s_delay_alu instid0(VALU_DEP_1) | instskip(NEXT) | instid1(VALU_DEP_1)
	v_cndmask_b32_e64 v204, 0, v204, s14
	v_add_nc_u32_e32 v203, v203, v204
	ds_store_b32 v70, v203 offset:1024
.LBB1463_465:                           ;   in Loop: Header=BB1463_393 Depth=2
	s_wait_alu 0xfffe
	s_or_b32 exec_lo, exec_lo, s15
	v_mov_b32_e32 v203, 0
	s_wait_loadcnt_dscnt 0x0
	s_barrier_signal -1
	s_barrier_wait -1
	global_inv scope:SCOPE_SE
	s_and_saveexec_b32 s15, s5
; %bb.466:                              ;   in Loop: Header=BB1463_393 Depth=2
	ds_load_b32 v203, v63 offset:1020
; %bb.467:                              ;   in Loop: Header=BB1463_393 Depth=2
	s_wait_alu 0xfffe
	s_or_b32 exec_lo, exec_lo, s15
	s_wait_dscnt 0x0
	v_add_nc_u32_e32 v202, v203, v202
	ds_bpermute_b32 v202, v113, v202
	s_wait_dscnt 0x0
	v_cndmask_b32_e64 v202, v202, v203, s8
	s_delay_alu instid0(VALU_DEP_1) | instskip(NEXT) | instid1(VALU_DEP_1)
	v_cndmask_b32_e64 v202, v202, 0, s6
	v_add_nc_u32_e32 v42, v202, v42
	s_delay_alu instid0(VALU_DEP_1) | instskip(NEXT) | instid1(VALU_DEP_1)
	v_add_nc_u32_e32 v43, v42, v43
	v_add_nc_u32_e32 v40, v43, v40
	s_delay_alu instid0(VALU_DEP_1) | instskip(NEXT) | instid1(VALU_DEP_1)
	v_add_nc_u32_e32 v41, v40, v41
	;; [unrolled: 3-line block ×3, first 2 shown]
	v_add_nc_u32_e32 v36, v39, v36
	s_delay_alu instid0(VALU_DEP_1)
	v_add_nc_u32_e32 v37, v36, v37
	ds_store_2addr_b32 v138, v39, v36 offset1:1
	ds_store_2addr_b32 v139, v202, v42 offset1:1
	;; [unrolled: 1-line block ×4, first 2 shown]
	ds_store_b32 v67, v37 offset:1088
	s_wait_loadcnt_dscnt 0x0
	s_barrier_signal -1
	s_barrier_wait -1
	global_inv scope:SCOPE_SE
	ds_load_b32 v39, v142 offset:1056
	ds_load_b32 v41, v146 offset:1056
	;; [unrolled: 1-line block ×17, first 2 shown]
	v_mov_b32_e32 v38, 0x1000
	s_and_saveexec_b32 s15, s7
; %bb.468:                              ;   in Loop: Header=BB1463_393 Depth=2
	ds_load_b32 v38, v67 offset:1092
; %bb.469:                              ;   in Loop: Header=BB1463_393 Depth=2
	s_wait_alu 0xfffe
	s_or_b32 exec_lo, exec_lo, s15
	s_wait_loadcnt_dscnt 0x0
	s_barrier_signal -1
	s_barrier_wait -1
	global_inv scope:SCOPE_SE
	s_and_saveexec_b32 s15, s2
	s_cbranch_execz .LBB1463_471
; %bb.470:                              ;   in Loop: Header=BB1463_393 Depth=2
	ds_load_b32 v142, v44
	s_wait_dscnt 0x0
	v_sub_nc_u32_e32 v141, v142, v141
	ds_store_b32 v44, v141
.LBB1463_471:                           ;   in Loop: Header=BB1463_393 Depth=2
	s_wait_alu 0xfffe
	s_or_b32 exec_lo, exec_lo, s15
	v_add_nc_u32_e32 v154, v39, v137
	v_add3_u32 v150, v145, v144, v41
	v_add3_u32 v146, v149, v148, v42
	;; [unrolled: 1-line block ×4, first 2 shown]
	v_lshlrev_b32_e32 v148, 2, v154
	v_add3_u32 v142, v161, v160, v139
	v_add3_u32 v141, v165, v164, v140
	;; [unrolled: 1-line block ×4, first 2 shown]
	ds_store_b32 v148, v2 offset:1024
	v_lshlrev_b32_e32 v2, 2, v150
	v_lshlrev_b32_e32 v36, 2, v146
	v_add3_u32 v139, v173, v172, v167
	v_add3_u32 v42, v193, v192, v37
	v_lshlrev_b32_e32 v37, 2, v145
	v_add3_u32 v138, v177, v176, v170
	v_lshlrev_b32_e32 v148, 2, v144
	v_add3_u32 v137, v181, v180, v174
	v_lshlrev_b32_e32 v149, 2, v142
	v_add3_u32 v39, v185, v184, v178
	ds_store_b32 v2, v136 offset:1024
	ds_store_b32 v36, v143 offset:1024
	;; [unrolled: 1-line block ×5, first 2 shown]
	v_lshlrev_b32_e32 v2, 2, v141
	v_lshlrev_b32_e32 v36, 2, v140
	;; [unrolled: 1-line block ×3, first 2 shown]
	v_add3_u32 v41, v197, v196, v40
	v_lshlrev_b32_e32 v136, 2, v138
	v_add3_u32 v40, v200, v199, v158
	v_lshlrev_b32_e32 v143, 2, v137
	ds_store_b32 v2, v159 offset:1024
	ds_store_b32 v36, v163 offset:1024
	;; [unrolled: 1-line block ×5, first 2 shown]
	v_lshlrev_b32_e32 v2, 2, v39
	v_cmp_lt_u32_e32 vcc_lo, v1, v135
	v_lshlrev_b32_e32 v36, 2, v43
	v_lshlrev_b32_e32 v37, 2, v42
	;; [unrolled: 1-line block ×4, first 2 shown]
	ds_store_b32 v2, v179 offset:1024
	ds_store_b32 v36, v183 offset:1024
	;; [unrolled: 1-line block ×5, first 2 shown]
	s_wait_loadcnt_dscnt 0x0
	s_barrier_signal -1
	s_barrier_wait -1
	global_inv scope:SCOPE_SE
	s_and_saveexec_b32 s16, vcc_lo
	s_cbranch_execnz .LBB1463_540
; %bb.472:                              ;   in Loop: Header=BB1463_393 Depth=2
	s_wait_alu 0xfffe
	s_or_b32 exec_lo, exec_lo, s16
	v_cmp_lt_u32_e64 s15, v45, v135
	s_and_saveexec_b32 s17, s15
	s_cbranch_execnz .LBB1463_541
.LBB1463_473:                           ;   in Loop: Header=BB1463_393 Depth=2
	s_wait_alu 0xfffe
	s_or_b32 exec_lo, exec_lo, s17
	v_cmp_lt_u32_e64 s16, v46, v135
	s_and_saveexec_b32 s18, s16
	s_cbranch_execnz .LBB1463_542
.LBB1463_474:                           ;   in Loop: Header=BB1463_393 Depth=2
	s_wait_alu 0xfffe
	s_or_b32 exec_lo, exec_lo, s18
	v_cmp_lt_u32_e64 s17, v47, v135
	s_and_saveexec_b32 s19, s17
	s_cbranch_execnz .LBB1463_543
.LBB1463_475:                           ;   in Loop: Header=BB1463_393 Depth=2
	s_wait_alu 0xfffe
	s_or_b32 exec_lo, exec_lo, s19
	v_cmp_lt_u32_e64 s18, v50, v135
	s_and_saveexec_b32 s20, s18
	s_cbranch_execnz .LBB1463_544
.LBB1463_476:                           ;   in Loop: Header=BB1463_393 Depth=2
	s_wait_alu 0xfffe
	s_or_b32 exec_lo, exec_lo, s20
	v_cmp_lt_u32_e64 s19, v51, v135
	s_and_saveexec_b32 s21, s19
	s_cbranch_execnz .LBB1463_545
.LBB1463_477:                           ;   in Loop: Header=BB1463_393 Depth=2
	s_wait_alu 0xfffe
	s_or_b32 exec_lo, exec_lo, s21
	v_cmp_lt_u32_e64 s20, v52, v135
	s_and_saveexec_b32 s22, s20
	s_cbranch_execnz .LBB1463_546
.LBB1463_478:                           ;   in Loop: Header=BB1463_393 Depth=2
	s_wait_alu 0xfffe
	s_or_b32 exec_lo, exec_lo, s22
	v_cmp_lt_u32_e64 s21, v53, v135
	s_and_saveexec_b32 s23, s21
	s_cbranch_execnz .LBB1463_547
.LBB1463_479:                           ;   in Loop: Header=BB1463_393 Depth=2
	s_wait_alu 0xfffe
	s_or_b32 exec_lo, exec_lo, s23
	v_cmp_lt_u32_e64 s22, v54, v135
	s_and_saveexec_b32 s24, s22
	s_cbranch_execnz .LBB1463_548
.LBB1463_480:                           ;   in Loop: Header=BB1463_393 Depth=2
	s_wait_alu 0xfffe
	s_or_b32 exec_lo, exec_lo, s24
	v_cmp_lt_u32_e64 s23, v55, v135
	s_and_saveexec_b32 s25, s23
	s_cbranch_execnz .LBB1463_549
.LBB1463_481:                           ;   in Loop: Header=BB1463_393 Depth=2
	s_wait_alu 0xfffe
	s_or_b32 exec_lo, exec_lo, s25
	v_cmp_lt_u32_e64 s24, v56, v135
	s_and_saveexec_b32 s26, s24
	s_cbranch_execnz .LBB1463_550
.LBB1463_482:                           ;   in Loop: Header=BB1463_393 Depth=2
	s_wait_alu 0xfffe
	s_or_b32 exec_lo, exec_lo, s26
	v_cmp_lt_u32_e64 s25, v57, v135
	s_and_saveexec_b32 s27, s25
	s_cbranch_execnz .LBB1463_551
.LBB1463_483:                           ;   in Loop: Header=BB1463_393 Depth=2
	s_wait_alu 0xfffe
	s_or_b32 exec_lo, exec_lo, s27
	v_cmp_lt_u32_e64 s26, v58, v135
	s_and_saveexec_b32 s28, s26
	s_cbranch_execnz .LBB1463_552
.LBB1463_484:                           ;   in Loop: Header=BB1463_393 Depth=2
	s_wait_alu 0xfffe
	s_or_b32 exec_lo, exec_lo, s28
	v_cmp_lt_u32_e64 s27, v59, v135
	s_and_saveexec_b32 s29, s27
	s_cbranch_execnz .LBB1463_553
.LBB1463_485:                           ;   in Loop: Header=BB1463_393 Depth=2
	s_wait_alu 0xfffe
	s_or_b32 exec_lo, exec_lo, s29
	v_cmp_lt_u32_e64 s28, v60, v135
	s_and_saveexec_b32 s30, s28
	s_cbranch_execnz .LBB1463_554
.LBB1463_486:                           ;   in Loop: Header=BB1463_393 Depth=2
	s_wait_alu 0xfffe
	s_or_b32 exec_lo, exec_lo, s30
	v_cmp_lt_u32_e64 s29, v61, v135
	s_and_saveexec_b32 s56, s29
	s_cbranch_execz .LBB1463_488
.LBB1463_487:                           ;   in Loop: Header=BB1463_393 Depth=2
	ds_load_b32 v136, v70 offset:16384
	s_wait_dscnt 0x0
	v_cmp_ne_u32_e64 s30, 0x7fffffff, v136
	s_wait_alu 0xf1ff
	s_delay_alu instid0(VALU_DEP_1) | instskip(SKIP_1) | instid1(VALU_DEP_2)
	v_cndmask_b32_e64 v2, 0x80000000, v136, s30
	v_cmp_lt_i32_e64 s30, -1, v136
	v_lshrrev_b32_e32 v2, s31, v2
	s_wait_alu 0xf1ff
	s_delay_alu instid0(VALU_DEP_2) | instskip(NEXT) | instid1(VALU_DEP_2)
	v_cndmask_b32_e64 v143, 0x80000000, -1, s30
	v_and_b32_e32 v2, s48, v2
	s_delay_alu instid0(VALU_DEP_1) | instskip(SKIP_3) | instid1(VALU_DEP_1)
	v_lshlrev_b32_e32 v2, 2, v2
	ds_load_b32 v2, v2
	s_wait_dscnt 0x0
	v_add_nc_u32_e32 v2, v2, v61
	v_lshlrev_b64_e32 v[36:37], 2, v[2:3]
	v_xor_b32_e32 v2, v143, v136
	s_delay_alu instid0(VALU_DEP_2) | instskip(SKIP_1) | instid1(VALU_DEP_3)
	v_add_co_u32 v36, s30, s40, v36
	s_wait_alu 0xf1ff
	v_add_co_ci_u32_e64 v37, null, s41, v37, s30
	global_store_b32 v[36:37], v2, off
.LBB1463_488:                           ;   in Loop: Header=BB1463_393 Depth=2
	s_wait_alu 0xfffe
	s_or_b32 exec_lo, exec_lo, s56
	s_lshl_b64 s[56:57], s[42:43], 3
	s_wait_alu 0xfffe
	v_add_co_u32 v36, s30, v114, s56
	s_wait_alu 0xf1ff
	v_add_co_ci_u32_e64 v37, null, s57, v115, s30
	v_cmp_lt_u32_e64 s30, v88, v135
	s_and_saveexec_b32 s42, s30
	s_wait_alu 0xfffe
	s_xor_b32 s30, exec_lo, s42
	s_cbranch_execnz .LBB1463_555
; %bb.489:                              ;   in Loop: Header=BB1463_393 Depth=2
	s_wait_alu 0xfffe
	s_or_b32 exec_lo, exec_lo, s30
	s_delay_alu instid0(SALU_CYCLE_1)
	s_mov_b32 s42, exec_lo
	v_cmpx_lt_u32_e64 v92, v135
	s_cbranch_execnz .LBB1463_556
.LBB1463_490:                           ;   in Loop: Header=BB1463_393 Depth=2
	s_wait_alu 0xfffe
	s_or_b32 exec_lo, exec_lo, s42
	s_delay_alu instid0(SALU_CYCLE_1)
	s_mov_b32 s42, exec_lo
	v_cmpx_lt_u32_e64 v93, v135
	s_cbranch_execnz .LBB1463_557
.LBB1463_491:                           ;   in Loop: Header=BB1463_393 Depth=2
	s_wait_alu 0xfffe
	s_or_b32 exec_lo, exec_lo, s42
	s_delay_alu instid0(SALU_CYCLE_1)
	s_mov_b32 s42, exec_lo
	v_cmpx_lt_u32_e64 v94, v135
	s_cbranch_execnz .LBB1463_558
.LBB1463_492:                           ;   in Loop: Header=BB1463_393 Depth=2
	s_wait_alu 0xfffe
	s_or_b32 exec_lo, exec_lo, s42
	s_delay_alu instid0(SALU_CYCLE_1)
	s_mov_b32 s42, exec_lo
	v_cmpx_lt_u32_e64 v95, v135
	s_cbranch_execnz .LBB1463_559
.LBB1463_493:                           ;   in Loop: Header=BB1463_393 Depth=2
	s_wait_alu 0xfffe
	s_or_b32 exec_lo, exec_lo, s42
	s_delay_alu instid0(SALU_CYCLE_1)
	s_mov_b32 s42, exec_lo
	v_cmpx_lt_u32_e64 v96, v135
	s_cbranch_execnz .LBB1463_560
.LBB1463_494:                           ;   in Loop: Header=BB1463_393 Depth=2
	s_wait_alu 0xfffe
	s_or_b32 exec_lo, exec_lo, s42
	s_delay_alu instid0(SALU_CYCLE_1)
	s_mov_b32 s42, exec_lo
	v_cmpx_lt_u32_e64 v97, v135
	s_cbranch_execnz .LBB1463_561
.LBB1463_495:                           ;   in Loop: Header=BB1463_393 Depth=2
	s_wait_alu 0xfffe
	s_or_b32 exec_lo, exec_lo, s42
	s_delay_alu instid0(SALU_CYCLE_1)
	s_mov_b32 s42, exec_lo
	v_cmpx_lt_u32_e64 v98, v135
	s_cbranch_execnz .LBB1463_562
.LBB1463_496:                           ;   in Loop: Header=BB1463_393 Depth=2
	s_wait_alu 0xfffe
	s_or_b32 exec_lo, exec_lo, s42
	s_delay_alu instid0(SALU_CYCLE_1)
	s_mov_b32 s42, exec_lo
	v_cmpx_lt_u32_e64 v99, v135
	s_cbranch_execnz .LBB1463_563
.LBB1463_497:                           ;   in Loop: Header=BB1463_393 Depth=2
	s_wait_alu 0xfffe
	s_or_b32 exec_lo, exec_lo, s42
	s_delay_alu instid0(SALU_CYCLE_1)
	s_mov_b32 s42, exec_lo
	v_cmpx_lt_u32_e64 v100, v135
	s_cbranch_execnz .LBB1463_564
.LBB1463_498:                           ;   in Loop: Header=BB1463_393 Depth=2
	s_wait_alu 0xfffe
	s_or_b32 exec_lo, exec_lo, s42
	s_delay_alu instid0(SALU_CYCLE_1)
	s_mov_b32 s42, exec_lo
	v_cmpx_lt_u32_e64 v101, v135
	s_cbranch_execnz .LBB1463_565
.LBB1463_499:                           ;   in Loop: Header=BB1463_393 Depth=2
	s_wait_alu 0xfffe
	s_or_b32 exec_lo, exec_lo, s42
	s_delay_alu instid0(SALU_CYCLE_1)
	s_mov_b32 s42, exec_lo
	v_cmpx_lt_u32_e64 v102, v135
	s_cbranch_execnz .LBB1463_566
.LBB1463_500:                           ;   in Loop: Header=BB1463_393 Depth=2
	s_wait_alu 0xfffe
	s_or_b32 exec_lo, exec_lo, s42
	s_delay_alu instid0(SALU_CYCLE_1)
	s_mov_b32 s42, exec_lo
	v_cmpx_lt_u32_e64 v103, v135
	s_cbranch_execnz .LBB1463_567
.LBB1463_501:                           ;   in Loop: Header=BB1463_393 Depth=2
	s_wait_alu 0xfffe
	s_or_b32 exec_lo, exec_lo, s42
	s_delay_alu instid0(SALU_CYCLE_1)
	s_mov_b32 s42, exec_lo
	v_cmpx_lt_u32_e64 v104, v135
	s_cbranch_execnz .LBB1463_568
.LBB1463_502:                           ;   in Loop: Header=BB1463_393 Depth=2
	s_wait_alu 0xfffe
	s_or_b32 exec_lo, exec_lo, s42
	s_delay_alu instid0(SALU_CYCLE_1)
	s_mov_b32 s42, exec_lo
	v_cmpx_lt_u32_e64 v105, v135
	s_cbranch_execnz .LBB1463_569
.LBB1463_503:                           ;   in Loop: Header=BB1463_393 Depth=2
	s_wait_alu 0xfffe
	s_or_b32 exec_lo, exec_lo, s42
	s_delay_alu instid0(SALU_CYCLE_1)
	s_mov_b32 s42, exec_lo
	v_cmpx_lt_u32_e64 v106, v135
	s_cbranch_execnz .LBB1463_570
.LBB1463_504:                           ;   in Loop: Header=BB1463_393 Depth=2
	s_wait_alu 0xfffe
	s_or_b32 exec_lo, exec_lo, s42
	s_and_saveexec_b32 s42, vcc_lo
	s_cbranch_execnz .LBB1463_571
.LBB1463_505:                           ;   in Loop: Header=BB1463_393 Depth=2
	s_wait_alu 0xfffe
	s_or_b32 exec_lo, exec_lo, s42
	s_and_saveexec_b32 s42, s15
	s_cbranch_execnz .LBB1463_572
.LBB1463_506:                           ;   in Loop: Header=BB1463_393 Depth=2
	s_wait_alu 0xfffe
	s_or_b32 exec_lo, exec_lo, s42
	s_and_saveexec_b32 s42, s16
	s_cbranch_execnz .LBB1463_573
.LBB1463_507:                           ;   in Loop: Header=BB1463_393 Depth=2
	s_wait_alu 0xfffe
	s_or_b32 exec_lo, exec_lo, s42
	s_and_saveexec_b32 s42, s17
	s_cbranch_execnz .LBB1463_574
.LBB1463_508:                           ;   in Loop: Header=BB1463_393 Depth=2
	s_wait_alu 0xfffe
	s_or_b32 exec_lo, exec_lo, s42
	s_and_saveexec_b32 s42, s18
	s_cbranch_execnz .LBB1463_575
.LBB1463_509:                           ;   in Loop: Header=BB1463_393 Depth=2
	s_wait_alu 0xfffe
	s_or_b32 exec_lo, exec_lo, s42
	s_and_saveexec_b32 s42, s19
	s_cbranch_execnz .LBB1463_576
.LBB1463_510:                           ;   in Loop: Header=BB1463_393 Depth=2
	s_wait_alu 0xfffe
	s_or_b32 exec_lo, exec_lo, s42
	s_and_saveexec_b32 s42, s20
	s_cbranch_execnz .LBB1463_577
.LBB1463_511:                           ;   in Loop: Header=BB1463_393 Depth=2
	s_wait_alu 0xfffe
	s_or_b32 exec_lo, exec_lo, s42
	s_and_saveexec_b32 s42, s21
	s_cbranch_execnz .LBB1463_578
.LBB1463_512:                           ;   in Loop: Header=BB1463_393 Depth=2
	s_wait_alu 0xfffe
	s_or_b32 exec_lo, exec_lo, s42
	s_and_saveexec_b32 s42, s22
	s_cbranch_execnz .LBB1463_579
.LBB1463_513:                           ;   in Loop: Header=BB1463_393 Depth=2
	s_wait_alu 0xfffe
	s_or_b32 exec_lo, exec_lo, s42
	s_and_saveexec_b32 s42, s23
	s_cbranch_execnz .LBB1463_580
.LBB1463_514:                           ;   in Loop: Header=BB1463_393 Depth=2
	s_wait_alu 0xfffe
	s_or_b32 exec_lo, exec_lo, s42
	s_and_saveexec_b32 s42, s24
	s_cbranch_execnz .LBB1463_581
.LBB1463_515:                           ;   in Loop: Header=BB1463_393 Depth=2
	s_wait_alu 0xfffe
	s_or_b32 exec_lo, exec_lo, s42
	s_and_saveexec_b32 s42, s25
	s_cbranch_execnz .LBB1463_582
.LBB1463_516:                           ;   in Loop: Header=BB1463_393 Depth=2
	s_wait_alu 0xfffe
	s_or_b32 exec_lo, exec_lo, s42
	s_and_saveexec_b32 s42, s26
	s_cbranch_execnz .LBB1463_583
.LBB1463_517:                           ;   in Loop: Header=BB1463_393 Depth=2
	s_wait_alu 0xfffe
	s_or_b32 exec_lo, exec_lo, s42
	s_and_saveexec_b32 s42, s27
	s_cbranch_execnz .LBB1463_584
.LBB1463_518:                           ;   in Loop: Header=BB1463_393 Depth=2
	s_wait_alu 0xfffe
	s_or_b32 exec_lo, exec_lo, s42
	s_and_saveexec_b32 s42, s28
	s_cbranch_execnz .LBB1463_585
.LBB1463_519:                           ;   in Loop: Header=BB1463_393 Depth=2
	s_wait_alu 0xfffe
	s_or_b32 exec_lo, exec_lo, s42
	s_and_saveexec_b32 s42, s29
	s_cbranch_execz .LBB1463_521
.LBB1463_520:                           ;   in Loop: Header=BB1463_393 Depth=2
	ds_load_b32 v2, v70 offset:16384
	s_wait_dscnt 0x0
	v_cmp_ne_u32_e64 s30, 0x7fffffff, v2
	s_wait_alu 0xf1ff
	s_delay_alu instid0(VALU_DEP_1) | instskip(NEXT) | instid1(VALU_DEP_1)
	v_cndmask_b32_e64 v2, 0x80000000, v2, s30
	v_lshrrev_b32_e32 v2, s31, v2
	s_delay_alu instid0(VALU_DEP_1)
	v_and_b32_e32 v119, s48, v2
.LBB1463_521:                           ;   in Loop: Header=BB1463_393 Depth=2
	s_wait_alu 0xfffe
	s_or_b32 exec_lo, exec_lo, s42
	v_lshlrev_b32_e32 v2, 3, v154
	s_wait_loadcnt 0x0
	s_wait_storecnt 0x0
	s_barrier_signal -1
	s_barrier_wait -1
	global_inv scope:SCOPE_SE
	ds_store_b64 v2, v[34:35] offset:1024
	v_lshlrev_b32_e32 v2, 3, v150
	v_lshlrev_b32_e32 v36, 3, v146
	v_lshlrev_b32_e32 v37, 3, v145
	v_lshlrev_b32_e32 v135, 3, v144
	v_lshlrev_b32_e32 v136, 3, v142
	ds_store_b64 v2, v[32:33] offset:1024
	ds_store_b64 v36, v[30:31] offset:1024
	ds_store_b64 v37, v[28:29] offset:1024
	ds_store_b64 v135, v[26:27] offset:1024
	ds_store_b64 v136, v[24:25] offset:1024
	v_lshlrev_b32_e32 v2, 3, v141
	v_lshlrev_b32_e32 v36, 3, v140
	v_lshlrev_b32_e32 v37, 3, v139
	v_lshlrev_b32_e32 v135, 3, v138
	v_lshlrev_b32_e32 v136, 3, v137
	ds_store_b64 v2, v[22:23] offset:1024
	ds_store_b64 v36, v[20:21] offset:1024
	ds_store_b64 v37, v[18:19] offset:1024
	ds_store_b64 v135, v[16:17] offset:1024
	;; [unrolled: 10-line block ×3, first 2 shown]
	ds_store_b64 v40, v[4:5] offset:1024
	s_wait_loadcnt_dscnt 0x0
	s_barrier_signal -1
	s_barrier_wait -1
	global_inv scope:SCOPE_SE
	s_and_saveexec_b32 s30, vcc_lo
	s_cbranch_execnz .LBB1463_586
; %bb.522:                              ;   in Loop: Header=BB1463_393 Depth=2
	s_wait_alu 0xfffe
	s_or_b32 exec_lo, exec_lo, s30
	s_and_saveexec_b32 s30, s15
	s_cbranch_execnz .LBB1463_587
.LBB1463_523:                           ;   in Loop: Header=BB1463_393 Depth=2
	s_wait_alu 0xfffe
	s_or_b32 exec_lo, exec_lo, s30
	s_and_saveexec_b32 s15, s16
	s_cbranch_execnz .LBB1463_588
.LBB1463_524:                           ;   in Loop: Header=BB1463_393 Depth=2
	s_wait_alu 0xfffe
	s_or_b32 exec_lo, exec_lo, s15
	s_and_saveexec_b32 s15, s17
	s_cbranch_execnz .LBB1463_589
.LBB1463_525:                           ;   in Loop: Header=BB1463_393 Depth=2
	s_wait_alu 0xfffe
	s_or_b32 exec_lo, exec_lo, s15
	s_and_saveexec_b32 s15, s18
	s_cbranch_execnz .LBB1463_590
.LBB1463_526:                           ;   in Loop: Header=BB1463_393 Depth=2
	s_wait_alu 0xfffe
	s_or_b32 exec_lo, exec_lo, s15
	s_and_saveexec_b32 s15, s19
	s_cbranch_execnz .LBB1463_591
.LBB1463_527:                           ;   in Loop: Header=BB1463_393 Depth=2
	s_wait_alu 0xfffe
	s_or_b32 exec_lo, exec_lo, s15
	s_and_saveexec_b32 s15, s20
	s_cbranch_execnz .LBB1463_592
.LBB1463_528:                           ;   in Loop: Header=BB1463_393 Depth=2
	s_wait_alu 0xfffe
	s_or_b32 exec_lo, exec_lo, s15
	s_and_saveexec_b32 s15, s21
	s_cbranch_execnz .LBB1463_593
.LBB1463_529:                           ;   in Loop: Header=BB1463_393 Depth=2
	s_wait_alu 0xfffe
	s_or_b32 exec_lo, exec_lo, s15
	s_and_saveexec_b32 s15, s22
	s_cbranch_execnz .LBB1463_594
.LBB1463_530:                           ;   in Loop: Header=BB1463_393 Depth=2
	s_wait_alu 0xfffe
	s_or_b32 exec_lo, exec_lo, s15
	s_and_saveexec_b32 s15, s23
	s_cbranch_execnz .LBB1463_595
.LBB1463_531:                           ;   in Loop: Header=BB1463_393 Depth=2
	s_wait_alu 0xfffe
	s_or_b32 exec_lo, exec_lo, s15
	s_and_saveexec_b32 s15, s24
	s_cbranch_execnz .LBB1463_596
.LBB1463_532:                           ;   in Loop: Header=BB1463_393 Depth=2
	s_wait_alu 0xfffe
	s_or_b32 exec_lo, exec_lo, s15
	s_and_saveexec_b32 s15, s25
	s_cbranch_execnz .LBB1463_597
.LBB1463_533:                           ;   in Loop: Header=BB1463_393 Depth=2
	s_wait_alu 0xfffe
	s_or_b32 exec_lo, exec_lo, s15
	s_and_saveexec_b32 s15, s26
	s_cbranch_execnz .LBB1463_598
.LBB1463_534:                           ;   in Loop: Header=BB1463_393 Depth=2
	s_wait_alu 0xfffe
	s_or_b32 exec_lo, exec_lo, s15
	s_and_saveexec_b32 s15, s27
	s_cbranch_execnz .LBB1463_599
.LBB1463_535:                           ;   in Loop: Header=BB1463_393 Depth=2
	s_wait_alu 0xfffe
	s_or_b32 exec_lo, exec_lo, s15
	s_and_saveexec_b32 s15, s28
	s_cbranch_execnz .LBB1463_600
.LBB1463_536:                           ;   in Loop: Header=BB1463_393 Depth=2
	s_wait_alu 0xfffe
	s_or_b32 exec_lo, exec_lo, s15
	s_and_saveexec_b32 s15, s29
	s_cbranch_execz .LBB1463_538
.LBB1463_537:                           ;   in Loop: Header=BB1463_393 Depth=2
	v_lshlrev_b32_e32 v2, 2, v119
	v_add_nc_u32_e32 v36, v70, v44
	ds_load_b32 v2, v2
	ds_load_b64 v[36:37], v36 offset:31744
	s_wait_dscnt 0x1
	v_add_nc_u32_e32 v2, v2, v61
	s_delay_alu instid0(VALU_DEP_1) | instskip(NEXT) | instid1(VALU_DEP_1)
	v_lshlrev_b64_e32 v[39:40], 3, v[2:3]
	v_add_co_u32 v39, vcc_lo, s46, v39
	s_wait_alu 0xfffd
	s_delay_alu instid0(VALU_DEP_2)
	v_add_co_ci_u32_e64 v40, null, s47, v40, vcc_lo
	s_wait_dscnt 0x0
	global_store_b64 v[39:40], v[36:37], off
.LBB1463_538:                           ;   in Loop: Header=BB1463_393 Depth=2
	s_wait_alu 0xfffe
	s_or_b32 exec_lo, exec_lo, s15
	s_wait_loadcnt 0x0
	s_wait_storecnt 0x0
	s_barrier_signal -1
	s_barrier_wait -1
	global_inv scope:SCOPE_SE
	s_and_saveexec_b32 s15, s2
	s_cbranch_execz .LBB1463_392
; %bb.539:                              ;   in Loop: Header=BB1463_393 Depth=2
	ds_load_b32 v2, v44
	s_wait_dscnt 0x0
	v_add_nc_u32_e32 v2, v2, v38
	ds_store_b32 v44, v2
	s_branch .LBB1463_392
.LBB1463_540:                           ;   in Loop: Header=BB1463_393 Depth=2
	ds_load_b32 v136, v70 offset:1024
	s_wait_dscnt 0x0
	v_cmp_ne_u32_e64 s15, 0x7fffffff, v136
	s_wait_alu 0xf1ff
	s_delay_alu instid0(VALU_DEP_1) | instskip(SKIP_1) | instid1(VALU_DEP_2)
	v_cndmask_b32_e64 v2, 0x80000000, v136, s15
	v_cmp_lt_i32_e64 s15, -1, v136
	v_lshrrev_b32_e32 v2, s31, v2
	s_wait_alu 0xf1ff
	s_delay_alu instid0(VALU_DEP_2) | instskip(NEXT) | instid1(VALU_DEP_2)
	v_cndmask_b32_e64 v143, 0x80000000, -1, s15
	v_and_b32_e32 v2, s48, v2
	s_delay_alu instid0(VALU_DEP_1) | instskip(SKIP_3) | instid1(VALU_DEP_1)
	v_lshlrev_b32_e32 v2, 2, v2
	ds_load_b32 v2, v2
	s_wait_dscnt 0x0
	v_add_nc_u32_e32 v2, v2, v1
	v_lshlrev_b64_e32 v[36:37], 2, v[2:3]
	v_xor_b32_e32 v2, v143, v136
	s_delay_alu instid0(VALU_DEP_2) | instskip(SKIP_1) | instid1(VALU_DEP_3)
	v_add_co_u32 v36, s15, s40, v36
	s_wait_alu 0xf1ff
	v_add_co_ci_u32_e64 v37, null, s41, v37, s15
	global_store_b32 v[36:37], v2, off
	s_wait_alu 0xfffe
	s_or_b32 exec_lo, exec_lo, s16
	v_cmp_lt_u32_e64 s15, v45, v135
	s_and_saveexec_b32 s17, s15
	s_cbranch_execz .LBB1463_473
.LBB1463_541:                           ;   in Loop: Header=BB1463_393 Depth=2
	ds_load_b32 v136, v70 offset:2048
	s_wait_dscnt 0x0
	v_cmp_ne_u32_e64 s16, 0x7fffffff, v136
	s_wait_alu 0xf1ff
	s_delay_alu instid0(VALU_DEP_1) | instskip(SKIP_1) | instid1(VALU_DEP_2)
	v_cndmask_b32_e64 v2, 0x80000000, v136, s16
	v_cmp_lt_i32_e64 s16, -1, v136
	v_lshrrev_b32_e32 v2, s31, v2
	s_wait_alu 0xf1ff
	s_delay_alu instid0(VALU_DEP_2) | instskip(NEXT) | instid1(VALU_DEP_2)
	v_cndmask_b32_e64 v143, 0x80000000, -1, s16
	v_and_b32_e32 v2, s48, v2
	s_delay_alu instid0(VALU_DEP_1) | instskip(SKIP_3) | instid1(VALU_DEP_1)
	v_lshlrev_b32_e32 v2, 2, v2
	ds_load_b32 v2, v2
	s_wait_dscnt 0x0
	v_add_nc_u32_e32 v2, v2, v45
	v_lshlrev_b64_e32 v[36:37], 2, v[2:3]
	v_xor_b32_e32 v2, v143, v136
	s_delay_alu instid0(VALU_DEP_2) | instskip(SKIP_1) | instid1(VALU_DEP_3)
	v_add_co_u32 v36, s16, s40, v36
	s_wait_alu 0xf1ff
	v_add_co_ci_u32_e64 v37, null, s41, v37, s16
	global_store_b32 v[36:37], v2, off
	s_wait_alu 0xfffe
	s_or_b32 exec_lo, exec_lo, s17
	v_cmp_lt_u32_e64 s16, v46, v135
	s_and_saveexec_b32 s18, s16
	s_cbranch_execz .LBB1463_474
.LBB1463_542:                           ;   in Loop: Header=BB1463_393 Depth=2
	ds_load_b32 v136, v70 offset:3072
	s_wait_dscnt 0x0
	v_cmp_ne_u32_e64 s17, 0x7fffffff, v136
	s_wait_alu 0xf1ff
	s_delay_alu instid0(VALU_DEP_1) | instskip(SKIP_1) | instid1(VALU_DEP_2)
	v_cndmask_b32_e64 v2, 0x80000000, v136, s17
	v_cmp_lt_i32_e64 s17, -1, v136
	v_lshrrev_b32_e32 v2, s31, v2
	s_wait_alu 0xf1ff
	s_delay_alu instid0(VALU_DEP_2) | instskip(NEXT) | instid1(VALU_DEP_2)
	v_cndmask_b32_e64 v143, 0x80000000, -1, s17
	v_and_b32_e32 v2, s48, v2
	s_delay_alu instid0(VALU_DEP_1) | instskip(SKIP_3) | instid1(VALU_DEP_1)
	v_lshlrev_b32_e32 v2, 2, v2
	ds_load_b32 v2, v2
	s_wait_dscnt 0x0
	v_add_nc_u32_e32 v2, v2, v46
	v_lshlrev_b64_e32 v[36:37], 2, v[2:3]
	v_xor_b32_e32 v2, v143, v136
	s_delay_alu instid0(VALU_DEP_2) | instskip(SKIP_1) | instid1(VALU_DEP_3)
	v_add_co_u32 v36, s17, s40, v36
	s_wait_alu 0xf1ff
	v_add_co_ci_u32_e64 v37, null, s41, v37, s17
	global_store_b32 v[36:37], v2, off
	s_wait_alu 0xfffe
	s_or_b32 exec_lo, exec_lo, s18
	v_cmp_lt_u32_e64 s17, v47, v135
	s_and_saveexec_b32 s19, s17
	s_cbranch_execz .LBB1463_475
.LBB1463_543:                           ;   in Loop: Header=BB1463_393 Depth=2
	ds_load_b32 v136, v70 offset:4096
	s_wait_dscnt 0x0
	v_cmp_ne_u32_e64 s18, 0x7fffffff, v136
	s_wait_alu 0xf1ff
	s_delay_alu instid0(VALU_DEP_1) | instskip(SKIP_1) | instid1(VALU_DEP_2)
	v_cndmask_b32_e64 v2, 0x80000000, v136, s18
	v_cmp_lt_i32_e64 s18, -1, v136
	v_lshrrev_b32_e32 v2, s31, v2
	s_wait_alu 0xf1ff
	s_delay_alu instid0(VALU_DEP_2) | instskip(NEXT) | instid1(VALU_DEP_2)
	v_cndmask_b32_e64 v143, 0x80000000, -1, s18
	v_and_b32_e32 v2, s48, v2
	s_delay_alu instid0(VALU_DEP_1) | instskip(SKIP_3) | instid1(VALU_DEP_1)
	v_lshlrev_b32_e32 v2, 2, v2
	ds_load_b32 v2, v2
	s_wait_dscnt 0x0
	v_add_nc_u32_e32 v2, v2, v47
	v_lshlrev_b64_e32 v[36:37], 2, v[2:3]
	v_xor_b32_e32 v2, v143, v136
	s_delay_alu instid0(VALU_DEP_2) | instskip(SKIP_1) | instid1(VALU_DEP_3)
	v_add_co_u32 v36, s18, s40, v36
	s_wait_alu 0xf1ff
	v_add_co_ci_u32_e64 v37, null, s41, v37, s18
	global_store_b32 v[36:37], v2, off
	s_wait_alu 0xfffe
	s_or_b32 exec_lo, exec_lo, s19
	v_cmp_lt_u32_e64 s18, v50, v135
	s_and_saveexec_b32 s20, s18
	s_cbranch_execz .LBB1463_476
.LBB1463_544:                           ;   in Loop: Header=BB1463_393 Depth=2
	ds_load_b32 v136, v70 offset:5120
	s_wait_dscnt 0x0
	v_cmp_ne_u32_e64 s19, 0x7fffffff, v136
	s_wait_alu 0xf1ff
	s_delay_alu instid0(VALU_DEP_1) | instskip(SKIP_1) | instid1(VALU_DEP_2)
	v_cndmask_b32_e64 v2, 0x80000000, v136, s19
	v_cmp_lt_i32_e64 s19, -1, v136
	v_lshrrev_b32_e32 v2, s31, v2
	s_wait_alu 0xf1ff
	s_delay_alu instid0(VALU_DEP_2) | instskip(NEXT) | instid1(VALU_DEP_2)
	v_cndmask_b32_e64 v143, 0x80000000, -1, s19
	v_and_b32_e32 v2, s48, v2
	s_delay_alu instid0(VALU_DEP_1) | instskip(SKIP_3) | instid1(VALU_DEP_1)
	v_lshlrev_b32_e32 v2, 2, v2
	ds_load_b32 v2, v2
	s_wait_dscnt 0x0
	v_add_nc_u32_e32 v2, v2, v50
	v_lshlrev_b64_e32 v[36:37], 2, v[2:3]
	v_xor_b32_e32 v2, v143, v136
	s_delay_alu instid0(VALU_DEP_2) | instskip(SKIP_1) | instid1(VALU_DEP_3)
	v_add_co_u32 v36, s19, s40, v36
	s_wait_alu 0xf1ff
	v_add_co_ci_u32_e64 v37, null, s41, v37, s19
	global_store_b32 v[36:37], v2, off
	s_wait_alu 0xfffe
	s_or_b32 exec_lo, exec_lo, s20
	v_cmp_lt_u32_e64 s19, v51, v135
	s_and_saveexec_b32 s21, s19
	s_cbranch_execz .LBB1463_477
.LBB1463_545:                           ;   in Loop: Header=BB1463_393 Depth=2
	ds_load_b32 v136, v70 offset:6144
	s_wait_dscnt 0x0
	v_cmp_ne_u32_e64 s20, 0x7fffffff, v136
	s_wait_alu 0xf1ff
	s_delay_alu instid0(VALU_DEP_1) | instskip(SKIP_1) | instid1(VALU_DEP_2)
	v_cndmask_b32_e64 v2, 0x80000000, v136, s20
	v_cmp_lt_i32_e64 s20, -1, v136
	v_lshrrev_b32_e32 v2, s31, v2
	s_wait_alu 0xf1ff
	s_delay_alu instid0(VALU_DEP_2) | instskip(NEXT) | instid1(VALU_DEP_2)
	v_cndmask_b32_e64 v143, 0x80000000, -1, s20
	v_and_b32_e32 v2, s48, v2
	s_delay_alu instid0(VALU_DEP_1) | instskip(SKIP_3) | instid1(VALU_DEP_1)
	v_lshlrev_b32_e32 v2, 2, v2
	ds_load_b32 v2, v2
	s_wait_dscnt 0x0
	v_add_nc_u32_e32 v2, v2, v51
	v_lshlrev_b64_e32 v[36:37], 2, v[2:3]
	v_xor_b32_e32 v2, v143, v136
	s_delay_alu instid0(VALU_DEP_2) | instskip(SKIP_1) | instid1(VALU_DEP_3)
	v_add_co_u32 v36, s20, s40, v36
	s_wait_alu 0xf1ff
	v_add_co_ci_u32_e64 v37, null, s41, v37, s20
	global_store_b32 v[36:37], v2, off
	s_wait_alu 0xfffe
	s_or_b32 exec_lo, exec_lo, s21
	v_cmp_lt_u32_e64 s20, v52, v135
	s_and_saveexec_b32 s22, s20
	s_cbranch_execz .LBB1463_478
.LBB1463_546:                           ;   in Loop: Header=BB1463_393 Depth=2
	ds_load_b32 v136, v70 offset:7168
	s_wait_dscnt 0x0
	v_cmp_ne_u32_e64 s21, 0x7fffffff, v136
	s_wait_alu 0xf1ff
	s_delay_alu instid0(VALU_DEP_1) | instskip(SKIP_1) | instid1(VALU_DEP_2)
	v_cndmask_b32_e64 v2, 0x80000000, v136, s21
	v_cmp_lt_i32_e64 s21, -1, v136
	v_lshrrev_b32_e32 v2, s31, v2
	s_wait_alu 0xf1ff
	s_delay_alu instid0(VALU_DEP_2) | instskip(NEXT) | instid1(VALU_DEP_2)
	v_cndmask_b32_e64 v143, 0x80000000, -1, s21
	v_and_b32_e32 v2, s48, v2
	s_delay_alu instid0(VALU_DEP_1) | instskip(SKIP_3) | instid1(VALU_DEP_1)
	v_lshlrev_b32_e32 v2, 2, v2
	ds_load_b32 v2, v2
	s_wait_dscnt 0x0
	v_add_nc_u32_e32 v2, v2, v52
	v_lshlrev_b64_e32 v[36:37], 2, v[2:3]
	v_xor_b32_e32 v2, v143, v136
	s_delay_alu instid0(VALU_DEP_2) | instskip(SKIP_1) | instid1(VALU_DEP_3)
	v_add_co_u32 v36, s21, s40, v36
	s_wait_alu 0xf1ff
	v_add_co_ci_u32_e64 v37, null, s41, v37, s21
	global_store_b32 v[36:37], v2, off
	s_wait_alu 0xfffe
	s_or_b32 exec_lo, exec_lo, s22
	v_cmp_lt_u32_e64 s21, v53, v135
	s_and_saveexec_b32 s23, s21
	s_cbranch_execz .LBB1463_479
.LBB1463_547:                           ;   in Loop: Header=BB1463_393 Depth=2
	ds_load_b32 v136, v70 offset:8192
	s_wait_dscnt 0x0
	v_cmp_ne_u32_e64 s22, 0x7fffffff, v136
	s_wait_alu 0xf1ff
	s_delay_alu instid0(VALU_DEP_1) | instskip(SKIP_1) | instid1(VALU_DEP_2)
	v_cndmask_b32_e64 v2, 0x80000000, v136, s22
	v_cmp_lt_i32_e64 s22, -1, v136
	v_lshrrev_b32_e32 v2, s31, v2
	s_wait_alu 0xf1ff
	s_delay_alu instid0(VALU_DEP_2) | instskip(NEXT) | instid1(VALU_DEP_2)
	v_cndmask_b32_e64 v143, 0x80000000, -1, s22
	v_and_b32_e32 v2, s48, v2
	s_delay_alu instid0(VALU_DEP_1) | instskip(SKIP_3) | instid1(VALU_DEP_1)
	v_lshlrev_b32_e32 v2, 2, v2
	ds_load_b32 v2, v2
	s_wait_dscnt 0x0
	v_add_nc_u32_e32 v2, v2, v53
	v_lshlrev_b64_e32 v[36:37], 2, v[2:3]
	v_xor_b32_e32 v2, v143, v136
	s_delay_alu instid0(VALU_DEP_2) | instskip(SKIP_1) | instid1(VALU_DEP_3)
	v_add_co_u32 v36, s22, s40, v36
	s_wait_alu 0xf1ff
	v_add_co_ci_u32_e64 v37, null, s41, v37, s22
	global_store_b32 v[36:37], v2, off
	s_wait_alu 0xfffe
	s_or_b32 exec_lo, exec_lo, s23
	v_cmp_lt_u32_e64 s22, v54, v135
	s_and_saveexec_b32 s24, s22
	s_cbranch_execz .LBB1463_480
.LBB1463_548:                           ;   in Loop: Header=BB1463_393 Depth=2
	ds_load_b32 v136, v70 offset:9216
	s_wait_dscnt 0x0
	v_cmp_ne_u32_e64 s23, 0x7fffffff, v136
	s_wait_alu 0xf1ff
	s_delay_alu instid0(VALU_DEP_1) | instskip(SKIP_1) | instid1(VALU_DEP_2)
	v_cndmask_b32_e64 v2, 0x80000000, v136, s23
	v_cmp_lt_i32_e64 s23, -1, v136
	v_lshrrev_b32_e32 v2, s31, v2
	s_wait_alu 0xf1ff
	s_delay_alu instid0(VALU_DEP_2) | instskip(NEXT) | instid1(VALU_DEP_2)
	v_cndmask_b32_e64 v143, 0x80000000, -1, s23
	v_and_b32_e32 v2, s48, v2
	s_delay_alu instid0(VALU_DEP_1) | instskip(SKIP_3) | instid1(VALU_DEP_1)
	v_lshlrev_b32_e32 v2, 2, v2
	ds_load_b32 v2, v2
	s_wait_dscnt 0x0
	v_add_nc_u32_e32 v2, v2, v54
	v_lshlrev_b64_e32 v[36:37], 2, v[2:3]
	v_xor_b32_e32 v2, v143, v136
	s_delay_alu instid0(VALU_DEP_2) | instskip(SKIP_1) | instid1(VALU_DEP_3)
	v_add_co_u32 v36, s23, s40, v36
	s_wait_alu 0xf1ff
	v_add_co_ci_u32_e64 v37, null, s41, v37, s23
	global_store_b32 v[36:37], v2, off
	s_wait_alu 0xfffe
	s_or_b32 exec_lo, exec_lo, s24
	v_cmp_lt_u32_e64 s23, v55, v135
	s_and_saveexec_b32 s25, s23
	s_cbranch_execz .LBB1463_481
.LBB1463_549:                           ;   in Loop: Header=BB1463_393 Depth=2
	ds_load_b32 v136, v70 offset:10240
	s_wait_dscnt 0x0
	v_cmp_ne_u32_e64 s24, 0x7fffffff, v136
	s_wait_alu 0xf1ff
	s_delay_alu instid0(VALU_DEP_1) | instskip(SKIP_1) | instid1(VALU_DEP_2)
	v_cndmask_b32_e64 v2, 0x80000000, v136, s24
	v_cmp_lt_i32_e64 s24, -1, v136
	v_lshrrev_b32_e32 v2, s31, v2
	s_wait_alu 0xf1ff
	s_delay_alu instid0(VALU_DEP_2) | instskip(NEXT) | instid1(VALU_DEP_2)
	v_cndmask_b32_e64 v143, 0x80000000, -1, s24
	v_and_b32_e32 v2, s48, v2
	s_delay_alu instid0(VALU_DEP_1) | instskip(SKIP_3) | instid1(VALU_DEP_1)
	v_lshlrev_b32_e32 v2, 2, v2
	ds_load_b32 v2, v2
	s_wait_dscnt 0x0
	v_add_nc_u32_e32 v2, v2, v55
	v_lshlrev_b64_e32 v[36:37], 2, v[2:3]
	v_xor_b32_e32 v2, v143, v136
	s_delay_alu instid0(VALU_DEP_2) | instskip(SKIP_1) | instid1(VALU_DEP_3)
	v_add_co_u32 v36, s24, s40, v36
	s_wait_alu 0xf1ff
	v_add_co_ci_u32_e64 v37, null, s41, v37, s24
	global_store_b32 v[36:37], v2, off
	s_wait_alu 0xfffe
	s_or_b32 exec_lo, exec_lo, s25
	v_cmp_lt_u32_e64 s24, v56, v135
	s_and_saveexec_b32 s26, s24
	s_cbranch_execz .LBB1463_482
.LBB1463_550:                           ;   in Loop: Header=BB1463_393 Depth=2
	ds_load_b32 v136, v70 offset:11264
	s_wait_dscnt 0x0
	v_cmp_ne_u32_e64 s25, 0x7fffffff, v136
	s_wait_alu 0xf1ff
	s_delay_alu instid0(VALU_DEP_1) | instskip(SKIP_1) | instid1(VALU_DEP_2)
	v_cndmask_b32_e64 v2, 0x80000000, v136, s25
	v_cmp_lt_i32_e64 s25, -1, v136
	v_lshrrev_b32_e32 v2, s31, v2
	s_wait_alu 0xf1ff
	s_delay_alu instid0(VALU_DEP_2) | instskip(NEXT) | instid1(VALU_DEP_2)
	v_cndmask_b32_e64 v143, 0x80000000, -1, s25
	v_and_b32_e32 v2, s48, v2
	s_delay_alu instid0(VALU_DEP_1) | instskip(SKIP_3) | instid1(VALU_DEP_1)
	v_lshlrev_b32_e32 v2, 2, v2
	ds_load_b32 v2, v2
	s_wait_dscnt 0x0
	v_add_nc_u32_e32 v2, v2, v56
	v_lshlrev_b64_e32 v[36:37], 2, v[2:3]
	v_xor_b32_e32 v2, v143, v136
	s_delay_alu instid0(VALU_DEP_2) | instskip(SKIP_1) | instid1(VALU_DEP_3)
	v_add_co_u32 v36, s25, s40, v36
	s_wait_alu 0xf1ff
	v_add_co_ci_u32_e64 v37, null, s41, v37, s25
	global_store_b32 v[36:37], v2, off
	s_wait_alu 0xfffe
	s_or_b32 exec_lo, exec_lo, s26
	v_cmp_lt_u32_e64 s25, v57, v135
	s_and_saveexec_b32 s27, s25
	s_cbranch_execz .LBB1463_483
.LBB1463_551:                           ;   in Loop: Header=BB1463_393 Depth=2
	ds_load_b32 v136, v70 offset:12288
	s_wait_dscnt 0x0
	v_cmp_ne_u32_e64 s26, 0x7fffffff, v136
	s_wait_alu 0xf1ff
	s_delay_alu instid0(VALU_DEP_1) | instskip(SKIP_1) | instid1(VALU_DEP_2)
	v_cndmask_b32_e64 v2, 0x80000000, v136, s26
	v_cmp_lt_i32_e64 s26, -1, v136
	v_lshrrev_b32_e32 v2, s31, v2
	s_wait_alu 0xf1ff
	s_delay_alu instid0(VALU_DEP_2) | instskip(NEXT) | instid1(VALU_DEP_2)
	v_cndmask_b32_e64 v143, 0x80000000, -1, s26
	v_and_b32_e32 v2, s48, v2
	s_delay_alu instid0(VALU_DEP_1) | instskip(SKIP_3) | instid1(VALU_DEP_1)
	v_lshlrev_b32_e32 v2, 2, v2
	ds_load_b32 v2, v2
	s_wait_dscnt 0x0
	v_add_nc_u32_e32 v2, v2, v57
	v_lshlrev_b64_e32 v[36:37], 2, v[2:3]
	v_xor_b32_e32 v2, v143, v136
	s_delay_alu instid0(VALU_DEP_2) | instskip(SKIP_1) | instid1(VALU_DEP_3)
	v_add_co_u32 v36, s26, s40, v36
	s_wait_alu 0xf1ff
	v_add_co_ci_u32_e64 v37, null, s41, v37, s26
	global_store_b32 v[36:37], v2, off
	s_wait_alu 0xfffe
	s_or_b32 exec_lo, exec_lo, s27
	v_cmp_lt_u32_e64 s26, v58, v135
	s_and_saveexec_b32 s28, s26
	s_cbranch_execz .LBB1463_484
.LBB1463_552:                           ;   in Loop: Header=BB1463_393 Depth=2
	ds_load_b32 v136, v70 offset:13312
	s_wait_dscnt 0x0
	v_cmp_ne_u32_e64 s27, 0x7fffffff, v136
	s_wait_alu 0xf1ff
	s_delay_alu instid0(VALU_DEP_1) | instskip(SKIP_1) | instid1(VALU_DEP_2)
	v_cndmask_b32_e64 v2, 0x80000000, v136, s27
	v_cmp_lt_i32_e64 s27, -1, v136
	v_lshrrev_b32_e32 v2, s31, v2
	s_wait_alu 0xf1ff
	s_delay_alu instid0(VALU_DEP_2) | instskip(NEXT) | instid1(VALU_DEP_2)
	v_cndmask_b32_e64 v143, 0x80000000, -1, s27
	v_and_b32_e32 v2, s48, v2
	s_delay_alu instid0(VALU_DEP_1) | instskip(SKIP_3) | instid1(VALU_DEP_1)
	v_lshlrev_b32_e32 v2, 2, v2
	ds_load_b32 v2, v2
	s_wait_dscnt 0x0
	v_add_nc_u32_e32 v2, v2, v58
	v_lshlrev_b64_e32 v[36:37], 2, v[2:3]
	v_xor_b32_e32 v2, v143, v136
	s_delay_alu instid0(VALU_DEP_2) | instskip(SKIP_1) | instid1(VALU_DEP_3)
	v_add_co_u32 v36, s27, s40, v36
	s_wait_alu 0xf1ff
	v_add_co_ci_u32_e64 v37, null, s41, v37, s27
	global_store_b32 v[36:37], v2, off
	s_wait_alu 0xfffe
	s_or_b32 exec_lo, exec_lo, s28
	v_cmp_lt_u32_e64 s27, v59, v135
	s_and_saveexec_b32 s29, s27
	s_cbranch_execz .LBB1463_485
.LBB1463_553:                           ;   in Loop: Header=BB1463_393 Depth=2
	ds_load_b32 v136, v70 offset:14336
	s_wait_dscnt 0x0
	v_cmp_ne_u32_e64 s28, 0x7fffffff, v136
	s_wait_alu 0xf1ff
	s_delay_alu instid0(VALU_DEP_1) | instskip(SKIP_1) | instid1(VALU_DEP_2)
	v_cndmask_b32_e64 v2, 0x80000000, v136, s28
	v_cmp_lt_i32_e64 s28, -1, v136
	v_lshrrev_b32_e32 v2, s31, v2
	s_wait_alu 0xf1ff
	s_delay_alu instid0(VALU_DEP_2) | instskip(NEXT) | instid1(VALU_DEP_2)
	v_cndmask_b32_e64 v143, 0x80000000, -1, s28
	v_and_b32_e32 v2, s48, v2
	s_delay_alu instid0(VALU_DEP_1) | instskip(SKIP_3) | instid1(VALU_DEP_1)
	v_lshlrev_b32_e32 v2, 2, v2
	ds_load_b32 v2, v2
	s_wait_dscnt 0x0
	v_add_nc_u32_e32 v2, v2, v59
	v_lshlrev_b64_e32 v[36:37], 2, v[2:3]
	v_xor_b32_e32 v2, v143, v136
	s_delay_alu instid0(VALU_DEP_2) | instskip(SKIP_1) | instid1(VALU_DEP_3)
	v_add_co_u32 v36, s28, s40, v36
	s_wait_alu 0xf1ff
	v_add_co_ci_u32_e64 v37, null, s41, v37, s28
	global_store_b32 v[36:37], v2, off
	s_wait_alu 0xfffe
	s_or_b32 exec_lo, exec_lo, s29
	v_cmp_lt_u32_e64 s28, v60, v135
	s_and_saveexec_b32 s30, s28
	s_cbranch_execz .LBB1463_486
.LBB1463_554:                           ;   in Loop: Header=BB1463_393 Depth=2
	ds_load_b32 v136, v70 offset:15360
	s_wait_dscnt 0x0
	v_cmp_ne_u32_e64 s29, 0x7fffffff, v136
	s_wait_alu 0xf1ff
	s_delay_alu instid0(VALU_DEP_1) | instskip(SKIP_1) | instid1(VALU_DEP_2)
	v_cndmask_b32_e64 v2, 0x80000000, v136, s29
	v_cmp_lt_i32_e64 s29, -1, v136
	v_lshrrev_b32_e32 v2, s31, v2
	s_wait_alu 0xf1ff
	s_delay_alu instid0(VALU_DEP_2) | instskip(NEXT) | instid1(VALU_DEP_2)
	v_cndmask_b32_e64 v143, 0x80000000, -1, s29
	v_and_b32_e32 v2, s48, v2
	s_delay_alu instid0(VALU_DEP_1) | instskip(SKIP_3) | instid1(VALU_DEP_1)
	v_lshlrev_b32_e32 v2, 2, v2
	ds_load_b32 v2, v2
	s_wait_dscnt 0x0
	v_add_nc_u32_e32 v2, v2, v60
	v_lshlrev_b64_e32 v[36:37], 2, v[2:3]
	v_xor_b32_e32 v2, v143, v136
	s_delay_alu instid0(VALU_DEP_2) | instskip(SKIP_1) | instid1(VALU_DEP_3)
	v_add_co_u32 v36, s29, s40, v36
	s_wait_alu 0xf1ff
	v_add_co_ci_u32_e64 v37, null, s41, v37, s29
	global_store_b32 v[36:37], v2, off
	s_wait_alu 0xfffe
	s_or_b32 exec_lo, exec_lo, s30
	v_cmp_lt_u32_e64 s29, v61, v135
	s_and_saveexec_b32 s56, s29
	s_cbranch_execnz .LBB1463_487
	s_branch .LBB1463_488
.LBB1463_555:                           ;   in Loop: Header=BB1463_393 Depth=2
	global_load_b64 v[34:35], v[36:37], off
	s_wait_alu 0xfffe
	s_or_b32 exec_lo, exec_lo, s30
	s_delay_alu instid0(SALU_CYCLE_1)
	s_mov_b32 s42, exec_lo
	v_cmpx_lt_u32_e64 v92, v135
	s_cbranch_execz .LBB1463_490
.LBB1463_556:                           ;   in Loop: Header=BB1463_393 Depth=2
	global_load_b64 v[32:33], v[36:37], off offset:256
	s_wait_alu 0xfffe
	s_or_b32 exec_lo, exec_lo, s42
	s_delay_alu instid0(SALU_CYCLE_1)
	s_mov_b32 s42, exec_lo
	v_cmpx_lt_u32_e64 v93, v135
	s_cbranch_execz .LBB1463_491
.LBB1463_557:                           ;   in Loop: Header=BB1463_393 Depth=2
	global_load_b64 v[30:31], v[36:37], off offset:512
	s_wait_alu 0xfffe
	s_or_b32 exec_lo, exec_lo, s42
	s_delay_alu instid0(SALU_CYCLE_1)
	s_mov_b32 s42, exec_lo
	v_cmpx_lt_u32_e64 v94, v135
	s_cbranch_execz .LBB1463_492
.LBB1463_558:                           ;   in Loop: Header=BB1463_393 Depth=2
	global_load_b64 v[28:29], v[36:37], off offset:768
	s_wait_alu 0xfffe
	s_or_b32 exec_lo, exec_lo, s42
	s_delay_alu instid0(SALU_CYCLE_1)
	s_mov_b32 s42, exec_lo
	v_cmpx_lt_u32_e64 v95, v135
	s_cbranch_execz .LBB1463_493
.LBB1463_559:                           ;   in Loop: Header=BB1463_393 Depth=2
	global_load_b64 v[26:27], v[36:37], off offset:1024
	s_wait_alu 0xfffe
	s_or_b32 exec_lo, exec_lo, s42
	s_delay_alu instid0(SALU_CYCLE_1)
	s_mov_b32 s42, exec_lo
	v_cmpx_lt_u32_e64 v96, v135
	s_cbranch_execz .LBB1463_494
.LBB1463_560:                           ;   in Loop: Header=BB1463_393 Depth=2
	global_load_b64 v[24:25], v[36:37], off offset:1280
	s_wait_alu 0xfffe
	s_or_b32 exec_lo, exec_lo, s42
	s_delay_alu instid0(SALU_CYCLE_1)
	s_mov_b32 s42, exec_lo
	v_cmpx_lt_u32_e64 v97, v135
	s_cbranch_execz .LBB1463_495
.LBB1463_561:                           ;   in Loop: Header=BB1463_393 Depth=2
	global_load_b64 v[22:23], v[36:37], off offset:1536
	s_wait_alu 0xfffe
	s_or_b32 exec_lo, exec_lo, s42
	s_delay_alu instid0(SALU_CYCLE_1)
	s_mov_b32 s42, exec_lo
	v_cmpx_lt_u32_e64 v98, v135
	s_cbranch_execz .LBB1463_496
.LBB1463_562:                           ;   in Loop: Header=BB1463_393 Depth=2
	global_load_b64 v[20:21], v[36:37], off offset:1792
	s_wait_alu 0xfffe
	s_or_b32 exec_lo, exec_lo, s42
	s_delay_alu instid0(SALU_CYCLE_1)
	s_mov_b32 s42, exec_lo
	v_cmpx_lt_u32_e64 v99, v135
	s_cbranch_execz .LBB1463_497
.LBB1463_563:                           ;   in Loop: Header=BB1463_393 Depth=2
	global_load_b64 v[18:19], v[36:37], off offset:2048
	s_wait_alu 0xfffe
	s_or_b32 exec_lo, exec_lo, s42
	s_delay_alu instid0(SALU_CYCLE_1)
	s_mov_b32 s42, exec_lo
	v_cmpx_lt_u32_e64 v100, v135
	s_cbranch_execz .LBB1463_498
.LBB1463_564:                           ;   in Loop: Header=BB1463_393 Depth=2
	global_load_b64 v[16:17], v[36:37], off offset:2304
	s_wait_alu 0xfffe
	s_or_b32 exec_lo, exec_lo, s42
	s_delay_alu instid0(SALU_CYCLE_1)
	s_mov_b32 s42, exec_lo
	v_cmpx_lt_u32_e64 v101, v135
	s_cbranch_execz .LBB1463_499
.LBB1463_565:                           ;   in Loop: Header=BB1463_393 Depth=2
	global_load_b64 v[14:15], v[36:37], off offset:2560
	s_wait_alu 0xfffe
	s_or_b32 exec_lo, exec_lo, s42
	s_delay_alu instid0(SALU_CYCLE_1)
	s_mov_b32 s42, exec_lo
	v_cmpx_lt_u32_e64 v102, v135
	s_cbranch_execz .LBB1463_500
.LBB1463_566:                           ;   in Loop: Header=BB1463_393 Depth=2
	global_load_b64 v[12:13], v[36:37], off offset:2816
	s_wait_alu 0xfffe
	s_or_b32 exec_lo, exec_lo, s42
	s_delay_alu instid0(SALU_CYCLE_1)
	s_mov_b32 s42, exec_lo
	v_cmpx_lt_u32_e64 v103, v135
	s_cbranch_execz .LBB1463_501
.LBB1463_567:                           ;   in Loop: Header=BB1463_393 Depth=2
	global_load_b64 v[10:11], v[36:37], off offset:3072
	s_wait_alu 0xfffe
	s_or_b32 exec_lo, exec_lo, s42
	s_delay_alu instid0(SALU_CYCLE_1)
	s_mov_b32 s42, exec_lo
	v_cmpx_lt_u32_e64 v104, v135
	s_cbranch_execz .LBB1463_502
.LBB1463_568:                           ;   in Loop: Header=BB1463_393 Depth=2
	global_load_b64 v[8:9], v[36:37], off offset:3328
	s_wait_alu 0xfffe
	s_or_b32 exec_lo, exec_lo, s42
	s_delay_alu instid0(SALU_CYCLE_1)
	s_mov_b32 s42, exec_lo
	v_cmpx_lt_u32_e64 v105, v135
	s_cbranch_execz .LBB1463_503
.LBB1463_569:                           ;   in Loop: Header=BB1463_393 Depth=2
	global_load_b64 v[6:7], v[36:37], off offset:3584
	s_wait_alu 0xfffe
	s_or_b32 exec_lo, exec_lo, s42
	s_delay_alu instid0(SALU_CYCLE_1)
	s_mov_b32 s42, exec_lo
	v_cmpx_lt_u32_e64 v106, v135
	s_cbranch_execz .LBB1463_504
.LBB1463_570:                           ;   in Loop: Header=BB1463_393 Depth=2
	global_load_b64 v[4:5], v[36:37], off offset:3840
	s_wait_alu 0xfffe
	s_or_b32 exec_lo, exec_lo, s42
	s_and_saveexec_b32 s42, vcc_lo
	s_cbranch_execz .LBB1463_505
.LBB1463_571:                           ;   in Loop: Header=BB1463_393 Depth=2
	ds_load_b32 v2, v70 offset:1024
	s_wait_dscnt 0x0
	v_cmp_ne_u32_e64 s30, 0x7fffffff, v2
	s_wait_alu 0xf1ff
	s_delay_alu instid0(VALU_DEP_1) | instskip(NEXT) | instid1(VALU_DEP_1)
	v_cndmask_b32_e64 v2, 0x80000000, v2, s30
	v_lshrrev_b32_e32 v2, s31, v2
	s_delay_alu instid0(VALU_DEP_1)
	v_and_b32_e32 v134, s48, v2
	s_wait_alu 0xfffe
	s_or_b32 exec_lo, exec_lo, s42
	s_and_saveexec_b32 s42, s15
	s_cbranch_execz .LBB1463_506
.LBB1463_572:                           ;   in Loop: Header=BB1463_393 Depth=2
	ds_load_b32 v2, v70 offset:2048
	s_wait_dscnt 0x0
	v_cmp_ne_u32_e64 s30, 0x7fffffff, v2
	s_wait_alu 0xf1ff
	s_delay_alu instid0(VALU_DEP_1) | instskip(NEXT) | instid1(VALU_DEP_1)
	v_cndmask_b32_e64 v2, 0x80000000, v2, s30
	v_lshrrev_b32_e32 v2, s31, v2
	s_delay_alu instid0(VALU_DEP_1)
	v_and_b32_e32 v133, s48, v2
	s_wait_alu 0xfffe
	s_or_b32 exec_lo, exec_lo, s42
	s_and_saveexec_b32 s42, s16
	s_cbranch_execz .LBB1463_507
.LBB1463_573:                           ;   in Loop: Header=BB1463_393 Depth=2
	ds_load_b32 v2, v70 offset:3072
	s_wait_dscnt 0x0
	v_cmp_ne_u32_e64 s30, 0x7fffffff, v2
	s_wait_alu 0xf1ff
	s_delay_alu instid0(VALU_DEP_1) | instskip(NEXT) | instid1(VALU_DEP_1)
	v_cndmask_b32_e64 v2, 0x80000000, v2, s30
	v_lshrrev_b32_e32 v2, s31, v2
	s_delay_alu instid0(VALU_DEP_1)
	v_and_b32_e32 v132, s48, v2
	s_wait_alu 0xfffe
	s_or_b32 exec_lo, exec_lo, s42
	s_and_saveexec_b32 s42, s17
	s_cbranch_execz .LBB1463_508
.LBB1463_574:                           ;   in Loop: Header=BB1463_393 Depth=2
	ds_load_b32 v2, v70 offset:4096
	s_wait_dscnt 0x0
	v_cmp_ne_u32_e64 s30, 0x7fffffff, v2
	s_wait_alu 0xf1ff
	s_delay_alu instid0(VALU_DEP_1) | instskip(NEXT) | instid1(VALU_DEP_1)
	v_cndmask_b32_e64 v2, 0x80000000, v2, s30
	v_lshrrev_b32_e32 v2, s31, v2
	s_delay_alu instid0(VALU_DEP_1)
	v_and_b32_e32 v131, s48, v2
	s_wait_alu 0xfffe
	s_or_b32 exec_lo, exec_lo, s42
	s_and_saveexec_b32 s42, s18
	s_cbranch_execz .LBB1463_509
.LBB1463_575:                           ;   in Loop: Header=BB1463_393 Depth=2
	ds_load_b32 v2, v70 offset:5120
	s_wait_dscnt 0x0
	v_cmp_ne_u32_e64 s30, 0x7fffffff, v2
	s_wait_alu 0xf1ff
	s_delay_alu instid0(VALU_DEP_1) | instskip(NEXT) | instid1(VALU_DEP_1)
	v_cndmask_b32_e64 v2, 0x80000000, v2, s30
	v_lshrrev_b32_e32 v2, s31, v2
	s_delay_alu instid0(VALU_DEP_1)
	v_and_b32_e32 v130, s48, v2
	s_wait_alu 0xfffe
	s_or_b32 exec_lo, exec_lo, s42
	s_and_saveexec_b32 s42, s19
	s_cbranch_execz .LBB1463_510
.LBB1463_576:                           ;   in Loop: Header=BB1463_393 Depth=2
	ds_load_b32 v2, v70 offset:6144
	s_wait_dscnt 0x0
	v_cmp_ne_u32_e64 s30, 0x7fffffff, v2
	s_wait_alu 0xf1ff
	s_delay_alu instid0(VALU_DEP_1) | instskip(NEXT) | instid1(VALU_DEP_1)
	v_cndmask_b32_e64 v2, 0x80000000, v2, s30
	v_lshrrev_b32_e32 v2, s31, v2
	s_delay_alu instid0(VALU_DEP_1)
	v_and_b32_e32 v129, s48, v2
	s_wait_alu 0xfffe
	s_or_b32 exec_lo, exec_lo, s42
	s_and_saveexec_b32 s42, s20
	s_cbranch_execz .LBB1463_511
.LBB1463_577:                           ;   in Loop: Header=BB1463_393 Depth=2
	ds_load_b32 v2, v70 offset:7168
	s_wait_dscnt 0x0
	v_cmp_ne_u32_e64 s30, 0x7fffffff, v2
	s_wait_alu 0xf1ff
	s_delay_alu instid0(VALU_DEP_1) | instskip(NEXT) | instid1(VALU_DEP_1)
	v_cndmask_b32_e64 v2, 0x80000000, v2, s30
	v_lshrrev_b32_e32 v2, s31, v2
	s_delay_alu instid0(VALU_DEP_1)
	v_and_b32_e32 v128, s48, v2
	s_wait_alu 0xfffe
	s_or_b32 exec_lo, exec_lo, s42
	s_and_saveexec_b32 s42, s21
	s_cbranch_execz .LBB1463_512
.LBB1463_578:                           ;   in Loop: Header=BB1463_393 Depth=2
	ds_load_b32 v2, v70 offset:8192
	s_wait_dscnt 0x0
	v_cmp_ne_u32_e64 s30, 0x7fffffff, v2
	s_wait_alu 0xf1ff
	s_delay_alu instid0(VALU_DEP_1) | instskip(NEXT) | instid1(VALU_DEP_1)
	v_cndmask_b32_e64 v2, 0x80000000, v2, s30
	v_lshrrev_b32_e32 v2, s31, v2
	s_delay_alu instid0(VALU_DEP_1)
	v_and_b32_e32 v127, s48, v2
	s_wait_alu 0xfffe
	s_or_b32 exec_lo, exec_lo, s42
	s_and_saveexec_b32 s42, s22
	s_cbranch_execz .LBB1463_513
.LBB1463_579:                           ;   in Loop: Header=BB1463_393 Depth=2
	ds_load_b32 v2, v70 offset:9216
	s_wait_dscnt 0x0
	v_cmp_ne_u32_e64 s30, 0x7fffffff, v2
	s_wait_alu 0xf1ff
	s_delay_alu instid0(VALU_DEP_1) | instskip(NEXT) | instid1(VALU_DEP_1)
	v_cndmask_b32_e64 v2, 0x80000000, v2, s30
	v_lshrrev_b32_e32 v2, s31, v2
	s_delay_alu instid0(VALU_DEP_1)
	v_and_b32_e32 v126, s48, v2
	s_wait_alu 0xfffe
	s_or_b32 exec_lo, exec_lo, s42
	s_and_saveexec_b32 s42, s23
	s_cbranch_execz .LBB1463_514
.LBB1463_580:                           ;   in Loop: Header=BB1463_393 Depth=2
	ds_load_b32 v2, v70 offset:10240
	s_wait_dscnt 0x0
	v_cmp_ne_u32_e64 s30, 0x7fffffff, v2
	s_wait_alu 0xf1ff
	s_delay_alu instid0(VALU_DEP_1) | instskip(NEXT) | instid1(VALU_DEP_1)
	v_cndmask_b32_e64 v2, 0x80000000, v2, s30
	v_lshrrev_b32_e32 v2, s31, v2
	s_delay_alu instid0(VALU_DEP_1)
	v_and_b32_e32 v125, s48, v2
	s_wait_alu 0xfffe
	s_or_b32 exec_lo, exec_lo, s42
	s_and_saveexec_b32 s42, s24
	s_cbranch_execz .LBB1463_515
.LBB1463_581:                           ;   in Loop: Header=BB1463_393 Depth=2
	ds_load_b32 v2, v70 offset:11264
	s_wait_dscnt 0x0
	v_cmp_ne_u32_e64 s30, 0x7fffffff, v2
	s_wait_alu 0xf1ff
	s_delay_alu instid0(VALU_DEP_1) | instskip(NEXT) | instid1(VALU_DEP_1)
	v_cndmask_b32_e64 v2, 0x80000000, v2, s30
	v_lshrrev_b32_e32 v2, s31, v2
	s_delay_alu instid0(VALU_DEP_1)
	v_and_b32_e32 v124, s48, v2
	s_wait_alu 0xfffe
	s_or_b32 exec_lo, exec_lo, s42
	s_and_saveexec_b32 s42, s25
	s_cbranch_execz .LBB1463_516
.LBB1463_582:                           ;   in Loop: Header=BB1463_393 Depth=2
	ds_load_b32 v2, v70 offset:12288
	s_wait_dscnt 0x0
	v_cmp_ne_u32_e64 s30, 0x7fffffff, v2
	s_wait_alu 0xf1ff
	s_delay_alu instid0(VALU_DEP_1) | instskip(NEXT) | instid1(VALU_DEP_1)
	v_cndmask_b32_e64 v2, 0x80000000, v2, s30
	v_lshrrev_b32_e32 v2, s31, v2
	s_delay_alu instid0(VALU_DEP_1)
	v_and_b32_e32 v123, s48, v2
	s_wait_alu 0xfffe
	s_or_b32 exec_lo, exec_lo, s42
	s_and_saveexec_b32 s42, s26
	s_cbranch_execz .LBB1463_517
.LBB1463_583:                           ;   in Loop: Header=BB1463_393 Depth=2
	ds_load_b32 v2, v70 offset:13312
	s_wait_dscnt 0x0
	v_cmp_ne_u32_e64 s30, 0x7fffffff, v2
	s_wait_alu 0xf1ff
	s_delay_alu instid0(VALU_DEP_1) | instskip(NEXT) | instid1(VALU_DEP_1)
	v_cndmask_b32_e64 v2, 0x80000000, v2, s30
	v_lshrrev_b32_e32 v2, s31, v2
	s_delay_alu instid0(VALU_DEP_1)
	v_and_b32_e32 v122, s48, v2
	s_wait_alu 0xfffe
	s_or_b32 exec_lo, exec_lo, s42
	s_and_saveexec_b32 s42, s27
	s_cbranch_execz .LBB1463_518
.LBB1463_584:                           ;   in Loop: Header=BB1463_393 Depth=2
	ds_load_b32 v2, v70 offset:14336
	s_wait_dscnt 0x0
	v_cmp_ne_u32_e64 s30, 0x7fffffff, v2
	s_wait_alu 0xf1ff
	s_delay_alu instid0(VALU_DEP_1) | instskip(NEXT) | instid1(VALU_DEP_1)
	v_cndmask_b32_e64 v2, 0x80000000, v2, s30
	v_lshrrev_b32_e32 v2, s31, v2
	s_delay_alu instid0(VALU_DEP_1)
	v_and_b32_e32 v121, s48, v2
	s_wait_alu 0xfffe
	s_or_b32 exec_lo, exec_lo, s42
	s_and_saveexec_b32 s42, s28
	s_cbranch_execz .LBB1463_519
.LBB1463_585:                           ;   in Loop: Header=BB1463_393 Depth=2
	ds_load_b32 v2, v70 offset:15360
	s_wait_dscnt 0x0
	v_cmp_ne_u32_e64 s30, 0x7fffffff, v2
	s_wait_alu 0xf1ff
	s_delay_alu instid0(VALU_DEP_1) | instskip(NEXT) | instid1(VALU_DEP_1)
	v_cndmask_b32_e64 v2, 0x80000000, v2, s30
	v_lshrrev_b32_e32 v2, s31, v2
	s_delay_alu instid0(VALU_DEP_1)
	v_and_b32_e32 v120, s48, v2
	s_wait_alu 0xfffe
	s_or_b32 exec_lo, exec_lo, s42
	s_and_saveexec_b32 s42, s29
	s_cbranch_execnz .LBB1463_520
	s_branch .LBB1463_521
.LBB1463_586:                           ;   in Loop: Header=BB1463_393 Depth=2
	v_lshlrev_b32_e32 v2, 2, v134
	v_add_nc_u32_e32 v36, v70, v44
	ds_load_b32 v2, v2
	ds_load_b64 v[36:37], v36 offset:1024
	s_wait_dscnt 0x1
	v_add_nc_u32_e32 v2, v2, v1
	s_delay_alu instid0(VALU_DEP_1) | instskip(NEXT) | instid1(VALU_DEP_1)
	v_lshlrev_b64_e32 v[39:40], 3, v[2:3]
	v_add_co_u32 v39, vcc_lo, s46, v39
	s_wait_alu 0xfffd
	s_delay_alu instid0(VALU_DEP_2)
	v_add_co_ci_u32_e64 v40, null, s47, v40, vcc_lo
	s_wait_dscnt 0x0
	global_store_b64 v[39:40], v[36:37], off
	s_wait_alu 0xfffe
	s_or_b32 exec_lo, exec_lo, s30
	s_and_saveexec_b32 s30, s15
	s_cbranch_execz .LBB1463_523
.LBB1463_587:                           ;   in Loop: Header=BB1463_393 Depth=2
	v_lshlrev_b32_e32 v2, 2, v133
	v_add_nc_u32_e32 v36, v70, v44
	ds_load_b32 v2, v2
	ds_load_b64 v[36:37], v36 offset:3072
	s_wait_dscnt 0x1
	v_add_nc_u32_e32 v2, v2, v45
	s_delay_alu instid0(VALU_DEP_1) | instskip(NEXT) | instid1(VALU_DEP_1)
	v_lshlrev_b64_e32 v[39:40], 3, v[2:3]
	v_add_co_u32 v39, vcc_lo, s46, v39
	s_wait_alu 0xfffd
	s_delay_alu instid0(VALU_DEP_2)
	v_add_co_ci_u32_e64 v40, null, s47, v40, vcc_lo
	s_wait_dscnt 0x0
	global_store_b64 v[39:40], v[36:37], off
	s_wait_alu 0xfffe
	s_or_b32 exec_lo, exec_lo, s30
	s_and_saveexec_b32 s15, s16
	s_cbranch_execz .LBB1463_524
.LBB1463_588:                           ;   in Loop: Header=BB1463_393 Depth=2
	v_lshlrev_b32_e32 v2, 2, v132
	v_add_nc_u32_e32 v36, v70, v44
	ds_load_b32 v2, v2
	ds_load_b64 v[36:37], v36 offset:5120
	s_wait_dscnt 0x1
	v_add_nc_u32_e32 v2, v2, v46
	s_delay_alu instid0(VALU_DEP_1) | instskip(NEXT) | instid1(VALU_DEP_1)
	v_lshlrev_b64_e32 v[39:40], 3, v[2:3]
	v_add_co_u32 v39, vcc_lo, s46, v39
	s_wait_alu 0xfffd
	s_delay_alu instid0(VALU_DEP_2)
	v_add_co_ci_u32_e64 v40, null, s47, v40, vcc_lo
	s_wait_dscnt 0x0
	global_store_b64 v[39:40], v[36:37], off
	s_wait_alu 0xfffe
	s_or_b32 exec_lo, exec_lo, s15
	s_and_saveexec_b32 s15, s17
	s_cbranch_execz .LBB1463_525
.LBB1463_589:                           ;   in Loop: Header=BB1463_393 Depth=2
	v_lshlrev_b32_e32 v2, 2, v131
	v_add_nc_u32_e32 v36, v70, v44
	ds_load_b32 v2, v2
	ds_load_b64 v[36:37], v36 offset:7168
	s_wait_dscnt 0x1
	v_add_nc_u32_e32 v2, v2, v47
	s_delay_alu instid0(VALU_DEP_1) | instskip(NEXT) | instid1(VALU_DEP_1)
	v_lshlrev_b64_e32 v[39:40], 3, v[2:3]
	v_add_co_u32 v39, vcc_lo, s46, v39
	s_wait_alu 0xfffd
	s_delay_alu instid0(VALU_DEP_2)
	v_add_co_ci_u32_e64 v40, null, s47, v40, vcc_lo
	s_wait_dscnt 0x0
	global_store_b64 v[39:40], v[36:37], off
	s_wait_alu 0xfffe
	s_or_b32 exec_lo, exec_lo, s15
	s_and_saveexec_b32 s15, s18
	s_cbranch_execz .LBB1463_526
.LBB1463_590:                           ;   in Loop: Header=BB1463_393 Depth=2
	v_lshlrev_b32_e32 v2, 2, v130
	v_add_nc_u32_e32 v36, v70, v44
	ds_load_b32 v2, v2
	ds_load_b64 v[36:37], v36 offset:9216
	s_wait_dscnt 0x1
	v_add_nc_u32_e32 v2, v2, v50
	s_delay_alu instid0(VALU_DEP_1) | instskip(NEXT) | instid1(VALU_DEP_1)
	v_lshlrev_b64_e32 v[39:40], 3, v[2:3]
	v_add_co_u32 v39, vcc_lo, s46, v39
	s_wait_alu 0xfffd
	s_delay_alu instid0(VALU_DEP_2)
	v_add_co_ci_u32_e64 v40, null, s47, v40, vcc_lo
	s_wait_dscnt 0x0
	global_store_b64 v[39:40], v[36:37], off
	s_wait_alu 0xfffe
	s_or_b32 exec_lo, exec_lo, s15
	s_and_saveexec_b32 s15, s19
	s_cbranch_execz .LBB1463_527
.LBB1463_591:                           ;   in Loop: Header=BB1463_393 Depth=2
	v_lshlrev_b32_e32 v2, 2, v129
	v_add_nc_u32_e32 v36, v70, v44
	ds_load_b32 v2, v2
	ds_load_b64 v[36:37], v36 offset:11264
	s_wait_dscnt 0x1
	v_add_nc_u32_e32 v2, v2, v51
	s_delay_alu instid0(VALU_DEP_1) | instskip(NEXT) | instid1(VALU_DEP_1)
	v_lshlrev_b64_e32 v[39:40], 3, v[2:3]
	v_add_co_u32 v39, vcc_lo, s46, v39
	s_wait_alu 0xfffd
	s_delay_alu instid0(VALU_DEP_2)
	v_add_co_ci_u32_e64 v40, null, s47, v40, vcc_lo
	s_wait_dscnt 0x0
	global_store_b64 v[39:40], v[36:37], off
	s_wait_alu 0xfffe
	s_or_b32 exec_lo, exec_lo, s15
	s_and_saveexec_b32 s15, s20
	s_cbranch_execz .LBB1463_528
.LBB1463_592:                           ;   in Loop: Header=BB1463_393 Depth=2
	v_lshlrev_b32_e32 v2, 2, v128
	v_add_nc_u32_e32 v36, v70, v44
	ds_load_b32 v2, v2
	ds_load_b64 v[36:37], v36 offset:13312
	s_wait_dscnt 0x1
	v_add_nc_u32_e32 v2, v2, v52
	s_delay_alu instid0(VALU_DEP_1) | instskip(NEXT) | instid1(VALU_DEP_1)
	v_lshlrev_b64_e32 v[39:40], 3, v[2:3]
	v_add_co_u32 v39, vcc_lo, s46, v39
	s_wait_alu 0xfffd
	s_delay_alu instid0(VALU_DEP_2)
	v_add_co_ci_u32_e64 v40, null, s47, v40, vcc_lo
	s_wait_dscnt 0x0
	global_store_b64 v[39:40], v[36:37], off
	s_wait_alu 0xfffe
	s_or_b32 exec_lo, exec_lo, s15
	s_and_saveexec_b32 s15, s21
	s_cbranch_execz .LBB1463_529
.LBB1463_593:                           ;   in Loop: Header=BB1463_393 Depth=2
	v_lshlrev_b32_e32 v2, 2, v127
	v_add_nc_u32_e32 v36, v70, v44
	ds_load_b32 v2, v2
	ds_load_b64 v[36:37], v36 offset:15360
	s_wait_dscnt 0x1
	v_add_nc_u32_e32 v2, v2, v53
	s_delay_alu instid0(VALU_DEP_1) | instskip(NEXT) | instid1(VALU_DEP_1)
	v_lshlrev_b64_e32 v[39:40], 3, v[2:3]
	v_add_co_u32 v39, vcc_lo, s46, v39
	s_wait_alu 0xfffd
	s_delay_alu instid0(VALU_DEP_2)
	v_add_co_ci_u32_e64 v40, null, s47, v40, vcc_lo
	s_wait_dscnt 0x0
	global_store_b64 v[39:40], v[36:37], off
	s_wait_alu 0xfffe
	s_or_b32 exec_lo, exec_lo, s15
	s_and_saveexec_b32 s15, s22
	s_cbranch_execz .LBB1463_530
.LBB1463_594:                           ;   in Loop: Header=BB1463_393 Depth=2
	v_lshlrev_b32_e32 v2, 2, v126
	v_add_nc_u32_e32 v36, v70, v44
	ds_load_b32 v2, v2
	ds_load_b64 v[36:37], v36 offset:17408
	s_wait_dscnt 0x1
	v_add_nc_u32_e32 v2, v2, v54
	s_delay_alu instid0(VALU_DEP_1) | instskip(NEXT) | instid1(VALU_DEP_1)
	v_lshlrev_b64_e32 v[39:40], 3, v[2:3]
	v_add_co_u32 v39, vcc_lo, s46, v39
	s_wait_alu 0xfffd
	s_delay_alu instid0(VALU_DEP_2)
	v_add_co_ci_u32_e64 v40, null, s47, v40, vcc_lo
	s_wait_dscnt 0x0
	global_store_b64 v[39:40], v[36:37], off
	s_wait_alu 0xfffe
	s_or_b32 exec_lo, exec_lo, s15
	s_and_saveexec_b32 s15, s23
	s_cbranch_execz .LBB1463_531
.LBB1463_595:                           ;   in Loop: Header=BB1463_393 Depth=2
	v_lshlrev_b32_e32 v2, 2, v125
	v_add_nc_u32_e32 v36, v70, v44
	ds_load_b32 v2, v2
	ds_load_b64 v[36:37], v36 offset:19456
	s_wait_dscnt 0x1
	v_add_nc_u32_e32 v2, v2, v55
	s_delay_alu instid0(VALU_DEP_1) | instskip(NEXT) | instid1(VALU_DEP_1)
	v_lshlrev_b64_e32 v[39:40], 3, v[2:3]
	v_add_co_u32 v39, vcc_lo, s46, v39
	s_wait_alu 0xfffd
	s_delay_alu instid0(VALU_DEP_2)
	v_add_co_ci_u32_e64 v40, null, s47, v40, vcc_lo
	s_wait_dscnt 0x0
	global_store_b64 v[39:40], v[36:37], off
	s_wait_alu 0xfffe
	s_or_b32 exec_lo, exec_lo, s15
	s_and_saveexec_b32 s15, s24
	s_cbranch_execz .LBB1463_532
.LBB1463_596:                           ;   in Loop: Header=BB1463_393 Depth=2
	v_lshlrev_b32_e32 v2, 2, v124
	v_add_nc_u32_e32 v36, v70, v44
	ds_load_b32 v2, v2
	ds_load_b64 v[36:37], v36 offset:21504
	s_wait_dscnt 0x1
	v_add_nc_u32_e32 v2, v2, v56
	s_delay_alu instid0(VALU_DEP_1) | instskip(NEXT) | instid1(VALU_DEP_1)
	v_lshlrev_b64_e32 v[39:40], 3, v[2:3]
	v_add_co_u32 v39, vcc_lo, s46, v39
	s_wait_alu 0xfffd
	s_delay_alu instid0(VALU_DEP_2)
	v_add_co_ci_u32_e64 v40, null, s47, v40, vcc_lo
	s_wait_dscnt 0x0
	global_store_b64 v[39:40], v[36:37], off
	s_wait_alu 0xfffe
	s_or_b32 exec_lo, exec_lo, s15
	s_and_saveexec_b32 s15, s25
	s_cbranch_execz .LBB1463_533
.LBB1463_597:                           ;   in Loop: Header=BB1463_393 Depth=2
	v_lshlrev_b32_e32 v2, 2, v123
	v_add_nc_u32_e32 v36, v70, v44
	ds_load_b32 v2, v2
	ds_load_b64 v[36:37], v36 offset:23552
	s_wait_dscnt 0x1
	v_add_nc_u32_e32 v2, v2, v57
	s_delay_alu instid0(VALU_DEP_1) | instskip(NEXT) | instid1(VALU_DEP_1)
	v_lshlrev_b64_e32 v[39:40], 3, v[2:3]
	v_add_co_u32 v39, vcc_lo, s46, v39
	s_wait_alu 0xfffd
	s_delay_alu instid0(VALU_DEP_2)
	v_add_co_ci_u32_e64 v40, null, s47, v40, vcc_lo
	s_wait_dscnt 0x0
	global_store_b64 v[39:40], v[36:37], off
	s_wait_alu 0xfffe
	s_or_b32 exec_lo, exec_lo, s15
	s_and_saveexec_b32 s15, s26
	s_cbranch_execz .LBB1463_534
.LBB1463_598:                           ;   in Loop: Header=BB1463_393 Depth=2
	v_lshlrev_b32_e32 v2, 2, v122
	v_add_nc_u32_e32 v36, v70, v44
	ds_load_b32 v2, v2
	ds_load_b64 v[36:37], v36 offset:25600
	s_wait_dscnt 0x1
	v_add_nc_u32_e32 v2, v2, v58
	s_delay_alu instid0(VALU_DEP_1) | instskip(NEXT) | instid1(VALU_DEP_1)
	v_lshlrev_b64_e32 v[39:40], 3, v[2:3]
	v_add_co_u32 v39, vcc_lo, s46, v39
	s_wait_alu 0xfffd
	s_delay_alu instid0(VALU_DEP_2)
	v_add_co_ci_u32_e64 v40, null, s47, v40, vcc_lo
	s_wait_dscnt 0x0
	global_store_b64 v[39:40], v[36:37], off
	s_wait_alu 0xfffe
	s_or_b32 exec_lo, exec_lo, s15
	s_and_saveexec_b32 s15, s27
	s_cbranch_execz .LBB1463_535
.LBB1463_599:                           ;   in Loop: Header=BB1463_393 Depth=2
	v_lshlrev_b32_e32 v2, 2, v121
	v_add_nc_u32_e32 v36, v70, v44
	ds_load_b32 v2, v2
	ds_load_b64 v[36:37], v36 offset:27648
	s_wait_dscnt 0x1
	v_add_nc_u32_e32 v2, v2, v59
	s_delay_alu instid0(VALU_DEP_1) | instskip(NEXT) | instid1(VALU_DEP_1)
	v_lshlrev_b64_e32 v[39:40], 3, v[2:3]
	v_add_co_u32 v39, vcc_lo, s46, v39
	s_wait_alu 0xfffd
	s_delay_alu instid0(VALU_DEP_2)
	v_add_co_ci_u32_e64 v40, null, s47, v40, vcc_lo
	s_wait_dscnt 0x0
	global_store_b64 v[39:40], v[36:37], off
	s_wait_alu 0xfffe
	s_or_b32 exec_lo, exec_lo, s15
	s_and_saveexec_b32 s15, s28
	s_cbranch_execz .LBB1463_536
.LBB1463_600:                           ;   in Loop: Header=BB1463_393 Depth=2
	v_lshlrev_b32_e32 v2, 2, v120
	v_add_nc_u32_e32 v36, v70, v44
	ds_load_b32 v2, v2
	ds_load_b64 v[36:37], v36 offset:29696
	s_wait_dscnt 0x1
	v_add_nc_u32_e32 v2, v2, v60
	s_delay_alu instid0(VALU_DEP_1) | instskip(NEXT) | instid1(VALU_DEP_1)
	v_lshlrev_b64_e32 v[39:40], 3, v[2:3]
	v_add_co_u32 v39, vcc_lo, s46, v39
	s_wait_alu 0xfffd
	s_delay_alu instid0(VALU_DEP_2)
	v_add_co_ci_u32_e64 v40, null, s47, v40, vcc_lo
	s_wait_dscnt 0x0
	global_store_b64 v[39:40], v[36:37], off
	s_wait_alu 0xfffe
	s_or_b32 exec_lo, exec_lo, s15
	s_and_saveexec_b32 s15, s29
	s_cbranch_execnz .LBB1463_537
	s_branch .LBB1463_538
.LBB1463_601:                           ;   in Loop: Header=BB1463_17 Depth=1
	s_wait_loadcnt_dscnt 0x0
	s_barrier_signal -1
	s_barrier_wait -1
.LBB1463_602:                           ;   in Loop: Header=BB1463_17 Depth=1
	s_mov_b32 s0, 0
.LBB1463_603:                           ;   in Loop: Header=BB1463_17 Depth=1
	s_wait_alu 0xfffe
	s_and_not1_b32 vcc_lo, exec_lo, s0
	s_wait_alu 0xfffe
	s_cbranch_vccnz .LBB1463_16
; %bb.604:                              ;   in Loop: Header=BB1463_17 Depth=1
	s_and_b32 vcc_lo, exec_lo, s52
	s_mov_b32 s0, -1
	s_wait_alu 0xfffe
	s_cbranch_vccz .LBB1463_896
; %bb.605:                              ;   in Loop: Header=BB1463_17 Depth=1
	s_mov_b32 s9, s53
	s_mov_b32 s42, s33
	s_barrier_signal -1
	s_barrier_wait -1
	global_inv scope:SCOPE_SE
                                        ; implicit-def: $vgpr2
                                        ; implicit-def: $vgpr4
                                        ; implicit-def: $vgpr5
                                        ; implicit-def: $vgpr6
                                        ; implicit-def: $vgpr7
                                        ; implicit-def: $vgpr8
                                        ; implicit-def: $vgpr9
                                        ; implicit-def: $vgpr10
                                        ; implicit-def: $vgpr11
                                        ; implicit-def: $vgpr12
                                        ; implicit-def: $vgpr13
                                        ; implicit-def: $vgpr14
                                        ; implicit-def: $vgpr15
                                        ; implicit-def: $vgpr16
                                        ; implicit-def: $vgpr17
                                        ; implicit-def: $vgpr18
	s_branch .LBB1463_607
.LBB1463_606:                           ;   in Loop: Header=BB1463_607 Depth=2
	s_wait_alu 0xfffe
	s_or_b32 exec_lo, exec_lo, s0
	s_addk_co_i32 s9, 0xf000
	s_cmp_ge_u32 s10, s51
	s_mov_b32 s42, s10
	s_cbranch_scc1 .LBB1463_675
.LBB1463_607:                           ;   Parent Loop BB1463_17 Depth=1
                                        ; =>  This Inner Loop Header: Depth=2
	s_wait_alu 0xfffe
	s_add_co_i32 s10, s42, 0x1000
	s_mov_b32 s0, -1
	s_wait_alu 0xfffe
	s_cmp_gt_u32 s10, s51
                                        ; implicit-def: $vgpr19
                                        ; implicit-def: $vgpr20
                                        ; implicit-def: $vgpr21
                                        ; implicit-def: $vgpr22
                                        ; implicit-def: $vgpr23
                                        ; implicit-def: $vgpr24
                                        ; implicit-def: $vgpr25
                                        ; implicit-def: $vgpr26
                                        ; implicit-def: $vgpr27
                                        ; implicit-def: $vgpr28
                                        ; implicit-def: $vgpr29
                                        ; implicit-def: $vgpr30
                                        ; implicit-def: $vgpr31
                                        ; implicit-def: $vgpr32
                                        ; implicit-def: $vgpr33
                                        ; implicit-def: $vgpr34
	s_cbranch_scc1 .LBB1463_609
; %bb.608:                              ;   in Loop: Header=BB1463_607 Depth=2
	s_lshl_b64 s[0:1], s[42:43], 2
	s_wait_alu 0xfffe
	v_add_co_u32 v34, vcc_lo, v77, s0
	s_wait_alu 0xfffd
	v_add_co_ci_u32_e64 v35, null, s1, v78, vcc_lo
	s_mov_b32 s0, 0
	s_clause 0xf
	global_load_b32 v19, v[34:35], off
	global_load_b32 v20, v[34:35], off offset:1024
	global_load_b32 v21, v[34:35], off offset:2048
	;; [unrolled: 1-line block ×15, first 2 shown]
.LBB1463_609:                           ;   in Loop: Header=BB1463_607 Depth=2
	s_wait_alu 0xfffe
	s_and_not1_b32 vcc_lo, exec_lo, s0
	s_movk_i32 s0, 0x1000
	s_wait_alu 0xfffe
	s_cbranch_vccnz .LBB1463_628
; %bb.610:                              ;   in Loop: Header=BB1463_607 Depth=2
	s_lshl_b64 s[0:1], s[42:43], 2
	s_mov_b32 s11, exec_lo
	s_wait_alu 0xfffe
	s_add_nc_u64 s[0:1], s[36:37], s[0:1]
	v_cmpx_gt_u32_e64 s9, v1
	s_cbranch_execnz .LBB1463_660
; %bb.611:                              ;   in Loop: Header=BB1463_607 Depth=2
	s_or_b32 exec_lo, exec_lo, s11
	s_delay_alu instid0(SALU_CYCLE_1)
	s_mov_b32 s11, exec_lo
	v_cmpx_gt_u32_e64 s9, v45
	s_cbranch_execnz .LBB1463_661
.LBB1463_612:                           ;   in Loop: Header=BB1463_607 Depth=2
	s_wait_alu 0xfffe
	s_or_b32 exec_lo, exec_lo, s11
	s_delay_alu instid0(SALU_CYCLE_1)
	s_mov_b32 s11, exec_lo
	v_cmpx_gt_u32_e64 s9, v46
	s_cbranch_execnz .LBB1463_662
.LBB1463_613:                           ;   in Loop: Header=BB1463_607 Depth=2
	s_wait_alu 0xfffe
	s_or_b32 exec_lo, exec_lo, s11
	s_delay_alu instid0(SALU_CYCLE_1)
	s_mov_b32 s11, exec_lo
	v_cmpx_gt_u32_e64 s9, v47
	s_cbranch_execnz .LBB1463_663
.LBB1463_614:                           ;   in Loop: Header=BB1463_607 Depth=2
	s_wait_alu 0xfffe
	s_or_b32 exec_lo, exec_lo, s11
	s_delay_alu instid0(SALU_CYCLE_1)
	s_mov_b32 s11, exec_lo
	v_cmpx_gt_u32_e64 s9, v50
	s_cbranch_execnz .LBB1463_664
.LBB1463_615:                           ;   in Loop: Header=BB1463_607 Depth=2
	s_wait_alu 0xfffe
	s_or_b32 exec_lo, exec_lo, s11
	s_delay_alu instid0(SALU_CYCLE_1)
	s_mov_b32 s11, exec_lo
	v_cmpx_gt_u32_e64 s9, v51
	s_cbranch_execnz .LBB1463_665
.LBB1463_616:                           ;   in Loop: Header=BB1463_607 Depth=2
	s_wait_alu 0xfffe
	s_or_b32 exec_lo, exec_lo, s11
	s_delay_alu instid0(SALU_CYCLE_1)
	s_mov_b32 s11, exec_lo
	v_cmpx_gt_u32_e64 s9, v52
	s_cbranch_execnz .LBB1463_666
.LBB1463_617:                           ;   in Loop: Header=BB1463_607 Depth=2
	s_wait_alu 0xfffe
	s_or_b32 exec_lo, exec_lo, s11
	s_delay_alu instid0(SALU_CYCLE_1)
	s_mov_b32 s11, exec_lo
	v_cmpx_gt_u32_e64 s9, v53
	s_cbranch_execnz .LBB1463_667
.LBB1463_618:                           ;   in Loop: Header=BB1463_607 Depth=2
	s_wait_alu 0xfffe
	s_or_b32 exec_lo, exec_lo, s11
	s_delay_alu instid0(SALU_CYCLE_1)
	s_mov_b32 s11, exec_lo
	v_cmpx_gt_u32_e64 s9, v54
	s_cbranch_execnz .LBB1463_668
.LBB1463_619:                           ;   in Loop: Header=BB1463_607 Depth=2
	s_wait_alu 0xfffe
	s_or_b32 exec_lo, exec_lo, s11
	s_delay_alu instid0(SALU_CYCLE_1)
	s_mov_b32 s11, exec_lo
	v_cmpx_gt_u32_e64 s9, v55
	s_cbranch_execnz .LBB1463_669
.LBB1463_620:                           ;   in Loop: Header=BB1463_607 Depth=2
	s_wait_alu 0xfffe
	s_or_b32 exec_lo, exec_lo, s11
	s_delay_alu instid0(SALU_CYCLE_1)
	s_mov_b32 s11, exec_lo
	v_cmpx_gt_u32_e64 s9, v56
	s_cbranch_execnz .LBB1463_670
.LBB1463_621:                           ;   in Loop: Header=BB1463_607 Depth=2
	s_wait_alu 0xfffe
	s_or_b32 exec_lo, exec_lo, s11
	s_delay_alu instid0(SALU_CYCLE_1)
	s_mov_b32 s11, exec_lo
	v_cmpx_gt_u32_e64 s9, v57
	s_cbranch_execnz .LBB1463_671
.LBB1463_622:                           ;   in Loop: Header=BB1463_607 Depth=2
	s_wait_alu 0xfffe
	s_or_b32 exec_lo, exec_lo, s11
	s_delay_alu instid0(SALU_CYCLE_1)
	s_mov_b32 s11, exec_lo
	v_cmpx_gt_u32_e64 s9, v58
	s_cbranch_execnz .LBB1463_672
.LBB1463_623:                           ;   in Loop: Header=BB1463_607 Depth=2
	s_wait_alu 0xfffe
	s_or_b32 exec_lo, exec_lo, s11
	s_delay_alu instid0(SALU_CYCLE_1)
	s_mov_b32 s11, exec_lo
	v_cmpx_gt_u32_e64 s9, v59
	s_cbranch_execnz .LBB1463_673
.LBB1463_624:                           ;   in Loop: Header=BB1463_607 Depth=2
	s_wait_alu 0xfffe
	s_or_b32 exec_lo, exec_lo, s11
	s_delay_alu instid0(SALU_CYCLE_1)
	s_mov_b32 s11, exec_lo
	v_cmpx_gt_u32_e64 s9, v60
	s_cbranch_execnz .LBB1463_674
.LBB1463_625:                           ;   in Loop: Header=BB1463_607 Depth=2
	s_wait_alu 0xfffe
	s_or_b32 exec_lo, exec_lo, s11
	s_delay_alu instid0(SALU_CYCLE_1)
	s_mov_b32 s11, exec_lo
	v_cmpx_gt_u32_e64 s9, v61
	s_cbranch_execz .LBB1463_627
.LBB1463_626:                           ;   in Loop: Header=BB1463_607 Depth=2
	global_load_b32 v2, v108, s[0:1] offset:15360
.LBB1463_627:                           ;   in Loop: Header=BB1463_607 Depth=2
	s_wait_alu 0xfffe
	s_or_b32 exec_lo, exec_lo, s11
	s_wait_loadcnt 0x0
	v_dual_mov_b32 v19, v18 :: v_dual_mov_b32 v20, v17
	v_dual_mov_b32 v21, v16 :: v_dual_mov_b32 v22, v15
	;; [unrolled: 1-line block ×8, first 2 shown]
	s_mov_b32 s0, s9
.LBB1463_628:                           ;   in Loop: Header=BB1463_607 Depth=2
	s_wait_loadcnt 0x0
	s_delay_alu instid0(VALU_DEP_1) | instskip(NEXT) | instid1(VALU_DEP_2)
	v_dual_mov_b32 v2, v34 :: v_dual_mov_b32 v5, v32
	v_dual_mov_b32 v4, v33 :: v_dual_mov_b32 v7, v30
	;; [unrolled: 1-line block ×7, first 2 shown]
	v_mov_b32_e32 v16, v21
	v_mov_b32_e32 v18, v19
	s_mov_b32 s1, exec_lo
	s_wait_alu 0xfffe
	v_cmpx_gt_u32_e64 s0, v1
	s_cbranch_execnz .LBB1463_644
; %bb.629:                              ;   in Loop: Header=BB1463_607 Depth=2
	s_or_b32 exec_lo, exec_lo, s1
	s_delay_alu instid0(SALU_CYCLE_1)
	s_mov_b32 s1, exec_lo
	v_cmpx_gt_u32_e64 s0, v45
	s_cbranch_execnz .LBB1463_645
.LBB1463_630:                           ;   in Loop: Header=BB1463_607 Depth=2
	s_wait_alu 0xfffe
	s_or_b32 exec_lo, exec_lo, s1
	s_delay_alu instid0(SALU_CYCLE_1)
	s_mov_b32 s1, exec_lo
	v_cmpx_gt_u32_e64 s0, v46
	s_cbranch_execnz .LBB1463_646
.LBB1463_631:                           ;   in Loop: Header=BB1463_607 Depth=2
	s_wait_alu 0xfffe
	s_or_b32 exec_lo, exec_lo, s1
	s_delay_alu instid0(SALU_CYCLE_1)
	s_mov_b32 s1, exec_lo
	v_cmpx_gt_u32_e64 s0, v47
	s_cbranch_execnz .LBB1463_647
.LBB1463_632:                           ;   in Loop: Header=BB1463_607 Depth=2
	s_wait_alu 0xfffe
	s_or_b32 exec_lo, exec_lo, s1
	s_delay_alu instid0(SALU_CYCLE_1)
	s_mov_b32 s1, exec_lo
	v_cmpx_gt_u32_e64 s0, v50
	s_cbranch_execnz .LBB1463_648
.LBB1463_633:                           ;   in Loop: Header=BB1463_607 Depth=2
	s_wait_alu 0xfffe
	s_or_b32 exec_lo, exec_lo, s1
	s_delay_alu instid0(SALU_CYCLE_1)
	s_mov_b32 s1, exec_lo
	v_cmpx_gt_u32_e64 s0, v51
	s_cbranch_execnz .LBB1463_649
.LBB1463_634:                           ;   in Loop: Header=BB1463_607 Depth=2
	s_wait_alu 0xfffe
	s_or_b32 exec_lo, exec_lo, s1
	s_delay_alu instid0(SALU_CYCLE_1)
	s_mov_b32 s1, exec_lo
	v_cmpx_gt_u32_e64 s0, v52
	s_cbranch_execnz .LBB1463_650
.LBB1463_635:                           ;   in Loop: Header=BB1463_607 Depth=2
	s_wait_alu 0xfffe
	s_or_b32 exec_lo, exec_lo, s1
	s_delay_alu instid0(SALU_CYCLE_1)
	s_mov_b32 s1, exec_lo
	v_cmpx_gt_u32_e64 s0, v53
	s_cbranch_execnz .LBB1463_651
.LBB1463_636:                           ;   in Loop: Header=BB1463_607 Depth=2
	s_wait_alu 0xfffe
	s_or_b32 exec_lo, exec_lo, s1
	s_delay_alu instid0(SALU_CYCLE_1)
	s_mov_b32 s1, exec_lo
	v_cmpx_gt_u32_e64 s0, v54
	s_cbranch_execnz .LBB1463_652
.LBB1463_637:                           ;   in Loop: Header=BB1463_607 Depth=2
	s_wait_alu 0xfffe
	s_or_b32 exec_lo, exec_lo, s1
	s_delay_alu instid0(SALU_CYCLE_1)
	s_mov_b32 s1, exec_lo
	v_cmpx_gt_u32_e64 s0, v55
	s_cbranch_execnz .LBB1463_653
.LBB1463_638:                           ;   in Loop: Header=BB1463_607 Depth=2
	s_wait_alu 0xfffe
	s_or_b32 exec_lo, exec_lo, s1
	s_delay_alu instid0(SALU_CYCLE_1)
	s_mov_b32 s1, exec_lo
	v_cmpx_gt_u32_e64 s0, v56
	s_cbranch_execnz .LBB1463_654
.LBB1463_639:                           ;   in Loop: Header=BB1463_607 Depth=2
	s_wait_alu 0xfffe
	s_or_b32 exec_lo, exec_lo, s1
	s_delay_alu instid0(SALU_CYCLE_1)
	s_mov_b32 s1, exec_lo
	v_cmpx_gt_u32_e64 s0, v57
	s_cbranch_execnz .LBB1463_655
.LBB1463_640:                           ;   in Loop: Header=BB1463_607 Depth=2
	s_wait_alu 0xfffe
	s_or_b32 exec_lo, exec_lo, s1
	s_delay_alu instid0(SALU_CYCLE_1)
	s_mov_b32 s1, exec_lo
	v_cmpx_gt_u32_e64 s0, v58
	s_cbranch_execnz .LBB1463_656
.LBB1463_641:                           ;   in Loop: Header=BB1463_607 Depth=2
	s_wait_alu 0xfffe
	s_or_b32 exec_lo, exec_lo, s1
	s_delay_alu instid0(SALU_CYCLE_1)
	s_mov_b32 s1, exec_lo
	v_cmpx_gt_u32_e64 s0, v59
	s_cbranch_execnz .LBB1463_657
.LBB1463_642:                           ;   in Loop: Header=BB1463_607 Depth=2
	s_wait_alu 0xfffe
	s_or_b32 exec_lo, exec_lo, s1
	s_delay_alu instid0(SALU_CYCLE_1)
	s_mov_b32 s1, exec_lo
	v_cmpx_gt_u32_e64 s0, v60
	s_cbranch_execnz .LBB1463_658
.LBB1463_643:                           ;   in Loop: Header=BB1463_607 Depth=2
	s_wait_alu 0xfffe
	s_or_b32 exec_lo, exec_lo, s1
	v_cmp_gt_u32_e32 vcc_lo, s0, v61
	s_and_saveexec_b32 s0, vcc_lo
	s_cbranch_execz .LBB1463_606
	s_branch .LBB1463_659
.LBB1463_644:                           ;   in Loop: Header=BB1463_607 Depth=2
	v_cmp_lt_i32_e32 vcc_lo, -1, v18
	s_wait_alu 0xfffd
	v_cndmask_b32_e64 v19, -1, 0x80000000, vcc_lo
	s_delay_alu instid0(VALU_DEP_1) | instskip(NEXT) | instid1(VALU_DEP_1)
	v_xor_b32_e32 v19, v19, v18
	v_cmp_ne_u32_e32 vcc_lo, 0x7fffffff, v19
	s_wait_alu 0xfffd
	v_cndmask_b32_e32 v19, 0x80000000, v19, vcc_lo
	s_delay_alu instid0(VALU_DEP_1) | instskip(NEXT) | instid1(VALU_DEP_1)
	v_lshrrev_b32_e32 v19, s49, v19
	v_and_b32_e32 v19, s48, v19
	s_delay_alu instid0(VALU_DEP_1) | instskip(SKIP_2) | instid1(SALU_CYCLE_1)
	v_lshl_or_b32 v19, v19, 4, v62
	ds_add_u32 v19, v84
	s_or_b32 exec_lo, exec_lo, s1
	s_mov_b32 s1, exec_lo
	v_cmpx_gt_u32_e64 s0, v45
	s_cbranch_execz .LBB1463_630
.LBB1463_645:                           ;   in Loop: Header=BB1463_607 Depth=2
	v_cmp_lt_i32_e32 vcc_lo, -1, v17
	s_wait_alu 0xfffd
	v_cndmask_b32_e64 v19, -1, 0x80000000, vcc_lo
	s_delay_alu instid0(VALU_DEP_1) | instskip(NEXT) | instid1(VALU_DEP_1)
	v_xor_b32_e32 v19, v19, v17
	v_cmp_ne_u32_e32 vcc_lo, 0x7fffffff, v19
	s_wait_alu 0xfffd
	v_cndmask_b32_e32 v19, 0x80000000, v19, vcc_lo
	s_delay_alu instid0(VALU_DEP_1) | instskip(NEXT) | instid1(VALU_DEP_1)
	v_lshrrev_b32_e32 v19, s49, v19
	v_and_b32_e32 v19, s48, v19
	s_delay_alu instid0(VALU_DEP_1) | instskip(SKIP_3) | instid1(SALU_CYCLE_1)
	v_lshl_or_b32 v19, v19, 4, v62
	ds_add_u32 v19, v84
	s_wait_alu 0xfffe
	s_or_b32 exec_lo, exec_lo, s1
	s_mov_b32 s1, exec_lo
	v_cmpx_gt_u32_e64 s0, v46
	s_cbranch_execz .LBB1463_631
.LBB1463_646:                           ;   in Loop: Header=BB1463_607 Depth=2
	v_cmp_lt_i32_e32 vcc_lo, -1, v16
	s_wait_alu 0xfffd
	v_cndmask_b32_e64 v19, -1, 0x80000000, vcc_lo
	s_delay_alu instid0(VALU_DEP_1) | instskip(NEXT) | instid1(VALU_DEP_1)
	v_xor_b32_e32 v19, v19, v16
	v_cmp_ne_u32_e32 vcc_lo, 0x7fffffff, v19
	s_wait_alu 0xfffd
	v_cndmask_b32_e32 v19, 0x80000000, v19, vcc_lo
	s_delay_alu instid0(VALU_DEP_1) | instskip(NEXT) | instid1(VALU_DEP_1)
	v_lshrrev_b32_e32 v19, s49, v19
	v_and_b32_e32 v19, s48, v19
	s_delay_alu instid0(VALU_DEP_1) | instskip(SKIP_3) | instid1(SALU_CYCLE_1)
	v_lshl_or_b32 v19, v19, 4, v62
	ds_add_u32 v19, v84
	s_wait_alu 0xfffe
	s_or_b32 exec_lo, exec_lo, s1
	s_mov_b32 s1, exec_lo
	v_cmpx_gt_u32_e64 s0, v47
	s_cbranch_execz .LBB1463_632
.LBB1463_647:                           ;   in Loop: Header=BB1463_607 Depth=2
	v_cmp_lt_i32_e32 vcc_lo, -1, v15
	s_wait_alu 0xfffd
	v_cndmask_b32_e64 v19, -1, 0x80000000, vcc_lo
	s_delay_alu instid0(VALU_DEP_1) | instskip(NEXT) | instid1(VALU_DEP_1)
	v_xor_b32_e32 v19, v19, v15
	v_cmp_ne_u32_e32 vcc_lo, 0x7fffffff, v19
	s_wait_alu 0xfffd
	v_cndmask_b32_e32 v19, 0x80000000, v19, vcc_lo
	s_delay_alu instid0(VALU_DEP_1) | instskip(NEXT) | instid1(VALU_DEP_1)
	v_lshrrev_b32_e32 v19, s49, v19
	v_and_b32_e32 v19, s48, v19
	s_delay_alu instid0(VALU_DEP_1) | instskip(SKIP_3) | instid1(SALU_CYCLE_1)
	v_lshl_or_b32 v19, v19, 4, v62
	ds_add_u32 v19, v84
	s_wait_alu 0xfffe
	s_or_b32 exec_lo, exec_lo, s1
	s_mov_b32 s1, exec_lo
	v_cmpx_gt_u32_e64 s0, v50
	s_cbranch_execz .LBB1463_633
.LBB1463_648:                           ;   in Loop: Header=BB1463_607 Depth=2
	v_cmp_lt_i32_e32 vcc_lo, -1, v14
	s_wait_alu 0xfffd
	v_cndmask_b32_e64 v19, -1, 0x80000000, vcc_lo
	s_delay_alu instid0(VALU_DEP_1) | instskip(NEXT) | instid1(VALU_DEP_1)
	v_xor_b32_e32 v19, v19, v14
	v_cmp_ne_u32_e32 vcc_lo, 0x7fffffff, v19
	s_wait_alu 0xfffd
	v_cndmask_b32_e32 v19, 0x80000000, v19, vcc_lo
	s_delay_alu instid0(VALU_DEP_1) | instskip(NEXT) | instid1(VALU_DEP_1)
	v_lshrrev_b32_e32 v19, s49, v19
	v_and_b32_e32 v19, s48, v19
	s_delay_alu instid0(VALU_DEP_1) | instskip(SKIP_3) | instid1(SALU_CYCLE_1)
	v_lshl_or_b32 v19, v19, 4, v62
	ds_add_u32 v19, v84
	s_wait_alu 0xfffe
	s_or_b32 exec_lo, exec_lo, s1
	s_mov_b32 s1, exec_lo
	v_cmpx_gt_u32_e64 s0, v51
	s_cbranch_execz .LBB1463_634
.LBB1463_649:                           ;   in Loop: Header=BB1463_607 Depth=2
	v_cmp_lt_i32_e32 vcc_lo, -1, v13
	s_wait_alu 0xfffd
	v_cndmask_b32_e64 v19, -1, 0x80000000, vcc_lo
	s_delay_alu instid0(VALU_DEP_1) | instskip(NEXT) | instid1(VALU_DEP_1)
	v_xor_b32_e32 v19, v19, v13
	v_cmp_ne_u32_e32 vcc_lo, 0x7fffffff, v19
	s_wait_alu 0xfffd
	v_cndmask_b32_e32 v19, 0x80000000, v19, vcc_lo
	s_delay_alu instid0(VALU_DEP_1) | instskip(NEXT) | instid1(VALU_DEP_1)
	v_lshrrev_b32_e32 v19, s49, v19
	v_and_b32_e32 v19, s48, v19
	s_delay_alu instid0(VALU_DEP_1) | instskip(SKIP_3) | instid1(SALU_CYCLE_1)
	v_lshl_or_b32 v19, v19, 4, v62
	ds_add_u32 v19, v84
	s_wait_alu 0xfffe
	s_or_b32 exec_lo, exec_lo, s1
	s_mov_b32 s1, exec_lo
	v_cmpx_gt_u32_e64 s0, v52
	s_cbranch_execz .LBB1463_635
.LBB1463_650:                           ;   in Loop: Header=BB1463_607 Depth=2
	v_cmp_lt_i32_e32 vcc_lo, -1, v12
	s_wait_alu 0xfffd
	v_cndmask_b32_e64 v19, -1, 0x80000000, vcc_lo
	s_delay_alu instid0(VALU_DEP_1) | instskip(NEXT) | instid1(VALU_DEP_1)
	v_xor_b32_e32 v19, v19, v12
	v_cmp_ne_u32_e32 vcc_lo, 0x7fffffff, v19
	s_wait_alu 0xfffd
	v_cndmask_b32_e32 v19, 0x80000000, v19, vcc_lo
	s_delay_alu instid0(VALU_DEP_1) | instskip(NEXT) | instid1(VALU_DEP_1)
	v_lshrrev_b32_e32 v19, s49, v19
	v_and_b32_e32 v19, s48, v19
	s_delay_alu instid0(VALU_DEP_1) | instskip(SKIP_3) | instid1(SALU_CYCLE_1)
	v_lshl_or_b32 v19, v19, 4, v62
	ds_add_u32 v19, v84
	s_wait_alu 0xfffe
	s_or_b32 exec_lo, exec_lo, s1
	s_mov_b32 s1, exec_lo
	v_cmpx_gt_u32_e64 s0, v53
	s_cbranch_execz .LBB1463_636
.LBB1463_651:                           ;   in Loop: Header=BB1463_607 Depth=2
	v_cmp_lt_i32_e32 vcc_lo, -1, v11
	s_wait_alu 0xfffd
	v_cndmask_b32_e64 v19, -1, 0x80000000, vcc_lo
	s_delay_alu instid0(VALU_DEP_1) | instskip(NEXT) | instid1(VALU_DEP_1)
	v_xor_b32_e32 v19, v19, v11
	v_cmp_ne_u32_e32 vcc_lo, 0x7fffffff, v19
	s_wait_alu 0xfffd
	v_cndmask_b32_e32 v19, 0x80000000, v19, vcc_lo
	s_delay_alu instid0(VALU_DEP_1) | instskip(NEXT) | instid1(VALU_DEP_1)
	v_lshrrev_b32_e32 v19, s49, v19
	v_and_b32_e32 v19, s48, v19
	s_delay_alu instid0(VALU_DEP_1) | instskip(SKIP_3) | instid1(SALU_CYCLE_1)
	v_lshl_or_b32 v19, v19, 4, v62
	ds_add_u32 v19, v84
	s_wait_alu 0xfffe
	s_or_b32 exec_lo, exec_lo, s1
	s_mov_b32 s1, exec_lo
	v_cmpx_gt_u32_e64 s0, v54
	s_cbranch_execz .LBB1463_637
.LBB1463_652:                           ;   in Loop: Header=BB1463_607 Depth=2
	v_cmp_lt_i32_e32 vcc_lo, -1, v10
	s_wait_alu 0xfffd
	v_cndmask_b32_e64 v19, -1, 0x80000000, vcc_lo
	s_delay_alu instid0(VALU_DEP_1) | instskip(NEXT) | instid1(VALU_DEP_1)
	v_xor_b32_e32 v19, v19, v10
	v_cmp_ne_u32_e32 vcc_lo, 0x7fffffff, v19
	s_wait_alu 0xfffd
	v_cndmask_b32_e32 v19, 0x80000000, v19, vcc_lo
	s_delay_alu instid0(VALU_DEP_1) | instskip(NEXT) | instid1(VALU_DEP_1)
	v_lshrrev_b32_e32 v19, s49, v19
	v_and_b32_e32 v19, s48, v19
	s_delay_alu instid0(VALU_DEP_1) | instskip(SKIP_3) | instid1(SALU_CYCLE_1)
	v_lshl_or_b32 v19, v19, 4, v62
	ds_add_u32 v19, v84
	s_wait_alu 0xfffe
	s_or_b32 exec_lo, exec_lo, s1
	s_mov_b32 s1, exec_lo
	v_cmpx_gt_u32_e64 s0, v55
	s_cbranch_execz .LBB1463_638
.LBB1463_653:                           ;   in Loop: Header=BB1463_607 Depth=2
	v_cmp_lt_i32_e32 vcc_lo, -1, v9
	s_wait_alu 0xfffd
	v_cndmask_b32_e64 v19, -1, 0x80000000, vcc_lo
	s_delay_alu instid0(VALU_DEP_1) | instskip(NEXT) | instid1(VALU_DEP_1)
	v_xor_b32_e32 v19, v19, v9
	v_cmp_ne_u32_e32 vcc_lo, 0x7fffffff, v19
	s_wait_alu 0xfffd
	v_cndmask_b32_e32 v19, 0x80000000, v19, vcc_lo
	s_delay_alu instid0(VALU_DEP_1) | instskip(NEXT) | instid1(VALU_DEP_1)
	v_lshrrev_b32_e32 v19, s49, v19
	v_and_b32_e32 v19, s48, v19
	s_delay_alu instid0(VALU_DEP_1) | instskip(SKIP_3) | instid1(SALU_CYCLE_1)
	v_lshl_or_b32 v19, v19, 4, v62
	ds_add_u32 v19, v84
	s_wait_alu 0xfffe
	s_or_b32 exec_lo, exec_lo, s1
	s_mov_b32 s1, exec_lo
	v_cmpx_gt_u32_e64 s0, v56
	s_cbranch_execz .LBB1463_639
.LBB1463_654:                           ;   in Loop: Header=BB1463_607 Depth=2
	v_cmp_lt_i32_e32 vcc_lo, -1, v8
	s_wait_alu 0xfffd
	v_cndmask_b32_e64 v19, -1, 0x80000000, vcc_lo
	s_delay_alu instid0(VALU_DEP_1) | instskip(NEXT) | instid1(VALU_DEP_1)
	v_xor_b32_e32 v19, v19, v8
	v_cmp_ne_u32_e32 vcc_lo, 0x7fffffff, v19
	s_wait_alu 0xfffd
	v_cndmask_b32_e32 v19, 0x80000000, v19, vcc_lo
	s_delay_alu instid0(VALU_DEP_1) | instskip(NEXT) | instid1(VALU_DEP_1)
	v_lshrrev_b32_e32 v19, s49, v19
	v_and_b32_e32 v19, s48, v19
	s_delay_alu instid0(VALU_DEP_1) | instskip(SKIP_3) | instid1(SALU_CYCLE_1)
	v_lshl_or_b32 v19, v19, 4, v62
	ds_add_u32 v19, v84
	s_wait_alu 0xfffe
	s_or_b32 exec_lo, exec_lo, s1
	s_mov_b32 s1, exec_lo
	v_cmpx_gt_u32_e64 s0, v57
	s_cbranch_execz .LBB1463_640
.LBB1463_655:                           ;   in Loop: Header=BB1463_607 Depth=2
	v_cmp_lt_i32_e32 vcc_lo, -1, v7
	s_wait_alu 0xfffd
	v_cndmask_b32_e64 v19, -1, 0x80000000, vcc_lo
	s_delay_alu instid0(VALU_DEP_1) | instskip(NEXT) | instid1(VALU_DEP_1)
	v_xor_b32_e32 v19, v19, v7
	v_cmp_ne_u32_e32 vcc_lo, 0x7fffffff, v19
	s_wait_alu 0xfffd
	v_cndmask_b32_e32 v19, 0x80000000, v19, vcc_lo
	s_delay_alu instid0(VALU_DEP_1) | instskip(NEXT) | instid1(VALU_DEP_1)
	v_lshrrev_b32_e32 v19, s49, v19
	v_and_b32_e32 v19, s48, v19
	s_delay_alu instid0(VALU_DEP_1) | instskip(SKIP_3) | instid1(SALU_CYCLE_1)
	v_lshl_or_b32 v19, v19, 4, v62
	ds_add_u32 v19, v84
	s_wait_alu 0xfffe
	s_or_b32 exec_lo, exec_lo, s1
	s_mov_b32 s1, exec_lo
	v_cmpx_gt_u32_e64 s0, v58
	s_cbranch_execz .LBB1463_641
.LBB1463_656:                           ;   in Loop: Header=BB1463_607 Depth=2
	v_cmp_lt_i32_e32 vcc_lo, -1, v6
	s_wait_alu 0xfffd
	v_cndmask_b32_e64 v19, -1, 0x80000000, vcc_lo
	s_delay_alu instid0(VALU_DEP_1) | instskip(NEXT) | instid1(VALU_DEP_1)
	v_xor_b32_e32 v19, v19, v6
	v_cmp_ne_u32_e32 vcc_lo, 0x7fffffff, v19
	s_wait_alu 0xfffd
	v_cndmask_b32_e32 v19, 0x80000000, v19, vcc_lo
	s_delay_alu instid0(VALU_DEP_1) | instskip(NEXT) | instid1(VALU_DEP_1)
	v_lshrrev_b32_e32 v19, s49, v19
	v_and_b32_e32 v19, s48, v19
	s_delay_alu instid0(VALU_DEP_1) | instskip(SKIP_3) | instid1(SALU_CYCLE_1)
	v_lshl_or_b32 v19, v19, 4, v62
	ds_add_u32 v19, v84
	s_wait_alu 0xfffe
	s_or_b32 exec_lo, exec_lo, s1
	s_mov_b32 s1, exec_lo
	v_cmpx_gt_u32_e64 s0, v59
	s_cbranch_execz .LBB1463_642
.LBB1463_657:                           ;   in Loop: Header=BB1463_607 Depth=2
	v_cmp_lt_i32_e32 vcc_lo, -1, v5
	s_wait_alu 0xfffd
	v_cndmask_b32_e64 v19, -1, 0x80000000, vcc_lo
	s_delay_alu instid0(VALU_DEP_1) | instskip(NEXT) | instid1(VALU_DEP_1)
	v_xor_b32_e32 v19, v19, v5
	v_cmp_ne_u32_e32 vcc_lo, 0x7fffffff, v19
	s_wait_alu 0xfffd
	v_cndmask_b32_e32 v19, 0x80000000, v19, vcc_lo
	s_delay_alu instid0(VALU_DEP_1) | instskip(NEXT) | instid1(VALU_DEP_1)
	v_lshrrev_b32_e32 v19, s49, v19
	v_and_b32_e32 v19, s48, v19
	s_delay_alu instid0(VALU_DEP_1) | instskip(SKIP_3) | instid1(SALU_CYCLE_1)
	v_lshl_or_b32 v19, v19, 4, v62
	ds_add_u32 v19, v84
	s_wait_alu 0xfffe
	s_or_b32 exec_lo, exec_lo, s1
	s_mov_b32 s1, exec_lo
	v_cmpx_gt_u32_e64 s0, v60
	s_cbranch_execz .LBB1463_643
.LBB1463_658:                           ;   in Loop: Header=BB1463_607 Depth=2
	v_cmp_lt_i32_e32 vcc_lo, -1, v4
	s_wait_alu 0xfffd
	v_cndmask_b32_e64 v19, -1, 0x80000000, vcc_lo
	s_delay_alu instid0(VALU_DEP_1) | instskip(NEXT) | instid1(VALU_DEP_1)
	v_xor_b32_e32 v19, v19, v4
	v_cmp_ne_u32_e32 vcc_lo, 0x7fffffff, v19
	s_wait_alu 0xfffd
	v_cndmask_b32_e32 v19, 0x80000000, v19, vcc_lo
	s_delay_alu instid0(VALU_DEP_1) | instskip(NEXT) | instid1(VALU_DEP_1)
	v_lshrrev_b32_e32 v19, s49, v19
	v_and_b32_e32 v19, s48, v19
	s_delay_alu instid0(VALU_DEP_1)
	v_lshl_or_b32 v19, v19, 4, v62
	ds_add_u32 v19, v84
	s_wait_alu 0xfffe
	s_or_b32 exec_lo, exec_lo, s1
	v_cmp_gt_u32_e32 vcc_lo, s0, v61
	s_and_saveexec_b32 s0, vcc_lo
	s_cbranch_execz .LBB1463_606
.LBB1463_659:                           ;   in Loop: Header=BB1463_607 Depth=2
	v_cmp_lt_i32_e32 vcc_lo, -1, v2
	s_wait_alu 0xfffd
	v_cndmask_b32_e64 v19, -1, 0x80000000, vcc_lo
	s_delay_alu instid0(VALU_DEP_1) | instskip(NEXT) | instid1(VALU_DEP_1)
	v_xor_b32_e32 v19, v19, v2
	v_cmp_ne_u32_e32 vcc_lo, 0x7fffffff, v19
	s_wait_alu 0xfffd
	v_cndmask_b32_e32 v19, 0x80000000, v19, vcc_lo
	s_delay_alu instid0(VALU_DEP_1) | instskip(NEXT) | instid1(VALU_DEP_1)
	v_lshrrev_b32_e32 v19, s49, v19
	v_and_b32_e32 v19, s48, v19
	s_delay_alu instid0(VALU_DEP_1)
	v_lshl_or_b32 v19, v19, 4, v62
	ds_add_u32 v19, v84
	s_branch .LBB1463_606
.LBB1463_660:                           ;   in Loop: Header=BB1463_607 Depth=2
	global_load_b32 v18, v108, s[0:1]
	s_or_b32 exec_lo, exec_lo, s11
	s_delay_alu instid0(SALU_CYCLE_1)
	s_mov_b32 s11, exec_lo
	v_cmpx_gt_u32_e64 s9, v45
	s_cbranch_execz .LBB1463_612
.LBB1463_661:                           ;   in Loop: Header=BB1463_607 Depth=2
	global_load_b32 v17, v108, s[0:1] offset:1024
	s_wait_alu 0xfffe
	s_or_b32 exec_lo, exec_lo, s11
	s_delay_alu instid0(SALU_CYCLE_1)
	s_mov_b32 s11, exec_lo
	v_cmpx_gt_u32_e64 s9, v46
	s_cbranch_execz .LBB1463_613
.LBB1463_662:                           ;   in Loop: Header=BB1463_607 Depth=2
	global_load_b32 v16, v108, s[0:1] offset:2048
	s_wait_alu 0xfffe
	s_or_b32 exec_lo, exec_lo, s11
	s_delay_alu instid0(SALU_CYCLE_1)
	s_mov_b32 s11, exec_lo
	v_cmpx_gt_u32_e64 s9, v47
	s_cbranch_execz .LBB1463_614
.LBB1463_663:                           ;   in Loop: Header=BB1463_607 Depth=2
	global_load_b32 v15, v108, s[0:1] offset:3072
	s_wait_alu 0xfffe
	s_or_b32 exec_lo, exec_lo, s11
	s_delay_alu instid0(SALU_CYCLE_1)
	s_mov_b32 s11, exec_lo
	v_cmpx_gt_u32_e64 s9, v50
	s_cbranch_execz .LBB1463_615
.LBB1463_664:                           ;   in Loop: Header=BB1463_607 Depth=2
	global_load_b32 v14, v108, s[0:1] offset:4096
	s_wait_alu 0xfffe
	s_or_b32 exec_lo, exec_lo, s11
	s_delay_alu instid0(SALU_CYCLE_1)
	s_mov_b32 s11, exec_lo
	v_cmpx_gt_u32_e64 s9, v51
	s_cbranch_execz .LBB1463_616
.LBB1463_665:                           ;   in Loop: Header=BB1463_607 Depth=2
	global_load_b32 v13, v108, s[0:1] offset:5120
	s_wait_alu 0xfffe
	s_or_b32 exec_lo, exec_lo, s11
	s_delay_alu instid0(SALU_CYCLE_1)
	s_mov_b32 s11, exec_lo
	v_cmpx_gt_u32_e64 s9, v52
	s_cbranch_execz .LBB1463_617
.LBB1463_666:                           ;   in Loop: Header=BB1463_607 Depth=2
	global_load_b32 v12, v108, s[0:1] offset:6144
	s_wait_alu 0xfffe
	s_or_b32 exec_lo, exec_lo, s11
	s_delay_alu instid0(SALU_CYCLE_1)
	s_mov_b32 s11, exec_lo
	v_cmpx_gt_u32_e64 s9, v53
	s_cbranch_execz .LBB1463_618
.LBB1463_667:                           ;   in Loop: Header=BB1463_607 Depth=2
	global_load_b32 v11, v108, s[0:1] offset:7168
	s_wait_alu 0xfffe
	s_or_b32 exec_lo, exec_lo, s11
	s_delay_alu instid0(SALU_CYCLE_1)
	s_mov_b32 s11, exec_lo
	v_cmpx_gt_u32_e64 s9, v54
	s_cbranch_execz .LBB1463_619
.LBB1463_668:                           ;   in Loop: Header=BB1463_607 Depth=2
	global_load_b32 v10, v108, s[0:1] offset:8192
	s_wait_alu 0xfffe
	s_or_b32 exec_lo, exec_lo, s11
	s_delay_alu instid0(SALU_CYCLE_1)
	s_mov_b32 s11, exec_lo
	v_cmpx_gt_u32_e64 s9, v55
	s_cbranch_execz .LBB1463_620
.LBB1463_669:                           ;   in Loop: Header=BB1463_607 Depth=2
	global_load_b32 v9, v108, s[0:1] offset:9216
	s_wait_alu 0xfffe
	s_or_b32 exec_lo, exec_lo, s11
	s_delay_alu instid0(SALU_CYCLE_1)
	s_mov_b32 s11, exec_lo
	v_cmpx_gt_u32_e64 s9, v56
	s_cbranch_execz .LBB1463_621
.LBB1463_670:                           ;   in Loop: Header=BB1463_607 Depth=2
	global_load_b32 v8, v108, s[0:1] offset:10240
	s_wait_alu 0xfffe
	s_or_b32 exec_lo, exec_lo, s11
	s_delay_alu instid0(SALU_CYCLE_1)
	s_mov_b32 s11, exec_lo
	v_cmpx_gt_u32_e64 s9, v57
	s_cbranch_execz .LBB1463_622
.LBB1463_671:                           ;   in Loop: Header=BB1463_607 Depth=2
	global_load_b32 v7, v108, s[0:1] offset:11264
	s_wait_alu 0xfffe
	s_or_b32 exec_lo, exec_lo, s11
	s_delay_alu instid0(SALU_CYCLE_1)
	s_mov_b32 s11, exec_lo
	v_cmpx_gt_u32_e64 s9, v58
	s_cbranch_execz .LBB1463_623
.LBB1463_672:                           ;   in Loop: Header=BB1463_607 Depth=2
	global_load_b32 v6, v108, s[0:1] offset:12288
	s_wait_alu 0xfffe
	s_or_b32 exec_lo, exec_lo, s11
	s_delay_alu instid0(SALU_CYCLE_1)
	s_mov_b32 s11, exec_lo
	v_cmpx_gt_u32_e64 s9, v59
	s_cbranch_execz .LBB1463_624
.LBB1463_673:                           ;   in Loop: Header=BB1463_607 Depth=2
	global_load_b32 v5, v108, s[0:1] offset:13312
	s_wait_alu 0xfffe
	s_or_b32 exec_lo, exec_lo, s11
	s_delay_alu instid0(SALU_CYCLE_1)
	s_mov_b32 s11, exec_lo
	v_cmpx_gt_u32_e64 s9, v60
	s_cbranch_execz .LBB1463_625
.LBB1463_674:                           ;   in Loop: Header=BB1463_607 Depth=2
	global_load_b32 v4, v108, s[0:1] offset:14336
	s_wait_alu 0xfffe
	s_or_b32 exec_lo, exec_lo, s11
	s_delay_alu instid0(SALU_CYCLE_1)
	s_mov_b32 s11, exec_lo
	v_cmpx_gt_u32_e64 s9, v61
	s_cbranch_execnz .LBB1463_626
	s_branch .LBB1463_627
.LBB1463_675:                           ;   in Loop: Header=BB1463_17 Depth=1
	v_mov_b32_e32 v2, 0
	s_wait_dscnt 0x0
	s_barrier_signal -1
	s_barrier_wait -1
	global_inv scope:SCOPE_SE
	s_and_saveexec_b32 s0, s2
	s_cbranch_execz .LBB1463_677
; %bb.676:                              ;   in Loop: Header=BB1463_17 Depth=1
	ds_load_2addr_b64 v[4:7], v64 offset1:1
	s_wait_dscnt 0x0
	v_add_nc_u32_e32 v2, v5, v4
	s_delay_alu instid0(VALU_DEP_1)
	v_add3_u32 v2, v2, v6, v7
.LBB1463_677:                           ;   in Loop: Header=BB1463_17 Depth=1
	s_wait_alu 0xfffe
	s_or_b32 exec_lo, exec_lo, s0
	s_delay_alu instid0(VALU_DEP_1)
	v_mov_b32_dpp v4, v2 row_shr:1 row_mask:0xf bank_mask:0xf
	v_cmp_eq_u32_e64 s0, 0, v85
	v_cmp_lt_u32_e64 s1, 1, v85
	v_cmp_lt_u32_e64 s9, 3, v85
	v_cmp_lt_u32_e64 s10, 7, v85
	v_cmp_eq_u32_e64 s11, 0, v87
	s_wait_alu 0xf1ff
	v_cndmask_b32_e64 v4, v4, 0, s0
	s_delay_alu instid0(VALU_DEP_1) | instskip(NEXT) | instid1(VALU_DEP_1)
	v_add_nc_u32_e32 v2, v4, v2
	v_mov_b32_dpp v4, v2 row_shr:2 row_mask:0xf bank_mask:0xf
	s_delay_alu instid0(VALU_DEP_1) | instskip(NEXT) | instid1(VALU_DEP_1)
	v_cndmask_b32_e64 v4, 0, v4, s1
	v_add_nc_u32_e32 v2, v2, v4
	s_delay_alu instid0(VALU_DEP_1) | instskip(NEXT) | instid1(VALU_DEP_1)
	v_mov_b32_dpp v4, v2 row_shr:4 row_mask:0xf bank_mask:0xf
	v_cndmask_b32_e64 v4, 0, v4, s9
	s_delay_alu instid0(VALU_DEP_1) | instskip(NEXT) | instid1(VALU_DEP_1)
	v_add_nc_u32_e32 v2, v2, v4
	v_mov_b32_dpp v4, v2 row_shr:8 row_mask:0xf bank_mask:0xf
	s_delay_alu instid0(VALU_DEP_1) | instskip(NEXT) | instid1(VALU_DEP_1)
	v_cndmask_b32_e64 v4, 0, v4, s10
	v_add_nc_u32_e32 v2, v2, v4
	ds_swizzle_b32 v4, v2 offset:swizzle(BROADCAST,32,15)
	s_wait_dscnt 0x0
	v_and_b32_e32 v4, v86, v4
	s_delay_alu instid0(VALU_DEP_1)
	v_add_nc_u32_e32 v2, v2, v4
	s_and_saveexec_b32 s12, s3
; %bb.678:                              ;   in Loop: Header=BB1463_17 Depth=1
	ds_store_b32 v65, v2
; %bb.679:                              ;   in Loop: Header=BB1463_17 Depth=1
	s_wait_alu 0xfffe
	s_or_b32 exec_lo, exec_lo, s12
	s_wait_loadcnt_dscnt 0x0
	s_barrier_signal -1
	s_barrier_wait -1
	global_inv scope:SCOPE_SE
	s_and_saveexec_b32 s12, s4
	s_cbranch_execz .LBB1463_681
; %bb.680:                              ;   in Loop: Header=BB1463_17 Depth=1
	ds_load_b32 v4, v66
	v_cmp_ne_u32_e32 vcc_lo, 0, v89
	s_wait_dscnt 0x0
	v_mov_b32_dpp v5, v4 row_shr:1 row_mask:0xf bank_mask:0xf
	s_wait_alu 0xfffd
	s_delay_alu instid0(VALU_DEP_1) | instskip(SKIP_1) | instid1(VALU_DEP_2)
	v_cndmask_b32_e32 v5, 0, v5, vcc_lo
	v_cmp_lt_u32_e32 vcc_lo, 1, v89
	v_add_nc_u32_e32 v4, v5, v4
	s_delay_alu instid0(VALU_DEP_1) | instskip(SKIP_1) | instid1(VALU_DEP_1)
	v_mov_b32_dpp v5, v4 row_shr:2 row_mask:0xf bank_mask:0xf
	s_wait_alu 0xfffd
	v_cndmask_b32_e32 v5, 0, v5, vcc_lo
	v_cmp_lt_u32_e32 vcc_lo, 3, v89
	s_delay_alu instid0(VALU_DEP_2) | instskip(NEXT) | instid1(VALU_DEP_1)
	v_add_nc_u32_e32 v4, v4, v5
	v_mov_b32_dpp v5, v4 row_shr:4 row_mask:0xf bank_mask:0xf
	s_wait_alu 0xfffd
	s_delay_alu instid0(VALU_DEP_1) | instskip(NEXT) | instid1(VALU_DEP_1)
	v_cndmask_b32_e32 v5, 0, v5, vcc_lo
	v_add_nc_u32_e32 v4, v4, v5
	ds_store_b32 v66, v4
.LBB1463_681:                           ;   in Loop: Header=BB1463_17 Depth=1
	s_wait_alu 0xfffe
	s_or_b32 exec_lo, exec_lo, s12
	v_mov_b32_e32 v4, 0
	s_wait_loadcnt_dscnt 0x0
	s_barrier_signal -1
	s_barrier_wait -1
	global_inv scope:SCOPE_SE
	s_and_saveexec_b32 s12, s5
; %bb.682:                              ;   in Loop: Header=BB1463_17 Depth=1
	ds_load_b32 v4, v68
; %bb.683:                              ;   in Loop: Header=BB1463_17 Depth=1
	s_wait_alu 0xfffe
	s_or_b32 exec_lo, exec_lo, s12
	v_cmp_gt_i32_e32 vcc_lo, 0, v90
	s_wait_loadcnt_dscnt 0x0
	s_barrier_signal -1
	s_barrier_wait -1
	global_inv scope:SCOPE_SE
	s_wait_alu 0xfffd
	v_dual_cndmask_b32 v5, v90, v81 :: v_dual_add_nc_u32 v2, v4, v2
	s_delay_alu instid0(VALU_DEP_1)
	v_lshlrev_b32_e32 v113, 2, v5
	ds_bpermute_b32 v2, v113, v2
	s_and_saveexec_b32 s12, s2
	s_cbranch_execz .LBB1463_685
; %bb.684:                              ;   in Loop: Header=BB1463_17 Depth=1
	s_wait_dscnt 0x0
	v_cndmask_b32_e64 v2, v2, v4, s8
	s_delay_alu instid0(VALU_DEP_1)
	v_add_nc_u32_e32 v2, s33, v2
	ds_store_b32 v44, v2
.LBB1463_685:                           ;   in Loop: Header=BB1463_17 Depth=1
	s_wait_alu 0xfffe
	s_or_b32 exec_lo, exec_lo, s12
	s_load_b64 s[12:13], s[34:35], 0x0
	v_add_co_u32 v114, vcc_lo, v79, v91
	s_wait_alu 0xfffd
	v_add_co_ci_u32_e64 v115, null, 0, v80, vcc_lo
	v_add_co_u32 v116, vcc_lo, v82, v107
	s_wait_alu 0xfffd
	v_add_co_ci_u32_e64 v117, null, 0, v83, vcc_lo
	s_mov_b32 s54, s53
                                        ; implicit-def: $vgpr6_vgpr7
                                        ; implicit-def: $vgpr8_vgpr9
                                        ; implicit-def: $vgpr10_vgpr11
                                        ; implicit-def: $vgpr12_vgpr13
                                        ; implicit-def: $vgpr14_vgpr15
                                        ; implicit-def: $vgpr16_vgpr17
                                        ; implicit-def: $vgpr18_vgpr19
                                        ; implicit-def: $vgpr20_vgpr21
                                        ; implicit-def: $vgpr22_vgpr23
                                        ; implicit-def: $vgpr24_vgpr25
                                        ; implicit-def: $vgpr26_vgpr27
                                        ; implicit-def: $vgpr28_vgpr29
                                        ; implicit-def: $vgpr30_vgpr31
                                        ; implicit-def: $vgpr32_vgpr33
                                        ; implicit-def: $vgpr34_vgpr35
                                        ; implicit-def: $vgpr119
                                        ; implicit-def: $vgpr120
                                        ; implicit-def: $vgpr121
                                        ; implicit-def: $vgpr122
                                        ; implicit-def: $vgpr123
                                        ; implicit-def: $vgpr124
                                        ; implicit-def: $vgpr125
                                        ; implicit-def: $vgpr126
                                        ; implicit-def: $vgpr127
                                        ; implicit-def: $vgpr128
                                        ; implicit-def: $vgpr129
                                        ; implicit-def: $vgpr130
                                        ; implicit-def: $vgpr131
                                        ; implicit-def: $vgpr132
                                        ; implicit-def: $vgpr133
                                        ; implicit-def: $vgpr134
	s_wait_kmcnt 0x0
	s_cmp_lt_u32 ttmp7, s13
	s_cselect_b32 s42, 14, 20
	s_cmp_lt_u32 ttmp9, s12
	s_wait_alu 0xfffe
	s_add_nc_u64 s[14:15], s[34:35], s[42:43]
	s_cselect_b32 s42, 12, 18
	s_load_u16 s14, s[14:15], 0x0
	s_add_nc_u64 s[12:13], s[34:35], s[42:43]
	s_mov_b32 s42, s33
	s_load_u16 s12, s[12:13], 0x0
	v_cmp_lt_u32_e64 s13, 1, v89
	s_wait_dscnt 0x0
	s_wait_kmcnt 0x0
	v_mad_u32_u24 v2, v69, s14, v0
	v_cmp_lt_u32_e64 s14, 3, v89
	s_delay_alu instid0(VALU_DEP_2) | instskip(SKIP_1) | instid1(VALU_DEP_2)
	v_mad_co_u64_u32 v[4:5], null, v2, s12, v[1:2]
	v_cmp_eq_u32_e64 s12, 0, v89
	v_lshrrev_b32_e32 v2, 3, v4
                                        ; implicit-def: $vgpr4_vgpr5
	s_delay_alu instid0(VALU_DEP_1)
	v_and_b32_e32 v118, 0x1ffffffc, v2
	s_branch .LBB1463_687
.LBB1463_686:                           ;   in Loop: Header=BB1463_687 Depth=2
	s_wait_alu 0xfffe
	s_or_b32 exec_lo, exec_lo, s15
	s_addk_co_i32 s54, 0xf000
	s_cmp_lt_u32 s55, s51
	s_mov_b32 s42, s55
	s_cbranch_scc0 .LBB1463_895
.LBB1463_687:                           ;   Parent Loop BB1463_17 Depth=1
                                        ; =>  This Inner Loop Header: Depth=2
	s_wait_alu 0xfffe
	s_add_co_i32 s55, s42, 0x1000
	s_wait_alu 0xfffe
	s_cmp_gt_u32 s55, s51
	s_cbranch_scc1 .LBB1463_689
; %bb.688:                              ;   in Loop: Header=BB1463_687 Depth=2
	s_lshl_b64 s[16:17], s[42:43], 2
	s_mov_b32 s15, -1
	s_wait_alu 0xfffe
	v_add_co_u32 v36, vcc_lo, v116, s16
	s_wait_alu 0xfffd
	v_add_co_ci_u32_e64 v37, null, s17, v117, vcc_lo
	s_clause 0xe
	global_load_b32 v2, v[36:37], off
	global_load_b32 v136, v[36:37], off offset:128
	global_load_b32 v143, v[36:37], off offset:256
	;; [unrolled: 1-line block ×14, first 2 shown]
	s_movk_i32 s16, 0x1000
	s_cbranch_execz .LBB1463_690
	s_branch .LBB1463_721
.LBB1463_689:                           ;   in Loop: Header=BB1463_687 Depth=2
	s_mov_b32 s15, 0
                                        ; implicit-def: $vgpr2
                                        ; implicit-def: $vgpr136
                                        ; implicit-def: $vgpr143
                                        ; implicit-def: $vgpr147
                                        ; implicit-def: $vgpr151
                                        ; implicit-def: $vgpr155
                                        ; implicit-def: $vgpr159
                                        ; implicit-def: $vgpr163
                                        ; implicit-def: $vgpr166
                                        ; implicit-def: $vgpr43
                                        ; implicit-def: $vgpr42
                                        ; implicit-def: $vgpr41
                                        ; implicit-def: $vgpr40
                                        ; implicit-def: $vgpr39
                                        ; implicit-def: $vgpr38
	s_movk_i32 s16, 0x1000
.LBB1463_690:                           ;   in Loop: Header=BB1463_687 Depth=2
	s_lshl_b64 s[16:17], s[42:43], 2
	s_wait_loadcnt 0xd
	v_bfrev_b32_e32 v136, -2
	s_wait_alu 0xfffe
	v_add_co_u32 v36, vcc_lo, v116, s16
	s_wait_alu 0xfffd
	v_add_co_ci_u32_e64 v37, null, s17, v117, vcc_lo
	v_bfrev_b32_e32 v2, -2
	s_mov_b32 s15, exec_lo
	v_cmpx_gt_u32_e64 s54, v88
	s_cbranch_execz .LBB1463_692
; %bb.691:                              ;   in Loop: Header=BB1463_687 Depth=2
	global_load_b32 v2, v[36:37], off
.LBB1463_692:                           ;   in Loop: Header=BB1463_687 Depth=2
	s_wait_alu 0xfffe
	s_or_b32 exec_lo, exec_lo, s15
	s_delay_alu instid0(SALU_CYCLE_1)
	s_mov_b32 s15, exec_lo
	v_cmpx_gt_u32_e64 s54, v92
	s_cbranch_execz .LBB1463_694
; %bb.693:                              ;   in Loop: Header=BB1463_687 Depth=2
	global_load_b32 v136, v[36:37], off offset:128
.LBB1463_694:                           ;   in Loop: Header=BB1463_687 Depth=2
	s_wait_alu 0xfffe
	s_or_b32 exec_lo, exec_lo, s15
	s_wait_loadcnt 0xb
	v_bfrev_b32_e32 v147, -2
	v_bfrev_b32_e32 v143, -2
	s_mov_b32 s15, exec_lo
	v_cmpx_gt_u32_e64 s54, v93
	s_cbranch_execz .LBB1463_696
; %bb.695:                              ;   in Loop: Header=BB1463_687 Depth=2
	global_load_b32 v143, v[36:37], off offset:256
.LBB1463_696:                           ;   in Loop: Header=BB1463_687 Depth=2
	s_wait_alu 0xfffe
	s_or_b32 exec_lo, exec_lo, s15
	s_delay_alu instid0(SALU_CYCLE_1)
	s_mov_b32 s15, exec_lo
	v_cmpx_gt_u32_e64 s54, v94
	s_cbranch_execz .LBB1463_698
; %bb.697:                              ;   in Loop: Header=BB1463_687 Depth=2
	global_load_b32 v147, v[36:37], off offset:384
.LBB1463_698:                           ;   in Loop: Header=BB1463_687 Depth=2
	s_wait_alu 0xfffe
	s_or_b32 exec_lo, exec_lo, s15
	s_wait_loadcnt 0x9
	v_bfrev_b32_e32 v155, -2
	v_bfrev_b32_e32 v151, -2
	s_mov_b32 s15, exec_lo
	v_cmpx_gt_u32_e64 s54, v95
	s_cbranch_execz .LBB1463_700
; %bb.699:                              ;   in Loop: Header=BB1463_687 Depth=2
	global_load_b32 v151, v[36:37], off offset:512
.LBB1463_700:                           ;   in Loop: Header=BB1463_687 Depth=2
	;; [unrolled: 20-line block ×6, first 2 shown]
	s_wait_alu 0xfffe
	s_or_b32 exec_lo, exec_lo, s15
	s_delay_alu instid0(SALU_CYCLE_1)
	s_mov_b32 s15, exec_lo
	v_cmpx_gt_u32_e64 s54, v104
	s_cbranch_execz .LBB1463_718
; %bb.717:                              ;   in Loop: Header=BB1463_687 Depth=2
	global_load_b32 v39, v[36:37], off offset:1664
.LBB1463_718:                           ;   in Loop: Header=BB1463_687 Depth=2
	s_wait_alu 0xfffe
	s_or_b32 exec_lo, exec_lo, s15
	s_wait_loadcnt 0x0
	v_bfrev_b32_e32 v38, -2
	s_mov_b32 s15, exec_lo
	v_cmpx_gt_u32_e64 s54, v105
	s_cbranch_execz .LBB1463_720
; %bb.719:                              ;   in Loop: Header=BB1463_687 Depth=2
	global_load_b32 v38, v[36:37], off offset:1792
.LBB1463_720:                           ;   in Loop: Header=BB1463_687 Depth=2
	s_wait_alu 0xfffe
	s_or_b32 exec_lo, exec_lo, s15
	v_cmp_gt_u32_e64 s15, s54, v106
	s_sub_co_i32 s16, s51, s42
.LBB1463_721:                           ;   in Loop: Header=BB1463_687 Depth=2
	v_bfrev_b32_e32 v36, -2
	v_mov_b32_e32 v135, s54
	s_and_saveexec_b32 s17, s15
	s_cbranch_execz .LBB1463_723
; %bb.722:                              ;   in Loop: Header=BB1463_687 Depth=2
	s_lshl_b64 s[18:19], s[42:43], 2
	s_wait_alu 0xfffe
	v_mov_b32_e32 v135, s16
	v_add_co_u32 v36, vcc_lo, v116, s18
	s_wait_alu 0xfffd
	v_add_co_ci_u32_e64 v37, null, s19, v117, vcc_lo
	global_load_b32 v36, v[36:37], off offset:1920
.LBB1463_723:                           ;   in Loop: Header=BB1463_687 Depth=2
	s_wait_alu 0xfffe
	s_or_b32 exec_lo, exec_lo, s17
	s_wait_loadcnt 0xe
	v_cmp_lt_i32_e32 vcc_lo, -1, v2
	s_wait_alu 0xfffd
	v_cndmask_b32_e64 v37, -1, 0x80000000, vcc_lo
	s_delay_alu instid0(VALU_DEP_1) | instskip(NEXT) | instid1(VALU_DEP_1)
	v_xor_b32_e32 v2, v37, v2
	v_cmp_ne_u32_e32 vcc_lo, 0x7fffffff, v2
	s_wait_alu 0xfffd
	v_cndmask_b32_e32 v37, 0x80000000, v2, vcc_lo
	s_delay_alu instid0(VALU_DEP_1) | instskip(NEXT) | instid1(VALU_DEP_1)
	v_lshrrev_b32_e32 v37, s49, v37
	v_and_b32_e32 v142, s48, v37
	s_delay_alu instid0(VALU_DEP_1)
	v_and_b32_e32 v37, 1, v142
	v_lshlrev_b32_e32 v137, 30, v142
	v_lshlrev_b32_e32 v138, 29, v142
	;; [unrolled: 1-line block ×4, first 2 shown]
	v_add_co_u32 v37, s15, v37, -1
	s_wait_alu 0xf1ff
	v_cndmask_b32_e64 v140, 0, 1, s15
	v_not_b32_e32 v146, v137
	v_cmp_gt_i32_e64 s15, 0, v137
	v_not_b32_e32 v137, v138
	v_lshlrev_b32_e32 v144, 26, v142
	v_cmp_ne_u32_e32 vcc_lo, 0, v140
	v_ashrrev_i32_e32 v146, 31, v146
	v_lshlrev_b32_e32 v145, 25, v142
	v_ashrrev_i32_e32 v137, 31, v137
	v_lshlrev_b32_e32 v140, 24, v142
	s_wait_alu 0xfffd
	v_xor_b32_e32 v37, vcc_lo, v37
	v_cmp_gt_i32_e32 vcc_lo, 0, v138
	v_not_b32_e32 v138, v139
	s_wait_alu 0xf1ff
	v_xor_b32_e32 v146, s15, v146
	v_cmp_gt_i32_e64 s15, 0, v139
	v_and_b32_e32 v37, exec_lo, v37
	v_not_b32_e32 v139, v141
	v_ashrrev_i32_e32 v138, 31, v138
	s_wait_alu 0xfffd
	v_xor_b32_e32 v137, vcc_lo, v137
	v_cmp_gt_i32_e32 vcc_lo, 0, v141
	v_and_b32_e32 v37, v37, v146
	v_not_b32_e32 v141, v144
	v_ashrrev_i32_e32 v139, 31, v139
	s_wait_alu 0xf1ff
	v_xor_b32_e32 v138, s15, v138
	v_cmp_gt_i32_e64 s15, 0, v144
	v_and_b32_e32 v37, v37, v137
	v_not_b32_e32 v137, v145
	v_ashrrev_i32_e32 v141, 31, v141
	s_wait_alu 0xfffd
	v_xor_b32_e32 v139, vcc_lo, v139
	v_cmp_gt_i32_e32 vcc_lo, 0, v145
	v_and_b32_e32 v37, v37, v138
	v_not_b32_e32 v138, v140
	v_ashrrev_i32_e32 v137, 31, v137
	s_wait_alu 0xf1ff
	v_xor_b32_e32 v141, s15, v141
	v_cmp_gt_i32_e64 s15, 0, v140
	v_and_b32_e32 v37, v37, v139
	v_ashrrev_i32_e32 v138, 31, v138
	s_wait_alu 0xfffd
	v_xor_b32_e32 v137, vcc_lo, v137
	v_mul_u32_u24_e32 v142, 36, v142
	v_add_nc_u32_e32 v140, 0x428, v67
	v_and_b32_e32 v37, v37, v141
	s_wait_alu 0xf1ff
	v_xor_b32_e32 v139, s15, v138
	v_add_nc_u32_e32 v138, 0x438, v67
	v_add_nc_u32_e32 v141, 0x430, v67
	;; [unrolled: 1-line block ×3, first 2 shown]
	v_and_b32_e32 v37, v37, v137
	ds_store_2addr_b32 v138, v3, v3 offset1:1
	v_and_b32_e32 v37, v37, v139
	v_add_nc_u32_e32 v139, 0x420, v67
	ds_store_2addr_b32 v139, v3, v3 offset1:1
	ds_store_2addr_b32 v140, v3, v3 offset1:1
	;; [unrolled: 1-line block ×3, first 2 shown]
	ds_store_b32 v67, v3 offset:1088
	v_mbcnt_lo_u32_b32 v137, v37, 0
	v_cmp_ne_u32_e64 s15, 0, v37
	s_wait_loadcnt_dscnt 0x0
	s_barrier_signal -1
	s_barrier_wait -1
	v_cmp_eq_u32_e32 vcc_lo, 0, v137
	global_inv scope:SCOPE_SE
	; wave barrier
	s_and_b32 s16, s15, vcc_lo
	s_wait_alu 0xfffe
	s_and_saveexec_b32 s15, s16
; %bb.724:                              ;   in Loop: Header=BB1463_687 Depth=2
	v_bcnt_u32_b32 v37, v37, 0
	ds_store_b32 v142, v37 offset:1056
; %bb.725:                              ;   in Loop: Header=BB1463_687 Depth=2
	s_wait_alu 0xfffe
	s_or_b32 exec_lo, exec_lo, s15
	v_cmp_lt_i32_e32 vcc_lo, -1, v136
	; wave barrier
	s_wait_alu 0xfffd
	v_cndmask_b32_e64 v37, -1, 0x80000000, vcc_lo
	s_delay_alu instid0(VALU_DEP_1) | instskip(NEXT) | instid1(VALU_DEP_1)
	v_xor_b32_e32 v136, v37, v136
	v_cmp_ne_u32_e32 vcc_lo, 0x7fffffff, v136
	s_wait_alu 0xfffd
	v_cndmask_b32_e32 v37, 0x80000000, v136, vcc_lo
	s_delay_alu instid0(VALU_DEP_1) | instskip(NEXT) | instid1(VALU_DEP_1)
	v_lshrrev_b32_e32 v37, s49, v37
	v_and_b32_e32 v146, s48, v37
	s_delay_alu instid0(VALU_DEP_1)
	v_and_b32_e32 v37, 1, v146
	v_lshlrev_b32_e32 v144, 30, v146
	v_lshlrev_b32_e32 v145, 29, v146
	;; [unrolled: 1-line block ×4, first 2 shown]
	v_add_co_u32 v37, s15, v37, -1
	s_wait_alu 0xf1ff
	v_cndmask_b32_e64 v149, 0, 1, s15
	v_not_b32_e32 v154, v144
	v_cmp_gt_i32_e64 s15, 0, v144
	v_not_b32_e32 v144, v145
	v_lshlrev_b32_e32 v152, 26, v146
	v_cmp_ne_u32_e32 vcc_lo, 0, v149
	v_ashrrev_i32_e32 v154, 31, v154
	v_lshlrev_b32_e32 v153, 25, v146
	v_ashrrev_i32_e32 v144, 31, v144
	v_lshlrev_b32_e32 v149, 24, v146
	s_wait_alu 0xfffd
	v_xor_b32_e32 v37, vcc_lo, v37
	v_cmp_gt_i32_e32 vcc_lo, 0, v145
	v_not_b32_e32 v145, v148
	s_wait_alu 0xf1ff
	v_xor_b32_e32 v154, s15, v154
	v_cmp_gt_i32_e64 s15, 0, v148
	v_and_b32_e32 v37, exec_lo, v37
	v_not_b32_e32 v148, v150
	v_ashrrev_i32_e32 v145, 31, v145
	s_wait_alu 0xfffd
	v_xor_b32_e32 v144, vcc_lo, v144
	v_cmp_gt_i32_e32 vcc_lo, 0, v150
	v_and_b32_e32 v37, v37, v154
	v_not_b32_e32 v150, v152
	v_ashrrev_i32_e32 v148, 31, v148
	s_wait_alu 0xf1ff
	v_xor_b32_e32 v145, s15, v145
	v_cmp_gt_i32_e64 s15, 0, v152
	v_and_b32_e32 v37, v37, v144
	v_not_b32_e32 v144, v153
	v_ashrrev_i32_e32 v150, 31, v150
	s_wait_alu 0xfffd
	v_xor_b32_e32 v148, vcc_lo, v148
	v_cmp_gt_i32_e32 vcc_lo, 0, v153
	v_and_b32_e32 v37, v37, v145
	v_not_b32_e32 v145, v149
	v_ashrrev_i32_e32 v144, 31, v144
	s_wait_alu 0xf1ff
	v_xor_b32_e32 v150, s15, v150
	v_cmp_gt_i32_e64 s15, 0, v149
	v_and_b32_e32 v37, v37, v148
	v_ashrrev_i32_e32 v145, 31, v145
	s_wait_alu 0xfffd
	v_xor_b32_e32 v144, vcc_lo, v144
	v_mad_u32_u24 v148, v146, 36, v118
	v_mul_u32_u24_e32 v146, 36, v146
	v_and_b32_e32 v37, v37, v150
	s_wait_alu 0xf1ff
	v_xor_b32_e32 v145, s15, v145
	s_delay_alu instid0(VALU_DEP_3) | instskip(NEXT) | instid1(VALU_DEP_3)
	v_add_nc_u32_e32 v146, v118, v146
	v_and_b32_e32 v37, v37, v144
	ds_load_b32 v144, v148 offset:1056
	; wave barrier
	v_and_b32_e32 v37, v37, v145
	s_delay_alu instid0(VALU_DEP_1) | instskip(SKIP_1) | instid1(VALU_DEP_2)
	v_mbcnt_lo_u32_b32 v145, v37, 0
	v_cmp_ne_u32_e64 s15, 0, v37
	v_cmp_eq_u32_e32 vcc_lo, 0, v145
	s_and_b32 s16, s15, vcc_lo
	s_wait_alu 0xfffe
	s_and_saveexec_b32 s15, s16
	s_cbranch_execz .LBB1463_727
; %bb.726:                              ;   in Loop: Header=BB1463_687 Depth=2
	s_wait_dscnt 0x0
	v_bcnt_u32_b32 v37, v37, v144
	ds_store_b32 v146, v37 offset:1056
.LBB1463_727:                           ;   in Loop: Header=BB1463_687 Depth=2
	s_wait_alu 0xfffe
	s_or_b32 exec_lo, exec_lo, s15
	v_cmp_lt_i32_e32 vcc_lo, -1, v143
	; wave barrier
	s_wait_alu 0xfffd
	v_cndmask_b32_e64 v37, -1, 0x80000000, vcc_lo
	s_delay_alu instid0(VALU_DEP_1) | instskip(NEXT) | instid1(VALU_DEP_1)
	v_xor_b32_e32 v143, v37, v143
	v_cmp_ne_u32_e32 vcc_lo, 0x7fffffff, v143
	s_wait_alu 0xfffd
	v_cndmask_b32_e32 v37, 0x80000000, v143, vcc_lo
	s_delay_alu instid0(VALU_DEP_1) | instskip(NEXT) | instid1(VALU_DEP_1)
	v_lshrrev_b32_e32 v37, s49, v37
	v_and_b32_e32 v150, s48, v37
	s_delay_alu instid0(VALU_DEP_1)
	v_and_b32_e32 v37, 1, v150
	v_lshlrev_b32_e32 v148, 30, v150
	v_lshlrev_b32_e32 v149, 29, v150
	;; [unrolled: 1-line block ×4, first 2 shown]
	v_add_co_u32 v37, s15, v37, -1
	s_wait_alu 0xf1ff
	v_cndmask_b32_e64 v153, 0, 1, s15
	v_not_b32_e32 v158, v148
	v_cmp_gt_i32_e64 s15, 0, v148
	v_not_b32_e32 v148, v149
	v_lshlrev_b32_e32 v156, 26, v150
	v_cmp_ne_u32_e32 vcc_lo, 0, v153
	v_ashrrev_i32_e32 v158, 31, v158
	v_lshlrev_b32_e32 v157, 25, v150
	v_ashrrev_i32_e32 v148, 31, v148
	v_lshlrev_b32_e32 v153, 24, v150
	s_wait_alu 0xfffd
	v_xor_b32_e32 v37, vcc_lo, v37
	v_cmp_gt_i32_e32 vcc_lo, 0, v149
	v_not_b32_e32 v149, v152
	s_wait_alu 0xf1ff
	v_xor_b32_e32 v158, s15, v158
	v_cmp_gt_i32_e64 s15, 0, v152
	v_and_b32_e32 v37, exec_lo, v37
	v_not_b32_e32 v152, v154
	v_ashrrev_i32_e32 v149, 31, v149
	s_wait_alu 0xfffd
	v_xor_b32_e32 v148, vcc_lo, v148
	v_cmp_gt_i32_e32 vcc_lo, 0, v154
	v_and_b32_e32 v37, v37, v158
	v_not_b32_e32 v154, v156
	v_ashrrev_i32_e32 v152, 31, v152
	s_wait_alu 0xf1ff
	v_xor_b32_e32 v149, s15, v149
	v_cmp_gt_i32_e64 s15, 0, v156
	v_and_b32_e32 v37, v37, v148
	v_not_b32_e32 v148, v157
	v_ashrrev_i32_e32 v154, 31, v154
	s_wait_alu 0xfffd
	v_xor_b32_e32 v152, vcc_lo, v152
	v_cmp_gt_i32_e32 vcc_lo, 0, v157
	v_and_b32_e32 v37, v37, v149
	v_not_b32_e32 v149, v153
	v_ashrrev_i32_e32 v148, 31, v148
	s_wait_alu 0xf1ff
	v_xor_b32_e32 v154, s15, v154
	v_cmp_gt_i32_e64 s15, 0, v153
	v_and_b32_e32 v37, v37, v152
	v_ashrrev_i32_e32 v149, 31, v149
	s_wait_alu 0xfffd
	v_xor_b32_e32 v148, vcc_lo, v148
	v_mad_u32_u24 v152, v150, 36, v118
	v_mul_u32_u24_e32 v150, 36, v150
	v_and_b32_e32 v37, v37, v154
	s_wait_alu 0xf1ff
	v_xor_b32_e32 v149, s15, v149
	s_delay_alu instid0(VALU_DEP_3) | instskip(NEXT) | instid1(VALU_DEP_3)
	v_add_nc_u32_e32 v150, v118, v150
	v_and_b32_e32 v37, v37, v148
	ds_load_b32 v148, v152 offset:1056
	; wave barrier
	v_and_b32_e32 v37, v37, v149
	s_delay_alu instid0(VALU_DEP_1) | instskip(SKIP_1) | instid1(VALU_DEP_2)
	v_mbcnt_lo_u32_b32 v149, v37, 0
	v_cmp_ne_u32_e64 s15, 0, v37
	v_cmp_eq_u32_e32 vcc_lo, 0, v149
	s_and_b32 s16, s15, vcc_lo
	s_wait_alu 0xfffe
	s_and_saveexec_b32 s15, s16
	s_cbranch_execz .LBB1463_729
; %bb.728:                              ;   in Loop: Header=BB1463_687 Depth=2
	s_wait_dscnt 0x0
	v_bcnt_u32_b32 v37, v37, v148
	ds_store_b32 v150, v37 offset:1056
.LBB1463_729:                           ;   in Loop: Header=BB1463_687 Depth=2
	s_wait_alu 0xfffe
	s_or_b32 exec_lo, exec_lo, s15
	v_cmp_lt_i32_e32 vcc_lo, -1, v147
	; wave barrier
	s_wait_alu 0xfffd
	v_cndmask_b32_e64 v37, -1, 0x80000000, vcc_lo
	s_delay_alu instid0(VALU_DEP_1) | instskip(NEXT) | instid1(VALU_DEP_1)
	v_xor_b32_e32 v147, v37, v147
	v_cmp_ne_u32_e32 vcc_lo, 0x7fffffff, v147
	s_wait_alu 0xfffd
	v_cndmask_b32_e32 v37, 0x80000000, v147, vcc_lo
	s_delay_alu instid0(VALU_DEP_1) | instskip(NEXT) | instid1(VALU_DEP_1)
	v_lshrrev_b32_e32 v37, s49, v37
	v_and_b32_e32 v154, s48, v37
	s_delay_alu instid0(VALU_DEP_1)
	v_and_b32_e32 v37, 1, v154
	v_lshlrev_b32_e32 v152, 30, v154
	v_lshlrev_b32_e32 v153, 29, v154
	;; [unrolled: 1-line block ×4, first 2 shown]
	v_add_co_u32 v37, s15, v37, -1
	s_wait_alu 0xf1ff
	v_cndmask_b32_e64 v157, 0, 1, s15
	v_not_b32_e32 v162, v152
	v_cmp_gt_i32_e64 s15, 0, v152
	v_not_b32_e32 v152, v153
	v_lshlrev_b32_e32 v160, 26, v154
	v_cmp_ne_u32_e32 vcc_lo, 0, v157
	v_ashrrev_i32_e32 v162, 31, v162
	v_lshlrev_b32_e32 v161, 25, v154
	v_ashrrev_i32_e32 v152, 31, v152
	v_lshlrev_b32_e32 v157, 24, v154
	s_wait_alu 0xfffd
	v_xor_b32_e32 v37, vcc_lo, v37
	v_cmp_gt_i32_e32 vcc_lo, 0, v153
	v_not_b32_e32 v153, v156
	s_wait_alu 0xf1ff
	v_xor_b32_e32 v162, s15, v162
	v_cmp_gt_i32_e64 s15, 0, v156
	v_and_b32_e32 v37, exec_lo, v37
	v_not_b32_e32 v156, v158
	v_ashrrev_i32_e32 v153, 31, v153
	s_wait_alu 0xfffd
	v_xor_b32_e32 v152, vcc_lo, v152
	v_cmp_gt_i32_e32 vcc_lo, 0, v158
	v_and_b32_e32 v37, v37, v162
	v_not_b32_e32 v158, v160
	v_ashrrev_i32_e32 v156, 31, v156
	s_wait_alu 0xf1ff
	v_xor_b32_e32 v153, s15, v153
	v_cmp_gt_i32_e64 s15, 0, v160
	v_and_b32_e32 v37, v37, v152
	v_not_b32_e32 v152, v161
	v_ashrrev_i32_e32 v158, 31, v158
	s_wait_alu 0xfffd
	v_xor_b32_e32 v156, vcc_lo, v156
	v_cmp_gt_i32_e32 vcc_lo, 0, v161
	v_and_b32_e32 v37, v37, v153
	v_not_b32_e32 v153, v157
	v_ashrrev_i32_e32 v152, 31, v152
	s_wait_alu 0xf1ff
	v_xor_b32_e32 v158, s15, v158
	v_cmp_gt_i32_e64 s15, 0, v157
	v_and_b32_e32 v37, v37, v156
	v_ashrrev_i32_e32 v153, 31, v153
	s_wait_alu 0xfffd
	v_xor_b32_e32 v152, vcc_lo, v152
	v_mad_u32_u24 v156, v154, 36, v118
	v_mul_u32_u24_e32 v154, 36, v154
	v_and_b32_e32 v37, v37, v158
	s_wait_alu 0xf1ff
	v_xor_b32_e32 v153, s15, v153
	s_delay_alu instid0(VALU_DEP_3) | instskip(NEXT) | instid1(VALU_DEP_3)
	v_add_nc_u32_e32 v154, v118, v154
	v_and_b32_e32 v37, v37, v152
	ds_load_b32 v152, v156 offset:1056
	; wave barrier
	v_and_b32_e32 v37, v37, v153
	s_delay_alu instid0(VALU_DEP_1) | instskip(SKIP_1) | instid1(VALU_DEP_2)
	v_mbcnt_lo_u32_b32 v153, v37, 0
	v_cmp_ne_u32_e64 s15, 0, v37
	v_cmp_eq_u32_e32 vcc_lo, 0, v153
	s_and_b32 s16, s15, vcc_lo
	s_wait_alu 0xfffe
	s_and_saveexec_b32 s15, s16
	s_cbranch_execz .LBB1463_731
; %bb.730:                              ;   in Loop: Header=BB1463_687 Depth=2
	s_wait_dscnt 0x0
	v_bcnt_u32_b32 v37, v37, v152
	ds_store_b32 v154, v37 offset:1056
.LBB1463_731:                           ;   in Loop: Header=BB1463_687 Depth=2
	s_wait_alu 0xfffe
	s_or_b32 exec_lo, exec_lo, s15
	v_cmp_lt_i32_e32 vcc_lo, -1, v151
	; wave barrier
	s_wait_alu 0xfffd
	v_cndmask_b32_e64 v37, -1, 0x80000000, vcc_lo
	s_delay_alu instid0(VALU_DEP_1) | instskip(NEXT) | instid1(VALU_DEP_1)
	v_xor_b32_e32 v151, v37, v151
	v_cmp_ne_u32_e32 vcc_lo, 0x7fffffff, v151
	s_wait_alu 0xfffd
	v_cndmask_b32_e32 v37, 0x80000000, v151, vcc_lo
	s_delay_alu instid0(VALU_DEP_1) | instskip(NEXT) | instid1(VALU_DEP_1)
	v_lshrrev_b32_e32 v37, s49, v37
	v_and_b32_e32 v158, s48, v37
	s_delay_alu instid0(VALU_DEP_1)
	v_and_b32_e32 v37, 1, v158
	v_lshlrev_b32_e32 v156, 30, v158
	v_lshlrev_b32_e32 v157, 29, v158
	v_lshlrev_b32_e32 v160, 28, v158
	v_lshlrev_b32_e32 v162, 27, v158
	v_add_co_u32 v37, s15, v37, -1
	s_wait_alu 0xf1ff
	v_cndmask_b32_e64 v161, 0, 1, s15
	v_not_b32_e32 v167, v156
	v_cmp_gt_i32_e64 s15, 0, v156
	v_not_b32_e32 v156, v157
	v_lshlrev_b32_e32 v164, 26, v158
	v_cmp_ne_u32_e32 vcc_lo, 0, v161
	v_ashrrev_i32_e32 v167, 31, v167
	v_lshlrev_b32_e32 v165, 25, v158
	v_ashrrev_i32_e32 v156, 31, v156
	v_lshlrev_b32_e32 v161, 24, v158
	s_wait_alu 0xfffd
	v_xor_b32_e32 v37, vcc_lo, v37
	v_cmp_gt_i32_e32 vcc_lo, 0, v157
	v_not_b32_e32 v157, v160
	s_wait_alu 0xf1ff
	v_xor_b32_e32 v167, s15, v167
	v_cmp_gt_i32_e64 s15, 0, v160
	v_and_b32_e32 v37, exec_lo, v37
	v_not_b32_e32 v160, v162
	v_ashrrev_i32_e32 v157, 31, v157
	s_wait_alu 0xfffd
	v_xor_b32_e32 v156, vcc_lo, v156
	v_cmp_gt_i32_e32 vcc_lo, 0, v162
	v_and_b32_e32 v37, v37, v167
	v_not_b32_e32 v162, v164
	v_ashrrev_i32_e32 v160, 31, v160
	s_wait_alu 0xf1ff
	v_xor_b32_e32 v157, s15, v157
	v_cmp_gt_i32_e64 s15, 0, v164
	v_and_b32_e32 v37, v37, v156
	v_not_b32_e32 v156, v165
	v_ashrrev_i32_e32 v162, 31, v162
	s_wait_alu 0xfffd
	v_xor_b32_e32 v160, vcc_lo, v160
	v_cmp_gt_i32_e32 vcc_lo, 0, v165
	v_and_b32_e32 v37, v37, v157
	v_not_b32_e32 v157, v161
	v_ashrrev_i32_e32 v156, 31, v156
	s_wait_alu 0xf1ff
	v_xor_b32_e32 v162, s15, v162
	v_cmp_gt_i32_e64 s15, 0, v161
	v_and_b32_e32 v37, v37, v160
	v_ashrrev_i32_e32 v157, 31, v157
	s_wait_alu 0xfffd
	v_xor_b32_e32 v156, vcc_lo, v156
	v_mad_u32_u24 v160, v158, 36, v118
	v_mul_u32_u24_e32 v158, 36, v158
	v_and_b32_e32 v37, v37, v162
	s_wait_alu 0xf1ff
	v_xor_b32_e32 v157, s15, v157
	s_delay_alu instid0(VALU_DEP_3) | instskip(NEXT) | instid1(VALU_DEP_3)
	v_add_nc_u32_e32 v158, v118, v158
	v_and_b32_e32 v37, v37, v156
	ds_load_b32 v156, v160 offset:1056
	; wave barrier
	v_and_b32_e32 v37, v37, v157
	s_delay_alu instid0(VALU_DEP_1) | instskip(SKIP_1) | instid1(VALU_DEP_2)
	v_mbcnt_lo_u32_b32 v157, v37, 0
	v_cmp_ne_u32_e64 s15, 0, v37
	v_cmp_eq_u32_e32 vcc_lo, 0, v157
	s_and_b32 s16, s15, vcc_lo
	s_wait_alu 0xfffe
	s_and_saveexec_b32 s15, s16
	s_cbranch_execz .LBB1463_733
; %bb.732:                              ;   in Loop: Header=BB1463_687 Depth=2
	s_wait_dscnt 0x0
	v_bcnt_u32_b32 v37, v37, v156
	ds_store_b32 v158, v37 offset:1056
.LBB1463_733:                           ;   in Loop: Header=BB1463_687 Depth=2
	s_wait_alu 0xfffe
	s_or_b32 exec_lo, exec_lo, s15
	v_cmp_lt_i32_e32 vcc_lo, -1, v155
	; wave barrier
	s_wait_alu 0xfffd
	v_cndmask_b32_e64 v37, -1, 0x80000000, vcc_lo
	s_delay_alu instid0(VALU_DEP_1) | instskip(NEXT) | instid1(VALU_DEP_1)
	v_xor_b32_e32 v155, v37, v155
	v_cmp_ne_u32_e32 vcc_lo, 0x7fffffff, v155
	s_wait_alu 0xfffd
	v_cndmask_b32_e32 v37, 0x80000000, v155, vcc_lo
	s_delay_alu instid0(VALU_DEP_1) | instskip(NEXT) | instid1(VALU_DEP_1)
	v_lshrrev_b32_e32 v37, s49, v37
	v_and_b32_e32 v162, s48, v37
	s_delay_alu instid0(VALU_DEP_1)
	v_and_b32_e32 v37, 1, v162
	v_lshlrev_b32_e32 v160, 30, v162
	v_lshlrev_b32_e32 v161, 29, v162
	;; [unrolled: 1-line block ×4, first 2 shown]
	v_add_co_u32 v37, s15, v37, -1
	s_wait_alu 0xf1ff
	v_cndmask_b32_e64 v165, 0, 1, s15
	v_not_b32_e32 v170, v160
	v_cmp_gt_i32_e64 s15, 0, v160
	v_not_b32_e32 v160, v161
	v_lshlrev_b32_e32 v168, 26, v162
	v_cmp_ne_u32_e32 vcc_lo, 0, v165
	v_ashrrev_i32_e32 v170, 31, v170
	v_lshlrev_b32_e32 v169, 25, v162
	v_ashrrev_i32_e32 v160, 31, v160
	v_lshlrev_b32_e32 v165, 24, v162
	s_wait_alu 0xfffd
	v_xor_b32_e32 v37, vcc_lo, v37
	v_cmp_gt_i32_e32 vcc_lo, 0, v161
	v_not_b32_e32 v161, v164
	s_wait_alu 0xf1ff
	v_xor_b32_e32 v170, s15, v170
	v_cmp_gt_i32_e64 s15, 0, v164
	v_and_b32_e32 v37, exec_lo, v37
	v_not_b32_e32 v164, v167
	v_ashrrev_i32_e32 v161, 31, v161
	s_wait_alu 0xfffd
	v_xor_b32_e32 v160, vcc_lo, v160
	v_cmp_gt_i32_e32 vcc_lo, 0, v167
	v_and_b32_e32 v37, v37, v170
	v_not_b32_e32 v167, v168
	v_ashrrev_i32_e32 v164, 31, v164
	s_wait_alu 0xf1ff
	v_xor_b32_e32 v161, s15, v161
	v_cmp_gt_i32_e64 s15, 0, v168
	v_and_b32_e32 v37, v37, v160
	v_not_b32_e32 v160, v169
	v_ashrrev_i32_e32 v167, 31, v167
	s_wait_alu 0xfffd
	v_xor_b32_e32 v164, vcc_lo, v164
	v_cmp_gt_i32_e32 vcc_lo, 0, v169
	v_and_b32_e32 v37, v37, v161
	v_not_b32_e32 v161, v165
	v_ashrrev_i32_e32 v160, 31, v160
	s_wait_alu 0xf1ff
	v_xor_b32_e32 v167, s15, v167
	v_cmp_gt_i32_e64 s15, 0, v165
	v_and_b32_e32 v37, v37, v164
	v_ashrrev_i32_e32 v161, 31, v161
	s_wait_alu 0xfffd
	v_xor_b32_e32 v160, vcc_lo, v160
	v_mad_u32_u24 v164, v162, 36, v118
	v_mul_u32_u24_e32 v162, 36, v162
	v_and_b32_e32 v37, v37, v167
	s_wait_alu 0xf1ff
	v_xor_b32_e32 v161, s15, v161
	s_delay_alu instid0(VALU_DEP_3) | instskip(NEXT) | instid1(VALU_DEP_3)
	v_add_nc_u32_e32 v162, v118, v162
	v_and_b32_e32 v37, v37, v160
	ds_load_b32 v160, v164 offset:1056
	; wave barrier
	v_and_b32_e32 v37, v37, v161
	s_delay_alu instid0(VALU_DEP_1) | instskip(SKIP_1) | instid1(VALU_DEP_2)
	v_mbcnt_lo_u32_b32 v161, v37, 0
	v_cmp_ne_u32_e64 s15, 0, v37
	v_cmp_eq_u32_e32 vcc_lo, 0, v161
	s_and_b32 s16, s15, vcc_lo
	s_wait_alu 0xfffe
	s_and_saveexec_b32 s15, s16
	s_cbranch_execz .LBB1463_735
; %bb.734:                              ;   in Loop: Header=BB1463_687 Depth=2
	s_wait_dscnt 0x0
	v_bcnt_u32_b32 v37, v37, v160
	ds_store_b32 v162, v37 offset:1056
.LBB1463_735:                           ;   in Loop: Header=BB1463_687 Depth=2
	s_wait_alu 0xfffe
	s_or_b32 exec_lo, exec_lo, s15
	v_cmp_lt_i32_e32 vcc_lo, -1, v159
	; wave barrier
	s_wait_alu 0xfffd
	v_cndmask_b32_e64 v37, -1, 0x80000000, vcc_lo
	s_delay_alu instid0(VALU_DEP_1) | instskip(NEXT) | instid1(VALU_DEP_1)
	v_xor_b32_e32 v159, v37, v159
	v_cmp_ne_u32_e32 vcc_lo, 0x7fffffff, v159
	s_wait_alu 0xfffd
	v_cndmask_b32_e32 v37, 0x80000000, v159, vcc_lo
	s_delay_alu instid0(VALU_DEP_1) | instskip(NEXT) | instid1(VALU_DEP_1)
	v_lshrrev_b32_e32 v37, s49, v37
	v_and_b32_e32 v167, s48, v37
	s_delay_alu instid0(VALU_DEP_1)
	v_and_b32_e32 v37, 1, v167
	v_lshlrev_b32_e32 v164, 30, v167
	v_lshlrev_b32_e32 v165, 29, v167
	;; [unrolled: 1-line block ×4, first 2 shown]
	v_add_co_u32 v37, s15, v37, -1
	s_wait_alu 0xf1ff
	v_cndmask_b32_e64 v169, 0, 1, s15
	v_not_b32_e32 v173, v164
	v_cmp_gt_i32_e64 s15, 0, v164
	v_not_b32_e32 v164, v165
	v_lshlrev_b32_e32 v171, 26, v167
	v_cmp_ne_u32_e32 vcc_lo, 0, v169
	v_ashrrev_i32_e32 v173, 31, v173
	v_lshlrev_b32_e32 v172, 25, v167
	v_ashrrev_i32_e32 v164, 31, v164
	v_lshlrev_b32_e32 v169, 24, v167
	s_wait_alu 0xfffd
	v_xor_b32_e32 v37, vcc_lo, v37
	v_cmp_gt_i32_e32 vcc_lo, 0, v165
	v_not_b32_e32 v165, v168
	s_wait_alu 0xf1ff
	v_xor_b32_e32 v173, s15, v173
	v_cmp_gt_i32_e64 s15, 0, v168
	v_and_b32_e32 v37, exec_lo, v37
	v_not_b32_e32 v168, v170
	v_ashrrev_i32_e32 v165, 31, v165
	s_wait_alu 0xfffd
	v_xor_b32_e32 v164, vcc_lo, v164
	v_cmp_gt_i32_e32 vcc_lo, 0, v170
	v_and_b32_e32 v37, v37, v173
	v_not_b32_e32 v170, v171
	v_ashrrev_i32_e32 v168, 31, v168
	s_wait_alu 0xf1ff
	v_xor_b32_e32 v165, s15, v165
	v_cmp_gt_i32_e64 s15, 0, v171
	v_and_b32_e32 v37, v37, v164
	v_not_b32_e32 v164, v172
	v_ashrrev_i32_e32 v170, 31, v170
	s_wait_alu 0xfffd
	v_xor_b32_e32 v168, vcc_lo, v168
	v_cmp_gt_i32_e32 vcc_lo, 0, v172
	v_and_b32_e32 v37, v37, v165
	v_not_b32_e32 v165, v169
	v_ashrrev_i32_e32 v164, 31, v164
	s_wait_alu 0xf1ff
	v_xor_b32_e32 v170, s15, v170
	v_cmp_gt_i32_e64 s15, 0, v169
	v_and_b32_e32 v37, v37, v168
	v_ashrrev_i32_e32 v165, 31, v165
	s_wait_alu 0xfffd
	v_xor_b32_e32 v164, vcc_lo, v164
	v_mad_u32_u24 v168, v167, 36, v118
	v_mul_u32_u24_e32 v167, 36, v167
	v_and_b32_e32 v37, v37, v170
	s_wait_alu 0xf1ff
	v_xor_b32_e32 v165, s15, v165
	s_delay_alu instid0(VALU_DEP_3) | instskip(NEXT) | instid1(VALU_DEP_3)
	v_add_nc_u32_e32 v167, v118, v167
	v_and_b32_e32 v37, v37, v164
	ds_load_b32 v164, v168 offset:1056
	; wave barrier
	v_and_b32_e32 v37, v37, v165
	s_delay_alu instid0(VALU_DEP_1) | instskip(SKIP_1) | instid1(VALU_DEP_2)
	v_mbcnt_lo_u32_b32 v165, v37, 0
	v_cmp_ne_u32_e64 s15, 0, v37
	v_cmp_eq_u32_e32 vcc_lo, 0, v165
	s_and_b32 s16, s15, vcc_lo
	s_wait_alu 0xfffe
	s_and_saveexec_b32 s15, s16
	s_cbranch_execz .LBB1463_737
; %bb.736:                              ;   in Loop: Header=BB1463_687 Depth=2
	s_wait_dscnt 0x0
	v_bcnt_u32_b32 v37, v37, v164
	ds_store_b32 v167, v37 offset:1056
.LBB1463_737:                           ;   in Loop: Header=BB1463_687 Depth=2
	s_wait_alu 0xfffe
	s_or_b32 exec_lo, exec_lo, s15
	v_cmp_lt_i32_e32 vcc_lo, -1, v163
	; wave barrier
	s_wait_alu 0xfffd
	v_cndmask_b32_e64 v37, -1, 0x80000000, vcc_lo
	s_delay_alu instid0(VALU_DEP_1) | instskip(NEXT) | instid1(VALU_DEP_1)
	v_xor_b32_e32 v163, v37, v163
	v_cmp_ne_u32_e32 vcc_lo, 0x7fffffff, v163
	s_wait_alu 0xfffd
	v_cndmask_b32_e32 v37, 0x80000000, v163, vcc_lo
	s_delay_alu instid0(VALU_DEP_1) | instskip(NEXT) | instid1(VALU_DEP_1)
	v_lshrrev_b32_e32 v37, s49, v37
	v_and_b32_e32 v170, s48, v37
	s_delay_alu instid0(VALU_DEP_1)
	v_and_b32_e32 v37, 1, v170
	v_lshlrev_b32_e32 v168, 30, v170
	v_lshlrev_b32_e32 v169, 29, v170
	v_lshlrev_b32_e32 v171, 28, v170
	v_lshlrev_b32_e32 v173, 27, v170
	v_add_co_u32 v37, s15, v37, -1
	s_wait_alu 0xf1ff
	v_cndmask_b32_e64 v172, 0, 1, s15
	v_not_b32_e32 v176, v168
	v_cmp_gt_i32_e64 s15, 0, v168
	v_not_b32_e32 v168, v169
	v_lshlrev_b32_e32 v174, 26, v170
	v_cmp_ne_u32_e32 vcc_lo, 0, v172
	v_ashrrev_i32_e32 v176, 31, v176
	v_lshlrev_b32_e32 v175, 25, v170
	v_ashrrev_i32_e32 v168, 31, v168
	v_lshlrev_b32_e32 v172, 24, v170
	s_wait_alu 0xfffd
	v_xor_b32_e32 v37, vcc_lo, v37
	v_cmp_gt_i32_e32 vcc_lo, 0, v169
	v_not_b32_e32 v169, v171
	s_wait_alu 0xf1ff
	v_xor_b32_e32 v176, s15, v176
	v_cmp_gt_i32_e64 s15, 0, v171
	v_and_b32_e32 v37, exec_lo, v37
	v_not_b32_e32 v171, v173
	v_ashrrev_i32_e32 v169, 31, v169
	s_wait_alu 0xfffd
	v_xor_b32_e32 v168, vcc_lo, v168
	v_cmp_gt_i32_e32 vcc_lo, 0, v173
	v_and_b32_e32 v37, v37, v176
	v_not_b32_e32 v173, v174
	v_ashrrev_i32_e32 v171, 31, v171
	s_wait_alu 0xf1ff
	v_xor_b32_e32 v169, s15, v169
	v_cmp_gt_i32_e64 s15, 0, v174
	v_and_b32_e32 v37, v37, v168
	v_not_b32_e32 v168, v175
	v_ashrrev_i32_e32 v173, 31, v173
	s_wait_alu 0xfffd
	v_xor_b32_e32 v171, vcc_lo, v171
	v_cmp_gt_i32_e32 vcc_lo, 0, v175
	v_and_b32_e32 v37, v37, v169
	v_not_b32_e32 v169, v172
	v_ashrrev_i32_e32 v168, 31, v168
	s_wait_alu 0xf1ff
	v_xor_b32_e32 v173, s15, v173
	v_cmp_gt_i32_e64 s15, 0, v172
	v_and_b32_e32 v37, v37, v171
	v_ashrrev_i32_e32 v169, 31, v169
	s_wait_alu 0xfffd
	v_xor_b32_e32 v168, vcc_lo, v168
	v_mad_u32_u24 v171, v170, 36, v118
	v_mul_u32_u24_e32 v170, 36, v170
	v_and_b32_e32 v37, v37, v173
	s_wait_alu 0xf1ff
	v_xor_b32_e32 v169, s15, v169
	s_delay_alu instid0(VALU_DEP_3) | instskip(NEXT) | instid1(VALU_DEP_3)
	v_add_nc_u32_e32 v170, v118, v170
	v_and_b32_e32 v37, v37, v168
	ds_load_b32 v168, v171 offset:1056
	; wave barrier
	v_and_b32_e32 v37, v37, v169
	s_delay_alu instid0(VALU_DEP_1) | instskip(SKIP_1) | instid1(VALU_DEP_2)
	v_mbcnt_lo_u32_b32 v169, v37, 0
	v_cmp_ne_u32_e64 s15, 0, v37
	v_cmp_eq_u32_e32 vcc_lo, 0, v169
	s_and_b32 s16, s15, vcc_lo
	s_wait_alu 0xfffe
	s_and_saveexec_b32 s15, s16
	s_cbranch_execz .LBB1463_739
; %bb.738:                              ;   in Loop: Header=BB1463_687 Depth=2
	s_wait_dscnt 0x0
	v_bcnt_u32_b32 v37, v37, v168
	ds_store_b32 v170, v37 offset:1056
.LBB1463_739:                           ;   in Loop: Header=BB1463_687 Depth=2
	s_wait_alu 0xfffe
	s_or_b32 exec_lo, exec_lo, s15
	v_cmp_lt_i32_e32 vcc_lo, -1, v166
	; wave barrier
	s_wait_alu 0xfffd
	v_cndmask_b32_e64 v37, -1, 0x80000000, vcc_lo
	s_delay_alu instid0(VALU_DEP_1) | instskip(NEXT) | instid1(VALU_DEP_1)
	v_xor_b32_e32 v166, v37, v166
	v_cmp_ne_u32_e32 vcc_lo, 0x7fffffff, v166
	s_wait_alu 0xfffd
	v_cndmask_b32_e32 v37, 0x80000000, v166, vcc_lo
	s_delay_alu instid0(VALU_DEP_1) | instskip(NEXT) | instid1(VALU_DEP_1)
	v_lshrrev_b32_e32 v37, s49, v37
	v_and_b32_e32 v171, s48, v37
	s_delay_alu instid0(VALU_DEP_1)
	v_and_b32_e32 v37, 1, v171
	v_lshlrev_b32_e32 v172, 30, v171
	v_lshlrev_b32_e32 v173, 29, v171
	;; [unrolled: 1-line block ×4, first 2 shown]
	v_add_co_u32 v37, s15, v37, -1
	s_wait_alu 0xf1ff
	v_cndmask_b32_e64 v175, 0, 1, s15
	v_not_b32_e32 v179, v172
	v_cmp_gt_i32_e64 s15, 0, v172
	v_not_b32_e32 v172, v173
	v_lshlrev_b32_e32 v177, 26, v171
	v_cmp_ne_u32_e32 vcc_lo, 0, v175
	v_ashrrev_i32_e32 v179, 31, v179
	v_lshlrev_b32_e32 v178, 25, v171
	v_ashrrev_i32_e32 v172, 31, v172
	v_lshlrev_b32_e32 v175, 24, v171
	s_wait_alu 0xfffd
	v_xor_b32_e32 v37, vcc_lo, v37
	v_cmp_gt_i32_e32 vcc_lo, 0, v173
	v_not_b32_e32 v173, v174
	s_wait_alu 0xf1ff
	v_xor_b32_e32 v179, s15, v179
	v_cmp_gt_i32_e64 s15, 0, v174
	v_and_b32_e32 v37, exec_lo, v37
	v_not_b32_e32 v174, v176
	v_ashrrev_i32_e32 v173, 31, v173
	s_wait_alu 0xfffd
	v_xor_b32_e32 v172, vcc_lo, v172
	v_cmp_gt_i32_e32 vcc_lo, 0, v176
	v_and_b32_e32 v37, v37, v179
	v_not_b32_e32 v176, v177
	v_ashrrev_i32_e32 v174, 31, v174
	s_wait_alu 0xf1ff
	v_xor_b32_e32 v173, s15, v173
	v_cmp_gt_i32_e64 s15, 0, v177
	v_and_b32_e32 v37, v37, v172
	v_not_b32_e32 v172, v178
	v_ashrrev_i32_e32 v176, 31, v176
	s_wait_alu 0xfffd
	v_xor_b32_e32 v174, vcc_lo, v174
	v_cmp_gt_i32_e32 vcc_lo, 0, v178
	v_and_b32_e32 v37, v37, v173
	v_not_b32_e32 v173, v175
	v_ashrrev_i32_e32 v172, 31, v172
	s_wait_alu 0xf1ff
	v_xor_b32_e32 v176, s15, v176
	v_cmp_gt_i32_e64 s15, 0, v175
	v_and_b32_e32 v37, v37, v174
	v_ashrrev_i32_e32 v173, 31, v173
	s_wait_alu 0xfffd
	v_xor_b32_e32 v172, vcc_lo, v172
	v_mad_u32_u24 v174, v171, 36, v118
	v_mul_u32_u24_e32 v171, 36, v171
	v_and_b32_e32 v37, v37, v176
	s_wait_alu 0xf1ff
	v_xor_b32_e32 v173, s15, v173
	s_delay_alu instid0(VALU_DEP_2) | instskip(SKIP_3) | instid1(VALU_DEP_1)
	v_and_b32_e32 v37, v37, v172
	ds_load_b32 v172, v174 offset:1056
	v_add_nc_u32_e32 v174, v118, v171
	; wave barrier
	v_and_b32_e32 v37, v37, v173
	v_mbcnt_lo_u32_b32 v173, v37, 0
	v_cmp_ne_u32_e64 s15, 0, v37
	s_delay_alu instid0(VALU_DEP_2)
	v_cmp_eq_u32_e32 vcc_lo, 0, v173
	s_and_b32 s16, s15, vcc_lo
	s_wait_alu 0xfffe
	s_and_saveexec_b32 s15, s16
	s_cbranch_execz .LBB1463_741
; %bb.740:                              ;   in Loop: Header=BB1463_687 Depth=2
	s_wait_dscnt 0x0
	v_bcnt_u32_b32 v37, v37, v172
	ds_store_b32 v174, v37 offset:1056
.LBB1463_741:                           ;   in Loop: Header=BB1463_687 Depth=2
	s_wait_alu 0xfffe
	s_or_b32 exec_lo, exec_lo, s15
	v_cmp_lt_i32_e32 vcc_lo, -1, v43
	; wave barrier
	s_wait_alu 0xfffd
	v_cndmask_b32_e64 v37, -1, 0x80000000, vcc_lo
	s_delay_alu instid0(VALU_DEP_1) | instskip(NEXT) | instid1(VALU_DEP_1)
	v_xor_b32_e32 v171, v37, v43
	v_cmp_ne_u32_e32 vcc_lo, 0x7fffffff, v171
	s_wait_alu 0xfffd
	v_cndmask_b32_e32 v37, 0x80000000, v171, vcc_lo
	s_delay_alu instid0(VALU_DEP_1) | instskip(NEXT) | instid1(VALU_DEP_1)
	v_lshrrev_b32_e32 v37, s49, v37
	v_and_b32_e32 v43, s48, v37
	s_delay_alu instid0(VALU_DEP_1)
	v_and_b32_e32 v37, 1, v43
	v_lshlrev_b32_e32 v175, 30, v43
	v_lshlrev_b32_e32 v176, 29, v43
	;; [unrolled: 1-line block ×4, first 2 shown]
	v_add_co_u32 v37, s15, v37, -1
	s_wait_alu 0xf1ff
	v_cndmask_b32_e64 v178, 0, 1, s15
	v_not_b32_e32 v182, v175
	v_cmp_gt_i32_e64 s15, 0, v175
	v_not_b32_e32 v175, v176
	v_lshlrev_b32_e32 v180, 26, v43
	v_cmp_ne_u32_e32 vcc_lo, 0, v178
	v_ashrrev_i32_e32 v182, 31, v182
	v_lshlrev_b32_e32 v181, 25, v43
	v_ashrrev_i32_e32 v175, 31, v175
	v_lshlrev_b32_e32 v178, 24, v43
	s_wait_alu 0xfffd
	v_xor_b32_e32 v37, vcc_lo, v37
	v_cmp_gt_i32_e32 vcc_lo, 0, v176
	v_not_b32_e32 v176, v177
	s_wait_alu 0xf1ff
	v_xor_b32_e32 v182, s15, v182
	v_cmp_gt_i32_e64 s15, 0, v177
	v_and_b32_e32 v37, exec_lo, v37
	v_not_b32_e32 v177, v179
	v_ashrrev_i32_e32 v176, 31, v176
	s_wait_alu 0xfffd
	v_xor_b32_e32 v175, vcc_lo, v175
	v_cmp_gt_i32_e32 vcc_lo, 0, v179
	v_and_b32_e32 v37, v37, v182
	v_not_b32_e32 v179, v180
	v_ashrrev_i32_e32 v177, 31, v177
	s_wait_alu 0xf1ff
	v_xor_b32_e32 v176, s15, v176
	v_cmp_gt_i32_e64 s15, 0, v180
	v_and_b32_e32 v37, v37, v175
	v_not_b32_e32 v175, v181
	v_ashrrev_i32_e32 v179, 31, v179
	s_wait_alu 0xfffd
	v_xor_b32_e32 v177, vcc_lo, v177
	v_cmp_gt_i32_e32 vcc_lo, 0, v181
	v_and_b32_e32 v37, v37, v176
	v_not_b32_e32 v176, v178
	v_ashrrev_i32_e32 v175, 31, v175
	s_wait_alu 0xf1ff
	v_xor_b32_e32 v179, s15, v179
	v_cmp_gt_i32_e64 s15, 0, v178
	v_and_b32_e32 v37, v37, v177
	v_ashrrev_i32_e32 v176, 31, v176
	s_wait_alu 0xfffd
	v_xor_b32_e32 v175, vcc_lo, v175
	v_mad_u32_u24 v177, v43, 36, v118
	v_mul_u32_u24_e32 v43, 36, v43
	v_and_b32_e32 v37, v37, v179
	s_wait_alu 0xf1ff
	v_xor_b32_e32 v178, s15, v176
	ds_load_b32 v176, v177 offset:1056
	v_and_b32_e32 v37, v37, v175
	; wave barrier
	s_delay_alu instid0(VALU_DEP_1) | instskip(SKIP_1) | instid1(VALU_DEP_2)
	v_and_b32_e32 v37, v37, v178
	v_add_nc_u32_e32 v178, v118, v43
	v_mbcnt_lo_u32_b32 v177, v37, 0
	v_cmp_ne_u32_e64 s15, 0, v37
	s_delay_alu instid0(VALU_DEP_2)
	v_cmp_eq_u32_e32 vcc_lo, 0, v177
	s_and_b32 s16, s15, vcc_lo
	s_wait_alu 0xfffe
	s_and_saveexec_b32 s15, s16
	s_cbranch_execz .LBB1463_743
; %bb.742:                              ;   in Loop: Header=BB1463_687 Depth=2
	s_wait_dscnt 0x0
	v_bcnt_u32_b32 v37, v37, v176
	ds_store_b32 v178, v37 offset:1056
.LBB1463_743:                           ;   in Loop: Header=BB1463_687 Depth=2
	s_wait_alu 0xfffe
	s_or_b32 exec_lo, exec_lo, s15
	v_cmp_lt_i32_e32 vcc_lo, -1, v42
	; wave barrier
	s_wait_alu 0xfffd
	v_cndmask_b32_e64 v37, -1, 0x80000000, vcc_lo
	s_delay_alu instid0(VALU_DEP_1) | instskip(NEXT) | instid1(VALU_DEP_1)
	v_xor_b32_e32 v175, v37, v42
	v_cmp_ne_u32_e32 vcc_lo, 0x7fffffff, v175
	s_wait_alu 0xfffd
	v_cndmask_b32_e32 v37, 0x80000000, v175, vcc_lo
	s_delay_alu instid0(VALU_DEP_1) | instskip(NEXT) | instid1(VALU_DEP_1)
	v_lshrrev_b32_e32 v37, s49, v37
	v_and_b32_e32 v42, s48, v37
	s_delay_alu instid0(VALU_DEP_1)
	v_and_b32_e32 v37, 1, v42
	v_lshlrev_b32_e32 v43, 30, v42
	v_lshlrev_b32_e32 v179, 29, v42
	;; [unrolled: 1-line block ×4, first 2 shown]
	v_add_co_u32 v37, s15, v37, -1
	s_wait_alu 0xf1ff
	v_cndmask_b32_e64 v181, 0, 1, s15
	v_not_b32_e32 v185, v43
	v_cmp_gt_i32_e64 s15, 0, v43
	v_not_b32_e32 v43, v179
	v_lshlrev_b32_e32 v183, 26, v42
	v_cmp_ne_u32_e32 vcc_lo, 0, v181
	v_ashrrev_i32_e32 v185, 31, v185
	v_lshlrev_b32_e32 v184, 25, v42
	v_ashrrev_i32_e32 v43, 31, v43
	v_lshlrev_b32_e32 v181, 24, v42
	s_wait_alu 0xfffd
	v_xor_b32_e32 v37, vcc_lo, v37
	v_cmp_gt_i32_e32 vcc_lo, 0, v179
	v_not_b32_e32 v179, v180
	s_wait_alu 0xf1ff
	v_xor_b32_e32 v185, s15, v185
	v_cmp_gt_i32_e64 s15, 0, v180
	v_and_b32_e32 v37, exec_lo, v37
	v_not_b32_e32 v180, v182
	v_ashrrev_i32_e32 v179, 31, v179
	s_wait_alu 0xfffd
	v_xor_b32_e32 v43, vcc_lo, v43
	v_cmp_gt_i32_e32 vcc_lo, 0, v182
	v_and_b32_e32 v37, v37, v185
	v_not_b32_e32 v182, v183
	v_ashrrev_i32_e32 v180, 31, v180
	s_wait_alu 0xf1ff
	v_xor_b32_e32 v179, s15, v179
	v_cmp_gt_i32_e64 s15, 0, v183
	v_and_b32_e32 v37, v37, v43
	v_not_b32_e32 v43, v184
	v_ashrrev_i32_e32 v182, 31, v182
	s_wait_alu 0xfffd
	v_xor_b32_e32 v180, vcc_lo, v180
	v_cmp_gt_i32_e32 vcc_lo, 0, v184
	v_and_b32_e32 v37, v37, v179
	v_not_b32_e32 v179, v181
	v_ashrrev_i32_e32 v43, 31, v43
	s_wait_alu 0xf1ff
	v_xor_b32_e32 v182, s15, v182
	v_cmp_gt_i32_e64 s15, 0, v181
	v_and_b32_e32 v37, v37, v180
	v_ashrrev_i32_e32 v179, 31, v179
	s_wait_alu 0xfffd
	v_xor_b32_e32 v43, vcc_lo, v43
	v_mad_u32_u24 v180, v42, 36, v118
	v_mul_u32_u24_e32 v42, 36, v42
	v_and_b32_e32 v37, v37, v182
	s_wait_alu 0xf1ff
	v_xor_b32_e32 v179, s15, v179
	ds_load_b32 v180, v180 offset:1056
	v_add_nc_u32_e32 v182, v118, v42
	v_and_b32_e32 v37, v37, v43
	; wave barrier
	s_delay_alu instid0(VALU_DEP_1) | instskip(NEXT) | instid1(VALU_DEP_1)
	v_and_b32_e32 v37, v37, v179
	v_mbcnt_lo_u32_b32 v181, v37, 0
	v_cmp_ne_u32_e64 s15, 0, v37
	s_delay_alu instid0(VALU_DEP_2)
	v_cmp_eq_u32_e32 vcc_lo, 0, v181
	s_and_b32 s16, s15, vcc_lo
	s_wait_alu 0xfffe
	s_and_saveexec_b32 s15, s16
	s_cbranch_execz .LBB1463_745
; %bb.744:                              ;   in Loop: Header=BB1463_687 Depth=2
	s_wait_dscnt 0x0
	v_bcnt_u32_b32 v37, v37, v180
	ds_store_b32 v182, v37 offset:1056
.LBB1463_745:                           ;   in Loop: Header=BB1463_687 Depth=2
	s_wait_alu 0xfffe
	s_or_b32 exec_lo, exec_lo, s15
	v_cmp_lt_i32_e32 vcc_lo, -1, v41
	; wave barrier
	s_wait_alu 0xfffd
	v_cndmask_b32_e64 v37, -1, 0x80000000, vcc_lo
	s_delay_alu instid0(VALU_DEP_1) | instskip(NEXT) | instid1(VALU_DEP_1)
	v_xor_b32_e32 v179, v37, v41
	v_cmp_ne_u32_e32 vcc_lo, 0x7fffffff, v179
	s_wait_alu 0xfffd
	v_cndmask_b32_e32 v37, 0x80000000, v179, vcc_lo
	s_delay_alu instid0(VALU_DEP_1) | instskip(NEXT) | instid1(VALU_DEP_1)
	v_lshrrev_b32_e32 v37, s49, v37
	v_and_b32_e32 v41, s48, v37
	s_delay_alu instid0(VALU_DEP_1)
	v_and_b32_e32 v37, 1, v41
	v_lshlrev_b32_e32 v42, 30, v41
	v_lshlrev_b32_e32 v43, 29, v41
	;; [unrolled: 1-line block ×4, first 2 shown]
	v_add_co_u32 v37, s15, v37, -1
	s_wait_alu 0xf1ff
	v_cndmask_b32_e64 v184, 0, 1, s15
	v_not_b32_e32 v188, v42
	v_cmp_gt_i32_e64 s15, 0, v42
	v_not_b32_e32 v42, v43
	v_lshlrev_b32_e32 v186, 26, v41
	v_cmp_ne_u32_e32 vcc_lo, 0, v184
	v_ashrrev_i32_e32 v188, 31, v188
	v_lshlrev_b32_e32 v187, 25, v41
	v_ashrrev_i32_e32 v42, 31, v42
	v_lshlrev_b32_e32 v184, 24, v41
	s_wait_alu 0xfffd
	v_xor_b32_e32 v37, vcc_lo, v37
	v_cmp_gt_i32_e32 vcc_lo, 0, v43
	v_not_b32_e32 v43, v183
	s_wait_alu 0xf1ff
	v_xor_b32_e32 v188, s15, v188
	v_cmp_gt_i32_e64 s15, 0, v183
	v_and_b32_e32 v37, exec_lo, v37
	v_not_b32_e32 v183, v185
	v_ashrrev_i32_e32 v43, 31, v43
	s_wait_alu 0xfffd
	v_xor_b32_e32 v42, vcc_lo, v42
	v_cmp_gt_i32_e32 vcc_lo, 0, v185
	v_and_b32_e32 v37, v37, v188
	v_not_b32_e32 v185, v186
	v_ashrrev_i32_e32 v183, 31, v183
	s_wait_alu 0xf1ff
	v_xor_b32_e32 v43, s15, v43
	v_cmp_gt_i32_e64 s15, 0, v186
	v_and_b32_e32 v37, v37, v42
	v_not_b32_e32 v42, v187
	v_ashrrev_i32_e32 v185, 31, v185
	s_wait_alu 0xfffd
	v_xor_b32_e32 v183, vcc_lo, v183
	v_cmp_gt_i32_e32 vcc_lo, 0, v187
	v_and_b32_e32 v37, v37, v43
	v_not_b32_e32 v43, v184
	v_ashrrev_i32_e32 v42, 31, v42
	s_wait_alu 0xf1ff
	v_xor_b32_e32 v185, s15, v185
	v_cmp_gt_i32_e64 s15, 0, v184
	v_and_b32_e32 v37, v37, v183
	v_ashrrev_i32_e32 v43, 31, v43
	s_wait_alu 0xfffd
	v_xor_b32_e32 v42, vcc_lo, v42
	v_mad_u32_u24 v183, v41, 36, v118
	v_mul_u32_u24_e32 v41, 36, v41
	v_and_b32_e32 v37, v37, v185
	s_wait_alu 0xf1ff
	v_xor_b32_e32 v43, s15, v43
	ds_load_b32 v184, v183 offset:1056
	v_add_nc_u32_e32 v186, v118, v41
	v_and_b32_e32 v37, v37, v42
	; wave barrier
	s_delay_alu instid0(VALU_DEP_1) | instskip(NEXT) | instid1(VALU_DEP_1)
	v_and_b32_e32 v37, v37, v43
	v_mbcnt_lo_u32_b32 v185, v37, 0
	v_cmp_ne_u32_e64 s15, 0, v37
	s_delay_alu instid0(VALU_DEP_2)
	v_cmp_eq_u32_e32 vcc_lo, 0, v185
	s_and_b32 s16, s15, vcc_lo
	s_wait_alu 0xfffe
	s_and_saveexec_b32 s15, s16
	s_cbranch_execz .LBB1463_747
; %bb.746:                              ;   in Loop: Header=BB1463_687 Depth=2
	s_wait_dscnt 0x0
	v_bcnt_u32_b32 v37, v37, v184
	ds_store_b32 v186, v37 offset:1056
.LBB1463_747:                           ;   in Loop: Header=BB1463_687 Depth=2
	s_wait_alu 0xfffe
	s_or_b32 exec_lo, exec_lo, s15
	v_cmp_lt_i32_e32 vcc_lo, -1, v40
	; wave barrier
	s_wait_alu 0xfffd
	v_cndmask_b32_e64 v37, -1, 0x80000000, vcc_lo
	s_delay_alu instid0(VALU_DEP_1) | instskip(NEXT) | instid1(VALU_DEP_1)
	v_xor_b32_e32 v183, v37, v40
	v_cmp_ne_u32_e32 vcc_lo, 0x7fffffff, v183
	s_wait_alu 0xfffd
	v_cndmask_b32_e32 v37, 0x80000000, v183, vcc_lo
	s_delay_alu instid0(VALU_DEP_1) | instskip(NEXT) | instid1(VALU_DEP_1)
	v_lshrrev_b32_e32 v37, s49, v37
	v_and_b32_e32 v40, s48, v37
	s_delay_alu instid0(VALU_DEP_1)
	v_and_b32_e32 v37, 1, v40
	v_lshlrev_b32_e32 v41, 30, v40
	v_lshlrev_b32_e32 v42, 29, v40
	;; [unrolled: 1-line block ×4, first 2 shown]
	v_add_co_u32 v37, s15, v37, -1
	s_wait_alu 0xf1ff
	v_cndmask_b32_e64 v187, 0, 1, s15
	v_not_b32_e32 v191, v41
	v_cmp_gt_i32_e64 s15, 0, v41
	v_not_b32_e32 v41, v42
	v_lshlrev_b32_e32 v189, 26, v40
	v_cmp_ne_u32_e32 vcc_lo, 0, v187
	v_ashrrev_i32_e32 v191, 31, v191
	v_lshlrev_b32_e32 v190, 25, v40
	v_ashrrev_i32_e32 v41, 31, v41
	v_lshlrev_b32_e32 v187, 24, v40
	s_wait_alu 0xfffd
	v_xor_b32_e32 v37, vcc_lo, v37
	v_cmp_gt_i32_e32 vcc_lo, 0, v42
	v_not_b32_e32 v42, v43
	s_wait_alu 0xf1ff
	v_xor_b32_e32 v191, s15, v191
	v_cmp_gt_i32_e64 s15, 0, v43
	v_and_b32_e32 v37, exec_lo, v37
	v_not_b32_e32 v43, v188
	v_ashrrev_i32_e32 v42, 31, v42
	s_wait_alu 0xfffd
	v_xor_b32_e32 v41, vcc_lo, v41
	v_cmp_gt_i32_e32 vcc_lo, 0, v188
	v_and_b32_e32 v37, v37, v191
	v_not_b32_e32 v188, v189
	v_ashrrev_i32_e32 v43, 31, v43
	s_wait_alu 0xf1ff
	v_xor_b32_e32 v42, s15, v42
	v_cmp_gt_i32_e64 s15, 0, v189
	v_and_b32_e32 v37, v37, v41
	v_not_b32_e32 v41, v190
	v_ashrrev_i32_e32 v188, 31, v188
	s_wait_alu 0xfffd
	v_xor_b32_e32 v43, vcc_lo, v43
	v_cmp_gt_i32_e32 vcc_lo, 0, v190
	v_and_b32_e32 v37, v37, v42
	v_not_b32_e32 v42, v187
	v_ashrrev_i32_e32 v41, 31, v41
	s_wait_alu 0xf1ff
	v_xor_b32_e32 v188, s15, v188
	v_cmp_gt_i32_e64 s15, 0, v187
	v_and_b32_e32 v37, v37, v43
	v_ashrrev_i32_e32 v42, 31, v42
	s_wait_alu 0xfffd
	v_xor_b32_e32 v41, vcc_lo, v41
	v_mad_u32_u24 v43, v40, 36, v118
	v_mul_u32_u24_e32 v40, 36, v40
	v_and_b32_e32 v37, v37, v188
	s_wait_alu 0xf1ff
	v_xor_b32_e32 v42, s15, v42
	ds_load_b32 v188, v43 offset:1056
	v_add_nc_u32_e32 v190, v118, v40
	v_and_b32_e32 v37, v37, v41
	; wave barrier
	s_delay_alu instid0(VALU_DEP_1) | instskip(NEXT) | instid1(VALU_DEP_1)
	v_and_b32_e32 v37, v37, v42
	v_mbcnt_lo_u32_b32 v189, v37, 0
	v_cmp_ne_u32_e64 s15, 0, v37
	s_delay_alu instid0(VALU_DEP_2)
	v_cmp_eq_u32_e32 vcc_lo, 0, v189
	s_and_b32 s16, s15, vcc_lo
	s_wait_alu 0xfffe
	s_and_saveexec_b32 s15, s16
	s_cbranch_execz .LBB1463_749
; %bb.748:                              ;   in Loop: Header=BB1463_687 Depth=2
	s_wait_dscnt 0x0
	v_bcnt_u32_b32 v37, v37, v188
	ds_store_b32 v190, v37 offset:1056
.LBB1463_749:                           ;   in Loop: Header=BB1463_687 Depth=2
	s_wait_alu 0xfffe
	s_or_b32 exec_lo, exec_lo, s15
	v_cmp_lt_i32_e32 vcc_lo, -1, v39
	; wave barrier
	s_wait_alu 0xfffd
	v_cndmask_b32_e64 v37, -1, 0x80000000, vcc_lo
	s_delay_alu instid0(VALU_DEP_1) | instskip(NEXT) | instid1(VALU_DEP_1)
	v_xor_b32_e32 v187, v37, v39
	v_cmp_ne_u32_e32 vcc_lo, 0x7fffffff, v187
	s_wait_alu 0xfffd
	v_cndmask_b32_e32 v37, 0x80000000, v187, vcc_lo
	s_delay_alu instid0(VALU_DEP_1) | instskip(NEXT) | instid1(VALU_DEP_1)
	v_lshrrev_b32_e32 v37, s49, v37
	v_and_b32_e32 v39, s48, v37
	s_delay_alu instid0(VALU_DEP_1)
	v_and_b32_e32 v37, 1, v39
	v_lshlrev_b32_e32 v40, 30, v39
	v_lshlrev_b32_e32 v41, 29, v39
	v_lshlrev_b32_e32 v42, 28, v39
	v_lshlrev_b32_e32 v191, 27, v39
	v_add_co_u32 v37, s15, v37, -1
	s_wait_alu 0xf1ff
	v_cndmask_b32_e64 v43, 0, 1, s15
	v_not_b32_e32 v194, v40
	v_cmp_gt_i32_e64 s15, 0, v40
	v_not_b32_e32 v40, v41
	v_lshlrev_b32_e32 v192, 26, v39
	v_cmp_ne_u32_e32 vcc_lo, 0, v43
	v_ashrrev_i32_e32 v194, 31, v194
	v_lshlrev_b32_e32 v193, 25, v39
	v_ashrrev_i32_e32 v40, 31, v40
	v_lshlrev_b32_e32 v43, 24, v39
	s_wait_alu 0xfffd
	v_xor_b32_e32 v37, vcc_lo, v37
	v_cmp_gt_i32_e32 vcc_lo, 0, v41
	v_not_b32_e32 v41, v42
	s_wait_alu 0xf1ff
	v_xor_b32_e32 v194, s15, v194
	v_cmp_gt_i32_e64 s15, 0, v42
	v_and_b32_e32 v37, exec_lo, v37
	v_not_b32_e32 v42, v191
	v_ashrrev_i32_e32 v41, 31, v41
	s_wait_alu 0xfffd
	v_xor_b32_e32 v40, vcc_lo, v40
	v_cmp_gt_i32_e32 vcc_lo, 0, v191
	v_and_b32_e32 v37, v37, v194
	v_not_b32_e32 v191, v192
	v_ashrrev_i32_e32 v42, 31, v42
	s_wait_alu 0xf1ff
	v_xor_b32_e32 v41, s15, v41
	v_cmp_gt_i32_e64 s15, 0, v192
	v_and_b32_e32 v37, v37, v40
	v_not_b32_e32 v40, v193
	v_ashrrev_i32_e32 v191, 31, v191
	s_wait_alu 0xfffd
	v_xor_b32_e32 v42, vcc_lo, v42
	v_cmp_gt_i32_e32 vcc_lo, 0, v193
	v_and_b32_e32 v37, v37, v41
	v_not_b32_e32 v41, v43
	v_ashrrev_i32_e32 v40, 31, v40
	s_wait_alu 0xf1ff
	v_xor_b32_e32 v191, s15, v191
	v_cmp_gt_i32_e64 s15, 0, v43
	v_and_b32_e32 v37, v37, v42
	v_ashrrev_i32_e32 v41, 31, v41
	s_wait_alu 0xfffd
	v_xor_b32_e32 v40, vcc_lo, v40
	v_mad_u32_u24 v42, v39, 36, v118
	v_mul_u32_u24_e32 v39, 36, v39
	v_and_b32_e32 v37, v37, v191
	s_wait_alu 0xf1ff
	v_xor_b32_e32 v41, s15, v41
	ds_load_b32 v192, v42 offset:1056
	v_add_nc_u32_e32 v194, v118, v39
	v_and_b32_e32 v37, v37, v40
	; wave barrier
	s_delay_alu instid0(VALU_DEP_1) | instskip(NEXT) | instid1(VALU_DEP_1)
	v_and_b32_e32 v37, v37, v41
	v_mbcnt_lo_u32_b32 v193, v37, 0
	v_cmp_ne_u32_e64 s15, 0, v37
	s_delay_alu instid0(VALU_DEP_2)
	v_cmp_eq_u32_e32 vcc_lo, 0, v193
	s_and_b32 s16, s15, vcc_lo
	s_wait_alu 0xfffe
	s_and_saveexec_b32 s15, s16
	s_cbranch_execz .LBB1463_751
; %bb.750:                              ;   in Loop: Header=BB1463_687 Depth=2
	s_wait_dscnt 0x0
	v_bcnt_u32_b32 v37, v37, v192
	ds_store_b32 v194, v37 offset:1056
.LBB1463_751:                           ;   in Loop: Header=BB1463_687 Depth=2
	s_wait_alu 0xfffe
	s_or_b32 exec_lo, exec_lo, s15
	v_cmp_lt_i32_e32 vcc_lo, -1, v38
	; wave barrier
	s_wait_alu 0xfffd
	v_cndmask_b32_e64 v37, -1, 0x80000000, vcc_lo
	s_delay_alu instid0(VALU_DEP_1) | instskip(NEXT) | instid1(VALU_DEP_1)
	v_xor_b32_e32 v191, v37, v38
	v_cmp_ne_u32_e32 vcc_lo, 0x7fffffff, v191
	s_wait_alu 0xfffd
	v_cndmask_b32_e32 v37, 0x80000000, v191, vcc_lo
	s_delay_alu instid0(VALU_DEP_1) | instskip(NEXT) | instid1(VALU_DEP_1)
	v_lshrrev_b32_e32 v37, s49, v37
	v_and_b32_e32 v38, s48, v37
	s_delay_alu instid0(VALU_DEP_1)
	v_and_b32_e32 v37, 1, v38
	v_lshlrev_b32_e32 v39, 30, v38
	v_lshlrev_b32_e32 v40, 29, v38
	;; [unrolled: 1-line block ×4, first 2 shown]
	v_add_co_u32 v37, s15, v37, -1
	s_wait_alu 0xf1ff
	v_cndmask_b32_e64 v42, 0, 1, s15
	v_not_b32_e32 v197, v39
	v_cmp_gt_i32_e64 s15, 0, v39
	v_not_b32_e32 v39, v40
	v_lshlrev_b32_e32 v195, 26, v38
	v_cmp_ne_u32_e32 vcc_lo, 0, v42
	v_ashrrev_i32_e32 v197, 31, v197
	v_lshlrev_b32_e32 v196, 25, v38
	v_ashrrev_i32_e32 v39, 31, v39
	v_lshlrev_b32_e32 v42, 24, v38
	s_wait_alu 0xfffd
	v_xor_b32_e32 v37, vcc_lo, v37
	v_cmp_gt_i32_e32 vcc_lo, 0, v40
	v_not_b32_e32 v40, v41
	s_wait_alu 0xf1ff
	v_xor_b32_e32 v197, s15, v197
	v_cmp_gt_i32_e64 s15, 0, v41
	v_and_b32_e32 v37, exec_lo, v37
	v_not_b32_e32 v41, v43
	v_ashrrev_i32_e32 v40, 31, v40
	s_wait_alu 0xfffd
	v_xor_b32_e32 v39, vcc_lo, v39
	v_cmp_gt_i32_e32 vcc_lo, 0, v43
	v_and_b32_e32 v37, v37, v197
	v_not_b32_e32 v43, v195
	v_ashrrev_i32_e32 v41, 31, v41
	s_wait_alu 0xf1ff
	v_xor_b32_e32 v40, s15, v40
	v_cmp_gt_i32_e64 s15, 0, v195
	v_and_b32_e32 v37, v37, v39
	v_not_b32_e32 v39, v196
	v_ashrrev_i32_e32 v43, 31, v43
	s_wait_alu 0xfffd
	v_xor_b32_e32 v41, vcc_lo, v41
	v_cmp_gt_i32_e32 vcc_lo, 0, v196
	v_and_b32_e32 v37, v37, v40
	v_not_b32_e32 v40, v42
	v_ashrrev_i32_e32 v39, 31, v39
	s_wait_alu 0xf1ff
	v_xor_b32_e32 v43, s15, v43
	v_cmp_gt_i32_e64 s15, 0, v42
	v_and_b32_e32 v37, v37, v41
	v_ashrrev_i32_e32 v40, 31, v40
	s_wait_alu 0xfffd
	v_xor_b32_e32 v39, vcc_lo, v39
	v_mad_u32_u24 v41, v38, 36, v118
	v_mul_u32_u24_e32 v38, 36, v38
	v_and_b32_e32 v37, v37, v43
	s_wait_alu 0xf1ff
	v_xor_b32_e32 v40, s15, v40
	ds_load_b32 v196, v41 offset:1056
	v_add_nc_u32_e32 v198, v118, v38
	v_and_b32_e32 v37, v37, v39
	; wave barrier
	s_delay_alu instid0(VALU_DEP_1) | instskip(NEXT) | instid1(VALU_DEP_1)
	v_and_b32_e32 v37, v37, v40
	v_mbcnt_lo_u32_b32 v197, v37, 0
	v_cmp_ne_u32_e64 s15, 0, v37
	s_delay_alu instid0(VALU_DEP_2)
	v_cmp_eq_u32_e32 vcc_lo, 0, v197
	s_and_b32 s16, s15, vcc_lo
	s_wait_alu 0xfffe
	s_and_saveexec_b32 s15, s16
	s_cbranch_execz .LBB1463_753
; %bb.752:                              ;   in Loop: Header=BB1463_687 Depth=2
	s_wait_dscnt 0x0
	v_bcnt_u32_b32 v37, v37, v196
	ds_store_b32 v198, v37 offset:1056
.LBB1463_753:                           ;   in Loop: Header=BB1463_687 Depth=2
	s_wait_alu 0xfffe
	s_or_b32 exec_lo, exec_lo, s15
	v_cmp_lt_i32_e32 vcc_lo, -1, v36
	; wave barrier
	s_wait_alu 0xfffd
	v_cndmask_b32_e64 v37, -1, 0x80000000, vcc_lo
	s_delay_alu instid0(VALU_DEP_1) | instskip(NEXT) | instid1(VALU_DEP_1)
	v_xor_b32_e32 v195, v37, v36
	v_cmp_ne_u32_e32 vcc_lo, 0x7fffffff, v195
	s_wait_alu 0xfffd
	v_cndmask_b32_e32 v36, 0x80000000, v195, vcc_lo
	s_delay_alu instid0(VALU_DEP_1) | instskip(NEXT) | instid1(VALU_DEP_1)
	v_lshrrev_b32_e32 v36, s49, v36
	v_and_b32_e32 v37, s48, v36
	s_delay_alu instid0(VALU_DEP_1)
	v_and_b32_e32 v36, 1, v37
	v_lshlrev_b32_e32 v38, 30, v37
	v_lshlrev_b32_e32 v39, 29, v37
	;; [unrolled: 1-line block ×4, first 2 shown]
	v_add_co_u32 v36, s15, v36, -1
	s_wait_alu 0xf1ff
	v_cndmask_b32_e64 v41, 0, 1, s15
	v_not_b32_e32 v200, v38
	v_cmp_gt_i32_e64 s15, 0, v38
	v_not_b32_e32 v38, v39
	v_lshlrev_b32_e32 v43, 26, v37
	v_cmp_ne_u32_e32 vcc_lo, 0, v41
	v_ashrrev_i32_e32 v200, 31, v200
	v_lshlrev_b32_e32 v199, 25, v37
	v_ashrrev_i32_e32 v38, 31, v38
	v_lshlrev_b32_e32 v41, 24, v37
	s_wait_alu 0xfffd
	v_xor_b32_e32 v36, vcc_lo, v36
	v_cmp_gt_i32_e32 vcc_lo, 0, v39
	v_not_b32_e32 v39, v40
	s_wait_alu 0xf1ff
	v_xor_b32_e32 v200, s15, v200
	v_cmp_gt_i32_e64 s15, 0, v40
	v_and_b32_e32 v36, exec_lo, v36
	v_not_b32_e32 v40, v42
	v_ashrrev_i32_e32 v39, 31, v39
	s_wait_alu 0xfffd
	v_xor_b32_e32 v38, vcc_lo, v38
	v_cmp_gt_i32_e32 vcc_lo, 0, v42
	v_and_b32_e32 v36, v36, v200
	v_not_b32_e32 v42, v43
	v_ashrrev_i32_e32 v40, 31, v40
	s_wait_alu 0xf1ff
	v_xor_b32_e32 v39, s15, v39
	v_cmp_gt_i32_e64 s15, 0, v43
	v_and_b32_e32 v36, v36, v38
	v_not_b32_e32 v38, v199
	v_ashrrev_i32_e32 v42, 31, v42
	s_wait_alu 0xfffd
	v_xor_b32_e32 v40, vcc_lo, v40
	v_cmp_gt_i32_e32 vcc_lo, 0, v199
	v_and_b32_e32 v36, v36, v39
	v_not_b32_e32 v39, v41
	v_ashrrev_i32_e32 v38, 31, v38
	s_wait_alu 0xf1ff
	v_xor_b32_e32 v42, s15, v42
	v_cmp_gt_i32_e64 s15, 0, v41
	v_and_b32_e32 v36, v36, v40
	v_ashrrev_i32_e32 v39, 31, v39
	s_wait_alu 0xfffd
	v_xor_b32_e32 v38, vcc_lo, v38
	v_mad_u32_u24 v40, v37, 36, v118
	v_mul_u32_u24_e32 v37, 36, v37
	v_and_b32_e32 v36, v36, v42
	s_wait_alu 0xf1ff
	v_xor_b32_e32 v39, s15, v39
	ds_load_b32 v199, v40 offset:1056
	v_add_nc_u32_e32 v201, v118, v37
	v_and_b32_e32 v36, v36, v38
	; wave barrier
	s_delay_alu instid0(VALU_DEP_1) | instskip(NEXT) | instid1(VALU_DEP_1)
	v_and_b32_e32 v36, v36, v39
	v_mbcnt_lo_u32_b32 v200, v36, 0
	v_cmp_ne_u32_e64 s15, 0, v36
	s_delay_alu instid0(VALU_DEP_2)
	v_cmp_eq_u32_e32 vcc_lo, 0, v200
	s_and_b32 s16, s15, vcc_lo
	s_wait_alu 0xfffe
	s_and_saveexec_b32 s15, s16
	s_cbranch_execz .LBB1463_755
; %bb.754:                              ;   in Loop: Header=BB1463_687 Depth=2
	s_wait_dscnt 0x0
	v_bcnt_u32_b32 v36, v36, v199
	ds_store_b32 v201, v36 offset:1056
.LBB1463_755:                           ;   in Loop: Header=BB1463_687 Depth=2
	s_wait_alu 0xfffe
	s_or_b32 exec_lo, exec_lo, s15
	; wave barrier
	s_wait_loadcnt_dscnt 0x0
	s_barrier_signal -1
	s_barrier_wait -1
	global_inv scope:SCOPE_SE
	ds_load_2addr_b32 v[42:43], v139 offset1:1
	ds_load_2addr_b32 v[40:41], v140 offset1:1
	;; [unrolled: 1-line block ×4, first 2 shown]
	ds_load_b32 v202, v67 offset:1088
	s_wait_dscnt 0x3
	v_add3_u32 v203, v43, v42, v40
	s_wait_dscnt 0x2
	s_delay_alu instid0(VALU_DEP_1) | instskip(SKIP_1) | instid1(VALU_DEP_1)
	v_add3_u32 v203, v203, v41, v38
	s_wait_dscnt 0x1
	v_add3_u32 v203, v203, v39, v36
	s_wait_dscnt 0x0
	s_delay_alu instid0(VALU_DEP_1) | instskip(NEXT) | instid1(VALU_DEP_1)
	v_add3_u32 v202, v203, v37, v202
	v_mov_b32_dpp v203, v202 row_shr:1 row_mask:0xf bank_mask:0xf
	s_delay_alu instid0(VALU_DEP_1) | instskip(NEXT) | instid1(VALU_DEP_1)
	v_cndmask_b32_e64 v203, v203, 0, s0
	v_add_nc_u32_e32 v202, v203, v202
	s_delay_alu instid0(VALU_DEP_1) | instskip(NEXT) | instid1(VALU_DEP_1)
	v_mov_b32_dpp v203, v202 row_shr:2 row_mask:0xf bank_mask:0xf
	v_cndmask_b32_e64 v203, 0, v203, s1
	s_delay_alu instid0(VALU_DEP_1) | instskip(NEXT) | instid1(VALU_DEP_1)
	v_add_nc_u32_e32 v202, v202, v203
	v_mov_b32_dpp v203, v202 row_shr:4 row_mask:0xf bank_mask:0xf
	s_delay_alu instid0(VALU_DEP_1) | instskip(NEXT) | instid1(VALU_DEP_1)
	v_cndmask_b32_e64 v203, 0, v203, s9
	v_add_nc_u32_e32 v202, v202, v203
	s_delay_alu instid0(VALU_DEP_1) | instskip(NEXT) | instid1(VALU_DEP_1)
	v_mov_b32_dpp v203, v202 row_shr:8 row_mask:0xf bank_mask:0xf
	v_cndmask_b32_e64 v203, 0, v203, s10
	s_delay_alu instid0(VALU_DEP_1) | instskip(SKIP_3) | instid1(VALU_DEP_1)
	v_add_nc_u32_e32 v202, v202, v203
	ds_swizzle_b32 v203, v202 offset:swizzle(BROADCAST,32,15)
	s_wait_dscnt 0x0
	v_cndmask_b32_e64 v203, v203, 0, s11
	v_add_nc_u32_e32 v202, v202, v203
	s_and_saveexec_b32 s15, s3
; %bb.756:                              ;   in Loop: Header=BB1463_687 Depth=2
	ds_store_b32 v63, v202 offset:1024
; %bb.757:                              ;   in Loop: Header=BB1463_687 Depth=2
	s_wait_alu 0xfffe
	s_or_b32 exec_lo, exec_lo, s15
	s_wait_loadcnt_dscnt 0x0
	s_barrier_signal -1
	s_barrier_wait -1
	global_inv scope:SCOPE_SE
	s_and_saveexec_b32 s15, s4
	s_cbranch_execz .LBB1463_759
; %bb.758:                              ;   in Loop: Header=BB1463_687 Depth=2
	ds_load_b32 v203, v70 offset:1024
	s_wait_dscnt 0x0
	v_mov_b32_dpp v204, v203 row_shr:1 row_mask:0xf bank_mask:0xf
	s_delay_alu instid0(VALU_DEP_1) | instskip(NEXT) | instid1(VALU_DEP_1)
	v_cndmask_b32_e64 v204, v204, 0, s12
	v_add_nc_u32_e32 v203, v204, v203
	s_delay_alu instid0(VALU_DEP_1) | instskip(NEXT) | instid1(VALU_DEP_1)
	v_mov_b32_dpp v204, v203 row_shr:2 row_mask:0xf bank_mask:0xf
	v_cndmask_b32_e64 v204, 0, v204, s13
	s_delay_alu instid0(VALU_DEP_1) | instskip(NEXT) | instid1(VALU_DEP_1)
	v_add_nc_u32_e32 v203, v203, v204
	v_mov_b32_dpp v204, v203 row_shr:4 row_mask:0xf bank_mask:0xf
	s_delay_alu instid0(VALU_DEP_1) | instskip(NEXT) | instid1(VALU_DEP_1)
	v_cndmask_b32_e64 v204, 0, v204, s14
	v_add_nc_u32_e32 v203, v203, v204
	ds_store_b32 v70, v203 offset:1024
.LBB1463_759:                           ;   in Loop: Header=BB1463_687 Depth=2
	s_wait_alu 0xfffe
	s_or_b32 exec_lo, exec_lo, s15
	v_mov_b32_e32 v203, 0
	s_wait_loadcnt_dscnt 0x0
	s_barrier_signal -1
	s_barrier_wait -1
	global_inv scope:SCOPE_SE
	s_and_saveexec_b32 s15, s5
; %bb.760:                              ;   in Loop: Header=BB1463_687 Depth=2
	ds_load_b32 v203, v63 offset:1020
; %bb.761:                              ;   in Loop: Header=BB1463_687 Depth=2
	s_wait_alu 0xfffe
	s_or_b32 exec_lo, exec_lo, s15
	s_wait_dscnt 0x0
	v_add_nc_u32_e32 v202, v203, v202
	ds_bpermute_b32 v202, v113, v202
	s_wait_dscnt 0x0
	v_cndmask_b32_e64 v202, v202, v203, s8
	s_delay_alu instid0(VALU_DEP_1) | instskip(NEXT) | instid1(VALU_DEP_1)
	v_cndmask_b32_e64 v202, v202, 0, s6
	v_add_nc_u32_e32 v42, v202, v42
	s_delay_alu instid0(VALU_DEP_1) | instskip(NEXT) | instid1(VALU_DEP_1)
	v_add_nc_u32_e32 v43, v42, v43
	v_add_nc_u32_e32 v40, v43, v40
	s_delay_alu instid0(VALU_DEP_1) | instskip(NEXT) | instid1(VALU_DEP_1)
	v_add_nc_u32_e32 v41, v40, v41
	;; [unrolled: 3-line block ×3, first 2 shown]
	v_add_nc_u32_e32 v36, v39, v36
	s_delay_alu instid0(VALU_DEP_1)
	v_add_nc_u32_e32 v37, v36, v37
	ds_store_2addr_b32 v138, v39, v36 offset1:1
	ds_store_2addr_b32 v139, v202, v42 offset1:1
	;; [unrolled: 1-line block ×4, first 2 shown]
	ds_store_b32 v67, v37 offset:1088
	s_wait_loadcnt_dscnt 0x0
	s_barrier_signal -1
	s_barrier_wait -1
	global_inv scope:SCOPE_SE
	ds_load_b32 v39, v142 offset:1056
	ds_load_b32 v41, v146 offset:1056
	;; [unrolled: 1-line block ×17, first 2 shown]
	v_mov_b32_e32 v38, 0x1000
	s_and_saveexec_b32 s15, s7
; %bb.762:                              ;   in Loop: Header=BB1463_687 Depth=2
	ds_load_b32 v38, v67 offset:1092
; %bb.763:                              ;   in Loop: Header=BB1463_687 Depth=2
	s_wait_alu 0xfffe
	s_or_b32 exec_lo, exec_lo, s15
	s_wait_loadcnt_dscnt 0x0
	s_barrier_signal -1
	s_barrier_wait -1
	global_inv scope:SCOPE_SE
	s_and_saveexec_b32 s15, s2
	s_cbranch_execz .LBB1463_765
; %bb.764:                              ;   in Loop: Header=BB1463_687 Depth=2
	ds_load_b32 v142, v44
	s_wait_dscnt 0x0
	v_sub_nc_u32_e32 v141, v142, v141
	ds_store_b32 v44, v141
.LBB1463_765:                           ;   in Loop: Header=BB1463_687 Depth=2
	s_wait_alu 0xfffe
	s_or_b32 exec_lo, exec_lo, s15
	v_add_nc_u32_e32 v154, v39, v137
	v_add3_u32 v150, v145, v144, v41
	v_add3_u32 v146, v149, v148, v42
	;; [unrolled: 1-line block ×4, first 2 shown]
	v_lshlrev_b32_e32 v148, 2, v154
	v_add3_u32 v142, v161, v160, v139
	v_add3_u32 v141, v165, v164, v140
	;; [unrolled: 1-line block ×4, first 2 shown]
	ds_store_b32 v148, v2 offset:1024
	v_lshlrev_b32_e32 v2, 2, v150
	v_lshlrev_b32_e32 v36, 2, v146
	v_add3_u32 v139, v173, v172, v167
	v_add3_u32 v42, v193, v192, v37
	v_lshlrev_b32_e32 v37, 2, v145
	v_add3_u32 v138, v177, v176, v170
	v_lshlrev_b32_e32 v148, 2, v144
	v_add3_u32 v137, v181, v180, v174
	v_lshlrev_b32_e32 v149, 2, v142
	v_add3_u32 v39, v185, v184, v178
	ds_store_b32 v2, v136 offset:1024
	ds_store_b32 v36, v143 offset:1024
	;; [unrolled: 1-line block ×5, first 2 shown]
	v_lshlrev_b32_e32 v2, 2, v141
	v_lshlrev_b32_e32 v36, 2, v140
	;; [unrolled: 1-line block ×3, first 2 shown]
	v_add3_u32 v41, v197, v196, v40
	v_lshlrev_b32_e32 v136, 2, v138
	v_add3_u32 v40, v200, v199, v158
	v_lshlrev_b32_e32 v143, 2, v137
	ds_store_b32 v2, v159 offset:1024
	ds_store_b32 v36, v163 offset:1024
	;; [unrolled: 1-line block ×5, first 2 shown]
	v_lshlrev_b32_e32 v2, 2, v39
	v_cmp_lt_u32_e32 vcc_lo, v1, v135
	v_lshlrev_b32_e32 v36, 2, v43
	v_lshlrev_b32_e32 v37, 2, v42
	;; [unrolled: 1-line block ×4, first 2 shown]
	ds_store_b32 v2, v179 offset:1024
	ds_store_b32 v36, v183 offset:1024
	;; [unrolled: 1-line block ×5, first 2 shown]
	s_wait_loadcnt_dscnt 0x0
	s_barrier_signal -1
	s_barrier_wait -1
	global_inv scope:SCOPE_SE
	s_and_saveexec_b32 s16, vcc_lo
	s_cbranch_execnz .LBB1463_834
; %bb.766:                              ;   in Loop: Header=BB1463_687 Depth=2
	s_wait_alu 0xfffe
	s_or_b32 exec_lo, exec_lo, s16
	v_cmp_lt_u32_e64 s15, v45, v135
	s_and_saveexec_b32 s17, s15
	s_cbranch_execnz .LBB1463_835
.LBB1463_767:                           ;   in Loop: Header=BB1463_687 Depth=2
	s_wait_alu 0xfffe
	s_or_b32 exec_lo, exec_lo, s17
	v_cmp_lt_u32_e64 s16, v46, v135
	s_and_saveexec_b32 s18, s16
	s_cbranch_execnz .LBB1463_836
.LBB1463_768:                           ;   in Loop: Header=BB1463_687 Depth=2
	s_wait_alu 0xfffe
	s_or_b32 exec_lo, exec_lo, s18
	v_cmp_lt_u32_e64 s17, v47, v135
	s_and_saveexec_b32 s19, s17
	s_cbranch_execnz .LBB1463_837
.LBB1463_769:                           ;   in Loop: Header=BB1463_687 Depth=2
	s_wait_alu 0xfffe
	s_or_b32 exec_lo, exec_lo, s19
	v_cmp_lt_u32_e64 s18, v50, v135
	s_and_saveexec_b32 s20, s18
	s_cbranch_execnz .LBB1463_838
.LBB1463_770:                           ;   in Loop: Header=BB1463_687 Depth=2
	s_wait_alu 0xfffe
	s_or_b32 exec_lo, exec_lo, s20
	v_cmp_lt_u32_e64 s19, v51, v135
	s_and_saveexec_b32 s21, s19
	s_cbranch_execnz .LBB1463_839
.LBB1463_771:                           ;   in Loop: Header=BB1463_687 Depth=2
	s_wait_alu 0xfffe
	s_or_b32 exec_lo, exec_lo, s21
	v_cmp_lt_u32_e64 s20, v52, v135
	s_and_saveexec_b32 s22, s20
	s_cbranch_execnz .LBB1463_840
.LBB1463_772:                           ;   in Loop: Header=BB1463_687 Depth=2
	s_wait_alu 0xfffe
	s_or_b32 exec_lo, exec_lo, s22
	v_cmp_lt_u32_e64 s21, v53, v135
	s_and_saveexec_b32 s23, s21
	s_cbranch_execnz .LBB1463_841
.LBB1463_773:                           ;   in Loop: Header=BB1463_687 Depth=2
	s_wait_alu 0xfffe
	s_or_b32 exec_lo, exec_lo, s23
	v_cmp_lt_u32_e64 s22, v54, v135
	s_and_saveexec_b32 s24, s22
	s_cbranch_execnz .LBB1463_842
.LBB1463_774:                           ;   in Loop: Header=BB1463_687 Depth=2
	s_wait_alu 0xfffe
	s_or_b32 exec_lo, exec_lo, s24
	v_cmp_lt_u32_e64 s23, v55, v135
	s_and_saveexec_b32 s25, s23
	s_cbranch_execnz .LBB1463_843
.LBB1463_775:                           ;   in Loop: Header=BB1463_687 Depth=2
	s_wait_alu 0xfffe
	s_or_b32 exec_lo, exec_lo, s25
	v_cmp_lt_u32_e64 s24, v56, v135
	s_and_saveexec_b32 s26, s24
	s_cbranch_execnz .LBB1463_844
.LBB1463_776:                           ;   in Loop: Header=BB1463_687 Depth=2
	s_wait_alu 0xfffe
	s_or_b32 exec_lo, exec_lo, s26
	v_cmp_lt_u32_e64 s25, v57, v135
	s_and_saveexec_b32 s27, s25
	s_cbranch_execnz .LBB1463_845
.LBB1463_777:                           ;   in Loop: Header=BB1463_687 Depth=2
	s_wait_alu 0xfffe
	s_or_b32 exec_lo, exec_lo, s27
	v_cmp_lt_u32_e64 s26, v58, v135
	s_and_saveexec_b32 s28, s26
	s_cbranch_execnz .LBB1463_846
.LBB1463_778:                           ;   in Loop: Header=BB1463_687 Depth=2
	s_wait_alu 0xfffe
	s_or_b32 exec_lo, exec_lo, s28
	v_cmp_lt_u32_e64 s27, v59, v135
	s_and_saveexec_b32 s29, s27
	s_cbranch_execnz .LBB1463_847
.LBB1463_779:                           ;   in Loop: Header=BB1463_687 Depth=2
	s_wait_alu 0xfffe
	s_or_b32 exec_lo, exec_lo, s29
	v_cmp_lt_u32_e64 s28, v60, v135
	s_and_saveexec_b32 s30, s28
	s_cbranch_execnz .LBB1463_848
.LBB1463_780:                           ;   in Loop: Header=BB1463_687 Depth=2
	s_wait_alu 0xfffe
	s_or_b32 exec_lo, exec_lo, s30
	v_cmp_lt_u32_e64 s29, v61, v135
	s_and_saveexec_b32 s56, s29
	s_cbranch_execz .LBB1463_782
.LBB1463_781:                           ;   in Loop: Header=BB1463_687 Depth=2
	ds_load_b32 v136, v70 offset:16384
	s_wait_dscnt 0x0
	v_cmp_ne_u32_e64 s30, 0x7fffffff, v136
	s_wait_alu 0xf1ff
	s_delay_alu instid0(VALU_DEP_1) | instskip(SKIP_1) | instid1(VALU_DEP_2)
	v_cndmask_b32_e64 v2, 0x80000000, v136, s30
	v_cmp_lt_i32_e64 s30, -1, v136
	v_lshrrev_b32_e32 v2, s49, v2
	s_wait_alu 0xf1ff
	s_delay_alu instid0(VALU_DEP_2) | instskip(NEXT) | instid1(VALU_DEP_2)
	v_cndmask_b32_e64 v143, 0x80000000, -1, s30
	v_and_b32_e32 v2, s48, v2
	s_delay_alu instid0(VALU_DEP_1) | instskip(SKIP_3) | instid1(VALU_DEP_1)
	v_lshlrev_b32_e32 v2, 2, v2
	ds_load_b32 v2, v2
	s_wait_dscnt 0x0
	v_add_nc_u32_e32 v2, v2, v61
	v_lshlrev_b64_e32 v[36:37], 2, v[2:3]
	v_xor_b32_e32 v2, v143, v136
	s_delay_alu instid0(VALU_DEP_2) | instskip(SKIP_1) | instid1(VALU_DEP_3)
	v_add_co_u32 v36, s30, s38, v36
	s_wait_alu 0xf1ff
	v_add_co_ci_u32_e64 v37, null, s39, v37, s30
	global_store_b32 v[36:37], v2, off
.LBB1463_782:                           ;   in Loop: Header=BB1463_687 Depth=2
	s_wait_alu 0xfffe
	s_or_b32 exec_lo, exec_lo, s56
	s_lshl_b64 s[56:57], s[42:43], 3
	s_wait_alu 0xfffe
	v_add_co_u32 v36, s30, v114, s56
	s_wait_alu 0xf1ff
	v_add_co_ci_u32_e64 v37, null, s57, v115, s30
	v_cmp_lt_u32_e64 s30, v88, v135
	s_and_saveexec_b32 s42, s30
	s_wait_alu 0xfffe
	s_xor_b32 s30, exec_lo, s42
	s_cbranch_execnz .LBB1463_849
; %bb.783:                              ;   in Loop: Header=BB1463_687 Depth=2
	s_wait_alu 0xfffe
	s_or_b32 exec_lo, exec_lo, s30
	s_delay_alu instid0(SALU_CYCLE_1)
	s_mov_b32 s42, exec_lo
	v_cmpx_lt_u32_e64 v92, v135
	s_cbranch_execnz .LBB1463_850
.LBB1463_784:                           ;   in Loop: Header=BB1463_687 Depth=2
	s_wait_alu 0xfffe
	s_or_b32 exec_lo, exec_lo, s42
	s_delay_alu instid0(SALU_CYCLE_1)
	s_mov_b32 s42, exec_lo
	v_cmpx_lt_u32_e64 v93, v135
	s_cbranch_execnz .LBB1463_851
.LBB1463_785:                           ;   in Loop: Header=BB1463_687 Depth=2
	s_wait_alu 0xfffe
	s_or_b32 exec_lo, exec_lo, s42
	s_delay_alu instid0(SALU_CYCLE_1)
	s_mov_b32 s42, exec_lo
	v_cmpx_lt_u32_e64 v94, v135
	s_cbranch_execnz .LBB1463_852
.LBB1463_786:                           ;   in Loop: Header=BB1463_687 Depth=2
	s_wait_alu 0xfffe
	s_or_b32 exec_lo, exec_lo, s42
	s_delay_alu instid0(SALU_CYCLE_1)
	s_mov_b32 s42, exec_lo
	v_cmpx_lt_u32_e64 v95, v135
	s_cbranch_execnz .LBB1463_853
.LBB1463_787:                           ;   in Loop: Header=BB1463_687 Depth=2
	s_wait_alu 0xfffe
	s_or_b32 exec_lo, exec_lo, s42
	s_delay_alu instid0(SALU_CYCLE_1)
	s_mov_b32 s42, exec_lo
	v_cmpx_lt_u32_e64 v96, v135
	s_cbranch_execnz .LBB1463_854
.LBB1463_788:                           ;   in Loop: Header=BB1463_687 Depth=2
	s_wait_alu 0xfffe
	s_or_b32 exec_lo, exec_lo, s42
	s_delay_alu instid0(SALU_CYCLE_1)
	s_mov_b32 s42, exec_lo
	v_cmpx_lt_u32_e64 v97, v135
	s_cbranch_execnz .LBB1463_855
.LBB1463_789:                           ;   in Loop: Header=BB1463_687 Depth=2
	s_wait_alu 0xfffe
	s_or_b32 exec_lo, exec_lo, s42
	s_delay_alu instid0(SALU_CYCLE_1)
	s_mov_b32 s42, exec_lo
	v_cmpx_lt_u32_e64 v98, v135
	s_cbranch_execnz .LBB1463_856
.LBB1463_790:                           ;   in Loop: Header=BB1463_687 Depth=2
	s_wait_alu 0xfffe
	s_or_b32 exec_lo, exec_lo, s42
	s_delay_alu instid0(SALU_CYCLE_1)
	s_mov_b32 s42, exec_lo
	v_cmpx_lt_u32_e64 v99, v135
	s_cbranch_execnz .LBB1463_857
.LBB1463_791:                           ;   in Loop: Header=BB1463_687 Depth=2
	s_wait_alu 0xfffe
	s_or_b32 exec_lo, exec_lo, s42
	s_delay_alu instid0(SALU_CYCLE_1)
	s_mov_b32 s42, exec_lo
	v_cmpx_lt_u32_e64 v100, v135
	s_cbranch_execnz .LBB1463_858
.LBB1463_792:                           ;   in Loop: Header=BB1463_687 Depth=2
	s_wait_alu 0xfffe
	s_or_b32 exec_lo, exec_lo, s42
	s_delay_alu instid0(SALU_CYCLE_1)
	s_mov_b32 s42, exec_lo
	v_cmpx_lt_u32_e64 v101, v135
	s_cbranch_execnz .LBB1463_859
.LBB1463_793:                           ;   in Loop: Header=BB1463_687 Depth=2
	s_wait_alu 0xfffe
	s_or_b32 exec_lo, exec_lo, s42
	s_delay_alu instid0(SALU_CYCLE_1)
	s_mov_b32 s42, exec_lo
	v_cmpx_lt_u32_e64 v102, v135
	s_cbranch_execnz .LBB1463_860
.LBB1463_794:                           ;   in Loop: Header=BB1463_687 Depth=2
	s_wait_alu 0xfffe
	s_or_b32 exec_lo, exec_lo, s42
	s_delay_alu instid0(SALU_CYCLE_1)
	s_mov_b32 s42, exec_lo
	v_cmpx_lt_u32_e64 v103, v135
	s_cbranch_execnz .LBB1463_861
.LBB1463_795:                           ;   in Loop: Header=BB1463_687 Depth=2
	s_wait_alu 0xfffe
	s_or_b32 exec_lo, exec_lo, s42
	s_delay_alu instid0(SALU_CYCLE_1)
	s_mov_b32 s42, exec_lo
	v_cmpx_lt_u32_e64 v104, v135
	s_cbranch_execnz .LBB1463_862
.LBB1463_796:                           ;   in Loop: Header=BB1463_687 Depth=2
	s_wait_alu 0xfffe
	s_or_b32 exec_lo, exec_lo, s42
	s_delay_alu instid0(SALU_CYCLE_1)
	s_mov_b32 s42, exec_lo
	v_cmpx_lt_u32_e64 v105, v135
	s_cbranch_execnz .LBB1463_863
.LBB1463_797:                           ;   in Loop: Header=BB1463_687 Depth=2
	s_wait_alu 0xfffe
	s_or_b32 exec_lo, exec_lo, s42
	s_delay_alu instid0(SALU_CYCLE_1)
	s_mov_b32 s42, exec_lo
	v_cmpx_lt_u32_e64 v106, v135
	s_cbranch_execnz .LBB1463_864
.LBB1463_798:                           ;   in Loop: Header=BB1463_687 Depth=2
	s_wait_alu 0xfffe
	s_or_b32 exec_lo, exec_lo, s42
	s_and_saveexec_b32 s42, vcc_lo
	s_cbranch_execnz .LBB1463_865
.LBB1463_799:                           ;   in Loop: Header=BB1463_687 Depth=2
	s_wait_alu 0xfffe
	s_or_b32 exec_lo, exec_lo, s42
	s_and_saveexec_b32 s42, s15
	s_cbranch_execnz .LBB1463_866
.LBB1463_800:                           ;   in Loop: Header=BB1463_687 Depth=2
	s_wait_alu 0xfffe
	s_or_b32 exec_lo, exec_lo, s42
	s_and_saveexec_b32 s42, s16
	s_cbranch_execnz .LBB1463_867
.LBB1463_801:                           ;   in Loop: Header=BB1463_687 Depth=2
	s_wait_alu 0xfffe
	s_or_b32 exec_lo, exec_lo, s42
	s_and_saveexec_b32 s42, s17
	s_cbranch_execnz .LBB1463_868
.LBB1463_802:                           ;   in Loop: Header=BB1463_687 Depth=2
	s_wait_alu 0xfffe
	s_or_b32 exec_lo, exec_lo, s42
	s_and_saveexec_b32 s42, s18
	s_cbranch_execnz .LBB1463_869
.LBB1463_803:                           ;   in Loop: Header=BB1463_687 Depth=2
	s_wait_alu 0xfffe
	s_or_b32 exec_lo, exec_lo, s42
	s_and_saveexec_b32 s42, s19
	s_cbranch_execnz .LBB1463_870
.LBB1463_804:                           ;   in Loop: Header=BB1463_687 Depth=2
	s_wait_alu 0xfffe
	s_or_b32 exec_lo, exec_lo, s42
	s_and_saveexec_b32 s42, s20
	s_cbranch_execnz .LBB1463_871
.LBB1463_805:                           ;   in Loop: Header=BB1463_687 Depth=2
	s_wait_alu 0xfffe
	s_or_b32 exec_lo, exec_lo, s42
	s_and_saveexec_b32 s42, s21
	s_cbranch_execnz .LBB1463_872
.LBB1463_806:                           ;   in Loop: Header=BB1463_687 Depth=2
	s_wait_alu 0xfffe
	s_or_b32 exec_lo, exec_lo, s42
	s_and_saveexec_b32 s42, s22
	s_cbranch_execnz .LBB1463_873
.LBB1463_807:                           ;   in Loop: Header=BB1463_687 Depth=2
	s_wait_alu 0xfffe
	s_or_b32 exec_lo, exec_lo, s42
	s_and_saveexec_b32 s42, s23
	s_cbranch_execnz .LBB1463_874
.LBB1463_808:                           ;   in Loop: Header=BB1463_687 Depth=2
	s_wait_alu 0xfffe
	s_or_b32 exec_lo, exec_lo, s42
	s_and_saveexec_b32 s42, s24
	s_cbranch_execnz .LBB1463_875
.LBB1463_809:                           ;   in Loop: Header=BB1463_687 Depth=2
	s_wait_alu 0xfffe
	s_or_b32 exec_lo, exec_lo, s42
	s_and_saveexec_b32 s42, s25
	s_cbranch_execnz .LBB1463_876
.LBB1463_810:                           ;   in Loop: Header=BB1463_687 Depth=2
	s_wait_alu 0xfffe
	s_or_b32 exec_lo, exec_lo, s42
	s_and_saveexec_b32 s42, s26
	s_cbranch_execnz .LBB1463_877
.LBB1463_811:                           ;   in Loop: Header=BB1463_687 Depth=2
	s_wait_alu 0xfffe
	s_or_b32 exec_lo, exec_lo, s42
	s_and_saveexec_b32 s42, s27
	s_cbranch_execnz .LBB1463_878
.LBB1463_812:                           ;   in Loop: Header=BB1463_687 Depth=2
	s_wait_alu 0xfffe
	s_or_b32 exec_lo, exec_lo, s42
	s_and_saveexec_b32 s42, s28
	s_cbranch_execnz .LBB1463_879
.LBB1463_813:                           ;   in Loop: Header=BB1463_687 Depth=2
	s_wait_alu 0xfffe
	s_or_b32 exec_lo, exec_lo, s42
	s_and_saveexec_b32 s42, s29
	s_cbranch_execz .LBB1463_815
.LBB1463_814:                           ;   in Loop: Header=BB1463_687 Depth=2
	ds_load_b32 v2, v70 offset:16384
	s_wait_dscnt 0x0
	v_cmp_ne_u32_e64 s30, 0x7fffffff, v2
	s_wait_alu 0xf1ff
	s_delay_alu instid0(VALU_DEP_1) | instskip(NEXT) | instid1(VALU_DEP_1)
	v_cndmask_b32_e64 v2, 0x80000000, v2, s30
	v_lshrrev_b32_e32 v2, s49, v2
	s_delay_alu instid0(VALU_DEP_1)
	v_and_b32_e32 v119, s48, v2
.LBB1463_815:                           ;   in Loop: Header=BB1463_687 Depth=2
	s_wait_alu 0xfffe
	s_or_b32 exec_lo, exec_lo, s42
	v_lshlrev_b32_e32 v2, 3, v154
	s_wait_loadcnt 0x0
	s_wait_storecnt 0x0
	s_barrier_signal -1
	s_barrier_wait -1
	global_inv scope:SCOPE_SE
	ds_store_b64 v2, v[34:35] offset:1024
	v_lshlrev_b32_e32 v2, 3, v150
	v_lshlrev_b32_e32 v36, 3, v146
	v_lshlrev_b32_e32 v37, 3, v145
	v_lshlrev_b32_e32 v135, 3, v144
	v_lshlrev_b32_e32 v136, 3, v142
	ds_store_b64 v2, v[32:33] offset:1024
	ds_store_b64 v36, v[30:31] offset:1024
	ds_store_b64 v37, v[28:29] offset:1024
	ds_store_b64 v135, v[26:27] offset:1024
	ds_store_b64 v136, v[24:25] offset:1024
	v_lshlrev_b32_e32 v2, 3, v141
	v_lshlrev_b32_e32 v36, 3, v140
	v_lshlrev_b32_e32 v37, 3, v139
	v_lshlrev_b32_e32 v135, 3, v138
	v_lshlrev_b32_e32 v136, 3, v137
	ds_store_b64 v2, v[22:23] offset:1024
	ds_store_b64 v36, v[20:21] offset:1024
	ds_store_b64 v37, v[18:19] offset:1024
	ds_store_b64 v135, v[16:17] offset:1024
	ds_store_b64 v136, v[14:15] offset:1024
	v_lshlrev_b32_e32 v2, 3, v39
	v_lshlrev_b32_e32 v36, 3, v43
	v_lshlrev_b32_e32 v37, 3, v42
	v_lshlrev_b32_e32 v39, 3, v41
	v_lshlrev_b32_e32 v40, 3, v40
	ds_store_b64 v2, v[12:13] offset:1024
	ds_store_b64 v36, v[10:11] offset:1024
	ds_store_b64 v37, v[8:9] offset:1024
	ds_store_b64 v39, v[6:7] offset:1024
	ds_store_b64 v40, v[4:5] offset:1024
	s_wait_loadcnt_dscnt 0x0
	s_barrier_signal -1
	s_barrier_wait -1
	global_inv scope:SCOPE_SE
	s_and_saveexec_b32 s30, vcc_lo
	s_cbranch_execnz .LBB1463_880
; %bb.816:                              ;   in Loop: Header=BB1463_687 Depth=2
	s_wait_alu 0xfffe
	s_or_b32 exec_lo, exec_lo, s30
	s_and_saveexec_b32 s30, s15
	s_cbranch_execnz .LBB1463_881
.LBB1463_817:                           ;   in Loop: Header=BB1463_687 Depth=2
	s_wait_alu 0xfffe
	s_or_b32 exec_lo, exec_lo, s30
	s_and_saveexec_b32 s15, s16
	s_cbranch_execnz .LBB1463_882
.LBB1463_818:                           ;   in Loop: Header=BB1463_687 Depth=2
	s_wait_alu 0xfffe
	s_or_b32 exec_lo, exec_lo, s15
	s_and_saveexec_b32 s15, s17
	s_cbranch_execnz .LBB1463_883
.LBB1463_819:                           ;   in Loop: Header=BB1463_687 Depth=2
	s_wait_alu 0xfffe
	s_or_b32 exec_lo, exec_lo, s15
	s_and_saveexec_b32 s15, s18
	s_cbranch_execnz .LBB1463_884
.LBB1463_820:                           ;   in Loop: Header=BB1463_687 Depth=2
	s_wait_alu 0xfffe
	s_or_b32 exec_lo, exec_lo, s15
	s_and_saveexec_b32 s15, s19
	s_cbranch_execnz .LBB1463_885
.LBB1463_821:                           ;   in Loop: Header=BB1463_687 Depth=2
	s_wait_alu 0xfffe
	s_or_b32 exec_lo, exec_lo, s15
	s_and_saveexec_b32 s15, s20
	s_cbranch_execnz .LBB1463_886
.LBB1463_822:                           ;   in Loop: Header=BB1463_687 Depth=2
	s_wait_alu 0xfffe
	s_or_b32 exec_lo, exec_lo, s15
	s_and_saveexec_b32 s15, s21
	s_cbranch_execnz .LBB1463_887
.LBB1463_823:                           ;   in Loop: Header=BB1463_687 Depth=2
	s_wait_alu 0xfffe
	s_or_b32 exec_lo, exec_lo, s15
	s_and_saveexec_b32 s15, s22
	s_cbranch_execnz .LBB1463_888
.LBB1463_824:                           ;   in Loop: Header=BB1463_687 Depth=2
	s_wait_alu 0xfffe
	s_or_b32 exec_lo, exec_lo, s15
	s_and_saveexec_b32 s15, s23
	s_cbranch_execnz .LBB1463_889
.LBB1463_825:                           ;   in Loop: Header=BB1463_687 Depth=2
	s_wait_alu 0xfffe
	s_or_b32 exec_lo, exec_lo, s15
	s_and_saveexec_b32 s15, s24
	s_cbranch_execnz .LBB1463_890
.LBB1463_826:                           ;   in Loop: Header=BB1463_687 Depth=2
	s_wait_alu 0xfffe
	s_or_b32 exec_lo, exec_lo, s15
	s_and_saveexec_b32 s15, s25
	s_cbranch_execnz .LBB1463_891
.LBB1463_827:                           ;   in Loop: Header=BB1463_687 Depth=2
	s_wait_alu 0xfffe
	s_or_b32 exec_lo, exec_lo, s15
	s_and_saveexec_b32 s15, s26
	s_cbranch_execnz .LBB1463_892
.LBB1463_828:                           ;   in Loop: Header=BB1463_687 Depth=2
	s_wait_alu 0xfffe
	s_or_b32 exec_lo, exec_lo, s15
	s_and_saveexec_b32 s15, s27
	s_cbranch_execnz .LBB1463_893
.LBB1463_829:                           ;   in Loop: Header=BB1463_687 Depth=2
	s_wait_alu 0xfffe
	s_or_b32 exec_lo, exec_lo, s15
	s_and_saveexec_b32 s15, s28
	s_cbranch_execnz .LBB1463_894
.LBB1463_830:                           ;   in Loop: Header=BB1463_687 Depth=2
	s_wait_alu 0xfffe
	s_or_b32 exec_lo, exec_lo, s15
	s_and_saveexec_b32 s15, s29
	s_cbranch_execz .LBB1463_832
.LBB1463_831:                           ;   in Loop: Header=BB1463_687 Depth=2
	v_lshlrev_b32_e32 v2, 2, v119
	v_add_nc_u32_e32 v36, v70, v44
	ds_load_b32 v2, v2
	ds_load_b64 v[36:37], v36 offset:31744
	s_wait_dscnt 0x1
	v_add_nc_u32_e32 v2, v2, v61
	s_delay_alu instid0(VALU_DEP_1) | instskip(NEXT) | instid1(VALU_DEP_1)
	v_lshlrev_b64_e32 v[39:40], 3, v[2:3]
	v_add_co_u32 v39, vcc_lo, s44, v39
	s_wait_alu 0xfffd
	s_delay_alu instid0(VALU_DEP_2)
	v_add_co_ci_u32_e64 v40, null, s45, v40, vcc_lo
	s_wait_dscnt 0x0
	global_store_b64 v[39:40], v[36:37], off
.LBB1463_832:                           ;   in Loop: Header=BB1463_687 Depth=2
	s_wait_alu 0xfffe
	s_or_b32 exec_lo, exec_lo, s15
	s_wait_loadcnt 0x0
	s_wait_storecnt 0x0
	s_barrier_signal -1
	s_barrier_wait -1
	global_inv scope:SCOPE_SE
	s_and_saveexec_b32 s15, s2
	s_cbranch_execz .LBB1463_686
; %bb.833:                              ;   in Loop: Header=BB1463_687 Depth=2
	ds_load_b32 v2, v44
	s_wait_dscnt 0x0
	v_add_nc_u32_e32 v2, v2, v38
	ds_store_b32 v44, v2
	s_branch .LBB1463_686
.LBB1463_834:                           ;   in Loop: Header=BB1463_687 Depth=2
	ds_load_b32 v136, v70 offset:1024
	s_wait_dscnt 0x0
	v_cmp_ne_u32_e64 s15, 0x7fffffff, v136
	s_wait_alu 0xf1ff
	s_delay_alu instid0(VALU_DEP_1) | instskip(SKIP_1) | instid1(VALU_DEP_2)
	v_cndmask_b32_e64 v2, 0x80000000, v136, s15
	v_cmp_lt_i32_e64 s15, -1, v136
	v_lshrrev_b32_e32 v2, s49, v2
	s_wait_alu 0xf1ff
	s_delay_alu instid0(VALU_DEP_2) | instskip(NEXT) | instid1(VALU_DEP_2)
	v_cndmask_b32_e64 v143, 0x80000000, -1, s15
	v_and_b32_e32 v2, s48, v2
	s_delay_alu instid0(VALU_DEP_1) | instskip(SKIP_3) | instid1(VALU_DEP_1)
	v_lshlrev_b32_e32 v2, 2, v2
	ds_load_b32 v2, v2
	s_wait_dscnt 0x0
	v_add_nc_u32_e32 v2, v2, v1
	v_lshlrev_b64_e32 v[36:37], 2, v[2:3]
	v_xor_b32_e32 v2, v143, v136
	s_delay_alu instid0(VALU_DEP_2) | instskip(SKIP_1) | instid1(VALU_DEP_3)
	v_add_co_u32 v36, s15, s38, v36
	s_wait_alu 0xf1ff
	v_add_co_ci_u32_e64 v37, null, s39, v37, s15
	global_store_b32 v[36:37], v2, off
	s_wait_alu 0xfffe
	s_or_b32 exec_lo, exec_lo, s16
	v_cmp_lt_u32_e64 s15, v45, v135
	s_and_saveexec_b32 s17, s15
	s_cbranch_execz .LBB1463_767
.LBB1463_835:                           ;   in Loop: Header=BB1463_687 Depth=2
	ds_load_b32 v136, v70 offset:2048
	s_wait_dscnt 0x0
	v_cmp_ne_u32_e64 s16, 0x7fffffff, v136
	s_wait_alu 0xf1ff
	s_delay_alu instid0(VALU_DEP_1) | instskip(SKIP_1) | instid1(VALU_DEP_2)
	v_cndmask_b32_e64 v2, 0x80000000, v136, s16
	v_cmp_lt_i32_e64 s16, -1, v136
	v_lshrrev_b32_e32 v2, s49, v2
	s_wait_alu 0xf1ff
	s_delay_alu instid0(VALU_DEP_2) | instskip(NEXT) | instid1(VALU_DEP_2)
	v_cndmask_b32_e64 v143, 0x80000000, -1, s16
	v_and_b32_e32 v2, s48, v2
	s_delay_alu instid0(VALU_DEP_1) | instskip(SKIP_3) | instid1(VALU_DEP_1)
	v_lshlrev_b32_e32 v2, 2, v2
	ds_load_b32 v2, v2
	s_wait_dscnt 0x0
	v_add_nc_u32_e32 v2, v2, v45
	v_lshlrev_b64_e32 v[36:37], 2, v[2:3]
	v_xor_b32_e32 v2, v143, v136
	s_delay_alu instid0(VALU_DEP_2) | instskip(SKIP_1) | instid1(VALU_DEP_3)
	v_add_co_u32 v36, s16, s38, v36
	s_wait_alu 0xf1ff
	v_add_co_ci_u32_e64 v37, null, s39, v37, s16
	global_store_b32 v[36:37], v2, off
	s_wait_alu 0xfffe
	s_or_b32 exec_lo, exec_lo, s17
	v_cmp_lt_u32_e64 s16, v46, v135
	s_and_saveexec_b32 s18, s16
	s_cbranch_execz .LBB1463_768
.LBB1463_836:                           ;   in Loop: Header=BB1463_687 Depth=2
	ds_load_b32 v136, v70 offset:3072
	s_wait_dscnt 0x0
	v_cmp_ne_u32_e64 s17, 0x7fffffff, v136
	s_wait_alu 0xf1ff
	s_delay_alu instid0(VALU_DEP_1) | instskip(SKIP_1) | instid1(VALU_DEP_2)
	v_cndmask_b32_e64 v2, 0x80000000, v136, s17
	v_cmp_lt_i32_e64 s17, -1, v136
	v_lshrrev_b32_e32 v2, s49, v2
	s_wait_alu 0xf1ff
	s_delay_alu instid0(VALU_DEP_2) | instskip(NEXT) | instid1(VALU_DEP_2)
	v_cndmask_b32_e64 v143, 0x80000000, -1, s17
	v_and_b32_e32 v2, s48, v2
	s_delay_alu instid0(VALU_DEP_1) | instskip(SKIP_3) | instid1(VALU_DEP_1)
	v_lshlrev_b32_e32 v2, 2, v2
	ds_load_b32 v2, v2
	s_wait_dscnt 0x0
	v_add_nc_u32_e32 v2, v2, v46
	v_lshlrev_b64_e32 v[36:37], 2, v[2:3]
	v_xor_b32_e32 v2, v143, v136
	s_delay_alu instid0(VALU_DEP_2) | instskip(SKIP_1) | instid1(VALU_DEP_3)
	v_add_co_u32 v36, s17, s38, v36
	s_wait_alu 0xf1ff
	v_add_co_ci_u32_e64 v37, null, s39, v37, s17
	global_store_b32 v[36:37], v2, off
	s_wait_alu 0xfffe
	s_or_b32 exec_lo, exec_lo, s18
	v_cmp_lt_u32_e64 s17, v47, v135
	s_and_saveexec_b32 s19, s17
	s_cbranch_execz .LBB1463_769
.LBB1463_837:                           ;   in Loop: Header=BB1463_687 Depth=2
	ds_load_b32 v136, v70 offset:4096
	s_wait_dscnt 0x0
	v_cmp_ne_u32_e64 s18, 0x7fffffff, v136
	s_wait_alu 0xf1ff
	s_delay_alu instid0(VALU_DEP_1) | instskip(SKIP_1) | instid1(VALU_DEP_2)
	v_cndmask_b32_e64 v2, 0x80000000, v136, s18
	v_cmp_lt_i32_e64 s18, -1, v136
	v_lshrrev_b32_e32 v2, s49, v2
	s_wait_alu 0xf1ff
	s_delay_alu instid0(VALU_DEP_2) | instskip(NEXT) | instid1(VALU_DEP_2)
	v_cndmask_b32_e64 v143, 0x80000000, -1, s18
	v_and_b32_e32 v2, s48, v2
	s_delay_alu instid0(VALU_DEP_1) | instskip(SKIP_3) | instid1(VALU_DEP_1)
	v_lshlrev_b32_e32 v2, 2, v2
	ds_load_b32 v2, v2
	s_wait_dscnt 0x0
	v_add_nc_u32_e32 v2, v2, v47
	v_lshlrev_b64_e32 v[36:37], 2, v[2:3]
	v_xor_b32_e32 v2, v143, v136
	s_delay_alu instid0(VALU_DEP_2) | instskip(SKIP_1) | instid1(VALU_DEP_3)
	v_add_co_u32 v36, s18, s38, v36
	s_wait_alu 0xf1ff
	v_add_co_ci_u32_e64 v37, null, s39, v37, s18
	global_store_b32 v[36:37], v2, off
	s_wait_alu 0xfffe
	s_or_b32 exec_lo, exec_lo, s19
	v_cmp_lt_u32_e64 s18, v50, v135
	s_and_saveexec_b32 s20, s18
	s_cbranch_execz .LBB1463_770
.LBB1463_838:                           ;   in Loop: Header=BB1463_687 Depth=2
	ds_load_b32 v136, v70 offset:5120
	s_wait_dscnt 0x0
	v_cmp_ne_u32_e64 s19, 0x7fffffff, v136
	s_wait_alu 0xf1ff
	s_delay_alu instid0(VALU_DEP_1) | instskip(SKIP_1) | instid1(VALU_DEP_2)
	v_cndmask_b32_e64 v2, 0x80000000, v136, s19
	v_cmp_lt_i32_e64 s19, -1, v136
	v_lshrrev_b32_e32 v2, s49, v2
	s_wait_alu 0xf1ff
	s_delay_alu instid0(VALU_DEP_2) | instskip(NEXT) | instid1(VALU_DEP_2)
	v_cndmask_b32_e64 v143, 0x80000000, -1, s19
	v_and_b32_e32 v2, s48, v2
	s_delay_alu instid0(VALU_DEP_1) | instskip(SKIP_3) | instid1(VALU_DEP_1)
	v_lshlrev_b32_e32 v2, 2, v2
	ds_load_b32 v2, v2
	s_wait_dscnt 0x0
	v_add_nc_u32_e32 v2, v2, v50
	v_lshlrev_b64_e32 v[36:37], 2, v[2:3]
	v_xor_b32_e32 v2, v143, v136
	s_delay_alu instid0(VALU_DEP_2) | instskip(SKIP_1) | instid1(VALU_DEP_3)
	v_add_co_u32 v36, s19, s38, v36
	s_wait_alu 0xf1ff
	v_add_co_ci_u32_e64 v37, null, s39, v37, s19
	global_store_b32 v[36:37], v2, off
	s_wait_alu 0xfffe
	s_or_b32 exec_lo, exec_lo, s20
	v_cmp_lt_u32_e64 s19, v51, v135
	s_and_saveexec_b32 s21, s19
	s_cbranch_execz .LBB1463_771
.LBB1463_839:                           ;   in Loop: Header=BB1463_687 Depth=2
	ds_load_b32 v136, v70 offset:6144
	s_wait_dscnt 0x0
	v_cmp_ne_u32_e64 s20, 0x7fffffff, v136
	s_wait_alu 0xf1ff
	s_delay_alu instid0(VALU_DEP_1) | instskip(SKIP_1) | instid1(VALU_DEP_2)
	v_cndmask_b32_e64 v2, 0x80000000, v136, s20
	v_cmp_lt_i32_e64 s20, -1, v136
	v_lshrrev_b32_e32 v2, s49, v2
	s_wait_alu 0xf1ff
	s_delay_alu instid0(VALU_DEP_2) | instskip(NEXT) | instid1(VALU_DEP_2)
	v_cndmask_b32_e64 v143, 0x80000000, -1, s20
	v_and_b32_e32 v2, s48, v2
	s_delay_alu instid0(VALU_DEP_1) | instskip(SKIP_3) | instid1(VALU_DEP_1)
	v_lshlrev_b32_e32 v2, 2, v2
	ds_load_b32 v2, v2
	s_wait_dscnt 0x0
	v_add_nc_u32_e32 v2, v2, v51
	v_lshlrev_b64_e32 v[36:37], 2, v[2:3]
	v_xor_b32_e32 v2, v143, v136
	s_delay_alu instid0(VALU_DEP_2) | instskip(SKIP_1) | instid1(VALU_DEP_3)
	v_add_co_u32 v36, s20, s38, v36
	s_wait_alu 0xf1ff
	v_add_co_ci_u32_e64 v37, null, s39, v37, s20
	global_store_b32 v[36:37], v2, off
	s_wait_alu 0xfffe
	s_or_b32 exec_lo, exec_lo, s21
	v_cmp_lt_u32_e64 s20, v52, v135
	s_and_saveexec_b32 s22, s20
	s_cbranch_execz .LBB1463_772
.LBB1463_840:                           ;   in Loop: Header=BB1463_687 Depth=2
	ds_load_b32 v136, v70 offset:7168
	s_wait_dscnt 0x0
	v_cmp_ne_u32_e64 s21, 0x7fffffff, v136
	s_wait_alu 0xf1ff
	s_delay_alu instid0(VALU_DEP_1) | instskip(SKIP_1) | instid1(VALU_DEP_2)
	v_cndmask_b32_e64 v2, 0x80000000, v136, s21
	v_cmp_lt_i32_e64 s21, -1, v136
	v_lshrrev_b32_e32 v2, s49, v2
	s_wait_alu 0xf1ff
	s_delay_alu instid0(VALU_DEP_2) | instskip(NEXT) | instid1(VALU_DEP_2)
	v_cndmask_b32_e64 v143, 0x80000000, -1, s21
	v_and_b32_e32 v2, s48, v2
	s_delay_alu instid0(VALU_DEP_1) | instskip(SKIP_3) | instid1(VALU_DEP_1)
	v_lshlrev_b32_e32 v2, 2, v2
	ds_load_b32 v2, v2
	s_wait_dscnt 0x0
	v_add_nc_u32_e32 v2, v2, v52
	v_lshlrev_b64_e32 v[36:37], 2, v[2:3]
	v_xor_b32_e32 v2, v143, v136
	s_delay_alu instid0(VALU_DEP_2) | instskip(SKIP_1) | instid1(VALU_DEP_3)
	v_add_co_u32 v36, s21, s38, v36
	s_wait_alu 0xf1ff
	v_add_co_ci_u32_e64 v37, null, s39, v37, s21
	global_store_b32 v[36:37], v2, off
	s_wait_alu 0xfffe
	s_or_b32 exec_lo, exec_lo, s22
	v_cmp_lt_u32_e64 s21, v53, v135
	s_and_saveexec_b32 s23, s21
	s_cbranch_execz .LBB1463_773
.LBB1463_841:                           ;   in Loop: Header=BB1463_687 Depth=2
	ds_load_b32 v136, v70 offset:8192
	s_wait_dscnt 0x0
	v_cmp_ne_u32_e64 s22, 0x7fffffff, v136
	s_wait_alu 0xf1ff
	s_delay_alu instid0(VALU_DEP_1) | instskip(SKIP_1) | instid1(VALU_DEP_2)
	v_cndmask_b32_e64 v2, 0x80000000, v136, s22
	v_cmp_lt_i32_e64 s22, -1, v136
	v_lshrrev_b32_e32 v2, s49, v2
	s_wait_alu 0xf1ff
	s_delay_alu instid0(VALU_DEP_2) | instskip(NEXT) | instid1(VALU_DEP_2)
	v_cndmask_b32_e64 v143, 0x80000000, -1, s22
	v_and_b32_e32 v2, s48, v2
	s_delay_alu instid0(VALU_DEP_1) | instskip(SKIP_3) | instid1(VALU_DEP_1)
	v_lshlrev_b32_e32 v2, 2, v2
	ds_load_b32 v2, v2
	s_wait_dscnt 0x0
	v_add_nc_u32_e32 v2, v2, v53
	v_lshlrev_b64_e32 v[36:37], 2, v[2:3]
	v_xor_b32_e32 v2, v143, v136
	s_delay_alu instid0(VALU_DEP_2) | instskip(SKIP_1) | instid1(VALU_DEP_3)
	v_add_co_u32 v36, s22, s38, v36
	s_wait_alu 0xf1ff
	v_add_co_ci_u32_e64 v37, null, s39, v37, s22
	global_store_b32 v[36:37], v2, off
	s_wait_alu 0xfffe
	s_or_b32 exec_lo, exec_lo, s23
	v_cmp_lt_u32_e64 s22, v54, v135
	s_and_saveexec_b32 s24, s22
	s_cbranch_execz .LBB1463_774
.LBB1463_842:                           ;   in Loop: Header=BB1463_687 Depth=2
	ds_load_b32 v136, v70 offset:9216
	s_wait_dscnt 0x0
	v_cmp_ne_u32_e64 s23, 0x7fffffff, v136
	s_wait_alu 0xf1ff
	s_delay_alu instid0(VALU_DEP_1) | instskip(SKIP_1) | instid1(VALU_DEP_2)
	v_cndmask_b32_e64 v2, 0x80000000, v136, s23
	v_cmp_lt_i32_e64 s23, -1, v136
	v_lshrrev_b32_e32 v2, s49, v2
	s_wait_alu 0xf1ff
	s_delay_alu instid0(VALU_DEP_2) | instskip(NEXT) | instid1(VALU_DEP_2)
	v_cndmask_b32_e64 v143, 0x80000000, -1, s23
	v_and_b32_e32 v2, s48, v2
	s_delay_alu instid0(VALU_DEP_1) | instskip(SKIP_3) | instid1(VALU_DEP_1)
	v_lshlrev_b32_e32 v2, 2, v2
	ds_load_b32 v2, v2
	s_wait_dscnt 0x0
	v_add_nc_u32_e32 v2, v2, v54
	v_lshlrev_b64_e32 v[36:37], 2, v[2:3]
	v_xor_b32_e32 v2, v143, v136
	s_delay_alu instid0(VALU_DEP_2) | instskip(SKIP_1) | instid1(VALU_DEP_3)
	v_add_co_u32 v36, s23, s38, v36
	s_wait_alu 0xf1ff
	v_add_co_ci_u32_e64 v37, null, s39, v37, s23
	global_store_b32 v[36:37], v2, off
	s_wait_alu 0xfffe
	s_or_b32 exec_lo, exec_lo, s24
	v_cmp_lt_u32_e64 s23, v55, v135
	s_and_saveexec_b32 s25, s23
	s_cbranch_execz .LBB1463_775
.LBB1463_843:                           ;   in Loop: Header=BB1463_687 Depth=2
	ds_load_b32 v136, v70 offset:10240
	s_wait_dscnt 0x0
	v_cmp_ne_u32_e64 s24, 0x7fffffff, v136
	s_wait_alu 0xf1ff
	s_delay_alu instid0(VALU_DEP_1) | instskip(SKIP_1) | instid1(VALU_DEP_2)
	v_cndmask_b32_e64 v2, 0x80000000, v136, s24
	v_cmp_lt_i32_e64 s24, -1, v136
	v_lshrrev_b32_e32 v2, s49, v2
	s_wait_alu 0xf1ff
	s_delay_alu instid0(VALU_DEP_2) | instskip(NEXT) | instid1(VALU_DEP_2)
	v_cndmask_b32_e64 v143, 0x80000000, -1, s24
	v_and_b32_e32 v2, s48, v2
	s_delay_alu instid0(VALU_DEP_1) | instskip(SKIP_3) | instid1(VALU_DEP_1)
	v_lshlrev_b32_e32 v2, 2, v2
	ds_load_b32 v2, v2
	s_wait_dscnt 0x0
	v_add_nc_u32_e32 v2, v2, v55
	v_lshlrev_b64_e32 v[36:37], 2, v[2:3]
	v_xor_b32_e32 v2, v143, v136
	s_delay_alu instid0(VALU_DEP_2) | instskip(SKIP_1) | instid1(VALU_DEP_3)
	v_add_co_u32 v36, s24, s38, v36
	s_wait_alu 0xf1ff
	v_add_co_ci_u32_e64 v37, null, s39, v37, s24
	global_store_b32 v[36:37], v2, off
	s_wait_alu 0xfffe
	s_or_b32 exec_lo, exec_lo, s25
	v_cmp_lt_u32_e64 s24, v56, v135
	s_and_saveexec_b32 s26, s24
	s_cbranch_execz .LBB1463_776
.LBB1463_844:                           ;   in Loop: Header=BB1463_687 Depth=2
	ds_load_b32 v136, v70 offset:11264
	s_wait_dscnt 0x0
	v_cmp_ne_u32_e64 s25, 0x7fffffff, v136
	s_wait_alu 0xf1ff
	s_delay_alu instid0(VALU_DEP_1) | instskip(SKIP_1) | instid1(VALU_DEP_2)
	v_cndmask_b32_e64 v2, 0x80000000, v136, s25
	v_cmp_lt_i32_e64 s25, -1, v136
	v_lshrrev_b32_e32 v2, s49, v2
	s_wait_alu 0xf1ff
	s_delay_alu instid0(VALU_DEP_2) | instskip(NEXT) | instid1(VALU_DEP_2)
	v_cndmask_b32_e64 v143, 0x80000000, -1, s25
	v_and_b32_e32 v2, s48, v2
	s_delay_alu instid0(VALU_DEP_1) | instskip(SKIP_3) | instid1(VALU_DEP_1)
	v_lshlrev_b32_e32 v2, 2, v2
	ds_load_b32 v2, v2
	s_wait_dscnt 0x0
	v_add_nc_u32_e32 v2, v2, v56
	v_lshlrev_b64_e32 v[36:37], 2, v[2:3]
	v_xor_b32_e32 v2, v143, v136
	s_delay_alu instid0(VALU_DEP_2) | instskip(SKIP_1) | instid1(VALU_DEP_3)
	v_add_co_u32 v36, s25, s38, v36
	s_wait_alu 0xf1ff
	v_add_co_ci_u32_e64 v37, null, s39, v37, s25
	global_store_b32 v[36:37], v2, off
	s_wait_alu 0xfffe
	s_or_b32 exec_lo, exec_lo, s26
	v_cmp_lt_u32_e64 s25, v57, v135
	s_and_saveexec_b32 s27, s25
	s_cbranch_execz .LBB1463_777
.LBB1463_845:                           ;   in Loop: Header=BB1463_687 Depth=2
	ds_load_b32 v136, v70 offset:12288
	s_wait_dscnt 0x0
	v_cmp_ne_u32_e64 s26, 0x7fffffff, v136
	s_wait_alu 0xf1ff
	s_delay_alu instid0(VALU_DEP_1) | instskip(SKIP_1) | instid1(VALU_DEP_2)
	v_cndmask_b32_e64 v2, 0x80000000, v136, s26
	v_cmp_lt_i32_e64 s26, -1, v136
	v_lshrrev_b32_e32 v2, s49, v2
	s_wait_alu 0xf1ff
	s_delay_alu instid0(VALU_DEP_2) | instskip(NEXT) | instid1(VALU_DEP_2)
	v_cndmask_b32_e64 v143, 0x80000000, -1, s26
	v_and_b32_e32 v2, s48, v2
	s_delay_alu instid0(VALU_DEP_1) | instskip(SKIP_3) | instid1(VALU_DEP_1)
	v_lshlrev_b32_e32 v2, 2, v2
	ds_load_b32 v2, v2
	s_wait_dscnt 0x0
	v_add_nc_u32_e32 v2, v2, v57
	v_lshlrev_b64_e32 v[36:37], 2, v[2:3]
	v_xor_b32_e32 v2, v143, v136
	s_delay_alu instid0(VALU_DEP_2) | instskip(SKIP_1) | instid1(VALU_DEP_3)
	v_add_co_u32 v36, s26, s38, v36
	s_wait_alu 0xf1ff
	v_add_co_ci_u32_e64 v37, null, s39, v37, s26
	global_store_b32 v[36:37], v2, off
	s_wait_alu 0xfffe
	s_or_b32 exec_lo, exec_lo, s27
	v_cmp_lt_u32_e64 s26, v58, v135
	s_and_saveexec_b32 s28, s26
	s_cbranch_execz .LBB1463_778
.LBB1463_846:                           ;   in Loop: Header=BB1463_687 Depth=2
	ds_load_b32 v136, v70 offset:13312
	s_wait_dscnt 0x0
	v_cmp_ne_u32_e64 s27, 0x7fffffff, v136
	s_wait_alu 0xf1ff
	s_delay_alu instid0(VALU_DEP_1) | instskip(SKIP_1) | instid1(VALU_DEP_2)
	v_cndmask_b32_e64 v2, 0x80000000, v136, s27
	v_cmp_lt_i32_e64 s27, -1, v136
	v_lshrrev_b32_e32 v2, s49, v2
	s_wait_alu 0xf1ff
	s_delay_alu instid0(VALU_DEP_2) | instskip(NEXT) | instid1(VALU_DEP_2)
	v_cndmask_b32_e64 v143, 0x80000000, -1, s27
	v_and_b32_e32 v2, s48, v2
	s_delay_alu instid0(VALU_DEP_1) | instskip(SKIP_3) | instid1(VALU_DEP_1)
	v_lshlrev_b32_e32 v2, 2, v2
	ds_load_b32 v2, v2
	s_wait_dscnt 0x0
	v_add_nc_u32_e32 v2, v2, v58
	v_lshlrev_b64_e32 v[36:37], 2, v[2:3]
	v_xor_b32_e32 v2, v143, v136
	s_delay_alu instid0(VALU_DEP_2) | instskip(SKIP_1) | instid1(VALU_DEP_3)
	v_add_co_u32 v36, s27, s38, v36
	s_wait_alu 0xf1ff
	v_add_co_ci_u32_e64 v37, null, s39, v37, s27
	global_store_b32 v[36:37], v2, off
	s_wait_alu 0xfffe
	s_or_b32 exec_lo, exec_lo, s28
	v_cmp_lt_u32_e64 s27, v59, v135
	s_and_saveexec_b32 s29, s27
	s_cbranch_execz .LBB1463_779
.LBB1463_847:                           ;   in Loop: Header=BB1463_687 Depth=2
	ds_load_b32 v136, v70 offset:14336
	s_wait_dscnt 0x0
	v_cmp_ne_u32_e64 s28, 0x7fffffff, v136
	s_wait_alu 0xf1ff
	s_delay_alu instid0(VALU_DEP_1) | instskip(SKIP_1) | instid1(VALU_DEP_2)
	v_cndmask_b32_e64 v2, 0x80000000, v136, s28
	v_cmp_lt_i32_e64 s28, -1, v136
	v_lshrrev_b32_e32 v2, s49, v2
	s_wait_alu 0xf1ff
	s_delay_alu instid0(VALU_DEP_2) | instskip(NEXT) | instid1(VALU_DEP_2)
	v_cndmask_b32_e64 v143, 0x80000000, -1, s28
	v_and_b32_e32 v2, s48, v2
	s_delay_alu instid0(VALU_DEP_1) | instskip(SKIP_3) | instid1(VALU_DEP_1)
	v_lshlrev_b32_e32 v2, 2, v2
	ds_load_b32 v2, v2
	s_wait_dscnt 0x0
	v_add_nc_u32_e32 v2, v2, v59
	v_lshlrev_b64_e32 v[36:37], 2, v[2:3]
	v_xor_b32_e32 v2, v143, v136
	s_delay_alu instid0(VALU_DEP_2) | instskip(SKIP_1) | instid1(VALU_DEP_3)
	v_add_co_u32 v36, s28, s38, v36
	s_wait_alu 0xf1ff
	v_add_co_ci_u32_e64 v37, null, s39, v37, s28
	global_store_b32 v[36:37], v2, off
	s_wait_alu 0xfffe
	s_or_b32 exec_lo, exec_lo, s29
	v_cmp_lt_u32_e64 s28, v60, v135
	s_and_saveexec_b32 s30, s28
	s_cbranch_execz .LBB1463_780
.LBB1463_848:                           ;   in Loop: Header=BB1463_687 Depth=2
	ds_load_b32 v136, v70 offset:15360
	s_wait_dscnt 0x0
	v_cmp_ne_u32_e64 s29, 0x7fffffff, v136
	s_wait_alu 0xf1ff
	s_delay_alu instid0(VALU_DEP_1) | instskip(SKIP_1) | instid1(VALU_DEP_2)
	v_cndmask_b32_e64 v2, 0x80000000, v136, s29
	v_cmp_lt_i32_e64 s29, -1, v136
	v_lshrrev_b32_e32 v2, s49, v2
	s_wait_alu 0xf1ff
	s_delay_alu instid0(VALU_DEP_2) | instskip(NEXT) | instid1(VALU_DEP_2)
	v_cndmask_b32_e64 v143, 0x80000000, -1, s29
	v_and_b32_e32 v2, s48, v2
	s_delay_alu instid0(VALU_DEP_1) | instskip(SKIP_3) | instid1(VALU_DEP_1)
	v_lshlrev_b32_e32 v2, 2, v2
	ds_load_b32 v2, v2
	s_wait_dscnt 0x0
	v_add_nc_u32_e32 v2, v2, v60
	v_lshlrev_b64_e32 v[36:37], 2, v[2:3]
	v_xor_b32_e32 v2, v143, v136
	s_delay_alu instid0(VALU_DEP_2) | instskip(SKIP_1) | instid1(VALU_DEP_3)
	v_add_co_u32 v36, s29, s38, v36
	s_wait_alu 0xf1ff
	v_add_co_ci_u32_e64 v37, null, s39, v37, s29
	global_store_b32 v[36:37], v2, off
	s_wait_alu 0xfffe
	s_or_b32 exec_lo, exec_lo, s30
	v_cmp_lt_u32_e64 s29, v61, v135
	s_and_saveexec_b32 s56, s29
	s_cbranch_execnz .LBB1463_781
	s_branch .LBB1463_782
.LBB1463_849:                           ;   in Loop: Header=BB1463_687 Depth=2
	global_load_b64 v[34:35], v[36:37], off
	s_wait_alu 0xfffe
	s_or_b32 exec_lo, exec_lo, s30
	s_delay_alu instid0(SALU_CYCLE_1)
	s_mov_b32 s42, exec_lo
	v_cmpx_lt_u32_e64 v92, v135
	s_cbranch_execz .LBB1463_784
.LBB1463_850:                           ;   in Loop: Header=BB1463_687 Depth=2
	global_load_b64 v[32:33], v[36:37], off offset:256
	s_wait_alu 0xfffe
	s_or_b32 exec_lo, exec_lo, s42
	s_delay_alu instid0(SALU_CYCLE_1)
	s_mov_b32 s42, exec_lo
	v_cmpx_lt_u32_e64 v93, v135
	s_cbranch_execz .LBB1463_785
.LBB1463_851:                           ;   in Loop: Header=BB1463_687 Depth=2
	global_load_b64 v[30:31], v[36:37], off offset:512
	s_wait_alu 0xfffe
	s_or_b32 exec_lo, exec_lo, s42
	s_delay_alu instid0(SALU_CYCLE_1)
	s_mov_b32 s42, exec_lo
	v_cmpx_lt_u32_e64 v94, v135
	s_cbranch_execz .LBB1463_786
.LBB1463_852:                           ;   in Loop: Header=BB1463_687 Depth=2
	global_load_b64 v[28:29], v[36:37], off offset:768
	s_wait_alu 0xfffe
	s_or_b32 exec_lo, exec_lo, s42
	s_delay_alu instid0(SALU_CYCLE_1)
	s_mov_b32 s42, exec_lo
	v_cmpx_lt_u32_e64 v95, v135
	s_cbranch_execz .LBB1463_787
.LBB1463_853:                           ;   in Loop: Header=BB1463_687 Depth=2
	global_load_b64 v[26:27], v[36:37], off offset:1024
	s_wait_alu 0xfffe
	s_or_b32 exec_lo, exec_lo, s42
	s_delay_alu instid0(SALU_CYCLE_1)
	s_mov_b32 s42, exec_lo
	v_cmpx_lt_u32_e64 v96, v135
	s_cbranch_execz .LBB1463_788
.LBB1463_854:                           ;   in Loop: Header=BB1463_687 Depth=2
	global_load_b64 v[24:25], v[36:37], off offset:1280
	s_wait_alu 0xfffe
	s_or_b32 exec_lo, exec_lo, s42
	s_delay_alu instid0(SALU_CYCLE_1)
	s_mov_b32 s42, exec_lo
	v_cmpx_lt_u32_e64 v97, v135
	s_cbranch_execz .LBB1463_789
.LBB1463_855:                           ;   in Loop: Header=BB1463_687 Depth=2
	global_load_b64 v[22:23], v[36:37], off offset:1536
	s_wait_alu 0xfffe
	s_or_b32 exec_lo, exec_lo, s42
	s_delay_alu instid0(SALU_CYCLE_1)
	s_mov_b32 s42, exec_lo
	v_cmpx_lt_u32_e64 v98, v135
	s_cbranch_execz .LBB1463_790
.LBB1463_856:                           ;   in Loop: Header=BB1463_687 Depth=2
	global_load_b64 v[20:21], v[36:37], off offset:1792
	s_wait_alu 0xfffe
	s_or_b32 exec_lo, exec_lo, s42
	s_delay_alu instid0(SALU_CYCLE_1)
	s_mov_b32 s42, exec_lo
	v_cmpx_lt_u32_e64 v99, v135
	s_cbranch_execz .LBB1463_791
.LBB1463_857:                           ;   in Loop: Header=BB1463_687 Depth=2
	global_load_b64 v[18:19], v[36:37], off offset:2048
	s_wait_alu 0xfffe
	s_or_b32 exec_lo, exec_lo, s42
	s_delay_alu instid0(SALU_CYCLE_1)
	s_mov_b32 s42, exec_lo
	v_cmpx_lt_u32_e64 v100, v135
	s_cbranch_execz .LBB1463_792
.LBB1463_858:                           ;   in Loop: Header=BB1463_687 Depth=2
	global_load_b64 v[16:17], v[36:37], off offset:2304
	s_wait_alu 0xfffe
	s_or_b32 exec_lo, exec_lo, s42
	s_delay_alu instid0(SALU_CYCLE_1)
	s_mov_b32 s42, exec_lo
	v_cmpx_lt_u32_e64 v101, v135
	s_cbranch_execz .LBB1463_793
.LBB1463_859:                           ;   in Loop: Header=BB1463_687 Depth=2
	global_load_b64 v[14:15], v[36:37], off offset:2560
	s_wait_alu 0xfffe
	s_or_b32 exec_lo, exec_lo, s42
	s_delay_alu instid0(SALU_CYCLE_1)
	s_mov_b32 s42, exec_lo
	v_cmpx_lt_u32_e64 v102, v135
	s_cbranch_execz .LBB1463_794
.LBB1463_860:                           ;   in Loop: Header=BB1463_687 Depth=2
	global_load_b64 v[12:13], v[36:37], off offset:2816
	s_wait_alu 0xfffe
	s_or_b32 exec_lo, exec_lo, s42
	s_delay_alu instid0(SALU_CYCLE_1)
	s_mov_b32 s42, exec_lo
	v_cmpx_lt_u32_e64 v103, v135
	s_cbranch_execz .LBB1463_795
.LBB1463_861:                           ;   in Loop: Header=BB1463_687 Depth=2
	global_load_b64 v[10:11], v[36:37], off offset:3072
	s_wait_alu 0xfffe
	s_or_b32 exec_lo, exec_lo, s42
	s_delay_alu instid0(SALU_CYCLE_1)
	s_mov_b32 s42, exec_lo
	v_cmpx_lt_u32_e64 v104, v135
	s_cbranch_execz .LBB1463_796
.LBB1463_862:                           ;   in Loop: Header=BB1463_687 Depth=2
	global_load_b64 v[8:9], v[36:37], off offset:3328
	s_wait_alu 0xfffe
	s_or_b32 exec_lo, exec_lo, s42
	s_delay_alu instid0(SALU_CYCLE_1)
	s_mov_b32 s42, exec_lo
	v_cmpx_lt_u32_e64 v105, v135
	s_cbranch_execz .LBB1463_797
.LBB1463_863:                           ;   in Loop: Header=BB1463_687 Depth=2
	global_load_b64 v[6:7], v[36:37], off offset:3584
	s_wait_alu 0xfffe
	s_or_b32 exec_lo, exec_lo, s42
	s_delay_alu instid0(SALU_CYCLE_1)
	s_mov_b32 s42, exec_lo
	v_cmpx_lt_u32_e64 v106, v135
	s_cbranch_execz .LBB1463_798
.LBB1463_864:                           ;   in Loop: Header=BB1463_687 Depth=2
	global_load_b64 v[4:5], v[36:37], off offset:3840
	s_wait_alu 0xfffe
	s_or_b32 exec_lo, exec_lo, s42
	s_and_saveexec_b32 s42, vcc_lo
	s_cbranch_execz .LBB1463_799
.LBB1463_865:                           ;   in Loop: Header=BB1463_687 Depth=2
	ds_load_b32 v2, v70 offset:1024
	s_wait_dscnt 0x0
	v_cmp_ne_u32_e64 s30, 0x7fffffff, v2
	s_wait_alu 0xf1ff
	s_delay_alu instid0(VALU_DEP_1) | instskip(NEXT) | instid1(VALU_DEP_1)
	v_cndmask_b32_e64 v2, 0x80000000, v2, s30
	v_lshrrev_b32_e32 v2, s49, v2
	s_delay_alu instid0(VALU_DEP_1)
	v_and_b32_e32 v134, s48, v2
	s_wait_alu 0xfffe
	s_or_b32 exec_lo, exec_lo, s42
	s_and_saveexec_b32 s42, s15
	s_cbranch_execz .LBB1463_800
.LBB1463_866:                           ;   in Loop: Header=BB1463_687 Depth=2
	ds_load_b32 v2, v70 offset:2048
	s_wait_dscnt 0x0
	v_cmp_ne_u32_e64 s30, 0x7fffffff, v2
	s_wait_alu 0xf1ff
	s_delay_alu instid0(VALU_DEP_1) | instskip(NEXT) | instid1(VALU_DEP_1)
	v_cndmask_b32_e64 v2, 0x80000000, v2, s30
	v_lshrrev_b32_e32 v2, s49, v2
	s_delay_alu instid0(VALU_DEP_1)
	v_and_b32_e32 v133, s48, v2
	s_wait_alu 0xfffe
	s_or_b32 exec_lo, exec_lo, s42
	s_and_saveexec_b32 s42, s16
	s_cbranch_execz .LBB1463_801
.LBB1463_867:                           ;   in Loop: Header=BB1463_687 Depth=2
	ds_load_b32 v2, v70 offset:3072
	s_wait_dscnt 0x0
	v_cmp_ne_u32_e64 s30, 0x7fffffff, v2
	s_wait_alu 0xf1ff
	s_delay_alu instid0(VALU_DEP_1) | instskip(NEXT) | instid1(VALU_DEP_1)
	v_cndmask_b32_e64 v2, 0x80000000, v2, s30
	v_lshrrev_b32_e32 v2, s49, v2
	s_delay_alu instid0(VALU_DEP_1)
	v_and_b32_e32 v132, s48, v2
	s_wait_alu 0xfffe
	s_or_b32 exec_lo, exec_lo, s42
	s_and_saveexec_b32 s42, s17
	s_cbranch_execz .LBB1463_802
.LBB1463_868:                           ;   in Loop: Header=BB1463_687 Depth=2
	ds_load_b32 v2, v70 offset:4096
	s_wait_dscnt 0x0
	v_cmp_ne_u32_e64 s30, 0x7fffffff, v2
	s_wait_alu 0xf1ff
	s_delay_alu instid0(VALU_DEP_1) | instskip(NEXT) | instid1(VALU_DEP_1)
	v_cndmask_b32_e64 v2, 0x80000000, v2, s30
	v_lshrrev_b32_e32 v2, s49, v2
	s_delay_alu instid0(VALU_DEP_1)
	v_and_b32_e32 v131, s48, v2
	s_wait_alu 0xfffe
	s_or_b32 exec_lo, exec_lo, s42
	s_and_saveexec_b32 s42, s18
	s_cbranch_execz .LBB1463_803
.LBB1463_869:                           ;   in Loop: Header=BB1463_687 Depth=2
	ds_load_b32 v2, v70 offset:5120
	s_wait_dscnt 0x0
	v_cmp_ne_u32_e64 s30, 0x7fffffff, v2
	s_wait_alu 0xf1ff
	s_delay_alu instid0(VALU_DEP_1) | instskip(NEXT) | instid1(VALU_DEP_1)
	v_cndmask_b32_e64 v2, 0x80000000, v2, s30
	v_lshrrev_b32_e32 v2, s49, v2
	s_delay_alu instid0(VALU_DEP_1)
	v_and_b32_e32 v130, s48, v2
	s_wait_alu 0xfffe
	s_or_b32 exec_lo, exec_lo, s42
	s_and_saveexec_b32 s42, s19
	s_cbranch_execz .LBB1463_804
.LBB1463_870:                           ;   in Loop: Header=BB1463_687 Depth=2
	ds_load_b32 v2, v70 offset:6144
	s_wait_dscnt 0x0
	v_cmp_ne_u32_e64 s30, 0x7fffffff, v2
	s_wait_alu 0xf1ff
	s_delay_alu instid0(VALU_DEP_1) | instskip(NEXT) | instid1(VALU_DEP_1)
	v_cndmask_b32_e64 v2, 0x80000000, v2, s30
	v_lshrrev_b32_e32 v2, s49, v2
	s_delay_alu instid0(VALU_DEP_1)
	v_and_b32_e32 v129, s48, v2
	s_wait_alu 0xfffe
	s_or_b32 exec_lo, exec_lo, s42
	s_and_saveexec_b32 s42, s20
	s_cbranch_execz .LBB1463_805
.LBB1463_871:                           ;   in Loop: Header=BB1463_687 Depth=2
	ds_load_b32 v2, v70 offset:7168
	s_wait_dscnt 0x0
	v_cmp_ne_u32_e64 s30, 0x7fffffff, v2
	s_wait_alu 0xf1ff
	s_delay_alu instid0(VALU_DEP_1) | instskip(NEXT) | instid1(VALU_DEP_1)
	v_cndmask_b32_e64 v2, 0x80000000, v2, s30
	v_lshrrev_b32_e32 v2, s49, v2
	s_delay_alu instid0(VALU_DEP_1)
	v_and_b32_e32 v128, s48, v2
	s_wait_alu 0xfffe
	s_or_b32 exec_lo, exec_lo, s42
	s_and_saveexec_b32 s42, s21
	s_cbranch_execz .LBB1463_806
.LBB1463_872:                           ;   in Loop: Header=BB1463_687 Depth=2
	ds_load_b32 v2, v70 offset:8192
	s_wait_dscnt 0x0
	v_cmp_ne_u32_e64 s30, 0x7fffffff, v2
	s_wait_alu 0xf1ff
	s_delay_alu instid0(VALU_DEP_1) | instskip(NEXT) | instid1(VALU_DEP_1)
	v_cndmask_b32_e64 v2, 0x80000000, v2, s30
	v_lshrrev_b32_e32 v2, s49, v2
	s_delay_alu instid0(VALU_DEP_1)
	v_and_b32_e32 v127, s48, v2
	s_wait_alu 0xfffe
	s_or_b32 exec_lo, exec_lo, s42
	s_and_saveexec_b32 s42, s22
	s_cbranch_execz .LBB1463_807
.LBB1463_873:                           ;   in Loop: Header=BB1463_687 Depth=2
	ds_load_b32 v2, v70 offset:9216
	s_wait_dscnt 0x0
	v_cmp_ne_u32_e64 s30, 0x7fffffff, v2
	s_wait_alu 0xf1ff
	s_delay_alu instid0(VALU_DEP_1) | instskip(NEXT) | instid1(VALU_DEP_1)
	v_cndmask_b32_e64 v2, 0x80000000, v2, s30
	v_lshrrev_b32_e32 v2, s49, v2
	s_delay_alu instid0(VALU_DEP_1)
	v_and_b32_e32 v126, s48, v2
	s_wait_alu 0xfffe
	s_or_b32 exec_lo, exec_lo, s42
	s_and_saveexec_b32 s42, s23
	s_cbranch_execz .LBB1463_808
.LBB1463_874:                           ;   in Loop: Header=BB1463_687 Depth=2
	ds_load_b32 v2, v70 offset:10240
	s_wait_dscnt 0x0
	v_cmp_ne_u32_e64 s30, 0x7fffffff, v2
	s_wait_alu 0xf1ff
	s_delay_alu instid0(VALU_DEP_1) | instskip(NEXT) | instid1(VALU_DEP_1)
	v_cndmask_b32_e64 v2, 0x80000000, v2, s30
	v_lshrrev_b32_e32 v2, s49, v2
	s_delay_alu instid0(VALU_DEP_1)
	v_and_b32_e32 v125, s48, v2
	s_wait_alu 0xfffe
	s_or_b32 exec_lo, exec_lo, s42
	s_and_saveexec_b32 s42, s24
	s_cbranch_execz .LBB1463_809
.LBB1463_875:                           ;   in Loop: Header=BB1463_687 Depth=2
	ds_load_b32 v2, v70 offset:11264
	s_wait_dscnt 0x0
	v_cmp_ne_u32_e64 s30, 0x7fffffff, v2
	s_wait_alu 0xf1ff
	s_delay_alu instid0(VALU_DEP_1) | instskip(NEXT) | instid1(VALU_DEP_1)
	v_cndmask_b32_e64 v2, 0x80000000, v2, s30
	v_lshrrev_b32_e32 v2, s49, v2
	s_delay_alu instid0(VALU_DEP_1)
	v_and_b32_e32 v124, s48, v2
	s_wait_alu 0xfffe
	s_or_b32 exec_lo, exec_lo, s42
	s_and_saveexec_b32 s42, s25
	s_cbranch_execz .LBB1463_810
.LBB1463_876:                           ;   in Loop: Header=BB1463_687 Depth=2
	ds_load_b32 v2, v70 offset:12288
	s_wait_dscnt 0x0
	v_cmp_ne_u32_e64 s30, 0x7fffffff, v2
	s_wait_alu 0xf1ff
	s_delay_alu instid0(VALU_DEP_1) | instskip(NEXT) | instid1(VALU_DEP_1)
	v_cndmask_b32_e64 v2, 0x80000000, v2, s30
	v_lshrrev_b32_e32 v2, s49, v2
	s_delay_alu instid0(VALU_DEP_1)
	v_and_b32_e32 v123, s48, v2
	s_wait_alu 0xfffe
	s_or_b32 exec_lo, exec_lo, s42
	s_and_saveexec_b32 s42, s26
	s_cbranch_execz .LBB1463_811
.LBB1463_877:                           ;   in Loop: Header=BB1463_687 Depth=2
	ds_load_b32 v2, v70 offset:13312
	s_wait_dscnt 0x0
	v_cmp_ne_u32_e64 s30, 0x7fffffff, v2
	s_wait_alu 0xf1ff
	s_delay_alu instid0(VALU_DEP_1) | instskip(NEXT) | instid1(VALU_DEP_1)
	v_cndmask_b32_e64 v2, 0x80000000, v2, s30
	v_lshrrev_b32_e32 v2, s49, v2
	s_delay_alu instid0(VALU_DEP_1)
	v_and_b32_e32 v122, s48, v2
	s_wait_alu 0xfffe
	s_or_b32 exec_lo, exec_lo, s42
	s_and_saveexec_b32 s42, s27
	s_cbranch_execz .LBB1463_812
.LBB1463_878:                           ;   in Loop: Header=BB1463_687 Depth=2
	ds_load_b32 v2, v70 offset:14336
	s_wait_dscnt 0x0
	v_cmp_ne_u32_e64 s30, 0x7fffffff, v2
	s_wait_alu 0xf1ff
	s_delay_alu instid0(VALU_DEP_1) | instskip(NEXT) | instid1(VALU_DEP_1)
	v_cndmask_b32_e64 v2, 0x80000000, v2, s30
	v_lshrrev_b32_e32 v2, s49, v2
	s_delay_alu instid0(VALU_DEP_1)
	v_and_b32_e32 v121, s48, v2
	s_wait_alu 0xfffe
	s_or_b32 exec_lo, exec_lo, s42
	s_and_saveexec_b32 s42, s28
	s_cbranch_execz .LBB1463_813
.LBB1463_879:                           ;   in Loop: Header=BB1463_687 Depth=2
	ds_load_b32 v2, v70 offset:15360
	s_wait_dscnt 0x0
	v_cmp_ne_u32_e64 s30, 0x7fffffff, v2
	s_wait_alu 0xf1ff
	s_delay_alu instid0(VALU_DEP_1) | instskip(NEXT) | instid1(VALU_DEP_1)
	v_cndmask_b32_e64 v2, 0x80000000, v2, s30
	v_lshrrev_b32_e32 v2, s49, v2
	s_delay_alu instid0(VALU_DEP_1)
	v_and_b32_e32 v120, s48, v2
	s_wait_alu 0xfffe
	s_or_b32 exec_lo, exec_lo, s42
	s_and_saveexec_b32 s42, s29
	s_cbranch_execnz .LBB1463_814
	s_branch .LBB1463_815
.LBB1463_880:                           ;   in Loop: Header=BB1463_687 Depth=2
	v_lshlrev_b32_e32 v2, 2, v134
	v_add_nc_u32_e32 v36, v70, v44
	ds_load_b32 v2, v2
	ds_load_b64 v[36:37], v36 offset:1024
	s_wait_dscnt 0x1
	v_add_nc_u32_e32 v2, v2, v1
	s_delay_alu instid0(VALU_DEP_1) | instskip(NEXT) | instid1(VALU_DEP_1)
	v_lshlrev_b64_e32 v[39:40], 3, v[2:3]
	v_add_co_u32 v39, vcc_lo, s44, v39
	s_wait_alu 0xfffd
	s_delay_alu instid0(VALU_DEP_2)
	v_add_co_ci_u32_e64 v40, null, s45, v40, vcc_lo
	s_wait_dscnt 0x0
	global_store_b64 v[39:40], v[36:37], off
	s_wait_alu 0xfffe
	s_or_b32 exec_lo, exec_lo, s30
	s_and_saveexec_b32 s30, s15
	s_cbranch_execz .LBB1463_817
.LBB1463_881:                           ;   in Loop: Header=BB1463_687 Depth=2
	v_lshlrev_b32_e32 v2, 2, v133
	v_add_nc_u32_e32 v36, v70, v44
	ds_load_b32 v2, v2
	ds_load_b64 v[36:37], v36 offset:3072
	s_wait_dscnt 0x1
	v_add_nc_u32_e32 v2, v2, v45
	s_delay_alu instid0(VALU_DEP_1) | instskip(NEXT) | instid1(VALU_DEP_1)
	v_lshlrev_b64_e32 v[39:40], 3, v[2:3]
	v_add_co_u32 v39, vcc_lo, s44, v39
	s_wait_alu 0xfffd
	s_delay_alu instid0(VALU_DEP_2)
	v_add_co_ci_u32_e64 v40, null, s45, v40, vcc_lo
	s_wait_dscnt 0x0
	global_store_b64 v[39:40], v[36:37], off
	s_wait_alu 0xfffe
	s_or_b32 exec_lo, exec_lo, s30
	s_and_saveexec_b32 s15, s16
	s_cbranch_execz .LBB1463_818
.LBB1463_882:                           ;   in Loop: Header=BB1463_687 Depth=2
	v_lshlrev_b32_e32 v2, 2, v132
	v_add_nc_u32_e32 v36, v70, v44
	ds_load_b32 v2, v2
	ds_load_b64 v[36:37], v36 offset:5120
	s_wait_dscnt 0x1
	v_add_nc_u32_e32 v2, v2, v46
	s_delay_alu instid0(VALU_DEP_1) | instskip(NEXT) | instid1(VALU_DEP_1)
	v_lshlrev_b64_e32 v[39:40], 3, v[2:3]
	v_add_co_u32 v39, vcc_lo, s44, v39
	s_wait_alu 0xfffd
	s_delay_alu instid0(VALU_DEP_2)
	v_add_co_ci_u32_e64 v40, null, s45, v40, vcc_lo
	s_wait_dscnt 0x0
	global_store_b64 v[39:40], v[36:37], off
	s_wait_alu 0xfffe
	s_or_b32 exec_lo, exec_lo, s15
	s_and_saveexec_b32 s15, s17
	s_cbranch_execz .LBB1463_819
.LBB1463_883:                           ;   in Loop: Header=BB1463_687 Depth=2
	v_lshlrev_b32_e32 v2, 2, v131
	v_add_nc_u32_e32 v36, v70, v44
	ds_load_b32 v2, v2
	ds_load_b64 v[36:37], v36 offset:7168
	s_wait_dscnt 0x1
	v_add_nc_u32_e32 v2, v2, v47
	s_delay_alu instid0(VALU_DEP_1) | instskip(NEXT) | instid1(VALU_DEP_1)
	v_lshlrev_b64_e32 v[39:40], 3, v[2:3]
	v_add_co_u32 v39, vcc_lo, s44, v39
	s_wait_alu 0xfffd
	s_delay_alu instid0(VALU_DEP_2)
	v_add_co_ci_u32_e64 v40, null, s45, v40, vcc_lo
	s_wait_dscnt 0x0
	global_store_b64 v[39:40], v[36:37], off
	s_wait_alu 0xfffe
	s_or_b32 exec_lo, exec_lo, s15
	s_and_saveexec_b32 s15, s18
	s_cbranch_execz .LBB1463_820
.LBB1463_884:                           ;   in Loop: Header=BB1463_687 Depth=2
	v_lshlrev_b32_e32 v2, 2, v130
	v_add_nc_u32_e32 v36, v70, v44
	ds_load_b32 v2, v2
	ds_load_b64 v[36:37], v36 offset:9216
	s_wait_dscnt 0x1
	v_add_nc_u32_e32 v2, v2, v50
	s_delay_alu instid0(VALU_DEP_1) | instskip(NEXT) | instid1(VALU_DEP_1)
	v_lshlrev_b64_e32 v[39:40], 3, v[2:3]
	v_add_co_u32 v39, vcc_lo, s44, v39
	s_wait_alu 0xfffd
	s_delay_alu instid0(VALU_DEP_2)
	v_add_co_ci_u32_e64 v40, null, s45, v40, vcc_lo
	s_wait_dscnt 0x0
	global_store_b64 v[39:40], v[36:37], off
	s_wait_alu 0xfffe
	s_or_b32 exec_lo, exec_lo, s15
	s_and_saveexec_b32 s15, s19
	s_cbranch_execz .LBB1463_821
.LBB1463_885:                           ;   in Loop: Header=BB1463_687 Depth=2
	v_lshlrev_b32_e32 v2, 2, v129
	v_add_nc_u32_e32 v36, v70, v44
	ds_load_b32 v2, v2
	ds_load_b64 v[36:37], v36 offset:11264
	s_wait_dscnt 0x1
	v_add_nc_u32_e32 v2, v2, v51
	s_delay_alu instid0(VALU_DEP_1) | instskip(NEXT) | instid1(VALU_DEP_1)
	v_lshlrev_b64_e32 v[39:40], 3, v[2:3]
	v_add_co_u32 v39, vcc_lo, s44, v39
	s_wait_alu 0xfffd
	s_delay_alu instid0(VALU_DEP_2)
	v_add_co_ci_u32_e64 v40, null, s45, v40, vcc_lo
	s_wait_dscnt 0x0
	global_store_b64 v[39:40], v[36:37], off
	s_wait_alu 0xfffe
	s_or_b32 exec_lo, exec_lo, s15
	s_and_saveexec_b32 s15, s20
	s_cbranch_execz .LBB1463_822
.LBB1463_886:                           ;   in Loop: Header=BB1463_687 Depth=2
	v_lshlrev_b32_e32 v2, 2, v128
	v_add_nc_u32_e32 v36, v70, v44
	ds_load_b32 v2, v2
	ds_load_b64 v[36:37], v36 offset:13312
	s_wait_dscnt 0x1
	v_add_nc_u32_e32 v2, v2, v52
	s_delay_alu instid0(VALU_DEP_1) | instskip(NEXT) | instid1(VALU_DEP_1)
	v_lshlrev_b64_e32 v[39:40], 3, v[2:3]
	v_add_co_u32 v39, vcc_lo, s44, v39
	s_wait_alu 0xfffd
	s_delay_alu instid0(VALU_DEP_2)
	v_add_co_ci_u32_e64 v40, null, s45, v40, vcc_lo
	s_wait_dscnt 0x0
	global_store_b64 v[39:40], v[36:37], off
	s_wait_alu 0xfffe
	s_or_b32 exec_lo, exec_lo, s15
	s_and_saveexec_b32 s15, s21
	s_cbranch_execz .LBB1463_823
.LBB1463_887:                           ;   in Loop: Header=BB1463_687 Depth=2
	v_lshlrev_b32_e32 v2, 2, v127
	v_add_nc_u32_e32 v36, v70, v44
	ds_load_b32 v2, v2
	ds_load_b64 v[36:37], v36 offset:15360
	s_wait_dscnt 0x1
	v_add_nc_u32_e32 v2, v2, v53
	s_delay_alu instid0(VALU_DEP_1) | instskip(NEXT) | instid1(VALU_DEP_1)
	v_lshlrev_b64_e32 v[39:40], 3, v[2:3]
	v_add_co_u32 v39, vcc_lo, s44, v39
	s_wait_alu 0xfffd
	s_delay_alu instid0(VALU_DEP_2)
	v_add_co_ci_u32_e64 v40, null, s45, v40, vcc_lo
	s_wait_dscnt 0x0
	global_store_b64 v[39:40], v[36:37], off
	s_wait_alu 0xfffe
	s_or_b32 exec_lo, exec_lo, s15
	s_and_saveexec_b32 s15, s22
	s_cbranch_execz .LBB1463_824
.LBB1463_888:                           ;   in Loop: Header=BB1463_687 Depth=2
	v_lshlrev_b32_e32 v2, 2, v126
	v_add_nc_u32_e32 v36, v70, v44
	ds_load_b32 v2, v2
	ds_load_b64 v[36:37], v36 offset:17408
	s_wait_dscnt 0x1
	v_add_nc_u32_e32 v2, v2, v54
	s_delay_alu instid0(VALU_DEP_1) | instskip(NEXT) | instid1(VALU_DEP_1)
	v_lshlrev_b64_e32 v[39:40], 3, v[2:3]
	v_add_co_u32 v39, vcc_lo, s44, v39
	s_wait_alu 0xfffd
	s_delay_alu instid0(VALU_DEP_2)
	v_add_co_ci_u32_e64 v40, null, s45, v40, vcc_lo
	s_wait_dscnt 0x0
	global_store_b64 v[39:40], v[36:37], off
	s_wait_alu 0xfffe
	s_or_b32 exec_lo, exec_lo, s15
	s_and_saveexec_b32 s15, s23
	s_cbranch_execz .LBB1463_825
.LBB1463_889:                           ;   in Loop: Header=BB1463_687 Depth=2
	v_lshlrev_b32_e32 v2, 2, v125
	v_add_nc_u32_e32 v36, v70, v44
	ds_load_b32 v2, v2
	ds_load_b64 v[36:37], v36 offset:19456
	s_wait_dscnt 0x1
	v_add_nc_u32_e32 v2, v2, v55
	s_delay_alu instid0(VALU_DEP_1) | instskip(NEXT) | instid1(VALU_DEP_1)
	v_lshlrev_b64_e32 v[39:40], 3, v[2:3]
	v_add_co_u32 v39, vcc_lo, s44, v39
	s_wait_alu 0xfffd
	s_delay_alu instid0(VALU_DEP_2)
	v_add_co_ci_u32_e64 v40, null, s45, v40, vcc_lo
	s_wait_dscnt 0x0
	global_store_b64 v[39:40], v[36:37], off
	s_wait_alu 0xfffe
	s_or_b32 exec_lo, exec_lo, s15
	s_and_saveexec_b32 s15, s24
	s_cbranch_execz .LBB1463_826
.LBB1463_890:                           ;   in Loop: Header=BB1463_687 Depth=2
	v_lshlrev_b32_e32 v2, 2, v124
	v_add_nc_u32_e32 v36, v70, v44
	ds_load_b32 v2, v2
	ds_load_b64 v[36:37], v36 offset:21504
	s_wait_dscnt 0x1
	v_add_nc_u32_e32 v2, v2, v56
	s_delay_alu instid0(VALU_DEP_1) | instskip(NEXT) | instid1(VALU_DEP_1)
	v_lshlrev_b64_e32 v[39:40], 3, v[2:3]
	v_add_co_u32 v39, vcc_lo, s44, v39
	s_wait_alu 0xfffd
	s_delay_alu instid0(VALU_DEP_2)
	v_add_co_ci_u32_e64 v40, null, s45, v40, vcc_lo
	s_wait_dscnt 0x0
	global_store_b64 v[39:40], v[36:37], off
	s_wait_alu 0xfffe
	s_or_b32 exec_lo, exec_lo, s15
	s_and_saveexec_b32 s15, s25
	s_cbranch_execz .LBB1463_827
.LBB1463_891:                           ;   in Loop: Header=BB1463_687 Depth=2
	v_lshlrev_b32_e32 v2, 2, v123
	v_add_nc_u32_e32 v36, v70, v44
	ds_load_b32 v2, v2
	ds_load_b64 v[36:37], v36 offset:23552
	s_wait_dscnt 0x1
	v_add_nc_u32_e32 v2, v2, v57
	s_delay_alu instid0(VALU_DEP_1) | instskip(NEXT) | instid1(VALU_DEP_1)
	v_lshlrev_b64_e32 v[39:40], 3, v[2:3]
	v_add_co_u32 v39, vcc_lo, s44, v39
	s_wait_alu 0xfffd
	s_delay_alu instid0(VALU_DEP_2)
	v_add_co_ci_u32_e64 v40, null, s45, v40, vcc_lo
	s_wait_dscnt 0x0
	global_store_b64 v[39:40], v[36:37], off
	s_wait_alu 0xfffe
	s_or_b32 exec_lo, exec_lo, s15
	s_and_saveexec_b32 s15, s26
	s_cbranch_execz .LBB1463_828
.LBB1463_892:                           ;   in Loop: Header=BB1463_687 Depth=2
	v_lshlrev_b32_e32 v2, 2, v122
	v_add_nc_u32_e32 v36, v70, v44
	ds_load_b32 v2, v2
	ds_load_b64 v[36:37], v36 offset:25600
	s_wait_dscnt 0x1
	v_add_nc_u32_e32 v2, v2, v58
	s_delay_alu instid0(VALU_DEP_1) | instskip(NEXT) | instid1(VALU_DEP_1)
	v_lshlrev_b64_e32 v[39:40], 3, v[2:3]
	v_add_co_u32 v39, vcc_lo, s44, v39
	s_wait_alu 0xfffd
	s_delay_alu instid0(VALU_DEP_2)
	v_add_co_ci_u32_e64 v40, null, s45, v40, vcc_lo
	s_wait_dscnt 0x0
	global_store_b64 v[39:40], v[36:37], off
	s_wait_alu 0xfffe
	s_or_b32 exec_lo, exec_lo, s15
	s_and_saveexec_b32 s15, s27
	s_cbranch_execz .LBB1463_829
.LBB1463_893:                           ;   in Loop: Header=BB1463_687 Depth=2
	v_lshlrev_b32_e32 v2, 2, v121
	v_add_nc_u32_e32 v36, v70, v44
	ds_load_b32 v2, v2
	ds_load_b64 v[36:37], v36 offset:27648
	s_wait_dscnt 0x1
	v_add_nc_u32_e32 v2, v2, v59
	s_delay_alu instid0(VALU_DEP_1) | instskip(NEXT) | instid1(VALU_DEP_1)
	v_lshlrev_b64_e32 v[39:40], 3, v[2:3]
	v_add_co_u32 v39, vcc_lo, s44, v39
	s_wait_alu 0xfffd
	s_delay_alu instid0(VALU_DEP_2)
	v_add_co_ci_u32_e64 v40, null, s45, v40, vcc_lo
	s_wait_dscnt 0x0
	global_store_b64 v[39:40], v[36:37], off
	s_wait_alu 0xfffe
	s_or_b32 exec_lo, exec_lo, s15
	s_and_saveexec_b32 s15, s28
	s_cbranch_execz .LBB1463_830
.LBB1463_894:                           ;   in Loop: Header=BB1463_687 Depth=2
	v_lshlrev_b32_e32 v2, 2, v120
	v_add_nc_u32_e32 v36, v70, v44
	ds_load_b32 v2, v2
	ds_load_b64 v[36:37], v36 offset:29696
	s_wait_dscnt 0x1
	v_add_nc_u32_e32 v2, v2, v60
	s_delay_alu instid0(VALU_DEP_1) | instskip(NEXT) | instid1(VALU_DEP_1)
	v_lshlrev_b64_e32 v[39:40], 3, v[2:3]
	v_add_co_u32 v39, vcc_lo, s44, v39
	s_wait_alu 0xfffd
	s_delay_alu instid0(VALU_DEP_2)
	v_add_co_ci_u32_e64 v40, null, s45, v40, vcc_lo
	s_wait_dscnt 0x0
	global_store_b64 v[39:40], v[36:37], off
	s_wait_alu 0xfffe
	s_or_b32 exec_lo, exec_lo, s15
	s_and_saveexec_b32 s15, s29
	s_cbranch_execnz .LBB1463_831
	s_branch .LBB1463_832
.LBB1463_895:                           ;   in Loop: Header=BB1463_17 Depth=1
	s_wait_loadcnt_dscnt 0x0
	s_barrier_signal -1
	s_mov_b32 s0, 0
	s_barrier_wait -1
.LBB1463_896:                           ;   in Loop: Header=BB1463_17 Depth=1
	s_wait_alu 0xfffe
	s_and_b32 vcc_lo, exec_lo, s0
	s_wait_alu 0xfffe
	s_cbranch_vccz .LBB1463_16
; %bb.897:                              ;   in Loop: Header=BB1463_17 Depth=1
	s_mov_b32 s9, s53
	s_mov_b32 s42, s33
	s_barrier_signal -1
	s_barrier_wait -1
	global_inv scope:SCOPE_SE
                                        ; implicit-def: $vgpr2
                                        ; implicit-def: $vgpr4
                                        ; implicit-def: $vgpr5
                                        ; implicit-def: $vgpr6
                                        ; implicit-def: $vgpr7
                                        ; implicit-def: $vgpr8
                                        ; implicit-def: $vgpr9
                                        ; implicit-def: $vgpr10
                                        ; implicit-def: $vgpr11
                                        ; implicit-def: $vgpr12
                                        ; implicit-def: $vgpr13
                                        ; implicit-def: $vgpr14
                                        ; implicit-def: $vgpr15
                                        ; implicit-def: $vgpr16
                                        ; implicit-def: $vgpr17
                                        ; implicit-def: $vgpr18
	s_branch .LBB1463_899
.LBB1463_898:                           ;   in Loop: Header=BB1463_899 Depth=2
	s_wait_alu 0xfffe
	s_or_b32 exec_lo, exec_lo, s0
	s_addk_co_i32 s9, 0xf000
	s_cmp_ge_u32 s10, s51
	s_mov_b32 s42, s10
	s_cbranch_scc1 .LBB1463_967
.LBB1463_899:                           ;   Parent Loop BB1463_17 Depth=1
                                        ; =>  This Inner Loop Header: Depth=2
	s_wait_alu 0xfffe
	s_add_co_i32 s10, s42, 0x1000
	s_mov_b32 s0, -1
	s_wait_alu 0xfffe
	s_cmp_gt_u32 s10, s51
                                        ; implicit-def: $vgpr19
                                        ; implicit-def: $vgpr20
                                        ; implicit-def: $vgpr21
                                        ; implicit-def: $vgpr22
                                        ; implicit-def: $vgpr23
                                        ; implicit-def: $vgpr24
                                        ; implicit-def: $vgpr25
                                        ; implicit-def: $vgpr26
                                        ; implicit-def: $vgpr27
                                        ; implicit-def: $vgpr28
                                        ; implicit-def: $vgpr29
                                        ; implicit-def: $vgpr30
                                        ; implicit-def: $vgpr31
                                        ; implicit-def: $vgpr32
                                        ; implicit-def: $vgpr33
                                        ; implicit-def: $vgpr34
	s_cbranch_scc1 .LBB1463_901
; %bb.900:                              ;   in Loop: Header=BB1463_899 Depth=2
	s_lshl_b64 s[0:1], s[42:43], 2
	s_wait_alu 0xfffe
	v_add_co_u32 v34, vcc_lo, v77, s0
	s_wait_alu 0xfffd
	v_add_co_ci_u32_e64 v35, null, s1, v78, vcc_lo
	s_mov_b32 s0, 0
	s_clause 0xf
	global_load_b32 v19, v[34:35], off
	global_load_b32 v20, v[34:35], off offset:1024
	global_load_b32 v21, v[34:35], off offset:2048
	;; [unrolled: 1-line block ×15, first 2 shown]
.LBB1463_901:                           ;   in Loop: Header=BB1463_899 Depth=2
	s_wait_alu 0xfffe
	s_and_not1_b32 vcc_lo, exec_lo, s0
	s_movk_i32 s0, 0x1000
	s_wait_alu 0xfffe
	s_cbranch_vccnz .LBB1463_920
; %bb.902:                              ;   in Loop: Header=BB1463_899 Depth=2
	s_lshl_b64 s[0:1], s[42:43], 2
	s_mov_b32 s11, exec_lo
	s_wait_alu 0xfffe
	s_add_nc_u64 s[0:1], s[36:37], s[0:1]
	v_cmpx_gt_u32_e64 s9, v1
	s_cbranch_execnz .LBB1463_952
; %bb.903:                              ;   in Loop: Header=BB1463_899 Depth=2
	s_or_b32 exec_lo, exec_lo, s11
	s_delay_alu instid0(SALU_CYCLE_1)
	s_mov_b32 s11, exec_lo
	v_cmpx_gt_u32_e64 s9, v45
	s_cbranch_execnz .LBB1463_953
.LBB1463_904:                           ;   in Loop: Header=BB1463_899 Depth=2
	s_wait_alu 0xfffe
	s_or_b32 exec_lo, exec_lo, s11
	s_delay_alu instid0(SALU_CYCLE_1)
	s_mov_b32 s11, exec_lo
	v_cmpx_gt_u32_e64 s9, v46
	s_cbranch_execnz .LBB1463_954
.LBB1463_905:                           ;   in Loop: Header=BB1463_899 Depth=2
	s_wait_alu 0xfffe
	s_or_b32 exec_lo, exec_lo, s11
	s_delay_alu instid0(SALU_CYCLE_1)
	s_mov_b32 s11, exec_lo
	v_cmpx_gt_u32_e64 s9, v47
	s_cbranch_execnz .LBB1463_955
.LBB1463_906:                           ;   in Loop: Header=BB1463_899 Depth=2
	s_wait_alu 0xfffe
	s_or_b32 exec_lo, exec_lo, s11
	s_delay_alu instid0(SALU_CYCLE_1)
	s_mov_b32 s11, exec_lo
	v_cmpx_gt_u32_e64 s9, v50
	s_cbranch_execnz .LBB1463_956
.LBB1463_907:                           ;   in Loop: Header=BB1463_899 Depth=2
	s_wait_alu 0xfffe
	s_or_b32 exec_lo, exec_lo, s11
	s_delay_alu instid0(SALU_CYCLE_1)
	s_mov_b32 s11, exec_lo
	v_cmpx_gt_u32_e64 s9, v51
	s_cbranch_execnz .LBB1463_957
.LBB1463_908:                           ;   in Loop: Header=BB1463_899 Depth=2
	s_wait_alu 0xfffe
	s_or_b32 exec_lo, exec_lo, s11
	s_delay_alu instid0(SALU_CYCLE_1)
	s_mov_b32 s11, exec_lo
	v_cmpx_gt_u32_e64 s9, v52
	s_cbranch_execnz .LBB1463_958
.LBB1463_909:                           ;   in Loop: Header=BB1463_899 Depth=2
	s_wait_alu 0xfffe
	s_or_b32 exec_lo, exec_lo, s11
	s_delay_alu instid0(SALU_CYCLE_1)
	s_mov_b32 s11, exec_lo
	v_cmpx_gt_u32_e64 s9, v53
	s_cbranch_execnz .LBB1463_959
.LBB1463_910:                           ;   in Loop: Header=BB1463_899 Depth=2
	s_wait_alu 0xfffe
	s_or_b32 exec_lo, exec_lo, s11
	s_delay_alu instid0(SALU_CYCLE_1)
	s_mov_b32 s11, exec_lo
	v_cmpx_gt_u32_e64 s9, v54
	s_cbranch_execnz .LBB1463_960
.LBB1463_911:                           ;   in Loop: Header=BB1463_899 Depth=2
	s_wait_alu 0xfffe
	s_or_b32 exec_lo, exec_lo, s11
	s_delay_alu instid0(SALU_CYCLE_1)
	s_mov_b32 s11, exec_lo
	v_cmpx_gt_u32_e64 s9, v55
	s_cbranch_execnz .LBB1463_961
.LBB1463_912:                           ;   in Loop: Header=BB1463_899 Depth=2
	s_wait_alu 0xfffe
	s_or_b32 exec_lo, exec_lo, s11
	s_delay_alu instid0(SALU_CYCLE_1)
	s_mov_b32 s11, exec_lo
	v_cmpx_gt_u32_e64 s9, v56
	s_cbranch_execnz .LBB1463_962
.LBB1463_913:                           ;   in Loop: Header=BB1463_899 Depth=2
	s_wait_alu 0xfffe
	s_or_b32 exec_lo, exec_lo, s11
	s_delay_alu instid0(SALU_CYCLE_1)
	s_mov_b32 s11, exec_lo
	v_cmpx_gt_u32_e64 s9, v57
	s_cbranch_execnz .LBB1463_963
.LBB1463_914:                           ;   in Loop: Header=BB1463_899 Depth=2
	s_wait_alu 0xfffe
	s_or_b32 exec_lo, exec_lo, s11
	s_delay_alu instid0(SALU_CYCLE_1)
	s_mov_b32 s11, exec_lo
	v_cmpx_gt_u32_e64 s9, v58
	s_cbranch_execnz .LBB1463_964
.LBB1463_915:                           ;   in Loop: Header=BB1463_899 Depth=2
	s_wait_alu 0xfffe
	s_or_b32 exec_lo, exec_lo, s11
	s_delay_alu instid0(SALU_CYCLE_1)
	s_mov_b32 s11, exec_lo
	v_cmpx_gt_u32_e64 s9, v59
	s_cbranch_execnz .LBB1463_965
.LBB1463_916:                           ;   in Loop: Header=BB1463_899 Depth=2
	s_wait_alu 0xfffe
	s_or_b32 exec_lo, exec_lo, s11
	s_delay_alu instid0(SALU_CYCLE_1)
	s_mov_b32 s11, exec_lo
	v_cmpx_gt_u32_e64 s9, v60
	s_cbranch_execnz .LBB1463_966
.LBB1463_917:                           ;   in Loop: Header=BB1463_899 Depth=2
	s_wait_alu 0xfffe
	s_or_b32 exec_lo, exec_lo, s11
	s_delay_alu instid0(SALU_CYCLE_1)
	s_mov_b32 s11, exec_lo
	v_cmpx_gt_u32_e64 s9, v61
	s_cbranch_execz .LBB1463_919
.LBB1463_918:                           ;   in Loop: Header=BB1463_899 Depth=2
	global_load_b32 v2, v108, s[0:1] offset:15360
.LBB1463_919:                           ;   in Loop: Header=BB1463_899 Depth=2
	s_wait_alu 0xfffe
	s_or_b32 exec_lo, exec_lo, s11
	s_wait_loadcnt 0x0
	v_dual_mov_b32 v19, v18 :: v_dual_mov_b32 v20, v17
	v_dual_mov_b32 v21, v16 :: v_dual_mov_b32 v22, v15
	;; [unrolled: 1-line block ×8, first 2 shown]
	s_mov_b32 s0, s9
.LBB1463_920:                           ;   in Loop: Header=BB1463_899 Depth=2
	s_wait_loadcnt 0x0
	s_delay_alu instid0(VALU_DEP_1) | instskip(NEXT) | instid1(VALU_DEP_2)
	v_dual_mov_b32 v2, v34 :: v_dual_mov_b32 v5, v32
	v_dual_mov_b32 v4, v33 :: v_dual_mov_b32 v7, v30
	;; [unrolled: 1-line block ×7, first 2 shown]
	v_mov_b32_e32 v16, v21
	v_mov_b32_e32 v18, v19
	s_mov_b32 s1, exec_lo
	s_wait_alu 0xfffe
	v_cmpx_gt_u32_e64 s0, v1
	s_cbranch_execnz .LBB1463_936
; %bb.921:                              ;   in Loop: Header=BB1463_899 Depth=2
	s_or_b32 exec_lo, exec_lo, s1
	s_delay_alu instid0(SALU_CYCLE_1)
	s_mov_b32 s1, exec_lo
	v_cmpx_gt_u32_e64 s0, v45
	s_cbranch_execnz .LBB1463_937
.LBB1463_922:                           ;   in Loop: Header=BB1463_899 Depth=2
	s_wait_alu 0xfffe
	s_or_b32 exec_lo, exec_lo, s1
	s_delay_alu instid0(SALU_CYCLE_1)
	s_mov_b32 s1, exec_lo
	v_cmpx_gt_u32_e64 s0, v46
	s_cbranch_execnz .LBB1463_938
.LBB1463_923:                           ;   in Loop: Header=BB1463_899 Depth=2
	s_wait_alu 0xfffe
	s_or_b32 exec_lo, exec_lo, s1
	s_delay_alu instid0(SALU_CYCLE_1)
	s_mov_b32 s1, exec_lo
	v_cmpx_gt_u32_e64 s0, v47
	s_cbranch_execnz .LBB1463_939
.LBB1463_924:                           ;   in Loop: Header=BB1463_899 Depth=2
	s_wait_alu 0xfffe
	s_or_b32 exec_lo, exec_lo, s1
	s_delay_alu instid0(SALU_CYCLE_1)
	s_mov_b32 s1, exec_lo
	v_cmpx_gt_u32_e64 s0, v50
	s_cbranch_execnz .LBB1463_940
.LBB1463_925:                           ;   in Loop: Header=BB1463_899 Depth=2
	s_wait_alu 0xfffe
	s_or_b32 exec_lo, exec_lo, s1
	s_delay_alu instid0(SALU_CYCLE_1)
	s_mov_b32 s1, exec_lo
	v_cmpx_gt_u32_e64 s0, v51
	s_cbranch_execnz .LBB1463_941
.LBB1463_926:                           ;   in Loop: Header=BB1463_899 Depth=2
	s_wait_alu 0xfffe
	s_or_b32 exec_lo, exec_lo, s1
	s_delay_alu instid0(SALU_CYCLE_1)
	s_mov_b32 s1, exec_lo
	v_cmpx_gt_u32_e64 s0, v52
	s_cbranch_execnz .LBB1463_942
.LBB1463_927:                           ;   in Loop: Header=BB1463_899 Depth=2
	s_wait_alu 0xfffe
	s_or_b32 exec_lo, exec_lo, s1
	s_delay_alu instid0(SALU_CYCLE_1)
	s_mov_b32 s1, exec_lo
	v_cmpx_gt_u32_e64 s0, v53
	s_cbranch_execnz .LBB1463_943
.LBB1463_928:                           ;   in Loop: Header=BB1463_899 Depth=2
	s_wait_alu 0xfffe
	s_or_b32 exec_lo, exec_lo, s1
	s_delay_alu instid0(SALU_CYCLE_1)
	s_mov_b32 s1, exec_lo
	v_cmpx_gt_u32_e64 s0, v54
	s_cbranch_execnz .LBB1463_944
.LBB1463_929:                           ;   in Loop: Header=BB1463_899 Depth=2
	s_wait_alu 0xfffe
	s_or_b32 exec_lo, exec_lo, s1
	s_delay_alu instid0(SALU_CYCLE_1)
	s_mov_b32 s1, exec_lo
	v_cmpx_gt_u32_e64 s0, v55
	s_cbranch_execnz .LBB1463_945
.LBB1463_930:                           ;   in Loop: Header=BB1463_899 Depth=2
	s_wait_alu 0xfffe
	s_or_b32 exec_lo, exec_lo, s1
	s_delay_alu instid0(SALU_CYCLE_1)
	s_mov_b32 s1, exec_lo
	v_cmpx_gt_u32_e64 s0, v56
	s_cbranch_execnz .LBB1463_946
.LBB1463_931:                           ;   in Loop: Header=BB1463_899 Depth=2
	s_wait_alu 0xfffe
	s_or_b32 exec_lo, exec_lo, s1
	s_delay_alu instid0(SALU_CYCLE_1)
	s_mov_b32 s1, exec_lo
	v_cmpx_gt_u32_e64 s0, v57
	s_cbranch_execnz .LBB1463_947
.LBB1463_932:                           ;   in Loop: Header=BB1463_899 Depth=2
	s_wait_alu 0xfffe
	s_or_b32 exec_lo, exec_lo, s1
	s_delay_alu instid0(SALU_CYCLE_1)
	s_mov_b32 s1, exec_lo
	v_cmpx_gt_u32_e64 s0, v58
	s_cbranch_execnz .LBB1463_948
.LBB1463_933:                           ;   in Loop: Header=BB1463_899 Depth=2
	s_wait_alu 0xfffe
	s_or_b32 exec_lo, exec_lo, s1
	s_delay_alu instid0(SALU_CYCLE_1)
	s_mov_b32 s1, exec_lo
	v_cmpx_gt_u32_e64 s0, v59
	s_cbranch_execnz .LBB1463_949
.LBB1463_934:                           ;   in Loop: Header=BB1463_899 Depth=2
	s_wait_alu 0xfffe
	s_or_b32 exec_lo, exec_lo, s1
	s_delay_alu instid0(SALU_CYCLE_1)
	s_mov_b32 s1, exec_lo
	v_cmpx_gt_u32_e64 s0, v60
	s_cbranch_execnz .LBB1463_950
.LBB1463_935:                           ;   in Loop: Header=BB1463_899 Depth=2
	s_wait_alu 0xfffe
	s_or_b32 exec_lo, exec_lo, s1
	v_cmp_gt_u32_e32 vcc_lo, s0, v61
	s_and_saveexec_b32 s0, vcc_lo
	s_cbranch_execz .LBB1463_898
	s_branch .LBB1463_951
.LBB1463_936:                           ;   in Loop: Header=BB1463_899 Depth=2
	v_cmp_lt_i32_e32 vcc_lo, -1, v18
	s_wait_alu 0xfffd
	v_cndmask_b32_e64 v19, -1, 0x80000000, vcc_lo
	s_delay_alu instid0(VALU_DEP_1) | instskip(NEXT) | instid1(VALU_DEP_1)
	v_xor_b32_e32 v19, v19, v18
	v_cmp_ne_u32_e32 vcc_lo, 0x7fffffff, v19
	s_wait_alu 0xfffd
	v_cndmask_b32_e32 v19, 0x80000000, v19, vcc_lo
	s_delay_alu instid0(VALU_DEP_1) | instskip(NEXT) | instid1(VALU_DEP_1)
	v_lshrrev_b32_e32 v19, s49, v19
	v_and_b32_e32 v19, s48, v19
	s_delay_alu instid0(VALU_DEP_1) | instskip(SKIP_2) | instid1(SALU_CYCLE_1)
	v_lshl_or_b32 v19, v19, 4, v62
	ds_add_u32 v19, v84
	s_or_b32 exec_lo, exec_lo, s1
	s_mov_b32 s1, exec_lo
	v_cmpx_gt_u32_e64 s0, v45
	s_cbranch_execz .LBB1463_922
.LBB1463_937:                           ;   in Loop: Header=BB1463_899 Depth=2
	v_cmp_lt_i32_e32 vcc_lo, -1, v17
	s_wait_alu 0xfffd
	v_cndmask_b32_e64 v19, -1, 0x80000000, vcc_lo
	s_delay_alu instid0(VALU_DEP_1) | instskip(NEXT) | instid1(VALU_DEP_1)
	v_xor_b32_e32 v19, v19, v17
	v_cmp_ne_u32_e32 vcc_lo, 0x7fffffff, v19
	s_wait_alu 0xfffd
	v_cndmask_b32_e32 v19, 0x80000000, v19, vcc_lo
	s_delay_alu instid0(VALU_DEP_1) | instskip(NEXT) | instid1(VALU_DEP_1)
	v_lshrrev_b32_e32 v19, s49, v19
	v_and_b32_e32 v19, s48, v19
	s_delay_alu instid0(VALU_DEP_1) | instskip(SKIP_3) | instid1(SALU_CYCLE_1)
	v_lshl_or_b32 v19, v19, 4, v62
	ds_add_u32 v19, v84
	s_wait_alu 0xfffe
	s_or_b32 exec_lo, exec_lo, s1
	s_mov_b32 s1, exec_lo
	v_cmpx_gt_u32_e64 s0, v46
	s_cbranch_execz .LBB1463_923
.LBB1463_938:                           ;   in Loop: Header=BB1463_899 Depth=2
	v_cmp_lt_i32_e32 vcc_lo, -1, v16
	s_wait_alu 0xfffd
	v_cndmask_b32_e64 v19, -1, 0x80000000, vcc_lo
	s_delay_alu instid0(VALU_DEP_1) | instskip(NEXT) | instid1(VALU_DEP_1)
	v_xor_b32_e32 v19, v19, v16
	v_cmp_ne_u32_e32 vcc_lo, 0x7fffffff, v19
	s_wait_alu 0xfffd
	v_cndmask_b32_e32 v19, 0x80000000, v19, vcc_lo
	s_delay_alu instid0(VALU_DEP_1) | instskip(NEXT) | instid1(VALU_DEP_1)
	v_lshrrev_b32_e32 v19, s49, v19
	v_and_b32_e32 v19, s48, v19
	s_delay_alu instid0(VALU_DEP_1) | instskip(SKIP_3) | instid1(SALU_CYCLE_1)
	v_lshl_or_b32 v19, v19, 4, v62
	ds_add_u32 v19, v84
	s_wait_alu 0xfffe
	s_or_b32 exec_lo, exec_lo, s1
	s_mov_b32 s1, exec_lo
	v_cmpx_gt_u32_e64 s0, v47
	s_cbranch_execz .LBB1463_924
.LBB1463_939:                           ;   in Loop: Header=BB1463_899 Depth=2
	v_cmp_lt_i32_e32 vcc_lo, -1, v15
	s_wait_alu 0xfffd
	v_cndmask_b32_e64 v19, -1, 0x80000000, vcc_lo
	s_delay_alu instid0(VALU_DEP_1) | instskip(NEXT) | instid1(VALU_DEP_1)
	v_xor_b32_e32 v19, v19, v15
	v_cmp_ne_u32_e32 vcc_lo, 0x7fffffff, v19
	s_wait_alu 0xfffd
	v_cndmask_b32_e32 v19, 0x80000000, v19, vcc_lo
	s_delay_alu instid0(VALU_DEP_1) | instskip(NEXT) | instid1(VALU_DEP_1)
	v_lshrrev_b32_e32 v19, s49, v19
	v_and_b32_e32 v19, s48, v19
	s_delay_alu instid0(VALU_DEP_1) | instskip(SKIP_3) | instid1(SALU_CYCLE_1)
	v_lshl_or_b32 v19, v19, 4, v62
	ds_add_u32 v19, v84
	s_wait_alu 0xfffe
	s_or_b32 exec_lo, exec_lo, s1
	s_mov_b32 s1, exec_lo
	v_cmpx_gt_u32_e64 s0, v50
	s_cbranch_execz .LBB1463_925
.LBB1463_940:                           ;   in Loop: Header=BB1463_899 Depth=2
	v_cmp_lt_i32_e32 vcc_lo, -1, v14
	s_wait_alu 0xfffd
	v_cndmask_b32_e64 v19, -1, 0x80000000, vcc_lo
	s_delay_alu instid0(VALU_DEP_1) | instskip(NEXT) | instid1(VALU_DEP_1)
	v_xor_b32_e32 v19, v19, v14
	v_cmp_ne_u32_e32 vcc_lo, 0x7fffffff, v19
	s_wait_alu 0xfffd
	v_cndmask_b32_e32 v19, 0x80000000, v19, vcc_lo
	s_delay_alu instid0(VALU_DEP_1) | instskip(NEXT) | instid1(VALU_DEP_1)
	v_lshrrev_b32_e32 v19, s49, v19
	v_and_b32_e32 v19, s48, v19
	s_delay_alu instid0(VALU_DEP_1) | instskip(SKIP_3) | instid1(SALU_CYCLE_1)
	v_lshl_or_b32 v19, v19, 4, v62
	ds_add_u32 v19, v84
	s_wait_alu 0xfffe
	s_or_b32 exec_lo, exec_lo, s1
	s_mov_b32 s1, exec_lo
	v_cmpx_gt_u32_e64 s0, v51
	s_cbranch_execz .LBB1463_926
.LBB1463_941:                           ;   in Loop: Header=BB1463_899 Depth=2
	v_cmp_lt_i32_e32 vcc_lo, -1, v13
	s_wait_alu 0xfffd
	v_cndmask_b32_e64 v19, -1, 0x80000000, vcc_lo
	s_delay_alu instid0(VALU_DEP_1) | instskip(NEXT) | instid1(VALU_DEP_1)
	v_xor_b32_e32 v19, v19, v13
	v_cmp_ne_u32_e32 vcc_lo, 0x7fffffff, v19
	s_wait_alu 0xfffd
	v_cndmask_b32_e32 v19, 0x80000000, v19, vcc_lo
	s_delay_alu instid0(VALU_DEP_1) | instskip(NEXT) | instid1(VALU_DEP_1)
	v_lshrrev_b32_e32 v19, s49, v19
	v_and_b32_e32 v19, s48, v19
	s_delay_alu instid0(VALU_DEP_1) | instskip(SKIP_3) | instid1(SALU_CYCLE_1)
	v_lshl_or_b32 v19, v19, 4, v62
	ds_add_u32 v19, v84
	s_wait_alu 0xfffe
	s_or_b32 exec_lo, exec_lo, s1
	s_mov_b32 s1, exec_lo
	v_cmpx_gt_u32_e64 s0, v52
	s_cbranch_execz .LBB1463_927
.LBB1463_942:                           ;   in Loop: Header=BB1463_899 Depth=2
	v_cmp_lt_i32_e32 vcc_lo, -1, v12
	s_wait_alu 0xfffd
	v_cndmask_b32_e64 v19, -1, 0x80000000, vcc_lo
	s_delay_alu instid0(VALU_DEP_1) | instskip(NEXT) | instid1(VALU_DEP_1)
	v_xor_b32_e32 v19, v19, v12
	v_cmp_ne_u32_e32 vcc_lo, 0x7fffffff, v19
	s_wait_alu 0xfffd
	v_cndmask_b32_e32 v19, 0x80000000, v19, vcc_lo
	s_delay_alu instid0(VALU_DEP_1) | instskip(NEXT) | instid1(VALU_DEP_1)
	v_lshrrev_b32_e32 v19, s49, v19
	v_and_b32_e32 v19, s48, v19
	s_delay_alu instid0(VALU_DEP_1) | instskip(SKIP_3) | instid1(SALU_CYCLE_1)
	v_lshl_or_b32 v19, v19, 4, v62
	ds_add_u32 v19, v84
	s_wait_alu 0xfffe
	s_or_b32 exec_lo, exec_lo, s1
	s_mov_b32 s1, exec_lo
	v_cmpx_gt_u32_e64 s0, v53
	s_cbranch_execz .LBB1463_928
.LBB1463_943:                           ;   in Loop: Header=BB1463_899 Depth=2
	v_cmp_lt_i32_e32 vcc_lo, -1, v11
	s_wait_alu 0xfffd
	v_cndmask_b32_e64 v19, -1, 0x80000000, vcc_lo
	s_delay_alu instid0(VALU_DEP_1) | instskip(NEXT) | instid1(VALU_DEP_1)
	v_xor_b32_e32 v19, v19, v11
	v_cmp_ne_u32_e32 vcc_lo, 0x7fffffff, v19
	s_wait_alu 0xfffd
	v_cndmask_b32_e32 v19, 0x80000000, v19, vcc_lo
	s_delay_alu instid0(VALU_DEP_1) | instskip(NEXT) | instid1(VALU_DEP_1)
	v_lshrrev_b32_e32 v19, s49, v19
	v_and_b32_e32 v19, s48, v19
	s_delay_alu instid0(VALU_DEP_1) | instskip(SKIP_3) | instid1(SALU_CYCLE_1)
	v_lshl_or_b32 v19, v19, 4, v62
	ds_add_u32 v19, v84
	s_wait_alu 0xfffe
	s_or_b32 exec_lo, exec_lo, s1
	s_mov_b32 s1, exec_lo
	v_cmpx_gt_u32_e64 s0, v54
	s_cbranch_execz .LBB1463_929
.LBB1463_944:                           ;   in Loop: Header=BB1463_899 Depth=2
	v_cmp_lt_i32_e32 vcc_lo, -1, v10
	s_wait_alu 0xfffd
	v_cndmask_b32_e64 v19, -1, 0x80000000, vcc_lo
	s_delay_alu instid0(VALU_DEP_1) | instskip(NEXT) | instid1(VALU_DEP_1)
	v_xor_b32_e32 v19, v19, v10
	v_cmp_ne_u32_e32 vcc_lo, 0x7fffffff, v19
	s_wait_alu 0xfffd
	v_cndmask_b32_e32 v19, 0x80000000, v19, vcc_lo
	s_delay_alu instid0(VALU_DEP_1) | instskip(NEXT) | instid1(VALU_DEP_1)
	v_lshrrev_b32_e32 v19, s49, v19
	v_and_b32_e32 v19, s48, v19
	s_delay_alu instid0(VALU_DEP_1) | instskip(SKIP_3) | instid1(SALU_CYCLE_1)
	v_lshl_or_b32 v19, v19, 4, v62
	ds_add_u32 v19, v84
	s_wait_alu 0xfffe
	s_or_b32 exec_lo, exec_lo, s1
	s_mov_b32 s1, exec_lo
	v_cmpx_gt_u32_e64 s0, v55
	s_cbranch_execz .LBB1463_930
.LBB1463_945:                           ;   in Loop: Header=BB1463_899 Depth=2
	v_cmp_lt_i32_e32 vcc_lo, -1, v9
	s_wait_alu 0xfffd
	v_cndmask_b32_e64 v19, -1, 0x80000000, vcc_lo
	s_delay_alu instid0(VALU_DEP_1) | instskip(NEXT) | instid1(VALU_DEP_1)
	v_xor_b32_e32 v19, v19, v9
	v_cmp_ne_u32_e32 vcc_lo, 0x7fffffff, v19
	s_wait_alu 0xfffd
	v_cndmask_b32_e32 v19, 0x80000000, v19, vcc_lo
	s_delay_alu instid0(VALU_DEP_1) | instskip(NEXT) | instid1(VALU_DEP_1)
	v_lshrrev_b32_e32 v19, s49, v19
	v_and_b32_e32 v19, s48, v19
	s_delay_alu instid0(VALU_DEP_1) | instskip(SKIP_3) | instid1(SALU_CYCLE_1)
	v_lshl_or_b32 v19, v19, 4, v62
	ds_add_u32 v19, v84
	s_wait_alu 0xfffe
	s_or_b32 exec_lo, exec_lo, s1
	s_mov_b32 s1, exec_lo
	v_cmpx_gt_u32_e64 s0, v56
	s_cbranch_execz .LBB1463_931
.LBB1463_946:                           ;   in Loop: Header=BB1463_899 Depth=2
	v_cmp_lt_i32_e32 vcc_lo, -1, v8
	s_wait_alu 0xfffd
	v_cndmask_b32_e64 v19, -1, 0x80000000, vcc_lo
	s_delay_alu instid0(VALU_DEP_1) | instskip(NEXT) | instid1(VALU_DEP_1)
	v_xor_b32_e32 v19, v19, v8
	v_cmp_ne_u32_e32 vcc_lo, 0x7fffffff, v19
	s_wait_alu 0xfffd
	v_cndmask_b32_e32 v19, 0x80000000, v19, vcc_lo
	s_delay_alu instid0(VALU_DEP_1) | instskip(NEXT) | instid1(VALU_DEP_1)
	v_lshrrev_b32_e32 v19, s49, v19
	v_and_b32_e32 v19, s48, v19
	s_delay_alu instid0(VALU_DEP_1) | instskip(SKIP_3) | instid1(SALU_CYCLE_1)
	v_lshl_or_b32 v19, v19, 4, v62
	ds_add_u32 v19, v84
	s_wait_alu 0xfffe
	s_or_b32 exec_lo, exec_lo, s1
	s_mov_b32 s1, exec_lo
	v_cmpx_gt_u32_e64 s0, v57
	s_cbranch_execz .LBB1463_932
.LBB1463_947:                           ;   in Loop: Header=BB1463_899 Depth=2
	v_cmp_lt_i32_e32 vcc_lo, -1, v7
	s_wait_alu 0xfffd
	v_cndmask_b32_e64 v19, -1, 0x80000000, vcc_lo
	s_delay_alu instid0(VALU_DEP_1) | instskip(NEXT) | instid1(VALU_DEP_1)
	v_xor_b32_e32 v19, v19, v7
	v_cmp_ne_u32_e32 vcc_lo, 0x7fffffff, v19
	s_wait_alu 0xfffd
	v_cndmask_b32_e32 v19, 0x80000000, v19, vcc_lo
	s_delay_alu instid0(VALU_DEP_1) | instskip(NEXT) | instid1(VALU_DEP_1)
	v_lshrrev_b32_e32 v19, s49, v19
	v_and_b32_e32 v19, s48, v19
	s_delay_alu instid0(VALU_DEP_1) | instskip(SKIP_3) | instid1(SALU_CYCLE_1)
	v_lshl_or_b32 v19, v19, 4, v62
	ds_add_u32 v19, v84
	s_wait_alu 0xfffe
	s_or_b32 exec_lo, exec_lo, s1
	s_mov_b32 s1, exec_lo
	v_cmpx_gt_u32_e64 s0, v58
	s_cbranch_execz .LBB1463_933
.LBB1463_948:                           ;   in Loop: Header=BB1463_899 Depth=2
	v_cmp_lt_i32_e32 vcc_lo, -1, v6
	s_wait_alu 0xfffd
	v_cndmask_b32_e64 v19, -1, 0x80000000, vcc_lo
	s_delay_alu instid0(VALU_DEP_1) | instskip(NEXT) | instid1(VALU_DEP_1)
	v_xor_b32_e32 v19, v19, v6
	v_cmp_ne_u32_e32 vcc_lo, 0x7fffffff, v19
	s_wait_alu 0xfffd
	v_cndmask_b32_e32 v19, 0x80000000, v19, vcc_lo
	s_delay_alu instid0(VALU_DEP_1) | instskip(NEXT) | instid1(VALU_DEP_1)
	v_lshrrev_b32_e32 v19, s49, v19
	v_and_b32_e32 v19, s48, v19
	s_delay_alu instid0(VALU_DEP_1) | instskip(SKIP_3) | instid1(SALU_CYCLE_1)
	v_lshl_or_b32 v19, v19, 4, v62
	ds_add_u32 v19, v84
	s_wait_alu 0xfffe
	s_or_b32 exec_lo, exec_lo, s1
	s_mov_b32 s1, exec_lo
	v_cmpx_gt_u32_e64 s0, v59
	s_cbranch_execz .LBB1463_934
.LBB1463_949:                           ;   in Loop: Header=BB1463_899 Depth=2
	v_cmp_lt_i32_e32 vcc_lo, -1, v5
	s_wait_alu 0xfffd
	v_cndmask_b32_e64 v19, -1, 0x80000000, vcc_lo
	s_delay_alu instid0(VALU_DEP_1) | instskip(NEXT) | instid1(VALU_DEP_1)
	v_xor_b32_e32 v19, v19, v5
	v_cmp_ne_u32_e32 vcc_lo, 0x7fffffff, v19
	s_wait_alu 0xfffd
	v_cndmask_b32_e32 v19, 0x80000000, v19, vcc_lo
	s_delay_alu instid0(VALU_DEP_1) | instskip(NEXT) | instid1(VALU_DEP_1)
	v_lshrrev_b32_e32 v19, s49, v19
	v_and_b32_e32 v19, s48, v19
	s_delay_alu instid0(VALU_DEP_1) | instskip(SKIP_3) | instid1(SALU_CYCLE_1)
	v_lshl_or_b32 v19, v19, 4, v62
	ds_add_u32 v19, v84
	s_wait_alu 0xfffe
	s_or_b32 exec_lo, exec_lo, s1
	s_mov_b32 s1, exec_lo
	v_cmpx_gt_u32_e64 s0, v60
	s_cbranch_execz .LBB1463_935
.LBB1463_950:                           ;   in Loop: Header=BB1463_899 Depth=2
	v_cmp_lt_i32_e32 vcc_lo, -1, v4
	s_wait_alu 0xfffd
	v_cndmask_b32_e64 v19, -1, 0x80000000, vcc_lo
	s_delay_alu instid0(VALU_DEP_1) | instskip(NEXT) | instid1(VALU_DEP_1)
	v_xor_b32_e32 v19, v19, v4
	v_cmp_ne_u32_e32 vcc_lo, 0x7fffffff, v19
	s_wait_alu 0xfffd
	v_cndmask_b32_e32 v19, 0x80000000, v19, vcc_lo
	s_delay_alu instid0(VALU_DEP_1) | instskip(NEXT) | instid1(VALU_DEP_1)
	v_lshrrev_b32_e32 v19, s49, v19
	v_and_b32_e32 v19, s48, v19
	s_delay_alu instid0(VALU_DEP_1)
	v_lshl_or_b32 v19, v19, 4, v62
	ds_add_u32 v19, v84
	s_wait_alu 0xfffe
	s_or_b32 exec_lo, exec_lo, s1
	v_cmp_gt_u32_e32 vcc_lo, s0, v61
	s_and_saveexec_b32 s0, vcc_lo
	s_cbranch_execz .LBB1463_898
.LBB1463_951:                           ;   in Loop: Header=BB1463_899 Depth=2
	v_cmp_lt_i32_e32 vcc_lo, -1, v2
	s_wait_alu 0xfffd
	v_cndmask_b32_e64 v19, -1, 0x80000000, vcc_lo
	s_delay_alu instid0(VALU_DEP_1) | instskip(NEXT) | instid1(VALU_DEP_1)
	v_xor_b32_e32 v19, v19, v2
	v_cmp_ne_u32_e32 vcc_lo, 0x7fffffff, v19
	s_wait_alu 0xfffd
	v_cndmask_b32_e32 v19, 0x80000000, v19, vcc_lo
	s_delay_alu instid0(VALU_DEP_1) | instskip(NEXT) | instid1(VALU_DEP_1)
	v_lshrrev_b32_e32 v19, s49, v19
	v_and_b32_e32 v19, s48, v19
	s_delay_alu instid0(VALU_DEP_1)
	v_lshl_or_b32 v19, v19, 4, v62
	ds_add_u32 v19, v84
	s_branch .LBB1463_898
.LBB1463_952:                           ;   in Loop: Header=BB1463_899 Depth=2
	global_load_b32 v18, v108, s[0:1]
	s_or_b32 exec_lo, exec_lo, s11
	s_delay_alu instid0(SALU_CYCLE_1)
	s_mov_b32 s11, exec_lo
	v_cmpx_gt_u32_e64 s9, v45
	s_cbranch_execz .LBB1463_904
.LBB1463_953:                           ;   in Loop: Header=BB1463_899 Depth=2
	global_load_b32 v17, v108, s[0:1] offset:1024
	s_wait_alu 0xfffe
	s_or_b32 exec_lo, exec_lo, s11
	s_delay_alu instid0(SALU_CYCLE_1)
	s_mov_b32 s11, exec_lo
	v_cmpx_gt_u32_e64 s9, v46
	s_cbranch_execz .LBB1463_905
.LBB1463_954:                           ;   in Loop: Header=BB1463_899 Depth=2
	global_load_b32 v16, v108, s[0:1] offset:2048
	s_wait_alu 0xfffe
	s_or_b32 exec_lo, exec_lo, s11
	s_delay_alu instid0(SALU_CYCLE_1)
	s_mov_b32 s11, exec_lo
	v_cmpx_gt_u32_e64 s9, v47
	s_cbranch_execz .LBB1463_906
.LBB1463_955:                           ;   in Loop: Header=BB1463_899 Depth=2
	global_load_b32 v15, v108, s[0:1] offset:3072
	s_wait_alu 0xfffe
	s_or_b32 exec_lo, exec_lo, s11
	s_delay_alu instid0(SALU_CYCLE_1)
	s_mov_b32 s11, exec_lo
	v_cmpx_gt_u32_e64 s9, v50
	s_cbranch_execz .LBB1463_907
.LBB1463_956:                           ;   in Loop: Header=BB1463_899 Depth=2
	global_load_b32 v14, v108, s[0:1] offset:4096
	s_wait_alu 0xfffe
	s_or_b32 exec_lo, exec_lo, s11
	s_delay_alu instid0(SALU_CYCLE_1)
	s_mov_b32 s11, exec_lo
	v_cmpx_gt_u32_e64 s9, v51
	s_cbranch_execz .LBB1463_908
.LBB1463_957:                           ;   in Loop: Header=BB1463_899 Depth=2
	global_load_b32 v13, v108, s[0:1] offset:5120
	s_wait_alu 0xfffe
	s_or_b32 exec_lo, exec_lo, s11
	s_delay_alu instid0(SALU_CYCLE_1)
	s_mov_b32 s11, exec_lo
	v_cmpx_gt_u32_e64 s9, v52
	s_cbranch_execz .LBB1463_909
.LBB1463_958:                           ;   in Loop: Header=BB1463_899 Depth=2
	global_load_b32 v12, v108, s[0:1] offset:6144
	s_wait_alu 0xfffe
	s_or_b32 exec_lo, exec_lo, s11
	s_delay_alu instid0(SALU_CYCLE_1)
	s_mov_b32 s11, exec_lo
	v_cmpx_gt_u32_e64 s9, v53
	s_cbranch_execz .LBB1463_910
.LBB1463_959:                           ;   in Loop: Header=BB1463_899 Depth=2
	global_load_b32 v11, v108, s[0:1] offset:7168
	s_wait_alu 0xfffe
	s_or_b32 exec_lo, exec_lo, s11
	s_delay_alu instid0(SALU_CYCLE_1)
	s_mov_b32 s11, exec_lo
	v_cmpx_gt_u32_e64 s9, v54
	s_cbranch_execz .LBB1463_911
.LBB1463_960:                           ;   in Loop: Header=BB1463_899 Depth=2
	global_load_b32 v10, v108, s[0:1] offset:8192
	s_wait_alu 0xfffe
	s_or_b32 exec_lo, exec_lo, s11
	s_delay_alu instid0(SALU_CYCLE_1)
	s_mov_b32 s11, exec_lo
	v_cmpx_gt_u32_e64 s9, v55
	s_cbranch_execz .LBB1463_912
.LBB1463_961:                           ;   in Loop: Header=BB1463_899 Depth=2
	global_load_b32 v9, v108, s[0:1] offset:9216
	s_wait_alu 0xfffe
	s_or_b32 exec_lo, exec_lo, s11
	s_delay_alu instid0(SALU_CYCLE_1)
	s_mov_b32 s11, exec_lo
	v_cmpx_gt_u32_e64 s9, v56
	s_cbranch_execz .LBB1463_913
.LBB1463_962:                           ;   in Loop: Header=BB1463_899 Depth=2
	global_load_b32 v8, v108, s[0:1] offset:10240
	s_wait_alu 0xfffe
	s_or_b32 exec_lo, exec_lo, s11
	s_delay_alu instid0(SALU_CYCLE_1)
	s_mov_b32 s11, exec_lo
	v_cmpx_gt_u32_e64 s9, v57
	s_cbranch_execz .LBB1463_914
.LBB1463_963:                           ;   in Loop: Header=BB1463_899 Depth=2
	global_load_b32 v7, v108, s[0:1] offset:11264
	s_wait_alu 0xfffe
	s_or_b32 exec_lo, exec_lo, s11
	s_delay_alu instid0(SALU_CYCLE_1)
	s_mov_b32 s11, exec_lo
	v_cmpx_gt_u32_e64 s9, v58
	s_cbranch_execz .LBB1463_915
.LBB1463_964:                           ;   in Loop: Header=BB1463_899 Depth=2
	global_load_b32 v6, v108, s[0:1] offset:12288
	s_wait_alu 0xfffe
	s_or_b32 exec_lo, exec_lo, s11
	s_delay_alu instid0(SALU_CYCLE_1)
	s_mov_b32 s11, exec_lo
	v_cmpx_gt_u32_e64 s9, v59
	s_cbranch_execz .LBB1463_916
.LBB1463_965:                           ;   in Loop: Header=BB1463_899 Depth=2
	global_load_b32 v5, v108, s[0:1] offset:13312
	s_wait_alu 0xfffe
	s_or_b32 exec_lo, exec_lo, s11
	s_delay_alu instid0(SALU_CYCLE_1)
	s_mov_b32 s11, exec_lo
	v_cmpx_gt_u32_e64 s9, v60
	s_cbranch_execz .LBB1463_917
.LBB1463_966:                           ;   in Loop: Header=BB1463_899 Depth=2
	global_load_b32 v4, v108, s[0:1] offset:14336
	s_wait_alu 0xfffe
	s_or_b32 exec_lo, exec_lo, s11
	s_delay_alu instid0(SALU_CYCLE_1)
	s_mov_b32 s11, exec_lo
	v_cmpx_gt_u32_e64 s9, v61
	s_cbranch_execnz .LBB1463_918
	s_branch .LBB1463_919
.LBB1463_967:                           ;   in Loop: Header=BB1463_17 Depth=1
	v_mov_b32_e32 v2, 0
	s_wait_dscnt 0x0
	s_barrier_signal -1
	s_barrier_wait -1
	global_inv scope:SCOPE_SE
	s_and_saveexec_b32 s0, s2
	s_cbranch_execz .LBB1463_969
; %bb.968:                              ;   in Loop: Header=BB1463_17 Depth=1
	ds_load_2addr_b64 v[4:7], v64 offset1:1
	s_wait_dscnt 0x0
	v_add_nc_u32_e32 v2, v5, v4
	s_delay_alu instid0(VALU_DEP_1)
	v_add3_u32 v2, v2, v6, v7
.LBB1463_969:                           ;   in Loop: Header=BB1463_17 Depth=1
	s_wait_alu 0xfffe
	s_or_b32 exec_lo, exec_lo, s0
	s_delay_alu instid0(VALU_DEP_1)
	v_mov_b32_dpp v4, v2 row_shr:1 row_mask:0xf bank_mask:0xf
	v_cmp_eq_u32_e64 s0, 0, v85
	v_cmp_lt_u32_e64 s1, 1, v85
	v_cmp_lt_u32_e64 s9, 3, v85
	;; [unrolled: 1-line block ×3, first 2 shown]
	v_cmp_eq_u32_e64 s11, 0, v87
	s_wait_alu 0xf1ff
	v_cndmask_b32_e64 v4, v4, 0, s0
	s_delay_alu instid0(VALU_DEP_1) | instskip(NEXT) | instid1(VALU_DEP_1)
	v_add_nc_u32_e32 v2, v4, v2
	v_mov_b32_dpp v4, v2 row_shr:2 row_mask:0xf bank_mask:0xf
	s_delay_alu instid0(VALU_DEP_1) | instskip(NEXT) | instid1(VALU_DEP_1)
	v_cndmask_b32_e64 v4, 0, v4, s1
	v_add_nc_u32_e32 v2, v2, v4
	s_delay_alu instid0(VALU_DEP_1) | instskip(NEXT) | instid1(VALU_DEP_1)
	v_mov_b32_dpp v4, v2 row_shr:4 row_mask:0xf bank_mask:0xf
	v_cndmask_b32_e64 v4, 0, v4, s9
	s_delay_alu instid0(VALU_DEP_1) | instskip(NEXT) | instid1(VALU_DEP_1)
	v_add_nc_u32_e32 v2, v2, v4
	v_mov_b32_dpp v4, v2 row_shr:8 row_mask:0xf bank_mask:0xf
	s_delay_alu instid0(VALU_DEP_1) | instskip(NEXT) | instid1(VALU_DEP_1)
	v_cndmask_b32_e64 v4, 0, v4, s10
	v_add_nc_u32_e32 v2, v2, v4
	ds_swizzle_b32 v4, v2 offset:swizzle(BROADCAST,32,15)
	s_wait_dscnt 0x0
	v_and_b32_e32 v4, v86, v4
	s_delay_alu instid0(VALU_DEP_1)
	v_add_nc_u32_e32 v2, v2, v4
	s_and_saveexec_b32 s12, s3
; %bb.970:                              ;   in Loop: Header=BB1463_17 Depth=1
	ds_store_b32 v65, v2
; %bb.971:                              ;   in Loop: Header=BB1463_17 Depth=1
	s_wait_alu 0xfffe
	s_or_b32 exec_lo, exec_lo, s12
	s_wait_loadcnt_dscnt 0x0
	s_barrier_signal -1
	s_barrier_wait -1
	global_inv scope:SCOPE_SE
	s_and_saveexec_b32 s12, s4
	s_cbranch_execz .LBB1463_973
; %bb.972:                              ;   in Loop: Header=BB1463_17 Depth=1
	ds_load_b32 v4, v66
	v_cmp_ne_u32_e32 vcc_lo, 0, v89
	s_wait_dscnt 0x0
	v_mov_b32_dpp v5, v4 row_shr:1 row_mask:0xf bank_mask:0xf
	s_wait_alu 0xfffd
	s_delay_alu instid0(VALU_DEP_1) | instskip(SKIP_1) | instid1(VALU_DEP_2)
	v_cndmask_b32_e32 v5, 0, v5, vcc_lo
	v_cmp_lt_u32_e32 vcc_lo, 1, v89
	v_add_nc_u32_e32 v4, v5, v4
	s_delay_alu instid0(VALU_DEP_1) | instskip(SKIP_1) | instid1(VALU_DEP_1)
	v_mov_b32_dpp v5, v4 row_shr:2 row_mask:0xf bank_mask:0xf
	s_wait_alu 0xfffd
	v_cndmask_b32_e32 v5, 0, v5, vcc_lo
	v_cmp_lt_u32_e32 vcc_lo, 3, v89
	s_delay_alu instid0(VALU_DEP_2) | instskip(NEXT) | instid1(VALU_DEP_1)
	v_add_nc_u32_e32 v4, v4, v5
	v_mov_b32_dpp v5, v4 row_shr:4 row_mask:0xf bank_mask:0xf
	s_wait_alu 0xfffd
	s_delay_alu instid0(VALU_DEP_1) | instskip(NEXT) | instid1(VALU_DEP_1)
	v_cndmask_b32_e32 v5, 0, v5, vcc_lo
	v_add_nc_u32_e32 v4, v4, v5
	ds_store_b32 v66, v4
.LBB1463_973:                           ;   in Loop: Header=BB1463_17 Depth=1
	s_wait_alu 0xfffe
	s_or_b32 exec_lo, exec_lo, s12
	v_mov_b32_e32 v4, 0
	s_wait_loadcnt_dscnt 0x0
	s_barrier_signal -1
	s_barrier_wait -1
	global_inv scope:SCOPE_SE
	s_and_saveexec_b32 s12, s5
; %bb.974:                              ;   in Loop: Header=BB1463_17 Depth=1
	ds_load_b32 v4, v68
; %bb.975:                              ;   in Loop: Header=BB1463_17 Depth=1
	s_wait_alu 0xfffe
	s_or_b32 exec_lo, exec_lo, s12
	v_cmp_gt_i32_e32 vcc_lo, 0, v90
	s_wait_loadcnt_dscnt 0x0
	s_barrier_signal -1
	s_barrier_wait -1
	global_inv scope:SCOPE_SE
	s_wait_alu 0xfffd
	v_dual_cndmask_b32 v5, v90, v81 :: v_dual_add_nc_u32 v2, v4, v2
	s_delay_alu instid0(VALU_DEP_1)
	v_lshlrev_b32_e32 v113, 2, v5
	ds_bpermute_b32 v2, v113, v2
	s_and_saveexec_b32 s12, s2
	s_cbranch_execz .LBB1463_977
; %bb.976:                              ;   in Loop: Header=BB1463_17 Depth=1
	s_wait_dscnt 0x0
	v_cndmask_b32_e64 v2, v2, v4, s8
	s_delay_alu instid0(VALU_DEP_1)
	v_add_nc_u32_e32 v2, s33, v2
	ds_store_b32 v44, v2
.LBB1463_977:                           ;   in Loop: Header=BB1463_17 Depth=1
	s_wait_alu 0xfffe
	s_or_b32 exec_lo, exec_lo, s12
	s_load_b64 s[12:13], s[34:35], 0x0
	v_add_co_u32 v114, vcc_lo, v79, v91
	s_wait_alu 0xfffd
	v_add_co_ci_u32_e64 v115, null, 0, v80, vcc_lo
	v_add_co_u32 v116, vcc_lo, v82, v107
	s_wait_alu 0xfffd
	v_add_co_ci_u32_e64 v117, null, 0, v83, vcc_lo
	s_mov_b32 s54, s53
                                        ; implicit-def: $vgpr6_vgpr7
                                        ; implicit-def: $vgpr8_vgpr9
                                        ; implicit-def: $vgpr10_vgpr11
                                        ; implicit-def: $vgpr12_vgpr13
                                        ; implicit-def: $vgpr14_vgpr15
                                        ; implicit-def: $vgpr16_vgpr17
                                        ; implicit-def: $vgpr18_vgpr19
                                        ; implicit-def: $vgpr20_vgpr21
                                        ; implicit-def: $vgpr22_vgpr23
                                        ; implicit-def: $vgpr24_vgpr25
                                        ; implicit-def: $vgpr26_vgpr27
                                        ; implicit-def: $vgpr28_vgpr29
                                        ; implicit-def: $vgpr30_vgpr31
                                        ; implicit-def: $vgpr32_vgpr33
                                        ; implicit-def: $vgpr34_vgpr35
                                        ; implicit-def: $vgpr119
                                        ; implicit-def: $vgpr120
                                        ; implicit-def: $vgpr121
                                        ; implicit-def: $vgpr122
                                        ; implicit-def: $vgpr123
                                        ; implicit-def: $vgpr124
                                        ; implicit-def: $vgpr125
                                        ; implicit-def: $vgpr126
                                        ; implicit-def: $vgpr127
                                        ; implicit-def: $vgpr128
                                        ; implicit-def: $vgpr129
                                        ; implicit-def: $vgpr130
                                        ; implicit-def: $vgpr131
                                        ; implicit-def: $vgpr132
                                        ; implicit-def: $vgpr133
                                        ; implicit-def: $vgpr134
	s_wait_kmcnt 0x0
	s_cmp_lt_u32 ttmp7, s13
	s_cselect_b32 s42, 14, 20
	s_cmp_lt_u32 ttmp9, s12
	s_wait_alu 0xfffe
	s_add_nc_u64 s[14:15], s[34:35], s[42:43]
	s_cselect_b32 s42, 12, 18
	s_load_u16 s14, s[14:15], 0x0
	s_add_nc_u64 s[12:13], s[34:35], s[42:43]
	s_mov_b32 s42, s33
	s_load_u16 s12, s[12:13], 0x0
	v_cmp_lt_u32_e64 s13, 1, v89
	s_wait_dscnt 0x0
	s_wait_kmcnt 0x0
	v_mad_u32_u24 v2, v69, s14, v0
	v_cmp_lt_u32_e64 s14, 3, v89
	s_delay_alu instid0(VALU_DEP_2) | instskip(SKIP_1) | instid1(VALU_DEP_2)
	v_mad_co_u64_u32 v[4:5], null, v2, s12, v[1:2]
	v_cmp_eq_u32_e64 s12, 0, v89
	v_lshrrev_b32_e32 v2, 3, v4
                                        ; implicit-def: $vgpr4_vgpr5
	s_delay_alu instid0(VALU_DEP_1)
	v_and_b32_e32 v118, 0x1ffffffc, v2
	s_branch .LBB1463_979
.LBB1463_978:                           ;   in Loop: Header=BB1463_979 Depth=2
	s_wait_alu 0xfffe
	s_or_b32 exec_lo, exec_lo, s15
	s_addk_co_i32 s54, 0xf000
	s_cmp_lt_u32 s55, s51
	s_mov_b32 s42, s55
	s_cbranch_scc0 .LBB1463_15
.LBB1463_979:                           ;   Parent Loop BB1463_17 Depth=1
                                        ; =>  This Inner Loop Header: Depth=2
	s_wait_alu 0xfffe
	s_add_co_i32 s55, s42, 0x1000
	s_wait_alu 0xfffe
	s_cmp_gt_u32 s55, s51
	s_cbranch_scc1 .LBB1463_981
; %bb.980:                              ;   in Loop: Header=BB1463_979 Depth=2
	s_lshl_b64 s[16:17], s[42:43], 2
	s_mov_b32 s15, -1
	s_wait_alu 0xfffe
	v_add_co_u32 v36, vcc_lo, v116, s16
	s_wait_alu 0xfffd
	v_add_co_ci_u32_e64 v37, null, s17, v117, vcc_lo
	s_clause 0xe
	global_load_b32 v2, v[36:37], off
	global_load_b32 v136, v[36:37], off offset:128
	global_load_b32 v143, v[36:37], off offset:256
	;; [unrolled: 1-line block ×14, first 2 shown]
	s_movk_i32 s16, 0x1000
	s_cbranch_execz .LBB1463_982
	s_branch .LBB1463_1013
.LBB1463_981:                           ;   in Loop: Header=BB1463_979 Depth=2
	s_mov_b32 s15, 0
                                        ; implicit-def: $vgpr2
                                        ; implicit-def: $vgpr136
                                        ; implicit-def: $vgpr143
                                        ; implicit-def: $vgpr147
                                        ; implicit-def: $vgpr151
                                        ; implicit-def: $vgpr155
                                        ; implicit-def: $vgpr159
                                        ; implicit-def: $vgpr163
                                        ; implicit-def: $vgpr166
                                        ; implicit-def: $vgpr43
                                        ; implicit-def: $vgpr42
                                        ; implicit-def: $vgpr41
                                        ; implicit-def: $vgpr40
                                        ; implicit-def: $vgpr39
                                        ; implicit-def: $vgpr38
	s_movk_i32 s16, 0x1000
.LBB1463_982:                           ;   in Loop: Header=BB1463_979 Depth=2
	s_lshl_b64 s[16:17], s[42:43], 2
	s_wait_loadcnt 0xd
	v_bfrev_b32_e32 v136, -2
	s_wait_alu 0xfffe
	v_add_co_u32 v36, vcc_lo, v116, s16
	s_wait_alu 0xfffd
	v_add_co_ci_u32_e64 v37, null, s17, v117, vcc_lo
	v_bfrev_b32_e32 v2, -2
	s_mov_b32 s15, exec_lo
	v_cmpx_gt_u32_e64 s54, v88
	s_cbranch_execz .LBB1463_984
; %bb.983:                              ;   in Loop: Header=BB1463_979 Depth=2
	global_load_b32 v2, v[36:37], off
.LBB1463_984:                           ;   in Loop: Header=BB1463_979 Depth=2
	s_wait_alu 0xfffe
	s_or_b32 exec_lo, exec_lo, s15
	s_delay_alu instid0(SALU_CYCLE_1)
	s_mov_b32 s15, exec_lo
	v_cmpx_gt_u32_e64 s54, v92
	s_cbranch_execz .LBB1463_986
; %bb.985:                              ;   in Loop: Header=BB1463_979 Depth=2
	global_load_b32 v136, v[36:37], off offset:128
.LBB1463_986:                           ;   in Loop: Header=BB1463_979 Depth=2
	s_wait_alu 0xfffe
	s_or_b32 exec_lo, exec_lo, s15
	s_wait_loadcnt 0xb
	v_bfrev_b32_e32 v147, -2
	v_bfrev_b32_e32 v143, -2
	s_mov_b32 s15, exec_lo
	v_cmpx_gt_u32_e64 s54, v93
	s_cbranch_execz .LBB1463_988
; %bb.987:                              ;   in Loop: Header=BB1463_979 Depth=2
	global_load_b32 v143, v[36:37], off offset:256
.LBB1463_988:                           ;   in Loop: Header=BB1463_979 Depth=2
	s_wait_alu 0xfffe
	s_or_b32 exec_lo, exec_lo, s15
	s_delay_alu instid0(SALU_CYCLE_1)
	s_mov_b32 s15, exec_lo
	v_cmpx_gt_u32_e64 s54, v94
	s_cbranch_execz .LBB1463_990
; %bb.989:                              ;   in Loop: Header=BB1463_979 Depth=2
	global_load_b32 v147, v[36:37], off offset:384
.LBB1463_990:                           ;   in Loop: Header=BB1463_979 Depth=2
	s_wait_alu 0xfffe
	s_or_b32 exec_lo, exec_lo, s15
	s_wait_loadcnt 0x9
	v_bfrev_b32_e32 v155, -2
	v_bfrev_b32_e32 v151, -2
	s_mov_b32 s15, exec_lo
	v_cmpx_gt_u32_e64 s54, v95
	s_cbranch_execz .LBB1463_992
; %bb.991:                              ;   in Loop: Header=BB1463_979 Depth=2
	global_load_b32 v151, v[36:37], off offset:512
.LBB1463_992:                           ;   in Loop: Header=BB1463_979 Depth=2
	s_wait_alu 0xfffe
	s_or_b32 exec_lo, exec_lo, s15
	s_delay_alu instid0(SALU_CYCLE_1)
	s_mov_b32 s15, exec_lo
	v_cmpx_gt_u32_e64 s54, v96
	s_cbranch_execz .LBB1463_994
; %bb.993:                              ;   in Loop: Header=BB1463_979 Depth=2
	global_load_b32 v155, v[36:37], off offset:640
.LBB1463_994:                           ;   in Loop: Header=BB1463_979 Depth=2
	s_wait_alu 0xfffe
	s_or_b32 exec_lo, exec_lo, s15
	s_wait_loadcnt 0x7
	v_bfrev_b32_e32 v163, -2
	v_bfrev_b32_e32 v159, -2
	s_mov_b32 s15, exec_lo
	v_cmpx_gt_u32_e64 s54, v97
	s_cbranch_execz .LBB1463_996
; %bb.995:                              ;   in Loop: Header=BB1463_979 Depth=2
	global_load_b32 v159, v[36:37], off offset:768
.LBB1463_996:                           ;   in Loop: Header=BB1463_979 Depth=2
	s_wait_alu 0xfffe
	s_or_b32 exec_lo, exec_lo, s15
	s_delay_alu instid0(SALU_CYCLE_1)
	s_mov_b32 s15, exec_lo
	v_cmpx_gt_u32_e64 s54, v98
	s_cbranch_execz .LBB1463_998
; %bb.997:                              ;   in Loop: Header=BB1463_979 Depth=2
	global_load_b32 v163, v[36:37], off offset:896
.LBB1463_998:                           ;   in Loop: Header=BB1463_979 Depth=2
	s_wait_alu 0xfffe
	s_or_b32 exec_lo, exec_lo, s15
	s_wait_loadcnt 0x5
	v_bfrev_b32_e32 v43, -2
	v_bfrev_b32_e32 v166, -2
	s_mov_b32 s15, exec_lo
	v_cmpx_gt_u32_e64 s54, v99
	s_cbranch_execz .LBB1463_1000
; %bb.999:                              ;   in Loop: Header=BB1463_979 Depth=2
	global_load_b32 v166, v[36:37], off offset:1024
.LBB1463_1000:                          ;   in Loop: Header=BB1463_979 Depth=2
	s_wait_alu 0xfffe
	s_or_b32 exec_lo, exec_lo, s15
	s_delay_alu instid0(SALU_CYCLE_1)
	s_mov_b32 s15, exec_lo
	v_cmpx_gt_u32_e64 s54, v100
	s_cbranch_execz .LBB1463_1002
; %bb.1001:                             ;   in Loop: Header=BB1463_979 Depth=2
	global_load_b32 v43, v[36:37], off offset:1152
.LBB1463_1002:                          ;   in Loop: Header=BB1463_979 Depth=2
	s_wait_alu 0xfffe
	s_or_b32 exec_lo, exec_lo, s15
	s_wait_loadcnt 0x3
	v_bfrev_b32_e32 v41, -2
	v_bfrev_b32_e32 v42, -2
	s_mov_b32 s15, exec_lo
	v_cmpx_gt_u32_e64 s54, v101
	s_cbranch_execz .LBB1463_1004
; %bb.1003:                             ;   in Loop: Header=BB1463_979 Depth=2
	global_load_b32 v42, v[36:37], off offset:1280
.LBB1463_1004:                          ;   in Loop: Header=BB1463_979 Depth=2
	s_wait_alu 0xfffe
	s_or_b32 exec_lo, exec_lo, s15
	s_delay_alu instid0(SALU_CYCLE_1)
	s_mov_b32 s15, exec_lo
	v_cmpx_gt_u32_e64 s54, v102
	s_cbranch_execz .LBB1463_1006
; %bb.1005:                             ;   in Loop: Header=BB1463_979 Depth=2
	global_load_b32 v41, v[36:37], off offset:1408
.LBB1463_1006:                          ;   in Loop: Header=BB1463_979 Depth=2
	s_wait_alu 0xfffe
	s_or_b32 exec_lo, exec_lo, s15
	s_wait_loadcnt 0x1
	v_bfrev_b32_e32 v39, -2
	v_bfrev_b32_e32 v40, -2
	s_mov_b32 s15, exec_lo
	v_cmpx_gt_u32_e64 s54, v103
	s_cbranch_execz .LBB1463_1008
; %bb.1007:                             ;   in Loop: Header=BB1463_979 Depth=2
	global_load_b32 v40, v[36:37], off offset:1536
.LBB1463_1008:                          ;   in Loop: Header=BB1463_979 Depth=2
	s_wait_alu 0xfffe
	s_or_b32 exec_lo, exec_lo, s15
	s_delay_alu instid0(SALU_CYCLE_1)
	s_mov_b32 s15, exec_lo
	v_cmpx_gt_u32_e64 s54, v104
	s_cbranch_execz .LBB1463_1010
; %bb.1009:                             ;   in Loop: Header=BB1463_979 Depth=2
	global_load_b32 v39, v[36:37], off offset:1664
.LBB1463_1010:                          ;   in Loop: Header=BB1463_979 Depth=2
	s_wait_alu 0xfffe
	s_or_b32 exec_lo, exec_lo, s15
	s_wait_loadcnt 0x0
	v_bfrev_b32_e32 v38, -2
	s_mov_b32 s15, exec_lo
	v_cmpx_gt_u32_e64 s54, v105
	s_cbranch_execz .LBB1463_1012
; %bb.1011:                             ;   in Loop: Header=BB1463_979 Depth=2
	global_load_b32 v38, v[36:37], off offset:1792
.LBB1463_1012:                          ;   in Loop: Header=BB1463_979 Depth=2
	s_wait_alu 0xfffe
	s_or_b32 exec_lo, exec_lo, s15
	v_cmp_gt_u32_e64 s15, s54, v106
	s_sub_co_i32 s16, s51, s42
.LBB1463_1013:                          ;   in Loop: Header=BB1463_979 Depth=2
	v_bfrev_b32_e32 v36, -2
	v_mov_b32_e32 v135, s54
	s_and_saveexec_b32 s17, s15
	s_cbranch_execz .LBB1463_1015
; %bb.1014:                             ;   in Loop: Header=BB1463_979 Depth=2
	s_lshl_b64 s[18:19], s[42:43], 2
	s_wait_alu 0xfffe
	v_mov_b32_e32 v135, s16
	v_add_co_u32 v36, vcc_lo, v116, s18
	s_wait_alu 0xfffd
	v_add_co_ci_u32_e64 v37, null, s19, v117, vcc_lo
	global_load_b32 v36, v[36:37], off offset:1920
.LBB1463_1015:                          ;   in Loop: Header=BB1463_979 Depth=2
	s_wait_alu 0xfffe
	s_or_b32 exec_lo, exec_lo, s17
	s_wait_loadcnt 0xe
	v_cmp_lt_i32_e32 vcc_lo, -1, v2
	s_wait_alu 0xfffd
	v_cndmask_b32_e64 v37, -1, 0x80000000, vcc_lo
	s_delay_alu instid0(VALU_DEP_1) | instskip(NEXT) | instid1(VALU_DEP_1)
	v_xor_b32_e32 v2, v37, v2
	v_cmp_ne_u32_e32 vcc_lo, 0x7fffffff, v2
	s_wait_alu 0xfffd
	v_cndmask_b32_e32 v37, 0x80000000, v2, vcc_lo
	s_delay_alu instid0(VALU_DEP_1) | instskip(NEXT) | instid1(VALU_DEP_1)
	v_lshrrev_b32_e32 v37, s49, v37
	v_and_b32_e32 v142, s48, v37
	s_delay_alu instid0(VALU_DEP_1)
	v_and_b32_e32 v37, 1, v142
	v_lshlrev_b32_e32 v137, 30, v142
	v_lshlrev_b32_e32 v138, 29, v142
	;; [unrolled: 1-line block ×4, first 2 shown]
	v_add_co_u32 v37, s15, v37, -1
	s_wait_alu 0xf1ff
	v_cndmask_b32_e64 v140, 0, 1, s15
	v_not_b32_e32 v146, v137
	v_cmp_gt_i32_e64 s15, 0, v137
	v_not_b32_e32 v137, v138
	v_lshlrev_b32_e32 v144, 26, v142
	v_cmp_ne_u32_e32 vcc_lo, 0, v140
	v_ashrrev_i32_e32 v146, 31, v146
	v_lshlrev_b32_e32 v145, 25, v142
	v_ashrrev_i32_e32 v137, 31, v137
	v_lshlrev_b32_e32 v140, 24, v142
	s_wait_alu 0xfffd
	v_xor_b32_e32 v37, vcc_lo, v37
	v_cmp_gt_i32_e32 vcc_lo, 0, v138
	v_not_b32_e32 v138, v139
	s_wait_alu 0xf1ff
	v_xor_b32_e32 v146, s15, v146
	v_cmp_gt_i32_e64 s15, 0, v139
	v_and_b32_e32 v37, exec_lo, v37
	v_not_b32_e32 v139, v141
	v_ashrrev_i32_e32 v138, 31, v138
	s_wait_alu 0xfffd
	v_xor_b32_e32 v137, vcc_lo, v137
	v_cmp_gt_i32_e32 vcc_lo, 0, v141
	v_and_b32_e32 v37, v37, v146
	v_not_b32_e32 v141, v144
	v_ashrrev_i32_e32 v139, 31, v139
	s_wait_alu 0xf1ff
	v_xor_b32_e32 v138, s15, v138
	v_cmp_gt_i32_e64 s15, 0, v144
	v_and_b32_e32 v37, v37, v137
	v_not_b32_e32 v137, v145
	v_ashrrev_i32_e32 v141, 31, v141
	s_wait_alu 0xfffd
	v_xor_b32_e32 v139, vcc_lo, v139
	v_cmp_gt_i32_e32 vcc_lo, 0, v145
	v_and_b32_e32 v37, v37, v138
	v_not_b32_e32 v138, v140
	v_ashrrev_i32_e32 v137, 31, v137
	s_wait_alu 0xf1ff
	v_xor_b32_e32 v141, s15, v141
	v_cmp_gt_i32_e64 s15, 0, v140
	v_and_b32_e32 v37, v37, v139
	v_ashrrev_i32_e32 v138, 31, v138
	s_wait_alu 0xfffd
	v_xor_b32_e32 v137, vcc_lo, v137
	v_mul_u32_u24_e32 v142, 36, v142
	v_add_nc_u32_e32 v140, 0x428, v67
	v_and_b32_e32 v37, v37, v141
	s_wait_alu 0xf1ff
	v_xor_b32_e32 v139, s15, v138
	v_add_nc_u32_e32 v138, 0x438, v67
	v_add_nc_u32_e32 v141, 0x430, v67
	v_add_nc_u32_e32 v142, v118, v142
	v_and_b32_e32 v37, v37, v137
	ds_store_2addr_b32 v138, v3, v3 offset1:1
	v_and_b32_e32 v37, v37, v139
	v_add_nc_u32_e32 v139, 0x420, v67
	ds_store_2addr_b32 v139, v3, v3 offset1:1
	ds_store_2addr_b32 v140, v3, v3 offset1:1
	;; [unrolled: 1-line block ×3, first 2 shown]
	ds_store_b32 v67, v3 offset:1088
	v_mbcnt_lo_u32_b32 v137, v37, 0
	v_cmp_ne_u32_e64 s15, 0, v37
	s_wait_loadcnt_dscnt 0x0
	s_barrier_signal -1
	s_barrier_wait -1
	v_cmp_eq_u32_e32 vcc_lo, 0, v137
	global_inv scope:SCOPE_SE
	; wave barrier
	s_and_b32 s16, s15, vcc_lo
	s_wait_alu 0xfffe
	s_and_saveexec_b32 s15, s16
; %bb.1016:                             ;   in Loop: Header=BB1463_979 Depth=2
	v_bcnt_u32_b32 v37, v37, 0
	ds_store_b32 v142, v37 offset:1056
; %bb.1017:                             ;   in Loop: Header=BB1463_979 Depth=2
	s_wait_alu 0xfffe
	s_or_b32 exec_lo, exec_lo, s15
	v_cmp_lt_i32_e32 vcc_lo, -1, v136
	; wave barrier
	s_wait_alu 0xfffd
	v_cndmask_b32_e64 v37, -1, 0x80000000, vcc_lo
	s_delay_alu instid0(VALU_DEP_1) | instskip(NEXT) | instid1(VALU_DEP_1)
	v_xor_b32_e32 v136, v37, v136
	v_cmp_ne_u32_e32 vcc_lo, 0x7fffffff, v136
	s_wait_alu 0xfffd
	v_cndmask_b32_e32 v37, 0x80000000, v136, vcc_lo
	s_delay_alu instid0(VALU_DEP_1) | instskip(NEXT) | instid1(VALU_DEP_1)
	v_lshrrev_b32_e32 v37, s49, v37
	v_and_b32_e32 v146, s48, v37
	s_delay_alu instid0(VALU_DEP_1)
	v_and_b32_e32 v37, 1, v146
	v_lshlrev_b32_e32 v144, 30, v146
	v_lshlrev_b32_e32 v145, 29, v146
	;; [unrolled: 1-line block ×4, first 2 shown]
	v_add_co_u32 v37, s15, v37, -1
	s_wait_alu 0xf1ff
	v_cndmask_b32_e64 v149, 0, 1, s15
	v_not_b32_e32 v154, v144
	v_cmp_gt_i32_e64 s15, 0, v144
	v_not_b32_e32 v144, v145
	v_lshlrev_b32_e32 v152, 26, v146
	v_cmp_ne_u32_e32 vcc_lo, 0, v149
	v_ashrrev_i32_e32 v154, 31, v154
	v_lshlrev_b32_e32 v153, 25, v146
	v_ashrrev_i32_e32 v144, 31, v144
	v_lshlrev_b32_e32 v149, 24, v146
	s_wait_alu 0xfffd
	v_xor_b32_e32 v37, vcc_lo, v37
	v_cmp_gt_i32_e32 vcc_lo, 0, v145
	v_not_b32_e32 v145, v148
	s_wait_alu 0xf1ff
	v_xor_b32_e32 v154, s15, v154
	v_cmp_gt_i32_e64 s15, 0, v148
	v_and_b32_e32 v37, exec_lo, v37
	v_not_b32_e32 v148, v150
	v_ashrrev_i32_e32 v145, 31, v145
	s_wait_alu 0xfffd
	v_xor_b32_e32 v144, vcc_lo, v144
	v_cmp_gt_i32_e32 vcc_lo, 0, v150
	v_and_b32_e32 v37, v37, v154
	v_not_b32_e32 v150, v152
	v_ashrrev_i32_e32 v148, 31, v148
	s_wait_alu 0xf1ff
	v_xor_b32_e32 v145, s15, v145
	v_cmp_gt_i32_e64 s15, 0, v152
	v_and_b32_e32 v37, v37, v144
	v_not_b32_e32 v144, v153
	v_ashrrev_i32_e32 v150, 31, v150
	s_wait_alu 0xfffd
	v_xor_b32_e32 v148, vcc_lo, v148
	v_cmp_gt_i32_e32 vcc_lo, 0, v153
	v_and_b32_e32 v37, v37, v145
	v_not_b32_e32 v145, v149
	v_ashrrev_i32_e32 v144, 31, v144
	s_wait_alu 0xf1ff
	v_xor_b32_e32 v150, s15, v150
	v_cmp_gt_i32_e64 s15, 0, v149
	v_and_b32_e32 v37, v37, v148
	v_ashrrev_i32_e32 v145, 31, v145
	s_wait_alu 0xfffd
	v_xor_b32_e32 v144, vcc_lo, v144
	v_mad_u32_u24 v148, v146, 36, v118
	v_mul_u32_u24_e32 v146, 36, v146
	v_and_b32_e32 v37, v37, v150
	s_wait_alu 0xf1ff
	v_xor_b32_e32 v145, s15, v145
	s_delay_alu instid0(VALU_DEP_3) | instskip(NEXT) | instid1(VALU_DEP_3)
	v_add_nc_u32_e32 v146, v118, v146
	v_and_b32_e32 v37, v37, v144
	ds_load_b32 v144, v148 offset:1056
	; wave barrier
	v_and_b32_e32 v37, v37, v145
	s_delay_alu instid0(VALU_DEP_1) | instskip(SKIP_1) | instid1(VALU_DEP_2)
	v_mbcnt_lo_u32_b32 v145, v37, 0
	v_cmp_ne_u32_e64 s15, 0, v37
	v_cmp_eq_u32_e32 vcc_lo, 0, v145
	s_and_b32 s16, s15, vcc_lo
	s_wait_alu 0xfffe
	s_and_saveexec_b32 s15, s16
	s_cbranch_execz .LBB1463_1019
; %bb.1018:                             ;   in Loop: Header=BB1463_979 Depth=2
	s_wait_dscnt 0x0
	v_bcnt_u32_b32 v37, v37, v144
	ds_store_b32 v146, v37 offset:1056
.LBB1463_1019:                          ;   in Loop: Header=BB1463_979 Depth=2
	s_wait_alu 0xfffe
	s_or_b32 exec_lo, exec_lo, s15
	v_cmp_lt_i32_e32 vcc_lo, -1, v143
	; wave barrier
	s_wait_alu 0xfffd
	v_cndmask_b32_e64 v37, -1, 0x80000000, vcc_lo
	s_delay_alu instid0(VALU_DEP_1) | instskip(NEXT) | instid1(VALU_DEP_1)
	v_xor_b32_e32 v143, v37, v143
	v_cmp_ne_u32_e32 vcc_lo, 0x7fffffff, v143
	s_wait_alu 0xfffd
	v_cndmask_b32_e32 v37, 0x80000000, v143, vcc_lo
	s_delay_alu instid0(VALU_DEP_1) | instskip(NEXT) | instid1(VALU_DEP_1)
	v_lshrrev_b32_e32 v37, s49, v37
	v_and_b32_e32 v150, s48, v37
	s_delay_alu instid0(VALU_DEP_1)
	v_and_b32_e32 v37, 1, v150
	v_lshlrev_b32_e32 v148, 30, v150
	v_lshlrev_b32_e32 v149, 29, v150
	;; [unrolled: 1-line block ×4, first 2 shown]
	v_add_co_u32 v37, s15, v37, -1
	s_wait_alu 0xf1ff
	v_cndmask_b32_e64 v153, 0, 1, s15
	v_not_b32_e32 v158, v148
	v_cmp_gt_i32_e64 s15, 0, v148
	v_not_b32_e32 v148, v149
	v_lshlrev_b32_e32 v156, 26, v150
	v_cmp_ne_u32_e32 vcc_lo, 0, v153
	v_ashrrev_i32_e32 v158, 31, v158
	v_lshlrev_b32_e32 v157, 25, v150
	v_ashrrev_i32_e32 v148, 31, v148
	v_lshlrev_b32_e32 v153, 24, v150
	s_wait_alu 0xfffd
	v_xor_b32_e32 v37, vcc_lo, v37
	v_cmp_gt_i32_e32 vcc_lo, 0, v149
	v_not_b32_e32 v149, v152
	s_wait_alu 0xf1ff
	v_xor_b32_e32 v158, s15, v158
	v_cmp_gt_i32_e64 s15, 0, v152
	v_and_b32_e32 v37, exec_lo, v37
	v_not_b32_e32 v152, v154
	v_ashrrev_i32_e32 v149, 31, v149
	s_wait_alu 0xfffd
	v_xor_b32_e32 v148, vcc_lo, v148
	v_cmp_gt_i32_e32 vcc_lo, 0, v154
	v_and_b32_e32 v37, v37, v158
	v_not_b32_e32 v154, v156
	v_ashrrev_i32_e32 v152, 31, v152
	s_wait_alu 0xf1ff
	v_xor_b32_e32 v149, s15, v149
	v_cmp_gt_i32_e64 s15, 0, v156
	v_and_b32_e32 v37, v37, v148
	v_not_b32_e32 v148, v157
	v_ashrrev_i32_e32 v154, 31, v154
	s_wait_alu 0xfffd
	v_xor_b32_e32 v152, vcc_lo, v152
	v_cmp_gt_i32_e32 vcc_lo, 0, v157
	v_and_b32_e32 v37, v37, v149
	v_not_b32_e32 v149, v153
	v_ashrrev_i32_e32 v148, 31, v148
	s_wait_alu 0xf1ff
	v_xor_b32_e32 v154, s15, v154
	v_cmp_gt_i32_e64 s15, 0, v153
	v_and_b32_e32 v37, v37, v152
	v_ashrrev_i32_e32 v149, 31, v149
	s_wait_alu 0xfffd
	v_xor_b32_e32 v148, vcc_lo, v148
	v_mad_u32_u24 v152, v150, 36, v118
	v_mul_u32_u24_e32 v150, 36, v150
	v_and_b32_e32 v37, v37, v154
	s_wait_alu 0xf1ff
	v_xor_b32_e32 v149, s15, v149
	s_delay_alu instid0(VALU_DEP_3) | instskip(NEXT) | instid1(VALU_DEP_3)
	v_add_nc_u32_e32 v150, v118, v150
	v_and_b32_e32 v37, v37, v148
	ds_load_b32 v148, v152 offset:1056
	; wave barrier
	v_and_b32_e32 v37, v37, v149
	s_delay_alu instid0(VALU_DEP_1) | instskip(SKIP_1) | instid1(VALU_DEP_2)
	v_mbcnt_lo_u32_b32 v149, v37, 0
	v_cmp_ne_u32_e64 s15, 0, v37
	v_cmp_eq_u32_e32 vcc_lo, 0, v149
	s_and_b32 s16, s15, vcc_lo
	s_wait_alu 0xfffe
	s_and_saveexec_b32 s15, s16
	s_cbranch_execz .LBB1463_1021
; %bb.1020:                             ;   in Loop: Header=BB1463_979 Depth=2
	s_wait_dscnt 0x0
	v_bcnt_u32_b32 v37, v37, v148
	ds_store_b32 v150, v37 offset:1056
.LBB1463_1021:                          ;   in Loop: Header=BB1463_979 Depth=2
	s_wait_alu 0xfffe
	s_or_b32 exec_lo, exec_lo, s15
	v_cmp_lt_i32_e32 vcc_lo, -1, v147
	; wave barrier
	s_wait_alu 0xfffd
	v_cndmask_b32_e64 v37, -1, 0x80000000, vcc_lo
	s_delay_alu instid0(VALU_DEP_1) | instskip(NEXT) | instid1(VALU_DEP_1)
	v_xor_b32_e32 v147, v37, v147
	v_cmp_ne_u32_e32 vcc_lo, 0x7fffffff, v147
	s_wait_alu 0xfffd
	v_cndmask_b32_e32 v37, 0x80000000, v147, vcc_lo
	s_delay_alu instid0(VALU_DEP_1) | instskip(NEXT) | instid1(VALU_DEP_1)
	v_lshrrev_b32_e32 v37, s49, v37
	v_and_b32_e32 v154, s48, v37
	s_delay_alu instid0(VALU_DEP_1)
	v_and_b32_e32 v37, 1, v154
	v_lshlrev_b32_e32 v152, 30, v154
	v_lshlrev_b32_e32 v153, 29, v154
	;; [unrolled: 1-line block ×4, first 2 shown]
	v_add_co_u32 v37, s15, v37, -1
	s_wait_alu 0xf1ff
	v_cndmask_b32_e64 v157, 0, 1, s15
	v_not_b32_e32 v162, v152
	v_cmp_gt_i32_e64 s15, 0, v152
	v_not_b32_e32 v152, v153
	v_lshlrev_b32_e32 v160, 26, v154
	v_cmp_ne_u32_e32 vcc_lo, 0, v157
	v_ashrrev_i32_e32 v162, 31, v162
	v_lshlrev_b32_e32 v161, 25, v154
	v_ashrrev_i32_e32 v152, 31, v152
	v_lshlrev_b32_e32 v157, 24, v154
	s_wait_alu 0xfffd
	v_xor_b32_e32 v37, vcc_lo, v37
	v_cmp_gt_i32_e32 vcc_lo, 0, v153
	v_not_b32_e32 v153, v156
	s_wait_alu 0xf1ff
	v_xor_b32_e32 v162, s15, v162
	v_cmp_gt_i32_e64 s15, 0, v156
	v_and_b32_e32 v37, exec_lo, v37
	v_not_b32_e32 v156, v158
	v_ashrrev_i32_e32 v153, 31, v153
	s_wait_alu 0xfffd
	v_xor_b32_e32 v152, vcc_lo, v152
	v_cmp_gt_i32_e32 vcc_lo, 0, v158
	v_and_b32_e32 v37, v37, v162
	v_not_b32_e32 v158, v160
	v_ashrrev_i32_e32 v156, 31, v156
	s_wait_alu 0xf1ff
	v_xor_b32_e32 v153, s15, v153
	v_cmp_gt_i32_e64 s15, 0, v160
	v_and_b32_e32 v37, v37, v152
	v_not_b32_e32 v152, v161
	v_ashrrev_i32_e32 v158, 31, v158
	s_wait_alu 0xfffd
	v_xor_b32_e32 v156, vcc_lo, v156
	v_cmp_gt_i32_e32 vcc_lo, 0, v161
	v_and_b32_e32 v37, v37, v153
	v_not_b32_e32 v153, v157
	v_ashrrev_i32_e32 v152, 31, v152
	s_wait_alu 0xf1ff
	v_xor_b32_e32 v158, s15, v158
	v_cmp_gt_i32_e64 s15, 0, v157
	v_and_b32_e32 v37, v37, v156
	v_ashrrev_i32_e32 v153, 31, v153
	s_wait_alu 0xfffd
	v_xor_b32_e32 v152, vcc_lo, v152
	v_mad_u32_u24 v156, v154, 36, v118
	v_mul_u32_u24_e32 v154, 36, v154
	v_and_b32_e32 v37, v37, v158
	s_wait_alu 0xf1ff
	v_xor_b32_e32 v153, s15, v153
	s_delay_alu instid0(VALU_DEP_3) | instskip(NEXT) | instid1(VALU_DEP_3)
	v_add_nc_u32_e32 v154, v118, v154
	v_and_b32_e32 v37, v37, v152
	ds_load_b32 v152, v156 offset:1056
	; wave barrier
	v_and_b32_e32 v37, v37, v153
	s_delay_alu instid0(VALU_DEP_1) | instskip(SKIP_1) | instid1(VALU_DEP_2)
	v_mbcnt_lo_u32_b32 v153, v37, 0
	v_cmp_ne_u32_e64 s15, 0, v37
	v_cmp_eq_u32_e32 vcc_lo, 0, v153
	s_and_b32 s16, s15, vcc_lo
	s_wait_alu 0xfffe
	s_and_saveexec_b32 s15, s16
	s_cbranch_execz .LBB1463_1023
; %bb.1022:                             ;   in Loop: Header=BB1463_979 Depth=2
	s_wait_dscnt 0x0
	v_bcnt_u32_b32 v37, v37, v152
	ds_store_b32 v154, v37 offset:1056
.LBB1463_1023:                          ;   in Loop: Header=BB1463_979 Depth=2
	s_wait_alu 0xfffe
	s_or_b32 exec_lo, exec_lo, s15
	v_cmp_lt_i32_e32 vcc_lo, -1, v151
	; wave barrier
	s_wait_alu 0xfffd
	v_cndmask_b32_e64 v37, -1, 0x80000000, vcc_lo
	s_delay_alu instid0(VALU_DEP_1) | instskip(NEXT) | instid1(VALU_DEP_1)
	v_xor_b32_e32 v151, v37, v151
	v_cmp_ne_u32_e32 vcc_lo, 0x7fffffff, v151
	s_wait_alu 0xfffd
	v_cndmask_b32_e32 v37, 0x80000000, v151, vcc_lo
	s_delay_alu instid0(VALU_DEP_1) | instskip(NEXT) | instid1(VALU_DEP_1)
	v_lshrrev_b32_e32 v37, s49, v37
	v_and_b32_e32 v158, s48, v37
	s_delay_alu instid0(VALU_DEP_1)
	v_and_b32_e32 v37, 1, v158
	v_lshlrev_b32_e32 v156, 30, v158
	v_lshlrev_b32_e32 v157, 29, v158
	;; [unrolled: 1-line block ×4, first 2 shown]
	v_add_co_u32 v37, s15, v37, -1
	s_wait_alu 0xf1ff
	v_cndmask_b32_e64 v161, 0, 1, s15
	v_not_b32_e32 v167, v156
	v_cmp_gt_i32_e64 s15, 0, v156
	v_not_b32_e32 v156, v157
	v_lshlrev_b32_e32 v164, 26, v158
	v_cmp_ne_u32_e32 vcc_lo, 0, v161
	v_ashrrev_i32_e32 v167, 31, v167
	v_lshlrev_b32_e32 v165, 25, v158
	v_ashrrev_i32_e32 v156, 31, v156
	v_lshlrev_b32_e32 v161, 24, v158
	s_wait_alu 0xfffd
	v_xor_b32_e32 v37, vcc_lo, v37
	v_cmp_gt_i32_e32 vcc_lo, 0, v157
	v_not_b32_e32 v157, v160
	s_wait_alu 0xf1ff
	v_xor_b32_e32 v167, s15, v167
	v_cmp_gt_i32_e64 s15, 0, v160
	v_and_b32_e32 v37, exec_lo, v37
	v_not_b32_e32 v160, v162
	v_ashrrev_i32_e32 v157, 31, v157
	s_wait_alu 0xfffd
	v_xor_b32_e32 v156, vcc_lo, v156
	v_cmp_gt_i32_e32 vcc_lo, 0, v162
	v_and_b32_e32 v37, v37, v167
	v_not_b32_e32 v162, v164
	v_ashrrev_i32_e32 v160, 31, v160
	s_wait_alu 0xf1ff
	v_xor_b32_e32 v157, s15, v157
	v_cmp_gt_i32_e64 s15, 0, v164
	v_and_b32_e32 v37, v37, v156
	v_not_b32_e32 v156, v165
	v_ashrrev_i32_e32 v162, 31, v162
	s_wait_alu 0xfffd
	v_xor_b32_e32 v160, vcc_lo, v160
	v_cmp_gt_i32_e32 vcc_lo, 0, v165
	v_and_b32_e32 v37, v37, v157
	v_not_b32_e32 v157, v161
	v_ashrrev_i32_e32 v156, 31, v156
	s_wait_alu 0xf1ff
	v_xor_b32_e32 v162, s15, v162
	v_cmp_gt_i32_e64 s15, 0, v161
	v_and_b32_e32 v37, v37, v160
	v_ashrrev_i32_e32 v157, 31, v157
	s_wait_alu 0xfffd
	v_xor_b32_e32 v156, vcc_lo, v156
	v_mad_u32_u24 v160, v158, 36, v118
	v_mul_u32_u24_e32 v158, 36, v158
	v_and_b32_e32 v37, v37, v162
	s_wait_alu 0xf1ff
	v_xor_b32_e32 v157, s15, v157
	s_delay_alu instid0(VALU_DEP_3) | instskip(NEXT) | instid1(VALU_DEP_3)
	v_add_nc_u32_e32 v158, v118, v158
	v_and_b32_e32 v37, v37, v156
	ds_load_b32 v156, v160 offset:1056
	; wave barrier
	v_and_b32_e32 v37, v37, v157
	s_delay_alu instid0(VALU_DEP_1) | instskip(SKIP_1) | instid1(VALU_DEP_2)
	v_mbcnt_lo_u32_b32 v157, v37, 0
	v_cmp_ne_u32_e64 s15, 0, v37
	v_cmp_eq_u32_e32 vcc_lo, 0, v157
	s_and_b32 s16, s15, vcc_lo
	s_wait_alu 0xfffe
	s_and_saveexec_b32 s15, s16
	s_cbranch_execz .LBB1463_1025
; %bb.1024:                             ;   in Loop: Header=BB1463_979 Depth=2
	s_wait_dscnt 0x0
	v_bcnt_u32_b32 v37, v37, v156
	ds_store_b32 v158, v37 offset:1056
.LBB1463_1025:                          ;   in Loop: Header=BB1463_979 Depth=2
	s_wait_alu 0xfffe
	s_or_b32 exec_lo, exec_lo, s15
	v_cmp_lt_i32_e32 vcc_lo, -1, v155
	; wave barrier
	s_wait_alu 0xfffd
	v_cndmask_b32_e64 v37, -1, 0x80000000, vcc_lo
	s_delay_alu instid0(VALU_DEP_1) | instskip(NEXT) | instid1(VALU_DEP_1)
	v_xor_b32_e32 v155, v37, v155
	v_cmp_ne_u32_e32 vcc_lo, 0x7fffffff, v155
	s_wait_alu 0xfffd
	v_cndmask_b32_e32 v37, 0x80000000, v155, vcc_lo
	s_delay_alu instid0(VALU_DEP_1) | instskip(NEXT) | instid1(VALU_DEP_1)
	v_lshrrev_b32_e32 v37, s49, v37
	v_and_b32_e32 v162, s48, v37
	s_delay_alu instid0(VALU_DEP_1)
	v_and_b32_e32 v37, 1, v162
	v_lshlrev_b32_e32 v160, 30, v162
	v_lshlrev_b32_e32 v161, 29, v162
	v_lshlrev_b32_e32 v164, 28, v162
	v_lshlrev_b32_e32 v167, 27, v162
	v_add_co_u32 v37, s15, v37, -1
	s_wait_alu 0xf1ff
	v_cndmask_b32_e64 v165, 0, 1, s15
	v_not_b32_e32 v170, v160
	v_cmp_gt_i32_e64 s15, 0, v160
	v_not_b32_e32 v160, v161
	v_lshlrev_b32_e32 v168, 26, v162
	v_cmp_ne_u32_e32 vcc_lo, 0, v165
	v_ashrrev_i32_e32 v170, 31, v170
	v_lshlrev_b32_e32 v169, 25, v162
	v_ashrrev_i32_e32 v160, 31, v160
	v_lshlrev_b32_e32 v165, 24, v162
	s_wait_alu 0xfffd
	v_xor_b32_e32 v37, vcc_lo, v37
	v_cmp_gt_i32_e32 vcc_lo, 0, v161
	v_not_b32_e32 v161, v164
	s_wait_alu 0xf1ff
	v_xor_b32_e32 v170, s15, v170
	v_cmp_gt_i32_e64 s15, 0, v164
	v_and_b32_e32 v37, exec_lo, v37
	v_not_b32_e32 v164, v167
	v_ashrrev_i32_e32 v161, 31, v161
	s_wait_alu 0xfffd
	v_xor_b32_e32 v160, vcc_lo, v160
	v_cmp_gt_i32_e32 vcc_lo, 0, v167
	v_and_b32_e32 v37, v37, v170
	v_not_b32_e32 v167, v168
	v_ashrrev_i32_e32 v164, 31, v164
	s_wait_alu 0xf1ff
	v_xor_b32_e32 v161, s15, v161
	v_cmp_gt_i32_e64 s15, 0, v168
	v_and_b32_e32 v37, v37, v160
	v_not_b32_e32 v160, v169
	v_ashrrev_i32_e32 v167, 31, v167
	s_wait_alu 0xfffd
	v_xor_b32_e32 v164, vcc_lo, v164
	v_cmp_gt_i32_e32 vcc_lo, 0, v169
	v_and_b32_e32 v37, v37, v161
	v_not_b32_e32 v161, v165
	v_ashrrev_i32_e32 v160, 31, v160
	s_wait_alu 0xf1ff
	v_xor_b32_e32 v167, s15, v167
	v_cmp_gt_i32_e64 s15, 0, v165
	v_and_b32_e32 v37, v37, v164
	v_ashrrev_i32_e32 v161, 31, v161
	s_wait_alu 0xfffd
	v_xor_b32_e32 v160, vcc_lo, v160
	v_mad_u32_u24 v164, v162, 36, v118
	v_mul_u32_u24_e32 v162, 36, v162
	v_and_b32_e32 v37, v37, v167
	s_wait_alu 0xf1ff
	v_xor_b32_e32 v161, s15, v161
	s_delay_alu instid0(VALU_DEP_3) | instskip(NEXT) | instid1(VALU_DEP_3)
	v_add_nc_u32_e32 v162, v118, v162
	v_and_b32_e32 v37, v37, v160
	ds_load_b32 v160, v164 offset:1056
	; wave barrier
	v_and_b32_e32 v37, v37, v161
	s_delay_alu instid0(VALU_DEP_1) | instskip(SKIP_1) | instid1(VALU_DEP_2)
	v_mbcnt_lo_u32_b32 v161, v37, 0
	v_cmp_ne_u32_e64 s15, 0, v37
	v_cmp_eq_u32_e32 vcc_lo, 0, v161
	s_and_b32 s16, s15, vcc_lo
	s_wait_alu 0xfffe
	s_and_saveexec_b32 s15, s16
	s_cbranch_execz .LBB1463_1027
; %bb.1026:                             ;   in Loop: Header=BB1463_979 Depth=2
	s_wait_dscnt 0x0
	v_bcnt_u32_b32 v37, v37, v160
	ds_store_b32 v162, v37 offset:1056
.LBB1463_1027:                          ;   in Loop: Header=BB1463_979 Depth=2
	s_wait_alu 0xfffe
	s_or_b32 exec_lo, exec_lo, s15
	v_cmp_lt_i32_e32 vcc_lo, -1, v159
	; wave barrier
	s_wait_alu 0xfffd
	v_cndmask_b32_e64 v37, -1, 0x80000000, vcc_lo
	s_delay_alu instid0(VALU_DEP_1) | instskip(NEXT) | instid1(VALU_DEP_1)
	v_xor_b32_e32 v159, v37, v159
	v_cmp_ne_u32_e32 vcc_lo, 0x7fffffff, v159
	s_wait_alu 0xfffd
	v_cndmask_b32_e32 v37, 0x80000000, v159, vcc_lo
	s_delay_alu instid0(VALU_DEP_1) | instskip(NEXT) | instid1(VALU_DEP_1)
	v_lshrrev_b32_e32 v37, s49, v37
	v_and_b32_e32 v167, s48, v37
	s_delay_alu instid0(VALU_DEP_1)
	v_and_b32_e32 v37, 1, v167
	v_lshlrev_b32_e32 v164, 30, v167
	v_lshlrev_b32_e32 v165, 29, v167
	;; [unrolled: 1-line block ×4, first 2 shown]
	v_add_co_u32 v37, s15, v37, -1
	s_wait_alu 0xf1ff
	v_cndmask_b32_e64 v169, 0, 1, s15
	v_not_b32_e32 v173, v164
	v_cmp_gt_i32_e64 s15, 0, v164
	v_not_b32_e32 v164, v165
	v_lshlrev_b32_e32 v171, 26, v167
	v_cmp_ne_u32_e32 vcc_lo, 0, v169
	v_ashrrev_i32_e32 v173, 31, v173
	v_lshlrev_b32_e32 v172, 25, v167
	v_ashrrev_i32_e32 v164, 31, v164
	v_lshlrev_b32_e32 v169, 24, v167
	s_wait_alu 0xfffd
	v_xor_b32_e32 v37, vcc_lo, v37
	v_cmp_gt_i32_e32 vcc_lo, 0, v165
	v_not_b32_e32 v165, v168
	s_wait_alu 0xf1ff
	v_xor_b32_e32 v173, s15, v173
	v_cmp_gt_i32_e64 s15, 0, v168
	v_and_b32_e32 v37, exec_lo, v37
	v_not_b32_e32 v168, v170
	v_ashrrev_i32_e32 v165, 31, v165
	s_wait_alu 0xfffd
	v_xor_b32_e32 v164, vcc_lo, v164
	v_cmp_gt_i32_e32 vcc_lo, 0, v170
	v_and_b32_e32 v37, v37, v173
	v_not_b32_e32 v170, v171
	v_ashrrev_i32_e32 v168, 31, v168
	s_wait_alu 0xf1ff
	v_xor_b32_e32 v165, s15, v165
	v_cmp_gt_i32_e64 s15, 0, v171
	v_and_b32_e32 v37, v37, v164
	v_not_b32_e32 v164, v172
	v_ashrrev_i32_e32 v170, 31, v170
	s_wait_alu 0xfffd
	v_xor_b32_e32 v168, vcc_lo, v168
	v_cmp_gt_i32_e32 vcc_lo, 0, v172
	v_and_b32_e32 v37, v37, v165
	v_not_b32_e32 v165, v169
	v_ashrrev_i32_e32 v164, 31, v164
	s_wait_alu 0xf1ff
	v_xor_b32_e32 v170, s15, v170
	v_cmp_gt_i32_e64 s15, 0, v169
	v_and_b32_e32 v37, v37, v168
	v_ashrrev_i32_e32 v165, 31, v165
	s_wait_alu 0xfffd
	v_xor_b32_e32 v164, vcc_lo, v164
	v_mad_u32_u24 v168, v167, 36, v118
	v_mul_u32_u24_e32 v167, 36, v167
	v_and_b32_e32 v37, v37, v170
	s_wait_alu 0xf1ff
	v_xor_b32_e32 v165, s15, v165
	s_delay_alu instid0(VALU_DEP_3) | instskip(NEXT) | instid1(VALU_DEP_3)
	v_add_nc_u32_e32 v167, v118, v167
	v_and_b32_e32 v37, v37, v164
	ds_load_b32 v164, v168 offset:1056
	; wave barrier
	v_and_b32_e32 v37, v37, v165
	s_delay_alu instid0(VALU_DEP_1) | instskip(SKIP_1) | instid1(VALU_DEP_2)
	v_mbcnt_lo_u32_b32 v165, v37, 0
	v_cmp_ne_u32_e64 s15, 0, v37
	v_cmp_eq_u32_e32 vcc_lo, 0, v165
	s_and_b32 s16, s15, vcc_lo
	s_wait_alu 0xfffe
	s_and_saveexec_b32 s15, s16
	s_cbranch_execz .LBB1463_1029
; %bb.1028:                             ;   in Loop: Header=BB1463_979 Depth=2
	s_wait_dscnt 0x0
	v_bcnt_u32_b32 v37, v37, v164
	ds_store_b32 v167, v37 offset:1056
.LBB1463_1029:                          ;   in Loop: Header=BB1463_979 Depth=2
	s_wait_alu 0xfffe
	s_or_b32 exec_lo, exec_lo, s15
	v_cmp_lt_i32_e32 vcc_lo, -1, v163
	; wave barrier
	s_wait_alu 0xfffd
	v_cndmask_b32_e64 v37, -1, 0x80000000, vcc_lo
	s_delay_alu instid0(VALU_DEP_1) | instskip(NEXT) | instid1(VALU_DEP_1)
	v_xor_b32_e32 v163, v37, v163
	v_cmp_ne_u32_e32 vcc_lo, 0x7fffffff, v163
	s_wait_alu 0xfffd
	v_cndmask_b32_e32 v37, 0x80000000, v163, vcc_lo
	s_delay_alu instid0(VALU_DEP_1) | instskip(NEXT) | instid1(VALU_DEP_1)
	v_lshrrev_b32_e32 v37, s49, v37
	v_and_b32_e32 v170, s48, v37
	s_delay_alu instid0(VALU_DEP_1)
	v_and_b32_e32 v37, 1, v170
	v_lshlrev_b32_e32 v168, 30, v170
	v_lshlrev_b32_e32 v169, 29, v170
	;; [unrolled: 1-line block ×4, first 2 shown]
	v_add_co_u32 v37, s15, v37, -1
	s_wait_alu 0xf1ff
	v_cndmask_b32_e64 v172, 0, 1, s15
	v_not_b32_e32 v176, v168
	v_cmp_gt_i32_e64 s15, 0, v168
	v_not_b32_e32 v168, v169
	v_lshlrev_b32_e32 v174, 26, v170
	v_cmp_ne_u32_e32 vcc_lo, 0, v172
	v_ashrrev_i32_e32 v176, 31, v176
	v_lshlrev_b32_e32 v175, 25, v170
	v_ashrrev_i32_e32 v168, 31, v168
	v_lshlrev_b32_e32 v172, 24, v170
	s_wait_alu 0xfffd
	v_xor_b32_e32 v37, vcc_lo, v37
	v_cmp_gt_i32_e32 vcc_lo, 0, v169
	v_not_b32_e32 v169, v171
	s_wait_alu 0xf1ff
	v_xor_b32_e32 v176, s15, v176
	v_cmp_gt_i32_e64 s15, 0, v171
	v_and_b32_e32 v37, exec_lo, v37
	v_not_b32_e32 v171, v173
	v_ashrrev_i32_e32 v169, 31, v169
	s_wait_alu 0xfffd
	v_xor_b32_e32 v168, vcc_lo, v168
	v_cmp_gt_i32_e32 vcc_lo, 0, v173
	v_and_b32_e32 v37, v37, v176
	v_not_b32_e32 v173, v174
	v_ashrrev_i32_e32 v171, 31, v171
	s_wait_alu 0xf1ff
	v_xor_b32_e32 v169, s15, v169
	v_cmp_gt_i32_e64 s15, 0, v174
	v_and_b32_e32 v37, v37, v168
	v_not_b32_e32 v168, v175
	v_ashrrev_i32_e32 v173, 31, v173
	s_wait_alu 0xfffd
	v_xor_b32_e32 v171, vcc_lo, v171
	v_cmp_gt_i32_e32 vcc_lo, 0, v175
	v_and_b32_e32 v37, v37, v169
	v_not_b32_e32 v169, v172
	v_ashrrev_i32_e32 v168, 31, v168
	s_wait_alu 0xf1ff
	v_xor_b32_e32 v173, s15, v173
	v_cmp_gt_i32_e64 s15, 0, v172
	v_and_b32_e32 v37, v37, v171
	v_ashrrev_i32_e32 v169, 31, v169
	s_wait_alu 0xfffd
	v_xor_b32_e32 v168, vcc_lo, v168
	v_mad_u32_u24 v171, v170, 36, v118
	v_mul_u32_u24_e32 v170, 36, v170
	v_and_b32_e32 v37, v37, v173
	s_wait_alu 0xf1ff
	v_xor_b32_e32 v169, s15, v169
	s_delay_alu instid0(VALU_DEP_3) | instskip(NEXT) | instid1(VALU_DEP_3)
	v_add_nc_u32_e32 v170, v118, v170
	v_and_b32_e32 v37, v37, v168
	ds_load_b32 v168, v171 offset:1056
	; wave barrier
	v_and_b32_e32 v37, v37, v169
	s_delay_alu instid0(VALU_DEP_1) | instskip(SKIP_1) | instid1(VALU_DEP_2)
	v_mbcnt_lo_u32_b32 v169, v37, 0
	v_cmp_ne_u32_e64 s15, 0, v37
	v_cmp_eq_u32_e32 vcc_lo, 0, v169
	s_and_b32 s16, s15, vcc_lo
	s_wait_alu 0xfffe
	s_and_saveexec_b32 s15, s16
	s_cbranch_execz .LBB1463_1031
; %bb.1030:                             ;   in Loop: Header=BB1463_979 Depth=2
	s_wait_dscnt 0x0
	v_bcnt_u32_b32 v37, v37, v168
	ds_store_b32 v170, v37 offset:1056
.LBB1463_1031:                          ;   in Loop: Header=BB1463_979 Depth=2
	s_wait_alu 0xfffe
	s_or_b32 exec_lo, exec_lo, s15
	v_cmp_lt_i32_e32 vcc_lo, -1, v166
	; wave barrier
	s_wait_alu 0xfffd
	v_cndmask_b32_e64 v37, -1, 0x80000000, vcc_lo
	s_delay_alu instid0(VALU_DEP_1) | instskip(NEXT) | instid1(VALU_DEP_1)
	v_xor_b32_e32 v166, v37, v166
	v_cmp_ne_u32_e32 vcc_lo, 0x7fffffff, v166
	s_wait_alu 0xfffd
	v_cndmask_b32_e32 v37, 0x80000000, v166, vcc_lo
	s_delay_alu instid0(VALU_DEP_1) | instskip(NEXT) | instid1(VALU_DEP_1)
	v_lshrrev_b32_e32 v37, s49, v37
	v_and_b32_e32 v171, s48, v37
	s_delay_alu instid0(VALU_DEP_1)
	v_and_b32_e32 v37, 1, v171
	v_lshlrev_b32_e32 v172, 30, v171
	v_lshlrev_b32_e32 v173, 29, v171
	;; [unrolled: 1-line block ×4, first 2 shown]
	v_add_co_u32 v37, s15, v37, -1
	s_wait_alu 0xf1ff
	v_cndmask_b32_e64 v175, 0, 1, s15
	v_not_b32_e32 v179, v172
	v_cmp_gt_i32_e64 s15, 0, v172
	v_not_b32_e32 v172, v173
	v_lshlrev_b32_e32 v177, 26, v171
	v_cmp_ne_u32_e32 vcc_lo, 0, v175
	v_ashrrev_i32_e32 v179, 31, v179
	v_lshlrev_b32_e32 v178, 25, v171
	v_ashrrev_i32_e32 v172, 31, v172
	v_lshlrev_b32_e32 v175, 24, v171
	s_wait_alu 0xfffd
	v_xor_b32_e32 v37, vcc_lo, v37
	v_cmp_gt_i32_e32 vcc_lo, 0, v173
	v_not_b32_e32 v173, v174
	s_wait_alu 0xf1ff
	v_xor_b32_e32 v179, s15, v179
	v_cmp_gt_i32_e64 s15, 0, v174
	v_and_b32_e32 v37, exec_lo, v37
	v_not_b32_e32 v174, v176
	v_ashrrev_i32_e32 v173, 31, v173
	s_wait_alu 0xfffd
	v_xor_b32_e32 v172, vcc_lo, v172
	v_cmp_gt_i32_e32 vcc_lo, 0, v176
	v_and_b32_e32 v37, v37, v179
	v_not_b32_e32 v176, v177
	v_ashrrev_i32_e32 v174, 31, v174
	s_wait_alu 0xf1ff
	v_xor_b32_e32 v173, s15, v173
	v_cmp_gt_i32_e64 s15, 0, v177
	v_and_b32_e32 v37, v37, v172
	v_not_b32_e32 v172, v178
	v_ashrrev_i32_e32 v176, 31, v176
	s_wait_alu 0xfffd
	v_xor_b32_e32 v174, vcc_lo, v174
	v_cmp_gt_i32_e32 vcc_lo, 0, v178
	v_and_b32_e32 v37, v37, v173
	v_not_b32_e32 v173, v175
	v_ashrrev_i32_e32 v172, 31, v172
	s_wait_alu 0xf1ff
	v_xor_b32_e32 v176, s15, v176
	v_cmp_gt_i32_e64 s15, 0, v175
	v_and_b32_e32 v37, v37, v174
	v_ashrrev_i32_e32 v173, 31, v173
	s_wait_alu 0xfffd
	v_xor_b32_e32 v172, vcc_lo, v172
	v_mad_u32_u24 v174, v171, 36, v118
	v_mul_u32_u24_e32 v171, 36, v171
	v_and_b32_e32 v37, v37, v176
	s_wait_alu 0xf1ff
	v_xor_b32_e32 v173, s15, v173
	s_delay_alu instid0(VALU_DEP_2) | instskip(SKIP_3) | instid1(VALU_DEP_1)
	v_and_b32_e32 v37, v37, v172
	ds_load_b32 v172, v174 offset:1056
	v_add_nc_u32_e32 v174, v118, v171
	; wave barrier
	v_and_b32_e32 v37, v37, v173
	v_mbcnt_lo_u32_b32 v173, v37, 0
	v_cmp_ne_u32_e64 s15, 0, v37
	s_delay_alu instid0(VALU_DEP_2)
	v_cmp_eq_u32_e32 vcc_lo, 0, v173
	s_and_b32 s16, s15, vcc_lo
	s_wait_alu 0xfffe
	s_and_saveexec_b32 s15, s16
	s_cbranch_execz .LBB1463_1033
; %bb.1032:                             ;   in Loop: Header=BB1463_979 Depth=2
	s_wait_dscnt 0x0
	v_bcnt_u32_b32 v37, v37, v172
	ds_store_b32 v174, v37 offset:1056
.LBB1463_1033:                          ;   in Loop: Header=BB1463_979 Depth=2
	s_wait_alu 0xfffe
	s_or_b32 exec_lo, exec_lo, s15
	v_cmp_lt_i32_e32 vcc_lo, -1, v43
	; wave barrier
	s_wait_alu 0xfffd
	v_cndmask_b32_e64 v37, -1, 0x80000000, vcc_lo
	s_delay_alu instid0(VALU_DEP_1) | instskip(NEXT) | instid1(VALU_DEP_1)
	v_xor_b32_e32 v171, v37, v43
	v_cmp_ne_u32_e32 vcc_lo, 0x7fffffff, v171
	s_wait_alu 0xfffd
	v_cndmask_b32_e32 v37, 0x80000000, v171, vcc_lo
	s_delay_alu instid0(VALU_DEP_1) | instskip(NEXT) | instid1(VALU_DEP_1)
	v_lshrrev_b32_e32 v37, s49, v37
	v_and_b32_e32 v43, s48, v37
	s_delay_alu instid0(VALU_DEP_1)
	v_and_b32_e32 v37, 1, v43
	v_lshlrev_b32_e32 v175, 30, v43
	v_lshlrev_b32_e32 v176, 29, v43
	;; [unrolled: 1-line block ×4, first 2 shown]
	v_add_co_u32 v37, s15, v37, -1
	s_wait_alu 0xf1ff
	v_cndmask_b32_e64 v178, 0, 1, s15
	v_not_b32_e32 v182, v175
	v_cmp_gt_i32_e64 s15, 0, v175
	v_not_b32_e32 v175, v176
	v_lshlrev_b32_e32 v180, 26, v43
	v_cmp_ne_u32_e32 vcc_lo, 0, v178
	v_ashrrev_i32_e32 v182, 31, v182
	v_lshlrev_b32_e32 v181, 25, v43
	v_ashrrev_i32_e32 v175, 31, v175
	v_lshlrev_b32_e32 v178, 24, v43
	s_wait_alu 0xfffd
	v_xor_b32_e32 v37, vcc_lo, v37
	v_cmp_gt_i32_e32 vcc_lo, 0, v176
	v_not_b32_e32 v176, v177
	s_wait_alu 0xf1ff
	v_xor_b32_e32 v182, s15, v182
	v_cmp_gt_i32_e64 s15, 0, v177
	v_and_b32_e32 v37, exec_lo, v37
	v_not_b32_e32 v177, v179
	v_ashrrev_i32_e32 v176, 31, v176
	s_wait_alu 0xfffd
	v_xor_b32_e32 v175, vcc_lo, v175
	v_cmp_gt_i32_e32 vcc_lo, 0, v179
	v_and_b32_e32 v37, v37, v182
	v_not_b32_e32 v179, v180
	v_ashrrev_i32_e32 v177, 31, v177
	s_wait_alu 0xf1ff
	v_xor_b32_e32 v176, s15, v176
	v_cmp_gt_i32_e64 s15, 0, v180
	v_and_b32_e32 v37, v37, v175
	v_not_b32_e32 v175, v181
	v_ashrrev_i32_e32 v179, 31, v179
	s_wait_alu 0xfffd
	v_xor_b32_e32 v177, vcc_lo, v177
	v_cmp_gt_i32_e32 vcc_lo, 0, v181
	v_and_b32_e32 v37, v37, v176
	v_not_b32_e32 v176, v178
	v_ashrrev_i32_e32 v175, 31, v175
	s_wait_alu 0xf1ff
	v_xor_b32_e32 v179, s15, v179
	v_cmp_gt_i32_e64 s15, 0, v178
	v_and_b32_e32 v37, v37, v177
	v_ashrrev_i32_e32 v176, 31, v176
	s_wait_alu 0xfffd
	v_xor_b32_e32 v175, vcc_lo, v175
	v_mad_u32_u24 v177, v43, 36, v118
	v_mul_u32_u24_e32 v43, 36, v43
	v_and_b32_e32 v37, v37, v179
	s_wait_alu 0xf1ff
	v_xor_b32_e32 v178, s15, v176
	ds_load_b32 v176, v177 offset:1056
	v_and_b32_e32 v37, v37, v175
	; wave barrier
	s_delay_alu instid0(VALU_DEP_1) | instskip(SKIP_1) | instid1(VALU_DEP_2)
	v_and_b32_e32 v37, v37, v178
	v_add_nc_u32_e32 v178, v118, v43
	v_mbcnt_lo_u32_b32 v177, v37, 0
	v_cmp_ne_u32_e64 s15, 0, v37
	s_delay_alu instid0(VALU_DEP_2)
	v_cmp_eq_u32_e32 vcc_lo, 0, v177
	s_and_b32 s16, s15, vcc_lo
	s_wait_alu 0xfffe
	s_and_saveexec_b32 s15, s16
	s_cbranch_execz .LBB1463_1035
; %bb.1034:                             ;   in Loop: Header=BB1463_979 Depth=2
	s_wait_dscnt 0x0
	v_bcnt_u32_b32 v37, v37, v176
	ds_store_b32 v178, v37 offset:1056
.LBB1463_1035:                          ;   in Loop: Header=BB1463_979 Depth=2
	s_wait_alu 0xfffe
	s_or_b32 exec_lo, exec_lo, s15
	v_cmp_lt_i32_e32 vcc_lo, -1, v42
	; wave barrier
	s_wait_alu 0xfffd
	v_cndmask_b32_e64 v37, -1, 0x80000000, vcc_lo
	s_delay_alu instid0(VALU_DEP_1) | instskip(NEXT) | instid1(VALU_DEP_1)
	v_xor_b32_e32 v175, v37, v42
	v_cmp_ne_u32_e32 vcc_lo, 0x7fffffff, v175
	s_wait_alu 0xfffd
	v_cndmask_b32_e32 v37, 0x80000000, v175, vcc_lo
	s_delay_alu instid0(VALU_DEP_1) | instskip(NEXT) | instid1(VALU_DEP_1)
	v_lshrrev_b32_e32 v37, s49, v37
	v_and_b32_e32 v42, s48, v37
	s_delay_alu instid0(VALU_DEP_1)
	v_and_b32_e32 v37, 1, v42
	v_lshlrev_b32_e32 v43, 30, v42
	v_lshlrev_b32_e32 v179, 29, v42
	;; [unrolled: 1-line block ×4, first 2 shown]
	v_add_co_u32 v37, s15, v37, -1
	s_wait_alu 0xf1ff
	v_cndmask_b32_e64 v181, 0, 1, s15
	v_not_b32_e32 v185, v43
	v_cmp_gt_i32_e64 s15, 0, v43
	v_not_b32_e32 v43, v179
	v_lshlrev_b32_e32 v183, 26, v42
	v_cmp_ne_u32_e32 vcc_lo, 0, v181
	v_ashrrev_i32_e32 v185, 31, v185
	v_lshlrev_b32_e32 v184, 25, v42
	v_ashrrev_i32_e32 v43, 31, v43
	v_lshlrev_b32_e32 v181, 24, v42
	s_wait_alu 0xfffd
	v_xor_b32_e32 v37, vcc_lo, v37
	v_cmp_gt_i32_e32 vcc_lo, 0, v179
	v_not_b32_e32 v179, v180
	s_wait_alu 0xf1ff
	v_xor_b32_e32 v185, s15, v185
	v_cmp_gt_i32_e64 s15, 0, v180
	v_and_b32_e32 v37, exec_lo, v37
	v_not_b32_e32 v180, v182
	v_ashrrev_i32_e32 v179, 31, v179
	s_wait_alu 0xfffd
	v_xor_b32_e32 v43, vcc_lo, v43
	v_cmp_gt_i32_e32 vcc_lo, 0, v182
	v_and_b32_e32 v37, v37, v185
	v_not_b32_e32 v182, v183
	v_ashrrev_i32_e32 v180, 31, v180
	s_wait_alu 0xf1ff
	v_xor_b32_e32 v179, s15, v179
	v_cmp_gt_i32_e64 s15, 0, v183
	v_and_b32_e32 v37, v37, v43
	v_not_b32_e32 v43, v184
	v_ashrrev_i32_e32 v182, 31, v182
	s_wait_alu 0xfffd
	v_xor_b32_e32 v180, vcc_lo, v180
	v_cmp_gt_i32_e32 vcc_lo, 0, v184
	v_and_b32_e32 v37, v37, v179
	v_not_b32_e32 v179, v181
	v_ashrrev_i32_e32 v43, 31, v43
	s_wait_alu 0xf1ff
	v_xor_b32_e32 v182, s15, v182
	v_cmp_gt_i32_e64 s15, 0, v181
	v_and_b32_e32 v37, v37, v180
	v_ashrrev_i32_e32 v179, 31, v179
	s_wait_alu 0xfffd
	v_xor_b32_e32 v43, vcc_lo, v43
	v_mad_u32_u24 v180, v42, 36, v118
	v_mul_u32_u24_e32 v42, 36, v42
	v_and_b32_e32 v37, v37, v182
	s_wait_alu 0xf1ff
	v_xor_b32_e32 v179, s15, v179
	ds_load_b32 v180, v180 offset:1056
	v_add_nc_u32_e32 v182, v118, v42
	v_and_b32_e32 v37, v37, v43
	; wave barrier
	s_delay_alu instid0(VALU_DEP_1) | instskip(NEXT) | instid1(VALU_DEP_1)
	v_and_b32_e32 v37, v37, v179
	v_mbcnt_lo_u32_b32 v181, v37, 0
	v_cmp_ne_u32_e64 s15, 0, v37
	s_delay_alu instid0(VALU_DEP_2)
	v_cmp_eq_u32_e32 vcc_lo, 0, v181
	s_and_b32 s16, s15, vcc_lo
	s_wait_alu 0xfffe
	s_and_saveexec_b32 s15, s16
	s_cbranch_execz .LBB1463_1037
; %bb.1036:                             ;   in Loop: Header=BB1463_979 Depth=2
	s_wait_dscnt 0x0
	v_bcnt_u32_b32 v37, v37, v180
	ds_store_b32 v182, v37 offset:1056
.LBB1463_1037:                          ;   in Loop: Header=BB1463_979 Depth=2
	s_wait_alu 0xfffe
	s_or_b32 exec_lo, exec_lo, s15
	v_cmp_lt_i32_e32 vcc_lo, -1, v41
	; wave barrier
	s_wait_alu 0xfffd
	v_cndmask_b32_e64 v37, -1, 0x80000000, vcc_lo
	s_delay_alu instid0(VALU_DEP_1) | instskip(NEXT) | instid1(VALU_DEP_1)
	v_xor_b32_e32 v179, v37, v41
	v_cmp_ne_u32_e32 vcc_lo, 0x7fffffff, v179
	s_wait_alu 0xfffd
	v_cndmask_b32_e32 v37, 0x80000000, v179, vcc_lo
	s_delay_alu instid0(VALU_DEP_1) | instskip(NEXT) | instid1(VALU_DEP_1)
	v_lshrrev_b32_e32 v37, s49, v37
	v_and_b32_e32 v41, s48, v37
	s_delay_alu instid0(VALU_DEP_1)
	v_and_b32_e32 v37, 1, v41
	v_lshlrev_b32_e32 v42, 30, v41
	v_lshlrev_b32_e32 v43, 29, v41
	;; [unrolled: 1-line block ×4, first 2 shown]
	v_add_co_u32 v37, s15, v37, -1
	s_wait_alu 0xf1ff
	v_cndmask_b32_e64 v184, 0, 1, s15
	v_not_b32_e32 v188, v42
	v_cmp_gt_i32_e64 s15, 0, v42
	v_not_b32_e32 v42, v43
	v_lshlrev_b32_e32 v186, 26, v41
	v_cmp_ne_u32_e32 vcc_lo, 0, v184
	v_ashrrev_i32_e32 v188, 31, v188
	v_lshlrev_b32_e32 v187, 25, v41
	v_ashrrev_i32_e32 v42, 31, v42
	v_lshlrev_b32_e32 v184, 24, v41
	s_wait_alu 0xfffd
	v_xor_b32_e32 v37, vcc_lo, v37
	v_cmp_gt_i32_e32 vcc_lo, 0, v43
	v_not_b32_e32 v43, v183
	s_wait_alu 0xf1ff
	v_xor_b32_e32 v188, s15, v188
	v_cmp_gt_i32_e64 s15, 0, v183
	v_and_b32_e32 v37, exec_lo, v37
	v_not_b32_e32 v183, v185
	v_ashrrev_i32_e32 v43, 31, v43
	s_wait_alu 0xfffd
	v_xor_b32_e32 v42, vcc_lo, v42
	v_cmp_gt_i32_e32 vcc_lo, 0, v185
	v_and_b32_e32 v37, v37, v188
	v_not_b32_e32 v185, v186
	v_ashrrev_i32_e32 v183, 31, v183
	s_wait_alu 0xf1ff
	v_xor_b32_e32 v43, s15, v43
	v_cmp_gt_i32_e64 s15, 0, v186
	v_and_b32_e32 v37, v37, v42
	v_not_b32_e32 v42, v187
	v_ashrrev_i32_e32 v185, 31, v185
	s_wait_alu 0xfffd
	v_xor_b32_e32 v183, vcc_lo, v183
	v_cmp_gt_i32_e32 vcc_lo, 0, v187
	v_and_b32_e32 v37, v37, v43
	v_not_b32_e32 v43, v184
	v_ashrrev_i32_e32 v42, 31, v42
	s_wait_alu 0xf1ff
	v_xor_b32_e32 v185, s15, v185
	v_cmp_gt_i32_e64 s15, 0, v184
	v_and_b32_e32 v37, v37, v183
	v_ashrrev_i32_e32 v43, 31, v43
	s_wait_alu 0xfffd
	v_xor_b32_e32 v42, vcc_lo, v42
	v_mad_u32_u24 v183, v41, 36, v118
	v_mul_u32_u24_e32 v41, 36, v41
	v_and_b32_e32 v37, v37, v185
	s_wait_alu 0xf1ff
	v_xor_b32_e32 v43, s15, v43
	ds_load_b32 v184, v183 offset:1056
	v_add_nc_u32_e32 v186, v118, v41
	v_and_b32_e32 v37, v37, v42
	; wave barrier
	s_delay_alu instid0(VALU_DEP_1) | instskip(NEXT) | instid1(VALU_DEP_1)
	v_and_b32_e32 v37, v37, v43
	v_mbcnt_lo_u32_b32 v185, v37, 0
	v_cmp_ne_u32_e64 s15, 0, v37
	s_delay_alu instid0(VALU_DEP_2)
	v_cmp_eq_u32_e32 vcc_lo, 0, v185
	s_and_b32 s16, s15, vcc_lo
	s_wait_alu 0xfffe
	s_and_saveexec_b32 s15, s16
	s_cbranch_execz .LBB1463_1039
; %bb.1038:                             ;   in Loop: Header=BB1463_979 Depth=2
	s_wait_dscnt 0x0
	v_bcnt_u32_b32 v37, v37, v184
	ds_store_b32 v186, v37 offset:1056
.LBB1463_1039:                          ;   in Loop: Header=BB1463_979 Depth=2
	s_wait_alu 0xfffe
	s_or_b32 exec_lo, exec_lo, s15
	v_cmp_lt_i32_e32 vcc_lo, -1, v40
	; wave barrier
	s_wait_alu 0xfffd
	v_cndmask_b32_e64 v37, -1, 0x80000000, vcc_lo
	s_delay_alu instid0(VALU_DEP_1) | instskip(NEXT) | instid1(VALU_DEP_1)
	v_xor_b32_e32 v183, v37, v40
	v_cmp_ne_u32_e32 vcc_lo, 0x7fffffff, v183
	s_wait_alu 0xfffd
	v_cndmask_b32_e32 v37, 0x80000000, v183, vcc_lo
	s_delay_alu instid0(VALU_DEP_1) | instskip(NEXT) | instid1(VALU_DEP_1)
	v_lshrrev_b32_e32 v37, s49, v37
	v_and_b32_e32 v40, s48, v37
	s_delay_alu instid0(VALU_DEP_1)
	v_and_b32_e32 v37, 1, v40
	v_lshlrev_b32_e32 v41, 30, v40
	v_lshlrev_b32_e32 v42, 29, v40
	;; [unrolled: 1-line block ×4, first 2 shown]
	v_add_co_u32 v37, s15, v37, -1
	s_wait_alu 0xf1ff
	v_cndmask_b32_e64 v187, 0, 1, s15
	v_not_b32_e32 v191, v41
	v_cmp_gt_i32_e64 s15, 0, v41
	v_not_b32_e32 v41, v42
	v_lshlrev_b32_e32 v189, 26, v40
	v_cmp_ne_u32_e32 vcc_lo, 0, v187
	v_ashrrev_i32_e32 v191, 31, v191
	v_lshlrev_b32_e32 v190, 25, v40
	v_ashrrev_i32_e32 v41, 31, v41
	v_lshlrev_b32_e32 v187, 24, v40
	s_wait_alu 0xfffd
	v_xor_b32_e32 v37, vcc_lo, v37
	v_cmp_gt_i32_e32 vcc_lo, 0, v42
	v_not_b32_e32 v42, v43
	s_wait_alu 0xf1ff
	v_xor_b32_e32 v191, s15, v191
	v_cmp_gt_i32_e64 s15, 0, v43
	v_and_b32_e32 v37, exec_lo, v37
	v_not_b32_e32 v43, v188
	v_ashrrev_i32_e32 v42, 31, v42
	s_wait_alu 0xfffd
	v_xor_b32_e32 v41, vcc_lo, v41
	v_cmp_gt_i32_e32 vcc_lo, 0, v188
	v_and_b32_e32 v37, v37, v191
	v_not_b32_e32 v188, v189
	v_ashrrev_i32_e32 v43, 31, v43
	s_wait_alu 0xf1ff
	v_xor_b32_e32 v42, s15, v42
	v_cmp_gt_i32_e64 s15, 0, v189
	v_and_b32_e32 v37, v37, v41
	v_not_b32_e32 v41, v190
	v_ashrrev_i32_e32 v188, 31, v188
	s_wait_alu 0xfffd
	v_xor_b32_e32 v43, vcc_lo, v43
	v_cmp_gt_i32_e32 vcc_lo, 0, v190
	v_and_b32_e32 v37, v37, v42
	v_not_b32_e32 v42, v187
	v_ashrrev_i32_e32 v41, 31, v41
	s_wait_alu 0xf1ff
	v_xor_b32_e32 v188, s15, v188
	v_cmp_gt_i32_e64 s15, 0, v187
	v_and_b32_e32 v37, v37, v43
	v_ashrrev_i32_e32 v42, 31, v42
	s_wait_alu 0xfffd
	v_xor_b32_e32 v41, vcc_lo, v41
	v_mad_u32_u24 v43, v40, 36, v118
	v_mul_u32_u24_e32 v40, 36, v40
	v_and_b32_e32 v37, v37, v188
	s_wait_alu 0xf1ff
	v_xor_b32_e32 v42, s15, v42
	ds_load_b32 v188, v43 offset:1056
	v_add_nc_u32_e32 v190, v118, v40
	v_and_b32_e32 v37, v37, v41
	; wave barrier
	s_delay_alu instid0(VALU_DEP_1) | instskip(NEXT) | instid1(VALU_DEP_1)
	v_and_b32_e32 v37, v37, v42
	v_mbcnt_lo_u32_b32 v189, v37, 0
	v_cmp_ne_u32_e64 s15, 0, v37
	s_delay_alu instid0(VALU_DEP_2)
	v_cmp_eq_u32_e32 vcc_lo, 0, v189
	s_and_b32 s16, s15, vcc_lo
	s_wait_alu 0xfffe
	s_and_saveexec_b32 s15, s16
	s_cbranch_execz .LBB1463_1041
; %bb.1040:                             ;   in Loop: Header=BB1463_979 Depth=2
	s_wait_dscnt 0x0
	v_bcnt_u32_b32 v37, v37, v188
	ds_store_b32 v190, v37 offset:1056
.LBB1463_1041:                          ;   in Loop: Header=BB1463_979 Depth=2
	s_wait_alu 0xfffe
	s_or_b32 exec_lo, exec_lo, s15
	v_cmp_lt_i32_e32 vcc_lo, -1, v39
	; wave barrier
	s_wait_alu 0xfffd
	v_cndmask_b32_e64 v37, -1, 0x80000000, vcc_lo
	s_delay_alu instid0(VALU_DEP_1) | instskip(NEXT) | instid1(VALU_DEP_1)
	v_xor_b32_e32 v187, v37, v39
	v_cmp_ne_u32_e32 vcc_lo, 0x7fffffff, v187
	s_wait_alu 0xfffd
	v_cndmask_b32_e32 v37, 0x80000000, v187, vcc_lo
	s_delay_alu instid0(VALU_DEP_1) | instskip(NEXT) | instid1(VALU_DEP_1)
	v_lshrrev_b32_e32 v37, s49, v37
	v_and_b32_e32 v39, s48, v37
	s_delay_alu instid0(VALU_DEP_1)
	v_and_b32_e32 v37, 1, v39
	v_lshlrev_b32_e32 v40, 30, v39
	v_lshlrev_b32_e32 v41, 29, v39
	;; [unrolled: 1-line block ×4, first 2 shown]
	v_add_co_u32 v37, s15, v37, -1
	s_wait_alu 0xf1ff
	v_cndmask_b32_e64 v43, 0, 1, s15
	v_not_b32_e32 v194, v40
	v_cmp_gt_i32_e64 s15, 0, v40
	v_not_b32_e32 v40, v41
	v_lshlrev_b32_e32 v192, 26, v39
	v_cmp_ne_u32_e32 vcc_lo, 0, v43
	v_ashrrev_i32_e32 v194, 31, v194
	v_lshlrev_b32_e32 v193, 25, v39
	v_ashrrev_i32_e32 v40, 31, v40
	v_lshlrev_b32_e32 v43, 24, v39
	s_wait_alu 0xfffd
	v_xor_b32_e32 v37, vcc_lo, v37
	v_cmp_gt_i32_e32 vcc_lo, 0, v41
	v_not_b32_e32 v41, v42
	s_wait_alu 0xf1ff
	v_xor_b32_e32 v194, s15, v194
	v_cmp_gt_i32_e64 s15, 0, v42
	v_and_b32_e32 v37, exec_lo, v37
	v_not_b32_e32 v42, v191
	v_ashrrev_i32_e32 v41, 31, v41
	s_wait_alu 0xfffd
	v_xor_b32_e32 v40, vcc_lo, v40
	v_cmp_gt_i32_e32 vcc_lo, 0, v191
	v_and_b32_e32 v37, v37, v194
	v_not_b32_e32 v191, v192
	v_ashrrev_i32_e32 v42, 31, v42
	s_wait_alu 0xf1ff
	v_xor_b32_e32 v41, s15, v41
	v_cmp_gt_i32_e64 s15, 0, v192
	v_and_b32_e32 v37, v37, v40
	v_not_b32_e32 v40, v193
	v_ashrrev_i32_e32 v191, 31, v191
	s_wait_alu 0xfffd
	v_xor_b32_e32 v42, vcc_lo, v42
	v_cmp_gt_i32_e32 vcc_lo, 0, v193
	v_and_b32_e32 v37, v37, v41
	v_not_b32_e32 v41, v43
	v_ashrrev_i32_e32 v40, 31, v40
	s_wait_alu 0xf1ff
	v_xor_b32_e32 v191, s15, v191
	v_cmp_gt_i32_e64 s15, 0, v43
	v_and_b32_e32 v37, v37, v42
	v_ashrrev_i32_e32 v41, 31, v41
	s_wait_alu 0xfffd
	v_xor_b32_e32 v40, vcc_lo, v40
	v_mad_u32_u24 v42, v39, 36, v118
	v_mul_u32_u24_e32 v39, 36, v39
	v_and_b32_e32 v37, v37, v191
	s_wait_alu 0xf1ff
	v_xor_b32_e32 v41, s15, v41
	ds_load_b32 v192, v42 offset:1056
	v_add_nc_u32_e32 v194, v118, v39
	v_and_b32_e32 v37, v37, v40
	; wave barrier
	s_delay_alu instid0(VALU_DEP_1) | instskip(NEXT) | instid1(VALU_DEP_1)
	v_and_b32_e32 v37, v37, v41
	v_mbcnt_lo_u32_b32 v193, v37, 0
	v_cmp_ne_u32_e64 s15, 0, v37
	s_delay_alu instid0(VALU_DEP_2)
	v_cmp_eq_u32_e32 vcc_lo, 0, v193
	s_and_b32 s16, s15, vcc_lo
	s_wait_alu 0xfffe
	s_and_saveexec_b32 s15, s16
	s_cbranch_execz .LBB1463_1043
; %bb.1042:                             ;   in Loop: Header=BB1463_979 Depth=2
	s_wait_dscnt 0x0
	v_bcnt_u32_b32 v37, v37, v192
	ds_store_b32 v194, v37 offset:1056
.LBB1463_1043:                          ;   in Loop: Header=BB1463_979 Depth=2
	s_wait_alu 0xfffe
	s_or_b32 exec_lo, exec_lo, s15
	v_cmp_lt_i32_e32 vcc_lo, -1, v38
	; wave barrier
	s_wait_alu 0xfffd
	v_cndmask_b32_e64 v37, -1, 0x80000000, vcc_lo
	s_delay_alu instid0(VALU_DEP_1) | instskip(NEXT) | instid1(VALU_DEP_1)
	v_xor_b32_e32 v191, v37, v38
	v_cmp_ne_u32_e32 vcc_lo, 0x7fffffff, v191
	s_wait_alu 0xfffd
	v_cndmask_b32_e32 v37, 0x80000000, v191, vcc_lo
	s_delay_alu instid0(VALU_DEP_1) | instskip(NEXT) | instid1(VALU_DEP_1)
	v_lshrrev_b32_e32 v37, s49, v37
	v_and_b32_e32 v38, s48, v37
	s_delay_alu instid0(VALU_DEP_1)
	v_and_b32_e32 v37, 1, v38
	v_lshlrev_b32_e32 v39, 30, v38
	v_lshlrev_b32_e32 v40, 29, v38
	;; [unrolled: 1-line block ×4, first 2 shown]
	v_add_co_u32 v37, s15, v37, -1
	s_wait_alu 0xf1ff
	v_cndmask_b32_e64 v42, 0, 1, s15
	v_not_b32_e32 v197, v39
	v_cmp_gt_i32_e64 s15, 0, v39
	v_not_b32_e32 v39, v40
	v_lshlrev_b32_e32 v195, 26, v38
	v_cmp_ne_u32_e32 vcc_lo, 0, v42
	v_ashrrev_i32_e32 v197, 31, v197
	v_lshlrev_b32_e32 v196, 25, v38
	v_ashrrev_i32_e32 v39, 31, v39
	v_lshlrev_b32_e32 v42, 24, v38
	s_wait_alu 0xfffd
	v_xor_b32_e32 v37, vcc_lo, v37
	v_cmp_gt_i32_e32 vcc_lo, 0, v40
	v_not_b32_e32 v40, v41
	s_wait_alu 0xf1ff
	v_xor_b32_e32 v197, s15, v197
	v_cmp_gt_i32_e64 s15, 0, v41
	v_and_b32_e32 v37, exec_lo, v37
	v_not_b32_e32 v41, v43
	v_ashrrev_i32_e32 v40, 31, v40
	s_wait_alu 0xfffd
	v_xor_b32_e32 v39, vcc_lo, v39
	v_cmp_gt_i32_e32 vcc_lo, 0, v43
	v_and_b32_e32 v37, v37, v197
	v_not_b32_e32 v43, v195
	v_ashrrev_i32_e32 v41, 31, v41
	s_wait_alu 0xf1ff
	v_xor_b32_e32 v40, s15, v40
	v_cmp_gt_i32_e64 s15, 0, v195
	v_and_b32_e32 v37, v37, v39
	v_not_b32_e32 v39, v196
	v_ashrrev_i32_e32 v43, 31, v43
	s_wait_alu 0xfffd
	v_xor_b32_e32 v41, vcc_lo, v41
	v_cmp_gt_i32_e32 vcc_lo, 0, v196
	v_and_b32_e32 v37, v37, v40
	v_not_b32_e32 v40, v42
	v_ashrrev_i32_e32 v39, 31, v39
	s_wait_alu 0xf1ff
	v_xor_b32_e32 v43, s15, v43
	v_cmp_gt_i32_e64 s15, 0, v42
	v_and_b32_e32 v37, v37, v41
	v_ashrrev_i32_e32 v40, 31, v40
	s_wait_alu 0xfffd
	v_xor_b32_e32 v39, vcc_lo, v39
	v_mad_u32_u24 v41, v38, 36, v118
	v_mul_u32_u24_e32 v38, 36, v38
	v_and_b32_e32 v37, v37, v43
	s_wait_alu 0xf1ff
	v_xor_b32_e32 v40, s15, v40
	ds_load_b32 v196, v41 offset:1056
	v_add_nc_u32_e32 v198, v118, v38
	v_and_b32_e32 v37, v37, v39
	; wave barrier
	s_delay_alu instid0(VALU_DEP_1) | instskip(NEXT) | instid1(VALU_DEP_1)
	v_and_b32_e32 v37, v37, v40
	v_mbcnt_lo_u32_b32 v197, v37, 0
	v_cmp_ne_u32_e64 s15, 0, v37
	s_delay_alu instid0(VALU_DEP_2)
	v_cmp_eq_u32_e32 vcc_lo, 0, v197
	s_and_b32 s16, s15, vcc_lo
	s_wait_alu 0xfffe
	s_and_saveexec_b32 s15, s16
	s_cbranch_execz .LBB1463_1045
; %bb.1044:                             ;   in Loop: Header=BB1463_979 Depth=2
	s_wait_dscnt 0x0
	v_bcnt_u32_b32 v37, v37, v196
	ds_store_b32 v198, v37 offset:1056
.LBB1463_1045:                          ;   in Loop: Header=BB1463_979 Depth=2
	s_wait_alu 0xfffe
	s_or_b32 exec_lo, exec_lo, s15
	v_cmp_lt_i32_e32 vcc_lo, -1, v36
	; wave barrier
	s_wait_alu 0xfffd
	v_cndmask_b32_e64 v37, -1, 0x80000000, vcc_lo
	s_delay_alu instid0(VALU_DEP_1) | instskip(NEXT) | instid1(VALU_DEP_1)
	v_xor_b32_e32 v195, v37, v36
	v_cmp_ne_u32_e32 vcc_lo, 0x7fffffff, v195
	s_wait_alu 0xfffd
	v_cndmask_b32_e32 v36, 0x80000000, v195, vcc_lo
	s_delay_alu instid0(VALU_DEP_1) | instskip(NEXT) | instid1(VALU_DEP_1)
	v_lshrrev_b32_e32 v36, s49, v36
	v_and_b32_e32 v37, s48, v36
	s_delay_alu instid0(VALU_DEP_1)
	v_and_b32_e32 v36, 1, v37
	v_lshlrev_b32_e32 v38, 30, v37
	v_lshlrev_b32_e32 v39, 29, v37
	;; [unrolled: 1-line block ×4, first 2 shown]
	v_add_co_u32 v36, s15, v36, -1
	s_wait_alu 0xf1ff
	v_cndmask_b32_e64 v41, 0, 1, s15
	v_not_b32_e32 v200, v38
	v_cmp_gt_i32_e64 s15, 0, v38
	v_not_b32_e32 v38, v39
	v_lshlrev_b32_e32 v43, 26, v37
	v_cmp_ne_u32_e32 vcc_lo, 0, v41
	v_ashrrev_i32_e32 v200, 31, v200
	v_lshlrev_b32_e32 v199, 25, v37
	v_ashrrev_i32_e32 v38, 31, v38
	v_lshlrev_b32_e32 v41, 24, v37
	s_wait_alu 0xfffd
	v_xor_b32_e32 v36, vcc_lo, v36
	v_cmp_gt_i32_e32 vcc_lo, 0, v39
	v_not_b32_e32 v39, v40
	s_wait_alu 0xf1ff
	v_xor_b32_e32 v200, s15, v200
	v_cmp_gt_i32_e64 s15, 0, v40
	v_and_b32_e32 v36, exec_lo, v36
	v_not_b32_e32 v40, v42
	v_ashrrev_i32_e32 v39, 31, v39
	s_wait_alu 0xfffd
	v_xor_b32_e32 v38, vcc_lo, v38
	v_cmp_gt_i32_e32 vcc_lo, 0, v42
	v_and_b32_e32 v36, v36, v200
	v_not_b32_e32 v42, v43
	v_ashrrev_i32_e32 v40, 31, v40
	s_wait_alu 0xf1ff
	v_xor_b32_e32 v39, s15, v39
	v_cmp_gt_i32_e64 s15, 0, v43
	v_and_b32_e32 v36, v36, v38
	v_not_b32_e32 v38, v199
	v_ashrrev_i32_e32 v42, 31, v42
	s_wait_alu 0xfffd
	v_xor_b32_e32 v40, vcc_lo, v40
	v_cmp_gt_i32_e32 vcc_lo, 0, v199
	v_and_b32_e32 v36, v36, v39
	v_not_b32_e32 v39, v41
	v_ashrrev_i32_e32 v38, 31, v38
	s_wait_alu 0xf1ff
	v_xor_b32_e32 v42, s15, v42
	v_cmp_gt_i32_e64 s15, 0, v41
	v_and_b32_e32 v36, v36, v40
	v_ashrrev_i32_e32 v39, 31, v39
	s_wait_alu 0xfffd
	v_xor_b32_e32 v38, vcc_lo, v38
	v_mad_u32_u24 v40, v37, 36, v118
	v_mul_u32_u24_e32 v37, 36, v37
	v_and_b32_e32 v36, v36, v42
	s_wait_alu 0xf1ff
	v_xor_b32_e32 v39, s15, v39
	ds_load_b32 v199, v40 offset:1056
	v_add_nc_u32_e32 v201, v118, v37
	v_and_b32_e32 v36, v36, v38
	; wave barrier
	s_delay_alu instid0(VALU_DEP_1) | instskip(NEXT) | instid1(VALU_DEP_1)
	v_and_b32_e32 v36, v36, v39
	v_mbcnt_lo_u32_b32 v200, v36, 0
	v_cmp_ne_u32_e64 s15, 0, v36
	s_delay_alu instid0(VALU_DEP_2)
	v_cmp_eq_u32_e32 vcc_lo, 0, v200
	s_and_b32 s16, s15, vcc_lo
	s_wait_alu 0xfffe
	s_and_saveexec_b32 s15, s16
	s_cbranch_execz .LBB1463_1047
; %bb.1046:                             ;   in Loop: Header=BB1463_979 Depth=2
	s_wait_dscnt 0x0
	v_bcnt_u32_b32 v36, v36, v199
	ds_store_b32 v201, v36 offset:1056
.LBB1463_1047:                          ;   in Loop: Header=BB1463_979 Depth=2
	s_wait_alu 0xfffe
	s_or_b32 exec_lo, exec_lo, s15
	; wave barrier
	s_wait_loadcnt_dscnt 0x0
	s_barrier_signal -1
	s_barrier_wait -1
	global_inv scope:SCOPE_SE
	ds_load_2addr_b32 v[42:43], v139 offset1:1
	ds_load_2addr_b32 v[40:41], v140 offset1:1
	;; [unrolled: 1-line block ×4, first 2 shown]
	ds_load_b32 v202, v67 offset:1088
	s_wait_dscnt 0x3
	v_add3_u32 v203, v43, v42, v40
	s_wait_dscnt 0x2
	s_delay_alu instid0(VALU_DEP_1) | instskip(SKIP_1) | instid1(VALU_DEP_1)
	v_add3_u32 v203, v203, v41, v38
	s_wait_dscnt 0x1
	v_add3_u32 v203, v203, v39, v36
	s_wait_dscnt 0x0
	s_delay_alu instid0(VALU_DEP_1) | instskip(NEXT) | instid1(VALU_DEP_1)
	v_add3_u32 v202, v203, v37, v202
	v_mov_b32_dpp v203, v202 row_shr:1 row_mask:0xf bank_mask:0xf
	s_delay_alu instid0(VALU_DEP_1) | instskip(NEXT) | instid1(VALU_DEP_1)
	v_cndmask_b32_e64 v203, v203, 0, s0
	v_add_nc_u32_e32 v202, v203, v202
	s_delay_alu instid0(VALU_DEP_1) | instskip(NEXT) | instid1(VALU_DEP_1)
	v_mov_b32_dpp v203, v202 row_shr:2 row_mask:0xf bank_mask:0xf
	v_cndmask_b32_e64 v203, 0, v203, s1
	s_delay_alu instid0(VALU_DEP_1) | instskip(NEXT) | instid1(VALU_DEP_1)
	v_add_nc_u32_e32 v202, v202, v203
	v_mov_b32_dpp v203, v202 row_shr:4 row_mask:0xf bank_mask:0xf
	s_delay_alu instid0(VALU_DEP_1) | instskip(NEXT) | instid1(VALU_DEP_1)
	v_cndmask_b32_e64 v203, 0, v203, s9
	v_add_nc_u32_e32 v202, v202, v203
	s_delay_alu instid0(VALU_DEP_1) | instskip(NEXT) | instid1(VALU_DEP_1)
	v_mov_b32_dpp v203, v202 row_shr:8 row_mask:0xf bank_mask:0xf
	v_cndmask_b32_e64 v203, 0, v203, s10
	s_delay_alu instid0(VALU_DEP_1) | instskip(SKIP_3) | instid1(VALU_DEP_1)
	v_add_nc_u32_e32 v202, v202, v203
	ds_swizzle_b32 v203, v202 offset:swizzle(BROADCAST,32,15)
	s_wait_dscnt 0x0
	v_cndmask_b32_e64 v203, v203, 0, s11
	v_add_nc_u32_e32 v202, v202, v203
	s_and_saveexec_b32 s15, s3
; %bb.1048:                             ;   in Loop: Header=BB1463_979 Depth=2
	ds_store_b32 v63, v202 offset:1024
; %bb.1049:                             ;   in Loop: Header=BB1463_979 Depth=2
	s_wait_alu 0xfffe
	s_or_b32 exec_lo, exec_lo, s15
	s_wait_loadcnt_dscnt 0x0
	s_barrier_signal -1
	s_barrier_wait -1
	global_inv scope:SCOPE_SE
	s_and_saveexec_b32 s15, s4
	s_cbranch_execz .LBB1463_1051
; %bb.1050:                             ;   in Loop: Header=BB1463_979 Depth=2
	ds_load_b32 v203, v70 offset:1024
	s_wait_dscnt 0x0
	v_mov_b32_dpp v204, v203 row_shr:1 row_mask:0xf bank_mask:0xf
	s_delay_alu instid0(VALU_DEP_1) | instskip(NEXT) | instid1(VALU_DEP_1)
	v_cndmask_b32_e64 v204, v204, 0, s12
	v_add_nc_u32_e32 v203, v204, v203
	s_delay_alu instid0(VALU_DEP_1) | instskip(NEXT) | instid1(VALU_DEP_1)
	v_mov_b32_dpp v204, v203 row_shr:2 row_mask:0xf bank_mask:0xf
	v_cndmask_b32_e64 v204, 0, v204, s13
	s_delay_alu instid0(VALU_DEP_1) | instskip(NEXT) | instid1(VALU_DEP_1)
	v_add_nc_u32_e32 v203, v203, v204
	v_mov_b32_dpp v204, v203 row_shr:4 row_mask:0xf bank_mask:0xf
	s_delay_alu instid0(VALU_DEP_1) | instskip(NEXT) | instid1(VALU_DEP_1)
	v_cndmask_b32_e64 v204, 0, v204, s14
	v_add_nc_u32_e32 v203, v203, v204
	ds_store_b32 v70, v203 offset:1024
.LBB1463_1051:                          ;   in Loop: Header=BB1463_979 Depth=2
	s_wait_alu 0xfffe
	s_or_b32 exec_lo, exec_lo, s15
	v_mov_b32_e32 v203, 0
	s_wait_loadcnt_dscnt 0x0
	s_barrier_signal -1
	s_barrier_wait -1
	global_inv scope:SCOPE_SE
	s_and_saveexec_b32 s15, s5
; %bb.1052:                             ;   in Loop: Header=BB1463_979 Depth=2
	ds_load_b32 v203, v63 offset:1020
; %bb.1053:                             ;   in Loop: Header=BB1463_979 Depth=2
	s_wait_alu 0xfffe
	s_or_b32 exec_lo, exec_lo, s15
	s_wait_dscnt 0x0
	v_add_nc_u32_e32 v202, v203, v202
	ds_bpermute_b32 v202, v113, v202
	s_wait_dscnt 0x0
	v_cndmask_b32_e64 v202, v202, v203, s8
	s_delay_alu instid0(VALU_DEP_1) | instskip(NEXT) | instid1(VALU_DEP_1)
	v_cndmask_b32_e64 v202, v202, 0, s6
	v_add_nc_u32_e32 v42, v202, v42
	s_delay_alu instid0(VALU_DEP_1) | instskip(NEXT) | instid1(VALU_DEP_1)
	v_add_nc_u32_e32 v43, v42, v43
	v_add_nc_u32_e32 v40, v43, v40
	s_delay_alu instid0(VALU_DEP_1) | instskip(NEXT) | instid1(VALU_DEP_1)
	v_add_nc_u32_e32 v41, v40, v41
	;; [unrolled: 3-line block ×3, first 2 shown]
	v_add_nc_u32_e32 v36, v39, v36
	s_delay_alu instid0(VALU_DEP_1)
	v_add_nc_u32_e32 v37, v36, v37
	ds_store_2addr_b32 v138, v39, v36 offset1:1
	ds_store_2addr_b32 v139, v202, v42 offset1:1
	ds_store_2addr_b32 v140, v43, v40 offset1:1
	ds_store_2addr_b32 v141, v41, v38 offset1:1
	ds_store_b32 v67, v37 offset:1088
	s_wait_loadcnt_dscnt 0x0
	s_barrier_signal -1
	s_barrier_wait -1
	global_inv scope:SCOPE_SE
	ds_load_b32 v39, v142 offset:1056
	ds_load_b32 v41, v146 offset:1056
	;; [unrolled: 1-line block ×17, first 2 shown]
	v_mov_b32_e32 v38, 0x1000
	s_and_saveexec_b32 s15, s7
; %bb.1054:                             ;   in Loop: Header=BB1463_979 Depth=2
	ds_load_b32 v38, v67 offset:1092
; %bb.1055:                             ;   in Loop: Header=BB1463_979 Depth=2
	s_wait_alu 0xfffe
	s_or_b32 exec_lo, exec_lo, s15
	s_wait_loadcnt_dscnt 0x0
	s_barrier_signal -1
	s_barrier_wait -1
	global_inv scope:SCOPE_SE
	s_and_saveexec_b32 s15, s2
	s_cbranch_execz .LBB1463_1057
; %bb.1056:                             ;   in Loop: Header=BB1463_979 Depth=2
	ds_load_b32 v142, v44
	s_wait_dscnt 0x0
	v_sub_nc_u32_e32 v141, v142, v141
	ds_store_b32 v44, v141
.LBB1463_1057:                          ;   in Loop: Header=BB1463_979 Depth=2
	s_wait_alu 0xfffe
	s_or_b32 exec_lo, exec_lo, s15
	v_add_nc_u32_e32 v154, v39, v137
	v_add3_u32 v150, v145, v144, v41
	v_add3_u32 v146, v149, v148, v42
	;; [unrolled: 1-line block ×4, first 2 shown]
	v_lshlrev_b32_e32 v148, 2, v154
	v_add3_u32 v142, v161, v160, v139
	v_add3_u32 v141, v165, v164, v140
	;; [unrolled: 1-line block ×4, first 2 shown]
	ds_store_b32 v148, v2 offset:1024
	v_lshlrev_b32_e32 v2, 2, v150
	v_lshlrev_b32_e32 v36, 2, v146
	v_add3_u32 v139, v173, v172, v167
	v_add3_u32 v42, v193, v192, v37
	v_lshlrev_b32_e32 v37, 2, v145
	v_add3_u32 v138, v177, v176, v170
	v_lshlrev_b32_e32 v148, 2, v144
	;; [unrolled: 2-line block ×3, first 2 shown]
	v_add3_u32 v39, v185, v184, v178
	ds_store_b32 v2, v136 offset:1024
	ds_store_b32 v36, v143 offset:1024
	;; [unrolled: 1-line block ×5, first 2 shown]
	v_lshlrev_b32_e32 v2, 2, v141
	v_lshlrev_b32_e32 v36, 2, v140
	v_lshlrev_b32_e32 v37, 2, v139
	v_add3_u32 v41, v197, v196, v40
	v_lshlrev_b32_e32 v136, 2, v138
	v_add3_u32 v40, v200, v199, v158
	v_lshlrev_b32_e32 v143, 2, v137
	ds_store_b32 v2, v159 offset:1024
	ds_store_b32 v36, v163 offset:1024
	;; [unrolled: 1-line block ×5, first 2 shown]
	v_lshlrev_b32_e32 v2, 2, v39
	v_cmp_lt_u32_e32 vcc_lo, v1, v135
	v_lshlrev_b32_e32 v36, 2, v43
	v_lshlrev_b32_e32 v37, 2, v42
	;; [unrolled: 1-line block ×4, first 2 shown]
	ds_store_b32 v2, v179 offset:1024
	ds_store_b32 v36, v183 offset:1024
	;; [unrolled: 1-line block ×5, first 2 shown]
	s_wait_loadcnt_dscnt 0x0
	s_barrier_signal -1
	s_barrier_wait -1
	global_inv scope:SCOPE_SE
	s_and_saveexec_b32 s16, vcc_lo
	s_cbranch_execnz .LBB1463_1126
; %bb.1058:                             ;   in Loop: Header=BB1463_979 Depth=2
	s_wait_alu 0xfffe
	s_or_b32 exec_lo, exec_lo, s16
	v_cmp_lt_u32_e64 s15, v45, v135
	s_and_saveexec_b32 s17, s15
	s_cbranch_execnz .LBB1463_1127
.LBB1463_1059:                          ;   in Loop: Header=BB1463_979 Depth=2
	s_wait_alu 0xfffe
	s_or_b32 exec_lo, exec_lo, s17
	v_cmp_lt_u32_e64 s16, v46, v135
	s_and_saveexec_b32 s18, s16
	s_cbranch_execnz .LBB1463_1128
.LBB1463_1060:                          ;   in Loop: Header=BB1463_979 Depth=2
	s_wait_alu 0xfffe
	s_or_b32 exec_lo, exec_lo, s18
	v_cmp_lt_u32_e64 s17, v47, v135
	s_and_saveexec_b32 s19, s17
	s_cbranch_execnz .LBB1463_1129
.LBB1463_1061:                          ;   in Loop: Header=BB1463_979 Depth=2
	s_wait_alu 0xfffe
	s_or_b32 exec_lo, exec_lo, s19
	v_cmp_lt_u32_e64 s18, v50, v135
	s_and_saveexec_b32 s20, s18
	s_cbranch_execnz .LBB1463_1130
.LBB1463_1062:                          ;   in Loop: Header=BB1463_979 Depth=2
	s_wait_alu 0xfffe
	s_or_b32 exec_lo, exec_lo, s20
	v_cmp_lt_u32_e64 s19, v51, v135
	s_and_saveexec_b32 s21, s19
	s_cbranch_execnz .LBB1463_1131
.LBB1463_1063:                          ;   in Loop: Header=BB1463_979 Depth=2
	s_wait_alu 0xfffe
	s_or_b32 exec_lo, exec_lo, s21
	v_cmp_lt_u32_e64 s20, v52, v135
	s_and_saveexec_b32 s22, s20
	s_cbranch_execnz .LBB1463_1132
.LBB1463_1064:                          ;   in Loop: Header=BB1463_979 Depth=2
	s_wait_alu 0xfffe
	s_or_b32 exec_lo, exec_lo, s22
	v_cmp_lt_u32_e64 s21, v53, v135
	s_and_saveexec_b32 s23, s21
	s_cbranch_execnz .LBB1463_1133
.LBB1463_1065:                          ;   in Loop: Header=BB1463_979 Depth=2
	s_wait_alu 0xfffe
	s_or_b32 exec_lo, exec_lo, s23
	v_cmp_lt_u32_e64 s22, v54, v135
	s_and_saveexec_b32 s24, s22
	s_cbranch_execnz .LBB1463_1134
.LBB1463_1066:                          ;   in Loop: Header=BB1463_979 Depth=2
	s_wait_alu 0xfffe
	s_or_b32 exec_lo, exec_lo, s24
	v_cmp_lt_u32_e64 s23, v55, v135
	s_and_saveexec_b32 s25, s23
	s_cbranch_execnz .LBB1463_1135
.LBB1463_1067:                          ;   in Loop: Header=BB1463_979 Depth=2
	s_wait_alu 0xfffe
	s_or_b32 exec_lo, exec_lo, s25
	v_cmp_lt_u32_e64 s24, v56, v135
	s_and_saveexec_b32 s26, s24
	s_cbranch_execnz .LBB1463_1136
.LBB1463_1068:                          ;   in Loop: Header=BB1463_979 Depth=2
	s_wait_alu 0xfffe
	s_or_b32 exec_lo, exec_lo, s26
	v_cmp_lt_u32_e64 s25, v57, v135
	s_and_saveexec_b32 s27, s25
	s_cbranch_execnz .LBB1463_1137
.LBB1463_1069:                          ;   in Loop: Header=BB1463_979 Depth=2
	s_wait_alu 0xfffe
	s_or_b32 exec_lo, exec_lo, s27
	v_cmp_lt_u32_e64 s26, v58, v135
	s_and_saveexec_b32 s28, s26
	s_cbranch_execnz .LBB1463_1138
.LBB1463_1070:                          ;   in Loop: Header=BB1463_979 Depth=2
	s_wait_alu 0xfffe
	s_or_b32 exec_lo, exec_lo, s28
	v_cmp_lt_u32_e64 s27, v59, v135
	s_and_saveexec_b32 s29, s27
	s_cbranch_execnz .LBB1463_1139
.LBB1463_1071:                          ;   in Loop: Header=BB1463_979 Depth=2
	s_wait_alu 0xfffe
	s_or_b32 exec_lo, exec_lo, s29
	v_cmp_lt_u32_e64 s28, v60, v135
	s_and_saveexec_b32 s30, s28
	s_cbranch_execnz .LBB1463_1140
.LBB1463_1072:                          ;   in Loop: Header=BB1463_979 Depth=2
	s_wait_alu 0xfffe
	s_or_b32 exec_lo, exec_lo, s30
	v_cmp_lt_u32_e64 s29, v61, v135
	s_and_saveexec_b32 s56, s29
	s_cbranch_execz .LBB1463_1074
.LBB1463_1073:                          ;   in Loop: Header=BB1463_979 Depth=2
	ds_load_b32 v136, v70 offset:16384
	s_wait_dscnt 0x0
	v_cmp_ne_u32_e64 s30, 0x7fffffff, v136
	s_wait_alu 0xf1ff
	s_delay_alu instid0(VALU_DEP_1) | instskip(SKIP_1) | instid1(VALU_DEP_2)
	v_cndmask_b32_e64 v2, 0x80000000, v136, s30
	v_cmp_lt_i32_e64 s30, -1, v136
	v_lshrrev_b32_e32 v2, s49, v2
	s_wait_alu 0xf1ff
	s_delay_alu instid0(VALU_DEP_2) | instskip(NEXT) | instid1(VALU_DEP_2)
	v_cndmask_b32_e64 v143, 0x80000000, -1, s30
	v_and_b32_e32 v2, s48, v2
	s_delay_alu instid0(VALU_DEP_1) | instskip(SKIP_3) | instid1(VALU_DEP_1)
	v_lshlrev_b32_e32 v2, 2, v2
	ds_load_b32 v2, v2
	s_wait_dscnt 0x0
	v_add_nc_u32_e32 v2, v2, v61
	v_lshlrev_b64_e32 v[36:37], 2, v[2:3]
	v_xor_b32_e32 v2, v143, v136
	s_delay_alu instid0(VALU_DEP_2) | instskip(SKIP_1) | instid1(VALU_DEP_3)
	v_add_co_u32 v36, s30, s40, v36
	s_wait_alu 0xf1ff
	v_add_co_ci_u32_e64 v37, null, s41, v37, s30
	global_store_b32 v[36:37], v2, off
.LBB1463_1074:                          ;   in Loop: Header=BB1463_979 Depth=2
	s_wait_alu 0xfffe
	s_or_b32 exec_lo, exec_lo, s56
	s_lshl_b64 s[56:57], s[42:43], 3
	s_wait_alu 0xfffe
	v_add_co_u32 v36, s30, v114, s56
	s_wait_alu 0xf1ff
	v_add_co_ci_u32_e64 v37, null, s57, v115, s30
	v_cmp_lt_u32_e64 s30, v88, v135
	s_and_saveexec_b32 s42, s30
	s_wait_alu 0xfffe
	s_xor_b32 s30, exec_lo, s42
	s_cbranch_execnz .LBB1463_1141
; %bb.1075:                             ;   in Loop: Header=BB1463_979 Depth=2
	s_wait_alu 0xfffe
	s_or_b32 exec_lo, exec_lo, s30
	s_delay_alu instid0(SALU_CYCLE_1)
	s_mov_b32 s42, exec_lo
	v_cmpx_lt_u32_e64 v92, v135
	s_cbranch_execnz .LBB1463_1142
.LBB1463_1076:                          ;   in Loop: Header=BB1463_979 Depth=2
	s_wait_alu 0xfffe
	s_or_b32 exec_lo, exec_lo, s42
	s_delay_alu instid0(SALU_CYCLE_1)
	s_mov_b32 s42, exec_lo
	v_cmpx_lt_u32_e64 v93, v135
	s_cbranch_execnz .LBB1463_1143
.LBB1463_1077:                          ;   in Loop: Header=BB1463_979 Depth=2
	s_wait_alu 0xfffe
	s_or_b32 exec_lo, exec_lo, s42
	s_delay_alu instid0(SALU_CYCLE_1)
	s_mov_b32 s42, exec_lo
	v_cmpx_lt_u32_e64 v94, v135
	s_cbranch_execnz .LBB1463_1144
.LBB1463_1078:                          ;   in Loop: Header=BB1463_979 Depth=2
	s_wait_alu 0xfffe
	s_or_b32 exec_lo, exec_lo, s42
	s_delay_alu instid0(SALU_CYCLE_1)
	s_mov_b32 s42, exec_lo
	v_cmpx_lt_u32_e64 v95, v135
	s_cbranch_execnz .LBB1463_1145
.LBB1463_1079:                          ;   in Loop: Header=BB1463_979 Depth=2
	s_wait_alu 0xfffe
	s_or_b32 exec_lo, exec_lo, s42
	s_delay_alu instid0(SALU_CYCLE_1)
	s_mov_b32 s42, exec_lo
	v_cmpx_lt_u32_e64 v96, v135
	s_cbranch_execnz .LBB1463_1146
.LBB1463_1080:                          ;   in Loop: Header=BB1463_979 Depth=2
	s_wait_alu 0xfffe
	s_or_b32 exec_lo, exec_lo, s42
	s_delay_alu instid0(SALU_CYCLE_1)
	s_mov_b32 s42, exec_lo
	v_cmpx_lt_u32_e64 v97, v135
	s_cbranch_execnz .LBB1463_1147
.LBB1463_1081:                          ;   in Loop: Header=BB1463_979 Depth=2
	s_wait_alu 0xfffe
	s_or_b32 exec_lo, exec_lo, s42
	s_delay_alu instid0(SALU_CYCLE_1)
	s_mov_b32 s42, exec_lo
	v_cmpx_lt_u32_e64 v98, v135
	s_cbranch_execnz .LBB1463_1148
.LBB1463_1082:                          ;   in Loop: Header=BB1463_979 Depth=2
	s_wait_alu 0xfffe
	s_or_b32 exec_lo, exec_lo, s42
	s_delay_alu instid0(SALU_CYCLE_1)
	s_mov_b32 s42, exec_lo
	v_cmpx_lt_u32_e64 v99, v135
	s_cbranch_execnz .LBB1463_1149
.LBB1463_1083:                          ;   in Loop: Header=BB1463_979 Depth=2
	s_wait_alu 0xfffe
	s_or_b32 exec_lo, exec_lo, s42
	s_delay_alu instid0(SALU_CYCLE_1)
	s_mov_b32 s42, exec_lo
	v_cmpx_lt_u32_e64 v100, v135
	s_cbranch_execnz .LBB1463_1150
.LBB1463_1084:                          ;   in Loop: Header=BB1463_979 Depth=2
	s_wait_alu 0xfffe
	s_or_b32 exec_lo, exec_lo, s42
	s_delay_alu instid0(SALU_CYCLE_1)
	s_mov_b32 s42, exec_lo
	v_cmpx_lt_u32_e64 v101, v135
	s_cbranch_execnz .LBB1463_1151
.LBB1463_1085:                          ;   in Loop: Header=BB1463_979 Depth=2
	s_wait_alu 0xfffe
	s_or_b32 exec_lo, exec_lo, s42
	s_delay_alu instid0(SALU_CYCLE_1)
	s_mov_b32 s42, exec_lo
	v_cmpx_lt_u32_e64 v102, v135
	s_cbranch_execnz .LBB1463_1152
.LBB1463_1086:                          ;   in Loop: Header=BB1463_979 Depth=2
	s_wait_alu 0xfffe
	s_or_b32 exec_lo, exec_lo, s42
	s_delay_alu instid0(SALU_CYCLE_1)
	s_mov_b32 s42, exec_lo
	v_cmpx_lt_u32_e64 v103, v135
	s_cbranch_execnz .LBB1463_1153
.LBB1463_1087:                          ;   in Loop: Header=BB1463_979 Depth=2
	s_wait_alu 0xfffe
	s_or_b32 exec_lo, exec_lo, s42
	s_delay_alu instid0(SALU_CYCLE_1)
	s_mov_b32 s42, exec_lo
	v_cmpx_lt_u32_e64 v104, v135
	s_cbranch_execnz .LBB1463_1154
.LBB1463_1088:                          ;   in Loop: Header=BB1463_979 Depth=2
	s_wait_alu 0xfffe
	s_or_b32 exec_lo, exec_lo, s42
	s_delay_alu instid0(SALU_CYCLE_1)
	s_mov_b32 s42, exec_lo
	v_cmpx_lt_u32_e64 v105, v135
	s_cbranch_execnz .LBB1463_1155
.LBB1463_1089:                          ;   in Loop: Header=BB1463_979 Depth=2
	s_wait_alu 0xfffe
	s_or_b32 exec_lo, exec_lo, s42
	s_delay_alu instid0(SALU_CYCLE_1)
	s_mov_b32 s42, exec_lo
	v_cmpx_lt_u32_e64 v106, v135
	s_cbranch_execnz .LBB1463_1156
.LBB1463_1090:                          ;   in Loop: Header=BB1463_979 Depth=2
	s_wait_alu 0xfffe
	s_or_b32 exec_lo, exec_lo, s42
	s_and_saveexec_b32 s42, vcc_lo
	s_cbranch_execnz .LBB1463_1157
.LBB1463_1091:                          ;   in Loop: Header=BB1463_979 Depth=2
	s_wait_alu 0xfffe
	s_or_b32 exec_lo, exec_lo, s42
	s_and_saveexec_b32 s42, s15
	s_cbranch_execnz .LBB1463_1158
.LBB1463_1092:                          ;   in Loop: Header=BB1463_979 Depth=2
	s_wait_alu 0xfffe
	s_or_b32 exec_lo, exec_lo, s42
	s_and_saveexec_b32 s42, s16
	s_cbranch_execnz .LBB1463_1159
.LBB1463_1093:                          ;   in Loop: Header=BB1463_979 Depth=2
	s_wait_alu 0xfffe
	s_or_b32 exec_lo, exec_lo, s42
	s_and_saveexec_b32 s42, s17
	s_cbranch_execnz .LBB1463_1160
.LBB1463_1094:                          ;   in Loop: Header=BB1463_979 Depth=2
	s_wait_alu 0xfffe
	s_or_b32 exec_lo, exec_lo, s42
	s_and_saveexec_b32 s42, s18
	s_cbranch_execnz .LBB1463_1161
.LBB1463_1095:                          ;   in Loop: Header=BB1463_979 Depth=2
	s_wait_alu 0xfffe
	s_or_b32 exec_lo, exec_lo, s42
	s_and_saveexec_b32 s42, s19
	s_cbranch_execnz .LBB1463_1162
.LBB1463_1096:                          ;   in Loop: Header=BB1463_979 Depth=2
	s_wait_alu 0xfffe
	s_or_b32 exec_lo, exec_lo, s42
	s_and_saveexec_b32 s42, s20
	s_cbranch_execnz .LBB1463_1163
.LBB1463_1097:                          ;   in Loop: Header=BB1463_979 Depth=2
	s_wait_alu 0xfffe
	s_or_b32 exec_lo, exec_lo, s42
	s_and_saveexec_b32 s42, s21
	s_cbranch_execnz .LBB1463_1164
.LBB1463_1098:                          ;   in Loop: Header=BB1463_979 Depth=2
	s_wait_alu 0xfffe
	s_or_b32 exec_lo, exec_lo, s42
	s_and_saveexec_b32 s42, s22
	s_cbranch_execnz .LBB1463_1165
.LBB1463_1099:                          ;   in Loop: Header=BB1463_979 Depth=2
	s_wait_alu 0xfffe
	s_or_b32 exec_lo, exec_lo, s42
	s_and_saveexec_b32 s42, s23
	s_cbranch_execnz .LBB1463_1166
.LBB1463_1100:                          ;   in Loop: Header=BB1463_979 Depth=2
	s_wait_alu 0xfffe
	s_or_b32 exec_lo, exec_lo, s42
	s_and_saveexec_b32 s42, s24
	s_cbranch_execnz .LBB1463_1167
.LBB1463_1101:                          ;   in Loop: Header=BB1463_979 Depth=2
	s_wait_alu 0xfffe
	s_or_b32 exec_lo, exec_lo, s42
	s_and_saveexec_b32 s42, s25
	s_cbranch_execnz .LBB1463_1168
.LBB1463_1102:                          ;   in Loop: Header=BB1463_979 Depth=2
	s_wait_alu 0xfffe
	s_or_b32 exec_lo, exec_lo, s42
	s_and_saveexec_b32 s42, s26
	s_cbranch_execnz .LBB1463_1169
.LBB1463_1103:                          ;   in Loop: Header=BB1463_979 Depth=2
	s_wait_alu 0xfffe
	s_or_b32 exec_lo, exec_lo, s42
	s_and_saveexec_b32 s42, s27
	s_cbranch_execnz .LBB1463_1170
.LBB1463_1104:                          ;   in Loop: Header=BB1463_979 Depth=2
	s_wait_alu 0xfffe
	s_or_b32 exec_lo, exec_lo, s42
	s_and_saveexec_b32 s42, s28
	s_cbranch_execnz .LBB1463_1171
.LBB1463_1105:                          ;   in Loop: Header=BB1463_979 Depth=2
	s_wait_alu 0xfffe
	s_or_b32 exec_lo, exec_lo, s42
	s_and_saveexec_b32 s42, s29
	s_cbranch_execz .LBB1463_1107
.LBB1463_1106:                          ;   in Loop: Header=BB1463_979 Depth=2
	ds_load_b32 v2, v70 offset:16384
	s_wait_dscnt 0x0
	v_cmp_ne_u32_e64 s30, 0x7fffffff, v2
	s_wait_alu 0xf1ff
	s_delay_alu instid0(VALU_DEP_1) | instskip(NEXT) | instid1(VALU_DEP_1)
	v_cndmask_b32_e64 v2, 0x80000000, v2, s30
	v_lshrrev_b32_e32 v2, s49, v2
	s_delay_alu instid0(VALU_DEP_1)
	v_and_b32_e32 v119, s48, v2
.LBB1463_1107:                          ;   in Loop: Header=BB1463_979 Depth=2
	s_wait_alu 0xfffe
	s_or_b32 exec_lo, exec_lo, s42
	v_lshlrev_b32_e32 v2, 3, v154
	s_wait_loadcnt 0x0
	s_wait_storecnt 0x0
	s_barrier_signal -1
	s_barrier_wait -1
	global_inv scope:SCOPE_SE
	ds_store_b64 v2, v[34:35] offset:1024
	v_lshlrev_b32_e32 v2, 3, v150
	v_lshlrev_b32_e32 v36, 3, v146
	v_lshlrev_b32_e32 v37, 3, v145
	v_lshlrev_b32_e32 v135, 3, v144
	v_lshlrev_b32_e32 v136, 3, v142
	ds_store_b64 v2, v[32:33] offset:1024
	ds_store_b64 v36, v[30:31] offset:1024
	ds_store_b64 v37, v[28:29] offset:1024
	ds_store_b64 v135, v[26:27] offset:1024
	ds_store_b64 v136, v[24:25] offset:1024
	v_lshlrev_b32_e32 v2, 3, v141
	v_lshlrev_b32_e32 v36, 3, v140
	v_lshlrev_b32_e32 v37, 3, v139
	v_lshlrev_b32_e32 v135, 3, v138
	v_lshlrev_b32_e32 v136, 3, v137
	ds_store_b64 v2, v[22:23] offset:1024
	ds_store_b64 v36, v[20:21] offset:1024
	ds_store_b64 v37, v[18:19] offset:1024
	ds_store_b64 v135, v[16:17] offset:1024
	;; [unrolled: 10-line block ×3, first 2 shown]
	ds_store_b64 v40, v[4:5] offset:1024
	v_add_nc_u32_e32 v36, v70, v44
	s_wait_loadcnt_dscnt 0x0
	s_barrier_signal -1
	s_barrier_wait -1
	global_inv scope:SCOPE_SE
	s_and_saveexec_b32 s30, vcc_lo
	s_cbranch_execnz .LBB1463_1172
; %bb.1108:                             ;   in Loop: Header=BB1463_979 Depth=2
	s_wait_alu 0xfffe
	s_or_b32 exec_lo, exec_lo, s30
	s_and_saveexec_b32 s30, s15
	s_cbranch_execnz .LBB1463_1173
.LBB1463_1109:                          ;   in Loop: Header=BB1463_979 Depth=2
	s_wait_alu 0xfffe
	s_or_b32 exec_lo, exec_lo, s30
	s_and_saveexec_b32 s15, s16
	s_cbranch_execnz .LBB1463_1174
.LBB1463_1110:                          ;   in Loop: Header=BB1463_979 Depth=2
	s_wait_alu 0xfffe
	s_or_b32 exec_lo, exec_lo, s15
	s_and_saveexec_b32 s15, s17
	s_cbranch_execnz .LBB1463_1175
.LBB1463_1111:                          ;   in Loop: Header=BB1463_979 Depth=2
	s_wait_alu 0xfffe
	s_or_b32 exec_lo, exec_lo, s15
	s_and_saveexec_b32 s15, s18
	s_cbranch_execnz .LBB1463_1176
.LBB1463_1112:                          ;   in Loop: Header=BB1463_979 Depth=2
	s_wait_alu 0xfffe
	s_or_b32 exec_lo, exec_lo, s15
	s_and_saveexec_b32 s15, s19
	s_cbranch_execnz .LBB1463_1177
.LBB1463_1113:                          ;   in Loop: Header=BB1463_979 Depth=2
	s_wait_alu 0xfffe
	s_or_b32 exec_lo, exec_lo, s15
	s_and_saveexec_b32 s15, s20
	s_cbranch_execnz .LBB1463_1178
.LBB1463_1114:                          ;   in Loop: Header=BB1463_979 Depth=2
	s_wait_alu 0xfffe
	s_or_b32 exec_lo, exec_lo, s15
	s_and_saveexec_b32 s15, s21
	s_cbranch_execnz .LBB1463_1179
.LBB1463_1115:                          ;   in Loop: Header=BB1463_979 Depth=2
	s_wait_alu 0xfffe
	s_or_b32 exec_lo, exec_lo, s15
	s_and_saveexec_b32 s15, s22
	s_cbranch_execnz .LBB1463_1180
.LBB1463_1116:                          ;   in Loop: Header=BB1463_979 Depth=2
	s_wait_alu 0xfffe
	s_or_b32 exec_lo, exec_lo, s15
	s_and_saveexec_b32 s15, s23
	s_cbranch_execnz .LBB1463_1181
.LBB1463_1117:                          ;   in Loop: Header=BB1463_979 Depth=2
	s_wait_alu 0xfffe
	s_or_b32 exec_lo, exec_lo, s15
	s_and_saveexec_b32 s15, s24
	s_cbranch_execnz .LBB1463_1182
.LBB1463_1118:                          ;   in Loop: Header=BB1463_979 Depth=2
	s_wait_alu 0xfffe
	s_or_b32 exec_lo, exec_lo, s15
	s_and_saveexec_b32 s15, s25
	s_cbranch_execnz .LBB1463_1183
.LBB1463_1119:                          ;   in Loop: Header=BB1463_979 Depth=2
	s_wait_alu 0xfffe
	s_or_b32 exec_lo, exec_lo, s15
	s_and_saveexec_b32 s15, s26
	s_cbranch_execnz .LBB1463_1184
.LBB1463_1120:                          ;   in Loop: Header=BB1463_979 Depth=2
	s_wait_alu 0xfffe
	s_or_b32 exec_lo, exec_lo, s15
	s_and_saveexec_b32 s15, s27
	s_cbranch_execnz .LBB1463_1185
.LBB1463_1121:                          ;   in Loop: Header=BB1463_979 Depth=2
	s_wait_alu 0xfffe
	s_or_b32 exec_lo, exec_lo, s15
	s_and_saveexec_b32 s15, s28
	s_cbranch_execnz .LBB1463_1186
.LBB1463_1122:                          ;   in Loop: Header=BB1463_979 Depth=2
	s_wait_alu 0xfffe
	s_or_b32 exec_lo, exec_lo, s15
	s_and_saveexec_b32 s15, s29
	s_cbranch_execz .LBB1463_1124
.LBB1463_1123:                          ;   in Loop: Header=BB1463_979 Depth=2
	v_lshlrev_b32_e32 v2, 2, v119
	ds_load_b32 v2, v2
	ds_load_b64 v[36:37], v36 offset:31744
	s_wait_dscnt 0x1
	v_add_nc_u32_e32 v2, v2, v61
	s_delay_alu instid0(VALU_DEP_1) | instskip(NEXT) | instid1(VALU_DEP_1)
	v_lshlrev_b64_e32 v[39:40], 3, v[2:3]
	v_add_co_u32 v39, vcc_lo, s46, v39
	s_wait_alu 0xfffd
	s_delay_alu instid0(VALU_DEP_2)
	v_add_co_ci_u32_e64 v40, null, s47, v40, vcc_lo
	s_wait_dscnt 0x0
	global_store_b64 v[39:40], v[36:37], off
.LBB1463_1124:                          ;   in Loop: Header=BB1463_979 Depth=2
	s_wait_alu 0xfffe
	s_or_b32 exec_lo, exec_lo, s15
	s_wait_loadcnt 0x0
	s_wait_storecnt 0x0
	s_barrier_signal -1
	s_barrier_wait -1
	global_inv scope:SCOPE_SE
	s_and_saveexec_b32 s15, s2
	s_cbranch_execz .LBB1463_978
; %bb.1125:                             ;   in Loop: Header=BB1463_979 Depth=2
	ds_load_b32 v2, v44
	s_wait_dscnt 0x0
	v_add_nc_u32_e32 v2, v2, v38
	ds_store_b32 v44, v2
	s_branch .LBB1463_978
.LBB1463_1126:                          ;   in Loop: Header=BB1463_979 Depth=2
	ds_load_b32 v136, v70 offset:1024
	s_wait_dscnt 0x0
	v_cmp_ne_u32_e64 s15, 0x7fffffff, v136
	s_wait_alu 0xf1ff
	s_delay_alu instid0(VALU_DEP_1) | instskip(SKIP_1) | instid1(VALU_DEP_2)
	v_cndmask_b32_e64 v2, 0x80000000, v136, s15
	v_cmp_lt_i32_e64 s15, -1, v136
	v_lshrrev_b32_e32 v2, s49, v2
	s_wait_alu 0xf1ff
	s_delay_alu instid0(VALU_DEP_2) | instskip(NEXT) | instid1(VALU_DEP_2)
	v_cndmask_b32_e64 v143, 0x80000000, -1, s15
	v_and_b32_e32 v2, s48, v2
	s_delay_alu instid0(VALU_DEP_1) | instskip(SKIP_3) | instid1(VALU_DEP_1)
	v_lshlrev_b32_e32 v2, 2, v2
	ds_load_b32 v2, v2
	s_wait_dscnt 0x0
	v_add_nc_u32_e32 v2, v2, v1
	v_lshlrev_b64_e32 v[36:37], 2, v[2:3]
	v_xor_b32_e32 v2, v143, v136
	s_delay_alu instid0(VALU_DEP_2) | instskip(SKIP_1) | instid1(VALU_DEP_3)
	v_add_co_u32 v36, s15, s40, v36
	s_wait_alu 0xf1ff
	v_add_co_ci_u32_e64 v37, null, s41, v37, s15
	global_store_b32 v[36:37], v2, off
	s_wait_alu 0xfffe
	s_or_b32 exec_lo, exec_lo, s16
	v_cmp_lt_u32_e64 s15, v45, v135
	s_and_saveexec_b32 s17, s15
	s_cbranch_execz .LBB1463_1059
.LBB1463_1127:                          ;   in Loop: Header=BB1463_979 Depth=2
	ds_load_b32 v136, v70 offset:2048
	s_wait_dscnt 0x0
	v_cmp_ne_u32_e64 s16, 0x7fffffff, v136
	s_wait_alu 0xf1ff
	s_delay_alu instid0(VALU_DEP_1) | instskip(SKIP_1) | instid1(VALU_DEP_2)
	v_cndmask_b32_e64 v2, 0x80000000, v136, s16
	v_cmp_lt_i32_e64 s16, -1, v136
	v_lshrrev_b32_e32 v2, s49, v2
	s_wait_alu 0xf1ff
	s_delay_alu instid0(VALU_DEP_2) | instskip(NEXT) | instid1(VALU_DEP_2)
	v_cndmask_b32_e64 v143, 0x80000000, -1, s16
	v_and_b32_e32 v2, s48, v2
	s_delay_alu instid0(VALU_DEP_1) | instskip(SKIP_3) | instid1(VALU_DEP_1)
	v_lshlrev_b32_e32 v2, 2, v2
	ds_load_b32 v2, v2
	s_wait_dscnt 0x0
	v_add_nc_u32_e32 v2, v2, v45
	v_lshlrev_b64_e32 v[36:37], 2, v[2:3]
	v_xor_b32_e32 v2, v143, v136
	s_delay_alu instid0(VALU_DEP_2) | instskip(SKIP_1) | instid1(VALU_DEP_3)
	v_add_co_u32 v36, s16, s40, v36
	s_wait_alu 0xf1ff
	v_add_co_ci_u32_e64 v37, null, s41, v37, s16
	global_store_b32 v[36:37], v2, off
	s_wait_alu 0xfffe
	s_or_b32 exec_lo, exec_lo, s17
	v_cmp_lt_u32_e64 s16, v46, v135
	s_and_saveexec_b32 s18, s16
	s_cbranch_execz .LBB1463_1060
.LBB1463_1128:                          ;   in Loop: Header=BB1463_979 Depth=2
	ds_load_b32 v136, v70 offset:3072
	s_wait_dscnt 0x0
	v_cmp_ne_u32_e64 s17, 0x7fffffff, v136
	s_wait_alu 0xf1ff
	s_delay_alu instid0(VALU_DEP_1) | instskip(SKIP_1) | instid1(VALU_DEP_2)
	v_cndmask_b32_e64 v2, 0x80000000, v136, s17
	v_cmp_lt_i32_e64 s17, -1, v136
	v_lshrrev_b32_e32 v2, s49, v2
	s_wait_alu 0xf1ff
	s_delay_alu instid0(VALU_DEP_2) | instskip(NEXT) | instid1(VALU_DEP_2)
	v_cndmask_b32_e64 v143, 0x80000000, -1, s17
	v_and_b32_e32 v2, s48, v2
	s_delay_alu instid0(VALU_DEP_1) | instskip(SKIP_3) | instid1(VALU_DEP_1)
	v_lshlrev_b32_e32 v2, 2, v2
	ds_load_b32 v2, v2
	s_wait_dscnt 0x0
	v_add_nc_u32_e32 v2, v2, v46
	v_lshlrev_b64_e32 v[36:37], 2, v[2:3]
	v_xor_b32_e32 v2, v143, v136
	s_delay_alu instid0(VALU_DEP_2) | instskip(SKIP_1) | instid1(VALU_DEP_3)
	v_add_co_u32 v36, s17, s40, v36
	s_wait_alu 0xf1ff
	v_add_co_ci_u32_e64 v37, null, s41, v37, s17
	global_store_b32 v[36:37], v2, off
	s_wait_alu 0xfffe
	s_or_b32 exec_lo, exec_lo, s18
	v_cmp_lt_u32_e64 s17, v47, v135
	s_and_saveexec_b32 s19, s17
	s_cbranch_execz .LBB1463_1061
.LBB1463_1129:                          ;   in Loop: Header=BB1463_979 Depth=2
	ds_load_b32 v136, v70 offset:4096
	s_wait_dscnt 0x0
	v_cmp_ne_u32_e64 s18, 0x7fffffff, v136
	s_wait_alu 0xf1ff
	s_delay_alu instid0(VALU_DEP_1) | instskip(SKIP_1) | instid1(VALU_DEP_2)
	v_cndmask_b32_e64 v2, 0x80000000, v136, s18
	v_cmp_lt_i32_e64 s18, -1, v136
	v_lshrrev_b32_e32 v2, s49, v2
	s_wait_alu 0xf1ff
	s_delay_alu instid0(VALU_DEP_2) | instskip(NEXT) | instid1(VALU_DEP_2)
	v_cndmask_b32_e64 v143, 0x80000000, -1, s18
	v_and_b32_e32 v2, s48, v2
	s_delay_alu instid0(VALU_DEP_1) | instskip(SKIP_3) | instid1(VALU_DEP_1)
	v_lshlrev_b32_e32 v2, 2, v2
	ds_load_b32 v2, v2
	s_wait_dscnt 0x0
	v_add_nc_u32_e32 v2, v2, v47
	v_lshlrev_b64_e32 v[36:37], 2, v[2:3]
	v_xor_b32_e32 v2, v143, v136
	s_delay_alu instid0(VALU_DEP_2) | instskip(SKIP_1) | instid1(VALU_DEP_3)
	v_add_co_u32 v36, s18, s40, v36
	s_wait_alu 0xf1ff
	v_add_co_ci_u32_e64 v37, null, s41, v37, s18
	global_store_b32 v[36:37], v2, off
	s_wait_alu 0xfffe
	s_or_b32 exec_lo, exec_lo, s19
	v_cmp_lt_u32_e64 s18, v50, v135
	s_and_saveexec_b32 s20, s18
	s_cbranch_execz .LBB1463_1062
.LBB1463_1130:                          ;   in Loop: Header=BB1463_979 Depth=2
	ds_load_b32 v136, v70 offset:5120
	s_wait_dscnt 0x0
	v_cmp_ne_u32_e64 s19, 0x7fffffff, v136
	s_wait_alu 0xf1ff
	s_delay_alu instid0(VALU_DEP_1) | instskip(SKIP_1) | instid1(VALU_DEP_2)
	v_cndmask_b32_e64 v2, 0x80000000, v136, s19
	v_cmp_lt_i32_e64 s19, -1, v136
	v_lshrrev_b32_e32 v2, s49, v2
	s_wait_alu 0xf1ff
	s_delay_alu instid0(VALU_DEP_2) | instskip(NEXT) | instid1(VALU_DEP_2)
	v_cndmask_b32_e64 v143, 0x80000000, -1, s19
	v_and_b32_e32 v2, s48, v2
	s_delay_alu instid0(VALU_DEP_1) | instskip(SKIP_3) | instid1(VALU_DEP_1)
	v_lshlrev_b32_e32 v2, 2, v2
	ds_load_b32 v2, v2
	s_wait_dscnt 0x0
	v_add_nc_u32_e32 v2, v2, v50
	v_lshlrev_b64_e32 v[36:37], 2, v[2:3]
	v_xor_b32_e32 v2, v143, v136
	s_delay_alu instid0(VALU_DEP_2) | instskip(SKIP_1) | instid1(VALU_DEP_3)
	v_add_co_u32 v36, s19, s40, v36
	s_wait_alu 0xf1ff
	v_add_co_ci_u32_e64 v37, null, s41, v37, s19
	global_store_b32 v[36:37], v2, off
	s_wait_alu 0xfffe
	s_or_b32 exec_lo, exec_lo, s20
	v_cmp_lt_u32_e64 s19, v51, v135
	s_and_saveexec_b32 s21, s19
	s_cbranch_execz .LBB1463_1063
.LBB1463_1131:                          ;   in Loop: Header=BB1463_979 Depth=2
	ds_load_b32 v136, v70 offset:6144
	s_wait_dscnt 0x0
	v_cmp_ne_u32_e64 s20, 0x7fffffff, v136
	s_wait_alu 0xf1ff
	s_delay_alu instid0(VALU_DEP_1) | instskip(SKIP_1) | instid1(VALU_DEP_2)
	v_cndmask_b32_e64 v2, 0x80000000, v136, s20
	v_cmp_lt_i32_e64 s20, -1, v136
	v_lshrrev_b32_e32 v2, s49, v2
	s_wait_alu 0xf1ff
	s_delay_alu instid0(VALU_DEP_2) | instskip(NEXT) | instid1(VALU_DEP_2)
	v_cndmask_b32_e64 v143, 0x80000000, -1, s20
	v_and_b32_e32 v2, s48, v2
	s_delay_alu instid0(VALU_DEP_1) | instskip(SKIP_3) | instid1(VALU_DEP_1)
	v_lshlrev_b32_e32 v2, 2, v2
	ds_load_b32 v2, v2
	s_wait_dscnt 0x0
	v_add_nc_u32_e32 v2, v2, v51
	v_lshlrev_b64_e32 v[36:37], 2, v[2:3]
	v_xor_b32_e32 v2, v143, v136
	s_delay_alu instid0(VALU_DEP_2) | instskip(SKIP_1) | instid1(VALU_DEP_3)
	v_add_co_u32 v36, s20, s40, v36
	s_wait_alu 0xf1ff
	v_add_co_ci_u32_e64 v37, null, s41, v37, s20
	global_store_b32 v[36:37], v2, off
	s_wait_alu 0xfffe
	s_or_b32 exec_lo, exec_lo, s21
	v_cmp_lt_u32_e64 s20, v52, v135
	s_and_saveexec_b32 s22, s20
	s_cbranch_execz .LBB1463_1064
.LBB1463_1132:                          ;   in Loop: Header=BB1463_979 Depth=2
	ds_load_b32 v136, v70 offset:7168
	s_wait_dscnt 0x0
	v_cmp_ne_u32_e64 s21, 0x7fffffff, v136
	s_wait_alu 0xf1ff
	s_delay_alu instid0(VALU_DEP_1) | instskip(SKIP_1) | instid1(VALU_DEP_2)
	v_cndmask_b32_e64 v2, 0x80000000, v136, s21
	v_cmp_lt_i32_e64 s21, -1, v136
	v_lshrrev_b32_e32 v2, s49, v2
	s_wait_alu 0xf1ff
	s_delay_alu instid0(VALU_DEP_2) | instskip(NEXT) | instid1(VALU_DEP_2)
	v_cndmask_b32_e64 v143, 0x80000000, -1, s21
	v_and_b32_e32 v2, s48, v2
	s_delay_alu instid0(VALU_DEP_1) | instskip(SKIP_3) | instid1(VALU_DEP_1)
	v_lshlrev_b32_e32 v2, 2, v2
	ds_load_b32 v2, v2
	s_wait_dscnt 0x0
	v_add_nc_u32_e32 v2, v2, v52
	v_lshlrev_b64_e32 v[36:37], 2, v[2:3]
	v_xor_b32_e32 v2, v143, v136
	s_delay_alu instid0(VALU_DEP_2) | instskip(SKIP_1) | instid1(VALU_DEP_3)
	v_add_co_u32 v36, s21, s40, v36
	s_wait_alu 0xf1ff
	v_add_co_ci_u32_e64 v37, null, s41, v37, s21
	global_store_b32 v[36:37], v2, off
	s_wait_alu 0xfffe
	s_or_b32 exec_lo, exec_lo, s22
	v_cmp_lt_u32_e64 s21, v53, v135
	s_and_saveexec_b32 s23, s21
	s_cbranch_execz .LBB1463_1065
.LBB1463_1133:                          ;   in Loop: Header=BB1463_979 Depth=2
	ds_load_b32 v136, v70 offset:8192
	s_wait_dscnt 0x0
	v_cmp_ne_u32_e64 s22, 0x7fffffff, v136
	s_wait_alu 0xf1ff
	s_delay_alu instid0(VALU_DEP_1) | instskip(SKIP_1) | instid1(VALU_DEP_2)
	v_cndmask_b32_e64 v2, 0x80000000, v136, s22
	v_cmp_lt_i32_e64 s22, -1, v136
	v_lshrrev_b32_e32 v2, s49, v2
	s_wait_alu 0xf1ff
	s_delay_alu instid0(VALU_DEP_2) | instskip(NEXT) | instid1(VALU_DEP_2)
	v_cndmask_b32_e64 v143, 0x80000000, -1, s22
	v_and_b32_e32 v2, s48, v2
	s_delay_alu instid0(VALU_DEP_1) | instskip(SKIP_3) | instid1(VALU_DEP_1)
	v_lshlrev_b32_e32 v2, 2, v2
	ds_load_b32 v2, v2
	s_wait_dscnt 0x0
	v_add_nc_u32_e32 v2, v2, v53
	v_lshlrev_b64_e32 v[36:37], 2, v[2:3]
	v_xor_b32_e32 v2, v143, v136
	s_delay_alu instid0(VALU_DEP_2) | instskip(SKIP_1) | instid1(VALU_DEP_3)
	v_add_co_u32 v36, s22, s40, v36
	s_wait_alu 0xf1ff
	v_add_co_ci_u32_e64 v37, null, s41, v37, s22
	global_store_b32 v[36:37], v2, off
	s_wait_alu 0xfffe
	s_or_b32 exec_lo, exec_lo, s23
	v_cmp_lt_u32_e64 s22, v54, v135
	s_and_saveexec_b32 s24, s22
	s_cbranch_execz .LBB1463_1066
.LBB1463_1134:                          ;   in Loop: Header=BB1463_979 Depth=2
	ds_load_b32 v136, v70 offset:9216
	s_wait_dscnt 0x0
	v_cmp_ne_u32_e64 s23, 0x7fffffff, v136
	s_wait_alu 0xf1ff
	s_delay_alu instid0(VALU_DEP_1) | instskip(SKIP_1) | instid1(VALU_DEP_2)
	v_cndmask_b32_e64 v2, 0x80000000, v136, s23
	v_cmp_lt_i32_e64 s23, -1, v136
	v_lshrrev_b32_e32 v2, s49, v2
	s_wait_alu 0xf1ff
	s_delay_alu instid0(VALU_DEP_2) | instskip(NEXT) | instid1(VALU_DEP_2)
	v_cndmask_b32_e64 v143, 0x80000000, -1, s23
	v_and_b32_e32 v2, s48, v2
	s_delay_alu instid0(VALU_DEP_1) | instskip(SKIP_3) | instid1(VALU_DEP_1)
	v_lshlrev_b32_e32 v2, 2, v2
	ds_load_b32 v2, v2
	s_wait_dscnt 0x0
	v_add_nc_u32_e32 v2, v2, v54
	v_lshlrev_b64_e32 v[36:37], 2, v[2:3]
	v_xor_b32_e32 v2, v143, v136
	s_delay_alu instid0(VALU_DEP_2) | instskip(SKIP_1) | instid1(VALU_DEP_3)
	v_add_co_u32 v36, s23, s40, v36
	s_wait_alu 0xf1ff
	v_add_co_ci_u32_e64 v37, null, s41, v37, s23
	global_store_b32 v[36:37], v2, off
	s_wait_alu 0xfffe
	s_or_b32 exec_lo, exec_lo, s24
	v_cmp_lt_u32_e64 s23, v55, v135
	s_and_saveexec_b32 s25, s23
	s_cbranch_execz .LBB1463_1067
.LBB1463_1135:                          ;   in Loop: Header=BB1463_979 Depth=2
	ds_load_b32 v136, v70 offset:10240
	s_wait_dscnt 0x0
	v_cmp_ne_u32_e64 s24, 0x7fffffff, v136
	s_wait_alu 0xf1ff
	s_delay_alu instid0(VALU_DEP_1) | instskip(SKIP_1) | instid1(VALU_DEP_2)
	v_cndmask_b32_e64 v2, 0x80000000, v136, s24
	v_cmp_lt_i32_e64 s24, -1, v136
	v_lshrrev_b32_e32 v2, s49, v2
	s_wait_alu 0xf1ff
	s_delay_alu instid0(VALU_DEP_2) | instskip(NEXT) | instid1(VALU_DEP_2)
	v_cndmask_b32_e64 v143, 0x80000000, -1, s24
	v_and_b32_e32 v2, s48, v2
	s_delay_alu instid0(VALU_DEP_1) | instskip(SKIP_3) | instid1(VALU_DEP_1)
	v_lshlrev_b32_e32 v2, 2, v2
	ds_load_b32 v2, v2
	s_wait_dscnt 0x0
	v_add_nc_u32_e32 v2, v2, v55
	v_lshlrev_b64_e32 v[36:37], 2, v[2:3]
	v_xor_b32_e32 v2, v143, v136
	s_delay_alu instid0(VALU_DEP_2) | instskip(SKIP_1) | instid1(VALU_DEP_3)
	v_add_co_u32 v36, s24, s40, v36
	s_wait_alu 0xf1ff
	v_add_co_ci_u32_e64 v37, null, s41, v37, s24
	global_store_b32 v[36:37], v2, off
	s_wait_alu 0xfffe
	s_or_b32 exec_lo, exec_lo, s25
	v_cmp_lt_u32_e64 s24, v56, v135
	s_and_saveexec_b32 s26, s24
	s_cbranch_execz .LBB1463_1068
.LBB1463_1136:                          ;   in Loop: Header=BB1463_979 Depth=2
	ds_load_b32 v136, v70 offset:11264
	s_wait_dscnt 0x0
	v_cmp_ne_u32_e64 s25, 0x7fffffff, v136
	s_wait_alu 0xf1ff
	s_delay_alu instid0(VALU_DEP_1) | instskip(SKIP_1) | instid1(VALU_DEP_2)
	v_cndmask_b32_e64 v2, 0x80000000, v136, s25
	v_cmp_lt_i32_e64 s25, -1, v136
	v_lshrrev_b32_e32 v2, s49, v2
	s_wait_alu 0xf1ff
	s_delay_alu instid0(VALU_DEP_2) | instskip(NEXT) | instid1(VALU_DEP_2)
	v_cndmask_b32_e64 v143, 0x80000000, -1, s25
	v_and_b32_e32 v2, s48, v2
	s_delay_alu instid0(VALU_DEP_1) | instskip(SKIP_3) | instid1(VALU_DEP_1)
	v_lshlrev_b32_e32 v2, 2, v2
	ds_load_b32 v2, v2
	s_wait_dscnt 0x0
	v_add_nc_u32_e32 v2, v2, v56
	v_lshlrev_b64_e32 v[36:37], 2, v[2:3]
	v_xor_b32_e32 v2, v143, v136
	s_delay_alu instid0(VALU_DEP_2) | instskip(SKIP_1) | instid1(VALU_DEP_3)
	v_add_co_u32 v36, s25, s40, v36
	s_wait_alu 0xf1ff
	v_add_co_ci_u32_e64 v37, null, s41, v37, s25
	global_store_b32 v[36:37], v2, off
	s_wait_alu 0xfffe
	s_or_b32 exec_lo, exec_lo, s26
	v_cmp_lt_u32_e64 s25, v57, v135
	s_and_saveexec_b32 s27, s25
	s_cbranch_execz .LBB1463_1069
.LBB1463_1137:                          ;   in Loop: Header=BB1463_979 Depth=2
	ds_load_b32 v136, v70 offset:12288
	s_wait_dscnt 0x0
	v_cmp_ne_u32_e64 s26, 0x7fffffff, v136
	s_wait_alu 0xf1ff
	s_delay_alu instid0(VALU_DEP_1) | instskip(SKIP_1) | instid1(VALU_DEP_2)
	v_cndmask_b32_e64 v2, 0x80000000, v136, s26
	v_cmp_lt_i32_e64 s26, -1, v136
	v_lshrrev_b32_e32 v2, s49, v2
	s_wait_alu 0xf1ff
	s_delay_alu instid0(VALU_DEP_2) | instskip(NEXT) | instid1(VALU_DEP_2)
	v_cndmask_b32_e64 v143, 0x80000000, -1, s26
	v_and_b32_e32 v2, s48, v2
	s_delay_alu instid0(VALU_DEP_1) | instskip(SKIP_3) | instid1(VALU_DEP_1)
	v_lshlrev_b32_e32 v2, 2, v2
	ds_load_b32 v2, v2
	s_wait_dscnt 0x0
	v_add_nc_u32_e32 v2, v2, v57
	v_lshlrev_b64_e32 v[36:37], 2, v[2:3]
	v_xor_b32_e32 v2, v143, v136
	s_delay_alu instid0(VALU_DEP_2) | instskip(SKIP_1) | instid1(VALU_DEP_3)
	v_add_co_u32 v36, s26, s40, v36
	s_wait_alu 0xf1ff
	v_add_co_ci_u32_e64 v37, null, s41, v37, s26
	global_store_b32 v[36:37], v2, off
	s_wait_alu 0xfffe
	s_or_b32 exec_lo, exec_lo, s27
	v_cmp_lt_u32_e64 s26, v58, v135
	s_and_saveexec_b32 s28, s26
	s_cbranch_execz .LBB1463_1070
.LBB1463_1138:                          ;   in Loop: Header=BB1463_979 Depth=2
	ds_load_b32 v136, v70 offset:13312
	s_wait_dscnt 0x0
	v_cmp_ne_u32_e64 s27, 0x7fffffff, v136
	s_wait_alu 0xf1ff
	s_delay_alu instid0(VALU_DEP_1) | instskip(SKIP_1) | instid1(VALU_DEP_2)
	v_cndmask_b32_e64 v2, 0x80000000, v136, s27
	v_cmp_lt_i32_e64 s27, -1, v136
	v_lshrrev_b32_e32 v2, s49, v2
	s_wait_alu 0xf1ff
	s_delay_alu instid0(VALU_DEP_2) | instskip(NEXT) | instid1(VALU_DEP_2)
	v_cndmask_b32_e64 v143, 0x80000000, -1, s27
	v_and_b32_e32 v2, s48, v2
	s_delay_alu instid0(VALU_DEP_1) | instskip(SKIP_3) | instid1(VALU_DEP_1)
	v_lshlrev_b32_e32 v2, 2, v2
	ds_load_b32 v2, v2
	s_wait_dscnt 0x0
	v_add_nc_u32_e32 v2, v2, v58
	v_lshlrev_b64_e32 v[36:37], 2, v[2:3]
	v_xor_b32_e32 v2, v143, v136
	s_delay_alu instid0(VALU_DEP_2) | instskip(SKIP_1) | instid1(VALU_DEP_3)
	v_add_co_u32 v36, s27, s40, v36
	s_wait_alu 0xf1ff
	v_add_co_ci_u32_e64 v37, null, s41, v37, s27
	global_store_b32 v[36:37], v2, off
	s_wait_alu 0xfffe
	s_or_b32 exec_lo, exec_lo, s28
	v_cmp_lt_u32_e64 s27, v59, v135
	s_and_saveexec_b32 s29, s27
	s_cbranch_execz .LBB1463_1071
.LBB1463_1139:                          ;   in Loop: Header=BB1463_979 Depth=2
	ds_load_b32 v136, v70 offset:14336
	s_wait_dscnt 0x0
	v_cmp_ne_u32_e64 s28, 0x7fffffff, v136
	s_wait_alu 0xf1ff
	s_delay_alu instid0(VALU_DEP_1) | instskip(SKIP_1) | instid1(VALU_DEP_2)
	v_cndmask_b32_e64 v2, 0x80000000, v136, s28
	v_cmp_lt_i32_e64 s28, -1, v136
	v_lshrrev_b32_e32 v2, s49, v2
	s_wait_alu 0xf1ff
	s_delay_alu instid0(VALU_DEP_2) | instskip(NEXT) | instid1(VALU_DEP_2)
	v_cndmask_b32_e64 v143, 0x80000000, -1, s28
	v_and_b32_e32 v2, s48, v2
	s_delay_alu instid0(VALU_DEP_1) | instskip(SKIP_3) | instid1(VALU_DEP_1)
	v_lshlrev_b32_e32 v2, 2, v2
	ds_load_b32 v2, v2
	s_wait_dscnt 0x0
	v_add_nc_u32_e32 v2, v2, v59
	v_lshlrev_b64_e32 v[36:37], 2, v[2:3]
	v_xor_b32_e32 v2, v143, v136
	s_delay_alu instid0(VALU_DEP_2) | instskip(SKIP_1) | instid1(VALU_DEP_3)
	v_add_co_u32 v36, s28, s40, v36
	s_wait_alu 0xf1ff
	v_add_co_ci_u32_e64 v37, null, s41, v37, s28
	global_store_b32 v[36:37], v2, off
	s_wait_alu 0xfffe
	s_or_b32 exec_lo, exec_lo, s29
	v_cmp_lt_u32_e64 s28, v60, v135
	s_and_saveexec_b32 s30, s28
	s_cbranch_execz .LBB1463_1072
.LBB1463_1140:                          ;   in Loop: Header=BB1463_979 Depth=2
	ds_load_b32 v136, v70 offset:15360
	s_wait_dscnt 0x0
	v_cmp_ne_u32_e64 s29, 0x7fffffff, v136
	s_wait_alu 0xf1ff
	s_delay_alu instid0(VALU_DEP_1) | instskip(SKIP_1) | instid1(VALU_DEP_2)
	v_cndmask_b32_e64 v2, 0x80000000, v136, s29
	v_cmp_lt_i32_e64 s29, -1, v136
	v_lshrrev_b32_e32 v2, s49, v2
	s_wait_alu 0xf1ff
	s_delay_alu instid0(VALU_DEP_2) | instskip(NEXT) | instid1(VALU_DEP_2)
	v_cndmask_b32_e64 v143, 0x80000000, -1, s29
	v_and_b32_e32 v2, s48, v2
	s_delay_alu instid0(VALU_DEP_1) | instskip(SKIP_3) | instid1(VALU_DEP_1)
	v_lshlrev_b32_e32 v2, 2, v2
	ds_load_b32 v2, v2
	s_wait_dscnt 0x0
	v_add_nc_u32_e32 v2, v2, v60
	v_lshlrev_b64_e32 v[36:37], 2, v[2:3]
	v_xor_b32_e32 v2, v143, v136
	s_delay_alu instid0(VALU_DEP_2) | instskip(SKIP_1) | instid1(VALU_DEP_3)
	v_add_co_u32 v36, s29, s40, v36
	s_wait_alu 0xf1ff
	v_add_co_ci_u32_e64 v37, null, s41, v37, s29
	global_store_b32 v[36:37], v2, off
	s_wait_alu 0xfffe
	s_or_b32 exec_lo, exec_lo, s30
	v_cmp_lt_u32_e64 s29, v61, v135
	s_and_saveexec_b32 s56, s29
	s_cbranch_execnz .LBB1463_1073
	s_branch .LBB1463_1074
.LBB1463_1141:                          ;   in Loop: Header=BB1463_979 Depth=2
	global_load_b64 v[34:35], v[36:37], off
	s_wait_alu 0xfffe
	s_or_b32 exec_lo, exec_lo, s30
	s_delay_alu instid0(SALU_CYCLE_1)
	s_mov_b32 s42, exec_lo
	v_cmpx_lt_u32_e64 v92, v135
	s_cbranch_execz .LBB1463_1076
.LBB1463_1142:                          ;   in Loop: Header=BB1463_979 Depth=2
	global_load_b64 v[32:33], v[36:37], off offset:256
	s_wait_alu 0xfffe
	s_or_b32 exec_lo, exec_lo, s42
	s_delay_alu instid0(SALU_CYCLE_1)
	s_mov_b32 s42, exec_lo
	v_cmpx_lt_u32_e64 v93, v135
	s_cbranch_execz .LBB1463_1077
.LBB1463_1143:                          ;   in Loop: Header=BB1463_979 Depth=2
	global_load_b64 v[30:31], v[36:37], off offset:512
	s_wait_alu 0xfffe
	s_or_b32 exec_lo, exec_lo, s42
	s_delay_alu instid0(SALU_CYCLE_1)
	s_mov_b32 s42, exec_lo
	v_cmpx_lt_u32_e64 v94, v135
	s_cbranch_execz .LBB1463_1078
.LBB1463_1144:                          ;   in Loop: Header=BB1463_979 Depth=2
	global_load_b64 v[28:29], v[36:37], off offset:768
	s_wait_alu 0xfffe
	s_or_b32 exec_lo, exec_lo, s42
	s_delay_alu instid0(SALU_CYCLE_1)
	s_mov_b32 s42, exec_lo
	v_cmpx_lt_u32_e64 v95, v135
	s_cbranch_execz .LBB1463_1079
.LBB1463_1145:                          ;   in Loop: Header=BB1463_979 Depth=2
	global_load_b64 v[26:27], v[36:37], off offset:1024
	s_wait_alu 0xfffe
	s_or_b32 exec_lo, exec_lo, s42
	s_delay_alu instid0(SALU_CYCLE_1)
	s_mov_b32 s42, exec_lo
	v_cmpx_lt_u32_e64 v96, v135
	s_cbranch_execz .LBB1463_1080
.LBB1463_1146:                          ;   in Loop: Header=BB1463_979 Depth=2
	global_load_b64 v[24:25], v[36:37], off offset:1280
	s_wait_alu 0xfffe
	s_or_b32 exec_lo, exec_lo, s42
	s_delay_alu instid0(SALU_CYCLE_1)
	s_mov_b32 s42, exec_lo
	v_cmpx_lt_u32_e64 v97, v135
	s_cbranch_execz .LBB1463_1081
.LBB1463_1147:                          ;   in Loop: Header=BB1463_979 Depth=2
	global_load_b64 v[22:23], v[36:37], off offset:1536
	s_wait_alu 0xfffe
	s_or_b32 exec_lo, exec_lo, s42
	s_delay_alu instid0(SALU_CYCLE_1)
	s_mov_b32 s42, exec_lo
	v_cmpx_lt_u32_e64 v98, v135
	s_cbranch_execz .LBB1463_1082
.LBB1463_1148:                          ;   in Loop: Header=BB1463_979 Depth=2
	global_load_b64 v[20:21], v[36:37], off offset:1792
	s_wait_alu 0xfffe
	s_or_b32 exec_lo, exec_lo, s42
	s_delay_alu instid0(SALU_CYCLE_1)
	s_mov_b32 s42, exec_lo
	v_cmpx_lt_u32_e64 v99, v135
	s_cbranch_execz .LBB1463_1083
.LBB1463_1149:                          ;   in Loop: Header=BB1463_979 Depth=2
	global_load_b64 v[18:19], v[36:37], off offset:2048
	s_wait_alu 0xfffe
	s_or_b32 exec_lo, exec_lo, s42
	s_delay_alu instid0(SALU_CYCLE_1)
	s_mov_b32 s42, exec_lo
	v_cmpx_lt_u32_e64 v100, v135
	s_cbranch_execz .LBB1463_1084
.LBB1463_1150:                          ;   in Loop: Header=BB1463_979 Depth=2
	global_load_b64 v[16:17], v[36:37], off offset:2304
	s_wait_alu 0xfffe
	s_or_b32 exec_lo, exec_lo, s42
	s_delay_alu instid0(SALU_CYCLE_1)
	s_mov_b32 s42, exec_lo
	v_cmpx_lt_u32_e64 v101, v135
	s_cbranch_execz .LBB1463_1085
.LBB1463_1151:                          ;   in Loop: Header=BB1463_979 Depth=2
	global_load_b64 v[14:15], v[36:37], off offset:2560
	s_wait_alu 0xfffe
	s_or_b32 exec_lo, exec_lo, s42
	s_delay_alu instid0(SALU_CYCLE_1)
	s_mov_b32 s42, exec_lo
	v_cmpx_lt_u32_e64 v102, v135
	s_cbranch_execz .LBB1463_1086
.LBB1463_1152:                          ;   in Loop: Header=BB1463_979 Depth=2
	global_load_b64 v[12:13], v[36:37], off offset:2816
	s_wait_alu 0xfffe
	s_or_b32 exec_lo, exec_lo, s42
	s_delay_alu instid0(SALU_CYCLE_1)
	s_mov_b32 s42, exec_lo
	v_cmpx_lt_u32_e64 v103, v135
	s_cbranch_execz .LBB1463_1087
.LBB1463_1153:                          ;   in Loop: Header=BB1463_979 Depth=2
	global_load_b64 v[10:11], v[36:37], off offset:3072
	s_wait_alu 0xfffe
	s_or_b32 exec_lo, exec_lo, s42
	s_delay_alu instid0(SALU_CYCLE_1)
	s_mov_b32 s42, exec_lo
	v_cmpx_lt_u32_e64 v104, v135
	s_cbranch_execz .LBB1463_1088
.LBB1463_1154:                          ;   in Loop: Header=BB1463_979 Depth=2
	global_load_b64 v[8:9], v[36:37], off offset:3328
	s_wait_alu 0xfffe
	s_or_b32 exec_lo, exec_lo, s42
	s_delay_alu instid0(SALU_CYCLE_1)
	s_mov_b32 s42, exec_lo
	v_cmpx_lt_u32_e64 v105, v135
	s_cbranch_execz .LBB1463_1089
.LBB1463_1155:                          ;   in Loop: Header=BB1463_979 Depth=2
	global_load_b64 v[6:7], v[36:37], off offset:3584
	s_wait_alu 0xfffe
	s_or_b32 exec_lo, exec_lo, s42
	s_delay_alu instid0(SALU_CYCLE_1)
	s_mov_b32 s42, exec_lo
	v_cmpx_lt_u32_e64 v106, v135
	s_cbranch_execz .LBB1463_1090
.LBB1463_1156:                          ;   in Loop: Header=BB1463_979 Depth=2
	global_load_b64 v[4:5], v[36:37], off offset:3840
	s_wait_alu 0xfffe
	s_or_b32 exec_lo, exec_lo, s42
	s_and_saveexec_b32 s42, vcc_lo
	s_cbranch_execz .LBB1463_1091
.LBB1463_1157:                          ;   in Loop: Header=BB1463_979 Depth=2
	ds_load_b32 v2, v70 offset:1024
	s_wait_dscnt 0x0
	v_cmp_ne_u32_e64 s30, 0x7fffffff, v2
	s_wait_alu 0xf1ff
	s_delay_alu instid0(VALU_DEP_1) | instskip(NEXT) | instid1(VALU_DEP_1)
	v_cndmask_b32_e64 v2, 0x80000000, v2, s30
	v_lshrrev_b32_e32 v2, s49, v2
	s_delay_alu instid0(VALU_DEP_1)
	v_and_b32_e32 v134, s48, v2
	s_wait_alu 0xfffe
	s_or_b32 exec_lo, exec_lo, s42
	s_and_saveexec_b32 s42, s15
	s_cbranch_execz .LBB1463_1092
.LBB1463_1158:                          ;   in Loop: Header=BB1463_979 Depth=2
	ds_load_b32 v2, v70 offset:2048
	s_wait_dscnt 0x0
	v_cmp_ne_u32_e64 s30, 0x7fffffff, v2
	s_wait_alu 0xf1ff
	s_delay_alu instid0(VALU_DEP_1) | instskip(NEXT) | instid1(VALU_DEP_1)
	v_cndmask_b32_e64 v2, 0x80000000, v2, s30
	v_lshrrev_b32_e32 v2, s49, v2
	s_delay_alu instid0(VALU_DEP_1)
	v_and_b32_e32 v133, s48, v2
	s_wait_alu 0xfffe
	s_or_b32 exec_lo, exec_lo, s42
	s_and_saveexec_b32 s42, s16
	s_cbranch_execz .LBB1463_1093
.LBB1463_1159:                          ;   in Loop: Header=BB1463_979 Depth=2
	ds_load_b32 v2, v70 offset:3072
	s_wait_dscnt 0x0
	v_cmp_ne_u32_e64 s30, 0x7fffffff, v2
	s_wait_alu 0xf1ff
	s_delay_alu instid0(VALU_DEP_1) | instskip(NEXT) | instid1(VALU_DEP_1)
	v_cndmask_b32_e64 v2, 0x80000000, v2, s30
	v_lshrrev_b32_e32 v2, s49, v2
	s_delay_alu instid0(VALU_DEP_1)
	v_and_b32_e32 v132, s48, v2
	s_wait_alu 0xfffe
	s_or_b32 exec_lo, exec_lo, s42
	s_and_saveexec_b32 s42, s17
	s_cbranch_execz .LBB1463_1094
.LBB1463_1160:                          ;   in Loop: Header=BB1463_979 Depth=2
	ds_load_b32 v2, v70 offset:4096
	s_wait_dscnt 0x0
	v_cmp_ne_u32_e64 s30, 0x7fffffff, v2
	s_wait_alu 0xf1ff
	s_delay_alu instid0(VALU_DEP_1) | instskip(NEXT) | instid1(VALU_DEP_1)
	v_cndmask_b32_e64 v2, 0x80000000, v2, s30
	v_lshrrev_b32_e32 v2, s49, v2
	s_delay_alu instid0(VALU_DEP_1)
	v_and_b32_e32 v131, s48, v2
	s_wait_alu 0xfffe
	s_or_b32 exec_lo, exec_lo, s42
	s_and_saveexec_b32 s42, s18
	s_cbranch_execz .LBB1463_1095
.LBB1463_1161:                          ;   in Loop: Header=BB1463_979 Depth=2
	ds_load_b32 v2, v70 offset:5120
	s_wait_dscnt 0x0
	v_cmp_ne_u32_e64 s30, 0x7fffffff, v2
	s_wait_alu 0xf1ff
	s_delay_alu instid0(VALU_DEP_1) | instskip(NEXT) | instid1(VALU_DEP_1)
	v_cndmask_b32_e64 v2, 0x80000000, v2, s30
	v_lshrrev_b32_e32 v2, s49, v2
	s_delay_alu instid0(VALU_DEP_1)
	v_and_b32_e32 v130, s48, v2
	s_wait_alu 0xfffe
	s_or_b32 exec_lo, exec_lo, s42
	s_and_saveexec_b32 s42, s19
	s_cbranch_execz .LBB1463_1096
.LBB1463_1162:                          ;   in Loop: Header=BB1463_979 Depth=2
	ds_load_b32 v2, v70 offset:6144
	s_wait_dscnt 0x0
	v_cmp_ne_u32_e64 s30, 0x7fffffff, v2
	s_wait_alu 0xf1ff
	s_delay_alu instid0(VALU_DEP_1) | instskip(NEXT) | instid1(VALU_DEP_1)
	v_cndmask_b32_e64 v2, 0x80000000, v2, s30
	v_lshrrev_b32_e32 v2, s49, v2
	s_delay_alu instid0(VALU_DEP_1)
	v_and_b32_e32 v129, s48, v2
	s_wait_alu 0xfffe
	s_or_b32 exec_lo, exec_lo, s42
	s_and_saveexec_b32 s42, s20
	s_cbranch_execz .LBB1463_1097
.LBB1463_1163:                          ;   in Loop: Header=BB1463_979 Depth=2
	ds_load_b32 v2, v70 offset:7168
	s_wait_dscnt 0x0
	v_cmp_ne_u32_e64 s30, 0x7fffffff, v2
	s_wait_alu 0xf1ff
	s_delay_alu instid0(VALU_DEP_1) | instskip(NEXT) | instid1(VALU_DEP_1)
	v_cndmask_b32_e64 v2, 0x80000000, v2, s30
	v_lshrrev_b32_e32 v2, s49, v2
	s_delay_alu instid0(VALU_DEP_1)
	v_and_b32_e32 v128, s48, v2
	s_wait_alu 0xfffe
	s_or_b32 exec_lo, exec_lo, s42
	s_and_saveexec_b32 s42, s21
	s_cbranch_execz .LBB1463_1098
.LBB1463_1164:                          ;   in Loop: Header=BB1463_979 Depth=2
	ds_load_b32 v2, v70 offset:8192
	s_wait_dscnt 0x0
	v_cmp_ne_u32_e64 s30, 0x7fffffff, v2
	s_wait_alu 0xf1ff
	s_delay_alu instid0(VALU_DEP_1) | instskip(NEXT) | instid1(VALU_DEP_1)
	v_cndmask_b32_e64 v2, 0x80000000, v2, s30
	v_lshrrev_b32_e32 v2, s49, v2
	s_delay_alu instid0(VALU_DEP_1)
	v_and_b32_e32 v127, s48, v2
	s_wait_alu 0xfffe
	s_or_b32 exec_lo, exec_lo, s42
	s_and_saveexec_b32 s42, s22
	s_cbranch_execz .LBB1463_1099
.LBB1463_1165:                          ;   in Loop: Header=BB1463_979 Depth=2
	ds_load_b32 v2, v70 offset:9216
	s_wait_dscnt 0x0
	v_cmp_ne_u32_e64 s30, 0x7fffffff, v2
	s_wait_alu 0xf1ff
	s_delay_alu instid0(VALU_DEP_1) | instskip(NEXT) | instid1(VALU_DEP_1)
	v_cndmask_b32_e64 v2, 0x80000000, v2, s30
	v_lshrrev_b32_e32 v2, s49, v2
	s_delay_alu instid0(VALU_DEP_1)
	v_and_b32_e32 v126, s48, v2
	s_wait_alu 0xfffe
	s_or_b32 exec_lo, exec_lo, s42
	s_and_saveexec_b32 s42, s23
	s_cbranch_execz .LBB1463_1100
.LBB1463_1166:                          ;   in Loop: Header=BB1463_979 Depth=2
	ds_load_b32 v2, v70 offset:10240
	s_wait_dscnt 0x0
	v_cmp_ne_u32_e64 s30, 0x7fffffff, v2
	s_wait_alu 0xf1ff
	s_delay_alu instid0(VALU_DEP_1) | instskip(NEXT) | instid1(VALU_DEP_1)
	v_cndmask_b32_e64 v2, 0x80000000, v2, s30
	v_lshrrev_b32_e32 v2, s49, v2
	s_delay_alu instid0(VALU_DEP_1)
	v_and_b32_e32 v125, s48, v2
	s_wait_alu 0xfffe
	s_or_b32 exec_lo, exec_lo, s42
	s_and_saveexec_b32 s42, s24
	s_cbranch_execz .LBB1463_1101
.LBB1463_1167:                          ;   in Loop: Header=BB1463_979 Depth=2
	ds_load_b32 v2, v70 offset:11264
	s_wait_dscnt 0x0
	v_cmp_ne_u32_e64 s30, 0x7fffffff, v2
	s_wait_alu 0xf1ff
	s_delay_alu instid0(VALU_DEP_1) | instskip(NEXT) | instid1(VALU_DEP_1)
	v_cndmask_b32_e64 v2, 0x80000000, v2, s30
	v_lshrrev_b32_e32 v2, s49, v2
	s_delay_alu instid0(VALU_DEP_1)
	v_and_b32_e32 v124, s48, v2
	s_wait_alu 0xfffe
	s_or_b32 exec_lo, exec_lo, s42
	s_and_saveexec_b32 s42, s25
	s_cbranch_execz .LBB1463_1102
.LBB1463_1168:                          ;   in Loop: Header=BB1463_979 Depth=2
	ds_load_b32 v2, v70 offset:12288
	s_wait_dscnt 0x0
	v_cmp_ne_u32_e64 s30, 0x7fffffff, v2
	s_wait_alu 0xf1ff
	s_delay_alu instid0(VALU_DEP_1) | instskip(NEXT) | instid1(VALU_DEP_1)
	v_cndmask_b32_e64 v2, 0x80000000, v2, s30
	v_lshrrev_b32_e32 v2, s49, v2
	s_delay_alu instid0(VALU_DEP_1)
	v_and_b32_e32 v123, s48, v2
	s_wait_alu 0xfffe
	s_or_b32 exec_lo, exec_lo, s42
	s_and_saveexec_b32 s42, s26
	s_cbranch_execz .LBB1463_1103
.LBB1463_1169:                          ;   in Loop: Header=BB1463_979 Depth=2
	ds_load_b32 v2, v70 offset:13312
	s_wait_dscnt 0x0
	v_cmp_ne_u32_e64 s30, 0x7fffffff, v2
	s_wait_alu 0xf1ff
	s_delay_alu instid0(VALU_DEP_1) | instskip(NEXT) | instid1(VALU_DEP_1)
	v_cndmask_b32_e64 v2, 0x80000000, v2, s30
	v_lshrrev_b32_e32 v2, s49, v2
	s_delay_alu instid0(VALU_DEP_1)
	v_and_b32_e32 v122, s48, v2
	s_wait_alu 0xfffe
	s_or_b32 exec_lo, exec_lo, s42
	s_and_saveexec_b32 s42, s27
	s_cbranch_execz .LBB1463_1104
.LBB1463_1170:                          ;   in Loop: Header=BB1463_979 Depth=2
	ds_load_b32 v2, v70 offset:14336
	s_wait_dscnt 0x0
	v_cmp_ne_u32_e64 s30, 0x7fffffff, v2
	s_wait_alu 0xf1ff
	s_delay_alu instid0(VALU_DEP_1) | instskip(NEXT) | instid1(VALU_DEP_1)
	v_cndmask_b32_e64 v2, 0x80000000, v2, s30
	v_lshrrev_b32_e32 v2, s49, v2
	s_delay_alu instid0(VALU_DEP_1)
	v_and_b32_e32 v121, s48, v2
	s_wait_alu 0xfffe
	s_or_b32 exec_lo, exec_lo, s42
	s_and_saveexec_b32 s42, s28
	s_cbranch_execz .LBB1463_1105
.LBB1463_1171:                          ;   in Loop: Header=BB1463_979 Depth=2
	ds_load_b32 v2, v70 offset:15360
	s_wait_dscnt 0x0
	v_cmp_ne_u32_e64 s30, 0x7fffffff, v2
	s_wait_alu 0xf1ff
	s_delay_alu instid0(VALU_DEP_1) | instskip(NEXT) | instid1(VALU_DEP_1)
	v_cndmask_b32_e64 v2, 0x80000000, v2, s30
	v_lshrrev_b32_e32 v2, s49, v2
	s_delay_alu instid0(VALU_DEP_1)
	v_and_b32_e32 v120, s48, v2
	s_wait_alu 0xfffe
	s_or_b32 exec_lo, exec_lo, s42
	s_and_saveexec_b32 s42, s29
	s_cbranch_execnz .LBB1463_1106
	s_branch .LBB1463_1107
.LBB1463_1172:                          ;   in Loop: Header=BB1463_979 Depth=2
	v_lshlrev_b32_e32 v2, 2, v134
	ds_load_b32 v2, v2
	ds_load_b64 v[39:40], v36 offset:1024
	s_wait_dscnt 0x1
	v_add_nc_u32_e32 v2, v2, v1
	s_delay_alu instid0(VALU_DEP_1) | instskip(NEXT) | instid1(VALU_DEP_1)
	v_lshlrev_b64_e32 v[41:42], 3, v[2:3]
	v_add_co_u32 v41, vcc_lo, s46, v41
	s_wait_alu 0xfffd
	s_delay_alu instid0(VALU_DEP_2)
	v_add_co_ci_u32_e64 v42, null, s47, v42, vcc_lo
	s_wait_dscnt 0x0
	global_store_b64 v[41:42], v[39:40], off
	s_wait_alu 0xfffe
	s_or_b32 exec_lo, exec_lo, s30
	s_and_saveexec_b32 s30, s15
	s_cbranch_execz .LBB1463_1109
.LBB1463_1173:                          ;   in Loop: Header=BB1463_979 Depth=2
	v_lshlrev_b32_e32 v2, 2, v133
	ds_load_b32 v2, v2
	ds_load_b64 v[39:40], v36 offset:3072
	s_wait_dscnt 0x1
	v_add_nc_u32_e32 v2, v2, v45
	s_delay_alu instid0(VALU_DEP_1) | instskip(NEXT) | instid1(VALU_DEP_1)
	v_lshlrev_b64_e32 v[41:42], 3, v[2:3]
	v_add_co_u32 v41, vcc_lo, s46, v41
	s_wait_alu 0xfffd
	s_delay_alu instid0(VALU_DEP_2)
	v_add_co_ci_u32_e64 v42, null, s47, v42, vcc_lo
	s_wait_dscnt 0x0
	global_store_b64 v[41:42], v[39:40], off
	s_wait_alu 0xfffe
	s_or_b32 exec_lo, exec_lo, s30
	s_and_saveexec_b32 s15, s16
	s_cbranch_execz .LBB1463_1110
.LBB1463_1174:                          ;   in Loop: Header=BB1463_979 Depth=2
	v_lshlrev_b32_e32 v2, 2, v132
	ds_load_b32 v2, v2
	ds_load_b64 v[39:40], v36 offset:5120
	s_wait_dscnt 0x1
	v_add_nc_u32_e32 v2, v2, v46
	s_delay_alu instid0(VALU_DEP_1) | instskip(NEXT) | instid1(VALU_DEP_1)
	v_lshlrev_b64_e32 v[41:42], 3, v[2:3]
	v_add_co_u32 v41, vcc_lo, s46, v41
	s_wait_alu 0xfffd
	s_delay_alu instid0(VALU_DEP_2)
	v_add_co_ci_u32_e64 v42, null, s47, v42, vcc_lo
	s_wait_dscnt 0x0
	global_store_b64 v[41:42], v[39:40], off
	s_wait_alu 0xfffe
	s_or_b32 exec_lo, exec_lo, s15
	s_and_saveexec_b32 s15, s17
	s_cbranch_execz .LBB1463_1111
.LBB1463_1175:                          ;   in Loop: Header=BB1463_979 Depth=2
	v_lshlrev_b32_e32 v2, 2, v131
	ds_load_b32 v2, v2
	ds_load_b64 v[39:40], v36 offset:7168
	s_wait_dscnt 0x1
	v_add_nc_u32_e32 v2, v2, v47
	s_delay_alu instid0(VALU_DEP_1) | instskip(NEXT) | instid1(VALU_DEP_1)
	v_lshlrev_b64_e32 v[41:42], 3, v[2:3]
	v_add_co_u32 v41, vcc_lo, s46, v41
	s_wait_alu 0xfffd
	s_delay_alu instid0(VALU_DEP_2)
	v_add_co_ci_u32_e64 v42, null, s47, v42, vcc_lo
	s_wait_dscnt 0x0
	global_store_b64 v[41:42], v[39:40], off
	s_wait_alu 0xfffe
	s_or_b32 exec_lo, exec_lo, s15
	s_and_saveexec_b32 s15, s18
	s_cbranch_execz .LBB1463_1112
.LBB1463_1176:                          ;   in Loop: Header=BB1463_979 Depth=2
	v_lshlrev_b32_e32 v2, 2, v130
	ds_load_b32 v2, v2
	ds_load_b64 v[39:40], v36 offset:9216
	s_wait_dscnt 0x1
	v_add_nc_u32_e32 v2, v2, v50
	s_delay_alu instid0(VALU_DEP_1) | instskip(NEXT) | instid1(VALU_DEP_1)
	v_lshlrev_b64_e32 v[41:42], 3, v[2:3]
	v_add_co_u32 v41, vcc_lo, s46, v41
	s_wait_alu 0xfffd
	s_delay_alu instid0(VALU_DEP_2)
	v_add_co_ci_u32_e64 v42, null, s47, v42, vcc_lo
	s_wait_dscnt 0x0
	global_store_b64 v[41:42], v[39:40], off
	s_wait_alu 0xfffe
	s_or_b32 exec_lo, exec_lo, s15
	s_and_saveexec_b32 s15, s19
	s_cbranch_execz .LBB1463_1113
.LBB1463_1177:                          ;   in Loop: Header=BB1463_979 Depth=2
	v_lshlrev_b32_e32 v2, 2, v129
	ds_load_b32 v2, v2
	ds_load_b64 v[39:40], v36 offset:11264
	s_wait_dscnt 0x1
	v_add_nc_u32_e32 v2, v2, v51
	s_delay_alu instid0(VALU_DEP_1) | instskip(NEXT) | instid1(VALU_DEP_1)
	v_lshlrev_b64_e32 v[41:42], 3, v[2:3]
	v_add_co_u32 v41, vcc_lo, s46, v41
	s_wait_alu 0xfffd
	s_delay_alu instid0(VALU_DEP_2)
	v_add_co_ci_u32_e64 v42, null, s47, v42, vcc_lo
	s_wait_dscnt 0x0
	global_store_b64 v[41:42], v[39:40], off
	s_wait_alu 0xfffe
	s_or_b32 exec_lo, exec_lo, s15
	s_and_saveexec_b32 s15, s20
	s_cbranch_execz .LBB1463_1114
.LBB1463_1178:                          ;   in Loop: Header=BB1463_979 Depth=2
	v_lshlrev_b32_e32 v2, 2, v128
	ds_load_b32 v2, v2
	ds_load_b64 v[39:40], v36 offset:13312
	s_wait_dscnt 0x1
	v_add_nc_u32_e32 v2, v2, v52
	s_delay_alu instid0(VALU_DEP_1) | instskip(NEXT) | instid1(VALU_DEP_1)
	v_lshlrev_b64_e32 v[41:42], 3, v[2:3]
	v_add_co_u32 v41, vcc_lo, s46, v41
	s_wait_alu 0xfffd
	s_delay_alu instid0(VALU_DEP_2)
	v_add_co_ci_u32_e64 v42, null, s47, v42, vcc_lo
	s_wait_dscnt 0x0
	global_store_b64 v[41:42], v[39:40], off
	s_wait_alu 0xfffe
	s_or_b32 exec_lo, exec_lo, s15
	s_and_saveexec_b32 s15, s21
	s_cbranch_execz .LBB1463_1115
.LBB1463_1179:                          ;   in Loop: Header=BB1463_979 Depth=2
	v_lshlrev_b32_e32 v2, 2, v127
	ds_load_b32 v2, v2
	ds_load_b64 v[39:40], v36 offset:15360
	s_wait_dscnt 0x1
	v_add_nc_u32_e32 v2, v2, v53
	s_delay_alu instid0(VALU_DEP_1) | instskip(NEXT) | instid1(VALU_DEP_1)
	v_lshlrev_b64_e32 v[41:42], 3, v[2:3]
	v_add_co_u32 v41, vcc_lo, s46, v41
	s_wait_alu 0xfffd
	s_delay_alu instid0(VALU_DEP_2)
	v_add_co_ci_u32_e64 v42, null, s47, v42, vcc_lo
	s_wait_dscnt 0x0
	global_store_b64 v[41:42], v[39:40], off
	s_wait_alu 0xfffe
	s_or_b32 exec_lo, exec_lo, s15
	s_and_saveexec_b32 s15, s22
	s_cbranch_execz .LBB1463_1116
.LBB1463_1180:                          ;   in Loop: Header=BB1463_979 Depth=2
	v_lshlrev_b32_e32 v2, 2, v126
	ds_load_b32 v2, v2
	ds_load_b64 v[39:40], v36 offset:17408
	s_wait_dscnt 0x1
	v_add_nc_u32_e32 v2, v2, v54
	s_delay_alu instid0(VALU_DEP_1) | instskip(NEXT) | instid1(VALU_DEP_1)
	v_lshlrev_b64_e32 v[41:42], 3, v[2:3]
	v_add_co_u32 v41, vcc_lo, s46, v41
	s_wait_alu 0xfffd
	s_delay_alu instid0(VALU_DEP_2)
	v_add_co_ci_u32_e64 v42, null, s47, v42, vcc_lo
	s_wait_dscnt 0x0
	global_store_b64 v[41:42], v[39:40], off
	s_wait_alu 0xfffe
	s_or_b32 exec_lo, exec_lo, s15
	s_and_saveexec_b32 s15, s23
	s_cbranch_execz .LBB1463_1117
.LBB1463_1181:                          ;   in Loop: Header=BB1463_979 Depth=2
	v_lshlrev_b32_e32 v2, 2, v125
	ds_load_b32 v2, v2
	ds_load_b64 v[39:40], v36 offset:19456
	s_wait_dscnt 0x1
	v_add_nc_u32_e32 v2, v2, v55
	s_delay_alu instid0(VALU_DEP_1) | instskip(NEXT) | instid1(VALU_DEP_1)
	v_lshlrev_b64_e32 v[41:42], 3, v[2:3]
	v_add_co_u32 v41, vcc_lo, s46, v41
	s_wait_alu 0xfffd
	s_delay_alu instid0(VALU_DEP_2)
	v_add_co_ci_u32_e64 v42, null, s47, v42, vcc_lo
	s_wait_dscnt 0x0
	global_store_b64 v[41:42], v[39:40], off
	s_wait_alu 0xfffe
	s_or_b32 exec_lo, exec_lo, s15
	s_and_saveexec_b32 s15, s24
	s_cbranch_execz .LBB1463_1118
.LBB1463_1182:                          ;   in Loop: Header=BB1463_979 Depth=2
	v_lshlrev_b32_e32 v2, 2, v124
	ds_load_b32 v2, v2
	ds_load_b64 v[39:40], v36 offset:21504
	s_wait_dscnt 0x1
	v_add_nc_u32_e32 v2, v2, v56
	s_delay_alu instid0(VALU_DEP_1) | instskip(NEXT) | instid1(VALU_DEP_1)
	v_lshlrev_b64_e32 v[41:42], 3, v[2:3]
	v_add_co_u32 v41, vcc_lo, s46, v41
	s_wait_alu 0xfffd
	s_delay_alu instid0(VALU_DEP_2)
	v_add_co_ci_u32_e64 v42, null, s47, v42, vcc_lo
	s_wait_dscnt 0x0
	global_store_b64 v[41:42], v[39:40], off
	s_wait_alu 0xfffe
	s_or_b32 exec_lo, exec_lo, s15
	s_and_saveexec_b32 s15, s25
	s_cbranch_execz .LBB1463_1119
.LBB1463_1183:                          ;   in Loop: Header=BB1463_979 Depth=2
	v_lshlrev_b32_e32 v2, 2, v123
	ds_load_b32 v2, v2
	ds_load_b64 v[39:40], v36 offset:23552
	s_wait_dscnt 0x1
	v_add_nc_u32_e32 v2, v2, v57
	s_delay_alu instid0(VALU_DEP_1) | instskip(NEXT) | instid1(VALU_DEP_1)
	v_lshlrev_b64_e32 v[41:42], 3, v[2:3]
	v_add_co_u32 v41, vcc_lo, s46, v41
	s_wait_alu 0xfffd
	s_delay_alu instid0(VALU_DEP_2)
	v_add_co_ci_u32_e64 v42, null, s47, v42, vcc_lo
	s_wait_dscnt 0x0
	global_store_b64 v[41:42], v[39:40], off
	s_wait_alu 0xfffe
	s_or_b32 exec_lo, exec_lo, s15
	s_and_saveexec_b32 s15, s26
	s_cbranch_execz .LBB1463_1120
.LBB1463_1184:                          ;   in Loop: Header=BB1463_979 Depth=2
	v_lshlrev_b32_e32 v2, 2, v122
	ds_load_b32 v2, v2
	ds_load_b64 v[39:40], v36 offset:25600
	s_wait_dscnt 0x1
	v_add_nc_u32_e32 v2, v2, v58
	s_delay_alu instid0(VALU_DEP_1) | instskip(NEXT) | instid1(VALU_DEP_1)
	v_lshlrev_b64_e32 v[41:42], 3, v[2:3]
	v_add_co_u32 v41, vcc_lo, s46, v41
	s_wait_alu 0xfffd
	s_delay_alu instid0(VALU_DEP_2)
	v_add_co_ci_u32_e64 v42, null, s47, v42, vcc_lo
	s_wait_dscnt 0x0
	global_store_b64 v[41:42], v[39:40], off
	s_wait_alu 0xfffe
	s_or_b32 exec_lo, exec_lo, s15
	s_and_saveexec_b32 s15, s27
	s_cbranch_execz .LBB1463_1121
.LBB1463_1185:                          ;   in Loop: Header=BB1463_979 Depth=2
	v_lshlrev_b32_e32 v2, 2, v121
	ds_load_b32 v2, v2
	ds_load_b64 v[39:40], v36 offset:27648
	s_wait_dscnt 0x1
	v_add_nc_u32_e32 v2, v2, v59
	s_delay_alu instid0(VALU_DEP_1) | instskip(NEXT) | instid1(VALU_DEP_1)
	v_lshlrev_b64_e32 v[41:42], 3, v[2:3]
	v_add_co_u32 v41, vcc_lo, s46, v41
	s_wait_alu 0xfffd
	s_delay_alu instid0(VALU_DEP_2)
	v_add_co_ci_u32_e64 v42, null, s47, v42, vcc_lo
	s_wait_dscnt 0x0
	global_store_b64 v[41:42], v[39:40], off
	s_wait_alu 0xfffe
	s_or_b32 exec_lo, exec_lo, s15
	s_and_saveexec_b32 s15, s28
	s_cbranch_execz .LBB1463_1122
.LBB1463_1186:                          ;   in Loop: Header=BB1463_979 Depth=2
	v_lshlrev_b32_e32 v2, 2, v120
	ds_load_b32 v2, v2
	ds_load_b64 v[39:40], v36 offset:29696
	s_wait_dscnt 0x1
	v_add_nc_u32_e32 v2, v2, v60
	s_delay_alu instid0(VALU_DEP_1) | instskip(NEXT) | instid1(VALU_DEP_1)
	v_lshlrev_b64_e32 v[41:42], 3, v[2:3]
	v_add_co_u32 v41, vcc_lo, s46, v41
	s_wait_alu 0xfffd
	s_delay_alu instid0(VALU_DEP_2)
	v_add_co_ci_u32_e64 v42, null, s47, v42, vcc_lo
	s_wait_dscnt 0x0
	global_store_b64 v[41:42], v[39:40], off
	s_wait_alu 0xfffe
	s_or_b32 exec_lo, exec_lo, s15
	s_and_saveexec_b32 s15, s29
	s_cbranch_execnz .LBB1463_1123
	s_branch .LBB1463_1124
.LBB1463_1187:
	s_endpgm
	.section	.rodata,"a",@progbits
	.p2align	6, 0x0
	.amdhsa_kernel _ZN7rocprim17ROCPRIM_400000_NS6detail17trampoline_kernelINS0_14default_configENS1_36segmented_radix_sort_config_selectorIflEEZNS1_25segmented_radix_sort_implIS3_Lb0EPKfPfPKlPlN2at6native12_GLOBAL__N_18offset_tEEE10hipError_tPvRmT1_PNSt15iterator_traitsISK_E10value_typeET2_T3_PNSL_ISQ_E10value_typeET4_jRbjT5_SW_jjP12ihipStream_tbEUlT_E2_NS1_11comp_targetILNS1_3genE10ELNS1_11target_archE1201ELNS1_3gpuE5ELNS1_3repE0EEENS1_30default_config_static_selectorELNS0_4arch9wavefront6targetE0EEEvSK_
		.amdhsa_group_segment_fixed_size 33824
		.amdhsa_private_segment_fixed_size 100
		.amdhsa_kernarg_size 336
		.amdhsa_user_sgpr_count 2
		.amdhsa_user_sgpr_dispatch_ptr 0
		.amdhsa_user_sgpr_queue_ptr 0
		.amdhsa_user_sgpr_kernarg_segment_ptr 1
		.amdhsa_user_sgpr_dispatch_id 0
		.amdhsa_user_sgpr_private_segment_size 0
		.amdhsa_wavefront_size32 1
		.amdhsa_uses_dynamic_stack 0
		.amdhsa_enable_private_segment 1
		.amdhsa_system_sgpr_workgroup_id_x 1
		.amdhsa_system_sgpr_workgroup_id_y 1
		.amdhsa_system_sgpr_workgroup_id_z 0
		.amdhsa_system_sgpr_workgroup_info 0
		.amdhsa_system_vgpr_workitem_id 2
		.amdhsa_next_free_vgpr 248
		.amdhsa_next_free_sgpr 58
		.amdhsa_reserve_vcc 1
		.amdhsa_float_round_mode_32 0
		.amdhsa_float_round_mode_16_64 0
		.amdhsa_float_denorm_mode_32 3
		.amdhsa_float_denorm_mode_16_64 3
		.amdhsa_fp16_overflow 0
		.amdhsa_workgroup_processor_mode 1
		.amdhsa_memory_ordered 1
		.amdhsa_forward_progress 1
		.amdhsa_inst_pref_size 255
		.amdhsa_round_robin_scheduling 0
		.amdhsa_exception_fp_ieee_invalid_op 0
		.amdhsa_exception_fp_denorm_src 0
		.amdhsa_exception_fp_ieee_div_zero 0
		.amdhsa_exception_fp_ieee_overflow 0
		.amdhsa_exception_fp_ieee_underflow 0
		.amdhsa_exception_fp_ieee_inexact 0
		.amdhsa_exception_int_div_zero 0
	.end_amdhsa_kernel
	.section	.text._ZN7rocprim17ROCPRIM_400000_NS6detail17trampoline_kernelINS0_14default_configENS1_36segmented_radix_sort_config_selectorIflEEZNS1_25segmented_radix_sort_implIS3_Lb0EPKfPfPKlPlN2at6native12_GLOBAL__N_18offset_tEEE10hipError_tPvRmT1_PNSt15iterator_traitsISK_E10value_typeET2_T3_PNSL_ISQ_E10value_typeET4_jRbjT5_SW_jjP12ihipStream_tbEUlT_E2_NS1_11comp_targetILNS1_3genE10ELNS1_11target_archE1201ELNS1_3gpuE5ELNS1_3repE0EEENS1_30default_config_static_selectorELNS0_4arch9wavefront6targetE0EEEvSK_,"axG",@progbits,_ZN7rocprim17ROCPRIM_400000_NS6detail17trampoline_kernelINS0_14default_configENS1_36segmented_radix_sort_config_selectorIflEEZNS1_25segmented_radix_sort_implIS3_Lb0EPKfPfPKlPlN2at6native12_GLOBAL__N_18offset_tEEE10hipError_tPvRmT1_PNSt15iterator_traitsISK_E10value_typeET2_T3_PNSL_ISQ_E10value_typeET4_jRbjT5_SW_jjP12ihipStream_tbEUlT_E2_NS1_11comp_targetILNS1_3genE10ELNS1_11target_archE1201ELNS1_3gpuE5ELNS1_3repE0EEENS1_30default_config_static_selectorELNS0_4arch9wavefront6targetE0EEEvSK_,comdat
.Lfunc_end1463:
	.size	_ZN7rocprim17ROCPRIM_400000_NS6detail17trampoline_kernelINS0_14default_configENS1_36segmented_radix_sort_config_selectorIflEEZNS1_25segmented_radix_sort_implIS3_Lb0EPKfPfPKlPlN2at6native12_GLOBAL__N_18offset_tEEE10hipError_tPvRmT1_PNSt15iterator_traitsISK_E10value_typeET2_T3_PNSL_ISQ_E10value_typeET4_jRbjT5_SW_jjP12ihipStream_tbEUlT_E2_NS1_11comp_targetILNS1_3genE10ELNS1_11target_archE1201ELNS1_3gpuE5ELNS1_3repE0EEENS1_30default_config_static_selectorELNS0_4arch9wavefront6targetE0EEEvSK_, .Lfunc_end1463-_ZN7rocprim17ROCPRIM_400000_NS6detail17trampoline_kernelINS0_14default_configENS1_36segmented_radix_sort_config_selectorIflEEZNS1_25segmented_radix_sort_implIS3_Lb0EPKfPfPKlPlN2at6native12_GLOBAL__N_18offset_tEEE10hipError_tPvRmT1_PNSt15iterator_traitsISK_E10value_typeET2_T3_PNSL_ISQ_E10value_typeET4_jRbjT5_SW_jjP12ihipStream_tbEUlT_E2_NS1_11comp_targetILNS1_3genE10ELNS1_11target_archE1201ELNS1_3gpuE5ELNS1_3repE0EEENS1_30default_config_static_selectorELNS0_4arch9wavefront6targetE0EEEvSK_
                                        ; -- End function
	.set _ZN7rocprim17ROCPRIM_400000_NS6detail17trampoline_kernelINS0_14default_configENS1_36segmented_radix_sort_config_selectorIflEEZNS1_25segmented_radix_sort_implIS3_Lb0EPKfPfPKlPlN2at6native12_GLOBAL__N_18offset_tEEE10hipError_tPvRmT1_PNSt15iterator_traitsISK_E10value_typeET2_T3_PNSL_ISQ_E10value_typeET4_jRbjT5_SW_jjP12ihipStream_tbEUlT_E2_NS1_11comp_targetILNS1_3genE10ELNS1_11target_archE1201ELNS1_3gpuE5ELNS1_3repE0EEENS1_30default_config_static_selectorELNS0_4arch9wavefront6targetE0EEEvSK_.num_vgpr, max(205, .L_ZN7rocprim17ROCPRIM_400000_NS6detail26segmented_warp_sort_helperINS1_20WarpSortHelperConfigILj8ELj4ELj256EEEflLi256ELb0EvE4sortIPKfPfPKlPlEEvT_S9_T0_T1_SC_T2_bjjjjRNS5_12storage_typeE.num_vgpr, .L_ZN7rocprim17ROCPRIM_400000_NS6detail40segmented_radix_sort_single_block_helperIflLj256ELj16ELb0EE4sortIPKfPfPKlPlEEbT_T0_T1_T2_jjjjRNS3_12storage_typeE.num_vgpr)
	.set _ZN7rocprim17ROCPRIM_400000_NS6detail17trampoline_kernelINS0_14default_configENS1_36segmented_radix_sort_config_selectorIflEEZNS1_25segmented_radix_sort_implIS3_Lb0EPKfPfPKlPlN2at6native12_GLOBAL__N_18offset_tEEE10hipError_tPvRmT1_PNSt15iterator_traitsISK_E10value_typeET2_T3_PNSL_ISQ_E10value_typeET4_jRbjT5_SW_jjP12ihipStream_tbEUlT_E2_NS1_11comp_targetILNS1_3genE10ELNS1_11target_archE1201ELNS1_3gpuE5ELNS1_3repE0EEENS1_30default_config_static_selectorELNS0_4arch9wavefront6targetE0EEEvSK_.num_agpr, max(0, .L_ZN7rocprim17ROCPRIM_400000_NS6detail26segmented_warp_sort_helperINS1_20WarpSortHelperConfigILj8ELj4ELj256EEEflLi256ELb0EvE4sortIPKfPfPKlPlEEvT_S9_T0_T1_SC_T2_bjjjjRNS5_12storage_typeE.num_agpr, .L_ZN7rocprim17ROCPRIM_400000_NS6detail40segmented_radix_sort_single_block_helperIflLj256ELj16ELb0EE4sortIPKfPfPKlPlEEbT_T0_T1_T2_jjjjRNS3_12storage_typeE.num_agpr)
	.set _ZN7rocprim17ROCPRIM_400000_NS6detail17trampoline_kernelINS0_14default_configENS1_36segmented_radix_sort_config_selectorIflEEZNS1_25segmented_radix_sort_implIS3_Lb0EPKfPfPKlPlN2at6native12_GLOBAL__N_18offset_tEEE10hipError_tPvRmT1_PNSt15iterator_traitsISK_E10value_typeET2_T3_PNSL_ISQ_E10value_typeET4_jRbjT5_SW_jjP12ihipStream_tbEUlT_E2_NS1_11comp_targetILNS1_3genE10ELNS1_11target_archE1201ELNS1_3gpuE5ELNS1_3repE0EEENS1_30default_config_static_selectorELNS0_4arch9wavefront6targetE0EEEvSK_.numbered_sgpr, max(58, .L_ZN7rocprim17ROCPRIM_400000_NS6detail26segmented_warp_sort_helperINS1_20WarpSortHelperConfigILj8ELj4ELj256EEEflLi256ELb0EvE4sortIPKfPfPKlPlEEvT_S9_T0_T1_SC_T2_bjjjjRNS5_12storage_typeE.numbered_sgpr, .L_ZN7rocprim17ROCPRIM_400000_NS6detail40segmented_radix_sort_single_block_helperIflLj256ELj16ELb0EE4sortIPKfPfPKlPlEEbT_T0_T1_T2_jjjjRNS3_12storage_typeE.numbered_sgpr)
	.set _ZN7rocprim17ROCPRIM_400000_NS6detail17trampoline_kernelINS0_14default_configENS1_36segmented_radix_sort_config_selectorIflEEZNS1_25segmented_radix_sort_implIS3_Lb0EPKfPfPKlPlN2at6native12_GLOBAL__N_18offset_tEEE10hipError_tPvRmT1_PNSt15iterator_traitsISK_E10value_typeET2_T3_PNSL_ISQ_E10value_typeET4_jRbjT5_SW_jjP12ihipStream_tbEUlT_E2_NS1_11comp_targetILNS1_3genE10ELNS1_11target_archE1201ELNS1_3gpuE5ELNS1_3repE0EEENS1_30default_config_static_selectorELNS0_4arch9wavefront6targetE0EEEvSK_.num_named_barrier, max(0, .L_ZN7rocprim17ROCPRIM_400000_NS6detail26segmented_warp_sort_helperINS1_20WarpSortHelperConfigILj8ELj4ELj256EEEflLi256ELb0EvE4sortIPKfPfPKlPlEEvT_S9_T0_T1_SC_T2_bjjjjRNS5_12storage_typeE.num_named_barrier, .L_ZN7rocprim17ROCPRIM_400000_NS6detail40segmented_radix_sort_single_block_helperIflLj256ELj16ELb0EE4sortIPKfPfPKlPlEEbT_T0_T1_T2_jjjjRNS3_12storage_typeE.num_named_barrier)
	.set _ZN7rocprim17ROCPRIM_400000_NS6detail17trampoline_kernelINS0_14default_configENS1_36segmented_radix_sort_config_selectorIflEEZNS1_25segmented_radix_sort_implIS3_Lb0EPKfPfPKlPlN2at6native12_GLOBAL__N_18offset_tEEE10hipError_tPvRmT1_PNSt15iterator_traitsISK_E10value_typeET2_T3_PNSL_ISQ_E10value_typeET4_jRbjT5_SW_jjP12ihipStream_tbEUlT_E2_NS1_11comp_targetILNS1_3genE10ELNS1_11target_archE1201ELNS1_3gpuE5ELNS1_3repE0EEENS1_30default_config_static_selectorELNS0_4arch9wavefront6targetE0EEEvSK_.private_seg_size, 0+max(.L_ZN7rocprim17ROCPRIM_400000_NS6detail26segmented_warp_sort_helperINS1_20WarpSortHelperConfigILj8ELj4ELj256EEEflLi256ELb0EvE4sortIPKfPfPKlPlEEvT_S9_T0_T1_SC_T2_bjjjjRNS5_12storage_typeE.private_seg_size, .L_ZN7rocprim17ROCPRIM_400000_NS6detail40segmented_radix_sort_single_block_helperIflLj256ELj16ELb0EE4sortIPKfPfPKlPlEEbT_T0_T1_T2_jjjjRNS3_12storage_typeE.private_seg_size)
	.set _ZN7rocprim17ROCPRIM_400000_NS6detail17trampoline_kernelINS0_14default_configENS1_36segmented_radix_sort_config_selectorIflEEZNS1_25segmented_radix_sort_implIS3_Lb0EPKfPfPKlPlN2at6native12_GLOBAL__N_18offset_tEEE10hipError_tPvRmT1_PNSt15iterator_traitsISK_E10value_typeET2_T3_PNSL_ISQ_E10value_typeET4_jRbjT5_SW_jjP12ihipStream_tbEUlT_E2_NS1_11comp_targetILNS1_3genE10ELNS1_11target_archE1201ELNS1_3gpuE5ELNS1_3repE0EEENS1_30default_config_static_selectorELNS0_4arch9wavefront6targetE0EEEvSK_.uses_vcc, or(1, .L_ZN7rocprim17ROCPRIM_400000_NS6detail26segmented_warp_sort_helperINS1_20WarpSortHelperConfigILj8ELj4ELj256EEEflLi256ELb0EvE4sortIPKfPfPKlPlEEvT_S9_T0_T1_SC_T2_bjjjjRNS5_12storage_typeE.uses_vcc, .L_ZN7rocprim17ROCPRIM_400000_NS6detail40segmented_radix_sort_single_block_helperIflLj256ELj16ELb0EE4sortIPKfPfPKlPlEEbT_T0_T1_T2_jjjjRNS3_12storage_typeE.uses_vcc)
	.set _ZN7rocprim17ROCPRIM_400000_NS6detail17trampoline_kernelINS0_14default_configENS1_36segmented_radix_sort_config_selectorIflEEZNS1_25segmented_radix_sort_implIS3_Lb0EPKfPfPKlPlN2at6native12_GLOBAL__N_18offset_tEEE10hipError_tPvRmT1_PNSt15iterator_traitsISK_E10value_typeET2_T3_PNSL_ISQ_E10value_typeET4_jRbjT5_SW_jjP12ihipStream_tbEUlT_E2_NS1_11comp_targetILNS1_3genE10ELNS1_11target_archE1201ELNS1_3gpuE5ELNS1_3repE0EEENS1_30default_config_static_selectorELNS0_4arch9wavefront6targetE0EEEvSK_.uses_flat_scratch, or(0, .L_ZN7rocprim17ROCPRIM_400000_NS6detail26segmented_warp_sort_helperINS1_20WarpSortHelperConfigILj8ELj4ELj256EEEflLi256ELb0EvE4sortIPKfPfPKlPlEEvT_S9_T0_T1_SC_T2_bjjjjRNS5_12storage_typeE.uses_flat_scratch, .L_ZN7rocprim17ROCPRIM_400000_NS6detail40segmented_radix_sort_single_block_helperIflLj256ELj16ELb0EE4sortIPKfPfPKlPlEEbT_T0_T1_T2_jjjjRNS3_12storage_typeE.uses_flat_scratch)
	.set _ZN7rocprim17ROCPRIM_400000_NS6detail17trampoline_kernelINS0_14default_configENS1_36segmented_radix_sort_config_selectorIflEEZNS1_25segmented_radix_sort_implIS3_Lb0EPKfPfPKlPlN2at6native12_GLOBAL__N_18offset_tEEE10hipError_tPvRmT1_PNSt15iterator_traitsISK_E10value_typeET2_T3_PNSL_ISQ_E10value_typeET4_jRbjT5_SW_jjP12ihipStream_tbEUlT_E2_NS1_11comp_targetILNS1_3genE10ELNS1_11target_archE1201ELNS1_3gpuE5ELNS1_3repE0EEENS1_30default_config_static_selectorELNS0_4arch9wavefront6targetE0EEEvSK_.has_dyn_sized_stack, or(0, .L_ZN7rocprim17ROCPRIM_400000_NS6detail26segmented_warp_sort_helperINS1_20WarpSortHelperConfigILj8ELj4ELj256EEEflLi256ELb0EvE4sortIPKfPfPKlPlEEvT_S9_T0_T1_SC_T2_bjjjjRNS5_12storage_typeE.has_dyn_sized_stack, .L_ZN7rocprim17ROCPRIM_400000_NS6detail40segmented_radix_sort_single_block_helperIflLj256ELj16ELb0EE4sortIPKfPfPKlPlEEbT_T0_T1_T2_jjjjRNS3_12storage_typeE.has_dyn_sized_stack)
	.set _ZN7rocprim17ROCPRIM_400000_NS6detail17trampoline_kernelINS0_14default_configENS1_36segmented_radix_sort_config_selectorIflEEZNS1_25segmented_radix_sort_implIS3_Lb0EPKfPfPKlPlN2at6native12_GLOBAL__N_18offset_tEEE10hipError_tPvRmT1_PNSt15iterator_traitsISK_E10value_typeET2_T3_PNSL_ISQ_E10value_typeET4_jRbjT5_SW_jjP12ihipStream_tbEUlT_E2_NS1_11comp_targetILNS1_3genE10ELNS1_11target_archE1201ELNS1_3gpuE5ELNS1_3repE0EEENS1_30default_config_static_selectorELNS0_4arch9wavefront6targetE0EEEvSK_.has_recursion, or(0, .L_ZN7rocprim17ROCPRIM_400000_NS6detail26segmented_warp_sort_helperINS1_20WarpSortHelperConfigILj8ELj4ELj256EEEflLi256ELb0EvE4sortIPKfPfPKlPlEEvT_S9_T0_T1_SC_T2_bjjjjRNS5_12storage_typeE.has_recursion, .L_ZN7rocprim17ROCPRIM_400000_NS6detail40segmented_radix_sort_single_block_helperIflLj256ELj16ELb0EE4sortIPKfPfPKlPlEEbT_T0_T1_T2_jjjjRNS3_12storage_typeE.has_recursion)
	.set _ZN7rocprim17ROCPRIM_400000_NS6detail17trampoline_kernelINS0_14default_configENS1_36segmented_radix_sort_config_selectorIflEEZNS1_25segmented_radix_sort_implIS3_Lb0EPKfPfPKlPlN2at6native12_GLOBAL__N_18offset_tEEE10hipError_tPvRmT1_PNSt15iterator_traitsISK_E10value_typeET2_T3_PNSL_ISQ_E10value_typeET4_jRbjT5_SW_jjP12ihipStream_tbEUlT_E2_NS1_11comp_targetILNS1_3genE10ELNS1_11target_archE1201ELNS1_3gpuE5ELNS1_3repE0EEENS1_30default_config_static_selectorELNS0_4arch9wavefront6targetE0EEEvSK_.has_indirect_call, or(0, .L_ZN7rocprim17ROCPRIM_400000_NS6detail26segmented_warp_sort_helperINS1_20WarpSortHelperConfigILj8ELj4ELj256EEEflLi256ELb0EvE4sortIPKfPfPKlPlEEvT_S9_T0_T1_SC_T2_bjjjjRNS5_12storage_typeE.has_indirect_call, .L_ZN7rocprim17ROCPRIM_400000_NS6detail40segmented_radix_sort_single_block_helperIflLj256ELj16ELb0EE4sortIPKfPfPKlPlEEbT_T0_T1_T2_jjjjRNS3_12storage_typeE.has_indirect_call)
	.section	.AMDGPU.csdata,"",@progbits
; Kernel info:
; codeLenInByte = 85312
; TotalNumSgprs: 60
; NumVgprs: 248
; ScratchSize: 100
; MemoryBound: 0
; FloatMode: 240
; IeeeMode: 1
; LDSByteSize: 33824 bytes/workgroup (compile time only)
; SGPRBlocks: 0
; VGPRBlocks: 30
; NumSGPRsForWavesPerEU: 60
; NumVGPRsForWavesPerEU: 248
; Occupancy: 5
; WaveLimiterHint : 1
; COMPUTE_PGM_RSRC2:SCRATCH_EN: 1
; COMPUTE_PGM_RSRC2:USER_SGPR: 2
; COMPUTE_PGM_RSRC2:TRAP_HANDLER: 0
; COMPUTE_PGM_RSRC2:TGID_X_EN: 1
; COMPUTE_PGM_RSRC2:TGID_Y_EN: 1
; COMPUTE_PGM_RSRC2:TGID_Z_EN: 0
; COMPUTE_PGM_RSRC2:TIDIG_COMP_CNT: 2
	.section	.text._ZN7rocprim17ROCPRIM_400000_NS6detail17trampoline_kernelINS0_14default_configENS1_36segmented_radix_sort_config_selectorIflEEZNS1_25segmented_radix_sort_implIS3_Lb0EPKfPfPKlPlN2at6native12_GLOBAL__N_18offset_tEEE10hipError_tPvRmT1_PNSt15iterator_traitsISK_E10value_typeET2_T3_PNSL_ISQ_E10value_typeET4_jRbjT5_SW_jjP12ihipStream_tbEUlT_E2_NS1_11comp_targetILNS1_3genE10ELNS1_11target_archE1200ELNS1_3gpuE4ELNS1_3repE0EEENS1_30default_config_static_selectorELNS0_4arch9wavefront6targetE0EEEvSK_,"axG",@progbits,_ZN7rocprim17ROCPRIM_400000_NS6detail17trampoline_kernelINS0_14default_configENS1_36segmented_radix_sort_config_selectorIflEEZNS1_25segmented_radix_sort_implIS3_Lb0EPKfPfPKlPlN2at6native12_GLOBAL__N_18offset_tEEE10hipError_tPvRmT1_PNSt15iterator_traitsISK_E10value_typeET2_T3_PNSL_ISQ_E10value_typeET4_jRbjT5_SW_jjP12ihipStream_tbEUlT_E2_NS1_11comp_targetILNS1_3genE10ELNS1_11target_archE1200ELNS1_3gpuE4ELNS1_3repE0EEENS1_30default_config_static_selectorELNS0_4arch9wavefront6targetE0EEEvSK_,comdat
	.globl	_ZN7rocprim17ROCPRIM_400000_NS6detail17trampoline_kernelINS0_14default_configENS1_36segmented_radix_sort_config_selectorIflEEZNS1_25segmented_radix_sort_implIS3_Lb0EPKfPfPKlPlN2at6native12_GLOBAL__N_18offset_tEEE10hipError_tPvRmT1_PNSt15iterator_traitsISK_E10value_typeET2_T3_PNSL_ISQ_E10value_typeET4_jRbjT5_SW_jjP12ihipStream_tbEUlT_E2_NS1_11comp_targetILNS1_3genE10ELNS1_11target_archE1200ELNS1_3gpuE4ELNS1_3repE0EEENS1_30default_config_static_selectorELNS0_4arch9wavefront6targetE0EEEvSK_ ; -- Begin function _ZN7rocprim17ROCPRIM_400000_NS6detail17trampoline_kernelINS0_14default_configENS1_36segmented_radix_sort_config_selectorIflEEZNS1_25segmented_radix_sort_implIS3_Lb0EPKfPfPKlPlN2at6native12_GLOBAL__N_18offset_tEEE10hipError_tPvRmT1_PNSt15iterator_traitsISK_E10value_typeET2_T3_PNSL_ISQ_E10value_typeET4_jRbjT5_SW_jjP12ihipStream_tbEUlT_E2_NS1_11comp_targetILNS1_3genE10ELNS1_11target_archE1200ELNS1_3gpuE4ELNS1_3repE0EEENS1_30default_config_static_selectorELNS0_4arch9wavefront6targetE0EEEvSK_
	.p2align	8
	.type	_ZN7rocprim17ROCPRIM_400000_NS6detail17trampoline_kernelINS0_14default_configENS1_36segmented_radix_sort_config_selectorIflEEZNS1_25segmented_radix_sort_implIS3_Lb0EPKfPfPKlPlN2at6native12_GLOBAL__N_18offset_tEEE10hipError_tPvRmT1_PNSt15iterator_traitsISK_E10value_typeET2_T3_PNSL_ISQ_E10value_typeET4_jRbjT5_SW_jjP12ihipStream_tbEUlT_E2_NS1_11comp_targetILNS1_3genE10ELNS1_11target_archE1200ELNS1_3gpuE4ELNS1_3repE0EEENS1_30default_config_static_selectorELNS0_4arch9wavefront6targetE0EEEvSK_,@function
_ZN7rocprim17ROCPRIM_400000_NS6detail17trampoline_kernelINS0_14default_configENS1_36segmented_radix_sort_config_selectorIflEEZNS1_25segmented_radix_sort_implIS3_Lb0EPKfPfPKlPlN2at6native12_GLOBAL__N_18offset_tEEE10hipError_tPvRmT1_PNSt15iterator_traitsISK_E10value_typeET2_T3_PNSL_ISQ_E10value_typeET4_jRbjT5_SW_jjP12ihipStream_tbEUlT_E2_NS1_11comp_targetILNS1_3genE10ELNS1_11target_archE1200ELNS1_3gpuE4ELNS1_3repE0EEENS1_30default_config_static_selectorELNS0_4arch9wavefront6targetE0EEEvSK_: ; @_ZN7rocprim17ROCPRIM_400000_NS6detail17trampoline_kernelINS0_14default_configENS1_36segmented_radix_sort_config_selectorIflEEZNS1_25segmented_radix_sort_implIS3_Lb0EPKfPfPKlPlN2at6native12_GLOBAL__N_18offset_tEEE10hipError_tPvRmT1_PNSt15iterator_traitsISK_E10value_typeET2_T3_PNSL_ISQ_E10value_typeET4_jRbjT5_SW_jjP12ihipStream_tbEUlT_E2_NS1_11comp_targetILNS1_3genE10ELNS1_11target_archE1200ELNS1_3gpuE4ELNS1_3repE0EEENS1_30default_config_static_selectorELNS0_4arch9wavefront6targetE0EEEvSK_
; %bb.0:
	.section	.rodata,"a",@progbits
	.p2align	6, 0x0
	.amdhsa_kernel _ZN7rocprim17ROCPRIM_400000_NS6detail17trampoline_kernelINS0_14default_configENS1_36segmented_radix_sort_config_selectorIflEEZNS1_25segmented_radix_sort_implIS3_Lb0EPKfPfPKlPlN2at6native12_GLOBAL__N_18offset_tEEE10hipError_tPvRmT1_PNSt15iterator_traitsISK_E10value_typeET2_T3_PNSL_ISQ_E10value_typeET4_jRbjT5_SW_jjP12ihipStream_tbEUlT_E2_NS1_11comp_targetILNS1_3genE10ELNS1_11target_archE1200ELNS1_3gpuE4ELNS1_3repE0EEENS1_30default_config_static_selectorELNS0_4arch9wavefront6targetE0EEEvSK_
		.amdhsa_group_segment_fixed_size 0
		.amdhsa_private_segment_fixed_size 0
		.amdhsa_kernarg_size 80
		.amdhsa_user_sgpr_count 2
		.amdhsa_user_sgpr_dispatch_ptr 0
		.amdhsa_user_sgpr_queue_ptr 0
		.amdhsa_user_sgpr_kernarg_segment_ptr 1
		.amdhsa_user_sgpr_dispatch_id 0
		.amdhsa_user_sgpr_private_segment_size 0
		.amdhsa_wavefront_size32 1
		.amdhsa_uses_dynamic_stack 0
		.amdhsa_enable_private_segment 0
		.amdhsa_system_sgpr_workgroup_id_x 1
		.amdhsa_system_sgpr_workgroup_id_y 0
		.amdhsa_system_sgpr_workgroup_id_z 0
		.amdhsa_system_sgpr_workgroup_info 0
		.amdhsa_system_vgpr_workitem_id 0
		.amdhsa_next_free_vgpr 1
		.amdhsa_next_free_sgpr 1
		.amdhsa_reserve_vcc 0
		.amdhsa_float_round_mode_32 0
		.amdhsa_float_round_mode_16_64 0
		.amdhsa_float_denorm_mode_32 3
		.amdhsa_float_denorm_mode_16_64 3
		.amdhsa_fp16_overflow 0
		.amdhsa_workgroup_processor_mode 1
		.amdhsa_memory_ordered 1
		.amdhsa_forward_progress 1
		.amdhsa_inst_pref_size 0
		.amdhsa_round_robin_scheduling 0
		.amdhsa_exception_fp_ieee_invalid_op 0
		.amdhsa_exception_fp_denorm_src 0
		.amdhsa_exception_fp_ieee_div_zero 0
		.amdhsa_exception_fp_ieee_overflow 0
		.amdhsa_exception_fp_ieee_underflow 0
		.amdhsa_exception_fp_ieee_inexact 0
		.amdhsa_exception_int_div_zero 0
	.end_amdhsa_kernel
	.section	.text._ZN7rocprim17ROCPRIM_400000_NS6detail17trampoline_kernelINS0_14default_configENS1_36segmented_radix_sort_config_selectorIflEEZNS1_25segmented_radix_sort_implIS3_Lb0EPKfPfPKlPlN2at6native12_GLOBAL__N_18offset_tEEE10hipError_tPvRmT1_PNSt15iterator_traitsISK_E10value_typeET2_T3_PNSL_ISQ_E10value_typeET4_jRbjT5_SW_jjP12ihipStream_tbEUlT_E2_NS1_11comp_targetILNS1_3genE10ELNS1_11target_archE1200ELNS1_3gpuE4ELNS1_3repE0EEENS1_30default_config_static_selectorELNS0_4arch9wavefront6targetE0EEEvSK_,"axG",@progbits,_ZN7rocprim17ROCPRIM_400000_NS6detail17trampoline_kernelINS0_14default_configENS1_36segmented_radix_sort_config_selectorIflEEZNS1_25segmented_radix_sort_implIS3_Lb0EPKfPfPKlPlN2at6native12_GLOBAL__N_18offset_tEEE10hipError_tPvRmT1_PNSt15iterator_traitsISK_E10value_typeET2_T3_PNSL_ISQ_E10value_typeET4_jRbjT5_SW_jjP12ihipStream_tbEUlT_E2_NS1_11comp_targetILNS1_3genE10ELNS1_11target_archE1200ELNS1_3gpuE4ELNS1_3repE0EEENS1_30default_config_static_selectorELNS0_4arch9wavefront6targetE0EEEvSK_,comdat
.Lfunc_end1464:
	.size	_ZN7rocprim17ROCPRIM_400000_NS6detail17trampoline_kernelINS0_14default_configENS1_36segmented_radix_sort_config_selectorIflEEZNS1_25segmented_radix_sort_implIS3_Lb0EPKfPfPKlPlN2at6native12_GLOBAL__N_18offset_tEEE10hipError_tPvRmT1_PNSt15iterator_traitsISK_E10value_typeET2_T3_PNSL_ISQ_E10value_typeET4_jRbjT5_SW_jjP12ihipStream_tbEUlT_E2_NS1_11comp_targetILNS1_3genE10ELNS1_11target_archE1200ELNS1_3gpuE4ELNS1_3repE0EEENS1_30default_config_static_selectorELNS0_4arch9wavefront6targetE0EEEvSK_, .Lfunc_end1464-_ZN7rocprim17ROCPRIM_400000_NS6detail17trampoline_kernelINS0_14default_configENS1_36segmented_radix_sort_config_selectorIflEEZNS1_25segmented_radix_sort_implIS3_Lb0EPKfPfPKlPlN2at6native12_GLOBAL__N_18offset_tEEE10hipError_tPvRmT1_PNSt15iterator_traitsISK_E10value_typeET2_T3_PNSL_ISQ_E10value_typeET4_jRbjT5_SW_jjP12ihipStream_tbEUlT_E2_NS1_11comp_targetILNS1_3genE10ELNS1_11target_archE1200ELNS1_3gpuE4ELNS1_3repE0EEENS1_30default_config_static_selectorELNS0_4arch9wavefront6targetE0EEEvSK_
                                        ; -- End function
	.set _ZN7rocprim17ROCPRIM_400000_NS6detail17trampoline_kernelINS0_14default_configENS1_36segmented_radix_sort_config_selectorIflEEZNS1_25segmented_radix_sort_implIS3_Lb0EPKfPfPKlPlN2at6native12_GLOBAL__N_18offset_tEEE10hipError_tPvRmT1_PNSt15iterator_traitsISK_E10value_typeET2_T3_PNSL_ISQ_E10value_typeET4_jRbjT5_SW_jjP12ihipStream_tbEUlT_E2_NS1_11comp_targetILNS1_3genE10ELNS1_11target_archE1200ELNS1_3gpuE4ELNS1_3repE0EEENS1_30default_config_static_selectorELNS0_4arch9wavefront6targetE0EEEvSK_.num_vgpr, 0
	.set _ZN7rocprim17ROCPRIM_400000_NS6detail17trampoline_kernelINS0_14default_configENS1_36segmented_radix_sort_config_selectorIflEEZNS1_25segmented_radix_sort_implIS3_Lb0EPKfPfPKlPlN2at6native12_GLOBAL__N_18offset_tEEE10hipError_tPvRmT1_PNSt15iterator_traitsISK_E10value_typeET2_T3_PNSL_ISQ_E10value_typeET4_jRbjT5_SW_jjP12ihipStream_tbEUlT_E2_NS1_11comp_targetILNS1_3genE10ELNS1_11target_archE1200ELNS1_3gpuE4ELNS1_3repE0EEENS1_30default_config_static_selectorELNS0_4arch9wavefront6targetE0EEEvSK_.num_agpr, 0
	.set _ZN7rocprim17ROCPRIM_400000_NS6detail17trampoline_kernelINS0_14default_configENS1_36segmented_radix_sort_config_selectorIflEEZNS1_25segmented_radix_sort_implIS3_Lb0EPKfPfPKlPlN2at6native12_GLOBAL__N_18offset_tEEE10hipError_tPvRmT1_PNSt15iterator_traitsISK_E10value_typeET2_T3_PNSL_ISQ_E10value_typeET4_jRbjT5_SW_jjP12ihipStream_tbEUlT_E2_NS1_11comp_targetILNS1_3genE10ELNS1_11target_archE1200ELNS1_3gpuE4ELNS1_3repE0EEENS1_30default_config_static_selectorELNS0_4arch9wavefront6targetE0EEEvSK_.numbered_sgpr, 0
	.set _ZN7rocprim17ROCPRIM_400000_NS6detail17trampoline_kernelINS0_14default_configENS1_36segmented_radix_sort_config_selectorIflEEZNS1_25segmented_radix_sort_implIS3_Lb0EPKfPfPKlPlN2at6native12_GLOBAL__N_18offset_tEEE10hipError_tPvRmT1_PNSt15iterator_traitsISK_E10value_typeET2_T3_PNSL_ISQ_E10value_typeET4_jRbjT5_SW_jjP12ihipStream_tbEUlT_E2_NS1_11comp_targetILNS1_3genE10ELNS1_11target_archE1200ELNS1_3gpuE4ELNS1_3repE0EEENS1_30default_config_static_selectorELNS0_4arch9wavefront6targetE0EEEvSK_.num_named_barrier, 0
	.set _ZN7rocprim17ROCPRIM_400000_NS6detail17trampoline_kernelINS0_14default_configENS1_36segmented_radix_sort_config_selectorIflEEZNS1_25segmented_radix_sort_implIS3_Lb0EPKfPfPKlPlN2at6native12_GLOBAL__N_18offset_tEEE10hipError_tPvRmT1_PNSt15iterator_traitsISK_E10value_typeET2_T3_PNSL_ISQ_E10value_typeET4_jRbjT5_SW_jjP12ihipStream_tbEUlT_E2_NS1_11comp_targetILNS1_3genE10ELNS1_11target_archE1200ELNS1_3gpuE4ELNS1_3repE0EEENS1_30default_config_static_selectorELNS0_4arch9wavefront6targetE0EEEvSK_.private_seg_size, 0
	.set _ZN7rocprim17ROCPRIM_400000_NS6detail17trampoline_kernelINS0_14default_configENS1_36segmented_radix_sort_config_selectorIflEEZNS1_25segmented_radix_sort_implIS3_Lb0EPKfPfPKlPlN2at6native12_GLOBAL__N_18offset_tEEE10hipError_tPvRmT1_PNSt15iterator_traitsISK_E10value_typeET2_T3_PNSL_ISQ_E10value_typeET4_jRbjT5_SW_jjP12ihipStream_tbEUlT_E2_NS1_11comp_targetILNS1_3genE10ELNS1_11target_archE1200ELNS1_3gpuE4ELNS1_3repE0EEENS1_30default_config_static_selectorELNS0_4arch9wavefront6targetE0EEEvSK_.uses_vcc, 0
	.set _ZN7rocprim17ROCPRIM_400000_NS6detail17trampoline_kernelINS0_14default_configENS1_36segmented_radix_sort_config_selectorIflEEZNS1_25segmented_radix_sort_implIS3_Lb0EPKfPfPKlPlN2at6native12_GLOBAL__N_18offset_tEEE10hipError_tPvRmT1_PNSt15iterator_traitsISK_E10value_typeET2_T3_PNSL_ISQ_E10value_typeET4_jRbjT5_SW_jjP12ihipStream_tbEUlT_E2_NS1_11comp_targetILNS1_3genE10ELNS1_11target_archE1200ELNS1_3gpuE4ELNS1_3repE0EEENS1_30default_config_static_selectorELNS0_4arch9wavefront6targetE0EEEvSK_.uses_flat_scratch, 0
	.set _ZN7rocprim17ROCPRIM_400000_NS6detail17trampoline_kernelINS0_14default_configENS1_36segmented_radix_sort_config_selectorIflEEZNS1_25segmented_radix_sort_implIS3_Lb0EPKfPfPKlPlN2at6native12_GLOBAL__N_18offset_tEEE10hipError_tPvRmT1_PNSt15iterator_traitsISK_E10value_typeET2_T3_PNSL_ISQ_E10value_typeET4_jRbjT5_SW_jjP12ihipStream_tbEUlT_E2_NS1_11comp_targetILNS1_3genE10ELNS1_11target_archE1200ELNS1_3gpuE4ELNS1_3repE0EEENS1_30default_config_static_selectorELNS0_4arch9wavefront6targetE0EEEvSK_.has_dyn_sized_stack, 0
	.set _ZN7rocprim17ROCPRIM_400000_NS6detail17trampoline_kernelINS0_14default_configENS1_36segmented_radix_sort_config_selectorIflEEZNS1_25segmented_radix_sort_implIS3_Lb0EPKfPfPKlPlN2at6native12_GLOBAL__N_18offset_tEEE10hipError_tPvRmT1_PNSt15iterator_traitsISK_E10value_typeET2_T3_PNSL_ISQ_E10value_typeET4_jRbjT5_SW_jjP12ihipStream_tbEUlT_E2_NS1_11comp_targetILNS1_3genE10ELNS1_11target_archE1200ELNS1_3gpuE4ELNS1_3repE0EEENS1_30default_config_static_selectorELNS0_4arch9wavefront6targetE0EEEvSK_.has_recursion, 0
	.set _ZN7rocprim17ROCPRIM_400000_NS6detail17trampoline_kernelINS0_14default_configENS1_36segmented_radix_sort_config_selectorIflEEZNS1_25segmented_radix_sort_implIS3_Lb0EPKfPfPKlPlN2at6native12_GLOBAL__N_18offset_tEEE10hipError_tPvRmT1_PNSt15iterator_traitsISK_E10value_typeET2_T3_PNSL_ISQ_E10value_typeET4_jRbjT5_SW_jjP12ihipStream_tbEUlT_E2_NS1_11comp_targetILNS1_3genE10ELNS1_11target_archE1200ELNS1_3gpuE4ELNS1_3repE0EEENS1_30default_config_static_selectorELNS0_4arch9wavefront6targetE0EEEvSK_.has_indirect_call, 0
	.section	.AMDGPU.csdata,"",@progbits
; Kernel info:
; codeLenInByte = 0
; TotalNumSgprs: 0
; NumVgprs: 0
; ScratchSize: 0
; MemoryBound: 0
; FloatMode: 240
; IeeeMode: 1
; LDSByteSize: 0 bytes/workgroup (compile time only)
; SGPRBlocks: 0
; VGPRBlocks: 0
; NumSGPRsForWavesPerEU: 1
; NumVGPRsForWavesPerEU: 1
; Occupancy: 16
; WaveLimiterHint : 0
; COMPUTE_PGM_RSRC2:SCRATCH_EN: 0
; COMPUTE_PGM_RSRC2:USER_SGPR: 2
; COMPUTE_PGM_RSRC2:TRAP_HANDLER: 0
; COMPUTE_PGM_RSRC2:TGID_X_EN: 1
; COMPUTE_PGM_RSRC2:TGID_Y_EN: 0
; COMPUTE_PGM_RSRC2:TGID_Z_EN: 0
; COMPUTE_PGM_RSRC2:TIDIG_COMP_CNT: 0
	.section	.text._ZN7rocprim17ROCPRIM_400000_NS6detail17trampoline_kernelINS0_14default_configENS1_36segmented_radix_sort_config_selectorIflEEZNS1_25segmented_radix_sort_implIS3_Lb0EPKfPfPKlPlN2at6native12_GLOBAL__N_18offset_tEEE10hipError_tPvRmT1_PNSt15iterator_traitsISK_E10value_typeET2_T3_PNSL_ISQ_E10value_typeET4_jRbjT5_SW_jjP12ihipStream_tbEUlT_E2_NS1_11comp_targetILNS1_3genE9ELNS1_11target_archE1100ELNS1_3gpuE3ELNS1_3repE0EEENS1_30default_config_static_selectorELNS0_4arch9wavefront6targetE0EEEvSK_,"axG",@progbits,_ZN7rocprim17ROCPRIM_400000_NS6detail17trampoline_kernelINS0_14default_configENS1_36segmented_radix_sort_config_selectorIflEEZNS1_25segmented_radix_sort_implIS3_Lb0EPKfPfPKlPlN2at6native12_GLOBAL__N_18offset_tEEE10hipError_tPvRmT1_PNSt15iterator_traitsISK_E10value_typeET2_T3_PNSL_ISQ_E10value_typeET4_jRbjT5_SW_jjP12ihipStream_tbEUlT_E2_NS1_11comp_targetILNS1_3genE9ELNS1_11target_archE1100ELNS1_3gpuE3ELNS1_3repE0EEENS1_30default_config_static_selectorELNS0_4arch9wavefront6targetE0EEEvSK_,comdat
	.globl	_ZN7rocprim17ROCPRIM_400000_NS6detail17trampoline_kernelINS0_14default_configENS1_36segmented_radix_sort_config_selectorIflEEZNS1_25segmented_radix_sort_implIS3_Lb0EPKfPfPKlPlN2at6native12_GLOBAL__N_18offset_tEEE10hipError_tPvRmT1_PNSt15iterator_traitsISK_E10value_typeET2_T3_PNSL_ISQ_E10value_typeET4_jRbjT5_SW_jjP12ihipStream_tbEUlT_E2_NS1_11comp_targetILNS1_3genE9ELNS1_11target_archE1100ELNS1_3gpuE3ELNS1_3repE0EEENS1_30default_config_static_selectorELNS0_4arch9wavefront6targetE0EEEvSK_ ; -- Begin function _ZN7rocprim17ROCPRIM_400000_NS6detail17trampoline_kernelINS0_14default_configENS1_36segmented_radix_sort_config_selectorIflEEZNS1_25segmented_radix_sort_implIS3_Lb0EPKfPfPKlPlN2at6native12_GLOBAL__N_18offset_tEEE10hipError_tPvRmT1_PNSt15iterator_traitsISK_E10value_typeET2_T3_PNSL_ISQ_E10value_typeET4_jRbjT5_SW_jjP12ihipStream_tbEUlT_E2_NS1_11comp_targetILNS1_3genE9ELNS1_11target_archE1100ELNS1_3gpuE3ELNS1_3repE0EEENS1_30default_config_static_selectorELNS0_4arch9wavefront6targetE0EEEvSK_
	.p2align	8
	.type	_ZN7rocprim17ROCPRIM_400000_NS6detail17trampoline_kernelINS0_14default_configENS1_36segmented_radix_sort_config_selectorIflEEZNS1_25segmented_radix_sort_implIS3_Lb0EPKfPfPKlPlN2at6native12_GLOBAL__N_18offset_tEEE10hipError_tPvRmT1_PNSt15iterator_traitsISK_E10value_typeET2_T3_PNSL_ISQ_E10value_typeET4_jRbjT5_SW_jjP12ihipStream_tbEUlT_E2_NS1_11comp_targetILNS1_3genE9ELNS1_11target_archE1100ELNS1_3gpuE3ELNS1_3repE0EEENS1_30default_config_static_selectorELNS0_4arch9wavefront6targetE0EEEvSK_,@function
_ZN7rocprim17ROCPRIM_400000_NS6detail17trampoline_kernelINS0_14default_configENS1_36segmented_radix_sort_config_selectorIflEEZNS1_25segmented_radix_sort_implIS3_Lb0EPKfPfPKlPlN2at6native12_GLOBAL__N_18offset_tEEE10hipError_tPvRmT1_PNSt15iterator_traitsISK_E10value_typeET2_T3_PNSL_ISQ_E10value_typeET4_jRbjT5_SW_jjP12ihipStream_tbEUlT_E2_NS1_11comp_targetILNS1_3genE9ELNS1_11target_archE1100ELNS1_3gpuE3ELNS1_3repE0EEENS1_30default_config_static_selectorELNS0_4arch9wavefront6targetE0EEEvSK_: ; @_ZN7rocprim17ROCPRIM_400000_NS6detail17trampoline_kernelINS0_14default_configENS1_36segmented_radix_sort_config_selectorIflEEZNS1_25segmented_radix_sort_implIS3_Lb0EPKfPfPKlPlN2at6native12_GLOBAL__N_18offset_tEEE10hipError_tPvRmT1_PNSt15iterator_traitsISK_E10value_typeET2_T3_PNSL_ISQ_E10value_typeET4_jRbjT5_SW_jjP12ihipStream_tbEUlT_E2_NS1_11comp_targetILNS1_3genE9ELNS1_11target_archE1100ELNS1_3gpuE3ELNS1_3repE0EEENS1_30default_config_static_selectorELNS0_4arch9wavefront6targetE0EEEvSK_
; %bb.0:
	.section	.rodata,"a",@progbits
	.p2align	6, 0x0
	.amdhsa_kernel _ZN7rocprim17ROCPRIM_400000_NS6detail17trampoline_kernelINS0_14default_configENS1_36segmented_radix_sort_config_selectorIflEEZNS1_25segmented_radix_sort_implIS3_Lb0EPKfPfPKlPlN2at6native12_GLOBAL__N_18offset_tEEE10hipError_tPvRmT1_PNSt15iterator_traitsISK_E10value_typeET2_T3_PNSL_ISQ_E10value_typeET4_jRbjT5_SW_jjP12ihipStream_tbEUlT_E2_NS1_11comp_targetILNS1_3genE9ELNS1_11target_archE1100ELNS1_3gpuE3ELNS1_3repE0EEENS1_30default_config_static_selectorELNS0_4arch9wavefront6targetE0EEEvSK_
		.amdhsa_group_segment_fixed_size 0
		.amdhsa_private_segment_fixed_size 0
		.amdhsa_kernarg_size 80
		.amdhsa_user_sgpr_count 2
		.amdhsa_user_sgpr_dispatch_ptr 0
		.amdhsa_user_sgpr_queue_ptr 0
		.amdhsa_user_sgpr_kernarg_segment_ptr 1
		.amdhsa_user_sgpr_dispatch_id 0
		.amdhsa_user_sgpr_private_segment_size 0
		.amdhsa_wavefront_size32 1
		.amdhsa_uses_dynamic_stack 0
		.amdhsa_enable_private_segment 0
		.amdhsa_system_sgpr_workgroup_id_x 1
		.amdhsa_system_sgpr_workgroup_id_y 0
		.amdhsa_system_sgpr_workgroup_id_z 0
		.amdhsa_system_sgpr_workgroup_info 0
		.amdhsa_system_vgpr_workitem_id 0
		.amdhsa_next_free_vgpr 1
		.amdhsa_next_free_sgpr 1
		.amdhsa_reserve_vcc 0
		.amdhsa_float_round_mode_32 0
		.amdhsa_float_round_mode_16_64 0
		.amdhsa_float_denorm_mode_32 3
		.amdhsa_float_denorm_mode_16_64 3
		.amdhsa_fp16_overflow 0
		.amdhsa_workgroup_processor_mode 1
		.amdhsa_memory_ordered 1
		.amdhsa_forward_progress 1
		.amdhsa_inst_pref_size 0
		.amdhsa_round_robin_scheduling 0
		.amdhsa_exception_fp_ieee_invalid_op 0
		.amdhsa_exception_fp_denorm_src 0
		.amdhsa_exception_fp_ieee_div_zero 0
		.amdhsa_exception_fp_ieee_overflow 0
		.amdhsa_exception_fp_ieee_underflow 0
		.amdhsa_exception_fp_ieee_inexact 0
		.amdhsa_exception_int_div_zero 0
	.end_amdhsa_kernel
	.section	.text._ZN7rocprim17ROCPRIM_400000_NS6detail17trampoline_kernelINS0_14default_configENS1_36segmented_radix_sort_config_selectorIflEEZNS1_25segmented_radix_sort_implIS3_Lb0EPKfPfPKlPlN2at6native12_GLOBAL__N_18offset_tEEE10hipError_tPvRmT1_PNSt15iterator_traitsISK_E10value_typeET2_T3_PNSL_ISQ_E10value_typeET4_jRbjT5_SW_jjP12ihipStream_tbEUlT_E2_NS1_11comp_targetILNS1_3genE9ELNS1_11target_archE1100ELNS1_3gpuE3ELNS1_3repE0EEENS1_30default_config_static_selectorELNS0_4arch9wavefront6targetE0EEEvSK_,"axG",@progbits,_ZN7rocprim17ROCPRIM_400000_NS6detail17trampoline_kernelINS0_14default_configENS1_36segmented_radix_sort_config_selectorIflEEZNS1_25segmented_radix_sort_implIS3_Lb0EPKfPfPKlPlN2at6native12_GLOBAL__N_18offset_tEEE10hipError_tPvRmT1_PNSt15iterator_traitsISK_E10value_typeET2_T3_PNSL_ISQ_E10value_typeET4_jRbjT5_SW_jjP12ihipStream_tbEUlT_E2_NS1_11comp_targetILNS1_3genE9ELNS1_11target_archE1100ELNS1_3gpuE3ELNS1_3repE0EEENS1_30default_config_static_selectorELNS0_4arch9wavefront6targetE0EEEvSK_,comdat
.Lfunc_end1465:
	.size	_ZN7rocprim17ROCPRIM_400000_NS6detail17trampoline_kernelINS0_14default_configENS1_36segmented_radix_sort_config_selectorIflEEZNS1_25segmented_radix_sort_implIS3_Lb0EPKfPfPKlPlN2at6native12_GLOBAL__N_18offset_tEEE10hipError_tPvRmT1_PNSt15iterator_traitsISK_E10value_typeET2_T3_PNSL_ISQ_E10value_typeET4_jRbjT5_SW_jjP12ihipStream_tbEUlT_E2_NS1_11comp_targetILNS1_3genE9ELNS1_11target_archE1100ELNS1_3gpuE3ELNS1_3repE0EEENS1_30default_config_static_selectorELNS0_4arch9wavefront6targetE0EEEvSK_, .Lfunc_end1465-_ZN7rocprim17ROCPRIM_400000_NS6detail17trampoline_kernelINS0_14default_configENS1_36segmented_radix_sort_config_selectorIflEEZNS1_25segmented_radix_sort_implIS3_Lb0EPKfPfPKlPlN2at6native12_GLOBAL__N_18offset_tEEE10hipError_tPvRmT1_PNSt15iterator_traitsISK_E10value_typeET2_T3_PNSL_ISQ_E10value_typeET4_jRbjT5_SW_jjP12ihipStream_tbEUlT_E2_NS1_11comp_targetILNS1_3genE9ELNS1_11target_archE1100ELNS1_3gpuE3ELNS1_3repE0EEENS1_30default_config_static_selectorELNS0_4arch9wavefront6targetE0EEEvSK_
                                        ; -- End function
	.set _ZN7rocprim17ROCPRIM_400000_NS6detail17trampoline_kernelINS0_14default_configENS1_36segmented_radix_sort_config_selectorIflEEZNS1_25segmented_radix_sort_implIS3_Lb0EPKfPfPKlPlN2at6native12_GLOBAL__N_18offset_tEEE10hipError_tPvRmT1_PNSt15iterator_traitsISK_E10value_typeET2_T3_PNSL_ISQ_E10value_typeET4_jRbjT5_SW_jjP12ihipStream_tbEUlT_E2_NS1_11comp_targetILNS1_3genE9ELNS1_11target_archE1100ELNS1_3gpuE3ELNS1_3repE0EEENS1_30default_config_static_selectorELNS0_4arch9wavefront6targetE0EEEvSK_.num_vgpr, 0
	.set _ZN7rocprim17ROCPRIM_400000_NS6detail17trampoline_kernelINS0_14default_configENS1_36segmented_radix_sort_config_selectorIflEEZNS1_25segmented_radix_sort_implIS3_Lb0EPKfPfPKlPlN2at6native12_GLOBAL__N_18offset_tEEE10hipError_tPvRmT1_PNSt15iterator_traitsISK_E10value_typeET2_T3_PNSL_ISQ_E10value_typeET4_jRbjT5_SW_jjP12ihipStream_tbEUlT_E2_NS1_11comp_targetILNS1_3genE9ELNS1_11target_archE1100ELNS1_3gpuE3ELNS1_3repE0EEENS1_30default_config_static_selectorELNS0_4arch9wavefront6targetE0EEEvSK_.num_agpr, 0
	.set _ZN7rocprim17ROCPRIM_400000_NS6detail17trampoline_kernelINS0_14default_configENS1_36segmented_radix_sort_config_selectorIflEEZNS1_25segmented_radix_sort_implIS3_Lb0EPKfPfPKlPlN2at6native12_GLOBAL__N_18offset_tEEE10hipError_tPvRmT1_PNSt15iterator_traitsISK_E10value_typeET2_T3_PNSL_ISQ_E10value_typeET4_jRbjT5_SW_jjP12ihipStream_tbEUlT_E2_NS1_11comp_targetILNS1_3genE9ELNS1_11target_archE1100ELNS1_3gpuE3ELNS1_3repE0EEENS1_30default_config_static_selectorELNS0_4arch9wavefront6targetE0EEEvSK_.numbered_sgpr, 0
	.set _ZN7rocprim17ROCPRIM_400000_NS6detail17trampoline_kernelINS0_14default_configENS1_36segmented_radix_sort_config_selectorIflEEZNS1_25segmented_radix_sort_implIS3_Lb0EPKfPfPKlPlN2at6native12_GLOBAL__N_18offset_tEEE10hipError_tPvRmT1_PNSt15iterator_traitsISK_E10value_typeET2_T3_PNSL_ISQ_E10value_typeET4_jRbjT5_SW_jjP12ihipStream_tbEUlT_E2_NS1_11comp_targetILNS1_3genE9ELNS1_11target_archE1100ELNS1_3gpuE3ELNS1_3repE0EEENS1_30default_config_static_selectorELNS0_4arch9wavefront6targetE0EEEvSK_.num_named_barrier, 0
	.set _ZN7rocprim17ROCPRIM_400000_NS6detail17trampoline_kernelINS0_14default_configENS1_36segmented_radix_sort_config_selectorIflEEZNS1_25segmented_radix_sort_implIS3_Lb0EPKfPfPKlPlN2at6native12_GLOBAL__N_18offset_tEEE10hipError_tPvRmT1_PNSt15iterator_traitsISK_E10value_typeET2_T3_PNSL_ISQ_E10value_typeET4_jRbjT5_SW_jjP12ihipStream_tbEUlT_E2_NS1_11comp_targetILNS1_3genE9ELNS1_11target_archE1100ELNS1_3gpuE3ELNS1_3repE0EEENS1_30default_config_static_selectorELNS0_4arch9wavefront6targetE0EEEvSK_.private_seg_size, 0
	.set _ZN7rocprim17ROCPRIM_400000_NS6detail17trampoline_kernelINS0_14default_configENS1_36segmented_radix_sort_config_selectorIflEEZNS1_25segmented_radix_sort_implIS3_Lb0EPKfPfPKlPlN2at6native12_GLOBAL__N_18offset_tEEE10hipError_tPvRmT1_PNSt15iterator_traitsISK_E10value_typeET2_T3_PNSL_ISQ_E10value_typeET4_jRbjT5_SW_jjP12ihipStream_tbEUlT_E2_NS1_11comp_targetILNS1_3genE9ELNS1_11target_archE1100ELNS1_3gpuE3ELNS1_3repE0EEENS1_30default_config_static_selectorELNS0_4arch9wavefront6targetE0EEEvSK_.uses_vcc, 0
	.set _ZN7rocprim17ROCPRIM_400000_NS6detail17trampoline_kernelINS0_14default_configENS1_36segmented_radix_sort_config_selectorIflEEZNS1_25segmented_radix_sort_implIS3_Lb0EPKfPfPKlPlN2at6native12_GLOBAL__N_18offset_tEEE10hipError_tPvRmT1_PNSt15iterator_traitsISK_E10value_typeET2_T3_PNSL_ISQ_E10value_typeET4_jRbjT5_SW_jjP12ihipStream_tbEUlT_E2_NS1_11comp_targetILNS1_3genE9ELNS1_11target_archE1100ELNS1_3gpuE3ELNS1_3repE0EEENS1_30default_config_static_selectorELNS0_4arch9wavefront6targetE0EEEvSK_.uses_flat_scratch, 0
	.set _ZN7rocprim17ROCPRIM_400000_NS6detail17trampoline_kernelINS0_14default_configENS1_36segmented_radix_sort_config_selectorIflEEZNS1_25segmented_radix_sort_implIS3_Lb0EPKfPfPKlPlN2at6native12_GLOBAL__N_18offset_tEEE10hipError_tPvRmT1_PNSt15iterator_traitsISK_E10value_typeET2_T3_PNSL_ISQ_E10value_typeET4_jRbjT5_SW_jjP12ihipStream_tbEUlT_E2_NS1_11comp_targetILNS1_3genE9ELNS1_11target_archE1100ELNS1_3gpuE3ELNS1_3repE0EEENS1_30default_config_static_selectorELNS0_4arch9wavefront6targetE0EEEvSK_.has_dyn_sized_stack, 0
	.set _ZN7rocprim17ROCPRIM_400000_NS6detail17trampoline_kernelINS0_14default_configENS1_36segmented_radix_sort_config_selectorIflEEZNS1_25segmented_radix_sort_implIS3_Lb0EPKfPfPKlPlN2at6native12_GLOBAL__N_18offset_tEEE10hipError_tPvRmT1_PNSt15iterator_traitsISK_E10value_typeET2_T3_PNSL_ISQ_E10value_typeET4_jRbjT5_SW_jjP12ihipStream_tbEUlT_E2_NS1_11comp_targetILNS1_3genE9ELNS1_11target_archE1100ELNS1_3gpuE3ELNS1_3repE0EEENS1_30default_config_static_selectorELNS0_4arch9wavefront6targetE0EEEvSK_.has_recursion, 0
	.set _ZN7rocprim17ROCPRIM_400000_NS6detail17trampoline_kernelINS0_14default_configENS1_36segmented_radix_sort_config_selectorIflEEZNS1_25segmented_radix_sort_implIS3_Lb0EPKfPfPKlPlN2at6native12_GLOBAL__N_18offset_tEEE10hipError_tPvRmT1_PNSt15iterator_traitsISK_E10value_typeET2_T3_PNSL_ISQ_E10value_typeET4_jRbjT5_SW_jjP12ihipStream_tbEUlT_E2_NS1_11comp_targetILNS1_3genE9ELNS1_11target_archE1100ELNS1_3gpuE3ELNS1_3repE0EEENS1_30default_config_static_selectorELNS0_4arch9wavefront6targetE0EEEvSK_.has_indirect_call, 0
	.section	.AMDGPU.csdata,"",@progbits
; Kernel info:
; codeLenInByte = 0
; TotalNumSgprs: 0
; NumVgprs: 0
; ScratchSize: 0
; MemoryBound: 0
; FloatMode: 240
; IeeeMode: 1
; LDSByteSize: 0 bytes/workgroup (compile time only)
; SGPRBlocks: 0
; VGPRBlocks: 0
; NumSGPRsForWavesPerEU: 1
; NumVGPRsForWavesPerEU: 1
; Occupancy: 16
; WaveLimiterHint : 0
; COMPUTE_PGM_RSRC2:SCRATCH_EN: 0
; COMPUTE_PGM_RSRC2:USER_SGPR: 2
; COMPUTE_PGM_RSRC2:TRAP_HANDLER: 0
; COMPUTE_PGM_RSRC2:TGID_X_EN: 1
; COMPUTE_PGM_RSRC2:TGID_Y_EN: 0
; COMPUTE_PGM_RSRC2:TGID_Z_EN: 0
; COMPUTE_PGM_RSRC2:TIDIG_COMP_CNT: 0
	.section	.text._ZN7rocprim17ROCPRIM_400000_NS6detail17trampoline_kernelINS0_14default_configENS1_36segmented_radix_sort_config_selectorIflEEZNS1_25segmented_radix_sort_implIS3_Lb0EPKfPfPKlPlN2at6native12_GLOBAL__N_18offset_tEEE10hipError_tPvRmT1_PNSt15iterator_traitsISK_E10value_typeET2_T3_PNSL_ISQ_E10value_typeET4_jRbjT5_SW_jjP12ihipStream_tbEUlT_E2_NS1_11comp_targetILNS1_3genE8ELNS1_11target_archE1030ELNS1_3gpuE2ELNS1_3repE0EEENS1_30default_config_static_selectorELNS0_4arch9wavefront6targetE0EEEvSK_,"axG",@progbits,_ZN7rocprim17ROCPRIM_400000_NS6detail17trampoline_kernelINS0_14default_configENS1_36segmented_radix_sort_config_selectorIflEEZNS1_25segmented_radix_sort_implIS3_Lb0EPKfPfPKlPlN2at6native12_GLOBAL__N_18offset_tEEE10hipError_tPvRmT1_PNSt15iterator_traitsISK_E10value_typeET2_T3_PNSL_ISQ_E10value_typeET4_jRbjT5_SW_jjP12ihipStream_tbEUlT_E2_NS1_11comp_targetILNS1_3genE8ELNS1_11target_archE1030ELNS1_3gpuE2ELNS1_3repE0EEENS1_30default_config_static_selectorELNS0_4arch9wavefront6targetE0EEEvSK_,comdat
	.globl	_ZN7rocprim17ROCPRIM_400000_NS6detail17trampoline_kernelINS0_14default_configENS1_36segmented_radix_sort_config_selectorIflEEZNS1_25segmented_radix_sort_implIS3_Lb0EPKfPfPKlPlN2at6native12_GLOBAL__N_18offset_tEEE10hipError_tPvRmT1_PNSt15iterator_traitsISK_E10value_typeET2_T3_PNSL_ISQ_E10value_typeET4_jRbjT5_SW_jjP12ihipStream_tbEUlT_E2_NS1_11comp_targetILNS1_3genE8ELNS1_11target_archE1030ELNS1_3gpuE2ELNS1_3repE0EEENS1_30default_config_static_selectorELNS0_4arch9wavefront6targetE0EEEvSK_ ; -- Begin function _ZN7rocprim17ROCPRIM_400000_NS6detail17trampoline_kernelINS0_14default_configENS1_36segmented_radix_sort_config_selectorIflEEZNS1_25segmented_radix_sort_implIS3_Lb0EPKfPfPKlPlN2at6native12_GLOBAL__N_18offset_tEEE10hipError_tPvRmT1_PNSt15iterator_traitsISK_E10value_typeET2_T3_PNSL_ISQ_E10value_typeET4_jRbjT5_SW_jjP12ihipStream_tbEUlT_E2_NS1_11comp_targetILNS1_3genE8ELNS1_11target_archE1030ELNS1_3gpuE2ELNS1_3repE0EEENS1_30default_config_static_selectorELNS0_4arch9wavefront6targetE0EEEvSK_
	.p2align	8
	.type	_ZN7rocprim17ROCPRIM_400000_NS6detail17trampoline_kernelINS0_14default_configENS1_36segmented_radix_sort_config_selectorIflEEZNS1_25segmented_radix_sort_implIS3_Lb0EPKfPfPKlPlN2at6native12_GLOBAL__N_18offset_tEEE10hipError_tPvRmT1_PNSt15iterator_traitsISK_E10value_typeET2_T3_PNSL_ISQ_E10value_typeET4_jRbjT5_SW_jjP12ihipStream_tbEUlT_E2_NS1_11comp_targetILNS1_3genE8ELNS1_11target_archE1030ELNS1_3gpuE2ELNS1_3repE0EEENS1_30default_config_static_selectorELNS0_4arch9wavefront6targetE0EEEvSK_,@function
_ZN7rocprim17ROCPRIM_400000_NS6detail17trampoline_kernelINS0_14default_configENS1_36segmented_radix_sort_config_selectorIflEEZNS1_25segmented_radix_sort_implIS3_Lb0EPKfPfPKlPlN2at6native12_GLOBAL__N_18offset_tEEE10hipError_tPvRmT1_PNSt15iterator_traitsISK_E10value_typeET2_T3_PNSL_ISQ_E10value_typeET4_jRbjT5_SW_jjP12ihipStream_tbEUlT_E2_NS1_11comp_targetILNS1_3genE8ELNS1_11target_archE1030ELNS1_3gpuE2ELNS1_3repE0EEENS1_30default_config_static_selectorELNS0_4arch9wavefront6targetE0EEEvSK_: ; @_ZN7rocprim17ROCPRIM_400000_NS6detail17trampoline_kernelINS0_14default_configENS1_36segmented_radix_sort_config_selectorIflEEZNS1_25segmented_radix_sort_implIS3_Lb0EPKfPfPKlPlN2at6native12_GLOBAL__N_18offset_tEEE10hipError_tPvRmT1_PNSt15iterator_traitsISK_E10value_typeET2_T3_PNSL_ISQ_E10value_typeET4_jRbjT5_SW_jjP12ihipStream_tbEUlT_E2_NS1_11comp_targetILNS1_3genE8ELNS1_11target_archE1030ELNS1_3gpuE2ELNS1_3repE0EEENS1_30default_config_static_selectorELNS0_4arch9wavefront6targetE0EEEvSK_
; %bb.0:
	.section	.rodata,"a",@progbits
	.p2align	6, 0x0
	.amdhsa_kernel _ZN7rocprim17ROCPRIM_400000_NS6detail17trampoline_kernelINS0_14default_configENS1_36segmented_radix_sort_config_selectorIflEEZNS1_25segmented_radix_sort_implIS3_Lb0EPKfPfPKlPlN2at6native12_GLOBAL__N_18offset_tEEE10hipError_tPvRmT1_PNSt15iterator_traitsISK_E10value_typeET2_T3_PNSL_ISQ_E10value_typeET4_jRbjT5_SW_jjP12ihipStream_tbEUlT_E2_NS1_11comp_targetILNS1_3genE8ELNS1_11target_archE1030ELNS1_3gpuE2ELNS1_3repE0EEENS1_30default_config_static_selectorELNS0_4arch9wavefront6targetE0EEEvSK_
		.amdhsa_group_segment_fixed_size 0
		.amdhsa_private_segment_fixed_size 0
		.amdhsa_kernarg_size 80
		.amdhsa_user_sgpr_count 2
		.amdhsa_user_sgpr_dispatch_ptr 0
		.amdhsa_user_sgpr_queue_ptr 0
		.amdhsa_user_sgpr_kernarg_segment_ptr 1
		.amdhsa_user_sgpr_dispatch_id 0
		.amdhsa_user_sgpr_private_segment_size 0
		.amdhsa_wavefront_size32 1
		.amdhsa_uses_dynamic_stack 0
		.amdhsa_enable_private_segment 0
		.amdhsa_system_sgpr_workgroup_id_x 1
		.amdhsa_system_sgpr_workgroup_id_y 0
		.amdhsa_system_sgpr_workgroup_id_z 0
		.amdhsa_system_sgpr_workgroup_info 0
		.amdhsa_system_vgpr_workitem_id 0
		.amdhsa_next_free_vgpr 1
		.amdhsa_next_free_sgpr 1
		.amdhsa_reserve_vcc 0
		.amdhsa_float_round_mode_32 0
		.amdhsa_float_round_mode_16_64 0
		.amdhsa_float_denorm_mode_32 3
		.amdhsa_float_denorm_mode_16_64 3
		.amdhsa_fp16_overflow 0
		.amdhsa_workgroup_processor_mode 1
		.amdhsa_memory_ordered 1
		.amdhsa_forward_progress 1
		.amdhsa_inst_pref_size 0
		.amdhsa_round_robin_scheduling 0
		.amdhsa_exception_fp_ieee_invalid_op 0
		.amdhsa_exception_fp_denorm_src 0
		.amdhsa_exception_fp_ieee_div_zero 0
		.amdhsa_exception_fp_ieee_overflow 0
		.amdhsa_exception_fp_ieee_underflow 0
		.amdhsa_exception_fp_ieee_inexact 0
		.amdhsa_exception_int_div_zero 0
	.end_amdhsa_kernel
	.section	.text._ZN7rocprim17ROCPRIM_400000_NS6detail17trampoline_kernelINS0_14default_configENS1_36segmented_radix_sort_config_selectorIflEEZNS1_25segmented_radix_sort_implIS3_Lb0EPKfPfPKlPlN2at6native12_GLOBAL__N_18offset_tEEE10hipError_tPvRmT1_PNSt15iterator_traitsISK_E10value_typeET2_T3_PNSL_ISQ_E10value_typeET4_jRbjT5_SW_jjP12ihipStream_tbEUlT_E2_NS1_11comp_targetILNS1_3genE8ELNS1_11target_archE1030ELNS1_3gpuE2ELNS1_3repE0EEENS1_30default_config_static_selectorELNS0_4arch9wavefront6targetE0EEEvSK_,"axG",@progbits,_ZN7rocprim17ROCPRIM_400000_NS6detail17trampoline_kernelINS0_14default_configENS1_36segmented_radix_sort_config_selectorIflEEZNS1_25segmented_radix_sort_implIS3_Lb0EPKfPfPKlPlN2at6native12_GLOBAL__N_18offset_tEEE10hipError_tPvRmT1_PNSt15iterator_traitsISK_E10value_typeET2_T3_PNSL_ISQ_E10value_typeET4_jRbjT5_SW_jjP12ihipStream_tbEUlT_E2_NS1_11comp_targetILNS1_3genE8ELNS1_11target_archE1030ELNS1_3gpuE2ELNS1_3repE0EEENS1_30default_config_static_selectorELNS0_4arch9wavefront6targetE0EEEvSK_,comdat
.Lfunc_end1466:
	.size	_ZN7rocprim17ROCPRIM_400000_NS6detail17trampoline_kernelINS0_14default_configENS1_36segmented_radix_sort_config_selectorIflEEZNS1_25segmented_radix_sort_implIS3_Lb0EPKfPfPKlPlN2at6native12_GLOBAL__N_18offset_tEEE10hipError_tPvRmT1_PNSt15iterator_traitsISK_E10value_typeET2_T3_PNSL_ISQ_E10value_typeET4_jRbjT5_SW_jjP12ihipStream_tbEUlT_E2_NS1_11comp_targetILNS1_3genE8ELNS1_11target_archE1030ELNS1_3gpuE2ELNS1_3repE0EEENS1_30default_config_static_selectorELNS0_4arch9wavefront6targetE0EEEvSK_, .Lfunc_end1466-_ZN7rocprim17ROCPRIM_400000_NS6detail17trampoline_kernelINS0_14default_configENS1_36segmented_radix_sort_config_selectorIflEEZNS1_25segmented_radix_sort_implIS3_Lb0EPKfPfPKlPlN2at6native12_GLOBAL__N_18offset_tEEE10hipError_tPvRmT1_PNSt15iterator_traitsISK_E10value_typeET2_T3_PNSL_ISQ_E10value_typeET4_jRbjT5_SW_jjP12ihipStream_tbEUlT_E2_NS1_11comp_targetILNS1_3genE8ELNS1_11target_archE1030ELNS1_3gpuE2ELNS1_3repE0EEENS1_30default_config_static_selectorELNS0_4arch9wavefront6targetE0EEEvSK_
                                        ; -- End function
	.set _ZN7rocprim17ROCPRIM_400000_NS6detail17trampoline_kernelINS0_14default_configENS1_36segmented_radix_sort_config_selectorIflEEZNS1_25segmented_radix_sort_implIS3_Lb0EPKfPfPKlPlN2at6native12_GLOBAL__N_18offset_tEEE10hipError_tPvRmT1_PNSt15iterator_traitsISK_E10value_typeET2_T3_PNSL_ISQ_E10value_typeET4_jRbjT5_SW_jjP12ihipStream_tbEUlT_E2_NS1_11comp_targetILNS1_3genE8ELNS1_11target_archE1030ELNS1_3gpuE2ELNS1_3repE0EEENS1_30default_config_static_selectorELNS0_4arch9wavefront6targetE0EEEvSK_.num_vgpr, 0
	.set _ZN7rocprim17ROCPRIM_400000_NS6detail17trampoline_kernelINS0_14default_configENS1_36segmented_radix_sort_config_selectorIflEEZNS1_25segmented_radix_sort_implIS3_Lb0EPKfPfPKlPlN2at6native12_GLOBAL__N_18offset_tEEE10hipError_tPvRmT1_PNSt15iterator_traitsISK_E10value_typeET2_T3_PNSL_ISQ_E10value_typeET4_jRbjT5_SW_jjP12ihipStream_tbEUlT_E2_NS1_11comp_targetILNS1_3genE8ELNS1_11target_archE1030ELNS1_3gpuE2ELNS1_3repE0EEENS1_30default_config_static_selectorELNS0_4arch9wavefront6targetE0EEEvSK_.num_agpr, 0
	.set _ZN7rocprim17ROCPRIM_400000_NS6detail17trampoline_kernelINS0_14default_configENS1_36segmented_radix_sort_config_selectorIflEEZNS1_25segmented_radix_sort_implIS3_Lb0EPKfPfPKlPlN2at6native12_GLOBAL__N_18offset_tEEE10hipError_tPvRmT1_PNSt15iterator_traitsISK_E10value_typeET2_T3_PNSL_ISQ_E10value_typeET4_jRbjT5_SW_jjP12ihipStream_tbEUlT_E2_NS1_11comp_targetILNS1_3genE8ELNS1_11target_archE1030ELNS1_3gpuE2ELNS1_3repE0EEENS1_30default_config_static_selectorELNS0_4arch9wavefront6targetE0EEEvSK_.numbered_sgpr, 0
	.set _ZN7rocprim17ROCPRIM_400000_NS6detail17trampoline_kernelINS0_14default_configENS1_36segmented_radix_sort_config_selectorIflEEZNS1_25segmented_radix_sort_implIS3_Lb0EPKfPfPKlPlN2at6native12_GLOBAL__N_18offset_tEEE10hipError_tPvRmT1_PNSt15iterator_traitsISK_E10value_typeET2_T3_PNSL_ISQ_E10value_typeET4_jRbjT5_SW_jjP12ihipStream_tbEUlT_E2_NS1_11comp_targetILNS1_3genE8ELNS1_11target_archE1030ELNS1_3gpuE2ELNS1_3repE0EEENS1_30default_config_static_selectorELNS0_4arch9wavefront6targetE0EEEvSK_.num_named_barrier, 0
	.set _ZN7rocprim17ROCPRIM_400000_NS6detail17trampoline_kernelINS0_14default_configENS1_36segmented_radix_sort_config_selectorIflEEZNS1_25segmented_radix_sort_implIS3_Lb0EPKfPfPKlPlN2at6native12_GLOBAL__N_18offset_tEEE10hipError_tPvRmT1_PNSt15iterator_traitsISK_E10value_typeET2_T3_PNSL_ISQ_E10value_typeET4_jRbjT5_SW_jjP12ihipStream_tbEUlT_E2_NS1_11comp_targetILNS1_3genE8ELNS1_11target_archE1030ELNS1_3gpuE2ELNS1_3repE0EEENS1_30default_config_static_selectorELNS0_4arch9wavefront6targetE0EEEvSK_.private_seg_size, 0
	.set _ZN7rocprim17ROCPRIM_400000_NS6detail17trampoline_kernelINS0_14default_configENS1_36segmented_radix_sort_config_selectorIflEEZNS1_25segmented_radix_sort_implIS3_Lb0EPKfPfPKlPlN2at6native12_GLOBAL__N_18offset_tEEE10hipError_tPvRmT1_PNSt15iterator_traitsISK_E10value_typeET2_T3_PNSL_ISQ_E10value_typeET4_jRbjT5_SW_jjP12ihipStream_tbEUlT_E2_NS1_11comp_targetILNS1_3genE8ELNS1_11target_archE1030ELNS1_3gpuE2ELNS1_3repE0EEENS1_30default_config_static_selectorELNS0_4arch9wavefront6targetE0EEEvSK_.uses_vcc, 0
	.set _ZN7rocprim17ROCPRIM_400000_NS6detail17trampoline_kernelINS0_14default_configENS1_36segmented_radix_sort_config_selectorIflEEZNS1_25segmented_radix_sort_implIS3_Lb0EPKfPfPKlPlN2at6native12_GLOBAL__N_18offset_tEEE10hipError_tPvRmT1_PNSt15iterator_traitsISK_E10value_typeET2_T3_PNSL_ISQ_E10value_typeET4_jRbjT5_SW_jjP12ihipStream_tbEUlT_E2_NS1_11comp_targetILNS1_3genE8ELNS1_11target_archE1030ELNS1_3gpuE2ELNS1_3repE0EEENS1_30default_config_static_selectorELNS0_4arch9wavefront6targetE0EEEvSK_.uses_flat_scratch, 0
	.set _ZN7rocprim17ROCPRIM_400000_NS6detail17trampoline_kernelINS0_14default_configENS1_36segmented_radix_sort_config_selectorIflEEZNS1_25segmented_radix_sort_implIS3_Lb0EPKfPfPKlPlN2at6native12_GLOBAL__N_18offset_tEEE10hipError_tPvRmT1_PNSt15iterator_traitsISK_E10value_typeET2_T3_PNSL_ISQ_E10value_typeET4_jRbjT5_SW_jjP12ihipStream_tbEUlT_E2_NS1_11comp_targetILNS1_3genE8ELNS1_11target_archE1030ELNS1_3gpuE2ELNS1_3repE0EEENS1_30default_config_static_selectorELNS0_4arch9wavefront6targetE0EEEvSK_.has_dyn_sized_stack, 0
	.set _ZN7rocprim17ROCPRIM_400000_NS6detail17trampoline_kernelINS0_14default_configENS1_36segmented_radix_sort_config_selectorIflEEZNS1_25segmented_radix_sort_implIS3_Lb0EPKfPfPKlPlN2at6native12_GLOBAL__N_18offset_tEEE10hipError_tPvRmT1_PNSt15iterator_traitsISK_E10value_typeET2_T3_PNSL_ISQ_E10value_typeET4_jRbjT5_SW_jjP12ihipStream_tbEUlT_E2_NS1_11comp_targetILNS1_3genE8ELNS1_11target_archE1030ELNS1_3gpuE2ELNS1_3repE0EEENS1_30default_config_static_selectorELNS0_4arch9wavefront6targetE0EEEvSK_.has_recursion, 0
	.set _ZN7rocprim17ROCPRIM_400000_NS6detail17trampoline_kernelINS0_14default_configENS1_36segmented_radix_sort_config_selectorIflEEZNS1_25segmented_radix_sort_implIS3_Lb0EPKfPfPKlPlN2at6native12_GLOBAL__N_18offset_tEEE10hipError_tPvRmT1_PNSt15iterator_traitsISK_E10value_typeET2_T3_PNSL_ISQ_E10value_typeET4_jRbjT5_SW_jjP12ihipStream_tbEUlT_E2_NS1_11comp_targetILNS1_3genE8ELNS1_11target_archE1030ELNS1_3gpuE2ELNS1_3repE0EEENS1_30default_config_static_selectorELNS0_4arch9wavefront6targetE0EEEvSK_.has_indirect_call, 0
	.section	.AMDGPU.csdata,"",@progbits
; Kernel info:
; codeLenInByte = 0
; TotalNumSgprs: 0
; NumVgprs: 0
; ScratchSize: 0
; MemoryBound: 0
; FloatMode: 240
; IeeeMode: 1
; LDSByteSize: 0 bytes/workgroup (compile time only)
; SGPRBlocks: 0
; VGPRBlocks: 0
; NumSGPRsForWavesPerEU: 1
; NumVGPRsForWavesPerEU: 1
; Occupancy: 16
; WaveLimiterHint : 0
; COMPUTE_PGM_RSRC2:SCRATCH_EN: 0
; COMPUTE_PGM_RSRC2:USER_SGPR: 2
; COMPUTE_PGM_RSRC2:TRAP_HANDLER: 0
; COMPUTE_PGM_RSRC2:TGID_X_EN: 1
; COMPUTE_PGM_RSRC2:TGID_Y_EN: 0
; COMPUTE_PGM_RSRC2:TGID_Z_EN: 0
; COMPUTE_PGM_RSRC2:TIDIG_COMP_CNT: 0
	.section	.text._ZN2at6native12_GLOBAL__N_123sort_postprocess_kernelIbEEvPKT_PS3_PlPK15HIP_vector_typeIiLj2EEii,"axG",@progbits,_ZN2at6native12_GLOBAL__N_123sort_postprocess_kernelIbEEvPKT_PS3_PlPK15HIP_vector_typeIiLj2EEii,comdat
	.globl	_ZN2at6native12_GLOBAL__N_123sort_postprocess_kernelIbEEvPKT_PS3_PlPK15HIP_vector_typeIiLj2EEii ; -- Begin function _ZN2at6native12_GLOBAL__N_123sort_postprocess_kernelIbEEvPKT_PS3_PlPK15HIP_vector_typeIiLj2EEii
	.p2align	8
	.type	_ZN2at6native12_GLOBAL__N_123sort_postprocess_kernelIbEEvPKT_PS3_PlPK15HIP_vector_typeIiLj2EEii,@function
_ZN2at6native12_GLOBAL__N_123sort_postprocess_kernelIbEEvPKT_PS3_PlPK15HIP_vector_typeIiLj2EEii: ; @_ZN2at6native12_GLOBAL__N_123sort_postprocess_kernelIbEEvPKT_PS3_PlPK15HIP_vector_typeIiLj2EEii
; %bb.0:
	s_clause 0x1
	s_load_b32 s6, s[0:1], 0x34
	s_load_b64 s[4:5], s[0:1], 0x20
	s_mov_b32 s3, 0
	s_mov_b32 s2, ttmp9
	s_mov_b32 s17, s3
	s_wait_kmcnt 0x0
	s_and_b32 s16, s6, 0xffff
	s_mul_i32 s14, s5, s4
	s_mul_u64 s[12:13], s[16:17], s[2:3]
	s_ashr_i32 s15, s14, 31
	v_add_co_u32 v1, s2, s12, v0
	s_delay_alu instid0(VALU_DEP_1) | instskip(NEXT) | instid1(VALU_DEP_1)
	v_add_co_ci_u32_e64 v2, null, s13, 0, s2
	v_cmp_gt_i64_e32 vcc_lo, s[14:15], v[1:2]
	v_mov_b32_e32 v1, 0
	s_and_saveexec_b32 s2, vcc_lo
	s_cbranch_execz .LBB1467_3
; %bb.1:
	s_abs_i32 s2, s5
	s_wait_alu 0xfffe
	s_cvt_f32_u32 s4, s2
	s_delay_alu instid0(SALU_CYCLE_3) | instskip(SKIP_4) | instid1(TRANS32_DEP_1)
	v_rcp_iflag_f32_e32 v2, s4
	s_add_nc_u64 s[4:5], s[0:1], 40
	s_load_b32 s17, s[4:5], 0x0
	s_load_b256 s[4:11], s[0:1], 0x0
	s_sub_co_i32 s1, 0, s2
	v_readfirstlane_b32 s0, v2
	s_mul_f32 s0, s0, 0x4f7ffffe
	s_delay_alu instid0(SALU_CYCLE_3) | instskip(NEXT) | instid1(SALU_CYCLE_3)
	s_cvt_u32_f32 s0, s0
	s_mul_i32 s1, s1, s0
	s_delay_alu instid0(SALU_CYCLE_1)
	s_mul_hi_u32 s18, s0, s1
	s_wait_kmcnt 0x0
	s_mul_i32 s1, s17, s16
	s_add_co_i32 s17, s0, s18
	s_mul_i32 s16, ttmp9, s16
.LBB1467_2:                             ; =>This Inner Loop Header: Depth=1
	s_delay_alu instid0(SALU_CYCLE_1) | instskip(NEXT) | instid1(VALU_DEP_1)
	v_add_nc_u32_e32 v2, s16, v0
	v_sub_nc_u32_e32 v3, 0, v2
	v_ashrrev_i32_e32 v5, 31, v2
	s_delay_alu instid0(VALU_DEP_2) | instskip(NEXT) | instid1(VALU_DEP_2)
	v_max_i32_e32 v3, v2, v3
	v_add_nc_u32_e32 v2, v2, v5
	s_delay_alu instid0(VALU_DEP_2) | instskip(NEXT) | instid1(VALU_DEP_1)
	v_mul_hi_u32 v4, v3, s17
	v_mul_lo_u32 v4, v4, s2
	s_delay_alu instid0(VALU_DEP_1) | instskip(NEXT) | instid1(VALU_DEP_1)
	v_sub_nc_u32_e32 v3, v3, v4
	v_subrev_nc_u32_e32 v4, s2, v3
	v_cmp_le_u32_e32 vcc_lo, s2, v3
	s_wait_alu 0xfffd
	s_delay_alu instid0(VALU_DEP_2) | instskip(NEXT) | instid1(VALU_DEP_1)
	v_cndmask_b32_e32 v3, v3, v4, vcc_lo
	v_subrev_nc_u32_e32 v4, s2, v3
	v_cmp_le_u32_e32 vcc_lo, s2, v3
	s_wait_alu 0xfffd
	s_delay_alu instid0(VALU_DEP_2) | instskip(NEXT) | instid1(VALU_DEP_1)
	v_cndmask_b32_e32 v3, v3, v4, vcc_lo
	v_xor_b32_e32 v3, v3, v5
	s_delay_alu instid0(VALU_DEP_1) | instskip(SKIP_1) | instid1(VALU_DEP_2)
	v_sub_nc_u32_e32 v2, v2, v3
	v_sub_nc_u32_e32 v4, v3, v5
	v_ashrrev_i32_e32 v3, 31, v2
	s_delay_alu instid0(VALU_DEP_2) | instskip(NEXT) | instid1(VALU_DEP_2)
	v_ashrrev_i32_e32 v5, 31, v4
	v_lshlrev_b64_e32 v[6:7], 3, v[2:3]
	s_delay_alu instid0(VALU_DEP_2) | instskip(NEXT) | instid1(VALU_DEP_2)
	v_lshlrev_b64_e32 v[8:9], 3, v[4:5]
	v_add_co_u32 v10, vcc_lo, s10, v6
	s_wait_alu 0xfffd
	s_delay_alu instid0(VALU_DEP_3) | instskip(NEXT) | instid1(VALU_DEP_2)
	v_add_co_ci_u32_e64 v11, null, s11, v7, vcc_lo
	v_add_co_u32 v10, vcc_lo, v10, v8
	s_wait_alu 0xfffd
	s_delay_alu instid0(VALU_DEP_2)
	v_add_co_ci_u32_e64 v11, null, v11, v9, vcc_lo
	v_add_co_u32 v12, vcc_lo, s4, v2
	s_wait_alu 0xfffd
	v_add_co_ci_u32_e64 v13, null, s5, v3, vcc_lo
	global_load_b32 v10, v[10:11], off offset:4
	v_add_co_u32 v2, s0, s6, v2
	s_wait_alu 0xf1ff
	v_add_co_ci_u32_e64 v3, null, s7, v3, s0
	s_delay_alu instid0(VALU_DEP_2) | instskip(SKIP_1) | instid1(VALU_DEP_2)
	v_add_co_u32 v2, s0, v2, v4
	s_wait_alu 0xf1ff
	v_add_co_ci_u32_e64 v3, null, v3, v5, s0
	v_add_co_u32 v4, s0, s8, v6
	s_wait_alu 0xf1ff
	v_add_co_ci_u32_e64 v5, null, s9, v7, s0
	s_delay_alu instid0(VALU_DEP_2) | instskip(SKIP_1) | instid1(VALU_DEP_2)
	v_add_co_u32 v4, s0, v4, v8
	s_wait_alu 0xf1ff
	v_add_co_ci_u32_e64 v5, null, v5, v9, s0
	s_wait_loadcnt 0x0
	v_ashrrev_i32_e32 v11, 31, v10
	v_add_co_u32 v12, vcc_lo, v12, v10
	s_wait_alu 0xfffd
	s_delay_alu instid0(VALU_DEP_2)
	v_add_co_ci_u32_e64 v13, null, v13, v11, vcc_lo
	v_add_co_u32 v0, vcc_lo, v0, s1
	s_wait_alu 0xfffd
	v_add_co_ci_u32_e64 v1, null, 0, v1, vcc_lo
	global_load_u8 v14, v[12:13], off
	v_add_co_u32 v12, vcc_lo, s12, v0
	s_wait_alu 0xfffd
	v_add_co_ci_u32_e64 v13, null, s13, v1, vcc_lo
	global_store_b64 v[4:5], v[10:11], off
	s_wait_loadcnt 0x0
	global_store_b8 v[2:3], v14, off
	v_cmp_le_i64_e32 vcc_lo, s[14:15], v[12:13]
	s_or_b32 s3, vcc_lo, s3
	s_wait_alu 0xfffe
	s_and_not1_b32 exec_lo, exec_lo, s3
	s_cbranch_execnz .LBB1467_2
.LBB1467_3:
	s_endpgm
	.section	.rodata,"a",@progbits
	.p2align	6, 0x0
	.amdhsa_kernel _ZN2at6native12_GLOBAL__N_123sort_postprocess_kernelIbEEvPKT_PS3_PlPK15HIP_vector_typeIiLj2EEii
		.amdhsa_group_segment_fixed_size 0
		.amdhsa_private_segment_fixed_size 0
		.amdhsa_kernarg_size 296
		.amdhsa_user_sgpr_count 2
		.amdhsa_user_sgpr_dispatch_ptr 0
		.amdhsa_user_sgpr_queue_ptr 0
		.amdhsa_user_sgpr_kernarg_segment_ptr 1
		.amdhsa_user_sgpr_dispatch_id 0
		.amdhsa_user_sgpr_private_segment_size 0
		.amdhsa_wavefront_size32 1
		.amdhsa_uses_dynamic_stack 0
		.amdhsa_enable_private_segment 0
		.amdhsa_system_sgpr_workgroup_id_x 1
		.amdhsa_system_sgpr_workgroup_id_y 0
		.amdhsa_system_sgpr_workgroup_id_z 0
		.amdhsa_system_sgpr_workgroup_info 0
		.amdhsa_system_vgpr_workitem_id 0
		.amdhsa_next_free_vgpr 15
		.amdhsa_next_free_sgpr 19
		.amdhsa_reserve_vcc 1
		.amdhsa_float_round_mode_32 0
		.amdhsa_float_round_mode_16_64 0
		.amdhsa_float_denorm_mode_32 3
		.amdhsa_float_denorm_mode_16_64 3
		.amdhsa_fp16_overflow 0
		.amdhsa_workgroup_processor_mode 1
		.amdhsa_memory_ordered 1
		.amdhsa_forward_progress 1
		.amdhsa_inst_pref_size 5
		.amdhsa_round_robin_scheduling 0
		.amdhsa_exception_fp_ieee_invalid_op 0
		.amdhsa_exception_fp_denorm_src 0
		.amdhsa_exception_fp_ieee_div_zero 0
		.amdhsa_exception_fp_ieee_overflow 0
		.amdhsa_exception_fp_ieee_underflow 0
		.amdhsa_exception_fp_ieee_inexact 0
		.amdhsa_exception_int_div_zero 0
	.end_amdhsa_kernel
	.section	.text._ZN2at6native12_GLOBAL__N_123sort_postprocess_kernelIbEEvPKT_PS3_PlPK15HIP_vector_typeIiLj2EEii,"axG",@progbits,_ZN2at6native12_GLOBAL__N_123sort_postprocess_kernelIbEEvPKT_PS3_PlPK15HIP_vector_typeIiLj2EEii,comdat
.Lfunc_end1467:
	.size	_ZN2at6native12_GLOBAL__N_123sort_postprocess_kernelIbEEvPKT_PS3_PlPK15HIP_vector_typeIiLj2EEii, .Lfunc_end1467-_ZN2at6native12_GLOBAL__N_123sort_postprocess_kernelIbEEvPKT_PS3_PlPK15HIP_vector_typeIiLj2EEii
                                        ; -- End function
	.set _ZN2at6native12_GLOBAL__N_123sort_postprocess_kernelIbEEvPKT_PS3_PlPK15HIP_vector_typeIiLj2EEii.num_vgpr, 15
	.set _ZN2at6native12_GLOBAL__N_123sort_postprocess_kernelIbEEvPKT_PS3_PlPK15HIP_vector_typeIiLj2EEii.num_agpr, 0
	.set _ZN2at6native12_GLOBAL__N_123sort_postprocess_kernelIbEEvPKT_PS3_PlPK15HIP_vector_typeIiLj2EEii.numbered_sgpr, 19
	.set _ZN2at6native12_GLOBAL__N_123sort_postprocess_kernelIbEEvPKT_PS3_PlPK15HIP_vector_typeIiLj2EEii.num_named_barrier, 0
	.set _ZN2at6native12_GLOBAL__N_123sort_postprocess_kernelIbEEvPKT_PS3_PlPK15HIP_vector_typeIiLj2EEii.private_seg_size, 0
	.set _ZN2at6native12_GLOBAL__N_123sort_postprocess_kernelIbEEvPKT_PS3_PlPK15HIP_vector_typeIiLj2EEii.uses_vcc, 1
	.set _ZN2at6native12_GLOBAL__N_123sort_postprocess_kernelIbEEvPKT_PS3_PlPK15HIP_vector_typeIiLj2EEii.uses_flat_scratch, 0
	.set _ZN2at6native12_GLOBAL__N_123sort_postprocess_kernelIbEEvPKT_PS3_PlPK15HIP_vector_typeIiLj2EEii.has_dyn_sized_stack, 0
	.set _ZN2at6native12_GLOBAL__N_123sort_postprocess_kernelIbEEvPKT_PS3_PlPK15HIP_vector_typeIiLj2EEii.has_recursion, 0
	.set _ZN2at6native12_GLOBAL__N_123sort_postprocess_kernelIbEEvPKT_PS3_PlPK15HIP_vector_typeIiLj2EEii.has_indirect_call, 0
	.section	.AMDGPU.csdata,"",@progbits
; Kernel info:
; codeLenInByte = 624
; TotalNumSgprs: 21
; NumVgprs: 15
; ScratchSize: 0
; MemoryBound: 0
; FloatMode: 240
; IeeeMode: 1
; LDSByteSize: 0 bytes/workgroup (compile time only)
; SGPRBlocks: 0
; VGPRBlocks: 1
; NumSGPRsForWavesPerEU: 21
; NumVGPRsForWavesPerEU: 15
; Occupancy: 16
; WaveLimiterHint : 1
; COMPUTE_PGM_RSRC2:SCRATCH_EN: 0
; COMPUTE_PGM_RSRC2:USER_SGPR: 2
; COMPUTE_PGM_RSRC2:TRAP_HANDLER: 0
; COMPUTE_PGM_RSRC2:TGID_X_EN: 1
; COMPUTE_PGM_RSRC2:TGID_Y_EN: 0
; COMPUTE_PGM_RSRC2:TGID_Z_EN: 0
; COMPUTE_PGM_RSRC2:TIDIG_COMP_CNT: 0
	.section	.text._ZN7rocprim17ROCPRIM_400000_NS6detail17trampoline_kernelINS0_13select_configILj256ELj13ELNS0_17block_load_methodE3ELS4_3ELS4_3ELNS0_20block_scan_algorithmE0ELj4294967295EEENS1_25partition_config_selectorILNS1_17partition_subalgoE4EjNS0_10empty_typeEbEEZZNS1_14partition_implILS8_4ELb0ES6_15HIP_vector_typeIjLj2EENS0_17counting_iteratorIjlEEPS9_SG_NS0_5tupleIJPjSI_NS0_16reverse_iteratorISI_EEEEENSH_IJSG_SG_SG_EEES9_SI_JZNS1_25segmented_radix_sort_implINS0_14default_configELb1EPKbPbPKlPlN2at6native12_GLOBAL__N_18offset_tEEE10hipError_tPvRmT1_PNSt15iterator_traitsIS12_E10value_typeET2_T3_PNS13_IS18_E10value_typeET4_jRbjT5_S1E_jjP12ihipStream_tbEUljE_ZNSN_ISO_Lb1ESQ_SR_ST_SU_SY_EESZ_S10_S11_S12_S16_S17_S18_S1B_S1C_jS1D_jS1E_S1E_jjS1G_bEUljE0_EEESZ_S10_S11_S18_S1C_S1E_T6_T7_T9_mT8_S1G_bDpT10_ENKUlT_T0_E_clISt17integral_constantIbLb0EES1U_EEDaS1P_S1Q_EUlS1P_E_NS1_11comp_targetILNS1_3genE0ELNS1_11target_archE4294967295ELNS1_3gpuE0ELNS1_3repE0EEENS1_30default_config_static_selectorELNS0_4arch9wavefront6targetE0EEEvS12_,"axG",@progbits,_ZN7rocprim17ROCPRIM_400000_NS6detail17trampoline_kernelINS0_13select_configILj256ELj13ELNS0_17block_load_methodE3ELS4_3ELS4_3ELNS0_20block_scan_algorithmE0ELj4294967295EEENS1_25partition_config_selectorILNS1_17partition_subalgoE4EjNS0_10empty_typeEbEEZZNS1_14partition_implILS8_4ELb0ES6_15HIP_vector_typeIjLj2EENS0_17counting_iteratorIjlEEPS9_SG_NS0_5tupleIJPjSI_NS0_16reverse_iteratorISI_EEEEENSH_IJSG_SG_SG_EEES9_SI_JZNS1_25segmented_radix_sort_implINS0_14default_configELb1EPKbPbPKlPlN2at6native12_GLOBAL__N_18offset_tEEE10hipError_tPvRmT1_PNSt15iterator_traitsIS12_E10value_typeET2_T3_PNS13_IS18_E10value_typeET4_jRbjT5_S1E_jjP12ihipStream_tbEUljE_ZNSN_ISO_Lb1ESQ_SR_ST_SU_SY_EESZ_S10_S11_S12_S16_S17_S18_S1B_S1C_jS1D_jS1E_S1E_jjS1G_bEUljE0_EEESZ_S10_S11_S18_S1C_S1E_T6_T7_T9_mT8_S1G_bDpT10_ENKUlT_T0_E_clISt17integral_constantIbLb0EES1U_EEDaS1P_S1Q_EUlS1P_E_NS1_11comp_targetILNS1_3genE0ELNS1_11target_archE4294967295ELNS1_3gpuE0ELNS1_3repE0EEENS1_30default_config_static_selectorELNS0_4arch9wavefront6targetE0EEEvS12_,comdat
	.globl	_ZN7rocprim17ROCPRIM_400000_NS6detail17trampoline_kernelINS0_13select_configILj256ELj13ELNS0_17block_load_methodE3ELS4_3ELS4_3ELNS0_20block_scan_algorithmE0ELj4294967295EEENS1_25partition_config_selectorILNS1_17partition_subalgoE4EjNS0_10empty_typeEbEEZZNS1_14partition_implILS8_4ELb0ES6_15HIP_vector_typeIjLj2EENS0_17counting_iteratorIjlEEPS9_SG_NS0_5tupleIJPjSI_NS0_16reverse_iteratorISI_EEEEENSH_IJSG_SG_SG_EEES9_SI_JZNS1_25segmented_radix_sort_implINS0_14default_configELb1EPKbPbPKlPlN2at6native12_GLOBAL__N_18offset_tEEE10hipError_tPvRmT1_PNSt15iterator_traitsIS12_E10value_typeET2_T3_PNS13_IS18_E10value_typeET4_jRbjT5_S1E_jjP12ihipStream_tbEUljE_ZNSN_ISO_Lb1ESQ_SR_ST_SU_SY_EESZ_S10_S11_S12_S16_S17_S18_S1B_S1C_jS1D_jS1E_S1E_jjS1G_bEUljE0_EEESZ_S10_S11_S18_S1C_S1E_T6_T7_T9_mT8_S1G_bDpT10_ENKUlT_T0_E_clISt17integral_constantIbLb0EES1U_EEDaS1P_S1Q_EUlS1P_E_NS1_11comp_targetILNS1_3genE0ELNS1_11target_archE4294967295ELNS1_3gpuE0ELNS1_3repE0EEENS1_30default_config_static_selectorELNS0_4arch9wavefront6targetE0EEEvS12_ ; -- Begin function _ZN7rocprim17ROCPRIM_400000_NS6detail17trampoline_kernelINS0_13select_configILj256ELj13ELNS0_17block_load_methodE3ELS4_3ELS4_3ELNS0_20block_scan_algorithmE0ELj4294967295EEENS1_25partition_config_selectorILNS1_17partition_subalgoE4EjNS0_10empty_typeEbEEZZNS1_14partition_implILS8_4ELb0ES6_15HIP_vector_typeIjLj2EENS0_17counting_iteratorIjlEEPS9_SG_NS0_5tupleIJPjSI_NS0_16reverse_iteratorISI_EEEEENSH_IJSG_SG_SG_EEES9_SI_JZNS1_25segmented_radix_sort_implINS0_14default_configELb1EPKbPbPKlPlN2at6native12_GLOBAL__N_18offset_tEEE10hipError_tPvRmT1_PNSt15iterator_traitsIS12_E10value_typeET2_T3_PNS13_IS18_E10value_typeET4_jRbjT5_S1E_jjP12ihipStream_tbEUljE_ZNSN_ISO_Lb1ESQ_SR_ST_SU_SY_EESZ_S10_S11_S12_S16_S17_S18_S1B_S1C_jS1D_jS1E_S1E_jjS1G_bEUljE0_EEESZ_S10_S11_S18_S1C_S1E_T6_T7_T9_mT8_S1G_bDpT10_ENKUlT_T0_E_clISt17integral_constantIbLb0EES1U_EEDaS1P_S1Q_EUlS1P_E_NS1_11comp_targetILNS1_3genE0ELNS1_11target_archE4294967295ELNS1_3gpuE0ELNS1_3repE0EEENS1_30default_config_static_selectorELNS0_4arch9wavefront6targetE0EEEvS12_
	.p2align	8
	.type	_ZN7rocprim17ROCPRIM_400000_NS6detail17trampoline_kernelINS0_13select_configILj256ELj13ELNS0_17block_load_methodE3ELS4_3ELS4_3ELNS0_20block_scan_algorithmE0ELj4294967295EEENS1_25partition_config_selectorILNS1_17partition_subalgoE4EjNS0_10empty_typeEbEEZZNS1_14partition_implILS8_4ELb0ES6_15HIP_vector_typeIjLj2EENS0_17counting_iteratorIjlEEPS9_SG_NS0_5tupleIJPjSI_NS0_16reverse_iteratorISI_EEEEENSH_IJSG_SG_SG_EEES9_SI_JZNS1_25segmented_radix_sort_implINS0_14default_configELb1EPKbPbPKlPlN2at6native12_GLOBAL__N_18offset_tEEE10hipError_tPvRmT1_PNSt15iterator_traitsIS12_E10value_typeET2_T3_PNS13_IS18_E10value_typeET4_jRbjT5_S1E_jjP12ihipStream_tbEUljE_ZNSN_ISO_Lb1ESQ_SR_ST_SU_SY_EESZ_S10_S11_S12_S16_S17_S18_S1B_S1C_jS1D_jS1E_S1E_jjS1G_bEUljE0_EEESZ_S10_S11_S18_S1C_S1E_T6_T7_T9_mT8_S1G_bDpT10_ENKUlT_T0_E_clISt17integral_constantIbLb0EES1U_EEDaS1P_S1Q_EUlS1P_E_NS1_11comp_targetILNS1_3genE0ELNS1_11target_archE4294967295ELNS1_3gpuE0ELNS1_3repE0EEENS1_30default_config_static_selectorELNS0_4arch9wavefront6targetE0EEEvS12_,@function
_ZN7rocprim17ROCPRIM_400000_NS6detail17trampoline_kernelINS0_13select_configILj256ELj13ELNS0_17block_load_methodE3ELS4_3ELS4_3ELNS0_20block_scan_algorithmE0ELj4294967295EEENS1_25partition_config_selectorILNS1_17partition_subalgoE4EjNS0_10empty_typeEbEEZZNS1_14partition_implILS8_4ELb0ES6_15HIP_vector_typeIjLj2EENS0_17counting_iteratorIjlEEPS9_SG_NS0_5tupleIJPjSI_NS0_16reverse_iteratorISI_EEEEENSH_IJSG_SG_SG_EEES9_SI_JZNS1_25segmented_radix_sort_implINS0_14default_configELb1EPKbPbPKlPlN2at6native12_GLOBAL__N_18offset_tEEE10hipError_tPvRmT1_PNSt15iterator_traitsIS12_E10value_typeET2_T3_PNS13_IS18_E10value_typeET4_jRbjT5_S1E_jjP12ihipStream_tbEUljE_ZNSN_ISO_Lb1ESQ_SR_ST_SU_SY_EESZ_S10_S11_S12_S16_S17_S18_S1B_S1C_jS1D_jS1E_S1E_jjS1G_bEUljE0_EEESZ_S10_S11_S18_S1C_S1E_T6_T7_T9_mT8_S1G_bDpT10_ENKUlT_T0_E_clISt17integral_constantIbLb0EES1U_EEDaS1P_S1Q_EUlS1P_E_NS1_11comp_targetILNS1_3genE0ELNS1_11target_archE4294967295ELNS1_3gpuE0ELNS1_3repE0EEENS1_30default_config_static_selectorELNS0_4arch9wavefront6targetE0EEEvS12_: ; @_ZN7rocprim17ROCPRIM_400000_NS6detail17trampoline_kernelINS0_13select_configILj256ELj13ELNS0_17block_load_methodE3ELS4_3ELS4_3ELNS0_20block_scan_algorithmE0ELj4294967295EEENS1_25partition_config_selectorILNS1_17partition_subalgoE4EjNS0_10empty_typeEbEEZZNS1_14partition_implILS8_4ELb0ES6_15HIP_vector_typeIjLj2EENS0_17counting_iteratorIjlEEPS9_SG_NS0_5tupleIJPjSI_NS0_16reverse_iteratorISI_EEEEENSH_IJSG_SG_SG_EEES9_SI_JZNS1_25segmented_radix_sort_implINS0_14default_configELb1EPKbPbPKlPlN2at6native12_GLOBAL__N_18offset_tEEE10hipError_tPvRmT1_PNSt15iterator_traitsIS12_E10value_typeET2_T3_PNS13_IS18_E10value_typeET4_jRbjT5_S1E_jjP12ihipStream_tbEUljE_ZNSN_ISO_Lb1ESQ_SR_ST_SU_SY_EESZ_S10_S11_S12_S16_S17_S18_S1B_S1C_jS1D_jS1E_S1E_jjS1G_bEUljE0_EEESZ_S10_S11_S18_S1C_S1E_T6_T7_T9_mT8_S1G_bDpT10_ENKUlT_T0_E_clISt17integral_constantIbLb0EES1U_EEDaS1P_S1Q_EUlS1P_E_NS1_11comp_targetILNS1_3genE0ELNS1_11target_archE4294967295ELNS1_3gpuE0ELNS1_3repE0EEENS1_30default_config_static_selectorELNS0_4arch9wavefront6targetE0EEEvS12_
; %bb.0:
	.section	.rodata,"a",@progbits
	.p2align	6, 0x0
	.amdhsa_kernel _ZN7rocprim17ROCPRIM_400000_NS6detail17trampoline_kernelINS0_13select_configILj256ELj13ELNS0_17block_load_methodE3ELS4_3ELS4_3ELNS0_20block_scan_algorithmE0ELj4294967295EEENS1_25partition_config_selectorILNS1_17partition_subalgoE4EjNS0_10empty_typeEbEEZZNS1_14partition_implILS8_4ELb0ES6_15HIP_vector_typeIjLj2EENS0_17counting_iteratorIjlEEPS9_SG_NS0_5tupleIJPjSI_NS0_16reverse_iteratorISI_EEEEENSH_IJSG_SG_SG_EEES9_SI_JZNS1_25segmented_radix_sort_implINS0_14default_configELb1EPKbPbPKlPlN2at6native12_GLOBAL__N_18offset_tEEE10hipError_tPvRmT1_PNSt15iterator_traitsIS12_E10value_typeET2_T3_PNS13_IS18_E10value_typeET4_jRbjT5_S1E_jjP12ihipStream_tbEUljE_ZNSN_ISO_Lb1ESQ_SR_ST_SU_SY_EESZ_S10_S11_S12_S16_S17_S18_S1B_S1C_jS1D_jS1E_S1E_jjS1G_bEUljE0_EEESZ_S10_S11_S18_S1C_S1E_T6_T7_T9_mT8_S1G_bDpT10_ENKUlT_T0_E_clISt17integral_constantIbLb0EES1U_EEDaS1P_S1Q_EUlS1P_E_NS1_11comp_targetILNS1_3genE0ELNS1_11target_archE4294967295ELNS1_3gpuE0ELNS1_3repE0EEENS1_30default_config_static_selectorELNS0_4arch9wavefront6targetE0EEEvS12_
		.amdhsa_group_segment_fixed_size 0
		.amdhsa_private_segment_fixed_size 0
		.amdhsa_kernarg_size 176
		.amdhsa_user_sgpr_count 2
		.amdhsa_user_sgpr_dispatch_ptr 0
		.amdhsa_user_sgpr_queue_ptr 0
		.amdhsa_user_sgpr_kernarg_segment_ptr 1
		.amdhsa_user_sgpr_dispatch_id 0
		.amdhsa_user_sgpr_private_segment_size 0
		.amdhsa_wavefront_size32 1
		.amdhsa_uses_dynamic_stack 0
		.amdhsa_enable_private_segment 0
		.amdhsa_system_sgpr_workgroup_id_x 1
		.amdhsa_system_sgpr_workgroup_id_y 0
		.amdhsa_system_sgpr_workgroup_id_z 0
		.amdhsa_system_sgpr_workgroup_info 0
		.amdhsa_system_vgpr_workitem_id 0
		.amdhsa_next_free_vgpr 1
		.amdhsa_next_free_sgpr 1
		.amdhsa_reserve_vcc 0
		.amdhsa_float_round_mode_32 0
		.amdhsa_float_round_mode_16_64 0
		.amdhsa_float_denorm_mode_32 3
		.amdhsa_float_denorm_mode_16_64 3
		.amdhsa_fp16_overflow 0
		.amdhsa_workgroup_processor_mode 1
		.amdhsa_memory_ordered 1
		.amdhsa_forward_progress 1
		.amdhsa_inst_pref_size 0
		.amdhsa_round_robin_scheduling 0
		.amdhsa_exception_fp_ieee_invalid_op 0
		.amdhsa_exception_fp_denorm_src 0
		.amdhsa_exception_fp_ieee_div_zero 0
		.amdhsa_exception_fp_ieee_overflow 0
		.amdhsa_exception_fp_ieee_underflow 0
		.amdhsa_exception_fp_ieee_inexact 0
		.amdhsa_exception_int_div_zero 0
	.end_amdhsa_kernel
	.section	.text._ZN7rocprim17ROCPRIM_400000_NS6detail17trampoline_kernelINS0_13select_configILj256ELj13ELNS0_17block_load_methodE3ELS4_3ELS4_3ELNS0_20block_scan_algorithmE0ELj4294967295EEENS1_25partition_config_selectorILNS1_17partition_subalgoE4EjNS0_10empty_typeEbEEZZNS1_14partition_implILS8_4ELb0ES6_15HIP_vector_typeIjLj2EENS0_17counting_iteratorIjlEEPS9_SG_NS0_5tupleIJPjSI_NS0_16reverse_iteratorISI_EEEEENSH_IJSG_SG_SG_EEES9_SI_JZNS1_25segmented_radix_sort_implINS0_14default_configELb1EPKbPbPKlPlN2at6native12_GLOBAL__N_18offset_tEEE10hipError_tPvRmT1_PNSt15iterator_traitsIS12_E10value_typeET2_T3_PNS13_IS18_E10value_typeET4_jRbjT5_S1E_jjP12ihipStream_tbEUljE_ZNSN_ISO_Lb1ESQ_SR_ST_SU_SY_EESZ_S10_S11_S12_S16_S17_S18_S1B_S1C_jS1D_jS1E_S1E_jjS1G_bEUljE0_EEESZ_S10_S11_S18_S1C_S1E_T6_T7_T9_mT8_S1G_bDpT10_ENKUlT_T0_E_clISt17integral_constantIbLb0EES1U_EEDaS1P_S1Q_EUlS1P_E_NS1_11comp_targetILNS1_3genE0ELNS1_11target_archE4294967295ELNS1_3gpuE0ELNS1_3repE0EEENS1_30default_config_static_selectorELNS0_4arch9wavefront6targetE0EEEvS12_,"axG",@progbits,_ZN7rocprim17ROCPRIM_400000_NS6detail17trampoline_kernelINS0_13select_configILj256ELj13ELNS0_17block_load_methodE3ELS4_3ELS4_3ELNS0_20block_scan_algorithmE0ELj4294967295EEENS1_25partition_config_selectorILNS1_17partition_subalgoE4EjNS0_10empty_typeEbEEZZNS1_14partition_implILS8_4ELb0ES6_15HIP_vector_typeIjLj2EENS0_17counting_iteratorIjlEEPS9_SG_NS0_5tupleIJPjSI_NS0_16reverse_iteratorISI_EEEEENSH_IJSG_SG_SG_EEES9_SI_JZNS1_25segmented_radix_sort_implINS0_14default_configELb1EPKbPbPKlPlN2at6native12_GLOBAL__N_18offset_tEEE10hipError_tPvRmT1_PNSt15iterator_traitsIS12_E10value_typeET2_T3_PNS13_IS18_E10value_typeET4_jRbjT5_S1E_jjP12ihipStream_tbEUljE_ZNSN_ISO_Lb1ESQ_SR_ST_SU_SY_EESZ_S10_S11_S12_S16_S17_S18_S1B_S1C_jS1D_jS1E_S1E_jjS1G_bEUljE0_EEESZ_S10_S11_S18_S1C_S1E_T6_T7_T9_mT8_S1G_bDpT10_ENKUlT_T0_E_clISt17integral_constantIbLb0EES1U_EEDaS1P_S1Q_EUlS1P_E_NS1_11comp_targetILNS1_3genE0ELNS1_11target_archE4294967295ELNS1_3gpuE0ELNS1_3repE0EEENS1_30default_config_static_selectorELNS0_4arch9wavefront6targetE0EEEvS12_,comdat
.Lfunc_end1468:
	.size	_ZN7rocprim17ROCPRIM_400000_NS6detail17trampoline_kernelINS0_13select_configILj256ELj13ELNS0_17block_load_methodE3ELS4_3ELS4_3ELNS0_20block_scan_algorithmE0ELj4294967295EEENS1_25partition_config_selectorILNS1_17partition_subalgoE4EjNS0_10empty_typeEbEEZZNS1_14partition_implILS8_4ELb0ES6_15HIP_vector_typeIjLj2EENS0_17counting_iteratorIjlEEPS9_SG_NS0_5tupleIJPjSI_NS0_16reverse_iteratorISI_EEEEENSH_IJSG_SG_SG_EEES9_SI_JZNS1_25segmented_radix_sort_implINS0_14default_configELb1EPKbPbPKlPlN2at6native12_GLOBAL__N_18offset_tEEE10hipError_tPvRmT1_PNSt15iterator_traitsIS12_E10value_typeET2_T3_PNS13_IS18_E10value_typeET4_jRbjT5_S1E_jjP12ihipStream_tbEUljE_ZNSN_ISO_Lb1ESQ_SR_ST_SU_SY_EESZ_S10_S11_S12_S16_S17_S18_S1B_S1C_jS1D_jS1E_S1E_jjS1G_bEUljE0_EEESZ_S10_S11_S18_S1C_S1E_T6_T7_T9_mT8_S1G_bDpT10_ENKUlT_T0_E_clISt17integral_constantIbLb0EES1U_EEDaS1P_S1Q_EUlS1P_E_NS1_11comp_targetILNS1_3genE0ELNS1_11target_archE4294967295ELNS1_3gpuE0ELNS1_3repE0EEENS1_30default_config_static_selectorELNS0_4arch9wavefront6targetE0EEEvS12_, .Lfunc_end1468-_ZN7rocprim17ROCPRIM_400000_NS6detail17trampoline_kernelINS0_13select_configILj256ELj13ELNS0_17block_load_methodE3ELS4_3ELS4_3ELNS0_20block_scan_algorithmE0ELj4294967295EEENS1_25partition_config_selectorILNS1_17partition_subalgoE4EjNS0_10empty_typeEbEEZZNS1_14partition_implILS8_4ELb0ES6_15HIP_vector_typeIjLj2EENS0_17counting_iteratorIjlEEPS9_SG_NS0_5tupleIJPjSI_NS0_16reverse_iteratorISI_EEEEENSH_IJSG_SG_SG_EEES9_SI_JZNS1_25segmented_radix_sort_implINS0_14default_configELb1EPKbPbPKlPlN2at6native12_GLOBAL__N_18offset_tEEE10hipError_tPvRmT1_PNSt15iterator_traitsIS12_E10value_typeET2_T3_PNS13_IS18_E10value_typeET4_jRbjT5_S1E_jjP12ihipStream_tbEUljE_ZNSN_ISO_Lb1ESQ_SR_ST_SU_SY_EESZ_S10_S11_S12_S16_S17_S18_S1B_S1C_jS1D_jS1E_S1E_jjS1G_bEUljE0_EEESZ_S10_S11_S18_S1C_S1E_T6_T7_T9_mT8_S1G_bDpT10_ENKUlT_T0_E_clISt17integral_constantIbLb0EES1U_EEDaS1P_S1Q_EUlS1P_E_NS1_11comp_targetILNS1_3genE0ELNS1_11target_archE4294967295ELNS1_3gpuE0ELNS1_3repE0EEENS1_30default_config_static_selectorELNS0_4arch9wavefront6targetE0EEEvS12_
                                        ; -- End function
	.set _ZN7rocprim17ROCPRIM_400000_NS6detail17trampoline_kernelINS0_13select_configILj256ELj13ELNS0_17block_load_methodE3ELS4_3ELS4_3ELNS0_20block_scan_algorithmE0ELj4294967295EEENS1_25partition_config_selectorILNS1_17partition_subalgoE4EjNS0_10empty_typeEbEEZZNS1_14partition_implILS8_4ELb0ES6_15HIP_vector_typeIjLj2EENS0_17counting_iteratorIjlEEPS9_SG_NS0_5tupleIJPjSI_NS0_16reverse_iteratorISI_EEEEENSH_IJSG_SG_SG_EEES9_SI_JZNS1_25segmented_radix_sort_implINS0_14default_configELb1EPKbPbPKlPlN2at6native12_GLOBAL__N_18offset_tEEE10hipError_tPvRmT1_PNSt15iterator_traitsIS12_E10value_typeET2_T3_PNS13_IS18_E10value_typeET4_jRbjT5_S1E_jjP12ihipStream_tbEUljE_ZNSN_ISO_Lb1ESQ_SR_ST_SU_SY_EESZ_S10_S11_S12_S16_S17_S18_S1B_S1C_jS1D_jS1E_S1E_jjS1G_bEUljE0_EEESZ_S10_S11_S18_S1C_S1E_T6_T7_T9_mT8_S1G_bDpT10_ENKUlT_T0_E_clISt17integral_constantIbLb0EES1U_EEDaS1P_S1Q_EUlS1P_E_NS1_11comp_targetILNS1_3genE0ELNS1_11target_archE4294967295ELNS1_3gpuE0ELNS1_3repE0EEENS1_30default_config_static_selectorELNS0_4arch9wavefront6targetE0EEEvS12_.num_vgpr, 0
	.set _ZN7rocprim17ROCPRIM_400000_NS6detail17trampoline_kernelINS0_13select_configILj256ELj13ELNS0_17block_load_methodE3ELS4_3ELS4_3ELNS0_20block_scan_algorithmE0ELj4294967295EEENS1_25partition_config_selectorILNS1_17partition_subalgoE4EjNS0_10empty_typeEbEEZZNS1_14partition_implILS8_4ELb0ES6_15HIP_vector_typeIjLj2EENS0_17counting_iteratorIjlEEPS9_SG_NS0_5tupleIJPjSI_NS0_16reverse_iteratorISI_EEEEENSH_IJSG_SG_SG_EEES9_SI_JZNS1_25segmented_radix_sort_implINS0_14default_configELb1EPKbPbPKlPlN2at6native12_GLOBAL__N_18offset_tEEE10hipError_tPvRmT1_PNSt15iterator_traitsIS12_E10value_typeET2_T3_PNS13_IS18_E10value_typeET4_jRbjT5_S1E_jjP12ihipStream_tbEUljE_ZNSN_ISO_Lb1ESQ_SR_ST_SU_SY_EESZ_S10_S11_S12_S16_S17_S18_S1B_S1C_jS1D_jS1E_S1E_jjS1G_bEUljE0_EEESZ_S10_S11_S18_S1C_S1E_T6_T7_T9_mT8_S1G_bDpT10_ENKUlT_T0_E_clISt17integral_constantIbLb0EES1U_EEDaS1P_S1Q_EUlS1P_E_NS1_11comp_targetILNS1_3genE0ELNS1_11target_archE4294967295ELNS1_3gpuE0ELNS1_3repE0EEENS1_30default_config_static_selectorELNS0_4arch9wavefront6targetE0EEEvS12_.num_agpr, 0
	.set _ZN7rocprim17ROCPRIM_400000_NS6detail17trampoline_kernelINS0_13select_configILj256ELj13ELNS0_17block_load_methodE3ELS4_3ELS4_3ELNS0_20block_scan_algorithmE0ELj4294967295EEENS1_25partition_config_selectorILNS1_17partition_subalgoE4EjNS0_10empty_typeEbEEZZNS1_14partition_implILS8_4ELb0ES6_15HIP_vector_typeIjLj2EENS0_17counting_iteratorIjlEEPS9_SG_NS0_5tupleIJPjSI_NS0_16reverse_iteratorISI_EEEEENSH_IJSG_SG_SG_EEES9_SI_JZNS1_25segmented_radix_sort_implINS0_14default_configELb1EPKbPbPKlPlN2at6native12_GLOBAL__N_18offset_tEEE10hipError_tPvRmT1_PNSt15iterator_traitsIS12_E10value_typeET2_T3_PNS13_IS18_E10value_typeET4_jRbjT5_S1E_jjP12ihipStream_tbEUljE_ZNSN_ISO_Lb1ESQ_SR_ST_SU_SY_EESZ_S10_S11_S12_S16_S17_S18_S1B_S1C_jS1D_jS1E_S1E_jjS1G_bEUljE0_EEESZ_S10_S11_S18_S1C_S1E_T6_T7_T9_mT8_S1G_bDpT10_ENKUlT_T0_E_clISt17integral_constantIbLb0EES1U_EEDaS1P_S1Q_EUlS1P_E_NS1_11comp_targetILNS1_3genE0ELNS1_11target_archE4294967295ELNS1_3gpuE0ELNS1_3repE0EEENS1_30default_config_static_selectorELNS0_4arch9wavefront6targetE0EEEvS12_.numbered_sgpr, 0
	.set _ZN7rocprim17ROCPRIM_400000_NS6detail17trampoline_kernelINS0_13select_configILj256ELj13ELNS0_17block_load_methodE3ELS4_3ELS4_3ELNS0_20block_scan_algorithmE0ELj4294967295EEENS1_25partition_config_selectorILNS1_17partition_subalgoE4EjNS0_10empty_typeEbEEZZNS1_14partition_implILS8_4ELb0ES6_15HIP_vector_typeIjLj2EENS0_17counting_iteratorIjlEEPS9_SG_NS0_5tupleIJPjSI_NS0_16reverse_iteratorISI_EEEEENSH_IJSG_SG_SG_EEES9_SI_JZNS1_25segmented_radix_sort_implINS0_14default_configELb1EPKbPbPKlPlN2at6native12_GLOBAL__N_18offset_tEEE10hipError_tPvRmT1_PNSt15iterator_traitsIS12_E10value_typeET2_T3_PNS13_IS18_E10value_typeET4_jRbjT5_S1E_jjP12ihipStream_tbEUljE_ZNSN_ISO_Lb1ESQ_SR_ST_SU_SY_EESZ_S10_S11_S12_S16_S17_S18_S1B_S1C_jS1D_jS1E_S1E_jjS1G_bEUljE0_EEESZ_S10_S11_S18_S1C_S1E_T6_T7_T9_mT8_S1G_bDpT10_ENKUlT_T0_E_clISt17integral_constantIbLb0EES1U_EEDaS1P_S1Q_EUlS1P_E_NS1_11comp_targetILNS1_3genE0ELNS1_11target_archE4294967295ELNS1_3gpuE0ELNS1_3repE0EEENS1_30default_config_static_selectorELNS0_4arch9wavefront6targetE0EEEvS12_.num_named_barrier, 0
	.set _ZN7rocprim17ROCPRIM_400000_NS6detail17trampoline_kernelINS0_13select_configILj256ELj13ELNS0_17block_load_methodE3ELS4_3ELS4_3ELNS0_20block_scan_algorithmE0ELj4294967295EEENS1_25partition_config_selectorILNS1_17partition_subalgoE4EjNS0_10empty_typeEbEEZZNS1_14partition_implILS8_4ELb0ES6_15HIP_vector_typeIjLj2EENS0_17counting_iteratorIjlEEPS9_SG_NS0_5tupleIJPjSI_NS0_16reverse_iteratorISI_EEEEENSH_IJSG_SG_SG_EEES9_SI_JZNS1_25segmented_radix_sort_implINS0_14default_configELb1EPKbPbPKlPlN2at6native12_GLOBAL__N_18offset_tEEE10hipError_tPvRmT1_PNSt15iterator_traitsIS12_E10value_typeET2_T3_PNS13_IS18_E10value_typeET4_jRbjT5_S1E_jjP12ihipStream_tbEUljE_ZNSN_ISO_Lb1ESQ_SR_ST_SU_SY_EESZ_S10_S11_S12_S16_S17_S18_S1B_S1C_jS1D_jS1E_S1E_jjS1G_bEUljE0_EEESZ_S10_S11_S18_S1C_S1E_T6_T7_T9_mT8_S1G_bDpT10_ENKUlT_T0_E_clISt17integral_constantIbLb0EES1U_EEDaS1P_S1Q_EUlS1P_E_NS1_11comp_targetILNS1_3genE0ELNS1_11target_archE4294967295ELNS1_3gpuE0ELNS1_3repE0EEENS1_30default_config_static_selectorELNS0_4arch9wavefront6targetE0EEEvS12_.private_seg_size, 0
	.set _ZN7rocprim17ROCPRIM_400000_NS6detail17trampoline_kernelINS0_13select_configILj256ELj13ELNS0_17block_load_methodE3ELS4_3ELS4_3ELNS0_20block_scan_algorithmE0ELj4294967295EEENS1_25partition_config_selectorILNS1_17partition_subalgoE4EjNS0_10empty_typeEbEEZZNS1_14partition_implILS8_4ELb0ES6_15HIP_vector_typeIjLj2EENS0_17counting_iteratorIjlEEPS9_SG_NS0_5tupleIJPjSI_NS0_16reverse_iteratorISI_EEEEENSH_IJSG_SG_SG_EEES9_SI_JZNS1_25segmented_radix_sort_implINS0_14default_configELb1EPKbPbPKlPlN2at6native12_GLOBAL__N_18offset_tEEE10hipError_tPvRmT1_PNSt15iterator_traitsIS12_E10value_typeET2_T3_PNS13_IS18_E10value_typeET4_jRbjT5_S1E_jjP12ihipStream_tbEUljE_ZNSN_ISO_Lb1ESQ_SR_ST_SU_SY_EESZ_S10_S11_S12_S16_S17_S18_S1B_S1C_jS1D_jS1E_S1E_jjS1G_bEUljE0_EEESZ_S10_S11_S18_S1C_S1E_T6_T7_T9_mT8_S1G_bDpT10_ENKUlT_T0_E_clISt17integral_constantIbLb0EES1U_EEDaS1P_S1Q_EUlS1P_E_NS1_11comp_targetILNS1_3genE0ELNS1_11target_archE4294967295ELNS1_3gpuE0ELNS1_3repE0EEENS1_30default_config_static_selectorELNS0_4arch9wavefront6targetE0EEEvS12_.uses_vcc, 0
	.set _ZN7rocprim17ROCPRIM_400000_NS6detail17trampoline_kernelINS0_13select_configILj256ELj13ELNS0_17block_load_methodE3ELS4_3ELS4_3ELNS0_20block_scan_algorithmE0ELj4294967295EEENS1_25partition_config_selectorILNS1_17partition_subalgoE4EjNS0_10empty_typeEbEEZZNS1_14partition_implILS8_4ELb0ES6_15HIP_vector_typeIjLj2EENS0_17counting_iteratorIjlEEPS9_SG_NS0_5tupleIJPjSI_NS0_16reverse_iteratorISI_EEEEENSH_IJSG_SG_SG_EEES9_SI_JZNS1_25segmented_radix_sort_implINS0_14default_configELb1EPKbPbPKlPlN2at6native12_GLOBAL__N_18offset_tEEE10hipError_tPvRmT1_PNSt15iterator_traitsIS12_E10value_typeET2_T3_PNS13_IS18_E10value_typeET4_jRbjT5_S1E_jjP12ihipStream_tbEUljE_ZNSN_ISO_Lb1ESQ_SR_ST_SU_SY_EESZ_S10_S11_S12_S16_S17_S18_S1B_S1C_jS1D_jS1E_S1E_jjS1G_bEUljE0_EEESZ_S10_S11_S18_S1C_S1E_T6_T7_T9_mT8_S1G_bDpT10_ENKUlT_T0_E_clISt17integral_constantIbLb0EES1U_EEDaS1P_S1Q_EUlS1P_E_NS1_11comp_targetILNS1_3genE0ELNS1_11target_archE4294967295ELNS1_3gpuE0ELNS1_3repE0EEENS1_30default_config_static_selectorELNS0_4arch9wavefront6targetE0EEEvS12_.uses_flat_scratch, 0
	.set _ZN7rocprim17ROCPRIM_400000_NS6detail17trampoline_kernelINS0_13select_configILj256ELj13ELNS0_17block_load_methodE3ELS4_3ELS4_3ELNS0_20block_scan_algorithmE0ELj4294967295EEENS1_25partition_config_selectorILNS1_17partition_subalgoE4EjNS0_10empty_typeEbEEZZNS1_14partition_implILS8_4ELb0ES6_15HIP_vector_typeIjLj2EENS0_17counting_iteratorIjlEEPS9_SG_NS0_5tupleIJPjSI_NS0_16reverse_iteratorISI_EEEEENSH_IJSG_SG_SG_EEES9_SI_JZNS1_25segmented_radix_sort_implINS0_14default_configELb1EPKbPbPKlPlN2at6native12_GLOBAL__N_18offset_tEEE10hipError_tPvRmT1_PNSt15iterator_traitsIS12_E10value_typeET2_T3_PNS13_IS18_E10value_typeET4_jRbjT5_S1E_jjP12ihipStream_tbEUljE_ZNSN_ISO_Lb1ESQ_SR_ST_SU_SY_EESZ_S10_S11_S12_S16_S17_S18_S1B_S1C_jS1D_jS1E_S1E_jjS1G_bEUljE0_EEESZ_S10_S11_S18_S1C_S1E_T6_T7_T9_mT8_S1G_bDpT10_ENKUlT_T0_E_clISt17integral_constantIbLb0EES1U_EEDaS1P_S1Q_EUlS1P_E_NS1_11comp_targetILNS1_3genE0ELNS1_11target_archE4294967295ELNS1_3gpuE0ELNS1_3repE0EEENS1_30default_config_static_selectorELNS0_4arch9wavefront6targetE0EEEvS12_.has_dyn_sized_stack, 0
	.set _ZN7rocprim17ROCPRIM_400000_NS6detail17trampoline_kernelINS0_13select_configILj256ELj13ELNS0_17block_load_methodE3ELS4_3ELS4_3ELNS0_20block_scan_algorithmE0ELj4294967295EEENS1_25partition_config_selectorILNS1_17partition_subalgoE4EjNS0_10empty_typeEbEEZZNS1_14partition_implILS8_4ELb0ES6_15HIP_vector_typeIjLj2EENS0_17counting_iteratorIjlEEPS9_SG_NS0_5tupleIJPjSI_NS0_16reverse_iteratorISI_EEEEENSH_IJSG_SG_SG_EEES9_SI_JZNS1_25segmented_radix_sort_implINS0_14default_configELb1EPKbPbPKlPlN2at6native12_GLOBAL__N_18offset_tEEE10hipError_tPvRmT1_PNSt15iterator_traitsIS12_E10value_typeET2_T3_PNS13_IS18_E10value_typeET4_jRbjT5_S1E_jjP12ihipStream_tbEUljE_ZNSN_ISO_Lb1ESQ_SR_ST_SU_SY_EESZ_S10_S11_S12_S16_S17_S18_S1B_S1C_jS1D_jS1E_S1E_jjS1G_bEUljE0_EEESZ_S10_S11_S18_S1C_S1E_T6_T7_T9_mT8_S1G_bDpT10_ENKUlT_T0_E_clISt17integral_constantIbLb0EES1U_EEDaS1P_S1Q_EUlS1P_E_NS1_11comp_targetILNS1_3genE0ELNS1_11target_archE4294967295ELNS1_3gpuE0ELNS1_3repE0EEENS1_30default_config_static_selectorELNS0_4arch9wavefront6targetE0EEEvS12_.has_recursion, 0
	.set _ZN7rocprim17ROCPRIM_400000_NS6detail17trampoline_kernelINS0_13select_configILj256ELj13ELNS0_17block_load_methodE3ELS4_3ELS4_3ELNS0_20block_scan_algorithmE0ELj4294967295EEENS1_25partition_config_selectorILNS1_17partition_subalgoE4EjNS0_10empty_typeEbEEZZNS1_14partition_implILS8_4ELb0ES6_15HIP_vector_typeIjLj2EENS0_17counting_iteratorIjlEEPS9_SG_NS0_5tupleIJPjSI_NS0_16reverse_iteratorISI_EEEEENSH_IJSG_SG_SG_EEES9_SI_JZNS1_25segmented_radix_sort_implINS0_14default_configELb1EPKbPbPKlPlN2at6native12_GLOBAL__N_18offset_tEEE10hipError_tPvRmT1_PNSt15iterator_traitsIS12_E10value_typeET2_T3_PNS13_IS18_E10value_typeET4_jRbjT5_S1E_jjP12ihipStream_tbEUljE_ZNSN_ISO_Lb1ESQ_SR_ST_SU_SY_EESZ_S10_S11_S12_S16_S17_S18_S1B_S1C_jS1D_jS1E_S1E_jjS1G_bEUljE0_EEESZ_S10_S11_S18_S1C_S1E_T6_T7_T9_mT8_S1G_bDpT10_ENKUlT_T0_E_clISt17integral_constantIbLb0EES1U_EEDaS1P_S1Q_EUlS1P_E_NS1_11comp_targetILNS1_3genE0ELNS1_11target_archE4294967295ELNS1_3gpuE0ELNS1_3repE0EEENS1_30default_config_static_selectorELNS0_4arch9wavefront6targetE0EEEvS12_.has_indirect_call, 0
	.section	.AMDGPU.csdata,"",@progbits
; Kernel info:
; codeLenInByte = 0
; TotalNumSgprs: 0
; NumVgprs: 0
; ScratchSize: 0
; MemoryBound: 0
; FloatMode: 240
; IeeeMode: 1
; LDSByteSize: 0 bytes/workgroup (compile time only)
; SGPRBlocks: 0
; VGPRBlocks: 0
; NumSGPRsForWavesPerEU: 1
; NumVGPRsForWavesPerEU: 1
; Occupancy: 16
; WaveLimiterHint : 0
; COMPUTE_PGM_RSRC2:SCRATCH_EN: 0
; COMPUTE_PGM_RSRC2:USER_SGPR: 2
; COMPUTE_PGM_RSRC2:TRAP_HANDLER: 0
; COMPUTE_PGM_RSRC2:TGID_X_EN: 1
; COMPUTE_PGM_RSRC2:TGID_Y_EN: 0
; COMPUTE_PGM_RSRC2:TGID_Z_EN: 0
; COMPUTE_PGM_RSRC2:TIDIG_COMP_CNT: 0
	.section	.text._ZN7rocprim17ROCPRIM_400000_NS6detail17trampoline_kernelINS0_13select_configILj256ELj13ELNS0_17block_load_methodE3ELS4_3ELS4_3ELNS0_20block_scan_algorithmE0ELj4294967295EEENS1_25partition_config_selectorILNS1_17partition_subalgoE4EjNS0_10empty_typeEbEEZZNS1_14partition_implILS8_4ELb0ES6_15HIP_vector_typeIjLj2EENS0_17counting_iteratorIjlEEPS9_SG_NS0_5tupleIJPjSI_NS0_16reverse_iteratorISI_EEEEENSH_IJSG_SG_SG_EEES9_SI_JZNS1_25segmented_radix_sort_implINS0_14default_configELb1EPKbPbPKlPlN2at6native12_GLOBAL__N_18offset_tEEE10hipError_tPvRmT1_PNSt15iterator_traitsIS12_E10value_typeET2_T3_PNS13_IS18_E10value_typeET4_jRbjT5_S1E_jjP12ihipStream_tbEUljE_ZNSN_ISO_Lb1ESQ_SR_ST_SU_SY_EESZ_S10_S11_S12_S16_S17_S18_S1B_S1C_jS1D_jS1E_S1E_jjS1G_bEUljE0_EEESZ_S10_S11_S18_S1C_S1E_T6_T7_T9_mT8_S1G_bDpT10_ENKUlT_T0_E_clISt17integral_constantIbLb0EES1U_EEDaS1P_S1Q_EUlS1P_E_NS1_11comp_targetILNS1_3genE5ELNS1_11target_archE942ELNS1_3gpuE9ELNS1_3repE0EEENS1_30default_config_static_selectorELNS0_4arch9wavefront6targetE0EEEvS12_,"axG",@progbits,_ZN7rocprim17ROCPRIM_400000_NS6detail17trampoline_kernelINS0_13select_configILj256ELj13ELNS0_17block_load_methodE3ELS4_3ELS4_3ELNS0_20block_scan_algorithmE0ELj4294967295EEENS1_25partition_config_selectorILNS1_17partition_subalgoE4EjNS0_10empty_typeEbEEZZNS1_14partition_implILS8_4ELb0ES6_15HIP_vector_typeIjLj2EENS0_17counting_iteratorIjlEEPS9_SG_NS0_5tupleIJPjSI_NS0_16reverse_iteratorISI_EEEEENSH_IJSG_SG_SG_EEES9_SI_JZNS1_25segmented_radix_sort_implINS0_14default_configELb1EPKbPbPKlPlN2at6native12_GLOBAL__N_18offset_tEEE10hipError_tPvRmT1_PNSt15iterator_traitsIS12_E10value_typeET2_T3_PNS13_IS18_E10value_typeET4_jRbjT5_S1E_jjP12ihipStream_tbEUljE_ZNSN_ISO_Lb1ESQ_SR_ST_SU_SY_EESZ_S10_S11_S12_S16_S17_S18_S1B_S1C_jS1D_jS1E_S1E_jjS1G_bEUljE0_EEESZ_S10_S11_S18_S1C_S1E_T6_T7_T9_mT8_S1G_bDpT10_ENKUlT_T0_E_clISt17integral_constantIbLb0EES1U_EEDaS1P_S1Q_EUlS1P_E_NS1_11comp_targetILNS1_3genE5ELNS1_11target_archE942ELNS1_3gpuE9ELNS1_3repE0EEENS1_30default_config_static_selectorELNS0_4arch9wavefront6targetE0EEEvS12_,comdat
	.globl	_ZN7rocprim17ROCPRIM_400000_NS6detail17trampoline_kernelINS0_13select_configILj256ELj13ELNS0_17block_load_methodE3ELS4_3ELS4_3ELNS0_20block_scan_algorithmE0ELj4294967295EEENS1_25partition_config_selectorILNS1_17partition_subalgoE4EjNS0_10empty_typeEbEEZZNS1_14partition_implILS8_4ELb0ES6_15HIP_vector_typeIjLj2EENS0_17counting_iteratorIjlEEPS9_SG_NS0_5tupleIJPjSI_NS0_16reverse_iteratorISI_EEEEENSH_IJSG_SG_SG_EEES9_SI_JZNS1_25segmented_radix_sort_implINS0_14default_configELb1EPKbPbPKlPlN2at6native12_GLOBAL__N_18offset_tEEE10hipError_tPvRmT1_PNSt15iterator_traitsIS12_E10value_typeET2_T3_PNS13_IS18_E10value_typeET4_jRbjT5_S1E_jjP12ihipStream_tbEUljE_ZNSN_ISO_Lb1ESQ_SR_ST_SU_SY_EESZ_S10_S11_S12_S16_S17_S18_S1B_S1C_jS1D_jS1E_S1E_jjS1G_bEUljE0_EEESZ_S10_S11_S18_S1C_S1E_T6_T7_T9_mT8_S1G_bDpT10_ENKUlT_T0_E_clISt17integral_constantIbLb0EES1U_EEDaS1P_S1Q_EUlS1P_E_NS1_11comp_targetILNS1_3genE5ELNS1_11target_archE942ELNS1_3gpuE9ELNS1_3repE0EEENS1_30default_config_static_selectorELNS0_4arch9wavefront6targetE0EEEvS12_ ; -- Begin function _ZN7rocprim17ROCPRIM_400000_NS6detail17trampoline_kernelINS0_13select_configILj256ELj13ELNS0_17block_load_methodE3ELS4_3ELS4_3ELNS0_20block_scan_algorithmE0ELj4294967295EEENS1_25partition_config_selectorILNS1_17partition_subalgoE4EjNS0_10empty_typeEbEEZZNS1_14partition_implILS8_4ELb0ES6_15HIP_vector_typeIjLj2EENS0_17counting_iteratorIjlEEPS9_SG_NS0_5tupleIJPjSI_NS0_16reverse_iteratorISI_EEEEENSH_IJSG_SG_SG_EEES9_SI_JZNS1_25segmented_radix_sort_implINS0_14default_configELb1EPKbPbPKlPlN2at6native12_GLOBAL__N_18offset_tEEE10hipError_tPvRmT1_PNSt15iterator_traitsIS12_E10value_typeET2_T3_PNS13_IS18_E10value_typeET4_jRbjT5_S1E_jjP12ihipStream_tbEUljE_ZNSN_ISO_Lb1ESQ_SR_ST_SU_SY_EESZ_S10_S11_S12_S16_S17_S18_S1B_S1C_jS1D_jS1E_S1E_jjS1G_bEUljE0_EEESZ_S10_S11_S18_S1C_S1E_T6_T7_T9_mT8_S1G_bDpT10_ENKUlT_T0_E_clISt17integral_constantIbLb0EES1U_EEDaS1P_S1Q_EUlS1P_E_NS1_11comp_targetILNS1_3genE5ELNS1_11target_archE942ELNS1_3gpuE9ELNS1_3repE0EEENS1_30default_config_static_selectorELNS0_4arch9wavefront6targetE0EEEvS12_
	.p2align	8
	.type	_ZN7rocprim17ROCPRIM_400000_NS6detail17trampoline_kernelINS0_13select_configILj256ELj13ELNS0_17block_load_methodE3ELS4_3ELS4_3ELNS0_20block_scan_algorithmE0ELj4294967295EEENS1_25partition_config_selectorILNS1_17partition_subalgoE4EjNS0_10empty_typeEbEEZZNS1_14partition_implILS8_4ELb0ES6_15HIP_vector_typeIjLj2EENS0_17counting_iteratorIjlEEPS9_SG_NS0_5tupleIJPjSI_NS0_16reverse_iteratorISI_EEEEENSH_IJSG_SG_SG_EEES9_SI_JZNS1_25segmented_radix_sort_implINS0_14default_configELb1EPKbPbPKlPlN2at6native12_GLOBAL__N_18offset_tEEE10hipError_tPvRmT1_PNSt15iterator_traitsIS12_E10value_typeET2_T3_PNS13_IS18_E10value_typeET4_jRbjT5_S1E_jjP12ihipStream_tbEUljE_ZNSN_ISO_Lb1ESQ_SR_ST_SU_SY_EESZ_S10_S11_S12_S16_S17_S18_S1B_S1C_jS1D_jS1E_S1E_jjS1G_bEUljE0_EEESZ_S10_S11_S18_S1C_S1E_T6_T7_T9_mT8_S1G_bDpT10_ENKUlT_T0_E_clISt17integral_constantIbLb0EES1U_EEDaS1P_S1Q_EUlS1P_E_NS1_11comp_targetILNS1_3genE5ELNS1_11target_archE942ELNS1_3gpuE9ELNS1_3repE0EEENS1_30default_config_static_selectorELNS0_4arch9wavefront6targetE0EEEvS12_,@function
_ZN7rocprim17ROCPRIM_400000_NS6detail17trampoline_kernelINS0_13select_configILj256ELj13ELNS0_17block_load_methodE3ELS4_3ELS4_3ELNS0_20block_scan_algorithmE0ELj4294967295EEENS1_25partition_config_selectorILNS1_17partition_subalgoE4EjNS0_10empty_typeEbEEZZNS1_14partition_implILS8_4ELb0ES6_15HIP_vector_typeIjLj2EENS0_17counting_iteratorIjlEEPS9_SG_NS0_5tupleIJPjSI_NS0_16reverse_iteratorISI_EEEEENSH_IJSG_SG_SG_EEES9_SI_JZNS1_25segmented_radix_sort_implINS0_14default_configELb1EPKbPbPKlPlN2at6native12_GLOBAL__N_18offset_tEEE10hipError_tPvRmT1_PNSt15iterator_traitsIS12_E10value_typeET2_T3_PNS13_IS18_E10value_typeET4_jRbjT5_S1E_jjP12ihipStream_tbEUljE_ZNSN_ISO_Lb1ESQ_SR_ST_SU_SY_EESZ_S10_S11_S12_S16_S17_S18_S1B_S1C_jS1D_jS1E_S1E_jjS1G_bEUljE0_EEESZ_S10_S11_S18_S1C_S1E_T6_T7_T9_mT8_S1G_bDpT10_ENKUlT_T0_E_clISt17integral_constantIbLb0EES1U_EEDaS1P_S1Q_EUlS1P_E_NS1_11comp_targetILNS1_3genE5ELNS1_11target_archE942ELNS1_3gpuE9ELNS1_3repE0EEENS1_30default_config_static_selectorELNS0_4arch9wavefront6targetE0EEEvS12_: ; @_ZN7rocprim17ROCPRIM_400000_NS6detail17trampoline_kernelINS0_13select_configILj256ELj13ELNS0_17block_load_methodE3ELS4_3ELS4_3ELNS0_20block_scan_algorithmE0ELj4294967295EEENS1_25partition_config_selectorILNS1_17partition_subalgoE4EjNS0_10empty_typeEbEEZZNS1_14partition_implILS8_4ELb0ES6_15HIP_vector_typeIjLj2EENS0_17counting_iteratorIjlEEPS9_SG_NS0_5tupleIJPjSI_NS0_16reverse_iteratorISI_EEEEENSH_IJSG_SG_SG_EEES9_SI_JZNS1_25segmented_radix_sort_implINS0_14default_configELb1EPKbPbPKlPlN2at6native12_GLOBAL__N_18offset_tEEE10hipError_tPvRmT1_PNSt15iterator_traitsIS12_E10value_typeET2_T3_PNS13_IS18_E10value_typeET4_jRbjT5_S1E_jjP12ihipStream_tbEUljE_ZNSN_ISO_Lb1ESQ_SR_ST_SU_SY_EESZ_S10_S11_S12_S16_S17_S18_S1B_S1C_jS1D_jS1E_S1E_jjS1G_bEUljE0_EEESZ_S10_S11_S18_S1C_S1E_T6_T7_T9_mT8_S1G_bDpT10_ENKUlT_T0_E_clISt17integral_constantIbLb0EES1U_EEDaS1P_S1Q_EUlS1P_E_NS1_11comp_targetILNS1_3genE5ELNS1_11target_archE942ELNS1_3gpuE9ELNS1_3repE0EEENS1_30default_config_static_selectorELNS0_4arch9wavefront6targetE0EEEvS12_
; %bb.0:
	.section	.rodata,"a",@progbits
	.p2align	6, 0x0
	.amdhsa_kernel _ZN7rocprim17ROCPRIM_400000_NS6detail17trampoline_kernelINS0_13select_configILj256ELj13ELNS0_17block_load_methodE3ELS4_3ELS4_3ELNS0_20block_scan_algorithmE0ELj4294967295EEENS1_25partition_config_selectorILNS1_17partition_subalgoE4EjNS0_10empty_typeEbEEZZNS1_14partition_implILS8_4ELb0ES6_15HIP_vector_typeIjLj2EENS0_17counting_iteratorIjlEEPS9_SG_NS0_5tupleIJPjSI_NS0_16reverse_iteratorISI_EEEEENSH_IJSG_SG_SG_EEES9_SI_JZNS1_25segmented_radix_sort_implINS0_14default_configELb1EPKbPbPKlPlN2at6native12_GLOBAL__N_18offset_tEEE10hipError_tPvRmT1_PNSt15iterator_traitsIS12_E10value_typeET2_T3_PNS13_IS18_E10value_typeET4_jRbjT5_S1E_jjP12ihipStream_tbEUljE_ZNSN_ISO_Lb1ESQ_SR_ST_SU_SY_EESZ_S10_S11_S12_S16_S17_S18_S1B_S1C_jS1D_jS1E_S1E_jjS1G_bEUljE0_EEESZ_S10_S11_S18_S1C_S1E_T6_T7_T9_mT8_S1G_bDpT10_ENKUlT_T0_E_clISt17integral_constantIbLb0EES1U_EEDaS1P_S1Q_EUlS1P_E_NS1_11comp_targetILNS1_3genE5ELNS1_11target_archE942ELNS1_3gpuE9ELNS1_3repE0EEENS1_30default_config_static_selectorELNS0_4arch9wavefront6targetE0EEEvS12_
		.amdhsa_group_segment_fixed_size 0
		.amdhsa_private_segment_fixed_size 0
		.amdhsa_kernarg_size 176
		.amdhsa_user_sgpr_count 2
		.amdhsa_user_sgpr_dispatch_ptr 0
		.amdhsa_user_sgpr_queue_ptr 0
		.amdhsa_user_sgpr_kernarg_segment_ptr 1
		.amdhsa_user_sgpr_dispatch_id 0
		.amdhsa_user_sgpr_private_segment_size 0
		.amdhsa_wavefront_size32 1
		.amdhsa_uses_dynamic_stack 0
		.amdhsa_enable_private_segment 0
		.amdhsa_system_sgpr_workgroup_id_x 1
		.amdhsa_system_sgpr_workgroup_id_y 0
		.amdhsa_system_sgpr_workgroup_id_z 0
		.amdhsa_system_sgpr_workgroup_info 0
		.amdhsa_system_vgpr_workitem_id 0
		.amdhsa_next_free_vgpr 1
		.amdhsa_next_free_sgpr 1
		.amdhsa_reserve_vcc 0
		.amdhsa_float_round_mode_32 0
		.amdhsa_float_round_mode_16_64 0
		.amdhsa_float_denorm_mode_32 3
		.amdhsa_float_denorm_mode_16_64 3
		.amdhsa_fp16_overflow 0
		.amdhsa_workgroup_processor_mode 1
		.amdhsa_memory_ordered 1
		.amdhsa_forward_progress 1
		.amdhsa_inst_pref_size 0
		.amdhsa_round_robin_scheduling 0
		.amdhsa_exception_fp_ieee_invalid_op 0
		.amdhsa_exception_fp_denorm_src 0
		.amdhsa_exception_fp_ieee_div_zero 0
		.amdhsa_exception_fp_ieee_overflow 0
		.amdhsa_exception_fp_ieee_underflow 0
		.amdhsa_exception_fp_ieee_inexact 0
		.amdhsa_exception_int_div_zero 0
	.end_amdhsa_kernel
	.section	.text._ZN7rocprim17ROCPRIM_400000_NS6detail17trampoline_kernelINS0_13select_configILj256ELj13ELNS0_17block_load_methodE3ELS4_3ELS4_3ELNS0_20block_scan_algorithmE0ELj4294967295EEENS1_25partition_config_selectorILNS1_17partition_subalgoE4EjNS0_10empty_typeEbEEZZNS1_14partition_implILS8_4ELb0ES6_15HIP_vector_typeIjLj2EENS0_17counting_iteratorIjlEEPS9_SG_NS0_5tupleIJPjSI_NS0_16reverse_iteratorISI_EEEEENSH_IJSG_SG_SG_EEES9_SI_JZNS1_25segmented_radix_sort_implINS0_14default_configELb1EPKbPbPKlPlN2at6native12_GLOBAL__N_18offset_tEEE10hipError_tPvRmT1_PNSt15iterator_traitsIS12_E10value_typeET2_T3_PNS13_IS18_E10value_typeET4_jRbjT5_S1E_jjP12ihipStream_tbEUljE_ZNSN_ISO_Lb1ESQ_SR_ST_SU_SY_EESZ_S10_S11_S12_S16_S17_S18_S1B_S1C_jS1D_jS1E_S1E_jjS1G_bEUljE0_EEESZ_S10_S11_S18_S1C_S1E_T6_T7_T9_mT8_S1G_bDpT10_ENKUlT_T0_E_clISt17integral_constantIbLb0EES1U_EEDaS1P_S1Q_EUlS1P_E_NS1_11comp_targetILNS1_3genE5ELNS1_11target_archE942ELNS1_3gpuE9ELNS1_3repE0EEENS1_30default_config_static_selectorELNS0_4arch9wavefront6targetE0EEEvS12_,"axG",@progbits,_ZN7rocprim17ROCPRIM_400000_NS6detail17trampoline_kernelINS0_13select_configILj256ELj13ELNS0_17block_load_methodE3ELS4_3ELS4_3ELNS0_20block_scan_algorithmE0ELj4294967295EEENS1_25partition_config_selectorILNS1_17partition_subalgoE4EjNS0_10empty_typeEbEEZZNS1_14partition_implILS8_4ELb0ES6_15HIP_vector_typeIjLj2EENS0_17counting_iteratorIjlEEPS9_SG_NS0_5tupleIJPjSI_NS0_16reverse_iteratorISI_EEEEENSH_IJSG_SG_SG_EEES9_SI_JZNS1_25segmented_radix_sort_implINS0_14default_configELb1EPKbPbPKlPlN2at6native12_GLOBAL__N_18offset_tEEE10hipError_tPvRmT1_PNSt15iterator_traitsIS12_E10value_typeET2_T3_PNS13_IS18_E10value_typeET4_jRbjT5_S1E_jjP12ihipStream_tbEUljE_ZNSN_ISO_Lb1ESQ_SR_ST_SU_SY_EESZ_S10_S11_S12_S16_S17_S18_S1B_S1C_jS1D_jS1E_S1E_jjS1G_bEUljE0_EEESZ_S10_S11_S18_S1C_S1E_T6_T7_T9_mT8_S1G_bDpT10_ENKUlT_T0_E_clISt17integral_constantIbLb0EES1U_EEDaS1P_S1Q_EUlS1P_E_NS1_11comp_targetILNS1_3genE5ELNS1_11target_archE942ELNS1_3gpuE9ELNS1_3repE0EEENS1_30default_config_static_selectorELNS0_4arch9wavefront6targetE0EEEvS12_,comdat
.Lfunc_end1469:
	.size	_ZN7rocprim17ROCPRIM_400000_NS6detail17trampoline_kernelINS0_13select_configILj256ELj13ELNS0_17block_load_methodE3ELS4_3ELS4_3ELNS0_20block_scan_algorithmE0ELj4294967295EEENS1_25partition_config_selectorILNS1_17partition_subalgoE4EjNS0_10empty_typeEbEEZZNS1_14partition_implILS8_4ELb0ES6_15HIP_vector_typeIjLj2EENS0_17counting_iteratorIjlEEPS9_SG_NS0_5tupleIJPjSI_NS0_16reverse_iteratorISI_EEEEENSH_IJSG_SG_SG_EEES9_SI_JZNS1_25segmented_radix_sort_implINS0_14default_configELb1EPKbPbPKlPlN2at6native12_GLOBAL__N_18offset_tEEE10hipError_tPvRmT1_PNSt15iterator_traitsIS12_E10value_typeET2_T3_PNS13_IS18_E10value_typeET4_jRbjT5_S1E_jjP12ihipStream_tbEUljE_ZNSN_ISO_Lb1ESQ_SR_ST_SU_SY_EESZ_S10_S11_S12_S16_S17_S18_S1B_S1C_jS1D_jS1E_S1E_jjS1G_bEUljE0_EEESZ_S10_S11_S18_S1C_S1E_T6_T7_T9_mT8_S1G_bDpT10_ENKUlT_T0_E_clISt17integral_constantIbLb0EES1U_EEDaS1P_S1Q_EUlS1P_E_NS1_11comp_targetILNS1_3genE5ELNS1_11target_archE942ELNS1_3gpuE9ELNS1_3repE0EEENS1_30default_config_static_selectorELNS0_4arch9wavefront6targetE0EEEvS12_, .Lfunc_end1469-_ZN7rocprim17ROCPRIM_400000_NS6detail17trampoline_kernelINS0_13select_configILj256ELj13ELNS0_17block_load_methodE3ELS4_3ELS4_3ELNS0_20block_scan_algorithmE0ELj4294967295EEENS1_25partition_config_selectorILNS1_17partition_subalgoE4EjNS0_10empty_typeEbEEZZNS1_14partition_implILS8_4ELb0ES6_15HIP_vector_typeIjLj2EENS0_17counting_iteratorIjlEEPS9_SG_NS0_5tupleIJPjSI_NS0_16reverse_iteratorISI_EEEEENSH_IJSG_SG_SG_EEES9_SI_JZNS1_25segmented_radix_sort_implINS0_14default_configELb1EPKbPbPKlPlN2at6native12_GLOBAL__N_18offset_tEEE10hipError_tPvRmT1_PNSt15iterator_traitsIS12_E10value_typeET2_T3_PNS13_IS18_E10value_typeET4_jRbjT5_S1E_jjP12ihipStream_tbEUljE_ZNSN_ISO_Lb1ESQ_SR_ST_SU_SY_EESZ_S10_S11_S12_S16_S17_S18_S1B_S1C_jS1D_jS1E_S1E_jjS1G_bEUljE0_EEESZ_S10_S11_S18_S1C_S1E_T6_T7_T9_mT8_S1G_bDpT10_ENKUlT_T0_E_clISt17integral_constantIbLb0EES1U_EEDaS1P_S1Q_EUlS1P_E_NS1_11comp_targetILNS1_3genE5ELNS1_11target_archE942ELNS1_3gpuE9ELNS1_3repE0EEENS1_30default_config_static_selectorELNS0_4arch9wavefront6targetE0EEEvS12_
                                        ; -- End function
	.set _ZN7rocprim17ROCPRIM_400000_NS6detail17trampoline_kernelINS0_13select_configILj256ELj13ELNS0_17block_load_methodE3ELS4_3ELS4_3ELNS0_20block_scan_algorithmE0ELj4294967295EEENS1_25partition_config_selectorILNS1_17partition_subalgoE4EjNS0_10empty_typeEbEEZZNS1_14partition_implILS8_4ELb0ES6_15HIP_vector_typeIjLj2EENS0_17counting_iteratorIjlEEPS9_SG_NS0_5tupleIJPjSI_NS0_16reverse_iteratorISI_EEEEENSH_IJSG_SG_SG_EEES9_SI_JZNS1_25segmented_radix_sort_implINS0_14default_configELb1EPKbPbPKlPlN2at6native12_GLOBAL__N_18offset_tEEE10hipError_tPvRmT1_PNSt15iterator_traitsIS12_E10value_typeET2_T3_PNS13_IS18_E10value_typeET4_jRbjT5_S1E_jjP12ihipStream_tbEUljE_ZNSN_ISO_Lb1ESQ_SR_ST_SU_SY_EESZ_S10_S11_S12_S16_S17_S18_S1B_S1C_jS1D_jS1E_S1E_jjS1G_bEUljE0_EEESZ_S10_S11_S18_S1C_S1E_T6_T7_T9_mT8_S1G_bDpT10_ENKUlT_T0_E_clISt17integral_constantIbLb0EES1U_EEDaS1P_S1Q_EUlS1P_E_NS1_11comp_targetILNS1_3genE5ELNS1_11target_archE942ELNS1_3gpuE9ELNS1_3repE0EEENS1_30default_config_static_selectorELNS0_4arch9wavefront6targetE0EEEvS12_.num_vgpr, 0
	.set _ZN7rocprim17ROCPRIM_400000_NS6detail17trampoline_kernelINS0_13select_configILj256ELj13ELNS0_17block_load_methodE3ELS4_3ELS4_3ELNS0_20block_scan_algorithmE0ELj4294967295EEENS1_25partition_config_selectorILNS1_17partition_subalgoE4EjNS0_10empty_typeEbEEZZNS1_14partition_implILS8_4ELb0ES6_15HIP_vector_typeIjLj2EENS0_17counting_iteratorIjlEEPS9_SG_NS0_5tupleIJPjSI_NS0_16reverse_iteratorISI_EEEEENSH_IJSG_SG_SG_EEES9_SI_JZNS1_25segmented_radix_sort_implINS0_14default_configELb1EPKbPbPKlPlN2at6native12_GLOBAL__N_18offset_tEEE10hipError_tPvRmT1_PNSt15iterator_traitsIS12_E10value_typeET2_T3_PNS13_IS18_E10value_typeET4_jRbjT5_S1E_jjP12ihipStream_tbEUljE_ZNSN_ISO_Lb1ESQ_SR_ST_SU_SY_EESZ_S10_S11_S12_S16_S17_S18_S1B_S1C_jS1D_jS1E_S1E_jjS1G_bEUljE0_EEESZ_S10_S11_S18_S1C_S1E_T6_T7_T9_mT8_S1G_bDpT10_ENKUlT_T0_E_clISt17integral_constantIbLb0EES1U_EEDaS1P_S1Q_EUlS1P_E_NS1_11comp_targetILNS1_3genE5ELNS1_11target_archE942ELNS1_3gpuE9ELNS1_3repE0EEENS1_30default_config_static_selectorELNS0_4arch9wavefront6targetE0EEEvS12_.num_agpr, 0
	.set _ZN7rocprim17ROCPRIM_400000_NS6detail17trampoline_kernelINS0_13select_configILj256ELj13ELNS0_17block_load_methodE3ELS4_3ELS4_3ELNS0_20block_scan_algorithmE0ELj4294967295EEENS1_25partition_config_selectorILNS1_17partition_subalgoE4EjNS0_10empty_typeEbEEZZNS1_14partition_implILS8_4ELb0ES6_15HIP_vector_typeIjLj2EENS0_17counting_iteratorIjlEEPS9_SG_NS0_5tupleIJPjSI_NS0_16reverse_iteratorISI_EEEEENSH_IJSG_SG_SG_EEES9_SI_JZNS1_25segmented_radix_sort_implINS0_14default_configELb1EPKbPbPKlPlN2at6native12_GLOBAL__N_18offset_tEEE10hipError_tPvRmT1_PNSt15iterator_traitsIS12_E10value_typeET2_T3_PNS13_IS18_E10value_typeET4_jRbjT5_S1E_jjP12ihipStream_tbEUljE_ZNSN_ISO_Lb1ESQ_SR_ST_SU_SY_EESZ_S10_S11_S12_S16_S17_S18_S1B_S1C_jS1D_jS1E_S1E_jjS1G_bEUljE0_EEESZ_S10_S11_S18_S1C_S1E_T6_T7_T9_mT8_S1G_bDpT10_ENKUlT_T0_E_clISt17integral_constantIbLb0EES1U_EEDaS1P_S1Q_EUlS1P_E_NS1_11comp_targetILNS1_3genE5ELNS1_11target_archE942ELNS1_3gpuE9ELNS1_3repE0EEENS1_30default_config_static_selectorELNS0_4arch9wavefront6targetE0EEEvS12_.numbered_sgpr, 0
	.set _ZN7rocprim17ROCPRIM_400000_NS6detail17trampoline_kernelINS0_13select_configILj256ELj13ELNS0_17block_load_methodE3ELS4_3ELS4_3ELNS0_20block_scan_algorithmE0ELj4294967295EEENS1_25partition_config_selectorILNS1_17partition_subalgoE4EjNS0_10empty_typeEbEEZZNS1_14partition_implILS8_4ELb0ES6_15HIP_vector_typeIjLj2EENS0_17counting_iteratorIjlEEPS9_SG_NS0_5tupleIJPjSI_NS0_16reverse_iteratorISI_EEEEENSH_IJSG_SG_SG_EEES9_SI_JZNS1_25segmented_radix_sort_implINS0_14default_configELb1EPKbPbPKlPlN2at6native12_GLOBAL__N_18offset_tEEE10hipError_tPvRmT1_PNSt15iterator_traitsIS12_E10value_typeET2_T3_PNS13_IS18_E10value_typeET4_jRbjT5_S1E_jjP12ihipStream_tbEUljE_ZNSN_ISO_Lb1ESQ_SR_ST_SU_SY_EESZ_S10_S11_S12_S16_S17_S18_S1B_S1C_jS1D_jS1E_S1E_jjS1G_bEUljE0_EEESZ_S10_S11_S18_S1C_S1E_T6_T7_T9_mT8_S1G_bDpT10_ENKUlT_T0_E_clISt17integral_constantIbLb0EES1U_EEDaS1P_S1Q_EUlS1P_E_NS1_11comp_targetILNS1_3genE5ELNS1_11target_archE942ELNS1_3gpuE9ELNS1_3repE0EEENS1_30default_config_static_selectorELNS0_4arch9wavefront6targetE0EEEvS12_.num_named_barrier, 0
	.set _ZN7rocprim17ROCPRIM_400000_NS6detail17trampoline_kernelINS0_13select_configILj256ELj13ELNS0_17block_load_methodE3ELS4_3ELS4_3ELNS0_20block_scan_algorithmE0ELj4294967295EEENS1_25partition_config_selectorILNS1_17partition_subalgoE4EjNS0_10empty_typeEbEEZZNS1_14partition_implILS8_4ELb0ES6_15HIP_vector_typeIjLj2EENS0_17counting_iteratorIjlEEPS9_SG_NS0_5tupleIJPjSI_NS0_16reverse_iteratorISI_EEEEENSH_IJSG_SG_SG_EEES9_SI_JZNS1_25segmented_radix_sort_implINS0_14default_configELb1EPKbPbPKlPlN2at6native12_GLOBAL__N_18offset_tEEE10hipError_tPvRmT1_PNSt15iterator_traitsIS12_E10value_typeET2_T3_PNS13_IS18_E10value_typeET4_jRbjT5_S1E_jjP12ihipStream_tbEUljE_ZNSN_ISO_Lb1ESQ_SR_ST_SU_SY_EESZ_S10_S11_S12_S16_S17_S18_S1B_S1C_jS1D_jS1E_S1E_jjS1G_bEUljE0_EEESZ_S10_S11_S18_S1C_S1E_T6_T7_T9_mT8_S1G_bDpT10_ENKUlT_T0_E_clISt17integral_constantIbLb0EES1U_EEDaS1P_S1Q_EUlS1P_E_NS1_11comp_targetILNS1_3genE5ELNS1_11target_archE942ELNS1_3gpuE9ELNS1_3repE0EEENS1_30default_config_static_selectorELNS0_4arch9wavefront6targetE0EEEvS12_.private_seg_size, 0
	.set _ZN7rocprim17ROCPRIM_400000_NS6detail17trampoline_kernelINS0_13select_configILj256ELj13ELNS0_17block_load_methodE3ELS4_3ELS4_3ELNS0_20block_scan_algorithmE0ELj4294967295EEENS1_25partition_config_selectorILNS1_17partition_subalgoE4EjNS0_10empty_typeEbEEZZNS1_14partition_implILS8_4ELb0ES6_15HIP_vector_typeIjLj2EENS0_17counting_iteratorIjlEEPS9_SG_NS0_5tupleIJPjSI_NS0_16reverse_iteratorISI_EEEEENSH_IJSG_SG_SG_EEES9_SI_JZNS1_25segmented_radix_sort_implINS0_14default_configELb1EPKbPbPKlPlN2at6native12_GLOBAL__N_18offset_tEEE10hipError_tPvRmT1_PNSt15iterator_traitsIS12_E10value_typeET2_T3_PNS13_IS18_E10value_typeET4_jRbjT5_S1E_jjP12ihipStream_tbEUljE_ZNSN_ISO_Lb1ESQ_SR_ST_SU_SY_EESZ_S10_S11_S12_S16_S17_S18_S1B_S1C_jS1D_jS1E_S1E_jjS1G_bEUljE0_EEESZ_S10_S11_S18_S1C_S1E_T6_T7_T9_mT8_S1G_bDpT10_ENKUlT_T0_E_clISt17integral_constantIbLb0EES1U_EEDaS1P_S1Q_EUlS1P_E_NS1_11comp_targetILNS1_3genE5ELNS1_11target_archE942ELNS1_3gpuE9ELNS1_3repE0EEENS1_30default_config_static_selectorELNS0_4arch9wavefront6targetE0EEEvS12_.uses_vcc, 0
	.set _ZN7rocprim17ROCPRIM_400000_NS6detail17trampoline_kernelINS0_13select_configILj256ELj13ELNS0_17block_load_methodE3ELS4_3ELS4_3ELNS0_20block_scan_algorithmE0ELj4294967295EEENS1_25partition_config_selectorILNS1_17partition_subalgoE4EjNS0_10empty_typeEbEEZZNS1_14partition_implILS8_4ELb0ES6_15HIP_vector_typeIjLj2EENS0_17counting_iteratorIjlEEPS9_SG_NS0_5tupleIJPjSI_NS0_16reverse_iteratorISI_EEEEENSH_IJSG_SG_SG_EEES9_SI_JZNS1_25segmented_radix_sort_implINS0_14default_configELb1EPKbPbPKlPlN2at6native12_GLOBAL__N_18offset_tEEE10hipError_tPvRmT1_PNSt15iterator_traitsIS12_E10value_typeET2_T3_PNS13_IS18_E10value_typeET4_jRbjT5_S1E_jjP12ihipStream_tbEUljE_ZNSN_ISO_Lb1ESQ_SR_ST_SU_SY_EESZ_S10_S11_S12_S16_S17_S18_S1B_S1C_jS1D_jS1E_S1E_jjS1G_bEUljE0_EEESZ_S10_S11_S18_S1C_S1E_T6_T7_T9_mT8_S1G_bDpT10_ENKUlT_T0_E_clISt17integral_constantIbLb0EES1U_EEDaS1P_S1Q_EUlS1P_E_NS1_11comp_targetILNS1_3genE5ELNS1_11target_archE942ELNS1_3gpuE9ELNS1_3repE0EEENS1_30default_config_static_selectorELNS0_4arch9wavefront6targetE0EEEvS12_.uses_flat_scratch, 0
	.set _ZN7rocprim17ROCPRIM_400000_NS6detail17trampoline_kernelINS0_13select_configILj256ELj13ELNS0_17block_load_methodE3ELS4_3ELS4_3ELNS0_20block_scan_algorithmE0ELj4294967295EEENS1_25partition_config_selectorILNS1_17partition_subalgoE4EjNS0_10empty_typeEbEEZZNS1_14partition_implILS8_4ELb0ES6_15HIP_vector_typeIjLj2EENS0_17counting_iteratorIjlEEPS9_SG_NS0_5tupleIJPjSI_NS0_16reverse_iteratorISI_EEEEENSH_IJSG_SG_SG_EEES9_SI_JZNS1_25segmented_radix_sort_implINS0_14default_configELb1EPKbPbPKlPlN2at6native12_GLOBAL__N_18offset_tEEE10hipError_tPvRmT1_PNSt15iterator_traitsIS12_E10value_typeET2_T3_PNS13_IS18_E10value_typeET4_jRbjT5_S1E_jjP12ihipStream_tbEUljE_ZNSN_ISO_Lb1ESQ_SR_ST_SU_SY_EESZ_S10_S11_S12_S16_S17_S18_S1B_S1C_jS1D_jS1E_S1E_jjS1G_bEUljE0_EEESZ_S10_S11_S18_S1C_S1E_T6_T7_T9_mT8_S1G_bDpT10_ENKUlT_T0_E_clISt17integral_constantIbLb0EES1U_EEDaS1P_S1Q_EUlS1P_E_NS1_11comp_targetILNS1_3genE5ELNS1_11target_archE942ELNS1_3gpuE9ELNS1_3repE0EEENS1_30default_config_static_selectorELNS0_4arch9wavefront6targetE0EEEvS12_.has_dyn_sized_stack, 0
	.set _ZN7rocprim17ROCPRIM_400000_NS6detail17trampoline_kernelINS0_13select_configILj256ELj13ELNS0_17block_load_methodE3ELS4_3ELS4_3ELNS0_20block_scan_algorithmE0ELj4294967295EEENS1_25partition_config_selectorILNS1_17partition_subalgoE4EjNS0_10empty_typeEbEEZZNS1_14partition_implILS8_4ELb0ES6_15HIP_vector_typeIjLj2EENS0_17counting_iteratorIjlEEPS9_SG_NS0_5tupleIJPjSI_NS0_16reverse_iteratorISI_EEEEENSH_IJSG_SG_SG_EEES9_SI_JZNS1_25segmented_radix_sort_implINS0_14default_configELb1EPKbPbPKlPlN2at6native12_GLOBAL__N_18offset_tEEE10hipError_tPvRmT1_PNSt15iterator_traitsIS12_E10value_typeET2_T3_PNS13_IS18_E10value_typeET4_jRbjT5_S1E_jjP12ihipStream_tbEUljE_ZNSN_ISO_Lb1ESQ_SR_ST_SU_SY_EESZ_S10_S11_S12_S16_S17_S18_S1B_S1C_jS1D_jS1E_S1E_jjS1G_bEUljE0_EEESZ_S10_S11_S18_S1C_S1E_T6_T7_T9_mT8_S1G_bDpT10_ENKUlT_T0_E_clISt17integral_constantIbLb0EES1U_EEDaS1P_S1Q_EUlS1P_E_NS1_11comp_targetILNS1_3genE5ELNS1_11target_archE942ELNS1_3gpuE9ELNS1_3repE0EEENS1_30default_config_static_selectorELNS0_4arch9wavefront6targetE0EEEvS12_.has_recursion, 0
	.set _ZN7rocprim17ROCPRIM_400000_NS6detail17trampoline_kernelINS0_13select_configILj256ELj13ELNS0_17block_load_methodE3ELS4_3ELS4_3ELNS0_20block_scan_algorithmE0ELj4294967295EEENS1_25partition_config_selectorILNS1_17partition_subalgoE4EjNS0_10empty_typeEbEEZZNS1_14partition_implILS8_4ELb0ES6_15HIP_vector_typeIjLj2EENS0_17counting_iteratorIjlEEPS9_SG_NS0_5tupleIJPjSI_NS0_16reverse_iteratorISI_EEEEENSH_IJSG_SG_SG_EEES9_SI_JZNS1_25segmented_radix_sort_implINS0_14default_configELb1EPKbPbPKlPlN2at6native12_GLOBAL__N_18offset_tEEE10hipError_tPvRmT1_PNSt15iterator_traitsIS12_E10value_typeET2_T3_PNS13_IS18_E10value_typeET4_jRbjT5_S1E_jjP12ihipStream_tbEUljE_ZNSN_ISO_Lb1ESQ_SR_ST_SU_SY_EESZ_S10_S11_S12_S16_S17_S18_S1B_S1C_jS1D_jS1E_S1E_jjS1G_bEUljE0_EEESZ_S10_S11_S18_S1C_S1E_T6_T7_T9_mT8_S1G_bDpT10_ENKUlT_T0_E_clISt17integral_constantIbLb0EES1U_EEDaS1P_S1Q_EUlS1P_E_NS1_11comp_targetILNS1_3genE5ELNS1_11target_archE942ELNS1_3gpuE9ELNS1_3repE0EEENS1_30default_config_static_selectorELNS0_4arch9wavefront6targetE0EEEvS12_.has_indirect_call, 0
	.section	.AMDGPU.csdata,"",@progbits
; Kernel info:
; codeLenInByte = 0
; TotalNumSgprs: 0
; NumVgprs: 0
; ScratchSize: 0
; MemoryBound: 0
; FloatMode: 240
; IeeeMode: 1
; LDSByteSize: 0 bytes/workgroup (compile time only)
; SGPRBlocks: 0
; VGPRBlocks: 0
; NumSGPRsForWavesPerEU: 1
; NumVGPRsForWavesPerEU: 1
; Occupancy: 16
; WaveLimiterHint : 0
; COMPUTE_PGM_RSRC2:SCRATCH_EN: 0
; COMPUTE_PGM_RSRC2:USER_SGPR: 2
; COMPUTE_PGM_RSRC2:TRAP_HANDLER: 0
; COMPUTE_PGM_RSRC2:TGID_X_EN: 1
; COMPUTE_PGM_RSRC2:TGID_Y_EN: 0
; COMPUTE_PGM_RSRC2:TGID_Z_EN: 0
; COMPUTE_PGM_RSRC2:TIDIG_COMP_CNT: 0
	.section	.text._ZN7rocprim17ROCPRIM_400000_NS6detail17trampoline_kernelINS0_13select_configILj256ELj13ELNS0_17block_load_methodE3ELS4_3ELS4_3ELNS0_20block_scan_algorithmE0ELj4294967295EEENS1_25partition_config_selectorILNS1_17partition_subalgoE4EjNS0_10empty_typeEbEEZZNS1_14partition_implILS8_4ELb0ES6_15HIP_vector_typeIjLj2EENS0_17counting_iteratorIjlEEPS9_SG_NS0_5tupleIJPjSI_NS0_16reverse_iteratorISI_EEEEENSH_IJSG_SG_SG_EEES9_SI_JZNS1_25segmented_radix_sort_implINS0_14default_configELb1EPKbPbPKlPlN2at6native12_GLOBAL__N_18offset_tEEE10hipError_tPvRmT1_PNSt15iterator_traitsIS12_E10value_typeET2_T3_PNS13_IS18_E10value_typeET4_jRbjT5_S1E_jjP12ihipStream_tbEUljE_ZNSN_ISO_Lb1ESQ_SR_ST_SU_SY_EESZ_S10_S11_S12_S16_S17_S18_S1B_S1C_jS1D_jS1E_S1E_jjS1G_bEUljE0_EEESZ_S10_S11_S18_S1C_S1E_T6_T7_T9_mT8_S1G_bDpT10_ENKUlT_T0_E_clISt17integral_constantIbLb0EES1U_EEDaS1P_S1Q_EUlS1P_E_NS1_11comp_targetILNS1_3genE4ELNS1_11target_archE910ELNS1_3gpuE8ELNS1_3repE0EEENS1_30default_config_static_selectorELNS0_4arch9wavefront6targetE0EEEvS12_,"axG",@progbits,_ZN7rocprim17ROCPRIM_400000_NS6detail17trampoline_kernelINS0_13select_configILj256ELj13ELNS0_17block_load_methodE3ELS4_3ELS4_3ELNS0_20block_scan_algorithmE0ELj4294967295EEENS1_25partition_config_selectorILNS1_17partition_subalgoE4EjNS0_10empty_typeEbEEZZNS1_14partition_implILS8_4ELb0ES6_15HIP_vector_typeIjLj2EENS0_17counting_iteratorIjlEEPS9_SG_NS0_5tupleIJPjSI_NS0_16reverse_iteratorISI_EEEEENSH_IJSG_SG_SG_EEES9_SI_JZNS1_25segmented_radix_sort_implINS0_14default_configELb1EPKbPbPKlPlN2at6native12_GLOBAL__N_18offset_tEEE10hipError_tPvRmT1_PNSt15iterator_traitsIS12_E10value_typeET2_T3_PNS13_IS18_E10value_typeET4_jRbjT5_S1E_jjP12ihipStream_tbEUljE_ZNSN_ISO_Lb1ESQ_SR_ST_SU_SY_EESZ_S10_S11_S12_S16_S17_S18_S1B_S1C_jS1D_jS1E_S1E_jjS1G_bEUljE0_EEESZ_S10_S11_S18_S1C_S1E_T6_T7_T9_mT8_S1G_bDpT10_ENKUlT_T0_E_clISt17integral_constantIbLb0EES1U_EEDaS1P_S1Q_EUlS1P_E_NS1_11comp_targetILNS1_3genE4ELNS1_11target_archE910ELNS1_3gpuE8ELNS1_3repE0EEENS1_30default_config_static_selectorELNS0_4arch9wavefront6targetE0EEEvS12_,comdat
	.globl	_ZN7rocprim17ROCPRIM_400000_NS6detail17trampoline_kernelINS0_13select_configILj256ELj13ELNS0_17block_load_methodE3ELS4_3ELS4_3ELNS0_20block_scan_algorithmE0ELj4294967295EEENS1_25partition_config_selectorILNS1_17partition_subalgoE4EjNS0_10empty_typeEbEEZZNS1_14partition_implILS8_4ELb0ES6_15HIP_vector_typeIjLj2EENS0_17counting_iteratorIjlEEPS9_SG_NS0_5tupleIJPjSI_NS0_16reverse_iteratorISI_EEEEENSH_IJSG_SG_SG_EEES9_SI_JZNS1_25segmented_radix_sort_implINS0_14default_configELb1EPKbPbPKlPlN2at6native12_GLOBAL__N_18offset_tEEE10hipError_tPvRmT1_PNSt15iterator_traitsIS12_E10value_typeET2_T3_PNS13_IS18_E10value_typeET4_jRbjT5_S1E_jjP12ihipStream_tbEUljE_ZNSN_ISO_Lb1ESQ_SR_ST_SU_SY_EESZ_S10_S11_S12_S16_S17_S18_S1B_S1C_jS1D_jS1E_S1E_jjS1G_bEUljE0_EEESZ_S10_S11_S18_S1C_S1E_T6_T7_T9_mT8_S1G_bDpT10_ENKUlT_T0_E_clISt17integral_constantIbLb0EES1U_EEDaS1P_S1Q_EUlS1P_E_NS1_11comp_targetILNS1_3genE4ELNS1_11target_archE910ELNS1_3gpuE8ELNS1_3repE0EEENS1_30default_config_static_selectorELNS0_4arch9wavefront6targetE0EEEvS12_ ; -- Begin function _ZN7rocprim17ROCPRIM_400000_NS6detail17trampoline_kernelINS0_13select_configILj256ELj13ELNS0_17block_load_methodE3ELS4_3ELS4_3ELNS0_20block_scan_algorithmE0ELj4294967295EEENS1_25partition_config_selectorILNS1_17partition_subalgoE4EjNS0_10empty_typeEbEEZZNS1_14partition_implILS8_4ELb0ES6_15HIP_vector_typeIjLj2EENS0_17counting_iteratorIjlEEPS9_SG_NS0_5tupleIJPjSI_NS0_16reverse_iteratorISI_EEEEENSH_IJSG_SG_SG_EEES9_SI_JZNS1_25segmented_radix_sort_implINS0_14default_configELb1EPKbPbPKlPlN2at6native12_GLOBAL__N_18offset_tEEE10hipError_tPvRmT1_PNSt15iterator_traitsIS12_E10value_typeET2_T3_PNS13_IS18_E10value_typeET4_jRbjT5_S1E_jjP12ihipStream_tbEUljE_ZNSN_ISO_Lb1ESQ_SR_ST_SU_SY_EESZ_S10_S11_S12_S16_S17_S18_S1B_S1C_jS1D_jS1E_S1E_jjS1G_bEUljE0_EEESZ_S10_S11_S18_S1C_S1E_T6_T7_T9_mT8_S1G_bDpT10_ENKUlT_T0_E_clISt17integral_constantIbLb0EES1U_EEDaS1P_S1Q_EUlS1P_E_NS1_11comp_targetILNS1_3genE4ELNS1_11target_archE910ELNS1_3gpuE8ELNS1_3repE0EEENS1_30default_config_static_selectorELNS0_4arch9wavefront6targetE0EEEvS12_
	.p2align	8
	.type	_ZN7rocprim17ROCPRIM_400000_NS6detail17trampoline_kernelINS0_13select_configILj256ELj13ELNS0_17block_load_methodE3ELS4_3ELS4_3ELNS0_20block_scan_algorithmE0ELj4294967295EEENS1_25partition_config_selectorILNS1_17partition_subalgoE4EjNS0_10empty_typeEbEEZZNS1_14partition_implILS8_4ELb0ES6_15HIP_vector_typeIjLj2EENS0_17counting_iteratorIjlEEPS9_SG_NS0_5tupleIJPjSI_NS0_16reverse_iteratorISI_EEEEENSH_IJSG_SG_SG_EEES9_SI_JZNS1_25segmented_radix_sort_implINS0_14default_configELb1EPKbPbPKlPlN2at6native12_GLOBAL__N_18offset_tEEE10hipError_tPvRmT1_PNSt15iterator_traitsIS12_E10value_typeET2_T3_PNS13_IS18_E10value_typeET4_jRbjT5_S1E_jjP12ihipStream_tbEUljE_ZNSN_ISO_Lb1ESQ_SR_ST_SU_SY_EESZ_S10_S11_S12_S16_S17_S18_S1B_S1C_jS1D_jS1E_S1E_jjS1G_bEUljE0_EEESZ_S10_S11_S18_S1C_S1E_T6_T7_T9_mT8_S1G_bDpT10_ENKUlT_T0_E_clISt17integral_constantIbLb0EES1U_EEDaS1P_S1Q_EUlS1P_E_NS1_11comp_targetILNS1_3genE4ELNS1_11target_archE910ELNS1_3gpuE8ELNS1_3repE0EEENS1_30default_config_static_selectorELNS0_4arch9wavefront6targetE0EEEvS12_,@function
_ZN7rocprim17ROCPRIM_400000_NS6detail17trampoline_kernelINS0_13select_configILj256ELj13ELNS0_17block_load_methodE3ELS4_3ELS4_3ELNS0_20block_scan_algorithmE0ELj4294967295EEENS1_25partition_config_selectorILNS1_17partition_subalgoE4EjNS0_10empty_typeEbEEZZNS1_14partition_implILS8_4ELb0ES6_15HIP_vector_typeIjLj2EENS0_17counting_iteratorIjlEEPS9_SG_NS0_5tupleIJPjSI_NS0_16reverse_iteratorISI_EEEEENSH_IJSG_SG_SG_EEES9_SI_JZNS1_25segmented_radix_sort_implINS0_14default_configELb1EPKbPbPKlPlN2at6native12_GLOBAL__N_18offset_tEEE10hipError_tPvRmT1_PNSt15iterator_traitsIS12_E10value_typeET2_T3_PNS13_IS18_E10value_typeET4_jRbjT5_S1E_jjP12ihipStream_tbEUljE_ZNSN_ISO_Lb1ESQ_SR_ST_SU_SY_EESZ_S10_S11_S12_S16_S17_S18_S1B_S1C_jS1D_jS1E_S1E_jjS1G_bEUljE0_EEESZ_S10_S11_S18_S1C_S1E_T6_T7_T9_mT8_S1G_bDpT10_ENKUlT_T0_E_clISt17integral_constantIbLb0EES1U_EEDaS1P_S1Q_EUlS1P_E_NS1_11comp_targetILNS1_3genE4ELNS1_11target_archE910ELNS1_3gpuE8ELNS1_3repE0EEENS1_30default_config_static_selectorELNS0_4arch9wavefront6targetE0EEEvS12_: ; @_ZN7rocprim17ROCPRIM_400000_NS6detail17trampoline_kernelINS0_13select_configILj256ELj13ELNS0_17block_load_methodE3ELS4_3ELS4_3ELNS0_20block_scan_algorithmE0ELj4294967295EEENS1_25partition_config_selectorILNS1_17partition_subalgoE4EjNS0_10empty_typeEbEEZZNS1_14partition_implILS8_4ELb0ES6_15HIP_vector_typeIjLj2EENS0_17counting_iteratorIjlEEPS9_SG_NS0_5tupleIJPjSI_NS0_16reverse_iteratorISI_EEEEENSH_IJSG_SG_SG_EEES9_SI_JZNS1_25segmented_radix_sort_implINS0_14default_configELb1EPKbPbPKlPlN2at6native12_GLOBAL__N_18offset_tEEE10hipError_tPvRmT1_PNSt15iterator_traitsIS12_E10value_typeET2_T3_PNS13_IS18_E10value_typeET4_jRbjT5_S1E_jjP12ihipStream_tbEUljE_ZNSN_ISO_Lb1ESQ_SR_ST_SU_SY_EESZ_S10_S11_S12_S16_S17_S18_S1B_S1C_jS1D_jS1E_S1E_jjS1G_bEUljE0_EEESZ_S10_S11_S18_S1C_S1E_T6_T7_T9_mT8_S1G_bDpT10_ENKUlT_T0_E_clISt17integral_constantIbLb0EES1U_EEDaS1P_S1Q_EUlS1P_E_NS1_11comp_targetILNS1_3genE4ELNS1_11target_archE910ELNS1_3gpuE8ELNS1_3repE0EEENS1_30default_config_static_selectorELNS0_4arch9wavefront6targetE0EEEvS12_
; %bb.0:
	.section	.rodata,"a",@progbits
	.p2align	6, 0x0
	.amdhsa_kernel _ZN7rocprim17ROCPRIM_400000_NS6detail17trampoline_kernelINS0_13select_configILj256ELj13ELNS0_17block_load_methodE3ELS4_3ELS4_3ELNS0_20block_scan_algorithmE0ELj4294967295EEENS1_25partition_config_selectorILNS1_17partition_subalgoE4EjNS0_10empty_typeEbEEZZNS1_14partition_implILS8_4ELb0ES6_15HIP_vector_typeIjLj2EENS0_17counting_iteratorIjlEEPS9_SG_NS0_5tupleIJPjSI_NS0_16reverse_iteratorISI_EEEEENSH_IJSG_SG_SG_EEES9_SI_JZNS1_25segmented_radix_sort_implINS0_14default_configELb1EPKbPbPKlPlN2at6native12_GLOBAL__N_18offset_tEEE10hipError_tPvRmT1_PNSt15iterator_traitsIS12_E10value_typeET2_T3_PNS13_IS18_E10value_typeET4_jRbjT5_S1E_jjP12ihipStream_tbEUljE_ZNSN_ISO_Lb1ESQ_SR_ST_SU_SY_EESZ_S10_S11_S12_S16_S17_S18_S1B_S1C_jS1D_jS1E_S1E_jjS1G_bEUljE0_EEESZ_S10_S11_S18_S1C_S1E_T6_T7_T9_mT8_S1G_bDpT10_ENKUlT_T0_E_clISt17integral_constantIbLb0EES1U_EEDaS1P_S1Q_EUlS1P_E_NS1_11comp_targetILNS1_3genE4ELNS1_11target_archE910ELNS1_3gpuE8ELNS1_3repE0EEENS1_30default_config_static_selectorELNS0_4arch9wavefront6targetE0EEEvS12_
		.amdhsa_group_segment_fixed_size 0
		.amdhsa_private_segment_fixed_size 0
		.amdhsa_kernarg_size 176
		.amdhsa_user_sgpr_count 2
		.amdhsa_user_sgpr_dispatch_ptr 0
		.amdhsa_user_sgpr_queue_ptr 0
		.amdhsa_user_sgpr_kernarg_segment_ptr 1
		.amdhsa_user_sgpr_dispatch_id 0
		.amdhsa_user_sgpr_private_segment_size 0
		.amdhsa_wavefront_size32 1
		.amdhsa_uses_dynamic_stack 0
		.amdhsa_enable_private_segment 0
		.amdhsa_system_sgpr_workgroup_id_x 1
		.amdhsa_system_sgpr_workgroup_id_y 0
		.amdhsa_system_sgpr_workgroup_id_z 0
		.amdhsa_system_sgpr_workgroup_info 0
		.amdhsa_system_vgpr_workitem_id 0
		.amdhsa_next_free_vgpr 1
		.amdhsa_next_free_sgpr 1
		.amdhsa_reserve_vcc 0
		.amdhsa_float_round_mode_32 0
		.amdhsa_float_round_mode_16_64 0
		.amdhsa_float_denorm_mode_32 3
		.amdhsa_float_denorm_mode_16_64 3
		.amdhsa_fp16_overflow 0
		.amdhsa_workgroup_processor_mode 1
		.amdhsa_memory_ordered 1
		.amdhsa_forward_progress 1
		.amdhsa_inst_pref_size 0
		.amdhsa_round_robin_scheduling 0
		.amdhsa_exception_fp_ieee_invalid_op 0
		.amdhsa_exception_fp_denorm_src 0
		.amdhsa_exception_fp_ieee_div_zero 0
		.amdhsa_exception_fp_ieee_overflow 0
		.amdhsa_exception_fp_ieee_underflow 0
		.amdhsa_exception_fp_ieee_inexact 0
		.amdhsa_exception_int_div_zero 0
	.end_amdhsa_kernel
	.section	.text._ZN7rocprim17ROCPRIM_400000_NS6detail17trampoline_kernelINS0_13select_configILj256ELj13ELNS0_17block_load_methodE3ELS4_3ELS4_3ELNS0_20block_scan_algorithmE0ELj4294967295EEENS1_25partition_config_selectorILNS1_17partition_subalgoE4EjNS0_10empty_typeEbEEZZNS1_14partition_implILS8_4ELb0ES6_15HIP_vector_typeIjLj2EENS0_17counting_iteratorIjlEEPS9_SG_NS0_5tupleIJPjSI_NS0_16reverse_iteratorISI_EEEEENSH_IJSG_SG_SG_EEES9_SI_JZNS1_25segmented_radix_sort_implINS0_14default_configELb1EPKbPbPKlPlN2at6native12_GLOBAL__N_18offset_tEEE10hipError_tPvRmT1_PNSt15iterator_traitsIS12_E10value_typeET2_T3_PNS13_IS18_E10value_typeET4_jRbjT5_S1E_jjP12ihipStream_tbEUljE_ZNSN_ISO_Lb1ESQ_SR_ST_SU_SY_EESZ_S10_S11_S12_S16_S17_S18_S1B_S1C_jS1D_jS1E_S1E_jjS1G_bEUljE0_EEESZ_S10_S11_S18_S1C_S1E_T6_T7_T9_mT8_S1G_bDpT10_ENKUlT_T0_E_clISt17integral_constantIbLb0EES1U_EEDaS1P_S1Q_EUlS1P_E_NS1_11comp_targetILNS1_3genE4ELNS1_11target_archE910ELNS1_3gpuE8ELNS1_3repE0EEENS1_30default_config_static_selectorELNS0_4arch9wavefront6targetE0EEEvS12_,"axG",@progbits,_ZN7rocprim17ROCPRIM_400000_NS6detail17trampoline_kernelINS0_13select_configILj256ELj13ELNS0_17block_load_methodE3ELS4_3ELS4_3ELNS0_20block_scan_algorithmE0ELj4294967295EEENS1_25partition_config_selectorILNS1_17partition_subalgoE4EjNS0_10empty_typeEbEEZZNS1_14partition_implILS8_4ELb0ES6_15HIP_vector_typeIjLj2EENS0_17counting_iteratorIjlEEPS9_SG_NS0_5tupleIJPjSI_NS0_16reverse_iteratorISI_EEEEENSH_IJSG_SG_SG_EEES9_SI_JZNS1_25segmented_radix_sort_implINS0_14default_configELb1EPKbPbPKlPlN2at6native12_GLOBAL__N_18offset_tEEE10hipError_tPvRmT1_PNSt15iterator_traitsIS12_E10value_typeET2_T3_PNS13_IS18_E10value_typeET4_jRbjT5_S1E_jjP12ihipStream_tbEUljE_ZNSN_ISO_Lb1ESQ_SR_ST_SU_SY_EESZ_S10_S11_S12_S16_S17_S18_S1B_S1C_jS1D_jS1E_S1E_jjS1G_bEUljE0_EEESZ_S10_S11_S18_S1C_S1E_T6_T7_T9_mT8_S1G_bDpT10_ENKUlT_T0_E_clISt17integral_constantIbLb0EES1U_EEDaS1P_S1Q_EUlS1P_E_NS1_11comp_targetILNS1_3genE4ELNS1_11target_archE910ELNS1_3gpuE8ELNS1_3repE0EEENS1_30default_config_static_selectorELNS0_4arch9wavefront6targetE0EEEvS12_,comdat
.Lfunc_end1470:
	.size	_ZN7rocprim17ROCPRIM_400000_NS6detail17trampoline_kernelINS0_13select_configILj256ELj13ELNS0_17block_load_methodE3ELS4_3ELS4_3ELNS0_20block_scan_algorithmE0ELj4294967295EEENS1_25partition_config_selectorILNS1_17partition_subalgoE4EjNS0_10empty_typeEbEEZZNS1_14partition_implILS8_4ELb0ES6_15HIP_vector_typeIjLj2EENS0_17counting_iteratorIjlEEPS9_SG_NS0_5tupleIJPjSI_NS0_16reverse_iteratorISI_EEEEENSH_IJSG_SG_SG_EEES9_SI_JZNS1_25segmented_radix_sort_implINS0_14default_configELb1EPKbPbPKlPlN2at6native12_GLOBAL__N_18offset_tEEE10hipError_tPvRmT1_PNSt15iterator_traitsIS12_E10value_typeET2_T3_PNS13_IS18_E10value_typeET4_jRbjT5_S1E_jjP12ihipStream_tbEUljE_ZNSN_ISO_Lb1ESQ_SR_ST_SU_SY_EESZ_S10_S11_S12_S16_S17_S18_S1B_S1C_jS1D_jS1E_S1E_jjS1G_bEUljE0_EEESZ_S10_S11_S18_S1C_S1E_T6_T7_T9_mT8_S1G_bDpT10_ENKUlT_T0_E_clISt17integral_constantIbLb0EES1U_EEDaS1P_S1Q_EUlS1P_E_NS1_11comp_targetILNS1_3genE4ELNS1_11target_archE910ELNS1_3gpuE8ELNS1_3repE0EEENS1_30default_config_static_selectorELNS0_4arch9wavefront6targetE0EEEvS12_, .Lfunc_end1470-_ZN7rocprim17ROCPRIM_400000_NS6detail17trampoline_kernelINS0_13select_configILj256ELj13ELNS0_17block_load_methodE3ELS4_3ELS4_3ELNS0_20block_scan_algorithmE0ELj4294967295EEENS1_25partition_config_selectorILNS1_17partition_subalgoE4EjNS0_10empty_typeEbEEZZNS1_14partition_implILS8_4ELb0ES6_15HIP_vector_typeIjLj2EENS0_17counting_iteratorIjlEEPS9_SG_NS0_5tupleIJPjSI_NS0_16reverse_iteratorISI_EEEEENSH_IJSG_SG_SG_EEES9_SI_JZNS1_25segmented_radix_sort_implINS0_14default_configELb1EPKbPbPKlPlN2at6native12_GLOBAL__N_18offset_tEEE10hipError_tPvRmT1_PNSt15iterator_traitsIS12_E10value_typeET2_T3_PNS13_IS18_E10value_typeET4_jRbjT5_S1E_jjP12ihipStream_tbEUljE_ZNSN_ISO_Lb1ESQ_SR_ST_SU_SY_EESZ_S10_S11_S12_S16_S17_S18_S1B_S1C_jS1D_jS1E_S1E_jjS1G_bEUljE0_EEESZ_S10_S11_S18_S1C_S1E_T6_T7_T9_mT8_S1G_bDpT10_ENKUlT_T0_E_clISt17integral_constantIbLb0EES1U_EEDaS1P_S1Q_EUlS1P_E_NS1_11comp_targetILNS1_3genE4ELNS1_11target_archE910ELNS1_3gpuE8ELNS1_3repE0EEENS1_30default_config_static_selectorELNS0_4arch9wavefront6targetE0EEEvS12_
                                        ; -- End function
	.set _ZN7rocprim17ROCPRIM_400000_NS6detail17trampoline_kernelINS0_13select_configILj256ELj13ELNS0_17block_load_methodE3ELS4_3ELS4_3ELNS0_20block_scan_algorithmE0ELj4294967295EEENS1_25partition_config_selectorILNS1_17partition_subalgoE4EjNS0_10empty_typeEbEEZZNS1_14partition_implILS8_4ELb0ES6_15HIP_vector_typeIjLj2EENS0_17counting_iteratorIjlEEPS9_SG_NS0_5tupleIJPjSI_NS0_16reverse_iteratorISI_EEEEENSH_IJSG_SG_SG_EEES9_SI_JZNS1_25segmented_radix_sort_implINS0_14default_configELb1EPKbPbPKlPlN2at6native12_GLOBAL__N_18offset_tEEE10hipError_tPvRmT1_PNSt15iterator_traitsIS12_E10value_typeET2_T3_PNS13_IS18_E10value_typeET4_jRbjT5_S1E_jjP12ihipStream_tbEUljE_ZNSN_ISO_Lb1ESQ_SR_ST_SU_SY_EESZ_S10_S11_S12_S16_S17_S18_S1B_S1C_jS1D_jS1E_S1E_jjS1G_bEUljE0_EEESZ_S10_S11_S18_S1C_S1E_T6_T7_T9_mT8_S1G_bDpT10_ENKUlT_T0_E_clISt17integral_constantIbLb0EES1U_EEDaS1P_S1Q_EUlS1P_E_NS1_11comp_targetILNS1_3genE4ELNS1_11target_archE910ELNS1_3gpuE8ELNS1_3repE0EEENS1_30default_config_static_selectorELNS0_4arch9wavefront6targetE0EEEvS12_.num_vgpr, 0
	.set _ZN7rocprim17ROCPRIM_400000_NS6detail17trampoline_kernelINS0_13select_configILj256ELj13ELNS0_17block_load_methodE3ELS4_3ELS4_3ELNS0_20block_scan_algorithmE0ELj4294967295EEENS1_25partition_config_selectorILNS1_17partition_subalgoE4EjNS0_10empty_typeEbEEZZNS1_14partition_implILS8_4ELb0ES6_15HIP_vector_typeIjLj2EENS0_17counting_iteratorIjlEEPS9_SG_NS0_5tupleIJPjSI_NS0_16reverse_iteratorISI_EEEEENSH_IJSG_SG_SG_EEES9_SI_JZNS1_25segmented_radix_sort_implINS0_14default_configELb1EPKbPbPKlPlN2at6native12_GLOBAL__N_18offset_tEEE10hipError_tPvRmT1_PNSt15iterator_traitsIS12_E10value_typeET2_T3_PNS13_IS18_E10value_typeET4_jRbjT5_S1E_jjP12ihipStream_tbEUljE_ZNSN_ISO_Lb1ESQ_SR_ST_SU_SY_EESZ_S10_S11_S12_S16_S17_S18_S1B_S1C_jS1D_jS1E_S1E_jjS1G_bEUljE0_EEESZ_S10_S11_S18_S1C_S1E_T6_T7_T9_mT8_S1G_bDpT10_ENKUlT_T0_E_clISt17integral_constantIbLb0EES1U_EEDaS1P_S1Q_EUlS1P_E_NS1_11comp_targetILNS1_3genE4ELNS1_11target_archE910ELNS1_3gpuE8ELNS1_3repE0EEENS1_30default_config_static_selectorELNS0_4arch9wavefront6targetE0EEEvS12_.num_agpr, 0
	.set _ZN7rocprim17ROCPRIM_400000_NS6detail17trampoline_kernelINS0_13select_configILj256ELj13ELNS0_17block_load_methodE3ELS4_3ELS4_3ELNS0_20block_scan_algorithmE0ELj4294967295EEENS1_25partition_config_selectorILNS1_17partition_subalgoE4EjNS0_10empty_typeEbEEZZNS1_14partition_implILS8_4ELb0ES6_15HIP_vector_typeIjLj2EENS0_17counting_iteratorIjlEEPS9_SG_NS0_5tupleIJPjSI_NS0_16reverse_iteratorISI_EEEEENSH_IJSG_SG_SG_EEES9_SI_JZNS1_25segmented_radix_sort_implINS0_14default_configELb1EPKbPbPKlPlN2at6native12_GLOBAL__N_18offset_tEEE10hipError_tPvRmT1_PNSt15iterator_traitsIS12_E10value_typeET2_T3_PNS13_IS18_E10value_typeET4_jRbjT5_S1E_jjP12ihipStream_tbEUljE_ZNSN_ISO_Lb1ESQ_SR_ST_SU_SY_EESZ_S10_S11_S12_S16_S17_S18_S1B_S1C_jS1D_jS1E_S1E_jjS1G_bEUljE0_EEESZ_S10_S11_S18_S1C_S1E_T6_T7_T9_mT8_S1G_bDpT10_ENKUlT_T0_E_clISt17integral_constantIbLb0EES1U_EEDaS1P_S1Q_EUlS1P_E_NS1_11comp_targetILNS1_3genE4ELNS1_11target_archE910ELNS1_3gpuE8ELNS1_3repE0EEENS1_30default_config_static_selectorELNS0_4arch9wavefront6targetE0EEEvS12_.numbered_sgpr, 0
	.set _ZN7rocprim17ROCPRIM_400000_NS6detail17trampoline_kernelINS0_13select_configILj256ELj13ELNS0_17block_load_methodE3ELS4_3ELS4_3ELNS0_20block_scan_algorithmE0ELj4294967295EEENS1_25partition_config_selectorILNS1_17partition_subalgoE4EjNS0_10empty_typeEbEEZZNS1_14partition_implILS8_4ELb0ES6_15HIP_vector_typeIjLj2EENS0_17counting_iteratorIjlEEPS9_SG_NS0_5tupleIJPjSI_NS0_16reverse_iteratorISI_EEEEENSH_IJSG_SG_SG_EEES9_SI_JZNS1_25segmented_radix_sort_implINS0_14default_configELb1EPKbPbPKlPlN2at6native12_GLOBAL__N_18offset_tEEE10hipError_tPvRmT1_PNSt15iterator_traitsIS12_E10value_typeET2_T3_PNS13_IS18_E10value_typeET4_jRbjT5_S1E_jjP12ihipStream_tbEUljE_ZNSN_ISO_Lb1ESQ_SR_ST_SU_SY_EESZ_S10_S11_S12_S16_S17_S18_S1B_S1C_jS1D_jS1E_S1E_jjS1G_bEUljE0_EEESZ_S10_S11_S18_S1C_S1E_T6_T7_T9_mT8_S1G_bDpT10_ENKUlT_T0_E_clISt17integral_constantIbLb0EES1U_EEDaS1P_S1Q_EUlS1P_E_NS1_11comp_targetILNS1_3genE4ELNS1_11target_archE910ELNS1_3gpuE8ELNS1_3repE0EEENS1_30default_config_static_selectorELNS0_4arch9wavefront6targetE0EEEvS12_.num_named_barrier, 0
	.set _ZN7rocprim17ROCPRIM_400000_NS6detail17trampoline_kernelINS0_13select_configILj256ELj13ELNS0_17block_load_methodE3ELS4_3ELS4_3ELNS0_20block_scan_algorithmE0ELj4294967295EEENS1_25partition_config_selectorILNS1_17partition_subalgoE4EjNS0_10empty_typeEbEEZZNS1_14partition_implILS8_4ELb0ES6_15HIP_vector_typeIjLj2EENS0_17counting_iteratorIjlEEPS9_SG_NS0_5tupleIJPjSI_NS0_16reverse_iteratorISI_EEEEENSH_IJSG_SG_SG_EEES9_SI_JZNS1_25segmented_radix_sort_implINS0_14default_configELb1EPKbPbPKlPlN2at6native12_GLOBAL__N_18offset_tEEE10hipError_tPvRmT1_PNSt15iterator_traitsIS12_E10value_typeET2_T3_PNS13_IS18_E10value_typeET4_jRbjT5_S1E_jjP12ihipStream_tbEUljE_ZNSN_ISO_Lb1ESQ_SR_ST_SU_SY_EESZ_S10_S11_S12_S16_S17_S18_S1B_S1C_jS1D_jS1E_S1E_jjS1G_bEUljE0_EEESZ_S10_S11_S18_S1C_S1E_T6_T7_T9_mT8_S1G_bDpT10_ENKUlT_T0_E_clISt17integral_constantIbLb0EES1U_EEDaS1P_S1Q_EUlS1P_E_NS1_11comp_targetILNS1_3genE4ELNS1_11target_archE910ELNS1_3gpuE8ELNS1_3repE0EEENS1_30default_config_static_selectorELNS0_4arch9wavefront6targetE0EEEvS12_.private_seg_size, 0
	.set _ZN7rocprim17ROCPRIM_400000_NS6detail17trampoline_kernelINS0_13select_configILj256ELj13ELNS0_17block_load_methodE3ELS4_3ELS4_3ELNS0_20block_scan_algorithmE0ELj4294967295EEENS1_25partition_config_selectorILNS1_17partition_subalgoE4EjNS0_10empty_typeEbEEZZNS1_14partition_implILS8_4ELb0ES6_15HIP_vector_typeIjLj2EENS0_17counting_iteratorIjlEEPS9_SG_NS0_5tupleIJPjSI_NS0_16reverse_iteratorISI_EEEEENSH_IJSG_SG_SG_EEES9_SI_JZNS1_25segmented_radix_sort_implINS0_14default_configELb1EPKbPbPKlPlN2at6native12_GLOBAL__N_18offset_tEEE10hipError_tPvRmT1_PNSt15iterator_traitsIS12_E10value_typeET2_T3_PNS13_IS18_E10value_typeET4_jRbjT5_S1E_jjP12ihipStream_tbEUljE_ZNSN_ISO_Lb1ESQ_SR_ST_SU_SY_EESZ_S10_S11_S12_S16_S17_S18_S1B_S1C_jS1D_jS1E_S1E_jjS1G_bEUljE0_EEESZ_S10_S11_S18_S1C_S1E_T6_T7_T9_mT8_S1G_bDpT10_ENKUlT_T0_E_clISt17integral_constantIbLb0EES1U_EEDaS1P_S1Q_EUlS1P_E_NS1_11comp_targetILNS1_3genE4ELNS1_11target_archE910ELNS1_3gpuE8ELNS1_3repE0EEENS1_30default_config_static_selectorELNS0_4arch9wavefront6targetE0EEEvS12_.uses_vcc, 0
	.set _ZN7rocprim17ROCPRIM_400000_NS6detail17trampoline_kernelINS0_13select_configILj256ELj13ELNS0_17block_load_methodE3ELS4_3ELS4_3ELNS0_20block_scan_algorithmE0ELj4294967295EEENS1_25partition_config_selectorILNS1_17partition_subalgoE4EjNS0_10empty_typeEbEEZZNS1_14partition_implILS8_4ELb0ES6_15HIP_vector_typeIjLj2EENS0_17counting_iteratorIjlEEPS9_SG_NS0_5tupleIJPjSI_NS0_16reverse_iteratorISI_EEEEENSH_IJSG_SG_SG_EEES9_SI_JZNS1_25segmented_radix_sort_implINS0_14default_configELb1EPKbPbPKlPlN2at6native12_GLOBAL__N_18offset_tEEE10hipError_tPvRmT1_PNSt15iterator_traitsIS12_E10value_typeET2_T3_PNS13_IS18_E10value_typeET4_jRbjT5_S1E_jjP12ihipStream_tbEUljE_ZNSN_ISO_Lb1ESQ_SR_ST_SU_SY_EESZ_S10_S11_S12_S16_S17_S18_S1B_S1C_jS1D_jS1E_S1E_jjS1G_bEUljE0_EEESZ_S10_S11_S18_S1C_S1E_T6_T7_T9_mT8_S1G_bDpT10_ENKUlT_T0_E_clISt17integral_constantIbLb0EES1U_EEDaS1P_S1Q_EUlS1P_E_NS1_11comp_targetILNS1_3genE4ELNS1_11target_archE910ELNS1_3gpuE8ELNS1_3repE0EEENS1_30default_config_static_selectorELNS0_4arch9wavefront6targetE0EEEvS12_.uses_flat_scratch, 0
	.set _ZN7rocprim17ROCPRIM_400000_NS6detail17trampoline_kernelINS0_13select_configILj256ELj13ELNS0_17block_load_methodE3ELS4_3ELS4_3ELNS0_20block_scan_algorithmE0ELj4294967295EEENS1_25partition_config_selectorILNS1_17partition_subalgoE4EjNS0_10empty_typeEbEEZZNS1_14partition_implILS8_4ELb0ES6_15HIP_vector_typeIjLj2EENS0_17counting_iteratorIjlEEPS9_SG_NS0_5tupleIJPjSI_NS0_16reverse_iteratorISI_EEEEENSH_IJSG_SG_SG_EEES9_SI_JZNS1_25segmented_radix_sort_implINS0_14default_configELb1EPKbPbPKlPlN2at6native12_GLOBAL__N_18offset_tEEE10hipError_tPvRmT1_PNSt15iterator_traitsIS12_E10value_typeET2_T3_PNS13_IS18_E10value_typeET4_jRbjT5_S1E_jjP12ihipStream_tbEUljE_ZNSN_ISO_Lb1ESQ_SR_ST_SU_SY_EESZ_S10_S11_S12_S16_S17_S18_S1B_S1C_jS1D_jS1E_S1E_jjS1G_bEUljE0_EEESZ_S10_S11_S18_S1C_S1E_T6_T7_T9_mT8_S1G_bDpT10_ENKUlT_T0_E_clISt17integral_constantIbLb0EES1U_EEDaS1P_S1Q_EUlS1P_E_NS1_11comp_targetILNS1_3genE4ELNS1_11target_archE910ELNS1_3gpuE8ELNS1_3repE0EEENS1_30default_config_static_selectorELNS0_4arch9wavefront6targetE0EEEvS12_.has_dyn_sized_stack, 0
	.set _ZN7rocprim17ROCPRIM_400000_NS6detail17trampoline_kernelINS0_13select_configILj256ELj13ELNS0_17block_load_methodE3ELS4_3ELS4_3ELNS0_20block_scan_algorithmE0ELj4294967295EEENS1_25partition_config_selectorILNS1_17partition_subalgoE4EjNS0_10empty_typeEbEEZZNS1_14partition_implILS8_4ELb0ES6_15HIP_vector_typeIjLj2EENS0_17counting_iteratorIjlEEPS9_SG_NS0_5tupleIJPjSI_NS0_16reverse_iteratorISI_EEEEENSH_IJSG_SG_SG_EEES9_SI_JZNS1_25segmented_radix_sort_implINS0_14default_configELb1EPKbPbPKlPlN2at6native12_GLOBAL__N_18offset_tEEE10hipError_tPvRmT1_PNSt15iterator_traitsIS12_E10value_typeET2_T3_PNS13_IS18_E10value_typeET4_jRbjT5_S1E_jjP12ihipStream_tbEUljE_ZNSN_ISO_Lb1ESQ_SR_ST_SU_SY_EESZ_S10_S11_S12_S16_S17_S18_S1B_S1C_jS1D_jS1E_S1E_jjS1G_bEUljE0_EEESZ_S10_S11_S18_S1C_S1E_T6_T7_T9_mT8_S1G_bDpT10_ENKUlT_T0_E_clISt17integral_constantIbLb0EES1U_EEDaS1P_S1Q_EUlS1P_E_NS1_11comp_targetILNS1_3genE4ELNS1_11target_archE910ELNS1_3gpuE8ELNS1_3repE0EEENS1_30default_config_static_selectorELNS0_4arch9wavefront6targetE0EEEvS12_.has_recursion, 0
	.set _ZN7rocprim17ROCPRIM_400000_NS6detail17trampoline_kernelINS0_13select_configILj256ELj13ELNS0_17block_load_methodE3ELS4_3ELS4_3ELNS0_20block_scan_algorithmE0ELj4294967295EEENS1_25partition_config_selectorILNS1_17partition_subalgoE4EjNS0_10empty_typeEbEEZZNS1_14partition_implILS8_4ELb0ES6_15HIP_vector_typeIjLj2EENS0_17counting_iteratorIjlEEPS9_SG_NS0_5tupleIJPjSI_NS0_16reverse_iteratorISI_EEEEENSH_IJSG_SG_SG_EEES9_SI_JZNS1_25segmented_radix_sort_implINS0_14default_configELb1EPKbPbPKlPlN2at6native12_GLOBAL__N_18offset_tEEE10hipError_tPvRmT1_PNSt15iterator_traitsIS12_E10value_typeET2_T3_PNS13_IS18_E10value_typeET4_jRbjT5_S1E_jjP12ihipStream_tbEUljE_ZNSN_ISO_Lb1ESQ_SR_ST_SU_SY_EESZ_S10_S11_S12_S16_S17_S18_S1B_S1C_jS1D_jS1E_S1E_jjS1G_bEUljE0_EEESZ_S10_S11_S18_S1C_S1E_T6_T7_T9_mT8_S1G_bDpT10_ENKUlT_T0_E_clISt17integral_constantIbLb0EES1U_EEDaS1P_S1Q_EUlS1P_E_NS1_11comp_targetILNS1_3genE4ELNS1_11target_archE910ELNS1_3gpuE8ELNS1_3repE0EEENS1_30default_config_static_selectorELNS0_4arch9wavefront6targetE0EEEvS12_.has_indirect_call, 0
	.section	.AMDGPU.csdata,"",@progbits
; Kernel info:
; codeLenInByte = 0
; TotalNumSgprs: 0
; NumVgprs: 0
; ScratchSize: 0
; MemoryBound: 0
; FloatMode: 240
; IeeeMode: 1
; LDSByteSize: 0 bytes/workgroup (compile time only)
; SGPRBlocks: 0
; VGPRBlocks: 0
; NumSGPRsForWavesPerEU: 1
; NumVGPRsForWavesPerEU: 1
; Occupancy: 16
; WaveLimiterHint : 0
; COMPUTE_PGM_RSRC2:SCRATCH_EN: 0
; COMPUTE_PGM_RSRC2:USER_SGPR: 2
; COMPUTE_PGM_RSRC2:TRAP_HANDLER: 0
; COMPUTE_PGM_RSRC2:TGID_X_EN: 1
; COMPUTE_PGM_RSRC2:TGID_Y_EN: 0
; COMPUTE_PGM_RSRC2:TGID_Z_EN: 0
; COMPUTE_PGM_RSRC2:TIDIG_COMP_CNT: 0
	.section	.text._ZN7rocprim17ROCPRIM_400000_NS6detail17trampoline_kernelINS0_13select_configILj256ELj13ELNS0_17block_load_methodE3ELS4_3ELS4_3ELNS0_20block_scan_algorithmE0ELj4294967295EEENS1_25partition_config_selectorILNS1_17partition_subalgoE4EjNS0_10empty_typeEbEEZZNS1_14partition_implILS8_4ELb0ES6_15HIP_vector_typeIjLj2EENS0_17counting_iteratorIjlEEPS9_SG_NS0_5tupleIJPjSI_NS0_16reverse_iteratorISI_EEEEENSH_IJSG_SG_SG_EEES9_SI_JZNS1_25segmented_radix_sort_implINS0_14default_configELb1EPKbPbPKlPlN2at6native12_GLOBAL__N_18offset_tEEE10hipError_tPvRmT1_PNSt15iterator_traitsIS12_E10value_typeET2_T3_PNS13_IS18_E10value_typeET4_jRbjT5_S1E_jjP12ihipStream_tbEUljE_ZNSN_ISO_Lb1ESQ_SR_ST_SU_SY_EESZ_S10_S11_S12_S16_S17_S18_S1B_S1C_jS1D_jS1E_S1E_jjS1G_bEUljE0_EEESZ_S10_S11_S18_S1C_S1E_T6_T7_T9_mT8_S1G_bDpT10_ENKUlT_T0_E_clISt17integral_constantIbLb0EES1U_EEDaS1P_S1Q_EUlS1P_E_NS1_11comp_targetILNS1_3genE3ELNS1_11target_archE908ELNS1_3gpuE7ELNS1_3repE0EEENS1_30default_config_static_selectorELNS0_4arch9wavefront6targetE0EEEvS12_,"axG",@progbits,_ZN7rocprim17ROCPRIM_400000_NS6detail17trampoline_kernelINS0_13select_configILj256ELj13ELNS0_17block_load_methodE3ELS4_3ELS4_3ELNS0_20block_scan_algorithmE0ELj4294967295EEENS1_25partition_config_selectorILNS1_17partition_subalgoE4EjNS0_10empty_typeEbEEZZNS1_14partition_implILS8_4ELb0ES6_15HIP_vector_typeIjLj2EENS0_17counting_iteratorIjlEEPS9_SG_NS0_5tupleIJPjSI_NS0_16reverse_iteratorISI_EEEEENSH_IJSG_SG_SG_EEES9_SI_JZNS1_25segmented_radix_sort_implINS0_14default_configELb1EPKbPbPKlPlN2at6native12_GLOBAL__N_18offset_tEEE10hipError_tPvRmT1_PNSt15iterator_traitsIS12_E10value_typeET2_T3_PNS13_IS18_E10value_typeET4_jRbjT5_S1E_jjP12ihipStream_tbEUljE_ZNSN_ISO_Lb1ESQ_SR_ST_SU_SY_EESZ_S10_S11_S12_S16_S17_S18_S1B_S1C_jS1D_jS1E_S1E_jjS1G_bEUljE0_EEESZ_S10_S11_S18_S1C_S1E_T6_T7_T9_mT8_S1G_bDpT10_ENKUlT_T0_E_clISt17integral_constantIbLb0EES1U_EEDaS1P_S1Q_EUlS1P_E_NS1_11comp_targetILNS1_3genE3ELNS1_11target_archE908ELNS1_3gpuE7ELNS1_3repE0EEENS1_30default_config_static_selectorELNS0_4arch9wavefront6targetE0EEEvS12_,comdat
	.globl	_ZN7rocprim17ROCPRIM_400000_NS6detail17trampoline_kernelINS0_13select_configILj256ELj13ELNS0_17block_load_methodE3ELS4_3ELS4_3ELNS0_20block_scan_algorithmE0ELj4294967295EEENS1_25partition_config_selectorILNS1_17partition_subalgoE4EjNS0_10empty_typeEbEEZZNS1_14partition_implILS8_4ELb0ES6_15HIP_vector_typeIjLj2EENS0_17counting_iteratorIjlEEPS9_SG_NS0_5tupleIJPjSI_NS0_16reverse_iteratorISI_EEEEENSH_IJSG_SG_SG_EEES9_SI_JZNS1_25segmented_radix_sort_implINS0_14default_configELb1EPKbPbPKlPlN2at6native12_GLOBAL__N_18offset_tEEE10hipError_tPvRmT1_PNSt15iterator_traitsIS12_E10value_typeET2_T3_PNS13_IS18_E10value_typeET4_jRbjT5_S1E_jjP12ihipStream_tbEUljE_ZNSN_ISO_Lb1ESQ_SR_ST_SU_SY_EESZ_S10_S11_S12_S16_S17_S18_S1B_S1C_jS1D_jS1E_S1E_jjS1G_bEUljE0_EEESZ_S10_S11_S18_S1C_S1E_T6_T7_T9_mT8_S1G_bDpT10_ENKUlT_T0_E_clISt17integral_constantIbLb0EES1U_EEDaS1P_S1Q_EUlS1P_E_NS1_11comp_targetILNS1_3genE3ELNS1_11target_archE908ELNS1_3gpuE7ELNS1_3repE0EEENS1_30default_config_static_selectorELNS0_4arch9wavefront6targetE0EEEvS12_ ; -- Begin function _ZN7rocprim17ROCPRIM_400000_NS6detail17trampoline_kernelINS0_13select_configILj256ELj13ELNS0_17block_load_methodE3ELS4_3ELS4_3ELNS0_20block_scan_algorithmE0ELj4294967295EEENS1_25partition_config_selectorILNS1_17partition_subalgoE4EjNS0_10empty_typeEbEEZZNS1_14partition_implILS8_4ELb0ES6_15HIP_vector_typeIjLj2EENS0_17counting_iteratorIjlEEPS9_SG_NS0_5tupleIJPjSI_NS0_16reverse_iteratorISI_EEEEENSH_IJSG_SG_SG_EEES9_SI_JZNS1_25segmented_radix_sort_implINS0_14default_configELb1EPKbPbPKlPlN2at6native12_GLOBAL__N_18offset_tEEE10hipError_tPvRmT1_PNSt15iterator_traitsIS12_E10value_typeET2_T3_PNS13_IS18_E10value_typeET4_jRbjT5_S1E_jjP12ihipStream_tbEUljE_ZNSN_ISO_Lb1ESQ_SR_ST_SU_SY_EESZ_S10_S11_S12_S16_S17_S18_S1B_S1C_jS1D_jS1E_S1E_jjS1G_bEUljE0_EEESZ_S10_S11_S18_S1C_S1E_T6_T7_T9_mT8_S1G_bDpT10_ENKUlT_T0_E_clISt17integral_constantIbLb0EES1U_EEDaS1P_S1Q_EUlS1P_E_NS1_11comp_targetILNS1_3genE3ELNS1_11target_archE908ELNS1_3gpuE7ELNS1_3repE0EEENS1_30default_config_static_selectorELNS0_4arch9wavefront6targetE0EEEvS12_
	.p2align	8
	.type	_ZN7rocprim17ROCPRIM_400000_NS6detail17trampoline_kernelINS0_13select_configILj256ELj13ELNS0_17block_load_methodE3ELS4_3ELS4_3ELNS0_20block_scan_algorithmE0ELj4294967295EEENS1_25partition_config_selectorILNS1_17partition_subalgoE4EjNS0_10empty_typeEbEEZZNS1_14partition_implILS8_4ELb0ES6_15HIP_vector_typeIjLj2EENS0_17counting_iteratorIjlEEPS9_SG_NS0_5tupleIJPjSI_NS0_16reverse_iteratorISI_EEEEENSH_IJSG_SG_SG_EEES9_SI_JZNS1_25segmented_radix_sort_implINS0_14default_configELb1EPKbPbPKlPlN2at6native12_GLOBAL__N_18offset_tEEE10hipError_tPvRmT1_PNSt15iterator_traitsIS12_E10value_typeET2_T3_PNS13_IS18_E10value_typeET4_jRbjT5_S1E_jjP12ihipStream_tbEUljE_ZNSN_ISO_Lb1ESQ_SR_ST_SU_SY_EESZ_S10_S11_S12_S16_S17_S18_S1B_S1C_jS1D_jS1E_S1E_jjS1G_bEUljE0_EEESZ_S10_S11_S18_S1C_S1E_T6_T7_T9_mT8_S1G_bDpT10_ENKUlT_T0_E_clISt17integral_constantIbLb0EES1U_EEDaS1P_S1Q_EUlS1P_E_NS1_11comp_targetILNS1_3genE3ELNS1_11target_archE908ELNS1_3gpuE7ELNS1_3repE0EEENS1_30default_config_static_selectorELNS0_4arch9wavefront6targetE0EEEvS12_,@function
_ZN7rocprim17ROCPRIM_400000_NS6detail17trampoline_kernelINS0_13select_configILj256ELj13ELNS0_17block_load_methodE3ELS4_3ELS4_3ELNS0_20block_scan_algorithmE0ELj4294967295EEENS1_25partition_config_selectorILNS1_17partition_subalgoE4EjNS0_10empty_typeEbEEZZNS1_14partition_implILS8_4ELb0ES6_15HIP_vector_typeIjLj2EENS0_17counting_iteratorIjlEEPS9_SG_NS0_5tupleIJPjSI_NS0_16reverse_iteratorISI_EEEEENSH_IJSG_SG_SG_EEES9_SI_JZNS1_25segmented_radix_sort_implINS0_14default_configELb1EPKbPbPKlPlN2at6native12_GLOBAL__N_18offset_tEEE10hipError_tPvRmT1_PNSt15iterator_traitsIS12_E10value_typeET2_T3_PNS13_IS18_E10value_typeET4_jRbjT5_S1E_jjP12ihipStream_tbEUljE_ZNSN_ISO_Lb1ESQ_SR_ST_SU_SY_EESZ_S10_S11_S12_S16_S17_S18_S1B_S1C_jS1D_jS1E_S1E_jjS1G_bEUljE0_EEESZ_S10_S11_S18_S1C_S1E_T6_T7_T9_mT8_S1G_bDpT10_ENKUlT_T0_E_clISt17integral_constantIbLb0EES1U_EEDaS1P_S1Q_EUlS1P_E_NS1_11comp_targetILNS1_3genE3ELNS1_11target_archE908ELNS1_3gpuE7ELNS1_3repE0EEENS1_30default_config_static_selectorELNS0_4arch9wavefront6targetE0EEEvS12_: ; @_ZN7rocprim17ROCPRIM_400000_NS6detail17trampoline_kernelINS0_13select_configILj256ELj13ELNS0_17block_load_methodE3ELS4_3ELS4_3ELNS0_20block_scan_algorithmE0ELj4294967295EEENS1_25partition_config_selectorILNS1_17partition_subalgoE4EjNS0_10empty_typeEbEEZZNS1_14partition_implILS8_4ELb0ES6_15HIP_vector_typeIjLj2EENS0_17counting_iteratorIjlEEPS9_SG_NS0_5tupleIJPjSI_NS0_16reverse_iteratorISI_EEEEENSH_IJSG_SG_SG_EEES9_SI_JZNS1_25segmented_radix_sort_implINS0_14default_configELb1EPKbPbPKlPlN2at6native12_GLOBAL__N_18offset_tEEE10hipError_tPvRmT1_PNSt15iterator_traitsIS12_E10value_typeET2_T3_PNS13_IS18_E10value_typeET4_jRbjT5_S1E_jjP12ihipStream_tbEUljE_ZNSN_ISO_Lb1ESQ_SR_ST_SU_SY_EESZ_S10_S11_S12_S16_S17_S18_S1B_S1C_jS1D_jS1E_S1E_jjS1G_bEUljE0_EEESZ_S10_S11_S18_S1C_S1E_T6_T7_T9_mT8_S1G_bDpT10_ENKUlT_T0_E_clISt17integral_constantIbLb0EES1U_EEDaS1P_S1Q_EUlS1P_E_NS1_11comp_targetILNS1_3genE3ELNS1_11target_archE908ELNS1_3gpuE7ELNS1_3repE0EEENS1_30default_config_static_selectorELNS0_4arch9wavefront6targetE0EEEvS12_
; %bb.0:
	.section	.rodata,"a",@progbits
	.p2align	6, 0x0
	.amdhsa_kernel _ZN7rocprim17ROCPRIM_400000_NS6detail17trampoline_kernelINS0_13select_configILj256ELj13ELNS0_17block_load_methodE3ELS4_3ELS4_3ELNS0_20block_scan_algorithmE0ELj4294967295EEENS1_25partition_config_selectorILNS1_17partition_subalgoE4EjNS0_10empty_typeEbEEZZNS1_14partition_implILS8_4ELb0ES6_15HIP_vector_typeIjLj2EENS0_17counting_iteratorIjlEEPS9_SG_NS0_5tupleIJPjSI_NS0_16reverse_iteratorISI_EEEEENSH_IJSG_SG_SG_EEES9_SI_JZNS1_25segmented_radix_sort_implINS0_14default_configELb1EPKbPbPKlPlN2at6native12_GLOBAL__N_18offset_tEEE10hipError_tPvRmT1_PNSt15iterator_traitsIS12_E10value_typeET2_T3_PNS13_IS18_E10value_typeET4_jRbjT5_S1E_jjP12ihipStream_tbEUljE_ZNSN_ISO_Lb1ESQ_SR_ST_SU_SY_EESZ_S10_S11_S12_S16_S17_S18_S1B_S1C_jS1D_jS1E_S1E_jjS1G_bEUljE0_EEESZ_S10_S11_S18_S1C_S1E_T6_T7_T9_mT8_S1G_bDpT10_ENKUlT_T0_E_clISt17integral_constantIbLb0EES1U_EEDaS1P_S1Q_EUlS1P_E_NS1_11comp_targetILNS1_3genE3ELNS1_11target_archE908ELNS1_3gpuE7ELNS1_3repE0EEENS1_30default_config_static_selectorELNS0_4arch9wavefront6targetE0EEEvS12_
		.amdhsa_group_segment_fixed_size 0
		.amdhsa_private_segment_fixed_size 0
		.amdhsa_kernarg_size 176
		.amdhsa_user_sgpr_count 2
		.amdhsa_user_sgpr_dispatch_ptr 0
		.amdhsa_user_sgpr_queue_ptr 0
		.amdhsa_user_sgpr_kernarg_segment_ptr 1
		.amdhsa_user_sgpr_dispatch_id 0
		.amdhsa_user_sgpr_private_segment_size 0
		.amdhsa_wavefront_size32 1
		.amdhsa_uses_dynamic_stack 0
		.amdhsa_enable_private_segment 0
		.amdhsa_system_sgpr_workgroup_id_x 1
		.amdhsa_system_sgpr_workgroup_id_y 0
		.amdhsa_system_sgpr_workgroup_id_z 0
		.amdhsa_system_sgpr_workgroup_info 0
		.amdhsa_system_vgpr_workitem_id 0
		.amdhsa_next_free_vgpr 1
		.amdhsa_next_free_sgpr 1
		.amdhsa_reserve_vcc 0
		.amdhsa_float_round_mode_32 0
		.amdhsa_float_round_mode_16_64 0
		.amdhsa_float_denorm_mode_32 3
		.amdhsa_float_denorm_mode_16_64 3
		.amdhsa_fp16_overflow 0
		.amdhsa_workgroup_processor_mode 1
		.amdhsa_memory_ordered 1
		.amdhsa_forward_progress 1
		.amdhsa_inst_pref_size 0
		.amdhsa_round_robin_scheduling 0
		.amdhsa_exception_fp_ieee_invalid_op 0
		.amdhsa_exception_fp_denorm_src 0
		.amdhsa_exception_fp_ieee_div_zero 0
		.amdhsa_exception_fp_ieee_overflow 0
		.amdhsa_exception_fp_ieee_underflow 0
		.amdhsa_exception_fp_ieee_inexact 0
		.amdhsa_exception_int_div_zero 0
	.end_amdhsa_kernel
	.section	.text._ZN7rocprim17ROCPRIM_400000_NS6detail17trampoline_kernelINS0_13select_configILj256ELj13ELNS0_17block_load_methodE3ELS4_3ELS4_3ELNS0_20block_scan_algorithmE0ELj4294967295EEENS1_25partition_config_selectorILNS1_17partition_subalgoE4EjNS0_10empty_typeEbEEZZNS1_14partition_implILS8_4ELb0ES6_15HIP_vector_typeIjLj2EENS0_17counting_iteratorIjlEEPS9_SG_NS0_5tupleIJPjSI_NS0_16reverse_iteratorISI_EEEEENSH_IJSG_SG_SG_EEES9_SI_JZNS1_25segmented_radix_sort_implINS0_14default_configELb1EPKbPbPKlPlN2at6native12_GLOBAL__N_18offset_tEEE10hipError_tPvRmT1_PNSt15iterator_traitsIS12_E10value_typeET2_T3_PNS13_IS18_E10value_typeET4_jRbjT5_S1E_jjP12ihipStream_tbEUljE_ZNSN_ISO_Lb1ESQ_SR_ST_SU_SY_EESZ_S10_S11_S12_S16_S17_S18_S1B_S1C_jS1D_jS1E_S1E_jjS1G_bEUljE0_EEESZ_S10_S11_S18_S1C_S1E_T6_T7_T9_mT8_S1G_bDpT10_ENKUlT_T0_E_clISt17integral_constantIbLb0EES1U_EEDaS1P_S1Q_EUlS1P_E_NS1_11comp_targetILNS1_3genE3ELNS1_11target_archE908ELNS1_3gpuE7ELNS1_3repE0EEENS1_30default_config_static_selectorELNS0_4arch9wavefront6targetE0EEEvS12_,"axG",@progbits,_ZN7rocprim17ROCPRIM_400000_NS6detail17trampoline_kernelINS0_13select_configILj256ELj13ELNS0_17block_load_methodE3ELS4_3ELS4_3ELNS0_20block_scan_algorithmE0ELj4294967295EEENS1_25partition_config_selectorILNS1_17partition_subalgoE4EjNS0_10empty_typeEbEEZZNS1_14partition_implILS8_4ELb0ES6_15HIP_vector_typeIjLj2EENS0_17counting_iteratorIjlEEPS9_SG_NS0_5tupleIJPjSI_NS0_16reverse_iteratorISI_EEEEENSH_IJSG_SG_SG_EEES9_SI_JZNS1_25segmented_radix_sort_implINS0_14default_configELb1EPKbPbPKlPlN2at6native12_GLOBAL__N_18offset_tEEE10hipError_tPvRmT1_PNSt15iterator_traitsIS12_E10value_typeET2_T3_PNS13_IS18_E10value_typeET4_jRbjT5_S1E_jjP12ihipStream_tbEUljE_ZNSN_ISO_Lb1ESQ_SR_ST_SU_SY_EESZ_S10_S11_S12_S16_S17_S18_S1B_S1C_jS1D_jS1E_S1E_jjS1G_bEUljE0_EEESZ_S10_S11_S18_S1C_S1E_T6_T7_T9_mT8_S1G_bDpT10_ENKUlT_T0_E_clISt17integral_constantIbLb0EES1U_EEDaS1P_S1Q_EUlS1P_E_NS1_11comp_targetILNS1_3genE3ELNS1_11target_archE908ELNS1_3gpuE7ELNS1_3repE0EEENS1_30default_config_static_selectorELNS0_4arch9wavefront6targetE0EEEvS12_,comdat
.Lfunc_end1471:
	.size	_ZN7rocprim17ROCPRIM_400000_NS6detail17trampoline_kernelINS0_13select_configILj256ELj13ELNS0_17block_load_methodE3ELS4_3ELS4_3ELNS0_20block_scan_algorithmE0ELj4294967295EEENS1_25partition_config_selectorILNS1_17partition_subalgoE4EjNS0_10empty_typeEbEEZZNS1_14partition_implILS8_4ELb0ES6_15HIP_vector_typeIjLj2EENS0_17counting_iteratorIjlEEPS9_SG_NS0_5tupleIJPjSI_NS0_16reverse_iteratorISI_EEEEENSH_IJSG_SG_SG_EEES9_SI_JZNS1_25segmented_radix_sort_implINS0_14default_configELb1EPKbPbPKlPlN2at6native12_GLOBAL__N_18offset_tEEE10hipError_tPvRmT1_PNSt15iterator_traitsIS12_E10value_typeET2_T3_PNS13_IS18_E10value_typeET4_jRbjT5_S1E_jjP12ihipStream_tbEUljE_ZNSN_ISO_Lb1ESQ_SR_ST_SU_SY_EESZ_S10_S11_S12_S16_S17_S18_S1B_S1C_jS1D_jS1E_S1E_jjS1G_bEUljE0_EEESZ_S10_S11_S18_S1C_S1E_T6_T7_T9_mT8_S1G_bDpT10_ENKUlT_T0_E_clISt17integral_constantIbLb0EES1U_EEDaS1P_S1Q_EUlS1P_E_NS1_11comp_targetILNS1_3genE3ELNS1_11target_archE908ELNS1_3gpuE7ELNS1_3repE0EEENS1_30default_config_static_selectorELNS0_4arch9wavefront6targetE0EEEvS12_, .Lfunc_end1471-_ZN7rocprim17ROCPRIM_400000_NS6detail17trampoline_kernelINS0_13select_configILj256ELj13ELNS0_17block_load_methodE3ELS4_3ELS4_3ELNS0_20block_scan_algorithmE0ELj4294967295EEENS1_25partition_config_selectorILNS1_17partition_subalgoE4EjNS0_10empty_typeEbEEZZNS1_14partition_implILS8_4ELb0ES6_15HIP_vector_typeIjLj2EENS0_17counting_iteratorIjlEEPS9_SG_NS0_5tupleIJPjSI_NS0_16reverse_iteratorISI_EEEEENSH_IJSG_SG_SG_EEES9_SI_JZNS1_25segmented_radix_sort_implINS0_14default_configELb1EPKbPbPKlPlN2at6native12_GLOBAL__N_18offset_tEEE10hipError_tPvRmT1_PNSt15iterator_traitsIS12_E10value_typeET2_T3_PNS13_IS18_E10value_typeET4_jRbjT5_S1E_jjP12ihipStream_tbEUljE_ZNSN_ISO_Lb1ESQ_SR_ST_SU_SY_EESZ_S10_S11_S12_S16_S17_S18_S1B_S1C_jS1D_jS1E_S1E_jjS1G_bEUljE0_EEESZ_S10_S11_S18_S1C_S1E_T6_T7_T9_mT8_S1G_bDpT10_ENKUlT_T0_E_clISt17integral_constantIbLb0EES1U_EEDaS1P_S1Q_EUlS1P_E_NS1_11comp_targetILNS1_3genE3ELNS1_11target_archE908ELNS1_3gpuE7ELNS1_3repE0EEENS1_30default_config_static_selectorELNS0_4arch9wavefront6targetE0EEEvS12_
                                        ; -- End function
	.set _ZN7rocprim17ROCPRIM_400000_NS6detail17trampoline_kernelINS0_13select_configILj256ELj13ELNS0_17block_load_methodE3ELS4_3ELS4_3ELNS0_20block_scan_algorithmE0ELj4294967295EEENS1_25partition_config_selectorILNS1_17partition_subalgoE4EjNS0_10empty_typeEbEEZZNS1_14partition_implILS8_4ELb0ES6_15HIP_vector_typeIjLj2EENS0_17counting_iteratorIjlEEPS9_SG_NS0_5tupleIJPjSI_NS0_16reverse_iteratorISI_EEEEENSH_IJSG_SG_SG_EEES9_SI_JZNS1_25segmented_radix_sort_implINS0_14default_configELb1EPKbPbPKlPlN2at6native12_GLOBAL__N_18offset_tEEE10hipError_tPvRmT1_PNSt15iterator_traitsIS12_E10value_typeET2_T3_PNS13_IS18_E10value_typeET4_jRbjT5_S1E_jjP12ihipStream_tbEUljE_ZNSN_ISO_Lb1ESQ_SR_ST_SU_SY_EESZ_S10_S11_S12_S16_S17_S18_S1B_S1C_jS1D_jS1E_S1E_jjS1G_bEUljE0_EEESZ_S10_S11_S18_S1C_S1E_T6_T7_T9_mT8_S1G_bDpT10_ENKUlT_T0_E_clISt17integral_constantIbLb0EES1U_EEDaS1P_S1Q_EUlS1P_E_NS1_11comp_targetILNS1_3genE3ELNS1_11target_archE908ELNS1_3gpuE7ELNS1_3repE0EEENS1_30default_config_static_selectorELNS0_4arch9wavefront6targetE0EEEvS12_.num_vgpr, 0
	.set _ZN7rocprim17ROCPRIM_400000_NS6detail17trampoline_kernelINS0_13select_configILj256ELj13ELNS0_17block_load_methodE3ELS4_3ELS4_3ELNS0_20block_scan_algorithmE0ELj4294967295EEENS1_25partition_config_selectorILNS1_17partition_subalgoE4EjNS0_10empty_typeEbEEZZNS1_14partition_implILS8_4ELb0ES6_15HIP_vector_typeIjLj2EENS0_17counting_iteratorIjlEEPS9_SG_NS0_5tupleIJPjSI_NS0_16reverse_iteratorISI_EEEEENSH_IJSG_SG_SG_EEES9_SI_JZNS1_25segmented_radix_sort_implINS0_14default_configELb1EPKbPbPKlPlN2at6native12_GLOBAL__N_18offset_tEEE10hipError_tPvRmT1_PNSt15iterator_traitsIS12_E10value_typeET2_T3_PNS13_IS18_E10value_typeET4_jRbjT5_S1E_jjP12ihipStream_tbEUljE_ZNSN_ISO_Lb1ESQ_SR_ST_SU_SY_EESZ_S10_S11_S12_S16_S17_S18_S1B_S1C_jS1D_jS1E_S1E_jjS1G_bEUljE0_EEESZ_S10_S11_S18_S1C_S1E_T6_T7_T9_mT8_S1G_bDpT10_ENKUlT_T0_E_clISt17integral_constantIbLb0EES1U_EEDaS1P_S1Q_EUlS1P_E_NS1_11comp_targetILNS1_3genE3ELNS1_11target_archE908ELNS1_3gpuE7ELNS1_3repE0EEENS1_30default_config_static_selectorELNS0_4arch9wavefront6targetE0EEEvS12_.num_agpr, 0
	.set _ZN7rocprim17ROCPRIM_400000_NS6detail17trampoline_kernelINS0_13select_configILj256ELj13ELNS0_17block_load_methodE3ELS4_3ELS4_3ELNS0_20block_scan_algorithmE0ELj4294967295EEENS1_25partition_config_selectorILNS1_17partition_subalgoE4EjNS0_10empty_typeEbEEZZNS1_14partition_implILS8_4ELb0ES6_15HIP_vector_typeIjLj2EENS0_17counting_iteratorIjlEEPS9_SG_NS0_5tupleIJPjSI_NS0_16reverse_iteratorISI_EEEEENSH_IJSG_SG_SG_EEES9_SI_JZNS1_25segmented_radix_sort_implINS0_14default_configELb1EPKbPbPKlPlN2at6native12_GLOBAL__N_18offset_tEEE10hipError_tPvRmT1_PNSt15iterator_traitsIS12_E10value_typeET2_T3_PNS13_IS18_E10value_typeET4_jRbjT5_S1E_jjP12ihipStream_tbEUljE_ZNSN_ISO_Lb1ESQ_SR_ST_SU_SY_EESZ_S10_S11_S12_S16_S17_S18_S1B_S1C_jS1D_jS1E_S1E_jjS1G_bEUljE0_EEESZ_S10_S11_S18_S1C_S1E_T6_T7_T9_mT8_S1G_bDpT10_ENKUlT_T0_E_clISt17integral_constantIbLb0EES1U_EEDaS1P_S1Q_EUlS1P_E_NS1_11comp_targetILNS1_3genE3ELNS1_11target_archE908ELNS1_3gpuE7ELNS1_3repE0EEENS1_30default_config_static_selectorELNS0_4arch9wavefront6targetE0EEEvS12_.numbered_sgpr, 0
	.set _ZN7rocprim17ROCPRIM_400000_NS6detail17trampoline_kernelINS0_13select_configILj256ELj13ELNS0_17block_load_methodE3ELS4_3ELS4_3ELNS0_20block_scan_algorithmE0ELj4294967295EEENS1_25partition_config_selectorILNS1_17partition_subalgoE4EjNS0_10empty_typeEbEEZZNS1_14partition_implILS8_4ELb0ES6_15HIP_vector_typeIjLj2EENS0_17counting_iteratorIjlEEPS9_SG_NS0_5tupleIJPjSI_NS0_16reverse_iteratorISI_EEEEENSH_IJSG_SG_SG_EEES9_SI_JZNS1_25segmented_radix_sort_implINS0_14default_configELb1EPKbPbPKlPlN2at6native12_GLOBAL__N_18offset_tEEE10hipError_tPvRmT1_PNSt15iterator_traitsIS12_E10value_typeET2_T3_PNS13_IS18_E10value_typeET4_jRbjT5_S1E_jjP12ihipStream_tbEUljE_ZNSN_ISO_Lb1ESQ_SR_ST_SU_SY_EESZ_S10_S11_S12_S16_S17_S18_S1B_S1C_jS1D_jS1E_S1E_jjS1G_bEUljE0_EEESZ_S10_S11_S18_S1C_S1E_T6_T7_T9_mT8_S1G_bDpT10_ENKUlT_T0_E_clISt17integral_constantIbLb0EES1U_EEDaS1P_S1Q_EUlS1P_E_NS1_11comp_targetILNS1_3genE3ELNS1_11target_archE908ELNS1_3gpuE7ELNS1_3repE0EEENS1_30default_config_static_selectorELNS0_4arch9wavefront6targetE0EEEvS12_.num_named_barrier, 0
	.set _ZN7rocprim17ROCPRIM_400000_NS6detail17trampoline_kernelINS0_13select_configILj256ELj13ELNS0_17block_load_methodE3ELS4_3ELS4_3ELNS0_20block_scan_algorithmE0ELj4294967295EEENS1_25partition_config_selectorILNS1_17partition_subalgoE4EjNS0_10empty_typeEbEEZZNS1_14partition_implILS8_4ELb0ES6_15HIP_vector_typeIjLj2EENS0_17counting_iteratorIjlEEPS9_SG_NS0_5tupleIJPjSI_NS0_16reverse_iteratorISI_EEEEENSH_IJSG_SG_SG_EEES9_SI_JZNS1_25segmented_radix_sort_implINS0_14default_configELb1EPKbPbPKlPlN2at6native12_GLOBAL__N_18offset_tEEE10hipError_tPvRmT1_PNSt15iterator_traitsIS12_E10value_typeET2_T3_PNS13_IS18_E10value_typeET4_jRbjT5_S1E_jjP12ihipStream_tbEUljE_ZNSN_ISO_Lb1ESQ_SR_ST_SU_SY_EESZ_S10_S11_S12_S16_S17_S18_S1B_S1C_jS1D_jS1E_S1E_jjS1G_bEUljE0_EEESZ_S10_S11_S18_S1C_S1E_T6_T7_T9_mT8_S1G_bDpT10_ENKUlT_T0_E_clISt17integral_constantIbLb0EES1U_EEDaS1P_S1Q_EUlS1P_E_NS1_11comp_targetILNS1_3genE3ELNS1_11target_archE908ELNS1_3gpuE7ELNS1_3repE0EEENS1_30default_config_static_selectorELNS0_4arch9wavefront6targetE0EEEvS12_.private_seg_size, 0
	.set _ZN7rocprim17ROCPRIM_400000_NS6detail17trampoline_kernelINS0_13select_configILj256ELj13ELNS0_17block_load_methodE3ELS4_3ELS4_3ELNS0_20block_scan_algorithmE0ELj4294967295EEENS1_25partition_config_selectorILNS1_17partition_subalgoE4EjNS0_10empty_typeEbEEZZNS1_14partition_implILS8_4ELb0ES6_15HIP_vector_typeIjLj2EENS0_17counting_iteratorIjlEEPS9_SG_NS0_5tupleIJPjSI_NS0_16reverse_iteratorISI_EEEEENSH_IJSG_SG_SG_EEES9_SI_JZNS1_25segmented_radix_sort_implINS0_14default_configELb1EPKbPbPKlPlN2at6native12_GLOBAL__N_18offset_tEEE10hipError_tPvRmT1_PNSt15iterator_traitsIS12_E10value_typeET2_T3_PNS13_IS18_E10value_typeET4_jRbjT5_S1E_jjP12ihipStream_tbEUljE_ZNSN_ISO_Lb1ESQ_SR_ST_SU_SY_EESZ_S10_S11_S12_S16_S17_S18_S1B_S1C_jS1D_jS1E_S1E_jjS1G_bEUljE0_EEESZ_S10_S11_S18_S1C_S1E_T6_T7_T9_mT8_S1G_bDpT10_ENKUlT_T0_E_clISt17integral_constantIbLb0EES1U_EEDaS1P_S1Q_EUlS1P_E_NS1_11comp_targetILNS1_3genE3ELNS1_11target_archE908ELNS1_3gpuE7ELNS1_3repE0EEENS1_30default_config_static_selectorELNS0_4arch9wavefront6targetE0EEEvS12_.uses_vcc, 0
	.set _ZN7rocprim17ROCPRIM_400000_NS6detail17trampoline_kernelINS0_13select_configILj256ELj13ELNS0_17block_load_methodE3ELS4_3ELS4_3ELNS0_20block_scan_algorithmE0ELj4294967295EEENS1_25partition_config_selectorILNS1_17partition_subalgoE4EjNS0_10empty_typeEbEEZZNS1_14partition_implILS8_4ELb0ES6_15HIP_vector_typeIjLj2EENS0_17counting_iteratorIjlEEPS9_SG_NS0_5tupleIJPjSI_NS0_16reverse_iteratorISI_EEEEENSH_IJSG_SG_SG_EEES9_SI_JZNS1_25segmented_radix_sort_implINS0_14default_configELb1EPKbPbPKlPlN2at6native12_GLOBAL__N_18offset_tEEE10hipError_tPvRmT1_PNSt15iterator_traitsIS12_E10value_typeET2_T3_PNS13_IS18_E10value_typeET4_jRbjT5_S1E_jjP12ihipStream_tbEUljE_ZNSN_ISO_Lb1ESQ_SR_ST_SU_SY_EESZ_S10_S11_S12_S16_S17_S18_S1B_S1C_jS1D_jS1E_S1E_jjS1G_bEUljE0_EEESZ_S10_S11_S18_S1C_S1E_T6_T7_T9_mT8_S1G_bDpT10_ENKUlT_T0_E_clISt17integral_constantIbLb0EES1U_EEDaS1P_S1Q_EUlS1P_E_NS1_11comp_targetILNS1_3genE3ELNS1_11target_archE908ELNS1_3gpuE7ELNS1_3repE0EEENS1_30default_config_static_selectorELNS0_4arch9wavefront6targetE0EEEvS12_.uses_flat_scratch, 0
	.set _ZN7rocprim17ROCPRIM_400000_NS6detail17trampoline_kernelINS0_13select_configILj256ELj13ELNS0_17block_load_methodE3ELS4_3ELS4_3ELNS0_20block_scan_algorithmE0ELj4294967295EEENS1_25partition_config_selectorILNS1_17partition_subalgoE4EjNS0_10empty_typeEbEEZZNS1_14partition_implILS8_4ELb0ES6_15HIP_vector_typeIjLj2EENS0_17counting_iteratorIjlEEPS9_SG_NS0_5tupleIJPjSI_NS0_16reverse_iteratorISI_EEEEENSH_IJSG_SG_SG_EEES9_SI_JZNS1_25segmented_radix_sort_implINS0_14default_configELb1EPKbPbPKlPlN2at6native12_GLOBAL__N_18offset_tEEE10hipError_tPvRmT1_PNSt15iterator_traitsIS12_E10value_typeET2_T3_PNS13_IS18_E10value_typeET4_jRbjT5_S1E_jjP12ihipStream_tbEUljE_ZNSN_ISO_Lb1ESQ_SR_ST_SU_SY_EESZ_S10_S11_S12_S16_S17_S18_S1B_S1C_jS1D_jS1E_S1E_jjS1G_bEUljE0_EEESZ_S10_S11_S18_S1C_S1E_T6_T7_T9_mT8_S1G_bDpT10_ENKUlT_T0_E_clISt17integral_constantIbLb0EES1U_EEDaS1P_S1Q_EUlS1P_E_NS1_11comp_targetILNS1_3genE3ELNS1_11target_archE908ELNS1_3gpuE7ELNS1_3repE0EEENS1_30default_config_static_selectorELNS0_4arch9wavefront6targetE0EEEvS12_.has_dyn_sized_stack, 0
	.set _ZN7rocprim17ROCPRIM_400000_NS6detail17trampoline_kernelINS0_13select_configILj256ELj13ELNS0_17block_load_methodE3ELS4_3ELS4_3ELNS0_20block_scan_algorithmE0ELj4294967295EEENS1_25partition_config_selectorILNS1_17partition_subalgoE4EjNS0_10empty_typeEbEEZZNS1_14partition_implILS8_4ELb0ES6_15HIP_vector_typeIjLj2EENS0_17counting_iteratorIjlEEPS9_SG_NS0_5tupleIJPjSI_NS0_16reverse_iteratorISI_EEEEENSH_IJSG_SG_SG_EEES9_SI_JZNS1_25segmented_radix_sort_implINS0_14default_configELb1EPKbPbPKlPlN2at6native12_GLOBAL__N_18offset_tEEE10hipError_tPvRmT1_PNSt15iterator_traitsIS12_E10value_typeET2_T3_PNS13_IS18_E10value_typeET4_jRbjT5_S1E_jjP12ihipStream_tbEUljE_ZNSN_ISO_Lb1ESQ_SR_ST_SU_SY_EESZ_S10_S11_S12_S16_S17_S18_S1B_S1C_jS1D_jS1E_S1E_jjS1G_bEUljE0_EEESZ_S10_S11_S18_S1C_S1E_T6_T7_T9_mT8_S1G_bDpT10_ENKUlT_T0_E_clISt17integral_constantIbLb0EES1U_EEDaS1P_S1Q_EUlS1P_E_NS1_11comp_targetILNS1_3genE3ELNS1_11target_archE908ELNS1_3gpuE7ELNS1_3repE0EEENS1_30default_config_static_selectorELNS0_4arch9wavefront6targetE0EEEvS12_.has_recursion, 0
	.set _ZN7rocprim17ROCPRIM_400000_NS6detail17trampoline_kernelINS0_13select_configILj256ELj13ELNS0_17block_load_methodE3ELS4_3ELS4_3ELNS0_20block_scan_algorithmE0ELj4294967295EEENS1_25partition_config_selectorILNS1_17partition_subalgoE4EjNS0_10empty_typeEbEEZZNS1_14partition_implILS8_4ELb0ES6_15HIP_vector_typeIjLj2EENS0_17counting_iteratorIjlEEPS9_SG_NS0_5tupleIJPjSI_NS0_16reverse_iteratorISI_EEEEENSH_IJSG_SG_SG_EEES9_SI_JZNS1_25segmented_radix_sort_implINS0_14default_configELb1EPKbPbPKlPlN2at6native12_GLOBAL__N_18offset_tEEE10hipError_tPvRmT1_PNSt15iterator_traitsIS12_E10value_typeET2_T3_PNS13_IS18_E10value_typeET4_jRbjT5_S1E_jjP12ihipStream_tbEUljE_ZNSN_ISO_Lb1ESQ_SR_ST_SU_SY_EESZ_S10_S11_S12_S16_S17_S18_S1B_S1C_jS1D_jS1E_S1E_jjS1G_bEUljE0_EEESZ_S10_S11_S18_S1C_S1E_T6_T7_T9_mT8_S1G_bDpT10_ENKUlT_T0_E_clISt17integral_constantIbLb0EES1U_EEDaS1P_S1Q_EUlS1P_E_NS1_11comp_targetILNS1_3genE3ELNS1_11target_archE908ELNS1_3gpuE7ELNS1_3repE0EEENS1_30default_config_static_selectorELNS0_4arch9wavefront6targetE0EEEvS12_.has_indirect_call, 0
	.section	.AMDGPU.csdata,"",@progbits
; Kernel info:
; codeLenInByte = 0
; TotalNumSgprs: 0
; NumVgprs: 0
; ScratchSize: 0
; MemoryBound: 0
; FloatMode: 240
; IeeeMode: 1
; LDSByteSize: 0 bytes/workgroup (compile time only)
; SGPRBlocks: 0
; VGPRBlocks: 0
; NumSGPRsForWavesPerEU: 1
; NumVGPRsForWavesPerEU: 1
; Occupancy: 16
; WaveLimiterHint : 0
; COMPUTE_PGM_RSRC2:SCRATCH_EN: 0
; COMPUTE_PGM_RSRC2:USER_SGPR: 2
; COMPUTE_PGM_RSRC2:TRAP_HANDLER: 0
; COMPUTE_PGM_RSRC2:TGID_X_EN: 1
; COMPUTE_PGM_RSRC2:TGID_Y_EN: 0
; COMPUTE_PGM_RSRC2:TGID_Z_EN: 0
; COMPUTE_PGM_RSRC2:TIDIG_COMP_CNT: 0
	.section	.text._ZN7rocprim17ROCPRIM_400000_NS6detail17trampoline_kernelINS0_13select_configILj256ELj13ELNS0_17block_load_methodE3ELS4_3ELS4_3ELNS0_20block_scan_algorithmE0ELj4294967295EEENS1_25partition_config_selectorILNS1_17partition_subalgoE4EjNS0_10empty_typeEbEEZZNS1_14partition_implILS8_4ELb0ES6_15HIP_vector_typeIjLj2EENS0_17counting_iteratorIjlEEPS9_SG_NS0_5tupleIJPjSI_NS0_16reverse_iteratorISI_EEEEENSH_IJSG_SG_SG_EEES9_SI_JZNS1_25segmented_radix_sort_implINS0_14default_configELb1EPKbPbPKlPlN2at6native12_GLOBAL__N_18offset_tEEE10hipError_tPvRmT1_PNSt15iterator_traitsIS12_E10value_typeET2_T3_PNS13_IS18_E10value_typeET4_jRbjT5_S1E_jjP12ihipStream_tbEUljE_ZNSN_ISO_Lb1ESQ_SR_ST_SU_SY_EESZ_S10_S11_S12_S16_S17_S18_S1B_S1C_jS1D_jS1E_S1E_jjS1G_bEUljE0_EEESZ_S10_S11_S18_S1C_S1E_T6_T7_T9_mT8_S1G_bDpT10_ENKUlT_T0_E_clISt17integral_constantIbLb0EES1U_EEDaS1P_S1Q_EUlS1P_E_NS1_11comp_targetILNS1_3genE2ELNS1_11target_archE906ELNS1_3gpuE6ELNS1_3repE0EEENS1_30default_config_static_selectorELNS0_4arch9wavefront6targetE0EEEvS12_,"axG",@progbits,_ZN7rocprim17ROCPRIM_400000_NS6detail17trampoline_kernelINS0_13select_configILj256ELj13ELNS0_17block_load_methodE3ELS4_3ELS4_3ELNS0_20block_scan_algorithmE0ELj4294967295EEENS1_25partition_config_selectorILNS1_17partition_subalgoE4EjNS0_10empty_typeEbEEZZNS1_14partition_implILS8_4ELb0ES6_15HIP_vector_typeIjLj2EENS0_17counting_iteratorIjlEEPS9_SG_NS0_5tupleIJPjSI_NS0_16reverse_iteratorISI_EEEEENSH_IJSG_SG_SG_EEES9_SI_JZNS1_25segmented_radix_sort_implINS0_14default_configELb1EPKbPbPKlPlN2at6native12_GLOBAL__N_18offset_tEEE10hipError_tPvRmT1_PNSt15iterator_traitsIS12_E10value_typeET2_T3_PNS13_IS18_E10value_typeET4_jRbjT5_S1E_jjP12ihipStream_tbEUljE_ZNSN_ISO_Lb1ESQ_SR_ST_SU_SY_EESZ_S10_S11_S12_S16_S17_S18_S1B_S1C_jS1D_jS1E_S1E_jjS1G_bEUljE0_EEESZ_S10_S11_S18_S1C_S1E_T6_T7_T9_mT8_S1G_bDpT10_ENKUlT_T0_E_clISt17integral_constantIbLb0EES1U_EEDaS1P_S1Q_EUlS1P_E_NS1_11comp_targetILNS1_3genE2ELNS1_11target_archE906ELNS1_3gpuE6ELNS1_3repE0EEENS1_30default_config_static_selectorELNS0_4arch9wavefront6targetE0EEEvS12_,comdat
	.globl	_ZN7rocprim17ROCPRIM_400000_NS6detail17trampoline_kernelINS0_13select_configILj256ELj13ELNS0_17block_load_methodE3ELS4_3ELS4_3ELNS0_20block_scan_algorithmE0ELj4294967295EEENS1_25partition_config_selectorILNS1_17partition_subalgoE4EjNS0_10empty_typeEbEEZZNS1_14partition_implILS8_4ELb0ES6_15HIP_vector_typeIjLj2EENS0_17counting_iteratorIjlEEPS9_SG_NS0_5tupleIJPjSI_NS0_16reverse_iteratorISI_EEEEENSH_IJSG_SG_SG_EEES9_SI_JZNS1_25segmented_radix_sort_implINS0_14default_configELb1EPKbPbPKlPlN2at6native12_GLOBAL__N_18offset_tEEE10hipError_tPvRmT1_PNSt15iterator_traitsIS12_E10value_typeET2_T3_PNS13_IS18_E10value_typeET4_jRbjT5_S1E_jjP12ihipStream_tbEUljE_ZNSN_ISO_Lb1ESQ_SR_ST_SU_SY_EESZ_S10_S11_S12_S16_S17_S18_S1B_S1C_jS1D_jS1E_S1E_jjS1G_bEUljE0_EEESZ_S10_S11_S18_S1C_S1E_T6_T7_T9_mT8_S1G_bDpT10_ENKUlT_T0_E_clISt17integral_constantIbLb0EES1U_EEDaS1P_S1Q_EUlS1P_E_NS1_11comp_targetILNS1_3genE2ELNS1_11target_archE906ELNS1_3gpuE6ELNS1_3repE0EEENS1_30default_config_static_selectorELNS0_4arch9wavefront6targetE0EEEvS12_ ; -- Begin function _ZN7rocprim17ROCPRIM_400000_NS6detail17trampoline_kernelINS0_13select_configILj256ELj13ELNS0_17block_load_methodE3ELS4_3ELS4_3ELNS0_20block_scan_algorithmE0ELj4294967295EEENS1_25partition_config_selectorILNS1_17partition_subalgoE4EjNS0_10empty_typeEbEEZZNS1_14partition_implILS8_4ELb0ES6_15HIP_vector_typeIjLj2EENS0_17counting_iteratorIjlEEPS9_SG_NS0_5tupleIJPjSI_NS0_16reverse_iteratorISI_EEEEENSH_IJSG_SG_SG_EEES9_SI_JZNS1_25segmented_radix_sort_implINS0_14default_configELb1EPKbPbPKlPlN2at6native12_GLOBAL__N_18offset_tEEE10hipError_tPvRmT1_PNSt15iterator_traitsIS12_E10value_typeET2_T3_PNS13_IS18_E10value_typeET4_jRbjT5_S1E_jjP12ihipStream_tbEUljE_ZNSN_ISO_Lb1ESQ_SR_ST_SU_SY_EESZ_S10_S11_S12_S16_S17_S18_S1B_S1C_jS1D_jS1E_S1E_jjS1G_bEUljE0_EEESZ_S10_S11_S18_S1C_S1E_T6_T7_T9_mT8_S1G_bDpT10_ENKUlT_T0_E_clISt17integral_constantIbLb0EES1U_EEDaS1P_S1Q_EUlS1P_E_NS1_11comp_targetILNS1_3genE2ELNS1_11target_archE906ELNS1_3gpuE6ELNS1_3repE0EEENS1_30default_config_static_selectorELNS0_4arch9wavefront6targetE0EEEvS12_
	.p2align	8
	.type	_ZN7rocprim17ROCPRIM_400000_NS6detail17trampoline_kernelINS0_13select_configILj256ELj13ELNS0_17block_load_methodE3ELS4_3ELS4_3ELNS0_20block_scan_algorithmE0ELj4294967295EEENS1_25partition_config_selectorILNS1_17partition_subalgoE4EjNS0_10empty_typeEbEEZZNS1_14partition_implILS8_4ELb0ES6_15HIP_vector_typeIjLj2EENS0_17counting_iteratorIjlEEPS9_SG_NS0_5tupleIJPjSI_NS0_16reverse_iteratorISI_EEEEENSH_IJSG_SG_SG_EEES9_SI_JZNS1_25segmented_radix_sort_implINS0_14default_configELb1EPKbPbPKlPlN2at6native12_GLOBAL__N_18offset_tEEE10hipError_tPvRmT1_PNSt15iterator_traitsIS12_E10value_typeET2_T3_PNS13_IS18_E10value_typeET4_jRbjT5_S1E_jjP12ihipStream_tbEUljE_ZNSN_ISO_Lb1ESQ_SR_ST_SU_SY_EESZ_S10_S11_S12_S16_S17_S18_S1B_S1C_jS1D_jS1E_S1E_jjS1G_bEUljE0_EEESZ_S10_S11_S18_S1C_S1E_T6_T7_T9_mT8_S1G_bDpT10_ENKUlT_T0_E_clISt17integral_constantIbLb0EES1U_EEDaS1P_S1Q_EUlS1P_E_NS1_11comp_targetILNS1_3genE2ELNS1_11target_archE906ELNS1_3gpuE6ELNS1_3repE0EEENS1_30default_config_static_selectorELNS0_4arch9wavefront6targetE0EEEvS12_,@function
_ZN7rocprim17ROCPRIM_400000_NS6detail17trampoline_kernelINS0_13select_configILj256ELj13ELNS0_17block_load_methodE3ELS4_3ELS4_3ELNS0_20block_scan_algorithmE0ELj4294967295EEENS1_25partition_config_selectorILNS1_17partition_subalgoE4EjNS0_10empty_typeEbEEZZNS1_14partition_implILS8_4ELb0ES6_15HIP_vector_typeIjLj2EENS0_17counting_iteratorIjlEEPS9_SG_NS0_5tupleIJPjSI_NS0_16reverse_iteratorISI_EEEEENSH_IJSG_SG_SG_EEES9_SI_JZNS1_25segmented_radix_sort_implINS0_14default_configELb1EPKbPbPKlPlN2at6native12_GLOBAL__N_18offset_tEEE10hipError_tPvRmT1_PNSt15iterator_traitsIS12_E10value_typeET2_T3_PNS13_IS18_E10value_typeET4_jRbjT5_S1E_jjP12ihipStream_tbEUljE_ZNSN_ISO_Lb1ESQ_SR_ST_SU_SY_EESZ_S10_S11_S12_S16_S17_S18_S1B_S1C_jS1D_jS1E_S1E_jjS1G_bEUljE0_EEESZ_S10_S11_S18_S1C_S1E_T6_T7_T9_mT8_S1G_bDpT10_ENKUlT_T0_E_clISt17integral_constantIbLb0EES1U_EEDaS1P_S1Q_EUlS1P_E_NS1_11comp_targetILNS1_3genE2ELNS1_11target_archE906ELNS1_3gpuE6ELNS1_3repE0EEENS1_30default_config_static_selectorELNS0_4arch9wavefront6targetE0EEEvS12_: ; @_ZN7rocprim17ROCPRIM_400000_NS6detail17trampoline_kernelINS0_13select_configILj256ELj13ELNS0_17block_load_methodE3ELS4_3ELS4_3ELNS0_20block_scan_algorithmE0ELj4294967295EEENS1_25partition_config_selectorILNS1_17partition_subalgoE4EjNS0_10empty_typeEbEEZZNS1_14partition_implILS8_4ELb0ES6_15HIP_vector_typeIjLj2EENS0_17counting_iteratorIjlEEPS9_SG_NS0_5tupleIJPjSI_NS0_16reverse_iteratorISI_EEEEENSH_IJSG_SG_SG_EEES9_SI_JZNS1_25segmented_radix_sort_implINS0_14default_configELb1EPKbPbPKlPlN2at6native12_GLOBAL__N_18offset_tEEE10hipError_tPvRmT1_PNSt15iterator_traitsIS12_E10value_typeET2_T3_PNS13_IS18_E10value_typeET4_jRbjT5_S1E_jjP12ihipStream_tbEUljE_ZNSN_ISO_Lb1ESQ_SR_ST_SU_SY_EESZ_S10_S11_S12_S16_S17_S18_S1B_S1C_jS1D_jS1E_S1E_jjS1G_bEUljE0_EEESZ_S10_S11_S18_S1C_S1E_T6_T7_T9_mT8_S1G_bDpT10_ENKUlT_T0_E_clISt17integral_constantIbLb0EES1U_EEDaS1P_S1Q_EUlS1P_E_NS1_11comp_targetILNS1_3genE2ELNS1_11target_archE906ELNS1_3gpuE6ELNS1_3repE0EEENS1_30default_config_static_selectorELNS0_4arch9wavefront6targetE0EEEvS12_
; %bb.0:
	.section	.rodata,"a",@progbits
	.p2align	6, 0x0
	.amdhsa_kernel _ZN7rocprim17ROCPRIM_400000_NS6detail17trampoline_kernelINS0_13select_configILj256ELj13ELNS0_17block_load_methodE3ELS4_3ELS4_3ELNS0_20block_scan_algorithmE0ELj4294967295EEENS1_25partition_config_selectorILNS1_17partition_subalgoE4EjNS0_10empty_typeEbEEZZNS1_14partition_implILS8_4ELb0ES6_15HIP_vector_typeIjLj2EENS0_17counting_iteratorIjlEEPS9_SG_NS0_5tupleIJPjSI_NS0_16reverse_iteratorISI_EEEEENSH_IJSG_SG_SG_EEES9_SI_JZNS1_25segmented_radix_sort_implINS0_14default_configELb1EPKbPbPKlPlN2at6native12_GLOBAL__N_18offset_tEEE10hipError_tPvRmT1_PNSt15iterator_traitsIS12_E10value_typeET2_T3_PNS13_IS18_E10value_typeET4_jRbjT5_S1E_jjP12ihipStream_tbEUljE_ZNSN_ISO_Lb1ESQ_SR_ST_SU_SY_EESZ_S10_S11_S12_S16_S17_S18_S1B_S1C_jS1D_jS1E_S1E_jjS1G_bEUljE0_EEESZ_S10_S11_S18_S1C_S1E_T6_T7_T9_mT8_S1G_bDpT10_ENKUlT_T0_E_clISt17integral_constantIbLb0EES1U_EEDaS1P_S1Q_EUlS1P_E_NS1_11comp_targetILNS1_3genE2ELNS1_11target_archE906ELNS1_3gpuE6ELNS1_3repE0EEENS1_30default_config_static_selectorELNS0_4arch9wavefront6targetE0EEEvS12_
		.amdhsa_group_segment_fixed_size 0
		.amdhsa_private_segment_fixed_size 0
		.amdhsa_kernarg_size 176
		.amdhsa_user_sgpr_count 2
		.amdhsa_user_sgpr_dispatch_ptr 0
		.amdhsa_user_sgpr_queue_ptr 0
		.amdhsa_user_sgpr_kernarg_segment_ptr 1
		.amdhsa_user_sgpr_dispatch_id 0
		.amdhsa_user_sgpr_private_segment_size 0
		.amdhsa_wavefront_size32 1
		.amdhsa_uses_dynamic_stack 0
		.amdhsa_enable_private_segment 0
		.amdhsa_system_sgpr_workgroup_id_x 1
		.amdhsa_system_sgpr_workgroup_id_y 0
		.amdhsa_system_sgpr_workgroup_id_z 0
		.amdhsa_system_sgpr_workgroup_info 0
		.amdhsa_system_vgpr_workitem_id 0
		.amdhsa_next_free_vgpr 1
		.amdhsa_next_free_sgpr 1
		.amdhsa_reserve_vcc 0
		.amdhsa_float_round_mode_32 0
		.amdhsa_float_round_mode_16_64 0
		.amdhsa_float_denorm_mode_32 3
		.amdhsa_float_denorm_mode_16_64 3
		.amdhsa_fp16_overflow 0
		.amdhsa_workgroup_processor_mode 1
		.amdhsa_memory_ordered 1
		.amdhsa_forward_progress 1
		.amdhsa_inst_pref_size 0
		.amdhsa_round_robin_scheduling 0
		.amdhsa_exception_fp_ieee_invalid_op 0
		.amdhsa_exception_fp_denorm_src 0
		.amdhsa_exception_fp_ieee_div_zero 0
		.amdhsa_exception_fp_ieee_overflow 0
		.amdhsa_exception_fp_ieee_underflow 0
		.amdhsa_exception_fp_ieee_inexact 0
		.amdhsa_exception_int_div_zero 0
	.end_amdhsa_kernel
	.section	.text._ZN7rocprim17ROCPRIM_400000_NS6detail17trampoline_kernelINS0_13select_configILj256ELj13ELNS0_17block_load_methodE3ELS4_3ELS4_3ELNS0_20block_scan_algorithmE0ELj4294967295EEENS1_25partition_config_selectorILNS1_17partition_subalgoE4EjNS0_10empty_typeEbEEZZNS1_14partition_implILS8_4ELb0ES6_15HIP_vector_typeIjLj2EENS0_17counting_iteratorIjlEEPS9_SG_NS0_5tupleIJPjSI_NS0_16reverse_iteratorISI_EEEEENSH_IJSG_SG_SG_EEES9_SI_JZNS1_25segmented_radix_sort_implINS0_14default_configELb1EPKbPbPKlPlN2at6native12_GLOBAL__N_18offset_tEEE10hipError_tPvRmT1_PNSt15iterator_traitsIS12_E10value_typeET2_T3_PNS13_IS18_E10value_typeET4_jRbjT5_S1E_jjP12ihipStream_tbEUljE_ZNSN_ISO_Lb1ESQ_SR_ST_SU_SY_EESZ_S10_S11_S12_S16_S17_S18_S1B_S1C_jS1D_jS1E_S1E_jjS1G_bEUljE0_EEESZ_S10_S11_S18_S1C_S1E_T6_T7_T9_mT8_S1G_bDpT10_ENKUlT_T0_E_clISt17integral_constantIbLb0EES1U_EEDaS1P_S1Q_EUlS1P_E_NS1_11comp_targetILNS1_3genE2ELNS1_11target_archE906ELNS1_3gpuE6ELNS1_3repE0EEENS1_30default_config_static_selectorELNS0_4arch9wavefront6targetE0EEEvS12_,"axG",@progbits,_ZN7rocprim17ROCPRIM_400000_NS6detail17trampoline_kernelINS0_13select_configILj256ELj13ELNS0_17block_load_methodE3ELS4_3ELS4_3ELNS0_20block_scan_algorithmE0ELj4294967295EEENS1_25partition_config_selectorILNS1_17partition_subalgoE4EjNS0_10empty_typeEbEEZZNS1_14partition_implILS8_4ELb0ES6_15HIP_vector_typeIjLj2EENS0_17counting_iteratorIjlEEPS9_SG_NS0_5tupleIJPjSI_NS0_16reverse_iteratorISI_EEEEENSH_IJSG_SG_SG_EEES9_SI_JZNS1_25segmented_radix_sort_implINS0_14default_configELb1EPKbPbPKlPlN2at6native12_GLOBAL__N_18offset_tEEE10hipError_tPvRmT1_PNSt15iterator_traitsIS12_E10value_typeET2_T3_PNS13_IS18_E10value_typeET4_jRbjT5_S1E_jjP12ihipStream_tbEUljE_ZNSN_ISO_Lb1ESQ_SR_ST_SU_SY_EESZ_S10_S11_S12_S16_S17_S18_S1B_S1C_jS1D_jS1E_S1E_jjS1G_bEUljE0_EEESZ_S10_S11_S18_S1C_S1E_T6_T7_T9_mT8_S1G_bDpT10_ENKUlT_T0_E_clISt17integral_constantIbLb0EES1U_EEDaS1P_S1Q_EUlS1P_E_NS1_11comp_targetILNS1_3genE2ELNS1_11target_archE906ELNS1_3gpuE6ELNS1_3repE0EEENS1_30default_config_static_selectorELNS0_4arch9wavefront6targetE0EEEvS12_,comdat
.Lfunc_end1472:
	.size	_ZN7rocprim17ROCPRIM_400000_NS6detail17trampoline_kernelINS0_13select_configILj256ELj13ELNS0_17block_load_methodE3ELS4_3ELS4_3ELNS0_20block_scan_algorithmE0ELj4294967295EEENS1_25partition_config_selectorILNS1_17partition_subalgoE4EjNS0_10empty_typeEbEEZZNS1_14partition_implILS8_4ELb0ES6_15HIP_vector_typeIjLj2EENS0_17counting_iteratorIjlEEPS9_SG_NS0_5tupleIJPjSI_NS0_16reverse_iteratorISI_EEEEENSH_IJSG_SG_SG_EEES9_SI_JZNS1_25segmented_radix_sort_implINS0_14default_configELb1EPKbPbPKlPlN2at6native12_GLOBAL__N_18offset_tEEE10hipError_tPvRmT1_PNSt15iterator_traitsIS12_E10value_typeET2_T3_PNS13_IS18_E10value_typeET4_jRbjT5_S1E_jjP12ihipStream_tbEUljE_ZNSN_ISO_Lb1ESQ_SR_ST_SU_SY_EESZ_S10_S11_S12_S16_S17_S18_S1B_S1C_jS1D_jS1E_S1E_jjS1G_bEUljE0_EEESZ_S10_S11_S18_S1C_S1E_T6_T7_T9_mT8_S1G_bDpT10_ENKUlT_T0_E_clISt17integral_constantIbLb0EES1U_EEDaS1P_S1Q_EUlS1P_E_NS1_11comp_targetILNS1_3genE2ELNS1_11target_archE906ELNS1_3gpuE6ELNS1_3repE0EEENS1_30default_config_static_selectorELNS0_4arch9wavefront6targetE0EEEvS12_, .Lfunc_end1472-_ZN7rocprim17ROCPRIM_400000_NS6detail17trampoline_kernelINS0_13select_configILj256ELj13ELNS0_17block_load_methodE3ELS4_3ELS4_3ELNS0_20block_scan_algorithmE0ELj4294967295EEENS1_25partition_config_selectorILNS1_17partition_subalgoE4EjNS0_10empty_typeEbEEZZNS1_14partition_implILS8_4ELb0ES6_15HIP_vector_typeIjLj2EENS0_17counting_iteratorIjlEEPS9_SG_NS0_5tupleIJPjSI_NS0_16reverse_iteratorISI_EEEEENSH_IJSG_SG_SG_EEES9_SI_JZNS1_25segmented_radix_sort_implINS0_14default_configELb1EPKbPbPKlPlN2at6native12_GLOBAL__N_18offset_tEEE10hipError_tPvRmT1_PNSt15iterator_traitsIS12_E10value_typeET2_T3_PNS13_IS18_E10value_typeET4_jRbjT5_S1E_jjP12ihipStream_tbEUljE_ZNSN_ISO_Lb1ESQ_SR_ST_SU_SY_EESZ_S10_S11_S12_S16_S17_S18_S1B_S1C_jS1D_jS1E_S1E_jjS1G_bEUljE0_EEESZ_S10_S11_S18_S1C_S1E_T6_T7_T9_mT8_S1G_bDpT10_ENKUlT_T0_E_clISt17integral_constantIbLb0EES1U_EEDaS1P_S1Q_EUlS1P_E_NS1_11comp_targetILNS1_3genE2ELNS1_11target_archE906ELNS1_3gpuE6ELNS1_3repE0EEENS1_30default_config_static_selectorELNS0_4arch9wavefront6targetE0EEEvS12_
                                        ; -- End function
	.set _ZN7rocprim17ROCPRIM_400000_NS6detail17trampoline_kernelINS0_13select_configILj256ELj13ELNS0_17block_load_methodE3ELS4_3ELS4_3ELNS0_20block_scan_algorithmE0ELj4294967295EEENS1_25partition_config_selectorILNS1_17partition_subalgoE4EjNS0_10empty_typeEbEEZZNS1_14partition_implILS8_4ELb0ES6_15HIP_vector_typeIjLj2EENS0_17counting_iteratorIjlEEPS9_SG_NS0_5tupleIJPjSI_NS0_16reverse_iteratorISI_EEEEENSH_IJSG_SG_SG_EEES9_SI_JZNS1_25segmented_radix_sort_implINS0_14default_configELb1EPKbPbPKlPlN2at6native12_GLOBAL__N_18offset_tEEE10hipError_tPvRmT1_PNSt15iterator_traitsIS12_E10value_typeET2_T3_PNS13_IS18_E10value_typeET4_jRbjT5_S1E_jjP12ihipStream_tbEUljE_ZNSN_ISO_Lb1ESQ_SR_ST_SU_SY_EESZ_S10_S11_S12_S16_S17_S18_S1B_S1C_jS1D_jS1E_S1E_jjS1G_bEUljE0_EEESZ_S10_S11_S18_S1C_S1E_T6_T7_T9_mT8_S1G_bDpT10_ENKUlT_T0_E_clISt17integral_constantIbLb0EES1U_EEDaS1P_S1Q_EUlS1P_E_NS1_11comp_targetILNS1_3genE2ELNS1_11target_archE906ELNS1_3gpuE6ELNS1_3repE0EEENS1_30default_config_static_selectorELNS0_4arch9wavefront6targetE0EEEvS12_.num_vgpr, 0
	.set _ZN7rocprim17ROCPRIM_400000_NS6detail17trampoline_kernelINS0_13select_configILj256ELj13ELNS0_17block_load_methodE3ELS4_3ELS4_3ELNS0_20block_scan_algorithmE0ELj4294967295EEENS1_25partition_config_selectorILNS1_17partition_subalgoE4EjNS0_10empty_typeEbEEZZNS1_14partition_implILS8_4ELb0ES6_15HIP_vector_typeIjLj2EENS0_17counting_iteratorIjlEEPS9_SG_NS0_5tupleIJPjSI_NS0_16reverse_iteratorISI_EEEEENSH_IJSG_SG_SG_EEES9_SI_JZNS1_25segmented_radix_sort_implINS0_14default_configELb1EPKbPbPKlPlN2at6native12_GLOBAL__N_18offset_tEEE10hipError_tPvRmT1_PNSt15iterator_traitsIS12_E10value_typeET2_T3_PNS13_IS18_E10value_typeET4_jRbjT5_S1E_jjP12ihipStream_tbEUljE_ZNSN_ISO_Lb1ESQ_SR_ST_SU_SY_EESZ_S10_S11_S12_S16_S17_S18_S1B_S1C_jS1D_jS1E_S1E_jjS1G_bEUljE0_EEESZ_S10_S11_S18_S1C_S1E_T6_T7_T9_mT8_S1G_bDpT10_ENKUlT_T0_E_clISt17integral_constantIbLb0EES1U_EEDaS1P_S1Q_EUlS1P_E_NS1_11comp_targetILNS1_3genE2ELNS1_11target_archE906ELNS1_3gpuE6ELNS1_3repE0EEENS1_30default_config_static_selectorELNS0_4arch9wavefront6targetE0EEEvS12_.num_agpr, 0
	.set _ZN7rocprim17ROCPRIM_400000_NS6detail17trampoline_kernelINS0_13select_configILj256ELj13ELNS0_17block_load_methodE3ELS4_3ELS4_3ELNS0_20block_scan_algorithmE0ELj4294967295EEENS1_25partition_config_selectorILNS1_17partition_subalgoE4EjNS0_10empty_typeEbEEZZNS1_14partition_implILS8_4ELb0ES6_15HIP_vector_typeIjLj2EENS0_17counting_iteratorIjlEEPS9_SG_NS0_5tupleIJPjSI_NS0_16reverse_iteratorISI_EEEEENSH_IJSG_SG_SG_EEES9_SI_JZNS1_25segmented_radix_sort_implINS0_14default_configELb1EPKbPbPKlPlN2at6native12_GLOBAL__N_18offset_tEEE10hipError_tPvRmT1_PNSt15iterator_traitsIS12_E10value_typeET2_T3_PNS13_IS18_E10value_typeET4_jRbjT5_S1E_jjP12ihipStream_tbEUljE_ZNSN_ISO_Lb1ESQ_SR_ST_SU_SY_EESZ_S10_S11_S12_S16_S17_S18_S1B_S1C_jS1D_jS1E_S1E_jjS1G_bEUljE0_EEESZ_S10_S11_S18_S1C_S1E_T6_T7_T9_mT8_S1G_bDpT10_ENKUlT_T0_E_clISt17integral_constantIbLb0EES1U_EEDaS1P_S1Q_EUlS1P_E_NS1_11comp_targetILNS1_3genE2ELNS1_11target_archE906ELNS1_3gpuE6ELNS1_3repE0EEENS1_30default_config_static_selectorELNS0_4arch9wavefront6targetE0EEEvS12_.numbered_sgpr, 0
	.set _ZN7rocprim17ROCPRIM_400000_NS6detail17trampoline_kernelINS0_13select_configILj256ELj13ELNS0_17block_load_methodE3ELS4_3ELS4_3ELNS0_20block_scan_algorithmE0ELj4294967295EEENS1_25partition_config_selectorILNS1_17partition_subalgoE4EjNS0_10empty_typeEbEEZZNS1_14partition_implILS8_4ELb0ES6_15HIP_vector_typeIjLj2EENS0_17counting_iteratorIjlEEPS9_SG_NS0_5tupleIJPjSI_NS0_16reverse_iteratorISI_EEEEENSH_IJSG_SG_SG_EEES9_SI_JZNS1_25segmented_radix_sort_implINS0_14default_configELb1EPKbPbPKlPlN2at6native12_GLOBAL__N_18offset_tEEE10hipError_tPvRmT1_PNSt15iterator_traitsIS12_E10value_typeET2_T3_PNS13_IS18_E10value_typeET4_jRbjT5_S1E_jjP12ihipStream_tbEUljE_ZNSN_ISO_Lb1ESQ_SR_ST_SU_SY_EESZ_S10_S11_S12_S16_S17_S18_S1B_S1C_jS1D_jS1E_S1E_jjS1G_bEUljE0_EEESZ_S10_S11_S18_S1C_S1E_T6_T7_T9_mT8_S1G_bDpT10_ENKUlT_T0_E_clISt17integral_constantIbLb0EES1U_EEDaS1P_S1Q_EUlS1P_E_NS1_11comp_targetILNS1_3genE2ELNS1_11target_archE906ELNS1_3gpuE6ELNS1_3repE0EEENS1_30default_config_static_selectorELNS0_4arch9wavefront6targetE0EEEvS12_.num_named_barrier, 0
	.set _ZN7rocprim17ROCPRIM_400000_NS6detail17trampoline_kernelINS0_13select_configILj256ELj13ELNS0_17block_load_methodE3ELS4_3ELS4_3ELNS0_20block_scan_algorithmE0ELj4294967295EEENS1_25partition_config_selectorILNS1_17partition_subalgoE4EjNS0_10empty_typeEbEEZZNS1_14partition_implILS8_4ELb0ES6_15HIP_vector_typeIjLj2EENS0_17counting_iteratorIjlEEPS9_SG_NS0_5tupleIJPjSI_NS0_16reverse_iteratorISI_EEEEENSH_IJSG_SG_SG_EEES9_SI_JZNS1_25segmented_radix_sort_implINS0_14default_configELb1EPKbPbPKlPlN2at6native12_GLOBAL__N_18offset_tEEE10hipError_tPvRmT1_PNSt15iterator_traitsIS12_E10value_typeET2_T3_PNS13_IS18_E10value_typeET4_jRbjT5_S1E_jjP12ihipStream_tbEUljE_ZNSN_ISO_Lb1ESQ_SR_ST_SU_SY_EESZ_S10_S11_S12_S16_S17_S18_S1B_S1C_jS1D_jS1E_S1E_jjS1G_bEUljE0_EEESZ_S10_S11_S18_S1C_S1E_T6_T7_T9_mT8_S1G_bDpT10_ENKUlT_T0_E_clISt17integral_constantIbLb0EES1U_EEDaS1P_S1Q_EUlS1P_E_NS1_11comp_targetILNS1_3genE2ELNS1_11target_archE906ELNS1_3gpuE6ELNS1_3repE0EEENS1_30default_config_static_selectorELNS0_4arch9wavefront6targetE0EEEvS12_.private_seg_size, 0
	.set _ZN7rocprim17ROCPRIM_400000_NS6detail17trampoline_kernelINS0_13select_configILj256ELj13ELNS0_17block_load_methodE3ELS4_3ELS4_3ELNS0_20block_scan_algorithmE0ELj4294967295EEENS1_25partition_config_selectorILNS1_17partition_subalgoE4EjNS0_10empty_typeEbEEZZNS1_14partition_implILS8_4ELb0ES6_15HIP_vector_typeIjLj2EENS0_17counting_iteratorIjlEEPS9_SG_NS0_5tupleIJPjSI_NS0_16reverse_iteratorISI_EEEEENSH_IJSG_SG_SG_EEES9_SI_JZNS1_25segmented_radix_sort_implINS0_14default_configELb1EPKbPbPKlPlN2at6native12_GLOBAL__N_18offset_tEEE10hipError_tPvRmT1_PNSt15iterator_traitsIS12_E10value_typeET2_T3_PNS13_IS18_E10value_typeET4_jRbjT5_S1E_jjP12ihipStream_tbEUljE_ZNSN_ISO_Lb1ESQ_SR_ST_SU_SY_EESZ_S10_S11_S12_S16_S17_S18_S1B_S1C_jS1D_jS1E_S1E_jjS1G_bEUljE0_EEESZ_S10_S11_S18_S1C_S1E_T6_T7_T9_mT8_S1G_bDpT10_ENKUlT_T0_E_clISt17integral_constantIbLb0EES1U_EEDaS1P_S1Q_EUlS1P_E_NS1_11comp_targetILNS1_3genE2ELNS1_11target_archE906ELNS1_3gpuE6ELNS1_3repE0EEENS1_30default_config_static_selectorELNS0_4arch9wavefront6targetE0EEEvS12_.uses_vcc, 0
	.set _ZN7rocprim17ROCPRIM_400000_NS6detail17trampoline_kernelINS0_13select_configILj256ELj13ELNS0_17block_load_methodE3ELS4_3ELS4_3ELNS0_20block_scan_algorithmE0ELj4294967295EEENS1_25partition_config_selectorILNS1_17partition_subalgoE4EjNS0_10empty_typeEbEEZZNS1_14partition_implILS8_4ELb0ES6_15HIP_vector_typeIjLj2EENS0_17counting_iteratorIjlEEPS9_SG_NS0_5tupleIJPjSI_NS0_16reverse_iteratorISI_EEEEENSH_IJSG_SG_SG_EEES9_SI_JZNS1_25segmented_radix_sort_implINS0_14default_configELb1EPKbPbPKlPlN2at6native12_GLOBAL__N_18offset_tEEE10hipError_tPvRmT1_PNSt15iterator_traitsIS12_E10value_typeET2_T3_PNS13_IS18_E10value_typeET4_jRbjT5_S1E_jjP12ihipStream_tbEUljE_ZNSN_ISO_Lb1ESQ_SR_ST_SU_SY_EESZ_S10_S11_S12_S16_S17_S18_S1B_S1C_jS1D_jS1E_S1E_jjS1G_bEUljE0_EEESZ_S10_S11_S18_S1C_S1E_T6_T7_T9_mT8_S1G_bDpT10_ENKUlT_T0_E_clISt17integral_constantIbLb0EES1U_EEDaS1P_S1Q_EUlS1P_E_NS1_11comp_targetILNS1_3genE2ELNS1_11target_archE906ELNS1_3gpuE6ELNS1_3repE0EEENS1_30default_config_static_selectorELNS0_4arch9wavefront6targetE0EEEvS12_.uses_flat_scratch, 0
	.set _ZN7rocprim17ROCPRIM_400000_NS6detail17trampoline_kernelINS0_13select_configILj256ELj13ELNS0_17block_load_methodE3ELS4_3ELS4_3ELNS0_20block_scan_algorithmE0ELj4294967295EEENS1_25partition_config_selectorILNS1_17partition_subalgoE4EjNS0_10empty_typeEbEEZZNS1_14partition_implILS8_4ELb0ES6_15HIP_vector_typeIjLj2EENS0_17counting_iteratorIjlEEPS9_SG_NS0_5tupleIJPjSI_NS0_16reverse_iteratorISI_EEEEENSH_IJSG_SG_SG_EEES9_SI_JZNS1_25segmented_radix_sort_implINS0_14default_configELb1EPKbPbPKlPlN2at6native12_GLOBAL__N_18offset_tEEE10hipError_tPvRmT1_PNSt15iterator_traitsIS12_E10value_typeET2_T3_PNS13_IS18_E10value_typeET4_jRbjT5_S1E_jjP12ihipStream_tbEUljE_ZNSN_ISO_Lb1ESQ_SR_ST_SU_SY_EESZ_S10_S11_S12_S16_S17_S18_S1B_S1C_jS1D_jS1E_S1E_jjS1G_bEUljE0_EEESZ_S10_S11_S18_S1C_S1E_T6_T7_T9_mT8_S1G_bDpT10_ENKUlT_T0_E_clISt17integral_constantIbLb0EES1U_EEDaS1P_S1Q_EUlS1P_E_NS1_11comp_targetILNS1_3genE2ELNS1_11target_archE906ELNS1_3gpuE6ELNS1_3repE0EEENS1_30default_config_static_selectorELNS0_4arch9wavefront6targetE0EEEvS12_.has_dyn_sized_stack, 0
	.set _ZN7rocprim17ROCPRIM_400000_NS6detail17trampoline_kernelINS0_13select_configILj256ELj13ELNS0_17block_load_methodE3ELS4_3ELS4_3ELNS0_20block_scan_algorithmE0ELj4294967295EEENS1_25partition_config_selectorILNS1_17partition_subalgoE4EjNS0_10empty_typeEbEEZZNS1_14partition_implILS8_4ELb0ES6_15HIP_vector_typeIjLj2EENS0_17counting_iteratorIjlEEPS9_SG_NS0_5tupleIJPjSI_NS0_16reverse_iteratorISI_EEEEENSH_IJSG_SG_SG_EEES9_SI_JZNS1_25segmented_radix_sort_implINS0_14default_configELb1EPKbPbPKlPlN2at6native12_GLOBAL__N_18offset_tEEE10hipError_tPvRmT1_PNSt15iterator_traitsIS12_E10value_typeET2_T3_PNS13_IS18_E10value_typeET4_jRbjT5_S1E_jjP12ihipStream_tbEUljE_ZNSN_ISO_Lb1ESQ_SR_ST_SU_SY_EESZ_S10_S11_S12_S16_S17_S18_S1B_S1C_jS1D_jS1E_S1E_jjS1G_bEUljE0_EEESZ_S10_S11_S18_S1C_S1E_T6_T7_T9_mT8_S1G_bDpT10_ENKUlT_T0_E_clISt17integral_constantIbLb0EES1U_EEDaS1P_S1Q_EUlS1P_E_NS1_11comp_targetILNS1_3genE2ELNS1_11target_archE906ELNS1_3gpuE6ELNS1_3repE0EEENS1_30default_config_static_selectorELNS0_4arch9wavefront6targetE0EEEvS12_.has_recursion, 0
	.set _ZN7rocprim17ROCPRIM_400000_NS6detail17trampoline_kernelINS0_13select_configILj256ELj13ELNS0_17block_load_methodE3ELS4_3ELS4_3ELNS0_20block_scan_algorithmE0ELj4294967295EEENS1_25partition_config_selectorILNS1_17partition_subalgoE4EjNS0_10empty_typeEbEEZZNS1_14partition_implILS8_4ELb0ES6_15HIP_vector_typeIjLj2EENS0_17counting_iteratorIjlEEPS9_SG_NS0_5tupleIJPjSI_NS0_16reverse_iteratorISI_EEEEENSH_IJSG_SG_SG_EEES9_SI_JZNS1_25segmented_radix_sort_implINS0_14default_configELb1EPKbPbPKlPlN2at6native12_GLOBAL__N_18offset_tEEE10hipError_tPvRmT1_PNSt15iterator_traitsIS12_E10value_typeET2_T3_PNS13_IS18_E10value_typeET4_jRbjT5_S1E_jjP12ihipStream_tbEUljE_ZNSN_ISO_Lb1ESQ_SR_ST_SU_SY_EESZ_S10_S11_S12_S16_S17_S18_S1B_S1C_jS1D_jS1E_S1E_jjS1G_bEUljE0_EEESZ_S10_S11_S18_S1C_S1E_T6_T7_T9_mT8_S1G_bDpT10_ENKUlT_T0_E_clISt17integral_constantIbLb0EES1U_EEDaS1P_S1Q_EUlS1P_E_NS1_11comp_targetILNS1_3genE2ELNS1_11target_archE906ELNS1_3gpuE6ELNS1_3repE0EEENS1_30default_config_static_selectorELNS0_4arch9wavefront6targetE0EEEvS12_.has_indirect_call, 0
	.section	.AMDGPU.csdata,"",@progbits
; Kernel info:
; codeLenInByte = 0
; TotalNumSgprs: 0
; NumVgprs: 0
; ScratchSize: 0
; MemoryBound: 0
; FloatMode: 240
; IeeeMode: 1
; LDSByteSize: 0 bytes/workgroup (compile time only)
; SGPRBlocks: 0
; VGPRBlocks: 0
; NumSGPRsForWavesPerEU: 1
; NumVGPRsForWavesPerEU: 1
; Occupancy: 16
; WaveLimiterHint : 0
; COMPUTE_PGM_RSRC2:SCRATCH_EN: 0
; COMPUTE_PGM_RSRC2:USER_SGPR: 2
; COMPUTE_PGM_RSRC2:TRAP_HANDLER: 0
; COMPUTE_PGM_RSRC2:TGID_X_EN: 1
; COMPUTE_PGM_RSRC2:TGID_Y_EN: 0
; COMPUTE_PGM_RSRC2:TGID_Z_EN: 0
; COMPUTE_PGM_RSRC2:TIDIG_COMP_CNT: 0
	.section	.text._ZN7rocprim17ROCPRIM_400000_NS6detail17trampoline_kernelINS0_13select_configILj256ELj13ELNS0_17block_load_methodE3ELS4_3ELS4_3ELNS0_20block_scan_algorithmE0ELj4294967295EEENS1_25partition_config_selectorILNS1_17partition_subalgoE4EjNS0_10empty_typeEbEEZZNS1_14partition_implILS8_4ELb0ES6_15HIP_vector_typeIjLj2EENS0_17counting_iteratorIjlEEPS9_SG_NS0_5tupleIJPjSI_NS0_16reverse_iteratorISI_EEEEENSH_IJSG_SG_SG_EEES9_SI_JZNS1_25segmented_radix_sort_implINS0_14default_configELb1EPKbPbPKlPlN2at6native12_GLOBAL__N_18offset_tEEE10hipError_tPvRmT1_PNSt15iterator_traitsIS12_E10value_typeET2_T3_PNS13_IS18_E10value_typeET4_jRbjT5_S1E_jjP12ihipStream_tbEUljE_ZNSN_ISO_Lb1ESQ_SR_ST_SU_SY_EESZ_S10_S11_S12_S16_S17_S18_S1B_S1C_jS1D_jS1E_S1E_jjS1G_bEUljE0_EEESZ_S10_S11_S18_S1C_S1E_T6_T7_T9_mT8_S1G_bDpT10_ENKUlT_T0_E_clISt17integral_constantIbLb0EES1U_EEDaS1P_S1Q_EUlS1P_E_NS1_11comp_targetILNS1_3genE10ELNS1_11target_archE1200ELNS1_3gpuE4ELNS1_3repE0EEENS1_30default_config_static_selectorELNS0_4arch9wavefront6targetE0EEEvS12_,"axG",@progbits,_ZN7rocprim17ROCPRIM_400000_NS6detail17trampoline_kernelINS0_13select_configILj256ELj13ELNS0_17block_load_methodE3ELS4_3ELS4_3ELNS0_20block_scan_algorithmE0ELj4294967295EEENS1_25partition_config_selectorILNS1_17partition_subalgoE4EjNS0_10empty_typeEbEEZZNS1_14partition_implILS8_4ELb0ES6_15HIP_vector_typeIjLj2EENS0_17counting_iteratorIjlEEPS9_SG_NS0_5tupleIJPjSI_NS0_16reverse_iteratorISI_EEEEENSH_IJSG_SG_SG_EEES9_SI_JZNS1_25segmented_radix_sort_implINS0_14default_configELb1EPKbPbPKlPlN2at6native12_GLOBAL__N_18offset_tEEE10hipError_tPvRmT1_PNSt15iterator_traitsIS12_E10value_typeET2_T3_PNS13_IS18_E10value_typeET4_jRbjT5_S1E_jjP12ihipStream_tbEUljE_ZNSN_ISO_Lb1ESQ_SR_ST_SU_SY_EESZ_S10_S11_S12_S16_S17_S18_S1B_S1C_jS1D_jS1E_S1E_jjS1G_bEUljE0_EEESZ_S10_S11_S18_S1C_S1E_T6_T7_T9_mT8_S1G_bDpT10_ENKUlT_T0_E_clISt17integral_constantIbLb0EES1U_EEDaS1P_S1Q_EUlS1P_E_NS1_11comp_targetILNS1_3genE10ELNS1_11target_archE1200ELNS1_3gpuE4ELNS1_3repE0EEENS1_30default_config_static_selectorELNS0_4arch9wavefront6targetE0EEEvS12_,comdat
	.globl	_ZN7rocprim17ROCPRIM_400000_NS6detail17trampoline_kernelINS0_13select_configILj256ELj13ELNS0_17block_load_methodE3ELS4_3ELS4_3ELNS0_20block_scan_algorithmE0ELj4294967295EEENS1_25partition_config_selectorILNS1_17partition_subalgoE4EjNS0_10empty_typeEbEEZZNS1_14partition_implILS8_4ELb0ES6_15HIP_vector_typeIjLj2EENS0_17counting_iteratorIjlEEPS9_SG_NS0_5tupleIJPjSI_NS0_16reverse_iteratorISI_EEEEENSH_IJSG_SG_SG_EEES9_SI_JZNS1_25segmented_radix_sort_implINS0_14default_configELb1EPKbPbPKlPlN2at6native12_GLOBAL__N_18offset_tEEE10hipError_tPvRmT1_PNSt15iterator_traitsIS12_E10value_typeET2_T3_PNS13_IS18_E10value_typeET4_jRbjT5_S1E_jjP12ihipStream_tbEUljE_ZNSN_ISO_Lb1ESQ_SR_ST_SU_SY_EESZ_S10_S11_S12_S16_S17_S18_S1B_S1C_jS1D_jS1E_S1E_jjS1G_bEUljE0_EEESZ_S10_S11_S18_S1C_S1E_T6_T7_T9_mT8_S1G_bDpT10_ENKUlT_T0_E_clISt17integral_constantIbLb0EES1U_EEDaS1P_S1Q_EUlS1P_E_NS1_11comp_targetILNS1_3genE10ELNS1_11target_archE1200ELNS1_3gpuE4ELNS1_3repE0EEENS1_30default_config_static_selectorELNS0_4arch9wavefront6targetE0EEEvS12_ ; -- Begin function _ZN7rocprim17ROCPRIM_400000_NS6detail17trampoline_kernelINS0_13select_configILj256ELj13ELNS0_17block_load_methodE3ELS4_3ELS4_3ELNS0_20block_scan_algorithmE0ELj4294967295EEENS1_25partition_config_selectorILNS1_17partition_subalgoE4EjNS0_10empty_typeEbEEZZNS1_14partition_implILS8_4ELb0ES6_15HIP_vector_typeIjLj2EENS0_17counting_iteratorIjlEEPS9_SG_NS0_5tupleIJPjSI_NS0_16reverse_iteratorISI_EEEEENSH_IJSG_SG_SG_EEES9_SI_JZNS1_25segmented_radix_sort_implINS0_14default_configELb1EPKbPbPKlPlN2at6native12_GLOBAL__N_18offset_tEEE10hipError_tPvRmT1_PNSt15iterator_traitsIS12_E10value_typeET2_T3_PNS13_IS18_E10value_typeET4_jRbjT5_S1E_jjP12ihipStream_tbEUljE_ZNSN_ISO_Lb1ESQ_SR_ST_SU_SY_EESZ_S10_S11_S12_S16_S17_S18_S1B_S1C_jS1D_jS1E_S1E_jjS1G_bEUljE0_EEESZ_S10_S11_S18_S1C_S1E_T6_T7_T9_mT8_S1G_bDpT10_ENKUlT_T0_E_clISt17integral_constantIbLb0EES1U_EEDaS1P_S1Q_EUlS1P_E_NS1_11comp_targetILNS1_3genE10ELNS1_11target_archE1200ELNS1_3gpuE4ELNS1_3repE0EEENS1_30default_config_static_selectorELNS0_4arch9wavefront6targetE0EEEvS12_
	.p2align	8
	.type	_ZN7rocprim17ROCPRIM_400000_NS6detail17trampoline_kernelINS0_13select_configILj256ELj13ELNS0_17block_load_methodE3ELS4_3ELS4_3ELNS0_20block_scan_algorithmE0ELj4294967295EEENS1_25partition_config_selectorILNS1_17partition_subalgoE4EjNS0_10empty_typeEbEEZZNS1_14partition_implILS8_4ELb0ES6_15HIP_vector_typeIjLj2EENS0_17counting_iteratorIjlEEPS9_SG_NS0_5tupleIJPjSI_NS0_16reverse_iteratorISI_EEEEENSH_IJSG_SG_SG_EEES9_SI_JZNS1_25segmented_radix_sort_implINS0_14default_configELb1EPKbPbPKlPlN2at6native12_GLOBAL__N_18offset_tEEE10hipError_tPvRmT1_PNSt15iterator_traitsIS12_E10value_typeET2_T3_PNS13_IS18_E10value_typeET4_jRbjT5_S1E_jjP12ihipStream_tbEUljE_ZNSN_ISO_Lb1ESQ_SR_ST_SU_SY_EESZ_S10_S11_S12_S16_S17_S18_S1B_S1C_jS1D_jS1E_S1E_jjS1G_bEUljE0_EEESZ_S10_S11_S18_S1C_S1E_T6_T7_T9_mT8_S1G_bDpT10_ENKUlT_T0_E_clISt17integral_constantIbLb0EES1U_EEDaS1P_S1Q_EUlS1P_E_NS1_11comp_targetILNS1_3genE10ELNS1_11target_archE1200ELNS1_3gpuE4ELNS1_3repE0EEENS1_30default_config_static_selectorELNS0_4arch9wavefront6targetE0EEEvS12_,@function
_ZN7rocprim17ROCPRIM_400000_NS6detail17trampoline_kernelINS0_13select_configILj256ELj13ELNS0_17block_load_methodE3ELS4_3ELS4_3ELNS0_20block_scan_algorithmE0ELj4294967295EEENS1_25partition_config_selectorILNS1_17partition_subalgoE4EjNS0_10empty_typeEbEEZZNS1_14partition_implILS8_4ELb0ES6_15HIP_vector_typeIjLj2EENS0_17counting_iteratorIjlEEPS9_SG_NS0_5tupleIJPjSI_NS0_16reverse_iteratorISI_EEEEENSH_IJSG_SG_SG_EEES9_SI_JZNS1_25segmented_radix_sort_implINS0_14default_configELb1EPKbPbPKlPlN2at6native12_GLOBAL__N_18offset_tEEE10hipError_tPvRmT1_PNSt15iterator_traitsIS12_E10value_typeET2_T3_PNS13_IS18_E10value_typeET4_jRbjT5_S1E_jjP12ihipStream_tbEUljE_ZNSN_ISO_Lb1ESQ_SR_ST_SU_SY_EESZ_S10_S11_S12_S16_S17_S18_S1B_S1C_jS1D_jS1E_S1E_jjS1G_bEUljE0_EEESZ_S10_S11_S18_S1C_S1E_T6_T7_T9_mT8_S1G_bDpT10_ENKUlT_T0_E_clISt17integral_constantIbLb0EES1U_EEDaS1P_S1Q_EUlS1P_E_NS1_11comp_targetILNS1_3genE10ELNS1_11target_archE1200ELNS1_3gpuE4ELNS1_3repE0EEENS1_30default_config_static_selectorELNS0_4arch9wavefront6targetE0EEEvS12_: ; @_ZN7rocprim17ROCPRIM_400000_NS6detail17trampoline_kernelINS0_13select_configILj256ELj13ELNS0_17block_load_methodE3ELS4_3ELS4_3ELNS0_20block_scan_algorithmE0ELj4294967295EEENS1_25partition_config_selectorILNS1_17partition_subalgoE4EjNS0_10empty_typeEbEEZZNS1_14partition_implILS8_4ELb0ES6_15HIP_vector_typeIjLj2EENS0_17counting_iteratorIjlEEPS9_SG_NS0_5tupleIJPjSI_NS0_16reverse_iteratorISI_EEEEENSH_IJSG_SG_SG_EEES9_SI_JZNS1_25segmented_radix_sort_implINS0_14default_configELb1EPKbPbPKlPlN2at6native12_GLOBAL__N_18offset_tEEE10hipError_tPvRmT1_PNSt15iterator_traitsIS12_E10value_typeET2_T3_PNS13_IS18_E10value_typeET4_jRbjT5_S1E_jjP12ihipStream_tbEUljE_ZNSN_ISO_Lb1ESQ_SR_ST_SU_SY_EESZ_S10_S11_S12_S16_S17_S18_S1B_S1C_jS1D_jS1E_S1E_jjS1G_bEUljE0_EEESZ_S10_S11_S18_S1C_S1E_T6_T7_T9_mT8_S1G_bDpT10_ENKUlT_T0_E_clISt17integral_constantIbLb0EES1U_EEDaS1P_S1Q_EUlS1P_E_NS1_11comp_targetILNS1_3genE10ELNS1_11target_archE1200ELNS1_3gpuE4ELNS1_3repE0EEENS1_30default_config_static_selectorELNS0_4arch9wavefront6targetE0EEEvS12_
; %bb.0:
	s_clause 0x6
	s_load_b32 s6, s[0:1], 0x80
	s_load_b128 s[24:27], s[0:1], 0x58
	s_load_b64 s[34:35], s[0:1], 0x10
	s_load_b64 s[2:3], s[0:1], 0x68
	s_load_b32 s7, s[0:1], 0x8
	s_load_b64 s[42:43], s[0:1], 0xa8
	s_load_b256 s[16:23], s[0:1], 0x88
	s_mov_b32 s5, 0
	s_mul_i32 s40, ttmp9, 0xd00
	s_wait_kmcnt 0x0
	s_mul_i32 s4, s6, 0xd00
	s_load_b128 s[28:31], s[26:27], 0x0
	s_add_co_i32 s8, s4, s34
	s_add_co_i32 s6, s6, -1
	s_sub_co_i32 s33, s2, s8
	s_add_nc_u64 s[4:5], s[34:35], s[4:5]
	s_addk_co_i32 s33, 0xd00
	s_cmp_eq_u32 ttmp9, s6
	v_cmp_gt_u64_e64 s2, s[2:3], s[4:5]
	s_cselect_b32 s15, -1, 0
	s_cmp_lg_u32 ttmp9, s6
	s_mov_b32 s5, -1
	s_cselect_b32 s3, -1, 0
	s_add_co_i32 s4, s7, s40
	s_wait_alu 0xfffe
	s_or_b32 s3, s3, s2
	s_add_co_i32 s4, s4, s34
	s_wait_alu 0xfffe
	s_and_b32 vcc_lo, exec_lo, s3
	v_add_nc_u32_e32 v1, s4, v0
	s_cbranch_vccz .LBB1473_2
; %bb.1:
	s_delay_alu instid0(VALU_DEP_1)
	v_add_nc_u32_e32 v2, 0x100, v1
	v_lshlrev_b32_e32 v10, 2, v0
	v_add_nc_u32_e32 v3, 0x200, v1
	v_add_nc_u32_e32 v4, 0x300, v1
	;; [unrolled: 1-line block ×11, first 2 shown]
	ds_store_2addr_stride64_b32 v10, v1, v2 offset1:4
	ds_store_2addr_stride64_b32 v10, v3, v4 offset0:8 offset1:12
	ds_store_2addr_stride64_b32 v10, v5, v6 offset0:16 offset1:20
	;; [unrolled: 1-line block ×5, first 2 shown]
	ds_store_b32 v10, v14 offset:12288
	s_wait_dscnt 0x0
	s_barrier_signal -1
	s_mov_b32 s5, 0
	s_barrier_wait -1
.LBB1473_2:
	v_cmp_gt_u32_e64 s2, s33, v0
	v_or_b32_e32 v38, 0x100, v0
	v_or_b32_e32 v37, 0x200, v0
	;; [unrolled: 1-line block ×12, first 2 shown]
	s_wait_alu 0xfffe
	s_and_not1_b32 vcc_lo, exec_lo, s5
	s_cbranch_vccnz .LBB1473_4
; %bb.3:
	v_cmp_gt_u32_e32 vcc_lo, s33, v38
	v_add_nc_u32_e32 v3, s4, v37
	v_add_nc_u32_e32 v2, s4, v38
	v_cndmask_b32_e64 v1, 0, v1, s2
	v_lshlrev_b32_e32 v14, 2, v0
	s_delay_alu instid0(VALU_DEP_3)
	v_cndmask_b32_e32 v2, 0, v2, vcc_lo
	v_cmp_gt_u32_e32 vcc_lo, s33, v37
	s_wait_alu 0xfffd
	v_cndmask_b32_e32 v3, 0, v3, vcc_lo
	v_cmp_gt_u32_e32 vcc_lo, s33, v36
	v_add_nc_u32_e32 v5, s4, v35
	v_add_nc_u32_e32 v4, s4, v36
	s_wait_alu 0xfffd
	s_delay_alu instid0(VALU_DEP_1)
	v_cndmask_b32_e32 v4, 0, v4, vcc_lo
	v_cmp_gt_u32_e32 vcc_lo, s33, v35
	s_wait_alu 0xfffd
	v_cndmask_b32_e32 v5, 0, v5, vcc_lo
	v_cmp_gt_u32_e32 vcc_lo, s33, v34
	v_add_nc_u32_e32 v7, s4, v33
	v_add_nc_u32_e32 v6, s4, v34
	s_wait_alu 0xfffd
	s_delay_alu instid0(VALU_DEP_1)
	;; [unrolled: 9-line block ×5, first 2 shown]
	v_cndmask_b32_e32 v12, 0, v12, vcc_lo
	v_cmp_gt_u32_e32 vcc_lo, s33, v27
	s_wait_alu 0xfffd
	v_cndmask_b32_e32 v13, 0, v13, vcc_lo
	ds_store_2addr_stride64_b32 v14, v1, v2 offset1:4
	ds_store_2addr_stride64_b32 v14, v3, v4 offset0:8 offset1:12
	ds_store_2addr_stride64_b32 v14, v5, v6 offset0:16 offset1:20
	;; [unrolled: 1-line block ×5, first 2 shown]
	ds_store_b32 v14, v13 offset:12288
	s_wait_dscnt 0x0
	s_barrier_signal -1
	s_barrier_wait -1
.LBB1473_4:
	v_mul_u32_u24_e32 v41, 13, v0
	s_clause 0x1
	s_load_b128 s[36:39], s[0:1], 0x28
	s_load_b64 s[26:27], s[0:1], 0x38
	global_inv scope:SCOPE_SE
	v_cndmask_b32_e64 v39, 0, 1, s3
	s_and_not1_b32 vcc_lo, exec_lo, s3
	v_lshlrev_b32_e32 v1, 2, v41
	ds_load_2addr_b32 v[19:20], v1 offset1:1
	ds_load_2addr_b32 v[17:18], v1 offset0:2 offset1:3
	ds_load_2addr_b32 v[15:16], v1 offset0:4 offset1:5
	;; [unrolled: 1-line block ×5, first 2 shown]
	ds_load_b32 v40, v1 offset:48
	s_wait_loadcnt_dscnt 0x0
	s_barrier_signal -1
	s_barrier_wait -1
	global_inv scope:SCOPE_SE
	s_wait_alu 0xfffe
	s_cbranch_vccnz .LBB1473_32
; %bb.5:
	v_add_nc_u32_e32 v1, s17, v19
	v_add_nc_u32_e32 v2, s19, v19
	s_mov_b32 s44, 0
	s_mov_b32 s41, 0
	s_mov_b32 s3, exec_lo
	v_mul_lo_u32 v1, v1, s16
	v_mul_lo_u32 v2, v2, s18
	s_delay_alu instid0(VALU_DEP_1) | instskip(NEXT) | instid1(VALU_DEP_1)
	v_sub_nc_u32_e32 v1, v1, v2
	v_cmp_lt_u32_e32 vcc_lo, s20, v1
	v_cmpx_ge_u32_e64 s20, v1
	s_cbranch_execz .LBB1473_7
; %bb.6:
	v_add_nc_u32_e32 v1, s22, v19
	v_add_nc_u32_e32 v2, s42, v19
	s_delay_alu instid0(VALU_DEP_2) | instskip(NEXT) | instid1(VALU_DEP_2)
	v_mul_lo_u32 v1, v1, s21
	v_mul_lo_u32 v2, v2, s23
	s_delay_alu instid0(VALU_DEP_1) | instskip(NEXT) | instid1(VALU_DEP_1)
	v_sub_nc_u32_e32 v1, v1, v2
	v_cmp_lt_u32_e64 s2, s43, v1
	s_and_b32 s41, s2, exec_lo
.LBB1473_7:
	s_wait_alu 0xfffe
	s_or_b32 exec_lo, exec_lo, s3
	v_add_nc_u32_e32 v1, s17, v20
	v_add_nc_u32_e32 v2, s19, v20
	s_mov_b32 s4, exec_lo
	s_delay_alu instid0(VALU_DEP_2) | instskip(NEXT) | instid1(VALU_DEP_2)
	v_mul_lo_u32 v1, v1, s16
	v_mul_lo_u32 v2, v2, s18
	s_delay_alu instid0(VALU_DEP_1) | instskip(NEXT) | instid1(VALU_DEP_1)
	v_sub_nc_u32_e32 v1, v1, v2
	v_cmp_lt_u32_e64 s2, s20, v1
	v_cmpx_ge_u32_e64 s20, v1
	s_cbranch_execz .LBB1473_9
; %bb.8:
	v_add_nc_u32_e32 v1, s22, v20
	v_add_nc_u32_e32 v2, s42, v20
	s_delay_alu instid0(VALU_DEP_2) | instskip(NEXT) | instid1(VALU_DEP_2)
	v_mul_lo_u32 v1, v1, s21
	v_mul_lo_u32 v2, v2, s23
	s_delay_alu instid0(VALU_DEP_1) | instskip(NEXT) | instid1(VALU_DEP_1)
	v_sub_nc_u32_e32 v1, v1, v2
	v_cmp_lt_u32_e64 s3, s43, v1
	s_and_b32 s44, s3, exec_lo
.LBB1473_9:
	s_wait_alu 0xfffe
	s_or_b32 exec_lo, exec_lo, s4
	v_add_nc_u32_e32 v1, s17, v17
	v_add_nc_u32_e32 v2, s19, v17
	s_mov_b32 s46, 0
	s_mov_b32 s45, 0
	s_mov_b32 s5, exec_lo
	v_mul_lo_u32 v1, v1, s16
	v_mul_lo_u32 v2, v2, s18
	s_delay_alu instid0(VALU_DEP_1) | instskip(NEXT) | instid1(VALU_DEP_1)
	v_sub_nc_u32_e32 v1, v1, v2
	v_cmp_lt_u32_e64 s3, s20, v1
	v_cmpx_ge_u32_e64 s20, v1
	s_cbranch_execz .LBB1473_11
; %bb.10:
	v_add_nc_u32_e32 v1, s22, v17
	v_add_nc_u32_e32 v2, s42, v17
	s_delay_alu instid0(VALU_DEP_2) | instskip(NEXT) | instid1(VALU_DEP_2)
	v_mul_lo_u32 v1, v1, s21
	v_mul_lo_u32 v2, v2, s23
	s_delay_alu instid0(VALU_DEP_1) | instskip(NEXT) | instid1(VALU_DEP_1)
	v_sub_nc_u32_e32 v1, v1, v2
	v_cmp_lt_u32_e64 s4, s43, v1
	s_and_b32 s45, s4, exec_lo
.LBB1473_11:
	s_wait_alu 0xfffe
	s_or_b32 exec_lo, exec_lo, s5
	v_add_nc_u32_e32 v1, s17, v18
	v_add_nc_u32_e32 v2, s19, v18
	s_mov_b32 s6, exec_lo
	s_delay_alu instid0(VALU_DEP_2) | instskip(NEXT) | instid1(VALU_DEP_2)
	v_mul_lo_u32 v1, v1, s16
	v_mul_lo_u32 v2, v2, s18
	s_delay_alu instid0(VALU_DEP_1) | instskip(NEXT) | instid1(VALU_DEP_1)
	v_sub_nc_u32_e32 v1, v1, v2
	v_cmp_lt_u32_e64 s4, s20, v1
	v_cmpx_ge_u32_e64 s20, v1
	s_cbranch_execz .LBB1473_13
; %bb.12:
	v_add_nc_u32_e32 v1, s22, v18
	v_add_nc_u32_e32 v2, s42, v18
	s_delay_alu instid0(VALU_DEP_2) | instskip(NEXT) | instid1(VALU_DEP_2)
	v_mul_lo_u32 v1, v1, s21
	v_mul_lo_u32 v2, v2, s23
	s_delay_alu instid0(VALU_DEP_1) | instskip(NEXT) | instid1(VALU_DEP_1)
	v_sub_nc_u32_e32 v1, v1, v2
	v_cmp_lt_u32_e64 s5, s43, v1
	s_and_b32 s46, s5, exec_lo
.LBB1473_13:
	s_or_b32 exec_lo, exec_lo, s6
	v_add_nc_u32_e32 v1, s17, v15
	v_add_nc_u32_e32 v2, s19, v15
	s_mov_b32 s48, 0
	s_mov_b32 s47, 0
	s_mov_b32 s7, exec_lo
	v_mul_lo_u32 v1, v1, s16
	v_mul_lo_u32 v2, v2, s18
	s_delay_alu instid0(VALU_DEP_1) | instskip(NEXT) | instid1(VALU_DEP_1)
	v_sub_nc_u32_e32 v1, v1, v2
	v_cmp_lt_u32_e64 s5, s20, v1
	v_cmpx_ge_u32_e64 s20, v1
	s_cbranch_execz .LBB1473_15
; %bb.14:
	v_add_nc_u32_e32 v1, s22, v15
	v_add_nc_u32_e32 v2, s42, v15
	s_delay_alu instid0(VALU_DEP_2) | instskip(NEXT) | instid1(VALU_DEP_2)
	v_mul_lo_u32 v1, v1, s21
	v_mul_lo_u32 v2, v2, s23
	s_delay_alu instid0(VALU_DEP_1) | instskip(NEXT) | instid1(VALU_DEP_1)
	v_sub_nc_u32_e32 v1, v1, v2
	v_cmp_lt_u32_e64 s6, s43, v1
	s_and_b32 s47, s6, exec_lo
.LBB1473_15:
	s_or_b32 exec_lo, exec_lo, s7
	v_add_nc_u32_e32 v1, s17, v16
	v_add_nc_u32_e32 v2, s19, v16
	s_mov_b32 s8, exec_lo
	s_delay_alu instid0(VALU_DEP_2) | instskip(NEXT) | instid1(VALU_DEP_2)
	v_mul_lo_u32 v1, v1, s16
	v_mul_lo_u32 v2, v2, s18
	s_delay_alu instid0(VALU_DEP_1) | instskip(NEXT) | instid1(VALU_DEP_1)
	v_sub_nc_u32_e32 v1, v1, v2
	v_cmp_lt_u32_e64 s6, s20, v1
	v_cmpx_ge_u32_e64 s20, v1
	s_cbranch_execz .LBB1473_17
; %bb.16:
	v_add_nc_u32_e32 v1, s22, v16
	v_add_nc_u32_e32 v2, s42, v16
	s_delay_alu instid0(VALU_DEP_2) | instskip(NEXT) | instid1(VALU_DEP_2)
	v_mul_lo_u32 v1, v1, s21
	v_mul_lo_u32 v2, v2, s23
	s_delay_alu instid0(VALU_DEP_1) | instskip(NEXT) | instid1(VALU_DEP_1)
	v_sub_nc_u32_e32 v1, v1, v2
	v_cmp_lt_u32_e64 s7, s43, v1
	s_and_b32 s48, s7, exec_lo
.LBB1473_17:
	s_or_b32 exec_lo, exec_lo, s8
	v_add_nc_u32_e32 v1, s17, v13
	v_add_nc_u32_e32 v2, s19, v13
	s_mov_b32 s50, 0
	s_mov_b32 s49, 0
	s_mov_b32 s9, exec_lo
	v_mul_lo_u32 v1, v1, s16
	v_mul_lo_u32 v2, v2, s18
	s_delay_alu instid0(VALU_DEP_1) | instskip(NEXT) | instid1(VALU_DEP_1)
	v_sub_nc_u32_e32 v1, v1, v2
	v_cmp_lt_u32_e64 s7, s20, v1
	v_cmpx_ge_u32_e64 s20, v1
	s_cbranch_execz .LBB1473_19
; %bb.18:
	v_add_nc_u32_e32 v1, s22, v13
	v_add_nc_u32_e32 v2, s42, v13
	s_delay_alu instid0(VALU_DEP_2) | instskip(NEXT) | instid1(VALU_DEP_2)
	v_mul_lo_u32 v1, v1, s21
	v_mul_lo_u32 v2, v2, s23
	s_delay_alu instid0(VALU_DEP_1) | instskip(NEXT) | instid1(VALU_DEP_1)
	v_sub_nc_u32_e32 v1, v1, v2
	v_cmp_lt_u32_e64 s8, s43, v1
	s_and_b32 s49, s8, exec_lo
.LBB1473_19:
	;; [unrolled: 47-line block ×5, first 2 shown]
	s_or_b32 exec_lo, exec_lo, s57
	v_cndmask_b32_e64 v2, 0, 1, s2
	s_wait_alu 0xf1ff
	v_cndmask_b32_e64 v4, 0, 1, s4
	s_wait_alu 0xfffd
	v_cndmask_b32_e64 v1, 0, 1, vcc_lo
	v_cndmask_b32_e64 v3, 0, 1, s3
	v_cndmask_b32_e64 v6, 0, 1, s6
	v_lshlrev_b16 v2, 8, v2
	v_lshlrev_b16 v4, 8, v4
	v_cndmask_b32_e64 v8, 0, 1, s8
	v_cndmask_b32_e64 v22, 0, 1, s10
	;; [unrolled: 1-line block ×3, first 2 shown]
	v_or_b32_e32 v1, v1, v2
	v_or_b32_e32 v2, v3, v4
	v_cndmask_b32_e64 v51, 0, 1, s41
	v_cndmask_b32_e64 v5, 0, 1, s5
	;; [unrolled: 1-line block ×3, first 2 shown]
	v_and_b32_e32 v1, 0xffff, v1
	v_lshlrev_b32_e32 v2, 16, v2
	v_cndmask_b32_e64 v21, 0, 1, s9
	v_cndmask_b32_e64 v23, 0, 1, s11
	;; [unrolled: 1-line block ×8, first 2 shown]
	v_or_b32_e32 v42, v1, v2
	v_lshlrev_b16 v1, 8, v6
	v_lshlrev_b16 v2, 8, v8
	;; [unrolled: 1-line block ×5, first 2 shown]
	v_cndmask_b32_e64 v26, 0, 1, s53
	v_cndmask_b32_e64 v44, 0, 1, s50
	;; [unrolled: 1-line block ×5, first 2 shown]
	v_or_b32_e32 v1, v5, v1
	v_or_b32_e32 v2, v7, v2
	;; [unrolled: 1-line block ×5, first 2 shown]
	v_lshlrev_b16 v4, 8, v4
	v_lshlrev_b16 v8, 8, v49
	;; [unrolled: 1-line block ×5, first 2 shown]
	v_or_b32_e32 v4, v50, v4
	v_or_b32_e32 v3, v3, v8
	;; [unrolled: 1-line block ×5, first 2 shown]
	v_and_b32_e32 v1, 0xffff, v1
	v_lshlrev_b32_e32 v2, 16, v2
	v_and_b32_e32 v5, 0xffff, v5
	v_lshlrev_b32_e32 v6, 16, v6
	;; [unrolled: 2-line block ×5, first 2 shown]
	v_cndmask_b32_e64 v45, 0, 1, s54
	v_cndmask_b32_e64 v48, 0, 1, s56
	v_or_b32_e32 v44, v1, v2
	v_or_b32_e32 v47, v5, v6
	v_or_b32_e32 v49, v7, v4
	v_or_b32_e32 v43, v3, v8
	v_or_b32_e32 v46, v21, v22
	s_load_b64 s[4:5], s[0:1], 0x78
	s_and_b32 vcc_lo, exec_lo, s51
	s_wait_alu 0xfffe
	s_cbranch_vccnz .LBB1473_33
	s_branch .LBB1473_110
.LBB1473_32:
                                        ; implicit-def: $vgpr48
                                        ; implicit-def: $vgpr45
                                        ; implicit-def: $vgpr46
                                        ; implicit-def: $vgpr43
                                        ; implicit-def: $vgpr49
                                        ; implicit-def: $vgpr47
                                        ; implicit-def: $vgpr44
                                        ; implicit-def: $vgpr42
	s_load_b64 s[4:5], s[0:1], 0x78
	s_cbranch_execz .LBB1473_110
.LBB1473_33:
	v_dual_mov_b32 v2, 0 :: v_dual_mov_b32 v1, 0
	s_mov_b32 s1, exec_lo
	v_cmpx_gt_u32_e64 s33, v41
	s_cbranch_execz .LBB1473_37
; %bb.34:
	v_add_nc_u32_e32 v1, s17, v19
	v_add_nc_u32_e32 v2, s19, v19
	s_mov_b32 s3, 0
	s_mov_b32 s2, exec_lo
	s_delay_alu instid0(VALU_DEP_2) | instskip(NEXT) | instid1(VALU_DEP_2)
	v_mul_lo_u32 v1, v1, s16
	v_mul_lo_u32 v2, v2, s18
	s_delay_alu instid0(VALU_DEP_1) | instskip(NEXT) | instid1(VALU_DEP_1)
	v_sub_nc_u32_e32 v1, v1, v2
	v_cmp_lt_u32_e32 vcc_lo, s20, v1
	v_cmpx_ge_u32_e64 s20, v1
	s_cbranch_execz .LBB1473_36
; %bb.35:
	v_add_nc_u32_e32 v1, s22, v19
	v_add_nc_u32_e32 v2, s42, v19
	s_delay_alu instid0(VALU_DEP_2) | instskip(NEXT) | instid1(VALU_DEP_2)
	v_mul_lo_u32 v1, v1, s21
	v_mul_lo_u32 v2, v2, s23
	s_delay_alu instid0(VALU_DEP_1) | instskip(NEXT) | instid1(VALU_DEP_1)
	v_sub_nc_u32_e32 v1, v1, v2
	v_cmp_lt_u32_e64 s0, s43, v1
	s_and_b32 s3, s0, exec_lo
.LBB1473_36:
	s_wait_alu 0xfffe
	s_or_b32 exec_lo, exec_lo, s2
	v_cndmask_b32_e64 v2, 0, 1, s3
	s_wait_alu 0xfffd
	v_cndmask_b32_e64 v1, 0, 1, vcc_lo
.LBB1473_37:
	s_or_b32 exec_lo, exec_lo, s1
	s_delay_alu instid0(VALU_DEP_2) | instskip(SKIP_1) | instid1(VALU_DEP_3)
	v_lshlrev_b16 v2, 8, v2
	v_add_nc_u32_e32 v3, 1, v41
	v_and_b32_e32 v6, 0xff, v1
	v_lshlrev_b16 v1, 8, 0
                                        ; implicit-def: $vgpr5
                                        ; implicit-def: $vgpr8
                                        ; implicit-def: $vgpr4
	s_delay_alu instid0(VALU_DEP_4) | instskip(NEXT) | instid1(VALU_DEP_4)
	v_and_b32_e32 v2, 0xffff, v2
	v_cmp_le_u32_e32 vcc_lo, s33, v3
                                        ; implicit-def: $vgpr3
	s_delay_alu instid0(VALU_DEP_2) | instskip(SKIP_2) | instid1(SALU_CYCLE_1)
	v_lshrrev_b32_e32 v21, 8, v2
	v_and_b32_e32 v7, 0xff, v2
                                        ; implicit-def: $vgpr2
	s_and_saveexec_b32 s0, vcc_lo
	s_xor_b32 s0, exec_lo, s0
	s_cbranch_execz .LBB1473_39
; %bb.38:
	v_lshlrev_b16 v2, 8, v21
	v_and_b32_e32 v4, 0xffff, v1
                                        ; implicit-def: $vgpr21
	v_mov_b32_e32 v5, 0
	s_delay_alu instid0(VALU_DEP_3) | instskip(SKIP_1) | instid1(VALU_DEP_2)
	v_or_b32_e32 v3, v7, v2
	v_mov_b32_e32 v2, 0
                                        ; implicit-def: $vgpr7
	v_and_b32_e32 v8, 0xffff, v3
	v_and_b32_e32 v3, 0xffff, v1
                                        ; implicit-def: $vgpr1
.LBB1473_39:
	s_and_not1_saveexec_b32 s1, s0
	s_cbranch_execz .LBB1473_43
; %bb.40:
	v_add_nc_u32_e32 v2, s17, v20
	v_add_nc_u32_e32 v3, s19, v20
	s_mov_b32 s2, 0
	s_mov_b32 s3, exec_lo
	s_delay_alu instid0(VALU_DEP_2) | instskip(NEXT) | instid1(VALU_DEP_2)
	v_mul_lo_u32 v2, v2, s16
	v_mul_lo_u32 v3, v3, s18
	s_delay_alu instid0(VALU_DEP_1) | instskip(NEXT) | instid1(VALU_DEP_1)
	v_sub_nc_u32_e32 v2, v2, v3
	v_cmp_lt_u32_e32 vcc_lo, s20, v2
	v_cmpx_ge_u32_e64 s20, v2
	s_cbranch_execz .LBB1473_42
; %bb.41:
	v_add_nc_u32_e32 v2, s22, v20
	v_add_nc_u32_e32 v3, s42, v20
	s_delay_alu instid0(VALU_DEP_2) | instskip(NEXT) | instid1(VALU_DEP_2)
	v_mul_lo_u32 v2, v2, s21
	v_mul_lo_u32 v3, v3, s23
	s_delay_alu instid0(VALU_DEP_1) | instskip(NEXT) | instid1(VALU_DEP_1)
	v_sub_nc_u32_e32 v2, v2, v3
	v_cmp_lt_u32_e64 s0, s43, v2
	s_and_b32 s2, s0, exec_lo
.LBB1473_42:
	s_wait_alu 0xfffe
	s_or_b32 exec_lo, exec_lo, s3
	s_wait_alu 0xfffd
	v_cndmask_b32_e64 v2, 0, 1, vcc_lo
	v_lshlrev_b16 v3, 8, v21
	v_dual_mov_b32 v5, 0 :: v_dual_and_b32 v4, 0xffff, v1
	s_delay_alu instid0(VALU_DEP_3) | instskip(NEXT) | instid1(VALU_DEP_3)
	v_lshlrev_b16 v2, 8, v2
	v_or_b32_e32 v3, v7, v3
	v_cndmask_b32_e64 v7, 0, 1, s2
	s_delay_alu instid0(VALU_DEP_3) | instskip(NEXT) | instid1(VALU_DEP_3)
	v_or_b32_e32 v6, v6, v2
	v_dual_mov_b32 v2, 0 :: v_dual_and_b32 v3, 0xffff, v3
	s_delay_alu instid0(VALU_DEP_2) | instskip(NEXT) | instid1(VALU_DEP_2)
	v_and_b32_e32 v6, 0xffff, v6
	v_lshl_or_b32 v8, v7, 16, v3
	v_and_b32_e32 v3, 0xffff, v1
.LBB1473_43:
	s_or_b32 exec_lo, exec_lo, s1
	v_add_nc_u32_e32 v1, 2, v41
	v_and_b32_e32 v21, 0xff, v6
	v_lshrrev_b32_e32 v22, 8, v6
                                        ; implicit-def: $vgpr7
	s_delay_alu instid0(VALU_DEP_3) | instskip(SKIP_1) | instid1(SALU_CYCLE_1)
	v_cmp_le_u32_e32 vcc_lo, s33, v1
                                        ; implicit-def: $vgpr1
	s_and_saveexec_b32 s0, vcc_lo
	s_xor_b32 s0, exec_lo, s0
	s_cbranch_execz .LBB1473_45
; %bb.44:
	v_lshlrev_b16 v1, 8, v22
	v_perm_b32 v4, v4, v4, 0x3060504
                                        ; implicit-def: $vgpr22
	s_delay_alu instid0(VALU_DEP_2) | instskip(SKIP_1) | instid1(VALU_DEP_2)
	v_or_b32_e32 v1, v21, v1
	v_and_b32_e32 v21, 0xff0000, v8
	v_and_b32_e32 v1, 0xffff, v1
	s_delay_alu instid0(VALU_DEP_1) | instskip(NEXT) | instid1(VALU_DEP_3)
	v_and_or_b32 v7, 0xff000000, v6, v1
	v_perm_b32 v1, v8, v21, 0x3020504
                                        ; implicit-def: $vgpr21
                                        ; implicit-def: $vgpr6
                                        ; implicit-def: $vgpr8
.LBB1473_45:
	s_and_not1_saveexec_b32 s1, s0
	s_cbranch_execz .LBB1473_49
; %bb.46:
	v_add_nc_u32_e32 v1, s17, v17
	v_add_nc_u32_e32 v7, s19, v17
	s_mov_b32 s2, 0
	s_mov_b32 s3, exec_lo
	s_delay_alu instid0(VALU_DEP_2) | instskip(NEXT) | instid1(VALU_DEP_2)
	v_mul_lo_u32 v1, v1, s16
	v_mul_lo_u32 v7, v7, s18
	s_delay_alu instid0(VALU_DEP_1) | instskip(NEXT) | instid1(VALU_DEP_1)
	v_sub_nc_u32_e32 v1, v1, v7
	v_cmp_lt_u32_e32 vcc_lo, s20, v1
	v_cmpx_ge_u32_e64 s20, v1
	s_cbranch_execz .LBB1473_48
; %bb.47:
	v_add_nc_u32_e32 v1, s22, v17
	v_add_nc_u32_e32 v7, s42, v17
	s_delay_alu instid0(VALU_DEP_2) | instskip(NEXT) | instid1(VALU_DEP_2)
	v_mul_lo_u32 v1, v1, s21
	v_mul_lo_u32 v7, v7, s23
	s_delay_alu instid0(VALU_DEP_1) | instskip(NEXT) | instid1(VALU_DEP_1)
	v_sub_nc_u32_e32 v1, v1, v7
	v_cmp_lt_u32_e64 s0, s43, v1
	s_and_b32 s2, s0, exec_lo
.LBB1473_48:
	s_wait_alu 0xfffe
	s_or_b32 exec_lo, exec_lo, s3
	v_lshrrev_b32_e32 v6, 24, v6
	v_cndmask_b32_e64 v7, 0, 1, s2
	v_lshrrev_b32_e32 v23, 8, v8
	v_lshrrev_b32_e32 v24, 16, v8
	s_wait_alu 0xfffd
	v_cndmask_b32_e64 v1, 0, 1, vcc_lo
	v_lshlrev_b16 v22, 8, v22
	v_lshlrev_b16 v6, 8, v6
	v_and_b32_e32 v8, 0xff, v8
	v_lshlrev_b16 v23, 8, v23
	v_lshlrev_b16 v7, 8, v7
	v_and_b32_e32 v24, 0xff, v24
	v_or_b32_e32 v21, v21, v22
	v_or_b32_e32 v1, v1, v6
	;; [unrolled: 1-line block ×3, first 2 shown]
	s_delay_alu instid0(VALU_DEP_4) | instskip(NEXT) | instid1(VALU_DEP_4)
	v_or_b32_e32 v7, v24, v7
	v_and_b32_e32 v8, 0xffff, v21
	s_delay_alu instid0(VALU_DEP_4) | instskip(NEXT) | instid1(VALU_DEP_4)
	v_lshlrev_b32_e32 v1, 16, v1
	v_and_b32_e32 v6, 0xffff, v6
	s_delay_alu instid0(VALU_DEP_4) | instskip(NEXT) | instid1(VALU_DEP_3)
	v_lshlrev_b32_e32 v21, 16, v7
	v_or_b32_e32 v7, v8, v1
	s_delay_alu instid0(VALU_DEP_2)
	v_or_b32_e32 v1, v6, v21
.LBB1473_49:
	s_or_b32 exec_lo, exec_lo, s1
	v_add_nc_u32_e32 v6, 3, v41
	v_lshrrev_b32_e32 v8, 24, v5
	v_lshrrev_b32_e32 v21, 16, v5
	;; [unrolled: 1-line block ×3, first 2 shown]
                                        ; implicit-def: $vgpr42
	s_delay_alu instid0(VALU_DEP_4) | instskip(SKIP_1) | instid1(SALU_CYCLE_1)
	v_cmp_le_u32_e32 vcc_lo, s33, v6
                                        ; implicit-def: $vgpr6
	s_and_saveexec_b32 s0, vcc_lo
	s_xor_b32 s0, exec_lo, s0
	s_cbranch_execz .LBB1473_51
; %bb.50:
	v_lshlrev_b16 v6, 8, v8
	v_and_b32_e32 v8, 0xff, v21
	v_lshlrev_b16 v5, 8, v5
	v_perm_b32 v4, v4, v4, 0x3060504
	v_perm_b32 v3, v3, v3, 0x3060504
                                        ; implicit-def: $vgpr21
	s_delay_alu instid0(VALU_DEP_4) | instskip(SKIP_2) | instid1(VALU_DEP_3)
	v_or_b32_e32 v6, v8, v6
	v_and_b32_e32 v8, 0xff0000, v7
	v_and_b32_e32 v5, 0xffff, v5
	v_lshlrev_b32_e32 v6, 16, v6
	s_delay_alu instid0(VALU_DEP_3) | instskip(NEXT) | instid1(VALU_DEP_2)
	v_perm_b32 v42, v7, v8, 0x3020504
                                        ; implicit-def: $vgpr7
                                        ; implicit-def: $vgpr8
	v_or_b32_e32 v6, v5, v6
                                        ; implicit-def: $vgpr5
.LBB1473_51:
	s_and_not1_saveexec_b32 s1, s0
	s_cbranch_execz .LBB1473_55
; %bb.52:
	v_add_nc_u32_e32 v6, s17, v18
	v_add_nc_u32_e32 v22, s19, v18
	s_mov_b32 s2, 0
	s_mov_b32 s3, exec_lo
	s_delay_alu instid0(VALU_DEP_2) | instskip(NEXT) | instid1(VALU_DEP_2)
	v_mul_lo_u32 v6, v6, s16
	v_mul_lo_u32 v22, v22, s18
	s_delay_alu instid0(VALU_DEP_1) | instskip(NEXT) | instid1(VALU_DEP_1)
	v_sub_nc_u32_e32 v6, v6, v22
	v_cmp_lt_u32_e32 vcc_lo, s20, v6
	v_cmpx_ge_u32_e64 s20, v6
	s_cbranch_execz .LBB1473_54
; %bb.53:
	v_add_nc_u32_e32 v6, s22, v18
	v_add_nc_u32_e32 v22, s42, v18
	s_delay_alu instid0(VALU_DEP_2) | instskip(NEXT) | instid1(VALU_DEP_2)
	v_mul_lo_u32 v6, v6, s21
	v_mul_lo_u32 v22, v22, s23
	s_delay_alu instid0(VALU_DEP_1) | instskip(NEXT) | instid1(VALU_DEP_1)
	v_sub_nc_u32_e32 v6, v6, v22
	v_cmp_lt_u32_e64 s0, s43, v6
	s_and_b32 s2, s0, exec_lo
.LBB1473_54:
	s_wait_alu 0xfffe
	s_or_b32 exec_lo, exec_lo, s3
	v_lshrrev_b32_e32 v6, 8, v7
	s_wait_alu 0xfffd
	v_cndmask_b32_e64 v22, 0, 1, vcc_lo
	v_lshrrev_b32_e32 v23, 16, v7
	v_cndmask_b32_e64 v24, 0, 1, s2
	v_and_b32_e32 v7, 0xff, v7
	v_lshlrev_b16 v6, 8, v6
	v_lshlrev_b16 v22, 8, v22
	v_and_b32_e32 v23, 0xff, v23
	v_lshlrev_b16 v8, 8, v8
	v_and_b32_e32 v21, 0xff, v21
	v_lshlrev_b16 v5, 8, v5
	v_or_b32_e32 v6, v7, v6
	v_or_b32_e32 v7, v23, v22
	s_delay_alu instid0(VALU_DEP_4) | instskip(NEXT) | instid1(VALU_DEP_4)
	v_or_b32_e32 v8, v21, v8
	v_or_b32_e32 v5, v24, v5
	s_delay_alu instid0(VALU_DEP_4) | instskip(NEXT) | instid1(VALU_DEP_4)
	v_and_b32_e32 v6, 0xffff, v6
	v_lshlrev_b32_e32 v7, 16, v7
	s_delay_alu instid0(VALU_DEP_4) | instskip(NEXT) | instid1(VALU_DEP_4)
	v_lshlrev_b32_e32 v8, 16, v8
	v_and_b32_e32 v5, 0xffff, v5
	s_delay_alu instid0(VALU_DEP_3) | instskip(NEXT) | instid1(VALU_DEP_2)
	v_or_b32_e32 v42, v6, v7
	v_or_b32_e32 v6, v5, v8
.LBB1473_55:
	s_or_b32 exec_lo, exec_lo, s1
	v_add_nc_u32_e32 v5, 4, v41
	v_lshrrev_b32_e32 v21, 8, v4
	v_lshrrev_b32_e32 v22, 16, v4
	;; [unrolled: 1-line block ×4, first 2 shown]
	v_cmp_le_u32_e32 vcc_lo, s33, v5
	v_lshrrev_b32_e32 v8, 16, v6
                                        ; implicit-def: $vgpr4
                                        ; implicit-def: $vgpr5
	s_and_saveexec_b32 s0, vcc_lo
	s_delay_alu instid0(SALU_CYCLE_1)
	s_xor_b32 s0, exec_lo, s0
	s_cbranch_execz .LBB1473_57
; %bb.56:
	v_lshlrev_b16 v4, 8, v23
	v_and_b32_e32 v5, 0xff, v22
	v_lshlrev_b16 v21, 8, v21
	v_lshlrev_b16 v7, 8, v7
	v_and_b32_e32 v8, 0xff, v8
	v_perm_b32 v3, v3, v3, 0x3060504
	v_or_b32_e32 v4, v5, v4
	v_and_b32_e32 v5, 0xffff, v21
                                        ; implicit-def: $vgpr21
                                        ; implicit-def: $vgpr22
                                        ; implicit-def: $vgpr23
	s_delay_alu instid0(VALU_DEP_4) | instskip(NEXT) | instid1(VALU_DEP_3)
	v_or_b32_e32 v7, v8, v7
	v_lshlrev_b32_e32 v8, 16, v4
	s_delay_alu instid0(VALU_DEP_2) | instskip(NEXT) | instid1(VALU_DEP_2)
	v_perm_b32 v4, v7, v6, 0x5040c00
                                        ; implicit-def: $vgpr6
                                        ; implicit-def: $vgpr7
	v_or_b32_e32 v5, v5, v8
                                        ; implicit-def: $vgpr8
.LBB1473_57:
	s_and_not1_saveexec_b32 s1, s0
	s_cbranch_execz .LBB1473_61
; %bb.58:
	v_add_nc_u32_e32 v4, s17, v15
	v_add_nc_u32_e32 v5, s19, v15
	s_mov_b32 s2, 0
	s_mov_b32 s3, exec_lo
	s_delay_alu instid0(VALU_DEP_2) | instskip(NEXT) | instid1(VALU_DEP_2)
	v_mul_lo_u32 v4, v4, s16
	v_mul_lo_u32 v5, v5, s18
	s_delay_alu instid0(VALU_DEP_1) | instskip(NEXT) | instid1(VALU_DEP_1)
	v_sub_nc_u32_e32 v4, v4, v5
	v_cmp_lt_u32_e32 vcc_lo, s20, v4
	v_cmpx_ge_u32_e64 s20, v4
	s_cbranch_execz .LBB1473_60
; %bb.59:
	v_add_nc_u32_e32 v4, s22, v15
	v_add_nc_u32_e32 v5, s42, v15
	s_delay_alu instid0(VALU_DEP_2) | instskip(NEXT) | instid1(VALU_DEP_2)
	v_mul_lo_u32 v4, v4, s21
	v_mul_lo_u32 v5, v5, s23
	s_delay_alu instid0(VALU_DEP_1) | instskip(NEXT) | instid1(VALU_DEP_1)
	v_sub_nc_u32_e32 v4, v4, v5
	v_cmp_lt_u32_e64 s0, s43, v4
	s_and_b32 s2, s0, exec_lo
.LBB1473_60:
	s_wait_alu 0xfffe
	s_or_b32 exec_lo, exec_lo, s3
	v_cndmask_b32_e64 v4, 0, 1, s2
	s_wait_alu 0xfffd
	v_cndmask_b32_e64 v5, 0, 1, vcc_lo
	v_lshlrev_b16 v23, 8, v23
	v_and_b32_e32 v22, 0xff, v22
	v_lshlrev_b16 v21, 8, v21
	v_lshlrev_b16 v4, 8, v4
	v_and_b32_e32 v6, 0xff, v6
	v_lshlrev_b16 v7, 8, v7
	v_and_b32_e32 v8, 0xff, v8
	v_or_b32_e32 v22, v22, v23
	v_or_b32_e32 v5, v5, v21
	;; [unrolled: 1-line block ×3, first 2 shown]
	s_delay_alu instid0(VALU_DEP_4) | instskip(NEXT) | instid1(VALU_DEP_4)
	v_or_b32_e32 v6, v8, v7
	v_lshlrev_b32_e32 v7, 16, v22
	s_delay_alu instid0(VALU_DEP_4) | instskip(NEXT) | instid1(VALU_DEP_4)
	v_and_b32_e32 v5, 0xffff, v5
	v_and_b32_e32 v4, 0xffff, v4
	s_delay_alu instid0(VALU_DEP_4) | instskip(NEXT) | instid1(VALU_DEP_3)
	v_lshlrev_b32_e32 v6, 16, v6
	v_or_b32_e32 v5, v5, v7
	s_delay_alu instid0(VALU_DEP_2)
	v_or_b32_e32 v4, v4, v6
.LBB1473_61:
	s_or_b32 exec_lo, exec_lo, s1
	v_add_nc_u32_e32 v6, 5, v41
	s_delay_alu instid0(VALU_DEP_2)
	v_lshrrev_b32_e32 v21, 16, v5
	v_lshrrev_b32_e32 v23, 24, v5
	v_and_b32_e32 v8, 0xff, v4
	v_lshrrev_b32_e32 v22, 8, v4
	v_cmp_le_u32_e32 vcc_lo, s33, v6
                                        ; implicit-def: $vgpr6
                                        ; implicit-def: $vgpr7
	s_and_saveexec_b32 s0, vcc_lo
	s_delay_alu instid0(SALU_CYCLE_1)
	s_xor_b32 s0, exec_lo, s0
	s_cbranch_execz .LBB1473_63
; %bb.62:
	v_lshlrev_b16 v6, 8, v22
	v_lshlrev_b16 v7, 8, v23
	v_and_b32_e32 v21, 0xff, v21
	v_perm_b32 v3, v3, v3, 0x3060504
                                        ; implicit-def: $vgpr23
                                        ; implicit-def: $vgpr22
	s_delay_alu instid0(VALU_DEP_4) | instskip(NEXT) | instid1(VALU_DEP_3)
	v_or_b32_e32 v6, v8, v6
                                        ; implicit-def: $vgpr8
	v_or_b32_e32 v7, v21, v7
                                        ; implicit-def: $vgpr21
	s_delay_alu instid0(VALU_DEP_2) | instskip(NEXT) | instid1(VALU_DEP_2)
	v_and_b32_e32 v6, 0xffff, v6
	v_perm_b32 v7, v7, v5, 0x5040c00
                                        ; implicit-def: $vgpr5
	s_delay_alu instid0(VALU_DEP_2)
	v_and_or_b32 v6, 0xff000000, v4, v6
                                        ; implicit-def: $vgpr4
.LBB1473_63:
	s_and_not1_saveexec_b32 s1, s0
	s_cbranch_execz .LBB1473_67
; %bb.64:
	v_add_nc_u32_e32 v6, s17, v16
	v_add_nc_u32_e32 v7, s19, v16
	s_mov_b32 s2, 0
	s_mov_b32 s3, exec_lo
	s_delay_alu instid0(VALU_DEP_2) | instskip(NEXT) | instid1(VALU_DEP_2)
	v_mul_lo_u32 v6, v6, s16
	v_mul_lo_u32 v7, v7, s18
	s_delay_alu instid0(VALU_DEP_1) | instskip(NEXT) | instid1(VALU_DEP_1)
	v_sub_nc_u32_e32 v6, v6, v7
	v_cmp_lt_u32_e32 vcc_lo, s20, v6
	v_cmpx_ge_u32_e64 s20, v6
	s_cbranch_execz .LBB1473_66
; %bb.65:
	v_add_nc_u32_e32 v6, s22, v16
	v_add_nc_u32_e32 v7, s42, v16
	s_delay_alu instid0(VALU_DEP_2) | instskip(NEXT) | instid1(VALU_DEP_2)
	v_mul_lo_u32 v6, v6, s21
	v_mul_lo_u32 v7, v7, s23
	s_delay_alu instid0(VALU_DEP_1) | instskip(NEXT) | instid1(VALU_DEP_1)
	v_sub_nc_u32_e32 v6, v6, v7
	v_cmp_lt_u32_e64 s0, s43, v6
	s_and_b32 s2, s0, exec_lo
.LBB1473_66:
	s_wait_alu 0xfffe
	s_or_b32 exec_lo, exec_lo, s3
	s_wait_alu 0xfffd
	v_cndmask_b32_e64 v6, 0, 1, vcc_lo
	v_lshrrev_b32_e32 v4, 24, v4
	v_cndmask_b32_e64 v7, 0, 1, s2
	v_lshlrev_b16 v23, 8, v23
	v_and_b32_e32 v21, 0xff, v21
	v_lshlrev_b16 v6, 8, v6
	v_lshlrev_b16 v22, 8, v22
	v_and_b32_e32 v5, 0xff, v5
	v_lshlrev_b16 v4, 8, v4
	v_or_b32_e32 v21, v21, v23
	s_delay_alu instid0(VALU_DEP_4) | instskip(NEXT) | instid1(VALU_DEP_4)
	v_or_b32_e32 v8, v8, v22
	v_or_b32_e32 v5, v5, v6
	s_delay_alu instid0(VALU_DEP_4) | instskip(NEXT) | instid1(VALU_DEP_4)
	v_or_b32_e32 v4, v7, v4
	v_lshlrev_b32_e32 v6, 16, v21
	s_delay_alu instid0(VALU_DEP_4) | instskip(NEXT) | instid1(VALU_DEP_4)
	v_and_b32_e32 v8, 0xffff, v8
	v_and_b32_e32 v5, 0xffff, v5
	s_delay_alu instid0(VALU_DEP_4) | instskip(NEXT) | instid1(VALU_DEP_2)
	v_lshlrev_b32_e32 v4, 16, v4
	v_or_b32_e32 v7, v5, v6
	s_delay_alu instid0(VALU_DEP_2)
	v_or_b32_e32 v6, v8, v4
.LBB1473_67:
	s_or_b32 exec_lo, exec_lo, s1
	v_add_nc_u32_e32 v4, 6, v41
	s_delay_alu instid0(VALU_DEP_3) | instskip(NEXT) | instid1(VALU_DEP_2)
	v_lshrrev_b32_e32 v8, 8, v7
                                        ; implicit-def: $vgpr43
                                        ; implicit-def: $vgpr5
	v_cmp_le_u32_e32 vcc_lo, s33, v4
	v_and_b32_e32 v4, 0xff, v7
	s_and_saveexec_b32 s0, vcc_lo
	s_delay_alu instid0(SALU_CYCLE_1)
	s_xor_b32 s0, exec_lo, s0
	s_cbranch_execz .LBB1473_69
; %bb.68:
	v_lshlrev_b16 v5, 8, v8
	v_perm_b32 v3, v3, v3, 0x3060504
                                        ; implicit-def: $vgpr8
	s_delay_alu instid0(VALU_DEP_2) | instskip(SKIP_1) | instid1(VALU_DEP_2)
	v_or_b32_e32 v4, v4, v5
	v_and_b32_e32 v5, 0xff0000, v6
	v_and_b32_e32 v4, 0xffff, v4
	s_delay_alu instid0(VALU_DEP_2) | instskip(NEXT) | instid1(VALU_DEP_2)
	v_perm_b32 v43, v6, v5, 0x3020504
                                        ; implicit-def: $vgpr6
	v_and_or_b32 v5, 0xff000000, v7, v4
                                        ; implicit-def: $vgpr4
                                        ; implicit-def: $vgpr7
.LBB1473_69:
	s_and_not1_saveexec_b32 s1, s0
	s_cbranch_execz .LBB1473_73
; %bb.70:
	v_add_nc_u32_e32 v5, s17, v13
	v_add_nc_u32_e32 v21, s19, v13
	s_mov_b32 s2, 0
	s_mov_b32 s3, exec_lo
	s_delay_alu instid0(VALU_DEP_2) | instskip(NEXT) | instid1(VALU_DEP_2)
	v_mul_lo_u32 v5, v5, s16
	v_mul_lo_u32 v21, v21, s18
	s_delay_alu instid0(VALU_DEP_1) | instskip(NEXT) | instid1(VALU_DEP_1)
	v_sub_nc_u32_e32 v5, v5, v21
	v_cmp_lt_u32_e32 vcc_lo, s20, v5
	v_cmpx_ge_u32_e64 s20, v5
	s_cbranch_execz .LBB1473_72
; %bb.71:
	v_add_nc_u32_e32 v5, s22, v13
	v_add_nc_u32_e32 v21, s42, v13
	s_delay_alu instid0(VALU_DEP_2) | instskip(NEXT) | instid1(VALU_DEP_2)
	v_mul_lo_u32 v5, v5, s21
	v_mul_lo_u32 v21, v21, s23
	s_delay_alu instid0(VALU_DEP_1) | instskip(NEXT) | instid1(VALU_DEP_1)
	v_sub_nc_u32_e32 v5, v5, v21
	v_cmp_lt_u32_e64 s0, s43, v5
	s_and_b32 s2, s0, exec_lo
.LBB1473_72:
	s_wait_alu 0xfffe
	s_or_b32 exec_lo, exec_lo, s3
	v_lshrrev_b32_e32 v7, 24, v7
	v_cndmask_b32_e64 v21, 0, 1, s2
	v_lshrrev_b32_e32 v22, 8, v6
	v_lshrrev_b32_e32 v23, 16, v6
	s_wait_alu 0xfffd
	v_cndmask_b32_e64 v5, 0, 1, vcc_lo
	v_lshlrev_b16 v8, 8, v8
	v_lshlrev_b16 v7, 8, v7
	v_and_b32_e32 v6, 0xff, v6
	v_lshlrev_b16 v22, 8, v22
	v_lshlrev_b16 v21, 8, v21
	v_and_b32_e32 v23, 0xff, v23
	v_or_b32_e32 v4, v4, v8
	v_or_b32_e32 v5, v5, v7
	;; [unrolled: 1-line block ×3, first 2 shown]
	s_delay_alu instid0(VALU_DEP_4) | instskip(NEXT) | instid1(VALU_DEP_4)
	v_or_b32_e32 v7, v23, v21
	v_and_b32_e32 v4, 0xffff, v4
	s_delay_alu instid0(VALU_DEP_4) | instskip(NEXT) | instid1(VALU_DEP_4)
	v_lshlrev_b32_e32 v5, 16, v5
	v_and_b32_e32 v6, 0xffff, v6
	s_delay_alu instid0(VALU_DEP_4) | instskip(NEXT) | instid1(VALU_DEP_3)
	v_lshlrev_b32_e32 v7, 16, v7
	v_or_b32_e32 v5, v4, v5
	s_delay_alu instid0(VALU_DEP_2)
	v_or_b32_e32 v43, v6, v7
.LBB1473_73:
	s_or_b32 exec_lo, exec_lo, s1
	v_add_nc_u32_e32 v4, 7, v41
	v_lshrrev_b32_e32 v6, 8, v3
	v_lshrrev_b32_e32 v7, 16, v3
	;; [unrolled: 1-line block ×3, first 2 shown]
                                        ; implicit-def: $vgpr44
	s_delay_alu instid0(VALU_DEP_4) | instskip(SKIP_1) | instid1(SALU_CYCLE_1)
	v_cmp_le_u32_e32 vcc_lo, s33, v4
                                        ; implicit-def: $vgpr4
	s_and_saveexec_b32 s0, vcc_lo
	s_xor_b32 s0, exec_lo, s0
	s_cbranch_execz .LBB1473_75
; %bb.74:
	v_lshlrev_b16 v3, 8, v3
	v_and_b32_e32 v4, 0xff, v7
                                        ; implicit-def: $vgpr7
	s_delay_alu instid0(VALU_DEP_1) | instskip(SKIP_2) | instid1(VALU_DEP_3)
	v_or_b32_e32 v3, v4, v3
	v_lshlrev_b16 v4, 8, v6
	v_and_b32_e32 v6, 0xff0000, v5
	v_lshlrev_b32_e32 v3, 16, v3
	s_delay_alu instid0(VALU_DEP_3) | instskip(NEXT) | instid1(VALU_DEP_3)
	v_and_b32_e32 v4, 0xffff, v4
	v_perm_b32 v44, v5, v6, 0x3020504
                                        ; implicit-def: $vgpr5
                                        ; implicit-def: $vgpr6
	s_delay_alu instid0(VALU_DEP_2)
	v_or_b32_e32 v4, v4, v3
                                        ; implicit-def: $vgpr3
.LBB1473_75:
	s_and_not1_saveexec_b32 s1, s0
	s_cbranch_execz .LBB1473_79
; %bb.76:
	v_add_nc_u32_e32 v4, s17, v14
	v_add_nc_u32_e32 v8, s19, v14
	s_mov_b32 s2, 0
	s_mov_b32 s3, exec_lo
	s_delay_alu instid0(VALU_DEP_2) | instskip(NEXT) | instid1(VALU_DEP_2)
	v_mul_lo_u32 v4, v4, s16
	v_mul_lo_u32 v8, v8, s18
	s_delay_alu instid0(VALU_DEP_1) | instskip(NEXT) | instid1(VALU_DEP_1)
	v_sub_nc_u32_e32 v4, v4, v8
	v_cmp_lt_u32_e32 vcc_lo, s20, v4
	v_cmpx_ge_u32_e64 s20, v4
	s_cbranch_execz .LBB1473_78
; %bb.77:
	v_add_nc_u32_e32 v4, s22, v14
	v_add_nc_u32_e32 v8, s42, v14
	s_delay_alu instid0(VALU_DEP_2) | instskip(NEXT) | instid1(VALU_DEP_2)
	v_mul_lo_u32 v4, v4, s21
	v_mul_lo_u32 v8, v8, s23
	s_delay_alu instid0(VALU_DEP_1) | instskip(NEXT) | instid1(VALU_DEP_1)
	v_sub_nc_u32_e32 v4, v4, v8
	v_cmp_lt_u32_e64 s0, s43, v4
	s_and_b32 s2, s0, exec_lo
.LBB1473_78:
	s_wait_alu 0xfffe
	s_or_b32 exec_lo, exec_lo, s3
	v_lshrrev_b32_e32 v4, 8, v5
	s_wait_alu 0xfffd
	v_cndmask_b32_e64 v8, 0, 1, vcc_lo
	v_lshrrev_b32_e32 v21, 16, v5
	v_cndmask_b32_e64 v22, 0, 1, s2
	v_and_b32_e32 v5, 0xff, v5
	v_lshlrev_b16 v4, 8, v4
	v_lshlrev_b16 v8, 8, v8
	v_and_b32_e32 v21, 0xff, v21
	v_lshlrev_b16 v3, 8, v3
	v_and_b32_e32 v7, 0xff, v7
	v_lshlrev_b16 v6, 8, v6
	v_or_b32_e32 v4, v5, v4
	v_or_b32_e32 v5, v21, v8
	s_delay_alu instid0(VALU_DEP_4) | instskip(NEXT) | instid1(VALU_DEP_4)
	v_or_b32_e32 v3, v7, v3
	v_or_b32_e32 v6, v22, v6
	s_delay_alu instid0(VALU_DEP_4) | instskip(NEXT) | instid1(VALU_DEP_4)
	v_and_b32_e32 v4, 0xffff, v4
	v_lshlrev_b32_e32 v5, 16, v5
	s_delay_alu instid0(VALU_DEP_4) | instskip(NEXT) | instid1(VALU_DEP_4)
	v_lshlrev_b32_e32 v3, 16, v3
	v_and_b32_e32 v6, 0xffff, v6
	s_delay_alu instid0(VALU_DEP_3) | instskip(NEXT) | instid1(VALU_DEP_2)
	v_or_b32_e32 v44, v4, v5
	v_or_b32_e32 v4, v6, v3
.LBB1473_79:
	s_or_b32 exec_lo, exec_lo, s1
	v_add_nc_u32_e32 v3, 8, v41
	s_delay_alu instid0(VALU_DEP_2)
	v_lshrrev_b32_e32 v5, 16, v4
	v_lshrrev_b32_e32 v6, 24, v4
	;; [unrolled: 1-line block ×4, first 2 shown]
	v_cmp_le_u32_e32 vcc_lo, s33, v3
	v_lshrrev_b32_e32 v7, 8, v2
                                        ; implicit-def: $vgpr2
                                        ; implicit-def: $vgpr3
	s_and_saveexec_b32 s0, vcc_lo
	s_delay_alu instid0(SALU_CYCLE_1)
	s_xor_b32 s0, exec_lo, s0
	s_cbranch_execz .LBB1473_81
; %bb.80:
	v_lshlrev_b16 v2, 8, v8
	v_and_b32_e32 v3, 0xff, v21
	v_lshlrev_b16 v7, 8, v7
	v_lshlrev_b16 v6, 8, v6
	v_perm_b32 v1, v1, v1, 0x3060504
                                        ; implicit-def: $vgpr8
                                        ; implicit-def: $vgpr21
	s_delay_alu instid0(VALU_DEP_4) | instskip(SKIP_2) | instid1(VALU_DEP_3)
	v_or_b32_e32 v2, v3, v2
	v_and_b32_e32 v3, 0xff, v5
	v_and_b32_e32 v5, 0xffff, v7
                                        ; implicit-def: $vgpr7
	v_lshlrev_b32_e32 v2, 16, v2
	s_delay_alu instid0(VALU_DEP_3) | instskip(NEXT) | instid1(VALU_DEP_2)
	v_or_b32_e32 v6, v3, v6
	v_or_b32_e32 v3, v5, v2
	s_delay_alu instid0(VALU_DEP_2)
	v_perm_b32 v2, v6, v4, 0x5040c00
                                        ; implicit-def: $vgpr4
                                        ; implicit-def: $vgpr5
                                        ; implicit-def: $vgpr6
.LBB1473_81:
	s_and_not1_saveexec_b32 s1, s0
	s_cbranch_execz .LBB1473_85
; %bb.82:
	v_add_nc_u32_e32 v2, s17, v11
	v_add_nc_u32_e32 v3, s19, v11
	s_mov_b32 s2, 0
	s_mov_b32 s3, exec_lo
	s_delay_alu instid0(VALU_DEP_2) | instskip(NEXT) | instid1(VALU_DEP_2)
	v_mul_lo_u32 v2, v2, s16
	v_mul_lo_u32 v3, v3, s18
	s_delay_alu instid0(VALU_DEP_1) | instskip(NEXT) | instid1(VALU_DEP_1)
	v_sub_nc_u32_e32 v2, v2, v3
	v_cmp_lt_u32_e32 vcc_lo, s20, v2
	v_cmpx_ge_u32_e64 s20, v2
	s_cbranch_execz .LBB1473_84
; %bb.83:
	v_add_nc_u32_e32 v2, s22, v11
	v_add_nc_u32_e32 v3, s42, v11
	s_delay_alu instid0(VALU_DEP_2) | instskip(NEXT) | instid1(VALU_DEP_2)
	v_mul_lo_u32 v2, v2, s21
	v_mul_lo_u32 v3, v3, s23
	s_delay_alu instid0(VALU_DEP_1) | instskip(NEXT) | instid1(VALU_DEP_1)
	v_sub_nc_u32_e32 v2, v2, v3
	v_cmp_lt_u32_e64 s0, s43, v2
	s_and_b32 s2, s0, exec_lo
.LBB1473_84:
	s_wait_alu 0xfffe
	s_or_b32 exec_lo, exec_lo, s3
	v_cndmask_b32_e64 v2, 0, 1, s2
	s_wait_alu 0xfffd
	v_cndmask_b32_e64 v3, 0, 1, vcc_lo
	v_lshlrev_b16 v8, 8, v8
	v_and_b32_e32 v21, 0xff, v21
	v_lshlrev_b16 v7, 8, v7
	v_lshlrev_b16 v2, 8, v2
	v_and_b32_e32 v4, 0xff, v4
	v_lshlrev_b16 v6, 8, v6
	v_and_b32_e32 v5, 0xff, v5
	v_or_b32_e32 v8, v21, v8
	v_or_b32_e32 v3, v3, v7
	;; [unrolled: 1-line block ×3, first 2 shown]
	s_delay_alu instid0(VALU_DEP_4) | instskip(NEXT) | instid1(VALU_DEP_4)
	v_or_b32_e32 v4, v5, v6
	v_lshlrev_b32_e32 v5, 16, v8
	s_delay_alu instid0(VALU_DEP_4) | instskip(NEXT) | instid1(VALU_DEP_4)
	v_and_b32_e32 v3, 0xffff, v3
	v_and_b32_e32 v2, 0xffff, v2
	s_delay_alu instid0(VALU_DEP_4) | instskip(NEXT) | instid1(VALU_DEP_3)
	v_lshlrev_b32_e32 v4, 16, v4
	v_or_b32_e32 v3, v3, v5
	s_delay_alu instid0(VALU_DEP_2)
	v_or_b32_e32 v2, v2, v4
.LBB1473_85:
	s_or_b32 exec_lo, exec_lo, s1
	v_add_nc_u32_e32 v4, 9, v41
	s_delay_alu instid0(VALU_DEP_2)
	v_lshrrev_b32_e32 v6, 8, v2
	v_lshrrev_b32_e32 v21, 24, v3
	v_lshrrev_b32_e32 v8, 16, v3
	v_and_b32_e32 v7, 0xff, v2
	v_cmp_le_u32_e32 vcc_lo, s33, v4
                                        ; implicit-def: $vgpr4
                                        ; implicit-def: $vgpr5
	s_and_saveexec_b32 s0, vcc_lo
	s_delay_alu instid0(SALU_CYCLE_1)
	s_xor_b32 s0, exec_lo, s0
	s_cbranch_execz .LBB1473_87
; %bb.86:
	v_lshlrev_b16 v4, 8, v6
	v_lshlrev_b16 v5, 8, v21
	v_and_b32_e32 v6, 0xff, v8
	v_perm_b32 v1, v1, v1, 0x3060504
                                        ; implicit-def: $vgpr21
                                        ; implicit-def: $vgpr8
	s_delay_alu instid0(VALU_DEP_4) | instskip(NEXT) | instid1(VALU_DEP_3)
	v_or_b32_e32 v4, v7, v4
                                        ; implicit-def: $vgpr7
	v_or_b32_e32 v5, v6, v5
                                        ; implicit-def: $vgpr6
	s_delay_alu instid0(VALU_DEP_2) | instskip(NEXT) | instid1(VALU_DEP_2)
	v_and_b32_e32 v4, 0xffff, v4
	v_perm_b32 v5, v5, v3, 0x5040c00
                                        ; implicit-def: $vgpr3
	s_delay_alu instid0(VALU_DEP_2)
	v_and_or_b32 v4, 0xff000000, v2, v4
                                        ; implicit-def: $vgpr2
.LBB1473_87:
	s_and_not1_saveexec_b32 s1, s0
	s_cbranch_execz .LBB1473_91
; %bb.88:
	v_add_nc_u32_e32 v4, s17, v12
	v_add_nc_u32_e32 v5, s19, v12
	s_mov_b32 s2, 0
	s_mov_b32 s3, exec_lo
	s_delay_alu instid0(VALU_DEP_2) | instskip(NEXT) | instid1(VALU_DEP_2)
	v_mul_lo_u32 v4, v4, s16
	v_mul_lo_u32 v5, v5, s18
	s_delay_alu instid0(VALU_DEP_1) | instskip(NEXT) | instid1(VALU_DEP_1)
	v_sub_nc_u32_e32 v4, v4, v5
	v_cmp_lt_u32_e32 vcc_lo, s20, v4
	v_cmpx_ge_u32_e64 s20, v4
	s_cbranch_execz .LBB1473_90
; %bb.89:
	v_add_nc_u32_e32 v4, s22, v12
	v_add_nc_u32_e32 v5, s42, v12
	s_delay_alu instid0(VALU_DEP_2) | instskip(NEXT) | instid1(VALU_DEP_2)
	v_mul_lo_u32 v4, v4, s21
	v_mul_lo_u32 v5, v5, s23
	s_delay_alu instid0(VALU_DEP_1) | instskip(NEXT) | instid1(VALU_DEP_1)
	v_sub_nc_u32_e32 v4, v4, v5
	v_cmp_lt_u32_e64 s0, s43, v4
	s_and_b32 s2, s0, exec_lo
.LBB1473_90:
	s_wait_alu 0xfffe
	s_or_b32 exec_lo, exec_lo, s3
	s_wait_alu 0xfffd
	v_cndmask_b32_e64 v4, 0, 1, vcc_lo
	v_lshrrev_b32_e32 v2, 24, v2
	v_cndmask_b32_e64 v5, 0, 1, s2
	v_lshlrev_b16 v21, 8, v21
	v_and_b32_e32 v8, 0xff, v8
	v_lshlrev_b16 v4, 8, v4
	v_lshlrev_b16 v6, 8, v6
	v_and_b32_e32 v3, 0xff, v3
	v_lshlrev_b16 v2, 8, v2
	v_or_b32_e32 v8, v8, v21
	s_delay_alu instid0(VALU_DEP_4) | instskip(NEXT) | instid1(VALU_DEP_4)
	v_or_b32_e32 v6, v7, v6
	v_or_b32_e32 v3, v3, v4
	s_delay_alu instid0(VALU_DEP_4) | instskip(NEXT) | instid1(VALU_DEP_4)
	v_or_b32_e32 v2, v5, v2
	v_lshlrev_b32_e32 v4, 16, v8
	s_delay_alu instid0(VALU_DEP_4) | instskip(NEXT) | instid1(VALU_DEP_4)
	v_and_b32_e32 v6, 0xffff, v6
	v_and_b32_e32 v3, 0xffff, v3
	s_delay_alu instid0(VALU_DEP_4) | instskip(NEXT) | instid1(VALU_DEP_2)
	v_lshlrev_b32_e32 v2, 16, v2
	v_or_b32_e32 v5, v3, v4
	s_delay_alu instid0(VALU_DEP_2)
	v_or_b32_e32 v4, v6, v2
.LBB1473_91:
	s_or_b32 exec_lo, exec_lo, s1
	v_add_nc_u32_e32 v2, 10, v41
	s_delay_alu instid0(VALU_DEP_3) | instskip(SKIP_1) | instid1(VALU_DEP_3)
	v_and_b32_e32 v3, 0xff, v5
	v_lshrrev_b32_e32 v6, 8, v5
                                        ; implicit-def: $vgpr46
	v_cmp_le_u32_e32 vcc_lo, s33, v2
                                        ; implicit-def: $vgpr2
	s_and_saveexec_b32 s0, vcc_lo
	s_delay_alu instid0(SALU_CYCLE_1)
	s_xor_b32 s0, exec_lo, s0
	s_cbranch_execz .LBB1473_93
; %bb.92:
	v_lshlrev_b16 v2, 8, v6
	v_perm_b32 v1, v1, v1, 0x3060504
                                        ; implicit-def: $vgpr6
	s_delay_alu instid0(VALU_DEP_2) | instskip(SKIP_1) | instid1(VALU_DEP_2)
	v_or_b32_e32 v2, v3, v2
	v_and_b32_e32 v3, 0xff0000, v4
	v_and_b32_e32 v2, 0xffff, v2
	s_delay_alu instid0(VALU_DEP_2) | instskip(NEXT) | instid1(VALU_DEP_2)
	v_perm_b32 v46, v4, v3, 0x3020504
                                        ; implicit-def: $vgpr3
                                        ; implicit-def: $vgpr4
	v_and_or_b32 v2, 0xff000000, v5, v2
                                        ; implicit-def: $vgpr5
.LBB1473_93:
	s_and_not1_saveexec_b32 s1, s0
	s_cbranch_execz .LBB1473_97
; %bb.94:
	v_add_nc_u32_e32 v2, s17, v9
	v_add_nc_u32_e32 v7, s19, v9
	s_mov_b32 s2, 0
	s_mov_b32 s3, exec_lo
	s_delay_alu instid0(VALU_DEP_2) | instskip(NEXT) | instid1(VALU_DEP_2)
	v_mul_lo_u32 v2, v2, s16
	v_mul_lo_u32 v7, v7, s18
	s_delay_alu instid0(VALU_DEP_1) | instskip(NEXT) | instid1(VALU_DEP_1)
	v_sub_nc_u32_e32 v2, v2, v7
	v_cmp_lt_u32_e32 vcc_lo, s20, v2
	v_cmpx_ge_u32_e64 s20, v2
	s_cbranch_execz .LBB1473_96
; %bb.95:
	v_add_nc_u32_e32 v2, s22, v9
	v_add_nc_u32_e32 v7, s42, v9
	s_delay_alu instid0(VALU_DEP_2) | instskip(NEXT) | instid1(VALU_DEP_2)
	v_mul_lo_u32 v2, v2, s21
	v_mul_lo_u32 v7, v7, s23
	s_delay_alu instid0(VALU_DEP_1) | instskip(NEXT) | instid1(VALU_DEP_1)
	v_sub_nc_u32_e32 v2, v2, v7
	v_cmp_lt_u32_e64 s0, s43, v2
	s_and_b32 s2, s0, exec_lo
.LBB1473_96:
	s_wait_alu 0xfffe
	s_or_b32 exec_lo, exec_lo, s3
	v_lshrrev_b32_e32 v5, 24, v5
	v_cndmask_b32_e64 v7, 0, 1, s2
	v_lshrrev_b32_e32 v8, 8, v4
	v_lshrrev_b32_e32 v21, 16, v4
	s_wait_alu 0xfffd
	v_cndmask_b32_e64 v2, 0, 1, vcc_lo
	v_lshlrev_b16 v6, 8, v6
	v_lshlrev_b16 v5, 8, v5
	v_and_b32_e32 v4, 0xff, v4
	v_lshlrev_b16 v8, 8, v8
	v_lshlrev_b16 v7, 8, v7
	v_and_b32_e32 v21, 0xff, v21
	v_or_b32_e32 v3, v3, v6
	v_or_b32_e32 v2, v2, v5
	;; [unrolled: 1-line block ×3, first 2 shown]
	s_delay_alu instid0(VALU_DEP_4) | instskip(NEXT) | instid1(VALU_DEP_4)
	v_or_b32_e32 v5, v21, v7
	v_and_b32_e32 v3, 0xffff, v3
	s_delay_alu instid0(VALU_DEP_4) | instskip(NEXT) | instid1(VALU_DEP_4)
	v_lshlrev_b32_e32 v2, 16, v2
	v_and_b32_e32 v4, 0xffff, v4
	s_delay_alu instid0(VALU_DEP_4) | instskip(NEXT) | instid1(VALU_DEP_3)
	v_lshlrev_b32_e32 v5, 16, v5
	v_or_b32_e32 v2, v3, v2
	s_delay_alu instid0(VALU_DEP_2)
	v_or_b32_e32 v46, v4, v5
.LBB1473_97:
	s_or_b32 exec_lo, exec_lo, s1
	v_add_nc_u32_e32 v3, 11, v41
	v_mov_b32_e32 v45, 0
	s_mov_b32 s0, exec_lo
                                        ; implicit-def: $vgpr47
	s_delay_alu instid0(VALU_DEP_2)
	v_cmpx_le_u32_e64 s33, v3
	s_xor_b32 s0, exec_lo, s0
; %bb.98:
	v_and_b32_e32 v3, 0xff0000, v2
	v_perm_b32 v1, v1, v1, 0x3060504
	s_delay_alu instid0(VALU_DEP_2)
	v_perm_b32 v47, v2, v3, 0x3020504
                                        ; implicit-def: $vgpr2
; %bb.99:
	s_and_not1_saveexec_b32 s1, s0
	s_cbranch_execz .LBB1473_103
; %bb.100:
	v_add_nc_u32_e32 v3, s17, v10
	v_add_nc_u32_e32 v4, s19, v10
	s_mov_b32 s2, 0
	s_mov_b32 s3, exec_lo
	s_delay_alu instid0(VALU_DEP_2) | instskip(NEXT) | instid1(VALU_DEP_2)
	v_mul_lo_u32 v3, v3, s16
	v_mul_lo_u32 v4, v4, s18
	s_delay_alu instid0(VALU_DEP_1) | instskip(NEXT) | instid1(VALU_DEP_1)
	v_sub_nc_u32_e32 v3, v3, v4
	v_cmp_lt_u32_e32 vcc_lo, s20, v3
	v_cmpx_ge_u32_e64 s20, v3
	s_cbranch_execz .LBB1473_102
; %bb.101:
	v_add_nc_u32_e32 v3, s22, v10
	v_add_nc_u32_e32 v4, s42, v10
	s_delay_alu instid0(VALU_DEP_2) | instskip(NEXT) | instid1(VALU_DEP_2)
	v_mul_lo_u32 v3, v3, s21
	v_mul_lo_u32 v4, v4, s23
	s_delay_alu instid0(VALU_DEP_1) | instskip(NEXT) | instid1(VALU_DEP_1)
	v_sub_nc_u32_e32 v3, v3, v4
	v_cmp_lt_u32_e64 s0, s43, v3
	s_and_b32 s2, s0, exec_lo
.LBB1473_102:
	s_wait_alu 0xfffe
	s_or_b32 exec_lo, exec_lo, s3
	v_lshrrev_b32_e32 v3, 8, v2
	s_wait_alu 0xfffd
	v_cndmask_b32_e64 v4, 0, 1, vcc_lo
	v_lshrrev_b32_e32 v5, 16, v2
	v_and_b32_e32 v2, 0xff, v2
	v_cndmask_b32_e64 v45, 0, 1, s2
	v_lshlrev_b16 v3, 8, v3
	v_lshlrev_b16 v4, 8, v4
	v_and_b32_e32 v5, 0xff, v5
	s_delay_alu instid0(VALU_DEP_3) | instskip(NEXT) | instid1(VALU_DEP_2)
	v_or_b32_e32 v2, v2, v3
	v_or_b32_e32 v3, v5, v4
	s_delay_alu instid0(VALU_DEP_2) | instskip(NEXT) | instid1(VALU_DEP_2)
	v_and_b32_e32 v2, 0xffff, v2
	v_lshlrev_b32_e32 v3, 16, v3
	s_delay_alu instid0(VALU_DEP_1)
	v_or_b32_e32 v47, v2, v3
.LBB1473_103:
	s_or_b32 exec_lo, exec_lo, s1
	v_add_nc_u32_e32 v4, 12, v41
	v_lshrrev_b32_e32 v2, 8, v1
	v_lshrrev_b32_e32 v3, 16, v1
	v_lshrrev_b32_e32 v1, 24, v1
	s_mov_b32 s0, exec_lo
                                        ; implicit-def: $vgpr49
	v_cmpx_le_u32_e64 s33, v4
	s_xor_b32 s0, exec_lo, s0
	s_cbranch_execz .LBB1473_105
; %bb.104:
	v_lshlrev_b16 v1, 8, v1
	v_and_b32_e32 v3, 0xff, v3
	v_lshlrev_b16 v2, 8, v2
	s_delay_alu instid0(VALU_DEP_2) | instskip(NEXT) | instid1(VALU_DEP_2)
	v_or_b32_e32 v1, v3, v1
	v_and_b32_e32 v2, 0xffff, v2
                                        ; implicit-def: $vgpr3
	s_delay_alu instid0(VALU_DEP_2) | instskip(NEXT) | instid1(VALU_DEP_1)
	v_lshlrev_b32_e32 v1, 16, v1
	v_or_b32_e32 v49, v2, v1
                                        ; implicit-def: $vgpr1
                                        ; implicit-def: $vgpr2
.LBB1473_105:
	s_or_saveexec_b32 s1, s0
	v_mov_b32_e32 v48, 0
	s_xor_b32 exec_lo, exec_lo, s1
	s_cbranch_execz .LBB1473_109
; %bb.106:
	v_add_nc_u32_e32 v4, s17, v40
	v_add_nc_u32_e32 v5, s19, v40
	s_mov_b32 s2, 0
	s_mov_b32 s3, exec_lo
	s_delay_alu instid0(VALU_DEP_2) | instskip(NEXT) | instid1(VALU_DEP_2)
	v_mul_lo_u32 v4, v4, s16
	v_mul_lo_u32 v5, v5, s18
	s_delay_alu instid0(VALU_DEP_1) | instskip(NEXT) | instid1(VALU_DEP_1)
	v_sub_nc_u32_e32 v4, v4, v5
	v_cmp_lt_u32_e32 vcc_lo, s20, v4
	v_cmpx_ge_u32_e64 s20, v4
	s_cbranch_execz .LBB1473_108
; %bb.107:
	v_add_nc_u32_e32 v4, s22, v40
	v_add_nc_u32_e32 v5, s42, v40
	s_delay_alu instid0(VALU_DEP_2) | instskip(NEXT) | instid1(VALU_DEP_2)
	v_mul_lo_u32 v4, v4, s21
	v_mul_lo_u32 v5, v5, s23
	s_delay_alu instid0(VALU_DEP_1) | instskip(NEXT) | instid1(VALU_DEP_1)
	v_sub_nc_u32_e32 v4, v4, v5
	v_cmp_lt_u32_e64 s0, s43, v4
	s_and_b32 s2, s0, exec_lo
.LBB1473_108:
	s_wait_alu 0xfffe
	s_or_b32 exec_lo, exec_lo, s3
	s_wait_alu 0xfffd
	v_cndmask_b32_e64 v4, 0, 1, vcc_lo
	v_lshlrev_b16 v1, 8, v1
	v_and_b32_e32 v3, 0xff, v3
	v_lshlrev_b16 v2, 8, v2
	v_cndmask_b32_e64 v48, 0, 1, s2
	s_delay_alu instid0(VALU_DEP_3) | instskip(NEXT) | instid1(VALU_DEP_3)
	v_or_b32_e32 v1, v3, v1
	v_or_b32_e32 v2, v4, v2
	s_delay_alu instid0(VALU_DEP_2) | instskip(NEXT) | instid1(VALU_DEP_2)
	v_lshlrev_b32_e32 v1, 16, v1
	v_and_b32_e32 v2, 0xffff, v2
	s_delay_alu instid0(VALU_DEP_1)
	v_or_b32_e32 v49, v2, v1
.LBB1473_109:
	s_or_b32 exec_lo, exec_lo, s1
.LBB1473_110:
	v_and_b32_e32 v72, 0xff, v42
	s_delay_alu instid0(VALU_DEP_2)
	v_bfe_u32 v73, v49, 8, 8
	v_bfe_u32 v70, v42, 8, 8
	;; [unrolled: 1-line block ×4, first 2 shown]
	v_lshrrev_b32_e32 v55, 24, v49
	v_lshrrev_b32_e32 v54, 24, v42
	v_and_b32_e32 v68, 0xff, v43
	v_and_b32_e32 v66, 0xff, v44
	v_bfe_u32 v67, v43, 8, 8
	v_add3_u32 v1, v70, v72, v69
	v_add3_u32 v2, v71, v73, v55
	v_bfe_u32 v64, v44, 8, 8
	v_bfe_u32 v65, v43, 16, 8
	;; [unrolled: 1-line block ×3, first 2 shown]
	v_lshrrev_b32_e32 v53, 24, v43
	v_add3_u32 v1, v1, v54, v66
	v_add3_u32 v2, v2, v68, v67
	v_lshrrev_b32_e32 v52, 24, v44
	v_and_b32_e32 v63, 0xff, v46
	v_and_b32_e32 v61, 0xff, v47
	v_bfe_u32 v62, v46, 8, 8
	v_add3_u32 v1, v1, v64, v59
	v_add3_u32 v2, v2, v65, v53
	v_bfe_u32 v58, v47, 8, 8
	v_bfe_u32 v60, v46, 16, 8
	;; [unrolled: 1-line block ×3, first 2 shown]
	v_lshrrev_b32_e32 v51, 24, v46
	v_add3_u32 v1, v1, v52, v61
	v_add3_u32 v2, v2, v63, v62
	v_mbcnt_lo_u32_b32 v74, -1, 0
	v_lshrrev_b32_e32 v50, 24, v47
	v_and_b32_e32 v57, 0xff, v45
	v_and_b32_e32 v3, 0xff, v49
	v_and_b32_e32 v4, 0xff, v48
	v_add3_u32 v1, v1, v58, v56
	v_add3_u32 v2, v2, v60, v51
	v_and_b32_e32 v76, 15, v74
	v_and_b32_e32 v78, 16, v74
	v_lshrrev_b32_e32 v75, 5, v0
	v_add3_u32 v79, v1, v50, v3
	v_add3_u32 v80, v2, v57, v4
	v_cmp_eq_u32_e64 s1, 0, v76
	v_cmp_lt_u32_e64 s0, 1, v76
	v_cmp_lt_u32_e64 s2, 3, v76
	v_or_b32_e32 v77, 31, v0
	s_cmp_lg_u32 ttmp9, 0
	s_mov_b32 s3, -1
	v_cmp_lt_u32_e32 vcc_lo, 7, v76
	s_cbranch_scc0 .LBB1473_131
; %bb.111:
	v_mov_b32_dpp v2, v79 row_shr:1 row_mask:0xf bank_mask:0xf
	v_mov_b32_dpp v1, v80 row_shr:1 row_mask:0xf bank_mask:0xf
	s_mov_b32 s3, exec_lo
	s_delay_alu instid0(VALU_DEP_2) | instskip(NEXT) | instid1(VALU_DEP_2)
	v_add_nc_u32_e32 v2, v2, v79
	v_add_nc_u32_e32 v1, v1, v80
	s_delay_alu instid0(VALU_DEP_2) | instskip(NEXT) | instid1(VALU_DEP_2)
	v_cndmask_b32_e64 v2, v2, v79, s1
	v_cndmask_b32_e64 v1, v1, v80, s1
	s_delay_alu instid0(VALU_DEP_2) | instskip(NEXT) | instid1(VALU_DEP_2)
	v_mov_b32_dpp v4, v2 row_shr:2 row_mask:0xf bank_mask:0xf
	v_mov_b32_dpp v3, v1 row_shr:2 row_mask:0xf bank_mask:0xf
	s_delay_alu instid0(VALU_DEP_2) | instskip(NEXT) | instid1(VALU_DEP_1)
	v_add_nc_u32_e32 v4, v2, v4
	v_cndmask_b32_e64 v2, v2, v4, s0
	s_delay_alu instid0(VALU_DEP_1) | instskip(NEXT) | instid1(VALU_DEP_1)
	v_mov_b32_dpp v4, v2 row_shr:4 row_mask:0xf bank_mask:0xf
	v_add_nc_u32_e32 v4, v2, v4
	s_wait_alu 0xf1ff
	s_delay_alu instid0(VALU_DEP_1) | instskip(NEXT) | instid1(VALU_DEP_1)
	v_cndmask_b32_e64 v2, v2, v4, s2
	v_mov_b32_dpp v4, v2 row_shr:8 row_mask:0xf bank_mask:0xf
	s_delay_alu instid0(VALU_DEP_1) | instskip(SKIP_1) | instid1(VALU_DEP_1)
	v_add_nc_u32_e32 v4, v2, v4
	s_wait_alu 0xfffd
	v_dual_cndmask_b32 v2, v2, v4 :: v_dual_add_nc_u32 v3, v1, v3
	s_delay_alu instid0(VALU_DEP_1) | instskip(SKIP_2) | instid1(VALU_DEP_1)
	v_cndmask_b32_e64 v1, v1, v3, s0
	ds_swizzle_b32 v4, v2 offset:swizzle(BROADCAST,32,15)
	v_mov_b32_dpp v3, v1 row_shr:4 row_mask:0xf bank_mask:0xf
	v_add_nc_u32_e32 v3, v1, v3
	s_delay_alu instid0(VALU_DEP_1) | instskip(NEXT) | instid1(VALU_DEP_1)
	v_cndmask_b32_e64 v1, v1, v3, s2
	v_mov_b32_dpp v3, v1 row_shr:8 row_mask:0xf bank_mask:0xf
	s_wait_dscnt 0x0
	v_add_nc_u32_e32 v4, v2, v4
	s_delay_alu instid0(VALU_DEP_2) | instskip(NEXT) | instid1(VALU_DEP_1)
	v_add_nc_u32_e32 v3, v1, v3
	v_cndmask_b32_e32 v1, v1, v3, vcc_lo
	v_cmp_eq_u32_e32 vcc_lo, 0, v78
	ds_swizzle_b32 v3, v1 offset:swizzle(BROADCAST,32,15)
	s_wait_dscnt 0x0
	v_add_nc_u32_e32 v3, v1, v3
	v_cmpx_eq_u32_e64 v0, v77
; %bb.112:
	s_wait_alu 0xfffd
	s_delay_alu instid0(VALU_DEP_2)
	v_dual_cndmask_b32 v6, v3, v1 :: v_dual_lshlrev_b32 v7, 3, v75
	v_cndmask_b32_e32 v5, v4, v2, vcc_lo
	ds_store_b64 v7, v[5:6]
; %bb.113:
	s_wait_alu 0xfffe
	s_or_b32 exec_lo, exec_lo, s3
	s_delay_alu instid0(SALU_CYCLE_1)
	s_mov_b32 s3, exec_lo
	s_wait_loadcnt_dscnt 0x0
	s_barrier_signal -1
	s_barrier_wait -1
	global_inv scope:SCOPE_SE
	v_cmpx_gt_u32_e32 8, v0
	s_cbranch_execz .LBB1473_115
; %bb.114:
	v_lshlrev_b32_e32 v7, 3, v0
	v_and_b32_e32 v22, 7, v74
	ds_load_b64 v[5:6], v7
	v_cmp_eq_u32_e64 s2, 0, v22
	s_wait_dscnt 0x0
	v_mov_b32_dpp v8, v5 row_shr:1 row_mask:0xf bank_mask:0xf
	v_mov_b32_dpp v21, v6 row_shr:1 row_mask:0xf bank_mask:0xf
	s_delay_alu instid0(VALU_DEP_2) | instskip(NEXT) | instid1(VALU_DEP_2)
	v_add_nc_u32_e32 v8, v8, v5
	v_add_nc_u32_e32 v21, v21, v6
	s_wait_alu 0xf1ff
	s_delay_alu instid0(VALU_DEP_2) | instskip(NEXT) | instid1(VALU_DEP_2)
	v_cndmask_b32_e64 v5, v8, v5, s2
	v_cndmask_b32_e64 v6, v21, v6, s2
	v_cmp_lt_u32_e64 s2, 1, v22
	s_delay_alu instid0(VALU_DEP_3) | instskip(NEXT) | instid1(VALU_DEP_3)
	v_mov_b32_dpp v8, v5 row_shr:2 row_mask:0xf bank_mask:0xf
	v_mov_b32_dpp v21, v6 row_shr:2 row_mask:0xf bank_mask:0xf
	s_delay_alu instid0(VALU_DEP_2) | instskip(NEXT) | instid1(VALU_DEP_2)
	v_add_nc_u32_e32 v8, v5, v8
	v_add_nc_u32_e32 v21, v6, v21
	s_wait_alu 0xf1ff
	s_delay_alu instid0(VALU_DEP_2) | instskip(NEXT) | instid1(VALU_DEP_2)
	v_cndmask_b32_e64 v5, v5, v8, s2
	v_cndmask_b32_e64 v6, v6, v21, s2
	v_cmp_lt_u32_e64 s2, 3, v22
	s_delay_alu instid0(VALU_DEP_3) | instskip(NEXT) | instid1(VALU_DEP_3)
	v_mov_b32_dpp v8, v5 row_shr:4 row_mask:0xf bank_mask:0xf
	v_mov_b32_dpp v21, v6 row_shr:4 row_mask:0xf bank_mask:0xf
	s_wait_alu 0xf1ff
	s_delay_alu instid0(VALU_DEP_2) | instskip(NEXT) | instid1(VALU_DEP_2)
	v_cndmask_b32_e64 v8, 0, v8, s2
	v_cndmask_b32_e64 v21, 0, v21, s2
	s_delay_alu instid0(VALU_DEP_2) | instskip(NEXT) | instid1(VALU_DEP_2)
	v_add_nc_u32_e32 v5, v8, v5
	v_add_nc_u32_e32 v6, v21, v6
	ds_store_b64 v7, v[5:6]
.LBB1473_115:
	s_wait_alu 0xfffe
	s_or_b32 exec_lo, exec_lo, s3
	v_dual_cndmask_b32 v1, v3, v1 :: v_dual_cndmask_b32 v2, v4, v2
	s_mov_b32 s3, exec_lo
	v_cmp_gt_u32_e32 vcc_lo, 32, v0
	s_wait_loadcnt_dscnt 0x0
	s_barrier_signal -1
	s_barrier_wait -1
	global_inv scope:SCOPE_SE
                                        ; implicit-def: $vgpr21
	v_cmpx_lt_u32_e32 31, v0
	s_cbranch_execz .LBB1473_117
; %bb.116:
	v_lshl_add_u32 v3, v75, 3, -8
	ds_load_b64 v[21:22], v3
	s_wait_dscnt 0x0
	v_add_nc_u32_e32 v1, v22, v1
	v_add_nc_u32_e32 v2, v21, v2
.LBB1473_117:
	s_wait_alu 0xfffe
	s_or_b32 exec_lo, exec_lo, s3
	v_sub_co_u32 v3, s2, v74, 1
	s_delay_alu instid0(VALU_DEP_1) | instskip(SKIP_1) | instid1(VALU_DEP_1)
	v_cmp_gt_i32_e64 s3, 0, v3
	s_wait_alu 0xf1ff
	v_cndmask_b32_e64 v3, v3, v74, s3
	s_delay_alu instid0(VALU_DEP_1)
	v_lshlrev_b32_e32 v3, 2, v3
	ds_bpermute_b32 v81, v3, v2
	ds_bpermute_b32 v82, v3, v1
	s_and_saveexec_b32 s3, vcc_lo
	s_cbranch_execz .LBB1473_136
; %bb.118:
	v_mov_b32_e32 v4, 0
	ds_load_b64 v[1:2], v4 offset:56
	s_and_saveexec_b32 s6, s2
	s_cbranch_execz .LBB1473_120
; %bb.119:
	s_add_co_i32 s8, ttmp9, 32
	s_mov_b32 s9, 0
	s_wait_alu 0xfffe
	s_lshl_b64 s[8:9], s[8:9], 4
	s_wait_kmcnt 0x0
	s_wait_alu 0xfffe
	s_add_nc_u64 s[8:9], s[4:5], s[8:9]
	v_mov_b32_e32 v3, 1
	s_wait_alu 0xfffe
	v_dual_mov_b32 v5, s8 :: v_dual_mov_b32 v6, s9
	s_wait_dscnt 0x0
	;;#ASMSTART
	global_store_b128 v[5:6], v[1:4] off scope:SCOPE_DEV	
s_wait_storecnt 0x0
	;;#ASMEND
.LBB1473_120:
	s_wait_alu 0xfffe
	s_or_b32 exec_lo, exec_lo, s6
	v_xad_u32 v23, v74, -1, ttmp9
	s_mov_b32 s7, 0
	s_mov_b32 s6, exec_lo
	s_delay_alu instid0(VALU_DEP_1) | instskip(NEXT) | instid1(VALU_DEP_1)
	v_add_nc_u32_e32 v3, 32, v23
	v_lshlrev_b64_e32 v[3:4], 4, v[3:4]
	s_wait_kmcnt 0x0
	s_delay_alu instid0(VALU_DEP_1) | instskip(SKIP_1) | instid1(VALU_DEP_2)
	v_add_co_u32 v3, vcc_lo, s4, v3
	s_wait_alu 0xfffd
	v_add_co_ci_u32_e64 v4, null, s5, v4, vcc_lo
	;;#ASMSTART
	global_load_b128 v[5:8], v[3:4] off scope:SCOPE_DEV	
s_wait_loadcnt 0x0
	;;#ASMEND
	v_and_b32_e32 v8, 0xff, v7
	s_delay_alu instid0(VALU_DEP_1)
	v_cmpx_eq_u16_e32 0, v8
	s_cbranch_execz .LBB1473_123
.LBB1473_121:                           ; =>This Inner Loop Header: Depth=1
	;;#ASMSTART
	global_load_b128 v[5:8], v[3:4] off scope:SCOPE_DEV	
s_wait_loadcnt 0x0
	;;#ASMEND
	v_and_b32_e32 v8, 0xff, v7
	s_delay_alu instid0(VALU_DEP_1)
	v_cmp_ne_u16_e32 vcc_lo, 0, v8
	s_wait_alu 0xfffe
	s_or_b32 s7, vcc_lo, s7
	s_wait_alu 0xfffe
	s_and_not1_b32 exec_lo, exec_lo, s7
	s_cbranch_execnz .LBB1473_121
; %bb.122:
	s_or_b32 exec_lo, exec_lo, s7
.LBB1473_123:
	s_wait_alu 0xfffe
	s_or_b32 exec_lo, exec_lo, s6
	v_cmp_ne_u32_e32 vcc_lo, 31, v74
	v_lshlrev_b32_e64 v84, v74, -1
	v_add_nc_u32_e32 v86, 2, v74
	v_add_nc_u32_e32 v88, 4, v74
	v_add_nc_u32_e32 v90, 8, v74
	s_wait_alu 0xfffd
	v_add_co_ci_u32_e64 v3, null, 0, v74, vcc_lo
	v_lshl_or_b32 v91, v74, 2, 64
	v_add_nc_u32_e32 v92, 16, v74
	s_delay_alu instid0(VALU_DEP_3)
	v_lshlrev_b32_e32 v83, 2, v3
	v_and_b32_e32 v3, 0xff, v7
	ds_bpermute_b32 v4, v83, v6
	v_cmp_eq_u16_e32 vcc_lo, 2, v3
	s_wait_alu 0xfffd
	v_and_b32_e32 v8, vcc_lo, v84
	v_cmp_gt_u32_e32 vcc_lo, 30, v74
	s_delay_alu instid0(VALU_DEP_2) | instskip(SKIP_2) | instid1(VALU_DEP_2)
	v_or_b32_e32 v8, 0x80000000, v8
	s_wait_alu 0xfffd
	v_cndmask_b32_e64 v24, 0, 2, vcc_lo
	v_ctz_i32_b32_e32 v8, v8
	s_delay_alu instid0(VALU_DEP_2) | instskip(SKIP_2) | instid1(VALU_DEP_3)
	v_add_lshl_u32 v85, v24, v74, 2
	s_wait_dscnt 0x0
	v_add_nc_u32_e32 v4, v4, v6
	v_cmp_lt_u32_e32 vcc_lo, v74, v8
	s_wait_alu 0xfffd
	s_delay_alu instid0(VALU_DEP_2) | instskip(SKIP_3) | instid1(VALU_DEP_1)
	v_cndmask_b32_e32 v4, v6, v4, vcc_lo
	ds_bpermute_b32 v3, v83, v5
	s_wait_dscnt 0x0
	v_add_nc_u32_e32 v3, v3, v5
	v_cndmask_b32_e32 v3, v5, v3, vcc_lo
	ds_bpermute_b32 v5, v85, v4
	v_cmp_gt_u32_e32 vcc_lo, 28, v74
	ds_bpermute_b32 v6, v85, v3
	s_wait_alu 0xfffd
	v_cndmask_b32_e64 v24, 0, 4, vcc_lo
	v_cmp_gt_u32_e32 vcc_lo, v86, v8
	s_delay_alu instid0(VALU_DEP_2)
	v_add_lshl_u32 v87, v24, v74, 2
	s_wait_dscnt 0x1
	v_add_nc_u32_e32 v5, v4, v5
	s_wait_dscnt 0x0
	v_add_nc_u32_e32 v6, v3, v6
	s_wait_alu 0xfffd
	s_delay_alu instid0(VALU_DEP_1)
	v_dual_cndmask_b32 v4, v5, v4 :: v_dual_cndmask_b32 v3, v6, v3
	ds_bpermute_b32 v5, v87, v4
	v_cmp_gt_u32_e32 vcc_lo, 24, v74
	ds_bpermute_b32 v6, v87, v3
	s_wait_alu 0xfffd
	v_cndmask_b32_e64 v24, 0, 8, vcc_lo
	v_cmp_gt_u32_e32 vcc_lo, v88, v8
	s_delay_alu instid0(VALU_DEP_2)
	v_add_lshl_u32 v89, v24, v74, 2
	s_wait_dscnt 0x1
	v_dual_mov_b32 v24, 0 :: v_dual_add_nc_u32 v5, v4, v5
	s_wait_dscnt 0x0
	v_add_nc_u32_e32 v6, v3, v6
	s_wait_alu 0xfffd
	s_delay_alu instid0(VALU_DEP_1)
	v_dual_cndmask_b32 v4, v5, v4 :: v_dual_cndmask_b32 v3, v6, v3
	ds_bpermute_b32 v5, v89, v4
	v_cmp_gt_u32_e32 vcc_lo, v90, v8
	ds_bpermute_b32 v6, v89, v3
	s_wait_dscnt 0x1
	v_add_nc_u32_e32 v5, v4, v5
	s_wait_dscnt 0x0
	v_add_nc_u32_e32 v6, v3, v6
	s_wait_alu 0xfffd
	s_delay_alu instid0(VALU_DEP_1)
	v_dual_cndmask_b32 v4, v5, v4 :: v_dual_cndmask_b32 v3, v6, v3
	ds_bpermute_b32 v6, v91, v4
	v_cmp_le_u32_e32 vcc_lo, v92, v8
	ds_bpermute_b32 v5, v91, v3
	s_wait_dscnt 0x0
	s_wait_alu 0xfffd
	v_dual_cndmask_b32 v6, 0, v6 :: v_dual_cndmask_b32 v5, 0, v5
	s_delay_alu instid0(VALU_DEP_1) | instskip(NEXT) | instid1(VALU_DEP_2)
	v_add_nc_u32_e32 v6, v6, v4
	v_add_nc_u32_e32 v5, v5, v3
	s_branch .LBB1473_127
.LBB1473_124:                           ;   in Loop: Header=BB1473_127 Depth=1
	s_or_b32 exec_lo, exec_lo, s7
.LBB1473_125:                           ;   in Loop: Header=BB1473_127 Depth=1
	s_wait_alu 0xfffe
	s_or_b32 exec_lo, exec_lo, s6
	ds_bpermute_b32 v8, v83, v5
	ds_bpermute_b32 v25, v83, v6
	v_subrev_nc_u32_e32 v23, 32, v23
	s_mov_b32 s6, 0
	s_wait_dscnt 0x1
	v_add_nc_u32_e32 v8, v8, v5
	v_and_b32_e32 v26, 0xff, v7
	s_wait_dscnt 0x0
	v_add_nc_u32_e32 v25, v25, v6
	s_delay_alu instid0(VALU_DEP_2) | instskip(SKIP_2) | instid1(VALU_DEP_1)
	v_cmp_eq_u16_e32 vcc_lo, 2, v26
	s_wait_alu 0xfffd
	v_and_or_b32 v26, vcc_lo, v84, 0x80000000
	v_ctz_i32_b32_e32 v26, v26
	s_delay_alu instid0(VALU_DEP_1)
	v_cmp_lt_u32_e32 vcc_lo, v74, v26
	s_wait_alu 0xfffd
	v_dual_cndmask_b32 v6, v6, v25 :: v_dual_cndmask_b32 v5, v5, v8
	v_cmp_gt_u32_e32 vcc_lo, v86, v26
	ds_bpermute_b32 v25, v85, v6
	ds_bpermute_b32 v8, v85, v5
	s_wait_dscnt 0x1
	v_add_nc_u32_e32 v25, v6, v25
	s_wait_dscnt 0x0
	v_add_nc_u32_e32 v8, v5, v8
	s_wait_alu 0xfffd
	s_delay_alu instid0(VALU_DEP_1)
	v_dual_cndmask_b32 v6, v25, v6 :: v_dual_cndmask_b32 v5, v8, v5
	v_cmp_gt_u32_e32 vcc_lo, v88, v26
	ds_bpermute_b32 v25, v87, v6
	ds_bpermute_b32 v8, v87, v5
	s_wait_dscnt 0x1
	v_add_nc_u32_e32 v25, v6, v25
	s_wait_dscnt 0x0
	v_add_nc_u32_e32 v8, v5, v8
	s_wait_alu 0xfffd
	s_delay_alu instid0(VALU_DEP_1)
	v_dual_cndmask_b32 v6, v25, v6 :: v_dual_cndmask_b32 v5, v8, v5
	v_cmp_gt_u32_e32 vcc_lo, v90, v26
	ds_bpermute_b32 v25, v89, v6
	ds_bpermute_b32 v8, v89, v5
	s_wait_dscnt 0x1
	v_add_nc_u32_e32 v25, v6, v25
	s_wait_dscnt 0x0
	v_add_nc_u32_e32 v8, v5, v8
	s_wait_alu 0xfffd
	s_delay_alu instid0(VALU_DEP_1)
	v_dual_cndmask_b32 v6, v25, v6 :: v_dual_cndmask_b32 v5, v8, v5
	v_cmp_le_u32_e32 vcc_lo, v92, v26
	ds_bpermute_b32 v25, v91, v6
	ds_bpermute_b32 v8, v91, v5
	s_wait_dscnt 0x0
	s_wait_alu 0xfffd
	v_dual_cndmask_b32 v25, 0, v25 :: v_dual_cndmask_b32 v8, 0, v8
	s_delay_alu instid0(VALU_DEP_1) | instskip(NEXT) | instid1(VALU_DEP_2)
	v_add3_u32 v6, v6, v4, v25
	v_add3_u32 v5, v5, v3, v8
.LBB1473_126:                           ;   in Loop: Header=BB1473_127 Depth=1
	s_wait_alu 0xfffe
	s_and_b32 vcc_lo, exec_lo, s6
	s_wait_alu 0xfffe
	s_cbranch_vccnz .LBB1473_132
.LBB1473_127:                           ; =>This Loop Header: Depth=1
                                        ;     Child Loop BB1473_130 Depth 2
	v_and_b32_e32 v3, 0xff, v7
	s_mov_b32 s6, -1
                                        ; implicit-def: $vgpr7
	s_delay_alu instid0(VALU_DEP_1)
	v_cmp_ne_u16_e32 vcc_lo, 2, v3
	v_dual_mov_b32 v3, v5 :: v_dual_mov_b32 v4, v6
                                        ; implicit-def: $vgpr5_vgpr6
	s_cmp_lg_u32 vcc_lo, exec_lo
	s_cbranch_scc1 .LBB1473_126
; %bb.128:                              ;   in Loop: Header=BB1473_127 Depth=1
	v_lshlrev_b64_e32 v[5:6], 4, v[23:24]
	s_mov_b32 s6, exec_lo
	s_delay_alu instid0(VALU_DEP_1) | instskip(SKIP_1) | instid1(VALU_DEP_2)
	v_add_co_u32 v25, vcc_lo, s4, v5
	s_wait_alu 0xfffd
	v_add_co_ci_u32_e64 v26, null, s5, v6, vcc_lo
	;;#ASMSTART
	global_load_b128 v[5:8], v[25:26] off scope:SCOPE_DEV	
s_wait_loadcnt 0x0
	;;#ASMEND
	v_and_b32_e32 v8, 0xff, v7
	s_delay_alu instid0(VALU_DEP_1)
	v_cmpx_eq_u16_e32 0, v8
	s_cbranch_execz .LBB1473_125
; %bb.129:                              ;   in Loop: Header=BB1473_127 Depth=1
	s_mov_b32 s7, 0
.LBB1473_130:                           ;   Parent Loop BB1473_127 Depth=1
                                        ; =>  This Inner Loop Header: Depth=2
	;;#ASMSTART
	global_load_b128 v[5:8], v[25:26] off scope:SCOPE_DEV	
s_wait_loadcnt 0x0
	;;#ASMEND
	v_and_b32_e32 v8, 0xff, v7
	s_delay_alu instid0(VALU_DEP_1)
	v_cmp_ne_u16_e32 vcc_lo, 0, v8
	s_wait_alu 0xfffe
	s_or_b32 s7, vcc_lo, s7
	s_wait_alu 0xfffe
	s_and_not1_b32 exec_lo, exec_lo, s7
	s_cbranch_execnz .LBB1473_130
	s_branch .LBB1473_124
.LBB1473_131:
                                        ; implicit-def: $vgpr81
                                        ; implicit-def: $vgpr3
                                        ; implicit-def: $vgpr82
	s_wait_alu 0xfffe
	s_and_b32 vcc_lo, exec_lo, s3
	s_wait_alu 0xfffe
	s_cbranch_vccnz .LBB1473_137
	s_branch .LBB1473_146
.LBB1473_132:
	s_and_saveexec_b32 s6, s2
	s_cbranch_execnz .LBB1473_374
; %bb.133:
	s_wait_alu 0xfffe
	s_or_b32 exec_lo, exec_lo, s6
	s_and_saveexec_b32 s6, s2
	s_cbranch_execnz .LBB1473_375
.LBB1473_134:
	s_wait_alu 0xfffe
	s_or_b32 exec_lo, exec_lo, s6
	v_cmp_eq_u32_e32 vcc_lo, 0, v0
	s_and_b32 exec_lo, exec_lo, vcc_lo
.LBB1473_135:
	v_mov_b32_e32 v1, 0
	ds_store_b64 v1, v[3:4] offset:56
.LBB1473_136:
	s_wait_alu 0xfffe
	s_or_b32 exec_lo, exec_lo, s3
	s_wait_dscnt 0x0
	v_cndmask_b32_e64 v8, v82, v22, s2
	v_mov_b32_e32 v1, 0
	s_wait_loadcnt 0x0
	s_barrier_signal -1
	s_barrier_wait -1
	global_inv scope:SCOPE_SE
	ds_load_b64 v[5:6], v1 offset:56
	s_wait_loadcnt_dscnt 0x0
	s_barrier_signal -1
	s_barrier_wait -1
	global_inv scope:SCOPE_SE
	v_cndmask_b32_e64 v7, v81, v21, s2
	v_cmp_eq_u32_e32 vcc_lo, 0, v0
	v_add_nc_u32_e32 v8, v6, v8
	ds_load_b128 v[1:4], v1 offset:13312
	v_add_nc_u32_e32 v7, v5, v7
	s_wait_alu 0xfffd
	s_delay_alu instid0(VALU_DEP_1)
	v_dual_cndmask_b32 v81, v8, v6 :: v_dual_cndmask_b32 v82, v7, v5
	s_branch .LBB1473_146
.LBB1473_137:
	s_wait_dscnt 0x0
	v_mov_b32_dpp v2, v80 row_shr:1 row_mask:0xf bank_mask:0xf
	v_cmp_lt_u32_e32 vcc_lo, 3, v76
	v_mov_b32_dpp v1, v79 row_shr:1 row_mask:0xf bank_mask:0xf
	s_delay_alu instid0(VALU_DEP_3) | instskip(NEXT) | instid1(VALU_DEP_1)
	v_add_nc_u32_e32 v2, v2, v80
	v_cndmask_b32_e64 v2, v2, v80, s1
	s_delay_alu instid0(VALU_DEP_1) | instskip(NEXT) | instid1(VALU_DEP_1)
	v_mov_b32_dpp v4, v2 row_shr:2 row_mask:0xf bank_mask:0xf
	v_add_nc_u32_e32 v4, v2, v4
	s_delay_alu instid0(VALU_DEP_1) | instskip(NEXT) | instid1(VALU_DEP_1)
	v_cndmask_b32_e64 v2, v2, v4, s0
	v_mov_b32_dpp v4, v2 row_shr:4 row_mask:0xf bank_mask:0xf
	s_delay_alu instid0(VALU_DEP_1) | instskip(SKIP_1) | instid1(VALU_DEP_1)
	v_add_nc_u32_e32 v4, v2, v4
	s_wait_alu 0xfffd
	v_dual_cndmask_b32 v2, v2, v4 :: v_dual_add_nc_u32 v1, v1, v79
	s_delay_alu instid0(VALU_DEP_1) | instskip(SKIP_1) | instid1(VALU_DEP_2)
	v_cndmask_b32_e64 v1, v1, v79, s1
	s_mov_b32 s1, exec_lo
	v_mov_b32_dpp v4, v2 row_shr:8 row_mask:0xf bank_mask:0xf
	s_delay_alu instid0(VALU_DEP_2) | instskip(NEXT) | instid1(VALU_DEP_1)
	v_mov_b32_dpp v3, v1 row_shr:2 row_mask:0xf bank_mask:0xf
	v_add_nc_u32_e32 v3, v1, v3
	s_delay_alu instid0(VALU_DEP_1) | instskip(NEXT) | instid1(VALU_DEP_1)
	v_cndmask_b32_e64 v1, v1, v3, s0
	v_mov_b32_dpp v3, v1 row_shr:4 row_mask:0xf bank_mask:0xf
	s_delay_alu instid0(VALU_DEP_1) | instskip(NEXT) | instid1(VALU_DEP_1)
	v_add_nc_u32_e32 v3, v1, v3
	v_cndmask_b32_e32 v3, v1, v3, vcc_lo
	v_cmp_lt_u32_e32 vcc_lo, 7, v76
	s_delay_alu instid0(VALU_DEP_2) | instskip(NEXT) | instid1(VALU_DEP_1)
	v_mov_b32_dpp v1, v3 row_shr:8 row_mask:0xf bank_mask:0xf
	v_add_nc_u32_e32 v5, v3, v1
	v_add_nc_u32_e32 v1, v2, v4
	s_wait_alu 0xfffd
	s_delay_alu instid0(VALU_DEP_1) | instskip(NEXT) | instid1(VALU_DEP_3)
	v_cndmask_b32_e32 v1, v2, v1, vcc_lo
	v_cndmask_b32_e32 v2, v3, v5, vcc_lo
	v_cmp_eq_u32_e32 vcc_lo, 0, v78
	ds_swizzle_b32 v3, v1 offset:swizzle(BROADCAST,32,15)
	ds_swizzle_b32 v4, v2 offset:swizzle(BROADCAST,32,15)
	s_wait_dscnt 0x1
	v_add_nc_u32_e32 v3, v1, v3
	s_wait_dscnt 0x0
	v_add_nc_u32_e32 v4, v2, v4
	v_cmpx_eq_u32_e64 v0, v77
; %bb.138:
	s_wait_alu 0xfffd
	s_delay_alu instid0(VALU_DEP_2)
	v_dual_cndmask_b32 v5, v4, v2 :: v_dual_cndmask_b32 v6, v3, v1
	v_lshlrev_b32_e32 v7, 3, v75
	ds_store_b64 v7, v[5:6]
; %bb.139:
	s_wait_alu 0xfffe
	s_or_b32 exec_lo, exec_lo, s1
	s_delay_alu instid0(SALU_CYCLE_1)
	s_mov_b32 s1, exec_lo
	s_wait_loadcnt_dscnt 0x0
	s_barrier_signal -1
	s_barrier_wait -1
	global_inv scope:SCOPE_SE
	v_cmpx_gt_u32_e32 8, v0
	s_cbranch_execz .LBB1473_141
; %bb.140:
	v_lshlrev_b32_e32 v7, 3, v0
	v_and_b32_e32 v22, 7, v74
	ds_load_b64 v[5:6], v7
	v_cmp_eq_u32_e64 s0, 0, v22
	s_wait_dscnt 0x0
	v_mov_b32_dpp v8, v5 row_shr:1 row_mask:0xf bank_mask:0xf
	v_mov_b32_dpp v21, v6 row_shr:1 row_mask:0xf bank_mask:0xf
	s_delay_alu instid0(VALU_DEP_2) | instskip(NEXT) | instid1(VALU_DEP_2)
	v_add_nc_u32_e32 v8, v8, v5
	v_add_nc_u32_e32 v21, v21, v6
	s_wait_alu 0xf1ff
	s_delay_alu instid0(VALU_DEP_2) | instskip(NEXT) | instid1(VALU_DEP_2)
	v_cndmask_b32_e64 v5, v8, v5, s0
	v_cndmask_b32_e64 v6, v21, v6, s0
	v_cmp_lt_u32_e64 s0, 1, v22
	s_delay_alu instid0(VALU_DEP_3) | instskip(NEXT) | instid1(VALU_DEP_3)
	v_mov_b32_dpp v8, v5 row_shr:2 row_mask:0xf bank_mask:0xf
	v_mov_b32_dpp v21, v6 row_shr:2 row_mask:0xf bank_mask:0xf
	s_delay_alu instid0(VALU_DEP_2) | instskip(NEXT) | instid1(VALU_DEP_2)
	v_add_nc_u32_e32 v8, v5, v8
	v_add_nc_u32_e32 v21, v6, v21
	s_wait_alu 0xf1ff
	s_delay_alu instid0(VALU_DEP_2) | instskip(NEXT) | instid1(VALU_DEP_2)
	v_cndmask_b32_e64 v5, v5, v8, s0
	v_cndmask_b32_e64 v6, v6, v21, s0
	v_cmp_lt_u32_e64 s0, 3, v22
	s_delay_alu instid0(VALU_DEP_3) | instskip(NEXT) | instid1(VALU_DEP_3)
	v_mov_b32_dpp v8, v5 row_shr:4 row_mask:0xf bank_mask:0xf
	v_mov_b32_dpp v21, v6 row_shr:4 row_mask:0xf bank_mask:0xf
	s_wait_alu 0xf1ff
	s_delay_alu instid0(VALU_DEP_2) | instskip(NEXT) | instid1(VALU_DEP_2)
	v_cndmask_b32_e64 v8, 0, v8, s0
	v_cndmask_b32_e64 v21, 0, v21, s0
	s_delay_alu instid0(VALU_DEP_2) | instskip(NEXT) | instid1(VALU_DEP_2)
	v_add_nc_u32_e32 v5, v8, v5
	v_add_nc_u32_e32 v6, v21, v6
	ds_store_b64 v7, v[5:6]
.LBB1473_141:
	s_wait_alu 0xfffe
	s_or_b32 exec_lo, exec_lo, s1
	v_dual_mov_b32 v7, 0 :: v_dual_mov_b32 v6, 0
	v_mov_b32_e32 v5, 0
	s_mov_b32 s1, exec_lo
	s_wait_loadcnt_dscnt 0x0
	s_barrier_signal -1
	s_barrier_wait -1
	global_inv scope:SCOPE_SE
	v_cmpx_lt_u32_e32 31, v0
; %bb.142:
	v_lshl_add_u32 v5, v75, 3, -8
	ds_load_b64 v[5:6], v5
; %bb.143:
	s_wait_alu 0xfffe
	s_or_b32 exec_lo, exec_lo, s1
	v_sub_co_u32 v8, s0, v74, 1
	v_dual_cndmask_b32 v2, v4, v2 :: v_dual_cndmask_b32 v1, v3, v1
	v_cmp_eq_u32_e32 vcc_lo, 0, v0
	s_delay_alu instid0(VALU_DEP_3) | instskip(SKIP_1) | instid1(VALU_DEP_3)
	v_cmp_gt_i32_e64 s1, 0, v8
	s_wait_dscnt 0x0
	v_add_nc_u32_e32 v2, v5, v2
	v_add_nc_u32_e32 v1, v6, v1
	s_wait_alu 0xf1ff
	v_cndmask_b32_e64 v4, v8, v74, s1
	s_delay_alu instid0(VALU_DEP_1)
	v_lshlrev_b32_e32 v3, 2, v4
	ds_bpermute_b32 v8, v3, v2
	ds_bpermute_b32 v21, v3, v1
	ds_load_b64 v[1:2], v7 offset:56
	s_and_saveexec_b32 s1, vcc_lo
	s_cbranch_execz .LBB1473_145
; %bb.144:
	s_wait_kmcnt 0x0
	s_add_nc_u64 s[2:3], s[4:5], 0x200
	v_dual_mov_b32 v3, 2 :: v_dual_mov_b32 v4, 0
	s_wait_alu 0xfffe
	v_dual_mov_b32 v23, s3 :: v_dual_mov_b32 v22, s2
	s_wait_dscnt 0x0
	;;#ASMSTART
	global_store_b128 v[22:23], v[1:4] off scope:SCOPE_DEV	
s_wait_storecnt 0x0
	;;#ASMEND
.LBB1473_145:
	s_wait_alu 0xfffe
	s_or_b32 exec_lo, exec_lo, s1
	s_wait_dscnt 0x1
	v_cndmask_b32_e64 v3, v21, v6, s0
	v_cndmask_b32_e64 v5, v8, v5, s0
	v_mov_b32_e32 v4, 0
	s_wait_loadcnt_dscnt 0x0
	s_barrier_signal -1
	v_cndmask_b32_e64 v81, v3, 0, vcc_lo
	v_cndmask_b32_e64 v82, v5, 0, vcc_lo
	v_mov_b32_e32 v3, 0
	s_barrier_wait -1
	global_inv scope:SCOPE_SE
.LBB1473_146:
	v_lshrrev_b32_e32 v77, 8, v49
	s_delay_alu instid0(VALU_DEP_2)
	v_add_nc_u32_e32 v73, v81, v73
	s_wait_dscnt 0x0
	v_sub_nc_u32_e32 v81, v81, v4
	v_lshlrev_b32_e32 v84, 1, v1
	v_lshrrev_b32_e32 v75, 16, v49
	v_and_b32_e32 v77, 1, v77
	v_add_nc_u32_e32 v71, v73, v71
	v_add_nc_u32_e32 v81, v81, v1
	v_add3_u32 v87, v84, v2, v41
	v_and_b32_e32 v75, 1, v75
	v_cmp_eq_u32_e32 vcc_lo, 1, v77
	v_add_nc_u32_e32 v72, v82, v72
	v_sub_nc_u32_e32 v82, v82, v3
	v_sub_nc_u32_e32 v73, v73, v4
	v_lshrrev_b32_e32 v76, 8, v42
	v_lshrrev_b32_e32 v74, 16, v42
	v_and_b32_e32 v42, 1, v42
	v_add_nc_u32_e32 v41, v82, v81
	v_add_nc_u32_e32 v73, v73, v1
	v_and_b32_e32 v76, 1, v76
	s_wait_kmcnt 0x0
	v_add_co_u32 v5, s0, s28, v3
	v_sub_nc_u32_e32 v41, v87, v41
	s_wait_alu 0xf1ff
	v_add_co_ci_u32_e64 v6, null, s29, 0, s0
	v_sub_co_u32 v80, s0, s30, v1
	s_wait_alu 0xfffd
	v_cndmask_b32_e32 v41, v41, v81, vcc_lo
	v_cmp_eq_u32_e32 vcc_lo, 1, v75
	v_add_nc_u32_e32 v78, v71, v55
	v_sub_nc_u32_e32 v71, v71, v4
	s_wait_alu 0xf1ff
	v_sub_co_ci_u32_e64 v83, null, s31, 0, s0
	v_and_b32_e32 v55, 1, v55
	v_and_b32_e32 v74, 1, v74
	v_add_nc_u32_e32 v71, v71, v1
	v_add_nc_u32_e32 v70, v72, v70
	v_sub_nc_u32_e32 v72, v72, v3
	v_lshrrev_b32_e32 v26, 8, v43
	v_lshrrev_b32_e32 v25, 16, v43
	v_and_b32_e32 v43, 1, v43
	v_lshrrev_b32_e32 v23, 16, v44
	v_add_nc_u32_e32 v88, v73, v72
	v_and_b32_e32 v26, 1, v26
	v_lshrrev_b32_e32 v24, 8, v44
	v_and_b32_e32 v44, 1, v44
	v_lshrrev_b32_e32 v8, 16, v46
	v_sub_nc_u32_e32 v88, v87, v88
	v_lshrrev_b32_e32 v22, 8, v46
	v_and_b32_e32 v24, 1, v24
	v_lshrrev_b32_e32 v21, 8, v47
	v_and_b32_e32 v8, 1, v8
	v_add_nc_u32_e32 v88, 1, v88
	v_and_b32_e32 v22, 1, v22
	v_lshrrev_b32_e32 v7, 16, v47
	s_mov_b32 s41, 0
	s_wait_alu 0xfffd
	v_cndmask_b32_e32 v73, v88, v73, vcc_lo
	v_cmp_eq_u32_e32 vcc_lo, 1, v42
	v_add_nc_u32_e32 v68, v78, v68
	v_and_b32_e32 v7, 1, v7
	s_wait_alu 0xfffd
	v_cndmask_b32_e32 v81, v41, v82, vcc_lo
	v_cmp_eq_u32_e32 vcc_lo, 1, v76
	v_add_nc_u32_e32 v69, v70, v69
	v_sub_nc_u32_e32 v70, v70, v3
	v_sub_nc_u32_e32 v76, v78, v4
	s_wait_alu 0xfffd
	v_dual_cndmask_b32 v72, v73, v72 :: v_dual_add_nc_u32 v67, v68, v67
	v_add_co_u32 v41, vcc_lo, v80, v4
	v_add_nc_u32_e32 v75, v71, v70
	s_wait_alu 0xfffd
	v_add_co_ci_u32_e64 v42, null, 0, v83, vcc_lo
	v_cmp_eq_u32_e32 vcc_lo, 1, v55
	v_add_nc_u32_e32 v79, v69, v54
	v_sub_nc_u32_e32 v73, v87, v75
	v_sub_nc_u32_e32 v69, v69, v3
	;; [unrolled: 1-line block ×3, first 2 shown]
	v_lshlrev_b32_e32 v75, 2, v81
	v_lshlrev_b32_e32 v72, 2, v72
	v_add_nc_u32_e32 v73, 2, v73
	ds_store_b32 v75, v19
	ds_store_b32 v72, v20
	s_wait_alu 0xfffd
	v_dual_cndmask_b32 v55, v73, v71 :: v_dual_add_nc_u32 v68, v68, v1
	v_add_nc_u32_e32 v71, v76, v1
	v_cmp_eq_u32_e32 vcc_lo, 1, v74
	v_and_b32_e32 v54, 1, v54
	s_delay_alu instid0(VALU_DEP_3) | instskip(SKIP_4) | instid1(VALU_DEP_3)
	v_add_nc_u32_e32 v73, v69, v71
	s_wait_alu 0xfffd
	v_cndmask_b32_e32 v55, v55, v70, vcc_lo
	v_sub_nc_u32_e32 v70, v79, v3
	v_cmp_eq_u32_e32 vcc_lo, 1, v43
	v_lshlrev_b32_e32 v19, 2, v55
	s_delay_alu instid0(VALU_DEP_3)
	v_add_nc_u32_e32 v20, v70, v68
	v_sub_nc_u32_e32 v55, v87, v73
	ds_store_b32 v19, v17
	v_sub_nc_u32_e32 v20, v87, v20
	v_add_nc_u32_e32 v55, 3, v55
	v_and_b32_e32 v19, 1, v25
	s_wait_alu 0xfffd
	s_delay_alu instid0(VALU_DEP_2) | instskip(SKIP_2) | instid1(VALU_DEP_2)
	v_dual_cndmask_b32 v43, v55, v71 :: v_dual_add_nc_u32 v20, 4, v20
	v_cmp_eq_u32_e32 vcc_lo, 1, v26
	s_wait_alu 0xfffd
	v_cndmask_b32_e32 v20, v20, v68, vcc_lo
	v_cmp_eq_u32_e32 vcc_lo, 1, v54
	s_wait_alu 0xfffd
	v_cndmask_b32_e32 v26, v43, v69, vcc_lo
	v_cmp_eq_u32_e32 vcc_lo, 1, v44
	v_add_nc_u32_e32 v65, v67, v65
	v_sub_nc_u32_e32 v67, v67, v4
	s_delay_alu instid0(VALU_DEP_4)
	v_lshlrev_b32_e32 v17, 2, v26
	s_wait_alu 0xfffd
	v_cndmask_b32_e32 v20, v20, v70, vcc_lo
	v_cmp_eq_u32_e32 vcc_lo, 1, v19
	v_add_nc_u32_e32 v67, v67, v1
	v_add_nc_u32_e32 v66, v79, v66
	;; [unrolled: 1-line block ×3, first 2 shown]
	v_sub_nc_u32_e32 v26, v65, v4
	v_lshlrev_b32_e32 v20, 2, v20
	ds_store_b32 v17, v18
	ds_store_b32 v20, v15
	v_add_nc_u32_e32 v64, v66, v64
	v_sub_nc_u32_e32 v66, v66, v3
	v_add_nc_u32_e32 v26, v26, v1
	v_add_nc_u32_e32 v63, v85, v63
	v_and_b32_e32 v20, 1, v53
	s_delay_alu instid0(VALU_DEP_4) | instskip(NEXT) | instid1(VALU_DEP_1)
	v_add_nc_u32_e32 v55, v66, v67
	v_sub_nc_u32_e32 v43, v87, v55
	s_delay_alu instid0(VALU_DEP_1) | instskip(SKIP_2) | instid1(VALU_DEP_2)
	v_add_nc_u32_e32 v25, 5, v43
	v_sub_nc_u32_e32 v43, v85, v4
	s_wait_alu 0xfffd
	v_cndmask_b32_e32 v19, v25, v67, vcc_lo
	v_cmp_eq_u32_e32 vcc_lo, 1, v24
	s_delay_alu instid0(VALU_DEP_3) | instskip(SKIP_1) | instid1(VALU_DEP_3)
	v_add_nc_u32_e32 v43, v43, v1
	s_wait_alu 0xfffd
	v_cndmask_b32_e32 v19, v19, v66, vcc_lo
	v_add_nc_u32_e32 v59, v64, v59
	v_sub_nc_u32_e32 v25, v64, v3
	v_cmp_eq_u32_e32 vcc_lo, 1, v20
	v_and_b32_e32 v20, 1, v52
	v_lshlrev_b32_e32 v15, 2, v19
	v_sub_nc_u32_e32 v24, v59, v3
	v_add_nc_u32_e32 v44, v25, v26
	v_add_nc_u32_e32 v86, v59, v52
	v_and_b32_e32 v19, 1, v23
	v_sub_nc_u32_e32 v23, v63, v4
	v_add_nc_u32_e32 v17, v24, v43
	v_sub_nc_u32_e32 v18, v87, v44
	v_and_b32_e32 v44, 1, v46
	v_sub_nc_u32_e32 v46, v86, v3
	v_add_nc_u32_e32 v23, v23, v1
	v_sub_nc_u32_e32 v17, v87, v17
	v_add_nc_u32_e32 v18, 6, v18
	v_add_nc_u32_e32 v61, v86, v61
	s_wait_alu 0xfffd
	s_delay_alu instid0(VALU_DEP_2)
	v_dual_cndmask_b32 v18, v18, v26 :: v_dual_add_nc_u32 v17, 7, v17
	v_cmp_eq_u32_e32 vcc_lo, 1, v44
	v_add_nc_u32_e32 v26, v46, v23
	v_add_nc_u32_e32 v58, v61, v58
	s_wait_alu 0xfffd
	v_cndmask_b32_e32 v17, v17, v43, vcc_lo
	v_cmp_eq_u32_e32 vcc_lo, 1, v19
	v_sub_nc_u32_e32 v19, v87, v26
	s_wait_alu 0xfffd
	v_cndmask_b32_e32 v18, v18, v25, vcc_lo
	v_cmp_eq_u32_e32 vcc_lo, 1, v20
	v_add_nc_u32_e32 v62, v63, v62
	v_add_nc_u32_e32 v19, 8, v19
	v_sub_nc_u32_e32 v25, v61, v3
	s_wait_alu 0xfffd
	v_dual_cndmask_b32 v17, v17, v24 :: v_dual_lshlrev_b32 v18, 2, v18
	v_sub_nc_u32_e32 v20, v62, v4
	v_and_b32_e32 v24, 1, v47
	v_cmp_eq_u32_e32 vcc_lo, 1, v22
	s_delay_alu instid0(VALU_DEP_4) | instskip(NEXT) | instid1(VALU_DEP_4)
	v_lshlrev_b32_e32 v17, 2, v17
	v_add_nc_u32_e32 v20, v20, v1
	ds_store_b32 v15, v16
	ds_store_b32 v18, v13
	;; [unrolled: 1-line block ×3, first 2 shown]
	s_wait_alu 0xfffd
	v_cndmask_b32_e32 v19, v19, v23, vcc_lo
	v_cmp_eq_u32_e32 vcc_lo, 1, v24
	v_add_nc_u32_e32 v60, v62, v60
	v_add_nc_u32_e32 v22, v25, v20
	v_sub_nc_u32_e32 v17, v58, v3
	v_and_b32_e32 v15, 1, v21
	s_wait_alu 0xfffd
	v_cndmask_b32_e32 v19, v19, v46, vcc_lo
	v_sub_nc_u32_e32 v16, v60, v4
	v_sub_nc_u32_e32 v13, v87, v22
	v_cmp_eq_u32_e32 vcc_lo, 1, v8
	v_add_nc_u32_e32 v89, v60, v51
	v_lshlrev_b32_e32 v14, 2, v19
	v_add_nc_u32_e32 v16, v16, v1
	v_add_nc_u32_e32 v13, 9, v13
	s_delay_alu instid0(VALU_DEP_4)
	v_sub_nc_u32_e32 v18, v89, v4
	ds_store_b32 v14, v11
	v_add_nc_u32_e32 v19, v17, v16
	s_wait_alu 0xfffd
	v_cndmask_b32_e32 v8, v13, v20, vcc_lo
	v_cmp_eq_u32_e32 vcc_lo, 1, v15
	v_and_b32_e32 v15, 1, v51
	v_and_b32_e32 v20, 1, v45
	v_sub_nc_u32_e32 v14, v87, v19
	v_add_nc_u32_e32 v18, v18, v1
	s_wait_alu 0xfffd
	v_cndmask_b32_e32 v8, v8, v25, vcc_lo
	v_cmp_eq_u32_e32 vcc_lo, 1, v15
	v_add_nc_u32_e32 v57, v89, v57
	v_add_nc_u32_e32 v14, 10, v14
	v_and_b32_e32 v15, 1, v50
	v_lshlrev_b32_e32 v8, 2, v8
	s_delay_alu instid0(VALU_DEP_4)
	v_sub_nc_u32_e32 v19, v57, v4
	s_wait_alu 0xfffd
	v_cndmask_b32_e32 v14, v14, v16, vcc_lo
	v_cmp_eq_u32_e32 vcc_lo, 1, v20
	v_add_nc_u32_e32 v56, v58, v56
	v_add_nc_u32_e32 v19, v19, v1
	s_delay_alu instid0(VALU_DEP_2) | instskip(NEXT) | instid1(VALU_DEP_1)
	v_sub_nc_u32_e32 v13, v56, v3
	v_add_nc_u32_e32 v11, v13, v18
	s_delay_alu instid0(VALU_DEP_1) | instskip(NEXT) | instid1(VALU_DEP_1)
	v_sub_nc_u32_e32 v11, v87, v11
	v_add_nc_u32_e32 v11, 11, v11
	s_wait_alu 0xfffd
	s_delay_alu instid0(VALU_DEP_1) | instskip(SKIP_2) | instid1(VALU_DEP_2)
	v_cndmask_b32_e32 v11, v11, v18, vcc_lo
	v_add_nc_u32_e32 v77, v56, v50
	v_cmp_eq_u32_e32 vcc_lo, 1, v7
	v_sub_nc_u32_e32 v3, v77, v3
	s_wait_alu 0xfffd
	v_cndmask_b32_e32 v7, v14, v17, vcc_lo
	v_cmp_eq_u32_e32 vcc_lo, 1, v15
	v_and_b32_e32 v15, 1, v49
	v_add_nc_u32_e32 v16, v3, v19
	s_delay_alu instid0(VALU_DEP_4) | instskip(SKIP_4) | instid1(VALU_DEP_3)
	v_lshlrev_b32_e32 v7, 2, v7
	s_wait_alu 0xfffd
	v_cndmask_b32_e32 v11, v11, v13, vcc_lo
	v_and_b32_e32 v13, 1, v48
	v_sub_nc_u32_e32 v14, v87, v16
	v_lshlrev_b32_e32 v11, 2, v11
	s_delay_alu instid0(VALU_DEP_3)
	v_cmp_eq_u32_e32 vcc_lo, 1, v13
	ds_store_b32 v8, v12
	ds_store_b32 v7, v9
	;; [unrolled: 1-line block ×3, first 2 shown]
	v_add_nc_u32_e32 v14, 12, v14
	v_add_co_u32 v7, s0, v2, v84
	s_wait_alu 0xf1ff
	v_add_co_ci_u32_e64 v8, null, 0, 0, s0
	s_wait_alu 0xfffd
	v_cndmask_b32_e32 v13, v14, v19, vcc_lo
	v_cmp_eq_u32_e32 vcc_lo, 1, v15
	s_wait_alu 0xfffe
	s_add_nc_u64 s[0:1], s[34:35], s[40:41]
	v_lshlrev_b64_e32 v[9:10], 2, v[5:6]
	v_add_nc_u32_e32 v12, v1, v2
	s_wait_alu 0xfffd
	v_cndmask_b32_e32 v3, v13, v3, vcc_lo
	v_add_co_u32 v7, vcc_lo, v7, v41
	s_wait_alu 0xfffd
	v_add_co_ci_u32_e64 v8, null, v8, v42, vcc_lo
	s_delay_alu instid0(VALU_DEP_3)
	v_lshlrev_b32_e32 v3, 2, v3
	ds_store_b32 v3, v40
	v_add_co_u32 v3, vcc_lo, v7, v5
	s_wait_alu 0xfffd
	v_add_co_ci_u32_e64 v7, null, v8, v6, vcc_lo
	s_wait_loadcnt_dscnt 0x0
	s_wait_alu 0xfffe
	v_sub_co_u32 v3, vcc_lo, s0, v3
	s_wait_alu 0xfffd
	v_sub_co_ci_u32_e64 v11, null, s1, v7, vcc_lo
	v_lshlrev_b64_e32 v[7:8], 2, v[41:42]
	v_add_co_u32 v9, s0, s36, v9
	s_wait_alu 0xf1ff
	v_add_co_ci_u32_e64 v10, null, s37, v10, s0
	s_mov_b32 s0, -1
	v_add_co_u32 v7, vcc_lo, s38, v7
	s_wait_alu 0xfffd
	v_add_co_ci_u32_e64 v8, null, s39, v8, vcc_lo
	v_cmp_ne_u32_e32 vcc_lo, 1, v39
	s_barrier_signal -1
	s_barrier_wait -1
	global_inv scope:SCOPE_SE
	s_cbranch_vccz .LBB1473_150
; %bb.147:
	s_wait_alu 0xfffe
	s_and_b32 vcc_lo, exec_lo, s0
	s_wait_alu 0xfffe
	s_cbranch_vccnz .LBB1473_255
.LBB1473_148:
	v_cmp_eq_u32_e32 vcc_lo, 0, v0
	s_and_b32 s0, vcc_lo, s15
	s_wait_alu 0xfffe
	s_and_saveexec_b32 s1, s0
	s_cbranch_execnz .LBB1473_373
.LBB1473_149:
	s_endpgm
.LBB1473_150:
	s_mov_b32 s0, exec_lo
	v_cmpx_ge_u32_e64 v0, v1
	s_wait_alu 0xfffe
	s_xor_b32 s0, exec_lo, s0
	s_cbranch_execz .LBB1473_156
; %bb.151:
	s_mov_b32 s1, exec_lo
	v_cmpx_ge_u32_e64 v0, v12
	s_wait_alu 0xfffe
	s_xor_b32 s1, exec_lo, s1
	s_cbranch_execz .LBB1473_153
; %bb.152:
	v_lshlrev_b32_e32 v13, 2, v0
	ds_load_b32 v15, v13
	v_add_co_u32 v13, vcc_lo, v3, v0
	s_wait_alu 0xfffd
	v_add_co_ci_u32_e64 v14, null, 0, v11, vcc_lo
	s_delay_alu instid0(VALU_DEP_1) | instskip(NEXT) | instid1(VALU_DEP_1)
	v_lshlrev_b64_e32 v[13:14], 2, v[13:14]
	v_sub_co_u32 v13, vcc_lo, s26, v13
	s_wait_alu 0xfffd
	s_delay_alu instid0(VALU_DEP_2)
	v_sub_co_ci_u32_e64 v14, null, s27, v14, vcc_lo
	s_wait_dscnt 0x0
	global_store_b32 v[13:14], v15, off offset:-4
.LBB1473_153:
	s_wait_alu 0xfffe
	s_and_not1_saveexec_b32 s1, s1
	s_cbranch_execz .LBB1473_155
; %bb.154:
	v_lshlrev_b32_e32 v13, 2, v0
	v_readfirstlane_b32 s2, v7
	v_readfirstlane_b32 s3, v8
	ds_load_b32 v14, v13
	s_wait_dscnt 0x0
	global_store_b32 v13, v14, s[2:3]
.LBB1473_155:
	s_wait_alu 0xfffe
	s_or_b32 exec_lo, exec_lo, s1
.LBB1473_156:
	s_wait_alu 0xfffe
	s_and_not1_saveexec_b32 s0, s0
	s_cbranch_execz .LBB1473_158
; %bb.157:
	v_lshlrev_b32_e32 v13, 2, v0
	v_readfirstlane_b32 s2, v9
	v_readfirstlane_b32 s3, v10
	ds_load_b32 v14, v13
	s_wait_dscnt 0x0
	global_store_b32 v13, v14, s[2:3]
.LBB1473_158:
	s_wait_alu 0xfffe
	s_or_b32 exec_lo, exec_lo, s0
	s_delay_alu instid0(SALU_CYCLE_1)
	s_mov_b32 s0, exec_lo
	v_cmpx_ge_u32_e64 v38, v1
	s_wait_alu 0xfffe
	s_xor_b32 s0, exec_lo, s0
	s_cbranch_execz .LBB1473_164
; %bb.159:
	s_mov_b32 s1, exec_lo
	v_cmpx_ge_u32_e64 v38, v12
	s_wait_alu 0xfffe
	s_xor_b32 s1, exec_lo, s1
	s_cbranch_execz .LBB1473_161
; %bb.160:
	v_lshlrev_b32_e32 v13, 2, v0
	ds_load_b32 v15, v13 offset:1024
	v_add_co_u32 v13, vcc_lo, v3, v0
	s_wait_alu 0xfffd
	v_add_co_ci_u32_e64 v14, null, 0, v11, vcc_lo
	s_delay_alu instid0(VALU_DEP_1) | instskip(NEXT) | instid1(VALU_DEP_1)
	v_lshlrev_b64_e32 v[13:14], 2, v[13:14]
	v_sub_co_u32 v13, vcc_lo, s26, v13
	s_wait_alu 0xfffd
	s_delay_alu instid0(VALU_DEP_2)
	v_sub_co_ci_u32_e64 v14, null, s27, v14, vcc_lo
	s_wait_dscnt 0x0
	global_store_b32 v[13:14], v15, off offset:-1028
.LBB1473_161:
	s_wait_alu 0xfffe
	s_and_not1_saveexec_b32 s1, s1
	s_cbranch_execz .LBB1473_163
; %bb.162:
	v_lshlrev_b32_e32 v13, 2, v0
	v_readfirstlane_b32 s2, v7
	v_readfirstlane_b32 s3, v8
	ds_load_b32 v14, v13 offset:1024
	s_wait_dscnt 0x0
	global_store_b32 v13, v14, s[2:3] offset:1024
.LBB1473_163:
	s_wait_alu 0xfffe
	s_or_b32 exec_lo, exec_lo, s1
.LBB1473_164:
	s_wait_alu 0xfffe
	s_and_not1_saveexec_b32 s0, s0
	s_cbranch_execz .LBB1473_166
; %bb.165:
	v_lshlrev_b32_e32 v13, 2, v0
	v_readfirstlane_b32 s2, v9
	v_readfirstlane_b32 s3, v10
	ds_load_b32 v14, v13 offset:1024
	s_wait_dscnt 0x0
	global_store_b32 v13, v14, s[2:3] offset:1024
.LBB1473_166:
	s_wait_alu 0xfffe
	s_or_b32 exec_lo, exec_lo, s0
	s_delay_alu instid0(SALU_CYCLE_1)
	s_mov_b32 s0, exec_lo
	v_cmpx_ge_u32_e64 v37, v1
	s_wait_alu 0xfffe
	s_xor_b32 s0, exec_lo, s0
	s_cbranch_execz .LBB1473_172
; %bb.167:
	s_mov_b32 s1, exec_lo
	v_cmpx_ge_u32_e64 v37, v12
	s_wait_alu 0xfffe
	s_xor_b32 s1, exec_lo, s1
	s_cbranch_execz .LBB1473_169
; %bb.168:
	v_lshlrev_b32_e32 v13, 2, v0
	ds_load_b32 v15, v13 offset:2048
	v_add_co_u32 v13, vcc_lo, v3, v0
	s_wait_alu 0xfffd
	v_add_co_ci_u32_e64 v14, null, 0, v11, vcc_lo
	s_delay_alu instid0(VALU_DEP_1) | instskip(NEXT) | instid1(VALU_DEP_1)
	v_lshlrev_b64_e32 v[13:14], 2, v[13:14]
	v_sub_co_u32 v13, vcc_lo, s26, v13
	s_wait_alu 0xfffd
	s_delay_alu instid0(VALU_DEP_2)
	v_sub_co_ci_u32_e64 v14, null, s27, v14, vcc_lo
	s_wait_dscnt 0x0
	global_store_b32 v[13:14], v15, off offset:-2052
.LBB1473_169:
	s_wait_alu 0xfffe
	s_and_not1_saveexec_b32 s1, s1
	s_cbranch_execz .LBB1473_171
; %bb.170:
	v_lshlrev_b32_e32 v13, 2, v0
	v_readfirstlane_b32 s2, v7
	v_readfirstlane_b32 s3, v8
	ds_load_b32 v14, v13 offset:2048
	s_wait_dscnt 0x0
	global_store_b32 v13, v14, s[2:3] offset:2048
.LBB1473_171:
	s_wait_alu 0xfffe
	s_or_b32 exec_lo, exec_lo, s1
.LBB1473_172:
	s_wait_alu 0xfffe
	s_and_not1_saveexec_b32 s0, s0
	s_cbranch_execz .LBB1473_174
; %bb.173:
	v_lshlrev_b32_e32 v13, 2, v0
	v_readfirstlane_b32 s2, v9
	v_readfirstlane_b32 s3, v10
	ds_load_b32 v14, v13 offset:2048
	s_wait_dscnt 0x0
	global_store_b32 v13, v14, s[2:3] offset:2048
.LBB1473_174:
	;; [unrolled: 54-line block ×12, first 2 shown]
	s_wait_alu 0xfffe
	s_or_b32 exec_lo, exec_lo, s0
	s_branch .LBB1473_148
.LBB1473_255:
	s_mov_b32 s0, exec_lo
	v_cmpx_gt_u32_e64 s33, v0
	s_cbranch_execz .LBB1473_264
; %bb.256:
	s_mov_b32 s1, exec_lo
	v_cmpx_ge_u32_e64 v0, v1
	s_wait_alu 0xfffe
	s_xor_b32 s1, exec_lo, s1
	s_cbranch_execz .LBB1473_262
; %bb.257:
	s_mov_b32 s2, exec_lo
	v_cmpx_ge_u32_e64 v0, v12
	s_wait_alu 0xfffe
	s_xor_b32 s2, exec_lo, s2
	s_cbranch_execz .LBB1473_259
; %bb.258:
	v_lshlrev_b32_e32 v13, 2, v0
	ds_load_b32 v15, v13
	v_add_co_u32 v13, vcc_lo, v3, v0
	s_wait_alu 0xfffd
	v_add_co_ci_u32_e64 v14, null, 0, v11, vcc_lo
	s_delay_alu instid0(VALU_DEP_1) | instskip(NEXT) | instid1(VALU_DEP_1)
	v_lshlrev_b64_e32 v[13:14], 2, v[13:14]
	v_sub_co_u32 v13, vcc_lo, s26, v13
	s_wait_alu 0xfffd
	s_delay_alu instid0(VALU_DEP_2)
	v_sub_co_ci_u32_e64 v14, null, s27, v14, vcc_lo
	s_wait_dscnt 0x0
	global_store_b32 v[13:14], v15, off offset:-4
.LBB1473_259:
	s_wait_alu 0xfffe
	s_and_not1_saveexec_b32 s2, s2
	s_cbranch_execz .LBB1473_261
; %bb.260:
	v_lshlrev_b32_e32 v13, 2, v0
	v_readfirstlane_b32 s4, v7
	v_readfirstlane_b32 s5, v8
	ds_load_b32 v14, v13
	s_wait_dscnt 0x0
	global_store_b32 v13, v14, s[4:5]
.LBB1473_261:
	s_wait_alu 0xfffe
	s_or_b32 exec_lo, exec_lo, s2
.LBB1473_262:
	s_wait_alu 0xfffe
	s_and_not1_saveexec_b32 s1, s1
	s_cbranch_execz .LBB1473_264
; %bb.263:
	v_lshlrev_b32_e32 v13, 2, v0
	v_readfirstlane_b32 s2, v9
	v_readfirstlane_b32 s3, v10
	ds_load_b32 v14, v13
	s_wait_dscnt 0x0
	global_store_b32 v13, v14, s[2:3]
.LBB1473_264:
	s_wait_alu 0xfffe
	s_or_b32 exec_lo, exec_lo, s0
	s_delay_alu instid0(SALU_CYCLE_1)
	s_mov_b32 s0, exec_lo
	v_cmpx_gt_u32_e64 s33, v38
	s_cbranch_execz .LBB1473_273
; %bb.265:
	s_mov_b32 s1, exec_lo
	v_cmpx_ge_u32_e64 v38, v1
	s_wait_alu 0xfffe
	s_xor_b32 s1, exec_lo, s1
	s_cbranch_execz .LBB1473_271
; %bb.266:
	s_mov_b32 s2, exec_lo
	v_cmpx_ge_u32_e64 v38, v12
	s_wait_alu 0xfffe
	s_xor_b32 s2, exec_lo, s2
	s_cbranch_execz .LBB1473_268
; %bb.267:
	v_lshlrev_b32_e32 v13, 2, v0
	ds_load_b32 v15, v13 offset:1024
	v_add_co_u32 v13, vcc_lo, v3, v0
	s_wait_alu 0xfffd
	v_add_co_ci_u32_e64 v14, null, 0, v11, vcc_lo
	s_delay_alu instid0(VALU_DEP_1) | instskip(NEXT) | instid1(VALU_DEP_1)
	v_lshlrev_b64_e32 v[13:14], 2, v[13:14]
	v_sub_co_u32 v13, vcc_lo, s26, v13
	s_wait_alu 0xfffd
	s_delay_alu instid0(VALU_DEP_2)
	v_sub_co_ci_u32_e64 v14, null, s27, v14, vcc_lo
	s_wait_dscnt 0x0
	global_store_b32 v[13:14], v15, off offset:-1028
.LBB1473_268:
	s_wait_alu 0xfffe
	s_and_not1_saveexec_b32 s2, s2
	s_cbranch_execz .LBB1473_270
; %bb.269:
	v_lshlrev_b32_e32 v13, 2, v0
	v_readfirstlane_b32 s4, v7
	v_readfirstlane_b32 s5, v8
	ds_load_b32 v14, v13 offset:1024
	s_wait_dscnt 0x0
	global_store_b32 v13, v14, s[4:5] offset:1024
.LBB1473_270:
	s_wait_alu 0xfffe
	s_or_b32 exec_lo, exec_lo, s2
.LBB1473_271:
	s_wait_alu 0xfffe
	s_and_not1_saveexec_b32 s1, s1
	s_cbranch_execz .LBB1473_273
; %bb.272:
	v_lshlrev_b32_e32 v13, 2, v0
	v_readfirstlane_b32 s2, v9
	v_readfirstlane_b32 s3, v10
	ds_load_b32 v14, v13 offset:1024
	s_wait_dscnt 0x0
	global_store_b32 v13, v14, s[2:3] offset:1024
.LBB1473_273:
	s_wait_alu 0xfffe
	s_or_b32 exec_lo, exec_lo, s0
	s_delay_alu instid0(SALU_CYCLE_1)
	s_mov_b32 s0, exec_lo
	v_cmpx_gt_u32_e64 s33, v37
	s_cbranch_execz .LBB1473_282
; %bb.274:
	s_mov_b32 s1, exec_lo
	v_cmpx_ge_u32_e64 v37, v1
	s_wait_alu 0xfffe
	s_xor_b32 s1, exec_lo, s1
	s_cbranch_execz .LBB1473_280
; %bb.275:
	s_mov_b32 s2, exec_lo
	v_cmpx_ge_u32_e64 v37, v12
	s_wait_alu 0xfffe
	s_xor_b32 s2, exec_lo, s2
	s_cbranch_execz .LBB1473_277
; %bb.276:
	v_lshlrev_b32_e32 v13, 2, v0
	ds_load_b32 v15, v13 offset:2048
	v_add_co_u32 v13, vcc_lo, v3, v0
	s_wait_alu 0xfffd
	v_add_co_ci_u32_e64 v14, null, 0, v11, vcc_lo
	s_delay_alu instid0(VALU_DEP_1) | instskip(NEXT) | instid1(VALU_DEP_1)
	v_lshlrev_b64_e32 v[13:14], 2, v[13:14]
	v_sub_co_u32 v13, vcc_lo, s26, v13
	s_wait_alu 0xfffd
	s_delay_alu instid0(VALU_DEP_2)
	v_sub_co_ci_u32_e64 v14, null, s27, v14, vcc_lo
	s_wait_dscnt 0x0
	global_store_b32 v[13:14], v15, off offset:-2052
.LBB1473_277:
	s_wait_alu 0xfffe
	s_and_not1_saveexec_b32 s2, s2
	s_cbranch_execz .LBB1473_279
; %bb.278:
	v_lshlrev_b32_e32 v13, 2, v0
	v_readfirstlane_b32 s4, v7
	v_readfirstlane_b32 s5, v8
	ds_load_b32 v14, v13 offset:2048
	s_wait_dscnt 0x0
	global_store_b32 v13, v14, s[4:5] offset:2048
.LBB1473_279:
	s_wait_alu 0xfffe
	s_or_b32 exec_lo, exec_lo, s2
.LBB1473_280:
	s_wait_alu 0xfffe
	s_and_not1_saveexec_b32 s1, s1
	s_cbranch_execz .LBB1473_282
; %bb.281:
	v_lshlrev_b32_e32 v13, 2, v0
	v_readfirstlane_b32 s2, v9
	v_readfirstlane_b32 s3, v10
	ds_load_b32 v14, v13 offset:2048
	s_wait_dscnt 0x0
	global_store_b32 v13, v14, s[2:3] offset:2048
.LBB1473_282:
	;; [unrolled: 58-line block ×11, first 2 shown]
	s_wait_alu 0xfffe
	s_or_b32 exec_lo, exec_lo, s0
	s_delay_alu instid0(SALU_CYCLE_1)
	s_mov_b32 s0, exec_lo
	v_cmpx_gt_u32_e64 s33, v27
	s_cbranch_execz .LBB1473_372
; %bb.364:
	s_mov_b32 s1, exec_lo
	v_cmpx_ge_u32_e64 v27, v1
	s_wait_alu 0xfffe
	s_xor_b32 s1, exec_lo, s1
	s_cbranch_execz .LBB1473_370
; %bb.365:
	s_mov_b32 s2, exec_lo
	v_cmpx_ge_u32_e64 v27, v12
	s_wait_alu 0xfffe
	s_xor_b32 s2, exec_lo, s2
	s_cbranch_execz .LBB1473_367
; %bb.366:
	v_lshlrev_b32_e32 v7, 2, v0
	ds_load_b32 v9, v7 offset:12288
	v_add_co_u32 v7, vcc_lo, v3, v0
	s_wait_alu 0xfffd
	v_add_co_ci_u32_e64 v8, null, 0, v11, vcc_lo
	s_delay_alu instid0(VALU_DEP_1) | instskip(NEXT) | instid1(VALU_DEP_1)
	v_lshlrev_b64_e32 v[7:8], 2, v[7:8]
	v_sub_co_u32 v7, vcc_lo, s26, v7
	s_wait_alu 0xfffd
	s_delay_alu instid0(VALU_DEP_2)
	v_sub_co_ci_u32_e64 v8, null, s27, v8, vcc_lo
	s_wait_dscnt 0x0
	global_store_b32 v[7:8], v9, off offset:-12292
                                        ; implicit-def: $vgpr7_vgpr8
.LBB1473_367:
	s_wait_alu 0xfffe
	s_and_not1_saveexec_b32 s2, s2
	s_cbranch_execz .LBB1473_369
; %bb.368:
	v_lshlrev_b32_e32 v3, 2, v0
	v_readfirstlane_b32 s4, v7
	v_readfirstlane_b32 s5, v8
	ds_load_b32 v9, v3 offset:12288
	s_wait_dscnt 0x0
	global_store_b32 v3, v9, s[4:5] offset:12288
.LBB1473_369:
	s_wait_alu 0xfffe
	s_or_b32 exec_lo, exec_lo, s2
                                        ; implicit-def: $vgpr9_vgpr10
.LBB1473_370:
	s_wait_alu 0xfffe
	s_and_not1_saveexec_b32 s1, s1
	s_cbranch_execz .LBB1473_372
; %bb.371:
	v_lshlrev_b32_e32 v3, 2, v0
	v_readfirstlane_b32 s2, v9
	v_readfirstlane_b32 s3, v10
	ds_load_b32 v7, v3 offset:12288
	s_wait_dscnt 0x0
	global_store_b32 v3, v7, s[2:3] offset:12288
.LBB1473_372:
	s_wait_alu 0xfffe
	s_or_b32 exec_lo, exec_lo, s0
	v_cmp_eq_u32_e32 vcc_lo, 0, v0
	s_and_b32 s0, vcc_lo, s15
	s_wait_alu 0xfffe
	s_and_saveexec_b32 s1, s0
	s_cbranch_execz .LBB1473_149
.LBB1473_373:
	v_add_co_u32 v0, s0, s30, v2
	s_wait_alu 0xf1ff
	v_add_co_ci_u32_e64 v3, null, s31, 0, s0
	v_mov_b32_e32 v7, 0
	s_delay_alu instid0(VALU_DEP_3) | instskip(SKIP_1) | instid1(VALU_DEP_3)
	v_add_co_u32 v2, vcc_lo, v0, v4
	s_wait_alu 0xfffd
	v_add_co_ci_u32_e64 v3, null, 0, v3, vcc_lo
	v_add_co_u32 v0, vcc_lo, v5, v1
	s_wait_alu 0xfffd
	v_add_co_ci_u32_e64 v1, null, 0, v6, vcc_lo
	global_store_b128 v7, v[0:3], s[24:25]
	s_endpgm
.LBB1473_374:
	s_add_co_i32 s8, ttmp9, 32
	s_mov_b32 s9, 0
	v_dual_mov_b32 v7, 2 :: v_dual_add_nc_u32 v6, v4, v2
	s_wait_alu 0xfffe
	s_lshl_b64 s[8:9], s[8:9], 4
	v_dual_mov_b32 v8, 0 :: v_dual_add_nc_u32 v5, v3, v1
	s_wait_alu 0xfffe
	s_add_nc_u64 s[8:9], s[4:5], s[8:9]
	s_wait_alu 0xfffe
	v_dual_mov_b32 v24, s9 :: v_dual_mov_b32 v23, s8
	;;#ASMSTART
	global_store_b128 v[23:24], v[5:8] off scope:SCOPE_DEV	
s_wait_storecnt 0x0
	;;#ASMEND
	s_or_b32 exec_lo, exec_lo, s6
	s_and_saveexec_b32 s6, s2
	s_cbranch_execz .LBB1473_134
.LBB1473_375:
	v_mov_b32_e32 v5, 0
	ds_store_b128 v5, v[1:4] offset:13312
	s_wait_alu 0xfffe
	s_or_b32 exec_lo, exec_lo, s6
	v_cmp_eq_u32_e32 vcc_lo, 0, v0
	s_and_b32 exec_lo, exec_lo, vcc_lo
	s_cbranch_execnz .LBB1473_135
	s_branch .LBB1473_136
	.section	.rodata,"a",@progbits
	.p2align	6, 0x0
	.amdhsa_kernel _ZN7rocprim17ROCPRIM_400000_NS6detail17trampoline_kernelINS0_13select_configILj256ELj13ELNS0_17block_load_methodE3ELS4_3ELS4_3ELNS0_20block_scan_algorithmE0ELj4294967295EEENS1_25partition_config_selectorILNS1_17partition_subalgoE4EjNS0_10empty_typeEbEEZZNS1_14partition_implILS8_4ELb0ES6_15HIP_vector_typeIjLj2EENS0_17counting_iteratorIjlEEPS9_SG_NS0_5tupleIJPjSI_NS0_16reverse_iteratorISI_EEEEENSH_IJSG_SG_SG_EEES9_SI_JZNS1_25segmented_radix_sort_implINS0_14default_configELb1EPKbPbPKlPlN2at6native12_GLOBAL__N_18offset_tEEE10hipError_tPvRmT1_PNSt15iterator_traitsIS12_E10value_typeET2_T3_PNS13_IS18_E10value_typeET4_jRbjT5_S1E_jjP12ihipStream_tbEUljE_ZNSN_ISO_Lb1ESQ_SR_ST_SU_SY_EESZ_S10_S11_S12_S16_S17_S18_S1B_S1C_jS1D_jS1E_S1E_jjS1G_bEUljE0_EEESZ_S10_S11_S18_S1C_S1E_T6_T7_T9_mT8_S1G_bDpT10_ENKUlT_T0_E_clISt17integral_constantIbLb0EES1U_EEDaS1P_S1Q_EUlS1P_E_NS1_11comp_targetILNS1_3genE10ELNS1_11target_archE1200ELNS1_3gpuE4ELNS1_3repE0EEENS1_30default_config_static_selectorELNS0_4arch9wavefront6targetE0EEEvS12_
		.amdhsa_group_segment_fixed_size 13328
		.amdhsa_private_segment_fixed_size 0
		.amdhsa_kernarg_size 176
		.amdhsa_user_sgpr_count 2
		.amdhsa_user_sgpr_dispatch_ptr 0
		.amdhsa_user_sgpr_queue_ptr 0
		.amdhsa_user_sgpr_kernarg_segment_ptr 1
		.amdhsa_user_sgpr_dispatch_id 0
		.amdhsa_user_sgpr_private_segment_size 0
		.amdhsa_wavefront_size32 1
		.amdhsa_uses_dynamic_stack 0
		.amdhsa_enable_private_segment 0
		.amdhsa_system_sgpr_workgroup_id_x 1
		.amdhsa_system_sgpr_workgroup_id_y 0
		.amdhsa_system_sgpr_workgroup_id_z 0
		.amdhsa_system_sgpr_workgroup_info 0
		.amdhsa_system_vgpr_workitem_id 0
		.amdhsa_next_free_vgpr 93
		.amdhsa_next_free_sgpr 58
		.amdhsa_reserve_vcc 1
		.amdhsa_float_round_mode_32 0
		.amdhsa_float_round_mode_16_64 0
		.amdhsa_float_denorm_mode_32 3
		.amdhsa_float_denorm_mode_16_64 3
		.amdhsa_fp16_overflow 0
		.amdhsa_workgroup_processor_mode 1
		.amdhsa_memory_ordered 1
		.amdhsa_forward_progress 1
		.amdhsa_inst_pref_size 148
		.amdhsa_round_robin_scheduling 0
		.amdhsa_exception_fp_ieee_invalid_op 0
		.amdhsa_exception_fp_denorm_src 0
		.amdhsa_exception_fp_ieee_div_zero 0
		.amdhsa_exception_fp_ieee_overflow 0
		.amdhsa_exception_fp_ieee_underflow 0
		.amdhsa_exception_fp_ieee_inexact 0
		.amdhsa_exception_int_div_zero 0
	.end_amdhsa_kernel
	.section	.text._ZN7rocprim17ROCPRIM_400000_NS6detail17trampoline_kernelINS0_13select_configILj256ELj13ELNS0_17block_load_methodE3ELS4_3ELS4_3ELNS0_20block_scan_algorithmE0ELj4294967295EEENS1_25partition_config_selectorILNS1_17partition_subalgoE4EjNS0_10empty_typeEbEEZZNS1_14partition_implILS8_4ELb0ES6_15HIP_vector_typeIjLj2EENS0_17counting_iteratorIjlEEPS9_SG_NS0_5tupleIJPjSI_NS0_16reverse_iteratorISI_EEEEENSH_IJSG_SG_SG_EEES9_SI_JZNS1_25segmented_radix_sort_implINS0_14default_configELb1EPKbPbPKlPlN2at6native12_GLOBAL__N_18offset_tEEE10hipError_tPvRmT1_PNSt15iterator_traitsIS12_E10value_typeET2_T3_PNS13_IS18_E10value_typeET4_jRbjT5_S1E_jjP12ihipStream_tbEUljE_ZNSN_ISO_Lb1ESQ_SR_ST_SU_SY_EESZ_S10_S11_S12_S16_S17_S18_S1B_S1C_jS1D_jS1E_S1E_jjS1G_bEUljE0_EEESZ_S10_S11_S18_S1C_S1E_T6_T7_T9_mT8_S1G_bDpT10_ENKUlT_T0_E_clISt17integral_constantIbLb0EES1U_EEDaS1P_S1Q_EUlS1P_E_NS1_11comp_targetILNS1_3genE10ELNS1_11target_archE1200ELNS1_3gpuE4ELNS1_3repE0EEENS1_30default_config_static_selectorELNS0_4arch9wavefront6targetE0EEEvS12_,"axG",@progbits,_ZN7rocprim17ROCPRIM_400000_NS6detail17trampoline_kernelINS0_13select_configILj256ELj13ELNS0_17block_load_methodE3ELS4_3ELS4_3ELNS0_20block_scan_algorithmE0ELj4294967295EEENS1_25partition_config_selectorILNS1_17partition_subalgoE4EjNS0_10empty_typeEbEEZZNS1_14partition_implILS8_4ELb0ES6_15HIP_vector_typeIjLj2EENS0_17counting_iteratorIjlEEPS9_SG_NS0_5tupleIJPjSI_NS0_16reverse_iteratorISI_EEEEENSH_IJSG_SG_SG_EEES9_SI_JZNS1_25segmented_radix_sort_implINS0_14default_configELb1EPKbPbPKlPlN2at6native12_GLOBAL__N_18offset_tEEE10hipError_tPvRmT1_PNSt15iterator_traitsIS12_E10value_typeET2_T3_PNS13_IS18_E10value_typeET4_jRbjT5_S1E_jjP12ihipStream_tbEUljE_ZNSN_ISO_Lb1ESQ_SR_ST_SU_SY_EESZ_S10_S11_S12_S16_S17_S18_S1B_S1C_jS1D_jS1E_S1E_jjS1G_bEUljE0_EEESZ_S10_S11_S18_S1C_S1E_T6_T7_T9_mT8_S1G_bDpT10_ENKUlT_T0_E_clISt17integral_constantIbLb0EES1U_EEDaS1P_S1Q_EUlS1P_E_NS1_11comp_targetILNS1_3genE10ELNS1_11target_archE1200ELNS1_3gpuE4ELNS1_3repE0EEENS1_30default_config_static_selectorELNS0_4arch9wavefront6targetE0EEEvS12_,comdat
.Lfunc_end1473:
	.size	_ZN7rocprim17ROCPRIM_400000_NS6detail17trampoline_kernelINS0_13select_configILj256ELj13ELNS0_17block_load_methodE3ELS4_3ELS4_3ELNS0_20block_scan_algorithmE0ELj4294967295EEENS1_25partition_config_selectorILNS1_17partition_subalgoE4EjNS0_10empty_typeEbEEZZNS1_14partition_implILS8_4ELb0ES6_15HIP_vector_typeIjLj2EENS0_17counting_iteratorIjlEEPS9_SG_NS0_5tupleIJPjSI_NS0_16reverse_iteratorISI_EEEEENSH_IJSG_SG_SG_EEES9_SI_JZNS1_25segmented_radix_sort_implINS0_14default_configELb1EPKbPbPKlPlN2at6native12_GLOBAL__N_18offset_tEEE10hipError_tPvRmT1_PNSt15iterator_traitsIS12_E10value_typeET2_T3_PNS13_IS18_E10value_typeET4_jRbjT5_S1E_jjP12ihipStream_tbEUljE_ZNSN_ISO_Lb1ESQ_SR_ST_SU_SY_EESZ_S10_S11_S12_S16_S17_S18_S1B_S1C_jS1D_jS1E_S1E_jjS1G_bEUljE0_EEESZ_S10_S11_S18_S1C_S1E_T6_T7_T9_mT8_S1G_bDpT10_ENKUlT_T0_E_clISt17integral_constantIbLb0EES1U_EEDaS1P_S1Q_EUlS1P_E_NS1_11comp_targetILNS1_3genE10ELNS1_11target_archE1200ELNS1_3gpuE4ELNS1_3repE0EEENS1_30default_config_static_selectorELNS0_4arch9wavefront6targetE0EEEvS12_, .Lfunc_end1473-_ZN7rocprim17ROCPRIM_400000_NS6detail17trampoline_kernelINS0_13select_configILj256ELj13ELNS0_17block_load_methodE3ELS4_3ELS4_3ELNS0_20block_scan_algorithmE0ELj4294967295EEENS1_25partition_config_selectorILNS1_17partition_subalgoE4EjNS0_10empty_typeEbEEZZNS1_14partition_implILS8_4ELb0ES6_15HIP_vector_typeIjLj2EENS0_17counting_iteratorIjlEEPS9_SG_NS0_5tupleIJPjSI_NS0_16reverse_iteratorISI_EEEEENSH_IJSG_SG_SG_EEES9_SI_JZNS1_25segmented_radix_sort_implINS0_14default_configELb1EPKbPbPKlPlN2at6native12_GLOBAL__N_18offset_tEEE10hipError_tPvRmT1_PNSt15iterator_traitsIS12_E10value_typeET2_T3_PNS13_IS18_E10value_typeET4_jRbjT5_S1E_jjP12ihipStream_tbEUljE_ZNSN_ISO_Lb1ESQ_SR_ST_SU_SY_EESZ_S10_S11_S12_S16_S17_S18_S1B_S1C_jS1D_jS1E_S1E_jjS1G_bEUljE0_EEESZ_S10_S11_S18_S1C_S1E_T6_T7_T9_mT8_S1G_bDpT10_ENKUlT_T0_E_clISt17integral_constantIbLb0EES1U_EEDaS1P_S1Q_EUlS1P_E_NS1_11comp_targetILNS1_3genE10ELNS1_11target_archE1200ELNS1_3gpuE4ELNS1_3repE0EEENS1_30default_config_static_selectorELNS0_4arch9wavefront6targetE0EEEvS12_
                                        ; -- End function
	.set _ZN7rocprim17ROCPRIM_400000_NS6detail17trampoline_kernelINS0_13select_configILj256ELj13ELNS0_17block_load_methodE3ELS4_3ELS4_3ELNS0_20block_scan_algorithmE0ELj4294967295EEENS1_25partition_config_selectorILNS1_17partition_subalgoE4EjNS0_10empty_typeEbEEZZNS1_14partition_implILS8_4ELb0ES6_15HIP_vector_typeIjLj2EENS0_17counting_iteratorIjlEEPS9_SG_NS0_5tupleIJPjSI_NS0_16reverse_iteratorISI_EEEEENSH_IJSG_SG_SG_EEES9_SI_JZNS1_25segmented_radix_sort_implINS0_14default_configELb1EPKbPbPKlPlN2at6native12_GLOBAL__N_18offset_tEEE10hipError_tPvRmT1_PNSt15iterator_traitsIS12_E10value_typeET2_T3_PNS13_IS18_E10value_typeET4_jRbjT5_S1E_jjP12ihipStream_tbEUljE_ZNSN_ISO_Lb1ESQ_SR_ST_SU_SY_EESZ_S10_S11_S12_S16_S17_S18_S1B_S1C_jS1D_jS1E_S1E_jjS1G_bEUljE0_EEESZ_S10_S11_S18_S1C_S1E_T6_T7_T9_mT8_S1G_bDpT10_ENKUlT_T0_E_clISt17integral_constantIbLb0EES1U_EEDaS1P_S1Q_EUlS1P_E_NS1_11comp_targetILNS1_3genE10ELNS1_11target_archE1200ELNS1_3gpuE4ELNS1_3repE0EEENS1_30default_config_static_selectorELNS0_4arch9wavefront6targetE0EEEvS12_.num_vgpr, 93
	.set _ZN7rocprim17ROCPRIM_400000_NS6detail17trampoline_kernelINS0_13select_configILj256ELj13ELNS0_17block_load_methodE3ELS4_3ELS4_3ELNS0_20block_scan_algorithmE0ELj4294967295EEENS1_25partition_config_selectorILNS1_17partition_subalgoE4EjNS0_10empty_typeEbEEZZNS1_14partition_implILS8_4ELb0ES6_15HIP_vector_typeIjLj2EENS0_17counting_iteratorIjlEEPS9_SG_NS0_5tupleIJPjSI_NS0_16reverse_iteratorISI_EEEEENSH_IJSG_SG_SG_EEES9_SI_JZNS1_25segmented_radix_sort_implINS0_14default_configELb1EPKbPbPKlPlN2at6native12_GLOBAL__N_18offset_tEEE10hipError_tPvRmT1_PNSt15iterator_traitsIS12_E10value_typeET2_T3_PNS13_IS18_E10value_typeET4_jRbjT5_S1E_jjP12ihipStream_tbEUljE_ZNSN_ISO_Lb1ESQ_SR_ST_SU_SY_EESZ_S10_S11_S12_S16_S17_S18_S1B_S1C_jS1D_jS1E_S1E_jjS1G_bEUljE0_EEESZ_S10_S11_S18_S1C_S1E_T6_T7_T9_mT8_S1G_bDpT10_ENKUlT_T0_E_clISt17integral_constantIbLb0EES1U_EEDaS1P_S1Q_EUlS1P_E_NS1_11comp_targetILNS1_3genE10ELNS1_11target_archE1200ELNS1_3gpuE4ELNS1_3repE0EEENS1_30default_config_static_selectorELNS0_4arch9wavefront6targetE0EEEvS12_.num_agpr, 0
	.set _ZN7rocprim17ROCPRIM_400000_NS6detail17trampoline_kernelINS0_13select_configILj256ELj13ELNS0_17block_load_methodE3ELS4_3ELS4_3ELNS0_20block_scan_algorithmE0ELj4294967295EEENS1_25partition_config_selectorILNS1_17partition_subalgoE4EjNS0_10empty_typeEbEEZZNS1_14partition_implILS8_4ELb0ES6_15HIP_vector_typeIjLj2EENS0_17counting_iteratorIjlEEPS9_SG_NS0_5tupleIJPjSI_NS0_16reverse_iteratorISI_EEEEENSH_IJSG_SG_SG_EEES9_SI_JZNS1_25segmented_radix_sort_implINS0_14default_configELb1EPKbPbPKlPlN2at6native12_GLOBAL__N_18offset_tEEE10hipError_tPvRmT1_PNSt15iterator_traitsIS12_E10value_typeET2_T3_PNS13_IS18_E10value_typeET4_jRbjT5_S1E_jjP12ihipStream_tbEUljE_ZNSN_ISO_Lb1ESQ_SR_ST_SU_SY_EESZ_S10_S11_S12_S16_S17_S18_S1B_S1C_jS1D_jS1E_S1E_jjS1G_bEUljE0_EEESZ_S10_S11_S18_S1C_S1E_T6_T7_T9_mT8_S1G_bDpT10_ENKUlT_T0_E_clISt17integral_constantIbLb0EES1U_EEDaS1P_S1Q_EUlS1P_E_NS1_11comp_targetILNS1_3genE10ELNS1_11target_archE1200ELNS1_3gpuE4ELNS1_3repE0EEENS1_30default_config_static_selectorELNS0_4arch9wavefront6targetE0EEEvS12_.numbered_sgpr, 58
	.set _ZN7rocprim17ROCPRIM_400000_NS6detail17trampoline_kernelINS0_13select_configILj256ELj13ELNS0_17block_load_methodE3ELS4_3ELS4_3ELNS0_20block_scan_algorithmE0ELj4294967295EEENS1_25partition_config_selectorILNS1_17partition_subalgoE4EjNS0_10empty_typeEbEEZZNS1_14partition_implILS8_4ELb0ES6_15HIP_vector_typeIjLj2EENS0_17counting_iteratorIjlEEPS9_SG_NS0_5tupleIJPjSI_NS0_16reverse_iteratorISI_EEEEENSH_IJSG_SG_SG_EEES9_SI_JZNS1_25segmented_radix_sort_implINS0_14default_configELb1EPKbPbPKlPlN2at6native12_GLOBAL__N_18offset_tEEE10hipError_tPvRmT1_PNSt15iterator_traitsIS12_E10value_typeET2_T3_PNS13_IS18_E10value_typeET4_jRbjT5_S1E_jjP12ihipStream_tbEUljE_ZNSN_ISO_Lb1ESQ_SR_ST_SU_SY_EESZ_S10_S11_S12_S16_S17_S18_S1B_S1C_jS1D_jS1E_S1E_jjS1G_bEUljE0_EEESZ_S10_S11_S18_S1C_S1E_T6_T7_T9_mT8_S1G_bDpT10_ENKUlT_T0_E_clISt17integral_constantIbLb0EES1U_EEDaS1P_S1Q_EUlS1P_E_NS1_11comp_targetILNS1_3genE10ELNS1_11target_archE1200ELNS1_3gpuE4ELNS1_3repE0EEENS1_30default_config_static_selectorELNS0_4arch9wavefront6targetE0EEEvS12_.num_named_barrier, 0
	.set _ZN7rocprim17ROCPRIM_400000_NS6detail17trampoline_kernelINS0_13select_configILj256ELj13ELNS0_17block_load_methodE3ELS4_3ELS4_3ELNS0_20block_scan_algorithmE0ELj4294967295EEENS1_25partition_config_selectorILNS1_17partition_subalgoE4EjNS0_10empty_typeEbEEZZNS1_14partition_implILS8_4ELb0ES6_15HIP_vector_typeIjLj2EENS0_17counting_iteratorIjlEEPS9_SG_NS0_5tupleIJPjSI_NS0_16reverse_iteratorISI_EEEEENSH_IJSG_SG_SG_EEES9_SI_JZNS1_25segmented_radix_sort_implINS0_14default_configELb1EPKbPbPKlPlN2at6native12_GLOBAL__N_18offset_tEEE10hipError_tPvRmT1_PNSt15iterator_traitsIS12_E10value_typeET2_T3_PNS13_IS18_E10value_typeET4_jRbjT5_S1E_jjP12ihipStream_tbEUljE_ZNSN_ISO_Lb1ESQ_SR_ST_SU_SY_EESZ_S10_S11_S12_S16_S17_S18_S1B_S1C_jS1D_jS1E_S1E_jjS1G_bEUljE0_EEESZ_S10_S11_S18_S1C_S1E_T6_T7_T9_mT8_S1G_bDpT10_ENKUlT_T0_E_clISt17integral_constantIbLb0EES1U_EEDaS1P_S1Q_EUlS1P_E_NS1_11comp_targetILNS1_3genE10ELNS1_11target_archE1200ELNS1_3gpuE4ELNS1_3repE0EEENS1_30default_config_static_selectorELNS0_4arch9wavefront6targetE0EEEvS12_.private_seg_size, 0
	.set _ZN7rocprim17ROCPRIM_400000_NS6detail17trampoline_kernelINS0_13select_configILj256ELj13ELNS0_17block_load_methodE3ELS4_3ELS4_3ELNS0_20block_scan_algorithmE0ELj4294967295EEENS1_25partition_config_selectorILNS1_17partition_subalgoE4EjNS0_10empty_typeEbEEZZNS1_14partition_implILS8_4ELb0ES6_15HIP_vector_typeIjLj2EENS0_17counting_iteratorIjlEEPS9_SG_NS0_5tupleIJPjSI_NS0_16reverse_iteratorISI_EEEEENSH_IJSG_SG_SG_EEES9_SI_JZNS1_25segmented_radix_sort_implINS0_14default_configELb1EPKbPbPKlPlN2at6native12_GLOBAL__N_18offset_tEEE10hipError_tPvRmT1_PNSt15iterator_traitsIS12_E10value_typeET2_T3_PNS13_IS18_E10value_typeET4_jRbjT5_S1E_jjP12ihipStream_tbEUljE_ZNSN_ISO_Lb1ESQ_SR_ST_SU_SY_EESZ_S10_S11_S12_S16_S17_S18_S1B_S1C_jS1D_jS1E_S1E_jjS1G_bEUljE0_EEESZ_S10_S11_S18_S1C_S1E_T6_T7_T9_mT8_S1G_bDpT10_ENKUlT_T0_E_clISt17integral_constantIbLb0EES1U_EEDaS1P_S1Q_EUlS1P_E_NS1_11comp_targetILNS1_3genE10ELNS1_11target_archE1200ELNS1_3gpuE4ELNS1_3repE0EEENS1_30default_config_static_selectorELNS0_4arch9wavefront6targetE0EEEvS12_.uses_vcc, 1
	.set _ZN7rocprim17ROCPRIM_400000_NS6detail17trampoline_kernelINS0_13select_configILj256ELj13ELNS0_17block_load_methodE3ELS4_3ELS4_3ELNS0_20block_scan_algorithmE0ELj4294967295EEENS1_25partition_config_selectorILNS1_17partition_subalgoE4EjNS0_10empty_typeEbEEZZNS1_14partition_implILS8_4ELb0ES6_15HIP_vector_typeIjLj2EENS0_17counting_iteratorIjlEEPS9_SG_NS0_5tupleIJPjSI_NS0_16reverse_iteratorISI_EEEEENSH_IJSG_SG_SG_EEES9_SI_JZNS1_25segmented_radix_sort_implINS0_14default_configELb1EPKbPbPKlPlN2at6native12_GLOBAL__N_18offset_tEEE10hipError_tPvRmT1_PNSt15iterator_traitsIS12_E10value_typeET2_T3_PNS13_IS18_E10value_typeET4_jRbjT5_S1E_jjP12ihipStream_tbEUljE_ZNSN_ISO_Lb1ESQ_SR_ST_SU_SY_EESZ_S10_S11_S12_S16_S17_S18_S1B_S1C_jS1D_jS1E_S1E_jjS1G_bEUljE0_EEESZ_S10_S11_S18_S1C_S1E_T6_T7_T9_mT8_S1G_bDpT10_ENKUlT_T0_E_clISt17integral_constantIbLb0EES1U_EEDaS1P_S1Q_EUlS1P_E_NS1_11comp_targetILNS1_3genE10ELNS1_11target_archE1200ELNS1_3gpuE4ELNS1_3repE0EEENS1_30default_config_static_selectorELNS0_4arch9wavefront6targetE0EEEvS12_.uses_flat_scratch, 0
	.set _ZN7rocprim17ROCPRIM_400000_NS6detail17trampoline_kernelINS0_13select_configILj256ELj13ELNS0_17block_load_methodE3ELS4_3ELS4_3ELNS0_20block_scan_algorithmE0ELj4294967295EEENS1_25partition_config_selectorILNS1_17partition_subalgoE4EjNS0_10empty_typeEbEEZZNS1_14partition_implILS8_4ELb0ES6_15HIP_vector_typeIjLj2EENS0_17counting_iteratorIjlEEPS9_SG_NS0_5tupleIJPjSI_NS0_16reverse_iteratorISI_EEEEENSH_IJSG_SG_SG_EEES9_SI_JZNS1_25segmented_radix_sort_implINS0_14default_configELb1EPKbPbPKlPlN2at6native12_GLOBAL__N_18offset_tEEE10hipError_tPvRmT1_PNSt15iterator_traitsIS12_E10value_typeET2_T3_PNS13_IS18_E10value_typeET4_jRbjT5_S1E_jjP12ihipStream_tbEUljE_ZNSN_ISO_Lb1ESQ_SR_ST_SU_SY_EESZ_S10_S11_S12_S16_S17_S18_S1B_S1C_jS1D_jS1E_S1E_jjS1G_bEUljE0_EEESZ_S10_S11_S18_S1C_S1E_T6_T7_T9_mT8_S1G_bDpT10_ENKUlT_T0_E_clISt17integral_constantIbLb0EES1U_EEDaS1P_S1Q_EUlS1P_E_NS1_11comp_targetILNS1_3genE10ELNS1_11target_archE1200ELNS1_3gpuE4ELNS1_3repE0EEENS1_30default_config_static_selectorELNS0_4arch9wavefront6targetE0EEEvS12_.has_dyn_sized_stack, 0
	.set _ZN7rocprim17ROCPRIM_400000_NS6detail17trampoline_kernelINS0_13select_configILj256ELj13ELNS0_17block_load_methodE3ELS4_3ELS4_3ELNS0_20block_scan_algorithmE0ELj4294967295EEENS1_25partition_config_selectorILNS1_17partition_subalgoE4EjNS0_10empty_typeEbEEZZNS1_14partition_implILS8_4ELb0ES6_15HIP_vector_typeIjLj2EENS0_17counting_iteratorIjlEEPS9_SG_NS0_5tupleIJPjSI_NS0_16reverse_iteratorISI_EEEEENSH_IJSG_SG_SG_EEES9_SI_JZNS1_25segmented_radix_sort_implINS0_14default_configELb1EPKbPbPKlPlN2at6native12_GLOBAL__N_18offset_tEEE10hipError_tPvRmT1_PNSt15iterator_traitsIS12_E10value_typeET2_T3_PNS13_IS18_E10value_typeET4_jRbjT5_S1E_jjP12ihipStream_tbEUljE_ZNSN_ISO_Lb1ESQ_SR_ST_SU_SY_EESZ_S10_S11_S12_S16_S17_S18_S1B_S1C_jS1D_jS1E_S1E_jjS1G_bEUljE0_EEESZ_S10_S11_S18_S1C_S1E_T6_T7_T9_mT8_S1G_bDpT10_ENKUlT_T0_E_clISt17integral_constantIbLb0EES1U_EEDaS1P_S1Q_EUlS1P_E_NS1_11comp_targetILNS1_3genE10ELNS1_11target_archE1200ELNS1_3gpuE4ELNS1_3repE0EEENS1_30default_config_static_selectorELNS0_4arch9wavefront6targetE0EEEvS12_.has_recursion, 0
	.set _ZN7rocprim17ROCPRIM_400000_NS6detail17trampoline_kernelINS0_13select_configILj256ELj13ELNS0_17block_load_methodE3ELS4_3ELS4_3ELNS0_20block_scan_algorithmE0ELj4294967295EEENS1_25partition_config_selectorILNS1_17partition_subalgoE4EjNS0_10empty_typeEbEEZZNS1_14partition_implILS8_4ELb0ES6_15HIP_vector_typeIjLj2EENS0_17counting_iteratorIjlEEPS9_SG_NS0_5tupleIJPjSI_NS0_16reverse_iteratorISI_EEEEENSH_IJSG_SG_SG_EEES9_SI_JZNS1_25segmented_radix_sort_implINS0_14default_configELb1EPKbPbPKlPlN2at6native12_GLOBAL__N_18offset_tEEE10hipError_tPvRmT1_PNSt15iterator_traitsIS12_E10value_typeET2_T3_PNS13_IS18_E10value_typeET4_jRbjT5_S1E_jjP12ihipStream_tbEUljE_ZNSN_ISO_Lb1ESQ_SR_ST_SU_SY_EESZ_S10_S11_S12_S16_S17_S18_S1B_S1C_jS1D_jS1E_S1E_jjS1G_bEUljE0_EEESZ_S10_S11_S18_S1C_S1E_T6_T7_T9_mT8_S1G_bDpT10_ENKUlT_T0_E_clISt17integral_constantIbLb0EES1U_EEDaS1P_S1Q_EUlS1P_E_NS1_11comp_targetILNS1_3genE10ELNS1_11target_archE1200ELNS1_3gpuE4ELNS1_3repE0EEENS1_30default_config_static_selectorELNS0_4arch9wavefront6targetE0EEEvS12_.has_indirect_call, 0
	.section	.AMDGPU.csdata,"",@progbits
; Kernel info:
; codeLenInByte = 18900
; TotalNumSgprs: 60
; NumVgprs: 93
; ScratchSize: 0
; MemoryBound: 0
; FloatMode: 240
; IeeeMode: 1
; LDSByteSize: 13328 bytes/workgroup (compile time only)
; SGPRBlocks: 0
; VGPRBlocks: 11
; NumSGPRsForWavesPerEU: 60
; NumVGPRsForWavesPerEU: 93
; Occupancy: 16
; WaveLimiterHint : 1
; COMPUTE_PGM_RSRC2:SCRATCH_EN: 0
; COMPUTE_PGM_RSRC2:USER_SGPR: 2
; COMPUTE_PGM_RSRC2:TRAP_HANDLER: 0
; COMPUTE_PGM_RSRC2:TGID_X_EN: 1
; COMPUTE_PGM_RSRC2:TGID_Y_EN: 0
; COMPUTE_PGM_RSRC2:TGID_Z_EN: 0
; COMPUTE_PGM_RSRC2:TIDIG_COMP_CNT: 0
	.section	.text._ZN7rocprim17ROCPRIM_400000_NS6detail17trampoline_kernelINS0_13select_configILj256ELj13ELNS0_17block_load_methodE3ELS4_3ELS4_3ELNS0_20block_scan_algorithmE0ELj4294967295EEENS1_25partition_config_selectorILNS1_17partition_subalgoE4EjNS0_10empty_typeEbEEZZNS1_14partition_implILS8_4ELb0ES6_15HIP_vector_typeIjLj2EENS0_17counting_iteratorIjlEEPS9_SG_NS0_5tupleIJPjSI_NS0_16reverse_iteratorISI_EEEEENSH_IJSG_SG_SG_EEES9_SI_JZNS1_25segmented_radix_sort_implINS0_14default_configELb1EPKbPbPKlPlN2at6native12_GLOBAL__N_18offset_tEEE10hipError_tPvRmT1_PNSt15iterator_traitsIS12_E10value_typeET2_T3_PNS13_IS18_E10value_typeET4_jRbjT5_S1E_jjP12ihipStream_tbEUljE_ZNSN_ISO_Lb1ESQ_SR_ST_SU_SY_EESZ_S10_S11_S12_S16_S17_S18_S1B_S1C_jS1D_jS1E_S1E_jjS1G_bEUljE0_EEESZ_S10_S11_S18_S1C_S1E_T6_T7_T9_mT8_S1G_bDpT10_ENKUlT_T0_E_clISt17integral_constantIbLb0EES1U_EEDaS1P_S1Q_EUlS1P_E_NS1_11comp_targetILNS1_3genE9ELNS1_11target_archE1100ELNS1_3gpuE3ELNS1_3repE0EEENS1_30default_config_static_selectorELNS0_4arch9wavefront6targetE0EEEvS12_,"axG",@progbits,_ZN7rocprim17ROCPRIM_400000_NS6detail17trampoline_kernelINS0_13select_configILj256ELj13ELNS0_17block_load_methodE3ELS4_3ELS4_3ELNS0_20block_scan_algorithmE0ELj4294967295EEENS1_25partition_config_selectorILNS1_17partition_subalgoE4EjNS0_10empty_typeEbEEZZNS1_14partition_implILS8_4ELb0ES6_15HIP_vector_typeIjLj2EENS0_17counting_iteratorIjlEEPS9_SG_NS0_5tupleIJPjSI_NS0_16reverse_iteratorISI_EEEEENSH_IJSG_SG_SG_EEES9_SI_JZNS1_25segmented_radix_sort_implINS0_14default_configELb1EPKbPbPKlPlN2at6native12_GLOBAL__N_18offset_tEEE10hipError_tPvRmT1_PNSt15iterator_traitsIS12_E10value_typeET2_T3_PNS13_IS18_E10value_typeET4_jRbjT5_S1E_jjP12ihipStream_tbEUljE_ZNSN_ISO_Lb1ESQ_SR_ST_SU_SY_EESZ_S10_S11_S12_S16_S17_S18_S1B_S1C_jS1D_jS1E_S1E_jjS1G_bEUljE0_EEESZ_S10_S11_S18_S1C_S1E_T6_T7_T9_mT8_S1G_bDpT10_ENKUlT_T0_E_clISt17integral_constantIbLb0EES1U_EEDaS1P_S1Q_EUlS1P_E_NS1_11comp_targetILNS1_3genE9ELNS1_11target_archE1100ELNS1_3gpuE3ELNS1_3repE0EEENS1_30default_config_static_selectorELNS0_4arch9wavefront6targetE0EEEvS12_,comdat
	.globl	_ZN7rocprim17ROCPRIM_400000_NS6detail17trampoline_kernelINS0_13select_configILj256ELj13ELNS0_17block_load_methodE3ELS4_3ELS4_3ELNS0_20block_scan_algorithmE0ELj4294967295EEENS1_25partition_config_selectorILNS1_17partition_subalgoE4EjNS0_10empty_typeEbEEZZNS1_14partition_implILS8_4ELb0ES6_15HIP_vector_typeIjLj2EENS0_17counting_iteratorIjlEEPS9_SG_NS0_5tupleIJPjSI_NS0_16reverse_iteratorISI_EEEEENSH_IJSG_SG_SG_EEES9_SI_JZNS1_25segmented_radix_sort_implINS0_14default_configELb1EPKbPbPKlPlN2at6native12_GLOBAL__N_18offset_tEEE10hipError_tPvRmT1_PNSt15iterator_traitsIS12_E10value_typeET2_T3_PNS13_IS18_E10value_typeET4_jRbjT5_S1E_jjP12ihipStream_tbEUljE_ZNSN_ISO_Lb1ESQ_SR_ST_SU_SY_EESZ_S10_S11_S12_S16_S17_S18_S1B_S1C_jS1D_jS1E_S1E_jjS1G_bEUljE0_EEESZ_S10_S11_S18_S1C_S1E_T6_T7_T9_mT8_S1G_bDpT10_ENKUlT_T0_E_clISt17integral_constantIbLb0EES1U_EEDaS1P_S1Q_EUlS1P_E_NS1_11comp_targetILNS1_3genE9ELNS1_11target_archE1100ELNS1_3gpuE3ELNS1_3repE0EEENS1_30default_config_static_selectorELNS0_4arch9wavefront6targetE0EEEvS12_ ; -- Begin function _ZN7rocprim17ROCPRIM_400000_NS6detail17trampoline_kernelINS0_13select_configILj256ELj13ELNS0_17block_load_methodE3ELS4_3ELS4_3ELNS0_20block_scan_algorithmE0ELj4294967295EEENS1_25partition_config_selectorILNS1_17partition_subalgoE4EjNS0_10empty_typeEbEEZZNS1_14partition_implILS8_4ELb0ES6_15HIP_vector_typeIjLj2EENS0_17counting_iteratorIjlEEPS9_SG_NS0_5tupleIJPjSI_NS0_16reverse_iteratorISI_EEEEENSH_IJSG_SG_SG_EEES9_SI_JZNS1_25segmented_radix_sort_implINS0_14default_configELb1EPKbPbPKlPlN2at6native12_GLOBAL__N_18offset_tEEE10hipError_tPvRmT1_PNSt15iterator_traitsIS12_E10value_typeET2_T3_PNS13_IS18_E10value_typeET4_jRbjT5_S1E_jjP12ihipStream_tbEUljE_ZNSN_ISO_Lb1ESQ_SR_ST_SU_SY_EESZ_S10_S11_S12_S16_S17_S18_S1B_S1C_jS1D_jS1E_S1E_jjS1G_bEUljE0_EEESZ_S10_S11_S18_S1C_S1E_T6_T7_T9_mT8_S1G_bDpT10_ENKUlT_T0_E_clISt17integral_constantIbLb0EES1U_EEDaS1P_S1Q_EUlS1P_E_NS1_11comp_targetILNS1_3genE9ELNS1_11target_archE1100ELNS1_3gpuE3ELNS1_3repE0EEENS1_30default_config_static_selectorELNS0_4arch9wavefront6targetE0EEEvS12_
	.p2align	8
	.type	_ZN7rocprim17ROCPRIM_400000_NS6detail17trampoline_kernelINS0_13select_configILj256ELj13ELNS0_17block_load_methodE3ELS4_3ELS4_3ELNS0_20block_scan_algorithmE0ELj4294967295EEENS1_25partition_config_selectorILNS1_17partition_subalgoE4EjNS0_10empty_typeEbEEZZNS1_14partition_implILS8_4ELb0ES6_15HIP_vector_typeIjLj2EENS0_17counting_iteratorIjlEEPS9_SG_NS0_5tupleIJPjSI_NS0_16reverse_iteratorISI_EEEEENSH_IJSG_SG_SG_EEES9_SI_JZNS1_25segmented_radix_sort_implINS0_14default_configELb1EPKbPbPKlPlN2at6native12_GLOBAL__N_18offset_tEEE10hipError_tPvRmT1_PNSt15iterator_traitsIS12_E10value_typeET2_T3_PNS13_IS18_E10value_typeET4_jRbjT5_S1E_jjP12ihipStream_tbEUljE_ZNSN_ISO_Lb1ESQ_SR_ST_SU_SY_EESZ_S10_S11_S12_S16_S17_S18_S1B_S1C_jS1D_jS1E_S1E_jjS1G_bEUljE0_EEESZ_S10_S11_S18_S1C_S1E_T6_T7_T9_mT8_S1G_bDpT10_ENKUlT_T0_E_clISt17integral_constantIbLb0EES1U_EEDaS1P_S1Q_EUlS1P_E_NS1_11comp_targetILNS1_3genE9ELNS1_11target_archE1100ELNS1_3gpuE3ELNS1_3repE0EEENS1_30default_config_static_selectorELNS0_4arch9wavefront6targetE0EEEvS12_,@function
_ZN7rocprim17ROCPRIM_400000_NS6detail17trampoline_kernelINS0_13select_configILj256ELj13ELNS0_17block_load_methodE3ELS4_3ELS4_3ELNS0_20block_scan_algorithmE0ELj4294967295EEENS1_25partition_config_selectorILNS1_17partition_subalgoE4EjNS0_10empty_typeEbEEZZNS1_14partition_implILS8_4ELb0ES6_15HIP_vector_typeIjLj2EENS0_17counting_iteratorIjlEEPS9_SG_NS0_5tupleIJPjSI_NS0_16reverse_iteratorISI_EEEEENSH_IJSG_SG_SG_EEES9_SI_JZNS1_25segmented_radix_sort_implINS0_14default_configELb1EPKbPbPKlPlN2at6native12_GLOBAL__N_18offset_tEEE10hipError_tPvRmT1_PNSt15iterator_traitsIS12_E10value_typeET2_T3_PNS13_IS18_E10value_typeET4_jRbjT5_S1E_jjP12ihipStream_tbEUljE_ZNSN_ISO_Lb1ESQ_SR_ST_SU_SY_EESZ_S10_S11_S12_S16_S17_S18_S1B_S1C_jS1D_jS1E_S1E_jjS1G_bEUljE0_EEESZ_S10_S11_S18_S1C_S1E_T6_T7_T9_mT8_S1G_bDpT10_ENKUlT_T0_E_clISt17integral_constantIbLb0EES1U_EEDaS1P_S1Q_EUlS1P_E_NS1_11comp_targetILNS1_3genE9ELNS1_11target_archE1100ELNS1_3gpuE3ELNS1_3repE0EEENS1_30default_config_static_selectorELNS0_4arch9wavefront6targetE0EEEvS12_: ; @_ZN7rocprim17ROCPRIM_400000_NS6detail17trampoline_kernelINS0_13select_configILj256ELj13ELNS0_17block_load_methodE3ELS4_3ELS4_3ELNS0_20block_scan_algorithmE0ELj4294967295EEENS1_25partition_config_selectorILNS1_17partition_subalgoE4EjNS0_10empty_typeEbEEZZNS1_14partition_implILS8_4ELb0ES6_15HIP_vector_typeIjLj2EENS0_17counting_iteratorIjlEEPS9_SG_NS0_5tupleIJPjSI_NS0_16reverse_iteratorISI_EEEEENSH_IJSG_SG_SG_EEES9_SI_JZNS1_25segmented_radix_sort_implINS0_14default_configELb1EPKbPbPKlPlN2at6native12_GLOBAL__N_18offset_tEEE10hipError_tPvRmT1_PNSt15iterator_traitsIS12_E10value_typeET2_T3_PNS13_IS18_E10value_typeET4_jRbjT5_S1E_jjP12ihipStream_tbEUljE_ZNSN_ISO_Lb1ESQ_SR_ST_SU_SY_EESZ_S10_S11_S12_S16_S17_S18_S1B_S1C_jS1D_jS1E_S1E_jjS1G_bEUljE0_EEESZ_S10_S11_S18_S1C_S1E_T6_T7_T9_mT8_S1G_bDpT10_ENKUlT_T0_E_clISt17integral_constantIbLb0EES1U_EEDaS1P_S1Q_EUlS1P_E_NS1_11comp_targetILNS1_3genE9ELNS1_11target_archE1100ELNS1_3gpuE3ELNS1_3repE0EEENS1_30default_config_static_selectorELNS0_4arch9wavefront6targetE0EEEvS12_
; %bb.0:
	.section	.rodata,"a",@progbits
	.p2align	6, 0x0
	.amdhsa_kernel _ZN7rocprim17ROCPRIM_400000_NS6detail17trampoline_kernelINS0_13select_configILj256ELj13ELNS0_17block_load_methodE3ELS4_3ELS4_3ELNS0_20block_scan_algorithmE0ELj4294967295EEENS1_25partition_config_selectorILNS1_17partition_subalgoE4EjNS0_10empty_typeEbEEZZNS1_14partition_implILS8_4ELb0ES6_15HIP_vector_typeIjLj2EENS0_17counting_iteratorIjlEEPS9_SG_NS0_5tupleIJPjSI_NS0_16reverse_iteratorISI_EEEEENSH_IJSG_SG_SG_EEES9_SI_JZNS1_25segmented_radix_sort_implINS0_14default_configELb1EPKbPbPKlPlN2at6native12_GLOBAL__N_18offset_tEEE10hipError_tPvRmT1_PNSt15iterator_traitsIS12_E10value_typeET2_T3_PNS13_IS18_E10value_typeET4_jRbjT5_S1E_jjP12ihipStream_tbEUljE_ZNSN_ISO_Lb1ESQ_SR_ST_SU_SY_EESZ_S10_S11_S12_S16_S17_S18_S1B_S1C_jS1D_jS1E_S1E_jjS1G_bEUljE0_EEESZ_S10_S11_S18_S1C_S1E_T6_T7_T9_mT8_S1G_bDpT10_ENKUlT_T0_E_clISt17integral_constantIbLb0EES1U_EEDaS1P_S1Q_EUlS1P_E_NS1_11comp_targetILNS1_3genE9ELNS1_11target_archE1100ELNS1_3gpuE3ELNS1_3repE0EEENS1_30default_config_static_selectorELNS0_4arch9wavefront6targetE0EEEvS12_
		.amdhsa_group_segment_fixed_size 0
		.amdhsa_private_segment_fixed_size 0
		.amdhsa_kernarg_size 176
		.amdhsa_user_sgpr_count 2
		.amdhsa_user_sgpr_dispatch_ptr 0
		.amdhsa_user_sgpr_queue_ptr 0
		.amdhsa_user_sgpr_kernarg_segment_ptr 1
		.amdhsa_user_sgpr_dispatch_id 0
		.amdhsa_user_sgpr_private_segment_size 0
		.amdhsa_wavefront_size32 1
		.amdhsa_uses_dynamic_stack 0
		.amdhsa_enable_private_segment 0
		.amdhsa_system_sgpr_workgroup_id_x 1
		.amdhsa_system_sgpr_workgroup_id_y 0
		.amdhsa_system_sgpr_workgroup_id_z 0
		.amdhsa_system_sgpr_workgroup_info 0
		.amdhsa_system_vgpr_workitem_id 0
		.amdhsa_next_free_vgpr 1
		.amdhsa_next_free_sgpr 1
		.amdhsa_reserve_vcc 0
		.amdhsa_float_round_mode_32 0
		.amdhsa_float_round_mode_16_64 0
		.amdhsa_float_denorm_mode_32 3
		.amdhsa_float_denorm_mode_16_64 3
		.amdhsa_fp16_overflow 0
		.amdhsa_workgroup_processor_mode 1
		.amdhsa_memory_ordered 1
		.amdhsa_forward_progress 1
		.amdhsa_inst_pref_size 0
		.amdhsa_round_robin_scheduling 0
		.amdhsa_exception_fp_ieee_invalid_op 0
		.amdhsa_exception_fp_denorm_src 0
		.amdhsa_exception_fp_ieee_div_zero 0
		.amdhsa_exception_fp_ieee_overflow 0
		.amdhsa_exception_fp_ieee_underflow 0
		.amdhsa_exception_fp_ieee_inexact 0
		.amdhsa_exception_int_div_zero 0
	.end_amdhsa_kernel
	.section	.text._ZN7rocprim17ROCPRIM_400000_NS6detail17trampoline_kernelINS0_13select_configILj256ELj13ELNS0_17block_load_methodE3ELS4_3ELS4_3ELNS0_20block_scan_algorithmE0ELj4294967295EEENS1_25partition_config_selectorILNS1_17partition_subalgoE4EjNS0_10empty_typeEbEEZZNS1_14partition_implILS8_4ELb0ES6_15HIP_vector_typeIjLj2EENS0_17counting_iteratorIjlEEPS9_SG_NS0_5tupleIJPjSI_NS0_16reverse_iteratorISI_EEEEENSH_IJSG_SG_SG_EEES9_SI_JZNS1_25segmented_radix_sort_implINS0_14default_configELb1EPKbPbPKlPlN2at6native12_GLOBAL__N_18offset_tEEE10hipError_tPvRmT1_PNSt15iterator_traitsIS12_E10value_typeET2_T3_PNS13_IS18_E10value_typeET4_jRbjT5_S1E_jjP12ihipStream_tbEUljE_ZNSN_ISO_Lb1ESQ_SR_ST_SU_SY_EESZ_S10_S11_S12_S16_S17_S18_S1B_S1C_jS1D_jS1E_S1E_jjS1G_bEUljE0_EEESZ_S10_S11_S18_S1C_S1E_T6_T7_T9_mT8_S1G_bDpT10_ENKUlT_T0_E_clISt17integral_constantIbLb0EES1U_EEDaS1P_S1Q_EUlS1P_E_NS1_11comp_targetILNS1_3genE9ELNS1_11target_archE1100ELNS1_3gpuE3ELNS1_3repE0EEENS1_30default_config_static_selectorELNS0_4arch9wavefront6targetE0EEEvS12_,"axG",@progbits,_ZN7rocprim17ROCPRIM_400000_NS6detail17trampoline_kernelINS0_13select_configILj256ELj13ELNS0_17block_load_methodE3ELS4_3ELS4_3ELNS0_20block_scan_algorithmE0ELj4294967295EEENS1_25partition_config_selectorILNS1_17partition_subalgoE4EjNS0_10empty_typeEbEEZZNS1_14partition_implILS8_4ELb0ES6_15HIP_vector_typeIjLj2EENS0_17counting_iteratorIjlEEPS9_SG_NS0_5tupleIJPjSI_NS0_16reverse_iteratorISI_EEEEENSH_IJSG_SG_SG_EEES9_SI_JZNS1_25segmented_radix_sort_implINS0_14default_configELb1EPKbPbPKlPlN2at6native12_GLOBAL__N_18offset_tEEE10hipError_tPvRmT1_PNSt15iterator_traitsIS12_E10value_typeET2_T3_PNS13_IS18_E10value_typeET4_jRbjT5_S1E_jjP12ihipStream_tbEUljE_ZNSN_ISO_Lb1ESQ_SR_ST_SU_SY_EESZ_S10_S11_S12_S16_S17_S18_S1B_S1C_jS1D_jS1E_S1E_jjS1G_bEUljE0_EEESZ_S10_S11_S18_S1C_S1E_T6_T7_T9_mT8_S1G_bDpT10_ENKUlT_T0_E_clISt17integral_constantIbLb0EES1U_EEDaS1P_S1Q_EUlS1P_E_NS1_11comp_targetILNS1_3genE9ELNS1_11target_archE1100ELNS1_3gpuE3ELNS1_3repE0EEENS1_30default_config_static_selectorELNS0_4arch9wavefront6targetE0EEEvS12_,comdat
.Lfunc_end1474:
	.size	_ZN7rocprim17ROCPRIM_400000_NS6detail17trampoline_kernelINS0_13select_configILj256ELj13ELNS0_17block_load_methodE3ELS4_3ELS4_3ELNS0_20block_scan_algorithmE0ELj4294967295EEENS1_25partition_config_selectorILNS1_17partition_subalgoE4EjNS0_10empty_typeEbEEZZNS1_14partition_implILS8_4ELb0ES6_15HIP_vector_typeIjLj2EENS0_17counting_iteratorIjlEEPS9_SG_NS0_5tupleIJPjSI_NS0_16reverse_iteratorISI_EEEEENSH_IJSG_SG_SG_EEES9_SI_JZNS1_25segmented_radix_sort_implINS0_14default_configELb1EPKbPbPKlPlN2at6native12_GLOBAL__N_18offset_tEEE10hipError_tPvRmT1_PNSt15iterator_traitsIS12_E10value_typeET2_T3_PNS13_IS18_E10value_typeET4_jRbjT5_S1E_jjP12ihipStream_tbEUljE_ZNSN_ISO_Lb1ESQ_SR_ST_SU_SY_EESZ_S10_S11_S12_S16_S17_S18_S1B_S1C_jS1D_jS1E_S1E_jjS1G_bEUljE0_EEESZ_S10_S11_S18_S1C_S1E_T6_T7_T9_mT8_S1G_bDpT10_ENKUlT_T0_E_clISt17integral_constantIbLb0EES1U_EEDaS1P_S1Q_EUlS1P_E_NS1_11comp_targetILNS1_3genE9ELNS1_11target_archE1100ELNS1_3gpuE3ELNS1_3repE0EEENS1_30default_config_static_selectorELNS0_4arch9wavefront6targetE0EEEvS12_, .Lfunc_end1474-_ZN7rocprim17ROCPRIM_400000_NS6detail17trampoline_kernelINS0_13select_configILj256ELj13ELNS0_17block_load_methodE3ELS4_3ELS4_3ELNS0_20block_scan_algorithmE0ELj4294967295EEENS1_25partition_config_selectorILNS1_17partition_subalgoE4EjNS0_10empty_typeEbEEZZNS1_14partition_implILS8_4ELb0ES6_15HIP_vector_typeIjLj2EENS0_17counting_iteratorIjlEEPS9_SG_NS0_5tupleIJPjSI_NS0_16reverse_iteratorISI_EEEEENSH_IJSG_SG_SG_EEES9_SI_JZNS1_25segmented_radix_sort_implINS0_14default_configELb1EPKbPbPKlPlN2at6native12_GLOBAL__N_18offset_tEEE10hipError_tPvRmT1_PNSt15iterator_traitsIS12_E10value_typeET2_T3_PNS13_IS18_E10value_typeET4_jRbjT5_S1E_jjP12ihipStream_tbEUljE_ZNSN_ISO_Lb1ESQ_SR_ST_SU_SY_EESZ_S10_S11_S12_S16_S17_S18_S1B_S1C_jS1D_jS1E_S1E_jjS1G_bEUljE0_EEESZ_S10_S11_S18_S1C_S1E_T6_T7_T9_mT8_S1G_bDpT10_ENKUlT_T0_E_clISt17integral_constantIbLb0EES1U_EEDaS1P_S1Q_EUlS1P_E_NS1_11comp_targetILNS1_3genE9ELNS1_11target_archE1100ELNS1_3gpuE3ELNS1_3repE0EEENS1_30default_config_static_selectorELNS0_4arch9wavefront6targetE0EEEvS12_
                                        ; -- End function
	.set _ZN7rocprim17ROCPRIM_400000_NS6detail17trampoline_kernelINS0_13select_configILj256ELj13ELNS0_17block_load_methodE3ELS4_3ELS4_3ELNS0_20block_scan_algorithmE0ELj4294967295EEENS1_25partition_config_selectorILNS1_17partition_subalgoE4EjNS0_10empty_typeEbEEZZNS1_14partition_implILS8_4ELb0ES6_15HIP_vector_typeIjLj2EENS0_17counting_iteratorIjlEEPS9_SG_NS0_5tupleIJPjSI_NS0_16reverse_iteratorISI_EEEEENSH_IJSG_SG_SG_EEES9_SI_JZNS1_25segmented_radix_sort_implINS0_14default_configELb1EPKbPbPKlPlN2at6native12_GLOBAL__N_18offset_tEEE10hipError_tPvRmT1_PNSt15iterator_traitsIS12_E10value_typeET2_T3_PNS13_IS18_E10value_typeET4_jRbjT5_S1E_jjP12ihipStream_tbEUljE_ZNSN_ISO_Lb1ESQ_SR_ST_SU_SY_EESZ_S10_S11_S12_S16_S17_S18_S1B_S1C_jS1D_jS1E_S1E_jjS1G_bEUljE0_EEESZ_S10_S11_S18_S1C_S1E_T6_T7_T9_mT8_S1G_bDpT10_ENKUlT_T0_E_clISt17integral_constantIbLb0EES1U_EEDaS1P_S1Q_EUlS1P_E_NS1_11comp_targetILNS1_3genE9ELNS1_11target_archE1100ELNS1_3gpuE3ELNS1_3repE0EEENS1_30default_config_static_selectorELNS0_4arch9wavefront6targetE0EEEvS12_.num_vgpr, 0
	.set _ZN7rocprim17ROCPRIM_400000_NS6detail17trampoline_kernelINS0_13select_configILj256ELj13ELNS0_17block_load_methodE3ELS4_3ELS4_3ELNS0_20block_scan_algorithmE0ELj4294967295EEENS1_25partition_config_selectorILNS1_17partition_subalgoE4EjNS0_10empty_typeEbEEZZNS1_14partition_implILS8_4ELb0ES6_15HIP_vector_typeIjLj2EENS0_17counting_iteratorIjlEEPS9_SG_NS0_5tupleIJPjSI_NS0_16reverse_iteratorISI_EEEEENSH_IJSG_SG_SG_EEES9_SI_JZNS1_25segmented_radix_sort_implINS0_14default_configELb1EPKbPbPKlPlN2at6native12_GLOBAL__N_18offset_tEEE10hipError_tPvRmT1_PNSt15iterator_traitsIS12_E10value_typeET2_T3_PNS13_IS18_E10value_typeET4_jRbjT5_S1E_jjP12ihipStream_tbEUljE_ZNSN_ISO_Lb1ESQ_SR_ST_SU_SY_EESZ_S10_S11_S12_S16_S17_S18_S1B_S1C_jS1D_jS1E_S1E_jjS1G_bEUljE0_EEESZ_S10_S11_S18_S1C_S1E_T6_T7_T9_mT8_S1G_bDpT10_ENKUlT_T0_E_clISt17integral_constantIbLb0EES1U_EEDaS1P_S1Q_EUlS1P_E_NS1_11comp_targetILNS1_3genE9ELNS1_11target_archE1100ELNS1_3gpuE3ELNS1_3repE0EEENS1_30default_config_static_selectorELNS0_4arch9wavefront6targetE0EEEvS12_.num_agpr, 0
	.set _ZN7rocprim17ROCPRIM_400000_NS6detail17trampoline_kernelINS0_13select_configILj256ELj13ELNS0_17block_load_methodE3ELS4_3ELS4_3ELNS0_20block_scan_algorithmE0ELj4294967295EEENS1_25partition_config_selectorILNS1_17partition_subalgoE4EjNS0_10empty_typeEbEEZZNS1_14partition_implILS8_4ELb0ES6_15HIP_vector_typeIjLj2EENS0_17counting_iteratorIjlEEPS9_SG_NS0_5tupleIJPjSI_NS0_16reverse_iteratorISI_EEEEENSH_IJSG_SG_SG_EEES9_SI_JZNS1_25segmented_radix_sort_implINS0_14default_configELb1EPKbPbPKlPlN2at6native12_GLOBAL__N_18offset_tEEE10hipError_tPvRmT1_PNSt15iterator_traitsIS12_E10value_typeET2_T3_PNS13_IS18_E10value_typeET4_jRbjT5_S1E_jjP12ihipStream_tbEUljE_ZNSN_ISO_Lb1ESQ_SR_ST_SU_SY_EESZ_S10_S11_S12_S16_S17_S18_S1B_S1C_jS1D_jS1E_S1E_jjS1G_bEUljE0_EEESZ_S10_S11_S18_S1C_S1E_T6_T7_T9_mT8_S1G_bDpT10_ENKUlT_T0_E_clISt17integral_constantIbLb0EES1U_EEDaS1P_S1Q_EUlS1P_E_NS1_11comp_targetILNS1_3genE9ELNS1_11target_archE1100ELNS1_3gpuE3ELNS1_3repE0EEENS1_30default_config_static_selectorELNS0_4arch9wavefront6targetE0EEEvS12_.numbered_sgpr, 0
	.set _ZN7rocprim17ROCPRIM_400000_NS6detail17trampoline_kernelINS0_13select_configILj256ELj13ELNS0_17block_load_methodE3ELS4_3ELS4_3ELNS0_20block_scan_algorithmE0ELj4294967295EEENS1_25partition_config_selectorILNS1_17partition_subalgoE4EjNS0_10empty_typeEbEEZZNS1_14partition_implILS8_4ELb0ES6_15HIP_vector_typeIjLj2EENS0_17counting_iteratorIjlEEPS9_SG_NS0_5tupleIJPjSI_NS0_16reverse_iteratorISI_EEEEENSH_IJSG_SG_SG_EEES9_SI_JZNS1_25segmented_radix_sort_implINS0_14default_configELb1EPKbPbPKlPlN2at6native12_GLOBAL__N_18offset_tEEE10hipError_tPvRmT1_PNSt15iterator_traitsIS12_E10value_typeET2_T3_PNS13_IS18_E10value_typeET4_jRbjT5_S1E_jjP12ihipStream_tbEUljE_ZNSN_ISO_Lb1ESQ_SR_ST_SU_SY_EESZ_S10_S11_S12_S16_S17_S18_S1B_S1C_jS1D_jS1E_S1E_jjS1G_bEUljE0_EEESZ_S10_S11_S18_S1C_S1E_T6_T7_T9_mT8_S1G_bDpT10_ENKUlT_T0_E_clISt17integral_constantIbLb0EES1U_EEDaS1P_S1Q_EUlS1P_E_NS1_11comp_targetILNS1_3genE9ELNS1_11target_archE1100ELNS1_3gpuE3ELNS1_3repE0EEENS1_30default_config_static_selectorELNS0_4arch9wavefront6targetE0EEEvS12_.num_named_barrier, 0
	.set _ZN7rocprim17ROCPRIM_400000_NS6detail17trampoline_kernelINS0_13select_configILj256ELj13ELNS0_17block_load_methodE3ELS4_3ELS4_3ELNS0_20block_scan_algorithmE0ELj4294967295EEENS1_25partition_config_selectorILNS1_17partition_subalgoE4EjNS0_10empty_typeEbEEZZNS1_14partition_implILS8_4ELb0ES6_15HIP_vector_typeIjLj2EENS0_17counting_iteratorIjlEEPS9_SG_NS0_5tupleIJPjSI_NS0_16reverse_iteratorISI_EEEEENSH_IJSG_SG_SG_EEES9_SI_JZNS1_25segmented_radix_sort_implINS0_14default_configELb1EPKbPbPKlPlN2at6native12_GLOBAL__N_18offset_tEEE10hipError_tPvRmT1_PNSt15iterator_traitsIS12_E10value_typeET2_T3_PNS13_IS18_E10value_typeET4_jRbjT5_S1E_jjP12ihipStream_tbEUljE_ZNSN_ISO_Lb1ESQ_SR_ST_SU_SY_EESZ_S10_S11_S12_S16_S17_S18_S1B_S1C_jS1D_jS1E_S1E_jjS1G_bEUljE0_EEESZ_S10_S11_S18_S1C_S1E_T6_T7_T9_mT8_S1G_bDpT10_ENKUlT_T0_E_clISt17integral_constantIbLb0EES1U_EEDaS1P_S1Q_EUlS1P_E_NS1_11comp_targetILNS1_3genE9ELNS1_11target_archE1100ELNS1_3gpuE3ELNS1_3repE0EEENS1_30default_config_static_selectorELNS0_4arch9wavefront6targetE0EEEvS12_.private_seg_size, 0
	.set _ZN7rocprim17ROCPRIM_400000_NS6detail17trampoline_kernelINS0_13select_configILj256ELj13ELNS0_17block_load_methodE3ELS4_3ELS4_3ELNS0_20block_scan_algorithmE0ELj4294967295EEENS1_25partition_config_selectorILNS1_17partition_subalgoE4EjNS0_10empty_typeEbEEZZNS1_14partition_implILS8_4ELb0ES6_15HIP_vector_typeIjLj2EENS0_17counting_iteratorIjlEEPS9_SG_NS0_5tupleIJPjSI_NS0_16reverse_iteratorISI_EEEEENSH_IJSG_SG_SG_EEES9_SI_JZNS1_25segmented_radix_sort_implINS0_14default_configELb1EPKbPbPKlPlN2at6native12_GLOBAL__N_18offset_tEEE10hipError_tPvRmT1_PNSt15iterator_traitsIS12_E10value_typeET2_T3_PNS13_IS18_E10value_typeET4_jRbjT5_S1E_jjP12ihipStream_tbEUljE_ZNSN_ISO_Lb1ESQ_SR_ST_SU_SY_EESZ_S10_S11_S12_S16_S17_S18_S1B_S1C_jS1D_jS1E_S1E_jjS1G_bEUljE0_EEESZ_S10_S11_S18_S1C_S1E_T6_T7_T9_mT8_S1G_bDpT10_ENKUlT_T0_E_clISt17integral_constantIbLb0EES1U_EEDaS1P_S1Q_EUlS1P_E_NS1_11comp_targetILNS1_3genE9ELNS1_11target_archE1100ELNS1_3gpuE3ELNS1_3repE0EEENS1_30default_config_static_selectorELNS0_4arch9wavefront6targetE0EEEvS12_.uses_vcc, 0
	.set _ZN7rocprim17ROCPRIM_400000_NS6detail17trampoline_kernelINS0_13select_configILj256ELj13ELNS0_17block_load_methodE3ELS4_3ELS4_3ELNS0_20block_scan_algorithmE0ELj4294967295EEENS1_25partition_config_selectorILNS1_17partition_subalgoE4EjNS0_10empty_typeEbEEZZNS1_14partition_implILS8_4ELb0ES6_15HIP_vector_typeIjLj2EENS0_17counting_iteratorIjlEEPS9_SG_NS0_5tupleIJPjSI_NS0_16reverse_iteratorISI_EEEEENSH_IJSG_SG_SG_EEES9_SI_JZNS1_25segmented_radix_sort_implINS0_14default_configELb1EPKbPbPKlPlN2at6native12_GLOBAL__N_18offset_tEEE10hipError_tPvRmT1_PNSt15iterator_traitsIS12_E10value_typeET2_T3_PNS13_IS18_E10value_typeET4_jRbjT5_S1E_jjP12ihipStream_tbEUljE_ZNSN_ISO_Lb1ESQ_SR_ST_SU_SY_EESZ_S10_S11_S12_S16_S17_S18_S1B_S1C_jS1D_jS1E_S1E_jjS1G_bEUljE0_EEESZ_S10_S11_S18_S1C_S1E_T6_T7_T9_mT8_S1G_bDpT10_ENKUlT_T0_E_clISt17integral_constantIbLb0EES1U_EEDaS1P_S1Q_EUlS1P_E_NS1_11comp_targetILNS1_3genE9ELNS1_11target_archE1100ELNS1_3gpuE3ELNS1_3repE0EEENS1_30default_config_static_selectorELNS0_4arch9wavefront6targetE0EEEvS12_.uses_flat_scratch, 0
	.set _ZN7rocprim17ROCPRIM_400000_NS6detail17trampoline_kernelINS0_13select_configILj256ELj13ELNS0_17block_load_methodE3ELS4_3ELS4_3ELNS0_20block_scan_algorithmE0ELj4294967295EEENS1_25partition_config_selectorILNS1_17partition_subalgoE4EjNS0_10empty_typeEbEEZZNS1_14partition_implILS8_4ELb0ES6_15HIP_vector_typeIjLj2EENS0_17counting_iteratorIjlEEPS9_SG_NS0_5tupleIJPjSI_NS0_16reverse_iteratorISI_EEEEENSH_IJSG_SG_SG_EEES9_SI_JZNS1_25segmented_radix_sort_implINS0_14default_configELb1EPKbPbPKlPlN2at6native12_GLOBAL__N_18offset_tEEE10hipError_tPvRmT1_PNSt15iterator_traitsIS12_E10value_typeET2_T3_PNS13_IS18_E10value_typeET4_jRbjT5_S1E_jjP12ihipStream_tbEUljE_ZNSN_ISO_Lb1ESQ_SR_ST_SU_SY_EESZ_S10_S11_S12_S16_S17_S18_S1B_S1C_jS1D_jS1E_S1E_jjS1G_bEUljE0_EEESZ_S10_S11_S18_S1C_S1E_T6_T7_T9_mT8_S1G_bDpT10_ENKUlT_T0_E_clISt17integral_constantIbLb0EES1U_EEDaS1P_S1Q_EUlS1P_E_NS1_11comp_targetILNS1_3genE9ELNS1_11target_archE1100ELNS1_3gpuE3ELNS1_3repE0EEENS1_30default_config_static_selectorELNS0_4arch9wavefront6targetE0EEEvS12_.has_dyn_sized_stack, 0
	.set _ZN7rocprim17ROCPRIM_400000_NS6detail17trampoline_kernelINS0_13select_configILj256ELj13ELNS0_17block_load_methodE3ELS4_3ELS4_3ELNS0_20block_scan_algorithmE0ELj4294967295EEENS1_25partition_config_selectorILNS1_17partition_subalgoE4EjNS0_10empty_typeEbEEZZNS1_14partition_implILS8_4ELb0ES6_15HIP_vector_typeIjLj2EENS0_17counting_iteratorIjlEEPS9_SG_NS0_5tupleIJPjSI_NS0_16reverse_iteratorISI_EEEEENSH_IJSG_SG_SG_EEES9_SI_JZNS1_25segmented_radix_sort_implINS0_14default_configELb1EPKbPbPKlPlN2at6native12_GLOBAL__N_18offset_tEEE10hipError_tPvRmT1_PNSt15iterator_traitsIS12_E10value_typeET2_T3_PNS13_IS18_E10value_typeET4_jRbjT5_S1E_jjP12ihipStream_tbEUljE_ZNSN_ISO_Lb1ESQ_SR_ST_SU_SY_EESZ_S10_S11_S12_S16_S17_S18_S1B_S1C_jS1D_jS1E_S1E_jjS1G_bEUljE0_EEESZ_S10_S11_S18_S1C_S1E_T6_T7_T9_mT8_S1G_bDpT10_ENKUlT_T0_E_clISt17integral_constantIbLb0EES1U_EEDaS1P_S1Q_EUlS1P_E_NS1_11comp_targetILNS1_3genE9ELNS1_11target_archE1100ELNS1_3gpuE3ELNS1_3repE0EEENS1_30default_config_static_selectorELNS0_4arch9wavefront6targetE0EEEvS12_.has_recursion, 0
	.set _ZN7rocprim17ROCPRIM_400000_NS6detail17trampoline_kernelINS0_13select_configILj256ELj13ELNS0_17block_load_methodE3ELS4_3ELS4_3ELNS0_20block_scan_algorithmE0ELj4294967295EEENS1_25partition_config_selectorILNS1_17partition_subalgoE4EjNS0_10empty_typeEbEEZZNS1_14partition_implILS8_4ELb0ES6_15HIP_vector_typeIjLj2EENS0_17counting_iteratorIjlEEPS9_SG_NS0_5tupleIJPjSI_NS0_16reverse_iteratorISI_EEEEENSH_IJSG_SG_SG_EEES9_SI_JZNS1_25segmented_radix_sort_implINS0_14default_configELb1EPKbPbPKlPlN2at6native12_GLOBAL__N_18offset_tEEE10hipError_tPvRmT1_PNSt15iterator_traitsIS12_E10value_typeET2_T3_PNS13_IS18_E10value_typeET4_jRbjT5_S1E_jjP12ihipStream_tbEUljE_ZNSN_ISO_Lb1ESQ_SR_ST_SU_SY_EESZ_S10_S11_S12_S16_S17_S18_S1B_S1C_jS1D_jS1E_S1E_jjS1G_bEUljE0_EEESZ_S10_S11_S18_S1C_S1E_T6_T7_T9_mT8_S1G_bDpT10_ENKUlT_T0_E_clISt17integral_constantIbLb0EES1U_EEDaS1P_S1Q_EUlS1P_E_NS1_11comp_targetILNS1_3genE9ELNS1_11target_archE1100ELNS1_3gpuE3ELNS1_3repE0EEENS1_30default_config_static_selectorELNS0_4arch9wavefront6targetE0EEEvS12_.has_indirect_call, 0
	.section	.AMDGPU.csdata,"",@progbits
; Kernel info:
; codeLenInByte = 0
; TotalNumSgprs: 0
; NumVgprs: 0
; ScratchSize: 0
; MemoryBound: 0
; FloatMode: 240
; IeeeMode: 1
; LDSByteSize: 0 bytes/workgroup (compile time only)
; SGPRBlocks: 0
; VGPRBlocks: 0
; NumSGPRsForWavesPerEU: 1
; NumVGPRsForWavesPerEU: 1
; Occupancy: 16
; WaveLimiterHint : 0
; COMPUTE_PGM_RSRC2:SCRATCH_EN: 0
; COMPUTE_PGM_RSRC2:USER_SGPR: 2
; COMPUTE_PGM_RSRC2:TRAP_HANDLER: 0
; COMPUTE_PGM_RSRC2:TGID_X_EN: 1
; COMPUTE_PGM_RSRC2:TGID_Y_EN: 0
; COMPUTE_PGM_RSRC2:TGID_Z_EN: 0
; COMPUTE_PGM_RSRC2:TIDIG_COMP_CNT: 0
	.section	.text._ZN7rocprim17ROCPRIM_400000_NS6detail17trampoline_kernelINS0_13select_configILj256ELj13ELNS0_17block_load_methodE3ELS4_3ELS4_3ELNS0_20block_scan_algorithmE0ELj4294967295EEENS1_25partition_config_selectorILNS1_17partition_subalgoE4EjNS0_10empty_typeEbEEZZNS1_14partition_implILS8_4ELb0ES6_15HIP_vector_typeIjLj2EENS0_17counting_iteratorIjlEEPS9_SG_NS0_5tupleIJPjSI_NS0_16reverse_iteratorISI_EEEEENSH_IJSG_SG_SG_EEES9_SI_JZNS1_25segmented_radix_sort_implINS0_14default_configELb1EPKbPbPKlPlN2at6native12_GLOBAL__N_18offset_tEEE10hipError_tPvRmT1_PNSt15iterator_traitsIS12_E10value_typeET2_T3_PNS13_IS18_E10value_typeET4_jRbjT5_S1E_jjP12ihipStream_tbEUljE_ZNSN_ISO_Lb1ESQ_SR_ST_SU_SY_EESZ_S10_S11_S12_S16_S17_S18_S1B_S1C_jS1D_jS1E_S1E_jjS1G_bEUljE0_EEESZ_S10_S11_S18_S1C_S1E_T6_T7_T9_mT8_S1G_bDpT10_ENKUlT_T0_E_clISt17integral_constantIbLb0EES1U_EEDaS1P_S1Q_EUlS1P_E_NS1_11comp_targetILNS1_3genE8ELNS1_11target_archE1030ELNS1_3gpuE2ELNS1_3repE0EEENS1_30default_config_static_selectorELNS0_4arch9wavefront6targetE0EEEvS12_,"axG",@progbits,_ZN7rocprim17ROCPRIM_400000_NS6detail17trampoline_kernelINS0_13select_configILj256ELj13ELNS0_17block_load_methodE3ELS4_3ELS4_3ELNS0_20block_scan_algorithmE0ELj4294967295EEENS1_25partition_config_selectorILNS1_17partition_subalgoE4EjNS0_10empty_typeEbEEZZNS1_14partition_implILS8_4ELb0ES6_15HIP_vector_typeIjLj2EENS0_17counting_iteratorIjlEEPS9_SG_NS0_5tupleIJPjSI_NS0_16reverse_iteratorISI_EEEEENSH_IJSG_SG_SG_EEES9_SI_JZNS1_25segmented_radix_sort_implINS0_14default_configELb1EPKbPbPKlPlN2at6native12_GLOBAL__N_18offset_tEEE10hipError_tPvRmT1_PNSt15iterator_traitsIS12_E10value_typeET2_T3_PNS13_IS18_E10value_typeET4_jRbjT5_S1E_jjP12ihipStream_tbEUljE_ZNSN_ISO_Lb1ESQ_SR_ST_SU_SY_EESZ_S10_S11_S12_S16_S17_S18_S1B_S1C_jS1D_jS1E_S1E_jjS1G_bEUljE0_EEESZ_S10_S11_S18_S1C_S1E_T6_T7_T9_mT8_S1G_bDpT10_ENKUlT_T0_E_clISt17integral_constantIbLb0EES1U_EEDaS1P_S1Q_EUlS1P_E_NS1_11comp_targetILNS1_3genE8ELNS1_11target_archE1030ELNS1_3gpuE2ELNS1_3repE0EEENS1_30default_config_static_selectorELNS0_4arch9wavefront6targetE0EEEvS12_,comdat
	.globl	_ZN7rocprim17ROCPRIM_400000_NS6detail17trampoline_kernelINS0_13select_configILj256ELj13ELNS0_17block_load_methodE3ELS4_3ELS4_3ELNS0_20block_scan_algorithmE0ELj4294967295EEENS1_25partition_config_selectorILNS1_17partition_subalgoE4EjNS0_10empty_typeEbEEZZNS1_14partition_implILS8_4ELb0ES6_15HIP_vector_typeIjLj2EENS0_17counting_iteratorIjlEEPS9_SG_NS0_5tupleIJPjSI_NS0_16reverse_iteratorISI_EEEEENSH_IJSG_SG_SG_EEES9_SI_JZNS1_25segmented_radix_sort_implINS0_14default_configELb1EPKbPbPKlPlN2at6native12_GLOBAL__N_18offset_tEEE10hipError_tPvRmT1_PNSt15iterator_traitsIS12_E10value_typeET2_T3_PNS13_IS18_E10value_typeET4_jRbjT5_S1E_jjP12ihipStream_tbEUljE_ZNSN_ISO_Lb1ESQ_SR_ST_SU_SY_EESZ_S10_S11_S12_S16_S17_S18_S1B_S1C_jS1D_jS1E_S1E_jjS1G_bEUljE0_EEESZ_S10_S11_S18_S1C_S1E_T6_T7_T9_mT8_S1G_bDpT10_ENKUlT_T0_E_clISt17integral_constantIbLb0EES1U_EEDaS1P_S1Q_EUlS1P_E_NS1_11comp_targetILNS1_3genE8ELNS1_11target_archE1030ELNS1_3gpuE2ELNS1_3repE0EEENS1_30default_config_static_selectorELNS0_4arch9wavefront6targetE0EEEvS12_ ; -- Begin function _ZN7rocprim17ROCPRIM_400000_NS6detail17trampoline_kernelINS0_13select_configILj256ELj13ELNS0_17block_load_methodE3ELS4_3ELS4_3ELNS0_20block_scan_algorithmE0ELj4294967295EEENS1_25partition_config_selectorILNS1_17partition_subalgoE4EjNS0_10empty_typeEbEEZZNS1_14partition_implILS8_4ELb0ES6_15HIP_vector_typeIjLj2EENS0_17counting_iteratorIjlEEPS9_SG_NS0_5tupleIJPjSI_NS0_16reverse_iteratorISI_EEEEENSH_IJSG_SG_SG_EEES9_SI_JZNS1_25segmented_radix_sort_implINS0_14default_configELb1EPKbPbPKlPlN2at6native12_GLOBAL__N_18offset_tEEE10hipError_tPvRmT1_PNSt15iterator_traitsIS12_E10value_typeET2_T3_PNS13_IS18_E10value_typeET4_jRbjT5_S1E_jjP12ihipStream_tbEUljE_ZNSN_ISO_Lb1ESQ_SR_ST_SU_SY_EESZ_S10_S11_S12_S16_S17_S18_S1B_S1C_jS1D_jS1E_S1E_jjS1G_bEUljE0_EEESZ_S10_S11_S18_S1C_S1E_T6_T7_T9_mT8_S1G_bDpT10_ENKUlT_T0_E_clISt17integral_constantIbLb0EES1U_EEDaS1P_S1Q_EUlS1P_E_NS1_11comp_targetILNS1_3genE8ELNS1_11target_archE1030ELNS1_3gpuE2ELNS1_3repE0EEENS1_30default_config_static_selectorELNS0_4arch9wavefront6targetE0EEEvS12_
	.p2align	8
	.type	_ZN7rocprim17ROCPRIM_400000_NS6detail17trampoline_kernelINS0_13select_configILj256ELj13ELNS0_17block_load_methodE3ELS4_3ELS4_3ELNS0_20block_scan_algorithmE0ELj4294967295EEENS1_25partition_config_selectorILNS1_17partition_subalgoE4EjNS0_10empty_typeEbEEZZNS1_14partition_implILS8_4ELb0ES6_15HIP_vector_typeIjLj2EENS0_17counting_iteratorIjlEEPS9_SG_NS0_5tupleIJPjSI_NS0_16reverse_iteratorISI_EEEEENSH_IJSG_SG_SG_EEES9_SI_JZNS1_25segmented_radix_sort_implINS0_14default_configELb1EPKbPbPKlPlN2at6native12_GLOBAL__N_18offset_tEEE10hipError_tPvRmT1_PNSt15iterator_traitsIS12_E10value_typeET2_T3_PNS13_IS18_E10value_typeET4_jRbjT5_S1E_jjP12ihipStream_tbEUljE_ZNSN_ISO_Lb1ESQ_SR_ST_SU_SY_EESZ_S10_S11_S12_S16_S17_S18_S1B_S1C_jS1D_jS1E_S1E_jjS1G_bEUljE0_EEESZ_S10_S11_S18_S1C_S1E_T6_T7_T9_mT8_S1G_bDpT10_ENKUlT_T0_E_clISt17integral_constantIbLb0EES1U_EEDaS1P_S1Q_EUlS1P_E_NS1_11comp_targetILNS1_3genE8ELNS1_11target_archE1030ELNS1_3gpuE2ELNS1_3repE0EEENS1_30default_config_static_selectorELNS0_4arch9wavefront6targetE0EEEvS12_,@function
_ZN7rocprim17ROCPRIM_400000_NS6detail17trampoline_kernelINS0_13select_configILj256ELj13ELNS0_17block_load_methodE3ELS4_3ELS4_3ELNS0_20block_scan_algorithmE0ELj4294967295EEENS1_25partition_config_selectorILNS1_17partition_subalgoE4EjNS0_10empty_typeEbEEZZNS1_14partition_implILS8_4ELb0ES6_15HIP_vector_typeIjLj2EENS0_17counting_iteratorIjlEEPS9_SG_NS0_5tupleIJPjSI_NS0_16reverse_iteratorISI_EEEEENSH_IJSG_SG_SG_EEES9_SI_JZNS1_25segmented_radix_sort_implINS0_14default_configELb1EPKbPbPKlPlN2at6native12_GLOBAL__N_18offset_tEEE10hipError_tPvRmT1_PNSt15iterator_traitsIS12_E10value_typeET2_T3_PNS13_IS18_E10value_typeET4_jRbjT5_S1E_jjP12ihipStream_tbEUljE_ZNSN_ISO_Lb1ESQ_SR_ST_SU_SY_EESZ_S10_S11_S12_S16_S17_S18_S1B_S1C_jS1D_jS1E_S1E_jjS1G_bEUljE0_EEESZ_S10_S11_S18_S1C_S1E_T6_T7_T9_mT8_S1G_bDpT10_ENKUlT_T0_E_clISt17integral_constantIbLb0EES1U_EEDaS1P_S1Q_EUlS1P_E_NS1_11comp_targetILNS1_3genE8ELNS1_11target_archE1030ELNS1_3gpuE2ELNS1_3repE0EEENS1_30default_config_static_selectorELNS0_4arch9wavefront6targetE0EEEvS12_: ; @_ZN7rocprim17ROCPRIM_400000_NS6detail17trampoline_kernelINS0_13select_configILj256ELj13ELNS0_17block_load_methodE3ELS4_3ELS4_3ELNS0_20block_scan_algorithmE0ELj4294967295EEENS1_25partition_config_selectorILNS1_17partition_subalgoE4EjNS0_10empty_typeEbEEZZNS1_14partition_implILS8_4ELb0ES6_15HIP_vector_typeIjLj2EENS0_17counting_iteratorIjlEEPS9_SG_NS0_5tupleIJPjSI_NS0_16reverse_iteratorISI_EEEEENSH_IJSG_SG_SG_EEES9_SI_JZNS1_25segmented_radix_sort_implINS0_14default_configELb1EPKbPbPKlPlN2at6native12_GLOBAL__N_18offset_tEEE10hipError_tPvRmT1_PNSt15iterator_traitsIS12_E10value_typeET2_T3_PNS13_IS18_E10value_typeET4_jRbjT5_S1E_jjP12ihipStream_tbEUljE_ZNSN_ISO_Lb1ESQ_SR_ST_SU_SY_EESZ_S10_S11_S12_S16_S17_S18_S1B_S1C_jS1D_jS1E_S1E_jjS1G_bEUljE0_EEESZ_S10_S11_S18_S1C_S1E_T6_T7_T9_mT8_S1G_bDpT10_ENKUlT_T0_E_clISt17integral_constantIbLb0EES1U_EEDaS1P_S1Q_EUlS1P_E_NS1_11comp_targetILNS1_3genE8ELNS1_11target_archE1030ELNS1_3gpuE2ELNS1_3repE0EEENS1_30default_config_static_selectorELNS0_4arch9wavefront6targetE0EEEvS12_
; %bb.0:
	.section	.rodata,"a",@progbits
	.p2align	6, 0x0
	.amdhsa_kernel _ZN7rocprim17ROCPRIM_400000_NS6detail17trampoline_kernelINS0_13select_configILj256ELj13ELNS0_17block_load_methodE3ELS4_3ELS4_3ELNS0_20block_scan_algorithmE0ELj4294967295EEENS1_25partition_config_selectorILNS1_17partition_subalgoE4EjNS0_10empty_typeEbEEZZNS1_14partition_implILS8_4ELb0ES6_15HIP_vector_typeIjLj2EENS0_17counting_iteratorIjlEEPS9_SG_NS0_5tupleIJPjSI_NS0_16reverse_iteratorISI_EEEEENSH_IJSG_SG_SG_EEES9_SI_JZNS1_25segmented_radix_sort_implINS0_14default_configELb1EPKbPbPKlPlN2at6native12_GLOBAL__N_18offset_tEEE10hipError_tPvRmT1_PNSt15iterator_traitsIS12_E10value_typeET2_T3_PNS13_IS18_E10value_typeET4_jRbjT5_S1E_jjP12ihipStream_tbEUljE_ZNSN_ISO_Lb1ESQ_SR_ST_SU_SY_EESZ_S10_S11_S12_S16_S17_S18_S1B_S1C_jS1D_jS1E_S1E_jjS1G_bEUljE0_EEESZ_S10_S11_S18_S1C_S1E_T6_T7_T9_mT8_S1G_bDpT10_ENKUlT_T0_E_clISt17integral_constantIbLb0EES1U_EEDaS1P_S1Q_EUlS1P_E_NS1_11comp_targetILNS1_3genE8ELNS1_11target_archE1030ELNS1_3gpuE2ELNS1_3repE0EEENS1_30default_config_static_selectorELNS0_4arch9wavefront6targetE0EEEvS12_
		.amdhsa_group_segment_fixed_size 0
		.amdhsa_private_segment_fixed_size 0
		.amdhsa_kernarg_size 176
		.amdhsa_user_sgpr_count 2
		.amdhsa_user_sgpr_dispatch_ptr 0
		.amdhsa_user_sgpr_queue_ptr 0
		.amdhsa_user_sgpr_kernarg_segment_ptr 1
		.amdhsa_user_sgpr_dispatch_id 0
		.amdhsa_user_sgpr_private_segment_size 0
		.amdhsa_wavefront_size32 1
		.amdhsa_uses_dynamic_stack 0
		.amdhsa_enable_private_segment 0
		.amdhsa_system_sgpr_workgroup_id_x 1
		.amdhsa_system_sgpr_workgroup_id_y 0
		.amdhsa_system_sgpr_workgroup_id_z 0
		.amdhsa_system_sgpr_workgroup_info 0
		.amdhsa_system_vgpr_workitem_id 0
		.amdhsa_next_free_vgpr 1
		.amdhsa_next_free_sgpr 1
		.amdhsa_reserve_vcc 0
		.amdhsa_float_round_mode_32 0
		.amdhsa_float_round_mode_16_64 0
		.amdhsa_float_denorm_mode_32 3
		.amdhsa_float_denorm_mode_16_64 3
		.amdhsa_fp16_overflow 0
		.amdhsa_workgroup_processor_mode 1
		.amdhsa_memory_ordered 1
		.amdhsa_forward_progress 1
		.amdhsa_inst_pref_size 0
		.amdhsa_round_robin_scheduling 0
		.amdhsa_exception_fp_ieee_invalid_op 0
		.amdhsa_exception_fp_denorm_src 0
		.amdhsa_exception_fp_ieee_div_zero 0
		.amdhsa_exception_fp_ieee_overflow 0
		.amdhsa_exception_fp_ieee_underflow 0
		.amdhsa_exception_fp_ieee_inexact 0
		.amdhsa_exception_int_div_zero 0
	.end_amdhsa_kernel
	.section	.text._ZN7rocprim17ROCPRIM_400000_NS6detail17trampoline_kernelINS0_13select_configILj256ELj13ELNS0_17block_load_methodE3ELS4_3ELS4_3ELNS0_20block_scan_algorithmE0ELj4294967295EEENS1_25partition_config_selectorILNS1_17partition_subalgoE4EjNS0_10empty_typeEbEEZZNS1_14partition_implILS8_4ELb0ES6_15HIP_vector_typeIjLj2EENS0_17counting_iteratorIjlEEPS9_SG_NS0_5tupleIJPjSI_NS0_16reverse_iteratorISI_EEEEENSH_IJSG_SG_SG_EEES9_SI_JZNS1_25segmented_radix_sort_implINS0_14default_configELb1EPKbPbPKlPlN2at6native12_GLOBAL__N_18offset_tEEE10hipError_tPvRmT1_PNSt15iterator_traitsIS12_E10value_typeET2_T3_PNS13_IS18_E10value_typeET4_jRbjT5_S1E_jjP12ihipStream_tbEUljE_ZNSN_ISO_Lb1ESQ_SR_ST_SU_SY_EESZ_S10_S11_S12_S16_S17_S18_S1B_S1C_jS1D_jS1E_S1E_jjS1G_bEUljE0_EEESZ_S10_S11_S18_S1C_S1E_T6_T7_T9_mT8_S1G_bDpT10_ENKUlT_T0_E_clISt17integral_constantIbLb0EES1U_EEDaS1P_S1Q_EUlS1P_E_NS1_11comp_targetILNS1_3genE8ELNS1_11target_archE1030ELNS1_3gpuE2ELNS1_3repE0EEENS1_30default_config_static_selectorELNS0_4arch9wavefront6targetE0EEEvS12_,"axG",@progbits,_ZN7rocprim17ROCPRIM_400000_NS6detail17trampoline_kernelINS0_13select_configILj256ELj13ELNS0_17block_load_methodE3ELS4_3ELS4_3ELNS0_20block_scan_algorithmE0ELj4294967295EEENS1_25partition_config_selectorILNS1_17partition_subalgoE4EjNS0_10empty_typeEbEEZZNS1_14partition_implILS8_4ELb0ES6_15HIP_vector_typeIjLj2EENS0_17counting_iteratorIjlEEPS9_SG_NS0_5tupleIJPjSI_NS0_16reverse_iteratorISI_EEEEENSH_IJSG_SG_SG_EEES9_SI_JZNS1_25segmented_radix_sort_implINS0_14default_configELb1EPKbPbPKlPlN2at6native12_GLOBAL__N_18offset_tEEE10hipError_tPvRmT1_PNSt15iterator_traitsIS12_E10value_typeET2_T3_PNS13_IS18_E10value_typeET4_jRbjT5_S1E_jjP12ihipStream_tbEUljE_ZNSN_ISO_Lb1ESQ_SR_ST_SU_SY_EESZ_S10_S11_S12_S16_S17_S18_S1B_S1C_jS1D_jS1E_S1E_jjS1G_bEUljE0_EEESZ_S10_S11_S18_S1C_S1E_T6_T7_T9_mT8_S1G_bDpT10_ENKUlT_T0_E_clISt17integral_constantIbLb0EES1U_EEDaS1P_S1Q_EUlS1P_E_NS1_11comp_targetILNS1_3genE8ELNS1_11target_archE1030ELNS1_3gpuE2ELNS1_3repE0EEENS1_30default_config_static_selectorELNS0_4arch9wavefront6targetE0EEEvS12_,comdat
.Lfunc_end1475:
	.size	_ZN7rocprim17ROCPRIM_400000_NS6detail17trampoline_kernelINS0_13select_configILj256ELj13ELNS0_17block_load_methodE3ELS4_3ELS4_3ELNS0_20block_scan_algorithmE0ELj4294967295EEENS1_25partition_config_selectorILNS1_17partition_subalgoE4EjNS0_10empty_typeEbEEZZNS1_14partition_implILS8_4ELb0ES6_15HIP_vector_typeIjLj2EENS0_17counting_iteratorIjlEEPS9_SG_NS0_5tupleIJPjSI_NS0_16reverse_iteratorISI_EEEEENSH_IJSG_SG_SG_EEES9_SI_JZNS1_25segmented_radix_sort_implINS0_14default_configELb1EPKbPbPKlPlN2at6native12_GLOBAL__N_18offset_tEEE10hipError_tPvRmT1_PNSt15iterator_traitsIS12_E10value_typeET2_T3_PNS13_IS18_E10value_typeET4_jRbjT5_S1E_jjP12ihipStream_tbEUljE_ZNSN_ISO_Lb1ESQ_SR_ST_SU_SY_EESZ_S10_S11_S12_S16_S17_S18_S1B_S1C_jS1D_jS1E_S1E_jjS1G_bEUljE0_EEESZ_S10_S11_S18_S1C_S1E_T6_T7_T9_mT8_S1G_bDpT10_ENKUlT_T0_E_clISt17integral_constantIbLb0EES1U_EEDaS1P_S1Q_EUlS1P_E_NS1_11comp_targetILNS1_3genE8ELNS1_11target_archE1030ELNS1_3gpuE2ELNS1_3repE0EEENS1_30default_config_static_selectorELNS0_4arch9wavefront6targetE0EEEvS12_, .Lfunc_end1475-_ZN7rocprim17ROCPRIM_400000_NS6detail17trampoline_kernelINS0_13select_configILj256ELj13ELNS0_17block_load_methodE3ELS4_3ELS4_3ELNS0_20block_scan_algorithmE0ELj4294967295EEENS1_25partition_config_selectorILNS1_17partition_subalgoE4EjNS0_10empty_typeEbEEZZNS1_14partition_implILS8_4ELb0ES6_15HIP_vector_typeIjLj2EENS0_17counting_iteratorIjlEEPS9_SG_NS0_5tupleIJPjSI_NS0_16reverse_iteratorISI_EEEEENSH_IJSG_SG_SG_EEES9_SI_JZNS1_25segmented_radix_sort_implINS0_14default_configELb1EPKbPbPKlPlN2at6native12_GLOBAL__N_18offset_tEEE10hipError_tPvRmT1_PNSt15iterator_traitsIS12_E10value_typeET2_T3_PNS13_IS18_E10value_typeET4_jRbjT5_S1E_jjP12ihipStream_tbEUljE_ZNSN_ISO_Lb1ESQ_SR_ST_SU_SY_EESZ_S10_S11_S12_S16_S17_S18_S1B_S1C_jS1D_jS1E_S1E_jjS1G_bEUljE0_EEESZ_S10_S11_S18_S1C_S1E_T6_T7_T9_mT8_S1G_bDpT10_ENKUlT_T0_E_clISt17integral_constantIbLb0EES1U_EEDaS1P_S1Q_EUlS1P_E_NS1_11comp_targetILNS1_3genE8ELNS1_11target_archE1030ELNS1_3gpuE2ELNS1_3repE0EEENS1_30default_config_static_selectorELNS0_4arch9wavefront6targetE0EEEvS12_
                                        ; -- End function
	.set _ZN7rocprim17ROCPRIM_400000_NS6detail17trampoline_kernelINS0_13select_configILj256ELj13ELNS0_17block_load_methodE3ELS4_3ELS4_3ELNS0_20block_scan_algorithmE0ELj4294967295EEENS1_25partition_config_selectorILNS1_17partition_subalgoE4EjNS0_10empty_typeEbEEZZNS1_14partition_implILS8_4ELb0ES6_15HIP_vector_typeIjLj2EENS0_17counting_iteratorIjlEEPS9_SG_NS0_5tupleIJPjSI_NS0_16reverse_iteratorISI_EEEEENSH_IJSG_SG_SG_EEES9_SI_JZNS1_25segmented_radix_sort_implINS0_14default_configELb1EPKbPbPKlPlN2at6native12_GLOBAL__N_18offset_tEEE10hipError_tPvRmT1_PNSt15iterator_traitsIS12_E10value_typeET2_T3_PNS13_IS18_E10value_typeET4_jRbjT5_S1E_jjP12ihipStream_tbEUljE_ZNSN_ISO_Lb1ESQ_SR_ST_SU_SY_EESZ_S10_S11_S12_S16_S17_S18_S1B_S1C_jS1D_jS1E_S1E_jjS1G_bEUljE0_EEESZ_S10_S11_S18_S1C_S1E_T6_T7_T9_mT8_S1G_bDpT10_ENKUlT_T0_E_clISt17integral_constantIbLb0EES1U_EEDaS1P_S1Q_EUlS1P_E_NS1_11comp_targetILNS1_3genE8ELNS1_11target_archE1030ELNS1_3gpuE2ELNS1_3repE0EEENS1_30default_config_static_selectorELNS0_4arch9wavefront6targetE0EEEvS12_.num_vgpr, 0
	.set _ZN7rocprim17ROCPRIM_400000_NS6detail17trampoline_kernelINS0_13select_configILj256ELj13ELNS0_17block_load_methodE3ELS4_3ELS4_3ELNS0_20block_scan_algorithmE0ELj4294967295EEENS1_25partition_config_selectorILNS1_17partition_subalgoE4EjNS0_10empty_typeEbEEZZNS1_14partition_implILS8_4ELb0ES6_15HIP_vector_typeIjLj2EENS0_17counting_iteratorIjlEEPS9_SG_NS0_5tupleIJPjSI_NS0_16reverse_iteratorISI_EEEEENSH_IJSG_SG_SG_EEES9_SI_JZNS1_25segmented_radix_sort_implINS0_14default_configELb1EPKbPbPKlPlN2at6native12_GLOBAL__N_18offset_tEEE10hipError_tPvRmT1_PNSt15iterator_traitsIS12_E10value_typeET2_T3_PNS13_IS18_E10value_typeET4_jRbjT5_S1E_jjP12ihipStream_tbEUljE_ZNSN_ISO_Lb1ESQ_SR_ST_SU_SY_EESZ_S10_S11_S12_S16_S17_S18_S1B_S1C_jS1D_jS1E_S1E_jjS1G_bEUljE0_EEESZ_S10_S11_S18_S1C_S1E_T6_T7_T9_mT8_S1G_bDpT10_ENKUlT_T0_E_clISt17integral_constantIbLb0EES1U_EEDaS1P_S1Q_EUlS1P_E_NS1_11comp_targetILNS1_3genE8ELNS1_11target_archE1030ELNS1_3gpuE2ELNS1_3repE0EEENS1_30default_config_static_selectorELNS0_4arch9wavefront6targetE0EEEvS12_.num_agpr, 0
	.set _ZN7rocprim17ROCPRIM_400000_NS6detail17trampoline_kernelINS0_13select_configILj256ELj13ELNS0_17block_load_methodE3ELS4_3ELS4_3ELNS0_20block_scan_algorithmE0ELj4294967295EEENS1_25partition_config_selectorILNS1_17partition_subalgoE4EjNS0_10empty_typeEbEEZZNS1_14partition_implILS8_4ELb0ES6_15HIP_vector_typeIjLj2EENS0_17counting_iteratorIjlEEPS9_SG_NS0_5tupleIJPjSI_NS0_16reverse_iteratorISI_EEEEENSH_IJSG_SG_SG_EEES9_SI_JZNS1_25segmented_radix_sort_implINS0_14default_configELb1EPKbPbPKlPlN2at6native12_GLOBAL__N_18offset_tEEE10hipError_tPvRmT1_PNSt15iterator_traitsIS12_E10value_typeET2_T3_PNS13_IS18_E10value_typeET4_jRbjT5_S1E_jjP12ihipStream_tbEUljE_ZNSN_ISO_Lb1ESQ_SR_ST_SU_SY_EESZ_S10_S11_S12_S16_S17_S18_S1B_S1C_jS1D_jS1E_S1E_jjS1G_bEUljE0_EEESZ_S10_S11_S18_S1C_S1E_T6_T7_T9_mT8_S1G_bDpT10_ENKUlT_T0_E_clISt17integral_constantIbLb0EES1U_EEDaS1P_S1Q_EUlS1P_E_NS1_11comp_targetILNS1_3genE8ELNS1_11target_archE1030ELNS1_3gpuE2ELNS1_3repE0EEENS1_30default_config_static_selectorELNS0_4arch9wavefront6targetE0EEEvS12_.numbered_sgpr, 0
	.set _ZN7rocprim17ROCPRIM_400000_NS6detail17trampoline_kernelINS0_13select_configILj256ELj13ELNS0_17block_load_methodE3ELS4_3ELS4_3ELNS0_20block_scan_algorithmE0ELj4294967295EEENS1_25partition_config_selectorILNS1_17partition_subalgoE4EjNS0_10empty_typeEbEEZZNS1_14partition_implILS8_4ELb0ES6_15HIP_vector_typeIjLj2EENS0_17counting_iteratorIjlEEPS9_SG_NS0_5tupleIJPjSI_NS0_16reverse_iteratorISI_EEEEENSH_IJSG_SG_SG_EEES9_SI_JZNS1_25segmented_radix_sort_implINS0_14default_configELb1EPKbPbPKlPlN2at6native12_GLOBAL__N_18offset_tEEE10hipError_tPvRmT1_PNSt15iterator_traitsIS12_E10value_typeET2_T3_PNS13_IS18_E10value_typeET4_jRbjT5_S1E_jjP12ihipStream_tbEUljE_ZNSN_ISO_Lb1ESQ_SR_ST_SU_SY_EESZ_S10_S11_S12_S16_S17_S18_S1B_S1C_jS1D_jS1E_S1E_jjS1G_bEUljE0_EEESZ_S10_S11_S18_S1C_S1E_T6_T7_T9_mT8_S1G_bDpT10_ENKUlT_T0_E_clISt17integral_constantIbLb0EES1U_EEDaS1P_S1Q_EUlS1P_E_NS1_11comp_targetILNS1_3genE8ELNS1_11target_archE1030ELNS1_3gpuE2ELNS1_3repE0EEENS1_30default_config_static_selectorELNS0_4arch9wavefront6targetE0EEEvS12_.num_named_barrier, 0
	.set _ZN7rocprim17ROCPRIM_400000_NS6detail17trampoline_kernelINS0_13select_configILj256ELj13ELNS0_17block_load_methodE3ELS4_3ELS4_3ELNS0_20block_scan_algorithmE0ELj4294967295EEENS1_25partition_config_selectorILNS1_17partition_subalgoE4EjNS0_10empty_typeEbEEZZNS1_14partition_implILS8_4ELb0ES6_15HIP_vector_typeIjLj2EENS0_17counting_iteratorIjlEEPS9_SG_NS0_5tupleIJPjSI_NS0_16reverse_iteratorISI_EEEEENSH_IJSG_SG_SG_EEES9_SI_JZNS1_25segmented_radix_sort_implINS0_14default_configELb1EPKbPbPKlPlN2at6native12_GLOBAL__N_18offset_tEEE10hipError_tPvRmT1_PNSt15iterator_traitsIS12_E10value_typeET2_T3_PNS13_IS18_E10value_typeET4_jRbjT5_S1E_jjP12ihipStream_tbEUljE_ZNSN_ISO_Lb1ESQ_SR_ST_SU_SY_EESZ_S10_S11_S12_S16_S17_S18_S1B_S1C_jS1D_jS1E_S1E_jjS1G_bEUljE0_EEESZ_S10_S11_S18_S1C_S1E_T6_T7_T9_mT8_S1G_bDpT10_ENKUlT_T0_E_clISt17integral_constantIbLb0EES1U_EEDaS1P_S1Q_EUlS1P_E_NS1_11comp_targetILNS1_3genE8ELNS1_11target_archE1030ELNS1_3gpuE2ELNS1_3repE0EEENS1_30default_config_static_selectorELNS0_4arch9wavefront6targetE0EEEvS12_.private_seg_size, 0
	.set _ZN7rocprim17ROCPRIM_400000_NS6detail17trampoline_kernelINS0_13select_configILj256ELj13ELNS0_17block_load_methodE3ELS4_3ELS4_3ELNS0_20block_scan_algorithmE0ELj4294967295EEENS1_25partition_config_selectorILNS1_17partition_subalgoE4EjNS0_10empty_typeEbEEZZNS1_14partition_implILS8_4ELb0ES6_15HIP_vector_typeIjLj2EENS0_17counting_iteratorIjlEEPS9_SG_NS0_5tupleIJPjSI_NS0_16reverse_iteratorISI_EEEEENSH_IJSG_SG_SG_EEES9_SI_JZNS1_25segmented_radix_sort_implINS0_14default_configELb1EPKbPbPKlPlN2at6native12_GLOBAL__N_18offset_tEEE10hipError_tPvRmT1_PNSt15iterator_traitsIS12_E10value_typeET2_T3_PNS13_IS18_E10value_typeET4_jRbjT5_S1E_jjP12ihipStream_tbEUljE_ZNSN_ISO_Lb1ESQ_SR_ST_SU_SY_EESZ_S10_S11_S12_S16_S17_S18_S1B_S1C_jS1D_jS1E_S1E_jjS1G_bEUljE0_EEESZ_S10_S11_S18_S1C_S1E_T6_T7_T9_mT8_S1G_bDpT10_ENKUlT_T0_E_clISt17integral_constantIbLb0EES1U_EEDaS1P_S1Q_EUlS1P_E_NS1_11comp_targetILNS1_3genE8ELNS1_11target_archE1030ELNS1_3gpuE2ELNS1_3repE0EEENS1_30default_config_static_selectorELNS0_4arch9wavefront6targetE0EEEvS12_.uses_vcc, 0
	.set _ZN7rocprim17ROCPRIM_400000_NS6detail17trampoline_kernelINS0_13select_configILj256ELj13ELNS0_17block_load_methodE3ELS4_3ELS4_3ELNS0_20block_scan_algorithmE0ELj4294967295EEENS1_25partition_config_selectorILNS1_17partition_subalgoE4EjNS0_10empty_typeEbEEZZNS1_14partition_implILS8_4ELb0ES6_15HIP_vector_typeIjLj2EENS0_17counting_iteratorIjlEEPS9_SG_NS0_5tupleIJPjSI_NS0_16reverse_iteratorISI_EEEEENSH_IJSG_SG_SG_EEES9_SI_JZNS1_25segmented_radix_sort_implINS0_14default_configELb1EPKbPbPKlPlN2at6native12_GLOBAL__N_18offset_tEEE10hipError_tPvRmT1_PNSt15iterator_traitsIS12_E10value_typeET2_T3_PNS13_IS18_E10value_typeET4_jRbjT5_S1E_jjP12ihipStream_tbEUljE_ZNSN_ISO_Lb1ESQ_SR_ST_SU_SY_EESZ_S10_S11_S12_S16_S17_S18_S1B_S1C_jS1D_jS1E_S1E_jjS1G_bEUljE0_EEESZ_S10_S11_S18_S1C_S1E_T6_T7_T9_mT8_S1G_bDpT10_ENKUlT_T0_E_clISt17integral_constantIbLb0EES1U_EEDaS1P_S1Q_EUlS1P_E_NS1_11comp_targetILNS1_3genE8ELNS1_11target_archE1030ELNS1_3gpuE2ELNS1_3repE0EEENS1_30default_config_static_selectorELNS0_4arch9wavefront6targetE0EEEvS12_.uses_flat_scratch, 0
	.set _ZN7rocprim17ROCPRIM_400000_NS6detail17trampoline_kernelINS0_13select_configILj256ELj13ELNS0_17block_load_methodE3ELS4_3ELS4_3ELNS0_20block_scan_algorithmE0ELj4294967295EEENS1_25partition_config_selectorILNS1_17partition_subalgoE4EjNS0_10empty_typeEbEEZZNS1_14partition_implILS8_4ELb0ES6_15HIP_vector_typeIjLj2EENS0_17counting_iteratorIjlEEPS9_SG_NS0_5tupleIJPjSI_NS0_16reverse_iteratorISI_EEEEENSH_IJSG_SG_SG_EEES9_SI_JZNS1_25segmented_radix_sort_implINS0_14default_configELb1EPKbPbPKlPlN2at6native12_GLOBAL__N_18offset_tEEE10hipError_tPvRmT1_PNSt15iterator_traitsIS12_E10value_typeET2_T3_PNS13_IS18_E10value_typeET4_jRbjT5_S1E_jjP12ihipStream_tbEUljE_ZNSN_ISO_Lb1ESQ_SR_ST_SU_SY_EESZ_S10_S11_S12_S16_S17_S18_S1B_S1C_jS1D_jS1E_S1E_jjS1G_bEUljE0_EEESZ_S10_S11_S18_S1C_S1E_T6_T7_T9_mT8_S1G_bDpT10_ENKUlT_T0_E_clISt17integral_constantIbLb0EES1U_EEDaS1P_S1Q_EUlS1P_E_NS1_11comp_targetILNS1_3genE8ELNS1_11target_archE1030ELNS1_3gpuE2ELNS1_3repE0EEENS1_30default_config_static_selectorELNS0_4arch9wavefront6targetE0EEEvS12_.has_dyn_sized_stack, 0
	.set _ZN7rocprim17ROCPRIM_400000_NS6detail17trampoline_kernelINS0_13select_configILj256ELj13ELNS0_17block_load_methodE3ELS4_3ELS4_3ELNS0_20block_scan_algorithmE0ELj4294967295EEENS1_25partition_config_selectorILNS1_17partition_subalgoE4EjNS0_10empty_typeEbEEZZNS1_14partition_implILS8_4ELb0ES6_15HIP_vector_typeIjLj2EENS0_17counting_iteratorIjlEEPS9_SG_NS0_5tupleIJPjSI_NS0_16reverse_iteratorISI_EEEEENSH_IJSG_SG_SG_EEES9_SI_JZNS1_25segmented_radix_sort_implINS0_14default_configELb1EPKbPbPKlPlN2at6native12_GLOBAL__N_18offset_tEEE10hipError_tPvRmT1_PNSt15iterator_traitsIS12_E10value_typeET2_T3_PNS13_IS18_E10value_typeET4_jRbjT5_S1E_jjP12ihipStream_tbEUljE_ZNSN_ISO_Lb1ESQ_SR_ST_SU_SY_EESZ_S10_S11_S12_S16_S17_S18_S1B_S1C_jS1D_jS1E_S1E_jjS1G_bEUljE0_EEESZ_S10_S11_S18_S1C_S1E_T6_T7_T9_mT8_S1G_bDpT10_ENKUlT_T0_E_clISt17integral_constantIbLb0EES1U_EEDaS1P_S1Q_EUlS1P_E_NS1_11comp_targetILNS1_3genE8ELNS1_11target_archE1030ELNS1_3gpuE2ELNS1_3repE0EEENS1_30default_config_static_selectorELNS0_4arch9wavefront6targetE0EEEvS12_.has_recursion, 0
	.set _ZN7rocprim17ROCPRIM_400000_NS6detail17trampoline_kernelINS0_13select_configILj256ELj13ELNS0_17block_load_methodE3ELS4_3ELS4_3ELNS0_20block_scan_algorithmE0ELj4294967295EEENS1_25partition_config_selectorILNS1_17partition_subalgoE4EjNS0_10empty_typeEbEEZZNS1_14partition_implILS8_4ELb0ES6_15HIP_vector_typeIjLj2EENS0_17counting_iteratorIjlEEPS9_SG_NS0_5tupleIJPjSI_NS0_16reverse_iteratorISI_EEEEENSH_IJSG_SG_SG_EEES9_SI_JZNS1_25segmented_radix_sort_implINS0_14default_configELb1EPKbPbPKlPlN2at6native12_GLOBAL__N_18offset_tEEE10hipError_tPvRmT1_PNSt15iterator_traitsIS12_E10value_typeET2_T3_PNS13_IS18_E10value_typeET4_jRbjT5_S1E_jjP12ihipStream_tbEUljE_ZNSN_ISO_Lb1ESQ_SR_ST_SU_SY_EESZ_S10_S11_S12_S16_S17_S18_S1B_S1C_jS1D_jS1E_S1E_jjS1G_bEUljE0_EEESZ_S10_S11_S18_S1C_S1E_T6_T7_T9_mT8_S1G_bDpT10_ENKUlT_T0_E_clISt17integral_constantIbLb0EES1U_EEDaS1P_S1Q_EUlS1P_E_NS1_11comp_targetILNS1_3genE8ELNS1_11target_archE1030ELNS1_3gpuE2ELNS1_3repE0EEENS1_30default_config_static_selectorELNS0_4arch9wavefront6targetE0EEEvS12_.has_indirect_call, 0
	.section	.AMDGPU.csdata,"",@progbits
; Kernel info:
; codeLenInByte = 0
; TotalNumSgprs: 0
; NumVgprs: 0
; ScratchSize: 0
; MemoryBound: 0
; FloatMode: 240
; IeeeMode: 1
; LDSByteSize: 0 bytes/workgroup (compile time only)
; SGPRBlocks: 0
; VGPRBlocks: 0
; NumSGPRsForWavesPerEU: 1
; NumVGPRsForWavesPerEU: 1
; Occupancy: 16
; WaveLimiterHint : 0
; COMPUTE_PGM_RSRC2:SCRATCH_EN: 0
; COMPUTE_PGM_RSRC2:USER_SGPR: 2
; COMPUTE_PGM_RSRC2:TRAP_HANDLER: 0
; COMPUTE_PGM_RSRC2:TGID_X_EN: 1
; COMPUTE_PGM_RSRC2:TGID_Y_EN: 0
; COMPUTE_PGM_RSRC2:TGID_Z_EN: 0
; COMPUTE_PGM_RSRC2:TIDIG_COMP_CNT: 0
	.section	.text._ZN7rocprim17ROCPRIM_400000_NS6detail17trampoline_kernelINS0_13select_configILj256ELj13ELNS0_17block_load_methodE3ELS4_3ELS4_3ELNS0_20block_scan_algorithmE0ELj4294967295EEENS1_25partition_config_selectorILNS1_17partition_subalgoE4EjNS0_10empty_typeEbEEZZNS1_14partition_implILS8_4ELb0ES6_15HIP_vector_typeIjLj2EENS0_17counting_iteratorIjlEEPS9_SG_NS0_5tupleIJPjSI_NS0_16reverse_iteratorISI_EEEEENSH_IJSG_SG_SG_EEES9_SI_JZNS1_25segmented_radix_sort_implINS0_14default_configELb1EPKbPbPKlPlN2at6native12_GLOBAL__N_18offset_tEEE10hipError_tPvRmT1_PNSt15iterator_traitsIS12_E10value_typeET2_T3_PNS13_IS18_E10value_typeET4_jRbjT5_S1E_jjP12ihipStream_tbEUljE_ZNSN_ISO_Lb1ESQ_SR_ST_SU_SY_EESZ_S10_S11_S12_S16_S17_S18_S1B_S1C_jS1D_jS1E_S1E_jjS1G_bEUljE0_EEESZ_S10_S11_S18_S1C_S1E_T6_T7_T9_mT8_S1G_bDpT10_ENKUlT_T0_E_clISt17integral_constantIbLb1EES1U_EEDaS1P_S1Q_EUlS1P_E_NS1_11comp_targetILNS1_3genE0ELNS1_11target_archE4294967295ELNS1_3gpuE0ELNS1_3repE0EEENS1_30default_config_static_selectorELNS0_4arch9wavefront6targetE0EEEvS12_,"axG",@progbits,_ZN7rocprim17ROCPRIM_400000_NS6detail17trampoline_kernelINS0_13select_configILj256ELj13ELNS0_17block_load_methodE3ELS4_3ELS4_3ELNS0_20block_scan_algorithmE0ELj4294967295EEENS1_25partition_config_selectorILNS1_17partition_subalgoE4EjNS0_10empty_typeEbEEZZNS1_14partition_implILS8_4ELb0ES6_15HIP_vector_typeIjLj2EENS0_17counting_iteratorIjlEEPS9_SG_NS0_5tupleIJPjSI_NS0_16reverse_iteratorISI_EEEEENSH_IJSG_SG_SG_EEES9_SI_JZNS1_25segmented_radix_sort_implINS0_14default_configELb1EPKbPbPKlPlN2at6native12_GLOBAL__N_18offset_tEEE10hipError_tPvRmT1_PNSt15iterator_traitsIS12_E10value_typeET2_T3_PNS13_IS18_E10value_typeET4_jRbjT5_S1E_jjP12ihipStream_tbEUljE_ZNSN_ISO_Lb1ESQ_SR_ST_SU_SY_EESZ_S10_S11_S12_S16_S17_S18_S1B_S1C_jS1D_jS1E_S1E_jjS1G_bEUljE0_EEESZ_S10_S11_S18_S1C_S1E_T6_T7_T9_mT8_S1G_bDpT10_ENKUlT_T0_E_clISt17integral_constantIbLb1EES1U_EEDaS1P_S1Q_EUlS1P_E_NS1_11comp_targetILNS1_3genE0ELNS1_11target_archE4294967295ELNS1_3gpuE0ELNS1_3repE0EEENS1_30default_config_static_selectorELNS0_4arch9wavefront6targetE0EEEvS12_,comdat
	.globl	_ZN7rocprim17ROCPRIM_400000_NS6detail17trampoline_kernelINS0_13select_configILj256ELj13ELNS0_17block_load_methodE3ELS4_3ELS4_3ELNS0_20block_scan_algorithmE0ELj4294967295EEENS1_25partition_config_selectorILNS1_17partition_subalgoE4EjNS0_10empty_typeEbEEZZNS1_14partition_implILS8_4ELb0ES6_15HIP_vector_typeIjLj2EENS0_17counting_iteratorIjlEEPS9_SG_NS0_5tupleIJPjSI_NS0_16reverse_iteratorISI_EEEEENSH_IJSG_SG_SG_EEES9_SI_JZNS1_25segmented_radix_sort_implINS0_14default_configELb1EPKbPbPKlPlN2at6native12_GLOBAL__N_18offset_tEEE10hipError_tPvRmT1_PNSt15iterator_traitsIS12_E10value_typeET2_T3_PNS13_IS18_E10value_typeET4_jRbjT5_S1E_jjP12ihipStream_tbEUljE_ZNSN_ISO_Lb1ESQ_SR_ST_SU_SY_EESZ_S10_S11_S12_S16_S17_S18_S1B_S1C_jS1D_jS1E_S1E_jjS1G_bEUljE0_EEESZ_S10_S11_S18_S1C_S1E_T6_T7_T9_mT8_S1G_bDpT10_ENKUlT_T0_E_clISt17integral_constantIbLb1EES1U_EEDaS1P_S1Q_EUlS1P_E_NS1_11comp_targetILNS1_3genE0ELNS1_11target_archE4294967295ELNS1_3gpuE0ELNS1_3repE0EEENS1_30default_config_static_selectorELNS0_4arch9wavefront6targetE0EEEvS12_ ; -- Begin function _ZN7rocprim17ROCPRIM_400000_NS6detail17trampoline_kernelINS0_13select_configILj256ELj13ELNS0_17block_load_methodE3ELS4_3ELS4_3ELNS0_20block_scan_algorithmE0ELj4294967295EEENS1_25partition_config_selectorILNS1_17partition_subalgoE4EjNS0_10empty_typeEbEEZZNS1_14partition_implILS8_4ELb0ES6_15HIP_vector_typeIjLj2EENS0_17counting_iteratorIjlEEPS9_SG_NS0_5tupleIJPjSI_NS0_16reverse_iteratorISI_EEEEENSH_IJSG_SG_SG_EEES9_SI_JZNS1_25segmented_radix_sort_implINS0_14default_configELb1EPKbPbPKlPlN2at6native12_GLOBAL__N_18offset_tEEE10hipError_tPvRmT1_PNSt15iterator_traitsIS12_E10value_typeET2_T3_PNS13_IS18_E10value_typeET4_jRbjT5_S1E_jjP12ihipStream_tbEUljE_ZNSN_ISO_Lb1ESQ_SR_ST_SU_SY_EESZ_S10_S11_S12_S16_S17_S18_S1B_S1C_jS1D_jS1E_S1E_jjS1G_bEUljE0_EEESZ_S10_S11_S18_S1C_S1E_T6_T7_T9_mT8_S1G_bDpT10_ENKUlT_T0_E_clISt17integral_constantIbLb1EES1U_EEDaS1P_S1Q_EUlS1P_E_NS1_11comp_targetILNS1_3genE0ELNS1_11target_archE4294967295ELNS1_3gpuE0ELNS1_3repE0EEENS1_30default_config_static_selectorELNS0_4arch9wavefront6targetE0EEEvS12_
	.p2align	8
	.type	_ZN7rocprim17ROCPRIM_400000_NS6detail17trampoline_kernelINS0_13select_configILj256ELj13ELNS0_17block_load_methodE3ELS4_3ELS4_3ELNS0_20block_scan_algorithmE0ELj4294967295EEENS1_25partition_config_selectorILNS1_17partition_subalgoE4EjNS0_10empty_typeEbEEZZNS1_14partition_implILS8_4ELb0ES6_15HIP_vector_typeIjLj2EENS0_17counting_iteratorIjlEEPS9_SG_NS0_5tupleIJPjSI_NS0_16reverse_iteratorISI_EEEEENSH_IJSG_SG_SG_EEES9_SI_JZNS1_25segmented_radix_sort_implINS0_14default_configELb1EPKbPbPKlPlN2at6native12_GLOBAL__N_18offset_tEEE10hipError_tPvRmT1_PNSt15iterator_traitsIS12_E10value_typeET2_T3_PNS13_IS18_E10value_typeET4_jRbjT5_S1E_jjP12ihipStream_tbEUljE_ZNSN_ISO_Lb1ESQ_SR_ST_SU_SY_EESZ_S10_S11_S12_S16_S17_S18_S1B_S1C_jS1D_jS1E_S1E_jjS1G_bEUljE0_EEESZ_S10_S11_S18_S1C_S1E_T6_T7_T9_mT8_S1G_bDpT10_ENKUlT_T0_E_clISt17integral_constantIbLb1EES1U_EEDaS1P_S1Q_EUlS1P_E_NS1_11comp_targetILNS1_3genE0ELNS1_11target_archE4294967295ELNS1_3gpuE0ELNS1_3repE0EEENS1_30default_config_static_selectorELNS0_4arch9wavefront6targetE0EEEvS12_,@function
_ZN7rocprim17ROCPRIM_400000_NS6detail17trampoline_kernelINS0_13select_configILj256ELj13ELNS0_17block_load_methodE3ELS4_3ELS4_3ELNS0_20block_scan_algorithmE0ELj4294967295EEENS1_25partition_config_selectorILNS1_17partition_subalgoE4EjNS0_10empty_typeEbEEZZNS1_14partition_implILS8_4ELb0ES6_15HIP_vector_typeIjLj2EENS0_17counting_iteratorIjlEEPS9_SG_NS0_5tupleIJPjSI_NS0_16reverse_iteratorISI_EEEEENSH_IJSG_SG_SG_EEES9_SI_JZNS1_25segmented_radix_sort_implINS0_14default_configELb1EPKbPbPKlPlN2at6native12_GLOBAL__N_18offset_tEEE10hipError_tPvRmT1_PNSt15iterator_traitsIS12_E10value_typeET2_T3_PNS13_IS18_E10value_typeET4_jRbjT5_S1E_jjP12ihipStream_tbEUljE_ZNSN_ISO_Lb1ESQ_SR_ST_SU_SY_EESZ_S10_S11_S12_S16_S17_S18_S1B_S1C_jS1D_jS1E_S1E_jjS1G_bEUljE0_EEESZ_S10_S11_S18_S1C_S1E_T6_T7_T9_mT8_S1G_bDpT10_ENKUlT_T0_E_clISt17integral_constantIbLb1EES1U_EEDaS1P_S1Q_EUlS1P_E_NS1_11comp_targetILNS1_3genE0ELNS1_11target_archE4294967295ELNS1_3gpuE0ELNS1_3repE0EEENS1_30default_config_static_selectorELNS0_4arch9wavefront6targetE0EEEvS12_: ; @_ZN7rocprim17ROCPRIM_400000_NS6detail17trampoline_kernelINS0_13select_configILj256ELj13ELNS0_17block_load_methodE3ELS4_3ELS4_3ELNS0_20block_scan_algorithmE0ELj4294967295EEENS1_25partition_config_selectorILNS1_17partition_subalgoE4EjNS0_10empty_typeEbEEZZNS1_14partition_implILS8_4ELb0ES6_15HIP_vector_typeIjLj2EENS0_17counting_iteratorIjlEEPS9_SG_NS0_5tupleIJPjSI_NS0_16reverse_iteratorISI_EEEEENSH_IJSG_SG_SG_EEES9_SI_JZNS1_25segmented_radix_sort_implINS0_14default_configELb1EPKbPbPKlPlN2at6native12_GLOBAL__N_18offset_tEEE10hipError_tPvRmT1_PNSt15iterator_traitsIS12_E10value_typeET2_T3_PNS13_IS18_E10value_typeET4_jRbjT5_S1E_jjP12ihipStream_tbEUljE_ZNSN_ISO_Lb1ESQ_SR_ST_SU_SY_EESZ_S10_S11_S12_S16_S17_S18_S1B_S1C_jS1D_jS1E_S1E_jjS1G_bEUljE0_EEESZ_S10_S11_S18_S1C_S1E_T6_T7_T9_mT8_S1G_bDpT10_ENKUlT_T0_E_clISt17integral_constantIbLb1EES1U_EEDaS1P_S1Q_EUlS1P_E_NS1_11comp_targetILNS1_3genE0ELNS1_11target_archE4294967295ELNS1_3gpuE0ELNS1_3repE0EEENS1_30default_config_static_selectorELNS0_4arch9wavefront6targetE0EEEvS12_
; %bb.0:
	.section	.rodata,"a",@progbits
	.p2align	6, 0x0
	.amdhsa_kernel _ZN7rocprim17ROCPRIM_400000_NS6detail17trampoline_kernelINS0_13select_configILj256ELj13ELNS0_17block_load_methodE3ELS4_3ELS4_3ELNS0_20block_scan_algorithmE0ELj4294967295EEENS1_25partition_config_selectorILNS1_17partition_subalgoE4EjNS0_10empty_typeEbEEZZNS1_14partition_implILS8_4ELb0ES6_15HIP_vector_typeIjLj2EENS0_17counting_iteratorIjlEEPS9_SG_NS0_5tupleIJPjSI_NS0_16reverse_iteratorISI_EEEEENSH_IJSG_SG_SG_EEES9_SI_JZNS1_25segmented_radix_sort_implINS0_14default_configELb1EPKbPbPKlPlN2at6native12_GLOBAL__N_18offset_tEEE10hipError_tPvRmT1_PNSt15iterator_traitsIS12_E10value_typeET2_T3_PNS13_IS18_E10value_typeET4_jRbjT5_S1E_jjP12ihipStream_tbEUljE_ZNSN_ISO_Lb1ESQ_SR_ST_SU_SY_EESZ_S10_S11_S12_S16_S17_S18_S1B_S1C_jS1D_jS1E_S1E_jjS1G_bEUljE0_EEESZ_S10_S11_S18_S1C_S1E_T6_T7_T9_mT8_S1G_bDpT10_ENKUlT_T0_E_clISt17integral_constantIbLb1EES1U_EEDaS1P_S1Q_EUlS1P_E_NS1_11comp_targetILNS1_3genE0ELNS1_11target_archE4294967295ELNS1_3gpuE0ELNS1_3repE0EEENS1_30default_config_static_selectorELNS0_4arch9wavefront6targetE0EEEvS12_
		.amdhsa_group_segment_fixed_size 0
		.amdhsa_private_segment_fixed_size 0
		.amdhsa_kernarg_size 184
		.amdhsa_user_sgpr_count 2
		.amdhsa_user_sgpr_dispatch_ptr 0
		.amdhsa_user_sgpr_queue_ptr 0
		.amdhsa_user_sgpr_kernarg_segment_ptr 1
		.amdhsa_user_sgpr_dispatch_id 0
		.amdhsa_user_sgpr_private_segment_size 0
		.amdhsa_wavefront_size32 1
		.amdhsa_uses_dynamic_stack 0
		.amdhsa_enable_private_segment 0
		.amdhsa_system_sgpr_workgroup_id_x 1
		.amdhsa_system_sgpr_workgroup_id_y 0
		.amdhsa_system_sgpr_workgroup_id_z 0
		.amdhsa_system_sgpr_workgroup_info 0
		.amdhsa_system_vgpr_workitem_id 0
		.amdhsa_next_free_vgpr 1
		.amdhsa_next_free_sgpr 1
		.amdhsa_reserve_vcc 0
		.amdhsa_float_round_mode_32 0
		.amdhsa_float_round_mode_16_64 0
		.amdhsa_float_denorm_mode_32 3
		.amdhsa_float_denorm_mode_16_64 3
		.amdhsa_fp16_overflow 0
		.amdhsa_workgroup_processor_mode 1
		.amdhsa_memory_ordered 1
		.amdhsa_forward_progress 1
		.amdhsa_inst_pref_size 0
		.amdhsa_round_robin_scheduling 0
		.amdhsa_exception_fp_ieee_invalid_op 0
		.amdhsa_exception_fp_denorm_src 0
		.amdhsa_exception_fp_ieee_div_zero 0
		.amdhsa_exception_fp_ieee_overflow 0
		.amdhsa_exception_fp_ieee_underflow 0
		.amdhsa_exception_fp_ieee_inexact 0
		.amdhsa_exception_int_div_zero 0
	.end_amdhsa_kernel
	.section	.text._ZN7rocprim17ROCPRIM_400000_NS6detail17trampoline_kernelINS0_13select_configILj256ELj13ELNS0_17block_load_methodE3ELS4_3ELS4_3ELNS0_20block_scan_algorithmE0ELj4294967295EEENS1_25partition_config_selectorILNS1_17partition_subalgoE4EjNS0_10empty_typeEbEEZZNS1_14partition_implILS8_4ELb0ES6_15HIP_vector_typeIjLj2EENS0_17counting_iteratorIjlEEPS9_SG_NS0_5tupleIJPjSI_NS0_16reverse_iteratorISI_EEEEENSH_IJSG_SG_SG_EEES9_SI_JZNS1_25segmented_radix_sort_implINS0_14default_configELb1EPKbPbPKlPlN2at6native12_GLOBAL__N_18offset_tEEE10hipError_tPvRmT1_PNSt15iterator_traitsIS12_E10value_typeET2_T3_PNS13_IS18_E10value_typeET4_jRbjT5_S1E_jjP12ihipStream_tbEUljE_ZNSN_ISO_Lb1ESQ_SR_ST_SU_SY_EESZ_S10_S11_S12_S16_S17_S18_S1B_S1C_jS1D_jS1E_S1E_jjS1G_bEUljE0_EEESZ_S10_S11_S18_S1C_S1E_T6_T7_T9_mT8_S1G_bDpT10_ENKUlT_T0_E_clISt17integral_constantIbLb1EES1U_EEDaS1P_S1Q_EUlS1P_E_NS1_11comp_targetILNS1_3genE0ELNS1_11target_archE4294967295ELNS1_3gpuE0ELNS1_3repE0EEENS1_30default_config_static_selectorELNS0_4arch9wavefront6targetE0EEEvS12_,"axG",@progbits,_ZN7rocprim17ROCPRIM_400000_NS6detail17trampoline_kernelINS0_13select_configILj256ELj13ELNS0_17block_load_methodE3ELS4_3ELS4_3ELNS0_20block_scan_algorithmE0ELj4294967295EEENS1_25partition_config_selectorILNS1_17partition_subalgoE4EjNS0_10empty_typeEbEEZZNS1_14partition_implILS8_4ELb0ES6_15HIP_vector_typeIjLj2EENS0_17counting_iteratorIjlEEPS9_SG_NS0_5tupleIJPjSI_NS0_16reverse_iteratorISI_EEEEENSH_IJSG_SG_SG_EEES9_SI_JZNS1_25segmented_radix_sort_implINS0_14default_configELb1EPKbPbPKlPlN2at6native12_GLOBAL__N_18offset_tEEE10hipError_tPvRmT1_PNSt15iterator_traitsIS12_E10value_typeET2_T3_PNS13_IS18_E10value_typeET4_jRbjT5_S1E_jjP12ihipStream_tbEUljE_ZNSN_ISO_Lb1ESQ_SR_ST_SU_SY_EESZ_S10_S11_S12_S16_S17_S18_S1B_S1C_jS1D_jS1E_S1E_jjS1G_bEUljE0_EEESZ_S10_S11_S18_S1C_S1E_T6_T7_T9_mT8_S1G_bDpT10_ENKUlT_T0_E_clISt17integral_constantIbLb1EES1U_EEDaS1P_S1Q_EUlS1P_E_NS1_11comp_targetILNS1_3genE0ELNS1_11target_archE4294967295ELNS1_3gpuE0ELNS1_3repE0EEENS1_30default_config_static_selectorELNS0_4arch9wavefront6targetE0EEEvS12_,comdat
.Lfunc_end1476:
	.size	_ZN7rocprim17ROCPRIM_400000_NS6detail17trampoline_kernelINS0_13select_configILj256ELj13ELNS0_17block_load_methodE3ELS4_3ELS4_3ELNS0_20block_scan_algorithmE0ELj4294967295EEENS1_25partition_config_selectorILNS1_17partition_subalgoE4EjNS0_10empty_typeEbEEZZNS1_14partition_implILS8_4ELb0ES6_15HIP_vector_typeIjLj2EENS0_17counting_iteratorIjlEEPS9_SG_NS0_5tupleIJPjSI_NS0_16reverse_iteratorISI_EEEEENSH_IJSG_SG_SG_EEES9_SI_JZNS1_25segmented_radix_sort_implINS0_14default_configELb1EPKbPbPKlPlN2at6native12_GLOBAL__N_18offset_tEEE10hipError_tPvRmT1_PNSt15iterator_traitsIS12_E10value_typeET2_T3_PNS13_IS18_E10value_typeET4_jRbjT5_S1E_jjP12ihipStream_tbEUljE_ZNSN_ISO_Lb1ESQ_SR_ST_SU_SY_EESZ_S10_S11_S12_S16_S17_S18_S1B_S1C_jS1D_jS1E_S1E_jjS1G_bEUljE0_EEESZ_S10_S11_S18_S1C_S1E_T6_T7_T9_mT8_S1G_bDpT10_ENKUlT_T0_E_clISt17integral_constantIbLb1EES1U_EEDaS1P_S1Q_EUlS1P_E_NS1_11comp_targetILNS1_3genE0ELNS1_11target_archE4294967295ELNS1_3gpuE0ELNS1_3repE0EEENS1_30default_config_static_selectorELNS0_4arch9wavefront6targetE0EEEvS12_, .Lfunc_end1476-_ZN7rocprim17ROCPRIM_400000_NS6detail17trampoline_kernelINS0_13select_configILj256ELj13ELNS0_17block_load_methodE3ELS4_3ELS4_3ELNS0_20block_scan_algorithmE0ELj4294967295EEENS1_25partition_config_selectorILNS1_17partition_subalgoE4EjNS0_10empty_typeEbEEZZNS1_14partition_implILS8_4ELb0ES6_15HIP_vector_typeIjLj2EENS0_17counting_iteratorIjlEEPS9_SG_NS0_5tupleIJPjSI_NS0_16reverse_iteratorISI_EEEEENSH_IJSG_SG_SG_EEES9_SI_JZNS1_25segmented_radix_sort_implINS0_14default_configELb1EPKbPbPKlPlN2at6native12_GLOBAL__N_18offset_tEEE10hipError_tPvRmT1_PNSt15iterator_traitsIS12_E10value_typeET2_T3_PNS13_IS18_E10value_typeET4_jRbjT5_S1E_jjP12ihipStream_tbEUljE_ZNSN_ISO_Lb1ESQ_SR_ST_SU_SY_EESZ_S10_S11_S12_S16_S17_S18_S1B_S1C_jS1D_jS1E_S1E_jjS1G_bEUljE0_EEESZ_S10_S11_S18_S1C_S1E_T6_T7_T9_mT8_S1G_bDpT10_ENKUlT_T0_E_clISt17integral_constantIbLb1EES1U_EEDaS1P_S1Q_EUlS1P_E_NS1_11comp_targetILNS1_3genE0ELNS1_11target_archE4294967295ELNS1_3gpuE0ELNS1_3repE0EEENS1_30default_config_static_selectorELNS0_4arch9wavefront6targetE0EEEvS12_
                                        ; -- End function
	.set _ZN7rocprim17ROCPRIM_400000_NS6detail17trampoline_kernelINS0_13select_configILj256ELj13ELNS0_17block_load_methodE3ELS4_3ELS4_3ELNS0_20block_scan_algorithmE0ELj4294967295EEENS1_25partition_config_selectorILNS1_17partition_subalgoE4EjNS0_10empty_typeEbEEZZNS1_14partition_implILS8_4ELb0ES6_15HIP_vector_typeIjLj2EENS0_17counting_iteratorIjlEEPS9_SG_NS0_5tupleIJPjSI_NS0_16reverse_iteratorISI_EEEEENSH_IJSG_SG_SG_EEES9_SI_JZNS1_25segmented_radix_sort_implINS0_14default_configELb1EPKbPbPKlPlN2at6native12_GLOBAL__N_18offset_tEEE10hipError_tPvRmT1_PNSt15iterator_traitsIS12_E10value_typeET2_T3_PNS13_IS18_E10value_typeET4_jRbjT5_S1E_jjP12ihipStream_tbEUljE_ZNSN_ISO_Lb1ESQ_SR_ST_SU_SY_EESZ_S10_S11_S12_S16_S17_S18_S1B_S1C_jS1D_jS1E_S1E_jjS1G_bEUljE0_EEESZ_S10_S11_S18_S1C_S1E_T6_T7_T9_mT8_S1G_bDpT10_ENKUlT_T0_E_clISt17integral_constantIbLb1EES1U_EEDaS1P_S1Q_EUlS1P_E_NS1_11comp_targetILNS1_3genE0ELNS1_11target_archE4294967295ELNS1_3gpuE0ELNS1_3repE0EEENS1_30default_config_static_selectorELNS0_4arch9wavefront6targetE0EEEvS12_.num_vgpr, 0
	.set _ZN7rocprim17ROCPRIM_400000_NS6detail17trampoline_kernelINS0_13select_configILj256ELj13ELNS0_17block_load_methodE3ELS4_3ELS4_3ELNS0_20block_scan_algorithmE0ELj4294967295EEENS1_25partition_config_selectorILNS1_17partition_subalgoE4EjNS0_10empty_typeEbEEZZNS1_14partition_implILS8_4ELb0ES6_15HIP_vector_typeIjLj2EENS0_17counting_iteratorIjlEEPS9_SG_NS0_5tupleIJPjSI_NS0_16reverse_iteratorISI_EEEEENSH_IJSG_SG_SG_EEES9_SI_JZNS1_25segmented_radix_sort_implINS0_14default_configELb1EPKbPbPKlPlN2at6native12_GLOBAL__N_18offset_tEEE10hipError_tPvRmT1_PNSt15iterator_traitsIS12_E10value_typeET2_T3_PNS13_IS18_E10value_typeET4_jRbjT5_S1E_jjP12ihipStream_tbEUljE_ZNSN_ISO_Lb1ESQ_SR_ST_SU_SY_EESZ_S10_S11_S12_S16_S17_S18_S1B_S1C_jS1D_jS1E_S1E_jjS1G_bEUljE0_EEESZ_S10_S11_S18_S1C_S1E_T6_T7_T9_mT8_S1G_bDpT10_ENKUlT_T0_E_clISt17integral_constantIbLb1EES1U_EEDaS1P_S1Q_EUlS1P_E_NS1_11comp_targetILNS1_3genE0ELNS1_11target_archE4294967295ELNS1_3gpuE0ELNS1_3repE0EEENS1_30default_config_static_selectorELNS0_4arch9wavefront6targetE0EEEvS12_.num_agpr, 0
	.set _ZN7rocprim17ROCPRIM_400000_NS6detail17trampoline_kernelINS0_13select_configILj256ELj13ELNS0_17block_load_methodE3ELS4_3ELS4_3ELNS0_20block_scan_algorithmE0ELj4294967295EEENS1_25partition_config_selectorILNS1_17partition_subalgoE4EjNS0_10empty_typeEbEEZZNS1_14partition_implILS8_4ELb0ES6_15HIP_vector_typeIjLj2EENS0_17counting_iteratorIjlEEPS9_SG_NS0_5tupleIJPjSI_NS0_16reverse_iteratorISI_EEEEENSH_IJSG_SG_SG_EEES9_SI_JZNS1_25segmented_radix_sort_implINS0_14default_configELb1EPKbPbPKlPlN2at6native12_GLOBAL__N_18offset_tEEE10hipError_tPvRmT1_PNSt15iterator_traitsIS12_E10value_typeET2_T3_PNS13_IS18_E10value_typeET4_jRbjT5_S1E_jjP12ihipStream_tbEUljE_ZNSN_ISO_Lb1ESQ_SR_ST_SU_SY_EESZ_S10_S11_S12_S16_S17_S18_S1B_S1C_jS1D_jS1E_S1E_jjS1G_bEUljE0_EEESZ_S10_S11_S18_S1C_S1E_T6_T7_T9_mT8_S1G_bDpT10_ENKUlT_T0_E_clISt17integral_constantIbLb1EES1U_EEDaS1P_S1Q_EUlS1P_E_NS1_11comp_targetILNS1_3genE0ELNS1_11target_archE4294967295ELNS1_3gpuE0ELNS1_3repE0EEENS1_30default_config_static_selectorELNS0_4arch9wavefront6targetE0EEEvS12_.numbered_sgpr, 0
	.set _ZN7rocprim17ROCPRIM_400000_NS6detail17trampoline_kernelINS0_13select_configILj256ELj13ELNS0_17block_load_methodE3ELS4_3ELS4_3ELNS0_20block_scan_algorithmE0ELj4294967295EEENS1_25partition_config_selectorILNS1_17partition_subalgoE4EjNS0_10empty_typeEbEEZZNS1_14partition_implILS8_4ELb0ES6_15HIP_vector_typeIjLj2EENS0_17counting_iteratorIjlEEPS9_SG_NS0_5tupleIJPjSI_NS0_16reverse_iteratorISI_EEEEENSH_IJSG_SG_SG_EEES9_SI_JZNS1_25segmented_radix_sort_implINS0_14default_configELb1EPKbPbPKlPlN2at6native12_GLOBAL__N_18offset_tEEE10hipError_tPvRmT1_PNSt15iterator_traitsIS12_E10value_typeET2_T3_PNS13_IS18_E10value_typeET4_jRbjT5_S1E_jjP12ihipStream_tbEUljE_ZNSN_ISO_Lb1ESQ_SR_ST_SU_SY_EESZ_S10_S11_S12_S16_S17_S18_S1B_S1C_jS1D_jS1E_S1E_jjS1G_bEUljE0_EEESZ_S10_S11_S18_S1C_S1E_T6_T7_T9_mT8_S1G_bDpT10_ENKUlT_T0_E_clISt17integral_constantIbLb1EES1U_EEDaS1P_S1Q_EUlS1P_E_NS1_11comp_targetILNS1_3genE0ELNS1_11target_archE4294967295ELNS1_3gpuE0ELNS1_3repE0EEENS1_30default_config_static_selectorELNS0_4arch9wavefront6targetE0EEEvS12_.num_named_barrier, 0
	.set _ZN7rocprim17ROCPRIM_400000_NS6detail17trampoline_kernelINS0_13select_configILj256ELj13ELNS0_17block_load_methodE3ELS4_3ELS4_3ELNS0_20block_scan_algorithmE0ELj4294967295EEENS1_25partition_config_selectorILNS1_17partition_subalgoE4EjNS0_10empty_typeEbEEZZNS1_14partition_implILS8_4ELb0ES6_15HIP_vector_typeIjLj2EENS0_17counting_iteratorIjlEEPS9_SG_NS0_5tupleIJPjSI_NS0_16reverse_iteratorISI_EEEEENSH_IJSG_SG_SG_EEES9_SI_JZNS1_25segmented_radix_sort_implINS0_14default_configELb1EPKbPbPKlPlN2at6native12_GLOBAL__N_18offset_tEEE10hipError_tPvRmT1_PNSt15iterator_traitsIS12_E10value_typeET2_T3_PNS13_IS18_E10value_typeET4_jRbjT5_S1E_jjP12ihipStream_tbEUljE_ZNSN_ISO_Lb1ESQ_SR_ST_SU_SY_EESZ_S10_S11_S12_S16_S17_S18_S1B_S1C_jS1D_jS1E_S1E_jjS1G_bEUljE0_EEESZ_S10_S11_S18_S1C_S1E_T6_T7_T9_mT8_S1G_bDpT10_ENKUlT_T0_E_clISt17integral_constantIbLb1EES1U_EEDaS1P_S1Q_EUlS1P_E_NS1_11comp_targetILNS1_3genE0ELNS1_11target_archE4294967295ELNS1_3gpuE0ELNS1_3repE0EEENS1_30default_config_static_selectorELNS0_4arch9wavefront6targetE0EEEvS12_.private_seg_size, 0
	.set _ZN7rocprim17ROCPRIM_400000_NS6detail17trampoline_kernelINS0_13select_configILj256ELj13ELNS0_17block_load_methodE3ELS4_3ELS4_3ELNS0_20block_scan_algorithmE0ELj4294967295EEENS1_25partition_config_selectorILNS1_17partition_subalgoE4EjNS0_10empty_typeEbEEZZNS1_14partition_implILS8_4ELb0ES6_15HIP_vector_typeIjLj2EENS0_17counting_iteratorIjlEEPS9_SG_NS0_5tupleIJPjSI_NS0_16reverse_iteratorISI_EEEEENSH_IJSG_SG_SG_EEES9_SI_JZNS1_25segmented_radix_sort_implINS0_14default_configELb1EPKbPbPKlPlN2at6native12_GLOBAL__N_18offset_tEEE10hipError_tPvRmT1_PNSt15iterator_traitsIS12_E10value_typeET2_T3_PNS13_IS18_E10value_typeET4_jRbjT5_S1E_jjP12ihipStream_tbEUljE_ZNSN_ISO_Lb1ESQ_SR_ST_SU_SY_EESZ_S10_S11_S12_S16_S17_S18_S1B_S1C_jS1D_jS1E_S1E_jjS1G_bEUljE0_EEESZ_S10_S11_S18_S1C_S1E_T6_T7_T9_mT8_S1G_bDpT10_ENKUlT_T0_E_clISt17integral_constantIbLb1EES1U_EEDaS1P_S1Q_EUlS1P_E_NS1_11comp_targetILNS1_3genE0ELNS1_11target_archE4294967295ELNS1_3gpuE0ELNS1_3repE0EEENS1_30default_config_static_selectorELNS0_4arch9wavefront6targetE0EEEvS12_.uses_vcc, 0
	.set _ZN7rocprim17ROCPRIM_400000_NS6detail17trampoline_kernelINS0_13select_configILj256ELj13ELNS0_17block_load_methodE3ELS4_3ELS4_3ELNS0_20block_scan_algorithmE0ELj4294967295EEENS1_25partition_config_selectorILNS1_17partition_subalgoE4EjNS0_10empty_typeEbEEZZNS1_14partition_implILS8_4ELb0ES6_15HIP_vector_typeIjLj2EENS0_17counting_iteratorIjlEEPS9_SG_NS0_5tupleIJPjSI_NS0_16reverse_iteratorISI_EEEEENSH_IJSG_SG_SG_EEES9_SI_JZNS1_25segmented_radix_sort_implINS0_14default_configELb1EPKbPbPKlPlN2at6native12_GLOBAL__N_18offset_tEEE10hipError_tPvRmT1_PNSt15iterator_traitsIS12_E10value_typeET2_T3_PNS13_IS18_E10value_typeET4_jRbjT5_S1E_jjP12ihipStream_tbEUljE_ZNSN_ISO_Lb1ESQ_SR_ST_SU_SY_EESZ_S10_S11_S12_S16_S17_S18_S1B_S1C_jS1D_jS1E_S1E_jjS1G_bEUljE0_EEESZ_S10_S11_S18_S1C_S1E_T6_T7_T9_mT8_S1G_bDpT10_ENKUlT_T0_E_clISt17integral_constantIbLb1EES1U_EEDaS1P_S1Q_EUlS1P_E_NS1_11comp_targetILNS1_3genE0ELNS1_11target_archE4294967295ELNS1_3gpuE0ELNS1_3repE0EEENS1_30default_config_static_selectorELNS0_4arch9wavefront6targetE0EEEvS12_.uses_flat_scratch, 0
	.set _ZN7rocprim17ROCPRIM_400000_NS6detail17trampoline_kernelINS0_13select_configILj256ELj13ELNS0_17block_load_methodE3ELS4_3ELS4_3ELNS0_20block_scan_algorithmE0ELj4294967295EEENS1_25partition_config_selectorILNS1_17partition_subalgoE4EjNS0_10empty_typeEbEEZZNS1_14partition_implILS8_4ELb0ES6_15HIP_vector_typeIjLj2EENS0_17counting_iteratorIjlEEPS9_SG_NS0_5tupleIJPjSI_NS0_16reverse_iteratorISI_EEEEENSH_IJSG_SG_SG_EEES9_SI_JZNS1_25segmented_radix_sort_implINS0_14default_configELb1EPKbPbPKlPlN2at6native12_GLOBAL__N_18offset_tEEE10hipError_tPvRmT1_PNSt15iterator_traitsIS12_E10value_typeET2_T3_PNS13_IS18_E10value_typeET4_jRbjT5_S1E_jjP12ihipStream_tbEUljE_ZNSN_ISO_Lb1ESQ_SR_ST_SU_SY_EESZ_S10_S11_S12_S16_S17_S18_S1B_S1C_jS1D_jS1E_S1E_jjS1G_bEUljE0_EEESZ_S10_S11_S18_S1C_S1E_T6_T7_T9_mT8_S1G_bDpT10_ENKUlT_T0_E_clISt17integral_constantIbLb1EES1U_EEDaS1P_S1Q_EUlS1P_E_NS1_11comp_targetILNS1_3genE0ELNS1_11target_archE4294967295ELNS1_3gpuE0ELNS1_3repE0EEENS1_30default_config_static_selectorELNS0_4arch9wavefront6targetE0EEEvS12_.has_dyn_sized_stack, 0
	.set _ZN7rocprim17ROCPRIM_400000_NS6detail17trampoline_kernelINS0_13select_configILj256ELj13ELNS0_17block_load_methodE3ELS4_3ELS4_3ELNS0_20block_scan_algorithmE0ELj4294967295EEENS1_25partition_config_selectorILNS1_17partition_subalgoE4EjNS0_10empty_typeEbEEZZNS1_14partition_implILS8_4ELb0ES6_15HIP_vector_typeIjLj2EENS0_17counting_iteratorIjlEEPS9_SG_NS0_5tupleIJPjSI_NS0_16reverse_iteratorISI_EEEEENSH_IJSG_SG_SG_EEES9_SI_JZNS1_25segmented_radix_sort_implINS0_14default_configELb1EPKbPbPKlPlN2at6native12_GLOBAL__N_18offset_tEEE10hipError_tPvRmT1_PNSt15iterator_traitsIS12_E10value_typeET2_T3_PNS13_IS18_E10value_typeET4_jRbjT5_S1E_jjP12ihipStream_tbEUljE_ZNSN_ISO_Lb1ESQ_SR_ST_SU_SY_EESZ_S10_S11_S12_S16_S17_S18_S1B_S1C_jS1D_jS1E_S1E_jjS1G_bEUljE0_EEESZ_S10_S11_S18_S1C_S1E_T6_T7_T9_mT8_S1G_bDpT10_ENKUlT_T0_E_clISt17integral_constantIbLb1EES1U_EEDaS1P_S1Q_EUlS1P_E_NS1_11comp_targetILNS1_3genE0ELNS1_11target_archE4294967295ELNS1_3gpuE0ELNS1_3repE0EEENS1_30default_config_static_selectorELNS0_4arch9wavefront6targetE0EEEvS12_.has_recursion, 0
	.set _ZN7rocprim17ROCPRIM_400000_NS6detail17trampoline_kernelINS0_13select_configILj256ELj13ELNS0_17block_load_methodE3ELS4_3ELS4_3ELNS0_20block_scan_algorithmE0ELj4294967295EEENS1_25partition_config_selectorILNS1_17partition_subalgoE4EjNS0_10empty_typeEbEEZZNS1_14partition_implILS8_4ELb0ES6_15HIP_vector_typeIjLj2EENS0_17counting_iteratorIjlEEPS9_SG_NS0_5tupleIJPjSI_NS0_16reverse_iteratorISI_EEEEENSH_IJSG_SG_SG_EEES9_SI_JZNS1_25segmented_radix_sort_implINS0_14default_configELb1EPKbPbPKlPlN2at6native12_GLOBAL__N_18offset_tEEE10hipError_tPvRmT1_PNSt15iterator_traitsIS12_E10value_typeET2_T3_PNS13_IS18_E10value_typeET4_jRbjT5_S1E_jjP12ihipStream_tbEUljE_ZNSN_ISO_Lb1ESQ_SR_ST_SU_SY_EESZ_S10_S11_S12_S16_S17_S18_S1B_S1C_jS1D_jS1E_S1E_jjS1G_bEUljE0_EEESZ_S10_S11_S18_S1C_S1E_T6_T7_T9_mT8_S1G_bDpT10_ENKUlT_T0_E_clISt17integral_constantIbLb1EES1U_EEDaS1P_S1Q_EUlS1P_E_NS1_11comp_targetILNS1_3genE0ELNS1_11target_archE4294967295ELNS1_3gpuE0ELNS1_3repE0EEENS1_30default_config_static_selectorELNS0_4arch9wavefront6targetE0EEEvS12_.has_indirect_call, 0
	.section	.AMDGPU.csdata,"",@progbits
; Kernel info:
; codeLenInByte = 0
; TotalNumSgprs: 0
; NumVgprs: 0
; ScratchSize: 0
; MemoryBound: 0
; FloatMode: 240
; IeeeMode: 1
; LDSByteSize: 0 bytes/workgroup (compile time only)
; SGPRBlocks: 0
; VGPRBlocks: 0
; NumSGPRsForWavesPerEU: 1
; NumVGPRsForWavesPerEU: 1
; Occupancy: 16
; WaveLimiterHint : 0
; COMPUTE_PGM_RSRC2:SCRATCH_EN: 0
; COMPUTE_PGM_RSRC2:USER_SGPR: 2
; COMPUTE_PGM_RSRC2:TRAP_HANDLER: 0
; COMPUTE_PGM_RSRC2:TGID_X_EN: 1
; COMPUTE_PGM_RSRC2:TGID_Y_EN: 0
; COMPUTE_PGM_RSRC2:TGID_Z_EN: 0
; COMPUTE_PGM_RSRC2:TIDIG_COMP_CNT: 0
	.section	.text._ZN7rocprim17ROCPRIM_400000_NS6detail17trampoline_kernelINS0_13select_configILj256ELj13ELNS0_17block_load_methodE3ELS4_3ELS4_3ELNS0_20block_scan_algorithmE0ELj4294967295EEENS1_25partition_config_selectorILNS1_17partition_subalgoE4EjNS0_10empty_typeEbEEZZNS1_14partition_implILS8_4ELb0ES6_15HIP_vector_typeIjLj2EENS0_17counting_iteratorIjlEEPS9_SG_NS0_5tupleIJPjSI_NS0_16reverse_iteratorISI_EEEEENSH_IJSG_SG_SG_EEES9_SI_JZNS1_25segmented_radix_sort_implINS0_14default_configELb1EPKbPbPKlPlN2at6native12_GLOBAL__N_18offset_tEEE10hipError_tPvRmT1_PNSt15iterator_traitsIS12_E10value_typeET2_T3_PNS13_IS18_E10value_typeET4_jRbjT5_S1E_jjP12ihipStream_tbEUljE_ZNSN_ISO_Lb1ESQ_SR_ST_SU_SY_EESZ_S10_S11_S12_S16_S17_S18_S1B_S1C_jS1D_jS1E_S1E_jjS1G_bEUljE0_EEESZ_S10_S11_S18_S1C_S1E_T6_T7_T9_mT8_S1G_bDpT10_ENKUlT_T0_E_clISt17integral_constantIbLb1EES1U_EEDaS1P_S1Q_EUlS1P_E_NS1_11comp_targetILNS1_3genE5ELNS1_11target_archE942ELNS1_3gpuE9ELNS1_3repE0EEENS1_30default_config_static_selectorELNS0_4arch9wavefront6targetE0EEEvS12_,"axG",@progbits,_ZN7rocprim17ROCPRIM_400000_NS6detail17trampoline_kernelINS0_13select_configILj256ELj13ELNS0_17block_load_methodE3ELS4_3ELS4_3ELNS0_20block_scan_algorithmE0ELj4294967295EEENS1_25partition_config_selectorILNS1_17partition_subalgoE4EjNS0_10empty_typeEbEEZZNS1_14partition_implILS8_4ELb0ES6_15HIP_vector_typeIjLj2EENS0_17counting_iteratorIjlEEPS9_SG_NS0_5tupleIJPjSI_NS0_16reverse_iteratorISI_EEEEENSH_IJSG_SG_SG_EEES9_SI_JZNS1_25segmented_radix_sort_implINS0_14default_configELb1EPKbPbPKlPlN2at6native12_GLOBAL__N_18offset_tEEE10hipError_tPvRmT1_PNSt15iterator_traitsIS12_E10value_typeET2_T3_PNS13_IS18_E10value_typeET4_jRbjT5_S1E_jjP12ihipStream_tbEUljE_ZNSN_ISO_Lb1ESQ_SR_ST_SU_SY_EESZ_S10_S11_S12_S16_S17_S18_S1B_S1C_jS1D_jS1E_S1E_jjS1G_bEUljE0_EEESZ_S10_S11_S18_S1C_S1E_T6_T7_T9_mT8_S1G_bDpT10_ENKUlT_T0_E_clISt17integral_constantIbLb1EES1U_EEDaS1P_S1Q_EUlS1P_E_NS1_11comp_targetILNS1_3genE5ELNS1_11target_archE942ELNS1_3gpuE9ELNS1_3repE0EEENS1_30default_config_static_selectorELNS0_4arch9wavefront6targetE0EEEvS12_,comdat
	.globl	_ZN7rocprim17ROCPRIM_400000_NS6detail17trampoline_kernelINS0_13select_configILj256ELj13ELNS0_17block_load_methodE3ELS4_3ELS4_3ELNS0_20block_scan_algorithmE0ELj4294967295EEENS1_25partition_config_selectorILNS1_17partition_subalgoE4EjNS0_10empty_typeEbEEZZNS1_14partition_implILS8_4ELb0ES6_15HIP_vector_typeIjLj2EENS0_17counting_iteratorIjlEEPS9_SG_NS0_5tupleIJPjSI_NS0_16reverse_iteratorISI_EEEEENSH_IJSG_SG_SG_EEES9_SI_JZNS1_25segmented_radix_sort_implINS0_14default_configELb1EPKbPbPKlPlN2at6native12_GLOBAL__N_18offset_tEEE10hipError_tPvRmT1_PNSt15iterator_traitsIS12_E10value_typeET2_T3_PNS13_IS18_E10value_typeET4_jRbjT5_S1E_jjP12ihipStream_tbEUljE_ZNSN_ISO_Lb1ESQ_SR_ST_SU_SY_EESZ_S10_S11_S12_S16_S17_S18_S1B_S1C_jS1D_jS1E_S1E_jjS1G_bEUljE0_EEESZ_S10_S11_S18_S1C_S1E_T6_T7_T9_mT8_S1G_bDpT10_ENKUlT_T0_E_clISt17integral_constantIbLb1EES1U_EEDaS1P_S1Q_EUlS1P_E_NS1_11comp_targetILNS1_3genE5ELNS1_11target_archE942ELNS1_3gpuE9ELNS1_3repE0EEENS1_30default_config_static_selectorELNS0_4arch9wavefront6targetE0EEEvS12_ ; -- Begin function _ZN7rocprim17ROCPRIM_400000_NS6detail17trampoline_kernelINS0_13select_configILj256ELj13ELNS0_17block_load_methodE3ELS4_3ELS4_3ELNS0_20block_scan_algorithmE0ELj4294967295EEENS1_25partition_config_selectorILNS1_17partition_subalgoE4EjNS0_10empty_typeEbEEZZNS1_14partition_implILS8_4ELb0ES6_15HIP_vector_typeIjLj2EENS0_17counting_iteratorIjlEEPS9_SG_NS0_5tupleIJPjSI_NS0_16reverse_iteratorISI_EEEEENSH_IJSG_SG_SG_EEES9_SI_JZNS1_25segmented_radix_sort_implINS0_14default_configELb1EPKbPbPKlPlN2at6native12_GLOBAL__N_18offset_tEEE10hipError_tPvRmT1_PNSt15iterator_traitsIS12_E10value_typeET2_T3_PNS13_IS18_E10value_typeET4_jRbjT5_S1E_jjP12ihipStream_tbEUljE_ZNSN_ISO_Lb1ESQ_SR_ST_SU_SY_EESZ_S10_S11_S12_S16_S17_S18_S1B_S1C_jS1D_jS1E_S1E_jjS1G_bEUljE0_EEESZ_S10_S11_S18_S1C_S1E_T6_T7_T9_mT8_S1G_bDpT10_ENKUlT_T0_E_clISt17integral_constantIbLb1EES1U_EEDaS1P_S1Q_EUlS1P_E_NS1_11comp_targetILNS1_3genE5ELNS1_11target_archE942ELNS1_3gpuE9ELNS1_3repE0EEENS1_30default_config_static_selectorELNS0_4arch9wavefront6targetE0EEEvS12_
	.p2align	8
	.type	_ZN7rocprim17ROCPRIM_400000_NS6detail17trampoline_kernelINS0_13select_configILj256ELj13ELNS0_17block_load_methodE3ELS4_3ELS4_3ELNS0_20block_scan_algorithmE0ELj4294967295EEENS1_25partition_config_selectorILNS1_17partition_subalgoE4EjNS0_10empty_typeEbEEZZNS1_14partition_implILS8_4ELb0ES6_15HIP_vector_typeIjLj2EENS0_17counting_iteratorIjlEEPS9_SG_NS0_5tupleIJPjSI_NS0_16reverse_iteratorISI_EEEEENSH_IJSG_SG_SG_EEES9_SI_JZNS1_25segmented_radix_sort_implINS0_14default_configELb1EPKbPbPKlPlN2at6native12_GLOBAL__N_18offset_tEEE10hipError_tPvRmT1_PNSt15iterator_traitsIS12_E10value_typeET2_T3_PNS13_IS18_E10value_typeET4_jRbjT5_S1E_jjP12ihipStream_tbEUljE_ZNSN_ISO_Lb1ESQ_SR_ST_SU_SY_EESZ_S10_S11_S12_S16_S17_S18_S1B_S1C_jS1D_jS1E_S1E_jjS1G_bEUljE0_EEESZ_S10_S11_S18_S1C_S1E_T6_T7_T9_mT8_S1G_bDpT10_ENKUlT_T0_E_clISt17integral_constantIbLb1EES1U_EEDaS1P_S1Q_EUlS1P_E_NS1_11comp_targetILNS1_3genE5ELNS1_11target_archE942ELNS1_3gpuE9ELNS1_3repE0EEENS1_30default_config_static_selectorELNS0_4arch9wavefront6targetE0EEEvS12_,@function
_ZN7rocprim17ROCPRIM_400000_NS6detail17trampoline_kernelINS0_13select_configILj256ELj13ELNS0_17block_load_methodE3ELS4_3ELS4_3ELNS0_20block_scan_algorithmE0ELj4294967295EEENS1_25partition_config_selectorILNS1_17partition_subalgoE4EjNS0_10empty_typeEbEEZZNS1_14partition_implILS8_4ELb0ES6_15HIP_vector_typeIjLj2EENS0_17counting_iteratorIjlEEPS9_SG_NS0_5tupleIJPjSI_NS0_16reverse_iteratorISI_EEEEENSH_IJSG_SG_SG_EEES9_SI_JZNS1_25segmented_radix_sort_implINS0_14default_configELb1EPKbPbPKlPlN2at6native12_GLOBAL__N_18offset_tEEE10hipError_tPvRmT1_PNSt15iterator_traitsIS12_E10value_typeET2_T3_PNS13_IS18_E10value_typeET4_jRbjT5_S1E_jjP12ihipStream_tbEUljE_ZNSN_ISO_Lb1ESQ_SR_ST_SU_SY_EESZ_S10_S11_S12_S16_S17_S18_S1B_S1C_jS1D_jS1E_S1E_jjS1G_bEUljE0_EEESZ_S10_S11_S18_S1C_S1E_T6_T7_T9_mT8_S1G_bDpT10_ENKUlT_T0_E_clISt17integral_constantIbLb1EES1U_EEDaS1P_S1Q_EUlS1P_E_NS1_11comp_targetILNS1_3genE5ELNS1_11target_archE942ELNS1_3gpuE9ELNS1_3repE0EEENS1_30default_config_static_selectorELNS0_4arch9wavefront6targetE0EEEvS12_: ; @_ZN7rocprim17ROCPRIM_400000_NS6detail17trampoline_kernelINS0_13select_configILj256ELj13ELNS0_17block_load_methodE3ELS4_3ELS4_3ELNS0_20block_scan_algorithmE0ELj4294967295EEENS1_25partition_config_selectorILNS1_17partition_subalgoE4EjNS0_10empty_typeEbEEZZNS1_14partition_implILS8_4ELb0ES6_15HIP_vector_typeIjLj2EENS0_17counting_iteratorIjlEEPS9_SG_NS0_5tupleIJPjSI_NS0_16reverse_iteratorISI_EEEEENSH_IJSG_SG_SG_EEES9_SI_JZNS1_25segmented_radix_sort_implINS0_14default_configELb1EPKbPbPKlPlN2at6native12_GLOBAL__N_18offset_tEEE10hipError_tPvRmT1_PNSt15iterator_traitsIS12_E10value_typeET2_T3_PNS13_IS18_E10value_typeET4_jRbjT5_S1E_jjP12ihipStream_tbEUljE_ZNSN_ISO_Lb1ESQ_SR_ST_SU_SY_EESZ_S10_S11_S12_S16_S17_S18_S1B_S1C_jS1D_jS1E_S1E_jjS1G_bEUljE0_EEESZ_S10_S11_S18_S1C_S1E_T6_T7_T9_mT8_S1G_bDpT10_ENKUlT_T0_E_clISt17integral_constantIbLb1EES1U_EEDaS1P_S1Q_EUlS1P_E_NS1_11comp_targetILNS1_3genE5ELNS1_11target_archE942ELNS1_3gpuE9ELNS1_3repE0EEENS1_30default_config_static_selectorELNS0_4arch9wavefront6targetE0EEEvS12_
; %bb.0:
	.section	.rodata,"a",@progbits
	.p2align	6, 0x0
	.amdhsa_kernel _ZN7rocprim17ROCPRIM_400000_NS6detail17trampoline_kernelINS0_13select_configILj256ELj13ELNS0_17block_load_methodE3ELS4_3ELS4_3ELNS0_20block_scan_algorithmE0ELj4294967295EEENS1_25partition_config_selectorILNS1_17partition_subalgoE4EjNS0_10empty_typeEbEEZZNS1_14partition_implILS8_4ELb0ES6_15HIP_vector_typeIjLj2EENS0_17counting_iteratorIjlEEPS9_SG_NS0_5tupleIJPjSI_NS0_16reverse_iteratorISI_EEEEENSH_IJSG_SG_SG_EEES9_SI_JZNS1_25segmented_radix_sort_implINS0_14default_configELb1EPKbPbPKlPlN2at6native12_GLOBAL__N_18offset_tEEE10hipError_tPvRmT1_PNSt15iterator_traitsIS12_E10value_typeET2_T3_PNS13_IS18_E10value_typeET4_jRbjT5_S1E_jjP12ihipStream_tbEUljE_ZNSN_ISO_Lb1ESQ_SR_ST_SU_SY_EESZ_S10_S11_S12_S16_S17_S18_S1B_S1C_jS1D_jS1E_S1E_jjS1G_bEUljE0_EEESZ_S10_S11_S18_S1C_S1E_T6_T7_T9_mT8_S1G_bDpT10_ENKUlT_T0_E_clISt17integral_constantIbLb1EES1U_EEDaS1P_S1Q_EUlS1P_E_NS1_11comp_targetILNS1_3genE5ELNS1_11target_archE942ELNS1_3gpuE9ELNS1_3repE0EEENS1_30default_config_static_selectorELNS0_4arch9wavefront6targetE0EEEvS12_
		.amdhsa_group_segment_fixed_size 0
		.amdhsa_private_segment_fixed_size 0
		.amdhsa_kernarg_size 184
		.amdhsa_user_sgpr_count 2
		.amdhsa_user_sgpr_dispatch_ptr 0
		.amdhsa_user_sgpr_queue_ptr 0
		.amdhsa_user_sgpr_kernarg_segment_ptr 1
		.amdhsa_user_sgpr_dispatch_id 0
		.amdhsa_user_sgpr_private_segment_size 0
		.amdhsa_wavefront_size32 1
		.amdhsa_uses_dynamic_stack 0
		.amdhsa_enable_private_segment 0
		.amdhsa_system_sgpr_workgroup_id_x 1
		.amdhsa_system_sgpr_workgroup_id_y 0
		.amdhsa_system_sgpr_workgroup_id_z 0
		.amdhsa_system_sgpr_workgroup_info 0
		.amdhsa_system_vgpr_workitem_id 0
		.amdhsa_next_free_vgpr 1
		.amdhsa_next_free_sgpr 1
		.amdhsa_reserve_vcc 0
		.amdhsa_float_round_mode_32 0
		.amdhsa_float_round_mode_16_64 0
		.amdhsa_float_denorm_mode_32 3
		.amdhsa_float_denorm_mode_16_64 3
		.amdhsa_fp16_overflow 0
		.amdhsa_workgroup_processor_mode 1
		.amdhsa_memory_ordered 1
		.amdhsa_forward_progress 1
		.amdhsa_inst_pref_size 0
		.amdhsa_round_robin_scheduling 0
		.amdhsa_exception_fp_ieee_invalid_op 0
		.amdhsa_exception_fp_denorm_src 0
		.amdhsa_exception_fp_ieee_div_zero 0
		.amdhsa_exception_fp_ieee_overflow 0
		.amdhsa_exception_fp_ieee_underflow 0
		.amdhsa_exception_fp_ieee_inexact 0
		.amdhsa_exception_int_div_zero 0
	.end_amdhsa_kernel
	.section	.text._ZN7rocprim17ROCPRIM_400000_NS6detail17trampoline_kernelINS0_13select_configILj256ELj13ELNS0_17block_load_methodE3ELS4_3ELS4_3ELNS0_20block_scan_algorithmE0ELj4294967295EEENS1_25partition_config_selectorILNS1_17partition_subalgoE4EjNS0_10empty_typeEbEEZZNS1_14partition_implILS8_4ELb0ES6_15HIP_vector_typeIjLj2EENS0_17counting_iteratorIjlEEPS9_SG_NS0_5tupleIJPjSI_NS0_16reverse_iteratorISI_EEEEENSH_IJSG_SG_SG_EEES9_SI_JZNS1_25segmented_radix_sort_implINS0_14default_configELb1EPKbPbPKlPlN2at6native12_GLOBAL__N_18offset_tEEE10hipError_tPvRmT1_PNSt15iterator_traitsIS12_E10value_typeET2_T3_PNS13_IS18_E10value_typeET4_jRbjT5_S1E_jjP12ihipStream_tbEUljE_ZNSN_ISO_Lb1ESQ_SR_ST_SU_SY_EESZ_S10_S11_S12_S16_S17_S18_S1B_S1C_jS1D_jS1E_S1E_jjS1G_bEUljE0_EEESZ_S10_S11_S18_S1C_S1E_T6_T7_T9_mT8_S1G_bDpT10_ENKUlT_T0_E_clISt17integral_constantIbLb1EES1U_EEDaS1P_S1Q_EUlS1P_E_NS1_11comp_targetILNS1_3genE5ELNS1_11target_archE942ELNS1_3gpuE9ELNS1_3repE0EEENS1_30default_config_static_selectorELNS0_4arch9wavefront6targetE0EEEvS12_,"axG",@progbits,_ZN7rocprim17ROCPRIM_400000_NS6detail17trampoline_kernelINS0_13select_configILj256ELj13ELNS0_17block_load_methodE3ELS4_3ELS4_3ELNS0_20block_scan_algorithmE0ELj4294967295EEENS1_25partition_config_selectorILNS1_17partition_subalgoE4EjNS0_10empty_typeEbEEZZNS1_14partition_implILS8_4ELb0ES6_15HIP_vector_typeIjLj2EENS0_17counting_iteratorIjlEEPS9_SG_NS0_5tupleIJPjSI_NS0_16reverse_iteratorISI_EEEEENSH_IJSG_SG_SG_EEES9_SI_JZNS1_25segmented_radix_sort_implINS0_14default_configELb1EPKbPbPKlPlN2at6native12_GLOBAL__N_18offset_tEEE10hipError_tPvRmT1_PNSt15iterator_traitsIS12_E10value_typeET2_T3_PNS13_IS18_E10value_typeET4_jRbjT5_S1E_jjP12ihipStream_tbEUljE_ZNSN_ISO_Lb1ESQ_SR_ST_SU_SY_EESZ_S10_S11_S12_S16_S17_S18_S1B_S1C_jS1D_jS1E_S1E_jjS1G_bEUljE0_EEESZ_S10_S11_S18_S1C_S1E_T6_T7_T9_mT8_S1G_bDpT10_ENKUlT_T0_E_clISt17integral_constantIbLb1EES1U_EEDaS1P_S1Q_EUlS1P_E_NS1_11comp_targetILNS1_3genE5ELNS1_11target_archE942ELNS1_3gpuE9ELNS1_3repE0EEENS1_30default_config_static_selectorELNS0_4arch9wavefront6targetE0EEEvS12_,comdat
.Lfunc_end1477:
	.size	_ZN7rocprim17ROCPRIM_400000_NS6detail17trampoline_kernelINS0_13select_configILj256ELj13ELNS0_17block_load_methodE3ELS4_3ELS4_3ELNS0_20block_scan_algorithmE0ELj4294967295EEENS1_25partition_config_selectorILNS1_17partition_subalgoE4EjNS0_10empty_typeEbEEZZNS1_14partition_implILS8_4ELb0ES6_15HIP_vector_typeIjLj2EENS0_17counting_iteratorIjlEEPS9_SG_NS0_5tupleIJPjSI_NS0_16reverse_iteratorISI_EEEEENSH_IJSG_SG_SG_EEES9_SI_JZNS1_25segmented_radix_sort_implINS0_14default_configELb1EPKbPbPKlPlN2at6native12_GLOBAL__N_18offset_tEEE10hipError_tPvRmT1_PNSt15iterator_traitsIS12_E10value_typeET2_T3_PNS13_IS18_E10value_typeET4_jRbjT5_S1E_jjP12ihipStream_tbEUljE_ZNSN_ISO_Lb1ESQ_SR_ST_SU_SY_EESZ_S10_S11_S12_S16_S17_S18_S1B_S1C_jS1D_jS1E_S1E_jjS1G_bEUljE0_EEESZ_S10_S11_S18_S1C_S1E_T6_T7_T9_mT8_S1G_bDpT10_ENKUlT_T0_E_clISt17integral_constantIbLb1EES1U_EEDaS1P_S1Q_EUlS1P_E_NS1_11comp_targetILNS1_3genE5ELNS1_11target_archE942ELNS1_3gpuE9ELNS1_3repE0EEENS1_30default_config_static_selectorELNS0_4arch9wavefront6targetE0EEEvS12_, .Lfunc_end1477-_ZN7rocprim17ROCPRIM_400000_NS6detail17trampoline_kernelINS0_13select_configILj256ELj13ELNS0_17block_load_methodE3ELS4_3ELS4_3ELNS0_20block_scan_algorithmE0ELj4294967295EEENS1_25partition_config_selectorILNS1_17partition_subalgoE4EjNS0_10empty_typeEbEEZZNS1_14partition_implILS8_4ELb0ES6_15HIP_vector_typeIjLj2EENS0_17counting_iteratorIjlEEPS9_SG_NS0_5tupleIJPjSI_NS0_16reverse_iteratorISI_EEEEENSH_IJSG_SG_SG_EEES9_SI_JZNS1_25segmented_radix_sort_implINS0_14default_configELb1EPKbPbPKlPlN2at6native12_GLOBAL__N_18offset_tEEE10hipError_tPvRmT1_PNSt15iterator_traitsIS12_E10value_typeET2_T3_PNS13_IS18_E10value_typeET4_jRbjT5_S1E_jjP12ihipStream_tbEUljE_ZNSN_ISO_Lb1ESQ_SR_ST_SU_SY_EESZ_S10_S11_S12_S16_S17_S18_S1B_S1C_jS1D_jS1E_S1E_jjS1G_bEUljE0_EEESZ_S10_S11_S18_S1C_S1E_T6_T7_T9_mT8_S1G_bDpT10_ENKUlT_T0_E_clISt17integral_constantIbLb1EES1U_EEDaS1P_S1Q_EUlS1P_E_NS1_11comp_targetILNS1_3genE5ELNS1_11target_archE942ELNS1_3gpuE9ELNS1_3repE0EEENS1_30default_config_static_selectorELNS0_4arch9wavefront6targetE0EEEvS12_
                                        ; -- End function
	.set _ZN7rocprim17ROCPRIM_400000_NS6detail17trampoline_kernelINS0_13select_configILj256ELj13ELNS0_17block_load_methodE3ELS4_3ELS4_3ELNS0_20block_scan_algorithmE0ELj4294967295EEENS1_25partition_config_selectorILNS1_17partition_subalgoE4EjNS0_10empty_typeEbEEZZNS1_14partition_implILS8_4ELb0ES6_15HIP_vector_typeIjLj2EENS0_17counting_iteratorIjlEEPS9_SG_NS0_5tupleIJPjSI_NS0_16reverse_iteratorISI_EEEEENSH_IJSG_SG_SG_EEES9_SI_JZNS1_25segmented_radix_sort_implINS0_14default_configELb1EPKbPbPKlPlN2at6native12_GLOBAL__N_18offset_tEEE10hipError_tPvRmT1_PNSt15iterator_traitsIS12_E10value_typeET2_T3_PNS13_IS18_E10value_typeET4_jRbjT5_S1E_jjP12ihipStream_tbEUljE_ZNSN_ISO_Lb1ESQ_SR_ST_SU_SY_EESZ_S10_S11_S12_S16_S17_S18_S1B_S1C_jS1D_jS1E_S1E_jjS1G_bEUljE0_EEESZ_S10_S11_S18_S1C_S1E_T6_T7_T9_mT8_S1G_bDpT10_ENKUlT_T0_E_clISt17integral_constantIbLb1EES1U_EEDaS1P_S1Q_EUlS1P_E_NS1_11comp_targetILNS1_3genE5ELNS1_11target_archE942ELNS1_3gpuE9ELNS1_3repE0EEENS1_30default_config_static_selectorELNS0_4arch9wavefront6targetE0EEEvS12_.num_vgpr, 0
	.set _ZN7rocprim17ROCPRIM_400000_NS6detail17trampoline_kernelINS0_13select_configILj256ELj13ELNS0_17block_load_methodE3ELS4_3ELS4_3ELNS0_20block_scan_algorithmE0ELj4294967295EEENS1_25partition_config_selectorILNS1_17partition_subalgoE4EjNS0_10empty_typeEbEEZZNS1_14partition_implILS8_4ELb0ES6_15HIP_vector_typeIjLj2EENS0_17counting_iteratorIjlEEPS9_SG_NS0_5tupleIJPjSI_NS0_16reverse_iteratorISI_EEEEENSH_IJSG_SG_SG_EEES9_SI_JZNS1_25segmented_radix_sort_implINS0_14default_configELb1EPKbPbPKlPlN2at6native12_GLOBAL__N_18offset_tEEE10hipError_tPvRmT1_PNSt15iterator_traitsIS12_E10value_typeET2_T3_PNS13_IS18_E10value_typeET4_jRbjT5_S1E_jjP12ihipStream_tbEUljE_ZNSN_ISO_Lb1ESQ_SR_ST_SU_SY_EESZ_S10_S11_S12_S16_S17_S18_S1B_S1C_jS1D_jS1E_S1E_jjS1G_bEUljE0_EEESZ_S10_S11_S18_S1C_S1E_T6_T7_T9_mT8_S1G_bDpT10_ENKUlT_T0_E_clISt17integral_constantIbLb1EES1U_EEDaS1P_S1Q_EUlS1P_E_NS1_11comp_targetILNS1_3genE5ELNS1_11target_archE942ELNS1_3gpuE9ELNS1_3repE0EEENS1_30default_config_static_selectorELNS0_4arch9wavefront6targetE0EEEvS12_.num_agpr, 0
	.set _ZN7rocprim17ROCPRIM_400000_NS6detail17trampoline_kernelINS0_13select_configILj256ELj13ELNS0_17block_load_methodE3ELS4_3ELS4_3ELNS0_20block_scan_algorithmE0ELj4294967295EEENS1_25partition_config_selectorILNS1_17partition_subalgoE4EjNS0_10empty_typeEbEEZZNS1_14partition_implILS8_4ELb0ES6_15HIP_vector_typeIjLj2EENS0_17counting_iteratorIjlEEPS9_SG_NS0_5tupleIJPjSI_NS0_16reverse_iteratorISI_EEEEENSH_IJSG_SG_SG_EEES9_SI_JZNS1_25segmented_radix_sort_implINS0_14default_configELb1EPKbPbPKlPlN2at6native12_GLOBAL__N_18offset_tEEE10hipError_tPvRmT1_PNSt15iterator_traitsIS12_E10value_typeET2_T3_PNS13_IS18_E10value_typeET4_jRbjT5_S1E_jjP12ihipStream_tbEUljE_ZNSN_ISO_Lb1ESQ_SR_ST_SU_SY_EESZ_S10_S11_S12_S16_S17_S18_S1B_S1C_jS1D_jS1E_S1E_jjS1G_bEUljE0_EEESZ_S10_S11_S18_S1C_S1E_T6_T7_T9_mT8_S1G_bDpT10_ENKUlT_T0_E_clISt17integral_constantIbLb1EES1U_EEDaS1P_S1Q_EUlS1P_E_NS1_11comp_targetILNS1_3genE5ELNS1_11target_archE942ELNS1_3gpuE9ELNS1_3repE0EEENS1_30default_config_static_selectorELNS0_4arch9wavefront6targetE0EEEvS12_.numbered_sgpr, 0
	.set _ZN7rocprim17ROCPRIM_400000_NS6detail17trampoline_kernelINS0_13select_configILj256ELj13ELNS0_17block_load_methodE3ELS4_3ELS4_3ELNS0_20block_scan_algorithmE0ELj4294967295EEENS1_25partition_config_selectorILNS1_17partition_subalgoE4EjNS0_10empty_typeEbEEZZNS1_14partition_implILS8_4ELb0ES6_15HIP_vector_typeIjLj2EENS0_17counting_iteratorIjlEEPS9_SG_NS0_5tupleIJPjSI_NS0_16reverse_iteratorISI_EEEEENSH_IJSG_SG_SG_EEES9_SI_JZNS1_25segmented_radix_sort_implINS0_14default_configELb1EPKbPbPKlPlN2at6native12_GLOBAL__N_18offset_tEEE10hipError_tPvRmT1_PNSt15iterator_traitsIS12_E10value_typeET2_T3_PNS13_IS18_E10value_typeET4_jRbjT5_S1E_jjP12ihipStream_tbEUljE_ZNSN_ISO_Lb1ESQ_SR_ST_SU_SY_EESZ_S10_S11_S12_S16_S17_S18_S1B_S1C_jS1D_jS1E_S1E_jjS1G_bEUljE0_EEESZ_S10_S11_S18_S1C_S1E_T6_T7_T9_mT8_S1G_bDpT10_ENKUlT_T0_E_clISt17integral_constantIbLb1EES1U_EEDaS1P_S1Q_EUlS1P_E_NS1_11comp_targetILNS1_3genE5ELNS1_11target_archE942ELNS1_3gpuE9ELNS1_3repE0EEENS1_30default_config_static_selectorELNS0_4arch9wavefront6targetE0EEEvS12_.num_named_barrier, 0
	.set _ZN7rocprim17ROCPRIM_400000_NS6detail17trampoline_kernelINS0_13select_configILj256ELj13ELNS0_17block_load_methodE3ELS4_3ELS4_3ELNS0_20block_scan_algorithmE0ELj4294967295EEENS1_25partition_config_selectorILNS1_17partition_subalgoE4EjNS0_10empty_typeEbEEZZNS1_14partition_implILS8_4ELb0ES6_15HIP_vector_typeIjLj2EENS0_17counting_iteratorIjlEEPS9_SG_NS0_5tupleIJPjSI_NS0_16reverse_iteratorISI_EEEEENSH_IJSG_SG_SG_EEES9_SI_JZNS1_25segmented_radix_sort_implINS0_14default_configELb1EPKbPbPKlPlN2at6native12_GLOBAL__N_18offset_tEEE10hipError_tPvRmT1_PNSt15iterator_traitsIS12_E10value_typeET2_T3_PNS13_IS18_E10value_typeET4_jRbjT5_S1E_jjP12ihipStream_tbEUljE_ZNSN_ISO_Lb1ESQ_SR_ST_SU_SY_EESZ_S10_S11_S12_S16_S17_S18_S1B_S1C_jS1D_jS1E_S1E_jjS1G_bEUljE0_EEESZ_S10_S11_S18_S1C_S1E_T6_T7_T9_mT8_S1G_bDpT10_ENKUlT_T0_E_clISt17integral_constantIbLb1EES1U_EEDaS1P_S1Q_EUlS1P_E_NS1_11comp_targetILNS1_3genE5ELNS1_11target_archE942ELNS1_3gpuE9ELNS1_3repE0EEENS1_30default_config_static_selectorELNS0_4arch9wavefront6targetE0EEEvS12_.private_seg_size, 0
	.set _ZN7rocprim17ROCPRIM_400000_NS6detail17trampoline_kernelINS0_13select_configILj256ELj13ELNS0_17block_load_methodE3ELS4_3ELS4_3ELNS0_20block_scan_algorithmE0ELj4294967295EEENS1_25partition_config_selectorILNS1_17partition_subalgoE4EjNS0_10empty_typeEbEEZZNS1_14partition_implILS8_4ELb0ES6_15HIP_vector_typeIjLj2EENS0_17counting_iteratorIjlEEPS9_SG_NS0_5tupleIJPjSI_NS0_16reverse_iteratorISI_EEEEENSH_IJSG_SG_SG_EEES9_SI_JZNS1_25segmented_radix_sort_implINS0_14default_configELb1EPKbPbPKlPlN2at6native12_GLOBAL__N_18offset_tEEE10hipError_tPvRmT1_PNSt15iterator_traitsIS12_E10value_typeET2_T3_PNS13_IS18_E10value_typeET4_jRbjT5_S1E_jjP12ihipStream_tbEUljE_ZNSN_ISO_Lb1ESQ_SR_ST_SU_SY_EESZ_S10_S11_S12_S16_S17_S18_S1B_S1C_jS1D_jS1E_S1E_jjS1G_bEUljE0_EEESZ_S10_S11_S18_S1C_S1E_T6_T7_T9_mT8_S1G_bDpT10_ENKUlT_T0_E_clISt17integral_constantIbLb1EES1U_EEDaS1P_S1Q_EUlS1P_E_NS1_11comp_targetILNS1_3genE5ELNS1_11target_archE942ELNS1_3gpuE9ELNS1_3repE0EEENS1_30default_config_static_selectorELNS0_4arch9wavefront6targetE0EEEvS12_.uses_vcc, 0
	.set _ZN7rocprim17ROCPRIM_400000_NS6detail17trampoline_kernelINS0_13select_configILj256ELj13ELNS0_17block_load_methodE3ELS4_3ELS4_3ELNS0_20block_scan_algorithmE0ELj4294967295EEENS1_25partition_config_selectorILNS1_17partition_subalgoE4EjNS0_10empty_typeEbEEZZNS1_14partition_implILS8_4ELb0ES6_15HIP_vector_typeIjLj2EENS0_17counting_iteratorIjlEEPS9_SG_NS0_5tupleIJPjSI_NS0_16reverse_iteratorISI_EEEEENSH_IJSG_SG_SG_EEES9_SI_JZNS1_25segmented_radix_sort_implINS0_14default_configELb1EPKbPbPKlPlN2at6native12_GLOBAL__N_18offset_tEEE10hipError_tPvRmT1_PNSt15iterator_traitsIS12_E10value_typeET2_T3_PNS13_IS18_E10value_typeET4_jRbjT5_S1E_jjP12ihipStream_tbEUljE_ZNSN_ISO_Lb1ESQ_SR_ST_SU_SY_EESZ_S10_S11_S12_S16_S17_S18_S1B_S1C_jS1D_jS1E_S1E_jjS1G_bEUljE0_EEESZ_S10_S11_S18_S1C_S1E_T6_T7_T9_mT8_S1G_bDpT10_ENKUlT_T0_E_clISt17integral_constantIbLb1EES1U_EEDaS1P_S1Q_EUlS1P_E_NS1_11comp_targetILNS1_3genE5ELNS1_11target_archE942ELNS1_3gpuE9ELNS1_3repE0EEENS1_30default_config_static_selectorELNS0_4arch9wavefront6targetE0EEEvS12_.uses_flat_scratch, 0
	.set _ZN7rocprim17ROCPRIM_400000_NS6detail17trampoline_kernelINS0_13select_configILj256ELj13ELNS0_17block_load_methodE3ELS4_3ELS4_3ELNS0_20block_scan_algorithmE0ELj4294967295EEENS1_25partition_config_selectorILNS1_17partition_subalgoE4EjNS0_10empty_typeEbEEZZNS1_14partition_implILS8_4ELb0ES6_15HIP_vector_typeIjLj2EENS0_17counting_iteratorIjlEEPS9_SG_NS0_5tupleIJPjSI_NS0_16reverse_iteratorISI_EEEEENSH_IJSG_SG_SG_EEES9_SI_JZNS1_25segmented_radix_sort_implINS0_14default_configELb1EPKbPbPKlPlN2at6native12_GLOBAL__N_18offset_tEEE10hipError_tPvRmT1_PNSt15iterator_traitsIS12_E10value_typeET2_T3_PNS13_IS18_E10value_typeET4_jRbjT5_S1E_jjP12ihipStream_tbEUljE_ZNSN_ISO_Lb1ESQ_SR_ST_SU_SY_EESZ_S10_S11_S12_S16_S17_S18_S1B_S1C_jS1D_jS1E_S1E_jjS1G_bEUljE0_EEESZ_S10_S11_S18_S1C_S1E_T6_T7_T9_mT8_S1G_bDpT10_ENKUlT_T0_E_clISt17integral_constantIbLb1EES1U_EEDaS1P_S1Q_EUlS1P_E_NS1_11comp_targetILNS1_3genE5ELNS1_11target_archE942ELNS1_3gpuE9ELNS1_3repE0EEENS1_30default_config_static_selectorELNS0_4arch9wavefront6targetE0EEEvS12_.has_dyn_sized_stack, 0
	.set _ZN7rocprim17ROCPRIM_400000_NS6detail17trampoline_kernelINS0_13select_configILj256ELj13ELNS0_17block_load_methodE3ELS4_3ELS4_3ELNS0_20block_scan_algorithmE0ELj4294967295EEENS1_25partition_config_selectorILNS1_17partition_subalgoE4EjNS0_10empty_typeEbEEZZNS1_14partition_implILS8_4ELb0ES6_15HIP_vector_typeIjLj2EENS0_17counting_iteratorIjlEEPS9_SG_NS0_5tupleIJPjSI_NS0_16reverse_iteratorISI_EEEEENSH_IJSG_SG_SG_EEES9_SI_JZNS1_25segmented_radix_sort_implINS0_14default_configELb1EPKbPbPKlPlN2at6native12_GLOBAL__N_18offset_tEEE10hipError_tPvRmT1_PNSt15iterator_traitsIS12_E10value_typeET2_T3_PNS13_IS18_E10value_typeET4_jRbjT5_S1E_jjP12ihipStream_tbEUljE_ZNSN_ISO_Lb1ESQ_SR_ST_SU_SY_EESZ_S10_S11_S12_S16_S17_S18_S1B_S1C_jS1D_jS1E_S1E_jjS1G_bEUljE0_EEESZ_S10_S11_S18_S1C_S1E_T6_T7_T9_mT8_S1G_bDpT10_ENKUlT_T0_E_clISt17integral_constantIbLb1EES1U_EEDaS1P_S1Q_EUlS1P_E_NS1_11comp_targetILNS1_3genE5ELNS1_11target_archE942ELNS1_3gpuE9ELNS1_3repE0EEENS1_30default_config_static_selectorELNS0_4arch9wavefront6targetE0EEEvS12_.has_recursion, 0
	.set _ZN7rocprim17ROCPRIM_400000_NS6detail17trampoline_kernelINS0_13select_configILj256ELj13ELNS0_17block_load_methodE3ELS4_3ELS4_3ELNS0_20block_scan_algorithmE0ELj4294967295EEENS1_25partition_config_selectorILNS1_17partition_subalgoE4EjNS0_10empty_typeEbEEZZNS1_14partition_implILS8_4ELb0ES6_15HIP_vector_typeIjLj2EENS0_17counting_iteratorIjlEEPS9_SG_NS0_5tupleIJPjSI_NS0_16reverse_iteratorISI_EEEEENSH_IJSG_SG_SG_EEES9_SI_JZNS1_25segmented_radix_sort_implINS0_14default_configELb1EPKbPbPKlPlN2at6native12_GLOBAL__N_18offset_tEEE10hipError_tPvRmT1_PNSt15iterator_traitsIS12_E10value_typeET2_T3_PNS13_IS18_E10value_typeET4_jRbjT5_S1E_jjP12ihipStream_tbEUljE_ZNSN_ISO_Lb1ESQ_SR_ST_SU_SY_EESZ_S10_S11_S12_S16_S17_S18_S1B_S1C_jS1D_jS1E_S1E_jjS1G_bEUljE0_EEESZ_S10_S11_S18_S1C_S1E_T6_T7_T9_mT8_S1G_bDpT10_ENKUlT_T0_E_clISt17integral_constantIbLb1EES1U_EEDaS1P_S1Q_EUlS1P_E_NS1_11comp_targetILNS1_3genE5ELNS1_11target_archE942ELNS1_3gpuE9ELNS1_3repE0EEENS1_30default_config_static_selectorELNS0_4arch9wavefront6targetE0EEEvS12_.has_indirect_call, 0
	.section	.AMDGPU.csdata,"",@progbits
; Kernel info:
; codeLenInByte = 0
; TotalNumSgprs: 0
; NumVgprs: 0
; ScratchSize: 0
; MemoryBound: 0
; FloatMode: 240
; IeeeMode: 1
; LDSByteSize: 0 bytes/workgroup (compile time only)
; SGPRBlocks: 0
; VGPRBlocks: 0
; NumSGPRsForWavesPerEU: 1
; NumVGPRsForWavesPerEU: 1
; Occupancy: 16
; WaveLimiterHint : 0
; COMPUTE_PGM_RSRC2:SCRATCH_EN: 0
; COMPUTE_PGM_RSRC2:USER_SGPR: 2
; COMPUTE_PGM_RSRC2:TRAP_HANDLER: 0
; COMPUTE_PGM_RSRC2:TGID_X_EN: 1
; COMPUTE_PGM_RSRC2:TGID_Y_EN: 0
; COMPUTE_PGM_RSRC2:TGID_Z_EN: 0
; COMPUTE_PGM_RSRC2:TIDIG_COMP_CNT: 0
	.section	.text._ZN7rocprim17ROCPRIM_400000_NS6detail17trampoline_kernelINS0_13select_configILj256ELj13ELNS0_17block_load_methodE3ELS4_3ELS4_3ELNS0_20block_scan_algorithmE0ELj4294967295EEENS1_25partition_config_selectorILNS1_17partition_subalgoE4EjNS0_10empty_typeEbEEZZNS1_14partition_implILS8_4ELb0ES6_15HIP_vector_typeIjLj2EENS0_17counting_iteratorIjlEEPS9_SG_NS0_5tupleIJPjSI_NS0_16reverse_iteratorISI_EEEEENSH_IJSG_SG_SG_EEES9_SI_JZNS1_25segmented_radix_sort_implINS0_14default_configELb1EPKbPbPKlPlN2at6native12_GLOBAL__N_18offset_tEEE10hipError_tPvRmT1_PNSt15iterator_traitsIS12_E10value_typeET2_T3_PNS13_IS18_E10value_typeET4_jRbjT5_S1E_jjP12ihipStream_tbEUljE_ZNSN_ISO_Lb1ESQ_SR_ST_SU_SY_EESZ_S10_S11_S12_S16_S17_S18_S1B_S1C_jS1D_jS1E_S1E_jjS1G_bEUljE0_EEESZ_S10_S11_S18_S1C_S1E_T6_T7_T9_mT8_S1G_bDpT10_ENKUlT_T0_E_clISt17integral_constantIbLb1EES1U_EEDaS1P_S1Q_EUlS1P_E_NS1_11comp_targetILNS1_3genE4ELNS1_11target_archE910ELNS1_3gpuE8ELNS1_3repE0EEENS1_30default_config_static_selectorELNS0_4arch9wavefront6targetE0EEEvS12_,"axG",@progbits,_ZN7rocprim17ROCPRIM_400000_NS6detail17trampoline_kernelINS0_13select_configILj256ELj13ELNS0_17block_load_methodE3ELS4_3ELS4_3ELNS0_20block_scan_algorithmE0ELj4294967295EEENS1_25partition_config_selectorILNS1_17partition_subalgoE4EjNS0_10empty_typeEbEEZZNS1_14partition_implILS8_4ELb0ES6_15HIP_vector_typeIjLj2EENS0_17counting_iteratorIjlEEPS9_SG_NS0_5tupleIJPjSI_NS0_16reverse_iteratorISI_EEEEENSH_IJSG_SG_SG_EEES9_SI_JZNS1_25segmented_radix_sort_implINS0_14default_configELb1EPKbPbPKlPlN2at6native12_GLOBAL__N_18offset_tEEE10hipError_tPvRmT1_PNSt15iterator_traitsIS12_E10value_typeET2_T3_PNS13_IS18_E10value_typeET4_jRbjT5_S1E_jjP12ihipStream_tbEUljE_ZNSN_ISO_Lb1ESQ_SR_ST_SU_SY_EESZ_S10_S11_S12_S16_S17_S18_S1B_S1C_jS1D_jS1E_S1E_jjS1G_bEUljE0_EEESZ_S10_S11_S18_S1C_S1E_T6_T7_T9_mT8_S1G_bDpT10_ENKUlT_T0_E_clISt17integral_constantIbLb1EES1U_EEDaS1P_S1Q_EUlS1P_E_NS1_11comp_targetILNS1_3genE4ELNS1_11target_archE910ELNS1_3gpuE8ELNS1_3repE0EEENS1_30default_config_static_selectorELNS0_4arch9wavefront6targetE0EEEvS12_,comdat
	.globl	_ZN7rocprim17ROCPRIM_400000_NS6detail17trampoline_kernelINS0_13select_configILj256ELj13ELNS0_17block_load_methodE3ELS4_3ELS4_3ELNS0_20block_scan_algorithmE0ELj4294967295EEENS1_25partition_config_selectorILNS1_17partition_subalgoE4EjNS0_10empty_typeEbEEZZNS1_14partition_implILS8_4ELb0ES6_15HIP_vector_typeIjLj2EENS0_17counting_iteratorIjlEEPS9_SG_NS0_5tupleIJPjSI_NS0_16reverse_iteratorISI_EEEEENSH_IJSG_SG_SG_EEES9_SI_JZNS1_25segmented_radix_sort_implINS0_14default_configELb1EPKbPbPKlPlN2at6native12_GLOBAL__N_18offset_tEEE10hipError_tPvRmT1_PNSt15iterator_traitsIS12_E10value_typeET2_T3_PNS13_IS18_E10value_typeET4_jRbjT5_S1E_jjP12ihipStream_tbEUljE_ZNSN_ISO_Lb1ESQ_SR_ST_SU_SY_EESZ_S10_S11_S12_S16_S17_S18_S1B_S1C_jS1D_jS1E_S1E_jjS1G_bEUljE0_EEESZ_S10_S11_S18_S1C_S1E_T6_T7_T9_mT8_S1G_bDpT10_ENKUlT_T0_E_clISt17integral_constantIbLb1EES1U_EEDaS1P_S1Q_EUlS1P_E_NS1_11comp_targetILNS1_3genE4ELNS1_11target_archE910ELNS1_3gpuE8ELNS1_3repE0EEENS1_30default_config_static_selectorELNS0_4arch9wavefront6targetE0EEEvS12_ ; -- Begin function _ZN7rocprim17ROCPRIM_400000_NS6detail17trampoline_kernelINS0_13select_configILj256ELj13ELNS0_17block_load_methodE3ELS4_3ELS4_3ELNS0_20block_scan_algorithmE0ELj4294967295EEENS1_25partition_config_selectorILNS1_17partition_subalgoE4EjNS0_10empty_typeEbEEZZNS1_14partition_implILS8_4ELb0ES6_15HIP_vector_typeIjLj2EENS0_17counting_iteratorIjlEEPS9_SG_NS0_5tupleIJPjSI_NS0_16reverse_iteratorISI_EEEEENSH_IJSG_SG_SG_EEES9_SI_JZNS1_25segmented_radix_sort_implINS0_14default_configELb1EPKbPbPKlPlN2at6native12_GLOBAL__N_18offset_tEEE10hipError_tPvRmT1_PNSt15iterator_traitsIS12_E10value_typeET2_T3_PNS13_IS18_E10value_typeET4_jRbjT5_S1E_jjP12ihipStream_tbEUljE_ZNSN_ISO_Lb1ESQ_SR_ST_SU_SY_EESZ_S10_S11_S12_S16_S17_S18_S1B_S1C_jS1D_jS1E_S1E_jjS1G_bEUljE0_EEESZ_S10_S11_S18_S1C_S1E_T6_T7_T9_mT8_S1G_bDpT10_ENKUlT_T0_E_clISt17integral_constantIbLb1EES1U_EEDaS1P_S1Q_EUlS1P_E_NS1_11comp_targetILNS1_3genE4ELNS1_11target_archE910ELNS1_3gpuE8ELNS1_3repE0EEENS1_30default_config_static_selectorELNS0_4arch9wavefront6targetE0EEEvS12_
	.p2align	8
	.type	_ZN7rocprim17ROCPRIM_400000_NS6detail17trampoline_kernelINS0_13select_configILj256ELj13ELNS0_17block_load_methodE3ELS4_3ELS4_3ELNS0_20block_scan_algorithmE0ELj4294967295EEENS1_25partition_config_selectorILNS1_17partition_subalgoE4EjNS0_10empty_typeEbEEZZNS1_14partition_implILS8_4ELb0ES6_15HIP_vector_typeIjLj2EENS0_17counting_iteratorIjlEEPS9_SG_NS0_5tupleIJPjSI_NS0_16reverse_iteratorISI_EEEEENSH_IJSG_SG_SG_EEES9_SI_JZNS1_25segmented_radix_sort_implINS0_14default_configELb1EPKbPbPKlPlN2at6native12_GLOBAL__N_18offset_tEEE10hipError_tPvRmT1_PNSt15iterator_traitsIS12_E10value_typeET2_T3_PNS13_IS18_E10value_typeET4_jRbjT5_S1E_jjP12ihipStream_tbEUljE_ZNSN_ISO_Lb1ESQ_SR_ST_SU_SY_EESZ_S10_S11_S12_S16_S17_S18_S1B_S1C_jS1D_jS1E_S1E_jjS1G_bEUljE0_EEESZ_S10_S11_S18_S1C_S1E_T6_T7_T9_mT8_S1G_bDpT10_ENKUlT_T0_E_clISt17integral_constantIbLb1EES1U_EEDaS1P_S1Q_EUlS1P_E_NS1_11comp_targetILNS1_3genE4ELNS1_11target_archE910ELNS1_3gpuE8ELNS1_3repE0EEENS1_30default_config_static_selectorELNS0_4arch9wavefront6targetE0EEEvS12_,@function
_ZN7rocprim17ROCPRIM_400000_NS6detail17trampoline_kernelINS0_13select_configILj256ELj13ELNS0_17block_load_methodE3ELS4_3ELS4_3ELNS0_20block_scan_algorithmE0ELj4294967295EEENS1_25partition_config_selectorILNS1_17partition_subalgoE4EjNS0_10empty_typeEbEEZZNS1_14partition_implILS8_4ELb0ES6_15HIP_vector_typeIjLj2EENS0_17counting_iteratorIjlEEPS9_SG_NS0_5tupleIJPjSI_NS0_16reverse_iteratorISI_EEEEENSH_IJSG_SG_SG_EEES9_SI_JZNS1_25segmented_radix_sort_implINS0_14default_configELb1EPKbPbPKlPlN2at6native12_GLOBAL__N_18offset_tEEE10hipError_tPvRmT1_PNSt15iterator_traitsIS12_E10value_typeET2_T3_PNS13_IS18_E10value_typeET4_jRbjT5_S1E_jjP12ihipStream_tbEUljE_ZNSN_ISO_Lb1ESQ_SR_ST_SU_SY_EESZ_S10_S11_S12_S16_S17_S18_S1B_S1C_jS1D_jS1E_S1E_jjS1G_bEUljE0_EEESZ_S10_S11_S18_S1C_S1E_T6_T7_T9_mT8_S1G_bDpT10_ENKUlT_T0_E_clISt17integral_constantIbLb1EES1U_EEDaS1P_S1Q_EUlS1P_E_NS1_11comp_targetILNS1_3genE4ELNS1_11target_archE910ELNS1_3gpuE8ELNS1_3repE0EEENS1_30default_config_static_selectorELNS0_4arch9wavefront6targetE0EEEvS12_: ; @_ZN7rocprim17ROCPRIM_400000_NS6detail17trampoline_kernelINS0_13select_configILj256ELj13ELNS0_17block_load_methodE3ELS4_3ELS4_3ELNS0_20block_scan_algorithmE0ELj4294967295EEENS1_25partition_config_selectorILNS1_17partition_subalgoE4EjNS0_10empty_typeEbEEZZNS1_14partition_implILS8_4ELb0ES6_15HIP_vector_typeIjLj2EENS0_17counting_iteratorIjlEEPS9_SG_NS0_5tupleIJPjSI_NS0_16reverse_iteratorISI_EEEEENSH_IJSG_SG_SG_EEES9_SI_JZNS1_25segmented_radix_sort_implINS0_14default_configELb1EPKbPbPKlPlN2at6native12_GLOBAL__N_18offset_tEEE10hipError_tPvRmT1_PNSt15iterator_traitsIS12_E10value_typeET2_T3_PNS13_IS18_E10value_typeET4_jRbjT5_S1E_jjP12ihipStream_tbEUljE_ZNSN_ISO_Lb1ESQ_SR_ST_SU_SY_EESZ_S10_S11_S12_S16_S17_S18_S1B_S1C_jS1D_jS1E_S1E_jjS1G_bEUljE0_EEESZ_S10_S11_S18_S1C_S1E_T6_T7_T9_mT8_S1G_bDpT10_ENKUlT_T0_E_clISt17integral_constantIbLb1EES1U_EEDaS1P_S1Q_EUlS1P_E_NS1_11comp_targetILNS1_3genE4ELNS1_11target_archE910ELNS1_3gpuE8ELNS1_3repE0EEENS1_30default_config_static_selectorELNS0_4arch9wavefront6targetE0EEEvS12_
; %bb.0:
	.section	.rodata,"a",@progbits
	.p2align	6, 0x0
	.amdhsa_kernel _ZN7rocprim17ROCPRIM_400000_NS6detail17trampoline_kernelINS0_13select_configILj256ELj13ELNS0_17block_load_methodE3ELS4_3ELS4_3ELNS0_20block_scan_algorithmE0ELj4294967295EEENS1_25partition_config_selectorILNS1_17partition_subalgoE4EjNS0_10empty_typeEbEEZZNS1_14partition_implILS8_4ELb0ES6_15HIP_vector_typeIjLj2EENS0_17counting_iteratorIjlEEPS9_SG_NS0_5tupleIJPjSI_NS0_16reverse_iteratorISI_EEEEENSH_IJSG_SG_SG_EEES9_SI_JZNS1_25segmented_radix_sort_implINS0_14default_configELb1EPKbPbPKlPlN2at6native12_GLOBAL__N_18offset_tEEE10hipError_tPvRmT1_PNSt15iterator_traitsIS12_E10value_typeET2_T3_PNS13_IS18_E10value_typeET4_jRbjT5_S1E_jjP12ihipStream_tbEUljE_ZNSN_ISO_Lb1ESQ_SR_ST_SU_SY_EESZ_S10_S11_S12_S16_S17_S18_S1B_S1C_jS1D_jS1E_S1E_jjS1G_bEUljE0_EEESZ_S10_S11_S18_S1C_S1E_T6_T7_T9_mT8_S1G_bDpT10_ENKUlT_T0_E_clISt17integral_constantIbLb1EES1U_EEDaS1P_S1Q_EUlS1P_E_NS1_11comp_targetILNS1_3genE4ELNS1_11target_archE910ELNS1_3gpuE8ELNS1_3repE0EEENS1_30default_config_static_selectorELNS0_4arch9wavefront6targetE0EEEvS12_
		.amdhsa_group_segment_fixed_size 0
		.amdhsa_private_segment_fixed_size 0
		.amdhsa_kernarg_size 184
		.amdhsa_user_sgpr_count 2
		.amdhsa_user_sgpr_dispatch_ptr 0
		.amdhsa_user_sgpr_queue_ptr 0
		.amdhsa_user_sgpr_kernarg_segment_ptr 1
		.amdhsa_user_sgpr_dispatch_id 0
		.amdhsa_user_sgpr_private_segment_size 0
		.amdhsa_wavefront_size32 1
		.amdhsa_uses_dynamic_stack 0
		.amdhsa_enable_private_segment 0
		.amdhsa_system_sgpr_workgroup_id_x 1
		.amdhsa_system_sgpr_workgroup_id_y 0
		.amdhsa_system_sgpr_workgroup_id_z 0
		.amdhsa_system_sgpr_workgroup_info 0
		.amdhsa_system_vgpr_workitem_id 0
		.amdhsa_next_free_vgpr 1
		.amdhsa_next_free_sgpr 1
		.amdhsa_reserve_vcc 0
		.amdhsa_float_round_mode_32 0
		.amdhsa_float_round_mode_16_64 0
		.amdhsa_float_denorm_mode_32 3
		.amdhsa_float_denorm_mode_16_64 3
		.amdhsa_fp16_overflow 0
		.amdhsa_workgroup_processor_mode 1
		.amdhsa_memory_ordered 1
		.amdhsa_forward_progress 1
		.amdhsa_inst_pref_size 0
		.amdhsa_round_robin_scheduling 0
		.amdhsa_exception_fp_ieee_invalid_op 0
		.amdhsa_exception_fp_denorm_src 0
		.amdhsa_exception_fp_ieee_div_zero 0
		.amdhsa_exception_fp_ieee_overflow 0
		.amdhsa_exception_fp_ieee_underflow 0
		.amdhsa_exception_fp_ieee_inexact 0
		.amdhsa_exception_int_div_zero 0
	.end_amdhsa_kernel
	.section	.text._ZN7rocprim17ROCPRIM_400000_NS6detail17trampoline_kernelINS0_13select_configILj256ELj13ELNS0_17block_load_methodE3ELS4_3ELS4_3ELNS0_20block_scan_algorithmE0ELj4294967295EEENS1_25partition_config_selectorILNS1_17partition_subalgoE4EjNS0_10empty_typeEbEEZZNS1_14partition_implILS8_4ELb0ES6_15HIP_vector_typeIjLj2EENS0_17counting_iteratorIjlEEPS9_SG_NS0_5tupleIJPjSI_NS0_16reverse_iteratorISI_EEEEENSH_IJSG_SG_SG_EEES9_SI_JZNS1_25segmented_radix_sort_implINS0_14default_configELb1EPKbPbPKlPlN2at6native12_GLOBAL__N_18offset_tEEE10hipError_tPvRmT1_PNSt15iterator_traitsIS12_E10value_typeET2_T3_PNS13_IS18_E10value_typeET4_jRbjT5_S1E_jjP12ihipStream_tbEUljE_ZNSN_ISO_Lb1ESQ_SR_ST_SU_SY_EESZ_S10_S11_S12_S16_S17_S18_S1B_S1C_jS1D_jS1E_S1E_jjS1G_bEUljE0_EEESZ_S10_S11_S18_S1C_S1E_T6_T7_T9_mT8_S1G_bDpT10_ENKUlT_T0_E_clISt17integral_constantIbLb1EES1U_EEDaS1P_S1Q_EUlS1P_E_NS1_11comp_targetILNS1_3genE4ELNS1_11target_archE910ELNS1_3gpuE8ELNS1_3repE0EEENS1_30default_config_static_selectorELNS0_4arch9wavefront6targetE0EEEvS12_,"axG",@progbits,_ZN7rocprim17ROCPRIM_400000_NS6detail17trampoline_kernelINS0_13select_configILj256ELj13ELNS0_17block_load_methodE3ELS4_3ELS4_3ELNS0_20block_scan_algorithmE0ELj4294967295EEENS1_25partition_config_selectorILNS1_17partition_subalgoE4EjNS0_10empty_typeEbEEZZNS1_14partition_implILS8_4ELb0ES6_15HIP_vector_typeIjLj2EENS0_17counting_iteratorIjlEEPS9_SG_NS0_5tupleIJPjSI_NS0_16reverse_iteratorISI_EEEEENSH_IJSG_SG_SG_EEES9_SI_JZNS1_25segmented_radix_sort_implINS0_14default_configELb1EPKbPbPKlPlN2at6native12_GLOBAL__N_18offset_tEEE10hipError_tPvRmT1_PNSt15iterator_traitsIS12_E10value_typeET2_T3_PNS13_IS18_E10value_typeET4_jRbjT5_S1E_jjP12ihipStream_tbEUljE_ZNSN_ISO_Lb1ESQ_SR_ST_SU_SY_EESZ_S10_S11_S12_S16_S17_S18_S1B_S1C_jS1D_jS1E_S1E_jjS1G_bEUljE0_EEESZ_S10_S11_S18_S1C_S1E_T6_T7_T9_mT8_S1G_bDpT10_ENKUlT_T0_E_clISt17integral_constantIbLb1EES1U_EEDaS1P_S1Q_EUlS1P_E_NS1_11comp_targetILNS1_3genE4ELNS1_11target_archE910ELNS1_3gpuE8ELNS1_3repE0EEENS1_30default_config_static_selectorELNS0_4arch9wavefront6targetE0EEEvS12_,comdat
.Lfunc_end1478:
	.size	_ZN7rocprim17ROCPRIM_400000_NS6detail17trampoline_kernelINS0_13select_configILj256ELj13ELNS0_17block_load_methodE3ELS4_3ELS4_3ELNS0_20block_scan_algorithmE0ELj4294967295EEENS1_25partition_config_selectorILNS1_17partition_subalgoE4EjNS0_10empty_typeEbEEZZNS1_14partition_implILS8_4ELb0ES6_15HIP_vector_typeIjLj2EENS0_17counting_iteratorIjlEEPS9_SG_NS0_5tupleIJPjSI_NS0_16reverse_iteratorISI_EEEEENSH_IJSG_SG_SG_EEES9_SI_JZNS1_25segmented_radix_sort_implINS0_14default_configELb1EPKbPbPKlPlN2at6native12_GLOBAL__N_18offset_tEEE10hipError_tPvRmT1_PNSt15iterator_traitsIS12_E10value_typeET2_T3_PNS13_IS18_E10value_typeET4_jRbjT5_S1E_jjP12ihipStream_tbEUljE_ZNSN_ISO_Lb1ESQ_SR_ST_SU_SY_EESZ_S10_S11_S12_S16_S17_S18_S1B_S1C_jS1D_jS1E_S1E_jjS1G_bEUljE0_EEESZ_S10_S11_S18_S1C_S1E_T6_T7_T9_mT8_S1G_bDpT10_ENKUlT_T0_E_clISt17integral_constantIbLb1EES1U_EEDaS1P_S1Q_EUlS1P_E_NS1_11comp_targetILNS1_3genE4ELNS1_11target_archE910ELNS1_3gpuE8ELNS1_3repE0EEENS1_30default_config_static_selectorELNS0_4arch9wavefront6targetE0EEEvS12_, .Lfunc_end1478-_ZN7rocprim17ROCPRIM_400000_NS6detail17trampoline_kernelINS0_13select_configILj256ELj13ELNS0_17block_load_methodE3ELS4_3ELS4_3ELNS0_20block_scan_algorithmE0ELj4294967295EEENS1_25partition_config_selectorILNS1_17partition_subalgoE4EjNS0_10empty_typeEbEEZZNS1_14partition_implILS8_4ELb0ES6_15HIP_vector_typeIjLj2EENS0_17counting_iteratorIjlEEPS9_SG_NS0_5tupleIJPjSI_NS0_16reverse_iteratorISI_EEEEENSH_IJSG_SG_SG_EEES9_SI_JZNS1_25segmented_radix_sort_implINS0_14default_configELb1EPKbPbPKlPlN2at6native12_GLOBAL__N_18offset_tEEE10hipError_tPvRmT1_PNSt15iterator_traitsIS12_E10value_typeET2_T3_PNS13_IS18_E10value_typeET4_jRbjT5_S1E_jjP12ihipStream_tbEUljE_ZNSN_ISO_Lb1ESQ_SR_ST_SU_SY_EESZ_S10_S11_S12_S16_S17_S18_S1B_S1C_jS1D_jS1E_S1E_jjS1G_bEUljE0_EEESZ_S10_S11_S18_S1C_S1E_T6_T7_T9_mT8_S1G_bDpT10_ENKUlT_T0_E_clISt17integral_constantIbLb1EES1U_EEDaS1P_S1Q_EUlS1P_E_NS1_11comp_targetILNS1_3genE4ELNS1_11target_archE910ELNS1_3gpuE8ELNS1_3repE0EEENS1_30default_config_static_selectorELNS0_4arch9wavefront6targetE0EEEvS12_
                                        ; -- End function
	.set _ZN7rocprim17ROCPRIM_400000_NS6detail17trampoline_kernelINS0_13select_configILj256ELj13ELNS0_17block_load_methodE3ELS4_3ELS4_3ELNS0_20block_scan_algorithmE0ELj4294967295EEENS1_25partition_config_selectorILNS1_17partition_subalgoE4EjNS0_10empty_typeEbEEZZNS1_14partition_implILS8_4ELb0ES6_15HIP_vector_typeIjLj2EENS0_17counting_iteratorIjlEEPS9_SG_NS0_5tupleIJPjSI_NS0_16reverse_iteratorISI_EEEEENSH_IJSG_SG_SG_EEES9_SI_JZNS1_25segmented_radix_sort_implINS0_14default_configELb1EPKbPbPKlPlN2at6native12_GLOBAL__N_18offset_tEEE10hipError_tPvRmT1_PNSt15iterator_traitsIS12_E10value_typeET2_T3_PNS13_IS18_E10value_typeET4_jRbjT5_S1E_jjP12ihipStream_tbEUljE_ZNSN_ISO_Lb1ESQ_SR_ST_SU_SY_EESZ_S10_S11_S12_S16_S17_S18_S1B_S1C_jS1D_jS1E_S1E_jjS1G_bEUljE0_EEESZ_S10_S11_S18_S1C_S1E_T6_T7_T9_mT8_S1G_bDpT10_ENKUlT_T0_E_clISt17integral_constantIbLb1EES1U_EEDaS1P_S1Q_EUlS1P_E_NS1_11comp_targetILNS1_3genE4ELNS1_11target_archE910ELNS1_3gpuE8ELNS1_3repE0EEENS1_30default_config_static_selectorELNS0_4arch9wavefront6targetE0EEEvS12_.num_vgpr, 0
	.set _ZN7rocprim17ROCPRIM_400000_NS6detail17trampoline_kernelINS0_13select_configILj256ELj13ELNS0_17block_load_methodE3ELS4_3ELS4_3ELNS0_20block_scan_algorithmE0ELj4294967295EEENS1_25partition_config_selectorILNS1_17partition_subalgoE4EjNS0_10empty_typeEbEEZZNS1_14partition_implILS8_4ELb0ES6_15HIP_vector_typeIjLj2EENS0_17counting_iteratorIjlEEPS9_SG_NS0_5tupleIJPjSI_NS0_16reverse_iteratorISI_EEEEENSH_IJSG_SG_SG_EEES9_SI_JZNS1_25segmented_radix_sort_implINS0_14default_configELb1EPKbPbPKlPlN2at6native12_GLOBAL__N_18offset_tEEE10hipError_tPvRmT1_PNSt15iterator_traitsIS12_E10value_typeET2_T3_PNS13_IS18_E10value_typeET4_jRbjT5_S1E_jjP12ihipStream_tbEUljE_ZNSN_ISO_Lb1ESQ_SR_ST_SU_SY_EESZ_S10_S11_S12_S16_S17_S18_S1B_S1C_jS1D_jS1E_S1E_jjS1G_bEUljE0_EEESZ_S10_S11_S18_S1C_S1E_T6_T7_T9_mT8_S1G_bDpT10_ENKUlT_T0_E_clISt17integral_constantIbLb1EES1U_EEDaS1P_S1Q_EUlS1P_E_NS1_11comp_targetILNS1_3genE4ELNS1_11target_archE910ELNS1_3gpuE8ELNS1_3repE0EEENS1_30default_config_static_selectorELNS0_4arch9wavefront6targetE0EEEvS12_.num_agpr, 0
	.set _ZN7rocprim17ROCPRIM_400000_NS6detail17trampoline_kernelINS0_13select_configILj256ELj13ELNS0_17block_load_methodE3ELS4_3ELS4_3ELNS0_20block_scan_algorithmE0ELj4294967295EEENS1_25partition_config_selectorILNS1_17partition_subalgoE4EjNS0_10empty_typeEbEEZZNS1_14partition_implILS8_4ELb0ES6_15HIP_vector_typeIjLj2EENS0_17counting_iteratorIjlEEPS9_SG_NS0_5tupleIJPjSI_NS0_16reverse_iteratorISI_EEEEENSH_IJSG_SG_SG_EEES9_SI_JZNS1_25segmented_radix_sort_implINS0_14default_configELb1EPKbPbPKlPlN2at6native12_GLOBAL__N_18offset_tEEE10hipError_tPvRmT1_PNSt15iterator_traitsIS12_E10value_typeET2_T3_PNS13_IS18_E10value_typeET4_jRbjT5_S1E_jjP12ihipStream_tbEUljE_ZNSN_ISO_Lb1ESQ_SR_ST_SU_SY_EESZ_S10_S11_S12_S16_S17_S18_S1B_S1C_jS1D_jS1E_S1E_jjS1G_bEUljE0_EEESZ_S10_S11_S18_S1C_S1E_T6_T7_T9_mT8_S1G_bDpT10_ENKUlT_T0_E_clISt17integral_constantIbLb1EES1U_EEDaS1P_S1Q_EUlS1P_E_NS1_11comp_targetILNS1_3genE4ELNS1_11target_archE910ELNS1_3gpuE8ELNS1_3repE0EEENS1_30default_config_static_selectorELNS0_4arch9wavefront6targetE0EEEvS12_.numbered_sgpr, 0
	.set _ZN7rocprim17ROCPRIM_400000_NS6detail17trampoline_kernelINS0_13select_configILj256ELj13ELNS0_17block_load_methodE3ELS4_3ELS4_3ELNS0_20block_scan_algorithmE0ELj4294967295EEENS1_25partition_config_selectorILNS1_17partition_subalgoE4EjNS0_10empty_typeEbEEZZNS1_14partition_implILS8_4ELb0ES6_15HIP_vector_typeIjLj2EENS0_17counting_iteratorIjlEEPS9_SG_NS0_5tupleIJPjSI_NS0_16reverse_iteratorISI_EEEEENSH_IJSG_SG_SG_EEES9_SI_JZNS1_25segmented_radix_sort_implINS0_14default_configELb1EPKbPbPKlPlN2at6native12_GLOBAL__N_18offset_tEEE10hipError_tPvRmT1_PNSt15iterator_traitsIS12_E10value_typeET2_T3_PNS13_IS18_E10value_typeET4_jRbjT5_S1E_jjP12ihipStream_tbEUljE_ZNSN_ISO_Lb1ESQ_SR_ST_SU_SY_EESZ_S10_S11_S12_S16_S17_S18_S1B_S1C_jS1D_jS1E_S1E_jjS1G_bEUljE0_EEESZ_S10_S11_S18_S1C_S1E_T6_T7_T9_mT8_S1G_bDpT10_ENKUlT_T0_E_clISt17integral_constantIbLb1EES1U_EEDaS1P_S1Q_EUlS1P_E_NS1_11comp_targetILNS1_3genE4ELNS1_11target_archE910ELNS1_3gpuE8ELNS1_3repE0EEENS1_30default_config_static_selectorELNS0_4arch9wavefront6targetE0EEEvS12_.num_named_barrier, 0
	.set _ZN7rocprim17ROCPRIM_400000_NS6detail17trampoline_kernelINS0_13select_configILj256ELj13ELNS0_17block_load_methodE3ELS4_3ELS4_3ELNS0_20block_scan_algorithmE0ELj4294967295EEENS1_25partition_config_selectorILNS1_17partition_subalgoE4EjNS0_10empty_typeEbEEZZNS1_14partition_implILS8_4ELb0ES6_15HIP_vector_typeIjLj2EENS0_17counting_iteratorIjlEEPS9_SG_NS0_5tupleIJPjSI_NS0_16reverse_iteratorISI_EEEEENSH_IJSG_SG_SG_EEES9_SI_JZNS1_25segmented_radix_sort_implINS0_14default_configELb1EPKbPbPKlPlN2at6native12_GLOBAL__N_18offset_tEEE10hipError_tPvRmT1_PNSt15iterator_traitsIS12_E10value_typeET2_T3_PNS13_IS18_E10value_typeET4_jRbjT5_S1E_jjP12ihipStream_tbEUljE_ZNSN_ISO_Lb1ESQ_SR_ST_SU_SY_EESZ_S10_S11_S12_S16_S17_S18_S1B_S1C_jS1D_jS1E_S1E_jjS1G_bEUljE0_EEESZ_S10_S11_S18_S1C_S1E_T6_T7_T9_mT8_S1G_bDpT10_ENKUlT_T0_E_clISt17integral_constantIbLb1EES1U_EEDaS1P_S1Q_EUlS1P_E_NS1_11comp_targetILNS1_3genE4ELNS1_11target_archE910ELNS1_3gpuE8ELNS1_3repE0EEENS1_30default_config_static_selectorELNS0_4arch9wavefront6targetE0EEEvS12_.private_seg_size, 0
	.set _ZN7rocprim17ROCPRIM_400000_NS6detail17trampoline_kernelINS0_13select_configILj256ELj13ELNS0_17block_load_methodE3ELS4_3ELS4_3ELNS0_20block_scan_algorithmE0ELj4294967295EEENS1_25partition_config_selectorILNS1_17partition_subalgoE4EjNS0_10empty_typeEbEEZZNS1_14partition_implILS8_4ELb0ES6_15HIP_vector_typeIjLj2EENS0_17counting_iteratorIjlEEPS9_SG_NS0_5tupleIJPjSI_NS0_16reverse_iteratorISI_EEEEENSH_IJSG_SG_SG_EEES9_SI_JZNS1_25segmented_radix_sort_implINS0_14default_configELb1EPKbPbPKlPlN2at6native12_GLOBAL__N_18offset_tEEE10hipError_tPvRmT1_PNSt15iterator_traitsIS12_E10value_typeET2_T3_PNS13_IS18_E10value_typeET4_jRbjT5_S1E_jjP12ihipStream_tbEUljE_ZNSN_ISO_Lb1ESQ_SR_ST_SU_SY_EESZ_S10_S11_S12_S16_S17_S18_S1B_S1C_jS1D_jS1E_S1E_jjS1G_bEUljE0_EEESZ_S10_S11_S18_S1C_S1E_T6_T7_T9_mT8_S1G_bDpT10_ENKUlT_T0_E_clISt17integral_constantIbLb1EES1U_EEDaS1P_S1Q_EUlS1P_E_NS1_11comp_targetILNS1_3genE4ELNS1_11target_archE910ELNS1_3gpuE8ELNS1_3repE0EEENS1_30default_config_static_selectorELNS0_4arch9wavefront6targetE0EEEvS12_.uses_vcc, 0
	.set _ZN7rocprim17ROCPRIM_400000_NS6detail17trampoline_kernelINS0_13select_configILj256ELj13ELNS0_17block_load_methodE3ELS4_3ELS4_3ELNS0_20block_scan_algorithmE0ELj4294967295EEENS1_25partition_config_selectorILNS1_17partition_subalgoE4EjNS0_10empty_typeEbEEZZNS1_14partition_implILS8_4ELb0ES6_15HIP_vector_typeIjLj2EENS0_17counting_iteratorIjlEEPS9_SG_NS0_5tupleIJPjSI_NS0_16reverse_iteratorISI_EEEEENSH_IJSG_SG_SG_EEES9_SI_JZNS1_25segmented_radix_sort_implINS0_14default_configELb1EPKbPbPKlPlN2at6native12_GLOBAL__N_18offset_tEEE10hipError_tPvRmT1_PNSt15iterator_traitsIS12_E10value_typeET2_T3_PNS13_IS18_E10value_typeET4_jRbjT5_S1E_jjP12ihipStream_tbEUljE_ZNSN_ISO_Lb1ESQ_SR_ST_SU_SY_EESZ_S10_S11_S12_S16_S17_S18_S1B_S1C_jS1D_jS1E_S1E_jjS1G_bEUljE0_EEESZ_S10_S11_S18_S1C_S1E_T6_T7_T9_mT8_S1G_bDpT10_ENKUlT_T0_E_clISt17integral_constantIbLb1EES1U_EEDaS1P_S1Q_EUlS1P_E_NS1_11comp_targetILNS1_3genE4ELNS1_11target_archE910ELNS1_3gpuE8ELNS1_3repE0EEENS1_30default_config_static_selectorELNS0_4arch9wavefront6targetE0EEEvS12_.uses_flat_scratch, 0
	.set _ZN7rocprim17ROCPRIM_400000_NS6detail17trampoline_kernelINS0_13select_configILj256ELj13ELNS0_17block_load_methodE3ELS4_3ELS4_3ELNS0_20block_scan_algorithmE0ELj4294967295EEENS1_25partition_config_selectorILNS1_17partition_subalgoE4EjNS0_10empty_typeEbEEZZNS1_14partition_implILS8_4ELb0ES6_15HIP_vector_typeIjLj2EENS0_17counting_iteratorIjlEEPS9_SG_NS0_5tupleIJPjSI_NS0_16reverse_iteratorISI_EEEEENSH_IJSG_SG_SG_EEES9_SI_JZNS1_25segmented_radix_sort_implINS0_14default_configELb1EPKbPbPKlPlN2at6native12_GLOBAL__N_18offset_tEEE10hipError_tPvRmT1_PNSt15iterator_traitsIS12_E10value_typeET2_T3_PNS13_IS18_E10value_typeET4_jRbjT5_S1E_jjP12ihipStream_tbEUljE_ZNSN_ISO_Lb1ESQ_SR_ST_SU_SY_EESZ_S10_S11_S12_S16_S17_S18_S1B_S1C_jS1D_jS1E_S1E_jjS1G_bEUljE0_EEESZ_S10_S11_S18_S1C_S1E_T6_T7_T9_mT8_S1G_bDpT10_ENKUlT_T0_E_clISt17integral_constantIbLb1EES1U_EEDaS1P_S1Q_EUlS1P_E_NS1_11comp_targetILNS1_3genE4ELNS1_11target_archE910ELNS1_3gpuE8ELNS1_3repE0EEENS1_30default_config_static_selectorELNS0_4arch9wavefront6targetE0EEEvS12_.has_dyn_sized_stack, 0
	.set _ZN7rocprim17ROCPRIM_400000_NS6detail17trampoline_kernelINS0_13select_configILj256ELj13ELNS0_17block_load_methodE3ELS4_3ELS4_3ELNS0_20block_scan_algorithmE0ELj4294967295EEENS1_25partition_config_selectorILNS1_17partition_subalgoE4EjNS0_10empty_typeEbEEZZNS1_14partition_implILS8_4ELb0ES6_15HIP_vector_typeIjLj2EENS0_17counting_iteratorIjlEEPS9_SG_NS0_5tupleIJPjSI_NS0_16reverse_iteratorISI_EEEEENSH_IJSG_SG_SG_EEES9_SI_JZNS1_25segmented_radix_sort_implINS0_14default_configELb1EPKbPbPKlPlN2at6native12_GLOBAL__N_18offset_tEEE10hipError_tPvRmT1_PNSt15iterator_traitsIS12_E10value_typeET2_T3_PNS13_IS18_E10value_typeET4_jRbjT5_S1E_jjP12ihipStream_tbEUljE_ZNSN_ISO_Lb1ESQ_SR_ST_SU_SY_EESZ_S10_S11_S12_S16_S17_S18_S1B_S1C_jS1D_jS1E_S1E_jjS1G_bEUljE0_EEESZ_S10_S11_S18_S1C_S1E_T6_T7_T9_mT8_S1G_bDpT10_ENKUlT_T0_E_clISt17integral_constantIbLb1EES1U_EEDaS1P_S1Q_EUlS1P_E_NS1_11comp_targetILNS1_3genE4ELNS1_11target_archE910ELNS1_3gpuE8ELNS1_3repE0EEENS1_30default_config_static_selectorELNS0_4arch9wavefront6targetE0EEEvS12_.has_recursion, 0
	.set _ZN7rocprim17ROCPRIM_400000_NS6detail17trampoline_kernelINS0_13select_configILj256ELj13ELNS0_17block_load_methodE3ELS4_3ELS4_3ELNS0_20block_scan_algorithmE0ELj4294967295EEENS1_25partition_config_selectorILNS1_17partition_subalgoE4EjNS0_10empty_typeEbEEZZNS1_14partition_implILS8_4ELb0ES6_15HIP_vector_typeIjLj2EENS0_17counting_iteratorIjlEEPS9_SG_NS0_5tupleIJPjSI_NS0_16reverse_iteratorISI_EEEEENSH_IJSG_SG_SG_EEES9_SI_JZNS1_25segmented_radix_sort_implINS0_14default_configELb1EPKbPbPKlPlN2at6native12_GLOBAL__N_18offset_tEEE10hipError_tPvRmT1_PNSt15iterator_traitsIS12_E10value_typeET2_T3_PNS13_IS18_E10value_typeET4_jRbjT5_S1E_jjP12ihipStream_tbEUljE_ZNSN_ISO_Lb1ESQ_SR_ST_SU_SY_EESZ_S10_S11_S12_S16_S17_S18_S1B_S1C_jS1D_jS1E_S1E_jjS1G_bEUljE0_EEESZ_S10_S11_S18_S1C_S1E_T6_T7_T9_mT8_S1G_bDpT10_ENKUlT_T0_E_clISt17integral_constantIbLb1EES1U_EEDaS1P_S1Q_EUlS1P_E_NS1_11comp_targetILNS1_3genE4ELNS1_11target_archE910ELNS1_3gpuE8ELNS1_3repE0EEENS1_30default_config_static_selectorELNS0_4arch9wavefront6targetE0EEEvS12_.has_indirect_call, 0
	.section	.AMDGPU.csdata,"",@progbits
; Kernel info:
; codeLenInByte = 0
; TotalNumSgprs: 0
; NumVgprs: 0
; ScratchSize: 0
; MemoryBound: 0
; FloatMode: 240
; IeeeMode: 1
; LDSByteSize: 0 bytes/workgroup (compile time only)
; SGPRBlocks: 0
; VGPRBlocks: 0
; NumSGPRsForWavesPerEU: 1
; NumVGPRsForWavesPerEU: 1
; Occupancy: 16
; WaveLimiterHint : 0
; COMPUTE_PGM_RSRC2:SCRATCH_EN: 0
; COMPUTE_PGM_RSRC2:USER_SGPR: 2
; COMPUTE_PGM_RSRC2:TRAP_HANDLER: 0
; COMPUTE_PGM_RSRC2:TGID_X_EN: 1
; COMPUTE_PGM_RSRC2:TGID_Y_EN: 0
; COMPUTE_PGM_RSRC2:TGID_Z_EN: 0
; COMPUTE_PGM_RSRC2:TIDIG_COMP_CNT: 0
	.section	.text._ZN7rocprim17ROCPRIM_400000_NS6detail17trampoline_kernelINS0_13select_configILj256ELj13ELNS0_17block_load_methodE3ELS4_3ELS4_3ELNS0_20block_scan_algorithmE0ELj4294967295EEENS1_25partition_config_selectorILNS1_17partition_subalgoE4EjNS0_10empty_typeEbEEZZNS1_14partition_implILS8_4ELb0ES6_15HIP_vector_typeIjLj2EENS0_17counting_iteratorIjlEEPS9_SG_NS0_5tupleIJPjSI_NS0_16reverse_iteratorISI_EEEEENSH_IJSG_SG_SG_EEES9_SI_JZNS1_25segmented_radix_sort_implINS0_14default_configELb1EPKbPbPKlPlN2at6native12_GLOBAL__N_18offset_tEEE10hipError_tPvRmT1_PNSt15iterator_traitsIS12_E10value_typeET2_T3_PNS13_IS18_E10value_typeET4_jRbjT5_S1E_jjP12ihipStream_tbEUljE_ZNSN_ISO_Lb1ESQ_SR_ST_SU_SY_EESZ_S10_S11_S12_S16_S17_S18_S1B_S1C_jS1D_jS1E_S1E_jjS1G_bEUljE0_EEESZ_S10_S11_S18_S1C_S1E_T6_T7_T9_mT8_S1G_bDpT10_ENKUlT_T0_E_clISt17integral_constantIbLb1EES1U_EEDaS1P_S1Q_EUlS1P_E_NS1_11comp_targetILNS1_3genE3ELNS1_11target_archE908ELNS1_3gpuE7ELNS1_3repE0EEENS1_30default_config_static_selectorELNS0_4arch9wavefront6targetE0EEEvS12_,"axG",@progbits,_ZN7rocprim17ROCPRIM_400000_NS6detail17trampoline_kernelINS0_13select_configILj256ELj13ELNS0_17block_load_methodE3ELS4_3ELS4_3ELNS0_20block_scan_algorithmE0ELj4294967295EEENS1_25partition_config_selectorILNS1_17partition_subalgoE4EjNS0_10empty_typeEbEEZZNS1_14partition_implILS8_4ELb0ES6_15HIP_vector_typeIjLj2EENS0_17counting_iteratorIjlEEPS9_SG_NS0_5tupleIJPjSI_NS0_16reverse_iteratorISI_EEEEENSH_IJSG_SG_SG_EEES9_SI_JZNS1_25segmented_radix_sort_implINS0_14default_configELb1EPKbPbPKlPlN2at6native12_GLOBAL__N_18offset_tEEE10hipError_tPvRmT1_PNSt15iterator_traitsIS12_E10value_typeET2_T3_PNS13_IS18_E10value_typeET4_jRbjT5_S1E_jjP12ihipStream_tbEUljE_ZNSN_ISO_Lb1ESQ_SR_ST_SU_SY_EESZ_S10_S11_S12_S16_S17_S18_S1B_S1C_jS1D_jS1E_S1E_jjS1G_bEUljE0_EEESZ_S10_S11_S18_S1C_S1E_T6_T7_T9_mT8_S1G_bDpT10_ENKUlT_T0_E_clISt17integral_constantIbLb1EES1U_EEDaS1P_S1Q_EUlS1P_E_NS1_11comp_targetILNS1_3genE3ELNS1_11target_archE908ELNS1_3gpuE7ELNS1_3repE0EEENS1_30default_config_static_selectorELNS0_4arch9wavefront6targetE0EEEvS12_,comdat
	.globl	_ZN7rocprim17ROCPRIM_400000_NS6detail17trampoline_kernelINS0_13select_configILj256ELj13ELNS0_17block_load_methodE3ELS4_3ELS4_3ELNS0_20block_scan_algorithmE0ELj4294967295EEENS1_25partition_config_selectorILNS1_17partition_subalgoE4EjNS0_10empty_typeEbEEZZNS1_14partition_implILS8_4ELb0ES6_15HIP_vector_typeIjLj2EENS0_17counting_iteratorIjlEEPS9_SG_NS0_5tupleIJPjSI_NS0_16reverse_iteratorISI_EEEEENSH_IJSG_SG_SG_EEES9_SI_JZNS1_25segmented_radix_sort_implINS0_14default_configELb1EPKbPbPKlPlN2at6native12_GLOBAL__N_18offset_tEEE10hipError_tPvRmT1_PNSt15iterator_traitsIS12_E10value_typeET2_T3_PNS13_IS18_E10value_typeET4_jRbjT5_S1E_jjP12ihipStream_tbEUljE_ZNSN_ISO_Lb1ESQ_SR_ST_SU_SY_EESZ_S10_S11_S12_S16_S17_S18_S1B_S1C_jS1D_jS1E_S1E_jjS1G_bEUljE0_EEESZ_S10_S11_S18_S1C_S1E_T6_T7_T9_mT8_S1G_bDpT10_ENKUlT_T0_E_clISt17integral_constantIbLb1EES1U_EEDaS1P_S1Q_EUlS1P_E_NS1_11comp_targetILNS1_3genE3ELNS1_11target_archE908ELNS1_3gpuE7ELNS1_3repE0EEENS1_30default_config_static_selectorELNS0_4arch9wavefront6targetE0EEEvS12_ ; -- Begin function _ZN7rocprim17ROCPRIM_400000_NS6detail17trampoline_kernelINS0_13select_configILj256ELj13ELNS0_17block_load_methodE3ELS4_3ELS4_3ELNS0_20block_scan_algorithmE0ELj4294967295EEENS1_25partition_config_selectorILNS1_17partition_subalgoE4EjNS0_10empty_typeEbEEZZNS1_14partition_implILS8_4ELb0ES6_15HIP_vector_typeIjLj2EENS0_17counting_iteratorIjlEEPS9_SG_NS0_5tupleIJPjSI_NS0_16reverse_iteratorISI_EEEEENSH_IJSG_SG_SG_EEES9_SI_JZNS1_25segmented_radix_sort_implINS0_14default_configELb1EPKbPbPKlPlN2at6native12_GLOBAL__N_18offset_tEEE10hipError_tPvRmT1_PNSt15iterator_traitsIS12_E10value_typeET2_T3_PNS13_IS18_E10value_typeET4_jRbjT5_S1E_jjP12ihipStream_tbEUljE_ZNSN_ISO_Lb1ESQ_SR_ST_SU_SY_EESZ_S10_S11_S12_S16_S17_S18_S1B_S1C_jS1D_jS1E_S1E_jjS1G_bEUljE0_EEESZ_S10_S11_S18_S1C_S1E_T6_T7_T9_mT8_S1G_bDpT10_ENKUlT_T0_E_clISt17integral_constantIbLb1EES1U_EEDaS1P_S1Q_EUlS1P_E_NS1_11comp_targetILNS1_3genE3ELNS1_11target_archE908ELNS1_3gpuE7ELNS1_3repE0EEENS1_30default_config_static_selectorELNS0_4arch9wavefront6targetE0EEEvS12_
	.p2align	8
	.type	_ZN7rocprim17ROCPRIM_400000_NS6detail17trampoline_kernelINS0_13select_configILj256ELj13ELNS0_17block_load_methodE3ELS4_3ELS4_3ELNS0_20block_scan_algorithmE0ELj4294967295EEENS1_25partition_config_selectorILNS1_17partition_subalgoE4EjNS0_10empty_typeEbEEZZNS1_14partition_implILS8_4ELb0ES6_15HIP_vector_typeIjLj2EENS0_17counting_iteratorIjlEEPS9_SG_NS0_5tupleIJPjSI_NS0_16reverse_iteratorISI_EEEEENSH_IJSG_SG_SG_EEES9_SI_JZNS1_25segmented_radix_sort_implINS0_14default_configELb1EPKbPbPKlPlN2at6native12_GLOBAL__N_18offset_tEEE10hipError_tPvRmT1_PNSt15iterator_traitsIS12_E10value_typeET2_T3_PNS13_IS18_E10value_typeET4_jRbjT5_S1E_jjP12ihipStream_tbEUljE_ZNSN_ISO_Lb1ESQ_SR_ST_SU_SY_EESZ_S10_S11_S12_S16_S17_S18_S1B_S1C_jS1D_jS1E_S1E_jjS1G_bEUljE0_EEESZ_S10_S11_S18_S1C_S1E_T6_T7_T9_mT8_S1G_bDpT10_ENKUlT_T0_E_clISt17integral_constantIbLb1EES1U_EEDaS1P_S1Q_EUlS1P_E_NS1_11comp_targetILNS1_3genE3ELNS1_11target_archE908ELNS1_3gpuE7ELNS1_3repE0EEENS1_30default_config_static_selectorELNS0_4arch9wavefront6targetE0EEEvS12_,@function
_ZN7rocprim17ROCPRIM_400000_NS6detail17trampoline_kernelINS0_13select_configILj256ELj13ELNS0_17block_load_methodE3ELS4_3ELS4_3ELNS0_20block_scan_algorithmE0ELj4294967295EEENS1_25partition_config_selectorILNS1_17partition_subalgoE4EjNS0_10empty_typeEbEEZZNS1_14partition_implILS8_4ELb0ES6_15HIP_vector_typeIjLj2EENS0_17counting_iteratorIjlEEPS9_SG_NS0_5tupleIJPjSI_NS0_16reverse_iteratorISI_EEEEENSH_IJSG_SG_SG_EEES9_SI_JZNS1_25segmented_radix_sort_implINS0_14default_configELb1EPKbPbPKlPlN2at6native12_GLOBAL__N_18offset_tEEE10hipError_tPvRmT1_PNSt15iterator_traitsIS12_E10value_typeET2_T3_PNS13_IS18_E10value_typeET4_jRbjT5_S1E_jjP12ihipStream_tbEUljE_ZNSN_ISO_Lb1ESQ_SR_ST_SU_SY_EESZ_S10_S11_S12_S16_S17_S18_S1B_S1C_jS1D_jS1E_S1E_jjS1G_bEUljE0_EEESZ_S10_S11_S18_S1C_S1E_T6_T7_T9_mT8_S1G_bDpT10_ENKUlT_T0_E_clISt17integral_constantIbLb1EES1U_EEDaS1P_S1Q_EUlS1P_E_NS1_11comp_targetILNS1_3genE3ELNS1_11target_archE908ELNS1_3gpuE7ELNS1_3repE0EEENS1_30default_config_static_selectorELNS0_4arch9wavefront6targetE0EEEvS12_: ; @_ZN7rocprim17ROCPRIM_400000_NS6detail17trampoline_kernelINS0_13select_configILj256ELj13ELNS0_17block_load_methodE3ELS4_3ELS4_3ELNS0_20block_scan_algorithmE0ELj4294967295EEENS1_25partition_config_selectorILNS1_17partition_subalgoE4EjNS0_10empty_typeEbEEZZNS1_14partition_implILS8_4ELb0ES6_15HIP_vector_typeIjLj2EENS0_17counting_iteratorIjlEEPS9_SG_NS0_5tupleIJPjSI_NS0_16reverse_iteratorISI_EEEEENSH_IJSG_SG_SG_EEES9_SI_JZNS1_25segmented_radix_sort_implINS0_14default_configELb1EPKbPbPKlPlN2at6native12_GLOBAL__N_18offset_tEEE10hipError_tPvRmT1_PNSt15iterator_traitsIS12_E10value_typeET2_T3_PNS13_IS18_E10value_typeET4_jRbjT5_S1E_jjP12ihipStream_tbEUljE_ZNSN_ISO_Lb1ESQ_SR_ST_SU_SY_EESZ_S10_S11_S12_S16_S17_S18_S1B_S1C_jS1D_jS1E_S1E_jjS1G_bEUljE0_EEESZ_S10_S11_S18_S1C_S1E_T6_T7_T9_mT8_S1G_bDpT10_ENKUlT_T0_E_clISt17integral_constantIbLb1EES1U_EEDaS1P_S1Q_EUlS1P_E_NS1_11comp_targetILNS1_3genE3ELNS1_11target_archE908ELNS1_3gpuE7ELNS1_3repE0EEENS1_30default_config_static_selectorELNS0_4arch9wavefront6targetE0EEEvS12_
; %bb.0:
	.section	.rodata,"a",@progbits
	.p2align	6, 0x0
	.amdhsa_kernel _ZN7rocprim17ROCPRIM_400000_NS6detail17trampoline_kernelINS0_13select_configILj256ELj13ELNS0_17block_load_methodE3ELS4_3ELS4_3ELNS0_20block_scan_algorithmE0ELj4294967295EEENS1_25partition_config_selectorILNS1_17partition_subalgoE4EjNS0_10empty_typeEbEEZZNS1_14partition_implILS8_4ELb0ES6_15HIP_vector_typeIjLj2EENS0_17counting_iteratorIjlEEPS9_SG_NS0_5tupleIJPjSI_NS0_16reverse_iteratorISI_EEEEENSH_IJSG_SG_SG_EEES9_SI_JZNS1_25segmented_radix_sort_implINS0_14default_configELb1EPKbPbPKlPlN2at6native12_GLOBAL__N_18offset_tEEE10hipError_tPvRmT1_PNSt15iterator_traitsIS12_E10value_typeET2_T3_PNS13_IS18_E10value_typeET4_jRbjT5_S1E_jjP12ihipStream_tbEUljE_ZNSN_ISO_Lb1ESQ_SR_ST_SU_SY_EESZ_S10_S11_S12_S16_S17_S18_S1B_S1C_jS1D_jS1E_S1E_jjS1G_bEUljE0_EEESZ_S10_S11_S18_S1C_S1E_T6_T7_T9_mT8_S1G_bDpT10_ENKUlT_T0_E_clISt17integral_constantIbLb1EES1U_EEDaS1P_S1Q_EUlS1P_E_NS1_11comp_targetILNS1_3genE3ELNS1_11target_archE908ELNS1_3gpuE7ELNS1_3repE0EEENS1_30default_config_static_selectorELNS0_4arch9wavefront6targetE0EEEvS12_
		.amdhsa_group_segment_fixed_size 0
		.amdhsa_private_segment_fixed_size 0
		.amdhsa_kernarg_size 184
		.amdhsa_user_sgpr_count 2
		.amdhsa_user_sgpr_dispatch_ptr 0
		.amdhsa_user_sgpr_queue_ptr 0
		.amdhsa_user_sgpr_kernarg_segment_ptr 1
		.amdhsa_user_sgpr_dispatch_id 0
		.amdhsa_user_sgpr_private_segment_size 0
		.amdhsa_wavefront_size32 1
		.amdhsa_uses_dynamic_stack 0
		.amdhsa_enable_private_segment 0
		.amdhsa_system_sgpr_workgroup_id_x 1
		.amdhsa_system_sgpr_workgroup_id_y 0
		.amdhsa_system_sgpr_workgroup_id_z 0
		.amdhsa_system_sgpr_workgroup_info 0
		.amdhsa_system_vgpr_workitem_id 0
		.amdhsa_next_free_vgpr 1
		.amdhsa_next_free_sgpr 1
		.amdhsa_reserve_vcc 0
		.amdhsa_float_round_mode_32 0
		.amdhsa_float_round_mode_16_64 0
		.amdhsa_float_denorm_mode_32 3
		.amdhsa_float_denorm_mode_16_64 3
		.amdhsa_fp16_overflow 0
		.amdhsa_workgroup_processor_mode 1
		.amdhsa_memory_ordered 1
		.amdhsa_forward_progress 1
		.amdhsa_inst_pref_size 0
		.amdhsa_round_robin_scheduling 0
		.amdhsa_exception_fp_ieee_invalid_op 0
		.amdhsa_exception_fp_denorm_src 0
		.amdhsa_exception_fp_ieee_div_zero 0
		.amdhsa_exception_fp_ieee_overflow 0
		.amdhsa_exception_fp_ieee_underflow 0
		.amdhsa_exception_fp_ieee_inexact 0
		.amdhsa_exception_int_div_zero 0
	.end_amdhsa_kernel
	.section	.text._ZN7rocprim17ROCPRIM_400000_NS6detail17trampoline_kernelINS0_13select_configILj256ELj13ELNS0_17block_load_methodE3ELS4_3ELS4_3ELNS0_20block_scan_algorithmE0ELj4294967295EEENS1_25partition_config_selectorILNS1_17partition_subalgoE4EjNS0_10empty_typeEbEEZZNS1_14partition_implILS8_4ELb0ES6_15HIP_vector_typeIjLj2EENS0_17counting_iteratorIjlEEPS9_SG_NS0_5tupleIJPjSI_NS0_16reverse_iteratorISI_EEEEENSH_IJSG_SG_SG_EEES9_SI_JZNS1_25segmented_radix_sort_implINS0_14default_configELb1EPKbPbPKlPlN2at6native12_GLOBAL__N_18offset_tEEE10hipError_tPvRmT1_PNSt15iterator_traitsIS12_E10value_typeET2_T3_PNS13_IS18_E10value_typeET4_jRbjT5_S1E_jjP12ihipStream_tbEUljE_ZNSN_ISO_Lb1ESQ_SR_ST_SU_SY_EESZ_S10_S11_S12_S16_S17_S18_S1B_S1C_jS1D_jS1E_S1E_jjS1G_bEUljE0_EEESZ_S10_S11_S18_S1C_S1E_T6_T7_T9_mT8_S1G_bDpT10_ENKUlT_T0_E_clISt17integral_constantIbLb1EES1U_EEDaS1P_S1Q_EUlS1P_E_NS1_11comp_targetILNS1_3genE3ELNS1_11target_archE908ELNS1_3gpuE7ELNS1_3repE0EEENS1_30default_config_static_selectorELNS0_4arch9wavefront6targetE0EEEvS12_,"axG",@progbits,_ZN7rocprim17ROCPRIM_400000_NS6detail17trampoline_kernelINS0_13select_configILj256ELj13ELNS0_17block_load_methodE3ELS4_3ELS4_3ELNS0_20block_scan_algorithmE0ELj4294967295EEENS1_25partition_config_selectorILNS1_17partition_subalgoE4EjNS0_10empty_typeEbEEZZNS1_14partition_implILS8_4ELb0ES6_15HIP_vector_typeIjLj2EENS0_17counting_iteratorIjlEEPS9_SG_NS0_5tupleIJPjSI_NS0_16reverse_iteratorISI_EEEEENSH_IJSG_SG_SG_EEES9_SI_JZNS1_25segmented_radix_sort_implINS0_14default_configELb1EPKbPbPKlPlN2at6native12_GLOBAL__N_18offset_tEEE10hipError_tPvRmT1_PNSt15iterator_traitsIS12_E10value_typeET2_T3_PNS13_IS18_E10value_typeET4_jRbjT5_S1E_jjP12ihipStream_tbEUljE_ZNSN_ISO_Lb1ESQ_SR_ST_SU_SY_EESZ_S10_S11_S12_S16_S17_S18_S1B_S1C_jS1D_jS1E_S1E_jjS1G_bEUljE0_EEESZ_S10_S11_S18_S1C_S1E_T6_T7_T9_mT8_S1G_bDpT10_ENKUlT_T0_E_clISt17integral_constantIbLb1EES1U_EEDaS1P_S1Q_EUlS1P_E_NS1_11comp_targetILNS1_3genE3ELNS1_11target_archE908ELNS1_3gpuE7ELNS1_3repE0EEENS1_30default_config_static_selectorELNS0_4arch9wavefront6targetE0EEEvS12_,comdat
.Lfunc_end1479:
	.size	_ZN7rocprim17ROCPRIM_400000_NS6detail17trampoline_kernelINS0_13select_configILj256ELj13ELNS0_17block_load_methodE3ELS4_3ELS4_3ELNS0_20block_scan_algorithmE0ELj4294967295EEENS1_25partition_config_selectorILNS1_17partition_subalgoE4EjNS0_10empty_typeEbEEZZNS1_14partition_implILS8_4ELb0ES6_15HIP_vector_typeIjLj2EENS0_17counting_iteratorIjlEEPS9_SG_NS0_5tupleIJPjSI_NS0_16reverse_iteratorISI_EEEEENSH_IJSG_SG_SG_EEES9_SI_JZNS1_25segmented_radix_sort_implINS0_14default_configELb1EPKbPbPKlPlN2at6native12_GLOBAL__N_18offset_tEEE10hipError_tPvRmT1_PNSt15iterator_traitsIS12_E10value_typeET2_T3_PNS13_IS18_E10value_typeET4_jRbjT5_S1E_jjP12ihipStream_tbEUljE_ZNSN_ISO_Lb1ESQ_SR_ST_SU_SY_EESZ_S10_S11_S12_S16_S17_S18_S1B_S1C_jS1D_jS1E_S1E_jjS1G_bEUljE0_EEESZ_S10_S11_S18_S1C_S1E_T6_T7_T9_mT8_S1G_bDpT10_ENKUlT_T0_E_clISt17integral_constantIbLb1EES1U_EEDaS1P_S1Q_EUlS1P_E_NS1_11comp_targetILNS1_3genE3ELNS1_11target_archE908ELNS1_3gpuE7ELNS1_3repE0EEENS1_30default_config_static_selectorELNS0_4arch9wavefront6targetE0EEEvS12_, .Lfunc_end1479-_ZN7rocprim17ROCPRIM_400000_NS6detail17trampoline_kernelINS0_13select_configILj256ELj13ELNS0_17block_load_methodE3ELS4_3ELS4_3ELNS0_20block_scan_algorithmE0ELj4294967295EEENS1_25partition_config_selectorILNS1_17partition_subalgoE4EjNS0_10empty_typeEbEEZZNS1_14partition_implILS8_4ELb0ES6_15HIP_vector_typeIjLj2EENS0_17counting_iteratorIjlEEPS9_SG_NS0_5tupleIJPjSI_NS0_16reverse_iteratorISI_EEEEENSH_IJSG_SG_SG_EEES9_SI_JZNS1_25segmented_radix_sort_implINS0_14default_configELb1EPKbPbPKlPlN2at6native12_GLOBAL__N_18offset_tEEE10hipError_tPvRmT1_PNSt15iterator_traitsIS12_E10value_typeET2_T3_PNS13_IS18_E10value_typeET4_jRbjT5_S1E_jjP12ihipStream_tbEUljE_ZNSN_ISO_Lb1ESQ_SR_ST_SU_SY_EESZ_S10_S11_S12_S16_S17_S18_S1B_S1C_jS1D_jS1E_S1E_jjS1G_bEUljE0_EEESZ_S10_S11_S18_S1C_S1E_T6_T7_T9_mT8_S1G_bDpT10_ENKUlT_T0_E_clISt17integral_constantIbLb1EES1U_EEDaS1P_S1Q_EUlS1P_E_NS1_11comp_targetILNS1_3genE3ELNS1_11target_archE908ELNS1_3gpuE7ELNS1_3repE0EEENS1_30default_config_static_selectorELNS0_4arch9wavefront6targetE0EEEvS12_
                                        ; -- End function
	.set _ZN7rocprim17ROCPRIM_400000_NS6detail17trampoline_kernelINS0_13select_configILj256ELj13ELNS0_17block_load_methodE3ELS4_3ELS4_3ELNS0_20block_scan_algorithmE0ELj4294967295EEENS1_25partition_config_selectorILNS1_17partition_subalgoE4EjNS0_10empty_typeEbEEZZNS1_14partition_implILS8_4ELb0ES6_15HIP_vector_typeIjLj2EENS0_17counting_iteratorIjlEEPS9_SG_NS0_5tupleIJPjSI_NS0_16reverse_iteratorISI_EEEEENSH_IJSG_SG_SG_EEES9_SI_JZNS1_25segmented_radix_sort_implINS0_14default_configELb1EPKbPbPKlPlN2at6native12_GLOBAL__N_18offset_tEEE10hipError_tPvRmT1_PNSt15iterator_traitsIS12_E10value_typeET2_T3_PNS13_IS18_E10value_typeET4_jRbjT5_S1E_jjP12ihipStream_tbEUljE_ZNSN_ISO_Lb1ESQ_SR_ST_SU_SY_EESZ_S10_S11_S12_S16_S17_S18_S1B_S1C_jS1D_jS1E_S1E_jjS1G_bEUljE0_EEESZ_S10_S11_S18_S1C_S1E_T6_T7_T9_mT8_S1G_bDpT10_ENKUlT_T0_E_clISt17integral_constantIbLb1EES1U_EEDaS1P_S1Q_EUlS1P_E_NS1_11comp_targetILNS1_3genE3ELNS1_11target_archE908ELNS1_3gpuE7ELNS1_3repE0EEENS1_30default_config_static_selectorELNS0_4arch9wavefront6targetE0EEEvS12_.num_vgpr, 0
	.set _ZN7rocprim17ROCPRIM_400000_NS6detail17trampoline_kernelINS0_13select_configILj256ELj13ELNS0_17block_load_methodE3ELS4_3ELS4_3ELNS0_20block_scan_algorithmE0ELj4294967295EEENS1_25partition_config_selectorILNS1_17partition_subalgoE4EjNS0_10empty_typeEbEEZZNS1_14partition_implILS8_4ELb0ES6_15HIP_vector_typeIjLj2EENS0_17counting_iteratorIjlEEPS9_SG_NS0_5tupleIJPjSI_NS0_16reverse_iteratorISI_EEEEENSH_IJSG_SG_SG_EEES9_SI_JZNS1_25segmented_radix_sort_implINS0_14default_configELb1EPKbPbPKlPlN2at6native12_GLOBAL__N_18offset_tEEE10hipError_tPvRmT1_PNSt15iterator_traitsIS12_E10value_typeET2_T3_PNS13_IS18_E10value_typeET4_jRbjT5_S1E_jjP12ihipStream_tbEUljE_ZNSN_ISO_Lb1ESQ_SR_ST_SU_SY_EESZ_S10_S11_S12_S16_S17_S18_S1B_S1C_jS1D_jS1E_S1E_jjS1G_bEUljE0_EEESZ_S10_S11_S18_S1C_S1E_T6_T7_T9_mT8_S1G_bDpT10_ENKUlT_T0_E_clISt17integral_constantIbLb1EES1U_EEDaS1P_S1Q_EUlS1P_E_NS1_11comp_targetILNS1_3genE3ELNS1_11target_archE908ELNS1_3gpuE7ELNS1_3repE0EEENS1_30default_config_static_selectorELNS0_4arch9wavefront6targetE0EEEvS12_.num_agpr, 0
	.set _ZN7rocprim17ROCPRIM_400000_NS6detail17trampoline_kernelINS0_13select_configILj256ELj13ELNS0_17block_load_methodE3ELS4_3ELS4_3ELNS0_20block_scan_algorithmE0ELj4294967295EEENS1_25partition_config_selectorILNS1_17partition_subalgoE4EjNS0_10empty_typeEbEEZZNS1_14partition_implILS8_4ELb0ES6_15HIP_vector_typeIjLj2EENS0_17counting_iteratorIjlEEPS9_SG_NS0_5tupleIJPjSI_NS0_16reverse_iteratorISI_EEEEENSH_IJSG_SG_SG_EEES9_SI_JZNS1_25segmented_radix_sort_implINS0_14default_configELb1EPKbPbPKlPlN2at6native12_GLOBAL__N_18offset_tEEE10hipError_tPvRmT1_PNSt15iterator_traitsIS12_E10value_typeET2_T3_PNS13_IS18_E10value_typeET4_jRbjT5_S1E_jjP12ihipStream_tbEUljE_ZNSN_ISO_Lb1ESQ_SR_ST_SU_SY_EESZ_S10_S11_S12_S16_S17_S18_S1B_S1C_jS1D_jS1E_S1E_jjS1G_bEUljE0_EEESZ_S10_S11_S18_S1C_S1E_T6_T7_T9_mT8_S1G_bDpT10_ENKUlT_T0_E_clISt17integral_constantIbLb1EES1U_EEDaS1P_S1Q_EUlS1P_E_NS1_11comp_targetILNS1_3genE3ELNS1_11target_archE908ELNS1_3gpuE7ELNS1_3repE0EEENS1_30default_config_static_selectorELNS0_4arch9wavefront6targetE0EEEvS12_.numbered_sgpr, 0
	.set _ZN7rocprim17ROCPRIM_400000_NS6detail17trampoline_kernelINS0_13select_configILj256ELj13ELNS0_17block_load_methodE3ELS4_3ELS4_3ELNS0_20block_scan_algorithmE0ELj4294967295EEENS1_25partition_config_selectorILNS1_17partition_subalgoE4EjNS0_10empty_typeEbEEZZNS1_14partition_implILS8_4ELb0ES6_15HIP_vector_typeIjLj2EENS0_17counting_iteratorIjlEEPS9_SG_NS0_5tupleIJPjSI_NS0_16reverse_iteratorISI_EEEEENSH_IJSG_SG_SG_EEES9_SI_JZNS1_25segmented_radix_sort_implINS0_14default_configELb1EPKbPbPKlPlN2at6native12_GLOBAL__N_18offset_tEEE10hipError_tPvRmT1_PNSt15iterator_traitsIS12_E10value_typeET2_T3_PNS13_IS18_E10value_typeET4_jRbjT5_S1E_jjP12ihipStream_tbEUljE_ZNSN_ISO_Lb1ESQ_SR_ST_SU_SY_EESZ_S10_S11_S12_S16_S17_S18_S1B_S1C_jS1D_jS1E_S1E_jjS1G_bEUljE0_EEESZ_S10_S11_S18_S1C_S1E_T6_T7_T9_mT8_S1G_bDpT10_ENKUlT_T0_E_clISt17integral_constantIbLb1EES1U_EEDaS1P_S1Q_EUlS1P_E_NS1_11comp_targetILNS1_3genE3ELNS1_11target_archE908ELNS1_3gpuE7ELNS1_3repE0EEENS1_30default_config_static_selectorELNS0_4arch9wavefront6targetE0EEEvS12_.num_named_barrier, 0
	.set _ZN7rocprim17ROCPRIM_400000_NS6detail17trampoline_kernelINS0_13select_configILj256ELj13ELNS0_17block_load_methodE3ELS4_3ELS4_3ELNS0_20block_scan_algorithmE0ELj4294967295EEENS1_25partition_config_selectorILNS1_17partition_subalgoE4EjNS0_10empty_typeEbEEZZNS1_14partition_implILS8_4ELb0ES6_15HIP_vector_typeIjLj2EENS0_17counting_iteratorIjlEEPS9_SG_NS0_5tupleIJPjSI_NS0_16reverse_iteratorISI_EEEEENSH_IJSG_SG_SG_EEES9_SI_JZNS1_25segmented_radix_sort_implINS0_14default_configELb1EPKbPbPKlPlN2at6native12_GLOBAL__N_18offset_tEEE10hipError_tPvRmT1_PNSt15iterator_traitsIS12_E10value_typeET2_T3_PNS13_IS18_E10value_typeET4_jRbjT5_S1E_jjP12ihipStream_tbEUljE_ZNSN_ISO_Lb1ESQ_SR_ST_SU_SY_EESZ_S10_S11_S12_S16_S17_S18_S1B_S1C_jS1D_jS1E_S1E_jjS1G_bEUljE0_EEESZ_S10_S11_S18_S1C_S1E_T6_T7_T9_mT8_S1G_bDpT10_ENKUlT_T0_E_clISt17integral_constantIbLb1EES1U_EEDaS1P_S1Q_EUlS1P_E_NS1_11comp_targetILNS1_3genE3ELNS1_11target_archE908ELNS1_3gpuE7ELNS1_3repE0EEENS1_30default_config_static_selectorELNS0_4arch9wavefront6targetE0EEEvS12_.private_seg_size, 0
	.set _ZN7rocprim17ROCPRIM_400000_NS6detail17trampoline_kernelINS0_13select_configILj256ELj13ELNS0_17block_load_methodE3ELS4_3ELS4_3ELNS0_20block_scan_algorithmE0ELj4294967295EEENS1_25partition_config_selectorILNS1_17partition_subalgoE4EjNS0_10empty_typeEbEEZZNS1_14partition_implILS8_4ELb0ES6_15HIP_vector_typeIjLj2EENS0_17counting_iteratorIjlEEPS9_SG_NS0_5tupleIJPjSI_NS0_16reverse_iteratorISI_EEEEENSH_IJSG_SG_SG_EEES9_SI_JZNS1_25segmented_radix_sort_implINS0_14default_configELb1EPKbPbPKlPlN2at6native12_GLOBAL__N_18offset_tEEE10hipError_tPvRmT1_PNSt15iterator_traitsIS12_E10value_typeET2_T3_PNS13_IS18_E10value_typeET4_jRbjT5_S1E_jjP12ihipStream_tbEUljE_ZNSN_ISO_Lb1ESQ_SR_ST_SU_SY_EESZ_S10_S11_S12_S16_S17_S18_S1B_S1C_jS1D_jS1E_S1E_jjS1G_bEUljE0_EEESZ_S10_S11_S18_S1C_S1E_T6_T7_T9_mT8_S1G_bDpT10_ENKUlT_T0_E_clISt17integral_constantIbLb1EES1U_EEDaS1P_S1Q_EUlS1P_E_NS1_11comp_targetILNS1_3genE3ELNS1_11target_archE908ELNS1_3gpuE7ELNS1_3repE0EEENS1_30default_config_static_selectorELNS0_4arch9wavefront6targetE0EEEvS12_.uses_vcc, 0
	.set _ZN7rocprim17ROCPRIM_400000_NS6detail17trampoline_kernelINS0_13select_configILj256ELj13ELNS0_17block_load_methodE3ELS4_3ELS4_3ELNS0_20block_scan_algorithmE0ELj4294967295EEENS1_25partition_config_selectorILNS1_17partition_subalgoE4EjNS0_10empty_typeEbEEZZNS1_14partition_implILS8_4ELb0ES6_15HIP_vector_typeIjLj2EENS0_17counting_iteratorIjlEEPS9_SG_NS0_5tupleIJPjSI_NS0_16reverse_iteratorISI_EEEEENSH_IJSG_SG_SG_EEES9_SI_JZNS1_25segmented_radix_sort_implINS0_14default_configELb1EPKbPbPKlPlN2at6native12_GLOBAL__N_18offset_tEEE10hipError_tPvRmT1_PNSt15iterator_traitsIS12_E10value_typeET2_T3_PNS13_IS18_E10value_typeET4_jRbjT5_S1E_jjP12ihipStream_tbEUljE_ZNSN_ISO_Lb1ESQ_SR_ST_SU_SY_EESZ_S10_S11_S12_S16_S17_S18_S1B_S1C_jS1D_jS1E_S1E_jjS1G_bEUljE0_EEESZ_S10_S11_S18_S1C_S1E_T6_T7_T9_mT8_S1G_bDpT10_ENKUlT_T0_E_clISt17integral_constantIbLb1EES1U_EEDaS1P_S1Q_EUlS1P_E_NS1_11comp_targetILNS1_3genE3ELNS1_11target_archE908ELNS1_3gpuE7ELNS1_3repE0EEENS1_30default_config_static_selectorELNS0_4arch9wavefront6targetE0EEEvS12_.uses_flat_scratch, 0
	.set _ZN7rocprim17ROCPRIM_400000_NS6detail17trampoline_kernelINS0_13select_configILj256ELj13ELNS0_17block_load_methodE3ELS4_3ELS4_3ELNS0_20block_scan_algorithmE0ELj4294967295EEENS1_25partition_config_selectorILNS1_17partition_subalgoE4EjNS0_10empty_typeEbEEZZNS1_14partition_implILS8_4ELb0ES6_15HIP_vector_typeIjLj2EENS0_17counting_iteratorIjlEEPS9_SG_NS0_5tupleIJPjSI_NS0_16reverse_iteratorISI_EEEEENSH_IJSG_SG_SG_EEES9_SI_JZNS1_25segmented_radix_sort_implINS0_14default_configELb1EPKbPbPKlPlN2at6native12_GLOBAL__N_18offset_tEEE10hipError_tPvRmT1_PNSt15iterator_traitsIS12_E10value_typeET2_T3_PNS13_IS18_E10value_typeET4_jRbjT5_S1E_jjP12ihipStream_tbEUljE_ZNSN_ISO_Lb1ESQ_SR_ST_SU_SY_EESZ_S10_S11_S12_S16_S17_S18_S1B_S1C_jS1D_jS1E_S1E_jjS1G_bEUljE0_EEESZ_S10_S11_S18_S1C_S1E_T6_T7_T9_mT8_S1G_bDpT10_ENKUlT_T0_E_clISt17integral_constantIbLb1EES1U_EEDaS1P_S1Q_EUlS1P_E_NS1_11comp_targetILNS1_3genE3ELNS1_11target_archE908ELNS1_3gpuE7ELNS1_3repE0EEENS1_30default_config_static_selectorELNS0_4arch9wavefront6targetE0EEEvS12_.has_dyn_sized_stack, 0
	.set _ZN7rocprim17ROCPRIM_400000_NS6detail17trampoline_kernelINS0_13select_configILj256ELj13ELNS0_17block_load_methodE3ELS4_3ELS4_3ELNS0_20block_scan_algorithmE0ELj4294967295EEENS1_25partition_config_selectorILNS1_17partition_subalgoE4EjNS0_10empty_typeEbEEZZNS1_14partition_implILS8_4ELb0ES6_15HIP_vector_typeIjLj2EENS0_17counting_iteratorIjlEEPS9_SG_NS0_5tupleIJPjSI_NS0_16reverse_iteratorISI_EEEEENSH_IJSG_SG_SG_EEES9_SI_JZNS1_25segmented_radix_sort_implINS0_14default_configELb1EPKbPbPKlPlN2at6native12_GLOBAL__N_18offset_tEEE10hipError_tPvRmT1_PNSt15iterator_traitsIS12_E10value_typeET2_T3_PNS13_IS18_E10value_typeET4_jRbjT5_S1E_jjP12ihipStream_tbEUljE_ZNSN_ISO_Lb1ESQ_SR_ST_SU_SY_EESZ_S10_S11_S12_S16_S17_S18_S1B_S1C_jS1D_jS1E_S1E_jjS1G_bEUljE0_EEESZ_S10_S11_S18_S1C_S1E_T6_T7_T9_mT8_S1G_bDpT10_ENKUlT_T0_E_clISt17integral_constantIbLb1EES1U_EEDaS1P_S1Q_EUlS1P_E_NS1_11comp_targetILNS1_3genE3ELNS1_11target_archE908ELNS1_3gpuE7ELNS1_3repE0EEENS1_30default_config_static_selectorELNS0_4arch9wavefront6targetE0EEEvS12_.has_recursion, 0
	.set _ZN7rocprim17ROCPRIM_400000_NS6detail17trampoline_kernelINS0_13select_configILj256ELj13ELNS0_17block_load_methodE3ELS4_3ELS4_3ELNS0_20block_scan_algorithmE0ELj4294967295EEENS1_25partition_config_selectorILNS1_17partition_subalgoE4EjNS0_10empty_typeEbEEZZNS1_14partition_implILS8_4ELb0ES6_15HIP_vector_typeIjLj2EENS0_17counting_iteratorIjlEEPS9_SG_NS0_5tupleIJPjSI_NS0_16reverse_iteratorISI_EEEEENSH_IJSG_SG_SG_EEES9_SI_JZNS1_25segmented_radix_sort_implINS0_14default_configELb1EPKbPbPKlPlN2at6native12_GLOBAL__N_18offset_tEEE10hipError_tPvRmT1_PNSt15iterator_traitsIS12_E10value_typeET2_T3_PNS13_IS18_E10value_typeET4_jRbjT5_S1E_jjP12ihipStream_tbEUljE_ZNSN_ISO_Lb1ESQ_SR_ST_SU_SY_EESZ_S10_S11_S12_S16_S17_S18_S1B_S1C_jS1D_jS1E_S1E_jjS1G_bEUljE0_EEESZ_S10_S11_S18_S1C_S1E_T6_T7_T9_mT8_S1G_bDpT10_ENKUlT_T0_E_clISt17integral_constantIbLb1EES1U_EEDaS1P_S1Q_EUlS1P_E_NS1_11comp_targetILNS1_3genE3ELNS1_11target_archE908ELNS1_3gpuE7ELNS1_3repE0EEENS1_30default_config_static_selectorELNS0_4arch9wavefront6targetE0EEEvS12_.has_indirect_call, 0
	.section	.AMDGPU.csdata,"",@progbits
; Kernel info:
; codeLenInByte = 0
; TotalNumSgprs: 0
; NumVgprs: 0
; ScratchSize: 0
; MemoryBound: 0
; FloatMode: 240
; IeeeMode: 1
; LDSByteSize: 0 bytes/workgroup (compile time only)
; SGPRBlocks: 0
; VGPRBlocks: 0
; NumSGPRsForWavesPerEU: 1
; NumVGPRsForWavesPerEU: 1
; Occupancy: 16
; WaveLimiterHint : 0
; COMPUTE_PGM_RSRC2:SCRATCH_EN: 0
; COMPUTE_PGM_RSRC2:USER_SGPR: 2
; COMPUTE_PGM_RSRC2:TRAP_HANDLER: 0
; COMPUTE_PGM_RSRC2:TGID_X_EN: 1
; COMPUTE_PGM_RSRC2:TGID_Y_EN: 0
; COMPUTE_PGM_RSRC2:TGID_Z_EN: 0
; COMPUTE_PGM_RSRC2:TIDIG_COMP_CNT: 0
	.section	.text._ZN7rocprim17ROCPRIM_400000_NS6detail17trampoline_kernelINS0_13select_configILj256ELj13ELNS0_17block_load_methodE3ELS4_3ELS4_3ELNS0_20block_scan_algorithmE0ELj4294967295EEENS1_25partition_config_selectorILNS1_17partition_subalgoE4EjNS0_10empty_typeEbEEZZNS1_14partition_implILS8_4ELb0ES6_15HIP_vector_typeIjLj2EENS0_17counting_iteratorIjlEEPS9_SG_NS0_5tupleIJPjSI_NS0_16reverse_iteratorISI_EEEEENSH_IJSG_SG_SG_EEES9_SI_JZNS1_25segmented_radix_sort_implINS0_14default_configELb1EPKbPbPKlPlN2at6native12_GLOBAL__N_18offset_tEEE10hipError_tPvRmT1_PNSt15iterator_traitsIS12_E10value_typeET2_T3_PNS13_IS18_E10value_typeET4_jRbjT5_S1E_jjP12ihipStream_tbEUljE_ZNSN_ISO_Lb1ESQ_SR_ST_SU_SY_EESZ_S10_S11_S12_S16_S17_S18_S1B_S1C_jS1D_jS1E_S1E_jjS1G_bEUljE0_EEESZ_S10_S11_S18_S1C_S1E_T6_T7_T9_mT8_S1G_bDpT10_ENKUlT_T0_E_clISt17integral_constantIbLb1EES1U_EEDaS1P_S1Q_EUlS1P_E_NS1_11comp_targetILNS1_3genE2ELNS1_11target_archE906ELNS1_3gpuE6ELNS1_3repE0EEENS1_30default_config_static_selectorELNS0_4arch9wavefront6targetE0EEEvS12_,"axG",@progbits,_ZN7rocprim17ROCPRIM_400000_NS6detail17trampoline_kernelINS0_13select_configILj256ELj13ELNS0_17block_load_methodE3ELS4_3ELS4_3ELNS0_20block_scan_algorithmE0ELj4294967295EEENS1_25partition_config_selectorILNS1_17partition_subalgoE4EjNS0_10empty_typeEbEEZZNS1_14partition_implILS8_4ELb0ES6_15HIP_vector_typeIjLj2EENS0_17counting_iteratorIjlEEPS9_SG_NS0_5tupleIJPjSI_NS0_16reverse_iteratorISI_EEEEENSH_IJSG_SG_SG_EEES9_SI_JZNS1_25segmented_radix_sort_implINS0_14default_configELb1EPKbPbPKlPlN2at6native12_GLOBAL__N_18offset_tEEE10hipError_tPvRmT1_PNSt15iterator_traitsIS12_E10value_typeET2_T3_PNS13_IS18_E10value_typeET4_jRbjT5_S1E_jjP12ihipStream_tbEUljE_ZNSN_ISO_Lb1ESQ_SR_ST_SU_SY_EESZ_S10_S11_S12_S16_S17_S18_S1B_S1C_jS1D_jS1E_S1E_jjS1G_bEUljE0_EEESZ_S10_S11_S18_S1C_S1E_T6_T7_T9_mT8_S1G_bDpT10_ENKUlT_T0_E_clISt17integral_constantIbLb1EES1U_EEDaS1P_S1Q_EUlS1P_E_NS1_11comp_targetILNS1_3genE2ELNS1_11target_archE906ELNS1_3gpuE6ELNS1_3repE0EEENS1_30default_config_static_selectorELNS0_4arch9wavefront6targetE0EEEvS12_,comdat
	.globl	_ZN7rocprim17ROCPRIM_400000_NS6detail17trampoline_kernelINS0_13select_configILj256ELj13ELNS0_17block_load_methodE3ELS4_3ELS4_3ELNS0_20block_scan_algorithmE0ELj4294967295EEENS1_25partition_config_selectorILNS1_17partition_subalgoE4EjNS0_10empty_typeEbEEZZNS1_14partition_implILS8_4ELb0ES6_15HIP_vector_typeIjLj2EENS0_17counting_iteratorIjlEEPS9_SG_NS0_5tupleIJPjSI_NS0_16reverse_iteratorISI_EEEEENSH_IJSG_SG_SG_EEES9_SI_JZNS1_25segmented_radix_sort_implINS0_14default_configELb1EPKbPbPKlPlN2at6native12_GLOBAL__N_18offset_tEEE10hipError_tPvRmT1_PNSt15iterator_traitsIS12_E10value_typeET2_T3_PNS13_IS18_E10value_typeET4_jRbjT5_S1E_jjP12ihipStream_tbEUljE_ZNSN_ISO_Lb1ESQ_SR_ST_SU_SY_EESZ_S10_S11_S12_S16_S17_S18_S1B_S1C_jS1D_jS1E_S1E_jjS1G_bEUljE0_EEESZ_S10_S11_S18_S1C_S1E_T6_T7_T9_mT8_S1G_bDpT10_ENKUlT_T0_E_clISt17integral_constantIbLb1EES1U_EEDaS1P_S1Q_EUlS1P_E_NS1_11comp_targetILNS1_3genE2ELNS1_11target_archE906ELNS1_3gpuE6ELNS1_3repE0EEENS1_30default_config_static_selectorELNS0_4arch9wavefront6targetE0EEEvS12_ ; -- Begin function _ZN7rocprim17ROCPRIM_400000_NS6detail17trampoline_kernelINS0_13select_configILj256ELj13ELNS0_17block_load_methodE3ELS4_3ELS4_3ELNS0_20block_scan_algorithmE0ELj4294967295EEENS1_25partition_config_selectorILNS1_17partition_subalgoE4EjNS0_10empty_typeEbEEZZNS1_14partition_implILS8_4ELb0ES6_15HIP_vector_typeIjLj2EENS0_17counting_iteratorIjlEEPS9_SG_NS0_5tupleIJPjSI_NS0_16reverse_iteratorISI_EEEEENSH_IJSG_SG_SG_EEES9_SI_JZNS1_25segmented_radix_sort_implINS0_14default_configELb1EPKbPbPKlPlN2at6native12_GLOBAL__N_18offset_tEEE10hipError_tPvRmT1_PNSt15iterator_traitsIS12_E10value_typeET2_T3_PNS13_IS18_E10value_typeET4_jRbjT5_S1E_jjP12ihipStream_tbEUljE_ZNSN_ISO_Lb1ESQ_SR_ST_SU_SY_EESZ_S10_S11_S12_S16_S17_S18_S1B_S1C_jS1D_jS1E_S1E_jjS1G_bEUljE0_EEESZ_S10_S11_S18_S1C_S1E_T6_T7_T9_mT8_S1G_bDpT10_ENKUlT_T0_E_clISt17integral_constantIbLb1EES1U_EEDaS1P_S1Q_EUlS1P_E_NS1_11comp_targetILNS1_3genE2ELNS1_11target_archE906ELNS1_3gpuE6ELNS1_3repE0EEENS1_30default_config_static_selectorELNS0_4arch9wavefront6targetE0EEEvS12_
	.p2align	8
	.type	_ZN7rocprim17ROCPRIM_400000_NS6detail17trampoline_kernelINS0_13select_configILj256ELj13ELNS0_17block_load_methodE3ELS4_3ELS4_3ELNS0_20block_scan_algorithmE0ELj4294967295EEENS1_25partition_config_selectorILNS1_17partition_subalgoE4EjNS0_10empty_typeEbEEZZNS1_14partition_implILS8_4ELb0ES6_15HIP_vector_typeIjLj2EENS0_17counting_iteratorIjlEEPS9_SG_NS0_5tupleIJPjSI_NS0_16reverse_iteratorISI_EEEEENSH_IJSG_SG_SG_EEES9_SI_JZNS1_25segmented_radix_sort_implINS0_14default_configELb1EPKbPbPKlPlN2at6native12_GLOBAL__N_18offset_tEEE10hipError_tPvRmT1_PNSt15iterator_traitsIS12_E10value_typeET2_T3_PNS13_IS18_E10value_typeET4_jRbjT5_S1E_jjP12ihipStream_tbEUljE_ZNSN_ISO_Lb1ESQ_SR_ST_SU_SY_EESZ_S10_S11_S12_S16_S17_S18_S1B_S1C_jS1D_jS1E_S1E_jjS1G_bEUljE0_EEESZ_S10_S11_S18_S1C_S1E_T6_T7_T9_mT8_S1G_bDpT10_ENKUlT_T0_E_clISt17integral_constantIbLb1EES1U_EEDaS1P_S1Q_EUlS1P_E_NS1_11comp_targetILNS1_3genE2ELNS1_11target_archE906ELNS1_3gpuE6ELNS1_3repE0EEENS1_30default_config_static_selectorELNS0_4arch9wavefront6targetE0EEEvS12_,@function
_ZN7rocprim17ROCPRIM_400000_NS6detail17trampoline_kernelINS0_13select_configILj256ELj13ELNS0_17block_load_methodE3ELS4_3ELS4_3ELNS0_20block_scan_algorithmE0ELj4294967295EEENS1_25partition_config_selectorILNS1_17partition_subalgoE4EjNS0_10empty_typeEbEEZZNS1_14partition_implILS8_4ELb0ES6_15HIP_vector_typeIjLj2EENS0_17counting_iteratorIjlEEPS9_SG_NS0_5tupleIJPjSI_NS0_16reverse_iteratorISI_EEEEENSH_IJSG_SG_SG_EEES9_SI_JZNS1_25segmented_radix_sort_implINS0_14default_configELb1EPKbPbPKlPlN2at6native12_GLOBAL__N_18offset_tEEE10hipError_tPvRmT1_PNSt15iterator_traitsIS12_E10value_typeET2_T3_PNS13_IS18_E10value_typeET4_jRbjT5_S1E_jjP12ihipStream_tbEUljE_ZNSN_ISO_Lb1ESQ_SR_ST_SU_SY_EESZ_S10_S11_S12_S16_S17_S18_S1B_S1C_jS1D_jS1E_S1E_jjS1G_bEUljE0_EEESZ_S10_S11_S18_S1C_S1E_T6_T7_T9_mT8_S1G_bDpT10_ENKUlT_T0_E_clISt17integral_constantIbLb1EES1U_EEDaS1P_S1Q_EUlS1P_E_NS1_11comp_targetILNS1_3genE2ELNS1_11target_archE906ELNS1_3gpuE6ELNS1_3repE0EEENS1_30default_config_static_selectorELNS0_4arch9wavefront6targetE0EEEvS12_: ; @_ZN7rocprim17ROCPRIM_400000_NS6detail17trampoline_kernelINS0_13select_configILj256ELj13ELNS0_17block_load_methodE3ELS4_3ELS4_3ELNS0_20block_scan_algorithmE0ELj4294967295EEENS1_25partition_config_selectorILNS1_17partition_subalgoE4EjNS0_10empty_typeEbEEZZNS1_14partition_implILS8_4ELb0ES6_15HIP_vector_typeIjLj2EENS0_17counting_iteratorIjlEEPS9_SG_NS0_5tupleIJPjSI_NS0_16reverse_iteratorISI_EEEEENSH_IJSG_SG_SG_EEES9_SI_JZNS1_25segmented_radix_sort_implINS0_14default_configELb1EPKbPbPKlPlN2at6native12_GLOBAL__N_18offset_tEEE10hipError_tPvRmT1_PNSt15iterator_traitsIS12_E10value_typeET2_T3_PNS13_IS18_E10value_typeET4_jRbjT5_S1E_jjP12ihipStream_tbEUljE_ZNSN_ISO_Lb1ESQ_SR_ST_SU_SY_EESZ_S10_S11_S12_S16_S17_S18_S1B_S1C_jS1D_jS1E_S1E_jjS1G_bEUljE0_EEESZ_S10_S11_S18_S1C_S1E_T6_T7_T9_mT8_S1G_bDpT10_ENKUlT_T0_E_clISt17integral_constantIbLb1EES1U_EEDaS1P_S1Q_EUlS1P_E_NS1_11comp_targetILNS1_3genE2ELNS1_11target_archE906ELNS1_3gpuE6ELNS1_3repE0EEENS1_30default_config_static_selectorELNS0_4arch9wavefront6targetE0EEEvS12_
; %bb.0:
	.section	.rodata,"a",@progbits
	.p2align	6, 0x0
	.amdhsa_kernel _ZN7rocprim17ROCPRIM_400000_NS6detail17trampoline_kernelINS0_13select_configILj256ELj13ELNS0_17block_load_methodE3ELS4_3ELS4_3ELNS0_20block_scan_algorithmE0ELj4294967295EEENS1_25partition_config_selectorILNS1_17partition_subalgoE4EjNS0_10empty_typeEbEEZZNS1_14partition_implILS8_4ELb0ES6_15HIP_vector_typeIjLj2EENS0_17counting_iteratorIjlEEPS9_SG_NS0_5tupleIJPjSI_NS0_16reverse_iteratorISI_EEEEENSH_IJSG_SG_SG_EEES9_SI_JZNS1_25segmented_radix_sort_implINS0_14default_configELb1EPKbPbPKlPlN2at6native12_GLOBAL__N_18offset_tEEE10hipError_tPvRmT1_PNSt15iterator_traitsIS12_E10value_typeET2_T3_PNS13_IS18_E10value_typeET4_jRbjT5_S1E_jjP12ihipStream_tbEUljE_ZNSN_ISO_Lb1ESQ_SR_ST_SU_SY_EESZ_S10_S11_S12_S16_S17_S18_S1B_S1C_jS1D_jS1E_S1E_jjS1G_bEUljE0_EEESZ_S10_S11_S18_S1C_S1E_T6_T7_T9_mT8_S1G_bDpT10_ENKUlT_T0_E_clISt17integral_constantIbLb1EES1U_EEDaS1P_S1Q_EUlS1P_E_NS1_11comp_targetILNS1_3genE2ELNS1_11target_archE906ELNS1_3gpuE6ELNS1_3repE0EEENS1_30default_config_static_selectorELNS0_4arch9wavefront6targetE0EEEvS12_
		.amdhsa_group_segment_fixed_size 0
		.amdhsa_private_segment_fixed_size 0
		.amdhsa_kernarg_size 184
		.amdhsa_user_sgpr_count 2
		.amdhsa_user_sgpr_dispatch_ptr 0
		.amdhsa_user_sgpr_queue_ptr 0
		.amdhsa_user_sgpr_kernarg_segment_ptr 1
		.amdhsa_user_sgpr_dispatch_id 0
		.amdhsa_user_sgpr_private_segment_size 0
		.amdhsa_wavefront_size32 1
		.amdhsa_uses_dynamic_stack 0
		.amdhsa_enable_private_segment 0
		.amdhsa_system_sgpr_workgroup_id_x 1
		.amdhsa_system_sgpr_workgroup_id_y 0
		.amdhsa_system_sgpr_workgroup_id_z 0
		.amdhsa_system_sgpr_workgroup_info 0
		.amdhsa_system_vgpr_workitem_id 0
		.amdhsa_next_free_vgpr 1
		.amdhsa_next_free_sgpr 1
		.amdhsa_reserve_vcc 0
		.amdhsa_float_round_mode_32 0
		.amdhsa_float_round_mode_16_64 0
		.amdhsa_float_denorm_mode_32 3
		.amdhsa_float_denorm_mode_16_64 3
		.amdhsa_fp16_overflow 0
		.amdhsa_workgroup_processor_mode 1
		.amdhsa_memory_ordered 1
		.amdhsa_forward_progress 1
		.amdhsa_inst_pref_size 0
		.amdhsa_round_robin_scheduling 0
		.amdhsa_exception_fp_ieee_invalid_op 0
		.amdhsa_exception_fp_denorm_src 0
		.amdhsa_exception_fp_ieee_div_zero 0
		.amdhsa_exception_fp_ieee_overflow 0
		.amdhsa_exception_fp_ieee_underflow 0
		.amdhsa_exception_fp_ieee_inexact 0
		.amdhsa_exception_int_div_zero 0
	.end_amdhsa_kernel
	.section	.text._ZN7rocprim17ROCPRIM_400000_NS6detail17trampoline_kernelINS0_13select_configILj256ELj13ELNS0_17block_load_methodE3ELS4_3ELS4_3ELNS0_20block_scan_algorithmE0ELj4294967295EEENS1_25partition_config_selectorILNS1_17partition_subalgoE4EjNS0_10empty_typeEbEEZZNS1_14partition_implILS8_4ELb0ES6_15HIP_vector_typeIjLj2EENS0_17counting_iteratorIjlEEPS9_SG_NS0_5tupleIJPjSI_NS0_16reverse_iteratorISI_EEEEENSH_IJSG_SG_SG_EEES9_SI_JZNS1_25segmented_radix_sort_implINS0_14default_configELb1EPKbPbPKlPlN2at6native12_GLOBAL__N_18offset_tEEE10hipError_tPvRmT1_PNSt15iterator_traitsIS12_E10value_typeET2_T3_PNS13_IS18_E10value_typeET4_jRbjT5_S1E_jjP12ihipStream_tbEUljE_ZNSN_ISO_Lb1ESQ_SR_ST_SU_SY_EESZ_S10_S11_S12_S16_S17_S18_S1B_S1C_jS1D_jS1E_S1E_jjS1G_bEUljE0_EEESZ_S10_S11_S18_S1C_S1E_T6_T7_T9_mT8_S1G_bDpT10_ENKUlT_T0_E_clISt17integral_constantIbLb1EES1U_EEDaS1P_S1Q_EUlS1P_E_NS1_11comp_targetILNS1_3genE2ELNS1_11target_archE906ELNS1_3gpuE6ELNS1_3repE0EEENS1_30default_config_static_selectorELNS0_4arch9wavefront6targetE0EEEvS12_,"axG",@progbits,_ZN7rocprim17ROCPRIM_400000_NS6detail17trampoline_kernelINS0_13select_configILj256ELj13ELNS0_17block_load_methodE3ELS4_3ELS4_3ELNS0_20block_scan_algorithmE0ELj4294967295EEENS1_25partition_config_selectorILNS1_17partition_subalgoE4EjNS0_10empty_typeEbEEZZNS1_14partition_implILS8_4ELb0ES6_15HIP_vector_typeIjLj2EENS0_17counting_iteratorIjlEEPS9_SG_NS0_5tupleIJPjSI_NS0_16reverse_iteratorISI_EEEEENSH_IJSG_SG_SG_EEES9_SI_JZNS1_25segmented_radix_sort_implINS0_14default_configELb1EPKbPbPKlPlN2at6native12_GLOBAL__N_18offset_tEEE10hipError_tPvRmT1_PNSt15iterator_traitsIS12_E10value_typeET2_T3_PNS13_IS18_E10value_typeET4_jRbjT5_S1E_jjP12ihipStream_tbEUljE_ZNSN_ISO_Lb1ESQ_SR_ST_SU_SY_EESZ_S10_S11_S12_S16_S17_S18_S1B_S1C_jS1D_jS1E_S1E_jjS1G_bEUljE0_EEESZ_S10_S11_S18_S1C_S1E_T6_T7_T9_mT8_S1G_bDpT10_ENKUlT_T0_E_clISt17integral_constantIbLb1EES1U_EEDaS1P_S1Q_EUlS1P_E_NS1_11comp_targetILNS1_3genE2ELNS1_11target_archE906ELNS1_3gpuE6ELNS1_3repE0EEENS1_30default_config_static_selectorELNS0_4arch9wavefront6targetE0EEEvS12_,comdat
.Lfunc_end1480:
	.size	_ZN7rocprim17ROCPRIM_400000_NS6detail17trampoline_kernelINS0_13select_configILj256ELj13ELNS0_17block_load_methodE3ELS4_3ELS4_3ELNS0_20block_scan_algorithmE0ELj4294967295EEENS1_25partition_config_selectorILNS1_17partition_subalgoE4EjNS0_10empty_typeEbEEZZNS1_14partition_implILS8_4ELb0ES6_15HIP_vector_typeIjLj2EENS0_17counting_iteratorIjlEEPS9_SG_NS0_5tupleIJPjSI_NS0_16reverse_iteratorISI_EEEEENSH_IJSG_SG_SG_EEES9_SI_JZNS1_25segmented_radix_sort_implINS0_14default_configELb1EPKbPbPKlPlN2at6native12_GLOBAL__N_18offset_tEEE10hipError_tPvRmT1_PNSt15iterator_traitsIS12_E10value_typeET2_T3_PNS13_IS18_E10value_typeET4_jRbjT5_S1E_jjP12ihipStream_tbEUljE_ZNSN_ISO_Lb1ESQ_SR_ST_SU_SY_EESZ_S10_S11_S12_S16_S17_S18_S1B_S1C_jS1D_jS1E_S1E_jjS1G_bEUljE0_EEESZ_S10_S11_S18_S1C_S1E_T6_T7_T9_mT8_S1G_bDpT10_ENKUlT_T0_E_clISt17integral_constantIbLb1EES1U_EEDaS1P_S1Q_EUlS1P_E_NS1_11comp_targetILNS1_3genE2ELNS1_11target_archE906ELNS1_3gpuE6ELNS1_3repE0EEENS1_30default_config_static_selectorELNS0_4arch9wavefront6targetE0EEEvS12_, .Lfunc_end1480-_ZN7rocprim17ROCPRIM_400000_NS6detail17trampoline_kernelINS0_13select_configILj256ELj13ELNS0_17block_load_methodE3ELS4_3ELS4_3ELNS0_20block_scan_algorithmE0ELj4294967295EEENS1_25partition_config_selectorILNS1_17partition_subalgoE4EjNS0_10empty_typeEbEEZZNS1_14partition_implILS8_4ELb0ES6_15HIP_vector_typeIjLj2EENS0_17counting_iteratorIjlEEPS9_SG_NS0_5tupleIJPjSI_NS0_16reverse_iteratorISI_EEEEENSH_IJSG_SG_SG_EEES9_SI_JZNS1_25segmented_radix_sort_implINS0_14default_configELb1EPKbPbPKlPlN2at6native12_GLOBAL__N_18offset_tEEE10hipError_tPvRmT1_PNSt15iterator_traitsIS12_E10value_typeET2_T3_PNS13_IS18_E10value_typeET4_jRbjT5_S1E_jjP12ihipStream_tbEUljE_ZNSN_ISO_Lb1ESQ_SR_ST_SU_SY_EESZ_S10_S11_S12_S16_S17_S18_S1B_S1C_jS1D_jS1E_S1E_jjS1G_bEUljE0_EEESZ_S10_S11_S18_S1C_S1E_T6_T7_T9_mT8_S1G_bDpT10_ENKUlT_T0_E_clISt17integral_constantIbLb1EES1U_EEDaS1P_S1Q_EUlS1P_E_NS1_11comp_targetILNS1_3genE2ELNS1_11target_archE906ELNS1_3gpuE6ELNS1_3repE0EEENS1_30default_config_static_selectorELNS0_4arch9wavefront6targetE0EEEvS12_
                                        ; -- End function
	.set _ZN7rocprim17ROCPRIM_400000_NS6detail17trampoline_kernelINS0_13select_configILj256ELj13ELNS0_17block_load_methodE3ELS4_3ELS4_3ELNS0_20block_scan_algorithmE0ELj4294967295EEENS1_25partition_config_selectorILNS1_17partition_subalgoE4EjNS0_10empty_typeEbEEZZNS1_14partition_implILS8_4ELb0ES6_15HIP_vector_typeIjLj2EENS0_17counting_iteratorIjlEEPS9_SG_NS0_5tupleIJPjSI_NS0_16reverse_iteratorISI_EEEEENSH_IJSG_SG_SG_EEES9_SI_JZNS1_25segmented_radix_sort_implINS0_14default_configELb1EPKbPbPKlPlN2at6native12_GLOBAL__N_18offset_tEEE10hipError_tPvRmT1_PNSt15iterator_traitsIS12_E10value_typeET2_T3_PNS13_IS18_E10value_typeET4_jRbjT5_S1E_jjP12ihipStream_tbEUljE_ZNSN_ISO_Lb1ESQ_SR_ST_SU_SY_EESZ_S10_S11_S12_S16_S17_S18_S1B_S1C_jS1D_jS1E_S1E_jjS1G_bEUljE0_EEESZ_S10_S11_S18_S1C_S1E_T6_T7_T9_mT8_S1G_bDpT10_ENKUlT_T0_E_clISt17integral_constantIbLb1EES1U_EEDaS1P_S1Q_EUlS1P_E_NS1_11comp_targetILNS1_3genE2ELNS1_11target_archE906ELNS1_3gpuE6ELNS1_3repE0EEENS1_30default_config_static_selectorELNS0_4arch9wavefront6targetE0EEEvS12_.num_vgpr, 0
	.set _ZN7rocprim17ROCPRIM_400000_NS6detail17trampoline_kernelINS0_13select_configILj256ELj13ELNS0_17block_load_methodE3ELS4_3ELS4_3ELNS0_20block_scan_algorithmE0ELj4294967295EEENS1_25partition_config_selectorILNS1_17partition_subalgoE4EjNS0_10empty_typeEbEEZZNS1_14partition_implILS8_4ELb0ES6_15HIP_vector_typeIjLj2EENS0_17counting_iteratorIjlEEPS9_SG_NS0_5tupleIJPjSI_NS0_16reverse_iteratorISI_EEEEENSH_IJSG_SG_SG_EEES9_SI_JZNS1_25segmented_radix_sort_implINS0_14default_configELb1EPKbPbPKlPlN2at6native12_GLOBAL__N_18offset_tEEE10hipError_tPvRmT1_PNSt15iterator_traitsIS12_E10value_typeET2_T3_PNS13_IS18_E10value_typeET4_jRbjT5_S1E_jjP12ihipStream_tbEUljE_ZNSN_ISO_Lb1ESQ_SR_ST_SU_SY_EESZ_S10_S11_S12_S16_S17_S18_S1B_S1C_jS1D_jS1E_S1E_jjS1G_bEUljE0_EEESZ_S10_S11_S18_S1C_S1E_T6_T7_T9_mT8_S1G_bDpT10_ENKUlT_T0_E_clISt17integral_constantIbLb1EES1U_EEDaS1P_S1Q_EUlS1P_E_NS1_11comp_targetILNS1_3genE2ELNS1_11target_archE906ELNS1_3gpuE6ELNS1_3repE0EEENS1_30default_config_static_selectorELNS0_4arch9wavefront6targetE0EEEvS12_.num_agpr, 0
	.set _ZN7rocprim17ROCPRIM_400000_NS6detail17trampoline_kernelINS0_13select_configILj256ELj13ELNS0_17block_load_methodE3ELS4_3ELS4_3ELNS0_20block_scan_algorithmE0ELj4294967295EEENS1_25partition_config_selectorILNS1_17partition_subalgoE4EjNS0_10empty_typeEbEEZZNS1_14partition_implILS8_4ELb0ES6_15HIP_vector_typeIjLj2EENS0_17counting_iteratorIjlEEPS9_SG_NS0_5tupleIJPjSI_NS0_16reverse_iteratorISI_EEEEENSH_IJSG_SG_SG_EEES9_SI_JZNS1_25segmented_radix_sort_implINS0_14default_configELb1EPKbPbPKlPlN2at6native12_GLOBAL__N_18offset_tEEE10hipError_tPvRmT1_PNSt15iterator_traitsIS12_E10value_typeET2_T3_PNS13_IS18_E10value_typeET4_jRbjT5_S1E_jjP12ihipStream_tbEUljE_ZNSN_ISO_Lb1ESQ_SR_ST_SU_SY_EESZ_S10_S11_S12_S16_S17_S18_S1B_S1C_jS1D_jS1E_S1E_jjS1G_bEUljE0_EEESZ_S10_S11_S18_S1C_S1E_T6_T7_T9_mT8_S1G_bDpT10_ENKUlT_T0_E_clISt17integral_constantIbLb1EES1U_EEDaS1P_S1Q_EUlS1P_E_NS1_11comp_targetILNS1_3genE2ELNS1_11target_archE906ELNS1_3gpuE6ELNS1_3repE0EEENS1_30default_config_static_selectorELNS0_4arch9wavefront6targetE0EEEvS12_.numbered_sgpr, 0
	.set _ZN7rocprim17ROCPRIM_400000_NS6detail17trampoline_kernelINS0_13select_configILj256ELj13ELNS0_17block_load_methodE3ELS4_3ELS4_3ELNS0_20block_scan_algorithmE0ELj4294967295EEENS1_25partition_config_selectorILNS1_17partition_subalgoE4EjNS0_10empty_typeEbEEZZNS1_14partition_implILS8_4ELb0ES6_15HIP_vector_typeIjLj2EENS0_17counting_iteratorIjlEEPS9_SG_NS0_5tupleIJPjSI_NS0_16reverse_iteratorISI_EEEEENSH_IJSG_SG_SG_EEES9_SI_JZNS1_25segmented_radix_sort_implINS0_14default_configELb1EPKbPbPKlPlN2at6native12_GLOBAL__N_18offset_tEEE10hipError_tPvRmT1_PNSt15iterator_traitsIS12_E10value_typeET2_T3_PNS13_IS18_E10value_typeET4_jRbjT5_S1E_jjP12ihipStream_tbEUljE_ZNSN_ISO_Lb1ESQ_SR_ST_SU_SY_EESZ_S10_S11_S12_S16_S17_S18_S1B_S1C_jS1D_jS1E_S1E_jjS1G_bEUljE0_EEESZ_S10_S11_S18_S1C_S1E_T6_T7_T9_mT8_S1G_bDpT10_ENKUlT_T0_E_clISt17integral_constantIbLb1EES1U_EEDaS1P_S1Q_EUlS1P_E_NS1_11comp_targetILNS1_3genE2ELNS1_11target_archE906ELNS1_3gpuE6ELNS1_3repE0EEENS1_30default_config_static_selectorELNS0_4arch9wavefront6targetE0EEEvS12_.num_named_barrier, 0
	.set _ZN7rocprim17ROCPRIM_400000_NS6detail17trampoline_kernelINS0_13select_configILj256ELj13ELNS0_17block_load_methodE3ELS4_3ELS4_3ELNS0_20block_scan_algorithmE0ELj4294967295EEENS1_25partition_config_selectorILNS1_17partition_subalgoE4EjNS0_10empty_typeEbEEZZNS1_14partition_implILS8_4ELb0ES6_15HIP_vector_typeIjLj2EENS0_17counting_iteratorIjlEEPS9_SG_NS0_5tupleIJPjSI_NS0_16reverse_iteratorISI_EEEEENSH_IJSG_SG_SG_EEES9_SI_JZNS1_25segmented_radix_sort_implINS0_14default_configELb1EPKbPbPKlPlN2at6native12_GLOBAL__N_18offset_tEEE10hipError_tPvRmT1_PNSt15iterator_traitsIS12_E10value_typeET2_T3_PNS13_IS18_E10value_typeET4_jRbjT5_S1E_jjP12ihipStream_tbEUljE_ZNSN_ISO_Lb1ESQ_SR_ST_SU_SY_EESZ_S10_S11_S12_S16_S17_S18_S1B_S1C_jS1D_jS1E_S1E_jjS1G_bEUljE0_EEESZ_S10_S11_S18_S1C_S1E_T6_T7_T9_mT8_S1G_bDpT10_ENKUlT_T0_E_clISt17integral_constantIbLb1EES1U_EEDaS1P_S1Q_EUlS1P_E_NS1_11comp_targetILNS1_3genE2ELNS1_11target_archE906ELNS1_3gpuE6ELNS1_3repE0EEENS1_30default_config_static_selectorELNS0_4arch9wavefront6targetE0EEEvS12_.private_seg_size, 0
	.set _ZN7rocprim17ROCPRIM_400000_NS6detail17trampoline_kernelINS0_13select_configILj256ELj13ELNS0_17block_load_methodE3ELS4_3ELS4_3ELNS0_20block_scan_algorithmE0ELj4294967295EEENS1_25partition_config_selectorILNS1_17partition_subalgoE4EjNS0_10empty_typeEbEEZZNS1_14partition_implILS8_4ELb0ES6_15HIP_vector_typeIjLj2EENS0_17counting_iteratorIjlEEPS9_SG_NS0_5tupleIJPjSI_NS0_16reverse_iteratorISI_EEEEENSH_IJSG_SG_SG_EEES9_SI_JZNS1_25segmented_radix_sort_implINS0_14default_configELb1EPKbPbPKlPlN2at6native12_GLOBAL__N_18offset_tEEE10hipError_tPvRmT1_PNSt15iterator_traitsIS12_E10value_typeET2_T3_PNS13_IS18_E10value_typeET4_jRbjT5_S1E_jjP12ihipStream_tbEUljE_ZNSN_ISO_Lb1ESQ_SR_ST_SU_SY_EESZ_S10_S11_S12_S16_S17_S18_S1B_S1C_jS1D_jS1E_S1E_jjS1G_bEUljE0_EEESZ_S10_S11_S18_S1C_S1E_T6_T7_T9_mT8_S1G_bDpT10_ENKUlT_T0_E_clISt17integral_constantIbLb1EES1U_EEDaS1P_S1Q_EUlS1P_E_NS1_11comp_targetILNS1_3genE2ELNS1_11target_archE906ELNS1_3gpuE6ELNS1_3repE0EEENS1_30default_config_static_selectorELNS0_4arch9wavefront6targetE0EEEvS12_.uses_vcc, 0
	.set _ZN7rocprim17ROCPRIM_400000_NS6detail17trampoline_kernelINS0_13select_configILj256ELj13ELNS0_17block_load_methodE3ELS4_3ELS4_3ELNS0_20block_scan_algorithmE0ELj4294967295EEENS1_25partition_config_selectorILNS1_17partition_subalgoE4EjNS0_10empty_typeEbEEZZNS1_14partition_implILS8_4ELb0ES6_15HIP_vector_typeIjLj2EENS0_17counting_iteratorIjlEEPS9_SG_NS0_5tupleIJPjSI_NS0_16reverse_iteratorISI_EEEEENSH_IJSG_SG_SG_EEES9_SI_JZNS1_25segmented_radix_sort_implINS0_14default_configELb1EPKbPbPKlPlN2at6native12_GLOBAL__N_18offset_tEEE10hipError_tPvRmT1_PNSt15iterator_traitsIS12_E10value_typeET2_T3_PNS13_IS18_E10value_typeET4_jRbjT5_S1E_jjP12ihipStream_tbEUljE_ZNSN_ISO_Lb1ESQ_SR_ST_SU_SY_EESZ_S10_S11_S12_S16_S17_S18_S1B_S1C_jS1D_jS1E_S1E_jjS1G_bEUljE0_EEESZ_S10_S11_S18_S1C_S1E_T6_T7_T9_mT8_S1G_bDpT10_ENKUlT_T0_E_clISt17integral_constantIbLb1EES1U_EEDaS1P_S1Q_EUlS1P_E_NS1_11comp_targetILNS1_3genE2ELNS1_11target_archE906ELNS1_3gpuE6ELNS1_3repE0EEENS1_30default_config_static_selectorELNS0_4arch9wavefront6targetE0EEEvS12_.uses_flat_scratch, 0
	.set _ZN7rocprim17ROCPRIM_400000_NS6detail17trampoline_kernelINS0_13select_configILj256ELj13ELNS0_17block_load_methodE3ELS4_3ELS4_3ELNS0_20block_scan_algorithmE0ELj4294967295EEENS1_25partition_config_selectorILNS1_17partition_subalgoE4EjNS0_10empty_typeEbEEZZNS1_14partition_implILS8_4ELb0ES6_15HIP_vector_typeIjLj2EENS0_17counting_iteratorIjlEEPS9_SG_NS0_5tupleIJPjSI_NS0_16reverse_iteratorISI_EEEEENSH_IJSG_SG_SG_EEES9_SI_JZNS1_25segmented_radix_sort_implINS0_14default_configELb1EPKbPbPKlPlN2at6native12_GLOBAL__N_18offset_tEEE10hipError_tPvRmT1_PNSt15iterator_traitsIS12_E10value_typeET2_T3_PNS13_IS18_E10value_typeET4_jRbjT5_S1E_jjP12ihipStream_tbEUljE_ZNSN_ISO_Lb1ESQ_SR_ST_SU_SY_EESZ_S10_S11_S12_S16_S17_S18_S1B_S1C_jS1D_jS1E_S1E_jjS1G_bEUljE0_EEESZ_S10_S11_S18_S1C_S1E_T6_T7_T9_mT8_S1G_bDpT10_ENKUlT_T0_E_clISt17integral_constantIbLb1EES1U_EEDaS1P_S1Q_EUlS1P_E_NS1_11comp_targetILNS1_3genE2ELNS1_11target_archE906ELNS1_3gpuE6ELNS1_3repE0EEENS1_30default_config_static_selectorELNS0_4arch9wavefront6targetE0EEEvS12_.has_dyn_sized_stack, 0
	.set _ZN7rocprim17ROCPRIM_400000_NS6detail17trampoline_kernelINS0_13select_configILj256ELj13ELNS0_17block_load_methodE3ELS4_3ELS4_3ELNS0_20block_scan_algorithmE0ELj4294967295EEENS1_25partition_config_selectorILNS1_17partition_subalgoE4EjNS0_10empty_typeEbEEZZNS1_14partition_implILS8_4ELb0ES6_15HIP_vector_typeIjLj2EENS0_17counting_iteratorIjlEEPS9_SG_NS0_5tupleIJPjSI_NS0_16reverse_iteratorISI_EEEEENSH_IJSG_SG_SG_EEES9_SI_JZNS1_25segmented_radix_sort_implINS0_14default_configELb1EPKbPbPKlPlN2at6native12_GLOBAL__N_18offset_tEEE10hipError_tPvRmT1_PNSt15iterator_traitsIS12_E10value_typeET2_T3_PNS13_IS18_E10value_typeET4_jRbjT5_S1E_jjP12ihipStream_tbEUljE_ZNSN_ISO_Lb1ESQ_SR_ST_SU_SY_EESZ_S10_S11_S12_S16_S17_S18_S1B_S1C_jS1D_jS1E_S1E_jjS1G_bEUljE0_EEESZ_S10_S11_S18_S1C_S1E_T6_T7_T9_mT8_S1G_bDpT10_ENKUlT_T0_E_clISt17integral_constantIbLb1EES1U_EEDaS1P_S1Q_EUlS1P_E_NS1_11comp_targetILNS1_3genE2ELNS1_11target_archE906ELNS1_3gpuE6ELNS1_3repE0EEENS1_30default_config_static_selectorELNS0_4arch9wavefront6targetE0EEEvS12_.has_recursion, 0
	.set _ZN7rocprim17ROCPRIM_400000_NS6detail17trampoline_kernelINS0_13select_configILj256ELj13ELNS0_17block_load_methodE3ELS4_3ELS4_3ELNS0_20block_scan_algorithmE0ELj4294967295EEENS1_25partition_config_selectorILNS1_17partition_subalgoE4EjNS0_10empty_typeEbEEZZNS1_14partition_implILS8_4ELb0ES6_15HIP_vector_typeIjLj2EENS0_17counting_iteratorIjlEEPS9_SG_NS0_5tupleIJPjSI_NS0_16reverse_iteratorISI_EEEEENSH_IJSG_SG_SG_EEES9_SI_JZNS1_25segmented_radix_sort_implINS0_14default_configELb1EPKbPbPKlPlN2at6native12_GLOBAL__N_18offset_tEEE10hipError_tPvRmT1_PNSt15iterator_traitsIS12_E10value_typeET2_T3_PNS13_IS18_E10value_typeET4_jRbjT5_S1E_jjP12ihipStream_tbEUljE_ZNSN_ISO_Lb1ESQ_SR_ST_SU_SY_EESZ_S10_S11_S12_S16_S17_S18_S1B_S1C_jS1D_jS1E_S1E_jjS1G_bEUljE0_EEESZ_S10_S11_S18_S1C_S1E_T6_T7_T9_mT8_S1G_bDpT10_ENKUlT_T0_E_clISt17integral_constantIbLb1EES1U_EEDaS1P_S1Q_EUlS1P_E_NS1_11comp_targetILNS1_3genE2ELNS1_11target_archE906ELNS1_3gpuE6ELNS1_3repE0EEENS1_30default_config_static_selectorELNS0_4arch9wavefront6targetE0EEEvS12_.has_indirect_call, 0
	.section	.AMDGPU.csdata,"",@progbits
; Kernel info:
; codeLenInByte = 0
; TotalNumSgprs: 0
; NumVgprs: 0
; ScratchSize: 0
; MemoryBound: 0
; FloatMode: 240
; IeeeMode: 1
; LDSByteSize: 0 bytes/workgroup (compile time only)
; SGPRBlocks: 0
; VGPRBlocks: 0
; NumSGPRsForWavesPerEU: 1
; NumVGPRsForWavesPerEU: 1
; Occupancy: 16
; WaveLimiterHint : 0
; COMPUTE_PGM_RSRC2:SCRATCH_EN: 0
; COMPUTE_PGM_RSRC2:USER_SGPR: 2
; COMPUTE_PGM_RSRC2:TRAP_HANDLER: 0
; COMPUTE_PGM_RSRC2:TGID_X_EN: 1
; COMPUTE_PGM_RSRC2:TGID_Y_EN: 0
; COMPUTE_PGM_RSRC2:TGID_Z_EN: 0
; COMPUTE_PGM_RSRC2:TIDIG_COMP_CNT: 0
	.section	.text._ZN7rocprim17ROCPRIM_400000_NS6detail17trampoline_kernelINS0_13select_configILj256ELj13ELNS0_17block_load_methodE3ELS4_3ELS4_3ELNS0_20block_scan_algorithmE0ELj4294967295EEENS1_25partition_config_selectorILNS1_17partition_subalgoE4EjNS0_10empty_typeEbEEZZNS1_14partition_implILS8_4ELb0ES6_15HIP_vector_typeIjLj2EENS0_17counting_iteratorIjlEEPS9_SG_NS0_5tupleIJPjSI_NS0_16reverse_iteratorISI_EEEEENSH_IJSG_SG_SG_EEES9_SI_JZNS1_25segmented_radix_sort_implINS0_14default_configELb1EPKbPbPKlPlN2at6native12_GLOBAL__N_18offset_tEEE10hipError_tPvRmT1_PNSt15iterator_traitsIS12_E10value_typeET2_T3_PNS13_IS18_E10value_typeET4_jRbjT5_S1E_jjP12ihipStream_tbEUljE_ZNSN_ISO_Lb1ESQ_SR_ST_SU_SY_EESZ_S10_S11_S12_S16_S17_S18_S1B_S1C_jS1D_jS1E_S1E_jjS1G_bEUljE0_EEESZ_S10_S11_S18_S1C_S1E_T6_T7_T9_mT8_S1G_bDpT10_ENKUlT_T0_E_clISt17integral_constantIbLb1EES1U_EEDaS1P_S1Q_EUlS1P_E_NS1_11comp_targetILNS1_3genE10ELNS1_11target_archE1200ELNS1_3gpuE4ELNS1_3repE0EEENS1_30default_config_static_selectorELNS0_4arch9wavefront6targetE0EEEvS12_,"axG",@progbits,_ZN7rocprim17ROCPRIM_400000_NS6detail17trampoline_kernelINS0_13select_configILj256ELj13ELNS0_17block_load_methodE3ELS4_3ELS4_3ELNS0_20block_scan_algorithmE0ELj4294967295EEENS1_25partition_config_selectorILNS1_17partition_subalgoE4EjNS0_10empty_typeEbEEZZNS1_14partition_implILS8_4ELb0ES6_15HIP_vector_typeIjLj2EENS0_17counting_iteratorIjlEEPS9_SG_NS0_5tupleIJPjSI_NS0_16reverse_iteratorISI_EEEEENSH_IJSG_SG_SG_EEES9_SI_JZNS1_25segmented_radix_sort_implINS0_14default_configELb1EPKbPbPKlPlN2at6native12_GLOBAL__N_18offset_tEEE10hipError_tPvRmT1_PNSt15iterator_traitsIS12_E10value_typeET2_T3_PNS13_IS18_E10value_typeET4_jRbjT5_S1E_jjP12ihipStream_tbEUljE_ZNSN_ISO_Lb1ESQ_SR_ST_SU_SY_EESZ_S10_S11_S12_S16_S17_S18_S1B_S1C_jS1D_jS1E_S1E_jjS1G_bEUljE0_EEESZ_S10_S11_S18_S1C_S1E_T6_T7_T9_mT8_S1G_bDpT10_ENKUlT_T0_E_clISt17integral_constantIbLb1EES1U_EEDaS1P_S1Q_EUlS1P_E_NS1_11comp_targetILNS1_3genE10ELNS1_11target_archE1200ELNS1_3gpuE4ELNS1_3repE0EEENS1_30default_config_static_selectorELNS0_4arch9wavefront6targetE0EEEvS12_,comdat
	.globl	_ZN7rocprim17ROCPRIM_400000_NS6detail17trampoline_kernelINS0_13select_configILj256ELj13ELNS0_17block_load_methodE3ELS4_3ELS4_3ELNS0_20block_scan_algorithmE0ELj4294967295EEENS1_25partition_config_selectorILNS1_17partition_subalgoE4EjNS0_10empty_typeEbEEZZNS1_14partition_implILS8_4ELb0ES6_15HIP_vector_typeIjLj2EENS0_17counting_iteratorIjlEEPS9_SG_NS0_5tupleIJPjSI_NS0_16reverse_iteratorISI_EEEEENSH_IJSG_SG_SG_EEES9_SI_JZNS1_25segmented_radix_sort_implINS0_14default_configELb1EPKbPbPKlPlN2at6native12_GLOBAL__N_18offset_tEEE10hipError_tPvRmT1_PNSt15iterator_traitsIS12_E10value_typeET2_T3_PNS13_IS18_E10value_typeET4_jRbjT5_S1E_jjP12ihipStream_tbEUljE_ZNSN_ISO_Lb1ESQ_SR_ST_SU_SY_EESZ_S10_S11_S12_S16_S17_S18_S1B_S1C_jS1D_jS1E_S1E_jjS1G_bEUljE0_EEESZ_S10_S11_S18_S1C_S1E_T6_T7_T9_mT8_S1G_bDpT10_ENKUlT_T0_E_clISt17integral_constantIbLb1EES1U_EEDaS1P_S1Q_EUlS1P_E_NS1_11comp_targetILNS1_3genE10ELNS1_11target_archE1200ELNS1_3gpuE4ELNS1_3repE0EEENS1_30default_config_static_selectorELNS0_4arch9wavefront6targetE0EEEvS12_ ; -- Begin function _ZN7rocprim17ROCPRIM_400000_NS6detail17trampoline_kernelINS0_13select_configILj256ELj13ELNS0_17block_load_methodE3ELS4_3ELS4_3ELNS0_20block_scan_algorithmE0ELj4294967295EEENS1_25partition_config_selectorILNS1_17partition_subalgoE4EjNS0_10empty_typeEbEEZZNS1_14partition_implILS8_4ELb0ES6_15HIP_vector_typeIjLj2EENS0_17counting_iteratorIjlEEPS9_SG_NS0_5tupleIJPjSI_NS0_16reverse_iteratorISI_EEEEENSH_IJSG_SG_SG_EEES9_SI_JZNS1_25segmented_radix_sort_implINS0_14default_configELb1EPKbPbPKlPlN2at6native12_GLOBAL__N_18offset_tEEE10hipError_tPvRmT1_PNSt15iterator_traitsIS12_E10value_typeET2_T3_PNS13_IS18_E10value_typeET4_jRbjT5_S1E_jjP12ihipStream_tbEUljE_ZNSN_ISO_Lb1ESQ_SR_ST_SU_SY_EESZ_S10_S11_S12_S16_S17_S18_S1B_S1C_jS1D_jS1E_S1E_jjS1G_bEUljE0_EEESZ_S10_S11_S18_S1C_S1E_T6_T7_T9_mT8_S1G_bDpT10_ENKUlT_T0_E_clISt17integral_constantIbLb1EES1U_EEDaS1P_S1Q_EUlS1P_E_NS1_11comp_targetILNS1_3genE10ELNS1_11target_archE1200ELNS1_3gpuE4ELNS1_3repE0EEENS1_30default_config_static_selectorELNS0_4arch9wavefront6targetE0EEEvS12_
	.p2align	8
	.type	_ZN7rocprim17ROCPRIM_400000_NS6detail17trampoline_kernelINS0_13select_configILj256ELj13ELNS0_17block_load_methodE3ELS4_3ELS4_3ELNS0_20block_scan_algorithmE0ELj4294967295EEENS1_25partition_config_selectorILNS1_17partition_subalgoE4EjNS0_10empty_typeEbEEZZNS1_14partition_implILS8_4ELb0ES6_15HIP_vector_typeIjLj2EENS0_17counting_iteratorIjlEEPS9_SG_NS0_5tupleIJPjSI_NS0_16reverse_iteratorISI_EEEEENSH_IJSG_SG_SG_EEES9_SI_JZNS1_25segmented_radix_sort_implINS0_14default_configELb1EPKbPbPKlPlN2at6native12_GLOBAL__N_18offset_tEEE10hipError_tPvRmT1_PNSt15iterator_traitsIS12_E10value_typeET2_T3_PNS13_IS18_E10value_typeET4_jRbjT5_S1E_jjP12ihipStream_tbEUljE_ZNSN_ISO_Lb1ESQ_SR_ST_SU_SY_EESZ_S10_S11_S12_S16_S17_S18_S1B_S1C_jS1D_jS1E_S1E_jjS1G_bEUljE0_EEESZ_S10_S11_S18_S1C_S1E_T6_T7_T9_mT8_S1G_bDpT10_ENKUlT_T0_E_clISt17integral_constantIbLb1EES1U_EEDaS1P_S1Q_EUlS1P_E_NS1_11comp_targetILNS1_3genE10ELNS1_11target_archE1200ELNS1_3gpuE4ELNS1_3repE0EEENS1_30default_config_static_selectorELNS0_4arch9wavefront6targetE0EEEvS12_,@function
_ZN7rocprim17ROCPRIM_400000_NS6detail17trampoline_kernelINS0_13select_configILj256ELj13ELNS0_17block_load_methodE3ELS4_3ELS4_3ELNS0_20block_scan_algorithmE0ELj4294967295EEENS1_25partition_config_selectorILNS1_17partition_subalgoE4EjNS0_10empty_typeEbEEZZNS1_14partition_implILS8_4ELb0ES6_15HIP_vector_typeIjLj2EENS0_17counting_iteratorIjlEEPS9_SG_NS0_5tupleIJPjSI_NS0_16reverse_iteratorISI_EEEEENSH_IJSG_SG_SG_EEES9_SI_JZNS1_25segmented_radix_sort_implINS0_14default_configELb1EPKbPbPKlPlN2at6native12_GLOBAL__N_18offset_tEEE10hipError_tPvRmT1_PNSt15iterator_traitsIS12_E10value_typeET2_T3_PNS13_IS18_E10value_typeET4_jRbjT5_S1E_jjP12ihipStream_tbEUljE_ZNSN_ISO_Lb1ESQ_SR_ST_SU_SY_EESZ_S10_S11_S12_S16_S17_S18_S1B_S1C_jS1D_jS1E_S1E_jjS1G_bEUljE0_EEESZ_S10_S11_S18_S1C_S1E_T6_T7_T9_mT8_S1G_bDpT10_ENKUlT_T0_E_clISt17integral_constantIbLb1EES1U_EEDaS1P_S1Q_EUlS1P_E_NS1_11comp_targetILNS1_3genE10ELNS1_11target_archE1200ELNS1_3gpuE4ELNS1_3repE0EEENS1_30default_config_static_selectorELNS0_4arch9wavefront6targetE0EEEvS12_: ; @_ZN7rocprim17ROCPRIM_400000_NS6detail17trampoline_kernelINS0_13select_configILj256ELj13ELNS0_17block_load_methodE3ELS4_3ELS4_3ELNS0_20block_scan_algorithmE0ELj4294967295EEENS1_25partition_config_selectorILNS1_17partition_subalgoE4EjNS0_10empty_typeEbEEZZNS1_14partition_implILS8_4ELb0ES6_15HIP_vector_typeIjLj2EENS0_17counting_iteratorIjlEEPS9_SG_NS0_5tupleIJPjSI_NS0_16reverse_iteratorISI_EEEEENSH_IJSG_SG_SG_EEES9_SI_JZNS1_25segmented_radix_sort_implINS0_14default_configELb1EPKbPbPKlPlN2at6native12_GLOBAL__N_18offset_tEEE10hipError_tPvRmT1_PNSt15iterator_traitsIS12_E10value_typeET2_T3_PNS13_IS18_E10value_typeET4_jRbjT5_S1E_jjP12ihipStream_tbEUljE_ZNSN_ISO_Lb1ESQ_SR_ST_SU_SY_EESZ_S10_S11_S12_S16_S17_S18_S1B_S1C_jS1D_jS1E_S1E_jjS1G_bEUljE0_EEESZ_S10_S11_S18_S1C_S1E_T6_T7_T9_mT8_S1G_bDpT10_ENKUlT_T0_E_clISt17integral_constantIbLb1EES1U_EEDaS1P_S1Q_EUlS1P_E_NS1_11comp_targetILNS1_3genE10ELNS1_11target_archE1200ELNS1_3gpuE4ELNS1_3repE0EEENS1_30default_config_static_selectorELNS0_4arch9wavefront6targetE0EEEvS12_
; %bb.0:
	s_endpgm
	.section	.rodata,"a",@progbits
	.p2align	6, 0x0
	.amdhsa_kernel _ZN7rocprim17ROCPRIM_400000_NS6detail17trampoline_kernelINS0_13select_configILj256ELj13ELNS0_17block_load_methodE3ELS4_3ELS4_3ELNS0_20block_scan_algorithmE0ELj4294967295EEENS1_25partition_config_selectorILNS1_17partition_subalgoE4EjNS0_10empty_typeEbEEZZNS1_14partition_implILS8_4ELb0ES6_15HIP_vector_typeIjLj2EENS0_17counting_iteratorIjlEEPS9_SG_NS0_5tupleIJPjSI_NS0_16reverse_iteratorISI_EEEEENSH_IJSG_SG_SG_EEES9_SI_JZNS1_25segmented_radix_sort_implINS0_14default_configELb1EPKbPbPKlPlN2at6native12_GLOBAL__N_18offset_tEEE10hipError_tPvRmT1_PNSt15iterator_traitsIS12_E10value_typeET2_T3_PNS13_IS18_E10value_typeET4_jRbjT5_S1E_jjP12ihipStream_tbEUljE_ZNSN_ISO_Lb1ESQ_SR_ST_SU_SY_EESZ_S10_S11_S12_S16_S17_S18_S1B_S1C_jS1D_jS1E_S1E_jjS1G_bEUljE0_EEESZ_S10_S11_S18_S1C_S1E_T6_T7_T9_mT8_S1G_bDpT10_ENKUlT_T0_E_clISt17integral_constantIbLb1EES1U_EEDaS1P_S1Q_EUlS1P_E_NS1_11comp_targetILNS1_3genE10ELNS1_11target_archE1200ELNS1_3gpuE4ELNS1_3repE0EEENS1_30default_config_static_selectorELNS0_4arch9wavefront6targetE0EEEvS12_
		.amdhsa_group_segment_fixed_size 0
		.amdhsa_private_segment_fixed_size 0
		.amdhsa_kernarg_size 184
		.amdhsa_user_sgpr_count 2
		.amdhsa_user_sgpr_dispatch_ptr 0
		.amdhsa_user_sgpr_queue_ptr 0
		.amdhsa_user_sgpr_kernarg_segment_ptr 1
		.amdhsa_user_sgpr_dispatch_id 0
		.amdhsa_user_sgpr_private_segment_size 0
		.amdhsa_wavefront_size32 1
		.amdhsa_uses_dynamic_stack 0
		.amdhsa_enable_private_segment 0
		.amdhsa_system_sgpr_workgroup_id_x 1
		.amdhsa_system_sgpr_workgroup_id_y 0
		.amdhsa_system_sgpr_workgroup_id_z 0
		.amdhsa_system_sgpr_workgroup_info 0
		.amdhsa_system_vgpr_workitem_id 0
		.amdhsa_next_free_vgpr 1
		.amdhsa_next_free_sgpr 1
		.amdhsa_reserve_vcc 0
		.amdhsa_float_round_mode_32 0
		.amdhsa_float_round_mode_16_64 0
		.amdhsa_float_denorm_mode_32 3
		.amdhsa_float_denorm_mode_16_64 3
		.amdhsa_fp16_overflow 0
		.amdhsa_workgroup_processor_mode 1
		.amdhsa_memory_ordered 1
		.amdhsa_forward_progress 1
		.amdhsa_inst_pref_size 1
		.amdhsa_round_robin_scheduling 0
		.amdhsa_exception_fp_ieee_invalid_op 0
		.amdhsa_exception_fp_denorm_src 0
		.amdhsa_exception_fp_ieee_div_zero 0
		.amdhsa_exception_fp_ieee_overflow 0
		.amdhsa_exception_fp_ieee_underflow 0
		.amdhsa_exception_fp_ieee_inexact 0
		.amdhsa_exception_int_div_zero 0
	.end_amdhsa_kernel
	.section	.text._ZN7rocprim17ROCPRIM_400000_NS6detail17trampoline_kernelINS0_13select_configILj256ELj13ELNS0_17block_load_methodE3ELS4_3ELS4_3ELNS0_20block_scan_algorithmE0ELj4294967295EEENS1_25partition_config_selectorILNS1_17partition_subalgoE4EjNS0_10empty_typeEbEEZZNS1_14partition_implILS8_4ELb0ES6_15HIP_vector_typeIjLj2EENS0_17counting_iteratorIjlEEPS9_SG_NS0_5tupleIJPjSI_NS0_16reverse_iteratorISI_EEEEENSH_IJSG_SG_SG_EEES9_SI_JZNS1_25segmented_radix_sort_implINS0_14default_configELb1EPKbPbPKlPlN2at6native12_GLOBAL__N_18offset_tEEE10hipError_tPvRmT1_PNSt15iterator_traitsIS12_E10value_typeET2_T3_PNS13_IS18_E10value_typeET4_jRbjT5_S1E_jjP12ihipStream_tbEUljE_ZNSN_ISO_Lb1ESQ_SR_ST_SU_SY_EESZ_S10_S11_S12_S16_S17_S18_S1B_S1C_jS1D_jS1E_S1E_jjS1G_bEUljE0_EEESZ_S10_S11_S18_S1C_S1E_T6_T7_T9_mT8_S1G_bDpT10_ENKUlT_T0_E_clISt17integral_constantIbLb1EES1U_EEDaS1P_S1Q_EUlS1P_E_NS1_11comp_targetILNS1_3genE10ELNS1_11target_archE1200ELNS1_3gpuE4ELNS1_3repE0EEENS1_30default_config_static_selectorELNS0_4arch9wavefront6targetE0EEEvS12_,"axG",@progbits,_ZN7rocprim17ROCPRIM_400000_NS6detail17trampoline_kernelINS0_13select_configILj256ELj13ELNS0_17block_load_methodE3ELS4_3ELS4_3ELNS0_20block_scan_algorithmE0ELj4294967295EEENS1_25partition_config_selectorILNS1_17partition_subalgoE4EjNS0_10empty_typeEbEEZZNS1_14partition_implILS8_4ELb0ES6_15HIP_vector_typeIjLj2EENS0_17counting_iteratorIjlEEPS9_SG_NS0_5tupleIJPjSI_NS0_16reverse_iteratorISI_EEEEENSH_IJSG_SG_SG_EEES9_SI_JZNS1_25segmented_radix_sort_implINS0_14default_configELb1EPKbPbPKlPlN2at6native12_GLOBAL__N_18offset_tEEE10hipError_tPvRmT1_PNSt15iterator_traitsIS12_E10value_typeET2_T3_PNS13_IS18_E10value_typeET4_jRbjT5_S1E_jjP12ihipStream_tbEUljE_ZNSN_ISO_Lb1ESQ_SR_ST_SU_SY_EESZ_S10_S11_S12_S16_S17_S18_S1B_S1C_jS1D_jS1E_S1E_jjS1G_bEUljE0_EEESZ_S10_S11_S18_S1C_S1E_T6_T7_T9_mT8_S1G_bDpT10_ENKUlT_T0_E_clISt17integral_constantIbLb1EES1U_EEDaS1P_S1Q_EUlS1P_E_NS1_11comp_targetILNS1_3genE10ELNS1_11target_archE1200ELNS1_3gpuE4ELNS1_3repE0EEENS1_30default_config_static_selectorELNS0_4arch9wavefront6targetE0EEEvS12_,comdat
.Lfunc_end1481:
	.size	_ZN7rocprim17ROCPRIM_400000_NS6detail17trampoline_kernelINS0_13select_configILj256ELj13ELNS0_17block_load_methodE3ELS4_3ELS4_3ELNS0_20block_scan_algorithmE0ELj4294967295EEENS1_25partition_config_selectorILNS1_17partition_subalgoE4EjNS0_10empty_typeEbEEZZNS1_14partition_implILS8_4ELb0ES6_15HIP_vector_typeIjLj2EENS0_17counting_iteratorIjlEEPS9_SG_NS0_5tupleIJPjSI_NS0_16reverse_iteratorISI_EEEEENSH_IJSG_SG_SG_EEES9_SI_JZNS1_25segmented_radix_sort_implINS0_14default_configELb1EPKbPbPKlPlN2at6native12_GLOBAL__N_18offset_tEEE10hipError_tPvRmT1_PNSt15iterator_traitsIS12_E10value_typeET2_T3_PNS13_IS18_E10value_typeET4_jRbjT5_S1E_jjP12ihipStream_tbEUljE_ZNSN_ISO_Lb1ESQ_SR_ST_SU_SY_EESZ_S10_S11_S12_S16_S17_S18_S1B_S1C_jS1D_jS1E_S1E_jjS1G_bEUljE0_EEESZ_S10_S11_S18_S1C_S1E_T6_T7_T9_mT8_S1G_bDpT10_ENKUlT_T0_E_clISt17integral_constantIbLb1EES1U_EEDaS1P_S1Q_EUlS1P_E_NS1_11comp_targetILNS1_3genE10ELNS1_11target_archE1200ELNS1_3gpuE4ELNS1_3repE0EEENS1_30default_config_static_selectorELNS0_4arch9wavefront6targetE0EEEvS12_, .Lfunc_end1481-_ZN7rocprim17ROCPRIM_400000_NS6detail17trampoline_kernelINS0_13select_configILj256ELj13ELNS0_17block_load_methodE3ELS4_3ELS4_3ELNS0_20block_scan_algorithmE0ELj4294967295EEENS1_25partition_config_selectorILNS1_17partition_subalgoE4EjNS0_10empty_typeEbEEZZNS1_14partition_implILS8_4ELb0ES6_15HIP_vector_typeIjLj2EENS0_17counting_iteratorIjlEEPS9_SG_NS0_5tupleIJPjSI_NS0_16reverse_iteratorISI_EEEEENSH_IJSG_SG_SG_EEES9_SI_JZNS1_25segmented_radix_sort_implINS0_14default_configELb1EPKbPbPKlPlN2at6native12_GLOBAL__N_18offset_tEEE10hipError_tPvRmT1_PNSt15iterator_traitsIS12_E10value_typeET2_T3_PNS13_IS18_E10value_typeET4_jRbjT5_S1E_jjP12ihipStream_tbEUljE_ZNSN_ISO_Lb1ESQ_SR_ST_SU_SY_EESZ_S10_S11_S12_S16_S17_S18_S1B_S1C_jS1D_jS1E_S1E_jjS1G_bEUljE0_EEESZ_S10_S11_S18_S1C_S1E_T6_T7_T9_mT8_S1G_bDpT10_ENKUlT_T0_E_clISt17integral_constantIbLb1EES1U_EEDaS1P_S1Q_EUlS1P_E_NS1_11comp_targetILNS1_3genE10ELNS1_11target_archE1200ELNS1_3gpuE4ELNS1_3repE0EEENS1_30default_config_static_selectorELNS0_4arch9wavefront6targetE0EEEvS12_
                                        ; -- End function
	.set _ZN7rocprim17ROCPRIM_400000_NS6detail17trampoline_kernelINS0_13select_configILj256ELj13ELNS0_17block_load_methodE3ELS4_3ELS4_3ELNS0_20block_scan_algorithmE0ELj4294967295EEENS1_25partition_config_selectorILNS1_17partition_subalgoE4EjNS0_10empty_typeEbEEZZNS1_14partition_implILS8_4ELb0ES6_15HIP_vector_typeIjLj2EENS0_17counting_iteratorIjlEEPS9_SG_NS0_5tupleIJPjSI_NS0_16reverse_iteratorISI_EEEEENSH_IJSG_SG_SG_EEES9_SI_JZNS1_25segmented_radix_sort_implINS0_14default_configELb1EPKbPbPKlPlN2at6native12_GLOBAL__N_18offset_tEEE10hipError_tPvRmT1_PNSt15iterator_traitsIS12_E10value_typeET2_T3_PNS13_IS18_E10value_typeET4_jRbjT5_S1E_jjP12ihipStream_tbEUljE_ZNSN_ISO_Lb1ESQ_SR_ST_SU_SY_EESZ_S10_S11_S12_S16_S17_S18_S1B_S1C_jS1D_jS1E_S1E_jjS1G_bEUljE0_EEESZ_S10_S11_S18_S1C_S1E_T6_T7_T9_mT8_S1G_bDpT10_ENKUlT_T0_E_clISt17integral_constantIbLb1EES1U_EEDaS1P_S1Q_EUlS1P_E_NS1_11comp_targetILNS1_3genE10ELNS1_11target_archE1200ELNS1_3gpuE4ELNS1_3repE0EEENS1_30default_config_static_selectorELNS0_4arch9wavefront6targetE0EEEvS12_.num_vgpr, 0
	.set _ZN7rocprim17ROCPRIM_400000_NS6detail17trampoline_kernelINS0_13select_configILj256ELj13ELNS0_17block_load_methodE3ELS4_3ELS4_3ELNS0_20block_scan_algorithmE0ELj4294967295EEENS1_25partition_config_selectorILNS1_17partition_subalgoE4EjNS0_10empty_typeEbEEZZNS1_14partition_implILS8_4ELb0ES6_15HIP_vector_typeIjLj2EENS0_17counting_iteratorIjlEEPS9_SG_NS0_5tupleIJPjSI_NS0_16reverse_iteratorISI_EEEEENSH_IJSG_SG_SG_EEES9_SI_JZNS1_25segmented_radix_sort_implINS0_14default_configELb1EPKbPbPKlPlN2at6native12_GLOBAL__N_18offset_tEEE10hipError_tPvRmT1_PNSt15iterator_traitsIS12_E10value_typeET2_T3_PNS13_IS18_E10value_typeET4_jRbjT5_S1E_jjP12ihipStream_tbEUljE_ZNSN_ISO_Lb1ESQ_SR_ST_SU_SY_EESZ_S10_S11_S12_S16_S17_S18_S1B_S1C_jS1D_jS1E_S1E_jjS1G_bEUljE0_EEESZ_S10_S11_S18_S1C_S1E_T6_T7_T9_mT8_S1G_bDpT10_ENKUlT_T0_E_clISt17integral_constantIbLb1EES1U_EEDaS1P_S1Q_EUlS1P_E_NS1_11comp_targetILNS1_3genE10ELNS1_11target_archE1200ELNS1_3gpuE4ELNS1_3repE0EEENS1_30default_config_static_selectorELNS0_4arch9wavefront6targetE0EEEvS12_.num_agpr, 0
	.set _ZN7rocprim17ROCPRIM_400000_NS6detail17trampoline_kernelINS0_13select_configILj256ELj13ELNS0_17block_load_methodE3ELS4_3ELS4_3ELNS0_20block_scan_algorithmE0ELj4294967295EEENS1_25partition_config_selectorILNS1_17partition_subalgoE4EjNS0_10empty_typeEbEEZZNS1_14partition_implILS8_4ELb0ES6_15HIP_vector_typeIjLj2EENS0_17counting_iteratorIjlEEPS9_SG_NS0_5tupleIJPjSI_NS0_16reverse_iteratorISI_EEEEENSH_IJSG_SG_SG_EEES9_SI_JZNS1_25segmented_radix_sort_implINS0_14default_configELb1EPKbPbPKlPlN2at6native12_GLOBAL__N_18offset_tEEE10hipError_tPvRmT1_PNSt15iterator_traitsIS12_E10value_typeET2_T3_PNS13_IS18_E10value_typeET4_jRbjT5_S1E_jjP12ihipStream_tbEUljE_ZNSN_ISO_Lb1ESQ_SR_ST_SU_SY_EESZ_S10_S11_S12_S16_S17_S18_S1B_S1C_jS1D_jS1E_S1E_jjS1G_bEUljE0_EEESZ_S10_S11_S18_S1C_S1E_T6_T7_T9_mT8_S1G_bDpT10_ENKUlT_T0_E_clISt17integral_constantIbLb1EES1U_EEDaS1P_S1Q_EUlS1P_E_NS1_11comp_targetILNS1_3genE10ELNS1_11target_archE1200ELNS1_3gpuE4ELNS1_3repE0EEENS1_30default_config_static_selectorELNS0_4arch9wavefront6targetE0EEEvS12_.numbered_sgpr, 0
	.set _ZN7rocprim17ROCPRIM_400000_NS6detail17trampoline_kernelINS0_13select_configILj256ELj13ELNS0_17block_load_methodE3ELS4_3ELS4_3ELNS0_20block_scan_algorithmE0ELj4294967295EEENS1_25partition_config_selectorILNS1_17partition_subalgoE4EjNS0_10empty_typeEbEEZZNS1_14partition_implILS8_4ELb0ES6_15HIP_vector_typeIjLj2EENS0_17counting_iteratorIjlEEPS9_SG_NS0_5tupleIJPjSI_NS0_16reverse_iteratorISI_EEEEENSH_IJSG_SG_SG_EEES9_SI_JZNS1_25segmented_radix_sort_implINS0_14default_configELb1EPKbPbPKlPlN2at6native12_GLOBAL__N_18offset_tEEE10hipError_tPvRmT1_PNSt15iterator_traitsIS12_E10value_typeET2_T3_PNS13_IS18_E10value_typeET4_jRbjT5_S1E_jjP12ihipStream_tbEUljE_ZNSN_ISO_Lb1ESQ_SR_ST_SU_SY_EESZ_S10_S11_S12_S16_S17_S18_S1B_S1C_jS1D_jS1E_S1E_jjS1G_bEUljE0_EEESZ_S10_S11_S18_S1C_S1E_T6_T7_T9_mT8_S1G_bDpT10_ENKUlT_T0_E_clISt17integral_constantIbLb1EES1U_EEDaS1P_S1Q_EUlS1P_E_NS1_11comp_targetILNS1_3genE10ELNS1_11target_archE1200ELNS1_3gpuE4ELNS1_3repE0EEENS1_30default_config_static_selectorELNS0_4arch9wavefront6targetE0EEEvS12_.num_named_barrier, 0
	.set _ZN7rocprim17ROCPRIM_400000_NS6detail17trampoline_kernelINS0_13select_configILj256ELj13ELNS0_17block_load_methodE3ELS4_3ELS4_3ELNS0_20block_scan_algorithmE0ELj4294967295EEENS1_25partition_config_selectorILNS1_17partition_subalgoE4EjNS0_10empty_typeEbEEZZNS1_14partition_implILS8_4ELb0ES6_15HIP_vector_typeIjLj2EENS0_17counting_iteratorIjlEEPS9_SG_NS0_5tupleIJPjSI_NS0_16reverse_iteratorISI_EEEEENSH_IJSG_SG_SG_EEES9_SI_JZNS1_25segmented_radix_sort_implINS0_14default_configELb1EPKbPbPKlPlN2at6native12_GLOBAL__N_18offset_tEEE10hipError_tPvRmT1_PNSt15iterator_traitsIS12_E10value_typeET2_T3_PNS13_IS18_E10value_typeET4_jRbjT5_S1E_jjP12ihipStream_tbEUljE_ZNSN_ISO_Lb1ESQ_SR_ST_SU_SY_EESZ_S10_S11_S12_S16_S17_S18_S1B_S1C_jS1D_jS1E_S1E_jjS1G_bEUljE0_EEESZ_S10_S11_S18_S1C_S1E_T6_T7_T9_mT8_S1G_bDpT10_ENKUlT_T0_E_clISt17integral_constantIbLb1EES1U_EEDaS1P_S1Q_EUlS1P_E_NS1_11comp_targetILNS1_3genE10ELNS1_11target_archE1200ELNS1_3gpuE4ELNS1_3repE0EEENS1_30default_config_static_selectorELNS0_4arch9wavefront6targetE0EEEvS12_.private_seg_size, 0
	.set _ZN7rocprim17ROCPRIM_400000_NS6detail17trampoline_kernelINS0_13select_configILj256ELj13ELNS0_17block_load_methodE3ELS4_3ELS4_3ELNS0_20block_scan_algorithmE0ELj4294967295EEENS1_25partition_config_selectorILNS1_17partition_subalgoE4EjNS0_10empty_typeEbEEZZNS1_14partition_implILS8_4ELb0ES6_15HIP_vector_typeIjLj2EENS0_17counting_iteratorIjlEEPS9_SG_NS0_5tupleIJPjSI_NS0_16reverse_iteratorISI_EEEEENSH_IJSG_SG_SG_EEES9_SI_JZNS1_25segmented_radix_sort_implINS0_14default_configELb1EPKbPbPKlPlN2at6native12_GLOBAL__N_18offset_tEEE10hipError_tPvRmT1_PNSt15iterator_traitsIS12_E10value_typeET2_T3_PNS13_IS18_E10value_typeET4_jRbjT5_S1E_jjP12ihipStream_tbEUljE_ZNSN_ISO_Lb1ESQ_SR_ST_SU_SY_EESZ_S10_S11_S12_S16_S17_S18_S1B_S1C_jS1D_jS1E_S1E_jjS1G_bEUljE0_EEESZ_S10_S11_S18_S1C_S1E_T6_T7_T9_mT8_S1G_bDpT10_ENKUlT_T0_E_clISt17integral_constantIbLb1EES1U_EEDaS1P_S1Q_EUlS1P_E_NS1_11comp_targetILNS1_3genE10ELNS1_11target_archE1200ELNS1_3gpuE4ELNS1_3repE0EEENS1_30default_config_static_selectorELNS0_4arch9wavefront6targetE0EEEvS12_.uses_vcc, 0
	.set _ZN7rocprim17ROCPRIM_400000_NS6detail17trampoline_kernelINS0_13select_configILj256ELj13ELNS0_17block_load_methodE3ELS4_3ELS4_3ELNS0_20block_scan_algorithmE0ELj4294967295EEENS1_25partition_config_selectorILNS1_17partition_subalgoE4EjNS0_10empty_typeEbEEZZNS1_14partition_implILS8_4ELb0ES6_15HIP_vector_typeIjLj2EENS0_17counting_iteratorIjlEEPS9_SG_NS0_5tupleIJPjSI_NS0_16reverse_iteratorISI_EEEEENSH_IJSG_SG_SG_EEES9_SI_JZNS1_25segmented_radix_sort_implINS0_14default_configELb1EPKbPbPKlPlN2at6native12_GLOBAL__N_18offset_tEEE10hipError_tPvRmT1_PNSt15iterator_traitsIS12_E10value_typeET2_T3_PNS13_IS18_E10value_typeET4_jRbjT5_S1E_jjP12ihipStream_tbEUljE_ZNSN_ISO_Lb1ESQ_SR_ST_SU_SY_EESZ_S10_S11_S12_S16_S17_S18_S1B_S1C_jS1D_jS1E_S1E_jjS1G_bEUljE0_EEESZ_S10_S11_S18_S1C_S1E_T6_T7_T9_mT8_S1G_bDpT10_ENKUlT_T0_E_clISt17integral_constantIbLb1EES1U_EEDaS1P_S1Q_EUlS1P_E_NS1_11comp_targetILNS1_3genE10ELNS1_11target_archE1200ELNS1_3gpuE4ELNS1_3repE0EEENS1_30default_config_static_selectorELNS0_4arch9wavefront6targetE0EEEvS12_.uses_flat_scratch, 0
	.set _ZN7rocprim17ROCPRIM_400000_NS6detail17trampoline_kernelINS0_13select_configILj256ELj13ELNS0_17block_load_methodE3ELS4_3ELS4_3ELNS0_20block_scan_algorithmE0ELj4294967295EEENS1_25partition_config_selectorILNS1_17partition_subalgoE4EjNS0_10empty_typeEbEEZZNS1_14partition_implILS8_4ELb0ES6_15HIP_vector_typeIjLj2EENS0_17counting_iteratorIjlEEPS9_SG_NS0_5tupleIJPjSI_NS0_16reverse_iteratorISI_EEEEENSH_IJSG_SG_SG_EEES9_SI_JZNS1_25segmented_radix_sort_implINS0_14default_configELb1EPKbPbPKlPlN2at6native12_GLOBAL__N_18offset_tEEE10hipError_tPvRmT1_PNSt15iterator_traitsIS12_E10value_typeET2_T3_PNS13_IS18_E10value_typeET4_jRbjT5_S1E_jjP12ihipStream_tbEUljE_ZNSN_ISO_Lb1ESQ_SR_ST_SU_SY_EESZ_S10_S11_S12_S16_S17_S18_S1B_S1C_jS1D_jS1E_S1E_jjS1G_bEUljE0_EEESZ_S10_S11_S18_S1C_S1E_T6_T7_T9_mT8_S1G_bDpT10_ENKUlT_T0_E_clISt17integral_constantIbLb1EES1U_EEDaS1P_S1Q_EUlS1P_E_NS1_11comp_targetILNS1_3genE10ELNS1_11target_archE1200ELNS1_3gpuE4ELNS1_3repE0EEENS1_30default_config_static_selectorELNS0_4arch9wavefront6targetE0EEEvS12_.has_dyn_sized_stack, 0
	.set _ZN7rocprim17ROCPRIM_400000_NS6detail17trampoline_kernelINS0_13select_configILj256ELj13ELNS0_17block_load_methodE3ELS4_3ELS4_3ELNS0_20block_scan_algorithmE0ELj4294967295EEENS1_25partition_config_selectorILNS1_17partition_subalgoE4EjNS0_10empty_typeEbEEZZNS1_14partition_implILS8_4ELb0ES6_15HIP_vector_typeIjLj2EENS0_17counting_iteratorIjlEEPS9_SG_NS0_5tupleIJPjSI_NS0_16reverse_iteratorISI_EEEEENSH_IJSG_SG_SG_EEES9_SI_JZNS1_25segmented_radix_sort_implINS0_14default_configELb1EPKbPbPKlPlN2at6native12_GLOBAL__N_18offset_tEEE10hipError_tPvRmT1_PNSt15iterator_traitsIS12_E10value_typeET2_T3_PNS13_IS18_E10value_typeET4_jRbjT5_S1E_jjP12ihipStream_tbEUljE_ZNSN_ISO_Lb1ESQ_SR_ST_SU_SY_EESZ_S10_S11_S12_S16_S17_S18_S1B_S1C_jS1D_jS1E_S1E_jjS1G_bEUljE0_EEESZ_S10_S11_S18_S1C_S1E_T6_T7_T9_mT8_S1G_bDpT10_ENKUlT_T0_E_clISt17integral_constantIbLb1EES1U_EEDaS1P_S1Q_EUlS1P_E_NS1_11comp_targetILNS1_3genE10ELNS1_11target_archE1200ELNS1_3gpuE4ELNS1_3repE0EEENS1_30default_config_static_selectorELNS0_4arch9wavefront6targetE0EEEvS12_.has_recursion, 0
	.set _ZN7rocprim17ROCPRIM_400000_NS6detail17trampoline_kernelINS0_13select_configILj256ELj13ELNS0_17block_load_methodE3ELS4_3ELS4_3ELNS0_20block_scan_algorithmE0ELj4294967295EEENS1_25partition_config_selectorILNS1_17partition_subalgoE4EjNS0_10empty_typeEbEEZZNS1_14partition_implILS8_4ELb0ES6_15HIP_vector_typeIjLj2EENS0_17counting_iteratorIjlEEPS9_SG_NS0_5tupleIJPjSI_NS0_16reverse_iteratorISI_EEEEENSH_IJSG_SG_SG_EEES9_SI_JZNS1_25segmented_radix_sort_implINS0_14default_configELb1EPKbPbPKlPlN2at6native12_GLOBAL__N_18offset_tEEE10hipError_tPvRmT1_PNSt15iterator_traitsIS12_E10value_typeET2_T3_PNS13_IS18_E10value_typeET4_jRbjT5_S1E_jjP12ihipStream_tbEUljE_ZNSN_ISO_Lb1ESQ_SR_ST_SU_SY_EESZ_S10_S11_S12_S16_S17_S18_S1B_S1C_jS1D_jS1E_S1E_jjS1G_bEUljE0_EEESZ_S10_S11_S18_S1C_S1E_T6_T7_T9_mT8_S1G_bDpT10_ENKUlT_T0_E_clISt17integral_constantIbLb1EES1U_EEDaS1P_S1Q_EUlS1P_E_NS1_11comp_targetILNS1_3genE10ELNS1_11target_archE1200ELNS1_3gpuE4ELNS1_3repE0EEENS1_30default_config_static_selectorELNS0_4arch9wavefront6targetE0EEEvS12_.has_indirect_call, 0
	.section	.AMDGPU.csdata,"",@progbits
; Kernel info:
; codeLenInByte = 4
; TotalNumSgprs: 0
; NumVgprs: 0
; ScratchSize: 0
; MemoryBound: 0
; FloatMode: 240
; IeeeMode: 1
; LDSByteSize: 0 bytes/workgroup (compile time only)
; SGPRBlocks: 0
; VGPRBlocks: 0
; NumSGPRsForWavesPerEU: 1
; NumVGPRsForWavesPerEU: 1
; Occupancy: 16
; WaveLimiterHint : 0
; COMPUTE_PGM_RSRC2:SCRATCH_EN: 0
; COMPUTE_PGM_RSRC2:USER_SGPR: 2
; COMPUTE_PGM_RSRC2:TRAP_HANDLER: 0
; COMPUTE_PGM_RSRC2:TGID_X_EN: 1
; COMPUTE_PGM_RSRC2:TGID_Y_EN: 0
; COMPUTE_PGM_RSRC2:TGID_Z_EN: 0
; COMPUTE_PGM_RSRC2:TIDIG_COMP_CNT: 0
	.section	.text._ZN7rocprim17ROCPRIM_400000_NS6detail17trampoline_kernelINS0_13select_configILj256ELj13ELNS0_17block_load_methodE3ELS4_3ELS4_3ELNS0_20block_scan_algorithmE0ELj4294967295EEENS1_25partition_config_selectorILNS1_17partition_subalgoE4EjNS0_10empty_typeEbEEZZNS1_14partition_implILS8_4ELb0ES6_15HIP_vector_typeIjLj2EENS0_17counting_iteratorIjlEEPS9_SG_NS0_5tupleIJPjSI_NS0_16reverse_iteratorISI_EEEEENSH_IJSG_SG_SG_EEES9_SI_JZNS1_25segmented_radix_sort_implINS0_14default_configELb1EPKbPbPKlPlN2at6native12_GLOBAL__N_18offset_tEEE10hipError_tPvRmT1_PNSt15iterator_traitsIS12_E10value_typeET2_T3_PNS13_IS18_E10value_typeET4_jRbjT5_S1E_jjP12ihipStream_tbEUljE_ZNSN_ISO_Lb1ESQ_SR_ST_SU_SY_EESZ_S10_S11_S12_S16_S17_S18_S1B_S1C_jS1D_jS1E_S1E_jjS1G_bEUljE0_EEESZ_S10_S11_S18_S1C_S1E_T6_T7_T9_mT8_S1G_bDpT10_ENKUlT_T0_E_clISt17integral_constantIbLb1EES1U_EEDaS1P_S1Q_EUlS1P_E_NS1_11comp_targetILNS1_3genE9ELNS1_11target_archE1100ELNS1_3gpuE3ELNS1_3repE0EEENS1_30default_config_static_selectorELNS0_4arch9wavefront6targetE0EEEvS12_,"axG",@progbits,_ZN7rocprim17ROCPRIM_400000_NS6detail17trampoline_kernelINS0_13select_configILj256ELj13ELNS0_17block_load_methodE3ELS4_3ELS4_3ELNS0_20block_scan_algorithmE0ELj4294967295EEENS1_25partition_config_selectorILNS1_17partition_subalgoE4EjNS0_10empty_typeEbEEZZNS1_14partition_implILS8_4ELb0ES6_15HIP_vector_typeIjLj2EENS0_17counting_iteratorIjlEEPS9_SG_NS0_5tupleIJPjSI_NS0_16reverse_iteratorISI_EEEEENSH_IJSG_SG_SG_EEES9_SI_JZNS1_25segmented_radix_sort_implINS0_14default_configELb1EPKbPbPKlPlN2at6native12_GLOBAL__N_18offset_tEEE10hipError_tPvRmT1_PNSt15iterator_traitsIS12_E10value_typeET2_T3_PNS13_IS18_E10value_typeET4_jRbjT5_S1E_jjP12ihipStream_tbEUljE_ZNSN_ISO_Lb1ESQ_SR_ST_SU_SY_EESZ_S10_S11_S12_S16_S17_S18_S1B_S1C_jS1D_jS1E_S1E_jjS1G_bEUljE0_EEESZ_S10_S11_S18_S1C_S1E_T6_T7_T9_mT8_S1G_bDpT10_ENKUlT_T0_E_clISt17integral_constantIbLb1EES1U_EEDaS1P_S1Q_EUlS1P_E_NS1_11comp_targetILNS1_3genE9ELNS1_11target_archE1100ELNS1_3gpuE3ELNS1_3repE0EEENS1_30default_config_static_selectorELNS0_4arch9wavefront6targetE0EEEvS12_,comdat
	.globl	_ZN7rocprim17ROCPRIM_400000_NS6detail17trampoline_kernelINS0_13select_configILj256ELj13ELNS0_17block_load_methodE3ELS4_3ELS4_3ELNS0_20block_scan_algorithmE0ELj4294967295EEENS1_25partition_config_selectorILNS1_17partition_subalgoE4EjNS0_10empty_typeEbEEZZNS1_14partition_implILS8_4ELb0ES6_15HIP_vector_typeIjLj2EENS0_17counting_iteratorIjlEEPS9_SG_NS0_5tupleIJPjSI_NS0_16reverse_iteratorISI_EEEEENSH_IJSG_SG_SG_EEES9_SI_JZNS1_25segmented_radix_sort_implINS0_14default_configELb1EPKbPbPKlPlN2at6native12_GLOBAL__N_18offset_tEEE10hipError_tPvRmT1_PNSt15iterator_traitsIS12_E10value_typeET2_T3_PNS13_IS18_E10value_typeET4_jRbjT5_S1E_jjP12ihipStream_tbEUljE_ZNSN_ISO_Lb1ESQ_SR_ST_SU_SY_EESZ_S10_S11_S12_S16_S17_S18_S1B_S1C_jS1D_jS1E_S1E_jjS1G_bEUljE0_EEESZ_S10_S11_S18_S1C_S1E_T6_T7_T9_mT8_S1G_bDpT10_ENKUlT_T0_E_clISt17integral_constantIbLb1EES1U_EEDaS1P_S1Q_EUlS1P_E_NS1_11comp_targetILNS1_3genE9ELNS1_11target_archE1100ELNS1_3gpuE3ELNS1_3repE0EEENS1_30default_config_static_selectorELNS0_4arch9wavefront6targetE0EEEvS12_ ; -- Begin function _ZN7rocprim17ROCPRIM_400000_NS6detail17trampoline_kernelINS0_13select_configILj256ELj13ELNS0_17block_load_methodE3ELS4_3ELS4_3ELNS0_20block_scan_algorithmE0ELj4294967295EEENS1_25partition_config_selectorILNS1_17partition_subalgoE4EjNS0_10empty_typeEbEEZZNS1_14partition_implILS8_4ELb0ES6_15HIP_vector_typeIjLj2EENS0_17counting_iteratorIjlEEPS9_SG_NS0_5tupleIJPjSI_NS0_16reverse_iteratorISI_EEEEENSH_IJSG_SG_SG_EEES9_SI_JZNS1_25segmented_radix_sort_implINS0_14default_configELb1EPKbPbPKlPlN2at6native12_GLOBAL__N_18offset_tEEE10hipError_tPvRmT1_PNSt15iterator_traitsIS12_E10value_typeET2_T3_PNS13_IS18_E10value_typeET4_jRbjT5_S1E_jjP12ihipStream_tbEUljE_ZNSN_ISO_Lb1ESQ_SR_ST_SU_SY_EESZ_S10_S11_S12_S16_S17_S18_S1B_S1C_jS1D_jS1E_S1E_jjS1G_bEUljE0_EEESZ_S10_S11_S18_S1C_S1E_T6_T7_T9_mT8_S1G_bDpT10_ENKUlT_T0_E_clISt17integral_constantIbLb1EES1U_EEDaS1P_S1Q_EUlS1P_E_NS1_11comp_targetILNS1_3genE9ELNS1_11target_archE1100ELNS1_3gpuE3ELNS1_3repE0EEENS1_30default_config_static_selectorELNS0_4arch9wavefront6targetE0EEEvS12_
	.p2align	8
	.type	_ZN7rocprim17ROCPRIM_400000_NS6detail17trampoline_kernelINS0_13select_configILj256ELj13ELNS0_17block_load_methodE3ELS4_3ELS4_3ELNS0_20block_scan_algorithmE0ELj4294967295EEENS1_25partition_config_selectorILNS1_17partition_subalgoE4EjNS0_10empty_typeEbEEZZNS1_14partition_implILS8_4ELb0ES6_15HIP_vector_typeIjLj2EENS0_17counting_iteratorIjlEEPS9_SG_NS0_5tupleIJPjSI_NS0_16reverse_iteratorISI_EEEEENSH_IJSG_SG_SG_EEES9_SI_JZNS1_25segmented_radix_sort_implINS0_14default_configELb1EPKbPbPKlPlN2at6native12_GLOBAL__N_18offset_tEEE10hipError_tPvRmT1_PNSt15iterator_traitsIS12_E10value_typeET2_T3_PNS13_IS18_E10value_typeET4_jRbjT5_S1E_jjP12ihipStream_tbEUljE_ZNSN_ISO_Lb1ESQ_SR_ST_SU_SY_EESZ_S10_S11_S12_S16_S17_S18_S1B_S1C_jS1D_jS1E_S1E_jjS1G_bEUljE0_EEESZ_S10_S11_S18_S1C_S1E_T6_T7_T9_mT8_S1G_bDpT10_ENKUlT_T0_E_clISt17integral_constantIbLb1EES1U_EEDaS1P_S1Q_EUlS1P_E_NS1_11comp_targetILNS1_3genE9ELNS1_11target_archE1100ELNS1_3gpuE3ELNS1_3repE0EEENS1_30default_config_static_selectorELNS0_4arch9wavefront6targetE0EEEvS12_,@function
_ZN7rocprim17ROCPRIM_400000_NS6detail17trampoline_kernelINS0_13select_configILj256ELj13ELNS0_17block_load_methodE3ELS4_3ELS4_3ELNS0_20block_scan_algorithmE0ELj4294967295EEENS1_25partition_config_selectorILNS1_17partition_subalgoE4EjNS0_10empty_typeEbEEZZNS1_14partition_implILS8_4ELb0ES6_15HIP_vector_typeIjLj2EENS0_17counting_iteratorIjlEEPS9_SG_NS0_5tupleIJPjSI_NS0_16reverse_iteratorISI_EEEEENSH_IJSG_SG_SG_EEES9_SI_JZNS1_25segmented_radix_sort_implINS0_14default_configELb1EPKbPbPKlPlN2at6native12_GLOBAL__N_18offset_tEEE10hipError_tPvRmT1_PNSt15iterator_traitsIS12_E10value_typeET2_T3_PNS13_IS18_E10value_typeET4_jRbjT5_S1E_jjP12ihipStream_tbEUljE_ZNSN_ISO_Lb1ESQ_SR_ST_SU_SY_EESZ_S10_S11_S12_S16_S17_S18_S1B_S1C_jS1D_jS1E_S1E_jjS1G_bEUljE0_EEESZ_S10_S11_S18_S1C_S1E_T6_T7_T9_mT8_S1G_bDpT10_ENKUlT_T0_E_clISt17integral_constantIbLb1EES1U_EEDaS1P_S1Q_EUlS1P_E_NS1_11comp_targetILNS1_3genE9ELNS1_11target_archE1100ELNS1_3gpuE3ELNS1_3repE0EEENS1_30default_config_static_selectorELNS0_4arch9wavefront6targetE0EEEvS12_: ; @_ZN7rocprim17ROCPRIM_400000_NS6detail17trampoline_kernelINS0_13select_configILj256ELj13ELNS0_17block_load_methodE3ELS4_3ELS4_3ELNS0_20block_scan_algorithmE0ELj4294967295EEENS1_25partition_config_selectorILNS1_17partition_subalgoE4EjNS0_10empty_typeEbEEZZNS1_14partition_implILS8_4ELb0ES6_15HIP_vector_typeIjLj2EENS0_17counting_iteratorIjlEEPS9_SG_NS0_5tupleIJPjSI_NS0_16reverse_iteratorISI_EEEEENSH_IJSG_SG_SG_EEES9_SI_JZNS1_25segmented_radix_sort_implINS0_14default_configELb1EPKbPbPKlPlN2at6native12_GLOBAL__N_18offset_tEEE10hipError_tPvRmT1_PNSt15iterator_traitsIS12_E10value_typeET2_T3_PNS13_IS18_E10value_typeET4_jRbjT5_S1E_jjP12ihipStream_tbEUljE_ZNSN_ISO_Lb1ESQ_SR_ST_SU_SY_EESZ_S10_S11_S12_S16_S17_S18_S1B_S1C_jS1D_jS1E_S1E_jjS1G_bEUljE0_EEESZ_S10_S11_S18_S1C_S1E_T6_T7_T9_mT8_S1G_bDpT10_ENKUlT_T0_E_clISt17integral_constantIbLb1EES1U_EEDaS1P_S1Q_EUlS1P_E_NS1_11comp_targetILNS1_3genE9ELNS1_11target_archE1100ELNS1_3gpuE3ELNS1_3repE0EEENS1_30default_config_static_selectorELNS0_4arch9wavefront6targetE0EEEvS12_
; %bb.0:
	.section	.rodata,"a",@progbits
	.p2align	6, 0x0
	.amdhsa_kernel _ZN7rocprim17ROCPRIM_400000_NS6detail17trampoline_kernelINS0_13select_configILj256ELj13ELNS0_17block_load_methodE3ELS4_3ELS4_3ELNS0_20block_scan_algorithmE0ELj4294967295EEENS1_25partition_config_selectorILNS1_17partition_subalgoE4EjNS0_10empty_typeEbEEZZNS1_14partition_implILS8_4ELb0ES6_15HIP_vector_typeIjLj2EENS0_17counting_iteratorIjlEEPS9_SG_NS0_5tupleIJPjSI_NS0_16reverse_iteratorISI_EEEEENSH_IJSG_SG_SG_EEES9_SI_JZNS1_25segmented_radix_sort_implINS0_14default_configELb1EPKbPbPKlPlN2at6native12_GLOBAL__N_18offset_tEEE10hipError_tPvRmT1_PNSt15iterator_traitsIS12_E10value_typeET2_T3_PNS13_IS18_E10value_typeET4_jRbjT5_S1E_jjP12ihipStream_tbEUljE_ZNSN_ISO_Lb1ESQ_SR_ST_SU_SY_EESZ_S10_S11_S12_S16_S17_S18_S1B_S1C_jS1D_jS1E_S1E_jjS1G_bEUljE0_EEESZ_S10_S11_S18_S1C_S1E_T6_T7_T9_mT8_S1G_bDpT10_ENKUlT_T0_E_clISt17integral_constantIbLb1EES1U_EEDaS1P_S1Q_EUlS1P_E_NS1_11comp_targetILNS1_3genE9ELNS1_11target_archE1100ELNS1_3gpuE3ELNS1_3repE0EEENS1_30default_config_static_selectorELNS0_4arch9wavefront6targetE0EEEvS12_
		.amdhsa_group_segment_fixed_size 0
		.amdhsa_private_segment_fixed_size 0
		.amdhsa_kernarg_size 184
		.amdhsa_user_sgpr_count 2
		.amdhsa_user_sgpr_dispatch_ptr 0
		.amdhsa_user_sgpr_queue_ptr 0
		.amdhsa_user_sgpr_kernarg_segment_ptr 1
		.amdhsa_user_sgpr_dispatch_id 0
		.amdhsa_user_sgpr_private_segment_size 0
		.amdhsa_wavefront_size32 1
		.amdhsa_uses_dynamic_stack 0
		.amdhsa_enable_private_segment 0
		.amdhsa_system_sgpr_workgroup_id_x 1
		.amdhsa_system_sgpr_workgroup_id_y 0
		.amdhsa_system_sgpr_workgroup_id_z 0
		.amdhsa_system_sgpr_workgroup_info 0
		.amdhsa_system_vgpr_workitem_id 0
		.amdhsa_next_free_vgpr 1
		.amdhsa_next_free_sgpr 1
		.amdhsa_reserve_vcc 0
		.amdhsa_float_round_mode_32 0
		.amdhsa_float_round_mode_16_64 0
		.amdhsa_float_denorm_mode_32 3
		.amdhsa_float_denorm_mode_16_64 3
		.amdhsa_fp16_overflow 0
		.amdhsa_workgroup_processor_mode 1
		.amdhsa_memory_ordered 1
		.amdhsa_forward_progress 1
		.amdhsa_inst_pref_size 0
		.amdhsa_round_robin_scheduling 0
		.amdhsa_exception_fp_ieee_invalid_op 0
		.amdhsa_exception_fp_denorm_src 0
		.amdhsa_exception_fp_ieee_div_zero 0
		.amdhsa_exception_fp_ieee_overflow 0
		.amdhsa_exception_fp_ieee_underflow 0
		.amdhsa_exception_fp_ieee_inexact 0
		.amdhsa_exception_int_div_zero 0
	.end_amdhsa_kernel
	.section	.text._ZN7rocprim17ROCPRIM_400000_NS6detail17trampoline_kernelINS0_13select_configILj256ELj13ELNS0_17block_load_methodE3ELS4_3ELS4_3ELNS0_20block_scan_algorithmE0ELj4294967295EEENS1_25partition_config_selectorILNS1_17partition_subalgoE4EjNS0_10empty_typeEbEEZZNS1_14partition_implILS8_4ELb0ES6_15HIP_vector_typeIjLj2EENS0_17counting_iteratorIjlEEPS9_SG_NS0_5tupleIJPjSI_NS0_16reverse_iteratorISI_EEEEENSH_IJSG_SG_SG_EEES9_SI_JZNS1_25segmented_radix_sort_implINS0_14default_configELb1EPKbPbPKlPlN2at6native12_GLOBAL__N_18offset_tEEE10hipError_tPvRmT1_PNSt15iterator_traitsIS12_E10value_typeET2_T3_PNS13_IS18_E10value_typeET4_jRbjT5_S1E_jjP12ihipStream_tbEUljE_ZNSN_ISO_Lb1ESQ_SR_ST_SU_SY_EESZ_S10_S11_S12_S16_S17_S18_S1B_S1C_jS1D_jS1E_S1E_jjS1G_bEUljE0_EEESZ_S10_S11_S18_S1C_S1E_T6_T7_T9_mT8_S1G_bDpT10_ENKUlT_T0_E_clISt17integral_constantIbLb1EES1U_EEDaS1P_S1Q_EUlS1P_E_NS1_11comp_targetILNS1_3genE9ELNS1_11target_archE1100ELNS1_3gpuE3ELNS1_3repE0EEENS1_30default_config_static_selectorELNS0_4arch9wavefront6targetE0EEEvS12_,"axG",@progbits,_ZN7rocprim17ROCPRIM_400000_NS6detail17trampoline_kernelINS0_13select_configILj256ELj13ELNS0_17block_load_methodE3ELS4_3ELS4_3ELNS0_20block_scan_algorithmE0ELj4294967295EEENS1_25partition_config_selectorILNS1_17partition_subalgoE4EjNS0_10empty_typeEbEEZZNS1_14partition_implILS8_4ELb0ES6_15HIP_vector_typeIjLj2EENS0_17counting_iteratorIjlEEPS9_SG_NS0_5tupleIJPjSI_NS0_16reverse_iteratorISI_EEEEENSH_IJSG_SG_SG_EEES9_SI_JZNS1_25segmented_radix_sort_implINS0_14default_configELb1EPKbPbPKlPlN2at6native12_GLOBAL__N_18offset_tEEE10hipError_tPvRmT1_PNSt15iterator_traitsIS12_E10value_typeET2_T3_PNS13_IS18_E10value_typeET4_jRbjT5_S1E_jjP12ihipStream_tbEUljE_ZNSN_ISO_Lb1ESQ_SR_ST_SU_SY_EESZ_S10_S11_S12_S16_S17_S18_S1B_S1C_jS1D_jS1E_S1E_jjS1G_bEUljE0_EEESZ_S10_S11_S18_S1C_S1E_T6_T7_T9_mT8_S1G_bDpT10_ENKUlT_T0_E_clISt17integral_constantIbLb1EES1U_EEDaS1P_S1Q_EUlS1P_E_NS1_11comp_targetILNS1_3genE9ELNS1_11target_archE1100ELNS1_3gpuE3ELNS1_3repE0EEENS1_30default_config_static_selectorELNS0_4arch9wavefront6targetE0EEEvS12_,comdat
.Lfunc_end1482:
	.size	_ZN7rocprim17ROCPRIM_400000_NS6detail17trampoline_kernelINS0_13select_configILj256ELj13ELNS0_17block_load_methodE3ELS4_3ELS4_3ELNS0_20block_scan_algorithmE0ELj4294967295EEENS1_25partition_config_selectorILNS1_17partition_subalgoE4EjNS0_10empty_typeEbEEZZNS1_14partition_implILS8_4ELb0ES6_15HIP_vector_typeIjLj2EENS0_17counting_iteratorIjlEEPS9_SG_NS0_5tupleIJPjSI_NS0_16reverse_iteratorISI_EEEEENSH_IJSG_SG_SG_EEES9_SI_JZNS1_25segmented_radix_sort_implINS0_14default_configELb1EPKbPbPKlPlN2at6native12_GLOBAL__N_18offset_tEEE10hipError_tPvRmT1_PNSt15iterator_traitsIS12_E10value_typeET2_T3_PNS13_IS18_E10value_typeET4_jRbjT5_S1E_jjP12ihipStream_tbEUljE_ZNSN_ISO_Lb1ESQ_SR_ST_SU_SY_EESZ_S10_S11_S12_S16_S17_S18_S1B_S1C_jS1D_jS1E_S1E_jjS1G_bEUljE0_EEESZ_S10_S11_S18_S1C_S1E_T6_T7_T9_mT8_S1G_bDpT10_ENKUlT_T0_E_clISt17integral_constantIbLb1EES1U_EEDaS1P_S1Q_EUlS1P_E_NS1_11comp_targetILNS1_3genE9ELNS1_11target_archE1100ELNS1_3gpuE3ELNS1_3repE0EEENS1_30default_config_static_selectorELNS0_4arch9wavefront6targetE0EEEvS12_, .Lfunc_end1482-_ZN7rocprim17ROCPRIM_400000_NS6detail17trampoline_kernelINS0_13select_configILj256ELj13ELNS0_17block_load_methodE3ELS4_3ELS4_3ELNS0_20block_scan_algorithmE0ELj4294967295EEENS1_25partition_config_selectorILNS1_17partition_subalgoE4EjNS0_10empty_typeEbEEZZNS1_14partition_implILS8_4ELb0ES6_15HIP_vector_typeIjLj2EENS0_17counting_iteratorIjlEEPS9_SG_NS0_5tupleIJPjSI_NS0_16reverse_iteratorISI_EEEEENSH_IJSG_SG_SG_EEES9_SI_JZNS1_25segmented_radix_sort_implINS0_14default_configELb1EPKbPbPKlPlN2at6native12_GLOBAL__N_18offset_tEEE10hipError_tPvRmT1_PNSt15iterator_traitsIS12_E10value_typeET2_T3_PNS13_IS18_E10value_typeET4_jRbjT5_S1E_jjP12ihipStream_tbEUljE_ZNSN_ISO_Lb1ESQ_SR_ST_SU_SY_EESZ_S10_S11_S12_S16_S17_S18_S1B_S1C_jS1D_jS1E_S1E_jjS1G_bEUljE0_EEESZ_S10_S11_S18_S1C_S1E_T6_T7_T9_mT8_S1G_bDpT10_ENKUlT_T0_E_clISt17integral_constantIbLb1EES1U_EEDaS1P_S1Q_EUlS1P_E_NS1_11comp_targetILNS1_3genE9ELNS1_11target_archE1100ELNS1_3gpuE3ELNS1_3repE0EEENS1_30default_config_static_selectorELNS0_4arch9wavefront6targetE0EEEvS12_
                                        ; -- End function
	.set _ZN7rocprim17ROCPRIM_400000_NS6detail17trampoline_kernelINS0_13select_configILj256ELj13ELNS0_17block_load_methodE3ELS4_3ELS4_3ELNS0_20block_scan_algorithmE0ELj4294967295EEENS1_25partition_config_selectorILNS1_17partition_subalgoE4EjNS0_10empty_typeEbEEZZNS1_14partition_implILS8_4ELb0ES6_15HIP_vector_typeIjLj2EENS0_17counting_iteratorIjlEEPS9_SG_NS0_5tupleIJPjSI_NS0_16reverse_iteratorISI_EEEEENSH_IJSG_SG_SG_EEES9_SI_JZNS1_25segmented_radix_sort_implINS0_14default_configELb1EPKbPbPKlPlN2at6native12_GLOBAL__N_18offset_tEEE10hipError_tPvRmT1_PNSt15iterator_traitsIS12_E10value_typeET2_T3_PNS13_IS18_E10value_typeET4_jRbjT5_S1E_jjP12ihipStream_tbEUljE_ZNSN_ISO_Lb1ESQ_SR_ST_SU_SY_EESZ_S10_S11_S12_S16_S17_S18_S1B_S1C_jS1D_jS1E_S1E_jjS1G_bEUljE0_EEESZ_S10_S11_S18_S1C_S1E_T6_T7_T9_mT8_S1G_bDpT10_ENKUlT_T0_E_clISt17integral_constantIbLb1EES1U_EEDaS1P_S1Q_EUlS1P_E_NS1_11comp_targetILNS1_3genE9ELNS1_11target_archE1100ELNS1_3gpuE3ELNS1_3repE0EEENS1_30default_config_static_selectorELNS0_4arch9wavefront6targetE0EEEvS12_.num_vgpr, 0
	.set _ZN7rocprim17ROCPRIM_400000_NS6detail17trampoline_kernelINS0_13select_configILj256ELj13ELNS0_17block_load_methodE3ELS4_3ELS4_3ELNS0_20block_scan_algorithmE0ELj4294967295EEENS1_25partition_config_selectorILNS1_17partition_subalgoE4EjNS0_10empty_typeEbEEZZNS1_14partition_implILS8_4ELb0ES6_15HIP_vector_typeIjLj2EENS0_17counting_iteratorIjlEEPS9_SG_NS0_5tupleIJPjSI_NS0_16reverse_iteratorISI_EEEEENSH_IJSG_SG_SG_EEES9_SI_JZNS1_25segmented_radix_sort_implINS0_14default_configELb1EPKbPbPKlPlN2at6native12_GLOBAL__N_18offset_tEEE10hipError_tPvRmT1_PNSt15iterator_traitsIS12_E10value_typeET2_T3_PNS13_IS18_E10value_typeET4_jRbjT5_S1E_jjP12ihipStream_tbEUljE_ZNSN_ISO_Lb1ESQ_SR_ST_SU_SY_EESZ_S10_S11_S12_S16_S17_S18_S1B_S1C_jS1D_jS1E_S1E_jjS1G_bEUljE0_EEESZ_S10_S11_S18_S1C_S1E_T6_T7_T9_mT8_S1G_bDpT10_ENKUlT_T0_E_clISt17integral_constantIbLb1EES1U_EEDaS1P_S1Q_EUlS1P_E_NS1_11comp_targetILNS1_3genE9ELNS1_11target_archE1100ELNS1_3gpuE3ELNS1_3repE0EEENS1_30default_config_static_selectorELNS0_4arch9wavefront6targetE0EEEvS12_.num_agpr, 0
	.set _ZN7rocprim17ROCPRIM_400000_NS6detail17trampoline_kernelINS0_13select_configILj256ELj13ELNS0_17block_load_methodE3ELS4_3ELS4_3ELNS0_20block_scan_algorithmE0ELj4294967295EEENS1_25partition_config_selectorILNS1_17partition_subalgoE4EjNS0_10empty_typeEbEEZZNS1_14partition_implILS8_4ELb0ES6_15HIP_vector_typeIjLj2EENS0_17counting_iteratorIjlEEPS9_SG_NS0_5tupleIJPjSI_NS0_16reverse_iteratorISI_EEEEENSH_IJSG_SG_SG_EEES9_SI_JZNS1_25segmented_radix_sort_implINS0_14default_configELb1EPKbPbPKlPlN2at6native12_GLOBAL__N_18offset_tEEE10hipError_tPvRmT1_PNSt15iterator_traitsIS12_E10value_typeET2_T3_PNS13_IS18_E10value_typeET4_jRbjT5_S1E_jjP12ihipStream_tbEUljE_ZNSN_ISO_Lb1ESQ_SR_ST_SU_SY_EESZ_S10_S11_S12_S16_S17_S18_S1B_S1C_jS1D_jS1E_S1E_jjS1G_bEUljE0_EEESZ_S10_S11_S18_S1C_S1E_T6_T7_T9_mT8_S1G_bDpT10_ENKUlT_T0_E_clISt17integral_constantIbLb1EES1U_EEDaS1P_S1Q_EUlS1P_E_NS1_11comp_targetILNS1_3genE9ELNS1_11target_archE1100ELNS1_3gpuE3ELNS1_3repE0EEENS1_30default_config_static_selectorELNS0_4arch9wavefront6targetE0EEEvS12_.numbered_sgpr, 0
	.set _ZN7rocprim17ROCPRIM_400000_NS6detail17trampoline_kernelINS0_13select_configILj256ELj13ELNS0_17block_load_methodE3ELS4_3ELS4_3ELNS0_20block_scan_algorithmE0ELj4294967295EEENS1_25partition_config_selectorILNS1_17partition_subalgoE4EjNS0_10empty_typeEbEEZZNS1_14partition_implILS8_4ELb0ES6_15HIP_vector_typeIjLj2EENS0_17counting_iteratorIjlEEPS9_SG_NS0_5tupleIJPjSI_NS0_16reverse_iteratorISI_EEEEENSH_IJSG_SG_SG_EEES9_SI_JZNS1_25segmented_radix_sort_implINS0_14default_configELb1EPKbPbPKlPlN2at6native12_GLOBAL__N_18offset_tEEE10hipError_tPvRmT1_PNSt15iterator_traitsIS12_E10value_typeET2_T3_PNS13_IS18_E10value_typeET4_jRbjT5_S1E_jjP12ihipStream_tbEUljE_ZNSN_ISO_Lb1ESQ_SR_ST_SU_SY_EESZ_S10_S11_S12_S16_S17_S18_S1B_S1C_jS1D_jS1E_S1E_jjS1G_bEUljE0_EEESZ_S10_S11_S18_S1C_S1E_T6_T7_T9_mT8_S1G_bDpT10_ENKUlT_T0_E_clISt17integral_constantIbLb1EES1U_EEDaS1P_S1Q_EUlS1P_E_NS1_11comp_targetILNS1_3genE9ELNS1_11target_archE1100ELNS1_3gpuE3ELNS1_3repE0EEENS1_30default_config_static_selectorELNS0_4arch9wavefront6targetE0EEEvS12_.num_named_barrier, 0
	.set _ZN7rocprim17ROCPRIM_400000_NS6detail17trampoline_kernelINS0_13select_configILj256ELj13ELNS0_17block_load_methodE3ELS4_3ELS4_3ELNS0_20block_scan_algorithmE0ELj4294967295EEENS1_25partition_config_selectorILNS1_17partition_subalgoE4EjNS0_10empty_typeEbEEZZNS1_14partition_implILS8_4ELb0ES6_15HIP_vector_typeIjLj2EENS0_17counting_iteratorIjlEEPS9_SG_NS0_5tupleIJPjSI_NS0_16reverse_iteratorISI_EEEEENSH_IJSG_SG_SG_EEES9_SI_JZNS1_25segmented_radix_sort_implINS0_14default_configELb1EPKbPbPKlPlN2at6native12_GLOBAL__N_18offset_tEEE10hipError_tPvRmT1_PNSt15iterator_traitsIS12_E10value_typeET2_T3_PNS13_IS18_E10value_typeET4_jRbjT5_S1E_jjP12ihipStream_tbEUljE_ZNSN_ISO_Lb1ESQ_SR_ST_SU_SY_EESZ_S10_S11_S12_S16_S17_S18_S1B_S1C_jS1D_jS1E_S1E_jjS1G_bEUljE0_EEESZ_S10_S11_S18_S1C_S1E_T6_T7_T9_mT8_S1G_bDpT10_ENKUlT_T0_E_clISt17integral_constantIbLb1EES1U_EEDaS1P_S1Q_EUlS1P_E_NS1_11comp_targetILNS1_3genE9ELNS1_11target_archE1100ELNS1_3gpuE3ELNS1_3repE0EEENS1_30default_config_static_selectorELNS0_4arch9wavefront6targetE0EEEvS12_.private_seg_size, 0
	.set _ZN7rocprim17ROCPRIM_400000_NS6detail17trampoline_kernelINS0_13select_configILj256ELj13ELNS0_17block_load_methodE3ELS4_3ELS4_3ELNS0_20block_scan_algorithmE0ELj4294967295EEENS1_25partition_config_selectorILNS1_17partition_subalgoE4EjNS0_10empty_typeEbEEZZNS1_14partition_implILS8_4ELb0ES6_15HIP_vector_typeIjLj2EENS0_17counting_iteratorIjlEEPS9_SG_NS0_5tupleIJPjSI_NS0_16reverse_iteratorISI_EEEEENSH_IJSG_SG_SG_EEES9_SI_JZNS1_25segmented_radix_sort_implINS0_14default_configELb1EPKbPbPKlPlN2at6native12_GLOBAL__N_18offset_tEEE10hipError_tPvRmT1_PNSt15iterator_traitsIS12_E10value_typeET2_T3_PNS13_IS18_E10value_typeET4_jRbjT5_S1E_jjP12ihipStream_tbEUljE_ZNSN_ISO_Lb1ESQ_SR_ST_SU_SY_EESZ_S10_S11_S12_S16_S17_S18_S1B_S1C_jS1D_jS1E_S1E_jjS1G_bEUljE0_EEESZ_S10_S11_S18_S1C_S1E_T6_T7_T9_mT8_S1G_bDpT10_ENKUlT_T0_E_clISt17integral_constantIbLb1EES1U_EEDaS1P_S1Q_EUlS1P_E_NS1_11comp_targetILNS1_3genE9ELNS1_11target_archE1100ELNS1_3gpuE3ELNS1_3repE0EEENS1_30default_config_static_selectorELNS0_4arch9wavefront6targetE0EEEvS12_.uses_vcc, 0
	.set _ZN7rocprim17ROCPRIM_400000_NS6detail17trampoline_kernelINS0_13select_configILj256ELj13ELNS0_17block_load_methodE3ELS4_3ELS4_3ELNS0_20block_scan_algorithmE0ELj4294967295EEENS1_25partition_config_selectorILNS1_17partition_subalgoE4EjNS0_10empty_typeEbEEZZNS1_14partition_implILS8_4ELb0ES6_15HIP_vector_typeIjLj2EENS0_17counting_iteratorIjlEEPS9_SG_NS0_5tupleIJPjSI_NS0_16reverse_iteratorISI_EEEEENSH_IJSG_SG_SG_EEES9_SI_JZNS1_25segmented_radix_sort_implINS0_14default_configELb1EPKbPbPKlPlN2at6native12_GLOBAL__N_18offset_tEEE10hipError_tPvRmT1_PNSt15iterator_traitsIS12_E10value_typeET2_T3_PNS13_IS18_E10value_typeET4_jRbjT5_S1E_jjP12ihipStream_tbEUljE_ZNSN_ISO_Lb1ESQ_SR_ST_SU_SY_EESZ_S10_S11_S12_S16_S17_S18_S1B_S1C_jS1D_jS1E_S1E_jjS1G_bEUljE0_EEESZ_S10_S11_S18_S1C_S1E_T6_T7_T9_mT8_S1G_bDpT10_ENKUlT_T0_E_clISt17integral_constantIbLb1EES1U_EEDaS1P_S1Q_EUlS1P_E_NS1_11comp_targetILNS1_3genE9ELNS1_11target_archE1100ELNS1_3gpuE3ELNS1_3repE0EEENS1_30default_config_static_selectorELNS0_4arch9wavefront6targetE0EEEvS12_.uses_flat_scratch, 0
	.set _ZN7rocprim17ROCPRIM_400000_NS6detail17trampoline_kernelINS0_13select_configILj256ELj13ELNS0_17block_load_methodE3ELS4_3ELS4_3ELNS0_20block_scan_algorithmE0ELj4294967295EEENS1_25partition_config_selectorILNS1_17partition_subalgoE4EjNS0_10empty_typeEbEEZZNS1_14partition_implILS8_4ELb0ES6_15HIP_vector_typeIjLj2EENS0_17counting_iteratorIjlEEPS9_SG_NS0_5tupleIJPjSI_NS0_16reverse_iteratorISI_EEEEENSH_IJSG_SG_SG_EEES9_SI_JZNS1_25segmented_radix_sort_implINS0_14default_configELb1EPKbPbPKlPlN2at6native12_GLOBAL__N_18offset_tEEE10hipError_tPvRmT1_PNSt15iterator_traitsIS12_E10value_typeET2_T3_PNS13_IS18_E10value_typeET4_jRbjT5_S1E_jjP12ihipStream_tbEUljE_ZNSN_ISO_Lb1ESQ_SR_ST_SU_SY_EESZ_S10_S11_S12_S16_S17_S18_S1B_S1C_jS1D_jS1E_S1E_jjS1G_bEUljE0_EEESZ_S10_S11_S18_S1C_S1E_T6_T7_T9_mT8_S1G_bDpT10_ENKUlT_T0_E_clISt17integral_constantIbLb1EES1U_EEDaS1P_S1Q_EUlS1P_E_NS1_11comp_targetILNS1_3genE9ELNS1_11target_archE1100ELNS1_3gpuE3ELNS1_3repE0EEENS1_30default_config_static_selectorELNS0_4arch9wavefront6targetE0EEEvS12_.has_dyn_sized_stack, 0
	.set _ZN7rocprim17ROCPRIM_400000_NS6detail17trampoline_kernelINS0_13select_configILj256ELj13ELNS0_17block_load_methodE3ELS4_3ELS4_3ELNS0_20block_scan_algorithmE0ELj4294967295EEENS1_25partition_config_selectorILNS1_17partition_subalgoE4EjNS0_10empty_typeEbEEZZNS1_14partition_implILS8_4ELb0ES6_15HIP_vector_typeIjLj2EENS0_17counting_iteratorIjlEEPS9_SG_NS0_5tupleIJPjSI_NS0_16reverse_iteratorISI_EEEEENSH_IJSG_SG_SG_EEES9_SI_JZNS1_25segmented_radix_sort_implINS0_14default_configELb1EPKbPbPKlPlN2at6native12_GLOBAL__N_18offset_tEEE10hipError_tPvRmT1_PNSt15iterator_traitsIS12_E10value_typeET2_T3_PNS13_IS18_E10value_typeET4_jRbjT5_S1E_jjP12ihipStream_tbEUljE_ZNSN_ISO_Lb1ESQ_SR_ST_SU_SY_EESZ_S10_S11_S12_S16_S17_S18_S1B_S1C_jS1D_jS1E_S1E_jjS1G_bEUljE0_EEESZ_S10_S11_S18_S1C_S1E_T6_T7_T9_mT8_S1G_bDpT10_ENKUlT_T0_E_clISt17integral_constantIbLb1EES1U_EEDaS1P_S1Q_EUlS1P_E_NS1_11comp_targetILNS1_3genE9ELNS1_11target_archE1100ELNS1_3gpuE3ELNS1_3repE0EEENS1_30default_config_static_selectorELNS0_4arch9wavefront6targetE0EEEvS12_.has_recursion, 0
	.set _ZN7rocprim17ROCPRIM_400000_NS6detail17trampoline_kernelINS0_13select_configILj256ELj13ELNS0_17block_load_methodE3ELS4_3ELS4_3ELNS0_20block_scan_algorithmE0ELj4294967295EEENS1_25partition_config_selectorILNS1_17partition_subalgoE4EjNS0_10empty_typeEbEEZZNS1_14partition_implILS8_4ELb0ES6_15HIP_vector_typeIjLj2EENS0_17counting_iteratorIjlEEPS9_SG_NS0_5tupleIJPjSI_NS0_16reverse_iteratorISI_EEEEENSH_IJSG_SG_SG_EEES9_SI_JZNS1_25segmented_radix_sort_implINS0_14default_configELb1EPKbPbPKlPlN2at6native12_GLOBAL__N_18offset_tEEE10hipError_tPvRmT1_PNSt15iterator_traitsIS12_E10value_typeET2_T3_PNS13_IS18_E10value_typeET4_jRbjT5_S1E_jjP12ihipStream_tbEUljE_ZNSN_ISO_Lb1ESQ_SR_ST_SU_SY_EESZ_S10_S11_S12_S16_S17_S18_S1B_S1C_jS1D_jS1E_S1E_jjS1G_bEUljE0_EEESZ_S10_S11_S18_S1C_S1E_T6_T7_T9_mT8_S1G_bDpT10_ENKUlT_T0_E_clISt17integral_constantIbLb1EES1U_EEDaS1P_S1Q_EUlS1P_E_NS1_11comp_targetILNS1_3genE9ELNS1_11target_archE1100ELNS1_3gpuE3ELNS1_3repE0EEENS1_30default_config_static_selectorELNS0_4arch9wavefront6targetE0EEEvS12_.has_indirect_call, 0
	.section	.AMDGPU.csdata,"",@progbits
; Kernel info:
; codeLenInByte = 0
; TotalNumSgprs: 0
; NumVgprs: 0
; ScratchSize: 0
; MemoryBound: 0
; FloatMode: 240
; IeeeMode: 1
; LDSByteSize: 0 bytes/workgroup (compile time only)
; SGPRBlocks: 0
; VGPRBlocks: 0
; NumSGPRsForWavesPerEU: 1
; NumVGPRsForWavesPerEU: 1
; Occupancy: 16
; WaveLimiterHint : 0
; COMPUTE_PGM_RSRC2:SCRATCH_EN: 0
; COMPUTE_PGM_RSRC2:USER_SGPR: 2
; COMPUTE_PGM_RSRC2:TRAP_HANDLER: 0
; COMPUTE_PGM_RSRC2:TGID_X_EN: 1
; COMPUTE_PGM_RSRC2:TGID_Y_EN: 0
; COMPUTE_PGM_RSRC2:TGID_Z_EN: 0
; COMPUTE_PGM_RSRC2:TIDIG_COMP_CNT: 0
	.section	.text._ZN7rocprim17ROCPRIM_400000_NS6detail17trampoline_kernelINS0_13select_configILj256ELj13ELNS0_17block_load_methodE3ELS4_3ELS4_3ELNS0_20block_scan_algorithmE0ELj4294967295EEENS1_25partition_config_selectorILNS1_17partition_subalgoE4EjNS0_10empty_typeEbEEZZNS1_14partition_implILS8_4ELb0ES6_15HIP_vector_typeIjLj2EENS0_17counting_iteratorIjlEEPS9_SG_NS0_5tupleIJPjSI_NS0_16reverse_iteratorISI_EEEEENSH_IJSG_SG_SG_EEES9_SI_JZNS1_25segmented_radix_sort_implINS0_14default_configELb1EPKbPbPKlPlN2at6native12_GLOBAL__N_18offset_tEEE10hipError_tPvRmT1_PNSt15iterator_traitsIS12_E10value_typeET2_T3_PNS13_IS18_E10value_typeET4_jRbjT5_S1E_jjP12ihipStream_tbEUljE_ZNSN_ISO_Lb1ESQ_SR_ST_SU_SY_EESZ_S10_S11_S12_S16_S17_S18_S1B_S1C_jS1D_jS1E_S1E_jjS1G_bEUljE0_EEESZ_S10_S11_S18_S1C_S1E_T6_T7_T9_mT8_S1G_bDpT10_ENKUlT_T0_E_clISt17integral_constantIbLb1EES1U_EEDaS1P_S1Q_EUlS1P_E_NS1_11comp_targetILNS1_3genE8ELNS1_11target_archE1030ELNS1_3gpuE2ELNS1_3repE0EEENS1_30default_config_static_selectorELNS0_4arch9wavefront6targetE0EEEvS12_,"axG",@progbits,_ZN7rocprim17ROCPRIM_400000_NS6detail17trampoline_kernelINS0_13select_configILj256ELj13ELNS0_17block_load_methodE3ELS4_3ELS4_3ELNS0_20block_scan_algorithmE0ELj4294967295EEENS1_25partition_config_selectorILNS1_17partition_subalgoE4EjNS0_10empty_typeEbEEZZNS1_14partition_implILS8_4ELb0ES6_15HIP_vector_typeIjLj2EENS0_17counting_iteratorIjlEEPS9_SG_NS0_5tupleIJPjSI_NS0_16reverse_iteratorISI_EEEEENSH_IJSG_SG_SG_EEES9_SI_JZNS1_25segmented_radix_sort_implINS0_14default_configELb1EPKbPbPKlPlN2at6native12_GLOBAL__N_18offset_tEEE10hipError_tPvRmT1_PNSt15iterator_traitsIS12_E10value_typeET2_T3_PNS13_IS18_E10value_typeET4_jRbjT5_S1E_jjP12ihipStream_tbEUljE_ZNSN_ISO_Lb1ESQ_SR_ST_SU_SY_EESZ_S10_S11_S12_S16_S17_S18_S1B_S1C_jS1D_jS1E_S1E_jjS1G_bEUljE0_EEESZ_S10_S11_S18_S1C_S1E_T6_T7_T9_mT8_S1G_bDpT10_ENKUlT_T0_E_clISt17integral_constantIbLb1EES1U_EEDaS1P_S1Q_EUlS1P_E_NS1_11comp_targetILNS1_3genE8ELNS1_11target_archE1030ELNS1_3gpuE2ELNS1_3repE0EEENS1_30default_config_static_selectorELNS0_4arch9wavefront6targetE0EEEvS12_,comdat
	.globl	_ZN7rocprim17ROCPRIM_400000_NS6detail17trampoline_kernelINS0_13select_configILj256ELj13ELNS0_17block_load_methodE3ELS4_3ELS4_3ELNS0_20block_scan_algorithmE0ELj4294967295EEENS1_25partition_config_selectorILNS1_17partition_subalgoE4EjNS0_10empty_typeEbEEZZNS1_14partition_implILS8_4ELb0ES6_15HIP_vector_typeIjLj2EENS0_17counting_iteratorIjlEEPS9_SG_NS0_5tupleIJPjSI_NS0_16reverse_iteratorISI_EEEEENSH_IJSG_SG_SG_EEES9_SI_JZNS1_25segmented_radix_sort_implINS0_14default_configELb1EPKbPbPKlPlN2at6native12_GLOBAL__N_18offset_tEEE10hipError_tPvRmT1_PNSt15iterator_traitsIS12_E10value_typeET2_T3_PNS13_IS18_E10value_typeET4_jRbjT5_S1E_jjP12ihipStream_tbEUljE_ZNSN_ISO_Lb1ESQ_SR_ST_SU_SY_EESZ_S10_S11_S12_S16_S17_S18_S1B_S1C_jS1D_jS1E_S1E_jjS1G_bEUljE0_EEESZ_S10_S11_S18_S1C_S1E_T6_T7_T9_mT8_S1G_bDpT10_ENKUlT_T0_E_clISt17integral_constantIbLb1EES1U_EEDaS1P_S1Q_EUlS1P_E_NS1_11comp_targetILNS1_3genE8ELNS1_11target_archE1030ELNS1_3gpuE2ELNS1_3repE0EEENS1_30default_config_static_selectorELNS0_4arch9wavefront6targetE0EEEvS12_ ; -- Begin function _ZN7rocprim17ROCPRIM_400000_NS6detail17trampoline_kernelINS0_13select_configILj256ELj13ELNS0_17block_load_methodE3ELS4_3ELS4_3ELNS0_20block_scan_algorithmE0ELj4294967295EEENS1_25partition_config_selectorILNS1_17partition_subalgoE4EjNS0_10empty_typeEbEEZZNS1_14partition_implILS8_4ELb0ES6_15HIP_vector_typeIjLj2EENS0_17counting_iteratorIjlEEPS9_SG_NS0_5tupleIJPjSI_NS0_16reverse_iteratorISI_EEEEENSH_IJSG_SG_SG_EEES9_SI_JZNS1_25segmented_radix_sort_implINS0_14default_configELb1EPKbPbPKlPlN2at6native12_GLOBAL__N_18offset_tEEE10hipError_tPvRmT1_PNSt15iterator_traitsIS12_E10value_typeET2_T3_PNS13_IS18_E10value_typeET4_jRbjT5_S1E_jjP12ihipStream_tbEUljE_ZNSN_ISO_Lb1ESQ_SR_ST_SU_SY_EESZ_S10_S11_S12_S16_S17_S18_S1B_S1C_jS1D_jS1E_S1E_jjS1G_bEUljE0_EEESZ_S10_S11_S18_S1C_S1E_T6_T7_T9_mT8_S1G_bDpT10_ENKUlT_T0_E_clISt17integral_constantIbLb1EES1U_EEDaS1P_S1Q_EUlS1P_E_NS1_11comp_targetILNS1_3genE8ELNS1_11target_archE1030ELNS1_3gpuE2ELNS1_3repE0EEENS1_30default_config_static_selectorELNS0_4arch9wavefront6targetE0EEEvS12_
	.p2align	8
	.type	_ZN7rocprim17ROCPRIM_400000_NS6detail17trampoline_kernelINS0_13select_configILj256ELj13ELNS0_17block_load_methodE3ELS4_3ELS4_3ELNS0_20block_scan_algorithmE0ELj4294967295EEENS1_25partition_config_selectorILNS1_17partition_subalgoE4EjNS0_10empty_typeEbEEZZNS1_14partition_implILS8_4ELb0ES6_15HIP_vector_typeIjLj2EENS0_17counting_iteratorIjlEEPS9_SG_NS0_5tupleIJPjSI_NS0_16reverse_iteratorISI_EEEEENSH_IJSG_SG_SG_EEES9_SI_JZNS1_25segmented_radix_sort_implINS0_14default_configELb1EPKbPbPKlPlN2at6native12_GLOBAL__N_18offset_tEEE10hipError_tPvRmT1_PNSt15iterator_traitsIS12_E10value_typeET2_T3_PNS13_IS18_E10value_typeET4_jRbjT5_S1E_jjP12ihipStream_tbEUljE_ZNSN_ISO_Lb1ESQ_SR_ST_SU_SY_EESZ_S10_S11_S12_S16_S17_S18_S1B_S1C_jS1D_jS1E_S1E_jjS1G_bEUljE0_EEESZ_S10_S11_S18_S1C_S1E_T6_T7_T9_mT8_S1G_bDpT10_ENKUlT_T0_E_clISt17integral_constantIbLb1EES1U_EEDaS1P_S1Q_EUlS1P_E_NS1_11comp_targetILNS1_3genE8ELNS1_11target_archE1030ELNS1_3gpuE2ELNS1_3repE0EEENS1_30default_config_static_selectorELNS0_4arch9wavefront6targetE0EEEvS12_,@function
_ZN7rocprim17ROCPRIM_400000_NS6detail17trampoline_kernelINS0_13select_configILj256ELj13ELNS0_17block_load_methodE3ELS4_3ELS4_3ELNS0_20block_scan_algorithmE0ELj4294967295EEENS1_25partition_config_selectorILNS1_17partition_subalgoE4EjNS0_10empty_typeEbEEZZNS1_14partition_implILS8_4ELb0ES6_15HIP_vector_typeIjLj2EENS0_17counting_iteratorIjlEEPS9_SG_NS0_5tupleIJPjSI_NS0_16reverse_iteratorISI_EEEEENSH_IJSG_SG_SG_EEES9_SI_JZNS1_25segmented_radix_sort_implINS0_14default_configELb1EPKbPbPKlPlN2at6native12_GLOBAL__N_18offset_tEEE10hipError_tPvRmT1_PNSt15iterator_traitsIS12_E10value_typeET2_T3_PNS13_IS18_E10value_typeET4_jRbjT5_S1E_jjP12ihipStream_tbEUljE_ZNSN_ISO_Lb1ESQ_SR_ST_SU_SY_EESZ_S10_S11_S12_S16_S17_S18_S1B_S1C_jS1D_jS1E_S1E_jjS1G_bEUljE0_EEESZ_S10_S11_S18_S1C_S1E_T6_T7_T9_mT8_S1G_bDpT10_ENKUlT_T0_E_clISt17integral_constantIbLb1EES1U_EEDaS1P_S1Q_EUlS1P_E_NS1_11comp_targetILNS1_3genE8ELNS1_11target_archE1030ELNS1_3gpuE2ELNS1_3repE0EEENS1_30default_config_static_selectorELNS0_4arch9wavefront6targetE0EEEvS12_: ; @_ZN7rocprim17ROCPRIM_400000_NS6detail17trampoline_kernelINS0_13select_configILj256ELj13ELNS0_17block_load_methodE3ELS4_3ELS4_3ELNS0_20block_scan_algorithmE0ELj4294967295EEENS1_25partition_config_selectorILNS1_17partition_subalgoE4EjNS0_10empty_typeEbEEZZNS1_14partition_implILS8_4ELb0ES6_15HIP_vector_typeIjLj2EENS0_17counting_iteratorIjlEEPS9_SG_NS0_5tupleIJPjSI_NS0_16reverse_iteratorISI_EEEEENSH_IJSG_SG_SG_EEES9_SI_JZNS1_25segmented_radix_sort_implINS0_14default_configELb1EPKbPbPKlPlN2at6native12_GLOBAL__N_18offset_tEEE10hipError_tPvRmT1_PNSt15iterator_traitsIS12_E10value_typeET2_T3_PNS13_IS18_E10value_typeET4_jRbjT5_S1E_jjP12ihipStream_tbEUljE_ZNSN_ISO_Lb1ESQ_SR_ST_SU_SY_EESZ_S10_S11_S12_S16_S17_S18_S1B_S1C_jS1D_jS1E_S1E_jjS1G_bEUljE0_EEESZ_S10_S11_S18_S1C_S1E_T6_T7_T9_mT8_S1G_bDpT10_ENKUlT_T0_E_clISt17integral_constantIbLb1EES1U_EEDaS1P_S1Q_EUlS1P_E_NS1_11comp_targetILNS1_3genE8ELNS1_11target_archE1030ELNS1_3gpuE2ELNS1_3repE0EEENS1_30default_config_static_selectorELNS0_4arch9wavefront6targetE0EEEvS12_
; %bb.0:
	.section	.rodata,"a",@progbits
	.p2align	6, 0x0
	.amdhsa_kernel _ZN7rocprim17ROCPRIM_400000_NS6detail17trampoline_kernelINS0_13select_configILj256ELj13ELNS0_17block_load_methodE3ELS4_3ELS4_3ELNS0_20block_scan_algorithmE0ELj4294967295EEENS1_25partition_config_selectorILNS1_17partition_subalgoE4EjNS0_10empty_typeEbEEZZNS1_14partition_implILS8_4ELb0ES6_15HIP_vector_typeIjLj2EENS0_17counting_iteratorIjlEEPS9_SG_NS0_5tupleIJPjSI_NS0_16reverse_iteratorISI_EEEEENSH_IJSG_SG_SG_EEES9_SI_JZNS1_25segmented_radix_sort_implINS0_14default_configELb1EPKbPbPKlPlN2at6native12_GLOBAL__N_18offset_tEEE10hipError_tPvRmT1_PNSt15iterator_traitsIS12_E10value_typeET2_T3_PNS13_IS18_E10value_typeET4_jRbjT5_S1E_jjP12ihipStream_tbEUljE_ZNSN_ISO_Lb1ESQ_SR_ST_SU_SY_EESZ_S10_S11_S12_S16_S17_S18_S1B_S1C_jS1D_jS1E_S1E_jjS1G_bEUljE0_EEESZ_S10_S11_S18_S1C_S1E_T6_T7_T9_mT8_S1G_bDpT10_ENKUlT_T0_E_clISt17integral_constantIbLb1EES1U_EEDaS1P_S1Q_EUlS1P_E_NS1_11comp_targetILNS1_3genE8ELNS1_11target_archE1030ELNS1_3gpuE2ELNS1_3repE0EEENS1_30default_config_static_selectorELNS0_4arch9wavefront6targetE0EEEvS12_
		.amdhsa_group_segment_fixed_size 0
		.amdhsa_private_segment_fixed_size 0
		.amdhsa_kernarg_size 184
		.amdhsa_user_sgpr_count 2
		.amdhsa_user_sgpr_dispatch_ptr 0
		.amdhsa_user_sgpr_queue_ptr 0
		.amdhsa_user_sgpr_kernarg_segment_ptr 1
		.amdhsa_user_sgpr_dispatch_id 0
		.amdhsa_user_sgpr_private_segment_size 0
		.amdhsa_wavefront_size32 1
		.amdhsa_uses_dynamic_stack 0
		.amdhsa_enable_private_segment 0
		.amdhsa_system_sgpr_workgroup_id_x 1
		.amdhsa_system_sgpr_workgroup_id_y 0
		.amdhsa_system_sgpr_workgroup_id_z 0
		.amdhsa_system_sgpr_workgroup_info 0
		.amdhsa_system_vgpr_workitem_id 0
		.amdhsa_next_free_vgpr 1
		.amdhsa_next_free_sgpr 1
		.amdhsa_reserve_vcc 0
		.amdhsa_float_round_mode_32 0
		.amdhsa_float_round_mode_16_64 0
		.amdhsa_float_denorm_mode_32 3
		.amdhsa_float_denorm_mode_16_64 3
		.amdhsa_fp16_overflow 0
		.amdhsa_workgroup_processor_mode 1
		.amdhsa_memory_ordered 1
		.amdhsa_forward_progress 1
		.amdhsa_inst_pref_size 0
		.amdhsa_round_robin_scheduling 0
		.amdhsa_exception_fp_ieee_invalid_op 0
		.amdhsa_exception_fp_denorm_src 0
		.amdhsa_exception_fp_ieee_div_zero 0
		.amdhsa_exception_fp_ieee_overflow 0
		.amdhsa_exception_fp_ieee_underflow 0
		.amdhsa_exception_fp_ieee_inexact 0
		.amdhsa_exception_int_div_zero 0
	.end_amdhsa_kernel
	.section	.text._ZN7rocprim17ROCPRIM_400000_NS6detail17trampoline_kernelINS0_13select_configILj256ELj13ELNS0_17block_load_methodE3ELS4_3ELS4_3ELNS0_20block_scan_algorithmE0ELj4294967295EEENS1_25partition_config_selectorILNS1_17partition_subalgoE4EjNS0_10empty_typeEbEEZZNS1_14partition_implILS8_4ELb0ES6_15HIP_vector_typeIjLj2EENS0_17counting_iteratorIjlEEPS9_SG_NS0_5tupleIJPjSI_NS0_16reverse_iteratorISI_EEEEENSH_IJSG_SG_SG_EEES9_SI_JZNS1_25segmented_radix_sort_implINS0_14default_configELb1EPKbPbPKlPlN2at6native12_GLOBAL__N_18offset_tEEE10hipError_tPvRmT1_PNSt15iterator_traitsIS12_E10value_typeET2_T3_PNS13_IS18_E10value_typeET4_jRbjT5_S1E_jjP12ihipStream_tbEUljE_ZNSN_ISO_Lb1ESQ_SR_ST_SU_SY_EESZ_S10_S11_S12_S16_S17_S18_S1B_S1C_jS1D_jS1E_S1E_jjS1G_bEUljE0_EEESZ_S10_S11_S18_S1C_S1E_T6_T7_T9_mT8_S1G_bDpT10_ENKUlT_T0_E_clISt17integral_constantIbLb1EES1U_EEDaS1P_S1Q_EUlS1P_E_NS1_11comp_targetILNS1_3genE8ELNS1_11target_archE1030ELNS1_3gpuE2ELNS1_3repE0EEENS1_30default_config_static_selectorELNS0_4arch9wavefront6targetE0EEEvS12_,"axG",@progbits,_ZN7rocprim17ROCPRIM_400000_NS6detail17trampoline_kernelINS0_13select_configILj256ELj13ELNS0_17block_load_methodE3ELS4_3ELS4_3ELNS0_20block_scan_algorithmE0ELj4294967295EEENS1_25partition_config_selectorILNS1_17partition_subalgoE4EjNS0_10empty_typeEbEEZZNS1_14partition_implILS8_4ELb0ES6_15HIP_vector_typeIjLj2EENS0_17counting_iteratorIjlEEPS9_SG_NS0_5tupleIJPjSI_NS0_16reverse_iteratorISI_EEEEENSH_IJSG_SG_SG_EEES9_SI_JZNS1_25segmented_radix_sort_implINS0_14default_configELb1EPKbPbPKlPlN2at6native12_GLOBAL__N_18offset_tEEE10hipError_tPvRmT1_PNSt15iterator_traitsIS12_E10value_typeET2_T3_PNS13_IS18_E10value_typeET4_jRbjT5_S1E_jjP12ihipStream_tbEUljE_ZNSN_ISO_Lb1ESQ_SR_ST_SU_SY_EESZ_S10_S11_S12_S16_S17_S18_S1B_S1C_jS1D_jS1E_S1E_jjS1G_bEUljE0_EEESZ_S10_S11_S18_S1C_S1E_T6_T7_T9_mT8_S1G_bDpT10_ENKUlT_T0_E_clISt17integral_constantIbLb1EES1U_EEDaS1P_S1Q_EUlS1P_E_NS1_11comp_targetILNS1_3genE8ELNS1_11target_archE1030ELNS1_3gpuE2ELNS1_3repE0EEENS1_30default_config_static_selectorELNS0_4arch9wavefront6targetE0EEEvS12_,comdat
.Lfunc_end1483:
	.size	_ZN7rocprim17ROCPRIM_400000_NS6detail17trampoline_kernelINS0_13select_configILj256ELj13ELNS0_17block_load_methodE3ELS4_3ELS4_3ELNS0_20block_scan_algorithmE0ELj4294967295EEENS1_25partition_config_selectorILNS1_17partition_subalgoE4EjNS0_10empty_typeEbEEZZNS1_14partition_implILS8_4ELb0ES6_15HIP_vector_typeIjLj2EENS0_17counting_iteratorIjlEEPS9_SG_NS0_5tupleIJPjSI_NS0_16reverse_iteratorISI_EEEEENSH_IJSG_SG_SG_EEES9_SI_JZNS1_25segmented_radix_sort_implINS0_14default_configELb1EPKbPbPKlPlN2at6native12_GLOBAL__N_18offset_tEEE10hipError_tPvRmT1_PNSt15iterator_traitsIS12_E10value_typeET2_T3_PNS13_IS18_E10value_typeET4_jRbjT5_S1E_jjP12ihipStream_tbEUljE_ZNSN_ISO_Lb1ESQ_SR_ST_SU_SY_EESZ_S10_S11_S12_S16_S17_S18_S1B_S1C_jS1D_jS1E_S1E_jjS1G_bEUljE0_EEESZ_S10_S11_S18_S1C_S1E_T6_T7_T9_mT8_S1G_bDpT10_ENKUlT_T0_E_clISt17integral_constantIbLb1EES1U_EEDaS1P_S1Q_EUlS1P_E_NS1_11comp_targetILNS1_3genE8ELNS1_11target_archE1030ELNS1_3gpuE2ELNS1_3repE0EEENS1_30default_config_static_selectorELNS0_4arch9wavefront6targetE0EEEvS12_, .Lfunc_end1483-_ZN7rocprim17ROCPRIM_400000_NS6detail17trampoline_kernelINS0_13select_configILj256ELj13ELNS0_17block_load_methodE3ELS4_3ELS4_3ELNS0_20block_scan_algorithmE0ELj4294967295EEENS1_25partition_config_selectorILNS1_17partition_subalgoE4EjNS0_10empty_typeEbEEZZNS1_14partition_implILS8_4ELb0ES6_15HIP_vector_typeIjLj2EENS0_17counting_iteratorIjlEEPS9_SG_NS0_5tupleIJPjSI_NS0_16reverse_iteratorISI_EEEEENSH_IJSG_SG_SG_EEES9_SI_JZNS1_25segmented_radix_sort_implINS0_14default_configELb1EPKbPbPKlPlN2at6native12_GLOBAL__N_18offset_tEEE10hipError_tPvRmT1_PNSt15iterator_traitsIS12_E10value_typeET2_T3_PNS13_IS18_E10value_typeET4_jRbjT5_S1E_jjP12ihipStream_tbEUljE_ZNSN_ISO_Lb1ESQ_SR_ST_SU_SY_EESZ_S10_S11_S12_S16_S17_S18_S1B_S1C_jS1D_jS1E_S1E_jjS1G_bEUljE0_EEESZ_S10_S11_S18_S1C_S1E_T6_T7_T9_mT8_S1G_bDpT10_ENKUlT_T0_E_clISt17integral_constantIbLb1EES1U_EEDaS1P_S1Q_EUlS1P_E_NS1_11comp_targetILNS1_3genE8ELNS1_11target_archE1030ELNS1_3gpuE2ELNS1_3repE0EEENS1_30default_config_static_selectorELNS0_4arch9wavefront6targetE0EEEvS12_
                                        ; -- End function
	.set _ZN7rocprim17ROCPRIM_400000_NS6detail17trampoline_kernelINS0_13select_configILj256ELj13ELNS0_17block_load_methodE3ELS4_3ELS4_3ELNS0_20block_scan_algorithmE0ELj4294967295EEENS1_25partition_config_selectorILNS1_17partition_subalgoE4EjNS0_10empty_typeEbEEZZNS1_14partition_implILS8_4ELb0ES6_15HIP_vector_typeIjLj2EENS0_17counting_iteratorIjlEEPS9_SG_NS0_5tupleIJPjSI_NS0_16reverse_iteratorISI_EEEEENSH_IJSG_SG_SG_EEES9_SI_JZNS1_25segmented_radix_sort_implINS0_14default_configELb1EPKbPbPKlPlN2at6native12_GLOBAL__N_18offset_tEEE10hipError_tPvRmT1_PNSt15iterator_traitsIS12_E10value_typeET2_T3_PNS13_IS18_E10value_typeET4_jRbjT5_S1E_jjP12ihipStream_tbEUljE_ZNSN_ISO_Lb1ESQ_SR_ST_SU_SY_EESZ_S10_S11_S12_S16_S17_S18_S1B_S1C_jS1D_jS1E_S1E_jjS1G_bEUljE0_EEESZ_S10_S11_S18_S1C_S1E_T6_T7_T9_mT8_S1G_bDpT10_ENKUlT_T0_E_clISt17integral_constantIbLb1EES1U_EEDaS1P_S1Q_EUlS1P_E_NS1_11comp_targetILNS1_3genE8ELNS1_11target_archE1030ELNS1_3gpuE2ELNS1_3repE0EEENS1_30default_config_static_selectorELNS0_4arch9wavefront6targetE0EEEvS12_.num_vgpr, 0
	.set _ZN7rocprim17ROCPRIM_400000_NS6detail17trampoline_kernelINS0_13select_configILj256ELj13ELNS0_17block_load_methodE3ELS4_3ELS4_3ELNS0_20block_scan_algorithmE0ELj4294967295EEENS1_25partition_config_selectorILNS1_17partition_subalgoE4EjNS0_10empty_typeEbEEZZNS1_14partition_implILS8_4ELb0ES6_15HIP_vector_typeIjLj2EENS0_17counting_iteratorIjlEEPS9_SG_NS0_5tupleIJPjSI_NS0_16reverse_iteratorISI_EEEEENSH_IJSG_SG_SG_EEES9_SI_JZNS1_25segmented_radix_sort_implINS0_14default_configELb1EPKbPbPKlPlN2at6native12_GLOBAL__N_18offset_tEEE10hipError_tPvRmT1_PNSt15iterator_traitsIS12_E10value_typeET2_T3_PNS13_IS18_E10value_typeET4_jRbjT5_S1E_jjP12ihipStream_tbEUljE_ZNSN_ISO_Lb1ESQ_SR_ST_SU_SY_EESZ_S10_S11_S12_S16_S17_S18_S1B_S1C_jS1D_jS1E_S1E_jjS1G_bEUljE0_EEESZ_S10_S11_S18_S1C_S1E_T6_T7_T9_mT8_S1G_bDpT10_ENKUlT_T0_E_clISt17integral_constantIbLb1EES1U_EEDaS1P_S1Q_EUlS1P_E_NS1_11comp_targetILNS1_3genE8ELNS1_11target_archE1030ELNS1_3gpuE2ELNS1_3repE0EEENS1_30default_config_static_selectorELNS0_4arch9wavefront6targetE0EEEvS12_.num_agpr, 0
	.set _ZN7rocprim17ROCPRIM_400000_NS6detail17trampoline_kernelINS0_13select_configILj256ELj13ELNS0_17block_load_methodE3ELS4_3ELS4_3ELNS0_20block_scan_algorithmE0ELj4294967295EEENS1_25partition_config_selectorILNS1_17partition_subalgoE4EjNS0_10empty_typeEbEEZZNS1_14partition_implILS8_4ELb0ES6_15HIP_vector_typeIjLj2EENS0_17counting_iteratorIjlEEPS9_SG_NS0_5tupleIJPjSI_NS0_16reverse_iteratorISI_EEEEENSH_IJSG_SG_SG_EEES9_SI_JZNS1_25segmented_radix_sort_implINS0_14default_configELb1EPKbPbPKlPlN2at6native12_GLOBAL__N_18offset_tEEE10hipError_tPvRmT1_PNSt15iterator_traitsIS12_E10value_typeET2_T3_PNS13_IS18_E10value_typeET4_jRbjT5_S1E_jjP12ihipStream_tbEUljE_ZNSN_ISO_Lb1ESQ_SR_ST_SU_SY_EESZ_S10_S11_S12_S16_S17_S18_S1B_S1C_jS1D_jS1E_S1E_jjS1G_bEUljE0_EEESZ_S10_S11_S18_S1C_S1E_T6_T7_T9_mT8_S1G_bDpT10_ENKUlT_T0_E_clISt17integral_constantIbLb1EES1U_EEDaS1P_S1Q_EUlS1P_E_NS1_11comp_targetILNS1_3genE8ELNS1_11target_archE1030ELNS1_3gpuE2ELNS1_3repE0EEENS1_30default_config_static_selectorELNS0_4arch9wavefront6targetE0EEEvS12_.numbered_sgpr, 0
	.set _ZN7rocprim17ROCPRIM_400000_NS6detail17trampoline_kernelINS0_13select_configILj256ELj13ELNS0_17block_load_methodE3ELS4_3ELS4_3ELNS0_20block_scan_algorithmE0ELj4294967295EEENS1_25partition_config_selectorILNS1_17partition_subalgoE4EjNS0_10empty_typeEbEEZZNS1_14partition_implILS8_4ELb0ES6_15HIP_vector_typeIjLj2EENS0_17counting_iteratorIjlEEPS9_SG_NS0_5tupleIJPjSI_NS0_16reverse_iteratorISI_EEEEENSH_IJSG_SG_SG_EEES9_SI_JZNS1_25segmented_radix_sort_implINS0_14default_configELb1EPKbPbPKlPlN2at6native12_GLOBAL__N_18offset_tEEE10hipError_tPvRmT1_PNSt15iterator_traitsIS12_E10value_typeET2_T3_PNS13_IS18_E10value_typeET4_jRbjT5_S1E_jjP12ihipStream_tbEUljE_ZNSN_ISO_Lb1ESQ_SR_ST_SU_SY_EESZ_S10_S11_S12_S16_S17_S18_S1B_S1C_jS1D_jS1E_S1E_jjS1G_bEUljE0_EEESZ_S10_S11_S18_S1C_S1E_T6_T7_T9_mT8_S1G_bDpT10_ENKUlT_T0_E_clISt17integral_constantIbLb1EES1U_EEDaS1P_S1Q_EUlS1P_E_NS1_11comp_targetILNS1_3genE8ELNS1_11target_archE1030ELNS1_3gpuE2ELNS1_3repE0EEENS1_30default_config_static_selectorELNS0_4arch9wavefront6targetE0EEEvS12_.num_named_barrier, 0
	.set _ZN7rocprim17ROCPRIM_400000_NS6detail17trampoline_kernelINS0_13select_configILj256ELj13ELNS0_17block_load_methodE3ELS4_3ELS4_3ELNS0_20block_scan_algorithmE0ELj4294967295EEENS1_25partition_config_selectorILNS1_17partition_subalgoE4EjNS0_10empty_typeEbEEZZNS1_14partition_implILS8_4ELb0ES6_15HIP_vector_typeIjLj2EENS0_17counting_iteratorIjlEEPS9_SG_NS0_5tupleIJPjSI_NS0_16reverse_iteratorISI_EEEEENSH_IJSG_SG_SG_EEES9_SI_JZNS1_25segmented_radix_sort_implINS0_14default_configELb1EPKbPbPKlPlN2at6native12_GLOBAL__N_18offset_tEEE10hipError_tPvRmT1_PNSt15iterator_traitsIS12_E10value_typeET2_T3_PNS13_IS18_E10value_typeET4_jRbjT5_S1E_jjP12ihipStream_tbEUljE_ZNSN_ISO_Lb1ESQ_SR_ST_SU_SY_EESZ_S10_S11_S12_S16_S17_S18_S1B_S1C_jS1D_jS1E_S1E_jjS1G_bEUljE0_EEESZ_S10_S11_S18_S1C_S1E_T6_T7_T9_mT8_S1G_bDpT10_ENKUlT_T0_E_clISt17integral_constantIbLb1EES1U_EEDaS1P_S1Q_EUlS1P_E_NS1_11comp_targetILNS1_3genE8ELNS1_11target_archE1030ELNS1_3gpuE2ELNS1_3repE0EEENS1_30default_config_static_selectorELNS0_4arch9wavefront6targetE0EEEvS12_.private_seg_size, 0
	.set _ZN7rocprim17ROCPRIM_400000_NS6detail17trampoline_kernelINS0_13select_configILj256ELj13ELNS0_17block_load_methodE3ELS4_3ELS4_3ELNS0_20block_scan_algorithmE0ELj4294967295EEENS1_25partition_config_selectorILNS1_17partition_subalgoE4EjNS0_10empty_typeEbEEZZNS1_14partition_implILS8_4ELb0ES6_15HIP_vector_typeIjLj2EENS0_17counting_iteratorIjlEEPS9_SG_NS0_5tupleIJPjSI_NS0_16reverse_iteratorISI_EEEEENSH_IJSG_SG_SG_EEES9_SI_JZNS1_25segmented_radix_sort_implINS0_14default_configELb1EPKbPbPKlPlN2at6native12_GLOBAL__N_18offset_tEEE10hipError_tPvRmT1_PNSt15iterator_traitsIS12_E10value_typeET2_T3_PNS13_IS18_E10value_typeET4_jRbjT5_S1E_jjP12ihipStream_tbEUljE_ZNSN_ISO_Lb1ESQ_SR_ST_SU_SY_EESZ_S10_S11_S12_S16_S17_S18_S1B_S1C_jS1D_jS1E_S1E_jjS1G_bEUljE0_EEESZ_S10_S11_S18_S1C_S1E_T6_T7_T9_mT8_S1G_bDpT10_ENKUlT_T0_E_clISt17integral_constantIbLb1EES1U_EEDaS1P_S1Q_EUlS1P_E_NS1_11comp_targetILNS1_3genE8ELNS1_11target_archE1030ELNS1_3gpuE2ELNS1_3repE0EEENS1_30default_config_static_selectorELNS0_4arch9wavefront6targetE0EEEvS12_.uses_vcc, 0
	.set _ZN7rocprim17ROCPRIM_400000_NS6detail17trampoline_kernelINS0_13select_configILj256ELj13ELNS0_17block_load_methodE3ELS4_3ELS4_3ELNS0_20block_scan_algorithmE0ELj4294967295EEENS1_25partition_config_selectorILNS1_17partition_subalgoE4EjNS0_10empty_typeEbEEZZNS1_14partition_implILS8_4ELb0ES6_15HIP_vector_typeIjLj2EENS0_17counting_iteratorIjlEEPS9_SG_NS0_5tupleIJPjSI_NS0_16reverse_iteratorISI_EEEEENSH_IJSG_SG_SG_EEES9_SI_JZNS1_25segmented_radix_sort_implINS0_14default_configELb1EPKbPbPKlPlN2at6native12_GLOBAL__N_18offset_tEEE10hipError_tPvRmT1_PNSt15iterator_traitsIS12_E10value_typeET2_T3_PNS13_IS18_E10value_typeET4_jRbjT5_S1E_jjP12ihipStream_tbEUljE_ZNSN_ISO_Lb1ESQ_SR_ST_SU_SY_EESZ_S10_S11_S12_S16_S17_S18_S1B_S1C_jS1D_jS1E_S1E_jjS1G_bEUljE0_EEESZ_S10_S11_S18_S1C_S1E_T6_T7_T9_mT8_S1G_bDpT10_ENKUlT_T0_E_clISt17integral_constantIbLb1EES1U_EEDaS1P_S1Q_EUlS1P_E_NS1_11comp_targetILNS1_3genE8ELNS1_11target_archE1030ELNS1_3gpuE2ELNS1_3repE0EEENS1_30default_config_static_selectorELNS0_4arch9wavefront6targetE0EEEvS12_.uses_flat_scratch, 0
	.set _ZN7rocprim17ROCPRIM_400000_NS6detail17trampoline_kernelINS0_13select_configILj256ELj13ELNS0_17block_load_methodE3ELS4_3ELS4_3ELNS0_20block_scan_algorithmE0ELj4294967295EEENS1_25partition_config_selectorILNS1_17partition_subalgoE4EjNS0_10empty_typeEbEEZZNS1_14partition_implILS8_4ELb0ES6_15HIP_vector_typeIjLj2EENS0_17counting_iteratorIjlEEPS9_SG_NS0_5tupleIJPjSI_NS0_16reverse_iteratorISI_EEEEENSH_IJSG_SG_SG_EEES9_SI_JZNS1_25segmented_radix_sort_implINS0_14default_configELb1EPKbPbPKlPlN2at6native12_GLOBAL__N_18offset_tEEE10hipError_tPvRmT1_PNSt15iterator_traitsIS12_E10value_typeET2_T3_PNS13_IS18_E10value_typeET4_jRbjT5_S1E_jjP12ihipStream_tbEUljE_ZNSN_ISO_Lb1ESQ_SR_ST_SU_SY_EESZ_S10_S11_S12_S16_S17_S18_S1B_S1C_jS1D_jS1E_S1E_jjS1G_bEUljE0_EEESZ_S10_S11_S18_S1C_S1E_T6_T7_T9_mT8_S1G_bDpT10_ENKUlT_T0_E_clISt17integral_constantIbLb1EES1U_EEDaS1P_S1Q_EUlS1P_E_NS1_11comp_targetILNS1_3genE8ELNS1_11target_archE1030ELNS1_3gpuE2ELNS1_3repE0EEENS1_30default_config_static_selectorELNS0_4arch9wavefront6targetE0EEEvS12_.has_dyn_sized_stack, 0
	.set _ZN7rocprim17ROCPRIM_400000_NS6detail17trampoline_kernelINS0_13select_configILj256ELj13ELNS0_17block_load_methodE3ELS4_3ELS4_3ELNS0_20block_scan_algorithmE0ELj4294967295EEENS1_25partition_config_selectorILNS1_17partition_subalgoE4EjNS0_10empty_typeEbEEZZNS1_14partition_implILS8_4ELb0ES6_15HIP_vector_typeIjLj2EENS0_17counting_iteratorIjlEEPS9_SG_NS0_5tupleIJPjSI_NS0_16reverse_iteratorISI_EEEEENSH_IJSG_SG_SG_EEES9_SI_JZNS1_25segmented_radix_sort_implINS0_14default_configELb1EPKbPbPKlPlN2at6native12_GLOBAL__N_18offset_tEEE10hipError_tPvRmT1_PNSt15iterator_traitsIS12_E10value_typeET2_T3_PNS13_IS18_E10value_typeET4_jRbjT5_S1E_jjP12ihipStream_tbEUljE_ZNSN_ISO_Lb1ESQ_SR_ST_SU_SY_EESZ_S10_S11_S12_S16_S17_S18_S1B_S1C_jS1D_jS1E_S1E_jjS1G_bEUljE0_EEESZ_S10_S11_S18_S1C_S1E_T6_T7_T9_mT8_S1G_bDpT10_ENKUlT_T0_E_clISt17integral_constantIbLb1EES1U_EEDaS1P_S1Q_EUlS1P_E_NS1_11comp_targetILNS1_3genE8ELNS1_11target_archE1030ELNS1_3gpuE2ELNS1_3repE0EEENS1_30default_config_static_selectorELNS0_4arch9wavefront6targetE0EEEvS12_.has_recursion, 0
	.set _ZN7rocprim17ROCPRIM_400000_NS6detail17trampoline_kernelINS0_13select_configILj256ELj13ELNS0_17block_load_methodE3ELS4_3ELS4_3ELNS0_20block_scan_algorithmE0ELj4294967295EEENS1_25partition_config_selectorILNS1_17partition_subalgoE4EjNS0_10empty_typeEbEEZZNS1_14partition_implILS8_4ELb0ES6_15HIP_vector_typeIjLj2EENS0_17counting_iteratorIjlEEPS9_SG_NS0_5tupleIJPjSI_NS0_16reverse_iteratorISI_EEEEENSH_IJSG_SG_SG_EEES9_SI_JZNS1_25segmented_radix_sort_implINS0_14default_configELb1EPKbPbPKlPlN2at6native12_GLOBAL__N_18offset_tEEE10hipError_tPvRmT1_PNSt15iterator_traitsIS12_E10value_typeET2_T3_PNS13_IS18_E10value_typeET4_jRbjT5_S1E_jjP12ihipStream_tbEUljE_ZNSN_ISO_Lb1ESQ_SR_ST_SU_SY_EESZ_S10_S11_S12_S16_S17_S18_S1B_S1C_jS1D_jS1E_S1E_jjS1G_bEUljE0_EEESZ_S10_S11_S18_S1C_S1E_T6_T7_T9_mT8_S1G_bDpT10_ENKUlT_T0_E_clISt17integral_constantIbLb1EES1U_EEDaS1P_S1Q_EUlS1P_E_NS1_11comp_targetILNS1_3genE8ELNS1_11target_archE1030ELNS1_3gpuE2ELNS1_3repE0EEENS1_30default_config_static_selectorELNS0_4arch9wavefront6targetE0EEEvS12_.has_indirect_call, 0
	.section	.AMDGPU.csdata,"",@progbits
; Kernel info:
; codeLenInByte = 0
; TotalNumSgprs: 0
; NumVgprs: 0
; ScratchSize: 0
; MemoryBound: 0
; FloatMode: 240
; IeeeMode: 1
; LDSByteSize: 0 bytes/workgroup (compile time only)
; SGPRBlocks: 0
; VGPRBlocks: 0
; NumSGPRsForWavesPerEU: 1
; NumVGPRsForWavesPerEU: 1
; Occupancy: 16
; WaveLimiterHint : 0
; COMPUTE_PGM_RSRC2:SCRATCH_EN: 0
; COMPUTE_PGM_RSRC2:USER_SGPR: 2
; COMPUTE_PGM_RSRC2:TRAP_HANDLER: 0
; COMPUTE_PGM_RSRC2:TGID_X_EN: 1
; COMPUTE_PGM_RSRC2:TGID_Y_EN: 0
; COMPUTE_PGM_RSRC2:TGID_Z_EN: 0
; COMPUTE_PGM_RSRC2:TIDIG_COMP_CNT: 0
	.section	.text._ZN7rocprim17ROCPRIM_400000_NS6detail17trampoline_kernelINS0_13select_configILj256ELj13ELNS0_17block_load_methodE3ELS4_3ELS4_3ELNS0_20block_scan_algorithmE0ELj4294967295EEENS1_25partition_config_selectorILNS1_17partition_subalgoE4EjNS0_10empty_typeEbEEZZNS1_14partition_implILS8_4ELb0ES6_15HIP_vector_typeIjLj2EENS0_17counting_iteratorIjlEEPS9_SG_NS0_5tupleIJPjSI_NS0_16reverse_iteratorISI_EEEEENSH_IJSG_SG_SG_EEES9_SI_JZNS1_25segmented_radix_sort_implINS0_14default_configELb1EPKbPbPKlPlN2at6native12_GLOBAL__N_18offset_tEEE10hipError_tPvRmT1_PNSt15iterator_traitsIS12_E10value_typeET2_T3_PNS13_IS18_E10value_typeET4_jRbjT5_S1E_jjP12ihipStream_tbEUljE_ZNSN_ISO_Lb1ESQ_SR_ST_SU_SY_EESZ_S10_S11_S12_S16_S17_S18_S1B_S1C_jS1D_jS1E_S1E_jjS1G_bEUljE0_EEESZ_S10_S11_S18_S1C_S1E_T6_T7_T9_mT8_S1G_bDpT10_ENKUlT_T0_E_clISt17integral_constantIbLb1EES1T_IbLb0EEEEDaS1P_S1Q_EUlS1P_E_NS1_11comp_targetILNS1_3genE0ELNS1_11target_archE4294967295ELNS1_3gpuE0ELNS1_3repE0EEENS1_30default_config_static_selectorELNS0_4arch9wavefront6targetE0EEEvS12_,"axG",@progbits,_ZN7rocprim17ROCPRIM_400000_NS6detail17trampoline_kernelINS0_13select_configILj256ELj13ELNS0_17block_load_methodE3ELS4_3ELS4_3ELNS0_20block_scan_algorithmE0ELj4294967295EEENS1_25partition_config_selectorILNS1_17partition_subalgoE4EjNS0_10empty_typeEbEEZZNS1_14partition_implILS8_4ELb0ES6_15HIP_vector_typeIjLj2EENS0_17counting_iteratorIjlEEPS9_SG_NS0_5tupleIJPjSI_NS0_16reverse_iteratorISI_EEEEENSH_IJSG_SG_SG_EEES9_SI_JZNS1_25segmented_radix_sort_implINS0_14default_configELb1EPKbPbPKlPlN2at6native12_GLOBAL__N_18offset_tEEE10hipError_tPvRmT1_PNSt15iterator_traitsIS12_E10value_typeET2_T3_PNS13_IS18_E10value_typeET4_jRbjT5_S1E_jjP12ihipStream_tbEUljE_ZNSN_ISO_Lb1ESQ_SR_ST_SU_SY_EESZ_S10_S11_S12_S16_S17_S18_S1B_S1C_jS1D_jS1E_S1E_jjS1G_bEUljE0_EEESZ_S10_S11_S18_S1C_S1E_T6_T7_T9_mT8_S1G_bDpT10_ENKUlT_T0_E_clISt17integral_constantIbLb1EES1T_IbLb0EEEEDaS1P_S1Q_EUlS1P_E_NS1_11comp_targetILNS1_3genE0ELNS1_11target_archE4294967295ELNS1_3gpuE0ELNS1_3repE0EEENS1_30default_config_static_selectorELNS0_4arch9wavefront6targetE0EEEvS12_,comdat
	.globl	_ZN7rocprim17ROCPRIM_400000_NS6detail17trampoline_kernelINS0_13select_configILj256ELj13ELNS0_17block_load_methodE3ELS4_3ELS4_3ELNS0_20block_scan_algorithmE0ELj4294967295EEENS1_25partition_config_selectorILNS1_17partition_subalgoE4EjNS0_10empty_typeEbEEZZNS1_14partition_implILS8_4ELb0ES6_15HIP_vector_typeIjLj2EENS0_17counting_iteratorIjlEEPS9_SG_NS0_5tupleIJPjSI_NS0_16reverse_iteratorISI_EEEEENSH_IJSG_SG_SG_EEES9_SI_JZNS1_25segmented_radix_sort_implINS0_14default_configELb1EPKbPbPKlPlN2at6native12_GLOBAL__N_18offset_tEEE10hipError_tPvRmT1_PNSt15iterator_traitsIS12_E10value_typeET2_T3_PNS13_IS18_E10value_typeET4_jRbjT5_S1E_jjP12ihipStream_tbEUljE_ZNSN_ISO_Lb1ESQ_SR_ST_SU_SY_EESZ_S10_S11_S12_S16_S17_S18_S1B_S1C_jS1D_jS1E_S1E_jjS1G_bEUljE0_EEESZ_S10_S11_S18_S1C_S1E_T6_T7_T9_mT8_S1G_bDpT10_ENKUlT_T0_E_clISt17integral_constantIbLb1EES1T_IbLb0EEEEDaS1P_S1Q_EUlS1P_E_NS1_11comp_targetILNS1_3genE0ELNS1_11target_archE4294967295ELNS1_3gpuE0ELNS1_3repE0EEENS1_30default_config_static_selectorELNS0_4arch9wavefront6targetE0EEEvS12_ ; -- Begin function _ZN7rocprim17ROCPRIM_400000_NS6detail17trampoline_kernelINS0_13select_configILj256ELj13ELNS0_17block_load_methodE3ELS4_3ELS4_3ELNS0_20block_scan_algorithmE0ELj4294967295EEENS1_25partition_config_selectorILNS1_17partition_subalgoE4EjNS0_10empty_typeEbEEZZNS1_14partition_implILS8_4ELb0ES6_15HIP_vector_typeIjLj2EENS0_17counting_iteratorIjlEEPS9_SG_NS0_5tupleIJPjSI_NS0_16reverse_iteratorISI_EEEEENSH_IJSG_SG_SG_EEES9_SI_JZNS1_25segmented_radix_sort_implINS0_14default_configELb1EPKbPbPKlPlN2at6native12_GLOBAL__N_18offset_tEEE10hipError_tPvRmT1_PNSt15iterator_traitsIS12_E10value_typeET2_T3_PNS13_IS18_E10value_typeET4_jRbjT5_S1E_jjP12ihipStream_tbEUljE_ZNSN_ISO_Lb1ESQ_SR_ST_SU_SY_EESZ_S10_S11_S12_S16_S17_S18_S1B_S1C_jS1D_jS1E_S1E_jjS1G_bEUljE0_EEESZ_S10_S11_S18_S1C_S1E_T6_T7_T9_mT8_S1G_bDpT10_ENKUlT_T0_E_clISt17integral_constantIbLb1EES1T_IbLb0EEEEDaS1P_S1Q_EUlS1P_E_NS1_11comp_targetILNS1_3genE0ELNS1_11target_archE4294967295ELNS1_3gpuE0ELNS1_3repE0EEENS1_30default_config_static_selectorELNS0_4arch9wavefront6targetE0EEEvS12_
	.p2align	8
	.type	_ZN7rocprim17ROCPRIM_400000_NS6detail17trampoline_kernelINS0_13select_configILj256ELj13ELNS0_17block_load_methodE3ELS4_3ELS4_3ELNS0_20block_scan_algorithmE0ELj4294967295EEENS1_25partition_config_selectorILNS1_17partition_subalgoE4EjNS0_10empty_typeEbEEZZNS1_14partition_implILS8_4ELb0ES6_15HIP_vector_typeIjLj2EENS0_17counting_iteratorIjlEEPS9_SG_NS0_5tupleIJPjSI_NS0_16reverse_iteratorISI_EEEEENSH_IJSG_SG_SG_EEES9_SI_JZNS1_25segmented_radix_sort_implINS0_14default_configELb1EPKbPbPKlPlN2at6native12_GLOBAL__N_18offset_tEEE10hipError_tPvRmT1_PNSt15iterator_traitsIS12_E10value_typeET2_T3_PNS13_IS18_E10value_typeET4_jRbjT5_S1E_jjP12ihipStream_tbEUljE_ZNSN_ISO_Lb1ESQ_SR_ST_SU_SY_EESZ_S10_S11_S12_S16_S17_S18_S1B_S1C_jS1D_jS1E_S1E_jjS1G_bEUljE0_EEESZ_S10_S11_S18_S1C_S1E_T6_T7_T9_mT8_S1G_bDpT10_ENKUlT_T0_E_clISt17integral_constantIbLb1EES1T_IbLb0EEEEDaS1P_S1Q_EUlS1P_E_NS1_11comp_targetILNS1_3genE0ELNS1_11target_archE4294967295ELNS1_3gpuE0ELNS1_3repE0EEENS1_30default_config_static_selectorELNS0_4arch9wavefront6targetE0EEEvS12_,@function
_ZN7rocprim17ROCPRIM_400000_NS6detail17trampoline_kernelINS0_13select_configILj256ELj13ELNS0_17block_load_methodE3ELS4_3ELS4_3ELNS0_20block_scan_algorithmE0ELj4294967295EEENS1_25partition_config_selectorILNS1_17partition_subalgoE4EjNS0_10empty_typeEbEEZZNS1_14partition_implILS8_4ELb0ES6_15HIP_vector_typeIjLj2EENS0_17counting_iteratorIjlEEPS9_SG_NS0_5tupleIJPjSI_NS0_16reverse_iteratorISI_EEEEENSH_IJSG_SG_SG_EEES9_SI_JZNS1_25segmented_radix_sort_implINS0_14default_configELb1EPKbPbPKlPlN2at6native12_GLOBAL__N_18offset_tEEE10hipError_tPvRmT1_PNSt15iterator_traitsIS12_E10value_typeET2_T3_PNS13_IS18_E10value_typeET4_jRbjT5_S1E_jjP12ihipStream_tbEUljE_ZNSN_ISO_Lb1ESQ_SR_ST_SU_SY_EESZ_S10_S11_S12_S16_S17_S18_S1B_S1C_jS1D_jS1E_S1E_jjS1G_bEUljE0_EEESZ_S10_S11_S18_S1C_S1E_T6_T7_T9_mT8_S1G_bDpT10_ENKUlT_T0_E_clISt17integral_constantIbLb1EES1T_IbLb0EEEEDaS1P_S1Q_EUlS1P_E_NS1_11comp_targetILNS1_3genE0ELNS1_11target_archE4294967295ELNS1_3gpuE0ELNS1_3repE0EEENS1_30default_config_static_selectorELNS0_4arch9wavefront6targetE0EEEvS12_: ; @_ZN7rocprim17ROCPRIM_400000_NS6detail17trampoline_kernelINS0_13select_configILj256ELj13ELNS0_17block_load_methodE3ELS4_3ELS4_3ELNS0_20block_scan_algorithmE0ELj4294967295EEENS1_25partition_config_selectorILNS1_17partition_subalgoE4EjNS0_10empty_typeEbEEZZNS1_14partition_implILS8_4ELb0ES6_15HIP_vector_typeIjLj2EENS0_17counting_iteratorIjlEEPS9_SG_NS0_5tupleIJPjSI_NS0_16reverse_iteratorISI_EEEEENSH_IJSG_SG_SG_EEES9_SI_JZNS1_25segmented_radix_sort_implINS0_14default_configELb1EPKbPbPKlPlN2at6native12_GLOBAL__N_18offset_tEEE10hipError_tPvRmT1_PNSt15iterator_traitsIS12_E10value_typeET2_T3_PNS13_IS18_E10value_typeET4_jRbjT5_S1E_jjP12ihipStream_tbEUljE_ZNSN_ISO_Lb1ESQ_SR_ST_SU_SY_EESZ_S10_S11_S12_S16_S17_S18_S1B_S1C_jS1D_jS1E_S1E_jjS1G_bEUljE0_EEESZ_S10_S11_S18_S1C_S1E_T6_T7_T9_mT8_S1G_bDpT10_ENKUlT_T0_E_clISt17integral_constantIbLb1EES1T_IbLb0EEEEDaS1P_S1Q_EUlS1P_E_NS1_11comp_targetILNS1_3genE0ELNS1_11target_archE4294967295ELNS1_3gpuE0ELNS1_3repE0EEENS1_30default_config_static_selectorELNS0_4arch9wavefront6targetE0EEEvS12_
; %bb.0:
	.section	.rodata,"a",@progbits
	.p2align	6, 0x0
	.amdhsa_kernel _ZN7rocprim17ROCPRIM_400000_NS6detail17trampoline_kernelINS0_13select_configILj256ELj13ELNS0_17block_load_methodE3ELS4_3ELS4_3ELNS0_20block_scan_algorithmE0ELj4294967295EEENS1_25partition_config_selectorILNS1_17partition_subalgoE4EjNS0_10empty_typeEbEEZZNS1_14partition_implILS8_4ELb0ES6_15HIP_vector_typeIjLj2EENS0_17counting_iteratorIjlEEPS9_SG_NS0_5tupleIJPjSI_NS0_16reverse_iteratorISI_EEEEENSH_IJSG_SG_SG_EEES9_SI_JZNS1_25segmented_radix_sort_implINS0_14default_configELb1EPKbPbPKlPlN2at6native12_GLOBAL__N_18offset_tEEE10hipError_tPvRmT1_PNSt15iterator_traitsIS12_E10value_typeET2_T3_PNS13_IS18_E10value_typeET4_jRbjT5_S1E_jjP12ihipStream_tbEUljE_ZNSN_ISO_Lb1ESQ_SR_ST_SU_SY_EESZ_S10_S11_S12_S16_S17_S18_S1B_S1C_jS1D_jS1E_S1E_jjS1G_bEUljE0_EEESZ_S10_S11_S18_S1C_S1E_T6_T7_T9_mT8_S1G_bDpT10_ENKUlT_T0_E_clISt17integral_constantIbLb1EES1T_IbLb0EEEEDaS1P_S1Q_EUlS1P_E_NS1_11comp_targetILNS1_3genE0ELNS1_11target_archE4294967295ELNS1_3gpuE0ELNS1_3repE0EEENS1_30default_config_static_selectorELNS0_4arch9wavefront6targetE0EEEvS12_
		.amdhsa_group_segment_fixed_size 0
		.amdhsa_private_segment_fixed_size 0
		.amdhsa_kernarg_size 176
		.amdhsa_user_sgpr_count 2
		.amdhsa_user_sgpr_dispatch_ptr 0
		.amdhsa_user_sgpr_queue_ptr 0
		.amdhsa_user_sgpr_kernarg_segment_ptr 1
		.amdhsa_user_sgpr_dispatch_id 0
		.amdhsa_user_sgpr_private_segment_size 0
		.amdhsa_wavefront_size32 1
		.amdhsa_uses_dynamic_stack 0
		.amdhsa_enable_private_segment 0
		.amdhsa_system_sgpr_workgroup_id_x 1
		.amdhsa_system_sgpr_workgroup_id_y 0
		.amdhsa_system_sgpr_workgroup_id_z 0
		.amdhsa_system_sgpr_workgroup_info 0
		.amdhsa_system_vgpr_workitem_id 0
		.amdhsa_next_free_vgpr 1
		.amdhsa_next_free_sgpr 1
		.amdhsa_reserve_vcc 0
		.amdhsa_float_round_mode_32 0
		.amdhsa_float_round_mode_16_64 0
		.amdhsa_float_denorm_mode_32 3
		.amdhsa_float_denorm_mode_16_64 3
		.amdhsa_fp16_overflow 0
		.amdhsa_workgroup_processor_mode 1
		.amdhsa_memory_ordered 1
		.amdhsa_forward_progress 1
		.amdhsa_inst_pref_size 0
		.amdhsa_round_robin_scheduling 0
		.amdhsa_exception_fp_ieee_invalid_op 0
		.amdhsa_exception_fp_denorm_src 0
		.amdhsa_exception_fp_ieee_div_zero 0
		.amdhsa_exception_fp_ieee_overflow 0
		.amdhsa_exception_fp_ieee_underflow 0
		.amdhsa_exception_fp_ieee_inexact 0
		.amdhsa_exception_int_div_zero 0
	.end_amdhsa_kernel
	.section	.text._ZN7rocprim17ROCPRIM_400000_NS6detail17trampoline_kernelINS0_13select_configILj256ELj13ELNS0_17block_load_methodE3ELS4_3ELS4_3ELNS0_20block_scan_algorithmE0ELj4294967295EEENS1_25partition_config_selectorILNS1_17partition_subalgoE4EjNS0_10empty_typeEbEEZZNS1_14partition_implILS8_4ELb0ES6_15HIP_vector_typeIjLj2EENS0_17counting_iteratorIjlEEPS9_SG_NS0_5tupleIJPjSI_NS0_16reverse_iteratorISI_EEEEENSH_IJSG_SG_SG_EEES9_SI_JZNS1_25segmented_radix_sort_implINS0_14default_configELb1EPKbPbPKlPlN2at6native12_GLOBAL__N_18offset_tEEE10hipError_tPvRmT1_PNSt15iterator_traitsIS12_E10value_typeET2_T3_PNS13_IS18_E10value_typeET4_jRbjT5_S1E_jjP12ihipStream_tbEUljE_ZNSN_ISO_Lb1ESQ_SR_ST_SU_SY_EESZ_S10_S11_S12_S16_S17_S18_S1B_S1C_jS1D_jS1E_S1E_jjS1G_bEUljE0_EEESZ_S10_S11_S18_S1C_S1E_T6_T7_T9_mT8_S1G_bDpT10_ENKUlT_T0_E_clISt17integral_constantIbLb1EES1T_IbLb0EEEEDaS1P_S1Q_EUlS1P_E_NS1_11comp_targetILNS1_3genE0ELNS1_11target_archE4294967295ELNS1_3gpuE0ELNS1_3repE0EEENS1_30default_config_static_selectorELNS0_4arch9wavefront6targetE0EEEvS12_,"axG",@progbits,_ZN7rocprim17ROCPRIM_400000_NS6detail17trampoline_kernelINS0_13select_configILj256ELj13ELNS0_17block_load_methodE3ELS4_3ELS4_3ELNS0_20block_scan_algorithmE0ELj4294967295EEENS1_25partition_config_selectorILNS1_17partition_subalgoE4EjNS0_10empty_typeEbEEZZNS1_14partition_implILS8_4ELb0ES6_15HIP_vector_typeIjLj2EENS0_17counting_iteratorIjlEEPS9_SG_NS0_5tupleIJPjSI_NS0_16reverse_iteratorISI_EEEEENSH_IJSG_SG_SG_EEES9_SI_JZNS1_25segmented_radix_sort_implINS0_14default_configELb1EPKbPbPKlPlN2at6native12_GLOBAL__N_18offset_tEEE10hipError_tPvRmT1_PNSt15iterator_traitsIS12_E10value_typeET2_T3_PNS13_IS18_E10value_typeET4_jRbjT5_S1E_jjP12ihipStream_tbEUljE_ZNSN_ISO_Lb1ESQ_SR_ST_SU_SY_EESZ_S10_S11_S12_S16_S17_S18_S1B_S1C_jS1D_jS1E_S1E_jjS1G_bEUljE0_EEESZ_S10_S11_S18_S1C_S1E_T6_T7_T9_mT8_S1G_bDpT10_ENKUlT_T0_E_clISt17integral_constantIbLb1EES1T_IbLb0EEEEDaS1P_S1Q_EUlS1P_E_NS1_11comp_targetILNS1_3genE0ELNS1_11target_archE4294967295ELNS1_3gpuE0ELNS1_3repE0EEENS1_30default_config_static_selectorELNS0_4arch9wavefront6targetE0EEEvS12_,comdat
.Lfunc_end1484:
	.size	_ZN7rocprim17ROCPRIM_400000_NS6detail17trampoline_kernelINS0_13select_configILj256ELj13ELNS0_17block_load_methodE3ELS4_3ELS4_3ELNS0_20block_scan_algorithmE0ELj4294967295EEENS1_25partition_config_selectorILNS1_17partition_subalgoE4EjNS0_10empty_typeEbEEZZNS1_14partition_implILS8_4ELb0ES6_15HIP_vector_typeIjLj2EENS0_17counting_iteratorIjlEEPS9_SG_NS0_5tupleIJPjSI_NS0_16reverse_iteratorISI_EEEEENSH_IJSG_SG_SG_EEES9_SI_JZNS1_25segmented_radix_sort_implINS0_14default_configELb1EPKbPbPKlPlN2at6native12_GLOBAL__N_18offset_tEEE10hipError_tPvRmT1_PNSt15iterator_traitsIS12_E10value_typeET2_T3_PNS13_IS18_E10value_typeET4_jRbjT5_S1E_jjP12ihipStream_tbEUljE_ZNSN_ISO_Lb1ESQ_SR_ST_SU_SY_EESZ_S10_S11_S12_S16_S17_S18_S1B_S1C_jS1D_jS1E_S1E_jjS1G_bEUljE0_EEESZ_S10_S11_S18_S1C_S1E_T6_T7_T9_mT8_S1G_bDpT10_ENKUlT_T0_E_clISt17integral_constantIbLb1EES1T_IbLb0EEEEDaS1P_S1Q_EUlS1P_E_NS1_11comp_targetILNS1_3genE0ELNS1_11target_archE4294967295ELNS1_3gpuE0ELNS1_3repE0EEENS1_30default_config_static_selectorELNS0_4arch9wavefront6targetE0EEEvS12_, .Lfunc_end1484-_ZN7rocprim17ROCPRIM_400000_NS6detail17trampoline_kernelINS0_13select_configILj256ELj13ELNS0_17block_load_methodE3ELS4_3ELS4_3ELNS0_20block_scan_algorithmE0ELj4294967295EEENS1_25partition_config_selectorILNS1_17partition_subalgoE4EjNS0_10empty_typeEbEEZZNS1_14partition_implILS8_4ELb0ES6_15HIP_vector_typeIjLj2EENS0_17counting_iteratorIjlEEPS9_SG_NS0_5tupleIJPjSI_NS0_16reverse_iteratorISI_EEEEENSH_IJSG_SG_SG_EEES9_SI_JZNS1_25segmented_radix_sort_implINS0_14default_configELb1EPKbPbPKlPlN2at6native12_GLOBAL__N_18offset_tEEE10hipError_tPvRmT1_PNSt15iterator_traitsIS12_E10value_typeET2_T3_PNS13_IS18_E10value_typeET4_jRbjT5_S1E_jjP12ihipStream_tbEUljE_ZNSN_ISO_Lb1ESQ_SR_ST_SU_SY_EESZ_S10_S11_S12_S16_S17_S18_S1B_S1C_jS1D_jS1E_S1E_jjS1G_bEUljE0_EEESZ_S10_S11_S18_S1C_S1E_T6_T7_T9_mT8_S1G_bDpT10_ENKUlT_T0_E_clISt17integral_constantIbLb1EES1T_IbLb0EEEEDaS1P_S1Q_EUlS1P_E_NS1_11comp_targetILNS1_3genE0ELNS1_11target_archE4294967295ELNS1_3gpuE0ELNS1_3repE0EEENS1_30default_config_static_selectorELNS0_4arch9wavefront6targetE0EEEvS12_
                                        ; -- End function
	.set _ZN7rocprim17ROCPRIM_400000_NS6detail17trampoline_kernelINS0_13select_configILj256ELj13ELNS0_17block_load_methodE3ELS4_3ELS4_3ELNS0_20block_scan_algorithmE0ELj4294967295EEENS1_25partition_config_selectorILNS1_17partition_subalgoE4EjNS0_10empty_typeEbEEZZNS1_14partition_implILS8_4ELb0ES6_15HIP_vector_typeIjLj2EENS0_17counting_iteratorIjlEEPS9_SG_NS0_5tupleIJPjSI_NS0_16reverse_iteratorISI_EEEEENSH_IJSG_SG_SG_EEES9_SI_JZNS1_25segmented_radix_sort_implINS0_14default_configELb1EPKbPbPKlPlN2at6native12_GLOBAL__N_18offset_tEEE10hipError_tPvRmT1_PNSt15iterator_traitsIS12_E10value_typeET2_T3_PNS13_IS18_E10value_typeET4_jRbjT5_S1E_jjP12ihipStream_tbEUljE_ZNSN_ISO_Lb1ESQ_SR_ST_SU_SY_EESZ_S10_S11_S12_S16_S17_S18_S1B_S1C_jS1D_jS1E_S1E_jjS1G_bEUljE0_EEESZ_S10_S11_S18_S1C_S1E_T6_T7_T9_mT8_S1G_bDpT10_ENKUlT_T0_E_clISt17integral_constantIbLb1EES1T_IbLb0EEEEDaS1P_S1Q_EUlS1P_E_NS1_11comp_targetILNS1_3genE0ELNS1_11target_archE4294967295ELNS1_3gpuE0ELNS1_3repE0EEENS1_30default_config_static_selectorELNS0_4arch9wavefront6targetE0EEEvS12_.num_vgpr, 0
	.set _ZN7rocprim17ROCPRIM_400000_NS6detail17trampoline_kernelINS0_13select_configILj256ELj13ELNS0_17block_load_methodE3ELS4_3ELS4_3ELNS0_20block_scan_algorithmE0ELj4294967295EEENS1_25partition_config_selectorILNS1_17partition_subalgoE4EjNS0_10empty_typeEbEEZZNS1_14partition_implILS8_4ELb0ES6_15HIP_vector_typeIjLj2EENS0_17counting_iteratorIjlEEPS9_SG_NS0_5tupleIJPjSI_NS0_16reverse_iteratorISI_EEEEENSH_IJSG_SG_SG_EEES9_SI_JZNS1_25segmented_radix_sort_implINS0_14default_configELb1EPKbPbPKlPlN2at6native12_GLOBAL__N_18offset_tEEE10hipError_tPvRmT1_PNSt15iterator_traitsIS12_E10value_typeET2_T3_PNS13_IS18_E10value_typeET4_jRbjT5_S1E_jjP12ihipStream_tbEUljE_ZNSN_ISO_Lb1ESQ_SR_ST_SU_SY_EESZ_S10_S11_S12_S16_S17_S18_S1B_S1C_jS1D_jS1E_S1E_jjS1G_bEUljE0_EEESZ_S10_S11_S18_S1C_S1E_T6_T7_T9_mT8_S1G_bDpT10_ENKUlT_T0_E_clISt17integral_constantIbLb1EES1T_IbLb0EEEEDaS1P_S1Q_EUlS1P_E_NS1_11comp_targetILNS1_3genE0ELNS1_11target_archE4294967295ELNS1_3gpuE0ELNS1_3repE0EEENS1_30default_config_static_selectorELNS0_4arch9wavefront6targetE0EEEvS12_.num_agpr, 0
	.set _ZN7rocprim17ROCPRIM_400000_NS6detail17trampoline_kernelINS0_13select_configILj256ELj13ELNS0_17block_load_methodE3ELS4_3ELS4_3ELNS0_20block_scan_algorithmE0ELj4294967295EEENS1_25partition_config_selectorILNS1_17partition_subalgoE4EjNS0_10empty_typeEbEEZZNS1_14partition_implILS8_4ELb0ES6_15HIP_vector_typeIjLj2EENS0_17counting_iteratorIjlEEPS9_SG_NS0_5tupleIJPjSI_NS0_16reverse_iteratorISI_EEEEENSH_IJSG_SG_SG_EEES9_SI_JZNS1_25segmented_radix_sort_implINS0_14default_configELb1EPKbPbPKlPlN2at6native12_GLOBAL__N_18offset_tEEE10hipError_tPvRmT1_PNSt15iterator_traitsIS12_E10value_typeET2_T3_PNS13_IS18_E10value_typeET4_jRbjT5_S1E_jjP12ihipStream_tbEUljE_ZNSN_ISO_Lb1ESQ_SR_ST_SU_SY_EESZ_S10_S11_S12_S16_S17_S18_S1B_S1C_jS1D_jS1E_S1E_jjS1G_bEUljE0_EEESZ_S10_S11_S18_S1C_S1E_T6_T7_T9_mT8_S1G_bDpT10_ENKUlT_T0_E_clISt17integral_constantIbLb1EES1T_IbLb0EEEEDaS1P_S1Q_EUlS1P_E_NS1_11comp_targetILNS1_3genE0ELNS1_11target_archE4294967295ELNS1_3gpuE0ELNS1_3repE0EEENS1_30default_config_static_selectorELNS0_4arch9wavefront6targetE0EEEvS12_.numbered_sgpr, 0
	.set _ZN7rocprim17ROCPRIM_400000_NS6detail17trampoline_kernelINS0_13select_configILj256ELj13ELNS0_17block_load_methodE3ELS4_3ELS4_3ELNS0_20block_scan_algorithmE0ELj4294967295EEENS1_25partition_config_selectorILNS1_17partition_subalgoE4EjNS0_10empty_typeEbEEZZNS1_14partition_implILS8_4ELb0ES6_15HIP_vector_typeIjLj2EENS0_17counting_iteratorIjlEEPS9_SG_NS0_5tupleIJPjSI_NS0_16reverse_iteratorISI_EEEEENSH_IJSG_SG_SG_EEES9_SI_JZNS1_25segmented_radix_sort_implINS0_14default_configELb1EPKbPbPKlPlN2at6native12_GLOBAL__N_18offset_tEEE10hipError_tPvRmT1_PNSt15iterator_traitsIS12_E10value_typeET2_T3_PNS13_IS18_E10value_typeET4_jRbjT5_S1E_jjP12ihipStream_tbEUljE_ZNSN_ISO_Lb1ESQ_SR_ST_SU_SY_EESZ_S10_S11_S12_S16_S17_S18_S1B_S1C_jS1D_jS1E_S1E_jjS1G_bEUljE0_EEESZ_S10_S11_S18_S1C_S1E_T6_T7_T9_mT8_S1G_bDpT10_ENKUlT_T0_E_clISt17integral_constantIbLb1EES1T_IbLb0EEEEDaS1P_S1Q_EUlS1P_E_NS1_11comp_targetILNS1_3genE0ELNS1_11target_archE4294967295ELNS1_3gpuE0ELNS1_3repE0EEENS1_30default_config_static_selectorELNS0_4arch9wavefront6targetE0EEEvS12_.num_named_barrier, 0
	.set _ZN7rocprim17ROCPRIM_400000_NS6detail17trampoline_kernelINS0_13select_configILj256ELj13ELNS0_17block_load_methodE3ELS4_3ELS4_3ELNS0_20block_scan_algorithmE0ELj4294967295EEENS1_25partition_config_selectorILNS1_17partition_subalgoE4EjNS0_10empty_typeEbEEZZNS1_14partition_implILS8_4ELb0ES6_15HIP_vector_typeIjLj2EENS0_17counting_iteratorIjlEEPS9_SG_NS0_5tupleIJPjSI_NS0_16reverse_iteratorISI_EEEEENSH_IJSG_SG_SG_EEES9_SI_JZNS1_25segmented_radix_sort_implINS0_14default_configELb1EPKbPbPKlPlN2at6native12_GLOBAL__N_18offset_tEEE10hipError_tPvRmT1_PNSt15iterator_traitsIS12_E10value_typeET2_T3_PNS13_IS18_E10value_typeET4_jRbjT5_S1E_jjP12ihipStream_tbEUljE_ZNSN_ISO_Lb1ESQ_SR_ST_SU_SY_EESZ_S10_S11_S12_S16_S17_S18_S1B_S1C_jS1D_jS1E_S1E_jjS1G_bEUljE0_EEESZ_S10_S11_S18_S1C_S1E_T6_T7_T9_mT8_S1G_bDpT10_ENKUlT_T0_E_clISt17integral_constantIbLb1EES1T_IbLb0EEEEDaS1P_S1Q_EUlS1P_E_NS1_11comp_targetILNS1_3genE0ELNS1_11target_archE4294967295ELNS1_3gpuE0ELNS1_3repE0EEENS1_30default_config_static_selectorELNS0_4arch9wavefront6targetE0EEEvS12_.private_seg_size, 0
	.set _ZN7rocprim17ROCPRIM_400000_NS6detail17trampoline_kernelINS0_13select_configILj256ELj13ELNS0_17block_load_methodE3ELS4_3ELS4_3ELNS0_20block_scan_algorithmE0ELj4294967295EEENS1_25partition_config_selectorILNS1_17partition_subalgoE4EjNS0_10empty_typeEbEEZZNS1_14partition_implILS8_4ELb0ES6_15HIP_vector_typeIjLj2EENS0_17counting_iteratorIjlEEPS9_SG_NS0_5tupleIJPjSI_NS0_16reverse_iteratorISI_EEEEENSH_IJSG_SG_SG_EEES9_SI_JZNS1_25segmented_radix_sort_implINS0_14default_configELb1EPKbPbPKlPlN2at6native12_GLOBAL__N_18offset_tEEE10hipError_tPvRmT1_PNSt15iterator_traitsIS12_E10value_typeET2_T3_PNS13_IS18_E10value_typeET4_jRbjT5_S1E_jjP12ihipStream_tbEUljE_ZNSN_ISO_Lb1ESQ_SR_ST_SU_SY_EESZ_S10_S11_S12_S16_S17_S18_S1B_S1C_jS1D_jS1E_S1E_jjS1G_bEUljE0_EEESZ_S10_S11_S18_S1C_S1E_T6_T7_T9_mT8_S1G_bDpT10_ENKUlT_T0_E_clISt17integral_constantIbLb1EES1T_IbLb0EEEEDaS1P_S1Q_EUlS1P_E_NS1_11comp_targetILNS1_3genE0ELNS1_11target_archE4294967295ELNS1_3gpuE0ELNS1_3repE0EEENS1_30default_config_static_selectorELNS0_4arch9wavefront6targetE0EEEvS12_.uses_vcc, 0
	.set _ZN7rocprim17ROCPRIM_400000_NS6detail17trampoline_kernelINS0_13select_configILj256ELj13ELNS0_17block_load_methodE3ELS4_3ELS4_3ELNS0_20block_scan_algorithmE0ELj4294967295EEENS1_25partition_config_selectorILNS1_17partition_subalgoE4EjNS0_10empty_typeEbEEZZNS1_14partition_implILS8_4ELb0ES6_15HIP_vector_typeIjLj2EENS0_17counting_iteratorIjlEEPS9_SG_NS0_5tupleIJPjSI_NS0_16reverse_iteratorISI_EEEEENSH_IJSG_SG_SG_EEES9_SI_JZNS1_25segmented_radix_sort_implINS0_14default_configELb1EPKbPbPKlPlN2at6native12_GLOBAL__N_18offset_tEEE10hipError_tPvRmT1_PNSt15iterator_traitsIS12_E10value_typeET2_T3_PNS13_IS18_E10value_typeET4_jRbjT5_S1E_jjP12ihipStream_tbEUljE_ZNSN_ISO_Lb1ESQ_SR_ST_SU_SY_EESZ_S10_S11_S12_S16_S17_S18_S1B_S1C_jS1D_jS1E_S1E_jjS1G_bEUljE0_EEESZ_S10_S11_S18_S1C_S1E_T6_T7_T9_mT8_S1G_bDpT10_ENKUlT_T0_E_clISt17integral_constantIbLb1EES1T_IbLb0EEEEDaS1P_S1Q_EUlS1P_E_NS1_11comp_targetILNS1_3genE0ELNS1_11target_archE4294967295ELNS1_3gpuE0ELNS1_3repE0EEENS1_30default_config_static_selectorELNS0_4arch9wavefront6targetE0EEEvS12_.uses_flat_scratch, 0
	.set _ZN7rocprim17ROCPRIM_400000_NS6detail17trampoline_kernelINS0_13select_configILj256ELj13ELNS0_17block_load_methodE3ELS4_3ELS4_3ELNS0_20block_scan_algorithmE0ELj4294967295EEENS1_25partition_config_selectorILNS1_17partition_subalgoE4EjNS0_10empty_typeEbEEZZNS1_14partition_implILS8_4ELb0ES6_15HIP_vector_typeIjLj2EENS0_17counting_iteratorIjlEEPS9_SG_NS0_5tupleIJPjSI_NS0_16reverse_iteratorISI_EEEEENSH_IJSG_SG_SG_EEES9_SI_JZNS1_25segmented_radix_sort_implINS0_14default_configELb1EPKbPbPKlPlN2at6native12_GLOBAL__N_18offset_tEEE10hipError_tPvRmT1_PNSt15iterator_traitsIS12_E10value_typeET2_T3_PNS13_IS18_E10value_typeET4_jRbjT5_S1E_jjP12ihipStream_tbEUljE_ZNSN_ISO_Lb1ESQ_SR_ST_SU_SY_EESZ_S10_S11_S12_S16_S17_S18_S1B_S1C_jS1D_jS1E_S1E_jjS1G_bEUljE0_EEESZ_S10_S11_S18_S1C_S1E_T6_T7_T9_mT8_S1G_bDpT10_ENKUlT_T0_E_clISt17integral_constantIbLb1EES1T_IbLb0EEEEDaS1P_S1Q_EUlS1P_E_NS1_11comp_targetILNS1_3genE0ELNS1_11target_archE4294967295ELNS1_3gpuE0ELNS1_3repE0EEENS1_30default_config_static_selectorELNS0_4arch9wavefront6targetE0EEEvS12_.has_dyn_sized_stack, 0
	.set _ZN7rocprim17ROCPRIM_400000_NS6detail17trampoline_kernelINS0_13select_configILj256ELj13ELNS0_17block_load_methodE3ELS4_3ELS4_3ELNS0_20block_scan_algorithmE0ELj4294967295EEENS1_25partition_config_selectorILNS1_17partition_subalgoE4EjNS0_10empty_typeEbEEZZNS1_14partition_implILS8_4ELb0ES6_15HIP_vector_typeIjLj2EENS0_17counting_iteratorIjlEEPS9_SG_NS0_5tupleIJPjSI_NS0_16reverse_iteratorISI_EEEEENSH_IJSG_SG_SG_EEES9_SI_JZNS1_25segmented_radix_sort_implINS0_14default_configELb1EPKbPbPKlPlN2at6native12_GLOBAL__N_18offset_tEEE10hipError_tPvRmT1_PNSt15iterator_traitsIS12_E10value_typeET2_T3_PNS13_IS18_E10value_typeET4_jRbjT5_S1E_jjP12ihipStream_tbEUljE_ZNSN_ISO_Lb1ESQ_SR_ST_SU_SY_EESZ_S10_S11_S12_S16_S17_S18_S1B_S1C_jS1D_jS1E_S1E_jjS1G_bEUljE0_EEESZ_S10_S11_S18_S1C_S1E_T6_T7_T9_mT8_S1G_bDpT10_ENKUlT_T0_E_clISt17integral_constantIbLb1EES1T_IbLb0EEEEDaS1P_S1Q_EUlS1P_E_NS1_11comp_targetILNS1_3genE0ELNS1_11target_archE4294967295ELNS1_3gpuE0ELNS1_3repE0EEENS1_30default_config_static_selectorELNS0_4arch9wavefront6targetE0EEEvS12_.has_recursion, 0
	.set _ZN7rocprim17ROCPRIM_400000_NS6detail17trampoline_kernelINS0_13select_configILj256ELj13ELNS0_17block_load_methodE3ELS4_3ELS4_3ELNS0_20block_scan_algorithmE0ELj4294967295EEENS1_25partition_config_selectorILNS1_17partition_subalgoE4EjNS0_10empty_typeEbEEZZNS1_14partition_implILS8_4ELb0ES6_15HIP_vector_typeIjLj2EENS0_17counting_iteratorIjlEEPS9_SG_NS0_5tupleIJPjSI_NS0_16reverse_iteratorISI_EEEEENSH_IJSG_SG_SG_EEES9_SI_JZNS1_25segmented_radix_sort_implINS0_14default_configELb1EPKbPbPKlPlN2at6native12_GLOBAL__N_18offset_tEEE10hipError_tPvRmT1_PNSt15iterator_traitsIS12_E10value_typeET2_T3_PNS13_IS18_E10value_typeET4_jRbjT5_S1E_jjP12ihipStream_tbEUljE_ZNSN_ISO_Lb1ESQ_SR_ST_SU_SY_EESZ_S10_S11_S12_S16_S17_S18_S1B_S1C_jS1D_jS1E_S1E_jjS1G_bEUljE0_EEESZ_S10_S11_S18_S1C_S1E_T6_T7_T9_mT8_S1G_bDpT10_ENKUlT_T0_E_clISt17integral_constantIbLb1EES1T_IbLb0EEEEDaS1P_S1Q_EUlS1P_E_NS1_11comp_targetILNS1_3genE0ELNS1_11target_archE4294967295ELNS1_3gpuE0ELNS1_3repE0EEENS1_30default_config_static_selectorELNS0_4arch9wavefront6targetE0EEEvS12_.has_indirect_call, 0
	.section	.AMDGPU.csdata,"",@progbits
; Kernel info:
; codeLenInByte = 0
; TotalNumSgprs: 0
; NumVgprs: 0
; ScratchSize: 0
; MemoryBound: 0
; FloatMode: 240
; IeeeMode: 1
; LDSByteSize: 0 bytes/workgroup (compile time only)
; SGPRBlocks: 0
; VGPRBlocks: 0
; NumSGPRsForWavesPerEU: 1
; NumVGPRsForWavesPerEU: 1
; Occupancy: 16
; WaveLimiterHint : 0
; COMPUTE_PGM_RSRC2:SCRATCH_EN: 0
; COMPUTE_PGM_RSRC2:USER_SGPR: 2
; COMPUTE_PGM_RSRC2:TRAP_HANDLER: 0
; COMPUTE_PGM_RSRC2:TGID_X_EN: 1
; COMPUTE_PGM_RSRC2:TGID_Y_EN: 0
; COMPUTE_PGM_RSRC2:TGID_Z_EN: 0
; COMPUTE_PGM_RSRC2:TIDIG_COMP_CNT: 0
	.section	.text._ZN7rocprim17ROCPRIM_400000_NS6detail17trampoline_kernelINS0_13select_configILj256ELj13ELNS0_17block_load_methodE3ELS4_3ELS4_3ELNS0_20block_scan_algorithmE0ELj4294967295EEENS1_25partition_config_selectorILNS1_17partition_subalgoE4EjNS0_10empty_typeEbEEZZNS1_14partition_implILS8_4ELb0ES6_15HIP_vector_typeIjLj2EENS0_17counting_iteratorIjlEEPS9_SG_NS0_5tupleIJPjSI_NS0_16reverse_iteratorISI_EEEEENSH_IJSG_SG_SG_EEES9_SI_JZNS1_25segmented_radix_sort_implINS0_14default_configELb1EPKbPbPKlPlN2at6native12_GLOBAL__N_18offset_tEEE10hipError_tPvRmT1_PNSt15iterator_traitsIS12_E10value_typeET2_T3_PNS13_IS18_E10value_typeET4_jRbjT5_S1E_jjP12ihipStream_tbEUljE_ZNSN_ISO_Lb1ESQ_SR_ST_SU_SY_EESZ_S10_S11_S12_S16_S17_S18_S1B_S1C_jS1D_jS1E_S1E_jjS1G_bEUljE0_EEESZ_S10_S11_S18_S1C_S1E_T6_T7_T9_mT8_S1G_bDpT10_ENKUlT_T0_E_clISt17integral_constantIbLb1EES1T_IbLb0EEEEDaS1P_S1Q_EUlS1P_E_NS1_11comp_targetILNS1_3genE5ELNS1_11target_archE942ELNS1_3gpuE9ELNS1_3repE0EEENS1_30default_config_static_selectorELNS0_4arch9wavefront6targetE0EEEvS12_,"axG",@progbits,_ZN7rocprim17ROCPRIM_400000_NS6detail17trampoline_kernelINS0_13select_configILj256ELj13ELNS0_17block_load_methodE3ELS4_3ELS4_3ELNS0_20block_scan_algorithmE0ELj4294967295EEENS1_25partition_config_selectorILNS1_17partition_subalgoE4EjNS0_10empty_typeEbEEZZNS1_14partition_implILS8_4ELb0ES6_15HIP_vector_typeIjLj2EENS0_17counting_iteratorIjlEEPS9_SG_NS0_5tupleIJPjSI_NS0_16reverse_iteratorISI_EEEEENSH_IJSG_SG_SG_EEES9_SI_JZNS1_25segmented_radix_sort_implINS0_14default_configELb1EPKbPbPKlPlN2at6native12_GLOBAL__N_18offset_tEEE10hipError_tPvRmT1_PNSt15iterator_traitsIS12_E10value_typeET2_T3_PNS13_IS18_E10value_typeET4_jRbjT5_S1E_jjP12ihipStream_tbEUljE_ZNSN_ISO_Lb1ESQ_SR_ST_SU_SY_EESZ_S10_S11_S12_S16_S17_S18_S1B_S1C_jS1D_jS1E_S1E_jjS1G_bEUljE0_EEESZ_S10_S11_S18_S1C_S1E_T6_T7_T9_mT8_S1G_bDpT10_ENKUlT_T0_E_clISt17integral_constantIbLb1EES1T_IbLb0EEEEDaS1P_S1Q_EUlS1P_E_NS1_11comp_targetILNS1_3genE5ELNS1_11target_archE942ELNS1_3gpuE9ELNS1_3repE0EEENS1_30default_config_static_selectorELNS0_4arch9wavefront6targetE0EEEvS12_,comdat
	.globl	_ZN7rocprim17ROCPRIM_400000_NS6detail17trampoline_kernelINS0_13select_configILj256ELj13ELNS0_17block_load_methodE3ELS4_3ELS4_3ELNS0_20block_scan_algorithmE0ELj4294967295EEENS1_25partition_config_selectorILNS1_17partition_subalgoE4EjNS0_10empty_typeEbEEZZNS1_14partition_implILS8_4ELb0ES6_15HIP_vector_typeIjLj2EENS0_17counting_iteratorIjlEEPS9_SG_NS0_5tupleIJPjSI_NS0_16reverse_iteratorISI_EEEEENSH_IJSG_SG_SG_EEES9_SI_JZNS1_25segmented_radix_sort_implINS0_14default_configELb1EPKbPbPKlPlN2at6native12_GLOBAL__N_18offset_tEEE10hipError_tPvRmT1_PNSt15iterator_traitsIS12_E10value_typeET2_T3_PNS13_IS18_E10value_typeET4_jRbjT5_S1E_jjP12ihipStream_tbEUljE_ZNSN_ISO_Lb1ESQ_SR_ST_SU_SY_EESZ_S10_S11_S12_S16_S17_S18_S1B_S1C_jS1D_jS1E_S1E_jjS1G_bEUljE0_EEESZ_S10_S11_S18_S1C_S1E_T6_T7_T9_mT8_S1G_bDpT10_ENKUlT_T0_E_clISt17integral_constantIbLb1EES1T_IbLb0EEEEDaS1P_S1Q_EUlS1P_E_NS1_11comp_targetILNS1_3genE5ELNS1_11target_archE942ELNS1_3gpuE9ELNS1_3repE0EEENS1_30default_config_static_selectorELNS0_4arch9wavefront6targetE0EEEvS12_ ; -- Begin function _ZN7rocprim17ROCPRIM_400000_NS6detail17trampoline_kernelINS0_13select_configILj256ELj13ELNS0_17block_load_methodE3ELS4_3ELS4_3ELNS0_20block_scan_algorithmE0ELj4294967295EEENS1_25partition_config_selectorILNS1_17partition_subalgoE4EjNS0_10empty_typeEbEEZZNS1_14partition_implILS8_4ELb0ES6_15HIP_vector_typeIjLj2EENS0_17counting_iteratorIjlEEPS9_SG_NS0_5tupleIJPjSI_NS0_16reverse_iteratorISI_EEEEENSH_IJSG_SG_SG_EEES9_SI_JZNS1_25segmented_radix_sort_implINS0_14default_configELb1EPKbPbPKlPlN2at6native12_GLOBAL__N_18offset_tEEE10hipError_tPvRmT1_PNSt15iterator_traitsIS12_E10value_typeET2_T3_PNS13_IS18_E10value_typeET4_jRbjT5_S1E_jjP12ihipStream_tbEUljE_ZNSN_ISO_Lb1ESQ_SR_ST_SU_SY_EESZ_S10_S11_S12_S16_S17_S18_S1B_S1C_jS1D_jS1E_S1E_jjS1G_bEUljE0_EEESZ_S10_S11_S18_S1C_S1E_T6_T7_T9_mT8_S1G_bDpT10_ENKUlT_T0_E_clISt17integral_constantIbLb1EES1T_IbLb0EEEEDaS1P_S1Q_EUlS1P_E_NS1_11comp_targetILNS1_3genE5ELNS1_11target_archE942ELNS1_3gpuE9ELNS1_3repE0EEENS1_30default_config_static_selectorELNS0_4arch9wavefront6targetE0EEEvS12_
	.p2align	8
	.type	_ZN7rocprim17ROCPRIM_400000_NS6detail17trampoline_kernelINS0_13select_configILj256ELj13ELNS0_17block_load_methodE3ELS4_3ELS4_3ELNS0_20block_scan_algorithmE0ELj4294967295EEENS1_25partition_config_selectorILNS1_17partition_subalgoE4EjNS0_10empty_typeEbEEZZNS1_14partition_implILS8_4ELb0ES6_15HIP_vector_typeIjLj2EENS0_17counting_iteratorIjlEEPS9_SG_NS0_5tupleIJPjSI_NS0_16reverse_iteratorISI_EEEEENSH_IJSG_SG_SG_EEES9_SI_JZNS1_25segmented_radix_sort_implINS0_14default_configELb1EPKbPbPKlPlN2at6native12_GLOBAL__N_18offset_tEEE10hipError_tPvRmT1_PNSt15iterator_traitsIS12_E10value_typeET2_T3_PNS13_IS18_E10value_typeET4_jRbjT5_S1E_jjP12ihipStream_tbEUljE_ZNSN_ISO_Lb1ESQ_SR_ST_SU_SY_EESZ_S10_S11_S12_S16_S17_S18_S1B_S1C_jS1D_jS1E_S1E_jjS1G_bEUljE0_EEESZ_S10_S11_S18_S1C_S1E_T6_T7_T9_mT8_S1G_bDpT10_ENKUlT_T0_E_clISt17integral_constantIbLb1EES1T_IbLb0EEEEDaS1P_S1Q_EUlS1P_E_NS1_11comp_targetILNS1_3genE5ELNS1_11target_archE942ELNS1_3gpuE9ELNS1_3repE0EEENS1_30default_config_static_selectorELNS0_4arch9wavefront6targetE0EEEvS12_,@function
_ZN7rocprim17ROCPRIM_400000_NS6detail17trampoline_kernelINS0_13select_configILj256ELj13ELNS0_17block_load_methodE3ELS4_3ELS4_3ELNS0_20block_scan_algorithmE0ELj4294967295EEENS1_25partition_config_selectorILNS1_17partition_subalgoE4EjNS0_10empty_typeEbEEZZNS1_14partition_implILS8_4ELb0ES6_15HIP_vector_typeIjLj2EENS0_17counting_iteratorIjlEEPS9_SG_NS0_5tupleIJPjSI_NS0_16reverse_iteratorISI_EEEEENSH_IJSG_SG_SG_EEES9_SI_JZNS1_25segmented_radix_sort_implINS0_14default_configELb1EPKbPbPKlPlN2at6native12_GLOBAL__N_18offset_tEEE10hipError_tPvRmT1_PNSt15iterator_traitsIS12_E10value_typeET2_T3_PNS13_IS18_E10value_typeET4_jRbjT5_S1E_jjP12ihipStream_tbEUljE_ZNSN_ISO_Lb1ESQ_SR_ST_SU_SY_EESZ_S10_S11_S12_S16_S17_S18_S1B_S1C_jS1D_jS1E_S1E_jjS1G_bEUljE0_EEESZ_S10_S11_S18_S1C_S1E_T6_T7_T9_mT8_S1G_bDpT10_ENKUlT_T0_E_clISt17integral_constantIbLb1EES1T_IbLb0EEEEDaS1P_S1Q_EUlS1P_E_NS1_11comp_targetILNS1_3genE5ELNS1_11target_archE942ELNS1_3gpuE9ELNS1_3repE0EEENS1_30default_config_static_selectorELNS0_4arch9wavefront6targetE0EEEvS12_: ; @_ZN7rocprim17ROCPRIM_400000_NS6detail17trampoline_kernelINS0_13select_configILj256ELj13ELNS0_17block_load_methodE3ELS4_3ELS4_3ELNS0_20block_scan_algorithmE0ELj4294967295EEENS1_25partition_config_selectorILNS1_17partition_subalgoE4EjNS0_10empty_typeEbEEZZNS1_14partition_implILS8_4ELb0ES6_15HIP_vector_typeIjLj2EENS0_17counting_iteratorIjlEEPS9_SG_NS0_5tupleIJPjSI_NS0_16reverse_iteratorISI_EEEEENSH_IJSG_SG_SG_EEES9_SI_JZNS1_25segmented_radix_sort_implINS0_14default_configELb1EPKbPbPKlPlN2at6native12_GLOBAL__N_18offset_tEEE10hipError_tPvRmT1_PNSt15iterator_traitsIS12_E10value_typeET2_T3_PNS13_IS18_E10value_typeET4_jRbjT5_S1E_jjP12ihipStream_tbEUljE_ZNSN_ISO_Lb1ESQ_SR_ST_SU_SY_EESZ_S10_S11_S12_S16_S17_S18_S1B_S1C_jS1D_jS1E_S1E_jjS1G_bEUljE0_EEESZ_S10_S11_S18_S1C_S1E_T6_T7_T9_mT8_S1G_bDpT10_ENKUlT_T0_E_clISt17integral_constantIbLb1EES1T_IbLb0EEEEDaS1P_S1Q_EUlS1P_E_NS1_11comp_targetILNS1_3genE5ELNS1_11target_archE942ELNS1_3gpuE9ELNS1_3repE0EEENS1_30default_config_static_selectorELNS0_4arch9wavefront6targetE0EEEvS12_
; %bb.0:
	.section	.rodata,"a",@progbits
	.p2align	6, 0x0
	.amdhsa_kernel _ZN7rocprim17ROCPRIM_400000_NS6detail17trampoline_kernelINS0_13select_configILj256ELj13ELNS0_17block_load_methodE3ELS4_3ELS4_3ELNS0_20block_scan_algorithmE0ELj4294967295EEENS1_25partition_config_selectorILNS1_17partition_subalgoE4EjNS0_10empty_typeEbEEZZNS1_14partition_implILS8_4ELb0ES6_15HIP_vector_typeIjLj2EENS0_17counting_iteratorIjlEEPS9_SG_NS0_5tupleIJPjSI_NS0_16reverse_iteratorISI_EEEEENSH_IJSG_SG_SG_EEES9_SI_JZNS1_25segmented_radix_sort_implINS0_14default_configELb1EPKbPbPKlPlN2at6native12_GLOBAL__N_18offset_tEEE10hipError_tPvRmT1_PNSt15iterator_traitsIS12_E10value_typeET2_T3_PNS13_IS18_E10value_typeET4_jRbjT5_S1E_jjP12ihipStream_tbEUljE_ZNSN_ISO_Lb1ESQ_SR_ST_SU_SY_EESZ_S10_S11_S12_S16_S17_S18_S1B_S1C_jS1D_jS1E_S1E_jjS1G_bEUljE0_EEESZ_S10_S11_S18_S1C_S1E_T6_T7_T9_mT8_S1G_bDpT10_ENKUlT_T0_E_clISt17integral_constantIbLb1EES1T_IbLb0EEEEDaS1P_S1Q_EUlS1P_E_NS1_11comp_targetILNS1_3genE5ELNS1_11target_archE942ELNS1_3gpuE9ELNS1_3repE0EEENS1_30default_config_static_selectorELNS0_4arch9wavefront6targetE0EEEvS12_
		.amdhsa_group_segment_fixed_size 0
		.amdhsa_private_segment_fixed_size 0
		.amdhsa_kernarg_size 176
		.amdhsa_user_sgpr_count 2
		.amdhsa_user_sgpr_dispatch_ptr 0
		.amdhsa_user_sgpr_queue_ptr 0
		.amdhsa_user_sgpr_kernarg_segment_ptr 1
		.amdhsa_user_sgpr_dispatch_id 0
		.amdhsa_user_sgpr_private_segment_size 0
		.amdhsa_wavefront_size32 1
		.amdhsa_uses_dynamic_stack 0
		.amdhsa_enable_private_segment 0
		.amdhsa_system_sgpr_workgroup_id_x 1
		.amdhsa_system_sgpr_workgroup_id_y 0
		.amdhsa_system_sgpr_workgroup_id_z 0
		.amdhsa_system_sgpr_workgroup_info 0
		.amdhsa_system_vgpr_workitem_id 0
		.amdhsa_next_free_vgpr 1
		.amdhsa_next_free_sgpr 1
		.amdhsa_reserve_vcc 0
		.amdhsa_float_round_mode_32 0
		.amdhsa_float_round_mode_16_64 0
		.amdhsa_float_denorm_mode_32 3
		.amdhsa_float_denorm_mode_16_64 3
		.amdhsa_fp16_overflow 0
		.amdhsa_workgroup_processor_mode 1
		.amdhsa_memory_ordered 1
		.amdhsa_forward_progress 1
		.amdhsa_inst_pref_size 0
		.amdhsa_round_robin_scheduling 0
		.amdhsa_exception_fp_ieee_invalid_op 0
		.amdhsa_exception_fp_denorm_src 0
		.amdhsa_exception_fp_ieee_div_zero 0
		.amdhsa_exception_fp_ieee_overflow 0
		.amdhsa_exception_fp_ieee_underflow 0
		.amdhsa_exception_fp_ieee_inexact 0
		.amdhsa_exception_int_div_zero 0
	.end_amdhsa_kernel
	.section	.text._ZN7rocprim17ROCPRIM_400000_NS6detail17trampoline_kernelINS0_13select_configILj256ELj13ELNS0_17block_load_methodE3ELS4_3ELS4_3ELNS0_20block_scan_algorithmE0ELj4294967295EEENS1_25partition_config_selectorILNS1_17partition_subalgoE4EjNS0_10empty_typeEbEEZZNS1_14partition_implILS8_4ELb0ES6_15HIP_vector_typeIjLj2EENS0_17counting_iteratorIjlEEPS9_SG_NS0_5tupleIJPjSI_NS0_16reverse_iteratorISI_EEEEENSH_IJSG_SG_SG_EEES9_SI_JZNS1_25segmented_radix_sort_implINS0_14default_configELb1EPKbPbPKlPlN2at6native12_GLOBAL__N_18offset_tEEE10hipError_tPvRmT1_PNSt15iterator_traitsIS12_E10value_typeET2_T3_PNS13_IS18_E10value_typeET4_jRbjT5_S1E_jjP12ihipStream_tbEUljE_ZNSN_ISO_Lb1ESQ_SR_ST_SU_SY_EESZ_S10_S11_S12_S16_S17_S18_S1B_S1C_jS1D_jS1E_S1E_jjS1G_bEUljE0_EEESZ_S10_S11_S18_S1C_S1E_T6_T7_T9_mT8_S1G_bDpT10_ENKUlT_T0_E_clISt17integral_constantIbLb1EES1T_IbLb0EEEEDaS1P_S1Q_EUlS1P_E_NS1_11comp_targetILNS1_3genE5ELNS1_11target_archE942ELNS1_3gpuE9ELNS1_3repE0EEENS1_30default_config_static_selectorELNS0_4arch9wavefront6targetE0EEEvS12_,"axG",@progbits,_ZN7rocprim17ROCPRIM_400000_NS6detail17trampoline_kernelINS0_13select_configILj256ELj13ELNS0_17block_load_methodE3ELS4_3ELS4_3ELNS0_20block_scan_algorithmE0ELj4294967295EEENS1_25partition_config_selectorILNS1_17partition_subalgoE4EjNS0_10empty_typeEbEEZZNS1_14partition_implILS8_4ELb0ES6_15HIP_vector_typeIjLj2EENS0_17counting_iteratorIjlEEPS9_SG_NS0_5tupleIJPjSI_NS0_16reverse_iteratorISI_EEEEENSH_IJSG_SG_SG_EEES9_SI_JZNS1_25segmented_radix_sort_implINS0_14default_configELb1EPKbPbPKlPlN2at6native12_GLOBAL__N_18offset_tEEE10hipError_tPvRmT1_PNSt15iterator_traitsIS12_E10value_typeET2_T3_PNS13_IS18_E10value_typeET4_jRbjT5_S1E_jjP12ihipStream_tbEUljE_ZNSN_ISO_Lb1ESQ_SR_ST_SU_SY_EESZ_S10_S11_S12_S16_S17_S18_S1B_S1C_jS1D_jS1E_S1E_jjS1G_bEUljE0_EEESZ_S10_S11_S18_S1C_S1E_T6_T7_T9_mT8_S1G_bDpT10_ENKUlT_T0_E_clISt17integral_constantIbLb1EES1T_IbLb0EEEEDaS1P_S1Q_EUlS1P_E_NS1_11comp_targetILNS1_3genE5ELNS1_11target_archE942ELNS1_3gpuE9ELNS1_3repE0EEENS1_30default_config_static_selectorELNS0_4arch9wavefront6targetE0EEEvS12_,comdat
.Lfunc_end1485:
	.size	_ZN7rocprim17ROCPRIM_400000_NS6detail17trampoline_kernelINS0_13select_configILj256ELj13ELNS0_17block_load_methodE3ELS4_3ELS4_3ELNS0_20block_scan_algorithmE0ELj4294967295EEENS1_25partition_config_selectorILNS1_17partition_subalgoE4EjNS0_10empty_typeEbEEZZNS1_14partition_implILS8_4ELb0ES6_15HIP_vector_typeIjLj2EENS0_17counting_iteratorIjlEEPS9_SG_NS0_5tupleIJPjSI_NS0_16reverse_iteratorISI_EEEEENSH_IJSG_SG_SG_EEES9_SI_JZNS1_25segmented_radix_sort_implINS0_14default_configELb1EPKbPbPKlPlN2at6native12_GLOBAL__N_18offset_tEEE10hipError_tPvRmT1_PNSt15iterator_traitsIS12_E10value_typeET2_T3_PNS13_IS18_E10value_typeET4_jRbjT5_S1E_jjP12ihipStream_tbEUljE_ZNSN_ISO_Lb1ESQ_SR_ST_SU_SY_EESZ_S10_S11_S12_S16_S17_S18_S1B_S1C_jS1D_jS1E_S1E_jjS1G_bEUljE0_EEESZ_S10_S11_S18_S1C_S1E_T6_T7_T9_mT8_S1G_bDpT10_ENKUlT_T0_E_clISt17integral_constantIbLb1EES1T_IbLb0EEEEDaS1P_S1Q_EUlS1P_E_NS1_11comp_targetILNS1_3genE5ELNS1_11target_archE942ELNS1_3gpuE9ELNS1_3repE0EEENS1_30default_config_static_selectorELNS0_4arch9wavefront6targetE0EEEvS12_, .Lfunc_end1485-_ZN7rocprim17ROCPRIM_400000_NS6detail17trampoline_kernelINS0_13select_configILj256ELj13ELNS0_17block_load_methodE3ELS4_3ELS4_3ELNS0_20block_scan_algorithmE0ELj4294967295EEENS1_25partition_config_selectorILNS1_17partition_subalgoE4EjNS0_10empty_typeEbEEZZNS1_14partition_implILS8_4ELb0ES6_15HIP_vector_typeIjLj2EENS0_17counting_iteratorIjlEEPS9_SG_NS0_5tupleIJPjSI_NS0_16reverse_iteratorISI_EEEEENSH_IJSG_SG_SG_EEES9_SI_JZNS1_25segmented_radix_sort_implINS0_14default_configELb1EPKbPbPKlPlN2at6native12_GLOBAL__N_18offset_tEEE10hipError_tPvRmT1_PNSt15iterator_traitsIS12_E10value_typeET2_T3_PNS13_IS18_E10value_typeET4_jRbjT5_S1E_jjP12ihipStream_tbEUljE_ZNSN_ISO_Lb1ESQ_SR_ST_SU_SY_EESZ_S10_S11_S12_S16_S17_S18_S1B_S1C_jS1D_jS1E_S1E_jjS1G_bEUljE0_EEESZ_S10_S11_S18_S1C_S1E_T6_T7_T9_mT8_S1G_bDpT10_ENKUlT_T0_E_clISt17integral_constantIbLb1EES1T_IbLb0EEEEDaS1P_S1Q_EUlS1P_E_NS1_11comp_targetILNS1_3genE5ELNS1_11target_archE942ELNS1_3gpuE9ELNS1_3repE0EEENS1_30default_config_static_selectorELNS0_4arch9wavefront6targetE0EEEvS12_
                                        ; -- End function
	.set _ZN7rocprim17ROCPRIM_400000_NS6detail17trampoline_kernelINS0_13select_configILj256ELj13ELNS0_17block_load_methodE3ELS4_3ELS4_3ELNS0_20block_scan_algorithmE0ELj4294967295EEENS1_25partition_config_selectorILNS1_17partition_subalgoE4EjNS0_10empty_typeEbEEZZNS1_14partition_implILS8_4ELb0ES6_15HIP_vector_typeIjLj2EENS0_17counting_iteratorIjlEEPS9_SG_NS0_5tupleIJPjSI_NS0_16reverse_iteratorISI_EEEEENSH_IJSG_SG_SG_EEES9_SI_JZNS1_25segmented_radix_sort_implINS0_14default_configELb1EPKbPbPKlPlN2at6native12_GLOBAL__N_18offset_tEEE10hipError_tPvRmT1_PNSt15iterator_traitsIS12_E10value_typeET2_T3_PNS13_IS18_E10value_typeET4_jRbjT5_S1E_jjP12ihipStream_tbEUljE_ZNSN_ISO_Lb1ESQ_SR_ST_SU_SY_EESZ_S10_S11_S12_S16_S17_S18_S1B_S1C_jS1D_jS1E_S1E_jjS1G_bEUljE0_EEESZ_S10_S11_S18_S1C_S1E_T6_T7_T9_mT8_S1G_bDpT10_ENKUlT_T0_E_clISt17integral_constantIbLb1EES1T_IbLb0EEEEDaS1P_S1Q_EUlS1P_E_NS1_11comp_targetILNS1_3genE5ELNS1_11target_archE942ELNS1_3gpuE9ELNS1_3repE0EEENS1_30default_config_static_selectorELNS0_4arch9wavefront6targetE0EEEvS12_.num_vgpr, 0
	.set _ZN7rocprim17ROCPRIM_400000_NS6detail17trampoline_kernelINS0_13select_configILj256ELj13ELNS0_17block_load_methodE3ELS4_3ELS4_3ELNS0_20block_scan_algorithmE0ELj4294967295EEENS1_25partition_config_selectorILNS1_17partition_subalgoE4EjNS0_10empty_typeEbEEZZNS1_14partition_implILS8_4ELb0ES6_15HIP_vector_typeIjLj2EENS0_17counting_iteratorIjlEEPS9_SG_NS0_5tupleIJPjSI_NS0_16reverse_iteratorISI_EEEEENSH_IJSG_SG_SG_EEES9_SI_JZNS1_25segmented_radix_sort_implINS0_14default_configELb1EPKbPbPKlPlN2at6native12_GLOBAL__N_18offset_tEEE10hipError_tPvRmT1_PNSt15iterator_traitsIS12_E10value_typeET2_T3_PNS13_IS18_E10value_typeET4_jRbjT5_S1E_jjP12ihipStream_tbEUljE_ZNSN_ISO_Lb1ESQ_SR_ST_SU_SY_EESZ_S10_S11_S12_S16_S17_S18_S1B_S1C_jS1D_jS1E_S1E_jjS1G_bEUljE0_EEESZ_S10_S11_S18_S1C_S1E_T6_T7_T9_mT8_S1G_bDpT10_ENKUlT_T0_E_clISt17integral_constantIbLb1EES1T_IbLb0EEEEDaS1P_S1Q_EUlS1P_E_NS1_11comp_targetILNS1_3genE5ELNS1_11target_archE942ELNS1_3gpuE9ELNS1_3repE0EEENS1_30default_config_static_selectorELNS0_4arch9wavefront6targetE0EEEvS12_.num_agpr, 0
	.set _ZN7rocprim17ROCPRIM_400000_NS6detail17trampoline_kernelINS0_13select_configILj256ELj13ELNS0_17block_load_methodE3ELS4_3ELS4_3ELNS0_20block_scan_algorithmE0ELj4294967295EEENS1_25partition_config_selectorILNS1_17partition_subalgoE4EjNS0_10empty_typeEbEEZZNS1_14partition_implILS8_4ELb0ES6_15HIP_vector_typeIjLj2EENS0_17counting_iteratorIjlEEPS9_SG_NS0_5tupleIJPjSI_NS0_16reverse_iteratorISI_EEEEENSH_IJSG_SG_SG_EEES9_SI_JZNS1_25segmented_radix_sort_implINS0_14default_configELb1EPKbPbPKlPlN2at6native12_GLOBAL__N_18offset_tEEE10hipError_tPvRmT1_PNSt15iterator_traitsIS12_E10value_typeET2_T3_PNS13_IS18_E10value_typeET4_jRbjT5_S1E_jjP12ihipStream_tbEUljE_ZNSN_ISO_Lb1ESQ_SR_ST_SU_SY_EESZ_S10_S11_S12_S16_S17_S18_S1B_S1C_jS1D_jS1E_S1E_jjS1G_bEUljE0_EEESZ_S10_S11_S18_S1C_S1E_T6_T7_T9_mT8_S1G_bDpT10_ENKUlT_T0_E_clISt17integral_constantIbLb1EES1T_IbLb0EEEEDaS1P_S1Q_EUlS1P_E_NS1_11comp_targetILNS1_3genE5ELNS1_11target_archE942ELNS1_3gpuE9ELNS1_3repE0EEENS1_30default_config_static_selectorELNS0_4arch9wavefront6targetE0EEEvS12_.numbered_sgpr, 0
	.set _ZN7rocprim17ROCPRIM_400000_NS6detail17trampoline_kernelINS0_13select_configILj256ELj13ELNS0_17block_load_methodE3ELS4_3ELS4_3ELNS0_20block_scan_algorithmE0ELj4294967295EEENS1_25partition_config_selectorILNS1_17partition_subalgoE4EjNS0_10empty_typeEbEEZZNS1_14partition_implILS8_4ELb0ES6_15HIP_vector_typeIjLj2EENS0_17counting_iteratorIjlEEPS9_SG_NS0_5tupleIJPjSI_NS0_16reverse_iteratorISI_EEEEENSH_IJSG_SG_SG_EEES9_SI_JZNS1_25segmented_radix_sort_implINS0_14default_configELb1EPKbPbPKlPlN2at6native12_GLOBAL__N_18offset_tEEE10hipError_tPvRmT1_PNSt15iterator_traitsIS12_E10value_typeET2_T3_PNS13_IS18_E10value_typeET4_jRbjT5_S1E_jjP12ihipStream_tbEUljE_ZNSN_ISO_Lb1ESQ_SR_ST_SU_SY_EESZ_S10_S11_S12_S16_S17_S18_S1B_S1C_jS1D_jS1E_S1E_jjS1G_bEUljE0_EEESZ_S10_S11_S18_S1C_S1E_T6_T7_T9_mT8_S1G_bDpT10_ENKUlT_T0_E_clISt17integral_constantIbLb1EES1T_IbLb0EEEEDaS1P_S1Q_EUlS1P_E_NS1_11comp_targetILNS1_3genE5ELNS1_11target_archE942ELNS1_3gpuE9ELNS1_3repE0EEENS1_30default_config_static_selectorELNS0_4arch9wavefront6targetE0EEEvS12_.num_named_barrier, 0
	.set _ZN7rocprim17ROCPRIM_400000_NS6detail17trampoline_kernelINS0_13select_configILj256ELj13ELNS0_17block_load_methodE3ELS4_3ELS4_3ELNS0_20block_scan_algorithmE0ELj4294967295EEENS1_25partition_config_selectorILNS1_17partition_subalgoE4EjNS0_10empty_typeEbEEZZNS1_14partition_implILS8_4ELb0ES6_15HIP_vector_typeIjLj2EENS0_17counting_iteratorIjlEEPS9_SG_NS0_5tupleIJPjSI_NS0_16reverse_iteratorISI_EEEEENSH_IJSG_SG_SG_EEES9_SI_JZNS1_25segmented_radix_sort_implINS0_14default_configELb1EPKbPbPKlPlN2at6native12_GLOBAL__N_18offset_tEEE10hipError_tPvRmT1_PNSt15iterator_traitsIS12_E10value_typeET2_T3_PNS13_IS18_E10value_typeET4_jRbjT5_S1E_jjP12ihipStream_tbEUljE_ZNSN_ISO_Lb1ESQ_SR_ST_SU_SY_EESZ_S10_S11_S12_S16_S17_S18_S1B_S1C_jS1D_jS1E_S1E_jjS1G_bEUljE0_EEESZ_S10_S11_S18_S1C_S1E_T6_T7_T9_mT8_S1G_bDpT10_ENKUlT_T0_E_clISt17integral_constantIbLb1EES1T_IbLb0EEEEDaS1P_S1Q_EUlS1P_E_NS1_11comp_targetILNS1_3genE5ELNS1_11target_archE942ELNS1_3gpuE9ELNS1_3repE0EEENS1_30default_config_static_selectorELNS0_4arch9wavefront6targetE0EEEvS12_.private_seg_size, 0
	.set _ZN7rocprim17ROCPRIM_400000_NS6detail17trampoline_kernelINS0_13select_configILj256ELj13ELNS0_17block_load_methodE3ELS4_3ELS4_3ELNS0_20block_scan_algorithmE0ELj4294967295EEENS1_25partition_config_selectorILNS1_17partition_subalgoE4EjNS0_10empty_typeEbEEZZNS1_14partition_implILS8_4ELb0ES6_15HIP_vector_typeIjLj2EENS0_17counting_iteratorIjlEEPS9_SG_NS0_5tupleIJPjSI_NS0_16reverse_iteratorISI_EEEEENSH_IJSG_SG_SG_EEES9_SI_JZNS1_25segmented_radix_sort_implINS0_14default_configELb1EPKbPbPKlPlN2at6native12_GLOBAL__N_18offset_tEEE10hipError_tPvRmT1_PNSt15iterator_traitsIS12_E10value_typeET2_T3_PNS13_IS18_E10value_typeET4_jRbjT5_S1E_jjP12ihipStream_tbEUljE_ZNSN_ISO_Lb1ESQ_SR_ST_SU_SY_EESZ_S10_S11_S12_S16_S17_S18_S1B_S1C_jS1D_jS1E_S1E_jjS1G_bEUljE0_EEESZ_S10_S11_S18_S1C_S1E_T6_T7_T9_mT8_S1G_bDpT10_ENKUlT_T0_E_clISt17integral_constantIbLb1EES1T_IbLb0EEEEDaS1P_S1Q_EUlS1P_E_NS1_11comp_targetILNS1_3genE5ELNS1_11target_archE942ELNS1_3gpuE9ELNS1_3repE0EEENS1_30default_config_static_selectorELNS0_4arch9wavefront6targetE0EEEvS12_.uses_vcc, 0
	.set _ZN7rocprim17ROCPRIM_400000_NS6detail17trampoline_kernelINS0_13select_configILj256ELj13ELNS0_17block_load_methodE3ELS4_3ELS4_3ELNS0_20block_scan_algorithmE0ELj4294967295EEENS1_25partition_config_selectorILNS1_17partition_subalgoE4EjNS0_10empty_typeEbEEZZNS1_14partition_implILS8_4ELb0ES6_15HIP_vector_typeIjLj2EENS0_17counting_iteratorIjlEEPS9_SG_NS0_5tupleIJPjSI_NS0_16reverse_iteratorISI_EEEEENSH_IJSG_SG_SG_EEES9_SI_JZNS1_25segmented_radix_sort_implINS0_14default_configELb1EPKbPbPKlPlN2at6native12_GLOBAL__N_18offset_tEEE10hipError_tPvRmT1_PNSt15iterator_traitsIS12_E10value_typeET2_T3_PNS13_IS18_E10value_typeET4_jRbjT5_S1E_jjP12ihipStream_tbEUljE_ZNSN_ISO_Lb1ESQ_SR_ST_SU_SY_EESZ_S10_S11_S12_S16_S17_S18_S1B_S1C_jS1D_jS1E_S1E_jjS1G_bEUljE0_EEESZ_S10_S11_S18_S1C_S1E_T6_T7_T9_mT8_S1G_bDpT10_ENKUlT_T0_E_clISt17integral_constantIbLb1EES1T_IbLb0EEEEDaS1P_S1Q_EUlS1P_E_NS1_11comp_targetILNS1_3genE5ELNS1_11target_archE942ELNS1_3gpuE9ELNS1_3repE0EEENS1_30default_config_static_selectorELNS0_4arch9wavefront6targetE0EEEvS12_.uses_flat_scratch, 0
	.set _ZN7rocprim17ROCPRIM_400000_NS6detail17trampoline_kernelINS0_13select_configILj256ELj13ELNS0_17block_load_methodE3ELS4_3ELS4_3ELNS0_20block_scan_algorithmE0ELj4294967295EEENS1_25partition_config_selectorILNS1_17partition_subalgoE4EjNS0_10empty_typeEbEEZZNS1_14partition_implILS8_4ELb0ES6_15HIP_vector_typeIjLj2EENS0_17counting_iteratorIjlEEPS9_SG_NS0_5tupleIJPjSI_NS0_16reverse_iteratorISI_EEEEENSH_IJSG_SG_SG_EEES9_SI_JZNS1_25segmented_radix_sort_implINS0_14default_configELb1EPKbPbPKlPlN2at6native12_GLOBAL__N_18offset_tEEE10hipError_tPvRmT1_PNSt15iterator_traitsIS12_E10value_typeET2_T3_PNS13_IS18_E10value_typeET4_jRbjT5_S1E_jjP12ihipStream_tbEUljE_ZNSN_ISO_Lb1ESQ_SR_ST_SU_SY_EESZ_S10_S11_S12_S16_S17_S18_S1B_S1C_jS1D_jS1E_S1E_jjS1G_bEUljE0_EEESZ_S10_S11_S18_S1C_S1E_T6_T7_T9_mT8_S1G_bDpT10_ENKUlT_T0_E_clISt17integral_constantIbLb1EES1T_IbLb0EEEEDaS1P_S1Q_EUlS1P_E_NS1_11comp_targetILNS1_3genE5ELNS1_11target_archE942ELNS1_3gpuE9ELNS1_3repE0EEENS1_30default_config_static_selectorELNS0_4arch9wavefront6targetE0EEEvS12_.has_dyn_sized_stack, 0
	.set _ZN7rocprim17ROCPRIM_400000_NS6detail17trampoline_kernelINS0_13select_configILj256ELj13ELNS0_17block_load_methodE3ELS4_3ELS4_3ELNS0_20block_scan_algorithmE0ELj4294967295EEENS1_25partition_config_selectorILNS1_17partition_subalgoE4EjNS0_10empty_typeEbEEZZNS1_14partition_implILS8_4ELb0ES6_15HIP_vector_typeIjLj2EENS0_17counting_iteratorIjlEEPS9_SG_NS0_5tupleIJPjSI_NS0_16reverse_iteratorISI_EEEEENSH_IJSG_SG_SG_EEES9_SI_JZNS1_25segmented_radix_sort_implINS0_14default_configELb1EPKbPbPKlPlN2at6native12_GLOBAL__N_18offset_tEEE10hipError_tPvRmT1_PNSt15iterator_traitsIS12_E10value_typeET2_T3_PNS13_IS18_E10value_typeET4_jRbjT5_S1E_jjP12ihipStream_tbEUljE_ZNSN_ISO_Lb1ESQ_SR_ST_SU_SY_EESZ_S10_S11_S12_S16_S17_S18_S1B_S1C_jS1D_jS1E_S1E_jjS1G_bEUljE0_EEESZ_S10_S11_S18_S1C_S1E_T6_T7_T9_mT8_S1G_bDpT10_ENKUlT_T0_E_clISt17integral_constantIbLb1EES1T_IbLb0EEEEDaS1P_S1Q_EUlS1P_E_NS1_11comp_targetILNS1_3genE5ELNS1_11target_archE942ELNS1_3gpuE9ELNS1_3repE0EEENS1_30default_config_static_selectorELNS0_4arch9wavefront6targetE0EEEvS12_.has_recursion, 0
	.set _ZN7rocprim17ROCPRIM_400000_NS6detail17trampoline_kernelINS0_13select_configILj256ELj13ELNS0_17block_load_methodE3ELS4_3ELS4_3ELNS0_20block_scan_algorithmE0ELj4294967295EEENS1_25partition_config_selectorILNS1_17partition_subalgoE4EjNS0_10empty_typeEbEEZZNS1_14partition_implILS8_4ELb0ES6_15HIP_vector_typeIjLj2EENS0_17counting_iteratorIjlEEPS9_SG_NS0_5tupleIJPjSI_NS0_16reverse_iteratorISI_EEEEENSH_IJSG_SG_SG_EEES9_SI_JZNS1_25segmented_radix_sort_implINS0_14default_configELb1EPKbPbPKlPlN2at6native12_GLOBAL__N_18offset_tEEE10hipError_tPvRmT1_PNSt15iterator_traitsIS12_E10value_typeET2_T3_PNS13_IS18_E10value_typeET4_jRbjT5_S1E_jjP12ihipStream_tbEUljE_ZNSN_ISO_Lb1ESQ_SR_ST_SU_SY_EESZ_S10_S11_S12_S16_S17_S18_S1B_S1C_jS1D_jS1E_S1E_jjS1G_bEUljE0_EEESZ_S10_S11_S18_S1C_S1E_T6_T7_T9_mT8_S1G_bDpT10_ENKUlT_T0_E_clISt17integral_constantIbLb1EES1T_IbLb0EEEEDaS1P_S1Q_EUlS1P_E_NS1_11comp_targetILNS1_3genE5ELNS1_11target_archE942ELNS1_3gpuE9ELNS1_3repE0EEENS1_30default_config_static_selectorELNS0_4arch9wavefront6targetE0EEEvS12_.has_indirect_call, 0
	.section	.AMDGPU.csdata,"",@progbits
; Kernel info:
; codeLenInByte = 0
; TotalNumSgprs: 0
; NumVgprs: 0
; ScratchSize: 0
; MemoryBound: 0
; FloatMode: 240
; IeeeMode: 1
; LDSByteSize: 0 bytes/workgroup (compile time only)
; SGPRBlocks: 0
; VGPRBlocks: 0
; NumSGPRsForWavesPerEU: 1
; NumVGPRsForWavesPerEU: 1
; Occupancy: 16
; WaveLimiterHint : 0
; COMPUTE_PGM_RSRC2:SCRATCH_EN: 0
; COMPUTE_PGM_RSRC2:USER_SGPR: 2
; COMPUTE_PGM_RSRC2:TRAP_HANDLER: 0
; COMPUTE_PGM_RSRC2:TGID_X_EN: 1
; COMPUTE_PGM_RSRC2:TGID_Y_EN: 0
; COMPUTE_PGM_RSRC2:TGID_Z_EN: 0
; COMPUTE_PGM_RSRC2:TIDIG_COMP_CNT: 0
	.section	.text._ZN7rocprim17ROCPRIM_400000_NS6detail17trampoline_kernelINS0_13select_configILj256ELj13ELNS0_17block_load_methodE3ELS4_3ELS4_3ELNS0_20block_scan_algorithmE0ELj4294967295EEENS1_25partition_config_selectorILNS1_17partition_subalgoE4EjNS0_10empty_typeEbEEZZNS1_14partition_implILS8_4ELb0ES6_15HIP_vector_typeIjLj2EENS0_17counting_iteratorIjlEEPS9_SG_NS0_5tupleIJPjSI_NS0_16reverse_iteratorISI_EEEEENSH_IJSG_SG_SG_EEES9_SI_JZNS1_25segmented_radix_sort_implINS0_14default_configELb1EPKbPbPKlPlN2at6native12_GLOBAL__N_18offset_tEEE10hipError_tPvRmT1_PNSt15iterator_traitsIS12_E10value_typeET2_T3_PNS13_IS18_E10value_typeET4_jRbjT5_S1E_jjP12ihipStream_tbEUljE_ZNSN_ISO_Lb1ESQ_SR_ST_SU_SY_EESZ_S10_S11_S12_S16_S17_S18_S1B_S1C_jS1D_jS1E_S1E_jjS1G_bEUljE0_EEESZ_S10_S11_S18_S1C_S1E_T6_T7_T9_mT8_S1G_bDpT10_ENKUlT_T0_E_clISt17integral_constantIbLb1EES1T_IbLb0EEEEDaS1P_S1Q_EUlS1P_E_NS1_11comp_targetILNS1_3genE4ELNS1_11target_archE910ELNS1_3gpuE8ELNS1_3repE0EEENS1_30default_config_static_selectorELNS0_4arch9wavefront6targetE0EEEvS12_,"axG",@progbits,_ZN7rocprim17ROCPRIM_400000_NS6detail17trampoline_kernelINS0_13select_configILj256ELj13ELNS0_17block_load_methodE3ELS4_3ELS4_3ELNS0_20block_scan_algorithmE0ELj4294967295EEENS1_25partition_config_selectorILNS1_17partition_subalgoE4EjNS0_10empty_typeEbEEZZNS1_14partition_implILS8_4ELb0ES6_15HIP_vector_typeIjLj2EENS0_17counting_iteratorIjlEEPS9_SG_NS0_5tupleIJPjSI_NS0_16reverse_iteratorISI_EEEEENSH_IJSG_SG_SG_EEES9_SI_JZNS1_25segmented_radix_sort_implINS0_14default_configELb1EPKbPbPKlPlN2at6native12_GLOBAL__N_18offset_tEEE10hipError_tPvRmT1_PNSt15iterator_traitsIS12_E10value_typeET2_T3_PNS13_IS18_E10value_typeET4_jRbjT5_S1E_jjP12ihipStream_tbEUljE_ZNSN_ISO_Lb1ESQ_SR_ST_SU_SY_EESZ_S10_S11_S12_S16_S17_S18_S1B_S1C_jS1D_jS1E_S1E_jjS1G_bEUljE0_EEESZ_S10_S11_S18_S1C_S1E_T6_T7_T9_mT8_S1G_bDpT10_ENKUlT_T0_E_clISt17integral_constantIbLb1EES1T_IbLb0EEEEDaS1P_S1Q_EUlS1P_E_NS1_11comp_targetILNS1_3genE4ELNS1_11target_archE910ELNS1_3gpuE8ELNS1_3repE0EEENS1_30default_config_static_selectorELNS0_4arch9wavefront6targetE0EEEvS12_,comdat
	.globl	_ZN7rocprim17ROCPRIM_400000_NS6detail17trampoline_kernelINS0_13select_configILj256ELj13ELNS0_17block_load_methodE3ELS4_3ELS4_3ELNS0_20block_scan_algorithmE0ELj4294967295EEENS1_25partition_config_selectorILNS1_17partition_subalgoE4EjNS0_10empty_typeEbEEZZNS1_14partition_implILS8_4ELb0ES6_15HIP_vector_typeIjLj2EENS0_17counting_iteratorIjlEEPS9_SG_NS0_5tupleIJPjSI_NS0_16reverse_iteratorISI_EEEEENSH_IJSG_SG_SG_EEES9_SI_JZNS1_25segmented_radix_sort_implINS0_14default_configELb1EPKbPbPKlPlN2at6native12_GLOBAL__N_18offset_tEEE10hipError_tPvRmT1_PNSt15iterator_traitsIS12_E10value_typeET2_T3_PNS13_IS18_E10value_typeET4_jRbjT5_S1E_jjP12ihipStream_tbEUljE_ZNSN_ISO_Lb1ESQ_SR_ST_SU_SY_EESZ_S10_S11_S12_S16_S17_S18_S1B_S1C_jS1D_jS1E_S1E_jjS1G_bEUljE0_EEESZ_S10_S11_S18_S1C_S1E_T6_T7_T9_mT8_S1G_bDpT10_ENKUlT_T0_E_clISt17integral_constantIbLb1EES1T_IbLb0EEEEDaS1P_S1Q_EUlS1P_E_NS1_11comp_targetILNS1_3genE4ELNS1_11target_archE910ELNS1_3gpuE8ELNS1_3repE0EEENS1_30default_config_static_selectorELNS0_4arch9wavefront6targetE0EEEvS12_ ; -- Begin function _ZN7rocprim17ROCPRIM_400000_NS6detail17trampoline_kernelINS0_13select_configILj256ELj13ELNS0_17block_load_methodE3ELS4_3ELS4_3ELNS0_20block_scan_algorithmE0ELj4294967295EEENS1_25partition_config_selectorILNS1_17partition_subalgoE4EjNS0_10empty_typeEbEEZZNS1_14partition_implILS8_4ELb0ES6_15HIP_vector_typeIjLj2EENS0_17counting_iteratorIjlEEPS9_SG_NS0_5tupleIJPjSI_NS0_16reverse_iteratorISI_EEEEENSH_IJSG_SG_SG_EEES9_SI_JZNS1_25segmented_radix_sort_implINS0_14default_configELb1EPKbPbPKlPlN2at6native12_GLOBAL__N_18offset_tEEE10hipError_tPvRmT1_PNSt15iterator_traitsIS12_E10value_typeET2_T3_PNS13_IS18_E10value_typeET4_jRbjT5_S1E_jjP12ihipStream_tbEUljE_ZNSN_ISO_Lb1ESQ_SR_ST_SU_SY_EESZ_S10_S11_S12_S16_S17_S18_S1B_S1C_jS1D_jS1E_S1E_jjS1G_bEUljE0_EEESZ_S10_S11_S18_S1C_S1E_T6_T7_T9_mT8_S1G_bDpT10_ENKUlT_T0_E_clISt17integral_constantIbLb1EES1T_IbLb0EEEEDaS1P_S1Q_EUlS1P_E_NS1_11comp_targetILNS1_3genE4ELNS1_11target_archE910ELNS1_3gpuE8ELNS1_3repE0EEENS1_30default_config_static_selectorELNS0_4arch9wavefront6targetE0EEEvS12_
	.p2align	8
	.type	_ZN7rocprim17ROCPRIM_400000_NS6detail17trampoline_kernelINS0_13select_configILj256ELj13ELNS0_17block_load_methodE3ELS4_3ELS4_3ELNS0_20block_scan_algorithmE0ELj4294967295EEENS1_25partition_config_selectorILNS1_17partition_subalgoE4EjNS0_10empty_typeEbEEZZNS1_14partition_implILS8_4ELb0ES6_15HIP_vector_typeIjLj2EENS0_17counting_iteratorIjlEEPS9_SG_NS0_5tupleIJPjSI_NS0_16reverse_iteratorISI_EEEEENSH_IJSG_SG_SG_EEES9_SI_JZNS1_25segmented_radix_sort_implINS0_14default_configELb1EPKbPbPKlPlN2at6native12_GLOBAL__N_18offset_tEEE10hipError_tPvRmT1_PNSt15iterator_traitsIS12_E10value_typeET2_T3_PNS13_IS18_E10value_typeET4_jRbjT5_S1E_jjP12ihipStream_tbEUljE_ZNSN_ISO_Lb1ESQ_SR_ST_SU_SY_EESZ_S10_S11_S12_S16_S17_S18_S1B_S1C_jS1D_jS1E_S1E_jjS1G_bEUljE0_EEESZ_S10_S11_S18_S1C_S1E_T6_T7_T9_mT8_S1G_bDpT10_ENKUlT_T0_E_clISt17integral_constantIbLb1EES1T_IbLb0EEEEDaS1P_S1Q_EUlS1P_E_NS1_11comp_targetILNS1_3genE4ELNS1_11target_archE910ELNS1_3gpuE8ELNS1_3repE0EEENS1_30default_config_static_selectorELNS0_4arch9wavefront6targetE0EEEvS12_,@function
_ZN7rocprim17ROCPRIM_400000_NS6detail17trampoline_kernelINS0_13select_configILj256ELj13ELNS0_17block_load_methodE3ELS4_3ELS4_3ELNS0_20block_scan_algorithmE0ELj4294967295EEENS1_25partition_config_selectorILNS1_17partition_subalgoE4EjNS0_10empty_typeEbEEZZNS1_14partition_implILS8_4ELb0ES6_15HIP_vector_typeIjLj2EENS0_17counting_iteratorIjlEEPS9_SG_NS0_5tupleIJPjSI_NS0_16reverse_iteratorISI_EEEEENSH_IJSG_SG_SG_EEES9_SI_JZNS1_25segmented_radix_sort_implINS0_14default_configELb1EPKbPbPKlPlN2at6native12_GLOBAL__N_18offset_tEEE10hipError_tPvRmT1_PNSt15iterator_traitsIS12_E10value_typeET2_T3_PNS13_IS18_E10value_typeET4_jRbjT5_S1E_jjP12ihipStream_tbEUljE_ZNSN_ISO_Lb1ESQ_SR_ST_SU_SY_EESZ_S10_S11_S12_S16_S17_S18_S1B_S1C_jS1D_jS1E_S1E_jjS1G_bEUljE0_EEESZ_S10_S11_S18_S1C_S1E_T6_T7_T9_mT8_S1G_bDpT10_ENKUlT_T0_E_clISt17integral_constantIbLb1EES1T_IbLb0EEEEDaS1P_S1Q_EUlS1P_E_NS1_11comp_targetILNS1_3genE4ELNS1_11target_archE910ELNS1_3gpuE8ELNS1_3repE0EEENS1_30default_config_static_selectorELNS0_4arch9wavefront6targetE0EEEvS12_: ; @_ZN7rocprim17ROCPRIM_400000_NS6detail17trampoline_kernelINS0_13select_configILj256ELj13ELNS0_17block_load_methodE3ELS4_3ELS4_3ELNS0_20block_scan_algorithmE0ELj4294967295EEENS1_25partition_config_selectorILNS1_17partition_subalgoE4EjNS0_10empty_typeEbEEZZNS1_14partition_implILS8_4ELb0ES6_15HIP_vector_typeIjLj2EENS0_17counting_iteratorIjlEEPS9_SG_NS0_5tupleIJPjSI_NS0_16reverse_iteratorISI_EEEEENSH_IJSG_SG_SG_EEES9_SI_JZNS1_25segmented_radix_sort_implINS0_14default_configELb1EPKbPbPKlPlN2at6native12_GLOBAL__N_18offset_tEEE10hipError_tPvRmT1_PNSt15iterator_traitsIS12_E10value_typeET2_T3_PNS13_IS18_E10value_typeET4_jRbjT5_S1E_jjP12ihipStream_tbEUljE_ZNSN_ISO_Lb1ESQ_SR_ST_SU_SY_EESZ_S10_S11_S12_S16_S17_S18_S1B_S1C_jS1D_jS1E_S1E_jjS1G_bEUljE0_EEESZ_S10_S11_S18_S1C_S1E_T6_T7_T9_mT8_S1G_bDpT10_ENKUlT_T0_E_clISt17integral_constantIbLb1EES1T_IbLb0EEEEDaS1P_S1Q_EUlS1P_E_NS1_11comp_targetILNS1_3genE4ELNS1_11target_archE910ELNS1_3gpuE8ELNS1_3repE0EEENS1_30default_config_static_selectorELNS0_4arch9wavefront6targetE0EEEvS12_
; %bb.0:
	.section	.rodata,"a",@progbits
	.p2align	6, 0x0
	.amdhsa_kernel _ZN7rocprim17ROCPRIM_400000_NS6detail17trampoline_kernelINS0_13select_configILj256ELj13ELNS0_17block_load_methodE3ELS4_3ELS4_3ELNS0_20block_scan_algorithmE0ELj4294967295EEENS1_25partition_config_selectorILNS1_17partition_subalgoE4EjNS0_10empty_typeEbEEZZNS1_14partition_implILS8_4ELb0ES6_15HIP_vector_typeIjLj2EENS0_17counting_iteratorIjlEEPS9_SG_NS0_5tupleIJPjSI_NS0_16reverse_iteratorISI_EEEEENSH_IJSG_SG_SG_EEES9_SI_JZNS1_25segmented_radix_sort_implINS0_14default_configELb1EPKbPbPKlPlN2at6native12_GLOBAL__N_18offset_tEEE10hipError_tPvRmT1_PNSt15iterator_traitsIS12_E10value_typeET2_T3_PNS13_IS18_E10value_typeET4_jRbjT5_S1E_jjP12ihipStream_tbEUljE_ZNSN_ISO_Lb1ESQ_SR_ST_SU_SY_EESZ_S10_S11_S12_S16_S17_S18_S1B_S1C_jS1D_jS1E_S1E_jjS1G_bEUljE0_EEESZ_S10_S11_S18_S1C_S1E_T6_T7_T9_mT8_S1G_bDpT10_ENKUlT_T0_E_clISt17integral_constantIbLb1EES1T_IbLb0EEEEDaS1P_S1Q_EUlS1P_E_NS1_11comp_targetILNS1_3genE4ELNS1_11target_archE910ELNS1_3gpuE8ELNS1_3repE0EEENS1_30default_config_static_selectorELNS0_4arch9wavefront6targetE0EEEvS12_
		.amdhsa_group_segment_fixed_size 0
		.amdhsa_private_segment_fixed_size 0
		.amdhsa_kernarg_size 176
		.amdhsa_user_sgpr_count 2
		.amdhsa_user_sgpr_dispatch_ptr 0
		.amdhsa_user_sgpr_queue_ptr 0
		.amdhsa_user_sgpr_kernarg_segment_ptr 1
		.amdhsa_user_sgpr_dispatch_id 0
		.amdhsa_user_sgpr_private_segment_size 0
		.amdhsa_wavefront_size32 1
		.amdhsa_uses_dynamic_stack 0
		.amdhsa_enable_private_segment 0
		.amdhsa_system_sgpr_workgroup_id_x 1
		.amdhsa_system_sgpr_workgroup_id_y 0
		.amdhsa_system_sgpr_workgroup_id_z 0
		.amdhsa_system_sgpr_workgroup_info 0
		.amdhsa_system_vgpr_workitem_id 0
		.amdhsa_next_free_vgpr 1
		.amdhsa_next_free_sgpr 1
		.amdhsa_reserve_vcc 0
		.amdhsa_float_round_mode_32 0
		.amdhsa_float_round_mode_16_64 0
		.amdhsa_float_denorm_mode_32 3
		.amdhsa_float_denorm_mode_16_64 3
		.amdhsa_fp16_overflow 0
		.amdhsa_workgroup_processor_mode 1
		.amdhsa_memory_ordered 1
		.amdhsa_forward_progress 1
		.amdhsa_inst_pref_size 0
		.amdhsa_round_robin_scheduling 0
		.amdhsa_exception_fp_ieee_invalid_op 0
		.amdhsa_exception_fp_denorm_src 0
		.amdhsa_exception_fp_ieee_div_zero 0
		.amdhsa_exception_fp_ieee_overflow 0
		.amdhsa_exception_fp_ieee_underflow 0
		.amdhsa_exception_fp_ieee_inexact 0
		.amdhsa_exception_int_div_zero 0
	.end_amdhsa_kernel
	.section	.text._ZN7rocprim17ROCPRIM_400000_NS6detail17trampoline_kernelINS0_13select_configILj256ELj13ELNS0_17block_load_methodE3ELS4_3ELS4_3ELNS0_20block_scan_algorithmE0ELj4294967295EEENS1_25partition_config_selectorILNS1_17partition_subalgoE4EjNS0_10empty_typeEbEEZZNS1_14partition_implILS8_4ELb0ES6_15HIP_vector_typeIjLj2EENS0_17counting_iteratorIjlEEPS9_SG_NS0_5tupleIJPjSI_NS0_16reverse_iteratorISI_EEEEENSH_IJSG_SG_SG_EEES9_SI_JZNS1_25segmented_radix_sort_implINS0_14default_configELb1EPKbPbPKlPlN2at6native12_GLOBAL__N_18offset_tEEE10hipError_tPvRmT1_PNSt15iterator_traitsIS12_E10value_typeET2_T3_PNS13_IS18_E10value_typeET4_jRbjT5_S1E_jjP12ihipStream_tbEUljE_ZNSN_ISO_Lb1ESQ_SR_ST_SU_SY_EESZ_S10_S11_S12_S16_S17_S18_S1B_S1C_jS1D_jS1E_S1E_jjS1G_bEUljE0_EEESZ_S10_S11_S18_S1C_S1E_T6_T7_T9_mT8_S1G_bDpT10_ENKUlT_T0_E_clISt17integral_constantIbLb1EES1T_IbLb0EEEEDaS1P_S1Q_EUlS1P_E_NS1_11comp_targetILNS1_3genE4ELNS1_11target_archE910ELNS1_3gpuE8ELNS1_3repE0EEENS1_30default_config_static_selectorELNS0_4arch9wavefront6targetE0EEEvS12_,"axG",@progbits,_ZN7rocprim17ROCPRIM_400000_NS6detail17trampoline_kernelINS0_13select_configILj256ELj13ELNS0_17block_load_methodE3ELS4_3ELS4_3ELNS0_20block_scan_algorithmE0ELj4294967295EEENS1_25partition_config_selectorILNS1_17partition_subalgoE4EjNS0_10empty_typeEbEEZZNS1_14partition_implILS8_4ELb0ES6_15HIP_vector_typeIjLj2EENS0_17counting_iteratorIjlEEPS9_SG_NS0_5tupleIJPjSI_NS0_16reverse_iteratorISI_EEEEENSH_IJSG_SG_SG_EEES9_SI_JZNS1_25segmented_radix_sort_implINS0_14default_configELb1EPKbPbPKlPlN2at6native12_GLOBAL__N_18offset_tEEE10hipError_tPvRmT1_PNSt15iterator_traitsIS12_E10value_typeET2_T3_PNS13_IS18_E10value_typeET4_jRbjT5_S1E_jjP12ihipStream_tbEUljE_ZNSN_ISO_Lb1ESQ_SR_ST_SU_SY_EESZ_S10_S11_S12_S16_S17_S18_S1B_S1C_jS1D_jS1E_S1E_jjS1G_bEUljE0_EEESZ_S10_S11_S18_S1C_S1E_T6_T7_T9_mT8_S1G_bDpT10_ENKUlT_T0_E_clISt17integral_constantIbLb1EES1T_IbLb0EEEEDaS1P_S1Q_EUlS1P_E_NS1_11comp_targetILNS1_3genE4ELNS1_11target_archE910ELNS1_3gpuE8ELNS1_3repE0EEENS1_30default_config_static_selectorELNS0_4arch9wavefront6targetE0EEEvS12_,comdat
.Lfunc_end1486:
	.size	_ZN7rocprim17ROCPRIM_400000_NS6detail17trampoline_kernelINS0_13select_configILj256ELj13ELNS0_17block_load_methodE3ELS4_3ELS4_3ELNS0_20block_scan_algorithmE0ELj4294967295EEENS1_25partition_config_selectorILNS1_17partition_subalgoE4EjNS0_10empty_typeEbEEZZNS1_14partition_implILS8_4ELb0ES6_15HIP_vector_typeIjLj2EENS0_17counting_iteratorIjlEEPS9_SG_NS0_5tupleIJPjSI_NS0_16reverse_iteratorISI_EEEEENSH_IJSG_SG_SG_EEES9_SI_JZNS1_25segmented_radix_sort_implINS0_14default_configELb1EPKbPbPKlPlN2at6native12_GLOBAL__N_18offset_tEEE10hipError_tPvRmT1_PNSt15iterator_traitsIS12_E10value_typeET2_T3_PNS13_IS18_E10value_typeET4_jRbjT5_S1E_jjP12ihipStream_tbEUljE_ZNSN_ISO_Lb1ESQ_SR_ST_SU_SY_EESZ_S10_S11_S12_S16_S17_S18_S1B_S1C_jS1D_jS1E_S1E_jjS1G_bEUljE0_EEESZ_S10_S11_S18_S1C_S1E_T6_T7_T9_mT8_S1G_bDpT10_ENKUlT_T0_E_clISt17integral_constantIbLb1EES1T_IbLb0EEEEDaS1P_S1Q_EUlS1P_E_NS1_11comp_targetILNS1_3genE4ELNS1_11target_archE910ELNS1_3gpuE8ELNS1_3repE0EEENS1_30default_config_static_selectorELNS0_4arch9wavefront6targetE0EEEvS12_, .Lfunc_end1486-_ZN7rocprim17ROCPRIM_400000_NS6detail17trampoline_kernelINS0_13select_configILj256ELj13ELNS0_17block_load_methodE3ELS4_3ELS4_3ELNS0_20block_scan_algorithmE0ELj4294967295EEENS1_25partition_config_selectorILNS1_17partition_subalgoE4EjNS0_10empty_typeEbEEZZNS1_14partition_implILS8_4ELb0ES6_15HIP_vector_typeIjLj2EENS0_17counting_iteratorIjlEEPS9_SG_NS0_5tupleIJPjSI_NS0_16reverse_iteratorISI_EEEEENSH_IJSG_SG_SG_EEES9_SI_JZNS1_25segmented_radix_sort_implINS0_14default_configELb1EPKbPbPKlPlN2at6native12_GLOBAL__N_18offset_tEEE10hipError_tPvRmT1_PNSt15iterator_traitsIS12_E10value_typeET2_T3_PNS13_IS18_E10value_typeET4_jRbjT5_S1E_jjP12ihipStream_tbEUljE_ZNSN_ISO_Lb1ESQ_SR_ST_SU_SY_EESZ_S10_S11_S12_S16_S17_S18_S1B_S1C_jS1D_jS1E_S1E_jjS1G_bEUljE0_EEESZ_S10_S11_S18_S1C_S1E_T6_T7_T9_mT8_S1G_bDpT10_ENKUlT_T0_E_clISt17integral_constantIbLb1EES1T_IbLb0EEEEDaS1P_S1Q_EUlS1P_E_NS1_11comp_targetILNS1_3genE4ELNS1_11target_archE910ELNS1_3gpuE8ELNS1_3repE0EEENS1_30default_config_static_selectorELNS0_4arch9wavefront6targetE0EEEvS12_
                                        ; -- End function
	.set _ZN7rocprim17ROCPRIM_400000_NS6detail17trampoline_kernelINS0_13select_configILj256ELj13ELNS0_17block_load_methodE3ELS4_3ELS4_3ELNS0_20block_scan_algorithmE0ELj4294967295EEENS1_25partition_config_selectorILNS1_17partition_subalgoE4EjNS0_10empty_typeEbEEZZNS1_14partition_implILS8_4ELb0ES6_15HIP_vector_typeIjLj2EENS0_17counting_iteratorIjlEEPS9_SG_NS0_5tupleIJPjSI_NS0_16reverse_iteratorISI_EEEEENSH_IJSG_SG_SG_EEES9_SI_JZNS1_25segmented_radix_sort_implINS0_14default_configELb1EPKbPbPKlPlN2at6native12_GLOBAL__N_18offset_tEEE10hipError_tPvRmT1_PNSt15iterator_traitsIS12_E10value_typeET2_T3_PNS13_IS18_E10value_typeET4_jRbjT5_S1E_jjP12ihipStream_tbEUljE_ZNSN_ISO_Lb1ESQ_SR_ST_SU_SY_EESZ_S10_S11_S12_S16_S17_S18_S1B_S1C_jS1D_jS1E_S1E_jjS1G_bEUljE0_EEESZ_S10_S11_S18_S1C_S1E_T6_T7_T9_mT8_S1G_bDpT10_ENKUlT_T0_E_clISt17integral_constantIbLb1EES1T_IbLb0EEEEDaS1P_S1Q_EUlS1P_E_NS1_11comp_targetILNS1_3genE4ELNS1_11target_archE910ELNS1_3gpuE8ELNS1_3repE0EEENS1_30default_config_static_selectorELNS0_4arch9wavefront6targetE0EEEvS12_.num_vgpr, 0
	.set _ZN7rocprim17ROCPRIM_400000_NS6detail17trampoline_kernelINS0_13select_configILj256ELj13ELNS0_17block_load_methodE3ELS4_3ELS4_3ELNS0_20block_scan_algorithmE0ELj4294967295EEENS1_25partition_config_selectorILNS1_17partition_subalgoE4EjNS0_10empty_typeEbEEZZNS1_14partition_implILS8_4ELb0ES6_15HIP_vector_typeIjLj2EENS0_17counting_iteratorIjlEEPS9_SG_NS0_5tupleIJPjSI_NS0_16reverse_iteratorISI_EEEEENSH_IJSG_SG_SG_EEES9_SI_JZNS1_25segmented_radix_sort_implINS0_14default_configELb1EPKbPbPKlPlN2at6native12_GLOBAL__N_18offset_tEEE10hipError_tPvRmT1_PNSt15iterator_traitsIS12_E10value_typeET2_T3_PNS13_IS18_E10value_typeET4_jRbjT5_S1E_jjP12ihipStream_tbEUljE_ZNSN_ISO_Lb1ESQ_SR_ST_SU_SY_EESZ_S10_S11_S12_S16_S17_S18_S1B_S1C_jS1D_jS1E_S1E_jjS1G_bEUljE0_EEESZ_S10_S11_S18_S1C_S1E_T6_T7_T9_mT8_S1G_bDpT10_ENKUlT_T0_E_clISt17integral_constantIbLb1EES1T_IbLb0EEEEDaS1P_S1Q_EUlS1P_E_NS1_11comp_targetILNS1_3genE4ELNS1_11target_archE910ELNS1_3gpuE8ELNS1_3repE0EEENS1_30default_config_static_selectorELNS0_4arch9wavefront6targetE0EEEvS12_.num_agpr, 0
	.set _ZN7rocprim17ROCPRIM_400000_NS6detail17trampoline_kernelINS0_13select_configILj256ELj13ELNS0_17block_load_methodE3ELS4_3ELS4_3ELNS0_20block_scan_algorithmE0ELj4294967295EEENS1_25partition_config_selectorILNS1_17partition_subalgoE4EjNS0_10empty_typeEbEEZZNS1_14partition_implILS8_4ELb0ES6_15HIP_vector_typeIjLj2EENS0_17counting_iteratorIjlEEPS9_SG_NS0_5tupleIJPjSI_NS0_16reverse_iteratorISI_EEEEENSH_IJSG_SG_SG_EEES9_SI_JZNS1_25segmented_radix_sort_implINS0_14default_configELb1EPKbPbPKlPlN2at6native12_GLOBAL__N_18offset_tEEE10hipError_tPvRmT1_PNSt15iterator_traitsIS12_E10value_typeET2_T3_PNS13_IS18_E10value_typeET4_jRbjT5_S1E_jjP12ihipStream_tbEUljE_ZNSN_ISO_Lb1ESQ_SR_ST_SU_SY_EESZ_S10_S11_S12_S16_S17_S18_S1B_S1C_jS1D_jS1E_S1E_jjS1G_bEUljE0_EEESZ_S10_S11_S18_S1C_S1E_T6_T7_T9_mT8_S1G_bDpT10_ENKUlT_T0_E_clISt17integral_constantIbLb1EES1T_IbLb0EEEEDaS1P_S1Q_EUlS1P_E_NS1_11comp_targetILNS1_3genE4ELNS1_11target_archE910ELNS1_3gpuE8ELNS1_3repE0EEENS1_30default_config_static_selectorELNS0_4arch9wavefront6targetE0EEEvS12_.numbered_sgpr, 0
	.set _ZN7rocprim17ROCPRIM_400000_NS6detail17trampoline_kernelINS0_13select_configILj256ELj13ELNS0_17block_load_methodE3ELS4_3ELS4_3ELNS0_20block_scan_algorithmE0ELj4294967295EEENS1_25partition_config_selectorILNS1_17partition_subalgoE4EjNS0_10empty_typeEbEEZZNS1_14partition_implILS8_4ELb0ES6_15HIP_vector_typeIjLj2EENS0_17counting_iteratorIjlEEPS9_SG_NS0_5tupleIJPjSI_NS0_16reverse_iteratorISI_EEEEENSH_IJSG_SG_SG_EEES9_SI_JZNS1_25segmented_radix_sort_implINS0_14default_configELb1EPKbPbPKlPlN2at6native12_GLOBAL__N_18offset_tEEE10hipError_tPvRmT1_PNSt15iterator_traitsIS12_E10value_typeET2_T3_PNS13_IS18_E10value_typeET4_jRbjT5_S1E_jjP12ihipStream_tbEUljE_ZNSN_ISO_Lb1ESQ_SR_ST_SU_SY_EESZ_S10_S11_S12_S16_S17_S18_S1B_S1C_jS1D_jS1E_S1E_jjS1G_bEUljE0_EEESZ_S10_S11_S18_S1C_S1E_T6_T7_T9_mT8_S1G_bDpT10_ENKUlT_T0_E_clISt17integral_constantIbLb1EES1T_IbLb0EEEEDaS1P_S1Q_EUlS1P_E_NS1_11comp_targetILNS1_3genE4ELNS1_11target_archE910ELNS1_3gpuE8ELNS1_3repE0EEENS1_30default_config_static_selectorELNS0_4arch9wavefront6targetE0EEEvS12_.num_named_barrier, 0
	.set _ZN7rocprim17ROCPRIM_400000_NS6detail17trampoline_kernelINS0_13select_configILj256ELj13ELNS0_17block_load_methodE3ELS4_3ELS4_3ELNS0_20block_scan_algorithmE0ELj4294967295EEENS1_25partition_config_selectorILNS1_17partition_subalgoE4EjNS0_10empty_typeEbEEZZNS1_14partition_implILS8_4ELb0ES6_15HIP_vector_typeIjLj2EENS0_17counting_iteratorIjlEEPS9_SG_NS0_5tupleIJPjSI_NS0_16reverse_iteratorISI_EEEEENSH_IJSG_SG_SG_EEES9_SI_JZNS1_25segmented_radix_sort_implINS0_14default_configELb1EPKbPbPKlPlN2at6native12_GLOBAL__N_18offset_tEEE10hipError_tPvRmT1_PNSt15iterator_traitsIS12_E10value_typeET2_T3_PNS13_IS18_E10value_typeET4_jRbjT5_S1E_jjP12ihipStream_tbEUljE_ZNSN_ISO_Lb1ESQ_SR_ST_SU_SY_EESZ_S10_S11_S12_S16_S17_S18_S1B_S1C_jS1D_jS1E_S1E_jjS1G_bEUljE0_EEESZ_S10_S11_S18_S1C_S1E_T6_T7_T9_mT8_S1G_bDpT10_ENKUlT_T0_E_clISt17integral_constantIbLb1EES1T_IbLb0EEEEDaS1P_S1Q_EUlS1P_E_NS1_11comp_targetILNS1_3genE4ELNS1_11target_archE910ELNS1_3gpuE8ELNS1_3repE0EEENS1_30default_config_static_selectorELNS0_4arch9wavefront6targetE0EEEvS12_.private_seg_size, 0
	.set _ZN7rocprim17ROCPRIM_400000_NS6detail17trampoline_kernelINS0_13select_configILj256ELj13ELNS0_17block_load_methodE3ELS4_3ELS4_3ELNS0_20block_scan_algorithmE0ELj4294967295EEENS1_25partition_config_selectorILNS1_17partition_subalgoE4EjNS0_10empty_typeEbEEZZNS1_14partition_implILS8_4ELb0ES6_15HIP_vector_typeIjLj2EENS0_17counting_iteratorIjlEEPS9_SG_NS0_5tupleIJPjSI_NS0_16reverse_iteratorISI_EEEEENSH_IJSG_SG_SG_EEES9_SI_JZNS1_25segmented_radix_sort_implINS0_14default_configELb1EPKbPbPKlPlN2at6native12_GLOBAL__N_18offset_tEEE10hipError_tPvRmT1_PNSt15iterator_traitsIS12_E10value_typeET2_T3_PNS13_IS18_E10value_typeET4_jRbjT5_S1E_jjP12ihipStream_tbEUljE_ZNSN_ISO_Lb1ESQ_SR_ST_SU_SY_EESZ_S10_S11_S12_S16_S17_S18_S1B_S1C_jS1D_jS1E_S1E_jjS1G_bEUljE0_EEESZ_S10_S11_S18_S1C_S1E_T6_T7_T9_mT8_S1G_bDpT10_ENKUlT_T0_E_clISt17integral_constantIbLb1EES1T_IbLb0EEEEDaS1P_S1Q_EUlS1P_E_NS1_11comp_targetILNS1_3genE4ELNS1_11target_archE910ELNS1_3gpuE8ELNS1_3repE0EEENS1_30default_config_static_selectorELNS0_4arch9wavefront6targetE0EEEvS12_.uses_vcc, 0
	.set _ZN7rocprim17ROCPRIM_400000_NS6detail17trampoline_kernelINS0_13select_configILj256ELj13ELNS0_17block_load_methodE3ELS4_3ELS4_3ELNS0_20block_scan_algorithmE0ELj4294967295EEENS1_25partition_config_selectorILNS1_17partition_subalgoE4EjNS0_10empty_typeEbEEZZNS1_14partition_implILS8_4ELb0ES6_15HIP_vector_typeIjLj2EENS0_17counting_iteratorIjlEEPS9_SG_NS0_5tupleIJPjSI_NS0_16reverse_iteratorISI_EEEEENSH_IJSG_SG_SG_EEES9_SI_JZNS1_25segmented_radix_sort_implINS0_14default_configELb1EPKbPbPKlPlN2at6native12_GLOBAL__N_18offset_tEEE10hipError_tPvRmT1_PNSt15iterator_traitsIS12_E10value_typeET2_T3_PNS13_IS18_E10value_typeET4_jRbjT5_S1E_jjP12ihipStream_tbEUljE_ZNSN_ISO_Lb1ESQ_SR_ST_SU_SY_EESZ_S10_S11_S12_S16_S17_S18_S1B_S1C_jS1D_jS1E_S1E_jjS1G_bEUljE0_EEESZ_S10_S11_S18_S1C_S1E_T6_T7_T9_mT8_S1G_bDpT10_ENKUlT_T0_E_clISt17integral_constantIbLb1EES1T_IbLb0EEEEDaS1P_S1Q_EUlS1P_E_NS1_11comp_targetILNS1_3genE4ELNS1_11target_archE910ELNS1_3gpuE8ELNS1_3repE0EEENS1_30default_config_static_selectorELNS0_4arch9wavefront6targetE0EEEvS12_.uses_flat_scratch, 0
	.set _ZN7rocprim17ROCPRIM_400000_NS6detail17trampoline_kernelINS0_13select_configILj256ELj13ELNS0_17block_load_methodE3ELS4_3ELS4_3ELNS0_20block_scan_algorithmE0ELj4294967295EEENS1_25partition_config_selectorILNS1_17partition_subalgoE4EjNS0_10empty_typeEbEEZZNS1_14partition_implILS8_4ELb0ES6_15HIP_vector_typeIjLj2EENS0_17counting_iteratorIjlEEPS9_SG_NS0_5tupleIJPjSI_NS0_16reverse_iteratorISI_EEEEENSH_IJSG_SG_SG_EEES9_SI_JZNS1_25segmented_radix_sort_implINS0_14default_configELb1EPKbPbPKlPlN2at6native12_GLOBAL__N_18offset_tEEE10hipError_tPvRmT1_PNSt15iterator_traitsIS12_E10value_typeET2_T3_PNS13_IS18_E10value_typeET4_jRbjT5_S1E_jjP12ihipStream_tbEUljE_ZNSN_ISO_Lb1ESQ_SR_ST_SU_SY_EESZ_S10_S11_S12_S16_S17_S18_S1B_S1C_jS1D_jS1E_S1E_jjS1G_bEUljE0_EEESZ_S10_S11_S18_S1C_S1E_T6_T7_T9_mT8_S1G_bDpT10_ENKUlT_T0_E_clISt17integral_constantIbLb1EES1T_IbLb0EEEEDaS1P_S1Q_EUlS1P_E_NS1_11comp_targetILNS1_3genE4ELNS1_11target_archE910ELNS1_3gpuE8ELNS1_3repE0EEENS1_30default_config_static_selectorELNS0_4arch9wavefront6targetE0EEEvS12_.has_dyn_sized_stack, 0
	.set _ZN7rocprim17ROCPRIM_400000_NS6detail17trampoline_kernelINS0_13select_configILj256ELj13ELNS0_17block_load_methodE3ELS4_3ELS4_3ELNS0_20block_scan_algorithmE0ELj4294967295EEENS1_25partition_config_selectorILNS1_17partition_subalgoE4EjNS0_10empty_typeEbEEZZNS1_14partition_implILS8_4ELb0ES6_15HIP_vector_typeIjLj2EENS0_17counting_iteratorIjlEEPS9_SG_NS0_5tupleIJPjSI_NS0_16reverse_iteratorISI_EEEEENSH_IJSG_SG_SG_EEES9_SI_JZNS1_25segmented_radix_sort_implINS0_14default_configELb1EPKbPbPKlPlN2at6native12_GLOBAL__N_18offset_tEEE10hipError_tPvRmT1_PNSt15iterator_traitsIS12_E10value_typeET2_T3_PNS13_IS18_E10value_typeET4_jRbjT5_S1E_jjP12ihipStream_tbEUljE_ZNSN_ISO_Lb1ESQ_SR_ST_SU_SY_EESZ_S10_S11_S12_S16_S17_S18_S1B_S1C_jS1D_jS1E_S1E_jjS1G_bEUljE0_EEESZ_S10_S11_S18_S1C_S1E_T6_T7_T9_mT8_S1G_bDpT10_ENKUlT_T0_E_clISt17integral_constantIbLb1EES1T_IbLb0EEEEDaS1P_S1Q_EUlS1P_E_NS1_11comp_targetILNS1_3genE4ELNS1_11target_archE910ELNS1_3gpuE8ELNS1_3repE0EEENS1_30default_config_static_selectorELNS0_4arch9wavefront6targetE0EEEvS12_.has_recursion, 0
	.set _ZN7rocprim17ROCPRIM_400000_NS6detail17trampoline_kernelINS0_13select_configILj256ELj13ELNS0_17block_load_methodE3ELS4_3ELS4_3ELNS0_20block_scan_algorithmE0ELj4294967295EEENS1_25partition_config_selectorILNS1_17partition_subalgoE4EjNS0_10empty_typeEbEEZZNS1_14partition_implILS8_4ELb0ES6_15HIP_vector_typeIjLj2EENS0_17counting_iteratorIjlEEPS9_SG_NS0_5tupleIJPjSI_NS0_16reverse_iteratorISI_EEEEENSH_IJSG_SG_SG_EEES9_SI_JZNS1_25segmented_radix_sort_implINS0_14default_configELb1EPKbPbPKlPlN2at6native12_GLOBAL__N_18offset_tEEE10hipError_tPvRmT1_PNSt15iterator_traitsIS12_E10value_typeET2_T3_PNS13_IS18_E10value_typeET4_jRbjT5_S1E_jjP12ihipStream_tbEUljE_ZNSN_ISO_Lb1ESQ_SR_ST_SU_SY_EESZ_S10_S11_S12_S16_S17_S18_S1B_S1C_jS1D_jS1E_S1E_jjS1G_bEUljE0_EEESZ_S10_S11_S18_S1C_S1E_T6_T7_T9_mT8_S1G_bDpT10_ENKUlT_T0_E_clISt17integral_constantIbLb1EES1T_IbLb0EEEEDaS1P_S1Q_EUlS1P_E_NS1_11comp_targetILNS1_3genE4ELNS1_11target_archE910ELNS1_3gpuE8ELNS1_3repE0EEENS1_30default_config_static_selectorELNS0_4arch9wavefront6targetE0EEEvS12_.has_indirect_call, 0
	.section	.AMDGPU.csdata,"",@progbits
; Kernel info:
; codeLenInByte = 0
; TotalNumSgprs: 0
; NumVgprs: 0
; ScratchSize: 0
; MemoryBound: 0
; FloatMode: 240
; IeeeMode: 1
; LDSByteSize: 0 bytes/workgroup (compile time only)
; SGPRBlocks: 0
; VGPRBlocks: 0
; NumSGPRsForWavesPerEU: 1
; NumVGPRsForWavesPerEU: 1
; Occupancy: 16
; WaveLimiterHint : 0
; COMPUTE_PGM_RSRC2:SCRATCH_EN: 0
; COMPUTE_PGM_RSRC2:USER_SGPR: 2
; COMPUTE_PGM_RSRC2:TRAP_HANDLER: 0
; COMPUTE_PGM_RSRC2:TGID_X_EN: 1
; COMPUTE_PGM_RSRC2:TGID_Y_EN: 0
; COMPUTE_PGM_RSRC2:TGID_Z_EN: 0
; COMPUTE_PGM_RSRC2:TIDIG_COMP_CNT: 0
	.section	.text._ZN7rocprim17ROCPRIM_400000_NS6detail17trampoline_kernelINS0_13select_configILj256ELj13ELNS0_17block_load_methodE3ELS4_3ELS4_3ELNS0_20block_scan_algorithmE0ELj4294967295EEENS1_25partition_config_selectorILNS1_17partition_subalgoE4EjNS0_10empty_typeEbEEZZNS1_14partition_implILS8_4ELb0ES6_15HIP_vector_typeIjLj2EENS0_17counting_iteratorIjlEEPS9_SG_NS0_5tupleIJPjSI_NS0_16reverse_iteratorISI_EEEEENSH_IJSG_SG_SG_EEES9_SI_JZNS1_25segmented_radix_sort_implINS0_14default_configELb1EPKbPbPKlPlN2at6native12_GLOBAL__N_18offset_tEEE10hipError_tPvRmT1_PNSt15iterator_traitsIS12_E10value_typeET2_T3_PNS13_IS18_E10value_typeET4_jRbjT5_S1E_jjP12ihipStream_tbEUljE_ZNSN_ISO_Lb1ESQ_SR_ST_SU_SY_EESZ_S10_S11_S12_S16_S17_S18_S1B_S1C_jS1D_jS1E_S1E_jjS1G_bEUljE0_EEESZ_S10_S11_S18_S1C_S1E_T6_T7_T9_mT8_S1G_bDpT10_ENKUlT_T0_E_clISt17integral_constantIbLb1EES1T_IbLb0EEEEDaS1P_S1Q_EUlS1P_E_NS1_11comp_targetILNS1_3genE3ELNS1_11target_archE908ELNS1_3gpuE7ELNS1_3repE0EEENS1_30default_config_static_selectorELNS0_4arch9wavefront6targetE0EEEvS12_,"axG",@progbits,_ZN7rocprim17ROCPRIM_400000_NS6detail17trampoline_kernelINS0_13select_configILj256ELj13ELNS0_17block_load_methodE3ELS4_3ELS4_3ELNS0_20block_scan_algorithmE0ELj4294967295EEENS1_25partition_config_selectorILNS1_17partition_subalgoE4EjNS0_10empty_typeEbEEZZNS1_14partition_implILS8_4ELb0ES6_15HIP_vector_typeIjLj2EENS0_17counting_iteratorIjlEEPS9_SG_NS0_5tupleIJPjSI_NS0_16reverse_iteratorISI_EEEEENSH_IJSG_SG_SG_EEES9_SI_JZNS1_25segmented_radix_sort_implINS0_14default_configELb1EPKbPbPKlPlN2at6native12_GLOBAL__N_18offset_tEEE10hipError_tPvRmT1_PNSt15iterator_traitsIS12_E10value_typeET2_T3_PNS13_IS18_E10value_typeET4_jRbjT5_S1E_jjP12ihipStream_tbEUljE_ZNSN_ISO_Lb1ESQ_SR_ST_SU_SY_EESZ_S10_S11_S12_S16_S17_S18_S1B_S1C_jS1D_jS1E_S1E_jjS1G_bEUljE0_EEESZ_S10_S11_S18_S1C_S1E_T6_T7_T9_mT8_S1G_bDpT10_ENKUlT_T0_E_clISt17integral_constantIbLb1EES1T_IbLb0EEEEDaS1P_S1Q_EUlS1P_E_NS1_11comp_targetILNS1_3genE3ELNS1_11target_archE908ELNS1_3gpuE7ELNS1_3repE0EEENS1_30default_config_static_selectorELNS0_4arch9wavefront6targetE0EEEvS12_,comdat
	.globl	_ZN7rocprim17ROCPRIM_400000_NS6detail17trampoline_kernelINS0_13select_configILj256ELj13ELNS0_17block_load_methodE3ELS4_3ELS4_3ELNS0_20block_scan_algorithmE0ELj4294967295EEENS1_25partition_config_selectorILNS1_17partition_subalgoE4EjNS0_10empty_typeEbEEZZNS1_14partition_implILS8_4ELb0ES6_15HIP_vector_typeIjLj2EENS0_17counting_iteratorIjlEEPS9_SG_NS0_5tupleIJPjSI_NS0_16reverse_iteratorISI_EEEEENSH_IJSG_SG_SG_EEES9_SI_JZNS1_25segmented_radix_sort_implINS0_14default_configELb1EPKbPbPKlPlN2at6native12_GLOBAL__N_18offset_tEEE10hipError_tPvRmT1_PNSt15iterator_traitsIS12_E10value_typeET2_T3_PNS13_IS18_E10value_typeET4_jRbjT5_S1E_jjP12ihipStream_tbEUljE_ZNSN_ISO_Lb1ESQ_SR_ST_SU_SY_EESZ_S10_S11_S12_S16_S17_S18_S1B_S1C_jS1D_jS1E_S1E_jjS1G_bEUljE0_EEESZ_S10_S11_S18_S1C_S1E_T6_T7_T9_mT8_S1G_bDpT10_ENKUlT_T0_E_clISt17integral_constantIbLb1EES1T_IbLb0EEEEDaS1P_S1Q_EUlS1P_E_NS1_11comp_targetILNS1_3genE3ELNS1_11target_archE908ELNS1_3gpuE7ELNS1_3repE0EEENS1_30default_config_static_selectorELNS0_4arch9wavefront6targetE0EEEvS12_ ; -- Begin function _ZN7rocprim17ROCPRIM_400000_NS6detail17trampoline_kernelINS0_13select_configILj256ELj13ELNS0_17block_load_methodE3ELS4_3ELS4_3ELNS0_20block_scan_algorithmE0ELj4294967295EEENS1_25partition_config_selectorILNS1_17partition_subalgoE4EjNS0_10empty_typeEbEEZZNS1_14partition_implILS8_4ELb0ES6_15HIP_vector_typeIjLj2EENS0_17counting_iteratorIjlEEPS9_SG_NS0_5tupleIJPjSI_NS0_16reverse_iteratorISI_EEEEENSH_IJSG_SG_SG_EEES9_SI_JZNS1_25segmented_radix_sort_implINS0_14default_configELb1EPKbPbPKlPlN2at6native12_GLOBAL__N_18offset_tEEE10hipError_tPvRmT1_PNSt15iterator_traitsIS12_E10value_typeET2_T3_PNS13_IS18_E10value_typeET4_jRbjT5_S1E_jjP12ihipStream_tbEUljE_ZNSN_ISO_Lb1ESQ_SR_ST_SU_SY_EESZ_S10_S11_S12_S16_S17_S18_S1B_S1C_jS1D_jS1E_S1E_jjS1G_bEUljE0_EEESZ_S10_S11_S18_S1C_S1E_T6_T7_T9_mT8_S1G_bDpT10_ENKUlT_T0_E_clISt17integral_constantIbLb1EES1T_IbLb0EEEEDaS1P_S1Q_EUlS1P_E_NS1_11comp_targetILNS1_3genE3ELNS1_11target_archE908ELNS1_3gpuE7ELNS1_3repE0EEENS1_30default_config_static_selectorELNS0_4arch9wavefront6targetE0EEEvS12_
	.p2align	8
	.type	_ZN7rocprim17ROCPRIM_400000_NS6detail17trampoline_kernelINS0_13select_configILj256ELj13ELNS0_17block_load_methodE3ELS4_3ELS4_3ELNS0_20block_scan_algorithmE0ELj4294967295EEENS1_25partition_config_selectorILNS1_17partition_subalgoE4EjNS0_10empty_typeEbEEZZNS1_14partition_implILS8_4ELb0ES6_15HIP_vector_typeIjLj2EENS0_17counting_iteratorIjlEEPS9_SG_NS0_5tupleIJPjSI_NS0_16reverse_iteratorISI_EEEEENSH_IJSG_SG_SG_EEES9_SI_JZNS1_25segmented_radix_sort_implINS0_14default_configELb1EPKbPbPKlPlN2at6native12_GLOBAL__N_18offset_tEEE10hipError_tPvRmT1_PNSt15iterator_traitsIS12_E10value_typeET2_T3_PNS13_IS18_E10value_typeET4_jRbjT5_S1E_jjP12ihipStream_tbEUljE_ZNSN_ISO_Lb1ESQ_SR_ST_SU_SY_EESZ_S10_S11_S12_S16_S17_S18_S1B_S1C_jS1D_jS1E_S1E_jjS1G_bEUljE0_EEESZ_S10_S11_S18_S1C_S1E_T6_T7_T9_mT8_S1G_bDpT10_ENKUlT_T0_E_clISt17integral_constantIbLb1EES1T_IbLb0EEEEDaS1P_S1Q_EUlS1P_E_NS1_11comp_targetILNS1_3genE3ELNS1_11target_archE908ELNS1_3gpuE7ELNS1_3repE0EEENS1_30default_config_static_selectorELNS0_4arch9wavefront6targetE0EEEvS12_,@function
_ZN7rocprim17ROCPRIM_400000_NS6detail17trampoline_kernelINS0_13select_configILj256ELj13ELNS0_17block_load_methodE3ELS4_3ELS4_3ELNS0_20block_scan_algorithmE0ELj4294967295EEENS1_25partition_config_selectorILNS1_17partition_subalgoE4EjNS0_10empty_typeEbEEZZNS1_14partition_implILS8_4ELb0ES6_15HIP_vector_typeIjLj2EENS0_17counting_iteratorIjlEEPS9_SG_NS0_5tupleIJPjSI_NS0_16reverse_iteratorISI_EEEEENSH_IJSG_SG_SG_EEES9_SI_JZNS1_25segmented_radix_sort_implINS0_14default_configELb1EPKbPbPKlPlN2at6native12_GLOBAL__N_18offset_tEEE10hipError_tPvRmT1_PNSt15iterator_traitsIS12_E10value_typeET2_T3_PNS13_IS18_E10value_typeET4_jRbjT5_S1E_jjP12ihipStream_tbEUljE_ZNSN_ISO_Lb1ESQ_SR_ST_SU_SY_EESZ_S10_S11_S12_S16_S17_S18_S1B_S1C_jS1D_jS1E_S1E_jjS1G_bEUljE0_EEESZ_S10_S11_S18_S1C_S1E_T6_T7_T9_mT8_S1G_bDpT10_ENKUlT_T0_E_clISt17integral_constantIbLb1EES1T_IbLb0EEEEDaS1P_S1Q_EUlS1P_E_NS1_11comp_targetILNS1_3genE3ELNS1_11target_archE908ELNS1_3gpuE7ELNS1_3repE0EEENS1_30default_config_static_selectorELNS0_4arch9wavefront6targetE0EEEvS12_: ; @_ZN7rocprim17ROCPRIM_400000_NS6detail17trampoline_kernelINS0_13select_configILj256ELj13ELNS0_17block_load_methodE3ELS4_3ELS4_3ELNS0_20block_scan_algorithmE0ELj4294967295EEENS1_25partition_config_selectorILNS1_17partition_subalgoE4EjNS0_10empty_typeEbEEZZNS1_14partition_implILS8_4ELb0ES6_15HIP_vector_typeIjLj2EENS0_17counting_iteratorIjlEEPS9_SG_NS0_5tupleIJPjSI_NS0_16reverse_iteratorISI_EEEEENSH_IJSG_SG_SG_EEES9_SI_JZNS1_25segmented_radix_sort_implINS0_14default_configELb1EPKbPbPKlPlN2at6native12_GLOBAL__N_18offset_tEEE10hipError_tPvRmT1_PNSt15iterator_traitsIS12_E10value_typeET2_T3_PNS13_IS18_E10value_typeET4_jRbjT5_S1E_jjP12ihipStream_tbEUljE_ZNSN_ISO_Lb1ESQ_SR_ST_SU_SY_EESZ_S10_S11_S12_S16_S17_S18_S1B_S1C_jS1D_jS1E_S1E_jjS1G_bEUljE0_EEESZ_S10_S11_S18_S1C_S1E_T6_T7_T9_mT8_S1G_bDpT10_ENKUlT_T0_E_clISt17integral_constantIbLb1EES1T_IbLb0EEEEDaS1P_S1Q_EUlS1P_E_NS1_11comp_targetILNS1_3genE3ELNS1_11target_archE908ELNS1_3gpuE7ELNS1_3repE0EEENS1_30default_config_static_selectorELNS0_4arch9wavefront6targetE0EEEvS12_
; %bb.0:
	.section	.rodata,"a",@progbits
	.p2align	6, 0x0
	.amdhsa_kernel _ZN7rocprim17ROCPRIM_400000_NS6detail17trampoline_kernelINS0_13select_configILj256ELj13ELNS0_17block_load_methodE3ELS4_3ELS4_3ELNS0_20block_scan_algorithmE0ELj4294967295EEENS1_25partition_config_selectorILNS1_17partition_subalgoE4EjNS0_10empty_typeEbEEZZNS1_14partition_implILS8_4ELb0ES6_15HIP_vector_typeIjLj2EENS0_17counting_iteratorIjlEEPS9_SG_NS0_5tupleIJPjSI_NS0_16reverse_iteratorISI_EEEEENSH_IJSG_SG_SG_EEES9_SI_JZNS1_25segmented_radix_sort_implINS0_14default_configELb1EPKbPbPKlPlN2at6native12_GLOBAL__N_18offset_tEEE10hipError_tPvRmT1_PNSt15iterator_traitsIS12_E10value_typeET2_T3_PNS13_IS18_E10value_typeET4_jRbjT5_S1E_jjP12ihipStream_tbEUljE_ZNSN_ISO_Lb1ESQ_SR_ST_SU_SY_EESZ_S10_S11_S12_S16_S17_S18_S1B_S1C_jS1D_jS1E_S1E_jjS1G_bEUljE0_EEESZ_S10_S11_S18_S1C_S1E_T6_T7_T9_mT8_S1G_bDpT10_ENKUlT_T0_E_clISt17integral_constantIbLb1EES1T_IbLb0EEEEDaS1P_S1Q_EUlS1P_E_NS1_11comp_targetILNS1_3genE3ELNS1_11target_archE908ELNS1_3gpuE7ELNS1_3repE0EEENS1_30default_config_static_selectorELNS0_4arch9wavefront6targetE0EEEvS12_
		.amdhsa_group_segment_fixed_size 0
		.amdhsa_private_segment_fixed_size 0
		.amdhsa_kernarg_size 176
		.amdhsa_user_sgpr_count 2
		.amdhsa_user_sgpr_dispatch_ptr 0
		.amdhsa_user_sgpr_queue_ptr 0
		.amdhsa_user_sgpr_kernarg_segment_ptr 1
		.amdhsa_user_sgpr_dispatch_id 0
		.amdhsa_user_sgpr_private_segment_size 0
		.amdhsa_wavefront_size32 1
		.amdhsa_uses_dynamic_stack 0
		.amdhsa_enable_private_segment 0
		.amdhsa_system_sgpr_workgroup_id_x 1
		.amdhsa_system_sgpr_workgroup_id_y 0
		.amdhsa_system_sgpr_workgroup_id_z 0
		.amdhsa_system_sgpr_workgroup_info 0
		.amdhsa_system_vgpr_workitem_id 0
		.amdhsa_next_free_vgpr 1
		.amdhsa_next_free_sgpr 1
		.amdhsa_reserve_vcc 0
		.amdhsa_float_round_mode_32 0
		.amdhsa_float_round_mode_16_64 0
		.amdhsa_float_denorm_mode_32 3
		.amdhsa_float_denorm_mode_16_64 3
		.amdhsa_fp16_overflow 0
		.amdhsa_workgroup_processor_mode 1
		.amdhsa_memory_ordered 1
		.amdhsa_forward_progress 1
		.amdhsa_inst_pref_size 0
		.amdhsa_round_robin_scheduling 0
		.amdhsa_exception_fp_ieee_invalid_op 0
		.amdhsa_exception_fp_denorm_src 0
		.amdhsa_exception_fp_ieee_div_zero 0
		.amdhsa_exception_fp_ieee_overflow 0
		.amdhsa_exception_fp_ieee_underflow 0
		.amdhsa_exception_fp_ieee_inexact 0
		.amdhsa_exception_int_div_zero 0
	.end_amdhsa_kernel
	.section	.text._ZN7rocprim17ROCPRIM_400000_NS6detail17trampoline_kernelINS0_13select_configILj256ELj13ELNS0_17block_load_methodE3ELS4_3ELS4_3ELNS0_20block_scan_algorithmE0ELj4294967295EEENS1_25partition_config_selectorILNS1_17partition_subalgoE4EjNS0_10empty_typeEbEEZZNS1_14partition_implILS8_4ELb0ES6_15HIP_vector_typeIjLj2EENS0_17counting_iteratorIjlEEPS9_SG_NS0_5tupleIJPjSI_NS0_16reverse_iteratorISI_EEEEENSH_IJSG_SG_SG_EEES9_SI_JZNS1_25segmented_radix_sort_implINS0_14default_configELb1EPKbPbPKlPlN2at6native12_GLOBAL__N_18offset_tEEE10hipError_tPvRmT1_PNSt15iterator_traitsIS12_E10value_typeET2_T3_PNS13_IS18_E10value_typeET4_jRbjT5_S1E_jjP12ihipStream_tbEUljE_ZNSN_ISO_Lb1ESQ_SR_ST_SU_SY_EESZ_S10_S11_S12_S16_S17_S18_S1B_S1C_jS1D_jS1E_S1E_jjS1G_bEUljE0_EEESZ_S10_S11_S18_S1C_S1E_T6_T7_T9_mT8_S1G_bDpT10_ENKUlT_T0_E_clISt17integral_constantIbLb1EES1T_IbLb0EEEEDaS1P_S1Q_EUlS1P_E_NS1_11comp_targetILNS1_3genE3ELNS1_11target_archE908ELNS1_3gpuE7ELNS1_3repE0EEENS1_30default_config_static_selectorELNS0_4arch9wavefront6targetE0EEEvS12_,"axG",@progbits,_ZN7rocprim17ROCPRIM_400000_NS6detail17trampoline_kernelINS0_13select_configILj256ELj13ELNS0_17block_load_methodE3ELS4_3ELS4_3ELNS0_20block_scan_algorithmE0ELj4294967295EEENS1_25partition_config_selectorILNS1_17partition_subalgoE4EjNS0_10empty_typeEbEEZZNS1_14partition_implILS8_4ELb0ES6_15HIP_vector_typeIjLj2EENS0_17counting_iteratorIjlEEPS9_SG_NS0_5tupleIJPjSI_NS0_16reverse_iteratorISI_EEEEENSH_IJSG_SG_SG_EEES9_SI_JZNS1_25segmented_radix_sort_implINS0_14default_configELb1EPKbPbPKlPlN2at6native12_GLOBAL__N_18offset_tEEE10hipError_tPvRmT1_PNSt15iterator_traitsIS12_E10value_typeET2_T3_PNS13_IS18_E10value_typeET4_jRbjT5_S1E_jjP12ihipStream_tbEUljE_ZNSN_ISO_Lb1ESQ_SR_ST_SU_SY_EESZ_S10_S11_S12_S16_S17_S18_S1B_S1C_jS1D_jS1E_S1E_jjS1G_bEUljE0_EEESZ_S10_S11_S18_S1C_S1E_T6_T7_T9_mT8_S1G_bDpT10_ENKUlT_T0_E_clISt17integral_constantIbLb1EES1T_IbLb0EEEEDaS1P_S1Q_EUlS1P_E_NS1_11comp_targetILNS1_3genE3ELNS1_11target_archE908ELNS1_3gpuE7ELNS1_3repE0EEENS1_30default_config_static_selectorELNS0_4arch9wavefront6targetE0EEEvS12_,comdat
.Lfunc_end1487:
	.size	_ZN7rocprim17ROCPRIM_400000_NS6detail17trampoline_kernelINS0_13select_configILj256ELj13ELNS0_17block_load_methodE3ELS4_3ELS4_3ELNS0_20block_scan_algorithmE0ELj4294967295EEENS1_25partition_config_selectorILNS1_17partition_subalgoE4EjNS0_10empty_typeEbEEZZNS1_14partition_implILS8_4ELb0ES6_15HIP_vector_typeIjLj2EENS0_17counting_iteratorIjlEEPS9_SG_NS0_5tupleIJPjSI_NS0_16reverse_iteratorISI_EEEEENSH_IJSG_SG_SG_EEES9_SI_JZNS1_25segmented_radix_sort_implINS0_14default_configELb1EPKbPbPKlPlN2at6native12_GLOBAL__N_18offset_tEEE10hipError_tPvRmT1_PNSt15iterator_traitsIS12_E10value_typeET2_T3_PNS13_IS18_E10value_typeET4_jRbjT5_S1E_jjP12ihipStream_tbEUljE_ZNSN_ISO_Lb1ESQ_SR_ST_SU_SY_EESZ_S10_S11_S12_S16_S17_S18_S1B_S1C_jS1D_jS1E_S1E_jjS1G_bEUljE0_EEESZ_S10_S11_S18_S1C_S1E_T6_T7_T9_mT8_S1G_bDpT10_ENKUlT_T0_E_clISt17integral_constantIbLb1EES1T_IbLb0EEEEDaS1P_S1Q_EUlS1P_E_NS1_11comp_targetILNS1_3genE3ELNS1_11target_archE908ELNS1_3gpuE7ELNS1_3repE0EEENS1_30default_config_static_selectorELNS0_4arch9wavefront6targetE0EEEvS12_, .Lfunc_end1487-_ZN7rocprim17ROCPRIM_400000_NS6detail17trampoline_kernelINS0_13select_configILj256ELj13ELNS0_17block_load_methodE3ELS4_3ELS4_3ELNS0_20block_scan_algorithmE0ELj4294967295EEENS1_25partition_config_selectorILNS1_17partition_subalgoE4EjNS0_10empty_typeEbEEZZNS1_14partition_implILS8_4ELb0ES6_15HIP_vector_typeIjLj2EENS0_17counting_iteratorIjlEEPS9_SG_NS0_5tupleIJPjSI_NS0_16reverse_iteratorISI_EEEEENSH_IJSG_SG_SG_EEES9_SI_JZNS1_25segmented_radix_sort_implINS0_14default_configELb1EPKbPbPKlPlN2at6native12_GLOBAL__N_18offset_tEEE10hipError_tPvRmT1_PNSt15iterator_traitsIS12_E10value_typeET2_T3_PNS13_IS18_E10value_typeET4_jRbjT5_S1E_jjP12ihipStream_tbEUljE_ZNSN_ISO_Lb1ESQ_SR_ST_SU_SY_EESZ_S10_S11_S12_S16_S17_S18_S1B_S1C_jS1D_jS1E_S1E_jjS1G_bEUljE0_EEESZ_S10_S11_S18_S1C_S1E_T6_T7_T9_mT8_S1G_bDpT10_ENKUlT_T0_E_clISt17integral_constantIbLb1EES1T_IbLb0EEEEDaS1P_S1Q_EUlS1P_E_NS1_11comp_targetILNS1_3genE3ELNS1_11target_archE908ELNS1_3gpuE7ELNS1_3repE0EEENS1_30default_config_static_selectorELNS0_4arch9wavefront6targetE0EEEvS12_
                                        ; -- End function
	.set _ZN7rocprim17ROCPRIM_400000_NS6detail17trampoline_kernelINS0_13select_configILj256ELj13ELNS0_17block_load_methodE3ELS4_3ELS4_3ELNS0_20block_scan_algorithmE0ELj4294967295EEENS1_25partition_config_selectorILNS1_17partition_subalgoE4EjNS0_10empty_typeEbEEZZNS1_14partition_implILS8_4ELb0ES6_15HIP_vector_typeIjLj2EENS0_17counting_iteratorIjlEEPS9_SG_NS0_5tupleIJPjSI_NS0_16reverse_iteratorISI_EEEEENSH_IJSG_SG_SG_EEES9_SI_JZNS1_25segmented_radix_sort_implINS0_14default_configELb1EPKbPbPKlPlN2at6native12_GLOBAL__N_18offset_tEEE10hipError_tPvRmT1_PNSt15iterator_traitsIS12_E10value_typeET2_T3_PNS13_IS18_E10value_typeET4_jRbjT5_S1E_jjP12ihipStream_tbEUljE_ZNSN_ISO_Lb1ESQ_SR_ST_SU_SY_EESZ_S10_S11_S12_S16_S17_S18_S1B_S1C_jS1D_jS1E_S1E_jjS1G_bEUljE0_EEESZ_S10_S11_S18_S1C_S1E_T6_T7_T9_mT8_S1G_bDpT10_ENKUlT_T0_E_clISt17integral_constantIbLb1EES1T_IbLb0EEEEDaS1P_S1Q_EUlS1P_E_NS1_11comp_targetILNS1_3genE3ELNS1_11target_archE908ELNS1_3gpuE7ELNS1_3repE0EEENS1_30default_config_static_selectorELNS0_4arch9wavefront6targetE0EEEvS12_.num_vgpr, 0
	.set _ZN7rocprim17ROCPRIM_400000_NS6detail17trampoline_kernelINS0_13select_configILj256ELj13ELNS0_17block_load_methodE3ELS4_3ELS4_3ELNS0_20block_scan_algorithmE0ELj4294967295EEENS1_25partition_config_selectorILNS1_17partition_subalgoE4EjNS0_10empty_typeEbEEZZNS1_14partition_implILS8_4ELb0ES6_15HIP_vector_typeIjLj2EENS0_17counting_iteratorIjlEEPS9_SG_NS0_5tupleIJPjSI_NS0_16reverse_iteratorISI_EEEEENSH_IJSG_SG_SG_EEES9_SI_JZNS1_25segmented_radix_sort_implINS0_14default_configELb1EPKbPbPKlPlN2at6native12_GLOBAL__N_18offset_tEEE10hipError_tPvRmT1_PNSt15iterator_traitsIS12_E10value_typeET2_T3_PNS13_IS18_E10value_typeET4_jRbjT5_S1E_jjP12ihipStream_tbEUljE_ZNSN_ISO_Lb1ESQ_SR_ST_SU_SY_EESZ_S10_S11_S12_S16_S17_S18_S1B_S1C_jS1D_jS1E_S1E_jjS1G_bEUljE0_EEESZ_S10_S11_S18_S1C_S1E_T6_T7_T9_mT8_S1G_bDpT10_ENKUlT_T0_E_clISt17integral_constantIbLb1EES1T_IbLb0EEEEDaS1P_S1Q_EUlS1P_E_NS1_11comp_targetILNS1_3genE3ELNS1_11target_archE908ELNS1_3gpuE7ELNS1_3repE0EEENS1_30default_config_static_selectorELNS0_4arch9wavefront6targetE0EEEvS12_.num_agpr, 0
	.set _ZN7rocprim17ROCPRIM_400000_NS6detail17trampoline_kernelINS0_13select_configILj256ELj13ELNS0_17block_load_methodE3ELS4_3ELS4_3ELNS0_20block_scan_algorithmE0ELj4294967295EEENS1_25partition_config_selectorILNS1_17partition_subalgoE4EjNS0_10empty_typeEbEEZZNS1_14partition_implILS8_4ELb0ES6_15HIP_vector_typeIjLj2EENS0_17counting_iteratorIjlEEPS9_SG_NS0_5tupleIJPjSI_NS0_16reverse_iteratorISI_EEEEENSH_IJSG_SG_SG_EEES9_SI_JZNS1_25segmented_radix_sort_implINS0_14default_configELb1EPKbPbPKlPlN2at6native12_GLOBAL__N_18offset_tEEE10hipError_tPvRmT1_PNSt15iterator_traitsIS12_E10value_typeET2_T3_PNS13_IS18_E10value_typeET4_jRbjT5_S1E_jjP12ihipStream_tbEUljE_ZNSN_ISO_Lb1ESQ_SR_ST_SU_SY_EESZ_S10_S11_S12_S16_S17_S18_S1B_S1C_jS1D_jS1E_S1E_jjS1G_bEUljE0_EEESZ_S10_S11_S18_S1C_S1E_T6_T7_T9_mT8_S1G_bDpT10_ENKUlT_T0_E_clISt17integral_constantIbLb1EES1T_IbLb0EEEEDaS1P_S1Q_EUlS1P_E_NS1_11comp_targetILNS1_3genE3ELNS1_11target_archE908ELNS1_3gpuE7ELNS1_3repE0EEENS1_30default_config_static_selectorELNS0_4arch9wavefront6targetE0EEEvS12_.numbered_sgpr, 0
	.set _ZN7rocprim17ROCPRIM_400000_NS6detail17trampoline_kernelINS0_13select_configILj256ELj13ELNS0_17block_load_methodE3ELS4_3ELS4_3ELNS0_20block_scan_algorithmE0ELj4294967295EEENS1_25partition_config_selectorILNS1_17partition_subalgoE4EjNS0_10empty_typeEbEEZZNS1_14partition_implILS8_4ELb0ES6_15HIP_vector_typeIjLj2EENS0_17counting_iteratorIjlEEPS9_SG_NS0_5tupleIJPjSI_NS0_16reverse_iteratorISI_EEEEENSH_IJSG_SG_SG_EEES9_SI_JZNS1_25segmented_radix_sort_implINS0_14default_configELb1EPKbPbPKlPlN2at6native12_GLOBAL__N_18offset_tEEE10hipError_tPvRmT1_PNSt15iterator_traitsIS12_E10value_typeET2_T3_PNS13_IS18_E10value_typeET4_jRbjT5_S1E_jjP12ihipStream_tbEUljE_ZNSN_ISO_Lb1ESQ_SR_ST_SU_SY_EESZ_S10_S11_S12_S16_S17_S18_S1B_S1C_jS1D_jS1E_S1E_jjS1G_bEUljE0_EEESZ_S10_S11_S18_S1C_S1E_T6_T7_T9_mT8_S1G_bDpT10_ENKUlT_T0_E_clISt17integral_constantIbLb1EES1T_IbLb0EEEEDaS1P_S1Q_EUlS1P_E_NS1_11comp_targetILNS1_3genE3ELNS1_11target_archE908ELNS1_3gpuE7ELNS1_3repE0EEENS1_30default_config_static_selectorELNS0_4arch9wavefront6targetE0EEEvS12_.num_named_barrier, 0
	.set _ZN7rocprim17ROCPRIM_400000_NS6detail17trampoline_kernelINS0_13select_configILj256ELj13ELNS0_17block_load_methodE3ELS4_3ELS4_3ELNS0_20block_scan_algorithmE0ELj4294967295EEENS1_25partition_config_selectorILNS1_17partition_subalgoE4EjNS0_10empty_typeEbEEZZNS1_14partition_implILS8_4ELb0ES6_15HIP_vector_typeIjLj2EENS0_17counting_iteratorIjlEEPS9_SG_NS0_5tupleIJPjSI_NS0_16reverse_iteratorISI_EEEEENSH_IJSG_SG_SG_EEES9_SI_JZNS1_25segmented_radix_sort_implINS0_14default_configELb1EPKbPbPKlPlN2at6native12_GLOBAL__N_18offset_tEEE10hipError_tPvRmT1_PNSt15iterator_traitsIS12_E10value_typeET2_T3_PNS13_IS18_E10value_typeET4_jRbjT5_S1E_jjP12ihipStream_tbEUljE_ZNSN_ISO_Lb1ESQ_SR_ST_SU_SY_EESZ_S10_S11_S12_S16_S17_S18_S1B_S1C_jS1D_jS1E_S1E_jjS1G_bEUljE0_EEESZ_S10_S11_S18_S1C_S1E_T6_T7_T9_mT8_S1G_bDpT10_ENKUlT_T0_E_clISt17integral_constantIbLb1EES1T_IbLb0EEEEDaS1P_S1Q_EUlS1P_E_NS1_11comp_targetILNS1_3genE3ELNS1_11target_archE908ELNS1_3gpuE7ELNS1_3repE0EEENS1_30default_config_static_selectorELNS0_4arch9wavefront6targetE0EEEvS12_.private_seg_size, 0
	.set _ZN7rocprim17ROCPRIM_400000_NS6detail17trampoline_kernelINS0_13select_configILj256ELj13ELNS0_17block_load_methodE3ELS4_3ELS4_3ELNS0_20block_scan_algorithmE0ELj4294967295EEENS1_25partition_config_selectorILNS1_17partition_subalgoE4EjNS0_10empty_typeEbEEZZNS1_14partition_implILS8_4ELb0ES6_15HIP_vector_typeIjLj2EENS0_17counting_iteratorIjlEEPS9_SG_NS0_5tupleIJPjSI_NS0_16reverse_iteratorISI_EEEEENSH_IJSG_SG_SG_EEES9_SI_JZNS1_25segmented_radix_sort_implINS0_14default_configELb1EPKbPbPKlPlN2at6native12_GLOBAL__N_18offset_tEEE10hipError_tPvRmT1_PNSt15iterator_traitsIS12_E10value_typeET2_T3_PNS13_IS18_E10value_typeET4_jRbjT5_S1E_jjP12ihipStream_tbEUljE_ZNSN_ISO_Lb1ESQ_SR_ST_SU_SY_EESZ_S10_S11_S12_S16_S17_S18_S1B_S1C_jS1D_jS1E_S1E_jjS1G_bEUljE0_EEESZ_S10_S11_S18_S1C_S1E_T6_T7_T9_mT8_S1G_bDpT10_ENKUlT_T0_E_clISt17integral_constantIbLb1EES1T_IbLb0EEEEDaS1P_S1Q_EUlS1P_E_NS1_11comp_targetILNS1_3genE3ELNS1_11target_archE908ELNS1_3gpuE7ELNS1_3repE0EEENS1_30default_config_static_selectorELNS0_4arch9wavefront6targetE0EEEvS12_.uses_vcc, 0
	.set _ZN7rocprim17ROCPRIM_400000_NS6detail17trampoline_kernelINS0_13select_configILj256ELj13ELNS0_17block_load_methodE3ELS4_3ELS4_3ELNS0_20block_scan_algorithmE0ELj4294967295EEENS1_25partition_config_selectorILNS1_17partition_subalgoE4EjNS0_10empty_typeEbEEZZNS1_14partition_implILS8_4ELb0ES6_15HIP_vector_typeIjLj2EENS0_17counting_iteratorIjlEEPS9_SG_NS0_5tupleIJPjSI_NS0_16reverse_iteratorISI_EEEEENSH_IJSG_SG_SG_EEES9_SI_JZNS1_25segmented_radix_sort_implINS0_14default_configELb1EPKbPbPKlPlN2at6native12_GLOBAL__N_18offset_tEEE10hipError_tPvRmT1_PNSt15iterator_traitsIS12_E10value_typeET2_T3_PNS13_IS18_E10value_typeET4_jRbjT5_S1E_jjP12ihipStream_tbEUljE_ZNSN_ISO_Lb1ESQ_SR_ST_SU_SY_EESZ_S10_S11_S12_S16_S17_S18_S1B_S1C_jS1D_jS1E_S1E_jjS1G_bEUljE0_EEESZ_S10_S11_S18_S1C_S1E_T6_T7_T9_mT8_S1G_bDpT10_ENKUlT_T0_E_clISt17integral_constantIbLb1EES1T_IbLb0EEEEDaS1P_S1Q_EUlS1P_E_NS1_11comp_targetILNS1_3genE3ELNS1_11target_archE908ELNS1_3gpuE7ELNS1_3repE0EEENS1_30default_config_static_selectorELNS0_4arch9wavefront6targetE0EEEvS12_.uses_flat_scratch, 0
	.set _ZN7rocprim17ROCPRIM_400000_NS6detail17trampoline_kernelINS0_13select_configILj256ELj13ELNS0_17block_load_methodE3ELS4_3ELS4_3ELNS0_20block_scan_algorithmE0ELj4294967295EEENS1_25partition_config_selectorILNS1_17partition_subalgoE4EjNS0_10empty_typeEbEEZZNS1_14partition_implILS8_4ELb0ES6_15HIP_vector_typeIjLj2EENS0_17counting_iteratorIjlEEPS9_SG_NS0_5tupleIJPjSI_NS0_16reverse_iteratorISI_EEEEENSH_IJSG_SG_SG_EEES9_SI_JZNS1_25segmented_radix_sort_implINS0_14default_configELb1EPKbPbPKlPlN2at6native12_GLOBAL__N_18offset_tEEE10hipError_tPvRmT1_PNSt15iterator_traitsIS12_E10value_typeET2_T3_PNS13_IS18_E10value_typeET4_jRbjT5_S1E_jjP12ihipStream_tbEUljE_ZNSN_ISO_Lb1ESQ_SR_ST_SU_SY_EESZ_S10_S11_S12_S16_S17_S18_S1B_S1C_jS1D_jS1E_S1E_jjS1G_bEUljE0_EEESZ_S10_S11_S18_S1C_S1E_T6_T7_T9_mT8_S1G_bDpT10_ENKUlT_T0_E_clISt17integral_constantIbLb1EES1T_IbLb0EEEEDaS1P_S1Q_EUlS1P_E_NS1_11comp_targetILNS1_3genE3ELNS1_11target_archE908ELNS1_3gpuE7ELNS1_3repE0EEENS1_30default_config_static_selectorELNS0_4arch9wavefront6targetE0EEEvS12_.has_dyn_sized_stack, 0
	.set _ZN7rocprim17ROCPRIM_400000_NS6detail17trampoline_kernelINS0_13select_configILj256ELj13ELNS0_17block_load_methodE3ELS4_3ELS4_3ELNS0_20block_scan_algorithmE0ELj4294967295EEENS1_25partition_config_selectorILNS1_17partition_subalgoE4EjNS0_10empty_typeEbEEZZNS1_14partition_implILS8_4ELb0ES6_15HIP_vector_typeIjLj2EENS0_17counting_iteratorIjlEEPS9_SG_NS0_5tupleIJPjSI_NS0_16reverse_iteratorISI_EEEEENSH_IJSG_SG_SG_EEES9_SI_JZNS1_25segmented_radix_sort_implINS0_14default_configELb1EPKbPbPKlPlN2at6native12_GLOBAL__N_18offset_tEEE10hipError_tPvRmT1_PNSt15iterator_traitsIS12_E10value_typeET2_T3_PNS13_IS18_E10value_typeET4_jRbjT5_S1E_jjP12ihipStream_tbEUljE_ZNSN_ISO_Lb1ESQ_SR_ST_SU_SY_EESZ_S10_S11_S12_S16_S17_S18_S1B_S1C_jS1D_jS1E_S1E_jjS1G_bEUljE0_EEESZ_S10_S11_S18_S1C_S1E_T6_T7_T9_mT8_S1G_bDpT10_ENKUlT_T0_E_clISt17integral_constantIbLb1EES1T_IbLb0EEEEDaS1P_S1Q_EUlS1P_E_NS1_11comp_targetILNS1_3genE3ELNS1_11target_archE908ELNS1_3gpuE7ELNS1_3repE0EEENS1_30default_config_static_selectorELNS0_4arch9wavefront6targetE0EEEvS12_.has_recursion, 0
	.set _ZN7rocprim17ROCPRIM_400000_NS6detail17trampoline_kernelINS0_13select_configILj256ELj13ELNS0_17block_load_methodE3ELS4_3ELS4_3ELNS0_20block_scan_algorithmE0ELj4294967295EEENS1_25partition_config_selectorILNS1_17partition_subalgoE4EjNS0_10empty_typeEbEEZZNS1_14partition_implILS8_4ELb0ES6_15HIP_vector_typeIjLj2EENS0_17counting_iteratorIjlEEPS9_SG_NS0_5tupleIJPjSI_NS0_16reverse_iteratorISI_EEEEENSH_IJSG_SG_SG_EEES9_SI_JZNS1_25segmented_radix_sort_implINS0_14default_configELb1EPKbPbPKlPlN2at6native12_GLOBAL__N_18offset_tEEE10hipError_tPvRmT1_PNSt15iterator_traitsIS12_E10value_typeET2_T3_PNS13_IS18_E10value_typeET4_jRbjT5_S1E_jjP12ihipStream_tbEUljE_ZNSN_ISO_Lb1ESQ_SR_ST_SU_SY_EESZ_S10_S11_S12_S16_S17_S18_S1B_S1C_jS1D_jS1E_S1E_jjS1G_bEUljE0_EEESZ_S10_S11_S18_S1C_S1E_T6_T7_T9_mT8_S1G_bDpT10_ENKUlT_T0_E_clISt17integral_constantIbLb1EES1T_IbLb0EEEEDaS1P_S1Q_EUlS1P_E_NS1_11comp_targetILNS1_3genE3ELNS1_11target_archE908ELNS1_3gpuE7ELNS1_3repE0EEENS1_30default_config_static_selectorELNS0_4arch9wavefront6targetE0EEEvS12_.has_indirect_call, 0
	.section	.AMDGPU.csdata,"",@progbits
; Kernel info:
; codeLenInByte = 0
; TotalNumSgprs: 0
; NumVgprs: 0
; ScratchSize: 0
; MemoryBound: 0
; FloatMode: 240
; IeeeMode: 1
; LDSByteSize: 0 bytes/workgroup (compile time only)
; SGPRBlocks: 0
; VGPRBlocks: 0
; NumSGPRsForWavesPerEU: 1
; NumVGPRsForWavesPerEU: 1
; Occupancy: 16
; WaveLimiterHint : 0
; COMPUTE_PGM_RSRC2:SCRATCH_EN: 0
; COMPUTE_PGM_RSRC2:USER_SGPR: 2
; COMPUTE_PGM_RSRC2:TRAP_HANDLER: 0
; COMPUTE_PGM_RSRC2:TGID_X_EN: 1
; COMPUTE_PGM_RSRC2:TGID_Y_EN: 0
; COMPUTE_PGM_RSRC2:TGID_Z_EN: 0
; COMPUTE_PGM_RSRC2:TIDIG_COMP_CNT: 0
	.section	.text._ZN7rocprim17ROCPRIM_400000_NS6detail17trampoline_kernelINS0_13select_configILj256ELj13ELNS0_17block_load_methodE3ELS4_3ELS4_3ELNS0_20block_scan_algorithmE0ELj4294967295EEENS1_25partition_config_selectorILNS1_17partition_subalgoE4EjNS0_10empty_typeEbEEZZNS1_14partition_implILS8_4ELb0ES6_15HIP_vector_typeIjLj2EENS0_17counting_iteratorIjlEEPS9_SG_NS0_5tupleIJPjSI_NS0_16reverse_iteratorISI_EEEEENSH_IJSG_SG_SG_EEES9_SI_JZNS1_25segmented_radix_sort_implINS0_14default_configELb1EPKbPbPKlPlN2at6native12_GLOBAL__N_18offset_tEEE10hipError_tPvRmT1_PNSt15iterator_traitsIS12_E10value_typeET2_T3_PNS13_IS18_E10value_typeET4_jRbjT5_S1E_jjP12ihipStream_tbEUljE_ZNSN_ISO_Lb1ESQ_SR_ST_SU_SY_EESZ_S10_S11_S12_S16_S17_S18_S1B_S1C_jS1D_jS1E_S1E_jjS1G_bEUljE0_EEESZ_S10_S11_S18_S1C_S1E_T6_T7_T9_mT8_S1G_bDpT10_ENKUlT_T0_E_clISt17integral_constantIbLb1EES1T_IbLb0EEEEDaS1P_S1Q_EUlS1P_E_NS1_11comp_targetILNS1_3genE2ELNS1_11target_archE906ELNS1_3gpuE6ELNS1_3repE0EEENS1_30default_config_static_selectorELNS0_4arch9wavefront6targetE0EEEvS12_,"axG",@progbits,_ZN7rocprim17ROCPRIM_400000_NS6detail17trampoline_kernelINS0_13select_configILj256ELj13ELNS0_17block_load_methodE3ELS4_3ELS4_3ELNS0_20block_scan_algorithmE0ELj4294967295EEENS1_25partition_config_selectorILNS1_17partition_subalgoE4EjNS0_10empty_typeEbEEZZNS1_14partition_implILS8_4ELb0ES6_15HIP_vector_typeIjLj2EENS0_17counting_iteratorIjlEEPS9_SG_NS0_5tupleIJPjSI_NS0_16reverse_iteratorISI_EEEEENSH_IJSG_SG_SG_EEES9_SI_JZNS1_25segmented_radix_sort_implINS0_14default_configELb1EPKbPbPKlPlN2at6native12_GLOBAL__N_18offset_tEEE10hipError_tPvRmT1_PNSt15iterator_traitsIS12_E10value_typeET2_T3_PNS13_IS18_E10value_typeET4_jRbjT5_S1E_jjP12ihipStream_tbEUljE_ZNSN_ISO_Lb1ESQ_SR_ST_SU_SY_EESZ_S10_S11_S12_S16_S17_S18_S1B_S1C_jS1D_jS1E_S1E_jjS1G_bEUljE0_EEESZ_S10_S11_S18_S1C_S1E_T6_T7_T9_mT8_S1G_bDpT10_ENKUlT_T0_E_clISt17integral_constantIbLb1EES1T_IbLb0EEEEDaS1P_S1Q_EUlS1P_E_NS1_11comp_targetILNS1_3genE2ELNS1_11target_archE906ELNS1_3gpuE6ELNS1_3repE0EEENS1_30default_config_static_selectorELNS0_4arch9wavefront6targetE0EEEvS12_,comdat
	.globl	_ZN7rocprim17ROCPRIM_400000_NS6detail17trampoline_kernelINS0_13select_configILj256ELj13ELNS0_17block_load_methodE3ELS4_3ELS4_3ELNS0_20block_scan_algorithmE0ELj4294967295EEENS1_25partition_config_selectorILNS1_17partition_subalgoE4EjNS0_10empty_typeEbEEZZNS1_14partition_implILS8_4ELb0ES6_15HIP_vector_typeIjLj2EENS0_17counting_iteratorIjlEEPS9_SG_NS0_5tupleIJPjSI_NS0_16reverse_iteratorISI_EEEEENSH_IJSG_SG_SG_EEES9_SI_JZNS1_25segmented_radix_sort_implINS0_14default_configELb1EPKbPbPKlPlN2at6native12_GLOBAL__N_18offset_tEEE10hipError_tPvRmT1_PNSt15iterator_traitsIS12_E10value_typeET2_T3_PNS13_IS18_E10value_typeET4_jRbjT5_S1E_jjP12ihipStream_tbEUljE_ZNSN_ISO_Lb1ESQ_SR_ST_SU_SY_EESZ_S10_S11_S12_S16_S17_S18_S1B_S1C_jS1D_jS1E_S1E_jjS1G_bEUljE0_EEESZ_S10_S11_S18_S1C_S1E_T6_T7_T9_mT8_S1G_bDpT10_ENKUlT_T0_E_clISt17integral_constantIbLb1EES1T_IbLb0EEEEDaS1P_S1Q_EUlS1P_E_NS1_11comp_targetILNS1_3genE2ELNS1_11target_archE906ELNS1_3gpuE6ELNS1_3repE0EEENS1_30default_config_static_selectorELNS0_4arch9wavefront6targetE0EEEvS12_ ; -- Begin function _ZN7rocprim17ROCPRIM_400000_NS6detail17trampoline_kernelINS0_13select_configILj256ELj13ELNS0_17block_load_methodE3ELS4_3ELS4_3ELNS0_20block_scan_algorithmE0ELj4294967295EEENS1_25partition_config_selectorILNS1_17partition_subalgoE4EjNS0_10empty_typeEbEEZZNS1_14partition_implILS8_4ELb0ES6_15HIP_vector_typeIjLj2EENS0_17counting_iteratorIjlEEPS9_SG_NS0_5tupleIJPjSI_NS0_16reverse_iteratorISI_EEEEENSH_IJSG_SG_SG_EEES9_SI_JZNS1_25segmented_radix_sort_implINS0_14default_configELb1EPKbPbPKlPlN2at6native12_GLOBAL__N_18offset_tEEE10hipError_tPvRmT1_PNSt15iterator_traitsIS12_E10value_typeET2_T3_PNS13_IS18_E10value_typeET4_jRbjT5_S1E_jjP12ihipStream_tbEUljE_ZNSN_ISO_Lb1ESQ_SR_ST_SU_SY_EESZ_S10_S11_S12_S16_S17_S18_S1B_S1C_jS1D_jS1E_S1E_jjS1G_bEUljE0_EEESZ_S10_S11_S18_S1C_S1E_T6_T7_T9_mT8_S1G_bDpT10_ENKUlT_T0_E_clISt17integral_constantIbLb1EES1T_IbLb0EEEEDaS1P_S1Q_EUlS1P_E_NS1_11comp_targetILNS1_3genE2ELNS1_11target_archE906ELNS1_3gpuE6ELNS1_3repE0EEENS1_30default_config_static_selectorELNS0_4arch9wavefront6targetE0EEEvS12_
	.p2align	8
	.type	_ZN7rocprim17ROCPRIM_400000_NS6detail17trampoline_kernelINS0_13select_configILj256ELj13ELNS0_17block_load_methodE3ELS4_3ELS4_3ELNS0_20block_scan_algorithmE0ELj4294967295EEENS1_25partition_config_selectorILNS1_17partition_subalgoE4EjNS0_10empty_typeEbEEZZNS1_14partition_implILS8_4ELb0ES6_15HIP_vector_typeIjLj2EENS0_17counting_iteratorIjlEEPS9_SG_NS0_5tupleIJPjSI_NS0_16reverse_iteratorISI_EEEEENSH_IJSG_SG_SG_EEES9_SI_JZNS1_25segmented_radix_sort_implINS0_14default_configELb1EPKbPbPKlPlN2at6native12_GLOBAL__N_18offset_tEEE10hipError_tPvRmT1_PNSt15iterator_traitsIS12_E10value_typeET2_T3_PNS13_IS18_E10value_typeET4_jRbjT5_S1E_jjP12ihipStream_tbEUljE_ZNSN_ISO_Lb1ESQ_SR_ST_SU_SY_EESZ_S10_S11_S12_S16_S17_S18_S1B_S1C_jS1D_jS1E_S1E_jjS1G_bEUljE0_EEESZ_S10_S11_S18_S1C_S1E_T6_T7_T9_mT8_S1G_bDpT10_ENKUlT_T0_E_clISt17integral_constantIbLb1EES1T_IbLb0EEEEDaS1P_S1Q_EUlS1P_E_NS1_11comp_targetILNS1_3genE2ELNS1_11target_archE906ELNS1_3gpuE6ELNS1_3repE0EEENS1_30default_config_static_selectorELNS0_4arch9wavefront6targetE0EEEvS12_,@function
_ZN7rocprim17ROCPRIM_400000_NS6detail17trampoline_kernelINS0_13select_configILj256ELj13ELNS0_17block_load_methodE3ELS4_3ELS4_3ELNS0_20block_scan_algorithmE0ELj4294967295EEENS1_25partition_config_selectorILNS1_17partition_subalgoE4EjNS0_10empty_typeEbEEZZNS1_14partition_implILS8_4ELb0ES6_15HIP_vector_typeIjLj2EENS0_17counting_iteratorIjlEEPS9_SG_NS0_5tupleIJPjSI_NS0_16reverse_iteratorISI_EEEEENSH_IJSG_SG_SG_EEES9_SI_JZNS1_25segmented_radix_sort_implINS0_14default_configELb1EPKbPbPKlPlN2at6native12_GLOBAL__N_18offset_tEEE10hipError_tPvRmT1_PNSt15iterator_traitsIS12_E10value_typeET2_T3_PNS13_IS18_E10value_typeET4_jRbjT5_S1E_jjP12ihipStream_tbEUljE_ZNSN_ISO_Lb1ESQ_SR_ST_SU_SY_EESZ_S10_S11_S12_S16_S17_S18_S1B_S1C_jS1D_jS1E_S1E_jjS1G_bEUljE0_EEESZ_S10_S11_S18_S1C_S1E_T6_T7_T9_mT8_S1G_bDpT10_ENKUlT_T0_E_clISt17integral_constantIbLb1EES1T_IbLb0EEEEDaS1P_S1Q_EUlS1P_E_NS1_11comp_targetILNS1_3genE2ELNS1_11target_archE906ELNS1_3gpuE6ELNS1_3repE0EEENS1_30default_config_static_selectorELNS0_4arch9wavefront6targetE0EEEvS12_: ; @_ZN7rocprim17ROCPRIM_400000_NS6detail17trampoline_kernelINS0_13select_configILj256ELj13ELNS0_17block_load_methodE3ELS4_3ELS4_3ELNS0_20block_scan_algorithmE0ELj4294967295EEENS1_25partition_config_selectorILNS1_17partition_subalgoE4EjNS0_10empty_typeEbEEZZNS1_14partition_implILS8_4ELb0ES6_15HIP_vector_typeIjLj2EENS0_17counting_iteratorIjlEEPS9_SG_NS0_5tupleIJPjSI_NS0_16reverse_iteratorISI_EEEEENSH_IJSG_SG_SG_EEES9_SI_JZNS1_25segmented_radix_sort_implINS0_14default_configELb1EPKbPbPKlPlN2at6native12_GLOBAL__N_18offset_tEEE10hipError_tPvRmT1_PNSt15iterator_traitsIS12_E10value_typeET2_T3_PNS13_IS18_E10value_typeET4_jRbjT5_S1E_jjP12ihipStream_tbEUljE_ZNSN_ISO_Lb1ESQ_SR_ST_SU_SY_EESZ_S10_S11_S12_S16_S17_S18_S1B_S1C_jS1D_jS1E_S1E_jjS1G_bEUljE0_EEESZ_S10_S11_S18_S1C_S1E_T6_T7_T9_mT8_S1G_bDpT10_ENKUlT_T0_E_clISt17integral_constantIbLb1EES1T_IbLb0EEEEDaS1P_S1Q_EUlS1P_E_NS1_11comp_targetILNS1_3genE2ELNS1_11target_archE906ELNS1_3gpuE6ELNS1_3repE0EEENS1_30default_config_static_selectorELNS0_4arch9wavefront6targetE0EEEvS12_
; %bb.0:
	.section	.rodata,"a",@progbits
	.p2align	6, 0x0
	.amdhsa_kernel _ZN7rocprim17ROCPRIM_400000_NS6detail17trampoline_kernelINS0_13select_configILj256ELj13ELNS0_17block_load_methodE3ELS4_3ELS4_3ELNS0_20block_scan_algorithmE0ELj4294967295EEENS1_25partition_config_selectorILNS1_17partition_subalgoE4EjNS0_10empty_typeEbEEZZNS1_14partition_implILS8_4ELb0ES6_15HIP_vector_typeIjLj2EENS0_17counting_iteratorIjlEEPS9_SG_NS0_5tupleIJPjSI_NS0_16reverse_iteratorISI_EEEEENSH_IJSG_SG_SG_EEES9_SI_JZNS1_25segmented_radix_sort_implINS0_14default_configELb1EPKbPbPKlPlN2at6native12_GLOBAL__N_18offset_tEEE10hipError_tPvRmT1_PNSt15iterator_traitsIS12_E10value_typeET2_T3_PNS13_IS18_E10value_typeET4_jRbjT5_S1E_jjP12ihipStream_tbEUljE_ZNSN_ISO_Lb1ESQ_SR_ST_SU_SY_EESZ_S10_S11_S12_S16_S17_S18_S1B_S1C_jS1D_jS1E_S1E_jjS1G_bEUljE0_EEESZ_S10_S11_S18_S1C_S1E_T6_T7_T9_mT8_S1G_bDpT10_ENKUlT_T0_E_clISt17integral_constantIbLb1EES1T_IbLb0EEEEDaS1P_S1Q_EUlS1P_E_NS1_11comp_targetILNS1_3genE2ELNS1_11target_archE906ELNS1_3gpuE6ELNS1_3repE0EEENS1_30default_config_static_selectorELNS0_4arch9wavefront6targetE0EEEvS12_
		.amdhsa_group_segment_fixed_size 0
		.amdhsa_private_segment_fixed_size 0
		.amdhsa_kernarg_size 176
		.amdhsa_user_sgpr_count 2
		.amdhsa_user_sgpr_dispatch_ptr 0
		.amdhsa_user_sgpr_queue_ptr 0
		.amdhsa_user_sgpr_kernarg_segment_ptr 1
		.amdhsa_user_sgpr_dispatch_id 0
		.amdhsa_user_sgpr_private_segment_size 0
		.amdhsa_wavefront_size32 1
		.amdhsa_uses_dynamic_stack 0
		.amdhsa_enable_private_segment 0
		.amdhsa_system_sgpr_workgroup_id_x 1
		.amdhsa_system_sgpr_workgroup_id_y 0
		.amdhsa_system_sgpr_workgroup_id_z 0
		.amdhsa_system_sgpr_workgroup_info 0
		.amdhsa_system_vgpr_workitem_id 0
		.amdhsa_next_free_vgpr 1
		.amdhsa_next_free_sgpr 1
		.amdhsa_reserve_vcc 0
		.amdhsa_float_round_mode_32 0
		.amdhsa_float_round_mode_16_64 0
		.amdhsa_float_denorm_mode_32 3
		.amdhsa_float_denorm_mode_16_64 3
		.amdhsa_fp16_overflow 0
		.amdhsa_workgroup_processor_mode 1
		.amdhsa_memory_ordered 1
		.amdhsa_forward_progress 1
		.amdhsa_inst_pref_size 0
		.amdhsa_round_robin_scheduling 0
		.amdhsa_exception_fp_ieee_invalid_op 0
		.amdhsa_exception_fp_denorm_src 0
		.amdhsa_exception_fp_ieee_div_zero 0
		.amdhsa_exception_fp_ieee_overflow 0
		.amdhsa_exception_fp_ieee_underflow 0
		.amdhsa_exception_fp_ieee_inexact 0
		.amdhsa_exception_int_div_zero 0
	.end_amdhsa_kernel
	.section	.text._ZN7rocprim17ROCPRIM_400000_NS6detail17trampoline_kernelINS0_13select_configILj256ELj13ELNS0_17block_load_methodE3ELS4_3ELS4_3ELNS0_20block_scan_algorithmE0ELj4294967295EEENS1_25partition_config_selectorILNS1_17partition_subalgoE4EjNS0_10empty_typeEbEEZZNS1_14partition_implILS8_4ELb0ES6_15HIP_vector_typeIjLj2EENS0_17counting_iteratorIjlEEPS9_SG_NS0_5tupleIJPjSI_NS0_16reverse_iteratorISI_EEEEENSH_IJSG_SG_SG_EEES9_SI_JZNS1_25segmented_radix_sort_implINS0_14default_configELb1EPKbPbPKlPlN2at6native12_GLOBAL__N_18offset_tEEE10hipError_tPvRmT1_PNSt15iterator_traitsIS12_E10value_typeET2_T3_PNS13_IS18_E10value_typeET4_jRbjT5_S1E_jjP12ihipStream_tbEUljE_ZNSN_ISO_Lb1ESQ_SR_ST_SU_SY_EESZ_S10_S11_S12_S16_S17_S18_S1B_S1C_jS1D_jS1E_S1E_jjS1G_bEUljE0_EEESZ_S10_S11_S18_S1C_S1E_T6_T7_T9_mT8_S1G_bDpT10_ENKUlT_T0_E_clISt17integral_constantIbLb1EES1T_IbLb0EEEEDaS1P_S1Q_EUlS1P_E_NS1_11comp_targetILNS1_3genE2ELNS1_11target_archE906ELNS1_3gpuE6ELNS1_3repE0EEENS1_30default_config_static_selectorELNS0_4arch9wavefront6targetE0EEEvS12_,"axG",@progbits,_ZN7rocprim17ROCPRIM_400000_NS6detail17trampoline_kernelINS0_13select_configILj256ELj13ELNS0_17block_load_methodE3ELS4_3ELS4_3ELNS0_20block_scan_algorithmE0ELj4294967295EEENS1_25partition_config_selectorILNS1_17partition_subalgoE4EjNS0_10empty_typeEbEEZZNS1_14partition_implILS8_4ELb0ES6_15HIP_vector_typeIjLj2EENS0_17counting_iteratorIjlEEPS9_SG_NS0_5tupleIJPjSI_NS0_16reverse_iteratorISI_EEEEENSH_IJSG_SG_SG_EEES9_SI_JZNS1_25segmented_radix_sort_implINS0_14default_configELb1EPKbPbPKlPlN2at6native12_GLOBAL__N_18offset_tEEE10hipError_tPvRmT1_PNSt15iterator_traitsIS12_E10value_typeET2_T3_PNS13_IS18_E10value_typeET4_jRbjT5_S1E_jjP12ihipStream_tbEUljE_ZNSN_ISO_Lb1ESQ_SR_ST_SU_SY_EESZ_S10_S11_S12_S16_S17_S18_S1B_S1C_jS1D_jS1E_S1E_jjS1G_bEUljE0_EEESZ_S10_S11_S18_S1C_S1E_T6_T7_T9_mT8_S1G_bDpT10_ENKUlT_T0_E_clISt17integral_constantIbLb1EES1T_IbLb0EEEEDaS1P_S1Q_EUlS1P_E_NS1_11comp_targetILNS1_3genE2ELNS1_11target_archE906ELNS1_3gpuE6ELNS1_3repE0EEENS1_30default_config_static_selectorELNS0_4arch9wavefront6targetE0EEEvS12_,comdat
.Lfunc_end1488:
	.size	_ZN7rocprim17ROCPRIM_400000_NS6detail17trampoline_kernelINS0_13select_configILj256ELj13ELNS0_17block_load_methodE3ELS4_3ELS4_3ELNS0_20block_scan_algorithmE0ELj4294967295EEENS1_25partition_config_selectorILNS1_17partition_subalgoE4EjNS0_10empty_typeEbEEZZNS1_14partition_implILS8_4ELb0ES6_15HIP_vector_typeIjLj2EENS0_17counting_iteratorIjlEEPS9_SG_NS0_5tupleIJPjSI_NS0_16reverse_iteratorISI_EEEEENSH_IJSG_SG_SG_EEES9_SI_JZNS1_25segmented_radix_sort_implINS0_14default_configELb1EPKbPbPKlPlN2at6native12_GLOBAL__N_18offset_tEEE10hipError_tPvRmT1_PNSt15iterator_traitsIS12_E10value_typeET2_T3_PNS13_IS18_E10value_typeET4_jRbjT5_S1E_jjP12ihipStream_tbEUljE_ZNSN_ISO_Lb1ESQ_SR_ST_SU_SY_EESZ_S10_S11_S12_S16_S17_S18_S1B_S1C_jS1D_jS1E_S1E_jjS1G_bEUljE0_EEESZ_S10_S11_S18_S1C_S1E_T6_T7_T9_mT8_S1G_bDpT10_ENKUlT_T0_E_clISt17integral_constantIbLb1EES1T_IbLb0EEEEDaS1P_S1Q_EUlS1P_E_NS1_11comp_targetILNS1_3genE2ELNS1_11target_archE906ELNS1_3gpuE6ELNS1_3repE0EEENS1_30default_config_static_selectorELNS0_4arch9wavefront6targetE0EEEvS12_, .Lfunc_end1488-_ZN7rocprim17ROCPRIM_400000_NS6detail17trampoline_kernelINS0_13select_configILj256ELj13ELNS0_17block_load_methodE3ELS4_3ELS4_3ELNS0_20block_scan_algorithmE0ELj4294967295EEENS1_25partition_config_selectorILNS1_17partition_subalgoE4EjNS0_10empty_typeEbEEZZNS1_14partition_implILS8_4ELb0ES6_15HIP_vector_typeIjLj2EENS0_17counting_iteratorIjlEEPS9_SG_NS0_5tupleIJPjSI_NS0_16reverse_iteratorISI_EEEEENSH_IJSG_SG_SG_EEES9_SI_JZNS1_25segmented_radix_sort_implINS0_14default_configELb1EPKbPbPKlPlN2at6native12_GLOBAL__N_18offset_tEEE10hipError_tPvRmT1_PNSt15iterator_traitsIS12_E10value_typeET2_T3_PNS13_IS18_E10value_typeET4_jRbjT5_S1E_jjP12ihipStream_tbEUljE_ZNSN_ISO_Lb1ESQ_SR_ST_SU_SY_EESZ_S10_S11_S12_S16_S17_S18_S1B_S1C_jS1D_jS1E_S1E_jjS1G_bEUljE0_EEESZ_S10_S11_S18_S1C_S1E_T6_T7_T9_mT8_S1G_bDpT10_ENKUlT_T0_E_clISt17integral_constantIbLb1EES1T_IbLb0EEEEDaS1P_S1Q_EUlS1P_E_NS1_11comp_targetILNS1_3genE2ELNS1_11target_archE906ELNS1_3gpuE6ELNS1_3repE0EEENS1_30default_config_static_selectorELNS0_4arch9wavefront6targetE0EEEvS12_
                                        ; -- End function
	.set _ZN7rocprim17ROCPRIM_400000_NS6detail17trampoline_kernelINS0_13select_configILj256ELj13ELNS0_17block_load_methodE3ELS4_3ELS4_3ELNS0_20block_scan_algorithmE0ELj4294967295EEENS1_25partition_config_selectorILNS1_17partition_subalgoE4EjNS0_10empty_typeEbEEZZNS1_14partition_implILS8_4ELb0ES6_15HIP_vector_typeIjLj2EENS0_17counting_iteratorIjlEEPS9_SG_NS0_5tupleIJPjSI_NS0_16reverse_iteratorISI_EEEEENSH_IJSG_SG_SG_EEES9_SI_JZNS1_25segmented_radix_sort_implINS0_14default_configELb1EPKbPbPKlPlN2at6native12_GLOBAL__N_18offset_tEEE10hipError_tPvRmT1_PNSt15iterator_traitsIS12_E10value_typeET2_T3_PNS13_IS18_E10value_typeET4_jRbjT5_S1E_jjP12ihipStream_tbEUljE_ZNSN_ISO_Lb1ESQ_SR_ST_SU_SY_EESZ_S10_S11_S12_S16_S17_S18_S1B_S1C_jS1D_jS1E_S1E_jjS1G_bEUljE0_EEESZ_S10_S11_S18_S1C_S1E_T6_T7_T9_mT8_S1G_bDpT10_ENKUlT_T0_E_clISt17integral_constantIbLb1EES1T_IbLb0EEEEDaS1P_S1Q_EUlS1P_E_NS1_11comp_targetILNS1_3genE2ELNS1_11target_archE906ELNS1_3gpuE6ELNS1_3repE0EEENS1_30default_config_static_selectorELNS0_4arch9wavefront6targetE0EEEvS12_.num_vgpr, 0
	.set _ZN7rocprim17ROCPRIM_400000_NS6detail17trampoline_kernelINS0_13select_configILj256ELj13ELNS0_17block_load_methodE3ELS4_3ELS4_3ELNS0_20block_scan_algorithmE0ELj4294967295EEENS1_25partition_config_selectorILNS1_17partition_subalgoE4EjNS0_10empty_typeEbEEZZNS1_14partition_implILS8_4ELb0ES6_15HIP_vector_typeIjLj2EENS0_17counting_iteratorIjlEEPS9_SG_NS0_5tupleIJPjSI_NS0_16reverse_iteratorISI_EEEEENSH_IJSG_SG_SG_EEES9_SI_JZNS1_25segmented_radix_sort_implINS0_14default_configELb1EPKbPbPKlPlN2at6native12_GLOBAL__N_18offset_tEEE10hipError_tPvRmT1_PNSt15iterator_traitsIS12_E10value_typeET2_T3_PNS13_IS18_E10value_typeET4_jRbjT5_S1E_jjP12ihipStream_tbEUljE_ZNSN_ISO_Lb1ESQ_SR_ST_SU_SY_EESZ_S10_S11_S12_S16_S17_S18_S1B_S1C_jS1D_jS1E_S1E_jjS1G_bEUljE0_EEESZ_S10_S11_S18_S1C_S1E_T6_T7_T9_mT8_S1G_bDpT10_ENKUlT_T0_E_clISt17integral_constantIbLb1EES1T_IbLb0EEEEDaS1P_S1Q_EUlS1P_E_NS1_11comp_targetILNS1_3genE2ELNS1_11target_archE906ELNS1_3gpuE6ELNS1_3repE0EEENS1_30default_config_static_selectorELNS0_4arch9wavefront6targetE0EEEvS12_.num_agpr, 0
	.set _ZN7rocprim17ROCPRIM_400000_NS6detail17trampoline_kernelINS0_13select_configILj256ELj13ELNS0_17block_load_methodE3ELS4_3ELS4_3ELNS0_20block_scan_algorithmE0ELj4294967295EEENS1_25partition_config_selectorILNS1_17partition_subalgoE4EjNS0_10empty_typeEbEEZZNS1_14partition_implILS8_4ELb0ES6_15HIP_vector_typeIjLj2EENS0_17counting_iteratorIjlEEPS9_SG_NS0_5tupleIJPjSI_NS0_16reverse_iteratorISI_EEEEENSH_IJSG_SG_SG_EEES9_SI_JZNS1_25segmented_radix_sort_implINS0_14default_configELb1EPKbPbPKlPlN2at6native12_GLOBAL__N_18offset_tEEE10hipError_tPvRmT1_PNSt15iterator_traitsIS12_E10value_typeET2_T3_PNS13_IS18_E10value_typeET4_jRbjT5_S1E_jjP12ihipStream_tbEUljE_ZNSN_ISO_Lb1ESQ_SR_ST_SU_SY_EESZ_S10_S11_S12_S16_S17_S18_S1B_S1C_jS1D_jS1E_S1E_jjS1G_bEUljE0_EEESZ_S10_S11_S18_S1C_S1E_T6_T7_T9_mT8_S1G_bDpT10_ENKUlT_T0_E_clISt17integral_constantIbLb1EES1T_IbLb0EEEEDaS1P_S1Q_EUlS1P_E_NS1_11comp_targetILNS1_3genE2ELNS1_11target_archE906ELNS1_3gpuE6ELNS1_3repE0EEENS1_30default_config_static_selectorELNS0_4arch9wavefront6targetE0EEEvS12_.numbered_sgpr, 0
	.set _ZN7rocprim17ROCPRIM_400000_NS6detail17trampoline_kernelINS0_13select_configILj256ELj13ELNS0_17block_load_methodE3ELS4_3ELS4_3ELNS0_20block_scan_algorithmE0ELj4294967295EEENS1_25partition_config_selectorILNS1_17partition_subalgoE4EjNS0_10empty_typeEbEEZZNS1_14partition_implILS8_4ELb0ES6_15HIP_vector_typeIjLj2EENS0_17counting_iteratorIjlEEPS9_SG_NS0_5tupleIJPjSI_NS0_16reverse_iteratorISI_EEEEENSH_IJSG_SG_SG_EEES9_SI_JZNS1_25segmented_radix_sort_implINS0_14default_configELb1EPKbPbPKlPlN2at6native12_GLOBAL__N_18offset_tEEE10hipError_tPvRmT1_PNSt15iterator_traitsIS12_E10value_typeET2_T3_PNS13_IS18_E10value_typeET4_jRbjT5_S1E_jjP12ihipStream_tbEUljE_ZNSN_ISO_Lb1ESQ_SR_ST_SU_SY_EESZ_S10_S11_S12_S16_S17_S18_S1B_S1C_jS1D_jS1E_S1E_jjS1G_bEUljE0_EEESZ_S10_S11_S18_S1C_S1E_T6_T7_T9_mT8_S1G_bDpT10_ENKUlT_T0_E_clISt17integral_constantIbLb1EES1T_IbLb0EEEEDaS1P_S1Q_EUlS1P_E_NS1_11comp_targetILNS1_3genE2ELNS1_11target_archE906ELNS1_3gpuE6ELNS1_3repE0EEENS1_30default_config_static_selectorELNS0_4arch9wavefront6targetE0EEEvS12_.num_named_barrier, 0
	.set _ZN7rocprim17ROCPRIM_400000_NS6detail17trampoline_kernelINS0_13select_configILj256ELj13ELNS0_17block_load_methodE3ELS4_3ELS4_3ELNS0_20block_scan_algorithmE0ELj4294967295EEENS1_25partition_config_selectorILNS1_17partition_subalgoE4EjNS0_10empty_typeEbEEZZNS1_14partition_implILS8_4ELb0ES6_15HIP_vector_typeIjLj2EENS0_17counting_iteratorIjlEEPS9_SG_NS0_5tupleIJPjSI_NS0_16reverse_iteratorISI_EEEEENSH_IJSG_SG_SG_EEES9_SI_JZNS1_25segmented_radix_sort_implINS0_14default_configELb1EPKbPbPKlPlN2at6native12_GLOBAL__N_18offset_tEEE10hipError_tPvRmT1_PNSt15iterator_traitsIS12_E10value_typeET2_T3_PNS13_IS18_E10value_typeET4_jRbjT5_S1E_jjP12ihipStream_tbEUljE_ZNSN_ISO_Lb1ESQ_SR_ST_SU_SY_EESZ_S10_S11_S12_S16_S17_S18_S1B_S1C_jS1D_jS1E_S1E_jjS1G_bEUljE0_EEESZ_S10_S11_S18_S1C_S1E_T6_T7_T9_mT8_S1G_bDpT10_ENKUlT_T0_E_clISt17integral_constantIbLb1EES1T_IbLb0EEEEDaS1P_S1Q_EUlS1P_E_NS1_11comp_targetILNS1_3genE2ELNS1_11target_archE906ELNS1_3gpuE6ELNS1_3repE0EEENS1_30default_config_static_selectorELNS0_4arch9wavefront6targetE0EEEvS12_.private_seg_size, 0
	.set _ZN7rocprim17ROCPRIM_400000_NS6detail17trampoline_kernelINS0_13select_configILj256ELj13ELNS0_17block_load_methodE3ELS4_3ELS4_3ELNS0_20block_scan_algorithmE0ELj4294967295EEENS1_25partition_config_selectorILNS1_17partition_subalgoE4EjNS0_10empty_typeEbEEZZNS1_14partition_implILS8_4ELb0ES6_15HIP_vector_typeIjLj2EENS0_17counting_iteratorIjlEEPS9_SG_NS0_5tupleIJPjSI_NS0_16reverse_iteratorISI_EEEEENSH_IJSG_SG_SG_EEES9_SI_JZNS1_25segmented_radix_sort_implINS0_14default_configELb1EPKbPbPKlPlN2at6native12_GLOBAL__N_18offset_tEEE10hipError_tPvRmT1_PNSt15iterator_traitsIS12_E10value_typeET2_T3_PNS13_IS18_E10value_typeET4_jRbjT5_S1E_jjP12ihipStream_tbEUljE_ZNSN_ISO_Lb1ESQ_SR_ST_SU_SY_EESZ_S10_S11_S12_S16_S17_S18_S1B_S1C_jS1D_jS1E_S1E_jjS1G_bEUljE0_EEESZ_S10_S11_S18_S1C_S1E_T6_T7_T9_mT8_S1G_bDpT10_ENKUlT_T0_E_clISt17integral_constantIbLb1EES1T_IbLb0EEEEDaS1P_S1Q_EUlS1P_E_NS1_11comp_targetILNS1_3genE2ELNS1_11target_archE906ELNS1_3gpuE6ELNS1_3repE0EEENS1_30default_config_static_selectorELNS0_4arch9wavefront6targetE0EEEvS12_.uses_vcc, 0
	.set _ZN7rocprim17ROCPRIM_400000_NS6detail17trampoline_kernelINS0_13select_configILj256ELj13ELNS0_17block_load_methodE3ELS4_3ELS4_3ELNS0_20block_scan_algorithmE0ELj4294967295EEENS1_25partition_config_selectorILNS1_17partition_subalgoE4EjNS0_10empty_typeEbEEZZNS1_14partition_implILS8_4ELb0ES6_15HIP_vector_typeIjLj2EENS0_17counting_iteratorIjlEEPS9_SG_NS0_5tupleIJPjSI_NS0_16reverse_iteratorISI_EEEEENSH_IJSG_SG_SG_EEES9_SI_JZNS1_25segmented_radix_sort_implINS0_14default_configELb1EPKbPbPKlPlN2at6native12_GLOBAL__N_18offset_tEEE10hipError_tPvRmT1_PNSt15iterator_traitsIS12_E10value_typeET2_T3_PNS13_IS18_E10value_typeET4_jRbjT5_S1E_jjP12ihipStream_tbEUljE_ZNSN_ISO_Lb1ESQ_SR_ST_SU_SY_EESZ_S10_S11_S12_S16_S17_S18_S1B_S1C_jS1D_jS1E_S1E_jjS1G_bEUljE0_EEESZ_S10_S11_S18_S1C_S1E_T6_T7_T9_mT8_S1G_bDpT10_ENKUlT_T0_E_clISt17integral_constantIbLb1EES1T_IbLb0EEEEDaS1P_S1Q_EUlS1P_E_NS1_11comp_targetILNS1_3genE2ELNS1_11target_archE906ELNS1_3gpuE6ELNS1_3repE0EEENS1_30default_config_static_selectorELNS0_4arch9wavefront6targetE0EEEvS12_.uses_flat_scratch, 0
	.set _ZN7rocprim17ROCPRIM_400000_NS6detail17trampoline_kernelINS0_13select_configILj256ELj13ELNS0_17block_load_methodE3ELS4_3ELS4_3ELNS0_20block_scan_algorithmE0ELj4294967295EEENS1_25partition_config_selectorILNS1_17partition_subalgoE4EjNS0_10empty_typeEbEEZZNS1_14partition_implILS8_4ELb0ES6_15HIP_vector_typeIjLj2EENS0_17counting_iteratorIjlEEPS9_SG_NS0_5tupleIJPjSI_NS0_16reverse_iteratorISI_EEEEENSH_IJSG_SG_SG_EEES9_SI_JZNS1_25segmented_radix_sort_implINS0_14default_configELb1EPKbPbPKlPlN2at6native12_GLOBAL__N_18offset_tEEE10hipError_tPvRmT1_PNSt15iterator_traitsIS12_E10value_typeET2_T3_PNS13_IS18_E10value_typeET4_jRbjT5_S1E_jjP12ihipStream_tbEUljE_ZNSN_ISO_Lb1ESQ_SR_ST_SU_SY_EESZ_S10_S11_S12_S16_S17_S18_S1B_S1C_jS1D_jS1E_S1E_jjS1G_bEUljE0_EEESZ_S10_S11_S18_S1C_S1E_T6_T7_T9_mT8_S1G_bDpT10_ENKUlT_T0_E_clISt17integral_constantIbLb1EES1T_IbLb0EEEEDaS1P_S1Q_EUlS1P_E_NS1_11comp_targetILNS1_3genE2ELNS1_11target_archE906ELNS1_3gpuE6ELNS1_3repE0EEENS1_30default_config_static_selectorELNS0_4arch9wavefront6targetE0EEEvS12_.has_dyn_sized_stack, 0
	.set _ZN7rocprim17ROCPRIM_400000_NS6detail17trampoline_kernelINS0_13select_configILj256ELj13ELNS0_17block_load_methodE3ELS4_3ELS4_3ELNS0_20block_scan_algorithmE0ELj4294967295EEENS1_25partition_config_selectorILNS1_17partition_subalgoE4EjNS0_10empty_typeEbEEZZNS1_14partition_implILS8_4ELb0ES6_15HIP_vector_typeIjLj2EENS0_17counting_iteratorIjlEEPS9_SG_NS0_5tupleIJPjSI_NS0_16reverse_iteratorISI_EEEEENSH_IJSG_SG_SG_EEES9_SI_JZNS1_25segmented_radix_sort_implINS0_14default_configELb1EPKbPbPKlPlN2at6native12_GLOBAL__N_18offset_tEEE10hipError_tPvRmT1_PNSt15iterator_traitsIS12_E10value_typeET2_T3_PNS13_IS18_E10value_typeET4_jRbjT5_S1E_jjP12ihipStream_tbEUljE_ZNSN_ISO_Lb1ESQ_SR_ST_SU_SY_EESZ_S10_S11_S12_S16_S17_S18_S1B_S1C_jS1D_jS1E_S1E_jjS1G_bEUljE0_EEESZ_S10_S11_S18_S1C_S1E_T6_T7_T9_mT8_S1G_bDpT10_ENKUlT_T0_E_clISt17integral_constantIbLb1EES1T_IbLb0EEEEDaS1P_S1Q_EUlS1P_E_NS1_11comp_targetILNS1_3genE2ELNS1_11target_archE906ELNS1_3gpuE6ELNS1_3repE0EEENS1_30default_config_static_selectorELNS0_4arch9wavefront6targetE0EEEvS12_.has_recursion, 0
	.set _ZN7rocprim17ROCPRIM_400000_NS6detail17trampoline_kernelINS0_13select_configILj256ELj13ELNS0_17block_load_methodE3ELS4_3ELS4_3ELNS0_20block_scan_algorithmE0ELj4294967295EEENS1_25partition_config_selectorILNS1_17partition_subalgoE4EjNS0_10empty_typeEbEEZZNS1_14partition_implILS8_4ELb0ES6_15HIP_vector_typeIjLj2EENS0_17counting_iteratorIjlEEPS9_SG_NS0_5tupleIJPjSI_NS0_16reverse_iteratorISI_EEEEENSH_IJSG_SG_SG_EEES9_SI_JZNS1_25segmented_radix_sort_implINS0_14default_configELb1EPKbPbPKlPlN2at6native12_GLOBAL__N_18offset_tEEE10hipError_tPvRmT1_PNSt15iterator_traitsIS12_E10value_typeET2_T3_PNS13_IS18_E10value_typeET4_jRbjT5_S1E_jjP12ihipStream_tbEUljE_ZNSN_ISO_Lb1ESQ_SR_ST_SU_SY_EESZ_S10_S11_S12_S16_S17_S18_S1B_S1C_jS1D_jS1E_S1E_jjS1G_bEUljE0_EEESZ_S10_S11_S18_S1C_S1E_T6_T7_T9_mT8_S1G_bDpT10_ENKUlT_T0_E_clISt17integral_constantIbLb1EES1T_IbLb0EEEEDaS1P_S1Q_EUlS1P_E_NS1_11comp_targetILNS1_3genE2ELNS1_11target_archE906ELNS1_3gpuE6ELNS1_3repE0EEENS1_30default_config_static_selectorELNS0_4arch9wavefront6targetE0EEEvS12_.has_indirect_call, 0
	.section	.AMDGPU.csdata,"",@progbits
; Kernel info:
; codeLenInByte = 0
; TotalNumSgprs: 0
; NumVgprs: 0
; ScratchSize: 0
; MemoryBound: 0
; FloatMode: 240
; IeeeMode: 1
; LDSByteSize: 0 bytes/workgroup (compile time only)
; SGPRBlocks: 0
; VGPRBlocks: 0
; NumSGPRsForWavesPerEU: 1
; NumVGPRsForWavesPerEU: 1
; Occupancy: 16
; WaveLimiterHint : 0
; COMPUTE_PGM_RSRC2:SCRATCH_EN: 0
; COMPUTE_PGM_RSRC2:USER_SGPR: 2
; COMPUTE_PGM_RSRC2:TRAP_HANDLER: 0
; COMPUTE_PGM_RSRC2:TGID_X_EN: 1
; COMPUTE_PGM_RSRC2:TGID_Y_EN: 0
; COMPUTE_PGM_RSRC2:TGID_Z_EN: 0
; COMPUTE_PGM_RSRC2:TIDIG_COMP_CNT: 0
	.section	.text._ZN7rocprim17ROCPRIM_400000_NS6detail17trampoline_kernelINS0_13select_configILj256ELj13ELNS0_17block_load_methodE3ELS4_3ELS4_3ELNS0_20block_scan_algorithmE0ELj4294967295EEENS1_25partition_config_selectorILNS1_17partition_subalgoE4EjNS0_10empty_typeEbEEZZNS1_14partition_implILS8_4ELb0ES6_15HIP_vector_typeIjLj2EENS0_17counting_iteratorIjlEEPS9_SG_NS0_5tupleIJPjSI_NS0_16reverse_iteratorISI_EEEEENSH_IJSG_SG_SG_EEES9_SI_JZNS1_25segmented_radix_sort_implINS0_14default_configELb1EPKbPbPKlPlN2at6native12_GLOBAL__N_18offset_tEEE10hipError_tPvRmT1_PNSt15iterator_traitsIS12_E10value_typeET2_T3_PNS13_IS18_E10value_typeET4_jRbjT5_S1E_jjP12ihipStream_tbEUljE_ZNSN_ISO_Lb1ESQ_SR_ST_SU_SY_EESZ_S10_S11_S12_S16_S17_S18_S1B_S1C_jS1D_jS1E_S1E_jjS1G_bEUljE0_EEESZ_S10_S11_S18_S1C_S1E_T6_T7_T9_mT8_S1G_bDpT10_ENKUlT_T0_E_clISt17integral_constantIbLb1EES1T_IbLb0EEEEDaS1P_S1Q_EUlS1P_E_NS1_11comp_targetILNS1_3genE10ELNS1_11target_archE1200ELNS1_3gpuE4ELNS1_3repE0EEENS1_30default_config_static_selectorELNS0_4arch9wavefront6targetE0EEEvS12_,"axG",@progbits,_ZN7rocprim17ROCPRIM_400000_NS6detail17trampoline_kernelINS0_13select_configILj256ELj13ELNS0_17block_load_methodE3ELS4_3ELS4_3ELNS0_20block_scan_algorithmE0ELj4294967295EEENS1_25partition_config_selectorILNS1_17partition_subalgoE4EjNS0_10empty_typeEbEEZZNS1_14partition_implILS8_4ELb0ES6_15HIP_vector_typeIjLj2EENS0_17counting_iteratorIjlEEPS9_SG_NS0_5tupleIJPjSI_NS0_16reverse_iteratorISI_EEEEENSH_IJSG_SG_SG_EEES9_SI_JZNS1_25segmented_radix_sort_implINS0_14default_configELb1EPKbPbPKlPlN2at6native12_GLOBAL__N_18offset_tEEE10hipError_tPvRmT1_PNSt15iterator_traitsIS12_E10value_typeET2_T3_PNS13_IS18_E10value_typeET4_jRbjT5_S1E_jjP12ihipStream_tbEUljE_ZNSN_ISO_Lb1ESQ_SR_ST_SU_SY_EESZ_S10_S11_S12_S16_S17_S18_S1B_S1C_jS1D_jS1E_S1E_jjS1G_bEUljE0_EEESZ_S10_S11_S18_S1C_S1E_T6_T7_T9_mT8_S1G_bDpT10_ENKUlT_T0_E_clISt17integral_constantIbLb1EES1T_IbLb0EEEEDaS1P_S1Q_EUlS1P_E_NS1_11comp_targetILNS1_3genE10ELNS1_11target_archE1200ELNS1_3gpuE4ELNS1_3repE0EEENS1_30default_config_static_selectorELNS0_4arch9wavefront6targetE0EEEvS12_,comdat
	.globl	_ZN7rocprim17ROCPRIM_400000_NS6detail17trampoline_kernelINS0_13select_configILj256ELj13ELNS0_17block_load_methodE3ELS4_3ELS4_3ELNS0_20block_scan_algorithmE0ELj4294967295EEENS1_25partition_config_selectorILNS1_17partition_subalgoE4EjNS0_10empty_typeEbEEZZNS1_14partition_implILS8_4ELb0ES6_15HIP_vector_typeIjLj2EENS0_17counting_iteratorIjlEEPS9_SG_NS0_5tupleIJPjSI_NS0_16reverse_iteratorISI_EEEEENSH_IJSG_SG_SG_EEES9_SI_JZNS1_25segmented_radix_sort_implINS0_14default_configELb1EPKbPbPKlPlN2at6native12_GLOBAL__N_18offset_tEEE10hipError_tPvRmT1_PNSt15iterator_traitsIS12_E10value_typeET2_T3_PNS13_IS18_E10value_typeET4_jRbjT5_S1E_jjP12ihipStream_tbEUljE_ZNSN_ISO_Lb1ESQ_SR_ST_SU_SY_EESZ_S10_S11_S12_S16_S17_S18_S1B_S1C_jS1D_jS1E_S1E_jjS1G_bEUljE0_EEESZ_S10_S11_S18_S1C_S1E_T6_T7_T9_mT8_S1G_bDpT10_ENKUlT_T0_E_clISt17integral_constantIbLb1EES1T_IbLb0EEEEDaS1P_S1Q_EUlS1P_E_NS1_11comp_targetILNS1_3genE10ELNS1_11target_archE1200ELNS1_3gpuE4ELNS1_3repE0EEENS1_30default_config_static_selectorELNS0_4arch9wavefront6targetE0EEEvS12_ ; -- Begin function _ZN7rocprim17ROCPRIM_400000_NS6detail17trampoline_kernelINS0_13select_configILj256ELj13ELNS0_17block_load_methodE3ELS4_3ELS4_3ELNS0_20block_scan_algorithmE0ELj4294967295EEENS1_25partition_config_selectorILNS1_17partition_subalgoE4EjNS0_10empty_typeEbEEZZNS1_14partition_implILS8_4ELb0ES6_15HIP_vector_typeIjLj2EENS0_17counting_iteratorIjlEEPS9_SG_NS0_5tupleIJPjSI_NS0_16reverse_iteratorISI_EEEEENSH_IJSG_SG_SG_EEES9_SI_JZNS1_25segmented_radix_sort_implINS0_14default_configELb1EPKbPbPKlPlN2at6native12_GLOBAL__N_18offset_tEEE10hipError_tPvRmT1_PNSt15iterator_traitsIS12_E10value_typeET2_T3_PNS13_IS18_E10value_typeET4_jRbjT5_S1E_jjP12ihipStream_tbEUljE_ZNSN_ISO_Lb1ESQ_SR_ST_SU_SY_EESZ_S10_S11_S12_S16_S17_S18_S1B_S1C_jS1D_jS1E_S1E_jjS1G_bEUljE0_EEESZ_S10_S11_S18_S1C_S1E_T6_T7_T9_mT8_S1G_bDpT10_ENKUlT_T0_E_clISt17integral_constantIbLb1EES1T_IbLb0EEEEDaS1P_S1Q_EUlS1P_E_NS1_11comp_targetILNS1_3genE10ELNS1_11target_archE1200ELNS1_3gpuE4ELNS1_3repE0EEENS1_30default_config_static_selectorELNS0_4arch9wavefront6targetE0EEEvS12_
	.p2align	8
	.type	_ZN7rocprim17ROCPRIM_400000_NS6detail17trampoline_kernelINS0_13select_configILj256ELj13ELNS0_17block_load_methodE3ELS4_3ELS4_3ELNS0_20block_scan_algorithmE0ELj4294967295EEENS1_25partition_config_selectorILNS1_17partition_subalgoE4EjNS0_10empty_typeEbEEZZNS1_14partition_implILS8_4ELb0ES6_15HIP_vector_typeIjLj2EENS0_17counting_iteratorIjlEEPS9_SG_NS0_5tupleIJPjSI_NS0_16reverse_iteratorISI_EEEEENSH_IJSG_SG_SG_EEES9_SI_JZNS1_25segmented_radix_sort_implINS0_14default_configELb1EPKbPbPKlPlN2at6native12_GLOBAL__N_18offset_tEEE10hipError_tPvRmT1_PNSt15iterator_traitsIS12_E10value_typeET2_T3_PNS13_IS18_E10value_typeET4_jRbjT5_S1E_jjP12ihipStream_tbEUljE_ZNSN_ISO_Lb1ESQ_SR_ST_SU_SY_EESZ_S10_S11_S12_S16_S17_S18_S1B_S1C_jS1D_jS1E_S1E_jjS1G_bEUljE0_EEESZ_S10_S11_S18_S1C_S1E_T6_T7_T9_mT8_S1G_bDpT10_ENKUlT_T0_E_clISt17integral_constantIbLb1EES1T_IbLb0EEEEDaS1P_S1Q_EUlS1P_E_NS1_11comp_targetILNS1_3genE10ELNS1_11target_archE1200ELNS1_3gpuE4ELNS1_3repE0EEENS1_30default_config_static_selectorELNS0_4arch9wavefront6targetE0EEEvS12_,@function
_ZN7rocprim17ROCPRIM_400000_NS6detail17trampoline_kernelINS0_13select_configILj256ELj13ELNS0_17block_load_methodE3ELS4_3ELS4_3ELNS0_20block_scan_algorithmE0ELj4294967295EEENS1_25partition_config_selectorILNS1_17partition_subalgoE4EjNS0_10empty_typeEbEEZZNS1_14partition_implILS8_4ELb0ES6_15HIP_vector_typeIjLj2EENS0_17counting_iteratorIjlEEPS9_SG_NS0_5tupleIJPjSI_NS0_16reverse_iteratorISI_EEEEENSH_IJSG_SG_SG_EEES9_SI_JZNS1_25segmented_radix_sort_implINS0_14default_configELb1EPKbPbPKlPlN2at6native12_GLOBAL__N_18offset_tEEE10hipError_tPvRmT1_PNSt15iterator_traitsIS12_E10value_typeET2_T3_PNS13_IS18_E10value_typeET4_jRbjT5_S1E_jjP12ihipStream_tbEUljE_ZNSN_ISO_Lb1ESQ_SR_ST_SU_SY_EESZ_S10_S11_S12_S16_S17_S18_S1B_S1C_jS1D_jS1E_S1E_jjS1G_bEUljE0_EEESZ_S10_S11_S18_S1C_S1E_T6_T7_T9_mT8_S1G_bDpT10_ENKUlT_T0_E_clISt17integral_constantIbLb1EES1T_IbLb0EEEEDaS1P_S1Q_EUlS1P_E_NS1_11comp_targetILNS1_3genE10ELNS1_11target_archE1200ELNS1_3gpuE4ELNS1_3repE0EEENS1_30default_config_static_selectorELNS0_4arch9wavefront6targetE0EEEvS12_: ; @_ZN7rocprim17ROCPRIM_400000_NS6detail17trampoline_kernelINS0_13select_configILj256ELj13ELNS0_17block_load_methodE3ELS4_3ELS4_3ELNS0_20block_scan_algorithmE0ELj4294967295EEENS1_25partition_config_selectorILNS1_17partition_subalgoE4EjNS0_10empty_typeEbEEZZNS1_14partition_implILS8_4ELb0ES6_15HIP_vector_typeIjLj2EENS0_17counting_iteratorIjlEEPS9_SG_NS0_5tupleIJPjSI_NS0_16reverse_iteratorISI_EEEEENSH_IJSG_SG_SG_EEES9_SI_JZNS1_25segmented_radix_sort_implINS0_14default_configELb1EPKbPbPKlPlN2at6native12_GLOBAL__N_18offset_tEEE10hipError_tPvRmT1_PNSt15iterator_traitsIS12_E10value_typeET2_T3_PNS13_IS18_E10value_typeET4_jRbjT5_S1E_jjP12ihipStream_tbEUljE_ZNSN_ISO_Lb1ESQ_SR_ST_SU_SY_EESZ_S10_S11_S12_S16_S17_S18_S1B_S1C_jS1D_jS1E_S1E_jjS1G_bEUljE0_EEESZ_S10_S11_S18_S1C_S1E_T6_T7_T9_mT8_S1G_bDpT10_ENKUlT_T0_E_clISt17integral_constantIbLb1EES1T_IbLb0EEEEDaS1P_S1Q_EUlS1P_E_NS1_11comp_targetILNS1_3genE10ELNS1_11target_archE1200ELNS1_3gpuE4ELNS1_3repE0EEENS1_30default_config_static_selectorELNS0_4arch9wavefront6targetE0EEEvS12_
; %bb.0:
	s_endpgm
	.section	.rodata,"a",@progbits
	.p2align	6, 0x0
	.amdhsa_kernel _ZN7rocprim17ROCPRIM_400000_NS6detail17trampoline_kernelINS0_13select_configILj256ELj13ELNS0_17block_load_methodE3ELS4_3ELS4_3ELNS0_20block_scan_algorithmE0ELj4294967295EEENS1_25partition_config_selectorILNS1_17partition_subalgoE4EjNS0_10empty_typeEbEEZZNS1_14partition_implILS8_4ELb0ES6_15HIP_vector_typeIjLj2EENS0_17counting_iteratorIjlEEPS9_SG_NS0_5tupleIJPjSI_NS0_16reverse_iteratorISI_EEEEENSH_IJSG_SG_SG_EEES9_SI_JZNS1_25segmented_radix_sort_implINS0_14default_configELb1EPKbPbPKlPlN2at6native12_GLOBAL__N_18offset_tEEE10hipError_tPvRmT1_PNSt15iterator_traitsIS12_E10value_typeET2_T3_PNS13_IS18_E10value_typeET4_jRbjT5_S1E_jjP12ihipStream_tbEUljE_ZNSN_ISO_Lb1ESQ_SR_ST_SU_SY_EESZ_S10_S11_S12_S16_S17_S18_S1B_S1C_jS1D_jS1E_S1E_jjS1G_bEUljE0_EEESZ_S10_S11_S18_S1C_S1E_T6_T7_T9_mT8_S1G_bDpT10_ENKUlT_T0_E_clISt17integral_constantIbLb1EES1T_IbLb0EEEEDaS1P_S1Q_EUlS1P_E_NS1_11comp_targetILNS1_3genE10ELNS1_11target_archE1200ELNS1_3gpuE4ELNS1_3repE0EEENS1_30default_config_static_selectorELNS0_4arch9wavefront6targetE0EEEvS12_
		.amdhsa_group_segment_fixed_size 0
		.amdhsa_private_segment_fixed_size 0
		.amdhsa_kernarg_size 176
		.amdhsa_user_sgpr_count 2
		.amdhsa_user_sgpr_dispatch_ptr 0
		.amdhsa_user_sgpr_queue_ptr 0
		.amdhsa_user_sgpr_kernarg_segment_ptr 1
		.amdhsa_user_sgpr_dispatch_id 0
		.amdhsa_user_sgpr_private_segment_size 0
		.amdhsa_wavefront_size32 1
		.amdhsa_uses_dynamic_stack 0
		.amdhsa_enable_private_segment 0
		.amdhsa_system_sgpr_workgroup_id_x 1
		.amdhsa_system_sgpr_workgroup_id_y 0
		.amdhsa_system_sgpr_workgroup_id_z 0
		.amdhsa_system_sgpr_workgroup_info 0
		.amdhsa_system_vgpr_workitem_id 0
		.amdhsa_next_free_vgpr 1
		.amdhsa_next_free_sgpr 1
		.amdhsa_reserve_vcc 0
		.amdhsa_float_round_mode_32 0
		.amdhsa_float_round_mode_16_64 0
		.amdhsa_float_denorm_mode_32 3
		.amdhsa_float_denorm_mode_16_64 3
		.amdhsa_fp16_overflow 0
		.amdhsa_workgroup_processor_mode 1
		.amdhsa_memory_ordered 1
		.amdhsa_forward_progress 1
		.amdhsa_inst_pref_size 1
		.amdhsa_round_robin_scheduling 0
		.amdhsa_exception_fp_ieee_invalid_op 0
		.amdhsa_exception_fp_denorm_src 0
		.amdhsa_exception_fp_ieee_div_zero 0
		.amdhsa_exception_fp_ieee_overflow 0
		.amdhsa_exception_fp_ieee_underflow 0
		.amdhsa_exception_fp_ieee_inexact 0
		.amdhsa_exception_int_div_zero 0
	.end_amdhsa_kernel
	.section	.text._ZN7rocprim17ROCPRIM_400000_NS6detail17trampoline_kernelINS0_13select_configILj256ELj13ELNS0_17block_load_methodE3ELS4_3ELS4_3ELNS0_20block_scan_algorithmE0ELj4294967295EEENS1_25partition_config_selectorILNS1_17partition_subalgoE4EjNS0_10empty_typeEbEEZZNS1_14partition_implILS8_4ELb0ES6_15HIP_vector_typeIjLj2EENS0_17counting_iteratorIjlEEPS9_SG_NS0_5tupleIJPjSI_NS0_16reverse_iteratorISI_EEEEENSH_IJSG_SG_SG_EEES9_SI_JZNS1_25segmented_radix_sort_implINS0_14default_configELb1EPKbPbPKlPlN2at6native12_GLOBAL__N_18offset_tEEE10hipError_tPvRmT1_PNSt15iterator_traitsIS12_E10value_typeET2_T3_PNS13_IS18_E10value_typeET4_jRbjT5_S1E_jjP12ihipStream_tbEUljE_ZNSN_ISO_Lb1ESQ_SR_ST_SU_SY_EESZ_S10_S11_S12_S16_S17_S18_S1B_S1C_jS1D_jS1E_S1E_jjS1G_bEUljE0_EEESZ_S10_S11_S18_S1C_S1E_T6_T7_T9_mT8_S1G_bDpT10_ENKUlT_T0_E_clISt17integral_constantIbLb1EES1T_IbLb0EEEEDaS1P_S1Q_EUlS1P_E_NS1_11comp_targetILNS1_3genE10ELNS1_11target_archE1200ELNS1_3gpuE4ELNS1_3repE0EEENS1_30default_config_static_selectorELNS0_4arch9wavefront6targetE0EEEvS12_,"axG",@progbits,_ZN7rocprim17ROCPRIM_400000_NS6detail17trampoline_kernelINS0_13select_configILj256ELj13ELNS0_17block_load_methodE3ELS4_3ELS4_3ELNS0_20block_scan_algorithmE0ELj4294967295EEENS1_25partition_config_selectorILNS1_17partition_subalgoE4EjNS0_10empty_typeEbEEZZNS1_14partition_implILS8_4ELb0ES6_15HIP_vector_typeIjLj2EENS0_17counting_iteratorIjlEEPS9_SG_NS0_5tupleIJPjSI_NS0_16reverse_iteratorISI_EEEEENSH_IJSG_SG_SG_EEES9_SI_JZNS1_25segmented_radix_sort_implINS0_14default_configELb1EPKbPbPKlPlN2at6native12_GLOBAL__N_18offset_tEEE10hipError_tPvRmT1_PNSt15iterator_traitsIS12_E10value_typeET2_T3_PNS13_IS18_E10value_typeET4_jRbjT5_S1E_jjP12ihipStream_tbEUljE_ZNSN_ISO_Lb1ESQ_SR_ST_SU_SY_EESZ_S10_S11_S12_S16_S17_S18_S1B_S1C_jS1D_jS1E_S1E_jjS1G_bEUljE0_EEESZ_S10_S11_S18_S1C_S1E_T6_T7_T9_mT8_S1G_bDpT10_ENKUlT_T0_E_clISt17integral_constantIbLb1EES1T_IbLb0EEEEDaS1P_S1Q_EUlS1P_E_NS1_11comp_targetILNS1_3genE10ELNS1_11target_archE1200ELNS1_3gpuE4ELNS1_3repE0EEENS1_30default_config_static_selectorELNS0_4arch9wavefront6targetE0EEEvS12_,comdat
.Lfunc_end1489:
	.size	_ZN7rocprim17ROCPRIM_400000_NS6detail17trampoline_kernelINS0_13select_configILj256ELj13ELNS0_17block_load_methodE3ELS4_3ELS4_3ELNS0_20block_scan_algorithmE0ELj4294967295EEENS1_25partition_config_selectorILNS1_17partition_subalgoE4EjNS0_10empty_typeEbEEZZNS1_14partition_implILS8_4ELb0ES6_15HIP_vector_typeIjLj2EENS0_17counting_iteratorIjlEEPS9_SG_NS0_5tupleIJPjSI_NS0_16reverse_iteratorISI_EEEEENSH_IJSG_SG_SG_EEES9_SI_JZNS1_25segmented_radix_sort_implINS0_14default_configELb1EPKbPbPKlPlN2at6native12_GLOBAL__N_18offset_tEEE10hipError_tPvRmT1_PNSt15iterator_traitsIS12_E10value_typeET2_T3_PNS13_IS18_E10value_typeET4_jRbjT5_S1E_jjP12ihipStream_tbEUljE_ZNSN_ISO_Lb1ESQ_SR_ST_SU_SY_EESZ_S10_S11_S12_S16_S17_S18_S1B_S1C_jS1D_jS1E_S1E_jjS1G_bEUljE0_EEESZ_S10_S11_S18_S1C_S1E_T6_T7_T9_mT8_S1G_bDpT10_ENKUlT_T0_E_clISt17integral_constantIbLb1EES1T_IbLb0EEEEDaS1P_S1Q_EUlS1P_E_NS1_11comp_targetILNS1_3genE10ELNS1_11target_archE1200ELNS1_3gpuE4ELNS1_3repE0EEENS1_30default_config_static_selectorELNS0_4arch9wavefront6targetE0EEEvS12_, .Lfunc_end1489-_ZN7rocprim17ROCPRIM_400000_NS6detail17trampoline_kernelINS0_13select_configILj256ELj13ELNS0_17block_load_methodE3ELS4_3ELS4_3ELNS0_20block_scan_algorithmE0ELj4294967295EEENS1_25partition_config_selectorILNS1_17partition_subalgoE4EjNS0_10empty_typeEbEEZZNS1_14partition_implILS8_4ELb0ES6_15HIP_vector_typeIjLj2EENS0_17counting_iteratorIjlEEPS9_SG_NS0_5tupleIJPjSI_NS0_16reverse_iteratorISI_EEEEENSH_IJSG_SG_SG_EEES9_SI_JZNS1_25segmented_radix_sort_implINS0_14default_configELb1EPKbPbPKlPlN2at6native12_GLOBAL__N_18offset_tEEE10hipError_tPvRmT1_PNSt15iterator_traitsIS12_E10value_typeET2_T3_PNS13_IS18_E10value_typeET4_jRbjT5_S1E_jjP12ihipStream_tbEUljE_ZNSN_ISO_Lb1ESQ_SR_ST_SU_SY_EESZ_S10_S11_S12_S16_S17_S18_S1B_S1C_jS1D_jS1E_S1E_jjS1G_bEUljE0_EEESZ_S10_S11_S18_S1C_S1E_T6_T7_T9_mT8_S1G_bDpT10_ENKUlT_T0_E_clISt17integral_constantIbLb1EES1T_IbLb0EEEEDaS1P_S1Q_EUlS1P_E_NS1_11comp_targetILNS1_3genE10ELNS1_11target_archE1200ELNS1_3gpuE4ELNS1_3repE0EEENS1_30default_config_static_selectorELNS0_4arch9wavefront6targetE0EEEvS12_
                                        ; -- End function
	.set _ZN7rocprim17ROCPRIM_400000_NS6detail17trampoline_kernelINS0_13select_configILj256ELj13ELNS0_17block_load_methodE3ELS4_3ELS4_3ELNS0_20block_scan_algorithmE0ELj4294967295EEENS1_25partition_config_selectorILNS1_17partition_subalgoE4EjNS0_10empty_typeEbEEZZNS1_14partition_implILS8_4ELb0ES6_15HIP_vector_typeIjLj2EENS0_17counting_iteratorIjlEEPS9_SG_NS0_5tupleIJPjSI_NS0_16reverse_iteratorISI_EEEEENSH_IJSG_SG_SG_EEES9_SI_JZNS1_25segmented_radix_sort_implINS0_14default_configELb1EPKbPbPKlPlN2at6native12_GLOBAL__N_18offset_tEEE10hipError_tPvRmT1_PNSt15iterator_traitsIS12_E10value_typeET2_T3_PNS13_IS18_E10value_typeET4_jRbjT5_S1E_jjP12ihipStream_tbEUljE_ZNSN_ISO_Lb1ESQ_SR_ST_SU_SY_EESZ_S10_S11_S12_S16_S17_S18_S1B_S1C_jS1D_jS1E_S1E_jjS1G_bEUljE0_EEESZ_S10_S11_S18_S1C_S1E_T6_T7_T9_mT8_S1G_bDpT10_ENKUlT_T0_E_clISt17integral_constantIbLb1EES1T_IbLb0EEEEDaS1P_S1Q_EUlS1P_E_NS1_11comp_targetILNS1_3genE10ELNS1_11target_archE1200ELNS1_3gpuE4ELNS1_3repE0EEENS1_30default_config_static_selectorELNS0_4arch9wavefront6targetE0EEEvS12_.num_vgpr, 0
	.set _ZN7rocprim17ROCPRIM_400000_NS6detail17trampoline_kernelINS0_13select_configILj256ELj13ELNS0_17block_load_methodE3ELS4_3ELS4_3ELNS0_20block_scan_algorithmE0ELj4294967295EEENS1_25partition_config_selectorILNS1_17partition_subalgoE4EjNS0_10empty_typeEbEEZZNS1_14partition_implILS8_4ELb0ES6_15HIP_vector_typeIjLj2EENS0_17counting_iteratorIjlEEPS9_SG_NS0_5tupleIJPjSI_NS0_16reverse_iteratorISI_EEEEENSH_IJSG_SG_SG_EEES9_SI_JZNS1_25segmented_radix_sort_implINS0_14default_configELb1EPKbPbPKlPlN2at6native12_GLOBAL__N_18offset_tEEE10hipError_tPvRmT1_PNSt15iterator_traitsIS12_E10value_typeET2_T3_PNS13_IS18_E10value_typeET4_jRbjT5_S1E_jjP12ihipStream_tbEUljE_ZNSN_ISO_Lb1ESQ_SR_ST_SU_SY_EESZ_S10_S11_S12_S16_S17_S18_S1B_S1C_jS1D_jS1E_S1E_jjS1G_bEUljE0_EEESZ_S10_S11_S18_S1C_S1E_T6_T7_T9_mT8_S1G_bDpT10_ENKUlT_T0_E_clISt17integral_constantIbLb1EES1T_IbLb0EEEEDaS1P_S1Q_EUlS1P_E_NS1_11comp_targetILNS1_3genE10ELNS1_11target_archE1200ELNS1_3gpuE4ELNS1_3repE0EEENS1_30default_config_static_selectorELNS0_4arch9wavefront6targetE0EEEvS12_.num_agpr, 0
	.set _ZN7rocprim17ROCPRIM_400000_NS6detail17trampoline_kernelINS0_13select_configILj256ELj13ELNS0_17block_load_methodE3ELS4_3ELS4_3ELNS0_20block_scan_algorithmE0ELj4294967295EEENS1_25partition_config_selectorILNS1_17partition_subalgoE4EjNS0_10empty_typeEbEEZZNS1_14partition_implILS8_4ELb0ES6_15HIP_vector_typeIjLj2EENS0_17counting_iteratorIjlEEPS9_SG_NS0_5tupleIJPjSI_NS0_16reverse_iteratorISI_EEEEENSH_IJSG_SG_SG_EEES9_SI_JZNS1_25segmented_radix_sort_implINS0_14default_configELb1EPKbPbPKlPlN2at6native12_GLOBAL__N_18offset_tEEE10hipError_tPvRmT1_PNSt15iterator_traitsIS12_E10value_typeET2_T3_PNS13_IS18_E10value_typeET4_jRbjT5_S1E_jjP12ihipStream_tbEUljE_ZNSN_ISO_Lb1ESQ_SR_ST_SU_SY_EESZ_S10_S11_S12_S16_S17_S18_S1B_S1C_jS1D_jS1E_S1E_jjS1G_bEUljE0_EEESZ_S10_S11_S18_S1C_S1E_T6_T7_T9_mT8_S1G_bDpT10_ENKUlT_T0_E_clISt17integral_constantIbLb1EES1T_IbLb0EEEEDaS1P_S1Q_EUlS1P_E_NS1_11comp_targetILNS1_3genE10ELNS1_11target_archE1200ELNS1_3gpuE4ELNS1_3repE0EEENS1_30default_config_static_selectorELNS0_4arch9wavefront6targetE0EEEvS12_.numbered_sgpr, 0
	.set _ZN7rocprim17ROCPRIM_400000_NS6detail17trampoline_kernelINS0_13select_configILj256ELj13ELNS0_17block_load_methodE3ELS4_3ELS4_3ELNS0_20block_scan_algorithmE0ELj4294967295EEENS1_25partition_config_selectorILNS1_17partition_subalgoE4EjNS0_10empty_typeEbEEZZNS1_14partition_implILS8_4ELb0ES6_15HIP_vector_typeIjLj2EENS0_17counting_iteratorIjlEEPS9_SG_NS0_5tupleIJPjSI_NS0_16reverse_iteratorISI_EEEEENSH_IJSG_SG_SG_EEES9_SI_JZNS1_25segmented_radix_sort_implINS0_14default_configELb1EPKbPbPKlPlN2at6native12_GLOBAL__N_18offset_tEEE10hipError_tPvRmT1_PNSt15iterator_traitsIS12_E10value_typeET2_T3_PNS13_IS18_E10value_typeET4_jRbjT5_S1E_jjP12ihipStream_tbEUljE_ZNSN_ISO_Lb1ESQ_SR_ST_SU_SY_EESZ_S10_S11_S12_S16_S17_S18_S1B_S1C_jS1D_jS1E_S1E_jjS1G_bEUljE0_EEESZ_S10_S11_S18_S1C_S1E_T6_T7_T9_mT8_S1G_bDpT10_ENKUlT_T0_E_clISt17integral_constantIbLb1EES1T_IbLb0EEEEDaS1P_S1Q_EUlS1P_E_NS1_11comp_targetILNS1_3genE10ELNS1_11target_archE1200ELNS1_3gpuE4ELNS1_3repE0EEENS1_30default_config_static_selectorELNS0_4arch9wavefront6targetE0EEEvS12_.num_named_barrier, 0
	.set _ZN7rocprim17ROCPRIM_400000_NS6detail17trampoline_kernelINS0_13select_configILj256ELj13ELNS0_17block_load_methodE3ELS4_3ELS4_3ELNS0_20block_scan_algorithmE0ELj4294967295EEENS1_25partition_config_selectorILNS1_17partition_subalgoE4EjNS0_10empty_typeEbEEZZNS1_14partition_implILS8_4ELb0ES6_15HIP_vector_typeIjLj2EENS0_17counting_iteratorIjlEEPS9_SG_NS0_5tupleIJPjSI_NS0_16reverse_iteratorISI_EEEEENSH_IJSG_SG_SG_EEES9_SI_JZNS1_25segmented_radix_sort_implINS0_14default_configELb1EPKbPbPKlPlN2at6native12_GLOBAL__N_18offset_tEEE10hipError_tPvRmT1_PNSt15iterator_traitsIS12_E10value_typeET2_T3_PNS13_IS18_E10value_typeET4_jRbjT5_S1E_jjP12ihipStream_tbEUljE_ZNSN_ISO_Lb1ESQ_SR_ST_SU_SY_EESZ_S10_S11_S12_S16_S17_S18_S1B_S1C_jS1D_jS1E_S1E_jjS1G_bEUljE0_EEESZ_S10_S11_S18_S1C_S1E_T6_T7_T9_mT8_S1G_bDpT10_ENKUlT_T0_E_clISt17integral_constantIbLb1EES1T_IbLb0EEEEDaS1P_S1Q_EUlS1P_E_NS1_11comp_targetILNS1_3genE10ELNS1_11target_archE1200ELNS1_3gpuE4ELNS1_3repE0EEENS1_30default_config_static_selectorELNS0_4arch9wavefront6targetE0EEEvS12_.private_seg_size, 0
	.set _ZN7rocprim17ROCPRIM_400000_NS6detail17trampoline_kernelINS0_13select_configILj256ELj13ELNS0_17block_load_methodE3ELS4_3ELS4_3ELNS0_20block_scan_algorithmE0ELj4294967295EEENS1_25partition_config_selectorILNS1_17partition_subalgoE4EjNS0_10empty_typeEbEEZZNS1_14partition_implILS8_4ELb0ES6_15HIP_vector_typeIjLj2EENS0_17counting_iteratorIjlEEPS9_SG_NS0_5tupleIJPjSI_NS0_16reverse_iteratorISI_EEEEENSH_IJSG_SG_SG_EEES9_SI_JZNS1_25segmented_radix_sort_implINS0_14default_configELb1EPKbPbPKlPlN2at6native12_GLOBAL__N_18offset_tEEE10hipError_tPvRmT1_PNSt15iterator_traitsIS12_E10value_typeET2_T3_PNS13_IS18_E10value_typeET4_jRbjT5_S1E_jjP12ihipStream_tbEUljE_ZNSN_ISO_Lb1ESQ_SR_ST_SU_SY_EESZ_S10_S11_S12_S16_S17_S18_S1B_S1C_jS1D_jS1E_S1E_jjS1G_bEUljE0_EEESZ_S10_S11_S18_S1C_S1E_T6_T7_T9_mT8_S1G_bDpT10_ENKUlT_T0_E_clISt17integral_constantIbLb1EES1T_IbLb0EEEEDaS1P_S1Q_EUlS1P_E_NS1_11comp_targetILNS1_3genE10ELNS1_11target_archE1200ELNS1_3gpuE4ELNS1_3repE0EEENS1_30default_config_static_selectorELNS0_4arch9wavefront6targetE0EEEvS12_.uses_vcc, 0
	.set _ZN7rocprim17ROCPRIM_400000_NS6detail17trampoline_kernelINS0_13select_configILj256ELj13ELNS0_17block_load_methodE3ELS4_3ELS4_3ELNS0_20block_scan_algorithmE0ELj4294967295EEENS1_25partition_config_selectorILNS1_17partition_subalgoE4EjNS0_10empty_typeEbEEZZNS1_14partition_implILS8_4ELb0ES6_15HIP_vector_typeIjLj2EENS0_17counting_iteratorIjlEEPS9_SG_NS0_5tupleIJPjSI_NS0_16reverse_iteratorISI_EEEEENSH_IJSG_SG_SG_EEES9_SI_JZNS1_25segmented_radix_sort_implINS0_14default_configELb1EPKbPbPKlPlN2at6native12_GLOBAL__N_18offset_tEEE10hipError_tPvRmT1_PNSt15iterator_traitsIS12_E10value_typeET2_T3_PNS13_IS18_E10value_typeET4_jRbjT5_S1E_jjP12ihipStream_tbEUljE_ZNSN_ISO_Lb1ESQ_SR_ST_SU_SY_EESZ_S10_S11_S12_S16_S17_S18_S1B_S1C_jS1D_jS1E_S1E_jjS1G_bEUljE0_EEESZ_S10_S11_S18_S1C_S1E_T6_T7_T9_mT8_S1G_bDpT10_ENKUlT_T0_E_clISt17integral_constantIbLb1EES1T_IbLb0EEEEDaS1P_S1Q_EUlS1P_E_NS1_11comp_targetILNS1_3genE10ELNS1_11target_archE1200ELNS1_3gpuE4ELNS1_3repE0EEENS1_30default_config_static_selectorELNS0_4arch9wavefront6targetE0EEEvS12_.uses_flat_scratch, 0
	.set _ZN7rocprim17ROCPRIM_400000_NS6detail17trampoline_kernelINS0_13select_configILj256ELj13ELNS0_17block_load_methodE3ELS4_3ELS4_3ELNS0_20block_scan_algorithmE0ELj4294967295EEENS1_25partition_config_selectorILNS1_17partition_subalgoE4EjNS0_10empty_typeEbEEZZNS1_14partition_implILS8_4ELb0ES6_15HIP_vector_typeIjLj2EENS0_17counting_iteratorIjlEEPS9_SG_NS0_5tupleIJPjSI_NS0_16reverse_iteratorISI_EEEEENSH_IJSG_SG_SG_EEES9_SI_JZNS1_25segmented_radix_sort_implINS0_14default_configELb1EPKbPbPKlPlN2at6native12_GLOBAL__N_18offset_tEEE10hipError_tPvRmT1_PNSt15iterator_traitsIS12_E10value_typeET2_T3_PNS13_IS18_E10value_typeET4_jRbjT5_S1E_jjP12ihipStream_tbEUljE_ZNSN_ISO_Lb1ESQ_SR_ST_SU_SY_EESZ_S10_S11_S12_S16_S17_S18_S1B_S1C_jS1D_jS1E_S1E_jjS1G_bEUljE0_EEESZ_S10_S11_S18_S1C_S1E_T6_T7_T9_mT8_S1G_bDpT10_ENKUlT_T0_E_clISt17integral_constantIbLb1EES1T_IbLb0EEEEDaS1P_S1Q_EUlS1P_E_NS1_11comp_targetILNS1_3genE10ELNS1_11target_archE1200ELNS1_3gpuE4ELNS1_3repE0EEENS1_30default_config_static_selectorELNS0_4arch9wavefront6targetE0EEEvS12_.has_dyn_sized_stack, 0
	.set _ZN7rocprim17ROCPRIM_400000_NS6detail17trampoline_kernelINS0_13select_configILj256ELj13ELNS0_17block_load_methodE3ELS4_3ELS4_3ELNS0_20block_scan_algorithmE0ELj4294967295EEENS1_25partition_config_selectorILNS1_17partition_subalgoE4EjNS0_10empty_typeEbEEZZNS1_14partition_implILS8_4ELb0ES6_15HIP_vector_typeIjLj2EENS0_17counting_iteratorIjlEEPS9_SG_NS0_5tupleIJPjSI_NS0_16reverse_iteratorISI_EEEEENSH_IJSG_SG_SG_EEES9_SI_JZNS1_25segmented_radix_sort_implINS0_14default_configELb1EPKbPbPKlPlN2at6native12_GLOBAL__N_18offset_tEEE10hipError_tPvRmT1_PNSt15iterator_traitsIS12_E10value_typeET2_T3_PNS13_IS18_E10value_typeET4_jRbjT5_S1E_jjP12ihipStream_tbEUljE_ZNSN_ISO_Lb1ESQ_SR_ST_SU_SY_EESZ_S10_S11_S12_S16_S17_S18_S1B_S1C_jS1D_jS1E_S1E_jjS1G_bEUljE0_EEESZ_S10_S11_S18_S1C_S1E_T6_T7_T9_mT8_S1G_bDpT10_ENKUlT_T0_E_clISt17integral_constantIbLb1EES1T_IbLb0EEEEDaS1P_S1Q_EUlS1P_E_NS1_11comp_targetILNS1_3genE10ELNS1_11target_archE1200ELNS1_3gpuE4ELNS1_3repE0EEENS1_30default_config_static_selectorELNS0_4arch9wavefront6targetE0EEEvS12_.has_recursion, 0
	.set _ZN7rocprim17ROCPRIM_400000_NS6detail17trampoline_kernelINS0_13select_configILj256ELj13ELNS0_17block_load_methodE3ELS4_3ELS4_3ELNS0_20block_scan_algorithmE0ELj4294967295EEENS1_25partition_config_selectorILNS1_17partition_subalgoE4EjNS0_10empty_typeEbEEZZNS1_14partition_implILS8_4ELb0ES6_15HIP_vector_typeIjLj2EENS0_17counting_iteratorIjlEEPS9_SG_NS0_5tupleIJPjSI_NS0_16reverse_iteratorISI_EEEEENSH_IJSG_SG_SG_EEES9_SI_JZNS1_25segmented_radix_sort_implINS0_14default_configELb1EPKbPbPKlPlN2at6native12_GLOBAL__N_18offset_tEEE10hipError_tPvRmT1_PNSt15iterator_traitsIS12_E10value_typeET2_T3_PNS13_IS18_E10value_typeET4_jRbjT5_S1E_jjP12ihipStream_tbEUljE_ZNSN_ISO_Lb1ESQ_SR_ST_SU_SY_EESZ_S10_S11_S12_S16_S17_S18_S1B_S1C_jS1D_jS1E_S1E_jjS1G_bEUljE0_EEESZ_S10_S11_S18_S1C_S1E_T6_T7_T9_mT8_S1G_bDpT10_ENKUlT_T0_E_clISt17integral_constantIbLb1EES1T_IbLb0EEEEDaS1P_S1Q_EUlS1P_E_NS1_11comp_targetILNS1_3genE10ELNS1_11target_archE1200ELNS1_3gpuE4ELNS1_3repE0EEENS1_30default_config_static_selectorELNS0_4arch9wavefront6targetE0EEEvS12_.has_indirect_call, 0
	.section	.AMDGPU.csdata,"",@progbits
; Kernel info:
; codeLenInByte = 4
; TotalNumSgprs: 0
; NumVgprs: 0
; ScratchSize: 0
; MemoryBound: 0
; FloatMode: 240
; IeeeMode: 1
; LDSByteSize: 0 bytes/workgroup (compile time only)
; SGPRBlocks: 0
; VGPRBlocks: 0
; NumSGPRsForWavesPerEU: 1
; NumVGPRsForWavesPerEU: 1
; Occupancy: 16
; WaveLimiterHint : 0
; COMPUTE_PGM_RSRC2:SCRATCH_EN: 0
; COMPUTE_PGM_RSRC2:USER_SGPR: 2
; COMPUTE_PGM_RSRC2:TRAP_HANDLER: 0
; COMPUTE_PGM_RSRC2:TGID_X_EN: 1
; COMPUTE_PGM_RSRC2:TGID_Y_EN: 0
; COMPUTE_PGM_RSRC2:TGID_Z_EN: 0
; COMPUTE_PGM_RSRC2:TIDIG_COMP_CNT: 0
	.section	.text._ZN7rocprim17ROCPRIM_400000_NS6detail17trampoline_kernelINS0_13select_configILj256ELj13ELNS0_17block_load_methodE3ELS4_3ELS4_3ELNS0_20block_scan_algorithmE0ELj4294967295EEENS1_25partition_config_selectorILNS1_17partition_subalgoE4EjNS0_10empty_typeEbEEZZNS1_14partition_implILS8_4ELb0ES6_15HIP_vector_typeIjLj2EENS0_17counting_iteratorIjlEEPS9_SG_NS0_5tupleIJPjSI_NS0_16reverse_iteratorISI_EEEEENSH_IJSG_SG_SG_EEES9_SI_JZNS1_25segmented_radix_sort_implINS0_14default_configELb1EPKbPbPKlPlN2at6native12_GLOBAL__N_18offset_tEEE10hipError_tPvRmT1_PNSt15iterator_traitsIS12_E10value_typeET2_T3_PNS13_IS18_E10value_typeET4_jRbjT5_S1E_jjP12ihipStream_tbEUljE_ZNSN_ISO_Lb1ESQ_SR_ST_SU_SY_EESZ_S10_S11_S12_S16_S17_S18_S1B_S1C_jS1D_jS1E_S1E_jjS1G_bEUljE0_EEESZ_S10_S11_S18_S1C_S1E_T6_T7_T9_mT8_S1G_bDpT10_ENKUlT_T0_E_clISt17integral_constantIbLb1EES1T_IbLb0EEEEDaS1P_S1Q_EUlS1P_E_NS1_11comp_targetILNS1_3genE9ELNS1_11target_archE1100ELNS1_3gpuE3ELNS1_3repE0EEENS1_30default_config_static_selectorELNS0_4arch9wavefront6targetE0EEEvS12_,"axG",@progbits,_ZN7rocprim17ROCPRIM_400000_NS6detail17trampoline_kernelINS0_13select_configILj256ELj13ELNS0_17block_load_methodE3ELS4_3ELS4_3ELNS0_20block_scan_algorithmE0ELj4294967295EEENS1_25partition_config_selectorILNS1_17partition_subalgoE4EjNS0_10empty_typeEbEEZZNS1_14partition_implILS8_4ELb0ES6_15HIP_vector_typeIjLj2EENS0_17counting_iteratorIjlEEPS9_SG_NS0_5tupleIJPjSI_NS0_16reverse_iteratorISI_EEEEENSH_IJSG_SG_SG_EEES9_SI_JZNS1_25segmented_radix_sort_implINS0_14default_configELb1EPKbPbPKlPlN2at6native12_GLOBAL__N_18offset_tEEE10hipError_tPvRmT1_PNSt15iterator_traitsIS12_E10value_typeET2_T3_PNS13_IS18_E10value_typeET4_jRbjT5_S1E_jjP12ihipStream_tbEUljE_ZNSN_ISO_Lb1ESQ_SR_ST_SU_SY_EESZ_S10_S11_S12_S16_S17_S18_S1B_S1C_jS1D_jS1E_S1E_jjS1G_bEUljE0_EEESZ_S10_S11_S18_S1C_S1E_T6_T7_T9_mT8_S1G_bDpT10_ENKUlT_T0_E_clISt17integral_constantIbLb1EES1T_IbLb0EEEEDaS1P_S1Q_EUlS1P_E_NS1_11comp_targetILNS1_3genE9ELNS1_11target_archE1100ELNS1_3gpuE3ELNS1_3repE0EEENS1_30default_config_static_selectorELNS0_4arch9wavefront6targetE0EEEvS12_,comdat
	.globl	_ZN7rocprim17ROCPRIM_400000_NS6detail17trampoline_kernelINS0_13select_configILj256ELj13ELNS0_17block_load_methodE3ELS4_3ELS4_3ELNS0_20block_scan_algorithmE0ELj4294967295EEENS1_25partition_config_selectorILNS1_17partition_subalgoE4EjNS0_10empty_typeEbEEZZNS1_14partition_implILS8_4ELb0ES6_15HIP_vector_typeIjLj2EENS0_17counting_iteratorIjlEEPS9_SG_NS0_5tupleIJPjSI_NS0_16reverse_iteratorISI_EEEEENSH_IJSG_SG_SG_EEES9_SI_JZNS1_25segmented_radix_sort_implINS0_14default_configELb1EPKbPbPKlPlN2at6native12_GLOBAL__N_18offset_tEEE10hipError_tPvRmT1_PNSt15iterator_traitsIS12_E10value_typeET2_T3_PNS13_IS18_E10value_typeET4_jRbjT5_S1E_jjP12ihipStream_tbEUljE_ZNSN_ISO_Lb1ESQ_SR_ST_SU_SY_EESZ_S10_S11_S12_S16_S17_S18_S1B_S1C_jS1D_jS1E_S1E_jjS1G_bEUljE0_EEESZ_S10_S11_S18_S1C_S1E_T6_T7_T9_mT8_S1G_bDpT10_ENKUlT_T0_E_clISt17integral_constantIbLb1EES1T_IbLb0EEEEDaS1P_S1Q_EUlS1P_E_NS1_11comp_targetILNS1_3genE9ELNS1_11target_archE1100ELNS1_3gpuE3ELNS1_3repE0EEENS1_30default_config_static_selectorELNS0_4arch9wavefront6targetE0EEEvS12_ ; -- Begin function _ZN7rocprim17ROCPRIM_400000_NS6detail17trampoline_kernelINS0_13select_configILj256ELj13ELNS0_17block_load_methodE3ELS4_3ELS4_3ELNS0_20block_scan_algorithmE0ELj4294967295EEENS1_25partition_config_selectorILNS1_17partition_subalgoE4EjNS0_10empty_typeEbEEZZNS1_14partition_implILS8_4ELb0ES6_15HIP_vector_typeIjLj2EENS0_17counting_iteratorIjlEEPS9_SG_NS0_5tupleIJPjSI_NS0_16reverse_iteratorISI_EEEEENSH_IJSG_SG_SG_EEES9_SI_JZNS1_25segmented_radix_sort_implINS0_14default_configELb1EPKbPbPKlPlN2at6native12_GLOBAL__N_18offset_tEEE10hipError_tPvRmT1_PNSt15iterator_traitsIS12_E10value_typeET2_T3_PNS13_IS18_E10value_typeET4_jRbjT5_S1E_jjP12ihipStream_tbEUljE_ZNSN_ISO_Lb1ESQ_SR_ST_SU_SY_EESZ_S10_S11_S12_S16_S17_S18_S1B_S1C_jS1D_jS1E_S1E_jjS1G_bEUljE0_EEESZ_S10_S11_S18_S1C_S1E_T6_T7_T9_mT8_S1G_bDpT10_ENKUlT_T0_E_clISt17integral_constantIbLb1EES1T_IbLb0EEEEDaS1P_S1Q_EUlS1P_E_NS1_11comp_targetILNS1_3genE9ELNS1_11target_archE1100ELNS1_3gpuE3ELNS1_3repE0EEENS1_30default_config_static_selectorELNS0_4arch9wavefront6targetE0EEEvS12_
	.p2align	8
	.type	_ZN7rocprim17ROCPRIM_400000_NS6detail17trampoline_kernelINS0_13select_configILj256ELj13ELNS0_17block_load_methodE3ELS4_3ELS4_3ELNS0_20block_scan_algorithmE0ELj4294967295EEENS1_25partition_config_selectorILNS1_17partition_subalgoE4EjNS0_10empty_typeEbEEZZNS1_14partition_implILS8_4ELb0ES6_15HIP_vector_typeIjLj2EENS0_17counting_iteratorIjlEEPS9_SG_NS0_5tupleIJPjSI_NS0_16reverse_iteratorISI_EEEEENSH_IJSG_SG_SG_EEES9_SI_JZNS1_25segmented_radix_sort_implINS0_14default_configELb1EPKbPbPKlPlN2at6native12_GLOBAL__N_18offset_tEEE10hipError_tPvRmT1_PNSt15iterator_traitsIS12_E10value_typeET2_T3_PNS13_IS18_E10value_typeET4_jRbjT5_S1E_jjP12ihipStream_tbEUljE_ZNSN_ISO_Lb1ESQ_SR_ST_SU_SY_EESZ_S10_S11_S12_S16_S17_S18_S1B_S1C_jS1D_jS1E_S1E_jjS1G_bEUljE0_EEESZ_S10_S11_S18_S1C_S1E_T6_T7_T9_mT8_S1G_bDpT10_ENKUlT_T0_E_clISt17integral_constantIbLb1EES1T_IbLb0EEEEDaS1P_S1Q_EUlS1P_E_NS1_11comp_targetILNS1_3genE9ELNS1_11target_archE1100ELNS1_3gpuE3ELNS1_3repE0EEENS1_30default_config_static_selectorELNS0_4arch9wavefront6targetE0EEEvS12_,@function
_ZN7rocprim17ROCPRIM_400000_NS6detail17trampoline_kernelINS0_13select_configILj256ELj13ELNS0_17block_load_methodE3ELS4_3ELS4_3ELNS0_20block_scan_algorithmE0ELj4294967295EEENS1_25partition_config_selectorILNS1_17partition_subalgoE4EjNS0_10empty_typeEbEEZZNS1_14partition_implILS8_4ELb0ES6_15HIP_vector_typeIjLj2EENS0_17counting_iteratorIjlEEPS9_SG_NS0_5tupleIJPjSI_NS0_16reverse_iteratorISI_EEEEENSH_IJSG_SG_SG_EEES9_SI_JZNS1_25segmented_radix_sort_implINS0_14default_configELb1EPKbPbPKlPlN2at6native12_GLOBAL__N_18offset_tEEE10hipError_tPvRmT1_PNSt15iterator_traitsIS12_E10value_typeET2_T3_PNS13_IS18_E10value_typeET4_jRbjT5_S1E_jjP12ihipStream_tbEUljE_ZNSN_ISO_Lb1ESQ_SR_ST_SU_SY_EESZ_S10_S11_S12_S16_S17_S18_S1B_S1C_jS1D_jS1E_S1E_jjS1G_bEUljE0_EEESZ_S10_S11_S18_S1C_S1E_T6_T7_T9_mT8_S1G_bDpT10_ENKUlT_T0_E_clISt17integral_constantIbLb1EES1T_IbLb0EEEEDaS1P_S1Q_EUlS1P_E_NS1_11comp_targetILNS1_3genE9ELNS1_11target_archE1100ELNS1_3gpuE3ELNS1_3repE0EEENS1_30default_config_static_selectorELNS0_4arch9wavefront6targetE0EEEvS12_: ; @_ZN7rocprim17ROCPRIM_400000_NS6detail17trampoline_kernelINS0_13select_configILj256ELj13ELNS0_17block_load_methodE3ELS4_3ELS4_3ELNS0_20block_scan_algorithmE0ELj4294967295EEENS1_25partition_config_selectorILNS1_17partition_subalgoE4EjNS0_10empty_typeEbEEZZNS1_14partition_implILS8_4ELb0ES6_15HIP_vector_typeIjLj2EENS0_17counting_iteratorIjlEEPS9_SG_NS0_5tupleIJPjSI_NS0_16reverse_iteratorISI_EEEEENSH_IJSG_SG_SG_EEES9_SI_JZNS1_25segmented_radix_sort_implINS0_14default_configELb1EPKbPbPKlPlN2at6native12_GLOBAL__N_18offset_tEEE10hipError_tPvRmT1_PNSt15iterator_traitsIS12_E10value_typeET2_T3_PNS13_IS18_E10value_typeET4_jRbjT5_S1E_jjP12ihipStream_tbEUljE_ZNSN_ISO_Lb1ESQ_SR_ST_SU_SY_EESZ_S10_S11_S12_S16_S17_S18_S1B_S1C_jS1D_jS1E_S1E_jjS1G_bEUljE0_EEESZ_S10_S11_S18_S1C_S1E_T6_T7_T9_mT8_S1G_bDpT10_ENKUlT_T0_E_clISt17integral_constantIbLb1EES1T_IbLb0EEEEDaS1P_S1Q_EUlS1P_E_NS1_11comp_targetILNS1_3genE9ELNS1_11target_archE1100ELNS1_3gpuE3ELNS1_3repE0EEENS1_30default_config_static_selectorELNS0_4arch9wavefront6targetE0EEEvS12_
; %bb.0:
	.section	.rodata,"a",@progbits
	.p2align	6, 0x0
	.amdhsa_kernel _ZN7rocprim17ROCPRIM_400000_NS6detail17trampoline_kernelINS0_13select_configILj256ELj13ELNS0_17block_load_methodE3ELS4_3ELS4_3ELNS0_20block_scan_algorithmE0ELj4294967295EEENS1_25partition_config_selectorILNS1_17partition_subalgoE4EjNS0_10empty_typeEbEEZZNS1_14partition_implILS8_4ELb0ES6_15HIP_vector_typeIjLj2EENS0_17counting_iteratorIjlEEPS9_SG_NS0_5tupleIJPjSI_NS0_16reverse_iteratorISI_EEEEENSH_IJSG_SG_SG_EEES9_SI_JZNS1_25segmented_radix_sort_implINS0_14default_configELb1EPKbPbPKlPlN2at6native12_GLOBAL__N_18offset_tEEE10hipError_tPvRmT1_PNSt15iterator_traitsIS12_E10value_typeET2_T3_PNS13_IS18_E10value_typeET4_jRbjT5_S1E_jjP12ihipStream_tbEUljE_ZNSN_ISO_Lb1ESQ_SR_ST_SU_SY_EESZ_S10_S11_S12_S16_S17_S18_S1B_S1C_jS1D_jS1E_S1E_jjS1G_bEUljE0_EEESZ_S10_S11_S18_S1C_S1E_T6_T7_T9_mT8_S1G_bDpT10_ENKUlT_T0_E_clISt17integral_constantIbLb1EES1T_IbLb0EEEEDaS1P_S1Q_EUlS1P_E_NS1_11comp_targetILNS1_3genE9ELNS1_11target_archE1100ELNS1_3gpuE3ELNS1_3repE0EEENS1_30default_config_static_selectorELNS0_4arch9wavefront6targetE0EEEvS12_
		.amdhsa_group_segment_fixed_size 0
		.amdhsa_private_segment_fixed_size 0
		.amdhsa_kernarg_size 176
		.amdhsa_user_sgpr_count 2
		.amdhsa_user_sgpr_dispatch_ptr 0
		.amdhsa_user_sgpr_queue_ptr 0
		.amdhsa_user_sgpr_kernarg_segment_ptr 1
		.amdhsa_user_sgpr_dispatch_id 0
		.amdhsa_user_sgpr_private_segment_size 0
		.amdhsa_wavefront_size32 1
		.amdhsa_uses_dynamic_stack 0
		.amdhsa_enable_private_segment 0
		.amdhsa_system_sgpr_workgroup_id_x 1
		.amdhsa_system_sgpr_workgroup_id_y 0
		.amdhsa_system_sgpr_workgroup_id_z 0
		.amdhsa_system_sgpr_workgroup_info 0
		.amdhsa_system_vgpr_workitem_id 0
		.amdhsa_next_free_vgpr 1
		.amdhsa_next_free_sgpr 1
		.amdhsa_reserve_vcc 0
		.amdhsa_float_round_mode_32 0
		.amdhsa_float_round_mode_16_64 0
		.amdhsa_float_denorm_mode_32 3
		.amdhsa_float_denorm_mode_16_64 3
		.amdhsa_fp16_overflow 0
		.amdhsa_workgroup_processor_mode 1
		.amdhsa_memory_ordered 1
		.amdhsa_forward_progress 1
		.amdhsa_inst_pref_size 0
		.amdhsa_round_robin_scheduling 0
		.amdhsa_exception_fp_ieee_invalid_op 0
		.amdhsa_exception_fp_denorm_src 0
		.amdhsa_exception_fp_ieee_div_zero 0
		.amdhsa_exception_fp_ieee_overflow 0
		.amdhsa_exception_fp_ieee_underflow 0
		.amdhsa_exception_fp_ieee_inexact 0
		.amdhsa_exception_int_div_zero 0
	.end_amdhsa_kernel
	.section	.text._ZN7rocprim17ROCPRIM_400000_NS6detail17trampoline_kernelINS0_13select_configILj256ELj13ELNS0_17block_load_methodE3ELS4_3ELS4_3ELNS0_20block_scan_algorithmE0ELj4294967295EEENS1_25partition_config_selectorILNS1_17partition_subalgoE4EjNS0_10empty_typeEbEEZZNS1_14partition_implILS8_4ELb0ES6_15HIP_vector_typeIjLj2EENS0_17counting_iteratorIjlEEPS9_SG_NS0_5tupleIJPjSI_NS0_16reverse_iteratorISI_EEEEENSH_IJSG_SG_SG_EEES9_SI_JZNS1_25segmented_radix_sort_implINS0_14default_configELb1EPKbPbPKlPlN2at6native12_GLOBAL__N_18offset_tEEE10hipError_tPvRmT1_PNSt15iterator_traitsIS12_E10value_typeET2_T3_PNS13_IS18_E10value_typeET4_jRbjT5_S1E_jjP12ihipStream_tbEUljE_ZNSN_ISO_Lb1ESQ_SR_ST_SU_SY_EESZ_S10_S11_S12_S16_S17_S18_S1B_S1C_jS1D_jS1E_S1E_jjS1G_bEUljE0_EEESZ_S10_S11_S18_S1C_S1E_T6_T7_T9_mT8_S1G_bDpT10_ENKUlT_T0_E_clISt17integral_constantIbLb1EES1T_IbLb0EEEEDaS1P_S1Q_EUlS1P_E_NS1_11comp_targetILNS1_3genE9ELNS1_11target_archE1100ELNS1_3gpuE3ELNS1_3repE0EEENS1_30default_config_static_selectorELNS0_4arch9wavefront6targetE0EEEvS12_,"axG",@progbits,_ZN7rocprim17ROCPRIM_400000_NS6detail17trampoline_kernelINS0_13select_configILj256ELj13ELNS0_17block_load_methodE3ELS4_3ELS4_3ELNS0_20block_scan_algorithmE0ELj4294967295EEENS1_25partition_config_selectorILNS1_17partition_subalgoE4EjNS0_10empty_typeEbEEZZNS1_14partition_implILS8_4ELb0ES6_15HIP_vector_typeIjLj2EENS0_17counting_iteratorIjlEEPS9_SG_NS0_5tupleIJPjSI_NS0_16reverse_iteratorISI_EEEEENSH_IJSG_SG_SG_EEES9_SI_JZNS1_25segmented_radix_sort_implINS0_14default_configELb1EPKbPbPKlPlN2at6native12_GLOBAL__N_18offset_tEEE10hipError_tPvRmT1_PNSt15iterator_traitsIS12_E10value_typeET2_T3_PNS13_IS18_E10value_typeET4_jRbjT5_S1E_jjP12ihipStream_tbEUljE_ZNSN_ISO_Lb1ESQ_SR_ST_SU_SY_EESZ_S10_S11_S12_S16_S17_S18_S1B_S1C_jS1D_jS1E_S1E_jjS1G_bEUljE0_EEESZ_S10_S11_S18_S1C_S1E_T6_T7_T9_mT8_S1G_bDpT10_ENKUlT_T0_E_clISt17integral_constantIbLb1EES1T_IbLb0EEEEDaS1P_S1Q_EUlS1P_E_NS1_11comp_targetILNS1_3genE9ELNS1_11target_archE1100ELNS1_3gpuE3ELNS1_3repE0EEENS1_30default_config_static_selectorELNS0_4arch9wavefront6targetE0EEEvS12_,comdat
.Lfunc_end1490:
	.size	_ZN7rocprim17ROCPRIM_400000_NS6detail17trampoline_kernelINS0_13select_configILj256ELj13ELNS0_17block_load_methodE3ELS4_3ELS4_3ELNS0_20block_scan_algorithmE0ELj4294967295EEENS1_25partition_config_selectorILNS1_17partition_subalgoE4EjNS0_10empty_typeEbEEZZNS1_14partition_implILS8_4ELb0ES6_15HIP_vector_typeIjLj2EENS0_17counting_iteratorIjlEEPS9_SG_NS0_5tupleIJPjSI_NS0_16reverse_iteratorISI_EEEEENSH_IJSG_SG_SG_EEES9_SI_JZNS1_25segmented_radix_sort_implINS0_14default_configELb1EPKbPbPKlPlN2at6native12_GLOBAL__N_18offset_tEEE10hipError_tPvRmT1_PNSt15iterator_traitsIS12_E10value_typeET2_T3_PNS13_IS18_E10value_typeET4_jRbjT5_S1E_jjP12ihipStream_tbEUljE_ZNSN_ISO_Lb1ESQ_SR_ST_SU_SY_EESZ_S10_S11_S12_S16_S17_S18_S1B_S1C_jS1D_jS1E_S1E_jjS1G_bEUljE0_EEESZ_S10_S11_S18_S1C_S1E_T6_T7_T9_mT8_S1G_bDpT10_ENKUlT_T0_E_clISt17integral_constantIbLb1EES1T_IbLb0EEEEDaS1P_S1Q_EUlS1P_E_NS1_11comp_targetILNS1_3genE9ELNS1_11target_archE1100ELNS1_3gpuE3ELNS1_3repE0EEENS1_30default_config_static_selectorELNS0_4arch9wavefront6targetE0EEEvS12_, .Lfunc_end1490-_ZN7rocprim17ROCPRIM_400000_NS6detail17trampoline_kernelINS0_13select_configILj256ELj13ELNS0_17block_load_methodE3ELS4_3ELS4_3ELNS0_20block_scan_algorithmE0ELj4294967295EEENS1_25partition_config_selectorILNS1_17partition_subalgoE4EjNS0_10empty_typeEbEEZZNS1_14partition_implILS8_4ELb0ES6_15HIP_vector_typeIjLj2EENS0_17counting_iteratorIjlEEPS9_SG_NS0_5tupleIJPjSI_NS0_16reverse_iteratorISI_EEEEENSH_IJSG_SG_SG_EEES9_SI_JZNS1_25segmented_radix_sort_implINS0_14default_configELb1EPKbPbPKlPlN2at6native12_GLOBAL__N_18offset_tEEE10hipError_tPvRmT1_PNSt15iterator_traitsIS12_E10value_typeET2_T3_PNS13_IS18_E10value_typeET4_jRbjT5_S1E_jjP12ihipStream_tbEUljE_ZNSN_ISO_Lb1ESQ_SR_ST_SU_SY_EESZ_S10_S11_S12_S16_S17_S18_S1B_S1C_jS1D_jS1E_S1E_jjS1G_bEUljE0_EEESZ_S10_S11_S18_S1C_S1E_T6_T7_T9_mT8_S1G_bDpT10_ENKUlT_T0_E_clISt17integral_constantIbLb1EES1T_IbLb0EEEEDaS1P_S1Q_EUlS1P_E_NS1_11comp_targetILNS1_3genE9ELNS1_11target_archE1100ELNS1_3gpuE3ELNS1_3repE0EEENS1_30default_config_static_selectorELNS0_4arch9wavefront6targetE0EEEvS12_
                                        ; -- End function
	.set _ZN7rocprim17ROCPRIM_400000_NS6detail17trampoline_kernelINS0_13select_configILj256ELj13ELNS0_17block_load_methodE3ELS4_3ELS4_3ELNS0_20block_scan_algorithmE0ELj4294967295EEENS1_25partition_config_selectorILNS1_17partition_subalgoE4EjNS0_10empty_typeEbEEZZNS1_14partition_implILS8_4ELb0ES6_15HIP_vector_typeIjLj2EENS0_17counting_iteratorIjlEEPS9_SG_NS0_5tupleIJPjSI_NS0_16reverse_iteratorISI_EEEEENSH_IJSG_SG_SG_EEES9_SI_JZNS1_25segmented_radix_sort_implINS0_14default_configELb1EPKbPbPKlPlN2at6native12_GLOBAL__N_18offset_tEEE10hipError_tPvRmT1_PNSt15iterator_traitsIS12_E10value_typeET2_T3_PNS13_IS18_E10value_typeET4_jRbjT5_S1E_jjP12ihipStream_tbEUljE_ZNSN_ISO_Lb1ESQ_SR_ST_SU_SY_EESZ_S10_S11_S12_S16_S17_S18_S1B_S1C_jS1D_jS1E_S1E_jjS1G_bEUljE0_EEESZ_S10_S11_S18_S1C_S1E_T6_T7_T9_mT8_S1G_bDpT10_ENKUlT_T0_E_clISt17integral_constantIbLb1EES1T_IbLb0EEEEDaS1P_S1Q_EUlS1P_E_NS1_11comp_targetILNS1_3genE9ELNS1_11target_archE1100ELNS1_3gpuE3ELNS1_3repE0EEENS1_30default_config_static_selectorELNS0_4arch9wavefront6targetE0EEEvS12_.num_vgpr, 0
	.set _ZN7rocprim17ROCPRIM_400000_NS6detail17trampoline_kernelINS0_13select_configILj256ELj13ELNS0_17block_load_methodE3ELS4_3ELS4_3ELNS0_20block_scan_algorithmE0ELj4294967295EEENS1_25partition_config_selectorILNS1_17partition_subalgoE4EjNS0_10empty_typeEbEEZZNS1_14partition_implILS8_4ELb0ES6_15HIP_vector_typeIjLj2EENS0_17counting_iteratorIjlEEPS9_SG_NS0_5tupleIJPjSI_NS0_16reverse_iteratorISI_EEEEENSH_IJSG_SG_SG_EEES9_SI_JZNS1_25segmented_radix_sort_implINS0_14default_configELb1EPKbPbPKlPlN2at6native12_GLOBAL__N_18offset_tEEE10hipError_tPvRmT1_PNSt15iterator_traitsIS12_E10value_typeET2_T3_PNS13_IS18_E10value_typeET4_jRbjT5_S1E_jjP12ihipStream_tbEUljE_ZNSN_ISO_Lb1ESQ_SR_ST_SU_SY_EESZ_S10_S11_S12_S16_S17_S18_S1B_S1C_jS1D_jS1E_S1E_jjS1G_bEUljE0_EEESZ_S10_S11_S18_S1C_S1E_T6_T7_T9_mT8_S1G_bDpT10_ENKUlT_T0_E_clISt17integral_constantIbLb1EES1T_IbLb0EEEEDaS1P_S1Q_EUlS1P_E_NS1_11comp_targetILNS1_3genE9ELNS1_11target_archE1100ELNS1_3gpuE3ELNS1_3repE0EEENS1_30default_config_static_selectorELNS0_4arch9wavefront6targetE0EEEvS12_.num_agpr, 0
	.set _ZN7rocprim17ROCPRIM_400000_NS6detail17trampoline_kernelINS0_13select_configILj256ELj13ELNS0_17block_load_methodE3ELS4_3ELS4_3ELNS0_20block_scan_algorithmE0ELj4294967295EEENS1_25partition_config_selectorILNS1_17partition_subalgoE4EjNS0_10empty_typeEbEEZZNS1_14partition_implILS8_4ELb0ES6_15HIP_vector_typeIjLj2EENS0_17counting_iteratorIjlEEPS9_SG_NS0_5tupleIJPjSI_NS0_16reverse_iteratorISI_EEEEENSH_IJSG_SG_SG_EEES9_SI_JZNS1_25segmented_radix_sort_implINS0_14default_configELb1EPKbPbPKlPlN2at6native12_GLOBAL__N_18offset_tEEE10hipError_tPvRmT1_PNSt15iterator_traitsIS12_E10value_typeET2_T3_PNS13_IS18_E10value_typeET4_jRbjT5_S1E_jjP12ihipStream_tbEUljE_ZNSN_ISO_Lb1ESQ_SR_ST_SU_SY_EESZ_S10_S11_S12_S16_S17_S18_S1B_S1C_jS1D_jS1E_S1E_jjS1G_bEUljE0_EEESZ_S10_S11_S18_S1C_S1E_T6_T7_T9_mT8_S1G_bDpT10_ENKUlT_T0_E_clISt17integral_constantIbLb1EES1T_IbLb0EEEEDaS1P_S1Q_EUlS1P_E_NS1_11comp_targetILNS1_3genE9ELNS1_11target_archE1100ELNS1_3gpuE3ELNS1_3repE0EEENS1_30default_config_static_selectorELNS0_4arch9wavefront6targetE0EEEvS12_.numbered_sgpr, 0
	.set _ZN7rocprim17ROCPRIM_400000_NS6detail17trampoline_kernelINS0_13select_configILj256ELj13ELNS0_17block_load_methodE3ELS4_3ELS4_3ELNS0_20block_scan_algorithmE0ELj4294967295EEENS1_25partition_config_selectorILNS1_17partition_subalgoE4EjNS0_10empty_typeEbEEZZNS1_14partition_implILS8_4ELb0ES6_15HIP_vector_typeIjLj2EENS0_17counting_iteratorIjlEEPS9_SG_NS0_5tupleIJPjSI_NS0_16reverse_iteratorISI_EEEEENSH_IJSG_SG_SG_EEES9_SI_JZNS1_25segmented_radix_sort_implINS0_14default_configELb1EPKbPbPKlPlN2at6native12_GLOBAL__N_18offset_tEEE10hipError_tPvRmT1_PNSt15iterator_traitsIS12_E10value_typeET2_T3_PNS13_IS18_E10value_typeET4_jRbjT5_S1E_jjP12ihipStream_tbEUljE_ZNSN_ISO_Lb1ESQ_SR_ST_SU_SY_EESZ_S10_S11_S12_S16_S17_S18_S1B_S1C_jS1D_jS1E_S1E_jjS1G_bEUljE0_EEESZ_S10_S11_S18_S1C_S1E_T6_T7_T9_mT8_S1G_bDpT10_ENKUlT_T0_E_clISt17integral_constantIbLb1EES1T_IbLb0EEEEDaS1P_S1Q_EUlS1P_E_NS1_11comp_targetILNS1_3genE9ELNS1_11target_archE1100ELNS1_3gpuE3ELNS1_3repE0EEENS1_30default_config_static_selectorELNS0_4arch9wavefront6targetE0EEEvS12_.num_named_barrier, 0
	.set _ZN7rocprim17ROCPRIM_400000_NS6detail17trampoline_kernelINS0_13select_configILj256ELj13ELNS0_17block_load_methodE3ELS4_3ELS4_3ELNS0_20block_scan_algorithmE0ELj4294967295EEENS1_25partition_config_selectorILNS1_17partition_subalgoE4EjNS0_10empty_typeEbEEZZNS1_14partition_implILS8_4ELb0ES6_15HIP_vector_typeIjLj2EENS0_17counting_iteratorIjlEEPS9_SG_NS0_5tupleIJPjSI_NS0_16reverse_iteratorISI_EEEEENSH_IJSG_SG_SG_EEES9_SI_JZNS1_25segmented_radix_sort_implINS0_14default_configELb1EPKbPbPKlPlN2at6native12_GLOBAL__N_18offset_tEEE10hipError_tPvRmT1_PNSt15iterator_traitsIS12_E10value_typeET2_T3_PNS13_IS18_E10value_typeET4_jRbjT5_S1E_jjP12ihipStream_tbEUljE_ZNSN_ISO_Lb1ESQ_SR_ST_SU_SY_EESZ_S10_S11_S12_S16_S17_S18_S1B_S1C_jS1D_jS1E_S1E_jjS1G_bEUljE0_EEESZ_S10_S11_S18_S1C_S1E_T6_T7_T9_mT8_S1G_bDpT10_ENKUlT_T0_E_clISt17integral_constantIbLb1EES1T_IbLb0EEEEDaS1P_S1Q_EUlS1P_E_NS1_11comp_targetILNS1_3genE9ELNS1_11target_archE1100ELNS1_3gpuE3ELNS1_3repE0EEENS1_30default_config_static_selectorELNS0_4arch9wavefront6targetE0EEEvS12_.private_seg_size, 0
	.set _ZN7rocprim17ROCPRIM_400000_NS6detail17trampoline_kernelINS0_13select_configILj256ELj13ELNS0_17block_load_methodE3ELS4_3ELS4_3ELNS0_20block_scan_algorithmE0ELj4294967295EEENS1_25partition_config_selectorILNS1_17partition_subalgoE4EjNS0_10empty_typeEbEEZZNS1_14partition_implILS8_4ELb0ES6_15HIP_vector_typeIjLj2EENS0_17counting_iteratorIjlEEPS9_SG_NS0_5tupleIJPjSI_NS0_16reverse_iteratorISI_EEEEENSH_IJSG_SG_SG_EEES9_SI_JZNS1_25segmented_radix_sort_implINS0_14default_configELb1EPKbPbPKlPlN2at6native12_GLOBAL__N_18offset_tEEE10hipError_tPvRmT1_PNSt15iterator_traitsIS12_E10value_typeET2_T3_PNS13_IS18_E10value_typeET4_jRbjT5_S1E_jjP12ihipStream_tbEUljE_ZNSN_ISO_Lb1ESQ_SR_ST_SU_SY_EESZ_S10_S11_S12_S16_S17_S18_S1B_S1C_jS1D_jS1E_S1E_jjS1G_bEUljE0_EEESZ_S10_S11_S18_S1C_S1E_T6_T7_T9_mT8_S1G_bDpT10_ENKUlT_T0_E_clISt17integral_constantIbLb1EES1T_IbLb0EEEEDaS1P_S1Q_EUlS1P_E_NS1_11comp_targetILNS1_3genE9ELNS1_11target_archE1100ELNS1_3gpuE3ELNS1_3repE0EEENS1_30default_config_static_selectorELNS0_4arch9wavefront6targetE0EEEvS12_.uses_vcc, 0
	.set _ZN7rocprim17ROCPRIM_400000_NS6detail17trampoline_kernelINS0_13select_configILj256ELj13ELNS0_17block_load_methodE3ELS4_3ELS4_3ELNS0_20block_scan_algorithmE0ELj4294967295EEENS1_25partition_config_selectorILNS1_17partition_subalgoE4EjNS0_10empty_typeEbEEZZNS1_14partition_implILS8_4ELb0ES6_15HIP_vector_typeIjLj2EENS0_17counting_iteratorIjlEEPS9_SG_NS0_5tupleIJPjSI_NS0_16reverse_iteratorISI_EEEEENSH_IJSG_SG_SG_EEES9_SI_JZNS1_25segmented_radix_sort_implINS0_14default_configELb1EPKbPbPKlPlN2at6native12_GLOBAL__N_18offset_tEEE10hipError_tPvRmT1_PNSt15iterator_traitsIS12_E10value_typeET2_T3_PNS13_IS18_E10value_typeET4_jRbjT5_S1E_jjP12ihipStream_tbEUljE_ZNSN_ISO_Lb1ESQ_SR_ST_SU_SY_EESZ_S10_S11_S12_S16_S17_S18_S1B_S1C_jS1D_jS1E_S1E_jjS1G_bEUljE0_EEESZ_S10_S11_S18_S1C_S1E_T6_T7_T9_mT8_S1G_bDpT10_ENKUlT_T0_E_clISt17integral_constantIbLb1EES1T_IbLb0EEEEDaS1P_S1Q_EUlS1P_E_NS1_11comp_targetILNS1_3genE9ELNS1_11target_archE1100ELNS1_3gpuE3ELNS1_3repE0EEENS1_30default_config_static_selectorELNS0_4arch9wavefront6targetE0EEEvS12_.uses_flat_scratch, 0
	.set _ZN7rocprim17ROCPRIM_400000_NS6detail17trampoline_kernelINS0_13select_configILj256ELj13ELNS0_17block_load_methodE3ELS4_3ELS4_3ELNS0_20block_scan_algorithmE0ELj4294967295EEENS1_25partition_config_selectorILNS1_17partition_subalgoE4EjNS0_10empty_typeEbEEZZNS1_14partition_implILS8_4ELb0ES6_15HIP_vector_typeIjLj2EENS0_17counting_iteratorIjlEEPS9_SG_NS0_5tupleIJPjSI_NS0_16reverse_iteratorISI_EEEEENSH_IJSG_SG_SG_EEES9_SI_JZNS1_25segmented_radix_sort_implINS0_14default_configELb1EPKbPbPKlPlN2at6native12_GLOBAL__N_18offset_tEEE10hipError_tPvRmT1_PNSt15iterator_traitsIS12_E10value_typeET2_T3_PNS13_IS18_E10value_typeET4_jRbjT5_S1E_jjP12ihipStream_tbEUljE_ZNSN_ISO_Lb1ESQ_SR_ST_SU_SY_EESZ_S10_S11_S12_S16_S17_S18_S1B_S1C_jS1D_jS1E_S1E_jjS1G_bEUljE0_EEESZ_S10_S11_S18_S1C_S1E_T6_T7_T9_mT8_S1G_bDpT10_ENKUlT_T0_E_clISt17integral_constantIbLb1EES1T_IbLb0EEEEDaS1P_S1Q_EUlS1P_E_NS1_11comp_targetILNS1_3genE9ELNS1_11target_archE1100ELNS1_3gpuE3ELNS1_3repE0EEENS1_30default_config_static_selectorELNS0_4arch9wavefront6targetE0EEEvS12_.has_dyn_sized_stack, 0
	.set _ZN7rocprim17ROCPRIM_400000_NS6detail17trampoline_kernelINS0_13select_configILj256ELj13ELNS0_17block_load_methodE3ELS4_3ELS4_3ELNS0_20block_scan_algorithmE0ELj4294967295EEENS1_25partition_config_selectorILNS1_17partition_subalgoE4EjNS0_10empty_typeEbEEZZNS1_14partition_implILS8_4ELb0ES6_15HIP_vector_typeIjLj2EENS0_17counting_iteratorIjlEEPS9_SG_NS0_5tupleIJPjSI_NS0_16reverse_iteratorISI_EEEEENSH_IJSG_SG_SG_EEES9_SI_JZNS1_25segmented_radix_sort_implINS0_14default_configELb1EPKbPbPKlPlN2at6native12_GLOBAL__N_18offset_tEEE10hipError_tPvRmT1_PNSt15iterator_traitsIS12_E10value_typeET2_T3_PNS13_IS18_E10value_typeET4_jRbjT5_S1E_jjP12ihipStream_tbEUljE_ZNSN_ISO_Lb1ESQ_SR_ST_SU_SY_EESZ_S10_S11_S12_S16_S17_S18_S1B_S1C_jS1D_jS1E_S1E_jjS1G_bEUljE0_EEESZ_S10_S11_S18_S1C_S1E_T6_T7_T9_mT8_S1G_bDpT10_ENKUlT_T0_E_clISt17integral_constantIbLb1EES1T_IbLb0EEEEDaS1P_S1Q_EUlS1P_E_NS1_11comp_targetILNS1_3genE9ELNS1_11target_archE1100ELNS1_3gpuE3ELNS1_3repE0EEENS1_30default_config_static_selectorELNS0_4arch9wavefront6targetE0EEEvS12_.has_recursion, 0
	.set _ZN7rocprim17ROCPRIM_400000_NS6detail17trampoline_kernelINS0_13select_configILj256ELj13ELNS0_17block_load_methodE3ELS4_3ELS4_3ELNS0_20block_scan_algorithmE0ELj4294967295EEENS1_25partition_config_selectorILNS1_17partition_subalgoE4EjNS0_10empty_typeEbEEZZNS1_14partition_implILS8_4ELb0ES6_15HIP_vector_typeIjLj2EENS0_17counting_iteratorIjlEEPS9_SG_NS0_5tupleIJPjSI_NS0_16reverse_iteratorISI_EEEEENSH_IJSG_SG_SG_EEES9_SI_JZNS1_25segmented_radix_sort_implINS0_14default_configELb1EPKbPbPKlPlN2at6native12_GLOBAL__N_18offset_tEEE10hipError_tPvRmT1_PNSt15iterator_traitsIS12_E10value_typeET2_T3_PNS13_IS18_E10value_typeET4_jRbjT5_S1E_jjP12ihipStream_tbEUljE_ZNSN_ISO_Lb1ESQ_SR_ST_SU_SY_EESZ_S10_S11_S12_S16_S17_S18_S1B_S1C_jS1D_jS1E_S1E_jjS1G_bEUljE0_EEESZ_S10_S11_S18_S1C_S1E_T6_T7_T9_mT8_S1G_bDpT10_ENKUlT_T0_E_clISt17integral_constantIbLb1EES1T_IbLb0EEEEDaS1P_S1Q_EUlS1P_E_NS1_11comp_targetILNS1_3genE9ELNS1_11target_archE1100ELNS1_3gpuE3ELNS1_3repE0EEENS1_30default_config_static_selectorELNS0_4arch9wavefront6targetE0EEEvS12_.has_indirect_call, 0
	.section	.AMDGPU.csdata,"",@progbits
; Kernel info:
; codeLenInByte = 0
; TotalNumSgprs: 0
; NumVgprs: 0
; ScratchSize: 0
; MemoryBound: 0
; FloatMode: 240
; IeeeMode: 1
; LDSByteSize: 0 bytes/workgroup (compile time only)
; SGPRBlocks: 0
; VGPRBlocks: 0
; NumSGPRsForWavesPerEU: 1
; NumVGPRsForWavesPerEU: 1
; Occupancy: 16
; WaveLimiterHint : 0
; COMPUTE_PGM_RSRC2:SCRATCH_EN: 0
; COMPUTE_PGM_RSRC2:USER_SGPR: 2
; COMPUTE_PGM_RSRC2:TRAP_HANDLER: 0
; COMPUTE_PGM_RSRC2:TGID_X_EN: 1
; COMPUTE_PGM_RSRC2:TGID_Y_EN: 0
; COMPUTE_PGM_RSRC2:TGID_Z_EN: 0
; COMPUTE_PGM_RSRC2:TIDIG_COMP_CNT: 0
	.section	.text._ZN7rocprim17ROCPRIM_400000_NS6detail17trampoline_kernelINS0_13select_configILj256ELj13ELNS0_17block_load_methodE3ELS4_3ELS4_3ELNS0_20block_scan_algorithmE0ELj4294967295EEENS1_25partition_config_selectorILNS1_17partition_subalgoE4EjNS0_10empty_typeEbEEZZNS1_14partition_implILS8_4ELb0ES6_15HIP_vector_typeIjLj2EENS0_17counting_iteratorIjlEEPS9_SG_NS0_5tupleIJPjSI_NS0_16reverse_iteratorISI_EEEEENSH_IJSG_SG_SG_EEES9_SI_JZNS1_25segmented_radix_sort_implINS0_14default_configELb1EPKbPbPKlPlN2at6native12_GLOBAL__N_18offset_tEEE10hipError_tPvRmT1_PNSt15iterator_traitsIS12_E10value_typeET2_T3_PNS13_IS18_E10value_typeET4_jRbjT5_S1E_jjP12ihipStream_tbEUljE_ZNSN_ISO_Lb1ESQ_SR_ST_SU_SY_EESZ_S10_S11_S12_S16_S17_S18_S1B_S1C_jS1D_jS1E_S1E_jjS1G_bEUljE0_EEESZ_S10_S11_S18_S1C_S1E_T6_T7_T9_mT8_S1G_bDpT10_ENKUlT_T0_E_clISt17integral_constantIbLb1EES1T_IbLb0EEEEDaS1P_S1Q_EUlS1P_E_NS1_11comp_targetILNS1_3genE8ELNS1_11target_archE1030ELNS1_3gpuE2ELNS1_3repE0EEENS1_30default_config_static_selectorELNS0_4arch9wavefront6targetE0EEEvS12_,"axG",@progbits,_ZN7rocprim17ROCPRIM_400000_NS6detail17trampoline_kernelINS0_13select_configILj256ELj13ELNS0_17block_load_methodE3ELS4_3ELS4_3ELNS0_20block_scan_algorithmE0ELj4294967295EEENS1_25partition_config_selectorILNS1_17partition_subalgoE4EjNS0_10empty_typeEbEEZZNS1_14partition_implILS8_4ELb0ES6_15HIP_vector_typeIjLj2EENS0_17counting_iteratorIjlEEPS9_SG_NS0_5tupleIJPjSI_NS0_16reverse_iteratorISI_EEEEENSH_IJSG_SG_SG_EEES9_SI_JZNS1_25segmented_radix_sort_implINS0_14default_configELb1EPKbPbPKlPlN2at6native12_GLOBAL__N_18offset_tEEE10hipError_tPvRmT1_PNSt15iterator_traitsIS12_E10value_typeET2_T3_PNS13_IS18_E10value_typeET4_jRbjT5_S1E_jjP12ihipStream_tbEUljE_ZNSN_ISO_Lb1ESQ_SR_ST_SU_SY_EESZ_S10_S11_S12_S16_S17_S18_S1B_S1C_jS1D_jS1E_S1E_jjS1G_bEUljE0_EEESZ_S10_S11_S18_S1C_S1E_T6_T7_T9_mT8_S1G_bDpT10_ENKUlT_T0_E_clISt17integral_constantIbLb1EES1T_IbLb0EEEEDaS1P_S1Q_EUlS1P_E_NS1_11comp_targetILNS1_3genE8ELNS1_11target_archE1030ELNS1_3gpuE2ELNS1_3repE0EEENS1_30default_config_static_selectorELNS0_4arch9wavefront6targetE0EEEvS12_,comdat
	.globl	_ZN7rocprim17ROCPRIM_400000_NS6detail17trampoline_kernelINS0_13select_configILj256ELj13ELNS0_17block_load_methodE3ELS4_3ELS4_3ELNS0_20block_scan_algorithmE0ELj4294967295EEENS1_25partition_config_selectorILNS1_17partition_subalgoE4EjNS0_10empty_typeEbEEZZNS1_14partition_implILS8_4ELb0ES6_15HIP_vector_typeIjLj2EENS0_17counting_iteratorIjlEEPS9_SG_NS0_5tupleIJPjSI_NS0_16reverse_iteratorISI_EEEEENSH_IJSG_SG_SG_EEES9_SI_JZNS1_25segmented_radix_sort_implINS0_14default_configELb1EPKbPbPKlPlN2at6native12_GLOBAL__N_18offset_tEEE10hipError_tPvRmT1_PNSt15iterator_traitsIS12_E10value_typeET2_T3_PNS13_IS18_E10value_typeET4_jRbjT5_S1E_jjP12ihipStream_tbEUljE_ZNSN_ISO_Lb1ESQ_SR_ST_SU_SY_EESZ_S10_S11_S12_S16_S17_S18_S1B_S1C_jS1D_jS1E_S1E_jjS1G_bEUljE0_EEESZ_S10_S11_S18_S1C_S1E_T6_T7_T9_mT8_S1G_bDpT10_ENKUlT_T0_E_clISt17integral_constantIbLb1EES1T_IbLb0EEEEDaS1P_S1Q_EUlS1P_E_NS1_11comp_targetILNS1_3genE8ELNS1_11target_archE1030ELNS1_3gpuE2ELNS1_3repE0EEENS1_30default_config_static_selectorELNS0_4arch9wavefront6targetE0EEEvS12_ ; -- Begin function _ZN7rocprim17ROCPRIM_400000_NS6detail17trampoline_kernelINS0_13select_configILj256ELj13ELNS0_17block_load_methodE3ELS4_3ELS4_3ELNS0_20block_scan_algorithmE0ELj4294967295EEENS1_25partition_config_selectorILNS1_17partition_subalgoE4EjNS0_10empty_typeEbEEZZNS1_14partition_implILS8_4ELb0ES6_15HIP_vector_typeIjLj2EENS0_17counting_iteratorIjlEEPS9_SG_NS0_5tupleIJPjSI_NS0_16reverse_iteratorISI_EEEEENSH_IJSG_SG_SG_EEES9_SI_JZNS1_25segmented_radix_sort_implINS0_14default_configELb1EPKbPbPKlPlN2at6native12_GLOBAL__N_18offset_tEEE10hipError_tPvRmT1_PNSt15iterator_traitsIS12_E10value_typeET2_T3_PNS13_IS18_E10value_typeET4_jRbjT5_S1E_jjP12ihipStream_tbEUljE_ZNSN_ISO_Lb1ESQ_SR_ST_SU_SY_EESZ_S10_S11_S12_S16_S17_S18_S1B_S1C_jS1D_jS1E_S1E_jjS1G_bEUljE0_EEESZ_S10_S11_S18_S1C_S1E_T6_T7_T9_mT8_S1G_bDpT10_ENKUlT_T0_E_clISt17integral_constantIbLb1EES1T_IbLb0EEEEDaS1P_S1Q_EUlS1P_E_NS1_11comp_targetILNS1_3genE8ELNS1_11target_archE1030ELNS1_3gpuE2ELNS1_3repE0EEENS1_30default_config_static_selectorELNS0_4arch9wavefront6targetE0EEEvS12_
	.p2align	8
	.type	_ZN7rocprim17ROCPRIM_400000_NS6detail17trampoline_kernelINS0_13select_configILj256ELj13ELNS0_17block_load_methodE3ELS4_3ELS4_3ELNS0_20block_scan_algorithmE0ELj4294967295EEENS1_25partition_config_selectorILNS1_17partition_subalgoE4EjNS0_10empty_typeEbEEZZNS1_14partition_implILS8_4ELb0ES6_15HIP_vector_typeIjLj2EENS0_17counting_iteratorIjlEEPS9_SG_NS0_5tupleIJPjSI_NS0_16reverse_iteratorISI_EEEEENSH_IJSG_SG_SG_EEES9_SI_JZNS1_25segmented_radix_sort_implINS0_14default_configELb1EPKbPbPKlPlN2at6native12_GLOBAL__N_18offset_tEEE10hipError_tPvRmT1_PNSt15iterator_traitsIS12_E10value_typeET2_T3_PNS13_IS18_E10value_typeET4_jRbjT5_S1E_jjP12ihipStream_tbEUljE_ZNSN_ISO_Lb1ESQ_SR_ST_SU_SY_EESZ_S10_S11_S12_S16_S17_S18_S1B_S1C_jS1D_jS1E_S1E_jjS1G_bEUljE0_EEESZ_S10_S11_S18_S1C_S1E_T6_T7_T9_mT8_S1G_bDpT10_ENKUlT_T0_E_clISt17integral_constantIbLb1EES1T_IbLb0EEEEDaS1P_S1Q_EUlS1P_E_NS1_11comp_targetILNS1_3genE8ELNS1_11target_archE1030ELNS1_3gpuE2ELNS1_3repE0EEENS1_30default_config_static_selectorELNS0_4arch9wavefront6targetE0EEEvS12_,@function
_ZN7rocprim17ROCPRIM_400000_NS6detail17trampoline_kernelINS0_13select_configILj256ELj13ELNS0_17block_load_methodE3ELS4_3ELS4_3ELNS0_20block_scan_algorithmE0ELj4294967295EEENS1_25partition_config_selectorILNS1_17partition_subalgoE4EjNS0_10empty_typeEbEEZZNS1_14partition_implILS8_4ELb0ES6_15HIP_vector_typeIjLj2EENS0_17counting_iteratorIjlEEPS9_SG_NS0_5tupleIJPjSI_NS0_16reverse_iteratorISI_EEEEENSH_IJSG_SG_SG_EEES9_SI_JZNS1_25segmented_radix_sort_implINS0_14default_configELb1EPKbPbPKlPlN2at6native12_GLOBAL__N_18offset_tEEE10hipError_tPvRmT1_PNSt15iterator_traitsIS12_E10value_typeET2_T3_PNS13_IS18_E10value_typeET4_jRbjT5_S1E_jjP12ihipStream_tbEUljE_ZNSN_ISO_Lb1ESQ_SR_ST_SU_SY_EESZ_S10_S11_S12_S16_S17_S18_S1B_S1C_jS1D_jS1E_S1E_jjS1G_bEUljE0_EEESZ_S10_S11_S18_S1C_S1E_T6_T7_T9_mT8_S1G_bDpT10_ENKUlT_T0_E_clISt17integral_constantIbLb1EES1T_IbLb0EEEEDaS1P_S1Q_EUlS1P_E_NS1_11comp_targetILNS1_3genE8ELNS1_11target_archE1030ELNS1_3gpuE2ELNS1_3repE0EEENS1_30default_config_static_selectorELNS0_4arch9wavefront6targetE0EEEvS12_: ; @_ZN7rocprim17ROCPRIM_400000_NS6detail17trampoline_kernelINS0_13select_configILj256ELj13ELNS0_17block_load_methodE3ELS4_3ELS4_3ELNS0_20block_scan_algorithmE0ELj4294967295EEENS1_25partition_config_selectorILNS1_17partition_subalgoE4EjNS0_10empty_typeEbEEZZNS1_14partition_implILS8_4ELb0ES6_15HIP_vector_typeIjLj2EENS0_17counting_iteratorIjlEEPS9_SG_NS0_5tupleIJPjSI_NS0_16reverse_iteratorISI_EEEEENSH_IJSG_SG_SG_EEES9_SI_JZNS1_25segmented_radix_sort_implINS0_14default_configELb1EPKbPbPKlPlN2at6native12_GLOBAL__N_18offset_tEEE10hipError_tPvRmT1_PNSt15iterator_traitsIS12_E10value_typeET2_T3_PNS13_IS18_E10value_typeET4_jRbjT5_S1E_jjP12ihipStream_tbEUljE_ZNSN_ISO_Lb1ESQ_SR_ST_SU_SY_EESZ_S10_S11_S12_S16_S17_S18_S1B_S1C_jS1D_jS1E_S1E_jjS1G_bEUljE0_EEESZ_S10_S11_S18_S1C_S1E_T6_T7_T9_mT8_S1G_bDpT10_ENKUlT_T0_E_clISt17integral_constantIbLb1EES1T_IbLb0EEEEDaS1P_S1Q_EUlS1P_E_NS1_11comp_targetILNS1_3genE8ELNS1_11target_archE1030ELNS1_3gpuE2ELNS1_3repE0EEENS1_30default_config_static_selectorELNS0_4arch9wavefront6targetE0EEEvS12_
; %bb.0:
	.section	.rodata,"a",@progbits
	.p2align	6, 0x0
	.amdhsa_kernel _ZN7rocprim17ROCPRIM_400000_NS6detail17trampoline_kernelINS0_13select_configILj256ELj13ELNS0_17block_load_methodE3ELS4_3ELS4_3ELNS0_20block_scan_algorithmE0ELj4294967295EEENS1_25partition_config_selectorILNS1_17partition_subalgoE4EjNS0_10empty_typeEbEEZZNS1_14partition_implILS8_4ELb0ES6_15HIP_vector_typeIjLj2EENS0_17counting_iteratorIjlEEPS9_SG_NS0_5tupleIJPjSI_NS0_16reverse_iteratorISI_EEEEENSH_IJSG_SG_SG_EEES9_SI_JZNS1_25segmented_radix_sort_implINS0_14default_configELb1EPKbPbPKlPlN2at6native12_GLOBAL__N_18offset_tEEE10hipError_tPvRmT1_PNSt15iterator_traitsIS12_E10value_typeET2_T3_PNS13_IS18_E10value_typeET4_jRbjT5_S1E_jjP12ihipStream_tbEUljE_ZNSN_ISO_Lb1ESQ_SR_ST_SU_SY_EESZ_S10_S11_S12_S16_S17_S18_S1B_S1C_jS1D_jS1E_S1E_jjS1G_bEUljE0_EEESZ_S10_S11_S18_S1C_S1E_T6_T7_T9_mT8_S1G_bDpT10_ENKUlT_T0_E_clISt17integral_constantIbLb1EES1T_IbLb0EEEEDaS1P_S1Q_EUlS1P_E_NS1_11comp_targetILNS1_3genE8ELNS1_11target_archE1030ELNS1_3gpuE2ELNS1_3repE0EEENS1_30default_config_static_selectorELNS0_4arch9wavefront6targetE0EEEvS12_
		.amdhsa_group_segment_fixed_size 0
		.amdhsa_private_segment_fixed_size 0
		.amdhsa_kernarg_size 176
		.amdhsa_user_sgpr_count 2
		.amdhsa_user_sgpr_dispatch_ptr 0
		.amdhsa_user_sgpr_queue_ptr 0
		.amdhsa_user_sgpr_kernarg_segment_ptr 1
		.amdhsa_user_sgpr_dispatch_id 0
		.amdhsa_user_sgpr_private_segment_size 0
		.amdhsa_wavefront_size32 1
		.amdhsa_uses_dynamic_stack 0
		.amdhsa_enable_private_segment 0
		.amdhsa_system_sgpr_workgroup_id_x 1
		.amdhsa_system_sgpr_workgroup_id_y 0
		.amdhsa_system_sgpr_workgroup_id_z 0
		.amdhsa_system_sgpr_workgroup_info 0
		.amdhsa_system_vgpr_workitem_id 0
		.amdhsa_next_free_vgpr 1
		.amdhsa_next_free_sgpr 1
		.amdhsa_reserve_vcc 0
		.amdhsa_float_round_mode_32 0
		.amdhsa_float_round_mode_16_64 0
		.amdhsa_float_denorm_mode_32 3
		.amdhsa_float_denorm_mode_16_64 3
		.amdhsa_fp16_overflow 0
		.amdhsa_workgroup_processor_mode 1
		.amdhsa_memory_ordered 1
		.amdhsa_forward_progress 1
		.amdhsa_inst_pref_size 0
		.amdhsa_round_robin_scheduling 0
		.amdhsa_exception_fp_ieee_invalid_op 0
		.amdhsa_exception_fp_denorm_src 0
		.amdhsa_exception_fp_ieee_div_zero 0
		.amdhsa_exception_fp_ieee_overflow 0
		.amdhsa_exception_fp_ieee_underflow 0
		.amdhsa_exception_fp_ieee_inexact 0
		.amdhsa_exception_int_div_zero 0
	.end_amdhsa_kernel
	.section	.text._ZN7rocprim17ROCPRIM_400000_NS6detail17trampoline_kernelINS0_13select_configILj256ELj13ELNS0_17block_load_methodE3ELS4_3ELS4_3ELNS0_20block_scan_algorithmE0ELj4294967295EEENS1_25partition_config_selectorILNS1_17partition_subalgoE4EjNS0_10empty_typeEbEEZZNS1_14partition_implILS8_4ELb0ES6_15HIP_vector_typeIjLj2EENS0_17counting_iteratorIjlEEPS9_SG_NS0_5tupleIJPjSI_NS0_16reverse_iteratorISI_EEEEENSH_IJSG_SG_SG_EEES9_SI_JZNS1_25segmented_radix_sort_implINS0_14default_configELb1EPKbPbPKlPlN2at6native12_GLOBAL__N_18offset_tEEE10hipError_tPvRmT1_PNSt15iterator_traitsIS12_E10value_typeET2_T3_PNS13_IS18_E10value_typeET4_jRbjT5_S1E_jjP12ihipStream_tbEUljE_ZNSN_ISO_Lb1ESQ_SR_ST_SU_SY_EESZ_S10_S11_S12_S16_S17_S18_S1B_S1C_jS1D_jS1E_S1E_jjS1G_bEUljE0_EEESZ_S10_S11_S18_S1C_S1E_T6_T7_T9_mT8_S1G_bDpT10_ENKUlT_T0_E_clISt17integral_constantIbLb1EES1T_IbLb0EEEEDaS1P_S1Q_EUlS1P_E_NS1_11comp_targetILNS1_3genE8ELNS1_11target_archE1030ELNS1_3gpuE2ELNS1_3repE0EEENS1_30default_config_static_selectorELNS0_4arch9wavefront6targetE0EEEvS12_,"axG",@progbits,_ZN7rocprim17ROCPRIM_400000_NS6detail17trampoline_kernelINS0_13select_configILj256ELj13ELNS0_17block_load_methodE3ELS4_3ELS4_3ELNS0_20block_scan_algorithmE0ELj4294967295EEENS1_25partition_config_selectorILNS1_17partition_subalgoE4EjNS0_10empty_typeEbEEZZNS1_14partition_implILS8_4ELb0ES6_15HIP_vector_typeIjLj2EENS0_17counting_iteratorIjlEEPS9_SG_NS0_5tupleIJPjSI_NS0_16reverse_iteratorISI_EEEEENSH_IJSG_SG_SG_EEES9_SI_JZNS1_25segmented_radix_sort_implINS0_14default_configELb1EPKbPbPKlPlN2at6native12_GLOBAL__N_18offset_tEEE10hipError_tPvRmT1_PNSt15iterator_traitsIS12_E10value_typeET2_T3_PNS13_IS18_E10value_typeET4_jRbjT5_S1E_jjP12ihipStream_tbEUljE_ZNSN_ISO_Lb1ESQ_SR_ST_SU_SY_EESZ_S10_S11_S12_S16_S17_S18_S1B_S1C_jS1D_jS1E_S1E_jjS1G_bEUljE0_EEESZ_S10_S11_S18_S1C_S1E_T6_T7_T9_mT8_S1G_bDpT10_ENKUlT_T0_E_clISt17integral_constantIbLb1EES1T_IbLb0EEEEDaS1P_S1Q_EUlS1P_E_NS1_11comp_targetILNS1_3genE8ELNS1_11target_archE1030ELNS1_3gpuE2ELNS1_3repE0EEENS1_30default_config_static_selectorELNS0_4arch9wavefront6targetE0EEEvS12_,comdat
.Lfunc_end1491:
	.size	_ZN7rocprim17ROCPRIM_400000_NS6detail17trampoline_kernelINS0_13select_configILj256ELj13ELNS0_17block_load_methodE3ELS4_3ELS4_3ELNS0_20block_scan_algorithmE0ELj4294967295EEENS1_25partition_config_selectorILNS1_17partition_subalgoE4EjNS0_10empty_typeEbEEZZNS1_14partition_implILS8_4ELb0ES6_15HIP_vector_typeIjLj2EENS0_17counting_iteratorIjlEEPS9_SG_NS0_5tupleIJPjSI_NS0_16reverse_iteratorISI_EEEEENSH_IJSG_SG_SG_EEES9_SI_JZNS1_25segmented_radix_sort_implINS0_14default_configELb1EPKbPbPKlPlN2at6native12_GLOBAL__N_18offset_tEEE10hipError_tPvRmT1_PNSt15iterator_traitsIS12_E10value_typeET2_T3_PNS13_IS18_E10value_typeET4_jRbjT5_S1E_jjP12ihipStream_tbEUljE_ZNSN_ISO_Lb1ESQ_SR_ST_SU_SY_EESZ_S10_S11_S12_S16_S17_S18_S1B_S1C_jS1D_jS1E_S1E_jjS1G_bEUljE0_EEESZ_S10_S11_S18_S1C_S1E_T6_T7_T9_mT8_S1G_bDpT10_ENKUlT_T0_E_clISt17integral_constantIbLb1EES1T_IbLb0EEEEDaS1P_S1Q_EUlS1P_E_NS1_11comp_targetILNS1_3genE8ELNS1_11target_archE1030ELNS1_3gpuE2ELNS1_3repE0EEENS1_30default_config_static_selectorELNS0_4arch9wavefront6targetE0EEEvS12_, .Lfunc_end1491-_ZN7rocprim17ROCPRIM_400000_NS6detail17trampoline_kernelINS0_13select_configILj256ELj13ELNS0_17block_load_methodE3ELS4_3ELS4_3ELNS0_20block_scan_algorithmE0ELj4294967295EEENS1_25partition_config_selectorILNS1_17partition_subalgoE4EjNS0_10empty_typeEbEEZZNS1_14partition_implILS8_4ELb0ES6_15HIP_vector_typeIjLj2EENS0_17counting_iteratorIjlEEPS9_SG_NS0_5tupleIJPjSI_NS0_16reverse_iteratorISI_EEEEENSH_IJSG_SG_SG_EEES9_SI_JZNS1_25segmented_radix_sort_implINS0_14default_configELb1EPKbPbPKlPlN2at6native12_GLOBAL__N_18offset_tEEE10hipError_tPvRmT1_PNSt15iterator_traitsIS12_E10value_typeET2_T3_PNS13_IS18_E10value_typeET4_jRbjT5_S1E_jjP12ihipStream_tbEUljE_ZNSN_ISO_Lb1ESQ_SR_ST_SU_SY_EESZ_S10_S11_S12_S16_S17_S18_S1B_S1C_jS1D_jS1E_S1E_jjS1G_bEUljE0_EEESZ_S10_S11_S18_S1C_S1E_T6_T7_T9_mT8_S1G_bDpT10_ENKUlT_T0_E_clISt17integral_constantIbLb1EES1T_IbLb0EEEEDaS1P_S1Q_EUlS1P_E_NS1_11comp_targetILNS1_3genE8ELNS1_11target_archE1030ELNS1_3gpuE2ELNS1_3repE0EEENS1_30default_config_static_selectorELNS0_4arch9wavefront6targetE0EEEvS12_
                                        ; -- End function
	.set _ZN7rocprim17ROCPRIM_400000_NS6detail17trampoline_kernelINS0_13select_configILj256ELj13ELNS0_17block_load_methodE3ELS4_3ELS4_3ELNS0_20block_scan_algorithmE0ELj4294967295EEENS1_25partition_config_selectorILNS1_17partition_subalgoE4EjNS0_10empty_typeEbEEZZNS1_14partition_implILS8_4ELb0ES6_15HIP_vector_typeIjLj2EENS0_17counting_iteratorIjlEEPS9_SG_NS0_5tupleIJPjSI_NS0_16reverse_iteratorISI_EEEEENSH_IJSG_SG_SG_EEES9_SI_JZNS1_25segmented_radix_sort_implINS0_14default_configELb1EPKbPbPKlPlN2at6native12_GLOBAL__N_18offset_tEEE10hipError_tPvRmT1_PNSt15iterator_traitsIS12_E10value_typeET2_T3_PNS13_IS18_E10value_typeET4_jRbjT5_S1E_jjP12ihipStream_tbEUljE_ZNSN_ISO_Lb1ESQ_SR_ST_SU_SY_EESZ_S10_S11_S12_S16_S17_S18_S1B_S1C_jS1D_jS1E_S1E_jjS1G_bEUljE0_EEESZ_S10_S11_S18_S1C_S1E_T6_T7_T9_mT8_S1G_bDpT10_ENKUlT_T0_E_clISt17integral_constantIbLb1EES1T_IbLb0EEEEDaS1P_S1Q_EUlS1P_E_NS1_11comp_targetILNS1_3genE8ELNS1_11target_archE1030ELNS1_3gpuE2ELNS1_3repE0EEENS1_30default_config_static_selectorELNS0_4arch9wavefront6targetE0EEEvS12_.num_vgpr, 0
	.set _ZN7rocprim17ROCPRIM_400000_NS6detail17trampoline_kernelINS0_13select_configILj256ELj13ELNS0_17block_load_methodE3ELS4_3ELS4_3ELNS0_20block_scan_algorithmE0ELj4294967295EEENS1_25partition_config_selectorILNS1_17partition_subalgoE4EjNS0_10empty_typeEbEEZZNS1_14partition_implILS8_4ELb0ES6_15HIP_vector_typeIjLj2EENS0_17counting_iteratorIjlEEPS9_SG_NS0_5tupleIJPjSI_NS0_16reverse_iteratorISI_EEEEENSH_IJSG_SG_SG_EEES9_SI_JZNS1_25segmented_radix_sort_implINS0_14default_configELb1EPKbPbPKlPlN2at6native12_GLOBAL__N_18offset_tEEE10hipError_tPvRmT1_PNSt15iterator_traitsIS12_E10value_typeET2_T3_PNS13_IS18_E10value_typeET4_jRbjT5_S1E_jjP12ihipStream_tbEUljE_ZNSN_ISO_Lb1ESQ_SR_ST_SU_SY_EESZ_S10_S11_S12_S16_S17_S18_S1B_S1C_jS1D_jS1E_S1E_jjS1G_bEUljE0_EEESZ_S10_S11_S18_S1C_S1E_T6_T7_T9_mT8_S1G_bDpT10_ENKUlT_T0_E_clISt17integral_constantIbLb1EES1T_IbLb0EEEEDaS1P_S1Q_EUlS1P_E_NS1_11comp_targetILNS1_3genE8ELNS1_11target_archE1030ELNS1_3gpuE2ELNS1_3repE0EEENS1_30default_config_static_selectorELNS0_4arch9wavefront6targetE0EEEvS12_.num_agpr, 0
	.set _ZN7rocprim17ROCPRIM_400000_NS6detail17trampoline_kernelINS0_13select_configILj256ELj13ELNS0_17block_load_methodE3ELS4_3ELS4_3ELNS0_20block_scan_algorithmE0ELj4294967295EEENS1_25partition_config_selectorILNS1_17partition_subalgoE4EjNS0_10empty_typeEbEEZZNS1_14partition_implILS8_4ELb0ES6_15HIP_vector_typeIjLj2EENS0_17counting_iteratorIjlEEPS9_SG_NS0_5tupleIJPjSI_NS0_16reverse_iteratorISI_EEEEENSH_IJSG_SG_SG_EEES9_SI_JZNS1_25segmented_radix_sort_implINS0_14default_configELb1EPKbPbPKlPlN2at6native12_GLOBAL__N_18offset_tEEE10hipError_tPvRmT1_PNSt15iterator_traitsIS12_E10value_typeET2_T3_PNS13_IS18_E10value_typeET4_jRbjT5_S1E_jjP12ihipStream_tbEUljE_ZNSN_ISO_Lb1ESQ_SR_ST_SU_SY_EESZ_S10_S11_S12_S16_S17_S18_S1B_S1C_jS1D_jS1E_S1E_jjS1G_bEUljE0_EEESZ_S10_S11_S18_S1C_S1E_T6_T7_T9_mT8_S1G_bDpT10_ENKUlT_T0_E_clISt17integral_constantIbLb1EES1T_IbLb0EEEEDaS1P_S1Q_EUlS1P_E_NS1_11comp_targetILNS1_3genE8ELNS1_11target_archE1030ELNS1_3gpuE2ELNS1_3repE0EEENS1_30default_config_static_selectorELNS0_4arch9wavefront6targetE0EEEvS12_.numbered_sgpr, 0
	.set _ZN7rocprim17ROCPRIM_400000_NS6detail17trampoline_kernelINS0_13select_configILj256ELj13ELNS0_17block_load_methodE3ELS4_3ELS4_3ELNS0_20block_scan_algorithmE0ELj4294967295EEENS1_25partition_config_selectorILNS1_17partition_subalgoE4EjNS0_10empty_typeEbEEZZNS1_14partition_implILS8_4ELb0ES6_15HIP_vector_typeIjLj2EENS0_17counting_iteratorIjlEEPS9_SG_NS0_5tupleIJPjSI_NS0_16reverse_iteratorISI_EEEEENSH_IJSG_SG_SG_EEES9_SI_JZNS1_25segmented_radix_sort_implINS0_14default_configELb1EPKbPbPKlPlN2at6native12_GLOBAL__N_18offset_tEEE10hipError_tPvRmT1_PNSt15iterator_traitsIS12_E10value_typeET2_T3_PNS13_IS18_E10value_typeET4_jRbjT5_S1E_jjP12ihipStream_tbEUljE_ZNSN_ISO_Lb1ESQ_SR_ST_SU_SY_EESZ_S10_S11_S12_S16_S17_S18_S1B_S1C_jS1D_jS1E_S1E_jjS1G_bEUljE0_EEESZ_S10_S11_S18_S1C_S1E_T6_T7_T9_mT8_S1G_bDpT10_ENKUlT_T0_E_clISt17integral_constantIbLb1EES1T_IbLb0EEEEDaS1P_S1Q_EUlS1P_E_NS1_11comp_targetILNS1_3genE8ELNS1_11target_archE1030ELNS1_3gpuE2ELNS1_3repE0EEENS1_30default_config_static_selectorELNS0_4arch9wavefront6targetE0EEEvS12_.num_named_barrier, 0
	.set _ZN7rocprim17ROCPRIM_400000_NS6detail17trampoline_kernelINS0_13select_configILj256ELj13ELNS0_17block_load_methodE3ELS4_3ELS4_3ELNS0_20block_scan_algorithmE0ELj4294967295EEENS1_25partition_config_selectorILNS1_17partition_subalgoE4EjNS0_10empty_typeEbEEZZNS1_14partition_implILS8_4ELb0ES6_15HIP_vector_typeIjLj2EENS0_17counting_iteratorIjlEEPS9_SG_NS0_5tupleIJPjSI_NS0_16reverse_iteratorISI_EEEEENSH_IJSG_SG_SG_EEES9_SI_JZNS1_25segmented_radix_sort_implINS0_14default_configELb1EPKbPbPKlPlN2at6native12_GLOBAL__N_18offset_tEEE10hipError_tPvRmT1_PNSt15iterator_traitsIS12_E10value_typeET2_T3_PNS13_IS18_E10value_typeET4_jRbjT5_S1E_jjP12ihipStream_tbEUljE_ZNSN_ISO_Lb1ESQ_SR_ST_SU_SY_EESZ_S10_S11_S12_S16_S17_S18_S1B_S1C_jS1D_jS1E_S1E_jjS1G_bEUljE0_EEESZ_S10_S11_S18_S1C_S1E_T6_T7_T9_mT8_S1G_bDpT10_ENKUlT_T0_E_clISt17integral_constantIbLb1EES1T_IbLb0EEEEDaS1P_S1Q_EUlS1P_E_NS1_11comp_targetILNS1_3genE8ELNS1_11target_archE1030ELNS1_3gpuE2ELNS1_3repE0EEENS1_30default_config_static_selectorELNS0_4arch9wavefront6targetE0EEEvS12_.private_seg_size, 0
	.set _ZN7rocprim17ROCPRIM_400000_NS6detail17trampoline_kernelINS0_13select_configILj256ELj13ELNS0_17block_load_methodE3ELS4_3ELS4_3ELNS0_20block_scan_algorithmE0ELj4294967295EEENS1_25partition_config_selectorILNS1_17partition_subalgoE4EjNS0_10empty_typeEbEEZZNS1_14partition_implILS8_4ELb0ES6_15HIP_vector_typeIjLj2EENS0_17counting_iteratorIjlEEPS9_SG_NS0_5tupleIJPjSI_NS0_16reverse_iteratorISI_EEEEENSH_IJSG_SG_SG_EEES9_SI_JZNS1_25segmented_radix_sort_implINS0_14default_configELb1EPKbPbPKlPlN2at6native12_GLOBAL__N_18offset_tEEE10hipError_tPvRmT1_PNSt15iterator_traitsIS12_E10value_typeET2_T3_PNS13_IS18_E10value_typeET4_jRbjT5_S1E_jjP12ihipStream_tbEUljE_ZNSN_ISO_Lb1ESQ_SR_ST_SU_SY_EESZ_S10_S11_S12_S16_S17_S18_S1B_S1C_jS1D_jS1E_S1E_jjS1G_bEUljE0_EEESZ_S10_S11_S18_S1C_S1E_T6_T7_T9_mT8_S1G_bDpT10_ENKUlT_T0_E_clISt17integral_constantIbLb1EES1T_IbLb0EEEEDaS1P_S1Q_EUlS1P_E_NS1_11comp_targetILNS1_3genE8ELNS1_11target_archE1030ELNS1_3gpuE2ELNS1_3repE0EEENS1_30default_config_static_selectorELNS0_4arch9wavefront6targetE0EEEvS12_.uses_vcc, 0
	.set _ZN7rocprim17ROCPRIM_400000_NS6detail17trampoline_kernelINS0_13select_configILj256ELj13ELNS0_17block_load_methodE3ELS4_3ELS4_3ELNS0_20block_scan_algorithmE0ELj4294967295EEENS1_25partition_config_selectorILNS1_17partition_subalgoE4EjNS0_10empty_typeEbEEZZNS1_14partition_implILS8_4ELb0ES6_15HIP_vector_typeIjLj2EENS0_17counting_iteratorIjlEEPS9_SG_NS0_5tupleIJPjSI_NS0_16reverse_iteratorISI_EEEEENSH_IJSG_SG_SG_EEES9_SI_JZNS1_25segmented_radix_sort_implINS0_14default_configELb1EPKbPbPKlPlN2at6native12_GLOBAL__N_18offset_tEEE10hipError_tPvRmT1_PNSt15iterator_traitsIS12_E10value_typeET2_T3_PNS13_IS18_E10value_typeET4_jRbjT5_S1E_jjP12ihipStream_tbEUljE_ZNSN_ISO_Lb1ESQ_SR_ST_SU_SY_EESZ_S10_S11_S12_S16_S17_S18_S1B_S1C_jS1D_jS1E_S1E_jjS1G_bEUljE0_EEESZ_S10_S11_S18_S1C_S1E_T6_T7_T9_mT8_S1G_bDpT10_ENKUlT_T0_E_clISt17integral_constantIbLb1EES1T_IbLb0EEEEDaS1P_S1Q_EUlS1P_E_NS1_11comp_targetILNS1_3genE8ELNS1_11target_archE1030ELNS1_3gpuE2ELNS1_3repE0EEENS1_30default_config_static_selectorELNS0_4arch9wavefront6targetE0EEEvS12_.uses_flat_scratch, 0
	.set _ZN7rocprim17ROCPRIM_400000_NS6detail17trampoline_kernelINS0_13select_configILj256ELj13ELNS0_17block_load_methodE3ELS4_3ELS4_3ELNS0_20block_scan_algorithmE0ELj4294967295EEENS1_25partition_config_selectorILNS1_17partition_subalgoE4EjNS0_10empty_typeEbEEZZNS1_14partition_implILS8_4ELb0ES6_15HIP_vector_typeIjLj2EENS0_17counting_iteratorIjlEEPS9_SG_NS0_5tupleIJPjSI_NS0_16reverse_iteratorISI_EEEEENSH_IJSG_SG_SG_EEES9_SI_JZNS1_25segmented_radix_sort_implINS0_14default_configELb1EPKbPbPKlPlN2at6native12_GLOBAL__N_18offset_tEEE10hipError_tPvRmT1_PNSt15iterator_traitsIS12_E10value_typeET2_T3_PNS13_IS18_E10value_typeET4_jRbjT5_S1E_jjP12ihipStream_tbEUljE_ZNSN_ISO_Lb1ESQ_SR_ST_SU_SY_EESZ_S10_S11_S12_S16_S17_S18_S1B_S1C_jS1D_jS1E_S1E_jjS1G_bEUljE0_EEESZ_S10_S11_S18_S1C_S1E_T6_T7_T9_mT8_S1G_bDpT10_ENKUlT_T0_E_clISt17integral_constantIbLb1EES1T_IbLb0EEEEDaS1P_S1Q_EUlS1P_E_NS1_11comp_targetILNS1_3genE8ELNS1_11target_archE1030ELNS1_3gpuE2ELNS1_3repE0EEENS1_30default_config_static_selectorELNS0_4arch9wavefront6targetE0EEEvS12_.has_dyn_sized_stack, 0
	.set _ZN7rocprim17ROCPRIM_400000_NS6detail17trampoline_kernelINS0_13select_configILj256ELj13ELNS0_17block_load_methodE3ELS4_3ELS4_3ELNS0_20block_scan_algorithmE0ELj4294967295EEENS1_25partition_config_selectorILNS1_17partition_subalgoE4EjNS0_10empty_typeEbEEZZNS1_14partition_implILS8_4ELb0ES6_15HIP_vector_typeIjLj2EENS0_17counting_iteratorIjlEEPS9_SG_NS0_5tupleIJPjSI_NS0_16reverse_iteratorISI_EEEEENSH_IJSG_SG_SG_EEES9_SI_JZNS1_25segmented_radix_sort_implINS0_14default_configELb1EPKbPbPKlPlN2at6native12_GLOBAL__N_18offset_tEEE10hipError_tPvRmT1_PNSt15iterator_traitsIS12_E10value_typeET2_T3_PNS13_IS18_E10value_typeET4_jRbjT5_S1E_jjP12ihipStream_tbEUljE_ZNSN_ISO_Lb1ESQ_SR_ST_SU_SY_EESZ_S10_S11_S12_S16_S17_S18_S1B_S1C_jS1D_jS1E_S1E_jjS1G_bEUljE0_EEESZ_S10_S11_S18_S1C_S1E_T6_T7_T9_mT8_S1G_bDpT10_ENKUlT_T0_E_clISt17integral_constantIbLb1EES1T_IbLb0EEEEDaS1P_S1Q_EUlS1P_E_NS1_11comp_targetILNS1_3genE8ELNS1_11target_archE1030ELNS1_3gpuE2ELNS1_3repE0EEENS1_30default_config_static_selectorELNS0_4arch9wavefront6targetE0EEEvS12_.has_recursion, 0
	.set _ZN7rocprim17ROCPRIM_400000_NS6detail17trampoline_kernelINS0_13select_configILj256ELj13ELNS0_17block_load_methodE3ELS4_3ELS4_3ELNS0_20block_scan_algorithmE0ELj4294967295EEENS1_25partition_config_selectorILNS1_17partition_subalgoE4EjNS0_10empty_typeEbEEZZNS1_14partition_implILS8_4ELb0ES6_15HIP_vector_typeIjLj2EENS0_17counting_iteratorIjlEEPS9_SG_NS0_5tupleIJPjSI_NS0_16reverse_iteratorISI_EEEEENSH_IJSG_SG_SG_EEES9_SI_JZNS1_25segmented_radix_sort_implINS0_14default_configELb1EPKbPbPKlPlN2at6native12_GLOBAL__N_18offset_tEEE10hipError_tPvRmT1_PNSt15iterator_traitsIS12_E10value_typeET2_T3_PNS13_IS18_E10value_typeET4_jRbjT5_S1E_jjP12ihipStream_tbEUljE_ZNSN_ISO_Lb1ESQ_SR_ST_SU_SY_EESZ_S10_S11_S12_S16_S17_S18_S1B_S1C_jS1D_jS1E_S1E_jjS1G_bEUljE0_EEESZ_S10_S11_S18_S1C_S1E_T6_T7_T9_mT8_S1G_bDpT10_ENKUlT_T0_E_clISt17integral_constantIbLb1EES1T_IbLb0EEEEDaS1P_S1Q_EUlS1P_E_NS1_11comp_targetILNS1_3genE8ELNS1_11target_archE1030ELNS1_3gpuE2ELNS1_3repE0EEENS1_30default_config_static_selectorELNS0_4arch9wavefront6targetE0EEEvS12_.has_indirect_call, 0
	.section	.AMDGPU.csdata,"",@progbits
; Kernel info:
; codeLenInByte = 0
; TotalNumSgprs: 0
; NumVgprs: 0
; ScratchSize: 0
; MemoryBound: 0
; FloatMode: 240
; IeeeMode: 1
; LDSByteSize: 0 bytes/workgroup (compile time only)
; SGPRBlocks: 0
; VGPRBlocks: 0
; NumSGPRsForWavesPerEU: 1
; NumVGPRsForWavesPerEU: 1
; Occupancy: 16
; WaveLimiterHint : 0
; COMPUTE_PGM_RSRC2:SCRATCH_EN: 0
; COMPUTE_PGM_RSRC2:USER_SGPR: 2
; COMPUTE_PGM_RSRC2:TRAP_HANDLER: 0
; COMPUTE_PGM_RSRC2:TGID_X_EN: 1
; COMPUTE_PGM_RSRC2:TGID_Y_EN: 0
; COMPUTE_PGM_RSRC2:TGID_Z_EN: 0
; COMPUTE_PGM_RSRC2:TIDIG_COMP_CNT: 0
	.section	.text._ZN7rocprim17ROCPRIM_400000_NS6detail17trampoline_kernelINS0_13select_configILj256ELj13ELNS0_17block_load_methodE3ELS4_3ELS4_3ELNS0_20block_scan_algorithmE0ELj4294967295EEENS1_25partition_config_selectorILNS1_17partition_subalgoE4EjNS0_10empty_typeEbEEZZNS1_14partition_implILS8_4ELb0ES6_15HIP_vector_typeIjLj2EENS0_17counting_iteratorIjlEEPS9_SG_NS0_5tupleIJPjSI_NS0_16reverse_iteratorISI_EEEEENSH_IJSG_SG_SG_EEES9_SI_JZNS1_25segmented_radix_sort_implINS0_14default_configELb1EPKbPbPKlPlN2at6native12_GLOBAL__N_18offset_tEEE10hipError_tPvRmT1_PNSt15iterator_traitsIS12_E10value_typeET2_T3_PNS13_IS18_E10value_typeET4_jRbjT5_S1E_jjP12ihipStream_tbEUljE_ZNSN_ISO_Lb1ESQ_SR_ST_SU_SY_EESZ_S10_S11_S12_S16_S17_S18_S1B_S1C_jS1D_jS1E_S1E_jjS1G_bEUljE0_EEESZ_S10_S11_S18_S1C_S1E_T6_T7_T9_mT8_S1G_bDpT10_ENKUlT_T0_E_clISt17integral_constantIbLb0EES1T_IbLb1EEEEDaS1P_S1Q_EUlS1P_E_NS1_11comp_targetILNS1_3genE0ELNS1_11target_archE4294967295ELNS1_3gpuE0ELNS1_3repE0EEENS1_30default_config_static_selectorELNS0_4arch9wavefront6targetE0EEEvS12_,"axG",@progbits,_ZN7rocprim17ROCPRIM_400000_NS6detail17trampoline_kernelINS0_13select_configILj256ELj13ELNS0_17block_load_methodE3ELS4_3ELS4_3ELNS0_20block_scan_algorithmE0ELj4294967295EEENS1_25partition_config_selectorILNS1_17partition_subalgoE4EjNS0_10empty_typeEbEEZZNS1_14partition_implILS8_4ELb0ES6_15HIP_vector_typeIjLj2EENS0_17counting_iteratorIjlEEPS9_SG_NS0_5tupleIJPjSI_NS0_16reverse_iteratorISI_EEEEENSH_IJSG_SG_SG_EEES9_SI_JZNS1_25segmented_radix_sort_implINS0_14default_configELb1EPKbPbPKlPlN2at6native12_GLOBAL__N_18offset_tEEE10hipError_tPvRmT1_PNSt15iterator_traitsIS12_E10value_typeET2_T3_PNS13_IS18_E10value_typeET4_jRbjT5_S1E_jjP12ihipStream_tbEUljE_ZNSN_ISO_Lb1ESQ_SR_ST_SU_SY_EESZ_S10_S11_S12_S16_S17_S18_S1B_S1C_jS1D_jS1E_S1E_jjS1G_bEUljE0_EEESZ_S10_S11_S18_S1C_S1E_T6_T7_T9_mT8_S1G_bDpT10_ENKUlT_T0_E_clISt17integral_constantIbLb0EES1T_IbLb1EEEEDaS1P_S1Q_EUlS1P_E_NS1_11comp_targetILNS1_3genE0ELNS1_11target_archE4294967295ELNS1_3gpuE0ELNS1_3repE0EEENS1_30default_config_static_selectorELNS0_4arch9wavefront6targetE0EEEvS12_,comdat
	.globl	_ZN7rocprim17ROCPRIM_400000_NS6detail17trampoline_kernelINS0_13select_configILj256ELj13ELNS0_17block_load_methodE3ELS4_3ELS4_3ELNS0_20block_scan_algorithmE0ELj4294967295EEENS1_25partition_config_selectorILNS1_17partition_subalgoE4EjNS0_10empty_typeEbEEZZNS1_14partition_implILS8_4ELb0ES6_15HIP_vector_typeIjLj2EENS0_17counting_iteratorIjlEEPS9_SG_NS0_5tupleIJPjSI_NS0_16reverse_iteratorISI_EEEEENSH_IJSG_SG_SG_EEES9_SI_JZNS1_25segmented_radix_sort_implINS0_14default_configELb1EPKbPbPKlPlN2at6native12_GLOBAL__N_18offset_tEEE10hipError_tPvRmT1_PNSt15iterator_traitsIS12_E10value_typeET2_T3_PNS13_IS18_E10value_typeET4_jRbjT5_S1E_jjP12ihipStream_tbEUljE_ZNSN_ISO_Lb1ESQ_SR_ST_SU_SY_EESZ_S10_S11_S12_S16_S17_S18_S1B_S1C_jS1D_jS1E_S1E_jjS1G_bEUljE0_EEESZ_S10_S11_S18_S1C_S1E_T6_T7_T9_mT8_S1G_bDpT10_ENKUlT_T0_E_clISt17integral_constantIbLb0EES1T_IbLb1EEEEDaS1P_S1Q_EUlS1P_E_NS1_11comp_targetILNS1_3genE0ELNS1_11target_archE4294967295ELNS1_3gpuE0ELNS1_3repE0EEENS1_30default_config_static_selectorELNS0_4arch9wavefront6targetE0EEEvS12_ ; -- Begin function _ZN7rocprim17ROCPRIM_400000_NS6detail17trampoline_kernelINS0_13select_configILj256ELj13ELNS0_17block_load_methodE3ELS4_3ELS4_3ELNS0_20block_scan_algorithmE0ELj4294967295EEENS1_25partition_config_selectorILNS1_17partition_subalgoE4EjNS0_10empty_typeEbEEZZNS1_14partition_implILS8_4ELb0ES6_15HIP_vector_typeIjLj2EENS0_17counting_iteratorIjlEEPS9_SG_NS0_5tupleIJPjSI_NS0_16reverse_iteratorISI_EEEEENSH_IJSG_SG_SG_EEES9_SI_JZNS1_25segmented_radix_sort_implINS0_14default_configELb1EPKbPbPKlPlN2at6native12_GLOBAL__N_18offset_tEEE10hipError_tPvRmT1_PNSt15iterator_traitsIS12_E10value_typeET2_T3_PNS13_IS18_E10value_typeET4_jRbjT5_S1E_jjP12ihipStream_tbEUljE_ZNSN_ISO_Lb1ESQ_SR_ST_SU_SY_EESZ_S10_S11_S12_S16_S17_S18_S1B_S1C_jS1D_jS1E_S1E_jjS1G_bEUljE0_EEESZ_S10_S11_S18_S1C_S1E_T6_T7_T9_mT8_S1G_bDpT10_ENKUlT_T0_E_clISt17integral_constantIbLb0EES1T_IbLb1EEEEDaS1P_S1Q_EUlS1P_E_NS1_11comp_targetILNS1_3genE0ELNS1_11target_archE4294967295ELNS1_3gpuE0ELNS1_3repE0EEENS1_30default_config_static_selectorELNS0_4arch9wavefront6targetE0EEEvS12_
	.p2align	8
	.type	_ZN7rocprim17ROCPRIM_400000_NS6detail17trampoline_kernelINS0_13select_configILj256ELj13ELNS0_17block_load_methodE3ELS4_3ELS4_3ELNS0_20block_scan_algorithmE0ELj4294967295EEENS1_25partition_config_selectorILNS1_17partition_subalgoE4EjNS0_10empty_typeEbEEZZNS1_14partition_implILS8_4ELb0ES6_15HIP_vector_typeIjLj2EENS0_17counting_iteratorIjlEEPS9_SG_NS0_5tupleIJPjSI_NS0_16reverse_iteratorISI_EEEEENSH_IJSG_SG_SG_EEES9_SI_JZNS1_25segmented_radix_sort_implINS0_14default_configELb1EPKbPbPKlPlN2at6native12_GLOBAL__N_18offset_tEEE10hipError_tPvRmT1_PNSt15iterator_traitsIS12_E10value_typeET2_T3_PNS13_IS18_E10value_typeET4_jRbjT5_S1E_jjP12ihipStream_tbEUljE_ZNSN_ISO_Lb1ESQ_SR_ST_SU_SY_EESZ_S10_S11_S12_S16_S17_S18_S1B_S1C_jS1D_jS1E_S1E_jjS1G_bEUljE0_EEESZ_S10_S11_S18_S1C_S1E_T6_T7_T9_mT8_S1G_bDpT10_ENKUlT_T0_E_clISt17integral_constantIbLb0EES1T_IbLb1EEEEDaS1P_S1Q_EUlS1P_E_NS1_11comp_targetILNS1_3genE0ELNS1_11target_archE4294967295ELNS1_3gpuE0ELNS1_3repE0EEENS1_30default_config_static_selectorELNS0_4arch9wavefront6targetE0EEEvS12_,@function
_ZN7rocprim17ROCPRIM_400000_NS6detail17trampoline_kernelINS0_13select_configILj256ELj13ELNS0_17block_load_methodE3ELS4_3ELS4_3ELNS0_20block_scan_algorithmE0ELj4294967295EEENS1_25partition_config_selectorILNS1_17partition_subalgoE4EjNS0_10empty_typeEbEEZZNS1_14partition_implILS8_4ELb0ES6_15HIP_vector_typeIjLj2EENS0_17counting_iteratorIjlEEPS9_SG_NS0_5tupleIJPjSI_NS0_16reverse_iteratorISI_EEEEENSH_IJSG_SG_SG_EEES9_SI_JZNS1_25segmented_radix_sort_implINS0_14default_configELb1EPKbPbPKlPlN2at6native12_GLOBAL__N_18offset_tEEE10hipError_tPvRmT1_PNSt15iterator_traitsIS12_E10value_typeET2_T3_PNS13_IS18_E10value_typeET4_jRbjT5_S1E_jjP12ihipStream_tbEUljE_ZNSN_ISO_Lb1ESQ_SR_ST_SU_SY_EESZ_S10_S11_S12_S16_S17_S18_S1B_S1C_jS1D_jS1E_S1E_jjS1G_bEUljE0_EEESZ_S10_S11_S18_S1C_S1E_T6_T7_T9_mT8_S1G_bDpT10_ENKUlT_T0_E_clISt17integral_constantIbLb0EES1T_IbLb1EEEEDaS1P_S1Q_EUlS1P_E_NS1_11comp_targetILNS1_3genE0ELNS1_11target_archE4294967295ELNS1_3gpuE0ELNS1_3repE0EEENS1_30default_config_static_selectorELNS0_4arch9wavefront6targetE0EEEvS12_: ; @_ZN7rocprim17ROCPRIM_400000_NS6detail17trampoline_kernelINS0_13select_configILj256ELj13ELNS0_17block_load_methodE3ELS4_3ELS4_3ELNS0_20block_scan_algorithmE0ELj4294967295EEENS1_25partition_config_selectorILNS1_17partition_subalgoE4EjNS0_10empty_typeEbEEZZNS1_14partition_implILS8_4ELb0ES6_15HIP_vector_typeIjLj2EENS0_17counting_iteratorIjlEEPS9_SG_NS0_5tupleIJPjSI_NS0_16reverse_iteratorISI_EEEEENSH_IJSG_SG_SG_EEES9_SI_JZNS1_25segmented_radix_sort_implINS0_14default_configELb1EPKbPbPKlPlN2at6native12_GLOBAL__N_18offset_tEEE10hipError_tPvRmT1_PNSt15iterator_traitsIS12_E10value_typeET2_T3_PNS13_IS18_E10value_typeET4_jRbjT5_S1E_jjP12ihipStream_tbEUljE_ZNSN_ISO_Lb1ESQ_SR_ST_SU_SY_EESZ_S10_S11_S12_S16_S17_S18_S1B_S1C_jS1D_jS1E_S1E_jjS1G_bEUljE0_EEESZ_S10_S11_S18_S1C_S1E_T6_T7_T9_mT8_S1G_bDpT10_ENKUlT_T0_E_clISt17integral_constantIbLb0EES1T_IbLb1EEEEDaS1P_S1Q_EUlS1P_E_NS1_11comp_targetILNS1_3genE0ELNS1_11target_archE4294967295ELNS1_3gpuE0ELNS1_3repE0EEENS1_30default_config_static_selectorELNS0_4arch9wavefront6targetE0EEEvS12_
; %bb.0:
	.section	.rodata,"a",@progbits
	.p2align	6, 0x0
	.amdhsa_kernel _ZN7rocprim17ROCPRIM_400000_NS6detail17trampoline_kernelINS0_13select_configILj256ELj13ELNS0_17block_load_methodE3ELS4_3ELS4_3ELNS0_20block_scan_algorithmE0ELj4294967295EEENS1_25partition_config_selectorILNS1_17partition_subalgoE4EjNS0_10empty_typeEbEEZZNS1_14partition_implILS8_4ELb0ES6_15HIP_vector_typeIjLj2EENS0_17counting_iteratorIjlEEPS9_SG_NS0_5tupleIJPjSI_NS0_16reverse_iteratorISI_EEEEENSH_IJSG_SG_SG_EEES9_SI_JZNS1_25segmented_radix_sort_implINS0_14default_configELb1EPKbPbPKlPlN2at6native12_GLOBAL__N_18offset_tEEE10hipError_tPvRmT1_PNSt15iterator_traitsIS12_E10value_typeET2_T3_PNS13_IS18_E10value_typeET4_jRbjT5_S1E_jjP12ihipStream_tbEUljE_ZNSN_ISO_Lb1ESQ_SR_ST_SU_SY_EESZ_S10_S11_S12_S16_S17_S18_S1B_S1C_jS1D_jS1E_S1E_jjS1G_bEUljE0_EEESZ_S10_S11_S18_S1C_S1E_T6_T7_T9_mT8_S1G_bDpT10_ENKUlT_T0_E_clISt17integral_constantIbLb0EES1T_IbLb1EEEEDaS1P_S1Q_EUlS1P_E_NS1_11comp_targetILNS1_3genE0ELNS1_11target_archE4294967295ELNS1_3gpuE0ELNS1_3repE0EEENS1_30default_config_static_selectorELNS0_4arch9wavefront6targetE0EEEvS12_
		.amdhsa_group_segment_fixed_size 0
		.amdhsa_private_segment_fixed_size 0
		.amdhsa_kernarg_size 184
		.amdhsa_user_sgpr_count 2
		.amdhsa_user_sgpr_dispatch_ptr 0
		.amdhsa_user_sgpr_queue_ptr 0
		.amdhsa_user_sgpr_kernarg_segment_ptr 1
		.amdhsa_user_sgpr_dispatch_id 0
		.amdhsa_user_sgpr_private_segment_size 0
		.amdhsa_wavefront_size32 1
		.amdhsa_uses_dynamic_stack 0
		.amdhsa_enable_private_segment 0
		.amdhsa_system_sgpr_workgroup_id_x 1
		.amdhsa_system_sgpr_workgroup_id_y 0
		.amdhsa_system_sgpr_workgroup_id_z 0
		.amdhsa_system_sgpr_workgroup_info 0
		.amdhsa_system_vgpr_workitem_id 0
		.amdhsa_next_free_vgpr 1
		.amdhsa_next_free_sgpr 1
		.amdhsa_reserve_vcc 0
		.amdhsa_float_round_mode_32 0
		.amdhsa_float_round_mode_16_64 0
		.amdhsa_float_denorm_mode_32 3
		.amdhsa_float_denorm_mode_16_64 3
		.amdhsa_fp16_overflow 0
		.amdhsa_workgroup_processor_mode 1
		.amdhsa_memory_ordered 1
		.amdhsa_forward_progress 1
		.amdhsa_inst_pref_size 0
		.amdhsa_round_robin_scheduling 0
		.amdhsa_exception_fp_ieee_invalid_op 0
		.amdhsa_exception_fp_denorm_src 0
		.amdhsa_exception_fp_ieee_div_zero 0
		.amdhsa_exception_fp_ieee_overflow 0
		.amdhsa_exception_fp_ieee_underflow 0
		.amdhsa_exception_fp_ieee_inexact 0
		.amdhsa_exception_int_div_zero 0
	.end_amdhsa_kernel
	.section	.text._ZN7rocprim17ROCPRIM_400000_NS6detail17trampoline_kernelINS0_13select_configILj256ELj13ELNS0_17block_load_methodE3ELS4_3ELS4_3ELNS0_20block_scan_algorithmE0ELj4294967295EEENS1_25partition_config_selectorILNS1_17partition_subalgoE4EjNS0_10empty_typeEbEEZZNS1_14partition_implILS8_4ELb0ES6_15HIP_vector_typeIjLj2EENS0_17counting_iteratorIjlEEPS9_SG_NS0_5tupleIJPjSI_NS0_16reverse_iteratorISI_EEEEENSH_IJSG_SG_SG_EEES9_SI_JZNS1_25segmented_radix_sort_implINS0_14default_configELb1EPKbPbPKlPlN2at6native12_GLOBAL__N_18offset_tEEE10hipError_tPvRmT1_PNSt15iterator_traitsIS12_E10value_typeET2_T3_PNS13_IS18_E10value_typeET4_jRbjT5_S1E_jjP12ihipStream_tbEUljE_ZNSN_ISO_Lb1ESQ_SR_ST_SU_SY_EESZ_S10_S11_S12_S16_S17_S18_S1B_S1C_jS1D_jS1E_S1E_jjS1G_bEUljE0_EEESZ_S10_S11_S18_S1C_S1E_T6_T7_T9_mT8_S1G_bDpT10_ENKUlT_T0_E_clISt17integral_constantIbLb0EES1T_IbLb1EEEEDaS1P_S1Q_EUlS1P_E_NS1_11comp_targetILNS1_3genE0ELNS1_11target_archE4294967295ELNS1_3gpuE0ELNS1_3repE0EEENS1_30default_config_static_selectorELNS0_4arch9wavefront6targetE0EEEvS12_,"axG",@progbits,_ZN7rocprim17ROCPRIM_400000_NS6detail17trampoline_kernelINS0_13select_configILj256ELj13ELNS0_17block_load_methodE3ELS4_3ELS4_3ELNS0_20block_scan_algorithmE0ELj4294967295EEENS1_25partition_config_selectorILNS1_17partition_subalgoE4EjNS0_10empty_typeEbEEZZNS1_14partition_implILS8_4ELb0ES6_15HIP_vector_typeIjLj2EENS0_17counting_iteratorIjlEEPS9_SG_NS0_5tupleIJPjSI_NS0_16reverse_iteratorISI_EEEEENSH_IJSG_SG_SG_EEES9_SI_JZNS1_25segmented_radix_sort_implINS0_14default_configELb1EPKbPbPKlPlN2at6native12_GLOBAL__N_18offset_tEEE10hipError_tPvRmT1_PNSt15iterator_traitsIS12_E10value_typeET2_T3_PNS13_IS18_E10value_typeET4_jRbjT5_S1E_jjP12ihipStream_tbEUljE_ZNSN_ISO_Lb1ESQ_SR_ST_SU_SY_EESZ_S10_S11_S12_S16_S17_S18_S1B_S1C_jS1D_jS1E_S1E_jjS1G_bEUljE0_EEESZ_S10_S11_S18_S1C_S1E_T6_T7_T9_mT8_S1G_bDpT10_ENKUlT_T0_E_clISt17integral_constantIbLb0EES1T_IbLb1EEEEDaS1P_S1Q_EUlS1P_E_NS1_11comp_targetILNS1_3genE0ELNS1_11target_archE4294967295ELNS1_3gpuE0ELNS1_3repE0EEENS1_30default_config_static_selectorELNS0_4arch9wavefront6targetE0EEEvS12_,comdat
.Lfunc_end1492:
	.size	_ZN7rocprim17ROCPRIM_400000_NS6detail17trampoline_kernelINS0_13select_configILj256ELj13ELNS0_17block_load_methodE3ELS4_3ELS4_3ELNS0_20block_scan_algorithmE0ELj4294967295EEENS1_25partition_config_selectorILNS1_17partition_subalgoE4EjNS0_10empty_typeEbEEZZNS1_14partition_implILS8_4ELb0ES6_15HIP_vector_typeIjLj2EENS0_17counting_iteratorIjlEEPS9_SG_NS0_5tupleIJPjSI_NS0_16reverse_iteratorISI_EEEEENSH_IJSG_SG_SG_EEES9_SI_JZNS1_25segmented_radix_sort_implINS0_14default_configELb1EPKbPbPKlPlN2at6native12_GLOBAL__N_18offset_tEEE10hipError_tPvRmT1_PNSt15iterator_traitsIS12_E10value_typeET2_T3_PNS13_IS18_E10value_typeET4_jRbjT5_S1E_jjP12ihipStream_tbEUljE_ZNSN_ISO_Lb1ESQ_SR_ST_SU_SY_EESZ_S10_S11_S12_S16_S17_S18_S1B_S1C_jS1D_jS1E_S1E_jjS1G_bEUljE0_EEESZ_S10_S11_S18_S1C_S1E_T6_T7_T9_mT8_S1G_bDpT10_ENKUlT_T0_E_clISt17integral_constantIbLb0EES1T_IbLb1EEEEDaS1P_S1Q_EUlS1P_E_NS1_11comp_targetILNS1_3genE0ELNS1_11target_archE4294967295ELNS1_3gpuE0ELNS1_3repE0EEENS1_30default_config_static_selectorELNS0_4arch9wavefront6targetE0EEEvS12_, .Lfunc_end1492-_ZN7rocprim17ROCPRIM_400000_NS6detail17trampoline_kernelINS0_13select_configILj256ELj13ELNS0_17block_load_methodE3ELS4_3ELS4_3ELNS0_20block_scan_algorithmE0ELj4294967295EEENS1_25partition_config_selectorILNS1_17partition_subalgoE4EjNS0_10empty_typeEbEEZZNS1_14partition_implILS8_4ELb0ES6_15HIP_vector_typeIjLj2EENS0_17counting_iteratorIjlEEPS9_SG_NS0_5tupleIJPjSI_NS0_16reverse_iteratorISI_EEEEENSH_IJSG_SG_SG_EEES9_SI_JZNS1_25segmented_radix_sort_implINS0_14default_configELb1EPKbPbPKlPlN2at6native12_GLOBAL__N_18offset_tEEE10hipError_tPvRmT1_PNSt15iterator_traitsIS12_E10value_typeET2_T3_PNS13_IS18_E10value_typeET4_jRbjT5_S1E_jjP12ihipStream_tbEUljE_ZNSN_ISO_Lb1ESQ_SR_ST_SU_SY_EESZ_S10_S11_S12_S16_S17_S18_S1B_S1C_jS1D_jS1E_S1E_jjS1G_bEUljE0_EEESZ_S10_S11_S18_S1C_S1E_T6_T7_T9_mT8_S1G_bDpT10_ENKUlT_T0_E_clISt17integral_constantIbLb0EES1T_IbLb1EEEEDaS1P_S1Q_EUlS1P_E_NS1_11comp_targetILNS1_3genE0ELNS1_11target_archE4294967295ELNS1_3gpuE0ELNS1_3repE0EEENS1_30default_config_static_selectorELNS0_4arch9wavefront6targetE0EEEvS12_
                                        ; -- End function
	.set _ZN7rocprim17ROCPRIM_400000_NS6detail17trampoline_kernelINS0_13select_configILj256ELj13ELNS0_17block_load_methodE3ELS4_3ELS4_3ELNS0_20block_scan_algorithmE0ELj4294967295EEENS1_25partition_config_selectorILNS1_17partition_subalgoE4EjNS0_10empty_typeEbEEZZNS1_14partition_implILS8_4ELb0ES6_15HIP_vector_typeIjLj2EENS0_17counting_iteratorIjlEEPS9_SG_NS0_5tupleIJPjSI_NS0_16reverse_iteratorISI_EEEEENSH_IJSG_SG_SG_EEES9_SI_JZNS1_25segmented_radix_sort_implINS0_14default_configELb1EPKbPbPKlPlN2at6native12_GLOBAL__N_18offset_tEEE10hipError_tPvRmT1_PNSt15iterator_traitsIS12_E10value_typeET2_T3_PNS13_IS18_E10value_typeET4_jRbjT5_S1E_jjP12ihipStream_tbEUljE_ZNSN_ISO_Lb1ESQ_SR_ST_SU_SY_EESZ_S10_S11_S12_S16_S17_S18_S1B_S1C_jS1D_jS1E_S1E_jjS1G_bEUljE0_EEESZ_S10_S11_S18_S1C_S1E_T6_T7_T9_mT8_S1G_bDpT10_ENKUlT_T0_E_clISt17integral_constantIbLb0EES1T_IbLb1EEEEDaS1P_S1Q_EUlS1P_E_NS1_11comp_targetILNS1_3genE0ELNS1_11target_archE4294967295ELNS1_3gpuE0ELNS1_3repE0EEENS1_30default_config_static_selectorELNS0_4arch9wavefront6targetE0EEEvS12_.num_vgpr, 0
	.set _ZN7rocprim17ROCPRIM_400000_NS6detail17trampoline_kernelINS0_13select_configILj256ELj13ELNS0_17block_load_methodE3ELS4_3ELS4_3ELNS0_20block_scan_algorithmE0ELj4294967295EEENS1_25partition_config_selectorILNS1_17partition_subalgoE4EjNS0_10empty_typeEbEEZZNS1_14partition_implILS8_4ELb0ES6_15HIP_vector_typeIjLj2EENS0_17counting_iteratorIjlEEPS9_SG_NS0_5tupleIJPjSI_NS0_16reverse_iteratorISI_EEEEENSH_IJSG_SG_SG_EEES9_SI_JZNS1_25segmented_radix_sort_implINS0_14default_configELb1EPKbPbPKlPlN2at6native12_GLOBAL__N_18offset_tEEE10hipError_tPvRmT1_PNSt15iterator_traitsIS12_E10value_typeET2_T3_PNS13_IS18_E10value_typeET4_jRbjT5_S1E_jjP12ihipStream_tbEUljE_ZNSN_ISO_Lb1ESQ_SR_ST_SU_SY_EESZ_S10_S11_S12_S16_S17_S18_S1B_S1C_jS1D_jS1E_S1E_jjS1G_bEUljE0_EEESZ_S10_S11_S18_S1C_S1E_T6_T7_T9_mT8_S1G_bDpT10_ENKUlT_T0_E_clISt17integral_constantIbLb0EES1T_IbLb1EEEEDaS1P_S1Q_EUlS1P_E_NS1_11comp_targetILNS1_3genE0ELNS1_11target_archE4294967295ELNS1_3gpuE0ELNS1_3repE0EEENS1_30default_config_static_selectorELNS0_4arch9wavefront6targetE0EEEvS12_.num_agpr, 0
	.set _ZN7rocprim17ROCPRIM_400000_NS6detail17trampoline_kernelINS0_13select_configILj256ELj13ELNS0_17block_load_methodE3ELS4_3ELS4_3ELNS0_20block_scan_algorithmE0ELj4294967295EEENS1_25partition_config_selectorILNS1_17partition_subalgoE4EjNS0_10empty_typeEbEEZZNS1_14partition_implILS8_4ELb0ES6_15HIP_vector_typeIjLj2EENS0_17counting_iteratorIjlEEPS9_SG_NS0_5tupleIJPjSI_NS0_16reverse_iteratorISI_EEEEENSH_IJSG_SG_SG_EEES9_SI_JZNS1_25segmented_radix_sort_implINS0_14default_configELb1EPKbPbPKlPlN2at6native12_GLOBAL__N_18offset_tEEE10hipError_tPvRmT1_PNSt15iterator_traitsIS12_E10value_typeET2_T3_PNS13_IS18_E10value_typeET4_jRbjT5_S1E_jjP12ihipStream_tbEUljE_ZNSN_ISO_Lb1ESQ_SR_ST_SU_SY_EESZ_S10_S11_S12_S16_S17_S18_S1B_S1C_jS1D_jS1E_S1E_jjS1G_bEUljE0_EEESZ_S10_S11_S18_S1C_S1E_T6_T7_T9_mT8_S1G_bDpT10_ENKUlT_T0_E_clISt17integral_constantIbLb0EES1T_IbLb1EEEEDaS1P_S1Q_EUlS1P_E_NS1_11comp_targetILNS1_3genE0ELNS1_11target_archE4294967295ELNS1_3gpuE0ELNS1_3repE0EEENS1_30default_config_static_selectorELNS0_4arch9wavefront6targetE0EEEvS12_.numbered_sgpr, 0
	.set _ZN7rocprim17ROCPRIM_400000_NS6detail17trampoline_kernelINS0_13select_configILj256ELj13ELNS0_17block_load_methodE3ELS4_3ELS4_3ELNS0_20block_scan_algorithmE0ELj4294967295EEENS1_25partition_config_selectorILNS1_17partition_subalgoE4EjNS0_10empty_typeEbEEZZNS1_14partition_implILS8_4ELb0ES6_15HIP_vector_typeIjLj2EENS0_17counting_iteratorIjlEEPS9_SG_NS0_5tupleIJPjSI_NS0_16reverse_iteratorISI_EEEEENSH_IJSG_SG_SG_EEES9_SI_JZNS1_25segmented_radix_sort_implINS0_14default_configELb1EPKbPbPKlPlN2at6native12_GLOBAL__N_18offset_tEEE10hipError_tPvRmT1_PNSt15iterator_traitsIS12_E10value_typeET2_T3_PNS13_IS18_E10value_typeET4_jRbjT5_S1E_jjP12ihipStream_tbEUljE_ZNSN_ISO_Lb1ESQ_SR_ST_SU_SY_EESZ_S10_S11_S12_S16_S17_S18_S1B_S1C_jS1D_jS1E_S1E_jjS1G_bEUljE0_EEESZ_S10_S11_S18_S1C_S1E_T6_T7_T9_mT8_S1G_bDpT10_ENKUlT_T0_E_clISt17integral_constantIbLb0EES1T_IbLb1EEEEDaS1P_S1Q_EUlS1P_E_NS1_11comp_targetILNS1_3genE0ELNS1_11target_archE4294967295ELNS1_3gpuE0ELNS1_3repE0EEENS1_30default_config_static_selectorELNS0_4arch9wavefront6targetE0EEEvS12_.num_named_barrier, 0
	.set _ZN7rocprim17ROCPRIM_400000_NS6detail17trampoline_kernelINS0_13select_configILj256ELj13ELNS0_17block_load_methodE3ELS4_3ELS4_3ELNS0_20block_scan_algorithmE0ELj4294967295EEENS1_25partition_config_selectorILNS1_17partition_subalgoE4EjNS0_10empty_typeEbEEZZNS1_14partition_implILS8_4ELb0ES6_15HIP_vector_typeIjLj2EENS0_17counting_iteratorIjlEEPS9_SG_NS0_5tupleIJPjSI_NS0_16reverse_iteratorISI_EEEEENSH_IJSG_SG_SG_EEES9_SI_JZNS1_25segmented_radix_sort_implINS0_14default_configELb1EPKbPbPKlPlN2at6native12_GLOBAL__N_18offset_tEEE10hipError_tPvRmT1_PNSt15iterator_traitsIS12_E10value_typeET2_T3_PNS13_IS18_E10value_typeET4_jRbjT5_S1E_jjP12ihipStream_tbEUljE_ZNSN_ISO_Lb1ESQ_SR_ST_SU_SY_EESZ_S10_S11_S12_S16_S17_S18_S1B_S1C_jS1D_jS1E_S1E_jjS1G_bEUljE0_EEESZ_S10_S11_S18_S1C_S1E_T6_T7_T9_mT8_S1G_bDpT10_ENKUlT_T0_E_clISt17integral_constantIbLb0EES1T_IbLb1EEEEDaS1P_S1Q_EUlS1P_E_NS1_11comp_targetILNS1_3genE0ELNS1_11target_archE4294967295ELNS1_3gpuE0ELNS1_3repE0EEENS1_30default_config_static_selectorELNS0_4arch9wavefront6targetE0EEEvS12_.private_seg_size, 0
	.set _ZN7rocprim17ROCPRIM_400000_NS6detail17trampoline_kernelINS0_13select_configILj256ELj13ELNS0_17block_load_methodE3ELS4_3ELS4_3ELNS0_20block_scan_algorithmE0ELj4294967295EEENS1_25partition_config_selectorILNS1_17partition_subalgoE4EjNS0_10empty_typeEbEEZZNS1_14partition_implILS8_4ELb0ES6_15HIP_vector_typeIjLj2EENS0_17counting_iteratorIjlEEPS9_SG_NS0_5tupleIJPjSI_NS0_16reverse_iteratorISI_EEEEENSH_IJSG_SG_SG_EEES9_SI_JZNS1_25segmented_radix_sort_implINS0_14default_configELb1EPKbPbPKlPlN2at6native12_GLOBAL__N_18offset_tEEE10hipError_tPvRmT1_PNSt15iterator_traitsIS12_E10value_typeET2_T3_PNS13_IS18_E10value_typeET4_jRbjT5_S1E_jjP12ihipStream_tbEUljE_ZNSN_ISO_Lb1ESQ_SR_ST_SU_SY_EESZ_S10_S11_S12_S16_S17_S18_S1B_S1C_jS1D_jS1E_S1E_jjS1G_bEUljE0_EEESZ_S10_S11_S18_S1C_S1E_T6_T7_T9_mT8_S1G_bDpT10_ENKUlT_T0_E_clISt17integral_constantIbLb0EES1T_IbLb1EEEEDaS1P_S1Q_EUlS1P_E_NS1_11comp_targetILNS1_3genE0ELNS1_11target_archE4294967295ELNS1_3gpuE0ELNS1_3repE0EEENS1_30default_config_static_selectorELNS0_4arch9wavefront6targetE0EEEvS12_.uses_vcc, 0
	.set _ZN7rocprim17ROCPRIM_400000_NS6detail17trampoline_kernelINS0_13select_configILj256ELj13ELNS0_17block_load_methodE3ELS4_3ELS4_3ELNS0_20block_scan_algorithmE0ELj4294967295EEENS1_25partition_config_selectorILNS1_17partition_subalgoE4EjNS0_10empty_typeEbEEZZNS1_14partition_implILS8_4ELb0ES6_15HIP_vector_typeIjLj2EENS0_17counting_iteratorIjlEEPS9_SG_NS0_5tupleIJPjSI_NS0_16reverse_iteratorISI_EEEEENSH_IJSG_SG_SG_EEES9_SI_JZNS1_25segmented_radix_sort_implINS0_14default_configELb1EPKbPbPKlPlN2at6native12_GLOBAL__N_18offset_tEEE10hipError_tPvRmT1_PNSt15iterator_traitsIS12_E10value_typeET2_T3_PNS13_IS18_E10value_typeET4_jRbjT5_S1E_jjP12ihipStream_tbEUljE_ZNSN_ISO_Lb1ESQ_SR_ST_SU_SY_EESZ_S10_S11_S12_S16_S17_S18_S1B_S1C_jS1D_jS1E_S1E_jjS1G_bEUljE0_EEESZ_S10_S11_S18_S1C_S1E_T6_T7_T9_mT8_S1G_bDpT10_ENKUlT_T0_E_clISt17integral_constantIbLb0EES1T_IbLb1EEEEDaS1P_S1Q_EUlS1P_E_NS1_11comp_targetILNS1_3genE0ELNS1_11target_archE4294967295ELNS1_3gpuE0ELNS1_3repE0EEENS1_30default_config_static_selectorELNS0_4arch9wavefront6targetE0EEEvS12_.uses_flat_scratch, 0
	.set _ZN7rocprim17ROCPRIM_400000_NS6detail17trampoline_kernelINS0_13select_configILj256ELj13ELNS0_17block_load_methodE3ELS4_3ELS4_3ELNS0_20block_scan_algorithmE0ELj4294967295EEENS1_25partition_config_selectorILNS1_17partition_subalgoE4EjNS0_10empty_typeEbEEZZNS1_14partition_implILS8_4ELb0ES6_15HIP_vector_typeIjLj2EENS0_17counting_iteratorIjlEEPS9_SG_NS0_5tupleIJPjSI_NS0_16reverse_iteratorISI_EEEEENSH_IJSG_SG_SG_EEES9_SI_JZNS1_25segmented_radix_sort_implINS0_14default_configELb1EPKbPbPKlPlN2at6native12_GLOBAL__N_18offset_tEEE10hipError_tPvRmT1_PNSt15iterator_traitsIS12_E10value_typeET2_T3_PNS13_IS18_E10value_typeET4_jRbjT5_S1E_jjP12ihipStream_tbEUljE_ZNSN_ISO_Lb1ESQ_SR_ST_SU_SY_EESZ_S10_S11_S12_S16_S17_S18_S1B_S1C_jS1D_jS1E_S1E_jjS1G_bEUljE0_EEESZ_S10_S11_S18_S1C_S1E_T6_T7_T9_mT8_S1G_bDpT10_ENKUlT_T0_E_clISt17integral_constantIbLb0EES1T_IbLb1EEEEDaS1P_S1Q_EUlS1P_E_NS1_11comp_targetILNS1_3genE0ELNS1_11target_archE4294967295ELNS1_3gpuE0ELNS1_3repE0EEENS1_30default_config_static_selectorELNS0_4arch9wavefront6targetE0EEEvS12_.has_dyn_sized_stack, 0
	.set _ZN7rocprim17ROCPRIM_400000_NS6detail17trampoline_kernelINS0_13select_configILj256ELj13ELNS0_17block_load_methodE3ELS4_3ELS4_3ELNS0_20block_scan_algorithmE0ELj4294967295EEENS1_25partition_config_selectorILNS1_17partition_subalgoE4EjNS0_10empty_typeEbEEZZNS1_14partition_implILS8_4ELb0ES6_15HIP_vector_typeIjLj2EENS0_17counting_iteratorIjlEEPS9_SG_NS0_5tupleIJPjSI_NS0_16reverse_iteratorISI_EEEEENSH_IJSG_SG_SG_EEES9_SI_JZNS1_25segmented_radix_sort_implINS0_14default_configELb1EPKbPbPKlPlN2at6native12_GLOBAL__N_18offset_tEEE10hipError_tPvRmT1_PNSt15iterator_traitsIS12_E10value_typeET2_T3_PNS13_IS18_E10value_typeET4_jRbjT5_S1E_jjP12ihipStream_tbEUljE_ZNSN_ISO_Lb1ESQ_SR_ST_SU_SY_EESZ_S10_S11_S12_S16_S17_S18_S1B_S1C_jS1D_jS1E_S1E_jjS1G_bEUljE0_EEESZ_S10_S11_S18_S1C_S1E_T6_T7_T9_mT8_S1G_bDpT10_ENKUlT_T0_E_clISt17integral_constantIbLb0EES1T_IbLb1EEEEDaS1P_S1Q_EUlS1P_E_NS1_11comp_targetILNS1_3genE0ELNS1_11target_archE4294967295ELNS1_3gpuE0ELNS1_3repE0EEENS1_30default_config_static_selectorELNS0_4arch9wavefront6targetE0EEEvS12_.has_recursion, 0
	.set _ZN7rocprim17ROCPRIM_400000_NS6detail17trampoline_kernelINS0_13select_configILj256ELj13ELNS0_17block_load_methodE3ELS4_3ELS4_3ELNS0_20block_scan_algorithmE0ELj4294967295EEENS1_25partition_config_selectorILNS1_17partition_subalgoE4EjNS0_10empty_typeEbEEZZNS1_14partition_implILS8_4ELb0ES6_15HIP_vector_typeIjLj2EENS0_17counting_iteratorIjlEEPS9_SG_NS0_5tupleIJPjSI_NS0_16reverse_iteratorISI_EEEEENSH_IJSG_SG_SG_EEES9_SI_JZNS1_25segmented_radix_sort_implINS0_14default_configELb1EPKbPbPKlPlN2at6native12_GLOBAL__N_18offset_tEEE10hipError_tPvRmT1_PNSt15iterator_traitsIS12_E10value_typeET2_T3_PNS13_IS18_E10value_typeET4_jRbjT5_S1E_jjP12ihipStream_tbEUljE_ZNSN_ISO_Lb1ESQ_SR_ST_SU_SY_EESZ_S10_S11_S12_S16_S17_S18_S1B_S1C_jS1D_jS1E_S1E_jjS1G_bEUljE0_EEESZ_S10_S11_S18_S1C_S1E_T6_T7_T9_mT8_S1G_bDpT10_ENKUlT_T0_E_clISt17integral_constantIbLb0EES1T_IbLb1EEEEDaS1P_S1Q_EUlS1P_E_NS1_11comp_targetILNS1_3genE0ELNS1_11target_archE4294967295ELNS1_3gpuE0ELNS1_3repE0EEENS1_30default_config_static_selectorELNS0_4arch9wavefront6targetE0EEEvS12_.has_indirect_call, 0
	.section	.AMDGPU.csdata,"",@progbits
; Kernel info:
; codeLenInByte = 0
; TotalNumSgprs: 0
; NumVgprs: 0
; ScratchSize: 0
; MemoryBound: 0
; FloatMode: 240
; IeeeMode: 1
; LDSByteSize: 0 bytes/workgroup (compile time only)
; SGPRBlocks: 0
; VGPRBlocks: 0
; NumSGPRsForWavesPerEU: 1
; NumVGPRsForWavesPerEU: 1
; Occupancy: 16
; WaveLimiterHint : 0
; COMPUTE_PGM_RSRC2:SCRATCH_EN: 0
; COMPUTE_PGM_RSRC2:USER_SGPR: 2
; COMPUTE_PGM_RSRC2:TRAP_HANDLER: 0
; COMPUTE_PGM_RSRC2:TGID_X_EN: 1
; COMPUTE_PGM_RSRC2:TGID_Y_EN: 0
; COMPUTE_PGM_RSRC2:TGID_Z_EN: 0
; COMPUTE_PGM_RSRC2:TIDIG_COMP_CNT: 0
	.section	.text._ZN7rocprim17ROCPRIM_400000_NS6detail17trampoline_kernelINS0_13select_configILj256ELj13ELNS0_17block_load_methodE3ELS4_3ELS4_3ELNS0_20block_scan_algorithmE0ELj4294967295EEENS1_25partition_config_selectorILNS1_17partition_subalgoE4EjNS0_10empty_typeEbEEZZNS1_14partition_implILS8_4ELb0ES6_15HIP_vector_typeIjLj2EENS0_17counting_iteratorIjlEEPS9_SG_NS0_5tupleIJPjSI_NS0_16reverse_iteratorISI_EEEEENSH_IJSG_SG_SG_EEES9_SI_JZNS1_25segmented_radix_sort_implINS0_14default_configELb1EPKbPbPKlPlN2at6native12_GLOBAL__N_18offset_tEEE10hipError_tPvRmT1_PNSt15iterator_traitsIS12_E10value_typeET2_T3_PNS13_IS18_E10value_typeET4_jRbjT5_S1E_jjP12ihipStream_tbEUljE_ZNSN_ISO_Lb1ESQ_SR_ST_SU_SY_EESZ_S10_S11_S12_S16_S17_S18_S1B_S1C_jS1D_jS1E_S1E_jjS1G_bEUljE0_EEESZ_S10_S11_S18_S1C_S1E_T6_T7_T9_mT8_S1G_bDpT10_ENKUlT_T0_E_clISt17integral_constantIbLb0EES1T_IbLb1EEEEDaS1P_S1Q_EUlS1P_E_NS1_11comp_targetILNS1_3genE5ELNS1_11target_archE942ELNS1_3gpuE9ELNS1_3repE0EEENS1_30default_config_static_selectorELNS0_4arch9wavefront6targetE0EEEvS12_,"axG",@progbits,_ZN7rocprim17ROCPRIM_400000_NS6detail17trampoline_kernelINS0_13select_configILj256ELj13ELNS0_17block_load_methodE3ELS4_3ELS4_3ELNS0_20block_scan_algorithmE0ELj4294967295EEENS1_25partition_config_selectorILNS1_17partition_subalgoE4EjNS0_10empty_typeEbEEZZNS1_14partition_implILS8_4ELb0ES6_15HIP_vector_typeIjLj2EENS0_17counting_iteratorIjlEEPS9_SG_NS0_5tupleIJPjSI_NS0_16reverse_iteratorISI_EEEEENSH_IJSG_SG_SG_EEES9_SI_JZNS1_25segmented_radix_sort_implINS0_14default_configELb1EPKbPbPKlPlN2at6native12_GLOBAL__N_18offset_tEEE10hipError_tPvRmT1_PNSt15iterator_traitsIS12_E10value_typeET2_T3_PNS13_IS18_E10value_typeET4_jRbjT5_S1E_jjP12ihipStream_tbEUljE_ZNSN_ISO_Lb1ESQ_SR_ST_SU_SY_EESZ_S10_S11_S12_S16_S17_S18_S1B_S1C_jS1D_jS1E_S1E_jjS1G_bEUljE0_EEESZ_S10_S11_S18_S1C_S1E_T6_T7_T9_mT8_S1G_bDpT10_ENKUlT_T0_E_clISt17integral_constantIbLb0EES1T_IbLb1EEEEDaS1P_S1Q_EUlS1P_E_NS1_11comp_targetILNS1_3genE5ELNS1_11target_archE942ELNS1_3gpuE9ELNS1_3repE0EEENS1_30default_config_static_selectorELNS0_4arch9wavefront6targetE0EEEvS12_,comdat
	.globl	_ZN7rocprim17ROCPRIM_400000_NS6detail17trampoline_kernelINS0_13select_configILj256ELj13ELNS0_17block_load_methodE3ELS4_3ELS4_3ELNS0_20block_scan_algorithmE0ELj4294967295EEENS1_25partition_config_selectorILNS1_17partition_subalgoE4EjNS0_10empty_typeEbEEZZNS1_14partition_implILS8_4ELb0ES6_15HIP_vector_typeIjLj2EENS0_17counting_iteratorIjlEEPS9_SG_NS0_5tupleIJPjSI_NS0_16reverse_iteratorISI_EEEEENSH_IJSG_SG_SG_EEES9_SI_JZNS1_25segmented_radix_sort_implINS0_14default_configELb1EPKbPbPKlPlN2at6native12_GLOBAL__N_18offset_tEEE10hipError_tPvRmT1_PNSt15iterator_traitsIS12_E10value_typeET2_T3_PNS13_IS18_E10value_typeET4_jRbjT5_S1E_jjP12ihipStream_tbEUljE_ZNSN_ISO_Lb1ESQ_SR_ST_SU_SY_EESZ_S10_S11_S12_S16_S17_S18_S1B_S1C_jS1D_jS1E_S1E_jjS1G_bEUljE0_EEESZ_S10_S11_S18_S1C_S1E_T6_T7_T9_mT8_S1G_bDpT10_ENKUlT_T0_E_clISt17integral_constantIbLb0EES1T_IbLb1EEEEDaS1P_S1Q_EUlS1P_E_NS1_11comp_targetILNS1_3genE5ELNS1_11target_archE942ELNS1_3gpuE9ELNS1_3repE0EEENS1_30default_config_static_selectorELNS0_4arch9wavefront6targetE0EEEvS12_ ; -- Begin function _ZN7rocprim17ROCPRIM_400000_NS6detail17trampoline_kernelINS0_13select_configILj256ELj13ELNS0_17block_load_methodE3ELS4_3ELS4_3ELNS0_20block_scan_algorithmE0ELj4294967295EEENS1_25partition_config_selectorILNS1_17partition_subalgoE4EjNS0_10empty_typeEbEEZZNS1_14partition_implILS8_4ELb0ES6_15HIP_vector_typeIjLj2EENS0_17counting_iteratorIjlEEPS9_SG_NS0_5tupleIJPjSI_NS0_16reverse_iteratorISI_EEEEENSH_IJSG_SG_SG_EEES9_SI_JZNS1_25segmented_radix_sort_implINS0_14default_configELb1EPKbPbPKlPlN2at6native12_GLOBAL__N_18offset_tEEE10hipError_tPvRmT1_PNSt15iterator_traitsIS12_E10value_typeET2_T3_PNS13_IS18_E10value_typeET4_jRbjT5_S1E_jjP12ihipStream_tbEUljE_ZNSN_ISO_Lb1ESQ_SR_ST_SU_SY_EESZ_S10_S11_S12_S16_S17_S18_S1B_S1C_jS1D_jS1E_S1E_jjS1G_bEUljE0_EEESZ_S10_S11_S18_S1C_S1E_T6_T7_T9_mT8_S1G_bDpT10_ENKUlT_T0_E_clISt17integral_constantIbLb0EES1T_IbLb1EEEEDaS1P_S1Q_EUlS1P_E_NS1_11comp_targetILNS1_3genE5ELNS1_11target_archE942ELNS1_3gpuE9ELNS1_3repE0EEENS1_30default_config_static_selectorELNS0_4arch9wavefront6targetE0EEEvS12_
	.p2align	8
	.type	_ZN7rocprim17ROCPRIM_400000_NS6detail17trampoline_kernelINS0_13select_configILj256ELj13ELNS0_17block_load_methodE3ELS4_3ELS4_3ELNS0_20block_scan_algorithmE0ELj4294967295EEENS1_25partition_config_selectorILNS1_17partition_subalgoE4EjNS0_10empty_typeEbEEZZNS1_14partition_implILS8_4ELb0ES6_15HIP_vector_typeIjLj2EENS0_17counting_iteratorIjlEEPS9_SG_NS0_5tupleIJPjSI_NS0_16reverse_iteratorISI_EEEEENSH_IJSG_SG_SG_EEES9_SI_JZNS1_25segmented_radix_sort_implINS0_14default_configELb1EPKbPbPKlPlN2at6native12_GLOBAL__N_18offset_tEEE10hipError_tPvRmT1_PNSt15iterator_traitsIS12_E10value_typeET2_T3_PNS13_IS18_E10value_typeET4_jRbjT5_S1E_jjP12ihipStream_tbEUljE_ZNSN_ISO_Lb1ESQ_SR_ST_SU_SY_EESZ_S10_S11_S12_S16_S17_S18_S1B_S1C_jS1D_jS1E_S1E_jjS1G_bEUljE0_EEESZ_S10_S11_S18_S1C_S1E_T6_T7_T9_mT8_S1G_bDpT10_ENKUlT_T0_E_clISt17integral_constantIbLb0EES1T_IbLb1EEEEDaS1P_S1Q_EUlS1P_E_NS1_11comp_targetILNS1_3genE5ELNS1_11target_archE942ELNS1_3gpuE9ELNS1_3repE0EEENS1_30default_config_static_selectorELNS0_4arch9wavefront6targetE0EEEvS12_,@function
_ZN7rocprim17ROCPRIM_400000_NS6detail17trampoline_kernelINS0_13select_configILj256ELj13ELNS0_17block_load_methodE3ELS4_3ELS4_3ELNS0_20block_scan_algorithmE0ELj4294967295EEENS1_25partition_config_selectorILNS1_17partition_subalgoE4EjNS0_10empty_typeEbEEZZNS1_14partition_implILS8_4ELb0ES6_15HIP_vector_typeIjLj2EENS0_17counting_iteratorIjlEEPS9_SG_NS0_5tupleIJPjSI_NS0_16reverse_iteratorISI_EEEEENSH_IJSG_SG_SG_EEES9_SI_JZNS1_25segmented_radix_sort_implINS0_14default_configELb1EPKbPbPKlPlN2at6native12_GLOBAL__N_18offset_tEEE10hipError_tPvRmT1_PNSt15iterator_traitsIS12_E10value_typeET2_T3_PNS13_IS18_E10value_typeET4_jRbjT5_S1E_jjP12ihipStream_tbEUljE_ZNSN_ISO_Lb1ESQ_SR_ST_SU_SY_EESZ_S10_S11_S12_S16_S17_S18_S1B_S1C_jS1D_jS1E_S1E_jjS1G_bEUljE0_EEESZ_S10_S11_S18_S1C_S1E_T6_T7_T9_mT8_S1G_bDpT10_ENKUlT_T0_E_clISt17integral_constantIbLb0EES1T_IbLb1EEEEDaS1P_S1Q_EUlS1P_E_NS1_11comp_targetILNS1_3genE5ELNS1_11target_archE942ELNS1_3gpuE9ELNS1_3repE0EEENS1_30default_config_static_selectorELNS0_4arch9wavefront6targetE0EEEvS12_: ; @_ZN7rocprim17ROCPRIM_400000_NS6detail17trampoline_kernelINS0_13select_configILj256ELj13ELNS0_17block_load_methodE3ELS4_3ELS4_3ELNS0_20block_scan_algorithmE0ELj4294967295EEENS1_25partition_config_selectorILNS1_17partition_subalgoE4EjNS0_10empty_typeEbEEZZNS1_14partition_implILS8_4ELb0ES6_15HIP_vector_typeIjLj2EENS0_17counting_iteratorIjlEEPS9_SG_NS0_5tupleIJPjSI_NS0_16reverse_iteratorISI_EEEEENSH_IJSG_SG_SG_EEES9_SI_JZNS1_25segmented_radix_sort_implINS0_14default_configELb1EPKbPbPKlPlN2at6native12_GLOBAL__N_18offset_tEEE10hipError_tPvRmT1_PNSt15iterator_traitsIS12_E10value_typeET2_T3_PNS13_IS18_E10value_typeET4_jRbjT5_S1E_jjP12ihipStream_tbEUljE_ZNSN_ISO_Lb1ESQ_SR_ST_SU_SY_EESZ_S10_S11_S12_S16_S17_S18_S1B_S1C_jS1D_jS1E_S1E_jjS1G_bEUljE0_EEESZ_S10_S11_S18_S1C_S1E_T6_T7_T9_mT8_S1G_bDpT10_ENKUlT_T0_E_clISt17integral_constantIbLb0EES1T_IbLb1EEEEDaS1P_S1Q_EUlS1P_E_NS1_11comp_targetILNS1_3genE5ELNS1_11target_archE942ELNS1_3gpuE9ELNS1_3repE0EEENS1_30default_config_static_selectorELNS0_4arch9wavefront6targetE0EEEvS12_
; %bb.0:
	.section	.rodata,"a",@progbits
	.p2align	6, 0x0
	.amdhsa_kernel _ZN7rocprim17ROCPRIM_400000_NS6detail17trampoline_kernelINS0_13select_configILj256ELj13ELNS0_17block_load_methodE3ELS4_3ELS4_3ELNS0_20block_scan_algorithmE0ELj4294967295EEENS1_25partition_config_selectorILNS1_17partition_subalgoE4EjNS0_10empty_typeEbEEZZNS1_14partition_implILS8_4ELb0ES6_15HIP_vector_typeIjLj2EENS0_17counting_iteratorIjlEEPS9_SG_NS0_5tupleIJPjSI_NS0_16reverse_iteratorISI_EEEEENSH_IJSG_SG_SG_EEES9_SI_JZNS1_25segmented_radix_sort_implINS0_14default_configELb1EPKbPbPKlPlN2at6native12_GLOBAL__N_18offset_tEEE10hipError_tPvRmT1_PNSt15iterator_traitsIS12_E10value_typeET2_T3_PNS13_IS18_E10value_typeET4_jRbjT5_S1E_jjP12ihipStream_tbEUljE_ZNSN_ISO_Lb1ESQ_SR_ST_SU_SY_EESZ_S10_S11_S12_S16_S17_S18_S1B_S1C_jS1D_jS1E_S1E_jjS1G_bEUljE0_EEESZ_S10_S11_S18_S1C_S1E_T6_T7_T9_mT8_S1G_bDpT10_ENKUlT_T0_E_clISt17integral_constantIbLb0EES1T_IbLb1EEEEDaS1P_S1Q_EUlS1P_E_NS1_11comp_targetILNS1_3genE5ELNS1_11target_archE942ELNS1_3gpuE9ELNS1_3repE0EEENS1_30default_config_static_selectorELNS0_4arch9wavefront6targetE0EEEvS12_
		.amdhsa_group_segment_fixed_size 0
		.amdhsa_private_segment_fixed_size 0
		.amdhsa_kernarg_size 184
		.amdhsa_user_sgpr_count 2
		.amdhsa_user_sgpr_dispatch_ptr 0
		.amdhsa_user_sgpr_queue_ptr 0
		.amdhsa_user_sgpr_kernarg_segment_ptr 1
		.amdhsa_user_sgpr_dispatch_id 0
		.amdhsa_user_sgpr_private_segment_size 0
		.amdhsa_wavefront_size32 1
		.amdhsa_uses_dynamic_stack 0
		.amdhsa_enable_private_segment 0
		.amdhsa_system_sgpr_workgroup_id_x 1
		.amdhsa_system_sgpr_workgroup_id_y 0
		.amdhsa_system_sgpr_workgroup_id_z 0
		.amdhsa_system_sgpr_workgroup_info 0
		.amdhsa_system_vgpr_workitem_id 0
		.amdhsa_next_free_vgpr 1
		.amdhsa_next_free_sgpr 1
		.amdhsa_reserve_vcc 0
		.amdhsa_float_round_mode_32 0
		.amdhsa_float_round_mode_16_64 0
		.amdhsa_float_denorm_mode_32 3
		.amdhsa_float_denorm_mode_16_64 3
		.amdhsa_fp16_overflow 0
		.amdhsa_workgroup_processor_mode 1
		.amdhsa_memory_ordered 1
		.amdhsa_forward_progress 1
		.amdhsa_inst_pref_size 0
		.amdhsa_round_robin_scheduling 0
		.amdhsa_exception_fp_ieee_invalid_op 0
		.amdhsa_exception_fp_denorm_src 0
		.amdhsa_exception_fp_ieee_div_zero 0
		.amdhsa_exception_fp_ieee_overflow 0
		.amdhsa_exception_fp_ieee_underflow 0
		.amdhsa_exception_fp_ieee_inexact 0
		.amdhsa_exception_int_div_zero 0
	.end_amdhsa_kernel
	.section	.text._ZN7rocprim17ROCPRIM_400000_NS6detail17trampoline_kernelINS0_13select_configILj256ELj13ELNS0_17block_load_methodE3ELS4_3ELS4_3ELNS0_20block_scan_algorithmE0ELj4294967295EEENS1_25partition_config_selectorILNS1_17partition_subalgoE4EjNS0_10empty_typeEbEEZZNS1_14partition_implILS8_4ELb0ES6_15HIP_vector_typeIjLj2EENS0_17counting_iteratorIjlEEPS9_SG_NS0_5tupleIJPjSI_NS0_16reverse_iteratorISI_EEEEENSH_IJSG_SG_SG_EEES9_SI_JZNS1_25segmented_radix_sort_implINS0_14default_configELb1EPKbPbPKlPlN2at6native12_GLOBAL__N_18offset_tEEE10hipError_tPvRmT1_PNSt15iterator_traitsIS12_E10value_typeET2_T3_PNS13_IS18_E10value_typeET4_jRbjT5_S1E_jjP12ihipStream_tbEUljE_ZNSN_ISO_Lb1ESQ_SR_ST_SU_SY_EESZ_S10_S11_S12_S16_S17_S18_S1B_S1C_jS1D_jS1E_S1E_jjS1G_bEUljE0_EEESZ_S10_S11_S18_S1C_S1E_T6_T7_T9_mT8_S1G_bDpT10_ENKUlT_T0_E_clISt17integral_constantIbLb0EES1T_IbLb1EEEEDaS1P_S1Q_EUlS1P_E_NS1_11comp_targetILNS1_3genE5ELNS1_11target_archE942ELNS1_3gpuE9ELNS1_3repE0EEENS1_30default_config_static_selectorELNS0_4arch9wavefront6targetE0EEEvS12_,"axG",@progbits,_ZN7rocprim17ROCPRIM_400000_NS6detail17trampoline_kernelINS0_13select_configILj256ELj13ELNS0_17block_load_methodE3ELS4_3ELS4_3ELNS0_20block_scan_algorithmE0ELj4294967295EEENS1_25partition_config_selectorILNS1_17partition_subalgoE4EjNS0_10empty_typeEbEEZZNS1_14partition_implILS8_4ELb0ES6_15HIP_vector_typeIjLj2EENS0_17counting_iteratorIjlEEPS9_SG_NS0_5tupleIJPjSI_NS0_16reverse_iteratorISI_EEEEENSH_IJSG_SG_SG_EEES9_SI_JZNS1_25segmented_radix_sort_implINS0_14default_configELb1EPKbPbPKlPlN2at6native12_GLOBAL__N_18offset_tEEE10hipError_tPvRmT1_PNSt15iterator_traitsIS12_E10value_typeET2_T3_PNS13_IS18_E10value_typeET4_jRbjT5_S1E_jjP12ihipStream_tbEUljE_ZNSN_ISO_Lb1ESQ_SR_ST_SU_SY_EESZ_S10_S11_S12_S16_S17_S18_S1B_S1C_jS1D_jS1E_S1E_jjS1G_bEUljE0_EEESZ_S10_S11_S18_S1C_S1E_T6_T7_T9_mT8_S1G_bDpT10_ENKUlT_T0_E_clISt17integral_constantIbLb0EES1T_IbLb1EEEEDaS1P_S1Q_EUlS1P_E_NS1_11comp_targetILNS1_3genE5ELNS1_11target_archE942ELNS1_3gpuE9ELNS1_3repE0EEENS1_30default_config_static_selectorELNS0_4arch9wavefront6targetE0EEEvS12_,comdat
.Lfunc_end1493:
	.size	_ZN7rocprim17ROCPRIM_400000_NS6detail17trampoline_kernelINS0_13select_configILj256ELj13ELNS0_17block_load_methodE3ELS4_3ELS4_3ELNS0_20block_scan_algorithmE0ELj4294967295EEENS1_25partition_config_selectorILNS1_17partition_subalgoE4EjNS0_10empty_typeEbEEZZNS1_14partition_implILS8_4ELb0ES6_15HIP_vector_typeIjLj2EENS0_17counting_iteratorIjlEEPS9_SG_NS0_5tupleIJPjSI_NS0_16reverse_iteratorISI_EEEEENSH_IJSG_SG_SG_EEES9_SI_JZNS1_25segmented_radix_sort_implINS0_14default_configELb1EPKbPbPKlPlN2at6native12_GLOBAL__N_18offset_tEEE10hipError_tPvRmT1_PNSt15iterator_traitsIS12_E10value_typeET2_T3_PNS13_IS18_E10value_typeET4_jRbjT5_S1E_jjP12ihipStream_tbEUljE_ZNSN_ISO_Lb1ESQ_SR_ST_SU_SY_EESZ_S10_S11_S12_S16_S17_S18_S1B_S1C_jS1D_jS1E_S1E_jjS1G_bEUljE0_EEESZ_S10_S11_S18_S1C_S1E_T6_T7_T9_mT8_S1G_bDpT10_ENKUlT_T0_E_clISt17integral_constantIbLb0EES1T_IbLb1EEEEDaS1P_S1Q_EUlS1P_E_NS1_11comp_targetILNS1_3genE5ELNS1_11target_archE942ELNS1_3gpuE9ELNS1_3repE0EEENS1_30default_config_static_selectorELNS0_4arch9wavefront6targetE0EEEvS12_, .Lfunc_end1493-_ZN7rocprim17ROCPRIM_400000_NS6detail17trampoline_kernelINS0_13select_configILj256ELj13ELNS0_17block_load_methodE3ELS4_3ELS4_3ELNS0_20block_scan_algorithmE0ELj4294967295EEENS1_25partition_config_selectorILNS1_17partition_subalgoE4EjNS0_10empty_typeEbEEZZNS1_14partition_implILS8_4ELb0ES6_15HIP_vector_typeIjLj2EENS0_17counting_iteratorIjlEEPS9_SG_NS0_5tupleIJPjSI_NS0_16reverse_iteratorISI_EEEEENSH_IJSG_SG_SG_EEES9_SI_JZNS1_25segmented_radix_sort_implINS0_14default_configELb1EPKbPbPKlPlN2at6native12_GLOBAL__N_18offset_tEEE10hipError_tPvRmT1_PNSt15iterator_traitsIS12_E10value_typeET2_T3_PNS13_IS18_E10value_typeET4_jRbjT5_S1E_jjP12ihipStream_tbEUljE_ZNSN_ISO_Lb1ESQ_SR_ST_SU_SY_EESZ_S10_S11_S12_S16_S17_S18_S1B_S1C_jS1D_jS1E_S1E_jjS1G_bEUljE0_EEESZ_S10_S11_S18_S1C_S1E_T6_T7_T9_mT8_S1G_bDpT10_ENKUlT_T0_E_clISt17integral_constantIbLb0EES1T_IbLb1EEEEDaS1P_S1Q_EUlS1P_E_NS1_11comp_targetILNS1_3genE5ELNS1_11target_archE942ELNS1_3gpuE9ELNS1_3repE0EEENS1_30default_config_static_selectorELNS0_4arch9wavefront6targetE0EEEvS12_
                                        ; -- End function
	.set _ZN7rocprim17ROCPRIM_400000_NS6detail17trampoline_kernelINS0_13select_configILj256ELj13ELNS0_17block_load_methodE3ELS4_3ELS4_3ELNS0_20block_scan_algorithmE0ELj4294967295EEENS1_25partition_config_selectorILNS1_17partition_subalgoE4EjNS0_10empty_typeEbEEZZNS1_14partition_implILS8_4ELb0ES6_15HIP_vector_typeIjLj2EENS0_17counting_iteratorIjlEEPS9_SG_NS0_5tupleIJPjSI_NS0_16reverse_iteratorISI_EEEEENSH_IJSG_SG_SG_EEES9_SI_JZNS1_25segmented_radix_sort_implINS0_14default_configELb1EPKbPbPKlPlN2at6native12_GLOBAL__N_18offset_tEEE10hipError_tPvRmT1_PNSt15iterator_traitsIS12_E10value_typeET2_T3_PNS13_IS18_E10value_typeET4_jRbjT5_S1E_jjP12ihipStream_tbEUljE_ZNSN_ISO_Lb1ESQ_SR_ST_SU_SY_EESZ_S10_S11_S12_S16_S17_S18_S1B_S1C_jS1D_jS1E_S1E_jjS1G_bEUljE0_EEESZ_S10_S11_S18_S1C_S1E_T6_T7_T9_mT8_S1G_bDpT10_ENKUlT_T0_E_clISt17integral_constantIbLb0EES1T_IbLb1EEEEDaS1P_S1Q_EUlS1P_E_NS1_11comp_targetILNS1_3genE5ELNS1_11target_archE942ELNS1_3gpuE9ELNS1_3repE0EEENS1_30default_config_static_selectorELNS0_4arch9wavefront6targetE0EEEvS12_.num_vgpr, 0
	.set _ZN7rocprim17ROCPRIM_400000_NS6detail17trampoline_kernelINS0_13select_configILj256ELj13ELNS0_17block_load_methodE3ELS4_3ELS4_3ELNS0_20block_scan_algorithmE0ELj4294967295EEENS1_25partition_config_selectorILNS1_17partition_subalgoE4EjNS0_10empty_typeEbEEZZNS1_14partition_implILS8_4ELb0ES6_15HIP_vector_typeIjLj2EENS0_17counting_iteratorIjlEEPS9_SG_NS0_5tupleIJPjSI_NS0_16reverse_iteratorISI_EEEEENSH_IJSG_SG_SG_EEES9_SI_JZNS1_25segmented_radix_sort_implINS0_14default_configELb1EPKbPbPKlPlN2at6native12_GLOBAL__N_18offset_tEEE10hipError_tPvRmT1_PNSt15iterator_traitsIS12_E10value_typeET2_T3_PNS13_IS18_E10value_typeET4_jRbjT5_S1E_jjP12ihipStream_tbEUljE_ZNSN_ISO_Lb1ESQ_SR_ST_SU_SY_EESZ_S10_S11_S12_S16_S17_S18_S1B_S1C_jS1D_jS1E_S1E_jjS1G_bEUljE0_EEESZ_S10_S11_S18_S1C_S1E_T6_T7_T9_mT8_S1G_bDpT10_ENKUlT_T0_E_clISt17integral_constantIbLb0EES1T_IbLb1EEEEDaS1P_S1Q_EUlS1P_E_NS1_11comp_targetILNS1_3genE5ELNS1_11target_archE942ELNS1_3gpuE9ELNS1_3repE0EEENS1_30default_config_static_selectorELNS0_4arch9wavefront6targetE0EEEvS12_.num_agpr, 0
	.set _ZN7rocprim17ROCPRIM_400000_NS6detail17trampoline_kernelINS0_13select_configILj256ELj13ELNS0_17block_load_methodE3ELS4_3ELS4_3ELNS0_20block_scan_algorithmE0ELj4294967295EEENS1_25partition_config_selectorILNS1_17partition_subalgoE4EjNS0_10empty_typeEbEEZZNS1_14partition_implILS8_4ELb0ES6_15HIP_vector_typeIjLj2EENS0_17counting_iteratorIjlEEPS9_SG_NS0_5tupleIJPjSI_NS0_16reverse_iteratorISI_EEEEENSH_IJSG_SG_SG_EEES9_SI_JZNS1_25segmented_radix_sort_implINS0_14default_configELb1EPKbPbPKlPlN2at6native12_GLOBAL__N_18offset_tEEE10hipError_tPvRmT1_PNSt15iterator_traitsIS12_E10value_typeET2_T3_PNS13_IS18_E10value_typeET4_jRbjT5_S1E_jjP12ihipStream_tbEUljE_ZNSN_ISO_Lb1ESQ_SR_ST_SU_SY_EESZ_S10_S11_S12_S16_S17_S18_S1B_S1C_jS1D_jS1E_S1E_jjS1G_bEUljE0_EEESZ_S10_S11_S18_S1C_S1E_T6_T7_T9_mT8_S1G_bDpT10_ENKUlT_T0_E_clISt17integral_constantIbLb0EES1T_IbLb1EEEEDaS1P_S1Q_EUlS1P_E_NS1_11comp_targetILNS1_3genE5ELNS1_11target_archE942ELNS1_3gpuE9ELNS1_3repE0EEENS1_30default_config_static_selectorELNS0_4arch9wavefront6targetE0EEEvS12_.numbered_sgpr, 0
	.set _ZN7rocprim17ROCPRIM_400000_NS6detail17trampoline_kernelINS0_13select_configILj256ELj13ELNS0_17block_load_methodE3ELS4_3ELS4_3ELNS0_20block_scan_algorithmE0ELj4294967295EEENS1_25partition_config_selectorILNS1_17partition_subalgoE4EjNS0_10empty_typeEbEEZZNS1_14partition_implILS8_4ELb0ES6_15HIP_vector_typeIjLj2EENS0_17counting_iteratorIjlEEPS9_SG_NS0_5tupleIJPjSI_NS0_16reverse_iteratorISI_EEEEENSH_IJSG_SG_SG_EEES9_SI_JZNS1_25segmented_radix_sort_implINS0_14default_configELb1EPKbPbPKlPlN2at6native12_GLOBAL__N_18offset_tEEE10hipError_tPvRmT1_PNSt15iterator_traitsIS12_E10value_typeET2_T3_PNS13_IS18_E10value_typeET4_jRbjT5_S1E_jjP12ihipStream_tbEUljE_ZNSN_ISO_Lb1ESQ_SR_ST_SU_SY_EESZ_S10_S11_S12_S16_S17_S18_S1B_S1C_jS1D_jS1E_S1E_jjS1G_bEUljE0_EEESZ_S10_S11_S18_S1C_S1E_T6_T7_T9_mT8_S1G_bDpT10_ENKUlT_T0_E_clISt17integral_constantIbLb0EES1T_IbLb1EEEEDaS1P_S1Q_EUlS1P_E_NS1_11comp_targetILNS1_3genE5ELNS1_11target_archE942ELNS1_3gpuE9ELNS1_3repE0EEENS1_30default_config_static_selectorELNS0_4arch9wavefront6targetE0EEEvS12_.num_named_barrier, 0
	.set _ZN7rocprim17ROCPRIM_400000_NS6detail17trampoline_kernelINS0_13select_configILj256ELj13ELNS0_17block_load_methodE3ELS4_3ELS4_3ELNS0_20block_scan_algorithmE0ELj4294967295EEENS1_25partition_config_selectorILNS1_17partition_subalgoE4EjNS0_10empty_typeEbEEZZNS1_14partition_implILS8_4ELb0ES6_15HIP_vector_typeIjLj2EENS0_17counting_iteratorIjlEEPS9_SG_NS0_5tupleIJPjSI_NS0_16reverse_iteratorISI_EEEEENSH_IJSG_SG_SG_EEES9_SI_JZNS1_25segmented_radix_sort_implINS0_14default_configELb1EPKbPbPKlPlN2at6native12_GLOBAL__N_18offset_tEEE10hipError_tPvRmT1_PNSt15iterator_traitsIS12_E10value_typeET2_T3_PNS13_IS18_E10value_typeET4_jRbjT5_S1E_jjP12ihipStream_tbEUljE_ZNSN_ISO_Lb1ESQ_SR_ST_SU_SY_EESZ_S10_S11_S12_S16_S17_S18_S1B_S1C_jS1D_jS1E_S1E_jjS1G_bEUljE0_EEESZ_S10_S11_S18_S1C_S1E_T6_T7_T9_mT8_S1G_bDpT10_ENKUlT_T0_E_clISt17integral_constantIbLb0EES1T_IbLb1EEEEDaS1P_S1Q_EUlS1P_E_NS1_11comp_targetILNS1_3genE5ELNS1_11target_archE942ELNS1_3gpuE9ELNS1_3repE0EEENS1_30default_config_static_selectorELNS0_4arch9wavefront6targetE0EEEvS12_.private_seg_size, 0
	.set _ZN7rocprim17ROCPRIM_400000_NS6detail17trampoline_kernelINS0_13select_configILj256ELj13ELNS0_17block_load_methodE3ELS4_3ELS4_3ELNS0_20block_scan_algorithmE0ELj4294967295EEENS1_25partition_config_selectorILNS1_17partition_subalgoE4EjNS0_10empty_typeEbEEZZNS1_14partition_implILS8_4ELb0ES6_15HIP_vector_typeIjLj2EENS0_17counting_iteratorIjlEEPS9_SG_NS0_5tupleIJPjSI_NS0_16reverse_iteratorISI_EEEEENSH_IJSG_SG_SG_EEES9_SI_JZNS1_25segmented_radix_sort_implINS0_14default_configELb1EPKbPbPKlPlN2at6native12_GLOBAL__N_18offset_tEEE10hipError_tPvRmT1_PNSt15iterator_traitsIS12_E10value_typeET2_T3_PNS13_IS18_E10value_typeET4_jRbjT5_S1E_jjP12ihipStream_tbEUljE_ZNSN_ISO_Lb1ESQ_SR_ST_SU_SY_EESZ_S10_S11_S12_S16_S17_S18_S1B_S1C_jS1D_jS1E_S1E_jjS1G_bEUljE0_EEESZ_S10_S11_S18_S1C_S1E_T6_T7_T9_mT8_S1G_bDpT10_ENKUlT_T0_E_clISt17integral_constantIbLb0EES1T_IbLb1EEEEDaS1P_S1Q_EUlS1P_E_NS1_11comp_targetILNS1_3genE5ELNS1_11target_archE942ELNS1_3gpuE9ELNS1_3repE0EEENS1_30default_config_static_selectorELNS0_4arch9wavefront6targetE0EEEvS12_.uses_vcc, 0
	.set _ZN7rocprim17ROCPRIM_400000_NS6detail17trampoline_kernelINS0_13select_configILj256ELj13ELNS0_17block_load_methodE3ELS4_3ELS4_3ELNS0_20block_scan_algorithmE0ELj4294967295EEENS1_25partition_config_selectorILNS1_17partition_subalgoE4EjNS0_10empty_typeEbEEZZNS1_14partition_implILS8_4ELb0ES6_15HIP_vector_typeIjLj2EENS0_17counting_iteratorIjlEEPS9_SG_NS0_5tupleIJPjSI_NS0_16reverse_iteratorISI_EEEEENSH_IJSG_SG_SG_EEES9_SI_JZNS1_25segmented_radix_sort_implINS0_14default_configELb1EPKbPbPKlPlN2at6native12_GLOBAL__N_18offset_tEEE10hipError_tPvRmT1_PNSt15iterator_traitsIS12_E10value_typeET2_T3_PNS13_IS18_E10value_typeET4_jRbjT5_S1E_jjP12ihipStream_tbEUljE_ZNSN_ISO_Lb1ESQ_SR_ST_SU_SY_EESZ_S10_S11_S12_S16_S17_S18_S1B_S1C_jS1D_jS1E_S1E_jjS1G_bEUljE0_EEESZ_S10_S11_S18_S1C_S1E_T6_T7_T9_mT8_S1G_bDpT10_ENKUlT_T0_E_clISt17integral_constantIbLb0EES1T_IbLb1EEEEDaS1P_S1Q_EUlS1P_E_NS1_11comp_targetILNS1_3genE5ELNS1_11target_archE942ELNS1_3gpuE9ELNS1_3repE0EEENS1_30default_config_static_selectorELNS0_4arch9wavefront6targetE0EEEvS12_.uses_flat_scratch, 0
	.set _ZN7rocprim17ROCPRIM_400000_NS6detail17trampoline_kernelINS0_13select_configILj256ELj13ELNS0_17block_load_methodE3ELS4_3ELS4_3ELNS0_20block_scan_algorithmE0ELj4294967295EEENS1_25partition_config_selectorILNS1_17partition_subalgoE4EjNS0_10empty_typeEbEEZZNS1_14partition_implILS8_4ELb0ES6_15HIP_vector_typeIjLj2EENS0_17counting_iteratorIjlEEPS9_SG_NS0_5tupleIJPjSI_NS0_16reverse_iteratorISI_EEEEENSH_IJSG_SG_SG_EEES9_SI_JZNS1_25segmented_radix_sort_implINS0_14default_configELb1EPKbPbPKlPlN2at6native12_GLOBAL__N_18offset_tEEE10hipError_tPvRmT1_PNSt15iterator_traitsIS12_E10value_typeET2_T3_PNS13_IS18_E10value_typeET4_jRbjT5_S1E_jjP12ihipStream_tbEUljE_ZNSN_ISO_Lb1ESQ_SR_ST_SU_SY_EESZ_S10_S11_S12_S16_S17_S18_S1B_S1C_jS1D_jS1E_S1E_jjS1G_bEUljE0_EEESZ_S10_S11_S18_S1C_S1E_T6_T7_T9_mT8_S1G_bDpT10_ENKUlT_T0_E_clISt17integral_constantIbLb0EES1T_IbLb1EEEEDaS1P_S1Q_EUlS1P_E_NS1_11comp_targetILNS1_3genE5ELNS1_11target_archE942ELNS1_3gpuE9ELNS1_3repE0EEENS1_30default_config_static_selectorELNS0_4arch9wavefront6targetE0EEEvS12_.has_dyn_sized_stack, 0
	.set _ZN7rocprim17ROCPRIM_400000_NS6detail17trampoline_kernelINS0_13select_configILj256ELj13ELNS0_17block_load_methodE3ELS4_3ELS4_3ELNS0_20block_scan_algorithmE0ELj4294967295EEENS1_25partition_config_selectorILNS1_17partition_subalgoE4EjNS0_10empty_typeEbEEZZNS1_14partition_implILS8_4ELb0ES6_15HIP_vector_typeIjLj2EENS0_17counting_iteratorIjlEEPS9_SG_NS0_5tupleIJPjSI_NS0_16reverse_iteratorISI_EEEEENSH_IJSG_SG_SG_EEES9_SI_JZNS1_25segmented_radix_sort_implINS0_14default_configELb1EPKbPbPKlPlN2at6native12_GLOBAL__N_18offset_tEEE10hipError_tPvRmT1_PNSt15iterator_traitsIS12_E10value_typeET2_T3_PNS13_IS18_E10value_typeET4_jRbjT5_S1E_jjP12ihipStream_tbEUljE_ZNSN_ISO_Lb1ESQ_SR_ST_SU_SY_EESZ_S10_S11_S12_S16_S17_S18_S1B_S1C_jS1D_jS1E_S1E_jjS1G_bEUljE0_EEESZ_S10_S11_S18_S1C_S1E_T6_T7_T9_mT8_S1G_bDpT10_ENKUlT_T0_E_clISt17integral_constantIbLb0EES1T_IbLb1EEEEDaS1P_S1Q_EUlS1P_E_NS1_11comp_targetILNS1_3genE5ELNS1_11target_archE942ELNS1_3gpuE9ELNS1_3repE0EEENS1_30default_config_static_selectorELNS0_4arch9wavefront6targetE0EEEvS12_.has_recursion, 0
	.set _ZN7rocprim17ROCPRIM_400000_NS6detail17trampoline_kernelINS0_13select_configILj256ELj13ELNS0_17block_load_methodE3ELS4_3ELS4_3ELNS0_20block_scan_algorithmE0ELj4294967295EEENS1_25partition_config_selectorILNS1_17partition_subalgoE4EjNS0_10empty_typeEbEEZZNS1_14partition_implILS8_4ELb0ES6_15HIP_vector_typeIjLj2EENS0_17counting_iteratorIjlEEPS9_SG_NS0_5tupleIJPjSI_NS0_16reverse_iteratorISI_EEEEENSH_IJSG_SG_SG_EEES9_SI_JZNS1_25segmented_radix_sort_implINS0_14default_configELb1EPKbPbPKlPlN2at6native12_GLOBAL__N_18offset_tEEE10hipError_tPvRmT1_PNSt15iterator_traitsIS12_E10value_typeET2_T3_PNS13_IS18_E10value_typeET4_jRbjT5_S1E_jjP12ihipStream_tbEUljE_ZNSN_ISO_Lb1ESQ_SR_ST_SU_SY_EESZ_S10_S11_S12_S16_S17_S18_S1B_S1C_jS1D_jS1E_S1E_jjS1G_bEUljE0_EEESZ_S10_S11_S18_S1C_S1E_T6_T7_T9_mT8_S1G_bDpT10_ENKUlT_T0_E_clISt17integral_constantIbLb0EES1T_IbLb1EEEEDaS1P_S1Q_EUlS1P_E_NS1_11comp_targetILNS1_3genE5ELNS1_11target_archE942ELNS1_3gpuE9ELNS1_3repE0EEENS1_30default_config_static_selectorELNS0_4arch9wavefront6targetE0EEEvS12_.has_indirect_call, 0
	.section	.AMDGPU.csdata,"",@progbits
; Kernel info:
; codeLenInByte = 0
; TotalNumSgprs: 0
; NumVgprs: 0
; ScratchSize: 0
; MemoryBound: 0
; FloatMode: 240
; IeeeMode: 1
; LDSByteSize: 0 bytes/workgroup (compile time only)
; SGPRBlocks: 0
; VGPRBlocks: 0
; NumSGPRsForWavesPerEU: 1
; NumVGPRsForWavesPerEU: 1
; Occupancy: 16
; WaveLimiterHint : 0
; COMPUTE_PGM_RSRC2:SCRATCH_EN: 0
; COMPUTE_PGM_RSRC2:USER_SGPR: 2
; COMPUTE_PGM_RSRC2:TRAP_HANDLER: 0
; COMPUTE_PGM_RSRC2:TGID_X_EN: 1
; COMPUTE_PGM_RSRC2:TGID_Y_EN: 0
; COMPUTE_PGM_RSRC2:TGID_Z_EN: 0
; COMPUTE_PGM_RSRC2:TIDIG_COMP_CNT: 0
	.section	.text._ZN7rocprim17ROCPRIM_400000_NS6detail17trampoline_kernelINS0_13select_configILj256ELj13ELNS0_17block_load_methodE3ELS4_3ELS4_3ELNS0_20block_scan_algorithmE0ELj4294967295EEENS1_25partition_config_selectorILNS1_17partition_subalgoE4EjNS0_10empty_typeEbEEZZNS1_14partition_implILS8_4ELb0ES6_15HIP_vector_typeIjLj2EENS0_17counting_iteratorIjlEEPS9_SG_NS0_5tupleIJPjSI_NS0_16reverse_iteratorISI_EEEEENSH_IJSG_SG_SG_EEES9_SI_JZNS1_25segmented_radix_sort_implINS0_14default_configELb1EPKbPbPKlPlN2at6native12_GLOBAL__N_18offset_tEEE10hipError_tPvRmT1_PNSt15iterator_traitsIS12_E10value_typeET2_T3_PNS13_IS18_E10value_typeET4_jRbjT5_S1E_jjP12ihipStream_tbEUljE_ZNSN_ISO_Lb1ESQ_SR_ST_SU_SY_EESZ_S10_S11_S12_S16_S17_S18_S1B_S1C_jS1D_jS1E_S1E_jjS1G_bEUljE0_EEESZ_S10_S11_S18_S1C_S1E_T6_T7_T9_mT8_S1G_bDpT10_ENKUlT_T0_E_clISt17integral_constantIbLb0EES1T_IbLb1EEEEDaS1P_S1Q_EUlS1P_E_NS1_11comp_targetILNS1_3genE4ELNS1_11target_archE910ELNS1_3gpuE8ELNS1_3repE0EEENS1_30default_config_static_selectorELNS0_4arch9wavefront6targetE0EEEvS12_,"axG",@progbits,_ZN7rocprim17ROCPRIM_400000_NS6detail17trampoline_kernelINS0_13select_configILj256ELj13ELNS0_17block_load_methodE3ELS4_3ELS4_3ELNS0_20block_scan_algorithmE0ELj4294967295EEENS1_25partition_config_selectorILNS1_17partition_subalgoE4EjNS0_10empty_typeEbEEZZNS1_14partition_implILS8_4ELb0ES6_15HIP_vector_typeIjLj2EENS0_17counting_iteratorIjlEEPS9_SG_NS0_5tupleIJPjSI_NS0_16reverse_iteratorISI_EEEEENSH_IJSG_SG_SG_EEES9_SI_JZNS1_25segmented_radix_sort_implINS0_14default_configELb1EPKbPbPKlPlN2at6native12_GLOBAL__N_18offset_tEEE10hipError_tPvRmT1_PNSt15iterator_traitsIS12_E10value_typeET2_T3_PNS13_IS18_E10value_typeET4_jRbjT5_S1E_jjP12ihipStream_tbEUljE_ZNSN_ISO_Lb1ESQ_SR_ST_SU_SY_EESZ_S10_S11_S12_S16_S17_S18_S1B_S1C_jS1D_jS1E_S1E_jjS1G_bEUljE0_EEESZ_S10_S11_S18_S1C_S1E_T6_T7_T9_mT8_S1G_bDpT10_ENKUlT_T0_E_clISt17integral_constantIbLb0EES1T_IbLb1EEEEDaS1P_S1Q_EUlS1P_E_NS1_11comp_targetILNS1_3genE4ELNS1_11target_archE910ELNS1_3gpuE8ELNS1_3repE0EEENS1_30default_config_static_selectorELNS0_4arch9wavefront6targetE0EEEvS12_,comdat
	.globl	_ZN7rocprim17ROCPRIM_400000_NS6detail17trampoline_kernelINS0_13select_configILj256ELj13ELNS0_17block_load_methodE3ELS4_3ELS4_3ELNS0_20block_scan_algorithmE0ELj4294967295EEENS1_25partition_config_selectorILNS1_17partition_subalgoE4EjNS0_10empty_typeEbEEZZNS1_14partition_implILS8_4ELb0ES6_15HIP_vector_typeIjLj2EENS0_17counting_iteratorIjlEEPS9_SG_NS0_5tupleIJPjSI_NS0_16reverse_iteratorISI_EEEEENSH_IJSG_SG_SG_EEES9_SI_JZNS1_25segmented_radix_sort_implINS0_14default_configELb1EPKbPbPKlPlN2at6native12_GLOBAL__N_18offset_tEEE10hipError_tPvRmT1_PNSt15iterator_traitsIS12_E10value_typeET2_T3_PNS13_IS18_E10value_typeET4_jRbjT5_S1E_jjP12ihipStream_tbEUljE_ZNSN_ISO_Lb1ESQ_SR_ST_SU_SY_EESZ_S10_S11_S12_S16_S17_S18_S1B_S1C_jS1D_jS1E_S1E_jjS1G_bEUljE0_EEESZ_S10_S11_S18_S1C_S1E_T6_T7_T9_mT8_S1G_bDpT10_ENKUlT_T0_E_clISt17integral_constantIbLb0EES1T_IbLb1EEEEDaS1P_S1Q_EUlS1P_E_NS1_11comp_targetILNS1_3genE4ELNS1_11target_archE910ELNS1_3gpuE8ELNS1_3repE0EEENS1_30default_config_static_selectorELNS0_4arch9wavefront6targetE0EEEvS12_ ; -- Begin function _ZN7rocprim17ROCPRIM_400000_NS6detail17trampoline_kernelINS0_13select_configILj256ELj13ELNS0_17block_load_methodE3ELS4_3ELS4_3ELNS0_20block_scan_algorithmE0ELj4294967295EEENS1_25partition_config_selectorILNS1_17partition_subalgoE4EjNS0_10empty_typeEbEEZZNS1_14partition_implILS8_4ELb0ES6_15HIP_vector_typeIjLj2EENS0_17counting_iteratorIjlEEPS9_SG_NS0_5tupleIJPjSI_NS0_16reverse_iteratorISI_EEEEENSH_IJSG_SG_SG_EEES9_SI_JZNS1_25segmented_radix_sort_implINS0_14default_configELb1EPKbPbPKlPlN2at6native12_GLOBAL__N_18offset_tEEE10hipError_tPvRmT1_PNSt15iterator_traitsIS12_E10value_typeET2_T3_PNS13_IS18_E10value_typeET4_jRbjT5_S1E_jjP12ihipStream_tbEUljE_ZNSN_ISO_Lb1ESQ_SR_ST_SU_SY_EESZ_S10_S11_S12_S16_S17_S18_S1B_S1C_jS1D_jS1E_S1E_jjS1G_bEUljE0_EEESZ_S10_S11_S18_S1C_S1E_T6_T7_T9_mT8_S1G_bDpT10_ENKUlT_T0_E_clISt17integral_constantIbLb0EES1T_IbLb1EEEEDaS1P_S1Q_EUlS1P_E_NS1_11comp_targetILNS1_3genE4ELNS1_11target_archE910ELNS1_3gpuE8ELNS1_3repE0EEENS1_30default_config_static_selectorELNS0_4arch9wavefront6targetE0EEEvS12_
	.p2align	8
	.type	_ZN7rocprim17ROCPRIM_400000_NS6detail17trampoline_kernelINS0_13select_configILj256ELj13ELNS0_17block_load_methodE3ELS4_3ELS4_3ELNS0_20block_scan_algorithmE0ELj4294967295EEENS1_25partition_config_selectorILNS1_17partition_subalgoE4EjNS0_10empty_typeEbEEZZNS1_14partition_implILS8_4ELb0ES6_15HIP_vector_typeIjLj2EENS0_17counting_iteratorIjlEEPS9_SG_NS0_5tupleIJPjSI_NS0_16reverse_iteratorISI_EEEEENSH_IJSG_SG_SG_EEES9_SI_JZNS1_25segmented_radix_sort_implINS0_14default_configELb1EPKbPbPKlPlN2at6native12_GLOBAL__N_18offset_tEEE10hipError_tPvRmT1_PNSt15iterator_traitsIS12_E10value_typeET2_T3_PNS13_IS18_E10value_typeET4_jRbjT5_S1E_jjP12ihipStream_tbEUljE_ZNSN_ISO_Lb1ESQ_SR_ST_SU_SY_EESZ_S10_S11_S12_S16_S17_S18_S1B_S1C_jS1D_jS1E_S1E_jjS1G_bEUljE0_EEESZ_S10_S11_S18_S1C_S1E_T6_T7_T9_mT8_S1G_bDpT10_ENKUlT_T0_E_clISt17integral_constantIbLb0EES1T_IbLb1EEEEDaS1P_S1Q_EUlS1P_E_NS1_11comp_targetILNS1_3genE4ELNS1_11target_archE910ELNS1_3gpuE8ELNS1_3repE0EEENS1_30default_config_static_selectorELNS0_4arch9wavefront6targetE0EEEvS12_,@function
_ZN7rocprim17ROCPRIM_400000_NS6detail17trampoline_kernelINS0_13select_configILj256ELj13ELNS0_17block_load_methodE3ELS4_3ELS4_3ELNS0_20block_scan_algorithmE0ELj4294967295EEENS1_25partition_config_selectorILNS1_17partition_subalgoE4EjNS0_10empty_typeEbEEZZNS1_14partition_implILS8_4ELb0ES6_15HIP_vector_typeIjLj2EENS0_17counting_iteratorIjlEEPS9_SG_NS0_5tupleIJPjSI_NS0_16reverse_iteratorISI_EEEEENSH_IJSG_SG_SG_EEES9_SI_JZNS1_25segmented_radix_sort_implINS0_14default_configELb1EPKbPbPKlPlN2at6native12_GLOBAL__N_18offset_tEEE10hipError_tPvRmT1_PNSt15iterator_traitsIS12_E10value_typeET2_T3_PNS13_IS18_E10value_typeET4_jRbjT5_S1E_jjP12ihipStream_tbEUljE_ZNSN_ISO_Lb1ESQ_SR_ST_SU_SY_EESZ_S10_S11_S12_S16_S17_S18_S1B_S1C_jS1D_jS1E_S1E_jjS1G_bEUljE0_EEESZ_S10_S11_S18_S1C_S1E_T6_T7_T9_mT8_S1G_bDpT10_ENKUlT_T0_E_clISt17integral_constantIbLb0EES1T_IbLb1EEEEDaS1P_S1Q_EUlS1P_E_NS1_11comp_targetILNS1_3genE4ELNS1_11target_archE910ELNS1_3gpuE8ELNS1_3repE0EEENS1_30default_config_static_selectorELNS0_4arch9wavefront6targetE0EEEvS12_: ; @_ZN7rocprim17ROCPRIM_400000_NS6detail17trampoline_kernelINS0_13select_configILj256ELj13ELNS0_17block_load_methodE3ELS4_3ELS4_3ELNS0_20block_scan_algorithmE0ELj4294967295EEENS1_25partition_config_selectorILNS1_17partition_subalgoE4EjNS0_10empty_typeEbEEZZNS1_14partition_implILS8_4ELb0ES6_15HIP_vector_typeIjLj2EENS0_17counting_iteratorIjlEEPS9_SG_NS0_5tupleIJPjSI_NS0_16reverse_iteratorISI_EEEEENSH_IJSG_SG_SG_EEES9_SI_JZNS1_25segmented_radix_sort_implINS0_14default_configELb1EPKbPbPKlPlN2at6native12_GLOBAL__N_18offset_tEEE10hipError_tPvRmT1_PNSt15iterator_traitsIS12_E10value_typeET2_T3_PNS13_IS18_E10value_typeET4_jRbjT5_S1E_jjP12ihipStream_tbEUljE_ZNSN_ISO_Lb1ESQ_SR_ST_SU_SY_EESZ_S10_S11_S12_S16_S17_S18_S1B_S1C_jS1D_jS1E_S1E_jjS1G_bEUljE0_EEESZ_S10_S11_S18_S1C_S1E_T6_T7_T9_mT8_S1G_bDpT10_ENKUlT_T0_E_clISt17integral_constantIbLb0EES1T_IbLb1EEEEDaS1P_S1Q_EUlS1P_E_NS1_11comp_targetILNS1_3genE4ELNS1_11target_archE910ELNS1_3gpuE8ELNS1_3repE0EEENS1_30default_config_static_selectorELNS0_4arch9wavefront6targetE0EEEvS12_
; %bb.0:
	.section	.rodata,"a",@progbits
	.p2align	6, 0x0
	.amdhsa_kernel _ZN7rocprim17ROCPRIM_400000_NS6detail17trampoline_kernelINS0_13select_configILj256ELj13ELNS0_17block_load_methodE3ELS4_3ELS4_3ELNS0_20block_scan_algorithmE0ELj4294967295EEENS1_25partition_config_selectorILNS1_17partition_subalgoE4EjNS0_10empty_typeEbEEZZNS1_14partition_implILS8_4ELb0ES6_15HIP_vector_typeIjLj2EENS0_17counting_iteratorIjlEEPS9_SG_NS0_5tupleIJPjSI_NS0_16reverse_iteratorISI_EEEEENSH_IJSG_SG_SG_EEES9_SI_JZNS1_25segmented_radix_sort_implINS0_14default_configELb1EPKbPbPKlPlN2at6native12_GLOBAL__N_18offset_tEEE10hipError_tPvRmT1_PNSt15iterator_traitsIS12_E10value_typeET2_T3_PNS13_IS18_E10value_typeET4_jRbjT5_S1E_jjP12ihipStream_tbEUljE_ZNSN_ISO_Lb1ESQ_SR_ST_SU_SY_EESZ_S10_S11_S12_S16_S17_S18_S1B_S1C_jS1D_jS1E_S1E_jjS1G_bEUljE0_EEESZ_S10_S11_S18_S1C_S1E_T6_T7_T9_mT8_S1G_bDpT10_ENKUlT_T0_E_clISt17integral_constantIbLb0EES1T_IbLb1EEEEDaS1P_S1Q_EUlS1P_E_NS1_11comp_targetILNS1_3genE4ELNS1_11target_archE910ELNS1_3gpuE8ELNS1_3repE0EEENS1_30default_config_static_selectorELNS0_4arch9wavefront6targetE0EEEvS12_
		.amdhsa_group_segment_fixed_size 0
		.amdhsa_private_segment_fixed_size 0
		.amdhsa_kernarg_size 184
		.amdhsa_user_sgpr_count 2
		.amdhsa_user_sgpr_dispatch_ptr 0
		.amdhsa_user_sgpr_queue_ptr 0
		.amdhsa_user_sgpr_kernarg_segment_ptr 1
		.amdhsa_user_sgpr_dispatch_id 0
		.amdhsa_user_sgpr_private_segment_size 0
		.amdhsa_wavefront_size32 1
		.amdhsa_uses_dynamic_stack 0
		.amdhsa_enable_private_segment 0
		.amdhsa_system_sgpr_workgroup_id_x 1
		.amdhsa_system_sgpr_workgroup_id_y 0
		.amdhsa_system_sgpr_workgroup_id_z 0
		.amdhsa_system_sgpr_workgroup_info 0
		.amdhsa_system_vgpr_workitem_id 0
		.amdhsa_next_free_vgpr 1
		.amdhsa_next_free_sgpr 1
		.amdhsa_reserve_vcc 0
		.amdhsa_float_round_mode_32 0
		.amdhsa_float_round_mode_16_64 0
		.amdhsa_float_denorm_mode_32 3
		.amdhsa_float_denorm_mode_16_64 3
		.amdhsa_fp16_overflow 0
		.amdhsa_workgroup_processor_mode 1
		.amdhsa_memory_ordered 1
		.amdhsa_forward_progress 1
		.amdhsa_inst_pref_size 0
		.amdhsa_round_robin_scheduling 0
		.amdhsa_exception_fp_ieee_invalid_op 0
		.amdhsa_exception_fp_denorm_src 0
		.amdhsa_exception_fp_ieee_div_zero 0
		.amdhsa_exception_fp_ieee_overflow 0
		.amdhsa_exception_fp_ieee_underflow 0
		.amdhsa_exception_fp_ieee_inexact 0
		.amdhsa_exception_int_div_zero 0
	.end_amdhsa_kernel
	.section	.text._ZN7rocprim17ROCPRIM_400000_NS6detail17trampoline_kernelINS0_13select_configILj256ELj13ELNS0_17block_load_methodE3ELS4_3ELS4_3ELNS0_20block_scan_algorithmE0ELj4294967295EEENS1_25partition_config_selectorILNS1_17partition_subalgoE4EjNS0_10empty_typeEbEEZZNS1_14partition_implILS8_4ELb0ES6_15HIP_vector_typeIjLj2EENS0_17counting_iteratorIjlEEPS9_SG_NS0_5tupleIJPjSI_NS0_16reverse_iteratorISI_EEEEENSH_IJSG_SG_SG_EEES9_SI_JZNS1_25segmented_radix_sort_implINS0_14default_configELb1EPKbPbPKlPlN2at6native12_GLOBAL__N_18offset_tEEE10hipError_tPvRmT1_PNSt15iterator_traitsIS12_E10value_typeET2_T3_PNS13_IS18_E10value_typeET4_jRbjT5_S1E_jjP12ihipStream_tbEUljE_ZNSN_ISO_Lb1ESQ_SR_ST_SU_SY_EESZ_S10_S11_S12_S16_S17_S18_S1B_S1C_jS1D_jS1E_S1E_jjS1G_bEUljE0_EEESZ_S10_S11_S18_S1C_S1E_T6_T7_T9_mT8_S1G_bDpT10_ENKUlT_T0_E_clISt17integral_constantIbLb0EES1T_IbLb1EEEEDaS1P_S1Q_EUlS1P_E_NS1_11comp_targetILNS1_3genE4ELNS1_11target_archE910ELNS1_3gpuE8ELNS1_3repE0EEENS1_30default_config_static_selectorELNS0_4arch9wavefront6targetE0EEEvS12_,"axG",@progbits,_ZN7rocprim17ROCPRIM_400000_NS6detail17trampoline_kernelINS0_13select_configILj256ELj13ELNS0_17block_load_methodE3ELS4_3ELS4_3ELNS0_20block_scan_algorithmE0ELj4294967295EEENS1_25partition_config_selectorILNS1_17partition_subalgoE4EjNS0_10empty_typeEbEEZZNS1_14partition_implILS8_4ELb0ES6_15HIP_vector_typeIjLj2EENS0_17counting_iteratorIjlEEPS9_SG_NS0_5tupleIJPjSI_NS0_16reverse_iteratorISI_EEEEENSH_IJSG_SG_SG_EEES9_SI_JZNS1_25segmented_radix_sort_implINS0_14default_configELb1EPKbPbPKlPlN2at6native12_GLOBAL__N_18offset_tEEE10hipError_tPvRmT1_PNSt15iterator_traitsIS12_E10value_typeET2_T3_PNS13_IS18_E10value_typeET4_jRbjT5_S1E_jjP12ihipStream_tbEUljE_ZNSN_ISO_Lb1ESQ_SR_ST_SU_SY_EESZ_S10_S11_S12_S16_S17_S18_S1B_S1C_jS1D_jS1E_S1E_jjS1G_bEUljE0_EEESZ_S10_S11_S18_S1C_S1E_T6_T7_T9_mT8_S1G_bDpT10_ENKUlT_T0_E_clISt17integral_constantIbLb0EES1T_IbLb1EEEEDaS1P_S1Q_EUlS1P_E_NS1_11comp_targetILNS1_3genE4ELNS1_11target_archE910ELNS1_3gpuE8ELNS1_3repE0EEENS1_30default_config_static_selectorELNS0_4arch9wavefront6targetE0EEEvS12_,comdat
.Lfunc_end1494:
	.size	_ZN7rocprim17ROCPRIM_400000_NS6detail17trampoline_kernelINS0_13select_configILj256ELj13ELNS0_17block_load_methodE3ELS4_3ELS4_3ELNS0_20block_scan_algorithmE0ELj4294967295EEENS1_25partition_config_selectorILNS1_17partition_subalgoE4EjNS0_10empty_typeEbEEZZNS1_14partition_implILS8_4ELb0ES6_15HIP_vector_typeIjLj2EENS0_17counting_iteratorIjlEEPS9_SG_NS0_5tupleIJPjSI_NS0_16reverse_iteratorISI_EEEEENSH_IJSG_SG_SG_EEES9_SI_JZNS1_25segmented_radix_sort_implINS0_14default_configELb1EPKbPbPKlPlN2at6native12_GLOBAL__N_18offset_tEEE10hipError_tPvRmT1_PNSt15iterator_traitsIS12_E10value_typeET2_T3_PNS13_IS18_E10value_typeET4_jRbjT5_S1E_jjP12ihipStream_tbEUljE_ZNSN_ISO_Lb1ESQ_SR_ST_SU_SY_EESZ_S10_S11_S12_S16_S17_S18_S1B_S1C_jS1D_jS1E_S1E_jjS1G_bEUljE0_EEESZ_S10_S11_S18_S1C_S1E_T6_T7_T9_mT8_S1G_bDpT10_ENKUlT_T0_E_clISt17integral_constantIbLb0EES1T_IbLb1EEEEDaS1P_S1Q_EUlS1P_E_NS1_11comp_targetILNS1_3genE4ELNS1_11target_archE910ELNS1_3gpuE8ELNS1_3repE0EEENS1_30default_config_static_selectorELNS0_4arch9wavefront6targetE0EEEvS12_, .Lfunc_end1494-_ZN7rocprim17ROCPRIM_400000_NS6detail17trampoline_kernelINS0_13select_configILj256ELj13ELNS0_17block_load_methodE3ELS4_3ELS4_3ELNS0_20block_scan_algorithmE0ELj4294967295EEENS1_25partition_config_selectorILNS1_17partition_subalgoE4EjNS0_10empty_typeEbEEZZNS1_14partition_implILS8_4ELb0ES6_15HIP_vector_typeIjLj2EENS0_17counting_iteratorIjlEEPS9_SG_NS0_5tupleIJPjSI_NS0_16reverse_iteratorISI_EEEEENSH_IJSG_SG_SG_EEES9_SI_JZNS1_25segmented_radix_sort_implINS0_14default_configELb1EPKbPbPKlPlN2at6native12_GLOBAL__N_18offset_tEEE10hipError_tPvRmT1_PNSt15iterator_traitsIS12_E10value_typeET2_T3_PNS13_IS18_E10value_typeET4_jRbjT5_S1E_jjP12ihipStream_tbEUljE_ZNSN_ISO_Lb1ESQ_SR_ST_SU_SY_EESZ_S10_S11_S12_S16_S17_S18_S1B_S1C_jS1D_jS1E_S1E_jjS1G_bEUljE0_EEESZ_S10_S11_S18_S1C_S1E_T6_T7_T9_mT8_S1G_bDpT10_ENKUlT_T0_E_clISt17integral_constantIbLb0EES1T_IbLb1EEEEDaS1P_S1Q_EUlS1P_E_NS1_11comp_targetILNS1_3genE4ELNS1_11target_archE910ELNS1_3gpuE8ELNS1_3repE0EEENS1_30default_config_static_selectorELNS0_4arch9wavefront6targetE0EEEvS12_
                                        ; -- End function
	.set _ZN7rocprim17ROCPRIM_400000_NS6detail17trampoline_kernelINS0_13select_configILj256ELj13ELNS0_17block_load_methodE3ELS4_3ELS4_3ELNS0_20block_scan_algorithmE0ELj4294967295EEENS1_25partition_config_selectorILNS1_17partition_subalgoE4EjNS0_10empty_typeEbEEZZNS1_14partition_implILS8_4ELb0ES6_15HIP_vector_typeIjLj2EENS0_17counting_iteratorIjlEEPS9_SG_NS0_5tupleIJPjSI_NS0_16reverse_iteratorISI_EEEEENSH_IJSG_SG_SG_EEES9_SI_JZNS1_25segmented_radix_sort_implINS0_14default_configELb1EPKbPbPKlPlN2at6native12_GLOBAL__N_18offset_tEEE10hipError_tPvRmT1_PNSt15iterator_traitsIS12_E10value_typeET2_T3_PNS13_IS18_E10value_typeET4_jRbjT5_S1E_jjP12ihipStream_tbEUljE_ZNSN_ISO_Lb1ESQ_SR_ST_SU_SY_EESZ_S10_S11_S12_S16_S17_S18_S1B_S1C_jS1D_jS1E_S1E_jjS1G_bEUljE0_EEESZ_S10_S11_S18_S1C_S1E_T6_T7_T9_mT8_S1G_bDpT10_ENKUlT_T0_E_clISt17integral_constantIbLb0EES1T_IbLb1EEEEDaS1P_S1Q_EUlS1P_E_NS1_11comp_targetILNS1_3genE4ELNS1_11target_archE910ELNS1_3gpuE8ELNS1_3repE0EEENS1_30default_config_static_selectorELNS0_4arch9wavefront6targetE0EEEvS12_.num_vgpr, 0
	.set _ZN7rocprim17ROCPRIM_400000_NS6detail17trampoline_kernelINS0_13select_configILj256ELj13ELNS0_17block_load_methodE3ELS4_3ELS4_3ELNS0_20block_scan_algorithmE0ELj4294967295EEENS1_25partition_config_selectorILNS1_17partition_subalgoE4EjNS0_10empty_typeEbEEZZNS1_14partition_implILS8_4ELb0ES6_15HIP_vector_typeIjLj2EENS0_17counting_iteratorIjlEEPS9_SG_NS0_5tupleIJPjSI_NS0_16reverse_iteratorISI_EEEEENSH_IJSG_SG_SG_EEES9_SI_JZNS1_25segmented_radix_sort_implINS0_14default_configELb1EPKbPbPKlPlN2at6native12_GLOBAL__N_18offset_tEEE10hipError_tPvRmT1_PNSt15iterator_traitsIS12_E10value_typeET2_T3_PNS13_IS18_E10value_typeET4_jRbjT5_S1E_jjP12ihipStream_tbEUljE_ZNSN_ISO_Lb1ESQ_SR_ST_SU_SY_EESZ_S10_S11_S12_S16_S17_S18_S1B_S1C_jS1D_jS1E_S1E_jjS1G_bEUljE0_EEESZ_S10_S11_S18_S1C_S1E_T6_T7_T9_mT8_S1G_bDpT10_ENKUlT_T0_E_clISt17integral_constantIbLb0EES1T_IbLb1EEEEDaS1P_S1Q_EUlS1P_E_NS1_11comp_targetILNS1_3genE4ELNS1_11target_archE910ELNS1_3gpuE8ELNS1_3repE0EEENS1_30default_config_static_selectorELNS0_4arch9wavefront6targetE0EEEvS12_.num_agpr, 0
	.set _ZN7rocprim17ROCPRIM_400000_NS6detail17trampoline_kernelINS0_13select_configILj256ELj13ELNS0_17block_load_methodE3ELS4_3ELS4_3ELNS0_20block_scan_algorithmE0ELj4294967295EEENS1_25partition_config_selectorILNS1_17partition_subalgoE4EjNS0_10empty_typeEbEEZZNS1_14partition_implILS8_4ELb0ES6_15HIP_vector_typeIjLj2EENS0_17counting_iteratorIjlEEPS9_SG_NS0_5tupleIJPjSI_NS0_16reverse_iteratorISI_EEEEENSH_IJSG_SG_SG_EEES9_SI_JZNS1_25segmented_radix_sort_implINS0_14default_configELb1EPKbPbPKlPlN2at6native12_GLOBAL__N_18offset_tEEE10hipError_tPvRmT1_PNSt15iterator_traitsIS12_E10value_typeET2_T3_PNS13_IS18_E10value_typeET4_jRbjT5_S1E_jjP12ihipStream_tbEUljE_ZNSN_ISO_Lb1ESQ_SR_ST_SU_SY_EESZ_S10_S11_S12_S16_S17_S18_S1B_S1C_jS1D_jS1E_S1E_jjS1G_bEUljE0_EEESZ_S10_S11_S18_S1C_S1E_T6_T7_T9_mT8_S1G_bDpT10_ENKUlT_T0_E_clISt17integral_constantIbLb0EES1T_IbLb1EEEEDaS1P_S1Q_EUlS1P_E_NS1_11comp_targetILNS1_3genE4ELNS1_11target_archE910ELNS1_3gpuE8ELNS1_3repE0EEENS1_30default_config_static_selectorELNS0_4arch9wavefront6targetE0EEEvS12_.numbered_sgpr, 0
	.set _ZN7rocprim17ROCPRIM_400000_NS6detail17trampoline_kernelINS0_13select_configILj256ELj13ELNS0_17block_load_methodE3ELS4_3ELS4_3ELNS0_20block_scan_algorithmE0ELj4294967295EEENS1_25partition_config_selectorILNS1_17partition_subalgoE4EjNS0_10empty_typeEbEEZZNS1_14partition_implILS8_4ELb0ES6_15HIP_vector_typeIjLj2EENS0_17counting_iteratorIjlEEPS9_SG_NS0_5tupleIJPjSI_NS0_16reverse_iteratorISI_EEEEENSH_IJSG_SG_SG_EEES9_SI_JZNS1_25segmented_radix_sort_implINS0_14default_configELb1EPKbPbPKlPlN2at6native12_GLOBAL__N_18offset_tEEE10hipError_tPvRmT1_PNSt15iterator_traitsIS12_E10value_typeET2_T3_PNS13_IS18_E10value_typeET4_jRbjT5_S1E_jjP12ihipStream_tbEUljE_ZNSN_ISO_Lb1ESQ_SR_ST_SU_SY_EESZ_S10_S11_S12_S16_S17_S18_S1B_S1C_jS1D_jS1E_S1E_jjS1G_bEUljE0_EEESZ_S10_S11_S18_S1C_S1E_T6_T7_T9_mT8_S1G_bDpT10_ENKUlT_T0_E_clISt17integral_constantIbLb0EES1T_IbLb1EEEEDaS1P_S1Q_EUlS1P_E_NS1_11comp_targetILNS1_3genE4ELNS1_11target_archE910ELNS1_3gpuE8ELNS1_3repE0EEENS1_30default_config_static_selectorELNS0_4arch9wavefront6targetE0EEEvS12_.num_named_barrier, 0
	.set _ZN7rocprim17ROCPRIM_400000_NS6detail17trampoline_kernelINS0_13select_configILj256ELj13ELNS0_17block_load_methodE3ELS4_3ELS4_3ELNS0_20block_scan_algorithmE0ELj4294967295EEENS1_25partition_config_selectorILNS1_17partition_subalgoE4EjNS0_10empty_typeEbEEZZNS1_14partition_implILS8_4ELb0ES6_15HIP_vector_typeIjLj2EENS0_17counting_iteratorIjlEEPS9_SG_NS0_5tupleIJPjSI_NS0_16reverse_iteratorISI_EEEEENSH_IJSG_SG_SG_EEES9_SI_JZNS1_25segmented_radix_sort_implINS0_14default_configELb1EPKbPbPKlPlN2at6native12_GLOBAL__N_18offset_tEEE10hipError_tPvRmT1_PNSt15iterator_traitsIS12_E10value_typeET2_T3_PNS13_IS18_E10value_typeET4_jRbjT5_S1E_jjP12ihipStream_tbEUljE_ZNSN_ISO_Lb1ESQ_SR_ST_SU_SY_EESZ_S10_S11_S12_S16_S17_S18_S1B_S1C_jS1D_jS1E_S1E_jjS1G_bEUljE0_EEESZ_S10_S11_S18_S1C_S1E_T6_T7_T9_mT8_S1G_bDpT10_ENKUlT_T0_E_clISt17integral_constantIbLb0EES1T_IbLb1EEEEDaS1P_S1Q_EUlS1P_E_NS1_11comp_targetILNS1_3genE4ELNS1_11target_archE910ELNS1_3gpuE8ELNS1_3repE0EEENS1_30default_config_static_selectorELNS0_4arch9wavefront6targetE0EEEvS12_.private_seg_size, 0
	.set _ZN7rocprim17ROCPRIM_400000_NS6detail17trampoline_kernelINS0_13select_configILj256ELj13ELNS0_17block_load_methodE3ELS4_3ELS4_3ELNS0_20block_scan_algorithmE0ELj4294967295EEENS1_25partition_config_selectorILNS1_17partition_subalgoE4EjNS0_10empty_typeEbEEZZNS1_14partition_implILS8_4ELb0ES6_15HIP_vector_typeIjLj2EENS0_17counting_iteratorIjlEEPS9_SG_NS0_5tupleIJPjSI_NS0_16reverse_iteratorISI_EEEEENSH_IJSG_SG_SG_EEES9_SI_JZNS1_25segmented_radix_sort_implINS0_14default_configELb1EPKbPbPKlPlN2at6native12_GLOBAL__N_18offset_tEEE10hipError_tPvRmT1_PNSt15iterator_traitsIS12_E10value_typeET2_T3_PNS13_IS18_E10value_typeET4_jRbjT5_S1E_jjP12ihipStream_tbEUljE_ZNSN_ISO_Lb1ESQ_SR_ST_SU_SY_EESZ_S10_S11_S12_S16_S17_S18_S1B_S1C_jS1D_jS1E_S1E_jjS1G_bEUljE0_EEESZ_S10_S11_S18_S1C_S1E_T6_T7_T9_mT8_S1G_bDpT10_ENKUlT_T0_E_clISt17integral_constantIbLb0EES1T_IbLb1EEEEDaS1P_S1Q_EUlS1P_E_NS1_11comp_targetILNS1_3genE4ELNS1_11target_archE910ELNS1_3gpuE8ELNS1_3repE0EEENS1_30default_config_static_selectorELNS0_4arch9wavefront6targetE0EEEvS12_.uses_vcc, 0
	.set _ZN7rocprim17ROCPRIM_400000_NS6detail17trampoline_kernelINS0_13select_configILj256ELj13ELNS0_17block_load_methodE3ELS4_3ELS4_3ELNS0_20block_scan_algorithmE0ELj4294967295EEENS1_25partition_config_selectorILNS1_17partition_subalgoE4EjNS0_10empty_typeEbEEZZNS1_14partition_implILS8_4ELb0ES6_15HIP_vector_typeIjLj2EENS0_17counting_iteratorIjlEEPS9_SG_NS0_5tupleIJPjSI_NS0_16reverse_iteratorISI_EEEEENSH_IJSG_SG_SG_EEES9_SI_JZNS1_25segmented_radix_sort_implINS0_14default_configELb1EPKbPbPKlPlN2at6native12_GLOBAL__N_18offset_tEEE10hipError_tPvRmT1_PNSt15iterator_traitsIS12_E10value_typeET2_T3_PNS13_IS18_E10value_typeET4_jRbjT5_S1E_jjP12ihipStream_tbEUljE_ZNSN_ISO_Lb1ESQ_SR_ST_SU_SY_EESZ_S10_S11_S12_S16_S17_S18_S1B_S1C_jS1D_jS1E_S1E_jjS1G_bEUljE0_EEESZ_S10_S11_S18_S1C_S1E_T6_T7_T9_mT8_S1G_bDpT10_ENKUlT_T0_E_clISt17integral_constantIbLb0EES1T_IbLb1EEEEDaS1P_S1Q_EUlS1P_E_NS1_11comp_targetILNS1_3genE4ELNS1_11target_archE910ELNS1_3gpuE8ELNS1_3repE0EEENS1_30default_config_static_selectorELNS0_4arch9wavefront6targetE0EEEvS12_.uses_flat_scratch, 0
	.set _ZN7rocprim17ROCPRIM_400000_NS6detail17trampoline_kernelINS0_13select_configILj256ELj13ELNS0_17block_load_methodE3ELS4_3ELS4_3ELNS0_20block_scan_algorithmE0ELj4294967295EEENS1_25partition_config_selectorILNS1_17partition_subalgoE4EjNS0_10empty_typeEbEEZZNS1_14partition_implILS8_4ELb0ES6_15HIP_vector_typeIjLj2EENS0_17counting_iteratorIjlEEPS9_SG_NS0_5tupleIJPjSI_NS0_16reverse_iteratorISI_EEEEENSH_IJSG_SG_SG_EEES9_SI_JZNS1_25segmented_radix_sort_implINS0_14default_configELb1EPKbPbPKlPlN2at6native12_GLOBAL__N_18offset_tEEE10hipError_tPvRmT1_PNSt15iterator_traitsIS12_E10value_typeET2_T3_PNS13_IS18_E10value_typeET4_jRbjT5_S1E_jjP12ihipStream_tbEUljE_ZNSN_ISO_Lb1ESQ_SR_ST_SU_SY_EESZ_S10_S11_S12_S16_S17_S18_S1B_S1C_jS1D_jS1E_S1E_jjS1G_bEUljE0_EEESZ_S10_S11_S18_S1C_S1E_T6_T7_T9_mT8_S1G_bDpT10_ENKUlT_T0_E_clISt17integral_constantIbLb0EES1T_IbLb1EEEEDaS1P_S1Q_EUlS1P_E_NS1_11comp_targetILNS1_3genE4ELNS1_11target_archE910ELNS1_3gpuE8ELNS1_3repE0EEENS1_30default_config_static_selectorELNS0_4arch9wavefront6targetE0EEEvS12_.has_dyn_sized_stack, 0
	.set _ZN7rocprim17ROCPRIM_400000_NS6detail17trampoline_kernelINS0_13select_configILj256ELj13ELNS0_17block_load_methodE3ELS4_3ELS4_3ELNS0_20block_scan_algorithmE0ELj4294967295EEENS1_25partition_config_selectorILNS1_17partition_subalgoE4EjNS0_10empty_typeEbEEZZNS1_14partition_implILS8_4ELb0ES6_15HIP_vector_typeIjLj2EENS0_17counting_iteratorIjlEEPS9_SG_NS0_5tupleIJPjSI_NS0_16reverse_iteratorISI_EEEEENSH_IJSG_SG_SG_EEES9_SI_JZNS1_25segmented_radix_sort_implINS0_14default_configELb1EPKbPbPKlPlN2at6native12_GLOBAL__N_18offset_tEEE10hipError_tPvRmT1_PNSt15iterator_traitsIS12_E10value_typeET2_T3_PNS13_IS18_E10value_typeET4_jRbjT5_S1E_jjP12ihipStream_tbEUljE_ZNSN_ISO_Lb1ESQ_SR_ST_SU_SY_EESZ_S10_S11_S12_S16_S17_S18_S1B_S1C_jS1D_jS1E_S1E_jjS1G_bEUljE0_EEESZ_S10_S11_S18_S1C_S1E_T6_T7_T9_mT8_S1G_bDpT10_ENKUlT_T0_E_clISt17integral_constantIbLb0EES1T_IbLb1EEEEDaS1P_S1Q_EUlS1P_E_NS1_11comp_targetILNS1_3genE4ELNS1_11target_archE910ELNS1_3gpuE8ELNS1_3repE0EEENS1_30default_config_static_selectorELNS0_4arch9wavefront6targetE0EEEvS12_.has_recursion, 0
	.set _ZN7rocprim17ROCPRIM_400000_NS6detail17trampoline_kernelINS0_13select_configILj256ELj13ELNS0_17block_load_methodE3ELS4_3ELS4_3ELNS0_20block_scan_algorithmE0ELj4294967295EEENS1_25partition_config_selectorILNS1_17partition_subalgoE4EjNS0_10empty_typeEbEEZZNS1_14partition_implILS8_4ELb0ES6_15HIP_vector_typeIjLj2EENS0_17counting_iteratorIjlEEPS9_SG_NS0_5tupleIJPjSI_NS0_16reverse_iteratorISI_EEEEENSH_IJSG_SG_SG_EEES9_SI_JZNS1_25segmented_radix_sort_implINS0_14default_configELb1EPKbPbPKlPlN2at6native12_GLOBAL__N_18offset_tEEE10hipError_tPvRmT1_PNSt15iterator_traitsIS12_E10value_typeET2_T3_PNS13_IS18_E10value_typeET4_jRbjT5_S1E_jjP12ihipStream_tbEUljE_ZNSN_ISO_Lb1ESQ_SR_ST_SU_SY_EESZ_S10_S11_S12_S16_S17_S18_S1B_S1C_jS1D_jS1E_S1E_jjS1G_bEUljE0_EEESZ_S10_S11_S18_S1C_S1E_T6_T7_T9_mT8_S1G_bDpT10_ENKUlT_T0_E_clISt17integral_constantIbLb0EES1T_IbLb1EEEEDaS1P_S1Q_EUlS1P_E_NS1_11comp_targetILNS1_3genE4ELNS1_11target_archE910ELNS1_3gpuE8ELNS1_3repE0EEENS1_30default_config_static_selectorELNS0_4arch9wavefront6targetE0EEEvS12_.has_indirect_call, 0
	.section	.AMDGPU.csdata,"",@progbits
; Kernel info:
; codeLenInByte = 0
; TotalNumSgprs: 0
; NumVgprs: 0
; ScratchSize: 0
; MemoryBound: 0
; FloatMode: 240
; IeeeMode: 1
; LDSByteSize: 0 bytes/workgroup (compile time only)
; SGPRBlocks: 0
; VGPRBlocks: 0
; NumSGPRsForWavesPerEU: 1
; NumVGPRsForWavesPerEU: 1
; Occupancy: 16
; WaveLimiterHint : 0
; COMPUTE_PGM_RSRC2:SCRATCH_EN: 0
; COMPUTE_PGM_RSRC2:USER_SGPR: 2
; COMPUTE_PGM_RSRC2:TRAP_HANDLER: 0
; COMPUTE_PGM_RSRC2:TGID_X_EN: 1
; COMPUTE_PGM_RSRC2:TGID_Y_EN: 0
; COMPUTE_PGM_RSRC2:TGID_Z_EN: 0
; COMPUTE_PGM_RSRC2:TIDIG_COMP_CNT: 0
	.section	.text._ZN7rocprim17ROCPRIM_400000_NS6detail17trampoline_kernelINS0_13select_configILj256ELj13ELNS0_17block_load_methodE3ELS4_3ELS4_3ELNS0_20block_scan_algorithmE0ELj4294967295EEENS1_25partition_config_selectorILNS1_17partition_subalgoE4EjNS0_10empty_typeEbEEZZNS1_14partition_implILS8_4ELb0ES6_15HIP_vector_typeIjLj2EENS0_17counting_iteratorIjlEEPS9_SG_NS0_5tupleIJPjSI_NS0_16reverse_iteratorISI_EEEEENSH_IJSG_SG_SG_EEES9_SI_JZNS1_25segmented_radix_sort_implINS0_14default_configELb1EPKbPbPKlPlN2at6native12_GLOBAL__N_18offset_tEEE10hipError_tPvRmT1_PNSt15iterator_traitsIS12_E10value_typeET2_T3_PNS13_IS18_E10value_typeET4_jRbjT5_S1E_jjP12ihipStream_tbEUljE_ZNSN_ISO_Lb1ESQ_SR_ST_SU_SY_EESZ_S10_S11_S12_S16_S17_S18_S1B_S1C_jS1D_jS1E_S1E_jjS1G_bEUljE0_EEESZ_S10_S11_S18_S1C_S1E_T6_T7_T9_mT8_S1G_bDpT10_ENKUlT_T0_E_clISt17integral_constantIbLb0EES1T_IbLb1EEEEDaS1P_S1Q_EUlS1P_E_NS1_11comp_targetILNS1_3genE3ELNS1_11target_archE908ELNS1_3gpuE7ELNS1_3repE0EEENS1_30default_config_static_selectorELNS0_4arch9wavefront6targetE0EEEvS12_,"axG",@progbits,_ZN7rocprim17ROCPRIM_400000_NS6detail17trampoline_kernelINS0_13select_configILj256ELj13ELNS0_17block_load_methodE3ELS4_3ELS4_3ELNS0_20block_scan_algorithmE0ELj4294967295EEENS1_25partition_config_selectorILNS1_17partition_subalgoE4EjNS0_10empty_typeEbEEZZNS1_14partition_implILS8_4ELb0ES6_15HIP_vector_typeIjLj2EENS0_17counting_iteratorIjlEEPS9_SG_NS0_5tupleIJPjSI_NS0_16reverse_iteratorISI_EEEEENSH_IJSG_SG_SG_EEES9_SI_JZNS1_25segmented_radix_sort_implINS0_14default_configELb1EPKbPbPKlPlN2at6native12_GLOBAL__N_18offset_tEEE10hipError_tPvRmT1_PNSt15iterator_traitsIS12_E10value_typeET2_T3_PNS13_IS18_E10value_typeET4_jRbjT5_S1E_jjP12ihipStream_tbEUljE_ZNSN_ISO_Lb1ESQ_SR_ST_SU_SY_EESZ_S10_S11_S12_S16_S17_S18_S1B_S1C_jS1D_jS1E_S1E_jjS1G_bEUljE0_EEESZ_S10_S11_S18_S1C_S1E_T6_T7_T9_mT8_S1G_bDpT10_ENKUlT_T0_E_clISt17integral_constantIbLb0EES1T_IbLb1EEEEDaS1P_S1Q_EUlS1P_E_NS1_11comp_targetILNS1_3genE3ELNS1_11target_archE908ELNS1_3gpuE7ELNS1_3repE0EEENS1_30default_config_static_selectorELNS0_4arch9wavefront6targetE0EEEvS12_,comdat
	.globl	_ZN7rocprim17ROCPRIM_400000_NS6detail17trampoline_kernelINS0_13select_configILj256ELj13ELNS0_17block_load_methodE3ELS4_3ELS4_3ELNS0_20block_scan_algorithmE0ELj4294967295EEENS1_25partition_config_selectorILNS1_17partition_subalgoE4EjNS0_10empty_typeEbEEZZNS1_14partition_implILS8_4ELb0ES6_15HIP_vector_typeIjLj2EENS0_17counting_iteratorIjlEEPS9_SG_NS0_5tupleIJPjSI_NS0_16reverse_iteratorISI_EEEEENSH_IJSG_SG_SG_EEES9_SI_JZNS1_25segmented_radix_sort_implINS0_14default_configELb1EPKbPbPKlPlN2at6native12_GLOBAL__N_18offset_tEEE10hipError_tPvRmT1_PNSt15iterator_traitsIS12_E10value_typeET2_T3_PNS13_IS18_E10value_typeET4_jRbjT5_S1E_jjP12ihipStream_tbEUljE_ZNSN_ISO_Lb1ESQ_SR_ST_SU_SY_EESZ_S10_S11_S12_S16_S17_S18_S1B_S1C_jS1D_jS1E_S1E_jjS1G_bEUljE0_EEESZ_S10_S11_S18_S1C_S1E_T6_T7_T9_mT8_S1G_bDpT10_ENKUlT_T0_E_clISt17integral_constantIbLb0EES1T_IbLb1EEEEDaS1P_S1Q_EUlS1P_E_NS1_11comp_targetILNS1_3genE3ELNS1_11target_archE908ELNS1_3gpuE7ELNS1_3repE0EEENS1_30default_config_static_selectorELNS0_4arch9wavefront6targetE0EEEvS12_ ; -- Begin function _ZN7rocprim17ROCPRIM_400000_NS6detail17trampoline_kernelINS0_13select_configILj256ELj13ELNS0_17block_load_methodE3ELS4_3ELS4_3ELNS0_20block_scan_algorithmE0ELj4294967295EEENS1_25partition_config_selectorILNS1_17partition_subalgoE4EjNS0_10empty_typeEbEEZZNS1_14partition_implILS8_4ELb0ES6_15HIP_vector_typeIjLj2EENS0_17counting_iteratorIjlEEPS9_SG_NS0_5tupleIJPjSI_NS0_16reverse_iteratorISI_EEEEENSH_IJSG_SG_SG_EEES9_SI_JZNS1_25segmented_radix_sort_implINS0_14default_configELb1EPKbPbPKlPlN2at6native12_GLOBAL__N_18offset_tEEE10hipError_tPvRmT1_PNSt15iterator_traitsIS12_E10value_typeET2_T3_PNS13_IS18_E10value_typeET4_jRbjT5_S1E_jjP12ihipStream_tbEUljE_ZNSN_ISO_Lb1ESQ_SR_ST_SU_SY_EESZ_S10_S11_S12_S16_S17_S18_S1B_S1C_jS1D_jS1E_S1E_jjS1G_bEUljE0_EEESZ_S10_S11_S18_S1C_S1E_T6_T7_T9_mT8_S1G_bDpT10_ENKUlT_T0_E_clISt17integral_constantIbLb0EES1T_IbLb1EEEEDaS1P_S1Q_EUlS1P_E_NS1_11comp_targetILNS1_3genE3ELNS1_11target_archE908ELNS1_3gpuE7ELNS1_3repE0EEENS1_30default_config_static_selectorELNS0_4arch9wavefront6targetE0EEEvS12_
	.p2align	8
	.type	_ZN7rocprim17ROCPRIM_400000_NS6detail17trampoline_kernelINS0_13select_configILj256ELj13ELNS0_17block_load_methodE3ELS4_3ELS4_3ELNS0_20block_scan_algorithmE0ELj4294967295EEENS1_25partition_config_selectorILNS1_17partition_subalgoE4EjNS0_10empty_typeEbEEZZNS1_14partition_implILS8_4ELb0ES6_15HIP_vector_typeIjLj2EENS0_17counting_iteratorIjlEEPS9_SG_NS0_5tupleIJPjSI_NS0_16reverse_iteratorISI_EEEEENSH_IJSG_SG_SG_EEES9_SI_JZNS1_25segmented_radix_sort_implINS0_14default_configELb1EPKbPbPKlPlN2at6native12_GLOBAL__N_18offset_tEEE10hipError_tPvRmT1_PNSt15iterator_traitsIS12_E10value_typeET2_T3_PNS13_IS18_E10value_typeET4_jRbjT5_S1E_jjP12ihipStream_tbEUljE_ZNSN_ISO_Lb1ESQ_SR_ST_SU_SY_EESZ_S10_S11_S12_S16_S17_S18_S1B_S1C_jS1D_jS1E_S1E_jjS1G_bEUljE0_EEESZ_S10_S11_S18_S1C_S1E_T6_T7_T9_mT8_S1G_bDpT10_ENKUlT_T0_E_clISt17integral_constantIbLb0EES1T_IbLb1EEEEDaS1P_S1Q_EUlS1P_E_NS1_11comp_targetILNS1_3genE3ELNS1_11target_archE908ELNS1_3gpuE7ELNS1_3repE0EEENS1_30default_config_static_selectorELNS0_4arch9wavefront6targetE0EEEvS12_,@function
_ZN7rocprim17ROCPRIM_400000_NS6detail17trampoline_kernelINS0_13select_configILj256ELj13ELNS0_17block_load_methodE3ELS4_3ELS4_3ELNS0_20block_scan_algorithmE0ELj4294967295EEENS1_25partition_config_selectorILNS1_17partition_subalgoE4EjNS0_10empty_typeEbEEZZNS1_14partition_implILS8_4ELb0ES6_15HIP_vector_typeIjLj2EENS0_17counting_iteratorIjlEEPS9_SG_NS0_5tupleIJPjSI_NS0_16reverse_iteratorISI_EEEEENSH_IJSG_SG_SG_EEES9_SI_JZNS1_25segmented_radix_sort_implINS0_14default_configELb1EPKbPbPKlPlN2at6native12_GLOBAL__N_18offset_tEEE10hipError_tPvRmT1_PNSt15iterator_traitsIS12_E10value_typeET2_T3_PNS13_IS18_E10value_typeET4_jRbjT5_S1E_jjP12ihipStream_tbEUljE_ZNSN_ISO_Lb1ESQ_SR_ST_SU_SY_EESZ_S10_S11_S12_S16_S17_S18_S1B_S1C_jS1D_jS1E_S1E_jjS1G_bEUljE0_EEESZ_S10_S11_S18_S1C_S1E_T6_T7_T9_mT8_S1G_bDpT10_ENKUlT_T0_E_clISt17integral_constantIbLb0EES1T_IbLb1EEEEDaS1P_S1Q_EUlS1P_E_NS1_11comp_targetILNS1_3genE3ELNS1_11target_archE908ELNS1_3gpuE7ELNS1_3repE0EEENS1_30default_config_static_selectorELNS0_4arch9wavefront6targetE0EEEvS12_: ; @_ZN7rocprim17ROCPRIM_400000_NS6detail17trampoline_kernelINS0_13select_configILj256ELj13ELNS0_17block_load_methodE3ELS4_3ELS4_3ELNS0_20block_scan_algorithmE0ELj4294967295EEENS1_25partition_config_selectorILNS1_17partition_subalgoE4EjNS0_10empty_typeEbEEZZNS1_14partition_implILS8_4ELb0ES6_15HIP_vector_typeIjLj2EENS0_17counting_iteratorIjlEEPS9_SG_NS0_5tupleIJPjSI_NS0_16reverse_iteratorISI_EEEEENSH_IJSG_SG_SG_EEES9_SI_JZNS1_25segmented_radix_sort_implINS0_14default_configELb1EPKbPbPKlPlN2at6native12_GLOBAL__N_18offset_tEEE10hipError_tPvRmT1_PNSt15iterator_traitsIS12_E10value_typeET2_T3_PNS13_IS18_E10value_typeET4_jRbjT5_S1E_jjP12ihipStream_tbEUljE_ZNSN_ISO_Lb1ESQ_SR_ST_SU_SY_EESZ_S10_S11_S12_S16_S17_S18_S1B_S1C_jS1D_jS1E_S1E_jjS1G_bEUljE0_EEESZ_S10_S11_S18_S1C_S1E_T6_T7_T9_mT8_S1G_bDpT10_ENKUlT_T0_E_clISt17integral_constantIbLb0EES1T_IbLb1EEEEDaS1P_S1Q_EUlS1P_E_NS1_11comp_targetILNS1_3genE3ELNS1_11target_archE908ELNS1_3gpuE7ELNS1_3repE0EEENS1_30default_config_static_selectorELNS0_4arch9wavefront6targetE0EEEvS12_
; %bb.0:
	.section	.rodata,"a",@progbits
	.p2align	6, 0x0
	.amdhsa_kernel _ZN7rocprim17ROCPRIM_400000_NS6detail17trampoline_kernelINS0_13select_configILj256ELj13ELNS0_17block_load_methodE3ELS4_3ELS4_3ELNS0_20block_scan_algorithmE0ELj4294967295EEENS1_25partition_config_selectorILNS1_17partition_subalgoE4EjNS0_10empty_typeEbEEZZNS1_14partition_implILS8_4ELb0ES6_15HIP_vector_typeIjLj2EENS0_17counting_iteratorIjlEEPS9_SG_NS0_5tupleIJPjSI_NS0_16reverse_iteratorISI_EEEEENSH_IJSG_SG_SG_EEES9_SI_JZNS1_25segmented_radix_sort_implINS0_14default_configELb1EPKbPbPKlPlN2at6native12_GLOBAL__N_18offset_tEEE10hipError_tPvRmT1_PNSt15iterator_traitsIS12_E10value_typeET2_T3_PNS13_IS18_E10value_typeET4_jRbjT5_S1E_jjP12ihipStream_tbEUljE_ZNSN_ISO_Lb1ESQ_SR_ST_SU_SY_EESZ_S10_S11_S12_S16_S17_S18_S1B_S1C_jS1D_jS1E_S1E_jjS1G_bEUljE0_EEESZ_S10_S11_S18_S1C_S1E_T6_T7_T9_mT8_S1G_bDpT10_ENKUlT_T0_E_clISt17integral_constantIbLb0EES1T_IbLb1EEEEDaS1P_S1Q_EUlS1P_E_NS1_11comp_targetILNS1_3genE3ELNS1_11target_archE908ELNS1_3gpuE7ELNS1_3repE0EEENS1_30default_config_static_selectorELNS0_4arch9wavefront6targetE0EEEvS12_
		.amdhsa_group_segment_fixed_size 0
		.amdhsa_private_segment_fixed_size 0
		.amdhsa_kernarg_size 184
		.amdhsa_user_sgpr_count 2
		.amdhsa_user_sgpr_dispatch_ptr 0
		.amdhsa_user_sgpr_queue_ptr 0
		.amdhsa_user_sgpr_kernarg_segment_ptr 1
		.amdhsa_user_sgpr_dispatch_id 0
		.amdhsa_user_sgpr_private_segment_size 0
		.amdhsa_wavefront_size32 1
		.amdhsa_uses_dynamic_stack 0
		.amdhsa_enable_private_segment 0
		.amdhsa_system_sgpr_workgroup_id_x 1
		.amdhsa_system_sgpr_workgroup_id_y 0
		.amdhsa_system_sgpr_workgroup_id_z 0
		.amdhsa_system_sgpr_workgroup_info 0
		.amdhsa_system_vgpr_workitem_id 0
		.amdhsa_next_free_vgpr 1
		.amdhsa_next_free_sgpr 1
		.amdhsa_reserve_vcc 0
		.amdhsa_float_round_mode_32 0
		.amdhsa_float_round_mode_16_64 0
		.amdhsa_float_denorm_mode_32 3
		.amdhsa_float_denorm_mode_16_64 3
		.amdhsa_fp16_overflow 0
		.amdhsa_workgroup_processor_mode 1
		.amdhsa_memory_ordered 1
		.amdhsa_forward_progress 1
		.amdhsa_inst_pref_size 0
		.amdhsa_round_robin_scheduling 0
		.amdhsa_exception_fp_ieee_invalid_op 0
		.amdhsa_exception_fp_denorm_src 0
		.amdhsa_exception_fp_ieee_div_zero 0
		.amdhsa_exception_fp_ieee_overflow 0
		.amdhsa_exception_fp_ieee_underflow 0
		.amdhsa_exception_fp_ieee_inexact 0
		.amdhsa_exception_int_div_zero 0
	.end_amdhsa_kernel
	.section	.text._ZN7rocprim17ROCPRIM_400000_NS6detail17trampoline_kernelINS0_13select_configILj256ELj13ELNS0_17block_load_methodE3ELS4_3ELS4_3ELNS0_20block_scan_algorithmE0ELj4294967295EEENS1_25partition_config_selectorILNS1_17partition_subalgoE4EjNS0_10empty_typeEbEEZZNS1_14partition_implILS8_4ELb0ES6_15HIP_vector_typeIjLj2EENS0_17counting_iteratorIjlEEPS9_SG_NS0_5tupleIJPjSI_NS0_16reverse_iteratorISI_EEEEENSH_IJSG_SG_SG_EEES9_SI_JZNS1_25segmented_radix_sort_implINS0_14default_configELb1EPKbPbPKlPlN2at6native12_GLOBAL__N_18offset_tEEE10hipError_tPvRmT1_PNSt15iterator_traitsIS12_E10value_typeET2_T3_PNS13_IS18_E10value_typeET4_jRbjT5_S1E_jjP12ihipStream_tbEUljE_ZNSN_ISO_Lb1ESQ_SR_ST_SU_SY_EESZ_S10_S11_S12_S16_S17_S18_S1B_S1C_jS1D_jS1E_S1E_jjS1G_bEUljE0_EEESZ_S10_S11_S18_S1C_S1E_T6_T7_T9_mT8_S1G_bDpT10_ENKUlT_T0_E_clISt17integral_constantIbLb0EES1T_IbLb1EEEEDaS1P_S1Q_EUlS1P_E_NS1_11comp_targetILNS1_3genE3ELNS1_11target_archE908ELNS1_3gpuE7ELNS1_3repE0EEENS1_30default_config_static_selectorELNS0_4arch9wavefront6targetE0EEEvS12_,"axG",@progbits,_ZN7rocprim17ROCPRIM_400000_NS6detail17trampoline_kernelINS0_13select_configILj256ELj13ELNS0_17block_load_methodE3ELS4_3ELS4_3ELNS0_20block_scan_algorithmE0ELj4294967295EEENS1_25partition_config_selectorILNS1_17partition_subalgoE4EjNS0_10empty_typeEbEEZZNS1_14partition_implILS8_4ELb0ES6_15HIP_vector_typeIjLj2EENS0_17counting_iteratorIjlEEPS9_SG_NS0_5tupleIJPjSI_NS0_16reverse_iteratorISI_EEEEENSH_IJSG_SG_SG_EEES9_SI_JZNS1_25segmented_radix_sort_implINS0_14default_configELb1EPKbPbPKlPlN2at6native12_GLOBAL__N_18offset_tEEE10hipError_tPvRmT1_PNSt15iterator_traitsIS12_E10value_typeET2_T3_PNS13_IS18_E10value_typeET4_jRbjT5_S1E_jjP12ihipStream_tbEUljE_ZNSN_ISO_Lb1ESQ_SR_ST_SU_SY_EESZ_S10_S11_S12_S16_S17_S18_S1B_S1C_jS1D_jS1E_S1E_jjS1G_bEUljE0_EEESZ_S10_S11_S18_S1C_S1E_T6_T7_T9_mT8_S1G_bDpT10_ENKUlT_T0_E_clISt17integral_constantIbLb0EES1T_IbLb1EEEEDaS1P_S1Q_EUlS1P_E_NS1_11comp_targetILNS1_3genE3ELNS1_11target_archE908ELNS1_3gpuE7ELNS1_3repE0EEENS1_30default_config_static_selectorELNS0_4arch9wavefront6targetE0EEEvS12_,comdat
.Lfunc_end1495:
	.size	_ZN7rocprim17ROCPRIM_400000_NS6detail17trampoline_kernelINS0_13select_configILj256ELj13ELNS0_17block_load_methodE3ELS4_3ELS4_3ELNS0_20block_scan_algorithmE0ELj4294967295EEENS1_25partition_config_selectorILNS1_17partition_subalgoE4EjNS0_10empty_typeEbEEZZNS1_14partition_implILS8_4ELb0ES6_15HIP_vector_typeIjLj2EENS0_17counting_iteratorIjlEEPS9_SG_NS0_5tupleIJPjSI_NS0_16reverse_iteratorISI_EEEEENSH_IJSG_SG_SG_EEES9_SI_JZNS1_25segmented_radix_sort_implINS0_14default_configELb1EPKbPbPKlPlN2at6native12_GLOBAL__N_18offset_tEEE10hipError_tPvRmT1_PNSt15iterator_traitsIS12_E10value_typeET2_T3_PNS13_IS18_E10value_typeET4_jRbjT5_S1E_jjP12ihipStream_tbEUljE_ZNSN_ISO_Lb1ESQ_SR_ST_SU_SY_EESZ_S10_S11_S12_S16_S17_S18_S1B_S1C_jS1D_jS1E_S1E_jjS1G_bEUljE0_EEESZ_S10_S11_S18_S1C_S1E_T6_T7_T9_mT8_S1G_bDpT10_ENKUlT_T0_E_clISt17integral_constantIbLb0EES1T_IbLb1EEEEDaS1P_S1Q_EUlS1P_E_NS1_11comp_targetILNS1_3genE3ELNS1_11target_archE908ELNS1_3gpuE7ELNS1_3repE0EEENS1_30default_config_static_selectorELNS0_4arch9wavefront6targetE0EEEvS12_, .Lfunc_end1495-_ZN7rocprim17ROCPRIM_400000_NS6detail17trampoline_kernelINS0_13select_configILj256ELj13ELNS0_17block_load_methodE3ELS4_3ELS4_3ELNS0_20block_scan_algorithmE0ELj4294967295EEENS1_25partition_config_selectorILNS1_17partition_subalgoE4EjNS0_10empty_typeEbEEZZNS1_14partition_implILS8_4ELb0ES6_15HIP_vector_typeIjLj2EENS0_17counting_iteratorIjlEEPS9_SG_NS0_5tupleIJPjSI_NS0_16reverse_iteratorISI_EEEEENSH_IJSG_SG_SG_EEES9_SI_JZNS1_25segmented_radix_sort_implINS0_14default_configELb1EPKbPbPKlPlN2at6native12_GLOBAL__N_18offset_tEEE10hipError_tPvRmT1_PNSt15iterator_traitsIS12_E10value_typeET2_T3_PNS13_IS18_E10value_typeET4_jRbjT5_S1E_jjP12ihipStream_tbEUljE_ZNSN_ISO_Lb1ESQ_SR_ST_SU_SY_EESZ_S10_S11_S12_S16_S17_S18_S1B_S1C_jS1D_jS1E_S1E_jjS1G_bEUljE0_EEESZ_S10_S11_S18_S1C_S1E_T6_T7_T9_mT8_S1G_bDpT10_ENKUlT_T0_E_clISt17integral_constantIbLb0EES1T_IbLb1EEEEDaS1P_S1Q_EUlS1P_E_NS1_11comp_targetILNS1_3genE3ELNS1_11target_archE908ELNS1_3gpuE7ELNS1_3repE0EEENS1_30default_config_static_selectorELNS0_4arch9wavefront6targetE0EEEvS12_
                                        ; -- End function
	.set _ZN7rocprim17ROCPRIM_400000_NS6detail17trampoline_kernelINS0_13select_configILj256ELj13ELNS0_17block_load_methodE3ELS4_3ELS4_3ELNS0_20block_scan_algorithmE0ELj4294967295EEENS1_25partition_config_selectorILNS1_17partition_subalgoE4EjNS0_10empty_typeEbEEZZNS1_14partition_implILS8_4ELb0ES6_15HIP_vector_typeIjLj2EENS0_17counting_iteratorIjlEEPS9_SG_NS0_5tupleIJPjSI_NS0_16reverse_iteratorISI_EEEEENSH_IJSG_SG_SG_EEES9_SI_JZNS1_25segmented_radix_sort_implINS0_14default_configELb1EPKbPbPKlPlN2at6native12_GLOBAL__N_18offset_tEEE10hipError_tPvRmT1_PNSt15iterator_traitsIS12_E10value_typeET2_T3_PNS13_IS18_E10value_typeET4_jRbjT5_S1E_jjP12ihipStream_tbEUljE_ZNSN_ISO_Lb1ESQ_SR_ST_SU_SY_EESZ_S10_S11_S12_S16_S17_S18_S1B_S1C_jS1D_jS1E_S1E_jjS1G_bEUljE0_EEESZ_S10_S11_S18_S1C_S1E_T6_T7_T9_mT8_S1G_bDpT10_ENKUlT_T0_E_clISt17integral_constantIbLb0EES1T_IbLb1EEEEDaS1P_S1Q_EUlS1P_E_NS1_11comp_targetILNS1_3genE3ELNS1_11target_archE908ELNS1_3gpuE7ELNS1_3repE0EEENS1_30default_config_static_selectorELNS0_4arch9wavefront6targetE0EEEvS12_.num_vgpr, 0
	.set _ZN7rocprim17ROCPRIM_400000_NS6detail17trampoline_kernelINS0_13select_configILj256ELj13ELNS0_17block_load_methodE3ELS4_3ELS4_3ELNS0_20block_scan_algorithmE0ELj4294967295EEENS1_25partition_config_selectorILNS1_17partition_subalgoE4EjNS0_10empty_typeEbEEZZNS1_14partition_implILS8_4ELb0ES6_15HIP_vector_typeIjLj2EENS0_17counting_iteratorIjlEEPS9_SG_NS0_5tupleIJPjSI_NS0_16reverse_iteratorISI_EEEEENSH_IJSG_SG_SG_EEES9_SI_JZNS1_25segmented_radix_sort_implINS0_14default_configELb1EPKbPbPKlPlN2at6native12_GLOBAL__N_18offset_tEEE10hipError_tPvRmT1_PNSt15iterator_traitsIS12_E10value_typeET2_T3_PNS13_IS18_E10value_typeET4_jRbjT5_S1E_jjP12ihipStream_tbEUljE_ZNSN_ISO_Lb1ESQ_SR_ST_SU_SY_EESZ_S10_S11_S12_S16_S17_S18_S1B_S1C_jS1D_jS1E_S1E_jjS1G_bEUljE0_EEESZ_S10_S11_S18_S1C_S1E_T6_T7_T9_mT8_S1G_bDpT10_ENKUlT_T0_E_clISt17integral_constantIbLb0EES1T_IbLb1EEEEDaS1P_S1Q_EUlS1P_E_NS1_11comp_targetILNS1_3genE3ELNS1_11target_archE908ELNS1_3gpuE7ELNS1_3repE0EEENS1_30default_config_static_selectorELNS0_4arch9wavefront6targetE0EEEvS12_.num_agpr, 0
	.set _ZN7rocprim17ROCPRIM_400000_NS6detail17trampoline_kernelINS0_13select_configILj256ELj13ELNS0_17block_load_methodE3ELS4_3ELS4_3ELNS0_20block_scan_algorithmE0ELj4294967295EEENS1_25partition_config_selectorILNS1_17partition_subalgoE4EjNS0_10empty_typeEbEEZZNS1_14partition_implILS8_4ELb0ES6_15HIP_vector_typeIjLj2EENS0_17counting_iteratorIjlEEPS9_SG_NS0_5tupleIJPjSI_NS0_16reverse_iteratorISI_EEEEENSH_IJSG_SG_SG_EEES9_SI_JZNS1_25segmented_radix_sort_implINS0_14default_configELb1EPKbPbPKlPlN2at6native12_GLOBAL__N_18offset_tEEE10hipError_tPvRmT1_PNSt15iterator_traitsIS12_E10value_typeET2_T3_PNS13_IS18_E10value_typeET4_jRbjT5_S1E_jjP12ihipStream_tbEUljE_ZNSN_ISO_Lb1ESQ_SR_ST_SU_SY_EESZ_S10_S11_S12_S16_S17_S18_S1B_S1C_jS1D_jS1E_S1E_jjS1G_bEUljE0_EEESZ_S10_S11_S18_S1C_S1E_T6_T7_T9_mT8_S1G_bDpT10_ENKUlT_T0_E_clISt17integral_constantIbLb0EES1T_IbLb1EEEEDaS1P_S1Q_EUlS1P_E_NS1_11comp_targetILNS1_3genE3ELNS1_11target_archE908ELNS1_3gpuE7ELNS1_3repE0EEENS1_30default_config_static_selectorELNS0_4arch9wavefront6targetE0EEEvS12_.numbered_sgpr, 0
	.set _ZN7rocprim17ROCPRIM_400000_NS6detail17trampoline_kernelINS0_13select_configILj256ELj13ELNS0_17block_load_methodE3ELS4_3ELS4_3ELNS0_20block_scan_algorithmE0ELj4294967295EEENS1_25partition_config_selectorILNS1_17partition_subalgoE4EjNS0_10empty_typeEbEEZZNS1_14partition_implILS8_4ELb0ES6_15HIP_vector_typeIjLj2EENS0_17counting_iteratorIjlEEPS9_SG_NS0_5tupleIJPjSI_NS0_16reverse_iteratorISI_EEEEENSH_IJSG_SG_SG_EEES9_SI_JZNS1_25segmented_radix_sort_implINS0_14default_configELb1EPKbPbPKlPlN2at6native12_GLOBAL__N_18offset_tEEE10hipError_tPvRmT1_PNSt15iterator_traitsIS12_E10value_typeET2_T3_PNS13_IS18_E10value_typeET4_jRbjT5_S1E_jjP12ihipStream_tbEUljE_ZNSN_ISO_Lb1ESQ_SR_ST_SU_SY_EESZ_S10_S11_S12_S16_S17_S18_S1B_S1C_jS1D_jS1E_S1E_jjS1G_bEUljE0_EEESZ_S10_S11_S18_S1C_S1E_T6_T7_T9_mT8_S1G_bDpT10_ENKUlT_T0_E_clISt17integral_constantIbLb0EES1T_IbLb1EEEEDaS1P_S1Q_EUlS1P_E_NS1_11comp_targetILNS1_3genE3ELNS1_11target_archE908ELNS1_3gpuE7ELNS1_3repE0EEENS1_30default_config_static_selectorELNS0_4arch9wavefront6targetE0EEEvS12_.num_named_barrier, 0
	.set _ZN7rocprim17ROCPRIM_400000_NS6detail17trampoline_kernelINS0_13select_configILj256ELj13ELNS0_17block_load_methodE3ELS4_3ELS4_3ELNS0_20block_scan_algorithmE0ELj4294967295EEENS1_25partition_config_selectorILNS1_17partition_subalgoE4EjNS0_10empty_typeEbEEZZNS1_14partition_implILS8_4ELb0ES6_15HIP_vector_typeIjLj2EENS0_17counting_iteratorIjlEEPS9_SG_NS0_5tupleIJPjSI_NS0_16reverse_iteratorISI_EEEEENSH_IJSG_SG_SG_EEES9_SI_JZNS1_25segmented_radix_sort_implINS0_14default_configELb1EPKbPbPKlPlN2at6native12_GLOBAL__N_18offset_tEEE10hipError_tPvRmT1_PNSt15iterator_traitsIS12_E10value_typeET2_T3_PNS13_IS18_E10value_typeET4_jRbjT5_S1E_jjP12ihipStream_tbEUljE_ZNSN_ISO_Lb1ESQ_SR_ST_SU_SY_EESZ_S10_S11_S12_S16_S17_S18_S1B_S1C_jS1D_jS1E_S1E_jjS1G_bEUljE0_EEESZ_S10_S11_S18_S1C_S1E_T6_T7_T9_mT8_S1G_bDpT10_ENKUlT_T0_E_clISt17integral_constantIbLb0EES1T_IbLb1EEEEDaS1P_S1Q_EUlS1P_E_NS1_11comp_targetILNS1_3genE3ELNS1_11target_archE908ELNS1_3gpuE7ELNS1_3repE0EEENS1_30default_config_static_selectorELNS0_4arch9wavefront6targetE0EEEvS12_.private_seg_size, 0
	.set _ZN7rocprim17ROCPRIM_400000_NS6detail17trampoline_kernelINS0_13select_configILj256ELj13ELNS0_17block_load_methodE3ELS4_3ELS4_3ELNS0_20block_scan_algorithmE0ELj4294967295EEENS1_25partition_config_selectorILNS1_17partition_subalgoE4EjNS0_10empty_typeEbEEZZNS1_14partition_implILS8_4ELb0ES6_15HIP_vector_typeIjLj2EENS0_17counting_iteratorIjlEEPS9_SG_NS0_5tupleIJPjSI_NS0_16reverse_iteratorISI_EEEEENSH_IJSG_SG_SG_EEES9_SI_JZNS1_25segmented_radix_sort_implINS0_14default_configELb1EPKbPbPKlPlN2at6native12_GLOBAL__N_18offset_tEEE10hipError_tPvRmT1_PNSt15iterator_traitsIS12_E10value_typeET2_T3_PNS13_IS18_E10value_typeET4_jRbjT5_S1E_jjP12ihipStream_tbEUljE_ZNSN_ISO_Lb1ESQ_SR_ST_SU_SY_EESZ_S10_S11_S12_S16_S17_S18_S1B_S1C_jS1D_jS1E_S1E_jjS1G_bEUljE0_EEESZ_S10_S11_S18_S1C_S1E_T6_T7_T9_mT8_S1G_bDpT10_ENKUlT_T0_E_clISt17integral_constantIbLb0EES1T_IbLb1EEEEDaS1P_S1Q_EUlS1P_E_NS1_11comp_targetILNS1_3genE3ELNS1_11target_archE908ELNS1_3gpuE7ELNS1_3repE0EEENS1_30default_config_static_selectorELNS0_4arch9wavefront6targetE0EEEvS12_.uses_vcc, 0
	.set _ZN7rocprim17ROCPRIM_400000_NS6detail17trampoline_kernelINS0_13select_configILj256ELj13ELNS0_17block_load_methodE3ELS4_3ELS4_3ELNS0_20block_scan_algorithmE0ELj4294967295EEENS1_25partition_config_selectorILNS1_17partition_subalgoE4EjNS0_10empty_typeEbEEZZNS1_14partition_implILS8_4ELb0ES6_15HIP_vector_typeIjLj2EENS0_17counting_iteratorIjlEEPS9_SG_NS0_5tupleIJPjSI_NS0_16reverse_iteratorISI_EEEEENSH_IJSG_SG_SG_EEES9_SI_JZNS1_25segmented_radix_sort_implINS0_14default_configELb1EPKbPbPKlPlN2at6native12_GLOBAL__N_18offset_tEEE10hipError_tPvRmT1_PNSt15iterator_traitsIS12_E10value_typeET2_T3_PNS13_IS18_E10value_typeET4_jRbjT5_S1E_jjP12ihipStream_tbEUljE_ZNSN_ISO_Lb1ESQ_SR_ST_SU_SY_EESZ_S10_S11_S12_S16_S17_S18_S1B_S1C_jS1D_jS1E_S1E_jjS1G_bEUljE0_EEESZ_S10_S11_S18_S1C_S1E_T6_T7_T9_mT8_S1G_bDpT10_ENKUlT_T0_E_clISt17integral_constantIbLb0EES1T_IbLb1EEEEDaS1P_S1Q_EUlS1P_E_NS1_11comp_targetILNS1_3genE3ELNS1_11target_archE908ELNS1_3gpuE7ELNS1_3repE0EEENS1_30default_config_static_selectorELNS0_4arch9wavefront6targetE0EEEvS12_.uses_flat_scratch, 0
	.set _ZN7rocprim17ROCPRIM_400000_NS6detail17trampoline_kernelINS0_13select_configILj256ELj13ELNS0_17block_load_methodE3ELS4_3ELS4_3ELNS0_20block_scan_algorithmE0ELj4294967295EEENS1_25partition_config_selectorILNS1_17partition_subalgoE4EjNS0_10empty_typeEbEEZZNS1_14partition_implILS8_4ELb0ES6_15HIP_vector_typeIjLj2EENS0_17counting_iteratorIjlEEPS9_SG_NS0_5tupleIJPjSI_NS0_16reverse_iteratorISI_EEEEENSH_IJSG_SG_SG_EEES9_SI_JZNS1_25segmented_radix_sort_implINS0_14default_configELb1EPKbPbPKlPlN2at6native12_GLOBAL__N_18offset_tEEE10hipError_tPvRmT1_PNSt15iterator_traitsIS12_E10value_typeET2_T3_PNS13_IS18_E10value_typeET4_jRbjT5_S1E_jjP12ihipStream_tbEUljE_ZNSN_ISO_Lb1ESQ_SR_ST_SU_SY_EESZ_S10_S11_S12_S16_S17_S18_S1B_S1C_jS1D_jS1E_S1E_jjS1G_bEUljE0_EEESZ_S10_S11_S18_S1C_S1E_T6_T7_T9_mT8_S1G_bDpT10_ENKUlT_T0_E_clISt17integral_constantIbLb0EES1T_IbLb1EEEEDaS1P_S1Q_EUlS1P_E_NS1_11comp_targetILNS1_3genE3ELNS1_11target_archE908ELNS1_3gpuE7ELNS1_3repE0EEENS1_30default_config_static_selectorELNS0_4arch9wavefront6targetE0EEEvS12_.has_dyn_sized_stack, 0
	.set _ZN7rocprim17ROCPRIM_400000_NS6detail17trampoline_kernelINS0_13select_configILj256ELj13ELNS0_17block_load_methodE3ELS4_3ELS4_3ELNS0_20block_scan_algorithmE0ELj4294967295EEENS1_25partition_config_selectorILNS1_17partition_subalgoE4EjNS0_10empty_typeEbEEZZNS1_14partition_implILS8_4ELb0ES6_15HIP_vector_typeIjLj2EENS0_17counting_iteratorIjlEEPS9_SG_NS0_5tupleIJPjSI_NS0_16reverse_iteratorISI_EEEEENSH_IJSG_SG_SG_EEES9_SI_JZNS1_25segmented_radix_sort_implINS0_14default_configELb1EPKbPbPKlPlN2at6native12_GLOBAL__N_18offset_tEEE10hipError_tPvRmT1_PNSt15iterator_traitsIS12_E10value_typeET2_T3_PNS13_IS18_E10value_typeET4_jRbjT5_S1E_jjP12ihipStream_tbEUljE_ZNSN_ISO_Lb1ESQ_SR_ST_SU_SY_EESZ_S10_S11_S12_S16_S17_S18_S1B_S1C_jS1D_jS1E_S1E_jjS1G_bEUljE0_EEESZ_S10_S11_S18_S1C_S1E_T6_T7_T9_mT8_S1G_bDpT10_ENKUlT_T0_E_clISt17integral_constantIbLb0EES1T_IbLb1EEEEDaS1P_S1Q_EUlS1P_E_NS1_11comp_targetILNS1_3genE3ELNS1_11target_archE908ELNS1_3gpuE7ELNS1_3repE0EEENS1_30default_config_static_selectorELNS0_4arch9wavefront6targetE0EEEvS12_.has_recursion, 0
	.set _ZN7rocprim17ROCPRIM_400000_NS6detail17trampoline_kernelINS0_13select_configILj256ELj13ELNS0_17block_load_methodE3ELS4_3ELS4_3ELNS0_20block_scan_algorithmE0ELj4294967295EEENS1_25partition_config_selectorILNS1_17partition_subalgoE4EjNS0_10empty_typeEbEEZZNS1_14partition_implILS8_4ELb0ES6_15HIP_vector_typeIjLj2EENS0_17counting_iteratorIjlEEPS9_SG_NS0_5tupleIJPjSI_NS0_16reverse_iteratorISI_EEEEENSH_IJSG_SG_SG_EEES9_SI_JZNS1_25segmented_radix_sort_implINS0_14default_configELb1EPKbPbPKlPlN2at6native12_GLOBAL__N_18offset_tEEE10hipError_tPvRmT1_PNSt15iterator_traitsIS12_E10value_typeET2_T3_PNS13_IS18_E10value_typeET4_jRbjT5_S1E_jjP12ihipStream_tbEUljE_ZNSN_ISO_Lb1ESQ_SR_ST_SU_SY_EESZ_S10_S11_S12_S16_S17_S18_S1B_S1C_jS1D_jS1E_S1E_jjS1G_bEUljE0_EEESZ_S10_S11_S18_S1C_S1E_T6_T7_T9_mT8_S1G_bDpT10_ENKUlT_T0_E_clISt17integral_constantIbLb0EES1T_IbLb1EEEEDaS1P_S1Q_EUlS1P_E_NS1_11comp_targetILNS1_3genE3ELNS1_11target_archE908ELNS1_3gpuE7ELNS1_3repE0EEENS1_30default_config_static_selectorELNS0_4arch9wavefront6targetE0EEEvS12_.has_indirect_call, 0
	.section	.AMDGPU.csdata,"",@progbits
; Kernel info:
; codeLenInByte = 0
; TotalNumSgprs: 0
; NumVgprs: 0
; ScratchSize: 0
; MemoryBound: 0
; FloatMode: 240
; IeeeMode: 1
; LDSByteSize: 0 bytes/workgroup (compile time only)
; SGPRBlocks: 0
; VGPRBlocks: 0
; NumSGPRsForWavesPerEU: 1
; NumVGPRsForWavesPerEU: 1
; Occupancy: 16
; WaveLimiterHint : 0
; COMPUTE_PGM_RSRC2:SCRATCH_EN: 0
; COMPUTE_PGM_RSRC2:USER_SGPR: 2
; COMPUTE_PGM_RSRC2:TRAP_HANDLER: 0
; COMPUTE_PGM_RSRC2:TGID_X_EN: 1
; COMPUTE_PGM_RSRC2:TGID_Y_EN: 0
; COMPUTE_PGM_RSRC2:TGID_Z_EN: 0
; COMPUTE_PGM_RSRC2:TIDIG_COMP_CNT: 0
	.section	.text._ZN7rocprim17ROCPRIM_400000_NS6detail17trampoline_kernelINS0_13select_configILj256ELj13ELNS0_17block_load_methodE3ELS4_3ELS4_3ELNS0_20block_scan_algorithmE0ELj4294967295EEENS1_25partition_config_selectorILNS1_17partition_subalgoE4EjNS0_10empty_typeEbEEZZNS1_14partition_implILS8_4ELb0ES6_15HIP_vector_typeIjLj2EENS0_17counting_iteratorIjlEEPS9_SG_NS0_5tupleIJPjSI_NS0_16reverse_iteratorISI_EEEEENSH_IJSG_SG_SG_EEES9_SI_JZNS1_25segmented_radix_sort_implINS0_14default_configELb1EPKbPbPKlPlN2at6native12_GLOBAL__N_18offset_tEEE10hipError_tPvRmT1_PNSt15iterator_traitsIS12_E10value_typeET2_T3_PNS13_IS18_E10value_typeET4_jRbjT5_S1E_jjP12ihipStream_tbEUljE_ZNSN_ISO_Lb1ESQ_SR_ST_SU_SY_EESZ_S10_S11_S12_S16_S17_S18_S1B_S1C_jS1D_jS1E_S1E_jjS1G_bEUljE0_EEESZ_S10_S11_S18_S1C_S1E_T6_T7_T9_mT8_S1G_bDpT10_ENKUlT_T0_E_clISt17integral_constantIbLb0EES1T_IbLb1EEEEDaS1P_S1Q_EUlS1P_E_NS1_11comp_targetILNS1_3genE2ELNS1_11target_archE906ELNS1_3gpuE6ELNS1_3repE0EEENS1_30default_config_static_selectorELNS0_4arch9wavefront6targetE0EEEvS12_,"axG",@progbits,_ZN7rocprim17ROCPRIM_400000_NS6detail17trampoline_kernelINS0_13select_configILj256ELj13ELNS0_17block_load_methodE3ELS4_3ELS4_3ELNS0_20block_scan_algorithmE0ELj4294967295EEENS1_25partition_config_selectorILNS1_17partition_subalgoE4EjNS0_10empty_typeEbEEZZNS1_14partition_implILS8_4ELb0ES6_15HIP_vector_typeIjLj2EENS0_17counting_iteratorIjlEEPS9_SG_NS0_5tupleIJPjSI_NS0_16reverse_iteratorISI_EEEEENSH_IJSG_SG_SG_EEES9_SI_JZNS1_25segmented_radix_sort_implINS0_14default_configELb1EPKbPbPKlPlN2at6native12_GLOBAL__N_18offset_tEEE10hipError_tPvRmT1_PNSt15iterator_traitsIS12_E10value_typeET2_T3_PNS13_IS18_E10value_typeET4_jRbjT5_S1E_jjP12ihipStream_tbEUljE_ZNSN_ISO_Lb1ESQ_SR_ST_SU_SY_EESZ_S10_S11_S12_S16_S17_S18_S1B_S1C_jS1D_jS1E_S1E_jjS1G_bEUljE0_EEESZ_S10_S11_S18_S1C_S1E_T6_T7_T9_mT8_S1G_bDpT10_ENKUlT_T0_E_clISt17integral_constantIbLb0EES1T_IbLb1EEEEDaS1P_S1Q_EUlS1P_E_NS1_11comp_targetILNS1_3genE2ELNS1_11target_archE906ELNS1_3gpuE6ELNS1_3repE0EEENS1_30default_config_static_selectorELNS0_4arch9wavefront6targetE0EEEvS12_,comdat
	.globl	_ZN7rocprim17ROCPRIM_400000_NS6detail17trampoline_kernelINS0_13select_configILj256ELj13ELNS0_17block_load_methodE3ELS4_3ELS4_3ELNS0_20block_scan_algorithmE0ELj4294967295EEENS1_25partition_config_selectorILNS1_17partition_subalgoE4EjNS0_10empty_typeEbEEZZNS1_14partition_implILS8_4ELb0ES6_15HIP_vector_typeIjLj2EENS0_17counting_iteratorIjlEEPS9_SG_NS0_5tupleIJPjSI_NS0_16reverse_iteratorISI_EEEEENSH_IJSG_SG_SG_EEES9_SI_JZNS1_25segmented_radix_sort_implINS0_14default_configELb1EPKbPbPKlPlN2at6native12_GLOBAL__N_18offset_tEEE10hipError_tPvRmT1_PNSt15iterator_traitsIS12_E10value_typeET2_T3_PNS13_IS18_E10value_typeET4_jRbjT5_S1E_jjP12ihipStream_tbEUljE_ZNSN_ISO_Lb1ESQ_SR_ST_SU_SY_EESZ_S10_S11_S12_S16_S17_S18_S1B_S1C_jS1D_jS1E_S1E_jjS1G_bEUljE0_EEESZ_S10_S11_S18_S1C_S1E_T6_T7_T9_mT8_S1G_bDpT10_ENKUlT_T0_E_clISt17integral_constantIbLb0EES1T_IbLb1EEEEDaS1P_S1Q_EUlS1P_E_NS1_11comp_targetILNS1_3genE2ELNS1_11target_archE906ELNS1_3gpuE6ELNS1_3repE0EEENS1_30default_config_static_selectorELNS0_4arch9wavefront6targetE0EEEvS12_ ; -- Begin function _ZN7rocprim17ROCPRIM_400000_NS6detail17trampoline_kernelINS0_13select_configILj256ELj13ELNS0_17block_load_methodE3ELS4_3ELS4_3ELNS0_20block_scan_algorithmE0ELj4294967295EEENS1_25partition_config_selectorILNS1_17partition_subalgoE4EjNS0_10empty_typeEbEEZZNS1_14partition_implILS8_4ELb0ES6_15HIP_vector_typeIjLj2EENS0_17counting_iteratorIjlEEPS9_SG_NS0_5tupleIJPjSI_NS0_16reverse_iteratorISI_EEEEENSH_IJSG_SG_SG_EEES9_SI_JZNS1_25segmented_radix_sort_implINS0_14default_configELb1EPKbPbPKlPlN2at6native12_GLOBAL__N_18offset_tEEE10hipError_tPvRmT1_PNSt15iterator_traitsIS12_E10value_typeET2_T3_PNS13_IS18_E10value_typeET4_jRbjT5_S1E_jjP12ihipStream_tbEUljE_ZNSN_ISO_Lb1ESQ_SR_ST_SU_SY_EESZ_S10_S11_S12_S16_S17_S18_S1B_S1C_jS1D_jS1E_S1E_jjS1G_bEUljE0_EEESZ_S10_S11_S18_S1C_S1E_T6_T7_T9_mT8_S1G_bDpT10_ENKUlT_T0_E_clISt17integral_constantIbLb0EES1T_IbLb1EEEEDaS1P_S1Q_EUlS1P_E_NS1_11comp_targetILNS1_3genE2ELNS1_11target_archE906ELNS1_3gpuE6ELNS1_3repE0EEENS1_30default_config_static_selectorELNS0_4arch9wavefront6targetE0EEEvS12_
	.p2align	8
	.type	_ZN7rocprim17ROCPRIM_400000_NS6detail17trampoline_kernelINS0_13select_configILj256ELj13ELNS0_17block_load_methodE3ELS4_3ELS4_3ELNS0_20block_scan_algorithmE0ELj4294967295EEENS1_25partition_config_selectorILNS1_17partition_subalgoE4EjNS0_10empty_typeEbEEZZNS1_14partition_implILS8_4ELb0ES6_15HIP_vector_typeIjLj2EENS0_17counting_iteratorIjlEEPS9_SG_NS0_5tupleIJPjSI_NS0_16reverse_iteratorISI_EEEEENSH_IJSG_SG_SG_EEES9_SI_JZNS1_25segmented_radix_sort_implINS0_14default_configELb1EPKbPbPKlPlN2at6native12_GLOBAL__N_18offset_tEEE10hipError_tPvRmT1_PNSt15iterator_traitsIS12_E10value_typeET2_T3_PNS13_IS18_E10value_typeET4_jRbjT5_S1E_jjP12ihipStream_tbEUljE_ZNSN_ISO_Lb1ESQ_SR_ST_SU_SY_EESZ_S10_S11_S12_S16_S17_S18_S1B_S1C_jS1D_jS1E_S1E_jjS1G_bEUljE0_EEESZ_S10_S11_S18_S1C_S1E_T6_T7_T9_mT8_S1G_bDpT10_ENKUlT_T0_E_clISt17integral_constantIbLb0EES1T_IbLb1EEEEDaS1P_S1Q_EUlS1P_E_NS1_11comp_targetILNS1_3genE2ELNS1_11target_archE906ELNS1_3gpuE6ELNS1_3repE0EEENS1_30default_config_static_selectorELNS0_4arch9wavefront6targetE0EEEvS12_,@function
_ZN7rocprim17ROCPRIM_400000_NS6detail17trampoline_kernelINS0_13select_configILj256ELj13ELNS0_17block_load_methodE3ELS4_3ELS4_3ELNS0_20block_scan_algorithmE0ELj4294967295EEENS1_25partition_config_selectorILNS1_17partition_subalgoE4EjNS0_10empty_typeEbEEZZNS1_14partition_implILS8_4ELb0ES6_15HIP_vector_typeIjLj2EENS0_17counting_iteratorIjlEEPS9_SG_NS0_5tupleIJPjSI_NS0_16reverse_iteratorISI_EEEEENSH_IJSG_SG_SG_EEES9_SI_JZNS1_25segmented_radix_sort_implINS0_14default_configELb1EPKbPbPKlPlN2at6native12_GLOBAL__N_18offset_tEEE10hipError_tPvRmT1_PNSt15iterator_traitsIS12_E10value_typeET2_T3_PNS13_IS18_E10value_typeET4_jRbjT5_S1E_jjP12ihipStream_tbEUljE_ZNSN_ISO_Lb1ESQ_SR_ST_SU_SY_EESZ_S10_S11_S12_S16_S17_S18_S1B_S1C_jS1D_jS1E_S1E_jjS1G_bEUljE0_EEESZ_S10_S11_S18_S1C_S1E_T6_T7_T9_mT8_S1G_bDpT10_ENKUlT_T0_E_clISt17integral_constantIbLb0EES1T_IbLb1EEEEDaS1P_S1Q_EUlS1P_E_NS1_11comp_targetILNS1_3genE2ELNS1_11target_archE906ELNS1_3gpuE6ELNS1_3repE0EEENS1_30default_config_static_selectorELNS0_4arch9wavefront6targetE0EEEvS12_: ; @_ZN7rocprim17ROCPRIM_400000_NS6detail17trampoline_kernelINS0_13select_configILj256ELj13ELNS0_17block_load_methodE3ELS4_3ELS4_3ELNS0_20block_scan_algorithmE0ELj4294967295EEENS1_25partition_config_selectorILNS1_17partition_subalgoE4EjNS0_10empty_typeEbEEZZNS1_14partition_implILS8_4ELb0ES6_15HIP_vector_typeIjLj2EENS0_17counting_iteratorIjlEEPS9_SG_NS0_5tupleIJPjSI_NS0_16reverse_iteratorISI_EEEEENSH_IJSG_SG_SG_EEES9_SI_JZNS1_25segmented_radix_sort_implINS0_14default_configELb1EPKbPbPKlPlN2at6native12_GLOBAL__N_18offset_tEEE10hipError_tPvRmT1_PNSt15iterator_traitsIS12_E10value_typeET2_T3_PNS13_IS18_E10value_typeET4_jRbjT5_S1E_jjP12ihipStream_tbEUljE_ZNSN_ISO_Lb1ESQ_SR_ST_SU_SY_EESZ_S10_S11_S12_S16_S17_S18_S1B_S1C_jS1D_jS1E_S1E_jjS1G_bEUljE0_EEESZ_S10_S11_S18_S1C_S1E_T6_T7_T9_mT8_S1G_bDpT10_ENKUlT_T0_E_clISt17integral_constantIbLb0EES1T_IbLb1EEEEDaS1P_S1Q_EUlS1P_E_NS1_11comp_targetILNS1_3genE2ELNS1_11target_archE906ELNS1_3gpuE6ELNS1_3repE0EEENS1_30default_config_static_selectorELNS0_4arch9wavefront6targetE0EEEvS12_
; %bb.0:
	.section	.rodata,"a",@progbits
	.p2align	6, 0x0
	.amdhsa_kernel _ZN7rocprim17ROCPRIM_400000_NS6detail17trampoline_kernelINS0_13select_configILj256ELj13ELNS0_17block_load_methodE3ELS4_3ELS4_3ELNS0_20block_scan_algorithmE0ELj4294967295EEENS1_25partition_config_selectorILNS1_17partition_subalgoE4EjNS0_10empty_typeEbEEZZNS1_14partition_implILS8_4ELb0ES6_15HIP_vector_typeIjLj2EENS0_17counting_iteratorIjlEEPS9_SG_NS0_5tupleIJPjSI_NS0_16reverse_iteratorISI_EEEEENSH_IJSG_SG_SG_EEES9_SI_JZNS1_25segmented_radix_sort_implINS0_14default_configELb1EPKbPbPKlPlN2at6native12_GLOBAL__N_18offset_tEEE10hipError_tPvRmT1_PNSt15iterator_traitsIS12_E10value_typeET2_T3_PNS13_IS18_E10value_typeET4_jRbjT5_S1E_jjP12ihipStream_tbEUljE_ZNSN_ISO_Lb1ESQ_SR_ST_SU_SY_EESZ_S10_S11_S12_S16_S17_S18_S1B_S1C_jS1D_jS1E_S1E_jjS1G_bEUljE0_EEESZ_S10_S11_S18_S1C_S1E_T6_T7_T9_mT8_S1G_bDpT10_ENKUlT_T0_E_clISt17integral_constantIbLb0EES1T_IbLb1EEEEDaS1P_S1Q_EUlS1P_E_NS1_11comp_targetILNS1_3genE2ELNS1_11target_archE906ELNS1_3gpuE6ELNS1_3repE0EEENS1_30default_config_static_selectorELNS0_4arch9wavefront6targetE0EEEvS12_
		.amdhsa_group_segment_fixed_size 0
		.amdhsa_private_segment_fixed_size 0
		.amdhsa_kernarg_size 184
		.amdhsa_user_sgpr_count 2
		.amdhsa_user_sgpr_dispatch_ptr 0
		.amdhsa_user_sgpr_queue_ptr 0
		.amdhsa_user_sgpr_kernarg_segment_ptr 1
		.amdhsa_user_sgpr_dispatch_id 0
		.amdhsa_user_sgpr_private_segment_size 0
		.amdhsa_wavefront_size32 1
		.amdhsa_uses_dynamic_stack 0
		.amdhsa_enable_private_segment 0
		.amdhsa_system_sgpr_workgroup_id_x 1
		.amdhsa_system_sgpr_workgroup_id_y 0
		.amdhsa_system_sgpr_workgroup_id_z 0
		.amdhsa_system_sgpr_workgroup_info 0
		.amdhsa_system_vgpr_workitem_id 0
		.amdhsa_next_free_vgpr 1
		.amdhsa_next_free_sgpr 1
		.amdhsa_reserve_vcc 0
		.amdhsa_float_round_mode_32 0
		.amdhsa_float_round_mode_16_64 0
		.amdhsa_float_denorm_mode_32 3
		.amdhsa_float_denorm_mode_16_64 3
		.amdhsa_fp16_overflow 0
		.amdhsa_workgroup_processor_mode 1
		.amdhsa_memory_ordered 1
		.amdhsa_forward_progress 1
		.amdhsa_inst_pref_size 0
		.amdhsa_round_robin_scheduling 0
		.amdhsa_exception_fp_ieee_invalid_op 0
		.amdhsa_exception_fp_denorm_src 0
		.amdhsa_exception_fp_ieee_div_zero 0
		.amdhsa_exception_fp_ieee_overflow 0
		.amdhsa_exception_fp_ieee_underflow 0
		.amdhsa_exception_fp_ieee_inexact 0
		.amdhsa_exception_int_div_zero 0
	.end_amdhsa_kernel
	.section	.text._ZN7rocprim17ROCPRIM_400000_NS6detail17trampoline_kernelINS0_13select_configILj256ELj13ELNS0_17block_load_methodE3ELS4_3ELS4_3ELNS0_20block_scan_algorithmE0ELj4294967295EEENS1_25partition_config_selectorILNS1_17partition_subalgoE4EjNS0_10empty_typeEbEEZZNS1_14partition_implILS8_4ELb0ES6_15HIP_vector_typeIjLj2EENS0_17counting_iteratorIjlEEPS9_SG_NS0_5tupleIJPjSI_NS0_16reverse_iteratorISI_EEEEENSH_IJSG_SG_SG_EEES9_SI_JZNS1_25segmented_radix_sort_implINS0_14default_configELb1EPKbPbPKlPlN2at6native12_GLOBAL__N_18offset_tEEE10hipError_tPvRmT1_PNSt15iterator_traitsIS12_E10value_typeET2_T3_PNS13_IS18_E10value_typeET4_jRbjT5_S1E_jjP12ihipStream_tbEUljE_ZNSN_ISO_Lb1ESQ_SR_ST_SU_SY_EESZ_S10_S11_S12_S16_S17_S18_S1B_S1C_jS1D_jS1E_S1E_jjS1G_bEUljE0_EEESZ_S10_S11_S18_S1C_S1E_T6_T7_T9_mT8_S1G_bDpT10_ENKUlT_T0_E_clISt17integral_constantIbLb0EES1T_IbLb1EEEEDaS1P_S1Q_EUlS1P_E_NS1_11comp_targetILNS1_3genE2ELNS1_11target_archE906ELNS1_3gpuE6ELNS1_3repE0EEENS1_30default_config_static_selectorELNS0_4arch9wavefront6targetE0EEEvS12_,"axG",@progbits,_ZN7rocprim17ROCPRIM_400000_NS6detail17trampoline_kernelINS0_13select_configILj256ELj13ELNS0_17block_load_methodE3ELS4_3ELS4_3ELNS0_20block_scan_algorithmE0ELj4294967295EEENS1_25partition_config_selectorILNS1_17partition_subalgoE4EjNS0_10empty_typeEbEEZZNS1_14partition_implILS8_4ELb0ES6_15HIP_vector_typeIjLj2EENS0_17counting_iteratorIjlEEPS9_SG_NS0_5tupleIJPjSI_NS0_16reverse_iteratorISI_EEEEENSH_IJSG_SG_SG_EEES9_SI_JZNS1_25segmented_radix_sort_implINS0_14default_configELb1EPKbPbPKlPlN2at6native12_GLOBAL__N_18offset_tEEE10hipError_tPvRmT1_PNSt15iterator_traitsIS12_E10value_typeET2_T3_PNS13_IS18_E10value_typeET4_jRbjT5_S1E_jjP12ihipStream_tbEUljE_ZNSN_ISO_Lb1ESQ_SR_ST_SU_SY_EESZ_S10_S11_S12_S16_S17_S18_S1B_S1C_jS1D_jS1E_S1E_jjS1G_bEUljE0_EEESZ_S10_S11_S18_S1C_S1E_T6_T7_T9_mT8_S1G_bDpT10_ENKUlT_T0_E_clISt17integral_constantIbLb0EES1T_IbLb1EEEEDaS1P_S1Q_EUlS1P_E_NS1_11comp_targetILNS1_3genE2ELNS1_11target_archE906ELNS1_3gpuE6ELNS1_3repE0EEENS1_30default_config_static_selectorELNS0_4arch9wavefront6targetE0EEEvS12_,comdat
.Lfunc_end1496:
	.size	_ZN7rocprim17ROCPRIM_400000_NS6detail17trampoline_kernelINS0_13select_configILj256ELj13ELNS0_17block_load_methodE3ELS4_3ELS4_3ELNS0_20block_scan_algorithmE0ELj4294967295EEENS1_25partition_config_selectorILNS1_17partition_subalgoE4EjNS0_10empty_typeEbEEZZNS1_14partition_implILS8_4ELb0ES6_15HIP_vector_typeIjLj2EENS0_17counting_iteratorIjlEEPS9_SG_NS0_5tupleIJPjSI_NS0_16reverse_iteratorISI_EEEEENSH_IJSG_SG_SG_EEES9_SI_JZNS1_25segmented_radix_sort_implINS0_14default_configELb1EPKbPbPKlPlN2at6native12_GLOBAL__N_18offset_tEEE10hipError_tPvRmT1_PNSt15iterator_traitsIS12_E10value_typeET2_T3_PNS13_IS18_E10value_typeET4_jRbjT5_S1E_jjP12ihipStream_tbEUljE_ZNSN_ISO_Lb1ESQ_SR_ST_SU_SY_EESZ_S10_S11_S12_S16_S17_S18_S1B_S1C_jS1D_jS1E_S1E_jjS1G_bEUljE0_EEESZ_S10_S11_S18_S1C_S1E_T6_T7_T9_mT8_S1G_bDpT10_ENKUlT_T0_E_clISt17integral_constantIbLb0EES1T_IbLb1EEEEDaS1P_S1Q_EUlS1P_E_NS1_11comp_targetILNS1_3genE2ELNS1_11target_archE906ELNS1_3gpuE6ELNS1_3repE0EEENS1_30default_config_static_selectorELNS0_4arch9wavefront6targetE0EEEvS12_, .Lfunc_end1496-_ZN7rocprim17ROCPRIM_400000_NS6detail17trampoline_kernelINS0_13select_configILj256ELj13ELNS0_17block_load_methodE3ELS4_3ELS4_3ELNS0_20block_scan_algorithmE0ELj4294967295EEENS1_25partition_config_selectorILNS1_17partition_subalgoE4EjNS0_10empty_typeEbEEZZNS1_14partition_implILS8_4ELb0ES6_15HIP_vector_typeIjLj2EENS0_17counting_iteratorIjlEEPS9_SG_NS0_5tupleIJPjSI_NS0_16reverse_iteratorISI_EEEEENSH_IJSG_SG_SG_EEES9_SI_JZNS1_25segmented_radix_sort_implINS0_14default_configELb1EPKbPbPKlPlN2at6native12_GLOBAL__N_18offset_tEEE10hipError_tPvRmT1_PNSt15iterator_traitsIS12_E10value_typeET2_T3_PNS13_IS18_E10value_typeET4_jRbjT5_S1E_jjP12ihipStream_tbEUljE_ZNSN_ISO_Lb1ESQ_SR_ST_SU_SY_EESZ_S10_S11_S12_S16_S17_S18_S1B_S1C_jS1D_jS1E_S1E_jjS1G_bEUljE0_EEESZ_S10_S11_S18_S1C_S1E_T6_T7_T9_mT8_S1G_bDpT10_ENKUlT_T0_E_clISt17integral_constantIbLb0EES1T_IbLb1EEEEDaS1P_S1Q_EUlS1P_E_NS1_11comp_targetILNS1_3genE2ELNS1_11target_archE906ELNS1_3gpuE6ELNS1_3repE0EEENS1_30default_config_static_selectorELNS0_4arch9wavefront6targetE0EEEvS12_
                                        ; -- End function
	.set _ZN7rocprim17ROCPRIM_400000_NS6detail17trampoline_kernelINS0_13select_configILj256ELj13ELNS0_17block_load_methodE3ELS4_3ELS4_3ELNS0_20block_scan_algorithmE0ELj4294967295EEENS1_25partition_config_selectorILNS1_17partition_subalgoE4EjNS0_10empty_typeEbEEZZNS1_14partition_implILS8_4ELb0ES6_15HIP_vector_typeIjLj2EENS0_17counting_iteratorIjlEEPS9_SG_NS0_5tupleIJPjSI_NS0_16reverse_iteratorISI_EEEEENSH_IJSG_SG_SG_EEES9_SI_JZNS1_25segmented_radix_sort_implINS0_14default_configELb1EPKbPbPKlPlN2at6native12_GLOBAL__N_18offset_tEEE10hipError_tPvRmT1_PNSt15iterator_traitsIS12_E10value_typeET2_T3_PNS13_IS18_E10value_typeET4_jRbjT5_S1E_jjP12ihipStream_tbEUljE_ZNSN_ISO_Lb1ESQ_SR_ST_SU_SY_EESZ_S10_S11_S12_S16_S17_S18_S1B_S1C_jS1D_jS1E_S1E_jjS1G_bEUljE0_EEESZ_S10_S11_S18_S1C_S1E_T6_T7_T9_mT8_S1G_bDpT10_ENKUlT_T0_E_clISt17integral_constantIbLb0EES1T_IbLb1EEEEDaS1P_S1Q_EUlS1P_E_NS1_11comp_targetILNS1_3genE2ELNS1_11target_archE906ELNS1_3gpuE6ELNS1_3repE0EEENS1_30default_config_static_selectorELNS0_4arch9wavefront6targetE0EEEvS12_.num_vgpr, 0
	.set _ZN7rocprim17ROCPRIM_400000_NS6detail17trampoline_kernelINS0_13select_configILj256ELj13ELNS0_17block_load_methodE3ELS4_3ELS4_3ELNS0_20block_scan_algorithmE0ELj4294967295EEENS1_25partition_config_selectorILNS1_17partition_subalgoE4EjNS0_10empty_typeEbEEZZNS1_14partition_implILS8_4ELb0ES6_15HIP_vector_typeIjLj2EENS0_17counting_iteratorIjlEEPS9_SG_NS0_5tupleIJPjSI_NS0_16reverse_iteratorISI_EEEEENSH_IJSG_SG_SG_EEES9_SI_JZNS1_25segmented_radix_sort_implINS0_14default_configELb1EPKbPbPKlPlN2at6native12_GLOBAL__N_18offset_tEEE10hipError_tPvRmT1_PNSt15iterator_traitsIS12_E10value_typeET2_T3_PNS13_IS18_E10value_typeET4_jRbjT5_S1E_jjP12ihipStream_tbEUljE_ZNSN_ISO_Lb1ESQ_SR_ST_SU_SY_EESZ_S10_S11_S12_S16_S17_S18_S1B_S1C_jS1D_jS1E_S1E_jjS1G_bEUljE0_EEESZ_S10_S11_S18_S1C_S1E_T6_T7_T9_mT8_S1G_bDpT10_ENKUlT_T0_E_clISt17integral_constantIbLb0EES1T_IbLb1EEEEDaS1P_S1Q_EUlS1P_E_NS1_11comp_targetILNS1_3genE2ELNS1_11target_archE906ELNS1_3gpuE6ELNS1_3repE0EEENS1_30default_config_static_selectorELNS0_4arch9wavefront6targetE0EEEvS12_.num_agpr, 0
	.set _ZN7rocprim17ROCPRIM_400000_NS6detail17trampoline_kernelINS0_13select_configILj256ELj13ELNS0_17block_load_methodE3ELS4_3ELS4_3ELNS0_20block_scan_algorithmE0ELj4294967295EEENS1_25partition_config_selectorILNS1_17partition_subalgoE4EjNS0_10empty_typeEbEEZZNS1_14partition_implILS8_4ELb0ES6_15HIP_vector_typeIjLj2EENS0_17counting_iteratorIjlEEPS9_SG_NS0_5tupleIJPjSI_NS0_16reverse_iteratorISI_EEEEENSH_IJSG_SG_SG_EEES9_SI_JZNS1_25segmented_radix_sort_implINS0_14default_configELb1EPKbPbPKlPlN2at6native12_GLOBAL__N_18offset_tEEE10hipError_tPvRmT1_PNSt15iterator_traitsIS12_E10value_typeET2_T3_PNS13_IS18_E10value_typeET4_jRbjT5_S1E_jjP12ihipStream_tbEUljE_ZNSN_ISO_Lb1ESQ_SR_ST_SU_SY_EESZ_S10_S11_S12_S16_S17_S18_S1B_S1C_jS1D_jS1E_S1E_jjS1G_bEUljE0_EEESZ_S10_S11_S18_S1C_S1E_T6_T7_T9_mT8_S1G_bDpT10_ENKUlT_T0_E_clISt17integral_constantIbLb0EES1T_IbLb1EEEEDaS1P_S1Q_EUlS1P_E_NS1_11comp_targetILNS1_3genE2ELNS1_11target_archE906ELNS1_3gpuE6ELNS1_3repE0EEENS1_30default_config_static_selectorELNS0_4arch9wavefront6targetE0EEEvS12_.numbered_sgpr, 0
	.set _ZN7rocprim17ROCPRIM_400000_NS6detail17trampoline_kernelINS0_13select_configILj256ELj13ELNS0_17block_load_methodE3ELS4_3ELS4_3ELNS0_20block_scan_algorithmE0ELj4294967295EEENS1_25partition_config_selectorILNS1_17partition_subalgoE4EjNS0_10empty_typeEbEEZZNS1_14partition_implILS8_4ELb0ES6_15HIP_vector_typeIjLj2EENS0_17counting_iteratorIjlEEPS9_SG_NS0_5tupleIJPjSI_NS0_16reverse_iteratorISI_EEEEENSH_IJSG_SG_SG_EEES9_SI_JZNS1_25segmented_radix_sort_implINS0_14default_configELb1EPKbPbPKlPlN2at6native12_GLOBAL__N_18offset_tEEE10hipError_tPvRmT1_PNSt15iterator_traitsIS12_E10value_typeET2_T3_PNS13_IS18_E10value_typeET4_jRbjT5_S1E_jjP12ihipStream_tbEUljE_ZNSN_ISO_Lb1ESQ_SR_ST_SU_SY_EESZ_S10_S11_S12_S16_S17_S18_S1B_S1C_jS1D_jS1E_S1E_jjS1G_bEUljE0_EEESZ_S10_S11_S18_S1C_S1E_T6_T7_T9_mT8_S1G_bDpT10_ENKUlT_T0_E_clISt17integral_constantIbLb0EES1T_IbLb1EEEEDaS1P_S1Q_EUlS1P_E_NS1_11comp_targetILNS1_3genE2ELNS1_11target_archE906ELNS1_3gpuE6ELNS1_3repE0EEENS1_30default_config_static_selectorELNS0_4arch9wavefront6targetE0EEEvS12_.num_named_barrier, 0
	.set _ZN7rocprim17ROCPRIM_400000_NS6detail17trampoline_kernelINS0_13select_configILj256ELj13ELNS0_17block_load_methodE3ELS4_3ELS4_3ELNS0_20block_scan_algorithmE0ELj4294967295EEENS1_25partition_config_selectorILNS1_17partition_subalgoE4EjNS0_10empty_typeEbEEZZNS1_14partition_implILS8_4ELb0ES6_15HIP_vector_typeIjLj2EENS0_17counting_iteratorIjlEEPS9_SG_NS0_5tupleIJPjSI_NS0_16reverse_iteratorISI_EEEEENSH_IJSG_SG_SG_EEES9_SI_JZNS1_25segmented_radix_sort_implINS0_14default_configELb1EPKbPbPKlPlN2at6native12_GLOBAL__N_18offset_tEEE10hipError_tPvRmT1_PNSt15iterator_traitsIS12_E10value_typeET2_T3_PNS13_IS18_E10value_typeET4_jRbjT5_S1E_jjP12ihipStream_tbEUljE_ZNSN_ISO_Lb1ESQ_SR_ST_SU_SY_EESZ_S10_S11_S12_S16_S17_S18_S1B_S1C_jS1D_jS1E_S1E_jjS1G_bEUljE0_EEESZ_S10_S11_S18_S1C_S1E_T6_T7_T9_mT8_S1G_bDpT10_ENKUlT_T0_E_clISt17integral_constantIbLb0EES1T_IbLb1EEEEDaS1P_S1Q_EUlS1P_E_NS1_11comp_targetILNS1_3genE2ELNS1_11target_archE906ELNS1_3gpuE6ELNS1_3repE0EEENS1_30default_config_static_selectorELNS0_4arch9wavefront6targetE0EEEvS12_.private_seg_size, 0
	.set _ZN7rocprim17ROCPRIM_400000_NS6detail17trampoline_kernelINS0_13select_configILj256ELj13ELNS0_17block_load_methodE3ELS4_3ELS4_3ELNS0_20block_scan_algorithmE0ELj4294967295EEENS1_25partition_config_selectorILNS1_17partition_subalgoE4EjNS0_10empty_typeEbEEZZNS1_14partition_implILS8_4ELb0ES6_15HIP_vector_typeIjLj2EENS0_17counting_iteratorIjlEEPS9_SG_NS0_5tupleIJPjSI_NS0_16reverse_iteratorISI_EEEEENSH_IJSG_SG_SG_EEES9_SI_JZNS1_25segmented_radix_sort_implINS0_14default_configELb1EPKbPbPKlPlN2at6native12_GLOBAL__N_18offset_tEEE10hipError_tPvRmT1_PNSt15iterator_traitsIS12_E10value_typeET2_T3_PNS13_IS18_E10value_typeET4_jRbjT5_S1E_jjP12ihipStream_tbEUljE_ZNSN_ISO_Lb1ESQ_SR_ST_SU_SY_EESZ_S10_S11_S12_S16_S17_S18_S1B_S1C_jS1D_jS1E_S1E_jjS1G_bEUljE0_EEESZ_S10_S11_S18_S1C_S1E_T6_T7_T9_mT8_S1G_bDpT10_ENKUlT_T0_E_clISt17integral_constantIbLb0EES1T_IbLb1EEEEDaS1P_S1Q_EUlS1P_E_NS1_11comp_targetILNS1_3genE2ELNS1_11target_archE906ELNS1_3gpuE6ELNS1_3repE0EEENS1_30default_config_static_selectorELNS0_4arch9wavefront6targetE0EEEvS12_.uses_vcc, 0
	.set _ZN7rocprim17ROCPRIM_400000_NS6detail17trampoline_kernelINS0_13select_configILj256ELj13ELNS0_17block_load_methodE3ELS4_3ELS4_3ELNS0_20block_scan_algorithmE0ELj4294967295EEENS1_25partition_config_selectorILNS1_17partition_subalgoE4EjNS0_10empty_typeEbEEZZNS1_14partition_implILS8_4ELb0ES6_15HIP_vector_typeIjLj2EENS0_17counting_iteratorIjlEEPS9_SG_NS0_5tupleIJPjSI_NS0_16reverse_iteratorISI_EEEEENSH_IJSG_SG_SG_EEES9_SI_JZNS1_25segmented_radix_sort_implINS0_14default_configELb1EPKbPbPKlPlN2at6native12_GLOBAL__N_18offset_tEEE10hipError_tPvRmT1_PNSt15iterator_traitsIS12_E10value_typeET2_T3_PNS13_IS18_E10value_typeET4_jRbjT5_S1E_jjP12ihipStream_tbEUljE_ZNSN_ISO_Lb1ESQ_SR_ST_SU_SY_EESZ_S10_S11_S12_S16_S17_S18_S1B_S1C_jS1D_jS1E_S1E_jjS1G_bEUljE0_EEESZ_S10_S11_S18_S1C_S1E_T6_T7_T9_mT8_S1G_bDpT10_ENKUlT_T0_E_clISt17integral_constantIbLb0EES1T_IbLb1EEEEDaS1P_S1Q_EUlS1P_E_NS1_11comp_targetILNS1_3genE2ELNS1_11target_archE906ELNS1_3gpuE6ELNS1_3repE0EEENS1_30default_config_static_selectorELNS0_4arch9wavefront6targetE0EEEvS12_.uses_flat_scratch, 0
	.set _ZN7rocprim17ROCPRIM_400000_NS6detail17trampoline_kernelINS0_13select_configILj256ELj13ELNS0_17block_load_methodE3ELS4_3ELS4_3ELNS0_20block_scan_algorithmE0ELj4294967295EEENS1_25partition_config_selectorILNS1_17partition_subalgoE4EjNS0_10empty_typeEbEEZZNS1_14partition_implILS8_4ELb0ES6_15HIP_vector_typeIjLj2EENS0_17counting_iteratorIjlEEPS9_SG_NS0_5tupleIJPjSI_NS0_16reverse_iteratorISI_EEEEENSH_IJSG_SG_SG_EEES9_SI_JZNS1_25segmented_radix_sort_implINS0_14default_configELb1EPKbPbPKlPlN2at6native12_GLOBAL__N_18offset_tEEE10hipError_tPvRmT1_PNSt15iterator_traitsIS12_E10value_typeET2_T3_PNS13_IS18_E10value_typeET4_jRbjT5_S1E_jjP12ihipStream_tbEUljE_ZNSN_ISO_Lb1ESQ_SR_ST_SU_SY_EESZ_S10_S11_S12_S16_S17_S18_S1B_S1C_jS1D_jS1E_S1E_jjS1G_bEUljE0_EEESZ_S10_S11_S18_S1C_S1E_T6_T7_T9_mT8_S1G_bDpT10_ENKUlT_T0_E_clISt17integral_constantIbLb0EES1T_IbLb1EEEEDaS1P_S1Q_EUlS1P_E_NS1_11comp_targetILNS1_3genE2ELNS1_11target_archE906ELNS1_3gpuE6ELNS1_3repE0EEENS1_30default_config_static_selectorELNS0_4arch9wavefront6targetE0EEEvS12_.has_dyn_sized_stack, 0
	.set _ZN7rocprim17ROCPRIM_400000_NS6detail17trampoline_kernelINS0_13select_configILj256ELj13ELNS0_17block_load_methodE3ELS4_3ELS4_3ELNS0_20block_scan_algorithmE0ELj4294967295EEENS1_25partition_config_selectorILNS1_17partition_subalgoE4EjNS0_10empty_typeEbEEZZNS1_14partition_implILS8_4ELb0ES6_15HIP_vector_typeIjLj2EENS0_17counting_iteratorIjlEEPS9_SG_NS0_5tupleIJPjSI_NS0_16reverse_iteratorISI_EEEEENSH_IJSG_SG_SG_EEES9_SI_JZNS1_25segmented_radix_sort_implINS0_14default_configELb1EPKbPbPKlPlN2at6native12_GLOBAL__N_18offset_tEEE10hipError_tPvRmT1_PNSt15iterator_traitsIS12_E10value_typeET2_T3_PNS13_IS18_E10value_typeET4_jRbjT5_S1E_jjP12ihipStream_tbEUljE_ZNSN_ISO_Lb1ESQ_SR_ST_SU_SY_EESZ_S10_S11_S12_S16_S17_S18_S1B_S1C_jS1D_jS1E_S1E_jjS1G_bEUljE0_EEESZ_S10_S11_S18_S1C_S1E_T6_T7_T9_mT8_S1G_bDpT10_ENKUlT_T0_E_clISt17integral_constantIbLb0EES1T_IbLb1EEEEDaS1P_S1Q_EUlS1P_E_NS1_11comp_targetILNS1_3genE2ELNS1_11target_archE906ELNS1_3gpuE6ELNS1_3repE0EEENS1_30default_config_static_selectorELNS0_4arch9wavefront6targetE0EEEvS12_.has_recursion, 0
	.set _ZN7rocprim17ROCPRIM_400000_NS6detail17trampoline_kernelINS0_13select_configILj256ELj13ELNS0_17block_load_methodE3ELS4_3ELS4_3ELNS0_20block_scan_algorithmE0ELj4294967295EEENS1_25partition_config_selectorILNS1_17partition_subalgoE4EjNS0_10empty_typeEbEEZZNS1_14partition_implILS8_4ELb0ES6_15HIP_vector_typeIjLj2EENS0_17counting_iteratorIjlEEPS9_SG_NS0_5tupleIJPjSI_NS0_16reverse_iteratorISI_EEEEENSH_IJSG_SG_SG_EEES9_SI_JZNS1_25segmented_radix_sort_implINS0_14default_configELb1EPKbPbPKlPlN2at6native12_GLOBAL__N_18offset_tEEE10hipError_tPvRmT1_PNSt15iterator_traitsIS12_E10value_typeET2_T3_PNS13_IS18_E10value_typeET4_jRbjT5_S1E_jjP12ihipStream_tbEUljE_ZNSN_ISO_Lb1ESQ_SR_ST_SU_SY_EESZ_S10_S11_S12_S16_S17_S18_S1B_S1C_jS1D_jS1E_S1E_jjS1G_bEUljE0_EEESZ_S10_S11_S18_S1C_S1E_T6_T7_T9_mT8_S1G_bDpT10_ENKUlT_T0_E_clISt17integral_constantIbLb0EES1T_IbLb1EEEEDaS1P_S1Q_EUlS1P_E_NS1_11comp_targetILNS1_3genE2ELNS1_11target_archE906ELNS1_3gpuE6ELNS1_3repE0EEENS1_30default_config_static_selectorELNS0_4arch9wavefront6targetE0EEEvS12_.has_indirect_call, 0
	.section	.AMDGPU.csdata,"",@progbits
; Kernel info:
; codeLenInByte = 0
; TotalNumSgprs: 0
; NumVgprs: 0
; ScratchSize: 0
; MemoryBound: 0
; FloatMode: 240
; IeeeMode: 1
; LDSByteSize: 0 bytes/workgroup (compile time only)
; SGPRBlocks: 0
; VGPRBlocks: 0
; NumSGPRsForWavesPerEU: 1
; NumVGPRsForWavesPerEU: 1
; Occupancy: 16
; WaveLimiterHint : 0
; COMPUTE_PGM_RSRC2:SCRATCH_EN: 0
; COMPUTE_PGM_RSRC2:USER_SGPR: 2
; COMPUTE_PGM_RSRC2:TRAP_HANDLER: 0
; COMPUTE_PGM_RSRC2:TGID_X_EN: 1
; COMPUTE_PGM_RSRC2:TGID_Y_EN: 0
; COMPUTE_PGM_RSRC2:TGID_Z_EN: 0
; COMPUTE_PGM_RSRC2:TIDIG_COMP_CNT: 0
	.section	.text._ZN7rocprim17ROCPRIM_400000_NS6detail17trampoline_kernelINS0_13select_configILj256ELj13ELNS0_17block_load_methodE3ELS4_3ELS4_3ELNS0_20block_scan_algorithmE0ELj4294967295EEENS1_25partition_config_selectorILNS1_17partition_subalgoE4EjNS0_10empty_typeEbEEZZNS1_14partition_implILS8_4ELb0ES6_15HIP_vector_typeIjLj2EENS0_17counting_iteratorIjlEEPS9_SG_NS0_5tupleIJPjSI_NS0_16reverse_iteratorISI_EEEEENSH_IJSG_SG_SG_EEES9_SI_JZNS1_25segmented_radix_sort_implINS0_14default_configELb1EPKbPbPKlPlN2at6native12_GLOBAL__N_18offset_tEEE10hipError_tPvRmT1_PNSt15iterator_traitsIS12_E10value_typeET2_T3_PNS13_IS18_E10value_typeET4_jRbjT5_S1E_jjP12ihipStream_tbEUljE_ZNSN_ISO_Lb1ESQ_SR_ST_SU_SY_EESZ_S10_S11_S12_S16_S17_S18_S1B_S1C_jS1D_jS1E_S1E_jjS1G_bEUljE0_EEESZ_S10_S11_S18_S1C_S1E_T6_T7_T9_mT8_S1G_bDpT10_ENKUlT_T0_E_clISt17integral_constantIbLb0EES1T_IbLb1EEEEDaS1P_S1Q_EUlS1P_E_NS1_11comp_targetILNS1_3genE10ELNS1_11target_archE1200ELNS1_3gpuE4ELNS1_3repE0EEENS1_30default_config_static_selectorELNS0_4arch9wavefront6targetE0EEEvS12_,"axG",@progbits,_ZN7rocprim17ROCPRIM_400000_NS6detail17trampoline_kernelINS0_13select_configILj256ELj13ELNS0_17block_load_methodE3ELS4_3ELS4_3ELNS0_20block_scan_algorithmE0ELj4294967295EEENS1_25partition_config_selectorILNS1_17partition_subalgoE4EjNS0_10empty_typeEbEEZZNS1_14partition_implILS8_4ELb0ES6_15HIP_vector_typeIjLj2EENS0_17counting_iteratorIjlEEPS9_SG_NS0_5tupleIJPjSI_NS0_16reverse_iteratorISI_EEEEENSH_IJSG_SG_SG_EEES9_SI_JZNS1_25segmented_radix_sort_implINS0_14default_configELb1EPKbPbPKlPlN2at6native12_GLOBAL__N_18offset_tEEE10hipError_tPvRmT1_PNSt15iterator_traitsIS12_E10value_typeET2_T3_PNS13_IS18_E10value_typeET4_jRbjT5_S1E_jjP12ihipStream_tbEUljE_ZNSN_ISO_Lb1ESQ_SR_ST_SU_SY_EESZ_S10_S11_S12_S16_S17_S18_S1B_S1C_jS1D_jS1E_S1E_jjS1G_bEUljE0_EEESZ_S10_S11_S18_S1C_S1E_T6_T7_T9_mT8_S1G_bDpT10_ENKUlT_T0_E_clISt17integral_constantIbLb0EES1T_IbLb1EEEEDaS1P_S1Q_EUlS1P_E_NS1_11comp_targetILNS1_3genE10ELNS1_11target_archE1200ELNS1_3gpuE4ELNS1_3repE0EEENS1_30default_config_static_selectorELNS0_4arch9wavefront6targetE0EEEvS12_,comdat
	.globl	_ZN7rocprim17ROCPRIM_400000_NS6detail17trampoline_kernelINS0_13select_configILj256ELj13ELNS0_17block_load_methodE3ELS4_3ELS4_3ELNS0_20block_scan_algorithmE0ELj4294967295EEENS1_25partition_config_selectorILNS1_17partition_subalgoE4EjNS0_10empty_typeEbEEZZNS1_14partition_implILS8_4ELb0ES6_15HIP_vector_typeIjLj2EENS0_17counting_iteratorIjlEEPS9_SG_NS0_5tupleIJPjSI_NS0_16reverse_iteratorISI_EEEEENSH_IJSG_SG_SG_EEES9_SI_JZNS1_25segmented_radix_sort_implINS0_14default_configELb1EPKbPbPKlPlN2at6native12_GLOBAL__N_18offset_tEEE10hipError_tPvRmT1_PNSt15iterator_traitsIS12_E10value_typeET2_T3_PNS13_IS18_E10value_typeET4_jRbjT5_S1E_jjP12ihipStream_tbEUljE_ZNSN_ISO_Lb1ESQ_SR_ST_SU_SY_EESZ_S10_S11_S12_S16_S17_S18_S1B_S1C_jS1D_jS1E_S1E_jjS1G_bEUljE0_EEESZ_S10_S11_S18_S1C_S1E_T6_T7_T9_mT8_S1G_bDpT10_ENKUlT_T0_E_clISt17integral_constantIbLb0EES1T_IbLb1EEEEDaS1P_S1Q_EUlS1P_E_NS1_11comp_targetILNS1_3genE10ELNS1_11target_archE1200ELNS1_3gpuE4ELNS1_3repE0EEENS1_30default_config_static_selectorELNS0_4arch9wavefront6targetE0EEEvS12_ ; -- Begin function _ZN7rocprim17ROCPRIM_400000_NS6detail17trampoline_kernelINS0_13select_configILj256ELj13ELNS0_17block_load_methodE3ELS4_3ELS4_3ELNS0_20block_scan_algorithmE0ELj4294967295EEENS1_25partition_config_selectorILNS1_17partition_subalgoE4EjNS0_10empty_typeEbEEZZNS1_14partition_implILS8_4ELb0ES6_15HIP_vector_typeIjLj2EENS0_17counting_iteratorIjlEEPS9_SG_NS0_5tupleIJPjSI_NS0_16reverse_iteratorISI_EEEEENSH_IJSG_SG_SG_EEES9_SI_JZNS1_25segmented_radix_sort_implINS0_14default_configELb1EPKbPbPKlPlN2at6native12_GLOBAL__N_18offset_tEEE10hipError_tPvRmT1_PNSt15iterator_traitsIS12_E10value_typeET2_T3_PNS13_IS18_E10value_typeET4_jRbjT5_S1E_jjP12ihipStream_tbEUljE_ZNSN_ISO_Lb1ESQ_SR_ST_SU_SY_EESZ_S10_S11_S12_S16_S17_S18_S1B_S1C_jS1D_jS1E_S1E_jjS1G_bEUljE0_EEESZ_S10_S11_S18_S1C_S1E_T6_T7_T9_mT8_S1G_bDpT10_ENKUlT_T0_E_clISt17integral_constantIbLb0EES1T_IbLb1EEEEDaS1P_S1Q_EUlS1P_E_NS1_11comp_targetILNS1_3genE10ELNS1_11target_archE1200ELNS1_3gpuE4ELNS1_3repE0EEENS1_30default_config_static_selectorELNS0_4arch9wavefront6targetE0EEEvS12_
	.p2align	8
	.type	_ZN7rocprim17ROCPRIM_400000_NS6detail17trampoline_kernelINS0_13select_configILj256ELj13ELNS0_17block_load_methodE3ELS4_3ELS4_3ELNS0_20block_scan_algorithmE0ELj4294967295EEENS1_25partition_config_selectorILNS1_17partition_subalgoE4EjNS0_10empty_typeEbEEZZNS1_14partition_implILS8_4ELb0ES6_15HIP_vector_typeIjLj2EENS0_17counting_iteratorIjlEEPS9_SG_NS0_5tupleIJPjSI_NS0_16reverse_iteratorISI_EEEEENSH_IJSG_SG_SG_EEES9_SI_JZNS1_25segmented_radix_sort_implINS0_14default_configELb1EPKbPbPKlPlN2at6native12_GLOBAL__N_18offset_tEEE10hipError_tPvRmT1_PNSt15iterator_traitsIS12_E10value_typeET2_T3_PNS13_IS18_E10value_typeET4_jRbjT5_S1E_jjP12ihipStream_tbEUljE_ZNSN_ISO_Lb1ESQ_SR_ST_SU_SY_EESZ_S10_S11_S12_S16_S17_S18_S1B_S1C_jS1D_jS1E_S1E_jjS1G_bEUljE0_EEESZ_S10_S11_S18_S1C_S1E_T6_T7_T9_mT8_S1G_bDpT10_ENKUlT_T0_E_clISt17integral_constantIbLb0EES1T_IbLb1EEEEDaS1P_S1Q_EUlS1P_E_NS1_11comp_targetILNS1_3genE10ELNS1_11target_archE1200ELNS1_3gpuE4ELNS1_3repE0EEENS1_30default_config_static_selectorELNS0_4arch9wavefront6targetE0EEEvS12_,@function
_ZN7rocprim17ROCPRIM_400000_NS6detail17trampoline_kernelINS0_13select_configILj256ELj13ELNS0_17block_load_methodE3ELS4_3ELS4_3ELNS0_20block_scan_algorithmE0ELj4294967295EEENS1_25partition_config_selectorILNS1_17partition_subalgoE4EjNS0_10empty_typeEbEEZZNS1_14partition_implILS8_4ELb0ES6_15HIP_vector_typeIjLj2EENS0_17counting_iteratorIjlEEPS9_SG_NS0_5tupleIJPjSI_NS0_16reverse_iteratorISI_EEEEENSH_IJSG_SG_SG_EEES9_SI_JZNS1_25segmented_radix_sort_implINS0_14default_configELb1EPKbPbPKlPlN2at6native12_GLOBAL__N_18offset_tEEE10hipError_tPvRmT1_PNSt15iterator_traitsIS12_E10value_typeET2_T3_PNS13_IS18_E10value_typeET4_jRbjT5_S1E_jjP12ihipStream_tbEUljE_ZNSN_ISO_Lb1ESQ_SR_ST_SU_SY_EESZ_S10_S11_S12_S16_S17_S18_S1B_S1C_jS1D_jS1E_S1E_jjS1G_bEUljE0_EEESZ_S10_S11_S18_S1C_S1E_T6_T7_T9_mT8_S1G_bDpT10_ENKUlT_T0_E_clISt17integral_constantIbLb0EES1T_IbLb1EEEEDaS1P_S1Q_EUlS1P_E_NS1_11comp_targetILNS1_3genE10ELNS1_11target_archE1200ELNS1_3gpuE4ELNS1_3repE0EEENS1_30default_config_static_selectorELNS0_4arch9wavefront6targetE0EEEvS12_: ; @_ZN7rocprim17ROCPRIM_400000_NS6detail17trampoline_kernelINS0_13select_configILj256ELj13ELNS0_17block_load_methodE3ELS4_3ELS4_3ELNS0_20block_scan_algorithmE0ELj4294967295EEENS1_25partition_config_selectorILNS1_17partition_subalgoE4EjNS0_10empty_typeEbEEZZNS1_14partition_implILS8_4ELb0ES6_15HIP_vector_typeIjLj2EENS0_17counting_iteratorIjlEEPS9_SG_NS0_5tupleIJPjSI_NS0_16reverse_iteratorISI_EEEEENSH_IJSG_SG_SG_EEES9_SI_JZNS1_25segmented_radix_sort_implINS0_14default_configELb1EPKbPbPKlPlN2at6native12_GLOBAL__N_18offset_tEEE10hipError_tPvRmT1_PNSt15iterator_traitsIS12_E10value_typeET2_T3_PNS13_IS18_E10value_typeET4_jRbjT5_S1E_jjP12ihipStream_tbEUljE_ZNSN_ISO_Lb1ESQ_SR_ST_SU_SY_EESZ_S10_S11_S12_S16_S17_S18_S1B_S1C_jS1D_jS1E_S1E_jjS1G_bEUljE0_EEESZ_S10_S11_S18_S1C_S1E_T6_T7_T9_mT8_S1G_bDpT10_ENKUlT_T0_E_clISt17integral_constantIbLb0EES1T_IbLb1EEEEDaS1P_S1Q_EUlS1P_E_NS1_11comp_targetILNS1_3genE10ELNS1_11target_archE1200ELNS1_3gpuE4ELNS1_3repE0EEENS1_30default_config_static_selectorELNS0_4arch9wavefront6targetE0EEEvS12_
; %bb.0:
	s_clause 0x7
	s_load_b64 s[34:35], s[0:1], 0x10
	s_load_b128 s[28:31], s[0:1], 0x28
	s_load_b64 s[14:15], s[0:1], 0x38
	s_load_b128 s[24:27], s[0:1], 0x58
	s_load_b64 s[4:5], s[0:1], 0x68
	s_load_b64 s[36:37], s[0:1], 0x78
	;; [unrolled: 1-line block ×3, first 2 shown]
	s_load_b256 s[16:23], s[0:1], 0x90
	v_cmp_eq_u32_e64 s2, 0, v0
	s_and_saveexec_b32 s3, s2
	s_cbranch_execz .LBB1497_4
; %bb.1:
	s_mov_b32 s7, exec_lo
	s_mov_b32 s6, exec_lo
	v_mbcnt_lo_u32_b32 v1, s7, 0
                                        ; implicit-def: $vgpr2
	s_delay_alu instid0(VALU_DEP_1)
	v_cmpx_eq_u32_e32 0, v1
	s_cbranch_execz .LBB1497_3
; %bb.2:
	s_load_b64 s[8:9], s[0:1], 0x88
	s_bcnt1_i32_b32 s7, s7
	s_wait_alu 0xfffe
	v_dual_mov_b32 v2, 0 :: v_dual_mov_b32 v3, s7
	s_wait_kmcnt 0x0
	global_atomic_add_u32 v2, v2, v3, s[8:9] th:TH_ATOMIC_RETURN scope:SCOPE_DEV
.LBB1497_3:
	s_or_b32 exec_lo, exec_lo, s6
	s_wait_loadcnt 0x0
	v_readfirstlane_b32 s6, v2
	s_wait_alu 0xf1ff
	s_delay_alu instid0(VALU_DEP_1)
	v_dual_mov_b32 v2, 0 :: v_dual_add_nc_u32 v1, s6, v1
	ds_store_b32 v2, v1
.LBB1497_4:
	s_or_b32 exec_lo, exec_lo, s3
	v_mov_b32_e32 v1, 0
	s_clause 0x1
	s_load_b32 s3, s[0:1], 0x8
	s_load_b32 s0, s[0:1], 0x80
	s_wait_dscnt 0x0
	s_barrier_signal -1
	s_barrier_wait -1
	global_inv scope:SCOPE_SE
	ds_load_b32 v5, v1
	s_wait_loadcnt_dscnt 0x0
	s_barrier_signal -1
	s_barrier_wait -1
	global_inv scope:SCOPE_SE
	s_wait_kmcnt 0x0
	global_load_b128 v[1:4], v1, s[26:27]
	s_mov_b32 s1, 0
	s_add_co_i32 s3, s3, s34
	s_add_co_i32 s6, s0, -1
	s_mulk_i32 s0, 0xd00
	s_delay_alu instid0(SALU_CYCLE_1)
	s_add_co_i32 s7, s0, s34
	s_add_nc_u64 s[0:1], s[34:35], s[0:1]
	v_readfirstlane_b32 s33, v5
	v_cmp_gt_u64_e64 s0, s[4:5], s[0:1]
	s_wait_alu 0xfffe
	s_sub_co_i32 s27, s4, s7
	v_cmp_ne_u32_e32 vcc_lo, s6, v5
	v_mul_lo_u32 v43, 0xd00, v5
	s_addk_co_i32 s27, 0xd00
	s_cmp_eq_u32 s33, s6
	s_mov_b32 s4, -1
	s_cselect_b32 s26, -1, 0
	s_or_b32 s1, s0, vcc_lo
	s_wait_alu 0xfffe
	s_and_b32 vcc_lo, exec_lo, s1
	s_cbranch_vccz .LBB1497_6
; %bb.5:
	v_add3_u32 v5, v43, s3, v0
	v_lshlrev_b32_e32 v14, 2, v0
	s_mov_b32 s4, 0
	s_delay_alu instid0(VALU_DEP_2)
	v_add_nc_u32_e32 v6, 0x100, v5
	v_add_nc_u32_e32 v7, 0x200, v5
	v_add_nc_u32_e32 v8, 0x300, v5
	v_add_nc_u32_e32 v9, 0x400, v5
	v_add_nc_u32_e32 v10, 0x500, v5
	v_add_nc_u32_e32 v11, 0x600, v5
	v_add_nc_u32_e32 v12, 0x700, v5
	v_add_nc_u32_e32 v13, 0x800, v5
	v_add_nc_u32_e32 v15, 0x900, v5
	v_add_nc_u32_e32 v16, 0xa00, v5
	v_add_nc_u32_e32 v17, 0xb00, v5
	v_add_nc_u32_e32 v18, 0xc00, v5
	ds_store_2addr_stride64_b32 v14, v5, v6 offset1:4
	ds_store_2addr_stride64_b32 v14, v7, v8 offset0:8 offset1:12
	ds_store_2addr_stride64_b32 v14, v9, v10 offset0:16 offset1:20
	;; [unrolled: 1-line block ×5, first 2 shown]
	ds_store_b32 v14, v18 offset:12288
	s_wait_loadcnt_dscnt 0x0
	s_barrier_signal -1
	s_barrier_wait -1
.LBB1497_6:
	v_cmp_gt_u32_e64 s0, s27, v0
	v_or_b32_e32 v42, 0x100, v0
	v_or_b32_e32 v41, 0x200, v0
	v_or_b32_e32 v40, 0x300, v0
	v_or_b32_e32 v39, 0x400, v0
	v_or_b32_e32 v38, 0x500, v0
	v_or_b32_e32 v37, 0x600, v0
	v_or_b32_e32 v36, 0x700, v0
	v_or_b32_e32 v35, 0x800, v0
	v_or_b32_e32 v34, 0x900, v0
	v_or_b32_e32 v33, 0xa00, v0
	v_or_b32_e32 v32, 0xb00, v0
	v_or_b32_e32 v31, 0xc00, v0
	s_wait_alu 0xfffe
	s_and_not1_b32 vcc_lo, exec_lo, s4
	s_cbranch_vccnz .LBB1497_8
; %bb.7:
	v_add_nc_u32_e32 v5, s3, v43
	v_cmp_gt_u32_e32 vcc_lo, s27, v42
	s_delay_alu instid0(VALU_DEP_2) | instskip(NEXT) | instid1(VALU_DEP_1)
	v_add_nc_u32_e32 v7, v5, v42
	v_dual_cndmask_b32 v7, 0, v7 :: v_dual_add_nc_u32 v8, v5, v41
	v_cmp_gt_u32_e32 vcc_lo, s27, v41
	s_wait_alu 0xfffd
	s_delay_alu instid0(VALU_DEP_2)
	v_cndmask_b32_e32 v8, 0, v8, vcc_lo
	v_cmp_gt_u32_e32 vcc_lo, s27, v40
	v_add_nc_u32_e32 v17, v5, v32
	v_add_nc_u32_e32 v14, v5, v35
	;; [unrolled: 1-line block ×9, first 2 shown]
	s_wait_alu 0xfffd
	v_cndmask_b32_e32 v9, 0, v9, vcc_lo
	v_cmp_gt_u32_e32 vcc_lo, s27, v39
	v_cndmask_b32_e64 v6, 0, v6, s0
	s_wait_alu 0xfffd
	v_cndmask_b32_e32 v10, 0, v10, vcc_lo
	v_cmp_gt_u32_e32 vcc_lo, s27, v38
	v_add_nc_u32_e32 v12, v5, v37
	v_add_nc_u32_e32 v5, v5, v31
	s_wait_alu 0xfffd
	v_cndmask_b32_e32 v11, 0, v11, vcc_lo
	v_cmp_gt_u32_e32 vcc_lo, s27, v37
	s_wait_alu 0xfffd
	v_cndmask_b32_e32 v12, 0, v12, vcc_lo
	v_cmp_gt_u32_e32 vcc_lo, s27, v36
	;; [unrolled: 3-line block ×7, first 2 shown]
	s_wait_alu 0xfffd
	v_dual_cndmask_b32 v5, 0, v5 :: v_dual_lshlrev_b32 v18, 2, v0
	ds_store_2addr_stride64_b32 v18, v6, v7 offset1:4
	ds_store_2addr_stride64_b32 v18, v8, v9 offset0:8 offset1:12
	ds_store_2addr_stride64_b32 v18, v10, v11 offset0:16 offset1:20
	;; [unrolled: 1-line block ×5, first 2 shown]
	ds_store_b32 v18, v5 offset:12288
	s_wait_loadcnt_dscnt 0x0
	s_barrier_signal -1
	s_barrier_wait -1
.LBB1497_8:
	v_mul_u32_u24_e32 v46, 13, v0
	s_wait_loadcnt 0x0
	global_inv scope:SCOPE_SE
	v_cndmask_b32_e64 v44, 0, 1, s1
	s_and_not1_b32 vcc_lo, exec_lo, s1
	v_lshlrev_b32_e32 v5, 2, v46
	ds_load_2addr_b32 v[23:24], v5 offset1:1
	ds_load_2addr_b32 v[21:22], v5 offset0:2 offset1:3
	ds_load_2addr_b32 v[19:20], v5 offset0:4 offset1:5
	;; [unrolled: 1-line block ×5, first 2 shown]
	ds_load_b32 v45, v5 offset:48
	s_wait_loadcnt_dscnt 0x0
	s_barrier_signal -1
	s_barrier_wait -1
	global_inv scope:SCOPE_SE
	s_wait_alu 0xfffe
	s_cbranch_vccnz .LBB1497_36
; %bb.9:
	v_add_nc_u32_e32 v5, s17, v23
	v_add_nc_u32_e32 v6, s19, v23
	s_mov_b32 s41, 0
	s_mov_b32 s40, 0
	s_mov_b32 s1, exec_lo
	v_mul_lo_u32 v5, v5, s16
	v_mul_lo_u32 v6, v6, s18
	s_delay_alu instid0(VALU_DEP_1) | instskip(NEXT) | instid1(VALU_DEP_1)
	v_sub_nc_u32_e32 v5, v5, v6
	v_cmp_lt_u32_e32 vcc_lo, s20, v5
	v_cmpx_ge_u32_e64 s20, v5
	s_cbranch_execz .LBB1497_11
; %bb.10:
	v_add_nc_u32_e32 v5, s22, v23
	v_add_nc_u32_e32 v6, s38, v23
	s_delay_alu instid0(VALU_DEP_2) | instskip(NEXT) | instid1(VALU_DEP_2)
	v_mul_lo_u32 v5, v5, s21
	v_mul_lo_u32 v6, v6, s23
	s_delay_alu instid0(VALU_DEP_1) | instskip(NEXT) | instid1(VALU_DEP_1)
	v_sub_nc_u32_e32 v5, v5, v6
	v_cmp_lt_u32_e64 s0, s39, v5
	s_and_b32 s40, s0, exec_lo
.LBB1497_11:
	s_wait_alu 0xfffe
	s_or_b32 exec_lo, exec_lo, s1
	v_add_nc_u32_e32 v5, s17, v24
	v_add_nc_u32_e32 v6, s19, v24
	s_mov_b32 s3, exec_lo
	s_delay_alu instid0(VALU_DEP_2) | instskip(NEXT) | instid1(VALU_DEP_2)
	v_mul_lo_u32 v5, v5, s16
	v_mul_lo_u32 v6, v6, s18
	s_delay_alu instid0(VALU_DEP_1) | instskip(NEXT) | instid1(VALU_DEP_1)
	v_sub_nc_u32_e32 v5, v5, v6
	v_cmp_lt_u32_e64 s0, s20, v5
	v_cmpx_ge_u32_e64 s20, v5
	s_cbranch_execz .LBB1497_13
; %bb.12:
	v_add_nc_u32_e32 v5, s22, v24
	v_add_nc_u32_e32 v6, s38, v24
	s_delay_alu instid0(VALU_DEP_2) | instskip(NEXT) | instid1(VALU_DEP_2)
	v_mul_lo_u32 v5, v5, s21
	v_mul_lo_u32 v6, v6, s23
	s_delay_alu instid0(VALU_DEP_1) | instskip(NEXT) | instid1(VALU_DEP_1)
	v_sub_nc_u32_e32 v5, v5, v6
	v_cmp_lt_u32_e64 s1, s39, v5
	s_and_b32 s41, s1, exec_lo
.LBB1497_13:
	s_wait_alu 0xfffe
	s_or_b32 exec_lo, exec_lo, s3
	v_add_nc_u32_e32 v5, s17, v21
	v_add_nc_u32_e32 v6, s19, v21
	s_mov_b32 s43, 0
	s_mov_b32 s42, 0
	s_mov_b32 s4, exec_lo
	v_mul_lo_u32 v5, v5, s16
	v_mul_lo_u32 v6, v6, s18
	s_delay_alu instid0(VALU_DEP_1) | instskip(NEXT) | instid1(VALU_DEP_1)
	v_sub_nc_u32_e32 v5, v5, v6
	v_cmp_lt_u32_e64 s1, s20, v5
	v_cmpx_ge_u32_e64 s20, v5
	s_cbranch_execz .LBB1497_15
; %bb.14:
	v_add_nc_u32_e32 v5, s22, v21
	v_add_nc_u32_e32 v6, s38, v21
	s_delay_alu instid0(VALU_DEP_2) | instskip(NEXT) | instid1(VALU_DEP_2)
	v_mul_lo_u32 v5, v5, s21
	v_mul_lo_u32 v6, v6, s23
	s_delay_alu instid0(VALU_DEP_1) | instskip(NEXT) | instid1(VALU_DEP_1)
	v_sub_nc_u32_e32 v5, v5, v6
	v_cmp_lt_u32_e64 s3, s39, v5
	s_and_b32 s42, s3, exec_lo
.LBB1497_15:
	s_wait_alu 0xfffe
	s_or_b32 exec_lo, exec_lo, s4
	v_add_nc_u32_e32 v5, s17, v22
	v_add_nc_u32_e32 v6, s19, v22
	s_mov_b32 s5, exec_lo
	s_delay_alu instid0(VALU_DEP_2) | instskip(NEXT) | instid1(VALU_DEP_2)
	v_mul_lo_u32 v5, v5, s16
	v_mul_lo_u32 v6, v6, s18
	s_delay_alu instid0(VALU_DEP_1) | instskip(NEXT) | instid1(VALU_DEP_1)
	v_sub_nc_u32_e32 v5, v5, v6
	v_cmp_lt_u32_e64 s3, s20, v5
	v_cmpx_ge_u32_e64 s20, v5
	s_cbranch_execz .LBB1497_17
; %bb.16:
	v_add_nc_u32_e32 v5, s22, v22
	v_add_nc_u32_e32 v6, s38, v22
	s_delay_alu instid0(VALU_DEP_2) | instskip(NEXT) | instid1(VALU_DEP_2)
	v_mul_lo_u32 v5, v5, s21
	v_mul_lo_u32 v6, v6, s23
	s_delay_alu instid0(VALU_DEP_1) | instskip(NEXT) | instid1(VALU_DEP_1)
	v_sub_nc_u32_e32 v5, v5, v6
	v_cmp_lt_u32_e64 s4, s39, v5
	s_and_b32 s43, s4, exec_lo
.LBB1497_17:
	s_wait_alu 0xfffe
	s_or_b32 exec_lo, exec_lo, s5
	v_add_nc_u32_e32 v5, s17, v19
	v_add_nc_u32_e32 v6, s19, v19
	s_mov_b32 s45, 0
	s_mov_b32 s44, 0
	s_mov_b32 s6, exec_lo
	v_mul_lo_u32 v5, v5, s16
	v_mul_lo_u32 v6, v6, s18
	s_delay_alu instid0(VALU_DEP_1) | instskip(NEXT) | instid1(VALU_DEP_1)
	v_sub_nc_u32_e32 v5, v5, v6
	v_cmp_lt_u32_e64 s4, s20, v5
	;; [unrolled: 49-line block ×3, first 2 shown]
	v_cmpx_ge_u32_e64 s20, v5
	s_cbranch_execz .LBB1497_23
; %bb.22:
	v_add_nc_u32_e32 v5, s22, v17
	v_add_nc_u32_e32 v6, s38, v17
	s_delay_alu instid0(VALU_DEP_2) | instskip(NEXT) | instid1(VALU_DEP_2)
	v_mul_lo_u32 v5, v5, s21
	v_mul_lo_u32 v6, v6, s23
	s_delay_alu instid0(VALU_DEP_1) | instskip(NEXT) | instid1(VALU_DEP_1)
	v_sub_nc_u32_e32 v5, v5, v6
	v_cmp_lt_u32_e64 s7, s39, v5
	s_and_b32 s46, s7, exec_lo
.LBB1497_23:
	s_or_b32 exec_lo, exec_lo, s8
	v_add_nc_u32_e32 v5, s17, v18
	v_add_nc_u32_e32 v6, s19, v18
	s_mov_b32 s9, exec_lo
	s_delay_alu instid0(VALU_DEP_2) | instskip(NEXT) | instid1(VALU_DEP_2)
	v_mul_lo_u32 v5, v5, s16
	v_mul_lo_u32 v6, v6, s18
	s_delay_alu instid0(VALU_DEP_1) | instskip(NEXT) | instid1(VALU_DEP_1)
	v_sub_nc_u32_e32 v5, v5, v6
	v_cmp_lt_u32_e64 s7, s20, v5
	v_cmpx_ge_u32_e64 s20, v5
	s_cbranch_execz .LBB1497_25
; %bb.24:
	v_add_nc_u32_e32 v5, s22, v18
	v_add_nc_u32_e32 v6, s38, v18
	s_delay_alu instid0(VALU_DEP_2) | instskip(NEXT) | instid1(VALU_DEP_2)
	v_mul_lo_u32 v5, v5, s21
	v_mul_lo_u32 v6, v6, s23
	s_delay_alu instid0(VALU_DEP_1) | instskip(NEXT) | instid1(VALU_DEP_1)
	v_sub_nc_u32_e32 v5, v5, v6
	v_cmp_lt_u32_e64 s8, s39, v5
	s_and_b32 s47, s8, exec_lo
.LBB1497_25:
	s_or_b32 exec_lo, exec_lo, s9
	v_add_nc_u32_e32 v5, s17, v15
	v_add_nc_u32_e32 v6, s19, v15
	s_mov_b32 s50, 0
	s_mov_b32 s49, 0
	s_mov_b32 s10, exec_lo
	v_mul_lo_u32 v5, v5, s16
	v_mul_lo_u32 v6, v6, s18
	s_delay_alu instid0(VALU_DEP_1) | instskip(NEXT) | instid1(VALU_DEP_1)
	v_sub_nc_u32_e32 v5, v5, v6
	v_cmp_lt_u32_e64 s8, s20, v5
	v_cmpx_ge_u32_e64 s20, v5
	s_cbranch_execz .LBB1497_27
; %bb.26:
	v_add_nc_u32_e32 v5, s22, v15
	v_add_nc_u32_e32 v6, s38, v15
	s_delay_alu instid0(VALU_DEP_2) | instskip(NEXT) | instid1(VALU_DEP_2)
	v_mul_lo_u32 v5, v5, s21
	v_mul_lo_u32 v6, v6, s23
	s_delay_alu instid0(VALU_DEP_1) | instskip(NEXT) | instid1(VALU_DEP_1)
	v_sub_nc_u32_e32 v5, v5, v6
	v_cmp_lt_u32_e64 s9, s39, v5
	s_and_b32 s49, s9, exec_lo
.LBB1497_27:
	s_or_b32 exec_lo, exec_lo, s10
	v_add_nc_u32_e32 v5, s17, v16
	v_add_nc_u32_e32 v6, s19, v16
	s_mov_b32 s11, exec_lo
	s_delay_alu instid0(VALU_DEP_2) | instskip(NEXT) | instid1(VALU_DEP_2)
	v_mul_lo_u32 v5, v5, s16
	v_mul_lo_u32 v6, v6, s18
	s_delay_alu instid0(VALU_DEP_1) | instskip(NEXT) | instid1(VALU_DEP_1)
	v_sub_nc_u32_e32 v5, v5, v6
	v_cmp_lt_u32_e64 s9, s20, v5
	v_cmpx_ge_u32_e64 s20, v5
	s_cbranch_execz .LBB1497_29
; %bb.28:
	v_add_nc_u32_e32 v5, s22, v16
	v_add_nc_u32_e32 v6, s38, v16
	s_delay_alu instid0(VALU_DEP_2) | instskip(NEXT) | instid1(VALU_DEP_2)
	v_mul_lo_u32 v5, v5, s21
	v_mul_lo_u32 v6, v6, s23
	s_delay_alu instid0(VALU_DEP_1) | instskip(NEXT) | instid1(VALU_DEP_1)
	v_sub_nc_u32_e32 v5, v5, v6
	v_cmp_lt_u32_e64 s10, s39, v5
	s_and_b32 s50, s10, exec_lo
.LBB1497_29:
	s_or_b32 exec_lo, exec_lo, s11
	v_add_nc_u32_e32 v5, s17, v13
	v_add_nc_u32_e32 v6, s19, v13
	s_mov_b32 s51, 0
	s_mov_b32 s52, 0
	s_mov_b32 s12, exec_lo
	v_mul_lo_u32 v5, v5, s16
	v_mul_lo_u32 v6, v6, s18
	s_delay_alu instid0(VALU_DEP_1) | instskip(NEXT) | instid1(VALU_DEP_1)
	v_sub_nc_u32_e32 v5, v5, v6
	v_cmp_lt_u32_e64 s10, s20, v5
	;; [unrolled: 47-line block ×3, first 2 shown]
	v_cmpx_ge_u32_e64 s20, v5
	s_cbranch_execz .LBB1497_35
; %bb.34:
	v_add_nc_u32_e32 v5, s22, v45
	v_add_nc_u32_e32 v6, s38, v45
	s_delay_alu instid0(VALU_DEP_2) | instskip(NEXT) | instid1(VALU_DEP_2)
	v_mul_lo_u32 v5, v5, s21
	v_mul_lo_u32 v6, v6, s23
	s_delay_alu instid0(VALU_DEP_1) | instskip(NEXT) | instid1(VALU_DEP_1)
	v_sub_nc_u32_e32 v5, v5, v6
	v_cmp_lt_u32_e64 s13, s39, v5
	s_and_b32 s53, s13, exec_lo
.LBB1497_35:
	s_or_b32 exec_lo, exec_lo, s54
	v_cndmask_b32_e64 v6, 0, 1, s0
	v_cndmask_b32_e64 v8, 0, 1, s3
	s_wait_alu 0xfffd
	v_cndmask_b32_e64 v5, 0, 1, vcc_lo
	v_cndmask_b32_e64 v7, 0, 1, s1
	v_cndmask_b32_e64 v10, 0, 1, s5
	v_lshlrev_b16 v6, 8, v6
	v_lshlrev_b16 v8, 8, v8
	s_wait_alu 0xf1ff
	v_cndmask_b32_e64 v12, 0, 1, s7
	v_cndmask_b32_e64 v26, 0, 1, s9
	;; [unrolled: 1-line block ×3, first 2 shown]
	v_or_b32_e32 v5, v5, v6
	v_or_b32_e32 v6, v7, v8
	v_cndmask_b32_e64 v56, 0, 1, s40
	v_cndmask_b32_e64 v9, 0, 1, s4
	;; [unrolled: 1-line block ×3, first 2 shown]
	v_and_b32_e32 v5, 0xffff, v5
	v_lshlrev_b32_e32 v6, 16, v6
	v_cndmask_b32_e64 v25, 0, 1, s8
	v_cndmask_b32_e64 v27, 0, 1, s10
	;; [unrolled: 1-line block ×8, first 2 shown]
	v_or_b32_e32 v47, v5, v6
	v_lshlrev_b16 v5, 8, v10
	v_lshlrev_b16 v6, 8, v12
	;; [unrolled: 1-line block ×5, first 2 shown]
	v_cndmask_b32_e64 v30, 0, 1, s50
	v_cndmask_b32_e64 v49, 0, 1, s47
	;; [unrolled: 1-line block ×5, first 2 shown]
	v_or_b32_e32 v5, v9, v5
	v_or_b32_e32 v6, v11, v6
	;; [unrolled: 1-line block ×5, first 2 shown]
	v_lshlrev_b16 v8, 8, v8
	v_lshlrev_b16 v12, 8, v54
	;; [unrolled: 1-line block ×5, first 2 shown]
	v_or_b32_e32 v8, v55, v8
	v_or_b32_e32 v7, v7, v12
	;; [unrolled: 1-line block ×5, first 2 shown]
	v_and_b32_e32 v5, 0xffff, v5
	v_lshlrev_b32_e32 v6, 16, v6
	v_and_b32_e32 v9, 0xffff, v9
	v_lshlrev_b32_e32 v10, 16, v10
	;; [unrolled: 2-line block ×5, first 2 shown]
	v_cndmask_b32_e64 v50, 0, 1, s51
	v_cndmask_b32_e64 v53, 0, 1, s53
	v_or_b32_e32 v49, v5, v6
	v_or_b32_e32 v52, v9, v10
	;; [unrolled: 1-line block ×5, first 2 shown]
	s_and_b32 vcc_lo, exec_lo, s48
	s_wait_alu 0xfffe
	s_cbranch_vccnz .LBB1497_37
	s_branch .LBB1497_114
.LBB1497_36:
                                        ; implicit-def: $vgpr53
                                        ; implicit-def: $vgpr50
                                        ; implicit-def: $vgpr51
                                        ; implicit-def: $vgpr48
                                        ; implicit-def: $vgpr54
                                        ; implicit-def: $vgpr52
                                        ; implicit-def: $vgpr49
                                        ; implicit-def: $vgpr47
	s_cbranch_execz .LBB1497_114
.LBB1497_37:
	v_dual_mov_b32 v6, 0 :: v_dual_mov_b32 v5, 0
	s_mov_b32 s1, exec_lo
	v_cmpx_gt_u32_e64 s27, v46
	s_cbranch_execz .LBB1497_41
; %bb.38:
	v_add_nc_u32_e32 v5, s17, v23
	v_add_nc_u32_e32 v6, s19, v23
	s_mov_b32 s4, 0
	s_mov_b32 s3, exec_lo
	s_delay_alu instid0(VALU_DEP_2) | instskip(NEXT) | instid1(VALU_DEP_2)
	v_mul_lo_u32 v5, v5, s16
	v_mul_lo_u32 v6, v6, s18
	s_delay_alu instid0(VALU_DEP_1) | instskip(NEXT) | instid1(VALU_DEP_1)
	v_sub_nc_u32_e32 v5, v5, v6
	v_cmp_lt_u32_e32 vcc_lo, s20, v5
	v_cmpx_ge_u32_e64 s20, v5
	s_cbranch_execz .LBB1497_40
; %bb.39:
	v_add_nc_u32_e32 v5, s22, v23
	v_add_nc_u32_e32 v6, s38, v23
	s_delay_alu instid0(VALU_DEP_2) | instskip(NEXT) | instid1(VALU_DEP_2)
	v_mul_lo_u32 v5, v5, s21
	v_mul_lo_u32 v6, v6, s23
	s_delay_alu instid0(VALU_DEP_1) | instskip(NEXT) | instid1(VALU_DEP_1)
	v_sub_nc_u32_e32 v5, v5, v6
	v_cmp_lt_u32_e64 s0, s39, v5
	s_and_b32 s4, s0, exec_lo
.LBB1497_40:
	s_wait_alu 0xfffe
	s_or_b32 exec_lo, exec_lo, s3
	v_cndmask_b32_e64 v6, 0, 1, s4
	s_wait_alu 0xfffd
	v_cndmask_b32_e64 v5, 0, 1, vcc_lo
.LBB1497_41:
	s_wait_alu 0xfffe
	s_or_b32 exec_lo, exec_lo, s1
	v_lshlrev_b16 v6, 8, v6
	v_add_nc_u32_e32 v7, 1, v46
	v_and_b32_e32 v10, 0xff, v5
	v_lshlrev_b16 v5, 8, 0
                                        ; implicit-def: $vgpr9
                                        ; implicit-def: $vgpr12
                                        ; implicit-def: $vgpr8
	s_delay_alu instid0(VALU_DEP_4) | instskip(NEXT) | instid1(VALU_DEP_4)
	v_and_b32_e32 v6, 0xffff, v6
	v_cmp_le_u32_e32 vcc_lo, s27, v7
                                        ; implicit-def: $vgpr7
	s_delay_alu instid0(VALU_DEP_2)
	v_lshrrev_b32_e32 v25, 8, v6
	v_and_b32_e32 v11, 0xff, v6
                                        ; implicit-def: $vgpr6
	s_and_saveexec_b32 s0, vcc_lo
	s_wait_alu 0xfffe
	s_xor_b32 s0, exec_lo, s0
	s_cbranch_execz .LBB1497_43
; %bb.42:
	v_lshlrev_b16 v6, 8, v25
	v_and_b32_e32 v8, 0xffff, v5
                                        ; implicit-def: $vgpr25
	v_mov_b32_e32 v9, 0
	s_delay_alu instid0(VALU_DEP_3) | instskip(SKIP_1) | instid1(VALU_DEP_2)
	v_or_b32_e32 v7, v11, v6
	v_mov_b32_e32 v6, 0
                                        ; implicit-def: $vgpr11
	v_and_b32_e32 v12, 0xffff, v7
	v_and_b32_e32 v7, 0xffff, v5
                                        ; implicit-def: $vgpr5
.LBB1497_43:
	s_wait_alu 0xfffe
	s_and_not1_saveexec_b32 s1, s0
	s_cbranch_execz .LBB1497_47
; %bb.44:
	v_add_nc_u32_e32 v6, s17, v24
	v_add_nc_u32_e32 v7, s19, v24
	s_mov_b32 s3, 0
	s_mov_b32 s4, exec_lo
	s_delay_alu instid0(VALU_DEP_2) | instskip(NEXT) | instid1(VALU_DEP_2)
	v_mul_lo_u32 v6, v6, s16
	v_mul_lo_u32 v7, v7, s18
	s_delay_alu instid0(VALU_DEP_1) | instskip(NEXT) | instid1(VALU_DEP_1)
	v_sub_nc_u32_e32 v6, v6, v7
	v_cmp_lt_u32_e32 vcc_lo, s20, v6
	v_cmpx_ge_u32_e64 s20, v6
	s_cbranch_execz .LBB1497_46
; %bb.45:
	v_add_nc_u32_e32 v6, s22, v24
	v_add_nc_u32_e32 v7, s38, v24
	s_delay_alu instid0(VALU_DEP_2) | instskip(NEXT) | instid1(VALU_DEP_2)
	v_mul_lo_u32 v6, v6, s21
	v_mul_lo_u32 v7, v7, s23
	s_delay_alu instid0(VALU_DEP_1) | instskip(NEXT) | instid1(VALU_DEP_1)
	v_sub_nc_u32_e32 v6, v6, v7
	v_cmp_lt_u32_e64 s0, s39, v6
	s_and_b32 s3, s0, exec_lo
.LBB1497_46:
	s_wait_alu 0xfffe
	s_or_b32 exec_lo, exec_lo, s4
	s_wait_alu 0xfffd
	v_cndmask_b32_e64 v6, 0, 1, vcc_lo
	v_lshlrev_b16 v7, 8, v25
	v_dual_mov_b32 v9, 0 :: v_dual_and_b32 v8, 0xffff, v5
	s_delay_alu instid0(VALU_DEP_3) | instskip(NEXT) | instid1(VALU_DEP_3)
	v_lshlrev_b16 v6, 8, v6
	v_or_b32_e32 v7, v11, v7
	v_cndmask_b32_e64 v11, 0, 1, s3
	s_delay_alu instid0(VALU_DEP_3) | instskip(NEXT) | instid1(VALU_DEP_3)
	v_or_b32_e32 v10, v10, v6
	v_dual_mov_b32 v6, 0 :: v_dual_and_b32 v7, 0xffff, v7
	s_delay_alu instid0(VALU_DEP_2) | instskip(NEXT) | instid1(VALU_DEP_2)
	v_and_b32_e32 v10, 0xffff, v10
	v_lshl_or_b32 v12, v11, 16, v7
	v_and_b32_e32 v7, 0xffff, v5
.LBB1497_47:
	s_wait_alu 0xfffe
	s_or_b32 exec_lo, exec_lo, s1
	v_add_nc_u32_e32 v5, 2, v46
	v_and_b32_e32 v25, 0xff, v10
	v_lshrrev_b32_e32 v26, 8, v10
                                        ; implicit-def: $vgpr11
	s_delay_alu instid0(VALU_DEP_3)
	v_cmp_le_u32_e32 vcc_lo, s27, v5
                                        ; implicit-def: $vgpr5
	s_and_saveexec_b32 s0, vcc_lo
	s_wait_alu 0xfffe
	s_xor_b32 s0, exec_lo, s0
	s_cbranch_execz .LBB1497_49
; %bb.48:
	v_lshlrev_b16 v5, 8, v26
	v_perm_b32 v8, v8, v8, 0x3060504
                                        ; implicit-def: $vgpr26
	s_delay_alu instid0(VALU_DEP_2) | instskip(SKIP_1) | instid1(VALU_DEP_2)
	v_or_b32_e32 v5, v25, v5
	v_and_b32_e32 v25, 0xff0000, v12
	v_and_b32_e32 v5, 0xffff, v5
	s_delay_alu instid0(VALU_DEP_1) | instskip(NEXT) | instid1(VALU_DEP_3)
	v_and_or_b32 v11, 0xff000000, v10, v5
	v_perm_b32 v5, v12, v25, 0x3020504
                                        ; implicit-def: $vgpr25
                                        ; implicit-def: $vgpr10
                                        ; implicit-def: $vgpr12
.LBB1497_49:
	s_wait_alu 0xfffe
	s_and_not1_saveexec_b32 s1, s0
	s_cbranch_execz .LBB1497_53
; %bb.50:
	v_add_nc_u32_e32 v5, s17, v21
	v_add_nc_u32_e32 v11, s19, v21
	s_mov_b32 s3, 0
	s_mov_b32 s4, exec_lo
	s_delay_alu instid0(VALU_DEP_2) | instskip(NEXT) | instid1(VALU_DEP_2)
	v_mul_lo_u32 v5, v5, s16
	v_mul_lo_u32 v11, v11, s18
	s_delay_alu instid0(VALU_DEP_1) | instskip(NEXT) | instid1(VALU_DEP_1)
	v_sub_nc_u32_e32 v5, v5, v11
	v_cmp_lt_u32_e32 vcc_lo, s20, v5
	v_cmpx_ge_u32_e64 s20, v5
	s_cbranch_execz .LBB1497_52
; %bb.51:
	v_add_nc_u32_e32 v5, s22, v21
	v_add_nc_u32_e32 v11, s38, v21
	s_delay_alu instid0(VALU_DEP_2) | instskip(NEXT) | instid1(VALU_DEP_2)
	v_mul_lo_u32 v5, v5, s21
	v_mul_lo_u32 v11, v11, s23
	s_delay_alu instid0(VALU_DEP_1) | instskip(NEXT) | instid1(VALU_DEP_1)
	v_sub_nc_u32_e32 v5, v5, v11
	v_cmp_lt_u32_e64 s0, s39, v5
	s_and_b32 s3, s0, exec_lo
.LBB1497_52:
	s_wait_alu 0xfffe
	s_or_b32 exec_lo, exec_lo, s4
	v_lshrrev_b32_e32 v10, 24, v10
	v_cndmask_b32_e64 v11, 0, 1, s3
	v_lshrrev_b32_e32 v27, 8, v12
	v_lshrrev_b32_e32 v28, 16, v12
	s_wait_alu 0xfffd
	v_cndmask_b32_e64 v5, 0, 1, vcc_lo
	v_lshlrev_b16 v26, 8, v26
	v_lshlrev_b16 v10, 8, v10
	v_and_b32_e32 v12, 0xff, v12
	v_lshlrev_b16 v27, 8, v27
	v_lshlrev_b16 v11, 8, v11
	v_and_b32_e32 v28, 0xff, v28
	v_or_b32_e32 v25, v25, v26
	v_or_b32_e32 v5, v5, v10
	;; [unrolled: 1-line block ×3, first 2 shown]
	s_delay_alu instid0(VALU_DEP_4) | instskip(NEXT) | instid1(VALU_DEP_4)
	v_or_b32_e32 v11, v28, v11
	v_and_b32_e32 v12, 0xffff, v25
	s_delay_alu instid0(VALU_DEP_4) | instskip(NEXT) | instid1(VALU_DEP_4)
	v_lshlrev_b32_e32 v5, 16, v5
	v_and_b32_e32 v10, 0xffff, v10
	s_delay_alu instid0(VALU_DEP_4) | instskip(NEXT) | instid1(VALU_DEP_3)
	v_lshlrev_b32_e32 v25, 16, v11
	v_or_b32_e32 v11, v12, v5
	s_delay_alu instid0(VALU_DEP_2)
	v_or_b32_e32 v5, v10, v25
.LBB1497_53:
	s_wait_alu 0xfffe
	s_or_b32 exec_lo, exec_lo, s1
	v_add_nc_u32_e32 v10, 3, v46
	v_lshrrev_b32_e32 v12, 24, v9
	v_lshrrev_b32_e32 v25, 16, v9
	;; [unrolled: 1-line block ×3, first 2 shown]
                                        ; implicit-def: $vgpr47
	s_delay_alu instid0(VALU_DEP_4)
	v_cmp_le_u32_e32 vcc_lo, s27, v10
                                        ; implicit-def: $vgpr10
	s_and_saveexec_b32 s0, vcc_lo
	s_wait_alu 0xfffe
	s_xor_b32 s0, exec_lo, s0
	s_cbranch_execz .LBB1497_55
; %bb.54:
	v_lshlrev_b16 v10, 8, v12
	v_and_b32_e32 v12, 0xff, v25
	v_lshlrev_b16 v9, 8, v9
	v_perm_b32 v8, v8, v8, 0x3060504
	v_perm_b32 v7, v7, v7, 0x3060504
                                        ; implicit-def: $vgpr25
	s_delay_alu instid0(VALU_DEP_4) | instskip(SKIP_2) | instid1(VALU_DEP_3)
	v_or_b32_e32 v10, v12, v10
	v_and_b32_e32 v12, 0xff0000, v11
	v_and_b32_e32 v9, 0xffff, v9
	v_lshlrev_b32_e32 v10, 16, v10
	s_delay_alu instid0(VALU_DEP_3) | instskip(NEXT) | instid1(VALU_DEP_2)
	v_perm_b32 v47, v11, v12, 0x3020504
                                        ; implicit-def: $vgpr11
                                        ; implicit-def: $vgpr12
	v_or_b32_e32 v10, v9, v10
                                        ; implicit-def: $vgpr9
.LBB1497_55:
	s_wait_alu 0xfffe
	s_and_not1_saveexec_b32 s1, s0
	s_cbranch_execz .LBB1497_59
; %bb.56:
	v_add_nc_u32_e32 v10, s17, v22
	v_add_nc_u32_e32 v26, s19, v22
	s_mov_b32 s3, 0
	s_mov_b32 s4, exec_lo
	s_delay_alu instid0(VALU_DEP_2) | instskip(NEXT) | instid1(VALU_DEP_2)
	v_mul_lo_u32 v10, v10, s16
	v_mul_lo_u32 v26, v26, s18
	s_delay_alu instid0(VALU_DEP_1) | instskip(NEXT) | instid1(VALU_DEP_1)
	v_sub_nc_u32_e32 v10, v10, v26
	v_cmp_lt_u32_e32 vcc_lo, s20, v10
	v_cmpx_ge_u32_e64 s20, v10
	s_cbranch_execz .LBB1497_58
; %bb.57:
	v_add_nc_u32_e32 v10, s22, v22
	v_add_nc_u32_e32 v26, s38, v22
	s_delay_alu instid0(VALU_DEP_2) | instskip(NEXT) | instid1(VALU_DEP_2)
	v_mul_lo_u32 v10, v10, s21
	v_mul_lo_u32 v26, v26, s23
	s_delay_alu instid0(VALU_DEP_1) | instskip(NEXT) | instid1(VALU_DEP_1)
	v_sub_nc_u32_e32 v10, v10, v26
	v_cmp_lt_u32_e64 s0, s39, v10
	s_and_b32 s3, s0, exec_lo
.LBB1497_58:
	s_wait_alu 0xfffe
	s_or_b32 exec_lo, exec_lo, s4
	v_lshrrev_b32_e32 v10, 8, v11
	s_wait_alu 0xfffd
	v_cndmask_b32_e64 v26, 0, 1, vcc_lo
	v_lshrrev_b32_e32 v27, 16, v11
	v_cndmask_b32_e64 v28, 0, 1, s3
	v_and_b32_e32 v11, 0xff, v11
	v_lshlrev_b16 v10, 8, v10
	v_lshlrev_b16 v26, 8, v26
	v_and_b32_e32 v27, 0xff, v27
	v_lshlrev_b16 v12, 8, v12
	v_and_b32_e32 v25, 0xff, v25
	v_lshlrev_b16 v9, 8, v9
	v_or_b32_e32 v10, v11, v10
	v_or_b32_e32 v11, v27, v26
	s_delay_alu instid0(VALU_DEP_4) | instskip(NEXT) | instid1(VALU_DEP_4)
	v_or_b32_e32 v12, v25, v12
	v_or_b32_e32 v9, v28, v9
	s_delay_alu instid0(VALU_DEP_4) | instskip(NEXT) | instid1(VALU_DEP_4)
	v_and_b32_e32 v10, 0xffff, v10
	v_lshlrev_b32_e32 v11, 16, v11
	s_delay_alu instid0(VALU_DEP_4) | instskip(NEXT) | instid1(VALU_DEP_4)
	v_lshlrev_b32_e32 v12, 16, v12
	v_and_b32_e32 v9, 0xffff, v9
	s_delay_alu instid0(VALU_DEP_3) | instskip(NEXT) | instid1(VALU_DEP_2)
	v_or_b32_e32 v47, v10, v11
	v_or_b32_e32 v10, v9, v12
.LBB1497_59:
	s_wait_alu 0xfffe
	s_or_b32 exec_lo, exec_lo, s1
	v_add_nc_u32_e32 v9, 4, v46
	v_lshrrev_b32_e32 v25, 8, v8
	v_lshrrev_b32_e32 v26, 16, v8
	;; [unrolled: 1-line block ×4, first 2 shown]
	v_cmp_le_u32_e32 vcc_lo, s27, v9
	v_lshrrev_b32_e32 v12, 16, v10
                                        ; implicit-def: $vgpr8
                                        ; implicit-def: $vgpr9
	s_and_saveexec_b32 s0, vcc_lo
	s_wait_alu 0xfffe
	s_xor_b32 s0, exec_lo, s0
	s_cbranch_execz .LBB1497_61
; %bb.60:
	v_lshlrev_b16 v8, 8, v27
	v_and_b32_e32 v9, 0xff, v26
	v_lshlrev_b16 v25, 8, v25
	v_lshlrev_b16 v11, 8, v11
	v_and_b32_e32 v12, 0xff, v12
	v_perm_b32 v7, v7, v7, 0x3060504
	v_or_b32_e32 v8, v9, v8
	v_and_b32_e32 v9, 0xffff, v25
                                        ; implicit-def: $vgpr25
                                        ; implicit-def: $vgpr26
                                        ; implicit-def: $vgpr27
	s_delay_alu instid0(VALU_DEP_4) | instskip(NEXT) | instid1(VALU_DEP_3)
	v_or_b32_e32 v11, v12, v11
	v_lshlrev_b32_e32 v12, 16, v8
	s_delay_alu instid0(VALU_DEP_2) | instskip(NEXT) | instid1(VALU_DEP_2)
	v_perm_b32 v8, v11, v10, 0x5040c00
                                        ; implicit-def: $vgpr10
                                        ; implicit-def: $vgpr11
	v_or_b32_e32 v9, v9, v12
                                        ; implicit-def: $vgpr12
.LBB1497_61:
	s_wait_alu 0xfffe
	s_and_not1_saveexec_b32 s1, s0
	s_cbranch_execz .LBB1497_65
; %bb.62:
	v_add_nc_u32_e32 v8, s17, v19
	v_add_nc_u32_e32 v9, s19, v19
	s_mov_b32 s3, 0
	s_mov_b32 s4, exec_lo
	s_delay_alu instid0(VALU_DEP_2) | instskip(NEXT) | instid1(VALU_DEP_2)
	v_mul_lo_u32 v8, v8, s16
	v_mul_lo_u32 v9, v9, s18
	s_delay_alu instid0(VALU_DEP_1) | instskip(NEXT) | instid1(VALU_DEP_1)
	v_sub_nc_u32_e32 v8, v8, v9
	v_cmp_lt_u32_e32 vcc_lo, s20, v8
	v_cmpx_ge_u32_e64 s20, v8
	s_cbranch_execz .LBB1497_64
; %bb.63:
	v_add_nc_u32_e32 v8, s22, v19
	v_add_nc_u32_e32 v9, s38, v19
	s_delay_alu instid0(VALU_DEP_2) | instskip(NEXT) | instid1(VALU_DEP_2)
	v_mul_lo_u32 v8, v8, s21
	v_mul_lo_u32 v9, v9, s23
	s_delay_alu instid0(VALU_DEP_1) | instskip(NEXT) | instid1(VALU_DEP_1)
	v_sub_nc_u32_e32 v8, v8, v9
	v_cmp_lt_u32_e64 s0, s39, v8
	s_and_b32 s3, s0, exec_lo
.LBB1497_64:
	s_wait_alu 0xfffe
	s_or_b32 exec_lo, exec_lo, s4
	v_cndmask_b32_e64 v8, 0, 1, s3
	s_wait_alu 0xfffd
	v_cndmask_b32_e64 v9, 0, 1, vcc_lo
	v_lshlrev_b16 v27, 8, v27
	v_and_b32_e32 v26, 0xff, v26
	v_lshlrev_b16 v25, 8, v25
	v_lshlrev_b16 v8, 8, v8
	v_and_b32_e32 v10, 0xff, v10
	v_lshlrev_b16 v11, 8, v11
	v_and_b32_e32 v12, 0xff, v12
	v_or_b32_e32 v26, v26, v27
	v_or_b32_e32 v9, v9, v25
	;; [unrolled: 1-line block ×3, first 2 shown]
	s_delay_alu instid0(VALU_DEP_4) | instskip(NEXT) | instid1(VALU_DEP_4)
	v_or_b32_e32 v10, v12, v11
	v_lshlrev_b32_e32 v11, 16, v26
	s_delay_alu instid0(VALU_DEP_4) | instskip(NEXT) | instid1(VALU_DEP_4)
	v_and_b32_e32 v9, 0xffff, v9
	v_and_b32_e32 v8, 0xffff, v8
	s_delay_alu instid0(VALU_DEP_4) | instskip(NEXT) | instid1(VALU_DEP_3)
	v_lshlrev_b32_e32 v10, 16, v10
	v_or_b32_e32 v9, v9, v11
	s_delay_alu instid0(VALU_DEP_2)
	v_or_b32_e32 v8, v8, v10
.LBB1497_65:
	s_wait_alu 0xfffe
	s_or_b32 exec_lo, exec_lo, s1
	v_add_nc_u32_e32 v10, 5, v46
	v_lshrrev_b32_e32 v25, 16, v9
	v_lshrrev_b32_e32 v27, 24, v9
	v_and_b32_e32 v12, 0xff, v8
	v_lshrrev_b32_e32 v26, 8, v8
	v_cmp_le_u32_e32 vcc_lo, s27, v10
                                        ; implicit-def: $vgpr10
                                        ; implicit-def: $vgpr11
	s_and_saveexec_b32 s0, vcc_lo
	s_wait_alu 0xfffe
	s_xor_b32 s0, exec_lo, s0
	s_cbranch_execz .LBB1497_67
; %bb.66:
	v_lshlrev_b16 v10, 8, v26
	v_lshlrev_b16 v11, 8, v27
	v_and_b32_e32 v25, 0xff, v25
	v_perm_b32 v7, v7, v7, 0x3060504
                                        ; implicit-def: $vgpr27
                                        ; implicit-def: $vgpr26
	s_delay_alu instid0(VALU_DEP_4) | instskip(NEXT) | instid1(VALU_DEP_3)
	v_or_b32_e32 v10, v12, v10
                                        ; implicit-def: $vgpr12
	v_or_b32_e32 v11, v25, v11
                                        ; implicit-def: $vgpr25
	s_delay_alu instid0(VALU_DEP_2) | instskip(NEXT) | instid1(VALU_DEP_2)
	v_and_b32_e32 v10, 0xffff, v10
	v_perm_b32 v11, v11, v9, 0x5040c00
                                        ; implicit-def: $vgpr9
	s_delay_alu instid0(VALU_DEP_2)
	v_and_or_b32 v10, 0xff000000, v8, v10
                                        ; implicit-def: $vgpr8
.LBB1497_67:
	s_wait_alu 0xfffe
	s_and_not1_saveexec_b32 s1, s0
	s_cbranch_execz .LBB1497_71
; %bb.68:
	v_add_nc_u32_e32 v10, s17, v20
	v_add_nc_u32_e32 v11, s19, v20
	s_mov_b32 s3, 0
	s_mov_b32 s4, exec_lo
	s_delay_alu instid0(VALU_DEP_2) | instskip(NEXT) | instid1(VALU_DEP_2)
	v_mul_lo_u32 v10, v10, s16
	v_mul_lo_u32 v11, v11, s18
	s_delay_alu instid0(VALU_DEP_1) | instskip(NEXT) | instid1(VALU_DEP_1)
	v_sub_nc_u32_e32 v10, v10, v11
	v_cmp_lt_u32_e32 vcc_lo, s20, v10
	v_cmpx_ge_u32_e64 s20, v10
	s_cbranch_execz .LBB1497_70
; %bb.69:
	v_add_nc_u32_e32 v10, s22, v20
	v_add_nc_u32_e32 v11, s38, v20
	s_delay_alu instid0(VALU_DEP_2) | instskip(NEXT) | instid1(VALU_DEP_2)
	v_mul_lo_u32 v10, v10, s21
	v_mul_lo_u32 v11, v11, s23
	s_delay_alu instid0(VALU_DEP_1) | instskip(NEXT) | instid1(VALU_DEP_1)
	v_sub_nc_u32_e32 v10, v10, v11
	v_cmp_lt_u32_e64 s0, s39, v10
	s_and_b32 s3, s0, exec_lo
.LBB1497_70:
	s_wait_alu 0xfffe
	s_or_b32 exec_lo, exec_lo, s4
	s_wait_alu 0xfffd
	v_cndmask_b32_e64 v10, 0, 1, vcc_lo
	v_lshrrev_b32_e32 v8, 24, v8
	v_cndmask_b32_e64 v11, 0, 1, s3
	v_lshlrev_b16 v27, 8, v27
	v_and_b32_e32 v25, 0xff, v25
	v_lshlrev_b16 v10, 8, v10
	v_lshlrev_b16 v26, 8, v26
	v_and_b32_e32 v9, 0xff, v9
	v_lshlrev_b16 v8, 8, v8
	v_or_b32_e32 v25, v25, v27
	s_delay_alu instid0(VALU_DEP_4) | instskip(NEXT) | instid1(VALU_DEP_4)
	v_or_b32_e32 v12, v12, v26
	v_or_b32_e32 v9, v9, v10
	s_delay_alu instid0(VALU_DEP_4) | instskip(NEXT) | instid1(VALU_DEP_4)
	v_or_b32_e32 v8, v11, v8
	v_lshlrev_b32_e32 v10, 16, v25
	s_delay_alu instid0(VALU_DEP_4) | instskip(NEXT) | instid1(VALU_DEP_4)
	v_and_b32_e32 v12, 0xffff, v12
	v_and_b32_e32 v9, 0xffff, v9
	s_delay_alu instid0(VALU_DEP_4) | instskip(NEXT) | instid1(VALU_DEP_2)
	v_lshlrev_b32_e32 v8, 16, v8
	v_or_b32_e32 v11, v9, v10
	s_delay_alu instid0(VALU_DEP_2)
	v_or_b32_e32 v10, v12, v8
.LBB1497_71:
	s_wait_alu 0xfffe
	s_or_b32 exec_lo, exec_lo, s1
	v_add_nc_u32_e32 v8, 6, v46
	v_lshrrev_b32_e32 v12, 8, v11
                                        ; implicit-def: $vgpr48
                                        ; implicit-def: $vgpr9
	s_delay_alu instid0(VALU_DEP_2)
	v_cmp_le_u32_e32 vcc_lo, s27, v8
	v_and_b32_e32 v8, 0xff, v11
	s_and_saveexec_b32 s0, vcc_lo
	s_wait_alu 0xfffe
	s_xor_b32 s0, exec_lo, s0
	s_cbranch_execz .LBB1497_73
; %bb.72:
	v_lshlrev_b16 v9, 8, v12
	v_perm_b32 v7, v7, v7, 0x3060504
                                        ; implicit-def: $vgpr12
	s_delay_alu instid0(VALU_DEP_2) | instskip(SKIP_1) | instid1(VALU_DEP_2)
	v_or_b32_e32 v8, v8, v9
	v_and_b32_e32 v9, 0xff0000, v10
	v_and_b32_e32 v8, 0xffff, v8
	s_delay_alu instid0(VALU_DEP_2) | instskip(NEXT) | instid1(VALU_DEP_2)
	v_perm_b32 v48, v10, v9, 0x3020504
                                        ; implicit-def: $vgpr10
	v_and_or_b32 v9, 0xff000000, v11, v8
                                        ; implicit-def: $vgpr8
                                        ; implicit-def: $vgpr11
.LBB1497_73:
	s_wait_alu 0xfffe
	s_and_not1_saveexec_b32 s1, s0
	s_cbranch_execz .LBB1497_77
; %bb.74:
	v_add_nc_u32_e32 v9, s17, v17
	v_add_nc_u32_e32 v25, s19, v17
	s_mov_b32 s3, 0
	s_mov_b32 s4, exec_lo
	s_delay_alu instid0(VALU_DEP_2) | instskip(NEXT) | instid1(VALU_DEP_2)
	v_mul_lo_u32 v9, v9, s16
	v_mul_lo_u32 v25, v25, s18
	s_delay_alu instid0(VALU_DEP_1) | instskip(NEXT) | instid1(VALU_DEP_1)
	v_sub_nc_u32_e32 v9, v9, v25
	v_cmp_lt_u32_e32 vcc_lo, s20, v9
	v_cmpx_ge_u32_e64 s20, v9
	s_cbranch_execz .LBB1497_76
; %bb.75:
	v_add_nc_u32_e32 v9, s22, v17
	v_add_nc_u32_e32 v25, s38, v17
	s_delay_alu instid0(VALU_DEP_2) | instskip(NEXT) | instid1(VALU_DEP_2)
	v_mul_lo_u32 v9, v9, s21
	v_mul_lo_u32 v25, v25, s23
	s_delay_alu instid0(VALU_DEP_1) | instskip(NEXT) | instid1(VALU_DEP_1)
	v_sub_nc_u32_e32 v9, v9, v25
	v_cmp_lt_u32_e64 s0, s39, v9
	s_and_b32 s3, s0, exec_lo
.LBB1497_76:
	s_wait_alu 0xfffe
	s_or_b32 exec_lo, exec_lo, s4
	v_lshrrev_b32_e32 v11, 24, v11
	v_cndmask_b32_e64 v25, 0, 1, s3
	v_lshrrev_b32_e32 v26, 8, v10
	v_lshrrev_b32_e32 v27, 16, v10
	s_wait_alu 0xfffd
	v_cndmask_b32_e64 v9, 0, 1, vcc_lo
	v_lshlrev_b16 v12, 8, v12
	v_lshlrev_b16 v11, 8, v11
	v_and_b32_e32 v10, 0xff, v10
	v_lshlrev_b16 v26, 8, v26
	v_lshlrev_b16 v25, 8, v25
	v_and_b32_e32 v27, 0xff, v27
	v_or_b32_e32 v8, v8, v12
	v_or_b32_e32 v9, v9, v11
	;; [unrolled: 1-line block ×3, first 2 shown]
	s_delay_alu instid0(VALU_DEP_4) | instskip(NEXT) | instid1(VALU_DEP_4)
	v_or_b32_e32 v11, v27, v25
	v_and_b32_e32 v8, 0xffff, v8
	s_delay_alu instid0(VALU_DEP_4) | instskip(NEXT) | instid1(VALU_DEP_4)
	v_lshlrev_b32_e32 v9, 16, v9
	v_and_b32_e32 v10, 0xffff, v10
	s_delay_alu instid0(VALU_DEP_4) | instskip(NEXT) | instid1(VALU_DEP_3)
	v_lshlrev_b32_e32 v11, 16, v11
	v_or_b32_e32 v9, v8, v9
	s_delay_alu instid0(VALU_DEP_2)
	v_or_b32_e32 v48, v10, v11
.LBB1497_77:
	s_wait_alu 0xfffe
	s_or_b32 exec_lo, exec_lo, s1
	v_add_nc_u32_e32 v8, 7, v46
	v_lshrrev_b32_e32 v10, 8, v7
	v_lshrrev_b32_e32 v11, 16, v7
	;; [unrolled: 1-line block ×3, first 2 shown]
                                        ; implicit-def: $vgpr49
	s_delay_alu instid0(VALU_DEP_4)
	v_cmp_le_u32_e32 vcc_lo, s27, v8
                                        ; implicit-def: $vgpr8
	s_and_saveexec_b32 s0, vcc_lo
	s_wait_alu 0xfffe
	s_xor_b32 s0, exec_lo, s0
	s_cbranch_execz .LBB1497_79
; %bb.78:
	v_lshlrev_b16 v7, 8, v7
	v_and_b32_e32 v8, 0xff, v11
                                        ; implicit-def: $vgpr11
	s_delay_alu instid0(VALU_DEP_1) | instskip(SKIP_2) | instid1(VALU_DEP_3)
	v_or_b32_e32 v7, v8, v7
	v_lshlrev_b16 v8, 8, v10
	v_and_b32_e32 v10, 0xff0000, v9
	v_lshlrev_b32_e32 v7, 16, v7
	s_delay_alu instid0(VALU_DEP_3) | instskip(NEXT) | instid1(VALU_DEP_3)
	v_and_b32_e32 v8, 0xffff, v8
	v_perm_b32 v49, v9, v10, 0x3020504
                                        ; implicit-def: $vgpr9
                                        ; implicit-def: $vgpr10
	s_delay_alu instid0(VALU_DEP_2)
	v_or_b32_e32 v8, v8, v7
                                        ; implicit-def: $vgpr7
.LBB1497_79:
	s_wait_alu 0xfffe
	s_and_not1_saveexec_b32 s1, s0
	s_cbranch_execz .LBB1497_83
; %bb.80:
	v_add_nc_u32_e32 v8, s17, v18
	v_add_nc_u32_e32 v12, s19, v18
	s_mov_b32 s3, 0
	s_mov_b32 s4, exec_lo
	s_delay_alu instid0(VALU_DEP_2) | instskip(NEXT) | instid1(VALU_DEP_2)
	v_mul_lo_u32 v8, v8, s16
	v_mul_lo_u32 v12, v12, s18
	s_delay_alu instid0(VALU_DEP_1) | instskip(NEXT) | instid1(VALU_DEP_1)
	v_sub_nc_u32_e32 v8, v8, v12
	v_cmp_lt_u32_e32 vcc_lo, s20, v8
	v_cmpx_ge_u32_e64 s20, v8
	s_cbranch_execz .LBB1497_82
; %bb.81:
	v_add_nc_u32_e32 v8, s22, v18
	v_add_nc_u32_e32 v12, s38, v18
	s_delay_alu instid0(VALU_DEP_2) | instskip(NEXT) | instid1(VALU_DEP_2)
	v_mul_lo_u32 v8, v8, s21
	v_mul_lo_u32 v12, v12, s23
	s_delay_alu instid0(VALU_DEP_1) | instskip(NEXT) | instid1(VALU_DEP_1)
	v_sub_nc_u32_e32 v8, v8, v12
	v_cmp_lt_u32_e64 s0, s39, v8
	s_and_b32 s3, s0, exec_lo
.LBB1497_82:
	s_wait_alu 0xfffe
	s_or_b32 exec_lo, exec_lo, s4
	v_lshrrev_b32_e32 v8, 8, v9
	s_wait_alu 0xfffd
	v_cndmask_b32_e64 v12, 0, 1, vcc_lo
	v_lshrrev_b32_e32 v25, 16, v9
	v_cndmask_b32_e64 v26, 0, 1, s3
	v_and_b32_e32 v9, 0xff, v9
	v_lshlrev_b16 v8, 8, v8
	v_lshlrev_b16 v12, 8, v12
	v_and_b32_e32 v25, 0xff, v25
	v_lshlrev_b16 v7, 8, v7
	v_and_b32_e32 v11, 0xff, v11
	v_lshlrev_b16 v10, 8, v10
	v_or_b32_e32 v8, v9, v8
	v_or_b32_e32 v9, v25, v12
	s_delay_alu instid0(VALU_DEP_4) | instskip(NEXT) | instid1(VALU_DEP_4)
	v_or_b32_e32 v7, v11, v7
	v_or_b32_e32 v10, v26, v10
	s_delay_alu instid0(VALU_DEP_4) | instskip(NEXT) | instid1(VALU_DEP_4)
	v_and_b32_e32 v8, 0xffff, v8
	v_lshlrev_b32_e32 v9, 16, v9
	s_delay_alu instid0(VALU_DEP_4) | instskip(NEXT) | instid1(VALU_DEP_4)
	v_lshlrev_b32_e32 v7, 16, v7
	v_and_b32_e32 v10, 0xffff, v10
	s_delay_alu instid0(VALU_DEP_3) | instskip(NEXT) | instid1(VALU_DEP_2)
	v_or_b32_e32 v49, v8, v9
	v_or_b32_e32 v8, v10, v7
.LBB1497_83:
	s_wait_alu 0xfffe
	s_or_b32 exec_lo, exec_lo, s1
	v_add_nc_u32_e32 v7, 8, v46
	s_delay_alu instid0(VALU_DEP_2)
	v_lshrrev_b32_e32 v9, 16, v8
	v_lshrrev_b32_e32 v10, 24, v8
	v_lshrrev_b32_e32 v12, 24, v6
	v_lshrrev_b32_e32 v25, 16, v6
	v_cmp_le_u32_e32 vcc_lo, s27, v7
	v_lshrrev_b32_e32 v11, 8, v6
                                        ; implicit-def: $vgpr6
                                        ; implicit-def: $vgpr7
	s_and_saveexec_b32 s0, vcc_lo
	s_wait_alu 0xfffe
	s_xor_b32 s0, exec_lo, s0
	s_cbranch_execz .LBB1497_85
; %bb.84:
	v_lshlrev_b16 v6, 8, v12
	v_and_b32_e32 v7, 0xff, v25
	v_lshlrev_b16 v11, 8, v11
	v_lshlrev_b16 v10, 8, v10
	v_perm_b32 v5, v5, v5, 0x3060504
                                        ; implicit-def: $vgpr12
                                        ; implicit-def: $vgpr25
	s_delay_alu instid0(VALU_DEP_4) | instskip(SKIP_2) | instid1(VALU_DEP_3)
	v_or_b32_e32 v6, v7, v6
	v_and_b32_e32 v7, 0xff, v9
	v_and_b32_e32 v9, 0xffff, v11
                                        ; implicit-def: $vgpr11
	v_lshlrev_b32_e32 v6, 16, v6
	s_delay_alu instid0(VALU_DEP_3) | instskip(NEXT) | instid1(VALU_DEP_2)
	v_or_b32_e32 v10, v7, v10
	v_or_b32_e32 v7, v9, v6
	s_delay_alu instid0(VALU_DEP_2)
	v_perm_b32 v6, v10, v8, 0x5040c00
                                        ; implicit-def: $vgpr8
                                        ; implicit-def: $vgpr9
                                        ; implicit-def: $vgpr10
.LBB1497_85:
	s_wait_alu 0xfffe
	s_and_not1_saveexec_b32 s1, s0
	s_cbranch_execz .LBB1497_89
; %bb.86:
	v_add_nc_u32_e32 v6, s17, v15
	v_add_nc_u32_e32 v7, s19, v15
	s_mov_b32 s3, 0
	s_mov_b32 s4, exec_lo
	s_delay_alu instid0(VALU_DEP_2) | instskip(NEXT) | instid1(VALU_DEP_2)
	v_mul_lo_u32 v6, v6, s16
	v_mul_lo_u32 v7, v7, s18
	s_delay_alu instid0(VALU_DEP_1) | instskip(NEXT) | instid1(VALU_DEP_1)
	v_sub_nc_u32_e32 v6, v6, v7
	v_cmp_lt_u32_e32 vcc_lo, s20, v6
	v_cmpx_ge_u32_e64 s20, v6
	s_cbranch_execz .LBB1497_88
; %bb.87:
	v_add_nc_u32_e32 v6, s22, v15
	v_add_nc_u32_e32 v7, s38, v15
	s_delay_alu instid0(VALU_DEP_2) | instskip(NEXT) | instid1(VALU_DEP_2)
	v_mul_lo_u32 v6, v6, s21
	v_mul_lo_u32 v7, v7, s23
	s_delay_alu instid0(VALU_DEP_1) | instskip(NEXT) | instid1(VALU_DEP_1)
	v_sub_nc_u32_e32 v6, v6, v7
	v_cmp_lt_u32_e64 s0, s39, v6
	s_and_b32 s3, s0, exec_lo
.LBB1497_88:
	s_wait_alu 0xfffe
	s_or_b32 exec_lo, exec_lo, s4
	v_cndmask_b32_e64 v6, 0, 1, s3
	s_wait_alu 0xfffd
	v_cndmask_b32_e64 v7, 0, 1, vcc_lo
	v_lshlrev_b16 v12, 8, v12
	v_and_b32_e32 v25, 0xff, v25
	v_lshlrev_b16 v11, 8, v11
	v_lshlrev_b16 v6, 8, v6
	v_and_b32_e32 v8, 0xff, v8
	v_lshlrev_b16 v10, 8, v10
	v_and_b32_e32 v9, 0xff, v9
	v_or_b32_e32 v12, v25, v12
	v_or_b32_e32 v7, v7, v11
	;; [unrolled: 1-line block ×3, first 2 shown]
	s_delay_alu instid0(VALU_DEP_4) | instskip(NEXT) | instid1(VALU_DEP_4)
	v_or_b32_e32 v8, v9, v10
	v_lshlrev_b32_e32 v9, 16, v12
	s_delay_alu instid0(VALU_DEP_4) | instskip(NEXT) | instid1(VALU_DEP_4)
	v_and_b32_e32 v7, 0xffff, v7
	v_and_b32_e32 v6, 0xffff, v6
	s_delay_alu instid0(VALU_DEP_4) | instskip(NEXT) | instid1(VALU_DEP_3)
	v_lshlrev_b32_e32 v8, 16, v8
	v_or_b32_e32 v7, v7, v9
	s_delay_alu instid0(VALU_DEP_2)
	v_or_b32_e32 v6, v6, v8
.LBB1497_89:
	s_wait_alu 0xfffe
	s_or_b32 exec_lo, exec_lo, s1
	v_add_nc_u32_e32 v8, 9, v46
	s_delay_alu instid0(VALU_DEP_2)
	v_lshrrev_b32_e32 v10, 8, v6
	v_lshrrev_b32_e32 v25, 24, v7
	;; [unrolled: 1-line block ×3, first 2 shown]
	v_and_b32_e32 v11, 0xff, v6
	v_cmp_le_u32_e32 vcc_lo, s27, v8
                                        ; implicit-def: $vgpr8
                                        ; implicit-def: $vgpr9
	s_and_saveexec_b32 s0, vcc_lo
	s_wait_alu 0xfffe
	s_xor_b32 s0, exec_lo, s0
	s_cbranch_execz .LBB1497_91
; %bb.90:
	v_lshlrev_b16 v8, 8, v10
	v_lshlrev_b16 v9, 8, v25
	v_and_b32_e32 v10, 0xff, v12
	v_perm_b32 v5, v5, v5, 0x3060504
                                        ; implicit-def: $vgpr25
                                        ; implicit-def: $vgpr12
	s_delay_alu instid0(VALU_DEP_4) | instskip(NEXT) | instid1(VALU_DEP_3)
	v_or_b32_e32 v8, v11, v8
                                        ; implicit-def: $vgpr11
	v_or_b32_e32 v9, v10, v9
                                        ; implicit-def: $vgpr10
	s_delay_alu instid0(VALU_DEP_2) | instskip(NEXT) | instid1(VALU_DEP_2)
	v_and_b32_e32 v8, 0xffff, v8
	v_perm_b32 v9, v9, v7, 0x5040c00
                                        ; implicit-def: $vgpr7
	s_delay_alu instid0(VALU_DEP_2)
	v_and_or_b32 v8, 0xff000000, v6, v8
                                        ; implicit-def: $vgpr6
.LBB1497_91:
	s_wait_alu 0xfffe
	s_and_not1_saveexec_b32 s1, s0
	s_cbranch_execz .LBB1497_95
; %bb.92:
	v_add_nc_u32_e32 v8, s17, v16
	v_add_nc_u32_e32 v9, s19, v16
	s_mov_b32 s3, 0
	s_mov_b32 s4, exec_lo
	s_delay_alu instid0(VALU_DEP_2) | instskip(NEXT) | instid1(VALU_DEP_2)
	v_mul_lo_u32 v8, v8, s16
	v_mul_lo_u32 v9, v9, s18
	s_delay_alu instid0(VALU_DEP_1) | instskip(NEXT) | instid1(VALU_DEP_1)
	v_sub_nc_u32_e32 v8, v8, v9
	v_cmp_lt_u32_e32 vcc_lo, s20, v8
	v_cmpx_ge_u32_e64 s20, v8
	s_cbranch_execz .LBB1497_94
; %bb.93:
	v_add_nc_u32_e32 v8, s22, v16
	v_add_nc_u32_e32 v9, s38, v16
	s_delay_alu instid0(VALU_DEP_2) | instskip(NEXT) | instid1(VALU_DEP_2)
	v_mul_lo_u32 v8, v8, s21
	v_mul_lo_u32 v9, v9, s23
	s_delay_alu instid0(VALU_DEP_1) | instskip(NEXT) | instid1(VALU_DEP_1)
	v_sub_nc_u32_e32 v8, v8, v9
	v_cmp_lt_u32_e64 s0, s39, v8
	s_and_b32 s3, s0, exec_lo
.LBB1497_94:
	s_wait_alu 0xfffe
	s_or_b32 exec_lo, exec_lo, s4
	s_wait_alu 0xfffd
	v_cndmask_b32_e64 v8, 0, 1, vcc_lo
	v_lshrrev_b32_e32 v6, 24, v6
	v_cndmask_b32_e64 v9, 0, 1, s3
	v_lshlrev_b16 v25, 8, v25
	v_and_b32_e32 v12, 0xff, v12
	v_lshlrev_b16 v8, 8, v8
	v_lshlrev_b16 v10, 8, v10
	v_and_b32_e32 v7, 0xff, v7
	v_lshlrev_b16 v6, 8, v6
	v_or_b32_e32 v12, v12, v25
	s_delay_alu instid0(VALU_DEP_4) | instskip(NEXT) | instid1(VALU_DEP_4)
	v_or_b32_e32 v10, v11, v10
	v_or_b32_e32 v7, v7, v8
	s_delay_alu instid0(VALU_DEP_4) | instskip(NEXT) | instid1(VALU_DEP_4)
	v_or_b32_e32 v6, v9, v6
	v_lshlrev_b32_e32 v8, 16, v12
	s_delay_alu instid0(VALU_DEP_4) | instskip(NEXT) | instid1(VALU_DEP_4)
	v_and_b32_e32 v10, 0xffff, v10
	v_and_b32_e32 v7, 0xffff, v7
	s_delay_alu instid0(VALU_DEP_4) | instskip(NEXT) | instid1(VALU_DEP_2)
	v_lshlrev_b32_e32 v6, 16, v6
	v_or_b32_e32 v9, v7, v8
	s_delay_alu instid0(VALU_DEP_2)
	v_or_b32_e32 v8, v10, v6
.LBB1497_95:
	s_wait_alu 0xfffe
	s_or_b32 exec_lo, exec_lo, s1
	v_add_nc_u32_e32 v6, 10, v46
	v_and_b32_e32 v7, 0xff, v9
	v_lshrrev_b32_e32 v10, 8, v9
                                        ; implicit-def: $vgpr51
	s_delay_alu instid0(VALU_DEP_3)
	v_cmp_le_u32_e32 vcc_lo, s27, v6
                                        ; implicit-def: $vgpr6
	s_and_saveexec_b32 s0, vcc_lo
	s_wait_alu 0xfffe
	s_xor_b32 s0, exec_lo, s0
	s_cbranch_execz .LBB1497_97
; %bb.96:
	v_lshlrev_b16 v6, 8, v10
	v_perm_b32 v5, v5, v5, 0x3060504
                                        ; implicit-def: $vgpr10
	s_delay_alu instid0(VALU_DEP_2) | instskip(SKIP_1) | instid1(VALU_DEP_2)
	v_or_b32_e32 v6, v7, v6
	v_and_b32_e32 v7, 0xff0000, v8
	v_and_b32_e32 v6, 0xffff, v6
	s_delay_alu instid0(VALU_DEP_2) | instskip(NEXT) | instid1(VALU_DEP_2)
	v_perm_b32 v51, v8, v7, 0x3020504
                                        ; implicit-def: $vgpr7
                                        ; implicit-def: $vgpr8
	v_and_or_b32 v6, 0xff000000, v9, v6
                                        ; implicit-def: $vgpr9
.LBB1497_97:
	s_wait_alu 0xfffe
	s_and_not1_saveexec_b32 s1, s0
	s_cbranch_execz .LBB1497_101
; %bb.98:
	v_add_nc_u32_e32 v6, s17, v13
	v_add_nc_u32_e32 v11, s19, v13
	s_mov_b32 s3, 0
	s_mov_b32 s4, exec_lo
	s_delay_alu instid0(VALU_DEP_2) | instskip(NEXT) | instid1(VALU_DEP_2)
	v_mul_lo_u32 v6, v6, s16
	v_mul_lo_u32 v11, v11, s18
	s_delay_alu instid0(VALU_DEP_1) | instskip(NEXT) | instid1(VALU_DEP_1)
	v_sub_nc_u32_e32 v6, v6, v11
	v_cmp_lt_u32_e32 vcc_lo, s20, v6
	v_cmpx_ge_u32_e64 s20, v6
	s_cbranch_execz .LBB1497_100
; %bb.99:
	v_add_nc_u32_e32 v6, s22, v13
	v_add_nc_u32_e32 v11, s38, v13
	s_delay_alu instid0(VALU_DEP_2) | instskip(NEXT) | instid1(VALU_DEP_2)
	v_mul_lo_u32 v6, v6, s21
	v_mul_lo_u32 v11, v11, s23
	s_delay_alu instid0(VALU_DEP_1) | instskip(NEXT) | instid1(VALU_DEP_1)
	v_sub_nc_u32_e32 v6, v6, v11
	v_cmp_lt_u32_e64 s0, s39, v6
	s_and_b32 s3, s0, exec_lo
.LBB1497_100:
	s_wait_alu 0xfffe
	s_or_b32 exec_lo, exec_lo, s4
	v_lshrrev_b32_e32 v9, 24, v9
	v_cndmask_b32_e64 v11, 0, 1, s3
	v_lshrrev_b32_e32 v12, 8, v8
	v_lshrrev_b32_e32 v25, 16, v8
	s_wait_alu 0xfffd
	v_cndmask_b32_e64 v6, 0, 1, vcc_lo
	v_lshlrev_b16 v10, 8, v10
	v_lshlrev_b16 v9, 8, v9
	v_and_b32_e32 v8, 0xff, v8
	v_lshlrev_b16 v12, 8, v12
	v_lshlrev_b16 v11, 8, v11
	v_and_b32_e32 v25, 0xff, v25
	v_or_b32_e32 v7, v7, v10
	v_or_b32_e32 v6, v6, v9
	;; [unrolled: 1-line block ×3, first 2 shown]
	s_delay_alu instid0(VALU_DEP_4) | instskip(NEXT) | instid1(VALU_DEP_4)
	v_or_b32_e32 v9, v25, v11
	v_and_b32_e32 v7, 0xffff, v7
	s_delay_alu instid0(VALU_DEP_4) | instskip(NEXT) | instid1(VALU_DEP_4)
	v_lshlrev_b32_e32 v6, 16, v6
	v_and_b32_e32 v8, 0xffff, v8
	s_delay_alu instid0(VALU_DEP_4) | instskip(NEXT) | instid1(VALU_DEP_3)
	v_lshlrev_b32_e32 v9, 16, v9
	v_or_b32_e32 v6, v7, v6
	s_delay_alu instid0(VALU_DEP_2)
	v_or_b32_e32 v51, v8, v9
.LBB1497_101:
	s_wait_alu 0xfffe
	s_or_b32 exec_lo, exec_lo, s1
	v_dual_mov_b32 v50, 0 :: v_dual_add_nc_u32 v7, 11, v46
	s_mov_b32 s0, exec_lo
                                        ; implicit-def: $vgpr52
	s_delay_alu instid0(VALU_DEP_1)
	v_cmpx_le_u32_e64 s27, v7
	s_wait_alu 0xfffe
	s_xor_b32 s0, exec_lo, s0
; %bb.102:
	v_and_b32_e32 v7, 0xff0000, v6
	v_perm_b32 v5, v5, v5, 0x3060504
	s_delay_alu instid0(VALU_DEP_2)
	v_perm_b32 v52, v6, v7, 0x3020504
                                        ; implicit-def: $vgpr6
; %bb.103:
	s_wait_alu 0xfffe
	s_and_not1_saveexec_b32 s1, s0
	s_cbranch_execz .LBB1497_107
; %bb.104:
	v_add_nc_u32_e32 v7, s17, v14
	v_add_nc_u32_e32 v8, s19, v14
	s_mov_b32 s3, 0
	s_mov_b32 s4, exec_lo
	s_delay_alu instid0(VALU_DEP_2) | instskip(NEXT) | instid1(VALU_DEP_2)
	v_mul_lo_u32 v7, v7, s16
	v_mul_lo_u32 v8, v8, s18
	s_delay_alu instid0(VALU_DEP_1) | instskip(NEXT) | instid1(VALU_DEP_1)
	v_sub_nc_u32_e32 v7, v7, v8
	v_cmp_lt_u32_e32 vcc_lo, s20, v7
	v_cmpx_ge_u32_e64 s20, v7
	s_cbranch_execz .LBB1497_106
; %bb.105:
	v_add_nc_u32_e32 v7, s22, v14
	v_add_nc_u32_e32 v8, s38, v14
	s_delay_alu instid0(VALU_DEP_2) | instskip(NEXT) | instid1(VALU_DEP_2)
	v_mul_lo_u32 v7, v7, s21
	v_mul_lo_u32 v8, v8, s23
	s_delay_alu instid0(VALU_DEP_1) | instskip(NEXT) | instid1(VALU_DEP_1)
	v_sub_nc_u32_e32 v7, v7, v8
	v_cmp_lt_u32_e64 s0, s39, v7
	s_and_b32 s3, s0, exec_lo
.LBB1497_106:
	s_wait_alu 0xfffe
	s_or_b32 exec_lo, exec_lo, s4
	v_lshrrev_b32_e32 v7, 8, v6
	s_wait_alu 0xfffd
	v_cndmask_b32_e64 v8, 0, 1, vcc_lo
	v_lshrrev_b32_e32 v9, 16, v6
	v_and_b32_e32 v6, 0xff, v6
	v_cndmask_b32_e64 v50, 0, 1, s3
	v_lshlrev_b16 v7, 8, v7
	v_lshlrev_b16 v8, 8, v8
	v_and_b32_e32 v9, 0xff, v9
	s_delay_alu instid0(VALU_DEP_3) | instskip(NEXT) | instid1(VALU_DEP_2)
	v_or_b32_e32 v6, v6, v7
	v_or_b32_e32 v7, v9, v8
	s_delay_alu instid0(VALU_DEP_2) | instskip(NEXT) | instid1(VALU_DEP_2)
	v_and_b32_e32 v6, 0xffff, v6
	v_lshlrev_b32_e32 v7, 16, v7
	s_delay_alu instid0(VALU_DEP_1)
	v_or_b32_e32 v52, v6, v7
.LBB1497_107:
	s_wait_alu 0xfffe
	s_or_b32 exec_lo, exec_lo, s1
	v_add_nc_u32_e32 v8, 12, v46
	v_lshrrev_b32_e32 v6, 8, v5
	v_lshrrev_b32_e32 v7, 16, v5
	;; [unrolled: 1-line block ×3, first 2 shown]
	s_mov_b32 s0, exec_lo
                                        ; implicit-def: $vgpr54
	v_cmpx_le_u32_e64 s27, v8
	s_wait_alu 0xfffe
	s_xor_b32 s0, exec_lo, s0
	s_cbranch_execz .LBB1497_109
; %bb.108:
	v_lshlrev_b16 v5, 8, v5
	v_and_b32_e32 v7, 0xff, v7
	v_lshlrev_b16 v6, 8, v6
	s_delay_alu instid0(VALU_DEP_2) | instskip(NEXT) | instid1(VALU_DEP_2)
	v_or_b32_e32 v5, v7, v5
	v_and_b32_e32 v6, 0xffff, v6
                                        ; implicit-def: $vgpr7
	s_delay_alu instid0(VALU_DEP_2) | instskip(NEXT) | instid1(VALU_DEP_1)
	v_lshlrev_b32_e32 v5, 16, v5
	v_or_b32_e32 v54, v6, v5
                                        ; implicit-def: $vgpr5
                                        ; implicit-def: $vgpr6
.LBB1497_109:
	s_wait_alu 0xfffe
	s_or_saveexec_b32 s1, s0
	v_mov_b32_e32 v53, 0
	s_wait_alu 0xfffe
	s_xor_b32 exec_lo, exec_lo, s1
	s_cbranch_execz .LBB1497_113
; %bb.110:
	v_add_nc_u32_e32 v8, s17, v45
	v_add_nc_u32_e32 v9, s19, v45
	s_mov_b32 s3, 0
	s_mov_b32 s4, exec_lo
	s_delay_alu instid0(VALU_DEP_2) | instskip(NEXT) | instid1(VALU_DEP_2)
	v_mul_lo_u32 v8, v8, s16
	v_mul_lo_u32 v9, v9, s18
	s_delay_alu instid0(VALU_DEP_1) | instskip(NEXT) | instid1(VALU_DEP_1)
	v_sub_nc_u32_e32 v8, v8, v9
	v_cmp_lt_u32_e32 vcc_lo, s20, v8
	v_cmpx_ge_u32_e64 s20, v8
	s_cbranch_execz .LBB1497_112
; %bb.111:
	v_add_nc_u32_e32 v8, s22, v45
	v_add_nc_u32_e32 v9, s38, v45
	s_delay_alu instid0(VALU_DEP_2) | instskip(NEXT) | instid1(VALU_DEP_2)
	v_mul_lo_u32 v8, v8, s21
	v_mul_lo_u32 v9, v9, s23
	s_delay_alu instid0(VALU_DEP_1) | instskip(NEXT) | instid1(VALU_DEP_1)
	v_sub_nc_u32_e32 v8, v8, v9
	v_cmp_lt_u32_e64 s0, s39, v8
	s_and_b32 s3, s0, exec_lo
.LBB1497_112:
	s_wait_alu 0xfffe
	s_or_b32 exec_lo, exec_lo, s4
	s_wait_alu 0xfffd
	v_cndmask_b32_e64 v8, 0, 1, vcc_lo
	v_lshlrev_b16 v5, 8, v5
	v_and_b32_e32 v7, 0xff, v7
	v_lshlrev_b16 v6, 8, v6
	v_cndmask_b32_e64 v53, 0, 1, s3
	s_delay_alu instid0(VALU_DEP_3) | instskip(NEXT) | instid1(VALU_DEP_3)
	v_or_b32_e32 v5, v7, v5
	v_or_b32_e32 v6, v8, v6
	s_delay_alu instid0(VALU_DEP_2) | instskip(NEXT) | instid1(VALU_DEP_2)
	v_lshlrev_b32_e32 v5, 16, v5
	v_and_b32_e32 v6, 0xffff, v6
	s_delay_alu instid0(VALU_DEP_1)
	v_or_b32_e32 v54, v6, v5
.LBB1497_113:
	s_or_b32 exec_lo, exec_lo, s1
.LBB1497_114:
	v_and_b32_e32 v77, 0xff, v47
	s_delay_alu instid0(VALU_DEP_2)
	v_bfe_u32 v78, v54, 8, 8
	v_bfe_u32 v74, v47, 8, 8
	;; [unrolled: 1-line block ×4, first 2 shown]
	v_lshrrev_b32_e32 v60, 24, v54
	v_lshrrev_b32_e32 v59, 24, v47
	v_and_b32_e32 v73, 0xff, v48
	v_and_b32_e32 v71, 0xff, v49
	v_bfe_u32 v72, v48, 8, 8
	v_add3_u32 v5, v74, v77, v76
	v_add3_u32 v6, v75, v78, v60
	v_bfe_u32 v69, v49, 8, 8
	v_bfe_u32 v70, v48, 16, 8
	v_bfe_u32 v65, v49, 16, 8
	v_lshrrev_b32_e32 v58, 24, v48
	v_add3_u32 v5, v5, v59, v71
	v_add3_u32 v6, v6, v73, v72
	v_lshrrev_b32_e32 v57, 24, v49
	v_and_b32_e32 v68, 0xff, v51
	v_and_b32_e32 v66, 0xff, v52
	v_bfe_u32 v67, v51, 8, 8
	v_add3_u32 v5, v5, v69, v65
	v_add3_u32 v6, v6, v70, v58
	v_bfe_u32 v63, v52, 8, 8
	v_bfe_u32 v64, v51, 16, 8
	;; [unrolled: 1-line block ×3, first 2 shown]
	v_lshrrev_b32_e32 v56, 24, v51
	v_add3_u32 v5, v5, v57, v66
	v_add3_u32 v6, v6, v68, v67
	v_mbcnt_lo_u32_b32 v79, -1, 0
	v_lshrrev_b32_e32 v55, 24, v52
	v_and_b32_e32 v61, 0xff, v50
	v_and_b32_e32 v7, 0xff, v54
	;; [unrolled: 1-line block ×3, first 2 shown]
	v_add3_u32 v5, v5, v63, v62
	v_add3_u32 v6, v6, v64, v56
	v_and_b32_e32 v81, 15, v79
	v_and_b32_e32 v83, 16, v79
	v_lshrrev_b32_e32 v80, 5, v0
	v_add3_u32 v84, v5, v55, v7
	v_add3_u32 v85, v6, v61, v8
	v_cmp_eq_u32_e64 s1, 0, v81
	v_cmp_lt_u32_e64 s0, 1, v81
	v_cmp_lt_u32_e64 s3, 3, v81
	v_or_b32_e32 v82, 31, v0
	s_cmp_lg_u32 s33, 0
	s_mov_b32 s4, -1
	v_cmp_lt_u32_e32 vcc_lo, 7, v81
	s_cbranch_scc0 .LBB1497_135
; %bb.115:
	v_mov_b32_dpp v6, v84 row_shr:1 row_mask:0xf bank_mask:0xf
	v_mov_b32_dpp v5, v85 row_shr:1 row_mask:0xf bank_mask:0xf
	s_mov_b32 s4, exec_lo
	s_delay_alu instid0(VALU_DEP_2) | instskip(SKIP_1) | instid1(VALU_DEP_1)
	v_add_nc_u32_e32 v6, v6, v84
	s_wait_alu 0xf1ff
	v_cndmask_b32_e64 v6, v6, v84, s1
	s_delay_alu instid0(VALU_DEP_1) | instskip(NEXT) | instid1(VALU_DEP_1)
	v_mov_b32_dpp v8, v6 row_shr:2 row_mask:0xf bank_mask:0xf
	v_add_nc_u32_e32 v8, v6, v8
	s_delay_alu instid0(VALU_DEP_1) | instskip(NEXT) | instid1(VALU_DEP_1)
	v_cndmask_b32_e64 v6, v6, v8, s0
	v_mov_b32_dpp v8, v6 row_shr:4 row_mask:0xf bank_mask:0xf
	s_delay_alu instid0(VALU_DEP_1) | instskip(NEXT) | instid1(VALU_DEP_1)
	v_add_nc_u32_e32 v8, v6, v8
	v_cndmask_b32_e64 v6, v6, v8, s3
	s_delay_alu instid0(VALU_DEP_1) | instskip(NEXT) | instid1(VALU_DEP_1)
	v_mov_b32_dpp v8, v6 row_shr:8 row_mask:0xf bank_mask:0xf
	v_add_nc_u32_e32 v8, v6, v8
	s_wait_alu 0xfffd
	s_delay_alu instid0(VALU_DEP_1) | instskip(NEXT) | instid1(VALU_DEP_1)
	v_dual_cndmask_b32 v6, v6, v8 :: v_dual_add_nc_u32 v5, v5, v85
	v_cndmask_b32_e64 v5, v5, v85, s1
	ds_swizzle_b32 v8, v6 offset:swizzle(BROADCAST,32,15)
	v_mov_b32_dpp v7, v5 row_shr:2 row_mask:0xf bank_mask:0xf
	s_delay_alu instid0(VALU_DEP_1) | instskip(NEXT) | instid1(VALU_DEP_1)
	v_add_nc_u32_e32 v7, v5, v7
	v_cndmask_b32_e64 v5, v5, v7, s0
	s_delay_alu instid0(VALU_DEP_1) | instskip(SKIP_2) | instid1(VALU_DEP_2)
	v_mov_b32_dpp v7, v5 row_shr:4 row_mask:0xf bank_mask:0xf
	s_wait_dscnt 0x0
	v_add_nc_u32_e32 v8, v6, v8
	v_add_nc_u32_e32 v7, v5, v7
	s_delay_alu instid0(VALU_DEP_1) | instskip(NEXT) | instid1(VALU_DEP_1)
	v_cndmask_b32_e64 v5, v5, v7, s3
	v_mov_b32_dpp v7, v5 row_shr:8 row_mask:0xf bank_mask:0xf
	s_delay_alu instid0(VALU_DEP_1) | instskip(NEXT) | instid1(VALU_DEP_1)
	v_add_nc_u32_e32 v7, v5, v7
	v_cndmask_b32_e32 v5, v5, v7, vcc_lo
	v_cmp_eq_u32_e32 vcc_lo, 0, v83
	ds_swizzle_b32 v7, v5 offset:swizzle(BROADCAST,32,15)
	s_wait_dscnt 0x0
	v_add_nc_u32_e32 v7, v5, v7
	v_cmpx_eq_u32_e64 v0, v82
; %bb.116:
	s_wait_alu 0xfffd
	s_delay_alu instid0(VALU_DEP_2)
	v_dual_cndmask_b32 v10, v7, v5 :: v_dual_lshlrev_b32 v11, 3, v80
	v_cndmask_b32_e32 v9, v8, v6, vcc_lo
	ds_store_b64 v11, v[9:10]
; %bb.117:
	s_wait_alu 0xfffe
	s_or_b32 exec_lo, exec_lo, s4
	s_delay_alu instid0(SALU_CYCLE_1)
	s_mov_b32 s4, exec_lo
	s_wait_loadcnt_dscnt 0x0
	s_barrier_signal -1
	s_barrier_wait -1
	global_inv scope:SCOPE_SE
	v_cmpx_gt_u32_e32 8, v0
	s_cbranch_execz .LBB1497_119
; %bb.118:
	v_lshlrev_b32_e32 v11, 3, v0
	v_and_b32_e32 v26, 7, v79
	ds_load_b64 v[9:10], v11
	v_cmp_eq_u32_e64 s3, 0, v26
	s_wait_dscnt 0x0
	v_mov_b32_dpp v12, v9 row_shr:1 row_mask:0xf bank_mask:0xf
	v_mov_b32_dpp v25, v10 row_shr:1 row_mask:0xf bank_mask:0xf
	s_delay_alu instid0(VALU_DEP_2) | instskip(NEXT) | instid1(VALU_DEP_2)
	v_add_nc_u32_e32 v12, v12, v9
	v_add_nc_u32_e32 v25, v25, v10
	s_wait_alu 0xf1ff
	s_delay_alu instid0(VALU_DEP_2) | instskip(NEXT) | instid1(VALU_DEP_2)
	v_cndmask_b32_e64 v9, v12, v9, s3
	v_cndmask_b32_e64 v10, v25, v10, s3
	v_cmp_lt_u32_e64 s3, 1, v26
	s_delay_alu instid0(VALU_DEP_3) | instskip(NEXT) | instid1(VALU_DEP_3)
	v_mov_b32_dpp v12, v9 row_shr:2 row_mask:0xf bank_mask:0xf
	v_mov_b32_dpp v25, v10 row_shr:2 row_mask:0xf bank_mask:0xf
	s_delay_alu instid0(VALU_DEP_2) | instskip(NEXT) | instid1(VALU_DEP_2)
	v_add_nc_u32_e32 v12, v9, v12
	v_add_nc_u32_e32 v25, v10, v25
	s_wait_alu 0xf1ff
	s_delay_alu instid0(VALU_DEP_2) | instskip(NEXT) | instid1(VALU_DEP_2)
	v_cndmask_b32_e64 v9, v9, v12, s3
	v_cndmask_b32_e64 v10, v10, v25, s3
	v_cmp_lt_u32_e64 s3, 3, v26
	s_delay_alu instid0(VALU_DEP_3) | instskip(NEXT) | instid1(VALU_DEP_3)
	v_mov_b32_dpp v12, v9 row_shr:4 row_mask:0xf bank_mask:0xf
	v_mov_b32_dpp v25, v10 row_shr:4 row_mask:0xf bank_mask:0xf
	s_wait_alu 0xf1ff
	s_delay_alu instid0(VALU_DEP_2) | instskip(NEXT) | instid1(VALU_DEP_2)
	v_cndmask_b32_e64 v12, 0, v12, s3
	v_cndmask_b32_e64 v25, 0, v25, s3
	s_delay_alu instid0(VALU_DEP_2) | instskip(NEXT) | instid1(VALU_DEP_2)
	v_add_nc_u32_e32 v9, v12, v9
	v_add_nc_u32_e32 v10, v25, v10
	ds_store_b64 v11, v[9:10]
.LBB1497_119:
	s_wait_alu 0xfffe
	s_or_b32 exec_lo, exec_lo, s4
	v_dual_cndmask_b32 v5, v7, v5 :: v_dual_cndmask_b32 v6, v8, v6
	s_mov_b32 s4, exec_lo
	v_cmp_gt_u32_e32 vcc_lo, 32, v0
	s_wait_loadcnt_dscnt 0x0
	s_barrier_signal -1
	s_barrier_wait -1
	global_inv scope:SCOPE_SE
                                        ; implicit-def: $vgpr25
	v_cmpx_lt_u32_e32 31, v0
	s_cbranch_execz .LBB1497_121
; %bb.120:
	v_lshl_add_u32 v7, v80, 3, -8
	ds_load_b64 v[25:26], v7
	s_wait_dscnt 0x0
	v_add_nc_u32_e32 v5, v26, v5
	v_add_nc_u32_e32 v6, v25, v6
.LBB1497_121:
	s_wait_alu 0xfffe
	s_or_b32 exec_lo, exec_lo, s4
	v_sub_co_u32 v7, s3, v79, 1
	s_delay_alu instid0(VALU_DEP_1) | instskip(SKIP_1) | instid1(VALU_DEP_1)
	v_cmp_gt_i32_e64 s4, 0, v7
	s_wait_alu 0xf1ff
	v_cndmask_b32_e64 v7, v7, v79, s4
	s_delay_alu instid0(VALU_DEP_1)
	v_lshlrev_b32_e32 v7, 2, v7
	ds_bpermute_b32 v86, v7, v6
	ds_bpermute_b32 v87, v7, v5
	s_and_saveexec_b32 s4, vcc_lo
	s_cbranch_execz .LBB1497_140
; %bb.122:
	v_mov_b32_e32 v8, 0
	ds_load_b64 v[5:6], v8 offset:56
	s_and_saveexec_b32 s5, s3
	s_cbranch_execz .LBB1497_124
; %bb.123:
	s_add_co_i32 s6, s33, 32
	s_mov_b32 s7, 0
	s_wait_alu 0xfffe
	s_lshl_b64 s[6:7], s[6:7], 4
	s_wait_alu 0xfffe
	s_add_nc_u64 s[6:7], s[36:37], s[6:7]
	s_wait_alu 0xfffe
	v_dual_mov_b32 v7, 1 :: v_dual_mov_b32 v10, s7
	v_mov_b32_e32 v9, s6
	s_wait_dscnt 0x0
	;;#ASMSTART
	global_store_b128 v[9:10], v[5:8] off scope:SCOPE_DEV	
s_wait_storecnt 0x0
	;;#ASMEND
.LBB1497_124:
	s_wait_alu 0xfffe
	s_or_b32 exec_lo, exec_lo, s5
	v_xad_u32 v27, v79, -1, s33
	s_mov_b32 s6, 0
	s_mov_b32 s5, exec_lo
	s_delay_alu instid0(VALU_DEP_1) | instskip(NEXT) | instid1(VALU_DEP_1)
	v_add_nc_u32_e32 v7, 32, v27
	v_lshlrev_b64_e32 v[7:8], 4, v[7:8]
	s_delay_alu instid0(VALU_DEP_1) | instskip(SKIP_1) | instid1(VALU_DEP_2)
	v_add_co_u32 v7, vcc_lo, s36, v7
	s_wait_alu 0xfffd
	v_add_co_ci_u32_e64 v8, null, s37, v8, vcc_lo
	;;#ASMSTART
	global_load_b128 v[9:12], v[7:8] off scope:SCOPE_DEV	
s_wait_loadcnt 0x0
	;;#ASMEND
	v_and_b32_e32 v12, 0xff, v11
	s_delay_alu instid0(VALU_DEP_1)
	v_cmpx_eq_u16_e32 0, v12
	s_cbranch_execz .LBB1497_127
.LBB1497_125:                           ; =>This Inner Loop Header: Depth=1
	;;#ASMSTART
	global_load_b128 v[9:12], v[7:8] off scope:SCOPE_DEV	
s_wait_loadcnt 0x0
	;;#ASMEND
	v_and_b32_e32 v12, 0xff, v11
	s_delay_alu instid0(VALU_DEP_1)
	v_cmp_ne_u16_e32 vcc_lo, 0, v12
	s_wait_alu 0xfffe
	s_or_b32 s6, vcc_lo, s6
	s_wait_alu 0xfffe
	s_and_not1_b32 exec_lo, exec_lo, s6
	s_cbranch_execnz .LBB1497_125
; %bb.126:
	s_or_b32 exec_lo, exec_lo, s6
.LBB1497_127:
	s_wait_alu 0xfffe
	s_or_b32 exec_lo, exec_lo, s5
	v_cmp_ne_u32_e32 vcc_lo, 31, v79
	v_lshlrev_b32_e64 v89, v79, -1
	v_add_nc_u32_e32 v91, 2, v79
	v_add_nc_u32_e32 v93, 4, v79
	;; [unrolled: 1-line block ×3, first 2 shown]
	s_wait_alu 0xfffd
	v_add_co_ci_u32_e64 v7, null, 0, v79, vcc_lo
	v_lshl_or_b32 v96, v79, 2, 64
	v_add_nc_u32_e32 v97, 16, v79
	s_delay_alu instid0(VALU_DEP_3) | instskip(SKIP_4) | instid1(VALU_DEP_1)
	v_lshlrev_b32_e32 v88, 2, v7
	ds_bpermute_b32 v8, v88, v10
	s_wait_dscnt 0x0
	v_add_nc_u32_e32 v8, v8, v10
	v_and_b32_e32 v7, 0xff, v11
	v_cmp_eq_u16_e32 vcc_lo, 2, v7
	ds_bpermute_b32 v7, v88, v9
	s_wait_dscnt 0x0
	v_add_nc_u32_e32 v7, v7, v9
	s_wait_alu 0xfffd
	v_and_b32_e32 v12, vcc_lo, v89
	v_cmp_gt_u32_e32 vcc_lo, 30, v79
	s_delay_alu instid0(VALU_DEP_2) | instskip(SKIP_2) | instid1(VALU_DEP_2)
	v_or_b32_e32 v12, 0x80000000, v12
	s_wait_alu 0xfffd
	v_cndmask_b32_e64 v28, 0, 2, vcc_lo
	v_ctz_i32_b32_e32 v12, v12
	s_delay_alu instid0(VALU_DEP_2) | instskip(NEXT) | instid1(VALU_DEP_2)
	v_add_lshl_u32 v90, v28, v79, 2
	v_cmp_lt_u32_e32 vcc_lo, v79, v12
	s_wait_alu 0xfffd
	v_dual_cndmask_b32 v8, v10, v8 :: v_dual_cndmask_b32 v7, v9, v7
	v_cmp_gt_u32_e32 vcc_lo, 28, v79
	ds_bpermute_b32 v9, v90, v8
	ds_bpermute_b32 v10, v90, v7
	s_wait_alu 0xfffd
	v_cndmask_b32_e64 v28, 0, 4, vcc_lo
	v_cmp_gt_u32_e32 vcc_lo, v91, v12
	s_delay_alu instid0(VALU_DEP_2)
	v_add_lshl_u32 v92, v28, v79, 2
	s_wait_dscnt 0x1
	v_add_nc_u32_e32 v9, v8, v9
	s_wait_dscnt 0x0
	v_add_nc_u32_e32 v10, v7, v10
	s_wait_alu 0xfffd
	s_delay_alu instid0(VALU_DEP_1)
	v_dual_cndmask_b32 v8, v9, v8 :: v_dual_cndmask_b32 v7, v10, v7
	v_cmp_gt_u32_e32 vcc_lo, 24, v79
	ds_bpermute_b32 v9, v92, v8
	ds_bpermute_b32 v10, v92, v7
	s_wait_alu 0xfffd
	v_cndmask_b32_e64 v28, 0, 8, vcc_lo
	v_cmp_gt_u32_e32 vcc_lo, v93, v12
	s_delay_alu instid0(VALU_DEP_2)
	v_add_lshl_u32 v94, v28, v79, 2
	s_wait_dscnt 0x1
	v_dual_mov_b32 v28, 0 :: v_dual_add_nc_u32 v9, v8, v9
	s_wait_dscnt 0x0
	v_add_nc_u32_e32 v10, v7, v10
	s_wait_alu 0xfffd
	s_delay_alu instid0(VALU_DEP_1)
	v_dual_cndmask_b32 v8, v9, v8 :: v_dual_cndmask_b32 v7, v10, v7
	v_cmp_gt_u32_e32 vcc_lo, v95, v12
	ds_bpermute_b32 v9, v94, v8
	ds_bpermute_b32 v10, v94, v7
	s_wait_dscnt 0x1
	v_add_nc_u32_e32 v9, v8, v9
	s_wait_dscnt 0x0
	v_add_nc_u32_e32 v10, v7, v10
	s_wait_alu 0xfffd
	s_delay_alu instid0(VALU_DEP_1)
	v_dual_cndmask_b32 v8, v9, v8 :: v_dual_cndmask_b32 v7, v10, v7
	v_cmp_le_u32_e32 vcc_lo, v97, v12
	ds_bpermute_b32 v10, v96, v8
	ds_bpermute_b32 v9, v96, v7
	s_wait_dscnt 0x0
	s_wait_alu 0xfffd
	v_dual_cndmask_b32 v10, 0, v10 :: v_dual_cndmask_b32 v9, 0, v9
	s_delay_alu instid0(VALU_DEP_1) | instskip(NEXT) | instid1(VALU_DEP_2)
	v_add_nc_u32_e32 v10, v10, v8
	v_add_nc_u32_e32 v9, v9, v7
	s_branch .LBB1497_131
.LBB1497_128:                           ;   in Loop: Header=BB1497_131 Depth=1
	s_or_b32 exec_lo, exec_lo, s6
.LBB1497_129:                           ;   in Loop: Header=BB1497_131 Depth=1
	s_wait_alu 0xfffe
	s_or_b32 exec_lo, exec_lo, s5
	ds_bpermute_b32 v12, v88, v9
	ds_bpermute_b32 v29, v88, v10
	v_subrev_nc_u32_e32 v27, 32, v27
	s_mov_b32 s5, 0
	s_wait_dscnt 0x1
	v_add_nc_u32_e32 v12, v12, v9
	v_and_b32_e32 v30, 0xff, v11
	s_wait_dscnt 0x0
	v_add_nc_u32_e32 v29, v29, v10
	s_delay_alu instid0(VALU_DEP_2) | instskip(SKIP_2) | instid1(VALU_DEP_1)
	v_cmp_eq_u16_e32 vcc_lo, 2, v30
	s_wait_alu 0xfffd
	v_and_or_b32 v30, vcc_lo, v89, 0x80000000
	v_ctz_i32_b32_e32 v30, v30
	s_delay_alu instid0(VALU_DEP_1)
	v_cmp_lt_u32_e32 vcc_lo, v79, v30
	s_wait_alu 0xfffd
	v_dual_cndmask_b32 v10, v10, v29 :: v_dual_cndmask_b32 v9, v9, v12
	v_cmp_gt_u32_e32 vcc_lo, v91, v30
	ds_bpermute_b32 v29, v90, v10
	ds_bpermute_b32 v12, v90, v9
	s_wait_dscnt 0x1
	v_add_nc_u32_e32 v29, v10, v29
	s_wait_dscnt 0x0
	v_add_nc_u32_e32 v12, v9, v12
	s_wait_alu 0xfffd
	s_delay_alu instid0(VALU_DEP_1)
	v_dual_cndmask_b32 v10, v29, v10 :: v_dual_cndmask_b32 v9, v12, v9
	v_cmp_gt_u32_e32 vcc_lo, v93, v30
	ds_bpermute_b32 v29, v92, v10
	ds_bpermute_b32 v12, v92, v9
	s_wait_dscnt 0x1
	v_add_nc_u32_e32 v29, v10, v29
	s_wait_dscnt 0x0
	v_add_nc_u32_e32 v12, v9, v12
	s_wait_alu 0xfffd
	s_delay_alu instid0(VALU_DEP_1)
	;; [unrolled: 10-line block ×3, first 2 shown]
	v_dual_cndmask_b32 v10, v29, v10 :: v_dual_cndmask_b32 v9, v12, v9
	v_cmp_le_u32_e32 vcc_lo, v97, v30
	ds_bpermute_b32 v29, v96, v10
	ds_bpermute_b32 v12, v96, v9
	s_wait_dscnt 0x0
	s_wait_alu 0xfffd
	v_dual_cndmask_b32 v29, 0, v29 :: v_dual_cndmask_b32 v12, 0, v12
	s_delay_alu instid0(VALU_DEP_1) | instskip(NEXT) | instid1(VALU_DEP_2)
	v_add3_u32 v10, v10, v8, v29
	v_add3_u32 v9, v9, v7, v12
.LBB1497_130:                           ;   in Loop: Header=BB1497_131 Depth=1
	s_wait_alu 0xfffe
	s_and_b32 vcc_lo, exec_lo, s5
	s_wait_alu 0xfffe
	s_cbranch_vccnz .LBB1497_136
.LBB1497_131:                           ; =>This Loop Header: Depth=1
                                        ;     Child Loop BB1497_134 Depth 2
	v_and_b32_e32 v7, 0xff, v11
	s_mov_b32 s5, -1
                                        ; implicit-def: $vgpr11
	s_delay_alu instid0(VALU_DEP_1)
	v_cmp_ne_u16_e32 vcc_lo, 2, v7
	v_dual_mov_b32 v7, v9 :: v_dual_mov_b32 v8, v10
                                        ; implicit-def: $vgpr9_vgpr10
	s_cmp_lg_u32 vcc_lo, exec_lo
	s_cbranch_scc1 .LBB1497_130
; %bb.132:                              ;   in Loop: Header=BB1497_131 Depth=1
	v_lshlrev_b64_e32 v[9:10], 4, v[27:28]
	s_mov_b32 s5, exec_lo
	s_delay_alu instid0(VALU_DEP_1) | instskip(SKIP_1) | instid1(VALU_DEP_2)
	v_add_co_u32 v29, vcc_lo, s36, v9
	s_wait_alu 0xfffd
	v_add_co_ci_u32_e64 v30, null, s37, v10, vcc_lo
	;;#ASMSTART
	global_load_b128 v[9:12], v[29:30] off scope:SCOPE_DEV	
s_wait_loadcnt 0x0
	;;#ASMEND
	v_and_b32_e32 v12, 0xff, v11
	s_delay_alu instid0(VALU_DEP_1)
	v_cmpx_eq_u16_e32 0, v12
	s_cbranch_execz .LBB1497_129
; %bb.133:                              ;   in Loop: Header=BB1497_131 Depth=1
	s_mov_b32 s6, 0
.LBB1497_134:                           ;   Parent Loop BB1497_131 Depth=1
                                        ; =>  This Inner Loop Header: Depth=2
	;;#ASMSTART
	global_load_b128 v[9:12], v[29:30] off scope:SCOPE_DEV	
s_wait_loadcnt 0x0
	;;#ASMEND
	v_and_b32_e32 v12, 0xff, v11
	s_delay_alu instid0(VALU_DEP_1)
	v_cmp_ne_u16_e32 vcc_lo, 0, v12
	s_wait_alu 0xfffe
	s_or_b32 s6, vcc_lo, s6
	s_wait_alu 0xfffe
	s_and_not1_b32 exec_lo, exec_lo, s6
	s_cbranch_execnz .LBB1497_134
	s_branch .LBB1497_128
.LBB1497_135:
                                        ; implicit-def: $vgpr29
                                        ; implicit-def: $vgpr7
                                        ; implicit-def: $vgpr86
	s_wait_alu 0xfffe
	s_and_b32 vcc_lo, exec_lo, s4
	s_wait_alu 0xfffe
	s_cbranch_vccnz .LBB1497_141
	s_branch .LBB1497_150
.LBB1497_136:
	s_and_saveexec_b32 s5, s3
	s_cbranch_execnz .LBB1497_378
; %bb.137:
	s_wait_alu 0xfffe
	s_or_b32 exec_lo, exec_lo, s5
	s_and_saveexec_b32 s5, s3
	s_cbranch_execnz .LBB1497_379
.LBB1497_138:
	s_wait_alu 0xfffe
	s_or_b32 exec_lo, exec_lo, s5
	s_delay_alu instid0(SALU_CYCLE_1)
	s_and_b32 exec_lo, exec_lo, s2
.LBB1497_139:
	v_mov_b32_e32 v5, 0
	ds_store_b64 v5, v[7:8] offset:56
.LBB1497_140:
	s_wait_alu 0xfffe
	s_or_b32 exec_lo, exec_lo, s4
	s_wait_dscnt 0x1
	v_cndmask_b32_e64 v12, v86, v25, s3
	v_mov_b32_e32 v5, 0
	s_wait_loadcnt_dscnt 0x0
	s_barrier_signal -1
	s_barrier_wait -1
	global_inv scope:SCOPE_SE
	ds_load_b64 v[9:10], v5 offset:56
	s_wait_loadcnt_dscnt 0x0
	s_barrier_signal -1
	s_barrier_wait -1
	global_inv scope:SCOPE_SE
	v_cndmask_b32_e64 v11, v87, v26, s3
	v_add_nc_u32_e32 v12, v9, v12
	ds_load_b128 v[5:8], v5 offset:13312
	v_add_nc_u32_e32 v11, v10, v11
	v_cndmask_b32_e64 v86, v12, v9, s2
	s_delay_alu instid0(VALU_DEP_2)
	v_cndmask_b32_e64 v29, v11, v10, s2
	s_branch .LBB1497_150
.LBB1497_141:
	s_wait_dscnt 0x0
	v_mov_b32_dpp v5, v84 row_shr:1 row_mask:0xf bank_mask:0xf
	v_cmp_lt_u32_e32 vcc_lo, 3, v81
	v_mov_b32_dpp v6, v85 row_shr:1 row_mask:0xf bank_mask:0xf
	s_delay_alu instid0(VALU_DEP_3) | instskip(NEXT) | instid1(VALU_DEP_1)
	v_add_nc_u32_e32 v5, v5, v84
	v_cndmask_b32_e64 v5, v5, v84, s1
	s_delay_alu instid0(VALU_DEP_1) | instskip(NEXT) | instid1(VALU_DEP_1)
	v_mov_b32_dpp v7, v5 row_shr:2 row_mask:0xf bank_mask:0xf
	v_add_nc_u32_e32 v7, v5, v7
	s_delay_alu instid0(VALU_DEP_1) | instskip(NEXT) | instid1(VALU_DEP_1)
	v_cndmask_b32_e64 v5, v5, v7, s0
	v_mov_b32_dpp v7, v5 row_shr:4 row_mask:0xf bank_mask:0xf
	s_delay_alu instid0(VALU_DEP_1) | instskip(SKIP_1) | instid1(VALU_DEP_1)
	v_add_nc_u32_e32 v7, v5, v7
	s_wait_alu 0xfffd
	v_dual_cndmask_b32 v7, v5, v7 :: v_dual_add_nc_u32 v6, v6, v85
	s_delay_alu instid0(VALU_DEP_1) | instskip(SKIP_1) | instid1(VALU_DEP_2)
	v_cndmask_b32_e64 v6, v6, v85, s1
	s_mov_b32 s1, exec_lo
	v_mov_b32_dpp v5, v7 row_shr:8 row_mask:0xf bank_mask:0xf
	s_delay_alu instid0(VALU_DEP_2) | instskip(NEXT) | instid1(VALU_DEP_2)
	v_mov_b32_dpp v8, v6 row_shr:2 row_mask:0xf bank_mask:0xf
	v_add_nc_u32_e32 v9, v7, v5
	s_delay_alu instid0(VALU_DEP_2) | instskip(NEXT) | instid1(VALU_DEP_1)
	v_add_nc_u32_e32 v8, v6, v8
	v_cndmask_b32_e64 v6, v6, v8, s0
	s_delay_alu instid0(VALU_DEP_1) | instskip(NEXT) | instid1(VALU_DEP_1)
	v_mov_b32_dpp v8, v6 row_shr:4 row_mask:0xf bank_mask:0xf
	v_add_nc_u32_e32 v8, v6, v8
	s_delay_alu instid0(VALU_DEP_1) | instskip(SKIP_1) | instid1(VALU_DEP_2)
	v_cndmask_b32_e32 v6, v6, v8, vcc_lo
	v_cmp_lt_u32_e32 vcc_lo, 7, v81
	v_mov_b32_dpp v8, v6 row_shr:8 row_mask:0xf bank_mask:0xf
	s_delay_alu instid0(VALU_DEP_1) | instskip(SKIP_1) | instid1(VALU_DEP_1)
	v_add_nc_u32_e32 v5, v6, v8
	s_wait_alu 0xfffd
	v_cndmask_b32_e32 v5, v6, v5, vcc_lo
	v_cndmask_b32_e32 v6, v7, v9, vcc_lo
	v_cmp_eq_u32_e32 vcc_lo, 0, v83
	ds_swizzle_b32 v7, v5 offset:swizzle(BROADCAST,32,15)
	ds_swizzle_b32 v8, v6 offset:swizzle(BROADCAST,32,15)
	s_wait_dscnt 0x1
	v_add_nc_u32_e32 v7, v5, v7
	s_wait_dscnt 0x0
	v_add_nc_u32_e32 v8, v6, v8
	v_cmpx_eq_u32_e64 v0, v82
; %bb.142:
	s_wait_alu 0xfffd
	s_delay_alu instid0(VALU_DEP_2)
	v_dual_cndmask_b32 v9, v8, v6 :: v_dual_cndmask_b32 v10, v7, v5
	v_lshlrev_b32_e32 v11, 3, v80
	ds_store_b64 v11, v[9:10]
; %bb.143:
	s_wait_alu 0xfffe
	s_or_b32 exec_lo, exec_lo, s1
	s_delay_alu instid0(SALU_CYCLE_1)
	s_mov_b32 s1, exec_lo
	s_wait_loadcnt_dscnt 0x0
	s_barrier_signal -1
	s_barrier_wait -1
	global_inv scope:SCOPE_SE
	v_cmpx_gt_u32_e32 8, v0
	s_cbranch_execz .LBB1497_145
; %bb.144:
	v_lshlrev_b32_e32 v11, 3, v0
	v_and_b32_e32 v26, 7, v79
	ds_load_b64 v[9:10], v11
	v_cmp_eq_u32_e64 s0, 0, v26
	s_wait_dscnt 0x0
	v_mov_b32_dpp v12, v9 row_shr:1 row_mask:0xf bank_mask:0xf
	v_mov_b32_dpp v25, v10 row_shr:1 row_mask:0xf bank_mask:0xf
	s_delay_alu instid0(VALU_DEP_2) | instskip(NEXT) | instid1(VALU_DEP_2)
	v_add_nc_u32_e32 v12, v12, v9
	v_add_nc_u32_e32 v25, v25, v10
	s_wait_alu 0xf1ff
	s_delay_alu instid0(VALU_DEP_2) | instskip(NEXT) | instid1(VALU_DEP_2)
	v_cndmask_b32_e64 v9, v12, v9, s0
	v_cndmask_b32_e64 v10, v25, v10, s0
	v_cmp_lt_u32_e64 s0, 1, v26
	s_delay_alu instid0(VALU_DEP_3) | instskip(NEXT) | instid1(VALU_DEP_3)
	v_mov_b32_dpp v12, v9 row_shr:2 row_mask:0xf bank_mask:0xf
	v_mov_b32_dpp v25, v10 row_shr:2 row_mask:0xf bank_mask:0xf
	s_delay_alu instid0(VALU_DEP_2) | instskip(NEXT) | instid1(VALU_DEP_2)
	v_add_nc_u32_e32 v12, v9, v12
	v_add_nc_u32_e32 v25, v10, v25
	s_wait_alu 0xf1ff
	s_delay_alu instid0(VALU_DEP_2) | instskip(NEXT) | instid1(VALU_DEP_2)
	v_cndmask_b32_e64 v9, v9, v12, s0
	v_cndmask_b32_e64 v10, v10, v25, s0
	v_cmp_lt_u32_e64 s0, 3, v26
	s_delay_alu instid0(VALU_DEP_3) | instskip(NEXT) | instid1(VALU_DEP_3)
	v_mov_b32_dpp v12, v9 row_shr:4 row_mask:0xf bank_mask:0xf
	v_mov_b32_dpp v25, v10 row_shr:4 row_mask:0xf bank_mask:0xf
	s_wait_alu 0xf1ff
	s_delay_alu instid0(VALU_DEP_2) | instskip(NEXT) | instid1(VALU_DEP_2)
	v_cndmask_b32_e64 v12, 0, v12, s0
	v_cndmask_b32_e64 v25, 0, v25, s0
	s_delay_alu instid0(VALU_DEP_2) | instskip(NEXT) | instid1(VALU_DEP_2)
	v_add_nc_u32_e32 v9, v12, v9
	v_add_nc_u32_e32 v10, v25, v10
	ds_store_b64 v11, v[9:10]
.LBB1497_145:
	s_wait_alu 0xfffe
	s_or_b32 exec_lo, exec_lo, s1
	v_dual_mov_b32 v11, 0 :: v_dual_mov_b32 v10, 0
	v_mov_b32_e32 v9, 0
	s_mov_b32 s1, exec_lo
	s_wait_loadcnt_dscnt 0x0
	s_barrier_signal -1
	s_barrier_wait -1
	global_inv scope:SCOPE_SE
	v_cmpx_lt_u32_e32 31, v0
; %bb.146:
	v_lshl_add_u32 v9, v80, 3, -8
	ds_load_b64 v[9:10], v9
; %bb.147:
	s_wait_alu 0xfffe
	s_or_b32 exec_lo, exec_lo, s1
	v_sub_co_u32 v12, s0, v79, 1
	v_dual_cndmask_b32 v6, v8, v6 :: v_dual_cndmask_b32 v5, v7, v5
	s_delay_alu instid0(VALU_DEP_2) | instskip(SKIP_1) | instid1(VALU_DEP_2)
	v_cmp_gt_i32_e64 s1, 0, v12
	s_wait_dscnt 0x0
	v_add_nc_u32_e32 v6, v9, v6
	s_delay_alu instid0(VALU_DEP_3) | instskip(SKIP_2) | instid1(VALU_DEP_1)
	v_add_nc_u32_e32 v5, v10, v5
	s_wait_alu 0xf1ff
	v_cndmask_b32_e64 v8, v12, v79, s1
	v_lshlrev_b32_e32 v7, 2, v8
	ds_bpermute_b32 v12, v7, v6
	ds_bpermute_b32 v25, v7, v5
	ds_load_b64 v[5:6], v11 offset:56
	s_and_saveexec_b32 s1, s2
	s_cbranch_execz .LBB1497_149
; %bb.148:
	s_add_nc_u64 s[4:5], s[36:37], 0x200
	v_dual_mov_b32 v7, 2 :: v_dual_mov_b32 v8, 0
	s_wait_alu 0xfffe
	v_dual_mov_b32 v27, s5 :: v_dual_mov_b32 v26, s4
	s_wait_dscnt 0x0
	;;#ASMSTART
	global_store_b128 v[26:27], v[5:8] off scope:SCOPE_DEV	
s_wait_storecnt 0x0
	;;#ASMEND
.LBB1497_149:
	s_wait_alu 0xfffe
	s_or_b32 exec_lo, exec_lo, s1
	s_wait_dscnt 0x1
	v_cndmask_b32_e64 v7, v25, v10, s0
	v_cndmask_b32_e64 v9, v12, v9, s0
	v_mov_b32_e32 v8, 0
	s_wait_loadcnt_dscnt 0x0
	s_barrier_signal -1
	v_cndmask_b32_e64 v29, v7, 0, s2
	v_cndmask_b32_e64 v86, v9, 0, s2
	v_mov_b32_e32 v7, 0
	s_barrier_wait -1
	global_inv scope:SCOPE_SE
.LBB1497_150:
	v_lshrrev_b32_e32 v81, 8, v54
	s_wait_dscnt 0x0
	v_add_co_u32 v1, vcc_lo, v1, v7
	s_wait_alu 0xfffd
	v_add_co_ci_u32_e64 v2, null, 0, v2, vcc_lo
	v_and_b32_e32 v81, 1, v81
	v_sub_co_u32 v84, vcc_lo, v3, v5
	s_wait_alu 0xfffd
	v_subrev_co_ci_u32_e64 v85, null, 0, v4, vcc_lo
	s_delay_alu instid0(VALU_DEP_3)
	v_cmp_eq_u32_e32 vcc_lo, 1, v81
	v_add_nc_u32_e32 v78, v29, v78
	v_sub_nc_u32_e32 v29, v29, v8
	v_lshlrev_b32_e32 v87, 1, v5
	v_lshrrev_b32_e32 v79, 16, v54
	v_lshrrev_b32_e32 v80, 8, v47
	v_add_nc_u32_e32 v75, v78, v75
	v_sub_nc_u32_e32 v78, v78, v8
	v_add_nc_u32_e32 v29, v29, v5
	v_add3_u32 v90, v87, v6, v46
	v_and_b32_e32 v79, 1, v79
	v_lshrrev_b32_e32 v30, 16, v47
	v_add_nc_u32_e32 v78, v78, v5
	v_add_nc_u32_e32 v77, v86, v77
	v_sub_nc_u32_e32 v86, v86, v7
	v_and_b32_e32 v47, 1, v47
	v_and_b32_e32 v80, 1, v80
	;; [unrolled: 1-line block ×3, first 2 shown]
	v_add_nc_u32_e32 v74, v77, v74
	v_sub_nc_u32_e32 v77, v77, v7
	v_add_nc_u32_e32 v46, v86, v29
	v_lshrrev_b32_e32 v28, 8, v48
	v_lshrrev_b32_e32 v27, 16, v48
	v_and_b32_e32 v48, 1, v48
	v_add_nc_u32_e32 v91, v78, v77
	v_sub_nc_u32_e32 v46, v90, v46
	v_and_b32_e32 v28, 1, v28
	v_lshrrev_b32_e32 v25, 16, v49
	v_lshrrev_b32_e32 v26, 8, v49
	v_sub_nc_u32_e32 v91, v90, v91
	s_wait_alu 0xfffd
	v_cndmask_b32_e32 v29, v46, v29, vcc_lo
	v_cmp_eq_u32_e32 vcc_lo, 1, v79
	v_lshrrev_b32_e32 v12, 8, v51
	v_and_b32_e32 v26, 1, v26
	v_add_nc_u32_e32 v91, 1, v91
	v_lshrrev_b32_e32 v10, 16, v51
	v_lshrrev_b32_e32 v11, 8, v52
	v_and_b32_e32 v12, 1, v12
	v_lshrrev_b32_e32 v9, 16, v52
	s_wait_alu 0xfffd
	v_cndmask_b32_e32 v46, v91, v78, vcc_lo
	v_cmp_eq_u32_e32 vcc_lo, 1, v47
	v_add_nc_u32_e32 v82, v75, v60
	v_sub_nc_u32_e32 v75, v75, v8
	v_and_b32_e32 v60, 1, v60
	v_and_b32_e32 v10, 1, v10
	s_wait_alu 0xfffd
	v_cndmask_b32_e32 v29, v29, v86, vcc_lo
	v_cmp_eq_u32_e32 vcc_lo, 1, v80
	v_add_nc_u32_e32 v75, v75, v5
	v_sub_nc_u32_e32 v80, v82, v8
	v_and_b32_e32 v11, 1, v11
	v_lshlrev_b32_e32 v29, 2, v29
	s_wait_alu 0xfffd
	v_cndmask_b32_e32 v77, v46, v77, vcc_lo
	v_add_nc_u32_e32 v76, v74, v76
	v_sub_nc_u32_e32 v74, v74, v7
	v_add_co_u32 v46, vcc_lo, v84, v8
	s_wait_alu 0xfffd
	v_add_co_ci_u32_e64 v47, null, 0, v85, vcc_lo
	s_delay_alu instid0(VALU_DEP_3)
	v_add_nc_u32_e32 v79, v75, v74
	v_cmp_eq_u32_e32 vcc_lo, 1, v60
	v_add_nc_u32_e32 v83, v76, v59
	v_lshlrev_b32_e32 v77, 2, v77
	ds_store_b32 v29, v23
	ds_store_b32 v77, v24
	v_sub_nc_u32_e32 v79, v90, v79
	v_and_b32_e32 v9, 1, v9
	s_delay_alu instid0(VALU_DEP_2) | instskip(SKIP_1) | instid1(VALU_DEP_1)
	v_add_nc_u32_e32 v79, 2, v79
	s_wait_alu 0xfffd
	v_dual_cndmask_b32 v60, v79, v75 :: v_dual_add_nc_u32 v73, v82, v73
	s_delay_alu instid0(VALU_DEP_1)
	v_add_nc_u32_e32 v72, v73, v72
	v_sub_nc_u32_e32 v75, v76, v7
	v_sub_nc_u32_e32 v73, v73, v8
	v_add_nc_u32_e32 v76, v80, v5
	v_cmp_eq_u32_e32 vcc_lo, 1, v30
	s_wait_alu 0xfffd
	s_delay_alu instid0(VALU_DEP_3)
	v_dual_cndmask_b32 v30, v60, v74 :: v_dual_add_nc_u32 v73, v73, v5
	v_sub_nc_u32_e32 v60, v83, v7
	v_add_nc_u32_e32 v74, v75, v76
	v_cmp_eq_u32_e32 vcc_lo, 1, v48
	v_and_b32_e32 v48, 1, v49
	v_lshlrev_b32_e32 v23, 2, v30
	v_add_nc_u32_e32 v24, v60, v73
	v_sub_nc_u32_e32 v29, v90, v74
	v_and_b32_e32 v30, 1, v59
	v_sub_nc_u32_e32 v59, v72, v8
	ds_store_b32 v23, v21
	v_sub_nc_u32_e32 v24, v90, v24
	v_add_nc_u32_e32 v29, 3, v29
	v_and_b32_e32 v23, 1, v27
	v_add_nc_u32_e32 v59, v59, v5
	s_delay_alu instid0(VALU_DEP_4)
	v_add_nc_u32_e32 v24, 4, v24
	s_wait_alu 0xfffd
	v_cndmask_b32_e32 v29, v29, v76, vcc_lo
	v_cmp_eq_u32_e32 vcc_lo, 1, v28
	s_wait_alu 0xfffd
	v_dual_cndmask_b32 v24, v24, v73 :: v_dual_add_nc_u32 v71, v83, v71
	s_delay_alu instid0(VALU_DEP_1) | instskip(SKIP_2) | instid1(VALU_DEP_3)
	v_add_nc_u32_e32 v69, v71, v69
	v_sub_nc_u32_e32 v71, v71, v7
	v_cmp_eq_u32_e32 vcc_lo, 1, v30
	v_add_nc_u32_e32 v65, v69, v65
	s_delay_alu instid0(VALU_DEP_3)
	v_add_nc_u32_e32 v49, v71, v59
	s_wait_alu 0xfffd
	v_cndmask_b32_e32 v28, v29, v75, vcc_lo
	v_cmp_eq_u32_e32 vcc_lo, 1, v48
	v_add_nc_u32_e32 v89, v65, v57
	v_sub_nc_u32_e32 v29, v90, v49
	s_delay_alu instid0(VALU_DEP_4)
	v_lshlrev_b32_e32 v21, 2, v28
	s_wait_alu 0xfffd
	v_cndmask_b32_e32 v24, v24, v60, vcc_lo
	v_cmp_eq_u32_e32 vcc_lo, 1, v23
	v_sub_nc_u32_e32 v48, v89, v7
	v_add_nc_u32_e32 v27, 5, v29
	v_add_nc_u32_e32 v66, v89, v66
	v_lshlrev_b32_e32 v24, 2, v24
	ds_store_b32 v21, v22
	ds_store_b32 v24, v19
	s_wait_alu 0xfffd
	v_cndmask_b32_e32 v23, v27, v59, vcc_lo
	v_cmp_eq_u32_e32 vcc_lo, 1, v26
	v_sub_nc_u32_e32 v27, v69, v7
	v_sub_nc_u32_e32 v26, v65, v7
	v_and_b32_e32 v24, 1, v58
	v_add_nc_u32_e32 v63, v66, v63
	s_wait_alu 0xfffd
	v_dual_cndmask_b32 v23, v23, v71 :: v_dual_add_nc_u32 v70, v72, v70
	s_delay_alu instid0(VALU_DEP_3) | instskip(SKIP_1) | instid1(VALU_DEP_3)
	v_cmp_eq_u32_e32 vcc_lo, 1, v24
	v_and_b32_e32 v24, 1, v57
	v_lshlrev_b32_e32 v19, 2, v23
	s_delay_alu instid0(VALU_DEP_4) | instskip(SKIP_3) | instid1(VALU_DEP_4)
	v_add_nc_u32_e32 v88, v70, v58
	v_sub_nc_u32_e32 v28, v70, v8
	v_and_b32_e32 v23, 1, v25
	v_add_nc_u32_e32 v62, v63, v62
	v_sub_nc_u32_e32 v29, v88, v8
	s_delay_alu instid0(VALU_DEP_4) | instskip(SKIP_1) | instid1(VALU_DEP_4)
	v_add_nc_u32_e32 v28, v28, v5
	v_add_nc_u32_e32 v68, v88, v68
	;; [unrolled: 1-line block ×3, first 2 shown]
	s_delay_alu instid0(VALU_DEP_4) | instskip(NEXT) | instid1(VALU_DEP_4)
	v_add_nc_u32_e32 v29, v29, v5
	v_add_nc_u32_e32 v30, v27, v28
	s_delay_alu instid0(VALU_DEP_4) | instskip(SKIP_1) | instid1(VALU_DEP_4)
	v_sub_nc_u32_e32 v25, v68, v8
	v_add_nc_u32_e32 v67, v68, v67
	v_add_nc_u32_e32 v21, v26, v29
	s_delay_alu instid0(VALU_DEP_4)
	v_sub_nc_u32_e32 v22, v90, v30
	v_and_b32_e32 v30, 1, v51
	v_add_nc_u32_e32 v25, v25, v5
	v_add_nc_u32_e32 v64, v67, v64
	v_sub_nc_u32_e32 v21, v90, v21
	v_add_nc_u32_e32 v22, 6, v22
	s_delay_alu instid0(VALU_DEP_3) | instskip(SKIP_1) | instid1(VALU_DEP_2)
	v_add_nc_u32_e32 v92, v64, v56
	s_wait_alu 0xfffd
	v_dual_cndmask_b32 v22, v22, v28 :: v_dual_add_nc_u32 v21, 7, v21
	v_cmp_eq_u32_e32 vcc_lo, 1, v30
	v_add_nc_u32_e32 v28, v48, v25
	v_add_nc_u32_e32 v61, v92, v61
	s_wait_alu 0xfffd
	v_cndmask_b32_e32 v21, v21, v29, vcc_lo
	v_cmp_eq_u32_e32 vcc_lo, 1, v23
	v_sub_nc_u32_e32 v23, v90, v28
	s_wait_alu 0xfffd
	v_cndmask_b32_e32 v22, v22, v27, vcc_lo
	v_cmp_eq_u32_e32 vcc_lo, 1, v24
	v_sub_nc_u32_e32 v24, v67, v8
	v_add_nc_u32_e32 v23, 8, v23
	v_sub_nc_u32_e32 v27, v66, v7
	v_lshlrev_b32_e32 v22, 2, v22
	s_wait_alu 0xfffd
	v_dual_cndmask_b32 v21, v21, v26 :: v_dual_add_nc_u32 v24, v24, v5
	v_cmp_eq_u32_e32 vcc_lo, 1, v12
	v_and_b32_e32 v26, 1, v52
	s_delay_alu instid0(VALU_DEP_3)
	v_lshlrev_b32_e32 v21, 2, v21
	ds_store_b32 v19, v20
	ds_store_b32 v22, v17
	;; [unrolled: 1-line block ×3, first 2 shown]
	s_wait_alu 0xfffd
	v_cndmask_b32_e32 v12, v23, v25, vcc_lo
	v_add_nc_u32_e32 v23, v27, v24
	v_cmp_eq_u32_e32 vcc_lo, 1, v26
	v_sub_nc_u32_e32 v18, v64, v8
	v_sub_nc_u32_e32 v19, v63, v7
	;; [unrolled: 1-line block ×4, first 2 shown]
	s_wait_alu 0xfffd
	v_cndmask_b32_e32 v12, v12, v48, vcc_lo
	v_add_nc_u32_e32 v18, v18, v5
	v_cmp_eq_u32_e32 vcc_lo, 1, v10
	v_add_nc_u32_e32 v20, v20, v5
	v_add_nc_u32_e32 v17, 9, v17
	v_lshlrev_b32_e32 v12, 2, v12
	v_add_nc_u32_e32 v21, v19, v18
	v_and_b32_e32 v22, 1, v50
	s_wait_alu 0xfffd
	v_cndmask_b32_e32 v10, v17, v24, vcc_lo
	v_sub_nc_u32_e32 v17, v62, v7
	ds_store_b32 v12, v15
	v_cmp_eq_u32_e32 vcc_lo, 1, v11
	v_sub_nc_u32_e32 v12, v90, v21
	v_and_b32_e32 v15, 1, v56
	v_add_nc_u32_e32 v11, v17, v20
	v_sub_nc_u32_e32 v21, v61, v8
	s_wait_alu 0xfffd
	v_cndmask_b32_e32 v10, v10, v27, vcc_lo
	v_add_nc_u32_e32 v12, 10, v12
	v_cmp_eq_u32_e32 vcc_lo, 1, v15
	v_sub_nc_u32_e32 v11, v90, v11
	v_sub_nc_u32_e32 v7, v78, v7
	v_add_nc_u32_e32 v21, v21, v5
	s_wait_alu 0xfffd
	v_dual_cndmask_b32 v12, v12, v18 :: v_dual_and_b32 v15, 1, v55
	v_add_nc_u32_e32 v11, 11, v11
	v_cmp_eq_u32_e32 vcc_lo, 1, v22
	v_add_nc_u32_e32 v18, v7, v21
	s_wait_alu 0xfffd
	s_delay_alu instid0(VALU_DEP_3)
	v_dual_cndmask_b32 v11, v11, v20 :: v_dual_lshlrev_b32 v10, 2, v10
	v_cmp_eq_u32_e32 vcc_lo, 1, v9
	s_wait_alu 0xfffd
	v_cndmask_b32_e32 v9, v12, v19, vcc_lo
	v_cmp_eq_u32_e32 vcc_lo, 1, v15
	v_sub_nc_u32_e32 v12, v90, v18
	v_and_b32_e32 v15, 1, v53
	s_delay_alu instid0(VALU_DEP_4) | instskip(SKIP_1) | instid1(VALU_DEP_3)
	v_lshlrev_b32_e32 v9, 2, v9
	s_wait_alu 0xfffd
	v_dual_cndmask_b32 v11, v11, v17 :: v_dual_add_nc_u32 v12, 12, v12
	v_and_b32_e32 v17, 1, v54
	v_cmp_eq_u32_e32 vcc_lo, 1, v15
	s_delay_alu instid0(VALU_DEP_3)
	v_lshlrev_b32_e32 v11, 2, v11
	ds_store_b32 v10, v16
	ds_store_b32 v9, v13
	;; [unrolled: 1-line block ×3, first 2 shown]
	s_wait_alu 0xfffd
	v_cndmask_b32_e32 v12, v12, v21, vcc_lo
	v_cmp_eq_u32_e32 vcc_lo, 1, v17
	v_add_co_u32 v9, s0, v6, v87
	s_wait_alu 0xf1ff
	v_add_co_ci_u32_e64 v10, null, 0, 0, s0
	s_wait_alu 0xfffd
	v_cndmask_b32_e32 v7, v12, v7, vcc_lo
	v_add_co_u32 v9, vcc_lo, v9, v46
	s_wait_alu 0xfffd
	v_add_co_ci_u32_e64 v10, null, v10, v47, vcc_lo
	s_delay_alu instid0(VALU_DEP_3)
	v_lshlrev_b32_e32 v7, 2, v7
	v_add_co_u32 v11, s0, s34, v43
	v_add_co_u32 v9, vcc_lo, v9, v1
	s_wait_alu 0xf1ff
	v_add_co_ci_u32_e64 v12, null, s35, 0, s0
	s_wait_alu 0xfffd
	v_add_co_ci_u32_e64 v10, null, v10, v2, vcc_lo
	ds_store_b32 v7, v45
	v_sub_co_u32 v7, vcc_lo, v11, v9
	s_wait_alu 0xfffd
	v_sub_co_ci_u32_e64 v13, null, v12, v10, vcc_lo
	v_lshlrev_b64_e32 v[9:10], 2, v[46:47]
	v_lshlrev_b64_e32 v[11:12], 2, v[1:2]
	v_add_nc_u32_e32 v14, v5, v6
	s_wait_loadcnt_dscnt 0x0
	s_barrier_signal -1
	s_barrier_wait -1
	v_add_co_u32 v9, vcc_lo, s30, v9
	s_wait_alu 0xfffd
	v_add_co_ci_u32_e64 v10, null, s31, v10, vcc_lo
	v_cmp_ne_u32_e32 vcc_lo, 1, v44
	v_add_co_u32 v11, s0, s28, v11
	s_wait_alu 0xf1ff
	v_add_co_ci_u32_e64 v12, null, s29, v12, s0
	s_mov_b32 s0, -1
	global_inv scope:SCOPE_SE
	s_cbranch_vccz .LBB1497_154
; %bb.151:
	s_wait_alu 0xfffe
	s_and_b32 vcc_lo, exec_lo, s0
	s_wait_alu 0xfffe
	s_cbranch_vccnz .LBB1497_259
.LBB1497_152:
	s_and_b32 s0, s2, s26
	s_wait_alu 0xfffe
	s_and_saveexec_b32 s1, s0
	s_cbranch_execnz .LBB1497_377
.LBB1497_153:
	s_nop 0
	s_sendmsg sendmsg(MSG_DEALLOC_VGPRS)
	s_endpgm
.LBB1497_154:
	s_mov_b32 s0, exec_lo
	v_cmpx_ge_u32_e64 v0, v5
	s_wait_alu 0xfffe
	s_xor_b32 s0, exec_lo, s0
	s_cbranch_execz .LBB1497_160
; %bb.155:
	s_mov_b32 s1, exec_lo
	v_cmpx_ge_u32_e64 v0, v14
	s_wait_alu 0xfffe
	s_xor_b32 s1, exec_lo, s1
	s_cbranch_execz .LBB1497_157
; %bb.156:
	v_lshlrev_b32_e32 v15, 2, v0
	ds_load_b32 v17, v15
	v_add_co_u32 v15, vcc_lo, v7, v0
	s_wait_alu 0xfffd
	v_add_co_ci_u32_e64 v16, null, 0, v13, vcc_lo
	s_delay_alu instid0(VALU_DEP_1) | instskip(NEXT) | instid1(VALU_DEP_1)
	v_lshlrev_b64_e32 v[15:16], 2, v[15:16]
	v_sub_co_u32 v15, vcc_lo, s14, v15
	s_wait_alu 0xfffd
	s_delay_alu instid0(VALU_DEP_2)
	v_sub_co_ci_u32_e64 v16, null, s15, v16, vcc_lo
	s_wait_dscnt 0x0
	global_store_b32 v[15:16], v17, off offset:-4
.LBB1497_157:
	s_wait_alu 0xfffe
	s_and_not1_saveexec_b32 s1, s1
	s_cbranch_execz .LBB1497_159
; %bb.158:
	v_lshlrev_b32_e32 v15, 2, v0
	v_readfirstlane_b32 s4, v9
	v_readfirstlane_b32 s5, v10
	ds_load_b32 v16, v15
	s_wait_dscnt 0x0
	global_store_b32 v15, v16, s[4:5]
.LBB1497_159:
	s_wait_alu 0xfffe
	s_or_b32 exec_lo, exec_lo, s1
.LBB1497_160:
	s_wait_alu 0xfffe
	s_and_not1_saveexec_b32 s0, s0
	s_cbranch_execz .LBB1497_162
; %bb.161:
	v_lshlrev_b32_e32 v15, 2, v0
	v_readfirstlane_b32 s4, v11
	v_readfirstlane_b32 s5, v12
	ds_load_b32 v16, v15
	s_wait_dscnt 0x0
	global_store_b32 v15, v16, s[4:5]
.LBB1497_162:
	s_wait_alu 0xfffe
	s_or_b32 exec_lo, exec_lo, s0
	s_delay_alu instid0(SALU_CYCLE_1)
	s_mov_b32 s0, exec_lo
	v_cmpx_ge_u32_e64 v42, v5
	s_wait_alu 0xfffe
	s_xor_b32 s0, exec_lo, s0
	s_cbranch_execz .LBB1497_168
; %bb.163:
	s_mov_b32 s1, exec_lo
	v_cmpx_ge_u32_e64 v42, v14
	s_wait_alu 0xfffe
	s_xor_b32 s1, exec_lo, s1
	s_cbranch_execz .LBB1497_165
; %bb.164:
	v_lshlrev_b32_e32 v15, 2, v0
	ds_load_b32 v17, v15 offset:1024
	v_add_co_u32 v15, vcc_lo, v7, v0
	s_wait_alu 0xfffd
	v_add_co_ci_u32_e64 v16, null, 0, v13, vcc_lo
	s_delay_alu instid0(VALU_DEP_1) | instskip(NEXT) | instid1(VALU_DEP_1)
	v_lshlrev_b64_e32 v[15:16], 2, v[15:16]
	v_sub_co_u32 v15, vcc_lo, s14, v15
	s_wait_alu 0xfffd
	s_delay_alu instid0(VALU_DEP_2)
	v_sub_co_ci_u32_e64 v16, null, s15, v16, vcc_lo
	s_wait_dscnt 0x0
	global_store_b32 v[15:16], v17, off offset:-1028
.LBB1497_165:
	s_wait_alu 0xfffe
	s_and_not1_saveexec_b32 s1, s1
	s_cbranch_execz .LBB1497_167
; %bb.166:
	v_lshlrev_b32_e32 v15, 2, v0
	v_readfirstlane_b32 s4, v9
	v_readfirstlane_b32 s5, v10
	ds_load_b32 v16, v15 offset:1024
	s_wait_dscnt 0x0
	global_store_b32 v15, v16, s[4:5] offset:1024
.LBB1497_167:
	s_wait_alu 0xfffe
	s_or_b32 exec_lo, exec_lo, s1
.LBB1497_168:
	s_wait_alu 0xfffe
	s_and_not1_saveexec_b32 s0, s0
	s_cbranch_execz .LBB1497_170
; %bb.169:
	v_lshlrev_b32_e32 v15, 2, v0
	v_readfirstlane_b32 s4, v11
	v_readfirstlane_b32 s5, v12
	ds_load_b32 v16, v15 offset:1024
	s_wait_dscnt 0x0
	global_store_b32 v15, v16, s[4:5] offset:1024
.LBB1497_170:
	s_wait_alu 0xfffe
	s_or_b32 exec_lo, exec_lo, s0
	s_delay_alu instid0(SALU_CYCLE_1)
	s_mov_b32 s0, exec_lo
	v_cmpx_ge_u32_e64 v41, v5
	s_wait_alu 0xfffe
	s_xor_b32 s0, exec_lo, s0
	s_cbranch_execz .LBB1497_176
; %bb.171:
	s_mov_b32 s1, exec_lo
	v_cmpx_ge_u32_e64 v41, v14
	s_wait_alu 0xfffe
	s_xor_b32 s1, exec_lo, s1
	s_cbranch_execz .LBB1497_173
; %bb.172:
	v_lshlrev_b32_e32 v15, 2, v0
	ds_load_b32 v17, v15 offset:2048
	v_add_co_u32 v15, vcc_lo, v7, v0
	s_wait_alu 0xfffd
	v_add_co_ci_u32_e64 v16, null, 0, v13, vcc_lo
	s_delay_alu instid0(VALU_DEP_1) | instskip(NEXT) | instid1(VALU_DEP_1)
	v_lshlrev_b64_e32 v[15:16], 2, v[15:16]
	v_sub_co_u32 v15, vcc_lo, s14, v15
	s_wait_alu 0xfffd
	s_delay_alu instid0(VALU_DEP_2)
	v_sub_co_ci_u32_e64 v16, null, s15, v16, vcc_lo
	s_wait_dscnt 0x0
	global_store_b32 v[15:16], v17, off offset:-2052
.LBB1497_173:
	s_wait_alu 0xfffe
	s_and_not1_saveexec_b32 s1, s1
	s_cbranch_execz .LBB1497_175
; %bb.174:
	v_lshlrev_b32_e32 v15, 2, v0
	v_readfirstlane_b32 s4, v9
	v_readfirstlane_b32 s5, v10
	ds_load_b32 v16, v15 offset:2048
	s_wait_dscnt 0x0
	global_store_b32 v15, v16, s[4:5] offset:2048
.LBB1497_175:
	s_wait_alu 0xfffe
	s_or_b32 exec_lo, exec_lo, s1
.LBB1497_176:
	s_wait_alu 0xfffe
	s_and_not1_saveexec_b32 s0, s0
	s_cbranch_execz .LBB1497_178
; %bb.177:
	v_lshlrev_b32_e32 v15, 2, v0
	v_readfirstlane_b32 s4, v11
	v_readfirstlane_b32 s5, v12
	ds_load_b32 v16, v15 offset:2048
	s_wait_dscnt 0x0
	global_store_b32 v15, v16, s[4:5] offset:2048
.LBB1497_178:
	;; [unrolled: 54-line block ×12, first 2 shown]
	s_wait_alu 0xfffe
	s_or_b32 exec_lo, exec_lo, s0
	s_branch .LBB1497_152
.LBB1497_259:
	s_mov_b32 s0, exec_lo
	v_cmpx_gt_u32_e64 s27, v0
	s_cbranch_execz .LBB1497_268
; %bb.260:
	s_mov_b32 s1, exec_lo
	v_cmpx_ge_u32_e64 v0, v5
	s_wait_alu 0xfffe
	s_xor_b32 s1, exec_lo, s1
	s_cbranch_execz .LBB1497_266
; %bb.261:
	s_mov_b32 s3, exec_lo
	v_cmpx_ge_u32_e64 v0, v14
	s_wait_alu 0xfffe
	s_xor_b32 s3, exec_lo, s3
	s_cbranch_execz .LBB1497_263
; %bb.262:
	v_lshlrev_b32_e32 v15, 2, v0
	ds_load_b32 v17, v15
	v_add_co_u32 v15, vcc_lo, v7, v0
	s_wait_alu 0xfffd
	v_add_co_ci_u32_e64 v16, null, 0, v13, vcc_lo
	s_delay_alu instid0(VALU_DEP_1) | instskip(NEXT) | instid1(VALU_DEP_1)
	v_lshlrev_b64_e32 v[15:16], 2, v[15:16]
	v_sub_co_u32 v15, vcc_lo, s14, v15
	s_wait_alu 0xfffd
	s_delay_alu instid0(VALU_DEP_2)
	v_sub_co_ci_u32_e64 v16, null, s15, v16, vcc_lo
	s_wait_dscnt 0x0
	global_store_b32 v[15:16], v17, off offset:-4
.LBB1497_263:
	s_wait_alu 0xfffe
	s_and_not1_saveexec_b32 s3, s3
	s_cbranch_execz .LBB1497_265
; %bb.264:
	v_lshlrev_b32_e32 v15, 2, v0
	v_readfirstlane_b32 s4, v9
	v_readfirstlane_b32 s5, v10
	ds_load_b32 v16, v15
	s_wait_dscnt 0x0
	global_store_b32 v15, v16, s[4:5]
.LBB1497_265:
	s_wait_alu 0xfffe
	s_or_b32 exec_lo, exec_lo, s3
.LBB1497_266:
	s_wait_alu 0xfffe
	s_and_not1_saveexec_b32 s1, s1
	s_cbranch_execz .LBB1497_268
; %bb.267:
	v_lshlrev_b32_e32 v15, 2, v0
	v_readfirstlane_b32 s4, v11
	v_readfirstlane_b32 s5, v12
	ds_load_b32 v16, v15
	s_wait_dscnt 0x0
	global_store_b32 v15, v16, s[4:5]
.LBB1497_268:
	s_wait_alu 0xfffe
	s_or_b32 exec_lo, exec_lo, s0
	s_delay_alu instid0(SALU_CYCLE_1)
	s_mov_b32 s0, exec_lo
	v_cmpx_gt_u32_e64 s27, v42
	s_cbranch_execz .LBB1497_277
; %bb.269:
	s_mov_b32 s1, exec_lo
	v_cmpx_ge_u32_e64 v42, v5
	s_wait_alu 0xfffe
	s_xor_b32 s1, exec_lo, s1
	s_cbranch_execz .LBB1497_275
; %bb.270:
	s_mov_b32 s3, exec_lo
	v_cmpx_ge_u32_e64 v42, v14
	s_wait_alu 0xfffe
	s_xor_b32 s3, exec_lo, s3
	s_cbranch_execz .LBB1497_272
; %bb.271:
	v_lshlrev_b32_e32 v15, 2, v0
	ds_load_b32 v17, v15 offset:1024
	v_add_co_u32 v15, vcc_lo, v7, v0
	s_wait_alu 0xfffd
	v_add_co_ci_u32_e64 v16, null, 0, v13, vcc_lo
	s_delay_alu instid0(VALU_DEP_1) | instskip(NEXT) | instid1(VALU_DEP_1)
	v_lshlrev_b64_e32 v[15:16], 2, v[15:16]
	v_sub_co_u32 v15, vcc_lo, s14, v15
	s_wait_alu 0xfffd
	s_delay_alu instid0(VALU_DEP_2)
	v_sub_co_ci_u32_e64 v16, null, s15, v16, vcc_lo
	s_wait_dscnt 0x0
	global_store_b32 v[15:16], v17, off offset:-1028
.LBB1497_272:
	s_wait_alu 0xfffe
	s_and_not1_saveexec_b32 s3, s3
	s_cbranch_execz .LBB1497_274
; %bb.273:
	v_lshlrev_b32_e32 v15, 2, v0
	v_readfirstlane_b32 s4, v9
	v_readfirstlane_b32 s5, v10
	ds_load_b32 v16, v15 offset:1024
	s_wait_dscnt 0x0
	global_store_b32 v15, v16, s[4:5] offset:1024
.LBB1497_274:
	s_wait_alu 0xfffe
	s_or_b32 exec_lo, exec_lo, s3
.LBB1497_275:
	s_wait_alu 0xfffe
	s_and_not1_saveexec_b32 s1, s1
	s_cbranch_execz .LBB1497_277
; %bb.276:
	v_lshlrev_b32_e32 v15, 2, v0
	v_readfirstlane_b32 s4, v11
	v_readfirstlane_b32 s5, v12
	ds_load_b32 v16, v15 offset:1024
	s_wait_dscnt 0x0
	global_store_b32 v15, v16, s[4:5] offset:1024
.LBB1497_277:
	s_wait_alu 0xfffe
	s_or_b32 exec_lo, exec_lo, s0
	s_delay_alu instid0(SALU_CYCLE_1)
	s_mov_b32 s0, exec_lo
	v_cmpx_gt_u32_e64 s27, v41
	s_cbranch_execz .LBB1497_286
; %bb.278:
	s_mov_b32 s1, exec_lo
	v_cmpx_ge_u32_e64 v41, v5
	s_wait_alu 0xfffe
	s_xor_b32 s1, exec_lo, s1
	s_cbranch_execz .LBB1497_284
; %bb.279:
	s_mov_b32 s3, exec_lo
	v_cmpx_ge_u32_e64 v41, v14
	s_wait_alu 0xfffe
	s_xor_b32 s3, exec_lo, s3
	s_cbranch_execz .LBB1497_281
; %bb.280:
	v_lshlrev_b32_e32 v15, 2, v0
	ds_load_b32 v17, v15 offset:2048
	v_add_co_u32 v15, vcc_lo, v7, v0
	s_wait_alu 0xfffd
	v_add_co_ci_u32_e64 v16, null, 0, v13, vcc_lo
	s_delay_alu instid0(VALU_DEP_1) | instskip(NEXT) | instid1(VALU_DEP_1)
	v_lshlrev_b64_e32 v[15:16], 2, v[15:16]
	v_sub_co_u32 v15, vcc_lo, s14, v15
	s_wait_alu 0xfffd
	s_delay_alu instid0(VALU_DEP_2)
	v_sub_co_ci_u32_e64 v16, null, s15, v16, vcc_lo
	s_wait_dscnt 0x0
	global_store_b32 v[15:16], v17, off offset:-2052
.LBB1497_281:
	s_wait_alu 0xfffe
	s_and_not1_saveexec_b32 s3, s3
	s_cbranch_execz .LBB1497_283
; %bb.282:
	v_lshlrev_b32_e32 v15, 2, v0
	v_readfirstlane_b32 s4, v9
	v_readfirstlane_b32 s5, v10
	ds_load_b32 v16, v15 offset:2048
	s_wait_dscnt 0x0
	global_store_b32 v15, v16, s[4:5] offset:2048
.LBB1497_283:
	s_wait_alu 0xfffe
	s_or_b32 exec_lo, exec_lo, s3
.LBB1497_284:
	s_wait_alu 0xfffe
	s_and_not1_saveexec_b32 s1, s1
	s_cbranch_execz .LBB1497_286
; %bb.285:
	v_lshlrev_b32_e32 v15, 2, v0
	v_readfirstlane_b32 s4, v11
	v_readfirstlane_b32 s5, v12
	ds_load_b32 v16, v15 offset:2048
	s_wait_dscnt 0x0
	global_store_b32 v15, v16, s[4:5] offset:2048
.LBB1497_286:
	;; [unrolled: 58-line block ×11, first 2 shown]
	s_wait_alu 0xfffe
	s_or_b32 exec_lo, exec_lo, s0
	s_delay_alu instid0(SALU_CYCLE_1)
	s_mov_b32 s0, exec_lo
	v_cmpx_gt_u32_e64 s27, v31
	s_cbranch_execz .LBB1497_376
; %bb.368:
	s_mov_b32 s1, exec_lo
	v_cmpx_ge_u32_e64 v31, v5
	s_wait_alu 0xfffe
	s_xor_b32 s1, exec_lo, s1
	s_cbranch_execz .LBB1497_374
; %bb.369:
	s_mov_b32 s3, exec_lo
	v_cmpx_ge_u32_e64 v31, v14
	s_wait_alu 0xfffe
	s_xor_b32 s3, exec_lo, s3
	s_cbranch_execz .LBB1497_371
; %bb.370:
	v_lshlrev_b32_e32 v9, 2, v0
	ds_load_b32 v11, v9 offset:12288
	v_add_co_u32 v9, vcc_lo, v7, v0
	s_wait_alu 0xfffd
	v_add_co_ci_u32_e64 v10, null, 0, v13, vcc_lo
                                        ; implicit-def: $vgpr0
	s_delay_alu instid0(VALU_DEP_1) | instskip(NEXT) | instid1(VALU_DEP_1)
	v_lshlrev_b64_e32 v[9:10], 2, v[9:10]
	v_sub_co_u32 v9, vcc_lo, s14, v9
	s_wait_alu 0xfffd
	s_delay_alu instid0(VALU_DEP_2)
	v_sub_co_ci_u32_e64 v10, null, s15, v10, vcc_lo
	s_wait_dscnt 0x0
	global_store_b32 v[9:10], v11, off offset:-12292
                                        ; implicit-def: $vgpr9_vgpr10
.LBB1497_371:
	s_wait_alu 0xfffe
	s_and_not1_saveexec_b32 s3, s3
	s_cbranch_execz .LBB1497_373
; %bb.372:
	v_lshlrev_b32_e32 v0, 2, v0
	v_readfirstlane_b32 s4, v9
	v_readfirstlane_b32 s5, v10
	ds_load_b32 v7, v0 offset:12288
	s_wait_dscnt 0x0
	global_store_b32 v0, v7, s[4:5] offset:12288
.LBB1497_373:
	s_wait_alu 0xfffe
	s_or_b32 exec_lo, exec_lo, s3
                                        ; implicit-def: $vgpr0
                                        ; implicit-def: $vgpr11_vgpr12
.LBB1497_374:
	s_wait_alu 0xfffe
	s_and_not1_saveexec_b32 s1, s1
	s_cbranch_execz .LBB1497_376
; %bb.375:
	v_lshlrev_b32_e32 v0, 2, v0
	v_readfirstlane_b32 s4, v11
	v_readfirstlane_b32 s5, v12
	ds_load_b32 v7, v0 offset:12288
	s_wait_dscnt 0x0
	global_store_b32 v0, v7, s[4:5] offset:12288
.LBB1497_376:
	s_wait_alu 0xfffe
	s_or_b32 exec_lo, exec_lo, s0
	s_and_b32 s0, s2, s26
	s_wait_alu 0xfffe
	s_and_saveexec_b32 s1, s0
	s_cbranch_execz .LBB1497_153
.LBB1497_377:
	v_add_co_u32 v0, vcc_lo, v3, v6
	s_wait_alu 0xfffd
	v_add_co_ci_u32_e64 v4, null, 0, v4, vcc_lo
	v_mov_b32_e32 v6, 0
	s_delay_alu instid0(VALU_DEP_3) | instskip(SKIP_1) | instid1(VALU_DEP_3)
	v_add_co_u32 v3, vcc_lo, v0, v8
	s_wait_alu 0xfffd
	v_add_co_ci_u32_e64 v4, null, 0, v4, vcc_lo
	v_add_co_u32 v1, vcc_lo, v1, v5
	s_wait_alu 0xfffd
	v_add_co_ci_u32_e64 v2, null, 0, v2, vcc_lo
	global_store_b128 v6, v[1:4], s[24:25]
	s_nop 0
	s_sendmsg sendmsg(MSG_DEALLOC_VGPRS)
	s_endpgm
.LBB1497_378:
	s_add_co_i32 s6, s33, 32
	s_mov_b32 s7, 0
	v_dual_mov_b32 v11, 2 :: v_dual_add_nc_u32 v10, v8, v6
	s_wait_alu 0xfffe
	s_lshl_b64 s[6:7], s[6:7], 4
	v_dual_mov_b32 v12, 0 :: v_dual_add_nc_u32 v9, v7, v5
	s_wait_alu 0xfffe
	s_add_nc_u64 s[6:7], s[36:37], s[6:7]
	s_wait_alu 0xfffe
	v_dual_mov_b32 v28, s7 :: v_dual_mov_b32 v27, s6
	;;#ASMSTART
	global_store_b128 v[27:28], v[9:12] off scope:SCOPE_DEV	
s_wait_storecnt 0x0
	;;#ASMEND
	s_or_b32 exec_lo, exec_lo, s5
	s_and_saveexec_b32 s5, s3
	s_cbranch_execz .LBB1497_138
.LBB1497_379:
	v_mov_b32_e32 v9, 0
	ds_store_b128 v9, v[5:8] offset:13312
	s_wait_alu 0xfffe
	s_or_b32 exec_lo, exec_lo, s5
	s_delay_alu instid0(SALU_CYCLE_1)
	s_and_b32 exec_lo, exec_lo, s2
	s_cbranch_execnz .LBB1497_139
	s_branch .LBB1497_140
	.section	.rodata,"a",@progbits
	.p2align	6, 0x0
	.amdhsa_kernel _ZN7rocprim17ROCPRIM_400000_NS6detail17trampoline_kernelINS0_13select_configILj256ELj13ELNS0_17block_load_methodE3ELS4_3ELS4_3ELNS0_20block_scan_algorithmE0ELj4294967295EEENS1_25partition_config_selectorILNS1_17partition_subalgoE4EjNS0_10empty_typeEbEEZZNS1_14partition_implILS8_4ELb0ES6_15HIP_vector_typeIjLj2EENS0_17counting_iteratorIjlEEPS9_SG_NS0_5tupleIJPjSI_NS0_16reverse_iteratorISI_EEEEENSH_IJSG_SG_SG_EEES9_SI_JZNS1_25segmented_radix_sort_implINS0_14default_configELb1EPKbPbPKlPlN2at6native12_GLOBAL__N_18offset_tEEE10hipError_tPvRmT1_PNSt15iterator_traitsIS12_E10value_typeET2_T3_PNS13_IS18_E10value_typeET4_jRbjT5_S1E_jjP12ihipStream_tbEUljE_ZNSN_ISO_Lb1ESQ_SR_ST_SU_SY_EESZ_S10_S11_S12_S16_S17_S18_S1B_S1C_jS1D_jS1E_S1E_jjS1G_bEUljE0_EEESZ_S10_S11_S18_S1C_S1E_T6_T7_T9_mT8_S1G_bDpT10_ENKUlT_T0_E_clISt17integral_constantIbLb0EES1T_IbLb1EEEEDaS1P_S1Q_EUlS1P_E_NS1_11comp_targetILNS1_3genE10ELNS1_11target_archE1200ELNS1_3gpuE4ELNS1_3repE0EEENS1_30default_config_static_selectorELNS0_4arch9wavefront6targetE0EEEvS12_
		.amdhsa_group_segment_fixed_size 13328
		.amdhsa_private_segment_fixed_size 0
		.amdhsa_kernarg_size 184
		.amdhsa_user_sgpr_count 2
		.amdhsa_user_sgpr_dispatch_ptr 0
		.amdhsa_user_sgpr_queue_ptr 0
		.amdhsa_user_sgpr_kernarg_segment_ptr 1
		.amdhsa_user_sgpr_dispatch_id 0
		.amdhsa_user_sgpr_private_segment_size 0
		.amdhsa_wavefront_size32 1
		.amdhsa_uses_dynamic_stack 0
		.amdhsa_enable_private_segment 0
		.amdhsa_system_sgpr_workgroup_id_x 1
		.amdhsa_system_sgpr_workgroup_id_y 0
		.amdhsa_system_sgpr_workgroup_id_z 0
		.amdhsa_system_sgpr_workgroup_info 0
		.amdhsa_system_vgpr_workitem_id 0
		.amdhsa_next_free_vgpr 98
		.amdhsa_next_free_sgpr 55
		.amdhsa_reserve_vcc 1
		.amdhsa_float_round_mode_32 0
		.amdhsa_float_round_mode_16_64 0
		.amdhsa_float_denorm_mode_32 3
		.amdhsa_float_denorm_mode_16_64 3
		.amdhsa_fp16_overflow 0
		.amdhsa_workgroup_processor_mode 1
		.amdhsa_memory_ordered 1
		.amdhsa_forward_progress 1
		.amdhsa_inst_pref_size 151
		.amdhsa_round_robin_scheduling 0
		.amdhsa_exception_fp_ieee_invalid_op 0
		.amdhsa_exception_fp_denorm_src 0
		.amdhsa_exception_fp_ieee_div_zero 0
		.amdhsa_exception_fp_ieee_overflow 0
		.amdhsa_exception_fp_ieee_underflow 0
		.amdhsa_exception_fp_ieee_inexact 0
		.amdhsa_exception_int_div_zero 0
	.end_amdhsa_kernel
	.section	.text._ZN7rocprim17ROCPRIM_400000_NS6detail17trampoline_kernelINS0_13select_configILj256ELj13ELNS0_17block_load_methodE3ELS4_3ELS4_3ELNS0_20block_scan_algorithmE0ELj4294967295EEENS1_25partition_config_selectorILNS1_17partition_subalgoE4EjNS0_10empty_typeEbEEZZNS1_14partition_implILS8_4ELb0ES6_15HIP_vector_typeIjLj2EENS0_17counting_iteratorIjlEEPS9_SG_NS0_5tupleIJPjSI_NS0_16reverse_iteratorISI_EEEEENSH_IJSG_SG_SG_EEES9_SI_JZNS1_25segmented_radix_sort_implINS0_14default_configELb1EPKbPbPKlPlN2at6native12_GLOBAL__N_18offset_tEEE10hipError_tPvRmT1_PNSt15iterator_traitsIS12_E10value_typeET2_T3_PNS13_IS18_E10value_typeET4_jRbjT5_S1E_jjP12ihipStream_tbEUljE_ZNSN_ISO_Lb1ESQ_SR_ST_SU_SY_EESZ_S10_S11_S12_S16_S17_S18_S1B_S1C_jS1D_jS1E_S1E_jjS1G_bEUljE0_EEESZ_S10_S11_S18_S1C_S1E_T6_T7_T9_mT8_S1G_bDpT10_ENKUlT_T0_E_clISt17integral_constantIbLb0EES1T_IbLb1EEEEDaS1P_S1Q_EUlS1P_E_NS1_11comp_targetILNS1_3genE10ELNS1_11target_archE1200ELNS1_3gpuE4ELNS1_3repE0EEENS1_30default_config_static_selectorELNS0_4arch9wavefront6targetE0EEEvS12_,"axG",@progbits,_ZN7rocprim17ROCPRIM_400000_NS6detail17trampoline_kernelINS0_13select_configILj256ELj13ELNS0_17block_load_methodE3ELS4_3ELS4_3ELNS0_20block_scan_algorithmE0ELj4294967295EEENS1_25partition_config_selectorILNS1_17partition_subalgoE4EjNS0_10empty_typeEbEEZZNS1_14partition_implILS8_4ELb0ES6_15HIP_vector_typeIjLj2EENS0_17counting_iteratorIjlEEPS9_SG_NS0_5tupleIJPjSI_NS0_16reverse_iteratorISI_EEEEENSH_IJSG_SG_SG_EEES9_SI_JZNS1_25segmented_radix_sort_implINS0_14default_configELb1EPKbPbPKlPlN2at6native12_GLOBAL__N_18offset_tEEE10hipError_tPvRmT1_PNSt15iterator_traitsIS12_E10value_typeET2_T3_PNS13_IS18_E10value_typeET4_jRbjT5_S1E_jjP12ihipStream_tbEUljE_ZNSN_ISO_Lb1ESQ_SR_ST_SU_SY_EESZ_S10_S11_S12_S16_S17_S18_S1B_S1C_jS1D_jS1E_S1E_jjS1G_bEUljE0_EEESZ_S10_S11_S18_S1C_S1E_T6_T7_T9_mT8_S1G_bDpT10_ENKUlT_T0_E_clISt17integral_constantIbLb0EES1T_IbLb1EEEEDaS1P_S1Q_EUlS1P_E_NS1_11comp_targetILNS1_3genE10ELNS1_11target_archE1200ELNS1_3gpuE4ELNS1_3repE0EEENS1_30default_config_static_selectorELNS0_4arch9wavefront6targetE0EEEvS12_,comdat
.Lfunc_end1497:
	.size	_ZN7rocprim17ROCPRIM_400000_NS6detail17trampoline_kernelINS0_13select_configILj256ELj13ELNS0_17block_load_methodE3ELS4_3ELS4_3ELNS0_20block_scan_algorithmE0ELj4294967295EEENS1_25partition_config_selectorILNS1_17partition_subalgoE4EjNS0_10empty_typeEbEEZZNS1_14partition_implILS8_4ELb0ES6_15HIP_vector_typeIjLj2EENS0_17counting_iteratorIjlEEPS9_SG_NS0_5tupleIJPjSI_NS0_16reverse_iteratorISI_EEEEENSH_IJSG_SG_SG_EEES9_SI_JZNS1_25segmented_radix_sort_implINS0_14default_configELb1EPKbPbPKlPlN2at6native12_GLOBAL__N_18offset_tEEE10hipError_tPvRmT1_PNSt15iterator_traitsIS12_E10value_typeET2_T3_PNS13_IS18_E10value_typeET4_jRbjT5_S1E_jjP12ihipStream_tbEUljE_ZNSN_ISO_Lb1ESQ_SR_ST_SU_SY_EESZ_S10_S11_S12_S16_S17_S18_S1B_S1C_jS1D_jS1E_S1E_jjS1G_bEUljE0_EEESZ_S10_S11_S18_S1C_S1E_T6_T7_T9_mT8_S1G_bDpT10_ENKUlT_T0_E_clISt17integral_constantIbLb0EES1T_IbLb1EEEEDaS1P_S1Q_EUlS1P_E_NS1_11comp_targetILNS1_3genE10ELNS1_11target_archE1200ELNS1_3gpuE4ELNS1_3repE0EEENS1_30default_config_static_selectorELNS0_4arch9wavefront6targetE0EEEvS12_, .Lfunc_end1497-_ZN7rocprim17ROCPRIM_400000_NS6detail17trampoline_kernelINS0_13select_configILj256ELj13ELNS0_17block_load_methodE3ELS4_3ELS4_3ELNS0_20block_scan_algorithmE0ELj4294967295EEENS1_25partition_config_selectorILNS1_17partition_subalgoE4EjNS0_10empty_typeEbEEZZNS1_14partition_implILS8_4ELb0ES6_15HIP_vector_typeIjLj2EENS0_17counting_iteratorIjlEEPS9_SG_NS0_5tupleIJPjSI_NS0_16reverse_iteratorISI_EEEEENSH_IJSG_SG_SG_EEES9_SI_JZNS1_25segmented_radix_sort_implINS0_14default_configELb1EPKbPbPKlPlN2at6native12_GLOBAL__N_18offset_tEEE10hipError_tPvRmT1_PNSt15iterator_traitsIS12_E10value_typeET2_T3_PNS13_IS18_E10value_typeET4_jRbjT5_S1E_jjP12ihipStream_tbEUljE_ZNSN_ISO_Lb1ESQ_SR_ST_SU_SY_EESZ_S10_S11_S12_S16_S17_S18_S1B_S1C_jS1D_jS1E_S1E_jjS1G_bEUljE0_EEESZ_S10_S11_S18_S1C_S1E_T6_T7_T9_mT8_S1G_bDpT10_ENKUlT_T0_E_clISt17integral_constantIbLb0EES1T_IbLb1EEEEDaS1P_S1Q_EUlS1P_E_NS1_11comp_targetILNS1_3genE10ELNS1_11target_archE1200ELNS1_3gpuE4ELNS1_3repE0EEENS1_30default_config_static_selectorELNS0_4arch9wavefront6targetE0EEEvS12_
                                        ; -- End function
	.set _ZN7rocprim17ROCPRIM_400000_NS6detail17trampoline_kernelINS0_13select_configILj256ELj13ELNS0_17block_load_methodE3ELS4_3ELS4_3ELNS0_20block_scan_algorithmE0ELj4294967295EEENS1_25partition_config_selectorILNS1_17partition_subalgoE4EjNS0_10empty_typeEbEEZZNS1_14partition_implILS8_4ELb0ES6_15HIP_vector_typeIjLj2EENS0_17counting_iteratorIjlEEPS9_SG_NS0_5tupleIJPjSI_NS0_16reverse_iteratorISI_EEEEENSH_IJSG_SG_SG_EEES9_SI_JZNS1_25segmented_radix_sort_implINS0_14default_configELb1EPKbPbPKlPlN2at6native12_GLOBAL__N_18offset_tEEE10hipError_tPvRmT1_PNSt15iterator_traitsIS12_E10value_typeET2_T3_PNS13_IS18_E10value_typeET4_jRbjT5_S1E_jjP12ihipStream_tbEUljE_ZNSN_ISO_Lb1ESQ_SR_ST_SU_SY_EESZ_S10_S11_S12_S16_S17_S18_S1B_S1C_jS1D_jS1E_S1E_jjS1G_bEUljE0_EEESZ_S10_S11_S18_S1C_S1E_T6_T7_T9_mT8_S1G_bDpT10_ENKUlT_T0_E_clISt17integral_constantIbLb0EES1T_IbLb1EEEEDaS1P_S1Q_EUlS1P_E_NS1_11comp_targetILNS1_3genE10ELNS1_11target_archE1200ELNS1_3gpuE4ELNS1_3repE0EEENS1_30default_config_static_selectorELNS0_4arch9wavefront6targetE0EEEvS12_.num_vgpr, 98
	.set _ZN7rocprim17ROCPRIM_400000_NS6detail17trampoline_kernelINS0_13select_configILj256ELj13ELNS0_17block_load_methodE3ELS4_3ELS4_3ELNS0_20block_scan_algorithmE0ELj4294967295EEENS1_25partition_config_selectorILNS1_17partition_subalgoE4EjNS0_10empty_typeEbEEZZNS1_14partition_implILS8_4ELb0ES6_15HIP_vector_typeIjLj2EENS0_17counting_iteratorIjlEEPS9_SG_NS0_5tupleIJPjSI_NS0_16reverse_iteratorISI_EEEEENSH_IJSG_SG_SG_EEES9_SI_JZNS1_25segmented_radix_sort_implINS0_14default_configELb1EPKbPbPKlPlN2at6native12_GLOBAL__N_18offset_tEEE10hipError_tPvRmT1_PNSt15iterator_traitsIS12_E10value_typeET2_T3_PNS13_IS18_E10value_typeET4_jRbjT5_S1E_jjP12ihipStream_tbEUljE_ZNSN_ISO_Lb1ESQ_SR_ST_SU_SY_EESZ_S10_S11_S12_S16_S17_S18_S1B_S1C_jS1D_jS1E_S1E_jjS1G_bEUljE0_EEESZ_S10_S11_S18_S1C_S1E_T6_T7_T9_mT8_S1G_bDpT10_ENKUlT_T0_E_clISt17integral_constantIbLb0EES1T_IbLb1EEEEDaS1P_S1Q_EUlS1P_E_NS1_11comp_targetILNS1_3genE10ELNS1_11target_archE1200ELNS1_3gpuE4ELNS1_3repE0EEENS1_30default_config_static_selectorELNS0_4arch9wavefront6targetE0EEEvS12_.num_agpr, 0
	.set _ZN7rocprim17ROCPRIM_400000_NS6detail17trampoline_kernelINS0_13select_configILj256ELj13ELNS0_17block_load_methodE3ELS4_3ELS4_3ELNS0_20block_scan_algorithmE0ELj4294967295EEENS1_25partition_config_selectorILNS1_17partition_subalgoE4EjNS0_10empty_typeEbEEZZNS1_14partition_implILS8_4ELb0ES6_15HIP_vector_typeIjLj2EENS0_17counting_iteratorIjlEEPS9_SG_NS0_5tupleIJPjSI_NS0_16reverse_iteratorISI_EEEEENSH_IJSG_SG_SG_EEES9_SI_JZNS1_25segmented_radix_sort_implINS0_14default_configELb1EPKbPbPKlPlN2at6native12_GLOBAL__N_18offset_tEEE10hipError_tPvRmT1_PNSt15iterator_traitsIS12_E10value_typeET2_T3_PNS13_IS18_E10value_typeET4_jRbjT5_S1E_jjP12ihipStream_tbEUljE_ZNSN_ISO_Lb1ESQ_SR_ST_SU_SY_EESZ_S10_S11_S12_S16_S17_S18_S1B_S1C_jS1D_jS1E_S1E_jjS1G_bEUljE0_EEESZ_S10_S11_S18_S1C_S1E_T6_T7_T9_mT8_S1G_bDpT10_ENKUlT_T0_E_clISt17integral_constantIbLb0EES1T_IbLb1EEEEDaS1P_S1Q_EUlS1P_E_NS1_11comp_targetILNS1_3genE10ELNS1_11target_archE1200ELNS1_3gpuE4ELNS1_3repE0EEENS1_30default_config_static_selectorELNS0_4arch9wavefront6targetE0EEEvS12_.numbered_sgpr, 55
	.set _ZN7rocprim17ROCPRIM_400000_NS6detail17trampoline_kernelINS0_13select_configILj256ELj13ELNS0_17block_load_methodE3ELS4_3ELS4_3ELNS0_20block_scan_algorithmE0ELj4294967295EEENS1_25partition_config_selectorILNS1_17partition_subalgoE4EjNS0_10empty_typeEbEEZZNS1_14partition_implILS8_4ELb0ES6_15HIP_vector_typeIjLj2EENS0_17counting_iteratorIjlEEPS9_SG_NS0_5tupleIJPjSI_NS0_16reverse_iteratorISI_EEEEENSH_IJSG_SG_SG_EEES9_SI_JZNS1_25segmented_radix_sort_implINS0_14default_configELb1EPKbPbPKlPlN2at6native12_GLOBAL__N_18offset_tEEE10hipError_tPvRmT1_PNSt15iterator_traitsIS12_E10value_typeET2_T3_PNS13_IS18_E10value_typeET4_jRbjT5_S1E_jjP12ihipStream_tbEUljE_ZNSN_ISO_Lb1ESQ_SR_ST_SU_SY_EESZ_S10_S11_S12_S16_S17_S18_S1B_S1C_jS1D_jS1E_S1E_jjS1G_bEUljE0_EEESZ_S10_S11_S18_S1C_S1E_T6_T7_T9_mT8_S1G_bDpT10_ENKUlT_T0_E_clISt17integral_constantIbLb0EES1T_IbLb1EEEEDaS1P_S1Q_EUlS1P_E_NS1_11comp_targetILNS1_3genE10ELNS1_11target_archE1200ELNS1_3gpuE4ELNS1_3repE0EEENS1_30default_config_static_selectorELNS0_4arch9wavefront6targetE0EEEvS12_.num_named_barrier, 0
	.set _ZN7rocprim17ROCPRIM_400000_NS6detail17trampoline_kernelINS0_13select_configILj256ELj13ELNS0_17block_load_methodE3ELS4_3ELS4_3ELNS0_20block_scan_algorithmE0ELj4294967295EEENS1_25partition_config_selectorILNS1_17partition_subalgoE4EjNS0_10empty_typeEbEEZZNS1_14partition_implILS8_4ELb0ES6_15HIP_vector_typeIjLj2EENS0_17counting_iteratorIjlEEPS9_SG_NS0_5tupleIJPjSI_NS0_16reverse_iteratorISI_EEEEENSH_IJSG_SG_SG_EEES9_SI_JZNS1_25segmented_radix_sort_implINS0_14default_configELb1EPKbPbPKlPlN2at6native12_GLOBAL__N_18offset_tEEE10hipError_tPvRmT1_PNSt15iterator_traitsIS12_E10value_typeET2_T3_PNS13_IS18_E10value_typeET4_jRbjT5_S1E_jjP12ihipStream_tbEUljE_ZNSN_ISO_Lb1ESQ_SR_ST_SU_SY_EESZ_S10_S11_S12_S16_S17_S18_S1B_S1C_jS1D_jS1E_S1E_jjS1G_bEUljE0_EEESZ_S10_S11_S18_S1C_S1E_T6_T7_T9_mT8_S1G_bDpT10_ENKUlT_T0_E_clISt17integral_constantIbLb0EES1T_IbLb1EEEEDaS1P_S1Q_EUlS1P_E_NS1_11comp_targetILNS1_3genE10ELNS1_11target_archE1200ELNS1_3gpuE4ELNS1_3repE0EEENS1_30default_config_static_selectorELNS0_4arch9wavefront6targetE0EEEvS12_.private_seg_size, 0
	.set _ZN7rocprim17ROCPRIM_400000_NS6detail17trampoline_kernelINS0_13select_configILj256ELj13ELNS0_17block_load_methodE3ELS4_3ELS4_3ELNS0_20block_scan_algorithmE0ELj4294967295EEENS1_25partition_config_selectorILNS1_17partition_subalgoE4EjNS0_10empty_typeEbEEZZNS1_14partition_implILS8_4ELb0ES6_15HIP_vector_typeIjLj2EENS0_17counting_iteratorIjlEEPS9_SG_NS0_5tupleIJPjSI_NS0_16reverse_iteratorISI_EEEEENSH_IJSG_SG_SG_EEES9_SI_JZNS1_25segmented_radix_sort_implINS0_14default_configELb1EPKbPbPKlPlN2at6native12_GLOBAL__N_18offset_tEEE10hipError_tPvRmT1_PNSt15iterator_traitsIS12_E10value_typeET2_T3_PNS13_IS18_E10value_typeET4_jRbjT5_S1E_jjP12ihipStream_tbEUljE_ZNSN_ISO_Lb1ESQ_SR_ST_SU_SY_EESZ_S10_S11_S12_S16_S17_S18_S1B_S1C_jS1D_jS1E_S1E_jjS1G_bEUljE0_EEESZ_S10_S11_S18_S1C_S1E_T6_T7_T9_mT8_S1G_bDpT10_ENKUlT_T0_E_clISt17integral_constantIbLb0EES1T_IbLb1EEEEDaS1P_S1Q_EUlS1P_E_NS1_11comp_targetILNS1_3genE10ELNS1_11target_archE1200ELNS1_3gpuE4ELNS1_3repE0EEENS1_30default_config_static_selectorELNS0_4arch9wavefront6targetE0EEEvS12_.uses_vcc, 1
	.set _ZN7rocprim17ROCPRIM_400000_NS6detail17trampoline_kernelINS0_13select_configILj256ELj13ELNS0_17block_load_methodE3ELS4_3ELS4_3ELNS0_20block_scan_algorithmE0ELj4294967295EEENS1_25partition_config_selectorILNS1_17partition_subalgoE4EjNS0_10empty_typeEbEEZZNS1_14partition_implILS8_4ELb0ES6_15HIP_vector_typeIjLj2EENS0_17counting_iteratorIjlEEPS9_SG_NS0_5tupleIJPjSI_NS0_16reverse_iteratorISI_EEEEENSH_IJSG_SG_SG_EEES9_SI_JZNS1_25segmented_radix_sort_implINS0_14default_configELb1EPKbPbPKlPlN2at6native12_GLOBAL__N_18offset_tEEE10hipError_tPvRmT1_PNSt15iterator_traitsIS12_E10value_typeET2_T3_PNS13_IS18_E10value_typeET4_jRbjT5_S1E_jjP12ihipStream_tbEUljE_ZNSN_ISO_Lb1ESQ_SR_ST_SU_SY_EESZ_S10_S11_S12_S16_S17_S18_S1B_S1C_jS1D_jS1E_S1E_jjS1G_bEUljE0_EEESZ_S10_S11_S18_S1C_S1E_T6_T7_T9_mT8_S1G_bDpT10_ENKUlT_T0_E_clISt17integral_constantIbLb0EES1T_IbLb1EEEEDaS1P_S1Q_EUlS1P_E_NS1_11comp_targetILNS1_3genE10ELNS1_11target_archE1200ELNS1_3gpuE4ELNS1_3repE0EEENS1_30default_config_static_selectorELNS0_4arch9wavefront6targetE0EEEvS12_.uses_flat_scratch, 0
	.set _ZN7rocprim17ROCPRIM_400000_NS6detail17trampoline_kernelINS0_13select_configILj256ELj13ELNS0_17block_load_methodE3ELS4_3ELS4_3ELNS0_20block_scan_algorithmE0ELj4294967295EEENS1_25partition_config_selectorILNS1_17partition_subalgoE4EjNS0_10empty_typeEbEEZZNS1_14partition_implILS8_4ELb0ES6_15HIP_vector_typeIjLj2EENS0_17counting_iteratorIjlEEPS9_SG_NS0_5tupleIJPjSI_NS0_16reverse_iteratorISI_EEEEENSH_IJSG_SG_SG_EEES9_SI_JZNS1_25segmented_radix_sort_implINS0_14default_configELb1EPKbPbPKlPlN2at6native12_GLOBAL__N_18offset_tEEE10hipError_tPvRmT1_PNSt15iterator_traitsIS12_E10value_typeET2_T3_PNS13_IS18_E10value_typeET4_jRbjT5_S1E_jjP12ihipStream_tbEUljE_ZNSN_ISO_Lb1ESQ_SR_ST_SU_SY_EESZ_S10_S11_S12_S16_S17_S18_S1B_S1C_jS1D_jS1E_S1E_jjS1G_bEUljE0_EEESZ_S10_S11_S18_S1C_S1E_T6_T7_T9_mT8_S1G_bDpT10_ENKUlT_T0_E_clISt17integral_constantIbLb0EES1T_IbLb1EEEEDaS1P_S1Q_EUlS1P_E_NS1_11comp_targetILNS1_3genE10ELNS1_11target_archE1200ELNS1_3gpuE4ELNS1_3repE0EEENS1_30default_config_static_selectorELNS0_4arch9wavefront6targetE0EEEvS12_.has_dyn_sized_stack, 0
	.set _ZN7rocprim17ROCPRIM_400000_NS6detail17trampoline_kernelINS0_13select_configILj256ELj13ELNS0_17block_load_methodE3ELS4_3ELS4_3ELNS0_20block_scan_algorithmE0ELj4294967295EEENS1_25partition_config_selectorILNS1_17partition_subalgoE4EjNS0_10empty_typeEbEEZZNS1_14partition_implILS8_4ELb0ES6_15HIP_vector_typeIjLj2EENS0_17counting_iteratorIjlEEPS9_SG_NS0_5tupleIJPjSI_NS0_16reverse_iteratorISI_EEEEENSH_IJSG_SG_SG_EEES9_SI_JZNS1_25segmented_radix_sort_implINS0_14default_configELb1EPKbPbPKlPlN2at6native12_GLOBAL__N_18offset_tEEE10hipError_tPvRmT1_PNSt15iterator_traitsIS12_E10value_typeET2_T3_PNS13_IS18_E10value_typeET4_jRbjT5_S1E_jjP12ihipStream_tbEUljE_ZNSN_ISO_Lb1ESQ_SR_ST_SU_SY_EESZ_S10_S11_S12_S16_S17_S18_S1B_S1C_jS1D_jS1E_S1E_jjS1G_bEUljE0_EEESZ_S10_S11_S18_S1C_S1E_T6_T7_T9_mT8_S1G_bDpT10_ENKUlT_T0_E_clISt17integral_constantIbLb0EES1T_IbLb1EEEEDaS1P_S1Q_EUlS1P_E_NS1_11comp_targetILNS1_3genE10ELNS1_11target_archE1200ELNS1_3gpuE4ELNS1_3repE0EEENS1_30default_config_static_selectorELNS0_4arch9wavefront6targetE0EEEvS12_.has_recursion, 0
	.set _ZN7rocprim17ROCPRIM_400000_NS6detail17trampoline_kernelINS0_13select_configILj256ELj13ELNS0_17block_load_methodE3ELS4_3ELS4_3ELNS0_20block_scan_algorithmE0ELj4294967295EEENS1_25partition_config_selectorILNS1_17partition_subalgoE4EjNS0_10empty_typeEbEEZZNS1_14partition_implILS8_4ELb0ES6_15HIP_vector_typeIjLj2EENS0_17counting_iteratorIjlEEPS9_SG_NS0_5tupleIJPjSI_NS0_16reverse_iteratorISI_EEEEENSH_IJSG_SG_SG_EEES9_SI_JZNS1_25segmented_radix_sort_implINS0_14default_configELb1EPKbPbPKlPlN2at6native12_GLOBAL__N_18offset_tEEE10hipError_tPvRmT1_PNSt15iterator_traitsIS12_E10value_typeET2_T3_PNS13_IS18_E10value_typeET4_jRbjT5_S1E_jjP12ihipStream_tbEUljE_ZNSN_ISO_Lb1ESQ_SR_ST_SU_SY_EESZ_S10_S11_S12_S16_S17_S18_S1B_S1C_jS1D_jS1E_S1E_jjS1G_bEUljE0_EEESZ_S10_S11_S18_S1C_S1E_T6_T7_T9_mT8_S1G_bDpT10_ENKUlT_T0_E_clISt17integral_constantIbLb0EES1T_IbLb1EEEEDaS1P_S1Q_EUlS1P_E_NS1_11comp_targetILNS1_3genE10ELNS1_11target_archE1200ELNS1_3gpuE4ELNS1_3repE0EEENS1_30default_config_static_selectorELNS0_4arch9wavefront6targetE0EEEvS12_.has_indirect_call, 0
	.section	.AMDGPU.csdata,"",@progbits
; Kernel info:
; codeLenInByte = 19208
; TotalNumSgprs: 57
; NumVgprs: 98
; ScratchSize: 0
; MemoryBound: 0
; FloatMode: 240
; IeeeMode: 1
; LDSByteSize: 13328 bytes/workgroup (compile time only)
; SGPRBlocks: 0
; VGPRBlocks: 12
; NumSGPRsForWavesPerEU: 57
; NumVGPRsForWavesPerEU: 98
; Occupancy: 12
; WaveLimiterHint : 1
; COMPUTE_PGM_RSRC2:SCRATCH_EN: 0
; COMPUTE_PGM_RSRC2:USER_SGPR: 2
; COMPUTE_PGM_RSRC2:TRAP_HANDLER: 0
; COMPUTE_PGM_RSRC2:TGID_X_EN: 1
; COMPUTE_PGM_RSRC2:TGID_Y_EN: 0
; COMPUTE_PGM_RSRC2:TGID_Z_EN: 0
; COMPUTE_PGM_RSRC2:TIDIG_COMP_CNT: 0
	.section	.text._ZN7rocprim17ROCPRIM_400000_NS6detail17trampoline_kernelINS0_13select_configILj256ELj13ELNS0_17block_load_methodE3ELS4_3ELS4_3ELNS0_20block_scan_algorithmE0ELj4294967295EEENS1_25partition_config_selectorILNS1_17partition_subalgoE4EjNS0_10empty_typeEbEEZZNS1_14partition_implILS8_4ELb0ES6_15HIP_vector_typeIjLj2EENS0_17counting_iteratorIjlEEPS9_SG_NS0_5tupleIJPjSI_NS0_16reverse_iteratorISI_EEEEENSH_IJSG_SG_SG_EEES9_SI_JZNS1_25segmented_radix_sort_implINS0_14default_configELb1EPKbPbPKlPlN2at6native12_GLOBAL__N_18offset_tEEE10hipError_tPvRmT1_PNSt15iterator_traitsIS12_E10value_typeET2_T3_PNS13_IS18_E10value_typeET4_jRbjT5_S1E_jjP12ihipStream_tbEUljE_ZNSN_ISO_Lb1ESQ_SR_ST_SU_SY_EESZ_S10_S11_S12_S16_S17_S18_S1B_S1C_jS1D_jS1E_S1E_jjS1G_bEUljE0_EEESZ_S10_S11_S18_S1C_S1E_T6_T7_T9_mT8_S1G_bDpT10_ENKUlT_T0_E_clISt17integral_constantIbLb0EES1T_IbLb1EEEEDaS1P_S1Q_EUlS1P_E_NS1_11comp_targetILNS1_3genE9ELNS1_11target_archE1100ELNS1_3gpuE3ELNS1_3repE0EEENS1_30default_config_static_selectorELNS0_4arch9wavefront6targetE0EEEvS12_,"axG",@progbits,_ZN7rocprim17ROCPRIM_400000_NS6detail17trampoline_kernelINS0_13select_configILj256ELj13ELNS0_17block_load_methodE3ELS4_3ELS4_3ELNS0_20block_scan_algorithmE0ELj4294967295EEENS1_25partition_config_selectorILNS1_17partition_subalgoE4EjNS0_10empty_typeEbEEZZNS1_14partition_implILS8_4ELb0ES6_15HIP_vector_typeIjLj2EENS0_17counting_iteratorIjlEEPS9_SG_NS0_5tupleIJPjSI_NS0_16reverse_iteratorISI_EEEEENSH_IJSG_SG_SG_EEES9_SI_JZNS1_25segmented_radix_sort_implINS0_14default_configELb1EPKbPbPKlPlN2at6native12_GLOBAL__N_18offset_tEEE10hipError_tPvRmT1_PNSt15iterator_traitsIS12_E10value_typeET2_T3_PNS13_IS18_E10value_typeET4_jRbjT5_S1E_jjP12ihipStream_tbEUljE_ZNSN_ISO_Lb1ESQ_SR_ST_SU_SY_EESZ_S10_S11_S12_S16_S17_S18_S1B_S1C_jS1D_jS1E_S1E_jjS1G_bEUljE0_EEESZ_S10_S11_S18_S1C_S1E_T6_T7_T9_mT8_S1G_bDpT10_ENKUlT_T0_E_clISt17integral_constantIbLb0EES1T_IbLb1EEEEDaS1P_S1Q_EUlS1P_E_NS1_11comp_targetILNS1_3genE9ELNS1_11target_archE1100ELNS1_3gpuE3ELNS1_3repE0EEENS1_30default_config_static_selectorELNS0_4arch9wavefront6targetE0EEEvS12_,comdat
	.globl	_ZN7rocprim17ROCPRIM_400000_NS6detail17trampoline_kernelINS0_13select_configILj256ELj13ELNS0_17block_load_methodE3ELS4_3ELS4_3ELNS0_20block_scan_algorithmE0ELj4294967295EEENS1_25partition_config_selectorILNS1_17partition_subalgoE4EjNS0_10empty_typeEbEEZZNS1_14partition_implILS8_4ELb0ES6_15HIP_vector_typeIjLj2EENS0_17counting_iteratorIjlEEPS9_SG_NS0_5tupleIJPjSI_NS0_16reverse_iteratorISI_EEEEENSH_IJSG_SG_SG_EEES9_SI_JZNS1_25segmented_radix_sort_implINS0_14default_configELb1EPKbPbPKlPlN2at6native12_GLOBAL__N_18offset_tEEE10hipError_tPvRmT1_PNSt15iterator_traitsIS12_E10value_typeET2_T3_PNS13_IS18_E10value_typeET4_jRbjT5_S1E_jjP12ihipStream_tbEUljE_ZNSN_ISO_Lb1ESQ_SR_ST_SU_SY_EESZ_S10_S11_S12_S16_S17_S18_S1B_S1C_jS1D_jS1E_S1E_jjS1G_bEUljE0_EEESZ_S10_S11_S18_S1C_S1E_T6_T7_T9_mT8_S1G_bDpT10_ENKUlT_T0_E_clISt17integral_constantIbLb0EES1T_IbLb1EEEEDaS1P_S1Q_EUlS1P_E_NS1_11comp_targetILNS1_3genE9ELNS1_11target_archE1100ELNS1_3gpuE3ELNS1_3repE0EEENS1_30default_config_static_selectorELNS0_4arch9wavefront6targetE0EEEvS12_ ; -- Begin function _ZN7rocprim17ROCPRIM_400000_NS6detail17trampoline_kernelINS0_13select_configILj256ELj13ELNS0_17block_load_methodE3ELS4_3ELS4_3ELNS0_20block_scan_algorithmE0ELj4294967295EEENS1_25partition_config_selectorILNS1_17partition_subalgoE4EjNS0_10empty_typeEbEEZZNS1_14partition_implILS8_4ELb0ES6_15HIP_vector_typeIjLj2EENS0_17counting_iteratorIjlEEPS9_SG_NS0_5tupleIJPjSI_NS0_16reverse_iteratorISI_EEEEENSH_IJSG_SG_SG_EEES9_SI_JZNS1_25segmented_radix_sort_implINS0_14default_configELb1EPKbPbPKlPlN2at6native12_GLOBAL__N_18offset_tEEE10hipError_tPvRmT1_PNSt15iterator_traitsIS12_E10value_typeET2_T3_PNS13_IS18_E10value_typeET4_jRbjT5_S1E_jjP12ihipStream_tbEUljE_ZNSN_ISO_Lb1ESQ_SR_ST_SU_SY_EESZ_S10_S11_S12_S16_S17_S18_S1B_S1C_jS1D_jS1E_S1E_jjS1G_bEUljE0_EEESZ_S10_S11_S18_S1C_S1E_T6_T7_T9_mT8_S1G_bDpT10_ENKUlT_T0_E_clISt17integral_constantIbLb0EES1T_IbLb1EEEEDaS1P_S1Q_EUlS1P_E_NS1_11comp_targetILNS1_3genE9ELNS1_11target_archE1100ELNS1_3gpuE3ELNS1_3repE0EEENS1_30default_config_static_selectorELNS0_4arch9wavefront6targetE0EEEvS12_
	.p2align	8
	.type	_ZN7rocprim17ROCPRIM_400000_NS6detail17trampoline_kernelINS0_13select_configILj256ELj13ELNS0_17block_load_methodE3ELS4_3ELS4_3ELNS0_20block_scan_algorithmE0ELj4294967295EEENS1_25partition_config_selectorILNS1_17partition_subalgoE4EjNS0_10empty_typeEbEEZZNS1_14partition_implILS8_4ELb0ES6_15HIP_vector_typeIjLj2EENS0_17counting_iteratorIjlEEPS9_SG_NS0_5tupleIJPjSI_NS0_16reverse_iteratorISI_EEEEENSH_IJSG_SG_SG_EEES9_SI_JZNS1_25segmented_radix_sort_implINS0_14default_configELb1EPKbPbPKlPlN2at6native12_GLOBAL__N_18offset_tEEE10hipError_tPvRmT1_PNSt15iterator_traitsIS12_E10value_typeET2_T3_PNS13_IS18_E10value_typeET4_jRbjT5_S1E_jjP12ihipStream_tbEUljE_ZNSN_ISO_Lb1ESQ_SR_ST_SU_SY_EESZ_S10_S11_S12_S16_S17_S18_S1B_S1C_jS1D_jS1E_S1E_jjS1G_bEUljE0_EEESZ_S10_S11_S18_S1C_S1E_T6_T7_T9_mT8_S1G_bDpT10_ENKUlT_T0_E_clISt17integral_constantIbLb0EES1T_IbLb1EEEEDaS1P_S1Q_EUlS1P_E_NS1_11comp_targetILNS1_3genE9ELNS1_11target_archE1100ELNS1_3gpuE3ELNS1_3repE0EEENS1_30default_config_static_selectorELNS0_4arch9wavefront6targetE0EEEvS12_,@function
_ZN7rocprim17ROCPRIM_400000_NS6detail17trampoline_kernelINS0_13select_configILj256ELj13ELNS0_17block_load_methodE3ELS4_3ELS4_3ELNS0_20block_scan_algorithmE0ELj4294967295EEENS1_25partition_config_selectorILNS1_17partition_subalgoE4EjNS0_10empty_typeEbEEZZNS1_14partition_implILS8_4ELb0ES6_15HIP_vector_typeIjLj2EENS0_17counting_iteratorIjlEEPS9_SG_NS0_5tupleIJPjSI_NS0_16reverse_iteratorISI_EEEEENSH_IJSG_SG_SG_EEES9_SI_JZNS1_25segmented_radix_sort_implINS0_14default_configELb1EPKbPbPKlPlN2at6native12_GLOBAL__N_18offset_tEEE10hipError_tPvRmT1_PNSt15iterator_traitsIS12_E10value_typeET2_T3_PNS13_IS18_E10value_typeET4_jRbjT5_S1E_jjP12ihipStream_tbEUljE_ZNSN_ISO_Lb1ESQ_SR_ST_SU_SY_EESZ_S10_S11_S12_S16_S17_S18_S1B_S1C_jS1D_jS1E_S1E_jjS1G_bEUljE0_EEESZ_S10_S11_S18_S1C_S1E_T6_T7_T9_mT8_S1G_bDpT10_ENKUlT_T0_E_clISt17integral_constantIbLb0EES1T_IbLb1EEEEDaS1P_S1Q_EUlS1P_E_NS1_11comp_targetILNS1_3genE9ELNS1_11target_archE1100ELNS1_3gpuE3ELNS1_3repE0EEENS1_30default_config_static_selectorELNS0_4arch9wavefront6targetE0EEEvS12_: ; @_ZN7rocprim17ROCPRIM_400000_NS6detail17trampoline_kernelINS0_13select_configILj256ELj13ELNS0_17block_load_methodE3ELS4_3ELS4_3ELNS0_20block_scan_algorithmE0ELj4294967295EEENS1_25partition_config_selectorILNS1_17partition_subalgoE4EjNS0_10empty_typeEbEEZZNS1_14partition_implILS8_4ELb0ES6_15HIP_vector_typeIjLj2EENS0_17counting_iteratorIjlEEPS9_SG_NS0_5tupleIJPjSI_NS0_16reverse_iteratorISI_EEEEENSH_IJSG_SG_SG_EEES9_SI_JZNS1_25segmented_radix_sort_implINS0_14default_configELb1EPKbPbPKlPlN2at6native12_GLOBAL__N_18offset_tEEE10hipError_tPvRmT1_PNSt15iterator_traitsIS12_E10value_typeET2_T3_PNS13_IS18_E10value_typeET4_jRbjT5_S1E_jjP12ihipStream_tbEUljE_ZNSN_ISO_Lb1ESQ_SR_ST_SU_SY_EESZ_S10_S11_S12_S16_S17_S18_S1B_S1C_jS1D_jS1E_S1E_jjS1G_bEUljE0_EEESZ_S10_S11_S18_S1C_S1E_T6_T7_T9_mT8_S1G_bDpT10_ENKUlT_T0_E_clISt17integral_constantIbLb0EES1T_IbLb1EEEEDaS1P_S1Q_EUlS1P_E_NS1_11comp_targetILNS1_3genE9ELNS1_11target_archE1100ELNS1_3gpuE3ELNS1_3repE0EEENS1_30default_config_static_selectorELNS0_4arch9wavefront6targetE0EEEvS12_
; %bb.0:
	.section	.rodata,"a",@progbits
	.p2align	6, 0x0
	.amdhsa_kernel _ZN7rocprim17ROCPRIM_400000_NS6detail17trampoline_kernelINS0_13select_configILj256ELj13ELNS0_17block_load_methodE3ELS4_3ELS4_3ELNS0_20block_scan_algorithmE0ELj4294967295EEENS1_25partition_config_selectorILNS1_17partition_subalgoE4EjNS0_10empty_typeEbEEZZNS1_14partition_implILS8_4ELb0ES6_15HIP_vector_typeIjLj2EENS0_17counting_iteratorIjlEEPS9_SG_NS0_5tupleIJPjSI_NS0_16reverse_iteratorISI_EEEEENSH_IJSG_SG_SG_EEES9_SI_JZNS1_25segmented_radix_sort_implINS0_14default_configELb1EPKbPbPKlPlN2at6native12_GLOBAL__N_18offset_tEEE10hipError_tPvRmT1_PNSt15iterator_traitsIS12_E10value_typeET2_T3_PNS13_IS18_E10value_typeET4_jRbjT5_S1E_jjP12ihipStream_tbEUljE_ZNSN_ISO_Lb1ESQ_SR_ST_SU_SY_EESZ_S10_S11_S12_S16_S17_S18_S1B_S1C_jS1D_jS1E_S1E_jjS1G_bEUljE0_EEESZ_S10_S11_S18_S1C_S1E_T6_T7_T9_mT8_S1G_bDpT10_ENKUlT_T0_E_clISt17integral_constantIbLb0EES1T_IbLb1EEEEDaS1P_S1Q_EUlS1P_E_NS1_11comp_targetILNS1_3genE9ELNS1_11target_archE1100ELNS1_3gpuE3ELNS1_3repE0EEENS1_30default_config_static_selectorELNS0_4arch9wavefront6targetE0EEEvS12_
		.amdhsa_group_segment_fixed_size 0
		.amdhsa_private_segment_fixed_size 0
		.amdhsa_kernarg_size 184
		.amdhsa_user_sgpr_count 2
		.amdhsa_user_sgpr_dispatch_ptr 0
		.amdhsa_user_sgpr_queue_ptr 0
		.amdhsa_user_sgpr_kernarg_segment_ptr 1
		.amdhsa_user_sgpr_dispatch_id 0
		.amdhsa_user_sgpr_private_segment_size 0
		.amdhsa_wavefront_size32 1
		.amdhsa_uses_dynamic_stack 0
		.amdhsa_enable_private_segment 0
		.amdhsa_system_sgpr_workgroup_id_x 1
		.amdhsa_system_sgpr_workgroup_id_y 0
		.amdhsa_system_sgpr_workgroup_id_z 0
		.amdhsa_system_sgpr_workgroup_info 0
		.amdhsa_system_vgpr_workitem_id 0
		.amdhsa_next_free_vgpr 1
		.amdhsa_next_free_sgpr 1
		.amdhsa_reserve_vcc 0
		.amdhsa_float_round_mode_32 0
		.amdhsa_float_round_mode_16_64 0
		.amdhsa_float_denorm_mode_32 3
		.amdhsa_float_denorm_mode_16_64 3
		.amdhsa_fp16_overflow 0
		.amdhsa_workgroup_processor_mode 1
		.amdhsa_memory_ordered 1
		.amdhsa_forward_progress 1
		.amdhsa_inst_pref_size 0
		.amdhsa_round_robin_scheduling 0
		.amdhsa_exception_fp_ieee_invalid_op 0
		.amdhsa_exception_fp_denorm_src 0
		.amdhsa_exception_fp_ieee_div_zero 0
		.amdhsa_exception_fp_ieee_overflow 0
		.amdhsa_exception_fp_ieee_underflow 0
		.amdhsa_exception_fp_ieee_inexact 0
		.amdhsa_exception_int_div_zero 0
	.end_amdhsa_kernel
	.section	.text._ZN7rocprim17ROCPRIM_400000_NS6detail17trampoline_kernelINS0_13select_configILj256ELj13ELNS0_17block_load_methodE3ELS4_3ELS4_3ELNS0_20block_scan_algorithmE0ELj4294967295EEENS1_25partition_config_selectorILNS1_17partition_subalgoE4EjNS0_10empty_typeEbEEZZNS1_14partition_implILS8_4ELb0ES6_15HIP_vector_typeIjLj2EENS0_17counting_iteratorIjlEEPS9_SG_NS0_5tupleIJPjSI_NS0_16reverse_iteratorISI_EEEEENSH_IJSG_SG_SG_EEES9_SI_JZNS1_25segmented_radix_sort_implINS0_14default_configELb1EPKbPbPKlPlN2at6native12_GLOBAL__N_18offset_tEEE10hipError_tPvRmT1_PNSt15iterator_traitsIS12_E10value_typeET2_T3_PNS13_IS18_E10value_typeET4_jRbjT5_S1E_jjP12ihipStream_tbEUljE_ZNSN_ISO_Lb1ESQ_SR_ST_SU_SY_EESZ_S10_S11_S12_S16_S17_S18_S1B_S1C_jS1D_jS1E_S1E_jjS1G_bEUljE0_EEESZ_S10_S11_S18_S1C_S1E_T6_T7_T9_mT8_S1G_bDpT10_ENKUlT_T0_E_clISt17integral_constantIbLb0EES1T_IbLb1EEEEDaS1P_S1Q_EUlS1P_E_NS1_11comp_targetILNS1_3genE9ELNS1_11target_archE1100ELNS1_3gpuE3ELNS1_3repE0EEENS1_30default_config_static_selectorELNS0_4arch9wavefront6targetE0EEEvS12_,"axG",@progbits,_ZN7rocprim17ROCPRIM_400000_NS6detail17trampoline_kernelINS0_13select_configILj256ELj13ELNS0_17block_load_methodE3ELS4_3ELS4_3ELNS0_20block_scan_algorithmE0ELj4294967295EEENS1_25partition_config_selectorILNS1_17partition_subalgoE4EjNS0_10empty_typeEbEEZZNS1_14partition_implILS8_4ELb0ES6_15HIP_vector_typeIjLj2EENS0_17counting_iteratorIjlEEPS9_SG_NS0_5tupleIJPjSI_NS0_16reverse_iteratorISI_EEEEENSH_IJSG_SG_SG_EEES9_SI_JZNS1_25segmented_radix_sort_implINS0_14default_configELb1EPKbPbPKlPlN2at6native12_GLOBAL__N_18offset_tEEE10hipError_tPvRmT1_PNSt15iterator_traitsIS12_E10value_typeET2_T3_PNS13_IS18_E10value_typeET4_jRbjT5_S1E_jjP12ihipStream_tbEUljE_ZNSN_ISO_Lb1ESQ_SR_ST_SU_SY_EESZ_S10_S11_S12_S16_S17_S18_S1B_S1C_jS1D_jS1E_S1E_jjS1G_bEUljE0_EEESZ_S10_S11_S18_S1C_S1E_T6_T7_T9_mT8_S1G_bDpT10_ENKUlT_T0_E_clISt17integral_constantIbLb0EES1T_IbLb1EEEEDaS1P_S1Q_EUlS1P_E_NS1_11comp_targetILNS1_3genE9ELNS1_11target_archE1100ELNS1_3gpuE3ELNS1_3repE0EEENS1_30default_config_static_selectorELNS0_4arch9wavefront6targetE0EEEvS12_,comdat
.Lfunc_end1498:
	.size	_ZN7rocprim17ROCPRIM_400000_NS6detail17trampoline_kernelINS0_13select_configILj256ELj13ELNS0_17block_load_methodE3ELS4_3ELS4_3ELNS0_20block_scan_algorithmE0ELj4294967295EEENS1_25partition_config_selectorILNS1_17partition_subalgoE4EjNS0_10empty_typeEbEEZZNS1_14partition_implILS8_4ELb0ES6_15HIP_vector_typeIjLj2EENS0_17counting_iteratorIjlEEPS9_SG_NS0_5tupleIJPjSI_NS0_16reverse_iteratorISI_EEEEENSH_IJSG_SG_SG_EEES9_SI_JZNS1_25segmented_radix_sort_implINS0_14default_configELb1EPKbPbPKlPlN2at6native12_GLOBAL__N_18offset_tEEE10hipError_tPvRmT1_PNSt15iterator_traitsIS12_E10value_typeET2_T3_PNS13_IS18_E10value_typeET4_jRbjT5_S1E_jjP12ihipStream_tbEUljE_ZNSN_ISO_Lb1ESQ_SR_ST_SU_SY_EESZ_S10_S11_S12_S16_S17_S18_S1B_S1C_jS1D_jS1E_S1E_jjS1G_bEUljE0_EEESZ_S10_S11_S18_S1C_S1E_T6_T7_T9_mT8_S1G_bDpT10_ENKUlT_T0_E_clISt17integral_constantIbLb0EES1T_IbLb1EEEEDaS1P_S1Q_EUlS1P_E_NS1_11comp_targetILNS1_3genE9ELNS1_11target_archE1100ELNS1_3gpuE3ELNS1_3repE0EEENS1_30default_config_static_selectorELNS0_4arch9wavefront6targetE0EEEvS12_, .Lfunc_end1498-_ZN7rocprim17ROCPRIM_400000_NS6detail17trampoline_kernelINS0_13select_configILj256ELj13ELNS0_17block_load_methodE3ELS4_3ELS4_3ELNS0_20block_scan_algorithmE0ELj4294967295EEENS1_25partition_config_selectorILNS1_17partition_subalgoE4EjNS0_10empty_typeEbEEZZNS1_14partition_implILS8_4ELb0ES6_15HIP_vector_typeIjLj2EENS0_17counting_iteratorIjlEEPS9_SG_NS0_5tupleIJPjSI_NS0_16reverse_iteratorISI_EEEEENSH_IJSG_SG_SG_EEES9_SI_JZNS1_25segmented_radix_sort_implINS0_14default_configELb1EPKbPbPKlPlN2at6native12_GLOBAL__N_18offset_tEEE10hipError_tPvRmT1_PNSt15iterator_traitsIS12_E10value_typeET2_T3_PNS13_IS18_E10value_typeET4_jRbjT5_S1E_jjP12ihipStream_tbEUljE_ZNSN_ISO_Lb1ESQ_SR_ST_SU_SY_EESZ_S10_S11_S12_S16_S17_S18_S1B_S1C_jS1D_jS1E_S1E_jjS1G_bEUljE0_EEESZ_S10_S11_S18_S1C_S1E_T6_T7_T9_mT8_S1G_bDpT10_ENKUlT_T0_E_clISt17integral_constantIbLb0EES1T_IbLb1EEEEDaS1P_S1Q_EUlS1P_E_NS1_11comp_targetILNS1_3genE9ELNS1_11target_archE1100ELNS1_3gpuE3ELNS1_3repE0EEENS1_30default_config_static_selectorELNS0_4arch9wavefront6targetE0EEEvS12_
                                        ; -- End function
	.set _ZN7rocprim17ROCPRIM_400000_NS6detail17trampoline_kernelINS0_13select_configILj256ELj13ELNS0_17block_load_methodE3ELS4_3ELS4_3ELNS0_20block_scan_algorithmE0ELj4294967295EEENS1_25partition_config_selectorILNS1_17partition_subalgoE4EjNS0_10empty_typeEbEEZZNS1_14partition_implILS8_4ELb0ES6_15HIP_vector_typeIjLj2EENS0_17counting_iteratorIjlEEPS9_SG_NS0_5tupleIJPjSI_NS0_16reverse_iteratorISI_EEEEENSH_IJSG_SG_SG_EEES9_SI_JZNS1_25segmented_radix_sort_implINS0_14default_configELb1EPKbPbPKlPlN2at6native12_GLOBAL__N_18offset_tEEE10hipError_tPvRmT1_PNSt15iterator_traitsIS12_E10value_typeET2_T3_PNS13_IS18_E10value_typeET4_jRbjT5_S1E_jjP12ihipStream_tbEUljE_ZNSN_ISO_Lb1ESQ_SR_ST_SU_SY_EESZ_S10_S11_S12_S16_S17_S18_S1B_S1C_jS1D_jS1E_S1E_jjS1G_bEUljE0_EEESZ_S10_S11_S18_S1C_S1E_T6_T7_T9_mT8_S1G_bDpT10_ENKUlT_T0_E_clISt17integral_constantIbLb0EES1T_IbLb1EEEEDaS1P_S1Q_EUlS1P_E_NS1_11comp_targetILNS1_3genE9ELNS1_11target_archE1100ELNS1_3gpuE3ELNS1_3repE0EEENS1_30default_config_static_selectorELNS0_4arch9wavefront6targetE0EEEvS12_.num_vgpr, 0
	.set _ZN7rocprim17ROCPRIM_400000_NS6detail17trampoline_kernelINS0_13select_configILj256ELj13ELNS0_17block_load_methodE3ELS4_3ELS4_3ELNS0_20block_scan_algorithmE0ELj4294967295EEENS1_25partition_config_selectorILNS1_17partition_subalgoE4EjNS0_10empty_typeEbEEZZNS1_14partition_implILS8_4ELb0ES6_15HIP_vector_typeIjLj2EENS0_17counting_iteratorIjlEEPS9_SG_NS0_5tupleIJPjSI_NS0_16reverse_iteratorISI_EEEEENSH_IJSG_SG_SG_EEES9_SI_JZNS1_25segmented_radix_sort_implINS0_14default_configELb1EPKbPbPKlPlN2at6native12_GLOBAL__N_18offset_tEEE10hipError_tPvRmT1_PNSt15iterator_traitsIS12_E10value_typeET2_T3_PNS13_IS18_E10value_typeET4_jRbjT5_S1E_jjP12ihipStream_tbEUljE_ZNSN_ISO_Lb1ESQ_SR_ST_SU_SY_EESZ_S10_S11_S12_S16_S17_S18_S1B_S1C_jS1D_jS1E_S1E_jjS1G_bEUljE0_EEESZ_S10_S11_S18_S1C_S1E_T6_T7_T9_mT8_S1G_bDpT10_ENKUlT_T0_E_clISt17integral_constantIbLb0EES1T_IbLb1EEEEDaS1P_S1Q_EUlS1P_E_NS1_11comp_targetILNS1_3genE9ELNS1_11target_archE1100ELNS1_3gpuE3ELNS1_3repE0EEENS1_30default_config_static_selectorELNS0_4arch9wavefront6targetE0EEEvS12_.num_agpr, 0
	.set _ZN7rocprim17ROCPRIM_400000_NS6detail17trampoline_kernelINS0_13select_configILj256ELj13ELNS0_17block_load_methodE3ELS4_3ELS4_3ELNS0_20block_scan_algorithmE0ELj4294967295EEENS1_25partition_config_selectorILNS1_17partition_subalgoE4EjNS0_10empty_typeEbEEZZNS1_14partition_implILS8_4ELb0ES6_15HIP_vector_typeIjLj2EENS0_17counting_iteratorIjlEEPS9_SG_NS0_5tupleIJPjSI_NS0_16reverse_iteratorISI_EEEEENSH_IJSG_SG_SG_EEES9_SI_JZNS1_25segmented_radix_sort_implINS0_14default_configELb1EPKbPbPKlPlN2at6native12_GLOBAL__N_18offset_tEEE10hipError_tPvRmT1_PNSt15iterator_traitsIS12_E10value_typeET2_T3_PNS13_IS18_E10value_typeET4_jRbjT5_S1E_jjP12ihipStream_tbEUljE_ZNSN_ISO_Lb1ESQ_SR_ST_SU_SY_EESZ_S10_S11_S12_S16_S17_S18_S1B_S1C_jS1D_jS1E_S1E_jjS1G_bEUljE0_EEESZ_S10_S11_S18_S1C_S1E_T6_T7_T9_mT8_S1G_bDpT10_ENKUlT_T0_E_clISt17integral_constantIbLb0EES1T_IbLb1EEEEDaS1P_S1Q_EUlS1P_E_NS1_11comp_targetILNS1_3genE9ELNS1_11target_archE1100ELNS1_3gpuE3ELNS1_3repE0EEENS1_30default_config_static_selectorELNS0_4arch9wavefront6targetE0EEEvS12_.numbered_sgpr, 0
	.set _ZN7rocprim17ROCPRIM_400000_NS6detail17trampoline_kernelINS0_13select_configILj256ELj13ELNS0_17block_load_methodE3ELS4_3ELS4_3ELNS0_20block_scan_algorithmE0ELj4294967295EEENS1_25partition_config_selectorILNS1_17partition_subalgoE4EjNS0_10empty_typeEbEEZZNS1_14partition_implILS8_4ELb0ES6_15HIP_vector_typeIjLj2EENS0_17counting_iteratorIjlEEPS9_SG_NS0_5tupleIJPjSI_NS0_16reverse_iteratorISI_EEEEENSH_IJSG_SG_SG_EEES9_SI_JZNS1_25segmented_radix_sort_implINS0_14default_configELb1EPKbPbPKlPlN2at6native12_GLOBAL__N_18offset_tEEE10hipError_tPvRmT1_PNSt15iterator_traitsIS12_E10value_typeET2_T3_PNS13_IS18_E10value_typeET4_jRbjT5_S1E_jjP12ihipStream_tbEUljE_ZNSN_ISO_Lb1ESQ_SR_ST_SU_SY_EESZ_S10_S11_S12_S16_S17_S18_S1B_S1C_jS1D_jS1E_S1E_jjS1G_bEUljE0_EEESZ_S10_S11_S18_S1C_S1E_T6_T7_T9_mT8_S1G_bDpT10_ENKUlT_T0_E_clISt17integral_constantIbLb0EES1T_IbLb1EEEEDaS1P_S1Q_EUlS1P_E_NS1_11comp_targetILNS1_3genE9ELNS1_11target_archE1100ELNS1_3gpuE3ELNS1_3repE0EEENS1_30default_config_static_selectorELNS0_4arch9wavefront6targetE0EEEvS12_.num_named_barrier, 0
	.set _ZN7rocprim17ROCPRIM_400000_NS6detail17trampoline_kernelINS0_13select_configILj256ELj13ELNS0_17block_load_methodE3ELS4_3ELS4_3ELNS0_20block_scan_algorithmE0ELj4294967295EEENS1_25partition_config_selectorILNS1_17partition_subalgoE4EjNS0_10empty_typeEbEEZZNS1_14partition_implILS8_4ELb0ES6_15HIP_vector_typeIjLj2EENS0_17counting_iteratorIjlEEPS9_SG_NS0_5tupleIJPjSI_NS0_16reverse_iteratorISI_EEEEENSH_IJSG_SG_SG_EEES9_SI_JZNS1_25segmented_radix_sort_implINS0_14default_configELb1EPKbPbPKlPlN2at6native12_GLOBAL__N_18offset_tEEE10hipError_tPvRmT1_PNSt15iterator_traitsIS12_E10value_typeET2_T3_PNS13_IS18_E10value_typeET4_jRbjT5_S1E_jjP12ihipStream_tbEUljE_ZNSN_ISO_Lb1ESQ_SR_ST_SU_SY_EESZ_S10_S11_S12_S16_S17_S18_S1B_S1C_jS1D_jS1E_S1E_jjS1G_bEUljE0_EEESZ_S10_S11_S18_S1C_S1E_T6_T7_T9_mT8_S1G_bDpT10_ENKUlT_T0_E_clISt17integral_constantIbLb0EES1T_IbLb1EEEEDaS1P_S1Q_EUlS1P_E_NS1_11comp_targetILNS1_3genE9ELNS1_11target_archE1100ELNS1_3gpuE3ELNS1_3repE0EEENS1_30default_config_static_selectorELNS0_4arch9wavefront6targetE0EEEvS12_.private_seg_size, 0
	.set _ZN7rocprim17ROCPRIM_400000_NS6detail17trampoline_kernelINS0_13select_configILj256ELj13ELNS0_17block_load_methodE3ELS4_3ELS4_3ELNS0_20block_scan_algorithmE0ELj4294967295EEENS1_25partition_config_selectorILNS1_17partition_subalgoE4EjNS0_10empty_typeEbEEZZNS1_14partition_implILS8_4ELb0ES6_15HIP_vector_typeIjLj2EENS0_17counting_iteratorIjlEEPS9_SG_NS0_5tupleIJPjSI_NS0_16reverse_iteratorISI_EEEEENSH_IJSG_SG_SG_EEES9_SI_JZNS1_25segmented_radix_sort_implINS0_14default_configELb1EPKbPbPKlPlN2at6native12_GLOBAL__N_18offset_tEEE10hipError_tPvRmT1_PNSt15iterator_traitsIS12_E10value_typeET2_T3_PNS13_IS18_E10value_typeET4_jRbjT5_S1E_jjP12ihipStream_tbEUljE_ZNSN_ISO_Lb1ESQ_SR_ST_SU_SY_EESZ_S10_S11_S12_S16_S17_S18_S1B_S1C_jS1D_jS1E_S1E_jjS1G_bEUljE0_EEESZ_S10_S11_S18_S1C_S1E_T6_T7_T9_mT8_S1G_bDpT10_ENKUlT_T0_E_clISt17integral_constantIbLb0EES1T_IbLb1EEEEDaS1P_S1Q_EUlS1P_E_NS1_11comp_targetILNS1_3genE9ELNS1_11target_archE1100ELNS1_3gpuE3ELNS1_3repE0EEENS1_30default_config_static_selectorELNS0_4arch9wavefront6targetE0EEEvS12_.uses_vcc, 0
	.set _ZN7rocprim17ROCPRIM_400000_NS6detail17trampoline_kernelINS0_13select_configILj256ELj13ELNS0_17block_load_methodE3ELS4_3ELS4_3ELNS0_20block_scan_algorithmE0ELj4294967295EEENS1_25partition_config_selectorILNS1_17partition_subalgoE4EjNS0_10empty_typeEbEEZZNS1_14partition_implILS8_4ELb0ES6_15HIP_vector_typeIjLj2EENS0_17counting_iteratorIjlEEPS9_SG_NS0_5tupleIJPjSI_NS0_16reverse_iteratorISI_EEEEENSH_IJSG_SG_SG_EEES9_SI_JZNS1_25segmented_radix_sort_implINS0_14default_configELb1EPKbPbPKlPlN2at6native12_GLOBAL__N_18offset_tEEE10hipError_tPvRmT1_PNSt15iterator_traitsIS12_E10value_typeET2_T3_PNS13_IS18_E10value_typeET4_jRbjT5_S1E_jjP12ihipStream_tbEUljE_ZNSN_ISO_Lb1ESQ_SR_ST_SU_SY_EESZ_S10_S11_S12_S16_S17_S18_S1B_S1C_jS1D_jS1E_S1E_jjS1G_bEUljE0_EEESZ_S10_S11_S18_S1C_S1E_T6_T7_T9_mT8_S1G_bDpT10_ENKUlT_T0_E_clISt17integral_constantIbLb0EES1T_IbLb1EEEEDaS1P_S1Q_EUlS1P_E_NS1_11comp_targetILNS1_3genE9ELNS1_11target_archE1100ELNS1_3gpuE3ELNS1_3repE0EEENS1_30default_config_static_selectorELNS0_4arch9wavefront6targetE0EEEvS12_.uses_flat_scratch, 0
	.set _ZN7rocprim17ROCPRIM_400000_NS6detail17trampoline_kernelINS0_13select_configILj256ELj13ELNS0_17block_load_methodE3ELS4_3ELS4_3ELNS0_20block_scan_algorithmE0ELj4294967295EEENS1_25partition_config_selectorILNS1_17partition_subalgoE4EjNS0_10empty_typeEbEEZZNS1_14partition_implILS8_4ELb0ES6_15HIP_vector_typeIjLj2EENS0_17counting_iteratorIjlEEPS9_SG_NS0_5tupleIJPjSI_NS0_16reverse_iteratorISI_EEEEENSH_IJSG_SG_SG_EEES9_SI_JZNS1_25segmented_radix_sort_implINS0_14default_configELb1EPKbPbPKlPlN2at6native12_GLOBAL__N_18offset_tEEE10hipError_tPvRmT1_PNSt15iterator_traitsIS12_E10value_typeET2_T3_PNS13_IS18_E10value_typeET4_jRbjT5_S1E_jjP12ihipStream_tbEUljE_ZNSN_ISO_Lb1ESQ_SR_ST_SU_SY_EESZ_S10_S11_S12_S16_S17_S18_S1B_S1C_jS1D_jS1E_S1E_jjS1G_bEUljE0_EEESZ_S10_S11_S18_S1C_S1E_T6_T7_T9_mT8_S1G_bDpT10_ENKUlT_T0_E_clISt17integral_constantIbLb0EES1T_IbLb1EEEEDaS1P_S1Q_EUlS1P_E_NS1_11comp_targetILNS1_3genE9ELNS1_11target_archE1100ELNS1_3gpuE3ELNS1_3repE0EEENS1_30default_config_static_selectorELNS0_4arch9wavefront6targetE0EEEvS12_.has_dyn_sized_stack, 0
	.set _ZN7rocprim17ROCPRIM_400000_NS6detail17trampoline_kernelINS0_13select_configILj256ELj13ELNS0_17block_load_methodE3ELS4_3ELS4_3ELNS0_20block_scan_algorithmE0ELj4294967295EEENS1_25partition_config_selectorILNS1_17partition_subalgoE4EjNS0_10empty_typeEbEEZZNS1_14partition_implILS8_4ELb0ES6_15HIP_vector_typeIjLj2EENS0_17counting_iteratorIjlEEPS9_SG_NS0_5tupleIJPjSI_NS0_16reverse_iteratorISI_EEEEENSH_IJSG_SG_SG_EEES9_SI_JZNS1_25segmented_radix_sort_implINS0_14default_configELb1EPKbPbPKlPlN2at6native12_GLOBAL__N_18offset_tEEE10hipError_tPvRmT1_PNSt15iterator_traitsIS12_E10value_typeET2_T3_PNS13_IS18_E10value_typeET4_jRbjT5_S1E_jjP12ihipStream_tbEUljE_ZNSN_ISO_Lb1ESQ_SR_ST_SU_SY_EESZ_S10_S11_S12_S16_S17_S18_S1B_S1C_jS1D_jS1E_S1E_jjS1G_bEUljE0_EEESZ_S10_S11_S18_S1C_S1E_T6_T7_T9_mT8_S1G_bDpT10_ENKUlT_T0_E_clISt17integral_constantIbLb0EES1T_IbLb1EEEEDaS1P_S1Q_EUlS1P_E_NS1_11comp_targetILNS1_3genE9ELNS1_11target_archE1100ELNS1_3gpuE3ELNS1_3repE0EEENS1_30default_config_static_selectorELNS0_4arch9wavefront6targetE0EEEvS12_.has_recursion, 0
	.set _ZN7rocprim17ROCPRIM_400000_NS6detail17trampoline_kernelINS0_13select_configILj256ELj13ELNS0_17block_load_methodE3ELS4_3ELS4_3ELNS0_20block_scan_algorithmE0ELj4294967295EEENS1_25partition_config_selectorILNS1_17partition_subalgoE4EjNS0_10empty_typeEbEEZZNS1_14partition_implILS8_4ELb0ES6_15HIP_vector_typeIjLj2EENS0_17counting_iteratorIjlEEPS9_SG_NS0_5tupleIJPjSI_NS0_16reverse_iteratorISI_EEEEENSH_IJSG_SG_SG_EEES9_SI_JZNS1_25segmented_radix_sort_implINS0_14default_configELb1EPKbPbPKlPlN2at6native12_GLOBAL__N_18offset_tEEE10hipError_tPvRmT1_PNSt15iterator_traitsIS12_E10value_typeET2_T3_PNS13_IS18_E10value_typeET4_jRbjT5_S1E_jjP12ihipStream_tbEUljE_ZNSN_ISO_Lb1ESQ_SR_ST_SU_SY_EESZ_S10_S11_S12_S16_S17_S18_S1B_S1C_jS1D_jS1E_S1E_jjS1G_bEUljE0_EEESZ_S10_S11_S18_S1C_S1E_T6_T7_T9_mT8_S1G_bDpT10_ENKUlT_T0_E_clISt17integral_constantIbLb0EES1T_IbLb1EEEEDaS1P_S1Q_EUlS1P_E_NS1_11comp_targetILNS1_3genE9ELNS1_11target_archE1100ELNS1_3gpuE3ELNS1_3repE0EEENS1_30default_config_static_selectorELNS0_4arch9wavefront6targetE0EEEvS12_.has_indirect_call, 0
	.section	.AMDGPU.csdata,"",@progbits
; Kernel info:
; codeLenInByte = 0
; TotalNumSgprs: 0
; NumVgprs: 0
; ScratchSize: 0
; MemoryBound: 0
; FloatMode: 240
; IeeeMode: 1
; LDSByteSize: 0 bytes/workgroup (compile time only)
; SGPRBlocks: 0
; VGPRBlocks: 0
; NumSGPRsForWavesPerEU: 1
; NumVGPRsForWavesPerEU: 1
; Occupancy: 16
; WaveLimiterHint : 0
; COMPUTE_PGM_RSRC2:SCRATCH_EN: 0
; COMPUTE_PGM_RSRC2:USER_SGPR: 2
; COMPUTE_PGM_RSRC2:TRAP_HANDLER: 0
; COMPUTE_PGM_RSRC2:TGID_X_EN: 1
; COMPUTE_PGM_RSRC2:TGID_Y_EN: 0
; COMPUTE_PGM_RSRC2:TGID_Z_EN: 0
; COMPUTE_PGM_RSRC2:TIDIG_COMP_CNT: 0
	.section	.text._ZN7rocprim17ROCPRIM_400000_NS6detail17trampoline_kernelINS0_13select_configILj256ELj13ELNS0_17block_load_methodE3ELS4_3ELS4_3ELNS0_20block_scan_algorithmE0ELj4294967295EEENS1_25partition_config_selectorILNS1_17partition_subalgoE4EjNS0_10empty_typeEbEEZZNS1_14partition_implILS8_4ELb0ES6_15HIP_vector_typeIjLj2EENS0_17counting_iteratorIjlEEPS9_SG_NS0_5tupleIJPjSI_NS0_16reverse_iteratorISI_EEEEENSH_IJSG_SG_SG_EEES9_SI_JZNS1_25segmented_radix_sort_implINS0_14default_configELb1EPKbPbPKlPlN2at6native12_GLOBAL__N_18offset_tEEE10hipError_tPvRmT1_PNSt15iterator_traitsIS12_E10value_typeET2_T3_PNS13_IS18_E10value_typeET4_jRbjT5_S1E_jjP12ihipStream_tbEUljE_ZNSN_ISO_Lb1ESQ_SR_ST_SU_SY_EESZ_S10_S11_S12_S16_S17_S18_S1B_S1C_jS1D_jS1E_S1E_jjS1G_bEUljE0_EEESZ_S10_S11_S18_S1C_S1E_T6_T7_T9_mT8_S1G_bDpT10_ENKUlT_T0_E_clISt17integral_constantIbLb0EES1T_IbLb1EEEEDaS1P_S1Q_EUlS1P_E_NS1_11comp_targetILNS1_3genE8ELNS1_11target_archE1030ELNS1_3gpuE2ELNS1_3repE0EEENS1_30default_config_static_selectorELNS0_4arch9wavefront6targetE0EEEvS12_,"axG",@progbits,_ZN7rocprim17ROCPRIM_400000_NS6detail17trampoline_kernelINS0_13select_configILj256ELj13ELNS0_17block_load_methodE3ELS4_3ELS4_3ELNS0_20block_scan_algorithmE0ELj4294967295EEENS1_25partition_config_selectorILNS1_17partition_subalgoE4EjNS0_10empty_typeEbEEZZNS1_14partition_implILS8_4ELb0ES6_15HIP_vector_typeIjLj2EENS0_17counting_iteratorIjlEEPS9_SG_NS0_5tupleIJPjSI_NS0_16reverse_iteratorISI_EEEEENSH_IJSG_SG_SG_EEES9_SI_JZNS1_25segmented_radix_sort_implINS0_14default_configELb1EPKbPbPKlPlN2at6native12_GLOBAL__N_18offset_tEEE10hipError_tPvRmT1_PNSt15iterator_traitsIS12_E10value_typeET2_T3_PNS13_IS18_E10value_typeET4_jRbjT5_S1E_jjP12ihipStream_tbEUljE_ZNSN_ISO_Lb1ESQ_SR_ST_SU_SY_EESZ_S10_S11_S12_S16_S17_S18_S1B_S1C_jS1D_jS1E_S1E_jjS1G_bEUljE0_EEESZ_S10_S11_S18_S1C_S1E_T6_T7_T9_mT8_S1G_bDpT10_ENKUlT_T0_E_clISt17integral_constantIbLb0EES1T_IbLb1EEEEDaS1P_S1Q_EUlS1P_E_NS1_11comp_targetILNS1_3genE8ELNS1_11target_archE1030ELNS1_3gpuE2ELNS1_3repE0EEENS1_30default_config_static_selectorELNS0_4arch9wavefront6targetE0EEEvS12_,comdat
	.globl	_ZN7rocprim17ROCPRIM_400000_NS6detail17trampoline_kernelINS0_13select_configILj256ELj13ELNS0_17block_load_methodE3ELS4_3ELS4_3ELNS0_20block_scan_algorithmE0ELj4294967295EEENS1_25partition_config_selectorILNS1_17partition_subalgoE4EjNS0_10empty_typeEbEEZZNS1_14partition_implILS8_4ELb0ES6_15HIP_vector_typeIjLj2EENS0_17counting_iteratorIjlEEPS9_SG_NS0_5tupleIJPjSI_NS0_16reverse_iteratorISI_EEEEENSH_IJSG_SG_SG_EEES9_SI_JZNS1_25segmented_radix_sort_implINS0_14default_configELb1EPKbPbPKlPlN2at6native12_GLOBAL__N_18offset_tEEE10hipError_tPvRmT1_PNSt15iterator_traitsIS12_E10value_typeET2_T3_PNS13_IS18_E10value_typeET4_jRbjT5_S1E_jjP12ihipStream_tbEUljE_ZNSN_ISO_Lb1ESQ_SR_ST_SU_SY_EESZ_S10_S11_S12_S16_S17_S18_S1B_S1C_jS1D_jS1E_S1E_jjS1G_bEUljE0_EEESZ_S10_S11_S18_S1C_S1E_T6_T7_T9_mT8_S1G_bDpT10_ENKUlT_T0_E_clISt17integral_constantIbLb0EES1T_IbLb1EEEEDaS1P_S1Q_EUlS1P_E_NS1_11comp_targetILNS1_3genE8ELNS1_11target_archE1030ELNS1_3gpuE2ELNS1_3repE0EEENS1_30default_config_static_selectorELNS0_4arch9wavefront6targetE0EEEvS12_ ; -- Begin function _ZN7rocprim17ROCPRIM_400000_NS6detail17trampoline_kernelINS0_13select_configILj256ELj13ELNS0_17block_load_methodE3ELS4_3ELS4_3ELNS0_20block_scan_algorithmE0ELj4294967295EEENS1_25partition_config_selectorILNS1_17partition_subalgoE4EjNS0_10empty_typeEbEEZZNS1_14partition_implILS8_4ELb0ES6_15HIP_vector_typeIjLj2EENS0_17counting_iteratorIjlEEPS9_SG_NS0_5tupleIJPjSI_NS0_16reverse_iteratorISI_EEEEENSH_IJSG_SG_SG_EEES9_SI_JZNS1_25segmented_radix_sort_implINS0_14default_configELb1EPKbPbPKlPlN2at6native12_GLOBAL__N_18offset_tEEE10hipError_tPvRmT1_PNSt15iterator_traitsIS12_E10value_typeET2_T3_PNS13_IS18_E10value_typeET4_jRbjT5_S1E_jjP12ihipStream_tbEUljE_ZNSN_ISO_Lb1ESQ_SR_ST_SU_SY_EESZ_S10_S11_S12_S16_S17_S18_S1B_S1C_jS1D_jS1E_S1E_jjS1G_bEUljE0_EEESZ_S10_S11_S18_S1C_S1E_T6_T7_T9_mT8_S1G_bDpT10_ENKUlT_T0_E_clISt17integral_constantIbLb0EES1T_IbLb1EEEEDaS1P_S1Q_EUlS1P_E_NS1_11comp_targetILNS1_3genE8ELNS1_11target_archE1030ELNS1_3gpuE2ELNS1_3repE0EEENS1_30default_config_static_selectorELNS0_4arch9wavefront6targetE0EEEvS12_
	.p2align	8
	.type	_ZN7rocprim17ROCPRIM_400000_NS6detail17trampoline_kernelINS0_13select_configILj256ELj13ELNS0_17block_load_methodE3ELS4_3ELS4_3ELNS0_20block_scan_algorithmE0ELj4294967295EEENS1_25partition_config_selectorILNS1_17partition_subalgoE4EjNS0_10empty_typeEbEEZZNS1_14partition_implILS8_4ELb0ES6_15HIP_vector_typeIjLj2EENS0_17counting_iteratorIjlEEPS9_SG_NS0_5tupleIJPjSI_NS0_16reverse_iteratorISI_EEEEENSH_IJSG_SG_SG_EEES9_SI_JZNS1_25segmented_radix_sort_implINS0_14default_configELb1EPKbPbPKlPlN2at6native12_GLOBAL__N_18offset_tEEE10hipError_tPvRmT1_PNSt15iterator_traitsIS12_E10value_typeET2_T3_PNS13_IS18_E10value_typeET4_jRbjT5_S1E_jjP12ihipStream_tbEUljE_ZNSN_ISO_Lb1ESQ_SR_ST_SU_SY_EESZ_S10_S11_S12_S16_S17_S18_S1B_S1C_jS1D_jS1E_S1E_jjS1G_bEUljE0_EEESZ_S10_S11_S18_S1C_S1E_T6_T7_T9_mT8_S1G_bDpT10_ENKUlT_T0_E_clISt17integral_constantIbLb0EES1T_IbLb1EEEEDaS1P_S1Q_EUlS1P_E_NS1_11comp_targetILNS1_3genE8ELNS1_11target_archE1030ELNS1_3gpuE2ELNS1_3repE0EEENS1_30default_config_static_selectorELNS0_4arch9wavefront6targetE0EEEvS12_,@function
_ZN7rocprim17ROCPRIM_400000_NS6detail17trampoline_kernelINS0_13select_configILj256ELj13ELNS0_17block_load_methodE3ELS4_3ELS4_3ELNS0_20block_scan_algorithmE0ELj4294967295EEENS1_25partition_config_selectorILNS1_17partition_subalgoE4EjNS0_10empty_typeEbEEZZNS1_14partition_implILS8_4ELb0ES6_15HIP_vector_typeIjLj2EENS0_17counting_iteratorIjlEEPS9_SG_NS0_5tupleIJPjSI_NS0_16reverse_iteratorISI_EEEEENSH_IJSG_SG_SG_EEES9_SI_JZNS1_25segmented_radix_sort_implINS0_14default_configELb1EPKbPbPKlPlN2at6native12_GLOBAL__N_18offset_tEEE10hipError_tPvRmT1_PNSt15iterator_traitsIS12_E10value_typeET2_T3_PNS13_IS18_E10value_typeET4_jRbjT5_S1E_jjP12ihipStream_tbEUljE_ZNSN_ISO_Lb1ESQ_SR_ST_SU_SY_EESZ_S10_S11_S12_S16_S17_S18_S1B_S1C_jS1D_jS1E_S1E_jjS1G_bEUljE0_EEESZ_S10_S11_S18_S1C_S1E_T6_T7_T9_mT8_S1G_bDpT10_ENKUlT_T0_E_clISt17integral_constantIbLb0EES1T_IbLb1EEEEDaS1P_S1Q_EUlS1P_E_NS1_11comp_targetILNS1_3genE8ELNS1_11target_archE1030ELNS1_3gpuE2ELNS1_3repE0EEENS1_30default_config_static_selectorELNS0_4arch9wavefront6targetE0EEEvS12_: ; @_ZN7rocprim17ROCPRIM_400000_NS6detail17trampoline_kernelINS0_13select_configILj256ELj13ELNS0_17block_load_methodE3ELS4_3ELS4_3ELNS0_20block_scan_algorithmE0ELj4294967295EEENS1_25partition_config_selectorILNS1_17partition_subalgoE4EjNS0_10empty_typeEbEEZZNS1_14partition_implILS8_4ELb0ES6_15HIP_vector_typeIjLj2EENS0_17counting_iteratorIjlEEPS9_SG_NS0_5tupleIJPjSI_NS0_16reverse_iteratorISI_EEEEENSH_IJSG_SG_SG_EEES9_SI_JZNS1_25segmented_radix_sort_implINS0_14default_configELb1EPKbPbPKlPlN2at6native12_GLOBAL__N_18offset_tEEE10hipError_tPvRmT1_PNSt15iterator_traitsIS12_E10value_typeET2_T3_PNS13_IS18_E10value_typeET4_jRbjT5_S1E_jjP12ihipStream_tbEUljE_ZNSN_ISO_Lb1ESQ_SR_ST_SU_SY_EESZ_S10_S11_S12_S16_S17_S18_S1B_S1C_jS1D_jS1E_S1E_jjS1G_bEUljE0_EEESZ_S10_S11_S18_S1C_S1E_T6_T7_T9_mT8_S1G_bDpT10_ENKUlT_T0_E_clISt17integral_constantIbLb0EES1T_IbLb1EEEEDaS1P_S1Q_EUlS1P_E_NS1_11comp_targetILNS1_3genE8ELNS1_11target_archE1030ELNS1_3gpuE2ELNS1_3repE0EEENS1_30default_config_static_selectorELNS0_4arch9wavefront6targetE0EEEvS12_
; %bb.0:
	.section	.rodata,"a",@progbits
	.p2align	6, 0x0
	.amdhsa_kernel _ZN7rocprim17ROCPRIM_400000_NS6detail17trampoline_kernelINS0_13select_configILj256ELj13ELNS0_17block_load_methodE3ELS4_3ELS4_3ELNS0_20block_scan_algorithmE0ELj4294967295EEENS1_25partition_config_selectorILNS1_17partition_subalgoE4EjNS0_10empty_typeEbEEZZNS1_14partition_implILS8_4ELb0ES6_15HIP_vector_typeIjLj2EENS0_17counting_iteratorIjlEEPS9_SG_NS0_5tupleIJPjSI_NS0_16reverse_iteratorISI_EEEEENSH_IJSG_SG_SG_EEES9_SI_JZNS1_25segmented_radix_sort_implINS0_14default_configELb1EPKbPbPKlPlN2at6native12_GLOBAL__N_18offset_tEEE10hipError_tPvRmT1_PNSt15iterator_traitsIS12_E10value_typeET2_T3_PNS13_IS18_E10value_typeET4_jRbjT5_S1E_jjP12ihipStream_tbEUljE_ZNSN_ISO_Lb1ESQ_SR_ST_SU_SY_EESZ_S10_S11_S12_S16_S17_S18_S1B_S1C_jS1D_jS1E_S1E_jjS1G_bEUljE0_EEESZ_S10_S11_S18_S1C_S1E_T6_T7_T9_mT8_S1G_bDpT10_ENKUlT_T0_E_clISt17integral_constantIbLb0EES1T_IbLb1EEEEDaS1P_S1Q_EUlS1P_E_NS1_11comp_targetILNS1_3genE8ELNS1_11target_archE1030ELNS1_3gpuE2ELNS1_3repE0EEENS1_30default_config_static_selectorELNS0_4arch9wavefront6targetE0EEEvS12_
		.amdhsa_group_segment_fixed_size 0
		.amdhsa_private_segment_fixed_size 0
		.amdhsa_kernarg_size 184
		.amdhsa_user_sgpr_count 2
		.amdhsa_user_sgpr_dispatch_ptr 0
		.amdhsa_user_sgpr_queue_ptr 0
		.amdhsa_user_sgpr_kernarg_segment_ptr 1
		.amdhsa_user_sgpr_dispatch_id 0
		.amdhsa_user_sgpr_private_segment_size 0
		.amdhsa_wavefront_size32 1
		.amdhsa_uses_dynamic_stack 0
		.amdhsa_enable_private_segment 0
		.amdhsa_system_sgpr_workgroup_id_x 1
		.amdhsa_system_sgpr_workgroup_id_y 0
		.amdhsa_system_sgpr_workgroup_id_z 0
		.amdhsa_system_sgpr_workgroup_info 0
		.amdhsa_system_vgpr_workitem_id 0
		.amdhsa_next_free_vgpr 1
		.amdhsa_next_free_sgpr 1
		.amdhsa_reserve_vcc 0
		.amdhsa_float_round_mode_32 0
		.amdhsa_float_round_mode_16_64 0
		.amdhsa_float_denorm_mode_32 3
		.amdhsa_float_denorm_mode_16_64 3
		.amdhsa_fp16_overflow 0
		.amdhsa_workgroup_processor_mode 1
		.amdhsa_memory_ordered 1
		.amdhsa_forward_progress 1
		.amdhsa_inst_pref_size 0
		.amdhsa_round_robin_scheduling 0
		.amdhsa_exception_fp_ieee_invalid_op 0
		.amdhsa_exception_fp_denorm_src 0
		.amdhsa_exception_fp_ieee_div_zero 0
		.amdhsa_exception_fp_ieee_overflow 0
		.amdhsa_exception_fp_ieee_underflow 0
		.amdhsa_exception_fp_ieee_inexact 0
		.amdhsa_exception_int_div_zero 0
	.end_amdhsa_kernel
	.section	.text._ZN7rocprim17ROCPRIM_400000_NS6detail17trampoline_kernelINS0_13select_configILj256ELj13ELNS0_17block_load_methodE3ELS4_3ELS4_3ELNS0_20block_scan_algorithmE0ELj4294967295EEENS1_25partition_config_selectorILNS1_17partition_subalgoE4EjNS0_10empty_typeEbEEZZNS1_14partition_implILS8_4ELb0ES6_15HIP_vector_typeIjLj2EENS0_17counting_iteratorIjlEEPS9_SG_NS0_5tupleIJPjSI_NS0_16reverse_iteratorISI_EEEEENSH_IJSG_SG_SG_EEES9_SI_JZNS1_25segmented_radix_sort_implINS0_14default_configELb1EPKbPbPKlPlN2at6native12_GLOBAL__N_18offset_tEEE10hipError_tPvRmT1_PNSt15iterator_traitsIS12_E10value_typeET2_T3_PNS13_IS18_E10value_typeET4_jRbjT5_S1E_jjP12ihipStream_tbEUljE_ZNSN_ISO_Lb1ESQ_SR_ST_SU_SY_EESZ_S10_S11_S12_S16_S17_S18_S1B_S1C_jS1D_jS1E_S1E_jjS1G_bEUljE0_EEESZ_S10_S11_S18_S1C_S1E_T6_T7_T9_mT8_S1G_bDpT10_ENKUlT_T0_E_clISt17integral_constantIbLb0EES1T_IbLb1EEEEDaS1P_S1Q_EUlS1P_E_NS1_11comp_targetILNS1_3genE8ELNS1_11target_archE1030ELNS1_3gpuE2ELNS1_3repE0EEENS1_30default_config_static_selectorELNS0_4arch9wavefront6targetE0EEEvS12_,"axG",@progbits,_ZN7rocprim17ROCPRIM_400000_NS6detail17trampoline_kernelINS0_13select_configILj256ELj13ELNS0_17block_load_methodE3ELS4_3ELS4_3ELNS0_20block_scan_algorithmE0ELj4294967295EEENS1_25partition_config_selectorILNS1_17partition_subalgoE4EjNS0_10empty_typeEbEEZZNS1_14partition_implILS8_4ELb0ES6_15HIP_vector_typeIjLj2EENS0_17counting_iteratorIjlEEPS9_SG_NS0_5tupleIJPjSI_NS0_16reverse_iteratorISI_EEEEENSH_IJSG_SG_SG_EEES9_SI_JZNS1_25segmented_radix_sort_implINS0_14default_configELb1EPKbPbPKlPlN2at6native12_GLOBAL__N_18offset_tEEE10hipError_tPvRmT1_PNSt15iterator_traitsIS12_E10value_typeET2_T3_PNS13_IS18_E10value_typeET4_jRbjT5_S1E_jjP12ihipStream_tbEUljE_ZNSN_ISO_Lb1ESQ_SR_ST_SU_SY_EESZ_S10_S11_S12_S16_S17_S18_S1B_S1C_jS1D_jS1E_S1E_jjS1G_bEUljE0_EEESZ_S10_S11_S18_S1C_S1E_T6_T7_T9_mT8_S1G_bDpT10_ENKUlT_T0_E_clISt17integral_constantIbLb0EES1T_IbLb1EEEEDaS1P_S1Q_EUlS1P_E_NS1_11comp_targetILNS1_3genE8ELNS1_11target_archE1030ELNS1_3gpuE2ELNS1_3repE0EEENS1_30default_config_static_selectorELNS0_4arch9wavefront6targetE0EEEvS12_,comdat
.Lfunc_end1499:
	.size	_ZN7rocprim17ROCPRIM_400000_NS6detail17trampoline_kernelINS0_13select_configILj256ELj13ELNS0_17block_load_methodE3ELS4_3ELS4_3ELNS0_20block_scan_algorithmE0ELj4294967295EEENS1_25partition_config_selectorILNS1_17partition_subalgoE4EjNS0_10empty_typeEbEEZZNS1_14partition_implILS8_4ELb0ES6_15HIP_vector_typeIjLj2EENS0_17counting_iteratorIjlEEPS9_SG_NS0_5tupleIJPjSI_NS0_16reverse_iteratorISI_EEEEENSH_IJSG_SG_SG_EEES9_SI_JZNS1_25segmented_radix_sort_implINS0_14default_configELb1EPKbPbPKlPlN2at6native12_GLOBAL__N_18offset_tEEE10hipError_tPvRmT1_PNSt15iterator_traitsIS12_E10value_typeET2_T3_PNS13_IS18_E10value_typeET4_jRbjT5_S1E_jjP12ihipStream_tbEUljE_ZNSN_ISO_Lb1ESQ_SR_ST_SU_SY_EESZ_S10_S11_S12_S16_S17_S18_S1B_S1C_jS1D_jS1E_S1E_jjS1G_bEUljE0_EEESZ_S10_S11_S18_S1C_S1E_T6_T7_T9_mT8_S1G_bDpT10_ENKUlT_T0_E_clISt17integral_constantIbLb0EES1T_IbLb1EEEEDaS1P_S1Q_EUlS1P_E_NS1_11comp_targetILNS1_3genE8ELNS1_11target_archE1030ELNS1_3gpuE2ELNS1_3repE0EEENS1_30default_config_static_selectorELNS0_4arch9wavefront6targetE0EEEvS12_, .Lfunc_end1499-_ZN7rocprim17ROCPRIM_400000_NS6detail17trampoline_kernelINS0_13select_configILj256ELj13ELNS0_17block_load_methodE3ELS4_3ELS4_3ELNS0_20block_scan_algorithmE0ELj4294967295EEENS1_25partition_config_selectorILNS1_17partition_subalgoE4EjNS0_10empty_typeEbEEZZNS1_14partition_implILS8_4ELb0ES6_15HIP_vector_typeIjLj2EENS0_17counting_iteratorIjlEEPS9_SG_NS0_5tupleIJPjSI_NS0_16reverse_iteratorISI_EEEEENSH_IJSG_SG_SG_EEES9_SI_JZNS1_25segmented_radix_sort_implINS0_14default_configELb1EPKbPbPKlPlN2at6native12_GLOBAL__N_18offset_tEEE10hipError_tPvRmT1_PNSt15iterator_traitsIS12_E10value_typeET2_T3_PNS13_IS18_E10value_typeET4_jRbjT5_S1E_jjP12ihipStream_tbEUljE_ZNSN_ISO_Lb1ESQ_SR_ST_SU_SY_EESZ_S10_S11_S12_S16_S17_S18_S1B_S1C_jS1D_jS1E_S1E_jjS1G_bEUljE0_EEESZ_S10_S11_S18_S1C_S1E_T6_T7_T9_mT8_S1G_bDpT10_ENKUlT_T0_E_clISt17integral_constantIbLb0EES1T_IbLb1EEEEDaS1P_S1Q_EUlS1P_E_NS1_11comp_targetILNS1_3genE8ELNS1_11target_archE1030ELNS1_3gpuE2ELNS1_3repE0EEENS1_30default_config_static_selectorELNS0_4arch9wavefront6targetE0EEEvS12_
                                        ; -- End function
	.set _ZN7rocprim17ROCPRIM_400000_NS6detail17trampoline_kernelINS0_13select_configILj256ELj13ELNS0_17block_load_methodE3ELS4_3ELS4_3ELNS0_20block_scan_algorithmE0ELj4294967295EEENS1_25partition_config_selectorILNS1_17partition_subalgoE4EjNS0_10empty_typeEbEEZZNS1_14partition_implILS8_4ELb0ES6_15HIP_vector_typeIjLj2EENS0_17counting_iteratorIjlEEPS9_SG_NS0_5tupleIJPjSI_NS0_16reverse_iteratorISI_EEEEENSH_IJSG_SG_SG_EEES9_SI_JZNS1_25segmented_radix_sort_implINS0_14default_configELb1EPKbPbPKlPlN2at6native12_GLOBAL__N_18offset_tEEE10hipError_tPvRmT1_PNSt15iterator_traitsIS12_E10value_typeET2_T3_PNS13_IS18_E10value_typeET4_jRbjT5_S1E_jjP12ihipStream_tbEUljE_ZNSN_ISO_Lb1ESQ_SR_ST_SU_SY_EESZ_S10_S11_S12_S16_S17_S18_S1B_S1C_jS1D_jS1E_S1E_jjS1G_bEUljE0_EEESZ_S10_S11_S18_S1C_S1E_T6_T7_T9_mT8_S1G_bDpT10_ENKUlT_T0_E_clISt17integral_constantIbLb0EES1T_IbLb1EEEEDaS1P_S1Q_EUlS1P_E_NS1_11comp_targetILNS1_3genE8ELNS1_11target_archE1030ELNS1_3gpuE2ELNS1_3repE0EEENS1_30default_config_static_selectorELNS0_4arch9wavefront6targetE0EEEvS12_.num_vgpr, 0
	.set _ZN7rocprim17ROCPRIM_400000_NS6detail17trampoline_kernelINS0_13select_configILj256ELj13ELNS0_17block_load_methodE3ELS4_3ELS4_3ELNS0_20block_scan_algorithmE0ELj4294967295EEENS1_25partition_config_selectorILNS1_17partition_subalgoE4EjNS0_10empty_typeEbEEZZNS1_14partition_implILS8_4ELb0ES6_15HIP_vector_typeIjLj2EENS0_17counting_iteratorIjlEEPS9_SG_NS0_5tupleIJPjSI_NS0_16reverse_iteratorISI_EEEEENSH_IJSG_SG_SG_EEES9_SI_JZNS1_25segmented_radix_sort_implINS0_14default_configELb1EPKbPbPKlPlN2at6native12_GLOBAL__N_18offset_tEEE10hipError_tPvRmT1_PNSt15iterator_traitsIS12_E10value_typeET2_T3_PNS13_IS18_E10value_typeET4_jRbjT5_S1E_jjP12ihipStream_tbEUljE_ZNSN_ISO_Lb1ESQ_SR_ST_SU_SY_EESZ_S10_S11_S12_S16_S17_S18_S1B_S1C_jS1D_jS1E_S1E_jjS1G_bEUljE0_EEESZ_S10_S11_S18_S1C_S1E_T6_T7_T9_mT8_S1G_bDpT10_ENKUlT_T0_E_clISt17integral_constantIbLb0EES1T_IbLb1EEEEDaS1P_S1Q_EUlS1P_E_NS1_11comp_targetILNS1_3genE8ELNS1_11target_archE1030ELNS1_3gpuE2ELNS1_3repE0EEENS1_30default_config_static_selectorELNS0_4arch9wavefront6targetE0EEEvS12_.num_agpr, 0
	.set _ZN7rocprim17ROCPRIM_400000_NS6detail17trampoline_kernelINS0_13select_configILj256ELj13ELNS0_17block_load_methodE3ELS4_3ELS4_3ELNS0_20block_scan_algorithmE0ELj4294967295EEENS1_25partition_config_selectorILNS1_17partition_subalgoE4EjNS0_10empty_typeEbEEZZNS1_14partition_implILS8_4ELb0ES6_15HIP_vector_typeIjLj2EENS0_17counting_iteratorIjlEEPS9_SG_NS0_5tupleIJPjSI_NS0_16reverse_iteratorISI_EEEEENSH_IJSG_SG_SG_EEES9_SI_JZNS1_25segmented_radix_sort_implINS0_14default_configELb1EPKbPbPKlPlN2at6native12_GLOBAL__N_18offset_tEEE10hipError_tPvRmT1_PNSt15iterator_traitsIS12_E10value_typeET2_T3_PNS13_IS18_E10value_typeET4_jRbjT5_S1E_jjP12ihipStream_tbEUljE_ZNSN_ISO_Lb1ESQ_SR_ST_SU_SY_EESZ_S10_S11_S12_S16_S17_S18_S1B_S1C_jS1D_jS1E_S1E_jjS1G_bEUljE0_EEESZ_S10_S11_S18_S1C_S1E_T6_T7_T9_mT8_S1G_bDpT10_ENKUlT_T0_E_clISt17integral_constantIbLb0EES1T_IbLb1EEEEDaS1P_S1Q_EUlS1P_E_NS1_11comp_targetILNS1_3genE8ELNS1_11target_archE1030ELNS1_3gpuE2ELNS1_3repE0EEENS1_30default_config_static_selectorELNS0_4arch9wavefront6targetE0EEEvS12_.numbered_sgpr, 0
	.set _ZN7rocprim17ROCPRIM_400000_NS6detail17trampoline_kernelINS0_13select_configILj256ELj13ELNS0_17block_load_methodE3ELS4_3ELS4_3ELNS0_20block_scan_algorithmE0ELj4294967295EEENS1_25partition_config_selectorILNS1_17partition_subalgoE4EjNS0_10empty_typeEbEEZZNS1_14partition_implILS8_4ELb0ES6_15HIP_vector_typeIjLj2EENS0_17counting_iteratorIjlEEPS9_SG_NS0_5tupleIJPjSI_NS0_16reverse_iteratorISI_EEEEENSH_IJSG_SG_SG_EEES9_SI_JZNS1_25segmented_radix_sort_implINS0_14default_configELb1EPKbPbPKlPlN2at6native12_GLOBAL__N_18offset_tEEE10hipError_tPvRmT1_PNSt15iterator_traitsIS12_E10value_typeET2_T3_PNS13_IS18_E10value_typeET4_jRbjT5_S1E_jjP12ihipStream_tbEUljE_ZNSN_ISO_Lb1ESQ_SR_ST_SU_SY_EESZ_S10_S11_S12_S16_S17_S18_S1B_S1C_jS1D_jS1E_S1E_jjS1G_bEUljE0_EEESZ_S10_S11_S18_S1C_S1E_T6_T7_T9_mT8_S1G_bDpT10_ENKUlT_T0_E_clISt17integral_constantIbLb0EES1T_IbLb1EEEEDaS1P_S1Q_EUlS1P_E_NS1_11comp_targetILNS1_3genE8ELNS1_11target_archE1030ELNS1_3gpuE2ELNS1_3repE0EEENS1_30default_config_static_selectorELNS0_4arch9wavefront6targetE0EEEvS12_.num_named_barrier, 0
	.set _ZN7rocprim17ROCPRIM_400000_NS6detail17trampoline_kernelINS0_13select_configILj256ELj13ELNS0_17block_load_methodE3ELS4_3ELS4_3ELNS0_20block_scan_algorithmE0ELj4294967295EEENS1_25partition_config_selectorILNS1_17partition_subalgoE4EjNS0_10empty_typeEbEEZZNS1_14partition_implILS8_4ELb0ES6_15HIP_vector_typeIjLj2EENS0_17counting_iteratorIjlEEPS9_SG_NS0_5tupleIJPjSI_NS0_16reverse_iteratorISI_EEEEENSH_IJSG_SG_SG_EEES9_SI_JZNS1_25segmented_radix_sort_implINS0_14default_configELb1EPKbPbPKlPlN2at6native12_GLOBAL__N_18offset_tEEE10hipError_tPvRmT1_PNSt15iterator_traitsIS12_E10value_typeET2_T3_PNS13_IS18_E10value_typeET4_jRbjT5_S1E_jjP12ihipStream_tbEUljE_ZNSN_ISO_Lb1ESQ_SR_ST_SU_SY_EESZ_S10_S11_S12_S16_S17_S18_S1B_S1C_jS1D_jS1E_S1E_jjS1G_bEUljE0_EEESZ_S10_S11_S18_S1C_S1E_T6_T7_T9_mT8_S1G_bDpT10_ENKUlT_T0_E_clISt17integral_constantIbLb0EES1T_IbLb1EEEEDaS1P_S1Q_EUlS1P_E_NS1_11comp_targetILNS1_3genE8ELNS1_11target_archE1030ELNS1_3gpuE2ELNS1_3repE0EEENS1_30default_config_static_selectorELNS0_4arch9wavefront6targetE0EEEvS12_.private_seg_size, 0
	.set _ZN7rocprim17ROCPRIM_400000_NS6detail17trampoline_kernelINS0_13select_configILj256ELj13ELNS0_17block_load_methodE3ELS4_3ELS4_3ELNS0_20block_scan_algorithmE0ELj4294967295EEENS1_25partition_config_selectorILNS1_17partition_subalgoE4EjNS0_10empty_typeEbEEZZNS1_14partition_implILS8_4ELb0ES6_15HIP_vector_typeIjLj2EENS0_17counting_iteratorIjlEEPS9_SG_NS0_5tupleIJPjSI_NS0_16reverse_iteratorISI_EEEEENSH_IJSG_SG_SG_EEES9_SI_JZNS1_25segmented_radix_sort_implINS0_14default_configELb1EPKbPbPKlPlN2at6native12_GLOBAL__N_18offset_tEEE10hipError_tPvRmT1_PNSt15iterator_traitsIS12_E10value_typeET2_T3_PNS13_IS18_E10value_typeET4_jRbjT5_S1E_jjP12ihipStream_tbEUljE_ZNSN_ISO_Lb1ESQ_SR_ST_SU_SY_EESZ_S10_S11_S12_S16_S17_S18_S1B_S1C_jS1D_jS1E_S1E_jjS1G_bEUljE0_EEESZ_S10_S11_S18_S1C_S1E_T6_T7_T9_mT8_S1G_bDpT10_ENKUlT_T0_E_clISt17integral_constantIbLb0EES1T_IbLb1EEEEDaS1P_S1Q_EUlS1P_E_NS1_11comp_targetILNS1_3genE8ELNS1_11target_archE1030ELNS1_3gpuE2ELNS1_3repE0EEENS1_30default_config_static_selectorELNS0_4arch9wavefront6targetE0EEEvS12_.uses_vcc, 0
	.set _ZN7rocprim17ROCPRIM_400000_NS6detail17trampoline_kernelINS0_13select_configILj256ELj13ELNS0_17block_load_methodE3ELS4_3ELS4_3ELNS0_20block_scan_algorithmE0ELj4294967295EEENS1_25partition_config_selectorILNS1_17partition_subalgoE4EjNS0_10empty_typeEbEEZZNS1_14partition_implILS8_4ELb0ES6_15HIP_vector_typeIjLj2EENS0_17counting_iteratorIjlEEPS9_SG_NS0_5tupleIJPjSI_NS0_16reverse_iteratorISI_EEEEENSH_IJSG_SG_SG_EEES9_SI_JZNS1_25segmented_radix_sort_implINS0_14default_configELb1EPKbPbPKlPlN2at6native12_GLOBAL__N_18offset_tEEE10hipError_tPvRmT1_PNSt15iterator_traitsIS12_E10value_typeET2_T3_PNS13_IS18_E10value_typeET4_jRbjT5_S1E_jjP12ihipStream_tbEUljE_ZNSN_ISO_Lb1ESQ_SR_ST_SU_SY_EESZ_S10_S11_S12_S16_S17_S18_S1B_S1C_jS1D_jS1E_S1E_jjS1G_bEUljE0_EEESZ_S10_S11_S18_S1C_S1E_T6_T7_T9_mT8_S1G_bDpT10_ENKUlT_T0_E_clISt17integral_constantIbLb0EES1T_IbLb1EEEEDaS1P_S1Q_EUlS1P_E_NS1_11comp_targetILNS1_3genE8ELNS1_11target_archE1030ELNS1_3gpuE2ELNS1_3repE0EEENS1_30default_config_static_selectorELNS0_4arch9wavefront6targetE0EEEvS12_.uses_flat_scratch, 0
	.set _ZN7rocprim17ROCPRIM_400000_NS6detail17trampoline_kernelINS0_13select_configILj256ELj13ELNS0_17block_load_methodE3ELS4_3ELS4_3ELNS0_20block_scan_algorithmE0ELj4294967295EEENS1_25partition_config_selectorILNS1_17partition_subalgoE4EjNS0_10empty_typeEbEEZZNS1_14partition_implILS8_4ELb0ES6_15HIP_vector_typeIjLj2EENS0_17counting_iteratorIjlEEPS9_SG_NS0_5tupleIJPjSI_NS0_16reverse_iteratorISI_EEEEENSH_IJSG_SG_SG_EEES9_SI_JZNS1_25segmented_radix_sort_implINS0_14default_configELb1EPKbPbPKlPlN2at6native12_GLOBAL__N_18offset_tEEE10hipError_tPvRmT1_PNSt15iterator_traitsIS12_E10value_typeET2_T3_PNS13_IS18_E10value_typeET4_jRbjT5_S1E_jjP12ihipStream_tbEUljE_ZNSN_ISO_Lb1ESQ_SR_ST_SU_SY_EESZ_S10_S11_S12_S16_S17_S18_S1B_S1C_jS1D_jS1E_S1E_jjS1G_bEUljE0_EEESZ_S10_S11_S18_S1C_S1E_T6_T7_T9_mT8_S1G_bDpT10_ENKUlT_T0_E_clISt17integral_constantIbLb0EES1T_IbLb1EEEEDaS1P_S1Q_EUlS1P_E_NS1_11comp_targetILNS1_3genE8ELNS1_11target_archE1030ELNS1_3gpuE2ELNS1_3repE0EEENS1_30default_config_static_selectorELNS0_4arch9wavefront6targetE0EEEvS12_.has_dyn_sized_stack, 0
	.set _ZN7rocprim17ROCPRIM_400000_NS6detail17trampoline_kernelINS0_13select_configILj256ELj13ELNS0_17block_load_methodE3ELS4_3ELS4_3ELNS0_20block_scan_algorithmE0ELj4294967295EEENS1_25partition_config_selectorILNS1_17partition_subalgoE4EjNS0_10empty_typeEbEEZZNS1_14partition_implILS8_4ELb0ES6_15HIP_vector_typeIjLj2EENS0_17counting_iteratorIjlEEPS9_SG_NS0_5tupleIJPjSI_NS0_16reverse_iteratorISI_EEEEENSH_IJSG_SG_SG_EEES9_SI_JZNS1_25segmented_radix_sort_implINS0_14default_configELb1EPKbPbPKlPlN2at6native12_GLOBAL__N_18offset_tEEE10hipError_tPvRmT1_PNSt15iterator_traitsIS12_E10value_typeET2_T3_PNS13_IS18_E10value_typeET4_jRbjT5_S1E_jjP12ihipStream_tbEUljE_ZNSN_ISO_Lb1ESQ_SR_ST_SU_SY_EESZ_S10_S11_S12_S16_S17_S18_S1B_S1C_jS1D_jS1E_S1E_jjS1G_bEUljE0_EEESZ_S10_S11_S18_S1C_S1E_T6_T7_T9_mT8_S1G_bDpT10_ENKUlT_T0_E_clISt17integral_constantIbLb0EES1T_IbLb1EEEEDaS1P_S1Q_EUlS1P_E_NS1_11comp_targetILNS1_3genE8ELNS1_11target_archE1030ELNS1_3gpuE2ELNS1_3repE0EEENS1_30default_config_static_selectorELNS0_4arch9wavefront6targetE0EEEvS12_.has_recursion, 0
	.set _ZN7rocprim17ROCPRIM_400000_NS6detail17trampoline_kernelINS0_13select_configILj256ELj13ELNS0_17block_load_methodE3ELS4_3ELS4_3ELNS0_20block_scan_algorithmE0ELj4294967295EEENS1_25partition_config_selectorILNS1_17partition_subalgoE4EjNS0_10empty_typeEbEEZZNS1_14partition_implILS8_4ELb0ES6_15HIP_vector_typeIjLj2EENS0_17counting_iteratorIjlEEPS9_SG_NS0_5tupleIJPjSI_NS0_16reverse_iteratorISI_EEEEENSH_IJSG_SG_SG_EEES9_SI_JZNS1_25segmented_radix_sort_implINS0_14default_configELb1EPKbPbPKlPlN2at6native12_GLOBAL__N_18offset_tEEE10hipError_tPvRmT1_PNSt15iterator_traitsIS12_E10value_typeET2_T3_PNS13_IS18_E10value_typeET4_jRbjT5_S1E_jjP12ihipStream_tbEUljE_ZNSN_ISO_Lb1ESQ_SR_ST_SU_SY_EESZ_S10_S11_S12_S16_S17_S18_S1B_S1C_jS1D_jS1E_S1E_jjS1G_bEUljE0_EEESZ_S10_S11_S18_S1C_S1E_T6_T7_T9_mT8_S1G_bDpT10_ENKUlT_T0_E_clISt17integral_constantIbLb0EES1T_IbLb1EEEEDaS1P_S1Q_EUlS1P_E_NS1_11comp_targetILNS1_3genE8ELNS1_11target_archE1030ELNS1_3gpuE2ELNS1_3repE0EEENS1_30default_config_static_selectorELNS0_4arch9wavefront6targetE0EEEvS12_.has_indirect_call, 0
	.section	.AMDGPU.csdata,"",@progbits
; Kernel info:
; codeLenInByte = 0
; TotalNumSgprs: 0
; NumVgprs: 0
; ScratchSize: 0
; MemoryBound: 0
; FloatMode: 240
; IeeeMode: 1
; LDSByteSize: 0 bytes/workgroup (compile time only)
; SGPRBlocks: 0
; VGPRBlocks: 0
; NumSGPRsForWavesPerEU: 1
; NumVGPRsForWavesPerEU: 1
; Occupancy: 16
; WaveLimiterHint : 0
; COMPUTE_PGM_RSRC2:SCRATCH_EN: 0
; COMPUTE_PGM_RSRC2:USER_SGPR: 2
; COMPUTE_PGM_RSRC2:TRAP_HANDLER: 0
; COMPUTE_PGM_RSRC2:TGID_X_EN: 1
; COMPUTE_PGM_RSRC2:TGID_Y_EN: 0
; COMPUTE_PGM_RSRC2:TGID_Z_EN: 0
; COMPUTE_PGM_RSRC2:TIDIG_COMP_CNT: 0
	.section	.text._ZN7rocprim17ROCPRIM_400000_NS6detail17trampoline_kernelINS0_13select_configILj256ELj13ELNS0_17block_load_methodE3ELS4_3ELS4_3ELNS0_20block_scan_algorithmE0ELj4294967295EEENS1_25partition_config_selectorILNS1_17partition_subalgoE3EjNS0_10empty_typeEbEEZZNS1_14partition_implILS8_3ELb0ES6_jNS0_17counting_iteratorIjlEEPS9_SE_NS0_5tupleIJPjSE_EEENSF_IJSE_SE_EEES9_SG_JZNS1_25segmented_radix_sort_implINS0_14default_configELb1EPKbPbPKlPlN2at6native12_GLOBAL__N_18offset_tEEE10hipError_tPvRmT1_PNSt15iterator_traitsISY_E10value_typeET2_T3_PNSZ_IS14_E10value_typeET4_jRbjT5_S1A_jjP12ihipStream_tbEUljE_EEESV_SW_SX_S14_S18_S1A_T6_T7_T9_mT8_S1C_bDpT10_ENKUlT_T0_E_clISt17integral_constantIbLb0EES1P_EEDaS1K_S1L_EUlS1K_E_NS1_11comp_targetILNS1_3genE0ELNS1_11target_archE4294967295ELNS1_3gpuE0ELNS1_3repE0EEENS1_30default_config_static_selectorELNS0_4arch9wavefront6targetE0EEEvSY_,"axG",@progbits,_ZN7rocprim17ROCPRIM_400000_NS6detail17trampoline_kernelINS0_13select_configILj256ELj13ELNS0_17block_load_methodE3ELS4_3ELS4_3ELNS0_20block_scan_algorithmE0ELj4294967295EEENS1_25partition_config_selectorILNS1_17partition_subalgoE3EjNS0_10empty_typeEbEEZZNS1_14partition_implILS8_3ELb0ES6_jNS0_17counting_iteratorIjlEEPS9_SE_NS0_5tupleIJPjSE_EEENSF_IJSE_SE_EEES9_SG_JZNS1_25segmented_radix_sort_implINS0_14default_configELb1EPKbPbPKlPlN2at6native12_GLOBAL__N_18offset_tEEE10hipError_tPvRmT1_PNSt15iterator_traitsISY_E10value_typeET2_T3_PNSZ_IS14_E10value_typeET4_jRbjT5_S1A_jjP12ihipStream_tbEUljE_EEESV_SW_SX_S14_S18_S1A_T6_T7_T9_mT8_S1C_bDpT10_ENKUlT_T0_E_clISt17integral_constantIbLb0EES1P_EEDaS1K_S1L_EUlS1K_E_NS1_11comp_targetILNS1_3genE0ELNS1_11target_archE4294967295ELNS1_3gpuE0ELNS1_3repE0EEENS1_30default_config_static_selectorELNS0_4arch9wavefront6targetE0EEEvSY_,comdat
	.globl	_ZN7rocprim17ROCPRIM_400000_NS6detail17trampoline_kernelINS0_13select_configILj256ELj13ELNS0_17block_load_methodE3ELS4_3ELS4_3ELNS0_20block_scan_algorithmE0ELj4294967295EEENS1_25partition_config_selectorILNS1_17partition_subalgoE3EjNS0_10empty_typeEbEEZZNS1_14partition_implILS8_3ELb0ES6_jNS0_17counting_iteratorIjlEEPS9_SE_NS0_5tupleIJPjSE_EEENSF_IJSE_SE_EEES9_SG_JZNS1_25segmented_radix_sort_implINS0_14default_configELb1EPKbPbPKlPlN2at6native12_GLOBAL__N_18offset_tEEE10hipError_tPvRmT1_PNSt15iterator_traitsISY_E10value_typeET2_T3_PNSZ_IS14_E10value_typeET4_jRbjT5_S1A_jjP12ihipStream_tbEUljE_EEESV_SW_SX_S14_S18_S1A_T6_T7_T9_mT8_S1C_bDpT10_ENKUlT_T0_E_clISt17integral_constantIbLb0EES1P_EEDaS1K_S1L_EUlS1K_E_NS1_11comp_targetILNS1_3genE0ELNS1_11target_archE4294967295ELNS1_3gpuE0ELNS1_3repE0EEENS1_30default_config_static_selectorELNS0_4arch9wavefront6targetE0EEEvSY_ ; -- Begin function _ZN7rocprim17ROCPRIM_400000_NS6detail17trampoline_kernelINS0_13select_configILj256ELj13ELNS0_17block_load_methodE3ELS4_3ELS4_3ELNS0_20block_scan_algorithmE0ELj4294967295EEENS1_25partition_config_selectorILNS1_17partition_subalgoE3EjNS0_10empty_typeEbEEZZNS1_14partition_implILS8_3ELb0ES6_jNS0_17counting_iteratorIjlEEPS9_SE_NS0_5tupleIJPjSE_EEENSF_IJSE_SE_EEES9_SG_JZNS1_25segmented_radix_sort_implINS0_14default_configELb1EPKbPbPKlPlN2at6native12_GLOBAL__N_18offset_tEEE10hipError_tPvRmT1_PNSt15iterator_traitsISY_E10value_typeET2_T3_PNSZ_IS14_E10value_typeET4_jRbjT5_S1A_jjP12ihipStream_tbEUljE_EEESV_SW_SX_S14_S18_S1A_T6_T7_T9_mT8_S1C_bDpT10_ENKUlT_T0_E_clISt17integral_constantIbLb0EES1P_EEDaS1K_S1L_EUlS1K_E_NS1_11comp_targetILNS1_3genE0ELNS1_11target_archE4294967295ELNS1_3gpuE0ELNS1_3repE0EEENS1_30default_config_static_selectorELNS0_4arch9wavefront6targetE0EEEvSY_
	.p2align	8
	.type	_ZN7rocprim17ROCPRIM_400000_NS6detail17trampoline_kernelINS0_13select_configILj256ELj13ELNS0_17block_load_methodE3ELS4_3ELS4_3ELNS0_20block_scan_algorithmE0ELj4294967295EEENS1_25partition_config_selectorILNS1_17partition_subalgoE3EjNS0_10empty_typeEbEEZZNS1_14partition_implILS8_3ELb0ES6_jNS0_17counting_iteratorIjlEEPS9_SE_NS0_5tupleIJPjSE_EEENSF_IJSE_SE_EEES9_SG_JZNS1_25segmented_radix_sort_implINS0_14default_configELb1EPKbPbPKlPlN2at6native12_GLOBAL__N_18offset_tEEE10hipError_tPvRmT1_PNSt15iterator_traitsISY_E10value_typeET2_T3_PNSZ_IS14_E10value_typeET4_jRbjT5_S1A_jjP12ihipStream_tbEUljE_EEESV_SW_SX_S14_S18_S1A_T6_T7_T9_mT8_S1C_bDpT10_ENKUlT_T0_E_clISt17integral_constantIbLb0EES1P_EEDaS1K_S1L_EUlS1K_E_NS1_11comp_targetILNS1_3genE0ELNS1_11target_archE4294967295ELNS1_3gpuE0ELNS1_3repE0EEENS1_30default_config_static_selectorELNS0_4arch9wavefront6targetE0EEEvSY_,@function
_ZN7rocprim17ROCPRIM_400000_NS6detail17trampoline_kernelINS0_13select_configILj256ELj13ELNS0_17block_load_methodE3ELS4_3ELS4_3ELNS0_20block_scan_algorithmE0ELj4294967295EEENS1_25partition_config_selectorILNS1_17partition_subalgoE3EjNS0_10empty_typeEbEEZZNS1_14partition_implILS8_3ELb0ES6_jNS0_17counting_iteratorIjlEEPS9_SE_NS0_5tupleIJPjSE_EEENSF_IJSE_SE_EEES9_SG_JZNS1_25segmented_radix_sort_implINS0_14default_configELb1EPKbPbPKlPlN2at6native12_GLOBAL__N_18offset_tEEE10hipError_tPvRmT1_PNSt15iterator_traitsISY_E10value_typeET2_T3_PNSZ_IS14_E10value_typeET4_jRbjT5_S1A_jjP12ihipStream_tbEUljE_EEESV_SW_SX_S14_S18_S1A_T6_T7_T9_mT8_S1C_bDpT10_ENKUlT_T0_E_clISt17integral_constantIbLb0EES1P_EEDaS1K_S1L_EUlS1K_E_NS1_11comp_targetILNS1_3genE0ELNS1_11target_archE4294967295ELNS1_3gpuE0ELNS1_3repE0EEENS1_30default_config_static_selectorELNS0_4arch9wavefront6targetE0EEEvSY_: ; @_ZN7rocprim17ROCPRIM_400000_NS6detail17trampoline_kernelINS0_13select_configILj256ELj13ELNS0_17block_load_methodE3ELS4_3ELS4_3ELNS0_20block_scan_algorithmE0ELj4294967295EEENS1_25partition_config_selectorILNS1_17partition_subalgoE3EjNS0_10empty_typeEbEEZZNS1_14partition_implILS8_3ELb0ES6_jNS0_17counting_iteratorIjlEEPS9_SE_NS0_5tupleIJPjSE_EEENSF_IJSE_SE_EEES9_SG_JZNS1_25segmented_radix_sort_implINS0_14default_configELb1EPKbPbPKlPlN2at6native12_GLOBAL__N_18offset_tEEE10hipError_tPvRmT1_PNSt15iterator_traitsISY_E10value_typeET2_T3_PNSZ_IS14_E10value_typeET4_jRbjT5_S1A_jjP12ihipStream_tbEUljE_EEESV_SW_SX_S14_S18_S1A_T6_T7_T9_mT8_S1C_bDpT10_ENKUlT_T0_E_clISt17integral_constantIbLb0EES1P_EEDaS1K_S1L_EUlS1K_E_NS1_11comp_targetILNS1_3genE0ELNS1_11target_archE4294967295ELNS1_3gpuE0ELNS1_3repE0EEENS1_30default_config_static_selectorELNS0_4arch9wavefront6targetE0EEEvSY_
; %bb.0:
	.section	.rodata,"a",@progbits
	.p2align	6, 0x0
	.amdhsa_kernel _ZN7rocprim17ROCPRIM_400000_NS6detail17trampoline_kernelINS0_13select_configILj256ELj13ELNS0_17block_load_methodE3ELS4_3ELS4_3ELNS0_20block_scan_algorithmE0ELj4294967295EEENS1_25partition_config_selectorILNS1_17partition_subalgoE3EjNS0_10empty_typeEbEEZZNS1_14partition_implILS8_3ELb0ES6_jNS0_17counting_iteratorIjlEEPS9_SE_NS0_5tupleIJPjSE_EEENSF_IJSE_SE_EEES9_SG_JZNS1_25segmented_radix_sort_implINS0_14default_configELb1EPKbPbPKlPlN2at6native12_GLOBAL__N_18offset_tEEE10hipError_tPvRmT1_PNSt15iterator_traitsISY_E10value_typeET2_T3_PNSZ_IS14_E10value_typeET4_jRbjT5_S1A_jjP12ihipStream_tbEUljE_EEESV_SW_SX_S14_S18_S1A_T6_T7_T9_mT8_S1C_bDpT10_ENKUlT_T0_E_clISt17integral_constantIbLb0EES1P_EEDaS1K_S1L_EUlS1K_E_NS1_11comp_targetILNS1_3genE0ELNS1_11target_archE4294967295ELNS1_3gpuE0ELNS1_3repE0EEENS1_30default_config_static_selectorELNS0_4arch9wavefront6targetE0EEEvSY_
		.amdhsa_group_segment_fixed_size 0
		.amdhsa_private_segment_fixed_size 0
		.amdhsa_kernarg_size 144
		.amdhsa_user_sgpr_count 2
		.amdhsa_user_sgpr_dispatch_ptr 0
		.amdhsa_user_sgpr_queue_ptr 0
		.amdhsa_user_sgpr_kernarg_segment_ptr 1
		.amdhsa_user_sgpr_dispatch_id 0
		.amdhsa_user_sgpr_private_segment_size 0
		.amdhsa_wavefront_size32 1
		.amdhsa_uses_dynamic_stack 0
		.amdhsa_enable_private_segment 0
		.amdhsa_system_sgpr_workgroup_id_x 1
		.amdhsa_system_sgpr_workgroup_id_y 0
		.amdhsa_system_sgpr_workgroup_id_z 0
		.amdhsa_system_sgpr_workgroup_info 0
		.amdhsa_system_vgpr_workitem_id 0
		.amdhsa_next_free_vgpr 1
		.amdhsa_next_free_sgpr 1
		.amdhsa_reserve_vcc 0
		.amdhsa_float_round_mode_32 0
		.amdhsa_float_round_mode_16_64 0
		.amdhsa_float_denorm_mode_32 3
		.amdhsa_float_denorm_mode_16_64 3
		.amdhsa_fp16_overflow 0
		.amdhsa_workgroup_processor_mode 1
		.amdhsa_memory_ordered 1
		.amdhsa_forward_progress 1
		.amdhsa_inst_pref_size 0
		.amdhsa_round_robin_scheduling 0
		.amdhsa_exception_fp_ieee_invalid_op 0
		.amdhsa_exception_fp_denorm_src 0
		.amdhsa_exception_fp_ieee_div_zero 0
		.amdhsa_exception_fp_ieee_overflow 0
		.amdhsa_exception_fp_ieee_underflow 0
		.amdhsa_exception_fp_ieee_inexact 0
		.amdhsa_exception_int_div_zero 0
	.end_amdhsa_kernel
	.section	.text._ZN7rocprim17ROCPRIM_400000_NS6detail17trampoline_kernelINS0_13select_configILj256ELj13ELNS0_17block_load_methodE3ELS4_3ELS4_3ELNS0_20block_scan_algorithmE0ELj4294967295EEENS1_25partition_config_selectorILNS1_17partition_subalgoE3EjNS0_10empty_typeEbEEZZNS1_14partition_implILS8_3ELb0ES6_jNS0_17counting_iteratorIjlEEPS9_SE_NS0_5tupleIJPjSE_EEENSF_IJSE_SE_EEES9_SG_JZNS1_25segmented_radix_sort_implINS0_14default_configELb1EPKbPbPKlPlN2at6native12_GLOBAL__N_18offset_tEEE10hipError_tPvRmT1_PNSt15iterator_traitsISY_E10value_typeET2_T3_PNSZ_IS14_E10value_typeET4_jRbjT5_S1A_jjP12ihipStream_tbEUljE_EEESV_SW_SX_S14_S18_S1A_T6_T7_T9_mT8_S1C_bDpT10_ENKUlT_T0_E_clISt17integral_constantIbLb0EES1P_EEDaS1K_S1L_EUlS1K_E_NS1_11comp_targetILNS1_3genE0ELNS1_11target_archE4294967295ELNS1_3gpuE0ELNS1_3repE0EEENS1_30default_config_static_selectorELNS0_4arch9wavefront6targetE0EEEvSY_,"axG",@progbits,_ZN7rocprim17ROCPRIM_400000_NS6detail17trampoline_kernelINS0_13select_configILj256ELj13ELNS0_17block_load_methodE3ELS4_3ELS4_3ELNS0_20block_scan_algorithmE0ELj4294967295EEENS1_25partition_config_selectorILNS1_17partition_subalgoE3EjNS0_10empty_typeEbEEZZNS1_14partition_implILS8_3ELb0ES6_jNS0_17counting_iteratorIjlEEPS9_SE_NS0_5tupleIJPjSE_EEENSF_IJSE_SE_EEES9_SG_JZNS1_25segmented_radix_sort_implINS0_14default_configELb1EPKbPbPKlPlN2at6native12_GLOBAL__N_18offset_tEEE10hipError_tPvRmT1_PNSt15iterator_traitsISY_E10value_typeET2_T3_PNSZ_IS14_E10value_typeET4_jRbjT5_S1A_jjP12ihipStream_tbEUljE_EEESV_SW_SX_S14_S18_S1A_T6_T7_T9_mT8_S1C_bDpT10_ENKUlT_T0_E_clISt17integral_constantIbLb0EES1P_EEDaS1K_S1L_EUlS1K_E_NS1_11comp_targetILNS1_3genE0ELNS1_11target_archE4294967295ELNS1_3gpuE0ELNS1_3repE0EEENS1_30default_config_static_selectorELNS0_4arch9wavefront6targetE0EEEvSY_,comdat
.Lfunc_end1500:
	.size	_ZN7rocprim17ROCPRIM_400000_NS6detail17trampoline_kernelINS0_13select_configILj256ELj13ELNS0_17block_load_methodE3ELS4_3ELS4_3ELNS0_20block_scan_algorithmE0ELj4294967295EEENS1_25partition_config_selectorILNS1_17partition_subalgoE3EjNS0_10empty_typeEbEEZZNS1_14partition_implILS8_3ELb0ES6_jNS0_17counting_iteratorIjlEEPS9_SE_NS0_5tupleIJPjSE_EEENSF_IJSE_SE_EEES9_SG_JZNS1_25segmented_radix_sort_implINS0_14default_configELb1EPKbPbPKlPlN2at6native12_GLOBAL__N_18offset_tEEE10hipError_tPvRmT1_PNSt15iterator_traitsISY_E10value_typeET2_T3_PNSZ_IS14_E10value_typeET4_jRbjT5_S1A_jjP12ihipStream_tbEUljE_EEESV_SW_SX_S14_S18_S1A_T6_T7_T9_mT8_S1C_bDpT10_ENKUlT_T0_E_clISt17integral_constantIbLb0EES1P_EEDaS1K_S1L_EUlS1K_E_NS1_11comp_targetILNS1_3genE0ELNS1_11target_archE4294967295ELNS1_3gpuE0ELNS1_3repE0EEENS1_30default_config_static_selectorELNS0_4arch9wavefront6targetE0EEEvSY_, .Lfunc_end1500-_ZN7rocprim17ROCPRIM_400000_NS6detail17trampoline_kernelINS0_13select_configILj256ELj13ELNS0_17block_load_methodE3ELS4_3ELS4_3ELNS0_20block_scan_algorithmE0ELj4294967295EEENS1_25partition_config_selectorILNS1_17partition_subalgoE3EjNS0_10empty_typeEbEEZZNS1_14partition_implILS8_3ELb0ES6_jNS0_17counting_iteratorIjlEEPS9_SE_NS0_5tupleIJPjSE_EEENSF_IJSE_SE_EEES9_SG_JZNS1_25segmented_radix_sort_implINS0_14default_configELb1EPKbPbPKlPlN2at6native12_GLOBAL__N_18offset_tEEE10hipError_tPvRmT1_PNSt15iterator_traitsISY_E10value_typeET2_T3_PNSZ_IS14_E10value_typeET4_jRbjT5_S1A_jjP12ihipStream_tbEUljE_EEESV_SW_SX_S14_S18_S1A_T6_T7_T9_mT8_S1C_bDpT10_ENKUlT_T0_E_clISt17integral_constantIbLb0EES1P_EEDaS1K_S1L_EUlS1K_E_NS1_11comp_targetILNS1_3genE0ELNS1_11target_archE4294967295ELNS1_3gpuE0ELNS1_3repE0EEENS1_30default_config_static_selectorELNS0_4arch9wavefront6targetE0EEEvSY_
                                        ; -- End function
	.set _ZN7rocprim17ROCPRIM_400000_NS6detail17trampoline_kernelINS0_13select_configILj256ELj13ELNS0_17block_load_methodE3ELS4_3ELS4_3ELNS0_20block_scan_algorithmE0ELj4294967295EEENS1_25partition_config_selectorILNS1_17partition_subalgoE3EjNS0_10empty_typeEbEEZZNS1_14partition_implILS8_3ELb0ES6_jNS0_17counting_iteratorIjlEEPS9_SE_NS0_5tupleIJPjSE_EEENSF_IJSE_SE_EEES9_SG_JZNS1_25segmented_radix_sort_implINS0_14default_configELb1EPKbPbPKlPlN2at6native12_GLOBAL__N_18offset_tEEE10hipError_tPvRmT1_PNSt15iterator_traitsISY_E10value_typeET2_T3_PNSZ_IS14_E10value_typeET4_jRbjT5_S1A_jjP12ihipStream_tbEUljE_EEESV_SW_SX_S14_S18_S1A_T6_T7_T9_mT8_S1C_bDpT10_ENKUlT_T0_E_clISt17integral_constantIbLb0EES1P_EEDaS1K_S1L_EUlS1K_E_NS1_11comp_targetILNS1_3genE0ELNS1_11target_archE4294967295ELNS1_3gpuE0ELNS1_3repE0EEENS1_30default_config_static_selectorELNS0_4arch9wavefront6targetE0EEEvSY_.num_vgpr, 0
	.set _ZN7rocprim17ROCPRIM_400000_NS6detail17trampoline_kernelINS0_13select_configILj256ELj13ELNS0_17block_load_methodE3ELS4_3ELS4_3ELNS0_20block_scan_algorithmE0ELj4294967295EEENS1_25partition_config_selectorILNS1_17partition_subalgoE3EjNS0_10empty_typeEbEEZZNS1_14partition_implILS8_3ELb0ES6_jNS0_17counting_iteratorIjlEEPS9_SE_NS0_5tupleIJPjSE_EEENSF_IJSE_SE_EEES9_SG_JZNS1_25segmented_radix_sort_implINS0_14default_configELb1EPKbPbPKlPlN2at6native12_GLOBAL__N_18offset_tEEE10hipError_tPvRmT1_PNSt15iterator_traitsISY_E10value_typeET2_T3_PNSZ_IS14_E10value_typeET4_jRbjT5_S1A_jjP12ihipStream_tbEUljE_EEESV_SW_SX_S14_S18_S1A_T6_T7_T9_mT8_S1C_bDpT10_ENKUlT_T0_E_clISt17integral_constantIbLb0EES1P_EEDaS1K_S1L_EUlS1K_E_NS1_11comp_targetILNS1_3genE0ELNS1_11target_archE4294967295ELNS1_3gpuE0ELNS1_3repE0EEENS1_30default_config_static_selectorELNS0_4arch9wavefront6targetE0EEEvSY_.num_agpr, 0
	.set _ZN7rocprim17ROCPRIM_400000_NS6detail17trampoline_kernelINS0_13select_configILj256ELj13ELNS0_17block_load_methodE3ELS4_3ELS4_3ELNS0_20block_scan_algorithmE0ELj4294967295EEENS1_25partition_config_selectorILNS1_17partition_subalgoE3EjNS0_10empty_typeEbEEZZNS1_14partition_implILS8_3ELb0ES6_jNS0_17counting_iteratorIjlEEPS9_SE_NS0_5tupleIJPjSE_EEENSF_IJSE_SE_EEES9_SG_JZNS1_25segmented_radix_sort_implINS0_14default_configELb1EPKbPbPKlPlN2at6native12_GLOBAL__N_18offset_tEEE10hipError_tPvRmT1_PNSt15iterator_traitsISY_E10value_typeET2_T3_PNSZ_IS14_E10value_typeET4_jRbjT5_S1A_jjP12ihipStream_tbEUljE_EEESV_SW_SX_S14_S18_S1A_T6_T7_T9_mT8_S1C_bDpT10_ENKUlT_T0_E_clISt17integral_constantIbLb0EES1P_EEDaS1K_S1L_EUlS1K_E_NS1_11comp_targetILNS1_3genE0ELNS1_11target_archE4294967295ELNS1_3gpuE0ELNS1_3repE0EEENS1_30default_config_static_selectorELNS0_4arch9wavefront6targetE0EEEvSY_.numbered_sgpr, 0
	.set _ZN7rocprim17ROCPRIM_400000_NS6detail17trampoline_kernelINS0_13select_configILj256ELj13ELNS0_17block_load_methodE3ELS4_3ELS4_3ELNS0_20block_scan_algorithmE0ELj4294967295EEENS1_25partition_config_selectorILNS1_17partition_subalgoE3EjNS0_10empty_typeEbEEZZNS1_14partition_implILS8_3ELb0ES6_jNS0_17counting_iteratorIjlEEPS9_SE_NS0_5tupleIJPjSE_EEENSF_IJSE_SE_EEES9_SG_JZNS1_25segmented_radix_sort_implINS0_14default_configELb1EPKbPbPKlPlN2at6native12_GLOBAL__N_18offset_tEEE10hipError_tPvRmT1_PNSt15iterator_traitsISY_E10value_typeET2_T3_PNSZ_IS14_E10value_typeET4_jRbjT5_S1A_jjP12ihipStream_tbEUljE_EEESV_SW_SX_S14_S18_S1A_T6_T7_T9_mT8_S1C_bDpT10_ENKUlT_T0_E_clISt17integral_constantIbLb0EES1P_EEDaS1K_S1L_EUlS1K_E_NS1_11comp_targetILNS1_3genE0ELNS1_11target_archE4294967295ELNS1_3gpuE0ELNS1_3repE0EEENS1_30default_config_static_selectorELNS0_4arch9wavefront6targetE0EEEvSY_.num_named_barrier, 0
	.set _ZN7rocprim17ROCPRIM_400000_NS6detail17trampoline_kernelINS0_13select_configILj256ELj13ELNS0_17block_load_methodE3ELS4_3ELS4_3ELNS0_20block_scan_algorithmE0ELj4294967295EEENS1_25partition_config_selectorILNS1_17partition_subalgoE3EjNS0_10empty_typeEbEEZZNS1_14partition_implILS8_3ELb0ES6_jNS0_17counting_iteratorIjlEEPS9_SE_NS0_5tupleIJPjSE_EEENSF_IJSE_SE_EEES9_SG_JZNS1_25segmented_radix_sort_implINS0_14default_configELb1EPKbPbPKlPlN2at6native12_GLOBAL__N_18offset_tEEE10hipError_tPvRmT1_PNSt15iterator_traitsISY_E10value_typeET2_T3_PNSZ_IS14_E10value_typeET4_jRbjT5_S1A_jjP12ihipStream_tbEUljE_EEESV_SW_SX_S14_S18_S1A_T6_T7_T9_mT8_S1C_bDpT10_ENKUlT_T0_E_clISt17integral_constantIbLb0EES1P_EEDaS1K_S1L_EUlS1K_E_NS1_11comp_targetILNS1_3genE0ELNS1_11target_archE4294967295ELNS1_3gpuE0ELNS1_3repE0EEENS1_30default_config_static_selectorELNS0_4arch9wavefront6targetE0EEEvSY_.private_seg_size, 0
	.set _ZN7rocprim17ROCPRIM_400000_NS6detail17trampoline_kernelINS0_13select_configILj256ELj13ELNS0_17block_load_methodE3ELS4_3ELS4_3ELNS0_20block_scan_algorithmE0ELj4294967295EEENS1_25partition_config_selectorILNS1_17partition_subalgoE3EjNS0_10empty_typeEbEEZZNS1_14partition_implILS8_3ELb0ES6_jNS0_17counting_iteratorIjlEEPS9_SE_NS0_5tupleIJPjSE_EEENSF_IJSE_SE_EEES9_SG_JZNS1_25segmented_radix_sort_implINS0_14default_configELb1EPKbPbPKlPlN2at6native12_GLOBAL__N_18offset_tEEE10hipError_tPvRmT1_PNSt15iterator_traitsISY_E10value_typeET2_T3_PNSZ_IS14_E10value_typeET4_jRbjT5_S1A_jjP12ihipStream_tbEUljE_EEESV_SW_SX_S14_S18_S1A_T6_T7_T9_mT8_S1C_bDpT10_ENKUlT_T0_E_clISt17integral_constantIbLb0EES1P_EEDaS1K_S1L_EUlS1K_E_NS1_11comp_targetILNS1_3genE0ELNS1_11target_archE4294967295ELNS1_3gpuE0ELNS1_3repE0EEENS1_30default_config_static_selectorELNS0_4arch9wavefront6targetE0EEEvSY_.uses_vcc, 0
	.set _ZN7rocprim17ROCPRIM_400000_NS6detail17trampoline_kernelINS0_13select_configILj256ELj13ELNS0_17block_load_methodE3ELS4_3ELS4_3ELNS0_20block_scan_algorithmE0ELj4294967295EEENS1_25partition_config_selectorILNS1_17partition_subalgoE3EjNS0_10empty_typeEbEEZZNS1_14partition_implILS8_3ELb0ES6_jNS0_17counting_iteratorIjlEEPS9_SE_NS0_5tupleIJPjSE_EEENSF_IJSE_SE_EEES9_SG_JZNS1_25segmented_radix_sort_implINS0_14default_configELb1EPKbPbPKlPlN2at6native12_GLOBAL__N_18offset_tEEE10hipError_tPvRmT1_PNSt15iterator_traitsISY_E10value_typeET2_T3_PNSZ_IS14_E10value_typeET4_jRbjT5_S1A_jjP12ihipStream_tbEUljE_EEESV_SW_SX_S14_S18_S1A_T6_T7_T9_mT8_S1C_bDpT10_ENKUlT_T0_E_clISt17integral_constantIbLb0EES1P_EEDaS1K_S1L_EUlS1K_E_NS1_11comp_targetILNS1_3genE0ELNS1_11target_archE4294967295ELNS1_3gpuE0ELNS1_3repE0EEENS1_30default_config_static_selectorELNS0_4arch9wavefront6targetE0EEEvSY_.uses_flat_scratch, 0
	.set _ZN7rocprim17ROCPRIM_400000_NS6detail17trampoline_kernelINS0_13select_configILj256ELj13ELNS0_17block_load_methodE3ELS4_3ELS4_3ELNS0_20block_scan_algorithmE0ELj4294967295EEENS1_25partition_config_selectorILNS1_17partition_subalgoE3EjNS0_10empty_typeEbEEZZNS1_14partition_implILS8_3ELb0ES6_jNS0_17counting_iteratorIjlEEPS9_SE_NS0_5tupleIJPjSE_EEENSF_IJSE_SE_EEES9_SG_JZNS1_25segmented_radix_sort_implINS0_14default_configELb1EPKbPbPKlPlN2at6native12_GLOBAL__N_18offset_tEEE10hipError_tPvRmT1_PNSt15iterator_traitsISY_E10value_typeET2_T3_PNSZ_IS14_E10value_typeET4_jRbjT5_S1A_jjP12ihipStream_tbEUljE_EEESV_SW_SX_S14_S18_S1A_T6_T7_T9_mT8_S1C_bDpT10_ENKUlT_T0_E_clISt17integral_constantIbLb0EES1P_EEDaS1K_S1L_EUlS1K_E_NS1_11comp_targetILNS1_3genE0ELNS1_11target_archE4294967295ELNS1_3gpuE0ELNS1_3repE0EEENS1_30default_config_static_selectorELNS0_4arch9wavefront6targetE0EEEvSY_.has_dyn_sized_stack, 0
	.set _ZN7rocprim17ROCPRIM_400000_NS6detail17trampoline_kernelINS0_13select_configILj256ELj13ELNS0_17block_load_methodE3ELS4_3ELS4_3ELNS0_20block_scan_algorithmE0ELj4294967295EEENS1_25partition_config_selectorILNS1_17partition_subalgoE3EjNS0_10empty_typeEbEEZZNS1_14partition_implILS8_3ELb0ES6_jNS0_17counting_iteratorIjlEEPS9_SE_NS0_5tupleIJPjSE_EEENSF_IJSE_SE_EEES9_SG_JZNS1_25segmented_radix_sort_implINS0_14default_configELb1EPKbPbPKlPlN2at6native12_GLOBAL__N_18offset_tEEE10hipError_tPvRmT1_PNSt15iterator_traitsISY_E10value_typeET2_T3_PNSZ_IS14_E10value_typeET4_jRbjT5_S1A_jjP12ihipStream_tbEUljE_EEESV_SW_SX_S14_S18_S1A_T6_T7_T9_mT8_S1C_bDpT10_ENKUlT_T0_E_clISt17integral_constantIbLb0EES1P_EEDaS1K_S1L_EUlS1K_E_NS1_11comp_targetILNS1_3genE0ELNS1_11target_archE4294967295ELNS1_3gpuE0ELNS1_3repE0EEENS1_30default_config_static_selectorELNS0_4arch9wavefront6targetE0EEEvSY_.has_recursion, 0
	.set _ZN7rocprim17ROCPRIM_400000_NS6detail17trampoline_kernelINS0_13select_configILj256ELj13ELNS0_17block_load_methodE3ELS4_3ELS4_3ELNS0_20block_scan_algorithmE0ELj4294967295EEENS1_25partition_config_selectorILNS1_17partition_subalgoE3EjNS0_10empty_typeEbEEZZNS1_14partition_implILS8_3ELb0ES6_jNS0_17counting_iteratorIjlEEPS9_SE_NS0_5tupleIJPjSE_EEENSF_IJSE_SE_EEES9_SG_JZNS1_25segmented_radix_sort_implINS0_14default_configELb1EPKbPbPKlPlN2at6native12_GLOBAL__N_18offset_tEEE10hipError_tPvRmT1_PNSt15iterator_traitsISY_E10value_typeET2_T3_PNSZ_IS14_E10value_typeET4_jRbjT5_S1A_jjP12ihipStream_tbEUljE_EEESV_SW_SX_S14_S18_S1A_T6_T7_T9_mT8_S1C_bDpT10_ENKUlT_T0_E_clISt17integral_constantIbLb0EES1P_EEDaS1K_S1L_EUlS1K_E_NS1_11comp_targetILNS1_3genE0ELNS1_11target_archE4294967295ELNS1_3gpuE0ELNS1_3repE0EEENS1_30default_config_static_selectorELNS0_4arch9wavefront6targetE0EEEvSY_.has_indirect_call, 0
	.section	.AMDGPU.csdata,"",@progbits
; Kernel info:
; codeLenInByte = 0
; TotalNumSgprs: 0
; NumVgprs: 0
; ScratchSize: 0
; MemoryBound: 0
; FloatMode: 240
; IeeeMode: 1
; LDSByteSize: 0 bytes/workgroup (compile time only)
; SGPRBlocks: 0
; VGPRBlocks: 0
; NumSGPRsForWavesPerEU: 1
; NumVGPRsForWavesPerEU: 1
; Occupancy: 16
; WaveLimiterHint : 0
; COMPUTE_PGM_RSRC2:SCRATCH_EN: 0
; COMPUTE_PGM_RSRC2:USER_SGPR: 2
; COMPUTE_PGM_RSRC2:TRAP_HANDLER: 0
; COMPUTE_PGM_RSRC2:TGID_X_EN: 1
; COMPUTE_PGM_RSRC2:TGID_Y_EN: 0
; COMPUTE_PGM_RSRC2:TGID_Z_EN: 0
; COMPUTE_PGM_RSRC2:TIDIG_COMP_CNT: 0
	.section	.text._ZN7rocprim17ROCPRIM_400000_NS6detail17trampoline_kernelINS0_13select_configILj256ELj13ELNS0_17block_load_methodE3ELS4_3ELS4_3ELNS0_20block_scan_algorithmE0ELj4294967295EEENS1_25partition_config_selectorILNS1_17partition_subalgoE3EjNS0_10empty_typeEbEEZZNS1_14partition_implILS8_3ELb0ES6_jNS0_17counting_iteratorIjlEEPS9_SE_NS0_5tupleIJPjSE_EEENSF_IJSE_SE_EEES9_SG_JZNS1_25segmented_radix_sort_implINS0_14default_configELb1EPKbPbPKlPlN2at6native12_GLOBAL__N_18offset_tEEE10hipError_tPvRmT1_PNSt15iterator_traitsISY_E10value_typeET2_T3_PNSZ_IS14_E10value_typeET4_jRbjT5_S1A_jjP12ihipStream_tbEUljE_EEESV_SW_SX_S14_S18_S1A_T6_T7_T9_mT8_S1C_bDpT10_ENKUlT_T0_E_clISt17integral_constantIbLb0EES1P_EEDaS1K_S1L_EUlS1K_E_NS1_11comp_targetILNS1_3genE5ELNS1_11target_archE942ELNS1_3gpuE9ELNS1_3repE0EEENS1_30default_config_static_selectorELNS0_4arch9wavefront6targetE0EEEvSY_,"axG",@progbits,_ZN7rocprim17ROCPRIM_400000_NS6detail17trampoline_kernelINS0_13select_configILj256ELj13ELNS0_17block_load_methodE3ELS4_3ELS4_3ELNS0_20block_scan_algorithmE0ELj4294967295EEENS1_25partition_config_selectorILNS1_17partition_subalgoE3EjNS0_10empty_typeEbEEZZNS1_14partition_implILS8_3ELb0ES6_jNS0_17counting_iteratorIjlEEPS9_SE_NS0_5tupleIJPjSE_EEENSF_IJSE_SE_EEES9_SG_JZNS1_25segmented_radix_sort_implINS0_14default_configELb1EPKbPbPKlPlN2at6native12_GLOBAL__N_18offset_tEEE10hipError_tPvRmT1_PNSt15iterator_traitsISY_E10value_typeET2_T3_PNSZ_IS14_E10value_typeET4_jRbjT5_S1A_jjP12ihipStream_tbEUljE_EEESV_SW_SX_S14_S18_S1A_T6_T7_T9_mT8_S1C_bDpT10_ENKUlT_T0_E_clISt17integral_constantIbLb0EES1P_EEDaS1K_S1L_EUlS1K_E_NS1_11comp_targetILNS1_3genE5ELNS1_11target_archE942ELNS1_3gpuE9ELNS1_3repE0EEENS1_30default_config_static_selectorELNS0_4arch9wavefront6targetE0EEEvSY_,comdat
	.globl	_ZN7rocprim17ROCPRIM_400000_NS6detail17trampoline_kernelINS0_13select_configILj256ELj13ELNS0_17block_load_methodE3ELS4_3ELS4_3ELNS0_20block_scan_algorithmE0ELj4294967295EEENS1_25partition_config_selectorILNS1_17partition_subalgoE3EjNS0_10empty_typeEbEEZZNS1_14partition_implILS8_3ELb0ES6_jNS0_17counting_iteratorIjlEEPS9_SE_NS0_5tupleIJPjSE_EEENSF_IJSE_SE_EEES9_SG_JZNS1_25segmented_radix_sort_implINS0_14default_configELb1EPKbPbPKlPlN2at6native12_GLOBAL__N_18offset_tEEE10hipError_tPvRmT1_PNSt15iterator_traitsISY_E10value_typeET2_T3_PNSZ_IS14_E10value_typeET4_jRbjT5_S1A_jjP12ihipStream_tbEUljE_EEESV_SW_SX_S14_S18_S1A_T6_T7_T9_mT8_S1C_bDpT10_ENKUlT_T0_E_clISt17integral_constantIbLb0EES1P_EEDaS1K_S1L_EUlS1K_E_NS1_11comp_targetILNS1_3genE5ELNS1_11target_archE942ELNS1_3gpuE9ELNS1_3repE0EEENS1_30default_config_static_selectorELNS0_4arch9wavefront6targetE0EEEvSY_ ; -- Begin function _ZN7rocprim17ROCPRIM_400000_NS6detail17trampoline_kernelINS0_13select_configILj256ELj13ELNS0_17block_load_methodE3ELS4_3ELS4_3ELNS0_20block_scan_algorithmE0ELj4294967295EEENS1_25partition_config_selectorILNS1_17partition_subalgoE3EjNS0_10empty_typeEbEEZZNS1_14partition_implILS8_3ELb0ES6_jNS0_17counting_iteratorIjlEEPS9_SE_NS0_5tupleIJPjSE_EEENSF_IJSE_SE_EEES9_SG_JZNS1_25segmented_radix_sort_implINS0_14default_configELb1EPKbPbPKlPlN2at6native12_GLOBAL__N_18offset_tEEE10hipError_tPvRmT1_PNSt15iterator_traitsISY_E10value_typeET2_T3_PNSZ_IS14_E10value_typeET4_jRbjT5_S1A_jjP12ihipStream_tbEUljE_EEESV_SW_SX_S14_S18_S1A_T6_T7_T9_mT8_S1C_bDpT10_ENKUlT_T0_E_clISt17integral_constantIbLb0EES1P_EEDaS1K_S1L_EUlS1K_E_NS1_11comp_targetILNS1_3genE5ELNS1_11target_archE942ELNS1_3gpuE9ELNS1_3repE0EEENS1_30default_config_static_selectorELNS0_4arch9wavefront6targetE0EEEvSY_
	.p2align	8
	.type	_ZN7rocprim17ROCPRIM_400000_NS6detail17trampoline_kernelINS0_13select_configILj256ELj13ELNS0_17block_load_methodE3ELS4_3ELS4_3ELNS0_20block_scan_algorithmE0ELj4294967295EEENS1_25partition_config_selectorILNS1_17partition_subalgoE3EjNS0_10empty_typeEbEEZZNS1_14partition_implILS8_3ELb0ES6_jNS0_17counting_iteratorIjlEEPS9_SE_NS0_5tupleIJPjSE_EEENSF_IJSE_SE_EEES9_SG_JZNS1_25segmented_radix_sort_implINS0_14default_configELb1EPKbPbPKlPlN2at6native12_GLOBAL__N_18offset_tEEE10hipError_tPvRmT1_PNSt15iterator_traitsISY_E10value_typeET2_T3_PNSZ_IS14_E10value_typeET4_jRbjT5_S1A_jjP12ihipStream_tbEUljE_EEESV_SW_SX_S14_S18_S1A_T6_T7_T9_mT8_S1C_bDpT10_ENKUlT_T0_E_clISt17integral_constantIbLb0EES1P_EEDaS1K_S1L_EUlS1K_E_NS1_11comp_targetILNS1_3genE5ELNS1_11target_archE942ELNS1_3gpuE9ELNS1_3repE0EEENS1_30default_config_static_selectorELNS0_4arch9wavefront6targetE0EEEvSY_,@function
_ZN7rocprim17ROCPRIM_400000_NS6detail17trampoline_kernelINS0_13select_configILj256ELj13ELNS0_17block_load_methodE3ELS4_3ELS4_3ELNS0_20block_scan_algorithmE0ELj4294967295EEENS1_25partition_config_selectorILNS1_17partition_subalgoE3EjNS0_10empty_typeEbEEZZNS1_14partition_implILS8_3ELb0ES6_jNS0_17counting_iteratorIjlEEPS9_SE_NS0_5tupleIJPjSE_EEENSF_IJSE_SE_EEES9_SG_JZNS1_25segmented_radix_sort_implINS0_14default_configELb1EPKbPbPKlPlN2at6native12_GLOBAL__N_18offset_tEEE10hipError_tPvRmT1_PNSt15iterator_traitsISY_E10value_typeET2_T3_PNSZ_IS14_E10value_typeET4_jRbjT5_S1A_jjP12ihipStream_tbEUljE_EEESV_SW_SX_S14_S18_S1A_T6_T7_T9_mT8_S1C_bDpT10_ENKUlT_T0_E_clISt17integral_constantIbLb0EES1P_EEDaS1K_S1L_EUlS1K_E_NS1_11comp_targetILNS1_3genE5ELNS1_11target_archE942ELNS1_3gpuE9ELNS1_3repE0EEENS1_30default_config_static_selectorELNS0_4arch9wavefront6targetE0EEEvSY_: ; @_ZN7rocprim17ROCPRIM_400000_NS6detail17trampoline_kernelINS0_13select_configILj256ELj13ELNS0_17block_load_methodE3ELS4_3ELS4_3ELNS0_20block_scan_algorithmE0ELj4294967295EEENS1_25partition_config_selectorILNS1_17partition_subalgoE3EjNS0_10empty_typeEbEEZZNS1_14partition_implILS8_3ELb0ES6_jNS0_17counting_iteratorIjlEEPS9_SE_NS0_5tupleIJPjSE_EEENSF_IJSE_SE_EEES9_SG_JZNS1_25segmented_radix_sort_implINS0_14default_configELb1EPKbPbPKlPlN2at6native12_GLOBAL__N_18offset_tEEE10hipError_tPvRmT1_PNSt15iterator_traitsISY_E10value_typeET2_T3_PNSZ_IS14_E10value_typeET4_jRbjT5_S1A_jjP12ihipStream_tbEUljE_EEESV_SW_SX_S14_S18_S1A_T6_T7_T9_mT8_S1C_bDpT10_ENKUlT_T0_E_clISt17integral_constantIbLb0EES1P_EEDaS1K_S1L_EUlS1K_E_NS1_11comp_targetILNS1_3genE5ELNS1_11target_archE942ELNS1_3gpuE9ELNS1_3repE0EEENS1_30default_config_static_selectorELNS0_4arch9wavefront6targetE0EEEvSY_
; %bb.0:
	.section	.rodata,"a",@progbits
	.p2align	6, 0x0
	.amdhsa_kernel _ZN7rocprim17ROCPRIM_400000_NS6detail17trampoline_kernelINS0_13select_configILj256ELj13ELNS0_17block_load_methodE3ELS4_3ELS4_3ELNS0_20block_scan_algorithmE0ELj4294967295EEENS1_25partition_config_selectorILNS1_17partition_subalgoE3EjNS0_10empty_typeEbEEZZNS1_14partition_implILS8_3ELb0ES6_jNS0_17counting_iteratorIjlEEPS9_SE_NS0_5tupleIJPjSE_EEENSF_IJSE_SE_EEES9_SG_JZNS1_25segmented_radix_sort_implINS0_14default_configELb1EPKbPbPKlPlN2at6native12_GLOBAL__N_18offset_tEEE10hipError_tPvRmT1_PNSt15iterator_traitsISY_E10value_typeET2_T3_PNSZ_IS14_E10value_typeET4_jRbjT5_S1A_jjP12ihipStream_tbEUljE_EEESV_SW_SX_S14_S18_S1A_T6_T7_T9_mT8_S1C_bDpT10_ENKUlT_T0_E_clISt17integral_constantIbLb0EES1P_EEDaS1K_S1L_EUlS1K_E_NS1_11comp_targetILNS1_3genE5ELNS1_11target_archE942ELNS1_3gpuE9ELNS1_3repE0EEENS1_30default_config_static_selectorELNS0_4arch9wavefront6targetE0EEEvSY_
		.amdhsa_group_segment_fixed_size 0
		.amdhsa_private_segment_fixed_size 0
		.amdhsa_kernarg_size 144
		.amdhsa_user_sgpr_count 2
		.amdhsa_user_sgpr_dispatch_ptr 0
		.amdhsa_user_sgpr_queue_ptr 0
		.amdhsa_user_sgpr_kernarg_segment_ptr 1
		.amdhsa_user_sgpr_dispatch_id 0
		.amdhsa_user_sgpr_private_segment_size 0
		.amdhsa_wavefront_size32 1
		.amdhsa_uses_dynamic_stack 0
		.amdhsa_enable_private_segment 0
		.amdhsa_system_sgpr_workgroup_id_x 1
		.amdhsa_system_sgpr_workgroup_id_y 0
		.amdhsa_system_sgpr_workgroup_id_z 0
		.amdhsa_system_sgpr_workgroup_info 0
		.amdhsa_system_vgpr_workitem_id 0
		.amdhsa_next_free_vgpr 1
		.amdhsa_next_free_sgpr 1
		.amdhsa_reserve_vcc 0
		.amdhsa_float_round_mode_32 0
		.amdhsa_float_round_mode_16_64 0
		.amdhsa_float_denorm_mode_32 3
		.amdhsa_float_denorm_mode_16_64 3
		.amdhsa_fp16_overflow 0
		.amdhsa_workgroup_processor_mode 1
		.amdhsa_memory_ordered 1
		.amdhsa_forward_progress 1
		.amdhsa_inst_pref_size 0
		.amdhsa_round_robin_scheduling 0
		.amdhsa_exception_fp_ieee_invalid_op 0
		.amdhsa_exception_fp_denorm_src 0
		.amdhsa_exception_fp_ieee_div_zero 0
		.amdhsa_exception_fp_ieee_overflow 0
		.amdhsa_exception_fp_ieee_underflow 0
		.amdhsa_exception_fp_ieee_inexact 0
		.amdhsa_exception_int_div_zero 0
	.end_amdhsa_kernel
	.section	.text._ZN7rocprim17ROCPRIM_400000_NS6detail17trampoline_kernelINS0_13select_configILj256ELj13ELNS0_17block_load_methodE3ELS4_3ELS4_3ELNS0_20block_scan_algorithmE0ELj4294967295EEENS1_25partition_config_selectorILNS1_17partition_subalgoE3EjNS0_10empty_typeEbEEZZNS1_14partition_implILS8_3ELb0ES6_jNS0_17counting_iteratorIjlEEPS9_SE_NS0_5tupleIJPjSE_EEENSF_IJSE_SE_EEES9_SG_JZNS1_25segmented_radix_sort_implINS0_14default_configELb1EPKbPbPKlPlN2at6native12_GLOBAL__N_18offset_tEEE10hipError_tPvRmT1_PNSt15iterator_traitsISY_E10value_typeET2_T3_PNSZ_IS14_E10value_typeET4_jRbjT5_S1A_jjP12ihipStream_tbEUljE_EEESV_SW_SX_S14_S18_S1A_T6_T7_T9_mT8_S1C_bDpT10_ENKUlT_T0_E_clISt17integral_constantIbLb0EES1P_EEDaS1K_S1L_EUlS1K_E_NS1_11comp_targetILNS1_3genE5ELNS1_11target_archE942ELNS1_3gpuE9ELNS1_3repE0EEENS1_30default_config_static_selectorELNS0_4arch9wavefront6targetE0EEEvSY_,"axG",@progbits,_ZN7rocprim17ROCPRIM_400000_NS6detail17trampoline_kernelINS0_13select_configILj256ELj13ELNS0_17block_load_methodE3ELS4_3ELS4_3ELNS0_20block_scan_algorithmE0ELj4294967295EEENS1_25partition_config_selectorILNS1_17partition_subalgoE3EjNS0_10empty_typeEbEEZZNS1_14partition_implILS8_3ELb0ES6_jNS0_17counting_iteratorIjlEEPS9_SE_NS0_5tupleIJPjSE_EEENSF_IJSE_SE_EEES9_SG_JZNS1_25segmented_radix_sort_implINS0_14default_configELb1EPKbPbPKlPlN2at6native12_GLOBAL__N_18offset_tEEE10hipError_tPvRmT1_PNSt15iterator_traitsISY_E10value_typeET2_T3_PNSZ_IS14_E10value_typeET4_jRbjT5_S1A_jjP12ihipStream_tbEUljE_EEESV_SW_SX_S14_S18_S1A_T6_T7_T9_mT8_S1C_bDpT10_ENKUlT_T0_E_clISt17integral_constantIbLb0EES1P_EEDaS1K_S1L_EUlS1K_E_NS1_11comp_targetILNS1_3genE5ELNS1_11target_archE942ELNS1_3gpuE9ELNS1_3repE0EEENS1_30default_config_static_selectorELNS0_4arch9wavefront6targetE0EEEvSY_,comdat
.Lfunc_end1501:
	.size	_ZN7rocprim17ROCPRIM_400000_NS6detail17trampoline_kernelINS0_13select_configILj256ELj13ELNS0_17block_load_methodE3ELS4_3ELS4_3ELNS0_20block_scan_algorithmE0ELj4294967295EEENS1_25partition_config_selectorILNS1_17partition_subalgoE3EjNS0_10empty_typeEbEEZZNS1_14partition_implILS8_3ELb0ES6_jNS0_17counting_iteratorIjlEEPS9_SE_NS0_5tupleIJPjSE_EEENSF_IJSE_SE_EEES9_SG_JZNS1_25segmented_radix_sort_implINS0_14default_configELb1EPKbPbPKlPlN2at6native12_GLOBAL__N_18offset_tEEE10hipError_tPvRmT1_PNSt15iterator_traitsISY_E10value_typeET2_T3_PNSZ_IS14_E10value_typeET4_jRbjT5_S1A_jjP12ihipStream_tbEUljE_EEESV_SW_SX_S14_S18_S1A_T6_T7_T9_mT8_S1C_bDpT10_ENKUlT_T0_E_clISt17integral_constantIbLb0EES1P_EEDaS1K_S1L_EUlS1K_E_NS1_11comp_targetILNS1_3genE5ELNS1_11target_archE942ELNS1_3gpuE9ELNS1_3repE0EEENS1_30default_config_static_selectorELNS0_4arch9wavefront6targetE0EEEvSY_, .Lfunc_end1501-_ZN7rocprim17ROCPRIM_400000_NS6detail17trampoline_kernelINS0_13select_configILj256ELj13ELNS0_17block_load_methodE3ELS4_3ELS4_3ELNS0_20block_scan_algorithmE0ELj4294967295EEENS1_25partition_config_selectorILNS1_17partition_subalgoE3EjNS0_10empty_typeEbEEZZNS1_14partition_implILS8_3ELb0ES6_jNS0_17counting_iteratorIjlEEPS9_SE_NS0_5tupleIJPjSE_EEENSF_IJSE_SE_EEES9_SG_JZNS1_25segmented_radix_sort_implINS0_14default_configELb1EPKbPbPKlPlN2at6native12_GLOBAL__N_18offset_tEEE10hipError_tPvRmT1_PNSt15iterator_traitsISY_E10value_typeET2_T3_PNSZ_IS14_E10value_typeET4_jRbjT5_S1A_jjP12ihipStream_tbEUljE_EEESV_SW_SX_S14_S18_S1A_T6_T7_T9_mT8_S1C_bDpT10_ENKUlT_T0_E_clISt17integral_constantIbLb0EES1P_EEDaS1K_S1L_EUlS1K_E_NS1_11comp_targetILNS1_3genE5ELNS1_11target_archE942ELNS1_3gpuE9ELNS1_3repE0EEENS1_30default_config_static_selectorELNS0_4arch9wavefront6targetE0EEEvSY_
                                        ; -- End function
	.set _ZN7rocprim17ROCPRIM_400000_NS6detail17trampoline_kernelINS0_13select_configILj256ELj13ELNS0_17block_load_methodE3ELS4_3ELS4_3ELNS0_20block_scan_algorithmE0ELj4294967295EEENS1_25partition_config_selectorILNS1_17partition_subalgoE3EjNS0_10empty_typeEbEEZZNS1_14partition_implILS8_3ELb0ES6_jNS0_17counting_iteratorIjlEEPS9_SE_NS0_5tupleIJPjSE_EEENSF_IJSE_SE_EEES9_SG_JZNS1_25segmented_radix_sort_implINS0_14default_configELb1EPKbPbPKlPlN2at6native12_GLOBAL__N_18offset_tEEE10hipError_tPvRmT1_PNSt15iterator_traitsISY_E10value_typeET2_T3_PNSZ_IS14_E10value_typeET4_jRbjT5_S1A_jjP12ihipStream_tbEUljE_EEESV_SW_SX_S14_S18_S1A_T6_T7_T9_mT8_S1C_bDpT10_ENKUlT_T0_E_clISt17integral_constantIbLb0EES1P_EEDaS1K_S1L_EUlS1K_E_NS1_11comp_targetILNS1_3genE5ELNS1_11target_archE942ELNS1_3gpuE9ELNS1_3repE0EEENS1_30default_config_static_selectorELNS0_4arch9wavefront6targetE0EEEvSY_.num_vgpr, 0
	.set _ZN7rocprim17ROCPRIM_400000_NS6detail17trampoline_kernelINS0_13select_configILj256ELj13ELNS0_17block_load_methodE3ELS4_3ELS4_3ELNS0_20block_scan_algorithmE0ELj4294967295EEENS1_25partition_config_selectorILNS1_17partition_subalgoE3EjNS0_10empty_typeEbEEZZNS1_14partition_implILS8_3ELb0ES6_jNS0_17counting_iteratorIjlEEPS9_SE_NS0_5tupleIJPjSE_EEENSF_IJSE_SE_EEES9_SG_JZNS1_25segmented_radix_sort_implINS0_14default_configELb1EPKbPbPKlPlN2at6native12_GLOBAL__N_18offset_tEEE10hipError_tPvRmT1_PNSt15iterator_traitsISY_E10value_typeET2_T3_PNSZ_IS14_E10value_typeET4_jRbjT5_S1A_jjP12ihipStream_tbEUljE_EEESV_SW_SX_S14_S18_S1A_T6_T7_T9_mT8_S1C_bDpT10_ENKUlT_T0_E_clISt17integral_constantIbLb0EES1P_EEDaS1K_S1L_EUlS1K_E_NS1_11comp_targetILNS1_3genE5ELNS1_11target_archE942ELNS1_3gpuE9ELNS1_3repE0EEENS1_30default_config_static_selectorELNS0_4arch9wavefront6targetE0EEEvSY_.num_agpr, 0
	.set _ZN7rocprim17ROCPRIM_400000_NS6detail17trampoline_kernelINS0_13select_configILj256ELj13ELNS0_17block_load_methodE3ELS4_3ELS4_3ELNS0_20block_scan_algorithmE0ELj4294967295EEENS1_25partition_config_selectorILNS1_17partition_subalgoE3EjNS0_10empty_typeEbEEZZNS1_14partition_implILS8_3ELb0ES6_jNS0_17counting_iteratorIjlEEPS9_SE_NS0_5tupleIJPjSE_EEENSF_IJSE_SE_EEES9_SG_JZNS1_25segmented_radix_sort_implINS0_14default_configELb1EPKbPbPKlPlN2at6native12_GLOBAL__N_18offset_tEEE10hipError_tPvRmT1_PNSt15iterator_traitsISY_E10value_typeET2_T3_PNSZ_IS14_E10value_typeET4_jRbjT5_S1A_jjP12ihipStream_tbEUljE_EEESV_SW_SX_S14_S18_S1A_T6_T7_T9_mT8_S1C_bDpT10_ENKUlT_T0_E_clISt17integral_constantIbLb0EES1P_EEDaS1K_S1L_EUlS1K_E_NS1_11comp_targetILNS1_3genE5ELNS1_11target_archE942ELNS1_3gpuE9ELNS1_3repE0EEENS1_30default_config_static_selectorELNS0_4arch9wavefront6targetE0EEEvSY_.numbered_sgpr, 0
	.set _ZN7rocprim17ROCPRIM_400000_NS6detail17trampoline_kernelINS0_13select_configILj256ELj13ELNS0_17block_load_methodE3ELS4_3ELS4_3ELNS0_20block_scan_algorithmE0ELj4294967295EEENS1_25partition_config_selectorILNS1_17partition_subalgoE3EjNS0_10empty_typeEbEEZZNS1_14partition_implILS8_3ELb0ES6_jNS0_17counting_iteratorIjlEEPS9_SE_NS0_5tupleIJPjSE_EEENSF_IJSE_SE_EEES9_SG_JZNS1_25segmented_radix_sort_implINS0_14default_configELb1EPKbPbPKlPlN2at6native12_GLOBAL__N_18offset_tEEE10hipError_tPvRmT1_PNSt15iterator_traitsISY_E10value_typeET2_T3_PNSZ_IS14_E10value_typeET4_jRbjT5_S1A_jjP12ihipStream_tbEUljE_EEESV_SW_SX_S14_S18_S1A_T6_T7_T9_mT8_S1C_bDpT10_ENKUlT_T0_E_clISt17integral_constantIbLb0EES1P_EEDaS1K_S1L_EUlS1K_E_NS1_11comp_targetILNS1_3genE5ELNS1_11target_archE942ELNS1_3gpuE9ELNS1_3repE0EEENS1_30default_config_static_selectorELNS0_4arch9wavefront6targetE0EEEvSY_.num_named_barrier, 0
	.set _ZN7rocprim17ROCPRIM_400000_NS6detail17trampoline_kernelINS0_13select_configILj256ELj13ELNS0_17block_load_methodE3ELS4_3ELS4_3ELNS0_20block_scan_algorithmE0ELj4294967295EEENS1_25partition_config_selectorILNS1_17partition_subalgoE3EjNS0_10empty_typeEbEEZZNS1_14partition_implILS8_3ELb0ES6_jNS0_17counting_iteratorIjlEEPS9_SE_NS0_5tupleIJPjSE_EEENSF_IJSE_SE_EEES9_SG_JZNS1_25segmented_radix_sort_implINS0_14default_configELb1EPKbPbPKlPlN2at6native12_GLOBAL__N_18offset_tEEE10hipError_tPvRmT1_PNSt15iterator_traitsISY_E10value_typeET2_T3_PNSZ_IS14_E10value_typeET4_jRbjT5_S1A_jjP12ihipStream_tbEUljE_EEESV_SW_SX_S14_S18_S1A_T6_T7_T9_mT8_S1C_bDpT10_ENKUlT_T0_E_clISt17integral_constantIbLb0EES1P_EEDaS1K_S1L_EUlS1K_E_NS1_11comp_targetILNS1_3genE5ELNS1_11target_archE942ELNS1_3gpuE9ELNS1_3repE0EEENS1_30default_config_static_selectorELNS0_4arch9wavefront6targetE0EEEvSY_.private_seg_size, 0
	.set _ZN7rocprim17ROCPRIM_400000_NS6detail17trampoline_kernelINS0_13select_configILj256ELj13ELNS0_17block_load_methodE3ELS4_3ELS4_3ELNS0_20block_scan_algorithmE0ELj4294967295EEENS1_25partition_config_selectorILNS1_17partition_subalgoE3EjNS0_10empty_typeEbEEZZNS1_14partition_implILS8_3ELb0ES6_jNS0_17counting_iteratorIjlEEPS9_SE_NS0_5tupleIJPjSE_EEENSF_IJSE_SE_EEES9_SG_JZNS1_25segmented_radix_sort_implINS0_14default_configELb1EPKbPbPKlPlN2at6native12_GLOBAL__N_18offset_tEEE10hipError_tPvRmT1_PNSt15iterator_traitsISY_E10value_typeET2_T3_PNSZ_IS14_E10value_typeET4_jRbjT5_S1A_jjP12ihipStream_tbEUljE_EEESV_SW_SX_S14_S18_S1A_T6_T7_T9_mT8_S1C_bDpT10_ENKUlT_T0_E_clISt17integral_constantIbLb0EES1P_EEDaS1K_S1L_EUlS1K_E_NS1_11comp_targetILNS1_3genE5ELNS1_11target_archE942ELNS1_3gpuE9ELNS1_3repE0EEENS1_30default_config_static_selectorELNS0_4arch9wavefront6targetE0EEEvSY_.uses_vcc, 0
	.set _ZN7rocprim17ROCPRIM_400000_NS6detail17trampoline_kernelINS0_13select_configILj256ELj13ELNS0_17block_load_methodE3ELS4_3ELS4_3ELNS0_20block_scan_algorithmE0ELj4294967295EEENS1_25partition_config_selectorILNS1_17partition_subalgoE3EjNS0_10empty_typeEbEEZZNS1_14partition_implILS8_3ELb0ES6_jNS0_17counting_iteratorIjlEEPS9_SE_NS0_5tupleIJPjSE_EEENSF_IJSE_SE_EEES9_SG_JZNS1_25segmented_radix_sort_implINS0_14default_configELb1EPKbPbPKlPlN2at6native12_GLOBAL__N_18offset_tEEE10hipError_tPvRmT1_PNSt15iterator_traitsISY_E10value_typeET2_T3_PNSZ_IS14_E10value_typeET4_jRbjT5_S1A_jjP12ihipStream_tbEUljE_EEESV_SW_SX_S14_S18_S1A_T6_T7_T9_mT8_S1C_bDpT10_ENKUlT_T0_E_clISt17integral_constantIbLb0EES1P_EEDaS1K_S1L_EUlS1K_E_NS1_11comp_targetILNS1_3genE5ELNS1_11target_archE942ELNS1_3gpuE9ELNS1_3repE0EEENS1_30default_config_static_selectorELNS0_4arch9wavefront6targetE0EEEvSY_.uses_flat_scratch, 0
	.set _ZN7rocprim17ROCPRIM_400000_NS6detail17trampoline_kernelINS0_13select_configILj256ELj13ELNS0_17block_load_methodE3ELS4_3ELS4_3ELNS0_20block_scan_algorithmE0ELj4294967295EEENS1_25partition_config_selectorILNS1_17partition_subalgoE3EjNS0_10empty_typeEbEEZZNS1_14partition_implILS8_3ELb0ES6_jNS0_17counting_iteratorIjlEEPS9_SE_NS0_5tupleIJPjSE_EEENSF_IJSE_SE_EEES9_SG_JZNS1_25segmented_radix_sort_implINS0_14default_configELb1EPKbPbPKlPlN2at6native12_GLOBAL__N_18offset_tEEE10hipError_tPvRmT1_PNSt15iterator_traitsISY_E10value_typeET2_T3_PNSZ_IS14_E10value_typeET4_jRbjT5_S1A_jjP12ihipStream_tbEUljE_EEESV_SW_SX_S14_S18_S1A_T6_T7_T9_mT8_S1C_bDpT10_ENKUlT_T0_E_clISt17integral_constantIbLb0EES1P_EEDaS1K_S1L_EUlS1K_E_NS1_11comp_targetILNS1_3genE5ELNS1_11target_archE942ELNS1_3gpuE9ELNS1_3repE0EEENS1_30default_config_static_selectorELNS0_4arch9wavefront6targetE0EEEvSY_.has_dyn_sized_stack, 0
	.set _ZN7rocprim17ROCPRIM_400000_NS6detail17trampoline_kernelINS0_13select_configILj256ELj13ELNS0_17block_load_methodE3ELS4_3ELS4_3ELNS0_20block_scan_algorithmE0ELj4294967295EEENS1_25partition_config_selectorILNS1_17partition_subalgoE3EjNS0_10empty_typeEbEEZZNS1_14partition_implILS8_3ELb0ES6_jNS0_17counting_iteratorIjlEEPS9_SE_NS0_5tupleIJPjSE_EEENSF_IJSE_SE_EEES9_SG_JZNS1_25segmented_radix_sort_implINS0_14default_configELb1EPKbPbPKlPlN2at6native12_GLOBAL__N_18offset_tEEE10hipError_tPvRmT1_PNSt15iterator_traitsISY_E10value_typeET2_T3_PNSZ_IS14_E10value_typeET4_jRbjT5_S1A_jjP12ihipStream_tbEUljE_EEESV_SW_SX_S14_S18_S1A_T6_T7_T9_mT8_S1C_bDpT10_ENKUlT_T0_E_clISt17integral_constantIbLb0EES1P_EEDaS1K_S1L_EUlS1K_E_NS1_11comp_targetILNS1_3genE5ELNS1_11target_archE942ELNS1_3gpuE9ELNS1_3repE0EEENS1_30default_config_static_selectorELNS0_4arch9wavefront6targetE0EEEvSY_.has_recursion, 0
	.set _ZN7rocprim17ROCPRIM_400000_NS6detail17trampoline_kernelINS0_13select_configILj256ELj13ELNS0_17block_load_methodE3ELS4_3ELS4_3ELNS0_20block_scan_algorithmE0ELj4294967295EEENS1_25partition_config_selectorILNS1_17partition_subalgoE3EjNS0_10empty_typeEbEEZZNS1_14partition_implILS8_3ELb0ES6_jNS0_17counting_iteratorIjlEEPS9_SE_NS0_5tupleIJPjSE_EEENSF_IJSE_SE_EEES9_SG_JZNS1_25segmented_radix_sort_implINS0_14default_configELb1EPKbPbPKlPlN2at6native12_GLOBAL__N_18offset_tEEE10hipError_tPvRmT1_PNSt15iterator_traitsISY_E10value_typeET2_T3_PNSZ_IS14_E10value_typeET4_jRbjT5_S1A_jjP12ihipStream_tbEUljE_EEESV_SW_SX_S14_S18_S1A_T6_T7_T9_mT8_S1C_bDpT10_ENKUlT_T0_E_clISt17integral_constantIbLb0EES1P_EEDaS1K_S1L_EUlS1K_E_NS1_11comp_targetILNS1_3genE5ELNS1_11target_archE942ELNS1_3gpuE9ELNS1_3repE0EEENS1_30default_config_static_selectorELNS0_4arch9wavefront6targetE0EEEvSY_.has_indirect_call, 0
	.section	.AMDGPU.csdata,"",@progbits
; Kernel info:
; codeLenInByte = 0
; TotalNumSgprs: 0
; NumVgprs: 0
; ScratchSize: 0
; MemoryBound: 0
; FloatMode: 240
; IeeeMode: 1
; LDSByteSize: 0 bytes/workgroup (compile time only)
; SGPRBlocks: 0
; VGPRBlocks: 0
; NumSGPRsForWavesPerEU: 1
; NumVGPRsForWavesPerEU: 1
; Occupancy: 16
; WaveLimiterHint : 0
; COMPUTE_PGM_RSRC2:SCRATCH_EN: 0
; COMPUTE_PGM_RSRC2:USER_SGPR: 2
; COMPUTE_PGM_RSRC2:TRAP_HANDLER: 0
; COMPUTE_PGM_RSRC2:TGID_X_EN: 1
; COMPUTE_PGM_RSRC2:TGID_Y_EN: 0
; COMPUTE_PGM_RSRC2:TGID_Z_EN: 0
; COMPUTE_PGM_RSRC2:TIDIG_COMP_CNT: 0
	.section	.text._ZN7rocprim17ROCPRIM_400000_NS6detail17trampoline_kernelINS0_13select_configILj256ELj13ELNS0_17block_load_methodE3ELS4_3ELS4_3ELNS0_20block_scan_algorithmE0ELj4294967295EEENS1_25partition_config_selectorILNS1_17partition_subalgoE3EjNS0_10empty_typeEbEEZZNS1_14partition_implILS8_3ELb0ES6_jNS0_17counting_iteratorIjlEEPS9_SE_NS0_5tupleIJPjSE_EEENSF_IJSE_SE_EEES9_SG_JZNS1_25segmented_radix_sort_implINS0_14default_configELb1EPKbPbPKlPlN2at6native12_GLOBAL__N_18offset_tEEE10hipError_tPvRmT1_PNSt15iterator_traitsISY_E10value_typeET2_T3_PNSZ_IS14_E10value_typeET4_jRbjT5_S1A_jjP12ihipStream_tbEUljE_EEESV_SW_SX_S14_S18_S1A_T6_T7_T9_mT8_S1C_bDpT10_ENKUlT_T0_E_clISt17integral_constantIbLb0EES1P_EEDaS1K_S1L_EUlS1K_E_NS1_11comp_targetILNS1_3genE4ELNS1_11target_archE910ELNS1_3gpuE8ELNS1_3repE0EEENS1_30default_config_static_selectorELNS0_4arch9wavefront6targetE0EEEvSY_,"axG",@progbits,_ZN7rocprim17ROCPRIM_400000_NS6detail17trampoline_kernelINS0_13select_configILj256ELj13ELNS0_17block_load_methodE3ELS4_3ELS4_3ELNS0_20block_scan_algorithmE0ELj4294967295EEENS1_25partition_config_selectorILNS1_17partition_subalgoE3EjNS0_10empty_typeEbEEZZNS1_14partition_implILS8_3ELb0ES6_jNS0_17counting_iteratorIjlEEPS9_SE_NS0_5tupleIJPjSE_EEENSF_IJSE_SE_EEES9_SG_JZNS1_25segmented_radix_sort_implINS0_14default_configELb1EPKbPbPKlPlN2at6native12_GLOBAL__N_18offset_tEEE10hipError_tPvRmT1_PNSt15iterator_traitsISY_E10value_typeET2_T3_PNSZ_IS14_E10value_typeET4_jRbjT5_S1A_jjP12ihipStream_tbEUljE_EEESV_SW_SX_S14_S18_S1A_T6_T7_T9_mT8_S1C_bDpT10_ENKUlT_T0_E_clISt17integral_constantIbLb0EES1P_EEDaS1K_S1L_EUlS1K_E_NS1_11comp_targetILNS1_3genE4ELNS1_11target_archE910ELNS1_3gpuE8ELNS1_3repE0EEENS1_30default_config_static_selectorELNS0_4arch9wavefront6targetE0EEEvSY_,comdat
	.globl	_ZN7rocprim17ROCPRIM_400000_NS6detail17trampoline_kernelINS0_13select_configILj256ELj13ELNS0_17block_load_methodE3ELS4_3ELS4_3ELNS0_20block_scan_algorithmE0ELj4294967295EEENS1_25partition_config_selectorILNS1_17partition_subalgoE3EjNS0_10empty_typeEbEEZZNS1_14partition_implILS8_3ELb0ES6_jNS0_17counting_iteratorIjlEEPS9_SE_NS0_5tupleIJPjSE_EEENSF_IJSE_SE_EEES9_SG_JZNS1_25segmented_radix_sort_implINS0_14default_configELb1EPKbPbPKlPlN2at6native12_GLOBAL__N_18offset_tEEE10hipError_tPvRmT1_PNSt15iterator_traitsISY_E10value_typeET2_T3_PNSZ_IS14_E10value_typeET4_jRbjT5_S1A_jjP12ihipStream_tbEUljE_EEESV_SW_SX_S14_S18_S1A_T6_T7_T9_mT8_S1C_bDpT10_ENKUlT_T0_E_clISt17integral_constantIbLb0EES1P_EEDaS1K_S1L_EUlS1K_E_NS1_11comp_targetILNS1_3genE4ELNS1_11target_archE910ELNS1_3gpuE8ELNS1_3repE0EEENS1_30default_config_static_selectorELNS0_4arch9wavefront6targetE0EEEvSY_ ; -- Begin function _ZN7rocprim17ROCPRIM_400000_NS6detail17trampoline_kernelINS0_13select_configILj256ELj13ELNS0_17block_load_methodE3ELS4_3ELS4_3ELNS0_20block_scan_algorithmE0ELj4294967295EEENS1_25partition_config_selectorILNS1_17partition_subalgoE3EjNS0_10empty_typeEbEEZZNS1_14partition_implILS8_3ELb0ES6_jNS0_17counting_iteratorIjlEEPS9_SE_NS0_5tupleIJPjSE_EEENSF_IJSE_SE_EEES9_SG_JZNS1_25segmented_radix_sort_implINS0_14default_configELb1EPKbPbPKlPlN2at6native12_GLOBAL__N_18offset_tEEE10hipError_tPvRmT1_PNSt15iterator_traitsISY_E10value_typeET2_T3_PNSZ_IS14_E10value_typeET4_jRbjT5_S1A_jjP12ihipStream_tbEUljE_EEESV_SW_SX_S14_S18_S1A_T6_T7_T9_mT8_S1C_bDpT10_ENKUlT_T0_E_clISt17integral_constantIbLb0EES1P_EEDaS1K_S1L_EUlS1K_E_NS1_11comp_targetILNS1_3genE4ELNS1_11target_archE910ELNS1_3gpuE8ELNS1_3repE0EEENS1_30default_config_static_selectorELNS0_4arch9wavefront6targetE0EEEvSY_
	.p2align	8
	.type	_ZN7rocprim17ROCPRIM_400000_NS6detail17trampoline_kernelINS0_13select_configILj256ELj13ELNS0_17block_load_methodE3ELS4_3ELS4_3ELNS0_20block_scan_algorithmE0ELj4294967295EEENS1_25partition_config_selectorILNS1_17partition_subalgoE3EjNS0_10empty_typeEbEEZZNS1_14partition_implILS8_3ELb0ES6_jNS0_17counting_iteratorIjlEEPS9_SE_NS0_5tupleIJPjSE_EEENSF_IJSE_SE_EEES9_SG_JZNS1_25segmented_radix_sort_implINS0_14default_configELb1EPKbPbPKlPlN2at6native12_GLOBAL__N_18offset_tEEE10hipError_tPvRmT1_PNSt15iterator_traitsISY_E10value_typeET2_T3_PNSZ_IS14_E10value_typeET4_jRbjT5_S1A_jjP12ihipStream_tbEUljE_EEESV_SW_SX_S14_S18_S1A_T6_T7_T9_mT8_S1C_bDpT10_ENKUlT_T0_E_clISt17integral_constantIbLb0EES1P_EEDaS1K_S1L_EUlS1K_E_NS1_11comp_targetILNS1_3genE4ELNS1_11target_archE910ELNS1_3gpuE8ELNS1_3repE0EEENS1_30default_config_static_selectorELNS0_4arch9wavefront6targetE0EEEvSY_,@function
_ZN7rocprim17ROCPRIM_400000_NS6detail17trampoline_kernelINS0_13select_configILj256ELj13ELNS0_17block_load_methodE3ELS4_3ELS4_3ELNS0_20block_scan_algorithmE0ELj4294967295EEENS1_25partition_config_selectorILNS1_17partition_subalgoE3EjNS0_10empty_typeEbEEZZNS1_14partition_implILS8_3ELb0ES6_jNS0_17counting_iteratorIjlEEPS9_SE_NS0_5tupleIJPjSE_EEENSF_IJSE_SE_EEES9_SG_JZNS1_25segmented_radix_sort_implINS0_14default_configELb1EPKbPbPKlPlN2at6native12_GLOBAL__N_18offset_tEEE10hipError_tPvRmT1_PNSt15iterator_traitsISY_E10value_typeET2_T3_PNSZ_IS14_E10value_typeET4_jRbjT5_S1A_jjP12ihipStream_tbEUljE_EEESV_SW_SX_S14_S18_S1A_T6_T7_T9_mT8_S1C_bDpT10_ENKUlT_T0_E_clISt17integral_constantIbLb0EES1P_EEDaS1K_S1L_EUlS1K_E_NS1_11comp_targetILNS1_3genE4ELNS1_11target_archE910ELNS1_3gpuE8ELNS1_3repE0EEENS1_30default_config_static_selectorELNS0_4arch9wavefront6targetE0EEEvSY_: ; @_ZN7rocprim17ROCPRIM_400000_NS6detail17trampoline_kernelINS0_13select_configILj256ELj13ELNS0_17block_load_methodE3ELS4_3ELS4_3ELNS0_20block_scan_algorithmE0ELj4294967295EEENS1_25partition_config_selectorILNS1_17partition_subalgoE3EjNS0_10empty_typeEbEEZZNS1_14partition_implILS8_3ELb0ES6_jNS0_17counting_iteratorIjlEEPS9_SE_NS0_5tupleIJPjSE_EEENSF_IJSE_SE_EEES9_SG_JZNS1_25segmented_radix_sort_implINS0_14default_configELb1EPKbPbPKlPlN2at6native12_GLOBAL__N_18offset_tEEE10hipError_tPvRmT1_PNSt15iterator_traitsISY_E10value_typeET2_T3_PNSZ_IS14_E10value_typeET4_jRbjT5_S1A_jjP12ihipStream_tbEUljE_EEESV_SW_SX_S14_S18_S1A_T6_T7_T9_mT8_S1C_bDpT10_ENKUlT_T0_E_clISt17integral_constantIbLb0EES1P_EEDaS1K_S1L_EUlS1K_E_NS1_11comp_targetILNS1_3genE4ELNS1_11target_archE910ELNS1_3gpuE8ELNS1_3repE0EEENS1_30default_config_static_selectorELNS0_4arch9wavefront6targetE0EEEvSY_
; %bb.0:
	.section	.rodata,"a",@progbits
	.p2align	6, 0x0
	.amdhsa_kernel _ZN7rocprim17ROCPRIM_400000_NS6detail17trampoline_kernelINS0_13select_configILj256ELj13ELNS0_17block_load_methodE3ELS4_3ELS4_3ELNS0_20block_scan_algorithmE0ELj4294967295EEENS1_25partition_config_selectorILNS1_17partition_subalgoE3EjNS0_10empty_typeEbEEZZNS1_14partition_implILS8_3ELb0ES6_jNS0_17counting_iteratorIjlEEPS9_SE_NS0_5tupleIJPjSE_EEENSF_IJSE_SE_EEES9_SG_JZNS1_25segmented_radix_sort_implINS0_14default_configELb1EPKbPbPKlPlN2at6native12_GLOBAL__N_18offset_tEEE10hipError_tPvRmT1_PNSt15iterator_traitsISY_E10value_typeET2_T3_PNSZ_IS14_E10value_typeET4_jRbjT5_S1A_jjP12ihipStream_tbEUljE_EEESV_SW_SX_S14_S18_S1A_T6_T7_T9_mT8_S1C_bDpT10_ENKUlT_T0_E_clISt17integral_constantIbLb0EES1P_EEDaS1K_S1L_EUlS1K_E_NS1_11comp_targetILNS1_3genE4ELNS1_11target_archE910ELNS1_3gpuE8ELNS1_3repE0EEENS1_30default_config_static_selectorELNS0_4arch9wavefront6targetE0EEEvSY_
		.amdhsa_group_segment_fixed_size 0
		.amdhsa_private_segment_fixed_size 0
		.amdhsa_kernarg_size 144
		.amdhsa_user_sgpr_count 2
		.amdhsa_user_sgpr_dispatch_ptr 0
		.amdhsa_user_sgpr_queue_ptr 0
		.amdhsa_user_sgpr_kernarg_segment_ptr 1
		.amdhsa_user_sgpr_dispatch_id 0
		.amdhsa_user_sgpr_private_segment_size 0
		.amdhsa_wavefront_size32 1
		.amdhsa_uses_dynamic_stack 0
		.amdhsa_enable_private_segment 0
		.amdhsa_system_sgpr_workgroup_id_x 1
		.amdhsa_system_sgpr_workgroup_id_y 0
		.amdhsa_system_sgpr_workgroup_id_z 0
		.amdhsa_system_sgpr_workgroup_info 0
		.amdhsa_system_vgpr_workitem_id 0
		.amdhsa_next_free_vgpr 1
		.amdhsa_next_free_sgpr 1
		.amdhsa_reserve_vcc 0
		.amdhsa_float_round_mode_32 0
		.amdhsa_float_round_mode_16_64 0
		.amdhsa_float_denorm_mode_32 3
		.amdhsa_float_denorm_mode_16_64 3
		.amdhsa_fp16_overflow 0
		.amdhsa_workgroup_processor_mode 1
		.amdhsa_memory_ordered 1
		.amdhsa_forward_progress 1
		.amdhsa_inst_pref_size 0
		.amdhsa_round_robin_scheduling 0
		.amdhsa_exception_fp_ieee_invalid_op 0
		.amdhsa_exception_fp_denorm_src 0
		.amdhsa_exception_fp_ieee_div_zero 0
		.amdhsa_exception_fp_ieee_overflow 0
		.amdhsa_exception_fp_ieee_underflow 0
		.amdhsa_exception_fp_ieee_inexact 0
		.amdhsa_exception_int_div_zero 0
	.end_amdhsa_kernel
	.section	.text._ZN7rocprim17ROCPRIM_400000_NS6detail17trampoline_kernelINS0_13select_configILj256ELj13ELNS0_17block_load_methodE3ELS4_3ELS4_3ELNS0_20block_scan_algorithmE0ELj4294967295EEENS1_25partition_config_selectorILNS1_17partition_subalgoE3EjNS0_10empty_typeEbEEZZNS1_14partition_implILS8_3ELb0ES6_jNS0_17counting_iteratorIjlEEPS9_SE_NS0_5tupleIJPjSE_EEENSF_IJSE_SE_EEES9_SG_JZNS1_25segmented_radix_sort_implINS0_14default_configELb1EPKbPbPKlPlN2at6native12_GLOBAL__N_18offset_tEEE10hipError_tPvRmT1_PNSt15iterator_traitsISY_E10value_typeET2_T3_PNSZ_IS14_E10value_typeET4_jRbjT5_S1A_jjP12ihipStream_tbEUljE_EEESV_SW_SX_S14_S18_S1A_T6_T7_T9_mT8_S1C_bDpT10_ENKUlT_T0_E_clISt17integral_constantIbLb0EES1P_EEDaS1K_S1L_EUlS1K_E_NS1_11comp_targetILNS1_3genE4ELNS1_11target_archE910ELNS1_3gpuE8ELNS1_3repE0EEENS1_30default_config_static_selectorELNS0_4arch9wavefront6targetE0EEEvSY_,"axG",@progbits,_ZN7rocprim17ROCPRIM_400000_NS6detail17trampoline_kernelINS0_13select_configILj256ELj13ELNS0_17block_load_methodE3ELS4_3ELS4_3ELNS0_20block_scan_algorithmE0ELj4294967295EEENS1_25partition_config_selectorILNS1_17partition_subalgoE3EjNS0_10empty_typeEbEEZZNS1_14partition_implILS8_3ELb0ES6_jNS0_17counting_iteratorIjlEEPS9_SE_NS0_5tupleIJPjSE_EEENSF_IJSE_SE_EEES9_SG_JZNS1_25segmented_radix_sort_implINS0_14default_configELb1EPKbPbPKlPlN2at6native12_GLOBAL__N_18offset_tEEE10hipError_tPvRmT1_PNSt15iterator_traitsISY_E10value_typeET2_T3_PNSZ_IS14_E10value_typeET4_jRbjT5_S1A_jjP12ihipStream_tbEUljE_EEESV_SW_SX_S14_S18_S1A_T6_T7_T9_mT8_S1C_bDpT10_ENKUlT_T0_E_clISt17integral_constantIbLb0EES1P_EEDaS1K_S1L_EUlS1K_E_NS1_11comp_targetILNS1_3genE4ELNS1_11target_archE910ELNS1_3gpuE8ELNS1_3repE0EEENS1_30default_config_static_selectorELNS0_4arch9wavefront6targetE0EEEvSY_,comdat
.Lfunc_end1502:
	.size	_ZN7rocprim17ROCPRIM_400000_NS6detail17trampoline_kernelINS0_13select_configILj256ELj13ELNS0_17block_load_methodE3ELS4_3ELS4_3ELNS0_20block_scan_algorithmE0ELj4294967295EEENS1_25partition_config_selectorILNS1_17partition_subalgoE3EjNS0_10empty_typeEbEEZZNS1_14partition_implILS8_3ELb0ES6_jNS0_17counting_iteratorIjlEEPS9_SE_NS0_5tupleIJPjSE_EEENSF_IJSE_SE_EEES9_SG_JZNS1_25segmented_radix_sort_implINS0_14default_configELb1EPKbPbPKlPlN2at6native12_GLOBAL__N_18offset_tEEE10hipError_tPvRmT1_PNSt15iterator_traitsISY_E10value_typeET2_T3_PNSZ_IS14_E10value_typeET4_jRbjT5_S1A_jjP12ihipStream_tbEUljE_EEESV_SW_SX_S14_S18_S1A_T6_T7_T9_mT8_S1C_bDpT10_ENKUlT_T0_E_clISt17integral_constantIbLb0EES1P_EEDaS1K_S1L_EUlS1K_E_NS1_11comp_targetILNS1_3genE4ELNS1_11target_archE910ELNS1_3gpuE8ELNS1_3repE0EEENS1_30default_config_static_selectorELNS0_4arch9wavefront6targetE0EEEvSY_, .Lfunc_end1502-_ZN7rocprim17ROCPRIM_400000_NS6detail17trampoline_kernelINS0_13select_configILj256ELj13ELNS0_17block_load_methodE3ELS4_3ELS4_3ELNS0_20block_scan_algorithmE0ELj4294967295EEENS1_25partition_config_selectorILNS1_17partition_subalgoE3EjNS0_10empty_typeEbEEZZNS1_14partition_implILS8_3ELb0ES6_jNS0_17counting_iteratorIjlEEPS9_SE_NS0_5tupleIJPjSE_EEENSF_IJSE_SE_EEES9_SG_JZNS1_25segmented_radix_sort_implINS0_14default_configELb1EPKbPbPKlPlN2at6native12_GLOBAL__N_18offset_tEEE10hipError_tPvRmT1_PNSt15iterator_traitsISY_E10value_typeET2_T3_PNSZ_IS14_E10value_typeET4_jRbjT5_S1A_jjP12ihipStream_tbEUljE_EEESV_SW_SX_S14_S18_S1A_T6_T7_T9_mT8_S1C_bDpT10_ENKUlT_T0_E_clISt17integral_constantIbLb0EES1P_EEDaS1K_S1L_EUlS1K_E_NS1_11comp_targetILNS1_3genE4ELNS1_11target_archE910ELNS1_3gpuE8ELNS1_3repE0EEENS1_30default_config_static_selectorELNS0_4arch9wavefront6targetE0EEEvSY_
                                        ; -- End function
	.set _ZN7rocprim17ROCPRIM_400000_NS6detail17trampoline_kernelINS0_13select_configILj256ELj13ELNS0_17block_load_methodE3ELS4_3ELS4_3ELNS0_20block_scan_algorithmE0ELj4294967295EEENS1_25partition_config_selectorILNS1_17partition_subalgoE3EjNS0_10empty_typeEbEEZZNS1_14partition_implILS8_3ELb0ES6_jNS0_17counting_iteratorIjlEEPS9_SE_NS0_5tupleIJPjSE_EEENSF_IJSE_SE_EEES9_SG_JZNS1_25segmented_radix_sort_implINS0_14default_configELb1EPKbPbPKlPlN2at6native12_GLOBAL__N_18offset_tEEE10hipError_tPvRmT1_PNSt15iterator_traitsISY_E10value_typeET2_T3_PNSZ_IS14_E10value_typeET4_jRbjT5_S1A_jjP12ihipStream_tbEUljE_EEESV_SW_SX_S14_S18_S1A_T6_T7_T9_mT8_S1C_bDpT10_ENKUlT_T0_E_clISt17integral_constantIbLb0EES1P_EEDaS1K_S1L_EUlS1K_E_NS1_11comp_targetILNS1_3genE4ELNS1_11target_archE910ELNS1_3gpuE8ELNS1_3repE0EEENS1_30default_config_static_selectorELNS0_4arch9wavefront6targetE0EEEvSY_.num_vgpr, 0
	.set _ZN7rocprim17ROCPRIM_400000_NS6detail17trampoline_kernelINS0_13select_configILj256ELj13ELNS0_17block_load_methodE3ELS4_3ELS4_3ELNS0_20block_scan_algorithmE0ELj4294967295EEENS1_25partition_config_selectorILNS1_17partition_subalgoE3EjNS0_10empty_typeEbEEZZNS1_14partition_implILS8_3ELb0ES6_jNS0_17counting_iteratorIjlEEPS9_SE_NS0_5tupleIJPjSE_EEENSF_IJSE_SE_EEES9_SG_JZNS1_25segmented_radix_sort_implINS0_14default_configELb1EPKbPbPKlPlN2at6native12_GLOBAL__N_18offset_tEEE10hipError_tPvRmT1_PNSt15iterator_traitsISY_E10value_typeET2_T3_PNSZ_IS14_E10value_typeET4_jRbjT5_S1A_jjP12ihipStream_tbEUljE_EEESV_SW_SX_S14_S18_S1A_T6_T7_T9_mT8_S1C_bDpT10_ENKUlT_T0_E_clISt17integral_constantIbLb0EES1P_EEDaS1K_S1L_EUlS1K_E_NS1_11comp_targetILNS1_3genE4ELNS1_11target_archE910ELNS1_3gpuE8ELNS1_3repE0EEENS1_30default_config_static_selectorELNS0_4arch9wavefront6targetE0EEEvSY_.num_agpr, 0
	.set _ZN7rocprim17ROCPRIM_400000_NS6detail17trampoline_kernelINS0_13select_configILj256ELj13ELNS0_17block_load_methodE3ELS4_3ELS4_3ELNS0_20block_scan_algorithmE0ELj4294967295EEENS1_25partition_config_selectorILNS1_17partition_subalgoE3EjNS0_10empty_typeEbEEZZNS1_14partition_implILS8_3ELb0ES6_jNS0_17counting_iteratorIjlEEPS9_SE_NS0_5tupleIJPjSE_EEENSF_IJSE_SE_EEES9_SG_JZNS1_25segmented_radix_sort_implINS0_14default_configELb1EPKbPbPKlPlN2at6native12_GLOBAL__N_18offset_tEEE10hipError_tPvRmT1_PNSt15iterator_traitsISY_E10value_typeET2_T3_PNSZ_IS14_E10value_typeET4_jRbjT5_S1A_jjP12ihipStream_tbEUljE_EEESV_SW_SX_S14_S18_S1A_T6_T7_T9_mT8_S1C_bDpT10_ENKUlT_T0_E_clISt17integral_constantIbLb0EES1P_EEDaS1K_S1L_EUlS1K_E_NS1_11comp_targetILNS1_3genE4ELNS1_11target_archE910ELNS1_3gpuE8ELNS1_3repE0EEENS1_30default_config_static_selectorELNS0_4arch9wavefront6targetE0EEEvSY_.numbered_sgpr, 0
	.set _ZN7rocprim17ROCPRIM_400000_NS6detail17trampoline_kernelINS0_13select_configILj256ELj13ELNS0_17block_load_methodE3ELS4_3ELS4_3ELNS0_20block_scan_algorithmE0ELj4294967295EEENS1_25partition_config_selectorILNS1_17partition_subalgoE3EjNS0_10empty_typeEbEEZZNS1_14partition_implILS8_3ELb0ES6_jNS0_17counting_iteratorIjlEEPS9_SE_NS0_5tupleIJPjSE_EEENSF_IJSE_SE_EEES9_SG_JZNS1_25segmented_radix_sort_implINS0_14default_configELb1EPKbPbPKlPlN2at6native12_GLOBAL__N_18offset_tEEE10hipError_tPvRmT1_PNSt15iterator_traitsISY_E10value_typeET2_T3_PNSZ_IS14_E10value_typeET4_jRbjT5_S1A_jjP12ihipStream_tbEUljE_EEESV_SW_SX_S14_S18_S1A_T6_T7_T9_mT8_S1C_bDpT10_ENKUlT_T0_E_clISt17integral_constantIbLb0EES1P_EEDaS1K_S1L_EUlS1K_E_NS1_11comp_targetILNS1_3genE4ELNS1_11target_archE910ELNS1_3gpuE8ELNS1_3repE0EEENS1_30default_config_static_selectorELNS0_4arch9wavefront6targetE0EEEvSY_.num_named_barrier, 0
	.set _ZN7rocprim17ROCPRIM_400000_NS6detail17trampoline_kernelINS0_13select_configILj256ELj13ELNS0_17block_load_methodE3ELS4_3ELS4_3ELNS0_20block_scan_algorithmE0ELj4294967295EEENS1_25partition_config_selectorILNS1_17partition_subalgoE3EjNS0_10empty_typeEbEEZZNS1_14partition_implILS8_3ELb0ES6_jNS0_17counting_iteratorIjlEEPS9_SE_NS0_5tupleIJPjSE_EEENSF_IJSE_SE_EEES9_SG_JZNS1_25segmented_radix_sort_implINS0_14default_configELb1EPKbPbPKlPlN2at6native12_GLOBAL__N_18offset_tEEE10hipError_tPvRmT1_PNSt15iterator_traitsISY_E10value_typeET2_T3_PNSZ_IS14_E10value_typeET4_jRbjT5_S1A_jjP12ihipStream_tbEUljE_EEESV_SW_SX_S14_S18_S1A_T6_T7_T9_mT8_S1C_bDpT10_ENKUlT_T0_E_clISt17integral_constantIbLb0EES1P_EEDaS1K_S1L_EUlS1K_E_NS1_11comp_targetILNS1_3genE4ELNS1_11target_archE910ELNS1_3gpuE8ELNS1_3repE0EEENS1_30default_config_static_selectorELNS0_4arch9wavefront6targetE0EEEvSY_.private_seg_size, 0
	.set _ZN7rocprim17ROCPRIM_400000_NS6detail17trampoline_kernelINS0_13select_configILj256ELj13ELNS0_17block_load_methodE3ELS4_3ELS4_3ELNS0_20block_scan_algorithmE0ELj4294967295EEENS1_25partition_config_selectorILNS1_17partition_subalgoE3EjNS0_10empty_typeEbEEZZNS1_14partition_implILS8_3ELb0ES6_jNS0_17counting_iteratorIjlEEPS9_SE_NS0_5tupleIJPjSE_EEENSF_IJSE_SE_EEES9_SG_JZNS1_25segmented_radix_sort_implINS0_14default_configELb1EPKbPbPKlPlN2at6native12_GLOBAL__N_18offset_tEEE10hipError_tPvRmT1_PNSt15iterator_traitsISY_E10value_typeET2_T3_PNSZ_IS14_E10value_typeET4_jRbjT5_S1A_jjP12ihipStream_tbEUljE_EEESV_SW_SX_S14_S18_S1A_T6_T7_T9_mT8_S1C_bDpT10_ENKUlT_T0_E_clISt17integral_constantIbLb0EES1P_EEDaS1K_S1L_EUlS1K_E_NS1_11comp_targetILNS1_3genE4ELNS1_11target_archE910ELNS1_3gpuE8ELNS1_3repE0EEENS1_30default_config_static_selectorELNS0_4arch9wavefront6targetE0EEEvSY_.uses_vcc, 0
	.set _ZN7rocprim17ROCPRIM_400000_NS6detail17trampoline_kernelINS0_13select_configILj256ELj13ELNS0_17block_load_methodE3ELS4_3ELS4_3ELNS0_20block_scan_algorithmE0ELj4294967295EEENS1_25partition_config_selectorILNS1_17partition_subalgoE3EjNS0_10empty_typeEbEEZZNS1_14partition_implILS8_3ELb0ES6_jNS0_17counting_iteratorIjlEEPS9_SE_NS0_5tupleIJPjSE_EEENSF_IJSE_SE_EEES9_SG_JZNS1_25segmented_radix_sort_implINS0_14default_configELb1EPKbPbPKlPlN2at6native12_GLOBAL__N_18offset_tEEE10hipError_tPvRmT1_PNSt15iterator_traitsISY_E10value_typeET2_T3_PNSZ_IS14_E10value_typeET4_jRbjT5_S1A_jjP12ihipStream_tbEUljE_EEESV_SW_SX_S14_S18_S1A_T6_T7_T9_mT8_S1C_bDpT10_ENKUlT_T0_E_clISt17integral_constantIbLb0EES1P_EEDaS1K_S1L_EUlS1K_E_NS1_11comp_targetILNS1_3genE4ELNS1_11target_archE910ELNS1_3gpuE8ELNS1_3repE0EEENS1_30default_config_static_selectorELNS0_4arch9wavefront6targetE0EEEvSY_.uses_flat_scratch, 0
	.set _ZN7rocprim17ROCPRIM_400000_NS6detail17trampoline_kernelINS0_13select_configILj256ELj13ELNS0_17block_load_methodE3ELS4_3ELS4_3ELNS0_20block_scan_algorithmE0ELj4294967295EEENS1_25partition_config_selectorILNS1_17partition_subalgoE3EjNS0_10empty_typeEbEEZZNS1_14partition_implILS8_3ELb0ES6_jNS0_17counting_iteratorIjlEEPS9_SE_NS0_5tupleIJPjSE_EEENSF_IJSE_SE_EEES9_SG_JZNS1_25segmented_radix_sort_implINS0_14default_configELb1EPKbPbPKlPlN2at6native12_GLOBAL__N_18offset_tEEE10hipError_tPvRmT1_PNSt15iterator_traitsISY_E10value_typeET2_T3_PNSZ_IS14_E10value_typeET4_jRbjT5_S1A_jjP12ihipStream_tbEUljE_EEESV_SW_SX_S14_S18_S1A_T6_T7_T9_mT8_S1C_bDpT10_ENKUlT_T0_E_clISt17integral_constantIbLb0EES1P_EEDaS1K_S1L_EUlS1K_E_NS1_11comp_targetILNS1_3genE4ELNS1_11target_archE910ELNS1_3gpuE8ELNS1_3repE0EEENS1_30default_config_static_selectorELNS0_4arch9wavefront6targetE0EEEvSY_.has_dyn_sized_stack, 0
	.set _ZN7rocprim17ROCPRIM_400000_NS6detail17trampoline_kernelINS0_13select_configILj256ELj13ELNS0_17block_load_methodE3ELS4_3ELS4_3ELNS0_20block_scan_algorithmE0ELj4294967295EEENS1_25partition_config_selectorILNS1_17partition_subalgoE3EjNS0_10empty_typeEbEEZZNS1_14partition_implILS8_3ELb0ES6_jNS0_17counting_iteratorIjlEEPS9_SE_NS0_5tupleIJPjSE_EEENSF_IJSE_SE_EEES9_SG_JZNS1_25segmented_radix_sort_implINS0_14default_configELb1EPKbPbPKlPlN2at6native12_GLOBAL__N_18offset_tEEE10hipError_tPvRmT1_PNSt15iterator_traitsISY_E10value_typeET2_T3_PNSZ_IS14_E10value_typeET4_jRbjT5_S1A_jjP12ihipStream_tbEUljE_EEESV_SW_SX_S14_S18_S1A_T6_T7_T9_mT8_S1C_bDpT10_ENKUlT_T0_E_clISt17integral_constantIbLb0EES1P_EEDaS1K_S1L_EUlS1K_E_NS1_11comp_targetILNS1_3genE4ELNS1_11target_archE910ELNS1_3gpuE8ELNS1_3repE0EEENS1_30default_config_static_selectorELNS0_4arch9wavefront6targetE0EEEvSY_.has_recursion, 0
	.set _ZN7rocprim17ROCPRIM_400000_NS6detail17trampoline_kernelINS0_13select_configILj256ELj13ELNS0_17block_load_methodE3ELS4_3ELS4_3ELNS0_20block_scan_algorithmE0ELj4294967295EEENS1_25partition_config_selectorILNS1_17partition_subalgoE3EjNS0_10empty_typeEbEEZZNS1_14partition_implILS8_3ELb0ES6_jNS0_17counting_iteratorIjlEEPS9_SE_NS0_5tupleIJPjSE_EEENSF_IJSE_SE_EEES9_SG_JZNS1_25segmented_radix_sort_implINS0_14default_configELb1EPKbPbPKlPlN2at6native12_GLOBAL__N_18offset_tEEE10hipError_tPvRmT1_PNSt15iterator_traitsISY_E10value_typeET2_T3_PNSZ_IS14_E10value_typeET4_jRbjT5_S1A_jjP12ihipStream_tbEUljE_EEESV_SW_SX_S14_S18_S1A_T6_T7_T9_mT8_S1C_bDpT10_ENKUlT_T0_E_clISt17integral_constantIbLb0EES1P_EEDaS1K_S1L_EUlS1K_E_NS1_11comp_targetILNS1_3genE4ELNS1_11target_archE910ELNS1_3gpuE8ELNS1_3repE0EEENS1_30default_config_static_selectorELNS0_4arch9wavefront6targetE0EEEvSY_.has_indirect_call, 0
	.section	.AMDGPU.csdata,"",@progbits
; Kernel info:
; codeLenInByte = 0
; TotalNumSgprs: 0
; NumVgprs: 0
; ScratchSize: 0
; MemoryBound: 0
; FloatMode: 240
; IeeeMode: 1
; LDSByteSize: 0 bytes/workgroup (compile time only)
; SGPRBlocks: 0
; VGPRBlocks: 0
; NumSGPRsForWavesPerEU: 1
; NumVGPRsForWavesPerEU: 1
; Occupancy: 16
; WaveLimiterHint : 0
; COMPUTE_PGM_RSRC2:SCRATCH_EN: 0
; COMPUTE_PGM_RSRC2:USER_SGPR: 2
; COMPUTE_PGM_RSRC2:TRAP_HANDLER: 0
; COMPUTE_PGM_RSRC2:TGID_X_EN: 1
; COMPUTE_PGM_RSRC2:TGID_Y_EN: 0
; COMPUTE_PGM_RSRC2:TGID_Z_EN: 0
; COMPUTE_PGM_RSRC2:TIDIG_COMP_CNT: 0
	.section	.text._ZN7rocprim17ROCPRIM_400000_NS6detail17trampoline_kernelINS0_13select_configILj256ELj13ELNS0_17block_load_methodE3ELS4_3ELS4_3ELNS0_20block_scan_algorithmE0ELj4294967295EEENS1_25partition_config_selectorILNS1_17partition_subalgoE3EjNS0_10empty_typeEbEEZZNS1_14partition_implILS8_3ELb0ES6_jNS0_17counting_iteratorIjlEEPS9_SE_NS0_5tupleIJPjSE_EEENSF_IJSE_SE_EEES9_SG_JZNS1_25segmented_radix_sort_implINS0_14default_configELb1EPKbPbPKlPlN2at6native12_GLOBAL__N_18offset_tEEE10hipError_tPvRmT1_PNSt15iterator_traitsISY_E10value_typeET2_T3_PNSZ_IS14_E10value_typeET4_jRbjT5_S1A_jjP12ihipStream_tbEUljE_EEESV_SW_SX_S14_S18_S1A_T6_T7_T9_mT8_S1C_bDpT10_ENKUlT_T0_E_clISt17integral_constantIbLb0EES1P_EEDaS1K_S1L_EUlS1K_E_NS1_11comp_targetILNS1_3genE3ELNS1_11target_archE908ELNS1_3gpuE7ELNS1_3repE0EEENS1_30default_config_static_selectorELNS0_4arch9wavefront6targetE0EEEvSY_,"axG",@progbits,_ZN7rocprim17ROCPRIM_400000_NS6detail17trampoline_kernelINS0_13select_configILj256ELj13ELNS0_17block_load_methodE3ELS4_3ELS4_3ELNS0_20block_scan_algorithmE0ELj4294967295EEENS1_25partition_config_selectorILNS1_17partition_subalgoE3EjNS0_10empty_typeEbEEZZNS1_14partition_implILS8_3ELb0ES6_jNS0_17counting_iteratorIjlEEPS9_SE_NS0_5tupleIJPjSE_EEENSF_IJSE_SE_EEES9_SG_JZNS1_25segmented_radix_sort_implINS0_14default_configELb1EPKbPbPKlPlN2at6native12_GLOBAL__N_18offset_tEEE10hipError_tPvRmT1_PNSt15iterator_traitsISY_E10value_typeET2_T3_PNSZ_IS14_E10value_typeET4_jRbjT5_S1A_jjP12ihipStream_tbEUljE_EEESV_SW_SX_S14_S18_S1A_T6_T7_T9_mT8_S1C_bDpT10_ENKUlT_T0_E_clISt17integral_constantIbLb0EES1P_EEDaS1K_S1L_EUlS1K_E_NS1_11comp_targetILNS1_3genE3ELNS1_11target_archE908ELNS1_3gpuE7ELNS1_3repE0EEENS1_30default_config_static_selectorELNS0_4arch9wavefront6targetE0EEEvSY_,comdat
	.globl	_ZN7rocprim17ROCPRIM_400000_NS6detail17trampoline_kernelINS0_13select_configILj256ELj13ELNS0_17block_load_methodE3ELS4_3ELS4_3ELNS0_20block_scan_algorithmE0ELj4294967295EEENS1_25partition_config_selectorILNS1_17partition_subalgoE3EjNS0_10empty_typeEbEEZZNS1_14partition_implILS8_3ELb0ES6_jNS0_17counting_iteratorIjlEEPS9_SE_NS0_5tupleIJPjSE_EEENSF_IJSE_SE_EEES9_SG_JZNS1_25segmented_radix_sort_implINS0_14default_configELb1EPKbPbPKlPlN2at6native12_GLOBAL__N_18offset_tEEE10hipError_tPvRmT1_PNSt15iterator_traitsISY_E10value_typeET2_T3_PNSZ_IS14_E10value_typeET4_jRbjT5_S1A_jjP12ihipStream_tbEUljE_EEESV_SW_SX_S14_S18_S1A_T6_T7_T9_mT8_S1C_bDpT10_ENKUlT_T0_E_clISt17integral_constantIbLb0EES1P_EEDaS1K_S1L_EUlS1K_E_NS1_11comp_targetILNS1_3genE3ELNS1_11target_archE908ELNS1_3gpuE7ELNS1_3repE0EEENS1_30default_config_static_selectorELNS0_4arch9wavefront6targetE0EEEvSY_ ; -- Begin function _ZN7rocprim17ROCPRIM_400000_NS6detail17trampoline_kernelINS0_13select_configILj256ELj13ELNS0_17block_load_methodE3ELS4_3ELS4_3ELNS0_20block_scan_algorithmE0ELj4294967295EEENS1_25partition_config_selectorILNS1_17partition_subalgoE3EjNS0_10empty_typeEbEEZZNS1_14partition_implILS8_3ELb0ES6_jNS0_17counting_iteratorIjlEEPS9_SE_NS0_5tupleIJPjSE_EEENSF_IJSE_SE_EEES9_SG_JZNS1_25segmented_radix_sort_implINS0_14default_configELb1EPKbPbPKlPlN2at6native12_GLOBAL__N_18offset_tEEE10hipError_tPvRmT1_PNSt15iterator_traitsISY_E10value_typeET2_T3_PNSZ_IS14_E10value_typeET4_jRbjT5_S1A_jjP12ihipStream_tbEUljE_EEESV_SW_SX_S14_S18_S1A_T6_T7_T9_mT8_S1C_bDpT10_ENKUlT_T0_E_clISt17integral_constantIbLb0EES1P_EEDaS1K_S1L_EUlS1K_E_NS1_11comp_targetILNS1_3genE3ELNS1_11target_archE908ELNS1_3gpuE7ELNS1_3repE0EEENS1_30default_config_static_selectorELNS0_4arch9wavefront6targetE0EEEvSY_
	.p2align	8
	.type	_ZN7rocprim17ROCPRIM_400000_NS6detail17trampoline_kernelINS0_13select_configILj256ELj13ELNS0_17block_load_methodE3ELS4_3ELS4_3ELNS0_20block_scan_algorithmE0ELj4294967295EEENS1_25partition_config_selectorILNS1_17partition_subalgoE3EjNS0_10empty_typeEbEEZZNS1_14partition_implILS8_3ELb0ES6_jNS0_17counting_iteratorIjlEEPS9_SE_NS0_5tupleIJPjSE_EEENSF_IJSE_SE_EEES9_SG_JZNS1_25segmented_radix_sort_implINS0_14default_configELb1EPKbPbPKlPlN2at6native12_GLOBAL__N_18offset_tEEE10hipError_tPvRmT1_PNSt15iterator_traitsISY_E10value_typeET2_T3_PNSZ_IS14_E10value_typeET4_jRbjT5_S1A_jjP12ihipStream_tbEUljE_EEESV_SW_SX_S14_S18_S1A_T6_T7_T9_mT8_S1C_bDpT10_ENKUlT_T0_E_clISt17integral_constantIbLb0EES1P_EEDaS1K_S1L_EUlS1K_E_NS1_11comp_targetILNS1_3genE3ELNS1_11target_archE908ELNS1_3gpuE7ELNS1_3repE0EEENS1_30default_config_static_selectorELNS0_4arch9wavefront6targetE0EEEvSY_,@function
_ZN7rocprim17ROCPRIM_400000_NS6detail17trampoline_kernelINS0_13select_configILj256ELj13ELNS0_17block_load_methodE3ELS4_3ELS4_3ELNS0_20block_scan_algorithmE0ELj4294967295EEENS1_25partition_config_selectorILNS1_17partition_subalgoE3EjNS0_10empty_typeEbEEZZNS1_14partition_implILS8_3ELb0ES6_jNS0_17counting_iteratorIjlEEPS9_SE_NS0_5tupleIJPjSE_EEENSF_IJSE_SE_EEES9_SG_JZNS1_25segmented_radix_sort_implINS0_14default_configELb1EPKbPbPKlPlN2at6native12_GLOBAL__N_18offset_tEEE10hipError_tPvRmT1_PNSt15iterator_traitsISY_E10value_typeET2_T3_PNSZ_IS14_E10value_typeET4_jRbjT5_S1A_jjP12ihipStream_tbEUljE_EEESV_SW_SX_S14_S18_S1A_T6_T7_T9_mT8_S1C_bDpT10_ENKUlT_T0_E_clISt17integral_constantIbLb0EES1P_EEDaS1K_S1L_EUlS1K_E_NS1_11comp_targetILNS1_3genE3ELNS1_11target_archE908ELNS1_3gpuE7ELNS1_3repE0EEENS1_30default_config_static_selectorELNS0_4arch9wavefront6targetE0EEEvSY_: ; @_ZN7rocprim17ROCPRIM_400000_NS6detail17trampoline_kernelINS0_13select_configILj256ELj13ELNS0_17block_load_methodE3ELS4_3ELS4_3ELNS0_20block_scan_algorithmE0ELj4294967295EEENS1_25partition_config_selectorILNS1_17partition_subalgoE3EjNS0_10empty_typeEbEEZZNS1_14partition_implILS8_3ELb0ES6_jNS0_17counting_iteratorIjlEEPS9_SE_NS0_5tupleIJPjSE_EEENSF_IJSE_SE_EEES9_SG_JZNS1_25segmented_radix_sort_implINS0_14default_configELb1EPKbPbPKlPlN2at6native12_GLOBAL__N_18offset_tEEE10hipError_tPvRmT1_PNSt15iterator_traitsISY_E10value_typeET2_T3_PNSZ_IS14_E10value_typeET4_jRbjT5_S1A_jjP12ihipStream_tbEUljE_EEESV_SW_SX_S14_S18_S1A_T6_T7_T9_mT8_S1C_bDpT10_ENKUlT_T0_E_clISt17integral_constantIbLb0EES1P_EEDaS1K_S1L_EUlS1K_E_NS1_11comp_targetILNS1_3genE3ELNS1_11target_archE908ELNS1_3gpuE7ELNS1_3repE0EEENS1_30default_config_static_selectorELNS0_4arch9wavefront6targetE0EEEvSY_
; %bb.0:
	.section	.rodata,"a",@progbits
	.p2align	6, 0x0
	.amdhsa_kernel _ZN7rocprim17ROCPRIM_400000_NS6detail17trampoline_kernelINS0_13select_configILj256ELj13ELNS0_17block_load_methodE3ELS4_3ELS4_3ELNS0_20block_scan_algorithmE0ELj4294967295EEENS1_25partition_config_selectorILNS1_17partition_subalgoE3EjNS0_10empty_typeEbEEZZNS1_14partition_implILS8_3ELb0ES6_jNS0_17counting_iteratorIjlEEPS9_SE_NS0_5tupleIJPjSE_EEENSF_IJSE_SE_EEES9_SG_JZNS1_25segmented_radix_sort_implINS0_14default_configELb1EPKbPbPKlPlN2at6native12_GLOBAL__N_18offset_tEEE10hipError_tPvRmT1_PNSt15iterator_traitsISY_E10value_typeET2_T3_PNSZ_IS14_E10value_typeET4_jRbjT5_S1A_jjP12ihipStream_tbEUljE_EEESV_SW_SX_S14_S18_S1A_T6_T7_T9_mT8_S1C_bDpT10_ENKUlT_T0_E_clISt17integral_constantIbLb0EES1P_EEDaS1K_S1L_EUlS1K_E_NS1_11comp_targetILNS1_3genE3ELNS1_11target_archE908ELNS1_3gpuE7ELNS1_3repE0EEENS1_30default_config_static_selectorELNS0_4arch9wavefront6targetE0EEEvSY_
		.amdhsa_group_segment_fixed_size 0
		.amdhsa_private_segment_fixed_size 0
		.amdhsa_kernarg_size 144
		.amdhsa_user_sgpr_count 2
		.amdhsa_user_sgpr_dispatch_ptr 0
		.amdhsa_user_sgpr_queue_ptr 0
		.amdhsa_user_sgpr_kernarg_segment_ptr 1
		.amdhsa_user_sgpr_dispatch_id 0
		.amdhsa_user_sgpr_private_segment_size 0
		.amdhsa_wavefront_size32 1
		.amdhsa_uses_dynamic_stack 0
		.amdhsa_enable_private_segment 0
		.amdhsa_system_sgpr_workgroup_id_x 1
		.amdhsa_system_sgpr_workgroup_id_y 0
		.amdhsa_system_sgpr_workgroup_id_z 0
		.amdhsa_system_sgpr_workgroup_info 0
		.amdhsa_system_vgpr_workitem_id 0
		.amdhsa_next_free_vgpr 1
		.amdhsa_next_free_sgpr 1
		.amdhsa_reserve_vcc 0
		.amdhsa_float_round_mode_32 0
		.amdhsa_float_round_mode_16_64 0
		.amdhsa_float_denorm_mode_32 3
		.amdhsa_float_denorm_mode_16_64 3
		.amdhsa_fp16_overflow 0
		.amdhsa_workgroup_processor_mode 1
		.amdhsa_memory_ordered 1
		.amdhsa_forward_progress 1
		.amdhsa_inst_pref_size 0
		.amdhsa_round_robin_scheduling 0
		.amdhsa_exception_fp_ieee_invalid_op 0
		.amdhsa_exception_fp_denorm_src 0
		.amdhsa_exception_fp_ieee_div_zero 0
		.amdhsa_exception_fp_ieee_overflow 0
		.amdhsa_exception_fp_ieee_underflow 0
		.amdhsa_exception_fp_ieee_inexact 0
		.amdhsa_exception_int_div_zero 0
	.end_amdhsa_kernel
	.section	.text._ZN7rocprim17ROCPRIM_400000_NS6detail17trampoline_kernelINS0_13select_configILj256ELj13ELNS0_17block_load_methodE3ELS4_3ELS4_3ELNS0_20block_scan_algorithmE0ELj4294967295EEENS1_25partition_config_selectorILNS1_17partition_subalgoE3EjNS0_10empty_typeEbEEZZNS1_14partition_implILS8_3ELb0ES6_jNS0_17counting_iteratorIjlEEPS9_SE_NS0_5tupleIJPjSE_EEENSF_IJSE_SE_EEES9_SG_JZNS1_25segmented_radix_sort_implINS0_14default_configELb1EPKbPbPKlPlN2at6native12_GLOBAL__N_18offset_tEEE10hipError_tPvRmT1_PNSt15iterator_traitsISY_E10value_typeET2_T3_PNSZ_IS14_E10value_typeET4_jRbjT5_S1A_jjP12ihipStream_tbEUljE_EEESV_SW_SX_S14_S18_S1A_T6_T7_T9_mT8_S1C_bDpT10_ENKUlT_T0_E_clISt17integral_constantIbLb0EES1P_EEDaS1K_S1L_EUlS1K_E_NS1_11comp_targetILNS1_3genE3ELNS1_11target_archE908ELNS1_3gpuE7ELNS1_3repE0EEENS1_30default_config_static_selectorELNS0_4arch9wavefront6targetE0EEEvSY_,"axG",@progbits,_ZN7rocprim17ROCPRIM_400000_NS6detail17trampoline_kernelINS0_13select_configILj256ELj13ELNS0_17block_load_methodE3ELS4_3ELS4_3ELNS0_20block_scan_algorithmE0ELj4294967295EEENS1_25partition_config_selectorILNS1_17partition_subalgoE3EjNS0_10empty_typeEbEEZZNS1_14partition_implILS8_3ELb0ES6_jNS0_17counting_iteratorIjlEEPS9_SE_NS0_5tupleIJPjSE_EEENSF_IJSE_SE_EEES9_SG_JZNS1_25segmented_radix_sort_implINS0_14default_configELb1EPKbPbPKlPlN2at6native12_GLOBAL__N_18offset_tEEE10hipError_tPvRmT1_PNSt15iterator_traitsISY_E10value_typeET2_T3_PNSZ_IS14_E10value_typeET4_jRbjT5_S1A_jjP12ihipStream_tbEUljE_EEESV_SW_SX_S14_S18_S1A_T6_T7_T9_mT8_S1C_bDpT10_ENKUlT_T0_E_clISt17integral_constantIbLb0EES1P_EEDaS1K_S1L_EUlS1K_E_NS1_11comp_targetILNS1_3genE3ELNS1_11target_archE908ELNS1_3gpuE7ELNS1_3repE0EEENS1_30default_config_static_selectorELNS0_4arch9wavefront6targetE0EEEvSY_,comdat
.Lfunc_end1503:
	.size	_ZN7rocprim17ROCPRIM_400000_NS6detail17trampoline_kernelINS0_13select_configILj256ELj13ELNS0_17block_load_methodE3ELS4_3ELS4_3ELNS0_20block_scan_algorithmE0ELj4294967295EEENS1_25partition_config_selectorILNS1_17partition_subalgoE3EjNS0_10empty_typeEbEEZZNS1_14partition_implILS8_3ELb0ES6_jNS0_17counting_iteratorIjlEEPS9_SE_NS0_5tupleIJPjSE_EEENSF_IJSE_SE_EEES9_SG_JZNS1_25segmented_radix_sort_implINS0_14default_configELb1EPKbPbPKlPlN2at6native12_GLOBAL__N_18offset_tEEE10hipError_tPvRmT1_PNSt15iterator_traitsISY_E10value_typeET2_T3_PNSZ_IS14_E10value_typeET4_jRbjT5_S1A_jjP12ihipStream_tbEUljE_EEESV_SW_SX_S14_S18_S1A_T6_T7_T9_mT8_S1C_bDpT10_ENKUlT_T0_E_clISt17integral_constantIbLb0EES1P_EEDaS1K_S1L_EUlS1K_E_NS1_11comp_targetILNS1_3genE3ELNS1_11target_archE908ELNS1_3gpuE7ELNS1_3repE0EEENS1_30default_config_static_selectorELNS0_4arch9wavefront6targetE0EEEvSY_, .Lfunc_end1503-_ZN7rocprim17ROCPRIM_400000_NS6detail17trampoline_kernelINS0_13select_configILj256ELj13ELNS0_17block_load_methodE3ELS4_3ELS4_3ELNS0_20block_scan_algorithmE0ELj4294967295EEENS1_25partition_config_selectorILNS1_17partition_subalgoE3EjNS0_10empty_typeEbEEZZNS1_14partition_implILS8_3ELb0ES6_jNS0_17counting_iteratorIjlEEPS9_SE_NS0_5tupleIJPjSE_EEENSF_IJSE_SE_EEES9_SG_JZNS1_25segmented_radix_sort_implINS0_14default_configELb1EPKbPbPKlPlN2at6native12_GLOBAL__N_18offset_tEEE10hipError_tPvRmT1_PNSt15iterator_traitsISY_E10value_typeET2_T3_PNSZ_IS14_E10value_typeET4_jRbjT5_S1A_jjP12ihipStream_tbEUljE_EEESV_SW_SX_S14_S18_S1A_T6_T7_T9_mT8_S1C_bDpT10_ENKUlT_T0_E_clISt17integral_constantIbLb0EES1P_EEDaS1K_S1L_EUlS1K_E_NS1_11comp_targetILNS1_3genE3ELNS1_11target_archE908ELNS1_3gpuE7ELNS1_3repE0EEENS1_30default_config_static_selectorELNS0_4arch9wavefront6targetE0EEEvSY_
                                        ; -- End function
	.set _ZN7rocprim17ROCPRIM_400000_NS6detail17trampoline_kernelINS0_13select_configILj256ELj13ELNS0_17block_load_methodE3ELS4_3ELS4_3ELNS0_20block_scan_algorithmE0ELj4294967295EEENS1_25partition_config_selectorILNS1_17partition_subalgoE3EjNS0_10empty_typeEbEEZZNS1_14partition_implILS8_3ELb0ES6_jNS0_17counting_iteratorIjlEEPS9_SE_NS0_5tupleIJPjSE_EEENSF_IJSE_SE_EEES9_SG_JZNS1_25segmented_radix_sort_implINS0_14default_configELb1EPKbPbPKlPlN2at6native12_GLOBAL__N_18offset_tEEE10hipError_tPvRmT1_PNSt15iterator_traitsISY_E10value_typeET2_T3_PNSZ_IS14_E10value_typeET4_jRbjT5_S1A_jjP12ihipStream_tbEUljE_EEESV_SW_SX_S14_S18_S1A_T6_T7_T9_mT8_S1C_bDpT10_ENKUlT_T0_E_clISt17integral_constantIbLb0EES1P_EEDaS1K_S1L_EUlS1K_E_NS1_11comp_targetILNS1_3genE3ELNS1_11target_archE908ELNS1_3gpuE7ELNS1_3repE0EEENS1_30default_config_static_selectorELNS0_4arch9wavefront6targetE0EEEvSY_.num_vgpr, 0
	.set _ZN7rocprim17ROCPRIM_400000_NS6detail17trampoline_kernelINS0_13select_configILj256ELj13ELNS0_17block_load_methodE3ELS4_3ELS4_3ELNS0_20block_scan_algorithmE0ELj4294967295EEENS1_25partition_config_selectorILNS1_17partition_subalgoE3EjNS0_10empty_typeEbEEZZNS1_14partition_implILS8_3ELb0ES6_jNS0_17counting_iteratorIjlEEPS9_SE_NS0_5tupleIJPjSE_EEENSF_IJSE_SE_EEES9_SG_JZNS1_25segmented_radix_sort_implINS0_14default_configELb1EPKbPbPKlPlN2at6native12_GLOBAL__N_18offset_tEEE10hipError_tPvRmT1_PNSt15iterator_traitsISY_E10value_typeET2_T3_PNSZ_IS14_E10value_typeET4_jRbjT5_S1A_jjP12ihipStream_tbEUljE_EEESV_SW_SX_S14_S18_S1A_T6_T7_T9_mT8_S1C_bDpT10_ENKUlT_T0_E_clISt17integral_constantIbLb0EES1P_EEDaS1K_S1L_EUlS1K_E_NS1_11comp_targetILNS1_3genE3ELNS1_11target_archE908ELNS1_3gpuE7ELNS1_3repE0EEENS1_30default_config_static_selectorELNS0_4arch9wavefront6targetE0EEEvSY_.num_agpr, 0
	.set _ZN7rocprim17ROCPRIM_400000_NS6detail17trampoline_kernelINS0_13select_configILj256ELj13ELNS0_17block_load_methodE3ELS4_3ELS4_3ELNS0_20block_scan_algorithmE0ELj4294967295EEENS1_25partition_config_selectorILNS1_17partition_subalgoE3EjNS0_10empty_typeEbEEZZNS1_14partition_implILS8_3ELb0ES6_jNS0_17counting_iteratorIjlEEPS9_SE_NS0_5tupleIJPjSE_EEENSF_IJSE_SE_EEES9_SG_JZNS1_25segmented_radix_sort_implINS0_14default_configELb1EPKbPbPKlPlN2at6native12_GLOBAL__N_18offset_tEEE10hipError_tPvRmT1_PNSt15iterator_traitsISY_E10value_typeET2_T3_PNSZ_IS14_E10value_typeET4_jRbjT5_S1A_jjP12ihipStream_tbEUljE_EEESV_SW_SX_S14_S18_S1A_T6_T7_T9_mT8_S1C_bDpT10_ENKUlT_T0_E_clISt17integral_constantIbLb0EES1P_EEDaS1K_S1L_EUlS1K_E_NS1_11comp_targetILNS1_3genE3ELNS1_11target_archE908ELNS1_3gpuE7ELNS1_3repE0EEENS1_30default_config_static_selectorELNS0_4arch9wavefront6targetE0EEEvSY_.numbered_sgpr, 0
	.set _ZN7rocprim17ROCPRIM_400000_NS6detail17trampoline_kernelINS0_13select_configILj256ELj13ELNS0_17block_load_methodE3ELS4_3ELS4_3ELNS0_20block_scan_algorithmE0ELj4294967295EEENS1_25partition_config_selectorILNS1_17partition_subalgoE3EjNS0_10empty_typeEbEEZZNS1_14partition_implILS8_3ELb0ES6_jNS0_17counting_iteratorIjlEEPS9_SE_NS0_5tupleIJPjSE_EEENSF_IJSE_SE_EEES9_SG_JZNS1_25segmented_radix_sort_implINS0_14default_configELb1EPKbPbPKlPlN2at6native12_GLOBAL__N_18offset_tEEE10hipError_tPvRmT1_PNSt15iterator_traitsISY_E10value_typeET2_T3_PNSZ_IS14_E10value_typeET4_jRbjT5_S1A_jjP12ihipStream_tbEUljE_EEESV_SW_SX_S14_S18_S1A_T6_T7_T9_mT8_S1C_bDpT10_ENKUlT_T0_E_clISt17integral_constantIbLb0EES1P_EEDaS1K_S1L_EUlS1K_E_NS1_11comp_targetILNS1_3genE3ELNS1_11target_archE908ELNS1_3gpuE7ELNS1_3repE0EEENS1_30default_config_static_selectorELNS0_4arch9wavefront6targetE0EEEvSY_.num_named_barrier, 0
	.set _ZN7rocprim17ROCPRIM_400000_NS6detail17trampoline_kernelINS0_13select_configILj256ELj13ELNS0_17block_load_methodE3ELS4_3ELS4_3ELNS0_20block_scan_algorithmE0ELj4294967295EEENS1_25partition_config_selectorILNS1_17partition_subalgoE3EjNS0_10empty_typeEbEEZZNS1_14partition_implILS8_3ELb0ES6_jNS0_17counting_iteratorIjlEEPS9_SE_NS0_5tupleIJPjSE_EEENSF_IJSE_SE_EEES9_SG_JZNS1_25segmented_radix_sort_implINS0_14default_configELb1EPKbPbPKlPlN2at6native12_GLOBAL__N_18offset_tEEE10hipError_tPvRmT1_PNSt15iterator_traitsISY_E10value_typeET2_T3_PNSZ_IS14_E10value_typeET4_jRbjT5_S1A_jjP12ihipStream_tbEUljE_EEESV_SW_SX_S14_S18_S1A_T6_T7_T9_mT8_S1C_bDpT10_ENKUlT_T0_E_clISt17integral_constantIbLb0EES1P_EEDaS1K_S1L_EUlS1K_E_NS1_11comp_targetILNS1_3genE3ELNS1_11target_archE908ELNS1_3gpuE7ELNS1_3repE0EEENS1_30default_config_static_selectorELNS0_4arch9wavefront6targetE0EEEvSY_.private_seg_size, 0
	.set _ZN7rocprim17ROCPRIM_400000_NS6detail17trampoline_kernelINS0_13select_configILj256ELj13ELNS0_17block_load_methodE3ELS4_3ELS4_3ELNS0_20block_scan_algorithmE0ELj4294967295EEENS1_25partition_config_selectorILNS1_17partition_subalgoE3EjNS0_10empty_typeEbEEZZNS1_14partition_implILS8_3ELb0ES6_jNS0_17counting_iteratorIjlEEPS9_SE_NS0_5tupleIJPjSE_EEENSF_IJSE_SE_EEES9_SG_JZNS1_25segmented_radix_sort_implINS0_14default_configELb1EPKbPbPKlPlN2at6native12_GLOBAL__N_18offset_tEEE10hipError_tPvRmT1_PNSt15iterator_traitsISY_E10value_typeET2_T3_PNSZ_IS14_E10value_typeET4_jRbjT5_S1A_jjP12ihipStream_tbEUljE_EEESV_SW_SX_S14_S18_S1A_T6_T7_T9_mT8_S1C_bDpT10_ENKUlT_T0_E_clISt17integral_constantIbLb0EES1P_EEDaS1K_S1L_EUlS1K_E_NS1_11comp_targetILNS1_3genE3ELNS1_11target_archE908ELNS1_3gpuE7ELNS1_3repE0EEENS1_30default_config_static_selectorELNS0_4arch9wavefront6targetE0EEEvSY_.uses_vcc, 0
	.set _ZN7rocprim17ROCPRIM_400000_NS6detail17trampoline_kernelINS0_13select_configILj256ELj13ELNS0_17block_load_methodE3ELS4_3ELS4_3ELNS0_20block_scan_algorithmE0ELj4294967295EEENS1_25partition_config_selectorILNS1_17partition_subalgoE3EjNS0_10empty_typeEbEEZZNS1_14partition_implILS8_3ELb0ES6_jNS0_17counting_iteratorIjlEEPS9_SE_NS0_5tupleIJPjSE_EEENSF_IJSE_SE_EEES9_SG_JZNS1_25segmented_radix_sort_implINS0_14default_configELb1EPKbPbPKlPlN2at6native12_GLOBAL__N_18offset_tEEE10hipError_tPvRmT1_PNSt15iterator_traitsISY_E10value_typeET2_T3_PNSZ_IS14_E10value_typeET4_jRbjT5_S1A_jjP12ihipStream_tbEUljE_EEESV_SW_SX_S14_S18_S1A_T6_T7_T9_mT8_S1C_bDpT10_ENKUlT_T0_E_clISt17integral_constantIbLb0EES1P_EEDaS1K_S1L_EUlS1K_E_NS1_11comp_targetILNS1_3genE3ELNS1_11target_archE908ELNS1_3gpuE7ELNS1_3repE0EEENS1_30default_config_static_selectorELNS0_4arch9wavefront6targetE0EEEvSY_.uses_flat_scratch, 0
	.set _ZN7rocprim17ROCPRIM_400000_NS6detail17trampoline_kernelINS0_13select_configILj256ELj13ELNS0_17block_load_methodE3ELS4_3ELS4_3ELNS0_20block_scan_algorithmE0ELj4294967295EEENS1_25partition_config_selectorILNS1_17partition_subalgoE3EjNS0_10empty_typeEbEEZZNS1_14partition_implILS8_3ELb0ES6_jNS0_17counting_iteratorIjlEEPS9_SE_NS0_5tupleIJPjSE_EEENSF_IJSE_SE_EEES9_SG_JZNS1_25segmented_radix_sort_implINS0_14default_configELb1EPKbPbPKlPlN2at6native12_GLOBAL__N_18offset_tEEE10hipError_tPvRmT1_PNSt15iterator_traitsISY_E10value_typeET2_T3_PNSZ_IS14_E10value_typeET4_jRbjT5_S1A_jjP12ihipStream_tbEUljE_EEESV_SW_SX_S14_S18_S1A_T6_T7_T9_mT8_S1C_bDpT10_ENKUlT_T0_E_clISt17integral_constantIbLb0EES1P_EEDaS1K_S1L_EUlS1K_E_NS1_11comp_targetILNS1_3genE3ELNS1_11target_archE908ELNS1_3gpuE7ELNS1_3repE0EEENS1_30default_config_static_selectorELNS0_4arch9wavefront6targetE0EEEvSY_.has_dyn_sized_stack, 0
	.set _ZN7rocprim17ROCPRIM_400000_NS6detail17trampoline_kernelINS0_13select_configILj256ELj13ELNS0_17block_load_methodE3ELS4_3ELS4_3ELNS0_20block_scan_algorithmE0ELj4294967295EEENS1_25partition_config_selectorILNS1_17partition_subalgoE3EjNS0_10empty_typeEbEEZZNS1_14partition_implILS8_3ELb0ES6_jNS0_17counting_iteratorIjlEEPS9_SE_NS0_5tupleIJPjSE_EEENSF_IJSE_SE_EEES9_SG_JZNS1_25segmented_radix_sort_implINS0_14default_configELb1EPKbPbPKlPlN2at6native12_GLOBAL__N_18offset_tEEE10hipError_tPvRmT1_PNSt15iterator_traitsISY_E10value_typeET2_T3_PNSZ_IS14_E10value_typeET4_jRbjT5_S1A_jjP12ihipStream_tbEUljE_EEESV_SW_SX_S14_S18_S1A_T6_T7_T9_mT8_S1C_bDpT10_ENKUlT_T0_E_clISt17integral_constantIbLb0EES1P_EEDaS1K_S1L_EUlS1K_E_NS1_11comp_targetILNS1_3genE3ELNS1_11target_archE908ELNS1_3gpuE7ELNS1_3repE0EEENS1_30default_config_static_selectorELNS0_4arch9wavefront6targetE0EEEvSY_.has_recursion, 0
	.set _ZN7rocprim17ROCPRIM_400000_NS6detail17trampoline_kernelINS0_13select_configILj256ELj13ELNS0_17block_load_methodE3ELS4_3ELS4_3ELNS0_20block_scan_algorithmE0ELj4294967295EEENS1_25partition_config_selectorILNS1_17partition_subalgoE3EjNS0_10empty_typeEbEEZZNS1_14partition_implILS8_3ELb0ES6_jNS0_17counting_iteratorIjlEEPS9_SE_NS0_5tupleIJPjSE_EEENSF_IJSE_SE_EEES9_SG_JZNS1_25segmented_radix_sort_implINS0_14default_configELb1EPKbPbPKlPlN2at6native12_GLOBAL__N_18offset_tEEE10hipError_tPvRmT1_PNSt15iterator_traitsISY_E10value_typeET2_T3_PNSZ_IS14_E10value_typeET4_jRbjT5_S1A_jjP12ihipStream_tbEUljE_EEESV_SW_SX_S14_S18_S1A_T6_T7_T9_mT8_S1C_bDpT10_ENKUlT_T0_E_clISt17integral_constantIbLb0EES1P_EEDaS1K_S1L_EUlS1K_E_NS1_11comp_targetILNS1_3genE3ELNS1_11target_archE908ELNS1_3gpuE7ELNS1_3repE0EEENS1_30default_config_static_selectorELNS0_4arch9wavefront6targetE0EEEvSY_.has_indirect_call, 0
	.section	.AMDGPU.csdata,"",@progbits
; Kernel info:
; codeLenInByte = 0
; TotalNumSgprs: 0
; NumVgprs: 0
; ScratchSize: 0
; MemoryBound: 0
; FloatMode: 240
; IeeeMode: 1
; LDSByteSize: 0 bytes/workgroup (compile time only)
; SGPRBlocks: 0
; VGPRBlocks: 0
; NumSGPRsForWavesPerEU: 1
; NumVGPRsForWavesPerEU: 1
; Occupancy: 16
; WaveLimiterHint : 0
; COMPUTE_PGM_RSRC2:SCRATCH_EN: 0
; COMPUTE_PGM_RSRC2:USER_SGPR: 2
; COMPUTE_PGM_RSRC2:TRAP_HANDLER: 0
; COMPUTE_PGM_RSRC2:TGID_X_EN: 1
; COMPUTE_PGM_RSRC2:TGID_Y_EN: 0
; COMPUTE_PGM_RSRC2:TGID_Z_EN: 0
; COMPUTE_PGM_RSRC2:TIDIG_COMP_CNT: 0
	.section	.text._ZN7rocprim17ROCPRIM_400000_NS6detail17trampoline_kernelINS0_13select_configILj256ELj13ELNS0_17block_load_methodE3ELS4_3ELS4_3ELNS0_20block_scan_algorithmE0ELj4294967295EEENS1_25partition_config_selectorILNS1_17partition_subalgoE3EjNS0_10empty_typeEbEEZZNS1_14partition_implILS8_3ELb0ES6_jNS0_17counting_iteratorIjlEEPS9_SE_NS0_5tupleIJPjSE_EEENSF_IJSE_SE_EEES9_SG_JZNS1_25segmented_radix_sort_implINS0_14default_configELb1EPKbPbPKlPlN2at6native12_GLOBAL__N_18offset_tEEE10hipError_tPvRmT1_PNSt15iterator_traitsISY_E10value_typeET2_T3_PNSZ_IS14_E10value_typeET4_jRbjT5_S1A_jjP12ihipStream_tbEUljE_EEESV_SW_SX_S14_S18_S1A_T6_T7_T9_mT8_S1C_bDpT10_ENKUlT_T0_E_clISt17integral_constantIbLb0EES1P_EEDaS1K_S1L_EUlS1K_E_NS1_11comp_targetILNS1_3genE2ELNS1_11target_archE906ELNS1_3gpuE6ELNS1_3repE0EEENS1_30default_config_static_selectorELNS0_4arch9wavefront6targetE0EEEvSY_,"axG",@progbits,_ZN7rocprim17ROCPRIM_400000_NS6detail17trampoline_kernelINS0_13select_configILj256ELj13ELNS0_17block_load_methodE3ELS4_3ELS4_3ELNS0_20block_scan_algorithmE0ELj4294967295EEENS1_25partition_config_selectorILNS1_17partition_subalgoE3EjNS0_10empty_typeEbEEZZNS1_14partition_implILS8_3ELb0ES6_jNS0_17counting_iteratorIjlEEPS9_SE_NS0_5tupleIJPjSE_EEENSF_IJSE_SE_EEES9_SG_JZNS1_25segmented_radix_sort_implINS0_14default_configELb1EPKbPbPKlPlN2at6native12_GLOBAL__N_18offset_tEEE10hipError_tPvRmT1_PNSt15iterator_traitsISY_E10value_typeET2_T3_PNSZ_IS14_E10value_typeET4_jRbjT5_S1A_jjP12ihipStream_tbEUljE_EEESV_SW_SX_S14_S18_S1A_T6_T7_T9_mT8_S1C_bDpT10_ENKUlT_T0_E_clISt17integral_constantIbLb0EES1P_EEDaS1K_S1L_EUlS1K_E_NS1_11comp_targetILNS1_3genE2ELNS1_11target_archE906ELNS1_3gpuE6ELNS1_3repE0EEENS1_30default_config_static_selectorELNS0_4arch9wavefront6targetE0EEEvSY_,comdat
	.globl	_ZN7rocprim17ROCPRIM_400000_NS6detail17trampoline_kernelINS0_13select_configILj256ELj13ELNS0_17block_load_methodE3ELS4_3ELS4_3ELNS0_20block_scan_algorithmE0ELj4294967295EEENS1_25partition_config_selectorILNS1_17partition_subalgoE3EjNS0_10empty_typeEbEEZZNS1_14partition_implILS8_3ELb0ES6_jNS0_17counting_iteratorIjlEEPS9_SE_NS0_5tupleIJPjSE_EEENSF_IJSE_SE_EEES9_SG_JZNS1_25segmented_radix_sort_implINS0_14default_configELb1EPKbPbPKlPlN2at6native12_GLOBAL__N_18offset_tEEE10hipError_tPvRmT1_PNSt15iterator_traitsISY_E10value_typeET2_T3_PNSZ_IS14_E10value_typeET4_jRbjT5_S1A_jjP12ihipStream_tbEUljE_EEESV_SW_SX_S14_S18_S1A_T6_T7_T9_mT8_S1C_bDpT10_ENKUlT_T0_E_clISt17integral_constantIbLb0EES1P_EEDaS1K_S1L_EUlS1K_E_NS1_11comp_targetILNS1_3genE2ELNS1_11target_archE906ELNS1_3gpuE6ELNS1_3repE0EEENS1_30default_config_static_selectorELNS0_4arch9wavefront6targetE0EEEvSY_ ; -- Begin function _ZN7rocprim17ROCPRIM_400000_NS6detail17trampoline_kernelINS0_13select_configILj256ELj13ELNS0_17block_load_methodE3ELS4_3ELS4_3ELNS0_20block_scan_algorithmE0ELj4294967295EEENS1_25partition_config_selectorILNS1_17partition_subalgoE3EjNS0_10empty_typeEbEEZZNS1_14partition_implILS8_3ELb0ES6_jNS0_17counting_iteratorIjlEEPS9_SE_NS0_5tupleIJPjSE_EEENSF_IJSE_SE_EEES9_SG_JZNS1_25segmented_radix_sort_implINS0_14default_configELb1EPKbPbPKlPlN2at6native12_GLOBAL__N_18offset_tEEE10hipError_tPvRmT1_PNSt15iterator_traitsISY_E10value_typeET2_T3_PNSZ_IS14_E10value_typeET4_jRbjT5_S1A_jjP12ihipStream_tbEUljE_EEESV_SW_SX_S14_S18_S1A_T6_T7_T9_mT8_S1C_bDpT10_ENKUlT_T0_E_clISt17integral_constantIbLb0EES1P_EEDaS1K_S1L_EUlS1K_E_NS1_11comp_targetILNS1_3genE2ELNS1_11target_archE906ELNS1_3gpuE6ELNS1_3repE0EEENS1_30default_config_static_selectorELNS0_4arch9wavefront6targetE0EEEvSY_
	.p2align	8
	.type	_ZN7rocprim17ROCPRIM_400000_NS6detail17trampoline_kernelINS0_13select_configILj256ELj13ELNS0_17block_load_methodE3ELS4_3ELS4_3ELNS0_20block_scan_algorithmE0ELj4294967295EEENS1_25partition_config_selectorILNS1_17partition_subalgoE3EjNS0_10empty_typeEbEEZZNS1_14partition_implILS8_3ELb0ES6_jNS0_17counting_iteratorIjlEEPS9_SE_NS0_5tupleIJPjSE_EEENSF_IJSE_SE_EEES9_SG_JZNS1_25segmented_radix_sort_implINS0_14default_configELb1EPKbPbPKlPlN2at6native12_GLOBAL__N_18offset_tEEE10hipError_tPvRmT1_PNSt15iterator_traitsISY_E10value_typeET2_T3_PNSZ_IS14_E10value_typeET4_jRbjT5_S1A_jjP12ihipStream_tbEUljE_EEESV_SW_SX_S14_S18_S1A_T6_T7_T9_mT8_S1C_bDpT10_ENKUlT_T0_E_clISt17integral_constantIbLb0EES1P_EEDaS1K_S1L_EUlS1K_E_NS1_11comp_targetILNS1_3genE2ELNS1_11target_archE906ELNS1_3gpuE6ELNS1_3repE0EEENS1_30default_config_static_selectorELNS0_4arch9wavefront6targetE0EEEvSY_,@function
_ZN7rocprim17ROCPRIM_400000_NS6detail17trampoline_kernelINS0_13select_configILj256ELj13ELNS0_17block_load_methodE3ELS4_3ELS4_3ELNS0_20block_scan_algorithmE0ELj4294967295EEENS1_25partition_config_selectorILNS1_17partition_subalgoE3EjNS0_10empty_typeEbEEZZNS1_14partition_implILS8_3ELb0ES6_jNS0_17counting_iteratorIjlEEPS9_SE_NS0_5tupleIJPjSE_EEENSF_IJSE_SE_EEES9_SG_JZNS1_25segmented_radix_sort_implINS0_14default_configELb1EPKbPbPKlPlN2at6native12_GLOBAL__N_18offset_tEEE10hipError_tPvRmT1_PNSt15iterator_traitsISY_E10value_typeET2_T3_PNSZ_IS14_E10value_typeET4_jRbjT5_S1A_jjP12ihipStream_tbEUljE_EEESV_SW_SX_S14_S18_S1A_T6_T7_T9_mT8_S1C_bDpT10_ENKUlT_T0_E_clISt17integral_constantIbLb0EES1P_EEDaS1K_S1L_EUlS1K_E_NS1_11comp_targetILNS1_3genE2ELNS1_11target_archE906ELNS1_3gpuE6ELNS1_3repE0EEENS1_30default_config_static_selectorELNS0_4arch9wavefront6targetE0EEEvSY_: ; @_ZN7rocprim17ROCPRIM_400000_NS6detail17trampoline_kernelINS0_13select_configILj256ELj13ELNS0_17block_load_methodE3ELS4_3ELS4_3ELNS0_20block_scan_algorithmE0ELj4294967295EEENS1_25partition_config_selectorILNS1_17partition_subalgoE3EjNS0_10empty_typeEbEEZZNS1_14partition_implILS8_3ELb0ES6_jNS0_17counting_iteratorIjlEEPS9_SE_NS0_5tupleIJPjSE_EEENSF_IJSE_SE_EEES9_SG_JZNS1_25segmented_radix_sort_implINS0_14default_configELb1EPKbPbPKlPlN2at6native12_GLOBAL__N_18offset_tEEE10hipError_tPvRmT1_PNSt15iterator_traitsISY_E10value_typeET2_T3_PNSZ_IS14_E10value_typeET4_jRbjT5_S1A_jjP12ihipStream_tbEUljE_EEESV_SW_SX_S14_S18_S1A_T6_T7_T9_mT8_S1C_bDpT10_ENKUlT_T0_E_clISt17integral_constantIbLb0EES1P_EEDaS1K_S1L_EUlS1K_E_NS1_11comp_targetILNS1_3genE2ELNS1_11target_archE906ELNS1_3gpuE6ELNS1_3repE0EEENS1_30default_config_static_selectorELNS0_4arch9wavefront6targetE0EEEvSY_
; %bb.0:
	.section	.rodata,"a",@progbits
	.p2align	6, 0x0
	.amdhsa_kernel _ZN7rocprim17ROCPRIM_400000_NS6detail17trampoline_kernelINS0_13select_configILj256ELj13ELNS0_17block_load_methodE3ELS4_3ELS4_3ELNS0_20block_scan_algorithmE0ELj4294967295EEENS1_25partition_config_selectorILNS1_17partition_subalgoE3EjNS0_10empty_typeEbEEZZNS1_14partition_implILS8_3ELb0ES6_jNS0_17counting_iteratorIjlEEPS9_SE_NS0_5tupleIJPjSE_EEENSF_IJSE_SE_EEES9_SG_JZNS1_25segmented_radix_sort_implINS0_14default_configELb1EPKbPbPKlPlN2at6native12_GLOBAL__N_18offset_tEEE10hipError_tPvRmT1_PNSt15iterator_traitsISY_E10value_typeET2_T3_PNSZ_IS14_E10value_typeET4_jRbjT5_S1A_jjP12ihipStream_tbEUljE_EEESV_SW_SX_S14_S18_S1A_T6_T7_T9_mT8_S1C_bDpT10_ENKUlT_T0_E_clISt17integral_constantIbLb0EES1P_EEDaS1K_S1L_EUlS1K_E_NS1_11comp_targetILNS1_3genE2ELNS1_11target_archE906ELNS1_3gpuE6ELNS1_3repE0EEENS1_30default_config_static_selectorELNS0_4arch9wavefront6targetE0EEEvSY_
		.amdhsa_group_segment_fixed_size 0
		.amdhsa_private_segment_fixed_size 0
		.amdhsa_kernarg_size 144
		.amdhsa_user_sgpr_count 2
		.amdhsa_user_sgpr_dispatch_ptr 0
		.amdhsa_user_sgpr_queue_ptr 0
		.amdhsa_user_sgpr_kernarg_segment_ptr 1
		.amdhsa_user_sgpr_dispatch_id 0
		.amdhsa_user_sgpr_private_segment_size 0
		.amdhsa_wavefront_size32 1
		.amdhsa_uses_dynamic_stack 0
		.amdhsa_enable_private_segment 0
		.amdhsa_system_sgpr_workgroup_id_x 1
		.amdhsa_system_sgpr_workgroup_id_y 0
		.amdhsa_system_sgpr_workgroup_id_z 0
		.amdhsa_system_sgpr_workgroup_info 0
		.amdhsa_system_vgpr_workitem_id 0
		.amdhsa_next_free_vgpr 1
		.amdhsa_next_free_sgpr 1
		.amdhsa_reserve_vcc 0
		.amdhsa_float_round_mode_32 0
		.amdhsa_float_round_mode_16_64 0
		.amdhsa_float_denorm_mode_32 3
		.amdhsa_float_denorm_mode_16_64 3
		.amdhsa_fp16_overflow 0
		.amdhsa_workgroup_processor_mode 1
		.amdhsa_memory_ordered 1
		.amdhsa_forward_progress 1
		.amdhsa_inst_pref_size 0
		.amdhsa_round_robin_scheduling 0
		.amdhsa_exception_fp_ieee_invalid_op 0
		.amdhsa_exception_fp_denorm_src 0
		.amdhsa_exception_fp_ieee_div_zero 0
		.amdhsa_exception_fp_ieee_overflow 0
		.amdhsa_exception_fp_ieee_underflow 0
		.amdhsa_exception_fp_ieee_inexact 0
		.amdhsa_exception_int_div_zero 0
	.end_amdhsa_kernel
	.section	.text._ZN7rocprim17ROCPRIM_400000_NS6detail17trampoline_kernelINS0_13select_configILj256ELj13ELNS0_17block_load_methodE3ELS4_3ELS4_3ELNS0_20block_scan_algorithmE0ELj4294967295EEENS1_25partition_config_selectorILNS1_17partition_subalgoE3EjNS0_10empty_typeEbEEZZNS1_14partition_implILS8_3ELb0ES6_jNS0_17counting_iteratorIjlEEPS9_SE_NS0_5tupleIJPjSE_EEENSF_IJSE_SE_EEES9_SG_JZNS1_25segmented_radix_sort_implINS0_14default_configELb1EPKbPbPKlPlN2at6native12_GLOBAL__N_18offset_tEEE10hipError_tPvRmT1_PNSt15iterator_traitsISY_E10value_typeET2_T3_PNSZ_IS14_E10value_typeET4_jRbjT5_S1A_jjP12ihipStream_tbEUljE_EEESV_SW_SX_S14_S18_S1A_T6_T7_T9_mT8_S1C_bDpT10_ENKUlT_T0_E_clISt17integral_constantIbLb0EES1P_EEDaS1K_S1L_EUlS1K_E_NS1_11comp_targetILNS1_3genE2ELNS1_11target_archE906ELNS1_3gpuE6ELNS1_3repE0EEENS1_30default_config_static_selectorELNS0_4arch9wavefront6targetE0EEEvSY_,"axG",@progbits,_ZN7rocprim17ROCPRIM_400000_NS6detail17trampoline_kernelINS0_13select_configILj256ELj13ELNS0_17block_load_methodE3ELS4_3ELS4_3ELNS0_20block_scan_algorithmE0ELj4294967295EEENS1_25partition_config_selectorILNS1_17partition_subalgoE3EjNS0_10empty_typeEbEEZZNS1_14partition_implILS8_3ELb0ES6_jNS0_17counting_iteratorIjlEEPS9_SE_NS0_5tupleIJPjSE_EEENSF_IJSE_SE_EEES9_SG_JZNS1_25segmented_radix_sort_implINS0_14default_configELb1EPKbPbPKlPlN2at6native12_GLOBAL__N_18offset_tEEE10hipError_tPvRmT1_PNSt15iterator_traitsISY_E10value_typeET2_T3_PNSZ_IS14_E10value_typeET4_jRbjT5_S1A_jjP12ihipStream_tbEUljE_EEESV_SW_SX_S14_S18_S1A_T6_T7_T9_mT8_S1C_bDpT10_ENKUlT_T0_E_clISt17integral_constantIbLb0EES1P_EEDaS1K_S1L_EUlS1K_E_NS1_11comp_targetILNS1_3genE2ELNS1_11target_archE906ELNS1_3gpuE6ELNS1_3repE0EEENS1_30default_config_static_selectorELNS0_4arch9wavefront6targetE0EEEvSY_,comdat
.Lfunc_end1504:
	.size	_ZN7rocprim17ROCPRIM_400000_NS6detail17trampoline_kernelINS0_13select_configILj256ELj13ELNS0_17block_load_methodE3ELS4_3ELS4_3ELNS0_20block_scan_algorithmE0ELj4294967295EEENS1_25partition_config_selectorILNS1_17partition_subalgoE3EjNS0_10empty_typeEbEEZZNS1_14partition_implILS8_3ELb0ES6_jNS0_17counting_iteratorIjlEEPS9_SE_NS0_5tupleIJPjSE_EEENSF_IJSE_SE_EEES9_SG_JZNS1_25segmented_radix_sort_implINS0_14default_configELb1EPKbPbPKlPlN2at6native12_GLOBAL__N_18offset_tEEE10hipError_tPvRmT1_PNSt15iterator_traitsISY_E10value_typeET2_T3_PNSZ_IS14_E10value_typeET4_jRbjT5_S1A_jjP12ihipStream_tbEUljE_EEESV_SW_SX_S14_S18_S1A_T6_T7_T9_mT8_S1C_bDpT10_ENKUlT_T0_E_clISt17integral_constantIbLb0EES1P_EEDaS1K_S1L_EUlS1K_E_NS1_11comp_targetILNS1_3genE2ELNS1_11target_archE906ELNS1_3gpuE6ELNS1_3repE0EEENS1_30default_config_static_selectorELNS0_4arch9wavefront6targetE0EEEvSY_, .Lfunc_end1504-_ZN7rocprim17ROCPRIM_400000_NS6detail17trampoline_kernelINS0_13select_configILj256ELj13ELNS0_17block_load_methodE3ELS4_3ELS4_3ELNS0_20block_scan_algorithmE0ELj4294967295EEENS1_25partition_config_selectorILNS1_17partition_subalgoE3EjNS0_10empty_typeEbEEZZNS1_14partition_implILS8_3ELb0ES6_jNS0_17counting_iteratorIjlEEPS9_SE_NS0_5tupleIJPjSE_EEENSF_IJSE_SE_EEES9_SG_JZNS1_25segmented_radix_sort_implINS0_14default_configELb1EPKbPbPKlPlN2at6native12_GLOBAL__N_18offset_tEEE10hipError_tPvRmT1_PNSt15iterator_traitsISY_E10value_typeET2_T3_PNSZ_IS14_E10value_typeET4_jRbjT5_S1A_jjP12ihipStream_tbEUljE_EEESV_SW_SX_S14_S18_S1A_T6_T7_T9_mT8_S1C_bDpT10_ENKUlT_T0_E_clISt17integral_constantIbLb0EES1P_EEDaS1K_S1L_EUlS1K_E_NS1_11comp_targetILNS1_3genE2ELNS1_11target_archE906ELNS1_3gpuE6ELNS1_3repE0EEENS1_30default_config_static_selectorELNS0_4arch9wavefront6targetE0EEEvSY_
                                        ; -- End function
	.set _ZN7rocprim17ROCPRIM_400000_NS6detail17trampoline_kernelINS0_13select_configILj256ELj13ELNS0_17block_load_methodE3ELS4_3ELS4_3ELNS0_20block_scan_algorithmE0ELj4294967295EEENS1_25partition_config_selectorILNS1_17partition_subalgoE3EjNS0_10empty_typeEbEEZZNS1_14partition_implILS8_3ELb0ES6_jNS0_17counting_iteratorIjlEEPS9_SE_NS0_5tupleIJPjSE_EEENSF_IJSE_SE_EEES9_SG_JZNS1_25segmented_radix_sort_implINS0_14default_configELb1EPKbPbPKlPlN2at6native12_GLOBAL__N_18offset_tEEE10hipError_tPvRmT1_PNSt15iterator_traitsISY_E10value_typeET2_T3_PNSZ_IS14_E10value_typeET4_jRbjT5_S1A_jjP12ihipStream_tbEUljE_EEESV_SW_SX_S14_S18_S1A_T6_T7_T9_mT8_S1C_bDpT10_ENKUlT_T0_E_clISt17integral_constantIbLb0EES1P_EEDaS1K_S1L_EUlS1K_E_NS1_11comp_targetILNS1_3genE2ELNS1_11target_archE906ELNS1_3gpuE6ELNS1_3repE0EEENS1_30default_config_static_selectorELNS0_4arch9wavefront6targetE0EEEvSY_.num_vgpr, 0
	.set _ZN7rocprim17ROCPRIM_400000_NS6detail17trampoline_kernelINS0_13select_configILj256ELj13ELNS0_17block_load_methodE3ELS4_3ELS4_3ELNS0_20block_scan_algorithmE0ELj4294967295EEENS1_25partition_config_selectorILNS1_17partition_subalgoE3EjNS0_10empty_typeEbEEZZNS1_14partition_implILS8_3ELb0ES6_jNS0_17counting_iteratorIjlEEPS9_SE_NS0_5tupleIJPjSE_EEENSF_IJSE_SE_EEES9_SG_JZNS1_25segmented_radix_sort_implINS0_14default_configELb1EPKbPbPKlPlN2at6native12_GLOBAL__N_18offset_tEEE10hipError_tPvRmT1_PNSt15iterator_traitsISY_E10value_typeET2_T3_PNSZ_IS14_E10value_typeET4_jRbjT5_S1A_jjP12ihipStream_tbEUljE_EEESV_SW_SX_S14_S18_S1A_T6_T7_T9_mT8_S1C_bDpT10_ENKUlT_T0_E_clISt17integral_constantIbLb0EES1P_EEDaS1K_S1L_EUlS1K_E_NS1_11comp_targetILNS1_3genE2ELNS1_11target_archE906ELNS1_3gpuE6ELNS1_3repE0EEENS1_30default_config_static_selectorELNS0_4arch9wavefront6targetE0EEEvSY_.num_agpr, 0
	.set _ZN7rocprim17ROCPRIM_400000_NS6detail17trampoline_kernelINS0_13select_configILj256ELj13ELNS0_17block_load_methodE3ELS4_3ELS4_3ELNS0_20block_scan_algorithmE0ELj4294967295EEENS1_25partition_config_selectorILNS1_17partition_subalgoE3EjNS0_10empty_typeEbEEZZNS1_14partition_implILS8_3ELb0ES6_jNS0_17counting_iteratorIjlEEPS9_SE_NS0_5tupleIJPjSE_EEENSF_IJSE_SE_EEES9_SG_JZNS1_25segmented_radix_sort_implINS0_14default_configELb1EPKbPbPKlPlN2at6native12_GLOBAL__N_18offset_tEEE10hipError_tPvRmT1_PNSt15iterator_traitsISY_E10value_typeET2_T3_PNSZ_IS14_E10value_typeET4_jRbjT5_S1A_jjP12ihipStream_tbEUljE_EEESV_SW_SX_S14_S18_S1A_T6_T7_T9_mT8_S1C_bDpT10_ENKUlT_T0_E_clISt17integral_constantIbLb0EES1P_EEDaS1K_S1L_EUlS1K_E_NS1_11comp_targetILNS1_3genE2ELNS1_11target_archE906ELNS1_3gpuE6ELNS1_3repE0EEENS1_30default_config_static_selectorELNS0_4arch9wavefront6targetE0EEEvSY_.numbered_sgpr, 0
	.set _ZN7rocprim17ROCPRIM_400000_NS6detail17trampoline_kernelINS0_13select_configILj256ELj13ELNS0_17block_load_methodE3ELS4_3ELS4_3ELNS0_20block_scan_algorithmE0ELj4294967295EEENS1_25partition_config_selectorILNS1_17partition_subalgoE3EjNS0_10empty_typeEbEEZZNS1_14partition_implILS8_3ELb0ES6_jNS0_17counting_iteratorIjlEEPS9_SE_NS0_5tupleIJPjSE_EEENSF_IJSE_SE_EEES9_SG_JZNS1_25segmented_radix_sort_implINS0_14default_configELb1EPKbPbPKlPlN2at6native12_GLOBAL__N_18offset_tEEE10hipError_tPvRmT1_PNSt15iterator_traitsISY_E10value_typeET2_T3_PNSZ_IS14_E10value_typeET4_jRbjT5_S1A_jjP12ihipStream_tbEUljE_EEESV_SW_SX_S14_S18_S1A_T6_T7_T9_mT8_S1C_bDpT10_ENKUlT_T0_E_clISt17integral_constantIbLb0EES1P_EEDaS1K_S1L_EUlS1K_E_NS1_11comp_targetILNS1_3genE2ELNS1_11target_archE906ELNS1_3gpuE6ELNS1_3repE0EEENS1_30default_config_static_selectorELNS0_4arch9wavefront6targetE0EEEvSY_.num_named_barrier, 0
	.set _ZN7rocprim17ROCPRIM_400000_NS6detail17trampoline_kernelINS0_13select_configILj256ELj13ELNS0_17block_load_methodE3ELS4_3ELS4_3ELNS0_20block_scan_algorithmE0ELj4294967295EEENS1_25partition_config_selectorILNS1_17partition_subalgoE3EjNS0_10empty_typeEbEEZZNS1_14partition_implILS8_3ELb0ES6_jNS0_17counting_iteratorIjlEEPS9_SE_NS0_5tupleIJPjSE_EEENSF_IJSE_SE_EEES9_SG_JZNS1_25segmented_radix_sort_implINS0_14default_configELb1EPKbPbPKlPlN2at6native12_GLOBAL__N_18offset_tEEE10hipError_tPvRmT1_PNSt15iterator_traitsISY_E10value_typeET2_T3_PNSZ_IS14_E10value_typeET4_jRbjT5_S1A_jjP12ihipStream_tbEUljE_EEESV_SW_SX_S14_S18_S1A_T6_T7_T9_mT8_S1C_bDpT10_ENKUlT_T0_E_clISt17integral_constantIbLb0EES1P_EEDaS1K_S1L_EUlS1K_E_NS1_11comp_targetILNS1_3genE2ELNS1_11target_archE906ELNS1_3gpuE6ELNS1_3repE0EEENS1_30default_config_static_selectorELNS0_4arch9wavefront6targetE0EEEvSY_.private_seg_size, 0
	.set _ZN7rocprim17ROCPRIM_400000_NS6detail17trampoline_kernelINS0_13select_configILj256ELj13ELNS0_17block_load_methodE3ELS4_3ELS4_3ELNS0_20block_scan_algorithmE0ELj4294967295EEENS1_25partition_config_selectorILNS1_17partition_subalgoE3EjNS0_10empty_typeEbEEZZNS1_14partition_implILS8_3ELb0ES6_jNS0_17counting_iteratorIjlEEPS9_SE_NS0_5tupleIJPjSE_EEENSF_IJSE_SE_EEES9_SG_JZNS1_25segmented_radix_sort_implINS0_14default_configELb1EPKbPbPKlPlN2at6native12_GLOBAL__N_18offset_tEEE10hipError_tPvRmT1_PNSt15iterator_traitsISY_E10value_typeET2_T3_PNSZ_IS14_E10value_typeET4_jRbjT5_S1A_jjP12ihipStream_tbEUljE_EEESV_SW_SX_S14_S18_S1A_T6_T7_T9_mT8_S1C_bDpT10_ENKUlT_T0_E_clISt17integral_constantIbLb0EES1P_EEDaS1K_S1L_EUlS1K_E_NS1_11comp_targetILNS1_3genE2ELNS1_11target_archE906ELNS1_3gpuE6ELNS1_3repE0EEENS1_30default_config_static_selectorELNS0_4arch9wavefront6targetE0EEEvSY_.uses_vcc, 0
	.set _ZN7rocprim17ROCPRIM_400000_NS6detail17trampoline_kernelINS0_13select_configILj256ELj13ELNS0_17block_load_methodE3ELS4_3ELS4_3ELNS0_20block_scan_algorithmE0ELj4294967295EEENS1_25partition_config_selectorILNS1_17partition_subalgoE3EjNS0_10empty_typeEbEEZZNS1_14partition_implILS8_3ELb0ES6_jNS0_17counting_iteratorIjlEEPS9_SE_NS0_5tupleIJPjSE_EEENSF_IJSE_SE_EEES9_SG_JZNS1_25segmented_radix_sort_implINS0_14default_configELb1EPKbPbPKlPlN2at6native12_GLOBAL__N_18offset_tEEE10hipError_tPvRmT1_PNSt15iterator_traitsISY_E10value_typeET2_T3_PNSZ_IS14_E10value_typeET4_jRbjT5_S1A_jjP12ihipStream_tbEUljE_EEESV_SW_SX_S14_S18_S1A_T6_T7_T9_mT8_S1C_bDpT10_ENKUlT_T0_E_clISt17integral_constantIbLb0EES1P_EEDaS1K_S1L_EUlS1K_E_NS1_11comp_targetILNS1_3genE2ELNS1_11target_archE906ELNS1_3gpuE6ELNS1_3repE0EEENS1_30default_config_static_selectorELNS0_4arch9wavefront6targetE0EEEvSY_.uses_flat_scratch, 0
	.set _ZN7rocprim17ROCPRIM_400000_NS6detail17trampoline_kernelINS0_13select_configILj256ELj13ELNS0_17block_load_methodE3ELS4_3ELS4_3ELNS0_20block_scan_algorithmE0ELj4294967295EEENS1_25partition_config_selectorILNS1_17partition_subalgoE3EjNS0_10empty_typeEbEEZZNS1_14partition_implILS8_3ELb0ES6_jNS0_17counting_iteratorIjlEEPS9_SE_NS0_5tupleIJPjSE_EEENSF_IJSE_SE_EEES9_SG_JZNS1_25segmented_radix_sort_implINS0_14default_configELb1EPKbPbPKlPlN2at6native12_GLOBAL__N_18offset_tEEE10hipError_tPvRmT1_PNSt15iterator_traitsISY_E10value_typeET2_T3_PNSZ_IS14_E10value_typeET4_jRbjT5_S1A_jjP12ihipStream_tbEUljE_EEESV_SW_SX_S14_S18_S1A_T6_T7_T9_mT8_S1C_bDpT10_ENKUlT_T0_E_clISt17integral_constantIbLb0EES1P_EEDaS1K_S1L_EUlS1K_E_NS1_11comp_targetILNS1_3genE2ELNS1_11target_archE906ELNS1_3gpuE6ELNS1_3repE0EEENS1_30default_config_static_selectorELNS0_4arch9wavefront6targetE0EEEvSY_.has_dyn_sized_stack, 0
	.set _ZN7rocprim17ROCPRIM_400000_NS6detail17trampoline_kernelINS0_13select_configILj256ELj13ELNS0_17block_load_methodE3ELS4_3ELS4_3ELNS0_20block_scan_algorithmE0ELj4294967295EEENS1_25partition_config_selectorILNS1_17partition_subalgoE3EjNS0_10empty_typeEbEEZZNS1_14partition_implILS8_3ELb0ES6_jNS0_17counting_iteratorIjlEEPS9_SE_NS0_5tupleIJPjSE_EEENSF_IJSE_SE_EEES9_SG_JZNS1_25segmented_radix_sort_implINS0_14default_configELb1EPKbPbPKlPlN2at6native12_GLOBAL__N_18offset_tEEE10hipError_tPvRmT1_PNSt15iterator_traitsISY_E10value_typeET2_T3_PNSZ_IS14_E10value_typeET4_jRbjT5_S1A_jjP12ihipStream_tbEUljE_EEESV_SW_SX_S14_S18_S1A_T6_T7_T9_mT8_S1C_bDpT10_ENKUlT_T0_E_clISt17integral_constantIbLb0EES1P_EEDaS1K_S1L_EUlS1K_E_NS1_11comp_targetILNS1_3genE2ELNS1_11target_archE906ELNS1_3gpuE6ELNS1_3repE0EEENS1_30default_config_static_selectorELNS0_4arch9wavefront6targetE0EEEvSY_.has_recursion, 0
	.set _ZN7rocprim17ROCPRIM_400000_NS6detail17trampoline_kernelINS0_13select_configILj256ELj13ELNS0_17block_load_methodE3ELS4_3ELS4_3ELNS0_20block_scan_algorithmE0ELj4294967295EEENS1_25partition_config_selectorILNS1_17partition_subalgoE3EjNS0_10empty_typeEbEEZZNS1_14partition_implILS8_3ELb0ES6_jNS0_17counting_iteratorIjlEEPS9_SE_NS0_5tupleIJPjSE_EEENSF_IJSE_SE_EEES9_SG_JZNS1_25segmented_radix_sort_implINS0_14default_configELb1EPKbPbPKlPlN2at6native12_GLOBAL__N_18offset_tEEE10hipError_tPvRmT1_PNSt15iterator_traitsISY_E10value_typeET2_T3_PNSZ_IS14_E10value_typeET4_jRbjT5_S1A_jjP12ihipStream_tbEUljE_EEESV_SW_SX_S14_S18_S1A_T6_T7_T9_mT8_S1C_bDpT10_ENKUlT_T0_E_clISt17integral_constantIbLb0EES1P_EEDaS1K_S1L_EUlS1K_E_NS1_11comp_targetILNS1_3genE2ELNS1_11target_archE906ELNS1_3gpuE6ELNS1_3repE0EEENS1_30default_config_static_selectorELNS0_4arch9wavefront6targetE0EEEvSY_.has_indirect_call, 0
	.section	.AMDGPU.csdata,"",@progbits
; Kernel info:
; codeLenInByte = 0
; TotalNumSgprs: 0
; NumVgprs: 0
; ScratchSize: 0
; MemoryBound: 0
; FloatMode: 240
; IeeeMode: 1
; LDSByteSize: 0 bytes/workgroup (compile time only)
; SGPRBlocks: 0
; VGPRBlocks: 0
; NumSGPRsForWavesPerEU: 1
; NumVGPRsForWavesPerEU: 1
; Occupancy: 16
; WaveLimiterHint : 0
; COMPUTE_PGM_RSRC2:SCRATCH_EN: 0
; COMPUTE_PGM_RSRC2:USER_SGPR: 2
; COMPUTE_PGM_RSRC2:TRAP_HANDLER: 0
; COMPUTE_PGM_RSRC2:TGID_X_EN: 1
; COMPUTE_PGM_RSRC2:TGID_Y_EN: 0
; COMPUTE_PGM_RSRC2:TGID_Z_EN: 0
; COMPUTE_PGM_RSRC2:TIDIG_COMP_CNT: 0
	.section	.text._ZN7rocprim17ROCPRIM_400000_NS6detail17trampoline_kernelINS0_13select_configILj256ELj13ELNS0_17block_load_methodE3ELS4_3ELS4_3ELNS0_20block_scan_algorithmE0ELj4294967295EEENS1_25partition_config_selectorILNS1_17partition_subalgoE3EjNS0_10empty_typeEbEEZZNS1_14partition_implILS8_3ELb0ES6_jNS0_17counting_iteratorIjlEEPS9_SE_NS0_5tupleIJPjSE_EEENSF_IJSE_SE_EEES9_SG_JZNS1_25segmented_radix_sort_implINS0_14default_configELb1EPKbPbPKlPlN2at6native12_GLOBAL__N_18offset_tEEE10hipError_tPvRmT1_PNSt15iterator_traitsISY_E10value_typeET2_T3_PNSZ_IS14_E10value_typeET4_jRbjT5_S1A_jjP12ihipStream_tbEUljE_EEESV_SW_SX_S14_S18_S1A_T6_T7_T9_mT8_S1C_bDpT10_ENKUlT_T0_E_clISt17integral_constantIbLb0EES1P_EEDaS1K_S1L_EUlS1K_E_NS1_11comp_targetILNS1_3genE10ELNS1_11target_archE1200ELNS1_3gpuE4ELNS1_3repE0EEENS1_30default_config_static_selectorELNS0_4arch9wavefront6targetE0EEEvSY_,"axG",@progbits,_ZN7rocprim17ROCPRIM_400000_NS6detail17trampoline_kernelINS0_13select_configILj256ELj13ELNS0_17block_load_methodE3ELS4_3ELS4_3ELNS0_20block_scan_algorithmE0ELj4294967295EEENS1_25partition_config_selectorILNS1_17partition_subalgoE3EjNS0_10empty_typeEbEEZZNS1_14partition_implILS8_3ELb0ES6_jNS0_17counting_iteratorIjlEEPS9_SE_NS0_5tupleIJPjSE_EEENSF_IJSE_SE_EEES9_SG_JZNS1_25segmented_radix_sort_implINS0_14default_configELb1EPKbPbPKlPlN2at6native12_GLOBAL__N_18offset_tEEE10hipError_tPvRmT1_PNSt15iterator_traitsISY_E10value_typeET2_T3_PNSZ_IS14_E10value_typeET4_jRbjT5_S1A_jjP12ihipStream_tbEUljE_EEESV_SW_SX_S14_S18_S1A_T6_T7_T9_mT8_S1C_bDpT10_ENKUlT_T0_E_clISt17integral_constantIbLb0EES1P_EEDaS1K_S1L_EUlS1K_E_NS1_11comp_targetILNS1_3genE10ELNS1_11target_archE1200ELNS1_3gpuE4ELNS1_3repE0EEENS1_30default_config_static_selectorELNS0_4arch9wavefront6targetE0EEEvSY_,comdat
	.globl	_ZN7rocprim17ROCPRIM_400000_NS6detail17trampoline_kernelINS0_13select_configILj256ELj13ELNS0_17block_load_methodE3ELS4_3ELS4_3ELNS0_20block_scan_algorithmE0ELj4294967295EEENS1_25partition_config_selectorILNS1_17partition_subalgoE3EjNS0_10empty_typeEbEEZZNS1_14partition_implILS8_3ELb0ES6_jNS0_17counting_iteratorIjlEEPS9_SE_NS0_5tupleIJPjSE_EEENSF_IJSE_SE_EEES9_SG_JZNS1_25segmented_radix_sort_implINS0_14default_configELb1EPKbPbPKlPlN2at6native12_GLOBAL__N_18offset_tEEE10hipError_tPvRmT1_PNSt15iterator_traitsISY_E10value_typeET2_T3_PNSZ_IS14_E10value_typeET4_jRbjT5_S1A_jjP12ihipStream_tbEUljE_EEESV_SW_SX_S14_S18_S1A_T6_T7_T9_mT8_S1C_bDpT10_ENKUlT_T0_E_clISt17integral_constantIbLb0EES1P_EEDaS1K_S1L_EUlS1K_E_NS1_11comp_targetILNS1_3genE10ELNS1_11target_archE1200ELNS1_3gpuE4ELNS1_3repE0EEENS1_30default_config_static_selectorELNS0_4arch9wavefront6targetE0EEEvSY_ ; -- Begin function _ZN7rocprim17ROCPRIM_400000_NS6detail17trampoline_kernelINS0_13select_configILj256ELj13ELNS0_17block_load_methodE3ELS4_3ELS4_3ELNS0_20block_scan_algorithmE0ELj4294967295EEENS1_25partition_config_selectorILNS1_17partition_subalgoE3EjNS0_10empty_typeEbEEZZNS1_14partition_implILS8_3ELb0ES6_jNS0_17counting_iteratorIjlEEPS9_SE_NS0_5tupleIJPjSE_EEENSF_IJSE_SE_EEES9_SG_JZNS1_25segmented_radix_sort_implINS0_14default_configELb1EPKbPbPKlPlN2at6native12_GLOBAL__N_18offset_tEEE10hipError_tPvRmT1_PNSt15iterator_traitsISY_E10value_typeET2_T3_PNSZ_IS14_E10value_typeET4_jRbjT5_S1A_jjP12ihipStream_tbEUljE_EEESV_SW_SX_S14_S18_S1A_T6_T7_T9_mT8_S1C_bDpT10_ENKUlT_T0_E_clISt17integral_constantIbLb0EES1P_EEDaS1K_S1L_EUlS1K_E_NS1_11comp_targetILNS1_3genE10ELNS1_11target_archE1200ELNS1_3gpuE4ELNS1_3repE0EEENS1_30default_config_static_selectorELNS0_4arch9wavefront6targetE0EEEvSY_
	.p2align	8
	.type	_ZN7rocprim17ROCPRIM_400000_NS6detail17trampoline_kernelINS0_13select_configILj256ELj13ELNS0_17block_load_methodE3ELS4_3ELS4_3ELNS0_20block_scan_algorithmE0ELj4294967295EEENS1_25partition_config_selectorILNS1_17partition_subalgoE3EjNS0_10empty_typeEbEEZZNS1_14partition_implILS8_3ELb0ES6_jNS0_17counting_iteratorIjlEEPS9_SE_NS0_5tupleIJPjSE_EEENSF_IJSE_SE_EEES9_SG_JZNS1_25segmented_radix_sort_implINS0_14default_configELb1EPKbPbPKlPlN2at6native12_GLOBAL__N_18offset_tEEE10hipError_tPvRmT1_PNSt15iterator_traitsISY_E10value_typeET2_T3_PNSZ_IS14_E10value_typeET4_jRbjT5_S1A_jjP12ihipStream_tbEUljE_EEESV_SW_SX_S14_S18_S1A_T6_T7_T9_mT8_S1C_bDpT10_ENKUlT_T0_E_clISt17integral_constantIbLb0EES1P_EEDaS1K_S1L_EUlS1K_E_NS1_11comp_targetILNS1_3genE10ELNS1_11target_archE1200ELNS1_3gpuE4ELNS1_3repE0EEENS1_30default_config_static_selectorELNS0_4arch9wavefront6targetE0EEEvSY_,@function
_ZN7rocprim17ROCPRIM_400000_NS6detail17trampoline_kernelINS0_13select_configILj256ELj13ELNS0_17block_load_methodE3ELS4_3ELS4_3ELNS0_20block_scan_algorithmE0ELj4294967295EEENS1_25partition_config_selectorILNS1_17partition_subalgoE3EjNS0_10empty_typeEbEEZZNS1_14partition_implILS8_3ELb0ES6_jNS0_17counting_iteratorIjlEEPS9_SE_NS0_5tupleIJPjSE_EEENSF_IJSE_SE_EEES9_SG_JZNS1_25segmented_radix_sort_implINS0_14default_configELb1EPKbPbPKlPlN2at6native12_GLOBAL__N_18offset_tEEE10hipError_tPvRmT1_PNSt15iterator_traitsISY_E10value_typeET2_T3_PNSZ_IS14_E10value_typeET4_jRbjT5_S1A_jjP12ihipStream_tbEUljE_EEESV_SW_SX_S14_S18_S1A_T6_T7_T9_mT8_S1C_bDpT10_ENKUlT_T0_E_clISt17integral_constantIbLb0EES1P_EEDaS1K_S1L_EUlS1K_E_NS1_11comp_targetILNS1_3genE10ELNS1_11target_archE1200ELNS1_3gpuE4ELNS1_3repE0EEENS1_30default_config_static_selectorELNS0_4arch9wavefront6targetE0EEEvSY_: ; @_ZN7rocprim17ROCPRIM_400000_NS6detail17trampoline_kernelINS0_13select_configILj256ELj13ELNS0_17block_load_methodE3ELS4_3ELS4_3ELNS0_20block_scan_algorithmE0ELj4294967295EEENS1_25partition_config_selectorILNS1_17partition_subalgoE3EjNS0_10empty_typeEbEEZZNS1_14partition_implILS8_3ELb0ES6_jNS0_17counting_iteratorIjlEEPS9_SE_NS0_5tupleIJPjSE_EEENSF_IJSE_SE_EEES9_SG_JZNS1_25segmented_radix_sort_implINS0_14default_configELb1EPKbPbPKlPlN2at6native12_GLOBAL__N_18offset_tEEE10hipError_tPvRmT1_PNSt15iterator_traitsISY_E10value_typeET2_T3_PNSZ_IS14_E10value_typeET4_jRbjT5_S1A_jjP12ihipStream_tbEUljE_EEESV_SW_SX_S14_S18_S1A_T6_T7_T9_mT8_S1C_bDpT10_ENKUlT_T0_E_clISt17integral_constantIbLb0EES1P_EEDaS1K_S1L_EUlS1K_E_NS1_11comp_targetILNS1_3genE10ELNS1_11target_archE1200ELNS1_3gpuE4ELNS1_3repE0EEENS1_30default_config_static_selectorELNS0_4arch9wavefront6targetE0EEEvSY_
; %bb.0:
	s_clause 0x6
	s_load_b32 s2, s[0:1], 0x70
	s_load_b128 s[8:11], s[0:1], 0x48
	s_load_b64 s[12:13], s[0:1], 0x10
	s_load_b64 s[14:15], s[0:1], 0x58
	s_load_b32 s20, s[0:1], 0x8
	s_load_b32 s3, s[0:1], 0x88
	s_load_b128 s[4:7], s[0:1], 0x78
	s_mov_b32 s17, 0
	v_lshlrev_b32_e32 v42, 2, v0
	s_wait_kmcnt 0x0
	s_mul_i32 s16, s2, 0xd00
	s_load_b64 s[18:19], s[10:11], 0x0
	s_add_co_i32 s10, s16, s12
	s_add_co_i32 s2, s2, -1
	s_sub_co_i32 s23, s14, s10
	s_add_nc_u64 s[10:11], s[12:13], s[16:17]
	s_addk_co_i32 s23, 0xd00
	s_cmp_eq_u32 ttmp9, s2
	s_mul_i32 s16, ttmp9, 0xd00
	s_cselect_b32 s22, -1, 0
	s_cmp_lg_u32 ttmp9, s2
	v_cmp_gt_u64_e64 s10, s[14:15], s[10:11]
	s_cselect_b32 s2, -1, 0
	s_add_co_i32 s11, s20, s16
	s_mov_b32 s17, -1
	s_wait_alu 0xfffe
	s_add_co_i32 s11, s11, s12
	s_wait_alu 0xfffe
	v_add_nc_u32_e32 v1, s11, v0
	s_or_b32 s10, s2, s10
	s_wait_alu 0xfffe
	s_and_b32 vcc_lo, exec_lo, s10
	s_cbranch_vccz .LBB1505_2
; %bb.1:
	v_add_nc_u32_e32 v2, 0x100, v1
	v_add_nc_u32_e32 v3, 0x200, v1
	;; [unrolled: 1-line block ×12, first 2 shown]
	ds_store_2addr_stride64_b32 v42, v1, v2 offset1:4
	ds_store_2addr_stride64_b32 v42, v3, v4 offset0:8 offset1:12
	ds_store_2addr_stride64_b32 v42, v5, v6 offset0:16 offset1:20
	;; [unrolled: 1-line block ×5, first 2 shown]
	ds_store_b32 v42, v13 offset:12288
	s_wait_dscnt 0x0
	s_barrier_signal -1
	s_mov_b32 s17, 0
	s_barrier_wait -1
.LBB1505_2:
	v_cmp_gt_u32_e64 s2, s23, v0
	v_or_b32_e32 v41, 0x100, v0
	v_or_b32_e32 v40, 0x200, v0
	;; [unrolled: 1-line block ×12, first 2 shown]
	s_and_not1_b32 vcc_lo, exec_lo, s17
	s_cbranch_vccnz .LBB1505_4
; %bb.3:
	v_cmp_gt_u32_e32 vcc_lo, s23, v41
	v_add_nc_u32_e32 v3, s11, v40
	v_add_nc_u32_e32 v2, s11, v41
	v_cndmask_b32_e64 v1, 0, v1, s2
	s_delay_alu instid0(VALU_DEP_2)
	v_cndmask_b32_e32 v2, 0, v2, vcc_lo
	v_cmp_gt_u32_e32 vcc_lo, s23, v40
	s_wait_alu 0xfffd
	v_cndmask_b32_e32 v3, 0, v3, vcc_lo
	v_cmp_gt_u32_e32 vcc_lo, s23, v39
	v_add_nc_u32_e32 v5, s11, v38
	v_add_nc_u32_e32 v4, s11, v39
	s_wait_alu 0xfffd
	s_delay_alu instid0(VALU_DEP_1)
	v_cndmask_b32_e32 v4, 0, v4, vcc_lo
	v_cmp_gt_u32_e32 vcc_lo, s23, v38
	s_wait_alu 0xfffd
	v_cndmask_b32_e32 v5, 0, v5, vcc_lo
	v_cmp_gt_u32_e32 vcc_lo, s23, v37
	v_add_nc_u32_e32 v7, s11, v36
	v_add_nc_u32_e32 v6, s11, v37
	s_wait_alu 0xfffd
	s_delay_alu instid0(VALU_DEP_1)
	;; [unrolled: 9-line block ×5, first 2 shown]
	v_cndmask_b32_e32 v12, 0, v12, vcc_lo
	v_cmp_gt_u32_e32 vcc_lo, s23, v30
	s_wait_alu 0xfffd
	v_cndmask_b32_e32 v13, 0, v13, vcc_lo
	ds_store_2addr_stride64_b32 v42, v1, v2 offset1:4
	ds_store_2addr_stride64_b32 v42, v3, v4 offset0:8 offset1:12
	ds_store_2addr_stride64_b32 v42, v5, v6 offset0:16 offset1:20
	;; [unrolled: 1-line block ×5, first 2 shown]
	ds_store_b32 v42, v13 offset:12288
	s_wait_dscnt 0x0
	s_barrier_signal -1
	s_barrier_wait -1
.LBB1505_4:
	v_mul_u32_u24_e32 v45, 13, v0
	global_inv scope:SCOPE_SE
	v_cndmask_b32_e64 v43, 0, 1, s10
	s_and_not1_b32 vcc_lo, exec_lo, s10
	v_lshlrev_b32_e32 v1, 2, v45
	ds_load_2addr_b32 v[26:27], v1 offset0:2 offset1:3
	ds_load_2addr_b32 v[22:23], v1 offset0:6 offset1:7
	;; [unrolled: 1-line block ×3, first 2 shown]
	ds_load_2addr_b32 v[28:29], v1 offset1:1
	ds_load_2addr_b32 v[18:19], v1 offset0:10 offset1:11
	ds_load_b32 v44, v1 offset:48
	ds_load_2addr_b32 v[20:21], v1 offset0:8 offset1:9
	s_wait_loadcnt_dscnt 0x0
	s_barrier_signal -1
	s_barrier_wait -1
	global_inv scope:SCOPE_SE
	s_wait_alu 0xfffe
	s_cbranch_vccnz .LBB1505_6
; %bb.5:
	v_add_nc_u32_e32 v1, s5, v27
	v_add_nc_u32_e32 v2, s7, v27
	;; [unrolled: 1-line block ×5, first 2 shown]
	v_mul_lo_u32 v1, v1, s4
	v_mul_lo_u32 v2, v2, s6
	v_add_nc_u32_e32 v8, s7, v26
	v_add_nc_u32_e32 v3, s5, v29
	;; [unrolled: 1-line block ×3, first 2 shown]
	v_mul_lo_u32 v5, v5, s4
	v_mul_lo_u32 v4, v4, s4
	v_add_nc_u32_e32 v9, s5, v24
	v_mul_lo_u32 v3, v3, s4
	v_sub_nc_u32_e32 v1, v1, v2
	v_mul_lo_u32 v2, v7, s6
	v_mul_lo_u32 v7, v8, s6
	;; [unrolled: 1-line block ×3, first 2 shown]
	v_add_nc_u32_e32 v8, s5, v25
	v_add_nc_u32_e32 v10, s7, v24
	v_mul_lo_u32 v9, v9, s4
	v_cmp_lt_u32_e32 vcc_lo, s3, v1
	v_add_nc_u32_e32 v14, s7, v19
	v_sub_nc_u32_e32 v2, v4, v2
	v_sub_nc_u32_e32 v4, v5, v7
	v_add_nc_u32_e32 v5, s7, v25
	v_sub_nc_u32_e32 v3, v3, v6
	v_add_nc_u32_e32 v6, s5, v23
	v_add_nc_u32_e32 v7, s7, v23
	v_mul_lo_u32 v8, v8, s4
	v_mul_lo_u32 v5, v5, s6
	;; [unrolled: 1-line block ×5, first 2 shown]
	s_wait_alu 0xfffd
	v_cndmask_b32_e64 v1, 0, 1, vcc_lo
	v_cmp_lt_u32_e32 vcc_lo, s3, v3
	v_mul_lo_u32 v14, v14, s6
	v_add_nc_u32_e32 v15, s7, v21
	v_sub_nc_u32_e32 v5, v8, v5
	v_add_nc_u32_e32 v8, s7, v22
	s_wait_alu 0xfffd
	v_cndmask_b32_e64 v3, 0, 1, vcc_lo
	v_sub_nc_u32_e32 v6, v6, v7
	v_mul_lo_u32 v15, v15, s6
	v_cmp_lt_u32_e32 vcc_lo, s3, v5
	v_mul_lo_u32 v7, v8, s6
	v_sub_nc_u32_e32 v8, v9, v10
	v_add_nc_u32_e32 v9, s5, v19
	v_add_nc_u32_e32 v10, s5, v21
	s_wait_alu 0xfffd
	v_cndmask_b32_e64 v5, 0, 1, vcc_lo
	v_cmp_lt_u32_e32 vcc_lo, s3, v6
	v_add_nc_u32_e32 v11, s5, v22
	v_mul_lo_u32 v9, v9, s4
	v_mul_lo_u32 v10, v10, s4
	v_add_nc_u32_e32 v12, s5, v20
	s_wait_alu 0xfffd
	v_cndmask_b32_e64 v6, 0, 1, vcc_lo
	v_mul_lo_u32 v11, v11, s4
	v_add_nc_u32_e32 v16, s7, v20
	v_lshlrev_b16 v3, 8, v3
	v_add_nc_u32_e32 v13, s5, v18
	v_sub_nc_u32_e32 v9, v9, v14
	v_sub_nc_u32_e32 v10, v10, v15
	v_add_nc_u32_e32 v17, s7, v18
	v_mul_lo_u32 v12, v12, s4
	v_mul_lo_u32 v16, v16, s6
	v_cmp_lt_u32_e32 vcc_lo, s3, v9
	v_sub_nc_u32_e32 v7, v11, v7
	v_lshrrev_b32_e32 v3, 8, v3
	v_mul_lo_u32 v11, v13, s4
	v_mul_lo_u32 v13, v17, s6
	s_wait_alu 0xfffd
	v_cndmask_b32_e64 v9, 0, 1, vcc_lo
	v_cmp_lt_u32_e32 vcc_lo, s3, v2
	v_sub_nc_u32_e32 v12, v12, v16
	v_lshlrev_b16 v3, 8, v3
	v_lshlrev_b16 v1, 8, v1
	;; [unrolled: 1-line block ×3, first 2 shown]
	s_wait_alu 0xfffd
	v_cndmask_b32_e64 v2, 0, 1, vcc_lo
	v_cmp_lt_u32_e32 vcc_lo, s3, v10
	v_sub_nc_u32_e32 v11, v11, v13
	v_add_nc_u32_e32 v14, s5, v44
	v_add_nc_u32_e32 v15, s7, v44
	v_or_b32_e32 v2, v2, v3
	s_wait_alu 0xfffd
	v_cndmask_b32_e64 v10, 0, 1, vcc_lo
	v_cmp_lt_u32_e32 vcc_lo, s3, v4
	v_lshlrev_b16 v3, 8, v9
	v_lshrrev_b32_e32 v5, 8, v5
	v_lshrrev_b32_e32 v1, 8, v1
	v_lshlrev_b16 v9, 8, v10
	s_wait_alu 0xfffd
	v_cndmask_b32_e64 v4, 0, 1, vcc_lo
	v_cmp_lt_u32_e32 vcc_lo, s3, v8
	v_lshrrev_b32_e32 v3, 8, v3
	v_mul_lo_u32 v14, v14, s4
	v_lshrrev_b32_e32 v9, 8, v9
	v_mul_lo_u32 v15, v15, s6
	s_wait_alu 0xfffd
	v_cndmask_b32_e64 v8, 0, 1, vcc_lo
	v_cmp_lt_u32_e32 vcc_lo, s3, v7
	v_lshlrev_b16 v6, 8, v6
	v_lshlrev_b16 v1, 8, v1
	;; [unrolled: 1-line block ×4, first 2 shown]
	s_wait_alu 0xfffd
	v_cndmask_b32_e64 v7, 0, 1, vcc_lo
	v_cmp_lt_u32_e32 vcc_lo, s3, v12
	v_lshlrev_b16 v3, 8, v3
	v_sub_nc_u32_e32 v10, v14, v15
	v_or_b32_e32 v1, v4, v1
	v_or_b32_e32 v4, v8, v5
	s_wait_alu 0xfffd
	v_cndmask_b32_e64 v12, 0, 1, vcc_lo
	v_cmp_lt_u32_e32 vcc_lo, s3, v11
	v_or_b32_e32 v5, v7, v6
	v_and_b32_e32 v2, 0xffff, v2
	v_lshlrev_b32_e32 v1, 16, v1
	v_or_b32_e32 v6, v12, v9
	s_wait_alu 0xfffd
	v_cndmask_b32_e64 v11, 0, 1, vcc_lo
	v_and_b32_e32 v4, 0xffff, v4
	v_lshlrev_b32_e32 v5, 16, v5
	v_cmp_lt_u32_e32 vcc_lo, s3, v10
	v_and_b32_e32 v6, 0xffff, v6
	v_or_b32_e32 v3, v11, v3
	v_or_b32_e32 v51, v2, v1
	;; [unrolled: 1-line block ×3, first 2 shown]
	s_wait_alu 0xfffd
	v_cndmask_b32_e64 v46, 0, 1, vcc_lo
	v_lshlrev_b32_e32 v3, 16, v3
	s_delay_alu instid0(VALU_DEP_1)
	v_or_b32_e32 v47, v6, v3
	s_clause 0x1
	s_load_b64 s[10:11], s[0:1], 0x28
	s_load_b64 s[20:21], s[0:1], 0x68
	s_cbranch_execz .LBB1505_7
	s_branch .LBB1505_34
.LBB1505_6:
                                        ; implicit-def: $vgpr46
                                        ; implicit-def: $vgpr47
                                        ; implicit-def: $vgpr49
                                        ; implicit-def: $vgpr51
	s_clause 0x1
	s_load_b64 s[10:11], s[0:1], 0x28
	s_load_b64 s[20:21], s[0:1], 0x68
.LBB1505_7:
	v_dual_mov_b32 v2, 0 :: v_dual_mov_b32 v1, 0
	s_mov_b32 s0, exec_lo
	v_cmpx_gt_u32_e64 s23, v45
	s_cbranch_execz .LBB1505_9
; %bb.8:
	v_add_nc_u32_e32 v1, s5, v28
	v_add_nc_u32_e32 v3, s7, v28
	s_delay_alu instid0(VALU_DEP_2) | instskip(NEXT) | instid1(VALU_DEP_2)
	v_mul_lo_u32 v1, v1, s4
	v_mul_lo_u32 v3, v3, s6
	s_delay_alu instid0(VALU_DEP_1) | instskip(NEXT) | instid1(VALU_DEP_1)
	v_sub_nc_u32_e32 v1, v1, v3
	v_cmp_lt_u32_e32 vcc_lo, s3, v1
	s_wait_alu 0xfffd
	v_cndmask_b32_e64 v1, 0, 1, vcc_lo
.LBB1505_9:
	s_or_b32 exec_lo, exec_lo, s0
	v_add_nc_u32_e32 v3, 1, v45
	s_mov_b32 s0, exec_lo
	s_delay_alu instid0(VALU_DEP_1)
	v_cmpx_gt_u32_e64 s23, v3
	s_cbranch_execz .LBB1505_11
; %bb.10:
	v_add_nc_u32_e32 v2, s5, v29
	v_add_nc_u32_e32 v3, s7, v29
	s_delay_alu instid0(VALU_DEP_2) | instskip(NEXT) | instid1(VALU_DEP_2)
	v_mul_lo_u32 v2, v2, s4
	v_mul_lo_u32 v3, v3, s6
	s_delay_alu instid0(VALU_DEP_1) | instskip(NEXT) | instid1(VALU_DEP_1)
	v_sub_nc_u32_e32 v2, v2, v3
	v_cmp_lt_u32_e32 vcc_lo, s3, v2
	s_wait_alu 0xfffd
	v_cndmask_b32_e64 v2, 0, 1, vcc_lo
.LBB1505_11:
	s_or_b32 exec_lo, exec_lo, s0
	v_dual_mov_b32 v4, 0 :: v_dual_add_nc_u32 v3, 2, v45
	s_delay_alu instid0(VALU_DEP_1)
	v_cmp_gt_u32_e32 vcc_lo, s23, v3
	v_mov_b32_e32 v3, 0
	s_and_saveexec_b32 s0, vcc_lo
	s_cbranch_execz .LBB1505_13
; %bb.12:
	v_add_nc_u32_e32 v3, s5, v26
	v_add_nc_u32_e32 v5, s7, v26
	s_delay_alu instid0(VALU_DEP_2) | instskip(NEXT) | instid1(VALU_DEP_2)
	v_mul_lo_u32 v3, v3, s4
	v_mul_lo_u32 v5, v5, s6
	s_delay_alu instid0(VALU_DEP_1) | instskip(NEXT) | instid1(VALU_DEP_1)
	v_sub_nc_u32_e32 v3, v3, v5
	v_cmp_lt_u32_e32 vcc_lo, s3, v3
	s_wait_alu 0xfffd
	v_cndmask_b32_e64 v3, 0, 1, vcc_lo
.LBB1505_13:
	s_or_b32 exec_lo, exec_lo, s0
	v_add_nc_u32_e32 v5, 3, v45
	s_mov_b32 s0, exec_lo
	s_delay_alu instid0(VALU_DEP_1)
	v_cmpx_gt_u32_e64 s23, v5
	s_cbranch_execz .LBB1505_15
; %bb.14:
	v_add_nc_u32_e32 v4, s5, v27
	v_add_nc_u32_e32 v5, s7, v27
	s_delay_alu instid0(VALU_DEP_2) | instskip(NEXT) | instid1(VALU_DEP_2)
	v_mul_lo_u32 v4, v4, s4
	v_mul_lo_u32 v5, v5, s6
	s_delay_alu instid0(VALU_DEP_1) | instskip(NEXT) | instid1(VALU_DEP_1)
	v_sub_nc_u32_e32 v4, v4, v5
	v_cmp_lt_u32_e32 vcc_lo, s3, v4
	s_wait_alu 0xfffd
	v_cndmask_b32_e64 v4, 0, 1, vcc_lo
.LBB1505_15:
	s_or_b32 exec_lo, exec_lo, s0
	v_dual_mov_b32 v6, 0 :: v_dual_add_nc_u32 v5, 4, v45
	s_delay_alu instid0(VALU_DEP_1)
	v_cmp_gt_u32_e32 vcc_lo, s23, v5
	v_mov_b32_e32 v5, 0
	s_and_saveexec_b32 s0, vcc_lo
	;; [unrolled: 37-line block ×5, first 2 shown]
	s_cbranch_execz .LBB1505_29
; %bb.28:
	v_add_nc_u32_e32 v11, s5, v18
	v_add_nc_u32_e32 v13, s7, v18
	s_delay_alu instid0(VALU_DEP_2) | instskip(NEXT) | instid1(VALU_DEP_2)
	v_mul_lo_u32 v11, v11, s4
	v_mul_lo_u32 v13, v13, s6
	s_delay_alu instid0(VALU_DEP_1) | instskip(NEXT) | instid1(VALU_DEP_1)
	v_sub_nc_u32_e32 v11, v11, v13
	v_cmp_lt_u32_e32 vcc_lo, s3, v11
	s_wait_alu 0xfffd
	v_cndmask_b32_e64 v11, 0, 1, vcc_lo
.LBB1505_29:
	s_or_b32 exec_lo, exec_lo, s0
	v_add_nc_u32_e32 v13, 11, v45
	s_mov_b32 s0, exec_lo
	s_delay_alu instid0(VALU_DEP_1)
	v_cmpx_gt_u32_e64 s23, v13
	s_cbranch_execz .LBB1505_31
; %bb.30:
	v_add_nc_u32_e32 v12, s5, v19
	v_add_nc_u32_e32 v13, s7, v19
	s_delay_alu instid0(VALU_DEP_2) | instskip(NEXT) | instid1(VALU_DEP_2)
	v_mul_lo_u32 v12, v12, s4
	v_mul_lo_u32 v13, v13, s6
	s_delay_alu instid0(VALU_DEP_1) | instskip(NEXT) | instid1(VALU_DEP_1)
	v_sub_nc_u32_e32 v12, v12, v13
	v_cmp_lt_u32_e32 vcc_lo, s3, v12
	s_wait_alu 0xfffd
	v_cndmask_b32_e64 v12, 0, 1, vcc_lo
.LBB1505_31:
	s_or_b32 exec_lo, exec_lo, s0
	v_dual_mov_b32 v46, 0 :: v_dual_add_nc_u32 v13, 12, v45
	s_mov_b32 s0, exec_lo
	s_delay_alu instid0(VALU_DEP_1)
	v_cmpx_gt_u32_e64 s23, v13
	s_cbranch_execz .LBB1505_33
; %bb.32:
	v_add_nc_u32_e32 v13, s5, v44
	v_add_nc_u32_e32 v14, s7, v44
	s_delay_alu instid0(VALU_DEP_2) | instskip(NEXT) | instid1(VALU_DEP_2)
	v_mul_lo_u32 v13, v13, s4
	v_mul_lo_u32 v14, v14, s6
	s_delay_alu instid0(VALU_DEP_1) | instskip(NEXT) | instid1(VALU_DEP_1)
	v_sub_nc_u32_e32 v13, v13, v14
	v_cmp_lt_u32_e32 vcc_lo, s3, v13
	s_wait_alu 0xfffd
	v_cndmask_b32_e64 v46, 0, 1, vcc_lo
.LBB1505_33:
	s_or_b32 exec_lo, exec_lo, s0
	v_lshlrev_b16 v2, 8, v2
	v_lshlrev_b16 v4, 8, v4
	;; [unrolled: 1-line block ×5, first 2 shown]
	v_or_b32_e32 v1, v1, v2
	v_lshlrev_b16 v2, 8, v12
	v_or_b32_e32 v3, v3, v4
	v_or_b32_e32 v4, v5, v6
	;; [unrolled: 1-line block ×5, first 2 shown]
	v_and_b32_e32 v1, 0xffff, v1
	v_lshlrev_b32_e32 v3, 16, v3
	v_and_b32_e32 v4, 0xffff, v4
	v_lshlrev_b32_e32 v5, 16, v5
	;; [unrolled: 2-line block ×3, first 2 shown]
	v_or_b32_e32 v51, v1, v3
	s_delay_alu instid0(VALU_DEP_4) | instskip(NEXT) | instid1(VALU_DEP_3)
	v_or_b32_e32 v49, v4, v5
	v_or_b32_e32 v47, v6, v2
.LBB1505_34:
	s_delay_alu instid0(VALU_DEP_3)
	v_and_b32_e32 v53, 0xff, v51
	v_bfe_u32 v54, v51, 8, 8
	v_bfe_u32 v55, v51, 16, 8
	v_lshrrev_b32_e32 v52, 24, v51
	v_and_b32_e32 v56, 0xff, v49
	v_bfe_u32 v57, v49, 8, 8
	v_bfe_u32 v58, v49, 16, 8
	v_add3_u32 v1, v54, v53, v55
	v_lshrrev_b32_e32 v50, 24, v49
	v_and_b32_e32 v59, 0xff, v47
	v_bfe_u32 v60, v47, 8, 8
	v_mbcnt_lo_u32_b32 v62, -1, 0
	v_add3_u32 v1, v1, v52, v56
	v_bfe_u32 v61, v47, 16, 8
	v_lshrrev_b32_e32 v48, 24, v47
	v_and_b32_e32 v2, 0xff, v46
	v_and_b32_e32 v3, 15, v62
	v_add3_u32 v1, v1, v57, v58
	v_or_b32_e32 v4, 31, v0
	v_and_b32_e32 v5, 16, v62
	v_lshrrev_b32_e32 v63, 5, v0
	v_cmp_eq_u32_e64 s5, 0, v3
	v_add3_u32 v1, v1, v50, v59
	v_cmp_lt_u32_e64 s4, 1, v3
	v_cmp_lt_u32_e64 s3, 3, v3
	;; [unrolled: 1-line block ×3, first 2 shown]
	v_cmp_eq_u32_e64 s1, 0, v5
	v_add3_u32 v1, v1, v60, v61
	v_cmp_eq_u32_e64 s0, v0, v4
	s_cmp_lg_u32 ttmp9, 0
	s_mov_b32 s6, -1
	v_add3_u32 v64, v1, v48, v2
	s_cbranch_scc0 .LBB1505_55
; %bb.35:
	s_delay_alu instid0(VALU_DEP_1) | instskip(SKIP_1) | instid1(VALU_DEP_1)
	v_mov_b32_dpp v1, v64 row_shr:1 row_mask:0xf bank_mask:0xf
	s_wait_alu 0xf1ff
	v_cndmask_b32_e64 v1, v1, 0, s5
	s_delay_alu instid0(VALU_DEP_1) | instskip(NEXT) | instid1(VALU_DEP_1)
	v_add_nc_u32_e32 v1, v1, v64
	v_mov_b32_dpp v2, v1 row_shr:2 row_mask:0xf bank_mask:0xf
	s_delay_alu instid0(VALU_DEP_1) | instskip(NEXT) | instid1(VALU_DEP_1)
	v_cndmask_b32_e64 v2, 0, v2, s4
	v_add_nc_u32_e32 v1, v1, v2
	s_delay_alu instid0(VALU_DEP_1) | instskip(NEXT) | instid1(VALU_DEP_1)
	v_mov_b32_dpp v2, v1 row_shr:4 row_mask:0xf bank_mask:0xf
	v_cndmask_b32_e64 v2, 0, v2, s3
	s_delay_alu instid0(VALU_DEP_1) | instskip(NEXT) | instid1(VALU_DEP_1)
	v_add_nc_u32_e32 v1, v1, v2
	v_mov_b32_dpp v2, v1 row_shr:8 row_mask:0xf bank_mask:0xf
	s_delay_alu instid0(VALU_DEP_1) | instskip(NEXT) | instid1(VALU_DEP_1)
	v_cndmask_b32_e64 v2, 0, v2, s2
	v_add_nc_u32_e32 v1, v1, v2
	ds_swizzle_b32 v2, v1 offset:swizzle(BROADCAST,32,15)
	s_wait_dscnt 0x0
	v_cndmask_b32_e64 v2, v2, 0, s1
	s_delay_alu instid0(VALU_DEP_1)
	v_add_nc_u32_e32 v1, v1, v2
	s_and_saveexec_b32 s6, s0
; %bb.36:
	v_lshlrev_b32_e32 v2, 2, v63
	ds_store_b32 v2, v1
; %bb.37:
	s_wait_alu 0xfffe
	s_or_b32 exec_lo, exec_lo, s6
	s_delay_alu instid0(SALU_CYCLE_1)
	s_mov_b32 s6, exec_lo
	s_wait_loadcnt_dscnt 0x0
	s_barrier_signal -1
	s_barrier_wait -1
	global_inv scope:SCOPE_SE
	v_cmpx_gt_u32_e32 8, v0
	s_cbranch_execz .LBB1505_39
; %bb.38:
	ds_load_b32 v2, v42
	s_wait_dscnt 0x0
	v_mov_b32_dpp v4, v2 row_shr:1 row_mask:0xf bank_mask:0xf
	v_and_b32_e32 v3, 7, v62
	s_delay_alu instid0(VALU_DEP_1) | instskip(SKIP_1) | instid1(VALU_DEP_3)
	v_cmp_ne_u32_e32 vcc_lo, 0, v3
	s_wait_alu 0xfffd
	v_cndmask_b32_e32 v4, 0, v4, vcc_lo
	v_cmp_lt_u32_e32 vcc_lo, 1, v3
	s_delay_alu instid0(VALU_DEP_2) | instskip(NEXT) | instid1(VALU_DEP_1)
	v_add_nc_u32_e32 v2, v4, v2
	v_mov_b32_dpp v4, v2 row_shr:2 row_mask:0xf bank_mask:0xf
	s_wait_alu 0xfffd
	s_delay_alu instid0(VALU_DEP_1) | instskip(SKIP_1) | instid1(VALU_DEP_2)
	v_cndmask_b32_e32 v4, 0, v4, vcc_lo
	v_cmp_lt_u32_e32 vcc_lo, 3, v3
	v_add_nc_u32_e32 v2, v2, v4
	s_delay_alu instid0(VALU_DEP_1) | instskip(SKIP_1) | instid1(VALU_DEP_1)
	v_mov_b32_dpp v4, v2 row_shr:4 row_mask:0xf bank_mask:0xf
	s_wait_alu 0xfffd
	v_cndmask_b32_e32 v3, 0, v4, vcc_lo
	s_delay_alu instid0(VALU_DEP_1)
	v_add_nc_u32_e32 v2, v2, v3
	ds_store_b32 v42, v2
.LBB1505_39:
	s_wait_alu 0xfffe
	s_or_b32 exec_lo, exec_lo, s6
	s_delay_alu instid0(SALU_CYCLE_1)
	s_mov_b32 s7, exec_lo
	v_cmp_gt_u32_e32 vcc_lo, 32, v0
	s_wait_loadcnt_dscnt 0x0
	s_barrier_signal -1
	s_barrier_wait -1
	global_inv scope:SCOPE_SE
                                        ; implicit-def: $vgpr9
	v_cmpx_lt_u32_e32 31, v0
	s_cbranch_execz .LBB1505_41
; %bb.40:
	v_lshl_add_u32 v2, v63, 2, -4
	ds_load_b32 v9, v2
	s_wait_dscnt 0x0
	v_add_nc_u32_e32 v1, v9, v1
.LBB1505_41:
	s_wait_alu 0xfffe
	s_or_b32 exec_lo, exec_lo, s7
	v_sub_co_u32 v2, s6, v62, 1
	s_delay_alu instid0(VALU_DEP_1) | instskip(SKIP_1) | instid1(VALU_DEP_1)
	v_cmp_gt_i32_e64 s7, 0, v2
	s_wait_alu 0xf1ff
	v_cndmask_b32_e64 v2, v2, v62, s7
	s_delay_alu instid0(VALU_DEP_1)
	v_lshlrev_b32_e32 v2, 2, v2
	ds_bpermute_b32 v10, v2, v1
	s_and_saveexec_b32 s7, vcc_lo
	s_cbranch_execz .LBB1505_60
; %bb.42:
	v_mov_b32_e32 v5, 0
	ds_load_b32 v1, v5 offset:28
	s_and_saveexec_b32 s17, s6
	s_cbranch_execz .LBB1505_44
; %bb.43:
	s_add_co_i32 s24, ttmp9, 32
	s_mov_b32 s25, 0
	v_mov_b32_e32 v2, 1
	s_lshl_b64 s[24:25], s[24:25], 3
	s_wait_kmcnt 0x0
	s_add_nc_u64 s[24:25], s[20:21], s[24:25]
	s_wait_dscnt 0x0
	global_store_b64 v5, v[1:2], s[24:25] scope:SCOPE_DEV
.LBB1505_44:
	s_or_b32 exec_lo, exec_lo, s17
	v_xad_u32 v3, v62, -1, ttmp9
	s_mov_b32 s24, 0
	s_mov_b32 s17, exec_lo
	s_delay_alu instid0(VALU_DEP_1) | instskip(NEXT) | instid1(VALU_DEP_1)
	v_add_nc_u32_e32 v4, 32, v3
	v_lshlrev_b64_e32 v[4:5], 3, v[4:5]
	s_wait_kmcnt 0x0
	s_delay_alu instid0(VALU_DEP_1) | instskip(SKIP_1) | instid1(VALU_DEP_2)
	v_add_co_u32 v7, vcc_lo, s20, v4
	s_wait_alu 0xfffd
	v_add_co_ci_u32_e64 v8, null, s21, v5, vcc_lo
	global_load_b64 v[5:6], v[7:8], off scope:SCOPE_DEV
	s_wait_loadcnt 0x0
	v_and_b32_e32 v2, 0xff, v6
	s_delay_alu instid0(VALU_DEP_1)
	v_cmpx_eq_u16_e32 0, v2
	s_cbranch_execz .LBB1505_47
.LBB1505_45:                            ; =>This Inner Loop Header: Depth=1
	global_load_b64 v[5:6], v[7:8], off scope:SCOPE_DEV
	s_wait_loadcnt 0x0
	v_and_b32_e32 v2, 0xff, v6
	s_delay_alu instid0(VALU_DEP_1) | instskip(SKIP_1) | instid1(SALU_CYCLE_1)
	v_cmp_ne_u16_e32 vcc_lo, 0, v2
	s_or_b32 s24, vcc_lo, s24
	s_and_not1_b32 exec_lo, exec_lo, s24
	s_cbranch_execnz .LBB1505_45
; %bb.46:
	s_or_b32 exec_lo, exec_lo, s24
.LBB1505_47:
	s_delay_alu instid0(SALU_CYCLE_1)
	s_or_b32 exec_lo, exec_lo, s17
	v_cmp_ne_u32_e32 vcc_lo, 31, v62
	v_lshlrev_b32_e64 v12, v62, -1
	v_add_nc_u32_e32 v14, 2, v62
	v_add_nc_u32_e32 v16, 4, v62
	;; [unrolled: 1-line block ×3, first 2 shown]
	s_wait_alu 0xfffd
	v_add_co_ci_u32_e64 v2, null, 0, v62, vcc_lo
	v_lshl_or_b32 v66, v62, 2, 64
	v_add_nc_u32_e32 v67, 16, v62
	s_delay_alu instid0(VALU_DEP_3)
	v_lshlrev_b32_e32 v11, 2, v2
	v_and_b32_e32 v2, 0xff, v6
	ds_bpermute_b32 v4, v11, v5
	v_cmp_eq_u16_e32 vcc_lo, 2, v2
	s_wait_alu 0xfffd
	v_and_or_b32 v2, vcc_lo, v12, 0x80000000
	v_cmp_gt_u32_e32 vcc_lo, 30, v62
	s_delay_alu instid0(VALU_DEP_2) | instskip(SKIP_2) | instid1(VALU_DEP_2)
	v_ctz_i32_b32_e32 v2, v2
	s_wait_alu 0xfffd
	v_cndmask_b32_e64 v7, 0, 2, vcc_lo
	v_cmp_lt_u32_e32 vcc_lo, v62, v2
	s_delay_alu instid0(VALU_DEP_2) | instskip(SKIP_4) | instid1(VALU_DEP_2)
	v_add_lshl_u32 v13, v7, v62, 2
	s_wait_dscnt 0x0
	s_wait_alu 0xfffd
	v_cndmask_b32_e32 v4, 0, v4, vcc_lo
	v_cmp_gt_u32_e32 vcc_lo, 28, v62
	v_add_nc_u32_e32 v4, v4, v5
	s_wait_alu 0xfffd
	v_cndmask_b32_e64 v7, 0, 4, vcc_lo
	v_cmp_le_u32_e32 vcc_lo, v14, v2
	ds_bpermute_b32 v5, v13, v4
	v_add_lshl_u32 v15, v7, v62, 2
	s_wait_dscnt 0x0
	s_wait_alu 0xfffd
	v_cndmask_b32_e32 v5, 0, v5, vcc_lo
	v_cmp_gt_u32_e32 vcc_lo, 24, v62
	s_delay_alu instid0(VALU_DEP_2)
	v_add_nc_u32_e32 v4, v4, v5
	s_wait_alu 0xfffd
	v_cndmask_b32_e64 v7, 0, 8, vcc_lo
	v_cmp_le_u32_e32 vcc_lo, v16, v2
	ds_bpermute_b32 v5, v15, v4
	v_add_lshl_u32 v17, v7, v62, 2
	s_wait_dscnt 0x0
	s_wait_alu 0xfffd
	v_cndmask_b32_e32 v5, 0, v5, vcc_lo
	v_cmp_le_u32_e32 vcc_lo, v65, v2
	s_delay_alu instid0(VALU_DEP_2)
	v_add_nc_u32_e32 v4, v4, v5
	ds_bpermute_b32 v5, v17, v4
	s_wait_dscnt 0x0
	s_wait_alu 0xfffd
	v_cndmask_b32_e32 v5, 0, v5, vcc_lo
	v_cmp_le_u32_e32 vcc_lo, v67, v2
	s_delay_alu instid0(VALU_DEP_2) | instskip(SKIP_4) | instid1(VALU_DEP_1)
	v_add_nc_u32_e32 v4, v4, v5
	ds_bpermute_b32 v5, v66, v4
	s_wait_dscnt 0x0
	s_wait_alu 0xfffd
	v_cndmask_b32_e32 v2, 0, v5, vcc_lo
	v_dual_mov_b32 v4, 0 :: v_dual_add_nc_u32 v5, v4, v2
	s_branch .LBB1505_51
.LBB1505_48:                            ;   in Loop: Header=BB1505_51 Depth=1
	s_or_b32 exec_lo, exec_lo, s24
.LBB1505_49:                            ;   in Loop: Header=BB1505_51 Depth=1
	s_delay_alu instid0(SALU_CYCLE_1) | instskip(SKIP_4) | instid1(VALU_DEP_2)
	s_or_b32 exec_lo, exec_lo, s17
	ds_bpermute_b32 v8, v11, v5
	v_and_b32_e32 v7, 0xff, v6
	v_subrev_nc_u32_e32 v3, 32, v3
	s_mov_b32 s17, 0
	v_cmp_eq_u16_e32 vcc_lo, 2, v7
	s_wait_alu 0xfffd
	v_and_or_b32 v7, vcc_lo, v12, 0x80000000
	s_delay_alu instid0(VALU_DEP_1) | instskip(NEXT) | instid1(VALU_DEP_1)
	v_ctz_i32_b32_e32 v7, v7
	v_cmp_lt_u32_e32 vcc_lo, v62, v7
	s_wait_dscnt 0x0
	s_wait_alu 0xfffd
	v_cndmask_b32_e32 v8, 0, v8, vcc_lo
	v_cmp_le_u32_e32 vcc_lo, v14, v7
	s_delay_alu instid0(VALU_DEP_2)
	v_add_nc_u32_e32 v5, v8, v5
	ds_bpermute_b32 v8, v13, v5
	s_wait_dscnt 0x0
	s_wait_alu 0xfffd
	v_cndmask_b32_e32 v8, 0, v8, vcc_lo
	v_cmp_le_u32_e32 vcc_lo, v16, v7
	s_delay_alu instid0(VALU_DEP_2)
	v_add_nc_u32_e32 v5, v5, v8
	ds_bpermute_b32 v8, v15, v5
	;; [unrolled: 7-line block ×3, first 2 shown]
	s_wait_dscnt 0x0
	s_wait_alu 0xfffd
	v_cndmask_b32_e32 v8, 0, v8, vcc_lo
	v_cmp_le_u32_e32 vcc_lo, v67, v7
	s_delay_alu instid0(VALU_DEP_2) | instskip(SKIP_4) | instid1(VALU_DEP_1)
	v_add_nc_u32_e32 v5, v5, v8
	ds_bpermute_b32 v8, v66, v5
	s_wait_dscnt 0x0
	s_wait_alu 0xfffd
	v_cndmask_b32_e32 v7, 0, v8, vcc_lo
	v_add3_u32 v5, v7, v2, v5
.LBB1505_50:                            ;   in Loop: Header=BB1505_51 Depth=1
	s_and_b32 vcc_lo, exec_lo, s17
	s_wait_alu 0xfffe
	s_cbranch_vccnz .LBB1505_56
.LBB1505_51:                            ; =>This Loop Header: Depth=1
                                        ;     Child Loop BB1505_54 Depth 2
	v_and_b32_e32 v2, 0xff, v6
	s_mov_b32 s17, -1
                                        ; implicit-def: $vgpr6
	s_delay_alu instid0(VALU_DEP_1)
	v_cmp_ne_u16_e32 vcc_lo, 2, v2
	v_mov_b32_e32 v2, v5
                                        ; implicit-def: $vgpr5
	s_cmp_lg_u32 vcc_lo, exec_lo
	s_cbranch_scc1 .LBB1505_50
; %bb.52:                               ;   in Loop: Header=BB1505_51 Depth=1
	v_lshlrev_b64_e32 v[5:6], 3, v[3:4]
	s_mov_b32 s17, exec_lo
	s_delay_alu instid0(VALU_DEP_1) | instskip(SKIP_1) | instid1(VALU_DEP_2)
	v_add_co_u32 v7, vcc_lo, s20, v5
	s_wait_alu 0xfffd
	v_add_co_ci_u32_e64 v8, null, s21, v6, vcc_lo
	global_load_b64 v[5:6], v[7:8], off scope:SCOPE_DEV
	s_wait_loadcnt 0x0
	v_and_b32_e32 v68, 0xff, v6
	s_delay_alu instid0(VALU_DEP_1)
	v_cmpx_eq_u16_e32 0, v68
	s_cbranch_execz .LBB1505_49
; %bb.53:                               ;   in Loop: Header=BB1505_51 Depth=1
	s_mov_b32 s24, 0
.LBB1505_54:                            ;   Parent Loop BB1505_51 Depth=1
                                        ; =>  This Inner Loop Header: Depth=2
	global_load_b64 v[5:6], v[7:8], off scope:SCOPE_DEV
	s_wait_loadcnt 0x0
	v_and_b32_e32 v68, 0xff, v6
	s_delay_alu instid0(VALU_DEP_1) | instskip(SKIP_1) | instid1(SALU_CYCLE_1)
	v_cmp_ne_u16_e32 vcc_lo, 0, v68
	s_or_b32 s24, vcc_lo, s24
	s_and_not1_b32 exec_lo, exec_lo, s24
	s_cbranch_execnz .LBB1505_54
	s_branch .LBB1505_48
.LBB1505_55:
                                        ; implicit-def: $vgpr17
                                        ; implicit-def: $vgpr1_vgpr2_vgpr3_vgpr4_vgpr5_vgpr6_vgpr7_vgpr8_vgpr9_vgpr10_vgpr11_vgpr12_vgpr13_vgpr14_vgpr15_vgpr16
	s_wait_alu 0xfffe
	s_and_b32 vcc_lo, exec_lo, s6
	s_wait_alu 0xfffe
	s_cbranch_vccnz .LBB1505_61
	s_branch .LBB1505_70
.LBB1505_56:
	s_and_saveexec_b32 s17, s6
	s_cbranch_execz .LBB1505_58
; %bb.57:
	s_add_co_i32 s24, ttmp9, 32
	s_mov_b32 s25, 0
	v_dual_mov_b32 v4, 2 :: v_dual_add_nc_u32 v3, v2, v1
	v_mov_b32_e32 v5, 0
	s_lshl_b64 s[24:25], s[24:25], 3
	s_delay_alu instid0(SALU_CYCLE_1)
	s_add_nc_u64 s[24:25], s[20:21], s[24:25]
	global_store_b64 v5, v[3:4], s[24:25] scope:SCOPE_DEV
	ds_store_b64 v5, v[1:2] offset:13312
.LBB1505_58:
	s_or_b32 exec_lo, exec_lo, s17
	v_cmp_eq_u32_e32 vcc_lo, 0, v0
	s_and_b32 exec_lo, exec_lo, vcc_lo
; %bb.59:
	v_mov_b32_e32 v1, 0
	ds_store_b32 v1, v2 offset:28
.LBB1505_60:
	s_wait_alu 0xfffe
	s_or_b32 exec_lo, exec_lo, s7
	s_wait_dscnt 0x0
	v_cndmask_b32_e64 v2, v10, v9, s6
	v_cmp_ne_u32_e32 vcc_lo, 0, v0
	v_mov_b32_e32 v11, 0
	s_wait_loadcnt 0x0
	s_wait_storecnt 0x0
	s_barrier_signal -1
	s_barrier_wait -1
	global_inv scope:SCOPE_SE
	s_wait_alu 0xfffd
	v_cndmask_b32_e32 v2, 0, v2, vcc_lo
	ds_load_b32 v1, v11 offset:28
	s_wait_loadcnt_dscnt 0x0
	s_barrier_signal -1
	s_barrier_wait -1
	global_inv scope:SCOPE_SE
	ds_load_b64 v[16:17], v11 offset:13312
	v_add_nc_u32_e32 v1, v1, v2
	s_delay_alu instid0(VALU_DEP_1) | instskip(NEXT) | instid1(VALU_DEP_1)
	v_add_nc_u32_e32 v2, v1, v53
	v_add_nc_u32_e32 v3, v2, v54
	s_delay_alu instid0(VALU_DEP_1) | instskip(NEXT) | instid1(VALU_DEP_1)
	v_add_nc_u32_e32 v4, v3, v55
	;; [unrolled: 3-line block ×6, first 2 shown]
	v_add_nc_u32_e32 v13, v12, v48
	s_branch .LBB1505_70
.LBB1505_61:
	v_mov_b32_dpp v1, v64 row_shr:1 row_mask:0xf bank_mask:0xf
	s_delay_alu instid0(VALU_DEP_1) | instskip(NEXT) | instid1(VALU_DEP_1)
	v_cndmask_b32_e64 v1, v1, 0, s5
	v_add_nc_u32_e32 v1, v1, v64
	s_delay_alu instid0(VALU_DEP_1) | instskip(NEXT) | instid1(VALU_DEP_1)
	v_mov_b32_dpp v2, v1 row_shr:2 row_mask:0xf bank_mask:0xf
	v_cndmask_b32_e64 v2, 0, v2, s4
	s_delay_alu instid0(VALU_DEP_1) | instskip(NEXT) | instid1(VALU_DEP_1)
	v_add_nc_u32_e32 v1, v1, v2
	v_mov_b32_dpp v2, v1 row_shr:4 row_mask:0xf bank_mask:0xf
	s_delay_alu instid0(VALU_DEP_1) | instskip(NEXT) | instid1(VALU_DEP_1)
	v_cndmask_b32_e64 v2, 0, v2, s3
	v_add_nc_u32_e32 v1, v1, v2
	s_delay_alu instid0(VALU_DEP_1) | instskip(NEXT) | instid1(VALU_DEP_1)
	v_mov_b32_dpp v2, v1 row_shr:8 row_mask:0xf bank_mask:0xf
	v_cndmask_b32_e64 v2, 0, v2, s2
	s_delay_alu instid0(VALU_DEP_1) | instskip(SKIP_3) | instid1(VALU_DEP_1)
	v_add_nc_u32_e32 v1, v1, v2
	ds_swizzle_b32 v2, v1 offset:swizzle(BROADCAST,32,15)
	s_wait_dscnt 0x0
	v_cndmask_b32_e64 v2, v2, 0, s1
	v_add_nc_u32_e32 v1, v1, v2
	s_and_saveexec_b32 s1, s0
; %bb.62:
	v_lshlrev_b32_e32 v2, 2, v63
	ds_store_b32 v2, v1
; %bb.63:
	s_wait_alu 0xfffe
	s_or_b32 exec_lo, exec_lo, s1
	s_delay_alu instid0(SALU_CYCLE_1)
	s_mov_b32 s0, exec_lo
	s_wait_loadcnt_dscnt 0x0
	s_barrier_signal -1
	s_barrier_wait -1
	global_inv scope:SCOPE_SE
	v_cmpx_gt_u32_e32 8, v0
	s_cbranch_execz .LBB1505_65
; %bb.64:
	ds_load_b32 v2, v42
	s_wait_dscnt 0x0
	v_mov_b32_dpp v4, v2 row_shr:1 row_mask:0xf bank_mask:0xf
	v_and_b32_e32 v3, 7, v62
	s_delay_alu instid0(VALU_DEP_1) | instskip(SKIP_1) | instid1(VALU_DEP_3)
	v_cmp_ne_u32_e32 vcc_lo, 0, v3
	s_wait_alu 0xfffd
	v_cndmask_b32_e32 v4, 0, v4, vcc_lo
	v_cmp_lt_u32_e32 vcc_lo, 1, v3
	s_delay_alu instid0(VALU_DEP_2) | instskip(NEXT) | instid1(VALU_DEP_1)
	v_add_nc_u32_e32 v2, v4, v2
	v_mov_b32_dpp v4, v2 row_shr:2 row_mask:0xf bank_mask:0xf
	s_wait_alu 0xfffd
	s_delay_alu instid0(VALU_DEP_1) | instskip(SKIP_1) | instid1(VALU_DEP_2)
	v_cndmask_b32_e32 v4, 0, v4, vcc_lo
	v_cmp_lt_u32_e32 vcc_lo, 3, v3
	v_add_nc_u32_e32 v2, v2, v4
	s_delay_alu instid0(VALU_DEP_1) | instskip(SKIP_1) | instid1(VALU_DEP_1)
	v_mov_b32_dpp v4, v2 row_shr:4 row_mask:0xf bank_mask:0xf
	s_wait_alu 0xfffd
	v_cndmask_b32_e32 v3, 0, v4, vcc_lo
	s_delay_alu instid0(VALU_DEP_1)
	v_add_nc_u32_e32 v2, v2, v3
	ds_store_b32 v42, v2
.LBB1505_65:
	s_wait_alu 0xfffe
	s_or_b32 exec_lo, exec_lo, s0
	v_dual_mov_b32 v3, 0 :: v_dual_mov_b32 v2, 0
	s_mov_b32 s0, exec_lo
	s_wait_loadcnt_dscnt 0x0
	s_barrier_signal -1
	s_barrier_wait -1
	global_inv scope:SCOPE_SE
	v_cmpx_lt_u32_e32 31, v0
; %bb.66:
	v_lshl_add_u32 v2, v63, 2, -4
	ds_load_b32 v2, v2
; %bb.67:
	s_wait_alu 0xfffe
	s_or_b32 exec_lo, exec_lo, s0
	v_sub_co_u32 v4, vcc_lo, v62, 1
	s_wait_dscnt 0x0
	v_add_nc_u32_e32 v1, v2, v1
	ds_load_b32 v16, v3 offset:28
	v_cmp_gt_i32_e64 s0, 0, v4
	s_wait_alu 0xf1ff
	s_delay_alu instid0(VALU_DEP_1) | instskip(SKIP_1) | instid1(VALU_DEP_2)
	v_cndmask_b32_e64 v4, v4, v62, s0
	v_cmp_eq_u32_e64 s0, 0, v0
	v_lshlrev_b32_e32 v4, 2, v4
	ds_bpermute_b32 v1, v4, v1
	s_and_saveexec_b32 s1, s0
	s_cbranch_execz .LBB1505_69
; %bb.68:
	v_mov_b32_e32 v3, 0
	v_mov_b32_e32 v17, 2
	s_wait_dscnt 0x1
	s_wait_kmcnt 0x0
	global_store_b64 v3, v[16:17], s[20:21] offset:256 scope:SCOPE_DEV
.LBB1505_69:
	s_wait_alu 0xfffe
	s_or_b32 exec_lo, exec_lo, s1
	s_wait_dscnt 0x0
	s_wait_alu 0xfffd
	v_cndmask_b32_e32 v1, v1, v2, vcc_lo
	s_wait_loadcnt 0x0
	s_wait_storecnt 0x0
	s_barrier_signal -1
	s_barrier_wait -1
	global_inv scope:SCOPE_SE
	v_cndmask_b32_e64 v1, v1, 0, s0
	s_delay_alu instid0(VALU_DEP_1) | instskip(NEXT) | instid1(VALU_DEP_1)
	v_dual_mov_b32 v17, 0 :: v_dual_add_nc_u32 v2, v1, v53
	v_add_nc_u32_e32 v3, v2, v54
	s_delay_alu instid0(VALU_DEP_1) | instskip(NEXT) | instid1(VALU_DEP_1)
	v_add_nc_u32_e32 v4, v3, v55
	v_add_nc_u32_e32 v5, v4, v52
	s_delay_alu instid0(VALU_DEP_1) | instskip(NEXT) | instid1(VALU_DEP_1)
	v_add_nc_u32_e32 v6, v5, v56
	;; [unrolled: 3-line block ×5, first 2 shown]
	v_add_nc_u32_e32 v13, v12, v48
.LBB1505_70:
	v_lshrrev_b32_e32 v56, 8, v51
	v_lshrrev_b32_e32 v55, 16, v51
	s_wait_dscnt 0x0
	v_sub_nc_u32_e32 v1, v1, v17
	v_and_b32_e32 v51, 1, v51
	v_sub_nc_u32_e32 v3, v3, v17
	v_add_nc_u32_e32 v45, v16, v45
	v_sub_nc_u32_e32 v2, v2, v17
	v_sub_nc_u32_e32 v4, v4, v17
	v_cmp_eq_u32_e32 vcc_lo, 1, v51
	v_and_b32_e32 v51, 1, v55
	v_sub_nc_u32_e32 v57, v45, v1
	v_and_b32_e32 v56, 1, v56
	v_sub_nc_u32_e32 v55, v45, v2
	v_lshrrev_b32_e32 v54, 8, v49
	v_lshrrev_b32_e32 v53, 16, v49
	s_wait_alu 0xfffd
	v_cndmask_b32_e32 v1, v57, v1, vcc_lo
	v_sub_nc_u32_e32 v57, v45, v3
	v_add_nc_u32_e32 v55, 1, v55
	v_cmp_eq_u32_e32 vcc_lo, 1, v56
	v_and_b32_e32 v52, 1, v52
	v_lshlrev_b32_e32 v1, 2, v1
	v_add_nc_u32_e32 v57, 2, v57
	v_lshrrev_b32_e32 v15, 8, v47
	v_lshrrev_b32_e32 v14, 16, v47
	ds_store_b32 v1, v28
	s_wait_alu 0xfffd
	v_cndmask_b32_e32 v1, v55, v2, vcc_lo
	v_cmp_eq_u32_e32 vcc_lo, 1, v51
	s_wait_alu 0xfffd
	s_delay_alu instid0(VALU_DEP_2)
	v_dual_cndmask_b32 v2, v57, v3 :: v_dual_lshlrev_b32 v1, 2, v1
	v_sub_nc_u32_e32 v58, v45, v4
	v_cmp_eq_u32_e32 vcc_lo, 1, v52
	ds_store_b32 v1, v29
	v_lshlrev_b32_e32 v2, 2, v2
	v_add_nc_u32_e32 v58, 3, v58
	s_wait_alu 0xfffd
	s_delay_alu instid0(VALU_DEP_1) | instskip(SKIP_2) | instid1(VALU_DEP_3)
	v_cndmask_b32_e32 v3, v58, v4, vcc_lo
	v_sub_nc_u32_e32 v4, v5, v17
	v_sub_nc_u32_e32 v5, v6, v17
	v_lshlrev_b32_e32 v3, 2, v3
	s_delay_alu instid0(VALU_DEP_3) | instskip(NEXT) | instid1(VALU_DEP_3)
	v_sub_nc_u32_e32 v1, v45, v4
	v_sub_nc_u32_e32 v6, v45, v5
	ds_store_b32 v2, v26
	ds_store_b32 v3, v27
	v_and_b32_e32 v2, 1, v49
	v_add_nc_u32_e32 v1, 4, v1
	v_add_nc_u32_e32 v3, 5, v6
	v_sub_nc_u32_e32 v6, v7, v17
	v_and_b32_e32 v7, 1, v54
	v_cmp_eq_u32_e32 vcc_lo, 1, v2
	v_sub_nc_u32_e32 v2, v8, v17
	s_wait_alu 0xfffd
	v_dual_cndmask_b32 v1, v1, v4 :: v_dual_and_b32 v8, 1, v50
	v_sub_nc_u32_e32 v4, v45, v6
	v_cmp_eq_u32_e32 vcc_lo, 1, v7
	v_and_b32_e32 v7, 1, v53
	s_delay_alu instid0(VALU_DEP_4)
	v_lshlrev_b32_e32 v1, 2, v1
	s_wait_alu 0xfffd
	v_dual_cndmask_b32 v3, v3, v5 :: v_dual_add_nc_u32 v4, 6, v4
	v_sub_nc_u32_e32 v5, v45, v2
	v_cmp_eq_u32_e32 vcc_lo, 1, v7
	v_sub_nc_u32_e32 v7, v13, v17
	s_delay_alu instid0(VALU_DEP_4)
	v_lshlrev_b32_e32 v3, 2, v3
	s_wait_alu 0xfffd
	v_dual_cndmask_b32 v4, v4, v6 :: v_dual_add_nc_u32 v5, 7, v5
	v_cmp_eq_u32_e32 vcc_lo, 1, v8
	v_sub_nc_u32_e32 v6, v9, v17
	ds_store_b32 v1, v24
	ds_store_b32 v3, v25
	s_wait_alu 0xfffd
	v_dual_cndmask_b32 v2, v5, v2 :: v_dual_lshlrev_b32 v3, 2, v4
	v_and_b32_e32 v5, 1, v47
	v_sub_nc_u32_e32 v1, v45, v6
	v_sub_nc_u32_e32 v4, v10, v17
	v_and_b32_e32 v10, 1, v48
	s_delay_alu instid0(VALU_DEP_4) | instskip(SKIP_2) | instid1(VALU_DEP_2)
	v_cmp_eq_u32_e32 vcc_lo, 1, v5
	v_sub_nc_u32_e32 v5, v12, v17
	v_add_nc_u32_e32 v1, 8, v1
	v_sub_nc_u32_e32 v9, v45, v5
	s_wait_alu 0xfffd
	s_delay_alu instid0(VALU_DEP_2)
	v_dual_cndmask_b32 v1, v1, v6 :: v_dual_and_b32 v6, 1, v15
	s_wait_kmcnt 0x0
	v_add_co_u32 v15, s0, s18, v17
	v_add_nc_u32_e32 v9, 11, v9
	v_lshlrev_b32_e32 v2, 2, v2
	ds_store_b32 v3, v22
	ds_store_b32 v2, v23
	v_sub_nc_u32_e32 v3, v11, v17
	v_sub_nc_u32_e32 v2, v45, v4
	v_cmp_eq_u32_e32 vcc_lo, 1, v6
	v_and_b32_e32 v11, 1, v46
	v_lshlrev_b32_e32 v1, 2, v1
	v_sub_nc_u32_e32 v8, v45, v3
	v_add_nc_u32_e32 v2, 9, v2
	s_wait_alu 0xf1ff
	v_add_co_ci_u32_e64 v17, null, s19, 0, s0
	s_delay_alu instid0(VALU_DEP_3) | instskip(SKIP_4) | instid1(VALU_DEP_3)
	v_add_nc_u32_e32 v6, 10, v8
	v_and_b32_e32 v8, 1, v14
	s_wait_alu 0xfffd
	v_cndmask_b32_e32 v2, v2, v4, vcc_lo
	v_sub_nc_u32_e32 v4, v45, v7
	v_cmp_eq_u32_e32 vcc_lo, 1, v8
	s_delay_alu instid0(VALU_DEP_3) | instskip(SKIP_1) | instid1(VALU_DEP_3)
	v_lshlrev_b32_e32 v2, 2, v2
	s_wait_alu 0xfffd
	v_dual_cndmask_b32 v3, v6, v3 :: v_dual_add_nc_u32 v4, 12, v4
	v_cmp_eq_u32_e32 vcc_lo, 1, v10
	s_delay_alu instid0(VALU_DEP_2) | instskip(SKIP_4) | instid1(VALU_DEP_2)
	v_lshlrev_b32_e32 v3, 2, v3
	s_wait_alu 0xfffd
	v_cndmask_b32_e32 v5, v9, v5, vcc_lo
	v_cmp_eq_u32_e32 vcc_lo, 1, v11
	s_wait_alu 0xfffd
	v_dual_cndmask_b32 v4, v4, v7 :: v_dual_lshlrev_b32 v5, 2, v5
	v_cmp_ne_u32_e32 vcc_lo, 1, v43
	s_delay_alu instid0(VALU_DEP_2)
	v_lshlrev_b32_e32 v4, 2, v4
	ds_store_b32 v1, v20
	ds_store_b32 v2, v21
	;; [unrolled: 1-line block ×5, first 2 shown]
	s_wait_loadcnt_dscnt 0x0
	s_barrier_signal -1
	s_barrier_wait -1
	global_inv scope:SCOPE_SE
	ds_load_2addr_stride64_b32 v[11:12], v42 offset1:4
	ds_load_2addr_stride64_b32 v[9:10], v42 offset0:8 offset1:12
	ds_load_2addr_stride64_b32 v[7:8], v42 offset0:16 offset1:20
	;; [unrolled: 1-line block ×5, first 2 shown]
	ds_load_b32 v18, v42 offset:12288
	s_cbranch_vccnz .LBB1505_124
; %bb.71:
	s_mov_b32 s17, 0
	v_sub_co_u32 v13, vcc_lo, v15, s12
	s_sub_nc_u64 s[0:1], s[14:15], s[16:17]
	s_wait_alu 0xfffd
	v_subrev_co_ci_u32_e64 v14, null, s13, v17, vcc_lo
	s_wait_alu 0xfffe
	v_add_co_u32 v19, s0, s0, v16
	s_wait_alu 0xf1ff
	v_add_co_ci_u32_e64 v20, null, s1, 0, s0
	s_mov_b32 s0, exec_lo
	v_add_co_u32 v19, vcc_lo, v19, v13
	s_wait_alu 0xfffd
	v_add_co_ci_u32_e64 v20, null, v20, v14, vcc_lo
                                        ; implicit-def: $vgpr13_vgpr14
	v_cmpx_ge_u32_e64 v0, v16
	s_wait_alu 0xfffe
	s_xor_b32 s0, exec_lo, s0
; %bb.72:
	v_not_b32_e32 v13, v0
	s_delay_alu instid0(VALU_DEP_1) | instskip(SKIP_2) | instid1(VALU_DEP_2)
	v_ashrrev_i32_e32 v14, 31, v13
	v_add_co_u32 v13, vcc_lo, v19, v13
	s_wait_alu 0xfffd
	v_add_co_ci_u32_e64 v14, null, v20, v14, vcc_lo
; %bb.73:
	s_wait_alu 0xfffe
	s_and_not1_saveexec_b32 s0, s0
; %bb.74:
	v_add_co_u32 v13, vcc_lo, v15, v0
	s_wait_alu 0xfffd
	v_add_co_ci_u32_e64 v14, null, 0, v17, vcc_lo
; %bb.75:
	s_wait_alu 0xfffe
	s_or_b32 exec_lo, exec_lo, s0
	s_delay_alu instid0(VALU_DEP_1) | instskip(SKIP_1) | instid1(VALU_DEP_1)
	v_lshlrev_b64_e32 v[13:14], 2, v[13:14]
	s_mov_b32 s0, exec_lo
	v_add_co_u32 v13, vcc_lo, s10, v13
	s_wait_alu 0xfffd
	s_delay_alu instid0(VALU_DEP_2)
	v_add_co_ci_u32_e64 v14, null, s11, v14, vcc_lo
	s_wait_dscnt 0x6
	global_store_b32 v[13:14], v11, off
                                        ; implicit-def: $vgpr13_vgpr14
	v_cmpx_ge_u32_e64 v41, v16
	s_wait_alu 0xfffe
	s_xor_b32 s0, exec_lo, s0
; %bb.76:
	v_xor_b32_e32 v13, 0xfffffeff, v0
	s_delay_alu instid0(VALU_DEP_1) | instskip(SKIP_2) | instid1(VALU_DEP_2)
	v_ashrrev_i32_e32 v14, 31, v13
	v_add_co_u32 v13, vcc_lo, v19, v13
	s_wait_alu 0xfffd
	v_add_co_ci_u32_e64 v14, null, v20, v14, vcc_lo
; %bb.77:
	s_wait_alu 0xfffe
	s_and_not1_saveexec_b32 s0, s0
; %bb.78:
	v_add_co_u32 v13, vcc_lo, v15, v41
	s_wait_alu 0xfffd
	v_add_co_ci_u32_e64 v14, null, 0, v17, vcc_lo
; %bb.79:
	s_wait_alu 0xfffe
	s_or_b32 exec_lo, exec_lo, s0
	s_delay_alu instid0(VALU_DEP_1) | instskip(SKIP_1) | instid1(VALU_DEP_1)
	v_lshlrev_b64_e32 v[13:14], 2, v[13:14]
	s_mov_b32 s0, exec_lo
	v_add_co_u32 v13, vcc_lo, s10, v13
	s_wait_alu 0xfffd
	s_delay_alu instid0(VALU_DEP_2)
	v_add_co_ci_u32_e64 v14, null, s11, v14, vcc_lo
	global_store_b32 v[13:14], v12, off
                                        ; implicit-def: $vgpr13_vgpr14
	v_cmpx_ge_u32_e64 v40, v16
	s_wait_alu 0xfffe
	s_xor_b32 s0, exec_lo, s0
; %bb.80:
	v_xor_b32_e32 v13, 0xfffffdff, v0
	s_delay_alu instid0(VALU_DEP_1) | instskip(SKIP_2) | instid1(VALU_DEP_2)
	v_ashrrev_i32_e32 v14, 31, v13
	v_add_co_u32 v13, vcc_lo, v19, v13
	s_wait_alu 0xfffd
	v_add_co_ci_u32_e64 v14, null, v20, v14, vcc_lo
; %bb.81:
	s_wait_alu 0xfffe
	s_and_not1_saveexec_b32 s0, s0
; %bb.82:
	v_add_co_u32 v13, vcc_lo, v15, v40
	s_wait_alu 0xfffd
	v_add_co_ci_u32_e64 v14, null, 0, v17, vcc_lo
; %bb.83:
	s_wait_alu 0xfffe
	s_or_b32 exec_lo, exec_lo, s0
	s_delay_alu instid0(VALU_DEP_1) | instskip(SKIP_1) | instid1(VALU_DEP_1)
	v_lshlrev_b64_e32 v[13:14], 2, v[13:14]
	s_mov_b32 s0, exec_lo
	v_add_co_u32 v13, vcc_lo, s10, v13
	s_wait_alu 0xfffd
	s_delay_alu instid0(VALU_DEP_2)
	v_add_co_ci_u32_e64 v14, null, s11, v14, vcc_lo
	s_wait_dscnt 0x5
	global_store_b32 v[13:14], v9, off
                                        ; implicit-def: $vgpr13_vgpr14
	v_cmpx_ge_u32_e64 v39, v16
	s_wait_alu 0xfffe
	s_xor_b32 s0, exec_lo, s0
; %bb.84:
	v_xor_b32_e32 v13, 0xfffffcff, v0
	s_delay_alu instid0(VALU_DEP_1) | instskip(SKIP_2) | instid1(VALU_DEP_2)
	v_ashrrev_i32_e32 v14, 31, v13
	v_add_co_u32 v13, vcc_lo, v19, v13
	s_wait_alu 0xfffd
	v_add_co_ci_u32_e64 v14, null, v20, v14, vcc_lo
; %bb.85:
	s_wait_alu 0xfffe
	s_and_not1_saveexec_b32 s0, s0
; %bb.86:
	v_add_co_u32 v13, vcc_lo, v15, v39
	s_wait_alu 0xfffd
	v_add_co_ci_u32_e64 v14, null, 0, v17, vcc_lo
; %bb.87:
	s_wait_alu 0xfffe
	s_or_b32 exec_lo, exec_lo, s0
	s_delay_alu instid0(VALU_DEP_1) | instskip(SKIP_1) | instid1(VALU_DEP_1)
	v_lshlrev_b64_e32 v[13:14], 2, v[13:14]
	s_mov_b32 s0, exec_lo
	v_add_co_u32 v13, vcc_lo, s10, v13
	s_wait_alu 0xfffd
	s_delay_alu instid0(VALU_DEP_2)
	v_add_co_ci_u32_e64 v14, null, s11, v14, vcc_lo
	global_store_b32 v[13:14], v10, off
                                        ; implicit-def: $vgpr13_vgpr14
	v_cmpx_ge_u32_e64 v38, v16
	s_wait_alu 0xfffe
	s_xor_b32 s0, exec_lo, s0
; %bb.88:
	v_xor_b32_e32 v13, 0xfffffbff, v0
	;; [unrolled: 59-line block ×6, first 2 shown]
	s_delay_alu instid0(VALU_DEP_1) | instskip(SKIP_2) | instid1(VALU_DEP_2)
	v_ashrrev_i32_e32 v14, 31, v13
	v_add_co_u32 v13, vcc_lo, v19, v13
	s_wait_alu 0xfffd
	v_add_co_ci_u32_e64 v14, null, v20, v14, vcc_lo
; %bb.121:
	s_wait_alu 0xfffe
	s_and_not1_saveexec_b32 s0, s0
; %bb.122:
	v_add_co_u32 v13, vcc_lo, v15, v30
	s_wait_alu 0xfffd
	v_add_co_ci_u32_e64 v14, null, 0, v17, vcc_lo
; %bb.123:
	s_wait_alu 0xfffe
	s_or_b32 exec_lo, exec_lo, s0
	s_mov_b32 s0, -1
	s_branch .LBB1505_204
.LBB1505_124:
	s_mov_b32 s0, 0
                                        ; implicit-def: $vgpr13_vgpr14
	s_cbranch_execz .LBB1505_204
; %bb.125:
	s_mov_b32 s17, 0
	s_delay_alu instid0(SALU_CYCLE_1)
	s_add_nc_u64 s[2:3], s[12:13], s[16:17]
	s_wait_alu 0xfffe
	s_sub_nc_u64 s[2:3], s[14:15], s[2:3]
	s_wait_alu 0xfffe
	v_add_co_u32 v13, s1, s2, v16
	s_wait_alu 0xf1ff
	v_add_co_ci_u32_e64 v14, null, s3, 0, s1
	s_mov_b32 s1, exec_lo
	v_add_co_u32 v19, vcc_lo, v13, v15
	s_wait_alu 0xfffd
	v_add_co_ci_u32_e64 v20, null, v14, v17, vcc_lo
	v_cmpx_gt_u32_e64 s23, v0
	s_cbranch_execz .LBB1505_161
; %bb.126:
	s_mov_b32 s2, exec_lo
                                        ; implicit-def: $vgpr13_vgpr14
	v_cmpx_ge_u32_e64 v0, v16
	s_wait_alu 0xfffe
	s_xor_b32 s2, exec_lo, s2
; %bb.127:
	v_not_b32_e32 v13, v0
	s_delay_alu instid0(VALU_DEP_1) | instskip(SKIP_2) | instid1(VALU_DEP_2)
	v_ashrrev_i32_e32 v14, 31, v13
	v_add_co_u32 v13, vcc_lo, v19, v13
	s_wait_alu 0xfffd
	v_add_co_ci_u32_e64 v14, null, v20, v14, vcc_lo
; %bb.128:
	s_wait_alu 0xfffe
	s_and_not1_saveexec_b32 s2, s2
; %bb.129:
	v_add_co_u32 v13, vcc_lo, v15, v0
	s_wait_alu 0xfffd
	v_add_co_ci_u32_e64 v14, null, 0, v17, vcc_lo
; %bb.130:
	s_wait_alu 0xfffe
	s_or_b32 exec_lo, exec_lo, s2
	s_delay_alu instid0(VALU_DEP_1) | instskip(NEXT) | instid1(VALU_DEP_1)
	v_lshlrev_b64_e32 v[13:14], 2, v[13:14]
	v_add_co_u32 v13, vcc_lo, s10, v13
	s_wait_alu 0xfffd
	s_delay_alu instid0(VALU_DEP_2) | instskip(SKIP_3) | instid1(SALU_CYCLE_1)
	v_add_co_ci_u32_e64 v14, null, s11, v14, vcc_lo
	s_wait_dscnt 0x6
	global_store_b32 v[13:14], v11, off
	s_or_b32 exec_lo, exec_lo, s1
	s_mov_b32 s1, exec_lo
	v_cmpx_gt_u32_e64 s23, v41
	s_cbranch_execnz .LBB1505_162
.LBB1505_131:
	s_wait_alu 0xfffe
	s_or_b32 exec_lo, exec_lo, s1
	s_delay_alu instid0(SALU_CYCLE_1)
	s_mov_b32 s1, exec_lo
	v_cmpx_gt_u32_e64 s23, v40
	s_cbranch_execz .LBB1505_167
.LBB1505_132:
	s_mov_b32 s2, exec_lo
                                        ; implicit-def: $vgpr11_vgpr12
	v_cmpx_ge_u32_e64 v40, v16
	s_wait_alu 0xfffe
	s_xor_b32 s2, exec_lo, s2
	s_cbranch_execz .LBB1505_134
; %bb.133:
	s_wait_dscnt 0x6
	v_xor_b32_e32 v11, 0xfffffdff, v0
                                        ; implicit-def: $vgpr40
	s_delay_alu instid0(VALU_DEP_1) | instskip(SKIP_2) | instid1(VALU_DEP_2)
	v_ashrrev_i32_e32 v12, 31, v11
	v_add_co_u32 v11, vcc_lo, v19, v11
	s_wait_alu 0xfffd
	v_add_co_ci_u32_e64 v12, null, v20, v12, vcc_lo
.LBB1505_134:
	s_wait_alu 0xfffe
	s_and_not1_saveexec_b32 s2, s2
	s_cbranch_execz .LBB1505_136
; %bb.135:
	s_wait_dscnt 0x6
	v_add_co_u32 v11, vcc_lo, v15, v40
	s_wait_alu 0xfffd
	v_add_co_ci_u32_e64 v12, null, 0, v17, vcc_lo
.LBB1505_136:
	s_wait_alu 0xfffe
	s_or_b32 exec_lo, exec_lo, s2
	s_wait_dscnt 0x6
	s_delay_alu instid0(VALU_DEP_1) | instskip(NEXT) | instid1(VALU_DEP_1)
	v_lshlrev_b64_e32 v[11:12], 2, v[11:12]
	v_add_co_u32 v11, vcc_lo, s10, v11
	s_wait_alu 0xfffd
	s_delay_alu instid0(VALU_DEP_2) | instskip(SKIP_3) | instid1(SALU_CYCLE_1)
	v_add_co_ci_u32_e64 v12, null, s11, v12, vcc_lo
	s_wait_dscnt 0x5
	global_store_b32 v[11:12], v9, off
	s_or_b32 exec_lo, exec_lo, s1
	s_mov_b32 s1, exec_lo
	v_cmpx_gt_u32_e64 s23, v39
	s_cbranch_execnz .LBB1505_168
.LBB1505_137:
	s_wait_alu 0xfffe
	s_or_b32 exec_lo, exec_lo, s1
	s_delay_alu instid0(SALU_CYCLE_1)
	s_mov_b32 s1, exec_lo
	v_cmpx_gt_u32_e64 s23, v38
	s_cbranch_execz .LBB1505_173
.LBB1505_138:
	s_mov_b32 s2, exec_lo
                                        ; implicit-def: $vgpr9_vgpr10
	v_cmpx_ge_u32_e64 v38, v16
	s_wait_alu 0xfffe
	s_xor_b32 s2, exec_lo, s2
	s_cbranch_execz .LBB1505_140
; %bb.139:
	s_wait_dscnt 0x5
	v_xor_b32_e32 v9, 0xfffffbff, v0
                                        ; implicit-def: $vgpr38
	s_delay_alu instid0(VALU_DEP_1) | instskip(SKIP_2) | instid1(VALU_DEP_2)
	v_ashrrev_i32_e32 v10, 31, v9
	v_add_co_u32 v9, vcc_lo, v19, v9
	s_wait_alu 0xfffd
	v_add_co_ci_u32_e64 v10, null, v20, v10, vcc_lo
.LBB1505_140:
	s_wait_alu 0xfffe
	s_and_not1_saveexec_b32 s2, s2
	s_cbranch_execz .LBB1505_142
; %bb.141:
	s_wait_dscnt 0x5
	v_add_co_u32 v9, vcc_lo, v15, v38
	s_wait_alu 0xfffd
	v_add_co_ci_u32_e64 v10, null, 0, v17, vcc_lo
.LBB1505_142:
	s_wait_alu 0xfffe
	s_or_b32 exec_lo, exec_lo, s2
	s_wait_dscnt 0x5
	s_delay_alu instid0(VALU_DEP_1) | instskip(NEXT) | instid1(VALU_DEP_1)
	v_lshlrev_b64_e32 v[9:10], 2, v[9:10]
	v_add_co_u32 v9, vcc_lo, s10, v9
	s_wait_alu 0xfffd
	s_delay_alu instid0(VALU_DEP_2) | instskip(SKIP_3) | instid1(SALU_CYCLE_1)
	v_add_co_ci_u32_e64 v10, null, s11, v10, vcc_lo
	s_wait_dscnt 0x4
	global_store_b32 v[9:10], v7, off
	s_or_b32 exec_lo, exec_lo, s1
	s_mov_b32 s1, exec_lo
	v_cmpx_gt_u32_e64 s23, v37
	s_cbranch_execnz .LBB1505_174
.LBB1505_143:
	s_wait_alu 0xfffe
	s_or_b32 exec_lo, exec_lo, s1
	s_delay_alu instid0(SALU_CYCLE_1)
	s_mov_b32 s1, exec_lo
	v_cmpx_gt_u32_e64 s23, v36
	s_cbranch_execz .LBB1505_179
.LBB1505_144:
	s_mov_b32 s2, exec_lo
                                        ; implicit-def: $vgpr7_vgpr8
	v_cmpx_ge_u32_e64 v36, v16
	s_wait_alu 0xfffe
	s_xor_b32 s2, exec_lo, s2
	s_cbranch_execz .LBB1505_146
; %bb.145:
	s_wait_dscnt 0x4
	v_xor_b32_e32 v7, 0xfffff9ff, v0
                                        ; implicit-def: $vgpr36
	s_delay_alu instid0(VALU_DEP_1) | instskip(SKIP_2) | instid1(VALU_DEP_2)
	v_ashrrev_i32_e32 v8, 31, v7
	v_add_co_u32 v7, vcc_lo, v19, v7
	s_wait_alu 0xfffd
	v_add_co_ci_u32_e64 v8, null, v20, v8, vcc_lo
.LBB1505_146:
	s_wait_alu 0xfffe
	s_and_not1_saveexec_b32 s2, s2
	s_cbranch_execz .LBB1505_148
; %bb.147:
	s_wait_dscnt 0x4
	v_add_co_u32 v7, vcc_lo, v15, v36
	s_wait_alu 0xfffd
	v_add_co_ci_u32_e64 v8, null, 0, v17, vcc_lo
.LBB1505_148:
	s_wait_alu 0xfffe
	s_or_b32 exec_lo, exec_lo, s2
	s_wait_dscnt 0x4
	s_delay_alu instid0(VALU_DEP_1) | instskip(NEXT) | instid1(VALU_DEP_1)
	v_lshlrev_b64_e32 v[7:8], 2, v[7:8]
	v_add_co_u32 v7, vcc_lo, s10, v7
	s_wait_alu 0xfffd
	s_delay_alu instid0(VALU_DEP_2) | instskip(SKIP_3) | instid1(SALU_CYCLE_1)
	v_add_co_ci_u32_e64 v8, null, s11, v8, vcc_lo
	s_wait_dscnt 0x3
	global_store_b32 v[7:8], v5, off
	s_or_b32 exec_lo, exec_lo, s1
	s_mov_b32 s1, exec_lo
	v_cmpx_gt_u32_e64 s23, v35
	s_cbranch_execnz .LBB1505_180
.LBB1505_149:
	s_wait_alu 0xfffe
	s_or_b32 exec_lo, exec_lo, s1
	s_delay_alu instid0(SALU_CYCLE_1)
	s_mov_b32 s1, exec_lo
	v_cmpx_gt_u32_e64 s23, v34
	s_cbranch_execz .LBB1505_185
.LBB1505_150:
	s_mov_b32 s2, exec_lo
                                        ; implicit-def: $vgpr5_vgpr6
	v_cmpx_ge_u32_e64 v34, v16
	s_wait_alu 0xfffe
	s_xor_b32 s2, exec_lo, s2
	s_cbranch_execz .LBB1505_152
; %bb.151:
	s_wait_dscnt 0x3
	v_xor_b32_e32 v5, 0xfffff7ff, v0
                                        ; implicit-def: $vgpr34
	s_delay_alu instid0(VALU_DEP_1) | instskip(SKIP_2) | instid1(VALU_DEP_2)
	v_ashrrev_i32_e32 v6, 31, v5
	v_add_co_u32 v5, vcc_lo, v19, v5
	s_wait_alu 0xfffd
	v_add_co_ci_u32_e64 v6, null, v20, v6, vcc_lo
.LBB1505_152:
	s_wait_alu 0xfffe
	s_and_not1_saveexec_b32 s2, s2
	s_cbranch_execz .LBB1505_154
; %bb.153:
	s_wait_dscnt 0x3
	v_add_co_u32 v5, vcc_lo, v15, v34
	s_wait_alu 0xfffd
	v_add_co_ci_u32_e64 v6, null, 0, v17, vcc_lo
.LBB1505_154:
	s_wait_alu 0xfffe
	s_or_b32 exec_lo, exec_lo, s2
	s_wait_dscnt 0x3
	s_delay_alu instid0(VALU_DEP_1) | instskip(NEXT) | instid1(VALU_DEP_1)
	v_lshlrev_b64_e32 v[5:6], 2, v[5:6]
	v_add_co_u32 v5, vcc_lo, s10, v5
	s_wait_alu 0xfffd
	s_delay_alu instid0(VALU_DEP_2) | instskip(SKIP_3) | instid1(SALU_CYCLE_1)
	v_add_co_ci_u32_e64 v6, null, s11, v6, vcc_lo
	s_wait_dscnt 0x2
	global_store_b32 v[5:6], v3, off
	s_or_b32 exec_lo, exec_lo, s1
	s_mov_b32 s1, exec_lo
	v_cmpx_gt_u32_e64 s23, v33
	s_cbranch_execnz .LBB1505_186
.LBB1505_155:
	s_wait_alu 0xfffe
	s_or_b32 exec_lo, exec_lo, s1
	s_delay_alu instid0(SALU_CYCLE_1)
	s_mov_b32 s1, exec_lo
	v_cmpx_gt_u32_e64 s23, v32
	s_cbranch_execz .LBB1505_191
.LBB1505_156:
	s_mov_b32 s2, exec_lo
                                        ; implicit-def: $vgpr3_vgpr4
	v_cmpx_ge_u32_e64 v32, v16
	s_wait_alu 0xfffe
	s_xor_b32 s2, exec_lo, s2
	s_cbranch_execz .LBB1505_158
; %bb.157:
	s_wait_dscnt 0x2
	v_xor_b32_e32 v3, 0xfffff5ff, v0
                                        ; implicit-def: $vgpr32
	s_delay_alu instid0(VALU_DEP_1) | instskip(SKIP_2) | instid1(VALU_DEP_2)
	v_ashrrev_i32_e32 v4, 31, v3
	v_add_co_u32 v3, vcc_lo, v19, v3
	s_wait_alu 0xfffd
	v_add_co_ci_u32_e64 v4, null, v20, v4, vcc_lo
.LBB1505_158:
	s_wait_alu 0xfffe
	s_and_not1_saveexec_b32 s2, s2
	s_cbranch_execz .LBB1505_160
; %bb.159:
	s_wait_dscnt 0x2
	v_add_co_u32 v3, vcc_lo, v15, v32
	s_wait_alu 0xfffd
	v_add_co_ci_u32_e64 v4, null, 0, v17, vcc_lo
.LBB1505_160:
	s_wait_alu 0xfffe
	s_or_b32 exec_lo, exec_lo, s2
	s_wait_dscnt 0x2
	s_delay_alu instid0(VALU_DEP_1) | instskip(NEXT) | instid1(VALU_DEP_1)
	v_lshlrev_b64_e32 v[3:4], 2, v[3:4]
	v_add_co_u32 v3, vcc_lo, s10, v3
	s_wait_alu 0xfffd
	s_delay_alu instid0(VALU_DEP_2) | instskip(SKIP_3) | instid1(SALU_CYCLE_1)
	v_add_co_ci_u32_e64 v4, null, s11, v4, vcc_lo
	s_wait_dscnt 0x1
	global_store_b32 v[3:4], v1, off
	s_or_b32 exec_lo, exec_lo, s1
	s_mov_b32 s1, exec_lo
	v_cmpx_gt_u32_e64 s23, v31
	s_cbranch_execz .LBB1505_197
	s_branch .LBB1505_192
.LBB1505_161:
	s_wait_alu 0xfffe
	s_or_b32 exec_lo, exec_lo, s1
	s_delay_alu instid0(SALU_CYCLE_1)
	s_mov_b32 s1, exec_lo
	v_cmpx_gt_u32_e64 s23, v41
	s_cbranch_execz .LBB1505_131
.LBB1505_162:
	s_mov_b32 s2, exec_lo
                                        ; implicit-def: $vgpr13_vgpr14
	v_cmpx_ge_u32_e64 v41, v16
	s_wait_alu 0xfffe
	s_xor_b32 s2, exec_lo, s2
	s_cbranch_execz .LBB1505_164
; %bb.163:
	s_wait_dscnt 0x6
	v_xor_b32_e32 v11, 0xfffffeff, v0
                                        ; implicit-def: $vgpr41
	s_delay_alu instid0(VALU_DEP_1) | instskip(SKIP_2) | instid1(VALU_DEP_2)
	v_ashrrev_i32_e32 v14, 31, v11
	v_add_co_u32 v13, vcc_lo, v19, v11
	s_wait_alu 0xfffd
	v_add_co_ci_u32_e64 v14, null, v20, v14, vcc_lo
.LBB1505_164:
	s_wait_alu 0xfffe
	s_and_not1_saveexec_b32 s2, s2
; %bb.165:
	v_add_co_u32 v13, vcc_lo, v15, v41
	s_wait_alu 0xfffd
	v_add_co_ci_u32_e64 v14, null, 0, v17, vcc_lo
; %bb.166:
	s_wait_alu 0xfffe
	s_or_b32 exec_lo, exec_lo, s2
	s_delay_alu instid0(VALU_DEP_1) | instskip(NEXT) | instid1(VALU_DEP_1)
	v_lshlrev_b64_e32 v[13:14], 2, v[13:14]
	v_add_co_u32 v13, vcc_lo, s10, v13
	s_wait_alu 0xfffd
	s_delay_alu instid0(VALU_DEP_2) | instskip(SKIP_3) | instid1(SALU_CYCLE_1)
	v_add_co_ci_u32_e64 v14, null, s11, v14, vcc_lo
	s_wait_dscnt 0x6
	global_store_b32 v[13:14], v12, off
	s_or_b32 exec_lo, exec_lo, s1
	s_mov_b32 s1, exec_lo
	v_cmpx_gt_u32_e64 s23, v40
	s_cbranch_execnz .LBB1505_132
.LBB1505_167:
	s_wait_alu 0xfffe
	s_or_b32 exec_lo, exec_lo, s1
	s_delay_alu instid0(SALU_CYCLE_1)
	s_mov_b32 s1, exec_lo
	v_cmpx_gt_u32_e64 s23, v39
	s_cbranch_execz .LBB1505_137
.LBB1505_168:
	s_mov_b32 s2, exec_lo
                                        ; implicit-def: $vgpr11_vgpr12
	v_cmpx_ge_u32_e64 v39, v16
	s_wait_alu 0xfffe
	s_xor_b32 s2, exec_lo, s2
	s_cbranch_execz .LBB1505_170
; %bb.169:
	s_wait_dscnt 0x5
	v_xor_b32_e32 v9, 0xfffffcff, v0
                                        ; implicit-def: $vgpr39
	s_delay_alu instid0(VALU_DEP_1) | instskip(SKIP_2) | instid1(VALU_DEP_2)
	v_ashrrev_i32_e32 v12, 31, v9
	v_add_co_u32 v11, vcc_lo, v19, v9
	s_wait_alu 0xfffd
	v_add_co_ci_u32_e64 v12, null, v20, v12, vcc_lo
.LBB1505_170:
	s_wait_alu 0xfffe
	s_and_not1_saveexec_b32 s2, s2
	s_cbranch_execz .LBB1505_172
; %bb.171:
	s_wait_dscnt 0x6
	v_add_co_u32 v11, vcc_lo, v15, v39
	s_wait_alu 0xfffd
	v_add_co_ci_u32_e64 v12, null, 0, v17, vcc_lo
.LBB1505_172:
	s_wait_alu 0xfffe
	s_or_b32 exec_lo, exec_lo, s2
	s_wait_dscnt 0x6
	s_delay_alu instid0(VALU_DEP_1) | instskip(NEXT) | instid1(VALU_DEP_1)
	v_lshlrev_b64_e32 v[11:12], 2, v[11:12]
	v_add_co_u32 v11, vcc_lo, s10, v11
	s_wait_alu 0xfffd
	s_delay_alu instid0(VALU_DEP_2) | instskip(SKIP_3) | instid1(SALU_CYCLE_1)
	v_add_co_ci_u32_e64 v12, null, s11, v12, vcc_lo
	s_wait_dscnt 0x5
	global_store_b32 v[11:12], v10, off
	s_or_b32 exec_lo, exec_lo, s1
	s_mov_b32 s1, exec_lo
	v_cmpx_gt_u32_e64 s23, v38
	s_cbranch_execnz .LBB1505_138
.LBB1505_173:
	s_wait_alu 0xfffe
	s_or_b32 exec_lo, exec_lo, s1
	s_delay_alu instid0(SALU_CYCLE_1)
	s_mov_b32 s1, exec_lo
	v_cmpx_gt_u32_e64 s23, v37
	s_cbranch_execz .LBB1505_143
.LBB1505_174:
	s_mov_b32 s2, exec_lo
                                        ; implicit-def: $vgpr9_vgpr10
	v_cmpx_ge_u32_e64 v37, v16
	s_wait_alu 0xfffe
	s_xor_b32 s2, exec_lo, s2
	s_cbranch_execz .LBB1505_176
; %bb.175:
	s_wait_dscnt 0x4
	v_xor_b32_e32 v7, 0xfffffaff, v0
                                        ; implicit-def: $vgpr37
	s_delay_alu instid0(VALU_DEP_1) | instskip(SKIP_2) | instid1(VALU_DEP_2)
	v_ashrrev_i32_e32 v10, 31, v7
	v_add_co_u32 v9, vcc_lo, v19, v7
	s_wait_alu 0xfffd
	v_add_co_ci_u32_e64 v10, null, v20, v10, vcc_lo
.LBB1505_176:
	s_wait_alu 0xfffe
	s_and_not1_saveexec_b32 s2, s2
	s_cbranch_execz .LBB1505_178
; %bb.177:
	s_wait_dscnt 0x5
	v_add_co_u32 v9, vcc_lo, v15, v37
	s_wait_alu 0xfffd
	v_add_co_ci_u32_e64 v10, null, 0, v17, vcc_lo
.LBB1505_178:
	s_wait_alu 0xfffe
	s_or_b32 exec_lo, exec_lo, s2
	s_wait_dscnt 0x5
	s_delay_alu instid0(VALU_DEP_1) | instskip(NEXT) | instid1(VALU_DEP_1)
	v_lshlrev_b64_e32 v[9:10], 2, v[9:10]
	v_add_co_u32 v9, vcc_lo, s10, v9
	s_wait_alu 0xfffd
	s_delay_alu instid0(VALU_DEP_2) | instskip(SKIP_3) | instid1(SALU_CYCLE_1)
	v_add_co_ci_u32_e64 v10, null, s11, v10, vcc_lo
	s_wait_dscnt 0x4
	global_store_b32 v[9:10], v8, off
	s_or_b32 exec_lo, exec_lo, s1
	s_mov_b32 s1, exec_lo
	v_cmpx_gt_u32_e64 s23, v36
	s_cbranch_execnz .LBB1505_144
.LBB1505_179:
	s_wait_alu 0xfffe
	s_or_b32 exec_lo, exec_lo, s1
	s_delay_alu instid0(SALU_CYCLE_1)
	s_mov_b32 s1, exec_lo
	v_cmpx_gt_u32_e64 s23, v35
	s_cbranch_execz .LBB1505_149
.LBB1505_180:
	s_mov_b32 s2, exec_lo
                                        ; implicit-def: $vgpr7_vgpr8
	v_cmpx_ge_u32_e64 v35, v16
	s_wait_alu 0xfffe
	s_xor_b32 s2, exec_lo, s2
	s_cbranch_execz .LBB1505_182
; %bb.181:
	s_wait_dscnt 0x3
	v_xor_b32_e32 v5, 0xfffff8ff, v0
                                        ; implicit-def: $vgpr35
	s_delay_alu instid0(VALU_DEP_1) | instskip(SKIP_2) | instid1(VALU_DEP_2)
	v_ashrrev_i32_e32 v8, 31, v5
	v_add_co_u32 v7, vcc_lo, v19, v5
	s_wait_alu 0xfffd
	v_add_co_ci_u32_e64 v8, null, v20, v8, vcc_lo
.LBB1505_182:
	s_wait_alu 0xfffe
	s_and_not1_saveexec_b32 s2, s2
	s_cbranch_execz .LBB1505_184
; %bb.183:
	s_wait_dscnt 0x4
	v_add_co_u32 v7, vcc_lo, v15, v35
	s_wait_alu 0xfffd
	v_add_co_ci_u32_e64 v8, null, 0, v17, vcc_lo
.LBB1505_184:
	s_wait_alu 0xfffe
	s_or_b32 exec_lo, exec_lo, s2
	s_wait_dscnt 0x4
	s_delay_alu instid0(VALU_DEP_1) | instskip(NEXT) | instid1(VALU_DEP_1)
	v_lshlrev_b64_e32 v[7:8], 2, v[7:8]
	v_add_co_u32 v7, vcc_lo, s10, v7
	s_wait_alu 0xfffd
	s_delay_alu instid0(VALU_DEP_2) | instskip(SKIP_3) | instid1(SALU_CYCLE_1)
	v_add_co_ci_u32_e64 v8, null, s11, v8, vcc_lo
	s_wait_dscnt 0x3
	global_store_b32 v[7:8], v6, off
	s_or_b32 exec_lo, exec_lo, s1
	s_mov_b32 s1, exec_lo
	v_cmpx_gt_u32_e64 s23, v34
	s_cbranch_execnz .LBB1505_150
.LBB1505_185:
	s_wait_alu 0xfffe
	s_or_b32 exec_lo, exec_lo, s1
	s_delay_alu instid0(SALU_CYCLE_1)
	s_mov_b32 s1, exec_lo
	v_cmpx_gt_u32_e64 s23, v33
	s_cbranch_execz .LBB1505_155
.LBB1505_186:
	s_mov_b32 s2, exec_lo
                                        ; implicit-def: $vgpr5_vgpr6
	v_cmpx_ge_u32_e64 v33, v16
	s_wait_alu 0xfffe
	s_xor_b32 s2, exec_lo, s2
	s_cbranch_execz .LBB1505_188
; %bb.187:
	s_wait_dscnt 0x2
	v_xor_b32_e32 v3, 0xfffff6ff, v0
                                        ; implicit-def: $vgpr33
	s_delay_alu instid0(VALU_DEP_1) | instskip(SKIP_2) | instid1(VALU_DEP_2)
	v_ashrrev_i32_e32 v6, 31, v3
	v_add_co_u32 v5, vcc_lo, v19, v3
	s_wait_alu 0xfffd
	v_add_co_ci_u32_e64 v6, null, v20, v6, vcc_lo
.LBB1505_188:
	s_wait_alu 0xfffe
	s_and_not1_saveexec_b32 s2, s2
	s_cbranch_execz .LBB1505_190
; %bb.189:
	s_wait_dscnt 0x3
	v_add_co_u32 v5, vcc_lo, v15, v33
	s_wait_alu 0xfffd
	v_add_co_ci_u32_e64 v6, null, 0, v17, vcc_lo
.LBB1505_190:
	s_wait_alu 0xfffe
	s_or_b32 exec_lo, exec_lo, s2
	s_wait_dscnt 0x3
	s_delay_alu instid0(VALU_DEP_1) | instskip(NEXT) | instid1(VALU_DEP_1)
	v_lshlrev_b64_e32 v[5:6], 2, v[5:6]
	v_add_co_u32 v5, vcc_lo, s10, v5
	s_wait_alu 0xfffd
	s_delay_alu instid0(VALU_DEP_2) | instskip(SKIP_3) | instid1(SALU_CYCLE_1)
	v_add_co_ci_u32_e64 v6, null, s11, v6, vcc_lo
	s_wait_dscnt 0x2
	global_store_b32 v[5:6], v4, off
	s_or_b32 exec_lo, exec_lo, s1
	s_mov_b32 s1, exec_lo
	v_cmpx_gt_u32_e64 s23, v32
	s_cbranch_execnz .LBB1505_156
.LBB1505_191:
	s_wait_alu 0xfffe
	s_or_b32 exec_lo, exec_lo, s1
	s_delay_alu instid0(SALU_CYCLE_1)
	s_mov_b32 s1, exec_lo
	v_cmpx_gt_u32_e64 s23, v31
	s_cbranch_execz .LBB1505_197
.LBB1505_192:
	s_mov_b32 s2, exec_lo
                                        ; implicit-def: $vgpr3_vgpr4
	v_cmpx_ge_u32_e64 v31, v16
	s_wait_alu 0xfffe
	s_xor_b32 s2, exec_lo, s2
	s_cbranch_execz .LBB1505_194
; %bb.193:
	s_wait_dscnt 0x1
	v_xor_b32_e32 v1, 0xfffff4ff, v0
                                        ; implicit-def: $vgpr31
	s_delay_alu instid0(VALU_DEP_1) | instskip(SKIP_2) | instid1(VALU_DEP_2)
	v_ashrrev_i32_e32 v4, 31, v1
	v_add_co_u32 v3, vcc_lo, v19, v1
	s_wait_alu 0xfffd
	v_add_co_ci_u32_e64 v4, null, v20, v4, vcc_lo
.LBB1505_194:
	s_wait_alu 0xfffe
	s_and_not1_saveexec_b32 s2, s2
	s_cbranch_execz .LBB1505_196
; %bb.195:
	s_wait_dscnt 0x2
	v_add_co_u32 v3, vcc_lo, v15, v31
	s_wait_alu 0xfffd
	v_add_co_ci_u32_e64 v4, null, 0, v17, vcc_lo
.LBB1505_196:
	s_wait_alu 0xfffe
	s_or_b32 exec_lo, exec_lo, s2
	s_wait_dscnt 0x2
	s_delay_alu instid0(VALU_DEP_1) | instskip(NEXT) | instid1(VALU_DEP_1)
	v_lshlrev_b64_e32 v[3:4], 2, v[3:4]
	v_add_co_u32 v3, vcc_lo, s10, v3
	s_wait_alu 0xfffd
	s_delay_alu instid0(VALU_DEP_2)
	v_add_co_ci_u32_e64 v4, null, s11, v4, vcc_lo
	s_wait_dscnt 0x1
	global_store_b32 v[3:4], v2, off
.LBB1505_197:
	s_wait_alu 0xfffe
	s_or_b32 exec_lo, exec_lo, s1
	s_delay_alu instid0(SALU_CYCLE_1)
	s_mov_b32 s1, exec_lo
                                        ; implicit-def: $vgpr13_vgpr14
	v_cmpx_gt_u32_e64 s23, v30
	s_cbranch_execz .LBB1505_203
; %bb.198:
	s_mov_b32 s2, exec_lo
                                        ; implicit-def: $vgpr13_vgpr14
	v_cmpx_ge_u32_e64 v30, v16
	s_wait_alu 0xfffe
	s_xor_b32 s2, exec_lo, s2
	s_cbranch_execz .LBB1505_200
; %bb.199:
	s_wait_dscnt 0x1
	v_xor_b32_e32 v1, 0xfffff3ff, v0
                                        ; implicit-def: $vgpr30
	s_delay_alu instid0(VALU_DEP_1) | instskip(SKIP_2) | instid1(VALU_DEP_2)
	v_ashrrev_i32_e32 v2, 31, v1
	v_add_co_u32 v13, vcc_lo, v19, v1
	s_wait_alu 0xfffd
	v_add_co_ci_u32_e64 v14, null, v20, v2, vcc_lo
.LBB1505_200:
	s_wait_alu 0xfffe
	s_and_not1_saveexec_b32 s2, s2
; %bb.201:
	v_add_co_u32 v13, vcc_lo, v15, v30
	s_wait_alu 0xfffd
	v_add_co_ci_u32_e64 v14, null, 0, v17, vcc_lo
; %bb.202:
	s_wait_alu 0xfffe
	s_or_b32 exec_lo, exec_lo, s2
	s_delay_alu instid0(SALU_CYCLE_1)
	s_or_b32 s0, s0, exec_lo
.LBB1505_203:
	s_wait_alu 0xfffe
	s_or_b32 exec_lo, exec_lo, s1
.LBB1505_204:
	s_wait_alu 0xfffe
	s_and_saveexec_b32 s1, s0
	s_cbranch_execz .LBB1505_206
; %bb.205:
	s_wait_dscnt 0x1
	v_lshlrev_b64_e32 v[1:2], 2, v[13:14]
	s_delay_alu instid0(VALU_DEP_1) | instskip(SKIP_1) | instid1(VALU_DEP_2)
	v_add_co_u32 v1, vcc_lo, s10, v1
	s_wait_alu 0xfffd
	v_add_co_ci_u32_e64 v2, null, s11, v2, vcc_lo
	s_wait_dscnt 0x0
	global_store_b32 v[1:2], v18, off
.LBB1505_206:
	s_wait_alu 0xfffe
	s_or_b32 exec_lo, exec_lo, s1
	v_cmp_eq_u32_e32 vcc_lo, 0, v0
	s_and_b32 s0, vcc_lo, s22
	s_wait_alu 0xfffe
	s_and_saveexec_b32 s1, s0
	s_cbranch_execz .LBB1505_208
; %bb.207:
	v_add_co_u32 v0, vcc_lo, v15, v16
	s_wait_dscnt 0x1
	v_mov_b32_e32 v2, 0
	s_wait_alu 0xfffd
	v_add_co_ci_u32_e64 v1, null, 0, v17, vcc_lo
	global_store_b64 v2, v[0:1], s[8:9]
.LBB1505_208:
	s_endpgm
	.section	.rodata,"a",@progbits
	.p2align	6, 0x0
	.amdhsa_kernel _ZN7rocprim17ROCPRIM_400000_NS6detail17trampoline_kernelINS0_13select_configILj256ELj13ELNS0_17block_load_methodE3ELS4_3ELS4_3ELNS0_20block_scan_algorithmE0ELj4294967295EEENS1_25partition_config_selectorILNS1_17partition_subalgoE3EjNS0_10empty_typeEbEEZZNS1_14partition_implILS8_3ELb0ES6_jNS0_17counting_iteratorIjlEEPS9_SE_NS0_5tupleIJPjSE_EEENSF_IJSE_SE_EEES9_SG_JZNS1_25segmented_radix_sort_implINS0_14default_configELb1EPKbPbPKlPlN2at6native12_GLOBAL__N_18offset_tEEE10hipError_tPvRmT1_PNSt15iterator_traitsISY_E10value_typeET2_T3_PNSZ_IS14_E10value_typeET4_jRbjT5_S1A_jjP12ihipStream_tbEUljE_EEESV_SW_SX_S14_S18_S1A_T6_T7_T9_mT8_S1C_bDpT10_ENKUlT_T0_E_clISt17integral_constantIbLb0EES1P_EEDaS1K_S1L_EUlS1K_E_NS1_11comp_targetILNS1_3genE10ELNS1_11target_archE1200ELNS1_3gpuE4ELNS1_3repE0EEENS1_30default_config_static_selectorELNS0_4arch9wavefront6targetE0EEEvSY_
		.amdhsa_group_segment_fixed_size 13320
		.amdhsa_private_segment_fixed_size 0
		.amdhsa_kernarg_size 144
		.amdhsa_user_sgpr_count 2
		.amdhsa_user_sgpr_dispatch_ptr 0
		.amdhsa_user_sgpr_queue_ptr 0
		.amdhsa_user_sgpr_kernarg_segment_ptr 1
		.amdhsa_user_sgpr_dispatch_id 0
		.amdhsa_user_sgpr_private_segment_size 0
		.amdhsa_wavefront_size32 1
		.amdhsa_uses_dynamic_stack 0
		.amdhsa_enable_private_segment 0
		.amdhsa_system_sgpr_workgroup_id_x 1
		.amdhsa_system_sgpr_workgroup_id_y 0
		.amdhsa_system_sgpr_workgroup_id_z 0
		.amdhsa_system_sgpr_workgroup_info 0
		.amdhsa_system_vgpr_workitem_id 0
		.amdhsa_next_free_vgpr 69
		.amdhsa_next_free_sgpr 26
		.amdhsa_reserve_vcc 1
		.amdhsa_float_round_mode_32 0
		.amdhsa_float_round_mode_16_64 0
		.amdhsa_float_denorm_mode_32 3
		.amdhsa_float_denorm_mode_16_64 3
		.amdhsa_fp16_overflow 0
		.amdhsa_workgroup_processor_mode 1
		.amdhsa_memory_ordered 1
		.amdhsa_forward_progress 1
		.amdhsa_inst_pref_size 84
		.amdhsa_round_robin_scheduling 0
		.amdhsa_exception_fp_ieee_invalid_op 0
		.amdhsa_exception_fp_denorm_src 0
		.amdhsa_exception_fp_ieee_div_zero 0
		.amdhsa_exception_fp_ieee_overflow 0
		.amdhsa_exception_fp_ieee_underflow 0
		.amdhsa_exception_fp_ieee_inexact 0
		.amdhsa_exception_int_div_zero 0
	.end_amdhsa_kernel
	.section	.text._ZN7rocprim17ROCPRIM_400000_NS6detail17trampoline_kernelINS0_13select_configILj256ELj13ELNS0_17block_load_methodE3ELS4_3ELS4_3ELNS0_20block_scan_algorithmE0ELj4294967295EEENS1_25partition_config_selectorILNS1_17partition_subalgoE3EjNS0_10empty_typeEbEEZZNS1_14partition_implILS8_3ELb0ES6_jNS0_17counting_iteratorIjlEEPS9_SE_NS0_5tupleIJPjSE_EEENSF_IJSE_SE_EEES9_SG_JZNS1_25segmented_radix_sort_implINS0_14default_configELb1EPKbPbPKlPlN2at6native12_GLOBAL__N_18offset_tEEE10hipError_tPvRmT1_PNSt15iterator_traitsISY_E10value_typeET2_T3_PNSZ_IS14_E10value_typeET4_jRbjT5_S1A_jjP12ihipStream_tbEUljE_EEESV_SW_SX_S14_S18_S1A_T6_T7_T9_mT8_S1C_bDpT10_ENKUlT_T0_E_clISt17integral_constantIbLb0EES1P_EEDaS1K_S1L_EUlS1K_E_NS1_11comp_targetILNS1_3genE10ELNS1_11target_archE1200ELNS1_3gpuE4ELNS1_3repE0EEENS1_30default_config_static_selectorELNS0_4arch9wavefront6targetE0EEEvSY_,"axG",@progbits,_ZN7rocprim17ROCPRIM_400000_NS6detail17trampoline_kernelINS0_13select_configILj256ELj13ELNS0_17block_load_methodE3ELS4_3ELS4_3ELNS0_20block_scan_algorithmE0ELj4294967295EEENS1_25partition_config_selectorILNS1_17partition_subalgoE3EjNS0_10empty_typeEbEEZZNS1_14partition_implILS8_3ELb0ES6_jNS0_17counting_iteratorIjlEEPS9_SE_NS0_5tupleIJPjSE_EEENSF_IJSE_SE_EEES9_SG_JZNS1_25segmented_radix_sort_implINS0_14default_configELb1EPKbPbPKlPlN2at6native12_GLOBAL__N_18offset_tEEE10hipError_tPvRmT1_PNSt15iterator_traitsISY_E10value_typeET2_T3_PNSZ_IS14_E10value_typeET4_jRbjT5_S1A_jjP12ihipStream_tbEUljE_EEESV_SW_SX_S14_S18_S1A_T6_T7_T9_mT8_S1C_bDpT10_ENKUlT_T0_E_clISt17integral_constantIbLb0EES1P_EEDaS1K_S1L_EUlS1K_E_NS1_11comp_targetILNS1_3genE10ELNS1_11target_archE1200ELNS1_3gpuE4ELNS1_3repE0EEENS1_30default_config_static_selectorELNS0_4arch9wavefront6targetE0EEEvSY_,comdat
.Lfunc_end1505:
	.size	_ZN7rocprim17ROCPRIM_400000_NS6detail17trampoline_kernelINS0_13select_configILj256ELj13ELNS0_17block_load_methodE3ELS4_3ELS4_3ELNS0_20block_scan_algorithmE0ELj4294967295EEENS1_25partition_config_selectorILNS1_17partition_subalgoE3EjNS0_10empty_typeEbEEZZNS1_14partition_implILS8_3ELb0ES6_jNS0_17counting_iteratorIjlEEPS9_SE_NS0_5tupleIJPjSE_EEENSF_IJSE_SE_EEES9_SG_JZNS1_25segmented_radix_sort_implINS0_14default_configELb1EPKbPbPKlPlN2at6native12_GLOBAL__N_18offset_tEEE10hipError_tPvRmT1_PNSt15iterator_traitsISY_E10value_typeET2_T3_PNSZ_IS14_E10value_typeET4_jRbjT5_S1A_jjP12ihipStream_tbEUljE_EEESV_SW_SX_S14_S18_S1A_T6_T7_T9_mT8_S1C_bDpT10_ENKUlT_T0_E_clISt17integral_constantIbLb0EES1P_EEDaS1K_S1L_EUlS1K_E_NS1_11comp_targetILNS1_3genE10ELNS1_11target_archE1200ELNS1_3gpuE4ELNS1_3repE0EEENS1_30default_config_static_selectorELNS0_4arch9wavefront6targetE0EEEvSY_, .Lfunc_end1505-_ZN7rocprim17ROCPRIM_400000_NS6detail17trampoline_kernelINS0_13select_configILj256ELj13ELNS0_17block_load_methodE3ELS4_3ELS4_3ELNS0_20block_scan_algorithmE0ELj4294967295EEENS1_25partition_config_selectorILNS1_17partition_subalgoE3EjNS0_10empty_typeEbEEZZNS1_14partition_implILS8_3ELb0ES6_jNS0_17counting_iteratorIjlEEPS9_SE_NS0_5tupleIJPjSE_EEENSF_IJSE_SE_EEES9_SG_JZNS1_25segmented_radix_sort_implINS0_14default_configELb1EPKbPbPKlPlN2at6native12_GLOBAL__N_18offset_tEEE10hipError_tPvRmT1_PNSt15iterator_traitsISY_E10value_typeET2_T3_PNSZ_IS14_E10value_typeET4_jRbjT5_S1A_jjP12ihipStream_tbEUljE_EEESV_SW_SX_S14_S18_S1A_T6_T7_T9_mT8_S1C_bDpT10_ENKUlT_T0_E_clISt17integral_constantIbLb0EES1P_EEDaS1K_S1L_EUlS1K_E_NS1_11comp_targetILNS1_3genE10ELNS1_11target_archE1200ELNS1_3gpuE4ELNS1_3repE0EEENS1_30default_config_static_selectorELNS0_4arch9wavefront6targetE0EEEvSY_
                                        ; -- End function
	.set _ZN7rocprim17ROCPRIM_400000_NS6detail17trampoline_kernelINS0_13select_configILj256ELj13ELNS0_17block_load_methodE3ELS4_3ELS4_3ELNS0_20block_scan_algorithmE0ELj4294967295EEENS1_25partition_config_selectorILNS1_17partition_subalgoE3EjNS0_10empty_typeEbEEZZNS1_14partition_implILS8_3ELb0ES6_jNS0_17counting_iteratorIjlEEPS9_SE_NS0_5tupleIJPjSE_EEENSF_IJSE_SE_EEES9_SG_JZNS1_25segmented_radix_sort_implINS0_14default_configELb1EPKbPbPKlPlN2at6native12_GLOBAL__N_18offset_tEEE10hipError_tPvRmT1_PNSt15iterator_traitsISY_E10value_typeET2_T3_PNSZ_IS14_E10value_typeET4_jRbjT5_S1A_jjP12ihipStream_tbEUljE_EEESV_SW_SX_S14_S18_S1A_T6_T7_T9_mT8_S1C_bDpT10_ENKUlT_T0_E_clISt17integral_constantIbLb0EES1P_EEDaS1K_S1L_EUlS1K_E_NS1_11comp_targetILNS1_3genE10ELNS1_11target_archE1200ELNS1_3gpuE4ELNS1_3repE0EEENS1_30default_config_static_selectorELNS0_4arch9wavefront6targetE0EEEvSY_.num_vgpr, 69
	.set _ZN7rocprim17ROCPRIM_400000_NS6detail17trampoline_kernelINS0_13select_configILj256ELj13ELNS0_17block_load_methodE3ELS4_3ELS4_3ELNS0_20block_scan_algorithmE0ELj4294967295EEENS1_25partition_config_selectorILNS1_17partition_subalgoE3EjNS0_10empty_typeEbEEZZNS1_14partition_implILS8_3ELb0ES6_jNS0_17counting_iteratorIjlEEPS9_SE_NS0_5tupleIJPjSE_EEENSF_IJSE_SE_EEES9_SG_JZNS1_25segmented_radix_sort_implINS0_14default_configELb1EPKbPbPKlPlN2at6native12_GLOBAL__N_18offset_tEEE10hipError_tPvRmT1_PNSt15iterator_traitsISY_E10value_typeET2_T3_PNSZ_IS14_E10value_typeET4_jRbjT5_S1A_jjP12ihipStream_tbEUljE_EEESV_SW_SX_S14_S18_S1A_T6_T7_T9_mT8_S1C_bDpT10_ENKUlT_T0_E_clISt17integral_constantIbLb0EES1P_EEDaS1K_S1L_EUlS1K_E_NS1_11comp_targetILNS1_3genE10ELNS1_11target_archE1200ELNS1_3gpuE4ELNS1_3repE0EEENS1_30default_config_static_selectorELNS0_4arch9wavefront6targetE0EEEvSY_.num_agpr, 0
	.set _ZN7rocprim17ROCPRIM_400000_NS6detail17trampoline_kernelINS0_13select_configILj256ELj13ELNS0_17block_load_methodE3ELS4_3ELS4_3ELNS0_20block_scan_algorithmE0ELj4294967295EEENS1_25partition_config_selectorILNS1_17partition_subalgoE3EjNS0_10empty_typeEbEEZZNS1_14partition_implILS8_3ELb0ES6_jNS0_17counting_iteratorIjlEEPS9_SE_NS0_5tupleIJPjSE_EEENSF_IJSE_SE_EEES9_SG_JZNS1_25segmented_radix_sort_implINS0_14default_configELb1EPKbPbPKlPlN2at6native12_GLOBAL__N_18offset_tEEE10hipError_tPvRmT1_PNSt15iterator_traitsISY_E10value_typeET2_T3_PNSZ_IS14_E10value_typeET4_jRbjT5_S1A_jjP12ihipStream_tbEUljE_EEESV_SW_SX_S14_S18_S1A_T6_T7_T9_mT8_S1C_bDpT10_ENKUlT_T0_E_clISt17integral_constantIbLb0EES1P_EEDaS1K_S1L_EUlS1K_E_NS1_11comp_targetILNS1_3genE10ELNS1_11target_archE1200ELNS1_3gpuE4ELNS1_3repE0EEENS1_30default_config_static_selectorELNS0_4arch9wavefront6targetE0EEEvSY_.numbered_sgpr, 26
	.set _ZN7rocprim17ROCPRIM_400000_NS6detail17trampoline_kernelINS0_13select_configILj256ELj13ELNS0_17block_load_methodE3ELS4_3ELS4_3ELNS0_20block_scan_algorithmE0ELj4294967295EEENS1_25partition_config_selectorILNS1_17partition_subalgoE3EjNS0_10empty_typeEbEEZZNS1_14partition_implILS8_3ELb0ES6_jNS0_17counting_iteratorIjlEEPS9_SE_NS0_5tupleIJPjSE_EEENSF_IJSE_SE_EEES9_SG_JZNS1_25segmented_radix_sort_implINS0_14default_configELb1EPKbPbPKlPlN2at6native12_GLOBAL__N_18offset_tEEE10hipError_tPvRmT1_PNSt15iterator_traitsISY_E10value_typeET2_T3_PNSZ_IS14_E10value_typeET4_jRbjT5_S1A_jjP12ihipStream_tbEUljE_EEESV_SW_SX_S14_S18_S1A_T6_T7_T9_mT8_S1C_bDpT10_ENKUlT_T0_E_clISt17integral_constantIbLb0EES1P_EEDaS1K_S1L_EUlS1K_E_NS1_11comp_targetILNS1_3genE10ELNS1_11target_archE1200ELNS1_3gpuE4ELNS1_3repE0EEENS1_30default_config_static_selectorELNS0_4arch9wavefront6targetE0EEEvSY_.num_named_barrier, 0
	.set _ZN7rocprim17ROCPRIM_400000_NS6detail17trampoline_kernelINS0_13select_configILj256ELj13ELNS0_17block_load_methodE3ELS4_3ELS4_3ELNS0_20block_scan_algorithmE0ELj4294967295EEENS1_25partition_config_selectorILNS1_17partition_subalgoE3EjNS0_10empty_typeEbEEZZNS1_14partition_implILS8_3ELb0ES6_jNS0_17counting_iteratorIjlEEPS9_SE_NS0_5tupleIJPjSE_EEENSF_IJSE_SE_EEES9_SG_JZNS1_25segmented_radix_sort_implINS0_14default_configELb1EPKbPbPKlPlN2at6native12_GLOBAL__N_18offset_tEEE10hipError_tPvRmT1_PNSt15iterator_traitsISY_E10value_typeET2_T3_PNSZ_IS14_E10value_typeET4_jRbjT5_S1A_jjP12ihipStream_tbEUljE_EEESV_SW_SX_S14_S18_S1A_T6_T7_T9_mT8_S1C_bDpT10_ENKUlT_T0_E_clISt17integral_constantIbLb0EES1P_EEDaS1K_S1L_EUlS1K_E_NS1_11comp_targetILNS1_3genE10ELNS1_11target_archE1200ELNS1_3gpuE4ELNS1_3repE0EEENS1_30default_config_static_selectorELNS0_4arch9wavefront6targetE0EEEvSY_.private_seg_size, 0
	.set _ZN7rocprim17ROCPRIM_400000_NS6detail17trampoline_kernelINS0_13select_configILj256ELj13ELNS0_17block_load_methodE3ELS4_3ELS4_3ELNS0_20block_scan_algorithmE0ELj4294967295EEENS1_25partition_config_selectorILNS1_17partition_subalgoE3EjNS0_10empty_typeEbEEZZNS1_14partition_implILS8_3ELb0ES6_jNS0_17counting_iteratorIjlEEPS9_SE_NS0_5tupleIJPjSE_EEENSF_IJSE_SE_EEES9_SG_JZNS1_25segmented_radix_sort_implINS0_14default_configELb1EPKbPbPKlPlN2at6native12_GLOBAL__N_18offset_tEEE10hipError_tPvRmT1_PNSt15iterator_traitsISY_E10value_typeET2_T3_PNSZ_IS14_E10value_typeET4_jRbjT5_S1A_jjP12ihipStream_tbEUljE_EEESV_SW_SX_S14_S18_S1A_T6_T7_T9_mT8_S1C_bDpT10_ENKUlT_T0_E_clISt17integral_constantIbLb0EES1P_EEDaS1K_S1L_EUlS1K_E_NS1_11comp_targetILNS1_3genE10ELNS1_11target_archE1200ELNS1_3gpuE4ELNS1_3repE0EEENS1_30default_config_static_selectorELNS0_4arch9wavefront6targetE0EEEvSY_.uses_vcc, 1
	.set _ZN7rocprim17ROCPRIM_400000_NS6detail17trampoline_kernelINS0_13select_configILj256ELj13ELNS0_17block_load_methodE3ELS4_3ELS4_3ELNS0_20block_scan_algorithmE0ELj4294967295EEENS1_25partition_config_selectorILNS1_17partition_subalgoE3EjNS0_10empty_typeEbEEZZNS1_14partition_implILS8_3ELb0ES6_jNS0_17counting_iteratorIjlEEPS9_SE_NS0_5tupleIJPjSE_EEENSF_IJSE_SE_EEES9_SG_JZNS1_25segmented_radix_sort_implINS0_14default_configELb1EPKbPbPKlPlN2at6native12_GLOBAL__N_18offset_tEEE10hipError_tPvRmT1_PNSt15iterator_traitsISY_E10value_typeET2_T3_PNSZ_IS14_E10value_typeET4_jRbjT5_S1A_jjP12ihipStream_tbEUljE_EEESV_SW_SX_S14_S18_S1A_T6_T7_T9_mT8_S1C_bDpT10_ENKUlT_T0_E_clISt17integral_constantIbLb0EES1P_EEDaS1K_S1L_EUlS1K_E_NS1_11comp_targetILNS1_3genE10ELNS1_11target_archE1200ELNS1_3gpuE4ELNS1_3repE0EEENS1_30default_config_static_selectorELNS0_4arch9wavefront6targetE0EEEvSY_.uses_flat_scratch, 0
	.set _ZN7rocprim17ROCPRIM_400000_NS6detail17trampoline_kernelINS0_13select_configILj256ELj13ELNS0_17block_load_methodE3ELS4_3ELS4_3ELNS0_20block_scan_algorithmE0ELj4294967295EEENS1_25partition_config_selectorILNS1_17partition_subalgoE3EjNS0_10empty_typeEbEEZZNS1_14partition_implILS8_3ELb0ES6_jNS0_17counting_iteratorIjlEEPS9_SE_NS0_5tupleIJPjSE_EEENSF_IJSE_SE_EEES9_SG_JZNS1_25segmented_radix_sort_implINS0_14default_configELb1EPKbPbPKlPlN2at6native12_GLOBAL__N_18offset_tEEE10hipError_tPvRmT1_PNSt15iterator_traitsISY_E10value_typeET2_T3_PNSZ_IS14_E10value_typeET4_jRbjT5_S1A_jjP12ihipStream_tbEUljE_EEESV_SW_SX_S14_S18_S1A_T6_T7_T9_mT8_S1C_bDpT10_ENKUlT_T0_E_clISt17integral_constantIbLb0EES1P_EEDaS1K_S1L_EUlS1K_E_NS1_11comp_targetILNS1_3genE10ELNS1_11target_archE1200ELNS1_3gpuE4ELNS1_3repE0EEENS1_30default_config_static_selectorELNS0_4arch9wavefront6targetE0EEEvSY_.has_dyn_sized_stack, 0
	.set _ZN7rocprim17ROCPRIM_400000_NS6detail17trampoline_kernelINS0_13select_configILj256ELj13ELNS0_17block_load_methodE3ELS4_3ELS4_3ELNS0_20block_scan_algorithmE0ELj4294967295EEENS1_25partition_config_selectorILNS1_17partition_subalgoE3EjNS0_10empty_typeEbEEZZNS1_14partition_implILS8_3ELb0ES6_jNS0_17counting_iteratorIjlEEPS9_SE_NS0_5tupleIJPjSE_EEENSF_IJSE_SE_EEES9_SG_JZNS1_25segmented_radix_sort_implINS0_14default_configELb1EPKbPbPKlPlN2at6native12_GLOBAL__N_18offset_tEEE10hipError_tPvRmT1_PNSt15iterator_traitsISY_E10value_typeET2_T3_PNSZ_IS14_E10value_typeET4_jRbjT5_S1A_jjP12ihipStream_tbEUljE_EEESV_SW_SX_S14_S18_S1A_T6_T7_T9_mT8_S1C_bDpT10_ENKUlT_T0_E_clISt17integral_constantIbLb0EES1P_EEDaS1K_S1L_EUlS1K_E_NS1_11comp_targetILNS1_3genE10ELNS1_11target_archE1200ELNS1_3gpuE4ELNS1_3repE0EEENS1_30default_config_static_selectorELNS0_4arch9wavefront6targetE0EEEvSY_.has_recursion, 0
	.set _ZN7rocprim17ROCPRIM_400000_NS6detail17trampoline_kernelINS0_13select_configILj256ELj13ELNS0_17block_load_methodE3ELS4_3ELS4_3ELNS0_20block_scan_algorithmE0ELj4294967295EEENS1_25partition_config_selectorILNS1_17partition_subalgoE3EjNS0_10empty_typeEbEEZZNS1_14partition_implILS8_3ELb0ES6_jNS0_17counting_iteratorIjlEEPS9_SE_NS0_5tupleIJPjSE_EEENSF_IJSE_SE_EEES9_SG_JZNS1_25segmented_radix_sort_implINS0_14default_configELb1EPKbPbPKlPlN2at6native12_GLOBAL__N_18offset_tEEE10hipError_tPvRmT1_PNSt15iterator_traitsISY_E10value_typeET2_T3_PNSZ_IS14_E10value_typeET4_jRbjT5_S1A_jjP12ihipStream_tbEUljE_EEESV_SW_SX_S14_S18_S1A_T6_T7_T9_mT8_S1C_bDpT10_ENKUlT_T0_E_clISt17integral_constantIbLb0EES1P_EEDaS1K_S1L_EUlS1K_E_NS1_11comp_targetILNS1_3genE10ELNS1_11target_archE1200ELNS1_3gpuE4ELNS1_3repE0EEENS1_30default_config_static_selectorELNS0_4arch9wavefront6targetE0EEEvSY_.has_indirect_call, 0
	.section	.AMDGPU.csdata,"",@progbits
; Kernel info:
; codeLenInByte = 10676
; TotalNumSgprs: 28
; NumVgprs: 69
; ScratchSize: 0
; MemoryBound: 0
; FloatMode: 240
; IeeeMode: 1
; LDSByteSize: 13320 bytes/workgroup (compile time only)
; SGPRBlocks: 0
; VGPRBlocks: 8
; NumSGPRsForWavesPerEU: 28
; NumVGPRsForWavesPerEU: 69
; Occupancy: 16
; WaveLimiterHint : 0
; COMPUTE_PGM_RSRC2:SCRATCH_EN: 0
; COMPUTE_PGM_RSRC2:USER_SGPR: 2
; COMPUTE_PGM_RSRC2:TRAP_HANDLER: 0
; COMPUTE_PGM_RSRC2:TGID_X_EN: 1
; COMPUTE_PGM_RSRC2:TGID_Y_EN: 0
; COMPUTE_PGM_RSRC2:TGID_Z_EN: 0
; COMPUTE_PGM_RSRC2:TIDIG_COMP_CNT: 0
	.section	.text._ZN7rocprim17ROCPRIM_400000_NS6detail17trampoline_kernelINS0_13select_configILj256ELj13ELNS0_17block_load_methodE3ELS4_3ELS4_3ELNS0_20block_scan_algorithmE0ELj4294967295EEENS1_25partition_config_selectorILNS1_17partition_subalgoE3EjNS0_10empty_typeEbEEZZNS1_14partition_implILS8_3ELb0ES6_jNS0_17counting_iteratorIjlEEPS9_SE_NS0_5tupleIJPjSE_EEENSF_IJSE_SE_EEES9_SG_JZNS1_25segmented_radix_sort_implINS0_14default_configELb1EPKbPbPKlPlN2at6native12_GLOBAL__N_18offset_tEEE10hipError_tPvRmT1_PNSt15iterator_traitsISY_E10value_typeET2_T3_PNSZ_IS14_E10value_typeET4_jRbjT5_S1A_jjP12ihipStream_tbEUljE_EEESV_SW_SX_S14_S18_S1A_T6_T7_T9_mT8_S1C_bDpT10_ENKUlT_T0_E_clISt17integral_constantIbLb0EES1P_EEDaS1K_S1L_EUlS1K_E_NS1_11comp_targetILNS1_3genE9ELNS1_11target_archE1100ELNS1_3gpuE3ELNS1_3repE0EEENS1_30default_config_static_selectorELNS0_4arch9wavefront6targetE0EEEvSY_,"axG",@progbits,_ZN7rocprim17ROCPRIM_400000_NS6detail17trampoline_kernelINS0_13select_configILj256ELj13ELNS0_17block_load_methodE3ELS4_3ELS4_3ELNS0_20block_scan_algorithmE0ELj4294967295EEENS1_25partition_config_selectorILNS1_17partition_subalgoE3EjNS0_10empty_typeEbEEZZNS1_14partition_implILS8_3ELb0ES6_jNS0_17counting_iteratorIjlEEPS9_SE_NS0_5tupleIJPjSE_EEENSF_IJSE_SE_EEES9_SG_JZNS1_25segmented_radix_sort_implINS0_14default_configELb1EPKbPbPKlPlN2at6native12_GLOBAL__N_18offset_tEEE10hipError_tPvRmT1_PNSt15iterator_traitsISY_E10value_typeET2_T3_PNSZ_IS14_E10value_typeET4_jRbjT5_S1A_jjP12ihipStream_tbEUljE_EEESV_SW_SX_S14_S18_S1A_T6_T7_T9_mT8_S1C_bDpT10_ENKUlT_T0_E_clISt17integral_constantIbLb0EES1P_EEDaS1K_S1L_EUlS1K_E_NS1_11comp_targetILNS1_3genE9ELNS1_11target_archE1100ELNS1_3gpuE3ELNS1_3repE0EEENS1_30default_config_static_selectorELNS0_4arch9wavefront6targetE0EEEvSY_,comdat
	.globl	_ZN7rocprim17ROCPRIM_400000_NS6detail17trampoline_kernelINS0_13select_configILj256ELj13ELNS0_17block_load_methodE3ELS4_3ELS4_3ELNS0_20block_scan_algorithmE0ELj4294967295EEENS1_25partition_config_selectorILNS1_17partition_subalgoE3EjNS0_10empty_typeEbEEZZNS1_14partition_implILS8_3ELb0ES6_jNS0_17counting_iteratorIjlEEPS9_SE_NS0_5tupleIJPjSE_EEENSF_IJSE_SE_EEES9_SG_JZNS1_25segmented_radix_sort_implINS0_14default_configELb1EPKbPbPKlPlN2at6native12_GLOBAL__N_18offset_tEEE10hipError_tPvRmT1_PNSt15iterator_traitsISY_E10value_typeET2_T3_PNSZ_IS14_E10value_typeET4_jRbjT5_S1A_jjP12ihipStream_tbEUljE_EEESV_SW_SX_S14_S18_S1A_T6_T7_T9_mT8_S1C_bDpT10_ENKUlT_T0_E_clISt17integral_constantIbLb0EES1P_EEDaS1K_S1L_EUlS1K_E_NS1_11comp_targetILNS1_3genE9ELNS1_11target_archE1100ELNS1_3gpuE3ELNS1_3repE0EEENS1_30default_config_static_selectorELNS0_4arch9wavefront6targetE0EEEvSY_ ; -- Begin function _ZN7rocprim17ROCPRIM_400000_NS6detail17trampoline_kernelINS0_13select_configILj256ELj13ELNS0_17block_load_methodE3ELS4_3ELS4_3ELNS0_20block_scan_algorithmE0ELj4294967295EEENS1_25partition_config_selectorILNS1_17partition_subalgoE3EjNS0_10empty_typeEbEEZZNS1_14partition_implILS8_3ELb0ES6_jNS0_17counting_iteratorIjlEEPS9_SE_NS0_5tupleIJPjSE_EEENSF_IJSE_SE_EEES9_SG_JZNS1_25segmented_radix_sort_implINS0_14default_configELb1EPKbPbPKlPlN2at6native12_GLOBAL__N_18offset_tEEE10hipError_tPvRmT1_PNSt15iterator_traitsISY_E10value_typeET2_T3_PNSZ_IS14_E10value_typeET4_jRbjT5_S1A_jjP12ihipStream_tbEUljE_EEESV_SW_SX_S14_S18_S1A_T6_T7_T9_mT8_S1C_bDpT10_ENKUlT_T0_E_clISt17integral_constantIbLb0EES1P_EEDaS1K_S1L_EUlS1K_E_NS1_11comp_targetILNS1_3genE9ELNS1_11target_archE1100ELNS1_3gpuE3ELNS1_3repE0EEENS1_30default_config_static_selectorELNS0_4arch9wavefront6targetE0EEEvSY_
	.p2align	8
	.type	_ZN7rocprim17ROCPRIM_400000_NS6detail17trampoline_kernelINS0_13select_configILj256ELj13ELNS0_17block_load_methodE3ELS4_3ELS4_3ELNS0_20block_scan_algorithmE0ELj4294967295EEENS1_25partition_config_selectorILNS1_17partition_subalgoE3EjNS0_10empty_typeEbEEZZNS1_14partition_implILS8_3ELb0ES6_jNS0_17counting_iteratorIjlEEPS9_SE_NS0_5tupleIJPjSE_EEENSF_IJSE_SE_EEES9_SG_JZNS1_25segmented_radix_sort_implINS0_14default_configELb1EPKbPbPKlPlN2at6native12_GLOBAL__N_18offset_tEEE10hipError_tPvRmT1_PNSt15iterator_traitsISY_E10value_typeET2_T3_PNSZ_IS14_E10value_typeET4_jRbjT5_S1A_jjP12ihipStream_tbEUljE_EEESV_SW_SX_S14_S18_S1A_T6_T7_T9_mT8_S1C_bDpT10_ENKUlT_T0_E_clISt17integral_constantIbLb0EES1P_EEDaS1K_S1L_EUlS1K_E_NS1_11comp_targetILNS1_3genE9ELNS1_11target_archE1100ELNS1_3gpuE3ELNS1_3repE0EEENS1_30default_config_static_selectorELNS0_4arch9wavefront6targetE0EEEvSY_,@function
_ZN7rocprim17ROCPRIM_400000_NS6detail17trampoline_kernelINS0_13select_configILj256ELj13ELNS0_17block_load_methodE3ELS4_3ELS4_3ELNS0_20block_scan_algorithmE0ELj4294967295EEENS1_25partition_config_selectorILNS1_17partition_subalgoE3EjNS0_10empty_typeEbEEZZNS1_14partition_implILS8_3ELb0ES6_jNS0_17counting_iteratorIjlEEPS9_SE_NS0_5tupleIJPjSE_EEENSF_IJSE_SE_EEES9_SG_JZNS1_25segmented_radix_sort_implINS0_14default_configELb1EPKbPbPKlPlN2at6native12_GLOBAL__N_18offset_tEEE10hipError_tPvRmT1_PNSt15iterator_traitsISY_E10value_typeET2_T3_PNSZ_IS14_E10value_typeET4_jRbjT5_S1A_jjP12ihipStream_tbEUljE_EEESV_SW_SX_S14_S18_S1A_T6_T7_T9_mT8_S1C_bDpT10_ENKUlT_T0_E_clISt17integral_constantIbLb0EES1P_EEDaS1K_S1L_EUlS1K_E_NS1_11comp_targetILNS1_3genE9ELNS1_11target_archE1100ELNS1_3gpuE3ELNS1_3repE0EEENS1_30default_config_static_selectorELNS0_4arch9wavefront6targetE0EEEvSY_: ; @_ZN7rocprim17ROCPRIM_400000_NS6detail17trampoline_kernelINS0_13select_configILj256ELj13ELNS0_17block_load_methodE3ELS4_3ELS4_3ELNS0_20block_scan_algorithmE0ELj4294967295EEENS1_25partition_config_selectorILNS1_17partition_subalgoE3EjNS0_10empty_typeEbEEZZNS1_14partition_implILS8_3ELb0ES6_jNS0_17counting_iteratorIjlEEPS9_SE_NS0_5tupleIJPjSE_EEENSF_IJSE_SE_EEES9_SG_JZNS1_25segmented_radix_sort_implINS0_14default_configELb1EPKbPbPKlPlN2at6native12_GLOBAL__N_18offset_tEEE10hipError_tPvRmT1_PNSt15iterator_traitsISY_E10value_typeET2_T3_PNSZ_IS14_E10value_typeET4_jRbjT5_S1A_jjP12ihipStream_tbEUljE_EEESV_SW_SX_S14_S18_S1A_T6_T7_T9_mT8_S1C_bDpT10_ENKUlT_T0_E_clISt17integral_constantIbLb0EES1P_EEDaS1K_S1L_EUlS1K_E_NS1_11comp_targetILNS1_3genE9ELNS1_11target_archE1100ELNS1_3gpuE3ELNS1_3repE0EEENS1_30default_config_static_selectorELNS0_4arch9wavefront6targetE0EEEvSY_
; %bb.0:
	.section	.rodata,"a",@progbits
	.p2align	6, 0x0
	.amdhsa_kernel _ZN7rocprim17ROCPRIM_400000_NS6detail17trampoline_kernelINS0_13select_configILj256ELj13ELNS0_17block_load_methodE3ELS4_3ELS4_3ELNS0_20block_scan_algorithmE0ELj4294967295EEENS1_25partition_config_selectorILNS1_17partition_subalgoE3EjNS0_10empty_typeEbEEZZNS1_14partition_implILS8_3ELb0ES6_jNS0_17counting_iteratorIjlEEPS9_SE_NS0_5tupleIJPjSE_EEENSF_IJSE_SE_EEES9_SG_JZNS1_25segmented_radix_sort_implINS0_14default_configELb1EPKbPbPKlPlN2at6native12_GLOBAL__N_18offset_tEEE10hipError_tPvRmT1_PNSt15iterator_traitsISY_E10value_typeET2_T3_PNSZ_IS14_E10value_typeET4_jRbjT5_S1A_jjP12ihipStream_tbEUljE_EEESV_SW_SX_S14_S18_S1A_T6_T7_T9_mT8_S1C_bDpT10_ENKUlT_T0_E_clISt17integral_constantIbLb0EES1P_EEDaS1K_S1L_EUlS1K_E_NS1_11comp_targetILNS1_3genE9ELNS1_11target_archE1100ELNS1_3gpuE3ELNS1_3repE0EEENS1_30default_config_static_selectorELNS0_4arch9wavefront6targetE0EEEvSY_
		.amdhsa_group_segment_fixed_size 0
		.amdhsa_private_segment_fixed_size 0
		.amdhsa_kernarg_size 144
		.amdhsa_user_sgpr_count 2
		.amdhsa_user_sgpr_dispatch_ptr 0
		.amdhsa_user_sgpr_queue_ptr 0
		.amdhsa_user_sgpr_kernarg_segment_ptr 1
		.amdhsa_user_sgpr_dispatch_id 0
		.amdhsa_user_sgpr_private_segment_size 0
		.amdhsa_wavefront_size32 1
		.amdhsa_uses_dynamic_stack 0
		.amdhsa_enable_private_segment 0
		.amdhsa_system_sgpr_workgroup_id_x 1
		.amdhsa_system_sgpr_workgroup_id_y 0
		.amdhsa_system_sgpr_workgroup_id_z 0
		.amdhsa_system_sgpr_workgroup_info 0
		.amdhsa_system_vgpr_workitem_id 0
		.amdhsa_next_free_vgpr 1
		.amdhsa_next_free_sgpr 1
		.amdhsa_reserve_vcc 0
		.amdhsa_float_round_mode_32 0
		.amdhsa_float_round_mode_16_64 0
		.amdhsa_float_denorm_mode_32 3
		.amdhsa_float_denorm_mode_16_64 3
		.amdhsa_fp16_overflow 0
		.amdhsa_workgroup_processor_mode 1
		.amdhsa_memory_ordered 1
		.amdhsa_forward_progress 1
		.amdhsa_inst_pref_size 0
		.amdhsa_round_robin_scheduling 0
		.amdhsa_exception_fp_ieee_invalid_op 0
		.amdhsa_exception_fp_denorm_src 0
		.amdhsa_exception_fp_ieee_div_zero 0
		.amdhsa_exception_fp_ieee_overflow 0
		.amdhsa_exception_fp_ieee_underflow 0
		.amdhsa_exception_fp_ieee_inexact 0
		.amdhsa_exception_int_div_zero 0
	.end_amdhsa_kernel
	.section	.text._ZN7rocprim17ROCPRIM_400000_NS6detail17trampoline_kernelINS0_13select_configILj256ELj13ELNS0_17block_load_methodE3ELS4_3ELS4_3ELNS0_20block_scan_algorithmE0ELj4294967295EEENS1_25partition_config_selectorILNS1_17partition_subalgoE3EjNS0_10empty_typeEbEEZZNS1_14partition_implILS8_3ELb0ES6_jNS0_17counting_iteratorIjlEEPS9_SE_NS0_5tupleIJPjSE_EEENSF_IJSE_SE_EEES9_SG_JZNS1_25segmented_radix_sort_implINS0_14default_configELb1EPKbPbPKlPlN2at6native12_GLOBAL__N_18offset_tEEE10hipError_tPvRmT1_PNSt15iterator_traitsISY_E10value_typeET2_T3_PNSZ_IS14_E10value_typeET4_jRbjT5_S1A_jjP12ihipStream_tbEUljE_EEESV_SW_SX_S14_S18_S1A_T6_T7_T9_mT8_S1C_bDpT10_ENKUlT_T0_E_clISt17integral_constantIbLb0EES1P_EEDaS1K_S1L_EUlS1K_E_NS1_11comp_targetILNS1_3genE9ELNS1_11target_archE1100ELNS1_3gpuE3ELNS1_3repE0EEENS1_30default_config_static_selectorELNS0_4arch9wavefront6targetE0EEEvSY_,"axG",@progbits,_ZN7rocprim17ROCPRIM_400000_NS6detail17trampoline_kernelINS0_13select_configILj256ELj13ELNS0_17block_load_methodE3ELS4_3ELS4_3ELNS0_20block_scan_algorithmE0ELj4294967295EEENS1_25partition_config_selectorILNS1_17partition_subalgoE3EjNS0_10empty_typeEbEEZZNS1_14partition_implILS8_3ELb0ES6_jNS0_17counting_iteratorIjlEEPS9_SE_NS0_5tupleIJPjSE_EEENSF_IJSE_SE_EEES9_SG_JZNS1_25segmented_radix_sort_implINS0_14default_configELb1EPKbPbPKlPlN2at6native12_GLOBAL__N_18offset_tEEE10hipError_tPvRmT1_PNSt15iterator_traitsISY_E10value_typeET2_T3_PNSZ_IS14_E10value_typeET4_jRbjT5_S1A_jjP12ihipStream_tbEUljE_EEESV_SW_SX_S14_S18_S1A_T6_T7_T9_mT8_S1C_bDpT10_ENKUlT_T0_E_clISt17integral_constantIbLb0EES1P_EEDaS1K_S1L_EUlS1K_E_NS1_11comp_targetILNS1_3genE9ELNS1_11target_archE1100ELNS1_3gpuE3ELNS1_3repE0EEENS1_30default_config_static_selectorELNS0_4arch9wavefront6targetE0EEEvSY_,comdat
.Lfunc_end1506:
	.size	_ZN7rocprim17ROCPRIM_400000_NS6detail17trampoline_kernelINS0_13select_configILj256ELj13ELNS0_17block_load_methodE3ELS4_3ELS4_3ELNS0_20block_scan_algorithmE0ELj4294967295EEENS1_25partition_config_selectorILNS1_17partition_subalgoE3EjNS0_10empty_typeEbEEZZNS1_14partition_implILS8_3ELb0ES6_jNS0_17counting_iteratorIjlEEPS9_SE_NS0_5tupleIJPjSE_EEENSF_IJSE_SE_EEES9_SG_JZNS1_25segmented_radix_sort_implINS0_14default_configELb1EPKbPbPKlPlN2at6native12_GLOBAL__N_18offset_tEEE10hipError_tPvRmT1_PNSt15iterator_traitsISY_E10value_typeET2_T3_PNSZ_IS14_E10value_typeET4_jRbjT5_S1A_jjP12ihipStream_tbEUljE_EEESV_SW_SX_S14_S18_S1A_T6_T7_T9_mT8_S1C_bDpT10_ENKUlT_T0_E_clISt17integral_constantIbLb0EES1P_EEDaS1K_S1L_EUlS1K_E_NS1_11comp_targetILNS1_3genE9ELNS1_11target_archE1100ELNS1_3gpuE3ELNS1_3repE0EEENS1_30default_config_static_selectorELNS0_4arch9wavefront6targetE0EEEvSY_, .Lfunc_end1506-_ZN7rocprim17ROCPRIM_400000_NS6detail17trampoline_kernelINS0_13select_configILj256ELj13ELNS0_17block_load_methodE3ELS4_3ELS4_3ELNS0_20block_scan_algorithmE0ELj4294967295EEENS1_25partition_config_selectorILNS1_17partition_subalgoE3EjNS0_10empty_typeEbEEZZNS1_14partition_implILS8_3ELb0ES6_jNS0_17counting_iteratorIjlEEPS9_SE_NS0_5tupleIJPjSE_EEENSF_IJSE_SE_EEES9_SG_JZNS1_25segmented_radix_sort_implINS0_14default_configELb1EPKbPbPKlPlN2at6native12_GLOBAL__N_18offset_tEEE10hipError_tPvRmT1_PNSt15iterator_traitsISY_E10value_typeET2_T3_PNSZ_IS14_E10value_typeET4_jRbjT5_S1A_jjP12ihipStream_tbEUljE_EEESV_SW_SX_S14_S18_S1A_T6_T7_T9_mT8_S1C_bDpT10_ENKUlT_T0_E_clISt17integral_constantIbLb0EES1P_EEDaS1K_S1L_EUlS1K_E_NS1_11comp_targetILNS1_3genE9ELNS1_11target_archE1100ELNS1_3gpuE3ELNS1_3repE0EEENS1_30default_config_static_selectorELNS0_4arch9wavefront6targetE0EEEvSY_
                                        ; -- End function
	.set _ZN7rocprim17ROCPRIM_400000_NS6detail17trampoline_kernelINS0_13select_configILj256ELj13ELNS0_17block_load_methodE3ELS4_3ELS4_3ELNS0_20block_scan_algorithmE0ELj4294967295EEENS1_25partition_config_selectorILNS1_17partition_subalgoE3EjNS0_10empty_typeEbEEZZNS1_14partition_implILS8_3ELb0ES6_jNS0_17counting_iteratorIjlEEPS9_SE_NS0_5tupleIJPjSE_EEENSF_IJSE_SE_EEES9_SG_JZNS1_25segmented_radix_sort_implINS0_14default_configELb1EPKbPbPKlPlN2at6native12_GLOBAL__N_18offset_tEEE10hipError_tPvRmT1_PNSt15iterator_traitsISY_E10value_typeET2_T3_PNSZ_IS14_E10value_typeET4_jRbjT5_S1A_jjP12ihipStream_tbEUljE_EEESV_SW_SX_S14_S18_S1A_T6_T7_T9_mT8_S1C_bDpT10_ENKUlT_T0_E_clISt17integral_constantIbLb0EES1P_EEDaS1K_S1L_EUlS1K_E_NS1_11comp_targetILNS1_3genE9ELNS1_11target_archE1100ELNS1_3gpuE3ELNS1_3repE0EEENS1_30default_config_static_selectorELNS0_4arch9wavefront6targetE0EEEvSY_.num_vgpr, 0
	.set _ZN7rocprim17ROCPRIM_400000_NS6detail17trampoline_kernelINS0_13select_configILj256ELj13ELNS0_17block_load_methodE3ELS4_3ELS4_3ELNS0_20block_scan_algorithmE0ELj4294967295EEENS1_25partition_config_selectorILNS1_17partition_subalgoE3EjNS0_10empty_typeEbEEZZNS1_14partition_implILS8_3ELb0ES6_jNS0_17counting_iteratorIjlEEPS9_SE_NS0_5tupleIJPjSE_EEENSF_IJSE_SE_EEES9_SG_JZNS1_25segmented_radix_sort_implINS0_14default_configELb1EPKbPbPKlPlN2at6native12_GLOBAL__N_18offset_tEEE10hipError_tPvRmT1_PNSt15iterator_traitsISY_E10value_typeET2_T3_PNSZ_IS14_E10value_typeET4_jRbjT5_S1A_jjP12ihipStream_tbEUljE_EEESV_SW_SX_S14_S18_S1A_T6_T7_T9_mT8_S1C_bDpT10_ENKUlT_T0_E_clISt17integral_constantIbLb0EES1P_EEDaS1K_S1L_EUlS1K_E_NS1_11comp_targetILNS1_3genE9ELNS1_11target_archE1100ELNS1_3gpuE3ELNS1_3repE0EEENS1_30default_config_static_selectorELNS0_4arch9wavefront6targetE0EEEvSY_.num_agpr, 0
	.set _ZN7rocprim17ROCPRIM_400000_NS6detail17trampoline_kernelINS0_13select_configILj256ELj13ELNS0_17block_load_methodE3ELS4_3ELS4_3ELNS0_20block_scan_algorithmE0ELj4294967295EEENS1_25partition_config_selectorILNS1_17partition_subalgoE3EjNS0_10empty_typeEbEEZZNS1_14partition_implILS8_3ELb0ES6_jNS0_17counting_iteratorIjlEEPS9_SE_NS0_5tupleIJPjSE_EEENSF_IJSE_SE_EEES9_SG_JZNS1_25segmented_radix_sort_implINS0_14default_configELb1EPKbPbPKlPlN2at6native12_GLOBAL__N_18offset_tEEE10hipError_tPvRmT1_PNSt15iterator_traitsISY_E10value_typeET2_T3_PNSZ_IS14_E10value_typeET4_jRbjT5_S1A_jjP12ihipStream_tbEUljE_EEESV_SW_SX_S14_S18_S1A_T6_T7_T9_mT8_S1C_bDpT10_ENKUlT_T0_E_clISt17integral_constantIbLb0EES1P_EEDaS1K_S1L_EUlS1K_E_NS1_11comp_targetILNS1_3genE9ELNS1_11target_archE1100ELNS1_3gpuE3ELNS1_3repE0EEENS1_30default_config_static_selectorELNS0_4arch9wavefront6targetE0EEEvSY_.numbered_sgpr, 0
	.set _ZN7rocprim17ROCPRIM_400000_NS6detail17trampoline_kernelINS0_13select_configILj256ELj13ELNS0_17block_load_methodE3ELS4_3ELS4_3ELNS0_20block_scan_algorithmE0ELj4294967295EEENS1_25partition_config_selectorILNS1_17partition_subalgoE3EjNS0_10empty_typeEbEEZZNS1_14partition_implILS8_3ELb0ES6_jNS0_17counting_iteratorIjlEEPS9_SE_NS0_5tupleIJPjSE_EEENSF_IJSE_SE_EEES9_SG_JZNS1_25segmented_radix_sort_implINS0_14default_configELb1EPKbPbPKlPlN2at6native12_GLOBAL__N_18offset_tEEE10hipError_tPvRmT1_PNSt15iterator_traitsISY_E10value_typeET2_T3_PNSZ_IS14_E10value_typeET4_jRbjT5_S1A_jjP12ihipStream_tbEUljE_EEESV_SW_SX_S14_S18_S1A_T6_T7_T9_mT8_S1C_bDpT10_ENKUlT_T0_E_clISt17integral_constantIbLb0EES1P_EEDaS1K_S1L_EUlS1K_E_NS1_11comp_targetILNS1_3genE9ELNS1_11target_archE1100ELNS1_3gpuE3ELNS1_3repE0EEENS1_30default_config_static_selectorELNS0_4arch9wavefront6targetE0EEEvSY_.num_named_barrier, 0
	.set _ZN7rocprim17ROCPRIM_400000_NS6detail17trampoline_kernelINS0_13select_configILj256ELj13ELNS0_17block_load_methodE3ELS4_3ELS4_3ELNS0_20block_scan_algorithmE0ELj4294967295EEENS1_25partition_config_selectorILNS1_17partition_subalgoE3EjNS0_10empty_typeEbEEZZNS1_14partition_implILS8_3ELb0ES6_jNS0_17counting_iteratorIjlEEPS9_SE_NS0_5tupleIJPjSE_EEENSF_IJSE_SE_EEES9_SG_JZNS1_25segmented_radix_sort_implINS0_14default_configELb1EPKbPbPKlPlN2at6native12_GLOBAL__N_18offset_tEEE10hipError_tPvRmT1_PNSt15iterator_traitsISY_E10value_typeET2_T3_PNSZ_IS14_E10value_typeET4_jRbjT5_S1A_jjP12ihipStream_tbEUljE_EEESV_SW_SX_S14_S18_S1A_T6_T7_T9_mT8_S1C_bDpT10_ENKUlT_T0_E_clISt17integral_constantIbLb0EES1P_EEDaS1K_S1L_EUlS1K_E_NS1_11comp_targetILNS1_3genE9ELNS1_11target_archE1100ELNS1_3gpuE3ELNS1_3repE0EEENS1_30default_config_static_selectorELNS0_4arch9wavefront6targetE0EEEvSY_.private_seg_size, 0
	.set _ZN7rocprim17ROCPRIM_400000_NS6detail17trampoline_kernelINS0_13select_configILj256ELj13ELNS0_17block_load_methodE3ELS4_3ELS4_3ELNS0_20block_scan_algorithmE0ELj4294967295EEENS1_25partition_config_selectorILNS1_17partition_subalgoE3EjNS0_10empty_typeEbEEZZNS1_14partition_implILS8_3ELb0ES6_jNS0_17counting_iteratorIjlEEPS9_SE_NS0_5tupleIJPjSE_EEENSF_IJSE_SE_EEES9_SG_JZNS1_25segmented_radix_sort_implINS0_14default_configELb1EPKbPbPKlPlN2at6native12_GLOBAL__N_18offset_tEEE10hipError_tPvRmT1_PNSt15iterator_traitsISY_E10value_typeET2_T3_PNSZ_IS14_E10value_typeET4_jRbjT5_S1A_jjP12ihipStream_tbEUljE_EEESV_SW_SX_S14_S18_S1A_T6_T7_T9_mT8_S1C_bDpT10_ENKUlT_T0_E_clISt17integral_constantIbLb0EES1P_EEDaS1K_S1L_EUlS1K_E_NS1_11comp_targetILNS1_3genE9ELNS1_11target_archE1100ELNS1_3gpuE3ELNS1_3repE0EEENS1_30default_config_static_selectorELNS0_4arch9wavefront6targetE0EEEvSY_.uses_vcc, 0
	.set _ZN7rocprim17ROCPRIM_400000_NS6detail17trampoline_kernelINS0_13select_configILj256ELj13ELNS0_17block_load_methodE3ELS4_3ELS4_3ELNS0_20block_scan_algorithmE0ELj4294967295EEENS1_25partition_config_selectorILNS1_17partition_subalgoE3EjNS0_10empty_typeEbEEZZNS1_14partition_implILS8_3ELb0ES6_jNS0_17counting_iteratorIjlEEPS9_SE_NS0_5tupleIJPjSE_EEENSF_IJSE_SE_EEES9_SG_JZNS1_25segmented_radix_sort_implINS0_14default_configELb1EPKbPbPKlPlN2at6native12_GLOBAL__N_18offset_tEEE10hipError_tPvRmT1_PNSt15iterator_traitsISY_E10value_typeET2_T3_PNSZ_IS14_E10value_typeET4_jRbjT5_S1A_jjP12ihipStream_tbEUljE_EEESV_SW_SX_S14_S18_S1A_T6_T7_T9_mT8_S1C_bDpT10_ENKUlT_T0_E_clISt17integral_constantIbLb0EES1P_EEDaS1K_S1L_EUlS1K_E_NS1_11comp_targetILNS1_3genE9ELNS1_11target_archE1100ELNS1_3gpuE3ELNS1_3repE0EEENS1_30default_config_static_selectorELNS0_4arch9wavefront6targetE0EEEvSY_.uses_flat_scratch, 0
	.set _ZN7rocprim17ROCPRIM_400000_NS6detail17trampoline_kernelINS0_13select_configILj256ELj13ELNS0_17block_load_methodE3ELS4_3ELS4_3ELNS0_20block_scan_algorithmE0ELj4294967295EEENS1_25partition_config_selectorILNS1_17partition_subalgoE3EjNS0_10empty_typeEbEEZZNS1_14partition_implILS8_3ELb0ES6_jNS0_17counting_iteratorIjlEEPS9_SE_NS0_5tupleIJPjSE_EEENSF_IJSE_SE_EEES9_SG_JZNS1_25segmented_radix_sort_implINS0_14default_configELb1EPKbPbPKlPlN2at6native12_GLOBAL__N_18offset_tEEE10hipError_tPvRmT1_PNSt15iterator_traitsISY_E10value_typeET2_T3_PNSZ_IS14_E10value_typeET4_jRbjT5_S1A_jjP12ihipStream_tbEUljE_EEESV_SW_SX_S14_S18_S1A_T6_T7_T9_mT8_S1C_bDpT10_ENKUlT_T0_E_clISt17integral_constantIbLb0EES1P_EEDaS1K_S1L_EUlS1K_E_NS1_11comp_targetILNS1_3genE9ELNS1_11target_archE1100ELNS1_3gpuE3ELNS1_3repE0EEENS1_30default_config_static_selectorELNS0_4arch9wavefront6targetE0EEEvSY_.has_dyn_sized_stack, 0
	.set _ZN7rocprim17ROCPRIM_400000_NS6detail17trampoline_kernelINS0_13select_configILj256ELj13ELNS0_17block_load_methodE3ELS4_3ELS4_3ELNS0_20block_scan_algorithmE0ELj4294967295EEENS1_25partition_config_selectorILNS1_17partition_subalgoE3EjNS0_10empty_typeEbEEZZNS1_14partition_implILS8_3ELb0ES6_jNS0_17counting_iteratorIjlEEPS9_SE_NS0_5tupleIJPjSE_EEENSF_IJSE_SE_EEES9_SG_JZNS1_25segmented_radix_sort_implINS0_14default_configELb1EPKbPbPKlPlN2at6native12_GLOBAL__N_18offset_tEEE10hipError_tPvRmT1_PNSt15iterator_traitsISY_E10value_typeET2_T3_PNSZ_IS14_E10value_typeET4_jRbjT5_S1A_jjP12ihipStream_tbEUljE_EEESV_SW_SX_S14_S18_S1A_T6_T7_T9_mT8_S1C_bDpT10_ENKUlT_T0_E_clISt17integral_constantIbLb0EES1P_EEDaS1K_S1L_EUlS1K_E_NS1_11comp_targetILNS1_3genE9ELNS1_11target_archE1100ELNS1_3gpuE3ELNS1_3repE0EEENS1_30default_config_static_selectorELNS0_4arch9wavefront6targetE0EEEvSY_.has_recursion, 0
	.set _ZN7rocprim17ROCPRIM_400000_NS6detail17trampoline_kernelINS0_13select_configILj256ELj13ELNS0_17block_load_methodE3ELS4_3ELS4_3ELNS0_20block_scan_algorithmE0ELj4294967295EEENS1_25partition_config_selectorILNS1_17partition_subalgoE3EjNS0_10empty_typeEbEEZZNS1_14partition_implILS8_3ELb0ES6_jNS0_17counting_iteratorIjlEEPS9_SE_NS0_5tupleIJPjSE_EEENSF_IJSE_SE_EEES9_SG_JZNS1_25segmented_radix_sort_implINS0_14default_configELb1EPKbPbPKlPlN2at6native12_GLOBAL__N_18offset_tEEE10hipError_tPvRmT1_PNSt15iterator_traitsISY_E10value_typeET2_T3_PNSZ_IS14_E10value_typeET4_jRbjT5_S1A_jjP12ihipStream_tbEUljE_EEESV_SW_SX_S14_S18_S1A_T6_T7_T9_mT8_S1C_bDpT10_ENKUlT_T0_E_clISt17integral_constantIbLb0EES1P_EEDaS1K_S1L_EUlS1K_E_NS1_11comp_targetILNS1_3genE9ELNS1_11target_archE1100ELNS1_3gpuE3ELNS1_3repE0EEENS1_30default_config_static_selectorELNS0_4arch9wavefront6targetE0EEEvSY_.has_indirect_call, 0
	.section	.AMDGPU.csdata,"",@progbits
; Kernel info:
; codeLenInByte = 0
; TotalNumSgprs: 0
; NumVgprs: 0
; ScratchSize: 0
; MemoryBound: 0
; FloatMode: 240
; IeeeMode: 1
; LDSByteSize: 0 bytes/workgroup (compile time only)
; SGPRBlocks: 0
; VGPRBlocks: 0
; NumSGPRsForWavesPerEU: 1
; NumVGPRsForWavesPerEU: 1
; Occupancy: 16
; WaveLimiterHint : 0
; COMPUTE_PGM_RSRC2:SCRATCH_EN: 0
; COMPUTE_PGM_RSRC2:USER_SGPR: 2
; COMPUTE_PGM_RSRC2:TRAP_HANDLER: 0
; COMPUTE_PGM_RSRC2:TGID_X_EN: 1
; COMPUTE_PGM_RSRC2:TGID_Y_EN: 0
; COMPUTE_PGM_RSRC2:TGID_Z_EN: 0
; COMPUTE_PGM_RSRC2:TIDIG_COMP_CNT: 0
	.section	.text._ZN7rocprim17ROCPRIM_400000_NS6detail17trampoline_kernelINS0_13select_configILj256ELj13ELNS0_17block_load_methodE3ELS4_3ELS4_3ELNS0_20block_scan_algorithmE0ELj4294967295EEENS1_25partition_config_selectorILNS1_17partition_subalgoE3EjNS0_10empty_typeEbEEZZNS1_14partition_implILS8_3ELb0ES6_jNS0_17counting_iteratorIjlEEPS9_SE_NS0_5tupleIJPjSE_EEENSF_IJSE_SE_EEES9_SG_JZNS1_25segmented_radix_sort_implINS0_14default_configELb1EPKbPbPKlPlN2at6native12_GLOBAL__N_18offset_tEEE10hipError_tPvRmT1_PNSt15iterator_traitsISY_E10value_typeET2_T3_PNSZ_IS14_E10value_typeET4_jRbjT5_S1A_jjP12ihipStream_tbEUljE_EEESV_SW_SX_S14_S18_S1A_T6_T7_T9_mT8_S1C_bDpT10_ENKUlT_T0_E_clISt17integral_constantIbLb0EES1P_EEDaS1K_S1L_EUlS1K_E_NS1_11comp_targetILNS1_3genE8ELNS1_11target_archE1030ELNS1_3gpuE2ELNS1_3repE0EEENS1_30default_config_static_selectorELNS0_4arch9wavefront6targetE0EEEvSY_,"axG",@progbits,_ZN7rocprim17ROCPRIM_400000_NS6detail17trampoline_kernelINS0_13select_configILj256ELj13ELNS0_17block_load_methodE3ELS4_3ELS4_3ELNS0_20block_scan_algorithmE0ELj4294967295EEENS1_25partition_config_selectorILNS1_17partition_subalgoE3EjNS0_10empty_typeEbEEZZNS1_14partition_implILS8_3ELb0ES6_jNS0_17counting_iteratorIjlEEPS9_SE_NS0_5tupleIJPjSE_EEENSF_IJSE_SE_EEES9_SG_JZNS1_25segmented_radix_sort_implINS0_14default_configELb1EPKbPbPKlPlN2at6native12_GLOBAL__N_18offset_tEEE10hipError_tPvRmT1_PNSt15iterator_traitsISY_E10value_typeET2_T3_PNSZ_IS14_E10value_typeET4_jRbjT5_S1A_jjP12ihipStream_tbEUljE_EEESV_SW_SX_S14_S18_S1A_T6_T7_T9_mT8_S1C_bDpT10_ENKUlT_T0_E_clISt17integral_constantIbLb0EES1P_EEDaS1K_S1L_EUlS1K_E_NS1_11comp_targetILNS1_3genE8ELNS1_11target_archE1030ELNS1_3gpuE2ELNS1_3repE0EEENS1_30default_config_static_selectorELNS0_4arch9wavefront6targetE0EEEvSY_,comdat
	.globl	_ZN7rocprim17ROCPRIM_400000_NS6detail17trampoline_kernelINS0_13select_configILj256ELj13ELNS0_17block_load_methodE3ELS4_3ELS4_3ELNS0_20block_scan_algorithmE0ELj4294967295EEENS1_25partition_config_selectorILNS1_17partition_subalgoE3EjNS0_10empty_typeEbEEZZNS1_14partition_implILS8_3ELb0ES6_jNS0_17counting_iteratorIjlEEPS9_SE_NS0_5tupleIJPjSE_EEENSF_IJSE_SE_EEES9_SG_JZNS1_25segmented_radix_sort_implINS0_14default_configELb1EPKbPbPKlPlN2at6native12_GLOBAL__N_18offset_tEEE10hipError_tPvRmT1_PNSt15iterator_traitsISY_E10value_typeET2_T3_PNSZ_IS14_E10value_typeET4_jRbjT5_S1A_jjP12ihipStream_tbEUljE_EEESV_SW_SX_S14_S18_S1A_T6_T7_T9_mT8_S1C_bDpT10_ENKUlT_T0_E_clISt17integral_constantIbLb0EES1P_EEDaS1K_S1L_EUlS1K_E_NS1_11comp_targetILNS1_3genE8ELNS1_11target_archE1030ELNS1_3gpuE2ELNS1_3repE0EEENS1_30default_config_static_selectorELNS0_4arch9wavefront6targetE0EEEvSY_ ; -- Begin function _ZN7rocprim17ROCPRIM_400000_NS6detail17trampoline_kernelINS0_13select_configILj256ELj13ELNS0_17block_load_methodE3ELS4_3ELS4_3ELNS0_20block_scan_algorithmE0ELj4294967295EEENS1_25partition_config_selectorILNS1_17partition_subalgoE3EjNS0_10empty_typeEbEEZZNS1_14partition_implILS8_3ELb0ES6_jNS0_17counting_iteratorIjlEEPS9_SE_NS0_5tupleIJPjSE_EEENSF_IJSE_SE_EEES9_SG_JZNS1_25segmented_radix_sort_implINS0_14default_configELb1EPKbPbPKlPlN2at6native12_GLOBAL__N_18offset_tEEE10hipError_tPvRmT1_PNSt15iterator_traitsISY_E10value_typeET2_T3_PNSZ_IS14_E10value_typeET4_jRbjT5_S1A_jjP12ihipStream_tbEUljE_EEESV_SW_SX_S14_S18_S1A_T6_T7_T9_mT8_S1C_bDpT10_ENKUlT_T0_E_clISt17integral_constantIbLb0EES1P_EEDaS1K_S1L_EUlS1K_E_NS1_11comp_targetILNS1_3genE8ELNS1_11target_archE1030ELNS1_3gpuE2ELNS1_3repE0EEENS1_30default_config_static_selectorELNS0_4arch9wavefront6targetE0EEEvSY_
	.p2align	8
	.type	_ZN7rocprim17ROCPRIM_400000_NS6detail17trampoline_kernelINS0_13select_configILj256ELj13ELNS0_17block_load_methodE3ELS4_3ELS4_3ELNS0_20block_scan_algorithmE0ELj4294967295EEENS1_25partition_config_selectorILNS1_17partition_subalgoE3EjNS0_10empty_typeEbEEZZNS1_14partition_implILS8_3ELb0ES6_jNS0_17counting_iteratorIjlEEPS9_SE_NS0_5tupleIJPjSE_EEENSF_IJSE_SE_EEES9_SG_JZNS1_25segmented_radix_sort_implINS0_14default_configELb1EPKbPbPKlPlN2at6native12_GLOBAL__N_18offset_tEEE10hipError_tPvRmT1_PNSt15iterator_traitsISY_E10value_typeET2_T3_PNSZ_IS14_E10value_typeET4_jRbjT5_S1A_jjP12ihipStream_tbEUljE_EEESV_SW_SX_S14_S18_S1A_T6_T7_T9_mT8_S1C_bDpT10_ENKUlT_T0_E_clISt17integral_constantIbLb0EES1P_EEDaS1K_S1L_EUlS1K_E_NS1_11comp_targetILNS1_3genE8ELNS1_11target_archE1030ELNS1_3gpuE2ELNS1_3repE0EEENS1_30default_config_static_selectorELNS0_4arch9wavefront6targetE0EEEvSY_,@function
_ZN7rocprim17ROCPRIM_400000_NS6detail17trampoline_kernelINS0_13select_configILj256ELj13ELNS0_17block_load_methodE3ELS4_3ELS4_3ELNS0_20block_scan_algorithmE0ELj4294967295EEENS1_25partition_config_selectorILNS1_17partition_subalgoE3EjNS0_10empty_typeEbEEZZNS1_14partition_implILS8_3ELb0ES6_jNS0_17counting_iteratorIjlEEPS9_SE_NS0_5tupleIJPjSE_EEENSF_IJSE_SE_EEES9_SG_JZNS1_25segmented_radix_sort_implINS0_14default_configELb1EPKbPbPKlPlN2at6native12_GLOBAL__N_18offset_tEEE10hipError_tPvRmT1_PNSt15iterator_traitsISY_E10value_typeET2_T3_PNSZ_IS14_E10value_typeET4_jRbjT5_S1A_jjP12ihipStream_tbEUljE_EEESV_SW_SX_S14_S18_S1A_T6_T7_T9_mT8_S1C_bDpT10_ENKUlT_T0_E_clISt17integral_constantIbLb0EES1P_EEDaS1K_S1L_EUlS1K_E_NS1_11comp_targetILNS1_3genE8ELNS1_11target_archE1030ELNS1_3gpuE2ELNS1_3repE0EEENS1_30default_config_static_selectorELNS0_4arch9wavefront6targetE0EEEvSY_: ; @_ZN7rocprim17ROCPRIM_400000_NS6detail17trampoline_kernelINS0_13select_configILj256ELj13ELNS0_17block_load_methodE3ELS4_3ELS4_3ELNS0_20block_scan_algorithmE0ELj4294967295EEENS1_25partition_config_selectorILNS1_17partition_subalgoE3EjNS0_10empty_typeEbEEZZNS1_14partition_implILS8_3ELb0ES6_jNS0_17counting_iteratorIjlEEPS9_SE_NS0_5tupleIJPjSE_EEENSF_IJSE_SE_EEES9_SG_JZNS1_25segmented_radix_sort_implINS0_14default_configELb1EPKbPbPKlPlN2at6native12_GLOBAL__N_18offset_tEEE10hipError_tPvRmT1_PNSt15iterator_traitsISY_E10value_typeET2_T3_PNSZ_IS14_E10value_typeET4_jRbjT5_S1A_jjP12ihipStream_tbEUljE_EEESV_SW_SX_S14_S18_S1A_T6_T7_T9_mT8_S1C_bDpT10_ENKUlT_T0_E_clISt17integral_constantIbLb0EES1P_EEDaS1K_S1L_EUlS1K_E_NS1_11comp_targetILNS1_3genE8ELNS1_11target_archE1030ELNS1_3gpuE2ELNS1_3repE0EEENS1_30default_config_static_selectorELNS0_4arch9wavefront6targetE0EEEvSY_
; %bb.0:
	.section	.rodata,"a",@progbits
	.p2align	6, 0x0
	.amdhsa_kernel _ZN7rocprim17ROCPRIM_400000_NS6detail17trampoline_kernelINS0_13select_configILj256ELj13ELNS0_17block_load_methodE3ELS4_3ELS4_3ELNS0_20block_scan_algorithmE0ELj4294967295EEENS1_25partition_config_selectorILNS1_17partition_subalgoE3EjNS0_10empty_typeEbEEZZNS1_14partition_implILS8_3ELb0ES6_jNS0_17counting_iteratorIjlEEPS9_SE_NS0_5tupleIJPjSE_EEENSF_IJSE_SE_EEES9_SG_JZNS1_25segmented_radix_sort_implINS0_14default_configELb1EPKbPbPKlPlN2at6native12_GLOBAL__N_18offset_tEEE10hipError_tPvRmT1_PNSt15iterator_traitsISY_E10value_typeET2_T3_PNSZ_IS14_E10value_typeET4_jRbjT5_S1A_jjP12ihipStream_tbEUljE_EEESV_SW_SX_S14_S18_S1A_T6_T7_T9_mT8_S1C_bDpT10_ENKUlT_T0_E_clISt17integral_constantIbLb0EES1P_EEDaS1K_S1L_EUlS1K_E_NS1_11comp_targetILNS1_3genE8ELNS1_11target_archE1030ELNS1_3gpuE2ELNS1_3repE0EEENS1_30default_config_static_selectorELNS0_4arch9wavefront6targetE0EEEvSY_
		.amdhsa_group_segment_fixed_size 0
		.amdhsa_private_segment_fixed_size 0
		.amdhsa_kernarg_size 144
		.amdhsa_user_sgpr_count 2
		.amdhsa_user_sgpr_dispatch_ptr 0
		.amdhsa_user_sgpr_queue_ptr 0
		.amdhsa_user_sgpr_kernarg_segment_ptr 1
		.amdhsa_user_sgpr_dispatch_id 0
		.amdhsa_user_sgpr_private_segment_size 0
		.amdhsa_wavefront_size32 1
		.amdhsa_uses_dynamic_stack 0
		.amdhsa_enable_private_segment 0
		.amdhsa_system_sgpr_workgroup_id_x 1
		.amdhsa_system_sgpr_workgroup_id_y 0
		.amdhsa_system_sgpr_workgroup_id_z 0
		.amdhsa_system_sgpr_workgroup_info 0
		.amdhsa_system_vgpr_workitem_id 0
		.amdhsa_next_free_vgpr 1
		.amdhsa_next_free_sgpr 1
		.amdhsa_reserve_vcc 0
		.amdhsa_float_round_mode_32 0
		.amdhsa_float_round_mode_16_64 0
		.amdhsa_float_denorm_mode_32 3
		.amdhsa_float_denorm_mode_16_64 3
		.amdhsa_fp16_overflow 0
		.amdhsa_workgroup_processor_mode 1
		.amdhsa_memory_ordered 1
		.amdhsa_forward_progress 1
		.amdhsa_inst_pref_size 0
		.amdhsa_round_robin_scheduling 0
		.amdhsa_exception_fp_ieee_invalid_op 0
		.amdhsa_exception_fp_denorm_src 0
		.amdhsa_exception_fp_ieee_div_zero 0
		.amdhsa_exception_fp_ieee_overflow 0
		.amdhsa_exception_fp_ieee_underflow 0
		.amdhsa_exception_fp_ieee_inexact 0
		.amdhsa_exception_int_div_zero 0
	.end_amdhsa_kernel
	.section	.text._ZN7rocprim17ROCPRIM_400000_NS6detail17trampoline_kernelINS0_13select_configILj256ELj13ELNS0_17block_load_methodE3ELS4_3ELS4_3ELNS0_20block_scan_algorithmE0ELj4294967295EEENS1_25partition_config_selectorILNS1_17partition_subalgoE3EjNS0_10empty_typeEbEEZZNS1_14partition_implILS8_3ELb0ES6_jNS0_17counting_iteratorIjlEEPS9_SE_NS0_5tupleIJPjSE_EEENSF_IJSE_SE_EEES9_SG_JZNS1_25segmented_radix_sort_implINS0_14default_configELb1EPKbPbPKlPlN2at6native12_GLOBAL__N_18offset_tEEE10hipError_tPvRmT1_PNSt15iterator_traitsISY_E10value_typeET2_T3_PNSZ_IS14_E10value_typeET4_jRbjT5_S1A_jjP12ihipStream_tbEUljE_EEESV_SW_SX_S14_S18_S1A_T6_T7_T9_mT8_S1C_bDpT10_ENKUlT_T0_E_clISt17integral_constantIbLb0EES1P_EEDaS1K_S1L_EUlS1K_E_NS1_11comp_targetILNS1_3genE8ELNS1_11target_archE1030ELNS1_3gpuE2ELNS1_3repE0EEENS1_30default_config_static_selectorELNS0_4arch9wavefront6targetE0EEEvSY_,"axG",@progbits,_ZN7rocprim17ROCPRIM_400000_NS6detail17trampoline_kernelINS0_13select_configILj256ELj13ELNS0_17block_load_methodE3ELS4_3ELS4_3ELNS0_20block_scan_algorithmE0ELj4294967295EEENS1_25partition_config_selectorILNS1_17partition_subalgoE3EjNS0_10empty_typeEbEEZZNS1_14partition_implILS8_3ELb0ES6_jNS0_17counting_iteratorIjlEEPS9_SE_NS0_5tupleIJPjSE_EEENSF_IJSE_SE_EEES9_SG_JZNS1_25segmented_radix_sort_implINS0_14default_configELb1EPKbPbPKlPlN2at6native12_GLOBAL__N_18offset_tEEE10hipError_tPvRmT1_PNSt15iterator_traitsISY_E10value_typeET2_T3_PNSZ_IS14_E10value_typeET4_jRbjT5_S1A_jjP12ihipStream_tbEUljE_EEESV_SW_SX_S14_S18_S1A_T6_T7_T9_mT8_S1C_bDpT10_ENKUlT_T0_E_clISt17integral_constantIbLb0EES1P_EEDaS1K_S1L_EUlS1K_E_NS1_11comp_targetILNS1_3genE8ELNS1_11target_archE1030ELNS1_3gpuE2ELNS1_3repE0EEENS1_30default_config_static_selectorELNS0_4arch9wavefront6targetE0EEEvSY_,comdat
.Lfunc_end1507:
	.size	_ZN7rocprim17ROCPRIM_400000_NS6detail17trampoline_kernelINS0_13select_configILj256ELj13ELNS0_17block_load_methodE3ELS4_3ELS4_3ELNS0_20block_scan_algorithmE0ELj4294967295EEENS1_25partition_config_selectorILNS1_17partition_subalgoE3EjNS0_10empty_typeEbEEZZNS1_14partition_implILS8_3ELb0ES6_jNS0_17counting_iteratorIjlEEPS9_SE_NS0_5tupleIJPjSE_EEENSF_IJSE_SE_EEES9_SG_JZNS1_25segmented_radix_sort_implINS0_14default_configELb1EPKbPbPKlPlN2at6native12_GLOBAL__N_18offset_tEEE10hipError_tPvRmT1_PNSt15iterator_traitsISY_E10value_typeET2_T3_PNSZ_IS14_E10value_typeET4_jRbjT5_S1A_jjP12ihipStream_tbEUljE_EEESV_SW_SX_S14_S18_S1A_T6_T7_T9_mT8_S1C_bDpT10_ENKUlT_T0_E_clISt17integral_constantIbLb0EES1P_EEDaS1K_S1L_EUlS1K_E_NS1_11comp_targetILNS1_3genE8ELNS1_11target_archE1030ELNS1_3gpuE2ELNS1_3repE0EEENS1_30default_config_static_selectorELNS0_4arch9wavefront6targetE0EEEvSY_, .Lfunc_end1507-_ZN7rocprim17ROCPRIM_400000_NS6detail17trampoline_kernelINS0_13select_configILj256ELj13ELNS0_17block_load_methodE3ELS4_3ELS4_3ELNS0_20block_scan_algorithmE0ELj4294967295EEENS1_25partition_config_selectorILNS1_17partition_subalgoE3EjNS0_10empty_typeEbEEZZNS1_14partition_implILS8_3ELb0ES6_jNS0_17counting_iteratorIjlEEPS9_SE_NS0_5tupleIJPjSE_EEENSF_IJSE_SE_EEES9_SG_JZNS1_25segmented_radix_sort_implINS0_14default_configELb1EPKbPbPKlPlN2at6native12_GLOBAL__N_18offset_tEEE10hipError_tPvRmT1_PNSt15iterator_traitsISY_E10value_typeET2_T3_PNSZ_IS14_E10value_typeET4_jRbjT5_S1A_jjP12ihipStream_tbEUljE_EEESV_SW_SX_S14_S18_S1A_T6_T7_T9_mT8_S1C_bDpT10_ENKUlT_T0_E_clISt17integral_constantIbLb0EES1P_EEDaS1K_S1L_EUlS1K_E_NS1_11comp_targetILNS1_3genE8ELNS1_11target_archE1030ELNS1_3gpuE2ELNS1_3repE0EEENS1_30default_config_static_selectorELNS0_4arch9wavefront6targetE0EEEvSY_
                                        ; -- End function
	.set _ZN7rocprim17ROCPRIM_400000_NS6detail17trampoline_kernelINS0_13select_configILj256ELj13ELNS0_17block_load_methodE3ELS4_3ELS4_3ELNS0_20block_scan_algorithmE0ELj4294967295EEENS1_25partition_config_selectorILNS1_17partition_subalgoE3EjNS0_10empty_typeEbEEZZNS1_14partition_implILS8_3ELb0ES6_jNS0_17counting_iteratorIjlEEPS9_SE_NS0_5tupleIJPjSE_EEENSF_IJSE_SE_EEES9_SG_JZNS1_25segmented_radix_sort_implINS0_14default_configELb1EPKbPbPKlPlN2at6native12_GLOBAL__N_18offset_tEEE10hipError_tPvRmT1_PNSt15iterator_traitsISY_E10value_typeET2_T3_PNSZ_IS14_E10value_typeET4_jRbjT5_S1A_jjP12ihipStream_tbEUljE_EEESV_SW_SX_S14_S18_S1A_T6_T7_T9_mT8_S1C_bDpT10_ENKUlT_T0_E_clISt17integral_constantIbLb0EES1P_EEDaS1K_S1L_EUlS1K_E_NS1_11comp_targetILNS1_3genE8ELNS1_11target_archE1030ELNS1_3gpuE2ELNS1_3repE0EEENS1_30default_config_static_selectorELNS0_4arch9wavefront6targetE0EEEvSY_.num_vgpr, 0
	.set _ZN7rocprim17ROCPRIM_400000_NS6detail17trampoline_kernelINS0_13select_configILj256ELj13ELNS0_17block_load_methodE3ELS4_3ELS4_3ELNS0_20block_scan_algorithmE0ELj4294967295EEENS1_25partition_config_selectorILNS1_17partition_subalgoE3EjNS0_10empty_typeEbEEZZNS1_14partition_implILS8_3ELb0ES6_jNS0_17counting_iteratorIjlEEPS9_SE_NS0_5tupleIJPjSE_EEENSF_IJSE_SE_EEES9_SG_JZNS1_25segmented_radix_sort_implINS0_14default_configELb1EPKbPbPKlPlN2at6native12_GLOBAL__N_18offset_tEEE10hipError_tPvRmT1_PNSt15iterator_traitsISY_E10value_typeET2_T3_PNSZ_IS14_E10value_typeET4_jRbjT5_S1A_jjP12ihipStream_tbEUljE_EEESV_SW_SX_S14_S18_S1A_T6_T7_T9_mT8_S1C_bDpT10_ENKUlT_T0_E_clISt17integral_constantIbLb0EES1P_EEDaS1K_S1L_EUlS1K_E_NS1_11comp_targetILNS1_3genE8ELNS1_11target_archE1030ELNS1_3gpuE2ELNS1_3repE0EEENS1_30default_config_static_selectorELNS0_4arch9wavefront6targetE0EEEvSY_.num_agpr, 0
	.set _ZN7rocprim17ROCPRIM_400000_NS6detail17trampoline_kernelINS0_13select_configILj256ELj13ELNS0_17block_load_methodE3ELS4_3ELS4_3ELNS0_20block_scan_algorithmE0ELj4294967295EEENS1_25partition_config_selectorILNS1_17partition_subalgoE3EjNS0_10empty_typeEbEEZZNS1_14partition_implILS8_3ELb0ES6_jNS0_17counting_iteratorIjlEEPS9_SE_NS0_5tupleIJPjSE_EEENSF_IJSE_SE_EEES9_SG_JZNS1_25segmented_radix_sort_implINS0_14default_configELb1EPKbPbPKlPlN2at6native12_GLOBAL__N_18offset_tEEE10hipError_tPvRmT1_PNSt15iterator_traitsISY_E10value_typeET2_T3_PNSZ_IS14_E10value_typeET4_jRbjT5_S1A_jjP12ihipStream_tbEUljE_EEESV_SW_SX_S14_S18_S1A_T6_T7_T9_mT8_S1C_bDpT10_ENKUlT_T0_E_clISt17integral_constantIbLb0EES1P_EEDaS1K_S1L_EUlS1K_E_NS1_11comp_targetILNS1_3genE8ELNS1_11target_archE1030ELNS1_3gpuE2ELNS1_3repE0EEENS1_30default_config_static_selectorELNS0_4arch9wavefront6targetE0EEEvSY_.numbered_sgpr, 0
	.set _ZN7rocprim17ROCPRIM_400000_NS6detail17trampoline_kernelINS0_13select_configILj256ELj13ELNS0_17block_load_methodE3ELS4_3ELS4_3ELNS0_20block_scan_algorithmE0ELj4294967295EEENS1_25partition_config_selectorILNS1_17partition_subalgoE3EjNS0_10empty_typeEbEEZZNS1_14partition_implILS8_3ELb0ES6_jNS0_17counting_iteratorIjlEEPS9_SE_NS0_5tupleIJPjSE_EEENSF_IJSE_SE_EEES9_SG_JZNS1_25segmented_radix_sort_implINS0_14default_configELb1EPKbPbPKlPlN2at6native12_GLOBAL__N_18offset_tEEE10hipError_tPvRmT1_PNSt15iterator_traitsISY_E10value_typeET2_T3_PNSZ_IS14_E10value_typeET4_jRbjT5_S1A_jjP12ihipStream_tbEUljE_EEESV_SW_SX_S14_S18_S1A_T6_T7_T9_mT8_S1C_bDpT10_ENKUlT_T0_E_clISt17integral_constantIbLb0EES1P_EEDaS1K_S1L_EUlS1K_E_NS1_11comp_targetILNS1_3genE8ELNS1_11target_archE1030ELNS1_3gpuE2ELNS1_3repE0EEENS1_30default_config_static_selectorELNS0_4arch9wavefront6targetE0EEEvSY_.num_named_barrier, 0
	.set _ZN7rocprim17ROCPRIM_400000_NS6detail17trampoline_kernelINS0_13select_configILj256ELj13ELNS0_17block_load_methodE3ELS4_3ELS4_3ELNS0_20block_scan_algorithmE0ELj4294967295EEENS1_25partition_config_selectorILNS1_17partition_subalgoE3EjNS0_10empty_typeEbEEZZNS1_14partition_implILS8_3ELb0ES6_jNS0_17counting_iteratorIjlEEPS9_SE_NS0_5tupleIJPjSE_EEENSF_IJSE_SE_EEES9_SG_JZNS1_25segmented_radix_sort_implINS0_14default_configELb1EPKbPbPKlPlN2at6native12_GLOBAL__N_18offset_tEEE10hipError_tPvRmT1_PNSt15iterator_traitsISY_E10value_typeET2_T3_PNSZ_IS14_E10value_typeET4_jRbjT5_S1A_jjP12ihipStream_tbEUljE_EEESV_SW_SX_S14_S18_S1A_T6_T7_T9_mT8_S1C_bDpT10_ENKUlT_T0_E_clISt17integral_constantIbLb0EES1P_EEDaS1K_S1L_EUlS1K_E_NS1_11comp_targetILNS1_3genE8ELNS1_11target_archE1030ELNS1_3gpuE2ELNS1_3repE0EEENS1_30default_config_static_selectorELNS0_4arch9wavefront6targetE0EEEvSY_.private_seg_size, 0
	.set _ZN7rocprim17ROCPRIM_400000_NS6detail17trampoline_kernelINS0_13select_configILj256ELj13ELNS0_17block_load_methodE3ELS4_3ELS4_3ELNS0_20block_scan_algorithmE0ELj4294967295EEENS1_25partition_config_selectorILNS1_17partition_subalgoE3EjNS0_10empty_typeEbEEZZNS1_14partition_implILS8_3ELb0ES6_jNS0_17counting_iteratorIjlEEPS9_SE_NS0_5tupleIJPjSE_EEENSF_IJSE_SE_EEES9_SG_JZNS1_25segmented_radix_sort_implINS0_14default_configELb1EPKbPbPKlPlN2at6native12_GLOBAL__N_18offset_tEEE10hipError_tPvRmT1_PNSt15iterator_traitsISY_E10value_typeET2_T3_PNSZ_IS14_E10value_typeET4_jRbjT5_S1A_jjP12ihipStream_tbEUljE_EEESV_SW_SX_S14_S18_S1A_T6_T7_T9_mT8_S1C_bDpT10_ENKUlT_T0_E_clISt17integral_constantIbLb0EES1P_EEDaS1K_S1L_EUlS1K_E_NS1_11comp_targetILNS1_3genE8ELNS1_11target_archE1030ELNS1_3gpuE2ELNS1_3repE0EEENS1_30default_config_static_selectorELNS0_4arch9wavefront6targetE0EEEvSY_.uses_vcc, 0
	.set _ZN7rocprim17ROCPRIM_400000_NS6detail17trampoline_kernelINS0_13select_configILj256ELj13ELNS0_17block_load_methodE3ELS4_3ELS4_3ELNS0_20block_scan_algorithmE0ELj4294967295EEENS1_25partition_config_selectorILNS1_17partition_subalgoE3EjNS0_10empty_typeEbEEZZNS1_14partition_implILS8_3ELb0ES6_jNS0_17counting_iteratorIjlEEPS9_SE_NS0_5tupleIJPjSE_EEENSF_IJSE_SE_EEES9_SG_JZNS1_25segmented_radix_sort_implINS0_14default_configELb1EPKbPbPKlPlN2at6native12_GLOBAL__N_18offset_tEEE10hipError_tPvRmT1_PNSt15iterator_traitsISY_E10value_typeET2_T3_PNSZ_IS14_E10value_typeET4_jRbjT5_S1A_jjP12ihipStream_tbEUljE_EEESV_SW_SX_S14_S18_S1A_T6_T7_T9_mT8_S1C_bDpT10_ENKUlT_T0_E_clISt17integral_constantIbLb0EES1P_EEDaS1K_S1L_EUlS1K_E_NS1_11comp_targetILNS1_3genE8ELNS1_11target_archE1030ELNS1_3gpuE2ELNS1_3repE0EEENS1_30default_config_static_selectorELNS0_4arch9wavefront6targetE0EEEvSY_.uses_flat_scratch, 0
	.set _ZN7rocprim17ROCPRIM_400000_NS6detail17trampoline_kernelINS0_13select_configILj256ELj13ELNS0_17block_load_methodE3ELS4_3ELS4_3ELNS0_20block_scan_algorithmE0ELj4294967295EEENS1_25partition_config_selectorILNS1_17partition_subalgoE3EjNS0_10empty_typeEbEEZZNS1_14partition_implILS8_3ELb0ES6_jNS0_17counting_iteratorIjlEEPS9_SE_NS0_5tupleIJPjSE_EEENSF_IJSE_SE_EEES9_SG_JZNS1_25segmented_radix_sort_implINS0_14default_configELb1EPKbPbPKlPlN2at6native12_GLOBAL__N_18offset_tEEE10hipError_tPvRmT1_PNSt15iterator_traitsISY_E10value_typeET2_T3_PNSZ_IS14_E10value_typeET4_jRbjT5_S1A_jjP12ihipStream_tbEUljE_EEESV_SW_SX_S14_S18_S1A_T6_T7_T9_mT8_S1C_bDpT10_ENKUlT_T0_E_clISt17integral_constantIbLb0EES1P_EEDaS1K_S1L_EUlS1K_E_NS1_11comp_targetILNS1_3genE8ELNS1_11target_archE1030ELNS1_3gpuE2ELNS1_3repE0EEENS1_30default_config_static_selectorELNS0_4arch9wavefront6targetE0EEEvSY_.has_dyn_sized_stack, 0
	.set _ZN7rocprim17ROCPRIM_400000_NS6detail17trampoline_kernelINS0_13select_configILj256ELj13ELNS0_17block_load_methodE3ELS4_3ELS4_3ELNS0_20block_scan_algorithmE0ELj4294967295EEENS1_25partition_config_selectorILNS1_17partition_subalgoE3EjNS0_10empty_typeEbEEZZNS1_14partition_implILS8_3ELb0ES6_jNS0_17counting_iteratorIjlEEPS9_SE_NS0_5tupleIJPjSE_EEENSF_IJSE_SE_EEES9_SG_JZNS1_25segmented_radix_sort_implINS0_14default_configELb1EPKbPbPKlPlN2at6native12_GLOBAL__N_18offset_tEEE10hipError_tPvRmT1_PNSt15iterator_traitsISY_E10value_typeET2_T3_PNSZ_IS14_E10value_typeET4_jRbjT5_S1A_jjP12ihipStream_tbEUljE_EEESV_SW_SX_S14_S18_S1A_T6_T7_T9_mT8_S1C_bDpT10_ENKUlT_T0_E_clISt17integral_constantIbLb0EES1P_EEDaS1K_S1L_EUlS1K_E_NS1_11comp_targetILNS1_3genE8ELNS1_11target_archE1030ELNS1_3gpuE2ELNS1_3repE0EEENS1_30default_config_static_selectorELNS0_4arch9wavefront6targetE0EEEvSY_.has_recursion, 0
	.set _ZN7rocprim17ROCPRIM_400000_NS6detail17trampoline_kernelINS0_13select_configILj256ELj13ELNS0_17block_load_methodE3ELS4_3ELS4_3ELNS0_20block_scan_algorithmE0ELj4294967295EEENS1_25partition_config_selectorILNS1_17partition_subalgoE3EjNS0_10empty_typeEbEEZZNS1_14partition_implILS8_3ELb0ES6_jNS0_17counting_iteratorIjlEEPS9_SE_NS0_5tupleIJPjSE_EEENSF_IJSE_SE_EEES9_SG_JZNS1_25segmented_radix_sort_implINS0_14default_configELb1EPKbPbPKlPlN2at6native12_GLOBAL__N_18offset_tEEE10hipError_tPvRmT1_PNSt15iterator_traitsISY_E10value_typeET2_T3_PNSZ_IS14_E10value_typeET4_jRbjT5_S1A_jjP12ihipStream_tbEUljE_EEESV_SW_SX_S14_S18_S1A_T6_T7_T9_mT8_S1C_bDpT10_ENKUlT_T0_E_clISt17integral_constantIbLb0EES1P_EEDaS1K_S1L_EUlS1K_E_NS1_11comp_targetILNS1_3genE8ELNS1_11target_archE1030ELNS1_3gpuE2ELNS1_3repE0EEENS1_30default_config_static_selectorELNS0_4arch9wavefront6targetE0EEEvSY_.has_indirect_call, 0
	.section	.AMDGPU.csdata,"",@progbits
; Kernel info:
; codeLenInByte = 0
; TotalNumSgprs: 0
; NumVgprs: 0
; ScratchSize: 0
; MemoryBound: 0
; FloatMode: 240
; IeeeMode: 1
; LDSByteSize: 0 bytes/workgroup (compile time only)
; SGPRBlocks: 0
; VGPRBlocks: 0
; NumSGPRsForWavesPerEU: 1
; NumVGPRsForWavesPerEU: 1
; Occupancy: 16
; WaveLimiterHint : 0
; COMPUTE_PGM_RSRC2:SCRATCH_EN: 0
; COMPUTE_PGM_RSRC2:USER_SGPR: 2
; COMPUTE_PGM_RSRC2:TRAP_HANDLER: 0
; COMPUTE_PGM_RSRC2:TGID_X_EN: 1
; COMPUTE_PGM_RSRC2:TGID_Y_EN: 0
; COMPUTE_PGM_RSRC2:TGID_Z_EN: 0
; COMPUTE_PGM_RSRC2:TIDIG_COMP_CNT: 0
	.section	.text._ZN7rocprim17ROCPRIM_400000_NS6detail17trampoline_kernelINS0_13select_configILj256ELj13ELNS0_17block_load_methodE3ELS4_3ELS4_3ELNS0_20block_scan_algorithmE0ELj4294967295EEENS1_25partition_config_selectorILNS1_17partition_subalgoE3EjNS0_10empty_typeEbEEZZNS1_14partition_implILS8_3ELb0ES6_jNS0_17counting_iteratorIjlEEPS9_SE_NS0_5tupleIJPjSE_EEENSF_IJSE_SE_EEES9_SG_JZNS1_25segmented_radix_sort_implINS0_14default_configELb1EPKbPbPKlPlN2at6native12_GLOBAL__N_18offset_tEEE10hipError_tPvRmT1_PNSt15iterator_traitsISY_E10value_typeET2_T3_PNSZ_IS14_E10value_typeET4_jRbjT5_S1A_jjP12ihipStream_tbEUljE_EEESV_SW_SX_S14_S18_S1A_T6_T7_T9_mT8_S1C_bDpT10_ENKUlT_T0_E_clISt17integral_constantIbLb1EES1P_EEDaS1K_S1L_EUlS1K_E_NS1_11comp_targetILNS1_3genE0ELNS1_11target_archE4294967295ELNS1_3gpuE0ELNS1_3repE0EEENS1_30default_config_static_selectorELNS0_4arch9wavefront6targetE0EEEvSY_,"axG",@progbits,_ZN7rocprim17ROCPRIM_400000_NS6detail17trampoline_kernelINS0_13select_configILj256ELj13ELNS0_17block_load_methodE3ELS4_3ELS4_3ELNS0_20block_scan_algorithmE0ELj4294967295EEENS1_25partition_config_selectorILNS1_17partition_subalgoE3EjNS0_10empty_typeEbEEZZNS1_14partition_implILS8_3ELb0ES6_jNS0_17counting_iteratorIjlEEPS9_SE_NS0_5tupleIJPjSE_EEENSF_IJSE_SE_EEES9_SG_JZNS1_25segmented_radix_sort_implINS0_14default_configELb1EPKbPbPKlPlN2at6native12_GLOBAL__N_18offset_tEEE10hipError_tPvRmT1_PNSt15iterator_traitsISY_E10value_typeET2_T3_PNSZ_IS14_E10value_typeET4_jRbjT5_S1A_jjP12ihipStream_tbEUljE_EEESV_SW_SX_S14_S18_S1A_T6_T7_T9_mT8_S1C_bDpT10_ENKUlT_T0_E_clISt17integral_constantIbLb1EES1P_EEDaS1K_S1L_EUlS1K_E_NS1_11comp_targetILNS1_3genE0ELNS1_11target_archE4294967295ELNS1_3gpuE0ELNS1_3repE0EEENS1_30default_config_static_selectorELNS0_4arch9wavefront6targetE0EEEvSY_,comdat
	.globl	_ZN7rocprim17ROCPRIM_400000_NS6detail17trampoline_kernelINS0_13select_configILj256ELj13ELNS0_17block_load_methodE3ELS4_3ELS4_3ELNS0_20block_scan_algorithmE0ELj4294967295EEENS1_25partition_config_selectorILNS1_17partition_subalgoE3EjNS0_10empty_typeEbEEZZNS1_14partition_implILS8_3ELb0ES6_jNS0_17counting_iteratorIjlEEPS9_SE_NS0_5tupleIJPjSE_EEENSF_IJSE_SE_EEES9_SG_JZNS1_25segmented_radix_sort_implINS0_14default_configELb1EPKbPbPKlPlN2at6native12_GLOBAL__N_18offset_tEEE10hipError_tPvRmT1_PNSt15iterator_traitsISY_E10value_typeET2_T3_PNSZ_IS14_E10value_typeET4_jRbjT5_S1A_jjP12ihipStream_tbEUljE_EEESV_SW_SX_S14_S18_S1A_T6_T7_T9_mT8_S1C_bDpT10_ENKUlT_T0_E_clISt17integral_constantIbLb1EES1P_EEDaS1K_S1L_EUlS1K_E_NS1_11comp_targetILNS1_3genE0ELNS1_11target_archE4294967295ELNS1_3gpuE0ELNS1_3repE0EEENS1_30default_config_static_selectorELNS0_4arch9wavefront6targetE0EEEvSY_ ; -- Begin function _ZN7rocprim17ROCPRIM_400000_NS6detail17trampoline_kernelINS0_13select_configILj256ELj13ELNS0_17block_load_methodE3ELS4_3ELS4_3ELNS0_20block_scan_algorithmE0ELj4294967295EEENS1_25partition_config_selectorILNS1_17partition_subalgoE3EjNS0_10empty_typeEbEEZZNS1_14partition_implILS8_3ELb0ES6_jNS0_17counting_iteratorIjlEEPS9_SE_NS0_5tupleIJPjSE_EEENSF_IJSE_SE_EEES9_SG_JZNS1_25segmented_radix_sort_implINS0_14default_configELb1EPKbPbPKlPlN2at6native12_GLOBAL__N_18offset_tEEE10hipError_tPvRmT1_PNSt15iterator_traitsISY_E10value_typeET2_T3_PNSZ_IS14_E10value_typeET4_jRbjT5_S1A_jjP12ihipStream_tbEUljE_EEESV_SW_SX_S14_S18_S1A_T6_T7_T9_mT8_S1C_bDpT10_ENKUlT_T0_E_clISt17integral_constantIbLb1EES1P_EEDaS1K_S1L_EUlS1K_E_NS1_11comp_targetILNS1_3genE0ELNS1_11target_archE4294967295ELNS1_3gpuE0ELNS1_3repE0EEENS1_30default_config_static_selectorELNS0_4arch9wavefront6targetE0EEEvSY_
	.p2align	8
	.type	_ZN7rocprim17ROCPRIM_400000_NS6detail17trampoline_kernelINS0_13select_configILj256ELj13ELNS0_17block_load_methodE3ELS4_3ELS4_3ELNS0_20block_scan_algorithmE0ELj4294967295EEENS1_25partition_config_selectorILNS1_17partition_subalgoE3EjNS0_10empty_typeEbEEZZNS1_14partition_implILS8_3ELb0ES6_jNS0_17counting_iteratorIjlEEPS9_SE_NS0_5tupleIJPjSE_EEENSF_IJSE_SE_EEES9_SG_JZNS1_25segmented_radix_sort_implINS0_14default_configELb1EPKbPbPKlPlN2at6native12_GLOBAL__N_18offset_tEEE10hipError_tPvRmT1_PNSt15iterator_traitsISY_E10value_typeET2_T3_PNSZ_IS14_E10value_typeET4_jRbjT5_S1A_jjP12ihipStream_tbEUljE_EEESV_SW_SX_S14_S18_S1A_T6_T7_T9_mT8_S1C_bDpT10_ENKUlT_T0_E_clISt17integral_constantIbLb1EES1P_EEDaS1K_S1L_EUlS1K_E_NS1_11comp_targetILNS1_3genE0ELNS1_11target_archE4294967295ELNS1_3gpuE0ELNS1_3repE0EEENS1_30default_config_static_selectorELNS0_4arch9wavefront6targetE0EEEvSY_,@function
_ZN7rocprim17ROCPRIM_400000_NS6detail17trampoline_kernelINS0_13select_configILj256ELj13ELNS0_17block_load_methodE3ELS4_3ELS4_3ELNS0_20block_scan_algorithmE0ELj4294967295EEENS1_25partition_config_selectorILNS1_17partition_subalgoE3EjNS0_10empty_typeEbEEZZNS1_14partition_implILS8_3ELb0ES6_jNS0_17counting_iteratorIjlEEPS9_SE_NS0_5tupleIJPjSE_EEENSF_IJSE_SE_EEES9_SG_JZNS1_25segmented_radix_sort_implINS0_14default_configELb1EPKbPbPKlPlN2at6native12_GLOBAL__N_18offset_tEEE10hipError_tPvRmT1_PNSt15iterator_traitsISY_E10value_typeET2_T3_PNSZ_IS14_E10value_typeET4_jRbjT5_S1A_jjP12ihipStream_tbEUljE_EEESV_SW_SX_S14_S18_S1A_T6_T7_T9_mT8_S1C_bDpT10_ENKUlT_T0_E_clISt17integral_constantIbLb1EES1P_EEDaS1K_S1L_EUlS1K_E_NS1_11comp_targetILNS1_3genE0ELNS1_11target_archE4294967295ELNS1_3gpuE0ELNS1_3repE0EEENS1_30default_config_static_selectorELNS0_4arch9wavefront6targetE0EEEvSY_: ; @_ZN7rocprim17ROCPRIM_400000_NS6detail17trampoline_kernelINS0_13select_configILj256ELj13ELNS0_17block_load_methodE3ELS4_3ELS4_3ELNS0_20block_scan_algorithmE0ELj4294967295EEENS1_25partition_config_selectorILNS1_17partition_subalgoE3EjNS0_10empty_typeEbEEZZNS1_14partition_implILS8_3ELb0ES6_jNS0_17counting_iteratorIjlEEPS9_SE_NS0_5tupleIJPjSE_EEENSF_IJSE_SE_EEES9_SG_JZNS1_25segmented_radix_sort_implINS0_14default_configELb1EPKbPbPKlPlN2at6native12_GLOBAL__N_18offset_tEEE10hipError_tPvRmT1_PNSt15iterator_traitsISY_E10value_typeET2_T3_PNSZ_IS14_E10value_typeET4_jRbjT5_S1A_jjP12ihipStream_tbEUljE_EEESV_SW_SX_S14_S18_S1A_T6_T7_T9_mT8_S1C_bDpT10_ENKUlT_T0_E_clISt17integral_constantIbLb1EES1P_EEDaS1K_S1L_EUlS1K_E_NS1_11comp_targetILNS1_3genE0ELNS1_11target_archE4294967295ELNS1_3gpuE0ELNS1_3repE0EEENS1_30default_config_static_selectorELNS0_4arch9wavefront6targetE0EEEvSY_
; %bb.0:
	.section	.rodata,"a",@progbits
	.p2align	6, 0x0
	.amdhsa_kernel _ZN7rocprim17ROCPRIM_400000_NS6detail17trampoline_kernelINS0_13select_configILj256ELj13ELNS0_17block_load_methodE3ELS4_3ELS4_3ELNS0_20block_scan_algorithmE0ELj4294967295EEENS1_25partition_config_selectorILNS1_17partition_subalgoE3EjNS0_10empty_typeEbEEZZNS1_14partition_implILS8_3ELb0ES6_jNS0_17counting_iteratorIjlEEPS9_SE_NS0_5tupleIJPjSE_EEENSF_IJSE_SE_EEES9_SG_JZNS1_25segmented_radix_sort_implINS0_14default_configELb1EPKbPbPKlPlN2at6native12_GLOBAL__N_18offset_tEEE10hipError_tPvRmT1_PNSt15iterator_traitsISY_E10value_typeET2_T3_PNSZ_IS14_E10value_typeET4_jRbjT5_S1A_jjP12ihipStream_tbEUljE_EEESV_SW_SX_S14_S18_S1A_T6_T7_T9_mT8_S1C_bDpT10_ENKUlT_T0_E_clISt17integral_constantIbLb1EES1P_EEDaS1K_S1L_EUlS1K_E_NS1_11comp_targetILNS1_3genE0ELNS1_11target_archE4294967295ELNS1_3gpuE0ELNS1_3repE0EEENS1_30default_config_static_selectorELNS0_4arch9wavefront6targetE0EEEvSY_
		.amdhsa_group_segment_fixed_size 0
		.amdhsa_private_segment_fixed_size 0
		.amdhsa_kernarg_size 152
		.amdhsa_user_sgpr_count 2
		.amdhsa_user_sgpr_dispatch_ptr 0
		.amdhsa_user_sgpr_queue_ptr 0
		.amdhsa_user_sgpr_kernarg_segment_ptr 1
		.amdhsa_user_sgpr_dispatch_id 0
		.amdhsa_user_sgpr_private_segment_size 0
		.amdhsa_wavefront_size32 1
		.amdhsa_uses_dynamic_stack 0
		.amdhsa_enable_private_segment 0
		.amdhsa_system_sgpr_workgroup_id_x 1
		.amdhsa_system_sgpr_workgroup_id_y 0
		.amdhsa_system_sgpr_workgroup_id_z 0
		.amdhsa_system_sgpr_workgroup_info 0
		.amdhsa_system_vgpr_workitem_id 0
		.amdhsa_next_free_vgpr 1
		.amdhsa_next_free_sgpr 1
		.amdhsa_reserve_vcc 0
		.amdhsa_float_round_mode_32 0
		.amdhsa_float_round_mode_16_64 0
		.amdhsa_float_denorm_mode_32 3
		.amdhsa_float_denorm_mode_16_64 3
		.amdhsa_fp16_overflow 0
		.amdhsa_workgroup_processor_mode 1
		.amdhsa_memory_ordered 1
		.amdhsa_forward_progress 1
		.amdhsa_inst_pref_size 0
		.amdhsa_round_robin_scheduling 0
		.amdhsa_exception_fp_ieee_invalid_op 0
		.amdhsa_exception_fp_denorm_src 0
		.amdhsa_exception_fp_ieee_div_zero 0
		.amdhsa_exception_fp_ieee_overflow 0
		.amdhsa_exception_fp_ieee_underflow 0
		.amdhsa_exception_fp_ieee_inexact 0
		.amdhsa_exception_int_div_zero 0
	.end_amdhsa_kernel
	.section	.text._ZN7rocprim17ROCPRIM_400000_NS6detail17trampoline_kernelINS0_13select_configILj256ELj13ELNS0_17block_load_methodE3ELS4_3ELS4_3ELNS0_20block_scan_algorithmE0ELj4294967295EEENS1_25partition_config_selectorILNS1_17partition_subalgoE3EjNS0_10empty_typeEbEEZZNS1_14partition_implILS8_3ELb0ES6_jNS0_17counting_iteratorIjlEEPS9_SE_NS0_5tupleIJPjSE_EEENSF_IJSE_SE_EEES9_SG_JZNS1_25segmented_radix_sort_implINS0_14default_configELb1EPKbPbPKlPlN2at6native12_GLOBAL__N_18offset_tEEE10hipError_tPvRmT1_PNSt15iterator_traitsISY_E10value_typeET2_T3_PNSZ_IS14_E10value_typeET4_jRbjT5_S1A_jjP12ihipStream_tbEUljE_EEESV_SW_SX_S14_S18_S1A_T6_T7_T9_mT8_S1C_bDpT10_ENKUlT_T0_E_clISt17integral_constantIbLb1EES1P_EEDaS1K_S1L_EUlS1K_E_NS1_11comp_targetILNS1_3genE0ELNS1_11target_archE4294967295ELNS1_3gpuE0ELNS1_3repE0EEENS1_30default_config_static_selectorELNS0_4arch9wavefront6targetE0EEEvSY_,"axG",@progbits,_ZN7rocprim17ROCPRIM_400000_NS6detail17trampoline_kernelINS0_13select_configILj256ELj13ELNS0_17block_load_methodE3ELS4_3ELS4_3ELNS0_20block_scan_algorithmE0ELj4294967295EEENS1_25partition_config_selectorILNS1_17partition_subalgoE3EjNS0_10empty_typeEbEEZZNS1_14partition_implILS8_3ELb0ES6_jNS0_17counting_iteratorIjlEEPS9_SE_NS0_5tupleIJPjSE_EEENSF_IJSE_SE_EEES9_SG_JZNS1_25segmented_radix_sort_implINS0_14default_configELb1EPKbPbPKlPlN2at6native12_GLOBAL__N_18offset_tEEE10hipError_tPvRmT1_PNSt15iterator_traitsISY_E10value_typeET2_T3_PNSZ_IS14_E10value_typeET4_jRbjT5_S1A_jjP12ihipStream_tbEUljE_EEESV_SW_SX_S14_S18_S1A_T6_T7_T9_mT8_S1C_bDpT10_ENKUlT_T0_E_clISt17integral_constantIbLb1EES1P_EEDaS1K_S1L_EUlS1K_E_NS1_11comp_targetILNS1_3genE0ELNS1_11target_archE4294967295ELNS1_3gpuE0ELNS1_3repE0EEENS1_30default_config_static_selectorELNS0_4arch9wavefront6targetE0EEEvSY_,comdat
.Lfunc_end1508:
	.size	_ZN7rocprim17ROCPRIM_400000_NS6detail17trampoline_kernelINS0_13select_configILj256ELj13ELNS0_17block_load_methodE3ELS4_3ELS4_3ELNS0_20block_scan_algorithmE0ELj4294967295EEENS1_25partition_config_selectorILNS1_17partition_subalgoE3EjNS0_10empty_typeEbEEZZNS1_14partition_implILS8_3ELb0ES6_jNS0_17counting_iteratorIjlEEPS9_SE_NS0_5tupleIJPjSE_EEENSF_IJSE_SE_EEES9_SG_JZNS1_25segmented_radix_sort_implINS0_14default_configELb1EPKbPbPKlPlN2at6native12_GLOBAL__N_18offset_tEEE10hipError_tPvRmT1_PNSt15iterator_traitsISY_E10value_typeET2_T3_PNSZ_IS14_E10value_typeET4_jRbjT5_S1A_jjP12ihipStream_tbEUljE_EEESV_SW_SX_S14_S18_S1A_T6_T7_T9_mT8_S1C_bDpT10_ENKUlT_T0_E_clISt17integral_constantIbLb1EES1P_EEDaS1K_S1L_EUlS1K_E_NS1_11comp_targetILNS1_3genE0ELNS1_11target_archE4294967295ELNS1_3gpuE0ELNS1_3repE0EEENS1_30default_config_static_selectorELNS0_4arch9wavefront6targetE0EEEvSY_, .Lfunc_end1508-_ZN7rocprim17ROCPRIM_400000_NS6detail17trampoline_kernelINS0_13select_configILj256ELj13ELNS0_17block_load_methodE3ELS4_3ELS4_3ELNS0_20block_scan_algorithmE0ELj4294967295EEENS1_25partition_config_selectorILNS1_17partition_subalgoE3EjNS0_10empty_typeEbEEZZNS1_14partition_implILS8_3ELb0ES6_jNS0_17counting_iteratorIjlEEPS9_SE_NS0_5tupleIJPjSE_EEENSF_IJSE_SE_EEES9_SG_JZNS1_25segmented_radix_sort_implINS0_14default_configELb1EPKbPbPKlPlN2at6native12_GLOBAL__N_18offset_tEEE10hipError_tPvRmT1_PNSt15iterator_traitsISY_E10value_typeET2_T3_PNSZ_IS14_E10value_typeET4_jRbjT5_S1A_jjP12ihipStream_tbEUljE_EEESV_SW_SX_S14_S18_S1A_T6_T7_T9_mT8_S1C_bDpT10_ENKUlT_T0_E_clISt17integral_constantIbLb1EES1P_EEDaS1K_S1L_EUlS1K_E_NS1_11comp_targetILNS1_3genE0ELNS1_11target_archE4294967295ELNS1_3gpuE0ELNS1_3repE0EEENS1_30default_config_static_selectorELNS0_4arch9wavefront6targetE0EEEvSY_
                                        ; -- End function
	.set _ZN7rocprim17ROCPRIM_400000_NS6detail17trampoline_kernelINS0_13select_configILj256ELj13ELNS0_17block_load_methodE3ELS4_3ELS4_3ELNS0_20block_scan_algorithmE0ELj4294967295EEENS1_25partition_config_selectorILNS1_17partition_subalgoE3EjNS0_10empty_typeEbEEZZNS1_14partition_implILS8_3ELb0ES6_jNS0_17counting_iteratorIjlEEPS9_SE_NS0_5tupleIJPjSE_EEENSF_IJSE_SE_EEES9_SG_JZNS1_25segmented_radix_sort_implINS0_14default_configELb1EPKbPbPKlPlN2at6native12_GLOBAL__N_18offset_tEEE10hipError_tPvRmT1_PNSt15iterator_traitsISY_E10value_typeET2_T3_PNSZ_IS14_E10value_typeET4_jRbjT5_S1A_jjP12ihipStream_tbEUljE_EEESV_SW_SX_S14_S18_S1A_T6_T7_T9_mT8_S1C_bDpT10_ENKUlT_T0_E_clISt17integral_constantIbLb1EES1P_EEDaS1K_S1L_EUlS1K_E_NS1_11comp_targetILNS1_3genE0ELNS1_11target_archE4294967295ELNS1_3gpuE0ELNS1_3repE0EEENS1_30default_config_static_selectorELNS0_4arch9wavefront6targetE0EEEvSY_.num_vgpr, 0
	.set _ZN7rocprim17ROCPRIM_400000_NS6detail17trampoline_kernelINS0_13select_configILj256ELj13ELNS0_17block_load_methodE3ELS4_3ELS4_3ELNS0_20block_scan_algorithmE0ELj4294967295EEENS1_25partition_config_selectorILNS1_17partition_subalgoE3EjNS0_10empty_typeEbEEZZNS1_14partition_implILS8_3ELb0ES6_jNS0_17counting_iteratorIjlEEPS9_SE_NS0_5tupleIJPjSE_EEENSF_IJSE_SE_EEES9_SG_JZNS1_25segmented_radix_sort_implINS0_14default_configELb1EPKbPbPKlPlN2at6native12_GLOBAL__N_18offset_tEEE10hipError_tPvRmT1_PNSt15iterator_traitsISY_E10value_typeET2_T3_PNSZ_IS14_E10value_typeET4_jRbjT5_S1A_jjP12ihipStream_tbEUljE_EEESV_SW_SX_S14_S18_S1A_T6_T7_T9_mT8_S1C_bDpT10_ENKUlT_T0_E_clISt17integral_constantIbLb1EES1P_EEDaS1K_S1L_EUlS1K_E_NS1_11comp_targetILNS1_3genE0ELNS1_11target_archE4294967295ELNS1_3gpuE0ELNS1_3repE0EEENS1_30default_config_static_selectorELNS0_4arch9wavefront6targetE0EEEvSY_.num_agpr, 0
	.set _ZN7rocprim17ROCPRIM_400000_NS6detail17trampoline_kernelINS0_13select_configILj256ELj13ELNS0_17block_load_methodE3ELS4_3ELS4_3ELNS0_20block_scan_algorithmE0ELj4294967295EEENS1_25partition_config_selectorILNS1_17partition_subalgoE3EjNS0_10empty_typeEbEEZZNS1_14partition_implILS8_3ELb0ES6_jNS0_17counting_iteratorIjlEEPS9_SE_NS0_5tupleIJPjSE_EEENSF_IJSE_SE_EEES9_SG_JZNS1_25segmented_radix_sort_implINS0_14default_configELb1EPKbPbPKlPlN2at6native12_GLOBAL__N_18offset_tEEE10hipError_tPvRmT1_PNSt15iterator_traitsISY_E10value_typeET2_T3_PNSZ_IS14_E10value_typeET4_jRbjT5_S1A_jjP12ihipStream_tbEUljE_EEESV_SW_SX_S14_S18_S1A_T6_T7_T9_mT8_S1C_bDpT10_ENKUlT_T0_E_clISt17integral_constantIbLb1EES1P_EEDaS1K_S1L_EUlS1K_E_NS1_11comp_targetILNS1_3genE0ELNS1_11target_archE4294967295ELNS1_3gpuE0ELNS1_3repE0EEENS1_30default_config_static_selectorELNS0_4arch9wavefront6targetE0EEEvSY_.numbered_sgpr, 0
	.set _ZN7rocprim17ROCPRIM_400000_NS6detail17trampoline_kernelINS0_13select_configILj256ELj13ELNS0_17block_load_methodE3ELS4_3ELS4_3ELNS0_20block_scan_algorithmE0ELj4294967295EEENS1_25partition_config_selectorILNS1_17partition_subalgoE3EjNS0_10empty_typeEbEEZZNS1_14partition_implILS8_3ELb0ES6_jNS0_17counting_iteratorIjlEEPS9_SE_NS0_5tupleIJPjSE_EEENSF_IJSE_SE_EEES9_SG_JZNS1_25segmented_radix_sort_implINS0_14default_configELb1EPKbPbPKlPlN2at6native12_GLOBAL__N_18offset_tEEE10hipError_tPvRmT1_PNSt15iterator_traitsISY_E10value_typeET2_T3_PNSZ_IS14_E10value_typeET4_jRbjT5_S1A_jjP12ihipStream_tbEUljE_EEESV_SW_SX_S14_S18_S1A_T6_T7_T9_mT8_S1C_bDpT10_ENKUlT_T0_E_clISt17integral_constantIbLb1EES1P_EEDaS1K_S1L_EUlS1K_E_NS1_11comp_targetILNS1_3genE0ELNS1_11target_archE4294967295ELNS1_3gpuE0ELNS1_3repE0EEENS1_30default_config_static_selectorELNS0_4arch9wavefront6targetE0EEEvSY_.num_named_barrier, 0
	.set _ZN7rocprim17ROCPRIM_400000_NS6detail17trampoline_kernelINS0_13select_configILj256ELj13ELNS0_17block_load_methodE3ELS4_3ELS4_3ELNS0_20block_scan_algorithmE0ELj4294967295EEENS1_25partition_config_selectorILNS1_17partition_subalgoE3EjNS0_10empty_typeEbEEZZNS1_14partition_implILS8_3ELb0ES6_jNS0_17counting_iteratorIjlEEPS9_SE_NS0_5tupleIJPjSE_EEENSF_IJSE_SE_EEES9_SG_JZNS1_25segmented_radix_sort_implINS0_14default_configELb1EPKbPbPKlPlN2at6native12_GLOBAL__N_18offset_tEEE10hipError_tPvRmT1_PNSt15iterator_traitsISY_E10value_typeET2_T3_PNSZ_IS14_E10value_typeET4_jRbjT5_S1A_jjP12ihipStream_tbEUljE_EEESV_SW_SX_S14_S18_S1A_T6_T7_T9_mT8_S1C_bDpT10_ENKUlT_T0_E_clISt17integral_constantIbLb1EES1P_EEDaS1K_S1L_EUlS1K_E_NS1_11comp_targetILNS1_3genE0ELNS1_11target_archE4294967295ELNS1_3gpuE0ELNS1_3repE0EEENS1_30default_config_static_selectorELNS0_4arch9wavefront6targetE0EEEvSY_.private_seg_size, 0
	.set _ZN7rocprim17ROCPRIM_400000_NS6detail17trampoline_kernelINS0_13select_configILj256ELj13ELNS0_17block_load_methodE3ELS4_3ELS4_3ELNS0_20block_scan_algorithmE0ELj4294967295EEENS1_25partition_config_selectorILNS1_17partition_subalgoE3EjNS0_10empty_typeEbEEZZNS1_14partition_implILS8_3ELb0ES6_jNS0_17counting_iteratorIjlEEPS9_SE_NS0_5tupleIJPjSE_EEENSF_IJSE_SE_EEES9_SG_JZNS1_25segmented_radix_sort_implINS0_14default_configELb1EPKbPbPKlPlN2at6native12_GLOBAL__N_18offset_tEEE10hipError_tPvRmT1_PNSt15iterator_traitsISY_E10value_typeET2_T3_PNSZ_IS14_E10value_typeET4_jRbjT5_S1A_jjP12ihipStream_tbEUljE_EEESV_SW_SX_S14_S18_S1A_T6_T7_T9_mT8_S1C_bDpT10_ENKUlT_T0_E_clISt17integral_constantIbLb1EES1P_EEDaS1K_S1L_EUlS1K_E_NS1_11comp_targetILNS1_3genE0ELNS1_11target_archE4294967295ELNS1_3gpuE0ELNS1_3repE0EEENS1_30default_config_static_selectorELNS0_4arch9wavefront6targetE0EEEvSY_.uses_vcc, 0
	.set _ZN7rocprim17ROCPRIM_400000_NS6detail17trampoline_kernelINS0_13select_configILj256ELj13ELNS0_17block_load_methodE3ELS4_3ELS4_3ELNS0_20block_scan_algorithmE0ELj4294967295EEENS1_25partition_config_selectorILNS1_17partition_subalgoE3EjNS0_10empty_typeEbEEZZNS1_14partition_implILS8_3ELb0ES6_jNS0_17counting_iteratorIjlEEPS9_SE_NS0_5tupleIJPjSE_EEENSF_IJSE_SE_EEES9_SG_JZNS1_25segmented_radix_sort_implINS0_14default_configELb1EPKbPbPKlPlN2at6native12_GLOBAL__N_18offset_tEEE10hipError_tPvRmT1_PNSt15iterator_traitsISY_E10value_typeET2_T3_PNSZ_IS14_E10value_typeET4_jRbjT5_S1A_jjP12ihipStream_tbEUljE_EEESV_SW_SX_S14_S18_S1A_T6_T7_T9_mT8_S1C_bDpT10_ENKUlT_T0_E_clISt17integral_constantIbLb1EES1P_EEDaS1K_S1L_EUlS1K_E_NS1_11comp_targetILNS1_3genE0ELNS1_11target_archE4294967295ELNS1_3gpuE0ELNS1_3repE0EEENS1_30default_config_static_selectorELNS0_4arch9wavefront6targetE0EEEvSY_.uses_flat_scratch, 0
	.set _ZN7rocprim17ROCPRIM_400000_NS6detail17trampoline_kernelINS0_13select_configILj256ELj13ELNS0_17block_load_methodE3ELS4_3ELS4_3ELNS0_20block_scan_algorithmE0ELj4294967295EEENS1_25partition_config_selectorILNS1_17partition_subalgoE3EjNS0_10empty_typeEbEEZZNS1_14partition_implILS8_3ELb0ES6_jNS0_17counting_iteratorIjlEEPS9_SE_NS0_5tupleIJPjSE_EEENSF_IJSE_SE_EEES9_SG_JZNS1_25segmented_radix_sort_implINS0_14default_configELb1EPKbPbPKlPlN2at6native12_GLOBAL__N_18offset_tEEE10hipError_tPvRmT1_PNSt15iterator_traitsISY_E10value_typeET2_T3_PNSZ_IS14_E10value_typeET4_jRbjT5_S1A_jjP12ihipStream_tbEUljE_EEESV_SW_SX_S14_S18_S1A_T6_T7_T9_mT8_S1C_bDpT10_ENKUlT_T0_E_clISt17integral_constantIbLb1EES1P_EEDaS1K_S1L_EUlS1K_E_NS1_11comp_targetILNS1_3genE0ELNS1_11target_archE4294967295ELNS1_3gpuE0ELNS1_3repE0EEENS1_30default_config_static_selectorELNS0_4arch9wavefront6targetE0EEEvSY_.has_dyn_sized_stack, 0
	.set _ZN7rocprim17ROCPRIM_400000_NS6detail17trampoline_kernelINS0_13select_configILj256ELj13ELNS0_17block_load_methodE3ELS4_3ELS4_3ELNS0_20block_scan_algorithmE0ELj4294967295EEENS1_25partition_config_selectorILNS1_17partition_subalgoE3EjNS0_10empty_typeEbEEZZNS1_14partition_implILS8_3ELb0ES6_jNS0_17counting_iteratorIjlEEPS9_SE_NS0_5tupleIJPjSE_EEENSF_IJSE_SE_EEES9_SG_JZNS1_25segmented_radix_sort_implINS0_14default_configELb1EPKbPbPKlPlN2at6native12_GLOBAL__N_18offset_tEEE10hipError_tPvRmT1_PNSt15iterator_traitsISY_E10value_typeET2_T3_PNSZ_IS14_E10value_typeET4_jRbjT5_S1A_jjP12ihipStream_tbEUljE_EEESV_SW_SX_S14_S18_S1A_T6_T7_T9_mT8_S1C_bDpT10_ENKUlT_T0_E_clISt17integral_constantIbLb1EES1P_EEDaS1K_S1L_EUlS1K_E_NS1_11comp_targetILNS1_3genE0ELNS1_11target_archE4294967295ELNS1_3gpuE0ELNS1_3repE0EEENS1_30default_config_static_selectorELNS0_4arch9wavefront6targetE0EEEvSY_.has_recursion, 0
	.set _ZN7rocprim17ROCPRIM_400000_NS6detail17trampoline_kernelINS0_13select_configILj256ELj13ELNS0_17block_load_methodE3ELS4_3ELS4_3ELNS0_20block_scan_algorithmE0ELj4294967295EEENS1_25partition_config_selectorILNS1_17partition_subalgoE3EjNS0_10empty_typeEbEEZZNS1_14partition_implILS8_3ELb0ES6_jNS0_17counting_iteratorIjlEEPS9_SE_NS0_5tupleIJPjSE_EEENSF_IJSE_SE_EEES9_SG_JZNS1_25segmented_radix_sort_implINS0_14default_configELb1EPKbPbPKlPlN2at6native12_GLOBAL__N_18offset_tEEE10hipError_tPvRmT1_PNSt15iterator_traitsISY_E10value_typeET2_T3_PNSZ_IS14_E10value_typeET4_jRbjT5_S1A_jjP12ihipStream_tbEUljE_EEESV_SW_SX_S14_S18_S1A_T6_T7_T9_mT8_S1C_bDpT10_ENKUlT_T0_E_clISt17integral_constantIbLb1EES1P_EEDaS1K_S1L_EUlS1K_E_NS1_11comp_targetILNS1_3genE0ELNS1_11target_archE4294967295ELNS1_3gpuE0ELNS1_3repE0EEENS1_30default_config_static_selectorELNS0_4arch9wavefront6targetE0EEEvSY_.has_indirect_call, 0
	.section	.AMDGPU.csdata,"",@progbits
; Kernel info:
; codeLenInByte = 0
; TotalNumSgprs: 0
; NumVgprs: 0
; ScratchSize: 0
; MemoryBound: 0
; FloatMode: 240
; IeeeMode: 1
; LDSByteSize: 0 bytes/workgroup (compile time only)
; SGPRBlocks: 0
; VGPRBlocks: 0
; NumSGPRsForWavesPerEU: 1
; NumVGPRsForWavesPerEU: 1
; Occupancy: 16
; WaveLimiterHint : 0
; COMPUTE_PGM_RSRC2:SCRATCH_EN: 0
; COMPUTE_PGM_RSRC2:USER_SGPR: 2
; COMPUTE_PGM_RSRC2:TRAP_HANDLER: 0
; COMPUTE_PGM_RSRC2:TGID_X_EN: 1
; COMPUTE_PGM_RSRC2:TGID_Y_EN: 0
; COMPUTE_PGM_RSRC2:TGID_Z_EN: 0
; COMPUTE_PGM_RSRC2:TIDIG_COMP_CNT: 0
	.section	.text._ZN7rocprim17ROCPRIM_400000_NS6detail17trampoline_kernelINS0_13select_configILj256ELj13ELNS0_17block_load_methodE3ELS4_3ELS4_3ELNS0_20block_scan_algorithmE0ELj4294967295EEENS1_25partition_config_selectorILNS1_17partition_subalgoE3EjNS0_10empty_typeEbEEZZNS1_14partition_implILS8_3ELb0ES6_jNS0_17counting_iteratorIjlEEPS9_SE_NS0_5tupleIJPjSE_EEENSF_IJSE_SE_EEES9_SG_JZNS1_25segmented_radix_sort_implINS0_14default_configELb1EPKbPbPKlPlN2at6native12_GLOBAL__N_18offset_tEEE10hipError_tPvRmT1_PNSt15iterator_traitsISY_E10value_typeET2_T3_PNSZ_IS14_E10value_typeET4_jRbjT5_S1A_jjP12ihipStream_tbEUljE_EEESV_SW_SX_S14_S18_S1A_T6_T7_T9_mT8_S1C_bDpT10_ENKUlT_T0_E_clISt17integral_constantIbLb1EES1P_EEDaS1K_S1L_EUlS1K_E_NS1_11comp_targetILNS1_3genE5ELNS1_11target_archE942ELNS1_3gpuE9ELNS1_3repE0EEENS1_30default_config_static_selectorELNS0_4arch9wavefront6targetE0EEEvSY_,"axG",@progbits,_ZN7rocprim17ROCPRIM_400000_NS6detail17trampoline_kernelINS0_13select_configILj256ELj13ELNS0_17block_load_methodE3ELS4_3ELS4_3ELNS0_20block_scan_algorithmE0ELj4294967295EEENS1_25partition_config_selectorILNS1_17partition_subalgoE3EjNS0_10empty_typeEbEEZZNS1_14partition_implILS8_3ELb0ES6_jNS0_17counting_iteratorIjlEEPS9_SE_NS0_5tupleIJPjSE_EEENSF_IJSE_SE_EEES9_SG_JZNS1_25segmented_radix_sort_implINS0_14default_configELb1EPKbPbPKlPlN2at6native12_GLOBAL__N_18offset_tEEE10hipError_tPvRmT1_PNSt15iterator_traitsISY_E10value_typeET2_T3_PNSZ_IS14_E10value_typeET4_jRbjT5_S1A_jjP12ihipStream_tbEUljE_EEESV_SW_SX_S14_S18_S1A_T6_T7_T9_mT8_S1C_bDpT10_ENKUlT_T0_E_clISt17integral_constantIbLb1EES1P_EEDaS1K_S1L_EUlS1K_E_NS1_11comp_targetILNS1_3genE5ELNS1_11target_archE942ELNS1_3gpuE9ELNS1_3repE0EEENS1_30default_config_static_selectorELNS0_4arch9wavefront6targetE0EEEvSY_,comdat
	.globl	_ZN7rocprim17ROCPRIM_400000_NS6detail17trampoline_kernelINS0_13select_configILj256ELj13ELNS0_17block_load_methodE3ELS4_3ELS4_3ELNS0_20block_scan_algorithmE0ELj4294967295EEENS1_25partition_config_selectorILNS1_17partition_subalgoE3EjNS0_10empty_typeEbEEZZNS1_14partition_implILS8_3ELb0ES6_jNS0_17counting_iteratorIjlEEPS9_SE_NS0_5tupleIJPjSE_EEENSF_IJSE_SE_EEES9_SG_JZNS1_25segmented_radix_sort_implINS0_14default_configELb1EPKbPbPKlPlN2at6native12_GLOBAL__N_18offset_tEEE10hipError_tPvRmT1_PNSt15iterator_traitsISY_E10value_typeET2_T3_PNSZ_IS14_E10value_typeET4_jRbjT5_S1A_jjP12ihipStream_tbEUljE_EEESV_SW_SX_S14_S18_S1A_T6_T7_T9_mT8_S1C_bDpT10_ENKUlT_T0_E_clISt17integral_constantIbLb1EES1P_EEDaS1K_S1L_EUlS1K_E_NS1_11comp_targetILNS1_3genE5ELNS1_11target_archE942ELNS1_3gpuE9ELNS1_3repE0EEENS1_30default_config_static_selectorELNS0_4arch9wavefront6targetE0EEEvSY_ ; -- Begin function _ZN7rocprim17ROCPRIM_400000_NS6detail17trampoline_kernelINS0_13select_configILj256ELj13ELNS0_17block_load_methodE3ELS4_3ELS4_3ELNS0_20block_scan_algorithmE0ELj4294967295EEENS1_25partition_config_selectorILNS1_17partition_subalgoE3EjNS0_10empty_typeEbEEZZNS1_14partition_implILS8_3ELb0ES6_jNS0_17counting_iteratorIjlEEPS9_SE_NS0_5tupleIJPjSE_EEENSF_IJSE_SE_EEES9_SG_JZNS1_25segmented_radix_sort_implINS0_14default_configELb1EPKbPbPKlPlN2at6native12_GLOBAL__N_18offset_tEEE10hipError_tPvRmT1_PNSt15iterator_traitsISY_E10value_typeET2_T3_PNSZ_IS14_E10value_typeET4_jRbjT5_S1A_jjP12ihipStream_tbEUljE_EEESV_SW_SX_S14_S18_S1A_T6_T7_T9_mT8_S1C_bDpT10_ENKUlT_T0_E_clISt17integral_constantIbLb1EES1P_EEDaS1K_S1L_EUlS1K_E_NS1_11comp_targetILNS1_3genE5ELNS1_11target_archE942ELNS1_3gpuE9ELNS1_3repE0EEENS1_30default_config_static_selectorELNS0_4arch9wavefront6targetE0EEEvSY_
	.p2align	8
	.type	_ZN7rocprim17ROCPRIM_400000_NS6detail17trampoline_kernelINS0_13select_configILj256ELj13ELNS0_17block_load_methodE3ELS4_3ELS4_3ELNS0_20block_scan_algorithmE0ELj4294967295EEENS1_25partition_config_selectorILNS1_17partition_subalgoE3EjNS0_10empty_typeEbEEZZNS1_14partition_implILS8_3ELb0ES6_jNS0_17counting_iteratorIjlEEPS9_SE_NS0_5tupleIJPjSE_EEENSF_IJSE_SE_EEES9_SG_JZNS1_25segmented_radix_sort_implINS0_14default_configELb1EPKbPbPKlPlN2at6native12_GLOBAL__N_18offset_tEEE10hipError_tPvRmT1_PNSt15iterator_traitsISY_E10value_typeET2_T3_PNSZ_IS14_E10value_typeET4_jRbjT5_S1A_jjP12ihipStream_tbEUljE_EEESV_SW_SX_S14_S18_S1A_T6_T7_T9_mT8_S1C_bDpT10_ENKUlT_T0_E_clISt17integral_constantIbLb1EES1P_EEDaS1K_S1L_EUlS1K_E_NS1_11comp_targetILNS1_3genE5ELNS1_11target_archE942ELNS1_3gpuE9ELNS1_3repE0EEENS1_30default_config_static_selectorELNS0_4arch9wavefront6targetE0EEEvSY_,@function
_ZN7rocprim17ROCPRIM_400000_NS6detail17trampoline_kernelINS0_13select_configILj256ELj13ELNS0_17block_load_methodE3ELS4_3ELS4_3ELNS0_20block_scan_algorithmE0ELj4294967295EEENS1_25partition_config_selectorILNS1_17partition_subalgoE3EjNS0_10empty_typeEbEEZZNS1_14partition_implILS8_3ELb0ES6_jNS0_17counting_iteratorIjlEEPS9_SE_NS0_5tupleIJPjSE_EEENSF_IJSE_SE_EEES9_SG_JZNS1_25segmented_radix_sort_implINS0_14default_configELb1EPKbPbPKlPlN2at6native12_GLOBAL__N_18offset_tEEE10hipError_tPvRmT1_PNSt15iterator_traitsISY_E10value_typeET2_T3_PNSZ_IS14_E10value_typeET4_jRbjT5_S1A_jjP12ihipStream_tbEUljE_EEESV_SW_SX_S14_S18_S1A_T6_T7_T9_mT8_S1C_bDpT10_ENKUlT_T0_E_clISt17integral_constantIbLb1EES1P_EEDaS1K_S1L_EUlS1K_E_NS1_11comp_targetILNS1_3genE5ELNS1_11target_archE942ELNS1_3gpuE9ELNS1_3repE0EEENS1_30default_config_static_selectorELNS0_4arch9wavefront6targetE0EEEvSY_: ; @_ZN7rocprim17ROCPRIM_400000_NS6detail17trampoline_kernelINS0_13select_configILj256ELj13ELNS0_17block_load_methodE3ELS4_3ELS4_3ELNS0_20block_scan_algorithmE0ELj4294967295EEENS1_25partition_config_selectorILNS1_17partition_subalgoE3EjNS0_10empty_typeEbEEZZNS1_14partition_implILS8_3ELb0ES6_jNS0_17counting_iteratorIjlEEPS9_SE_NS0_5tupleIJPjSE_EEENSF_IJSE_SE_EEES9_SG_JZNS1_25segmented_radix_sort_implINS0_14default_configELb1EPKbPbPKlPlN2at6native12_GLOBAL__N_18offset_tEEE10hipError_tPvRmT1_PNSt15iterator_traitsISY_E10value_typeET2_T3_PNSZ_IS14_E10value_typeET4_jRbjT5_S1A_jjP12ihipStream_tbEUljE_EEESV_SW_SX_S14_S18_S1A_T6_T7_T9_mT8_S1C_bDpT10_ENKUlT_T0_E_clISt17integral_constantIbLb1EES1P_EEDaS1K_S1L_EUlS1K_E_NS1_11comp_targetILNS1_3genE5ELNS1_11target_archE942ELNS1_3gpuE9ELNS1_3repE0EEENS1_30default_config_static_selectorELNS0_4arch9wavefront6targetE0EEEvSY_
; %bb.0:
	.section	.rodata,"a",@progbits
	.p2align	6, 0x0
	.amdhsa_kernel _ZN7rocprim17ROCPRIM_400000_NS6detail17trampoline_kernelINS0_13select_configILj256ELj13ELNS0_17block_load_methodE3ELS4_3ELS4_3ELNS0_20block_scan_algorithmE0ELj4294967295EEENS1_25partition_config_selectorILNS1_17partition_subalgoE3EjNS0_10empty_typeEbEEZZNS1_14partition_implILS8_3ELb0ES6_jNS0_17counting_iteratorIjlEEPS9_SE_NS0_5tupleIJPjSE_EEENSF_IJSE_SE_EEES9_SG_JZNS1_25segmented_radix_sort_implINS0_14default_configELb1EPKbPbPKlPlN2at6native12_GLOBAL__N_18offset_tEEE10hipError_tPvRmT1_PNSt15iterator_traitsISY_E10value_typeET2_T3_PNSZ_IS14_E10value_typeET4_jRbjT5_S1A_jjP12ihipStream_tbEUljE_EEESV_SW_SX_S14_S18_S1A_T6_T7_T9_mT8_S1C_bDpT10_ENKUlT_T0_E_clISt17integral_constantIbLb1EES1P_EEDaS1K_S1L_EUlS1K_E_NS1_11comp_targetILNS1_3genE5ELNS1_11target_archE942ELNS1_3gpuE9ELNS1_3repE0EEENS1_30default_config_static_selectorELNS0_4arch9wavefront6targetE0EEEvSY_
		.amdhsa_group_segment_fixed_size 0
		.amdhsa_private_segment_fixed_size 0
		.amdhsa_kernarg_size 152
		.amdhsa_user_sgpr_count 2
		.amdhsa_user_sgpr_dispatch_ptr 0
		.amdhsa_user_sgpr_queue_ptr 0
		.amdhsa_user_sgpr_kernarg_segment_ptr 1
		.amdhsa_user_sgpr_dispatch_id 0
		.amdhsa_user_sgpr_private_segment_size 0
		.amdhsa_wavefront_size32 1
		.amdhsa_uses_dynamic_stack 0
		.amdhsa_enable_private_segment 0
		.amdhsa_system_sgpr_workgroup_id_x 1
		.amdhsa_system_sgpr_workgroup_id_y 0
		.amdhsa_system_sgpr_workgroup_id_z 0
		.amdhsa_system_sgpr_workgroup_info 0
		.amdhsa_system_vgpr_workitem_id 0
		.amdhsa_next_free_vgpr 1
		.amdhsa_next_free_sgpr 1
		.amdhsa_reserve_vcc 0
		.amdhsa_float_round_mode_32 0
		.amdhsa_float_round_mode_16_64 0
		.amdhsa_float_denorm_mode_32 3
		.amdhsa_float_denorm_mode_16_64 3
		.amdhsa_fp16_overflow 0
		.amdhsa_workgroup_processor_mode 1
		.amdhsa_memory_ordered 1
		.amdhsa_forward_progress 1
		.amdhsa_inst_pref_size 0
		.amdhsa_round_robin_scheduling 0
		.amdhsa_exception_fp_ieee_invalid_op 0
		.amdhsa_exception_fp_denorm_src 0
		.amdhsa_exception_fp_ieee_div_zero 0
		.amdhsa_exception_fp_ieee_overflow 0
		.amdhsa_exception_fp_ieee_underflow 0
		.amdhsa_exception_fp_ieee_inexact 0
		.amdhsa_exception_int_div_zero 0
	.end_amdhsa_kernel
	.section	.text._ZN7rocprim17ROCPRIM_400000_NS6detail17trampoline_kernelINS0_13select_configILj256ELj13ELNS0_17block_load_methodE3ELS4_3ELS4_3ELNS0_20block_scan_algorithmE0ELj4294967295EEENS1_25partition_config_selectorILNS1_17partition_subalgoE3EjNS0_10empty_typeEbEEZZNS1_14partition_implILS8_3ELb0ES6_jNS0_17counting_iteratorIjlEEPS9_SE_NS0_5tupleIJPjSE_EEENSF_IJSE_SE_EEES9_SG_JZNS1_25segmented_radix_sort_implINS0_14default_configELb1EPKbPbPKlPlN2at6native12_GLOBAL__N_18offset_tEEE10hipError_tPvRmT1_PNSt15iterator_traitsISY_E10value_typeET2_T3_PNSZ_IS14_E10value_typeET4_jRbjT5_S1A_jjP12ihipStream_tbEUljE_EEESV_SW_SX_S14_S18_S1A_T6_T7_T9_mT8_S1C_bDpT10_ENKUlT_T0_E_clISt17integral_constantIbLb1EES1P_EEDaS1K_S1L_EUlS1K_E_NS1_11comp_targetILNS1_3genE5ELNS1_11target_archE942ELNS1_3gpuE9ELNS1_3repE0EEENS1_30default_config_static_selectorELNS0_4arch9wavefront6targetE0EEEvSY_,"axG",@progbits,_ZN7rocprim17ROCPRIM_400000_NS6detail17trampoline_kernelINS0_13select_configILj256ELj13ELNS0_17block_load_methodE3ELS4_3ELS4_3ELNS0_20block_scan_algorithmE0ELj4294967295EEENS1_25partition_config_selectorILNS1_17partition_subalgoE3EjNS0_10empty_typeEbEEZZNS1_14partition_implILS8_3ELb0ES6_jNS0_17counting_iteratorIjlEEPS9_SE_NS0_5tupleIJPjSE_EEENSF_IJSE_SE_EEES9_SG_JZNS1_25segmented_radix_sort_implINS0_14default_configELb1EPKbPbPKlPlN2at6native12_GLOBAL__N_18offset_tEEE10hipError_tPvRmT1_PNSt15iterator_traitsISY_E10value_typeET2_T3_PNSZ_IS14_E10value_typeET4_jRbjT5_S1A_jjP12ihipStream_tbEUljE_EEESV_SW_SX_S14_S18_S1A_T6_T7_T9_mT8_S1C_bDpT10_ENKUlT_T0_E_clISt17integral_constantIbLb1EES1P_EEDaS1K_S1L_EUlS1K_E_NS1_11comp_targetILNS1_3genE5ELNS1_11target_archE942ELNS1_3gpuE9ELNS1_3repE0EEENS1_30default_config_static_selectorELNS0_4arch9wavefront6targetE0EEEvSY_,comdat
.Lfunc_end1509:
	.size	_ZN7rocprim17ROCPRIM_400000_NS6detail17trampoline_kernelINS0_13select_configILj256ELj13ELNS0_17block_load_methodE3ELS4_3ELS4_3ELNS0_20block_scan_algorithmE0ELj4294967295EEENS1_25partition_config_selectorILNS1_17partition_subalgoE3EjNS0_10empty_typeEbEEZZNS1_14partition_implILS8_3ELb0ES6_jNS0_17counting_iteratorIjlEEPS9_SE_NS0_5tupleIJPjSE_EEENSF_IJSE_SE_EEES9_SG_JZNS1_25segmented_radix_sort_implINS0_14default_configELb1EPKbPbPKlPlN2at6native12_GLOBAL__N_18offset_tEEE10hipError_tPvRmT1_PNSt15iterator_traitsISY_E10value_typeET2_T3_PNSZ_IS14_E10value_typeET4_jRbjT5_S1A_jjP12ihipStream_tbEUljE_EEESV_SW_SX_S14_S18_S1A_T6_T7_T9_mT8_S1C_bDpT10_ENKUlT_T0_E_clISt17integral_constantIbLb1EES1P_EEDaS1K_S1L_EUlS1K_E_NS1_11comp_targetILNS1_3genE5ELNS1_11target_archE942ELNS1_3gpuE9ELNS1_3repE0EEENS1_30default_config_static_selectorELNS0_4arch9wavefront6targetE0EEEvSY_, .Lfunc_end1509-_ZN7rocprim17ROCPRIM_400000_NS6detail17trampoline_kernelINS0_13select_configILj256ELj13ELNS0_17block_load_methodE3ELS4_3ELS4_3ELNS0_20block_scan_algorithmE0ELj4294967295EEENS1_25partition_config_selectorILNS1_17partition_subalgoE3EjNS0_10empty_typeEbEEZZNS1_14partition_implILS8_3ELb0ES6_jNS0_17counting_iteratorIjlEEPS9_SE_NS0_5tupleIJPjSE_EEENSF_IJSE_SE_EEES9_SG_JZNS1_25segmented_radix_sort_implINS0_14default_configELb1EPKbPbPKlPlN2at6native12_GLOBAL__N_18offset_tEEE10hipError_tPvRmT1_PNSt15iterator_traitsISY_E10value_typeET2_T3_PNSZ_IS14_E10value_typeET4_jRbjT5_S1A_jjP12ihipStream_tbEUljE_EEESV_SW_SX_S14_S18_S1A_T6_T7_T9_mT8_S1C_bDpT10_ENKUlT_T0_E_clISt17integral_constantIbLb1EES1P_EEDaS1K_S1L_EUlS1K_E_NS1_11comp_targetILNS1_3genE5ELNS1_11target_archE942ELNS1_3gpuE9ELNS1_3repE0EEENS1_30default_config_static_selectorELNS0_4arch9wavefront6targetE0EEEvSY_
                                        ; -- End function
	.set _ZN7rocprim17ROCPRIM_400000_NS6detail17trampoline_kernelINS0_13select_configILj256ELj13ELNS0_17block_load_methodE3ELS4_3ELS4_3ELNS0_20block_scan_algorithmE0ELj4294967295EEENS1_25partition_config_selectorILNS1_17partition_subalgoE3EjNS0_10empty_typeEbEEZZNS1_14partition_implILS8_3ELb0ES6_jNS0_17counting_iteratorIjlEEPS9_SE_NS0_5tupleIJPjSE_EEENSF_IJSE_SE_EEES9_SG_JZNS1_25segmented_radix_sort_implINS0_14default_configELb1EPKbPbPKlPlN2at6native12_GLOBAL__N_18offset_tEEE10hipError_tPvRmT1_PNSt15iterator_traitsISY_E10value_typeET2_T3_PNSZ_IS14_E10value_typeET4_jRbjT5_S1A_jjP12ihipStream_tbEUljE_EEESV_SW_SX_S14_S18_S1A_T6_T7_T9_mT8_S1C_bDpT10_ENKUlT_T0_E_clISt17integral_constantIbLb1EES1P_EEDaS1K_S1L_EUlS1K_E_NS1_11comp_targetILNS1_3genE5ELNS1_11target_archE942ELNS1_3gpuE9ELNS1_3repE0EEENS1_30default_config_static_selectorELNS0_4arch9wavefront6targetE0EEEvSY_.num_vgpr, 0
	.set _ZN7rocprim17ROCPRIM_400000_NS6detail17trampoline_kernelINS0_13select_configILj256ELj13ELNS0_17block_load_methodE3ELS4_3ELS4_3ELNS0_20block_scan_algorithmE0ELj4294967295EEENS1_25partition_config_selectorILNS1_17partition_subalgoE3EjNS0_10empty_typeEbEEZZNS1_14partition_implILS8_3ELb0ES6_jNS0_17counting_iteratorIjlEEPS9_SE_NS0_5tupleIJPjSE_EEENSF_IJSE_SE_EEES9_SG_JZNS1_25segmented_radix_sort_implINS0_14default_configELb1EPKbPbPKlPlN2at6native12_GLOBAL__N_18offset_tEEE10hipError_tPvRmT1_PNSt15iterator_traitsISY_E10value_typeET2_T3_PNSZ_IS14_E10value_typeET4_jRbjT5_S1A_jjP12ihipStream_tbEUljE_EEESV_SW_SX_S14_S18_S1A_T6_T7_T9_mT8_S1C_bDpT10_ENKUlT_T0_E_clISt17integral_constantIbLb1EES1P_EEDaS1K_S1L_EUlS1K_E_NS1_11comp_targetILNS1_3genE5ELNS1_11target_archE942ELNS1_3gpuE9ELNS1_3repE0EEENS1_30default_config_static_selectorELNS0_4arch9wavefront6targetE0EEEvSY_.num_agpr, 0
	.set _ZN7rocprim17ROCPRIM_400000_NS6detail17trampoline_kernelINS0_13select_configILj256ELj13ELNS0_17block_load_methodE3ELS4_3ELS4_3ELNS0_20block_scan_algorithmE0ELj4294967295EEENS1_25partition_config_selectorILNS1_17partition_subalgoE3EjNS0_10empty_typeEbEEZZNS1_14partition_implILS8_3ELb0ES6_jNS0_17counting_iteratorIjlEEPS9_SE_NS0_5tupleIJPjSE_EEENSF_IJSE_SE_EEES9_SG_JZNS1_25segmented_radix_sort_implINS0_14default_configELb1EPKbPbPKlPlN2at6native12_GLOBAL__N_18offset_tEEE10hipError_tPvRmT1_PNSt15iterator_traitsISY_E10value_typeET2_T3_PNSZ_IS14_E10value_typeET4_jRbjT5_S1A_jjP12ihipStream_tbEUljE_EEESV_SW_SX_S14_S18_S1A_T6_T7_T9_mT8_S1C_bDpT10_ENKUlT_T0_E_clISt17integral_constantIbLb1EES1P_EEDaS1K_S1L_EUlS1K_E_NS1_11comp_targetILNS1_3genE5ELNS1_11target_archE942ELNS1_3gpuE9ELNS1_3repE0EEENS1_30default_config_static_selectorELNS0_4arch9wavefront6targetE0EEEvSY_.numbered_sgpr, 0
	.set _ZN7rocprim17ROCPRIM_400000_NS6detail17trampoline_kernelINS0_13select_configILj256ELj13ELNS0_17block_load_methodE3ELS4_3ELS4_3ELNS0_20block_scan_algorithmE0ELj4294967295EEENS1_25partition_config_selectorILNS1_17partition_subalgoE3EjNS0_10empty_typeEbEEZZNS1_14partition_implILS8_3ELb0ES6_jNS0_17counting_iteratorIjlEEPS9_SE_NS0_5tupleIJPjSE_EEENSF_IJSE_SE_EEES9_SG_JZNS1_25segmented_radix_sort_implINS0_14default_configELb1EPKbPbPKlPlN2at6native12_GLOBAL__N_18offset_tEEE10hipError_tPvRmT1_PNSt15iterator_traitsISY_E10value_typeET2_T3_PNSZ_IS14_E10value_typeET4_jRbjT5_S1A_jjP12ihipStream_tbEUljE_EEESV_SW_SX_S14_S18_S1A_T6_T7_T9_mT8_S1C_bDpT10_ENKUlT_T0_E_clISt17integral_constantIbLb1EES1P_EEDaS1K_S1L_EUlS1K_E_NS1_11comp_targetILNS1_3genE5ELNS1_11target_archE942ELNS1_3gpuE9ELNS1_3repE0EEENS1_30default_config_static_selectorELNS0_4arch9wavefront6targetE0EEEvSY_.num_named_barrier, 0
	.set _ZN7rocprim17ROCPRIM_400000_NS6detail17trampoline_kernelINS0_13select_configILj256ELj13ELNS0_17block_load_methodE3ELS4_3ELS4_3ELNS0_20block_scan_algorithmE0ELj4294967295EEENS1_25partition_config_selectorILNS1_17partition_subalgoE3EjNS0_10empty_typeEbEEZZNS1_14partition_implILS8_3ELb0ES6_jNS0_17counting_iteratorIjlEEPS9_SE_NS0_5tupleIJPjSE_EEENSF_IJSE_SE_EEES9_SG_JZNS1_25segmented_radix_sort_implINS0_14default_configELb1EPKbPbPKlPlN2at6native12_GLOBAL__N_18offset_tEEE10hipError_tPvRmT1_PNSt15iterator_traitsISY_E10value_typeET2_T3_PNSZ_IS14_E10value_typeET4_jRbjT5_S1A_jjP12ihipStream_tbEUljE_EEESV_SW_SX_S14_S18_S1A_T6_T7_T9_mT8_S1C_bDpT10_ENKUlT_T0_E_clISt17integral_constantIbLb1EES1P_EEDaS1K_S1L_EUlS1K_E_NS1_11comp_targetILNS1_3genE5ELNS1_11target_archE942ELNS1_3gpuE9ELNS1_3repE0EEENS1_30default_config_static_selectorELNS0_4arch9wavefront6targetE0EEEvSY_.private_seg_size, 0
	.set _ZN7rocprim17ROCPRIM_400000_NS6detail17trampoline_kernelINS0_13select_configILj256ELj13ELNS0_17block_load_methodE3ELS4_3ELS4_3ELNS0_20block_scan_algorithmE0ELj4294967295EEENS1_25partition_config_selectorILNS1_17partition_subalgoE3EjNS0_10empty_typeEbEEZZNS1_14partition_implILS8_3ELb0ES6_jNS0_17counting_iteratorIjlEEPS9_SE_NS0_5tupleIJPjSE_EEENSF_IJSE_SE_EEES9_SG_JZNS1_25segmented_radix_sort_implINS0_14default_configELb1EPKbPbPKlPlN2at6native12_GLOBAL__N_18offset_tEEE10hipError_tPvRmT1_PNSt15iterator_traitsISY_E10value_typeET2_T3_PNSZ_IS14_E10value_typeET4_jRbjT5_S1A_jjP12ihipStream_tbEUljE_EEESV_SW_SX_S14_S18_S1A_T6_T7_T9_mT8_S1C_bDpT10_ENKUlT_T0_E_clISt17integral_constantIbLb1EES1P_EEDaS1K_S1L_EUlS1K_E_NS1_11comp_targetILNS1_3genE5ELNS1_11target_archE942ELNS1_3gpuE9ELNS1_3repE0EEENS1_30default_config_static_selectorELNS0_4arch9wavefront6targetE0EEEvSY_.uses_vcc, 0
	.set _ZN7rocprim17ROCPRIM_400000_NS6detail17trampoline_kernelINS0_13select_configILj256ELj13ELNS0_17block_load_methodE3ELS4_3ELS4_3ELNS0_20block_scan_algorithmE0ELj4294967295EEENS1_25partition_config_selectorILNS1_17partition_subalgoE3EjNS0_10empty_typeEbEEZZNS1_14partition_implILS8_3ELb0ES6_jNS0_17counting_iteratorIjlEEPS9_SE_NS0_5tupleIJPjSE_EEENSF_IJSE_SE_EEES9_SG_JZNS1_25segmented_radix_sort_implINS0_14default_configELb1EPKbPbPKlPlN2at6native12_GLOBAL__N_18offset_tEEE10hipError_tPvRmT1_PNSt15iterator_traitsISY_E10value_typeET2_T3_PNSZ_IS14_E10value_typeET4_jRbjT5_S1A_jjP12ihipStream_tbEUljE_EEESV_SW_SX_S14_S18_S1A_T6_T7_T9_mT8_S1C_bDpT10_ENKUlT_T0_E_clISt17integral_constantIbLb1EES1P_EEDaS1K_S1L_EUlS1K_E_NS1_11comp_targetILNS1_3genE5ELNS1_11target_archE942ELNS1_3gpuE9ELNS1_3repE0EEENS1_30default_config_static_selectorELNS0_4arch9wavefront6targetE0EEEvSY_.uses_flat_scratch, 0
	.set _ZN7rocprim17ROCPRIM_400000_NS6detail17trampoline_kernelINS0_13select_configILj256ELj13ELNS0_17block_load_methodE3ELS4_3ELS4_3ELNS0_20block_scan_algorithmE0ELj4294967295EEENS1_25partition_config_selectorILNS1_17partition_subalgoE3EjNS0_10empty_typeEbEEZZNS1_14partition_implILS8_3ELb0ES6_jNS0_17counting_iteratorIjlEEPS9_SE_NS0_5tupleIJPjSE_EEENSF_IJSE_SE_EEES9_SG_JZNS1_25segmented_radix_sort_implINS0_14default_configELb1EPKbPbPKlPlN2at6native12_GLOBAL__N_18offset_tEEE10hipError_tPvRmT1_PNSt15iterator_traitsISY_E10value_typeET2_T3_PNSZ_IS14_E10value_typeET4_jRbjT5_S1A_jjP12ihipStream_tbEUljE_EEESV_SW_SX_S14_S18_S1A_T6_T7_T9_mT8_S1C_bDpT10_ENKUlT_T0_E_clISt17integral_constantIbLb1EES1P_EEDaS1K_S1L_EUlS1K_E_NS1_11comp_targetILNS1_3genE5ELNS1_11target_archE942ELNS1_3gpuE9ELNS1_3repE0EEENS1_30default_config_static_selectorELNS0_4arch9wavefront6targetE0EEEvSY_.has_dyn_sized_stack, 0
	.set _ZN7rocprim17ROCPRIM_400000_NS6detail17trampoline_kernelINS0_13select_configILj256ELj13ELNS0_17block_load_methodE3ELS4_3ELS4_3ELNS0_20block_scan_algorithmE0ELj4294967295EEENS1_25partition_config_selectorILNS1_17partition_subalgoE3EjNS0_10empty_typeEbEEZZNS1_14partition_implILS8_3ELb0ES6_jNS0_17counting_iteratorIjlEEPS9_SE_NS0_5tupleIJPjSE_EEENSF_IJSE_SE_EEES9_SG_JZNS1_25segmented_radix_sort_implINS0_14default_configELb1EPKbPbPKlPlN2at6native12_GLOBAL__N_18offset_tEEE10hipError_tPvRmT1_PNSt15iterator_traitsISY_E10value_typeET2_T3_PNSZ_IS14_E10value_typeET4_jRbjT5_S1A_jjP12ihipStream_tbEUljE_EEESV_SW_SX_S14_S18_S1A_T6_T7_T9_mT8_S1C_bDpT10_ENKUlT_T0_E_clISt17integral_constantIbLb1EES1P_EEDaS1K_S1L_EUlS1K_E_NS1_11comp_targetILNS1_3genE5ELNS1_11target_archE942ELNS1_3gpuE9ELNS1_3repE0EEENS1_30default_config_static_selectorELNS0_4arch9wavefront6targetE0EEEvSY_.has_recursion, 0
	.set _ZN7rocprim17ROCPRIM_400000_NS6detail17trampoline_kernelINS0_13select_configILj256ELj13ELNS0_17block_load_methodE3ELS4_3ELS4_3ELNS0_20block_scan_algorithmE0ELj4294967295EEENS1_25partition_config_selectorILNS1_17partition_subalgoE3EjNS0_10empty_typeEbEEZZNS1_14partition_implILS8_3ELb0ES6_jNS0_17counting_iteratorIjlEEPS9_SE_NS0_5tupleIJPjSE_EEENSF_IJSE_SE_EEES9_SG_JZNS1_25segmented_radix_sort_implINS0_14default_configELb1EPKbPbPKlPlN2at6native12_GLOBAL__N_18offset_tEEE10hipError_tPvRmT1_PNSt15iterator_traitsISY_E10value_typeET2_T3_PNSZ_IS14_E10value_typeET4_jRbjT5_S1A_jjP12ihipStream_tbEUljE_EEESV_SW_SX_S14_S18_S1A_T6_T7_T9_mT8_S1C_bDpT10_ENKUlT_T0_E_clISt17integral_constantIbLb1EES1P_EEDaS1K_S1L_EUlS1K_E_NS1_11comp_targetILNS1_3genE5ELNS1_11target_archE942ELNS1_3gpuE9ELNS1_3repE0EEENS1_30default_config_static_selectorELNS0_4arch9wavefront6targetE0EEEvSY_.has_indirect_call, 0
	.section	.AMDGPU.csdata,"",@progbits
; Kernel info:
; codeLenInByte = 0
; TotalNumSgprs: 0
; NumVgprs: 0
; ScratchSize: 0
; MemoryBound: 0
; FloatMode: 240
; IeeeMode: 1
; LDSByteSize: 0 bytes/workgroup (compile time only)
; SGPRBlocks: 0
; VGPRBlocks: 0
; NumSGPRsForWavesPerEU: 1
; NumVGPRsForWavesPerEU: 1
; Occupancy: 16
; WaveLimiterHint : 0
; COMPUTE_PGM_RSRC2:SCRATCH_EN: 0
; COMPUTE_PGM_RSRC2:USER_SGPR: 2
; COMPUTE_PGM_RSRC2:TRAP_HANDLER: 0
; COMPUTE_PGM_RSRC2:TGID_X_EN: 1
; COMPUTE_PGM_RSRC2:TGID_Y_EN: 0
; COMPUTE_PGM_RSRC2:TGID_Z_EN: 0
; COMPUTE_PGM_RSRC2:TIDIG_COMP_CNT: 0
	.section	.text._ZN7rocprim17ROCPRIM_400000_NS6detail17trampoline_kernelINS0_13select_configILj256ELj13ELNS0_17block_load_methodE3ELS4_3ELS4_3ELNS0_20block_scan_algorithmE0ELj4294967295EEENS1_25partition_config_selectorILNS1_17partition_subalgoE3EjNS0_10empty_typeEbEEZZNS1_14partition_implILS8_3ELb0ES6_jNS0_17counting_iteratorIjlEEPS9_SE_NS0_5tupleIJPjSE_EEENSF_IJSE_SE_EEES9_SG_JZNS1_25segmented_radix_sort_implINS0_14default_configELb1EPKbPbPKlPlN2at6native12_GLOBAL__N_18offset_tEEE10hipError_tPvRmT1_PNSt15iterator_traitsISY_E10value_typeET2_T3_PNSZ_IS14_E10value_typeET4_jRbjT5_S1A_jjP12ihipStream_tbEUljE_EEESV_SW_SX_S14_S18_S1A_T6_T7_T9_mT8_S1C_bDpT10_ENKUlT_T0_E_clISt17integral_constantIbLb1EES1P_EEDaS1K_S1L_EUlS1K_E_NS1_11comp_targetILNS1_3genE4ELNS1_11target_archE910ELNS1_3gpuE8ELNS1_3repE0EEENS1_30default_config_static_selectorELNS0_4arch9wavefront6targetE0EEEvSY_,"axG",@progbits,_ZN7rocprim17ROCPRIM_400000_NS6detail17trampoline_kernelINS0_13select_configILj256ELj13ELNS0_17block_load_methodE3ELS4_3ELS4_3ELNS0_20block_scan_algorithmE0ELj4294967295EEENS1_25partition_config_selectorILNS1_17partition_subalgoE3EjNS0_10empty_typeEbEEZZNS1_14partition_implILS8_3ELb0ES6_jNS0_17counting_iteratorIjlEEPS9_SE_NS0_5tupleIJPjSE_EEENSF_IJSE_SE_EEES9_SG_JZNS1_25segmented_radix_sort_implINS0_14default_configELb1EPKbPbPKlPlN2at6native12_GLOBAL__N_18offset_tEEE10hipError_tPvRmT1_PNSt15iterator_traitsISY_E10value_typeET2_T3_PNSZ_IS14_E10value_typeET4_jRbjT5_S1A_jjP12ihipStream_tbEUljE_EEESV_SW_SX_S14_S18_S1A_T6_T7_T9_mT8_S1C_bDpT10_ENKUlT_T0_E_clISt17integral_constantIbLb1EES1P_EEDaS1K_S1L_EUlS1K_E_NS1_11comp_targetILNS1_3genE4ELNS1_11target_archE910ELNS1_3gpuE8ELNS1_3repE0EEENS1_30default_config_static_selectorELNS0_4arch9wavefront6targetE0EEEvSY_,comdat
	.globl	_ZN7rocprim17ROCPRIM_400000_NS6detail17trampoline_kernelINS0_13select_configILj256ELj13ELNS0_17block_load_methodE3ELS4_3ELS4_3ELNS0_20block_scan_algorithmE0ELj4294967295EEENS1_25partition_config_selectorILNS1_17partition_subalgoE3EjNS0_10empty_typeEbEEZZNS1_14partition_implILS8_3ELb0ES6_jNS0_17counting_iteratorIjlEEPS9_SE_NS0_5tupleIJPjSE_EEENSF_IJSE_SE_EEES9_SG_JZNS1_25segmented_radix_sort_implINS0_14default_configELb1EPKbPbPKlPlN2at6native12_GLOBAL__N_18offset_tEEE10hipError_tPvRmT1_PNSt15iterator_traitsISY_E10value_typeET2_T3_PNSZ_IS14_E10value_typeET4_jRbjT5_S1A_jjP12ihipStream_tbEUljE_EEESV_SW_SX_S14_S18_S1A_T6_T7_T9_mT8_S1C_bDpT10_ENKUlT_T0_E_clISt17integral_constantIbLb1EES1P_EEDaS1K_S1L_EUlS1K_E_NS1_11comp_targetILNS1_3genE4ELNS1_11target_archE910ELNS1_3gpuE8ELNS1_3repE0EEENS1_30default_config_static_selectorELNS0_4arch9wavefront6targetE0EEEvSY_ ; -- Begin function _ZN7rocprim17ROCPRIM_400000_NS6detail17trampoline_kernelINS0_13select_configILj256ELj13ELNS0_17block_load_methodE3ELS4_3ELS4_3ELNS0_20block_scan_algorithmE0ELj4294967295EEENS1_25partition_config_selectorILNS1_17partition_subalgoE3EjNS0_10empty_typeEbEEZZNS1_14partition_implILS8_3ELb0ES6_jNS0_17counting_iteratorIjlEEPS9_SE_NS0_5tupleIJPjSE_EEENSF_IJSE_SE_EEES9_SG_JZNS1_25segmented_radix_sort_implINS0_14default_configELb1EPKbPbPKlPlN2at6native12_GLOBAL__N_18offset_tEEE10hipError_tPvRmT1_PNSt15iterator_traitsISY_E10value_typeET2_T3_PNSZ_IS14_E10value_typeET4_jRbjT5_S1A_jjP12ihipStream_tbEUljE_EEESV_SW_SX_S14_S18_S1A_T6_T7_T9_mT8_S1C_bDpT10_ENKUlT_T0_E_clISt17integral_constantIbLb1EES1P_EEDaS1K_S1L_EUlS1K_E_NS1_11comp_targetILNS1_3genE4ELNS1_11target_archE910ELNS1_3gpuE8ELNS1_3repE0EEENS1_30default_config_static_selectorELNS0_4arch9wavefront6targetE0EEEvSY_
	.p2align	8
	.type	_ZN7rocprim17ROCPRIM_400000_NS6detail17trampoline_kernelINS0_13select_configILj256ELj13ELNS0_17block_load_methodE3ELS4_3ELS4_3ELNS0_20block_scan_algorithmE0ELj4294967295EEENS1_25partition_config_selectorILNS1_17partition_subalgoE3EjNS0_10empty_typeEbEEZZNS1_14partition_implILS8_3ELb0ES6_jNS0_17counting_iteratorIjlEEPS9_SE_NS0_5tupleIJPjSE_EEENSF_IJSE_SE_EEES9_SG_JZNS1_25segmented_radix_sort_implINS0_14default_configELb1EPKbPbPKlPlN2at6native12_GLOBAL__N_18offset_tEEE10hipError_tPvRmT1_PNSt15iterator_traitsISY_E10value_typeET2_T3_PNSZ_IS14_E10value_typeET4_jRbjT5_S1A_jjP12ihipStream_tbEUljE_EEESV_SW_SX_S14_S18_S1A_T6_T7_T9_mT8_S1C_bDpT10_ENKUlT_T0_E_clISt17integral_constantIbLb1EES1P_EEDaS1K_S1L_EUlS1K_E_NS1_11comp_targetILNS1_3genE4ELNS1_11target_archE910ELNS1_3gpuE8ELNS1_3repE0EEENS1_30default_config_static_selectorELNS0_4arch9wavefront6targetE0EEEvSY_,@function
_ZN7rocprim17ROCPRIM_400000_NS6detail17trampoline_kernelINS0_13select_configILj256ELj13ELNS0_17block_load_methodE3ELS4_3ELS4_3ELNS0_20block_scan_algorithmE0ELj4294967295EEENS1_25partition_config_selectorILNS1_17partition_subalgoE3EjNS0_10empty_typeEbEEZZNS1_14partition_implILS8_3ELb0ES6_jNS0_17counting_iteratorIjlEEPS9_SE_NS0_5tupleIJPjSE_EEENSF_IJSE_SE_EEES9_SG_JZNS1_25segmented_radix_sort_implINS0_14default_configELb1EPKbPbPKlPlN2at6native12_GLOBAL__N_18offset_tEEE10hipError_tPvRmT1_PNSt15iterator_traitsISY_E10value_typeET2_T3_PNSZ_IS14_E10value_typeET4_jRbjT5_S1A_jjP12ihipStream_tbEUljE_EEESV_SW_SX_S14_S18_S1A_T6_T7_T9_mT8_S1C_bDpT10_ENKUlT_T0_E_clISt17integral_constantIbLb1EES1P_EEDaS1K_S1L_EUlS1K_E_NS1_11comp_targetILNS1_3genE4ELNS1_11target_archE910ELNS1_3gpuE8ELNS1_3repE0EEENS1_30default_config_static_selectorELNS0_4arch9wavefront6targetE0EEEvSY_: ; @_ZN7rocprim17ROCPRIM_400000_NS6detail17trampoline_kernelINS0_13select_configILj256ELj13ELNS0_17block_load_methodE3ELS4_3ELS4_3ELNS0_20block_scan_algorithmE0ELj4294967295EEENS1_25partition_config_selectorILNS1_17partition_subalgoE3EjNS0_10empty_typeEbEEZZNS1_14partition_implILS8_3ELb0ES6_jNS0_17counting_iteratorIjlEEPS9_SE_NS0_5tupleIJPjSE_EEENSF_IJSE_SE_EEES9_SG_JZNS1_25segmented_radix_sort_implINS0_14default_configELb1EPKbPbPKlPlN2at6native12_GLOBAL__N_18offset_tEEE10hipError_tPvRmT1_PNSt15iterator_traitsISY_E10value_typeET2_T3_PNSZ_IS14_E10value_typeET4_jRbjT5_S1A_jjP12ihipStream_tbEUljE_EEESV_SW_SX_S14_S18_S1A_T6_T7_T9_mT8_S1C_bDpT10_ENKUlT_T0_E_clISt17integral_constantIbLb1EES1P_EEDaS1K_S1L_EUlS1K_E_NS1_11comp_targetILNS1_3genE4ELNS1_11target_archE910ELNS1_3gpuE8ELNS1_3repE0EEENS1_30default_config_static_selectorELNS0_4arch9wavefront6targetE0EEEvSY_
; %bb.0:
	.section	.rodata,"a",@progbits
	.p2align	6, 0x0
	.amdhsa_kernel _ZN7rocprim17ROCPRIM_400000_NS6detail17trampoline_kernelINS0_13select_configILj256ELj13ELNS0_17block_load_methodE3ELS4_3ELS4_3ELNS0_20block_scan_algorithmE0ELj4294967295EEENS1_25partition_config_selectorILNS1_17partition_subalgoE3EjNS0_10empty_typeEbEEZZNS1_14partition_implILS8_3ELb0ES6_jNS0_17counting_iteratorIjlEEPS9_SE_NS0_5tupleIJPjSE_EEENSF_IJSE_SE_EEES9_SG_JZNS1_25segmented_radix_sort_implINS0_14default_configELb1EPKbPbPKlPlN2at6native12_GLOBAL__N_18offset_tEEE10hipError_tPvRmT1_PNSt15iterator_traitsISY_E10value_typeET2_T3_PNSZ_IS14_E10value_typeET4_jRbjT5_S1A_jjP12ihipStream_tbEUljE_EEESV_SW_SX_S14_S18_S1A_T6_T7_T9_mT8_S1C_bDpT10_ENKUlT_T0_E_clISt17integral_constantIbLb1EES1P_EEDaS1K_S1L_EUlS1K_E_NS1_11comp_targetILNS1_3genE4ELNS1_11target_archE910ELNS1_3gpuE8ELNS1_3repE0EEENS1_30default_config_static_selectorELNS0_4arch9wavefront6targetE0EEEvSY_
		.amdhsa_group_segment_fixed_size 0
		.amdhsa_private_segment_fixed_size 0
		.amdhsa_kernarg_size 152
		.amdhsa_user_sgpr_count 2
		.amdhsa_user_sgpr_dispatch_ptr 0
		.amdhsa_user_sgpr_queue_ptr 0
		.amdhsa_user_sgpr_kernarg_segment_ptr 1
		.amdhsa_user_sgpr_dispatch_id 0
		.amdhsa_user_sgpr_private_segment_size 0
		.amdhsa_wavefront_size32 1
		.amdhsa_uses_dynamic_stack 0
		.amdhsa_enable_private_segment 0
		.amdhsa_system_sgpr_workgroup_id_x 1
		.amdhsa_system_sgpr_workgroup_id_y 0
		.amdhsa_system_sgpr_workgroup_id_z 0
		.amdhsa_system_sgpr_workgroup_info 0
		.amdhsa_system_vgpr_workitem_id 0
		.amdhsa_next_free_vgpr 1
		.amdhsa_next_free_sgpr 1
		.amdhsa_reserve_vcc 0
		.amdhsa_float_round_mode_32 0
		.amdhsa_float_round_mode_16_64 0
		.amdhsa_float_denorm_mode_32 3
		.amdhsa_float_denorm_mode_16_64 3
		.amdhsa_fp16_overflow 0
		.amdhsa_workgroup_processor_mode 1
		.amdhsa_memory_ordered 1
		.amdhsa_forward_progress 1
		.amdhsa_inst_pref_size 0
		.amdhsa_round_robin_scheduling 0
		.amdhsa_exception_fp_ieee_invalid_op 0
		.amdhsa_exception_fp_denorm_src 0
		.amdhsa_exception_fp_ieee_div_zero 0
		.amdhsa_exception_fp_ieee_overflow 0
		.amdhsa_exception_fp_ieee_underflow 0
		.amdhsa_exception_fp_ieee_inexact 0
		.amdhsa_exception_int_div_zero 0
	.end_amdhsa_kernel
	.section	.text._ZN7rocprim17ROCPRIM_400000_NS6detail17trampoline_kernelINS0_13select_configILj256ELj13ELNS0_17block_load_methodE3ELS4_3ELS4_3ELNS0_20block_scan_algorithmE0ELj4294967295EEENS1_25partition_config_selectorILNS1_17partition_subalgoE3EjNS0_10empty_typeEbEEZZNS1_14partition_implILS8_3ELb0ES6_jNS0_17counting_iteratorIjlEEPS9_SE_NS0_5tupleIJPjSE_EEENSF_IJSE_SE_EEES9_SG_JZNS1_25segmented_radix_sort_implINS0_14default_configELb1EPKbPbPKlPlN2at6native12_GLOBAL__N_18offset_tEEE10hipError_tPvRmT1_PNSt15iterator_traitsISY_E10value_typeET2_T3_PNSZ_IS14_E10value_typeET4_jRbjT5_S1A_jjP12ihipStream_tbEUljE_EEESV_SW_SX_S14_S18_S1A_T6_T7_T9_mT8_S1C_bDpT10_ENKUlT_T0_E_clISt17integral_constantIbLb1EES1P_EEDaS1K_S1L_EUlS1K_E_NS1_11comp_targetILNS1_3genE4ELNS1_11target_archE910ELNS1_3gpuE8ELNS1_3repE0EEENS1_30default_config_static_selectorELNS0_4arch9wavefront6targetE0EEEvSY_,"axG",@progbits,_ZN7rocprim17ROCPRIM_400000_NS6detail17trampoline_kernelINS0_13select_configILj256ELj13ELNS0_17block_load_methodE3ELS4_3ELS4_3ELNS0_20block_scan_algorithmE0ELj4294967295EEENS1_25partition_config_selectorILNS1_17partition_subalgoE3EjNS0_10empty_typeEbEEZZNS1_14partition_implILS8_3ELb0ES6_jNS0_17counting_iteratorIjlEEPS9_SE_NS0_5tupleIJPjSE_EEENSF_IJSE_SE_EEES9_SG_JZNS1_25segmented_radix_sort_implINS0_14default_configELb1EPKbPbPKlPlN2at6native12_GLOBAL__N_18offset_tEEE10hipError_tPvRmT1_PNSt15iterator_traitsISY_E10value_typeET2_T3_PNSZ_IS14_E10value_typeET4_jRbjT5_S1A_jjP12ihipStream_tbEUljE_EEESV_SW_SX_S14_S18_S1A_T6_T7_T9_mT8_S1C_bDpT10_ENKUlT_T0_E_clISt17integral_constantIbLb1EES1P_EEDaS1K_S1L_EUlS1K_E_NS1_11comp_targetILNS1_3genE4ELNS1_11target_archE910ELNS1_3gpuE8ELNS1_3repE0EEENS1_30default_config_static_selectorELNS0_4arch9wavefront6targetE0EEEvSY_,comdat
.Lfunc_end1510:
	.size	_ZN7rocprim17ROCPRIM_400000_NS6detail17trampoline_kernelINS0_13select_configILj256ELj13ELNS0_17block_load_methodE3ELS4_3ELS4_3ELNS0_20block_scan_algorithmE0ELj4294967295EEENS1_25partition_config_selectorILNS1_17partition_subalgoE3EjNS0_10empty_typeEbEEZZNS1_14partition_implILS8_3ELb0ES6_jNS0_17counting_iteratorIjlEEPS9_SE_NS0_5tupleIJPjSE_EEENSF_IJSE_SE_EEES9_SG_JZNS1_25segmented_radix_sort_implINS0_14default_configELb1EPKbPbPKlPlN2at6native12_GLOBAL__N_18offset_tEEE10hipError_tPvRmT1_PNSt15iterator_traitsISY_E10value_typeET2_T3_PNSZ_IS14_E10value_typeET4_jRbjT5_S1A_jjP12ihipStream_tbEUljE_EEESV_SW_SX_S14_S18_S1A_T6_T7_T9_mT8_S1C_bDpT10_ENKUlT_T0_E_clISt17integral_constantIbLb1EES1P_EEDaS1K_S1L_EUlS1K_E_NS1_11comp_targetILNS1_3genE4ELNS1_11target_archE910ELNS1_3gpuE8ELNS1_3repE0EEENS1_30default_config_static_selectorELNS0_4arch9wavefront6targetE0EEEvSY_, .Lfunc_end1510-_ZN7rocprim17ROCPRIM_400000_NS6detail17trampoline_kernelINS0_13select_configILj256ELj13ELNS0_17block_load_methodE3ELS4_3ELS4_3ELNS0_20block_scan_algorithmE0ELj4294967295EEENS1_25partition_config_selectorILNS1_17partition_subalgoE3EjNS0_10empty_typeEbEEZZNS1_14partition_implILS8_3ELb0ES6_jNS0_17counting_iteratorIjlEEPS9_SE_NS0_5tupleIJPjSE_EEENSF_IJSE_SE_EEES9_SG_JZNS1_25segmented_radix_sort_implINS0_14default_configELb1EPKbPbPKlPlN2at6native12_GLOBAL__N_18offset_tEEE10hipError_tPvRmT1_PNSt15iterator_traitsISY_E10value_typeET2_T3_PNSZ_IS14_E10value_typeET4_jRbjT5_S1A_jjP12ihipStream_tbEUljE_EEESV_SW_SX_S14_S18_S1A_T6_T7_T9_mT8_S1C_bDpT10_ENKUlT_T0_E_clISt17integral_constantIbLb1EES1P_EEDaS1K_S1L_EUlS1K_E_NS1_11comp_targetILNS1_3genE4ELNS1_11target_archE910ELNS1_3gpuE8ELNS1_3repE0EEENS1_30default_config_static_selectorELNS0_4arch9wavefront6targetE0EEEvSY_
                                        ; -- End function
	.set _ZN7rocprim17ROCPRIM_400000_NS6detail17trampoline_kernelINS0_13select_configILj256ELj13ELNS0_17block_load_methodE3ELS4_3ELS4_3ELNS0_20block_scan_algorithmE0ELj4294967295EEENS1_25partition_config_selectorILNS1_17partition_subalgoE3EjNS0_10empty_typeEbEEZZNS1_14partition_implILS8_3ELb0ES6_jNS0_17counting_iteratorIjlEEPS9_SE_NS0_5tupleIJPjSE_EEENSF_IJSE_SE_EEES9_SG_JZNS1_25segmented_radix_sort_implINS0_14default_configELb1EPKbPbPKlPlN2at6native12_GLOBAL__N_18offset_tEEE10hipError_tPvRmT1_PNSt15iterator_traitsISY_E10value_typeET2_T3_PNSZ_IS14_E10value_typeET4_jRbjT5_S1A_jjP12ihipStream_tbEUljE_EEESV_SW_SX_S14_S18_S1A_T6_T7_T9_mT8_S1C_bDpT10_ENKUlT_T0_E_clISt17integral_constantIbLb1EES1P_EEDaS1K_S1L_EUlS1K_E_NS1_11comp_targetILNS1_3genE4ELNS1_11target_archE910ELNS1_3gpuE8ELNS1_3repE0EEENS1_30default_config_static_selectorELNS0_4arch9wavefront6targetE0EEEvSY_.num_vgpr, 0
	.set _ZN7rocprim17ROCPRIM_400000_NS6detail17trampoline_kernelINS0_13select_configILj256ELj13ELNS0_17block_load_methodE3ELS4_3ELS4_3ELNS0_20block_scan_algorithmE0ELj4294967295EEENS1_25partition_config_selectorILNS1_17partition_subalgoE3EjNS0_10empty_typeEbEEZZNS1_14partition_implILS8_3ELb0ES6_jNS0_17counting_iteratorIjlEEPS9_SE_NS0_5tupleIJPjSE_EEENSF_IJSE_SE_EEES9_SG_JZNS1_25segmented_radix_sort_implINS0_14default_configELb1EPKbPbPKlPlN2at6native12_GLOBAL__N_18offset_tEEE10hipError_tPvRmT1_PNSt15iterator_traitsISY_E10value_typeET2_T3_PNSZ_IS14_E10value_typeET4_jRbjT5_S1A_jjP12ihipStream_tbEUljE_EEESV_SW_SX_S14_S18_S1A_T6_T7_T9_mT8_S1C_bDpT10_ENKUlT_T0_E_clISt17integral_constantIbLb1EES1P_EEDaS1K_S1L_EUlS1K_E_NS1_11comp_targetILNS1_3genE4ELNS1_11target_archE910ELNS1_3gpuE8ELNS1_3repE0EEENS1_30default_config_static_selectorELNS0_4arch9wavefront6targetE0EEEvSY_.num_agpr, 0
	.set _ZN7rocprim17ROCPRIM_400000_NS6detail17trampoline_kernelINS0_13select_configILj256ELj13ELNS0_17block_load_methodE3ELS4_3ELS4_3ELNS0_20block_scan_algorithmE0ELj4294967295EEENS1_25partition_config_selectorILNS1_17partition_subalgoE3EjNS0_10empty_typeEbEEZZNS1_14partition_implILS8_3ELb0ES6_jNS0_17counting_iteratorIjlEEPS9_SE_NS0_5tupleIJPjSE_EEENSF_IJSE_SE_EEES9_SG_JZNS1_25segmented_radix_sort_implINS0_14default_configELb1EPKbPbPKlPlN2at6native12_GLOBAL__N_18offset_tEEE10hipError_tPvRmT1_PNSt15iterator_traitsISY_E10value_typeET2_T3_PNSZ_IS14_E10value_typeET4_jRbjT5_S1A_jjP12ihipStream_tbEUljE_EEESV_SW_SX_S14_S18_S1A_T6_T7_T9_mT8_S1C_bDpT10_ENKUlT_T0_E_clISt17integral_constantIbLb1EES1P_EEDaS1K_S1L_EUlS1K_E_NS1_11comp_targetILNS1_3genE4ELNS1_11target_archE910ELNS1_3gpuE8ELNS1_3repE0EEENS1_30default_config_static_selectorELNS0_4arch9wavefront6targetE0EEEvSY_.numbered_sgpr, 0
	.set _ZN7rocprim17ROCPRIM_400000_NS6detail17trampoline_kernelINS0_13select_configILj256ELj13ELNS0_17block_load_methodE3ELS4_3ELS4_3ELNS0_20block_scan_algorithmE0ELj4294967295EEENS1_25partition_config_selectorILNS1_17partition_subalgoE3EjNS0_10empty_typeEbEEZZNS1_14partition_implILS8_3ELb0ES6_jNS0_17counting_iteratorIjlEEPS9_SE_NS0_5tupleIJPjSE_EEENSF_IJSE_SE_EEES9_SG_JZNS1_25segmented_radix_sort_implINS0_14default_configELb1EPKbPbPKlPlN2at6native12_GLOBAL__N_18offset_tEEE10hipError_tPvRmT1_PNSt15iterator_traitsISY_E10value_typeET2_T3_PNSZ_IS14_E10value_typeET4_jRbjT5_S1A_jjP12ihipStream_tbEUljE_EEESV_SW_SX_S14_S18_S1A_T6_T7_T9_mT8_S1C_bDpT10_ENKUlT_T0_E_clISt17integral_constantIbLb1EES1P_EEDaS1K_S1L_EUlS1K_E_NS1_11comp_targetILNS1_3genE4ELNS1_11target_archE910ELNS1_3gpuE8ELNS1_3repE0EEENS1_30default_config_static_selectorELNS0_4arch9wavefront6targetE0EEEvSY_.num_named_barrier, 0
	.set _ZN7rocprim17ROCPRIM_400000_NS6detail17trampoline_kernelINS0_13select_configILj256ELj13ELNS0_17block_load_methodE3ELS4_3ELS4_3ELNS0_20block_scan_algorithmE0ELj4294967295EEENS1_25partition_config_selectorILNS1_17partition_subalgoE3EjNS0_10empty_typeEbEEZZNS1_14partition_implILS8_3ELb0ES6_jNS0_17counting_iteratorIjlEEPS9_SE_NS0_5tupleIJPjSE_EEENSF_IJSE_SE_EEES9_SG_JZNS1_25segmented_radix_sort_implINS0_14default_configELb1EPKbPbPKlPlN2at6native12_GLOBAL__N_18offset_tEEE10hipError_tPvRmT1_PNSt15iterator_traitsISY_E10value_typeET2_T3_PNSZ_IS14_E10value_typeET4_jRbjT5_S1A_jjP12ihipStream_tbEUljE_EEESV_SW_SX_S14_S18_S1A_T6_T7_T9_mT8_S1C_bDpT10_ENKUlT_T0_E_clISt17integral_constantIbLb1EES1P_EEDaS1K_S1L_EUlS1K_E_NS1_11comp_targetILNS1_3genE4ELNS1_11target_archE910ELNS1_3gpuE8ELNS1_3repE0EEENS1_30default_config_static_selectorELNS0_4arch9wavefront6targetE0EEEvSY_.private_seg_size, 0
	.set _ZN7rocprim17ROCPRIM_400000_NS6detail17trampoline_kernelINS0_13select_configILj256ELj13ELNS0_17block_load_methodE3ELS4_3ELS4_3ELNS0_20block_scan_algorithmE0ELj4294967295EEENS1_25partition_config_selectorILNS1_17partition_subalgoE3EjNS0_10empty_typeEbEEZZNS1_14partition_implILS8_3ELb0ES6_jNS0_17counting_iteratorIjlEEPS9_SE_NS0_5tupleIJPjSE_EEENSF_IJSE_SE_EEES9_SG_JZNS1_25segmented_radix_sort_implINS0_14default_configELb1EPKbPbPKlPlN2at6native12_GLOBAL__N_18offset_tEEE10hipError_tPvRmT1_PNSt15iterator_traitsISY_E10value_typeET2_T3_PNSZ_IS14_E10value_typeET4_jRbjT5_S1A_jjP12ihipStream_tbEUljE_EEESV_SW_SX_S14_S18_S1A_T6_T7_T9_mT8_S1C_bDpT10_ENKUlT_T0_E_clISt17integral_constantIbLb1EES1P_EEDaS1K_S1L_EUlS1K_E_NS1_11comp_targetILNS1_3genE4ELNS1_11target_archE910ELNS1_3gpuE8ELNS1_3repE0EEENS1_30default_config_static_selectorELNS0_4arch9wavefront6targetE0EEEvSY_.uses_vcc, 0
	.set _ZN7rocprim17ROCPRIM_400000_NS6detail17trampoline_kernelINS0_13select_configILj256ELj13ELNS0_17block_load_methodE3ELS4_3ELS4_3ELNS0_20block_scan_algorithmE0ELj4294967295EEENS1_25partition_config_selectorILNS1_17partition_subalgoE3EjNS0_10empty_typeEbEEZZNS1_14partition_implILS8_3ELb0ES6_jNS0_17counting_iteratorIjlEEPS9_SE_NS0_5tupleIJPjSE_EEENSF_IJSE_SE_EEES9_SG_JZNS1_25segmented_radix_sort_implINS0_14default_configELb1EPKbPbPKlPlN2at6native12_GLOBAL__N_18offset_tEEE10hipError_tPvRmT1_PNSt15iterator_traitsISY_E10value_typeET2_T3_PNSZ_IS14_E10value_typeET4_jRbjT5_S1A_jjP12ihipStream_tbEUljE_EEESV_SW_SX_S14_S18_S1A_T6_T7_T9_mT8_S1C_bDpT10_ENKUlT_T0_E_clISt17integral_constantIbLb1EES1P_EEDaS1K_S1L_EUlS1K_E_NS1_11comp_targetILNS1_3genE4ELNS1_11target_archE910ELNS1_3gpuE8ELNS1_3repE0EEENS1_30default_config_static_selectorELNS0_4arch9wavefront6targetE0EEEvSY_.uses_flat_scratch, 0
	.set _ZN7rocprim17ROCPRIM_400000_NS6detail17trampoline_kernelINS0_13select_configILj256ELj13ELNS0_17block_load_methodE3ELS4_3ELS4_3ELNS0_20block_scan_algorithmE0ELj4294967295EEENS1_25partition_config_selectorILNS1_17partition_subalgoE3EjNS0_10empty_typeEbEEZZNS1_14partition_implILS8_3ELb0ES6_jNS0_17counting_iteratorIjlEEPS9_SE_NS0_5tupleIJPjSE_EEENSF_IJSE_SE_EEES9_SG_JZNS1_25segmented_radix_sort_implINS0_14default_configELb1EPKbPbPKlPlN2at6native12_GLOBAL__N_18offset_tEEE10hipError_tPvRmT1_PNSt15iterator_traitsISY_E10value_typeET2_T3_PNSZ_IS14_E10value_typeET4_jRbjT5_S1A_jjP12ihipStream_tbEUljE_EEESV_SW_SX_S14_S18_S1A_T6_T7_T9_mT8_S1C_bDpT10_ENKUlT_T0_E_clISt17integral_constantIbLb1EES1P_EEDaS1K_S1L_EUlS1K_E_NS1_11comp_targetILNS1_3genE4ELNS1_11target_archE910ELNS1_3gpuE8ELNS1_3repE0EEENS1_30default_config_static_selectorELNS0_4arch9wavefront6targetE0EEEvSY_.has_dyn_sized_stack, 0
	.set _ZN7rocprim17ROCPRIM_400000_NS6detail17trampoline_kernelINS0_13select_configILj256ELj13ELNS0_17block_load_methodE3ELS4_3ELS4_3ELNS0_20block_scan_algorithmE0ELj4294967295EEENS1_25partition_config_selectorILNS1_17partition_subalgoE3EjNS0_10empty_typeEbEEZZNS1_14partition_implILS8_3ELb0ES6_jNS0_17counting_iteratorIjlEEPS9_SE_NS0_5tupleIJPjSE_EEENSF_IJSE_SE_EEES9_SG_JZNS1_25segmented_radix_sort_implINS0_14default_configELb1EPKbPbPKlPlN2at6native12_GLOBAL__N_18offset_tEEE10hipError_tPvRmT1_PNSt15iterator_traitsISY_E10value_typeET2_T3_PNSZ_IS14_E10value_typeET4_jRbjT5_S1A_jjP12ihipStream_tbEUljE_EEESV_SW_SX_S14_S18_S1A_T6_T7_T9_mT8_S1C_bDpT10_ENKUlT_T0_E_clISt17integral_constantIbLb1EES1P_EEDaS1K_S1L_EUlS1K_E_NS1_11comp_targetILNS1_3genE4ELNS1_11target_archE910ELNS1_3gpuE8ELNS1_3repE0EEENS1_30default_config_static_selectorELNS0_4arch9wavefront6targetE0EEEvSY_.has_recursion, 0
	.set _ZN7rocprim17ROCPRIM_400000_NS6detail17trampoline_kernelINS0_13select_configILj256ELj13ELNS0_17block_load_methodE3ELS4_3ELS4_3ELNS0_20block_scan_algorithmE0ELj4294967295EEENS1_25partition_config_selectorILNS1_17partition_subalgoE3EjNS0_10empty_typeEbEEZZNS1_14partition_implILS8_3ELb0ES6_jNS0_17counting_iteratorIjlEEPS9_SE_NS0_5tupleIJPjSE_EEENSF_IJSE_SE_EEES9_SG_JZNS1_25segmented_radix_sort_implINS0_14default_configELb1EPKbPbPKlPlN2at6native12_GLOBAL__N_18offset_tEEE10hipError_tPvRmT1_PNSt15iterator_traitsISY_E10value_typeET2_T3_PNSZ_IS14_E10value_typeET4_jRbjT5_S1A_jjP12ihipStream_tbEUljE_EEESV_SW_SX_S14_S18_S1A_T6_T7_T9_mT8_S1C_bDpT10_ENKUlT_T0_E_clISt17integral_constantIbLb1EES1P_EEDaS1K_S1L_EUlS1K_E_NS1_11comp_targetILNS1_3genE4ELNS1_11target_archE910ELNS1_3gpuE8ELNS1_3repE0EEENS1_30default_config_static_selectorELNS0_4arch9wavefront6targetE0EEEvSY_.has_indirect_call, 0
	.section	.AMDGPU.csdata,"",@progbits
; Kernel info:
; codeLenInByte = 0
; TotalNumSgprs: 0
; NumVgprs: 0
; ScratchSize: 0
; MemoryBound: 0
; FloatMode: 240
; IeeeMode: 1
; LDSByteSize: 0 bytes/workgroup (compile time only)
; SGPRBlocks: 0
; VGPRBlocks: 0
; NumSGPRsForWavesPerEU: 1
; NumVGPRsForWavesPerEU: 1
; Occupancy: 16
; WaveLimiterHint : 0
; COMPUTE_PGM_RSRC2:SCRATCH_EN: 0
; COMPUTE_PGM_RSRC2:USER_SGPR: 2
; COMPUTE_PGM_RSRC2:TRAP_HANDLER: 0
; COMPUTE_PGM_RSRC2:TGID_X_EN: 1
; COMPUTE_PGM_RSRC2:TGID_Y_EN: 0
; COMPUTE_PGM_RSRC2:TGID_Z_EN: 0
; COMPUTE_PGM_RSRC2:TIDIG_COMP_CNT: 0
	.section	.text._ZN7rocprim17ROCPRIM_400000_NS6detail17trampoline_kernelINS0_13select_configILj256ELj13ELNS0_17block_load_methodE3ELS4_3ELS4_3ELNS0_20block_scan_algorithmE0ELj4294967295EEENS1_25partition_config_selectorILNS1_17partition_subalgoE3EjNS0_10empty_typeEbEEZZNS1_14partition_implILS8_3ELb0ES6_jNS0_17counting_iteratorIjlEEPS9_SE_NS0_5tupleIJPjSE_EEENSF_IJSE_SE_EEES9_SG_JZNS1_25segmented_radix_sort_implINS0_14default_configELb1EPKbPbPKlPlN2at6native12_GLOBAL__N_18offset_tEEE10hipError_tPvRmT1_PNSt15iterator_traitsISY_E10value_typeET2_T3_PNSZ_IS14_E10value_typeET4_jRbjT5_S1A_jjP12ihipStream_tbEUljE_EEESV_SW_SX_S14_S18_S1A_T6_T7_T9_mT8_S1C_bDpT10_ENKUlT_T0_E_clISt17integral_constantIbLb1EES1P_EEDaS1K_S1L_EUlS1K_E_NS1_11comp_targetILNS1_3genE3ELNS1_11target_archE908ELNS1_3gpuE7ELNS1_3repE0EEENS1_30default_config_static_selectorELNS0_4arch9wavefront6targetE0EEEvSY_,"axG",@progbits,_ZN7rocprim17ROCPRIM_400000_NS6detail17trampoline_kernelINS0_13select_configILj256ELj13ELNS0_17block_load_methodE3ELS4_3ELS4_3ELNS0_20block_scan_algorithmE0ELj4294967295EEENS1_25partition_config_selectorILNS1_17partition_subalgoE3EjNS0_10empty_typeEbEEZZNS1_14partition_implILS8_3ELb0ES6_jNS0_17counting_iteratorIjlEEPS9_SE_NS0_5tupleIJPjSE_EEENSF_IJSE_SE_EEES9_SG_JZNS1_25segmented_radix_sort_implINS0_14default_configELb1EPKbPbPKlPlN2at6native12_GLOBAL__N_18offset_tEEE10hipError_tPvRmT1_PNSt15iterator_traitsISY_E10value_typeET2_T3_PNSZ_IS14_E10value_typeET4_jRbjT5_S1A_jjP12ihipStream_tbEUljE_EEESV_SW_SX_S14_S18_S1A_T6_T7_T9_mT8_S1C_bDpT10_ENKUlT_T0_E_clISt17integral_constantIbLb1EES1P_EEDaS1K_S1L_EUlS1K_E_NS1_11comp_targetILNS1_3genE3ELNS1_11target_archE908ELNS1_3gpuE7ELNS1_3repE0EEENS1_30default_config_static_selectorELNS0_4arch9wavefront6targetE0EEEvSY_,comdat
	.globl	_ZN7rocprim17ROCPRIM_400000_NS6detail17trampoline_kernelINS0_13select_configILj256ELj13ELNS0_17block_load_methodE3ELS4_3ELS4_3ELNS0_20block_scan_algorithmE0ELj4294967295EEENS1_25partition_config_selectorILNS1_17partition_subalgoE3EjNS0_10empty_typeEbEEZZNS1_14partition_implILS8_3ELb0ES6_jNS0_17counting_iteratorIjlEEPS9_SE_NS0_5tupleIJPjSE_EEENSF_IJSE_SE_EEES9_SG_JZNS1_25segmented_radix_sort_implINS0_14default_configELb1EPKbPbPKlPlN2at6native12_GLOBAL__N_18offset_tEEE10hipError_tPvRmT1_PNSt15iterator_traitsISY_E10value_typeET2_T3_PNSZ_IS14_E10value_typeET4_jRbjT5_S1A_jjP12ihipStream_tbEUljE_EEESV_SW_SX_S14_S18_S1A_T6_T7_T9_mT8_S1C_bDpT10_ENKUlT_T0_E_clISt17integral_constantIbLb1EES1P_EEDaS1K_S1L_EUlS1K_E_NS1_11comp_targetILNS1_3genE3ELNS1_11target_archE908ELNS1_3gpuE7ELNS1_3repE0EEENS1_30default_config_static_selectorELNS0_4arch9wavefront6targetE0EEEvSY_ ; -- Begin function _ZN7rocprim17ROCPRIM_400000_NS6detail17trampoline_kernelINS0_13select_configILj256ELj13ELNS0_17block_load_methodE3ELS4_3ELS4_3ELNS0_20block_scan_algorithmE0ELj4294967295EEENS1_25partition_config_selectorILNS1_17partition_subalgoE3EjNS0_10empty_typeEbEEZZNS1_14partition_implILS8_3ELb0ES6_jNS0_17counting_iteratorIjlEEPS9_SE_NS0_5tupleIJPjSE_EEENSF_IJSE_SE_EEES9_SG_JZNS1_25segmented_radix_sort_implINS0_14default_configELb1EPKbPbPKlPlN2at6native12_GLOBAL__N_18offset_tEEE10hipError_tPvRmT1_PNSt15iterator_traitsISY_E10value_typeET2_T3_PNSZ_IS14_E10value_typeET4_jRbjT5_S1A_jjP12ihipStream_tbEUljE_EEESV_SW_SX_S14_S18_S1A_T6_T7_T9_mT8_S1C_bDpT10_ENKUlT_T0_E_clISt17integral_constantIbLb1EES1P_EEDaS1K_S1L_EUlS1K_E_NS1_11comp_targetILNS1_3genE3ELNS1_11target_archE908ELNS1_3gpuE7ELNS1_3repE0EEENS1_30default_config_static_selectorELNS0_4arch9wavefront6targetE0EEEvSY_
	.p2align	8
	.type	_ZN7rocprim17ROCPRIM_400000_NS6detail17trampoline_kernelINS0_13select_configILj256ELj13ELNS0_17block_load_methodE3ELS4_3ELS4_3ELNS0_20block_scan_algorithmE0ELj4294967295EEENS1_25partition_config_selectorILNS1_17partition_subalgoE3EjNS0_10empty_typeEbEEZZNS1_14partition_implILS8_3ELb0ES6_jNS0_17counting_iteratorIjlEEPS9_SE_NS0_5tupleIJPjSE_EEENSF_IJSE_SE_EEES9_SG_JZNS1_25segmented_radix_sort_implINS0_14default_configELb1EPKbPbPKlPlN2at6native12_GLOBAL__N_18offset_tEEE10hipError_tPvRmT1_PNSt15iterator_traitsISY_E10value_typeET2_T3_PNSZ_IS14_E10value_typeET4_jRbjT5_S1A_jjP12ihipStream_tbEUljE_EEESV_SW_SX_S14_S18_S1A_T6_T7_T9_mT8_S1C_bDpT10_ENKUlT_T0_E_clISt17integral_constantIbLb1EES1P_EEDaS1K_S1L_EUlS1K_E_NS1_11comp_targetILNS1_3genE3ELNS1_11target_archE908ELNS1_3gpuE7ELNS1_3repE0EEENS1_30default_config_static_selectorELNS0_4arch9wavefront6targetE0EEEvSY_,@function
_ZN7rocprim17ROCPRIM_400000_NS6detail17trampoline_kernelINS0_13select_configILj256ELj13ELNS0_17block_load_methodE3ELS4_3ELS4_3ELNS0_20block_scan_algorithmE0ELj4294967295EEENS1_25partition_config_selectorILNS1_17partition_subalgoE3EjNS0_10empty_typeEbEEZZNS1_14partition_implILS8_3ELb0ES6_jNS0_17counting_iteratorIjlEEPS9_SE_NS0_5tupleIJPjSE_EEENSF_IJSE_SE_EEES9_SG_JZNS1_25segmented_radix_sort_implINS0_14default_configELb1EPKbPbPKlPlN2at6native12_GLOBAL__N_18offset_tEEE10hipError_tPvRmT1_PNSt15iterator_traitsISY_E10value_typeET2_T3_PNSZ_IS14_E10value_typeET4_jRbjT5_S1A_jjP12ihipStream_tbEUljE_EEESV_SW_SX_S14_S18_S1A_T6_T7_T9_mT8_S1C_bDpT10_ENKUlT_T0_E_clISt17integral_constantIbLb1EES1P_EEDaS1K_S1L_EUlS1K_E_NS1_11comp_targetILNS1_3genE3ELNS1_11target_archE908ELNS1_3gpuE7ELNS1_3repE0EEENS1_30default_config_static_selectorELNS0_4arch9wavefront6targetE0EEEvSY_: ; @_ZN7rocprim17ROCPRIM_400000_NS6detail17trampoline_kernelINS0_13select_configILj256ELj13ELNS0_17block_load_methodE3ELS4_3ELS4_3ELNS0_20block_scan_algorithmE0ELj4294967295EEENS1_25partition_config_selectorILNS1_17partition_subalgoE3EjNS0_10empty_typeEbEEZZNS1_14partition_implILS8_3ELb0ES6_jNS0_17counting_iteratorIjlEEPS9_SE_NS0_5tupleIJPjSE_EEENSF_IJSE_SE_EEES9_SG_JZNS1_25segmented_radix_sort_implINS0_14default_configELb1EPKbPbPKlPlN2at6native12_GLOBAL__N_18offset_tEEE10hipError_tPvRmT1_PNSt15iterator_traitsISY_E10value_typeET2_T3_PNSZ_IS14_E10value_typeET4_jRbjT5_S1A_jjP12ihipStream_tbEUljE_EEESV_SW_SX_S14_S18_S1A_T6_T7_T9_mT8_S1C_bDpT10_ENKUlT_T0_E_clISt17integral_constantIbLb1EES1P_EEDaS1K_S1L_EUlS1K_E_NS1_11comp_targetILNS1_3genE3ELNS1_11target_archE908ELNS1_3gpuE7ELNS1_3repE0EEENS1_30default_config_static_selectorELNS0_4arch9wavefront6targetE0EEEvSY_
; %bb.0:
	.section	.rodata,"a",@progbits
	.p2align	6, 0x0
	.amdhsa_kernel _ZN7rocprim17ROCPRIM_400000_NS6detail17trampoline_kernelINS0_13select_configILj256ELj13ELNS0_17block_load_methodE3ELS4_3ELS4_3ELNS0_20block_scan_algorithmE0ELj4294967295EEENS1_25partition_config_selectorILNS1_17partition_subalgoE3EjNS0_10empty_typeEbEEZZNS1_14partition_implILS8_3ELb0ES6_jNS0_17counting_iteratorIjlEEPS9_SE_NS0_5tupleIJPjSE_EEENSF_IJSE_SE_EEES9_SG_JZNS1_25segmented_radix_sort_implINS0_14default_configELb1EPKbPbPKlPlN2at6native12_GLOBAL__N_18offset_tEEE10hipError_tPvRmT1_PNSt15iterator_traitsISY_E10value_typeET2_T3_PNSZ_IS14_E10value_typeET4_jRbjT5_S1A_jjP12ihipStream_tbEUljE_EEESV_SW_SX_S14_S18_S1A_T6_T7_T9_mT8_S1C_bDpT10_ENKUlT_T0_E_clISt17integral_constantIbLb1EES1P_EEDaS1K_S1L_EUlS1K_E_NS1_11comp_targetILNS1_3genE3ELNS1_11target_archE908ELNS1_3gpuE7ELNS1_3repE0EEENS1_30default_config_static_selectorELNS0_4arch9wavefront6targetE0EEEvSY_
		.amdhsa_group_segment_fixed_size 0
		.amdhsa_private_segment_fixed_size 0
		.amdhsa_kernarg_size 152
		.amdhsa_user_sgpr_count 2
		.amdhsa_user_sgpr_dispatch_ptr 0
		.amdhsa_user_sgpr_queue_ptr 0
		.amdhsa_user_sgpr_kernarg_segment_ptr 1
		.amdhsa_user_sgpr_dispatch_id 0
		.amdhsa_user_sgpr_private_segment_size 0
		.amdhsa_wavefront_size32 1
		.amdhsa_uses_dynamic_stack 0
		.amdhsa_enable_private_segment 0
		.amdhsa_system_sgpr_workgroup_id_x 1
		.amdhsa_system_sgpr_workgroup_id_y 0
		.amdhsa_system_sgpr_workgroup_id_z 0
		.amdhsa_system_sgpr_workgroup_info 0
		.amdhsa_system_vgpr_workitem_id 0
		.amdhsa_next_free_vgpr 1
		.amdhsa_next_free_sgpr 1
		.amdhsa_reserve_vcc 0
		.amdhsa_float_round_mode_32 0
		.amdhsa_float_round_mode_16_64 0
		.amdhsa_float_denorm_mode_32 3
		.amdhsa_float_denorm_mode_16_64 3
		.amdhsa_fp16_overflow 0
		.amdhsa_workgroup_processor_mode 1
		.amdhsa_memory_ordered 1
		.amdhsa_forward_progress 1
		.amdhsa_inst_pref_size 0
		.amdhsa_round_robin_scheduling 0
		.amdhsa_exception_fp_ieee_invalid_op 0
		.amdhsa_exception_fp_denorm_src 0
		.amdhsa_exception_fp_ieee_div_zero 0
		.amdhsa_exception_fp_ieee_overflow 0
		.amdhsa_exception_fp_ieee_underflow 0
		.amdhsa_exception_fp_ieee_inexact 0
		.amdhsa_exception_int_div_zero 0
	.end_amdhsa_kernel
	.section	.text._ZN7rocprim17ROCPRIM_400000_NS6detail17trampoline_kernelINS0_13select_configILj256ELj13ELNS0_17block_load_methodE3ELS4_3ELS4_3ELNS0_20block_scan_algorithmE0ELj4294967295EEENS1_25partition_config_selectorILNS1_17partition_subalgoE3EjNS0_10empty_typeEbEEZZNS1_14partition_implILS8_3ELb0ES6_jNS0_17counting_iteratorIjlEEPS9_SE_NS0_5tupleIJPjSE_EEENSF_IJSE_SE_EEES9_SG_JZNS1_25segmented_radix_sort_implINS0_14default_configELb1EPKbPbPKlPlN2at6native12_GLOBAL__N_18offset_tEEE10hipError_tPvRmT1_PNSt15iterator_traitsISY_E10value_typeET2_T3_PNSZ_IS14_E10value_typeET4_jRbjT5_S1A_jjP12ihipStream_tbEUljE_EEESV_SW_SX_S14_S18_S1A_T6_T7_T9_mT8_S1C_bDpT10_ENKUlT_T0_E_clISt17integral_constantIbLb1EES1P_EEDaS1K_S1L_EUlS1K_E_NS1_11comp_targetILNS1_3genE3ELNS1_11target_archE908ELNS1_3gpuE7ELNS1_3repE0EEENS1_30default_config_static_selectorELNS0_4arch9wavefront6targetE0EEEvSY_,"axG",@progbits,_ZN7rocprim17ROCPRIM_400000_NS6detail17trampoline_kernelINS0_13select_configILj256ELj13ELNS0_17block_load_methodE3ELS4_3ELS4_3ELNS0_20block_scan_algorithmE0ELj4294967295EEENS1_25partition_config_selectorILNS1_17partition_subalgoE3EjNS0_10empty_typeEbEEZZNS1_14partition_implILS8_3ELb0ES6_jNS0_17counting_iteratorIjlEEPS9_SE_NS0_5tupleIJPjSE_EEENSF_IJSE_SE_EEES9_SG_JZNS1_25segmented_radix_sort_implINS0_14default_configELb1EPKbPbPKlPlN2at6native12_GLOBAL__N_18offset_tEEE10hipError_tPvRmT1_PNSt15iterator_traitsISY_E10value_typeET2_T3_PNSZ_IS14_E10value_typeET4_jRbjT5_S1A_jjP12ihipStream_tbEUljE_EEESV_SW_SX_S14_S18_S1A_T6_T7_T9_mT8_S1C_bDpT10_ENKUlT_T0_E_clISt17integral_constantIbLb1EES1P_EEDaS1K_S1L_EUlS1K_E_NS1_11comp_targetILNS1_3genE3ELNS1_11target_archE908ELNS1_3gpuE7ELNS1_3repE0EEENS1_30default_config_static_selectorELNS0_4arch9wavefront6targetE0EEEvSY_,comdat
.Lfunc_end1511:
	.size	_ZN7rocprim17ROCPRIM_400000_NS6detail17trampoline_kernelINS0_13select_configILj256ELj13ELNS0_17block_load_methodE3ELS4_3ELS4_3ELNS0_20block_scan_algorithmE0ELj4294967295EEENS1_25partition_config_selectorILNS1_17partition_subalgoE3EjNS0_10empty_typeEbEEZZNS1_14partition_implILS8_3ELb0ES6_jNS0_17counting_iteratorIjlEEPS9_SE_NS0_5tupleIJPjSE_EEENSF_IJSE_SE_EEES9_SG_JZNS1_25segmented_radix_sort_implINS0_14default_configELb1EPKbPbPKlPlN2at6native12_GLOBAL__N_18offset_tEEE10hipError_tPvRmT1_PNSt15iterator_traitsISY_E10value_typeET2_T3_PNSZ_IS14_E10value_typeET4_jRbjT5_S1A_jjP12ihipStream_tbEUljE_EEESV_SW_SX_S14_S18_S1A_T6_T7_T9_mT8_S1C_bDpT10_ENKUlT_T0_E_clISt17integral_constantIbLb1EES1P_EEDaS1K_S1L_EUlS1K_E_NS1_11comp_targetILNS1_3genE3ELNS1_11target_archE908ELNS1_3gpuE7ELNS1_3repE0EEENS1_30default_config_static_selectorELNS0_4arch9wavefront6targetE0EEEvSY_, .Lfunc_end1511-_ZN7rocprim17ROCPRIM_400000_NS6detail17trampoline_kernelINS0_13select_configILj256ELj13ELNS0_17block_load_methodE3ELS4_3ELS4_3ELNS0_20block_scan_algorithmE0ELj4294967295EEENS1_25partition_config_selectorILNS1_17partition_subalgoE3EjNS0_10empty_typeEbEEZZNS1_14partition_implILS8_3ELb0ES6_jNS0_17counting_iteratorIjlEEPS9_SE_NS0_5tupleIJPjSE_EEENSF_IJSE_SE_EEES9_SG_JZNS1_25segmented_radix_sort_implINS0_14default_configELb1EPKbPbPKlPlN2at6native12_GLOBAL__N_18offset_tEEE10hipError_tPvRmT1_PNSt15iterator_traitsISY_E10value_typeET2_T3_PNSZ_IS14_E10value_typeET4_jRbjT5_S1A_jjP12ihipStream_tbEUljE_EEESV_SW_SX_S14_S18_S1A_T6_T7_T9_mT8_S1C_bDpT10_ENKUlT_T0_E_clISt17integral_constantIbLb1EES1P_EEDaS1K_S1L_EUlS1K_E_NS1_11comp_targetILNS1_3genE3ELNS1_11target_archE908ELNS1_3gpuE7ELNS1_3repE0EEENS1_30default_config_static_selectorELNS0_4arch9wavefront6targetE0EEEvSY_
                                        ; -- End function
	.set _ZN7rocprim17ROCPRIM_400000_NS6detail17trampoline_kernelINS0_13select_configILj256ELj13ELNS0_17block_load_methodE3ELS4_3ELS4_3ELNS0_20block_scan_algorithmE0ELj4294967295EEENS1_25partition_config_selectorILNS1_17partition_subalgoE3EjNS0_10empty_typeEbEEZZNS1_14partition_implILS8_3ELb0ES6_jNS0_17counting_iteratorIjlEEPS9_SE_NS0_5tupleIJPjSE_EEENSF_IJSE_SE_EEES9_SG_JZNS1_25segmented_radix_sort_implINS0_14default_configELb1EPKbPbPKlPlN2at6native12_GLOBAL__N_18offset_tEEE10hipError_tPvRmT1_PNSt15iterator_traitsISY_E10value_typeET2_T3_PNSZ_IS14_E10value_typeET4_jRbjT5_S1A_jjP12ihipStream_tbEUljE_EEESV_SW_SX_S14_S18_S1A_T6_T7_T9_mT8_S1C_bDpT10_ENKUlT_T0_E_clISt17integral_constantIbLb1EES1P_EEDaS1K_S1L_EUlS1K_E_NS1_11comp_targetILNS1_3genE3ELNS1_11target_archE908ELNS1_3gpuE7ELNS1_3repE0EEENS1_30default_config_static_selectorELNS0_4arch9wavefront6targetE0EEEvSY_.num_vgpr, 0
	.set _ZN7rocprim17ROCPRIM_400000_NS6detail17trampoline_kernelINS0_13select_configILj256ELj13ELNS0_17block_load_methodE3ELS4_3ELS4_3ELNS0_20block_scan_algorithmE0ELj4294967295EEENS1_25partition_config_selectorILNS1_17partition_subalgoE3EjNS0_10empty_typeEbEEZZNS1_14partition_implILS8_3ELb0ES6_jNS0_17counting_iteratorIjlEEPS9_SE_NS0_5tupleIJPjSE_EEENSF_IJSE_SE_EEES9_SG_JZNS1_25segmented_radix_sort_implINS0_14default_configELb1EPKbPbPKlPlN2at6native12_GLOBAL__N_18offset_tEEE10hipError_tPvRmT1_PNSt15iterator_traitsISY_E10value_typeET2_T3_PNSZ_IS14_E10value_typeET4_jRbjT5_S1A_jjP12ihipStream_tbEUljE_EEESV_SW_SX_S14_S18_S1A_T6_T7_T9_mT8_S1C_bDpT10_ENKUlT_T0_E_clISt17integral_constantIbLb1EES1P_EEDaS1K_S1L_EUlS1K_E_NS1_11comp_targetILNS1_3genE3ELNS1_11target_archE908ELNS1_3gpuE7ELNS1_3repE0EEENS1_30default_config_static_selectorELNS0_4arch9wavefront6targetE0EEEvSY_.num_agpr, 0
	.set _ZN7rocprim17ROCPRIM_400000_NS6detail17trampoline_kernelINS0_13select_configILj256ELj13ELNS0_17block_load_methodE3ELS4_3ELS4_3ELNS0_20block_scan_algorithmE0ELj4294967295EEENS1_25partition_config_selectorILNS1_17partition_subalgoE3EjNS0_10empty_typeEbEEZZNS1_14partition_implILS8_3ELb0ES6_jNS0_17counting_iteratorIjlEEPS9_SE_NS0_5tupleIJPjSE_EEENSF_IJSE_SE_EEES9_SG_JZNS1_25segmented_radix_sort_implINS0_14default_configELb1EPKbPbPKlPlN2at6native12_GLOBAL__N_18offset_tEEE10hipError_tPvRmT1_PNSt15iterator_traitsISY_E10value_typeET2_T3_PNSZ_IS14_E10value_typeET4_jRbjT5_S1A_jjP12ihipStream_tbEUljE_EEESV_SW_SX_S14_S18_S1A_T6_T7_T9_mT8_S1C_bDpT10_ENKUlT_T0_E_clISt17integral_constantIbLb1EES1P_EEDaS1K_S1L_EUlS1K_E_NS1_11comp_targetILNS1_3genE3ELNS1_11target_archE908ELNS1_3gpuE7ELNS1_3repE0EEENS1_30default_config_static_selectorELNS0_4arch9wavefront6targetE0EEEvSY_.numbered_sgpr, 0
	.set _ZN7rocprim17ROCPRIM_400000_NS6detail17trampoline_kernelINS0_13select_configILj256ELj13ELNS0_17block_load_methodE3ELS4_3ELS4_3ELNS0_20block_scan_algorithmE0ELj4294967295EEENS1_25partition_config_selectorILNS1_17partition_subalgoE3EjNS0_10empty_typeEbEEZZNS1_14partition_implILS8_3ELb0ES6_jNS0_17counting_iteratorIjlEEPS9_SE_NS0_5tupleIJPjSE_EEENSF_IJSE_SE_EEES9_SG_JZNS1_25segmented_radix_sort_implINS0_14default_configELb1EPKbPbPKlPlN2at6native12_GLOBAL__N_18offset_tEEE10hipError_tPvRmT1_PNSt15iterator_traitsISY_E10value_typeET2_T3_PNSZ_IS14_E10value_typeET4_jRbjT5_S1A_jjP12ihipStream_tbEUljE_EEESV_SW_SX_S14_S18_S1A_T6_T7_T9_mT8_S1C_bDpT10_ENKUlT_T0_E_clISt17integral_constantIbLb1EES1P_EEDaS1K_S1L_EUlS1K_E_NS1_11comp_targetILNS1_3genE3ELNS1_11target_archE908ELNS1_3gpuE7ELNS1_3repE0EEENS1_30default_config_static_selectorELNS0_4arch9wavefront6targetE0EEEvSY_.num_named_barrier, 0
	.set _ZN7rocprim17ROCPRIM_400000_NS6detail17trampoline_kernelINS0_13select_configILj256ELj13ELNS0_17block_load_methodE3ELS4_3ELS4_3ELNS0_20block_scan_algorithmE0ELj4294967295EEENS1_25partition_config_selectorILNS1_17partition_subalgoE3EjNS0_10empty_typeEbEEZZNS1_14partition_implILS8_3ELb0ES6_jNS0_17counting_iteratorIjlEEPS9_SE_NS0_5tupleIJPjSE_EEENSF_IJSE_SE_EEES9_SG_JZNS1_25segmented_radix_sort_implINS0_14default_configELb1EPKbPbPKlPlN2at6native12_GLOBAL__N_18offset_tEEE10hipError_tPvRmT1_PNSt15iterator_traitsISY_E10value_typeET2_T3_PNSZ_IS14_E10value_typeET4_jRbjT5_S1A_jjP12ihipStream_tbEUljE_EEESV_SW_SX_S14_S18_S1A_T6_T7_T9_mT8_S1C_bDpT10_ENKUlT_T0_E_clISt17integral_constantIbLb1EES1P_EEDaS1K_S1L_EUlS1K_E_NS1_11comp_targetILNS1_3genE3ELNS1_11target_archE908ELNS1_3gpuE7ELNS1_3repE0EEENS1_30default_config_static_selectorELNS0_4arch9wavefront6targetE0EEEvSY_.private_seg_size, 0
	.set _ZN7rocprim17ROCPRIM_400000_NS6detail17trampoline_kernelINS0_13select_configILj256ELj13ELNS0_17block_load_methodE3ELS4_3ELS4_3ELNS0_20block_scan_algorithmE0ELj4294967295EEENS1_25partition_config_selectorILNS1_17partition_subalgoE3EjNS0_10empty_typeEbEEZZNS1_14partition_implILS8_3ELb0ES6_jNS0_17counting_iteratorIjlEEPS9_SE_NS0_5tupleIJPjSE_EEENSF_IJSE_SE_EEES9_SG_JZNS1_25segmented_radix_sort_implINS0_14default_configELb1EPKbPbPKlPlN2at6native12_GLOBAL__N_18offset_tEEE10hipError_tPvRmT1_PNSt15iterator_traitsISY_E10value_typeET2_T3_PNSZ_IS14_E10value_typeET4_jRbjT5_S1A_jjP12ihipStream_tbEUljE_EEESV_SW_SX_S14_S18_S1A_T6_T7_T9_mT8_S1C_bDpT10_ENKUlT_T0_E_clISt17integral_constantIbLb1EES1P_EEDaS1K_S1L_EUlS1K_E_NS1_11comp_targetILNS1_3genE3ELNS1_11target_archE908ELNS1_3gpuE7ELNS1_3repE0EEENS1_30default_config_static_selectorELNS0_4arch9wavefront6targetE0EEEvSY_.uses_vcc, 0
	.set _ZN7rocprim17ROCPRIM_400000_NS6detail17trampoline_kernelINS0_13select_configILj256ELj13ELNS0_17block_load_methodE3ELS4_3ELS4_3ELNS0_20block_scan_algorithmE0ELj4294967295EEENS1_25partition_config_selectorILNS1_17partition_subalgoE3EjNS0_10empty_typeEbEEZZNS1_14partition_implILS8_3ELb0ES6_jNS0_17counting_iteratorIjlEEPS9_SE_NS0_5tupleIJPjSE_EEENSF_IJSE_SE_EEES9_SG_JZNS1_25segmented_radix_sort_implINS0_14default_configELb1EPKbPbPKlPlN2at6native12_GLOBAL__N_18offset_tEEE10hipError_tPvRmT1_PNSt15iterator_traitsISY_E10value_typeET2_T3_PNSZ_IS14_E10value_typeET4_jRbjT5_S1A_jjP12ihipStream_tbEUljE_EEESV_SW_SX_S14_S18_S1A_T6_T7_T9_mT8_S1C_bDpT10_ENKUlT_T0_E_clISt17integral_constantIbLb1EES1P_EEDaS1K_S1L_EUlS1K_E_NS1_11comp_targetILNS1_3genE3ELNS1_11target_archE908ELNS1_3gpuE7ELNS1_3repE0EEENS1_30default_config_static_selectorELNS0_4arch9wavefront6targetE0EEEvSY_.uses_flat_scratch, 0
	.set _ZN7rocprim17ROCPRIM_400000_NS6detail17trampoline_kernelINS0_13select_configILj256ELj13ELNS0_17block_load_methodE3ELS4_3ELS4_3ELNS0_20block_scan_algorithmE0ELj4294967295EEENS1_25partition_config_selectorILNS1_17partition_subalgoE3EjNS0_10empty_typeEbEEZZNS1_14partition_implILS8_3ELb0ES6_jNS0_17counting_iteratorIjlEEPS9_SE_NS0_5tupleIJPjSE_EEENSF_IJSE_SE_EEES9_SG_JZNS1_25segmented_radix_sort_implINS0_14default_configELb1EPKbPbPKlPlN2at6native12_GLOBAL__N_18offset_tEEE10hipError_tPvRmT1_PNSt15iterator_traitsISY_E10value_typeET2_T3_PNSZ_IS14_E10value_typeET4_jRbjT5_S1A_jjP12ihipStream_tbEUljE_EEESV_SW_SX_S14_S18_S1A_T6_T7_T9_mT8_S1C_bDpT10_ENKUlT_T0_E_clISt17integral_constantIbLb1EES1P_EEDaS1K_S1L_EUlS1K_E_NS1_11comp_targetILNS1_3genE3ELNS1_11target_archE908ELNS1_3gpuE7ELNS1_3repE0EEENS1_30default_config_static_selectorELNS0_4arch9wavefront6targetE0EEEvSY_.has_dyn_sized_stack, 0
	.set _ZN7rocprim17ROCPRIM_400000_NS6detail17trampoline_kernelINS0_13select_configILj256ELj13ELNS0_17block_load_methodE3ELS4_3ELS4_3ELNS0_20block_scan_algorithmE0ELj4294967295EEENS1_25partition_config_selectorILNS1_17partition_subalgoE3EjNS0_10empty_typeEbEEZZNS1_14partition_implILS8_3ELb0ES6_jNS0_17counting_iteratorIjlEEPS9_SE_NS0_5tupleIJPjSE_EEENSF_IJSE_SE_EEES9_SG_JZNS1_25segmented_radix_sort_implINS0_14default_configELb1EPKbPbPKlPlN2at6native12_GLOBAL__N_18offset_tEEE10hipError_tPvRmT1_PNSt15iterator_traitsISY_E10value_typeET2_T3_PNSZ_IS14_E10value_typeET4_jRbjT5_S1A_jjP12ihipStream_tbEUljE_EEESV_SW_SX_S14_S18_S1A_T6_T7_T9_mT8_S1C_bDpT10_ENKUlT_T0_E_clISt17integral_constantIbLb1EES1P_EEDaS1K_S1L_EUlS1K_E_NS1_11comp_targetILNS1_3genE3ELNS1_11target_archE908ELNS1_3gpuE7ELNS1_3repE0EEENS1_30default_config_static_selectorELNS0_4arch9wavefront6targetE0EEEvSY_.has_recursion, 0
	.set _ZN7rocprim17ROCPRIM_400000_NS6detail17trampoline_kernelINS0_13select_configILj256ELj13ELNS0_17block_load_methodE3ELS4_3ELS4_3ELNS0_20block_scan_algorithmE0ELj4294967295EEENS1_25partition_config_selectorILNS1_17partition_subalgoE3EjNS0_10empty_typeEbEEZZNS1_14partition_implILS8_3ELb0ES6_jNS0_17counting_iteratorIjlEEPS9_SE_NS0_5tupleIJPjSE_EEENSF_IJSE_SE_EEES9_SG_JZNS1_25segmented_radix_sort_implINS0_14default_configELb1EPKbPbPKlPlN2at6native12_GLOBAL__N_18offset_tEEE10hipError_tPvRmT1_PNSt15iterator_traitsISY_E10value_typeET2_T3_PNSZ_IS14_E10value_typeET4_jRbjT5_S1A_jjP12ihipStream_tbEUljE_EEESV_SW_SX_S14_S18_S1A_T6_T7_T9_mT8_S1C_bDpT10_ENKUlT_T0_E_clISt17integral_constantIbLb1EES1P_EEDaS1K_S1L_EUlS1K_E_NS1_11comp_targetILNS1_3genE3ELNS1_11target_archE908ELNS1_3gpuE7ELNS1_3repE0EEENS1_30default_config_static_selectorELNS0_4arch9wavefront6targetE0EEEvSY_.has_indirect_call, 0
	.section	.AMDGPU.csdata,"",@progbits
; Kernel info:
; codeLenInByte = 0
; TotalNumSgprs: 0
; NumVgprs: 0
; ScratchSize: 0
; MemoryBound: 0
; FloatMode: 240
; IeeeMode: 1
; LDSByteSize: 0 bytes/workgroup (compile time only)
; SGPRBlocks: 0
; VGPRBlocks: 0
; NumSGPRsForWavesPerEU: 1
; NumVGPRsForWavesPerEU: 1
; Occupancy: 16
; WaveLimiterHint : 0
; COMPUTE_PGM_RSRC2:SCRATCH_EN: 0
; COMPUTE_PGM_RSRC2:USER_SGPR: 2
; COMPUTE_PGM_RSRC2:TRAP_HANDLER: 0
; COMPUTE_PGM_RSRC2:TGID_X_EN: 1
; COMPUTE_PGM_RSRC2:TGID_Y_EN: 0
; COMPUTE_PGM_RSRC2:TGID_Z_EN: 0
; COMPUTE_PGM_RSRC2:TIDIG_COMP_CNT: 0
	.section	.text._ZN7rocprim17ROCPRIM_400000_NS6detail17trampoline_kernelINS0_13select_configILj256ELj13ELNS0_17block_load_methodE3ELS4_3ELS4_3ELNS0_20block_scan_algorithmE0ELj4294967295EEENS1_25partition_config_selectorILNS1_17partition_subalgoE3EjNS0_10empty_typeEbEEZZNS1_14partition_implILS8_3ELb0ES6_jNS0_17counting_iteratorIjlEEPS9_SE_NS0_5tupleIJPjSE_EEENSF_IJSE_SE_EEES9_SG_JZNS1_25segmented_radix_sort_implINS0_14default_configELb1EPKbPbPKlPlN2at6native12_GLOBAL__N_18offset_tEEE10hipError_tPvRmT1_PNSt15iterator_traitsISY_E10value_typeET2_T3_PNSZ_IS14_E10value_typeET4_jRbjT5_S1A_jjP12ihipStream_tbEUljE_EEESV_SW_SX_S14_S18_S1A_T6_T7_T9_mT8_S1C_bDpT10_ENKUlT_T0_E_clISt17integral_constantIbLb1EES1P_EEDaS1K_S1L_EUlS1K_E_NS1_11comp_targetILNS1_3genE2ELNS1_11target_archE906ELNS1_3gpuE6ELNS1_3repE0EEENS1_30default_config_static_selectorELNS0_4arch9wavefront6targetE0EEEvSY_,"axG",@progbits,_ZN7rocprim17ROCPRIM_400000_NS6detail17trampoline_kernelINS0_13select_configILj256ELj13ELNS0_17block_load_methodE3ELS4_3ELS4_3ELNS0_20block_scan_algorithmE0ELj4294967295EEENS1_25partition_config_selectorILNS1_17partition_subalgoE3EjNS0_10empty_typeEbEEZZNS1_14partition_implILS8_3ELb0ES6_jNS0_17counting_iteratorIjlEEPS9_SE_NS0_5tupleIJPjSE_EEENSF_IJSE_SE_EEES9_SG_JZNS1_25segmented_radix_sort_implINS0_14default_configELb1EPKbPbPKlPlN2at6native12_GLOBAL__N_18offset_tEEE10hipError_tPvRmT1_PNSt15iterator_traitsISY_E10value_typeET2_T3_PNSZ_IS14_E10value_typeET4_jRbjT5_S1A_jjP12ihipStream_tbEUljE_EEESV_SW_SX_S14_S18_S1A_T6_T7_T9_mT8_S1C_bDpT10_ENKUlT_T0_E_clISt17integral_constantIbLb1EES1P_EEDaS1K_S1L_EUlS1K_E_NS1_11comp_targetILNS1_3genE2ELNS1_11target_archE906ELNS1_3gpuE6ELNS1_3repE0EEENS1_30default_config_static_selectorELNS0_4arch9wavefront6targetE0EEEvSY_,comdat
	.globl	_ZN7rocprim17ROCPRIM_400000_NS6detail17trampoline_kernelINS0_13select_configILj256ELj13ELNS0_17block_load_methodE3ELS4_3ELS4_3ELNS0_20block_scan_algorithmE0ELj4294967295EEENS1_25partition_config_selectorILNS1_17partition_subalgoE3EjNS0_10empty_typeEbEEZZNS1_14partition_implILS8_3ELb0ES6_jNS0_17counting_iteratorIjlEEPS9_SE_NS0_5tupleIJPjSE_EEENSF_IJSE_SE_EEES9_SG_JZNS1_25segmented_radix_sort_implINS0_14default_configELb1EPKbPbPKlPlN2at6native12_GLOBAL__N_18offset_tEEE10hipError_tPvRmT1_PNSt15iterator_traitsISY_E10value_typeET2_T3_PNSZ_IS14_E10value_typeET4_jRbjT5_S1A_jjP12ihipStream_tbEUljE_EEESV_SW_SX_S14_S18_S1A_T6_T7_T9_mT8_S1C_bDpT10_ENKUlT_T0_E_clISt17integral_constantIbLb1EES1P_EEDaS1K_S1L_EUlS1K_E_NS1_11comp_targetILNS1_3genE2ELNS1_11target_archE906ELNS1_3gpuE6ELNS1_3repE0EEENS1_30default_config_static_selectorELNS0_4arch9wavefront6targetE0EEEvSY_ ; -- Begin function _ZN7rocprim17ROCPRIM_400000_NS6detail17trampoline_kernelINS0_13select_configILj256ELj13ELNS0_17block_load_methodE3ELS4_3ELS4_3ELNS0_20block_scan_algorithmE0ELj4294967295EEENS1_25partition_config_selectorILNS1_17partition_subalgoE3EjNS0_10empty_typeEbEEZZNS1_14partition_implILS8_3ELb0ES6_jNS0_17counting_iteratorIjlEEPS9_SE_NS0_5tupleIJPjSE_EEENSF_IJSE_SE_EEES9_SG_JZNS1_25segmented_radix_sort_implINS0_14default_configELb1EPKbPbPKlPlN2at6native12_GLOBAL__N_18offset_tEEE10hipError_tPvRmT1_PNSt15iterator_traitsISY_E10value_typeET2_T3_PNSZ_IS14_E10value_typeET4_jRbjT5_S1A_jjP12ihipStream_tbEUljE_EEESV_SW_SX_S14_S18_S1A_T6_T7_T9_mT8_S1C_bDpT10_ENKUlT_T0_E_clISt17integral_constantIbLb1EES1P_EEDaS1K_S1L_EUlS1K_E_NS1_11comp_targetILNS1_3genE2ELNS1_11target_archE906ELNS1_3gpuE6ELNS1_3repE0EEENS1_30default_config_static_selectorELNS0_4arch9wavefront6targetE0EEEvSY_
	.p2align	8
	.type	_ZN7rocprim17ROCPRIM_400000_NS6detail17trampoline_kernelINS0_13select_configILj256ELj13ELNS0_17block_load_methodE3ELS4_3ELS4_3ELNS0_20block_scan_algorithmE0ELj4294967295EEENS1_25partition_config_selectorILNS1_17partition_subalgoE3EjNS0_10empty_typeEbEEZZNS1_14partition_implILS8_3ELb0ES6_jNS0_17counting_iteratorIjlEEPS9_SE_NS0_5tupleIJPjSE_EEENSF_IJSE_SE_EEES9_SG_JZNS1_25segmented_radix_sort_implINS0_14default_configELb1EPKbPbPKlPlN2at6native12_GLOBAL__N_18offset_tEEE10hipError_tPvRmT1_PNSt15iterator_traitsISY_E10value_typeET2_T3_PNSZ_IS14_E10value_typeET4_jRbjT5_S1A_jjP12ihipStream_tbEUljE_EEESV_SW_SX_S14_S18_S1A_T6_T7_T9_mT8_S1C_bDpT10_ENKUlT_T0_E_clISt17integral_constantIbLb1EES1P_EEDaS1K_S1L_EUlS1K_E_NS1_11comp_targetILNS1_3genE2ELNS1_11target_archE906ELNS1_3gpuE6ELNS1_3repE0EEENS1_30default_config_static_selectorELNS0_4arch9wavefront6targetE0EEEvSY_,@function
_ZN7rocprim17ROCPRIM_400000_NS6detail17trampoline_kernelINS0_13select_configILj256ELj13ELNS0_17block_load_methodE3ELS4_3ELS4_3ELNS0_20block_scan_algorithmE0ELj4294967295EEENS1_25partition_config_selectorILNS1_17partition_subalgoE3EjNS0_10empty_typeEbEEZZNS1_14partition_implILS8_3ELb0ES6_jNS0_17counting_iteratorIjlEEPS9_SE_NS0_5tupleIJPjSE_EEENSF_IJSE_SE_EEES9_SG_JZNS1_25segmented_radix_sort_implINS0_14default_configELb1EPKbPbPKlPlN2at6native12_GLOBAL__N_18offset_tEEE10hipError_tPvRmT1_PNSt15iterator_traitsISY_E10value_typeET2_T3_PNSZ_IS14_E10value_typeET4_jRbjT5_S1A_jjP12ihipStream_tbEUljE_EEESV_SW_SX_S14_S18_S1A_T6_T7_T9_mT8_S1C_bDpT10_ENKUlT_T0_E_clISt17integral_constantIbLb1EES1P_EEDaS1K_S1L_EUlS1K_E_NS1_11comp_targetILNS1_3genE2ELNS1_11target_archE906ELNS1_3gpuE6ELNS1_3repE0EEENS1_30default_config_static_selectorELNS0_4arch9wavefront6targetE0EEEvSY_: ; @_ZN7rocprim17ROCPRIM_400000_NS6detail17trampoline_kernelINS0_13select_configILj256ELj13ELNS0_17block_load_methodE3ELS4_3ELS4_3ELNS0_20block_scan_algorithmE0ELj4294967295EEENS1_25partition_config_selectorILNS1_17partition_subalgoE3EjNS0_10empty_typeEbEEZZNS1_14partition_implILS8_3ELb0ES6_jNS0_17counting_iteratorIjlEEPS9_SE_NS0_5tupleIJPjSE_EEENSF_IJSE_SE_EEES9_SG_JZNS1_25segmented_radix_sort_implINS0_14default_configELb1EPKbPbPKlPlN2at6native12_GLOBAL__N_18offset_tEEE10hipError_tPvRmT1_PNSt15iterator_traitsISY_E10value_typeET2_T3_PNSZ_IS14_E10value_typeET4_jRbjT5_S1A_jjP12ihipStream_tbEUljE_EEESV_SW_SX_S14_S18_S1A_T6_T7_T9_mT8_S1C_bDpT10_ENKUlT_T0_E_clISt17integral_constantIbLb1EES1P_EEDaS1K_S1L_EUlS1K_E_NS1_11comp_targetILNS1_3genE2ELNS1_11target_archE906ELNS1_3gpuE6ELNS1_3repE0EEENS1_30default_config_static_selectorELNS0_4arch9wavefront6targetE0EEEvSY_
; %bb.0:
	.section	.rodata,"a",@progbits
	.p2align	6, 0x0
	.amdhsa_kernel _ZN7rocprim17ROCPRIM_400000_NS6detail17trampoline_kernelINS0_13select_configILj256ELj13ELNS0_17block_load_methodE3ELS4_3ELS4_3ELNS0_20block_scan_algorithmE0ELj4294967295EEENS1_25partition_config_selectorILNS1_17partition_subalgoE3EjNS0_10empty_typeEbEEZZNS1_14partition_implILS8_3ELb0ES6_jNS0_17counting_iteratorIjlEEPS9_SE_NS0_5tupleIJPjSE_EEENSF_IJSE_SE_EEES9_SG_JZNS1_25segmented_radix_sort_implINS0_14default_configELb1EPKbPbPKlPlN2at6native12_GLOBAL__N_18offset_tEEE10hipError_tPvRmT1_PNSt15iterator_traitsISY_E10value_typeET2_T3_PNSZ_IS14_E10value_typeET4_jRbjT5_S1A_jjP12ihipStream_tbEUljE_EEESV_SW_SX_S14_S18_S1A_T6_T7_T9_mT8_S1C_bDpT10_ENKUlT_T0_E_clISt17integral_constantIbLb1EES1P_EEDaS1K_S1L_EUlS1K_E_NS1_11comp_targetILNS1_3genE2ELNS1_11target_archE906ELNS1_3gpuE6ELNS1_3repE0EEENS1_30default_config_static_selectorELNS0_4arch9wavefront6targetE0EEEvSY_
		.amdhsa_group_segment_fixed_size 0
		.amdhsa_private_segment_fixed_size 0
		.amdhsa_kernarg_size 152
		.amdhsa_user_sgpr_count 2
		.amdhsa_user_sgpr_dispatch_ptr 0
		.amdhsa_user_sgpr_queue_ptr 0
		.amdhsa_user_sgpr_kernarg_segment_ptr 1
		.amdhsa_user_sgpr_dispatch_id 0
		.amdhsa_user_sgpr_private_segment_size 0
		.amdhsa_wavefront_size32 1
		.amdhsa_uses_dynamic_stack 0
		.amdhsa_enable_private_segment 0
		.amdhsa_system_sgpr_workgroup_id_x 1
		.amdhsa_system_sgpr_workgroup_id_y 0
		.amdhsa_system_sgpr_workgroup_id_z 0
		.amdhsa_system_sgpr_workgroup_info 0
		.amdhsa_system_vgpr_workitem_id 0
		.amdhsa_next_free_vgpr 1
		.amdhsa_next_free_sgpr 1
		.amdhsa_reserve_vcc 0
		.amdhsa_float_round_mode_32 0
		.amdhsa_float_round_mode_16_64 0
		.amdhsa_float_denorm_mode_32 3
		.amdhsa_float_denorm_mode_16_64 3
		.amdhsa_fp16_overflow 0
		.amdhsa_workgroup_processor_mode 1
		.amdhsa_memory_ordered 1
		.amdhsa_forward_progress 1
		.amdhsa_inst_pref_size 0
		.amdhsa_round_robin_scheduling 0
		.amdhsa_exception_fp_ieee_invalid_op 0
		.amdhsa_exception_fp_denorm_src 0
		.amdhsa_exception_fp_ieee_div_zero 0
		.amdhsa_exception_fp_ieee_overflow 0
		.amdhsa_exception_fp_ieee_underflow 0
		.amdhsa_exception_fp_ieee_inexact 0
		.amdhsa_exception_int_div_zero 0
	.end_amdhsa_kernel
	.section	.text._ZN7rocprim17ROCPRIM_400000_NS6detail17trampoline_kernelINS0_13select_configILj256ELj13ELNS0_17block_load_methodE3ELS4_3ELS4_3ELNS0_20block_scan_algorithmE0ELj4294967295EEENS1_25partition_config_selectorILNS1_17partition_subalgoE3EjNS0_10empty_typeEbEEZZNS1_14partition_implILS8_3ELb0ES6_jNS0_17counting_iteratorIjlEEPS9_SE_NS0_5tupleIJPjSE_EEENSF_IJSE_SE_EEES9_SG_JZNS1_25segmented_radix_sort_implINS0_14default_configELb1EPKbPbPKlPlN2at6native12_GLOBAL__N_18offset_tEEE10hipError_tPvRmT1_PNSt15iterator_traitsISY_E10value_typeET2_T3_PNSZ_IS14_E10value_typeET4_jRbjT5_S1A_jjP12ihipStream_tbEUljE_EEESV_SW_SX_S14_S18_S1A_T6_T7_T9_mT8_S1C_bDpT10_ENKUlT_T0_E_clISt17integral_constantIbLb1EES1P_EEDaS1K_S1L_EUlS1K_E_NS1_11comp_targetILNS1_3genE2ELNS1_11target_archE906ELNS1_3gpuE6ELNS1_3repE0EEENS1_30default_config_static_selectorELNS0_4arch9wavefront6targetE0EEEvSY_,"axG",@progbits,_ZN7rocprim17ROCPRIM_400000_NS6detail17trampoline_kernelINS0_13select_configILj256ELj13ELNS0_17block_load_methodE3ELS4_3ELS4_3ELNS0_20block_scan_algorithmE0ELj4294967295EEENS1_25partition_config_selectorILNS1_17partition_subalgoE3EjNS0_10empty_typeEbEEZZNS1_14partition_implILS8_3ELb0ES6_jNS0_17counting_iteratorIjlEEPS9_SE_NS0_5tupleIJPjSE_EEENSF_IJSE_SE_EEES9_SG_JZNS1_25segmented_radix_sort_implINS0_14default_configELb1EPKbPbPKlPlN2at6native12_GLOBAL__N_18offset_tEEE10hipError_tPvRmT1_PNSt15iterator_traitsISY_E10value_typeET2_T3_PNSZ_IS14_E10value_typeET4_jRbjT5_S1A_jjP12ihipStream_tbEUljE_EEESV_SW_SX_S14_S18_S1A_T6_T7_T9_mT8_S1C_bDpT10_ENKUlT_T0_E_clISt17integral_constantIbLb1EES1P_EEDaS1K_S1L_EUlS1K_E_NS1_11comp_targetILNS1_3genE2ELNS1_11target_archE906ELNS1_3gpuE6ELNS1_3repE0EEENS1_30default_config_static_selectorELNS0_4arch9wavefront6targetE0EEEvSY_,comdat
.Lfunc_end1512:
	.size	_ZN7rocprim17ROCPRIM_400000_NS6detail17trampoline_kernelINS0_13select_configILj256ELj13ELNS0_17block_load_methodE3ELS4_3ELS4_3ELNS0_20block_scan_algorithmE0ELj4294967295EEENS1_25partition_config_selectorILNS1_17partition_subalgoE3EjNS0_10empty_typeEbEEZZNS1_14partition_implILS8_3ELb0ES6_jNS0_17counting_iteratorIjlEEPS9_SE_NS0_5tupleIJPjSE_EEENSF_IJSE_SE_EEES9_SG_JZNS1_25segmented_radix_sort_implINS0_14default_configELb1EPKbPbPKlPlN2at6native12_GLOBAL__N_18offset_tEEE10hipError_tPvRmT1_PNSt15iterator_traitsISY_E10value_typeET2_T3_PNSZ_IS14_E10value_typeET4_jRbjT5_S1A_jjP12ihipStream_tbEUljE_EEESV_SW_SX_S14_S18_S1A_T6_T7_T9_mT8_S1C_bDpT10_ENKUlT_T0_E_clISt17integral_constantIbLb1EES1P_EEDaS1K_S1L_EUlS1K_E_NS1_11comp_targetILNS1_3genE2ELNS1_11target_archE906ELNS1_3gpuE6ELNS1_3repE0EEENS1_30default_config_static_selectorELNS0_4arch9wavefront6targetE0EEEvSY_, .Lfunc_end1512-_ZN7rocprim17ROCPRIM_400000_NS6detail17trampoline_kernelINS0_13select_configILj256ELj13ELNS0_17block_load_methodE3ELS4_3ELS4_3ELNS0_20block_scan_algorithmE0ELj4294967295EEENS1_25partition_config_selectorILNS1_17partition_subalgoE3EjNS0_10empty_typeEbEEZZNS1_14partition_implILS8_3ELb0ES6_jNS0_17counting_iteratorIjlEEPS9_SE_NS0_5tupleIJPjSE_EEENSF_IJSE_SE_EEES9_SG_JZNS1_25segmented_radix_sort_implINS0_14default_configELb1EPKbPbPKlPlN2at6native12_GLOBAL__N_18offset_tEEE10hipError_tPvRmT1_PNSt15iterator_traitsISY_E10value_typeET2_T3_PNSZ_IS14_E10value_typeET4_jRbjT5_S1A_jjP12ihipStream_tbEUljE_EEESV_SW_SX_S14_S18_S1A_T6_T7_T9_mT8_S1C_bDpT10_ENKUlT_T0_E_clISt17integral_constantIbLb1EES1P_EEDaS1K_S1L_EUlS1K_E_NS1_11comp_targetILNS1_3genE2ELNS1_11target_archE906ELNS1_3gpuE6ELNS1_3repE0EEENS1_30default_config_static_selectorELNS0_4arch9wavefront6targetE0EEEvSY_
                                        ; -- End function
	.set _ZN7rocprim17ROCPRIM_400000_NS6detail17trampoline_kernelINS0_13select_configILj256ELj13ELNS0_17block_load_methodE3ELS4_3ELS4_3ELNS0_20block_scan_algorithmE0ELj4294967295EEENS1_25partition_config_selectorILNS1_17partition_subalgoE3EjNS0_10empty_typeEbEEZZNS1_14partition_implILS8_3ELb0ES6_jNS0_17counting_iteratorIjlEEPS9_SE_NS0_5tupleIJPjSE_EEENSF_IJSE_SE_EEES9_SG_JZNS1_25segmented_radix_sort_implINS0_14default_configELb1EPKbPbPKlPlN2at6native12_GLOBAL__N_18offset_tEEE10hipError_tPvRmT1_PNSt15iterator_traitsISY_E10value_typeET2_T3_PNSZ_IS14_E10value_typeET4_jRbjT5_S1A_jjP12ihipStream_tbEUljE_EEESV_SW_SX_S14_S18_S1A_T6_T7_T9_mT8_S1C_bDpT10_ENKUlT_T0_E_clISt17integral_constantIbLb1EES1P_EEDaS1K_S1L_EUlS1K_E_NS1_11comp_targetILNS1_3genE2ELNS1_11target_archE906ELNS1_3gpuE6ELNS1_3repE0EEENS1_30default_config_static_selectorELNS0_4arch9wavefront6targetE0EEEvSY_.num_vgpr, 0
	.set _ZN7rocprim17ROCPRIM_400000_NS6detail17trampoline_kernelINS0_13select_configILj256ELj13ELNS0_17block_load_methodE3ELS4_3ELS4_3ELNS0_20block_scan_algorithmE0ELj4294967295EEENS1_25partition_config_selectorILNS1_17partition_subalgoE3EjNS0_10empty_typeEbEEZZNS1_14partition_implILS8_3ELb0ES6_jNS0_17counting_iteratorIjlEEPS9_SE_NS0_5tupleIJPjSE_EEENSF_IJSE_SE_EEES9_SG_JZNS1_25segmented_radix_sort_implINS0_14default_configELb1EPKbPbPKlPlN2at6native12_GLOBAL__N_18offset_tEEE10hipError_tPvRmT1_PNSt15iterator_traitsISY_E10value_typeET2_T3_PNSZ_IS14_E10value_typeET4_jRbjT5_S1A_jjP12ihipStream_tbEUljE_EEESV_SW_SX_S14_S18_S1A_T6_T7_T9_mT8_S1C_bDpT10_ENKUlT_T0_E_clISt17integral_constantIbLb1EES1P_EEDaS1K_S1L_EUlS1K_E_NS1_11comp_targetILNS1_3genE2ELNS1_11target_archE906ELNS1_3gpuE6ELNS1_3repE0EEENS1_30default_config_static_selectorELNS0_4arch9wavefront6targetE0EEEvSY_.num_agpr, 0
	.set _ZN7rocprim17ROCPRIM_400000_NS6detail17trampoline_kernelINS0_13select_configILj256ELj13ELNS0_17block_load_methodE3ELS4_3ELS4_3ELNS0_20block_scan_algorithmE0ELj4294967295EEENS1_25partition_config_selectorILNS1_17partition_subalgoE3EjNS0_10empty_typeEbEEZZNS1_14partition_implILS8_3ELb0ES6_jNS0_17counting_iteratorIjlEEPS9_SE_NS0_5tupleIJPjSE_EEENSF_IJSE_SE_EEES9_SG_JZNS1_25segmented_radix_sort_implINS0_14default_configELb1EPKbPbPKlPlN2at6native12_GLOBAL__N_18offset_tEEE10hipError_tPvRmT1_PNSt15iterator_traitsISY_E10value_typeET2_T3_PNSZ_IS14_E10value_typeET4_jRbjT5_S1A_jjP12ihipStream_tbEUljE_EEESV_SW_SX_S14_S18_S1A_T6_T7_T9_mT8_S1C_bDpT10_ENKUlT_T0_E_clISt17integral_constantIbLb1EES1P_EEDaS1K_S1L_EUlS1K_E_NS1_11comp_targetILNS1_3genE2ELNS1_11target_archE906ELNS1_3gpuE6ELNS1_3repE0EEENS1_30default_config_static_selectorELNS0_4arch9wavefront6targetE0EEEvSY_.numbered_sgpr, 0
	.set _ZN7rocprim17ROCPRIM_400000_NS6detail17trampoline_kernelINS0_13select_configILj256ELj13ELNS0_17block_load_methodE3ELS4_3ELS4_3ELNS0_20block_scan_algorithmE0ELj4294967295EEENS1_25partition_config_selectorILNS1_17partition_subalgoE3EjNS0_10empty_typeEbEEZZNS1_14partition_implILS8_3ELb0ES6_jNS0_17counting_iteratorIjlEEPS9_SE_NS0_5tupleIJPjSE_EEENSF_IJSE_SE_EEES9_SG_JZNS1_25segmented_radix_sort_implINS0_14default_configELb1EPKbPbPKlPlN2at6native12_GLOBAL__N_18offset_tEEE10hipError_tPvRmT1_PNSt15iterator_traitsISY_E10value_typeET2_T3_PNSZ_IS14_E10value_typeET4_jRbjT5_S1A_jjP12ihipStream_tbEUljE_EEESV_SW_SX_S14_S18_S1A_T6_T7_T9_mT8_S1C_bDpT10_ENKUlT_T0_E_clISt17integral_constantIbLb1EES1P_EEDaS1K_S1L_EUlS1K_E_NS1_11comp_targetILNS1_3genE2ELNS1_11target_archE906ELNS1_3gpuE6ELNS1_3repE0EEENS1_30default_config_static_selectorELNS0_4arch9wavefront6targetE0EEEvSY_.num_named_barrier, 0
	.set _ZN7rocprim17ROCPRIM_400000_NS6detail17trampoline_kernelINS0_13select_configILj256ELj13ELNS0_17block_load_methodE3ELS4_3ELS4_3ELNS0_20block_scan_algorithmE0ELj4294967295EEENS1_25partition_config_selectorILNS1_17partition_subalgoE3EjNS0_10empty_typeEbEEZZNS1_14partition_implILS8_3ELb0ES6_jNS0_17counting_iteratorIjlEEPS9_SE_NS0_5tupleIJPjSE_EEENSF_IJSE_SE_EEES9_SG_JZNS1_25segmented_radix_sort_implINS0_14default_configELb1EPKbPbPKlPlN2at6native12_GLOBAL__N_18offset_tEEE10hipError_tPvRmT1_PNSt15iterator_traitsISY_E10value_typeET2_T3_PNSZ_IS14_E10value_typeET4_jRbjT5_S1A_jjP12ihipStream_tbEUljE_EEESV_SW_SX_S14_S18_S1A_T6_T7_T9_mT8_S1C_bDpT10_ENKUlT_T0_E_clISt17integral_constantIbLb1EES1P_EEDaS1K_S1L_EUlS1K_E_NS1_11comp_targetILNS1_3genE2ELNS1_11target_archE906ELNS1_3gpuE6ELNS1_3repE0EEENS1_30default_config_static_selectorELNS0_4arch9wavefront6targetE0EEEvSY_.private_seg_size, 0
	.set _ZN7rocprim17ROCPRIM_400000_NS6detail17trampoline_kernelINS0_13select_configILj256ELj13ELNS0_17block_load_methodE3ELS4_3ELS4_3ELNS0_20block_scan_algorithmE0ELj4294967295EEENS1_25partition_config_selectorILNS1_17partition_subalgoE3EjNS0_10empty_typeEbEEZZNS1_14partition_implILS8_3ELb0ES6_jNS0_17counting_iteratorIjlEEPS9_SE_NS0_5tupleIJPjSE_EEENSF_IJSE_SE_EEES9_SG_JZNS1_25segmented_radix_sort_implINS0_14default_configELb1EPKbPbPKlPlN2at6native12_GLOBAL__N_18offset_tEEE10hipError_tPvRmT1_PNSt15iterator_traitsISY_E10value_typeET2_T3_PNSZ_IS14_E10value_typeET4_jRbjT5_S1A_jjP12ihipStream_tbEUljE_EEESV_SW_SX_S14_S18_S1A_T6_T7_T9_mT8_S1C_bDpT10_ENKUlT_T0_E_clISt17integral_constantIbLb1EES1P_EEDaS1K_S1L_EUlS1K_E_NS1_11comp_targetILNS1_3genE2ELNS1_11target_archE906ELNS1_3gpuE6ELNS1_3repE0EEENS1_30default_config_static_selectorELNS0_4arch9wavefront6targetE0EEEvSY_.uses_vcc, 0
	.set _ZN7rocprim17ROCPRIM_400000_NS6detail17trampoline_kernelINS0_13select_configILj256ELj13ELNS0_17block_load_methodE3ELS4_3ELS4_3ELNS0_20block_scan_algorithmE0ELj4294967295EEENS1_25partition_config_selectorILNS1_17partition_subalgoE3EjNS0_10empty_typeEbEEZZNS1_14partition_implILS8_3ELb0ES6_jNS0_17counting_iteratorIjlEEPS9_SE_NS0_5tupleIJPjSE_EEENSF_IJSE_SE_EEES9_SG_JZNS1_25segmented_radix_sort_implINS0_14default_configELb1EPKbPbPKlPlN2at6native12_GLOBAL__N_18offset_tEEE10hipError_tPvRmT1_PNSt15iterator_traitsISY_E10value_typeET2_T3_PNSZ_IS14_E10value_typeET4_jRbjT5_S1A_jjP12ihipStream_tbEUljE_EEESV_SW_SX_S14_S18_S1A_T6_T7_T9_mT8_S1C_bDpT10_ENKUlT_T0_E_clISt17integral_constantIbLb1EES1P_EEDaS1K_S1L_EUlS1K_E_NS1_11comp_targetILNS1_3genE2ELNS1_11target_archE906ELNS1_3gpuE6ELNS1_3repE0EEENS1_30default_config_static_selectorELNS0_4arch9wavefront6targetE0EEEvSY_.uses_flat_scratch, 0
	.set _ZN7rocprim17ROCPRIM_400000_NS6detail17trampoline_kernelINS0_13select_configILj256ELj13ELNS0_17block_load_methodE3ELS4_3ELS4_3ELNS0_20block_scan_algorithmE0ELj4294967295EEENS1_25partition_config_selectorILNS1_17partition_subalgoE3EjNS0_10empty_typeEbEEZZNS1_14partition_implILS8_3ELb0ES6_jNS0_17counting_iteratorIjlEEPS9_SE_NS0_5tupleIJPjSE_EEENSF_IJSE_SE_EEES9_SG_JZNS1_25segmented_radix_sort_implINS0_14default_configELb1EPKbPbPKlPlN2at6native12_GLOBAL__N_18offset_tEEE10hipError_tPvRmT1_PNSt15iterator_traitsISY_E10value_typeET2_T3_PNSZ_IS14_E10value_typeET4_jRbjT5_S1A_jjP12ihipStream_tbEUljE_EEESV_SW_SX_S14_S18_S1A_T6_T7_T9_mT8_S1C_bDpT10_ENKUlT_T0_E_clISt17integral_constantIbLb1EES1P_EEDaS1K_S1L_EUlS1K_E_NS1_11comp_targetILNS1_3genE2ELNS1_11target_archE906ELNS1_3gpuE6ELNS1_3repE0EEENS1_30default_config_static_selectorELNS0_4arch9wavefront6targetE0EEEvSY_.has_dyn_sized_stack, 0
	.set _ZN7rocprim17ROCPRIM_400000_NS6detail17trampoline_kernelINS0_13select_configILj256ELj13ELNS0_17block_load_methodE3ELS4_3ELS4_3ELNS0_20block_scan_algorithmE0ELj4294967295EEENS1_25partition_config_selectorILNS1_17partition_subalgoE3EjNS0_10empty_typeEbEEZZNS1_14partition_implILS8_3ELb0ES6_jNS0_17counting_iteratorIjlEEPS9_SE_NS0_5tupleIJPjSE_EEENSF_IJSE_SE_EEES9_SG_JZNS1_25segmented_radix_sort_implINS0_14default_configELb1EPKbPbPKlPlN2at6native12_GLOBAL__N_18offset_tEEE10hipError_tPvRmT1_PNSt15iterator_traitsISY_E10value_typeET2_T3_PNSZ_IS14_E10value_typeET4_jRbjT5_S1A_jjP12ihipStream_tbEUljE_EEESV_SW_SX_S14_S18_S1A_T6_T7_T9_mT8_S1C_bDpT10_ENKUlT_T0_E_clISt17integral_constantIbLb1EES1P_EEDaS1K_S1L_EUlS1K_E_NS1_11comp_targetILNS1_3genE2ELNS1_11target_archE906ELNS1_3gpuE6ELNS1_3repE0EEENS1_30default_config_static_selectorELNS0_4arch9wavefront6targetE0EEEvSY_.has_recursion, 0
	.set _ZN7rocprim17ROCPRIM_400000_NS6detail17trampoline_kernelINS0_13select_configILj256ELj13ELNS0_17block_load_methodE3ELS4_3ELS4_3ELNS0_20block_scan_algorithmE0ELj4294967295EEENS1_25partition_config_selectorILNS1_17partition_subalgoE3EjNS0_10empty_typeEbEEZZNS1_14partition_implILS8_3ELb0ES6_jNS0_17counting_iteratorIjlEEPS9_SE_NS0_5tupleIJPjSE_EEENSF_IJSE_SE_EEES9_SG_JZNS1_25segmented_radix_sort_implINS0_14default_configELb1EPKbPbPKlPlN2at6native12_GLOBAL__N_18offset_tEEE10hipError_tPvRmT1_PNSt15iterator_traitsISY_E10value_typeET2_T3_PNSZ_IS14_E10value_typeET4_jRbjT5_S1A_jjP12ihipStream_tbEUljE_EEESV_SW_SX_S14_S18_S1A_T6_T7_T9_mT8_S1C_bDpT10_ENKUlT_T0_E_clISt17integral_constantIbLb1EES1P_EEDaS1K_S1L_EUlS1K_E_NS1_11comp_targetILNS1_3genE2ELNS1_11target_archE906ELNS1_3gpuE6ELNS1_3repE0EEENS1_30default_config_static_selectorELNS0_4arch9wavefront6targetE0EEEvSY_.has_indirect_call, 0
	.section	.AMDGPU.csdata,"",@progbits
; Kernel info:
; codeLenInByte = 0
; TotalNumSgprs: 0
; NumVgprs: 0
; ScratchSize: 0
; MemoryBound: 0
; FloatMode: 240
; IeeeMode: 1
; LDSByteSize: 0 bytes/workgroup (compile time only)
; SGPRBlocks: 0
; VGPRBlocks: 0
; NumSGPRsForWavesPerEU: 1
; NumVGPRsForWavesPerEU: 1
; Occupancy: 16
; WaveLimiterHint : 0
; COMPUTE_PGM_RSRC2:SCRATCH_EN: 0
; COMPUTE_PGM_RSRC2:USER_SGPR: 2
; COMPUTE_PGM_RSRC2:TRAP_HANDLER: 0
; COMPUTE_PGM_RSRC2:TGID_X_EN: 1
; COMPUTE_PGM_RSRC2:TGID_Y_EN: 0
; COMPUTE_PGM_RSRC2:TGID_Z_EN: 0
; COMPUTE_PGM_RSRC2:TIDIG_COMP_CNT: 0
	.section	.text._ZN7rocprim17ROCPRIM_400000_NS6detail17trampoline_kernelINS0_13select_configILj256ELj13ELNS0_17block_load_methodE3ELS4_3ELS4_3ELNS0_20block_scan_algorithmE0ELj4294967295EEENS1_25partition_config_selectorILNS1_17partition_subalgoE3EjNS0_10empty_typeEbEEZZNS1_14partition_implILS8_3ELb0ES6_jNS0_17counting_iteratorIjlEEPS9_SE_NS0_5tupleIJPjSE_EEENSF_IJSE_SE_EEES9_SG_JZNS1_25segmented_radix_sort_implINS0_14default_configELb1EPKbPbPKlPlN2at6native12_GLOBAL__N_18offset_tEEE10hipError_tPvRmT1_PNSt15iterator_traitsISY_E10value_typeET2_T3_PNSZ_IS14_E10value_typeET4_jRbjT5_S1A_jjP12ihipStream_tbEUljE_EEESV_SW_SX_S14_S18_S1A_T6_T7_T9_mT8_S1C_bDpT10_ENKUlT_T0_E_clISt17integral_constantIbLb1EES1P_EEDaS1K_S1L_EUlS1K_E_NS1_11comp_targetILNS1_3genE10ELNS1_11target_archE1200ELNS1_3gpuE4ELNS1_3repE0EEENS1_30default_config_static_selectorELNS0_4arch9wavefront6targetE0EEEvSY_,"axG",@progbits,_ZN7rocprim17ROCPRIM_400000_NS6detail17trampoline_kernelINS0_13select_configILj256ELj13ELNS0_17block_load_methodE3ELS4_3ELS4_3ELNS0_20block_scan_algorithmE0ELj4294967295EEENS1_25partition_config_selectorILNS1_17partition_subalgoE3EjNS0_10empty_typeEbEEZZNS1_14partition_implILS8_3ELb0ES6_jNS0_17counting_iteratorIjlEEPS9_SE_NS0_5tupleIJPjSE_EEENSF_IJSE_SE_EEES9_SG_JZNS1_25segmented_radix_sort_implINS0_14default_configELb1EPKbPbPKlPlN2at6native12_GLOBAL__N_18offset_tEEE10hipError_tPvRmT1_PNSt15iterator_traitsISY_E10value_typeET2_T3_PNSZ_IS14_E10value_typeET4_jRbjT5_S1A_jjP12ihipStream_tbEUljE_EEESV_SW_SX_S14_S18_S1A_T6_T7_T9_mT8_S1C_bDpT10_ENKUlT_T0_E_clISt17integral_constantIbLb1EES1P_EEDaS1K_S1L_EUlS1K_E_NS1_11comp_targetILNS1_3genE10ELNS1_11target_archE1200ELNS1_3gpuE4ELNS1_3repE0EEENS1_30default_config_static_selectorELNS0_4arch9wavefront6targetE0EEEvSY_,comdat
	.globl	_ZN7rocprim17ROCPRIM_400000_NS6detail17trampoline_kernelINS0_13select_configILj256ELj13ELNS0_17block_load_methodE3ELS4_3ELS4_3ELNS0_20block_scan_algorithmE0ELj4294967295EEENS1_25partition_config_selectorILNS1_17partition_subalgoE3EjNS0_10empty_typeEbEEZZNS1_14partition_implILS8_3ELb0ES6_jNS0_17counting_iteratorIjlEEPS9_SE_NS0_5tupleIJPjSE_EEENSF_IJSE_SE_EEES9_SG_JZNS1_25segmented_radix_sort_implINS0_14default_configELb1EPKbPbPKlPlN2at6native12_GLOBAL__N_18offset_tEEE10hipError_tPvRmT1_PNSt15iterator_traitsISY_E10value_typeET2_T3_PNSZ_IS14_E10value_typeET4_jRbjT5_S1A_jjP12ihipStream_tbEUljE_EEESV_SW_SX_S14_S18_S1A_T6_T7_T9_mT8_S1C_bDpT10_ENKUlT_T0_E_clISt17integral_constantIbLb1EES1P_EEDaS1K_S1L_EUlS1K_E_NS1_11comp_targetILNS1_3genE10ELNS1_11target_archE1200ELNS1_3gpuE4ELNS1_3repE0EEENS1_30default_config_static_selectorELNS0_4arch9wavefront6targetE0EEEvSY_ ; -- Begin function _ZN7rocprim17ROCPRIM_400000_NS6detail17trampoline_kernelINS0_13select_configILj256ELj13ELNS0_17block_load_methodE3ELS4_3ELS4_3ELNS0_20block_scan_algorithmE0ELj4294967295EEENS1_25partition_config_selectorILNS1_17partition_subalgoE3EjNS0_10empty_typeEbEEZZNS1_14partition_implILS8_3ELb0ES6_jNS0_17counting_iteratorIjlEEPS9_SE_NS0_5tupleIJPjSE_EEENSF_IJSE_SE_EEES9_SG_JZNS1_25segmented_radix_sort_implINS0_14default_configELb1EPKbPbPKlPlN2at6native12_GLOBAL__N_18offset_tEEE10hipError_tPvRmT1_PNSt15iterator_traitsISY_E10value_typeET2_T3_PNSZ_IS14_E10value_typeET4_jRbjT5_S1A_jjP12ihipStream_tbEUljE_EEESV_SW_SX_S14_S18_S1A_T6_T7_T9_mT8_S1C_bDpT10_ENKUlT_T0_E_clISt17integral_constantIbLb1EES1P_EEDaS1K_S1L_EUlS1K_E_NS1_11comp_targetILNS1_3genE10ELNS1_11target_archE1200ELNS1_3gpuE4ELNS1_3repE0EEENS1_30default_config_static_selectorELNS0_4arch9wavefront6targetE0EEEvSY_
	.p2align	8
	.type	_ZN7rocprim17ROCPRIM_400000_NS6detail17trampoline_kernelINS0_13select_configILj256ELj13ELNS0_17block_load_methodE3ELS4_3ELS4_3ELNS0_20block_scan_algorithmE0ELj4294967295EEENS1_25partition_config_selectorILNS1_17partition_subalgoE3EjNS0_10empty_typeEbEEZZNS1_14partition_implILS8_3ELb0ES6_jNS0_17counting_iteratorIjlEEPS9_SE_NS0_5tupleIJPjSE_EEENSF_IJSE_SE_EEES9_SG_JZNS1_25segmented_radix_sort_implINS0_14default_configELb1EPKbPbPKlPlN2at6native12_GLOBAL__N_18offset_tEEE10hipError_tPvRmT1_PNSt15iterator_traitsISY_E10value_typeET2_T3_PNSZ_IS14_E10value_typeET4_jRbjT5_S1A_jjP12ihipStream_tbEUljE_EEESV_SW_SX_S14_S18_S1A_T6_T7_T9_mT8_S1C_bDpT10_ENKUlT_T0_E_clISt17integral_constantIbLb1EES1P_EEDaS1K_S1L_EUlS1K_E_NS1_11comp_targetILNS1_3genE10ELNS1_11target_archE1200ELNS1_3gpuE4ELNS1_3repE0EEENS1_30default_config_static_selectorELNS0_4arch9wavefront6targetE0EEEvSY_,@function
_ZN7rocprim17ROCPRIM_400000_NS6detail17trampoline_kernelINS0_13select_configILj256ELj13ELNS0_17block_load_methodE3ELS4_3ELS4_3ELNS0_20block_scan_algorithmE0ELj4294967295EEENS1_25partition_config_selectorILNS1_17partition_subalgoE3EjNS0_10empty_typeEbEEZZNS1_14partition_implILS8_3ELb0ES6_jNS0_17counting_iteratorIjlEEPS9_SE_NS0_5tupleIJPjSE_EEENSF_IJSE_SE_EEES9_SG_JZNS1_25segmented_radix_sort_implINS0_14default_configELb1EPKbPbPKlPlN2at6native12_GLOBAL__N_18offset_tEEE10hipError_tPvRmT1_PNSt15iterator_traitsISY_E10value_typeET2_T3_PNSZ_IS14_E10value_typeET4_jRbjT5_S1A_jjP12ihipStream_tbEUljE_EEESV_SW_SX_S14_S18_S1A_T6_T7_T9_mT8_S1C_bDpT10_ENKUlT_T0_E_clISt17integral_constantIbLb1EES1P_EEDaS1K_S1L_EUlS1K_E_NS1_11comp_targetILNS1_3genE10ELNS1_11target_archE1200ELNS1_3gpuE4ELNS1_3repE0EEENS1_30default_config_static_selectorELNS0_4arch9wavefront6targetE0EEEvSY_: ; @_ZN7rocprim17ROCPRIM_400000_NS6detail17trampoline_kernelINS0_13select_configILj256ELj13ELNS0_17block_load_methodE3ELS4_3ELS4_3ELNS0_20block_scan_algorithmE0ELj4294967295EEENS1_25partition_config_selectorILNS1_17partition_subalgoE3EjNS0_10empty_typeEbEEZZNS1_14partition_implILS8_3ELb0ES6_jNS0_17counting_iteratorIjlEEPS9_SE_NS0_5tupleIJPjSE_EEENSF_IJSE_SE_EEES9_SG_JZNS1_25segmented_radix_sort_implINS0_14default_configELb1EPKbPbPKlPlN2at6native12_GLOBAL__N_18offset_tEEE10hipError_tPvRmT1_PNSt15iterator_traitsISY_E10value_typeET2_T3_PNSZ_IS14_E10value_typeET4_jRbjT5_S1A_jjP12ihipStream_tbEUljE_EEESV_SW_SX_S14_S18_S1A_T6_T7_T9_mT8_S1C_bDpT10_ENKUlT_T0_E_clISt17integral_constantIbLb1EES1P_EEDaS1K_S1L_EUlS1K_E_NS1_11comp_targetILNS1_3genE10ELNS1_11target_archE1200ELNS1_3gpuE4ELNS1_3repE0EEENS1_30default_config_static_selectorELNS0_4arch9wavefront6targetE0EEEvSY_
; %bb.0:
	s_endpgm
	.section	.rodata,"a",@progbits
	.p2align	6, 0x0
	.amdhsa_kernel _ZN7rocprim17ROCPRIM_400000_NS6detail17trampoline_kernelINS0_13select_configILj256ELj13ELNS0_17block_load_methodE3ELS4_3ELS4_3ELNS0_20block_scan_algorithmE0ELj4294967295EEENS1_25partition_config_selectorILNS1_17partition_subalgoE3EjNS0_10empty_typeEbEEZZNS1_14partition_implILS8_3ELb0ES6_jNS0_17counting_iteratorIjlEEPS9_SE_NS0_5tupleIJPjSE_EEENSF_IJSE_SE_EEES9_SG_JZNS1_25segmented_radix_sort_implINS0_14default_configELb1EPKbPbPKlPlN2at6native12_GLOBAL__N_18offset_tEEE10hipError_tPvRmT1_PNSt15iterator_traitsISY_E10value_typeET2_T3_PNSZ_IS14_E10value_typeET4_jRbjT5_S1A_jjP12ihipStream_tbEUljE_EEESV_SW_SX_S14_S18_S1A_T6_T7_T9_mT8_S1C_bDpT10_ENKUlT_T0_E_clISt17integral_constantIbLb1EES1P_EEDaS1K_S1L_EUlS1K_E_NS1_11comp_targetILNS1_3genE10ELNS1_11target_archE1200ELNS1_3gpuE4ELNS1_3repE0EEENS1_30default_config_static_selectorELNS0_4arch9wavefront6targetE0EEEvSY_
		.amdhsa_group_segment_fixed_size 0
		.amdhsa_private_segment_fixed_size 0
		.amdhsa_kernarg_size 152
		.amdhsa_user_sgpr_count 2
		.amdhsa_user_sgpr_dispatch_ptr 0
		.amdhsa_user_sgpr_queue_ptr 0
		.amdhsa_user_sgpr_kernarg_segment_ptr 1
		.amdhsa_user_sgpr_dispatch_id 0
		.amdhsa_user_sgpr_private_segment_size 0
		.amdhsa_wavefront_size32 1
		.amdhsa_uses_dynamic_stack 0
		.amdhsa_enable_private_segment 0
		.amdhsa_system_sgpr_workgroup_id_x 1
		.amdhsa_system_sgpr_workgroup_id_y 0
		.amdhsa_system_sgpr_workgroup_id_z 0
		.amdhsa_system_sgpr_workgroup_info 0
		.amdhsa_system_vgpr_workitem_id 0
		.amdhsa_next_free_vgpr 1
		.amdhsa_next_free_sgpr 1
		.amdhsa_reserve_vcc 0
		.amdhsa_float_round_mode_32 0
		.amdhsa_float_round_mode_16_64 0
		.amdhsa_float_denorm_mode_32 3
		.amdhsa_float_denorm_mode_16_64 3
		.amdhsa_fp16_overflow 0
		.amdhsa_workgroup_processor_mode 1
		.amdhsa_memory_ordered 1
		.amdhsa_forward_progress 1
		.amdhsa_inst_pref_size 1
		.amdhsa_round_robin_scheduling 0
		.amdhsa_exception_fp_ieee_invalid_op 0
		.amdhsa_exception_fp_denorm_src 0
		.amdhsa_exception_fp_ieee_div_zero 0
		.amdhsa_exception_fp_ieee_overflow 0
		.amdhsa_exception_fp_ieee_underflow 0
		.amdhsa_exception_fp_ieee_inexact 0
		.amdhsa_exception_int_div_zero 0
	.end_amdhsa_kernel
	.section	.text._ZN7rocprim17ROCPRIM_400000_NS6detail17trampoline_kernelINS0_13select_configILj256ELj13ELNS0_17block_load_methodE3ELS4_3ELS4_3ELNS0_20block_scan_algorithmE0ELj4294967295EEENS1_25partition_config_selectorILNS1_17partition_subalgoE3EjNS0_10empty_typeEbEEZZNS1_14partition_implILS8_3ELb0ES6_jNS0_17counting_iteratorIjlEEPS9_SE_NS0_5tupleIJPjSE_EEENSF_IJSE_SE_EEES9_SG_JZNS1_25segmented_radix_sort_implINS0_14default_configELb1EPKbPbPKlPlN2at6native12_GLOBAL__N_18offset_tEEE10hipError_tPvRmT1_PNSt15iterator_traitsISY_E10value_typeET2_T3_PNSZ_IS14_E10value_typeET4_jRbjT5_S1A_jjP12ihipStream_tbEUljE_EEESV_SW_SX_S14_S18_S1A_T6_T7_T9_mT8_S1C_bDpT10_ENKUlT_T0_E_clISt17integral_constantIbLb1EES1P_EEDaS1K_S1L_EUlS1K_E_NS1_11comp_targetILNS1_3genE10ELNS1_11target_archE1200ELNS1_3gpuE4ELNS1_3repE0EEENS1_30default_config_static_selectorELNS0_4arch9wavefront6targetE0EEEvSY_,"axG",@progbits,_ZN7rocprim17ROCPRIM_400000_NS6detail17trampoline_kernelINS0_13select_configILj256ELj13ELNS0_17block_load_methodE3ELS4_3ELS4_3ELNS0_20block_scan_algorithmE0ELj4294967295EEENS1_25partition_config_selectorILNS1_17partition_subalgoE3EjNS0_10empty_typeEbEEZZNS1_14partition_implILS8_3ELb0ES6_jNS0_17counting_iteratorIjlEEPS9_SE_NS0_5tupleIJPjSE_EEENSF_IJSE_SE_EEES9_SG_JZNS1_25segmented_radix_sort_implINS0_14default_configELb1EPKbPbPKlPlN2at6native12_GLOBAL__N_18offset_tEEE10hipError_tPvRmT1_PNSt15iterator_traitsISY_E10value_typeET2_T3_PNSZ_IS14_E10value_typeET4_jRbjT5_S1A_jjP12ihipStream_tbEUljE_EEESV_SW_SX_S14_S18_S1A_T6_T7_T9_mT8_S1C_bDpT10_ENKUlT_T0_E_clISt17integral_constantIbLb1EES1P_EEDaS1K_S1L_EUlS1K_E_NS1_11comp_targetILNS1_3genE10ELNS1_11target_archE1200ELNS1_3gpuE4ELNS1_3repE0EEENS1_30default_config_static_selectorELNS0_4arch9wavefront6targetE0EEEvSY_,comdat
.Lfunc_end1513:
	.size	_ZN7rocprim17ROCPRIM_400000_NS6detail17trampoline_kernelINS0_13select_configILj256ELj13ELNS0_17block_load_methodE3ELS4_3ELS4_3ELNS0_20block_scan_algorithmE0ELj4294967295EEENS1_25partition_config_selectorILNS1_17partition_subalgoE3EjNS0_10empty_typeEbEEZZNS1_14partition_implILS8_3ELb0ES6_jNS0_17counting_iteratorIjlEEPS9_SE_NS0_5tupleIJPjSE_EEENSF_IJSE_SE_EEES9_SG_JZNS1_25segmented_radix_sort_implINS0_14default_configELb1EPKbPbPKlPlN2at6native12_GLOBAL__N_18offset_tEEE10hipError_tPvRmT1_PNSt15iterator_traitsISY_E10value_typeET2_T3_PNSZ_IS14_E10value_typeET4_jRbjT5_S1A_jjP12ihipStream_tbEUljE_EEESV_SW_SX_S14_S18_S1A_T6_T7_T9_mT8_S1C_bDpT10_ENKUlT_T0_E_clISt17integral_constantIbLb1EES1P_EEDaS1K_S1L_EUlS1K_E_NS1_11comp_targetILNS1_3genE10ELNS1_11target_archE1200ELNS1_3gpuE4ELNS1_3repE0EEENS1_30default_config_static_selectorELNS0_4arch9wavefront6targetE0EEEvSY_, .Lfunc_end1513-_ZN7rocprim17ROCPRIM_400000_NS6detail17trampoline_kernelINS0_13select_configILj256ELj13ELNS0_17block_load_methodE3ELS4_3ELS4_3ELNS0_20block_scan_algorithmE0ELj4294967295EEENS1_25partition_config_selectorILNS1_17partition_subalgoE3EjNS0_10empty_typeEbEEZZNS1_14partition_implILS8_3ELb0ES6_jNS0_17counting_iteratorIjlEEPS9_SE_NS0_5tupleIJPjSE_EEENSF_IJSE_SE_EEES9_SG_JZNS1_25segmented_radix_sort_implINS0_14default_configELb1EPKbPbPKlPlN2at6native12_GLOBAL__N_18offset_tEEE10hipError_tPvRmT1_PNSt15iterator_traitsISY_E10value_typeET2_T3_PNSZ_IS14_E10value_typeET4_jRbjT5_S1A_jjP12ihipStream_tbEUljE_EEESV_SW_SX_S14_S18_S1A_T6_T7_T9_mT8_S1C_bDpT10_ENKUlT_T0_E_clISt17integral_constantIbLb1EES1P_EEDaS1K_S1L_EUlS1K_E_NS1_11comp_targetILNS1_3genE10ELNS1_11target_archE1200ELNS1_3gpuE4ELNS1_3repE0EEENS1_30default_config_static_selectorELNS0_4arch9wavefront6targetE0EEEvSY_
                                        ; -- End function
	.set _ZN7rocprim17ROCPRIM_400000_NS6detail17trampoline_kernelINS0_13select_configILj256ELj13ELNS0_17block_load_methodE3ELS4_3ELS4_3ELNS0_20block_scan_algorithmE0ELj4294967295EEENS1_25partition_config_selectorILNS1_17partition_subalgoE3EjNS0_10empty_typeEbEEZZNS1_14partition_implILS8_3ELb0ES6_jNS0_17counting_iteratorIjlEEPS9_SE_NS0_5tupleIJPjSE_EEENSF_IJSE_SE_EEES9_SG_JZNS1_25segmented_radix_sort_implINS0_14default_configELb1EPKbPbPKlPlN2at6native12_GLOBAL__N_18offset_tEEE10hipError_tPvRmT1_PNSt15iterator_traitsISY_E10value_typeET2_T3_PNSZ_IS14_E10value_typeET4_jRbjT5_S1A_jjP12ihipStream_tbEUljE_EEESV_SW_SX_S14_S18_S1A_T6_T7_T9_mT8_S1C_bDpT10_ENKUlT_T0_E_clISt17integral_constantIbLb1EES1P_EEDaS1K_S1L_EUlS1K_E_NS1_11comp_targetILNS1_3genE10ELNS1_11target_archE1200ELNS1_3gpuE4ELNS1_3repE0EEENS1_30default_config_static_selectorELNS0_4arch9wavefront6targetE0EEEvSY_.num_vgpr, 0
	.set _ZN7rocprim17ROCPRIM_400000_NS6detail17trampoline_kernelINS0_13select_configILj256ELj13ELNS0_17block_load_methodE3ELS4_3ELS4_3ELNS0_20block_scan_algorithmE0ELj4294967295EEENS1_25partition_config_selectorILNS1_17partition_subalgoE3EjNS0_10empty_typeEbEEZZNS1_14partition_implILS8_3ELb0ES6_jNS0_17counting_iteratorIjlEEPS9_SE_NS0_5tupleIJPjSE_EEENSF_IJSE_SE_EEES9_SG_JZNS1_25segmented_radix_sort_implINS0_14default_configELb1EPKbPbPKlPlN2at6native12_GLOBAL__N_18offset_tEEE10hipError_tPvRmT1_PNSt15iterator_traitsISY_E10value_typeET2_T3_PNSZ_IS14_E10value_typeET4_jRbjT5_S1A_jjP12ihipStream_tbEUljE_EEESV_SW_SX_S14_S18_S1A_T6_T7_T9_mT8_S1C_bDpT10_ENKUlT_T0_E_clISt17integral_constantIbLb1EES1P_EEDaS1K_S1L_EUlS1K_E_NS1_11comp_targetILNS1_3genE10ELNS1_11target_archE1200ELNS1_3gpuE4ELNS1_3repE0EEENS1_30default_config_static_selectorELNS0_4arch9wavefront6targetE0EEEvSY_.num_agpr, 0
	.set _ZN7rocprim17ROCPRIM_400000_NS6detail17trampoline_kernelINS0_13select_configILj256ELj13ELNS0_17block_load_methodE3ELS4_3ELS4_3ELNS0_20block_scan_algorithmE0ELj4294967295EEENS1_25partition_config_selectorILNS1_17partition_subalgoE3EjNS0_10empty_typeEbEEZZNS1_14partition_implILS8_3ELb0ES6_jNS0_17counting_iteratorIjlEEPS9_SE_NS0_5tupleIJPjSE_EEENSF_IJSE_SE_EEES9_SG_JZNS1_25segmented_radix_sort_implINS0_14default_configELb1EPKbPbPKlPlN2at6native12_GLOBAL__N_18offset_tEEE10hipError_tPvRmT1_PNSt15iterator_traitsISY_E10value_typeET2_T3_PNSZ_IS14_E10value_typeET4_jRbjT5_S1A_jjP12ihipStream_tbEUljE_EEESV_SW_SX_S14_S18_S1A_T6_T7_T9_mT8_S1C_bDpT10_ENKUlT_T0_E_clISt17integral_constantIbLb1EES1P_EEDaS1K_S1L_EUlS1K_E_NS1_11comp_targetILNS1_3genE10ELNS1_11target_archE1200ELNS1_3gpuE4ELNS1_3repE0EEENS1_30default_config_static_selectorELNS0_4arch9wavefront6targetE0EEEvSY_.numbered_sgpr, 0
	.set _ZN7rocprim17ROCPRIM_400000_NS6detail17trampoline_kernelINS0_13select_configILj256ELj13ELNS0_17block_load_methodE3ELS4_3ELS4_3ELNS0_20block_scan_algorithmE0ELj4294967295EEENS1_25partition_config_selectorILNS1_17partition_subalgoE3EjNS0_10empty_typeEbEEZZNS1_14partition_implILS8_3ELb0ES6_jNS0_17counting_iteratorIjlEEPS9_SE_NS0_5tupleIJPjSE_EEENSF_IJSE_SE_EEES9_SG_JZNS1_25segmented_radix_sort_implINS0_14default_configELb1EPKbPbPKlPlN2at6native12_GLOBAL__N_18offset_tEEE10hipError_tPvRmT1_PNSt15iterator_traitsISY_E10value_typeET2_T3_PNSZ_IS14_E10value_typeET4_jRbjT5_S1A_jjP12ihipStream_tbEUljE_EEESV_SW_SX_S14_S18_S1A_T6_T7_T9_mT8_S1C_bDpT10_ENKUlT_T0_E_clISt17integral_constantIbLb1EES1P_EEDaS1K_S1L_EUlS1K_E_NS1_11comp_targetILNS1_3genE10ELNS1_11target_archE1200ELNS1_3gpuE4ELNS1_3repE0EEENS1_30default_config_static_selectorELNS0_4arch9wavefront6targetE0EEEvSY_.num_named_barrier, 0
	.set _ZN7rocprim17ROCPRIM_400000_NS6detail17trampoline_kernelINS0_13select_configILj256ELj13ELNS0_17block_load_methodE3ELS4_3ELS4_3ELNS0_20block_scan_algorithmE0ELj4294967295EEENS1_25partition_config_selectorILNS1_17partition_subalgoE3EjNS0_10empty_typeEbEEZZNS1_14partition_implILS8_3ELb0ES6_jNS0_17counting_iteratorIjlEEPS9_SE_NS0_5tupleIJPjSE_EEENSF_IJSE_SE_EEES9_SG_JZNS1_25segmented_radix_sort_implINS0_14default_configELb1EPKbPbPKlPlN2at6native12_GLOBAL__N_18offset_tEEE10hipError_tPvRmT1_PNSt15iterator_traitsISY_E10value_typeET2_T3_PNSZ_IS14_E10value_typeET4_jRbjT5_S1A_jjP12ihipStream_tbEUljE_EEESV_SW_SX_S14_S18_S1A_T6_T7_T9_mT8_S1C_bDpT10_ENKUlT_T0_E_clISt17integral_constantIbLb1EES1P_EEDaS1K_S1L_EUlS1K_E_NS1_11comp_targetILNS1_3genE10ELNS1_11target_archE1200ELNS1_3gpuE4ELNS1_3repE0EEENS1_30default_config_static_selectorELNS0_4arch9wavefront6targetE0EEEvSY_.private_seg_size, 0
	.set _ZN7rocprim17ROCPRIM_400000_NS6detail17trampoline_kernelINS0_13select_configILj256ELj13ELNS0_17block_load_methodE3ELS4_3ELS4_3ELNS0_20block_scan_algorithmE0ELj4294967295EEENS1_25partition_config_selectorILNS1_17partition_subalgoE3EjNS0_10empty_typeEbEEZZNS1_14partition_implILS8_3ELb0ES6_jNS0_17counting_iteratorIjlEEPS9_SE_NS0_5tupleIJPjSE_EEENSF_IJSE_SE_EEES9_SG_JZNS1_25segmented_radix_sort_implINS0_14default_configELb1EPKbPbPKlPlN2at6native12_GLOBAL__N_18offset_tEEE10hipError_tPvRmT1_PNSt15iterator_traitsISY_E10value_typeET2_T3_PNSZ_IS14_E10value_typeET4_jRbjT5_S1A_jjP12ihipStream_tbEUljE_EEESV_SW_SX_S14_S18_S1A_T6_T7_T9_mT8_S1C_bDpT10_ENKUlT_T0_E_clISt17integral_constantIbLb1EES1P_EEDaS1K_S1L_EUlS1K_E_NS1_11comp_targetILNS1_3genE10ELNS1_11target_archE1200ELNS1_3gpuE4ELNS1_3repE0EEENS1_30default_config_static_selectorELNS0_4arch9wavefront6targetE0EEEvSY_.uses_vcc, 0
	.set _ZN7rocprim17ROCPRIM_400000_NS6detail17trampoline_kernelINS0_13select_configILj256ELj13ELNS0_17block_load_methodE3ELS4_3ELS4_3ELNS0_20block_scan_algorithmE0ELj4294967295EEENS1_25partition_config_selectorILNS1_17partition_subalgoE3EjNS0_10empty_typeEbEEZZNS1_14partition_implILS8_3ELb0ES6_jNS0_17counting_iteratorIjlEEPS9_SE_NS0_5tupleIJPjSE_EEENSF_IJSE_SE_EEES9_SG_JZNS1_25segmented_radix_sort_implINS0_14default_configELb1EPKbPbPKlPlN2at6native12_GLOBAL__N_18offset_tEEE10hipError_tPvRmT1_PNSt15iterator_traitsISY_E10value_typeET2_T3_PNSZ_IS14_E10value_typeET4_jRbjT5_S1A_jjP12ihipStream_tbEUljE_EEESV_SW_SX_S14_S18_S1A_T6_T7_T9_mT8_S1C_bDpT10_ENKUlT_T0_E_clISt17integral_constantIbLb1EES1P_EEDaS1K_S1L_EUlS1K_E_NS1_11comp_targetILNS1_3genE10ELNS1_11target_archE1200ELNS1_3gpuE4ELNS1_3repE0EEENS1_30default_config_static_selectorELNS0_4arch9wavefront6targetE0EEEvSY_.uses_flat_scratch, 0
	.set _ZN7rocprim17ROCPRIM_400000_NS6detail17trampoline_kernelINS0_13select_configILj256ELj13ELNS0_17block_load_methodE3ELS4_3ELS4_3ELNS0_20block_scan_algorithmE0ELj4294967295EEENS1_25partition_config_selectorILNS1_17partition_subalgoE3EjNS0_10empty_typeEbEEZZNS1_14partition_implILS8_3ELb0ES6_jNS0_17counting_iteratorIjlEEPS9_SE_NS0_5tupleIJPjSE_EEENSF_IJSE_SE_EEES9_SG_JZNS1_25segmented_radix_sort_implINS0_14default_configELb1EPKbPbPKlPlN2at6native12_GLOBAL__N_18offset_tEEE10hipError_tPvRmT1_PNSt15iterator_traitsISY_E10value_typeET2_T3_PNSZ_IS14_E10value_typeET4_jRbjT5_S1A_jjP12ihipStream_tbEUljE_EEESV_SW_SX_S14_S18_S1A_T6_T7_T9_mT8_S1C_bDpT10_ENKUlT_T0_E_clISt17integral_constantIbLb1EES1P_EEDaS1K_S1L_EUlS1K_E_NS1_11comp_targetILNS1_3genE10ELNS1_11target_archE1200ELNS1_3gpuE4ELNS1_3repE0EEENS1_30default_config_static_selectorELNS0_4arch9wavefront6targetE0EEEvSY_.has_dyn_sized_stack, 0
	.set _ZN7rocprim17ROCPRIM_400000_NS6detail17trampoline_kernelINS0_13select_configILj256ELj13ELNS0_17block_load_methodE3ELS4_3ELS4_3ELNS0_20block_scan_algorithmE0ELj4294967295EEENS1_25partition_config_selectorILNS1_17partition_subalgoE3EjNS0_10empty_typeEbEEZZNS1_14partition_implILS8_3ELb0ES6_jNS0_17counting_iteratorIjlEEPS9_SE_NS0_5tupleIJPjSE_EEENSF_IJSE_SE_EEES9_SG_JZNS1_25segmented_radix_sort_implINS0_14default_configELb1EPKbPbPKlPlN2at6native12_GLOBAL__N_18offset_tEEE10hipError_tPvRmT1_PNSt15iterator_traitsISY_E10value_typeET2_T3_PNSZ_IS14_E10value_typeET4_jRbjT5_S1A_jjP12ihipStream_tbEUljE_EEESV_SW_SX_S14_S18_S1A_T6_T7_T9_mT8_S1C_bDpT10_ENKUlT_T0_E_clISt17integral_constantIbLb1EES1P_EEDaS1K_S1L_EUlS1K_E_NS1_11comp_targetILNS1_3genE10ELNS1_11target_archE1200ELNS1_3gpuE4ELNS1_3repE0EEENS1_30default_config_static_selectorELNS0_4arch9wavefront6targetE0EEEvSY_.has_recursion, 0
	.set _ZN7rocprim17ROCPRIM_400000_NS6detail17trampoline_kernelINS0_13select_configILj256ELj13ELNS0_17block_load_methodE3ELS4_3ELS4_3ELNS0_20block_scan_algorithmE0ELj4294967295EEENS1_25partition_config_selectorILNS1_17partition_subalgoE3EjNS0_10empty_typeEbEEZZNS1_14partition_implILS8_3ELb0ES6_jNS0_17counting_iteratorIjlEEPS9_SE_NS0_5tupleIJPjSE_EEENSF_IJSE_SE_EEES9_SG_JZNS1_25segmented_radix_sort_implINS0_14default_configELb1EPKbPbPKlPlN2at6native12_GLOBAL__N_18offset_tEEE10hipError_tPvRmT1_PNSt15iterator_traitsISY_E10value_typeET2_T3_PNSZ_IS14_E10value_typeET4_jRbjT5_S1A_jjP12ihipStream_tbEUljE_EEESV_SW_SX_S14_S18_S1A_T6_T7_T9_mT8_S1C_bDpT10_ENKUlT_T0_E_clISt17integral_constantIbLb1EES1P_EEDaS1K_S1L_EUlS1K_E_NS1_11comp_targetILNS1_3genE10ELNS1_11target_archE1200ELNS1_3gpuE4ELNS1_3repE0EEENS1_30default_config_static_selectorELNS0_4arch9wavefront6targetE0EEEvSY_.has_indirect_call, 0
	.section	.AMDGPU.csdata,"",@progbits
; Kernel info:
; codeLenInByte = 4
; TotalNumSgprs: 0
; NumVgprs: 0
; ScratchSize: 0
; MemoryBound: 0
; FloatMode: 240
; IeeeMode: 1
; LDSByteSize: 0 bytes/workgroup (compile time only)
; SGPRBlocks: 0
; VGPRBlocks: 0
; NumSGPRsForWavesPerEU: 1
; NumVGPRsForWavesPerEU: 1
; Occupancy: 16
; WaveLimiterHint : 0
; COMPUTE_PGM_RSRC2:SCRATCH_EN: 0
; COMPUTE_PGM_RSRC2:USER_SGPR: 2
; COMPUTE_PGM_RSRC2:TRAP_HANDLER: 0
; COMPUTE_PGM_RSRC2:TGID_X_EN: 1
; COMPUTE_PGM_RSRC2:TGID_Y_EN: 0
; COMPUTE_PGM_RSRC2:TGID_Z_EN: 0
; COMPUTE_PGM_RSRC2:TIDIG_COMP_CNT: 0
	.section	.text._ZN7rocprim17ROCPRIM_400000_NS6detail17trampoline_kernelINS0_13select_configILj256ELj13ELNS0_17block_load_methodE3ELS4_3ELS4_3ELNS0_20block_scan_algorithmE0ELj4294967295EEENS1_25partition_config_selectorILNS1_17partition_subalgoE3EjNS0_10empty_typeEbEEZZNS1_14partition_implILS8_3ELb0ES6_jNS0_17counting_iteratorIjlEEPS9_SE_NS0_5tupleIJPjSE_EEENSF_IJSE_SE_EEES9_SG_JZNS1_25segmented_radix_sort_implINS0_14default_configELb1EPKbPbPKlPlN2at6native12_GLOBAL__N_18offset_tEEE10hipError_tPvRmT1_PNSt15iterator_traitsISY_E10value_typeET2_T3_PNSZ_IS14_E10value_typeET4_jRbjT5_S1A_jjP12ihipStream_tbEUljE_EEESV_SW_SX_S14_S18_S1A_T6_T7_T9_mT8_S1C_bDpT10_ENKUlT_T0_E_clISt17integral_constantIbLb1EES1P_EEDaS1K_S1L_EUlS1K_E_NS1_11comp_targetILNS1_3genE9ELNS1_11target_archE1100ELNS1_3gpuE3ELNS1_3repE0EEENS1_30default_config_static_selectorELNS0_4arch9wavefront6targetE0EEEvSY_,"axG",@progbits,_ZN7rocprim17ROCPRIM_400000_NS6detail17trampoline_kernelINS0_13select_configILj256ELj13ELNS0_17block_load_methodE3ELS4_3ELS4_3ELNS0_20block_scan_algorithmE0ELj4294967295EEENS1_25partition_config_selectorILNS1_17partition_subalgoE3EjNS0_10empty_typeEbEEZZNS1_14partition_implILS8_3ELb0ES6_jNS0_17counting_iteratorIjlEEPS9_SE_NS0_5tupleIJPjSE_EEENSF_IJSE_SE_EEES9_SG_JZNS1_25segmented_radix_sort_implINS0_14default_configELb1EPKbPbPKlPlN2at6native12_GLOBAL__N_18offset_tEEE10hipError_tPvRmT1_PNSt15iterator_traitsISY_E10value_typeET2_T3_PNSZ_IS14_E10value_typeET4_jRbjT5_S1A_jjP12ihipStream_tbEUljE_EEESV_SW_SX_S14_S18_S1A_T6_T7_T9_mT8_S1C_bDpT10_ENKUlT_T0_E_clISt17integral_constantIbLb1EES1P_EEDaS1K_S1L_EUlS1K_E_NS1_11comp_targetILNS1_3genE9ELNS1_11target_archE1100ELNS1_3gpuE3ELNS1_3repE0EEENS1_30default_config_static_selectorELNS0_4arch9wavefront6targetE0EEEvSY_,comdat
	.globl	_ZN7rocprim17ROCPRIM_400000_NS6detail17trampoline_kernelINS0_13select_configILj256ELj13ELNS0_17block_load_methodE3ELS4_3ELS4_3ELNS0_20block_scan_algorithmE0ELj4294967295EEENS1_25partition_config_selectorILNS1_17partition_subalgoE3EjNS0_10empty_typeEbEEZZNS1_14partition_implILS8_3ELb0ES6_jNS0_17counting_iteratorIjlEEPS9_SE_NS0_5tupleIJPjSE_EEENSF_IJSE_SE_EEES9_SG_JZNS1_25segmented_radix_sort_implINS0_14default_configELb1EPKbPbPKlPlN2at6native12_GLOBAL__N_18offset_tEEE10hipError_tPvRmT1_PNSt15iterator_traitsISY_E10value_typeET2_T3_PNSZ_IS14_E10value_typeET4_jRbjT5_S1A_jjP12ihipStream_tbEUljE_EEESV_SW_SX_S14_S18_S1A_T6_T7_T9_mT8_S1C_bDpT10_ENKUlT_T0_E_clISt17integral_constantIbLb1EES1P_EEDaS1K_S1L_EUlS1K_E_NS1_11comp_targetILNS1_3genE9ELNS1_11target_archE1100ELNS1_3gpuE3ELNS1_3repE0EEENS1_30default_config_static_selectorELNS0_4arch9wavefront6targetE0EEEvSY_ ; -- Begin function _ZN7rocprim17ROCPRIM_400000_NS6detail17trampoline_kernelINS0_13select_configILj256ELj13ELNS0_17block_load_methodE3ELS4_3ELS4_3ELNS0_20block_scan_algorithmE0ELj4294967295EEENS1_25partition_config_selectorILNS1_17partition_subalgoE3EjNS0_10empty_typeEbEEZZNS1_14partition_implILS8_3ELb0ES6_jNS0_17counting_iteratorIjlEEPS9_SE_NS0_5tupleIJPjSE_EEENSF_IJSE_SE_EEES9_SG_JZNS1_25segmented_radix_sort_implINS0_14default_configELb1EPKbPbPKlPlN2at6native12_GLOBAL__N_18offset_tEEE10hipError_tPvRmT1_PNSt15iterator_traitsISY_E10value_typeET2_T3_PNSZ_IS14_E10value_typeET4_jRbjT5_S1A_jjP12ihipStream_tbEUljE_EEESV_SW_SX_S14_S18_S1A_T6_T7_T9_mT8_S1C_bDpT10_ENKUlT_T0_E_clISt17integral_constantIbLb1EES1P_EEDaS1K_S1L_EUlS1K_E_NS1_11comp_targetILNS1_3genE9ELNS1_11target_archE1100ELNS1_3gpuE3ELNS1_3repE0EEENS1_30default_config_static_selectorELNS0_4arch9wavefront6targetE0EEEvSY_
	.p2align	8
	.type	_ZN7rocprim17ROCPRIM_400000_NS6detail17trampoline_kernelINS0_13select_configILj256ELj13ELNS0_17block_load_methodE3ELS4_3ELS4_3ELNS0_20block_scan_algorithmE0ELj4294967295EEENS1_25partition_config_selectorILNS1_17partition_subalgoE3EjNS0_10empty_typeEbEEZZNS1_14partition_implILS8_3ELb0ES6_jNS0_17counting_iteratorIjlEEPS9_SE_NS0_5tupleIJPjSE_EEENSF_IJSE_SE_EEES9_SG_JZNS1_25segmented_radix_sort_implINS0_14default_configELb1EPKbPbPKlPlN2at6native12_GLOBAL__N_18offset_tEEE10hipError_tPvRmT1_PNSt15iterator_traitsISY_E10value_typeET2_T3_PNSZ_IS14_E10value_typeET4_jRbjT5_S1A_jjP12ihipStream_tbEUljE_EEESV_SW_SX_S14_S18_S1A_T6_T7_T9_mT8_S1C_bDpT10_ENKUlT_T0_E_clISt17integral_constantIbLb1EES1P_EEDaS1K_S1L_EUlS1K_E_NS1_11comp_targetILNS1_3genE9ELNS1_11target_archE1100ELNS1_3gpuE3ELNS1_3repE0EEENS1_30default_config_static_selectorELNS0_4arch9wavefront6targetE0EEEvSY_,@function
_ZN7rocprim17ROCPRIM_400000_NS6detail17trampoline_kernelINS0_13select_configILj256ELj13ELNS0_17block_load_methodE3ELS4_3ELS4_3ELNS0_20block_scan_algorithmE0ELj4294967295EEENS1_25partition_config_selectorILNS1_17partition_subalgoE3EjNS0_10empty_typeEbEEZZNS1_14partition_implILS8_3ELb0ES6_jNS0_17counting_iteratorIjlEEPS9_SE_NS0_5tupleIJPjSE_EEENSF_IJSE_SE_EEES9_SG_JZNS1_25segmented_radix_sort_implINS0_14default_configELb1EPKbPbPKlPlN2at6native12_GLOBAL__N_18offset_tEEE10hipError_tPvRmT1_PNSt15iterator_traitsISY_E10value_typeET2_T3_PNSZ_IS14_E10value_typeET4_jRbjT5_S1A_jjP12ihipStream_tbEUljE_EEESV_SW_SX_S14_S18_S1A_T6_T7_T9_mT8_S1C_bDpT10_ENKUlT_T0_E_clISt17integral_constantIbLb1EES1P_EEDaS1K_S1L_EUlS1K_E_NS1_11comp_targetILNS1_3genE9ELNS1_11target_archE1100ELNS1_3gpuE3ELNS1_3repE0EEENS1_30default_config_static_selectorELNS0_4arch9wavefront6targetE0EEEvSY_: ; @_ZN7rocprim17ROCPRIM_400000_NS6detail17trampoline_kernelINS0_13select_configILj256ELj13ELNS0_17block_load_methodE3ELS4_3ELS4_3ELNS0_20block_scan_algorithmE0ELj4294967295EEENS1_25partition_config_selectorILNS1_17partition_subalgoE3EjNS0_10empty_typeEbEEZZNS1_14partition_implILS8_3ELb0ES6_jNS0_17counting_iteratorIjlEEPS9_SE_NS0_5tupleIJPjSE_EEENSF_IJSE_SE_EEES9_SG_JZNS1_25segmented_radix_sort_implINS0_14default_configELb1EPKbPbPKlPlN2at6native12_GLOBAL__N_18offset_tEEE10hipError_tPvRmT1_PNSt15iterator_traitsISY_E10value_typeET2_T3_PNSZ_IS14_E10value_typeET4_jRbjT5_S1A_jjP12ihipStream_tbEUljE_EEESV_SW_SX_S14_S18_S1A_T6_T7_T9_mT8_S1C_bDpT10_ENKUlT_T0_E_clISt17integral_constantIbLb1EES1P_EEDaS1K_S1L_EUlS1K_E_NS1_11comp_targetILNS1_3genE9ELNS1_11target_archE1100ELNS1_3gpuE3ELNS1_3repE0EEENS1_30default_config_static_selectorELNS0_4arch9wavefront6targetE0EEEvSY_
; %bb.0:
	.section	.rodata,"a",@progbits
	.p2align	6, 0x0
	.amdhsa_kernel _ZN7rocprim17ROCPRIM_400000_NS6detail17trampoline_kernelINS0_13select_configILj256ELj13ELNS0_17block_load_methodE3ELS4_3ELS4_3ELNS0_20block_scan_algorithmE0ELj4294967295EEENS1_25partition_config_selectorILNS1_17partition_subalgoE3EjNS0_10empty_typeEbEEZZNS1_14partition_implILS8_3ELb0ES6_jNS0_17counting_iteratorIjlEEPS9_SE_NS0_5tupleIJPjSE_EEENSF_IJSE_SE_EEES9_SG_JZNS1_25segmented_radix_sort_implINS0_14default_configELb1EPKbPbPKlPlN2at6native12_GLOBAL__N_18offset_tEEE10hipError_tPvRmT1_PNSt15iterator_traitsISY_E10value_typeET2_T3_PNSZ_IS14_E10value_typeET4_jRbjT5_S1A_jjP12ihipStream_tbEUljE_EEESV_SW_SX_S14_S18_S1A_T6_T7_T9_mT8_S1C_bDpT10_ENKUlT_T0_E_clISt17integral_constantIbLb1EES1P_EEDaS1K_S1L_EUlS1K_E_NS1_11comp_targetILNS1_3genE9ELNS1_11target_archE1100ELNS1_3gpuE3ELNS1_3repE0EEENS1_30default_config_static_selectorELNS0_4arch9wavefront6targetE0EEEvSY_
		.amdhsa_group_segment_fixed_size 0
		.amdhsa_private_segment_fixed_size 0
		.amdhsa_kernarg_size 152
		.amdhsa_user_sgpr_count 2
		.amdhsa_user_sgpr_dispatch_ptr 0
		.amdhsa_user_sgpr_queue_ptr 0
		.amdhsa_user_sgpr_kernarg_segment_ptr 1
		.amdhsa_user_sgpr_dispatch_id 0
		.amdhsa_user_sgpr_private_segment_size 0
		.amdhsa_wavefront_size32 1
		.amdhsa_uses_dynamic_stack 0
		.amdhsa_enable_private_segment 0
		.amdhsa_system_sgpr_workgroup_id_x 1
		.amdhsa_system_sgpr_workgroup_id_y 0
		.amdhsa_system_sgpr_workgroup_id_z 0
		.amdhsa_system_sgpr_workgroup_info 0
		.amdhsa_system_vgpr_workitem_id 0
		.amdhsa_next_free_vgpr 1
		.amdhsa_next_free_sgpr 1
		.amdhsa_reserve_vcc 0
		.amdhsa_float_round_mode_32 0
		.amdhsa_float_round_mode_16_64 0
		.amdhsa_float_denorm_mode_32 3
		.amdhsa_float_denorm_mode_16_64 3
		.amdhsa_fp16_overflow 0
		.amdhsa_workgroup_processor_mode 1
		.amdhsa_memory_ordered 1
		.amdhsa_forward_progress 1
		.amdhsa_inst_pref_size 0
		.amdhsa_round_robin_scheduling 0
		.amdhsa_exception_fp_ieee_invalid_op 0
		.amdhsa_exception_fp_denorm_src 0
		.amdhsa_exception_fp_ieee_div_zero 0
		.amdhsa_exception_fp_ieee_overflow 0
		.amdhsa_exception_fp_ieee_underflow 0
		.amdhsa_exception_fp_ieee_inexact 0
		.amdhsa_exception_int_div_zero 0
	.end_amdhsa_kernel
	.section	.text._ZN7rocprim17ROCPRIM_400000_NS6detail17trampoline_kernelINS0_13select_configILj256ELj13ELNS0_17block_load_methodE3ELS4_3ELS4_3ELNS0_20block_scan_algorithmE0ELj4294967295EEENS1_25partition_config_selectorILNS1_17partition_subalgoE3EjNS0_10empty_typeEbEEZZNS1_14partition_implILS8_3ELb0ES6_jNS0_17counting_iteratorIjlEEPS9_SE_NS0_5tupleIJPjSE_EEENSF_IJSE_SE_EEES9_SG_JZNS1_25segmented_radix_sort_implINS0_14default_configELb1EPKbPbPKlPlN2at6native12_GLOBAL__N_18offset_tEEE10hipError_tPvRmT1_PNSt15iterator_traitsISY_E10value_typeET2_T3_PNSZ_IS14_E10value_typeET4_jRbjT5_S1A_jjP12ihipStream_tbEUljE_EEESV_SW_SX_S14_S18_S1A_T6_T7_T9_mT8_S1C_bDpT10_ENKUlT_T0_E_clISt17integral_constantIbLb1EES1P_EEDaS1K_S1L_EUlS1K_E_NS1_11comp_targetILNS1_3genE9ELNS1_11target_archE1100ELNS1_3gpuE3ELNS1_3repE0EEENS1_30default_config_static_selectorELNS0_4arch9wavefront6targetE0EEEvSY_,"axG",@progbits,_ZN7rocprim17ROCPRIM_400000_NS6detail17trampoline_kernelINS0_13select_configILj256ELj13ELNS0_17block_load_methodE3ELS4_3ELS4_3ELNS0_20block_scan_algorithmE0ELj4294967295EEENS1_25partition_config_selectorILNS1_17partition_subalgoE3EjNS0_10empty_typeEbEEZZNS1_14partition_implILS8_3ELb0ES6_jNS0_17counting_iteratorIjlEEPS9_SE_NS0_5tupleIJPjSE_EEENSF_IJSE_SE_EEES9_SG_JZNS1_25segmented_radix_sort_implINS0_14default_configELb1EPKbPbPKlPlN2at6native12_GLOBAL__N_18offset_tEEE10hipError_tPvRmT1_PNSt15iterator_traitsISY_E10value_typeET2_T3_PNSZ_IS14_E10value_typeET4_jRbjT5_S1A_jjP12ihipStream_tbEUljE_EEESV_SW_SX_S14_S18_S1A_T6_T7_T9_mT8_S1C_bDpT10_ENKUlT_T0_E_clISt17integral_constantIbLb1EES1P_EEDaS1K_S1L_EUlS1K_E_NS1_11comp_targetILNS1_3genE9ELNS1_11target_archE1100ELNS1_3gpuE3ELNS1_3repE0EEENS1_30default_config_static_selectorELNS0_4arch9wavefront6targetE0EEEvSY_,comdat
.Lfunc_end1514:
	.size	_ZN7rocprim17ROCPRIM_400000_NS6detail17trampoline_kernelINS0_13select_configILj256ELj13ELNS0_17block_load_methodE3ELS4_3ELS4_3ELNS0_20block_scan_algorithmE0ELj4294967295EEENS1_25partition_config_selectorILNS1_17partition_subalgoE3EjNS0_10empty_typeEbEEZZNS1_14partition_implILS8_3ELb0ES6_jNS0_17counting_iteratorIjlEEPS9_SE_NS0_5tupleIJPjSE_EEENSF_IJSE_SE_EEES9_SG_JZNS1_25segmented_radix_sort_implINS0_14default_configELb1EPKbPbPKlPlN2at6native12_GLOBAL__N_18offset_tEEE10hipError_tPvRmT1_PNSt15iterator_traitsISY_E10value_typeET2_T3_PNSZ_IS14_E10value_typeET4_jRbjT5_S1A_jjP12ihipStream_tbEUljE_EEESV_SW_SX_S14_S18_S1A_T6_T7_T9_mT8_S1C_bDpT10_ENKUlT_T0_E_clISt17integral_constantIbLb1EES1P_EEDaS1K_S1L_EUlS1K_E_NS1_11comp_targetILNS1_3genE9ELNS1_11target_archE1100ELNS1_3gpuE3ELNS1_3repE0EEENS1_30default_config_static_selectorELNS0_4arch9wavefront6targetE0EEEvSY_, .Lfunc_end1514-_ZN7rocprim17ROCPRIM_400000_NS6detail17trampoline_kernelINS0_13select_configILj256ELj13ELNS0_17block_load_methodE3ELS4_3ELS4_3ELNS0_20block_scan_algorithmE0ELj4294967295EEENS1_25partition_config_selectorILNS1_17partition_subalgoE3EjNS0_10empty_typeEbEEZZNS1_14partition_implILS8_3ELb0ES6_jNS0_17counting_iteratorIjlEEPS9_SE_NS0_5tupleIJPjSE_EEENSF_IJSE_SE_EEES9_SG_JZNS1_25segmented_radix_sort_implINS0_14default_configELb1EPKbPbPKlPlN2at6native12_GLOBAL__N_18offset_tEEE10hipError_tPvRmT1_PNSt15iterator_traitsISY_E10value_typeET2_T3_PNSZ_IS14_E10value_typeET4_jRbjT5_S1A_jjP12ihipStream_tbEUljE_EEESV_SW_SX_S14_S18_S1A_T6_T7_T9_mT8_S1C_bDpT10_ENKUlT_T0_E_clISt17integral_constantIbLb1EES1P_EEDaS1K_S1L_EUlS1K_E_NS1_11comp_targetILNS1_3genE9ELNS1_11target_archE1100ELNS1_3gpuE3ELNS1_3repE0EEENS1_30default_config_static_selectorELNS0_4arch9wavefront6targetE0EEEvSY_
                                        ; -- End function
	.set _ZN7rocprim17ROCPRIM_400000_NS6detail17trampoline_kernelINS0_13select_configILj256ELj13ELNS0_17block_load_methodE3ELS4_3ELS4_3ELNS0_20block_scan_algorithmE0ELj4294967295EEENS1_25partition_config_selectorILNS1_17partition_subalgoE3EjNS0_10empty_typeEbEEZZNS1_14partition_implILS8_3ELb0ES6_jNS0_17counting_iteratorIjlEEPS9_SE_NS0_5tupleIJPjSE_EEENSF_IJSE_SE_EEES9_SG_JZNS1_25segmented_radix_sort_implINS0_14default_configELb1EPKbPbPKlPlN2at6native12_GLOBAL__N_18offset_tEEE10hipError_tPvRmT1_PNSt15iterator_traitsISY_E10value_typeET2_T3_PNSZ_IS14_E10value_typeET4_jRbjT5_S1A_jjP12ihipStream_tbEUljE_EEESV_SW_SX_S14_S18_S1A_T6_T7_T9_mT8_S1C_bDpT10_ENKUlT_T0_E_clISt17integral_constantIbLb1EES1P_EEDaS1K_S1L_EUlS1K_E_NS1_11comp_targetILNS1_3genE9ELNS1_11target_archE1100ELNS1_3gpuE3ELNS1_3repE0EEENS1_30default_config_static_selectorELNS0_4arch9wavefront6targetE0EEEvSY_.num_vgpr, 0
	.set _ZN7rocprim17ROCPRIM_400000_NS6detail17trampoline_kernelINS0_13select_configILj256ELj13ELNS0_17block_load_methodE3ELS4_3ELS4_3ELNS0_20block_scan_algorithmE0ELj4294967295EEENS1_25partition_config_selectorILNS1_17partition_subalgoE3EjNS0_10empty_typeEbEEZZNS1_14partition_implILS8_3ELb0ES6_jNS0_17counting_iteratorIjlEEPS9_SE_NS0_5tupleIJPjSE_EEENSF_IJSE_SE_EEES9_SG_JZNS1_25segmented_radix_sort_implINS0_14default_configELb1EPKbPbPKlPlN2at6native12_GLOBAL__N_18offset_tEEE10hipError_tPvRmT1_PNSt15iterator_traitsISY_E10value_typeET2_T3_PNSZ_IS14_E10value_typeET4_jRbjT5_S1A_jjP12ihipStream_tbEUljE_EEESV_SW_SX_S14_S18_S1A_T6_T7_T9_mT8_S1C_bDpT10_ENKUlT_T0_E_clISt17integral_constantIbLb1EES1P_EEDaS1K_S1L_EUlS1K_E_NS1_11comp_targetILNS1_3genE9ELNS1_11target_archE1100ELNS1_3gpuE3ELNS1_3repE0EEENS1_30default_config_static_selectorELNS0_4arch9wavefront6targetE0EEEvSY_.num_agpr, 0
	.set _ZN7rocprim17ROCPRIM_400000_NS6detail17trampoline_kernelINS0_13select_configILj256ELj13ELNS0_17block_load_methodE3ELS4_3ELS4_3ELNS0_20block_scan_algorithmE0ELj4294967295EEENS1_25partition_config_selectorILNS1_17partition_subalgoE3EjNS0_10empty_typeEbEEZZNS1_14partition_implILS8_3ELb0ES6_jNS0_17counting_iteratorIjlEEPS9_SE_NS0_5tupleIJPjSE_EEENSF_IJSE_SE_EEES9_SG_JZNS1_25segmented_radix_sort_implINS0_14default_configELb1EPKbPbPKlPlN2at6native12_GLOBAL__N_18offset_tEEE10hipError_tPvRmT1_PNSt15iterator_traitsISY_E10value_typeET2_T3_PNSZ_IS14_E10value_typeET4_jRbjT5_S1A_jjP12ihipStream_tbEUljE_EEESV_SW_SX_S14_S18_S1A_T6_T7_T9_mT8_S1C_bDpT10_ENKUlT_T0_E_clISt17integral_constantIbLb1EES1P_EEDaS1K_S1L_EUlS1K_E_NS1_11comp_targetILNS1_3genE9ELNS1_11target_archE1100ELNS1_3gpuE3ELNS1_3repE0EEENS1_30default_config_static_selectorELNS0_4arch9wavefront6targetE0EEEvSY_.numbered_sgpr, 0
	.set _ZN7rocprim17ROCPRIM_400000_NS6detail17trampoline_kernelINS0_13select_configILj256ELj13ELNS0_17block_load_methodE3ELS4_3ELS4_3ELNS0_20block_scan_algorithmE0ELj4294967295EEENS1_25partition_config_selectorILNS1_17partition_subalgoE3EjNS0_10empty_typeEbEEZZNS1_14partition_implILS8_3ELb0ES6_jNS0_17counting_iteratorIjlEEPS9_SE_NS0_5tupleIJPjSE_EEENSF_IJSE_SE_EEES9_SG_JZNS1_25segmented_radix_sort_implINS0_14default_configELb1EPKbPbPKlPlN2at6native12_GLOBAL__N_18offset_tEEE10hipError_tPvRmT1_PNSt15iterator_traitsISY_E10value_typeET2_T3_PNSZ_IS14_E10value_typeET4_jRbjT5_S1A_jjP12ihipStream_tbEUljE_EEESV_SW_SX_S14_S18_S1A_T6_T7_T9_mT8_S1C_bDpT10_ENKUlT_T0_E_clISt17integral_constantIbLb1EES1P_EEDaS1K_S1L_EUlS1K_E_NS1_11comp_targetILNS1_3genE9ELNS1_11target_archE1100ELNS1_3gpuE3ELNS1_3repE0EEENS1_30default_config_static_selectorELNS0_4arch9wavefront6targetE0EEEvSY_.num_named_barrier, 0
	.set _ZN7rocprim17ROCPRIM_400000_NS6detail17trampoline_kernelINS0_13select_configILj256ELj13ELNS0_17block_load_methodE3ELS4_3ELS4_3ELNS0_20block_scan_algorithmE0ELj4294967295EEENS1_25partition_config_selectorILNS1_17partition_subalgoE3EjNS0_10empty_typeEbEEZZNS1_14partition_implILS8_3ELb0ES6_jNS0_17counting_iteratorIjlEEPS9_SE_NS0_5tupleIJPjSE_EEENSF_IJSE_SE_EEES9_SG_JZNS1_25segmented_radix_sort_implINS0_14default_configELb1EPKbPbPKlPlN2at6native12_GLOBAL__N_18offset_tEEE10hipError_tPvRmT1_PNSt15iterator_traitsISY_E10value_typeET2_T3_PNSZ_IS14_E10value_typeET4_jRbjT5_S1A_jjP12ihipStream_tbEUljE_EEESV_SW_SX_S14_S18_S1A_T6_T7_T9_mT8_S1C_bDpT10_ENKUlT_T0_E_clISt17integral_constantIbLb1EES1P_EEDaS1K_S1L_EUlS1K_E_NS1_11comp_targetILNS1_3genE9ELNS1_11target_archE1100ELNS1_3gpuE3ELNS1_3repE0EEENS1_30default_config_static_selectorELNS0_4arch9wavefront6targetE0EEEvSY_.private_seg_size, 0
	.set _ZN7rocprim17ROCPRIM_400000_NS6detail17trampoline_kernelINS0_13select_configILj256ELj13ELNS0_17block_load_methodE3ELS4_3ELS4_3ELNS0_20block_scan_algorithmE0ELj4294967295EEENS1_25partition_config_selectorILNS1_17partition_subalgoE3EjNS0_10empty_typeEbEEZZNS1_14partition_implILS8_3ELb0ES6_jNS0_17counting_iteratorIjlEEPS9_SE_NS0_5tupleIJPjSE_EEENSF_IJSE_SE_EEES9_SG_JZNS1_25segmented_radix_sort_implINS0_14default_configELb1EPKbPbPKlPlN2at6native12_GLOBAL__N_18offset_tEEE10hipError_tPvRmT1_PNSt15iterator_traitsISY_E10value_typeET2_T3_PNSZ_IS14_E10value_typeET4_jRbjT5_S1A_jjP12ihipStream_tbEUljE_EEESV_SW_SX_S14_S18_S1A_T6_T7_T9_mT8_S1C_bDpT10_ENKUlT_T0_E_clISt17integral_constantIbLb1EES1P_EEDaS1K_S1L_EUlS1K_E_NS1_11comp_targetILNS1_3genE9ELNS1_11target_archE1100ELNS1_3gpuE3ELNS1_3repE0EEENS1_30default_config_static_selectorELNS0_4arch9wavefront6targetE0EEEvSY_.uses_vcc, 0
	.set _ZN7rocprim17ROCPRIM_400000_NS6detail17trampoline_kernelINS0_13select_configILj256ELj13ELNS0_17block_load_methodE3ELS4_3ELS4_3ELNS0_20block_scan_algorithmE0ELj4294967295EEENS1_25partition_config_selectorILNS1_17partition_subalgoE3EjNS0_10empty_typeEbEEZZNS1_14partition_implILS8_3ELb0ES6_jNS0_17counting_iteratorIjlEEPS9_SE_NS0_5tupleIJPjSE_EEENSF_IJSE_SE_EEES9_SG_JZNS1_25segmented_radix_sort_implINS0_14default_configELb1EPKbPbPKlPlN2at6native12_GLOBAL__N_18offset_tEEE10hipError_tPvRmT1_PNSt15iterator_traitsISY_E10value_typeET2_T3_PNSZ_IS14_E10value_typeET4_jRbjT5_S1A_jjP12ihipStream_tbEUljE_EEESV_SW_SX_S14_S18_S1A_T6_T7_T9_mT8_S1C_bDpT10_ENKUlT_T0_E_clISt17integral_constantIbLb1EES1P_EEDaS1K_S1L_EUlS1K_E_NS1_11comp_targetILNS1_3genE9ELNS1_11target_archE1100ELNS1_3gpuE3ELNS1_3repE0EEENS1_30default_config_static_selectorELNS0_4arch9wavefront6targetE0EEEvSY_.uses_flat_scratch, 0
	.set _ZN7rocprim17ROCPRIM_400000_NS6detail17trampoline_kernelINS0_13select_configILj256ELj13ELNS0_17block_load_methodE3ELS4_3ELS4_3ELNS0_20block_scan_algorithmE0ELj4294967295EEENS1_25partition_config_selectorILNS1_17partition_subalgoE3EjNS0_10empty_typeEbEEZZNS1_14partition_implILS8_3ELb0ES6_jNS0_17counting_iteratorIjlEEPS9_SE_NS0_5tupleIJPjSE_EEENSF_IJSE_SE_EEES9_SG_JZNS1_25segmented_radix_sort_implINS0_14default_configELb1EPKbPbPKlPlN2at6native12_GLOBAL__N_18offset_tEEE10hipError_tPvRmT1_PNSt15iterator_traitsISY_E10value_typeET2_T3_PNSZ_IS14_E10value_typeET4_jRbjT5_S1A_jjP12ihipStream_tbEUljE_EEESV_SW_SX_S14_S18_S1A_T6_T7_T9_mT8_S1C_bDpT10_ENKUlT_T0_E_clISt17integral_constantIbLb1EES1P_EEDaS1K_S1L_EUlS1K_E_NS1_11comp_targetILNS1_3genE9ELNS1_11target_archE1100ELNS1_3gpuE3ELNS1_3repE0EEENS1_30default_config_static_selectorELNS0_4arch9wavefront6targetE0EEEvSY_.has_dyn_sized_stack, 0
	.set _ZN7rocprim17ROCPRIM_400000_NS6detail17trampoline_kernelINS0_13select_configILj256ELj13ELNS0_17block_load_methodE3ELS4_3ELS4_3ELNS0_20block_scan_algorithmE0ELj4294967295EEENS1_25partition_config_selectorILNS1_17partition_subalgoE3EjNS0_10empty_typeEbEEZZNS1_14partition_implILS8_3ELb0ES6_jNS0_17counting_iteratorIjlEEPS9_SE_NS0_5tupleIJPjSE_EEENSF_IJSE_SE_EEES9_SG_JZNS1_25segmented_radix_sort_implINS0_14default_configELb1EPKbPbPKlPlN2at6native12_GLOBAL__N_18offset_tEEE10hipError_tPvRmT1_PNSt15iterator_traitsISY_E10value_typeET2_T3_PNSZ_IS14_E10value_typeET4_jRbjT5_S1A_jjP12ihipStream_tbEUljE_EEESV_SW_SX_S14_S18_S1A_T6_T7_T9_mT8_S1C_bDpT10_ENKUlT_T0_E_clISt17integral_constantIbLb1EES1P_EEDaS1K_S1L_EUlS1K_E_NS1_11comp_targetILNS1_3genE9ELNS1_11target_archE1100ELNS1_3gpuE3ELNS1_3repE0EEENS1_30default_config_static_selectorELNS0_4arch9wavefront6targetE0EEEvSY_.has_recursion, 0
	.set _ZN7rocprim17ROCPRIM_400000_NS6detail17trampoline_kernelINS0_13select_configILj256ELj13ELNS0_17block_load_methodE3ELS4_3ELS4_3ELNS0_20block_scan_algorithmE0ELj4294967295EEENS1_25partition_config_selectorILNS1_17partition_subalgoE3EjNS0_10empty_typeEbEEZZNS1_14partition_implILS8_3ELb0ES6_jNS0_17counting_iteratorIjlEEPS9_SE_NS0_5tupleIJPjSE_EEENSF_IJSE_SE_EEES9_SG_JZNS1_25segmented_radix_sort_implINS0_14default_configELb1EPKbPbPKlPlN2at6native12_GLOBAL__N_18offset_tEEE10hipError_tPvRmT1_PNSt15iterator_traitsISY_E10value_typeET2_T3_PNSZ_IS14_E10value_typeET4_jRbjT5_S1A_jjP12ihipStream_tbEUljE_EEESV_SW_SX_S14_S18_S1A_T6_T7_T9_mT8_S1C_bDpT10_ENKUlT_T0_E_clISt17integral_constantIbLb1EES1P_EEDaS1K_S1L_EUlS1K_E_NS1_11comp_targetILNS1_3genE9ELNS1_11target_archE1100ELNS1_3gpuE3ELNS1_3repE0EEENS1_30default_config_static_selectorELNS0_4arch9wavefront6targetE0EEEvSY_.has_indirect_call, 0
	.section	.AMDGPU.csdata,"",@progbits
; Kernel info:
; codeLenInByte = 0
; TotalNumSgprs: 0
; NumVgprs: 0
; ScratchSize: 0
; MemoryBound: 0
; FloatMode: 240
; IeeeMode: 1
; LDSByteSize: 0 bytes/workgroup (compile time only)
; SGPRBlocks: 0
; VGPRBlocks: 0
; NumSGPRsForWavesPerEU: 1
; NumVGPRsForWavesPerEU: 1
; Occupancy: 16
; WaveLimiterHint : 0
; COMPUTE_PGM_RSRC2:SCRATCH_EN: 0
; COMPUTE_PGM_RSRC2:USER_SGPR: 2
; COMPUTE_PGM_RSRC2:TRAP_HANDLER: 0
; COMPUTE_PGM_RSRC2:TGID_X_EN: 1
; COMPUTE_PGM_RSRC2:TGID_Y_EN: 0
; COMPUTE_PGM_RSRC2:TGID_Z_EN: 0
; COMPUTE_PGM_RSRC2:TIDIG_COMP_CNT: 0
	.section	.text._ZN7rocprim17ROCPRIM_400000_NS6detail17trampoline_kernelINS0_13select_configILj256ELj13ELNS0_17block_load_methodE3ELS4_3ELS4_3ELNS0_20block_scan_algorithmE0ELj4294967295EEENS1_25partition_config_selectorILNS1_17partition_subalgoE3EjNS0_10empty_typeEbEEZZNS1_14partition_implILS8_3ELb0ES6_jNS0_17counting_iteratorIjlEEPS9_SE_NS0_5tupleIJPjSE_EEENSF_IJSE_SE_EEES9_SG_JZNS1_25segmented_radix_sort_implINS0_14default_configELb1EPKbPbPKlPlN2at6native12_GLOBAL__N_18offset_tEEE10hipError_tPvRmT1_PNSt15iterator_traitsISY_E10value_typeET2_T3_PNSZ_IS14_E10value_typeET4_jRbjT5_S1A_jjP12ihipStream_tbEUljE_EEESV_SW_SX_S14_S18_S1A_T6_T7_T9_mT8_S1C_bDpT10_ENKUlT_T0_E_clISt17integral_constantIbLb1EES1P_EEDaS1K_S1L_EUlS1K_E_NS1_11comp_targetILNS1_3genE8ELNS1_11target_archE1030ELNS1_3gpuE2ELNS1_3repE0EEENS1_30default_config_static_selectorELNS0_4arch9wavefront6targetE0EEEvSY_,"axG",@progbits,_ZN7rocprim17ROCPRIM_400000_NS6detail17trampoline_kernelINS0_13select_configILj256ELj13ELNS0_17block_load_methodE3ELS4_3ELS4_3ELNS0_20block_scan_algorithmE0ELj4294967295EEENS1_25partition_config_selectorILNS1_17partition_subalgoE3EjNS0_10empty_typeEbEEZZNS1_14partition_implILS8_3ELb0ES6_jNS0_17counting_iteratorIjlEEPS9_SE_NS0_5tupleIJPjSE_EEENSF_IJSE_SE_EEES9_SG_JZNS1_25segmented_radix_sort_implINS0_14default_configELb1EPKbPbPKlPlN2at6native12_GLOBAL__N_18offset_tEEE10hipError_tPvRmT1_PNSt15iterator_traitsISY_E10value_typeET2_T3_PNSZ_IS14_E10value_typeET4_jRbjT5_S1A_jjP12ihipStream_tbEUljE_EEESV_SW_SX_S14_S18_S1A_T6_T7_T9_mT8_S1C_bDpT10_ENKUlT_T0_E_clISt17integral_constantIbLb1EES1P_EEDaS1K_S1L_EUlS1K_E_NS1_11comp_targetILNS1_3genE8ELNS1_11target_archE1030ELNS1_3gpuE2ELNS1_3repE0EEENS1_30default_config_static_selectorELNS0_4arch9wavefront6targetE0EEEvSY_,comdat
	.globl	_ZN7rocprim17ROCPRIM_400000_NS6detail17trampoline_kernelINS0_13select_configILj256ELj13ELNS0_17block_load_methodE3ELS4_3ELS4_3ELNS0_20block_scan_algorithmE0ELj4294967295EEENS1_25partition_config_selectorILNS1_17partition_subalgoE3EjNS0_10empty_typeEbEEZZNS1_14partition_implILS8_3ELb0ES6_jNS0_17counting_iteratorIjlEEPS9_SE_NS0_5tupleIJPjSE_EEENSF_IJSE_SE_EEES9_SG_JZNS1_25segmented_radix_sort_implINS0_14default_configELb1EPKbPbPKlPlN2at6native12_GLOBAL__N_18offset_tEEE10hipError_tPvRmT1_PNSt15iterator_traitsISY_E10value_typeET2_T3_PNSZ_IS14_E10value_typeET4_jRbjT5_S1A_jjP12ihipStream_tbEUljE_EEESV_SW_SX_S14_S18_S1A_T6_T7_T9_mT8_S1C_bDpT10_ENKUlT_T0_E_clISt17integral_constantIbLb1EES1P_EEDaS1K_S1L_EUlS1K_E_NS1_11comp_targetILNS1_3genE8ELNS1_11target_archE1030ELNS1_3gpuE2ELNS1_3repE0EEENS1_30default_config_static_selectorELNS0_4arch9wavefront6targetE0EEEvSY_ ; -- Begin function _ZN7rocprim17ROCPRIM_400000_NS6detail17trampoline_kernelINS0_13select_configILj256ELj13ELNS0_17block_load_methodE3ELS4_3ELS4_3ELNS0_20block_scan_algorithmE0ELj4294967295EEENS1_25partition_config_selectorILNS1_17partition_subalgoE3EjNS0_10empty_typeEbEEZZNS1_14partition_implILS8_3ELb0ES6_jNS0_17counting_iteratorIjlEEPS9_SE_NS0_5tupleIJPjSE_EEENSF_IJSE_SE_EEES9_SG_JZNS1_25segmented_radix_sort_implINS0_14default_configELb1EPKbPbPKlPlN2at6native12_GLOBAL__N_18offset_tEEE10hipError_tPvRmT1_PNSt15iterator_traitsISY_E10value_typeET2_T3_PNSZ_IS14_E10value_typeET4_jRbjT5_S1A_jjP12ihipStream_tbEUljE_EEESV_SW_SX_S14_S18_S1A_T6_T7_T9_mT8_S1C_bDpT10_ENKUlT_T0_E_clISt17integral_constantIbLb1EES1P_EEDaS1K_S1L_EUlS1K_E_NS1_11comp_targetILNS1_3genE8ELNS1_11target_archE1030ELNS1_3gpuE2ELNS1_3repE0EEENS1_30default_config_static_selectorELNS0_4arch9wavefront6targetE0EEEvSY_
	.p2align	8
	.type	_ZN7rocprim17ROCPRIM_400000_NS6detail17trampoline_kernelINS0_13select_configILj256ELj13ELNS0_17block_load_methodE3ELS4_3ELS4_3ELNS0_20block_scan_algorithmE0ELj4294967295EEENS1_25partition_config_selectorILNS1_17partition_subalgoE3EjNS0_10empty_typeEbEEZZNS1_14partition_implILS8_3ELb0ES6_jNS0_17counting_iteratorIjlEEPS9_SE_NS0_5tupleIJPjSE_EEENSF_IJSE_SE_EEES9_SG_JZNS1_25segmented_radix_sort_implINS0_14default_configELb1EPKbPbPKlPlN2at6native12_GLOBAL__N_18offset_tEEE10hipError_tPvRmT1_PNSt15iterator_traitsISY_E10value_typeET2_T3_PNSZ_IS14_E10value_typeET4_jRbjT5_S1A_jjP12ihipStream_tbEUljE_EEESV_SW_SX_S14_S18_S1A_T6_T7_T9_mT8_S1C_bDpT10_ENKUlT_T0_E_clISt17integral_constantIbLb1EES1P_EEDaS1K_S1L_EUlS1K_E_NS1_11comp_targetILNS1_3genE8ELNS1_11target_archE1030ELNS1_3gpuE2ELNS1_3repE0EEENS1_30default_config_static_selectorELNS0_4arch9wavefront6targetE0EEEvSY_,@function
_ZN7rocprim17ROCPRIM_400000_NS6detail17trampoline_kernelINS0_13select_configILj256ELj13ELNS0_17block_load_methodE3ELS4_3ELS4_3ELNS0_20block_scan_algorithmE0ELj4294967295EEENS1_25partition_config_selectorILNS1_17partition_subalgoE3EjNS0_10empty_typeEbEEZZNS1_14partition_implILS8_3ELb0ES6_jNS0_17counting_iteratorIjlEEPS9_SE_NS0_5tupleIJPjSE_EEENSF_IJSE_SE_EEES9_SG_JZNS1_25segmented_radix_sort_implINS0_14default_configELb1EPKbPbPKlPlN2at6native12_GLOBAL__N_18offset_tEEE10hipError_tPvRmT1_PNSt15iterator_traitsISY_E10value_typeET2_T3_PNSZ_IS14_E10value_typeET4_jRbjT5_S1A_jjP12ihipStream_tbEUljE_EEESV_SW_SX_S14_S18_S1A_T6_T7_T9_mT8_S1C_bDpT10_ENKUlT_T0_E_clISt17integral_constantIbLb1EES1P_EEDaS1K_S1L_EUlS1K_E_NS1_11comp_targetILNS1_3genE8ELNS1_11target_archE1030ELNS1_3gpuE2ELNS1_3repE0EEENS1_30default_config_static_selectorELNS0_4arch9wavefront6targetE0EEEvSY_: ; @_ZN7rocprim17ROCPRIM_400000_NS6detail17trampoline_kernelINS0_13select_configILj256ELj13ELNS0_17block_load_methodE3ELS4_3ELS4_3ELNS0_20block_scan_algorithmE0ELj4294967295EEENS1_25partition_config_selectorILNS1_17partition_subalgoE3EjNS0_10empty_typeEbEEZZNS1_14partition_implILS8_3ELb0ES6_jNS0_17counting_iteratorIjlEEPS9_SE_NS0_5tupleIJPjSE_EEENSF_IJSE_SE_EEES9_SG_JZNS1_25segmented_radix_sort_implINS0_14default_configELb1EPKbPbPKlPlN2at6native12_GLOBAL__N_18offset_tEEE10hipError_tPvRmT1_PNSt15iterator_traitsISY_E10value_typeET2_T3_PNSZ_IS14_E10value_typeET4_jRbjT5_S1A_jjP12ihipStream_tbEUljE_EEESV_SW_SX_S14_S18_S1A_T6_T7_T9_mT8_S1C_bDpT10_ENKUlT_T0_E_clISt17integral_constantIbLb1EES1P_EEDaS1K_S1L_EUlS1K_E_NS1_11comp_targetILNS1_3genE8ELNS1_11target_archE1030ELNS1_3gpuE2ELNS1_3repE0EEENS1_30default_config_static_selectorELNS0_4arch9wavefront6targetE0EEEvSY_
; %bb.0:
	.section	.rodata,"a",@progbits
	.p2align	6, 0x0
	.amdhsa_kernel _ZN7rocprim17ROCPRIM_400000_NS6detail17trampoline_kernelINS0_13select_configILj256ELj13ELNS0_17block_load_methodE3ELS4_3ELS4_3ELNS0_20block_scan_algorithmE0ELj4294967295EEENS1_25partition_config_selectorILNS1_17partition_subalgoE3EjNS0_10empty_typeEbEEZZNS1_14partition_implILS8_3ELb0ES6_jNS0_17counting_iteratorIjlEEPS9_SE_NS0_5tupleIJPjSE_EEENSF_IJSE_SE_EEES9_SG_JZNS1_25segmented_radix_sort_implINS0_14default_configELb1EPKbPbPKlPlN2at6native12_GLOBAL__N_18offset_tEEE10hipError_tPvRmT1_PNSt15iterator_traitsISY_E10value_typeET2_T3_PNSZ_IS14_E10value_typeET4_jRbjT5_S1A_jjP12ihipStream_tbEUljE_EEESV_SW_SX_S14_S18_S1A_T6_T7_T9_mT8_S1C_bDpT10_ENKUlT_T0_E_clISt17integral_constantIbLb1EES1P_EEDaS1K_S1L_EUlS1K_E_NS1_11comp_targetILNS1_3genE8ELNS1_11target_archE1030ELNS1_3gpuE2ELNS1_3repE0EEENS1_30default_config_static_selectorELNS0_4arch9wavefront6targetE0EEEvSY_
		.amdhsa_group_segment_fixed_size 0
		.amdhsa_private_segment_fixed_size 0
		.amdhsa_kernarg_size 152
		.amdhsa_user_sgpr_count 2
		.amdhsa_user_sgpr_dispatch_ptr 0
		.amdhsa_user_sgpr_queue_ptr 0
		.amdhsa_user_sgpr_kernarg_segment_ptr 1
		.amdhsa_user_sgpr_dispatch_id 0
		.amdhsa_user_sgpr_private_segment_size 0
		.amdhsa_wavefront_size32 1
		.amdhsa_uses_dynamic_stack 0
		.amdhsa_enable_private_segment 0
		.amdhsa_system_sgpr_workgroup_id_x 1
		.amdhsa_system_sgpr_workgroup_id_y 0
		.amdhsa_system_sgpr_workgroup_id_z 0
		.amdhsa_system_sgpr_workgroup_info 0
		.amdhsa_system_vgpr_workitem_id 0
		.amdhsa_next_free_vgpr 1
		.amdhsa_next_free_sgpr 1
		.amdhsa_reserve_vcc 0
		.amdhsa_float_round_mode_32 0
		.amdhsa_float_round_mode_16_64 0
		.amdhsa_float_denorm_mode_32 3
		.amdhsa_float_denorm_mode_16_64 3
		.amdhsa_fp16_overflow 0
		.amdhsa_workgroup_processor_mode 1
		.amdhsa_memory_ordered 1
		.amdhsa_forward_progress 1
		.amdhsa_inst_pref_size 0
		.amdhsa_round_robin_scheduling 0
		.amdhsa_exception_fp_ieee_invalid_op 0
		.amdhsa_exception_fp_denorm_src 0
		.amdhsa_exception_fp_ieee_div_zero 0
		.amdhsa_exception_fp_ieee_overflow 0
		.amdhsa_exception_fp_ieee_underflow 0
		.amdhsa_exception_fp_ieee_inexact 0
		.amdhsa_exception_int_div_zero 0
	.end_amdhsa_kernel
	.section	.text._ZN7rocprim17ROCPRIM_400000_NS6detail17trampoline_kernelINS0_13select_configILj256ELj13ELNS0_17block_load_methodE3ELS4_3ELS4_3ELNS0_20block_scan_algorithmE0ELj4294967295EEENS1_25partition_config_selectorILNS1_17partition_subalgoE3EjNS0_10empty_typeEbEEZZNS1_14partition_implILS8_3ELb0ES6_jNS0_17counting_iteratorIjlEEPS9_SE_NS0_5tupleIJPjSE_EEENSF_IJSE_SE_EEES9_SG_JZNS1_25segmented_radix_sort_implINS0_14default_configELb1EPKbPbPKlPlN2at6native12_GLOBAL__N_18offset_tEEE10hipError_tPvRmT1_PNSt15iterator_traitsISY_E10value_typeET2_T3_PNSZ_IS14_E10value_typeET4_jRbjT5_S1A_jjP12ihipStream_tbEUljE_EEESV_SW_SX_S14_S18_S1A_T6_T7_T9_mT8_S1C_bDpT10_ENKUlT_T0_E_clISt17integral_constantIbLb1EES1P_EEDaS1K_S1L_EUlS1K_E_NS1_11comp_targetILNS1_3genE8ELNS1_11target_archE1030ELNS1_3gpuE2ELNS1_3repE0EEENS1_30default_config_static_selectorELNS0_4arch9wavefront6targetE0EEEvSY_,"axG",@progbits,_ZN7rocprim17ROCPRIM_400000_NS6detail17trampoline_kernelINS0_13select_configILj256ELj13ELNS0_17block_load_methodE3ELS4_3ELS4_3ELNS0_20block_scan_algorithmE0ELj4294967295EEENS1_25partition_config_selectorILNS1_17partition_subalgoE3EjNS0_10empty_typeEbEEZZNS1_14partition_implILS8_3ELb0ES6_jNS0_17counting_iteratorIjlEEPS9_SE_NS0_5tupleIJPjSE_EEENSF_IJSE_SE_EEES9_SG_JZNS1_25segmented_radix_sort_implINS0_14default_configELb1EPKbPbPKlPlN2at6native12_GLOBAL__N_18offset_tEEE10hipError_tPvRmT1_PNSt15iterator_traitsISY_E10value_typeET2_T3_PNSZ_IS14_E10value_typeET4_jRbjT5_S1A_jjP12ihipStream_tbEUljE_EEESV_SW_SX_S14_S18_S1A_T6_T7_T9_mT8_S1C_bDpT10_ENKUlT_T0_E_clISt17integral_constantIbLb1EES1P_EEDaS1K_S1L_EUlS1K_E_NS1_11comp_targetILNS1_3genE8ELNS1_11target_archE1030ELNS1_3gpuE2ELNS1_3repE0EEENS1_30default_config_static_selectorELNS0_4arch9wavefront6targetE0EEEvSY_,comdat
.Lfunc_end1515:
	.size	_ZN7rocprim17ROCPRIM_400000_NS6detail17trampoline_kernelINS0_13select_configILj256ELj13ELNS0_17block_load_methodE3ELS4_3ELS4_3ELNS0_20block_scan_algorithmE0ELj4294967295EEENS1_25partition_config_selectorILNS1_17partition_subalgoE3EjNS0_10empty_typeEbEEZZNS1_14partition_implILS8_3ELb0ES6_jNS0_17counting_iteratorIjlEEPS9_SE_NS0_5tupleIJPjSE_EEENSF_IJSE_SE_EEES9_SG_JZNS1_25segmented_radix_sort_implINS0_14default_configELb1EPKbPbPKlPlN2at6native12_GLOBAL__N_18offset_tEEE10hipError_tPvRmT1_PNSt15iterator_traitsISY_E10value_typeET2_T3_PNSZ_IS14_E10value_typeET4_jRbjT5_S1A_jjP12ihipStream_tbEUljE_EEESV_SW_SX_S14_S18_S1A_T6_T7_T9_mT8_S1C_bDpT10_ENKUlT_T0_E_clISt17integral_constantIbLb1EES1P_EEDaS1K_S1L_EUlS1K_E_NS1_11comp_targetILNS1_3genE8ELNS1_11target_archE1030ELNS1_3gpuE2ELNS1_3repE0EEENS1_30default_config_static_selectorELNS0_4arch9wavefront6targetE0EEEvSY_, .Lfunc_end1515-_ZN7rocprim17ROCPRIM_400000_NS6detail17trampoline_kernelINS0_13select_configILj256ELj13ELNS0_17block_load_methodE3ELS4_3ELS4_3ELNS0_20block_scan_algorithmE0ELj4294967295EEENS1_25partition_config_selectorILNS1_17partition_subalgoE3EjNS0_10empty_typeEbEEZZNS1_14partition_implILS8_3ELb0ES6_jNS0_17counting_iteratorIjlEEPS9_SE_NS0_5tupleIJPjSE_EEENSF_IJSE_SE_EEES9_SG_JZNS1_25segmented_radix_sort_implINS0_14default_configELb1EPKbPbPKlPlN2at6native12_GLOBAL__N_18offset_tEEE10hipError_tPvRmT1_PNSt15iterator_traitsISY_E10value_typeET2_T3_PNSZ_IS14_E10value_typeET4_jRbjT5_S1A_jjP12ihipStream_tbEUljE_EEESV_SW_SX_S14_S18_S1A_T6_T7_T9_mT8_S1C_bDpT10_ENKUlT_T0_E_clISt17integral_constantIbLb1EES1P_EEDaS1K_S1L_EUlS1K_E_NS1_11comp_targetILNS1_3genE8ELNS1_11target_archE1030ELNS1_3gpuE2ELNS1_3repE0EEENS1_30default_config_static_selectorELNS0_4arch9wavefront6targetE0EEEvSY_
                                        ; -- End function
	.set _ZN7rocprim17ROCPRIM_400000_NS6detail17trampoline_kernelINS0_13select_configILj256ELj13ELNS0_17block_load_methodE3ELS4_3ELS4_3ELNS0_20block_scan_algorithmE0ELj4294967295EEENS1_25partition_config_selectorILNS1_17partition_subalgoE3EjNS0_10empty_typeEbEEZZNS1_14partition_implILS8_3ELb0ES6_jNS0_17counting_iteratorIjlEEPS9_SE_NS0_5tupleIJPjSE_EEENSF_IJSE_SE_EEES9_SG_JZNS1_25segmented_radix_sort_implINS0_14default_configELb1EPKbPbPKlPlN2at6native12_GLOBAL__N_18offset_tEEE10hipError_tPvRmT1_PNSt15iterator_traitsISY_E10value_typeET2_T3_PNSZ_IS14_E10value_typeET4_jRbjT5_S1A_jjP12ihipStream_tbEUljE_EEESV_SW_SX_S14_S18_S1A_T6_T7_T9_mT8_S1C_bDpT10_ENKUlT_T0_E_clISt17integral_constantIbLb1EES1P_EEDaS1K_S1L_EUlS1K_E_NS1_11comp_targetILNS1_3genE8ELNS1_11target_archE1030ELNS1_3gpuE2ELNS1_3repE0EEENS1_30default_config_static_selectorELNS0_4arch9wavefront6targetE0EEEvSY_.num_vgpr, 0
	.set _ZN7rocprim17ROCPRIM_400000_NS6detail17trampoline_kernelINS0_13select_configILj256ELj13ELNS0_17block_load_methodE3ELS4_3ELS4_3ELNS0_20block_scan_algorithmE0ELj4294967295EEENS1_25partition_config_selectorILNS1_17partition_subalgoE3EjNS0_10empty_typeEbEEZZNS1_14partition_implILS8_3ELb0ES6_jNS0_17counting_iteratorIjlEEPS9_SE_NS0_5tupleIJPjSE_EEENSF_IJSE_SE_EEES9_SG_JZNS1_25segmented_radix_sort_implINS0_14default_configELb1EPKbPbPKlPlN2at6native12_GLOBAL__N_18offset_tEEE10hipError_tPvRmT1_PNSt15iterator_traitsISY_E10value_typeET2_T3_PNSZ_IS14_E10value_typeET4_jRbjT5_S1A_jjP12ihipStream_tbEUljE_EEESV_SW_SX_S14_S18_S1A_T6_T7_T9_mT8_S1C_bDpT10_ENKUlT_T0_E_clISt17integral_constantIbLb1EES1P_EEDaS1K_S1L_EUlS1K_E_NS1_11comp_targetILNS1_3genE8ELNS1_11target_archE1030ELNS1_3gpuE2ELNS1_3repE0EEENS1_30default_config_static_selectorELNS0_4arch9wavefront6targetE0EEEvSY_.num_agpr, 0
	.set _ZN7rocprim17ROCPRIM_400000_NS6detail17trampoline_kernelINS0_13select_configILj256ELj13ELNS0_17block_load_methodE3ELS4_3ELS4_3ELNS0_20block_scan_algorithmE0ELj4294967295EEENS1_25partition_config_selectorILNS1_17partition_subalgoE3EjNS0_10empty_typeEbEEZZNS1_14partition_implILS8_3ELb0ES6_jNS0_17counting_iteratorIjlEEPS9_SE_NS0_5tupleIJPjSE_EEENSF_IJSE_SE_EEES9_SG_JZNS1_25segmented_radix_sort_implINS0_14default_configELb1EPKbPbPKlPlN2at6native12_GLOBAL__N_18offset_tEEE10hipError_tPvRmT1_PNSt15iterator_traitsISY_E10value_typeET2_T3_PNSZ_IS14_E10value_typeET4_jRbjT5_S1A_jjP12ihipStream_tbEUljE_EEESV_SW_SX_S14_S18_S1A_T6_T7_T9_mT8_S1C_bDpT10_ENKUlT_T0_E_clISt17integral_constantIbLb1EES1P_EEDaS1K_S1L_EUlS1K_E_NS1_11comp_targetILNS1_3genE8ELNS1_11target_archE1030ELNS1_3gpuE2ELNS1_3repE0EEENS1_30default_config_static_selectorELNS0_4arch9wavefront6targetE0EEEvSY_.numbered_sgpr, 0
	.set _ZN7rocprim17ROCPRIM_400000_NS6detail17trampoline_kernelINS0_13select_configILj256ELj13ELNS0_17block_load_methodE3ELS4_3ELS4_3ELNS0_20block_scan_algorithmE0ELj4294967295EEENS1_25partition_config_selectorILNS1_17partition_subalgoE3EjNS0_10empty_typeEbEEZZNS1_14partition_implILS8_3ELb0ES6_jNS0_17counting_iteratorIjlEEPS9_SE_NS0_5tupleIJPjSE_EEENSF_IJSE_SE_EEES9_SG_JZNS1_25segmented_radix_sort_implINS0_14default_configELb1EPKbPbPKlPlN2at6native12_GLOBAL__N_18offset_tEEE10hipError_tPvRmT1_PNSt15iterator_traitsISY_E10value_typeET2_T3_PNSZ_IS14_E10value_typeET4_jRbjT5_S1A_jjP12ihipStream_tbEUljE_EEESV_SW_SX_S14_S18_S1A_T6_T7_T9_mT8_S1C_bDpT10_ENKUlT_T0_E_clISt17integral_constantIbLb1EES1P_EEDaS1K_S1L_EUlS1K_E_NS1_11comp_targetILNS1_3genE8ELNS1_11target_archE1030ELNS1_3gpuE2ELNS1_3repE0EEENS1_30default_config_static_selectorELNS0_4arch9wavefront6targetE0EEEvSY_.num_named_barrier, 0
	.set _ZN7rocprim17ROCPRIM_400000_NS6detail17trampoline_kernelINS0_13select_configILj256ELj13ELNS0_17block_load_methodE3ELS4_3ELS4_3ELNS0_20block_scan_algorithmE0ELj4294967295EEENS1_25partition_config_selectorILNS1_17partition_subalgoE3EjNS0_10empty_typeEbEEZZNS1_14partition_implILS8_3ELb0ES6_jNS0_17counting_iteratorIjlEEPS9_SE_NS0_5tupleIJPjSE_EEENSF_IJSE_SE_EEES9_SG_JZNS1_25segmented_radix_sort_implINS0_14default_configELb1EPKbPbPKlPlN2at6native12_GLOBAL__N_18offset_tEEE10hipError_tPvRmT1_PNSt15iterator_traitsISY_E10value_typeET2_T3_PNSZ_IS14_E10value_typeET4_jRbjT5_S1A_jjP12ihipStream_tbEUljE_EEESV_SW_SX_S14_S18_S1A_T6_T7_T9_mT8_S1C_bDpT10_ENKUlT_T0_E_clISt17integral_constantIbLb1EES1P_EEDaS1K_S1L_EUlS1K_E_NS1_11comp_targetILNS1_3genE8ELNS1_11target_archE1030ELNS1_3gpuE2ELNS1_3repE0EEENS1_30default_config_static_selectorELNS0_4arch9wavefront6targetE0EEEvSY_.private_seg_size, 0
	.set _ZN7rocprim17ROCPRIM_400000_NS6detail17trampoline_kernelINS0_13select_configILj256ELj13ELNS0_17block_load_methodE3ELS4_3ELS4_3ELNS0_20block_scan_algorithmE0ELj4294967295EEENS1_25partition_config_selectorILNS1_17partition_subalgoE3EjNS0_10empty_typeEbEEZZNS1_14partition_implILS8_3ELb0ES6_jNS0_17counting_iteratorIjlEEPS9_SE_NS0_5tupleIJPjSE_EEENSF_IJSE_SE_EEES9_SG_JZNS1_25segmented_radix_sort_implINS0_14default_configELb1EPKbPbPKlPlN2at6native12_GLOBAL__N_18offset_tEEE10hipError_tPvRmT1_PNSt15iterator_traitsISY_E10value_typeET2_T3_PNSZ_IS14_E10value_typeET4_jRbjT5_S1A_jjP12ihipStream_tbEUljE_EEESV_SW_SX_S14_S18_S1A_T6_T7_T9_mT8_S1C_bDpT10_ENKUlT_T0_E_clISt17integral_constantIbLb1EES1P_EEDaS1K_S1L_EUlS1K_E_NS1_11comp_targetILNS1_3genE8ELNS1_11target_archE1030ELNS1_3gpuE2ELNS1_3repE0EEENS1_30default_config_static_selectorELNS0_4arch9wavefront6targetE0EEEvSY_.uses_vcc, 0
	.set _ZN7rocprim17ROCPRIM_400000_NS6detail17trampoline_kernelINS0_13select_configILj256ELj13ELNS0_17block_load_methodE3ELS4_3ELS4_3ELNS0_20block_scan_algorithmE0ELj4294967295EEENS1_25partition_config_selectorILNS1_17partition_subalgoE3EjNS0_10empty_typeEbEEZZNS1_14partition_implILS8_3ELb0ES6_jNS0_17counting_iteratorIjlEEPS9_SE_NS0_5tupleIJPjSE_EEENSF_IJSE_SE_EEES9_SG_JZNS1_25segmented_radix_sort_implINS0_14default_configELb1EPKbPbPKlPlN2at6native12_GLOBAL__N_18offset_tEEE10hipError_tPvRmT1_PNSt15iterator_traitsISY_E10value_typeET2_T3_PNSZ_IS14_E10value_typeET4_jRbjT5_S1A_jjP12ihipStream_tbEUljE_EEESV_SW_SX_S14_S18_S1A_T6_T7_T9_mT8_S1C_bDpT10_ENKUlT_T0_E_clISt17integral_constantIbLb1EES1P_EEDaS1K_S1L_EUlS1K_E_NS1_11comp_targetILNS1_3genE8ELNS1_11target_archE1030ELNS1_3gpuE2ELNS1_3repE0EEENS1_30default_config_static_selectorELNS0_4arch9wavefront6targetE0EEEvSY_.uses_flat_scratch, 0
	.set _ZN7rocprim17ROCPRIM_400000_NS6detail17trampoline_kernelINS0_13select_configILj256ELj13ELNS0_17block_load_methodE3ELS4_3ELS4_3ELNS0_20block_scan_algorithmE0ELj4294967295EEENS1_25partition_config_selectorILNS1_17partition_subalgoE3EjNS0_10empty_typeEbEEZZNS1_14partition_implILS8_3ELb0ES6_jNS0_17counting_iteratorIjlEEPS9_SE_NS0_5tupleIJPjSE_EEENSF_IJSE_SE_EEES9_SG_JZNS1_25segmented_radix_sort_implINS0_14default_configELb1EPKbPbPKlPlN2at6native12_GLOBAL__N_18offset_tEEE10hipError_tPvRmT1_PNSt15iterator_traitsISY_E10value_typeET2_T3_PNSZ_IS14_E10value_typeET4_jRbjT5_S1A_jjP12ihipStream_tbEUljE_EEESV_SW_SX_S14_S18_S1A_T6_T7_T9_mT8_S1C_bDpT10_ENKUlT_T0_E_clISt17integral_constantIbLb1EES1P_EEDaS1K_S1L_EUlS1K_E_NS1_11comp_targetILNS1_3genE8ELNS1_11target_archE1030ELNS1_3gpuE2ELNS1_3repE0EEENS1_30default_config_static_selectorELNS0_4arch9wavefront6targetE0EEEvSY_.has_dyn_sized_stack, 0
	.set _ZN7rocprim17ROCPRIM_400000_NS6detail17trampoline_kernelINS0_13select_configILj256ELj13ELNS0_17block_load_methodE3ELS4_3ELS4_3ELNS0_20block_scan_algorithmE0ELj4294967295EEENS1_25partition_config_selectorILNS1_17partition_subalgoE3EjNS0_10empty_typeEbEEZZNS1_14partition_implILS8_3ELb0ES6_jNS0_17counting_iteratorIjlEEPS9_SE_NS0_5tupleIJPjSE_EEENSF_IJSE_SE_EEES9_SG_JZNS1_25segmented_radix_sort_implINS0_14default_configELb1EPKbPbPKlPlN2at6native12_GLOBAL__N_18offset_tEEE10hipError_tPvRmT1_PNSt15iterator_traitsISY_E10value_typeET2_T3_PNSZ_IS14_E10value_typeET4_jRbjT5_S1A_jjP12ihipStream_tbEUljE_EEESV_SW_SX_S14_S18_S1A_T6_T7_T9_mT8_S1C_bDpT10_ENKUlT_T0_E_clISt17integral_constantIbLb1EES1P_EEDaS1K_S1L_EUlS1K_E_NS1_11comp_targetILNS1_3genE8ELNS1_11target_archE1030ELNS1_3gpuE2ELNS1_3repE0EEENS1_30default_config_static_selectorELNS0_4arch9wavefront6targetE0EEEvSY_.has_recursion, 0
	.set _ZN7rocprim17ROCPRIM_400000_NS6detail17trampoline_kernelINS0_13select_configILj256ELj13ELNS0_17block_load_methodE3ELS4_3ELS4_3ELNS0_20block_scan_algorithmE0ELj4294967295EEENS1_25partition_config_selectorILNS1_17partition_subalgoE3EjNS0_10empty_typeEbEEZZNS1_14partition_implILS8_3ELb0ES6_jNS0_17counting_iteratorIjlEEPS9_SE_NS0_5tupleIJPjSE_EEENSF_IJSE_SE_EEES9_SG_JZNS1_25segmented_radix_sort_implINS0_14default_configELb1EPKbPbPKlPlN2at6native12_GLOBAL__N_18offset_tEEE10hipError_tPvRmT1_PNSt15iterator_traitsISY_E10value_typeET2_T3_PNSZ_IS14_E10value_typeET4_jRbjT5_S1A_jjP12ihipStream_tbEUljE_EEESV_SW_SX_S14_S18_S1A_T6_T7_T9_mT8_S1C_bDpT10_ENKUlT_T0_E_clISt17integral_constantIbLb1EES1P_EEDaS1K_S1L_EUlS1K_E_NS1_11comp_targetILNS1_3genE8ELNS1_11target_archE1030ELNS1_3gpuE2ELNS1_3repE0EEENS1_30default_config_static_selectorELNS0_4arch9wavefront6targetE0EEEvSY_.has_indirect_call, 0
	.section	.AMDGPU.csdata,"",@progbits
; Kernel info:
; codeLenInByte = 0
; TotalNumSgprs: 0
; NumVgprs: 0
; ScratchSize: 0
; MemoryBound: 0
; FloatMode: 240
; IeeeMode: 1
; LDSByteSize: 0 bytes/workgroup (compile time only)
; SGPRBlocks: 0
; VGPRBlocks: 0
; NumSGPRsForWavesPerEU: 1
; NumVGPRsForWavesPerEU: 1
; Occupancy: 16
; WaveLimiterHint : 0
; COMPUTE_PGM_RSRC2:SCRATCH_EN: 0
; COMPUTE_PGM_RSRC2:USER_SGPR: 2
; COMPUTE_PGM_RSRC2:TRAP_HANDLER: 0
; COMPUTE_PGM_RSRC2:TGID_X_EN: 1
; COMPUTE_PGM_RSRC2:TGID_Y_EN: 0
; COMPUTE_PGM_RSRC2:TGID_Z_EN: 0
; COMPUTE_PGM_RSRC2:TIDIG_COMP_CNT: 0
	.section	.text._ZN7rocprim17ROCPRIM_400000_NS6detail17trampoline_kernelINS0_13select_configILj256ELj13ELNS0_17block_load_methodE3ELS4_3ELS4_3ELNS0_20block_scan_algorithmE0ELj4294967295EEENS1_25partition_config_selectorILNS1_17partition_subalgoE3EjNS0_10empty_typeEbEEZZNS1_14partition_implILS8_3ELb0ES6_jNS0_17counting_iteratorIjlEEPS9_SE_NS0_5tupleIJPjSE_EEENSF_IJSE_SE_EEES9_SG_JZNS1_25segmented_radix_sort_implINS0_14default_configELb1EPKbPbPKlPlN2at6native12_GLOBAL__N_18offset_tEEE10hipError_tPvRmT1_PNSt15iterator_traitsISY_E10value_typeET2_T3_PNSZ_IS14_E10value_typeET4_jRbjT5_S1A_jjP12ihipStream_tbEUljE_EEESV_SW_SX_S14_S18_S1A_T6_T7_T9_mT8_S1C_bDpT10_ENKUlT_T0_E_clISt17integral_constantIbLb1EES1O_IbLb0EEEEDaS1K_S1L_EUlS1K_E_NS1_11comp_targetILNS1_3genE0ELNS1_11target_archE4294967295ELNS1_3gpuE0ELNS1_3repE0EEENS1_30default_config_static_selectorELNS0_4arch9wavefront6targetE0EEEvSY_,"axG",@progbits,_ZN7rocprim17ROCPRIM_400000_NS6detail17trampoline_kernelINS0_13select_configILj256ELj13ELNS0_17block_load_methodE3ELS4_3ELS4_3ELNS0_20block_scan_algorithmE0ELj4294967295EEENS1_25partition_config_selectorILNS1_17partition_subalgoE3EjNS0_10empty_typeEbEEZZNS1_14partition_implILS8_3ELb0ES6_jNS0_17counting_iteratorIjlEEPS9_SE_NS0_5tupleIJPjSE_EEENSF_IJSE_SE_EEES9_SG_JZNS1_25segmented_radix_sort_implINS0_14default_configELb1EPKbPbPKlPlN2at6native12_GLOBAL__N_18offset_tEEE10hipError_tPvRmT1_PNSt15iterator_traitsISY_E10value_typeET2_T3_PNSZ_IS14_E10value_typeET4_jRbjT5_S1A_jjP12ihipStream_tbEUljE_EEESV_SW_SX_S14_S18_S1A_T6_T7_T9_mT8_S1C_bDpT10_ENKUlT_T0_E_clISt17integral_constantIbLb1EES1O_IbLb0EEEEDaS1K_S1L_EUlS1K_E_NS1_11comp_targetILNS1_3genE0ELNS1_11target_archE4294967295ELNS1_3gpuE0ELNS1_3repE0EEENS1_30default_config_static_selectorELNS0_4arch9wavefront6targetE0EEEvSY_,comdat
	.globl	_ZN7rocprim17ROCPRIM_400000_NS6detail17trampoline_kernelINS0_13select_configILj256ELj13ELNS0_17block_load_methodE3ELS4_3ELS4_3ELNS0_20block_scan_algorithmE0ELj4294967295EEENS1_25partition_config_selectorILNS1_17partition_subalgoE3EjNS0_10empty_typeEbEEZZNS1_14partition_implILS8_3ELb0ES6_jNS0_17counting_iteratorIjlEEPS9_SE_NS0_5tupleIJPjSE_EEENSF_IJSE_SE_EEES9_SG_JZNS1_25segmented_radix_sort_implINS0_14default_configELb1EPKbPbPKlPlN2at6native12_GLOBAL__N_18offset_tEEE10hipError_tPvRmT1_PNSt15iterator_traitsISY_E10value_typeET2_T3_PNSZ_IS14_E10value_typeET4_jRbjT5_S1A_jjP12ihipStream_tbEUljE_EEESV_SW_SX_S14_S18_S1A_T6_T7_T9_mT8_S1C_bDpT10_ENKUlT_T0_E_clISt17integral_constantIbLb1EES1O_IbLb0EEEEDaS1K_S1L_EUlS1K_E_NS1_11comp_targetILNS1_3genE0ELNS1_11target_archE4294967295ELNS1_3gpuE0ELNS1_3repE0EEENS1_30default_config_static_selectorELNS0_4arch9wavefront6targetE0EEEvSY_ ; -- Begin function _ZN7rocprim17ROCPRIM_400000_NS6detail17trampoline_kernelINS0_13select_configILj256ELj13ELNS0_17block_load_methodE3ELS4_3ELS4_3ELNS0_20block_scan_algorithmE0ELj4294967295EEENS1_25partition_config_selectorILNS1_17partition_subalgoE3EjNS0_10empty_typeEbEEZZNS1_14partition_implILS8_3ELb0ES6_jNS0_17counting_iteratorIjlEEPS9_SE_NS0_5tupleIJPjSE_EEENSF_IJSE_SE_EEES9_SG_JZNS1_25segmented_radix_sort_implINS0_14default_configELb1EPKbPbPKlPlN2at6native12_GLOBAL__N_18offset_tEEE10hipError_tPvRmT1_PNSt15iterator_traitsISY_E10value_typeET2_T3_PNSZ_IS14_E10value_typeET4_jRbjT5_S1A_jjP12ihipStream_tbEUljE_EEESV_SW_SX_S14_S18_S1A_T6_T7_T9_mT8_S1C_bDpT10_ENKUlT_T0_E_clISt17integral_constantIbLb1EES1O_IbLb0EEEEDaS1K_S1L_EUlS1K_E_NS1_11comp_targetILNS1_3genE0ELNS1_11target_archE4294967295ELNS1_3gpuE0ELNS1_3repE0EEENS1_30default_config_static_selectorELNS0_4arch9wavefront6targetE0EEEvSY_
	.p2align	8
	.type	_ZN7rocprim17ROCPRIM_400000_NS6detail17trampoline_kernelINS0_13select_configILj256ELj13ELNS0_17block_load_methodE3ELS4_3ELS4_3ELNS0_20block_scan_algorithmE0ELj4294967295EEENS1_25partition_config_selectorILNS1_17partition_subalgoE3EjNS0_10empty_typeEbEEZZNS1_14partition_implILS8_3ELb0ES6_jNS0_17counting_iteratorIjlEEPS9_SE_NS0_5tupleIJPjSE_EEENSF_IJSE_SE_EEES9_SG_JZNS1_25segmented_radix_sort_implINS0_14default_configELb1EPKbPbPKlPlN2at6native12_GLOBAL__N_18offset_tEEE10hipError_tPvRmT1_PNSt15iterator_traitsISY_E10value_typeET2_T3_PNSZ_IS14_E10value_typeET4_jRbjT5_S1A_jjP12ihipStream_tbEUljE_EEESV_SW_SX_S14_S18_S1A_T6_T7_T9_mT8_S1C_bDpT10_ENKUlT_T0_E_clISt17integral_constantIbLb1EES1O_IbLb0EEEEDaS1K_S1L_EUlS1K_E_NS1_11comp_targetILNS1_3genE0ELNS1_11target_archE4294967295ELNS1_3gpuE0ELNS1_3repE0EEENS1_30default_config_static_selectorELNS0_4arch9wavefront6targetE0EEEvSY_,@function
_ZN7rocprim17ROCPRIM_400000_NS6detail17trampoline_kernelINS0_13select_configILj256ELj13ELNS0_17block_load_methodE3ELS4_3ELS4_3ELNS0_20block_scan_algorithmE0ELj4294967295EEENS1_25partition_config_selectorILNS1_17partition_subalgoE3EjNS0_10empty_typeEbEEZZNS1_14partition_implILS8_3ELb0ES6_jNS0_17counting_iteratorIjlEEPS9_SE_NS0_5tupleIJPjSE_EEENSF_IJSE_SE_EEES9_SG_JZNS1_25segmented_radix_sort_implINS0_14default_configELb1EPKbPbPKlPlN2at6native12_GLOBAL__N_18offset_tEEE10hipError_tPvRmT1_PNSt15iterator_traitsISY_E10value_typeET2_T3_PNSZ_IS14_E10value_typeET4_jRbjT5_S1A_jjP12ihipStream_tbEUljE_EEESV_SW_SX_S14_S18_S1A_T6_T7_T9_mT8_S1C_bDpT10_ENKUlT_T0_E_clISt17integral_constantIbLb1EES1O_IbLb0EEEEDaS1K_S1L_EUlS1K_E_NS1_11comp_targetILNS1_3genE0ELNS1_11target_archE4294967295ELNS1_3gpuE0ELNS1_3repE0EEENS1_30default_config_static_selectorELNS0_4arch9wavefront6targetE0EEEvSY_: ; @_ZN7rocprim17ROCPRIM_400000_NS6detail17trampoline_kernelINS0_13select_configILj256ELj13ELNS0_17block_load_methodE3ELS4_3ELS4_3ELNS0_20block_scan_algorithmE0ELj4294967295EEENS1_25partition_config_selectorILNS1_17partition_subalgoE3EjNS0_10empty_typeEbEEZZNS1_14partition_implILS8_3ELb0ES6_jNS0_17counting_iteratorIjlEEPS9_SE_NS0_5tupleIJPjSE_EEENSF_IJSE_SE_EEES9_SG_JZNS1_25segmented_radix_sort_implINS0_14default_configELb1EPKbPbPKlPlN2at6native12_GLOBAL__N_18offset_tEEE10hipError_tPvRmT1_PNSt15iterator_traitsISY_E10value_typeET2_T3_PNSZ_IS14_E10value_typeET4_jRbjT5_S1A_jjP12ihipStream_tbEUljE_EEESV_SW_SX_S14_S18_S1A_T6_T7_T9_mT8_S1C_bDpT10_ENKUlT_T0_E_clISt17integral_constantIbLb1EES1O_IbLb0EEEEDaS1K_S1L_EUlS1K_E_NS1_11comp_targetILNS1_3genE0ELNS1_11target_archE4294967295ELNS1_3gpuE0ELNS1_3repE0EEENS1_30default_config_static_selectorELNS0_4arch9wavefront6targetE0EEEvSY_
; %bb.0:
	.section	.rodata,"a",@progbits
	.p2align	6, 0x0
	.amdhsa_kernel _ZN7rocprim17ROCPRIM_400000_NS6detail17trampoline_kernelINS0_13select_configILj256ELj13ELNS0_17block_load_methodE3ELS4_3ELS4_3ELNS0_20block_scan_algorithmE0ELj4294967295EEENS1_25partition_config_selectorILNS1_17partition_subalgoE3EjNS0_10empty_typeEbEEZZNS1_14partition_implILS8_3ELb0ES6_jNS0_17counting_iteratorIjlEEPS9_SE_NS0_5tupleIJPjSE_EEENSF_IJSE_SE_EEES9_SG_JZNS1_25segmented_radix_sort_implINS0_14default_configELb1EPKbPbPKlPlN2at6native12_GLOBAL__N_18offset_tEEE10hipError_tPvRmT1_PNSt15iterator_traitsISY_E10value_typeET2_T3_PNSZ_IS14_E10value_typeET4_jRbjT5_S1A_jjP12ihipStream_tbEUljE_EEESV_SW_SX_S14_S18_S1A_T6_T7_T9_mT8_S1C_bDpT10_ENKUlT_T0_E_clISt17integral_constantIbLb1EES1O_IbLb0EEEEDaS1K_S1L_EUlS1K_E_NS1_11comp_targetILNS1_3genE0ELNS1_11target_archE4294967295ELNS1_3gpuE0ELNS1_3repE0EEENS1_30default_config_static_selectorELNS0_4arch9wavefront6targetE0EEEvSY_
		.amdhsa_group_segment_fixed_size 0
		.amdhsa_private_segment_fixed_size 0
		.amdhsa_kernarg_size 144
		.amdhsa_user_sgpr_count 2
		.amdhsa_user_sgpr_dispatch_ptr 0
		.amdhsa_user_sgpr_queue_ptr 0
		.amdhsa_user_sgpr_kernarg_segment_ptr 1
		.amdhsa_user_sgpr_dispatch_id 0
		.amdhsa_user_sgpr_private_segment_size 0
		.amdhsa_wavefront_size32 1
		.amdhsa_uses_dynamic_stack 0
		.amdhsa_enable_private_segment 0
		.amdhsa_system_sgpr_workgroup_id_x 1
		.amdhsa_system_sgpr_workgroup_id_y 0
		.amdhsa_system_sgpr_workgroup_id_z 0
		.amdhsa_system_sgpr_workgroup_info 0
		.amdhsa_system_vgpr_workitem_id 0
		.amdhsa_next_free_vgpr 1
		.amdhsa_next_free_sgpr 1
		.amdhsa_reserve_vcc 0
		.amdhsa_float_round_mode_32 0
		.amdhsa_float_round_mode_16_64 0
		.amdhsa_float_denorm_mode_32 3
		.amdhsa_float_denorm_mode_16_64 3
		.amdhsa_fp16_overflow 0
		.amdhsa_workgroup_processor_mode 1
		.amdhsa_memory_ordered 1
		.amdhsa_forward_progress 1
		.amdhsa_inst_pref_size 0
		.amdhsa_round_robin_scheduling 0
		.amdhsa_exception_fp_ieee_invalid_op 0
		.amdhsa_exception_fp_denorm_src 0
		.amdhsa_exception_fp_ieee_div_zero 0
		.amdhsa_exception_fp_ieee_overflow 0
		.amdhsa_exception_fp_ieee_underflow 0
		.amdhsa_exception_fp_ieee_inexact 0
		.amdhsa_exception_int_div_zero 0
	.end_amdhsa_kernel
	.section	.text._ZN7rocprim17ROCPRIM_400000_NS6detail17trampoline_kernelINS0_13select_configILj256ELj13ELNS0_17block_load_methodE3ELS4_3ELS4_3ELNS0_20block_scan_algorithmE0ELj4294967295EEENS1_25partition_config_selectorILNS1_17partition_subalgoE3EjNS0_10empty_typeEbEEZZNS1_14partition_implILS8_3ELb0ES6_jNS0_17counting_iteratorIjlEEPS9_SE_NS0_5tupleIJPjSE_EEENSF_IJSE_SE_EEES9_SG_JZNS1_25segmented_radix_sort_implINS0_14default_configELb1EPKbPbPKlPlN2at6native12_GLOBAL__N_18offset_tEEE10hipError_tPvRmT1_PNSt15iterator_traitsISY_E10value_typeET2_T3_PNSZ_IS14_E10value_typeET4_jRbjT5_S1A_jjP12ihipStream_tbEUljE_EEESV_SW_SX_S14_S18_S1A_T6_T7_T9_mT8_S1C_bDpT10_ENKUlT_T0_E_clISt17integral_constantIbLb1EES1O_IbLb0EEEEDaS1K_S1L_EUlS1K_E_NS1_11comp_targetILNS1_3genE0ELNS1_11target_archE4294967295ELNS1_3gpuE0ELNS1_3repE0EEENS1_30default_config_static_selectorELNS0_4arch9wavefront6targetE0EEEvSY_,"axG",@progbits,_ZN7rocprim17ROCPRIM_400000_NS6detail17trampoline_kernelINS0_13select_configILj256ELj13ELNS0_17block_load_methodE3ELS4_3ELS4_3ELNS0_20block_scan_algorithmE0ELj4294967295EEENS1_25partition_config_selectorILNS1_17partition_subalgoE3EjNS0_10empty_typeEbEEZZNS1_14partition_implILS8_3ELb0ES6_jNS0_17counting_iteratorIjlEEPS9_SE_NS0_5tupleIJPjSE_EEENSF_IJSE_SE_EEES9_SG_JZNS1_25segmented_radix_sort_implINS0_14default_configELb1EPKbPbPKlPlN2at6native12_GLOBAL__N_18offset_tEEE10hipError_tPvRmT1_PNSt15iterator_traitsISY_E10value_typeET2_T3_PNSZ_IS14_E10value_typeET4_jRbjT5_S1A_jjP12ihipStream_tbEUljE_EEESV_SW_SX_S14_S18_S1A_T6_T7_T9_mT8_S1C_bDpT10_ENKUlT_T0_E_clISt17integral_constantIbLb1EES1O_IbLb0EEEEDaS1K_S1L_EUlS1K_E_NS1_11comp_targetILNS1_3genE0ELNS1_11target_archE4294967295ELNS1_3gpuE0ELNS1_3repE0EEENS1_30default_config_static_selectorELNS0_4arch9wavefront6targetE0EEEvSY_,comdat
.Lfunc_end1516:
	.size	_ZN7rocprim17ROCPRIM_400000_NS6detail17trampoline_kernelINS0_13select_configILj256ELj13ELNS0_17block_load_methodE3ELS4_3ELS4_3ELNS0_20block_scan_algorithmE0ELj4294967295EEENS1_25partition_config_selectorILNS1_17partition_subalgoE3EjNS0_10empty_typeEbEEZZNS1_14partition_implILS8_3ELb0ES6_jNS0_17counting_iteratorIjlEEPS9_SE_NS0_5tupleIJPjSE_EEENSF_IJSE_SE_EEES9_SG_JZNS1_25segmented_radix_sort_implINS0_14default_configELb1EPKbPbPKlPlN2at6native12_GLOBAL__N_18offset_tEEE10hipError_tPvRmT1_PNSt15iterator_traitsISY_E10value_typeET2_T3_PNSZ_IS14_E10value_typeET4_jRbjT5_S1A_jjP12ihipStream_tbEUljE_EEESV_SW_SX_S14_S18_S1A_T6_T7_T9_mT8_S1C_bDpT10_ENKUlT_T0_E_clISt17integral_constantIbLb1EES1O_IbLb0EEEEDaS1K_S1L_EUlS1K_E_NS1_11comp_targetILNS1_3genE0ELNS1_11target_archE4294967295ELNS1_3gpuE0ELNS1_3repE0EEENS1_30default_config_static_selectorELNS0_4arch9wavefront6targetE0EEEvSY_, .Lfunc_end1516-_ZN7rocprim17ROCPRIM_400000_NS6detail17trampoline_kernelINS0_13select_configILj256ELj13ELNS0_17block_load_methodE3ELS4_3ELS4_3ELNS0_20block_scan_algorithmE0ELj4294967295EEENS1_25partition_config_selectorILNS1_17partition_subalgoE3EjNS0_10empty_typeEbEEZZNS1_14partition_implILS8_3ELb0ES6_jNS0_17counting_iteratorIjlEEPS9_SE_NS0_5tupleIJPjSE_EEENSF_IJSE_SE_EEES9_SG_JZNS1_25segmented_radix_sort_implINS0_14default_configELb1EPKbPbPKlPlN2at6native12_GLOBAL__N_18offset_tEEE10hipError_tPvRmT1_PNSt15iterator_traitsISY_E10value_typeET2_T3_PNSZ_IS14_E10value_typeET4_jRbjT5_S1A_jjP12ihipStream_tbEUljE_EEESV_SW_SX_S14_S18_S1A_T6_T7_T9_mT8_S1C_bDpT10_ENKUlT_T0_E_clISt17integral_constantIbLb1EES1O_IbLb0EEEEDaS1K_S1L_EUlS1K_E_NS1_11comp_targetILNS1_3genE0ELNS1_11target_archE4294967295ELNS1_3gpuE0ELNS1_3repE0EEENS1_30default_config_static_selectorELNS0_4arch9wavefront6targetE0EEEvSY_
                                        ; -- End function
	.set _ZN7rocprim17ROCPRIM_400000_NS6detail17trampoline_kernelINS0_13select_configILj256ELj13ELNS0_17block_load_methodE3ELS4_3ELS4_3ELNS0_20block_scan_algorithmE0ELj4294967295EEENS1_25partition_config_selectorILNS1_17partition_subalgoE3EjNS0_10empty_typeEbEEZZNS1_14partition_implILS8_3ELb0ES6_jNS0_17counting_iteratorIjlEEPS9_SE_NS0_5tupleIJPjSE_EEENSF_IJSE_SE_EEES9_SG_JZNS1_25segmented_radix_sort_implINS0_14default_configELb1EPKbPbPKlPlN2at6native12_GLOBAL__N_18offset_tEEE10hipError_tPvRmT1_PNSt15iterator_traitsISY_E10value_typeET2_T3_PNSZ_IS14_E10value_typeET4_jRbjT5_S1A_jjP12ihipStream_tbEUljE_EEESV_SW_SX_S14_S18_S1A_T6_T7_T9_mT8_S1C_bDpT10_ENKUlT_T0_E_clISt17integral_constantIbLb1EES1O_IbLb0EEEEDaS1K_S1L_EUlS1K_E_NS1_11comp_targetILNS1_3genE0ELNS1_11target_archE4294967295ELNS1_3gpuE0ELNS1_3repE0EEENS1_30default_config_static_selectorELNS0_4arch9wavefront6targetE0EEEvSY_.num_vgpr, 0
	.set _ZN7rocprim17ROCPRIM_400000_NS6detail17trampoline_kernelINS0_13select_configILj256ELj13ELNS0_17block_load_methodE3ELS4_3ELS4_3ELNS0_20block_scan_algorithmE0ELj4294967295EEENS1_25partition_config_selectorILNS1_17partition_subalgoE3EjNS0_10empty_typeEbEEZZNS1_14partition_implILS8_3ELb0ES6_jNS0_17counting_iteratorIjlEEPS9_SE_NS0_5tupleIJPjSE_EEENSF_IJSE_SE_EEES9_SG_JZNS1_25segmented_radix_sort_implINS0_14default_configELb1EPKbPbPKlPlN2at6native12_GLOBAL__N_18offset_tEEE10hipError_tPvRmT1_PNSt15iterator_traitsISY_E10value_typeET2_T3_PNSZ_IS14_E10value_typeET4_jRbjT5_S1A_jjP12ihipStream_tbEUljE_EEESV_SW_SX_S14_S18_S1A_T6_T7_T9_mT8_S1C_bDpT10_ENKUlT_T0_E_clISt17integral_constantIbLb1EES1O_IbLb0EEEEDaS1K_S1L_EUlS1K_E_NS1_11comp_targetILNS1_3genE0ELNS1_11target_archE4294967295ELNS1_3gpuE0ELNS1_3repE0EEENS1_30default_config_static_selectorELNS0_4arch9wavefront6targetE0EEEvSY_.num_agpr, 0
	.set _ZN7rocprim17ROCPRIM_400000_NS6detail17trampoline_kernelINS0_13select_configILj256ELj13ELNS0_17block_load_methodE3ELS4_3ELS4_3ELNS0_20block_scan_algorithmE0ELj4294967295EEENS1_25partition_config_selectorILNS1_17partition_subalgoE3EjNS0_10empty_typeEbEEZZNS1_14partition_implILS8_3ELb0ES6_jNS0_17counting_iteratorIjlEEPS9_SE_NS0_5tupleIJPjSE_EEENSF_IJSE_SE_EEES9_SG_JZNS1_25segmented_radix_sort_implINS0_14default_configELb1EPKbPbPKlPlN2at6native12_GLOBAL__N_18offset_tEEE10hipError_tPvRmT1_PNSt15iterator_traitsISY_E10value_typeET2_T3_PNSZ_IS14_E10value_typeET4_jRbjT5_S1A_jjP12ihipStream_tbEUljE_EEESV_SW_SX_S14_S18_S1A_T6_T7_T9_mT8_S1C_bDpT10_ENKUlT_T0_E_clISt17integral_constantIbLb1EES1O_IbLb0EEEEDaS1K_S1L_EUlS1K_E_NS1_11comp_targetILNS1_3genE0ELNS1_11target_archE4294967295ELNS1_3gpuE0ELNS1_3repE0EEENS1_30default_config_static_selectorELNS0_4arch9wavefront6targetE0EEEvSY_.numbered_sgpr, 0
	.set _ZN7rocprim17ROCPRIM_400000_NS6detail17trampoline_kernelINS0_13select_configILj256ELj13ELNS0_17block_load_methodE3ELS4_3ELS4_3ELNS0_20block_scan_algorithmE0ELj4294967295EEENS1_25partition_config_selectorILNS1_17partition_subalgoE3EjNS0_10empty_typeEbEEZZNS1_14partition_implILS8_3ELb0ES6_jNS0_17counting_iteratorIjlEEPS9_SE_NS0_5tupleIJPjSE_EEENSF_IJSE_SE_EEES9_SG_JZNS1_25segmented_radix_sort_implINS0_14default_configELb1EPKbPbPKlPlN2at6native12_GLOBAL__N_18offset_tEEE10hipError_tPvRmT1_PNSt15iterator_traitsISY_E10value_typeET2_T3_PNSZ_IS14_E10value_typeET4_jRbjT5_S1A_jjP12ihipStream_tbEUljE_EEESV_SW_SX_S14_S18_S1A_T6_T7_T9_mT8_S1C_bDpT10_ENKUlT_T0_E_clISt17integral_constantIbLb1EES1O_IbLb0EEEEDaS1K_S1L_EUlS1K_E_NS1_11comp_targetILNS1_3genE0ELNS1_11target_archE4294967295ELNS1_3gpuE0ELNS1_3repE0EEENS1_30default_config_static_selectorELNS0_4arch9wavefront6targetE0EEEvSY_.num_named_barrier, 0
	.set _ZN7rocprim17ROCPRIM_400000_NS6detail17trampoline_kernelINS0_13select_configILj256ELj13ELNS0_17block_load_methodE3ELS4_3ELS4_3ELNS0_20block_scan_algorithmE0ELj4294967295EEENS1_25partition_config_selectorILNS1_17partition_subalgoE3EjNS0_10empty_typeEbEEZZNS1_14partition_implILS8_3ELb0ES6_jNS0_17counting_iteratorIjlEEPS9_SE_NS0_5tupleIJPjSE_EEENSF_IJSE_SE_EEES9_SG_JZNS1_25segmented_radix_sort_implINS0_14default_configELb1EPKbPbPKlPlN2at6native12_GLOBAL__N_18offset_tEEE10hipError_tPvRmT1_PNSt15iterator_traitsISY_E10value_typeET2_T3_PNSZ_IS14_E10value_typeET4_jRbjT5_S1A_jjP12ihipStream_tbEUljE_EEESV_SW_SX_S14_S18_S1A_T6_T7_T9_mT8_S1C_bDpT10_ENKUlT_T0_E_clISt17integral_constantIbLb1EES1O_IbLb0EEEEDaS1K_S1L_EUlS1K_E_NS1_11comp_targetILNS1_3genE0ELNS1_11target_archE4294967295ELNS1_3gpuE0ELNS1_3repE0EEENS1_30default_config_static_selectorELNS0_4arch9wavefront6targetE0EEEvSY_.private_seg_size, 0
	.set _ZN7rocprim17ROCPRIM_400000_NS6detail17trampoline_kernelINS0_13select_configILj256ELj13ELNS0_17block_load_methodE3ELS4_3ELS4_3ELNS0_20block_scan_algorithmE0ELj4294967295EEENS1_25partition_config_selectorILNS1_17partition_subalgoE3EjNS0_10empty_typeEbEEZZNS1_14partition_implILS8_3ELb0ES6_jNS0_17counting_iteratorIjlEEPS9_SE_NS0_5tupleIJPjSE_EEENSF_IJSE_SE_EEES9_SG_JZNS1_25segmented_radix_sort_implINS0_14default_configELb1EPKbPbPKlPlN2at6native12_GLOBAL__N_18offset_tEEE10hipError_tPvRmT1_PNSt15iterator_traitsISY_E10value_typeET2_T3_PNSZ_IS14_E10value_typeET4_jRbjT5_S1A_jjP12ihipStream_tbEUljE_EEESV_SW_SX_S14_S18_S1A_T6_T7_T9_mT8_S1C_bDpT10_ENKUlT_T0_E_clISt17integral_constantIbLb1EES1O_IbLb0EEEEDaS1K_S1L_EUlS1K_E_NS1_11comp_targetILNS1_3genE0ELNS1_11target_archE4294967295ELNS1_3gpuE0ELNS1_3repE0EEENS1_30default_config_static_selectorELNS0_4arch9wavefront6targetE0EEEvSY_.uses_vcc, 0
	.set _ZN7rocprim17ROCPRIM_400000_NS6detail17trampoline_kernelINS0_13select_configILj256ELj13ELNS0_17block_load_methodE3ELS4_3ELS4_3ELNS0_20block_scan_algorithmE0ELj4294967295EEENS1_25partition_config_selectorILNS1_17partition_subalgoE3EjNS0_10empty_typeEbEEZZNS1_14partition_implILS8_3ELb0ES6_jNS0_17counting_iteratorIjlEEPS9_SE_NS0_5tupleIJPjSE_EEENSF_IJSE_SE_EEES9_SG_JZNS1_25segmented_radix_sort_implINS0_14default_configELb1EPKbPbPKlPlN2at6native12_GLOBAL__N_18offset_tEEE10hipError_tPvRmT1_PNSt15iterator_traitsISY_E10value_typeET2_T3_PNSZ_IS14_E10value_typeET4_jRbjT5_S1A_jjP12ihipStream_tbEUljE_EEESV_SW_SX_S14_S18_S1A_T6_T7_T9_mT8_S1C_bDpT10_ENKUlT_T0_E_clISt17integral_constantIbLb1EES1O_IbLb0EEEEDaS1K_S1L_EUlS1K_E_NS1_11comp_targetILNS1_3genE0ELNS1_11target_archE4294967295ELNS1_3gpuE0ELNS1_3repE0EEENS1_30default_config_static_selectorELNS0_4arch9wavefront6targetE0EEEvSY_.uses_flat_scratch, 0
	.set _ZN7rocprim17ROCPRIM_400000_NS6detail17trampoline_kernelINS0_13select_configILj256ELj13ELNS0_17block_load_methodE3ELS4_3ELS4_3ELNS0_20block_scan_algorithmE0ELj4294967295EEENS1_25partition_config_selectorILNS1_17partition_subalgoE3EjNS0_10empty_typeEbEEZZNS1_14partition_implILS8_3ELb0ES6_jNS0_17counting_iteratorIjlEEPS9_SE_NS0_5tupleIJPjSE_EEENSF_IJSE_SE_EEES9_SG_JZNS1_25segmented_radix_sort_implINS0_14default_configELb1EPKbPbPKlPlN2at6native12_GLOBAL__N_18offset_tEEE10hipError_tPvRmT1_PNSt15iterator_traitsISY_E10value_typeET2_T3_PNSZ_IS14_E10value_typeET4_jRbjT5_S1A_jjP12ihipStream_tbEUljE_EEESV_SW_SX_S14_S18_S1A_T6_T7_T9_mT8_S1C_bDpT10_ENKUlT_T0_E_clISt17integral_constantIbLb1EES1O_IbLb0EEEEDaS1K_S1L_EUlS1K_E_NS1_11comp_targetILNS1_3genE0ELNS1_11target_archE4294967295ELNS1_3gpuE0ELNS1_3repE0EEENS1_30default_config_static_selectorELNS0_4arch9wavefront6targetE0EEEvSY_.has_dyn_sized_stack, 0
	.set _ZN7rocprim17ROCPRIM_400000_NS6detail17trampoline_kernelINS0_13select_configILj256ELj13ELNS0_17block_load_methodE3ELS4_3ELS4_3ELNS0_20block_scan_algorithmE0ELj4294967295EEENS1_25partition_config_selectorILNS1_17partition_subalgoE3EjNS0_10empty_typeEbEEZZNS1_14partition_implILS8_3ELb0ES6_jNS0_17counting_iteratorIjlEEPS9_SE_NS0_5tupleIJPjSE_EEENSF_IJSE_SE_EEES9_SG_JZNS1_25segmented_radix_sort_implINS0_14default_configELb1EPKbPbPKlPlN2at6native12_GLOBAL__N_18offset_tEEE10hipError_tPvRmT1_PNSt15iterator_traitsISY_E10value_typeET2_T3_PNSZ_IS14_E10value_typeET4_jRbjT5_S1A_jjP12ihipStream_tbEUljE_EEESV_SW_SX_S14_S18_S1A_T6_T7_T9_mT8_S1C_bDpT10_ENKUlT_T0_E_clISt17integral_constantIbLb1EES1O_IbLb0EEEEDaS1K_S1L_EUlS1K_E_NS1_11comp_targetILNS1_3genE0ELNS1_11target_archE4294967295ELNS1_3gpuE0ELNS1_3repE0EEENS1_30default_config_static_selectorELNS0_4arch9wavefront6targetE0EEEvSY_.has_recursion, 0
	.set _ZN7rocprim17ROCPRIM_400000_NS6detail17trampoline_kernelINS0_13select_configILj256ELj13ELNS0_17block_load_methodE3ELS4_3ELS4_3ELNS0_20block_scan_algorithmE0ELj4294967295EEENS1_25partition_config_selectorILNS1_17partition_subalgoE3EjNS0_10empty_typeEbEEZZNS1_14partition_implILS8_3ELb0ES6_jNS0_17counting_iteratorIjlEEPS9_SE_NS0_5tupleIJPjSE_EEENSF_IJSE_SE_EEES9_SG_JZNS1_25segmented_radix_sort_implINS0_14default_configELb1EPKbPbPKlPlN2at6native12_GLOBAL__N_18offset_tEEE10hipError_tPvRmT1_PNSt15iterator_traitsISY_E10value_typeET2_T3_PNSZ_IS14_E10value_typeET4_jRbjT5_S1A_jjP12ihipStream_tbEUljE_EEESV_SW_SX_S14_S18_S1A_T6_T7_T9_mT8_S1C_bDpT10_ENKUlT_T0_E_clISt17integral_constantIbLb1EES1O_IbLb0EEEEDaS1K_S1L_EUlS1K_E_NS1_11comp_targetILNS1_3genE0ELNS1_11target_archE4294967295ELNS1_3gpuE0ELNS1_3repE0EEENS1_30default_config_static_selectorELNS0_4arch9wavefront6targetE0EEEvSY_.has_indirect_call, 0
	.section	.AMDGPU.csdata,"",@progbits
; Kernel info:
; codeLenInByte = 0
; TotalNumSgprs: 0
; NumVgprs: 0
; ScratchSize: 0
; MemoryBound: 0
; FloatMode: 240
; IeeeMode: 1
; LDSByteSize: 0 bytes/workgroup (compile time only)
; SGPRBlocks: 0
; VGPRBlocks: 0
; NumSGPRsForWavesPerEU: 1
; NumVGPRsForWavesPerEU: 1
; Occupancy: 16
; WaveLimiterHint : 0
; COMPUTE_PGM_RSRC2:SCRATCH_EN: 0
; COMPUTE_PGM_RSRC2:USER_SGPR: 2
; COMPUTE_PGM_RSRC2:TRAP_HANDLER: 0
; COMPUTE_PGM_RSRC2:TGID_X_EN: 1
; COMPUTE_PGM_RSRC2:TGID_Y_EN: 0
; COMPUTE_PGM_RSRC2:TGID_Z_EN: 0
; COMPUTE_PGM_RSRC2:TIDIG_COMP_CNT: 0
	.section	.text._ZN7rocprim17ROCPRIM_400000_NS6detail17trampoline_kernelINS0_13select_configILj256ELj13ELNS0_17block_load_methodE3ELS4_3ELS4_3ELNS0_20block_scan_algorithmE0ELj4294967295EEENS1_25partition_config_selectorILNS1_17partition_subalgoE3EjNS0_10empty_typeEbEEZZNS1_14partition_implILS8_3ELb0ES6_jNS0_17counting_iteratorIjlEEPS9_SE_NS0_5tupleIJPjSE_EEENSF_IJSE_SE_EEES9_SG_JZNS1_25segmented_radix_sort_implINS0_14default_configELb1EPKbPbPKlPlN2at6native12_GLOBAL__N_18offset_tEEE10hipError_tPvRmT1_PNSt15iterator_traitsISY_E10value_typeET2_T3_PNSZ_IS14_E10value_typeET4_jRbjT5_S1A_jjP12ihipStream_tbEUljE_EEESV_SW_SX_S14_S18_S1A_T6_T7_T9_mT8_S1C_bDpT10_ENKUlT_T0_E_clISt17integral_constantIbLb1EES1O_IbLb0EEEEDaS1K_S1L_EUlS1K_E_NS1_11comp_targetILNS1_3genE5ELNS1_11target_archE942ELNS1_3gpuE9ELNS1_3repE0EEENS1_30default_config_static_selectorELNS0_4arch9wavefront6targetE0EEEvSY_,"axG",@progbits,_ZN7rocprim17ROCPRIM_400000_NS6detail17trampoline_kernelINS0_13select_configILj256ELj13ELNS0_17block_load_methodE3ELS4_3ELS4_3ELNS0_20block_scan_algorithmE0ELj4294967295EEENS1_25partition_config_selectorILNS1_17partition_subalgoE3EjNS0_10empty_typeEbEEZZNS1_14partition_implILS8_3ELb0ES6_jNS0_17counting_iteratorIjlEEPS9_SE_NS0_5tupleIJPjSE_EEENSF_IJSE_SE_EEES9_SG_JZNS1_25segmented_radix_sort_implINS0_14default_configELb1EPKbPbPKlPlN2at6native12_GLOBAL__N_18offset_tEEE10hipError_tPvRmT1_PNSt15iterator_traitsISY_E10value_typeET2_T3_PNSZ_IS14_E10value_typeET4_jRbjT5_S1A_jjP12ihipStream_tbEUljE_EEESV_SW_SX_S14_S18_S1A_T6_T7_T9_mT8_S1C_bDpT10_ENKUlT_T0_E_clISt17integral_constantIbLb1EES1O_IbLb0EEEEDaS1K_S1L_EUlS1K_E_NS1_11comp_targetILNS1_3genE5ELNS1_11target_archE942ELNS1_3gpuE9ELNS1_3repE0EEENS1_30default_config_static_selectorELNS0_4arch9wavefront6targetE0EEEvSY_,comdat
	.globl	_ZN7rocprim17ROCPRIM_400000_NS6detail17trampoline_kernelINS0_13select_configILj256ELj13ELNS0_17block_load_methodE3ELS4_3ELS4_3ELNS0_20block_scan_algorithmE0ELj4294967295EEENS1_25partition_config_selectorILNS1_17partition_subalgoE3EjNS0_10empty_typeEbEEZZNS1_14partition_implILS8_3ELb0ES6_jNS0_17counting_iteratorIjlEEPS9_SE_NS0_5tupleIJPjSE_EEENSF_IJSE_SE_EEES9_SG_JZNS1_25segmented_radix_sort_implINS0_14default_configELb1EPKbPbPKlPlN2at6native12_GLOBAL__N_18offset_tEEE10hipError_tPvRmT1_PNSt15iterator_traitsISY_E10value_typeET2_T3_PNSZ_IS14_E10value_typeET4_jRbjT5_S1A_jjP12ihipStream_tbEUljE_EEESV_SW_SX_S14_S18_S1A_T6_T7_T9_mT8_S1C_bDpT10_ENKUlT_T0_E_clISt17integral_constantIbLb1EES1O_IbLb0EEEEDaS1K_S1L_EUlS1K_E_NS1_11comp_targetILNS1_3genE5ELNS1_11target_archE942ELNS1_3gpuE9ELNS1_3repE0EEENS1_30default_config_static_selectorELNS0_4arch9wavefront6targetE0EEEvSY_ ; -- Begin function _ZN7rocprim17ROCPRIM_400000_NS6detail17trampoline_kernelINS0_13select_configILj256ELj13ELNS0_17block_load_methodE3ELS4_3ELS4_3ELNS0_20block_scan_algorithmE0ELj4294967295EEENS1_25partition_config_selectorILNS1_17partition_subalgoE3EjNS0_10empty_typeEbEEZZNS1_14partition_implILS8_3ELb0ES6_jNS0_17counting_iteratorIjlEEPS9_SE_NS0_5tupleIJPjSE_EEENSF_IJSE_SE_EEES9_SG_JZNS1_25segmented_radix_sort_implINS0_14default_configELb1EPKbPbPKlPlN2at6native12_GLOBAL__N_18offset_tEEE10hipError_tPvRmT1_PNSt15iterator_traitsISY_E10value_typeET2_T3_PNSZ_IS14_E10value_typeET4_jRbjT5_S1A_jjP12ihipStream_tbEUljE_EEESV_SW_SX_S14_S18_S1A_T6_T7_T9_mT8_S1C_bDpT10_ENKUlT_T0_E_clISt17integral_constantIbLb1EES1O_IbLb0EEEEDaS1K_S1L_EUlS1K_E_NS1_11comp_targetILNS1_3genE5ELNS1_11target_archE942ELNS1_3gpuE9ELNS1_3repE0EEENS1_30default_config_static_selectorELNS0_4arch9wavefront6targetE0EEEvSY_
	.p2align	8
	.type	_ZN7rocprim17ROCPRIM_400000_NS6detail17trampoline_kernelINS0_13select_configILj256ELj13ELNS0_17block_load_methodE3ELS4_3ELS4_3ELNS0_20block_scan_algorithmE0ELj4294967295EEENS1_25partition_config_selectorILNS1_17partition_subalgoE3EjNS0_10empty_typeEbEEZZNS1_14partition_implILS8_3ELb0ES6_jNS0_17counting_iteratorIjlEEPS9_SE_NS0_5tupleIJPjSE_EEENSF_IJSE_SE_EEES9_SG_JZNS1_25segmented_radix_sort_implINS0_14default_configELb1EPKbPbPKlPlN2at6native12_GLOBAL__N_18offset_tEEE10hipError_tPvRmT1_PNSt15iterator_traitsISY_E10value_typeET2_T3_PNSZ_IS14_E10value_typeET4_jRbjT5_S1A_jjP12ihipStream_tbEUljE_EEESV_SW_SX_S14_S18_S1A_T6_T7_T9_mT8_S1C_bDpT10_ENKUlT_T0_E_clISt17integral_constantIbLb1EES1O_IbLb0EEEEDaS1K_S1L_EUlS1K_E_NS1_11comp_targetILNS1_3genE5ELNS1_11target_archE942ELNS1_3gpuE9ELNS1_3repE0EEENS1_30default_config_static_selectorELNS0_4arch9wavefront6targetE0EEEvSY_,@function
_ZN7rocprim17ROCPRIM_400000_NS6detail17trampoline_kernelINS0_13select_configILj256ELj13ELNS0_17block_load_methodE3ELS4_3ELS4_3ELNS0_20block_scan_algorithmE0ELj4294967295EEENS1_25partition_config_selectorILNS1_17partition_subalgoE3EjNS0_10empty_typeEbEEZZNS1_14partition_implILS8_3ELb0ES6_jNS0_17counting_iteratorIjlEEPS9_SE_NS0_5tupleIJPjSE_EEENSF_IJSE_SE_EEES9_SG_JZNS1_25segmented_radix_sort_implINS0_14default_configELb1EPKbPbPKlPlN2at6native12_GLOBAL__N_18offset_tEEE10hipError_tPvRmT1_PNSt15iterator_traitsISY_E10value_typeET2_T3_PNSZ_IS14_E10value_typeET4_jRbjT5_S1A_jjP12ihipStream_tbEUljE_EEESV_SW_SX_S14_S18_S1A_T6_T7_T9_mT8_S1C_bDpT10_ENKUlT_T0_E_clISt17integral_constantIbLb1EES1O_IbLb0EEEEDaS1K_S1L_EUlS1K_E_NS1_11comp_targetILNS1_3genE5ELNS1_11target_archE942ELNS1_3gpuE9ELNS1_3repE0EEENS1_30default_config_static_selectorELNS0_4arch9wavefront6targetE0EEEvSY_: ; @_ZN7rocprim17ROCPRIM_400000_NS6detail17trampoline_kernelINS0_13select_configILj256ELj13ELNS0_17block_load_methodE3ELS4_3ELS4_3ELNS0_20block_scan_algorithmE0ELj4294967295EEENS1_25partition_config_selectorILNS1_17partition_subalgoE3EjNS0_10empty_typeEbEEZZNS1_14partition_implILS8_3ELb0ES6_jNS0_17counting_iteratorIjlEEPS9_SE_NS0_5tupleIJPjSE_EEENSF_IJSE_SE_EEES9_SG_JZNS1_25segmented_radix_sort_implINS0_14default_configELb1EPKbPbPKlPlN2at6native12_GLOBAL__N_18offset_tEEE10hipError_tPvRmT1_PNSt15iterator_traitsISY_E10value_typeET2_T3_PNSZ_IS14_E10value_typeET4_jRbjT5_S1A_jjP12ihipStream_tbEUljE_EEESV_SW_SX_S14_S18_S1A_T6_T7_T9_mT8_S1C_bDpT10_ENKUlT_T0_E_clISt17integral_constantIbLb1EES1O_IbLb0EEEEDaS1K_S1L_EUlS1K_E_NS1_11comp_targetILNS1_3genE5ELNS1_11target_archE942ELNS1_3gpuE9ELNS1_3repE0EEENS1_30default_config_static_selectorELNS0_4arch9wavefront6targetE0EEEvSY_
; %bb.0:
	.section	.rodata,"a",@progbits
	.p2align	6, 0x0
	.amdhsa_kernel _ZN7rocprim17ROCPRIM_400000_NS6detail17trampoline_kernelINS0_13select_configILj256ELj13ELNS0_17block_load_methodE3ELS4_3ELS4_3ELNS0_20block_scan_algorithmE0ELj4294967295EEENS1_25partition_config_selectorILNS1_17partition_subalgoE3EjNS0_10empty_typeEbEEZZNS1_14partition_implILS8_3ELb0ES6_jNS0_17counting_iteratorIjlEEPS9_SE_NS0_5tupleIJPjSE_EEENSF_IJSE_SE_EEES9_SG_JZNS1_25segmented_radix_sort_implINS0_14default_configELb1EPKbPbPKlPlN2at6native12_GLOBAL__N_18offset_tEEE10hipError_tPvRmT1_PNSt15iterator_traitsISY_E10value_typeET2_T3_PNSZ_IS14_E10value_typeET4_jRbjT5_S1A_jjP12ihipStream_tbEUljE_EEESV_SW_SX_S14_S18_S1A_T6_T7_T9_mT8_S1C_bDpT10_ENKUlT_T0_E_clISt17integral_constantIbLb1EES1O_IbLb0EEEEDaS1K_S1L_EUlS1K_E_NS1_11comp_targetILNS1_3genE5ELNS1_11target_archE942ELNS1_3gpuE9ELNS1_3repE0EEENS1_30default_config_static_selectorELNS0_4arch9wavefront6targetE0EEEvSY_
		.amdhsa_group_segment_fixed_size 0
		.amdhsa_private_segment_fixed_size 0
		.amdhsa_kernarg_size 144
		.amdhsa_user_sgpr_count 2
		.amdhsa_user_sgpr_dispatch_ptr 0
		.amdhsa_user_sgpr_queue_ptr 0
		.amdhsa_user_sgpr_kernarg_segment_ptr 1
		.amdhsa_user_sgpr_dispatch_id 0
		.amdhsa_user_sgpr_private_segment_size 0
		.amdhsa_wavefront_size32 1
		.amdhsa_uses_dynamic_stack 0
		.amdhsa_enable_private_segment 0
		.amdhsa_system_sgpr_workgroup_id_x 1
		.amdhsa_system_sgpr_workgroup_id_y 0
		.amdhsa_system_sgpr_workgroup_id_z 0
		.amdhsa_system_sgpr_workgroup_info 0
		.amdhsa_system_vgpr_workitem_id 0
		.amdhsa_next_free_vgpr 1
		.amdhsa_next_free_sgpr 1
		.amdhsa_reserve_vcc 0
		.amdhsa_float_round_mode_32 0
		.amdhsa_float_round_mode_16_64 0
		.amdhsa_float_denorm_mode_32 3
		.amdhsa_float_denorm_mode_16_64 3
		.amdhsa_fp16_overflow 0
		.amdhsa_workgroup_processor_mode 1
		.amdhsa_memory_ordered 1
		.amdhsa_forward_progress 1
		.amdhsa_inst_pref_size 0
		.amdhsa_round_robin_scheduling 0
		.amdhsa_exception_fp_ieee_invalid_op 0
		.amdhsa_exception_fp_denorm_src 0
		.amdhsa_exception_fp_ieee_div_zero 0
		.amdhsa_exception_fp_ieee_overflow 0
		.amdhsa_exception_fp_ieee_underflow 0
		.amdhsa_exception_fp_ieee_inexact 0
		.amdhsa_exception_int_div_zero 0
	.end_amdhsa_kernel
	.section	.text._ZN7rocprim17ROCPRIM_400000_NS6detail17trampoline_kernelINS0_13select_configILj256ELj13ELNS0_17block_load_methodE3ELS4_3ELS4_3ELNS0_20block_scan_algorithmE0ELj4294967295EEENS1_25partition_config_selectorILNS1_17partition_subalgoE3EjNS0_10empty_typeEbEEZZNS1_14partition_implILS8_3ELb0ES6_jNS0_17counting_iteratorIjlEEPS9_SE_NS0_5tupleIJPjSE_EEENSF_IJSE_SE_EEES9_SG_JZNS1_25segmented_radix_sort_implINS0_14default_configELb1EPKbPbPKlPlN2at6native12_GLOBAL__N_18offset_tEEE10hipError_tPvRmT1_PNSt15iterator_traitsISY_E10value_typeET2_T3_PNSZ_IS14_E10value_typeET4_jRbjT5_S1A_jjP12ihipStream_tbEUljE_EEESV_SW_SX_S14_S18_S1A_T6_T7_T9_mT8_S1C_bDpT10_ENKUlT_T0_E_clISt17integral_constantIbLb1EES1O_IbLb0EEEEDaS1K_S1L_EUlS1K_E_NS1_11comp_targetILNS1_3genE5ELNS1_11target_archE942ELNS1_3gpuE9ELNS1_3repE0EEENS1_30default_config_static_selectorELNS0_4arch9wavefront6targetE0EEEvSY_,"axG",@progbits,_ZN7rocprim17ROCPRIM_400000_NS6detail17trampoline_kernelINS0_13select_configILj256ELj13ELNS0_17block_load_methodE3ELS4_3ELS4_3ELNS0_20block_scan_algorithmE0ELj4294967295EEENS1_25partition_config_selectorILNS1_17partition_subalgoE3EjNS0_10empty_typeEbEEZZNS1_14partition_implILS8_3ELb0ES6_jNS0_17counting_iteratorIjlEEPS9_SE_NS0_5tupleIJPjSE_EEENSF_IJSE_SE_EEES9_SG_JZNS1_25segmented_radix_sort_implINS0_14default_configELb1EPKbPbPKlPlN2at6native12_GLOBAL__N_18offset_tEEE10hipError_tPvRmT1_PNSt15iterator_traitsISY_E10value_typeET2_T3_PNSZ_IS14_E10value_typeET4_jRbjT5_S1A_jjP12ihipStream_tbEUljE_EEESV_SW_SX_S14_S18_S1A_T6_T7_T9_mT8_S1C_bDpT10_ENKUlT_T0_E_clISt17integral_constantIbLb1EES1O_IbLb0EEEEDaS1K_S1L_EUlS1K_E_NS1_11comp_targetILNS1_3genE5ELNS1_11target_archE942ELNS1_3gpuE9ELNS1_3repE0EEENS1_30default_config_static_selectorELNS0_4arch9wavefront6targetE0EEEvSY_,comdat
.Lfunc_end1517:
	.size	_ZN7rocprim17ROCPRIM_400000_NS6detail17trampoline_kernelINS0_13select_configILj256ELj13ELNS0_17block_load_methodE3ELS4_3ELS4_3ELNS0_20block_scan_algorithmE0ELj4294967295EEENS1_25partition_config_selectorILNS1_17partition_subalgoE3EjNS0_10empty_typeEbEEZZNS1_14partition_implILS8_3ELb0ES6_jNS0_17counting_iteratorIjlEEPS9_SE_NS0_5tupleIJPjSE_EEENSF_IJSE_SE_EEES9_SG_JZNS1_25segmented_radix_sort_implINS0_14default_configELb1EPKbPbPKlPlN2at6native12_GLOBAL__N_18offset_tEEE10hipError_tPvRmT1_PNSt15iterator_traitsISY_E10value_typeET2_T3_PNSZ_IS14_E10value_typeET4_jRbjT5_S1A_jjP12ihipStream_tbEUljE_EEESV_SW_SX_S14_S18_S1A_T6_T7_T9_mT8_S1C_bDpT10_ENKUlT_T0_E_clISt17integral_constantIbLb1EES1O_IbLb0EEEEDaS1K_S1L_EUlS1K_E_NS1_11comp_targetILNS1_3genE5ELNS1_11target_archE942ELNS1_3gpuE9ELNS1_3repE0EEENS1_30default_config_static_selectorELNS0_4arch9wavefront6targetE0EEEvSY_, .Lfunc_end1517-_ZN7rocprim17ROCPRIM_400000_NS6detail17trampoline_kernelINS0_13select_configILj256ELj13ELNS0_17block_load_methodE3ELS4_3ELS4_3ELNS0_20block_scan_algorithmE0ELj4294967295EEENS1_25partition_config_selectorILNS1_17partition_subalgoE3EjNS0_10empty_typeEbEEZZNS1_14partition_implILS8_3ELb0ES6_jNS0_17counting_iteratorIjlEEPS9_SE_NS0_5tupleIJPjSE_EEENSF_IJSE_SE_EEES9_SG_JZNS1_25segmented_radix_sort_implINS0_14default_configELb1EPKbPbPKlPlN2at6native12_GLOBAL__N_18offset_tEEE10hipError_tPvRmT1_PNSt15iterator_traitsISY_E10value_typeET2_T3_PNSZ_IS14_E10value_typeET4_jRbjT5_S1A_jjP12ihipStream_tbEUljE_EEESV_SW_SX_S14_S18_S1A_T6_T7_T9_mT8_S1C_bDpT10_ENKUlT_T0_E_clISt17integral_constantIbLb1EES1O_IbLb0EEEEDaS1K_S1L_EUlS1K_E_NS1_11comp_targetILNS1_3genE5ELNS1_11target_archE942ELNS1_3gpuE9ELNS1_3repE0EEENS1_30default_config_static_selectorELNS0_4arch9wavefront6targetE0EEEvSY_
                                        ; -- End function
	.set _ZN7rocprim17ROCPRIM_400000_NS6detail17trampoline_kernelINS0_13select_configILj256ELj13ELNS0_17block_load_methodE3ELS4_3ELS4_3ELNS0_20block_scan_algorithmE0ELj4294967295EEENS1_25partition_config_selectorILNS1_17partition_subalgoE3EjNS0_10empty_typeEbEEZZNS1_14partition_implILS8_3ELb0ES6_jNS0_17counting_iteratorIjlEEPS9_SE_NS0_5tupleIJPjSE_EEENSF_IJSE_SE_EEES9_SG_JZNS1_25segmented_radix_sort_implINS0_14default_configELb1EPKbPbPKlPlN2at6native12_GLOBAL__N_18offset_tEEE10hipError_tPvRmT1_PNSt15iterator_traitsISY_E10value_typeET2_T3_PNSZ_IS14_E10value_typeET4_jRbjT5_S1A_jjP12ihipStream_tbEUljE_EEESV_SW_SX_S14_S18_S1A_T6_T7_T9_mT8_S1C_bDpT10_ENKUlT_T0_E_clISt17integral_constantIbLb1EES1O_IbLb0EEEEDaS1K_S1L_EUlS1K_E_NS1_11comp_targetILNS1_3genE5ELNS1_11target_archE942ELNS1_3gpuE9ELNS1_3repE0EEENS1_30default_config_static_selectorELNS0_4arch9wavefront6targetE0EEEvSY_.num_vgpr, 0
	.set _ZN7rocprim17ROCPRIM_400000_NS6detail17trampoline_kernelINS0_13select_configILj256ELj13ELNS0_17block_load_methodE3ELS4_3ELS4_3ELNS0_20block_scan_algorithmE0ELj4294967295EEENS1_25partition_config_selectorILNS1_17partition_subalgoE3EjNS0_10empty_typeEbEEZZNS1_14partition_implILS8_3ELb0ES6_jNS0_17counting_iteratorIjlEEPS9_SE_NS0_5tupleIJPjSE_EEENSF_IJSE_SE_EEES9_SG_JZNS1_25segmented_radix_sort_implINS0_14default_configELb1EPKbPbPKlPlN2at6native12_GLOBAL__N_18offset_tEEE10hipError_tPvRmT1_PNSt15iterator_traitsISY_E10value_typeET2_T3_PNSZ_IS14_E10value_typeET4_jRbjT5_S1A_jjP12ihipStream_tbEUljE_EEESV_SW_SX_S14_S18_S1A_T6_T7_T9_mT8_S1C_bDpT10_ENKUlT_T0_E_clISt17integral_constantIbLb1EES1O_IbLb0EEEEDaS1K_S1L_EUlS1K_E_NS1_11comp_targetILNS1_3genE5ELNS1_11target_archE942ELNS1_3gpuE9ELNS1_3repE0EEENS1_30default_config_static_selectorELNS0_4arch9wavefront6targetE0EEEvSY_.num_agpr, 0
	.set _ZN7rocprim17ROCPRIM_400000_NS6detail17trampoline_kernelINS0_13select_configILj256ELj13ELNS0_17block_load_methodE3ELS4_3ELS4_3ELNS0_20block_scan_algorithmE0ELj4294967295EEENS1_25partition_config_selectorILNS1_17partition_subalgoE3EjNS0_10empty_typeEbEEZZNS1_14partition_implILS8_3ELb0ES6_jNS0_17counting_iteratorIjlEEPS9_SE_NS0_5tupleIJPjSE_EEENSF_IJSE_SE_EEES9_SG_JZNS1_25segmented_radix_sort_implINS0_14default_configELb1EPKbPbPKlPlN2at6native12_GLOBAL__N_18offset_tEEE10hipError_tPvRmT1_PNSt15iterator_traitsISY_E10value_typeET2_T3_PNSZ_IS14_E10value_typeET4_jRbjT5_S1A_jjP12ihipStream_tbEUljE_EEESV_SW_SX_S14_S18_S1A_T6_T7_T9_mT8_S1C_bDpT10_ENKUlT_T0_E_clISt17integral_constantIbLb1EES1O_IbLb0EEEEDaS1K_S1L_EUlS1K_E_NS1_11comp_targetILNS1_3genE5ELNS1_11target_archE942ELNS1_3gpuE9ELNS1_3repE0EEENS1_30default_config_static_selectorELNS0_4arch9wavefront6targetE0EEEvSY_.numbered_sgpr, 0
	.set _ZN7rocprim17ROCPRIM_400000_NS6detail17trampoline_kernelINS0_13select_configILj256ELj13ELNS0_17block_load_methodE3ELS4_3ELS4_3ELNS0_20block_scan_algorithmE0ELj4294967295EEENS1_25partition_config_selectorILNS1_17partition_subalgoE3EjNS0_10empty_typeEbEEZZNS1_14partition_implILS8_3ELb0ES6_jNS0_17counting_iteratorIjlEEPS9_SE_NS0_5tupleIJPjSE_EEENSF_IJSE_SE_EEES9_SG_JZNS1_25segmented_radix_sort_implINS0_14default_configELb1EPKbPbPKlPlN2at6native12_GLOBAL__N_18offset_tEEE10hipError_tPvRmT1_PNSt15iterator_traitsISY_E10value_typeET2_T3_PNSZ_IS14_E10value_typeET4_jRbjT5_S1A_jjP12ihipStream_tbEUljE_EEESV_SW_SX_S14_S18_S1A_T6_T7_T9_mT8_S1C_bDpT10_ENKUlT_T0_E_clISt17integral_constantIbLb1EES1O_IbLb0EEEEDaS1K_S1L_EUlS1K_E_NS1_11comp_targetILNS1_3genE5ELNS1_11target_archE942ELNS1_3gpuE9ELNS1_3repE0EEENS1_30default_config_static_selectorELNS0_4arch9wavefront6targetE0EEEvSY_.num_named_barrier, 0
	.set _ZN7rocprim17ROCPRIM_400000_NS6detail17trampoline_kernelINS0_13select_configILj256ELj13ELNS0_17block_load_methodE3ELS4_3ELS4_3ELNS0_20block_scan_algorithmE0ELj4294967295EEENS1_25partition_config_selectorILNS1_17partition_subalgoE3EjNS0_10empty_typeEbEEZZNS1_14partition_implILS8_3ELb0ES6_jNS0_17counting_iteratorIjlEEPS9_SE_NS0_5tupleIJPjSE_EEENSF_IJSE_SE_EEES9_SG_JZNS1_25segmented_radix_sort_implINS0_14default_configELb1EPKbPbPKlPlN2at6native12_GLOBAL__N_18offset_tEEE10hipError_tPvRmT1_PNSt15iterator_traitsISY_E10value_typeET2_T3_PNSZ_IS14_E10value_typeET4_jRbjT5_S1A_jjP12ihipStream_tbEUljE_EEESV_SW_SX_S14_S18_S1A_T6_T7_T9_mT8_S1C_bDpT10_ENKUlT_T0_E_clISt17integral_constantIbLb1EES1O_IbLb0EEEEDaS1K_S1L_EUlS1K_E_NS1_11comp_targetILNS1_3genE5ELNS1_11target_archE942ELNS1_3gpuE9ELNS1_3repE0EEENS1_30default_config_static_selectorELNS0_4arch9wavefront6targetE0EEEvSY_.private_seg_size, 0
	.set _ZN7rocprim17ROCPRIM_400000_NS6detail17trampoline_kernelINS0_13select_configILj256ELj13ELNS0_17block_load_methodE3ELS4_3ELS4_3ELNS0_20block_scan_algorithmE0ELj4294967295EEENS1_25partition_config_selectorILNS1_17partition_subalgoE3EjNS0_10empty_typeEbEEZZNS1_14partition_implILS8_3ELb0ES6_jNS0_17counting_iteratorIjlEEPS9_SE_NS0_5tupleIJPjSE_EEENSF_IJSE_SE_EEES9_SG_JZNS1_25segmented_radix_sort_implINS0_14default_configELb1EPKbPbPKlPlN2at6native12_GLOBAL__N_18offset_tEEE10hipError_tPvRmT1_PNSt15iterator_traitsISY_E10value_typeET2_T3_PNSZ_IS14_E10value_typeET4_jRbjT5_S1A_jjP12ihipStream_tbEUljE_EEESV_SW_SX_S14_S18_S1A_T6_T7_T9_mT8_S1C_bDpT10_ENKUlT_T0_E_clISt17integral_constantIbLb1EES1O_IbLb0EEEEDaS1K_S1L_EUlS1K_E_NS1_11comp_targetILNS1_3genE5ELNS1_11target_archE942ELNS1_3gpuE9ELNS1_3repE0EEENS1_30default_config_static_selectorELNS0_4arch9wavefront6targetE0EEEvSY_.uses_vcc, 0
	.set _ZN7rocprim17ROCPRIM_400000_NS6detail17trampoline_kernelINS0_13select_configILj256ELj13ELNS0_17block_load_methodE3ELS4_3ELS4_3ELNS0_20block_scan_algorithmE0ELj4294967295EEENS1_25partition_config_selectorILNS1_17partition_subalgoE3EjNS0_10empty_typeEbEEZZNS1_14partition_implILS8_3ELb0ES6_jNS0_17counting_iteratorIjlEEPS9_SE_NS0_5tupleIJPjSE_EEENSF_IJSE_SE_EEES9_SG_JZNS1_25segmented_radix_sort_implINS0_14default_configELb1EPKbPbPKlPlN2at6native12_GLOBAL__N_18offset_tEEE10hipError_tPvRmT1_PNSt15iterator_traitsISY_E10value_typeET2_T3_PNSZ_IS14_E10value_typeET4_jRbjT5_S1A_jjP12ihipStream_tbEUljE_EEESV_SW_SX_S14_S18_S1A_T6_T7_T9_mT8_S1C_bDpT10_ENKUlT_T0_E_clISt17integral_constantIbLb1EES1O_IbLb0EEEEDaS1K_S1L_EUlS1K_E_NS1_11comp_targetILNS1_3genE5ELNS1_11target_archE942ELNS1_3gpuE9ELNS1_3repE0EEENS1_30default_config_static_selectorELNS0_4arch9wavefront6targetE0EEEvSY_.uses_flat_scratch, 0
	.set _ZN7rocprim17ROCPRIM_400000_NS6detail17trampoline_kernelINS0_13select_configILj256ELj13ELNS0_17block_load_methodE3ELS4_3ELS4_3ELNS0_20block_scan_algorithmE0ELj4294967295EEENS1_25partition_config_selectorILNS1_17partition_subalgoE3EjNS0_10empty_typeEbEEZZNS1_14partition_implILS8_3ELb0ES6_jNS0_17counting_iteratorIjlEEPS9_SE_NS0_5tupleIJPjSE_EEENSF_IJSE_SE_EEES9_SG_JZNS1_25segmented_radix_sort_implINS0_14default_configELb1EPKbPbPKlPlN2at6native12_GLOBAL__N_18offset_tEEE10hipError_tPvRmT1_PNSt15iterator_traitsISY_E10value_typeET2_T3_PNSZ_IS14_E10value_typeET4_jRbjT5_S1A_jjP12ihipStream_tbEUljE_EEESV_SW_SX_S14_S18_S1A_T6_T7_T9_mT8_S1C_bDpT10_ENKUlT_T0_E_clISt17integral_constantIbLb1EES1O_IbLb0EEEEDaS1K_S1L_EUlS1K_E_NS1_11comp_targetILNS1_3genE5ELNS1_11target_archE942ELNS1_3gpuE9ELNS1_3repE0EEENS1_30default_config_static_selectorELNS0_4arch9wavefront6targetE0EEEvSY_.has_dyn_sized_stack, 0
	.set _ZN7rocprim17ROCPRIM_400000_NS6detail17trampoline_kernelINS0_13select_configILj256ELj13ELNS0_17block_load_methodE3ELS4_3ELS4_3ELNS0_20block_scan_algorithmE0ELj4294967295EEENS1_25partition_config_selectorILNS1_17partition_subalgoE3EjNS0_10empty_typeEbEEZZNS1_14partition_implILS8_3ELb0ES6_jNS0_17counting_iteratorIjlEEPS9_SE_NS0_5tupleIJPjSE_EEENSF_IJSE_SE_EEES9_SG_JZNS1_25segmented_radix_sort_implINS0_14default_configELb1EPKbPbPKlPlN2at6native12_GLOBAL__N_18offset_tEEE10hipError_tPvRmT1_PNSt15iterator_traitsISY_E10value_typeET2_T3_PNSZ_IS14_E10value_typeET4_jRbjT5_S1A_jjP12ihipStream_tbEUljE_EEESV_SW_SX_S14_S18_S1A_T6_T7_T9_mT8_S1C_bDpT10_ENKUlT_T0_E_clISt17integral_constantIbLb1EES1O_IbLb0EEEEDaS1K_S1L_EUlS1K_E_NS1_11comp_targetILNS1_3genE5ELNS1_11target_archE942ELNS1_3gpuE9ELNS1_3repE0EEENS1_30default_config_static_selectorELNS0_4arch9wavefront6targetE0EEEvSY_.has_recursion, 0
	.set _ZN7rocprim17ROCPRIM_400000_NS6detail17trampoline_kernelINS0_13select_configILj256ELj13ELNS0_17block_load_methodE3ELS4_3ELS4_3ELNS0_20block_scan_algorithmE0ELj4294967295EEENS1_25partition_config_selectorILNS1_17partition_subalgoE3EjNS0_10empty_typeEbEEZZNS1_14partition_implILS8_3ELb0ES6_jNS0_17counting_iteratorIjlEEPS9_SE_NS0_5tupleIJPjSE_EEENSF_IJSE_SE_EEES9_SG_JZNS1_25segmented_radix_sort_implINS0_14default_configELb1EPKbPbPKlPlN2at6native12_GLOBAL__N_18offset_tEEE10hipError_tPvRmT1_PNSt15iterator_traitsISY_E10value_typeET2_T3_PNSZ_IS14_E10value_typeET4_jRbjT5_S1A_jjP12ihipStream_tbEUljE_EEESV_SW_SX_S14_S18_S1A_T6_T7_T9_mT8_S1C_bDpT10_ENKUlT_T0_E_clISt17integral_constantIbLb1EES1O_IbLb0EEEEDaS1K_S1L_EUlS1K_E_NS1_11comp_targetILNS1_3genE5ELNS1_11target_archE942ELNS1_3gpuE9ELNS1_3repE0EEENS1_30default_config_static_selectorELNS0_4arch9wavefront6targetE0EEEvSY_.has_indirect_call, 0
	.section	.AMDGPU.csdata,"",@progbits
; Kernel info:
; codeLenInByte = 0
; TotalNumSgprs: 0
; NumVgprs: 0
; ScratchSize: 0
; MemoryBound: 0
; FloatMode: 240
; IeeeMode: 1
; LDSByteSize: 0 bytes/workgroup (compile time only)
; SGPRBlocks: 0
; VGPRBlocks: 0
; NumSGPRsForWavesPerEU: 1
; NumVGPRsForWavesPerEU: 1
; Occupancy: 16
; WaveLimiterHint : 0
; COMPUTE_PGM_RSRC2:SCRATCH_EN: 0
; COMPUTE_PGM_RSRC2:USER_SGPR: 2
; COMPUTE_PGM_RSRC2:TRAP_HANDLER: 0
; COMPUTE_PGM_RSRC2:TGID_X_EN: 1
; COMPUTE_PGM_RSRC2:TGID_Y_EN: 0
; COMPUTE_PGM_RSRC2:TGID_Z_EN: 0
; COMPUTE_PGM_RSRC2:TIDIG_COMP_CNT: 0
	.section	.text._ZN7rocprim17ROCPRIM_400000_NS6detail17trampoline_kernelINS0_13select_configILj256ELj13ELNS0_17block_load_methodE3ELS4_3ELS4_3ELNS0_20block_scan_algorithmE0ELj4294967295EEENS1_25partition_config_selectorILNS1_17partition_subalgoE3EjNS0_10empty_typeEbEEZZNS1_14partition_implILS8_3ELb0ES6_jNS0_17counting_iteratorIjlEEPS9_SE_NS0_5tupleIJPjSE_EEENSF_IJSE_SE_EEES9_SG_JZNS1_25segmented_radix_sort_implINS0_14default_configELb1EPKbPbPKlPlN2at6native12_GLOBAL__N_18offset_tEEE10hipError_tPvRmT1_PNSt15iterator_traitsISY_E10value_typeET2_T3_PNSZ_IS14_E10value_typeET4_jRbjT5_S1A_jjP12ihipStream_tbEUljE_EEESV_SW_SX_S14_S18_S1A_T6_T7_T9_mT8_S1C_bDpT10_ENKUlT_T0_E_clISt17integral_constantIbLb1EES1O_IbLb0EEEEDaS1K_S1L_EUlS1K_E_NS1_11comp_targetILNS1_3genE4ELNS1_11target_archE910ELNS1_3gpuE8ELNS1_3repE0EEENS1_30default_config_static_selectorELNS0_4arch9wavefront6targetE0EEEvSY_,"axG",@progbits,_ZN7rocprim17ROCPRIM_400000_NS6detail17trampoline_kernelINS0_13select_configILj256ELj13ELNS0_17block_load_methodE3ELS4_3ELS4_3ELNS0_20block_scan_algorithmE0ELj4294967295EEENS1_25partition_config_selectorILNS1_17partition_subalgoE3EjNS0_10empty_typeEbEEZZNS1_14partition_implILS8_3ELb0ES6_jNS0_17counting_iteratorIjlEEPS9_SE_NS0_5tupleIJPjSE_EEENSF_IJSE_SE_EEES9_SG_JZNS1_25segmented_radix_sort_implINS0_14default_configELb1EPKbPbPKlPlN2at6native12_GLOBAL__N_18offset_tEEE10hipError_tPvRmT1_PNSt15iterator_traitsISY_E10value_typeET2_T3_PNSZ_IS14_E10value_typeET4_jRbjT5_S1A_jjP12ihipStream_tbEUljE_EEESV_SW_SX_S14_S18_S1A_T6_T7_T9_mT8_S1C_bDpT10_ENKUlT_T0_E_clISt17integral_constantIbLb1EES1O_IbLb0EEEEDaS1K_S1L_EUlS1K_E_NS1_11comp_targetILNS1_3genE4ELNS1_11target_archE910ELNS1_3gpuE8ELNS1_3repE0EEENS1_30default_config_static_selectorELNS0_4arch9wavefront6targetE0EEEvSY_,comdat
	.globl	_ZN7rocprim17ROCPRIM_400000_NS6detail17trampoline_kernelINS0_13select_configILj256ELj13ELNS0_17block_load_methodE3ELS4_3ELS4_3ELNS0_20block_scan_algorithmE0ELj4294967295EEENS1_25partition_config_selectorILNS1_17partition_subalgoE3EjNS0_10empty_typeEbEEZZNS1_14partition_implILS8_3ELb0ES6_jNS0_17counting_iteratorIjlEEPS9_SE_NS0_5tupleIJPjSE_EEENSF_IJSE_SE_EEES9_SG_JZNS1_25segmented_radix_sort_implINS0_14default_configELb1EPKbPbPKlPlN2at6native12_GLOBAL__N_18offset_tEEE10hipError_tPvRmT1_PNSt15iterator_traitsISY_E10value_typeET2_T3_PNSZ_IS14_E10value_typeET4_jRbjT5_S1A_jjP12ihipStream_tbEUljE_EEESV_SW_SX_S14_S18_S1A_T6_T7_T9_mT8_S1C_bDpT10_ENKUlT_T0_E_clISt17integral_constantIbLb1EES1O_IbLb0EEEEDaS1K_S1L_EUlS1K_E_NS1_11comp_targetILNS1_3genE4ELNS1_11target_archE910ELNS1_3gpuE8ELNS1_3repE0EEENS1_30default_config_static_selectorELNS0_4arch9wavefront6targetE0EEEvSY_ ; -- Begin function _ZN7rocprim17ROCPRIM_400000_NS6detail17trampoline_kernelINS0_13select_configILj256ELj13ELNS0_17block_load_methodE3ELS4_3ELS4_3ELNS0_20block_scan_algorithmE0ELj4294967295EEENS1_25partition_config_selectorILNS1_17partition_subalgoE3EjNS0_10empty_typeEbEEZZNS1_14partition_implILS8_3ELb0ES6_jNS0_17counting_iteratorIjlEEPS9_SE_NS0_5tupleIJPjSE_EEENSF_IJSE_SE_EEES9_SG_JZNS1_25segmented_radix_sort_implINS0_14default_configELb1EPKbPbPKlPlN2at6native12_GLOBAL__N_18offset_tEEE10hipError_tPvRmT1_PNSt15iterator_traitsISY_E10value_typeET2_T3_PNSZ_IS14_E10value_typeET4_jRbjT5_S1A_jjP12ihipStream_tbEUljE_EEESV_SW_SX_S14_S18_S1A_T6_T7_T9_mT8_S1C_bDpT10_ENKUlT_T0_E_clISt17integral_constantIbLb1EES1O_IbLb0EEEEDaS1K_S1L_EUlS1K_E_NS1_11comp_targetILNS1_3genE4ELNS1_11target_archE910ELNS1_3gpuE8ELNS1_3repE0EEENS1_30default_config_static_selectorELNS0_4arch9wavefront6targetE0EEEvSY_
	.p2align	8
	.type	_ZN7rocprim17ROCPRIM_400000_NS6detail17trampoline_kernelINS0_13select_configILj256ELj13ELNS0_17block_load_methodE3ELS4_3ELS4_3ELNS0_20block_scan_algorithmE0ELj4294967295EEENS1_25partition_config_selectorILNS1_17partition_subalgoE3EjNS0_10empty_typeEbEEZZNS1_14partition_implILS8_3ELb0ES6_jNS0_17counting_iteratorIjlEEPS9_SE_NS0_5tupleIJPjSE_EEENSF_IJSE_SE_EEES9_SG_JZNS1_25segmented_radix_sort_implINS0_14default_configELb1EPKbPbPKlPlN2at6native12_GLOBAL__N_18offset_tEEE10hipError_tPvRmT1_PNSt15iterator_traitsISY_E10value_typeET2_T3_PNSZ_IS14_E10value_typeET4_jRbjT5_S1A_jjP12ihipStream_tbEUljE_EEESV_SW_SX_S14_S18_S1A_T6_T7_T9_mT8_S1C_bDpT10_ENKUlT_T0_E_clISt17integral_constantIbLb1EES1O_IbLb0EEEEDaS1K_S1L_EUlS1K_E_NS1_11comp_targetILNS1_3genE4ELNS1_11target_archE910ELNS1_3gpuE8ELNS1_3repE0EEENS1_30default_config_static_selectorELNS0_4arch9wavefront6targetE0EEEvSY_,@function
_ZN7rocprim17ROCPRIM_400000_NS6detail17trampoline_kernelINS0_13select_configILj256ELj13ELNS0_17block_load_methodE3ELS4_3ELS4_3ELNS0_20block_scan_algorithmE0ELj4294967295EEENS1_25partition_config_selectorILNS1_17partition_subalgoE3EjNS0_10empty_typeEbEEZZNS1_14partition_implILS8_3ELb0ES6_jNS0_17counting_iteratorIjlEEPS9_SE_NS0_5tupleIJPjSE_EEENSF_IJSE_SE_EEES9_SG_JZNS1_25segmented_radix_sort_implINS0_14default_configELb1EPKbPbPKlPlN2at6native12_GLOBAL__N_18offset_tEEE10hipError_tPvRmT1_PNSt15iterator_traitsISY_E10value_typeET2_T3_PNSZ_IS14_E10value_typeET4_jRbjT5_S1A_jjP12ihipStream_tbEUljE_EEESV_SW_SX_S14_S18_S1A_T6_T7_T9_mT8_S1C_bDpT10_ENKUlT_T0_E_clISt17integral_constantIbLb1EES1O_IbLb0EEEEDaS1K_S1L_EUlS1K_E_NS1_11comp_targetILNS1_3genE4ELNS1_11target_archE910ELNS1_3gpuE8ELNS1_3repE0EEENS1_30default_config_static_selectorELNS0_4arch9wavefront6targetE0EEEvSY_: ; @_ZN7rocprim17ROCPRIM_400000_NS6detail17trampoline_kernelINS0_13select_configILj256ELj13ELNS0_17block_load_methodE3ELS4_3ELS4_3ELNS0_20block_scan_algorithmE0ELj4294967295EEENS1_25partition_config_selectorILNS1_17partition_subalgoE3EjNS0_10empty_typeEbEEZZNS1_14partition_implILS8_3ELb0ES6_jNS0_17counting_iteratorIjlEEPS9_SE_NS0_5tupleIJPjSE_EEENSF_IJSE_SE_EEES9_SG_JZNS1_25segmented_radix_sort_implINS0_14default_configELb1EPKbPbPKlPlN2at6native12_GLOBAL__N_18offset_tEEE10hipError_tPvRmT1_PNSt15iterator_traitsISY_E10value_typeET2_T3_PNSZ_IS14_E10value_typeET4_jRbjT5_S1A_jjP12ihipStream_tbEUljE_EEESV_SW_SX_S14_S18_S1A_T6_T7_T9_mT8_S1C_bDpT10_ENKUlT_T0_E_clISt17integral_constantIbLb1EES1O_IbLb0EEEEDaS1K_S1L_EUlS1K_E_NS1_11comp_targetILNS1_3genE4ELNS1_11target_archE910ELNS1_3gpuE8ELNS1_3repE0EEENS1_30default_config_static_selectorELNS0_4arch9wavefront6targetE0EEEvSY_
; %bb.0:
	.section	.rodata,"a",@progbits
	.p2align	6, 0x0
	.amdhsa_kernel _ZN7rocprim17ROCPRIM_400000_NS6detail17trampoline_kernelINS0_13select_configILj256ELj13ELNS0_17block_load_methodE3ELS4_3ELS4_3ELNS0_20block_scan_algorithmE0ELj4294967295EEENS1_25partition_config_selectorILNS1_17partition_subalgoE3EjNS0_10empty_typeEbEEZZNS1_14partition_implILS8_3ELb0ES6_jNS0_17counting_iteratorIjlEEPS9_SE_NS0_5tupleIJPjSE_EEENSF_IJSE_SE_EEES9_SG_JZNS1_25segmented_radix_sort_implINS0_14default_configELb1EPKbPbPKlPlN2at6native12_GLOBAL__N_18offset_tEEE10hipError_tPvRmT1_PNSt15iterator_traitsISY_E10value_typeET2_T3_PNSZ_IS14_E10value_typeET4_jRbjT5_S1A_jjP12ihipStream_tbEUljE_EEESV_SW_SX_S14_S18_S1A_T6_T7_T9_mT8_S1C_bDpT10_ENKUlT_T0_E_clISt17integral_constantIbLb1EES1O_IbLb0EEEEDaS1K_S1L_EUlS1K_E_NS1_11comp_targetILNS1_3genE4ELNS1_11target_archE910ELNS1_3gpuE8ELNS1_3repE0EEENS1_30default_config_static_selectorELNS0_4arch9wavefront6targetE0EEEvSY_
		.amdhsa_group_segment_fixed_size 0
		.amdhsa_private_segment_fixed_size 0
		.amdhsa_kernarg_size 144
		.amdhsa_user_sgpr_count 2
		.amdhsa_user_sgpr_dispatch_ptr 0
		.amdhsa_user_sgpr_queue_ptr 0
		.amdhsa_user_sgpr_kernarg_segment_ptr 1
		.amdhsa_user_sgpr_dispatch_id 0
		.amdhsa_user_sgpr_private_segment_size 0
		.amdhsa_wavefront_size32 1
		.amdhsa_uses_dynamic_stack 0
		.amdhsa_enable_private_segment 0
		.amdhsa_system_sgpr_workgroup_id_x 1
		.amdhsa_system_sgpr_workgroup_id_y 0
		.amdhsa_system_sgpr_workgroup_id_z 0
		.amdhsa_system_sgpr_workgroup_info 0
		.amdhsa_system_vgpr_workitem_id 0
		.amdhsa_next_free_vgpr 1
		.amdhsa_next_free_sgpr 1
		.amdhsa_reserve_vcc 0
		.amdhsa_float_round_mode_32 0
		.amdhsa_float_round_mode_16_64 0
		.amdhsa_float_denorm_mode_32 3
		.amdhsa_float_denorm_mode_16_64 3
		.amdhsa_fp16_overflow 0
		.amdhsa_workgroup_processor_mode 1
		.amdhsa_memory_ordered 1
		.amdhsa_forward_progress 1
		.amdhsa_inst_pref_size 0
		.amdhsa_round_robin_scheduling 0
		.amdhsa_exception_fp_ieee_invalid_op 0
		.amdhsa_exception_fp_denorm_src 0
		.amdhsa_exception_fp_ieee_div_zero 0
		.amdhsa_exception_fp_ieee_overflow 0
		.amdhsa_exception_fp_ieee_underflow 0
		.amdhsa_exception_fp_ieee_inexact 0
		.amdhsa_exception_int_div_zero 0
	.end_amdhsa_kernel
	.section	.text._ZN7rocprim17ROCPRIM_400000_NS6detail17trampoline_kernelINS0_13select_configILj256ELj13ELNS0_17block_load_methodE3ELS4_3ELS4_3ELNS0_20block_scan_algorithmE0ELj4294967295EEENS1_25partition_config_selectorILNS1_17partition_subalgoE3EjNS0_10empty_typeEbEEZZNS1_14partition_implILS8_3ELb0ES6_jNS0_17counting_iteratorIjlEEPS9_SE_NS0_5tupleIJPjSE_EEENSF_IJSE_SE_EEES9_SG_JZNS1_25segmented_radix_sort_implINS0_14default_configELb1EPKbPbPKlPlN2at6native12_GLOBAL__N_18offset_tEEE10hipError_tPvRmT1_PNSt15iterator_traitsISY_E10value_typeET2_T3_PNSZ_IS14_E10value_typeET4_jRbjT5_S1A_jjP12ihipStream_tbEUljE_EEESV_SW_SX_S14_S18_S1A_T6_T7_T9_mT8_S1C_bDpT10_ENKUlT_T0_E_clISt17integral_constantIbLb1EES1O_IbLb0EEEEDaS1K_S1L_EUlS1K_E_NS1_11comp_targetILNS1_3genE4ELNS1_11target_archE910ELNS1_3gpuE8ELNS1_3repE0EEENS1_30default_config_static_selectorELNS0_4arch9wavefront6targetE0EEEvSY_,"axG",@progbits,_ZN7rocprim17ROCPRIM_400000_NS6detail17trampoline_kernelINS0_13select_configILj256ELj13ELNS0_17block_load_methodE3ELS4_3ELS4_3ELNS0_20block_scan_algorithmE0ELj4294967295EEENS1_25partition_config_selectorILNS1_17partition_subalgoE3EjNS0_10empty_typeEbEEZZNS1_14partition_implILS8_3ELb0ES6_jNS0_17counting_iteratorIjlEEPS9_SE_NS0_5tupleIJPjSE_EEENSF_IJSE_SE_EEES9_SG_JZNS1_25segmented_radix_sort_implINS0_14default_configELb1EPKbPbPKlPlN2at6native12_GLOBAL__N_18offset_tEEE10hipError_tPvRmT1_PNSt15iterator_traitsISY_E10value_typeET2_T3_PNSZ_IS14_E10value_typeET4_jRbjT5_S1A_jjP12ihipStream_tbEUljE_EEESV_SW_SX_S14_S18_S1A_T6_T7_T9_mT8_S1C_bDpT10_ENKUlT_T0_E_clISt17integral_constantIbLb1EES1O_IbLb0EEEEDaS1K_S1L_EUlS1K_E_NS1_11comp_targetILNS1_3genE4ELNS1_11target_archE910ELNS1_3gpuE8ELNS1_3repE0EEENS1_30default_config_static_selectorELNS0_4arch9wavefront6targetE0EEEvSY_,comdat
.Lfunc_end1518:
	.size	_ZN7rocprim17ROCPRIM_400000_NS6detail17trampoline_kernelINS0_13select_configILj256ELj13ELNS0_17block_load_methodE3ELS4_3ELS4_3ELNS0_20block_scan_algorithmE0ELj4294967295EEENS1_25partition_config_selectorILNS1_17partition_subalgoE3EjNS0_10empty_typeEbEEZZNS1_14partition_implILS8_3ELb0ES6_jNS0_17counting_iteratorIjlEEPS9_SE_NS0_5tupleIJPjSE_EEENSF_IJSE_SE_EEES9_SG_JZNS1_25segmented_radix_sort_implINS0_14default_configELb1EPKbPbPKlPlN2at6native12_GLOBAL__N_18offset_tEEE10hipError_tPvRmT1_PNSt15iterator_traitsISY_E10value_typeET2_T3_PNSZ_IS14_E10value_typeET4_jRbjT5_S1A_jjP12ihipStream_tbEUljE_EEESV_SW_SX_S14_S18_S1A_T6_T7_T9_mT8_S1C_bDpT10_ENKUlT_T0_E_clISt17integral_constantIbLb1EES1O_IbLb0EEEEDaS1K_S1L_EUlS1K_E_NS1_11comp_targetILNS1_3genE4ELNS1_11target_archE910ELNS1_3gpuE8ELNS1_3repE0EEENS1_30default_config_static_selectorELNS0_4arch9wavefront6targetE0EEEvSY_, .Lfunc_end1518-_ZN7rocprim17ROCPRIM_400000_NS6detail17trampoline_kernelINS0_13select_configILj256ELj13ELNS0_17block_load_methodE3ELS4_3ELS4_3ELNS0_20block_scan_algorithmE0ELj4294967295EEENS1_25partition_config_selectorILNS1_17partition_subalgoE3EjNS0_10empty_typeEbEEZZNS1_14partition_implILS8_3ELb0ES6_jNS0_17counting_iteratorIjlEEPS9_SE_NS0_5tupleIJPjSE_EEENSF_IJSE_SE_EEES9_SG_JZNS1_25segmented_radix_sort_implINS0_14default_configELb1EPKbPbPKlPlN2at6native12_GLOBAL__N_18offset_tEEE10hipError_tPvRmT1_PNSt15iterator_traitsISY_E10value_typeET2_T3_PNSZ_IS14_E10value_typeET4_jRbjT5_S1A_jjP12ihipStream_tbEUljE_EEESV_SW_SX_S14_S18_S1A_T6_T7_T9_mT8_S1C_bDpT10_ENKUlT_T0_E_clISt17integral_constantIbLb1EES1O_IbLb0EEEEDaS1K_S1L_EUlS1K_E_NS1_11comp_targetILNS1_3genE4ELNS1_11target_archE910ELNS1_3gpuE8ELNS1_3repE0EEENS1_30default_config_static_selectorELNS0_4arch9wavefront6targetE0EEEvSY_
                                        ; -- End function
	.set _ZN7rocprim17ROCPRIM_400000_NS6detail17trampoline_kernelINS0_13select_configILj256ELj13ELNS0_17block_load_methodE3ELS4_3ELS4_3ELNS0_20block_scan_algorithmE0ELj4294967295EEENS1_25partition_config_selectorILNS1_17partition_subalgoE3EjNS0_10empty_typeEbEEZZNS1_14partition_implILS8_3ELb0ES6_jNS0_17counting_iteratorIjlEEPS9_SE_NS0_5tupleIJPjSE_EEENSF_IJSE_SE_EEES9_SG_JZNS1_25segmented_radix_sort_implINS0_14default_configELb1EPKbPbPKlPlN2at6native12_GLOBAL__N_18offset_tEEE10hipError_tPvRmT1_PNSt15iterator_traitsISY_E10value_typeET2_T3_PNSZ_IS14_E10value_typeET4_jRbjT5_S1A_jjP12ihipStream_tbEUljE_EEESV_SW_SX_S14_S18_S1A_T6_T7_T9_mT8_S1C_bDpT10_ENKUlT_T0_E_clISt17integral_constantIbLb1EES1O_IbLb0EEEEDaS1K_S1L_EUlS1K_E_NS1_11comp_targetILNS1_3genE4ELNS1_11target_archE910ELNS1_3gpuE8ELNS1_3repE0EEENS1_30default_config_static_selectorELNS0_4arch9wavefront6targetE0EEEvSY_.num_vgpr, 0
	.set _ZN7rocprim17ROCPRIM_400000_NS6detail17trampoline_kernelINS0_13select_configILj256ELj13ELNS0_17block_load_methodE3ELS4_3ELS4_3ELNS0_20block_scan_algorithmE0ELj4294967295EEENS1_25partition_config_selectorILNS1_17partition_subalgoE3EjNS0_10empty_typeEbEEZZNS1_14partition_implILS8_3ELb0ES6_jNS0_17counting_iteratorIjlEEPS9_SE_NS0_5tupleIJPjSE_EEENSF_IJSE_SE_EEES9_SG_JZNS1_25segmented_radix_sort_implINS0_14default_configELb1EPKbPbPKlPlN2at6native12_GLOBAL__N_18offset_tEEE10hipError_tPvRmT1_PNSt15iterator_traitsISY_E10value_typeET2_T3_PNSZ_IS14_E10value_typeET4_jRbjT5_S1A_jjP12ihipStream_tbEUljE_EEESV_SW_SX_S14_S18_S1A_T6_T7_T9_mT8_S1C_bDpT10_ENKUlT_T0_E_clISt17integral_constantIbLb1EES1O_IbLb0EEEEDaS1K_S1L_EUlS1K_E_NS1_11comp_targetILNS1_3genE4ELNS1_11target_archE910ELNS1_3gpuE8ELNS1_3repE0EEENS1_30default_config_static_selectorELNS0_4arch9wavefront6targetE0EEEvSY_.num_agpr, 0
	.set _ZN7rocprim17ROCPRIM_400000_NS6detail17trampoline_kernelINS0_13select_configILj256ELj13ELNS0_17block_load_methodE3ELS4_3ELS4_3ELNS0_20block_scan_algorithmE0ELj4294967295EEENS1_25partition_config_selectorILNS1_17partition_subalgoE3EjNS0_10empty_typeEbEEZZNS1_14partition_implILS8_3ELb0ES6_jNS0_17counting_iteratorIjlEEPS9_SE_NS0_5tupleIJPjSE_EEENSF_IJSE_SE_EEES9_SG_JZNS1_25segmented_radix_sort_implINS0_14default_configELb1EPKbPbPKlPlN2at6native12_GLOBAL__N_18offset_tEEE10hipError_tPvRmT1_PNSt15iterator_traitsISY_E10value_typeET2_T3_PNSZ_IS14_E10value_typeET4_jRbjT5_S1A_jjP12ihipStream_tbEUljE_EEESV_SW_SX_S14_S18_S1A_T6_T7_T9_mT8_S1C_bDpT10_ENKUlT_T0_E_clISt17integral_constantIbLb1EES1O_IbLb0EEEEDaS1K_S1L_EUlS1K_E_NS1_11comp_targetILNS1_3genE4ELNS1_11target_archE910ELNS1_3gpuE8ELNS1_3repE0EEENS1_30default_config_static_selectorELNS0_4arch9wavefront6targetE0EEEvSY_.numbered_sgpr, 0
	.set _ZN7rocprim17ROCPRIM_400000_NS6detail17trampoline_kernelINS0_13select_configILj256ELj13ELNS0_17block_load_methodE3ELS4_3ELS4_3ELNS0_20block_scan_algorithmE0ELj4294967295EEENS1_25partition_config_selectorILNS1_17partition_subalgoE3EjNS0_10empty_typeEbEEZZNS1_14partition_implILS8_3ELb0ES6_jNS0_17counting_iteratorIjlEEPS9_SE_NS0_5tupleIJPjSE_EEENSF_IJSE_SE_EEES9_SG_JZNS1_25segmented_radix_sort_implINS0_14default_configELb1EPKbPbPKlPlN2at6native12_GLOBAL__N_18offset_tEEE10hipError_tPvRmT1_PNSt15iterator_traitsISY_E10value_typeET2_T3_PNSZ_IS14_E10value_typeET4_jRbjT5_S1A_jjP12ihipStream_tbEUljE_EEESV_SW_SX_S14_S18_S1A_T6_T7_T9_mT8_S1C_bDpT10_ENKUlT_T0_E_clISt17integral_constantIbLb1EES1O_IbLb0EEEEDaS1K_S1L_EUlS1K_E_NS1_11comp_targetILNS1_3genE4ELNS1_11target_archE910ELNS1_3gpuE8ELNS1_3repE0EEENS1_30default_config_static_selectorELNS0_4arch9wavefront6targetE0EEEvSY_.num_named_barrier, 0
	.set _ZN7rocprim17ROCPRIM_400000_NS6detail17trampoline_kernelINS0_13select_configILj256ELj13ELNS0_17block_load_methodE3ELS4_3ELS4_3ELNS0_20block_scan_algorithmE0ELj4294967295EEENS1_25partition_config_selectorILNS1_17partition_subalgoE3EjNS0_10empty_typeEbEEZZNS1_14partition_implILS8_3ELb0ES6_jNS0_17counting_iteratorIjlEEPS9_SE_NS0_5tupleIJPjSE_EEENSF_IJSE_SE_EEES9_SG_JZNS1_25segmented_radix_sort_implINS0_14default_configELb1EPKbPbPKlPlN2at6native12_GLOBAL__N_18offset_tEEE10hipError_tPvRmT1_PNSt15iterator_traitsISY_E10value_typeET2_T3_PNSZ_IS14_E10value_typeET4_jRbjT5_S1A_jjP12ihipStream_tbEUljE_EEESV_SW_SX_S14_S18_S1A_T6_T7_T9_mT8_S1C_bDpT10_ENKUlT_T0_E_clISt17integral_constantIbLb1EES1O_IbLb0EEEEDaS1K_S1L_EUlS1K_E_NS1_11comp_targetILNS1_3genE4ELNS1_11target_archE910ELNS1_3gpuE8ELNS1_3repE0EEENS1_30default_config_static_selectorELNS0_4arch9wavefront6targetE0EEEvSY_.private_seg_size, 0
	.set _ZN7rocprim17ROCPRIM_400000_NS6detail17trampoline_kernelINS0_13select_configILj256ELj13ELNS0_17block_load_methodE3ELS4_3ELS4_3ELNS0_20block_scan_algorithmE0ELj4294967295EEENS1_25partition_config_selectorILNS1_17partition_subalgoE3EjNS0_10empty_typeEbEEZZNS1_14partition_implILS8_3ELb0ES6_jNS0_17counting_iteratorIjlEEPS9_SE_NS0_5tupleIJPjSE_EEENSF_IJSE_SE_EEES9_SG_JZNS1_25segmented_radix_sort_implINS0_14default_configELb1EPKbPbPKlPlN2at6native12_GLOBAL__N_18offset_tEEE10hipError_tPvRmT1_PNSt15iterator_traitsISY_E10value_typeET2_T3_PNSZ_IS14_E10value_typeET4_jRbjT5_S1A_jjP12ihipStream_tbEUljE_EEESV_SW_SX_S14_S18_S1A_T6_T7_T9_mT8_S1C_bDpT10_ENKUlT_T0_E_clISt17integral_constantIbLb1EES1O_IbLb0EEEEDaS1K_S1L_EUlS1K_E_NS1_11comp_targetILNS1_3genE4ELNS1_11target_archE910ELNS1_3gpuE8ELNS1_3repE0EEENS1_30default_config_static_selectorELNS0_4arch9wavefront6targetE0EEEvSY_.uses_vcc, 0
	.set _ZN7rocprim17ROCPRIM_400000_NS6detail17trampoline_kernelINS0_13select_configILj256ELj13ELNS0_17block_load_methodE3ELS4_3ELS4_3ELNS0_20block_scan_algorithmE0ELj4294967295EEENS1_25partition_config_selectorILNS1_17partition_subalgoE3EjNS0_10empty_typeEbEEZZNS1_14partition_implILS8_3ELb0ES6_jNS0_17counting_iteratorIjlEEPS9_SE_NS0_5tupleIJPjSE_EEENSF_IJSE_SE_EEES9_SG_JZNS1_25segmented_radix_sort_implINS0_14default_configELb1EPKbPbPKlPlN2at6native12_GLOBAL__N_18offset_tEEE10hipError_tPvRmT1_PNSt15iterator_traitsISY_E10value_typeET2_T3_PNSZ_IS14_E10value_typeET4_jRbjT5_S1A_jjP12ihipStream_tbEUljE_EEESV_SW_SX_S14_S18_S1A_T6_T7_T9_mT8_S1C_bDpT10_ENKUlT_T0_E_clISt17integral_constantIbLb1EES1O_IbLb0EEEEDaS1K_S1L_EUlS1K_E_NS1_11comp_targetILNS1_3genE4ELNS1_11target_archE910ELNS1_3gpuE8ELNS1_3repE0EEENS1_30default_config_static_selectorELNS0_4arch9wavefront6targetE0EEEvSY_.uses_flat_scratch, 0
	.set _ZN7rocprim17ROCPRIM_400000_NS6detail17trampoline_kernelINS0_13select_configILj256ELj13ELNS0_17block_load_methodE3ELS4_3ELS4_3ELNS0_20block_scan_algorithmE0ELj4294967295EEENS1_25partition_config_selectorILNS1_17partition_subalgoE3EjNS0_10empty_typeEbEEZZNS1_14partition_implILS8_3ELb0ES6_jNS0_17counting_iteratorIjlEEPS9_SE_NS0_5tupleIJPjSE_EEENSF_IJSE_SE_EEES9_SG_JZNS1_25segmented_radix_sort_implINS0_14default_configELb1EPKbPbPKlPlN2at6native12_GLOBAL__N_18offset_tEEE10hipError_tPvRmT1_PNSt15iterator_traitsISY_E10value_typeET2_T3_PNSZ_IS14_E10value_typeET4_jRbjT5_S1A_jjP12ihipStream_tbEUljE_EEESV_SW_SX_S14_S18_S1A_T6_T7_T9_mT8_S1C_bDpT10_ENKUlT_T0_E_clISt17integral_constantIbLb1EES1O_IbLb0EEEEDaS1K_S1L_EUlS1K_E_NS1_11comp_targetILNS1_3genE4ELNS1_11target_archE910ELNS1_3gpuE8ELNS1_3repE0EEENS1_30default_config_static_selectorELNS0_4arch9wavefront6targetE0EEEvSY_.has_dyn_sized_stack, 0
	.set _ZN7rocprim17ROCPRIM_400000_NS6detail17trampoline_kernelINS0_13select_configILj256ELj13ELNS0_17block_load_methodE3ELS4_3ELS4_3ELNS0_20block_scan_algorithmE0ELj4294967295EEENS1_25partition_config_selectorILNS1_17partition_subalgoE3EjNS0_10empty_typeEbEEZZNS1_14partition_implILS8_3ELb0ES6_jNS0_17counting_iteratorIjlEEPS9_SE_NS0_5tupleIJPjSE_EEENSF_IJSE_SE_EEES9_SG_JZNS1_25segmented_radix_sort_implINS0_14default_configELb1EPKbPbPKlPlN2at6native12_GLOBAL__N_18offset_tEEE10hipError_tPvRmT1_PNSt15iterator_traitsISY_E10value_typeET2_T3_PNSZ_IS14_E10value_typeET4_jRbjT5_S1A_jjP12ihipStream_tbEUljE_EEESV_SW_SX_S14_S18_S1A_T6_T7_T9_mT8_S1C_bDpT10_ENKUlT_T0_E_clISt17integral_constantIbLb1EES1O_IbLb0EEEEDaS1K_S1L_EUlS1K_E_NS1_11comp_targetILNS1_3genE4ELNS1_11target_archE910ELNS1_3gpuE8ELNS1_3repE0EEENS1_30default_config_static_selectorELNS0_4arch9wavefront6targetE0EEEvSY_.has_recursion, 0
	.set _ZN7rocprim17ROCPRIM_400000_NS6detail17trampoline_kernelINS0_13select_configILj256ELj13ELNS0_17block_load_methodE3ELS4_3ELS4_3ELNS0_20block_scan_algorithmE0ELj4294967295EEENS1_25partition_config_selectorILNS1_17partition_subalgoE3EjNS0_10empty_typeEbEEZZNS1_14partition_implILS8_3ELb0ES6_jNS0_17counting_iteratorIjlEEPS9_SE_NS0_5tupleIJPjSE_EEENSF_IJSE_SE_EEES9_SG_JZNS1_25segmented_radix_sort_implINS0_14default_configELb1EPKbPbPKlPlN2at6native12_GLOBAL__N_18offset_tEEE10hipError_tPvRmT1_PNSt15iterator_traitsISY_E10value_typeET2_T3_PNSZ_IS14_E10value_typeET4_jRbjT5_S1A_jjP12ihipStream_tbEUljE_EEESV_SW_SX_S14_S18_S1A_T6_T7_T9_mT8_S1C_bDpT10_ENKUlT_T0_E_clISt17integral_constantIbLb1EES1O_IbLb0EEEEDaS1K_S1L_EUlS1K_E_NS1_11comp_targetILNS1_3genE4ELNS1_11target_archE910ELNS1_3gpuE8ELNS1_3repE0EEENS1_30default_config_static_selectorELNS0_4arch9wavefront6targetE0EEEvSY_.has_indirect_call, 0
	.section	.AMDGPU.csdata,"",@progbits
; Kernel info:
; codeLenInByte = 0
; TotalNumSgprs: 0
; NumVgprs: 0
; ScratchSize: 0
; MemoryBound: 0
; FloatMode: 240
; IeeeMode: 1
; LDSByteSize: 0 bytes/workgroup (compile time only)
; SGPRBlocks: 0
; VGPRBlocks: 0
; NumSGPRsForWavesPerEU: 1
; NumVGPRsForWavesPerEU: 1
; Occupancy: 16
; WaveLimiterHint : 0
; COMPUTE_PGM_RSRC2:SCRATCH_EN: 0
; COMPUTE_PGM_RSRC2:USER_SGPR: 2
; COMPUTE_PGM_RSRC2:TRAP_HANDLER: 0
; COMPUTE_PGM_RSRC2:TGID_X_EN: 1
; COMPUTE_PGM_RSRC2:TGID_Y_EN: 0
; COMPUTE_PGM_RSRC2:TGID_Z_EN: 0
; COMPUTE_PGM_RSRC2:TIDIG_COMP_CNT: 0
	.section	.text._ZN7rocprim17ROCPRIM_400000_NS6detail17trampoline_kernelINS0_13select_configILj256ELj13ELNS0_17block_load_methodE3ELS4_3ELS4_3ELNS0_20block_scan_algorithmE0ELj4294967295EEENS1_25partition_config_selectorILNS1_17partition_subalgoE3EjNS0_10empty_typeEbEEZZNS1_14partition_implILS8_3ELb0ES6_jNS0_17counting_iteratorIjlEEPS9_SE_NS0_5tupleIJPjSE_EEENSF_IJSE_SE_EEES9_SG_JZNS1_25segmented_radix_sort_implINS0_14default_configELb1EPKbPbPKlPlN2at6native12_GLOBAL__N_18offset_tEEE10hipError_tPvRmT1_PNSt15iterator_traitsISY_E10value_typeET2_T3_PNSZ_IS14_E10value_typeET4_jRbjT5_S1A_jjP12ihipStream_tbEUljE_EEESV_SW_SX_S14_S18_S1A_T6_T7_T9_mT8_S1C_bDpT10_ENKUlT_T0_E_clISt17integral_constantIbLb1EES1O_IbLb0EEEEDaS1K_S1L_EUlS1K_E_NS1_11comp_targetILNS1_3genE3ELNS1_11target_archE908ELNS1_3gpuE7ELNS1_3repE0EEENS1_30default_config_static_selectorELNS0_4arch9wavefront6targetE0EEEvSY_,"axG",@progbits,_ZN7rocprim17ROCPRIM_400000_NS6detail17trampoline_kernelINS0_13select_configILj256ELj13ELNS0_17block_load_methodE3ELS4_3ELS4_3ELNS0_20block_scan_algorithmE0ELj4294967295EEENS1_25partition_config_selectorILNS1_17partition_subalgoE3EjNS0_10empty_typeEbEEZZNS1_14partition_implILS8_3ELb0ES6_jNS0_17counting_iteratorIjlEEPS9_SE_NS0_5tupleIJPjSE_EEENSF_IJSE_SE_EEES9_SG_JZNS1_25segmented_radix_sort_implINS0_14default_configELb1EPKbPbPKlPlN2at6native12_GLOBAL__N_18offset_tEEE10hipError_tPvRmT1_PNSt15iterator_traitsISY_E10value_typeET2_T3_PNSZ_IS14_E10value_typeET4_jRbjT5_S1A_jjP12ihipStream_tbEUljE_EEESV_SW_SX_S14_S18_S1A_T6_T7_T9_mT8_S1C_bDpT10_ENKUlT_T0_E_clISt17integral_constantIbLb1EES1O_IbLb0EEEEDaS1K_S1L_EUlS1K_E_NS1_11comp_targetILNS1_3genE3ELNS1_11target_archE908ELNS1_3gpuE7ELNS1_3repE0EEENS1_30default_config_static_selectorELNS0_4arch9wavefront6targetE0EEEvSY_,comdat
	.globl	_ZN7rocprim17ROCPRIM_400000_NS6detail17trampoline_kernelINS0_13select_configILj256ELj13ELNS0_17block_load_methodE3ELS4_3ELS4_3ELNS0_20block_scan_algorithmE0ELj4294967295EEENS1_25partition_config_selectorILNS1_17partition_subalgoE3EjNS0_10empty_typeEbEEZZNS1_14partition_implILS8_3ELb0ES6_jNS0_17counting_iteratorIjlEEPS9_SE_NS0_5tupleIJPjSE_EEENSF_IJSE_SE_EEES9_SG_JZNS1_25segmented_radix_sort_implINS0_14default_configELb1EPKbPbPKlPlN2at6native12_GLOBAL__N_18offset_tEEE10hipError_tPvRmT1_PNSt15iterator_traitsISY_E10value_typeET2_T3_PNSZ_IS14_E10value_typeET4_jRbjT5_S1A_jjP12ihipStream_tbEUljE_EEESV_SW_SX_S14_S18_S1A_T6_T7_T9_mT8_S1C_bDpT10_ENKUlT_T0_E_clISt17integral_constantIbLb1EES1O_IbLb0EEEEDaS1K_S1L_EUlS1K_E_NS1_11comp_targetILNS1_3genE3ELNS1_11target_archE908ELNS1_3gpuE7ELNS1_3repE0EEENS1_30default_config_static_selectorELNS0_4arch9wavefront6targetE0EEEvSY_ ; -- Begin function _ZN7rocprim17ROCPRIM_400000_NS6detail17trampoline_kernelINS0_13select_configILj256ELj13ELNS0_17block_load_methodE3ELS4_3ELS4_3ELNS0_20block_scan_algorithmE0ELj4294967295EEENS1_25partition_config_selectorILNS1_17partition_subalgoE3EjNS0_10empty_typeEbEEZZNS1_14partition_implILS8_3ELb0ES6_jNS0_17counting_iteratorIjlEEPS9_SE_NS0_5tupleIJPjSE_EEENSF_IJSE_SE_EEES9_SG_JZNS1_25segmented_radix_sort_implINS0_14default_configELb1EPKbPbPKlPlN2at6native12_GLOBAL__N_18offset_tEEE10hipError_tPvRmT1_PNSt15iterator_traitsISY_E10value_typeET2_T3_PNSZ_IS14_E10value_typeET4_jRbjT5_S1A_jjP12ihipStream_tbEUljE_EEESV_SW_SX_S14_S18_S1A_T6_T7_T9_mT8_S1C_bDpT10_ENKUlT_T0_E_clISt17integral_constantIbLb1EES1O_IbLb0EEEEDaS1K_S1L_EUlS1K_E_NS1_11comp_targetILNS1_3genE3ELNS1_11target_archE908ELNS1_3gpuE7ELNS1_3repE0EEENS1_30default_config_static_selectorELNS0_4arch9wavefront6targetE0EEEvSY_
	.p2align	8
	.type	_ZN7rocprim17ROCPRIM_400000_NS6detail17trampoline_kernelINS0_13select_configILj256ELj13ELNS0_17block_load_methodE3ELS4_3ELS4_3ELNS0_20block_scan_algorithmE0ELj4294967295EEENS1_25partition_config_selectorILNS1_17partition_subalgoE3EjNS0_10empty_typeEbEEZZNS1_14partition_implILS8_3ELb0ES6_jNS0_17counting_iteratorIjlEEPS9_SE_NS0_5tupleIJPjSE_EEENSF_IJSE_SE_EEES9_SG_JZNS1_25segmented_radix_sort_implINS0_14default_configELb1EPKbPbPKlPlN2at6native12_GLOBAL__N_18offset_tEEE10hipError_tPvRmT1_PNSt15iterator_traitsISY_E10value_typeET2_T3_PNSZ_IS14_E10value_typeET4_jRbjT5_S1A_jjP12ihipStream_tbEUljE_EEESV_SW_SX_S14_S18_S1A_T6_T7_T9_mT8_S1C_bDpT10_ENKUlT_T0_E_clISt17integral_constantIbLb1EES1O_IbLb0EEEEDaS1K_S1L_EUlS1K_E_NS1_11comp_targetILNS1_3genE3ELNS1_11target_archE908ELNS1_3gpuE7ELNS1_3repE0EEENS1_30default_config_static_selectorELNS0_4arch9wavefront6targetE0EEEvSY_,@function
_ZN7rocprim17ROCPRIM_400000_NS6detail17trampoline_kernelINS0_13select_configILj256ELj13ELNS0_17block_load_methodE3ELS4_3ELS4_3ELNS0_20block_scan_algorithmE0ELj4294967295EEENS1_25partition_config_selectorILNS1_17partition_subalgoE3EjNS0_10empty_typeEbEEZZNS1_14partition_implILS8_3ELb0ES6_jNS0_17counting_iteratorIjlEEPS9_SE_NS0_5tupleIJPjSE_EEENSF_IJSE_SE_EEES9_SG_JZNS1_25segmented_radix_sort_implINS0_14default_configELb1EPKbPbPKlPlN2at6native12_GLOBAL__N_18offset_tEEE10hipError_tPvRmT1_PNSt15iterator_traitsISY_E10value_typeET2_T3_PNSZ_IS14_E10value_typeET4_jRbjT5_S1A_jjP12ihipStream_tbEUljE_EEESV_SW_SX_S14_S18_S1A_T6_T7_T9_mT8_S1C_bDpT10_ENKUlT_T0_E_clISt17integral_constantIbLb1EES1O_IbLb0EEEEDaS1K_S1L_EUlS1K_E_NS1_11comp_targetILNS1_3genE3ELNS1_11target_archE908ELNS1_3gpuE7ELNS1_3repE0EEENS1_30default_config_static_selectorELNS0_4arch9wavefront6targetE0EEEvSY_: ; @_ZN7rocprim17ROCPRIM_400000_NS6detail17trampoline_kernelINS0_13select_configILj256ELj13ELNS0_17block_load_methodE3ELS4_3ELS4_3ELNS0_20block_scan_algorithmE0ELj4294967295EEENS1_25partition_config_selectorILNS1_17partition_subalgoE3EjNS0_10empty_typeEbEEZZNS1_14partition_implILS8_3ELb0ES6_jNS0_17counting_iteratorIjlEEPS9_SE_NS0_5tupleIJPjSE_EEENSF_IJSE_SE_EEES9_SG_JZNS1_25segmented_radix_sort_implINS0_14default_configELb1EPKbPbPKlPlN2at6native12_GLOBAL__N_18offset_tEEE10hipError_tPvRmT1_PNSt15iterator_traitsISY_E10value_typeET2_T3_PNSZ_IS14_E10value_typeET4_jRbjT5_S1A_jjP12ihipStream_tbEUljE_EEESV_SW_SX_S14_S18_S1A_T6_T7_T9_mT8_S1C_bDpT10_ENKUlT_T0_E_clISt17integral_constantIbLb1EES1O_IbLb0EEEEDaS1K_S1L_EUlS1K_E_NS1_11comp_targetILNS1_3genE3ELNS1_11target_archE908ELNS1_3gpuE7ELNS1_3repE0EEENS1_30default_config_static_selectorELNS0_4arch9wavefront6targetE0EEEvSY_
; %bb.0:
	.section	.rodata,"a",@progbits
	.p2align	6, 0x0
	.amdhsa_kernel _ZN7rocprim17ROCPRIM_400000_NS6detail17trampoline_kernelINS0_13select_configILj256ELj13ELNS0_17block_load_methodE3ELS4_3ELS4_3ELNS0_20block_scan_algorithmE0ELj4294967295EEENS1_25partition_config_selectorILNS1_17partition_subalgoE3EjNS0_10empty_typeEbEEZZNS1_14partition_implILS8_3ELb0ES6_jNS0_17counting_iteratorIjlEEPS9_SE_NS0_5tupleIJPjSE_EEENSF_IJSE_SE_EEES9_SG_JZNS1_25segmented_radix_sort_implINS0_14default_configELb1EPKbPbPKlPlN2at6native12_GLOBAL__N_18offset_tEEE10hipError_tPvRmT1_PNSt15iterator_traitsISY_E10value_typeET2_T3_PNSZ_IS14_E10value_typeET4_jRbjT5_S1A_jjP12ihipStream_tbEUljE_EEESV_SW_SX_S14_S18_S1A_T6_T7_T9_mT8_S1C_bDpT10_ENKUlT_T0_E_clISt17integral_constantIbLb1EES1O_IbLb0EEEEDaS1K_S1L_EUlS1K_E_NS1_11comp_targetILNS1_3genE3ELNS1_11target_archE908ELNS1_3gpuE7ELNS1_3repE0EEENS1_30default_config_static_selectorELNS0_4arch9wavefront6targetE0EEEvSY_
		.amdhsa_group_segment_fixed_size 0
		.amdhsa_private_segment_fixed_size 0
		.amdhsa_kernarg_size 144
		.amdhsa_user_sgpr_count 2
		.amdhsa_user_sgpr_dispatch_ptr 0
		.amdhsa_user_sgpr_queue_ptr 0
		.amdhsa_user_sgpr_kernarg_segment_ptr 1
		.amdhsa_user_sgpr_dispatch_id 0
		.amdhsa_user_sgpr_private_segment_size 0
		.amdhsa_wavefront_size32 1
		.amdhsa_uses_dynamic_stack 0
		.amdhsa_enable_private_segment 0
		.amdhsa_system_sgpr_workgroup_id_x 1
		.amdhsa_system_sgpr_workgroup_id_y 0
		.amdhsa_system_sgpr_workgroup_id_z 0
		.amdhsa_system_sgpr_workgroup_info 0
		.amdhsa_system_vgpr_workitem_id 0
		.amdhsa_next_free_vgpr 1
		.amdhsa_next_free_sgpr 1
		.amdhsa_reserve_vcc 0
		.amdhsa_float_round_mode_32 0
		.amdhsa_float_round_mode_16_64 0
		.amdhsa_float_denorm_mode_32 3
		.amdhsa_float_denorm_mode_16_64 3
		.amdhsa_fp16_overflow 0
		.amdhsa_workgroup_processor_mode 1
		.amdhsa_memory_ordered 1
		.amdhsa_forward_progress 1
		.amdhsa_inst_pref_size 0
		.amdhsa_round_robin_scheduling 0
		.amdhsa_exception_fp_ieee_invalid_op 0
		.amdhsa_exception_fp_denorm_src 0
		.amdhsa_exception_fp_ieee_div_zero 0
		.amdhsa_exception_fp_ieee_overflow 0
		.amdhsa_exception_fp_ieee_underflow 0
		.amdhsa_exception_fp_ieee_inexact 0
		.amdhsa_exception_int_div_zero 0
	.end_amdhsa_kernel
	.section	.text._ZN7rocprim17ROCPRIM_400000_NS6detail17trampoline_kernelINS0_13select_configILj256ELj13ELNS0_17block_load_methodE3ELS4_3ELS4_3ELNS0_20block_scan_algorithmE0ELj4294967295EEENS1_25partition_config_selectorILNS1_17partition_subalgoE3EjNS0_10empty_typeEbEEZZNS1_14partition_implILS8_3ELb0ES6_jNS0_17counting_iteratorIjlEEPS9_SE_NS0_5tupleIJPjSE_EEENSF_IJSE_SE_EEES9_SG_JZNS1_25segmented_radix_sort_implINS0_14default_configELb1EPKbPbPKlPlN2at6native12_GLOBAL__N_18offset_tEEE10hipError_tPvRmT1_PNSt15iterator_traitsISY_E10value_typeET2_T3_PNSZ_IS14_E10value_typeET4_jRbjT5_S1A_jjP12ihipStream_tbEUljE_EEESV_SW_SX_S14_S18_S1A_T6_T7_T9_mT8_S1C_bDpT10_ENKUlT_T0_E_clISt17integral_constantIbLb1EES1O_IbLb0EEEEDaS1K_S1L_EUlS1K_E_NS1_11comp_targetILNS1_3genE3ELNS1_11target_archE908ELNS1_3gpuE7ELNS1_3repE0EEENS1_30default_config_static_selectorELNS0_4arch9wavefront6targetE0EEEvSY_,"axG",@progbits,_ZN7rocprim17ROCPRIM_400000_NS6detail17trampoline_kernelINS0_13select_configILj256ELj13ELNS0_17block_load_methodE3ELS4_3ELS4_3ELNS0_20block_scan_algorithmE0ELj4294967295EEENS1_25partition_config_selectorILNS1_17partition_subalgoE3EjNS0_10empty_typeEbEEZZNS1_14partition_implILS8_3ELb0ES6_jNS0_17counting_iteratorIjlEEPS9_SE_NS0_5tupleIJPjSE_EEENSF_IJSE_SE_EEES9_SG_JZNS1_25segmented_radix_sort_implINS0_14default_configELb1EPKbPbPKlPlN2at6native12_GLOBAL__N_18offset_tEEE10hipError_tPvRmT1_PNSt15iterator_traitsISY_E10value_typeET2_T3_PNSZ_IS14_E10value_typeET4_jRbjT5_S1A_jjP12ihipStream_tbEUljE_EEESV_SW_SX_S14_S18_S1A_T6_T7_T9_mT8_S1C_bDpT10_ENKUlT_T0_E_clISt17integral_constantIbLb1EES1O_IbLb0EEEEDaS1K_S1L_EUlS1K_E_NS1_11comp_targetILNS1_3genE3ELNS1_11target_archE908ELNS1_3gpuE7ELNS1_3repE0EEENS1_30default_config_static_selectorELNS0_4arch9wavefront6targetE0EEEvSY_,comdat
.Lfunc_end1519:
	.size	_ZN7rocprim17ROCPRIM_400000_NS6detail17trampoline_kernelINS0_13select_configILj256ELj13ELNS0_17block_load_methodE3ELS4_3ELS4_3ELNS0_20block_scan_algorithmE0ELj4294967295EEENS1_25partition_config_selectorILNS1_17partition_subalgoE3EjNS0_10empty_typeEbEEZZNS1_14partition_implILS8_3ELb0ES6_jNS0_17counting_iteratorIjlEEPS9_SE_NS0_5tupleIJPjSE_EEENSF_IJSE_SE_EEES9_SG_JZNS1_25segmented_radix_sort_implINS0_14default_configELb1EPKbPbPKlPlN2at6native12_GLOBAL__N_18offset_tEEE10hipError_tPvRmT1_PNSt15iterator_traitsISY_E10value_typeET2_T3_PNSZ_IS14_E10value_typeET4_jRbjT5_S1A_jjP12ihipStream_tbEUljE_EEESV_SW_SX_S14_S18_S1A_T6_T7_T9_mT8_S1C_bDpT10_ENKUlT_T0_E_clISt17integral_constantIbLb1EES1O_IbLb0EEEEDaS1K_S1L_EUlS1K_E_NS1_11comp_targetILNS1_3genE3ELNS1_11target_archE908ELNS1_3gpuE7ELNS1_3repE0EEENS1_30default_config_static_selectorELNS0_4arch9wavefront6targetE0EEEvSY_, .Lfunc_end1519-_ZN7rocprim17ROCPRIM_400000_NS6detail17trampoline_kernelINS0_13select_configILj256ELj13ELNS0_17block_load_methodE3ELS4_3ELS4_3ELNS0_20block_scan_algorithmE0ELj4294967295EEENS1_25partition_config_selectorILNS1_17partition_subalgoE3EjNS0_10empty_typeEbEEZZNS1_14partition_implILS8_3ELb0ES6_jNS0_17counting_iteratorIjlEEPS9_SE_NS0_5tupleIJPjSE_EEENSF_IJSE_SE_EEES9_SG_JZNS1_25segmented_radix_sort_implINS0_14default_configELb1EPKbPbPKlPlN2at6native12_GLOBAL__N_18offset_tEEE10hipError_tPvRmT1_PNSt15iterator_traitsISY_E10value_typeET2_T3_PNSZ_IS14_E10value_typeET4_jRbjT5_S1A_jjP12ihipStream_tbEUljE_EEESV_SW_SX_S14_S18_S1A_T6_T7_T9_mT8_S1C_bDpT10_ENKUlT_T0_E_clISt17integral_constantIbLb1EES1O_IbLb0EEEEDaS1K_S1L_EUlS1K_E_NS1_11comp_targetILNS1_3genE3ELNS1_11target_archE908ELNS1_3gpuE7ELNS1_3repE0EEENS1_30default_config_static_selectorELNS0_4arch9wavefront6targetE0EEEvSY_
                                        ; -- End function
	.set _ZN7rocprim17ROCPRIM_400000_NS6detail17trampoline_kernelINS0_13select_configILj256ELj13ELNS0_17block_load_methodE3ELS4_3ELS4_3ELNS0_20block_scan_algorithmE0ELj4294967295EEENS1_25partition_config_selectorILNS1_17partition_subalgoE3EjNS0_10empty_typeEbEEZZNS1_14partition_implILS8_3ELb0ES6_jNS0_17counting_iteratorIjlEEPS9_SE_NS0_5tupleIJPjSE_EEENSF_IJSE_SE_EEES9_SG_JZNS1_25segmented_radix_sort_implINS0_14default_configELb1EPKbPbPKlPlN2at6native12_GLOBAL__N_18offset_tEEE10hipError_tPvRmT1_PNSt15iterator_traitsISY_E10value_typeET2_T3_PNSZ_IS14_E10value_typeET4_jRbjT5_S1A_jjP12ihipStream_tbEUljE_EEESV_SW_SX_S14_S18_S1A_T6_T7_T9_mT8_S1C_bDpT10_ENKUlT_T0_E_clISt17integral_constantIbLb1EES1O_IbLb0EEEEDaS1K_S1L_EUlS1K_E_NS1_11comp_targetILNS1_3genE3ELNS1_11target_archE908ELNS1_3gpuE7ELNS1_3repE0EEENS1_30default_config_static_selectorELNS0_4arch9wavefront6targetE0EEEvSY_.num_vgpr, 0
	.set _ZN7rocprim17ROCPRIM_400000_NS6detail17trampoline_kernelINS0_13select_configILj256ELj13ELNS0_17block_load_methodE3ELS4_3ELS4_3ELNS0_20block_scan_algorithmE0ELj4294967295EEENS1_25partition_config_selectorILNS1_17partition_subalgoE3EjNS0_10empty_typeEbEEZZNS1_14partition_implILS8_3ELb0ES6_jNS0_17counting_iteratorIjlEEPS9_SE_NS0_5tupleIJPjSE_EEENSF_IJSE_SE_EEES9_SG_JZNS1_25segmented_radix_sort_implINS0_14default_configELb1EPKbPbPKlPlN2at6native12_GLOBAL__N_18offset_tEEE10hipError_tPvRmT1_PNSt15iterator_traitsISY_E10value_typeET2_T3_PNSZ_IS14_E10value_typeET4_jRbjT5_S1A_jjP12ihipStream_tbEUljE_EEESV_SW_SX_S14_S18_S1A_T6_T7_T9_mT8_S1C_bDpT10_ENKUlT_T0_E_clISt17integral_constantIbLb1EES1O_IbLb0EEEEDaS1K_S1L_EUlS1K_E_NS1_11comp_targetILNS1_3genE3ELNS1_11target_archE908ELNS1_3gpuE7ELNS1_3repE0EEENS1_30default_config_static_selectorELNS0_4arch9wavefront6targetE0EEEvSY_.num_agpr, 0
	.set _ZN7rocprim17ROCPRIM_400000_NS6detail17trampoline_kernelINS0_13select_configILj256ELj13ELNS0_17block_load_methodE3ELS4_3ELS4_3ELNS0_20block_scan_algorithmE0ELj4294967295EEENS1_25partition_config_selectorILNS1_17partition_subalgoE3EjNS0_10empty_typeEbEEZZNS1_14partition_implILS8_3ELb0ES6_jNS0_17counting_iteratorIjlEEPS9_SE_NS0_5tupleIJPjSE_EEENSF_IJSE_SE_EEES9_SG_JZNS1_25segmented_radix_sort_implINS0_14default_configELb1EPKbPbPKlPlN2at6native12_GLOBAL__N_18offset_tEEE10hipError_tPvRmT1_PNSt15iterator_traitsISY_E10value_typeET2_T3_PNSZ_IS14_E10value_typeET4_jRbjT5_S1A_jjP12ihipStream_tbEUljE_EEESV_SW_SX_S14_S18_S1A_T6_T7_T9_mT8_S1C_bDpT10_ENKUlT_T0_E_clISt17integral_constantIbLb1EES1O_IbLb0EEEEDaS1K_S1L_EUlS1K_E_NS1_11comp_targetILNS1_3genE3ELNS1_11target_archE908ELNS1_3gpuE7ELNS1_3repE0EEENS1_30default_config_static_selectorELNS0_4arch9wavefront6targetE0EEEvSY_.numbered_sgpr, 0
	.set _ZN7rocprim17ROCPRIM_400000_NS6detail17trampoline_kernelINS0_13select_configILj256ELj13ELNS0_17block_load_methodE3ELS4_3ELS4_3ELNS0_20block_scan_algorithmE0ELj4294967295EEENS1_25partition_config_selectorILNS1_17partition_subalgoE3EjNS0_10empty_typeEbEEZZNS1_14partition_implILS8_3ELb0ES6_jNS0_17counting_iteratorIjlEEPS9_SE_NS0_5tupleIJPjSE_EEENSF_IJSE_SE_EEES9_SG_JZNS1_25segmented_radix_sort_implINS0_14default_configELb1EPKbPbPKlPlN2at6native12_GLOBAL__N_18offset_tEEE10hipError_tPvRmT1_PNSt15iterator_traitsISY_E10value_typeET2_T3_PNSZ_IS14_E10value_typeET4_jRbjT5_S1A_jjP12ihipStream_tbEUljE_EEESV_SW_SX_S14_S18_S1A_T6_T7_T9_mT8_S1C_bDpT10_ENKUlT_T0_E_clISt17integral_constantIbLb1EES1O_IbLb0EEEEDaS1K_S1L_EUlS1K_E_NS1_11comp_targetILNS1_3genE3ELNS1_11target_archE908ELNS1_3gpuE7ELNS1_3repE0EEENS1_30default_config_static_selectorELNS0_4arch9wavefront6targetE0EEEvSY_.num_named_barrier, 0
	.set _ZN7rocprim17ROCPRIM_400000_NS6detail17trampoline_kernelINS0_13select_configILj256ELj13ELNS0_17block_load_methodE3ELS4_3ELS4_3ELNS0_20block_scan_algorithmE0ELj4294967295EEENS1_25partition_config_selectorILNS1_17partition_subalgoE3EjNS0_10empty_typeEbEEZZNS1_14partition_implILS8_3ELb0ES6_jNS0_17counting_iteratorIjlEEPS9_SE_NS0_5tupleIJPjSE_EEENSF_IJSE_SE_EEES9_SG_JZNS1_25segmented_radix_sort_implINS0_14default_configELb1EPKbPbPKlPlN2at6native12_GLOBAL__N_18offset_tEEE10hipError_tPvRmT1_PNSt15iterator_traitsISY_E10value_typeET2_T3_PNSZ_IS14_E10value_typeET4_jRbjT5_S1A_jjP12ihipStream_tbEUljE_EEESV_SW_SX_S14_S18_S1A_T6_T7_T9_mT8_S1C_bDpT10_ENKUlT_T0_E_clISt17integral_constantIbLb1EES1O_IbLb0EEEEDaS1K_S1L_EUlS1K_E_NS1_11comp_targetILNS1_3genE3ELNS1_11target_archE908ELNS1_3gpuE7ELNS1_3repE0EEENS1_30default_config_static_selectorELNS0_4arch9wavefront6targetE0EEEvSY_.private_seg_size, 0
	.set _ZN7rocprim17ROCPRIM_400000_NS6detail17trampoline_kernelINS0_13select_configILj256ELj13ELNS0_17block_load_methodE3ELS4_3ELS4_3ELNS0_20block_scan_algorithmE0ELj4294967295EEENS1_25partition_config_selectorILNS1_17partition_subalgoE3EjNS0_10empty_typeEbEEZZNS1_14partition_implILS8_3ELb0ES6_jNS0_17counting_iteratorIjlEEPS9_SE_NS0_5tupleIJPjSE_EEENSF_IJSE_SE_EEES9_SG_JZNS1_25segmented_radix_sort_implINS0_14default_configELb1EPKbPbPKlPlN2at6native12_GLOBAL__N_18offset_tEEE10hipError_tPvRmT1_PNSt15iterator_traitsISY_E10value_typeET2_T3_PNSZ_IS14_E10value_typeET4_jRbjT5_S1A_jjP12ihipStream_tbEUljE_EEESV_SW_SX_S14_S18_S1A_T6_T7_T9_mT8_S1C_bDpT10_ENKUlT_T0_E_clISt17integral_constantIbLb1EES1O_IbLb0EEEEDaS1K_S1L_EUlS1K_E_NS1_11comp_targetILNS1_3genE3ELNS1_11target_archE908ELNS1_3gpuE7ELNS1_3repE0EEENS1_30default_config_static_selectorELNS0_4arch9wavefront6targetE0EEEvSY_.uses_vcc, 0
	.set _ZN7rocprim17ROCPRIM_400000_NS6detail17trampoline_kernelINS0_13select_configILj256ELj13ELNS0_17block_load_methodE3ELS4_3ELS4_3ELNS0_20block_scan_algorithmE0ELj4294967295EEENS1_25partition_config_selectorILNS1_17partition_subalgoE3EjNS0_10empty_typeEbEEZZNS1_14partition_implILS8_3ELb0ES6_jNS0_17counting_iteratorIjlEEPS9_SE_NS0_5tupleIJPjSE_EEENSF_IJSE_SE_EEES9_SG_JZNS1_25segmented_radix_sort_implINS0_14default_configELb1EPKbPbPKlPlN2at6native12_GLOBAL__N_18offset_tEEE10hipError_tPvRmT1_PNSt15iterator_traitsISY_E10value_typeET2_T3_PNSZ_IS14_E10value_typeET4_jRbjT5_S1A_jjP12ihipStream_tbEUljE_EEESV_SW_SX_S14_S18_S1A_T6_T7_T9_mT8_S1C_bDpT10_ENKUlT_T0_E_clISt17integral_constantIbLb1EES1O_IbLb0EEEEDaS1K_S1L_EUlS1K_E_NS1_11comp_targetILNS1_3genE3ELNS1_11target_archE908ELNS1_3gpuE7ELNS1_3repE0EEENS1_30default_config_static_selectorELNS0_4arch9wavefront6targetE0EEEvSY_.uses_flat_scratch, 0
	.set _ZN7rocprim17ROCPRIM_400000_NS6detail17trampoline_kernelINS0_13select_configILj256ELj13ELNS0_17block_load_methodE3ELS4_3ELS4_3ELNS0_20block_scan_algorithmE0ELj4294967295EEENS1_25partition_config_selectorILNS1_17partition_subalgoE3EjNS0_10empty_typeEbEEZZNS1_14partition_implILS8_3ELb0ES6_jNS0_17counting_iteratorIjlEEPS9_SE_NS0_5tupleIJPjSE_EEENSF_IJSE_SE_EEES9_SG_JZNS1_25segmented_radix_sort_implINS0_14default_configELb1EPKbPbPKlPlN2at6native12_GLOBAL__N_18offset_tEEE10hipError_tPvRmT1_PNSt15iterator_traitsISY_E10value_typeET2_T3_PNSZ_IS14_E10value_typeET4_jRbjT5_S1A_jjP12ihipStream_tbEUljE_EEESV_SW_SX_S14_S18_S1A_T6_T7_T9_mT8_S1C_bDpT10_ENKUlT_T0_E_clISt17integral_constantIbLb1EES1O_IbLb0EEEEDaS1K_S1L_EUlS1K_E_NS1_11comp_targetILNS1_3genE3ELNS1_11target_archE908ELNS1_3gpuE7ELNS1_3repE0EEENS1_30default_config_static_selectorELNS0_4arch9wavefront6targetE0EEEvSY_.has_dyn_sized_stack, 0
	.set _ZN7rocprim17ROCPRIM_400000_NS6detail17trampoline_kernelINS0_13select_configILj256ELj13ELNS0_17block_load_methodE3ELS4_3ELS4_3ELNS0_20block_scan_algorithmE0ELj4294967295EEENS1_25partition_config_selectorILNS1_17partition_subalgoE3EjNS0_10empty_typeEbEEZZNS1_14partition_implILS8_3ELb0ES6_jNS0_17counting_iteratorIjlEEPS9_SE_NS0_5tupleIJPjSE_EEENSF_IJSE_SE_EEES9_SG_JZNS1_25segmented_radix_sort_implINS0_14default_configELb1EPKbPbPKlPlN2at6native12_GLOBAL__N_18offset_tEEE10hipError_tPvRmT1_PNSt15iterator_traitsISY_E10value_typeET2_T3_PNSZ_IS14_E10value_typeET4_jRbjT5_S1A_jjP12ihipStream_tbEUljE_EEESV_SW_SX_S14_S18_S1A_T6_T7_T9_mT8_S1C_bDpT10_ENKUlT_T0_E_clISt17integral_constantIbLb1EES1O_IbLb0EEEEDaS1K_S1L_EUlS1K_E_NS1_11comp_targetILNS1_3genE3ELNS1_11target_archE908ELNS1_3gpuE7ELNS1_3repE0EEENS1_30default_config_static_selectorELNS0_4arch9wavefront6targetE0EEEvSY_.has_recursion, 0
	.set _ZN7rocprim17ROCPRIM_400000_NS6detail17trampoline_kernelINS0_13select_configILj256ELj13ELNS0_17block_load_methodE3ELS4_3ELS4_3ELNS0_20block_scan_algorithmE0ELj4294967295EEENS1_25partition_config_selectorILNS1_17partition_subalgoE3EjNS0_10empty_typeEbEEZZNS1_14partition_implILS8_3ELb0ES6_jNS0_17counting_iteratorIjlEEPS9_SE_NS0_5tupleIJPjSE_EEENSF_IJSE_SE_EEES9_SG_JZNS1_25segmented_radix_sort_implINS0_14default_configELb1EPKbPbPKlPlN2at6native12_GLOBAL__N_18offset_tEEE10hipError_tPvRmT1_PNSt15iterator_traitsISY_E10value_typeET2_T3_PNSZ_IS14_E10value_typeET4_jRbjT5_S1A_jjP12ihipStream_tbEUljE_EEESV_SW_SX_S14_S18_S1A_T6_T7_T9_mT8_S1C_bDpT10_ENKUlT_T0_E_clISt17integral_constantIbLb1EES1O_IbLb0EEEEDaS1K_S1L_EUlS1K_E_NS1_11comp_targetILNS1_3genE3ELNS1_11target_archE908ELNS1_3gpuE7ELNS1_3repE0EEENS1_30default_config_static_selectorELNS0_4arch9wavefront6targetE0EEEvSY_.has_indirect_call, 0
	.section	.AMDGPU.csdata,"",@progbits
; Kernel info:
; codeLenInByte = 0
; TotalNumSgprs: 0
; NumVgprs: 0
; ScratchSize: 0
; MemoryBound: 0
; FloatMode: 240
; IeeeMode: 1
; LDSByteSize: 0 bytes/workgroup (compile time only)
; SGPRBlocks: 0
; VGPRBlocks: 0
; NumSGPRsForWavesPerEU: 1
; NumVGPRsForWavesPerEU: 1
; Occupancy: 16
; WaveLimiterHint : 0
; COMPUTE_PGM_RSRC2:SCRATCH_EN: 0
; COMPUTE_PGM_RSRC2:USER_SGPR: 2
; COMPUTE_PGM_RSRC2:TRAP_HANDLER: 0
; COMPUTE_PGM_RSRC2:TGID_X_EN: 1
; COMPUTE_PGM_RSRC2:TGID_Y_EN: 0
; COMPUTE_PGM_RSRC2:TGID_Z_EN: 0
; COMPUTE_PGM_RSRC2:TIDIG_COMP_CNT: 0
	.section	.text._ZN7rocprim17ROCPRIM_400000_NS6detail17trampoline_kernelINS0_13select_configILj256ELj13ELNS0_17block_load_methodE3ELS4_3ELS4_3ELNS0_20block_scan_algorithmE0ELj4294967295EEENS1_25partition_config_selectorILNS1_17partition_subalgoE3EjNS0_10empty_typeEbEEZZNS1_14partition_implILS8_3ELb0ES6_jNS0_17counting_iteratorIjlEEPS9_SE_NS0_5tupleIJPjSE_EEENSF_IJSE_SE_EEES9_SG_JZNS1_25segmented_radix_sort_implINS0_14default_configELb1EPKbPbPKlPlN2at6native12_GLOBAL__N_18offset_tEEE10hipError_tPvRmT1_PNSt15iterator_traitsISY_E10value_typeET2_T3_PNSZ_IS14_E10value_typeET4_jRbjT5_S1A_jjP12ihipStream_tbEUljE_EEESV_SW_SX_S14_S18_S1A_T6_T7_T9_mT8_S1C_bDpT10_ENKUlT_T0_E_clISt17integral_constantIbLb1EES1O_IbLb0EEEEDaS1K_S1L_EUlS1K_E_NS1_11comp_targetILNS1_3genE2ELNS1_11target_archE906ELNS1_3gpuE6ELNS1_3repE0EEENS1_30default_config_static_selectorELNS0_4arch9wavefront6targetE0EEEvSY_,"axG",@progbits,_ZN7rocprim17ROCPRIM_400000_NS6detail17trampoline_kernelINS0_13select_configILj256ELj13ELNS0_17block_load_methodE3ELS4_3ELS4_3ELNS0_20block_scan_algorithmE0ELj4294967295EEENS1_25partition_config_selectorILNS1_17partition_subalgoE3EjNS0_10empty_typeEbEEZZNS1_14partition_implILS8_3ELb0ES6_jNS0_17counting_iteratorIjlEEPS9_SE_NS0_5tupleIJPjSE_EEENSF_IJSE_SE_EEES9_SG_JZNS1_25segmented_radix_sort_implINS0_14default_configELb1EPKbPbPKlPlN2at6native12_GLOBAL__N_18offset_tEEE10hipError_tPvRmT1_PNSt15iterator_traitsISY_E10value_typeET2_T3_PNSZ_IS14_E10value_typeET4_jRbjT5_S1A_jjP12ihipStream_tbEUljE_EEESV_SW_SX_S14_S18_S1A_T6_T7_T9_mT8_S1C_bDpT10_ENKUlT_T0_E_clISt17integral_constantIbLb1EES1O_IbLb0EEEEDaS1K_S1L_EUlS1K_E_NS1_11comp_targetILNS1_3genE2ELNS1_11target_archE906ELNS1_3gpuE6ELNS1_3repE0EEENS1_30default_config_static_selectorELNS0_4arch9wavefront6targetE0EEEvSY_,comdat
	.globl	_ZN7rocprim17ROCPRIM_400000_NS6detail17trampoline_kernelINS0_13select_configILj256ELj13ELNS0_17block_load_methodE3ELS4_3ELS4_3ELNS0_20block_scan_algorithmE0ELj4294967295EEENS1_25partition_config_selectorILNS1_17partition_subalgoE3EjNS0_10empty_typeEbEEZZNS1_14partition_implILS8_3ELb0ES6_jNS0_17counting_iteratorIjlEEPS9_SE_NS0_5tupleIJPjSE_EEENSF_IJSE_SE_EEES9_SG_JZNS1_25segmented_radix_sort_implINS0_14default_configELb1EPKbPbPKlPlN2at6native12_GLOBAL__N_18offset_tEEE10hipError_tPvRmT1_PNSt15iterator_traitsISY_E10value_typeET2_T3_PNSZ_IS14_E10value_typeET4_jRbjT5_S1A_jjP12ihipStream_tbEUljE_EEESV_SW_SX_S14_S18_S1A_T6_T7_T9_mT8_S1C_bDpT10_ENKUlT_T0_E_clISt17integral_constantIbLb1EES1O_IbLb0EEEEDaS1K_S1L_EUlS1K_E_NS1_11comp_targetILNS1_3genE2ELNS1_11target_archE906ELNS1_3gpuE6ELNS1_3repE0EEENS1_30default_config_static_selectorELNS0_4arch9wavefront6targetE0EEEvSY_ ; -- Begin function _ZN7rocprim17ROCPRIM_400000_NS6detail17trampoline_kernelINS0_13select_configILj256ELj13ELNS0_17block_load_methodE3ELS4_3ELS4_3ELNS0_20block_scan_algorithmE0ELj4294967295EEENS1_25partition_config_selectorILNS1_17partition_subalgoE3EjNS0_10empty_typeEbEEZZNS1_14partition_implILS8_3ELb0ES6_jNS0_17counting_iteratorIjlEEPS9_SE_NS0_5tupleIJPjSE_EEENSF_IJSE_SE_EEES9_SG_JZNS1_25segmented_radix_sort_implINS0_14default_configELb1EPKbPbPKlPlN2at6native12_GLOBAL__N_18offset_tEEE10hipError_tPvRmT1_PNSt15iterator_traitsISY_E10value_typeET2_T3_PNSZ_IS14_E10value_typeET4_jRbjT5_S1A_jjP12ihipStream_tbEUljE_EEESV_SW_SX_S14_S18_S1A_T6_T7_T9_mT8_S1C_bDpT10_ENKUlT_T0_E_clISt17integral_constantIbLb1EES1O_IbLb0EEEEDaS1K_S1L_EUlS1K_E_NS1_11comp_targetILNS1_3genE2ELNS1_11target_archE906ELNS1_3gpuE6ELNS1_3repE0EEENS1_30default_config_static_selectorELNS0_4arch9wavefront6targetE0EEEvSY_
	.p2align	8
	.type	_ZN7rocprim17ROCPRIM_400000_NS6detail17trampoline_kernelINS0_13select_configILj256ELj13ELNS0_17block_load_methodE3ELS4_3ELS4_3ELNS0_20block_scan_algorithmE0ELj4294967295EEENS1_25partition_config_selectorILNS1_17partition_subalgoE3EjNS0_10empty_typeEbEEZZNS1_14partition_implILS8_3ELb0ES6_jNS0_17counting_iteratorIjlEEPS9_SE_NS0_5tupleIJPjSE_EEENSF_IJSE_SE_EEES9_SG_JZNS1_25segmented_radix_sort_implINS0_14default_configELb1EPKbPbPKlPlN2at6native12_GLOBAL__N_18offset_tEEE10hipError_tPvRmT1_PNSt15iterator_traitsISY_E10value_typeET2_T3_PNSZ_IS14_E10value_typeET4_jRbjT5_S1A_jjP12ihipStream_tbEUljE_EEESV_SW_SX_S14_S18_S1A_T6_T7_T9_mT8_S1C_bDpT10_ENKUlT_T0_E_clISt17integral_constantIbLb1EES1O_IbLb0EEEEDaS1K_S1L_EUlS1K_E_NS1_11comp_targetILNS1_3genE2ELNS1_11target_archE906ELNS1_3gpuE6ELNS1_3repE0EEENS1_30default_config_static_selectorELNS0_4arch9wavefront6targetE0EEEvSY_,@function
_ZN7rocprim17ROCPRIM_400000_NS6detail17trampoline_kernelINS0_13select_configILj256ELj13ELNS0_17block_load_methodE3ELS4_3ELS4_3ELNS0_20block_scan_algorithmE0ELj4294967295EEENS1_25partition_config_selectorILNS1_17partition_subalgoE3EjNS0_10empty_typeEbEEZZNS1_14partition_implILS8_3ELb0ES6_jNS0_17counting_iteratorIjlEEPS9_SE_NS0_5tupleIJPjSE_EEENSF_IJSE_SE_EEES9_SG_JZNS1_25segmented_radix_sort_implINS0_14default_configELb1EPKbPbPKlPlN2at6native12_GLOBAL__N_18offset_tEEE10hipError_tPvRmT1_PNSt15iterator_traitsISY_E10value_typeET2_T3_PNSZ_IS14_E10value_typeET4_jRbjT5_S1A_jjP12ihipStream_tbEUljE_EEESV_SW_SX_S14_S18_S1A_T6_T7_T9_mT8_S1C_bDpT10_ENKUlT_T0_E_clISt17integral_constantIbLb1EES1O_IbLb0EEEEDaS1K_S1L_EUlS1K_E_NS1_11comp_targetILNS1_3genE2ELNS1_11target_archE906ELNS1_3gpuE6ELNS1_3repE0EEENS1_30default_config_static_selectorELNS0_4arch9wavefront6targetE0EEEvSY_: ; @_ZN7rocprim17ROCPRIM_400000_NS6detail17trampoline_kernelINS0_13select_configILj256ELj13ELNS0_17block_load_methodE3ELS4_3ELS4_3ELNS0_20block_scan_algorithmE0ELj4294967295EEENS1_25partition_config_selectorILNS1_17partition_subalgoE3EjNS0_10empty_typeEbEEZZNS1_14partition_implILS8_3ELb0ES6_jNS0_17counting_iteratorIjlEEPS9_SE_NS0_5tupleIJPjSE_EEENSF_IJSE_SE_EEES9_SG_JZNS1_25segmented_radix_sort_implINS0_14default_configELb1EPKbPbPKlPlN2at6native12_GLOBAL__N_18offset_tEEE10hipError_tPvRmT1_PNSt15iterator_traitsISY_E10value_typeET2_T3_PNSZ_IS14_E10value_typeET4_jRbjT5_S1A_jjP12ihipStream_tbEUljE_EEESV_SW_SX_S14_S18_S1A_T6_T7_T9_mT8_S1C_bDpT10_ENKUlT_T0_E_clISt17integral_constantIbLb1EES1O_IbLb0EEEEDaS1K_S1L_EUlS1K_E_NS1_11comp_targetILNS1_3genE2ELNS1_11target_archE906ELNS1_3gpuE6ELNS1_3repE0EEENS1_30default_config_static_selectorELNS0_4arch9wavefront6targetE0EEEvSY_
; %bb.0:
	.section	.rodata,"a",@progbits
	.p2align	6, 0x0
	.amdhsa_kernel _ZN7rocprim17ROCPRIM_400000_NS6detail17trampoline_kernelINS0_13select_configILj256ELj13ELNS0_17block_load_methodE3ELS4_3ELS4_3ELNS0_20block_scan_algorithmE0ELj4294967295EEENS1_25partition_config_selectorILNS1_17partition_subalgoE3EjNS0_10empty_typeEbEEZZNS1_14partition_implILS8_3ELb0ES6_jNS0_17counting_iteratorIjlEEPS9_SE_NS0_5tupleIJPjSE_EEENSF_IJSE_SE_EEES9_SG_JZNS1_25segmented_radix_sort_implINS0_14default_configELb1EPKbPbPKlPlN2at6native12_GLOBAL__N_18offset_tEEE10hipError_tPvRmT1_PNSt15iterator_traitsISY_E10value_typeET2_T3_PNSZ_IS14_E10value_typeET4_jRbjT5_S1A_jjP12ihipStream_tbEUljE_EEESV_SW_SX_S14_S18_S1A_T6_T7_T9_mT8_S1C_bDpT10_ENKUlT_T0_E_clISt17integral_constantIbLb1EES1O_IbLb0EEEEDaS1K_S1L_EUlS1K_E_NS1_11comp_targetILNS1_3genE2ELNS1_11target_archE906ELNS1_3gpuE6ELNS1_3repE0EEENS1_30default_config_static_selectorELNS0_4arch9wavefront6targetE0EEEvSY_
		.amdhsa_group_segment_fixed_size 0
		.amdhsa_private_segment_fixed_size 0
		.amdhsa_kernarg_size 144
		.amdhsa_user_sgpr_count 2
		.amdhsa_user_sgpr_dispatch_ptr 0
		.amdhsa_user_sgpr_queue_ptr 0
		.amdhsa_user_sgpr_kernarg_segment_ptr 1
		.amdhsa_user_sgpr_dispatch_id 0
		.amdhsa_user_sgpr_private_segment_size 0
		.amdhsa_wavefront_size32 1
		.amdhsa_uses_dynamic_stack 0
		.amdhsa_enable_private_segment 0
		.amdhsa_system_sgpr_workgroup_id_x 1
		.amdhsa_system_sgpr_workgroup_id_y 0
		.amdhsa_system_sgpr_workgroup_id_z 0
		.amdhsa_system_sgpr_workgroup_info 0
		.amdhsa_system_vgpr_workitem_id 0
		.amdhsa_next_free_vgpr 1
		.amdhsa_next_free_sgpr 1
		.amdhsa_reserve_vcc 0
		.amdhsa_float_round_mode_32 0
		.amdhsa_float_round_mode_16_64 0
		.amdhsa_float_denorm_mode_32 3
		.amdhsa_float_denorm_mode_16_64 3
		.amdhsa_fp16_overflow 0
		.amdhsa_workgroup_processor_mode 1
		.amdhsa_memory_ordered 1
		.amdhsa_forward_progress 1
		.amdhsa_inst_pref_size 0
		.amdhsa_round_robin_scheduling 0
		.amdhsa_exception_fp_ieee_invalid_op 0
		.amdhsa_exception_fp_denorm_src 0
		.amdhsa_exception_fp_ieee_div_zero 0
		.amdhsa_exception_fp_ieee_overflow 0
		.amdhsa_exception_fp_ieee_underflow 0
		.amdhsa_exception_fp_ieee_inexact 0
		.amdhsa_exception_int_div_zero 0
	.end_amdhsa_kernel
	.section	.text._ZN7rocprim17ROCPRIM_400000_NS6detail17trampoline_kernelINS0_13select_configILj256ELj13ELNS0_17block_load_methodE3ELS4_3ELS4_3ELNS0_20block_scan_algorithmE0ELj4294967295EEENS1_25partition_config_selectorILNS1_17partition_subalgoE3EjNS0_10empty_typeEbEEZZNS1_14partition_implILS8_3ELb0ES6_jNS0_17counting_iteratorIjlEEPS9_SE_NS0_5tupleIJPjSE_EEENSF_IJSE_SE_EEES9_SG_JZNS1_25segmented_radix_sort_implINS0_14default_configELb1EPKbPbPKlPlN2at6native12_GLOBAL__N_18offset_tEEE10hipError_tPvRmT1_PNSt15iterator_traitsISY_E10value_typeET2_T3_PNSZ_IS14_E10value_typeET4_jRbjT5_S1A_jjP12ihipStream_tbEUljE_EEESV_SW_SX_S14_S18_S1A_T6_T7_T9_mT8_S1C_bDpT10_ENKUlT_T0_E_clISt17integral_constantIbLb1EES1O_IbLb0EEEEDaS1K_S1L_EUlS1K_E_NS1_11comp_targetILNS1_3genE2ELNS1_11target_archE906ELNS1_3gpuE6ELNS1_3repE0EEENS1_30default_config_static_selectorELNS0_4arch9wavefront6targetE0EEEvSY_,"axG",@progbits,_ZN7rocprim17ROCPRIM_400000_NS6detail17trampoline_kernelINS0_13select_configILj256ELj13ELNS0_17block_load_methodE3ELS4_3ELS4_3ELNS0_20block_scan_algorithmE0ELj4294967295EEENS1_25partition_config_selectorILNS1_17partition_subalgoE3EjNS0_10empty_typeEbEEZZNS1_14partition_implILS8_3ELb0ES6_jNS0_17counting_iteratorIjlEEPS9_SE_NS0_5tupleIJPjSE_EEENSF_IJSE_SE_EEES9_SG_JZNS1_25segmented_radix_sort_implINS0_14default_configELb1EPKbPbPKlPlN2at6native12_GLOBAL__N_18offset_tEEE10hipError_tPvRmT1_PNSt15iterator_traitsISY_E10value_typeET2_T3_PNSZ_IS14_E10value_typeET4_jRbjT5_S1A_jjP12ihipStream_tbEUljE_EEESV_SW_SX_S14_S18_S1A_T6_T7_T9_mT8_S1C_bDpT10_ENKUlT_T0_E_clISt17integral_constantIbLb1EES1O_IbLb0EEEEDaS1K_S1L_EUlS1K_E_NS1_11comp_targetILNS1_3genE2ELNS1_11target_archE906ELNS1_3gpuE6ELNS1_3repE0EEENS1_30default_config_static_selectorELNS0_4arch9wavefront6targetE0EEEvSY_,comdat
.Lfunc_end1520:
	.size	_ZN7rocprim17ROCPRIM_400000_NS6detail17trampoline_kernelINS0_13select_configILj256ELj13ELNS0_17block_load_methodE3ELS4_3ELS4_3ELNS0_20block_scan_algorithmE0ELj4294967295EEENS1_25partition_config_selectorILNS1_17partition_subalgoE3EjNS0_10empty_typeEbEEZZNS1_14partition_implILS8_3ELb0ES6_jNS0_17counting_iteratorIjlEEPS9_SE_NS0_5tupleIJPjSE_EEENSF_IJSE_SE_EEES9_SG_JZNS1_25segmented_radix_sort_implINS0_14default_configELb1EPKbPbPKlPlN2at6native12_GLOBAL__N_18offset_tEEE10hipError_tPvRmT1_PNSt15iterator_traitsISY_E10value_typeET2_T3_PNSZ_IS14_E10value_typeET4_jRbjT5_S1A_jjP12ihipStream_tbEUljE_EEESV_SW_SX_S14_S18_S1A_T6_T7_T9_mT8_S1C_bDpT10_ENKUlT_T0_E_clISt17integral_constantIbLb1EES1O_IbLb0EEEEDaS1K_S1L_EUlS1K_E_NS1_11comp_targetILNS1_3genE2ELNS1_11target_archE906ELNS1_3gpuE6ELNS1_3repE0EEENS1_30default_config_static_selectorELNS0_4arch9wavefront6targetE0EEEvSY_, .Lfunc_end1520-_ZN7rocprim17ROCPRIM_400000_NS6detail17trampoline_kernelINS0_13select_configILj256ELj13ELNS0_17block_load_methodE3ELS4_3ELS4_3ELNS0_20block_scan_algorithmE0ELj4294967295EEENS1_25partition_config_selectorILNS1_17partition_subalgoE3EjNS0_10empty_typeEbEEZZNS1_14partition_implILS8_3ELb0ES6_jNS0_17counting_iteratorIjlEEPS9_SE_NS0_5tupleIJPjSE_EEENSF_IJSE_SE_EEES9_SG_JZNS1_25segmented_radix_sort_implINS0_14default_configELb1EPKbPbPKlPlN2at6native12_GLOBAL__N_18offset_tEEE10hipError_tPvRmT1_PNSt15iterator_traitsISY_E10value_typeET2_T3_PNSZ_IS14_E10value_typeET4_jRbjT5_S1A_jjP12ihipStream_tbEUljE_EEESV_SW_SX_S14_S18_S1A_T6_T7_T9_mT8_S1C_bDpT10_ENKUlT_T0_E_clISt17integral_constantIbLb1EES1O_IbLb0EEEEDaS1K_S1L_EUlS1K_E_NS1_11comp_targetILNS1_3genE2ELNS1_11target_archE906ELNS1_3gpuE6ELNS1_3repE0EEENS1_30default_config_static_selectorELNS0_4arch9wavefront6targetE0EEEvSY_
                                        ; -- End function
	.set _ZN7rocprim17ROCPRIM_400000_NS6detail17trampoline_kernelINS0_13select_configILj256ELj13ELNS0_17block_load_methodE3ELS4_3ELS4_3ELNS0_20block_scan_algorithmE0ELj4294967295EEENS1_25partition_config_selectorILNS1_17partition_subalgoE3EjNS0_10empty_typeEbEEZZNS1_14partition_implILS8_3ELb0ES6_jNS0_17counting_iteratorIjlEEPS9_SE_NS0_5tupleIJPjSE_EEENSF_IJSE_SE_EEES9_SG_JZNS1_25segmented_radix_sort_implINS0_14default_configELb1EPKbPbPKlPlN2at6native12_GLOBAL__N_18offset_tEEE10hipError_tPvRmT1_PNSt15iterator_traitsISY_E10value_typeET2_T3_PNSZ_IS14_E10value_typeET4_jRbjT5_S1A_jjP12ihipStream_tbEUljE_EEESV_SW_SX_S14_S18_S1A_T6_T7_T9_mT8_S1C_bDpT10_ENKUlT_T0_E_clISt17integral_constantIbLb1EES1O_IbLb0EEEEDaS1K_S1L_EUlS1K_E_NS1_11comp_targetILNS1_3genE2ELNS1_11target_archE906ELNS1_3gpuE6ELNS1_3repE0EEENS1_30default_config_static_selectorELNS0_4arch9wavefront6targetE0EEEvSY_.num_vgpr, 0
	.set _ZN7rocprim17ROCPRIM_400000_NS6detail17trampoline_kernelINS0_13select_configILj256ELj13ELNS0_17block_load_methodE3ELS4_3ELS4_3ELNS0_20block_scan_algorithmE0ELj4294967295EEENS1_25partition_config_selectorILNS1_17partition_subalgoE3EjNS0_10empty_typeEbEEZZNS1_14partition_implILS8_3ELb0ES6_jNS0_17counting_iteratorIjlEEPS9_SE_NS0_5tupleIJPjSE_EEENSF_IJSE_SE_EEES9_SG_JZNS1_25segmented_radix_sort_implINS0_14default_configELb1EPKbPbPKlPlN2at6native12_GLOBAL__N_18offset_tEEE10hipError_tPvRmT1_PNSt15iterator_traitsISY_E10value_typeET2_T3_PNSZ_IS14_E10value_typeET4_jRbjT5_S1A_jjP12ihipStream_tbEUljE_EEESV_SW_SX_S14_S18_S1A_T6_T7_T9_mT8_S1C_bDpT10_ENKUlT_T0_E_clISt17integral_constantIbLb1EES1O_IbLb0EEEEDaS1K_S1L_EUlS1K_E_NS1_11comp_targetILNS1_3genE2ELNS1_11target_archE906ELNS1_3gpuE6ELNS1_3repE0EEENS1_30default_config_static_selectorELNS0_4arch9wavefront6targetE0EEEvSY_.num_agpr, 0
	.set _ZN7rocprim17ROCPRIM_400000_NS6detail17trampoline_kernelINS0_13select_configILj256ELj13ELNS0_17block_load_methodE3ELS4_3ELS4_3ELNS0_20block_scan_algorithmE0ELj4294967295EEENS1_25partition_config_selectorILNS1_17partition_subalgoE3EjNS0_10empty_typeEbEEZZNS1_14partition_implILS8_3ELb0ES6_jNS0_17counting_iteratorIjlEEPS9_SE_NS0_5tupleIJPjSE_EEENSF_IJSE_SE_EEES9_SG_JZNS1_25segmented_radix_sort_implINS0_14default_configELb1EPKbPbPKlPlN2at6native12_GLOBAL__N_18offset_tEEE10hipError_tPvRmT1_PNSt15iterator_traitsISY_E10value_typeET2_T3_PNSZ_IS14_E10value_typeET4_jRbjT5_S1A_jjP12ihipStream_tbEUljE_EEESV_SW_SX_S14_S18_S1A_T6_T7_T9_mT8_S1C_bDpT10_ENKUlT_T0_E_clISt17integral_constantIbLb1EES1O_IbLb0EEEEDaS1K_S1L_EUlS1K_E_NS1_11comp_targetILNS1_3genE2ELNS1_11target_archE906ELNS1_3gpuE6ELNS1_3repE0EEENS1_30default_config_static_selectorELNS0_4arch9wavefront6targetE0EEEvSY_.numbered_sgpr, 0
	.set _ZN7rocprim17ROCPRIM_400000_NS6detail17trampoline_kernelINS0_13select_configILj256ELj13ELNS0_17block_load_methodE3ELS4_3ELS4_3ELNS0_20block_scan_algorithmE0ELj4294967295EEENS1_25partition_config_selectorILNS1_17partition_subalgoE3EjNS0_10empty_typeEbEEZZNS1_14partition_implILS8_3ELb0ES6_jNS0_17counting_iteratorIjlEEPS9_SE_NS0_5tupleIJPjSE_EEENSF_IJSE_SE_EEES9_SG_JZNS1_25segmented_radix_sort_implINS0_14default_configELb1EPKbPbPKlPlN2at6native12_GLOBAL__N_18offset_tEEE10hipError_tPvRmT1_PNSt15iterator_traitsISY_E10value_typeET2_T3_PNSZ_IS14_E10value_typeET4_jRbjT5_S1A_jjP12ihipStream_tbEUljE_EEESV_SW_SX_S14_S18_S1A_T6_T7_T9_mT8_S1C_bDpT10_ENKUlT_T0_E_clISt17integral_constantIbLb1EES1O_IbLb0EEEEDaS1K_S1L_EUlS1K_E_NS1_11comp_targetILNS1_3genE2ELNS1_11target_archE906ELNS1_3gpuE6ELNS1_3repE0EEENS1_30default_config_static_selectorELNS0_4arch9wavefront6targetE0EEEvSY_.num_named_barrier, 0
	.set _ZN7rocprim17ROCPRIM_400000_NS6detail17trampoline_kernelINS0_13select_configILj256ELj13ELNS0_17block_load_methodE3ELS4_3ELS4_3ELNS0_20block_scan_algorithmE0ELj4294967295EEENS1_25partition_config_selectorILNS1_17partition_subalgoE3EjNS0_10empty_typeEbEEZZNS1_14partition_implILS8_3ELb0ES6_jNS0_17counting_iteratorIjlEEPS9_SE_NS0_5tupleIJPjSE_EEENSF_IJSE_SE_EEES9_SG_JZNS1_25segmented_radix_sort_implINS0_14default_configELb1EPKbPbPKlPlN2at6native12_GLOBAL__N_18offset_tEEE10hipError_tPvRmT1_PNSt15iterator_traitsISY_E10value_typeET2_T3_PNSZ_IS14_E10value_typeET4_jRbjT5_S1A_jjP12ihipStream_tbEUljE_EEESV_SW_SX_S14_S18_S1A_T6_T7_T9_mT8_S1C_bDpT10_ENKUlT_T0_E_clISt17integral_constantIbLb1EES1O_IbLb0EEEEDaS1K_S1L_EUlS1K_E_NS1_11comp_targetILNS1_3genE2ELNS1_11target_archE906ELNS1_3gpuE6ELNS1_3repE0EEENS1_30default_config_static_selectorELNS0_4arch9wavefront6targetE0EEEvSY_.private_seg_size, 0
	.set _ZN7rocprim17ROCPRIM_400000_NS6detail17trampoline_kernelINS0_13select_configILj256ELj13ELNS0_17block_load_methodE3ELS4_3ELS4_3ELNS0_20block_scan_algorithmE0ELj4294967295EEENS1_25partition_config_selectorILNS1_17partition_subalgoE3EjNS0_10empty_typeEbEEZZNS1_14partition_implILS8_3ELb0ES6_jNS0_17counting_iteratorIjlEEPS9_SE_NS0_5tupleIJPjSE_EEENSF_IJSE_SE_EEES9_SG_JZNS1_25segmented_radix_sort_implINS0_14default_configELb1EPKbPbPKlPlN2at6native12_GLOBAL__N_18offset_tEEE10hipError_tPvRmT1_PNSt15iterator_traitsISY_E10value_typeET2_T3_PNSZ_IS14_E10value_typeET4_jRbjT5_S1A_jjP12ihipStream_tbEUljE_EEESV_SW_SX_S14_S18_S1A_T6_T7_T9_mT8_S1C_bDpT10_ENKUlT_T0_E_clISt17integral_constantIbLb1EES1O_IbLb0EEEEDaS1K_S1L_EUlS1K_E_NS1_11comp_targetILNS1_3genE2ELNS1_11target_archE906ELNS1_3gpuE6ELNS1_3repE0EEENS1_30default_config_static_selectorELNS0_4arch9wavefront6targetE0EEEvSY_.uses_vcc, 0
	.set _ZN7rocprim17ROCPRIM_400000_NS6detail17trampoline_kernelINS0_13select_configILj256ELj13ELNS0_17block_load_methodE3ELS4_3ELS4_3ELNS0_20block_scan_algorithmE0ELj4294967295EEENS1_25partition_config_selectorILNS1_17partition_subalgoE3EjNS0_10empty_typeEbEEZZNS1_14partition_implILS8_3ELb0ES6_jNS0_17counting_iteratorIjlEEPS9_SE_NS0_5tupleIJPjSE_EEENSF_IJSE_SE_EEES9_SG_JZNS1_25segmented_radix_sort_implINS0_14default_configELb1EPKbPbPKlPlN2at6native12_GLOBAL__N_18offset_tEEE10hipError_tPvRmT1_PNSt15iterator_traitsISY_E10value_typeET2_T3_PNSZ_IS14_E10value_typeET4_jRbjT5_S1A_jjP12ihipStream_tbEUljE_EEESV_SW_SX_S14_S18_S1A_T6_T7_T9_mT8_S1C_bDpT10_ENKUlT_T0_E_clISt17integral_constantIbLb1EES1O_IbLb0EEEEDaS1K_S1L_EUlS1K_E_NS1_11comp_targetILNS1_3genE2ELNS1_11target_archE906ELNS1_3gpuE6ELNS1_3repE0EEENS1_30default_config_static_selectorELNS0_4arch9wavefront6targetE0EEEvSY_.uses_flat_scratch, 0
	.set _ZN7rocprim17ROCPRIM_400000_NS6detail17trampoline_kernelINS0_13select_configILj256ELj13ELNS0_17block_load_methodE3ELS4_3ELS4_3ELNS0_20block_scan_algorithmE0ELj4294967295EEENS1_25partition_config_selectorILNS1_17partition_subalgoE3EjNS0_10empty_typeEbEEZZNS1_14partition_implILS8_3ELb0ES6_jNS0_17counting_iteratorIjlEEPS9_SE_NS0_5tupleIJPjSE_EEENSF_IJSE_SE_EEES9_SG_JZNS1_25segmented_radix_sort_implINS0_14default_configELb1EPKbPbPKlPlN2at6native12_GLOBAL__N_18offset_tEEE10hipError_tPvRmT1_PNSt15iterator_traitsISY_E10value_typeET2_T3_PNSZ_IS14_E10value_typeET4_jRbjT5_S1A_jjP12ihipStream_tbEUljE_EEESV_SW_SX_S14_S18_S1A_T6_T7_T9_mT8_S1C_bDpT10_ENKUlT_T0_E_clISt17integral_constantIbLb1EES1O_IbLb0EEEEDaS1K_S1L_EUlS1K_E_NS1_11comp_targetILNS1_3genE2ELNS1_11target_archE906ELNS1_3gpuE6ELNS1_3repE0EEENS1_30default_config_static_selectorELNS0_4arch9wavefront6targetE0EEEvSY_.has_dyn_sized_stack, 0
	.set _ZN7rocprim17ROCPRIM_400000_NS6detail17trampoline_kernelINS0_13select_configILj256ELj13ELNS0_17block_load_methodE3ELS4_3ELS4_3ELNS0_20block_scan_algorithmE0ELj4294967295EEENS1_25partition_config_selectorILNS1_17partition_subalgoE3EjNS0_10empty_typeEbEEZZNS1_14partition_implILS8_3ELb0ES6_jNS0_17counting_iteratorIjlEEPS9_SE_NS0_5tupleIJPjSE_EEENSF_IJSE_SE_EEES9_SG_JZNS1_25segmented_radix_sort_implINS0_14default_configELb1EPKbPbPKlPlN2at6native12_GLOBAL__N_18offset_tEEE10hipError_tPvRmT1_PNSt15iterator_traitsISY_E10value_typeET2_T3_PNSZ_IS14_E10value_typeET4_jRbjT5_S1A_jjP12ihipStream_tbEUljE_EEESV_SW_SX_S14_S18_S1A_T6_T7_T9_mT8_S1C_bDpT10_ENKUlT_T0_E_clISt17integral_constantIbLb1EES1O_IbLb0EEEEDaS1K_S1L_EUlS1K_E_NS1_11comp_targetILNS1_3genE2ELNS1_11target_archE906ELNS1_3gpuE6ELNS1_3repE0EEENS1_30default_config_static_selectorELNS0_4arch9wavefront6targetE0EEEvSY_.has_recursion, 0
	.set _ZN7rocprim17ROCPRIM_400000_NS6detail17trampoline_kernelINS0_13select_configILj256ELj13ELNS0_17block_load_methodE3ELS4_3ELS4_3ELNS0_20block_scan_algorithmE0ELj4294967295EEENS1_25partition_config_selectorILNS1_17partition_subalgoE3EjNS0_10empty_typeEbEEZZNS1_14partition_implILS8_3ELb0ES6_jNS0_17counting_iteratorIjlEEPS9_SE_NS0_5tupleIJPjSE_EEENSF_IJSE_SE_EEES9_SG_JZNS1_25segmented_radix_sort_implINS0_14default_configELb1EPKbPbPKlPlN2at6native12_GLOBAL__N_18offset_tEEE10hipError_tPvRmT1_PNSt15iterator_traitsISY_E10value_typeET2_T3_PNSZ_IS14_E10value_typeET4_jRbjT5_S1A_jjP12ihipStream_tbEUljE_EEESV_SW_SX_S14_S18_S1A_T6_T7_T9_mT8_S1C_bDpT10_ENKUlT_T0_E_clISt17integral_constantIbLb1EES1O_IbLb0EEEEDaS1K_S1L_EUlS1K_E_NS1_11comp_targetILNS1_3genE2ELNS1_11target_archE906ELNS1_3gpuE6ELNS1_3repE0EEENS1_30default_config_static_selectorELNS0_4arch9wavefront6targetE0EEEvSY_.has_indirect_call, 0
	.section	.AMDGPU.csdata,"",@progbits
; Kernel info:
; codeLenInByte = 0
; TotalNumSgprs: 0
; NumVgprs: 0
; ScratchSize: 0
; MemoryBound: 0
; FloatMode: 240
; IeeeMode: 1
; LDSByteSize: 0 bytes/workgroup (compile time only)
; SGPRBlocks: 0
; VGPRBlocks: 0
; NumSGPRsForWavesPerEU: 1
; NumVGPRsForWavesPerEU: 1
; Occupancy: 16
; WaveLimiterHint : 0
; COMPUTE_PGM_RSRC2:SCRATCH_EN: 0
; COMPUTE_PGM_RSRC2:USER_SGPR: 2
; COMPUTE_PGM_RSRC2:TRAP_HANDLER: 0
; COMPUTE_PGM_RSRC2:TGID_X_EN: 1
; COMPUTE_PGM_RSRC2:TGID_Y_EN: 0
; COMPUTE_PGM_RSRC2:TGID_Z_EN: 0
; COMPUTE_PGM_RSRC2:TIDIG_COMP_CNT: 0
	.section	.text._ZN7rocprim17ROCPRIM_400000_NS6detail17trampoline_kernelINS0_13select_configILj256ELj13ELNS0_17block_load_methodE3ELS4_3ELS4_3ELNS0_20block_scan_algorithmE0ELj4294967295EEENS1_25partition_config_selectorILNS1_17partition_subalgoE3EjNS0_10empty_typeEbEEZZNS1_14partition_implILS8_3ELb0ES6_jNS0_17counting_iteratorIjlEEPS9_SE_NS0_5tupleIJPjSE_EEENSF_IJSE_SE_EEES9_SG_JZNS1_25segmented_radix_sort_implINS0_14default_configELb1EPKbPbPKlPlN2at6native12_GLOBAL__N_18offset_tEEE10hipError_tPvRmT1_PNSt15iterator_traitsISY_E10value_typeET2_T3_PNSZ_IS14_E10value_typeET4_jRbjT5_S1A_jjP12ihipStream_tbEUljE_EEESV_SW_SX_S14_S18_S1A_T6_T7_T9_mT8_S1C_bDpT10_ENKUlT_T0_E_clISt17integral_constantIbLb1EES1O_IbLb0EEEEDaS1K_S1L_EUlS1K_E_NS1_11comp_targetILNS1_3genE10ELNS1_11target_archE1200ELNS1_3gpuE4ELNS1_3repE0EEENS1_30default_config_static_selectorELNS0_4arch9wavefront6targetE0EEEvSY_,"axG",@progbits,_ZN7rocprim17ROCPRIM_400000_NS6detail17trampoline_kernelINS0_13select_configILj256ELj13ELNS0_17block_load_methodE3ELS4_3ELS4_3ELNS0_20block_scan_algorithmE0ELj4294967295EEENS1_25partition_config_selectorILNS1_17partition_subalgoE3EjNS0_10empty_typeEbEEZZNS1_14partition_implILS8_3ELb0ES6_jNS0_17counting_iteratorIjlEEPS9_SE_NS0_5tupleIJPjSE_EEENSF_IJSE_SE_EEES9_SG_JZNS1_25segmented_radix_sort_implINS0_14default_configELb1EPKbPbPKlPlN2at6native12_GLOBAL__N_18offset_tEEE10hipError_tPvRmT1_PNSt15iterator_traitsISY_E10value_typeET2_T3_PNSZ_IS14_E10value_typeET4_jRbjT5_S1A_jjP12ihipStream_tbEUljE_EEESV_SW_SX_S14_S18_S1A_T6_T7_T9_mT8_S1C_bDpT10_ENKUlT_T0_E_clISt17integral_constantIbLb1EES1O_IbLb0EEEEDaS1K_S1L_EUlS1K_E_NS1_11comp_targetILNS1_3genE10ELNS1_11target_archE1200ELNS1_3gpuE4ELNS1_3repE0EEENS1_30default_config_static_selectorELNS0_4arch9wavefront6targetE0EEEvSY_,comdat
	.globl	_ZN7rocprim17ROCPRIM_400000_NS6detail17trampoline_kernelINS0_13select_configILj256ELj13ELNS0_17block_load_methodE3ELS4_3ELS4_3ELNS0_20block_scan_algorithmE0ELj4294967295EEENS1_25partition_config_selectorILNS1_17partition_subalgoE3EjNS0_10empty_typeEbEEZZNS1_14partition_implILS8_3ELb0ES6_jNS0_17counting_iteratorIjlEEPS9_SE_NS0_5tupleIJPjSE_EEENSF_IJSE_SE_EEES9_SG_JZNS1_25segmented_radix_sort_implINS0_14default_configELb1EPKbPbPKlPlN2at6native12_GLOBAL__N_18offset_tEEE10hipError_tPvRmT1_PNSt15iterator_traitsISY_E10value_typeET2_T3_PNSZ_IS14_E10value_typeET4_jRbjT5_S1A_jjP12ihipStream_tbEUljE_EEESV_SW_SX_S14_S18_S1A_T6_T7_T9_mT8_S1C_bDpT10_ENKUlT_T0_E_clISt17integral_constantIbLb1EES1O_IbLb0EEEEDaS1K_S1L_EUlS1K_E_NS1_11comp_targetILNS1_3genE10ELNS1_11target_archE1200ELNS1_3gpuE4ELNS1_3repE0EEENS1_30default_config_static_selectorELNS0_4arch9wavefront6targetE0EEEvSY_ ; -- Begin function _ZN7rocprim17ROCPRIM_400000_NS6detail17trampoline_kernelINS0_13select_configILj256ELj13ELNS0_17block_load_methodE3ELS4_3ELS4_3ELNS0_20block_scan_algorithmE0ELj4294967295EEENS1_25partition_config_selectorILNS1_17partition_subalgoE3EjNS0_10empty_typeEbEEZZNS1_14partition_implILS8_3ELb0ES6_jNS0_17counting_iteratorIjlEEPS9_SE_NS0_5tupleIJPjSE_EEENSF_IJSE_SE_EEES9_SG_JZNS1_25segmented_radix_sort_implINS0_14default_configELb1EPKbPbPKlPlN2at6native12_GLOBAL__N_18offset_tEEE10hipError_tPvRmT1_PNSt15iterator_traitsISY_E10value_typeET2_T3_PNSZ_IS14_E10value_typeET4_jRbjT5_S1A_jjP12ihipStream_tbEUljE_EEESV_SW_SX_S14_S18_S1A_T6_T7_T9_mT8_S1C_bDpT10_ENKUlT_T0_E_clISt17integral_constantIbLb1EES1O_IbLb0EEEEDaS1K_S1L_EUlS1K_E_NS1_11comp_targetILNS1_3genE10ELNS1_11target_archE1200ELNS1_3gpuE4ELNS1_3repE0EEENS1_30default_config_static_selectorELNS0_4arch9wavefront6targetE0EEEvSY_
	.p2align	8
	.type	_ZN7rocprim17ROCPRIM_400000_NS6detail17trampoline_kernelINS0_13select_configILj256ELj13ELNS0_17block_load_methodE3ELS4_3ELS4_3ELNS0_20block_scan_algorithmE0ELj4294967295EEENS1_25partition_config_selectorILNS1_17partition_subalgoE3EjNS0_10empty_typeEbEEZZNS1_14partition_implILS8_3ELb0ES6_jNS0_17counting_iteratorIjlEEPS9_SE_NS0_5tupleIJPjSE_EEENSF_IJSE_SE_EEES9_SG_JZNS1_25segmented_radix_sort_implINS0_14default_configELb1EPKbPbPKlPlN2at6native12_GLOBAL__N_18offset_tEEE10hipError_tPvRmT1_PNSt15iterator_traitsISY_E10value_typeET2_T3_PNSZ_IS14_E10value_typeET4_jRbjT5_S1A_jjP12ihipStream_tbEUljE_EEESV_SW_SX_S14_S18_S1A_T6_T7_T9_mT8_S1C_bDpT10_ENKUlT_T0_E_clISt17integral_constantIbLb1EES1O_IbLb0EEEEDaS1K_S1L_EUlS1K_E_NS1_11comp_targetILNS1_3genE10ELNS1_11target_archE1200ELNS1_3gpuE4ELNS1_3repE0EEENS1_30default_config_static_selectorELNS0_4arch9wavefront6targetE0EEEvSY_,@function
_ZN7rocprim17ROCPRIM_400000_NS6detail17trampoline_kernelINS0_13select_configILj256ELj13ELNS0_17block_load_methodE3ELS4_3ELS4_3ELNS0_20block_scan_algorithmE0ELj4294967295EEENS1_25partition_config_selectorILNS1_17partition_subalgoE3EjNS0_10empty_typeEbEEZZNS1_14partition_implILS8_3ELb0ES6_jNS0_17counting_iteratorIjlEEPS9_SE_NS0_5tupleIJPjSE_EEENSF_IJSE_SE_EEES9_SG_JZNS1_25segmented_radix_sort_implINS0_14default_configELb1EPKbPbPKlPlN2at6native12_GLOBAL__N_18offset_tEEE10hipError_tPvRmT1_PNSt15iterator_traitsISY_E10value_typeET2_T3_PNSZ_IS14_E10value_typeET4_jRbjT5_S1A_jjP12ihipStream_tbEUljE_EEESV_SW_SX_S14_S18_S1A_T6_T7_T9_mT8_S1C_bDpT10_ENKUlT_T0_E_clISt17integral_constantIbLb1EES1O_IbLb0EEEEDaS1K_S1L_EUlS1K_E_NS1_11comp_targetILNS1_3genE10ELNS1_11target_archE1200ELNS1_3gpuE4ELNS1_3repE0EEENS1_30default_config_static_selectorELNS0_4arch9wavefront6targetE0EEEvSY_: ; @_ZN7rocprim17ROCPRIM_400000_NS6detail17trampoline_kernelINS0_13select_configILj256ELj13ELNS0_17block_load_methodE3ELS4_3ELS4_3ELNS0_20block_scan_algorithmE0ELj4294967295EEENS1_25partition_config_selectorILNS1_17partition_subalgoE3EjNS0_10empty_typeEbEEZZNS1_14partition_implILS8_3ELb0ES6_jNS0_17counting_iteratorIjlEEPS9_SE_NS0_5tupleIJPjSE_EEENSF_IJSE_SE_EEES9_SG_JZNS1_25segmented_radix_sort_implINS0_14default_configELb1EPKbPbPKlPlN2at6native12_GLOBAL__N_18offset_tEEE10hipError_tPvRmT1_PNSt15iterator_traitsISY_E10value_typeET2_T3_PNSZ_IS14_E10value_typeET4_jRbjT5_S1A_jjP12ihipStream_tbEUljE_EEESV_SW_SX_S14_S18_S1A_T6_T7_T9_mT8_S1C_bDpT10_ENKUlT_T0_E_clISt17integral_constantIbLb1EES1O_IbLb0EEEEDaS1K_S1L_EUlS1K_E_NS1_11comp_targetILNS1_3genE10ELNS1_11target_archE1200ELNS1_3gpuE4ELNS1_3repE0EEENS1_30default_config_static_selectorELNS0_4arch9wavefront6targetE0EEEvSY_
; %bb.0:
	s_endpgm
	.section	.rodata,"a",@progbits
	.p2align	6, 0x0
	.amdhsa_kernel _ZN7rocprim17ROCPRIM_400000_NS6detail17trampoline_kernelINS0_13select_configILj256ELj13ELNS0_17block_load_methodE3ELS4_3ELS4_3ELNS0_20block_scan_algorithmE0ELj4294967295EEENS1_25partition_config_selectorILNS1_17partition_subalgoE3EjNS0_10empty_typeEbEEZZNS1_14partition_implILS8_3ELb0ES6_jNS0_17counting_iteratorIjlEEPS9_SE_NS0_5tupleIJPjSE_EEENSF_IJSE_SE_EEES9_SG_JZNS1_25segmented_radix_sort_implINS0_14default_configELb1EPKbPbPKlPlN2at6native12_GLOBAL__N_18offset_tEEE10hipError_tPvRmT1_PNSt15iterator_traitsISY_E10value_typeET2_T3_PNSZ_IS14_E10value_typeET4_jRbjT5_S1A_jjP12ihipStream_tbEUljE_EEESV_SW_SX_S14_S18_S1A_T6_T7_T9_mT8_S1C_bDpT10_ENKUlT_T0_E_clISt17integral_constantIbLb1EES1O_IbLb0EEEEDaS1K_S1L_EUlS1K_E_NS1_11comp_targetILNS1_3genE10ELNS1_11target_archE1200ELNS1_3gpuE4ELNS1_3repE0EEENS1_30default_config_static_selectorELNS0_4arch9wavefront6targetE0EEEvSY_
		.amdhsa_group_segment_fixed_size 0
		.amdhsa_private_segment_fixed_size 0
		.amdhsa_kernarg_size 144
		.amdhsa_user_sgpr_count 2
		.amdhsa_user_sgpr_dispatch_ptr 0
		.amdhsa_user_sgpr_queue_ptr 0
		.amdhsa_user_sgpr_kernarg_segment_ptr 1
		.amdhsa_user_sgpr_dispatch_id 0
		.amdhsa_user_sgpr_private_segment_size 0
		.amdhsa_wavefront_size32 1
		.amdhsa_uses_dynamic_stack 0
		.amdhsa_enable_private_segment 0
		.amdhsa_system_sgpr_workgroup_id_x 1
		.amdhsa_system_sgpr_workgroup_id_y 0
		.amdhsa_system_sgpr_workgroup_id_z 0
		.amdhsa_system_sgpr_workgroup_info 0
		.amdhsa_system_vgpr_workitem_id 0
		.amdhsa_next_free_vgpr 1
		.amdhsa_next_free_sgpr 1
		.amdhsa_reserve_vcc 0
		.amdhsa_float_round_mode_32 0
		.amdhsa_float_round_mode_16_64 0
		.amdhsa_float_denorm_mode_32 3
		.amdhsa_float_denorm_mode_16_64 3
		.amdhsa_fp16_overflow 0
		.amdhsa_workgroup_processor_mode 1
		.amdhsa_memory_ordered 1
		.amdhsa_forward_progress 1
		.amdhsa_inst_pref_size 1
		.amdhsa_round_robin_scheduling 0
		.amdhsa_exception_fp_ieee_invalid_op 0
		.amdhsa_exception_fp_denorm_src 0
		.amdhsa_exception_fp_ieee_div_zero 0
		.amdhsa_exception_fp_ieee_overflow 0
		.amdhsa_exception_fp_ieee_underflow 0
		.amdhsa_exception_fp_ieee_inexact 0
		.amdhsa_exception_int_div_zero 0
	.end_amdhsa_kernel
	.section	.text._ZN7rocprim17ROCPRIM_400000_NS6detail17trampoline_kernelINS0_13select_configILj256ELj13ELNS0_17block_load_methodE3ELS4_3ELS4_3ELNS0_20block_scan_algorithmE0ELj4294967295EEENS1_25partition_config_selectorILNS1_17partition_subalgoE3EjNS0_10empty_typeEbEEZZNS1_14partition_implILS8_3ELb0ES6_jNS0_17counting_iteratorIjlEEPS9_SE_NS0_5tupleIJPjSE_EEENSF_IJSE_SE_EEES9_SG_JZNS1_25segmented_radix_sort_implINS0_14default_configELb1EPKbPbPKlPlN2at6native12_GLOBAL__N_18offset_tEEE10hipError_tPvRmT1_PNSt15iterator_traitsISY_E10value_typeET2_T3_PNSZ_IS14_E10value_typeET4_jRbjT5_S1A_jjP12ihipStream_tbEUljE_EEESV_SW_SX_S14_S18_S1A_T6_T7_T9_mT8_S1C_bDpT10_ENKUlT_T0_E_clISt17integral_constantIbLb1EES1O_IbLb0EEEEDaS1K_S1L_EUlS1K_E_NS1_11comp_targetILNS1_3genE10ELNS1_11target_archE1200ELNS1_3gpuE4ELNS1_3repE0EEENS1_30default_config_static_selectorELNS0_4arch9wavefront6targetE0EEEvSY_,"axG",@progbits,_ZN7rocprim17ROCPRIM_400000_NS6detail17trampoline_kernelINS0_13select_configILj256ELj13ELNS0_17block_load_methodE3ELS4_3ELS4_3ELNS0_20block_scan_algorithmE0ELj4294967295EEENS1_25partition_config_selectorILNS1_17partition_subalgoE3EjNS0_10empty_typeEbEEZZNS1_14partition_implILS8_3ELb0ES6_jNS0_17counting_iteratorIjlEEPS9_SE_NS0_5tupleIJPjSE_EEENSF_IJSE_SE_EEES9_SG_JZNS1_25segmented_radix_sort_implINS0_14default_configELb1EPKbPbPKlPlN2at6native12_GLOBAL__N_18offset_tEEE10hipError_tPvRmT1_PNSt15iterator_traitsISY_E10value_typeET2_T3_PNSZ_IS14_E10value_typeET4_jRbjT5_S1A_jjP12ihipStream_tbEUljE_EEESV_SW_SX_S14_S18_S1A_T6_T7_T9_mT8_S1C_bDpT10_ENKUlT_T0_E_clISt17integral_constantIbLb1EES1O_IbLb0EEEEDaS1K_S1L_EUlS1K_E_NS1_11comp_targetILNS1_3genE10ELNS1_11target_archE1200ELNS1_3gpuE4ELNS1_3repE0EEENS1_30default_config_static_selectorELNS0_4arch9wavefront6targetE0EEEvSY_,comdat
.Lfunc_end1521:
	.size	_ZN7rocprim17ROCPRIM_400000_NS6detail17trampoline_kernelINS0_13select_configILj256ELj13ELNS0_17block_load_methodE3ELS4_3ELS4_3ELNS0_20block_scan_algorithmE0ELj4294967295EEENS1_25partition_config_selectorILNS1_17partition_subalgoE3EjNS0_10empty_typeEbEEZZNS1_14partition_implILS8_3ELb0ES6_jNS0_17counting_iteratorIjlEEPS9_SE_NS0_5tupleIJPjSE_EEENSF_IJSE_SE_EEES9_SG_JZNS1_25segmented_radix_sort_implINS0_14default_configELb1EPKbPbPKlPlN2at6native12_GLOBAL__N_18offset_tEEE10hipError_tPvRmT1_PNSt15iterator_traitsISY_E10value_typeET2_T3_PNSZ_IS14_E10value_typeET4_jRbjT5_S1A_jjP12ihipStream_tbEUljE_EEESV_SW_SX_S14_S18_S1A_T6_T7_T9_mT8_S1C_bDpT10_ENKUlT_T0_E_clISt17integral_constantIbLb1EES1O_IbLb0EEEEDaS1K_S1L_EUlS1K_E_NS1_11comp_targetILNS1_3genE10ELNS1_11target_archE1200ELNS1_3gpuE4ELNS1_3repE0EEENS1_30default_config_static_selectorELNS0_4arch9wavefront6targetE0EEEvSY_, .Lfunc_end1521-_ZN7rocprim17ROCPRIM_400000_NS6detail17trampoline_kernelINS0_13select_configILj256ELj13ELNS0_17block_load_methodE3ELS4_3ELS4_3ELNS0_20block_scan_algorithmE0ELj4294967295EEENS1_25partition_config_selectorILNS1_17partition_subalgoE3EjNS0_10empty_typeEbEEZZNS1_14partition_implILS8_3ELb0ES6_jNS0_17counting_iteratorIjlEEPS9_SE_NS0_5tupleIJPjSE_EEENSF_IJSE_SE_EEES9_SG_JZNS1_25segmented_radix_sort_implINS0_14default_configELb1EPKbPbPKlPlN2at6native12_GLOBAL__N_18offset_tEEE10hipError_tPvRmT1_PNSt15iterator_traitsISY_E10value_typeET2_T3_PNSZ_IS14_E10value_typeET4_jRbjT5_S1A_jjP12ihipStream_tbEUljE_EEESV_SW_SX_S14_S18_S1A_T6_T7_T9_mT8_S1C_bDpT10_ENKUlT_T0_E_clISt17integral_constantIbLb1EES1O_IbLb0EEEEDaS1K_S1L_EUlS1K_E_NS1_11comp_targetILNS1_3genE10ELNS1_11target_archE1200ELNS1_3gpuE4ELNS1_3repE0EEENS1_30default_config_static_selectorELNS0_4arch9wavefront6targetE0EEEvSY_
                                        ; -- End function
	.set _ZN7rocprim17ROCPRIM_400000_NS6detail17trampoline_kernelINS0_13select_configILj256ELj13ELNS0_17block_load_methodE3ELS4_3ELS4_3ELNS0_20block_scan_algorithmE0ELj4294967295EEENS1_25partition_config_selectorILNS1_17partition_subalgoE3EjNS0_10empty_typeEbEEZZNS1_14partition_implILS8_3ELb0ES6_jNS0_17counting_iteratorIjlEEPS9_SE_NS0_5tupleIJPjSE_EEENSF_IJSE_SE_EEES9_SG_JZNS1_25segmented_radix_sort_implINS0_14default_configELb1EPKbPbPKlPlN2at6native12_GLOBAL__N_18offset_tEEE10hipError_tPvRmT1_PNSt15iterator_traitsISY_E10value_typeET2_T3_PNSZ_IS14_E10value_typeET4_jRbjT5_S1A_jjP12ihipStream_tbEUljE_EEESV_SW_SX_S14_S18_S1A_T6_T7_T9_mT8_S1C_bDpT10_ENKUlT_T0_E_clISt17integral_constantIbLb1EES1O_IbLb0EEEEDaS1K_S1L_EUlS1K_E_NS1_11comp_targetILNS1_3genE10ELNS1_11target_archE1200ELNS1_3gpuE4ELNS1_3repE0EEENS1_30default_config_static_selectorELNS0_4arch9wavefront6targetE0EEEvSY_.num_vgpr, 0
	.set _ZN7rocprim17ROCPRIM_400000_NS6detail17trampoline_kernelINS0_13select_configILj256ELj13ELNS0_17block_load_methodE3ELS4_3ELS4_3ELNS0_20block_scan_algorithmE0ELj4294967295EEENS1_25partition_config_selectorILNS1_17partition_subalgoE3EjNS0_10empty_typeEbEEZZNS1_14partition_implILS8_3ELb0ES6_jNS0_17counting_iteratorIjlEEPS9_SE_NS0_5tupleIJPjSE_EEENSF_IJSE_SE_EEES9_SG_JZNS1_25segmented_radix_sort_implINS0_14default_configELb1EPKbPbPKlPlN2at6native12_GLOBAL__N_18offset_tEEE10hipError_tPvRmT1_PNSt15iterator_traitsISY_E10value_typeET2_T3_PNSZ_IS14_E10value_typeET4_jRbjT5_S1A_jjP12ihipStream_tbEUljE_EEESV_SW_SX_S14_S18_S1A_T6_T7_T9_mT8_S1C_bDpT10_ENKUlT_T0_E_clISt17integral_constantIbLb1EES1O_IbLb0EEEEDaS1K_S1L_EUlS1K_E_NS1_11comp_targetILNS1_3genE10ELNS1_11target_archE1200ELNS1_3gpuE4ELNS1_3repE0EEENS1_30default_config_static_selectorELNS0_4arch9wavefront6targetE0EEEvSY_.num_agpr, 0
	.set _ZN7rocprim17ROCPRIM_400000_NS6detail17trampoline_kernelINS0_13select_configILj256ELj13ELNS0_17block_load_methodE3ELS4_3ELS4_3ELNS0_20block_scan_algorithmE0ELj4294967295EEENS1_25partition_config_selectorILNS1_17partition_subalgoE3EjNS0_10empty_typeEbEEZZNS1_14partition_implILS8_3ELb0ES6_jNS0_17counting_iteratorIjlEEPS9_SE_NS0_5tupleIJPjSE_EEENSF_IJSE_SE_EEES9_SG_JZNS1_25segmented_radix_sort_implINS0_14default_configELb1EPKbPbPKlPlN2at6native12_GLOBAL__N_18offset_tEEE10hipError_tPvRmT1_PNSt15iterator_traitsISY_E10value_typeET2_T3_PNSZ_IS14_E10value_typeET4_jRbjT5_S1A_jjP12ihipStream_tbEUljE_EEESV_SW_SX_S14_S18_S1A_T6_T7_T9_mT8_S1C_bDpT10_ENKUlT_T0_E_clISt17integral_constantIbLb1EES1O_IbLb0EEEEDaS1K_S1L_EUlS1K_E_NS1_11comp_targetILNS1_3genE10ELNS1_11target_archE1200ELNS1_3gpuE4ELNS1_3repE0EEENS1_30default_config_static_selectorELNS0_4arch9wavefront6targetE0EEEvSY_.numbered_sgpr, 0
	.set _ZN7rocprim17ROCPRIM_400000_NS6detail17trampoline_kernelINS0_13select_configILj256ELj13ELNS0_17block_load_methodE3ELS4_3ELS4_3ELNS0_20block_scan_algorithmE0ELj4294967295EEENS1_25partition_config_selectorILNS1_17partition_subalgoE3EjNS0_10empty_typeEbEEZZNS1_14partition_implILS8_3ELb0ES6_jNS0_17counting_iteratorIjlEEPS9_SE_NS0_5tupleIJPjSE_EEENSF_IJSE_SE_EEES9_SG_JZNS1_25segmented_radix_sort_implINS0_14default_configELb1EPKbPbPKlPlN2at6native12_GLOBAL__N_18offset_tEEE10hipError_tPvRmT1_PNSt15iterator_traitsISY_E10value_typeET2_T3_PNSZ_IS14_E10value_typeET4_jRbjT5_S1A_jjP12ihipStream_tbEUljE_EEESV_SW_SX_S14_S18_S1A_T6_T7_T9_mT8_S1C_bDpT10_ENKUlT_T0_E_clISt17integral_constantIbLb1EES1O_IbLb0EEEEDaS1K_S1L_EUlS1K_E_NS1_11comp_targetILNS1_3genE10ELNS1_11target_archE1200ELNS1_3gpuE4ELNS1_3repE0EEENS1_30default_config_static_selectorELNS0_4arch9wavefront6targetE0EEEvSY_.num_named_barrier, 0
	.set _ZN7rocprim17ROCPRIM_400000_NS6detail17trampoline_kernelINS0_13select_configILj256ELj13ELNS0_17block_load_methodE3ELS4_3ELS4_3ELNS0_20block_scan_algorithmE0ELj4294967295EEENS1_25partition_config_selectorILNS1_17partition_subalgoE3EjNS0_10empty_typeEbEEZZNS1_14partition_implILS8_3ELb0ES6_jNS0_17counting_iteratorIjlEEPS9_SE_NS0_5tupleIJPjSE_EEENSF_IJSE_SE_EEES9_SG_JZNS1_25segmented_radix_sort_implINS0_14default_configELb1EPKbPbPKlPlN2at6native12_GLOBAL__N_18offset_tEEE10hipError_tPvRmT1_PNSt15iterator_traitsISY_E10value_typeET2_T3_PNSZ_IS14_E10value_typeET4_jRbjT5_S1A_jjP12ihipStream_tbEUljE_EEESV_SW_SX_S14_S18_S1A_T6_T7_T9_mT8_S1C_bDpT10_ENKUlT_T0_E_clISt17integral_constantIbLb1EES1O_IbLb0EEEEDaS1K_S1L_EUlS1K_E_NS1_11comp_targetILNS1_3genE10ELNS1_11target_archE1200ELNS1_3gpuE4ELNS1_3repE0EEENS1_30default_config_static_selectorELNS0_4arch9wavefront6targetE0EEEvSY_.private_seg_size, 0
	.set _ZN7rocprim17ROCPRIM_400000_NS6detail17trampoline_kernelINS0_13select_configILj256ELj13ELNS0_17block_load_methodE3ELS4_3ELS4_3ELNS0_20block_scan_algorithmE0ELj4294967295EEENS1_25partition_config_selectorILNS1_17partition_subalgoE3EjNS0_10empty_typeEbEEZZNS1_14partition_implILS8_3ELb0ES6_jNS0_17counting_iteratorIjlEEPS9_SE_NS0_5tupleIJPjSE_EEENSF_IJSE_SE_EEES9_SG_JZNS1_25segmented_radix_sort_implINS0_14default_configELb1EPKbPbPKlPlN2at6native12_GLOBAL__N_18offset_tEEE10hipError_tPvRmT1_PNSt15iterator_traitsISY_E10value_typeET2_T3_PNSZ_IS14_E10value_typeET4_jRbjT5_S1A_jjP12ihipStream_tbEUljE_EEESV_SW_SX_S14_S18_S1A_T6_T7_T9_mT8_S1C_bDpT10_ENKUlT_T0_E_clISt17integral_constantIbLb1EES1O_IbLb0EEEEDaS1K_S1L_EUlS1K_E_NS1_11comp_targetILNS1_3genE10ELNS1_11target_archE1200ELNS1_3gpuE4ELNS1_3repE0EEENS1_30default_config_static_selectorELNS0_4arch9wavefront6targetE0EEEvSY_.uses_vcc, 0
	.set _ZN7rocprim17ROCPRIM_400000_NS6detail17trampoline_kernelINS0_13select_configILj256ELj13ELNS0_17block_load_methodE3ELS4_3ELS4_3ELNS0_20block_scan_algorithmE0ELj4294967295EEENS1_25partition_config_selectorILNS1_17partition_subalgoE3EjNS0_10empty_typeEbEEZZNS1_14partition_implILS8_3ELb0ES6_jNS0_17counting_iteratorIjlEEPS9_SE_NS0_5tupleIJPjSE_EEENSF_IJSE_SE_EEES9_SG_JZNS1_25segmented_radix_sort_implINS0_14default_configELb1EPKbPbPKlPlN2at6native12_GLOBAL__N_18offset_tEEE10hipError_tPvRmT1_PNSt15iterator_traitsISY_E10value_typeET2_T3_PNSZ_IS14_E10value_typeET4_jRbjT5_S1A_jjP12ihipStream_tbEUljE_EEESV_SW_SX_S14_S18_S1A_T6_T7_T9_mT8_S1C_bDpT10_ENKUlT_T0_E_clISt17integral_constantIbLb1EES1O_IbLb0EEEEDaS1K_S1L_EUlS1K_E_NS1_11comp_targetILNS1_3genE10ELNS1_11target_archE1200ELNS1_3gpuE4ELNS1_3repE0EEENS1_30default_config_static_selectorELNS0_4arch9wavefront6targetE0EEEvSY_.uses_flat_scratch, 0
	.set _ZN7rocprim17ROCPRIM_400000_NS6detail17trampoline_kernelINS0_13select_configILj256ELj13ELNS0_17block_load_methodE3ELS4_3ELS4_3ELNS0_20block_scan_algorithmE0ELj4294967295EEENS1_25partition_config_selectorILNS1_17partition_subalgoE3EjNS0_10empty_typeEbEEZZNS1_14partition_implILS8_3ELb0ES6_jNS0_17counting_iteratorIjlEEPS9_SE_NS0_5tupleIJPjSE_EEENSF_IJSE_SE_EEES9_SG_JZNS1_25segmented_radix_sort_implINS0_14default_configELb1EPKbPbPKlPlN2at6native12_GLOBAL__N_18offset_tEEE10hipError_tPvRmT1_PNSt15iterator_traitsISY_E10value_typeET2_T3_PNSZ_IS14_E10value_typeET4_jRbjT5_S1A_jjP12ihipStream_tbEUljE_EEESV_SW_SX_S14_S18_S1A_T6_T7_T9_mT8_S1C_bDpT10_ENKUlT_T0_E_clISt17integral_constantIbLb1EES1O_IbLb0EEEEDaS1K_S1L_EUlS1K_E_NS1_11comp_targetILNS1_3genE10ELNS1_11target_archE1200ELNS1_3gpuE4ELNS1_3repE0EEENS1_30default_config_static_selectorELNS0_4arch9wavefront6targetE0EEEvSY_.has_dyn_sized_stack, 0
	.set _ZN7rocprim17ROCPRIM_400000_NS6detail17trampoline_kernelINS0_13select_configILj256ELj13ELNS0_17block_load_methodE3ELS4_3ELS4_3ELNS0_20block_scan_algorithmE0ELj4294967295EEENS1_25partition_config_selectorILNS1_17partition_subalgoE3EjNS0_10empty_typeEbEEZZNS1_14partition_implILS8_3ELb0ES6_jNS0_17counting_iteratorIjlEEPS9_SE_NS0_5tupleIJPjSE_EEENSF_IJSE_SE_EEES9_SG_JZNS1_25segmented_radix_sort_implINS0_14default_configELb1EPKbPbPKlPlN2at6native12_GLOBAL__N_18offset_tEEE10hipError_tPvRmT1_PNSt15iterator_traitsISY_E10value_typeET2_T3_PNSZ_IS14_E10value_typeET4_jRbjT5_S1A_jjP12ihipStream_tbEUljE_EEESV_SW_SX_S14_S18_S1A_T6_T7_T9_mT8_S1C_bDpT10_ENKUlT_T0_E_clISt17integral_constantIbLb1EES1O_IbLb0EEEEDaS1K_S1L_EUlS1K_E_NS1_11comp_targetILNS1_3genE10ELNS1_11target_archE1200ELNS1_3gpuE4ELNS1_3repE0EEENS1_30default_config_static_selectorELNS0_4arch9wavefront6targetE0EEEvSY_.has_recursion, 0
	.set _ZN7rocprim17ROCPRIM_400000_NS6detail17trampoline_kernelINS0_13select_configILj256ELj13ELNS0_17block_load_methodE3ELS4_3ELS4_3ELNS0_20block_scan_algorithmE0ELj4294967295EEENS1_25partition_config_selectorILNS1_17partition_subalgoE3EjNS0_10empty_typeEbEEZZNS1_14partition_implILS8_3ELb0ES6_jNS0_17counting_iteratorIjlEEPS9_SE_NS0_5tupleIJPjSE_EEENSF_IJSE_SE_EEES9_SG_JZNS1_25segmented_radix_sort_implINS0_14default_configELb1EPKbPbPKlPlN2at6native12_GLOBAL__N_18offset_tEEE10hipError_tPvRmT1_PNSt15iterator_traitsISY_E10value_typeET2_T3_PNSZ_IS14_E10value_typeET4_jRbjT5_S1A_jjP12ihipStream_tbEUljE_EEESV_SW_SX_S14_S18_S1A_T6_T7_T9_mT8_S1C_bDpT10_ENKUlT_T0_E_clISt17integral_constantIbLb1EES1O_IbLb0EEEEDaS1K_S1L_EUlS1K_E_NS1_11comp_targetILNS1_3genE10ELNS1_11target_archE1200ELNS1_3gpuE4ELNS1_3repE0EEENS1_30default_config_static_selectorELNS0_4arch9wavefront6targetE0EEEvSY_.has_indirect_call, 0
	.section	.AMDGPU.csdata,"",@progbits
; Kernel info:
; codeLenInByte = 4
; TotalNumSgprs: 0
; NumVgprs: 0
; ScratchSize: 0
; MemoryBound: 0
; FloatMode: 240
; IeeeMode: 1
; LDSByteSize: 0 bytes/workgroup (compile time only)
; SGPRBlocks: 0
; VGPRBlocks: 0
; NumSGPRsForWavesPerEU: 1
; NumVGPRsForWavesPerEU: 1
; Occupancy: 16
; WaveLimiterHint : 0
; COMPUTE_PGM_RSRC2:SCRATCH_EN: 0
; COMPUTE_PGM_RSRC2:USER_SGPR: 2
; COMPUTE_PGM_RSRC2:TRAP_HANDLER: 0
; COMPUTE_PGM_RSRC2:TGID_X_EN: 1
; COMPUTE_PGM_RSRC2:TGID_Y_EN: 0
; COMPUTE_PGM_RSRC2:TGID_Z_EN: 0
; COMPUTE_PGM_RSRC2:TIDIG_COMP_CNT: 0
	.section	.text._ZN7rocprim17ROCPRIM_400000_NS6detail17trampoline_kernelINS0_13select_configILj256ELj13ELNS0_17block_load_methodE3ELS4_3ELS4_3ELNS0_20block_scan_algorithmE0ELj4294967295EEENS1_25partition_config_selectorILNS1_17partition_subalgoE3EjNS0_10empty_typeEbEEZZNS1_14partition_implILS8_3ELb0ES6_jNS0_17counting_iteratorIjlEEPS9_SE_NS0_5tupleIJPjSE_EEENSF_IJSE_SE_EEES9_SG_JZNS1_25segmented_radix_sort_implINS0_14default_configELb1EPKbPbPKlPlN2at6native12_GLOBAL__N_18offset_tEEE10hipError_tPvRmT1_PNSt15iterator_traitsISY_E10value_typeET2_T3_PNSZ_IS14_E10value_typeET4_jRbjT5_S1A_jjP12ihipStream_tbEUljE_EEESV_SW_SX_S14_S18_S1A_T6_T7_T9_mT8_S1C_bDpT10_ENKUlT_T0_E_clISt17integral_constantIbLb1EES1O_IbLb0EEEEDaS1K_S1L_EUlS1K_E_NS1_11comp_targetILNS1_3genE9ELNS1_11target_archE1100ELNS1_3gpuE3ELNS1_3repE0EEENS1_30default_config_static_selectorELNS0_4arch9wavefront6targetE0EEEvSY_,"axG",@progbits,_ZN7rocprim17ROCPRIM_400000_NS6detail17trampoline_kernelINS0_13select_configILj256ELj13ELNS0_17block_load_methodE3ELS4_3ELS4_3ELNS0_20block_scan_algorithmE0ELj4294967295EEENS1_25partition_config_selectorILNS1_17partition_subalgoE3EjNS0_10empty_typeEbEEZZNS1_14partition_implILS8_3ELb0ES6_jNS0_17counting_iteratorIjlEEPS9_SE_NS0_5tupleIJPjSE_EEENSF_IJSE_SE_EEES9_SG_JZNS1_25segmented_radix_sort_implINS0_14default_configELb1EPKbPbPKlPlN2at6native12_GLOBAL__N_18offset_tEEE10hipError_tPvRmT1_PNSt15iterator_traitsISY_E10value_typeET2_T3_PNSZ_IS14_E10value_typeET4_jRbjT5_S1A_jjP12ihipStream_tbEUljE_EEESV_SW_SX_S14_S18_S1A_T6_T7_T9_mT8_S1C_bDpT10_ENKUlT_T0_E_clISt17integral_constantIbLb1EES1O_IbLb0EEEEDaS1K_S1L_EUlS1K_E_NS1_11comp_targetILNS1_3genE9ELNS1_11target_archE1100ELNS1_3gpuE3ELNS1_3repE0EEENS1_30default_config_static_selectorELNS0_4arch9wavefront6targetE0EEEvSY_,comdat
	.globl	_ZN7rocprim17ROCPRIM_400000_NS6detail17trampoline_kernelINS0_13select_configILj256ELj13ELNS0_17block_load_methodE3ELS4_3ELS4_3ELNS0_20block_scan_algorithmE0ELj4294967295EEENS1_25partition_config_selectorILNS1_17partition_subalgoE3EjNS0_10empty_typeEbEEZZNS1_14partition_implILS8_3ELb0ES6_jNS0_17counting_iteratorIjlEEPS9_SE_NS0_5tupleIJPjSE_EEENSF_IJSE_SE_EEES9_SG_JZNS1_25segmented_radix_sort_implINS0_14default_configELb1EPKbPbPKlPlN2at6native12_GLOBAL__N_18offset_tEEE10hipError_tPvRmT1_PNSt15iterator_traitsISY_E10value_typeET2_T3_PNSZ_IS14_E10value_typeET4_jRbjT5_S1A_jjP12ihipStream_tbEUljE_EEESV_SW_SX_S14_S18_S1A_T6_T7_T9_mT8_S1C_bDpT10_ENKUlT_T0_E_clISt17integral_constantIbLb1EES1O_IbLb0EEEEDaS1K_S1L_EUlS1K_E_NS1_11comp_targetILNS1_3genE9ELNS1_11target_archE1100ELNS1_3gpuE3ELNS1_3repE0EEENS1_30default_config_static_selectorELNS0_4arch9wavefront6targetE0EEEvSY_ ; -- Begin function _ZN7rocprim17ROCPRIM_400000_NS6detail17trampoline_kernelINS0_13select_configILj256ELj13ELNS0_17block_load_methodE3ELS4_3ELS4_3ELNS0_20block_scan_algorithmE0ELj4294967295EEENS1_25partition_config_selectorILNS1_17partition_subalgoE3EjNS0_10empty_typeEbEEZZNS1_14partition_implILS8_3ELb0ES6_jNS0_17counting_iteratorIjlEEPS9_SE_NS0_5tupleIJPjSE_EEENSF_IJSE_SE_EEES9_SG_JZNS1_25segmented_radix_sort_implINS0_14default_configELb1EPKbPbPKlPlN2at6native12_GLOBAL__N_18offset_tEEE10hipError_tPvRmT1_PNSt15iterator_traitsISY_E10value_typeET2_T3_PNSZ_IS14_E10value_typeET4_jRbjT5_S1A_jjP12ihipStream_tbEUljE_EEESV_SW_SX_S14_S18_S1A_T6_T7_T9_mT8_S1C_bDpT10_ENKUlT_T0_E_clISt17integral_constantIbLb1EES1O_IbLb0EEEEDaS1K_S1L_EUlS1K_E_NS1_11comp_targetILNS1_3genE9ELNS1_11target_archE1100ELNS1_3gpuE3ELNS1_3repE0EEENS1_30default_config_static_selectorELNS0_4arch9wavefront6targetE0EEEvSY_
	.p2align	8
	.type	_ZN7rocprim17ROCPRIM_400000_NS6detail17trampoline_kernelINS0_13select_configILj256ELj13ELNS0_17block_load_methodE3ELS4_3ELS4_3ELNS0_20block_scan_algorithmE0ELj4294967295EEENS1_25partition_config_selectorILNS1_17partition_subalgoE3EjNS0_10empty_typeEbEEZZNS1_14partition_implILS8_3ELb0ES6_jNS0_17counting_iteratorIjlEEPS9_SE_NS0_5tupleIJPjSE_EEENSF_IJSE_SE_EEES9_SG_JZNS1_25segmented_radix_sort_implINS0_14default_configELb1EPKbPbPKlPlN2at6native12_GLOBAL__N_18offset_tEEE10hipError_tPvRmT1_PNSt15iterator_traitsISY_E10value_typeET2_T3_PNSZ_IS14_E10value_typeET4_jRbjT5_S1A_jjP12ihipStream_tbEUljE_EEESV_SW_SX_S14_S18_S1A_T6_T7_T9_mT8_S1C_bDpT10_ENKUlT_T0_E_clISt17integral_constantIbLb1EES1O_IbLb0EEEEDaS1K_S1L_EUlS1K_E_NS1_11comp_targetILNS1_3genE9ELNS1_11target_archE1100ELNS1_3gpuE3ELNS1_3repE0EEENS1_30default_config_static_selectorELNS0_4arch9wavefront6targetE0EEEvSY_,@function
_ZN7rocprim17ROCPRIM_400000_NS6detail17trampoline_kernelINS0_13select_configILj256ELj13ELNS0_17block_load_methodE3ELS4_3ELS4_3ELNS0_20block_scan_algorithmE0ELj4294967295EEENS1_25partition_config_selectorILNS1_17partition_subalgoE3EjNS0_10empty_typeEbEEZZNS1_14partition_implILS8_3ELb0ES6_jNS0_17counting_iteratorIjlEEPS9_SE_NS0_5tupleIJPjSE_EEENSF_IJSE_SE_EEES9_SG_JZNS1_25segmented_radix_sort_implINS0_14default_configELb1EPKbPbPKlPlN2at6native12_GLOBAL__N_18offset_tEEE10hipError_tPvRmT1_PNSt15iterator_traitsISY_E10value_typeET2_T3_PNSZ_IS14_E10value_typeET4_jRbjT5_S1A_jjP12ihipStream_tbEUljE_EEESV_SW_SX_S14_S18_S1A_T6_T7_T9_mT8_S1C_bDpT10_ENKUlT_T0_E_clISt17integral_constantIbLb1EES1O_IbLb0EEEEDaS1K_S1L_EUlS1K_E_NS1_11comp_targetILNS1_3genE9ELNS1_11target_archE1100ELNS1_3gpuE3ELNS1_3repE0EEENS1_30default_config_static_selectorELNS0_4arch9wavefront6targetE0EEEvSY_: ; @_ZN7rocprim17ROCPRIM_400000_NS6detail17trampoline_kernelINS0_13select_configILj256ELj13ELNS0_17block_load_methodE3ELS4_3ELS4_3ELNS0_20block_scan_algorithmE0ELj4294967295EEENS1_25partition_config_selectorILNS1_17partition_subalgoE3EjNS0_10empty_typeEbEEZZNS1_14partition_implILS8_3ELb0ES6_jNS0_17counting_iteratorIjlEEPS9_SE_NS0_5tupleIJPjSE_EEENSF_IJSE_SE_EEES9_SG_JZNS1_25segmented_radix_sort_implINS0_14default_configELb1EPKbPbPKlPlN2at6native12_GLOBAL__N_18offset_tEEE10hipError_tPvRmT1_PNSt15iterator_traitsISY_E10value_typeET2_T3_PNSZ_IS14_E10value_typeET4_jRbjT5_S1A_jjP12ihipStream_tbEUljE_EEESV_SW_SX_S14_S18_S1A_T6_T7_T9_mT8_S1C_bDpT10_ENKUlT_T0_E_clISt17integral_constantIbLb1EES1O_IbLb0EEEEDaS1K_S1L_EUlS1K_E_NS1_11comp_targetILNS1_3genE9ELNS1_11target_archE1100ELNS1_3gpuE3ELNS1_3repE0EEENS1_30default_config_static_selectorELNS0_4arch9wavefront6targetE0EEEvSY_
; %bb.0:
	.section	.rodata,"a",@progbits
	.p2align	6, 0x0
	.amdhsa_kernel _ZN7rocprim17ROCPRIM_400000_NS6detail17trampoline_kernelINS0_13select_configILj256ELj13ELNS0_17block_load_methodE3ELS4_3ELS4_3ELNS0_20block_scan_algorithmE0ELj4294967295EEENS1_25partition_config_selectorILNS1_17partition_subalgoE3EjNS0_10empty_typeEbEEZZNS1_14partition_implILS8_3ELb0ES6_jNS0_17counting_iteratorIjlEEPS9_SE_NS0_5tupleIJPjSE_EEENSF_IJSE_SE_EEES9_SG_JZNS1_25segmented_radix_sort_implINS0_14default_configELb1EPKbPbPKlPlN2at6native12_GLOBAL__N_18offset_tEEE10hipError_tPvRmT1_PNSt15iterator_traitsISY_E10value_typeET2_T3_PNSZ_IS14_E10value_typeET4_jRbjT5_S1A_jjP12ihipStream_tbEUljE_EEESV_SW_SX_S14_S18_S1A_T6_T7_T9_mT8_S1C_bDpT10_ENKUlT_T0_E_clISt17integral_constantIbLb1EES1O_IbLb0EEEEDaS1K_S1L_EUlS1K_E_NS1_11comp_targetILNS1_3genE9ELNS1_11target_archE1100ELNS1_3gpuE3ELNS1_3repE0EEENS1_30default_config_static_selectorELNS0_4arch9wavefront6targetE0EEEvSY_
		.amdhsa_group_segment_fixed_size 0
		.amdhsa_private_segment_fixed_size 0
		.amdhsa_kernarg_size 144
		.amdhsa_user_sgpr_count 2
		.amdhsa_user_sgpr_dispatch_ptr 0
		.amdhsa_user_sgpr_queue_ptr 0
		.amdhsa_user_sgpr_kernarg_segment_ptr 1
		.amdhsa_user_sgpr_dispatch_id 0
		.amdhsa_user_sgpr_private_segment_size 0
		.amdhsa_wavefront_size32 1
		.amdhsa_uses_dynamic_stack 0
		.amdhsa_enable_private_segment 0
		.amdhsa_system_sgpr_workgroup_id_x 1
		.amdhsa_system_sgpr_workgroup_id_y 0
		.amdhsa_system_sgpr_workgroup_id_z 0
		.amdhsa_system_sgpr_workgroup_info 0
		.amdhsa_system_vgpr_workitem_id 0
		.amdhsa_next_free_vgpr 1
		.amdhsa_next_free_sgpr 1
		.amdhsa_reserve_vcc 0
		.amdhsa_float_round_mode_32 0
		.amdhsa_float_round_mode_16_64 0
		.amdhsa_float_denorm_mode_32 3
		.amdhsa_float_denorm_mode_16_64 3
		.amdhsa_fp16_overflow 0
		.amdhsa_workgroup_processor_mode 1
		.amdhsa_memory_ordered 1
		.amdhsa_forward_progress 1
		.amdhsa_inst_pref_size 0
		.amdhsa_round_robin_scheduling 0
		.amdhsa_exception_fp_ieee_invalid_op 0
		.amdhsa_exception_fp_denorm_src 0
		.amdhsa_exception_fp_ieee_div_zero 0
		.amdhsa_exception_fp_ieee_overflow 0
		.amdhsa_exception_fp_ieee_underflow 0
		.amdhsa_exception_fp_ieee_inexact 0
		.amdhsa_exception_int_div_zero 0
	.end_amdhsa_kernel
	.section	.text._ZN7rocprim17ROCPRIM_400000_NS6detail17trampoline_kernelINS0_13select_configILj256ELj13ELNS0_17block_load_methodE3ELS4_3ELS4_3ELNS0_20block_scan_algorithmE0ELj4294967295EEENS1_25partition_config_selectorILNS1_17partition_subalgoE3EjNS0_10empty_typeEbEEZZNS1_14partition_implILS8_3ELb0ES6_jNS0_17counting_iteratorIjlEEPS9_SE_NS0_5tupleIJPjSE_EEENSF_IJSE_SE_EEES9_SG_JZNS1_25segmented_radix_sort_implINS0_14default_configELb1EPKbPbPKlPlN2at6native12_GLOBAL__N_18offset_tEEE10hipError_tPvRmT1_PNSt15iterator_traitsISY_E10value_typeET2_T3_PNSZ_IS14_E10value_typeET4_jRbjT5_S1A_jjP12ihipStream_tbEUljE_EEESV_SW_SX_S14_S18_S1A_T6_T7_T9_mT8_S1C_bDpT10_ENKUlT_T0_E_clISt17integral_constantIbLb1EES1O_IbLb0EEEEDaS1K_S1L_EUlS1K_E_NS1_11comp_targetILNS1_3genE9ELNS1_11target_archE1100ELNS1_3gpuE3ELNS1_3repE0EEENS1_30default_config_static_selectorELNS0_4arch9wavefront6targetE0EEEvSY_,"axG",@progbits,_ZN7rocprim17ROCPRIM_400000_NS6detail17trampoline_kernelINS0_13select_configILj256ELj13ELNS0_17block_load_methodE3ELS4_3ELS4_3ELNS0_20block_scan_algorithmE0ELj4294967295EEENS1_25partition_config_selectorILNS1_17partition_subalgoE3EjNS0_10empty_typeEbEEZZNS1_14partition_implILS8_3ELb0ES6_jNS0_17counting_iteratorIjlEEPS9_SE_NS0_5tupleIJPjSE_EEENSF_IJSE_SE_EEES9_SG_JZNS1_25segmented_radix_sort_implINS0_14default_configELb1EPKbPbPKlPlN2at6native12_GLOBAL__N_18offset_tEEE10hipError_tPvRmT1_PNSt15iterator_traitsISY_E10value_typeET2_T3_PNSZ_IS14_E10value_typeET4_jRbjT5_S1A_jjP12ihipStream_tbEUljE_EEESV_SW_SX_S14_S18_S1A_T6_T7_T9_mT8_S1C_bDpT10_ENKUlT_T0_E_clISt17integral_constantIbLb1EES1O_IbLb0EEEEDaS1K_S1L_EUlS1K_E_NS1_11comp_targetILNS1_3genE9ELNS1_11target_archE1100ELNS1_3gpuE3ELNS1_3repE0EEENS1_30default_config_static_selectorELNS0_4arch9wavefront6targetE0EEEvSY_,comdat
.Lfunc_end1522:
	.size	_ZN7rocprim17ROCPRIM_400000_NS6detail17trampoline_kernelINS0_13select_configILj256ELj13ELNS0_17block_load_methodE3ELS4_3ELS4_3ELNS0_20block_scan_algorithmE0ELj4294967295EEENS1_25partition_config_selectorILNS1_17partition_subalgoE3EjNS0_10empty_typeEbEEZZNS1_14partition_implILS8_3ELb0ES6_jNS0_17counting_iteratorIjlEEPS9_SE_NS0_5tupleIJPjSE_EEENSF_IJSE_SE_EEES9_SG_JZNS1_25segmented_radix_sort_implINS0_14default_configELb1EPKbPbPKlPlN2at6native12_GLOBAL__N_18offset_tEEE10hipError_tPvRmT1_PNSt15iterator_traitsISY_E10value_typeET2_T3_PNSZ_IS14_E10value_typeET4_jRbjT5_S1A_jjP12ihipStream_tbEUljE_EEESV_SW_SX_S14_S18_S1A_T6_T7_T9_mT8_S1C_bDpT10_ENKUlT_T0_E_clISt17integral_constantIbLb1EES1O_IbLb0EEEEDaS1K_S1L_EUlS1K_E_NS1_11comp_targetILNS1_3genE9ELNS1_11target_archE1100ELNS1_3gpuE3ELNS1_3repE0EEENS1_30default_config_static_selectorELNS0_4arch9wavefront6targetE0EEEvSY_, .Lfunc_end1522-_ZN7rocprim17ROCPRIM_400000_NS6detail17trampoline_kernelINS0_13select_configILj256ELj13ELNS0_17block_load_methodE3ELS4_3ELS4_3ELNS0_20block_scan_algorithmE0ELj4294967295EEENS1_25partition_config_selectorILNS1_17partition_subalgoE3EjNS0_10empty_typeEbEEZZNS1_14partition_implILS8_3ELb0ES6_jNS0_17counting_iteratorIjlEEPS9_SE_NS0_5tupleIJPjSE_EEENSF_IJSE_SE_EEES9_SG_JZNS1_25segmented_radix_sort_implINS0_14default_configELb1EPKbPbPKlPlN2at6native12_GLOBAL__N_18offset_tEEE10hipError_tPvRmT1_PNSt15iterator_traitsISY_E10value_typeET2_T3_PNSZ_IS14_E10value_typeET4_jRbjT5_S1A_jjP12ihipStream_tbEUljE_EEESV_SW_SX_S14_S18_S1A_T6_T7_T9_mT8_S1C_bDpT10_ENKUlT_T0_E_clISt17integral_constantIbLb1EES1O_IbLb0EEEEDaS1K_S1L_EUlS1K_E_NS1_11comp_targetILNS1_3genE9ELNS1_11target_archE1100ELNS1_3gpuE3ELNS1_3repE0EEENS1_30default_config_static_selectorELNS0_4arch9wavefront6targetE0EEEvSY_
                                        ; -- End function
	.set _ZN7rocprim17ROCPRIM_400000_NS6detail17trampoline_kernelINS0_13select_configILj256ELj13ELNS0_17block_load_methodE3ELS4_3ELS4_3ELNS0_20block_scan_algorithmE0ELj4294967295EEENS1_25partition_config_selectorILNS1_17partition_subalgoE3EjNS0_10empty_typeEbEEZZNS1_14partition_implILS8_3ELb0ES6_jNS0_17counting_iteratorIjlEEPS9_SE_NS0_5tupleIJPjSE_EEENSF_IJSE_SE_EEES9_SG_JZNS1_25segmented_radix_sort_implINS0_14default_configELb1EPKbPbPKlPlN2at6native12_GLOBAL__N_18offset_tEEE10hipError_tPvRmT1_PNSt15iterator_traitsISY_E10value_typeET2_T3_PNSZ_IS14_E10value_typeET4_jRbjT5_S1A_jjP12ihipStream_tbEUljE_EEESV_SW_SX_S14_S18_S1A_T6_T7_T9_mT8_S1C_bDpT10_ENKUlT_T0_E_clISt17integral_constantIbLb1EES1O_IbLb0EEEEDaS1K_S1L_EUlS1K_E_NS1_11comp_targetILNS1_3genE9ELNS1_11target_archE1100ELNS1_3gpuE3ELNS1_3repE0EEENS1_30default_config_static_selectorELNS0_4arch9wavefront6targetE0EEEvSY_.num_vgpr, 0
	.set _ZN7rocprim17ROCPRIM_400000_NS6detail17trampoline_kernelINS0_13select_configILj256ELj13ELNS0_17block_load_methodE3ELS4_3ELS4_3ELNS0_20block_scan_algorithmE0ELj4294967295EEENS1_25partition_config_selectorILNS1_17partition_subalgoE3EjNS0_10empty_typeEbEEZZNS1_14partition_implILS8_3ELb0ES6_jNS0_17counting_iteratorIjlEEPS9_SE_NS0_5tupleIJPjSE_EEENSF_IJSE_SE_EEES9_SG_JZNS1_25segmented_radix_sort_implINS0_14default_configELb1EPKbPbPKlPlN2at6native12_GLOBAL__N_18offset_tEEE10hipError_tPvRmT1_PNSt15iterator_traitsISY_E10value_typeET2_T3_PNSZ_IS14_E10value_typeET4_jRbjT5_S1A_jjP12ihipStream_tbEUljE_EEESV_SW_SX_S14_S18_S1A_T6_T7_T9_mT8_S1C_bDpT10_ENKUlT_T0_E_clISt17integral_constantIbLb1EES1O_IbLb0EEEEDaS1K_S1L_EUlS1K_E_NS1_11comp_targetILNS1_3genE9ELNS1_11target_archE1100ELNS1_3gpuE3ELNS1_3repE0EEENS1_30default_config_static_selectorELNS0_4arch9wavefront6targetE0EEEvSY_.num_agpr, 0
	.set _ZN7rocprim17ROCPRIM_400000_NS6detail17trampoline_kernelINS0_13select_configILj256ELj13ELNS0_17block_load_methodE3ELS4_3ELS4_3ELNS0_20block_scan_algorithmE0ELj4294967295EEENS1_25partition_config_selectorILNS1_17partition_subalgoE3EjNS0_10empty_typeEbEEZZNS1_14partition_implILS8_3ELb0ES6_jNS0_17counting_iteratorIjlEEPS9_SE_NS0_5tupleIJPjSE_EEENSF_IJSE_SE_EEES9_SG_JZNS1_25segmented_radix_sort_implINS0_14default_configELb1EPKbPbPKlPlN2at6native12_GLOBAL__N_18offset_tEEE10hipError_tPvRmT1_PNSt15iterator_traitsISY_E10value_typeET2_T3_PNSZ_IS14_E10value_typeET4_jRbjT5_S1A_jjP12ihipStream_tbEUljE_EEESV_SW_SX_S14_S18_S1A_T6_T7_T9_mT8_S1C_bDpT10_ENKUlT_T0_E_clISt17integral_constantIbLb1EES1O_IbLb0EEEEDaS1K_S1L_EUlS1K_E_NS1_11comp_targetILNS1_3genE9ELNS1_11target_archE1100ELNS1_3gpuE3ELNS1_3repE0EEENS1_30default_config_static_selectorELNS0_4arch9wavefront6targetE0EEEvSY_.numbered_sgpr, 0
	.set _ZN7rocprim17ROCPRIM_400000_NS6detail17trampoline_kernelINS0_13select_configILj256ELj13ELNS0_17block_load_methodE3ELS4_3ELS4_3ELNS0_20block_scan_algorithmE0ELj4294967295EEENS1_25partition_config_selectorILNS1_17partition_subalgoE3EjNS0_10empty_typeEbEEZZNS1_14partition_implILS8_3ELb0ES6_jNS0_17counting_iteratorIjlEEPS9_SE_NS0_5tupleIJPjSE_EEENSF_IJSE_SE_EEES9_SG_JZNS1_25segmented_radix_sort_implINS0_14default_configELb1EPKbPbPKlPlN2at6native12_GLOBAL__N_18offset_tEEE10hipError_tPvRmT1_PNSt15iterator_traitsISY_E10value_typeET2_T3_PNSZ_IS14_E10value_typeET4_jRbjT5_S1A_jjP12ihipStream_tbEUljE_EEESV_SW_SX_S14_S18_S1A_T6_T7_T9_mT8_S1C_bDpT10_ENKUlT_T0_E_clISt17integral_constantIbLb1EES1O_IbLb0EEEEDaS1K_S1L_EUlS1K_E_NS1_11comp_targetILNS1_3genE9ELNS1_11target_archE1100ELNS1_3gpuE3ELNS1_3repE0EEENS1_30default_config_static_selectorELNS0_4arch9wavefront6targetE0EEEvSY_.num_named_barrier, 0
	.set _ZN7rocprim17ROCPRIM_400000_NS6detail17trampoline_kernelINS0_13select_configILj256ELj13ELNS0_17block_load_methodE3ELS4_3ELS4_3ELNS0_20block_scan_algorithmE0ELj4294967295EEENS1_25partition_config_selectorILNS1_17partition_subalgoE3EjNS0_10empty_typeEbEEZZNS1_14partition_implILS8_3ELb0ES6_jNS0_17counting_iteratorIjlEEPS9_SE_NS0_5tupleIJPjSE_EEENSF_IJSE_SE_EEES9_SG_JZNS1_25segmented_radix_sort_implINS0_14default_configELb1EPKbPbPKlPlN2at6native12_GLOBAL__N_18offset_tEEE10hipError_tPvRmT1_PNSt15iterator_traitsISY_E10value_typeET2_T3_PNSZ_IS14_E10value_typeET4_jRbjT5_S1A_jjP12ihipStream_tbEUljE_EEESV_SW_SX_S14_S18_S1A_T6_T7_T9_mT8_S1C_bDpT10_ENKUlT_T0_E_clISt17integral_constantIbLb1EES1O_IbLb0EEEEDaS1K_S1L_EUlS1K_E_NS1_11comp_targetILNS1_3genE9ELNS1_11target_archE1100ELNS1_3gpuE3ELNS1_3repE0EEENS1_30default_config_static_selectorELNS0_4arch9wavefront6targetE0EEEvSY_.private_seg_size, 0
	.set _ZN7rocprim17ROCPRIM_400000_NS6detail17trampoline_kernelINS0_13select_configILj256ELj13ELNS0_17block_load_methodE3ELS4_3ELS4_3ELNS0_20block_scan_algorithmE0ELj4294967295EEENS1_25partition_config_selectorILNS1_17partition_subalgoE3EjNS0_10empty_typeEbEEZZNS1_14partition_implILS8_3ELb0ES6_jNS0_17counting_iteratorIjlEEPS9_SE_NS0_5tupleIJPjSE_EEENSF_IJSE_SE_EEES9_SG_JZNS1_25segmented_radix_sort_implINS0_14default_configELb1EPKbPbPKlPlN2at6native12_GLOBAL__N_18offset_tEEE10hipError_tPvRmT1_PNSt15iterator_traitsISY_E10value_typeET2_T3_PNSZ_IS14_E10value_typeET4_jRbjT5_S1A_jjP12ihipStream_tbEUljE_EEESV_SW_SX_S14_S18_S1A_T6_T7_T9_mT8_S1C_bDpT10_ENKUlT_T0_E_clISt17integral_constantIbLb1EES1O_IbLb0EEEEDaS1K_S1L_EUlS1K_E_NS1_11comp_targetILNS1_3genE9ELNS1_11target_archE1100ELNS1_3gpuE3ELNS1_3repE0EEENS1_30default_config_static_selectorELNS0_4arch9wavefront6targetE0EEEvSY_.uses_vcc, 0
	.set _ZN7rocprim17ROCPRIM_400000_NS6detail17trampoline_kernelINS0_13select_configILj256ELj13ELNS0_17block_load_methodE3ELS4_3ELS4_3ELNS0_20block_scan_algorithmE0ELj4294967295EEENS1_25partition_config_selectorILNS1_17partition_subalgoE3EjNS0_10empty_typeEbEEZZNS1_14partition_implILS8_3ELb0ES6_jNS0_17counting_iteratorIjlEEPS9_SE_NS0_5tupleIJPjSE_EEENSF_IJSE_SE_EEES9_SG_JZNS1_25segmented_radix_sort_implINS0_14default_configELb1EPKbPbPKlPlN2at6native12_GLOBAL__N_18offset_tEEE10hipError_tPvRmT1_PNSt15iterator_traitsISY_E10value_typeET2_T3_PNSZ_IS14_E10value_typeET4_jRbjT5_S1A_jjP12ihipStream_tbEUljE_EEESV_SW_SX_S14_S18_S1A_T6_T7_T9_mT8_S1C_bDpT10_ENKUlT_T0_E_clISt17integral_constantIbLb1EES1O_IbLb0EEEEDaS1K_S1L_EUlS1K_E_NS1_11comp_targetILNS1_3genE9ELNS1_11target_archE1100ELNS1_3gpuE3ELNS1_3repE0EEENS1_30default_config_static_selectorELNS0_4arch9wavefront6targetE0EEEvSY_.uses_flat_scratch, 0
	.set _ZN7rocprim17ROCPRIM_400000_NS6detail17trampoline_kernelINS0_13select_configILj256ELj13ELNS0_17block_load_methodE3ELS4_3ELS4_3ELNS0_20block_scan_algorithmE0ELj4294967295EEENS1_25partition_config_selectorILNS1_17partition_subalgoE3EjNS0_10empty_typeEbEEZZNS1_14partition_implILS8_3ELb0ES6_jNS0_17counting_iteratorIjlEEPS9_SE_NS0_5tupleIJPjSE_EEENSF_IJSE_SE_EEES9_SG_JZNS1_25segmented_radix_sort_implINS0_14default_configELb1EPKbPbPKlPlN2at6native12_GLOBAL__N_18offset_tEEE10hipError_tPvRmT1_PNSt15iterator_traitsISY_E10value_typeET2_T3_PNSZ_IS14_E10value_typeET4_jRbjT5_S1A_jjP12ihipStream_tbEUljE_EEESV_SW_SX_S14_S18_S1A_T6_T7_T9_mT8_S1C_bDpT10_ENKUlT_T0_E_clISt17integral_constantIbLb1EES1O_IbLb0EEEEDaS1K_S1L_EUlS1K_E_NS1_11comp_targetILNS1_3genE9ELNS1_11target_archE1100ELNS1_3gpuE3ELNS1_3repE0EEENS1_30default_config_static_selectorELNS0_4arch9wavefront6targetE0EEEvSY_.has_dyn_sized_stack, 0
	.set _ZN7rocprim17ROCPRIM_400000_NS6detail17trampoline_kernelINS0_13select_configILj256ELj13ELNS0_17block_load_methodE3ELS4_3ELS4_3ELNS0_20block_scan_algorithmE0ELj4294967295EEENS1_25partition_config_selectorILNS1_17partition_subalgoE3EjNS0_10empty_typeEbEEZZNS1_14partition_implILS8_3ELb0ES6_jNS0_17counting_iteratorIjlEEPS9_SE_NS0_5tupleIJPjSE_EEENSF_IJSE_SE_EEES9_SG_JZNS1_25segmented_radix_sort_implINS0_14default_configELb1EPKbPbPKlPlN2at6native12_GLOBAL__N_18offset_tEEE10hipError_tPvRmT1_PNSt15iterator_traitsISY_E10value_typeET2_T3_PNSZ_IS14_E10value_typeET4_jRbjT5_S1A_jjP12ihipStream_tbEUljE_EEESV_SW_SX_S14_S18_S1A_T6_T7_T9_mT8_S1C_bDpT10_ENKUlT_T0_E_clISt17integral_constantIbLb1EES1O_IbLb0EEEEDaS1K_S1L_EUlS1K_E_NS1_11comp_targetILNS1_3genE9ELNS1_11target_archE1100ELNS1_3gpuE3ELNS1_3repE0EEENS1_30default_config_static_selectorELNS0_4arch9wavefront6targetE0EEEvSY_.has_recursion, 0
	.set _ZN7rocprim17ROCPRIM_400000_NS6detail17trampoline_kernelINS0_13select_configILj256ELj13ELNS0_17block_load_methodE3ELS4_3ELS4_3ELNS0_20block_scan_algorithmE0ELj4294967295EEENS1_25partition_config_selectorILNS1_17partition_subalgoE3EjNS0_10empty_typeEbEEZZNS1_14partition_implILS8_3ELb0ES6_jNS0_17counting_iteratorIjlEEPS9_SE_NS0_5tupleIJPjSE_EEENSF_IJSE_SE_EEES9_SG_JZNS1_25segmented_radix_sort_implINS0_14default_configELb1EPKbPbPKlPlN2at6native12_GLOBAL__N_18offset_tEEE10hipError_tPvRmT1_PNSt15iterator_traitsISY_E10value_typeET2_T3_PNSZ_IS14_E10value_typeET4_jRbjT5_S1A_jjP12ihipStream_tbEUljE_EEESV_SW_SX_S14_S18_S1A_T6_T7_T9_mT8_S1C_bDpT10_ENKUlT_T0_E_clISt17integral_constantIbLb1EES1O_IbLb0EEEEDaS1K_S1L_EUlS1K_E_NS1_11comp_targetILNS1_3genE9ELNS1_11target_archE1100ELNS1_3gpuE3ELNS1_3repE0EEENS1_30default_config_static_selectorELNS0_4arch9wavefront6targetE0EEEvSY_.has_indirect_call, 0
	.section	.AMDGPU.csdata,"",@progbits
; Kernel info:
; codeLenInByte = 0
; TotalNumSgprs: 0
; NumVgprs: 0
; ScratchSize: 0
; MemoryBound: 0
; FloatMode: 240
; IeeeMode: 1
; LDSByteSize: 0 bytes/workgroup (compile time only)
; SGPRBlocks: 0
; VGPRBlocks: 0
; NumSGPRsForWavesPerEU: 1
; NumVGPRsForWavesPerEU: 1
; Occupancy: 16
; WaveLimiterHint : 0
; COMPUTE_PGM_RSRC2:SCRATCH_EN: 0
; COMPUTE_PGM_RSRC2:USER_SGPR: 2
; COMPUTE_PGM_RSRC2:TRAP_HANDLER: 0
; COMPUTE_PGM_RSRC2:TGID_X_EN: 1
; COMPUTE_PGM_RSRC2:TGID_Y_EN: 0
; COMPUTE_PGM_RSRC2:TGID_Z_EN: 0
; COMPUTE_PGM_RSRC2:TIDIG_COMP_CNT: 0
	.section	.text._ZN7rocprim17ROCPRIM_400000_NS6detail17trampoline_kernelINS0_13select_configILj256ELj13ELNS0_17block_load_methodE3ELS4_3ELS4_3ELNS0_20block_scan_algorithmE0ELj4294967295EEENS1_25partition_config_selectorILNS1_17partition_subalgoE3EjNS0_10empty_typeEbEEZZNS1_14partition_implILS8_3ELb0ES6_jNS0_17counting_iteratorIjlEEPS9_SE_NS0_5tupleIJPjSE_EEENSF_IJSE_SE_EEES9_SG_JZNS1_25segmented_radix_sort_implINS0_14default_configELb1EPKbPbPKlPlN2at6native12_GLOBAL__N_18offset_tEEE10hipError_tPvRmT1_PNSt15iterator_traitsISY_E10value_typeET2_T3_PNSZ_IS14_E10value_typeET4_jRbjT5_S1A_jjP12ihipStream_tbEUljE_EEESV_SW_SX_S14_S18_S1A_T6_T7_T9_mT8_S1C_bDpT10_ENKUlT_T0_E_clISt17integral_constantIbLb1EES1O_IbLb0EEEEDaS1K_S1L_EUlS1K_E_NS1_11comp_targetILNS1_3genE8ELNS1_11target_archE1030ELNS1_3gpuE2ELNS1_3repE0EEENS1_30default_config_static_selectorELNS0_4arch9wavefront6targetE0EEEvSY_,"axG",@progbits,_ZN7rocprim17ROCPRIM_400000_NS6detail17trampoline_kernelINS0_13select_configILj256ELj13ELNS0_17block_load_methodE3ELS4_3ELS4_3ELNS0_20block_scan_algorithmE0ELj4294967295EEENS1_25partition_config_selectorILNS1_17partition_subalgoE3EjNS0_10empty_typeEbEEZZNS1_14partition_implILS8_3ELb0ES6_jNS0_17counting_iteratorIjlEEPS9_SE_NS0_5tupleIJPjSE_EEENSF_IJSE_SE_EEES9_SG_JZNS1_25segmented_radix_sort_implINS0_14default_configELb1EPKbPbPKlPlN2at6native12_GLOBAL__N_18offset_tEEE10hipError_tPvRmT1_PNSt15iterator_traitsISY_E10value_typeET2_T3_PNSZ_IS14_E10value_typeET4_jRbjT5_S1A_jjP12ihipStream_tbEUljE_EEESV_SW_SX_S14_S18_S1A_T6_T7_T9_mT8_S1C_bDpT10_ENKUlT_T0_E_clISt17integral_constantIbLb1EES1O_IbLb0EEEEDaS1K_S1L_EUlS1K_E_NS1_11comp_targetILNS1_3genE8ELNS1_11target_archE1030ELNS1_3gpuE2ELNS1_3repE0EEENS1_30default_config_static_selectorELNS0_4arch9wavefront6targetE0EEEvSY_,comdat
	.globl	_ZN7rocprim17ROCPRIM_400000_NS6detail17trampoline_kernelINS0_13select_configILj256ELj13ELNS0_17block_load_methodE3ELS4_3ELS4_3ELNS0_20block_scan_algorithmE0ELj4294967295EEENS1_25partition_config_selectorILNS1_17partition_subalgoE3EjNS0_10empty_typeEbEEZZNS1_14partition_implILS8_3ELb0ES6_jNS0_17counting_iteratorIjlEEPS9_SE_NS0_5tupleIJPjSE_EEENSF_IJSE_SE_EEES9_SG_JZNS1_25segmented_radix_sort_implINS0_14default_configELb1EPKbPbPKlPlN2at6native12_GLOBAL__N_18offset_tEEE10hipError_tPvRmT1_PNSt15iterator_traitsISY_E10value_typeET2_T3_PNSZ_IS14_E10value_typeET4_jRbjT5_S1A_jjP12ihipStream_tbEUljE_EEESV_SW_SX_S14_S18_S1A_T6_T7_T9_mT8_S1C_bDpT10_ENKUlT_T0_E_clISt17integral_constantIbLb1EES1O_IbLb0EEEEDaS1K_S1L_EUlS1K_E_NS1_11comp_targetILNS1_3genE8ELNS1_11target_archE1030ELNS1_3gpuE2ELNS1_3repE0EEENS1_30default_config_static_selectorELNS0_4arch9wavefront6targetE0EEEvSY_ ; -- Begin function _ZN7rocprim17ROCPRIM_400000_NS6detail17trampoline_kernelINS0_13select_configILj256ELj13ELNS0_17block_load_methodE3ELS4_3ELS4_3ELNS0_20block_scan_algorithmE0ELj4294967295EEENS1_25partition_config_selectorILNS1_17partition_subalgoE3EjNS0_10empty_typeEbEEZZNS1_14partition_implILS8_3ELb0ES6_jNS0_17counting_iteratorIjlEEPS9_SE_NS0_5tupleIJPjSE_EEENSF_IJSE_SE_EEES9_SG_JZNS1_25segmented_radix_sort_implINS0_14default_configELb1EPKbPbPKlPlN2at6native12_GLOBAL__N_18offset_tEEE10hipError_tPvRmT1_PNSt15iterator_traitsISY_E10value_typeET2_T3_PNSZ_IS14_E10value_typeET4_jRbjT5_S1A_jjP12ihipStream_tbEUljE_EEESV_SW_SX_S14_S18_S1A_T6_T7_T9_mT8_S1C_bDpT10_ENKUlT_T0_E_clISt17integral_constantIbLb1EES1O_IbLb0EEEEDaS1K_S1L_EUlS1K_E_NS1_11comp_targetILNS1_3genE8ELNS1_11target_archE1030ELNS1_3gpuE2ELNS1_3repE0EEENS1_30default_config_static_selectorELNS0_4arch9wavefront6targetE0EEEvSY_
	.p2align	8
	.type	_ZN7rocprim17ROCPRIM_400000_NS6detail17trampoline_kernelINS0_13select_configILj256ELj13ELNS0_17block_load_methodE3ELS4_3ELS4_3ELNS0_20block_scan_algorithmE0ELj4294967295EEENS1_25partition_config_selectorILNS1_17partition_subalgoE3EjNS0_10empty_typeEbEEZZNS1_14partition_implILS8_3ELb0ES6_jNS0_17counting_iteratorIjlEEPS9_SE_NS0_5tupleIJPjSE_EEENSF_IJSE_SE_EEES9_SG_JZNS1_25segmented_radix_sort_implINS0_14default_configELb1EPKbPbPKlPlN2at6native12_GLOBAL__N_18offset_tEEE10hipError_tPvRmT1_PNSt15iterator_traitsISY_E10value_typeET2_T3_PNSZ_IS14_E10value_typeET4_jRbjT5_S1A_jjP12ihipStream_tbEUljE_EEESV_SW_SX_S14_S18_S1A_T6_T7_T9_mT8_S1C_bDpT10_ENKUlT_T0_E_clISt17integral_constantIbLb1EES1O_IbLb0EEEEDaS1K_S1L_EUlS1K_E_NS1_11comp_targetILNS1_3genE8ELNS1_11target_archE1030ELNS1_3gpuE2ELNS1_3repE0EEENS1_30default_config_static_selectorELNS0_4arch9wavefront6targetE0EEEvSY_,@function
_ZN7rocprim17ROCPRIM_400000_NS6detail17trampoline_kernelINS0_13select_configILj256ELj13ELNS0_17block_load_methodE3ELS4_3ELS4_3ELNS0_20block_scan_algorithmE0ELj4294967295EEENS1_25partition_config_selectorILNS1_17partition_subalgoE3EjNS0_10empty_typeEbEEZZNS1_14partition_implILS8_3ELb0ES6_jNS0_17counting_iteratorIjlEEPS9_SE_NS0_5tupleIJPjSE_EEENSF_IJSE_SE_EEES9_SG_JZNS1_25segmented_radix_sort_implINS0_14default_configELb1EPKbPbPKlPlN2at6native12_GLOBAL__N_18offset_tEEE10hipError_tPvRmT1_PNSt15iterator_traitsISY_E10value_typeET2_T3_PNSZ_IS14_E10value_typeET4_jRbjT5_S1A_jjP12ihipStream_tbEUljE_EEESV_SW_SX_S14_S18_S1A_T6_T7_T9_mT8_S1C_bDpT10_ENKUlT_T0_E_clISt17integral_constantIbLb1EES1O_IbLb0EEEEDaS1K_S1L_EUlS1K_E_NS1_11comp_targetILNS1_3genE8ELNS1_11target_archE1030ELNS1_3gpuE2ELNS1_3repE0EEENS1_30default_config_static_selectorELNS0_4arch9wavefront6targetE0EEEvSY_: ; @_ZN7rocprim17ROCPRIM_400000_NS6detail17trampoline_kernelINS0_13select_configILj256ELj13ELNS0_17block_load_methodE3ELS4_3ELS4_3ELNS0_20block_scan_algorithmE0ELj4294967295EEENS1_25partition_config_selectorILNS1_17partition_subalgoE3EjNS0_10empty_typeEbEEZZNS1_14partition_implILS8_3ELb0ES6_jNS0_17counting_iteratorIjlEEPS9_SE_NS0_5tupleIJPjSE_EEENSF_IJSE_SE_EEES9_SG_JZNS1_25segmented_radix_sort_implINS0_14default_configELb1EPKbPbPKlPlN2at6native12_GLOBAL__N_18offset_tEEE10hipError_tPvRmT1_PNSt15iterator_traitsISY_E10value_typeET2_T3_PNSZ_IS14_E10value_typeET4_jRbjT5_S1A_jjP12ihipStream_tbEUljE_EEESV_SW_SX_S14_S18_S1A_T6_T7_T9_mT8_S1C_bDpT10_ENKUlT_T0_E_clISt17integral_constantIbLb1EES1O_IbLb0EEEEDaS1K_S1L_EUlS1K_E_NS1_11comp_targetILNS1_3genE8ELNS1_11target_archE1030ELNS1_3gpuE2ELNS1_3repE0EEENS1_30default_config_static_selectorELNS0_4arch9wavefront6targetE0EEEvSY_
; %bb.0:
	.section	.rodata,"a",@progbits
	.p2align	6, 0x0
	.amdhsa_kernel _ZN7rocprim17ROCPRIM_400000_NS6detail17trampoline_kernelINS0_13select_configILj256ELj13ELNS0_17block_load_methodE3ELS4_3ELS4_3ELNS0_20block_scan_algorithmE0ELj4294967295EEENS1_25partition_config_selectorILNS1_17partition_subalgoE3EjNS0_10empty_typeEbEEZZNS1_14partition_implILS8_3ELb0ES6_jNS0_17counting_iteratorIjlEEPS9_SE_NS0_5tupleIJPjSE_EEENSF_IJSE_SE_EEES9_SG_JZNS1_25segmented_radix_sort_implINS0_14default_configELb1EPKbPbPKlPlN2at6native12_GLOBAL__N_18offset_tEEE10hipError_tPvRmT1_PNSt15iterator_traitsISY_E10value_typeET2_T3_PNSZ_IS14_E10value_typeET4_jRbjT5_S1A_jjP12ihipStream_tbEUljE_EEESV_SW_SX_S14_S18_S1A_T6_T7_T9_mT8_S1C_bDpT10_ENKUlT_T0_E_clISt17integral_constantIbLb1EES1O_IbLb0EEEEDaS1K_S1L_EUlS1K_E_NS1_11comp_targetILNS1_3genE8ELNS1_11target_archE1030ELNS1_3gpuE2ELNS1_3repE0EEENS1_30default_config_static_selectorELNS0_4arch9wavefront6targetE0EEEvSY_
		.amdhsa_group_segment_fixed_size 0
		.amdhsa_private_segment_fixed_size 0
		.amdhsa_kernarg_size 144
		.amdhsa_user_sgpr_count 2
		.amdhsa_user_sgpr_dispatch_ptr 0
		.amdhsa_user_sgpr_queue_ptr 0
		.amdhsa_user_sgpr_kernarg_segment_ptr 1
		.amdhsa_user_sgpr_dispatch_id 0
		.amdhsa_user_sgpr_private_segment_size 0
		.amdhsa_wavefront_size32 1
		.amdhsa_uses_dynamic_stack 0
		.amdhsa_enable_private_segment 0
		.amdhsa_system_sgpr_workgroup_id_x 1
		.amdhsa_system_sgpr_workgroup_id_y 0
		.amdhsa_system_sgpr_workgroup_id_z 0
		.amdhsa_system_sgpr_workgroup_info 0
		.amdhsa_system_vgpr_workitem_id 0
		.amdhsa_next_free_vgpr 1
		.amdhsa_next_free_sgpr 1
		.amdhsa_reserve_vcc 0
		.amdhsa_float_round_mode_32 0
		.amdhsa_float_round_mode_16_64 0
		.amdhsa_float_denorm_mode_32 3
		.amdhsa_float_denorm_mode_16_64 3
		.amdhsa_fp16_overflow 0
		.amdhsa_workgroup_processor_mode 1
		.amdhsa_memory_ordered 1
		.amdhsa_forward_progress 1
		.amdhsa_inst_pref_size 0
		.amdhsa_round_robin_scheduling 0
		.amdhsa_exception_fp_ieee_invalid_op 0
		.amdhsa_exception_fp_denorm_src 0
		.amdhsa_exception_fp_ieee_div_zero 0
		.amdhsa_exception_fp_ieee_overflow 0
		.amdhsa_exception_fp_ieee_underflow 0
		.amdhsa_exception_fp_ieee_inexact 0
		.amdhsa_exception_int_div_zero 0
	.end_amdhsa_kernel
	.section	.text._ZN7rocprim17ROCPRIM_400000_NS6detail17trampoline_kernelINS0_13select_configILj256ELj13ELNS0_17block_load_methodE3ELS4_3ELS4_3ELNS0_20block_scan_algorithmE0ELj4294967295EEENS1_25partition_config_selectorILNS1_17partition_subalgoE3EjNS0_10empty_typeEbEEZZNS1_14partition_implILS8_3ELb0ES6_jNS0_17counting_iteratorIjlEEPS9_SE_NS0_5tupleIJPjSE_EEENSF_IJSE_SE_EEES9_SG_JZNS1_25segmented_radix_sort_implINS0_14default_configELb1EPKbPbPKlPlN2at6native12_GLOBAL__N_18offset_tEEE10hipError_tPvRmT1_PNSt15iterator_traitsISY_E10value_typeET2_T3_PNSZ_IS14_E10value_typeET4_jRbjT5_S1A_jjP12ihipStream_tbEUljE_EEESV_SW_SX_S14_S18_S1A_T6_T7_T9_mT8_S1C_bDpT10_ENKUlT_T0_E_clISt17integral_constantIbLb1EES1O_IbLb0EEEEDaS1K_S1L_EUlS1K_E_NS1_11comp_targetILNS1_3genE8ELNS1_11target_archE1030ELNS1_3gpuE2ELNS1_3repE0EEENS1_30default_config_static_selectorELNS0_4arch9wavefront6targetE0EEEvSY_,"axG",@progbits,_ZN7rocprim17ROCPRIM_400000_NS6detail17trampoline_kernelINS0_13select_configILj256ELj13ELNS0_17block_load_methodE3ELS4_3ELS4_3ELNS0_20block_scan_algorithmE0ELj4294967295EEENS1_25partition_config_selectorILNS1_17partition_subalgoE3EjNS0_10empty_typeEbEEZZNS1_14partition_implILS8_3ELb0ES6_jNS0_17counting_iteratorIjlEEPS9_SE_NS0_5tupleIJPjSE_EEENSF_IJSE_SE_EEES9_SG_JZNS1_25segmented_radix_sort_implINS0_14default_configELb1EPKbPbPKlPlN2at6native12_GLOBAL__N_18offset_tEEE10hipError_tPvRmT1_PNSt15iterator_traitsISY_E10value_typeET2_T3_PNSZ_IS14_E10value_typeET4_jRbjT5_S1A_jjP12ihipStream_tbEUljE_EEESV_SW_SX_S14_S18_S1A_T6_T7_T9_mT8_S1C_bDpT10_ENKUlT_T0_E_clISt17integral_constantIbLb1EES1O_IbLb0EEEEDaS1K_S1L_EUlS1K_E_NS1_11comp_targetILNS1_3genE8ELNS1_11target_archE1030ELNS1_3gpuE2ELNS1_3repE0EEENS1_30default_config_static_selectorELNS0_4arch9wavefront6targetE0EEEvSY_,comdat
.Lfunc_end1523:
	.size	_ZN7rocprim17ROCPRIM_400000_NS6detail17trampoline_kernelINS0_13select_configILj256ELj13ELNS0_17block_load_methodE3ELS4_3ELS4_3ELNS0_20block_scan_algorithmE0ELj4294967295EEENS1_25partition_config_selectorILNS1_17partition_subalgoE3EjNS0_10empty_typeEbEEZZNS1_14partition_implILS8_3ELb0ES6_jNS0_17counting_iteratorIjlEEPS9_SE_NS0_5tupleIJPjSE_EEENSF_IJSE_SE_EEES9_SG_JZNS1_25segmented_radix_sort_implINS0_14default_configELb1EPKbPbPKlPlN2at6native12_GLOBAL__N_18offset_tEEE10hipError_tPvRmT1_PNSt15iterator_traitsISY_E10value_typeET2_T3_PNSZ_IS14_E10value_typeET4_jRbjT5_S1A_jjP12ihipStream_tbEUljE_EEESV_SW_SX_S14_S18_S1A_T6_T7_T9_mT8_S1C_bDpT10_ENKUlT_T0_E_clISt17integral_constantIbLb1EES1O_IbLb0EEEEDaS1K_S1L_EUlS1K_E_NS1_11comp_targetILNS1_3genE8ELNS1_11target_archE1030ELNS1_3gpuE2ELNS1_3repE0EEENS1_30default_config_static_selectorELNS0_4arch9wavefront6targetE0EEEvSY_, .Lfunc_end1523-_ZN7rocprim17ROCPRIM_400000_NS6detail17trampoline_kernelINS0_13select_configILj256ELj13ELNS0_17block_load_methodE3ELS4_3ELS4_3ELNS0_20block_scan_algorithmE0ELj4294967295EEENS1_25partition_config_selectorILNS1_17partition_subalgoE3EjNS0_10empty_typeEbEEZZNS1_14partition_implILS8_3ELb0ES6_jNS0_17counting_iteratorIjlEEPS9_SE_NS0_5tupleIJPjSE_EEENSF_IJSE_SE_EEES9_SG_JZNS1_25segmented_radix_sort_implINS0_14default_configELb1EPKbPbPKlPlN2at6native12_GLOBAL__N_18offset_tEEE10hipError_tPvRmT1_PNSt15iterator_traitsISY_E10value_typeET2_T3_PNSZ_IS14_E10value_typeET4_jRbjT5_S1A_jjP12ihipStream_tbEUljE_EEESV_SW_SX_S14_S18_S1A_T6_T7_T9_mT8_S1C_bDpT10_ENKUlT_T0_E_clISt17integral_constantIbLb1EES1O_IbLb0EEEEDaS1K_S1L_EUlS1K_E_NS1_11comp_targetILNS1_3genE8ELNS1_11target_archE1030ELNS1_3gpuE2ELNS1_3repE0EEENS1_30default_config_static_selectorELNS0_4arch9wavefront6targetE0EEEvSY_
                                        ; -- End function
	.set _ZN7rocprim17ROCPRIM_400000_NS6detail17trampoline_kernelINS0_13select_configILj256ELj13ELNS0_17block_load_methodE3ELS4_3ELS4_3ELNS0_20block_scan_algorithmE0ELj4294967295EEENS1_25partition_config_selectorILNS1_17partition_subalgoE3EjNS0_10empty_typeEbEEZZNS1_14partition_implILS8_3ELb0ES6_jNS0_17counting_iteratorIjlEEPS9_SE_NS0_5tupleIJPjSE_EEENSF_IJSE_SE_EEES9_SG_JZNS1_25segmented_radix_sort_implINS0_14default_configELb1EPKbPbPKlPlN2at6native12_GLOBAL__N_18offset_tEEE10hipError_tPvRmT1_PNSt15iterator_traitsISY_E10value_typeET2_T3_PNSZ_IS14_E10value_typeET4_jRbjT5_S1A_jjP12ihipStream_tbEUljE_EEESV_SW_SX_S14_S18_S1A_T6_T7_T9_mT8_S1C_bDpT10_ENKUlT_T0_E_clISt17integral_constantIbLb1EES1O_IbLb0EEEEDaS1K_S1L_EUlS1K_E_NS1_11comp_targetILNS1_3genE8ELNS1_11target_archE1030ELNS1_3gpuE2ELNS1_3repE0EEENS1_30default_config_static_selectorELNS0_4arch9wavefront6targetE0EEEvSY_.num_vgpr, 0
	.set _ZN7rocprim17ROCPRIM_400000_NS6detail17trampoline_kernelINS0_13select_configILj256ELj13ELNS0_17block_load_methodE3ELS4_3ELS4_3ELNS0_20block_scan_algorithmE0ELj4294967295EEENS1_25partition_config_selectorILNS1_17partition_subalgoE3EjNS0_10empty_typeEbEEZZNS1_14partition_implILS8_3ELb0ES6_jNS0_17counting_iteratorIjlEEPS9_SE_NS0_5tupleIJPjSE_EEENSF_IJSE_SE_EEES9_SG_JZNS1_25segmented_radix_sort_implINS0_14default_configELb1EPKbPbPKlPlN2at6native12_GLOBAL__N_18offset_tEEE10hipError_tPvRmT1_PNSt15iterator_traitsISY_E10value_typeET2_T3_PNSZ_IS14_E10value_typeET4_jRbjT5_S1A_jjP12ihipStream_tbEUljE_EEESV_SW_SX_S14_S18_S1A_T6_T7_T9_mT8_S1C_bDpT10_ENKUlT_T0_E_clISt17integral_constantIbLb1EES1O_IbLb0EEEEDaS1K_S1L_EUlS1K_E_NS1_11comp_targetILNS1_3genE8ELNS1_11target_archE1030ELNS1_3gpuE2ELNS1_3repE0EEENS1_30default_config_static_selectorELNS0_4arch9wavefront6targetE0EEEvSY_.num_agpr, 0
	.set _ZN7rocprim17ROCPRIM_400000_NS6detail17trampoline_kernelINS0_13select_configILj256ELj13ELNS0_17block_load_methodE3ELS4_3ELS4_3ELNS0_20block_scan_algorithmE0ELj4294967295EEENS1_25partition_config_selectorILNS1_17partition_subalgoE3EjNS0_10empty_typeEbEEZZNS1_14partition_implILS8_3ELb0ES6_jNS0_17counting_iteratorIjlEEPS9_SE_NS0_5tupleIJPjSE_EEENSF_IJSE_SE_EEES9_SG_JZNS1_25segmented_radix_sort_implINS0_14default_configELb1EPKbPbPKlPlN2at6native12_GLOBAL__N_18offset_tEEE10hipError_tPvRmT1_PNSt15iterator_traitsISY_E10value_typeET2_T3_PNSZ_IS14_E10value_typeET4_jRbjT5_S1A_jjP12ihipStream_tbEUljE_EEESV_SW_SX_S14_S18_S1A_T6_T7_T9_mT8_S1C_bDpT10_ENKUlT_T0_E_clISt17integral_constantIbLb1EES1O_IbLb0EEEEDaS1K_S1L_EUlS1K_E_NS1_11comp_targetILNS1_3genE8ELNS1_11target_archE1030ELNS1_3gpuE2ELNS1_3repE0EEENS1_30default_config_static_selectorELNS0_4arch9wavefront6targetE0EEEvSY_.numbered_sgpr, 0
	.set _ZN7rocprim17ROCPRIM_400000_NS6detail17trampoline_kernelINS0_13select_configILj256ELj13ELNS0_17block_load_methodE3ELS4_3ELS4_3ELNS0_20block_scan_algorithmE0ELj4294967295EEENS1_25partition_config_selectorILNS1_17partition_subalgoE3EjNS0_10empty_typeEbEEZZNS1_14partition_implILS8_3ELb0ES6_jNS0_17counting_iteratorIjlEEPS9_SE_NS0_5tupleIJPjSE_EEENSF_IJSE_SE_EEES9_SG_JZNS1_25segmented_radix_sort_implINS0_14default_configELb1EPKbPbPKlPlN2at6native12_GLOBAL__N_18offset_tEEE10hipError_tPvRmT1_PNSt15iterator_traitsISY_E10value_typeET2_T3_PNSZ_IS14_E10value_typeET4_jRbjT5_S1A_jjP12ihipStream_tbEUljE_EEESV_SW_SX_S14_S18_S1A_T6_T7_T9_mT8_S1C_bDpT10_ENKUlT_T0_E_clISt17integral_constantIbLb1EES1O_IbLb0EEEEDaS1K_S1L_EUlS1K_E_NS1_11comp_targetILNS1_3genE8ELNS1_11target_archE1030ELNS1_3gpuE2ELNS1_3repE0EEENS1_30default_config_static_selectorELNS0_4arch9wavefront6targetE0EEEvSY_.num_named_barrier, 0
	.set _ZN7rocprim17ROCPRIM_400000_NS6detail17trampoline_kernelINS0_13select_configILj256ELj13ELNS0_17block_load_methodE3ELS4_3ELS4_3ELNS0_20block_scan_algorithmE0ELj4294967295EEENS1_25partition_config_selectorILNS1_17partition_subalgoE3EjNS0_10empty_typeEbEEZZNS1_14partition_implILS8_3ELb0ES6_jNS0_17counting_iteratorIjlEEPS9_SE_NS0_5tupleIJPjSE_EEENSF_IJSE_SE_EEES9_SG_JZNS1_25segmented_radix_sort_implINS0_14default_configELb1EPKbPbPKlPlN2at6native12_GLOBAL__N_18offset_tEEE10hipError_tPvRmT1_PNSt15iterator_traitsISY_E10value_typeET2_T3_PNSZ_IS14_E10value_typeET4_jRbjT5_S1A_jjP12ihipStream_tbEUljE_EEESV_SW_SX_S14_S18_S1A_T6_T7_T9_mT8_S1C_bDpT10_ENKUlT_T0_E_clISt17integral_constantIbLb1EES1O_IbLb0EEEEDaS1K_S1L_EUlS1K_E_NS1_11comp_targetILNS1_3genE8ELNS1_11target_archE1030ELNS1_3gpuE2ELNS1_3repE0EEENS1_30default_config_static_selectorELNS0_4arch9wavefront6targetE0EEEvSY_.private_seg_size, 0
	.set _ZN7rocprim17ROCPRIM_400000_NS6detail17trampoline_kernelINS0_13select_configILj256ELj13ELNS0_17block_load_methodE3ELS4_3ELS4_3ELNS0_20block_scan_algorithmE0ELj4294967295EEENS1_25partition_config_selectorILNS1_17partition_subalgoE3EjNS0_10empty_typeEbEEZZNS1_14partition_implILS8_3ELb0ES6_jNS0_17counting_iteratorIjlEEPS9_SE_NS0_5tupleIJPjSE_EEENSF_IJSE_SE_EEES9_SG_JZNS1_25segmented_radix_sort_implINS0_14default_configELb1EPKbPbPKlPlN2at6native12_GLOBAL__N_18offset_tEEE10hipError_tPvRmT1_PNSt15iterator_traitsISY_E10value_typeET2_T3_PNSZ_IS14_E10value_typeET4_jRbjT5_S1A_jjP12ihipStream_tbEUljE_EEESV_SW_SX_S14_S18_S1A_T6_T7_T9_mT8_S1C_bDpT10_ENKUlT_T0_E_clISt17integral_constantIbLb1EES1O_IbLb0EEEEDaS1K_S1L_EUlS1K_E_NS1_11comp_targetILNS1_3genE8ELNS1_11target_archE1030ELNS1_3gpuE2ELNS1_3repE0EEENS1_30default_config_static_selectorELNS0_4arch9wavefront6targetE0EEEvSY_.uses_vcc, 0
	.set _ZN7rocprim17ROCPRIM_400000_NS6detail17trampoline_kernelINS0_13select_configILj256ELj13ELNS0_17block_load_methodE3ELS4_3ELS4_3ELNS0_20block_scan_algorithmE0ELj4294967295EEENS1_25partition_config_selectorILNS1_17partition_subalgoE3EjNS0_10empty_typeEbEEZZNS1_14partition_implILS8_3ELb0ES6_jNS0_17counting_iteratorIjlEEPS9_SE_NS0_5tupleIJPjSE_EEENSF_IJSE_SE_EEES9_SG_JZNS1_25segmented_radix_sort_implINS0_14default_configELb1EPKbPbPKlPlN2at6native12_GLOBAL__N_18offset_tEEE10hipError_tPvRmT1_PNSt15iterator_traitsISY_E10value_typeET2_T3_PNSZ_IS14_E10value_typeET4_jRbjT5_S1A_jjP12ihipStream_tbEUljE_EEESV_SW_SX_S14_S18_S1A_T6_T7_T9_mT8_S1C_bDpT10_ENKUlT_T0_E_clISt17integral_constantIbLb1EES1O_IbLb0EEEEDaS1K_S1L_EUlS1K_E_NS1_11comp_targetILNS1_3genE8ELNS1_11target_archE1030ELNS1_3gpuE2ELNS1_3repE0EEENS1_30default_config_static_selectorELNS0_4arch9wavefront6targetE0EEEvSY_.uses_flat_scratch, 0
	.set _ZN7rocprim17ROCPRIM_400000_NS6detail17trampoline_kernelINS0_13select_configILj256ELj13ELNS0_17block_load_methodE3ELS4_3ELS4_3ELNS0_20block_scan_algorithmE0ELj4294967295EEENS1_25partition_config_selectorILNS1_17partition_subalgoE3EjNS0_10empty_typeEbEEZZNS1_14partition_implILS8_3ELb0ES6_jNS0_17counting_iteratorIjlEEPS9_SE_NS0_5tupleIJPjSE_EEENSF_IJSE_SE_EEES9_SG_JZNS1_25segmented_radix_sort_implINS0_14default_configELb1EPKbPbPKlPlN2at6native12_GLOBAL__N_18offset_tEEE10hipError_tPvRmT1_PNSt15iterator_traitsISY_E10value_typeET2_T3_PNSZ_IS14_E10value_typeET4_jRbjT5_S1A_jjP12ihipStream_tbEUljE_EEESV_SW_SX_S14_S18_S1A_T6_T7_T9_mT8_S1C_bDpT10_ENKUlT_T0_E_clISt17integral_constantIbLb1EES1O_IbLb0EEEEDaS1K_S1L_EUlS1K_E_NS1_11comp_targetILNS1_3genE8ELNS1_11target_archE1030ELNS1_3gpuE2ELNS1_3repE0EEENS1_30default_config_static_selectorELNS0_4arch9wavefront6targetE0EEEvSY_.has_dyn_sized_stack, 0
	.set _ZN7rocprim17ROCPRIM_400000_NS6detail17trampoline_kernelINS0_13select_configILj256ELj13ELNS0_17block_load_methodE3ELS4_3ELS4_3ELNS0_20block_scan_algorithmE0ELj4294967295EEENS1_25partition_config_selectorILNS1_17partition_subalgoE3EjNS0_10empty_typeEbEEZZNS1_14partition_implILS8_3ELb0ES6_jNS0_17counting_iteratorIjlEEPS9_SE_NS0_5tupleIJPjSE_EEENSF_IJSE_SE_EEES9_SG_JZNS1_25segmented_radix_sort_implINS0_14default_configELb1EPKbPbPKlPlN2at6native12_GLOBAL__N_18offset_tEEE10hipError_tPvRmT1_PNSt15iterator_traitsISY_E10value_typeET2_T3_PNSZ_IS14_E10value_typeET4_jRbjT5_S1A_jjP12ihipStream_tbEUljE_EEESV_SW_SX_S14_S18_S1A_T6_T7_T9_mT8_S1C_bDpT10_ENKUlT_T0_E_clISt17integral_constantIbLb1EES1O_IbLb0EEEEDaS1K_S1L_EUlS1K_E_NS1_11comp_targetILNS1_3genE8ELNS1_11target_archE1030ELNS1_3gpuE2ELNS1_3repE0EEENS1_30default_config_static_selectorELNS0_4arch9wavefront6targetE0EEEvSY_.has_recursion, 0
	.set _ZN7rocprim17ROCPRIM_400000_NS6detail17trampoline_kernelINS0_13select_configILj256ELj13ELNS0_17block_load_methodE3ELS4_3ELS4_3ELNS0_20block_scan_algorithmE0ELj4294967295EEENS1_25partition_config_selectorILNS1_17partition_subalgoE3EjNS0_10empty_typeEbEEZZNS1_14partition_implILS8_3ELb0ES6_jNS0_17counting_iteratorIjlEEPS9_SE_NS0_5tupleIJPjSE_EEENSF_IJSE_SE_EEES9_SG_JZNS1_25segmented_radix_sort_implINS0_14default_configELb1EPKbPbPKlPlN2at6native12_GLOBAL__N_18offset_tEEE10hipError_tPvRmT1_PNSt15iterator_traitsISY_E10value_typeET2_T3_PNSZ_IS14_E10value_typeET4_jRbjT5_S1A_jjP12ihipStream_tbEUljE_EEESV_SW_SX_S14_S18_S1A_T6_T7_T9_mT8_S1C_bDpT10_ENKUlT_T0_E_clISt17integral_constantIbLb1EES1O_IbLb0EEEEDaS1K_S1L_EUlS1K_E_NS1_11comp_targetILNS1_3genE8ELNS1_11target_archE1030ELNS1_3gpuE2ELNS1_3repE0EEENS1_30default_config_static_selectorELNS0_4arch9wavefront6targetE0EEEvSY_.has_indirect_call, 0
	.section	.AMDGPU.csdata,"",@progbits
; Kernel info:
; codeLenInByte = 0
; TotalNumSgprs: 0
; NumVgprs: 0
; ScratchSize: 0
; MemoryBound: 0
; FloatMode: 240
; IeeeMode: 1
; LDSByteSize: 0 bytes/workgroup (compile time only)
; SGPRBlocks: 0
; VGPRBlocks: 0
; NumSGPRsForWavesPerEU: 1
; NumVGPRsForWavesPerEU: 1
; Occupancy: 16
; WaveLimiterHint : 0
; COMPUTE_PGM_RSRC2:SCRATCH_EN: 0
; COMPUTE_PGM_RSRC2:USER_SGPR: 2
; COMPUTE_PGM_RSRC2:TRAP_HANDLER: 0
; COMPUTE_PGM_RSRC2:TGID_X_EN: 1
; COMPUTE_PGM_RSRC2:TGID_Y_EN: 0
; COMPUTE_PGM_RSRC2:TGID_Z_EN: 0
; COMPUTE_PGM_RSRC2:TIDIG_COMP_CNT: 0
	.section	.text._ZN7rocprim17ROCPRIM_400000_NS6detail17trampoline_kernelINS0_13select_configILj256ELj13ELNS0_17block_load_methodE3ELS4_3ELS4_3ELNS0_20block_scan_algorithmE0ELj4294967295EEENS1_25partition_config_selectorILNS1_17partition_subalgoE3EjNS0_10empty_typeEbEEZZNS1_14partition_implILS8_3ELb0ES6_jNS0_17counting_iteratorIjlEEPS9_SE_NS0_5tupleIJPjSE_EEENSF_IJSE_SE_EEES9_SG_JZNS1_25segmented_radix_sort_implINS0_14default_configELb1EPKbPbPKlPlN2at6native12_GLOBAL__N_18offset_tEEE10hipError_tPvRmT1_PNSt15iterator_traitsISY_E10value_typeET2_T3_PNSZ_IS14_E10value_typeET4_jRbjT5_S1A_jjP12ihipStream_tbEUljE_EEESV_SW_SX_S14_S18_S1A_T6_T7_T9_mT8_S1C_bDpT10_ENKUlT_T0_E_clISt17integral_constantIbLb0EES1O_IbLb1EEEEDaS1K_S1L_EUlS1K_E_NS1_11comp_targetILNS1_3genE0ELNS1_11target_archE4294967295ELNS1_3gpuE0ELNS1_3repE0EEENS1_30default_config_static_selectorELNS0_4arch9wavefront6targetE0EEEvSY_,"axG",@progbits,_ZN7rocprim17ROCPRIM_400000_NS6detail17trampoline_kernelINS0_13select_configILj256ELj13ELNS0_17block_load_methodE3ELS4_3ELS4_3ELNS0_20block_scan_algorithmE0ELj4294967295EEENS1_25partition_config_selectorILNS1_17partition_subalgoE3EjNS0_10empty_typeEbEEZZNS1_14partition_implILS8_3ELb0ES6_jNS0_17counting_iteratorIjlEEPS9_SE_NS0_5tupleIJPjSE_EEENSF_IJSE_SE_EEES9_SG_JZNS1_25segmented_radix_sort_implINS0_14default_configELb1EPKbPbPKlPlN2at6native12_GLOBAL__N_18offset_tEEE10hipError_tPvRmT1_PNSt15iterator_traitsISY_E10value_typeET2_T3_PNSZ_IS14_E10value_typeET4_jRbjT5_S1A_jjP12ihipStream_tbEUljE_EEESV_SW_SX_S14_S18_S1A_T6_T7_T9_mT8_S1C_bDpT10_ENKUlT_T0_E_clISt17integral_constantIbLb0EES1O_IbLb1EEEEDaS1K_S1L_EUlS1K_E_NS1_11comp_targetILNS1_3genE0ELNS1_11target_archE4294967295ELNS1_3gpuE0ELNS1_3repE0EEENS1_30default_config_static_selectorELNS0_4arch9wavefront6targetE0EEEvSY_,comdat
	.globl	_ZN7rocprim17ROCPRIM_400000_NS6detail17trampoline_kernelINS0_13select_configILj256ELj13ELNS0_17block_load_methodE3ELS4_3ELS4_3ELNS0_20block_scan_algorithmE0ELj4294967295EEENS1_25partition_config_selectorILNS1_17partition_subalgoE3EjNS0_10empty_typeEbEEZZNS1_14partition_implILS8_3ELb0ES6_jNS0_17counting_iteratorIjlEEPS9_SE_NS0_5tupleIJPjSE_EEENSF_IJSE_SE_EEES9_SG_JZNS1_25segmented_radix_sort_implINS0_14default_configELb1EPKbPbPKlPlN2at6native12_GLOBAL__N_18offset_tEEE10hipError_tPvRmT1_PNSt15iterator_traitsISY_E10value_typeET2_T3_PNSZ_IS14_E10value_typeET4_jRbjT5_S1A_jjP12ihipStream_tbEUljE_EEESV_SW_SX_S14_S18_S1A_T6_T7_T9_mT8_S1C_bDpT10_ENKUlT_T0_E_clISt17integral_constantIbLb0EES1O_IbLb1EEEEDaS1K_S1L_EUlS1K_E_NS1_11comp_targetILNS1_3genE0ELNS1_11target_archE4294967295ELNS1_3gpuE0ELNS1_3repE0EEENS1_30default_config_static_selectorELNS0_4arch9wavefront6targetE0EEEvSY_ ; -- Begin function _ZN7rocprim17ROCPRIM_400000_NS6detail17trampoline_kernelINS0_13select_configILj256ELj13ELNS0_17block_load_methodE3ELS4_3ELS4_3ELNS0_20block_scan_algorithmE0ELj4294967295EEENS1_25partition_config_selectorILNS1_17partition_subalgoE3EjNS0_10empty_typeEbEEZZNS1_14partition_implILS8_3ELb0ES6_jNS0_17counting_iteratorIjlEEPS9_SE_NS0_5tupleIJPjSE_EEENSF_IJSE_SE_EEES9_SG_JZNS1_25segmented_radix_sort_implINS0_14default_configELb1EPKbPbPKlPlN2at6native12_GLOBAL__N_18offset_tEEE10hipError_tPvRmT1_PNSt15iterator_traitsISY_E10value_typeET2_T3_PNSZ_IS14_E10value_typeET4_jRbjT5_S1A_jjP12ihipStream_tbEUljE_EEESV_SW_SX_S14_S18_S1A_T6_T7_T9_mT8_S1C_bDpT10_ENKUlT_T0_E_clISt17integral_constantIbLb0EES1O_IbLb1EEEEDaS1K_S1L_EUlS1K_E_NS1_11comp_targetILNS1_3genE0ELNS1_11target_archE4294967295ELNS1_3gpuE0ELNS1_3repE0EEENS1_30default_config_static_selectorELNS0_4arch9wavefront6targetE0EEEvSY_
	.p2align	8
	.type	_ZN7rocprim17ROCPRIM_400000_NS6detail17trampoline_kernelINS0_13select_configILj256ELj13ELNS0_17block_load_methodE3ELS4_3ELS4_3ELNS0_20block_scan_algorithmE0ELj4294967295EEENS1_25partition_config_selectorILNS1_17partition_subalgoE3EjNS0_10empty_typeEbEEZZNS1_14partition_implILS8_3ELb0ES6_jNS0_17counting_iteratorIjlEEPS9_SE_NS0_5tupleIJPjSE_EEENSF_IJSE_SE_EEES9_SG_JZNS1_25segmented_radix_sort_implINS0_14default_configELb1EPKbPbPKlPlN2at6native12_GLOBAL__N_18offset_tEEE10hipError_tPvRmT1_PNSt15iterator_traitsISY_E10value_typeET2_T3_PNSZ_IS14_E10value_typeET4_jRbjT5_S1A_jjP12ihipStream_tbEUljE_EEESV_SW_SX_S14_S18_S1A_T6_T7_T9_mT8_S1C_bDpT10_ENKUlT_T0_E_clISt17integral_constantIbLb0EES1O_IbLb1EEEEDaS1K_S1L_EUlS1K_E_NS1_11comp_targetILNS1_3genE0ELNS1_11target_archE4294967295ELNS1_3gpuE0ELNS1_3repE0EEENS1_30default_config_static_selectorELNS0_4arch9wavefront6targetE0EEEvSY_,@function
_ZN7rocprim17ROCPRIM_400000_NS6detail17trampoline_kernelINS0_13select_configILj256ELj13ELNS0_17block_load_methodE3ELS4_3ELS4_3ELNS0_20block_scan_algorithmE0ELj4294967295EEENS1_25partition_config_selectorILNS1_17partition_subalgoE3EjNS0_10empty_typeEbEEZZNS1_14partition_implILS8_3ELb0ES6_jNS0_17counting_iteratorIjlEEPS9_SE_NS0_5tupleIJPjSE_EEENSF_IJSE_SE_EEES9_SG_JZNS1_25segmented_radix_sort_implINS0_14default_configELb1EPKbPbPKlPlN2at6native12_GLOBAL__N_18offset_tEEE10hipError_tPvRmT1_PNSt15iterator_traitsISY_E10value_typeET2_T3_PNSZ_IS14_E10value_typeET4_jRbjT5_S1A_jjP12ihipStream_tbEUljE_EEESV_SW_SX_S14_S18_S1A_T6_T7_T9_mT8_S1C_bDpT10_ENKUlT_T0_E_clISt17integral_constantIbLb0EES1O_IbLb1EEEEDaS1K_S1L_EUlS1K_E_NS1_11comp_targetILNS1_3genE0ELNS1_11target_archE4294967295ELNS1_3gpuE0ELNS1_3repE0EEENS1_30default_config_static_selectorELNS0_4arch9wavefront6targetE0EEEvSY_: ; @_ZN7rocprim17ROCPRIM_400000_NS6detail17trampoline_kernelINS0_13select_configILj256ELj13ELNS0_17block_load_methodE3ELS4_3ELS4_3ELNS0_20block_scan_algorithmE0ELj4294967295EEENS1_25partition_config_selectorILNS1_17partition_subalgoE3EjNS0_10empty_typeEbEEZZNS1_14partition_implILS8_3ELb0ES6_jNS0_17counting_iteratorIjlEEPS9_SE_NS0_5tupleIJPjSE_EEENSF_IJSE_SE_EEES9_SG_JZNS1_25segmented_radix_sort_implINS0_14default_configELb1EPKbPbPKlPlN2at6native12_GLOBAL__N_18offset_tEEE10hipError_tPvRmT1_PNSt15iterator_traitsISY_E10value_typeET2_T3_PNSZ_IS14_E10value_typeET4_jRbjT5_S1A_jjP12ihipStream_tbEUljE_EEESV_SW_SX_S14_S18_S1A_T6_T7_T9_mT8_S1C_bDpT10_ENKUlT_T0_E_clISt17integral_constantIbLb0EES1O_IbLb1EEEEDaS1K_S1L_EUlS1K_E_NS1_11comp_targetILNS1_3genE0ELNS1_11target_archE4294967295ELNS1_3gpuE0ELNS1_3repE0EEENS1_30default_config_static_selectorELNS0_4arch9wavefront6targetE0EEEvSY_
; %bb.0:
	.section	.rodata,"a",@progbits
	.p2align	6, 0x0
	.amdhsa_kernel _ZN7rocprim17ROCPRIM_400000_NS6detail17trampoline_kernelINS0_13select_configILj256ELj13ELNS0_17block_load_methodE3ELS4_3ELS4_3ELNS0_20block_scan_algorithmE0ELj4294967295EEENS1_25partition_config_selectorILNS1_17partition_subalgoE3EjNS0_10empty_typeEbEEZZNS1_14partition_implILS8_3ELb0ES6_jNS0_17counting_iteratorIjlEEPS9_SE_NS0_5tupleIJPjSE_EEENSF_IJSE_SE_EEES9_SG_JZNS1_25segmented_radix_sort_implINS0_14default_configELb1EPKbPbPKlPlN2at6native12_GLOBAL__N_18offset_tEEE10hipError_tPvRmT1_PNSt15iterator_traitsISY_E10value_typeET2_T3_PNSZ_IS14_E10value_typeET4_jRbjT5_S1A_jjP12ihipStream_tbEUljE_EEESV_SW_SX_S14_S18_S1A_T6_T7_T9_mT8_S1C_bDpT10_ENKUlT_T0_E_clISt17integral_constantIbLb0EES1O_IbLb1EEEEDaS1K_S1L_EUlS1K_E_NS1_11comp_targetILNS1_3genE0ELNS1_11target_archE4294967295ELNS1_3gpuE0ELNS1_3repE0EEENS1_30default_config_static_selectorELNS0_4arch9wavefront6targetE0EEEvSY_
		.amdhsa_group_segment_fixed_size 0
		.amdhsa_private_segment_fixed_size 0
		.amdhsa_kernarg_size 152
		.amdhsa_user_sgpr_count 2
		.amdhsa_user_sgpr_dispatch_ptr 0
		.amdhsa_user_sgpr_queue_ptr 0
		.amdhsa_user_sgpr_kernarg_segment_ptr 1
		.amdhsa_user_sgpr_dispatch_id 0
		.amdhsa_user_sgpr_private_segment_size 0
		.amdhsa_wavefront_size32 1
		.amdhsa_uses_dynamic_stack 0
		.amdhsa_enable_private_segment 0
		.amdhsa_system_sgpr_workgroup_id_x 1
		.amdhsa_system_sgpr_workgroup_id_y 0
		.amdhsa_system_sgpr_workgroup_id_z 0
		.amdhsa_system_sgpr_workgroup_info 0
		.amdhsa_system_vgpr_workitem_id 0
		.amdhsa_next_free_vgpr 1
		.amdhsa_next_free_sgpr 1
		.amdhsa_reserve_vcc 0
		.amdhsa_float_round_mode_32 0
		.amdhsa_float_round_mode_16_64 0
		.amdhsa_float_denorm_mode_32 3
		.amdhsa_float_denorm_mode_16_64 3
		.amdhsa_fp16_overflow 0
		.amdhsa_workgroup_processor_mode 1
		.amdhsa_memory_ordered 1
		.amdhsa_forward_progress 1
		.amdhsa_inst_pref_size 0
		.amdhsa_round_robin_scheduling 0
		.amdhsa_exception_fp_ieee_invalid_op 0
		.amdhsa_exception_fp_denorm_src 0
		.amdhsa_exception_fp_ieee_div_zero 0
		.amdhsa_exception_fp_ieee_overflow 0
		.amdhsa_exception_fp_ieee_underflow 0
		.amdhsa_exception_fp_ieee_inexact 0
		.amdhsa_exception_int_div_zero 0
	.end_amdhsa_kernel
	.section	.text._ZN7rocprim17ROCPRIM_400000_NS6detail17trampoline_kernelINS0_13select_configILj256ELj13ELNS0_17block_load_methodE3ELS4_3ELS4_3ELNS0_20block_scan_algorithmE0ELj4294967295EEENS1_25partition_config_selectorILNS1_17partition_subalgoE3EjNS0_10empty_typeEbEEZZNS1_14partition_implILS8_3ELb0ES6_jNS0_17counting_iteratorIjlEEPS9_SE_NS0_5tupleIJPjSE_EEENSF_IJSE_SE_EEES9_SG_JZNS1_25segmented_radix_sort_implINS0_14default_configELb1EPKbPbPKlPlN2at6native12_GLOBAL__N_18offset_tEEE10hipError_tPvRmT1_PNSt15iterator_traitsISY_E10value_typeET2_T3_PNSZ_IS14_E10value_typeET4_jRbjT5_S1A_jjP12ihipStream_tbEUljE_EEESV_SW_SX_S14_S18_S1A_T6_T7_T9_mT8_S1C_bDpT10_ENKUlT_T0_E_clISt17integral_constantIbLb0EES1O_IbLb1EEEEDaS1K_S1L_EUlS1K_E_NS1_11comp_targetILNS1_3genE0ELNS1_11target_archE4294967295ELNS1_3gpuE0ELNS1_3repE0EEENS1_30default_config_static_selectorELNS0_4arch9wavefront6targetE0EEEvSY_,"axG",@progbits,_ZN7rocprim17ROCPRIM_400000_NS6detail17trampoline_kernelINS0_13select_configILj256ELj13ELNS0_17block_load_methodE3ELS4_3ELS4_3ELNS0_20block_scan_algorithmE0ELj4294967295EEENS1_25partition_config_selectorILNS1_17partition_subalgoE3EjNS0_10empty_typeEbEEZZNS1_14partition_implILS8_3ELb0ES6_jNS0_17counting_iteratorIjlEEPS9_SE_NS0_5tupleIJPjSE_EEENSF_IJSE_SE_EEES9_SG_JZNS1_25segmented_radix_sort_implINS0_14default_configELb1EPKbPbPKlPlN2at6native12_GLOBAL__N_18offset_tEEE10hipError_tPvRmT1_PNSt15iterator_traitsISY_E10value_typeET2_T3_PNSZ_IS14_E10value_typeET4_jRbjT5_S1A_jjP12ihipStream_tbEUljE_EEESV_SW_SX_S14_S18_S1A_T6_T7_T9_mT8_S1C_bDpT10_ENKUlT_T0_E_clISt17integral_constantIbLb0EES1O_IbLb1EEEEDaS1K_S1L_EUlS1K_E_NS1_11comp_targetILNS1_3genE0ELNS1_11target_archE4294967295ELNS1_3gpuE0ELNS1_3repE0EEENS1_30default_config_static_selectorELNS0_4arch9wavefront6targetE0EEEvSY_,comdat
.Lfunc_end1524:
	.size	_ZN7rocprim17ROCPRIM_400000_NS6detail17trampoline_kernelINS0_13select_configILj256ELj13ELNS0_17block_load_methodE3ELS4_3ELS4_3ELNS0_20block_scan_algorithmE0ELj4294967295EEENS1_25partition_config_selectorILNS1_17partition_subalgoE3EjNS0_10empty_typeEbEEZZNS1_14partition_implILS8_3ELb0ES6_jNS0_17counting_iteratorIjlEEPS9_SE_NS0_5tupleIJPjSE_EEENSF_IJSE_SE_EEES9_SG_JZNS1_25segmented_radix_sort_implINS0_14default_configELb1EPKbPbPKlPlN2at6native12_GLOBAL__N_18offset_tEEE10hipError_tPvRmT1_PNSt15iterator_traitsISY_E10value_typeET2_T3_PNSZ_IS14_E10value_typeET4_jRbjT5_S1A_jjP12ihipStream_tbEUljE_EEESV_SW_SX_S14_S18_S1A_T6_T7_T9_mT8_S1C_bDpT10_ENKUlT_T0_E_clISt17integral_constantIbLb0EES1O_IbLb1EEEEDaS1K_S1L_EUlS1K_E_NS1_11comp_targetILNS1_3genE0ELNS1_11target_archE4294967295ELNS1_3gpuE0ELNS1_3repE0EEENS1_30default_config_static_selectorELNS0_4arch9wavefront6targetE0EEEvSY_, .Lfunc_end1524-_ZN7rocprim17ROCPRIM_400000_NS6detail17trampoline_kernelINS0_13select_configILj256ELj13ELNS0_17block_load_methodE3ELS4_3ELS4_3ELNS0_20block_scan_algorithmE0ELj4294967295EEENS1_25partition_config_selectorILNS1_17partition_subalgoE3EjNS0_10empty_typeEbEEZZNS1_14partition_implILS8_3ELb0ES6_jNS0_17counting_iteratorIjlEEPS9_SE_NS0_5tupleIJPjSE_EEENSF_IJSE_SE_EEES9_SG_JZNS1_25segmented_radix_sort_implINS0_14default_configELb1EPKbPbPKlPlN2at6native12_GLOBAL__N_18offset_tEEE10hipError_tPvRmT1_PNSt15iterator_traitsISY_E10value_typeET2_T3_PNSZ_IS14_E10value_typeET4_jRbjT5_S1A_jjP12ihipStream_tbEUljE_EEESV_SW_SX_S14_S18_S1A_T6_T7_T9_mT8_S1C_bDpT10_ENKUlT_T0_E_clISt17integral_constantIbLb0EES1O_IbLb1EEEEDaS1K_S1L_EUlS1K_E_NS1_11comp_targetILNS1_3genE0ELNS1_11target_archE4294967295ELNS1_3gpuE0ELNS1_3repE0EEENS1_30default_config_static_selectorELNS0_4arch9wavefront6targetE0EEEvSY_
                                        ; -- End function
	.set _ZN7rocprim17ROCPRIM_400000_NS6detail17trampoline_kernelINS0_13select_configILj256ELj13ELNS0_17block_load_methodE3ELS4_3ELS4_3ELNS0_20block_scan_algorithmE0ELj4294967295EEENS1_25partition_config_selectorILNS1_17partition_subalgoE3EjNS0_10empty_typeEbEEZZNS1_14partition_implILS8_3ELb0ES6_jNS0_17counting_iteratorIjlEEPS9_SE_NS0_5tupleIJPjSE_EEENSF_IJSE_SE_EEES9_SG_JZNS1_25segmented_radix_sort_implINS0_14default_configELb1EPKbPbPKlPlN2at6native12_GLOBAL__N_18offset_tEEE10hipError_tPvRmT1_PNSt15iterator_traitsISY_E10value_typeET2_T3_PNSZ_IS14_E10value_typeET4_jRbjT5_S1A_jjP12ihipStream_tbEUljE_EEESV_SW_SX_S14_S18_S1A_T6_T7_T9_mT8_S1C_bDpT10_ENKUlT_T0_E_clISt17integral_constantIbLb0EES1O_IbLb1EEEEDaS1K_S1L_EUlS1K_E_NS1_11comp_targetILNS1_3genE0ELNS1_11target_archE4294967295ELNS1_3gpuE0ELNS1_3repE0EEENS1_30default_config_static_selectorELNS0_4arch9wavefront6targetE0EEEvSY_.num_vgpr, 0
	.set _ZN7rocprim17ROCPRIM_400000_NS6detail17trampoline_kernelINS0_13select_configILj256ELj13ELNS0_17block_load_methodE3ELS4_3ELS4_3ELNS0_20block_scan_algorithmE0ELj4294967295EEENS1_25partition_config_selectorILNS1_17partition_subalgoE3EjNS0_10empty_typeEbEEZZNS1_14partition_implILS8_3ELb0ES6_jNS0_17counting_iteratorIjlEEPS9_SE_NS0_5tupleIJPjSE_EEENSF_IJSE_SE_EEES9_SG_JZNS1_25segmented_radix_sort_implINS0_14default_configELb1EPKbPbPKlPlN2at6native12_GLOBAL__N_18offset_tEEE10hipError_tPvRmT1_PNSt15iterator_traitsISY_E10value_typeET2_T3_PNSZ_IS14_E10value_typeET4_jRbjT5_S1A_jjP12ihipStream_tbEUljE_EEESV_SW_SX_S14_S18_S1A_T6_T7_T9_mT8_S1C_bDpT10_ENKUlT_T0_E_clISt17integral_constantIbLb0EES1O_IbLb1EEEEDaS1K_S1L_EUlS1K_E_NS1_11comp_targetILNS1_3genE0ELNS1_11target_archE4294967295ELNS1_3gpuE0ELNS1_3repE0EEENS1_30default_config_static_selectorELNS0_4arch9wavefront6targetE0EEEvSY_.num_agpr, 0
	.set _ZN7rocprim17ROCPRIM_400000_NS6detail17trampoline_kernelINS0_13select_configILj256ELj13ELNS0_17block_load_methodE3ELS4_3ELS4_3ELNS0_20block_scan_algorithmE0ELj4294967295EEENS1_25partition_config_selectorILNS1_17partition_subalgoE3EjNS0_10empty_typeEbEEZZNS1_14partition_implILS8_3ELb0ES6_jNS0_17counting_iteratorIjlEEPS9_SE_NS0_5tupleIJPjSE_EEENSF_IJSE_SE_EEES9_SG_JZNS1_25segmented_radix_sort_implINS0_14default_configELb1EPKbPbPKlPlN2at6native12_GLOBAL__N_18offset_tEEE10hipError_tPvRmT1_PNSt15iterator_traitsISY_E10value_typeET2_T3_PNSZ_IS14_E10value_typeET4_jRbjT5_S1A_jjP12ihipStream_tbEUljE_EEESV_SW_SX_S14_S18_S1A_T6_T7_T9_mT8_S1C_bDpT10_ENKUlT_T0_E_clISt17integral_constantIbLb0EES1O_IbLb1EEEEDaS1K_S1L_EUlS1K_E_NS1_11comp_targetILNS1_3genE0ELNS1_11target_archE4294967295ELNS1_3gpuE0ELNS1_3repE0EEENS1_30default_config_static_selectorELNS0_4arch9wavefront6targetE0EEEvSY_.numbered_sgpr, 0
	.set _ZN7rocprim17ROCPRIM_400000_NS6detail17trampoline_kernelINS0_13select_configILj256ELj13ELNS0_17block_load_methodE3ELS4_3ELS4_3ELNS0_20block_scan_algorithmE0ELj4294967295EEENS1_25partition_config_selectorILNS1_17partition_subalgoE3EjNS0_10empty_typeEbEEZZNS1_14partition_implILS8_3ELb0ES6_jNS0_17counting_iteratorIjlEEPS9_SE_NS0_5tupleIJPjSE_EEENSF_IJSE_SE_EEES9_SG_JZNS1_25segmented_radix_sort_implINS0_14default_configELb1EPKbPbPKlPlN2at6native12_GLOBAL__N_18offset_tEEE10hipError_tPvRmT1_PNSt15iterator_traitsISY_E10value_typeET2_T3_PNSZ_IS14_E10value_typeET4_jRbjT5_S1A_jjP12ihipStream_tbEUljE_EEESV_SW_SX_S14_S18_S1A_T6_T7_T9_mT8_S1C_bDpT10_ENKUlT_T0_E_clISt17integral_constantIbLb0EES1O_IbLb1EEEEDaS1K_S1L_EUlS1K_E_NS1_11comp_targetILNS1_3genE0ELNS1_11target_archE4294967295ELNS1_3gpuE0ELNS1_3repE0EEENS1_30default_config_static_selectorELNS0_4arch9wavefront6targetE0EEEvSY_.num_named_barrier, 0
	.set _ZN7rocprim17ROCPRIM_400000_NS6detail17trampoline_kernelINS0_13select_configILj256ELj13ELNS0_17block_load_methodE3ELS4_3ELS4_3ELNS0_20block_scan_algorithmE0ELj4294967295EEENS1_25partition_config_selectorILNS1_17partition_subalgoE3EjNS0_10empty_typeEbEEZZNS1_14partition_implILS8_3ELb0ES6_jNS0_17counting_iteratorIjlEEPS9_SE_NS0_5tupleIJPjSE_EEENSF_IJSE_SE_EEES9_SG_JZNS1_25segmented_radix_sort_implINS0_14default_configELb1EPKbPbPKlPlN2at6native12_GLOBAL__N_18offset_tEEE10hipError_tPvRmT1_PNSt15iterator_traitsISY_E10value_typeET2_T3_PNSZ_IS14_E10value_typeET4_jRbjT5_S1A_jjP12ihipStream_tbEUljE_EEESV_SW_SX_S14_S18_S1A_T6_T7_T9_mT8_S1C_bDpT10_ENKUlT_T0_E_clISt17integral_constantIbLb0EES1O_IbLb1EEEEDaS1K_S1L_EUlS1K_E_NS1_11comp_targetILNS1_3genE0ELNS1_11target_archE4294967295ELNS1_3gpuE0ELNS1_3repE0EEENS1_30default_config_static_selectorELNS0_4arch9wavefront6targetE0EEEvSY_.private_seg_size, 0
	.set _ZN7rocprim17ROCPRIM_400000_NS6detail17trampoline_kernelINS0_13select_configILj256ELj13ELNS0_17block_load_methodE3ELS4_3ELS4_3ELNS0_20block_scan_algorithmE0ELj4294967295EEENS1_25partition_config_selectorILNS1_17partition_subalgoE3EjNS0_10empty_typeEbEEZZNS1_14partition_implILS8_3ELb0ES6_jNS0_17counting_iteratorIjlEEPS9_SE_NS0_5tupleIJPjSE_EEENSF_IJSE_SE_EEES9_SG_JZNS1_25segmented_radix_sort_implINS0_14default_configELb1EPKbPbPKlPlN2at6native12_GLOBAL__N_18offset_tEEE10hipError_tPvRmT1_PNSt15iterator_traitsISY_E10value_typeET2_T3_PNSZ_IS14_E10value_typeET4_jRbjT5_S1A_jjP12ihipStream_tbEUljE_EEESV_SW_SX_S14_S18_S1A_T6_T7_T9_mT8_S1C_bDpT10_ENKUlT_T0_E_clISt17integral_constantIbLb0EES1O_IbLb1EEEEDaS1K_S1L_EUlS1K_E_NS1_11comp_targetILNS1_3genE0ELNS1_11target_archE4294967295ELNS1_3gpuE0ELNS1_3repE0EEENS1_30default_config_static_selectorELNS0_4arch9wavefront6targetE0EEEvSY_.uses_vcc, 0
	.set _ZN7rocprim17ROCPRIM_400000_NS6detail17trampoline_kernelINS0_13select_configILj256ELj13ELNS0_17block_load_methodE3ELS4_3ELS4_3ELNS0_20block_scan_algorithmE0ELj4294967295EEENS1_25partition_config_selectorILNS1_17partition_subalgoE3EjNS0_10empty_typeEbEEZZNS1_14partition_implILS8_3ELb0ES6_jNS0_17counting_iteratorIjlEEPS9_SE_NS0_5tupleIJPjSE_EEENSF_IJSE_SE_EEES9_SG_JZNS1_25segmented_radix_sort_implINS0_14default_configELb1EPKbPbPKlPlN2at6native12_GLOBAL__N_18offset_tEEE10hipError_tPvRmT1_PNSt15iterator_traitsISY_E10value_typeET2_T3_PNSZ_IS14_E10value_typeET4_jRbjT5_S1A_jjP12ihipStream_tbEUljE_EEESV_SW_SX_S14_S18_S1A_T6_T7_T9_mT8_S1C_bDpT10_ENKUlT_T0_E_clISt17integral_constantIbLb0EES1O_IbLb1EEEEDaS1K_S1L_EUlS1K_E_NS1_11comp_targetILNS1_3genE0ELNS1_11target_archE4294967295ELNS1_3gpuE0ELNS1_3repE0EEENS1_30default_config_static_selectorELNS0_4arch9wavefront6targetE0EEEvSY_.uses_flat_scratch, 0
	.set _ZN7rocprim17ROCPRIM_400000_NS6detail17trampoline_kernelINS0_13select_configILj256ELj13ELNS0_17block_load_methodE3ELS4_3ELS4_3ELNS0_20block_scan_algorithmE0ELj4294967295EEENS1_25partition_config_selectorILNS1_17partition_subalgoE3EjNS0_10empty_typeEbEEZZNS1_14partition_implILS8_3ELb0ES6_jNS0_17counting_iteratorIjlEEPS9_SE_NS0_5tupleIJPjSE_EEENSF_IJSE_SE_EEES9_SG_JZNS1_25segmented_radix_sort_implINS0_14default_configELb1EPKbPbPKlPlN2at6native12_GLOBAL__N_18offset_tEEE10hipError_tPvRmT1_PNSt15iterator_traitsISY_E10value_typeET2_T3_PNSZ_IS14_E10value_typeET4_jRbjT5_S1A_jjP12ihipStream_tbEUljE_EEESV_SW_SX_S14_S18_S1A_T6_T7_T9_mT8_S1C_bDpT10_ENKUlT_T0_E_clISt17integral_constantIbLb0EES1O_IbLb1EEEEDaS1K_S1L_EUlS1K_E_NS1_11comp_targetILNS1_3genE0ELNS1_11target_archE4294967295ELNS1_3gpuE0ELNS1_3repE0EEENS1_30default_config_static_selectorELNS0_4arch9wavefront6targetE0EEEvSY_.has_dyn_sized_stack, 0
	.set _ZN7rocprim17ROCPRIM_400000_NS6detail17trampoline_kernelINS0_13select_configILj256ELj13ELNS0_17block_load_methodE3ELS4_3ELS4_3ELNS0_20block_scan_algorithmE0ELj4294967295EEENS1_25partition_config_selectorILNS1_17partition_subalgoE3EjNS0_10empty_typeEbEEZZNS1_14partition_implILS8_3ELb0ES6_jNS0_17counting_iteratorIjlEEPS9_SE_NS0_5tupleIJPjSE_EEENSF_IJSE_SE_EEES9_SG_JZNS1_25segmented_radix_sort_implINS0_14default_configELb1EPKbPbPKlPlN2at6native12_GLOBAL__N_18offset_tEEE10hipError_tPvRmT1_PNSt15iterator_traitsISY_E10value_typeET2_T3_PNSZ_IS14_E10value_typeET4_jRbjT5_S1A_jjP12ihipStream_tbEUljE_EEESV_SW_SX_S14_S18_S1A_T6_T7_T9_mT8_S1C_bDpT10_ENKUlT_T0_E_clISt17integral_constantIbLb0EES1O_IbLb1EEEEDaS1K_S1L_EUlS1K_E_NS1_11comp_targetILNS1_3genE0ELNS1_11target_archE4294967295ELNS1_3gpuE0ELNS1_3repE0EEENS1_30default_config_static_selectorELNS0_4arch9wavefront6targetE0EEEvSY_.has_recursion, 0
	.set _ZN7rocprim17ROCPRIM_400000_NS6detail17trampoline_kernelINS0_13select_configILj256ELj13ELNS0_17block_load_methodE3ELS4_3ELS4_3ELNS0_20block_scan_algorithmE0ELj4294967295EEENS1_25partition_config_selectorILNS1_17partition_subalgoE3EjNS0_10empty_typeEbEEZZNS1_14partition_implILS8_3ELb0ES6_jNS0_17counting_iteratorIjlEEPS9_SE_NS0_5tupleIJPjSE_EEENSF_IJSE_SE_EEES9_SG_JZNS1_25segmented_radix_sort_implINS0_14default_configELb1EPKbPbPKlPlN2at6native12_GLOBAL__N_18offset_tEEE10hipError_tPvRmT1_PNSt15iterator_traitsISY_E10value_typeET2_T3_PNSZ_IS14_E10value_typeET4_jRbjT5_S1A_jjP12ihipStream_tbEUljE_EEESV_SW_SX_S14_S18_S1A_T6_T7_T9_mT8_S1C_bDpT10_ENKUlT_T0_E_clISt17integral_constantIbLb0EES1O_IbLb1EEEEDaS1K_S1L_EUlS1K_E_NS1_11comp_targetILNS1_3genE0ELNS1_11target_archE4294967295ELNS1_3gpuE0ELNS1_3repE0EEENS1_30default_config_static_selectorELNS0_4arch9wavefront6targetE0EEEvSY_.has_indirect_call, 0
	.section	.AMDGPU.csdata,"",@progbits
; Kernel info:
; codeLenInByte = 0
; TotalNumSgprs: 0
; NumVgprs: 0
; ScratchSize: 0
; MemoryBound: 0
; FloatMode: 240
; IeeeMode: 1
; LDSByteSize: 0 bytes/workgroup (compile time only)
; SGPRBlocks: 0
; VGPRBlocks: 0
; NumSGPRsForWavesPerEU: 1
; NumVGPRsForWavesPerEU: 1
; Occupancy: 16
; WaveLimiterHint : 0
; COMPUTE_PGM_RSRC2:SCRATCH_EN: 0
; COMPUTE_PGM_RSRC2:USER_SGPR: 2
; COMPUTE_PGM_RSRC2:TRAP_HANDLER: 0
; COMPUTE_PGM_RSRC2:TGID_X_EN: 1
; COMPUTE_PGM_RSRC2:TGID_Y_EN: 0
; COMPUTE_PGM_RSRC2:TGID_Z_EN: 0
; COMPUTE_PGM_RSRC2:TIDIG_COMP_CNT: 0
	.section	.text._ZN7rocprim17ROCPRIM_400000_NS6detail17trampoline_kernelINS0_13select_configILj256ELj13ELNS0_17block_load_methodE3ELS4_3ELS4_3ELNS0_20block_scan_algorithmE0ELj4294967295EEENS1_25partition_config_selectorILNS1_17partition_subalgoE3EjNS0_10empty_typeEbEEZZNS1_14partition_implILS8_3ELb0ES6_jNS0_17counting_iteratorIjlEEPS9_SE_NS0_5tupleIJPjSE_EEENSF_IJSE_SE_EEES9_SG_JZNS1_25segmented_radix_sort_implINS0_14default_configELb1EPKbPbPKlPlN2at6native12_GLOBAL__N_18offset_tEEE10hipError_tPvRmT1_PNSt15iterator_traitsISY_E10value_typeET2_T3_PNSZ_IS14_E10value_typeET4_jRbjT5_S1A_jjP12ihipStream_tbEUljE_EEESV_SW_SX_S14_S18_S1A_T6_T7_T9_mT8_S1C_bDpT10_ENKUlT_T0_E_clISt17integral_constantIbLb0EES1O_IbLb1EEEEDaS1K_S1L_EUlS1K_E_NS1_11comp_targetILNS1_3genE5ELNS1_11target_archE942ELNS1_3gpuE9ELNS1_3repE0EEENS1_30default_config_static_selectorELNS0_4arch9wavefront6targetE0EEEvSY_,"axG",@progbits,_ZN7rocprim17ROCPRIM_400000_NS6detail17trampoline_kernelINS0_13select_configILj256ELj13ELNS0_17block_load_methodE3ELS4_3ELS4_3ELNS0_20block_scan_algorithmE0ELj4294967295EEENS1_25partition_config_selectorILNS1_17partition_subalgoE3EjNS0_10empty_typeEbEEZZNS1_14partition_implILS8_3ELb0ES6_jNS0_17counting_iteratorIjlEEPS9_SE_NS0_5tupleIJPjSE_EEENSF_IJSE_SE_EEES9_SG_JZNS1_25segmented_radix_sort_implINS0_14default_configELb1EPKbPbPKlPlN2at6native12_GLOBAL__N_18offset_tEEE10hipError_tPvRmT1_PNSt15iterator_traitsISY_E10value_typeET2_T3_PNSZ_IS14_E10value_typeET4_jRbjT5_S1A_jjP12ihipStream_tbEUljE_EEESV_SW_SX_S14_S18_S1A_T6_T7_T9_mT8_S1C_bDpT10_ENKUlT_T0_E_clISt17integral_constantIbLb0EES1O_IbLb1EEEEDaS1K_S1L_EUlS1K_E_NS1_11comp_targetILNS1_3genE5ELNS1_11target_archE942ELNS1_3gpuE9ELNS1_3repE0EEENS1_30default_config_static_selectorELNS0_4arch9wavefront6targetE0EEEvSY_,comdat
	.globl	_ZN7rocprim17ROCPRIM_400000_NS6detail17trampoline_kernelINS0_13select_configILj256ELj13ELNS0_17block_load_methodE3ELS4_3ELS4_3ELNS0_20block_scan_algorithmE0ELj4294967295EEENS1_25partition_config_selectorILNS1_17partition_subalgoE3EjNS0_10empty_typeEbEEZZNS1_14partition_implILS8_3ELb0ES6_jNS0_17counting_iteratorIjlEEPS9_SE_NS0_5tupleIJPjSE_EEENSF_IJSE_SE_EEES9_SG_JZNS1_25segmented_radix_sort_implINS0_14default_configELb1EPKbPbPKlPlN2at6native12_GLOBAL__N_18offset_tEEE10hipError_tPvRmT1_PNSt15iterator_traitsISY_E10value_typeET2_T3_PNSZ_IS14_E10value_typeET4_jRbjT5_S1A_jjP12ihipStream_tbEUljE_EEESV_SW_SX_S14_S18_S1A_T6_T7_T9_mT8_S1C_bDpT10_ENKUlT_T0_E_clISt17integral_constantIbLb0EES1O_IbLb1EEEEDaS1K_S1L_EUlS1K_E_NS1_11comp_targetILNS1_3genE5ELNS1_11target_archE942ELNS1_3gpuE9ELNS1_3repE0EEENS1_30default_config_static_selectorELNS0_4arch9wavefront6targetE0EEEvSY_ ; -- Begin function _ZN7rocprim17ROCPRIM_400000_NS6detail17trampoline_kernelINS0_13select_configILj256ELj13ELNS0_17block_load_methodE3ELS4_3ELS4_3ELNS0_20block_scan_algorithmE0ELj4294967295EEENS1_25partition_config_selectorILNS1_17partition_subalgoE3EjNS0_10empty_typeEbEEZZNS1_14partition_implILS8_3ELb0ES6_jNS0_17counting_iteratorIjlEEPS9_SE_NS0_5tupleIJPjSE_EEENSF_IJSE_SE_EEES9_SG_JZNS1_25segmented_radix_sort_implINS0_14default_configELb1EPKbPbPKlPlN2at6native12_GLOBAL__N_18offset_tEEE10hipError_tPvRmT1_PNSt15iterator_traitsISY_E10value_typeET2_T3_PNSZ_IS14_E10value_typeET4_jRbjT5_S1A_jjP12ihipStream_tbEUljE_EEESV_SW_SX_S14_S18_S1A_T6_T7_T9_mT8_S1C_bDpT10_ENKUlT_T0_E_clISt17integral_constantIbLb0EES1O_IbLb1EEEEDaS1K_S1L_EUlS1K_E_NS1_11comp_targetILNS1_3genE5ELNS1_11target_archE942ELNS1_3gpuE9ELNS1_3repE0EEENS1_30default_config_static_selectorELNS0_4arch9wavefront6targetE0EEEvSY_
	.p2align	8
	.type	_ZN7rocprim17ROCPRIM_400000_NS6detail17trampoline_kernelINS0_13select_configILj256ELj13ELNS0_17block_load_methodE3ELS4_3ELS4_3ELNS0_20block_scan_algorithmE0ELj4294967295EEENS1_25partition_config_selectorILNS1_17partition_subalgoE3EjNS0_10empty_typeEbEEZZNS1_14partition_implILS8_3ELb0ES6_jNS0_17counting_iteratorIjlEEPS9_SE_NS0_5tupleIJPjSE_EEENSF_IJSE_SE_EEES9_SG_JZNS1_25segmented_radix_sort_implINS0_14default_configELb1EPKbPbPKlPlN2at6native12_GLOBAL__N_18offset_tEEE10hipError_tPvRmT1_PNSt15iterator_traitsISY_E10value_typeET2_T3_PNSZ_IS14_E10value_typeET4_jRbjT5_S1A_jjP12ihipStream_tbEUljE_EEESV_SW_SX_S14_S18_S1A_T6_T7_T9_mT8_S1C_bDpT10_ENKUlT_T0_E_clISt17integral_constantIbLb0EES1O_IbLb1EEEEDaS1K_S1L_EUlS1K_E_NS1_11comp_targetILNS1_3genE5ELNS1_11target_archE942ELNS1_3gpuE9ELNS1_3repE0EEENS1_30default_config_static_selectorELNS0_4arch9wavefront6targetE0EEEvSY_,@function
_ZN7rocprim17ROCPRIM_400000_NS6detail17trampoline_kernelINS0_13select_configILj256ELj13ELNS0_17block_load_methodE3ELS4_3ELS4_3ELNS0_20block_scan_algorithmE0ELj4294967295EEENS1_25partition_config_selectorILNS1_17partition_subalgoE3EjNS0_10empty_typeEbEEZZNS1_14partition_implILS8_3ELb0ES6_jNS0_17counting_iteratorIjlEEPS9_SE_NS0_5tupleIJPjSE_EEENSF_IJSE_SE_EEES9_SG_JZNS1_25segmented_radix_sort_implINS0_14default_configELb1EPKbPbPKlPlN2at6native12_GLOBAL__N_18offset_tEEE10hipError_tPvRmT1_PNSt15iterator_traitsISY_E10value_typeET2_T3_PNSZ_IS14_E10value_typeET4_jRbjT5_S1A_jjP12ihipStream_tbEUljE_EEESV_SW_SX_S14_S18_S1A_T6_T7_T9_mT8_S1C_bDpT10_ENKUlT_T0_E_clISt17integral_constantIbLb0EES1O_IbLb1EEEEDaS1K_S1L_EUlS1K_E_NS1_11comp_targetILNS1_3genE5ELNS1_11target_archE942ELNS1_3gpuE9ELNS1_3repE0EEENS1_30default_config_static_selectorELNS0_4arch9wavefront6targetE0EEEvSY_: ; @_ZN7rocprim17ROCPRIM_400000_NS6detail17trampoline_kernelINS0_13select_configILj256ELj13ELNS0_17block_load_methodE3ELS4_3ELS4_3ELNS0_20block_scan_algorithmE0ELj4294967295EEENS1_25partition_config_selectorILNS1_17partition_subalgoE3EjNS0_10empty_typeEbEEZZNS1_14partition_implILS8_3ELb0ES6_jNS0_17counting_iteratorIjlEEPS9_SE_NS0_5tupleIJPjSE_EEENSF_IJSE_SE_EEES9_SG_JZNS1_25segmented_radix_sort_implINS0_14default_configELb1EPKbPbPKlPlN2at6native12_GLOBAL__N_18offset_tEEE10hipError_tPvRmT1_PNSt15iterator_traitsISY_E10value_typeET2_T3_PNSZ_IS14_E10value_typeET4_jRbjT5_S1A_jjP12ihipStream_tbEUljE_EEESV_SW_SX_S14_S18_S1A_T6_T7_T9_mT8_S1C_bDpT10_ENKUlT_T0_E_clISt17integral_constantIbLb0EES1O_IbLb1EEEEDaS1K_S1L_EUlS1K_E_NS1_11comp_targetILNS1_3genE5ELNS1_11target_archE942ELNS1_3gpuE9ELNS1_3repE0EEENS1_30default_config_static_selectorELNS0_4arch9wavefront6targetE0EEEvSY_
; %bb.0:
	.section	.rodata,"a",@progbits
	.p2align	6, 0x0
	.amdhsa_kernel _ZN7rocprim17ROCPRIM_400000_NS6detail17trampoline_kernelINS0_13select_configILj256ELj13ELNS0_17block_load_methodE3ELS4_3ELS4_3ELNS0_20block_scan_algorithmE0ELj4294967295EEENS1_25partition_config_selectorILNS1_17partition_subalgoE3EjNS0_10empty_typeEbEEZZNS1_14partition_implILS8_3ELb0ES6_jNS0_17counting_iteratorIjlEEPS9_SE_NS0_5tupleIJPjSE_EEENSF_IJSE_SE_EEES9_SG_JZNS1_25segmented_radix_sort_implINS0_14default_configELb1EPKbPbPKlPlN2at6native12_GLOBAL__N_18offset_tEEE10hipError_tPvRmT1_PNSt15iterator_traitsISY_E10value_typeET2_T3_PNSZ_IS14_E10value_typeET4_jRbjT5_S1A_jjP12ihipStream_tbEUljE_EEESV_SW_SX_S14_S18_S1A_T6_T7_T9_mT8_S1C_bDpT10_ENKUlT_T0_E_clISt17integral_constantIbLb0EES1O_IbLb1EEEEDaS1K_S1L_EUlS1K_E_NS1_11comp_targetILNS1_3genE5ELNS1_11target_archE942ELNS1_3gpuE9ELNS1_3repE0EEENS1_30default_config_static_selectorELNS0_4arch9wavefront6targetE0EEEvSY_
		.amdhsa_group_segment_fixed_size 0
		.amdhsa_private_segment_fixed_size 0
		.amdhsa_kernarg_size 152
		.amdhsa_user_sgpr_count 2
		.amdhsa_user_sgpr_dispatch_ptr 0
		.amdhsa_user_sgpr_queue_ptr 0
		.amdhsa_user_sgpr_kernarg_segment_ptr 1
		.amdhsa_user_sgpr_dispatch_id 0
		.amdhsa_user_sgpr_private_segment_size 0
		.amdhsa_wavefront_size32 1
		.amdhsa_uses_dynamic_stack 0
		.amdhsa_enable_private_segment 0
		.amdhsa_system_sgpr_workgroup_id_x 1
		.amdhsa_system_sgpr_workgroup_id_y 0
		.amdhsa_system_sgpr_workgroup_id_z 0
		.amdhsa_system_sgpr_workgroup_info 0
		.amdhsa_system_vgpr_workitem_id 0
		.amdhsa_next_free_vgpr 1
		.amdhsa_next_free_sgpr 1
		.amdhsa_reserve_vcc 0
		.amdhsa_float_round_mode_32 0
		.amdhsa_float_round_mode_16_64 0
		.amdhsa_float_denorm_mode_32 3
		.amdhsa_float_denorm_mode_16_64 3
		.amdhsa_fp16_overflow 0
		.amdhsa_workgroup_processor_mode 1
		.amdhsa_memory_ordered 1
		.amdhsa_forward_progress 1
		.amdhsa_inst_pref_size 0
		.amdhsa_round_robin_scheduling 0
		.amdhsa_exception_fp_ieee_invalid_op 0
		.amdhsa_exception_fp_denorm_src 0
		.amdhsa_exception_fp_ieee_div_zero 0
		.amdhsa_exception_fp_ieee_overflow 0
		.amdhsa_exception_fp_ieee_underflow 0
		.amdhsa_exception_fp_ieee_inexact 0
		.amdhsa_exception_int_div_zero 0
	.end_amdhsa_kernel
	.section	.text._ZN7rocprim17ROCPRIM_400000_NS6detail17trampoline_kernelINS0_13select_configILj256ELj13ELNS0_17block_load_methodE3ELS4_3ELS4_3ELNS0_20block_scan_algorithmE0ELj4294967295EEENS1_25partition_config_selectorILNS1_17partition_subalgoE3EjNS0_10empty_typeEbEEZZNS1_14partition_implILS8_3ELb0ES6_jNS0_17counting_iteratorIjlEEPS9_SE_NS0_5tupleIJPjSE_EEENSF_IJSE_SE_EEES9_SG_JZNS1_25segmented_radix_sort_implINS0_14default_configELb1EPKbPbPKlPlN2at6native12_GLOBAL__N_18offset_tEEE10hipError_tPvRmT1_PNSt15iterator_traitsISY_E10value_typeET2_T3_PNSZ_IS14_E10value_typeET4_jRbjT5_S1A_jjP12ihipStream_tbEUljE_EEESV_SW_SX_S14_S18_S1A_T6_T7_T9_mT8_S1C_bDpT10_ENKUlT_T0_E_clISt17integral_constantIbLb0EES1O_IbLb1EEEEDaS1K_S1L_EUlS1K_E_NS1_11comp_targetILNS1_3genE5ELNS1_11target_archE942ELNS1_3gpuE9ELNS1_3repE0EEENS1_30default_config_static_selectorELNS0_4arch9wavefront6targetE0EEEvSY_,"axG",@progbits,_ZN7rocprim17ROCPRIM_400000_NS6detail17trampoline_kernelINS0_13select_configILj256ELj13ELNS0_17block_load_methodE3ELS4_3ELS4_3ELNS0_20block_scan_algorithmE0ELj4294967295EEENS1_25partition_config_selectorILNS1_17partition_subalgoE3EjNS0_10empty_typeEbEEZZNS1_14partition_implILS8_3ELb0ES6_jNS0_17counting_iteratorIjlEEPS9_SE_NS0_5tupleIJPjSE_EEENSF_IJSE_SE_EEES9_SG_JZNS1_25segmented_radix_sort_implINS0_14default_configELb1EPKbPbPKlPlN2at6native12_GLOBAL__N_18offset_tEEE10hipError_tPvRmT1_PNSt15iterator_traitsISY_E10value_typeET2_T3_PNSZ_IS14_E10value_typeET4_jRbjT5_S1A_jjP12ihipStream_tbEUljE_EEESV_SW_SX_S14_S18_S1A_T6_T7_T9_mT8_S1C_bDpT10_ENKUlT_T0_E_clISt17integral_constantIbLb0EES1O_IbLb1EEEEDaS1K_S1L_EUlS1K_E_NS1_11comp_targetILNS1_3genE5ELNS1_11target_archE942ELNS1_3gpuE9ELNS1_3repE0EEENS1_30default_config_static_selectorELNS0_4arch9wavefront6targetE0EEEvSY_,comdat
.Lfunc_end1525:
	.size	_ZN7rocprim17ROCPRIM_400000_NS6detail17trampoline_kernelINS0_13select_configILj256ELj13ELNS0_17block_load_methodE3ELS4_3ELS4_3ELNS0_20block_scan_algorithmE0ELj4294967295EEENS1_25partition_config_selectorILNS1_17partition_subalgoE3EjNS0_10empty_typeEbEEZZNS1_14partition_implILS8_3ELb0ES6_jNS0_17counting_iteratorIjlEEPS9_SE_NS0_5tupleIJPjSE_EEENSF_IJSE_SE_EEES9_SG_JZNS1_25segmented_radix_sort_implINS0_14default_configELb1EPKbPbPKlPlN2at6native12_GLOBAL__N_18offset_tEEE10hipError_tPvRmT1_PNSt15iterator_traitsISY_E10value_typeET2_T3_PNSZ_IS14_E10value_typeET4_jRbjT5_S1A_jjP12ihipStream_tbEUljE_EEESV_SW_SX_S14_S18_S1A_T6_T7_T9_mT8_S1C_bDpT10_ENKUlT_T0_E_clISt17integral_constantIbLb0EES1O_IbLb1EEEEDaS1K_S1L_EUlS1K_E_NS1_11comp_targetILNS1_3genE5ELNS1_11target_archE942ELNS1_3gpuE9ELNS1_3repE0EEENS1_30default_config_static_selectorELNS0_4arch9wavefront6targetE0EEEvSY_, .Lfunc_end1525-_ZN7rocprim17ROCPRIM_400000_NS6detail17trampoline_kernelINS0_13select_configILj256ELj13ELNS0_17block_load_methodE3ELS4_3ELS4_3ELNS0_20block_scan_algorithmE0ELj4294967295EEENS1_25partition_config_selectorILNS1_17partition_subalgoE3EjNS0_10empty_typeEbEEZZNS1_14partition_implILS8_3ELb0ES6_jNS0_17counting_iteratorIjlEEPS9_SE_NS0_5tupleIJPjSE_EEENSF_IJSE_SE_EEES9_SG_JZNS1_25segmented_radix_sort_implINS0_14default_configELb1EPKbPbPKlPlN2at6native12_GLOBAL__N_18offset_tEEE10hipError_tPvRmT1_PNSt15iterator_traitsISY_E10value_typeET2_T3_PNSZ_IS14_E10value_typeET4_jRbjT5_S1A_jjP12ihipStream_tbEUljE_EEESV_SW_SX_S14_S18_S1A_T6_T7_T9_mT8_S1C_bDpT10_ENKUlT_T0_E_clISt17integral_constantIbLb0EES1O_IbLb1EEEEDaS1K_S1L_EUlS1K_E_NS1_11comp_targetILNS1_3genE5ELNS1_11target_archE942ELNS1_3gpuE9ELNS1_3repE0EEENS1_30default_config_static_selectorELNS0_4arch9wavefront6targetE0EEEvSY_
                                        ; -- End function
	.set _ZN7rocprim17ROCPRIM_400000_NS6detail17trampoline_kernelINS0_13select_configILj256ELj13ELNS0_17block_load_methodE3ELS4_3ELS4_3ELNS0_20block_scan_algorithmE0ELj4294967295EEENS1_25partition_config_selectorILNS1_17partition_subalgoE3EjNS0_10empty_typeEbEEZZNS1_14partition_implILS8_3ELb0ES6_jNS0_17counting_iteratorIjlEEPS9_SE_NS0_5tupleIJPjSE_EEENSF_IJSE_SE_EEES9_SG_JZNS1_25segmented_radix_sort_implINS0_14default_configELb1EPKbPbPKlPlN2at6native12_GLOBAL__N_18offset_tEEE10hipError_tPvRmT1_PNSt15iterator_traitsISY_E10value_typeET2_T3_PNSZ_IS14_E10value_typeET4_jRbjT5_S1A_jjP12ihipStream_tbEUljE_EEESV_SW_SX_S14_S18_S1A_T6_T7_T9_mT8_S1C_bDpT10_ENKUlT_T0_E_clISt17integral_constantIbLb0EES1O_IbLb1EEEEDaS1K_S1L_EUlS1K_E_NS1_11comp_targetILNS1_3genE5ELNS1_11target_archE942ELNS1_3gpuE9ELNS1_3repE0EEENS1_30default_config_static_selectorELNS0_4arch9wavefront6targetE0EEEvSY_.num_vgpr, 0
	.set _ZN7rocprim17ROCPRIM_400000_NS6detail17trampoline_kernelINS0_13select_configILj256ELj13ELNS0_17block_load_methodE3ELS4_3ELS4_3ELNS0_20block_scan_algorithmE0ELj4294967295EEENS1_25partition_config_selectorILNS1_17partition_subalgoE3EjNS0_10empty_typeEbEEZZNS1_14partition_implILS8_3ELb0ES6_jNS0_17counting_iteratorIjlEEPS9_SE_NS0_5tupleIJPjSE_EEENSF_IJSE_SE_EEES9_SG_JZNS1_25segmented_radix_sort_implINS0_14default_configELb1EPKbPbPKlPlN2at6native12_GLOBAL__N_18offset_tEEE10hipError_tPvRmT1_PNSt15iterator_traitsISY_E10value_typeET2_T3_PNSZ_IS14_E10value_typeET4_jRbjT5_S1A_jjP12ihipStream_tbEUljE_EEESV_SW_SX_S14_S18_S1A_T6_T7_T9_mT8_S1C_bDpT10_ENKUlT_T0_E_clISt17integral_constantIbLb0EES1O_IbLb1EEEEDaS1K_S1L_EUlS1K_E_NS1_11comp_targetILNS1_3genE5ELNS1_11target_archE942ELNS1_3gpuE9ELNS1_3repE0EEENS1_30default_config_static_selectorELNS0_4arch9wavefront6targetE0EEEvSY_.num_agpr, 0
	.set _ZN7rocprim17ROCPRIM_400000_NS6detail17trampoline_kernelINS0_13select_configILj256ELj13ELNS0_17block_load_methodE3ELS4_3ELS4_3ELNS0_20block_scan_algorithmE0ELj4294967295EEENS1_25partition_config_selectorILNS1_17partition_subalgoE3EjNS0_10empty_typeEbEEZZNS1_14partition_implILS8_3ELb0ES6_jNS0_17counting_iteratorIjlEEPS9_SE_NS0_5tupleIJPjSE_EEENSF_IJSE_SE_EEES9_SG_JZNS1_25segmented_radix_sort_implINS0_14default_configELb1EPKbPbPKlPlN2at6native12_GLOBAL__N_18offset_tEEE10hipError_tPvRmT1_PNSt15iterator_traitsISY_E10value_typeET2_T3_PNSZ_IS14_E10value_typeET4_jRbjT5_S1A_jjP12ihipStream_tbEUljE_EEESV_SW_SX_S14_S18_S1A_T6_T7_T9_mT8_S1C_bDpT10_ENKUlT_T0_E_clISt17integral_constantIbLb0EES1O_IbLb1EEEEDaS1K_S1L_EUlS1K_E_NS1_11comp_targetILNS1_3genE5ELNS1_11target_archE942ELNS1_3gpuE9ELNS1_3repE0EEENS1_30default_config_static_selectorELNS0_4arch9wavefront6targetE0EEEvSY_.numbered_sgpr, 0
	.set _ZN7rocprim17ROCPRIM_400000_NS6detail17trampoline_kernelINS0_13select_configILj256ELj13ELNS0_17block_load_methodE3ELS4_3ELS4_3ELNS0_20block_scan_algorithmE0ELj4294967295EEENS1_25partition_config_selectorILNS1_17partition_subalgoE3EjNS0_10empty_typeEbEEZZNS1_14partition_implILS8_3ELb0ES6_jNS0_17counting_iteratorIjlEEPS9_SE_NS0_5tupleIJPjSE_EEENSF_IJSE_SE_EEES9_SG_JZNS1_25segmented_radix_sort_implINS0_14default_configELb1EPKbPbPKlPlN2at6native12_GLOBAL__N_18offset_tEEE10hipError_tPvRmT1_PNSt15iterator_traitsISY_E10value_typeET2_T3_PNSZ_IS14_E10value_typeET4_jRbjT5_S1A_jjP12ihipStream_tbEUljE_EEESV_SW_SX_S14_S18_S1A_T6_T7_T9_mT8_S1C_bDpT10_ENKUlT_T0_E_clISt17integral_constantIbLb0EES1O_IbLb1EEEEDaS1K_S1L_EUlS1K_E_NS1_11comp_targetILNS1_3genE5ELNS1_11target_archE942ELNS1_3gpuE9ELNS1_3repE0EEENS1_30default_config_static_selectorELNS0_4arch9wavefront6targetE0EEEvSY_.num_named_barrier, 0
	.set _ZN7rocprim17ROCPRIM_400000_NS6detail17trampoline_kernelINS0_13select_configILj256ELj13ELNS0_17block_load_methodE3ELS4_3ELS4_3ELNS0_20block_scan_algorithmE0ELj4294967295EEENS1_25partition_config_selectorILNS1_17partition_subalgoE3EjNS0_10empty_typeEbEEZZNS1_14partition_implILS8_3ELb0ES6_jNS0_17counting_iteratorIjlEEPS9_SE_NS0_5tupleIJPjSE_EEENSF_IJSE_SE_EEES9_SG_JZNS1_25segmented_radix_sort_implINS0_14default_configELb1EPKbPbPKlPlN2at6native12_GLOBAL__N_18offset_tEEE10hipError_tPvRmT1_PNSt15iterator_traitsISY_E10value_typeET2_T3_PNSZ_IS14_E10value_typeET4_jRbjT5_S1A_jjP12ihipStream_tbEUljE_EEESV_SW_SX_S14_S18_S1A_T6_T7_T9_mT8_S1C_bDpT10_ENKUlT_T0_E_clISt17integral_constantIbLb0EES1O_IbLb1EEEEDaS1K_S1L_EUlS1K_E_NS1_11comp_targetILNS1_3genE5ELNS1_11target_archE942ELNS1_3gpuE9ELNS1_3repE0EEENS1_30default_config_static_selectorELNS0_4arch9wavefront6targetE0EEEvSY_.private_seg_size, 0
	.set _ZN7rocprim17ROCPRIM_400000_NS6detail17trampoline_kernelINS0_13select_configILj256ELj13ELNS0_17block_load_methodE3ELS4_3ELS4_3ELNS0_20block_scan_algorithmE0ELj4294967295EEENS1_25partition_config_selectorILNS1_17partition_subalgoE3EjNS0_10empty_typeEbEEZZNS1_14partition_implILS8_3ELb0ES6_jNS0_17counting_iteratorIjlEEPS9_SE_NS0_5tupleIJPjSE_EEENSF_IJSE_SE_EEES9_SG_JZNS1_25segmented_radix_sort_implINS0_14default_configELb1EPKbPbPKlPlN2at6native12_GLOBAL__N_18offset_tEEE10hipError_tPvRmT1_PNSt15iterator_traitsISY_E10value_typeET2_T3_PNSZ_IS14_E10value_typeET4_jRbjT5_S1A_jjP12ihipStream_tbEUljE_EEESV_SW_SX_S14_S18_S1A_T6_T7_T9_mT8_S1C_bDpT10_ENKUlT_T0_E_clISt17integral_constantIbLb0EES1O_IbLb1EEEEDaS1K_S1L_EUlS1K_E_NS1_11comp_targetILNS1_3genE5ELNS1_11target_archE942ELNS1_3gpuE9ELNS1_3repE0EEENS1_30default_config_static_selectorELNS0_4arch9wavefront6targetE0EEEvSY_.uses_vcc, 0
	.set _ZN7rocprim17ROCPRIM_400000_NS6detail17trampoline_kernelINS0_13select_configILj256ELj13ELNS0_17block_load_methodE3ELS4_3ELS4_3ELNS0_20block_scan_algorithmE0ELj4294967295EEENS1_25partition_config_selectorILNS1_17partition_subalgoE3EjNS0_10empty_typeEbEEZZNS1_14partition_implILS8_3ELb0ES6_jNS0_17counting_iteratorIjlEEPS9_SE_NS0_5tupleIJPjSE_EEENSF_IJSE_SE_EEES9_SG_JZNS1_25segmented_radix_sort_implINS0_14default_configELb1EPKbPbPKlPlN2at6native12_GLOBAL__N_18offset_tEEE10hipError_tPvRmT1_PNSt15iterator_traitsISY_E10value_typeET2_T3_PNSZ_IS14_E10value_typeET4_jRbjT5_S1A_jjP12ihipStream_tbEUljE_EEESV_SW_SX_S14_S18_S1A_T6_T7_T9_mT8_S1C_bDpT10_ENKUlT_T0_E_clISt17integral_constantIbLb0EES1O_IbLb1EEEEDaS1K_S1L_EUlS1K_E_NS1_11comp_targetILNS1_3genE5ELNS1_11target_archE942ELNS1_3gpuE9ELNS1_3repE0EEENS1_30default_config_static_selectorELNS0_4arch9wavefront6targetE0EEEvSY_.uses_flat_scratch, 0
	.set _ZN7rocprim17ROCPRIM_400000_NS6detail17trampoline_kernelINS0_13select_configILj256ELj13ELNS0_17block_load_methodE3ELS4_3ELS4_3ELNS0_20block_scan_algorithmE0ELj4294967295EEENS1_25partition_config_selectorILNS1_17partition_subalgoE3EjNS0_10empty_typeEbEEZZNS1_14partition_implILS8_3ELb0ES6_jNS0_17counting_iteratorIjlEEPS9_SE_NS0_5tupleIJPjSE_EEENSF_IJSE_SE_EEES9_SG_JZNS1_25segmented_radix_sort_implINS0_14default_configELb1EPKbPbPKlPlN2at6native12_GLOBAL__N_18offset_tEEE10hipError_tPvRmT1_PNSt15iterator_traitsISY_E10value_typeET2_T3_PNSZ_IS14_E10value_typeET4_jRbjT5_S1A_jjP12ihipStream_tbEUljE_EEESV_SW_SX_S14_S18_S1A_T6_T7_T9_mT8_S1C_bDpT10_ENKUlT_T0_E_clISt17integral_constantIbLb0EES1O_IbLb1EEEEDaS1K_S1L_EUlS1K_E_NS1_11comp_targetILNS1_3genE5ELNS1_11target_archE942ELNS1_3gpuE9ELNS1_3repE0EEENS1_30default_config_static_selectorELNS0_4arch9wavefront6targetE0EEEvSY_.has_dyn_sized_stack, 0
	.set _ZN7rocprim17ROCPRIM_400000_NS6detail17trampoline_kernelINS0_13select_configILj256ELj13ELNS0_17block_load_methodE3ELS4_3ELS4_3ELNS0_20block_scan_algorithmE0ELj4294967295EEENS1_25partition_config_selectorILNS1_17partition_subalgoE3EjNS0_10empty_typeEbEEZZNS1_14partition_implILS8_3ELb0ES6_jNS0_17counting_iteratorIjlEEPS9_SE_NS0_5tupleIJPjSE_EEENSF_IJSE_SE_EEES9_SG_JZNS1_25segmented_radix_sort_implINS0_14default_configELb1EPKbPbPKlPlN2at6native12_GLOBAL__N_18offset_tEEE10hipError_tPvRmT1_PNSt15iterator_traitsISY_E10value_typeET2_T3_PNSZ_IS14_E10value_typeET4_jRbjT5_S1A_jjP12ihipStream_tbEUljE_EEESV_SW_SX_S14_S18_S1A_T6_T7_T9_mT8_S1C_bDpT10_ENKUlT_T0_E_clISt17integral_constantIbLb0EES1O_IbLb1EEEEDaS1K_S1L_EUlS1K_E_NS1_11comp_targetILNS1_3genE5ELNS1_11target_archE942ELNS1_3gpuE9ELNS1_3repE0EEENS1_30default_config_static_selectorELNS0_4arch9wavefront6targetE0EEEvSY_.has_recursion, 0
	.set _ZN7rocprim17ROCPRIM_400000_NS6detail17trampoline_kernelINS0_13select_configILj256ELj13ELNS0_17block_load_methodE3ELS4_3ELS4_3ELNS0_20block_scan_algorithmE0ELj4294967295EEENS1_25partition_config_selectorILNS1_17partition_subalgoE3EjNS0_10empty_typeEbEEZZNS1_14partition_implILS8_3ELb0ES6_jNS0_17counting_iteratorIjlEEPS9_SE_NS0_5tupleIJPjSE_EEENSF_IJSE_SE_EEES9_SG_JZNS1_25segmented_radix_sort_implINS0_14default_configELb1EPKbPbPKlPlN2at6native12_GLOBAL__N_18offset_tEEE10hipError_tPvRmT1_PNSt15iterator_traitsISY_E10value_typeET2_T3_PNSZ_IS14_E10value_typeET4_jRbjT5_S1A_jjP12ihipStream_tbEUljE_EEESV_SW_SX_S14_S18_S1A_T6_T7_T9_mT8_S1C_bDpT10_ENKUlT_T0_E_clISt17integral_constantIbLb0EES1O_IbLb1EEEEDaS1K_S1L_EUlS1K_E_NS1_11comp_targetILNS1_3genE5ELNS1_11target_archE942ELNS1_3gpuE9ELNS1_3repE0EEENS1_30default_config_static_selectorELNS0_4arch9wavefront6targetE0EEEvSY_.has_indirect_call, 0
	.section	.AMDGPU.csdata,"",@progbits
; Kernel info:
; codeLenInByte = 0
; TotalNumSgprs: 0
; NumVgprs: 0
; ScratchSize: 0
; MemoryBound: 0
; FloatMode: 240
; IeeeMode: 1
; LDSByteSize: 0 bytes/workgroup (compile time only)
; SGPRBlocks: 0
; VGPRBlocks: 0
; NumSGPRsForWavesPerEU: 1
; NumVGPRsForWavesPerEU: 1
; Occupancy: 16
; WaveLimiterHint : 0
; COMPUTE_PGM_RSRC2:SCRATCH_EN: 0
; COMPUTE_PGM_RSRC2:USER_SGPR: 2
; COMPUTE_PGM_RSRC2:TRAP_HANDLER: 0
; COMPUTE_PGM_RSRC2:TGID_X_EN: 1
; COMPUTE_PGM_RSRC2:TGID_Y_EN: 0
; COMPUTE_PGM_RSRC2:TGID_Z_EN: 0
; COMPUTE_PGM_RSRC2:TIDIG_COMP_CNT: 0
	.section	.text._ZN7rocprim17ROCPRIM_400000_NS6detail17trampoline_kernelINS0_13select_configILj256ELj13ELNS0_17block_load_methodE3ELS4_3ELS4_3ELNS0_20block_scan_algorithmE0ELj4294967295EEENS1_25partition_config_selectorILNS1_17partition_subalgoE3EjNS0_10empty_typeEbEEZZNS1_14partition_implILS8_3ELb0ES6_jNS0_17counting_iteratorIjlEEPS9_SE_NS0_5tupleIJPjSE_EEENSF_IJSE_SE_EEES9_SG_JZNS1_25segmented_radix_sort_implINS0_14default_configELb1EPKbPbPKlPlN2at6native12_GLOBAL__N_18offset_tEEE10hipError_tPvRmT1_PNSt15iterator_traitsISY_E10value_typeET2_T3_PNSZ_IS14_E10value_typeET4_jRbjT5_S1A_jjP12ihipStream_tbEUljE_EEESV_SW_SX_S14_S18_S1A_T6_T7_T9_mT8_S1C_bDpT10_ENKUlT_T0_E_clISt17integral_constantIbLb0EES1O_IbLb1EEEEDaS1K_S1L_EUlS1K_E_NS1_11comp_targetILNS1_3genE4ELNS1_11target_archE910ELNS1_3gpuE8ELNS1_3repE0EEENS1_30default_config_static_selectorELNS0_4arch9wavefront6targetE0EEEvSY_,"axG",@progbits,_ZN7rocprim17ROCPRIM_400000_NS6detail17trampoline_kernelINS0_13select_configILj256ELj13ELNS0_17block_load_methodE3ELS4_3ELS4_3ELNS0_20block_scan_algorithmE0ELj4294967295EEENS1_25partition_config_selectorILNS1_17partition_subalgoE3EjNS0_10empty_typeEbEEZZNS1_14partition_implILS8_3ELb0ES6_jNS0_17counting_iteratorIjlEEPS9_SE_NS0_5tupleIJPjSE_EEENSF_IJSE_SE_EEES9_SG_JZNS1_25segmented_radix_sort_implINS0_14default_configELb1EPKbPbPKlPlN2at6native12_GLOBAL__N_18offset_tEEE10hipError_tPvRmT1_PNSt15iterator_traitsISY_E10value_typeET2_T3_PNSZ_IS14_E10value_typeET4_jRbjT5_S1A_jjP12ihipStream_tbEUljE_EEESV_SW_SX_S14_S18_S1A_T6_T7_T9_mT8_S1C_bDpT10_ENKUlT_T0_E_clISt17integral_constantIbLb0EES1O_IbLb1EEEEDaS1K_S1L_EUlS1K_E_NS1_11comp_targetILNS1_3genE4ELNS1_11target_archE910ELNS1_3gpuE8ELNS1_3repE0EEENS1_30default_config_static_selectorELNS0_4arch9wavefront6targetE0EEEvSY_,comdat
	.globl	_ZN7rocprim17ROCPRIM_400000_NS6detail17trampoline_kernelINS0_13select_configILj256ELj13ELNS0_17block_load_methodE3ELS4_3ELS4_3ELNS0_20block_scan_algorithmE0ELj4294967295EEENS1_25partition_config_selectorILNS1_17partition_subalgoE3EjNS0_10empty_typeEbEEZZNS1_14partition_implILS8_3ELb0ES6_jNS0_17counting_iteratorIjlEEPS9_SE_NS0_5tupleIJPjSE_EEENSF_IJSE_SE_EEES9_SG_JZNS1_25segmented_radix_sort_implINS0_14default_configELb1EPKbPbPKlPlN2at6native12_GLOBAL__N_18offset_tEEE10hipError_tPvRmT1_PNSt15iterator_traitsISY_E10value_typeET2_T3_PNSZ_IS14_E10value_typeET4_jRbjT5_S1A_jjP12ihipStream_tbEUljE_EEESV_SW_SX_S14_S18_S1A_T6_T7_T9_mT8_S1C_bDpT10_ENKUlT_T0_E_clISt17integral_constantIbLb0EES1O_IbLb1EEEEDaS1K_S1L_EUlS1K_E_NS1_11comp_targetILNS1_3genE4ELNS1_11target_archE910ELNS1_3gpuE8ELNS1_3repE0EEENS1_30default_config_static_selectorELNS0_4arch9wavefront6targetE0EEEvSY_ ; -- Begin function _ZN7rocprim17ROCPRIM_400000_NS6detail17trampoline_kernelINS0_13select_configILj256ELj13ELNS0_17block_load_methodE3ELS4_3ELS4_3ELNS0_20block_scan_algorithmE0ELj4294967295EEENS1_25partition_config_selectorILNS1_17partition_subalgoE3EjNS0_10empty_typeEbEEZZNS1_14partition_implILS8_3ELb0ES6_jNS0_17counting_iteratorIjlEEPS9_SE_NS0_5tupleIJPjSE_EEENSF_IJSE_SE_EEES9_SG_JZNS1_25segmented_radix_sort_implINS0_14default_configELb1EPKbPbPKlPlN2at6native12_GLOBAL__N_18offset_tEEE10hipError_tPvRmT1_PNSt15iterator_traitsISY_E10value_typeET2_T3_PNSZ_IS14_E10value_typeET4_jRbjT5_S1A_jjP12ihipStream_tbEUljE_EEESV_SW_SX_S14_S18_S1A_T6_T7_T9_mT8_S1C_bDpT10_ENKUlT_T0_E_clISt17integral_constantIbLb0EES1O_IbLb1EEEEDaS1K_S1L_EUlS1K_E_NS1_11comp_targetILNS1_3genE4ELNS1_11target_archE910ELNS1_3gpuE8ELNS1_3repE0EEENS1_30default_config_static_selectorELNS0_4arch9wavefront6targetE0EEEvSY_
	.p2align	8
	.type	_ZN7rocprim17ROCPRIM_400000_NS6detail17trampoline_kernelINS0_13select_configILj256ELj13ELNS0_17block_load_methodE3ELS4_3ELS4_3ELNS0_20block_scan_algorithmE0ELj4294967295EEENS1_25partition_config_selectorILNS1_17partition_subalgoE3EjNS0_10empty_typeEbEEZZNS1_14partition_implILS8_3ELb0ES6_jNS0_17counting_iteratorIjlEEPS9_SE_NS0_5tupleIJPjSE_EEENSF_IJSE_SE_EEES9_SG_JZNS1_25segmented_radix_sort_implINS0_14default_configELb1EPKbPbPKlPlN2at6native12_GLOBAL__N_18offset_tEEE10hipError_tPvRmT1_PNSt15iterator_traitsISY_E10value_typeET2_T3_PNSZ_IS14_E10value_typeET4_jRbjT5_S1A_jjP12ihipStream_tbEUljE_EEESV_SW_SX_S14_S18_S1A_T6_T7_T9_mT8_S1C_bDpT10_ENKUlT_T0_E_clISt17integral_constantIbLb0EES1O_IbLb1EEEEDaS1K_S1L_EUlS1K_E_NS1_11comp_targetILNS1_3genE4ELNS1_11target_archE910ELNS1_3gpuE8ELNS1_3repE0EEENS1_30default_config_static_selectorELNS0_4arch9wavefront6targetE0EEEvSY_,@function
_ZN7rocprim17ROCPRIM_400000_NS6detail17trampoline_kernelINS0_13select_configILj256ELj13ELNS0_17block_load_methodE3ELS4_3ELS4_3ELNS0_20block_scan_algorithmE0ELj4294967295EEENS1_25partition_config_selectorILNS1_17partition_subalgoE3EjNS0_10empty_typeEbEEZZNS1_14partition_implILS8_3ELb0ES6_jNS0_17counting_iteratorIjlEEPS9_SE_NS0_5tupleIJPjSE_EEENSF_IJSE_SE_EEES9_SG_JZNS1_25segmented_radix_sort_implINS0_14default_configELb1EPKbPbPKlPlN2at6native12_GLOBAL__N_18offset_tEEE10hipError_tPvRmT1_PNSt15iterator_traitsISY_E10value_typeET2_T3_PNSZ_IS14_E10value_typeET4_jRbjT5_S1A_jjP12ihipStream_tbEUljE_EEESV_SW_SX_S14_S18_S1A_T6_T7_T9_mT8_S1C_bDpT10_ENKUlT_T0_E_clISt17integral_constantIbLb0EES1O_IbLb1EEEEDaS1K_S1L_EUlS1K_E_NS1_11comp_targetILNS1_3genE4ELNS1_11target_archE910ELNS1_3gpuE8ELNS1_3repE0EEENS1_30default_config_static_selectorELNS0_4arch9wavefront6targetE0EEEvSY_: ; @_ZN7rocprim17ROCPRIM_400000_NS6detail17trampoline_kernelINS0_13select_configILj256ELj13ELNS0_17block_load_methodE3ELS4_3ELS4_3ELNS0_20block_scan_algorithmE0ELj4294967295EEENS1_25partition_config_selectorILNS1_17partition_subalgoE3EjNS0_10empty_typeEbEEZZNS1_14partition_implILS8_3ELb0ES6_jNS0_17counting_iteratorIjlEEPS9_SE_NS0_5tupleIJPjSE_EEENSF_IJSE_SE_EEES9_SG_JZNS1_25segmented_radix_sort_implINS0_14default_configELb1EPKbPbPKlPlN2at6native12_GLOBAL__N_18offset_tEEE10hipError_tPvRmT1_PNSt15iterator_traitsISY_E10value_typeET2_T3_PNSZ_IS14_E10value_typeET4_jRbjT5_S1A_jjP12ihipStream_tbEUljE_EEESV_SW_SX_S14_S18_S1A_T6_T7_T9_mT8_S1C_bDpT10_ENKUlT_T0_E_clISt17integral_constantIbLb0EES1O_IbLb1EEEEDaS1K_S1L_EUlS1K_E_NS1_11comp_targetILNS1_3genE4ELNS1_11target_archE910ELNS1_3gpuE8ELNS1_3repE0EEENS1_30default_config_static_selectorELNS0_4arch9wavefront6targetE0EEEvSY_
; %bb.0:
	.section	.rodata,"a",@progbits
	.p2align	6, 0x0
	.amdhsa_kernel _ZN7rocprim17ROCPRIM_400000_NS6detail17trampoline_kernelINS0_13select_configILj256ELj13ELNS0_17block_load_methodE3ELS4_3ELS4_3ELNS0_20block_scan_algorithmE0ELj4294967295EEENS1_25partition_config_selectorILNS1_17partition_subalgoE3EjNS0_10empty_typeEbEEZZNS1_14partition_implILS8_3ELb0ES6_jNS0_17counting_iteratorIjlEEPS9_SE_NS0_5tupleIJPjSE_EEENSF_IJSE_SE_EEES9_SG_JZNS1_25segmented_radix_sort_implINS0_14default_configELb1EPKbPbPKlPlN2at6native12_GLOBAL__N_18offset_tEEE10hipError_tPvRmT1_PNSt15iterator_traitsISY_E10value_typeET2_T3_PNSZ_IS14_E10value_typeET4_jRbjT5_S1A_jjP12ihipStream_tbEUljE_EEESV_SW_SX_S14_S18_S1A_T6_T7_T9_mT8_S1C_bDpT10_ENKUlT_T0_E_clISt17integral_constantIbLb0EES1O_IbLb1EEEEDaS1K_S1L_EUlS1K_E_NS1_11comp_targetILNS1_3genE4ELNS1_11target_archE910ELNS1_3gpuE8ELNS1_3repE0EEENS1_30default_config_static_selectorELNS0_4arch9wavefront6targetE0EEEvSY_
		.amdhsa_group_segment_fixed_size 0
		.amdhsa_private_segment_fixed_size 0
		.amdhsa_kernarg_size 152
		.amdhsa_user_sgpr_count 2
		.amdhsa_user_sgpr_dispatch_ptr 0
		.amdhsa_user_sgpr_queue_ptr 0
		.amdhsa_user_sgpr_kernarg_segment_ptr 1
		.amdhsa_user_sgpr_dispatch_id 0
		.amdhsa_user_sgpr_private_segment_size 0
		.amdhsa_wavefront_size32 1
		.amdhsa_uses_dynamic_stack 0
		.amdhsa_enable_private_segment 0
		.amdhsa_system_sgpr_workgroup_id_x 1
		.amdhsa_system_sgpr_workgroup_id_y 0
		.amdhsa_system_sgpr_workgroup_id_z 0
		.amdhsa_system_sgpr_workgroup_info 0
		.amdhsa_system_vgpr_workitem_id 0
		.amdhsa_next_free_vgpr 1
		.amdhsa_next_free_sgpr 1
		.amdhsa_reserve_vcc 0
		.amdhsa_float_round_mode_32 0
		.amdhsa_float_round_mode_16_64 0
		.amdhsa_float_denorm_mode_32 3
		.amdhsa_float_denorm_mode_16_64 3
		.amdhsa_fp16_overflow 0
		.amdhsa_workgroup_processor_mode 1
		.amdhsa_memory_ordered 1
		.amdhsa_forward_progress 1
		.amdhsa_inst_pref_size 0
		.amdhsa_round_robin_scheduling 0
		.amdhsa_exception_fp_ieee_invalid_op 0
		.amdhsa_exception_fp_denorm_src 0
		.amdhsa_exception_fp_ieee_div_zero 0
		.amdhsa_exception_fp_ieee_overflow 0
		.amdhsa_exception_fp_ieee_underflow 0
		.amdhsa_exception_fp_ieee_inexact 0
		.amdhsa_exception_int_div_zero 0
	.end_amdhsa_kernel
	.section	.text._ZN7rocprim17ROCPRIM_400000_NS6detail17trampoline_kernelINS0_13select_configILj256ELj13ELNS0_17block_load_methodE3ELS4_3ELS4_3ELNS0_20block_scan_algorithmE0ELj4294967295EEENS1_25partition_config_selectorILNS1_17partition_subalgoE3EjNS0_10empty_typeEbEEZZNS1_14partition_implILS8_3ELb0ES6_jNS0_17counting_iteratorIjlEEPS9_SE_NS0_5tupleIJPjSE_EEENSF_IJSE_SE_EEES9_SG_JZNS1_25segmented_radix_sort_implINS0_14default_configELb1EPKbPbPKlPlN2at6native12_GLOBAL__N_18offset_tEEE10hipError_tPvRmT1_PNSt15iterator_traitsISY_E10value_typeET2_T3_PNSZ_IS14_E10value_typeET4_jRbjT5_S1A_jjP12ihipStream_tbEUljE_EEESV_SW_SX_S14_S18_S1A_T6_T7_T9_mT8_S1C_bDpT10_ENKUlT_T0_E_clISt17integral_constantIbLb0EES1O_IbLb1EEEEDaS1K_S1L_EUlS1K_E_NS1_11comp_targetILNS1_3genE4ELNS1_11target_archE910ELNS1_3gpuE8ELNS1_3repE0EEENS1_30default_config_static_selectorELNS0_4arch9wavefront6targetE0EEEvSY_,"axG",@progbits,_ZN7rocprim17ROCPRIM_400000_NS6detail17trampoline_kernelINS0_13select_configILj256ELj13ELNS0_17block_load_methodE3ELS4_3ELS4_3ELNS0_20block_scan_algorithmE0ELj4294967295EEENS1_25partition_config_selectorILNS1_17partition_subalgoE3EjNS0_10empty_typeEbEEZZNS1_14partition_implILS8_3ELb0ES6_jNS0_17counting_iteratorIjlEEPS9_SE_NS0_5tupleIJPjSE_EEENSF_IJSE_SE_EEES9_SG_JZNS1_25segmented_radix_sort_implINS0_14default_configELb1EPKbPbPKlPlN2at6native12_GLOBAL__N_18offset_tEEE10hipError_tPvRmT1_PNSt15iterator_traitsISY_E10value_typeET2_T3_PNSZ_IS14_E10value_typeET4_jRbjT5_S1A_jjP12ihipStream_tbEUljE_EEESV_SW_SX_S14_S18_S1A_T6_T7_T9_mT8_S1C_bDpT10_ENKUlT_T0_E_clISt17integral_constantIbLb0EES1O_IbLb1EEEEDaS1K_S1L_EUlS1K_E_NS1_11comp_targetILNS1_3genE4ELNS1_11target_archE910ELNS1_3gpuE8ELNS1_3repE0EEENS1_30default_config_static_selectorELNS0_4arch9wavefront6targetE0EEEvSY_,comdat
.Lfunc_end1526:
	.size	_ZN7rocprim17ROCPRIM_400000_NS6detail17trampoline_kernelINS0_13select_configILj256ELj13ELNS0_17block_load_methodE3ELS4_3ELS4_3ELNS0_20block_scan_algorithmE0ELj4294967295EEENS1_25partition_config_selectorILNS1_17partition_subalgoE3EjNS0_10empty_typeEbEEZZNS1_14partition_implILS8_3ELb0ES6_jNS0_17counting_iteratorIjlEEPS9_SE_NS0_5tupleIJPjSE_EEENSF_IJSE_SE_EEES9_SG_JZNS1_25segmented_radix_sort_implINS0_14default_configELb1EPKbPbPKlPlN2at6native12_GLOBAL__N_18offset_tEEE10hipError_tPvRmT1_PNSt15iterator_traitsISY_E10value_typeET2_T3_PNSZ_IS14_E10value_typeET4_jRbjT5_S1A_jjP12ihipStream_tbEUljE_EEESV_SW_SX_S14_S18_S1A_T6_T7_T9_mT8_S1C_bDpT10_ENKUlT_T0_E_clISt17integral_constantIbLb0EES1O_IbLb1EEEEDaS1K_S1L_EUlS1K_E_NS1_11comp_targetILNS1_3genE4ELNS1_11target_archE910ELNS1_3gpuE8ELNS1_3repE0EEENS1_30default_config_static_selectorELNS0_4arch9wavefront6targetE0EEEvSY_, .Lfunc_end1526-_ZN7rocprim17ROCPRIM_400000_NS6detail17trampoline_kernelINS0_13select_configILj256ELj13ELNS0_17block_load_methodE3ELS4_3ELS4_3ELNS0_20block_scan_algorithmE0ELj4294967295EEENS1_25partition_config_selectorILNS1_17partition_subalgoE3EjNS0_10empty_typeEbEEZZNS1_14partition_implILS8_3ELb0ES6_jNS0_17counting_iteratorIjlEEPS9_SE_NS0_5tupleIJPjSE_EEENSF_IJSE_SE_EEES9_SG_JZNS1_25segmented_radix_sort_implINS0_14default_configELb1EPKbPbPKlPlN2at6native12_GLOBAL__N_18offset_tEEE10hipError_tPvRmT1_PNSt15iterator_traitsISY_E10value_typeET2_T3_PNSZ_IS14_E10value_typeET4_jRbjT5_S1A_jjP12ihipStream_tbEUljE_EEESV_SW_SX_S14_S18_S1A_T6_T7_T9_mT8_S1C_bDpT10_ENKUlT_T0_E_clISt17integral_constantIbLb0EES1O_IbLb1EEEEDaS1K_S1L_EUlS1K_E_NS1_11comp_targetILNS1_3genE4ELNS1_11target_archE910ELNS1_3gpuE8ELNS1_3repE0EEENS1_30default_config_static_selectorELNS0_4arch9wavefront6targetE0EEEvSY_
                                        ; -- End function
	.set _ZN7rocprim17ROCPRIM_400000_NS6detail17trampoline_kernelINS0_13select_configILj256ELj13ELNS0_17block_load_methodE3ELS4_3ELS4_3ELNS0_20block_scan_algorithmE0ELj4294967295EEENS1_25partition_config_selectorILNS1_17partition_subalgoE3EjNS0_10empty_typeEbEEZZNS1_14partition_implILS8_3ELb0ES6_jNS0_17counting_iteratorIjlEEPS9_SE_NS0_5tupleIJPjSE_EEENSF_IJSE_SE_EEES9_SG_JZNS1_25segmented_radix_sort_implINS0_14default_configELb1EPKbPbPKlPlN2at6native12_GLOBAL__N_18offset_tEEE10hipError_tPvRmT1_PNSt15iterator_traitsISY_E10value_typeET2_T3_PNSZ_IS14_E10value_typeET4_jRbjT5_S1A_jjP12ihipStream_tbEUljE_EEESV_SW_SX_S14_S18_S1A_T6_T7_T9_mT8_S1C_bDpT10_ENKUlT_T0_E_clISt17integral_constantIbLb0EES1O_IbLb1EEEEDaS1K_S1L_EUlS1K_E_NS1_11comp_targetILNS1_3genE4ELNS1_11target_archE910ELNS1_3gpuE8ELNS1_3repE0EEENS1_30default_config_static_selectorELNS0_4arch9wavefront6targetE0EEEvSY_.num_vgpr, 0
	.set _ZN7rocprim17ROCPRIM_400000_NS6detail17trampoline_kernelINS0_13select_configILj256ELj13ELNS0_17block_load_methodE3ELS4_3ELS4_3ELNS0_20block_scan_algorithmE0ELj4294967295EEENS1_25partition_config_selectorILNS1_17partition_subalgoE3EjNS0_10empty_typeEbEEZZNS1_14partition_implILS8_3ELb0ES6_jNS0_17counting_iteratorIjlEEPS9_SE_NS0_5tupleIJPjSE_EEENSF_IJSE_SE_EEES9_SG_JZNS1_25segmented_radix_sort_implINS0_14default_configELb1EPKbPbPKlPlN2at6native12_GLOBAL__N_18offset_tEEE10hipError_tPvRmT1_PNSt15iterator_traitsISY_E10value_typeET2_T3_PNSZ_IS14_E10value_typeET4_jRbjT5_S1A_jjP12ihipStream_tbEUljE_EEESV_SW_SX_S14_S18_S1A_T6_T7_T9_mT8_S1C_bDpT10_ENKUlT_T0_E_clISt17integral_constantIbLb0EES1O_IbLb1EEEEDaS1K_S1L_EUlS1K_E_NS1_11comp_targetILNS1_3genE4ELNS1_11target_archE910ELNS1_3gpuE8ELNS1_3repE0EEENS1_30default_config_static_selectorELNS0_4arch9wavefront6targetE0EEEvSY_.num_agpr, 0
	.set _ZN7rocprim17ROCPRIM_400000_NS6detail17trampoline_kernelINS0_13select_configILj256ELj13ELNS0_17block_load_methodE3ELS4_3ELS4_3ELNS0_20block_scan_algorithmE0ELj4294967295EEENS1_25partition_config_selectorILNS1_17partition_subalgoE3EjNS0_10empty_typeEbEEZZNS1_14partition_implILS8_3ELb0ES6_jNS0_17counting_iteratorIjlEEPS9_SE_NS0_5tupleIJPjSE_EEENSF_IJSE_SE_EEES9_SG_JZNS1_25segmented_radix_sort_implINS0_14default_configELb1EPKbPbPKlPlN2at6native12_GLOBAL__N_18offset_tEEE10hipError_tPvRmT1_PNSt15iterator_traitsISY_E10value_typeET2_T3_PNSZ_IS14_E10value_typeET4_jRbjT5_S1A_jjP12ihipStream_tbEUljE_EEESV_SW_SX_S14_S18_S1A_T6_T7_T9_mT8_S1C_bDpT10_ENKUlT_T0_E_clISt17integral_constantIbLb0EES1O_IbLb1EEEEDaS1K_S1L_EUlS1K_E_NS1_11comp_targetILNS1_3genE4ELNS1_11target_archE910ELNS1_3gpuE8ELNS1_3repE0EEENS1_30default_config_static_selectorELNS0_4arch9wavefront6targetE0EEEvSY_.numbered_sgpr, 0
	.set _ZN7rocprim17ROCPRIM_400000_NS6detail17trampoline_kernelINS0_13select_configILj256ELj13ELNS0_17block_load_methodE3ELS4_3ELS4_3ELNS0_20block_scan_algorithmE0ELj4294967295EEENS1_25partition_config_selectorILNS1_17partition_subalgoE3EjNS0_10empty_typeEbEEZZNS1_14partition_implILS8_3ELb0ES6_jNS0_17counting_iteratorIjlEEPS9_SE_NS0_5tupleIJPjSE_EEENSF_IJSE_SE_EEES9_SG_JZNS1_25segmented_radix_sort_implINS0_14default_configELb1EPKbPbPKlPlN2at6native12_GLOBAL__N_18offset_tEEE10hipError_tPvRmT1_PNSt15iterator_traitsISY_E10value_typeET2_T3_PNSZ_IS14_E10value_typeET4_jRbjT5_S1A_jjP12ihipStream_tbEUljE_EEESV_SW_SX_S14_S18_S1A_T6_T7_T9_mT8_S1C_bDpT10_ENKUlT_T0_E_clISt17integral_constantIbLb0EES1O_IbLb1EEEEDaS1K_S1L_EUlS1K_E_NS1_11comp_targetILNS1_3genE4ELNS1_11target_archE910ELNS1_3gpuE8ELNS1_3repE0EEENS1_30default_config_static_selectorELNS0_4arch9wavefront6targetE0EEEvSY_.num_named_barrier, 0
	.set _ZN7rocprim17ROCPRIM_400000_NS6detail17trampoline_kernelINS0_13select_configILj256ELj13ELNS0_17block_load_methodE3ELS4_3ELS4_3ELNS0_20block_scan_algorithmE0ELj4294967295EEENS1_25partition_config_selectorILNS1_17partition_subalgoE3EjNS0_10empty_typeEbEEZZNS1_14partition_implILS8_3ELb0ES6_jNS0_17counting_iteratorIjlEEPS9_SE_NS0_5tupleIJPjSE_EEENSF_IJSE_SE_EEES9_SG_JZNS1_25segmented_radix_sort_implINS0_14default_configELb1EPKbPbPKlPlN2at6native12_GLOBAL__N_18offset_tEEE10hipError_tPvRmT1_PNSt15iterator_traitsISY_E10value_typeET2_T3_PNSZ_IS14_E10value_typeET4_jRbjT5_S1A_jjP12ihipStream_tbEUljE_EEESV_SW_SX_S14_S18_S1A_T6_T7_T9_mT8_S1C_bDpT10_ENKUlT_T0_E_clISt17integral_constantIbLb0EES1O_IbLb1EEEEDaS1K_S1L_EUlS1K_E_NS1_11comp_targetILNS1_3genE4ELNS1_11target_archE910ELNS1_3gpuE8ELNS1_3repE0EEENS1_30default_config_static_selectorELNS0_4arch9wavefront6targetE0EEEvSY_.private_seg_size, 0
	.set _ZN7rocprim17ROCPRIM_400000_NS6detail17trampoline_kernelINS0_13select_configILj256ELj13ELNS0_17block_load_methodE3ELS4_3ELS4_3ELNS0_20block_scan_algorithmE0ELj4294967295EEENS1_25partition_config_selectorILNS1_17partition_subalgoE3EjNS0_10empty_typeEbEEZZNS1_14partition_implILS8_3ELb0ES6_jNS0_17counting_iteratorIjlEEPS9_SE_NS0_5tupleIJPjSE_EEENSF_IJSE_SE_EEES9_SG_JZNS1_25segmented_radix_sort_implINS0_14default_configELb1EPKbPbPKlPlN2at6native12_GLOBAL__N_18offset_tEEE10hipError_tPvRmT1_PNSt15iterator_traitsISY_E10value_typeET2_T3_PNSZ_IS14_E10value_typeET4_jRbjT5_S1A_jjP12ihipStream_tbEUljE_EEESV_SW_SX_S14_S18_S1A_T6_T7_T9_mT8_S1C_bDpT10_ENKUlT_T0_E_clISt17integral_constantIbLb0EES1O_IbLb1EEEEDaS1K_S1L_EUlS1K_E_NS1_11comp_targetILNS1_3genE4ELNS1_11target_archE910ELNS1_3gpuE8ELNS1_3repE0EEENS1_30default_config_static_selectorELNS0_4arch9wavefront6targetE0EEEvSY_.uses_vcc, 0
	.set _ZN7rocprim17ROCPRIM_400000_NS6detail17trampoline_kernelINS0_13select_configILj256ELj13ELNS0_17block_load_methodE3ELS4_3ELS4_3ELNS0_20block_scan_algorithmE0ELj4294967295EEENS1_25partition_config_selectorILNS1_17partition_subalgoE3EjNS0_10empty_typeEbEEZZNS1_14partition_implILS8_3ELb0ES6_jNS0_17counting_iteratorIjlEEPS9_SE_NS0_5tupleIJPjSE_EEENSF_IJSE_SE_EEES9_SG_JZNS1_25segmented_radix_sort_implINS0_14default_configELb1EPKbPbPKlPlN2at6native12_GLOBAL__N_18offset_tEEE10hipError_tPvRmT1_PNSt15iterator_traitsISY_E10value_typeET2_T3_PNSZ_IS14_E10value_typeET4_jRbjT5_S1A_jjP12ihipStream_tbEUljE_EEESV_SW_SX_S14_S18_S1A_T6_T7_T9_mT8_S1C_bDpT10_ENKUlT_T0_E_clISt17integral_constantIbLb0EES1O_IbLb1EEEEDaS1K_S1L_EUlS1K_E_NS1_11comp_targetILNS1_3genE4ELNS1_11target_archE910ELNS1_3gpuE8ELNS1_3repE0EEENS1_30default_config_static_selectorELNS0_4arch9wavefront6targetE0EEEvSY_.uses_flat_scratch, 0
	.set _ZN7rocprim17ROCPRIM_400000_NS6detail17trampoline_kernelINS0_13select_configILj256ELj13ELNS0_17block_load_methodE3ELS4_3ELS4_3ELNS0_20block_scan_algorithmE0ELj4294967295EEENS1_25partition_config_selectorILNS1_17partition_subalgoE3EjNS0_10empty_typeEbEEZZNS1_14partition_implILS8_3ELb0ES6_jNS0_17counting_iteratorIjlEEPS9_SE_NS0_5tupleIJPjSE_EEENSF_IJSE_SE_EEES9_SG_JZNS1_25segmented_radix_sort_implINS0_14default_configELb1EPKbPbPKlPlN2at6native12_GLOBAL__N_18offset_tEEE10hipError_tPvRmT1_PNSt15iterator_traitsISY_E10value_typeET2_T3_PNSZ_IS14_E10value_typeET4_jRbjT5_S1A_jjP12ihipStream_tbEUljE_EEESV_SW_SX_S14_S18_S1A_T6_T7_T9_mT8_S1C_bDpT10_ENKUlT_T0_E_clISt17integral_constantIbLb0EES1O_IbLb1EEEEDaS1K_S1L_EUlS1K_E_NS1_11comp_targetILNS1_3genE4ELNS1_11target_archE910ELNS1_3gpuE8ELNS1_3repE0EEENS1_30default_config_static_selectorELNS0_4arch9wavefront6targetE0EEEvSY_.has_dyn_sized_stack, 0
	.set _ZN7rocprim17ROCPRIM_400000_NS6detail17trampoline_kernelINS0_13select_configILj256ELj13ELNS0_17block_load_methodE3ELS4_3ELS4_3ELNS0_20block_scan_algorithmE0ELj4294967295EEENS1_25partition_config_selectorILNS1_17partition_subalgoE3EjNS0_10empty_typeEbEEZZNS1_14partition_implILS8_3ELb0ES6_jNS0_17counting_iteratorIjlEEPS9_SE_NS0_5tupleIJPjSE_EEENSF_IJSE_SE_EEES9_SG_JZNS1_25segmented_radix_sort_implINS0_14default_configELb1EPKbPbPKlPlN2at6native12_GLOBAL__N_18offset_tEEE10hipError_tPvRmT1_PNSt15iterator_traitsISY_E10value_typeET2_T3_PNSZ_IS14_E10value_typeET4_jRbjT5_S1A_jjP12ihipStream_tbEUljE_EEESV_SW_SX_S14_S18_S1A_T6_T7_T9_mT8_S1C_bDpT10_ENKUlT_T0_E_clISt17integral_constantIbLb0EES1O_IbLb1EEEEDaS1K_S1L_EUlS1K_E_NS1_11comp_targetILNS1_3genE4ELNS1_11target_archE910ELNS1_3gpuE8ELNS1_3repE0EEENS1_30default_config_static_selectorELNS0_4arch9wavefront6targetE0EEEvSY_.has_recursion, 0
	.set _ZN7rocprim17ROCPRIM_400000_NS6detail17trampoline_kernelINS0_13select_configILj256ELj13ELNS0_17block_load_methodE3ELS4_3ELS4_3ELNS0_20block_scan_algorithmE0ELj4294967295EEENS1_25partition_config_selectorILNS1_17partition_subalgoE3EjNS0_10empty_typeEbEEZZNS1_14partition_implILS8_3ELb0ES6_jNS0_17counting_iteratorIjlEEPS9_SE_NS0_5tupleIJPjSE_EEENSF_IJSE_SE_EEES9_SG_JZNS1_25segmented_radix_sort_implINS0_14default_configELb1EPKbPbPKlPlN2at6native12_GLOBAL__N_18offset_tEEE10hipError_tPvRmT1_PNSt15iterator_traitsISY_E10value_typeET2_T3_PNSZ_IS14_E10value_typeET4_jRbjT5_S1A_jjP12ihipStream_tbEUljE_EEESV_SW_SX_S14_S18_S1A_T6_T7_T9_mT8_S1C_bDpT10_ENKUlT_T0_E_clISt17integral_constantIbLb0EES1O_IbLb1EEEEDaS1K_S1L_EUlS1K_E_NS1_11comp_targetILNS1_3genE4ELNS1_11target_archE910ELNS1_3gpuE8ELNS1_3repE0EEENS1_30default_config_static_selectorELNS0_4arch9wavefront6targetE0EEEvSY_.has_indirect_call, 0
	.section	.AMDGPU.csdata,"",@progbits
; Kernel info:
; codeLenInByte = 0
; TotalNumSgprs: 0
; NumVgprs: 0
; ScratchSize: 0
; MemoryBound: 0
; FloatMode: 240
; IeeeMode: 1
; LDSByteSize: 0 bytes/workgroup (compile time only)
; SGPRBlocks: 0
; VGPRBlocks: 0
; NumSGPRsForWavesPerEU: 1
; NumVGPRsForWavesPerEU: 1
; Occupancy: 16
; WaveLimiterHint : 0
; COMPUTE_PGM_RSRC2:SCRATCH_EN: 0
; COMPUTE_PGM_RSRC2:USER_SGPR: 2
; COMPUTE_PGM_RSRC2:TRAP_HANDLER: 0
; COMPUTE_PGM_RSRC2:TGID_X_EN: 1
; COMPUTE_PGM_RSRC2:TGID_Y_EN: 0
; COMPUTE_PGM_RSRC2:TGID_Z_EN: 0
; COMPUTE_PGM_RSRC2:TIDIG_COMP_CNT: 0
	.section	.text._ZN7rocprim17ROCPRIM_400000_NS6detail17trampoline_kernelINS0_13select_configILj256ELj13ELNS0_17block_load_methodE3ELS4_3ELS4_3ELNS0_20block_scan_algorithmE0ELj4294967295EEENS1_25partition_config_selectorILNS1_17partition_subalgoE3EjNS0_10empty_typeEbEEZZNS1_14partition_implILS8_3ELb0ES6_jNS0_17counting_iteratorIjlEEPS9_SE_NS0_5tupleIJPjSE_EEENSF_IJSE_SE_EEES9_SG_JZNS1_25segmented_radix_sort_implINS0_14default_configELb1EPKbPbPKlPlN2at6native12_GLOBAL__N_18offset_tEEE10hipError_tPvRmT1_PNSt15iterator_traitsISY_E10value_typeET2_T3_PNSZ_IS14_E10value_typeET4_jRbjT5_S1A_jjP12ihipStream_tbEUljE_EEESV_SW_SX_S14_S18_S1A_T6_T7_T9_mT8_S1C_bDpT10_ENKUlT_T0_E_clISt17integral_constantIbLb0EES1O_IbLb1EEEEDaS1K_S1L_EUlS1K_E_NS1_11comp_targetILNS1_3genE3ELNS1_11target_archE908ELNS1_3gpuE7ELNS1_3repE0EEENS1_30default_config_static_selectorELNS0_4arch9wavefront6targetE0EEEvSY_,"axG",@progbits,_ZN7rocprim17ROCPRIM_400000_NS6detail17trampoline_kernelINS0_13select_configILj256ELj13ELNS0_17block_load_methodE3ELS4_3ELS4_3ELNS0_20block_scan_algorithmE0ELj4294967295EEENS1_25partition_config_selectorILNS1_17partition_subalgoE3EjNS0_10empty_typeEbEEZZNS1_14partition_implILS8_3ELb0ES6_jNS0_17counting_iteratorIjlEEPS9_SE_NS0_5tupleIJPjSE_EEENSF_IJSE_SE_EEES9_SG_JZNS1_25segmented_radix_sort_implINS0_14default_configELb1EPKbPbPKlPlN2at6native12_GLOBAL__N_18offset_tEEE10hipError_tPvRmT1_PNSt15iterator_traitsISY_E10value_typeET2_T3_PNSZ_IS14_E10value_typeET4_jRbjT5_S1A_jjP12ihipStream_tbEUljE_EEESV_SW_SX_S14_S18_S1A_T6_T7_T9_mT8_S1C_bDpT10_ENKUlT_T0_E_clISt17integral_constantIbLb0EES1O_IbLb1EEEEDaS1K_S1L_EUlS1K_E_NS1_11comp_targetILNS1_3genE3ELNS1_11target_archE908ELNS1_3gpuE7ELNS1_3repE0EEENS1_30default_config_static_selectorELNS0_4arch9wavefront6targetE0EEEvSY_,comdat
	.globl	_ZN7rocprim17ROCPRIM_400000_NS6detail17trampoline_kernelINS0_13select_configILj256ELj13ELNS0_17block_load_methodE3ELS4_3ELS4_3ELNS0_20block_scan_algorithmE0ELj4294967295EEENS1_25partition_config_selectorILNS1_17partition_subalgoE3EjNS0_10empty_typeEbEEZZNS1_14partition_implILS8_3ELb0ES6_jNS0_17counting_iteratorIjlEEPS9_SE_NS0_5tupleIJPjSE_EEENSF_IJSE_SE_EEES9_SG_JZNS1_25segmented_radix_sort_implINS0_14default_configELb1EPKbPbPKlPlN2at6native12_GLOBAL__N_18offset_tEEE10hipError_tPvRmT1_PNSt15iterator_traitsISY_E10value_typeET2_T3_PNSZ_IS14_E10value_typeET4_jRbjT5_S1A_jjP12ihipStream_tbEUljE_EEESV_SW_SX_S14_S18_S1A_T6_T7_T9_mT8_S1C_bDpT10_ENKUlT_T0_E_clISt17integral_constantIbLb0EES1O_IbLb1EEEEDaS1K_S1L_EUlS1K_E_NS1_11comp_targetILNS1_3genE3ELNS1_11target_archE908ELNS1_3gpuE7ELNS1_3repE0EEENS1_30default_config_static_selectorELNS0_4arch9wavefront6targetE0EEEvSY_ ; -- Begin function _ZN7rocprim17ROCPRIM_400000_NS6detail17trampoline_kernelINS0_13select_configILj256ELj13ELNS0_17block_load_methodE3ELS4_3ELS4_3ELNS0_20block_scan_algorithmE0ELj4294967295EEENS1_25partition_config_selectorILNS1_17partition_subalgoE3EjNS0_10empty_typeEbEEZZNS1_14partition_implILS8_3ELb0ES6_jNS0_17counting_iteratorIjlEEPS9_SE_NS0_5tupleIJPjSE_EEENSF_IJSE_SE_EEES9_SG_JZNS1_25segmented_radix_sort_implINS0_14default_configELb1EPKbPbPKlPlN2at6native12_GLOBAL__N_18offset_tEEE10hipError_tPvRmT1_PNSt15iterator_traitsISY_E10value_typeET2_T3_PNSZ_IS14_E10value_typeET4_jRbjT5_S1A_jjP12ihipStream_tbEUljE_EEESV_SW_SX_S14_S18_S1A_T6_T7_T9_mT8_S1C_bDpT10_ENKUlT_T0_E_clISt17integral_constantIbLb0EES1O_IbLb1EEEEDaS1K_S1L_EUlS1K_E_NS1_11comp_targetILNS1_3genE3ELNS1_11target_archE908ELNS1_3gpuE7ELNS1_3repE0EEENS1_30default_config_static_selectorELNS0_4arch9wavefront6targetE0EEEvSY_
	.p2align	8
	.type	_ZN7rocprim17ROCPRIM_400000_NS6detail17trampoline_kernelINS0_13select_configILj256ELj13ELNS0_17block_load_methodE3ELS4_3ELS4_3ELNS0_20block_scan_algorithmE0ELj4294967295EEENS1_25partition_config_selectorILNS1_17partition_subalgoE3EjNS0_10empty_typeEbEEZZNS1_14partition_implILS8_3ELb0ES6_jNS0_17counting_iteratorIjlEEPS9_SE_NS0_5tupleIJPjSE_EEENSF_IJSE_SE_EEES9_SG_JZNS1_25segmented_radix_sort_implINS0_14default_configELb1EPKbPbPKlPlN2at6native12_GLOBAL__N_18offset_tEEE10hipError_tPvRmT1_PNSt15iterator_traitsISY_E10value_typeET2_T3_PNSZ_IS14_E10value_typeET4_jRbjT5_S1A_jjP12ihipStream_tbEUljE_EEESV_SW_SX_S14_S18_S1A_T6_T7_T9_mT8_S1C_bDpT10_ENKUlT_T0_E_clISt17integral_constantIbLb0EES1O_IbLb1EEEEDaS1K_S1L_EUlS1K_E_NS1_11comp_targetILNS1_3genE3ELNS1_11target_archE908ELNS1_3gpuE7ELNS1_3repE0EEENS1_30default_config_static_selectorELNS0_4arch9wavefront6targetE0EEEvSY_,@function
_ZN7rocprim17ROCPRIM_400000_NS6detail17trampoline_kernelINS0_13select_configILj256ELj13ELNS0_17block_load_methodE3ELS4_3ELS4_3ELNS0_20block_scan_algorithmE0ELj4294967295EEENS1_25partition_config_selectorILNS1_17partition_subalgoE3EjNS0_10empty_typeEbEEZZNS1_14partition_implILS8_3ELb0ES6_jNS0_17counting_iteratorIjlEEPS9_SE_NS0_5tupleIJPjSE_EEENSF_IJSE_SE_EEES9_SG_JZNS1_25segmented_radix_sort_implINS0_14default_configELb1EPKbPbPKlPlN2at6native12_GLOBAL__N_18offset_tEEE10hipError_tPvRmT1_PNSt15iterator_traitsISY_E10value_typeET2_T3_PNSZ_IS14_E10value_typeET4_jRbjT5_S1A_jjP12ihipStream_tbEUljE_EEESV_SW_SX_S14_S18_S1A_T6_T7_T9_mT8_S1C_bDpT10_ENKUlT_T0_E_clISt17integral_constantIbLb0EES1O_IbLb1EEEEDaS1K_S1L_EUlS1K_E_NS1_11comp_targetILNS1_3genE3ELNS1_11target_archE908ELNS1_3gpuE7ELNS1_3repE0EEENS1_30default_config_static_selectorELNS0_4arch9wavefront6targetE0EEEvSY_: ; @_ZN7rocprim17ROCPRIM_400000_NS6detail17trampoline_kernelINS0_13select_configILj256ELj13ELNS0_17block_load_methodE3ELS4_3ELS4_3ELNS0_20block_scan_algorithmE0ELj4294967295EEENS1_25partition_config_selectorILNS1_17partition_subalgoE3EjNS0_10empty_typeEbEEZZNS1_14partition_implILS8_3ELb0ES6_jNS0_17counting_iteratorIjlEEPS9_SE_NS0_5tupleIJPjSE_EEENSF_IJSE_SE_EEES9_SG_JZNS1_25segmented_radix_sort_implINS0_14default_configELb1EPKbPbPKlPlN2at6native12_GLOBAL__N_18offset_tEEE10hipError_tPvRmT1_PNSt15iterator_traitsISY_E10value_typeET2_T3_PNSZ_IS14_E10value_typeET4_jRbjT5_S1A_jjP12ihipStream_tbEUljE_EEESV_SW_SX_S14_S18_S1A_T6_T7_T9_mT8_S1C_bDpT10_ENKUlT_T0_E_clISt17integral_constantIbLb0EES1O_IbLb1EEEEDaS1K_S1L_EUlS1K_E_NS1_11comp_targetILNS1_3genE3ELNS1_11target_archE908ELNS1_3gpuE7ELNS1_3repE0EEENS1_30default_config_static_selectorELNS0_4arch9wavefront6targetE0EEEvSY_
; %bb.0:
	.section	.rodata,"a",@progbits
	.p2align	6, 0x0
	.amdhsa_kernel _ZN7rocprim17ROCPRIM_400000_NS6detail17trampoline_kernelINS0_13select_configILj256ELj13ELNS0_17block_load_methodE3ELS4_3ELS4_3ELNS0_20block_scan_algorithmE0ELj4294967295EEENS1_25partition_config_selectorILNS1_17partition_subalgoE3EjNS0_10empty_typeEbEEZZNS1_14partition_implILS8_3ELb0ES6_jNS0_17counting_iteratorIjlEEPS9_SE_NS0_5tupleIJPjSE_EEENSF_IJSE_SE_EEES9_SG_JZNS1_25segmented_radix_sort_implINS0_14default_configELb1EPKbPbPKlPlN2at6native12_GLOBAL__N_18offset_tEEE10hipError_tPvRmT1_PNSt15iterator_traitsISY_E10value_typeET2_T3_PNSZ_IS14_E10value_typeET4_jRbjT5_S1A_jjP12ihipStream_tbEUljE_EEESV_SW_SX_S14_S18_S1A_T6_T7_T9_mT8_S1C_bDpT10_ENKUlT_T0_E_clISt17integral_constantIbLb0EES1O_IbLb1EEEEDaS1K_S1L_EUlS1K_E_NS1_11comp_targetILNS1_3genE3ELNS1_11target_archE908ELNS1_3gpuE7ELNS1_3repE0EEENS1_30default_config_static_selectorELNS0_4arch9wavefront6targetE0EEEvSY_
		.amdhsa_group_segment_fixed_size 0
		.amdhsa_private_segment_fixed_size 0
		.amdhsa_kernarg_size 152
		.amdhsa_user_sgpr_count 2
		.amdhsa_user_sgpr_dispatch_ptr 0
		.amdhsa_user_sgpr_queue_ptr 0
		.amdhsa_user_sgpr_kernarg_segment_ptr 1
		.amdhsa_user_sgpr_dispatch_id 0
		.amdhsa_user_sgpr_private_segment_size 0
		.amdhsa_wavefront_size32 1
		.amdhsa_uses_dynamic_stack 0
		.amdhsa_enable_private_segment 0
		.amdhsa_system_sgpr_workgroup_id_x 1
		.amdhsa_system_sgpr_workgroup_id_y 0
		.amdhsa_system_sgpr_workgroup_id_z 0
		.amdhsa_system_sgpr_workgroup_info 0
		.amdhsa_system_vgpr_workitem_id 0
		.amdhsa_next_free_vgpr 1
		.amdhsa_next_free_sgpr 1
		.amdhsa_reserve_vcc 0
		.amdhsa_float_round_mode_32 0
		.amdhsa_float_round_mode_16_64 0
		.amdhsa_float_denorm_mode_32 3
		.amdhsa_float_denorm_mode_16_64 3
		.amdhsa_fp16_overflow 0
		.amdhsa_workgroup_processor_mode 1
		.amdhsa_memory_ordered 1
		.amdhsa_forward_progress 1
		.amdhsa_inst_pref_size 0
		.amdhsa_round_robin_scheduling 0
		.amdhsa_exception_fp_ieee_invalid_op 0
		.amdhsa_exception_fp_denorm_src 0
		.amdhsa_exception_fp_ieee_div_zero 0
		.amdhsa_exception_fp_ieee_overflow 0
		.amdhsa_exception_fp_ieee_underflow 0
		.amdhsa_exception_fp_ieee_inexact 0
		.amdhsa_exception_int_div_zero 0
	.end_amdhsa_kernel
	.section	.text._ZN7rocprim17ROCPRIM_400000_NS6detail17trampoline_kernelINS0_13select_configILj256ELj13ELNS0_17block_load_methodE3ELS4_3ELS4_3ELNS0_20block_scan_algorithmE0ELj4294967295EEENS1_25partition_config_selectorILNS1_17partition_subalgoE3EjNS0_10empty_typeEbEEZZNS1_14partition_implILS8_3ELb0ES6_jNS0_17counting_iteratorIjlEEPS9_SE_NS0_5tupleIJPjSE_EEENSF_IJSE_SE_EEES9_SG_JZNS1_25segmented_radix_sort_implINS0_14default_configELb1EPKbPbPKlPlN2at6native12_GLOBAL__N_18offset_tEEE10hipError_tPvRmT1_PNSt15iterator_traitsISY_E10value_typeET2_T3_PNSZ_IS14_E10value_typeET4_jRbjT5_S1A_jjP12ihipStream_tbEUljE_EEESV_SW_SX_S14_S18_S1A_T6_T7_T9_mT8_S1C_bDpT10_ENKUlT_T0_E_clISt17integral_constantIbLb0EES1O_IbLb1EEEEDaS1K_S1L_EUlS1K_E_NS1_11comp_targetILNS1_3genE3ELNS1_11target_archE908ELNS1_3gpuE7ELNS1_3repE0EEENS1_30default_config_static_selectorELNS0_4arch9wavefront6targetE0EEEvSY_,"axG",@progbits,_ZN7rocprim17ROCPRIM_400000_NS6detail17trampoline_kernelINS0_13select_configILj256ELj13ELNS0_17block_load_methodE3ELS4_3ELS4_3ELNS0_20block_scan_algorithmE0ELj4294967295EEENS1_25partition_config_selectorILNS1_17partition_subalgoE3EjNS0_10empty_typeEbEEZZNS1_14partition_implILS8_3ELb0ES6_jNS0_17counting_iteratorIjlEEPS9_SE_NS0_5tupleIJPjSE_EEENSF_IJSE_SE_EEES9_SG_JZNS1_25segmented_radix_sort_implINS0_14default_configELb1EPKbPbPKlPlN2at6native12_GLOBAL__N_18offset_tEEE10hipError_tPvRmT1_PNSt15iterator_traitsISY_E10value_typeET2_T3_PNSZ_IS14_E10value_typeET4_jRbjT5_S1A_jjP12ihipStream_tbEUljE_EEESV_SW_SX_S14_S18_S1A_T6_T7_T9_mT8_S1C_bDpT10_ENKUlT_T0_E_clISt17integral_constantIbLb0EES1O_IbLb1EEEEDaS1K_S1L_EUlS1K_E_NS1_11comp_targetILNS1_3genE3ELNS1_11target_archE908ELNS1_3gpuE7ELNS1_3repE0EEENS1_30default_config_static_selectorELNS0_4arch9wavefront6targetE0EEEvSY_,comdat
.Lfunc_end1527:
	.size	_ZN7rocprim17ROCPRIM_400000_NS6detail17trampoline_kernelINS0_13select_configILj256ELj13ELNS0_17block_load_methodE3ELS4_3ELS4_3ELNS0_20block_scan_algorithmE0ELj4294967295EEENS1_25partition_config_selectorILNS1_17partition_subalgoE3EjNS0_10empty_typeEbEEZZNS1_14partition_implILS8_3ELb0ES6_jNS0_17counting_iteratorIjlEEPS9_SE_NS0_5tupleIJPjSE_EEENSF_IJSE_SE_EEES9_SG_JZNS1_25segmented_radix_sort_implINS0_14default_configELb1EPKbPbPKlPlN2at6native12_GLOBAL__N_18offset_tEEE10hipError_tPvRmT1_PNSt15iterator_traitsISY_E10value_typeET2_T3_PNSZ_IS14_E10value_typeET4_jRbjT5_S1A_jjP12ihipStream_tbEUljE_EEESV_SW_SX_S14_S18_S1A_T6_T7_T9_mT8_S1C_bDpT10_ENKUlT_T0_E_clISt17integral_constantIbLb0EES1O_IbLb1EEEEDaS1K_S1L_EUlS1K_E_NS1_11comp_targetILNS1_3genE3ELNS1_11target_archE908ELNS1_3gpuE7ELNS1_3repE0EEENS1_30default_config_static_selectorELNS0_4arch9wavefront6targetE0EEEvSY_, .Lfunc_end1527-_ZN7rocprim17ROCPRIM_400000_NS6detail17trampoline_kernelINS0_13select_configILj256ELj13ELNS0_17block_load_methodE3ELS4_3ELS4_3ELNS0_20block_scan_algorithmE0ELj4294967295EEENS1_25partition_config_selectorILNS1_17partition_subalgoE3EjNS0_10empty_typeEbEEZZNS1_14partition_implILS8_3ELb0ES6_jNS0_17counting_iteratorIjlEEPS9_SE_NS0_5tupleIJPjSE_EEENSF_IJSE_SE_EEES9_SG_JZNS1_25segmented_radix_sort_implINS0_14default_configELb1EPKbPbPKlPlN2at6native12_GLOBAL__N_18offset_tEEE10hipError_tPvRmT1_PNSt15iterator_traitsISY_E10value_typeET2_T3_PNSZ_IS14_E10value_typeET4_jRbjT5_S1A_jjP12ihipStream_tbEUljE_EEESV_SW_SX_S14_S18_S1A_T6_T7_T9_mT8_S1C_bDpT10_ENKUlT_T0_E_clISt17integral_constantIbLb0EES1O_IbLb1EEEEDaS1K_S1L_EUlS1K_E_NS1_11comp_targetILNS1_3genE3ELNS1_11target_archE908ELNS1_3gpuE7ELNS1_3repE0EEENS1_30default_config_static_selectorELNS0_4arch9wavefront6targetE0EEEvSY_
                                        ; -- End function
	.set _ZN7rocprim17ROCPRIM_400000_NS6detail17trampoline_kernelINS0_13select_configILj256ELj13ELNS0_17block_load_methodE3ELS4_3ELS4_3ELNS0_20block_scan_algorithmE0ELj4294967295EEENS1_25partition_config_selectorILNS1_17partition_subalgoE3EjNS0_10empty_typeEbEEZZNS1_14partition_implILS8_3ELb0ES6_jNS0_17counting_iteratorIjlEEPS9_SE_NS0_5tupleIJPjSE_EEENSF_IJSE_SE_EEES9_SG_JZNS1_25segmented_radix_sort_implINS0_14default_configELb1EPKbPbPKlPlN2at6native12_GLOBAL__N_18offset_tEEE10hipError_tPvRmT1_PNSt15iterator_traitsISY_E10value_typeET2_T3_PNSZ_IS14_E10value_typeET4_jRbjT5_S1A_jjP12ihipStream_tbEUljE_EEESV_SW_SX_S14_S18_S1A_T6_T7_T9_mT8_S1C_bDpT10_ENKUlT_T0_E_clISt17integral_constantIbLb0EES1O_IbLb1EEEEDaS1K_S1L_EUlS1K_E_NS1_11comp_targetILNS1_3genE3ELNS1_11target_archE908ELNS1_3gpuE7ELNS1_3repE0EEENS1_30default_config_static_selectorELNS0_4arch9wavefront6targetE0EEEvSY_.num_vgpr, 0
	.set _ZN7rocprim17ROCPRIM_400000_NS6detail17trampoline_kernelINS0_13select_configILj256ELj13ELNS0_17block_load_methodE3ELS4_3ELS4_3ELNS0_20block_scan_algorithmE0ELj4294967295EEENS1_25partition_config_selectorILNS1_17partition_subalgoE3EjNS0_10empty_typeEbEEZZNS1_14partition_implILS8_3ELb0ES6_jNS0_17counting_iteratorIjlEEPS9_SE_NS0_5tupleIJPjSE_EEENSF_IJSE_SE_EEES9_SG_JZNS1_25segmented_radix_sort_implINS0_14default_configELb1EPKbPbPKlPlN2at6native12_GLOBAL__N_18offset_tEEE10hipError_tPvRmT1_PNSt15iterator_traitsISY_E10value_typeET2_T3_PNSZ_IS14_E10value_typeET4_jRbjT5_S1A_jjP12ihipStream_tbEUljE_EEESV_SW_SX_S14_S18_S1A_T6_T7_T9_mT8_S1C_bDpT10_ENKUlT_T0_E_clISt17integral_constantIbLb0EES1O_IbLb1EEEEDaS1K_S1L_EUlS1K_E_NS1_11comp_targetILNS1_3genE3ELNS1_11target_archE908ELNS1_3gpuE7ELNS1_3repE0EEENS1_30default_config_static_selectorELNS0_4arch9wavefront6targetE0EEEvSY_.num_agpr, 0
	.set _ZN7rocprim17ROCPRIM_400000_NS6detail17trampoline_kernelINS0_13select_configILj256ELj13ELNS0_17block_load_methodE3ELS4_3ELS4_3ELNS0_20block_scan_algorithmE0ELj4294967295EEENS1_25partition_config_selectorILNS1_17partition_subalgoE3EjNS0_10empty_typeEbEEZZNS1_14partition_implILS8_3ELb0ES6_jNS0_17counting_iteratorIjlEEPS9_SE_NS0_5tupleIJPjSE_EEENSF_IJSE_SE_EEES9_SG_JZNS1_25segmented_radix_sort_implINS0_14default_configELb1EPKbPbPKlPlN2at6native12_GLOBAL__N_18offset_tEEE10hipError_tPvRmT1_PNSt15iterator_traitsISY_E10value_typeET2_T3_PNSZ_IS14_E10value_typeET4_jRbjT5_S1A_jjP12ihipStream_tbEUljE_EEESV_SW_SX_S14_S18_S1A_T6_T7_T9_mT8_S1C_bDpT10_ENKUlT_T0_E_clISt17integral_constantIbLb0EES1O_IbLb1EEEEDaS1K_S1L_EUlS1K_E_NS1_11comp_targetILNS1_3genE3ELNS1_11target_archE908ELNS1_3gpuE7ELNS1_3repE0EEENS1_30default_config_static_selectorELNS0_4arch9wavefront6targetE0EEEvSY_.numbered_sgpr, 0
	.set _ZN7rocprim17ROCPRIM_400000_NS6detail17trampoline_kernelINS0_13select_configILj256ELj13ELNS0_17block_load_methodE3ELS4_3ELS4_3ELNS0_20block_scan_algorithmE0ELj4294967295EEENS1_25partition_config_selectorILNS1_17partition_subalgoE3EjNS0_10empty_typeEbEEZZNS1_14partition_implILS8_3ELb0ES6_jNS0_17counting_iteratorIjlEEPS9_SE_NS0_5tupleIJPjSE_EEENSF_IJSE_SE_EEES9_SG_JZNS1_25segmented_radix_sort_implINS0_14default_configELb1EPKbPbPKlPlN2at6native12_GLOBAL__N_18offset_tEEE10hipError_tPvRmT1_PNSt15iterator_traitsISY_E10value_typeET2_T3_PNSZ_IS14_E10value_typeET4_jRbjT5_S1A_jjP12ihipStream_tbEUljE_EEESV_SW_SX_S14_S18_S1A_T6_T7_T9_mT8_S1C_bDpT10_ENKUlT_T0_E_clISt17integral_constantIbLb0EES1O_IbLb1EEEEDaS1K_S1L_EUlS1K_E_NS1_11comp_targetILNS1_3genE3ELNS1_11target_archE908ELNS1_3gpuE7ELNS1_3repE0EEENS1_30default_config_static_selectorELNS0_4arch9wavefront6targetE0EEEvSY_.num_named_barrier, 0
	.set _ZN7rocprim17ROCPRIM_400000_NS6detail17trampoline_kernelINS0_13select_configILj256ELj13ELNS0_17block_load_methodE3ELS4_3ELS4_3ELNS0_20block_scan_algorithmE0ELj4294967295EEENS1_25partition_config_selectorILNS1_17partition_subalgoE3EjNS0_10empty_typeEbEEZZNS1_14partition_implILS8_3ELb0ES6_jNS0_17counting_iteratorIjlEEPS9_SE_NS0_5tupleIJPjSE_EEENSF_IJSE_SE_EEES9_SG_JZNS1_25segmented_radix_sort_implINS0_14default_configELb1EPKbPbPKlPlN2at6native12_GLOBAL__N_18offset_tEEE10hipError_tPvRmT1_PNSt15iterator_traitsISY_E10value_typeET2_T3_PNSZ_IS14_E10value_typeET4_jRbjT5_S1A_jjP12ihipStream_tbEUljE_EEESV_SW_SX_S14_S18_S1A_T6_T7_T9_mT8_S1C_bDpT10_ENKUlT_T0_E_clISt17integral_constantIbLb0EES1O_IbLb1EEEEDaS1K_S1L_EUlS1K_E_NS1_11comp_targetILNS1_3genE3ELNS1_11target_archE908ELNS1_3gpuE7ELNS1_3repE0EEENS1_30default_config_static_selectorELNS0_4arch9wavefront6targetE0EEEvSY_.private_seg_size, 0
	.set _ZN7rocprim17ROCPRIM_400000_NS6detail17trampoline_kernelINS0_13select_configILj256ELj13ELNS0_17block_load_methodE3ELS4_3ELS4_3ELNS0_20block_scan_algorithmE0ELj4294967295EEENS1_25partition_config_selectorILNS1_17partition_subalgoE3EjNS0_10empty_typeEbEEZZNS1_14partition_implILS8_3ELb0ES6_jNS0_17counting_iteratorIjlEEPS9_SE_NS0_5tupleIJPjSE_EEENSF_IJSE_SE_EEES9_SG_JZNS1_25segmented_radix_sort_implINS0_14default_configELb1EPKbPbPKlPlN2at6native12_GLOBAL__N_18offset_tEEE10hipError_tPvRmT1_PNSt15iterator_traitsISY_E10value_typeET2_T3_PNSZ_IS14_E10value_typeET4_jRbjT5_S1A_jjP12ihipStream_tbEUljE_EEESV_SW_SX_S14_S18_S1A_T6_T7_T9_mT8_S1C_bDpT10_ENKUlT_T0_E_clISt17integral_constantIbLb0EES1O_IbLb1EEEEDaS1K_S1L_EUlS1K_E_NS1_11comp_targetILNS1_3genE3ELNS1_11target_archE908ELNS1_3gpuE7ELNS1_3repE0EEENS1_30default_config_static_selectorELNS0_4arch9wavefront6targetE0EEEvSY_.uses_vcc, 0
	.set _ZN7rocprim17ROCPRIM_400000_NS6detail17trampoline_kernelINS0_13select_configILj256ELj13ELNS0_17block_load_methodE3ELS4_3ELS4_3ELNS0_20block_scan_algorithmE0ELj4294967295EEENS1_25partition_config_selectorILNS1_17partition_subalgoE3EjNS0_10empty_typeEbEEZZNS1_14partition_implILS8_3ELb0ES6_jNS0_17counting_iteratorIjlEEPS9_SE_NS0_5tupleIJPjSE_EEENSF_IJSE_SE_EEES9_SG_JZNS1_25segmented_radix_sort_implINS0_14default_configELb1EPKbPbPKlPlN2at6native12_GLOBAL__N_18offset_tEEE10hipError_tPvRmT1_PNSt15iterator_traitsISY_E10value_typeET2_T3_PNSZ_IS14_E10value_typeET4_jRbjT5_S1A_jjP12ihipStream_tbEUljE_EEESV_SW_SX_S14_S18_S1A_T6_T7_T9_mT8_S1C_bDpT10_ENKUlT_T0_E_clISt17integral_constantIbLb0EES1O_IbLb1EEEEDaS1K_S1L_EUlS1K_E_NS1_11comp_targetILNS1_3genE3ELNS1_11target_archE908ELNS1_3gpuE7ELNS1_3repE0EEENS1_30default_config_static_selectorELNS0_4arch9wavefront6targetE0EEEvSY_.uses_flat_scratch, 0
	.set _ZN7rocprim17ROCPRIM_400000_NS6detail17trampoline_kernelINS0_13select_configILj256ELj13ELNS0_17block_load_methodE3ELS4_3ELS4_3ELNS0_20block_scan_algorithmE0ELj4294967295EEENS1_25partition_config_selectorILNS1_17partition_subalgoE3EjNS0_10empty_typeEbEEZZNS1_14partition_implILS8_3ELb0ES6_jNS0_17counting_iteratorIjlEEPS9_SE_NS0_5tupleIJPjSE_EEENSF_IJSE_SE_EEES9_SG_JZNS1_25segmented_radix_sort_implINS0_14default_configELb1EPKbPbPKlPlN2at6native12_GLOBAL__N_18offset_tEEE10hipError_tPvRmT1_PNSt15iterator_traitsISY_E10value_typeET2_T3_PNSZ_IS14_E10value_typeET4_jRbjT5_S1A_jjP12ihipStream_tbEUljE_EEESV_SW_SX_S14_S18_S1A_T6_T7_T9_mT8_S1C_bDpT10_ENKUlT_T0_E_clISt17integral_constantIbLb0EES1O_IbLb1EEEEDaS1K_S1L_EUlS1K_E_NS1_11comp_targetILNS1_3genE3ELNS1_11target_archE908ELNS1_3gpuE7ELNS1_3repE0EEENS1_30default_config_static_selectorELNS0_4arch9wavefront6targetE0EEEvSY_.has_dyn_sized_stack, 0
	.set _ZN7rocprim17ROCPRIM_400000_NS6detail17trampoline_kernelINS0_13select_configILj256ELj13ELNS0_17block_load_methodE3ELS4_3ELS4_3ELNS0_20block_scan_algorithmE0ELj4294967295EEENS1_25partition_config_selectorILNS1_17partition_subalgoE3EjNS0_10empty_typeEbEEZZNS1_14partition_implILS8_3ELb0ES6_jNS0_17counting_iteratorIjlEEPS9_SE_NS0_5tupleIJPjSE_EEENSF_IJSE_SE_EEES9_SG_JZNS1_25segmented_radix_sort_implINS0_14default_configELb1EPKbPbPKlPlN2at6native12_GLOBAL__N_18offset_tEEE10hipError_tPvRmT1_PNSt15iterator_traitsISY_E10value_typeET2_T3_PNSZ_IS14_E10value_typeET4_jRbjT5_S1A_jjP12ihipStream_tbEUljE_EEESV_SW_SX_S14_S18_S1A_T6_T7_T9_mT8_S1C_bDpT10_ENKUlT_T0_E_clISt17integral_constantIbLb0EES1O_IbLb1EEEEDaS1K_S1L_EUlS1K_E_NS1_11comp_targetILNS1_3genE3ELNS1_11target_archE908ELNS1_3gpuE7ELNS1_3repE0EEENS1_30default_config_static_selectorELNS0_4arch9wavefront6targetE0EEEvSY_.has_recursion, 0
	.set _ZN7rocprim17ROCPRIM_400000_NS6detail17trampoline_kernelINS0_13select_configILj256ELj13ELNS0_17block_load_methodE3ELS4_3ELS4_3ELNS0_20block_scan_algorithmE0ELj4294967295EEENS1_25partition_config_selectorILNS1_17partition_subalgoE3EjNS0_10empty_typeEbEEZZNS1_14partition_implILS8_3ELb0ES6_jNS0_17counting_iteratorIjlEEPS9_SE_NS0_5tupleIJPjSE_EEENSF_IJSE_SE_EEES9_SG_JZNS1_25segmented_radix_sort_implINS0_14default_configELb1EPKbPbPKlPlN2at6native12_GLOBAL__N_18offset_tEEE10hipError_tPvRmT1_PNSt15iterator_traitsISY_E10value_typeET2_T3_PNSZ_IS14_E10value_typeET4_jRbjT5_S1A_jjP12ihipStream_tbEUljE_EEESV_SW_SX_S14_S18_S1A_T6_T7_T9_mT8_S1C_bDpT10_ENKUlT_T0_E_clISt17integral_constantIbLb0EES1O_IbLb1EEEEDaS1K_S1L_EUlS1K_E_NS1_11comp_targetILNS1_3genE3ELNS1_11target_archE908ELNS1_3gpuE7ELNS1_3repE0EEENS1_30default_config_static_selectorELNS0_4arch9wavefront6targetE0EEEvSY_.has_indirect_call, 0
	.section	.AMDGPU.csdata,"",@progbits
; Kernel info:
; codeLenInByte = 0
; TotalNumSgprs: 0
; NumVgprs: 0
; ScratchSize: 0
; MemoryBound: 0
; FloatMode: 240
; IeeeMode: 1
; LDSByteSize: 0 bytes/workgroup (compile time only)
; SGPRBlocks: 0
; VGPRBlocks: 0
; NumSGPRsForWavesPerEU: 1
; NumVGPRsForWavesPerEU: 1
; Occupancy: 16
; WaveLimiterHint : 0
; COMPUTE_PGM_RSRC2:SCRATCH_EN: 0
; COMPUTE_PGM_RSRC2:USER_SGPR: 2
; COMPUTE_PGM_RSRC2:TRAP_HANDLER: 0
; COMPUTE_PGM_RSRC2:TGID_X_EN: 1
; COMPUTE_PGM_RSRC2:TGID_Y_EN: 0
; COMPUTE_PGM_RSRC2:TGID_Z_EN: 0
; COMPUTE_PGM_RSRC2:TIDIG_COMP_CNT: 0
	.section	.text._ZN7rocprim17ROCPRIM_400000_NS6detail17trampoline_kernelINS0_13select_configILj256ELj13ELNS0_17block_load_methodE3ELS4_3ELS4_3ELNS0_20block_scan_algorithmE0ELj4294967295EEENS1_25partition_config_selectorILNS1_17partition_subalgoE3EjNS0_10empty_typeEbEEZZNS1_14partition_implILS8_3ELb0ES6_jNS0_17counting_iteratorIjlEEPS9_SE_NS0_5tupleIJPjSE_EEENSF_IJSE_SE_EEES9_SG_JZNS1_25segmented_radix_sort_implINS0_14default_configELb1EPKbPbPKlPlN2at6native12_GLOBAL__N_18offset_tEEE10hipError_tPvRmT1_PNSt15iterator_traitsISY_E10value_typeET2_T3_PNSZ_IS14_E10value_typeET4_jRbjT5_S1A_jjP12ihipStream_tbEUljE_EEESV_SW_SX_S14_S18_S1A_T6_T7_T9_mT8_S1C_bDpT10_ENKUlT_T0_E_clISt17integral_constantIbLb0EES1O_IbLb1EEEEDaS1K_S1L_EUlS1K_E_NS1_11comp_targetILNS1_3genE2ELNS1_11target_archE906ELNS1_3gpuE6ELNS1_3repE0EEENS1_30default_config_static_selectorELNS0_4arch9wavefront6targetE0EEEvSY_,"axG",@progbits,_ZN7rocprim17ROCPRIM_400000_NS6detail17trampoline_kernelINS0_13select_configILj256ELj13ELNS0_17block_load_methodE3ELS4_3ELS4_3ELNS0_20block_scan_algorithmE0ELj4294967295EEENS1_25partition_config_selectorILNS1_17partition_subalgoE3EjNS0_10empty_typeEbEEZZNS1_14partition_implILS8_3ELb0ES6_jNS0_17counting_iteratorIjlEEPS9_SE_NS0_5tupleIJPjSE_EEENSF_IJSE_SE_EEES9_SG_JZNS1_25segmented_radix_sort_implINS0_14default_configELb1EPKbPbPKlPlN2at6native12_GLOBAL__N_18offset_tEEE10hipError_tPvRmT1_PNSt15iterator_traitsISY_E10value_typeET2_T3_PNSZ_IS14_E10value_typeET4_jRbjT5_S1A_jjP12ihipStream_tbEUljE_EEESV_SW_SX_S14_S18_S1A_T6_T7_T9_mT8_S1C_bDpT10_ENKUlT_T0_E_clISt17integral_constantIbLb0EES1O_IbLb1EEEEDaS1K_S1L_EUlS1K_E_NS1_11comp_targetILNS1_3genE2ELNS1_11target_archE906ELNS1_3gpuE6ELNS1_3repE0EEENS1_30default_config_static_selectorELNS0_4arch9wavefront6targetE0EEEvSY_,comdat
	.globl	_ZN7rocprim17ROCPRIM_400000_NS6detail17trampoline_kernelINS0_13select_configILj256ELj13ELNS0_17block_load_methodE3ELS4_3ELS4_3ELNS0_20block_scan_algorithmE0ELj4294967295EEENS1_25partition_config_selectorILNS1_17partition_subalgoE3EjNS0_10empty_typeEbEEZZNS1_14partition_implILS8_3ELb0ES6_jNS0_17counting_iteratorIjlEEPS9_SE_NS0_5tupleIJPjSE_EEENSF_IJSE_SE_EEES9_SG_JZNS1_25segmented_radix_sort_implINS0_14default_configELb1EPKbPbPKlPlN2at6native12_GLOBAL__N_18offset_tEEE10hipError_tPvRmT1_PNSt15iterator_traitsISY_E10value_typeET2_T3_PNSZ_IS14_E10value_typeET4_jRbjT5_S1A_jjP12ihipStream_tbEUljE_EEESV_SW_SX_S14_S18_S1A_T6_T7_T9_mT8_S1C_bDpT10_ENKUlT_T0_E_clISt17integral_constantIbLb0EES1O_IbLb1EEEEDaS1K_S1L_EUlS1K_E_NS1_11comp_targetILNS1_3genE2ELNS1_11target_archE906ELNS1_3gpuE6ELNS1_3repE0EEENS1_30default_config_static_selectorELNS0_4arch9wavefront6targetE0EEEvSY_ ; -- Begin function _ZN7rocprim17ROCPRIM_400000_NS6detail17trampoline_kernelINS0_13select_configILj256ELj13ELNS0_17block_load_methodE3ELS4_3ELS4_3ELNS0_20block_scan_algorithmE0ELj4294967295EEENS1_25partition_config_selectorILNS1_17partition_subalgoE3EjNS0_10empty_typeEbEEZZNS1_14partition_implILS8_3ELb0ES6_jNS0_17counting_iteratorIjlEEPS9_SE_NS0_5tupleIJPjSE_EEENSF_IJSE_SE_EEES9_SG_JZNS1_25segmented_radix_sort_implINS0_14default_configELb1EPKbPbPKlPlN2at6native12_GLOBAL__N_18offset_tEEE10hipError_tPvRmT1_PNSt15iterator_traitsISY_E10value_typeET2_T3_PNSZ_IS14_E10value_typeET4_jRbjT5_S1A_jjP12ihipStream_tbEUljE_EEESV_SW_SX_S14_S18_S1A_T6_T7_T9_mT8_S1C_bDpT10_ENKUlT_T0_E_clISt17integral_constantIbLb0EES1O_IbLb1EEEEDaS1K_S1L_EUlS1K_E_NS1_11comp_targetILNS1_3genE2ELNS1_11target_archE906ELNS1_3gpuE6ELNS1_3repE0EEENS1_30default_config_static_selectorELNS0_4arch9wavefront6targetE0EEEvSY_
	.p2align	8
	.type	_ZN7rocprim17ROCPRIM_400000_NS6detail17trampoline_kernelINS0_13select_configILj256ELj13ELNS0_17block_load_methodE3ELS4_3ELS4_3ELNS0_20block_scan_algorithmE0ELj4294967295EEENS1_25partition_config_selectorILNS1_17partition_subalgoE3EjNS0_10empty_typeEbEEZZNS1_14partition_implILS8_3ELb0ES6_jNS0_17counting_iteratorIjlEEPS9_SE_NS0_5tupleIJPjSE_EEENSF_IJSE_SE_EEES9_SG_JZNS1_25segmented_radix_sort_implINS0_14default_configELb1EPKbPbPKlPlN2at6native12_GLOBAL__N_18offset_tEEE10hipError_tPvRmT1_PNSt15iterator_traitsISY_E10value_typeET2_T3_PNSZ_IS14_E10value_typeET4_jRbjT5_S1A_jjP12ihipStream_tbEUljE_EEESV_SW_SX_S14_S18_S1A_T6_T7_T9_mT8_S1C_bDpT10_ENKUlT_T0_E_clISt17integral_constantIbLb0EES1O_IbLb1EEEEDaS1K_S1L_EUlS1K_E_NS1_11comp_targetILNS1_3genE2ELNS1_11target_archE906ELNS1_3gpuE6ELNS1_3repE0EEENS1_30default_config_static_selectorELNS0_4arch9wavefront6targetE0EEEvSY_,@function
_ZN7rocprim17ROCPRIM_400000_NS6detail17trampoline_kernelINS0_13select_configILj256ELj13ELNS0_17block_load_methodE3ELS4_3ELS4_3ELNS0_20block_scan_algorithmE0ELj4294967295EEENS1_25partition_config_selectorILNS1_17partition_subalgoE3EjNS0_10empty_typeEbEEZZNS1_14partition_implILS8_3ELb0ES6_jNS0_17counting_iteratorIjlEEPS9_SE_NS0_5tupleIJPjSE_EEENSF_IJSE_SE_EEES9_SG_JZNS1_25segmented_radix_sort_implINS0_14default_configELb1EPKbPbPKlPlN2at6native12_GLOBAL__N_18offset_tEEE10hipError_tPvRmT1_PNSt15iterator_traitsISY_E10value_typeET2_T3_PNSZ_IS14_E10value_typeET4_jRbjT5_S1A_jjP12ihipStream_tbEUljE_EEESV_SW_SX_S14_S18_S1A_T6_T7_T9_mT8_S1C_bDpT10_ENKUlT_T0_E_clISt17integral_constantIbLb0EES1O_IbLb1EEEEDaS1K_S1L_EUlS1K_E_NS1_11comp_targetILNS1_3genE2ELNS1_11target_archE906ELNS1_3gpuE6ELNS1_3repE0EEENS1_30default_config_static_selectorELNS0_4arch9wavefront6targetE0EEEvSY_: ; @_ZN7rocprim17ROCPRIM_400000_NS6detail17trampoline_kernelINS0_13select_configILj256ELj13ELNS0_17block_load_methodE3ELS4_3ELS4_3ELNS0_20block_scan_algorithmE0ELj4294967295EEENS1_25partition_config_selectorILNS1_17partition_subalgoE3EjNS0_10empty_typeEbEEZZNS1_14partition_implILS8_3ELb0ES6_jNS0_17counting_iteratorIjlEEPS9_SE_NS0_5tupleIJPjSE_EEENSF_IJSE_SE_EEES9_SG_JZNS1_25segmented_radix_sort_implINS0_14default_configELb1EPKbPbPKlPlN2at6native12_GLOBAL__N_18offset_tEEE10hipError_tPvRmT1_PNSt15iterator_traitsISY_E10value_typeET2_T3_PNSZ_IS14_E10value_typeET4_jRbjT5_S1A_jjP12ihipStream_tbEUljE_EEESV_SW_SX_S14_S18_S1A_T6_T7_T9_mT8_S1C_bDpT10_ENKUlT_T0_E_clISt17integral_constantIbLb0EES1O_IbLb1EEEEDaS1K_S1L_EUlS1K_E_NS1_11comp_targetILNS1_3genE2ELNS1_11target_archE906ELNS1_3gpuE6ELNS1_3repE0EEENS1_30default_config_static_selectorELNS0_4arch9wavefront6targetE0EEEvSY_
; %bb.0:
	.section	.rodata,"a",@progbits
	.p2align	6, 0x0
	.amdhsa_kernel _ZN7rocprim17ROCPRIM_400000_NS6detail17trampoline_kernelINS0_13select_configILj256ELj13ELNS0_17block_load_methodE3ELS4_3ELS4_3ELNS0_20block_scan_algorithmE0ELj4294967295EEENS1_25partition_config_selectorILNS1_17partition_subalgoE3EjNS0_10empty_typeEbEEZZNS1_14partition_implILS8_3ELb0ES6_jNS0_17counting_iteratorIjlEEPS9_SE_NS0_5tupleIJPjSE_EEENSF_IJSE_SE_EEES9_SG_JZNS1_25segmented_radix_sort_implINS0_14default_configELb1EPKbPbPKlPlN2at6native12_GLOBAL__N_18offset_tEEE10hipError_tPvRmT1_PNSt15iterator_traitsISY_E10value_typeET2_T3_PNSZ_IS14_E10value_typeET4_jRbjT5_S1A_jjP12ihipStream_tbEUljE_EEESV_SW_SX_S14_S18_S1A_T6_T7_T9_mT8_S1C_bDpT10_ENKUlT_T0_E_clISt17integral_constantIbLb0EES1O_IbLb1EEEEDaS1K_S1L_EUlS1K_E_NS1_11comp_targetILNS1_3genE2ELNS1_11target_archE906ELNS1_3gpuE6ELNS1_3repE0EEENS1_30default_config_static_selectorELNS0_4arch9wavefront6targetE0EEEvSY_
		.amdhsa_group_segment_fixed_size 0
		.amdhsa_private_segment_fixed_size 0
		.amdhsa_kernarg_size 152
		.amdhsa_user_sgpr_count 2
		.amdhsa_user_sgpr_dispatch_ptr 0
		.amdhsa_user_sgpr_queue_ptr 0
		.amdhsa_user_sgpr_kernarg_segment_ptr 1
		.amdhsa_user_sgpr_dispatch_id 0
		.amdhsa_user_sgpr_private_segment_size 0
		.amdhsa_wavefront_size32 1
		.amdhsa_uses_dynamic_stack 0
		.amdhsa_enable_private_segment 0
		.amdhsa_system_sgpr_workgroup_id_x 1
		.amdhsa_system_sgpr_workgroup_id_y 0
		.amdhsa_system_sgpr_workgroup_id_z 0
		.amdhsa_system_sgpr_workgroup_info 0
		.amdhsa_system_vgpr_workitem_id 0
		.amdhsa_next_free_vgpr 1
		.amdhsa_next_free_sgpr 1
		.amdhsa_reserve_vcc 0
		.amdhsa_float_round_mode_32 0
		.amdhsa_float_round_mode_16_64 0
		.amdhsa_float_denorm_mode_32 3
		.amdhsa_float_denorm_mode_16_64 3
		.amdhsa_fp16_overflow 0
		.amdhsa_workgroup_processor_mode 1
		.amdhsa_memory_ordered 1
		.amdhsa_forward_progress 1
		.amdhsa_inst_pref_size 0
		.amdhsa_round_robin_scheduling 0
		.amdhsa_exception_fp_ieee_invalid_op 0
		.amdhsa_exception_fp_denorm_src 0
		.amdhsa_exception_fp_ieee_div_zero 0
		.amdhsa_exception_fp_ieee_overflow 0
		.amdhsa_exception_fp_ieee_underflow 0
		.amdhsa_exception_fp_ieee_inexact 0
		.amdhsa_exception_int_div_zero 0
	.end_amdhsa_kernel
	.section	.text._ZN7rocprim17ROCPRIM_400000_NS6detail17trampoline_kernelINS0_13select_configILj256ELj13ELNS0_17block_load_methodE3ELS4_3ELS4_3ELNS0_20block_scan_algorithmE0ELj4294967295EEENS1_25partition_config_selectorILNS1_17partition_subalgoE3EjNS0_10empty_typeEbEEZZNS1_14partition_implILS8_3ELb0ES6_jNS0_17counting_iteratorIjlEEPS9_SE_NS0_5tupleIJPjSE_EEENSF_IJSE_SE_EEES9_SG_JZNS1_25segmented_radix_sort_implINS0_14default_configELb1EPKbPbPKlPlN2at6native12_GLOBAL__N_18offset_tEEE10hipError_tPvRmT1_PNSt15iterator_traitsISY_E10value_typeET2_T3_PNSZ_IS14_E10value_typeET4_jRbjT5_S1A_jjP12ihipStream_tbEUljE_EEESV_SW_SX_S14_S18_S1A_T6_T7_T9_mT8_S1C_bDpT10_ENKUlT_T0_E_clISt17integral_constantIbLb0EES1O_IbLb1EEEEDaS1K_S1L_EUlS1K_E_NS1_11comp_targetILNS1_3genE2ELNS1_11target_archE906ELNS1_3gpuE6ELNS1_3repE0EEENS1_30default_config_static_selectorELNS0_4arch9wavefront6targetE0EEEvSY_,"axG",@progbits,_ZN7rocprim17ROCPRIM_400000_NS6detail17trampoline_kernelINS0_13select_configILj256ELj13ELNS0_17block_load_methodE3ELS4_3ELS4_3ELNS0_20block_scan_algorithmE0ELj4294967295EEENS1_25partition_config_selectorILNS1_17partition_subalgoE3EjNS0_10empty_typeEbEEZZNS1_14partition_implILS8_3ELb0ES6_jNS0_17counting_iteratorIjlEEPS9_SE_NS0_5tupleIJPjSE_EEENSF_IJSE_SE_EEES9_SG_JZNS1_25segmented_radix_sort_implINS0_14default_configELb1EPKbPbPKlPlN2at6native12_GLOBAL__N_18offset_tEEE10hipError_tPvRmT1_PNSt15iterator_traitsISY_E10value_typeET2_T3_PNSZ_IS14_E10value_typeET4_jRbjT5_S1A_jjP12ihipStream_tbEUljE_EEESV_SW_SX_S14_S18_S1A_T6_T7_T9_mT8_S1C_bDpT10_ENKUlT_T0_E_clISt17integral_constantIbLb0EES1O_IbLb1EEEEDaS1K_S1L_EUlS1K_E_NS1_11comp_targetILNS1_3genE2ELNS1_11target_archE906ELNS1_3gpuE6ELNS1_3repE0EEENS1_30default_config_static_selectorELNS0_4arch9wavefront6targetE0EEEvSY_,comdat
.Lfunc_end1528:
	.size	_ZN7rocprim17ROCPRIM_400000_NS6detail17trampoline_kernelINS0_13select_configILj256ELj13ELNS0_17block_load_methodE3ELS4_3ELS4_3ELNS0_20block_scan_algorithmE0ELj4294967295EEENS1_25partition_config_selectorILNS1_17partition_subalgoE3EjNS0_10empty_typeEbEEZZNS1_14partition_implILS8_3ELb0ES6_jNS0_17counting_iteratorIjlEEPS9_SE_NS0_5tupleIJPjSE_EEENSF_IJSE_SE_EEES9_SG_JZNS1_25segmented_radix_sort_implINS0_14default_configELb1EPKbPbPKlPlN2at6native12_GLOBAL__N_18offset_tEEE10hipError_tPvRmT1_PNSt15iterator_traitsISY_E10value_typeET2_T3_PNSZ_IS14_E10value_typeET4_jRbjT5_S1A_jjP12ihipStream_tbEUljE_EEESV_SW_SX_S14_S18_S1A_T6_T7_T9_mT8_S1C_bDpT10_ENKUlT_T0_E_clISt17integral_constantIbLb0EES1O_IbLb1EEEEDaS1K_S1L_EUlS1K_E_NS1_11comp_targetILNS1_3genE2ELNS1_11target_archE906ELNS1_3gpuE6ELNS1_3repE0EEENS1_30default_config_static_selectorELNS0_4arch9wavefront6targetE0EEEvSY_, .Lfunc_end1528-_ZN7rocprim17ROCPRIM_400000_NS6detail17trampoline_kernelINS0_13select_configILj256ELj13ELNS0_17block_load_methodE3ELS4_3ELS4_3ELNS0_20block_scan_algorithmE0ELj4294967295EEENS1_25partition_config_selectorILNS1_17partition_subalgoE3EjNS0_10empty_typeEbEEZZNS1_14partition_implILS8_3ELb0ES6_jNS0_17counting_iteratorIjlEEPS9_SE_NS0_5tupleIJPjSE_EEENSF_IJSE_SE_EEES9_SG_JZNS1_25segmented_radix_sort_implINS0_14default_configELb1EPKbPbPKlPlN2at6native12_GLOBAL__N_18offset_tEEE10hipError_tPvRmT1_PNSt15iterator_traitsISY_E10value_typeET2_T3_PNSZ_IS14_E10value_typeET4_jRbjT5_S1A_jjP12ihipStream_tbEUljE_EEESV_SW_SX_S14_S18_S1A_T6_T7_T9_mT8_S1C_bDpT10_ENKUlT_T0_E_clISt17integral_constantIbLb0EES1O_IbLb1EEEEDaS1K_S1L_EUlS1K_E_NS1_11comp_targetILNS1_3genE2ELNS1_11target_archE906ELNS1_3gpuE6ELNS1_3repE0EEENS1_30default_config_static_selectorELNS0_4arch9wavefront6targetE0EEEvSY_
                                        ; -- End function
	.set _ZN7rocprim17ROCPRIM_400000_NS6detail17trampoline_kernelINS0_13select_configILj256ELj13ELNS0_17block_load_methodE3ELS4_3ELS4_3ELNS0_20block_scan_algorithmE0ELj4294967295EEENS1_25partition_config_selectorILNS1_17partition_subalgoE3EjNS0_10empty_typeEbEEZZNS1_14partition_implILS8_3ELb0ES6_jNS0_17counting_iteratorIjlEEPS9_SE_NS0_5tupleIJPjSE_EEENSF_IJSE_SE_EEES9_SG_JZNS1_25segmented_radix_sort_implINS0_14default_configELb1EPKbPbPKlPlN2at6native12_GLOBAL__N_18offset_tEEE10hipError_tPvRmT1_PNSt15iterator_traitsISY_E10value_typeET2_T3_PNSZ_IS14_E10value_typeET4_jRbjT5_S1A_jjP12ihipStream_tbEUljE_EEESV_SW_SX_S14_S18_S1A_T6_T7_T9_mT8_S1C_bDpT10_ENKUlT_T0_E_clISt17integral_constantIbLb0EES1O_IbLb1EEEEDaS1K_S1L_EUlS1K_E_NS1_11comp_targetILNS1_3genE2ELNS1_11target_archE906ELNS1_3gpuE6ELNS1_3repE0EEENS1_30default_config_static_selectorELNS0_4arch9wavefront6targetE0EEEvSY_.num_vgpr, 0
	.set _ZN7rocprim17ROCPRIM_400000_NS6detail17trampoline_kernelINS0_13select_configILj256ELj13ELNS0_17block_load_methodE3ELS4_3ELS4_3ELNS0_20block_scan_algorithmE0ELj4294967295EEENS1_25partition_config_selectorILNS1_17partition_subalgoE3EjNS0_10empty_typeEbEEZZNS1_14partition_implILS8_3ELb0ES6_jNS0_17counting_iteratorIjlEEPS9_SE_NS0_5tupleIJPjSE_EEENSF_IJSE_SE_EEES9_SG_JZNS1_25segmented_radix_sort_implINS0_14default_configELb1EPKbPbPKlPlN2at6native12_GLOBAL__N_18offset_tEEE10hipError_tPvRmT1_PNSt15iterator_traitsISY_E10value_typeET2_T3_PNSZ_IS14_E10value_typeET4_jRbjT5_S1A_jjP12ihipStream_tbEUljE_EEESV_SW_SX_S14_S18_S1A_T6_T7_T9_mT8_S1C_bDpT10_ENKUlT_T0_E_clISt17integral_constantIbLb0EES1O_IbLb1EEEEDaS1K_S1L_EUlS1K_E_NS1_11comp_targetILNS1_3genE2ELNS1_11target_archE906ELNS1_3gpuE6ELNS1_3repE0EEENS1_30default_config_static_selectorELNS0_4arch9wavefront6targetE0EEEvSY_.num_agpr, 0
	.set _ZN7rocprim17ROCPRIM_400000_NS6detail17trampoline_kernelINS0_13select_configILj256ELj13ELNS0_17block_load_methodE3ELS4_3ELS4_3ELNS0_20block_scan_algorithmE0ELj4294967295EEENS1_25partition_config_selectorILNS1_17partition_subalgoE3EjNS0_10empty_typeEbEEZZNS1_14partition_implILS8_3ELb0ES6_jNS0_17counting_iteratorIjlEEPS9_SE_NS0_5tupleIJPjSE_EEENSF_IJSE_SE_EEES9_SG_JZNS1_25segmented_radix_sort_implINS0_14default_configELb1EPKbPbPKlPlN2at6native12_GLOBAL__N_18offset_tEEE10hipError_tPvRmT1_PNSt15iterator_traitsISY_E10value_typeET2_T3_PNSZ_IS14_E10value_typeET4_jRbjT5_S1A_jjP12ihipStream_tbEUljE_EEESV_SW_SX_S14_S18_S1A_T6_T7_T9_mT8_S1C_bDpT10_ENKUlT_T0_E_clISt17integral_constantIbLb0EES1O_IbLb1EEEEDaS1K_S1L_EUlS1K_E_NS1_11comp_targetILNS1_3genE2ELNS1_11target_archE906ELNS1_3gpuE6ELNS1_3repE0EEENS1_30default_config_static_selectorELNS0_4arch9wavefront6targetE0EEEvSY_.numbered_sgpr, 0
	.set _ZN7rocprim17ROCPRIM_400000_NS6detail17trampoline_kernelINS0_13select_configILj256ELj13ELNS0_17block_load_methodE3ELS4_3ELS4_3ELNS0_20block_scan_algorithmE0ELj4294967295EEENS1_25partition_config_selectorILNS1_17partition_subalgoE3EjNS0_10empty_typeEbEEZZNS1_14partition_implILS8_3ELb0ES6_jNS0_17counting_iteratorIjlEEPS9_SE_NS0_5tupleIJPjSE_EEENSF_IJSE_SE_EEES9_SG_JZNS1_25segmented_radix_sort_implINS0_14default_configELb1EPKbPbPKlPlN2at6native12_GLOBAL__N_18offset_tEEE10hipError_tPvRmT1_PNSt15iterator_traitsISY_E10value_typeET2_T3_PNSZ_IS14_E10value_typeET4_jRbjT5_S1A_jjP12ihipStream_tbEUljE_EEESV_SW_SX_S14_S18_S1A_T6_T7_T9_mT8_S1C_bDpT10_ENKUlT_T0_E_clISt17integral_constantIbLb0EES1O_IbLb1EEEEDaS1K_S1L_EUlS1K_E_NS1_11comp_targetILNS1_3genE2ELNS1_11target_archE906ELNS1_3gpuE6ELNS1_3repE0EEENS1_30default_config_static_selectorELNS0_4arch9wavefront6targetE0EEEvSY_.num_named_barrier, 0
	.set _ZN7rocprim17ROCPRIM_400000_NS6detail17trampoline_kernelINS0_13select_configILj256ELj13ELNS0_17block_load_methodE3ELS4_3ELS4_3ELNS0_20block_scan_algorithmE0ELj4294967295EEENS1_25partition_config_selectorILNS1_17partition_subalgoE3EjNS0_10empty_typeEbEEZZNS1_14partition_implILS8_3ELb0ES6_jNS0_17counting_iteratorIjlEEPS9_SE_NS0_5tupleIJPjSE_EEENSF_IJSE_SE_EEES9_SG_JZNS1_25segmented_radix_sort_implINS0_14default_configELb1EPKbPbPKlPlN2at6native12_GLOBAL__N_18offset_tEEE10hipError_tPvRmT1_PNSt15iterator_traitsISY_E10value_typeET2_T3_PNSZ_IS14_E10value_typeET4_jRbjT5_S1A_jjP12ihipStream_tbEUljE_EEESV_SW_SX_S14_S18_S1A_T6_T7_T9_mT8_S1C_bDpT10_ENKUlT_T0_E_clISt17integral_constantIbLb0EES1O_IbLb1EEEEDaS1K_S1L_EUlS1K_E_NS1_11comp_targetILNS1_3genE2ELNS1_11target_archE906ELNS1_3gpuE6ELNS1_3repE0EEENS1_30default_config_static_selectorELNS0_4arch9wavefront6targetE0EEEvSY_.private_seg_size, 0
	.set _ZN7rocprim17ROCPRIM_400000_NS6detail17trampoline_kernelINS0_13select_configILj256ELj13ELNS0_17block_load_methodE3ELS4_3ELS4_3ELNS0_20block_scan_algorithmE0ELj4294967295EEENS1_25partition_config_selectorILNS1_17partition_subalgoE3EjNS0_10empty_typeEbEEZZNS1_14partition_implILS8_3ELb0ES6_jNS0_17counting_iteratorIjlEEPS9_SE_NS0_5tupleIJPjSE_EEENSF_IJSE_SE_EEES9_SG_JZNS1_25segmented_radix_sort_implINS0_14default_configELb1EPKbPbPKlPlN2at6native12_GLOBAL__N_18offset_tEEE10hipError_tPvRmT1_PNSt15iterator_traitsISY_E10value_typeET2_T3_PNSZ_IS14_E10value_typeET4_jRbjT5_S1A_jjP12ihipStream_tbEUljE_EEESV_SW_SX_S14_S18_S1A_T6_T7_T9_mT8_S1C_bDpT10_ENKUlT_T0_E_clISt17integral_constantIbLb0EES1O_IbLb1EEEEDaS1K_S1L_EUlS1K_E_NS1_11comp_targetILNS1_3genE2ELNS1_11target_archE906ELNS1_3gpuE6ELNS1_3repE0EEENS1_30default_config_static_selectorELNS0_4arch9wavefront6targetE0EEEvSY_.uses_vcc, 0
	.set _ZN7rocprim17ROCPRIM_400000_NS6detail17trampoline_kernelINS0_13select_configILj256ELj13ELNS0_17block_load_methodE3ELS4_3ELS4_3ELNS0_20block_scan_algorithmE0ELj4294967295EEENS1_25partition_config_selectorILNS1_17partition_subalgoE3EjNS0_10empty_typeEbEEZZNS1_14partition_implILS8_3ELb0ES6_jNS0_17counting_iteratorIjlEEPS9_SE_NS0_5tupleIJPjSE_EEENSF_IJSE_SE_EEES9_SG_JZNS1_25segmented_radix_sort_implINS0_14default_configELb1EPKbPbPKlPlN2at6native12_GLOBAL__N_18offset_tEEE10hipError_tPvRmT1_PNSt15iterator_traitsISY_E10value_typeET2_T3_PNSZ_IS14_E10value_typeET4_jRbjT5_S1A_jjP12ihipStream_tbEUljE_EEESV_SW_SX_S14_S18_S1A_T6_T7_T9_mT8_S1C_bDpT10_ENKUlT_T0_E_clISt17integral_constantIbLb0EES1O_IbLb1EEEEDaS1K_S1L_EUlS1K_E_NS1_11comp_targetILNS1_3genE2ELNS1_11target_archE906ELNS1_3gpuE6ELNS1_3repE0EEENS1_30default_config_static_selectorELNS0_4arch9wavefront6targetE0EEEvSY_.uses_flat_scratch, 0
	.set _ZN7rocprim17ROCPRIM_400000_NS6detail17trampoline_kernelINS0_13select_configILj256ELj13ELNS0_17block_load_methodE3ELS4_3ELS4_3ELNS0_20block_scan_algorithmE0ELj4294967295EEENS1_25partition_config_selectorILNS1_17partition_subalgoE3EjNS0_10empty_typeEbEEZZNS1_14partition_implILS8_3ELb0ES6_jNS0_17counting_iteratorIjlEEPS9_SE_NS0_5tupleIJPjSE_EEENSF_IJSE_SE_EEES9_SG_JZNS1_25segmented_radix_sort_implINS0_14default_configELb1EPKbPbPKlPlN2at6native12_GLOBAL__N_18offset_tEEE10hipError_tPvRmT1_PNSt15iterator_traitsISY_E10value_typeET2_T3_PNSZ_IS14_E10value_typeET4_jRbjT5_S1A_jjP12ihipStream_tbEUljE_EEESV_SW_SX_S14_S18_S1A_T6_T7_T9_mT8_S1C_bDpT10_ENKUlT_T0_E_clISt17integral_constantIbLb0EES1O_IbLb1EEEEDaS1K_S1L_EUlS1K_E_NS1_11comp_targetILNS1_3genE2ELNS1_11target_archE906ELNS1_3gpuE6ELNS1_3repE0EEENS1_30default_config_static_selectorELNS0_4arch9wavefront6targetE0EEEvSY_.has_dyn_sized_stack, 0
	.set _ZN7rocprim17ROCPRIM_400000_NS6detail17trampoline_kernelINS0_13select_configILj256ELj13ELNS0_17block_load_methodE3ELS4_3ELS4_3ELNS0_20block_scan_algorithmE0ELj4294967295EEENS1_25partition_config_selectorILNS1_17partition_subalgoE3EjNS0_10empty_typeEbEEZZNS1_14partition_implILS8_3ELb0ES6_jNS0_17counting_iteratorIjlEEPS9_SE_NS0_5tupleIJPjSE_EEENSF_IJSE_SE_EEES9_SG_JZNS1_25segmented_radix_sort_implINS0_14default_configELb1EPKbPbPKlPlN2at6native12_GLOBAL__N_18offset_tEEE10hipError_tPvRmT1_PNSt15iterator_traitsISY_E10value_typeET2_T3_PNSZ_IS14_E10value_typeET4_jRbjT5_S1A_jjP12ihipStream_tbEUljE_EEESV_SW_SX_S14_S18_S1A_T6_T7_T9_mT8_S1C_bDpT10_ENKUlT_T0_E_clISt17integral_constantIbLb0EES1O_IbLb1EEEEDaS1K_S1L_EUlS1K_E_NS1_11comp_targetILNS1_3genE2ELNS1_11target_archE906ELNS1_3gpuE6ELNS1_3repE0EEENS1_30default_config_static_selectorELNS0_4arch9wavefront6targetE0EEEvSY_.has_recursion, 0
	.set _ZN7rocprim17ROCPRIM_400000_NS6detail17trampoline_kernelINS0_13select_configILj256ELj13ELNS0_17block_load_methodE3ELS4_3ELS4_3ELNS0_20block_scan_algorithmE0ELj4294967295EEENS1_25partition_config_selectorILNS1_17partition_subalgoE3EjNS0_10empty_typeEbEEZZNS1_14partition_implILS8_3ELb0ES6_jNS0_17counting_iteratorIjlEEPS9_SE_NS0_5tupleIJPjSE_EEENSF_IJSE_SE_EEES9_SG_JZNS1_25segmented_radix_sort_implINS0_14default_configELb1EPKbPbPKlPlN2at6native12_GLOBAL__N_18offset_tEEE10hipError_tPvRmT1_PNSt15iterator_traitsISY_E10value_typeET2_T3_PNSZ_IS14_E10value_typeET4_jRbjT5_S1A_jjP12ihipStream_tbEUljE_EEESV_SW_SX_S14_S18_S1A_T6_T7_T9_mT8_S1C_bDpT10_ENKUlT_T0_E_clISt17integral_constantIbLb0EES1O_IbLb1EEEEDaS1K_S1L_EUlS1K_E_NS1_11comp_targetILNS1_3genE2ELNS1_11target_archE906ELNS1_3gpuE6ELNS1_3repE0EEENS1_30default_config_static_selectorELNS0_4arch9wavefront6targetE0EEEvSY_.has_indirect_call, 0
	.section	.AMDGPU.csdata,"",@progbits
; Kernel info:
; codeLenInByte = 0
; TotalNumSgprs: 0
; NumVgprs: 0
; ScratchSize: 0
; MemoryBound: 0
; FloatMode: 240
; IeeeMode: 1
; LDSByteSize: 0 bytes/workgroup (compile time only)
; SGPRBlocks: 0
; VGPRBlocks: 0
; NumSGPRsForWavesPerEU: 1
; NumVGPRsForWavesPerEU: 1
; Occupancy: 16
; WaveLimiterHint : 0
; COMPUTE_PGM_RSRC2:SCRATCH_EN: 0
; COMPUTE_PGM_RSRC2:USER_SGPR: 2
; COMPUTE_PGM_RSRC2:TRAP_HANDLER: 0
; COMPUTE_PGM_RSRC2:TGID_X_EN: 1
; COMPUTE_PGM_RSRC2:TGID_Y_EN: 0
; COMPUTE_PGM_RSRC2:TGID_Z_EN: 0
; COMPUTE_PGM_RSRC2:TIDIG_COMP_CNT: 0
	.section	.text._ZN7rocprim17ROCPRIM_400000_NS6detail17trampoline_kernelINS0_13select_configILj256ELj13ELNS0_17block_load_methodE3ELS4_3ELS4_3ELNS0_20block_scan_algorithmE0ELj4294967295EEENS1_25partition_config_selectorILNS1_17partition_subalgoE3EjNS0_10empty_typeEbEEZZNS1_14partition_implILS8_3ELb0ES6_jNS0_17counting_iteratorIjlEEPS9_SE_NS0_5tupleIJPjSE_EEENSF_IJSE_SE_EEES9_SG_JZNS1_25segmented_radix_sort_implINS0_14default_configELb1EPKbPbPKlPlN2at6native12_GLOBAL__N_18offset_tEEE10hipError_tPvRmT1_PNSt15iterator_traitsISY_E10value_typeET2_T3_PNSZ_IS14_E10value_typeET4_jRbjT5_S1A_jjP12ihipStream_tbEUljE_EEESV_SW_SX_S14_S18_S1A_T6_T7_T9_mT8_S1C_bDpT10_ENKUlT_T0_E_clISt17integral_constantIbLb0EES1O_IbLb1EEEEDaS1K_S1L_EUlS1K_E_NS1_11comp_targetILNS1_3genE10ELNS1_11target_archE1200ELNS1_3gpuE4ELNS1_3repE0EEENS1_30default_config_static_selectorELNS0_4arch9wavefront6targetE0EEEvSY_,"axG",@progbits,_ZN7rocprim17ROCPRIM_400000_NS6detail17trampoline_kernelINS0_13select_configILj256ELj13ELNS0_17block_load_methodE3ELS4_3ELS4_3ELNS0_20block_scan_algorithmE0ELj4294967295EEENS1_25partition_config_selectorILNS1_17partition_subalgoE3EjNS0_10empty_typeEbEEZZNS1_14partition_implILS8_3ELb0ES6_jNS0_17counting_iteratorIjlEEPS9_SE_NS0_5tupleIJPjSE_EEENSF_IJSE_SE_EEES9_SG_JZNS1_25segmented_radix_sort_implINS0_14default_configELb1EPKbPbPKlPlN2at6native12_GLOBAL__N_18offset_tEEE10hipError_tPvRmT1_PNSt15iterator_traitsISY_E10value_typeET2_T3_PNSZ_IS14_E10value_typeET4_jRbjT5_S1A_jjP12ihipStream_tbEUljE_EEESV_SW_SX_S14_S18_S1A_T6_T7_T9_mT8_S1C_bDpT10_ENKUlT_T0_E_clISt17integral_constantIbLb0EES1O_IbLb1EEEEDaS1K_S1L_EUlS1K_E_NS1_11comp_targetILNS1_3genE10ELNS1_11target_archE1200ELNS1_3gpuE4ELNS1_3repE0EEENS1_30default_config_static_selectorELNS0_4arch9wavefront6targetE0EEEvSY_,comdat
	.globl	_ZN7rocprim17ROCPRIM_400000_NS6detail17trampoline_kernelINS0_13select_configILj256ELj13ELNS0_17block_load_methodE3ELS4_3ELS4_3ELNS0_20block_scan_algorithmE0ELj4294967295EEENS1_25partition_config_selectorILNS1_17partition_subalgoE3EjNS0_10empty_typeEbEEZZNS1_14partition_implILS8_3ELb0ES6_jNS0_17counting_iteratorIjlEEPS9_SE_NS0_5tupleIJPjSE_EEENSF_IJSE_SE_EEES9_SG_JZNS1_25segmented_radix_sort_implINS0_14default_configELb1EPKbPbPKlPlN2at6native12_GLOBAL__N_18offset_tEEE10hipError_tPvRmT1_PNSt15iterator_traitsISY_E10value_typeET2_T3_PNSZ_IS14_E10value_typeET4_jRbjT5_S1A_jjP12ihipStream_tbEUljE_EEESV_SW_SX_S14_S18_S1A_T6_T7_T9_mT8_S1C_bDpT10_ENKUlT_T0_E_clISt17integral_constantIbLb0EES1O_IbLb1EEEEDaS1K_S1L_EUlS1K_E_NS1_11comp_targetILNS1_3genE10ELNS1_11target_archE1200ELNS1_3gpuE4ELNS1_3repE0EEENS1_30default_config_static_selectorELNS0_4arch9wavefront6targetE0EEEvSY_ ; -- Begin function _ZN7rocprim17ROCPRIM_400000_NS6detail17trampoline_kernelINS0_13select_configILj256ELj13ELNS0_17block_load_methodE3ELS4_3ELS4_3ELNS0_20block_scan_algorithmE0ELj4294967295EEENS1_25partition_config_selectorILNS1_17partition_subalgoE3EjNS0_10empty_typeEbEEZZNS1_14partition_implILS8_3ELb0ES6_jNS0_17counting_iteratorIjlEEPS9_SE_NS0_5tupleIJPjSE_EEENSF_IJSE_SE_EEES9_SG_JZNS1_25segmented_radix_sort_implINS0_14default_configELb1EPKbPbPKlPlN2at6native12_GLOBAL__N_18offset_tEEE10hipError_tPvRmT1_PNSt15iterator_traitsISY_E10value_typeET2_T3_PNSZ_IS14_E10value_typeET4_jRbjT5_S1A_jjP12ihipStream_tbEUljE_EEESV_SW_SX_S14_S18_S1A_T6_T7_T9_mT8_S1C_bDpT10_ENKUlT_T0_E_clISt17integral_constantIbLb0EES1O_IbLb1EEEEDaS1K_S1L_EUlS1K_E_NS1_11comp_targetILNS1_3genE10ELNS1_11target_archE1200ELNS1_3gpuE4ELNS1_3repE0EEENS1_30default_config_static_selectorELNS0_4arch9wavefront6targetE0EEEvSY_
	.p2align	8
	.type	_ZN7rocprim17ROCPRIM_400000_NS6detail17trampoline_kernelINS0_13select_configILj256ELj13ELNS0_17block_load_methodE3ELS4_3ELS4_3ELNS0_20block_scan_algorithmE0ELj4294967295EEENS1_25partition_config_selectorILNS1_17partition_subalgoE3EjNS0_10empty_typeEbEEZZNS1_14partition_implILS8_3ELb0ES6_jNS0_17counting_iteratorIjlEEPS9_SE_NS0_5tupleIJPjSE_EEENSF_IJSE_SE_EEES9_SG_JZNS1_25segmented_radix_sort_implINS0_14default_configELb1EPKbPbPKlPlN2at6native12_GLOBAL__N_18offset_tEEE10hipError_tPvRmT1_PNSt15iterator_traitsISY_E10value_typeET2_T3_PNSZ_IS14_E10value_typeET4_jRbjT5_S1A_jjP12ihipStream_tbEUljE_EEESV_SW_SX_S14_S18_S1A_T6_T7_T9_mT8_S1C_bDpT10_ENKUlT_T0_E_clISt17integral_constantIbLb0EES1O_IbLb1EEEEDaS1K_S1L_EUlS1K_E_NS1_11comp_targetILNS1_3genE10ELNS1_11target_archE1200ELNS1_3gpuE4ELNS1_3repE0EEENS1_30default_config_static_selectorELNS0_4arch9wavefront6targetE0EEEvSY_,@function
_ZN7rocprim17ROCPRIM_400000_NS6detail17trampoline_kernelINS0_13select_configILj256ELj13ELNS0_17block_load_methodE3ELS4_3ELS4_3ELNS0_20block_scan_algorithmE0ELj4294967295EEENS1_25partition_config_selectorILNS1_17partition_subalgoE3EjNS0_10empty_typeEbEEZZNS1_14partition_implILS8_3ELb0ES6_jNS0_17counting_iteratorIjlEEPS9_SE_NS0_5tupleIJPjSE_EEENSF_IJSE_SE_EEES9_SG_JZNS1_25segmented_radix_sort_implINS0_14default_configELb1EPKbPbPKlPlN2at6native12_GLOBAL__N_18offset_tEEE10hipError_tPvRmT1_PNSt15iterator_traitsISY_E10value_typeET2_T3_PNSZ_IS14_E10value_typeET4_jRbjT5_S1A_jjP12ihipStream_tbEUljE_EEESV_SW_SX_S14_S18_S1A_T6_T7_T9_mT8_S1C_bDpT10_ENKUlT_T0_E_clISt17integral_constantIbLb0EES1O_IbLb1EEEEDaS1K_S1L_EUlS1K_E_NS1_11comp_targetILNS1_3genE10ELNS1_11target_archE1200ELNS1_3gpuE4ELNS1_3repE0EEENS1_30default_config_static_selectorELNS0_4arch9wavefront6targetE0EEEvSY_: ; @_ZN7rocprim17ROCPRIM_400000_NS6detail17trampoline_kernelINS0_13select_configILj256ELj13ELNS0_17block_load_methodE3ELS4_3ELS4_3ELNS0_20block_scan_algorithmE0ELj4294967295EEENS1_25partition_config_selectorILNS1_17partition_subalgoE3EjNS0_10empty_typeEbEEZZNS1_14partition_implILS8_3ELb0ES6_jNS0_17counting_iteratorIjlEEPS9_SE_NS0_5tupleIJPjSE_EEENSF_IJSE_SE_EEES9_SG_JZNS1_25segmented_radix_sort_implINS0_14default_configELb1EPKbPbPKlPlN2at6native12_GLOBAL__N_18offset_tEEE10hipError_tPvRmT1_PNSt15iterator_traitsISY_E10value_typeET2_T3_PNSZ_IS14_E10value_typeET4_jRbjT5_S1A_jjP12ihipStream_tbEUljE_EEESV_SW_SX_S14_S18_S1A_T6_T7_T9_mT8_S1C_bDpT10_ENKUlT_T0_E_clISt17integral_constantIbLb0EES1O_IbLb1EEEEDaS1K_S1L_EUlS1K_E_NS1_11comp_targetILNS1_3genE10ELNS1_11target_archE1200ELNS1_3gpuE4ELNS1_3repE0EEENS1_30default_config_static_selectorELNS0_4arch9wavefront6targetE0EEEvSY_
; %bb.0:
	s_clause 0x6
	s_load_b64 s[16:17], s[0:1], 0x10
	s_load_b64 s[10:11], s[0:1], 0x28
	;; [unrolled: 1-line block ×3, first 2 shown]
	s_load_b128 s[12:15], s[0:1], 0x48
	s_load_b32 s3, s[0:1], 0x90
	s_load_b64 s[20:21], s[0:1], 0x68
	s_load_b128 s[4:7], s[0:1], 0x80
	v_cmp_eq_u32_e64 s2, 0, v0
	s_and_saveexec_b32 s8, s2
	s_cbranch_execz .LBB1529_4
; %bb.1:
	s_mov_b32 s22, exec_lo
	s_mov_b32 s9, exec_lo
	v_mbcnt_lo_u32_b32 v1, s22, 0
                                        ; implicit-def: $vgpr2
	s_delay_alu instid0(VALU_DEP_1)
	v_cmpx_eq_u32_e32 0, v1
	s_cbranch_execz .LBB1529_3
; %bb.2:
	s_load_b64 s[24:25], s[0:1], 0x78
	s_bcnt1_i32_b32 s22, s22
	s_wait_alu 0xfffe
	v_dual_mov_b32 v2, 0 :: v_dual_mov_b32 v3, s22
	s_wait_kmcnt 0x0
	global_atomic_add_u32 v2, v2, v3, s[24:25] th:TH_ATOMIC_RETURN scope:SCOPE_DEV
.LBB1529_3:
	s_or_b32 exec_lo, exec_lo, s9
	s_wait_loadcnt 0x0
	v_readfirstlane_b32 s9, v2
	s_delay_alu instid0(VALU_DEP_1)
	v_dual_mov_b32 v2, 0 :: v_dual_add_nc_u32 v1, s9, v1
	ds_store_b32 v2, v1
.LBB1529_4:
	s_or_b32 exec_lo, exec_lo, s8
	v_mov_b32_e32 v1, 0
	s_clause 0x1
	s_load_b32 s8, s[0:1], 0x8
	s_load_b32 s0, s[0:1], 0x70
	s_wait_dscnt 0x0
	s_barrier_signal -1
	s_barrier_wait -1
	global_inv scope:SCOPE_SE
	ds_load_b32 v2, v1
	s_wait_loadcnt_dscnt 0x0
	s_barrier_signal -1
	s_barrier_wait -1
	global_inv scope:SCOPE_SE
	s_wait_kmcnt 0x0
	global_load_b64 v[17:18], v1, s[14:15]
	s_mov_b32 s1, 0
	v_lshlrev_b32_e32 v45, 2, v0
	s_mov_b32 s23, -1
	s_add_co_i32 s8, s8, s16
	s_add_co_i32 s9, s0, -1
	s_mulk_i32 s0, 0xd00
	s_delay_alu instid0(SALU_CYCLE_1)
	s_add_co_i32 s14, s0, s16
	s_add_nc_u64 s[0:1], s[16:17], s[0:1]
	v_readfirstlane_b32 s15, v2
	v_cmp_gt_u64_e64 s0, s[18:19], s[0:1]
	s_sub_co_i32 s22, s18, s14
	s_wait_alu 0xfffe
	v_cmp_ne_u32_e32 vcc_lo, s9, v2
	s_addk_co_i32 s22, 0xd00
	s_cmp_eq_u32 s15, s9
	s_mul_i32 s14, s15, 0xd00
	s_cselect_b32 s9, -1, 0
	s_or_b32 s1, s0, vcc_lo
	s_wait_alu 0xfffe
	s_and_b32 vcc_lo, exec_lo, s1
	s_cbranch_vccz .LBB1529_6
; %bb.5:
	v_add3_u32 v1, s14, s8, v0
	s_mov_b32 s23, 0
	s_delay_alu instid0(VALU_DEP_1)
	v_add_nc_u32_e32 v2, 0x100, v1
	v_add_nc_u32_e32 v3, 0x200, v1
	;; [unrolled: 1-line block ×12, first 2 shown]
	ds_store_2addr_stride64_b32 v45, v1, v2 offset1:4
	ds_store_2addr_stride64_b32 v45, v3, v4 offset0:8 offset1:12
	ds_store_2addr_stride64_b32 v45, v5, v6 offset0:16 offset1:20
	;; [unrolled: 1-line block ×5, first 2 shown]
	ds_store_b32 v45, v13 offset:12288
	s_wait_loadcnt_dscnt 0x0
	s_barrier_signal -1
	s_barrier_wait -1
.LBB1529_6:
	v_cmp_gt_u32_e64 s0, s22, v0
	v_or_b32_e32 v44, 0x100, v0
	v_or_b32_e32 v43, 0x200, v0
	;; [unrolled: 1-line block ×12, first 2 shown]
	s_wait_alu 0xfffe
	s_and_not1_b32 vcc_lo, exec_lo, s23
	s_cbranch_vccnz .LBB1529_8
; %bb.7:
	s_add_co_i32 s8, s14, s8
	v_cmp_gt_u32_e32 vcc_lo, s22, v44
	s_wait_alu 0xfffe
	v_add_nc_u32_e32 v13, s8, v33
	v_add_nc_u32_e32 v12, s8, v34
	;; [unrolled: 1-line block ×12, first 2 shown]
	s_delay_alu instid0(VALU_DEP_1) | instskip(SKIP_1) | instid1(VALU_DEP_2)
	v_dual_cndmask_b32 v2, 0, v2 :: v_dual_add_nc_u32 v1, s8, v0
	v_cmp_gt_u32_e32 vcc_lo, s22, v43
	v_cndmask_b32_e64 v1, 0, v1, s0
	s_wait_alu 0xfffd
	v_cndmask_b32_e32 v3, 0, v3, vcc_lo
	v_cmp_gt_u32_e32 vcc_lo, s22, v42
	s_wait_alu 0xfffd
	v_cndmask_b32_e32 v4, 0, v4, vcc_lo
	v_cmp_gt_u32_e32 vcc_lo, s22, v41
	;; [unrolled: 3-line block ×10, first 2 shown]
	s_wait_alu 0xfffd
	v_cndmask_b32_e32 v13, 0, v13, vcc_lo
	ds_store_2addr_stride64_b32 v45, v1, v2 offset1:4
	ds_store_2addr_stride64_b32 v45, v3, v4 offset0:8 offset1:12
	ds_store_2addr_stride64_b32 v45, v5, v6 offset0:16 offset1:20
	;; [unrolled: 1-line block ×5, first 2 shown]
	ds_store_b32 v45, v13 offset:12288
	s_wait_loadcnt_dscnt 0x0
	s_barrier_signal -1
	s_barrier_wait -1
.LBB1529_8:
	v_mul_u32_u24_e32 v48, 13, v0
	s_wait_loadcnt 0x0
	global_inv scope:SCOPE_SE
	v_cndmask_b32_e64 v46, 0, 1, s1
	s_and_not1_b32 vcc_lo, exec_lo, s1
	v_lshlrev_b32_e32 v1, 2, v48
	ds_load_2addr_b32 v[29:30], v1 offset0:2 offset1:3
	ds_load_2addr_b32 v[25:26], v1 offset0:6 offset1:7
	;; [unrolled: 1-line block ×3, first 2 shown]
	ds_load_2addr_b32 v[31:32], v1 offset1:1
	ds_load_2addr_b32 v[21:22], v1 offset0:10 offset1:11
	ds_load_b32 v47, v1 offset:48
	ds_load_2addr_b32 v[23:24], v1 offset0:8 offset1:9
	s_wait_loadcnt_dscnt 0x0
	s_barrier_signal -1
	s_barrier_wait -1
	global_inv scope:SCOPE_SE
	s_wait_alu 0xfffe
	s_cbranch_vccnz .LBB1529_10
; %bb.9:
	v_add_nc_u32_e32 v1, s5, v30
	v_add_nc_u32_e32 v2, s7, v30
	;; [unrolled: 1-line block ×5, first 2 shown]
	v_mul_lo_u32 v1, v1, s4
	v_mul_lo_u32 v2, v2, s6
	v_add_nc_u32_e32 v8, s7, v29
	v_add_nc_u32_e32 v3, s5, v32
	v_add_nc_u32_e32 v6, s7, v32
	v_mul_lo_u32 v5, v5, s4
	v_mul_lo_u32 v4, v4, s4
	v_add_nc_u32_e32 v9, s5, v27
	v_mul_lo_u32 v3, v3, s4
	v_sub_nc_u32_e32 v1, v1, v2
	v_mul_lo_u32 v2, v7, s6
	v_mul_lo_u32 v7, v8, s6
	v_mul_lo_u32 v6, v6, s6
	v_add_nc_u32_e32 v8, s5, v28
	v_add_nc_u32_e32 v10, s7, v27
	v_mul_lo_u32 v9, v9, s4
	v_cmp_lt_u32_e32 vcc_lo, s3, v1
	v_add_nc_u32_e32 v14, s7, v22
	v_sub_nc_u32_e32 v2, v4, v2
	v_sub_nc_u32_e32 v4, v5, v7
	v_add_nc_u32_e32 v5, s7, v28
	v_sub_nc_u32_e32 v3, v3, v6
	v_add_nc_u32_e32 v6, s5, v26
	v_add_nc_u32_e32 v7, s7, v26
	v_mul_lo_u32 v8, v8, s4
	v_mul_lo_u32 v5, v5, s6
	;; [unrolled: 1-line block ×5, first 2 shown]
	s_wait_alu 0xfffd
	v_cndmask_b32_e64 v1, 0, 1, vcc_lo
	v_cmp_lt_u32_e32 vcc_lo, s3, v3
	v_mul_lo_u32 v14, v14, s6
	v_add_nc_u32_e32 v15, s7, v24
	v_sub_nc_u32_e32 v5, v8, v5
	v_add_nc_u32_e32 v8, s7, v25
	s_wait_alu 0xfffd
	v_cndmask_b32_e64 v3, 0, 1, vcc_lo
	v_sub_nc_u32_e32 v6, v6, v7
	v_mul_lo_u32 v15, v15, s6
	v_cmp_lt_u32_e32 vcc_lo, s3, v5
	v_mul_lo_u32 v7, v8, s6
	v_sub_nc_u32_e32 v8, v9, v10
	v_add_nc_u32_e32 v9, s5, v22
	v_add_nc_u32_e32 v10, s5, v24
	s_wait_alu 0xfffd
	v_cndmask_b32_e64 v5, 0, 1, vcc_lo
	v_cmp_lt_u32_e32 vcc_lo, s3, v6
	v_add_nc_u32_e32 v11, s5, v25
	v_mul_lo_u32 v9, v9, s4
	v_mul_lo_u32 v10, v10, s4
	v_add_nc_u32_e32 v12, s5, v23
	s_wait_alu 0xfffd
	v_cndmask_b32_e64 v6, 0, 1, vcc_lo
	v_mul_lo_u32 v11, v11, s4
	v_add_nc_u32_e32 v16, s7, v23
	v_lshlrev_b16 v3, 8, v3
	v_add_nc_u32_e32 v13, s5, v21
	v_sub_nc_u32_e32 v9, v9, v14
	v_sub_nc_u32_e32 v10, v10, v15
	v_add_nc_u32_e32 v19, s7, v21
	v_mul_lo_u32 v12, v12, s4
	v_mul_lo_u32 v16, v16, s6
	v_cmp_lt_u32_e32 vcc_lo, s3, v9
	v_sub_nc_u32_e32 v7, v11, v7
	v_lshrrev_b32_e32 v3, 8, v3
	v_mul_lo_u32 v11, v13, s4
	v_mul_lo_u32 v13, v19, s6
	s_wait_alu 0xfffd
	v_cndmask_b32_e64 v9, 0, 1, vcc_lo
	v_cmp_lt_u32_e32 vcc_lo, s3, v2
	v_sub_nc_u32_e32 v12, v12, v16
	v_lshlrev_b16 v3, 8, v3
	v_lshlrev_b16 v1, 8, v1
	;; [unrolled: 1-line block ×3, first 2 shown]
	s_wait_alu 0xfffd
	v_cndmask_b32_e64 v2, 0, 1, vcc_lo
	v_cmp_lt_u32_e32 vcc_lo, s3, v10
	v_sub_nc_u32_e32 v11, v11, v13
	v_add_nc_u32_e32 v14, s5, v47
	v_add_nc_u32_e32 v15, s7, v47
	v_or_b32_e32 v2, v2, v3
	s_wait_alu 0xfffd
	v_cndmask_b32_e64 v10, 0, 1, vcc_lo
	v_cmp_lt_u32_e32 vcc_lo, s3, v4
	v_lshlrev_b16 v3, 8, v9
	v_lshrrev_b32_e32 v5, 8, v5
	v_lshrrev_b32_e32 v1, 8, v1
	v_lshlrev_b16 v9, 8, v10
	s_wait_alu 0xfffd
	v_cndmask_b32_e64 v4, 0, 1, vcc_lo
	v_cmp_lt_u32_e32 vcc_lo, s3, v8
	v_lshrrev_b32_e32 v3, 8, v3
	v_mul_lo_u32 v14, v14, s4
	v_lshrrev_b32_e32 v9, 8, v9
	v_mul_lo_u32 v15, v15, s6
	s_wait_alu 0xfffd
	v_cndmask_b32_e64 v8, 0, 1, vcc_lo
	v_cmp_lt_u32_e32 vcc_lo, s3, v7
	v_lshlrev_b16 v6, 8, v6
	v_lshlrev_b16 v1, 8, v1
	;; [unrolled: 1-line block ×4, first 2 shown]
	s_wait_alu 0xfffd
	v_cndmask_b32_e64 v7, 0, 1, vcc_lo
	v_cmp_lt_u32_e32 vcc_lo, s3, v12
	v_lshlrev_b16 v3, 8, v3
	v_sub_nc_u32_e32 v10, v14, v15
	v_or_b32_e32 v1, v4, v1
	v_or_b32_e32 v4, v8, v5
	s_wait_alu 0xfffd
	v_cndmask_b32_e64 v12, 0, 1, vcc_lo
	v_cmp_lt_u32_e32 vcc_lo, s3, v11
	v_or_b32_e32 v5, v7, v6
	v_and_b32_e32 v2, 0xffff, v2
	v_lshlrev_b32_e32 v1, 16, v1
	v_or_b32_e32 v6, v12, v9
	s_wait_alu 0xfffd
	v_cndmask_b32_e64 v11, 0, 1, vcc_lo
	v_and_b32_e32 v4, 0xffff, v4
	v_lshlrev_b32_e32 v5, 16, v5
	v_cmp_lt_u32_e32 vcc_lo, s3, v10
	v_and_b32_e32 v6, 0xffff, v6
	v_or_b32_e32 v3, v11, v3
	v_or_b32_e32 v54, v2, v1
	;; [unrolled: 1-line block ×3, first 2 shown]
	s_wait_alu 0xfffd
	v_cndmask_b32_e64 v49, 0, 1, vcc_lo
	v_lshlrev_b32_e32 v3, 16, v3
	s_delay_alu instid0(VALU_DEP_1)
	v_or_b32_e32 v50, v6, v3
	s_cbranch_execz .LBB1529_11
	s_branch .LBB1529_38
.LBB1529_10:
                                        ; implicit-def: $vgpr49
                                        ; implicit-def: $vgpr50
                                        ; implicit-def: $vgpr52
                                        ; implicit-def: $vgpr54
.LBB1529_11:
	v_dual_mov_b32 v2, 0 :: v_dual_mov_b32 v1, 0
	s_mov_b32 s0, exec_lo
	v_cmpx_gt_u32_e64 s22, v48
	s_cbranch_execz .LBB1529_13
; %bb.12:
	v_add_nc_u32_e32 v1, s5, v31
	v_add_nc_u32_e32 v3, s7, v31
	s_delay_alu instid0(VALU_DEP_2) | instskip(NEXT) | instid1(VALU_DEP_2)
	v_mul_lo_u32 v1, v1, s4
	v_mul_lo_u32 v3, v3, s6
	s_delay_alu instid0(VALU_DEP_1) | instskip(NEXT) | instid1(VALU_DEP_1)
	v_sub_nc_u32_e32 v1, v1, v3
	v_cmp_lt_u32_e32 vcc_lo, s3, v1
	s_wait_alu 0xfffd
	v_cndmask_b32_e64 v1, 0, 1, vcc_lo
.LBB1529_13:
	s_wait_alu 0xfffe
	s_or_b32 exec_lo, exec_lo, s0
	v_add_nc_u32_e32 v3, 1, v48
	s_mov_b32 s0, exec_lo
	s_delay_alu instid0(VALU_DEP_1)
	v_cmpx_gt_u32_e64 s22, v3
	s_cbranch_execz .LBB1529_15
; %bb.14:
	v_add_nc_u32_e32 v2, s5, v32
	v_add_nc_u32_e32 v3, s7, v32
	s_delay_alu instid0(VALU_DEP_2) | instskip(NEXT) | instid1(VALU_DEP_2)
	v_mul_lo_u32 v2, v2, s4
	v_mul_lo_u32 v3, v3, s6
	s_delay_alu instid0(VALU_DEP_1) | instskip(NEXT) | instid1(VALU_DEP_1)
	v_sub_nc_u32_e32 v2, v2, v3
	v_cmp_lt_u32_e32 vcc_lo, s3, v2
	s_wait_alu 0xfffd
	v_cndmask_b32_e64 v2, 0, 1, vcc_lo
.LBB1529_15:
	s_wait_alu 0xfffe
	s_or_b32 exec_lo, exec_lo, s0
	v_dual_mov_b32 v4, 0 :: v_dual_add_nc_u32 v3, 2, v48
	s_delay_alu instid0(VALU_DEP_1)
	v_cmp_gt_u32_e32 vcc_lo, s22, v3
	v_mov_b32_e32 v3, 0
	s_and_saveexec_b32 s0, vcc_lo
	s_cbranch_execz .LBB1529_17
; %bb.16:
	v_add_nc_u32_e32 v3, s5, v29
	v_add_nc_u32_e32 v5, s7, v29
	s_delay_alu instid0(VALU_DEP_2) | instskip(NEXT) | instid1(VALU_DEP_2)
	v_mul_lo_u32 v3, v3, s4
	v_mul_lo_u32 v5, v5, s6
	s_delay_alu instid0(VALU_DEP_1) | instskip(NEXT) | instid1(VALU_DEP_1)
	v_sub_nc_u32_e32 v3, v3, v5
	v_cmp_lt_u32_e32 vcc_lo, s3, v3
	s_wait_alu 0xfffd
	v_cndmask_b32_e64 v3, 0, 1, vcc_lo
.LBB1529_17:
	s_wait_alu 0xfffe
	s_or_b32 exec_lo, exec_lo, s0
	v_add_nc_u32_e32 v5, 3, v48
	s_mov_b32 s0, exec_lo
	s_delay_alu instid0(VALU_DEP_1)
	v_cmpx_gt_u32_e64 s22, v5
	s_cbranch_execz .LBB1529_19
; %bb.18:
	v_add_nc_u32_e32 v4, s5, v30
	v_add_nc_u32_e32 v5, s7, v30
	s_delay_alu instid0(VALU_DEP_2) | instskip(NEXT) | instid1(VALU_DEP_2)
	v_mul_lo_u32 v4, v4, s4
	v_mul_lo_u32 v5, v5, s6
	s_delay_alu instid0(VALU_DEP_1) | instskip(NEXT) | instid1(VALU_DEP_1)
	v_sub_nc_u32_e32 v4, v4, v5
	v_cmp_lt_u32_e32 vcc_lo, s3, v4
	s_wait_alu 0xfffd
	v_cndmask_b32_e64 v4, 0, 1, vcc_lo
.LBB1529_19:
	s_wait_alu 0xfffe
	s_or_b32 exec_lo, exec_lo, s0
	v_dual_mov_b32 v6, 0 :: v_dual_add_nc_u32 v5, 4, v48
	s_delay_alu instid0(VALU_DEP_1)
	v_cmp_gt_u32_e32 vcc_lo, s22, v5
	v_mov_b32_e32 v5, 0
	s_and_saveexec_b32 s0, vcc_lo
	s_cbranch_execz .LBB1529_21
; %bb.20:
	v_add_nc_u32_e32 v5, s5, v27
	v_add_nc_u32_e32 v7, s7, v27
	s_delay_alu instid0(VALU_DEP_2) | instskip(NEXT) | instid1(VALU_DEP_2)
	v_mul_lo_u32 v5, v5, s4
	v_mul_lo_u32 v7, v7, s6
	s_delay_alu instid0(VALU_DEP_1) | instskip(NEXT) | instid1(VALU_DEP_1)
	v_sub_nc_u32_e32 v5, v5, v7
	v_cmp_lt_u32_e32 vcc_lo, s3, v5
	s_wait_alu 0xfffd
	v_cndmask_b32_e64 v5, 0, 1, vcc_lo
.LBB1529_21:
	s_wait_alu 0xfffe
	s_or_b32 exec_lo, exec_lo, s0
	v_add_nc_u32_e32 v7, 5, v48
	s_mov_b32 s0, exec_lo
	s_delay_alu instid0(VALU_DEP_1)
	v_cmpx_gt_u32_e64 s22, v7
	s_cbranch_execz .LBB1529_23
; %bb.22:
	v_add_nc_u32_e32 v6, s5, v28
	v_add_nc_u32_e32 v7, s7, v28
	s_delay_alu instid0(VALU_DEP_2) | instskip(NEXT) | instid1(VALU_DEP_2)
	v_mul_lo_u32 v6, v6, s4
	v_mul_lo_u32 v7, v7, s6
	s_delay_alu instid0(VALU_DEP_1) | instskip(NEXT) | instid1(VALU_DEP_1)
	v_sub_nc_u32_e32 v6, v6, v7
	v_cmp_lt_u32_e32 vcc_lo, s3, v6
	s_wait_alu 0xfffd
	v_cndmask_b32_e64 v6, 0, 1, vcc_lo
.LBB1529_23:
	s_wait_alu 0xfffe
	s_or_b32 exec_lo, exec_lo, s0
	v_dual_mov_b32 v8, 0 :: v_dual_add_nc_u32 v7, 6, v48
	s_delay_alu instid0(VALU_DEP_1)
	v_cmp_gt_u32_e32 vcc_lo, s22, v7
	v_mov_b32_e32 v7, 0
	s_and_saveexec_b32 s0, vcc_lo
	s_cbranch_execz .LBB1529_25
; %bb.24:
	v_add_nc_u32_e32 v7, s5, v25
	v_add_nc_u32_e32 v9, s7, v25
	s_delay_alu instid0(VALU_DEP_2) | instskip(NEXT) | instid1(VALU_DEP_2)
	v_mul_lo_u32 v7, v7, s4
	v_mul_lo_u32 v9, v9, s6
	s_delay_alu instid0(VALU_DEP_1) | instskip(NEXT) | instid1(VALU_DEP_1)
	v_sub_nc_u32_e32 v7, v7, v9
	v_cmp_lt_u32_e32 vcc_lo, s3, v7
	s_wait_alu 0xfffd
	v_cndmask_b32_e64 v7, 0, 1, vcc_lo
.LBB1529_25:
	s_wait_alu 0xfffe
	s_or_b32 exec_lo, exec_lo, s0
	v_add_nc_u32_e32 v9, 7, v48
	s_mov_b32 s0, exec_lo
	s_delay_alu instid0(VALU_DEP_1)
	v_cmpx_gt_u32_e64 s22, v9
	s_cbranch_execz .LBB1529_27
; %bb.26:
	v_add_nc_u32_e32 v8, s5, v26
	v_add_nc_u32_e32 v9, s7, v26
	s_delay_alu instid0(VALU_DEP_2) | instskip(NEXT) | instid1(VALU_DEP_2)
	v_mul_lo_u32 v8, v8, s4
	v_mul_lo_u32 v9, v9, s6
	s_delay_alu instid0(VALU_DEP_1) | instskip(NEXT) | instid1(VALU_DEP_1)
	v_sub_nc_u32_e32 v8, v8, v9
	v_cmp_lt_u32_e32 vcc_lo, s3, v8
	s_wait_alu 0xfffd
	v_cndmask_b32_e64 v8, 0, 1, vcc_lo
.LBB1529_27:
	s_wait_alu 0xfffe
	s_or_b32 exec_lo, exec_lo, s0
	v_dual_mov_b32 v10, 0 :: v_dual_add_nc_u32 v9, 8, v48
	s_delay_alu instid0(VALU_DEP_1)
	v_cmp_gt_u32_e32 vcc_lo, s22, v9
	v_mov_b32_e32 v9, 0
	s_and_saveexec_b32 s0, vcc_lo
	s_cbranch_execz .LBB1529_29
; %bb.28:
	v_add_nc_u32_e32 v9, s5, v23
	v_add_nc_u32_e32 v11, s7, v23
	s_delay_alu instid0(VALU_DEP_2) | instskip(NEXT) | instid1(VALU_DEP_2)
	v_mul_lo_u32 v9, v9, s4
	v_mul_lo_u32 v11, v11, s6
	s_delay_alu instid0(VALU_DEP_1) | instskip(NEXT) | instid1(VALU_DEP_1)
	v_sub_nc_u32_e32 v9, v9, v11
	v_cmp_lt_u32_e32 vcc_lo, s3, v9
	s_wait_alu 0xfffd
	v_cndmask_b32_e64 v9, 0, 1, vcc_lo
.LBB1529_29:
	s_wait_alu 0xfffe
	s_or_b32 exec_lo, exec_lo, s0
	v_add_nc_u32_e32 v11, 9, v48
	s_mov_b32 s0, exec_lo
	s_delay_alu instid0(VALU_DEP_1)
	v_cmpx_gt_u32_e64 s22, v11
	s_cbranch_execz .LBB1529_31
; %bb.30:
	v_add_nc_u32_e32 v10, s5, v24
	v_add_nc_u32_e32 v11, s7, v24
	s_delay_alu instid0(VALU_DEP_2) | instskip(NEXT) | instid1(VALU_DEP_2)
	v_mul_lo_u32 v10, v10, s4
	v_mul_lo_u32 v11, v11, s6
	s_delay_alu instid0(VALU_DEP_1) | instskip(NEXT) | instid1(VALU_DEP_1)
	v_sub_nc_u32_e32 v10, v10, v11
	v_cmp_lt_u32_e32 vcc_lo, s3, v10
	s_wait_alu 0xfffd
	v_cndmask_b32_e64 v10, 0, 1, vcc_lo
.LBB1529_31:
	s_wait_alu 0xfffe
	s_or_b32 exec_lo, exec_lo, s0
	v_dual_mov_b32 v12, 0 :: v_dual_add_nc_u32 v11, 10, v48
	s_delay_alu instid0(VALU_DEP_1)
	v_cmp_gt_u32_e32 vcc_lo, s22, v11
	v_mov_b32_e32 v11, 0
	s_and_saveexec_b32 s0, vcc_lo
	s_cbranch_execz .LBB1529_33
; %bb.32:
	v_add_nc_u32_e32 v11, s5, v21
	v_add_nc_u32_e32 v13, s7, v21
	s_delay_alu instid0(VALU_DEP_2) | instskip(NEXT) | instid1(VALU_DEP_2)
	v_mul_lo_u32 v11, v11, s4
	v_mul_lo_u32 v13, v13, s6
	s_delay_alu instid0(VALU_DEP_1) | instskip(NEXT) | instid1(VALU_DEP_1)
	v_sub_nc_u32_e32 v11, v11, v13
	v_cmp_lt_u32_e32 vcc_lo, s3, v11
	s_wait_alu 0xfffd
	v_cndmask_b32_e64 v11, 0, 1, vcc_lo
.LBB1529_33:
	s_wait_alu 0xfffe
	s_or_b32 exec_lo, exec_lo, s0
	v_add_nc_u32_e32 v13, 11, v48
	s_mov_b32 s0, exec_lo
	s_delay_alu instid0(VALU_DEP_1)
	v_cmpx_gt_u32_e64 s22, v13
	s_cbranch_execz .LBB1529_35
; %bb.34:
	v_add_nc_u32_e32 v12, s5, v22
	v_add_nc_u32_e32 v13, s7, v22
	s_delay_alu instid0(VALU_DEP_2) | instskip(NEXT) | instid1(VALU_DEP_2)
	v_mul_lo_u32 v12, v12, s4
	v_mul_lo_u32 v13, v13, s6
	s_delay_alu instid0(VALU_DEP_1) | instskip(NEXT) | instid1(VALU_DEP_1)
	v_sub_nc_u32_e32 v12, v12, v13
	v_cmp_lt_u32_e32 vcc_lo, s3, v12
	s_wait_alu 0xfffd
	v_cndmask_b32_e64 v12, 0, 1, vcc_lo
.LBB1529_35:
	s_wait_alu 0xfffe
	s_or_b32 exec_lo, exec_lo, s0
	v_add_nc_u32_e32 v13, 12, v48
	v_mov_b32_e32 v49, 0
	s_mov_b32 s0, exec_lo
	s_delay_alu instid0(VALU_DEP_2)
	v_cmpx_gt_u32_e64 s22, v13
	s_cbranch_execz .LBB1529_37
; %bb.36:
	v_add_nc_u32_e32 v13, s5, v47
	v_add_nc_u32_e32 v14, s7, v47
	s_delay_alu instid0(VALU_DEP_2) | instskip(NEXT) | instid1(VALU_DEP_2)
	v_mul_lo_u32 v13, v13, s4
	v_mul_lo_u32 v14, v14, s6
	s_delay_alu instid0(VALU_DEP_1) | instskip(NEXT) | instid1(VALU_DEP_1)
	v_sub_nc_u32_e32 v13, v13, v14
	v_cmp_lt_u32_e32 vcc_lo, s3, v13
	s_wait_alu 0xfffd
	v_cndmask_b32_e64 v49, 0, 1, vcc_lo
.LBB1529_37:
	s_wait_alu 0xfffe
	s_or_b32 exec_lo, exec_lo, s0
	v_lshlrev_b16 v2, 8, v2
	v_lshlrev_b16 v4, 8, v4
	;; [unrolled: 1-line block ×5, first 2 shown]
	v_or_b32_e32 v1, v1, v2
	v_lshlrev_b16 v2, 8, v12
	v_or_b32_e32 v3, v3, v4
	v_or_b32_e32 v4, v5, v6
	;; [unrolled: 1-line block ×5, first 2 shown]
	v_and_b32_e32 v1, 0xffff, v1
	v_lshlrev_b32_e32 v3, 16, v3
	v_and_b32_e32 v4, 0xffff, v4
	v_lshlrev_b32_e32 v5, 16, v5
	;; [unrolled: 2-line block ×3, first 2 shown]
	v_or_b32_e32 v54, v1, v3
	s_delay_alu instid0(VALU_DEP_4) | instskip(NEXT) | instid1(VALU_DEP_3)
	v_or_b32_e32 v52, v4, v5
	v_or_b32_e32 v50, v6, v2
.LBB1529_38:
	s_delay_alu instid0(VALU_DEP_3)
	v_and_b32_e32 v56, 0xff, v54
	v_bfe_u32 v57, v54, 8, 8
	v_bfe_u32 v58, v54, 16, 8
	v_lshrrev_b32_e32 v55, 24, v54
	v_and_b32_e32 v59, 0xff, v52
	v_bfe_u32 v60, v52, 8, 8
	v_bfe_u32 v61, v52, 16, 8
	v_add3_u32 v1, v57, v56, v58
	v_lshrrev_b32_e32 v53, 24, v52
	v_and_b32_e32 v62, 0xff, v50
	v_bfe_u32 v63, v50, 8, 8
	v_mbcnt_lo_u32_b32 v65, -1, 0
	v_add3_u32 v1, v1, v55, v59
	v_bfe_u32 v64, v50, 16, 8
	v_lshrrev_b32_e32 v51, 24, v50
	v_and_b32_e32 v2, 0xff, v49
	v_and_b32_e32 v3, 15, v65
	v_add3_u32 v1, v1, v60, v61
	v_or_b32_e32 v4, 31, v0
	v_and_b32_e32 v5, 16, v65
	v_lshrrev_b32_e32 v66, 5, v0
	v_cmp_eq_u32_e64 s6, 0, v3
	v_add3_u32 v1, v1, v53, v62
	v_cmp_lt_u32_e64 s5, 1, v3
	v_cmp_lt_u32_e64 s4, 3, v3
	;; [unrolled: 1-line block ×3, first 2 shown]
	v_cmp_eq_u32_e64 s1, 0, v5
	v_add3_u32 v1, v1, v63, v64
	v_cmp_eq_u32_e64 s0, v0, v4
	s_cmp_lg_u32 s15, 0
	s_mov_b32 s7, -1
	v_add3_u32 v67, v1, v51, v2
	s_cbranch_scc0 .LBB1529_59
; %bb.39:
	s_delay_alu instid0(VALU_DEP_1) | instskip(NEXT) | instid1(VALU_DEP_1)
	v_mov_b32_dpp v1, v67 row_shr:1 row_mask:0xf bank_mask:0xf
	v_cndmask_b32_e64 v1, v1, 0, s6
	s_delay_alu instid0(VALU_DEP_1) | instskip(NEXT) | instid1(VALU_DEP_1)
	v_add_nc_u32_e32 v1, v1, v67
	v_mov_b32_dpp v2, v1 row_shr:2 row_mask:0xf bank_mask:0xf
	s_delay_alu instid0(VALU_DEP_1) | instskip(NEXT) | instid1(VALU_DEP_1)
	v_cndmask_b32_e64 v2, 0, v2, s5
	v_add_nc_u32_e32 v1, v1, v2
	s_delay_alu instid0(VALU_DEP_1) | instskip(NEXT) | instid1(VALU_DEP_1)
	v_mov_b32_dpp v2, v1 row_shr:4 row_mask:0xf bank_mask:0xf
	v_cndmask_b32_e64 v2, 0, v2, s4
	s_delay_alu instid0(VALU_DEP_1) | instskip(NEXT) | instid1(VALU_DEP_1)
	v_add_nc_u32_e32 v1, v1, v2
	v_mov_b32_dpp v2, v1 row_shr:8 row_mask:0xf bank_mask:0xf
	s_delay_alu instid0(VALU_DEP_1) | instskip(NEXT) | instid1(VALU_DEP_1)
	v_cndmask_b32_e64 v2, 0, v2, s3
	v_add_nc_u32_e32 v1, v1, v2
	ds_swizzle_b32 v2, v1 offset:swizzle(BROADCAST,32,15)
	s_wait_dscnt 0x0
	v_cndmask_b32_e64 v2, v2, 0, s1
	s_delay_alu instid0(VALU_DEP_1)
	v_add_nc_u32_e32 v1, v1, v2
	s_and_saveexec_b32 s7, s0
; %bb.40:
	v_lshlrev_b32_e32 v2, 2, v66
	ds_store_b32 v2, v1
; %bb.41:
	s_wait_alu 0xfffe
	s_or_b32 exec_lo, exec_lo, s7
	s_delay_alu instid0(SALU_CYCLE_1)
	s_mov_b32 s7, exec_lo
	s_wait_loadcnt_dscnt 0x0
	s_barrier_signal -1
	s_barrier_wait -1
	global_inv scope:SCOPE_SE
	v_cmpx_gt_u32_e32 8, v0
	s_cbranch_execz .LBB1529_43
; %bb.42:
	ds_load_b32 v2, v45
	s_wait_dscnt 0x0
	v_mov_b32_dpp v4, v2 row_shr:1 row_mask:0xf bank_mask:0xf
	v_and_b32_e32 v3, 7, v65
	s_delay_alu instid0(VALU_DEP_1) | instskip(SKIP_1) | instid1(VALU_DEP_3)
	v_cmp_ne_u32_e32 vcc_lo, 0, v3
	s_wait_alu 0xfffd
	v_cndmask_b32_e32 v4, 0, v4, vcc_lo
	v_cmp_lt_u32_e32 vcc_lo, 1, v3
	s_delay_alu instid0(VALU_DEP_2) | instskip(NEXT) | instid1(VALU_DEP_1)
	v_add_nc_u32_e32 v2, v4, v2
	v_mov_b32_dpp v4, v2 row_shr:2 row_mask:0xf bank_mask:0xf
	s_wait_alu 0xfffd
	s_delay_alu instid0(VALU_DEP_1) | instskip(SKIP_1) | instid1(VALU_DEP_2)
	v_cndmask_b32_e32 v4, 0, v4, vcc_lo
	v_cmp_lt_u32_e32 vcc_lo, 3, v3
	v_add_nc_u32_e32 v2, v2, v4
	s_delay_alu instid0(VALU_DEP_1) | instskip(SKIP_1) | instid1(VALU_DEP_1)
	v_mov_b32_dpp v4, v2 row_shr:4 row_mask:0xf bank_mask:0xf
	s_wait_alu 0xfffd
	v_cndmask_b32_e32 v3, 0, v4, vcc_lo
	s_delay_alu instid0(VALU_DEP_1)
	v_add_nc_u32_e32 v2, v2, v3
	ds_store_b32 v45, v2
.LBB1529_43:
	s_wait_alu 0xfffe
	s_or_b32 exec_lo, exec_lo, s7
	s_delay_alu instid0(SALU_CYCLE_1)
	s_mov_b32 s8, exec_lo
	v_cmp_gt_u32_e32 vcc_lo, 32, v0
	s_wait_loadcnt_dscnt 0x0
	s_barrier_signal -1
	s_barrier_wait -1
	global_inv scope:SCOPE_SE
                                        ; implicit-def: $vgpr9
	v_cmpx_lt_u32_e32 31, v0
	s_cbranch_execz .LBB1529_45
; %bb.44:
	v_lshl_add_u32 v2, v66, 2, -4
	ds_load_b32 v9, v2
	s_wait_dscnt 0x0
	v_add_nc_u32_e32 v1, v9, v1
.LBB1529_45:
	s_wait_alu 0xfffe
	s_or_b32 exec_lo, exec_lo, s8
	v_sub_co_u32 v2, s7, v65, 1
	s_delay_alu instid0(VALU_DEP_1) | instskip(SKIP_1) | instid1(VALU_DEP_1)
	v_cmp_gt_i32_e64 s8, 0, v2
	s_wait_alu 0xf1ff
	v_cndmask_b32_e64 v2, v2, v65, s8
	s_delay_alu instid0(VALU_DEP_1)
	v_lshlrev_b32_e32 v2, 2, v2
	ds_bpermute_b32 v10, v2, v1
	s_and_saveexec_b32 s8, vcc_lo
	s_cbranch_execz .LBB1529_64
; %bb.46:
	v_mov_b32_e32 v5, 0
	ds_load_b32 v1, v5 offset:28
	s_and_saveexec_b32 s23, s7
	s_cbranch_execz .LBB1529_48
; %bb.47:
	s_add_co_i32 s24, s15, 32
	s_mov_b32 s25, 0
	v_mov_b32_e32 v2, 1
	s_lshl_b64 s[24:25], s[24:25], 3
	s_delay_alu instid0(SALU_CYCLE_1)
	s_add_nc_u64 s[24:25], s[20:21], s[24:25]
	s_wait_dscnt 0x0
	global_store_b64 v5, v[1:2], s[24:25] scope:SCOPE_DEV
.LBB1529_48:
	s_wait_alu 0xfffe
	s_or_b32 exec_lo, exec_lo, s23
	v_xad_u32 v3, v65, -1, s15
	s_mov_b32 s24, 0
	s_mov_b32 s23, exec_lo
	s_delay_alu instid0(VALU_DEP_1) | instskip(NEXT) | instid1(VALU_DEP_1)
	v_add_nc_u32_e32 v4, 32, v3
	v_lshlrev_b64_e32 v[4:5], 3, v[4:5]
	s_delay_alu instid0(VALU_DEP_1) | instskip(SKIP_1) | instid1(VALU_DEP_2)
	v_add_co_u32 v7, vcc_lo, s20, v4
	s_wait_alu 0xfffd
	v_add_co_ci_u32_e64 v8, null, s21, v5, vcc_lo
	global_load_b64 v[5:6], v[7:8], off scope:SCOPE_DEV
	s_wait_loadcnt 0x0
	v_and_b32_e32 v2, 0xff, v6
	s_delay_alu instid0(VALU_DEP_1)
	v_cmpx_eq_u16_e32 0, v2
	s_cbranch_execz .LBB1529_51
.LBB1529_49:                            ; =>This Inner Loop Header: Depth=1
	global_load_b64 v[5:6], v[7:8], off scope:SCOPE_DEV
	s_wait_loadcnt 0x0
	v_and_b32_e32 v2, 0xff, v6
	s_delay_alu instid0(VALU_DEP_1) | instskip(SKIP_1) | instid1(SALU_CYCLE_1)
	v_cmp_ne_u16_e32 vcc_lo, 0, v2
	s_or_b32 s24, vcc_lo, s24
	s_and_not1_b32 exec_lo, exec_lo, s24
	s_cbranch_execnz .LBB1529_49
; %bb.50:
	s_or_b32 exec_lo, exec_lo, s24
.LBB1529_51:
	s_wait_alu 0xfffe
	s_or_b32 exec_lo, exec_lo, s23
	v_cmp_ne_u32_e32 vcc_lo, 31, v65
	v_lshlrev_b32_e64 v12, v65, -1
	v_add_nc_u32_e32 v14, 2, v65
	v_add_nc_u32_e32 v16, 4, v65
	v_add_nc_u32_e32 v20, 8, v65
	s_wait_alu 0xfffd
	v_add_co_ci_u32_e64 v2, null, 0, v65, vcc_lo
	v_lshl_or_b32 v68, v65, 2, 64
	v_add_nc_u32_e32 v69, 16, v65
	s_delay_alu instid0(VALU_DEP_3)
	v_lshlrev_b32_e32 v11, 2, v2
	v_and_b32_e32 v2, 0xff, v6
	ds_bpermute_b32 v4, v11, v5
	v_cmp_eq_u16_e32 vcc_lo, 2, v2
	s_wait_alu 0xfffd
	v_and_or_b32 v2, vcc_lo, v12, 0x80000000
	v_cmp_gt_u32_e32 vcc_lo, 30, v65
	s_delay_alu instid0(VALU_DEP_2) | instskip(SKIP_2) | instid1(VALU_DEP_2)
	v_ctz_i32_b32_e32 v2, v2
	s_wait_alu 0xfffd
	v_cndmask_b32_e64 v7, 0, 2, vcc_lo
	v_cmp_lt_u32_e32 vcc_lo, v65, v2
	s_delay_alu instid0(VALU_DEP_2) | instskip(SKIP_4) | instid1(VALU_DEP_2)
	v_add_lshl_u32 v13, v7, v65, 2
	s_wait_dscnt 0x0
	s_wait_alu 0xfffd
	v_cndmask_b32_e32 v4, 0, v4, vcc_lo
	v_cmp_gt_u32_e32 vcc_lo, 28, v65
	v_add_nc_u32_e32 v4, v4, v5
	s_wait_alu 0xfffd
	v_cndmask_b32_e64 v7, 0, 4, vcc_lo
	v_cmp_le_u32_e32 vcc_lo, v14, v2
	ds_bpermute_b32 v5, v13, v4
	v_add_lshl_u32 v15, v7, v65, 2
	s_wait_dscnt 0x0
	s_wait_alu 0xfffd
	v_cndmask_b32_e32 v5, 0, v5, vcc_lo
	v_cmp_gt_u32_e32 vcc_lo, 24, v65
	s_delay_alu instid0(VALU_DEP_2)
	v_add_nc_u32_e32 v4, v4, v5
	s_wait_alu 0xfffd
	v_cndmask_b32_e64 v7, 0, 8, vcc_lo
	v_cmp_le_u32_e32 vcc_lo, v16, v2
	ds_bpermute_b32 v5, v15, v4
	v_add_lshl_u32 v19, v7, v65, 2
	s_wait_dscnt 0x0
	s_wait_alu 0xfffd
	v_cndmask_b32_e32 v5, 0, v5, vcc_lo
	v_cmp_le_u32_e32 vcc_lo, v20, v2
	s_delay_alu instid0(VALU_DEP_2)
	v_add_nc_u32_e32 v4, v4, v5
	ds_bpermute_b32 v5, v19, v4
	s_wait_dscnt 0x0
	s_wait_alu 0xfffd
	v_cndmask_b32_e32 v5, 0, v5, vcc_lo
	v_cmp_le_u32_e32 vcc_lo, v69, v2
	s_delay_alu instid0(VALU_DEP_2) | instskip(SKIP_4) | instid1(VALU_DEP_1)
	v_add_nc_u32_e32 v4, v4, v5
	ds_bpermute_b32 v5, v68, v4
	s_wait_dscnt 0x0
	s_wait_alu 0xfffd
	v_cndmask_b32_e32 v2, 0, v5, vcc_lo
	v_dual_mov_b32 v4, 0 :: v_dual_add_nc_u32 v5, v4, v2
	s_branch .LBB1529_55
.LBB1529_52:                            ;   in Loop: Header=BB1529_55 Depth=1
	s_or_b32 exec_lo, exec_lo, s24
.LBB1529_53:                            ;   in Loop: Header=BB1529_55 Depth=1
	s_wait_alu 0xfffe
	s_or_b32 exec_lo, exec_lo, s23
	ds_bpermute_b32 v8, v11, v5
	v_and_b32_e32 v7, 0xff, v6
	v_subrev_nc_u32_e32 v3, 32, v3
	s_mov_b32 s23, 0
	s_delay_alu instid0(VALU_DEP_2) | instskip(SKIP_2) | instid1(VALU_DEP_1)
	v_cmp_eq_u16_e32 vcc_lo, 2, v7
	s_wait_alu 0xfffd
	v_and_or_b32 v7, vcc_lo, v12, 0x80000000
	v_ctz_i32_b32_e32 v7, v7
	s_delay_alu instid0(VALU_DEP_1) | instskip(SKIP_4) | instid1(VALU_DEP_2)
	v_cmp_lt_u32_e32 vcc_lo, v65, v7
	s_wait_dscnt 0x0
	s_wait_alu 0xfffd
	v_cndmask_b32_e32 v8, 0, v8, vcc_lo
	v_cmp_le_u32_e32 vcc_lo, v14, v7
	v_add_nc_u32_e32 v5, v8, v5
	ds_bpermute_b32 v8, v13, v5
	s_wait_dscnt 0x0
	s_wait_alu 0xfffd
	v_cndmask_b32_e32 v8, 0, v8, vcc_lo
	v_cmp_le_u32_e32 vcc_lo, v16, v7
	s_delay_alu instid0(VALU_DEP_2)
	v_add_nc_u32_e32 v5, v5, v8
	ds_bpermute_b32 v8, v15, v5
	s_wait_dscnt 0x0
	s_wait_alu 0xfffd
	v_cndmask_b32_e32 v8, 0, v8, vcc_lo
	v_cmp_le_u32_e32 vcc_lo, v20, v7
	s_delay_alu instid0(VALU_DEP_2)
	v_add_nc_u32_e32 v5, v5, v8
	ds_bpermute_b32 v8, v19, v5
	s_wait_dscnt 0x0
	s_wait_alu 0xfffd
	v_cndmask_b32_e32 v8, 0, v8, vcc_lo
	v_cmp_le_u32_e32 vcc_lo, v69, v7
	s_delay_alu instid0(VALU_DEP_2) | instskip(SKIP_4) | instid1(VALU_DEP_1)
	v_add_nc_u32_e32 v5, v5, v8
	ds_bpermute_b32 v8, v68, v5
	s_wait_dscnt 0x0
	s_wait_alu 0xfffd
	v_cndmask_b32_e32 v7, 0, v8, vcc_lo
	v_add3_u32 v5, v7, v2, v5
.LBB1529_54:                            ;   in Loop: Header=BB1529_55 Depth=1
	s_wait_alu 0xfffe
	s_and_b32 vcc_lo, exec_lo, s23
	s_wait_alu 0xfffe
	s_cbranch_vccnz .LBB1529_60
.LBB1529_55:                            ; =>This Loop Header: Depth=1
                                        ;     Child Loop BB1529_58 Depth 2
	v_and_b32_e32 v2, 0xff, v6
	s_mov_b32 s23, -1
                                        ; implicit-def: $vgpr6
	s_delay_alu instid0(VALU_DEP_1)
	v_cmp_ne_u16_e32 vcc_lo, 2, v2
	v_mov_b32_e32 v2, v5
                                        ; implicit-def: $vgpr5
	s_cmp_lg_u32 vcc_lo, exec_lo
	s_cbranch_scc1 .LBB1529_54
; %bb.56:                               ;   in Loop: Header=BB1529_55 Depth=1
	v_lshlrev_b64_e32 v[5:6], 3, v[3:4]
	s_mov_b32 s23, exec_lo
	s_delay_alu instid0(VALU_DEP_1) | instskip(SKIP_1) | instid1(VALU_DEP_2)
	v_add_co_u32 v7, vcc_lo, s20, v5
	s_wait_alu 0xfffd
	v_add_co_ci_u32_e64 v8, null, s21, v6, vcc_lo
	global_load_b64 v[5:6], v[7:8], off scope:SCOPE_DEV
	s_wait_loadcnt 0x0
	v_and_b32_e32 v70, 0xff, v6
	s_delay_alu instid0(VALU_DEP_1)
	v_cmpx_eq_u16_e32 0, v70
	s_cbranch_execz .LBB1529_53
; %bb.57:                               ;   in Loop: Header=BB1529_55 Depth=1
	s_mov_b32 s24, 0
.LBB1529_58:                            ;   Parent Loop BB1529_55 Depth=1
                                        ; =>  This Inner Loop Header: Depth=2
	global_load_b64 v[5:6], v[7:8], off scope:SCOPE_DEV
	s_wait_loadcnt 0x0
	v_and_b32_e32 v70, 0xff, v6
	s_delay_alu instid0(VALU_DEP_1) | instskip(SKIP_1) | instid1(SALU_CYCLE_1)
	v_cmp_ne_u16_e32 vcc_lo, 0, v70
	s_or_b32 s24, vcc_lo, s24
	s_and_not1_b32 exec_lo, exec_lo, s24
	s_cbranch_execnz .LBB1529_58
	s_branch .LBB1529_52
.LBB1529_59:
                                        ; implicit-def: $vgpr20
                                        ; implicit-def: $vgpr1_vgpr2_vgpr3_vgpr4_vgpr5_vgpr6_vgpr7_vgpr8_vgpr9_vgpr10_vgpr11_vgpr12_vgpr13_vgpr14_vgpr15_vgpr16
	s_wait_alu 0xfffe
	s_and_b32 vcc_lo, exec_lo, s7
	s_wait_alu 0xfffe
	s_cbranch_vccnz .LBB1529_65
	s_branch .LBB1529_74
.LBB1529_60:
	s_and_saveexec_b32 s23, s7
	s_cbranch_execz .LBB1529_62
; %bb.61:
	s_add_co_i32 s24, s15, 32
	s_mov_b32 s25, 0
	v_dual_mov_b32 v4, 2 :: v_dual_add_nc_u32 v3, v2, v1
	v_mov_b32_e32 v5, 0
	s_lshl_b64 s[24:25], s[24:25], 3
	s_delay_alu instid0(SALU_CYCLE_1)
	s_add_nc_u64 s[24:25], s[20:21], s[24:25]
	global_store_b64 v5, v[3:4], s[24:25] scope:SCOPE_DEV
	ds_store_b64 v5, v[1:2] offset:13312
.LBB1529_62:
	s_wait_alu 0xfffe
	s_or_b32 exec_lo, exec_lo, s23
	s_delay_alu instid0(SALU_CYCLE_1)
	s_and_b32 exec_lo, exec_lo, s2
; %bb.63:
	v_mov_b32_e32 v1, 0
	ds_store_b32 v1, v2 offset:28
.LBB1529_64:
	s_wait_alu 0xfffe
	s_or_b32 exec_lo, exec_lo, s8
	v_mov_b32_e32 v11, 0
	s_wait_storecnt 0x0
	s_wait_loadcnt_dscnt 0x0
	s_barrier_signal -1
	s_barrier_wait -1
	global_inv scope:SCOPE_SE
	ds_load_b32 v1, v11 offset:28
	v_cndmask_b32_e64 v2, v10, v9, s7
	s_wait_loadcnt_dscnt 0x0
	s_barrier_signal -1
	s_barrier_wait -1
	global_inv scope:SCOPE_SE
	v_cndmask_b32_e64 v2, v2, 0, s2
	s_delay_alu instid0(VALU_DEP_1) | instskip(NEXT) | instid1(VALU_DEP_1)
	v_add_nc_u32_e32 v1, v1, v2
	v_add_nc_u32_e32 v2, v1, v56
	ds_load_b64 v[19:20], v11 offset:13312
	v_add_nc_u32_e32 v3, v2, v57
	s_delay_alu instid0(VALU_DEP_1) | instskip(NEXT) | instid1(VALU_DEP_1)
	v_add_nc_u32_e32 v4, v3, v58
	v_add_nc_u32_e32 v5, v4, v55
	s_delay_alu instid0(VALU_DEP_1) | instskip(NEXT) | instid1(VALU_DEP_1)
	v_add_nc_u32_e32 v6, v5, v59
	;; [unrolled: 3-line block ×5, first 2 shown]
	v_add_nc_u32_e32 v13, v12, v51
	s_branch .LBB1529_74
.LBB1529_65:
	v_mov_b32_dpp v1, v67 row_shr:1 row_mask:0xf bank_mask:0xf
	s_delay_alu instid0(VALU_DEP_1) | instskip(NEXT) | instid1(VALU_DEP_1)
	v_cndmask_b32_e64 v1, v1, 0, s6
	v_add_nc_u32_e32 v1, v1, v67
	s_delay_alu instid0(VALU_DEP_1) | instskip(NEXT) | instid1(VALU_DEP_1)
	v_mov_b32_dpp v2, v1 row_shr:2 row_mask:0xf bank_mask:0xf
	v_cndmask_b32_e64 v2, 0, v2, s5
	s_delay_alu instid0(VALU_DEP_1) | instskip(NEXT) | instid1(VALU_DEP_1)
	v_add_nc_u32_e32 v1, v1, v2
	v_mov_b32_dpp v2, v1 row_shr:4 row_mask:0xf bank_mask:0xf
	s_delay_alu instid0(VALU_DEP_1) | instskip(NEXT) | instid1(VALU_DEP_1)
	v_cndmask_b32_e64 v2, 0, v2, s4
	v_add_nc_u32_e32 v1, v1, v2
	s_delay_alu instid0(VALU_DEP_1) | instskip(NEXT) | instid1(VALU_DEP_1)
	v_mov_b32_dpp v2, v1 row_shr:8 row_mask:0xf bank_mask:0xf
	v_cndmask_b32_e64 v2, 0, v2, s3
	s_delay_alu instid0(VALU_DEP_1) | instskip(SKIP_3) | instid1(VALU_DEP_1)
	v_add_nc_u32_e32 v1, v1, v2
	ds_swizzle_b32 v2, v1 offset:swizzle(BROADCAST,32,15)
	s_wait_dscnt 0x0
	v_cndmask_b32_e64 v2, v2, 0, s1
	v_add_nc_u32_e32 v1, v1, v2
	s_and_saveexec_b32 s1, s0
; %bb.66:
	v_lshlrev_b32_e32 v2, 2, v66
	ds_store_b32 v2, v1
; %bb.67:
	s_wait_alu 0xfffe
	s_or_b32 exec_lo, exec_lo, s1
	s_delay_alu instid0(SALU_CYCLE_1)
	s_mov_b32 s0, exec_lo
	s_wait_loadcnt_dscnt 0x0
	s_barrier_signal -1
	s_barrier_wait -1
	global_inv scope:SCOPE_SE
	v_cmpx_gt_u32_e32 8, v0
	s_cbranch_execz .LBB1529_69
; %bb.68:
	ds_load_b32 v2, v45
	s_wait_dscnt 0x0
	v_mov_b32_dpp v4, v2 row_shr:1 row_mask:0xf bank_mask:0xf
	v_and_b32_e32 v3, 7, v65
	s_delay_alu instid0(VALU_DEP_1) | instskip(SKIP_1) | instid1(VALU_DEP_3)
	v_cmp_ne_u32_e32 vcc_lo, 0, v3
	s_wait_alu 0xfffd
	v_cndmask_b32_e32 v4, 0, v4, vcc_lo
	v_cmp_lt_u32_e32 vcc_lo, 1, v3
	s_delay_alu instid0(VALU_DEP_2) | instskip(NEXT) | instid1(VALU_DEP_1)
	v_add_nc_u32_e32 v2, v4, v2
	v_mov_b32_dpp v4, v2 row_shr:2 row_mask:0xf bank_mask:0xf
	s_wait_alu 0xfffd
	s_delay_alu instid0(VALU_DEP_1) | instskip(SKIP_1) | instid1(VALU_DEP_2)
	v_cndmask_b32_e32 v4, 0, v4, vcc_lo
	v_cmp_lt_u32_e32 vcc_lo, 3, v3
	v_add_nc_u32_e32 v2, v2, v4
	s_delay_alu instid0(VALU_DEP_1) | instskip(SKIP_1) | instid1(VALU_DEP_1)
	v_mov_b32_dpp v4, v2 row_shr:4 row_mask:0xf bank_mask:0xf
	s_wait_alu 0xfffd
	v_cndmask_b32_e32 v3, 0, v4, vcc_lo
	s_delay_alu instid0(VALU_DEP_1)
	v_add_nc_u32_e32 v2, v2, v3
	ds_store_b32 v45, v2
.LBB1529_69:
	s_wait_alu 0xfffe
	s_or_b32 exec_lo, exec_lo, s0
	v_dual_mov_b32 v3, 0 :: v_dual_mov_b32 v2, 0
	s_mov_b32 s0, exec_lo
	s_wait_loadcnt_dscnt 0x0
	s_barrier_signal -1
	s_barrier_wait -1
	global_inv scope:SCOPE_SE
	v_cmpx_lt_u32_e32 31, v0
; %bb.70:
	v_lshl_add_u32 v2, v66, 2, -4
	ds_load_b32 v2, v2
; %bb.71:
	s_wait_alu 0xfffe
	s_or_b32 exec_lo, exec_lo, s0
	v_sub_co_u32 v4, vcc_lo, v65, 1
	s_wait_dscnt 0x0
	v_add_nc_u32_e32 v1, v2, v1
	ds_load_b32 v19, v3 offset:28
	v_cmp_gt_i32_e64 s0, 0, v4
	s_wait_alu 0xf1ff
	s_delay_alu instid0(VALU_DEP_1) | instskip(NEXT) | instid1(VALU_DEP_1)
	v_cndmask_b32_e64 v4, v4, v65, s0
	v_lshlrev_b32_e32 v4, 2, v4
	ds_bpermute_b32 v1, v4, v1
	s_and_saveexec_b32 s0, s2
	s_cbranch_execz .LBB1529_73
; %bb.72:
	v_dual_mov_b32 v3, 0 :: v_dual_mov_b32 v20, 2
	s_wait_dscnt 0x1
	global_store_b64 v3, v[19:20], s[20:21] offset:256 scope:SCOPE_DEV
.LBB1529_73:
	s_wait_alu 0xfffe
	s_or_b32 exec_lo, exec_lo, s0
	s_wait_dscnt 0x0
	s_wait_alu 0xfffd
	v_cndmask_b32_e32 v1, v1, v2, vcc_lo
	s_wait_loadcnt 0x0
	s_wait_storecnt 0x0
	s_barrier_signal -1
	s_barrier_wait -1
	global_inv scope:SCOPE_SE
	v_cndmask_b32_e64 v1, v1, 0, s2
	v_mov_b32_e32 v20, 0
	s_delay_alu instid0(VALU_DEP_2) | instskip(NEXT) | instid1(VALU_DEP_1)
	v_add_nc_u32_e32 v2, v1, v56
	v_add_nc_u32_e32 v3, v2, v57
	s_delay_alu instid0(VALU_DEP_1) | instskip(NEXT) | instid1(VALU_DEP_1)
	v_add_nc_u32_e32 v4, v3, v58
	v_add_nc_u32_e32 v5, v4, v55
	s_delay_alu instid0(VALU_DEP_1) | instskip(NEXT) | instid1(VALU_DEP_1)
	v_add_nc_u32_e32 v6, v5, v59
	v_add_nc_u32_e32 v7, v6, v60
	s_delay_alu instid0(VALU_DEP_1) | instskip(NEXT) | instid1(VALU_DEP_1)
	v_add_nc_u32_e32 v8, v7, v61
	v_add_nc_u32_e32 v9, v8, v53
	s_delay_alu instid0(VALU_DEP_1) | instskip(NEXT) | instid1(VALU_DEP_1)
	v_add_nc_u32_e32 v10, v9, v62
	v_add_nc_u32_e32 v11, v10, v63
	s_delay_alu instid0(VALU_DEP_1) | instskip(NEXT) | instid1(VALU_DEP_1)
	v_add_nc_u32_e32 v12, v11, v64
	v_add_nc_u32_e32 v13, v12, v51
.LBB1529_74:
	s_wait_dscnt 0x0
	v_sub_nc_u32_e32 v1, v1, v20
	v_sub_nc_u32_e32 v2, v2, v20
	v_add_nc_u32_e32 v48, v19, v48
	v_lshrrev_b32_e32 v58, 8, v54
	v_lshrrev_b32_e32 v57, 16, v54
	v_sub_nc_u32_e32 v4, v4, v20
	v_sub_nc_u32_e32 v3, v3, v20
	;; [unrolled: 1-line block ×3, first 2 shown]
	v_and_b32_e32 v54, 1, v54
	v_and_b32_e32 v58, 1, v58
	;; [unrolled: 1-line block ×3, first 2 shown]
	v_lshrrev_b32_e32 v56, 8, v52
	v_lshrrev_b32_e32 v16, 16, v52
	v_cmp_eq_u32_e32 vcc_lo, 1, v54
	v_and_b32_e32 v54, 1, v57
	v_sub_nc_u32_e32 v57, v48, v2
	v_lshrrev_b32_e32 v15, 8, v50
	v_lshrrev_b32_e32 v14, 16, v50
	s_wait_alu 0xfffd
	v_cndmask_b32_e32 v1, v59, v1, vcc_lo
	v_cmp_eq_u32_e32 vcc_lo, 1, v58
	v_add_nc_u32_e32 v57, 1, v57
	s_delay_alu instid0(VALU_DEP_3)
	v_lshlrev_b32_e32 v1, 2, v1
	ds_store_b32 v1, v31
	s_wait_alu 0xfffd
	v_cndmask_b32_e32 v1, v57, v2, vcc_lo
	v_sub_nc_u32_e32 v59, v48, v3
	v_sub_nc_u32_e32 v60, v48, v4
	v_cmp_eq_u32_e32 vcc_lo, 1, v54
	s_delay_alu instid0(VALU_DEP_4) | instskip(NEXT) | instid1(VALU_DEP_4)
	v_lshlrev_b32_e32 v1, 2, v1
	v_add_nc_u32_e32 v59, 2, v59
	s_delay_alu instid0(VALU_DEP_4)
	v_add_nc_u32_e32 v60, 3, v60
	ds_store_b32 v1, v32
	s_wait_alu 0xfffd
	v_cndmask_b32_e32 v2, v59, v3, vcc_lo
	v_cmp_eq_u32_e32 vcc_lo, 1, v55
	s_wait_alu 0xfffd
	s_delay_alu instid0(VALU_DEP_2) | instskip(SKIP_2) | instid1(VALU_DEP_3)
	v_dual_cndmask_b32 v3, v60, v4 :: v_dual_lshlrev_b32 v2, 2, v2
	v_sub_nc_u32_e32 v4, v5, v20
	v_sub_nc_u32_e32 v5, v6, v20
	v_lshlrev_b32_e32 v3, 2, v3
	s_delay_alu instid0(VALU_DEP_3) | instskip(NEXT) | instid1(VALU_DEP_3)
	v_sub_nc_u32_e32 v1, v48, v4
	v_sub_nc_u32_e32 v6, v48, v5
	ds_store_b32 v2, v29
	ds_store_b32 v3, v30
	v_and_b32_e32 v2, 1, v52
	v_add_nc_u32_e32 v1, 4, v1
	v_add_nc_u32_e32 v3, 5, v6
	v_sub_nc_u32_e32 v6, v7, v20
	v_and_b32_e32 v7, 1, v56
	v_cmp_eq_u32_e32 vcc_lo, 1, v2
	v_sub_nc_u32_e32 v2, v8, v20
	s_wait_alu 0xfffd
	v_dual_cndmask_b32 v1, v1, v4 :: v_dual_and_b32 v8, 1, v53
	v_sub_nc_u32_e32 v4, v48, v6
	v_cmp_eq_u32_e32 vcc_lo, 1, v7
	v_and_b32_e32 v7, 1, v16
	s_delay_alu instid0(VALU_DEP_4)
	v_lshlrev_b32_e32 v1, 2, v1
	s_wait_alu 0xfffd
	v_dual_cndmask_b32 v3, v3, v5 :: v_dual_add_nc_u32 v4, 6, v4
	v_sub_nc_u32_e32 v5, v48, v2
	v_cmp_eq_u32_e32 vcc_lo, 1, v7
	v_sub_nc_u32_e32 v7, v13, v20
	s_delay_alu instid0(VALU_DEP_4)
	v_lshlrev_b32_e32 v3, 2, v3
	s_wait_alu 0xfffd
	v_dual_cndmask_b32 v4, v4, v6 :: v_dual_add_nc_u32 v5, 7, v5
	v_cmp_eq_u32_e32 vcc_lo, 1, v8
	v_sub_nc_u32_e32 v6, v9, v20
	ds_store_b32 v1, v27
	ds_store_b32 v3, v28
	s_wait_alu 0xfffd
	v_dual_cndmask_b32 v2, v5, v2 :: v_dual_lshlrev_b32 v3, 2, v4
	v_sub_nc_u32_e32 v1, v48, v6
	v_and_b32_e32 v5, 1, v50
	v_sub_nc_u32_e32 v4, v10, v20
	v_and_b32_e32 v10, 1, v51
	v_lshlrev_b32_e32 v2, 2, v2
	v_add_nc_u32_e32 v1, 8, v1
	ds_store_b32 v3, v25
	ds_store_b32 v2, v26
	v_cmp_eq_u32_e32 vcc_lo, 1, v5
	v_sub_nc_u32_e32 v3, v11, v20
	v_sub_nc_u32_e32 v2, v48, v4
	v_sub_nc_u32_e32 v5, v12, v20
	v_and_b32_e32 v11, 1, v49
	s_wait_alu 0xfffd
	v_dual_cndmask_b32 v1, v1, v6 :: v_dual_and_b32 v6, 1, v15
	v_sub_nc_u32_e32 v8, v48, v3
	v_add_nc_u32_e32 v2, 9, v2
	v_sub_nc_u32_e32 v9, v48, v5
	s_delay_alu instid0(VALU_DEP_4)
	v_lshlrev_b32_e32 v1, 2, v1
	v_cmp_eq_u32_e32 vcc_lo, 1, v6
	v_add_nc_u32_e32 v6, 10, v8
	v_and_b32_e32 v8, 1, v14
	v_add_nc_u32_e32 v9, 11, v9
	v_add_co_u32 v15, s0, v17, v20
	s_wait_alu 0xfffd
	v_cndmask_b32_e32 v2, v2, v4, vcc_lo
	v_cmp_eq_u32_e32 vcc_lo, 1, v8
	v_sub_nc_u32_e32 v4, v48, v7
	s_wait_alu 0xf1ff
	v_add_co_ci_u32_e64 v16, null, 0, v18, s0
	s_wait_alu 0xfffd
	v_dual_cndmask_b32 v3, v6, v3 :: v_dual_lshlrev_b32 v2, 2, v2
	v_cmp_eq_u32_e32 vcc_lo, 1, v10
	v_add_nc_u32_e32 v4, 12, v4
	s_delay_alu instid0(VALU_DEP_3) | instskip(SKIP_4) | instid1(VALU_DEP_2)
	v_lshlrev_b32_e32 v3, 2, v3
	s_wait_alu 0xfffd
	v_cndmask_b32_e32 v5, v9, v5, vcc_lo
	v_cmp_eq_u32_e32 vcc_lo, 1, v11
	s_wait_alu 0xfffd
	v_dual_cndmask_b32 v4, v4, v7 :: v_dual_lshlrev_b32 v5, 2, v5
	v_cmp_ne_u32_e32 vcc_lo, 1, v46
	s_delay_alu instid0(VALU_DEP_2)
	v_lshlrev_b32_e32 v4, 2, v4
	ds_store_b32 v1, v23
	ds_store_b32 v2, v24
	;; [unrolled: 1-line block ×5, first 2 shown]
	s_wait_loadcnt_dscnt 0x0
	s_barrier_signal -1
	s_barrier_wait -1
	global_inv scope:SCOPE_SE
	ds_load_2addr_stride64_b32 v[11:12], v45 offset1:4
	ds_load_2addr_stride64_b32 v[9:10], v45 offset0:8 offset1:12
	ds_load_2addr_stride64_b32 v[7:8], v45 offset0:16 offset1:20
	;; [unrolled: 1-line block ×5, first 2 shown]
	ds_load_b32 v21, v45 offset:12288
	s_cbranch_vccnz .LBB1529_131
; %bb.75:
	s_mov_b32 s15, 0
	v_sub_co_u32 v13, vcc_lo, v15, s16
	s_wait_alu 0xfffe
	s_sub_nc_u64 s[0:1], s[18:19], s[14:15]
	s_wait_alu 0xfffd
	v_subrev_co_ci_u32_e64 v14, null, s17, v16, vcc_lo
	s_wait_alu 0xfffe
	v_add_co_u32 v17, s0, s0, v19
	s_wait_alu 0xf1ff
	v_add_co_ci_u32_e64 v18, null, s1, 0, s0
	s_mov_b32 s0, exec_lo
	v_add_co_u32 v17, vcc_lo, v17, v13
	s_wait_alu 0xfffd
	v_add_co_ci_u32_e64 v18, null, v18, v14, vcc_lo
                                        ; implicit-def: $vgpr13_vgpr14
	v_cmpx_ge_u32_e64 v0, v19
	s_wait_alu 0xfffe
	s_xor_b32 s0, exec_lo, s0
; %bb.76:
	v_not_b32_e32 v13, v0
	s_delay_alu instid0(VALU_DEP_1) | instskip(SKIP_2) | instid1(VALU_DEP_2)
	v_ashrrev_i32_e32 v14, 31, v13
	v_add_co_u32 v13, vcc_lo, v17, v13
	s_wait_alu 0xfffd
	v_add_co_ci_u32_e64 v14, null, v18, v14, vcc_lo
; %bb.77:
	s_wait_alu 0xfffe
	s_and_not1_saveexec_b32 s0, s0
; %bb.78:
	v_add_co_u32 v13, vcc_lo, v15, v0
	s_wait_alu 0xfffd
	v_add_co_ci_u32_e64 v14, null, 0, v16, vcc_lo
; %bb.79:
	s_wait_alu 0xfffe
	s_or_b32 exec_lo, exec_lo, s0
	s_delay_alu instid0(VALU_DEP_1) | instskip(SKIP_1) | instid1(VALU_DEP_1)
	v_lshlrev_b64_e32 v[13:14], 2, v[13:14]
	s_mov_b32 s0, exec_lo
	v_add_co_u32 v13, vcc_lo, s10, v13
	s_wait_alu 0xfffd
	s_delay_alu instid0(VALU_DEP_2)
	v_add_co_ci_u32_e64 v14, null, s11, v14, vcc_lo
	s_wait_dscnt 0x6
	global_store_b32 v[13:14], v11, off
                                        ; implicit-def: $vgpr13_vgpr14
	v_cmpx_ge_u32_e64 v44, v19
	s_wait_alu 0xfffe
	s_xor_b32 s0, exec_lo, s0
; %bb.80:
	v_xor_b32_e32 v13, 0xfffffeff, v0
	s_delay_alu instid0(VALU_DEP_1) | instskip(SKIP_2) | instid1(VALU_DEP_2)
	v_ashrrev_i32_e32 v14, 31, v13
	v_add_co_u32 v13, vcc_lo, v17, v13
	s_wait_alu 0xfffd
	v_add_co_ci_u32_e64 v14, null, v18, v14, vcc_lo
; %bb.81:
	s_wait_alu 0xfffe
	s_and_not1_saveexec_b32 s0, s0
; %bb.82:
	v_add_co_u32 v13, vcc_lo, v15, v44
	s_wait_alu 0xfffd
	v_add_co_ci_u32_e64 v14, null, 0, v16, vcc_lo
; %bb.83:
	s_wait_alu 0xfffe
	s_or_b32 exec_lo, exec_lo, s0
	s_delay_alu instid0(VALU_DEP_1) | instskip(SKIP_1) | instid1(VALU_DEP_1)
	v_lshlrev_b64_e32 v[13:14], 2, v[13:14]
	s_mov_b32 s0, exec_lo
	v_add_co_u32 v13, vcc_lo, s10, v13
	s_wait_alu 0xfffd
	s_delay_alu instid0(VALU_DEP_2)
	v_add_co_ci_u32_e64 v14, null, s11, v14, vcc_lo
	global_store_b32 v[13:14], v12, off
                                        ; implicit-def: $vgpr13_vgpr14
	v_cmpx_ge_u32_e64 v43, v19
	s_wait_alu 0xfffe
	s_xor_b32 s0, exec_lo, s0
; %bb.84:
	v_xor_b32_e32 v13, 0xfffffdff, v0
	s_delay_alu instid0(VALU_DEP_1) | instskip(SKIP_2) | instid1(VALU_DEP_2)
	v_ashrrev_i32_e32 v14, 31, v13
	v_add_co_u32 v13, vcc_lo, v17, v13
	s_wait_alu 0xfffd
	v_add_co_ci_u32_e64 v14, null, v18, v14, vcc_lo
; %bb.85:
	s_wait_alu 0xfffe
	s_and_not1_saveexec_b32 s0, s0
; %bb.86:
	v_add_co_u32 v13, vcc_lo, v15, v43
	s_wait_alu 0xfffd
	v_add_co_ci_u32_e64 v14, null, 0, v16, vcc_lo
; %bb.87:
	s_wait_alu 0xfffe
	s_or_b32 exec_lo, exec_lo, s0
	s_delay_alu instid0(VALU_DEP_1) | instskip(SKIP_1) | instid1(VALU_DEP_1)
	v_lshlrev_b64_e32 v[13:14], 2, v[13:14]
	s_mov_b32 s0, exec_lo
	v_add_co_u32 v13, vcc_lo, s10, v13
	s_wait_alu 0xfffd
	s_delay_alu instid0(VALU_DEP_2)
	v_add_co_ci_u32_e64 v14, null, s11, v14, vcc_lo
	s_wait_dscnt 0x5
	global_store_b32 v[13:14], v9, off
                                        ; implicit-def: $vgpr13_vgpr14
	v_cmpx_ge_u32_e64 v42, v19
	s_wait_alu 0xfffe
	s_xor_b32 s0, exec_lo, s0
; %bb.88:
	v_xor_b32_e32 v13, 0xfffffcff, v0
	s_delay_alu instid0(VALU_DEP_1) | instskip(SKIP_2) | instid1(VALU_DEP_2)
	v_ashrrev_i32_e32 v14, 31, v13
	v_add_co_u32 v13, vcc_lo, v17, v13
	s_wait_alu 0xfffd
	v_add_co_ci_u32_e64 v14, null, v18, v14, vcc_lo
; %bb.89:
	s_wait_alu 0xfffe
	s_and_not1_saveexec_b32 s0, s0
; %bb.90:
	v_add_co_u32 v13, vcc_lo, v15, v42
	s_wait_alu 0xfffd
	v_add_co_ci_u32_e64 v14, null, 0, v16, vcc_lo
; %bb.91:
	s_wait_alu 0xfffe
	s_or_b32 exec_lo, exec_lo, s0
	s_delay_alu instid0(VALU_DEP_1) | instskip(SKIP_1) | instid1(VALU_DEP_1)
	v_lshlrev_b64_e32 v[13:14], 2, v[13:14]
	s_mov_b32 s0, exec_lo
	v_add_co_u32 v13, vcc_lo, s10, v13
	s_wait_alu 0xfffd
	s_delay_alu instid0(VALU_DEP_2)
	v_add_co_ci_u32_e64 v14, null, s11, v14, vcc_lo
	global_store_b32 v[13:14], v10, off
                                        ; implicit-def: $vgpr13_vgpr14
	v_cmpx_ge_u32_e64 v41, v19
	s_wait_alu 0xfffe
	s_xor_b32 s0, exec_lo, s0
; %bb.92:
	v_xor_b32_e32 v13, 0xfffffbff, v0
	;; [unrolled: 59-line block ×6, first 2 shown]
	s_delay_alu instid0(VALU_DEP_1) | instskip(SKIP_2) | instid1(VALU_DEP_2)
	v_ashrrev_i32_e32 v14, 31, v13
	v_add_co_u32 v13, vcc_lo, v17, v13
	s_wait_alu 0xfffd
	v_add_co_ci_u32_e64 v14, null, v18, v14, vcc_lo
; %bb.125:
	s_wait_alu 0xfffe
	s_and_not1_saveexec_b32 s0, s0
; %bb.126:
	v_add_co_u32 v13, vcc_lo, v15, v33
	s_wait_alu 0xfffd
	v_add_co_ci_u32_e64 v14, null, 0, v16, vcc_lo
; %bb.127:
	s_wait_alu 0xfffe
	s_or_b32 exec_lo, exec_lo, s0
	s_mov_b32 s0, -1
.LBB1529_128:
	s_wait_alu 0xfffe
	s_and_saveexec_b32 s1, s0
	s_cbranch_execz .LBB1529_211
.LBB1529_129:
	s_wait_dscnt 0x1
	v_lshlrev_b64_e32 v[0:1], 2, v[13:14]
	s_delay_alu instid0(VALU_DEP_1) | instskip(SKIP_1) | instid1(VALU_DEP_2)
	v_add_co_u32 v0, vcc_lo, s10, v0
	s_wait_alu 0xfffd
	v_add_co_ci_u32_e64 v1, null, s11, v1, vcc_lo
	s_wait_dscnt 0x0
	global_store_b32 v[0:1], v21, off
	s_wait_alu 0xfffe
	s_or_b32 exec_lo, exec_lo, s1
	s_and_b32 s0, s2, s9
	s_wait_alu 0xfffe
	s_and_saveexec_b32 s1, s0
	s_cbranch_execnz .LBB1529_212
.LBB1529_130:
	s_endpgm
.LBB1529_131:
	s_mov_b32 s0, 0
                                        ; implicit-def: $vgpr13_vgpr14
	s_cbranch_execz .LBB1529_128
; %bb.132:
	s_mov_b32 s15, 0
	s_wait_alu 0xfffe
	s_add_nc_u64 s[4:5], s[16:17], s[14:15]
	s_wait_alu 0xfffe
	s_sub_nc_u64 s[4:5], s[18:19], s[4:5]
	s_wait_alu 0xfffe
	v_add_co_u32 v13, s1, s4, v19
	s_wait_alu 0xf1ff
	v_add_co_ci_u32_e64 v14, null, s5, 0, s1
	s_mov_b32 s1, exec_lo
	v_add_co_u32 v17, vcc_lo, v13, v15
	s_wait_alu 0xfffd
	v_add_co_ci_u32_e64 v18, null, v14, v16, vcc_lo
	v_cmpx_gt_u32_e64 s22, v0
	s_cbranch_execz .LBB1529_168
; %bb.133:
	s_mov_b32 s3, exec_lo
                                        ; implicit-def: $vgpr13_vgpr14
	v_cmpx_ge_u32_e64 v0, v19
	s_wait_alu 0xfffe
	s_xor_b32 s3, exec_lo, s3
; %bb.134:
	v_not_b32_e32 v13, v0
	s_delay_alu instid0(VALU_DEP_1) | instskip(SKIP_2) | instid1(VALU_DEP_2)
	v_ashrrev_i32_e32 v14, 31, v13
	v_add_co_u32 v13, vcc_lo, v17, v13
	s_wait_alu 0xfffd
	v_add_co_ci_u32_e64 v14, null, v18, v14, vcc_lo
; %bb.135:
	s_wait_alu 0xfffe
	s_and_not1_saveexec_b32 s3, s3
; %bb.136:
	v_add_co_u32 v13, vcc_lo, v15, v0
	s_wait_alu 0xfffd
	v_add_co_ci_u32_e64 v14, null, 0, v16, vcc_lo
; %bb.137:
	s_wait_alu 0xfffe
	s_or_b32 exec_lo, exec_lo, s3
	s_delay_alu instid0(VALU_DEP_1) | instskip(NEXT) | instid1(VALU_DEP_1)
	v_lshlrev_b64_e32 v[13:14], 2, v[13:14]
	v_add_co_u32 v13, vcc_lo, s10, v13
	s_wait_alu 0xfffd
	s_delay_alu instid0(VALU_DEP_2) | instskip(SKIP_3) | instid1(SALU_CYCLE_1)
	v_add_co_ci_u32_e64 v14, null, s11, v14, vcc_lo
	s_wait_dscnt 0x6
	global_store_b32 v[13:14], v11, off
	s_or_b32 exec_lo, exec_lo, s1
	s_mov_b32 s1, exec_lo
	v_cmpx_gt_u32_e64 s22, v44
	s_cbranch_execnz .LBB1529_169
.LBB1529_138:
	s_wait_alu 0xfffe
	s_or_b32 exec_lo, exec_lo, s1
	s_delay_alu instid0(SALU_CYCLE_1)
	s_mov_b32 s1, exec_lo
	v_cmpx_gt_u32_e64 s22, v43
	s_cbranch_execz .LBB1529_174
.LBB1529_139:
	s_mov_b32 s3, exec_lo
                                        ; implicit-def: $vgpr11_vgpr12
	v_cmpx_ge_u32_e64 v43, v19
	s_wait_alu 0xfffe
	s_xor_b32 s3, exec_lo, s3
	s_cbranch_execz .LBB1529_141
; %bb.140:
	s_wait_dscnt 0x6
	v_xor_b32_e32 v11, 0xfffffdff, v0
                                        ; implicit-def: $vgpr43
	s_delay_alu instid0(VALU_DEP_1) | instskip(SKIP_2) | instid1(VALU_DEP_2)
	v_ashrrev_i32_e32 v12, 31, v11
	v_add_co_u32 v11, vcc_lo, v17, v11
	s_wait_alu 0xfffd
	v_add_co_ci_u32_e64 v12, null, v18, v12, vcc_lo
.LBB1529_141:
	s_wait_alu 0xfffe
	s_and_not1_saveexec_b32 s3, s3
	s_cbranch_execz .LBB1529_143
; %bb.142:
	s_wait_dscnt 0x6
	v_add_co_u32 v11, vcc_lo, v15, v43
	s_wait_alu 0xfffd
	v_add_co_ci_u32_e64 v12, null, 0, v16, vcc_lo
.LBB1529_143:
	s_wait_alu 0xfffe
	s_or_b32 exec_lo, exec_lo, s3
	s_wait_dscnt 0x6
	s_delay_alu instid0(VALU_DEP_1) | instskip(NEXT) | instid1(VALU_DEP_1)
	v_lshlrev_b64_e32 v[11:12], 2, v[11:12]
	v_add_co_u32 v11, vcc_lo, s10, v11
	s_wait_alu 0xfffd
	s_delay_alu instid0(VALU_DEP_2) | instskip(SKIP_3) | instid1(SALU_CYCLE_1)
	v_add_co_ci_u32_e64 v12, null, s11, v12, vcc_lo
	s_wait_dscnt 0x5
	global_store_b32 v[11:12], v9, off
	s_or_b32 exec_lo, exec_lo, s1
	s_mov_b32 s1, exec_lo
	v_cmpx_gt_u32_e64 s22, v42
	s_cbranch_execnz .LBB1529_175
.LBB1529_144:
	s_wait_alu 0xfffe
	s_or_b32 exec_lo, exec_lo, s1
	s_delay_alu instid0(SALU_CYCLE_1)
	s_mov_b32 s1, exec_lo
	v_cmpx_gt_u32_e64 s22, v41
	s_cbranch_execz .LBB1529_180
.LBB1529_145:
	s_mov_b32 s3, exec_lo
                                        ; implicit-def: $vgpr9_vgpr10
	v_cmpx_ge_u32_e64 v41, v19
	s_wait_alu 0xfffe
	s_xor_b32 s3, exec_lo, s3
	s_cbranch_execz .LBB1529_147
; %bb.146:
	s_wait_dscnt 0x5
	v_xor_b32_e32 v9, 0xfffffbff, v0
                                        ; implicit-def: $vgpr41
	s_delay_alu instid0(VALU_DEP_1) | instskip(SKIP_2) | instid1(VALU_DEP_2)
	v_ashrrev_i32_e32 v10, 31, v9
	v_add_co_u32 v9, vcc_lo, v17, v9
	s_wait_alu 0xfffd
	v_add_co_ci_u32_e64 v10, null, v18, v10, vcc_lo
.LBB1529_147:
	s_wait_alu 0xfffe
	s_and_not1_saveexec_b32 s3, s3
	s_cbranch_execz .LBB1529_149
; %bb.148:
	s_wait_dscnt 0x5
	v_add_co_u32 v9, vcc_lo, v15, v41
	s_wait_alu 0xfffd
	v_add_co_ci_u32_e64 v10, null, 0, v16, vcc_lo
.LBB1529_149:
	s_wait_alu 0xfffe
	s_or_b32 exec_lo, exec_lo, s3
	s_wait_dscnt 0x5
	s_delay_alu instid0(VALU_DEP_1) | instskip(NEXT) | instid1(VALU_DEP_1)
	v_lshlrev_b64_e32 v[9:10], 2, v[9:10]
	v_add_co_u32 v9, vcc_lo, s10, v9
	s_wait_alu 0xfffd
	s_delay_alu instid0(VALU_DEP_2) | instskip(SKIP_3) | instid1(SALU_CYCLE_1)
	v_add_co_ci_u32_e64 v10, null, s11, v10, vcc_lo
	s_wait_dscnt 0x4
	global_store_b32 v[9:10], v7, off
	s_or_b32 exec_lo, exec_lo, s1
	s_mov_b32 s1, exec_lo
	v_cmpx_gt_u32_e64 s22, v40
	s_cbranch_execnz .LBB1529_181
.LBB1529_150:
	s_wait_alu 0xfffe
	s_or_b32 exec_lo, exec_lo, s1
	s_delay_alu instid0(SALU_CYCLE_1)
	s_mov_b32 s1, exec_lo
	v_cmpx_gt_u32_e64 s22, v39
	s_cbranch_execz .LBB1529_186
.LBB1529_151:
	s_mov_b32 s3, exec_lo
                                        ; implicit-def: $vgpr7_vgpr8
	v_cmpx_ge_u32_e64 v39, v19
	s_wait_alu 0xfffe
	s_xor_b32 s3, exec_lo, s3
	s_cbranch_execz .LBB1529_153
; %bb.152:
	s_wait_dscnt 0x4
	v_xor_b32_e32 v7, 0xfffff9ff, v0
                                        ; implicit-def: $vgpr39
	s_delay_alu instid0(VALU_DEP_1) | instskip(SKIP_2) | instid1(VALU_DEP_2)
	v_ashrrev_i32_e32 v8, 31, v7
	v_add_co_u32 v7, vcc_lo, v17, v7
	s_wait_alu 0xfffd
	v_add_co_ci_u32_e64 v8, null, v18, v8, vcc_lo
.LBB1529_153:
	s_wait_alu 0xfffe
	s_and_not1_saveexec_b32 s3, s3
	s_cbranch_execz .LBB1529_155
; %bb.154:
	s_wait_dscnt 0x4
	v_add_co_u32 v7, vcc_lo, v15, v39
	s_wait_alu 0xfffd
	v_add_co_ci_u32_e64 v8, null, 0, v16, vcc_lo
.LBB1529_155:
	s_wait_alu 0xfffe
	s_or_b32 exec_lo, exec_lo, s3
	s_wait_dscnt 0x4
	s_delay_alu instid0(VALU_DEP_1) | instskip(NEXT) | instid1(VALU_DEP_1)
	v_lshlrev_b64_e32 v[7:8], 2, v[7:8]
	v_add_co_u32 v7, vcc_lo, s10, v7
	s_wait_alu 0xfffd
	s_delay_alu instid0(VALU_DEP_2) | instskip(SKIP_3) | instid1(SALU_CYCLE_1)
	v_add_co_ci_u32_e64 v8, null, s11, v8, vcc_lo
	s_wait_dscnt 0x3
	global_store_b32 v[7:8], v5, off
	s_or_b32 exec_lo, exec_lo, s1
	s_mov_b32 s1, exec_lo
	v_cmpx_gt_u32_e64 s22, v38
	s_cbranch_execnz .LBB1529_187
.LBB1529_156:
	s_wait_alu 0xfffe
	s_or_b32 exec_lo, exec_lo, s1
	s_delay_alu instid0(SALU_CYCLE_1)
	s_mov_b32 s1, exec_lo
	v_cmpx_gt_u32_e64 s22, v37
	s_cbranch_execz .LBB1529_192
.LBB1529_157:
	s_mov_b32 s3, exec_lo
                                        ; implicit-def: $vgpr5_vgpr6
	v_cmpx_ge_u32_e64 v37, v19
	s_wait_alu 0xfffe
	s_xor_b32 s3, exec_lo, s3
	s_cbranch_execz .LBB1529_159
; %bb.158:
	s_wait_dscnt 0x3
	v_xor_b32_e32 v5, 0xfffff7ff, v0
                                        ; implicit-def: $vgpr37
	s_delay_alu instid0(VALU_DEP_1) | instskip(SKIP_2) | instid1(VALU_DEP_2)
	v_ashrrev_i32_e32 v6, 31, v5
	v_add_co_u32 v5, vcc_lo, v17, v5
	s_wait_alu 0xfffd
	v_add_co_ci_u32_e64 v6, null, v18, v6, vcc_lo
.LBB1529_159:
	s_wait_alu 0xfffe
	s_and_not1_saveexec_b32 s3, s3
	s_cbranch_execz .LBB1529_161
; %bb.160:
	s_wait_dscnt 0x3
	v_add_co_u32 v5, vcc_lo, v15, v37
	s_wait_alu 0xfffd
	v_add_co_ci_u32_e64 v6, null, 0, v16, vcc_lo
.LBB1529_161:
	s_wait_alu 0xfffe
	s_or_b32 exec_lo, exec_lo, s3
	s_wait_dscnt 0x3
	s_delay_alu instid0(VALU_DEP_1) | instskip(NEXT) | instid1(VALU_DEP_1)
	v_lshlrev_b64_e32 v[5:6], 2, v[5:6]
	v_add_co_u32 v5, vcc_lo, s10, v5
	s_wait_alu 0xfffd
	s_delay_alu instid0(VALU_DEP_2) | instskip(SKIP_3) | instid1(SALU_CYCLE_1)
	v_add_co_ci_u32_e64 v6, null, s11, v6, vcc_lo
	s_wait_dscnt 0x2
	global_store_b32 v[5:6], v3, off
	s_or_b32 exec_lo, exec_lo, s1
	s_mov_b32 s1, exec_lo
	v_cmpx_gt_u32_e64 s22, v36
	s_cbranch_execnz .LBB1529_193
.LBB1529_162:
	s_wait_alu 0xfffe
	s_or_b32 exec_lo, exec_lo, s1
	s_delay_alu instid0(SALU_CYCLE_1)
	s_mov_b32 s1, exec_lo
	v_cmpx_gt_u32_e64 s22, v35
	s_cbranch_execz .LBB1529_198
.LBB1529_163:
	s_mov_b32 s3, exec_lo
                                        ; implicit-def: $vgpr3_vgpr4
	v_cmpx_ge_u32_e64 v35, v19
	s_wait_alu 0xfffe
	s_xor_b32 s3, exec_lo, s3
	s_cbranch_execz .LBB1529_165
; %bb.164:
	s_wait_dscnt 0x2
	v_xor_b32_e32 v3, 0xfffff5ff, v0
                                        ; implicit-def: $vgpr35
	s_delay_alu instid0(VALU_DEP_1) | instskip(SKIP_2) | instid1(VALU_DEP_2)
	v_ashrrev_i32_e32 v4, 31, v3
	v_add_co_u32 v3, vcc_lo, v17, v3
	s_wait_alu 0xfffd
	v_add_co_ci_u32_e64 v4, null, v18, v4, vcc_lo
.LBB1529_165:
	s_wait_alu 0xfffe
	s_and_not1_saveexec_b32 s3, s3
	s_cbranch_execz .LBB1529_167
; %bb.166:
	s_wait_dscnt 0x2
	v_add_co_u32 v3, vcc_lo, v15, v35
	s_wait_alu 0xfffd
	v_add_co_ci_u32_e64 v4, null, 0, v16, vcc_lo
.LBB1529_167:
	s_wait_alu 0xfffe
	s_or_b32 exec_lo, exec_lo, s3
	s_wait_dscnt 0x2
	s_delay_alu instid0(VALU_DEP_1) | instskip(NEXT) | instid1(VALU_DEP_1)
	v_lshlrev_b64_e32 v[3:4], 2, v[3:4]
	v_add_co_u32 v3, vcc_lo, s10, v3
	s_wait_alu 0xfffd
	s_delay_alu instid0(VALU_DEP_2) | instskip(SKIP_3) | instid1(SALU_CYCLE_1)
	v_add_co_ci_u32_e64 v4, null, s11, v4, vcc_lo
	s_wait_dscnt 0x1
	global_store_b32 v[3:4], v1, off
	s_or_b32 exec_lo, exec_lo, s1
	s_mov_b32 s1, exec_lo
	v_cmpx_gt_u32_e64 s22, v34
	s_cbranch_execz .LBB1529_204
	s_branch .LBB1529_199
.LBB1529_168:
	s_wait_alu 0xfffe
	s_or_b32 exec_lo, exec_lo, s1
	s_delay_alu instid0(SALU_CYCLE_1)
	s_mov_b32 s1, exec_lo
	v_cmpx_gt_u32_e64 s22, v44
	s_cbranch_execz .LBB1529_138
.LBB1529_169:
	s_mov_b32 s3, exec_lo
                                        ; implicit-def: $vgpr13_vgpr14
	v_cmpx_ge_u32_e64 v44, v19
	s_wait_alu 0xfffe
	s_xor_b32 s3, exec_lo, s3
	s_cbranch_execz .LBB1529_171
; %bb.170:
	s_wait_dscnt 0x6
	v_xor_b32_e32 v11, 0xfffffeff, v0
                                        ; implicit-def: $vgpr44
	s_delay_alu instid0(VALU_DEP_1) | instskip(SKIP_2) | instid1(VALU_DEP_2)
	v_ashrrev_i32_e32 v14, 31, v11
	v_add_co_u32 v13, vcc_lo, v17, v11
	s_wait_alu 0xfffd
	v_add_co_ci_u32_e64 v14, null, v18, v14, vcc_lo
.LBB1529_171:
	s_wait_alu 0xfffe
	s_and_not1_saveexec_b32 s3, s3
; %bb.172:
	v_add_co_u32 v13, vcc_lo, v15, v44
	s_wait_alu 0xfffd
	v_add_co_ci_u32_e64 v14, null, 0, v16, vcc_lo
; %bb.173:
	s_wait_alu 0xfffe
	s_or_b32 exec_lo, exec_lo, s3
	s_delay_alu instid0(VALU_DEP_1) | instskip(NEXT) | instid1(VALU_DEP_1)
	v_lshlrev_b64_e32 v[13:14], 2, v[13:14]
	v_add_co_u32 v13, vcc_lo, s10, v13
	s_wait_alu 0xfffd
	s_delay_alu instid0(VALU_DEP_2) | instskip(SKIP_3) | instid1(SALU_CYCLE_1)
	v_add_co_ci_u32_e64 v14, null, s11, v14, vcc_lo
	s_wait_dscnt 0x6
	global_store_b32 v[13:14], v12, off
	s_or_b32 exec_lo, exec_lo, s1
	s_mov_b32 s1, exec_lo
	v_cmpx_gt_u32_e64 s22, v43
	s_cbranch_execnz .LBB1529_139
.LBB1529_174:
	s_wait_alu 0xfffe
	s_or_b32 exec_lo, exec_lo, s1
	s_delay_alu instid0(SALU_CYCLE_1)
	s_mov_b32 s1, exec_lo
	v_cmpx_gt_u32_e64 s22, v42
	s_cbranch_execz .LBB1529_144
.LBB1529_175:
	s_mov_b32 s3, exec_lo
                                        ; implicit-def: $vgpr11_vgpr12
	v_cmpx_ge_u32_e64 v42, v19
	s_wait_alu 0xfffe
	s_xor_b32 s3, exec_lo, s3
	s_cbranch_execz .LBB1529_177
; %bb.176:
	s_wait_dscnt 0x5
	v_xor_b32_e32 v9, 0xfffffcff, v0
                                        ; implicit-def: $vgpr42
	s_delay_alu instid0(VALU_DEP_1) | instskip(SKIP_2) | instid1(VALU_DEP_2)
	v_ashrrev_i32_e32 v12, 31, v9
	v_add_co_u32 v11, vcc_lo, v17, v9
	s_wait_alu 0xfffd
	v_add_co_ci_u32_e64 v12, null, v18, v12, vcc_lo
.LBB1529_177:
	s_wait_alu 0xfffe
	s_and_not1_saveexec_b32 s3, s3
	s_cbranch_execz .LBB1529_179
; %bb.178:
	s_wait_dscnt 0x6
	v_add_co_u32 v11, vcc_lo, v15, v42
	s_wait_alu 0xfffd
	v_add_co_ci_u32_e64 v12, null, 0, v16, vcc_lo
.LBB1529_179:
	s_wait_alu 0xfffe
	s_or_b32 exec_lo, exec_lo, s3
	s_wait_dscnt 0x6
	s_delay_alu instid0(VALU_DEP_1) | instskip(NEXT) | instid1(VALU_DEP_1)
	v_lshlrev_b64_e32 v[11:12], 2, v[11:12]
	v_add_co_u32 v11, vcc_lo, s10, v11
	s_wait_alu 0xfffd
	s_delay_alu instid0(VALU_DEP_2) | instskip(SKIP_3) | instid1(SALU_CYCLE_1)
	v_add_co_ci_u32_e64 v12, null, s11, v12, vcc_lo
	s_wait_dscnt 0x5
	global_store_b32 v[11:12], v10, off
	s_or_b32 exec_lo, exec_lo, s1
	s_mov_b32 s1, exec_lo
	v_cmpx_gt_u32_e64 s22, v41
	s_cbranch_execnz .LBB1529_145
.LBB1529_180:
	s_wait_alu 0xfffe
	s_or_b32 exec_lo, exec_lo, s1
	s_delay_alu instid0(SALU_CYCLE_1)
	s_mov_b32 s1, exec_lo
	v_cmpx_gt_u32_e64 s22, v40
	s_cbranch_execz .LBB1529_150
.LBB1529_181:
	s_mov_b32 s3, exec_lo
                                        ; implicit-def: $vgpr9_vgpr10
	v_cmpx_ge_u32_e64 v40, v19
	s_wait_alu 0xfffe
	s_xor_b32 s3, exec_lo, s3
	s_cbranch_execz .LBB1529_183
; %bb.182:
	s_wait_dscnt 0x4
	v_xor_b32_e32 v7, 0xfffffaff, v0
                                        ; implicit-def: $vgpr40
	s_delay_alu instid0(VALU_DEP_1) | instskip(SKIP_2) | instid1(VALU_DEP_2)
	v_ashrrev_i32_e32 v10, 31, v7
	v_add_co_u32 v9, vcc_lo, v17, v7
	s_wait_alu 0xfffd
	v_add_co_ci_u32_e64 v10, null, v18, v10, vcc_lo
.LBB1529_183:
	s_wait_alu 0xfffe
	s_and_not1_saveexec_b32 s3, s3
	s_cbranch_execz .LBB1529_185
; %bb.184:
	s_wait_dscnt 0x5
	v_add_co_u32 v9, vcc_lo, v15, v40
	s_wait_alu 0xfffd
	v_add_co_ci_u32_e64 v10, null, 0, v16, vcc_lo
.LBB1529_185:
	s_wait_alu 0xfffe
	s_or_b32 exec_lo, exec_lo, s3
	s_wait_dscnt 0x5
	s_delay_alu instid0(VALU_DEP_1) | instskip(NEXT) | instid1(VALU_DEP_1)
	v_lshlrev_b64_e32 v[9:10], 2, v[9:10]
	v_add_co_u32 v9, vcc_lo, s10, v9
	s_wait_alu 0xfffd
	s_delay_alu instid0(VALU_DEP_2) | instskip(SKIP_3) | instid1(SALU_CYCLE_1)
	v_add_co_ci_u32_e64 v10, null, s11, v10, vcc_lo
	s_wait_dscnt 0x4
	global_store_b32 v[9:10], v8, off
	s_or_b32 exec_lo, exec_lo, s1
	s_mov_b32 s1, exec_lo
	v_cmpx_gt_u32_e64 s22, v39
	s_cbranch_execnz .LBB1529_151
.LBB1529_186:
	s_wait_alu 0xfffe
	s_or_b32 exec_lo, exec_lo, s1
	s_delay_alu instid0(SALU_CYCLE_1)
	s_mov_b32 s1, exec_lo
	v_cmpx_gt_u32_e64 s22, v38
	s_cbranch_execz .LBB1529_156
.LBB1529_187:
	s_mov_b32 s3, exec_lo
                                        ; implicit-def: $vgpr7_vgpr8
	v_cmpx_ge_u32_e64 v38, v19
	s_wait_alu 0xfffe
	s_xor_b32 s3, exec_lo, s3
	s_cbranch_execz .LBB1529_189
; %bb.188:
	s_wait_dscnt 0x3
	v_xor_b32_e32 v5, 0xfffff8ff, v0
                                        ; implicit-def: $vgpr38
	s_delay_alu instid0(VALU_DEP_1) | instskip(SKIP_2) | instid1(VALU_DEP_2)
	v_ashrrev_i32_e32 v8, 31, v5
	v_add_co_u32 v7, vcc_lo, v17, v5
	s_wait_alu 0xfffd
	v_add_co_ci_u32_e64 v8, null, v18, v8, vcc_lo
.LBB1529_189:
	s_wait_alu 0xfffe
	s_and_not1_saveexec_b32 s3, s3
	s_cbranch_execz .LBB1529_191
; %bb.190:
	s_wait_dscnt 0x4
	v_add_co_u32 v7, vcc_lo, v15, v38
	s_wait_alu 0xfffd
	v_add_co_ci_u32_e64 v8, null, 0, v16, vcc_lo
.LBB1529_191:
	s_wait_alu 0xfffe
	s_or_b32 exec_lo, exec_lo, s3
	s_wait_dscnt 0x4
	s_delay_alu instid0(VALU_DEP_1) | instskip(NEXT) | instid1(VALU_DEP_1)
	v_lshlrev_b64_e32 v[7:8], 2, v[7:8]
	v_add_co_u32 v7, vcc_lo, s10, v7
	s_wait_alu 0xfffd
	s_delay_alu instid0(VALU_DEP_2) | instskip(SKIP_3) | instid1(SALU_CYCLE_1)
	v_add_co_ci_u32_e64 v8, null, s11, v8, vcc_lo
	s_wait_dscnt 0x3
	global_store_b32 v[7:8], v6, off
	s_or_b32 exec_lo, exec_lo, s1
	s_mov_b32 s1, exec_lo
	v_cmpx_gt_u32_e64 s22, v37
	s_cbranch_execnz .LBB1529_157
.LBB1529_192:
	s_wait_alu 0xfffe
	s_or_b32 exec_lo, exec_lo, s1
	s_delay_alu instid0(SALU_CYCLE_1)
	s_mov_b32 s1, exec_lo
	v_cmpx_gt_u32_e64 s22, v36
	s_cbranch_execz .LBB1529_162
.LBB1529_193:
	s_mov_b32 s3, exec_lo
                                        ; implicit-def: $vgpr5_vgpr6
	v_cmpx_ge_u32_e64 v36, v19
	s_wait_alu 0xfffe
	s_xor_b32 s3, exec_lo, s3
	s_cbranch_execz .LBB1529_195
; %bb.194:
	s_wait_dscnt 0x2
	v_xor_b32_e32 v3, 0xfffff6ff, v0
                                        ; implicit-def: $vgpr36
	s_delay_alu instid0(VALU_DEP_1) | instskip(SKIP_2) | instid1(VALU_DEP_2)
	v_ashrrev_i32_e32 v6, 31, v3
	v_add_co_u32 v5, vcc_lo, v17, v3
	s_wait_alu 0xfffd
	v_add_co_ci_u32_e64 v6, null, v18, v6, vcc_lo
.LBB1529_195:
	s_wait_alu 0xfffe
	s_and_not1_saveexec_b32 s3, s3
	s_cbranch_execz .LBB1529_197
; %bb.196:
	s_wait_dscnt 0x3
	v_add_co_u32 v5, vcc_lo, v15, v36
	s_wait_alu 0xfffd
	v_add_co_ci_u32_e64 v6, null, 0, v16, vcc_lo
.LBB1529_197:
	s_wait_alu 0xfffe
	s_or_b32 exec_lo, exec_lo, s3
	s_wait_dscnt 0x3
	s_delay_alu instid0(VALU_DEP_1) | instskip(NEXT) | instid1(VALU_DEP_1)
	v_lshlrev_b64_e32 v[5:6], 2, v[5:6]
	v_add_co_u32 v5, vcc_lo, s10, v5
	s_wait_alu 0xfffd
	s_delay_alu instid0(VALU_DEP_2) | instskip(SKIP_3) | instid1(SALU_CYCLE_1)
	v_add_co_ci_u32_e64 v6, null, s11, v6, vcc_lo
	s_wait_dscnt 0x2
	global_store_b32 v[5:6], v4, off
	s_or_b32 exec_lo, exec_lo, s1
	s_mov_b32 s1, exec_lo
	v_cmpx_gt_u32_e64 s22, v35
	s_cbranch_execnz .LBB1529_163
.LBB1529_198:
	s_wait_alu 0xfffe
	s_or_b32 exec_lo, exec_lo, s1
	s_delay_alu instid0(SALU_CYCLE_1)
	s_mov_b32 s1, exec_lo
	v_cmpx_gt_u32_e64 s22, v34
	s_cbranch_execz .LBB1529_204
.LBB1529_199:
	s_mov_b32 s3, exec_lo
                                        ; implicit-def: $vgpr3_vgpr4
	v_cmpx_ge_u32_e64 v34, v19
	s_wait_alu 0xfffe
	s_xor_b32 s3, exec_lo, s3
	s_cbranch_execz .LBB1529_201
; %bb.200:
	s_wait_dscnt 0x1
	v_xor_b32_e32 v1, 0xfffff4ff, v0
                                        ; implicit-def: $vgpr34
	s_delay_alu instid0(VALU_DEP_1) | instskip(SKIP_2) | instid1(VALU_DEP_2)
	v_ashrrev_i32_e32 v4, 31, v1
	v_add_co_u32 v3, vcc_lo, v17, v1
	s_wait_alu 0xfffd
	v_add_co_ci_u32_e64 v4, null, v18, v4, vcc_lo
.LBB1529_201:
	s_wait_alu 0xfffe
	s_and_not1_saveexec_b32 s3, s3
	s_cbranch_execz .LBB1529_203
; %bb.202:
	s_wait_dscnt 0x2
	v_add_co_u32 v3, vcc_lo, v15, v34
	s_wait_alu 0xfffd
	v_add_co_ci_u32_e64 v4, null, 0, v16, vcc_lo
.LBB1529_203:
	s_wait_alu 0xfffe
	s_or_b32 exec_lo, exec_lo, s3
	s_wait_dscnt 0x2
	s_delay_alu instid0(VALU_DEP_1) | instskip(NEXT) | instid1(VALU_DEP_1)
	v_lshlrev_b64_e32 v[3:4], 2, v[3:4]
	v_add_co_u32 v3, vcc_lo, s10, v3
	s_wait_alu 0xfffd
	s_delay_alu instid0(VALU_DEP_2)
	v_add_co_ci_u32_e64 v4, null, s11, v4, vcc_lo
	s_wait_dscnt 0x1
	global_store_b32 v[3:4], v2, off
.LBB1529_204:
	s_wait_alu 0xfffe
	s_or_b32 exec_lo, exec_lo, s1
	s_delay_alu instid0(SALU_CYCLE_1)
	s_mov_b32 s1, exec_lo
                                        ; implicit-def: $vgpr13_vgpr14
	v_cmpx_gt_u32_e64 s22, v33
	s_cbranch_execz .LBB1529_210
; %bb.205:
	s_mov_b32 s3, exec_lo
                                        ; implicit-def: $vgpr13_vgpr14
	v_cmpx_ge_u32_e64 v33, v19
	s_wait_alu 0xfffe
	s_xor_b32 s3, exec_lo, s3
	s_cbranch_execz .LBB1529_207
; %bb.206:
	v_xor_b32_e32 v0, 0xfffff3ff, v0
                                        ; implicit-def: $vgpr33
	s_wait_dscnt 0x1
	s_delay_alu instid0(VALU_DEP_1) | instskip(SKIP_2) | instid1(VALU_DEP_2)
	v_ashrrev_i32_e32 v1, 31, v0
	v_add_co_u32 v13, vcc_lo, v17, v0
	s_wait_alu 0xfffd
	v_add_co_ci_u32_e64 v14, null, v18, v1, vcc_lo
.LBB1529_207:
	s_wait_alu 0xfffe
	s_and_not1_saveexec_b32 s3, s3
; %bb.208:
	v_add_co_u32 v13, vcc_lo, v15, v33
	s_wait_alu 0xfffd
	v_add_co_ci_u32_e64 v14, null, 0, v16, vcc_lo
; %bb.209:
	s_wait_alu 0xfffe
	s_or_b32 exec_lo, exec_lo, s3
	s_delay_alu instid0(SALU_CYCLE_1)
	s_or_b32 s0, s0, exec_lo
.LBB1529_210:
	s_wait_alu 0xfffe
	s_or_b32 exec_lo, exec_lo, s1
	s_and_saveexec_b32 s1, s0
	s_cbranch_execnz .LBB1529_129
.LBB1529_211:
	s_wait_alu 0xfffe
	s_or_b32 exec_lo, exec_lo, s1
	s_and_b32 s0, s2, s9
	s_wait_alu 0xfffe
	s_and_saveexec_b32 s1, s0
	s_cbranch_execz .LBB1529_130
.LBB1529_212:
	v_add_co_u32 v0, vcc_lo, v15, v19
	s_wait_dscnt 0x1
	v_mov_b32_e32 v2, 0
	s_wait_alu 0xfffd
	v_add_co_ci_u32_e64 v1, null, 0, v16, vcc_lo
	global_store_b64 v2, v[0:1], s[12:13]
	s_endpgm
	.section	.rodata,"a",@progbits
	.p2align	6, 0x0
	.amdhsa_kernel _ZN7rocprim17ROCPRIM_400000_NS6detail17trampoline_kernelINS0_13select_configILj256ELj13ELNS0_17block_load_methodE3ELS4_3ELS4_3ELNS0_20block_scan_algorithmE0ELj4294967295EEENS1_25partition_config_selectorILNS1_17partition_subalgoE3EjNS0_10empty_typeEbEEZZNS1_14partition_implILS8_3ELb0ES6_jNS0_17counting_iteratorIjlEEPS9_SE_NS0_5tupleIJPjSE_EEENSF_IJSE_SE_EEES9_SG_JZNS1_25segmented_radix_sort_implINS0_14default_configELb1EPKbPbPKlPlN2at6native12_GLOBAL__N_18offset_tEEE10hipError_tPvRmT1_PNSt15iterator_traitsISY_E10value_typeET2_T3_PNSZ_IS14_E10value_typeET4_jRbjT5_S1A_jjP12ihipStream_tbEUljE_EEESV_SW_SX_S14_S18_S1A_T6_T7_T9_mT8_S1C_bDpT10_ENKUlT_T0_E_clISt17integral_constantIbLb0EES1O_IbLb1EEEEDaS1K_S1L_EUlS1K_E_NS1_11comp_targetILNS1_3genE10ELNS1_11target_archE1200ELNS1_3gpuE4ELNS1_3repE0EEENS1_30default_config_static_selectorELNS0_4arch9wavefront6targetE0EEEvSY_
		.amdhsa_group_segment_fixed_size 13320
		.amdhsa_private_segment_fixed_size 0
		.amdhsa_kernarg_size 152
		.amdhsa_user_sgpr_count 2
		.amdhsa_user_sgpr_dispatch_ptr 0
		.amdhsa_user_sgpr_queue_ptr 0
		.amdhsa_user_sgpr_kernarg_segment_ptr 1
		.amdhsa_user_sgpr_dispatch_id 0
		.amdhsa_user_sgpr_private_segment_size 0
		.amdhsa_wavefront_size32 1
		.amdhsa_uses_dynamic_stack 0
		.amdhsa_enable_private_segment 0
		.amdhsa_system_sgpr_workgroup_id_x 1
		.amdhsa_system_sgpr_workgroup_id_y 0
		.amdhsa_system_sgpr_workgroup_id_z 0
		.amdhsa_system_sgpr_workgroup_info 0
		.amdhsa_system_vgpr_workitem_id 0
		.amdhsa_next_free_vgpr 71
		.amdhsa_next_free_sgpr 26
		.amdhsa_reserve_vcc 1
		.amdhsa_float_round_mode_32 0
		.amdhsa_float_round_mode_16_64 0
		.amdhsa_float_denorm_mode_32 3
		.amdhsa_float_denorm_mode_16_64 3
		.amdhsa_fp16_overflow 0
		.amdhsa_workgroup_processor_mode 1
		.amdhsa_memory_ordered 1
		.amdhsa_forward_progress 1
		.amdhsa_inst_pref_size 86
		.amdhsa_round_robin_scheduling 0
		.amdhsa_exception_fp_ieee_invalid_op 0
		.amdhsa_exception_fp_denorm_src 0
		.amdhsa_exception_fp_ieee_div_zero 0
		.amdhsa_exception_fp_ieee_overflow 0
		.amdhsa_exception_fp_ieee_underflow 0
		.amdhsa_exception_fp_ieee_inexact 0
		.amdhsa_exception_int_div_zero 0
	.end_amdhsa_kernel
	.section	.text._ZN7rocprim17ROCPRIM_400000_NS6detail17trampoline_kernelINS0_13select_configILj256ELj13ELNS0_17block_load_methodE3ELS4_3ELS4_3ELNS0_20block_scan_algorithmE0ELj4294967295EEENS1_25partition_config_selectorILNS1_17partition_subalgoE3EjNS0_10empty_typeEbEEZZNS1_14partition_implILS8_3ELb0ES6_jNS0_17counting_iteratorIjlEEPS9_SE_NS0_5tupleIJPjSE_EEENSF_IJSE_SE_EEES9_SG_JZNS1_25segmented_radix_sort_implINS0_14default_configELb1EPKbPbPKlPlN2at6native12_GLOBAL__N_18offset_tEEE10hipError_tPvRmT1_PNSt15iterator_traitsISY_E10value_typeET2_T3_PNSZ_IS14_E10value_typeET4_jRbjT5_S1A_jjP12ihipStream_tbEUljE_EEESV_SW_SX_S14_S18_S1A_T6_T7_T9_mT8_S1C_bDpT10_ENKUlT_T0_E_clISt17integral_constantIbLb0EES1O_IbLb1EEEEDaS1K_S1L_EUlS1K_E_NS1_11comp_targetILNS1_3genE10ELNS1_11target_archE1200ELNS1_3gpuE4ELNS1_3repE0EEENS1_30default_config_static_selectorELNS0_4arch9wavefront6targetE0EEEvSY_,"axG",@progbits,_ZN7rocprim17ROCPRIM_400000_NS6detail17trampoline_kernelINS0_13select_configILj256ELj13ELNS0_17block_load_methodE3ELS4_3ELS4_3ELNS0_20block_scan_algorithmE0ELj4294967295EEENS1_25partition_config_selectorILNS1_17partition_subalgoE3EjNS0_10empty_typeEbEEZZNS1_14partition_implILS8_3ELb0ES6_jNS0_17counting_iteratorIjlEEPS9_SE_NS0_5tupleIJPjSE_EEENSF_IJSE_SE_EEES9_SG_JZNS1_25segmented_radix_sort_implINS0_14default_configELb1EPKbPbPKlPlN2at6native12_GLOBAL__N_18offset_tEEE10hipError_tPvRmT1_PNSt15iterator_traitsISY_E10value_typeET2_T3_PNSZ_IS14_E10value_typeET4_jRbjT5_S1A_jjP12ihipStream_tbEUljE_EEESV_SW_SX_S14_S18_S1A_T6_T7_T9_mT8_S1C_bDpT10_ENKUlT_T0_E_clISt17integral_constantIbLb0EES1O_IbLb1EEEEDaS1K_S1L_EUlS1K_E_NS1_11comp_targetILNS1_3genE10ELNS1_11target_archE1200ELNS1_3gpuE4ELNS1_3repE0EEENS1_30default_config_static_selectorELNS0_4arch9wavefront6targetE0EEEvSY_,comdat
.Lfunc_end1529:
	.size	_ZN7rocprim17ROCPRIM_400000_NS6detail17trampoline_kernelINS0_13select_configILj256ELj13ELNS0_17block_load_methodE3ELS4_3ELS4_3ELNS0_20block_scan_algorithmE0ELj4294967295EEENS1_25partition_config_selectorILNS1_17partition_subalgoE3EjNS0_10empty_typeEbEEZZNS1_14partition_implILS8_3ELb0ES6_jNS0_17counting_iteratorIjlEEPS9_SE_NS0_5tupleIJPjSE_EEENSF_IJSE_SE_EEES9_SG_JZNS1_25segmented_radix_sort_implINS0_14default_configELb1EPKbPbPKlPlN2at6native12_GLOBAL__N_18offset_tEEE10hipError_tPvRmT1_PNSt15iterator_traitsISY_E10value_typeET2_T3_PNSZ_IS14_E10value_typeET4_jRbjT5_S1A_jjP12ihipStream_tbEUljE_EEESV_SW_SX_S14_S18_S1A_T6_T7_T9_mT8_S1C_bDpT10_ENKUlT_T0_E_clISt17integral_constantIbLb0EES1O_IbLb1EEEEDaS1K_S1L_EUlS1K_E_NS1_11comp_targetILNS1_3genE10ELNS1_11target_archE1200ELNS1_3gpuE4ELNS1_3repE0EEENS1_30default_config_static_selectorELNS0_4arch9wavefront6targetE0EEEvSY_, .Lfunc_end1529-_ZN7rocprim17ROCPRIM_400000_NS6detail17trampoline_kernelINS0_13select_configILj256ELj13ELNS0_17block_load_methodE3ELS4_3ELS4_3ELNS0_20block_scan_algorithmE0ELj4294967295EEENS1_25partition_config_selectorILNS1_17partition_subalgoE3EjNS0_10empty_typeEbEEZZNS1_14partition_implILS8_3ELb0ES6_jNS0_17counting_iteratorIjlEEPS9_SE_NS0_5tupleIJPjSE_EEENSF_IJSE_SE_EEES9_SG_JZNS1_25segmented_radix_sort_implINS0_14default_configELb1EPKbPbPKlPlN2at6native12_GLOBAL__N_18offset_tEEE10hipError_tPvRmT1_PNSt15iterator_traitsISY_E10value_typeET2_T3_PNSZ_IS14_E10value_typeET4_jRbjT5_S1A_jjP12ihipStream_tbEUljE_EEESV_SW_SX_S14_S18_S1A_T6_T7_T9_mT8_S1C_bDpT10_ENKUlT_T0_E_clISt17integral_constantIbLb0EES1O_IbLb1EEEEDaS1K_S1L_EUlS1K_E_NS1_11comp_targetILNS1_3genE10ELNS1_11target_archE1200ELNS1_3gpuE4ELNS1_3repE0EEENS1_30default_config_static_selectorELNS0_4arch9wavefront6targetE0EEEvSY_
                                        ; -- End function
	.set _ZN7rocprim17ROCPRIM_400000_NS6detail17trampoline_kernelINS0_13select_configILj256ELj13ELNS0_17block_load_methodE3ELS4_3ELS4_3ELNS0_20block_scan_algorithmE0ELj4294967295EEENS1_25partition_config_selectorILNS1_17partition_subalgoE3EjNS0_10empty_typeEbEEZZNS1_14partition_implILS8_3ELb0ES6_jNS0_17counting_iteratorIjlEEPS9_SE_NS0_5tupleIJPjSE_EEENSF_IJSE_SE_EEES9_SG_JZNS1_25segmented_radix_sort_implINS0_14default_configELb1EPKbPbPKlPlN2at6native12_GLOBAL__N_18offset_tEEE10hipError_tPvRmT1_PNSt15iterator_traitsISY_E10value_typeET2_T3_PNSZ_IS14_E10value_typeET4_jRbjT5_S1A_jjP12ihipStream_tbEUljE_EEESV_SW_SX_S14_S18_S1A_T6_T7_T9_mT8_S1C_bDpT10_ENKUlT_T0_E_clISt17integral_constantIbLb0EES1O_IbLb1EEEEDaS1K_S1L_EUlS1K_E_NS1_11comp_targetILNS1_3genE10ELNS1_11target_archE1200ELNS1_3gpuE4ELNS1_3repE0EEENS1_30default_config_static_selectorELNS0_4arch9wavefront6targetE0EEEvSY_.num_vgpr, 71
	.set _ZN7rocprim17ROCPRIM_400000_NS6detail17trampoline_kernelINS0_13select_configILj256ELj13ELNS0_17block_load_methodE3ELS4_3ELS4_3ELNS0_20block_scan_algorithmE0ELj4294967295EEENS1_25partition_config_selectorILNS1_17partition_subalgoE3EjNS0_10empty_typeEbEEZZNS1_14partition_implILS8_3ELb0ES6_jNS0_17counting_iteratorIjlEEPS9_SE_NS0_5tupleIJPjSE_EEENSF_IJSE_SE_EEES9_SG_JZNS1_25segmented_radix_sort_implINS0_14default_configELb1EPKbPbPKlPlN2at6native12_GLOBAL__N_18offset_tEEE10hipError_tPvRmT1_PNSt15iterator_traitsISY_E10value_typeET2_T3_PNSZ_IS14_E10value_typeET4_jRbjT5_S1A_jjP12ihipStream_tbEUljE_EEESV_SW_SX_S14_S18_S1A_T6_T7_T9_mT8_S1C_bDpT10_ENKUlT_T0_E_clISt17integral_constantIbLb0EES1O_IbLb1EEEEDaS1K_S1L_EUlS1K_E_NS1_11comp_targetILNS1_3genE10ELNS1_11target_archE1200ELNS1_3gpuE4ELNS1_3repE0EEENS1_30default_config_static_selectorELNS0_4arch9wavefront6targetE0EEEvSY_.num_agpr, 0
	.set _ZN7rocprim17ROCPRIM_400000_NS6detail17trampoline_kernelINS0_13select_configILj256ELj13ELNS0_17block_load_methodE3ELS4_3ELS4_3ELNS0_20block_scan_algorithmE0ELj4294967295EEENS1_25partition_config_selectorILNS1_17partition_subalgoE3EjNS0_10empty_typeEbEEZZNS1_14partition_implILS8_3ELb0ES6_jNS0_17counting_iteratorIjlEEPS9_SE_NS0_5tupleIJPjSE_EEENSF_IJSE_SE_EEES9_SG_JZNS1_25segmented_radix_sort_implINS0_14default_configELb1EPKbPbPKlPlN2at6native12_GLOBAL__N_18offset_tEEE10hipError_tPvRmT1_PNSt15iterator_traitsISY_E10value_typeET2_T3_PNSZ_IS14_E10value_typeET4_jRbjT5_S1A_jjP12ihipStream_tbEUljE_EEESV_SW_SX_S14_S18_S1A_T6_T7_T9_mT8_S1C_bDpT10_ENKUlT_T0_E_clISt17integral_constantIbLb0EES1O_IbLb1EEEEDaS1K_S1L_EUlS1K_E_NS1_11comp_targetILNS1_3genE10ELNS1_11target_archE1200ELNS1_3gpuE4ELNS1_3repE0EEENS1_30default_config_static_selectorELNS0_4arch9wavefront6targetE0EEEvSY_.numbered_sgpr, 26
	.set _ZN7rocprim17ROCPRIM_400000_NS6detail17trampoline_kernelINS0_13select_configILj256ELj13ELNS0_17block_load_methodE3ELS4_3ELS4_3ELNS0_20block_scan_algorithmE0ELj4294967295EEENS1_25partition_config_selectorILNS1_17partition_subalgoE3EjNS0_10empty_typeEbEEZZNS1_14partition_implILS8_3ELb0ES6_jNS0_17counting_iteratorIjlEEPS9_SE_NS0_5tupleIJPjSE_EEENSF_IJSE_SE_EEES9_SG_JZNS1_25segmented_radix_sort_implINS0_14default_configELb1EPKbPbPKlPlN2at6native12_GLOBAL__N_18offset_tEEE10hipError_tPvRmT1_PNSt15iterator_traitsISY_E10value_typeET2_T3_PNSZ_IS14_E10value_typeET4_jRbjT5_S1A_jjP12ihipStream_tbEUljE_EEESV_SW_SX_S14_S18_S1A_T6_T7_T9_mT8_S1C_bDpT10_ENKUlT_T0_E_clISt17integral_constantIbLb0EES1O_IbLb1EEEEDaS1K_S1L_EUlS1K_E_NS1_11comp_targetILNS1_3genE10ELNS1_11target_archE1200ELNS1_3gpuE4ELNS1_3repE0EEENS1_30default_config_static_selectorELNS0_4arch9wavefront6targetE0EEEvSY_.num_named_barrier, 0
	.set _ZN7rocprim17ROCPRIM_400000_NS6detail17trampoline_kernelINS0_13select_configILj256ELj13ELNS0_17block_load_methodE3ELS4_3ELS4_3ELNS0_20block_scan_algorithmE0ELj4294967295EEENS1_25partition_config_selectorILNS1_17partition_subalgoE3EjNS0_10empty_typeEbEEZZNS1_14partition_implILS8_3ELb0ES6_jNS0_17counting_iteratorIjlEEPS9_SE_NS0_5tupleIJPjSE_EEENSF_IJSE_SE_EEES9_SG_JZNS1_25segmented_radix_sort_implINS0_14default_configELb1EPKbPbPKlPlN2at6native12_GLOBAL__N_18offset_tEEE10hipError_tPvRmT1_PNSt15iterator_traitsISY_E10value_typeET2_T3_PNSZ_IS14_E10value_typeET4_jRbjT5_S1A_jjP12ihipStream_tbEUljE_EEESV_SW_SX_S14_S18_S1A_T6_T7_T9_mT8_S1C_bDpT10_ENKUlT_T0_E_clISt17integral_constantIbLb0EES1O_IbLb1EEEEDaS1K_S1L_EUlS1K_E_NS1_11comp_targetILNS1_3genE10ELNS1_11target_archE1200ELNS1_3gpuE4ELNS1_3repE0EEENS1_30default_config_static_selectorELNS0_4arch9wavefront6targetE0EEEvSY_.private_seg_size, 0
	.set _ZN7rocprim17ROCPRIM_400000_NS6detail17trampoline_kernelINS0_13select_configILj256ELj13ELNS0_17block_load_methodE3ELS4_3ELS4_3ELNS0_20block_scan_algorithmE0ELj4294967295EEENS1_25partition_config_selectorILNS1_17partition_subalgoE3EjNS0_10empty_typeEbEEZZNS1_14partition_implILS8_3ELb0ES6_jNS0_17counting_iteratorIjlEEPS9_SE_NS0_5tupleIJPjSE_EEENSF_IJSE_SE_EEES9_SG_JZNS1_25segmented_radix_sort_implINS0_14default_configELb1EPKbPbPKlPlN2at6native12_GLOBAL__N_18offset_tEEE10hipError_tPvRmT1_PNSt15iterator_traitsISY_E10value_typeET2_T3_PNSZ_IS14_E10value_typeET4_jRbjT5_S1A_jjP12ihipStream_tbEUljE_EEESV_SW_SX_S14_S18_S1A_T6_T7_T9_mT8_S1C_bDpT10_ENKUlT_T0_E_clISt17integral_constantIbLb0EES1O_IbLb1EEEEDaS1K_S1L_EUlS1K_E_NS1_11comp_targetILNS1_3genE10ELNS1_11target_archE1200ELNS1_3gpuE4ELNS1_3repE0EEENS1_30default_config_static_selectorELNS0_4arch9wavefront6targetE0EEEvSY_.uses_vcc, 1
	.set _ZN7rocprim17ROCPRIM_400000_NS6detail17trampoline_kernelINS0_13select_configILj256ELj13ELNS0_17block_load_methodE3ELS4_3ELS4_3ELNS0_20block_scan_algorithmE0ELj4294967295EEENS1_25partition_config_selectorILNS1_17partition_subalgoE3EjNS0_10empty_typeEbEEZZNS1_14partition_implILS8_3ELb0ES6_jNS0_17counting_iteratorIjlEEPS9_SE_NS0_5tupleIJPjSE_EEENSF_IJSE_SE_EEES9_SG_JZNS1_25segmented_radix_sort_implINS0_14default_configELb1EPKbPbPKlPlN2at6native12_GLOBAL__N_18offset_tEEE10hipError_tPvRmT1_PNSt15iterator_traitsISY_E10value_typeET2_T3_PNSZ_IS14_E10value_typeET4_jRbjT5_S1A_jjP12ihipStream_tbEUljE_EEESV_SW_SX_S14_S18_S1A_T6_T7_T9_mT8_S1C_bDpT10_ENKUlT_T0_E_clISt17integral_constantIbLb0EES1O_IbLb1EEEEDaS1K_S1L_EUlS1K_E_NS1_11comp_targetILNS1_3genE10ELNS1_11target_archE1200ELNS1_3gpuE4ELNS1_3repE0EEENS1_30default_config_static_selectorELNS0_4arch9wavefront6targetE0EEEvSY_.uses_flat_scratch, 0
	.set _ZN7rocprim17ROCPRIM_400000_NS6detail17trampoline_kernelINS0_13select_configILj256ELj13ELNS0_17block_load_methodE3ELS4_3ELS4_3ELNS0_20block_scan_algorithmE0ELj4294967295EEENS1_25partition_config_selectorILNS1_17partition_subalgoE3EjNS0_10empty_typeEbEEZZNS1_14partition_implILS8_3ELb0ES6_jNS0_17counting_iteratorIjlEEPS9_SE_NS0_5tupleIJPjSE_EEENSF_IJSE_SE_EEES9_SG_JZNS1_25segmented_radix_sort_implINS0_14default_configELb1EPKbPbPKlPlN2at6native12_GLOBAL__N_18offset_tEEE10hipError_tPvRmT1_PNSt15iterator_traitsISY_E10value_typeET2_T3_PNSZ_IS14_E10value_typeET4_jRbjT5_S1A_jjP12ihipStream_tbEUljE_EEESV_SW_SX_S14_S18_S1A_T6_T7_T9_mT8_S1C_bDpT10_ENKUlT_T0_E_clISt17integral_constantIbLb0EES1O_IbLb1EEEEDaS1K_S1L_EUlS1K_E_NS1_11comp_targetILNS1_3genE10ELNS1_11target_archE1200ELNS1_3gpuE4ELNS1_3repE0EEENS1_30default_config_static_selectorELNS0_4arch9wavefront6targetE0EEEvSY_.has_dyn_sized_stack, 0
	.set _ZN7rocprim17ROCPRIM_400000_NS6detail17trampoline_kernelINS0_13select_configILj256ELj13ELNS0_17block_load_methodE3ELS4_3ELS4_3ELNS0_20block_scan_algorithmE0ELj4294967295EEENS1_25partition_config_selectorILNS1_17partition_subalgoE3EjNS0_10empty_typeEbEEZZNS1_14partition_implILS8_3ELb0ES6_jNS0_17counting_iteratorIjlEEPS9_SE_NS0_5tupleIJPjSE_EEENSF_IJSE_SE_EEES9_SG_JZNS1_25segmented_radix_sort_implINS0_14default_configELb1EPKbPbPKlPlN2at6native12_GLOBAL__N_18offset_tEEE10hipError_tPvRmT1_PNSt15iterator_traitsISY_E10value_typeET2_T3_PNSZ_IS14_E10value_typeET4_jRbjT5_S1A_jjP12ihipStream_tbEUljE_EEESV_SW_SX_S14_S18_S1A_T6_T7_T9_mT8_S1C_bDpT10_ENKUlT_T0_E_clISt17integral_constantIbLb0EES1O_IbLb1EEEEDaS1K_S1L_EUlS1K_E_NS1_11comp_targetILNS1_3genE10ELNS1_11target_archE1200ELNS1_3gpuE4ELNS1_3repE0EEENS1_30default_config_static_selectorELNS0_4arch9wavefront6targetE0EEEvSY_.has_recursion, 0
	.set _ZN7rocprim17ROCPRIM_400000_NS6detail17trampoline_kernelINS0_13select_configILj256ELj13ELNS0_17block_load_methodE3ELS4_3ELS4_3ELNS0_20block_scan_algorithmE0ELj4294967295EEENS1_25partition_config_selectorILNS1_17partition_subalgoE3EjNS0_10empty_typeEbEEZZNS1_14partition_implILS8_3ELb0ES6_jNS0_17counting_iteratorIjlEEPS9_SE_NS0_5tupleIJPjSE_EEENSF_IJSE_SE_EEES9_SG_JZNS1_25segmented_radix_sort_implINS0_14default_configELb1EPKbPbPKlPlN2at6native12_GLOBAL__N_18offset_tEEE10hipError_tPvRmT1_PNSt15iterator_traitsISY_E10value_typeET2_T3_PNSZ_IS14_E10value_typeET4_jRbjT5_S1A_jjP12ihipStream_tbEUljE_EEESV_SW_SX_S14_S18_S1A_T6_T7_T9_mT8_S1C_bDpT10_ENKUlT_T0_E_clISt17integral_constantIbLb0EES1O_IbLb1EEEEDaS1K_S1L_EUlS1K_E_NS1_11comp_targetILNS1_3genE10ELNS1_11target_archE1200ELNS1_3gpuE4ELNS1_3repE0EEENS1_30default_config_static_selectorELNS0_4arch9wavefront6targetE0EEEvSY_.has_indirect_call, 0
	.section	.AMDGPU.csdata,"",@progbits
; Kernel info:
; codeLenInByte = 10900
; TotalNumSgprs: 28
; NumVgprs: 71
; ScratchSize: 0
; MemoryBound: 0
; FloatMode: 240
; IeeeMode: 1
; LDSByteSize: 13320 bytes/workgroup (compile time only)
; SGPRBlocks: 0
; VGPRBlocks: 8
; NumSGPRsForWavesPerEU: 28
; NumVGPRsForWavesPerEU: 71
; Occupancy: 16
; WaveLimiterHint : 0
; COMPUTE_PGM_RSRC2:SCRATCH_EN: 0
; COMPUTE_PGM_RSRC2:USER_SGPR: 2
; COMPUTE_PGM_RSRC2:TRAP_HANDLER: 0
; COMPUTE_PGM_RSRC2:TGID_X_EN: 1
; COMPUTE_PGM_RSRC2:TGID_Y_EN: 0
; COMPUTE_PGM_RSRC2:TGID_Z_EN: 0
; COMPUTE_PGM_RSRC2:TIDIG_COMP_CNT: 0
	.section	.text._ZN7rocprim17ROCPRIM_400000_NS6detail17trampoline_kernelINS0_13select_configILj256ELj13ELNS0_17block_load_methodE3ELS4_3ELS4_3ELNS0_20block_scan_algorithmE0ELj4294967295EEENS1_25partition_config_selectorILNS1_17partition_subalgoE3EjNS0_10empty_typeEbEEZZNS1_14partition_implILS8_3ELb0ES6_jNS0_17counting_iteratorIjlEEPS9_SE_NS0_5tupleIJPjSE_EEENSF_IJSE_SE_EEES9_SG_JZNS1_25segmented_radix_sort_implINS0_14default_configELb1EPKbPbPKlPlN2at6native12_GLOBAL__N_18offset_tEEE10hipError_tPvRmT1_PNSt15iterator_traitsISY_E10value_typeET2_T3_PNSZ_IS14_E10value_typeET4_jRbjT5_S1A_jjP12ihipStream_tbEUljE_EEESV_SW_SX_S14_S18_S1A_T6_T7_T9_mT8_S1C_bDpT10_ENKUlT_T0_E_clISt17integral_constantIbLb0EES1O_IbLb1EEEEDaS1K_S1L_EUlS1K_E_NS1_11comp_targetILNS1_3genE9ELNS1_11target_archE1100ELNS1_3gpuE3ELNS1_3repE0EEENS1_30default_config_static_selectorELNS0_4arch9wavefront6targetE0EEEvSY_,"axG",@progbits,_ZN7rocprim17ROCPRIM_400000_NS6detail17trampoline_kernelINS0_13select_configILj256ELj13ELNS0_17block_load_methodE3ELS4_3ELS4_3ELNS0_20block_scan_algorithmE0ELj4294967295EEENS1_25partition_config_selectorILNS1_17partition_subalgoE3EjNS0_10empty_typeEbEEZZNS1_14partition_implILS8_3ELb0ES6_jNS0_17counting_iteratorIjlEEPS9_SE_NS0_5tupleIJPjSE_EEENSF_IJSE_SE_EEES9_SG_JZNS1_25segmented_radix_sort_implINS0_14default_configELb1EPKbPbPKlPlN2at6native12_GLOBAL__N_18offset_tEEE10hipError_tPvRmT1_PNSt15iterator_traitsISY_E10value_typeET2_T3_PNSZ_IS14_E10value_typeET4_jRbjT5_S1A_jjP12ihipStream_tbEUljE_EEESV_SW_SX_S14_S18_S1A_T6_T7_T9_mT8_S1C_bDpT10_ENKUlT_T0_E_clISt17integral_constantIbLb0EES1O_IbLb1EEEEDaS1K_S1L_EUlS1K_E_NS1_11comp_targetILNS1_3genE9ELNS1_11target_archE1100ELNS1_3gpuE3ELNS1_3repE0EEENS1_30default_config_static_selectorELNS0_4arch9wavefront6targetE0EEEvSY_,comdat
	.globl	_ZN7rocprim17ROCPRIM_400000_NS6detail17trampoline_kernelINS0_13select_configILj256ELj13ELNS0_17block_load_methodE3ELS4_3ELS4_3ELNS0_20block_scan_algorithmE0ELj4294967295EEENS1_25partition_config_selectorILNS1_17partition_subalgoE3EjNS0_10empty_typeEbEEZZNS1_14partition_implILS8_3ELb0ES6_jNS0_17counting_iteratorIjlEEPS9_SE_NS0_5tupleIJPjSE_EEENSF_IJSE_SE_EEES9_SG_JZNS1_25segmented_radix_sort_implINS0_14default_configELb1EPKbPbPKlPlN2at6native12_GLOBAL__N_18offset_tEEE10hipError_tPvRmT1_PNSt15iterator_traitsISY_E10value_typeET2_T3_PNSZ_IS14_E10value_typeET4_jRbjT5_S1A_jjP12ihipStream_tbEUljE_EEESV_SW_SX_S14_S18_S1A_T6_T7_T9_mT8_S1C_bDpT10_ENKUlT_T0_E_clISt17integral_constantIbLb0EES1O_IbLb1EEEEDaS1K_S1L_EUlS1K_E_NS1_11comp_targetILNS1_3genE9ELNS1_11target_archE1100ELNS1_3gpuE3ELNS1_3repE0EEENS1_30default_config_static_selectorELNS0_4arch9wavefront6targetE0EEEvSY_ ; -- Begin function _ZN7rocprim17ROCPRIM_400000_NS6detail17trampoline_kernelINS0_13select_configILj256ELj13ELNS0_17block_load_methodE3ELS4_3ELS4_3ELNS0_20block_scan_algorithmE0ELj4294967295EEENS1_25partition_config_selectorILNS1_17partition_subalgoE3EjNS0_10empty_typeEbEEZZNS1_14partition_implILS8_3ELb0ES6_jNS0_17counting_iteratorIjlEEPS9_SE_NS0_5tupleIJPjSE_EEENSF_IJSE_SE_EEES9_SG_JZNS1_25segmented_radix_sort_implINS0_14default_configELb1EPKbPbPKlPlN2at6native12_GLOBAL__N_18offset_tEEE10hipError_tPvRmT1_PNSt15iterator_traitsISY_E10value_typeET2_T3_PNSZ_IS14_E10value_typeET4_jRbjT5_S1A_jjP12ihipStream_tbEUljE_EEESV_SW_SX_S14_S18_S1A_T6_T7_T9_mT8_S1C_bDpT10_ENKUlT_T0_E_clISt17integral_constantIbLb0EES1O_IbLb1EEEEDaS1K_S1L_EUlS1K_E_NS1_11comp_targetILNS1_3genE9ELNS1_11target_archE1100ELNS1_3gpuE3ELNS1_3repE0EEENS1_30default_config_static_selectorELNS0_4arch9wavefront6targetE0EEEvSY_
	.p2align	8
	.type	_ZN7rocprim17ROCPRIM_400000_NS6detail17trampoline_kernelINS0_13select_configILj256ELj13ELNS0_17block_load_methodE3ELS4_3ELS4_3ELNS0_20block_scan_algorithmE0ELj4294967295EEENS1_25partition_config_selectorILNS1_17partition_subalgoE3EjNS0_10empty_typeEbEEZZNS1_14partition_implILS8_3ELb0ES6_jNS0_17counting_iteratorIjlEEPS9_SE_NS0_5tupleIJPjSE_EEENSF_IJSE_SE_EEES9_SG_JZNS1_25segmented_radix_sort_implINS0_14default_configELb1EPKbPbPKlPlN2at6native12_GLOBAL__N_18offset_tEEE10hipError_tPvRmT1_PNSt15iterator_traitsISY_E10value_typeET2_T3_PNSZ_IS14_E10value_typeET4_jRbjT5_S1A_jjP12ihipStream_tbEUljE_EEESV_SW_SX_S14_S18_S1A_T6_T7_T9_mT8_S1C_bDpT10_ENKUlT_T0_E_clISt17integral_constantIbLb0EES1O_IbLb1EEEEDaS1K_S1L_EUlS1K_E_NS1_11comp_targetILNS1_3genE9ELNS1_11target_archE1100ELNS1_3gpuE3ELNS1_3repE0EEENS1_30default_config_static_selectorELNS0_4arch9wavefront6targetE0EEEvSY_,@function
_ZN7rocprim17ROCPRIM_400000_NS6detail17trampoline_kernelINS0_13select_configILj256ELj13ELNS0_17block_load_methodE3ELS4_3ELS4_3ELNS0_20block_scan_algorithmE0ELj4294967295EEENS1_25partition_config_selectorILNS1_17partition_subalgoE3EjNS0_10empty_typeEbEEZZNS1_14partition_implILS8_3ELb0ES6_jNS0_17counting_iteratorIjlEEPS9_SE_NS0_5tupleIJPjSE_EEENSF_IJSE_SE_EEES9_SG_JZNS1_25segmented_radix_sort_implINS0_14default_configELb1EPKbPbPKlPlN2at6native12_GLOBAL__N_18offset_tEEE10hipError_tPvRmT1_PNSt15iterator_traitsISY_E10value_typeET2_T3_PNSZ_IS14_E10value_typeET4_jRbjT5_S1A_jjP12ihipStream_tbEUljE_EEESV_SW_SX_S14_S18_S1A_T6_T7_T9_mT8_S1C_bDpT10_ENKUlT_T0_E_clISt17integral_constantIbLb0EES1O_IbLb1EEEEDaS1K_S1L_EUlS1K_E_NS1_11comp_targetILNS1_3genE9ELNS1_11target_archE1100ELNS1_3gpuE3ELNS1_3repE0EEENS1_30default_config_static_selectorELNS0_4arch9wavefront6targetE0EEEvSY_: ; @_ZN7rocprim17ROCPRIM_400000_NS6detail17trampoline_kernelINS0_13select_configILj256ELj13ELNS0_17block_load_methodE3ELS4_3ELS4_3ELNS0_20block_scan_algorithmE0ELj4294967295EEENS1_25partition_config_selectorILNS1_17partition_subalgoE3EjNS0_10empty_typeEbEEZZNS1_14partition_implILS8_3ELb0ES6_jNS0_17counting_iteratorIjlEEPS9_SE_NS0_5tupleIJPjSE_EEENSF_IJSE_SE_EEES9_SG_JZNS1_25segmented_radix_sort_implINS0_14default_configELb1EPKbPbPKlPlN2at6native12_GLOBAL__N_18offset_tEEE10hipError_tPvRmT1_PNSt15iterator_traitsISY_E10value_typeET2_T3_PNSZ_IS14_E10value_typeET4_jRbjT5_S1A_jjP12ihipStream_tbEUljE_EEESV_SW_SX_S14_S18_S1A_T6_T7_T9_mT8_S1C_bDpT10_ENKUlT_T0_E_clISt17integral_constantIbLb0EES1O_IbLb1EEEEDaS1K_S1L_EUlS1K_E_NS1_11comp_targetILNS1_3genE9ELNS1_11target_archE1100ELNS1_3gpuE3ELNS1_3repE0EEENS1_30default_config_static_selectorELNS0_4arch9wavefront6targetE0EEEvSY_
; %bb.0:
	.section	.rodata,"a",@progbits
	.p2align	6, 0x0
	.amdhsa_kernel _ZN7rocprim17ROCPRIM_400000_NS6detail17trampoline_kernelINS0_13select_configILj256ELj13ELNS0_17block_load_methodE3ELS4_3ELS4_3ELNS0_20block_scan_algorithmE0ELj4294967295EEENS1_25partition_config_selectorILNS1_17partition_subalgoE3EjNS0_10empty_typeEbEEZZNS1_14partition_implILS8_3ELb0ES6_jNS0_17counting_iteratorIjlEEPS9_SE_NS0_5tupleIJPjSE_EEENSF_IJSE_SE_EEES9_SG_JZNS1_25segmented_radix_sort_implINS0_14default_configELb1EPKbPbPKlPlN2at6native12_GLOBAL__N_18offset_tEEE10hipError_tPvRmT1_PNSt15iterator_traitsISY_E10value_typeET2_T3_PNSZ_IS14_E10value_typeET4_jRbjT5_S1A_jjP12ihipStream_tbEUljE_EEESV_SW_SX_S14_S18_S1A_T6_T7_T9_mT8_S1C_bDpT10_ENKUlT_T0_E_clISt17integral_constantIbLb0EES1O_IbLb1EEEEDaS1K_S1L_EUlS1K_E_NS1_11comp_targetILNS1_3genE9ELNS1_11target_archE1100ELNS1_3gpuE3ELNS1_3repE0EEENS1_30default_config_static_selectorELNS0_4arch9wavefront6targetE0EEEvSY_
		.amdhsa_group_segment_fixed_size 0
		.amdhsa_private_segment_fixed_size 0
		.amdhsa_kernarg_size 152
		.amdhsa_user_sgpr_count 2
		.amdhsa_user_sgpr_dispatch_ptr 0
		.amdhsa_user_sgpr_queue_ptr 0
		.amdhsa_user_sgpr_kernarg_segment_ptr 1
		.amdhsa_user_sgpr_dispatch_id 0
		.amdhsa_user_sgpr_private_segment_size 0
		.amdhsa_wavefront_size32 1
		.amdhsa_uses_dynamic_stack 0
		.amdhsa_enable_private_segment 0
		.amdhsa_system_sgpr_workgroup_id_x 1
		.amdhsa_system_sgpr_workgroup_id_y 0
		.amdhsa_system_sgpr_workgroup_id_z 0
		.amdhsa_system_sgpr_workgroup_info 0
		.amdhsa_system_vgpr_workitem_id 0
		.amdhsa_next_free_vgpr 1
		.amdhsa_next_free_sgpr 1
		.amdhsa_reserve_vcc 0
		.amdhsa_float_round_mode_32 0
		.amdhsa_float_round_mode_16_64 0
		.amdhsa_float_denorm_mode_32 3
		.amdhsa_float_denorm_mode_16_64 3
		.amdhsa_fp16_overflow 0
		.amdhsa_workgroup_processor_mode 1
		.amdhsa_memory_ordered 1
		.amdhsa_forward_progress 1
		.amdhsa_inst_pref_size 0
		.amdhsa_round_robin_scheduling 0
		.amdhsa_exception_fp_ieee_invalid_op 0
		.amdhsa_exception_fp_denorm_src 0
		.amdhsa_exception_fp_ieee_div_zero 0
		.amdhsa_exception_fp_ieee_overflow 0
		.amdhsa_exception_fp_ieee_underflow 0
		.amdhsa_exception_fp_ieee_inexact 0
		.amdhsa_exception_int_div_zero 0
	.end_amdhsa_kernel
	.section	.text._ZN7rocprim17ROCPRIM_400000_NS6detail17trampoline_kernelINS0_13select_configILj256ELj13ELNS0_17block_load_methodE3ELS4_3ELS4_3ELNS0_20block_scan_algorithmE0ELj4294967295EEENS1_25partition_config_selectorILNS1_17partition_subalgoE3EjNS0_10empty_typeEbEEZZNS1_14partition_implILS8_3ELb0ES6_jNS0_17counting_iteratorIjlEEPS9_SE_NS0_5tupleIJPjSE_EEENSF_IJSE_SE_EEES9_SG_JZNS1_25segmented_radix_sort_implINS0_14default_configELb1EPKbPbPKlPlN2at6native12_GLOBAL__N_18offset_tEEE10hipError_tPvRmT1_PNSt15iterator_traitsISY_E10value_typeET2_T3_PNSZ_IS14_E10value_typeET4_jRbjT5_S1A_jjP12ihipStream_tbEUljE_EEESV_SW_SX_S14_S18_S1A_T6_T7_T9_mT8_S1C_bDpT10_ENKUlT_T0_E_clISt17integral_constantIbLb0EES1O_IbLb1EEEEDaS1K_S1L_EUlS1K_E_NS1_11comp_targetILNS1_3genE9ELNS1_11target_archE1100ELNS1_3gpuE3ELNS1_3repE0EEENS1_30default_config_static_selectorELNS0_4arch9wavefront6targetE0EEEvSY_,"axG",@progbits,_ZN7rocprim17ROCPRIM_400000_NS6detail17trampoline_kernelINS0_13select_configILj256ELj13ELNS0_17block_load_methodE3ELS4_3ELS4_3ELNS0_20block_scan_algorithmE0ELj4294967295EEENS1_25partition_config_selectorILNS1_17partition_subalgoE3EjNS0_10empty_typeEbEEZZNS1_14partition_implILS8_3ELb0ES6_jNS0_17counting_iteratorIjlEEPS9_SE_NS0_5tupleIJPjSE_EEENSF_IJSE_SE_EEES9_SG_JZNS1_25segmented_radix_sort_implINS0_14default_configELb1EPKbPbPKlPlN2at6native12_GLOBAL__N_18offset_tEEE10hipError_tPvRmT1_PNSt15iterator_traitsISY_E10value_typeET2_T3_PNSZ_IS14_E10value_typeET4_jRbjT5_S1A_jjP12ihipStream_tbEUljE_EEESV_SW_SX_S14_S18_S1A_T6_T7_T9_mT8_S1C_bDpT10_ENKUlT_T0_E_clISt17integral_constantIbLb0EES1O_IbLb1EEEEDaS1K_S1L_EUlS1K_E_NS1_11comp_targetILNS1_3genE9ELNS1_11target_archE1100ELNS1_3gpuE3ELNS1_3repE0EEENS1_30default_config_static_selectorELNS0_4arch9wavefront6targetE0EEEvSY_,comdat
.Lfunc_end1530:
	.size	_ZN7rocprim17ROCPRIM_400000_NS6detail17trampoline_kernelINS0_13select_configILj256ELj13ELNS0_17block_load_methodE3ELS4_3ELS4_3ELNS0_20block_scan_algorithmE0ELj4294967295EEENS1_25partition_config_selectorILNS1_17partition_subalgoE3EjNS0_10empty_typeEbEEZZNS1_14partition_implILS8_3ELb0ES6_jNS0_17counting_iteratorIjlEEPS9_SE_NS0_5tupleIJPjSE_EEENSF_IJSE_SE_EEES9_SG_JZNS1_25segmented_radix_sort_implINS0_14default_configELb1EPKbPbPKlPlN2at6native12_GLOBAL__N_18offset_tEEE10hipError_tPvRmT1_PNSt15iterator_traitsISY_E10value_typeET2_T3_PNSZ_IS14_E10value_typeET4_jRbjT5_S1A_jjP12ihipStream_tbEUljE_EEESV_SW_SX_S14_S18_S1A_T6_T7_T9_mT8_S1C_bDpT10_ENKUlT_T0_E_clISt17integral_constantIbLb0EES1O_IbLb1EEEEDaS1K_S1L_EUlS1K_E_NS1_11comp_targetILNS1_3genE9ELNS1_11target_archE1100ELNS1_3gpuE3ELNS1_3repE0EEENS1_30default_config_static_selectorELNS0_4arch9wavefront6targetE0EEEvSY_, .Lfunc_end1530-_ZN7rocprim17ROCPRIM_400000_NS6detail17trampoline_kernelINS0_13select_configILj256ELj13ELNS0_17block_load_methodE3ELS4_3ELS4_3ELNS0_20block_scan_algorithmE0ELj4294967295EEENS1_25partition_config_selectorILNS1_17partition_subalgoE3EjNS0_10empty_typeEbEEZZNS1_14partition_implILS8_3ELb0ES6_jNS0_17counting_iteratorIjlEEPS9_SE_NS0_5tupleIJPjSE_EEENSF_IJSE_SE_EEES9_SG_JZNS1_25segmented_radix_sort_implINS0_14default_configELb1EPKbPbPKlPlN2at6native12_GLOBAL__N_18offset_tEEE10hipError_tPvRmT1_PNSt15iterator_traitsISY_E10value_typeET2_T3_PNSZ_IS14_E10value_typeET4_jRbjT5_S1A_jjP12ihipStream_tbEUljE_EEESV_SW_SX_S14_S18_S1A_T6_T7_T9_mT8_S1C_bDpT10_ENKUlT_T0_E_clISt17integral_constantIbLb0EES1O_IbLb1EEEEDaS1K_S1L_EUlS1K_E_NS1_11comp_targetILNS1_3genE9ELNS1_11target_archE1100ELNS1_3gpuE3ELNS1_3repE0EEENS1_30default_config_static_selectorELNS0_4arch9wavefront6targetE0EEEvSY_
                                        ; -- End function
	.set _ZN7rocprim17ROCPRIM_400000_NS6detail17trampoline_kernelINS0_13select_configILj256ELj13ELNS0_17block_load_methodE3ELS4_3ELS4_3ELNS0_20block_scan_algorithmE0ELj4294967295EEENS1_25partition_config_selectorILNS1_17partition_subalgoE3EjNS0_10empty_typeEbEEZZNS1_14partition_implILS8_3ELb0ES6_jNS0_17counting_iteratorIjlEEPS9_SE_NS0_5tupleIJPjSE_EEENSF_IJSE_SE_EEES9_SG_JZNS1_25segmented_radix_sort_implINS0_14default_configELb1EPKbPbPKlPlN2at6native12_GLOBAL__N_18offset_tEEE10hipError_tPvRmT1_PNSt15iterator_traitsISY_E10value_typeET2_T3_PNSZ_IS14_E10value_typeET4_jRbjT5_S1A_jjP12ihipStream_tbEUljE_EEESV_SW_SX_S14_S18_S1A_T6_T7_T9_mT8_S1C_bDpT10_ENKUlT_T0_E_clISt17integral_constantIbLb0EES1O_IbLb1EEEEDaS1K_S1L_EUlS1K_E_NS1_11comp_targetILNS1_3genE9ELNS1_11target_archE1100ELNS1_3gpuE3ELNS1_3repE0EEENS1_30default_config_static_selectorELNS0_4arch9wavefront6targetE0EEEvSY_.num_vgpr, 0
	.set _ZN7rocprim17ROCPRIM_400000_NS6detail17trampoline_kernelINS0_13select_configILj256ELj13ELNS0_17block_load_methodE3ELS4_3ELS4_3ELNS0_20block_scan_algorithmE0ELj4294967295EEENS1_25partition_config_selectorILNS1_17partition_subalgoE3EjNS0_10empty_typeEbEEZZNS1_14partition_implILS8_3ELb0ES6_jNS0_17counting_iteratorIjlEEPS9_SE_NS0_5tupleIJPjSE_EEENSF_IJSE_SE_EEES9_SG_JZNS1_25segmented_radix_sort_implINS0_14default_configELb1EPKbPbPKlPlN2at6native12_GLOBAL__N_18offset_tEEE10hipError_tPvRmT1_PNSt15iterator_traitsISY_E10value_typeET2_T3_PNSZ_IS14_E10value_typeET4_jRbjT5_S1A_jjP12ihipStream_tbEUljE_EEESV_SW_SX_S14_S18_S1A_T6_T7_T9_mT8_S1C_bDpT10_ENKUlT_T0_E_clISt17integral_constantIbLb0EES1O_IbLb1EEEEDaS1K_S1L_EUlS1K_E_NS1_11comp_targetILNS1_3genE9ELNS1_11target_archE1100ELNS1_3gpuE3ELNS1_3repE0EEENS1_30default_config_static_selectorELNS0_4arch9wavefront6targetE0EEEvSY_.num_agpr, 0
	.set _ZN7rocprim17ROCPRIM_400000_NS6detail17trampoline_kernelINS0_13select_configILj256ELj13ELNS0_17block_load_methodE3ELS4_3ELS4_3ELNS0_20block_scan_algorithmE0ELj4294967295EEENS1_25partition_config_selectorILNS1_17partition_subalgoE3EjNS0_10empty_typeEbEEZZNS1_14partition_implILS8_3ELb0ES6_jNS0_17counting_iteratorIjlEEPS9_SE_NS0_5tupleIJPjSE_EEENSF_IJSE_SE_EEES9_SG_JZNS1_25segmented_radix_sort_implINS0_14default_configELb1EPKbPbPKlPlN2at6native12_GLOBAL__N_18offset_tEEE10hipError_tPvRmT1_PNSt15iterator_traitsISY_E10value_typeET2_T3_PNSZ_IS14_E10value_typeET4_jRbjT5_S1A_jjP12ihipStream_tbEUljE_EEESV_SW_SX_S14_S18_S1A_T6_T7_T9_mT8_S1C_bDpT10_ENKUlT_T0_E_clISt17integral_constantIbLb0EES1O_IbLb1EEEEDaS1K_S1L_EUlS1K_E_NS1_11comp_targetILNS1_3genE9ELNS1_11target_archE1100ELNS1_3gpuE3ELNS1_3repE0EEENS1_30default_config_static_selectorELNS0_4arch9wavefront6targetE0EEEvSY_.numbered_sgpr, 0
	.set _ZN7rocprim17ROCPRIM_400000_NS6detail17trampoline_kernelINS0_13select_configILj256ELj13ELNS0_17block_load_methodE3ELS4_3ELS4_3ELNS0_20block_scan_algorithmE0ELj4294967295EEENS1_25partition_config_selectorILNS1_17partition_subalgoE3EjNS0_10empty_typeEbEEZZNS1_14partition_implILS8_3ELb0ES6_jNS0_17counting_iteratorIjlEEPS9_SE_NS0_5tupleIJPjSE_EEENSF_IJSE_SE_EEES9_SG_JZNS1_25segmented_radix_sort_implINS0_14default_configELb1EPKbPbPKlPlN2at6native12_GLOBAL__N_18offset_tEEE10hipError_tPvRmT1_PNSt15iterator_traitsISY_E10value_typeET2_T3_PNSZ_IS14_E10value_typeET4_jRbjT5_S1A_jjP12ihipStream_tbEUljE_EEESV_SW_SX_S14_S18_S1A_T6_T7_T9_mT8_S1C_bDpT10_ENKUlT_T0_E_clISt17integral_constantIbLb0EES1O_IbLb1EEEEDaS1K_S1L_EUlS1K_E_NS1_11comp_targetILNS1_3genE9ELNS1_11target_archE1100ELNS1_3gpuE3ELNS1_3repE0EEENS1_30default_config_static_selectorELNS0_4arch9wavefront6targetE0EEEvSY_.num_named_barrier, 0
	.set _ZN7rocprim17ROCPRIM_400000_NS6detail17trampoline_kernelINS0_13select_configILj256ELj13ELNS0_17block_load_methodE3ELS4_3ELS4_3ELNS0_20block_scan_algorithmE0ELj4294967295EEENS1_25partition_config_selectorILNS1_17partition_subalgoE3EjNS0_10empty_typeEbEEZZNS1_14partition_implILS8_3ELb0ES6_jNS0_17counting_iteratorIjlEEPS9_SE_NS0_5tupleIJPjSE_EEENSF_IJSE_SE_EEES9_SG_JZNS1_25segmented_radix_sort_implINS0_14default_configELb1EPKbPbPKlPlN2at6native12_GLOBAL__N_18offset_tEEE10hipError_tPvRmT1_PNSt15iterator_traitsISY_E10value_typeET2_T3_PNSZ_IS14_E10value_typeET4_jRbjT5_S1A_jjP12ihipStream_tbEUljE_EEESV_SW_SX_S14_S18_S1A_T6_T7_T9_mT8_S1C_bDpT10_ENKUlT_T0_E_clISt17integral_constantIbLb0EES1O_IbLb1EEEEDaS1K_S1L_EUlS1K_E_NS1_11comp_targetILNS1_3genE9ELNS1_11target_archE1100ELNS1_3gpuE3ELNS1_3repE0EEENS1_30default_config_static_selectorELNS0_4arch9wavefront6targetE0EEEvSY_.private_seg_size, 0
	.set _ZN7rocprim17ROCPRIM_400000_NS6detail17trampoline_kernelINS0_13select_configILj256ELj13ELNS0_17block_load_methodE3ELS4_3ELS4_3ELNS0_20block_scan_algorithmE0ELj4294967295EEENS1_25partition_config_selectorILNS1_17partition_subalgoE3EjNS0_10empty_typeEbEEZZNS1_14partition_implILS8_3ELb0ES6_jNS0_17counting_iteratorIjlEEPS9_SE_NS0_5tupleIJPjSE_EEENSF_IJSE_SE_EEES9_SG_JZNS1_25segmented_radix_sort_implINS0_14default_configELb1EPKbPbPKlPlN2at6native12_GLOBAL__N_18offset_tEEE10hipError_tPvRmT1_PNSt15iterator_traitsISY_E10value_typeET2_T3_PNSZ_IS14_E10value_typeET4_jRbjT5_S1A_jjP12ihipStream_tbEUljE_EEESV_SW_SX_S14_S18_S1A_T6_T7_T9_mT8_S1C_bDpT10_ENKUlT_T0_E_clISt17integral_constantIbLb0EES1O_IbLb1EEEEDaS1K_S1L_EUlS1K_E_NS1_11comp_targetILNS1_3genE9ELNS1_11target_archE1100ELNS1_3gpuE3ELNS1_3repE0EEENS1_30default_config_static_selectorELNS0_4arch9wavefront6targetE0EEEvSY_.uses_vcc, 0
	.set _ZN7rocprim17ROCPRIM_400000_NS6detail17trampoline_kernelINS0_13select_configILj256ELj13ELNS0_17block_load_methodE3ELS4_3ELS4_3ELNS0_20block_scan_algorithmE0ELj4294967295EEENS1_25partition_config_selectorILNS1_17partition_subalgoE3EjNS0_10empty_typeEbEEZZNS1_14partition_implILS8_3ELb0ES6_jNS0_17counting_iteratorIjlEEPS9_SE_NS0_5tupleIJPjSE_EEENSF_IJSE_SE_EEES9_SG_JZNS1_25segmented_radix_sort_implINS0_14default_configELb1EPKbPbPKlPlN2at6native12_GLOBAL__N_18offset_tEEE10hipError_tPvRmT1_PNSt15iterator_traitsISY_E10value_typeET2_T3_PNSZ_IS14_E10value_typeET4_jRbjT5_S1A_jjP12ihipStream_tbEUljE_EEESV_SW_SX_S14_S18_S1A_T6_T7_T9_mT8_S1C_bDpT10_ENKUlT_T0_E_clISt17integral_constantIbLb0EES1O_IbLb1EEEEDaS1K_S1L_EUlS1K_E_NS1_11comp_targetILNS1_3genE9ELNS1_11target_archE1100ELNS1_3gpuE3ELNS1_3repE0EEENS1_30default_config_static_selectorELNS0_4arch9wavefront6targetE0EEEvSY_.uses_flat_scratch, 0
	.set _ZN7rocprim17ROCPRIM_400000_NS6detail17trampoline_kernelINS0_13select_configILj256ELj13ELNS0_17block_load_methodE3ELS4_3ELS4_3ELNS0_20block_scan_algorithmE0ELj4294967295EEENS1_25partition_config_selectorILNS1_17partition_subalgoE3EjNS0_10empty_typeEbEEZZNS1_14partition_implILS8_3ELb0ES6_jNS0_17counting_iteratorIjlEEPS9_SE_NS0_5tupleIJPjSE_EEENSF_IJSE_SE_EEES9_SG_JZNS1_25segmented_radix_sort_implINS0_14default_configELb1EPKbPbPKlPlN2at6native12_GLOBAL__N_18offset_tEEE10hipError_tPvRmT1_PNSt15iterator_traitsISY_E10value_typeET2_T3_PNSZ_IS14_E10value_typeET4_jRbjT5_S1A_jjP12ihipStream_tbEUljE_EEESV_SW_SX_S14_S18_S1A_T6_T7_T9_mT8_S1C_bDpT10_ENKUlT_T0_E_clISt17integral_constantIbLb0EES1O_IbLb1EEEEDaS1K_S1L_EUlS1K_E_NS1_11comp_targetILNS1_3genE9ELNS1_11target_archE1100ELNS1_3gpuE3ELNS1_3repE0EEENS1_30default_config_static_selectorELNS0_4arch9wavefront6targetE0EEEvSY_.has_dyn_sized_stack, 0
	.set _ZN7rocprim17ROCPRIM_400000_NS6detail17trampoline_kernelINS0_13select_configILj256ELj13ELNS0_17block_load_methodE3ELS4_3ELS4_3ELNS0_20block_scan_algorithmE0ELj4294967295EEENS1_25partition_config_selectorILNS1_17partition_subalgoE3EjNS0_10empty_typeEbEEZZNS1_14partition_implILS8_3ELb0ES6_jNS0_17counting_iteratorIjlEEPS9_SE_NS0_5tupleIJPjSE_EEENSF_IJSE_SE_EEES9_SG_JZNS1_25segmented_radix_sort_implINS0_14default_configELb1EPKbPbPKlPlN2at6native12_GLOBAL__N_18offset_tEEE10hipError_tPvRmT1_PNSt15iterator_traitsISY_E10value_typeET2_T3_PNSZ_IS14_E10value_typeET4_jRbjT5_S1A_jjP12ihipStream_tbEUljE_EEESV_SW_SX_S14_S18_S1A_T6_T7_T9_mT8_S1C_bDpT10_ENKUlT_T0_E_clISt17integral_constantIbLb0EES1O_IbLb1EEEEDaS1K_S1L_EUlS1K_E_NS1_11comp_targetILNS1_3genE9ELNS1_11target_archE1100ELNS1_3gpuE3ELNS1_3repE0EEENS1_30default_config_static_selectorELNS0_4arch9wavefront6targetE0EEEvSY_.has_recursion, 0
	.set _ZN7rocprim17ROCPRIM_400000_NS6detail17trampoline_kernelINS0_13select_configILj256ELj13ELNS0_17block_load_methodE3ELS4_3ELS4_3ELNS0_20block_scan_algorithmE0ELj4294967295EEENS1_25partition_config_selectorILNS1_17partition_subalgoE3EjNS0_10empty_typeEbEEZZNS1_14partition_implILS8_3ELb0ES6_jNS0_17counting_iteratorIjlEEPS9_SE_NS0_5tupleIJPjSE_EEENSF_IJSE_SE_EEES9_SG_JZNS1_25segmented_radix_sort_implINS0_14default_configELb1EPKbPbPKlPlN2at6native12_GLOBAL__N_18offset_tEEE10hipError_tPvRmT1_PNSt15iterator_traitsISY_E10value_typeET2_T3_PNSZ_IS14_E10value_typeET4_jRbjT5_S1A_jjP12ihipStream_tbEUljE_EEESV_SW_SX_S14_S18_S1A_T6_T7_T9_mT8_S1C_bDpT10_ENKUlT_T0_E_clISt17integral_constantIbLb0EES1O_IbLb1EEEEDaS1K_S1L_EUlS1K_E_NS1_11comp_targetILNS1_3genE9ELNS1_11target_archE1100ELNS1_3gpuE3ELNS1_3repE0EEENS1_30default_config_static_selectorELNS0_4arch9wavefront6targetE0EEEvSY_.has_indirect_call, 0
	.section	.AMDGPU.csdata,"",@progbits
; Kernel info:
; codeLenInByte = 0
; TotalNumSgprs: 0
; NumVgprs: 0
; ScratchSize: 0
; MemoryBound: 0
; FloatMode: 240
; IeeeMode: 1
; LDSByteSize: 0 bytes/workgroup (compile time only)
; SGPRBlocks: 0
; VGPRBlocks: 0
; NumSGPRsForWavesPerEU: 1
; NumVGPRsForWavesPerEU: 1
; Occupancy: 16
; WaveLimiterHint : 0
; COMPUTE_PGM_RSRC2:SCRATCH_EN: 0
; COMPUTE_PGM_RSRC2:USER_SGPR: 2
; COMPUTE_PGM_RSRC2:TRAP_HANDLER: 0
; COMPUTE_PGM_RSRC2:TGID_X_EN: 1
; COMPUTE_PGM_RSRC2:TGID_Y_EN: 0
; COMPUTE_PGM_RSRC2:TGID_Z_EN: 0
; COMPUTE_PGM_RSRC2:TIDIG_COMP_CNT: 0
	.section	.text._ZN7rocprim17ROCPRIM_400000_NS6detail17trampoline_kernelINS0_13select_configILj256ELj13ELNS0_17block_load_methodE3ELS4_3ELS4_3ELNS0_20block_scan_algorithmE0ELj4294967295EEENS1_25partition_config_selectorILNS1_17partition_subalgoE3EjNS0_10empty_typeEbEEZZNS1_14partition_implILS8_3ELb0ES6_jNS0_17counting_iteratorIjlEEPS9_SE_NS0_5tupleIJPjSE_EEENSF_IJSE_SE_EEES9_SG_JZNS1_25segmented_radix_sort_implINS0_14default_configELb1EPKbPbPKlPlN2at6native12_GLOBAL__N_18offset_tEEE10hipError_tPvRmT1_PNSt15iterator_traitsISY_E10value_typeET2_T3_PNSZ_IS14_E10value_typeET4_jRbjT5_S1A_jjP12ihipStream_tbEUljE_EEESV_SW_SX_S14_S18_S1A_T6_T7_T9_mT8_S1C_bDpT10_ENKUlT_T0_E_clISt17integral_constantIbLb0EES1O_IbLb1EEEEDaS1K_S1L_EUlS1K_E_NS1_11comp_targetILNS1_3genE8ELNS1_11target_archE1030ELNS1_3gpuE2ELNS1_3repE0EEENS1_30default_config_static_selectorELNS0_4arch9wavefront6targetE0EEEvSY_,"axG",@progbits,_ZN7rocprim17ROCPRIM_400000_NS6detail17trampoline_kernelINS0_13select_configILj256ELj13ELNS0_17block_load_methodE3ELS4_3ELS4_3ELNS0_20block_scan_algorithmE0ELj4294967295EEENS1_25partition_config_selectorILNS1_17partition_subalgoE3EjNS0_10empty_typeEbEEZZNS1_14partition_implILS8_3ELb0ES6_jNS0_17counting_iteratorIjlEEPS9_SE_NS0_5tupleIJPjSE_EEENSF_IJSE_SE_EEES9_SG_JZNS1_25segmented_radix_sort_implINS0_14default_configELb1EPKbPbPKlPlN2at6native12_GLOBAL__N_18offset_tEEE10hipError_tPvRmT1_PNSt15iterator_traitsISY_E10value_typeET2_T3_PNSZ_IS14_E10value_typeET4_jRbjT5_S1A_jjP12ihipStream_tbEUljE_EEESV_SW_SX_S14_S18_S1A_T6_T7_T9_mT8_S1C_bDpT10_ENKUlT_T0_E_clISt17integral_constantIbLb0EES1O_IbLb1EEEEDaS1K_S1L_EUlS1K_E_NS1_11comp_targetILNS1_3genE8ELNS1_11target_archE1030ELNS1_3gpuE2ELNS1_3repE0EEENS1_30default_config_static_selectorELNS0_4arch9wavefront6targetE0EEEvSY_,comdat
	.globl	_ZN7rocprim17ROCPRIM_400000_NS6detail17trampoline_kernelINS0_13select_configILj256ELj13ELNS0_17block_load_methodE3ELS4_3ELS4_3ELNS0_20block_scan_algorithmE0ELj4294967295EEENS1_25partition_config_selectorILNS1_17partition_subalgoE3EjNS0_10empty_typeEbEEZZNS1_14partition_implILS8_3ELb0ES6_jNS0_17counting_iteratorIjlEEPS9_SE_NS0_5tupleIJPjSE_EEENSF_IJSE_SE_EEES9_SG_JZNS1_25segmented_radix_sort_implINS0_14default_configELb1EPKbPbPKlPlN2at6native12_GLOBAL__N_18offset_tEEE10hipError_tPvRmT1_PNSt15iterator_traitsISY_E10value_typeET2_T3_PNSZ_IS14_E10value_typeET4_jRbjT5_S1A_jjP12ihipStream_tbEUljE_EEESV_SW_SX_S14_S18_S1A_T6_T7_T9_mT8_S1C_bDpT10_ENKUlT_T0_E_clISt17integral_constantIbLb0EES1O_IbLb1EEEEDaS1K_S1L_EUlS1K_E_NS1_11comp_targetILNS1_3genE8ELNS1_11target_archE1030ELNS1_3gpuE2ELNS1_3repE0EEENS1_30default_config_static_selectorELNS0_4arch9wavefront6targetE0EEEvSY_ ; -- Begin function _ZN7rocprim17ROCPRIM_400000_NS6detail17trampoline_kernelINS0_13select_configILj256ELj13ELNS0_17block_load_methodE3ELS4_3ELS4_3ELNS0_20block_scan_algorithmE0ELj4294967295EEENS1_25partition_config_selectorILNS1_17partition_subalgoE3EjNS0_10empty_typeEbEEZZNS1_14partition_implILS8_3ELb0ES6_jNS0_17counting_iteratorIjlEEPS9_SE_NS0_5tupleIJPjSE_EEENSF_IJSE_SE_EEES9_SG_JZNS1_25segmented_radix_sort_implINS0_14default_configELb1EPKbPbPKlPlN2at6native12_GLOBAL__N_18offset_tEEE10hipError_tPvRmT1_PNSt15iterator_traitsISY_E10value_typeET2_T3_PNSZ_IS14_E10value_typeET4_jRbjT5_S1A_jjP12ihipStream_tbEUljE_EEESV_SW_SX_S14_S18_S1A_T6_T7_T9_mT8_S1C_bDpT10_ENKUlT_T0_E_clISt17integral_constantIbLb0EES1O_IbLb1EEEEDaS1K_S1L_EUlS1K_E_NS1_11comp_targetILNS1_3genE8ELNS1_11target_archE1030ELNS1_3gpuE2ELNS1_3repE0EEENS1_30default_config_static_selectorELNS0_4arch9wavefront6targetE0EEEvSY_
	.p2align	8
	.type	_ZN7rocprim17ROCPRIM_400000_NS6detail17trampoline_kernelINS0_13select_configILj256ELj13ELNS0_17block_load_methodE3ELS4_3ELS4_3ELNS0_20block_scan_algorithmE0ELj4294967295EEENS1_25partition_config_selectorILNS1_17partition_subalgoE3EjNS0_10empty_typeEbEEZZNS1_14partition_implILS8_3ELb0ES6_jNS0_17counting_iteratorIjlEEPS9_SE_NS0_5tupleIJPjSE_EEENSF_IJSE_SE_EEES9_SG_JZNS1_25segmented_radix_sort_implINS0_14default_configELb1EPKbPbPKlPlN2at6native12_GLOBAL__N_18offset_tEEE10hipError_tPvRmT1_PNSt15iterator_traitsISY_E10value_typeET2_T3_PNSZ_IS14_E10value_typeET4_jRbjT5_S1A_jjP12ihipStream_tbEUljE_EEESV_SW_SX_S14_S18_S1A_T6_T7_T9_mT8_S1C_bDpT10_ENKUlT_T0_E_clISt17integral_constantIbLb0EES1O_IbLb1EEEEDaS1K_S1L_EUlS1K_E_NS1_11comp_targetILNS1_3genE8ELNS1_11target_archE1030ELNS1_3gpuE2ELNS1_3repE0EEENS1_30default_config_static_selectorELNS0_4arch9wavefront6targetE0EEEvSY_,@function
_ZN7rocprim17ROCPRIM_400000_NS6detail17trampoline_kernelINS0_13select_configILj256ELj13ELNS0_17block_load_methodE3ELS4_3ELS4_3ELNS0_20block_scan_algorithmE0ELj4294967295EEENS1_25partition_config_selectorILNS1_17partition_subalgoE3EjNS0_10empty_typeEbEEZZNS1_14partition_implILS8_3ELb0ES6_jNS0_17counting_iteratorIjlEEPS9_SE_NS0_5tupleIJPjSE_EEENSF_IJSE_SE_EEES9_SG_JZNS1_25segmented_radix_sort_implINS0_14default_configELb1EPKbPbPKlPlN2at6native12_GLOBAL__N_18offset_tEEE10hipError_tPvRmT1_PNSt15iterator_traitsISY_E10value_typeET2_T3_PNSZ_IS14_E10value_typeET4_jRbjT5_S1A_jjP12ihipStream_tbEUljE_EEESV_SW_SX_S14_S18_S1A_T6_T7_T9_mT8_S1C_bDpT10_ENKUlT_T0_E_clISt17integral_constantIbLb0EES1O_IbLb1EEEEDaS1K_S1L_EUlS1K_E_NS1_11comp_targetILNS1_3genE8ELNS1_11target_archE1030ELNS1_3gpuE2ELNS1_3repE0EEENS1_30default_config_static_selectorELNS0_4arch9wavefront6targetE0EEEvSY_: ; @_ZN7rocprim17ROCPRIM_400000_NS6detail17trampoline_kernelINS0_13select_configILj256ELj13ELNS0_17block_load_methodE3ELS4_3ELS4_3ELNS0_20block_scan_algorithmE0ELj4294967295EEENS1_25partition_config_selectorILNS1_17partition_subalgoE3EjNS0_10empty_typeEbEEZZNS1_14partition_implILS8_3ELb0ES6_jNS0_17counting_iteratorIjlEEPS9_SE_NS0_5tupleIJPjSE_EEENSF_IJSE_SE_EEES9_SG_JZNS1_25segmented_radix_sort_implINS0_14default_configELb1EPKbPbPKlPlN2at6native12_GLOBAL__N_18offset_tEEE10hipError_tPvRmT1_PNSt15iterator_traitsISY_E10value_typeET2_T3_PNSZ_IS14_E10value_typeET4_jRbjT5_S1A_jjP12ihipStream_tbEUljE_EEESV_SW_SX_S14_S18_S1A_T6_T7_T9_mT8_S1C_bDpT10_ENKUlT_T0_E_clISt17integral_constantIbLb0EES1O_IbLb1EEEEDaS1K_S1L_EUlS1K_E_NS1_11comp_targetILNS1_3genE8ELNS1_11target_archE1030ELNS1_3gpuE2ELNS1_3repE0EEENS1_30default_config_static_selectorELNS0_4arch9wavefront6targetE0EEEvSY_
; %bb.0:
	.section	.rodata,"a",@progbits
	.p2align	6, 0x0
	.amdhsa_kernel _ZN7rocprim17ROCPRIM_400000_NS6detail17trampoline_kernelINS0_13select_configILj256ELj13ELNS0_17block_load_methodE3ELS4_3ELS4_3ELNS0_20block_scan_algorithmE0ELj4294967295EEENS1_25partition_config_selectorILNS1_17partition_subalgoE3EjNS0_10empty_typeEbEEZZNS1_14partition_implILS8_3ELb0ES6_jNS0_17counting_iteratorIjlEEPS9_SE_NS0_5tupleIJPjSE_EEENSF_IJSE_SE_EEES9_SG_JZNS1_25segmented_radix_sort_implINS0_14default_configELb1EPKbPbPKlPlN2at6native12_GLOBAL__N_18offset_tEEE10hipError_tPvRmT1_PNSt15iterator_traitsISY_E10value_typeET2_T3_PNSZ_IS14_E10value_typeET4_jRbjT5_S1A_jjP12ihipStream_tbEUljE_EEESV_SW_SX_S14_S18_S1A_T6_T7_T9_mT8_S1C_bDpT10_ENKUlT_T0_E_clISt17integral_constantIbLb0EES1O_IbLb1EEEEDaS1K_S1L_EUlS1K_E_NS1_11comp_targetILNS1_3genE8ELNS1_11target_archE1030ELNS1_3gpuE2ELNS1_3repE0EEENS1_30default_config_static_selectorELNS0_4arch9wavefront6targetE0EEEvSY_
		.amdhsa_group_segment_fixed_size 0
		.amdhsa_private_segment_fixed_size 0
		.amdhsa_kernarg_size 152
		.amdhsa_user_sgpr_count 2
		.amdhsa_user_sgpr_dispatch_ptr 0
		.amdhsa_user_sgpr_queue_ptr 0
		.amdhsa_user_sgpr_kernarg_segment_ptr 1
		.amdhsa_user_sgpr_dispatch_id 0
		.amdhsa_user_sgpr_private_segment_size 0
		.amdhsa_wavefront_size32 1
		.amdhsa_uses_dynamic_stack 0
		.amdhsa_enable_private_segment 0
		.amdhsa_system_sgpr_workgroup_id_x 1
		.amdhsa_system_sgpr_workgroup_id_y 0
		.amdhsa_system_sgpr_workgroup_id_z 0
		.amdhsa_system_sgpr_workgroup_info 0
		.amdhsa_system_vgpr_workitem_id 0
		.amdhsa_next_free_vgpr 1
		.amdhsa_next_free_sgpr 1
		.amdhsa_reserve_vcc 0
		.amdhsa_float_round_mode_32 0
		.amdhsa_float_round_mode_16_64 0
		.amdhsa_float_denorm_mode_32 3
		.amdhsa_float_denorm_mode_16_64 3
		.amdhsa_fp16_overflow 0
		.amdhsa_workgroup_processor_mode 1
		.amdhsa_memory_ordered 1
		.amdhsa_forward_progress 1
		.amdhsa_inst_pref_size 0
		.amdhsa_round_robin_scheduling 0
		.amdhsa_exception_fp_ieee_invalid_op 0
		.amdhsa_exception_fp_denorm_src 0
		.amdhsa_exception_fp_ieee_div_zero 0
		.amdhsa_exception_fp_ieee_overflow 0
		.amdhsa_exception_fp_ieee_underflow 0
		.amdhsa_exception_fp_ieee_inexact 0
		.amdhsa_exception_int_div_zero 0
	.end_amdhsa_kernel
	.section	.text._ZN7rocprim17ROCPRIM_400000_NS6detail17trampoline_kernelINS0_13select_configILj256ELj13ELNS0_17block_load_methodE3ELS4_3ELS4_3ELNS0_20block_scan_algorithmE0ELj4294967295EEENS1_25partition_config_selectorILNS1_17partition_subalgoE3EjNS0_10empty_typeEbEEZZNS1_14partition_implILS8_3ELb0ES6_jNS0_17counting_iteratorIjlEEPS9_SE_NS0_5tupleIJPjSE_EEENSF_IJSE_SE_EEES9_SG_JZNS1_25segmented_radix_sort_implINS0_14default_configELb1EPKbPbPKlPlN2at6native12_GLOBAL__N_18offset_tEEE10hipError_tPvRmT1_PNSt15iterator_traitsISY_E10value_typeET2_T3_PNSZ_IS14_E10value_typeET4_jRbjT5_S1A_jjP12ihipStream_tbEUljE_EEESV_SW_SX_S14_S18_S1A_T6_T7_T9_mT8_S1C_bDpT10_ENKUlT_T0_E_clISt17integral_constantIbLb0EES1O_IbLb1EEEEDaS1K_S1L_EUlS1K_E_NS1_11comp_targetILNS1_3genE8ELNS1_11target_archE1030ELNS1_3gpuE2ELNS1_3repE0EEENS1_30default_config_static_selectorELNS0_4arch9wavefront6targetE0EEEvSY_,"axG",@progbits,_ZN7rocprim17ROCPRIM_400000_NS6detail17trampoline_kernelINS0_13select_configILj256ELj13ELNS0_17block_load_methodE3ELS4_3ELS4_3ELNS0_20block_scan_algorithmE0ELj4294967295EEENS1_25partition_config_selectorILNS1_17partition_subalgoE3EjNS0_10empty_typeEbEEZZNS1_14partition_implILS8_3ELb0ES6_jNS0_17counting_iteratorIjlEEPS9_SE_NS0_5tupleIJPjSE_EEENSF_IJSE_SE_EEES9_SG_JZNS1_25segmented_radix_sort_implINS0_14default_configELb1EPKbPbPKlPlN2at6native12_GLOBAL__N_18offset_tEEE10hipError_tPvRmT1_PNSt15iterator_traitsISY_E10value_typeET2_T3_PNSZ_IS14_E10value_typeET4_jRbjT5_S1A_jjP12ihipStream_tbEUljE_EEESV_SW_SX_S14_S18_S1A_T6_T7_T9_mT8_S1C_bDpT10_ENKUlT_T0_E_clISt17integral_constantIbLb0EES1O_IbLb1EEEEDaS1K_S1L_EUlS1K_E_NS1_11comp_targetILNS1_3genE8ELNS1_11target_archE1030ELNS1_3gpuE2ELNS1_3repE0EEENS1_30default_config_static_selectorELNS0_4arch9wavefront6targetE0EEEvSY_,comdat
.Lfunc_end1531:
	.size	_ZN7rocprim17ROCPRIM_400000_NS6detail17trampoline_kernelINS0_13select_configILj256ELj13ELNS0_17block_load_methodE3ELS4_3ELS4_3ELNS0_20block_scan_algorithmE0ELj4294967295EEENS1_25partition_config_selectorILNS1_17partition_subalgoE3EjNS0_10empty_typeEbEEZZNS1_14partition_implILS8_3ELb0ES6_jNS0_17counting_iteratorIjlEEPS9_SE_NS0_5tupleIJPjSE_EEENSF_IJSE_SE_EEES9_SG_JZNS1_25segmented_radix_sort_implINS0_14default_configELb1EPKbPbPKlPlN2at6native12_GLOBAL__N_18offset_tEEE10hipError_tPvRmT1_PNSt15iterator_traitsISY_E10value_typeET2_T3_PNSZ_IS14_E10value_typeET4_jRbjT5_S1A_jjP12ihipStream_tbEUljE_EEESV_SW_SX_S14_S18_S1A_T6_T7_T9_mT8_S1C_bDpT10_ENKUlT_T0_E_clISt17integral_constantIbLb0EES1O_IbLb1EEEEDaS1K_S1L_EUlS1K_E_NS1_11comp_targetILNS1_3genE8ELNS1_11target_archE1030ELNS1_3gpuE2ELNS1_3repE0EEENS1_30default_config_static_selectorELNS0_4arch9wavefront6targetE0EEEvSY_, .Lfunc_end1531-_ZN7rocprim17ROCPRIM_400000_NS6detail17trampoline_kernelINS0_13select_configILj256ELj13ELNS0_17block_load_methodE3ELS4_3ELS4_3ELNS0_20block_scan_algorithmE0ELj4294967295EEENS1_25partition_config_selectorILNS1_17partition_subalgoE3EjNS0_10empty_typeEbEEZZNS1_14partition_implILS8_3ELb0ES6_jNS0_17counting_iteratorIjlEEPS9_SE_NS0_5tupleIJPjSE_EEENSF_IJSE_SE_EEES9_SG_JZNS1_25segmented_radix_sort_implINS0_14default_configELb1EPKbPbPKlPlN2at6native12_GLOBAL__N_18offset_tEEE10hipError_tPvRmT1_PNSt15iterator_traitsISY_E10value_typeET2_T3_PNSZ_IS14_E10value_typeET4_jRbjT5_S1A_jjP12ihipStream_tbEUljE_EEESV_SW_SX_S14_S18_S1A_T6_T7_T9_mT8_S1C_bDpT10_ENKUlT_T0_E_clISt17integral_constantIbLb0EES1O_IbLb1EEEEDaS1K_S1L_EUlS1K_E_NS1_11comp_targetILNS1_3genE8ELNS1_11target_archE1030ELNS1_3gpuE2ELNS1_3repE0EEENS1_30default_config_static_selectorELNS0_4arch9wavefront6targetE0EEEvSY_
                                        ; -- End function
	.set _ZN7rocprim17ROCPRIM_400000_NS6detail17trampoline_kernelINS0_13select_configILj256ELj13ELNS0_17block_load_methodE3ELS4_3ELS4_3ELNS0_20block_scan_algorithmE0ELj4294967295EEENS1_25partition_config_selectorILNS1_17partition_subalgoE3EjNS0_10empty_typeEbEEZZNS1_14partition_implILS8_3ELb0ES6_jNS0_17counting_iteratorIjlEEPS9_SE_NS0_5tupleIJPjSE_EEENSF_IJSE_SE_EEES9_SG_JZNS1_25segmented_radix_sort_implINS0_14default_configELb1EPKbPbPKlPlN2at6native12_GLOBAL__N_18offset_tEEE10hipError_tPvRmT1_PNSt15iterator_traitsISY_E10value_typeET2_T3_PNSZ_IS14_E10value_typeET4_jRbjT5_S1A_jjP12ihipStream_tbEUljE_EEESV_SW_SX_S14_S18_S1A_T6_T7_T9_mT8_S1C_bDpT10_ENKUlT_T0_E_clISt17integral_constantIbLb0EES1O_IbLb1EEEEDaS1K_S1L_EUlS1K_E_NS1_11comp_targetILNS1_3genE8ELNS1_11target_archE1030ELNS1_3gpuE2ELNS1_3repE0EEENS1_30default_config_static_selectorELNS0_4arch9wavefront6targetE0EEEvSY_.num_vgpr, 0
	.set _ZN7rocprim17ROCPRIM_400000_NS6detail17trampoline_kernelINS0_13select_configILj256ELj13ELNS0_17block_load_methodE3ELS4_3ELS4_3ELNS0_20block_scan_algorithmE0ELj4294967295EEENS1_25partition_config_selectorILNS1_17partition_subalgoE3EjNS0_10empty_typeEbEEZZNS1_14partition_implILS8_3ELb0ES6_jNS0_17counting_iteratorIjlEEPS9_SE_NS0_5tupleIJPjSE_EEENSF_IJSE_SE_EEES9_SG_JZNS1_25segmented_radix_sort_implINS0_14default_configELb1EPKbPbPKlPlN2at6native12_GLOBAL__N_18offset_tEEE10hipError_tPvRmT1_PNSt15iterator_traitsISY_E10value_typeET2_T3_PNSZ_IS14_E10value_typeET4_jRbjT5_S1A_jjP12ihipStream_tbEUljE_EEESV_SW_SX_S14_S18_S1A_T6_T7_T9_mT8_S1C_bDpT10_ENKUlT_T0_E_clISt17integral_constantIbLb0EES1O_IbLb1EEEEDaS1K_S1L_EUlS1K_E_NS1_11comp_targetILNS1_3genE8ELNS1_11target_archE1030ELNS1_3gpuE2ELNS1_3repE0EEENS1_30default_config_static_selectorELNS0_4arch9wavefront6targetE0EEEvSY_.num_agpr, 0
	.set _ZN7rocprim17ROCPRIM_400000_NS6detail17trampoline_kernelINS0_13select_configILj256ELj13ELNS0_17block_load_methodE3ELS4_3ELS4_3ELNS0_20block_scan_algorithmE0ELj4294967295EEENS1_25partition_config_selectorILNS1_17partition_subalgoE3EjNS0_10empty_typeEbEEZZNS1_14partition_implILS8_3ELb0ES6_jNS0_17counting_iteratorIjlEEPS9_SE_NS0_5tupleIJPjSE_EEENSF_IJSE_SE_EEES9_SG_JZNS1_25segmented_radix_sort_implINS0_14default_configELb1EPKbPbPKlPlN2at6native12_GLOBAL__N_18offset_tEEE10hipError_tPvRmT1_PNSt15iterator_traitsISY_E10value_typeET2_T3_PNSZ_IS14_E10value_typeET4_jRbjT5_S1A_jjP12ihipStream_tbEUljE_EEESV_SW_SX_S14_S18_S1A_T6_T7_T9_mT8_S1C_bDpT10_ENKUlT_T0_E_clISt17integral_constantIbLb0EES1O_IbLb1EEEEDaS1K_S1L_EUlS1K_E_NS1_11comp_targetILNS1_3genE8ELNS1_11target_archE1030ELNS1_3gpuE2ELNS1_3repE0EEENS1_30default_config_static_selectorELNS0_4arch9wavefront6targetE0EEEvSY_.numbered_sgpr, 0
	.set _ZN7rocprim17ROCPRIM_400000_NS6detail17trampoline_kernelINS0_13select_configILj256ELj13ELNS0_17block_load_methodE3ELS4_3ELS4_3ELNS0_20block_scan_algorithmE0ELj4294967295EEENS1_25partition_config_selectorILNS1_17partition_subalgoE3EjNS0_10empty_typeEbEEZZNS1_14partition_implILS8_3ELb0ES6_jNS0_17counting_iteratorIjlEEPS9_SE_NS0_5tupleIJPjSE_EEENSF_IJSE_SE_EEES9_SG_JZNS1_25segmented_radix_sort_implINS0_14default_configELb1EPKbPbPKlPlN2at6native12_GLOBAL__N_18offset_tEEE10hipError_tPvRmT1_PNSt15iterator_traitsISY_E10value_typeET2_T3_PNSZ_IS14_E10value_typeET4_jRbjT5_S1A_jjP12ihipStream_tbEUljE_EEESV_SW_SX_S14_S18_S1A_T6_T7_T9_mT8_S1C_bDpT10_ENKUlT_T0_E_clISt17integral_constantIbLb0EES1O_IbLb1EEEEDaS1K_S1L_EUlS1K_E_NS1_11comp_targetILNS1_3genE8ELNS1_11target_archE1030ELNS1_3gpuE2ELNS1_3repE0EEENS1_30default_config_static_selectorELNS0_4arch9wavefront6targetE0EEEvSY_.num_named_barrier, 0
	.set _ZN7rocprim17ROCPRIM_400000_NS6detail17trampoline_kernelINS0_13select_configILj256ELj13ELNS0_17block_load_methodE3ELS4_3ELS4_3ELNS0_20block_scan_algorithmE0ELj4294967295EEENS1_25partition_config_selectorILNS1_17partition_subalgoE3EjNS0_10empty_typeEbEEZZNS1_14partition_implILS8_3ELb0ES6_jNS0_17counting_iteratorIjlEEPS9_SE_NS0_5tupleIJPjSE_EEENSF_IJSE_SE_EEES9_SG_JZNS1_25segmented_radix_sort_implINS0_14default_configELb1EPKbPbPKlPlN2at6native12_GLOBAL__N_18offset_tEEE10hipError_tPvRmT1_PNSt15iterator_traitsISY_E10value_typeET2_T3_PNSZ_IS14_E10value_typeET4_jRbjT5_S1A_jjP12ihipStream_tbEUljE_EEESV_SW_SX_S14_S18_S1A_T6_T7_T9_mT8_S1C_bDpT10_ENKUlT_T0_E_clISt17integral_constantIbLb0EES1O_IbLb1EEEEDaS1K_S1L_EUlS1K_E_NS1_11comp_targetILNS1_3genE8ELNS1_11target_archE1030ELNS1_3gpuE2ELNS1_3repE0EEENS1_30default_config_static_selectorELNS0_4arch9wavefront6targetE0EEEvSY_.private_seg_size, 0
	.set _ZN7rocprim17ROCPRIM_400000_NS6detail17trampoline_kernelINS0_13select_configILj256ELj13ELNS0_17block_load_methodE3ELS4_3ELS4_3ELNS0_20block_scan_algorithmE0ELj4294967295EEENS1_25partition_config_selectorILNS1_17partition_subalgoE3EjNS0_10empty_typeEbEEZZNS1_14partition_implILS8_3ELb0ES6_jNS0_17counting_iteratorIjlEEPS9_SE_NS0_5tupleIJPjSE_EEENSF_IJSE_SE_EEES9_SG_JZNS1_25segmented_radix_sort_implINS0_14default_configELb1EPKbPbPKlPlN2at6native12_GLOBAL__N_18offset_tEEE10hipError_tPvRmT1_PNSt15iterator_traitsISY_E10value_typeET2_T3_PNSZ_IS14_E10value_typeET4_jRbjT5_S1A_jjP12ihipStream_tbEUljE_EEESV_SW_SX_S14_S18_S1A_T6_T7_T9_mT8_S1C_bDpT10_ENKUlT_T0_E_clISt17integral_constantIbLb0EES1O_IbLb1EEEEDaS1K_S1L_EUlS1K_E_NS1_11comp_targetILNS1_3genE8ELNS1_11target_archE1030ELNS1_3gpuE2ELNS1_3repE0EEENS1_30default_config_static_selectorELNS0_4arch9wavefront6targetE0EEEvSY_.uses_vcc, 0
	.set _ZN7rocprim17ROCPRIM_400000_NS6detail17trampoline_kernelINS0_13select_configILj256ELj13ELNS0_17block_load_methodE3ELS4_3ELS4_3ELNS0_20block_scan_algorithmE0ELj4294967295EEENS1_25partition_config_selectorILNS1_17partition_subalgoE3EjNS0_10empty_typeEbEEZZNS1_14partition_implILS8_3ELb0ES6_jNS0_17counting_iteratorIjlEEPS9_SE_NS0_5tupleIJPjSE_EEENSF_IJSE_SE_EEES9_SG_JZNS1_25segmented_radix_sort_implINS0_14default_configELb1EPKbPbPKlPlN2at6native12_GLOBAL__N_18offset_tEEE10hipError_tPvRmT1_PNSt15iterator_traitsISY_E10value_typeET2_T3_PNSZ_IS14_E10value_typeET4_jRbjT5_S1A_jjP12ihipStream_tbEUljE_EEESV_SW_SX_S14_S18_S1A_T6_T7_T9_mT8_S1C_bDpT10_ENKUlT_T0_E_clISt17integral_constantIbLb0EES1O_IbLb1EEEEDaS1K_S1L_EUlS1K_E_NS1_11comp_targetILNS1_3genE8ELNS1_11target_archE1030ELNS1_3gpuE2ELNS1_3repE0EEENS1_30default_config_static_selectorELNS0_4arch9wavefront6targetE0EEEvSY_.uses_flat_scratch, 0
	.set _ZN7rocprim17ROCPRIM_400000_NS6detail17trampoline_kernelINS0_13select_configILj256ELj13ELNS0_17block_load_methodE3ELS4_3ELS4_3ELNS0_20block_scan_algorithmE0ELj4294967295EEENS1_25partition_config_selectorILNS1_17partition_subalgoE3EjNS0_10empty_typeEbEEZZNS1_14partition_implILS8_3ELb0ES6_jNS0_17counting_iteratorIjlEEPS9_SE_NS0_5tupleIJPjSE_EEENSF_IJSE_SE_EEES9_SG_JZNS1_25segmented_radix_sort_implINS0_14default_configELb1EPKbPbPKlPlN2at6native12_GLOBAL__N_18offset_tEEE10hipError_tPvRmT1_PNSt15iterator_traitsISY_E10value_typeET2_T3_PNSZ_IS14_E10value_typeET4_jRbjT5_S1A_jjP12ihipStream_tbEUljE_EEESV_SW_SX_S14_S18_S1A_T6_T7_T9_mT8_S1C_bDpT10_ENKUlT_T0_E_clISt17integral_constantIbLb0EES1O_IbLb1EEEEDaS1K_S1L_EUlS1K_E_NS1_11comp_targetILNS1_3genE8ELNS1_11target_archE1030ELNS1_3gpuE2ELNS1_3repE0EEENS1_30default_config_static_selectorELNS0_4arch9wavefront6targetE0EEEvSY_.has_dyn_sized_stack, 0
	.set _ZN7rocprim17ROCPRIM_400000_NS6detail17trampoline_kernelINS0_13select_configILj256ELj13ELNS0_17block_load_methodE3ELS4_3ELS4_3ELNS0_20block_scan_algorithmE0ELj4294967295EEENS1_25partition_config_selectorILNS1_17partition_subalgoE3EjNS0_10empty_typeEbEEZZNS1_14partition_implILS8_3ELb0ES6_jNS0_17counting_iteratorIjlEEPS9_SE_NS0_5tupleIJPjSE_EEENSF_IJSE_SE_EEES9_SG_JZNS1_25segmented_radix_sort_implINS0_14default_configELb1EPKbPbPKlPlN2at6native12_GLOBAL__N_18offset_tEEE10hipError_tPvRmT1_PNSt15iterator_traitsISY_E10value_typeET2_T3_PNSZ_IS14_E10value_typeET4_jRbjT5_S1A_jjP12ihipStream_tbEUljE_EEESV_SW_SX_S14_S18_S1A_T6_T7_T9_mT8_S1C_bDpT10_ENKUlT_T0_E_clISt17integral_constantIbLb0EES1O_IbLb1EEEEDaS1K_S1L_EUlS1K_E_NS1_11comp_targetILNS1_3genE8ELNS1_11target_archE1030ELNS1_3gpuE2ELNS1_3repE0EEENS1_30default_config_static_selectorELNS0_4arch9wavefront6targetE0EEEvSY_.has_recursion, 0
	.set _ZN7rocprim17ROCPRIM_400000_NS6detail17trampoline_kernelINS0_13select_configILj256ELj13ELNS0_17block_load_methodE3ELS4_3ELS4_3ELNS0_20block_scan_algorithmE0ELj4294967295EEENS1_25partition_config_selectorILNS1_17partition_subalgoE3EjNS0_10empty_typeEbEEZZNS1_14partition_implILS8_3ELb0ES6_jNS0_17counting_iteratorIjlEEPS9_SE_NS0_5tupleIJPjSE_EEENSF_IJSE_SE_EEES9_SG_JZNS1_25segmented_radix_sort_implINS0_14default_configELb1EPKbPbPKlPlN2at6native12_GLOBAL__N_18offset_tEEE10hipError_tPvRmT1_PNSt15iterator_traitsISY_E10value_typeET2_T3_PNSZ_IS14_E10value_typeET4_jRbjT5_S1A_jjP12ihipStream_tbEUljE_EEESV_SW_SX_S14_S18_S1A_T6_T7_T9_mT8_S1C_bDpT10_ENKUlT_T0_E_clISt17integral_constantIbLb0EES1O_IbLb1EEEEDaS1K_S1L_EUlS1K_E_NS1_11comp_targetILNS1_3genE8ELNS1_11target_archE1030ELNS1_3gpuE2ELNS1_3repE0EEENS1_30default_config_static_selectorELNS0_4arch9wavefront6targetE0EEEvSY_.has_indirect_call, 0
	.section	.AMDGPU.csdata,"",@progbits
; Kernel info:
; codeLenInByte = 0
; TotalNumSgprs: 0
; NumVgprs: 0
; ScratchSize: 0
; MemoryBound: 0
; FloatMode: 240
; IeeeMode: 1
; LDSByteSize: 0 bytes/workgroup (compile time only)
; SGPRBlocks: 0
; VGPRBlocks: 0
; NumSGPRsForWavesPerEU: 1
; NumVGPRsForWavesPerEU: 1
; Occupancy: 16
; WaveLimiterHint : 0
; COMPUTE_PGM_RSRC2:SCRATCH_EN: 0
; COMPUTE_PGM_RSRC2:USER_SGPR: 2
; COMPUTE_PGM_RSRC2:TRAP_HANDLER: 0
; COMPUTE_PGM_RSRC2:TGID_X_EN: 1
; COMPUTE_PGM_RSRC2:TGID_Y_EN: 0
; COMPUTE_PGM_RSRC2:TGID_Z_EN: 0
; COMPUTE_PGM_RSRC2:TIDIG_COMP_CNT: 0
	.section	.text._ZN7rocprim17ROCPRIM_400000_NS6detail17trampoline_kernelINS0_14default_configENS1_36segmented_radix_sort_config_selectorIblEEZNS1_25segmented_radix_sort_implIS3_Lb1EPKbPbPKlPlN2at6native12_GLOBAL__N_18offset_tEEE10hipError_tPvRmT1_PNSt15iterator_traitsISK_E10value_typeET2_T3_PNSL_ISQ_E10value_typeET4_jRbjT5_SW_jjP12ihipStream_tbEUlT_E_NS1_11comp_targetILNS1_3genE0ELNS1_11target_archE4294967295ELNS1_3gpuE0ELNS1_3repE0EEENS1_30default_config_static_selectorELNS0_4arch9wavefront6targetE0EEEvSK_,"axG",@progbits,_ZN7rocprim17ROCPRIM_400000_NS6detail17trampoline_kernelINS0_14default_configENS1_36segmented_radix_sort_config_selectorIblEEZNS1_25segmented_radix_sort_implIS3_Lb1EPKbPbPKlPlN2at6native12_GLOBAL__N_18offset_tEEE10hipError_tPvRmT1_PNSt15iterator_traitsISK_E10value_typeET2_T3_PNSL_ISQ_E10value_typeET4_jRbjT5_SW_jjP12ihipStream_tbEUlT_E_NS1_11comp_targetILNS1_3genE0ELNS1_11target_archE4294967295ELNS1_3gpuE0ELNS1_3repE0EEENS1_30default_config_static_selectorELNS0_4arch9wavefront6targetE0EEEvSK_,comdat
	.globl	_ZN7rocprim17ROCPRIM_400000_NS6detail17trampoline_kernelINS0_14default_configENS1_36segmented_radix_sort_config_selectorIblEEZNS1_25segmented_radix_sort_implIS3_Lb1EPKbPbPKlPlN2at6native12_GLOBAL__N_18offset_tEEE10hipError_tPvRmT1_PNSt15iterator_traitsISK_E10value_typeET2_T3_PNSL_ISQ_E10value_typeET4_jRbjT5_SW_jjP12ihipStream_tbEUlT_E_NS1_11comp_targetILNS1_3genE0ELNS1_11target_archE4294967295ELNS1_3gpuE0ELNS1_3repE0EEENS1_30default_config_static_selectorELNS0_4arch9wavefront6targetE0EEEvSK_ ; -- Begin function _ZN7rocprim17ROCPRIM_400000_NS6detail17trampoline_kernelINS0_14default_configENS1_36segmented_radix_sort_config_selectorIblEEZNS1_25segmented_radix_sort_implIS3_Lb1EPKbPbPKlPlN2at6native12_GLOBAL__N_18offset_tEEE10hipError_tPvRmT1_PNSt15iterator_traitsISK_E10value_typeET2_T3_PNSL_ISQ_E10value_typeET4_jRbjT5_SW_jjP12ihipStream_tbEUlT_E_NS1_11comp_targetILNS1_3genE0ELNS1_11target_archE4294967295ELNS1_3gpuE0ELNS1_3repE0EEENS1_30default_config_static_selectorELNS0_4arch9wavefront6targetE0EEEvSK_
	.p2align	8
	.type	_ZN7rocprim17ROCPRIM_400000_NS6detail17trampoline_kernelINS0_14default_configENS1_36segmented_radix_sort_config_selectorIblEEZNS1_25segmented_radix_sort_implIS3_Lb1EPKbPbPKlPlN2at6native12_GLOBAL__N_18offset_tEEE10hipError_tPvRmT1_PNSt15iterator_traitsISK_E10value_typeET2_T3_PNSL_ISQ_E10value_typeET4_jRbjT5_SW_jjP12ihipStream_tbEUlT_E_NS1_11comp_targetILNS1_3genE0ELNS1_11target_archE4294967295ELNS1_3gpuE0ELNS1_3repE0EEENS1_30default_config_static_selectorELNS0_4arch9wavefront6targetE0EEEvSK_,@function
_ZN7rocprim17ROCPRIM_400000_NS6detail17trampoline_kernelINS0_14default_configENS1_36segmented_radix_sort_config_selectorIblEEZNS1_25segmented_radix_sort_implIS3_Lb1EPKbPbPKlPlN2at6native12_GLOBAL__N_18offset_tEEE10hipError_tPvRmT1_PNSt15iterator_traitsISK_E10value_typeET2_T3_PNSL_ISQ_E10value_typeET4_jRbjT5_SW_jjP12ihipStream_tbEUlT_E_NS1_11comp_targetILNS1_3genE0ELNS1_11target_archE4294967295ELNS1_3gpuE0ELNS1_3repE0EEENS1_30default_config_static_selectorELNS0_4arch9wavefront6targetE0EEEvSK_: ; @_ZN7rocprim17ROCPRIM_400000_NS6detail17trampoline_kernelINS0_14default_configENS1_36segmented_radix_sort_config_selectorIblEEZNS1_25segmented_radix_sort_implIS3_Lb1EPKbPbPKlPlN2at6native12_GLOBAL__N_18offset_tEEE10hipError_tPvRmT1_PNSt15iterator_traitsISK_E10value_typeET2_T3_PNSL_ISQ_E10value_typeET4_jRbjT5_SW_jjP12ihipStream_tbEUlT_E_NS1_11comp_targetILNS1_3genE0ELNS1_11target_archE4294967295ELNS1_3gpuE0ELNS1_3repE0EEENS1_30default_config_static_selectorELNS0_4arch9wavefront6targetE0EEEvSK_
; %bb.0:
	.section	.rodata,"a",@progbits
	.p2align	6, 0x0
	.amdhsa_kernel _ZN7rocprim17ROCPRIM_400000_NS6detail17trampoline_kernelINS0_14default_configENS1_36segmented_radix_sort_config_selectorIblEEZNS1_25segmented_radix_sort_implIS3_Lb1EPKbPbPKlPlN2at6native12_GLOBAL__N_18offset_tEEE10hipError_tPvRmT1_PNSt15iterator_traitsISK_E10value_typeET2_T3_PNSL_ISQ_E10value_typeET4_jRbjT5_SW_jjP12ihipStream_tbEUlT_E_NS1_11comp_targetILNS1_3genE0ELNS1_11target_archE4294967295ELNS1_3gpuE0ELNS1_3repE0EEENS1_30default_config_static_selectorELNS0_4arch9wavefront6targetE0EEEvSK_
		.amdhsa_group_segment_fixed_size 0
		.amdhsa_private_segment_fixed_size 0
		.amdhsa_kernarg_size 96
		.amdhsa_user_sgpr_count 2
		.amdhsa_user_sgpr_dispatch_ptr 0
		.amdhsa_user_sgpr_queue_ptr 0
		.amdhsa_user_sgpr_kernarg_segment_ptr 1
		.amdhsa_user_sgpr_dispatch_id 0
		.amdhsa_user_sgpr_private_segment_size 0
		.amdhsa_wavefront_size32 1
		.amdhsa_uses_dynamic_stack 0
		.amdhsa_enable_private_segment 0
		.amdhsa_system_sgpr_workgroup_id_x 1
		.amdhsa_system_sgpr_workgroup_id_y 0
		.amdhsa_system_sgpr_workgroup_id_z 0
		.amdhsa_system_sgpr_workgroup_info 0
		.amdhsa_system_vgpr_workitem_id 0
		.amdhsa_next_free_vgpr 1
		.amdhsa_next_free_sgpr 1
		.amdhsa_reserve_vcc 0
		.amdhsa_float_round_mode_32 0
		.amdhsa_float_round_mode_16_64 0
		.amdhsa_float_denorm_mode_32 3
		.amdhsa_float_denorm_mode_16_64 3
		.amdhsa_fp16_overflow 0
		.amdhsa_workgroup_processor_mode 1
		.amdhsa_memory_ordered 1
		.amdhsa_forward_progress 1
		.amdhsa_inst_pref_size 0
		.amdhsa_round_robin_scheduling 0
		.amdhsa_exception_fp_ieee_invalid_op 0
		.amdhsa_exception_fp_denorm_src 0
		.amdhsa_exception_fp_ieee_div_zero 0
		.amdhsa_exception_fp_ieee_overflow 0
		.amdhsa_exception_fp_ieee_underflow 0
		.amdhsa_exception_fp_ieee_inexact 0
		.amdhsa_exception_int_div_zero 0
	.end_amdhsa_kernel
	.section	.text._ZN7rocprim17ROCPRIM_400000_NS6detail17trampoline_kernelINS0_14default_configENS1_36segmented_radix_sort_config_selectorIblEEZNS1_25segmented_radix_sort_implIS3_Lb1EPKbPbPKlPlN2at6native12_GLOBAL__N_18offset_tEEE10hipError_tPvRmT1_PNSt15iterator_traitsISK_E10value_typeET2_T3_PNSL_ISQ_E10value_typeET4_jRbjT5_SW_jjP12ihipStream_tbEUlT_E_NS1_11comp_targetILNS1_3genE0ELNS1_11target_archE4294967295ELNS1_3gpuE0ELNS1_3repE0EEENS1_30default_config_static_selectorELNS0_4arch9wavefront6targetE0EEEvSK_,"axG",@progbits,_ZN7rocprim17ROCPRIM_400000_NS6detail17trampoline_kernelINS0_14default_configENS1_36segmented_radix_sort_config_selectorIblEEZNS1_25segmented_radix_sort_implIS3_Lb1EPKbPbPKlPlN2at6native12_GLOBAL__N_18offset_tEEE10hipError_tPvRmT1_PNSt15iterator_traitsISK_E10value_typeET2_T3_PNSL_ISQ_E10value_typeET4_jRbjT5_SW_jjP12ihipStream_tbEUlT_E_NS1_11comp_targetILNS1_3genE0ELNS1_11target_archE4294967295ELNS1_3gpuE0ELNS1_3repE0EEENS1_30default_config_static_selectorELNS0_4arch9wavefront6targetE0EEEvSK_,comdat
.Lfunc_end1532:
	.size	_ZN7rocprim17ROCPRIM_400000_NS6detail17trampoline_kernelINS0_14default_configENS1_36segmented_radix_sort_config_selectorIblEEZNS1_25segmented_radix_sort_implIS3_Lb1EPKbPbPKlPlN2at6native12_GLOBAL__N_18offset_tEEE10hipError_tPvRmT1_PNSt15iterator_traitsISK_E10value_typeET2_T3_PNSL_ISQ_E10value_typeET4_jRbjT5_SW_jjP12ihipStream_tbEUlT_E_NS1_11comp_targetILNS1_3genE0ELNS1_11target_archE4294967295ELNS1_3gpuE0ELNS1_3repE0EEENS1_30default_config_static_selectorELNS0_4arch9wavefront6targetE0EEEvSK_, .Lfunc_end1532-_ZN7rocprim17ROCPRIM_400000_NS6detail17trampoline_kernelINS0_14default_configENS1_36segmented_radix_sort_config_selectorIblEEZNS1_25segmented_radix_sort_implIS3_Lb1EPKbPbPKlPlN2at6native12_GLOBAL__N_18offset_tEEE10hipError_tPvRmT1_PNSt15iterator_traitsISK_E10value_typeET2_T3_PNSL_ISQ_E10value_typeET4_jRbjT5_SW_jjP12ihipStream_tbEUlT_E_NS1_11comp_targetILNS1_3genE0ELNS1_11target_archE4294967295ELNS1_3gpuE0ELNS1_3repE0EEENS1_30default_config_static_selectorELNS0_4arch9wavefront6targetE0EEEvSK_
                                        ; -- End function
	.set _ZN7rocprim17ROCPRIM_400000_NS6detail17trampoline_kernelINS0_14default_configENS1_36segmented_radix_sort_config_selectorIblEEZNS1_25segmented_radix_sort_implIS3_Lb1EPKbPbPKlPlN2at6native12_GLOBAL__N_18offset_tEEE10hipError_tPvRmT1_PNSt15iterator_traitsISK_E10value_typeET2_T3_PNSL_ISQ_E10value_typeET4_jRbjT5_SW_jjP12ihipStream_tbEUlT_E_NS1_11comp_targetILNS1_3genE0ELNS1_11target_archE4294967295ELNS1_3gpuE0ELNS1_3repE0EEENS1_30default_config_static_selectorELNS0_4arch9wavefront6targetE0EEEvSK_.num_vgpr, 0
	.set _ZN7rocprim17ROCPRIM_400000_NS6detail17trampoline_kernelINS0_14default_configENS1_36segmented_radix_sort_config_selectorIblEEZNS1_25segmented_radix_sort_implIS3_Lb1EPKbPbPKlPlN2at6native12_GLOBAL__N_18offset_tEEE10hipError_tPvRmT1_PNSt15iterator_traitsISK_E10value_typeET2_T3_PNSL_ISQ_E10value_typeET4_jRbjT5_SW_jjP12ihipStream_tbEUlT_E_NS1_11comp_targetILNS1_3genE0ELNS1_11target_archE4294967295ELNS1_3gpuE0ELNS1_3repE0EEENS1_30default_config_static_selectorELNS0_4arch9wavefront6targetE0EEEvSK_.num_agpr, 0
	.set _ZN7rocprim17ROCPRIM_400000_NS6detail17trampoline_kernelINS0_14default_configENS1_36segmented_radix_sort_config_selectorIblEEZNS1_25segmented_radix_sort_implIS3_Lb1EPKbPbPKlPlN2at6native12_GLOBAL__N_18offset_tEEE10hipError_tPvRmT1_PNSt15iterator_traitsISK_E10value_typeET2_T3_PNSL_ISQ_E10value_typeET4_jRbjT5_SW_jjP12ihipStream_tbEUlT_E_NS1_11comp_targetILNS1_3genE0ELNS1_11target_archE4294967295ELNS1_3gpuE0ELNS1_3repE0EEENS1_30default_config_static_selectorELNS0_4arch9wavefront6targetE0EEEvSK_.numbered_sgpr, 0
	.set _ZN7rocprim17ROCPRIM_400000_NS6detail17trampoline_kernelINS0_14default_configENS1_36segmented_radix_sort_config_selectorIblEEZNS1_25segmented_radix_sort_implIS3_Lb1EPKbPbPKlPlN2at6native12_GLOBAL__N_18offset_tEEE10hipError_tPvRmT1_PNSt15iterator_traitsISK_E10value_typeET2_T3_PNSL_ISQ_E10value_typeET4_jRbjT5_SW_jjP12ihipStream_tbEUlT_E_NS1_11comp_targetILNS1_3genE0ELNS1_11target_archE4294967295ELNS1_3gpuE0ELNS1_3repE0EEENS1_30default_config_static_selectorELNS0_4arch9wavefront6targetE0EEEvSK_.num_named_barrier, 0
	.set _ZN7rocprim17ROCPRIM_400000_NS6detail17trampoline_kernelINS0_14default_configENS1_36segmented_radix_sort_config_selectorIblEEZNS1_25segmented_radix_sort_implIS3_Lb1EPKbPbPKlPlN2at6native12_GLOBAL__N_18offset_tEEE10hipError_tPvRmT1_PNSt15iterator_traitsISK_E10value_typeET2_T3_PNSL_ISQ_E10value_typeET4_jRbjT5_SW_jjP12ihipStream_tbEUlT_E_NS1_11comp_targetILNS1_3genE0ELNS1_11target_archE4294967295ELNS1_3gpuE0ELNS1_3repE0EEENS1_30default_config_static_selectorELNS0_4arch9wavefront6targetE0EEEvSK_.private_seg_size, 0
	.set _ZN7rocprim17ROCPRIM_400000_NS6detail17trampoline_kernelINS0_14default_configENS1_36segmented_radix_sort_config_selectorIblEEZNS1_25segmented_radix_sort_implIS3_Lb1EPKbPbPKlPlN2at6native12_GLOBAL__N_18offset_tEEE10hipError_tPvRmT1_PNSt15iterator_traitsISK_E10value_typeET2_T3_PNSL_ISQ_E10value_typeET4_jRbjT5_SW_jjP12ihipStream_tbEUlT_E_NS1_11comp_targetILNS1_3genE0ELNS1_11target_archE4294967295ELNS1_3gpuE0ELNS1_3repE0EEENS1_30default_config_static_selectorELNS0_4arch9wavefront6targetE0EEEvSK_.uses_vcc, 0
	.set _ZN7rocprim17ROCPRIM_400000_NS6detail17trampoline_kernelINS0_14default_configENS1_36segmented_radix_sort_config_selectorIblEEZNS1_25segmented_radix_sort_implIS3_Lb1EPKbPbPKlPlN2at6native12_GLOBAL__N_18offset_tEEE10hipError_tPvRmT1_PNSt15iterator_traitsISK_E10value_typeET2_T3_PNSL_ISQ_E10value_typeET4_jRbjT5_SW_jjP12ihipStream_tbEUlT_E_NS1_11comp_targetILNS1_3genE0ELNS1_11target_archE4294967295ELNS1_3gpuE0ELNS1_3repE0EEENS1_30default_config_static_selectorELNS0_4arch9wavefront6targetE0EEEvSK_.uses_flat_scratch, 0
	.set _ZN7rocprim17ROCPRIM_400000_NS6detail17trampoline_kernelINS0_14default_configENS1_36segmented_radix_sort_config_selectorIblEEZNS1_25segmented_radix_sort_implIS3_Lb1EPKbPbPKlPlN2at6native12_GLOBAL__N_18offset_tEEE10hipError_tPvRmT1_PNSt15iterator_traitsISK_E10value_typeET2_T3_PNSL_ISQ_E10value_typeET4_jRbjT5_SW_jjP12ihipStream_tbEUlT_E_NS1_11comp_targetILNS1_3genE0ELNS1_11target_archE4294967295ELNS1_3gpuE0ELNS1_3repE0EEENS1_30default_config_static_selectorELNS0_4arch9wavefront6targetE0EEEvSK_.has_dyn_sized_stack, 0
	.set _ZN7rocprim17ROCPRIM_400000_NS6detail17trampoline_kernelINS0_14default_configENS1_36segmented_radix_sort_config_selectorIblEEZNS1_25segmented_radix_sort_implIS3_Lb1EPKbPbPKlPlN2at6native12_GLOBAL__N_18offset_tEEE10hipError_tPvRmT1_PNSt15iterator_traitsISK_E10value_typeET2_T3_PNSL_ISQ_E10value_typeET4_jRbjT5_SW_jjP12ihipStream_tbEUlT_E_NS1_11comp_targetILNS1_3genE0ELNS1_11target_archE4294967295ELNS1_3gpuE0ELNS1_3repE0EEENS1_30default_config_static_selectorELNS0_4arch9wavefront6targetE0EEEvSK_.has_recursion, 0
	.set _ZN7rocprim17ROCPRIM_400000_NS6detail17trampoline_kernelINS0_14default_configENS1_36segmented_radix_sort_config_selectorIblEEZNS1_25segmented_radix_sort_implIS3_Lb1EPKbPbPKlPlN2at6native12_GLOBAL__N_18offset_tEEE10hipError_tPvRmT1_PNSt15iterator_traitsISK_E10value_typeET2_T3_PNSL_ISQ_E10value_typeET4_jRbjT5_SW_jjP12ihipStream_tbEUlT_E_NS1_11comp_targetILNS1_3genE0ELNS1_11target_archE4294967295ELNS1_3gpuE0ELNS1_3repE0EEENS1_30default_config_static_selectorELNS0_4arch9wavefront6targetE0EEEvSK_.has_indirect_call, 0
	.section	.AMDGPU.csdata,"",@progbits
; Kernel info:
; codeLenInByte = 0
; TotalNumSgprs: 0
; NumVgprs: 0
; ScratchSize: 0
; MemoryBound: 0
; FloatMode: 240
; IeeeMode: 1
; LDSByteSize: 0 bytes/workgroup (compile time only)
; SGPRBlocks: 0
; VGPRBlocks: 0
; NumSGPRsForWavesPerEU: 1
; NumVGPRsForWavesPerEU: 1
; Occupancy: 16
; WaveLimiterHint : 0
; COMPUTE_PGM_RSRC2:SCRATCH_EN: 0
; COMPUTE_PGM_RSRC2:USER_SGPR: 2
; COMPUTE_PGM_RSRC2:TRAP_HANDLER: 0
; COMPUTE_PGM_RSRC2:TGID_X_EN: 1
; COMPUTE_PGM_RSRC2:TGID_Y_EN: 0
; COMPUTE_PGM_RSRC2:TGID_Z_EN: 0
; COMPUTE_PGM_RSRC2:TIDIG_COMP_CNT: 0
	.section	.text._ZN7rocprim17ROCPRIM_400000_NS6detail17trampoline_kernelINS0_14default_configENS1_36segmented_radix_sort_config_selectorIblEEZNS1_25segmented_radix_sort_implIS3_Lb1EPKbPbPKlPlN2at6native12_GLOBAL__N_18offset_tEEE10hipError_tPvRmT1_PNSt15iterator_traitsISK_E10value_typeET2_T3_PNSL_ISQ_E10value_typeET4_jRbjT5_SW_jjP12ihipStream_tbEUlT_E_NS1_11comp_targetILNS1_3genE5ELNS1_11target_archE942ELNS1_3gpuE9ELNS1_3repE0EEENS1_30default_config_static_selectorELNS0_4arch9wavefront6targetE0EEEvSK_,"axG",@progbits,_ZN7rocprim17ROCPRIM_400000_NS6detail17trampoline_kernelINS0_14default_configENS1_36segmented_radix_sort_config_selectorIblEEZNS1_25segmented_radix_sort_implIS3_Lb1EPKbPbPKlPlN2at6native12_GLOBAL__N_18offset_tEEE10hipError_tPvRmT1_PNSt15iterator_traitsISK_E10value_typeET2_T3_PNSL_ISQ_E10value_typeET4_jRbjT5_SW_jjP12ihipStream_tbEUlT_E_NS1_11comp_targetILNS1_3genE5ELNS1_11target_archE942ELNS1_3gpuE9ELNS1_3repE0EEENS1_30default_config_static_selectorELNS0_4arch9wavefront6targetE0EEEvSK_,comdat
	.globl	_ZN7rocprim17ROCPRIM_400000_NS6detail17trampoline_kernelINS0_14default_configENS1_36segmented_radix_sort_config_selectorIblEEZNS1_25segmented_radix_sort_implIS3_Lb1EPKbPbPKlPlN2at6native12_GLOBAL__N_18offset_tEEE10hipError_tPvRmT1_PNSt15iterator_traitsISK_E10value_typeET2_T3_PNSL_ISQ_E10value_typeET4_jRbjT5_SW_jjP12ihipStream_tbEUlT_E_NS1_11comp_targetILNS1_3genE5ELNS1_11target_archE942ELNS1_3gpuE9ELNS1_3repE0EEENS1_30default_config_static_selectorELNS0_4arch9wavefront6targetE0EEEvSK_ ; -- Begin function _ZN7rocprim17ROCPRIM_400000_NS6detail17trampoline_kernelINS0_14default_configENS1_36segmented_radix_sort_config_selectorIblEEZNS1_25segmented_radix_sort_implIS3_Lb1EPKbPbPKlPlN2at6native12_GLOBAL__N_18offset_tEEE10hipError_tPvRmT1_PNSt15iterator_traitsISK_E10value_typeET2_T3_PNSL_ISQ_E10value_typeET4_jRbjT5_SW_jjP12ihipStream_tbEUlT_E_NS1_11comp_targetILNS1_3genE5ELNS1_11target_archE942ELNS1_3gpuE9ELNS1_3repE0EEENS1_30default_config_static_selectorELNS0_4arch9wavefront6targetE0EEEvSK_
	.p2align	8
	.type	_ZN7rocprim17ROCPRIM_400000_NS6detail17trampoline_kernelINS0_14default_configENS1_36segmented_radix_sort_config_selectorIblEEZNS1_25segmented_radix_sort_implIS3_Lb1EPKbPbPKlPlN2at6native12_GLOBAL__N_18offset_tEEE10hipError_tPvRmT1_PNSt15iterator_traitsISK_E10value_typeET2_T3_PNSL_ISQ_E10value_typeET4_jRbjT5_SW_jjP12ihipStream_tbEUlT_E_NS1_11comp_targetILNS1_3genE5ELNS1_11target_archE942ELNS1_3gpuE9ELNS1_3repE0EEENS1_30default_config_static_selectorELNS0_4arch9wavefront6targetE0EEEvSK_,@function
_ZN7rocprim17ROCPRIM_400000_NS6detail17trampoline_kernelINS0_14default_configENS1_36segmented_radix_sort_config_selectorIblEEZNS1_25segmented_radix_sort_implIS3_Lb1EPKbPbPKlPlN2at6native12_GLOBAL__N_18offset_tEEE10hipError_tPvRmT1_PNSt15iterator_traitsISK_E10value_typeET2_T3_PNSL_ISQ_E10value_typeET4_jRbjT5_SW_jjP12ihipStream_tbEUlT_E_NS1_11comp_targetILNS1_3genE5ELNS1_11target_archE942ELNS1_3gpuE9ELNS1_3repE0EEENS1_30default_config_static_selectorELNS0_4arch9wavefront6targetE0EEEvSK_: ; @_ZN7rocprim17ROCPRIM_400000_NS6detail17trampoline_kernelINS0_14default_configENS1_36segmented_radix_sort_config_selectorIblEEZNS1_25segmented_radix_sort_implIS3_Lb1EPKbPbPKlPlN2at6native12_GLOBAL__N_18offset_tEEE10hipError_tPvRmT1_PNSt15iterator_traitsISK_E10value_typeET2_T3_PNSL_ISQ_E10value_typeET4_jRbjT5_SW_jjP12ihipStream_tbEUlT_E_NS1_11comp_targetILNS1_3genE5ELNS1_11target_archE942ELNS1_3gpuE9ELNS1_3repE0EEENS1_30default_config_static_selectorELNS0_4arch9wavefront6targetE0EEEvSK_
; %bb.0:
	.section	.rodata,"a",@progbits
	.p2align	6, 0x0
	.amdhsa_kernel _ZN7rocprim17ROCPRIM_400000_NS6detail17trampoline_kernelINS0_14default_configENS1_36segmented_radix_sort_config_selectorIblEEZNS1_25segmented_radix_sort_implIS3_Lb1EPKbPbPKlPlN2at6native12_GLOBAL__N_18offset_tEEE10hipError_tPvRmT1_PNSt15iterator_traitsISK_E10value_typeET2_T3_PNSL_ISQ_E10value_typeET4_jRbjT5_SW_jjP12ihipStream_tbEUlT_E_NS1_11comp_targetILNS1_3genE5ELNS1_11target_archE942ELNS1_3gpuE9ELNS1_3repE0EEENS1_30default_config_static_selectorELNS0_4arch9wavefront6targetE0EEEvSK_
		.amdhsa_group_segment_fixed_size 0
		.amdhsa_private_segment_fixed_size 0
		.amdhsa_kernarg_size 96
		.amdhsa_user_sgpr_count 2
		.amdhsa_user_sgpr_dispatch_ptr 0
		.amdhsa_user_sgpr_queue_ptr 0
		.amdhsa_user_sgpr_kernarg_segment_ptr 1
		.amdhsa_user_sgpr_dispatch_id 0
		.amdhsa_user_sgpr_private_segment_size 0
		.amdhsa_wavefront_size32 1
		.amdhsa_uses_dynamic_stack 0
		.amdhsa_enable_private_segment 0
		.amdhsa_system_sgpr_workgroup_id_x 1
		.amdhsa_system_sgpr_workgroup_id_y 0
		.amdhsa_system_sgpr_workgroup_id_z 0
		.amdhsa_system_sgpr_workgroup_info 0
		.amdhsa_system_vgpr_workitem_id 0
		.amdhsa_next_free_vgpr 1
		.amdhsa_next_free_sgpr 1
		.amdhsa_reserve_vcc 0
		.amdhsa_float_round_mode_32 0
		.amdhsa_float_round_mode_16_64 0
		.amdhsa_float_denorm_mode_32 3
		.amdhsa_float_denorm_mode_16_64 3
		.amdhsa_fp16_overflow 0
		.amdhsa_workgroup_processor_mode 1
		.amdhsa_memory_ordered 1
		.amdhsa_forward_progress 1
		.amdhsa_inst_pref_size 0
		.amdhsa_round_robin_scheduling 0
		.amdhsa_exception_fp_ieee_invalid_op 0
		.amdhsa_exception_fp_denorm_src 0
		.amdhsa_exception_fp_ieee_div_zero 0
		.amdhsa_exception_fp_ieee_overflow 0
		.amdhsa_exception_fp_ieee_underflow 0
		.amdhsa_exception_fp_ieee_inexact 0
		.amdhsa_exception_int_div_zero 0
	.end_amdhsa_kernel
	.section	.text._ZN7rocprim17ROCPRIM_400000_NS6detail17trampoline_kernelINS0_14default_configENS1_36segmented_radix_sort_config_selectorIblEEZNS1_25segmented_radix_sort_implIS3_Lb1EPKbPbPKlPlN2at6native12_GLOBAL__N_18offset_tEEE10hipError_tPvRmT1_PNSt15iterator_traitsISK_E10value_typeET2_T3_PNSL_ISQ_E10value_typeET4_jRbjT5_SW_jjP12ihipStream_tbEUlT_E_NS1_11comp_targetILNS1_3genE5ELNS1_11target_archE942ELNS1_3gpuE9ELNS1_3repE0EEENS1_30default_config_static_selectorELNS0_4arch9wavefront6targetE0EEEvSK_,"axG",@progbits,_ZN7rocprim17ROCPRIM_400000_NS6detail17trampoline_kernelINS0_14default_configENS1_36segmented_radix_sort_config_selectorIblEEZNS1_25segmented_radix_sort_implIS3_Lb1EPKbPbPKlPlN2at6native12_GLOBAL__N_18offset_tEEE10hipError_tPvRmT1_PNSt15iterator_traitsISK_E10value_typeET2_T3_PNSL_ISQ_E10value_typeET4_jRbjT5_SW_jjP12ihipStream_tbEUlT_E_NS1_11comp_targetILNS1_3genE5ELNS1_11target_archE942ELNS1_3gpuE9ELNS1_3repE0EEENS1_30default_config_static_selectorELNS0_4arch9wavefront6targetE0EEEvSK_,comdat
.Lfunc_end1533:
	.size	_ZN7rocprim17ROCPRIM_400000_NS6detail17trampoline_kernelINS0_14default_configENS1_36segmented_radix_sort_config_selectorIblEEZNS1_25segmented_radix_sort_implIS3_Lb1EPKbPbPKlPlN2at6native12_GLOBAL__N_18offset_tEEE10hipError_tPvRmT1_PNSt15iterator_traitsISK_E10value_typeET2_T3_PNSL_ISQ_E10value_typeET4_jRbjT5_SW_jjP12ihipStream_tbEUlT_E_NS1_11comp_targetILNS1_3genE5ELNS1_11target_archE942ELNS1_3gpuE9ELNS1_3repE0EEENS1_30default_config_static_selectorELNS0_4arch9wavefront6targetE0EEEvSK_, .Lfunc_end1533-_ZN7rocprim17ROCPRIM_400000_NS6detail17trampoline_kernelINS0_14default_configENS1_36segmented_radix_sort_config_selectorIblEEZNS1_25segmented_radix_sort_implIS3_Lb1EPKbPbPKlPlN2at6native12_GLOBAL__N_18offset_tEEE10hipError_tPvRmT1_PNSt15iterator_traitsISK_E10value_typeET2_T3_PNSL_ISQ_E10value_typeET4_jRbjT5_SW_jjP12ihipStream_tbEUlT_E_NS1_11comp_targetILNS1_3genE5ELNS1_11target_archE942ELNS1_3gpuE9ELNS1_3repE0EEENS1_30default_config_static_selectorELNS0_4arch9wavefront6targetE0EEEvSK_
                                        ; -- End function
	.set _ZN7rocprim17ROCPRIM_400000_NS6detail17trampoline_kernelINS0_14default_configENS1_36segmented_radix_sort_config_selectorIblEEZNS1_25segmented_radix_sort_implIS3_Lb1EPKbPbPKlPlN2at6native12_GLOBAL__N_18offset_tEEE10hipError_tPvRmT1_PNSt15iterator_traitsISK_E10value_typeET2_T3_PNSL_ISQ_E10value_typeET4_jRbjT5_SW_jjP12ihipStream_tbEUlT_E_NS1_11comp_targetILNS1_3genE5ELNS1_11target_archE942ELNS1_3gpuE9ELNS1_3repE0EEENS1_30default_config_static_selectorELNS0_4arch9wavefront6targetE0EEEvSK_.num_vgpr, 0
	.set _ZN7rocprim17ROCPRIM_400000_NS6detail17trampoline_kernelINS0_14default_configENS1_36segmented_radix_sort_config_selectorIblEEZNS1_25segmented_radix_sort_implIS3_Lb1EPKbPbPKlPlN2at6native12_GLOBAL__N_18offset_tEEE10hipError_tPvRmT1_PNSt15iterator_traitsISK_E10value_typeET2_T3_PNSL_ISQ_E10value_typeET4_jRbjT5_SW_jjP12ihipStream_tbEUlT_E_NS1_11comp_targetILNS1_3genE5ELNS1_11target_archE942ELNS1_3gpuE9ELNS1_3repE0EEENS1_30default_config_static_selectorELNS0_4arch9wavefront6targetE0EEEvSK_.num_agpr, 0
	.set _ZN7rocprim17ROCPRIM_400000_NS6detail17trampoline_kernelINS0_14default_configENS1_36segmented_radix_sort_config_selectorIblEEZNS1_25segmented_radix_sort_implIS3_Lb1EPKbPbPKlPlN2at6native12_GLOBAL__N_18offset_tEEE10hipError_tPvRmT1_PNSt15iterator_traitsISK_E10value_typeET2_T3_PNSL_ISQ_E10value_typeET4_jRbjT5_SW_jjP12ihipStream_tbEUlT_E_NS1_11comp_targetILNS1_3genE5ELNS1_11target_archE942ELNS1_3gpuE9ELNS1_3repE0EEENS1_30default_config_static_selectorELNS0_4arch9wavefront6targetE0EEEvSK_.numbered_sgpr, 0
	.set _ZN7rocprim17ROCPRIM_400000_NS6detail17trampoline_kernelINS0_14default_configENS1_36segmented_radix_sort_config_selectorIblEEZNS1_25segmented_radix_sort_implIS3_Lb1EPKbPbPKlPlN2at6native12_GLOBAL__N_18offset_tEEE10hipError_tPvRmT1_PNSt15iterator_traitsISK_E10value_typeET2_T3_PNSL_ISQ_E10value_typeET4_jRbjT5_SW_jjP12ihipStream_tbEUlT_E_NS1_11comp_targetILNS1_3genE5ELNS1_11target_archE942ELNS1_3gpuE9ELNS1_3repE0EEENS1_30default_config_static_selectorELNS0_4arch9wavefront6targetE0EEEvSK_.num_named_barrier, 0
	.set _ZN7rocprim17ROCPRIM_400000_NS6detail17trampoline_kernelINS0_14default_configENS1_36segmented_radix_sort_config_selectorIblEEZNS1_25segmented_radix_sort_implIS3_Lb1EPKbPbPKlPlN2at6native12_GLOBAL__N_18offset_tEEE10hipError_tPvRmT1_PNSt15iterator_traitsISK_E10value_typeET2_T3_PNSL_ISQ_E10value_typeET4_jRbjT5_SW_jjP12ihipStream_tbEUlT_E_NS1_11comp_targetILNS1_3genE5ELNS1_11target_archE942ELNS1_3gpuE9ELNS1_3repE0EEENS1_30default_config_static_selectorELNS0_4arch9wavefront6targetE0EEEvSK_.private_seg_size, 0
	.set _ZN7rocprim17ROCPRIM_400000_NS6detail17trampoline_kernelINS0_14default_configENS1_36segmented_radix_sort_config_selectorIblEEZNS1_25segmented_radix_sort_implIS3_Lb1EPKbPbPKlPlN2at6native12_GLOBAL__N_18offset_tEEE10hipError_tPvRmT1_PNSt15iterator_traitsISK_E10value_typeET2_T3_PNSL_ISQ_E10value_typeET4_jRbjT5_SW_jjP12ihipStream_tbEUlT_E_NS1_11comp_targetILNS1_3genE5ELNS1_11target_archE942ELNS1_3gpuE9ELNS1_3repE0EEENS1_30default_config_static_selectorELNS0_4arch9wavefront6targetE0EEEvSK_.uses_vcc, 0
	.set _ZN7rocprim17ROCPRIM_400000_NS6detail17trampoline_kernelINS0_14default_configENS1_36segmented_radix_sort_config_selectorIblEEZNS1_25segmented_radix_sort_implIS3_Lb1EPKbPbPKlPlN2at6native12_GLOBAL__N_18offset_tEEE10hipError_tPvRmT1_PNSt15iterator_traitsISK_E10value_typeET2_T3_PNSL_ISQ_E10value_typeET4_jRbjT5_SW_jjP12ihipStream_tbEUlT_E_NS1_11comp_targetILNS1_3genE5ELNS1_11target_archE942ELNS1_3gpuE9ELNS1_3repE0EEENS1_30default_config_static_selectorELNS0_4arch9wavefront6targetE0EEEvSK_.uses_flat_scratch, 0
	.set _ZN7rocprim17ROCPRIM_400000_NS6detail17trampoline_kernelINS0_14default_configENS1_36segmented_radix_sort_config_selectorIblEEZNS1_25segmented_radix_sort_implIS3_Lb1EPKbPbPKlPlN2at6native12_GLOBAL__N_18offset_tEEE10hipError_tPvRmT1_PNSt15iterator_traitsISK_E10value_typeET2_T3_PNSL_ISQ_E10value_typeET4_jRbjT5_SW_jjP12ihipStream_tbEUlT_E_NS1_11comp_targetILNS1_3genE5ELNS1_11target_archE942ELNS1_3gpuE9ELNS1_3repE0EEENS1_30default_config_static_selectorELNS0_4arch9wavefront6targetE0EEEvSK_.has_dyn_sized_stack, 0
	.set _ZN7rocprim17ROCPRIM_400000_NS6detail17trampoline_kernelINS0_14default_configENS1_36segmented_radix_sort_config_selectorIblEEZNS1_25segmented_radix_sort_implIS3_Lb1EPKbPbPKlPlN2at6native12_GLOBAL__N_18offset_tEEE10hipError_tPvRmT1_PNSt15iterator_traitsISK_E10value_typeET2_T3_PNSL_ISQ_E10value_typeET4_jRbjT5_SW_jjP12ihipStream_tbEUlT_E_NS1_11comp_targetILNS1_3genE5ELNS1_11target_archE942ELNS1_3gpuE9ELNS1_3repE0EEENS1_30default_config_static_selectorELNS0_4arch9wavefront6targetE0EEEvSK_.has_recursion, 0
	.set _ZN7rocprim17ROCPRIM_400000_NS6detail17trampoline_kernelINS0_14default_configENS1_36segmented_radix_sort_config_selectorIblEEZNS1_25segmented_radix_sort_implIS3_Lb1EPKbPbPKlPlN2at6native12_GLOBAL__N_18offset_tEEE10hipError_tPvRmT1_PNSt15iterator_traitsISK_E10value_typeET2_T3_PNSL_ISQ_E10value_typeET4_jRbjT5_SW_jjP12ihipStream_tbEUlT_E_NS1_11comp_targetILNS1_3genE5ELNS1_11target_archE942ELNS1_3gpuE9ELNS1_3repE0EEENS1_30default_config_static_selectorELNS0_4arch9wavefront6targetE0EEEvSK_.has_indirect_call, 0
	.section	.AMDGPU.csdata,"",@progbits
; Kernel info:
; codeLenInByte = 0
; TotalNumSgprs: 0
; NumVgprs: 0
; ScratchSize: 0
; MemoryBound: 0
; FloatMode: 240
; IeeeMode: 1
; LDSByteSize: 0 bytes/workgroup (compile time only)
; SGPRBlocks: 0
; VGPRBlocks: 0
; NumSGPRsForWavesPerEU: 1
; NumVGPRsForWavesPerEU: 1
; Occupancy: 16
; WaveLimiterHint : 0
; COMPUTE_PGM_RSRC2:SCRATCH_EN: 0
; COMPUTE_PGM_RSRC2:USER_SGPR: 2
; COMPUTE_PGM_RSRC2:TRAP_HANDLER: 0
; COMPUTE_PGM_RSRC2:TGID_X_EN: 1
; COMPUTE_PGM_RSRC2:TGID_Y_EN: 0
; COMPUTE_PGM_RSRC2:TGID_Z_EN: 0
; COMPUTE_PGM_RSRC2:TIDIG_COMP_CNT: 0
	.section	.text._ZN7rocprim17ROCPRIM_400000_NS6detail17trampoline_kernelINS0_14default_configENS1_36segmented_radix_sort_config_selectorIblEEZNS1_25segmented_radix_sort_implIS3_Lb1EPKbPbPKlPlN2at6native12_GLOBAL__N_18offset_tEEE10hipError_tPvRmT1_PNSt15iterator_traitsISK_E10value_typeET2_T3_PNSL_ISQ_E10value_typeET4_jRbjT5_SW_jjP12ihipStream_tbEUlT_E_NS1_11comp_targetILNS1_3genE4ELNS1_11target_archE910ELNS1_3gpuE8ELNS1_3repE0EEENS1_30default_config_static_selectorELNS0_4arch9wavefront6targetE0EEEvSK_,"axG",@progbits,_ZN7rocprim17ROCPRIM_400000_NS6detail17trampoline_kernelINS0_14default_configENS1_36segmented_radix_sort_config_selectorIblEEZNS1_25segmented_radix_sort_implIS3_Lb1EPKbPbPKlPlN2at6native12_GLOBAL__N_18offset_tEEE10hipError_tPvRmT1_PNSt15iterator_traitsISK_E10value_typeET2_T3_PNSL_ISQ_E10value_typeET4_jRbjT5_SW_jjP12ihipStream_tbEUlT_E_NS1_11comp_targetILNS1_3genE4ELNS1_11target_archE910ELNS1_3gpuE8ELNS1_3repE0EEENS1_30default_config_static_selectorELNS0_4arch9wavefront6targetE0EEEvSK_,comdat
	.globl	_ZN7rocprim17ROCPRIM_400000_NS6detail17trampoline_kernelINS0_14default_configENS1_36segmented_radix_sort_config_selectorIblEEZNS1_25segmented_radix_sort_implIS3_Lb1EPKbPbPKlPlN2at6native12_GLOBAL__N_18offset_tEEE10hipError_tPvRmT1_PNSt15iterator_traitsISK_E10value_typeET2_T3_PNSL_ISQ_E10value_typeET4_jRbjT5_SW_jjP12ihipStream_tbEUlT_E_NS1_11comp_targetILNS1_3genE4ELNS1_11target_archE910ELNS1_3gpuE8ELNS1_3repE0EEENS1_30default_config_static_selectorELNS0_4arch9wavefront6targetE0EEEvSK_ ; -- Begin function _ZN7rocprim17ROCPRIM_400000_NS6detail17trampoline_kernelINS0_14default_configENS1_36segmented_radix_sort_config_selectorIblEEZNS1_25segmented_radix_sort_implIS3_Lb1EPKbPbPKlPlN2at6native12_GLOBAL__N_18offset_tEEE10hipError_tPvRmT1_PNSt15iterator_traitsISK_E10value_typeET2_T3_PNSL_ISQ_E10value_typeET4_jRbjT5_SW_jjP12ihipStream_tbEUlT_E_NS1_11comp_targetILNS1_3genE4ELNS1_11target_archE910ELNS1_3gpuE8ELNS1_3repE0EEENS1_30default_config_static_selectorELNS0_4arch9wavefront6targetE0EEEvSK_
	.p2align	8
	.type	_ZN7rocprim17ROCPRIM_400000_NS6detail17trampoline_kernelINS0_14default_configENS1_36segmented_radix_sort_config_selectorIblEEZNS1_25segmented_radix_sort_implIS3_Lb1EPKbPbPKlPlN2at6native12_GLOBAL__N_18offset_tEEE10hipError_tPvRmT1_PNSt15iterator_traitsISK_E10value_typeET2_T3_PNSL_ISQ_E10value_typeET4_jRbjT5_SW_jjP12ihipStream_tbEUlT_E_NS1_11comp_targetILNS1_3genE4ELNS1_11target_archE910ELNS1_3gpuE8ELNS1_3repE0EEENS1_30default_config_static_selectorELNS0_4arch9wavefront6targetE0EEEvSK_,@function
_ZN7rocprim17ROCPRIM_400000_NS6detail17trampoline_kernelINS0_14default_configENS1_36segmented_radix_sort_config_selectorIblEEZNS1_25segmented_radix_sort_implIS3_Lb1EPKbPbPKlPlN2at6native12_GLOBAL__N_18offset_tEEE10hipError_tPvRmT1_PNSt15iterator_traitsISK_E10value_typeET2_T3_PNSL_ISQ_E10value_typeET4_jRbjT5_SW_jjP12ihipStream_tbEUlT_E_NS1_11comp_targetILNS1_3genE4ELNS1_11target_archE910ELNS1_3gpuE8ELNS1_3repE0EEENS1_30default_config_static_selectorELNS0_4arch9wavefront6targetE0EEEvSK_: ; @_ZN7rocprim17ROCPRIM_400000_NS6detail17trampoline_kernelINS0_14default_configENS1_36segmented_radix_sort_config_selectorIblEEZNS1_25segmented_radix_sort_implIS3_Lb1EPKbPbPKlPlN2at6native12_GLOBAL__N_18offset_tEEE10hipError_tPvRmT1_PNSt15iterator_traitsISK_E10value_typeET2_T3_PNSL_ISQ_E10value_typeET4_jRbjT5_SW_jjP12ihipStream_tbEUlT_E_NS1_11comp_targetILNS1_3genE4ELNS1_11target_archE910ELNS1_3gpuE8ELNS1_3repE0EEENS1_30default_config_static_selectorELNS0_4arch9wavefront6targetE0EEEvSK_
; %bb.0:
	.section	.rodata,"a",@progbits
	.p2align	6, 0x0
	.amdhsa_kernel _ZN7rocprim17ROCPRIM_400000_NS6detail17trampoline_kernelINS0_14default_configENS1_36segmented_radix_sort_config_selectorIblEEZNS1_25segmented_radix_sort_implIS3_Lb1EPKbPbPKlPlN2at6native12_GLOBAL__N_18offset_tEEE10hipError_tPvRmT1_PNSt15iterator_traitsISK_E10value_typeET2_T3_PNSL_ISQ_E10value_typeET4_jRbjT5_SW_jjP12ihipStream_tbEUlT_E_NS1_11comp_targetILNS1_3genE4ELNS1_11target_archE910ELNS1_3gpuE8ELNS1_3repE0EEENS1_30default_config_static_selectorELNS0_4arch9wavefront6targetE0EEEvSK_
		.amdhsa_group_segment_fixed_size 0
		.amdhsa_private_segment_fixed_size 0
		.amdhsa_kernarg_size 96
		.amdhsa_user_sgpr_count 2
		.amdhsa_user_sgpr_dispatch_ptr 0
		.amdhsa_user_sgpr_queue_ptr 0
		.amdhsa_user_sgpr_kernarg_segment_ptr 1
		.amdhsa_user_sgpr_dispatch_id 0
		.amdhsa_user_sgpr_private_segment_size 0
		.amdhsa_wavefront_size32 1
		.amdhsa_uses_dynamic_stack 0
		.amdhsa_enable_private_segment 0
		.amdhsa_system_sgpr_workgroup_id_x 1
		.amdhsa_system_sgpr_workgroup_id_y 0
		.amdhsa_system_sgpr_workgroup_id_z 0
		.amdhsa_system_sgpr_workgroup_info 0
		.amdhsa_system_vgpr_workitem_id 0
		.amdhsa_next_free_vgpr 1
		.amdhsa_next_free_sgpr 1
		.amdhsa_reserve_vcc 0
		.amdhsa_float_round_mode_32 0
		.amdhsa_float_round_mode_16_64 0
		.amdhsa_float_denorm_mode_32 3
		.amdhsa_float_denorm_mode_16_64 3
		.amdhsa_fp16_overflow 0
		.amdhsa_workgroup_processor_mode 1
		.amdhsa_memory_ordered 1
		.amdhsa_forward_progress 1
		.amdhsa_inst_pref_size 0
		.amdhsa_round_robin_scheduling 0
		.amdhsa_exception_fp_ieee_invalid_op 0
		.amdhsa_exception_fp_denorm_src 0
		.amdhsa_exception_fp_ieee_div_zero 0
		.amdhsa_exception_fp_ieee_overflow 0
		.amdhsa_exception_fp_ieee_underflow 0
		.amdhsa_exception_fp_ieee_inexact 0
		.amdhsa_exception_int_div_zero 0
	.end_amdhsa_kernel
	.section	.text._ZN7rocprim17ROCPRIM_400000_NS6detail17trampoline_kernelINS0_14default_configENS1_36segmented_radix_sort_config_selectorIblEEZNS1_25segmented_radix_sort_implIS3_Lb1EPKbPbPKlPlN2at6native12_GLOBAL__N_18offset_tEEE10hipError_tPvRmT1_PNSt15iterator_traitsISK_E10value_typeET2_T3_PNSL_ISQ_E10value_typeET4_jRbjT5_SW_jjP12ihipStream_tbEUlT_E_NS1_11comp_targetILNS1_3genE4ELNS1_11target_archE910ELNS1_3gpuE8ELNS1_3repE0EEENS1_30default_config_static_selectorELNS0_4arch9wavefront6targetE0EEEvSK_,"axG",@progbits,_ZN7rocprim17ROCPRIM_400000_NS6detail17trampoline_kernelINS0_14default_configENS1_36segmented_radix_sort_config_selectorIblEEZNS1_25segmented_radix_sort_implIS3_Lb1EPKbPbPKlPlN2at6native12_GLOBAL__N_18offset_tEEE10hipError_tPvRmT1_PNSt15iterator_traitsISK_E10value_typeET2_T3_PNSL_ISQ_E10value_typeET4_jRbjT5_SW_jjP12ihipStream_tbEUlT_E_NS1_11comp_targetILNS1_3genE4ELNS1_11target_archE910ELNS1_3gpuE8ELNS1_3repE0EEENS1_30default_config_static_selectorELNS0_4arch9wavefront6targetE0EEEvSK_,comdat
.Lfunc_end1534:
	.size	_ZN7rocprim17ROCPRIM_400000_NS6detail17trampoline_kernelINS0_14default_configENS1_36segmented_radix_sort_config_selectorIblEEZNS1_25segmented_radix_sort_implIS3_Lb1EPKbPbPKlPlN2at6native12_GLOBAL__N_18offset_tEEE10hipError_tPvRmT1_PNSt15iterator_traitsISK_E10value_typeET2_T3_PNSL_ISQ_E10value_typeET4_jRbjT5_SW_jjP12ihipStream_tbEUlT_E_NS1_11comp_targetILNS1_3genE4ELNS1_11target_archE910ELNS1_3gpuE8ELNS1_3repE0EEENS1_30default_config_static_selectorELNS0_4arch9wavefront6targetE0EEEvSK_, .Lfunc_end1534-_ZN7rocprim17ROCPRIM_400000_NS6detail17trampoline_kernelINS0_14default_configENS1_36segmented_radix_sort_config_selectorIblEEZNS1_25segmented_radix_sort_implIS3_Lb1EPKbPbPKlPlN2at6native12_GLOBAL__N_18offset_tEEE10hipError_tPvRmT1_PNSt15iterator_traitsISK_E10value_typeET2_T3_PNSL_ISQ_E10value_typeET4_jRbjT5_SW_jjP12ihipStream_tbEUlT_E_NS1_11comp_targetILNS1_3genE4ELNS1_11target_archE910ELNS1_3gpuE8ELNS1_3repE0EEENS1_30default_config_static_selectorELNS0_4arch9wavefront6targetE0EEEvSK_
                                        ; -- End function
	.set _ZN7rocprim17ROCPRIM_400000_NS6detail17trampoline_kernelINS0_14default_configENS1_36segmented_radix_sort_config_selectorIblEEZNS1_25segmented_radix_sort_implIS3_Lb1EPKbPbPKlPlN2at6native12_GLOBAL__N_18offset_tEEE10hipError_tPvRmT1_PNSt15iterator_traitsISK_E10value_typeET2_T3_PNSL_ISQ_E10value_typeET4_jRbjT5_SW_jjP12ihipStream_tbEUlT_E_NS1_11comp_targetILNS1_3genE4ELNS1_11target_archE910ELNS1_3gpuE8ELNS1_3repE0EEENS1_30default_config_static_selectorELNS0_4arch9wavefront6targetE0EEEvSK_.num_vgpr, 0
	.set _ZN7rocprim17ROCPRIM_400000_NS6detail17trampoline_kernelINS0_14default_configENS1_36segmented_radix_sort_config_selectorIblEEZNS1_25segmented_radix_sort_implIS3_Lb1EPKbPbPKlPlN2at6native12_GLOBAL__N_18offset_tEEE10hipError_tPvRmT1_PNSt15iterator_traitsISK_E10value_typeET2_T3_PNSL_ISQ_E10value_typeET4_jRbjT5_SW_jjP12ihipStream_tbEUlT_E_NS1_11comp_targetILNS1_3genE4ELNS1_11target_archE910ELNS1_3gpuE8ELNS1_3repE0EEENS1_30default_config_static_selectorELNS0_4arch9wavefront6targetE0EEEvSK_.num_agpr, 0
	.set _ZN7rocprim17ROCPRIM_400000_NS6detail17trampoline_kernelINS0_14default_configENS1_36segmented_radix_sort_config_selectorIblEEZNS1_25segmented_radix_sort_implIS3_Lb1EPKbPbPKlPlN2at6native12_GLOBAL__N_18offset_tEEE10hipError_tPvRmT1_PNSt15iterator_traitsISK_E10value_typeET2_T3_PNSL_ISQ_E10value_typeET4_jRbjT5_SW_jjP12ihipStream_tbEUlT_E_NS1_11comp_targetILNS1_3genE4ELNS1_11target_archE910ELNS1_3gpuE8ELNS1_3repE0EEENS1_30default_config_static_selectorELNS0_4arch9wavefront6targetE0EEEvSK_.numbered_sgpr, 0
	.set _ZN7rocprim17ROCPRIM_400000_NS6detail17trampoline_kernelINS0_14default_configENS1_36segmented_radix_sort_config_selectorIblEEZNS1_25segmented_radix_sort_implIS3_Lb1EPKbPbPKlPlN2at6native12_GLOBAL__N_18offset_tEEE10hipError_tPvRmT1_PNSt15iterator_traitsISK_E10value_typeET2_T3_PNSL_ISQ_E10value_typeET4_jRbjT5_SW_jjP12ihipStream_tbEUlT_E_NS1_11comp_targetILNS1_3genE4ELNS1_11target_archE910ELNS1_3gpuE8ELNS1_3repE0EEENS1_30default_config_static_selectorELNS0_4arch9wavefront6targetE0EEEvSK_.num_named_barrier, 0
	.set _ZN7rocprim17ROCPRIM_400000_NS6detail17trampoline_kernelINS0_14default_configENS1_36segmented_radix_sort_config_selectorIblEEZNS1_25segmented_radix_sort_implIS3_Lb1EPKbPbPKlPlN2at6native12_GLOBAL__N_18offset_tEEE10hipError_tPvRmT1_PNSt15iterator_traitsISK_E10value_typeET2_T3_PNSL_ISQ_E10value_typeET4_jRbjT5_SW_jjP12ihipStream_tbEUlT_E_NS1_11comp_targetILNS1_3genE4ELNS1_11target_archE910ELNS1_3gpuE8ELNS1_3repE0EEENS1_30default_config_static_selectorELNS0_4arch9wavefront6targetE0EEEvSK_.private_seg_size, 0
	.set _ZN7rocprim17ROCPRIM_400000_NS6detail17trampoline_kernelINS0_14default_configENS1_36segmented_radix_sort_config_selectorIblEEZNS1_25segmented_radix_sort_implIS3_Lb1EPKbPbPKlPlN2at6native12_GLOBAL__N_18offset_tEEE10hipError_tPvRmT1_PNSt15iterator_traitsISK_E10value_typeET2_T3_PNSL_ISQ_E10value_typeET4_jRbjT5_SW_jjP12ihipStream_tbEUlT_E_NS1_11comp_targetILNS1_3genE4ELNS1_11target_archE910ELNS1_3gpuE8ELNS1_3repE0EEENS1_30default_config_static_selectorELNS0_4arch9wavefront6targetE0EEEvSK_.uses_vcc, 0
	.set _ZN7rocprim17ROCPRIM_400000_NS6detail17trampoline_kernelINS0_14default_configENS1_36segmented_radix_sort_config_selectorIblEEZNS1_25segmented_radix_sort_implIS3_Lb1EPKbPbPKlPlN2at6native12_GLOBAL__N_18offset_tEEE10hipError_tPvRmT1_PNSt15iterator_traitsISK_E10value_typeET2_T3_PNSL_ISQ_E10value_typeET4_jRbjT5_SW_jjP12ihipStream_tbEUlT_E_NS1_11comp_targetILNS1_3genE4ELNS1_11target_archE910ELNS1_3gpuE8ELNS1_3repE0EEENS1_30default_config_static_selectorELNS0_4arch9wavefront6targetE0EEEvSK_.uses_flat_scratch, 0
	.set _ZN7rocprim17ROCPRIM_400000_NS6detail17trampoline_kernelINS0_14default_configENS1_36segmented_radix_sort_config_selectorIblEEZNS1_25segmented_radix_sort_implIS3_Lb1EPKbPbPKlPlN2at6native12_GLOBAL__N_18offset_tEEE10hipError_tPvRmT1_PNSt15iterator_traitsISK_E10value_typeET2_T3_PNSL_ISQ_E10value_typeET4_jRbjT5_SW_jjP12ihipStream_tbEUlT_E_NS1_11comp_targetILNS1_3genE4ELNS1_11target_archE910ELNS1_3gpuE8ELNS1_3repE0EEENS1_30default_config_static_selectorELNS0_4arch9wavefront6targetE0EEEvSK_.has_dyn_sized_stack, 0
	.set _ZN7rocprim17ROCPRIM_400000_NS6detail17trampoline_kernelINS0_14default_configENS1_36segmented_radix_sort_config_selectorIblEEZNS1_25segmented_radix_sort_implIS3_Lb1EPKbPbPKlPlN2at6native12_GLOBAL__N_18offset_tEEE10hipError_tPvRmT1_PNSt15iterator_traitsISK_E10value_typeET2_T3_PNSL_ISQ_E10value_typeET4_jRbjT5_SW_jjP12ihipStream_tbEUlT_E_NS1_11comp_targetILNS1_3genE4ELNS1_11target_archE910ELNS1_3gpuE8ELNS1_3repE0EEENS1_30default_config_static_selectorELNS0_4arch9wavefront6targetE0EEEvSK_.has_recursion, 0
	.set _ZN7rocprim17ROCPRIM_400000_NS6detail17trampoline_kernelINS0_14default_configENS1_36segmented_radix_sort_config_selectorIblEEZNS1_25segmented_radix_sort_implIS3_Lb1EPKbPbPKlPlN2at6native12_GLOBAL__N_18offset_tEEE10hipError_tPvRmT1_PNSt15iterator_traitsISK_E10value_typeET2_T3_PNSL_ISQ_E10value_typeET4_jRbjT5_SW_jjP12ihipStream_tbEUlT_E_NS1_11comp_targetILNS1_3genE4ELNS1_11target_archE910ELNS1_3gpuE8ELNS1_3repE0EEENS1_30default_config_static_selectorELNS0_4arch9wavefront6targetE0EEEvSK_.has_indirect_call, 0
	.section	.AMDGPU.csdata,"",@progbits
; Kernel info:
; codeLenInByte = 0
; TotalNumSgprs: 0
; NumVgprs: 0
; ScratchSize: 0
; MemoryBound: 0
; FloatMode: 240
; IeeeMode: 1
; LDSByteSize: 0 bytes/workgroup (compile time only)
; SGPRBlocks: 0
; VGPRBlocks: 0
; NumSGPRsForWavesPerEU: 1
; NumVGPRsForWavesPerEU: 1
; Occupancy: 16
; WaveLimiterHint : 0
; COMPUTE_PGM_RSRC2:SCRATCH_EN: 0
; COMPUTE_PGM_RSRC2:USER_SGPR: 2
; COMPUTE_PGM_RSRC2:TRAP_HANDLER: 0
; COMPUTE_PGM_RSRC2:TGID_X_EN: 1
; COMPUTE_PGM_RSRC2:TGID_Y_EN: 0
; COMPUTE_PGM_RSRC2:TGID_Z_EN: 0
; COMPUTE_PGM_RSRC2:TIDIG_COMP_CNT: 0
	.section	.text._ZN7rocprim17ROCPRIM_400000_NS6detail17trampoline_kernelINS0_14default_configENS1_36segmented_radix_sort_config_selectorIblEEZNS1_25segmented_radix_sort_implIS3_Lb1EPKbPbPKlPlN2at6native12_GLOBAL__N_18offset_tEEE10hipError_tPvRmT1_PNSt15iterator_traitsISK_E10value_typeET2_T3_PNSL_ISQ_E10value_typeET4_jRbjT5_SW_jjP12ihipStream_tbEUlT_E_NS1_11comp_targetILNS1_3genE3ELNS1_11target_archE908ELNS1_3gpuE7ELNS1_3repE0EEENS1_30default_config_static_selectorELNS0_4arch9wavefront6targetE0EEEvSK_,"axG",@progbits,_ZN7rocprim17ROCPRIM_400000_NS6detail17trampoline_kernelINS0_14default_configENS1_36segmented_radix_sort_config_selectorIblEEZNS1_25segmented_radix_sort_implIS3_Lb1EPKbPbPKlPlN2at6native12_GLOBAL__N_18offset_tEEE10hipError_tPvRmT1_PNSt15iterator_traitsISK_E10value_typeET2_T3_PNSL_ISQ_E10value_typeET4_jRbjT5_SW_jjP12ihipStream_tbEUlT_E_NS1_11comp_targetILNS1_3genE3ELNS1_11target_archE908ELNS1_3gpuE7ELNS1_3repE0EEENS1_30default_config_static_selectorELNS0_4arch9wavefront6targetE0EEEvSK_,comdat
	.globl	_ZN7rocprim17ROCPRIM_400000_NS6detail17trampoline_kernelINS0_14default_configENS1_36segmented_radix_sort_config_selectorIblEEZNS1_25segmented_radix_sort_implIS3_Lb1EPKbPbPKlPlN2at6native12_GLOBAL__N_18offset_tEEE10hipError_tPvRmT1_PNSt15iterator_traitsISK_E10value_typeET2_T3_PNSL_ISQ_E10value_typeET4_jRbjT5_SW_jjP12ihipStream_tbEUlT_E_NS1_11comp_targetILNS1_3genE3ELNS1_11target_archE908ELNS1_3gpuE7ELNS1_3repE0EEENS1_30default_config_static_selectorELNS0_4arch9wavefront6targetE0EEEvSK_ ; -- Begin function _ZN7rocprim17ROCPRIM_400000_NS6detail17trampoline_kernelINS0_14default_configENS1_36segmented_radix_sort_config_selectorIblEEZNS1_25segmented_radix_sort_implIS3_Lb1EPKbPbPKlPlN2at6native12_GLOBAL__N_18offset_tEEE10hipError_tPvRmT1_PNSt15iterator_traitsISK_E10value_typeET2_T3_PNSL_ISQ_E10value_typeET4_jRbjT5_SW_jjP12ihipStream_tbEUlT_E_NS1_11comp_targetILNS1_3genE3ELNS1_11target_archE908ELNS1_3gpuE7ELNS1_3repE0EEENS1_30default_config_static_selectorELNS0_4arch9wavefront6targetE0EEEvSK_
	.p2align	8
	.type	_ZN7rocprim17ROCPRIM_400000_NS6detail17trampoline_kernelINS0_14default_configENS1_36segmented_radix_sort_config_selectorIblEEZNS1_25segmented_radix_sort_implIS3_Lb1EPKbPbPKlPlN2at6native12_GLOBAL__N_18offset_tEEE10hipError_tPvRmT1_PNSt15iterator_traitsISK_E10value_typeET2_T3_PNSL_ISQ_E10value_typeET4_jRbjT5_SW_jjP12ihipStream_tbEUlT_E_NS1_11comp_targetILNS1_3genE3ELNS1_11target_archE908ELNS1_3gpuE7ELNS1_3repE0EEENS1_30default_config_static_selectorELNS0_4arch9wavefront6targetE0EEEvSK_,@function
_ZN7rocprim17ROCPRIM_400000_NS6detail17trampoline_kernelINS0_14default_configENS1_36segmented_radix_sort_config_selectorIblEEZNS1_25segmented_radix_sort_implIS3_Lb1EPKbPbPKlPlN2at6native12_GLOBAL__N_18offset_tEEE10hipError_tPvRmT1_PNSt15iterator_traitsISK_E10value_typeET2_T3_PNSL_ISQ_E10value_typeET4_jRbjT5_SW_jjP12ihipStream_tbEUlT_E_NS1_11comp_targetILNS1_3genE3ELNS1_11target_archE908ELNS1_3gpuE7ELNS1_3repE0EEENS1_30default_config_static_selectorELNS0_4arch9wavefront6targetE0EEEvSK_: ; @_ZN7rocprim17ROCPRIM_400000_NS6detail17trampoline_kernelINS0_14default_configENS1_36segmented_radix_sort_config_selectorIblEEZNS1_25segmented_radix_sort_implIS3_Lb1EPKbPbPKlPlN2at6native12_GLOBAL__N_18offset_tEEE10hipError_tPvRmT1_PNSt15iterator_traitsISK_E10value_typeET2_T3_PNSL_ISQ_E10value_typeET4_jRbjT5_SW_jjP12ihipStream_tbEUlT_E_NS1_11comp_targetILNS1_3genE3ELNS1_11target_archE908ELNS1_3gpuE7ELNS1_3repE0EEENS1_30default_config_static_selectorELNS0_4arch9wavefront6targetE0EEEvSK_
; %bb.0:
	.section	.rodata,"a",@progbits
	.p2align	6, 0x0
	.amdhsa_kernel _ZN7rocprim17ROCPRIM_400000_NS6detail17trampoline_kernelINS0_14default_configENS1_36segmented_radix_sort_config_selectorIblEEZNS1_25segmented_radix_sort_implIS3_Lb1EPKbPbPKlPlN2at6native12_GLOBAL__N_18offset_tEEE10hipError_tPvRmT1_PNSt15iterator_traitsISK_E10value_typeET2_T3_PNSL_ISQ_E10value_typeET4_jRbjT5_SW_jjP12ihipStream_tbEUlT_E_NS1_11comp_targetILNS1_3genE3ELNS1_11target_archE908ELNS1_3gpuE7ELNS1_3repE0EEENS1_30default_config_static_selectorELNS0_4arch9wavefront6targetE0EEEvSK_
		.amdhsa_group_segment_fixed_size 0
		.amdhsa_private_segment_fixed_size 0
		.amdhsa_kernarg_size 96
		.amdhsa_user_sgpr_count 2
		.amdhsa_user_sgpr_dispatch_ptr 0
		.amdhsa_user_sgpr_queue_ptr 0
		.amdhsa_user_sgpr_kernarg_segment_ptr 1
		.amdhsa_user_sgpr_dispatch_id 0
		.amdhsa_user_sgpr_private_segment_size 0
		.amdhsa_wavefront_size32 1
		.amdhsa_uses_dynamic_stack 0
		.amdhsa_enable_private_segment 0
		.amdhsa_system_sgpr_workgroup_id_x 1
		.amdhsa_system_sgpr_workgroup_id_y 0
		.amdhsa_system_sgpr_workgroup_id_z 0
		.amdhsa_system_sgpr_workgroup_info 0
		.amdhsa_system_vgpr_workitem_id 0
		.amdhsa_next_free_vgpr 1
		.amdhsa_next_free_sgpr 1
		.amdhsa_reserve_vcc 0
		.amdhsa_float_round_mode_32 0
		.amdhsa_float_round_mode_16_64 0
		.amdhsa_float_denorm_mode_32 3
		.amdhsa_float_denorm_mode_16_64 3
		.amdhsa_fp16_overflow 0
		.amdhsa_workgroup_processor_mode 1
		.amdhsa_memory_ordered 1
		.amdhsa_forward_progress 1
		.amdhsa_inst_pref_size 0
		.amdhsa_round_robin_scheduling 0
		.amdhsa_exception_fp_ieee_invalid_op 0
		.amdhsa_exception_fp_denorm_src 0
		.amdhsa_exception_fp_ieee_div_zero 0
		.amdhsa_exception_fp_ieee_overflow 0
		.amdhsa_exception_fp_ieee_underflow 0
		.amdhsa_exception_fp_ieee_inexact 0
		.amdhsa_exception_int_div_zero 0
	.end_amdhsa_kernel
	.section	.text._ZN7rocprim17ROCPRIM_400000_NS6detail17trampoline_kernelINS0_14default_configENS1_36segmented_radix_sort_config_selectorIblEEZNS1_25segmented_radix_sort_implIS3_Lb1EPKbPbPKlPlN2at6native12_GLOBAL__N_18offset_tEEE10hipError_tPvRmT1_PNSt15iterator_traitsISK_E10value_typeET2_T3_PNSL_ISQ_E10value_typeET4_jRbjT5_SW_jjP12ihipStream_tbEUlT_E_NS1_11comp_targetILNS1_3genE3ELNS1_11target_archE908ELNS1_3gpuE7ELNS1_3repE0EEENS1_30default_config_static_selectorELNS0_4arch9wavefront6targetE0EEEvSK_,"axG",@progbits,_ZN7rocprim17ROCPRIM_400000_NS6detail17trampoline_kernelINS0_14default_configENS1_36segmented_radix_sort_config_selectorIblEEZNS1_25segmented_radix_sort_implIS3_Lb1EPKbPbPKlPlN2at6native12_GLOBAL__N_18offset_tEEE10hipError_tPvRmT1_PNSt15iterator_traitsISK_E10value_typeET2_T3_PNSL_ISQ_E10value_typeET4_jRbjT5_SW_jjP12ihipStream_tbEUlT_E_NS1_11comp_targetILNS1_3genE3ELNS1_11target_archE908ELNS1_3gpuE7ELNS1_3repE0EEENS1_30default_config_static_selectorELNS0_4arch9wavefront6targetE0EEEvSK_,comdat
.Lfunc_end1535:
	.size	_ZN7rocprim17ROCPRIM_400000_NS6detail17trampoline_kernelINS0_14default_configENS1_36segmented_radix_sort_config_selectorIblEEZNS1_25segmented_radix_sort_implIS3_Lb1EPKbPbPKlPlN2at6native12_GLOBAL__N_18offset_tEEE10hipError_tPvRmT1_PNSt15iterator_traitsISK_E10value_typeET2_T3_PNSL_ISQ_E10value_typeET4_jRbjT5_SW_jjP12ihipStream_tbEUlT_E_NS1_11comp_targetILNS1_3genE3ELNS1_11target_archE908ELNS1_3gpuE7ELNS1_3repE0EEENS1_30default_config_static_selectorELNS0_4arch9wavefront6targetE0EEEvSK_, .Lfunc_end1535-_ZN7rocprim17ROCPRIM_400000_NS6detail17trampoline_kernelINS0_14default_configENS1_36segmented_radix_sort_config_selectorIblEEZNS1_25segmented_radix_sort_implIS3_Lb1EPKbPbPKlPlN2at6native12_GLOBAL__N_18offset_tEEE10hipError_tPvRmT1_PNSt15iterator_traitsISK_E10value_typeET2_T3_PNSL_ISQ_E10value_typeET4_jRbjT5_SW_jjP12ihipStream_tbEUlT_E_NS1_11comp_targetILNS1_3genE3ELNS1_11target_archE908ELNS1_3gpuE7ELNS1_3repE0EEENS1_30default_config_static_selectorELNS0_4arch9wavefront6targetE0EEEvSK_
                                        ; -- End function
	.set _ZN7rocprim17ROCPRIM_400000_NS6detail17trampoline_kernelINS0_14default_configENS1_36segmented_radix_sort_config_selectorIblEEZNS1_25segmented_radix_sort_implIS3_Lb1EPKbPbPKlPlN2at6native12_GLOBAL__N_18offset_tEEE10hipError_tPvRmT1_PNSt15iterator_traitsISK_E10value_typeET2_T3_PNSL_ISQ_E10value_typeET4_jRbjT5_SW_jjP12ihipStream_tbEUlT_E_NS1_11comp_targetILNS1_3genE3ELNS1_11target_archE908ELNS1_3gpuE7ELNS1_3repE0EEENS1_30default_config_static_selectorELNS0_4arch9wavefront6targetE0EEEvSK_.num_vgpr, 0
	.set _ZN7rocprim17ROCPRIM_400000_NS6detail17trampoline_kernelINS0_14default_configENS1_36segmented_radix_sort_config_selectorIblEEZNS1_25segmented_radix_sort_implIS3_Lb1EPKbPbPKlPlN2at6native12_GLOBAL__N_18offset_tEEE10hipError_tPvRmT1_PNSt15iterator_traitsISK_E10value_typeET2_T3_PNSL_ISQ_E10value_typeET4_jRbjT5_SW_jjP12ihipStream_tbEUlT_E_NS1_11comp_targetILNS1_3genE3ELNS1_11target_archE908ELNS1_3gpuE7ELNS1_3repE0EEENS1_30default_config_static_selectorELNS0_4arch9wavefront6targetE0EEEvSK_.num_agpr, 0
	.set _ZN7rocprim17ROCPRIM_400000_NS6detail17trampoline_kernelINS0_14default_configENS1_36segmented_radix_sort_config_selectorIblEEZNS1_25segmented_radix_sort_implIS3_Lb1EPKbPbPKlPlN2at6native12_GLOBAL__N_18offset_tEEE10hipError_tPvRmT1_PNSt15iterator_traitsISK_E10value_typeET2_T3_PNSL_ISQ_E10value_typeET4_jRbjT5_SW_jjP12ihipStream_tbEUlT_E_NS1_11comp_targetILNS1_3genE3ELNS1_11target_archE908ELNS1_3gpuE7ELNS1_3repE0EEENS1_30default_config_static_selectorELNS0_4arch9wavefront6targetE0EEEvSK_.numbered_sgpr, 0
	.set _ZN7rocprim17ROCPRIM_400000_NS6detail17trampoline_kernelINS0_14default_configENS1_36segmented_radix_sort_config_selectorIblEEZNS1_25segmented_radix_sort_implIS3_Lb1EPKbPbPKlPlN2at6native12_GLOBAL__N_18offset_tEEE10hipError_tPvRmT1_PNSt15iterator_traitsISK_E10value_typeET2_T3_PNSL_ISQ_E10value_typeET4_jRbjT5_SW_jjP12ihipStream_tbEUlT_E_NS1_11comp_targetILNS1_3genE3ELNS1_11target_archE908ELNS1_3gpuE7ELNS1_3repE0EEENS1_30default_config_static_selectorELNS0_4arch9wavefront6targetE0EEEvSK_.num_named_barrier, 0
	.set _ZN7rocprim17ROCPRIM_400000_NS6detail17trampoline_kernelINS0_14default_configENS1_36segmented_radix_sort_config_selectorIblEEZNS1_25segmented_radix_sort_implIS3_Lb1EPKbPbPKlPlN2at6native12_GLOBAL__N_18offset_tEEE10hipError_tPvRmT1_PNSt15iterator_traitsISK_E10value_typeET2_T3_PNSL_ISQ_E10value_typeET4_jRbjT5_SW_jjP12ihipStream_tbEUlT_E_NS1_11comp_targetILNS1_3genE3ELNS1_11target_archE908ELNS1_3gpuE7ELNS1_3repE0EEENS1_30default_config_static_selectorELNS0_4arch9wavefront6targetE0EEEvSK_.private_seg_size, 0
	.set _ZN7rocprim17ROCPRIM_400000_NS6detail17trampoline_kernelINS0_14default_configENS1_36segmented_radix_sort_config_selectorIblEEZNS1_25segmented_radix_sort_implIS3_Lb1EPKbPbPKlPlN2at6native12_GLOBAL__N_18offset_tEEE10hipError_tPvRmT1_PNSt15iterator_traitsISK_E10value_typeET2_T3_PNSL_ISQ_E10value_typeET4_jRbjT5_SW_jjP12ihipStream_tbEUlT_E_NS1_11comp_targetILNS1_3genE3ELNS1_11target_archE908ELNS1_3gpuE7ELNS1_3repE0EEENS1_30default_config_static_selectorELNS0_4arch9wavefront6targetE0EEEvSK_.uses_vcc, 0
	.set _ZN7rocprim17ROCPRIM_400000_NS6detail17trampoline_kernelINS0_14default_configENS1_36segmented_radix_sort_config_selectorIblEEZNS1_25segmented_radix_sort_implIS3_Lb1EPKbPbPKlPlN2at6native12_GLOBAL__N_18offset_tEEE10hipError_tPvRmT1_PNSt15iterator_traitsISK_E10value_typeET2_T3_PNSL_ISQ_E10value_typeET4_jRbjT5_SW_jjP12ihipStream_tbEUlT_E_NS1_11comp_targetILNS1_3genE3ELNS1_11target_archE908ELNS1_3gpuE7ELNS1_3repE0EEENS1_30default_config_static_selectorELNS0_4arch9wavefront6targetE0EEEvSK_.uses_flat_scratch, 0
	.set _ZN7rocprim17ROCPRIM_400000_NS6detail17trampoline_kernelINS0_14default_configENS1_36segmented_radix_sort_config_selectorIblEEZNS1_25segmented_radix_sort_implIS3_Lb1EPKbPbPKlPlN2at6native12_GLOBAL__N_18offset_tEEE10hipError_tPvRmT1_PNSt15iterator_traitsISK_E10value_typeET2_T3_PNSL_ISQ_E10value_typeET4_jRbjT5_SW_jjP12ihipStream_tbEUlT_E_NS1_11comp_targetILNS1_3genE3ELNS1_11target_archE908ELNS1_3gpuE7ELNS1_3repE0EEENS1_30default_config_static_selectorELNS0_4arch9wavefront6targetE0EEEvSK_.has_dyn_sized_stack, 0
	.set _ZN7rocprim17ROCPRIM_400000_NS6detail17trampoline_kernelINS0_14default_configENS1_36segmented_radix_sort_config_selectorIblEEZNS1_25segmented_radix_sort_implIS3_Lb1EPKbPbPKlPlN2at6native12_GLOBAL__N_18offset_tEEE10hipError_tPvRmT1_PNSt15iterator_traitsISK_E10value_typeET2_T3_PNSL_ISQ_E10value_typeET4_jRbjT5_SW_jjP12ihipStream_tbEUlT_E_NS1_11comp_targetILNS1_3genE3ELNS1_11target_archE908ELNS1_3gpuE7ELNS1_3repE0EEENS1_30default_config_static_selectorELNS0_4arch9wavefront6targetE0EEEvSK_.has_recursion, 0
	.set _ZN7rocprim17ROCPRIM_400000_NS6detail17trampoline_kernelINS0_14default_configENS1_36segmented_radix_sort_config_selectorIblEEZNS1_25segmented_radix_sort_implIS3_Lb1EPKbPbPKlPlN2at6native12_GLOBAL__N_18offset_tEEE10hipError_tPvRmT1_PNSt15iterator_traitsISK_E10value_typeET2_T3_PNSL_ISQ_E10value_typeET4_jRbjT5_SW_jjP12ihipStream_tbEUlT_E_NS1_11comp_targetILNS1_3genE3ELNS1_11target_archE908ELNS1_3gpuE7ELNS1_3repE0EEENS1_30default_config_static_selectorELNS0_4arch9wavefront6targetE0EEEvSK_.has_indirect_call, 0
	.section	.AMDGPU.csdata,"",@progbits
; Kernel info:
; codeLenInByte = 0
; TotalNumSgprs: 0
; NumVgprs: 0
; ScratchSize: 0
; MemoryBound: 0
; FloatMode: 240
; IeeeMode: 1
; LDSByteSize: 0 bytes/workgroup (compile time only)
; SGPRBlocks: 0
; VGPRBlocks: 0
; NumSGPRsForWavesPerEU: 1
; NumVGPRsForWavesPerEU: 1
; Occupancy: 16
; WaveLimiterHint : 0
; COMPUTE_PGM_RSRC2:SCRATCH_EN: 0
; COMPUTE_PGM_RSRC2:USER_SGPR: 2
; COMPUTE_PGM_RSRC2:TRAP_HANDLER: 0
; COMPUTE_PGM_RSRC2:TGID_X_EN: 1
; COMPUTE_PGM_RSRC2:TGID_Y_EN: 0
; COMPUTE_PGM_RSRC2:TGID_Z_EN: 0
; COMPUTE_PGM_RSRC2:TIDIG_COMP_CNT: 0
	.section	.text._ZN7rocprim17ROCPRIM_400000_NS6detail17trampoline_kernelINS0_14default_configENS1_36segmented_radix_sort_config_selectorIblEEZNS1_25segmented_radix_sort_implIS3_Lb1EPKbPbPKlPlN2at6native12_GLOBAL__N_18offset_tEEE10hipError_tPvRmT1_PNSt15iterator_traitsISK_E10value_typeET2_T3_PNSL_ISQ_E10value_typeET4_jRbjT5_SW_jjP12ihipStream_tbEUlT_E_NS1_11comp_targetILNS1_3genE2ELNS1_11target_archE906ELNS1_3gpuE6ELNS1_3repE0EEENS1_30default_config_static_selectorELNS0_4arch9wavefront6targetE0EEEvSK_,"axG",@progbits,_ZN7rocprim17ROCPRIM_400000_NS6detail17trampoline_kernelINS0_14default_configENS1_36segmented_radix_sort_config_selectorIblEEZNS1_25segmented_radix_sort_implIS3_Lb1EPKbPbPKlPlN2at6native12_GLOBAL__N_18offset_tEEE10hipError_tPvRmT1_PNSt15iterator_traitsISK_E10value_typeET2_T3_PNSL_ISQ_E10value_typeET4_jRbjT5_SW_jjP12ihipStream_tbEUlT_E_NS1_11comp_targetILNS1_3genE2ELNS1_11target_archE906ELNS1_3gpuE6ELNS1_3repE0EEENS1_30default_config_static_selectorELNS0_4arch9wavefront6targetE0EEEvSK_,comdat
	.globl	_ZN7rocprim17ROCPRIM_400000_NS6detail17trampoline_kernelINS0_14default_configENS1_36segmented_radix_sort_config_selectorIblEEZNS1_25segmented_radix_sort_implIS3_Lb1EPKbPbPKlPlN2at6native12_GLOBAL__N_18offset_tEEE10hipError_tPvRmT1_PNSt15iterator_traitsISK_E10value_typeET2_T3_PNSL_ISQ_E10value_typeET4_jRbjT5_SW_jjP12ihipStream_tbEUlT_E_NS1_11comp_targetILNS1_3genE2ELNS1_11target_archE906ELNS1_3gpuE6ELNS1_3repE0EEENS1_30default_config_static_selectorELNS0_4arch9wavefront6targetE0EEEvSK_ ; -- Begin function _ZN7rocprim17ROCPRIM_400000_NS6detail17trampoline_kernelINS0_14default_configENS1_36segmented_radix_sort_config_selectorIblEEZNS1_25segmented_radix_sort_implIS3_Lb1EPKbPbPKlPlN2at6native12_GLOBAL__N_18offset_tEEE10hipError_tPvRmT1_PNSt15iterator_traitsISK_E10value_typeET2_T3_PNSL_ISQ_E10value_typeET4_jRbjT5_SW_jjP12ihipStream_tbEUlT_E_NS1_11comp_targetILNS1_3genE2ELNS1_11target_archE906ELNS1_3gpuE6ELNS1_3repE0EEENS1_30default_config_static_selectorELNS0_4arch9wavefront6targetE0EEEvSK_
	.p2align	8
	.type	_ZN7rocprim17ROCPRIM_400000_NS6detail17trampoline_kernelINS0_14default_configENS1_36segmented_radix_sort_config_selectorIblEEZNS1_25segmented_radix_sort_implIS3_Lb1EPKbPbPKlPlN2at6native12_GLOBAL__N_18offset_tEEE10hipError_tPvRmT1_PNSt15iterator_traitsISK_E10value_typeET2_T3_PNSL_ISQ_E10value_typeET4_jRbjT5_SW_jjP12ihipStream_tbEUlT_E_NS1_11comp_targetILNS1_3genE2ELNS1_11target_archE906ELNS1_3gpuE6ELNS1_3repE0EEENS1_30default_config_static_selectorELNS0_4arch9wavefront6targetE0EEEvSK_,@function
_ZN7rocprim17ROCPRIM_400000_NS6detail17trampoline_kernelINS0_14default_configENS1_36segmented_radix_sort_config_selectorIblEEZNS1_25segmented_radix_sort_implIS3_Lb1EPKbPbPKlPlN2at6native12_GLOBAL__N_18offset_tEEE10hipError_tPvRmT1_PNSt15iterator_traitsISK_E10value_typeET2_T3_PNSL_ISQ_E10value_typeET4_jRbjT5_SW_jjP12ihipStream_tbEUlT_E_NS1_11comp_targetILNS1_3genE2ELNS1_11target_archE906ELNS1_3gpuE6ELNS1_3repE0EEENS1_30default_config_static_selectorELNS0_4arch9wavefront6targetE0EEEvSK_: ; @_ZN7rocprim17ROCPRIM_400000_NS6detail17trampoline_kernelINS0_14default_configENS1_36segmented_radix_sort_config_selectorIblEEZNS1_25segmented_radix_sort_implIS3_Lb1EPKbPbPKlPlN2at6native12_GLOBAL__N_18offset_tEEE10hipError_tPvRmT1_PNSt15iterator_traitsISK_E10value_typeET2_T3_PNSL_ISQ_E10value_typeET4_jRbjT5_SW_jjP12ihipStream_tbEUlT_E_NS1_11comp_targetILNS1_3genE2ELNS1_11target_archE906ELNS1_3gpuE6ELNS1_3repE0EEENS1_30default_config_static_selectorELNS0_4arch9wavefront6targetE0EEEvSK_
; %bb.0:
	.section	.rodata,"a",@progbits
	.p2align	6, 0x0
	.amdhsa_kernel _ZN7rocprim17ROCPRIM_400000_NS6detail17trampoline_kernelINS0_14default_configENS1_36segmented_radix_sort_config_selectorIblEEZNS1_25segmented_radix_sort_implIS3_Lb1EPKbPbPKlPlN2at6native12_GLOBAL__N_18offset_tEEE10hipError_tPvRmT1_PNSt15iterator_traitsISK_E10value_typeET2_T3_PNSL_ISQ_E10value_typeET4_jRbjT5_SW_jjP12ihipStream_tbEUlT_E_NS1_11comp_targetILNS1_3genE2ELNS1_11target_archE906ELNS1_3gpuE6ELNS1_3repE0EEENS1_30default_config_static_selectorELNS0_4arch9wavefront6targetE0EEEvSK_
		.amdhsa_group_segment_fixed_size 0
		.amdhsa_private_segment_fixed_size 0
		.amdhsa_kernarg_size 96
		.amdhsa_user_sgpr_count 2
		.amdhsa_user_sgpr_dispatch_ptr 0
		.amdhsa_user_sgpr_queue_ptr 0
		.amdhsa_user_sgpr_kernarg_segment_ptr 1
		.amdhsa_user_sgpr_dispatch_id 0
		.amdhsa_user_sgpr_private_segment_size 0
		.amdhsa_wavefront_size32 1
		.amdhsa_uses_dynamic_stack 0
		.amdhsa_enable_private_segment 0
		.amdhsa_system_sgpr_workgroup_id_x 1
		.amdhsa_system_sgpr_workgroup_id_y 0
		.amdhsa_system_sgpr_workgroup_id_z 0
		.amdhsa_system_sgpr_workgroup_info 0
		.amdhsa_system_vgpr_workitem_id 0
		.amdhsa_next_free_vgpr 1
		.amdhsa_next_free_sgpr 1
		.amdhsa_reserve_vcc 0
		.amdhsa_float_round_mode_32 0
		.amdhsa_float_round_mode_16_64 0
		.amdhsa_float_denorm_mode_32 3
		.amdhsa_float_denorm_mode_16_64 3
		.amdhsa_fp16_overflow 0
		.amdhsa_workgroup_processor_mode 1
		.amdhsa_memory_ordered 1
		.amdhsa_forward_progress 1
		.amdhsa_inst_pref_size 0
		.amdhsa_round_robin_scheduling 0
		.amdhsa_exception_fp_ieee_invalid_op 0
		.amdhsa_exception_fp_denorm_src 0
		.amdhsa_exception_fp_ieee_div_zero 0
		.amdhsa_exception_fp_ieee_overflow 0
		.amdhsa_exception_fp_ieee_underflow 0
		.amdhsa_exception_fp_ieee_inexact 0
		.amdhsa_exception_int_div_zero 0
	.end_amdhsa_kernel
	.section	.text._ZN7rocprim17ROCPRIM_400000_NS6detail17trampoline_kernelINS0_14default_configENS1_36segmented_radix_sort_config_selectorIblEEZNS1_25segmented_radix_sort_implIS3_Lb1EPKbPbPKlPlN2at6native12_GLOBAL__N_18offset_tEEE10hipError_tPvRmT1_PNSt15iterator_traitsISK_E10value_typeET2_T3_PNSL_ISQ_E10value_typeET4_jRbjT5_SW_jjP12ihipStream_tbEUlT_E_NS1_11comp_targetILNS1_3genE2ELNS1_11target_archE906ELNS1_3gpuE6ELNS1_3repE0EEENS1_30default_config_static_selectorELNS0_4arch9wavefront6targetE0EEEvSK_,"axG",@progbits,_ZN7rocprim17ROCPRIM_400000_NS6detail17trampoline_kernelINS0_14default_configENS1_36segmented_radix_sort_config_selectorIblEEZNS1_25segmented_radix_sort_implIS3_Lb1EPKbPbPKlPlN2at6native12_GLOBAL__N_18offset_tEEE10hipError_tPvRmT1_PNSt15iterator_traitsISK_E10value_typeET2_T3_PNSL_ISQ_E10value_typeET4_jRbjT5_SW_jjP12ihipStream_tbEUlT_E_NS1_11comp_targetILNS1_3genE2ELNS1_11target_archE906ELNS1_3gpuE6ELNS1_3repE0EEENS1_30default_config_static_selectorELNS0_4arch9wavefront6targetE0EEEvSK_,comdat
.Lfunc_end1536:
	.size	_ZN7rocprim17ROCPRIM_400000_NS6detail17trampoline_kernelINS0_14default_configENS1_36segmented_radix_sort_config_selectorIblEEZNS1_25segmented_radix_sort_implIS3_Lb1EPKbPbPKlPlN2at6native12_GLOBAL__N_18offset_tEEE10hipError_tPvRmT1_PNSt15iterator_traitsISK_E10value_typeET2_T3_PNSL_ISQ_E10value_typeET4_jRbjT5_SW_jjP12ihipStream_tbEUlT_E_NS1_11comp_targetILNS1_3genE2ELNS1_11target_archE906ELNS1_3gpuE6ELNS1_3repE0EEENS1_30default_config_static_selectorELNS0_4arch9wavefront6targetE0EEEvSK_, .Lfunc_end1536-_ZN7rocprim17ROCPRIM_400000_NS6detail17trampoline_kernelINS0_14default_configENS1_36segmented_radix_sort_config_selectorIblEEZNS1_25segmented_radix_sort_implIS3_Lb1EPKbPbPKlPlN2at6native12_GLOBAL__N_18offset_tEEE10hipError_tPvRmT1_PNSt15iterator_traitsISK_E10value_typeET2_T3_PNSL_ISQ_E10value_typeET4_jRbjT5_SW_jjP12ihipStream_tbEUlT_E_NS1_11comp_targetILNS1_3genE2ELNS1_11target_archE906ELNS1_3gpuE6ELNS1_3repE0EEENS1_30default_config_static_selectorELNS0_4arch9wavefront6targetE0EEEvSK_
                                        ; -- End function
	.set _ZN7rocprim17ROCPRIM_400000_NS6detail17trampoline_kernelINS0_14default_configENS1_36segmented_radix_sort_config_selectorIblEEZNS1_25segmented_radix_sort_implIS3_Lb1EPKbPbPKlPlN2at6native12_GLOBAL__N_18offset_tEEE10hipError_tPvRmT1_PNSt15iterator_traitsISK_E10value_typeET2_T3_PNSL_ISQ_E10value_typeET4_jRbjT5_SW_jjP12ihipStream_tbEUlT_E_NS1_11comp_targetILNS1_3genE2ELNS1_11target_archE906ELNS1_3gpuE6ELNS1_3repE0EEENS1_30default_config_static_selectorELNS0_4arch9wavefront6targetE0EEEvSK_.num_vgpr, 0
	.set _ZN7rocprim17ROCPRIM_400000_NS6detail17trampoline_kernelINS0_14default_configENS1_36segmented_radix_sort_config_selectorIblEEZNS1_25segmented_radix_sort_implIS3_Lb1EPKbPbPKlPlN2at6native12_GLOBAL__N_18offset_tEEE10hipError_tPvRmT1_PNSt15iterator_traitsISK_E10value_typeET2_T3_PNSL_ISQ_E10value_typeET4_jRbjT5_SW_jjP12ihipStream_tbEUlT_E_NS1_11comp_targetILNS1_3genE2ELNS1_11target_archE906ELNS1_3gpuE6ELNS1_3repE0EEENS1_30default_config_static_selectorELNS0_4arch9wavefront6targetE0EEEvSK_.num_agpr, 0
	.set _ZN7rocprim17ROCPRIM_400000_NS6detail17trampoline_kernelINS0_14default_configENS1_36segmented_radix_sort_config_selectorIblEEZNS1_25segmented_radix_sort_implIS3_Lb1EPKbPbPKlPlN2at6native12_GLOBAL__N_18offset_tEEE10hipError_tPvRmT1_PNSt15iterator_traitsISK_E10value_typeET2_T3_PNSL_ISQ_E10value_typeET4_jRbjT5_SW_jjP12ihipStream_tbEUlT_E_NS1_11comp_targetILNS1_3genE2ELNS1_11target_archE906ELNS1_3gpuE6ELNS1_3repE0EEENS1_30default_config_static_selectorELNS0_4arch9wavefront6targetE0EEEvSK_.numbered_sgpr, 0
	.set _ZN7rocprim17ROCPRIM_400000_NS6detail17trampoline_kernelINS0_14default_configENS1_36segmented_radix_sort_config_selectorIblEEZNS1_25segmented_radix_sort_implIS3_Lb1EPKbPbPKlPlN2at6native12_GLOBAL__N_18offset_tEEE10hipError_tPvRmT1_PNSt15iterator_traitsISK_E10value_typeET2_T3_PNSL_ISQ_E10value_typeET4_jRbjT5_SW_jjP12ihipStream_tbEUlT_E_NS1_11comp_targetILNS1_3genE2ELNS1_11target_archE906ELNS1_3gpuE6ELNS1_3repE0EEENS1_30default_config_static_selectorELNS0_4arch9wavefront6targetE0EEEvSK_.num_named_barrier, 0
	.set _ZN7rocprim17ROCPRIM_400000_NS6detail17trampoline_kernelINS0_14default_configENS1_36segmented_radix_sort_config_selectorIblEEZNS1_25segmented_radix_sort_implIS3_Lb1EPKbPbPKlPlN2at6native12_GLOBAL__N_18offset_tEEE10hipError_tPvRmT1_PNSt15iterator_traitsISK_E10value_typeET2_T3_PNSL_ISQ_E10value_typeET4_jRbjT5_SW_jjP12ihipStream_tbEUlT_E_NS1_11comp_targetILNS1_3genE2ELNS1_11target_archE906ELNS1_3gpuE6ELNS1_3repE0EEENS1_30default_config_static_selectorELNS0_4arch9wavefront6targetE0EEEvSK_.private_seg_size, 0
	.set _ZN7rocprim17ROCPRIM_400000_NS6detail17trampoline_kernelINS0_14default_configENS1_36segmented_radix_sort_config_selectorIblEEZNS1_25segmented_radix_sort_implIS3_Lb1EPKbPbPKlPlN2at6native12_GLOBAL__N_18offset_tEEE10hipError_tPvRmT1_PNSt15iterator_traitsISK_E10value_typeET2_T3_PNSL_ISQ_E10value_typeET4_jRbjT5_SW_jjP12ihipStream_tbEUlT_E_NS1_11comp_targetILNS1_3genE2ELNS1_11target_archE906ELNS1_3gpuE6ELNS1_3repE0EEENS1_30default_config_static_selectorELNS0_4arch9wavefront6targetE0EEEvSK_.uses_vcc, 0
	.set _ZN7rocprim17ROCPRIM_400000_NS6detail17trampoline_kernelINS0_14default_configENS1_36segmented_radix_sort_config_selectorIblEEZNS1_25segmented_radix_sort_implIS3_Lb1EPKbPbPKlPlN2at6native12_GLOBAL__N_18offset_tEEE10hipError_tPvRmT1_PNSt15iterator_traitsISK_E10value_typeET2_T3_PNSL_ISQ_E10value_typeET4_jRbjT5_SW_jjP12ihipStream_tbEUlT_E_NS1_11comp_targetILNS1_3genE2ELNS1_11target_archE906ELNS1_3gpuE6ELNS1_3repE0EEENS1_30default_config_static_selectorELNS0_4arch9wavefront6targetE0EEEvSK_.uses_flat_scratch, 0
	.set _ZN7rocprim17ROCPRIM_400000_NS6detail17trampoline_kernelINS0_14default_configENS1_36segmented_radix_sort_config_selectorIblEEZNS1_25segmented_radix_sort_implIS3_Lb1EPKbPbPKlPlN2at6native12_GLOBAL__N_18offset_tEEE10hipError_tPvRmT1_PNSt15iterator_traitsISK_E10value_typeET2_T3_PNSL_ISQ_E10value_typeET4_jRbjT5_SW_jjP12ihipStream_tbEUlT_E_NS1_11comp_targetILNS1_3genE2ELNS1_11target_archE906ELNS1_3gpuE6ELNS1_3repE0EEENS1_30default_config_static_selectorELNS0_4arch9wavefront6targetE0EEEvSK_.has_dyn_sized_stack, 0
	.set _ZN7rocprim17ROCPRIM_400000_NS6detail17trampoline_kernelINS0_14default_configENS1_36segmented_radix_sort_config_selectorIblEEZNS1_25segmented_radix_sort_implIS3_Lb1EPKbPbPKlPlN2at6native12_GLOBAL__N_18offset_tEEE10hipError_tPvRmT1_PNSt15iterator_traitsISK_E10value_typeET2_T3_PNSL_ISQ_E10value_typeET4_jRbjT5_SW_jjP12ihipStream_tbEUlT_E_NS1_11comp_targetILNS1_3genE2ELNS1_11target_archE906ELNS1_3gpuE6ELNS1_3repE0EEENS1_30default_config_static_selectorELNS0_4arch9wavefront6targetE0EEEvSK_.has_recursion, 0
	.set _ZN7rocprim17ROCPRIM_400000_NS6detail17trampoline_kernelINS0_14default_configENS1_36segmented_radix_sort_config_selectorIblEEZNS1_25segmented_radix_sort_implIS3_Lb1EPKbPbPKlPlN2at6native12_GLOBAL__N_18offset_tEEE10hipError_tPvRmT1_PNSt15iterator_traitsISK_E10value_typeET2_T3_PNSL_ISQ_E10value_typeET4_jRbjT5_SW_jjP12ihipStream_tbEUlT_E_NS1_11comp_targetILNS1_3genE2ELNS1_11target_archE906ELNS1_3gpuE6ELNS1_3repE0EEENS1_30default_config_static_selectorELNS0_4arch9wavefront6targetE0EEEvSK_.has_indirect_call, 0
	.section	.AMDGPU.csdata,"",@progbits
; Kernel info:
; codeLenInByte = 0
; TotalNumSgprs: 0
; NumVgprs: 0
; ScratchSize: 0
; MemoryBound: 0
; FloatMode: 240
; IeeeMode: 1
; LDSByteSize: 0 bytes/workgroup (compile time only)
; SGPRBlocks: 0
; VGPRBlocks: 0
; NumSGPRsForWavesPerEU: 1
; NumVGPRsForWavesPerEU: 1
; Occupancy: 16
; WaveLimiterHint : 0
; COMPUTE_PGM_RSRC2:SCRATCH_EN: 0
; COMPUTE_PGM_RSRC2:USER_SGPR: 2
; COMPUTE_PGM_RSRC2:TRAP_HANDLER: 0
; COMPUTE_PGM_RSRC2:TGID_X_EN: 1
; COMPUTE_PGM_RSRC2:TGID_Y_EN: 0
; COMPUTE_PGM_RSRC2:TGID_Z_EN: 0
; COMPUTE_PGM_RSRC2:TIDIG_COMP_CNT: 0
	.text
	.p2align	2                               ; -- Begin function _ZN7rocprim17ROCPRIM_400000_NS6detail40segmented_radix_sort_single_block_helperIblLj256ELj8ELb1EE4sortIPKbPbPKlPlEEbT_T0_T1_T2_jjjjRNS3_12storage_typeE
	.type	_ZN7rocprim17ROCPRIM_400000_NS6detail40segmented_radix_sort_single_block_helperIblLj256ELj8ELb1EE4sortIPKbPbPKlPlEEbT_T0_T1_T2_jjjjRNS3_12storage_typeE,@function
_ZN7rocprim17ROCPRIM_400000_NS6detail40segmented_radix_sort_single_block_helperIblLj256ELj8ELb1EE4sortIPKbPbPKlPlEEbT_T0_T1_T2_jjjjRNS3_12storage_typeE: ; @_ZN7rocprim17ROCPRIM_400000_NS6detail40segmented_radix_sort_single_block_helperIblLj256ELj8ELb1EE4sortIPKbPbPKlPlEEbT_T0_T1_T2_jjjjRNS3_12storage_typeE
; %bb.0:
	s_wait_loadcnt_dscnt 0x0
	s_wait_expcnt 0x0
	s_wait_samplecnt 0x0
	s_wait_bvhcnt 0x0
	s_wait_kmcnt 0x0
	v_sub_nc_u32_e32 v98, v9, v8
	s_mov_b32 s16, exec_lo
	s_delay_alu instid0(VALU_DEP_1)
	v_cmpx_gt_u32_e32 0x801, v98
	s_cbranch_execz .LBB1537_199
; %bb.1:
	v_bfe_u32 v9, v31, 10, 10
	v_bfe_u32 v15, v31, 20, 10
	v_and_b32_e32 v14, 0x3ff, v31
	v_mbcnt_lo_u32_b32 v30, -1, 0
	s_mov_b32 s0, exec_lo
	v_cmpx_lt_u32_e32 0x400, v98
	s_wait_alu 0xfffe
	s_xor_b32 s17, exec_lo, s0
	s_cbranch_execz .LBB1537_79
; %bb.2:
	s_load_b64 s[0:1], s[8:9], 0x0
	s_and_b32 s2, ttmp7, 0xffff
	s_mov_b32 s3, 0
	v_add_co_u32 v0, vcc_lo, v0, v8
	s_wait_alu 0xfffd
	v_add_co_ci_u32_e64 v1, null, 0, v1, vcc_lo
	s_delay_alu instid0(VALU_DEP_2) | instskip(SKIP_1) | instid1(VALU_DEP_2)
	v_add_co_u32 v0, vcc_lo, v0, v30
	s_wait_alu 0xfffd
	v_add_co_ci_u32_e64 v1, null, 0, v1, vcc_lo
	s_wait_kmcnt 0x0
	s_wait_alu 0xfffe
	s_cmp_lt_u32 s2, s1
	s_cselect_b32 s2, 14, 20
	s_cmp_lt_u32 ttmp9, s0
	s_wait_alu 0xfffe
	s_add_nc_u64 s[4:5], s[8:9], s[2:3]
	s_cselect_b32 s2, 12, 18
	s_load_u16 s4, s[4:5], 0x0
	s_add_nc_u64 s[0:1], s[8:9], s[2:3]
	s_load_u16 s0, s[0:1], 0x0
	s_wait_kmcnt 0x0
	v_mad_u32_u24 v9, v15, s4, v9
	s_delay_alu instid0(VALU_DEP_1) | instskip(SKIP_1) | instid1(VALU_DEP_1)
	v_mad_co_u64_u32 v[25:26], null, v9, s0, v[14:15]
	v_mov_b32_e32 v9, 0
	v_dual_mov_b32 v17, v9 :: v_dual_mov_b32 v18, v9
	s_delay_alu instid0(VALU_DEP_3) | instskip(SKIP_1) | instid1(VALU_DEP_2)
	v_dual_mov_b32 v16, v9 :: v_dual_lshlrev_b32 v15, 3, v25
	v_dual_mov_b32 v19, v9 :: v_dual_mov_b32 v22, v9
	v_dual_mov_b32 v20, v9 :: v_dual_and_b32 v15, 0xffffff00, v15
	v_mov_b32_e32 v21, v9
	v_mov_b32_e32 v23, v9
	s_delay_alu instid0(VALU_DEP_3) | instskip(SKIP_3) | instid1(VALU_DEP_3)
	v_or_b32_e32 v26, v15, v30
	v_add_co_u32 v0, vcc_lo, v0, v15
	s_wait_alu 0xfffd
	v_add_co_ci_u32_e64 v1, null, 0, v1, vcc_lo
	v_cmp_lt_u32_e32 vcc_lo, v26, v98
	s_and_saveexec_b32 s0, vcc_lo
	s_cbranch_execz .LBB1537_4
; %bb.3:
	flat_load_u8 v17, v[0:1]
	v_dual_mov_b32 v18, v9 :: v_dual_mov_b32 v19, v9
	v_dual_mov_b32 v20, v9 :: v_dual_mov_b32 v21, v9
	;; [unrolled: 1-line block ×3, first 2 shown]
.LBB1537_4:
	s_wait_alu 0xfffe
	s_or_b32 exec_lo, exec_lo, s0
	v_or_b32_e32 v24, 32, v26
	s_delay_alu instid0(VALU_DEP_1)
	v_cmp_lt_u32_e64 s0, v24, v98
	v_mov_b32_e32 v24, v9
	s_and_saveexec_b32 s1, s0
	s_cbranch_execz .LBB1537_6
; %bb.5:
	flat_load_u8 v24, v[0:1] offset:32
.LBB1537_6:
	s_wait_alu 0xfffe
	s_or_b32 exec_lo, exec_lo, s1
	v_or_b32_e32 v27, 64, v26
	s_delay_alu instid0(VALU_DEP_1)
	v_cmp_lt_u32_e64 s1, v27, v98
	s_and_saveexec_b32 s2, s1
	s_cbranch_execz .LBB1537_8
; %bb.7:
	flat_load_u8 v18, v[0:1] offset:64
.LBB1537_8:
	s_wait_alu 0xfffe
	s_or_b32 exec_lo, exec_lo, s2
	v_or_b32_e32 v27, 0x60, v26
	s_delay_alu instid0(VALU_DEP_1)
	v_cmp_lt_u32_e64 s2, v27, v98
	;; [unrolled: 10-line block ×6, first 2 shown]
	s_and_saveexec_b32 s7, s6
	s_cbranch_execz .LBB1537_18
; %bb.17:
	flat_load_u8 v23, v[0:1] offset:224
.LBB1537_18:
	s_wait_alu 0xfffe
	s_or_b32 exec_lo, exec_lo, s7
	v_lshlrev_b64_e32 v[0:1], 3, v[8:9]
	v_lshlrev_b32_e32 v9, 3, v30
                                        ; implicit-def: $vgpr32_vgpr33
	s_delay_alu instid0(VALU_DEP_2) | instskip(SKIP_1) | instid1(VALU_DEP_3)
	v_add_co_u32 v26, s7, v4, v0
	s_wait_alu 0xf1ff
	v_add_co_ci_u32_e64 v27, null, v5, v1, s7
	v_lshlrev_b64_e32 v[4:5], 3, v[15:16]
	s_delay_alu instid0(VALU_DEP_3) | instskip(SKIP_1) | instid1(VALU_DEP_3)
	v_add_co_u32 v9, s7, v26, v9
	s_wait_alu 0xf1ff
	v_add_co_ci_u32_e64 v15, null, 0, v27, s7
	s_delay_alu instid0(VALU_DEP_2) | instskip(SKIP_1) | instid1(VALU_DEP_2)
	v_add_co_u32 v4, s7, v9, v4
	s_wait_alu 0xf1ff
	v_add_co_ci_u32_e64 v5, null, v15, v5, s7
	s_and_saveexec_b32 s7, vcc_lo
	s_cbranch_execnz .LBB1537_112
; %bb.19:
	s_wait_alu 0xfffe
	s_or_b32 exec_lo, exec_lo, s7
                                        ; implicit-def: $vgpr34_vgpr35
	s_and_saveexec_b32 s7, s0
	s_cbranch_execnz .LBB1537_113
.LBB1537_20:
	s_wait_alu 0xfffe
	s_or_b32 exec_lo, exec_lo, s7
                                        ; implicit-def: $vgpr36_vgpr37
	s_and_saveexec_b32 s0, s1
	s_cbranch_execnz .LBB1537_114
.LBB1537_21:
	s_wait_alu 0xfffe
	s_or_b32 exec_lo, exec_lo, s0
                                        ; implicit-def: $vgpr38_vgpr39
	s_and_saveexec_b32 s0, s2
	s_cbranch_execnz .LBB1537_115
.LBB1537_22:
	s_wait_alu 0xfffe
	s_or_b32 exec_lo, exec_lo, s0
                                        ; implicit-def: $vgpr48_vgpr49
	s_and_saveexec_b32 s0, s3
	s_cbranch_execnz .LBB1537_116
.LBB1537_23:
	s_wait_alu 0xfffe
	s_or_b32 exec_lo, exec_lo, s0
                                        ; implicit-def: $vgpr50_vgpr51
	s_and_saveexec_b32 s0, s4
	s_cbranch_execnz .LBB1537_117
.LBB1537_24:
	s_wait_alu 0xfffe
	s_or_b32 exec_lo, exec_lo, s0
                                        ; implicit-def: $vgpr52_vgpr53
	s_and_saveexec_b32 s0, s5
	s_cbranch_execnz .LBB1537_118
.LBB1537_25:
	s_wait_alu 0xfffe
	s_or_b32 exec_lo, exec_lo, s0
                                        ; implicit-def: $vgpr54_vgpr55
	s_and_saveexec_b32 s0, s6
	s_cbranch_execz .LBB1537_27
.LBB1537_26:
	flat_load_b64 v[54:55], v[4:5] offset:1792
.LBB1537_27:
	s_wait_alu 0xfffe
	s_or_b32 exec_lo, exec_lo, s0
	s_wait_loadcnt_dscnt 0x0
	v_dual_mov_b32 v117, 0 :: v_dual_and_b32 v4, 1, v23
	v_and_b32_e32 v9, 1, v21
	v_and_b32_e32 v5, 1, v22
	;; [unrolled: 1-line block ×3, first 2 shown]
	s_delay_alu instid0(VALU_DEP_4)
	v_cmp_eq_u32_e32 vcc_lo, 1, v4
	v_and_b32_e32 v4, 1, v17
	v_cmp_eq_u32_e64 s1, 1, v9
	v_and_b32_e32 v9, 1, v24
	v_and_b32_e32 v15, 1, v19
	v_cmp_eq_u32_e64 s0, 1, v5
	v_cmp_eq_u32_e64 s2, 1, v4
	v_and_b32_e32 v5, 1, v20
	v_cmp_eq_u32_e64 s4, 1, v9
	v_cmp_eq_u32_e64 s6, 1, v16
	;; [unrolled: 1-line block ×3, first 2 shown]
	s_xor_b32 s2, s2, -1
	v_lshl_add_u32 v20, v14, 5, v12
	s_wait_alu 0xfffe
	v_cndmask_b32_e64 v4, 0, 1, s2
	s_xor_b32 s2, s4, -1
	v_cmp_eq_u32_e64 s3, 1, v5
	s_wait_alu 0xfffe
	v_cndmask_b32_e64 v5, 0, 1, s2
	s_xor_b32 s2, s6, -1
	v_add_nc_u32_e32 v9, 32, v20
	s_wait_alu 0xfffe
	v_cndmask_b32_e64 v15, 0, 1, s2
	s_xor_b32 s2, s5, -1
	v_add_nc_u32_e32 v99, 36, v20
	v_add_nc_u32_e32 v100, 40, v20
	;; [unrolled: 1-line block ×7, first 2 shown]
	v_and_b32_e32 v20, 0x3e0, v14
	s_wait_alu 0xfffe
	v_cndmask_b32_e64 v16, 0, 1, s2
	s_xor_b32 s2, s3, -1
	s_xor_b32 s1, s1, -1
	s_wait_alu 0xfffe
	v_cndmask_b32_e64 v17, 0, 1, s2
	s_getpc_b64 s[2:3]
	s_wait_alu 0xfffe
	s_sext_i32_i16 s3, s3
	s_add_co_u32 s2, s2, _ZN7rocprim17ROCPRIM_400000_NS16block_radix_sortIbLj256ELj8ElLj1ELj1ELj8ELNS0_26block_radix_rank_algorithmE2ELNS0_18block_padding_hintE2ELNS0_4arch9wavefront6targetE0EE19radix_bits_per_passE@rel32@lo+12
	s_wait_alu 0xfffe
	s_add_co_ci_u32 s3, s3, _ZN7rocprim17ROCPRIM_400000_NS16block_radix_sortIbLj256ELj8ElLj1ELj1ELj8ELNS0_26block_radix_rank_algorithmE2ELNS0_18block_padding_hintE2ELNS0_4arch9wavefront6targetE0EE19radix_bits_per_passE@rel32@hi+24
	v_and_b32_e32 v23, 15, v30
	s_load_b32 s18, s[2:3], 0x0
	v_min_u32_e32 v20, 0xe0, v20
	v_sub_co_u32 v26, s2, v30, 1
	s_xor_b32 s0, s0, -1
	v_cndmask_b32_e64 v18, 0, 1, s1
	s_wait_alu 0xfffe
	v_cndmask_b32_e64 v19, 0, 1, s0
	s_xor_b32 s0, vcc_lo, -1
	v_lshlrev_b32_e32 v22, 3, v14
	s_wait_alu 0xfffe
	v_cndmask_b32_e64 v21, 0, 1, s0
	v_cmp_eq_u32_e32 vcc_lo, 0, v23
	v_cmp_lt_u32_e64 s0, 1, v23
	v_cmp_lt_u32_e64 s1, 3, v23
	v_and_b32_e32 v24, 16, v30
	v_cmp_lt_u32_e64 s3, 7, v23
	v_or_b32_e32 v20, 31, v20
	v_lshrrev_b32_e32 v23, 3, v14
	v_cmp_gt_i32_e64 s5, 0, v26
	v_cmp_eq_u32_e64 s4, 0, v24
	v_and_or_b32 v22, 0x1f00, v22, v30
	v_lshlrev_b16 v5, 8, v5
	v_lshlrev_b16 v16, 8, v16
	s_wait_alu 0xf1ff
	v_cndmask_b32_e64 v24, v26, v30, s5
	v_cmp_eq_u32_e64 s5, v14, v20
	v_and_b32_e32 v20, 0x7c, v23
	v_add_nc_u32_e32 v119, v12, v22
	v_lshlrev_b16 v18, 8, v18
	v_or_b32_e32 v4, v4, v5
	v_or_b32_e32 v5, v15, v16
	v_add_nc_u32_e32 v116, v12, v20
	v_mul_u32_u24_e32 v20, 7, v22
	v_or_b32_e32 v15, v17, v18
	v_and_b32_e32 v23, 7, v30
	v_and_b32_e32 v4, 0xffff, v4
	v_lshlrev_b32_e32 v5, 16, v5
	v_add_nc_u32_e32 v132, v119, v20
	v_lshlrev_b16 v20, 8, v21
	v_and_b32_e32 v15, 0xffff, v15
	v_lshrrev_b32_e32 v114, 5, v25
	v_cmp_gt_u32_e64 s6, 8, v14
	v_cmp_lt_u32_e64 s7, 31, v14
	v_or_b32_e32 v16, v19, v20
	v_lshlrev_b32_e32 v115, 2, v24
	v_cmp_eq_u32_e64 s10, 0, v14
	v_lshl_add_u32 v118, v14, 2, v12
	v_cmp_eq_u32_e64 s11, 0, v23
	v_lshlrev_b32_e32 v16, 16, v16
	v_cmp_lt_u32_e64 s12, 1, v23
	v_cmp_lt_u32_e64 s13, 3, v23
	v_add_nc_u32_e32 v128, -4, v116
	v_add_nc_u32_e32 v129, 32, v119
	v_add_nc_u32_e32 v130, 64, v119
	v_add_nc_u32_e32 v131, 0x60, v119
	v_add_nc_u32_e32 v133, 0x80, v119
	v_add_nc_u32_e32 v134, 0xa0, v119
	v_add_nc_u32_e32 v135, 0xc0, v119
	v_add_nc_u32_e32 v144, 0xe0, v119
	v_add_nc_u32_e32 v145, 0x100, v132
	v_add_nc_u32_e32 v146, 0x200, v132
	v_add_nc_u32_e32 v147, 0x300, v132
	v_add_nc_u32_e32 v148, 0x400, v132
	v_add_nc_u32_e32 v149, 0x500, v132
	v_add_nc_u32_e32 v150, 0x600, v132
	v_add_nc_u32_e32 v151, 0x700, v132
	v_or_b32_e32 v4, v4, v5
	v_or_b32_e32 v182, v15, v16
	v_sub_nc_u32_e32 v160, v11, v10
	s_mov_b32 s19, 0
	s_wait_storecnt 0x0
	s_barrier_signal -1
	s_barrier_wait -1
	global_inv scope:SCOPE_SE
	s_branch .LBB1537_29
.LBB1537_28:                            ;   in Loop: Header=BB1537_29 Depth=1
	s_wait_alu 0xfffe
	s_or_b32 exec_lo, exec_lo, s15
	s_delay_alu instid0(SALU_CYCLE_1)
	s_and_b32 s14, exec_lo, s20
	s_wait_alu 0xfffe
	s_or_b32 s19, s14, s19
	s_wait_alu 0xfffe
	s_and_not1_b32 exec_lo, exec_lo, s19
	s_cbranch_execz .LBB1537_53
.LBB1537_29:                            ; =>This Inner Loop Header: Depth=1
	s_wait_kmcnt 0x0
	v_min_u32_e32 v5, s18, v160
	v_dual_mov_b32 v30, v32 :: v_dual_and_b32 v15, 0xff, v4
	v_mov_b32_e32 v31, v33
	v_dual_mov_b32 v17, v34 :: v_dual_mov_b32 v28, v38
	s_delay_alu instid0(VALU_DEP_4) | instskip(NEXT) | instid1(VALU_DEP_4)
	v_lshlrev_b32_e64 v5, v5, -1
	v_lshrrev_b32_e32 v15, v10, v15
	v_mov_b32_e32 v23, v48
	v_mov_b32_e32 v21, v50
	;; [unrolled: 1-line block ×3, first 2 shown]
	v_not_b32_e32 v64, v5
	v_dual_mov_b32 v18, v35 :: v_dual_mov_b32 v29, v39
	v_mov_b32_e32 v22, v51
	s_delay_alu instid0(VALU_DEP_3)
	v_dual_mov_b32 v24, v49 :: v_dual_and_b32 v5, v15, v64
	v_dual_mov_b32 v15, v36 :: v_dual_mov_b32 v16, v37
	v_mov_b32_e32 v20, v53
	ds_store_b32 v9, v117
	ds_store_b32 v99, v117
	;; [unrolled: 1-line block ×3, first 2 shown]
	v_add_co_u32 v32, s14, v5, -1
	s_wait_alu 0xf1ff
	v_cndmask_b32_e64 v26, 0, 1, s14
	v_lshlrev_b32_e32 v33, 3, v5
	ds_store_b32 v101, v117
	ds_store_b32 v102, v117
	;; [unrolled: 1-line block ×5, first 2 shown]
	v_cmp_ne_u32_e64 s14, 0, v26
	v_add_lshl_u32 v33, v33, v114, 2
	v_dual_mov_b32 v26, v54 :: v_dual_mov_b32 v27, v55
	s_wait_loadcnt_dscnt 0x0
	s_wait_alu 0xf1ff
	v_xor_b32_e32 v32, s14, v32
	v_add_co_u32 v33, null, v12, v33
	s_barrier_signal -1
	s_barrier_wait -1
	s_delay_alu instid0(VALU_DEP_2) | instskip(NEXT) | instid1(VALU_DEP_2)
	v_and_b32_e32 v5, exec_lo, v32
	v_add_co_u32 v33, null, v33, 32
	global_inv scope:SCOPE_SE
	v_mbcnt_lo_u32_b32 v32, v5, 0
	v_cmp_ne_u32_e64 s15, 0, v5
	; wave barrier
	s_delay_alu instid0(VALU_DEP_2)
	v_cmp_eq_u32_e64 s14, 0, v32
	s_and_b32 s15, s15, s14
	s_wait_alu 0xfffe
	s_and_saveexec_b32 s14, s15
; %bb.30:                               ;   in Loop: Header=BB1537_29 Depth=1
	v_bcnt_u32_b32 v5, v5, 0
	ds_store_b32 v33, v5
; %bb.31:                               ;   in Loop: Header=BB1537_29 Depth=1
	s_wait_alu 0xfffe
	s_or_b32 exec_lo, exec_lo, s14
	v_bfe_u32 v5, v4, 8, 8
	; wave barrier
	s_delay_alu instid0(VALU_DEP_1) | instskip(NEXT) | instid1(VALU_DEP_1)
	v_lshrrev_b32_e32 v5, v10, v5
	v_and_b32_e32 v5, v5, v64
	s_delay_alu instid0(VALU_DEP_1) | instskip(SKIP_3) | instid1(VALU_DEP_2)
	v_add_co_u32 v34, s14, v5, -1
	s_wait_alu 0xf1ff
	v_cndmask_b32_e64 v35, 0, 1, s14
	v_lshl_add_u32 v5, v5, 3, v114
	v_cmp_ne_u32_e64 s14, 0, v35
	s_delay_alu instid0(VALU_DEP_2) | instskip(SKIP_1) | instid1(VALU_DEP_2)
	v_lshl_add_u32 v36, v5, 2, v12
	s_wait_alu 0xf1ff
	v_xor_b32_e32 v5, s14, v34
	ds_load_b32 v34, v36 offset:32
	; wave barrier
	v_add_nc_u32_e32 v36, 32, v36
	v_and_b32_e32 v37, exec_lo, v5
	v_mov_b32_e32 v5, v182
	s_delay_alu instid0(VALU_DEP_2) | instskip(SKIP_1) | instid1(VALU_DEP_2)
	v_mbcnt_lo_u32_b32 v35, v37, 0
	v_cmp_ne_u32_e64 s15, 0, v37
	v_cmp_eq_u32_e64 s14, 0, v35
	s_and_b32 s15, s15, s14
	s_wait_alu 0xfffe
	s_and_saveexec_b32 s14, s15
	s_cbranch_execz .LBB1537_33
; %bb.32:                               ;   in Loop: Header=BB1537_29 Depth=1
	s_wait_dscnt 0x0
	v_bcnt_u32_b32 v37, v37, v34
	ds_store_b32 v36, v37
.LBB1537_33:                            ;   in Loop: Header=BB1537_29 Depth=1
	s_wait_alu 0xfffe
	s_or_b32 exec_lo, exec_lo, s14
	v_bfe_u32 v37, v4, 16, 8
	; wave barrier
	s_delay_alu instid0(VALU_DEP_1) | instskip(NEXT) | instid1(VALU_DEP_1)
	v_lshrrev_b32_e32 v37, v10, v37
	v_and_b32_e32 v37, v37, v64
	s_delay_alu instid0(VALU_DEP_1) | instskip(SKIP_3) | instid1(VALU_DEP_2)
	v_add_co_u32 v38, s14, v37, -1
	s_wait_alu 0xf1ff
	v_cndmask_b32_e64 v39, 0, 1, s14
	v_lshl_add_u32 v37, v37, 3, v114
	v_cmp_ne_u32_e64 s14, 0, v39
	s_delay_alu instid0(VALU_DEP_2) | instskip(SKIP_1) | instid1(VALU_DEP_2)
	v_lshl_add_u32 v39, v37, 2, v12
	s_wait_alu 0xf1ff
	v_xor_b32_e32 v38, s14, v38
	ds_load_b32 v37, v39 offset:32
	v_add_nc_u32_e32 v39, 32, v39
	; wave barrier
	v_and_b32_e32 v48, exec_lo, v38
	s_delay_alu instid0(VALU_DEP_1) | instskip(SKIP_1) | instid1(VALU_DEP_2)
	v_mbcnt_lo_u32_b32 v38, v48, 0
	v_cmp_ne_u32_e64 s15, 0, v48
	v_cmp_eq_u32_e64 s14, 0, v38
	s_and_b32 s15, s15, s14
	s_wait_alu 0xfffe
	s_and_saveexec_b32 s14, s15
	s_cbranch_execz .LBB1537_35
; %bb.34:                               ;   in Loop: Header=BB1537_29 Depth=1
	s_wait_dscnt 0x0
	v_bcnt_u32_b32 v48, v48, v37
	ds_store_b32 v39, v48
.LBB1537_35:                            ;   in Loop: Header=BB1537_29 Depth=1
	s_wait_alu 0xfffe
	s_or_b32 exec_lo, exec_lo, s14
	v_alignbit_b32 v48, v5, v4, 24
	; wave barrier
	s_delay_alu instid0(VALU_DEP_1) | instskip(NEXT) | instid1(VALU_DEP_1)
	v_and_b32_e32 v48, 0xff, v48
	v_lshrrev_b32_e32 v48, v10, v48
	s_delay_alu instid0(VALU_DEP_1) | instskip(NEXT) | instid1(VALU_DEP_1)
	v_and_b32_e32 v48, v48, v64
	v_add_co_u32 v49, s14, v48, -1
	s_wait_alu 0xf1ff
	v_cndmask_b32_e64 v50, 0, 1, s14
	v_lshl_add_u32 v48, v48, 3, v114
	s_delay_alu instid0(VALU_DEP_2) | instskip(NEXT) | instid1(VALU_DEP_2)
	v_cmp_ne_u32_e64 s14, 0, v50
	v_lshl_add_u32 v50, v48, 2, v12
	s_wait_alu 0xf1ff
	s_delay_alu instid0(VALU_DEP_2) | instskip(SKIP_3) | instid1(VALU_DEP_1)
	v_xor_b32_e32 v49, s14, v49
	ds_load_b32 v48, v50 offset:32
	v_add_nc_u32_e32 v50, 32, v50
	; wave barrier
	v_and_b32_e32 v51, exec_lo, v49
	v_mbcnt_lo_u32_b32 v49, v51, 0
	v_cmp_ne_u32_e64 s15, 0, v51
	s_delay_alu instid0(VALU_DEP_2)
	v_cmp_eq_u32_e64 s14, 0, v49
	s_and_b32 s15, s15, s14
	s_wait_alu 0xfffe
	s_and_saveexec_b32 s14, s15
	s_cbranch_execz .LBB1537_37
; %bb.36:                               ;   in Loop: Header=BB1537_29 Depth=1
	s_wait_dscnt 0x0
	v_bcnt_u32_b32 v51, v51, v48
	ds_store_b32 v50, v51
.LBB1537_37:                            ;   in Loop: Header=BB1537_29 Depth=1
	s_wait_alu 0xfffe
	s_or_b32 exec_lo, exec_lo, s14
	v_and_b32_e32 v51, 0xff, v5
	; wave barrier
	s_delay_alu instid0(VALU_DEP_1) | instskip(NEXT) | instid1(VALU_DEP_1)
	v_lshrrev_b32_e32 v51, v10, v51
	v_and_b32_e32 v51, v51, v64
	s_delay_alu instid0(VALU_DEP_1) | instskip(SKIP_3) | instid1(VALU_DEP_2)
	v_add_co_u32 v52, s14, v51, -1
	s_wait_alu 0xf1ff
	v_cndmask_b32_e64 v53, 0, 1, s14
	v_lshl_add_u32 v51, v51, 3, v114
	v_cmp_ne_u32_e64 s14, 0, v53
	s_delay_alu instid0(VALU_DEP_2) | instskip(SKIP_1) | instid1(VALU_DEP_2)
	v_lshl_add_u32 v53, v51, 2, v12
	s_wait_alu 0xf1ff
	v_xor_b32_e32 v52, s14, v52
	ds_load_b32 v51, v53 offset:32
	v_add_nc_u32_e32 v53, 32, v53
	; wave barrier
	v_and_b32_e32 v54, exec_lo, v52
	s_delay_alu instid0(VALU_DEP_1) | instskip(SKIP_1) | instid1(VALU_DEP_2)
	v_mbcnt_lo_u32_b32 v52, v54, 0
	v_cmp_ne_u32_e64 s15, 0, v54
	v_cmp_eq_u32_e64 s14, 0, v52
	s_and_b32 s15, s15, s14
	s_wait_alu 0xfffe
	s_and_saveexec_b32 s14, s15
	s_cbranch_execz .LBB1537_39
; %bb.38:                               ;   in Loop: Header=BB1537_29 Depth=1
	s_wait_dscnt 0x0
	v_bcnt_u32_b32 v54, v54, v51
	ds_store_b32 v53, v54
.LBB1537_39:                            ;   in Loop: Header=BB1537_29 Depth=1
	s_wait_alu 0xfffe
	s_or_b32 exec_lo, exec_lo, s14
	v_bfe_u32 v54, v5, 8, 8
	; wave barrier
	s_delay_alu instid0(VALU_DEP_1) | instskip(NEXT) | instid1(VALU_DEP_1)
	v_lshrrev_b32_e32 v54, v10, v54
	v_and_b32_e32 v54, v54, v64
	s_delay_alu instid0(VALU_DEP_1) | instskip(SKIP_3) | instid1(VALU_DEP_2)
	v_add_co_u32 v55, s14, v54, -1
	s_wait_alu 0xf1ff
	v_cndmask_b32_e64 v65, 0, 1, s14
	v_lshl_add_u32 v54, v54, 3, v114
	v_cmp_ne_u32_e64 s14, 0, v65
	s_delay_alu instid0(VALU_DEP_2) | instskip(SKIP_1) | instid1(VALU_DEP_2)
	v_lshl_add_u32 v65, v54, 2, v12
	s_wait_alu 0xf1ff
	v_xor_b32_e32 v55, s14, v55
	ds_load_b32 v54, v65 offset:32
	v_add_nc_u32_e32 v65, 32, v65
	; wave barrier
	v_and_b32_e32 v66, exec_lo, v55
	s_delay_alu instid0(VALU_DEP_1) | instskip(SKIP_1) | instid1(VALU_DEP_2)
	v_mbcnt_lo_u32_b32 v55, v66, 0
	v_cmp_ne_u32_e64 s15, 0, v66
	v_cmp_eq_u32_e64 s14, 0, v55
	s_and_b32 s15, s15, s14
	s_wait_alu 0xfffe
	s_and_saveexec_b32 s14, s15
	s_cbranch_execz .LBB1537_41
; %bb.40:                               ;   in Loop: Header=BB1537_29 Depth=1
	s_wait_dscnt 0x0
	v_bcnt_u32_b32 v66, v66, v54
	ds_store_b32 v65, v66
.LBB1537_41:                            ;   in Loop: Header=BB1537_29 Depth=1
	s_wait_alu 0xfffe
	s_or_b32 exec_lo, exec_lo, s14
	v_bfe_u32 v66, v5, 16, 8
	; wave barrier
	s_delay_alu instid0(VALU_DEP_1) | instskip(NEXT) | instid1(VALU_DEP_1)
	v_lshrrev_b32_e32 v66, v10, v66
	v_and_b32_e32 v66, v66, v64
	s_delay_alu instid0(VALU_DEP_1) | instskip(SKIP_3) | instid1(VALU_DEP_2)
	v_add_co_u32 v67, s14, v66, -1
	s_wait_alu 0xf1ff
	v_cndmask_b32_e64 v68, 0, 1, s14
	v_lshl_add_u32 v66, v66, 3, v114
	v_cmp_ne_u32_e64 s14, 0, v68
	s_delay_alu instid0(VALU_DEP_2) | instskip(SKIP_1) | instid1(VALU_DEP_2)
	v_lshl_add_u32 v68, v66, 2, v12
	s_wait_alu 0xf1ff
	v_xor_b32_e32 v67, s14, v67
	ds_load_b32 v66, v68 offset:32
	v_add_nc_u32_e32 v68, 32, v68
	; wave barrier
	v_and_b32_e32 v69, exec_lo, v67
	s_delay_alu instid0(VALU_DEP_1) | instskip(SKIP_1) | instid1(VALU_DEP_2)
	v_mbcnt_lo_u32_b32 v67, v69, 0
	v_cmp_ne_u32_e64 s15, 0, v69
	v_cmp_eq_u32_e64 s14, 0, v67
	s_and_b32 s15, s15, s14
	s_wait_alu 0xfffe
	s_and_saveexec_b32 s14, s15
	s_cbranch_execz .LBB1537_43
; %bb.42:                               ;   in Loop: Header=BB1537_29 Depth=1
	s_wait_dscnt 0x0
	v_bcnt_u32_b32 v69, v69, v66
	ds_store_b32 v68, v69
.LBB1537_43:                            ;   in Loop: Header=BB1537_29 Depth=1
	s_wait_alu 0xfffe
	s_or_b32 exec_lo, exec_lo, s14
	v_lshrrev_b32_e32 v161, 24, v5
	; wave barrier
	s_delay_alu instid0(VALU_DEP_1) | instskip(NEXT) | instid1(VALU_DEP_1)
	v_lshrrev_b32_e32 v69, v10, v161
	v_and_b32_e32 v64, v69, v64
	s_delay_alu instid0(VALU_DEP_1) | instskip(SKIP_3) | instid1(VALU_DEP_2)
	v_add_co_u32 v69, s14, v64, -1
	s_wait_alu 0xf1ff
	v_cndmask_b32_e64 v70, 0, 1, s14
	v_lshl_add_u32 v64, v64, 3, v114
	v_cmp_ne_u32_e64 s14, 0, v70
	s_delay_alu instid0(VALU_DEP_2) | instskip(SKIP_1) | instid1(VALU_DEP_2)
	v_lshl_add_u32 v70, v64, 2, v12
	s_wait_alu 0xf1ff
	v_xor_b32_e32 v69, s14, v69
	ds_load_b32 v64, v70 offset:32
	v_add_nc_u32_e32 v70, 32, v70
	; wave barrier
	v_and_b32_e32 v71, exec_lo, v69
	s_delay_alu instid0(VALU_DEP_1) | instskip(SKIP_1) | instid1(VALU_DEP_2)
	v_mbcnt_lo_u32_b32 v69, v71, 0
	v_cmp_ne_u32_e64 s15, 0, v71
	v_cmp_eq_u32_e64 s14, 0, v69
	s_and_b32 s15, s15, s14
	s_wait_alu 0xfffe
	s_and_saveexec_b32 s14, s15
	s_cbranch_execz .LBB1537_45
; %bb.44:                               ;   in Loop: Header=BB1537_29 Depth=1
	s_wait_dscnt 0x0
	v_bcnt_u32_b32 v71, v71, v64
	ds_store_b32 v70, v71
.LBB1537_45:                            ;   in Loop: Header=BB1537_29 Depth=1
	s_wait_alu 0xfffe
	s_or_b32 exec_lo, exec_lo, s14
	; wave barrier
	s_wait_loadcnt_dscnt 0x0
	s_barrier_signal -1
	s_barrier_wait -1
	global_inv scope:SCOPE_SE
	ds_load_b32 v80, v9
	ds_load_b32 v81, v99
	;; [unrolled: 1-line block ×8, first 2 shown]
	s_wait_dscnt 0x6
	v_add_nc_u32_e32 v87, v81, v80
	s_wait_dscnt 0x4
	s_delay_alu instid0(VALU_DEP_1) | instskip(SKIP_1) | instid1(VALU_DEP_1)
	v_add3_u32 v87, v87, v82, v83
	s_wait_dscnt 0x2
	v_add3_u32 v87, v87, v84, v85
	s_wait_dscnt 0x0
	s_delay_alu instid0(VALU_DEP_1) | instskip(NEXT) | instid1(VALU_DEP_1)
	v_add3_u32 v86, v87, v71, v86
	v_mov_b32_dpp v87, v86 row_shr:1 row_mask:0xf bank_mask:0xf
	s_wait_alu 0xfffd
	s_delay_alu instid0(VALU_DEP_1) | instskip(NEXT) | instid1(VALU_DEP_1)
	v_cndmask_b32_e64 v87, v87, 0, vcc_lo
	v_add_nc_u32_e32 v86, v87, v86
	s_delay_alu instid0(VALU_DEP_1) | instskip(NEXT) | instid1(VALU_DEP_1)
	v_mov_b32_dpp v87, v86 row_shr:2 row_mask:0xf bank_mask:0xf
	v_cndmask_b32_e64 v87, 0, v87, s0
	s_delay_alu instid0(VALU_DEP_1) | instskip(NEXT) | instid1(VALU_DEP_1)
	v_add_nc_u32_e32 v86, v86, v87
	v_mov_b32_dpp v87, v86 row_shr:4 row_mask:0xf bank_mask:0xf
	s_delay_alu instid0(VALU_DEP_1) | instskip(NEXT) | instid1(VALU_DEP_1)
	v_cndmask_b32_e64 v87, 0, v87, s1
	v_add_nc_u32_e32 v86, v86, v87
	s_delay_alu instid0(VALU_DEP_1) | instskip(NEXT) | instid1(VALU_DEP_1)
	v_mov_b32_dpp v87, v86 row_shr:8 row_mask:0xf bank_mask:0xf
	v_cndmask_b32_e64 v87, 0, v87, s3
	s_delay_alu instid0(VALU_DEP_1) | instskip(SKIP_3) | instid1(VALU_DEP_1)
	v_add_nc_u32_e32 v86, v86, v87
	ds_swizzle_b32 v87, v86 offset:swizzle(BROADCAST,32,15)
	s_wait_dscnt 0x0
	v_cndmask_b32_e64 v87, v87, 0, s4
	v_add_nc_u32_e32 v86, v86, v87
	s_and_saveexec_b32 s14, s5
; %bb.46:                               ;   in Loop: Header=BB1537_29 Depth=1
	ds_store_b32 v116, v86
; %bb.47:                               ;   in Loop: Header=BB1537_29 Depth=1
	s_wait_alu 0xfffe
	s_or_b32 exec_lo, exec_lo, s14
	s_wait_loadcnt_dscnt 0x0
	s_barrier_signal -1
	s_barrier_wait -1
	global_inv scope:SCOPE_SE
	s_and_saveexec_b32 s14, s6
	s_cbranch_execz .LBB1537_49
; %bb.48:                               ;   in Loop: Header=BB1537_29 Depth=1
	ds_load_b32 v87, v118
	s_wait_dscnt 0x0
	v_mov_b32_dpp v96, v87 row_shr:1 row_mask:0xf bank_mask:0xf
	s_delay_alu instid0(VALU_DEP_1) | instskip(NEXT) | instid1(VALU_DEP_1)
	v_cndmask_b32_e64 v96, v96, 0, s11
	v_add_nc_u32_e32 v87, v96, v87
	s_delay_alu instid0(VALU_DEP_1) | instskip(NEXT) | instid1(VALU_DEP_1)
	v_mov_b32_dpp v96, v87 row_shr:2 row_mask:0xf bank_mask:0xf
	v_cndmask_b32_e64 v96, 0, v96, s12
	s_delay_alu instid0(VALU_DEP_1) | instskip(NEXT) | instid1(VALU_DEP_1)
	v_add_nc_u32_e32 v87, v87, v96
	v_mov_b32_dpp v96, v87 row_shr:4 row_mask:0xf bank_mask:0xf
	s_delay_alu instid0(VALU_DEP_1) | instskip(NEXT) | instid1(VALU_DEP_1)
	v_cndmask_b32_e64 v96, 0, v96, s13
	v_add_nc_u32_e32 v87, v87, v96
	ds_store_b32 v118, v87
.LBB1537_49:                            ;   in Loop: Header=BB1537_29 Depth=1
	s_wait_alu 0xfffe
	s_or_b32 exec_lo, exec_lo, s14
	v_mov_b32_e32 v87, 0
	s_wait_loadcnt_dscnt 0x0
	s_barrier_signal -1
	s_barrier_wait -1
	global_inv scope:SCOPE_SE
	s_and_saveexec_b32 s14, s7
; %bb.50:                               ;   in Loop: Header=BB1537_29 Depth=1
	ds_load_b32 v87, v128
; %bb.51:                               ;   in Loop: Header=BB1537_29 Depth=1
	s_wait_alu 0xfffe
	s_or_b32 exec_lo, exec_lo, s14
	s_wait_dscnt 0x0
	v_dual_mov_b32 v177, v4 :: v_dual_add_nc_u32 v86, v87, v86
	v_lshrrev_b64 v[96:97], 24, v[4:5]
	v_add_nc_u32_e32 v10, 8, v10
	v_lshrrev_b32_e32 v178, 8, v4
	ds_bpermute_b32 v86, v115, v86
	v_lshrrev_b32_e32 v181, 16, v4
	v_lshrrev_b32_e32 v179, 8, v5
	;; [unrolled: 1-line block ×3, first 2 shown]
	v_cmp_lt_u32_e64 s14, v10, v11
	s_mov_b32 s20, -1
                                        ; implicit-def: $vgpr182
	s_wait_dscnt 0x0
	v_cndmask_b32_e64 v86, v86, v87, s2
	s_delay_alu instid0(VALU_DEP_1) | instskip(NEXT) | instid1(VALU_DEP_1)
	v_cndmask_b32_e64 v86, v86, 0, s10
	v_add_nc_u32_e32 v80, v86, v80
	s_delay_alu instid0(VALU_DEP_1) | instskip(SKIP_4) | instid1(VALU_DEP_1)
	v_add_nc_u32_e32 v81, v80, v81
	ds_store_b32 v9, v86
	ds_store_b32 v99, v80
	;; [unrolled: 1-line block ×3, first 2 shown]
	v_add_nc_u32_e32 v82, v81, v82
	v_add_nc_u32_e32 v83, v82, v83
	s_delay_alu instid0(VALU_DEP_1) | instskip(NEXT) | instid1(VALU_DEP_1)
	v_add_nc_u32_e32 v84, v83, v84
	v_add_nc_u32_e32 v85, v84, v85
	s_delay_alu instid0(VALU_DEP_1)
	v_add_nc_u32_e32 v71, v85, v71
	ds_store_b32 v101, v82
	ds_store_b32 v102, v83
	;; [unrolled: 1-line block ×5, first 2 shown]
	s_wait_loadcnt_dscnt 0x0
	s_barrier_signal -1
	s_barrier_wait -1
	global_inv scope:SCOPE_SE
	ds_load_b32 v33, v33
	ds_load_b32 v36, v36
	;; [unrolled: 1-line block ×8, first 2 shown]
	s_wait_loadcnt_dscnt 0x0
	v_add_nc_u32_e32 v176, v33, v32
	v_add3_u32 v167, v35, v34, v36
	v_add3_u32 v166, v38, v37, v39
	;; [unrolled: 1-line block ×7, first 2 shown]
	v_add_co_u32 v70, s15, v12, v176
	s_wait_alu 0xf1ff
	v_add_co_ci_u32_e64 v71, null, 0, v13, s15
	v_add_co_u32 v64, s15, v12, v167
	s_wait_alu 0xf1ff
	v_add_co_ci_u32_e64 v65, null, 0, v13, s15
	;; [unrolled: 3-line block ×8, first 2 shown]
                                        ; implicit-def: $vgpr32_vgpr33
                                        ; implicit-def: $vgpr34_vgpr35
                                        ; implicit-def: $vgpr36_vgpr37
                                        ; implicit-def: $vgpr38_vgpr39
                                        ; implicit-def: $vgpr48_vgpr49
                                        ; implicit-def: $vgpr50_vgpr51
                                        ; implicit-def: $vgpr52_vgpr53
                                        ; implicit-def: $vgpr54_vgpr55
	s_and_saveexec_b32 s15, s14
	s_cbranch_execz .LBB1537_28
; %bb.52:                               ;   in Loop: Header=BB1537_29 Depth=1
	v_mad_co_u64_u32 v[32:33], null, v176, 7, v[70:71]
	v_mad_co_u64_u32 v[33:34], null, v167, 7, v[64:65]
	;; [unrolled: 1-line block ×4, first 2 shown]
	s_barrier_signal -1
	s_barrier_wait -1
	global_inv scope:SCOPE_SE
	ds_store_b8 v70, v4
	ds_store_b8 v64, v178
	ds_store_b8 v66, v181
	ds_store_b8 v68, v96
	ds_store_b8 v80, v5
	ds_store_b8 v82, v179
	ds_store_b8 v84, v180
	ds_store_b8 v86, v161
	s_wait_loadcnt_dscnt 0x0
	s_barrier_signal -1
	s_barrier_wait -1
	global_inv scope:SCOPE_SE
	ds_load_u8 v4, v131
	ds_load_u8 v182, v130
	;; [unrolled: 1-line block ×8, first 2 shown]
	v_mad_co_u64_u32 v[36:37], null, v164, 7, v[80:81]
	v_mad_co_u64_u32 v[37:38], null, v163, 7, v[82:83]
	;; [unrolled: 1-line block ×4, first 2 shown]
	s_wait_loadcnt_dscnt 0x0
	s_barrier_signal -1
	s_barrier_wait -1
	global_inv scope:SCOPE_SE
	ds_store_b64 v32, v[30:31]
	ds_store_b64 v33, v[17:18]
	ds_store_b64 v34, v[15:16]
	ds_store_b64 v35, v[28:29]
	ds_store_b64 v36, v[23:24]
	ds_store_b64 v37, v[21:22]
	ds_store_b64 v38, v[19:20]
	ds_store_b64 v48, v[26:27]
	s_wait_loadcnt_dscnt 0x0
	s_barrier_signal -1
	s_barrier_wait -1
	global_inv scope:SCOPE_SE
	ds_load_b64 v[32:33], v132
	ds_load_b64 v[34:35], v145
	;; [unrolled: 1-line block ×8, first 2 shown]
	v_perm_b32 v183, v192, v183, 0xc0c0004
	v_perm_b32 v4, v182, v4, 0xc0c0004
	;; [unrolled: 1-line block ×4, first 2 shown]
	v_add_nc_u32_e32 v160, -8, v160
	s_xor_b32 s20, exec_lo, -1
	v_lshl_or_b32 v4, v4, 16, v183
	s_wait_loadcnt_dscnt 0x0
	v_lshl_or_b32 v182, v192, 16, v182
	s_barrier_signal -1
	s_barrier_wait -1
	global_inv scope:SCOPE_SE
	s_branch .LBB1537_28
.LBB1537_53:
	s_or_b32 exec_lo, exec_lo, s19
	v_mad_co_u64_u32 v[9:10], null, v176, 7, v[70:71]
	v_add_nc_u32_e32 v50, v12, v14
	s_barrier_signal -1
	s_barrier_wait -1
	s_wait_loadcnt 0x0
	global_inv scope:SCOPE_SE
	ds_store_b8 v70, v177
	ds_store_b8 v64, v178
	;; [unrolled: 1-line block ×8, first 2 shown]
	s_wait_loadcnt_dscnt 0x0
	s_barrier_signal -1
	s_barrier_wait -1
	global_inv scope:SCOPE_SE
	ds_load_u8 v37, v50
	ds_load_u8 v36, v50 offset:256
	ds_load_u8 v35, v50 offset:512
	;; [unrolled: 1-line block ×7, first 2 shown]
	s_wait_loadcnt_dscnt 0x0
	s_barrier_signal -1
	s_barrier_wait -1
	global_inv scope:SCOPE_SE
	ds_store_b64 v9, v[30:31]
	v_mad_co_u64_u32 v[9:10], null, v167, 7, v[64:65]
	v_mad_co_u64_u32 v[10:11], null, v166, 7, v[66:67]
	;; [unrolled: 1-line block ×3, first 2 shown]
	ds_store_b64 v9, v[17:18]
	ds_store_b64 v10, v[15:16]
	ds_store_b64 v11, v[28:29]
	v_mul_u32_u24_e32 v9, 7, v14
	v_mad_co_u64_u32 v[12:13], null, v164, 7, v[80:81]
	v_mad_co_u64_u32 v[30:31], null, v163, 7, v[82:83]
	;; [unrolled: 1-line block ×4, first 2 shown]
	v_add_nc_u32_e32 v9, v50, v9
	ds_store_b64 v12, v[23:24]
	ds_store_b64 v30, v[21:22]
	;; [unrolled: 1-line block ×4, first 2 shown]
	s_wait_loadcnt_dscnt 0x0
	s_barrier_signal -1
	s_barrier_wait -1
	global_inv scope:SCOPE_SE
	v_mov_b32_e32 v26, 0
	ds_load_2addr_stride64_b64 v[21:24], v9 offset1:4
	ds_load_2addr_stride64_b64 v[17:20], v9 offset0:8 offset1:12
	ds_load_2addr_stride64_b64 v[13:16], v9 offset0:16 offset1:20
	;; [unrolled: 1-line block ×3, first 2 shown]
	v_add_co_u32 v2, vcc_lo, v2, v8
	s_wait_alu 0xfffd
	v_add_co_ci_u32_e64 v3, null, 0, v3, vcc_lo
	s_wait_loadcnt_dscnt 0x0
	s_delay_alu instid0(VALU_DEP_2) | instskip(SKIP_1) | instid1(VALU_DEP_2)
	v_add_co_u32 v2, vcc_lo, v2, v25
	s_wait_alu 0xfffd
	v_add_co_ci_u32_e64 v3, null, 0, v3, vcc_lo
	v_cmp_lt_u32_e32 vcc_lo, v25, v98
	s_barrier_signal -1
	s_barrier_wait -1
	global_inv scope:SCOPE_SE
	s_and_saveexec_b32 s0, vcc_lo
	s_cbranch_execz .LBB1537_55
; %bb.54:
	v_xor_b32_e32 v8, 1, v37
	flat_store_b8 v[2:3], v8
.LBB1537_55:
	s_wait_alu 0xfffe
	s_or_b32 exec_lo, exec_lo, s0
	v_add_nc_u32_e32 v8, 0x100, v25
	s_delay_alu instid0(VALU_DEP_1)
	v_cmp_lt_u32_e64 s0, v8, v98
	s_and_saveexec_b32 s1, s0
	s_cbranch_execz .LBB1537_57
; %bb.56:
	v_xor_b32_e32 v8, 1, v36
	flat_store_b8 v[2:3], v8 offset:256
.LBB1537_57:
	s_wait_alu 0xfffe
	s_or_b32 exec_lo, exec_lo, s1
	v_add_nc_u32_e32 v8, 0x200, v25
	s_delay_alu instid0(VALU_DEP_1)
	v_cmp_lt_u32_e64 s1, v8, v98
	s_and_saveexec_b32 s2, s1
	s_cbranch_execz .LBB1537_59
; %bb.58:
	v_xor_b32_e32 v8, 1, v35
	flat_store_b8 v[2:3], v8 offset:512
.LBB1537_59:
	;; [unrolled: 11-line block ×7, first 2 shown]
	s_wait_alu 0xfffe
	s_or_b32 exec_lo, exec_lo, s7
	v_lshlrev_b64_e32 v[2:3], 3, v[25:26]
	v_add_co_u32 v0, s7, v6, v0
	s_wait_alu 0xf1ff
	v_add_co_ci_u32_e64 v1, null, v7, v1, s7
	s_delay_alu instid0(VALU_DEP_2) | instskip(SKIP_1) | instid1(VALU_DEP_2)
	v_add_co_u32 v0, s7, v0, v2
	s_wait_alu 0xf1ff
	v_add_co_ci_u32_e64 v1, null, v1, v3, s7
	s_and_saveexec_b32 s7, vcc_lo
	s_cbranch_execnz .LBB1537_119
; %bb.70:
	s_wait_alu 0xfffe
	s_or_b32 exec_lo, exec_lo, s7
	s_and_saveexec_b32 s7, s0
	s_cbranch_execnz .LBB1537_120
.LBB1537_71:
	s_wait_alu 0xfffe
	s_or_b32 exec_lo, exec_lo, s7
	s_and_saveexec_b32 s0, s1
	s_cbranch_execnz .LBB1537_121
.LBB1537_72:
	s_wait_alu 0xfffe
	s_or_b32 exec_lo, exec_lo, s0
	s_and_saveexec_b32 s0, s2
	s_cbranch_execnz .LBB1537_122
.LBB1537_73:
	s_wait_alu 0xfffe
	s_or_b32 exec_lo, exec_lo, s0
	s_and_saveexec_b32 s0, s3
	s_cbranch_execnz .LBB1537_123
.LBB1537_74:
	s_wait_alu 0xfffe
	s_or_b32 exec_lo, exec_lo, s0
	s_and_saveexec_b32 s0, s4
	s_cbranch_execnz .LBB1537_124
.LBB1537_75:
	s_wait_alu 0xfffe
	s_or_b32 exec_lo, exec_lo, s0
	s_and_saveexec_b32 s0, s5
	s_cbranch_execnz .LBB1537_125
.LBB1537_76:
	s_wait_alu 0xfffe
	s_or_b32 exec_lo, exec_lo, s0
	s_and_saveexec_b32 s0, s6
	s_cbranch_execz .LBB1537_78
.LBB1537_77:
	flat_store_b64 v[0:1], v[11:12] offset:14336
.LBB1537_78:
	s_wait_alu 0xfffe
	s_or_b32 exec_lo, exec_lo, s0
                                        ; implicit-def: $vgpr98
                                        ; implicit-def: $vgpr0
                                        ; implicit-def: $vgpr1
                                        ; implicit-def: $vgpr2
                                        ; implicit-def: $vgpr3
                                        ; implicit-def: $vgpr4
                                        ; implicit-def: $vgpr5
                                        ; implicit-def: $vgpr6
                                        ; implicit-def: $vgpr7
                                        ; implicit-def: $vgpr8
                                        ; implicit-def: $vgpr10
                                        ; implicit-def: $vgpr11
                                        ; implicit-def: $vgpr12
                                        ; implicit-def: $vgpr13
                                        ; implicit-def: $vgpr9
                                        ; implicit-def: $vgpr15
                                        ; implicit-def: $vgpr14
                                        ; implicit-def: $vgpr30
.LBB1537_79:
	s_wait_alu 0xfffe
	s_and_not1_saveexec_b32 s0, s17
	s_cbranch_execz .LBB1537_199
; %bb.80:
	s_mov_b32 s0, exec_lo
	v_cmpx_lt_u32_e32 0x200, v98
	s_wait_alu 0xfffe
	s_xor_b32 s17, exec_lo, s0
	s_cbranch_execz .LBB1537_140
; %bb.81:
	s_load_b64 s[0:1], s[8:9], 0x0
	s_and_b32 s2, ttmp7, 0xffff
	s_mov_b32 s3, 0
	v_add_co_u32 v0, vcc_lo, v0, v8
	s_wait_alu 0xfffd
	v_add_co_ci_u32_e64 v1, null, 0, v1, vcc_lo
	s_delay_alu instid0(VALU_DEP_2) | instskip(SKIP_1) | instid1(VALU_DEP_2)
	v_add_co_u32 v0, vcc_lo, v0, v30
	s_wait_alu 0xfffd
	v_add_co_ci_u32_e64 v1, null, 0, v1, vcc_lo
	s_wait_kmcnt 0x0
	s_wait_alu 0xfffe
	s_cmp_lt_u32 s2, s1
	s_cselect_b32 s2, 14, 20
	s_cmp_lt_u32 ttmp9, s0
	s_wait_alu 0xfffe
	s_add_nc_u64 s[4:5], s[8:9], s[2:3]
	s_cselect_b32 s2, 12, 18
	s_load_u16 s4, s[4:5], 0x0
	s_add_nc_u64 s[0:1], s[8:9], s[2:3]
	s_load_u16 s0, s[0:1], 0x0
	s_wait_kmcnt 0x0
	v_mad_u32_u24 v9, v15, s4, v9
	s_delay_alu instid0(VALU_DEP_1) | instskip(SKIP_1) | instid1(VALU_DEP_1)
	v_mad_co_u64_u32 v[17:18], null, v9, s0, v[14:15]
	v_mov_b32_e32 v9, 0
	v_dual_mov_b32 v19, v9 :: v_dual_mov_b32 v20, v9
	s_delay_alu instid0(VALU_DEP_3) | instskip(NEXT) | instid1(VALU_DEP_1)
	v_dual_mov_b32 v16, v9 :: v_dual_lshlrev_b32 v15, 2, v17
	v_dual_mov_b32 v18, v9 :: v_dual_and_b32 v15, 0xffffff80, v15
	s_delay_alu instid0(VALU_DEP_1) | instskip(SKIP_3) | instid1(VALU_DEP_3)
	v_or_b32_e32 v22, v15, v30
	v_add_co_u32 v0, vcc_lo, v0, v15
	s_wait_alu 0xfffd
	v_add_co_ci_u32_e64 v1, null, 0, v1, vcc_lo
	v_cmp_lt_u32_e32 vcc_lo, v22, v98
	s_and_saveexec_b32 s0, vcc_lo
	s_cbranch_execz .LBB1537_83
; %bb.82:
	flat_load_u8 v18, v[0:1]
	v_dual_mov_b32 v19, v9 :: v_dual_mov_b32 v20, v9
.LBB1537_83:
	s_wait_alu 0xfffe
	s_or_b32 exec_lo, exec_lo, s0
	v_or_b32_e32 v21, 32, v22
	s_delay_alu instid0(VALU_DEP_1)
	v_cmp_lt_u32_e64 s0, v21, v98
	v_mov_b32_e32 v21, v9
	s_and_saveexec_b32 s1, s0
	s_cbranch_execz .LBB1537_85
; %bb.84:
	flat_load_u8 v21, v[0:1] offset:32
.LBB1537_85:
	s_wait_alu 0xfffe
	s_or_b32 exec_lo, exec_lo, s1
	v_or_b32_e32 v23, 64, v22
	s_delay_alu instid0(VALU_DEP_1)
	v_cmp_lt_u32_e64 s1, v23, v98
	s_and_saveexec_b32 s2, s1
	s_cbranch_execz .LBB1537_87
; %bb.86:
	flat_load_u8 v19, v[0:1] offset:64
.LBB1537_87:
	s_wait_alu 0xfffe
	s_or_b32 exec_lo, exec_lo, s2
	v_or_b32_e32 v22, 0x60, v22
	s_delay_alu instid0(VALU_DEP_1)
	v_cmp_lt_u32_e64 s2, v22, v98
	s_and_saveexec_b32 s3, s2
	s_cbranch_execz .LBB1537_89
; %bb.88:
	flat_load_u8 v20, v[0:1] offset:96
.LBB1537_89:
	s_wait_alu 0xfffe
	s_or_b32 exec_lo, exec_lo, s3
	v_lshlrev_b64_e32 v[0:1], 3, v[8:9]
	v_lshlrev_b32_e32 v9, 3, v30
	s_delay_alu instid0(VALU_DEP_2) | instskip(SKIP_1) | instid1(VALU_DEP_3)
	v_add_co_u32 v22, s3, v4, v0
	s_wait_alu 0xf1ff
	v_add_co_ci_u32_e64 v23, null, v5, v1, s3
	v_lshlrev_b64_e32 v[4:5], 3, v[15:16]
	s_delay_alu instid0(VALU_DEP_3) | instskip(SKIP_1) | instid1(VALU_DEP_3)
	v_add_co_u32 v9, s3, v22, v9
	s_wait_alu 0xf1ff
	v_add_co_ci_u32_e64 v15, null, 0, v23, s3
                                        ; implicit-def: $vgpr22_vgpr23
	s_delay_alu instid0(VALU_DEP_2) | instskip(SKIP_1) | instid1(VALU_DEP_2)
	v_add_co_u32 v4, s3, v9, v4
	s_wait_alu 0xf1ff
	v_add_co_ci_u32_e64 v5, null, v15, v5, s3
	s_and_saveexec_b32 s3, vcc_lo
	s_cbranch_execnz .LBB1537_164
; %bb.90:
	s_wait_alu 0xfffe
	s_or_b32 exec_lo, exec_lo, s3
                                        ; implicit-def: $vgpr24_vgpr25
	s_and_saveexec_b32 s3, s0
	s_cbranch_execnz .LBB1537_165
.LBB1537_91:
	s_wait_alu 0xfffe
	s_or_b32 exec_lo, exec_lo, s3
                                        ; implicit-def: $vgpr26_vgpr27
	s_and_saveexec_b32 s0, s1
	s_cbranch_execnz .LBB1537_166
.LBB1537_92:
	s_wait_alu 0xfffe
	s_or_b32 exec_lo, exec_lo, s0
                                        ; implicit-def: $vgpr28_vgpr29
	s_and_saveexec_b32 s0, s2
	s_cbranch_execz .LBB1537_94
.LBB1537_93:
	flat_load_b64 v[28:29], v[4:5] offset:768
.LBB1537_94:
	s_wait_alu 0xfffe
	s_or_b32 exec_lo, exec_lo, s0
	s_wait_loadcnt_dscnt 0x0
	v_dual_mov_b32 v67, 0 :: v_dual_and_b32 v4, 1, v21
	v_and_b32_e32 v5, 1, v20
	v_and_b32_e32 v15, 1, v18
	;; [unrolled: 1-line block ×3, first 2 shown]
	s_delay_alu instid0(VALU_DEP_4)
	v_cmp_eq_u32_e32 vcc_lo, 1, v4
	v_lshrrev_b32_e32 v55, 5, v17
	v_cmp_eq_u32_e64 s0, 1, v5
	v_cmp_eq_u32_e64 s2, 1, v15
	;; [unrolled: 1-line block ×3, first 2 shown]
	s_xor_b32 s3, vcc_lo, -1
	v_cmp_lt_u32_e64 s7, 31, v14
	s_xor_b32 s0, s0, -1
	s_wait_alu 0xfffe
	v_cndmask_b32_e64 v4, 0, 1, s3
	v_cndmask_b32_e64 v5, 0, 1, s0
	s_xor_b32 s0, s2, -1
	v_sub_co_u32 v16, s2, v30, 1
	s_wait_alu 0xfffe
	v_cndmask_b32_e64 v9, 0, 1, s0
	s_xor_b32 s0, s1, -1
	v_lshlrev_b16 v4, 8, v4
	s_wait_alu 0xfffe
	v_cndmask_b32_e64 v15, 0, 1, s0
	v_lshlrev_b16 v5, 8, v5
	v_cmp_gt_i32_e64 s6, 0, v16
	s_getpc_b64 s[0:1]
	s_wait_alu 0xfffe
	s_sext_i32_i16 s1, s1
	s_add_co_u32 s0, s0, _ZN7rocprim17ROCPRIM_400000_NS16block_radix_sortIbLj256ELj4ElLj1ELj1ELj8ELNS0_26block_radix_rank_algorithmE2ELNS0_18block_padding_hintE2ELNS0_4arch9wavefront6targetE0EE19radix_bits_per_passE@rel32@lo+12
	s_wait_alu 0xfffe
	s_add_co_ci_u32 s1, s1, _ZN7rocprim17ROCPRIM_400000_NS16block_radix_sortIbLj256ELj4ElLj1ELj1ELj8ELNS0_26block_radix_rank_algorithmE2ELNS0_18block_padding_hintE2ELNS0_4arch9wavefront6targetE0EE19radix_bits_per_passE@rel32@hi+24
	v_or_b32_e32 v4, v9, v4
	s_load_b32 s18, s[0:1], 0x0
	v_or_b32_e32 v5, v15, v5
	v_lshl_add_u32 v15, v14, 5, v12
	v_cmp_eq_u32_e64 s10, 0, v14
	v_and_b32_e32 v4, 0xffff, v4
	v_sub_nc_u32_e32 v86, v11, v10
	v_lshlrev_b32_e32 v5, 16, v5
	v_add_nc_u32_e32 v9, 32, v15
	v_add_nc_u32_e32 v48, 36, v15
	;; [unrolled: 1-line block ×4, first 2 shown]
	v_or_b32_e32 v64, v4, v5
	v_and_b32_e32 v4, 0x3e0, v14
	v_add_nc_u32_e32 v51, 48, v15
	v_add_nc_u32_e32 v52, 52, v15
	v_and_b32_e32 v5, 15, v30
	v_add_nc_u32_e32 v53, 56, v15
	v_add_nc_u32_e32 v54, 60, v15
	v_min_u32_e32 v4, 0xe0, v4
	v_and_b32_e32 v15, 16, v30
	v_cmp_eq_u32_e32 vcc_lo, 0, v5
	v_cmp_lt_u32_e64 s0, 1, v5
	v_cmp_lt_u32_e64 s1, 3, v5
	v_or_b32_e32 v4, 31, v4
	v_cmp_lt_u32_e64 s3, 7, v5
	v_cmp_eq_u32_e64 s4, 0, v15
	v_cndmask_b32_e64 v5, v16, v30, s6
	v_lshlrev_b32_e32 v15, 2, v14
	v_cmp_eq_u32_e64 s5, v14, v4
	v_lshrrev_b32_e32 v4, 3, v14
	v_cmp_gt_u32_e64 s6, 8, v14
	v_lshlrev_b32_e32 v65, 2, v5
	v_and_or_b32 v5, 0xf80, v15, v30
	v_add_nc_u32_e32 v69, v12, v15
	v_and_b32_e32 v4, 0x7c, v4
	s_mov_b32 s19, 0
	s_wait_storecnt 0x0
	v_add_nc_u32_e32 v68, v12, v5
	v_mul_u32_u24_e32 v5, 7, v5
	v_add_nc_u32_e32 v66, v12, v4
	v_and_b32_e32 v4, 7, v30
	s_barrier_signal -1
	v_add_nc_u32_e32 v80, 32, v68
	v_add_nc_u32_e32 v70, v68, v5
	v_add_nc_u32_e32 v71, -4, v66
	v_cmp_eq_u32_e64 s11, 0, v4
	v_cmp_lt_u32_e64 s12, 1, v4
	v_cmp_lt_u32_e64 s13, 3, v4
	v_add_nc_u32_e32 v81, 64, v68
	v_add_nc_u32_e32 v82, 0x60, v68
	;; [unrolled: 1-line block ×5, first 2 shown]
	s_barrier_wait -1
	global_inv scope:SCOPE_SE
	s_branch .LBB1537_96
.LBB1537_95:                            ;   in Loop: Header=BB1537_96 Depth=1
	s_wait_alu 0xfffe
	s_or_b32 exec_lo, exec_lo, s15
	s_delay_alu instid0(SALU_CYCLE_1)
	s_and_b32 s14, exec_lo, s20
	s_wait_alu 0xfffe
	s_or_b32 s19, s14, s19
	s_wait_alu 0xfffe
	s_and_not1_b32 exec_lo, exec_lo, s19
	s_cbranch_execz .LBB1537_126
.LBB1537_96:                            ; =>This Inner Loop Header: Depth=1
	s_wait_kmcnt 0x0
	v_min_u32_e32 v4, s18, v86
	v_dual_mov_b32 v18, v22 :: v_dual_and_b32 v5, 0xff, v64
	v_mov_b32_e32 v19, v23
	v_mov_b32_e32 v15, v24
	s_delay_alu instid0(VALU_DEP_4) | instskip(NEXT) | instid1(VALU_DEP_4)
	v_lshlrev_b32_e64 v4, v4, -1
	v_lshrrev_b32_e32 v5, v10, v5
	v_mov_b32_e32 v16, v25
	ds_store_b32 v9, v67
	ds_store_b32 v48, v67
	ds_store_b32 v49, v67
	ds_store_b32 v50, v67
	ds_store_b32 v51, v67
	v_not_b32_e32 v30, v4
	ds_store_b32 v52, v67
	ds_store_b32 v53, v67
	;; [unrolled: 1-line block ×3, first 2 shown]
	s_wait_loadcnt_dscnt 0x0
	s_barrier_signal -1
	v_dual_mov_b32 v4, v26 :: v_dual_and_b32 v31, v5, v30
	s_barrier_wait -1
	global_inv scope:SCOPE_SE
	v_add_co_u32 v32, s14, v31, -1
	s_wait_alu 0xf1ff
	v_cndmask_b32_e64 v20, 0, 1, s14
	v_lshlrev_b32_e32 v23, 3, v31
	; wave barrier
	s_delay_alu instid0(VALU_DEP_2) | instskip(NEXT) | instid1(VALU_DEP_2)
	v_cmp_ne_u32_e64 s14, 0, v20
	v_add_lshl_u32 v23, v23, v55, 2
	v_dual_mov_b32 v20, v28 :: v_dual_mov_b32 v21, v29
	s_wait_alu 0xf1ff
	s_delay_alu instid0(VALU_DEP_3) | instskip(SKIP_2) | instid1(VALU_DEP_3)
	v_xor_b32_e32 v22, s14, v32
	v_mov_b32_e32 v5, v27
	v_add_co_u32 v23, null, v12, v23
	v_and_b32_e32 v24, exec_lo, v22
	s_delay_alu instid0(VALU_DEP_2) | instskip(NEXT) | instid1(VALU_DEP_2)
	v_add_co_u32 v23, null, v23, 32
	v_mbcnt_lo_u32_b32 v22, v24, 0
	v_cmp_ne_u32_e64 s15, 0, v24
	s_delay_alu instid0(VALU_DEP_2)
	v_cmp_eq_u32_e64 s14, 0, v22
	s_and_b32 s15, s15, s14
	s_wait_alu 0xfffe
	s_and_saveexec_b32 s14, s15
; %bb.97:                               ;   in Loop: Header=BB1537_96 Depth=1
	v_bcnt_u32_b32 v24, v24, 0
	ds_store_b32 v23, v24
; %bb.98:                               ;   in Loop: Header=BB1537_96 Depth=1
	s_wait_alu 0xfffe
	s_or_b32 exec_lo, exec_lo, s14
	v_bfe_u32 v24, v64, 8, 8
	; wave barrier
	s_delay_alu instid0(VALU_DEP_1) | instskip(NEXT) | instid1(VALU_DEP_1)
	v_lshrrev_b32_e32 v24, v10, v24
	v_and_b32_e32 v24, v24, v30
	s_delay_alu instid0(VALU_DEP_1) | instskip(SKIP_3) | instid1(VALU_DEP_2)
	v_add_co_u32 v25, s14, v24, -1
	s_wait_alu 0xf1ff
	v_cndmask_b32_e64 v26, 0, 1, s14
	v_lshl_add_u32 v24, v24, 3, v55
	v_cmp_ne_u32_e64 s14, 0, v26
	s_delay_alu instid0(VALU_DEP_2) | instskip(SKIP_1) | instid1(VALU_DEP_2)
	v_lshl_add_u32 v26, v24, 2, v12
	s_wait_alu 0xf1ff
	v_xor_b32_e32 v25, s14, v25
	ds_load_b32 v24, v26 offset:32
	v_add_nc_u32_e32 v26, 32, v26
	; wave barrier
	v_and_b32_e32 v27, exec_lo, v25
	s_delay_alu instid0(VALU_DEP_1) | instskip(SKIP_1) | instid1(VALU_DEP_2)
	v_mbcnt_lo_u32_b32 v25, v27, 0
	v_cmp_ne_u32_e64 s15, 0, v27
	v_cmp_eq_u32_e64 s14, 0, v25
	s_and_b32 s15, s15, s14
	s_wait_alu 0xfffe
	s_and_saveexec_b32 s14, s15
	s_cbranch_execz .LBB1537_100
; %bb.99:                               ;   in Loop: Header=BB1537_96 Depth=1
	s_wait_dscnt 0x0
	v_bcnt_u32_b32 v27, v27, v24
	ds_store_b32 v26, v27
.LBB1537_100:                           ;   in Loop: Header=BB1537_96 Depth=1
	s_wait_alu 0xfffe
	s_or_b32 exec_lo, exec_lo, s14
	v_bfe_u32 v27, v64, 16, 8
	; wave barrier
	s_delay_alu instid0(VALU_DEP_1) | instskip(NEXT) | instid1(VALU_DEP_1)
	v_lshrrev_b32_e32 v27, v10, v27
	v_and_b32_e32 v27, v27, v30
	s_delay_alu instid0(VALU_DEP_1) | instskip(SKIP_3) | instid1(VALU_DEP_2)
	v_add_co_u32 v28, s14, v27, -1
	s_wait_alu 0xf1ff
	v_cndmask_b32_e64 v29, 0, 1, s14
	v_lshl_add_u32 v27, v27, 3, v55
	v_cmp_ne_u32_e64 s14, 0, v29
	s_delay_alu instid0(VALU_DEP_2) | instskip(SKIP_1) | instid1(VALU_DEP_2)
	v_lshl_add_u32 v29, v27, 2, v12
	s_wait_alu 0xf1ff
	v_xor_b32_e32 v28, s14, v28
	ds_load_b32 v27, v29 offset:32
	v_add_nc_u32_e32 v29, 32, v29
	; wave barrier
	v_and_b32_e32 v31, exec_lo, v28
	s_delay_alu instid0(VALU_DEP_1) | instskip(SKIP_1) | instid1(VALU_DEP_2)
	v_mbcnt_lo_u32_b32 v28, v31, 0
	v_cmp_ne_u32_e64 s15, 0, v31
	v_cmp_eq_u32_e64 s14, 0, v28
	s_and_b32 s15, s15, s14
	s_wait_alu 0xfffe
	s_and_saveexec_b32 s14, s15
	s_cbranch_execz .LBB1537_102
; %bb.101:                              ;   in Loop: Header=BB1537_96 Depth=1
	s_wait_dscnt 0x0
	v_bcnt_u32_b32 v31, v31, v27
	ds_store_b32 v29, v31
.LBB1537_102:                           ;   in Loop: Header=BB1537_96 Depth=1
	s_wait_alu 0xfffe
	s_or_b32 exec_lo, exec_lo, s14
	v_lshrrev_b32_e32 v87, 24, v64
	; wave barrier
	s_delay_alu instid0(VALU_DEP_1) | instskip(NEXT) | instid1(VALU_DEP_1)
	v_lshrrev_b32_e32 v31, v10, v87
	v_and_b32_e32 v30, v31, v30
	s_delay_alu instid0(VALU_DEP_1) | instskip(SKIP_3) | instid1(VALU_DEP_2)
	v_add_co_u32 v31, s14, v30, -1
	s_wait_alu 0xf1ff
	v_cndmask_b32_e64 v32, 0, 1, s14
	v_lshl_add_u32 v30, v30, 3, v55
	v_cmp_ne_u32_e64 s14, 0, v32
	s_delay_alu instid0(VALU_DEP_2) | instskip(SKIP_1) | instid1(VALU_DEP_2)
	v_lshl_add_u32 v32, v30, 2, v12
	s_wait_alu 0xf1ff
	v_xor_b32_e32 v31, s14, v31
	ds_load_b32 v30, v32 offset:32
	v_add_nc_u32_e32 v32, 32, v32
	; wave barrier
	v_and_b32_e32 v33, exec_lo, v31
	s_delay_alu instid0(VALU_DEP_1) | instskip(SKIP_1) | instid1(VALU_DEP_2)
	v_mbcnt_lo_u32_b32 v31, v33, 0
	v_cmp_ne_u32_e64 s15, 0, v33
	v_cmp_eq_u32_e64 s14, 0, v31
	s_and_b32 s15, s15, s14
	s_wait_alu 0xfffe
	s_and_saveexec_b32 s14, s15
	s_cbranch_execz .LBB1537_104
; %bb.103:                              ;   in Loop: Header=BB1537_96 Depth=1
	s_wait_dscnt 0x0
	v_bcnt_u32_b32 v33, v33, v30
	ds_store_b32 v32, v33
.LBB1537_104:                           ;   in Loop: Header=BB1537_96 Depth=1
	s_wait_alu 0xfffe
	s_or_b32 exec_lo, exec_lo, s14
	; wave barrier
	s_wait_loadcnt_dscnt 0x0
	s_barrier_signal -1
	s_barrier_wait -1
	global_inv scope:SCOPE_SE
	ds_load_b32 v34, v9
	ds_load_b32 v35, v48
	;; [unrolled: 1-line block ×8, first 2 shown]
	s_wait_dscnt 0x6
	v_add_nc_u32_e32 v97, v35, v34
	s_wait_dscnt 0x4
	s_delay_alu instid0(VALU_DEP_1) | instskip(SKIP_1) | instid1(VALU_DEP_1)
	v_add3_u32 v97, v97, v36, v37
	s_wait_dscnt 0x2
	v_add3_u32 v97, v97, v38, v39
	s_wait_dscnt 0x0
	s_delay_alu instid0(VALU_DEP_1) | instskip(NEXT) | instid1(VALU_DEP_1)
	v_add3_u32 v96, v97, v33, v96
	v_mov_b32_dpp v97, v96 row_shr:1 row_mask:0xf bank_mask:0xf
	s_wait_alu 0xfffd
	s_delay_alu instid0(VALU_DEP_1) | instskip(NEXT) | instid1(VALU_DEP_1)
	v_cndmask_b32_e64 v97, v97, 0, vcc_lo
	v_add_nc_u32_e32 v96, v97, v96
	s_delay_alu instid0(VALU_DEP_1) | instskip(NEXT) | instid1(VALU_DEP_1)
	v_mov_b32_dpp v97, v96 row_shr:2 row_mask:0xf bank_mask:0xf
	v_cndmask_b32_e64 v97, 0, v97, s0
	s_delay_alu instid0(VALU_DEP_1) | instskip(NEXT) | instid1(VALU_DEP_1)
	v_add_nc_u32_e32 v96, v96, v97
	v_mov_b32_dpp v97, v96 row_shr:4 row_mask:0xf bank_mask:0xf
	s_delay_alu instid0(VALU_DEP_1) | instskip(NEXT) | instid1(VALU_DEP_1)
	v_cndmask_b32_e64 v97, 0, v97, s1
	v_add_nc_u32_e32 v96, v96, v97
	s_delay_alu instid0(VALU_DEP_1) | instskip(NEXT) | instid1(VALU_DEP_1)
	v_mov_b32_dpp v97, v96 row_shr:8 row_mask:0xf bank_mask:0xf
	v_cndmask_b32_e64 v97, 0, v97, s3
	s_delay_alu instid0(VALU_DEP_1) | instskip(SKIP_3) | instid1(VALU_DEP_1)
	v_add_nc_u32_e32 v96, v96, v97
	ds_swizzle_b32 v97, v96 offset:swizzle(BROADCAST,32,15)
	s_wait_dscnt 0x0
	v_cndmask_b32_e64 v97, v97, 0, s4
	v_add_nc_u32_e32 v96, v96, v97
	s_and_saveexec_b32 s14, s5
; %bb.105:                              ;   in Loop: Header=BB1537_96 Depth=1
	ds_store_b32 v66, v96
; %bb.106:                              ;   in Loop: Header=BB1537_96 Depth=1
	s_wait_alu 0xfffe
	s_or_b32 exec_lo, exec_lo, s14
	s_wait_loadcnt_dscnt 0x0
	s_barrier_signal -1
	s_barrier_wait -1
	global_inv scope:SCOPE_SE
	s_and_saveexec_b32 s14, s6
	s_cbranch_execz .LBB1537_108
; %bb.107:                              ;   in Loop: Header=BB1537_96 Depth=1
	ds_load_b32 v97, v69
	s_wait_dscnt 0x0
	v_mov_b32_dpp v99, v97 row_shr:1 row_mask:0xf bank_mask:0xf
	s_delay_alu instid0(VALU_DEP_1) | instskip(NEXT) | instid1(VALU_DEP_1)
	v_cndmask_b32_e64 v99, v99, 0, s11
	v_add_nc_u32_e32 v97, v99, v97
	s_delay_alu instid0(VALU_DEP_1) | instskip(NEXT) | instid1(VALU_DEP_1)
	v_mov_b32_dpp v99, v97 row_shr:2 row_mask:0xf bank_mask:0xf
	v_cndmask_b32_e64 v99, 0, v99, s12
	s_delay_alu instid0(VALU_DEP_1) | instskip(NEXT) | instid1(VALU_DEP_1)
	v_add_nc_u32_e32 v97, v97, v99
	v_mov_b32_dpp v99, v97 row_shr:4 row_mask:0xf bank_mask:0xf
	s_delay_alu instid0(VALU_DEP_1) | instskip(NEXT) | instid1(VALU_DEP_1)
	v_cndmask_b32_e64 v99, 0, v99, s13
	v_add_nc_u32_e32 v97, v97, v99
	ds_store_b32 v69, v97
.LBB1537_108:                           ;   in Loop: Header=BB1537_96 Depth=1
	s_wait_alu 0xfffe
	s_or_b32 exec_lo, exec_lo, s14
	v_mov_b32_e32 v97, 0
	s_wait_loadcnt_dscnt 0x0
	s_barrier_signal -1
	s_barrier_wait -1
	global_inv scope:SCOPE_SE
	s_and_saveexec_b32 s14, s7
; %bb.109:                              ;   in Loop: Header=BB1537_96 Depth=1
	ds_load_b32 v97, v71
; %bb.110:                              ;   in Loop: Header=BB1537_96 Depth=1
	s_wait_alu 0xfffe
	s_or_b32 exec_lo, exec_lo, s14
	s_wait_dscnt 0x0
	v_add_nc_u32_e32 v96, v97, v96
	v_add_nc_u32_e32 v10, 8, v10
	v_lshrrev_b32_e32 v101, 8, v64
	v_lshrrev_b32_e32 v102, 16, v64
	s_mov_b32 s20, -1
	ds_bpermute_b32 v96, v65, v96
	v_mov_b32_e32 v100, v64
	s_wait_dscnt 0x0
	v_cndmask_b32_e64 v96, v96, v97, s2
	s_delay_alu instid0(VALU_DEP_1) | instskip(NEXT) | instid1(VALU_DEP_1)
	v_cndmask_b32_e64 v96, v96, 0, s10
	v_add_nc_u32_e32 v34, v96, v34
	s_delay_alu instid0(VALU_DEP_1) | instskip(SKIP_4) | instid1(VALU_DEP_1)
	v_add_nc_u32_e32 v35, v34, v35
	ds_store_b32 v9, v96
	ds_store_b32 v48, v34
	ds_store_b32 v49, v35
	v_add_nc_u32_e32 v36, v35, v36
	v_add_nc_u32_e32 v37, v36, v37
	s_delay_alu instid0(VALU_DEP_1) | instskip(NEXT) | instid1(VALU_DEP_1)
	v_add_nc_u32_e32 v38, v37, v38
	v_add_nc_u32_e32 v39, v38, v39
	s_delay_alu instid0(VALU_DEP_1)
	v_add_nc_u32_e32 v33, v39, v33
	ds_store_b32 v50, v36
	ds_store_b32 v51, v37
	;; [unrolled: 1-line block ×5, first 2 shown]
	s_wait_loadcnt_dscnt 0x0
	s_barrier_signal -1
	s_barrier_wait -1
	global_inv scope:SCOPE_SE
	ds_load_b32 v23, v23
	ds_load_b32 v26, v26
	ds_load_b32 v29, v29
	ds_load_b32 v32, v32
	s_wait_loadcnt_dscnt 0x0
	v_add_nc_u32_e32 v22, v23, v22
	v_add3_u32 v99, v25, v24, v26
	v_add3_u32 v97, v28, v27, v29
	;; [unrolled: 1-line block ×3, first 2 shown]
                                        ; implicit-def: $vgpr24_vgpr25
                                        ; implicit-def: $vgpr26_vgpr27
                                        ; implicit-def: $vgpr28_vgpr29
	s_delay_alu instid0(VALU_DEP_4)
	v_add_co_u32 v38, s15, v12, v22
	s_wait_alu 0xf1ff
	v_add_co_ci_u32_e64 v39, null, 0, v13, s15
	v_add_co_u32 v30, s15, v12, v99
	s_wait_alu 0xf1ff
	v_add_co_ci_u32_e64 v31, null, 0, v13, s15
	v_add_co_u32 v34, s15, v12, v97
	v_mad_co_u64_u32 v[32:33], null, v22, 7, v[38:39]
	s_wait_alu 0xf1ff
	v_add_co_ci_u32_e64 v35, null, 0, v13, s15
	v_add_co_u32 v36, s15, v12, v96
	s_wait_alu 0xf1ff
	v_add_co_ci_u32_e64 v37, null, 0, v13, s15
	s_mov_b32 s15, exec_lo
                                        ; implicit-def: $vgpr22_vgpr23
	v_cmpx_lt_u32_e64 v10, v11
	s_cbranch_execz .LBB1537_95
; %bb.111:                              ;   in Loop: Header=BB1537_96 Depth=1
	s_barrier_signal -1
	s_barrier_wait -1
	global_inv scope:SCOPE_SE
	ds_store_b8 v38, v64
	ds_store_b8 v30, v101
	;; [unrolled: 1-line block ×4, first 2 shown]
	s_wait_loadcnt_dscnt 0x0
	s_barrier_signal -1
	s_barrier_wait -1
	global_inv scope:SCOPE_SE
	ds_load_u8 v33, v80
	ds_load_u8 v39, v68
	;; [unrolled: 1-line block ×4, first 2 shown]
	v_mad_co_u64_u32 v[22:23], null, v99, 7, v[30:31]
	v_mad_co_u64_u32 v[23:24], null, v97, 7, v[34:35]
	v_mad_co_u64_u32 v[24:25], null, v96, 7, v[36:37]
	s_wait_loadcnt_dscnt 0x0
	s_barrier_signal -1
	s_barrier_wait -1
	global_inv scope:SCOPE_SE
	ds_store_b64 v32, v[18:19]
	ds_store_b64 v22, v[15:16]
	ds_store_b64 v23, v[4:5]
	ds_store_b64 v24, v[20:21]
	s_wait_loadcnt_dscnt 0x0
	s_barrier_signal -1
	s_barrier_wait -1
	global_inv scope:SCOPE_SE
	ds_load_b64 v[22:23], v70
	ds_load_b64 v[24:25], v83
	;; [unrolled: 1-line block ×4, first 2 shown]
	v_add_nc_u32_e32 v86, -8, v86
	v_perm_b32 v33, v39, v33, 0xc0c0004
	s_xor_b32 s20, exec_lo, -1
	v_perm_b32 v39, v103, v64, 0xc0c0004
	s_wait_loadcnt_dscnt 0x0
	s_barrier_signal -1
	s_barrier_wait -1
	global_inv scope:SCOPE_SE
	v_lshl_or_b32 v64, v39, 16, v33
	s_branch .LBB1537_95
.LBB1537_112:
	flat_load_b64 v[32:33], v[4:5]
	s_wait_alu 0xfffe
	s_or_b32 exec_lo, exec_lo, s7
                                        ; implicit-def: $vgpr34_vgpr35
	s_and_saveexec_b32 s7, s0
	s_cbranch_execz .LBB1537_20
.LBB1537_113:
	flat_load_b64 v[34:35], v[4:5] offset:256
	s_wait_alu 0xfffe
	s_or_b32 exec_lo, exec_lo, s7
                                        ; implicit-def: $vgpr36_vgpr37
	s_and_saveexec_b32 s0, s1
	s_cbranch_execz .LBB1537_21
.LBB1537_114:
	flat_load_b64 v[36:37], v[4:5] offset:512
	s_wait_alu 0xfffe
	s_or_b32 exec_lo, exec_lo, s0
                                        ; implicit-def: $vgpr38_vgpr39
	s_and_saveexec_b32 s0, s2
	s_cbranch_execz .LBB1537_22
.LBB1537_115:
	flat_load_b64 v[38:39], v[4:5] offset:768
	s_wait_alu 0xfffe
	s_or_b32 exec_lo, exec_lo, s0
                                        ; implicit-def: $vgpr48_vgpr49
	s_and_saveexec_b32 s0, s3
	s_cbranch_execz .LBB1537_23
.LBB1537_116:
	flat_load_b64 v[48:49], v[4:5] offset:1024
	s_wait_alu 0xfffe
	s_or_b32 exec_lo, exec_lo, s0
                                        ; implicit-def: $vgpr50_vgpr51
	s_and_saveexec_b32 s0, s4
	s_cbranch_execz .LBB1537_24
.LBB1537_117:
	flat_load_b64 v[50:51], v[4:5] offset:1280
	s_wait_alu 0xfffe
	s_or_b32 exec_lo, exec_lo, s0
                                        ; implicit-def: $vgpr52_vgpr53
	s_and_saveexec_b32 s0, s5
	s_cbranch_execz .LBB1537_25
.LBB1537_118:
	flat_load_b64 v[52:53], v[4:5] offset:1536
	s_wait_alu 0xfffe
	s_or_b32 exec_lo, exec_lo, s0
                                        ; implicit-def: $vgpr54_vgpr55
	s_and_saveexec_b32 s0, s6
	s_cbranch_execnz .LBB1537_26
	s_branch .LBB1537_27
.LBB1537_119:
	flat_store_b64 v[0:1], v[21:22]
	s_wait_alu 0xfffe
	s_or_b32 exec_lo, exec_lo, s7
	s_and_saveexec_b32 s7, s0
	s_cbranch_execz .LBB1537_71
.LBB1537_120:
	flat_store_b64 v[0:1], v[23:24] offset:2048
	s_wait_alu 0xfffe
	s_or_b32 exec_lo, exec_lo, s7
	s_and_saveexec_b32 s0, s1
	s_cbranch_execz .LBB1537_72
.LBB1537_121:
	flat_store_b64 v[0:1], v[17:18] offset:4096
	s_wait_alu 0xfffe
	s_or_b32 exec_lo, exec_lo, s0
	s_and_saveexec_b32 s0, s2
	s_cbranch_execz .LBB1537_73
.LBB1537_122:
	flat_store_b64 v[0:1], v[19:20] offset:6144
	s_wait_alu 0xfffe
	s_or_b32 exec_lo, exec_lo, s0
	s_and_saveexec_b32 s0, s3
	s_cbranch_execz .LBB1537_74
.LBB1537_123:
	flat_store_b64 v[0:1], v[13:14] offset:8192
	s_wait_alu 0xfffe
	s_or_b32 exec_lo, exec_lo, s0
	s_and_saveexec_b32 s0, s4
	s_cbranch_execz .LBB1537_75
.LBB1537_124:
	flat_store_b64 v[0:1], v[15:16] offset:10240
	s_wait_alu 0xfffe
	s_or_b32 exec_lo, exec_lo, s0
	s_and_saveexec_b32 s0, s5
	s_cbranch_execz .LBB1537_76
.LBB1537_125:
	flat_store_b64 v[0:1], v[9:10] offset:12288
	s_wait_alu 0xfffe
	s_or_b32 exec_lo, exec_lo, s0
	s_and_saveexec_b32 s0, s6
	s_cbranch_execnz .LBB1537_77
	s_branch .LBB1537_78
.LBB1537_126:
	s_or_b32 exec_lo, exec_lo, s19
	v_mad_co_u64_u32 v[9:10], null, v99, 7, v[30:31]
	v_mad_co_u64_u32 v[10:11], null, v97, 7, v[34:35]
	v_add_nc_u32_e32 v13, v12, v14
	v_mad_co_u64_u32 v[11:12], null, v96, 7, v[36:37]
	v_mul_u32_u24_e32 v12, 7, v14
	s_barrier_signal -1
	s_barrier_wait -1
	s_wait_loadcnt 0x0
	global_inv scope:SCOPE_SE
	ds_store_b8 v38, v100
	ds_store_b8 v30, v101
	;; [unrolled: 1-line block ×4, first 2 shown]
	s_wait_loadcnt_dscnt 0x0
	s_barrier_signal -1
	s_barrier_wait -1
	global_inv scope:SCOPE_SE
	ds_load_u8 v25, v13
	ds_load_u8 v24, v13 offset:256
	ds_load_u8 v23, v13 offset:512
	;; [unrolled: 1-line block ×3, first 2 shown]
	s_wait_loadcnt_dscnt 0x0
	s_barrier_signal -1
	s_barrier_wait -1
	global_inv scope:SCOPE_SE
	ds_store_b64 v32, v[18:19]
	ds_store_b64 v9, v[15:16]
	;; [unrolled: 1-line block ×4, first 2 shown]
	v_mov_b32_e32 v18, 0
	v_add_nc_u32_e32 v4, v13, v12
	s_wait_loadcnt_dscnt 0x0
	s_barrier_signal -1
	s_barrier_wait -1
	global_inv scope:SCOPE_SE
	ds_load_2addr_stride64_b64 v[13:16], v4 offset1:4
	ds_load_2addr_stride64_b64 v[9:12], v4 offset0:8 offset1:12
	v_add_co_u32 v2, vcc_lo, v2, v8
	s_wait_alu 0xfffd
	v_add_co_ci_u32_e64 v3, null, 0, v3, vcc_lo
	s_wait_loadcnt_dscnt 0x0
	s_delay_alu instid0(VALU_DEP_2) | instskip(SKIP_1) | instid1(VALU_DEP_2)
	v_add_co_u32 v2, vcc_lo, v2, v17
	s_wait_alu 0xfffd
	v_add_co_ci_u32_e64 v3, null, 0, v3, vcc_lo
	v_cmp_lt_u32_e32 vcc_lo, v17, v98
	s_barrier_signal -1
	s_barrier_wait -1
	global_inv scope:SCOPE_SE
	s_and_saveexec_b32 s0, vcc_lo
	s_cbranch_execz .LBB1537_128
; %bb.127:
	v_xor_b32_e32 v4, 1, v25
	flat_store_b8 v[2:3], v4
.LBB1537_128:
	s_wait_alu 0xfffe
	s_or_b32 exec_lo, exec_lo, s0
	v_add_nc_u32_e32 v4, 0x100, v17
	s_delay_alu instid0(VALU_DEP_1)
	v_cmp_lt_u32_e64 s0, v4, v98
	s_and_saveexec_b32 s1, s0
	s_cbranch_execz .LBB1537_130
; %bb.129:
	v_xor_b32_e32 v4, 1, v24
	flat_store_b8 v[2:3], v4 offset:256
.LBB1537_130:
	s_wait_alu 0xfffe
	s_or_b32 exec_lo, exec_lo, s1
	v_add_nc_u32_e32 v4, 0x200, v17
	s_delay_alu instid0(VALU_DEP_1)
	v_cmp_lt_u32_e64 s1, v4, v98
	s_and_saveexec_b32 s2, s1
	s_cbranch_execz .LBB1537_132
; %bb.131:
	v_xor_b32_e32 v4, 1, v23
	flat_store_b8 v[2:3], v4 offset:512
.LBB1537_132:
	s_wait_alu 0xfffe
	s_or_b32 exec_lo, exec_lo, s2
	v_add_nc_u32_e32 v4, 0x300, v17
	s_delay_alu instid0(VALU_DEP_1)
	v_cmp_lt_u32_e64 s2, v4, v98
	s_and_saveexec_b32 s3, s2
	s_cbranch_execz .LBB1537_134
; %bb.133:
	v_xor_b32_e32 v4, 1, v22
	flat_store_b8 v[2:3], v4 offset:768
.LBB1537_134:
	s_wait_alu 0xfffe
	s_or_b32 exec_lo, exec_lo, s3
	v_lshlrev_b64_e32 v[2:3], 3, v[17:18]
	v_add_co_u32 v0, s3, v6, v0
	s_wait_alu 0xf1ff
	v_add_co_ci_u32_e64 v1, null, v7, v1, s3
	s_delay_alu instid0(VALU_DEP_2) | instskip(SKIP_1) | instid1(VALU_DEP_2)
	v_add_co_u32 v0, s3, v0, v2
	s_wait_alu 0xf1ff
	v_add_co_ci_u32_e64 v1, null, v1, v3, s3
	s_and_saveexec_b32 s3, vcc_lo
	s_cbranch_execnz .LBB1537_167
; %bb.135:
	s_wait_alu 0xfffe
	s_or_b32 exec_lo, exec_lo, s3
	s_and_saveexec_b32 s3, s0
	s_cbranch_execnz .LBB1537_168
.LBB1537_136:
	s_wait_alu 0xfffe
	s_or_b32 exec_lo, exec_lo, s3
	s_and_saveexec_b32 s0, s1
	s_cbranch_execnz .LBB1537_169
.LBB1537_137:
	s_wait_alu 0xfffe
	s_or_b32 exec_lo, exec_lo, s0
	s_and_saveexec_b32 s0, s2
	s_cbranch_execz .LBB1537_139
.LBB1537_138:
	flat_store_b64 v[0:1], v[11:12] offset:6144
.LBB1537_139:
	s_wait_alu 0xfffe
	s_or_b32 exec_lo, exec_lo, s0
                                        ; implicit-def: $vgpr98
                                        ; implicit-def: $vgpr0
                                        ; implicit-def: $vgpr1
                                        ; implicit-def: $vgpr2
                                        ; implicit-def: $vgpr3
                                        ; implicit-def: $vgpr4
                                        ; implicit-def: $vgpr5
                                        ; implicit-def: $vgpr6
                                        ; implicit-def: $vgpr7
                                        ; implicit-def: $vgpr8
                                        ; implicit-def: $vgpr10
                                        ; implicit-def: $vgpr11
                                        ; implicit-def: $vgpr12
                                        ; implicit-def: $vgpr13
                                        ; implicit-def: $vgpr9
                                        ; implicit-def: $vgpr15
                                        ; implicit-def: $vgpr14
                                        ; implicit-def: $vgpr30
.LBB1537_140:
	s_wait_alu 0xfffe
	s_and_not1_saveexec_b32 s0, s17
	s_cbranch_execz .LBB1537_199
; %bb.141:
	s_load_b64 s[0:1], s[8:9], 0x0
	s_and_b32 s2, ttmp7, 0xffff
	s_mov_b32 s3, 0
	s_wait_kmcnt 0x0
	s_wait_alu 0xfffe
	s_cmp_lt_u32 s2, s1
	s_cselect_b32 s2, 14, 20
	s_cmp_lt_u32 ttmp9, s0
	s_wait_alu 0xfffe
	s_add_nc_u64 s[4:5], s[8:9], s[2:3]
	s_cselect_b32 s2, 12, 18
	s_load_u16 s4, s[4:5], 0x0
	s_add_nc_u64 s[0:1], s[8:9], s[2:3]
	s_load_u16 s0, s[0:1], 0x0
	s_wait_kmcnt 0x0
	v_mad_u32_u24 v9, v15, s4, v9
	s_delay_alu instid0(VALU_DEP_1)
	v_mad_co_u64_u32 v[15:16], null, v9, s0, v[14:15]
	v_mov_b32_e32 v9, 0
	s_mov_b32 s0, exec_lo
	v_cmpx_lt_u32_e32 0x100, v98
	s_wait_alu 0xfffe
	s_xor_b32 s14, exec_lo, s0
	s_cbranch_execz .LBB1537_179
; %bb.142:
	s_delay_alu instid0(VALU_DEP_3) | instskip(SKIP_3) | instid1(VALU_DEP_3)
	v_dual_mov_b32 v17, v9 :: v_dual_lshlrev_b32 v16, 1, v15
	v_add_co_u32 v0, vcc_lo, v0, v8
	s_wait_alu 0xfffd
	v_add_co_ci_u32_e64 v1, null, 0, v1, vcc_lo
	v_and_b32_e32 v16, 0xffffffc0, v16
	s_delay_alu instid0(VALU_DEP_3) | instskip(SKIP_1) | instid1(VALU_DEP_3)
	v_add_co_u32 v0, vcc_lo, v0, v30
	s_wait_alu 0xfffd
	v_add_co_ci_u32_e64 v1, null, 0, v1, vcc_lo
	s_delay_alu instid0(VALU_DEP_3) | instskip(NEXT) | instid1(VALU_DEP_3)
	v_or_b32_e32 v18, v30, v16
	v_add_co_u32 v0, vcc_lo, v0, v16
	s_wait_alu 0xfffd
	s_delay_alu instid0(VALU_DEP_3) | instskip(NEXT) | instid1(VALU_DEP_3)
	v_add_co_ci_u32_e64 v1, null, 0, v1, vcc_lo
	v_cmp_lt_u32_e32 vcc_lo, v18, v98
	v_mov_b32_e32 v22, v9
	s_and_saveexec_b32 s0, vcc_lo
	s_cbranch_execz .LBB1537_144
; %bb.143:
	flat_load_u8 v22, v[0:1]
.LBB1537_144:
	s_wait_alu 0xfffe
	s_or_b32 exec_lo, exec_lo, s0
	v_or_b32_e32 v18, 32, v18
	v_mov_b32_e32 v23, v9
	s_delay_alu instid0(VALU_DEP_2)
	v_cmp_lt_u32_e64 s0, v18, v98
	s_and_saveexec_b32 s1, s0
	s_cbranch_execz .LBB1537_146
; %bb.145:
	flat_load_u8 v23, v[0:1] offset:32
.LBB1537_146:
	s_wait_alu 0xfffe
	s_or_b32 exec_lo, exec_lo, s1
	v_lshlrev_b64_e32 v[0:1], 3, v[8:9]
	v_dual_mov_b32 v18, 0 :: v_dual_lshlrev_b32 v9, 3, v30
	v_lshlrev_b64_e32 v[16:17], 3, v[16:17]
	v_dual_mov_b32 v19, 0 :: v_dual_mov_b32 v20, 0
	s_delay_alu instid0(VALU_DEP_4) | instskip(SKIP_3) | instid1(VALU_DEP_3)
	v_add_co_u32 v4, s1, v4, v0
	s_wait_alu 0xf1ff
	v_add_co_ci_u32_e64 v5, null, v5, v1, s1
	v_mov_b32_e32 v21, 0
	v_add_co_u32 v4, s1, v4, v9
	s_wait_alu 0xf1ff
	s_delay_alu instid0(VALU_DEP_3) | instskip(NEXT) | instid1(VALU_DEP_2)
	v_add_co_ci_u32_e64 v5, null, 0, v5, s1
	v_add_co_u32 v4, s1, v4, v16
	s_wait_alu 0xf1ff
	s_delay_alu instid0(VALU_DEP_2)
	v_add_co_ci_u32_e64 v5, null, v5, v17, s1
	s_and_saveexec_b32 s1, vcc_lo
	s_cbranch_execz .LBB1537_148
; %bb.147:
	flat_load_b64 v[20:21], v[4:5]
.LBB1537_148:
	s_wait_alu 0xfffe
	s_or_b32 exec_lo, exec_lo, s1
	s_and_saveexec_b32 s1, s0
	s_cbranch_execz .LBB1537_150
; %bb.149:
	flat_load_b64 v[18:19], v[4:5] offset:256
.LBB1537_150:
	s_wait_alu 0xfffe
	s_or_b32 exec_lo, exec_lo, s1
	s_wait_loadcnt_dscnt 0x0
	v_dual_mov_b32 v49, 0 :: v_dual_and_b32 v4, 1, v23
	v_and_b32_e32 v5, 1, v22
	s_getpc_b64 s[2:3]
	s_wait_alu 0xfffe
	s_sext_i32_i16 s3, s3
	s_add_co_u32 s2, s2, _ZN7rocprim17ROCPRIM_400000_NS16block_radix_sortIbLj256ELj2ElLj1ELj1ELj8ELNS0_26block_radix_rank_algorithmE2ELNS0_18block_padding_hintE2ELNS0_4arch9wavefront6targetE0EE19radix_bits_per_passE@rel32@lo+12
	s_wait_alu 0xfffe
	s_add_co_ci_u32 s3, s3, _ZN7rocprim17ROCPRIM_400000_NS16block_radix_sortIbLj256ELj2ElLj1ELj1ELj8ELNS0_26block_radix_rank_algorithmE2ELNS0_18block_padding_hintE2ELNS0_4arch9wavefront6targetE0EE19radix_bits_per_passE@rel32@hi+24
	v_and_b32_e32 v17, 0x3e0, v14
	v_cmp_eq_u32_e32 vcc_lo, 1, v4
	v_lshl_add_u32 v4, v14, 5, v12
	v_cmp_eq_u32_e64 s0, 1, v5
	s_load_b32 s15, s[2:3], 0x0
	v_and_b32_e32 v16, 15, v30
	s_xor_b32 s1, vcc_lo, -1
	v_add_nc_u32_e32 v29, 32, v4
	s_wait_alu 0xfffe
	v_cndmask_b32_e64 v5, 0, 1, s1
	s_xor_b32 s0, s0, -1
	v_add_nc_u32_e32 v31, 36, v4
	s_wait_alu 0xfffe
	v_cndmask_b32_e64 v22, 0, 1, s0
	v_add_nc_u32_e32 v32, 40, v4
	v_lshlrev_b16 v5, 8, v5
	v_add_nc_u32_e32 v33, 44, v4
	v_add_nc_u32_e32 v34, 48, v4
	;; [unrolled: 1-line block ×5, first 2 shown]
	v_min_u32_e32 v4, 0xe0, v17
	v_or_b32_e32 v5, v22, v5
	v_sub_co_u32 v17, s2, v30, 1
	v_cmp_eq_u32_e32 vcc_lo, 0, v16
	s_delay_alu instid0(VALU_DEP_4) | instskip(NEXT) | instid1(VALU_DEP_4)
	v_or_b32_e32 v4, 31, v4
	v_and_b32_e32 v38, 0xffff, v5
	v_and_b32_e32 v5, 16, v30
	v_cmp_gt_i32_e64 s6, 0, v17
	v_cmp_lt_u32_e64 s0, 1, v16
	v_cmp_eq_u32_e64 s5, v14, v4
	v_lshlrev_b32_e32 v4, 1, v14
	v_cmp_lt_u32_e64 s1, 3, v16
	v_cmp_lt_u32_e64 s3, 7, v16
	v_cmp_eq_u32_e64 s4, 0, v5
	s_wait_alu 0xf1ff
	v_cndmask_b32_e64 v5, v17, v30, s6
	v_lshrrev_b32_e32 v16, 3, v14
	v_and_or_b32 v4, 0x7c0, v4, v30
	v_lshrrev_b32_e32 v9, 5, v15
	v_cmp_gt_u32_e64 s6, 8, v14
	v_lshlrev_b32_e32 v39, 2, v5
	v_and_b32_e32 v5, 0x7c, v16
	v_and_b32_e32 v16, 7, v30
	v_add_nc_u32_e32 v30, v12, v4
	v_mul_u32_u24_e32 v4, 7, v4
	v_cmp_lt_u32_e64 s7, 31, v14
	v_add_nc_u32_e32 v48, v12, v5
	v_cmp_eq_u32_e64 s8, 0, v14
	v_lshl_add_u32 v50, v14, 2, v12
	v_add_nc_u32_e32 v51, v30, v4
	v_cmp_eq_u32_e64 s9, 0, v16
	v_cmp_lt_u32_e64 s10, 1, v16
	v_cmp_lt_u32_e64 s11, 3, v16
	v_add_nc_u32_e32 v52, -4, v48
	v_add_nc_u32_e32 v53, 32, v30
	v_add_nc_u32_e32 v54, 0x100, v51
	v_sub_nc_u32_e32 v55, v11, v10
	s_mov_b32 s17, 0
	s_wait_storecnt 0x0
	s_barrier_signal -1
	s_barrier_wait -1
	global_inv scope:SCOPE_SE
	s_branch .LBB1537_152
.LBB1537_151:                           ;   in Loop: Header=BB1537_152 Depth=1
	s_wait_alu 0xfffe
	s_or_b32 exec_lo, exec_lo, s13
	s_delay_alu instid0(SALU_CYCLE_1)
	s_and_b32 s12, exec_lo, s18
	s_wait_alu 0xfffe
	s_or_b32 s17, s12, s17
	s_wait_alu 0xfffe
	s_and_not1_b32 exec_lo, exec_lo, s17
	s_cbranch_execz .LBB1537_170
.LBB1537_152:                           ; =>This Inner Loop Header: Depth=1
	s_wait_kmcnt 0x0
	v_min_u32_e32 v4, s15, v55
	v_and_b32_e32 v5, 0xff, v38
	ds_store_b32 v29, v49
	ds_store_b32 v31, v49
	;; [unrolled: 1-line block ×6, first 2 shown]
	v_lshlrev_b32_e64 v4, v4, -1
	v_lshrrev_b32_e32 v5, v10, v5
	ds_store_b32 v36, v49
	ds_store_b32 v37, v49
	s_wait_loadcnt_dscnt 0x0
	s_barrier_signal -1
	v_not_b32_e32 v22, v4
	s_barrier_wait -1
	global_inv scope:SCOPE_SE
	; wave barrier
	v_dual_mov_b32 v4, v18 :: v_dual_and_b32 v23, v5, v22
	v_mov_b32_e32 v5, v19
	s_delay_alu instid0(VALU_DEP_2) | instskip(SKIP_3) | instid1(VALU_DEP_2)
	v_add_co_u32 v24, s12, v23, -1
	s_wait_alu 0xf1ff
	v_cndmask_b32_e64 v16, 0, 1, s12
	v_lshlrev_b32_e32 v19, 3, v23
	v_cmp_ne_u32_e64 s12, 0, v16
	v_dual_mov_b32 v16, v20 :: v_dual_mov_b32 v17, v21
	s_delay_alu instid0(VALU_DEP_3) | instskip(SKIP_1) | instid1(VALU_DEP_3)
	v_add_lshl_u32 v19, v19, v9, 2
	s_wait_alu 0xf1ff
	v_xor_b32_e32 v18, s12, v24
	s_delay_alu instid0(VALU_DEP_2) | instskip(NEXT) | instid1(VALU_DEP_2)
	v_add_co_u32 v19, null, v12, v19
	v_and_b32_e32 v20, exec_lo, v18
	s_delay_alu instid0(VALU_DEP_2) | instskip(NEXT) | instid1(VALU_DEP_2)
	v_add_co_u32 v19, null, v19, 32
	v_mbcnt_lo_u32_b32 v18, v20, 0
	v_cmp_ne_u32_e64 s13, 0, v20
	s_delay_alu instid0(VALU_DEP_2)
	v_cmp_eq_u32_e64 s12, 0, v18
	s_and_b32 s13, s13, s12
	s_wait_alu 0xfffe
	s_and_saveexec_b32 s12, s13
; %bb.153:                              ;   in Loop: Header=BB1537_152 Depth=1
	v_bcnt_u32_b32 v20, v20, 0
	ds_store_b32 v19, v20
; %bb.154:                              ;   in Loop: Header=BB1537_152 Depth=1
	s_wait_alu 0xfffe
	s_or_b32 exec_lo, exec_lo, s12
	v_lshrrev_b16 v64, 8, v38
	; wave barrier
	s_delay_alu instid0(VALU_DEP_1) | instskip(NEXT) | instid1(VALU_DEP_1)
	v_and_b32_e32 v20, 0xffff, v64
	v_lshrrev_b32_e32 v20, v10, v20
	s_delay_alu instid0(VALU_DEP_1) | instskip(NEXT) | instid1(VALU_DEP_1)
	v_and_b32_e32 v20, v20, v22
	v_add_co_u32 v21, s12, v20, -1
	s_wait_alu 0xf1ff
	v_cndmask_b32_e64 v22, 0, 1, s12
	v_lshl_add_u32 v20, v20, 3, v9
	s_delay_alu instid0(VALU_DEP_2) | instskip(NEXT) | instid1(VALU_DEP_2)
	v_cmp_ne_u32_e64 s12, 0, v22
	v_lshl_add_u32 v22, v20, 2, v12
	s_wait_alu 0xf1ff
	s_delay_alu instid0(VALU_DEP_2) | instskip(SKIP_3) | instid1(VALU_DEP_1)
	v_xor_b32_e32 v21, s12, v21
	ds_load_b32 v20, v22 offset:32
	v_add_nc_u32_e32 v22, 32, v22
	; wave barrier
	v_and_b32_e32 v23, exec_lo, v21
	v_mbcnt_lo_u32_b32 v21, v23, 0
	v_cmp_ne_u32_e64 s13, 0, v23
	s_delay_alu instid0(VALU_DEP_2)
	v_cmp_eq_u32_e64 s12, 0, v21
	s_and_b32 s13, s13, s12
	s_wait_alu 0xfffe
	s_and_saveexec_b32 s12, s13
	s_cbranch_execz .LBB1537_156
; %bb.155:                              ;   in Loop: Header=BB1537_152 Depth=1
	s_wait_dscnt 0x0
	v_bcnt_u32_b32 v23, v23, v20
	ds_store_b32 v22, v23
.LBB1537_156:                           ;   in Loop: Header=BB1537_152 Depth=1
	s_wait_alu 0xfffe
	s_or_b32 exec_lo, exec_lo, s12
	; wave barrier
	s_wait_loadcnt_dscnt 0x0
	s_barrier_signal -1
	s_barrier_wait -1
	global_inv scope:SCOPE_SE
	ds_load_b32 v24, v29
	ds_load_b32 v25, v31
	;; [unrolled: 1-line block ×8, first 2 shown]
	s_wait_dscnt 0x6
	v_add_nc_u32_e32 v67, v25, v24
	s_wait_dscnt 0x4
	s_delay_alu instid0(VALU_DEP_1) | instskip(SKIP_1) | instid1(VALU_DEP_1)
	v_add3_u32 v67, v67, v26, v27
	s_wait_dscnt 0x2
	v_add3_u32 v67, v67, v28, v65
	s_wait_dscnt 0x0
	s_delay_alu instid0(VALU_DEP_1) | instskip(NEXT) | instid1(VALU_DEP_1)
	v_add3_u32 v66, v67, v23, v66
	v_mov_b32_dpp v67, v66 row_shr:1 row_mask:0xf bank_mask:0xf
	s_wait_alu 0xfffd
	s_delay_alu instid0(VALU_DEP_1) | instskip(NEXT) | instid1(VALU_DEP_1)
	v_cndmask_b32_e64 v67, v67, 0, vcc_lo
	v_add_nc_u32_e32 v66, v67, v66
	s_delay_alu instid0(VALU_DEP_1) | instskip(NEXT) | instid1(VALU_DEP_1)
	v_mov_b32_dpp v67, v66 row_shr:2 row_mask:0xf bank_mask:0xf
	v_cndmask_b32_e64 v67, 0, v67, s0
	s_delay_alu instid0(VALU_DEP_1) | instskip(NEXT) | instid1(VALU_DEP_1)
	v_add_nc_u32_e32 v66, v66, v67
	v_mov_b32_dpp v67, v66 row_shr:4 row_mask:0xf bank_mask:0xf
	s_delay_alu instid0(VALU_DEP_1) | instskip(NEXT) | instid1(VALU_DEP_1)
	v_cndmask_b32_e64 v67, 0, v67, s1
	v_add_nc_u32_e32 v66, v66, v67
	s_delay_alu instid0(VALU_DEP_1) | instskip(NEXT) | instid1(VALU_DEP_1)
	v_mov_b32_dpp v67, v66 row_shr:8 row_mask:0xf bank_mask:0xf
	v_cndmask_b32_e64 v67, 0, v67, s3
	s_delay_alu instid0(VALU_DEP_1) | instskip(SKIP_3) | instid1(VALU_DEP_1)
	v_add_nc_u32_e32 v66, v66, v67
	ds_swizzle_b32 v67, v66 offset:swizzle(BROADCAST,32,15)
	s_wait_dscnt 0x0
	v_cndmask_b32_e64 v67, v67, 0, s4
	v_add_nc_u32_e32 v66, v66, v67
	s_and_saveexec_b32 s12, s5
; %bb.157:                              ;   in Loop: Header=BB1537_152 Depth=1
	ds_store_b32 v48, v66
; %bb.158:                              ;   in Loop: Header=BB1537_152 Depth=1
	s_wait_alu 0xfffe
	s_or_b32 exec_lo, exec_lo, s12
	s_wait_loadcnt_dscnt 0x0
	s_barrier_signal -1
	s_barrier_wait -1
	global_inv scope:SCOPE_SE
	s_and_saveexec_b32 s12, s6
	s_cbranch_execz .LBB1537_160
; %bb.159:                              ;   in Loop: Header=BB1537_152 Depth=1
	ds_load_b32 v67, v50
	s_wait_dscnt 0x0
	v_mov_b32_dpp v68, v67 row_shr:1 row_mask:0xf bank_mask:0xf
	s_delay_alu instid0(VALU_DEP_1) | instskip(NEXT) | instid1(VALU_DEP_1)
	v_cndmask_b32_e64 v68, v68, 0, s9
	v_add_nc_u32_e32 v67, v68, v67
	s_delay_alu instid0(VALU_DEP_1) | instskip(NEXT) | instid1(VALU_DEP_1)
	v_mov_b32_dpp v68, v67 row_shr:2 row_mask:0xf bank_mask:0xf
	v_cndmask_b32_e64 v68, 0, v68, s10
	s_delay_alu instid0(VALU_DEP_1) | instskip(NEXT) | instid1(VALU_DEP_1)
	v_add_nc_u32_e32 v67, v67, v68
	v_mov_b32_dpp v68, v67 row_shr:4 row_mask:0xf bank_mask:0xf
	s_delay_alu instid0(VALU_DEP_1) | instskip(NEXT) | instid1(VALU_DEP_1)
	v_cndmask_b32_e64 v68, 0, v68, s11
	v_add_nc_u32_e32 v67, v67, v68
	ds_store_b32 v50, v67
.LBB1537_160:                           ;   in Loop: Header=BB1537_152 Depth=1
	s_wait_alu 0xfffe
	s_or_b32 exec_lo, exec_lo, s12
	v_mov_b32_e32 v67, 0
	s_wait_loadcnt_dscnt 0x0
	s_barrier_signal -1
	s_barrier_wait -1
	global_inv scope:SCOPE_SE
	s_and_saveexec_b32 s12, s7
; %bb.161:                              ;   in Loop: Header=BB1537_152 Depth=1
	ds_load_b32 v67, v52
; %bb.162:                              ;   in Loop: Header=BB1537_152 Depth=1
	s_wait_alu 0xfffe
	s_or_b32 exec_lo, exec_lo, s12
	s_wait_dscnt 0x0
	v_add_nc_u32_e32 v66, v67, v66
	v_add_nc_u32_e32 v10, 8, v10
	s_mov_b32 s18, -1
	s_mov_b32 s13, exec_lo
	ds_bpermute_b32 v66, v39, v66
	s_wait_dscnt 0x0
	v_cndmask_b32_e64 v66, v66, v67, s2
	s_delay_alu instid0(VALU_DEP_1) | instskip(NEXT) | instid1(VALU_DEP_1)
	v_cndmask_b32_e64 v66, v66, 0, s8
	v_add_nc_u32_e32 v24, v66, v24
	s_delay_alu instid0(VALU_DEP_1) | instskip(SKIP_4) | instid1(VALU_DEP_1)
	v_add_nc_u32_e32 v25, v24, v25
	ds_store_b32 v29, v66
	ds_store_b32 v31, v24
	;; [unrolled: 1-line block ×3, first 2 shown]
	v_add_nc_u32_e32 v26, v25, v26
	v_add_nc_u32_e32 v27, v26, v27
	s_delay_alu instid0(VALU_DEP_1) | instskip(NEXT) | instid1(VALU_DEP_1)
	v_add_nc_u32_e32 v28, v27, v28
	v_add_nc_u32_e32 v65, v28, v65
	s_delay_alu instid0(VALU_DEP_1)
	v_add_nc_u32_e32 v23, v65, v23
	ds_store_b32 v33, v26
	ds_store_b32 v34, v27
	;; [unrolled: 1-line block ×5, first 2 shown]
	s_wait_loadcnt_dscnt 0x0
	s_barrier_signal -1
	s_barrier_wait -1
	global_inv scope:SCOPE_SE
	ds_load_b32 v19, v19
	ds_load_b32 v22, v22
	s_wait_loadcnt_dscnt 0x0
	v_add_nc_u32_e32 v18, v19, v18
	v_add3_u32 v19, v21, v20, v22
                                        ; implicit-def: $vgpr20_vgpr21
	s_delay_alu instid0(VALU_DEP_2) | instskip(SKIP_2) | instid1(VALU_DEP_3)
	v_add_co_u32 v25, s12, v12, v18
	s_wait_alu 0xf1ff
	v_add_co_ci_u32_e64 v26, null, 0, v13, s12
	v_add_co_u32 v27, s12, v12, v19
	s_wait_alu 0xf1ff
	v_add_co_ci_u32_e64 v28, null, 0, v13, s12
	s_delay_alu instid0(VALU_DEP_3) | instskip(NEXT) | instid1(VALU_DEP_2)
	v_mad_co_u64_u32 v[22:23], null, v18, 7, v[25:26]
	v_mad_co_u64_u32 v[23:24], null, v19, 7, v[27:28]
	v_mov_b32_e32 v24, v38
                                        ; implicit-def: $vgpr18_vgpr19
	v_cmpx_lt_u32_e64 v10, v11
	s_cbranch_execz .LBB1537_151
; %bb.163:                              ;   in Loop: Header=BB1537_152 Depth=1
	s_barrier_signal -1
	s_barrier_wait -1
	global_inv scope:SCOPE_SE
	ds_store_b8 v25, v38
	ds_store_b8 v27, v64
	s_wait_loadcnt_dscnt 0x0
	s_barrier_signal -1
	s_barrier_wait -1
	global_inv scope:SCOPE_SE
	ds_load_u8 v26, v53
	ds_load_u8 v28, v30
	s_wait_loadcnt_dscnt 0x0
	s_barrier_signal -1
	s_barrier_wait -1
	global_inv scope:SCOPE_SE
	ds_store_b64 v22, v[16:17]
	ds_store_b64 v23, v[4:5]
	s_wait_loadcnt_dscnt 0x0
	s_barrier_signal -1
	s_barrier_wait -1
	global_inv scope:SCOPE_SE
	ds_load_b64 v[20:21], v51
	ds_load_b64 v[18:19], v54
	v_add_nc_u32_e32 v55, -8, v55
	s_xor_b32 s18, exec_lo, -1
	s_wait_loadcnt_dscnt 0x0
	s_barrier_signal -1
	s_barrier_wait -1
	global_inv scope:SCOPE_SE
	v_perm_b32 v38, v28, v26, 0xc0c0004
	s_branch .LBB1537_151
.LBB1537_164:
	flat_load_b64 v[22:23], v[4:5]
	s_wait_alu 0xfffe
	s_or_b32 exec_lo, exec_lo, s3
                                        ; implicit-def: $vgpr24_vgpr25
	s_and_saveexec_b32 s3, s0
	s_cbranch_execz .LBB1537_91
.LBB1537_165:
	flat_load_b64 v[24:25], v[4:5] offset:256
	s_wait_alu 0xfffe
	s_or_b32 exec_lo, exec_lo, s3
                                        ; implicit-def: $vgpr26_vgpr27
	s_and_saveexec_b32 s0, s1
	s_cbranch_execz .LBB1537_92
.LBB1537_166:
	flat_load_b64 v[26:27], v[4:5] offset:512
	s_wait_alu 0xfffe
	s_or_b32 exec_lo, exec_lo, s0
                                        ; implicit-def: $vgpr28_vgpr29
	s_and_saveexec_b32 s0, s2
	s_cbranch_execnz .LBB1537_93
	s_branch .LBB1537_94
.LBB1537_167:
	flat_store_b64 v[0:1], v[13:14]
	s_wait_alu 0xfffe
	s_or_b32 exec_lo, exec_lo, s3
	s_and_saveexec_b32 s3, s0
	s_cbranch_execz .LBB1537_136
.LBB1537_168:
	flat_store_b64 v[0:1], v[15:16] offset:2048
	s_wait_alu 0xfffe
	s_or_b32 exec_lo, exec_lo, s3
	s_and_saveexec_b32 s0, s1
	s_cbranch_execz .LBB1537_137
.LBB1537_169:
	flat_store_b64 v[0:1], v[9:10] offset:4096
	s_wait_alu 0xfffe
	s_or_b32 exec_lo, exec_lo, s0
	s_and_saveexec_b32 s0, s2
	s_cbranch_execnz .LBB1537_138
	s_branch .LBB1537_139
.LBB1537_170:
	s_or_b32 exec_lo, exec_lo, s17
	v_add_nc_u32_e32 v9, v12, v14
	v_mul_u32_u24_e32 v10, 7, v14
	s_barrier_signal -1
	s_barrier_wait -1
	s_wait_loadcnt 0x0
	global_inv scope:SCOPE_SE
	ds_store_b8 v25, v24
	ds_store_b8 v27, v64
	s_wait_loadcnt_dscnt 0x0
	s_barrier_signal -1
	s_barrier_wait -1
	global_inv scope:SCOPE_SE
	ds_load_u8 v18, v9
	ds_load_u8 v13, v9 offset:256
	s_wait_loadcnt_dscnt 0x0
	s_barrier_signal -1
	s_barrier_wait -1
	global_inv scope:SCOPE_SE
	ds_store_b64 v22, v[16:17]
	ds_store_b64 v23, v[4:5]
	v_mov_b32_e32 v16, 0
	v_add_nc_u32_e32 v4, v9, v10
	s_wait_loadcnt_dscnt 0x0
	s_barrier_signal -1
	s_barrier_wait -1
	global_inv scope:SCOPE_SE
	ds_load_2addr_stride64_b64 v[9:12], v4 offset1:4
	v_add_co_u32 v2, vcc_lo, v2, v8
	s_wait_alu 0xfffd
	v_add_co_ci_u32_e64 v3, null, 0, v3, vcc_lo
	s_wait_loadcnt_dscnt 0x0
	s_delay_alu instid0(VALU_DEP_2) | instskip(SKIP_1) | instid1(VALU_DEP_2)
	v_add_co_u32 v2, vcc_lo, v2, v15
	s_wait_alu 0xfffd
	v_add_co_ci_u32_e64 v3, null, 0, v3, vcc_lo
	v_cmp_lt_u32_e32 vcc_lo, v15, v98
	s_barrier_signal -1
	s_barrier_wait -1
	global_inv scope:SCOPE_SE
	s_and_saveexec_b32 s0, vcc_lo
	s_cbranch_execz .LBB1537_172
; %bb.171:
	v_xor_b32_e32 v4, 1, v18
	flat_store_b8 v[2:3], v4
.LBB1537_172:
	s_wait_alu 0xfffe
	s_or_b32 exec_lo, exec_lo, s0
	v_add_nc_u32_e32 v4, 0x100, v15
	s_delay_alu instid0(VALU_DEP_1)
	v_cmp_lt_u32_e64 s0, v4, v98
	s_and_saveexec_b32 s1, s0
	s_cbranch_execz .LBB1537_174
; %bb.173:
	v_xor_b32_e32 v4, 1, v13
	flat_store_b8 v[2:3], v4 offset:256
.LBB1537_174:
	s_wait_alu 0xfffe
	s_or_b32 exec_lo, exec_lo, s1
	v_lshlrev_b64_e32 v[2:3], 3, v[15:16]
	v_add_co_u32 v0, s1, v6, v0
	s_wait_alu 0xf1ff
	v_add_co_ci_u32_e64 v1, null, v7, v1, s1
	s_delay_alu instid0(VALU_DEP_2) | instskip(SKIP_1) | instid1(VALU_DEP_2)
	v_add_co_u32 v0, s1, v0, v2
	s_wait_alu 0xf1ff
	v_add_co_ci_u32_e64 v1, null, v1, v3, s1
	s_and_saveexec_b32 s1, vcc_lo
	s_cbranch_execz .LBB1537_176
; %bb.175:
	flat_store_b64 v[0:1], v[9:10]
.LBB1537_176:
	s_wait_alu 0xfffe
	s_or_b32 exec_lo, exec_lo, s1
	s_and_saveexec_b32 s1, s0
	s_cbranch_execz .LBB1537_178
; %bb.177:
	flat_store_b64 v[0:1], v[11:12] offset:2048
.LBB1537_178:
	s_wait_alu 0xfffe
	s_or_b32 exec_lo, exec_lo, s1
                                        ; implicit-def: $vgpr15_vgpr16
                                        ; implicit-def: $vgpr8_vgpr9
                                        ; implicit-def: $vgpr98
                                        ; implicit-def: $vgpr0
                                        ; implicit-def: $vgpr1
                                        ; implicit-def: $vgpr2
                                        ; implicit-def: $vgpr3
                                        ; implicit-def: $vgpr4
                                        ; implicit-def: $vgpr5
                                        ; implicit-def: $vgpr6
                                        ; implicit-def: $vgpr7
                                        ; implicit-def: $vgpr10
                                        ; implicit-def: $vgpr11
                                        ; implicit-def: $vgpr12
                                        ; implicit-def: $vgpr13
                                        ; implicit-def: $vgpr14
                                        ; implicit-def: $vgpr30
.LBB1537_179:
	s_wait_alu 0xfffe
	s_and_not1_saveexec_b32 s0, s14
	s_cbranch_execz .LBB1537_199
; %bb.180:
	v_and_b32_e32 v18, 0xffffffe0, v15
	s_mov_b32 s0, -1
	s_delay_alu instid0(VALU_DEP_1) | instskip(NEXT) | instid1(VALU_DEP_1)
	v_or_b32_e32 v16, v30, v18
	v_cmp_lt_u32_e32 vcc_lo, v16, v98
	s_and_saveexec_b32 s1, vcc_lo
	s_cbranch_execz .LBB1537_182
; %bb.181:
	v_add_co_u32 v0, s0, v0, v8
	s_wait_alu 0xf1fe
	v_add_co_ci_u32_e64 v1, null, 0, v1, s0
	s_delay_alu instid0(VALU_DEP_2) | instskip(SKIP_1) | instid1(VALU_DEP_2)
	v_add_co_u32 v0, s0, v0, v30
	s_wait_alu 0xf1ff
	v_add_co_ci_u32_e64 v1, null, 0, v1, s0
	s_delay_alu instid0(VALU_DEP_2) | instskip(SKIP_1) | instid1(VALU_DEP_2)
	v_add_co_u32 v0, s0, v0, v18
	s_wait_alu 0xf1ff
	v_add_co_ci_u32_e64 v1, null, 0, v1, s0
	flat_load_u8 v0, v[0:1]
	s_wait_loadcnt_dscnt 0x0
	v_and_b32_e32 v0, 1, v0
	s_delay_alu instid0(VALU_DEP_1)
	v_cmp_eq_u32_e64 s0, 1, v0
	s_xor_b32 s0, s0, -1
	s_wait_alu 0xfffe
	s_or_not1_b32 s0, s0, exec_lo
.LBB1537_182:
	s_wait_alu 0xfffe
	s_or_b32 exec_lo, exec_lo, s1
	v_lshlrev_b64_e32 v[0:1], 3, v[8:9]
                                        ; implicit-def: $vgpr16_vgpr17
	s_and_saveexec_b32 s1, vcc_lo
	s_cbranch_execz .LBB1537_184
; %bb.183:
	v_mov_b32_e32 v19, 0
	v_lshlrev_b32_e32 v9, 3, v30
	s_delay_alu instid0(VALU_DEP_3) | instskip(SKIP_3) | instid1(VALU_DEP_3)
	v_add_co_u32 v16, vcc_lo, v4, v0
	s_wait_alu 0xfffd
	v_add_co_ci_u32_e64 v17, null, v5, v1, vcc_lo
	v_lshlrev_b64_e32 v[4:5], 3, v[18:19]
	v_add_co_u32 v9, vcc_lo, v16, v9
	s_wait_alu 0xfffd
	s_delay_alu instid0(VALU_DEP_3) | instskip(NEXT) | instid1(VALU_DEP_2)
	v_add_co_ci_u32_e64 v16, null, 0, v17, vcc_lo
	v_add_co_u32 v4, vcc_lo, v9, v4
	s_wait_alu 0xfffd
	s_delay_alu instid0(VALU_DEP_2)
	v_add_co_ci_u32_e64 v5, null, v16, v5, vcc_lo
	flat_load_b64 v[16:17], v[4:5]
.LBB1537_184:
	s_wait_alu 0xfffe
	s_or_b32 exec_lo, exec_lo, s1
	v_lshl_add_u32 v4, v14, 5, v12
	s_getpc_b64 s[2:3]
	s_wait_alu 0xfffe
	s_sext_i32_i16 s3, s3
	s_add_co_u32 s2, s2, _ZN7rocprim17ROCPRIM_400000_NS16block_radix_sortIbLj256ELj1ElLj1ELj1ELj8ELNS0_26block_radix_rank_algorithmE2ELNS0_18block_padding_hintE2ELNS0_4arch9wavefront6targetE0EE19radix_bits_per_passE@rel32@lo+12
	s_wait_alu 0xfffe
	s_add_co_ci_u32 s3, s3, _ZN7rocprim17ROCPRIM_400000_NS16block_radix_sortIbLj256ELj1ElLj1ELj1ELj8ELNS0_26block_radix_rank_algorithmE2ELNS0_18block_padding_hintE2ELNS0_4arch9wavefront6targetE0EE19radix_bits_per_passE@rel32@hi+24
	v_and_b32_e32 v5, 15, v30
	s_load_b32 s14, s[2:3], 0x0
	v_sub_co_u32 v28, s2, v30, 1
	v_add_nc_u32_e32 v9, 32, v4
	v_add_nc_u32_e32 v20, 36, v4
	;; [unrolled: 1-line block ×8, first 2 shown]
	v_and_b32_e32 v4, 0x3e0, v14
	v_cndmask_b32_e64 v37, 0, 1, s0
	v_cmp_eq_u32_e32 vcc_lo, 0, v5
	v_cmp_lt_u32_e64 s0, 1, v5
	v_cmp_lt_u32_e64 s1, 3, v5
	v_min_u32_e32 v18, 0xe0, v4
	v_and_b32_e32 v19, 16, v30
	v_cmp_lt_u32_e64 s3, 7, v5
	v_cmp_gt_i32_e64 s5, 0, v28
	v_or_b32_e32 v4, v30, v4
	v_or_b32_e32 v5, 31, v18
	v_lshrrev_b32_e32 v18, 3, v14
	v_cmp_eq_u32_e64 s4, 0, v19
	s_wait_alu 0xf1ff
	v_cndmask_b32_e64 v19, v28, v30, s5
	v_add_nc_u32_e32 v32, v12, v4
	v_cmp_eq_u32_e64 s5, v14, v5
	v_and_b32_e32 v5, 0x7c, v18
	v_mul_u32_u24_e32 v4, 7, v4
	v_lshrrev_b32_e32 v27, 5, v15
	v_cmp_gt_u32_e64 s6, 8, v14
	v_cmp_lt_u32_e64 s7, 31, v14
	v_add_nc_u32_e32 v29, v12, v5
	v_and_b32_e32 v5, 7, v30
	v_lshlrev_b32_e32 v28, 2, v19
	v_cmp_eq_u32_e64 s8, 0, v14
	v_mov_b32_e32 v30, 0
	v_lshl_add_u32 v31, v14, 2, v12
	v_cmp_eq_u32_e64 s9, 0, v5
	v_cmp_lt_u32_e64 s10, 1, v5
	v_cmp_lt_u32_e64 s11, 3, v5
	v_add_nc_u32_e32 v33, -4, v29
	v_add_nc_u32_e32 v34, v32, v4
	v_sub_nc_u32_e32 v35, v11, v10
	s_mov_b32 s15, 0
	s_wait_storecnt 0x0
	s_wait_loadcnt_dscnt 0x0
	s_barrier_signal -1
	s_barrier_wait -1
	global_inv scope:SCOPE_SE
	s_branch .LBB1537_186
.LBB1537_185:                           ;   in Loop: Header=BB1537_186 Depth=1
	s_wait_alu 0xfffe
	s_or_b32 exec_lo, exec_lo, s13
	s_delay_alu instid0(SALU_CYCLE_1)
	s_and_b32 s12, exec_lo, s17
	s_wait_alu 0xfffe
	s_or_b32 s15, s12, s15
	s_wait_alu 0xfffe
	s_and_not1_b32 exec_lo, exec_lo, s15
	s_cbranch_execz .LBB1537_196
.LBB1537_186:                           ; =>This Inner Loop Header: Depth=1
	v_mov_b32_e32 v36, v37
	s_wait_kmcnt 0x0
	v_min_u32_e32 v5, s14, v35
	ds_store_b32 v9, v30
	ds_store_b32 v20, v30
	;; [unrolled: 1-line block ×6, first 2 shown]
	v_and_b32_e32 v4, 0xff, v36
	ds_store_b32 v25, v30
	ds_store_b32 v26, v30
	s_wait_loadcnt_dscnt 0x0
	s_barrier_signal -1
	s_barrier_wait -1
	v_lshrrev_b32_e32 v4, v10, v4
	global_inv scope:SCOPE_SE
	; wave barrier
	v_bfe_u32 v18, v4, 0, v5
	s_delay_alu instid0(VALU_DEP_1) | instskip(SKIP_2) | instid1(VALU_DEP_1)
	v_add_co_u32 v19, s12, v18, -1
	s_wait_alu 0xf1ff
	v_cndmask_b32_e64 v4, 0, 1, s12
	v_cmp_ne_u32_e64 s12, 0, v4
	v_dual_mov_b32 v4, v16 :: v_dual_mov_b32 v5, v17
	v_lshlrev_b32_e32 v17, 3, v18
	s_wait_alu 0xf1ff
	s_delay_alu instid0(VALU_DEP_3) | instskip(NEXT) | instid1(VALU_DEP_2)
	v_xor_b32_e32 v16, s12, v19
	v_add_lshl_u32 v17, v17, v27, 2
	s_delay_alu instid0(VALU_DEP_2) | instskip(NEXT) | instid1(VALU_DEP_2)
	v_and_b32_e32 v18, exec_lo, v16
	v_add_co_u32 v17, null, v12, v17
	s_delay_alu instid0(VALU_DEP_2) | instskip(SKIP_1) | instid1(VALU_DEP_3)
	v_mbcnt_lo_u32_b32 v16, v18, 0
	v_cmp_ne_u32_e64 s13, 0, v18
	v_add_co_u32 v17, null, v17, 32
	s_delay_alu instid0(VALU_DEP_3)
	v_cmp_eq_u32_e64 s12, 0, v16
	s_and_b32 s13, s13, s12
	s_wait_alu 0xfffe
	s_and_saveexec_b32 s12, s13
; %bb.187:                              ;   in Loop: Header=BB1537_186 Depth=1
	v_bcnt_u32_b32 v18, v18, 0
	ds_store_b32 v17, v18
; %bb.188:                              ;   in Loop: Header=BB1537_186 Depth=1
	s_wait_alu 0xfffe
	s_or_b32 exec_lo, exec_lo, s12
	; wave barrier
	s_wait_loadcnt_dscnt 0x0
	s_barrier_signal -1
	s_barrier_wait -1
	global_inv scope:SCOPE_SE
	ds_load_b32 v19, v9
	ds_load_b32 v37, v20
	;; [unrolled: 1-line block ×8, first 2 shown]
	s_wait_dscnt 0x6
	v_add_nc_u32_e32 v51, v37, v19
	s_wait_dscnt 0x4
	s_delay_alu instid0(VALU_DEP_1) | instskip(SKIP_1) | instid1(VALU_DEP_1)
	v_add3_u32 v51, v51, v38, v39
	s_wait_dscnt 0x2
	v_add3_u32 v51, v51, v48, v49
	s_wait_dscnt 0x0
	s_delay_alu instid0(VALU_DEP_1) | instskip(NEXT) | instid1(VALU_DEP_1)
	v_add3_u32 v50, v51, v18, v50
	v_mov_b32_dpp v51, v50 row_shr:1 row_mask:0xf bank_mask:0xf
	s_wait_alu 0xfffd
	s_delay_alu instid0(VALU_DEP_1) | instskip(NEXT) | instid1(VALU_DEP_1)
	v_cndmask_b32_e64 v51, v51, 0, vcc_lo
	v_add_nc_u32_e32 v50, v51, v50
	s_delay_alu instid0(VALU_DEP_1) | instskip(NEXT) | instid1(VALU_DEP_1)
	v_mov_b32_dpp v51, v50 row_shr:2 row_mask:0xf bank_mask:0xf
	v_cndmask_b32_e64 v51, 0, v51, s0
	s_delay_alu instid0(VALU_DEP_1) | instskip(NEXT) | instid1(VALU_DEP_1)
	v_add_nc_u32_e32 v50, v50, v51
	v_mov_b32_dpp v51, v50 row_shr:4 row_mask:0xf bank_mask:0xf
	s_delay_alu instid0(VALU_DEP_1) | instskip(NEXT) | instid1(VALU_DEP_1)
	v_cndmask_b32_e64 v51, 0, v51, s1
	v_add_nc_u32_e32 v50, v50, v51
	s_delay_alu instid0(VALU_DEP_1) | instskip(NEXT) | instid1(VALU_DEP_1)
	v_mov_b32_dpp v51, v50 row_shr:8 row_mask:0xf bank_mask:0xf
	v_cndmask_b32_e64 v51, 0, v51, s3
	s_delay_alu instid0(VALU_DEP_1) | instskip(SKIP_3) | instid1(VALU_DEP_1)
	v_add_nc_u32_e32 v50, v50, v51
	ds_swizzle_b32 v51, v50 offset:swizzle(BROADCAST,32,15)
	s_wait_dscnt 0x0
	v_cndmask_b32_e64 v51, v51, 0, s4
	v_add_nc_u32_e32 v50, v50, v51
	s_and_saveexec_b32 s12, s5
; %bb.189:                              ;   in Loop: Header=BB1537_186 Depth=1
	ds_store_b32 v29, v50
; %bb.190:                              ;   in Loop: Header=BB1537_186 Depth=1
	s_wait_alu 0xfffe
	s_or_b32 exec_lo, exec_lo, s12
	s_wait_loadcnt_dscnt 0x0
	s_barrier_signal -1
	s_barrier_wait -1
	global_inv scope:SCOPE_SE
	s_and_saveexec_b32 s12, s6
	s_cbranch_execz .LBB1537_192
; %bb.191:                              ;   in Loop: Header=BB1537_186 Depth=1
	ds_load_b32 v51, v31
	s_wait_dscnt 0x0
	v_mov_b32_dpp v52, v51 row_shr:1 row_mask:0xf bank_mask:0xf
	s_delay_alu instid0(VALU_DEP_1) | instskip(NEXT) | instid1(VALU_DEP_1)
	v_cndmask_b32_e64 v52, v52, 0, s9
	v_add_nc_u32_e32 v51, v52, v51
	s_delay_alu instid0(VALU_DEP_1) | instskip(NEXT) | instid1(VALU_DEP_1)
	v_mov_b32_dpp v52, v51 row_shr:2 row_mask:0xf bank_mask:0xf
	v_cndmask_b32_e64 v52, 0, v52, s10
	s_delay_alu instid0(VALU_DEP_1) | instskip(NEXT) | instid1(VALU_DEP_1)
	v_add_nc_u32_e32 v51, v51, v52
	v_mov_b32_dpp v52, v51 row_shr:4 row_mask:0xf bank_mask:0xf
	s_delay_alu instid0(VALU_DEP_1) | instskip(NEXT) | instid1(VALU_DEP_1)
	v_cndmask_b32_e64 v52, 0, v52, s11
	v_add_nc_u32_e32 v51, v51, v52
	ds_store_b32 v31, v51
.LBB1537_192:                           ;   in Loop: Header=BB1537_186 Depth=1
	s_wait_alu 0xfffe
	s_or_b32 exec_lo, exec_lo, s12
	v_mov_b32_e32 v51, 0
	s_wait_loadcnt_dscnt 0x0
	s_barrier_signal -1
	s_barrier_wait -1
	global_inv scope:SCOPE_SE
	s_and_saveexec_b32 s12, s7
; %bb.193:                              ;   in Loop: Header=BB1537_186 Depth=1
	ds_load_b32 v51, v33
; %bb.194:                              ;   in Loop: Header=BB1537_186 Depth=1
	s_wait_alu 0xfffe
	s_or_b32 exec_lo, exec_lo, s12
	s_wait_dscnt 0x0
	v_add_nc_u32_e32 v50, v51, v50
	v_add_nc_u32_e32 v10, 8, v10
	s_mov_b32 s17, -1
	ds_bpermute_b32 v50, v28, v50
	s_wait_dscnt 0x0
	v_cndmask_b32_e64 v50, v50, v51, s2
	s_delay_alu instid0(VALU_DEP_1) | instskip(NEXT) | instid1(VALU_DEP_1)
	v_cndmask_b32_e64 v50, v50, 0, s8
	v_add_nc_u32_e32 v19, v50, v19
	s_delay_alu instid0(VALU_DEP_1) | instskip(SKIP_4) | instid1(VALU_DEP_1)
	v_add_nc_u32_e32 v37, v19, v37
	ds_store_b32 v9, v50
	ds_store_b32 v20, v19
	;; [unrolled: 1-line block ×3, first 2 shown]
	v_add_nc_u32_e32 v38, v37, v38
                                        ; implicit-def: $vgpr37
	v_add_nc_u32_e32 v39, v38, v39
	s_delay_alu instid0(VALU_DEP_1) | instskip(NEXT) | instid1(VALU_DEP_1)
	v_add_nc_u32_e32 v48, v39, v48
	v_add_nc_u32_e32 v49, v48, v49
	s_delay_alu instid0(VALU_DEP_1)
	v_add_nc_u32_e32 v18, v49, v18
	ds_store_b32 v22, v38
	ds_store_b32 v23, v39
	;; [unrolled: 1-line block ×5, first 2 shown]
	s_wait_loadcnt_dscnt 0x0
	s_barrier_signal -1
	s_barrier_wait -1
	global_inv scope:SCOPE_SE
	ds_load_b32 v17, v17
	s_wait_loadcnt_dscnt 0x0
	v_add_nc_u32_e32 v38, v17, v16
                                        ; implicit-def: $vgpr16_vgpr17
	s_delay_alu instid0(VALU_DEP_1)
	v_add_co_u32 v18, s13, v12, v38
	s_wait_alu 0xf1ff
	v_add_co_ci_u32_e64 v19, null, 0, v13, s13
	s_mov_b32 s13, exec_lo
	v_cmpx_lt_u32_e64 v10, v11
	s_cbranch_execz .LBB1537_185
; %bb.195:                              ;   in Loop: Header=BB1537_186 Depth=1
	v_mad_co_u64_u32 v[16:17], null, v38, 7, v[18:19]
	s_barrier_signal -1
	s_barrier_wait -1
	global_inv scope:SCOPE_SE
	ds_store_b8 v18, v36
	s_wait_loadcnt_dscnt 0x0
	s_barrier_signal -1
	s_barrier_wait -1
	global_inv scope:SCOPE_SE
	ds_load_u8 v37, v32
	s_wait_loadcnt_dscnt 0x0
	s_barrier_signal -1
	s_barrier_wait -1
	global_inv scope:SCOPE_SE
	ds_store_b64 v16, v[4:5]
	s_wait_loadcnt_dscnt 0x0
	s_barrier_signal -1
	s_barrier_wait -1
	global_inv scope:SCOPE_SE
	ds_load_b64 v[16:17], v34
	v_add_nc_u32_e32 v35, -8, v35
	s_xor_b32 s17, exec_lo, -1
	s_wait_loadcnt_dscnt 0x0
	s_barrier_signal -1
	s_barrier_wait -1
	global_inv scope:SCOPE_SE
	s_branch .LBB1537_185
.LBB1537_196:
	s_or_b32 exec_lo, exec_lo, s15
	v_mad_co_u64_u32 v[10:11], null, v38, 7, v[18:19]
	v_add_nc_u32_e32 v12, v12, v14
	v_mul_u32_u24_e32 v11, 7, v14
	s_barrier_signal -1
	s_barrier_wait -1
	s_wait_loadcnt 0x0
	global_inv scope:SCOPE_SE
	ds_store_b8 v18, v36
	s_wait_loadcnt_dscnt 0x0
	s_barrier_signal -1
	s_barrier_wait -1
	global_inv scope:SCOPE_SE
	ds_load_u8 v9, v12
	s_wait_loadcnt_dscnt 0x0
	s_barrier_signal -1
	s_barrier_wait -1
	global_inv scope:SCOPE_SE
	ds_store_b64 v10, v[4:5]
	v_add_nc_u32_e32 v4, v12, v11
	s_wait_loadcnt_dscnt 0x0
	s_barrier_signal -1
	s_barrier_wait -1
	global_inv scope:SCOPE_SE
	ds_load_b64 v[4:5], v4
	s_mov_b32 s0, exec_lo
	s_wait_loadcnt_dscnt 0x0
	s_barrier_signal -1
	s_barrier_wait -1
	global_inv scope:SCOPE_SE
	v_cmpx_lt_u32_e64 v15, v98
	s_cbranch_execz .LBB1537_198
; %bb.197:
	v_mov_b32_e32 v16, 0
	v_add_co_u32 v6, vcc_lo, v6, v0
	s_wait_alu 0xfffd
	v_add_co_ci_u32_e64 v7, null, v7, v1, vcc_lo
	v_add_co_u32 v2, vcc_lo, v2, v8
	v_lshlrev_b64_e32 v[0:1], 3, v[15:16]
	s_wait_alu 0xfffd
	v_add_co_ci_u32_e64 v3, null, 0, v3, vcc_lo
	s_delay_alu instid0(VALU_DEP_3) | instskip(SKIP_2) | instid1(VALU_DEP_3)
	v_add_co_u32 v2, vcc_lo, v2, v15
	v_xor_b32_e32 v8, 1, v9
	s_wait_alu 0xfffd
	v_add_co_ci_u32_e64 v3, null, 0, v3, vcc_lo
	v_add_co_u32 v0, vcc_lo, v6, v0
	s_wait_alu 0xfffd
	v_add_co_ci_u32_e64 v1, null, v7, v1, vcc_lo
	flat_store_b8 v[2:3], v8
	flat_store_b64 v[0:1], v[4:5]
.LBB1537_198:
	s_wait_alu 0xfffe
	s_or_b32 exec_lo, exec_lo, s0
.LBB1537_199:
	s_wait_alu 0xfffe
	s_or_b32 exec_lo, exec_lo, s16
	s_wait_loadcnt_dscnt 0x0
	s_setpc_b64 s[30:31]
.Lfunc_end1537:
	.size	_ZN7rocprim17ROCPRIM_400000_NS6detail40segmented_radix_sort_single_block_helperIblLj256ELj8ELb1EE4sortIPKbPbPKlPlEEbT_T0_T1_T2_jjjjRNS3_12storage_typeE, .Lfunc_end1537-_ZN7rocprim17ROCPRIM_400000_NS6detail40segmented_radix_sort_single_block_helperIblLj256ELj8ELb1EE4sortIPKbPbPKlPlEEbT_T0_T1_T2_jjjjRNS3_12storage_typeE
                                        ; -- End function
	.set .L_ZN7rocprim17ROCPRIM_400000_NS6detail40segmented_radix_sort_single_block_helperIblLj256ELj8ELb1EE4sortIPKbPbPKlPlEEbT_T0_T1_T2_jjjjRNS3_12storage_typeE.num_vgpr, 197
	.set .L_ZN7rocprim17ROCPRIM_400000_NS6detail40segmented_radix_sort_single_block_helperIblLj256ELj8ELb1EE4sortIPKbPbPKlPlEEbT_T0_T1_T2_jjjjRNS3_12storage_typeE.num_agpr, 0
	.set .L_ZN7rocprim17ROCPRIM_400000_NS6detail40segmented_radix_sort_single_block_helperIblLj256ELj8ELb1EE4sortIPKbPbPKlPlEEbT_T0_T1_T2_jjjjRNS3_12storage_typeE.numbered_sgpr, 32
	.set .L_ZN7rocprim17ROCPRIM_400000_NS6detail40segmented_radix_sort_single_block_helperIblLj256ELj8ELb1EE4sortIPKbPbPKlPlEEbT_T0_T1_T2_jjjjRNS3_12storage_typeE.num_named_barrier, 0
	.set .L_ZN7rocprim17ROCPRIM_400000_NS6detail40segmented_radix_sort_single_block_helperIblLj256ELj8ELb1EE4sortIPKbPbPKlPlEEbT_T0_T1_T2_jjjjRNS3_12storage_typeE.private_seg_size, 0
	.set .L_ZN7rocprim17ROCPRIM_400000_NS6detail40segmented_radix_sort_single_block_helperIblLj256ELj8ELb1EE4sortIPKbPbPKlPlEEbT_T0_T1_T2_jjjjRNS3_12storage_typeE.uses_vcc, 1
	.set .L_ZN7rocprim17ROCPRIM_400000_NS6detail40segmented_radix_sort_single_block_helperIblLj256ELj8ELb1EE4sortIPKbPbPKlPlEEbT_T0_T1_T2_jjjjRNS3_12storage_typeE.uses_flat_scratch, 0
	.set .L_ZN7rocprim17ROCPRIM_400000_NS6detail40segmented_radix_sort_single_block_helperIblLj256ELj8ELb1EE4sortIPKbPbPKlPlEEbT_T0_T1_T2_jjjjRNS3_12storage_typeE.has_dyn_sized_stack, 0
	.set .L_ZN7rocprim17ROCPRIM_400000_NS6detail40segmented_radix_sort_single_block_helperIblLj256ELj8ELb1EE4sortIPKbPbPKlPlEEbT_T0_T1_T2_jjjjRNS3_12storage_typeE.has_recursion, 0
	.set .L_ZN7rocprim17ROCPRIM_400000_NS6detail40segmented_radix_sort_single_block_helperIblLj256ELj8ELb1EE4sortIPKbPbPKlPlEEbT_T0_T1_T2_jjjjRNS3_12storage_typeE.has_indirect_call, 0
	.section	.AMDGPU.csdata,"",@progbits
; Function info:
; codeLenInByte = 15036
; TotalNumSgprs: 34
; NumVgprs: 197
; ScratchSize: 0
; MemoryBound: 1
	.section	.text._ZN7rocprim17ROCPRIM_400000_NS6detail17trampoline_kernelINS0_14default_configENS1_36segmented_radix_sort_config_selectorIblEEZNS1_25segmented_radix_sort_implIS3_Lb1EPKbPbPKlPlN2at6native12_GLOBAL__N_18offset_tEEE10hipError_tPvRmT1_PNSt15iterator_traitsISK_E10value_typeET2_T3_PNSL_ISQ_E10value_typeET4_jRbjT5_SW_jjP12ihipStream_tbEUlT_E_NS1_11comp_targetILNS1_3genE10ELNS1_11target_archE1201ELNS1_3gpuE5ELNS1_3repE0EEENS1_30default_config_static_selectorELNS0_4arch9wavefront6targetE0EEEvSK_,"axG",@progbits,_ZN7rocprim17ROCPRIM_400000_NS6detail17trampoline_kernelINS0_14default_configENS1_36segmented_radix_sort_config_selectorIblEEZNS1_25segmented_radix_sort_implIS3_Lb1EPKbPbPKlPlN2at6native12_GLOBAL__N_18offset_tEEE10hipError_tPvRmT1_PNSt15iterator_traitsISK_E10value_typeET2_T3_PNSL_ISQ_E10value_typeET4_jRbjT5_SW_jjP12ihipStream_tbEUlT_E_NS1_11comp_targetILNS1_3genE10ELNS1_11target_archE1201ELNS1_3gpuE5ELNS1_3repE0EEENS1_30default_config_static_selectorELNS0_4arch9wavefront6targetE0EEEvSK_,comdat
	.globl	_ZN7rocprim17ROCPRIM_400000_NS6detail17trampoline_kernelINS0_14default_configENS1_36segmented_radix_sort_config_selectorIblEEZNS1_25segmented_radix_sort_implIS3_Lb1EPKbPbPKlPlN2at6native12_GLOBAL__N_18offset_tEEE10hipError_tPvRmT1_PNSt15iterator_traitsISK_E10value_typeET2_T3_PNSL_ISQ_E10value_typeET4_jRbjT5_SW_jjP12ihipStream_tbEUlT_E_NS1_11comp_targetILNS1_3genE10ELNS1_11target_archE1201ELNS1_3gpuE5ELNS1_3repE0EEENS1_30default_config_static_selectorELNS0_4arch9wavefront6targetE0EEEvSK_ ; -- Begin function _ZN7rocprim17ROCPRIM_400000_NS6detail17trampoline_kernelINS0_14default_configENS1_36segmented_radix_sort_config_selectorIblEEZNS1_25segmented_radix_sort_implIS3_Lb1EPKbPbPKlPlN2at6native12_GLOBAL__N_18offset_tEEE10hipError_tPvRmT1_PNSt15iterator_traitsISK_E10value_typeET2_T3_PNSL_ISQ_E10value_typeET4_jRbjT5_SW_jjP12ihipStream_tbEUlT_E_NS1_11comp_targetILNS1_3genE10ELNS1_11target_archE1201ELNS1_3gpuE5ELNS1_3repE0EEENS1_30default_config_static_selectorELNS0_4arch9wavefront6targetE0EEEvSK_
	.p2align	8
	.type	_ZN7rocprim17ROCPRIM_400000_NS6detail17trampoline_kernelINS0_14default_configENS1_36segmented_radix_sort_config_selectorIblEEZNS1_25segmented_radix_sort_implIS3_Lb1EPKbPbPKlPlN2at6native12_GLOBAL__N_18offset_tEEE10hipError_tPvRmT1_PNSt15iterator_traitsISK_E10value_typeET2_T3_PNSL_ISQ_E10value_typeET4_jRbjT5_SW_jjP12ihipStream_tbEUlT_E_NS1_11comp_targetILNS1_3genE10ELNS1_11target_archE1201ELNS1_3gpuE5ELNS1_3repE0EEENS1_30default_config_static_selectorELNS0_4arch9wavefront6targetE0EEEvSK_,@function
_ZN7rocprim17ROCPRIM_400000_NS6detail17trampoline_kernelINS0_14default_configENS1_36segmented_radix_sort_config_selectorIblEEZNS1_25segmented_radix_sort_implIS3_Lb1EPKbPbPKlPlN2at6native12_GLOBAL__N_18offset_tEEE10hipError_tPvRmT1_PNSt15iterator_traitsISK_E10value_typeET2_T3_PNSL_ISQ_E10value_typeET4_jRbjT5_SW_jjP12ihipStream_tbEUlT_E_NS1_11comp_targetILNS1_3genE10ELNS1_11target_archE1201ELNS1_3gpuE5ELNS1_3repE0EEENS1_30default_config_static_selectorELNS0_4arch9wavefront6targetE0EEEvSK_: ; @_ZN7rocprim17ROCPRIM_400000_NS6detail17trampoline_kernelINS0_14default_configENS1_36segmented_radix_sort_config_selectorIblEEZNS1_25segmented_radix_sort_implIS3_Lb1EPKbPbPKlPlN2at6native12_GLOBAL__N_18offset_tEEE10hipError_tPvRmT1_PNSt15iterator_traitsISK_E10value_typeET2_T3_PNSL_ISQ_E10value_typeET4_jRbjT5_SW_jjP12ihipStream_tbEUlT_E_NS1_11comp_targetILNS1_3genE10ELNS1_11target_archE1201ELNS1_3gpuE5ELNS1_3repE0EEENS1_30default_config_static_selectorELNS0_4arch9wavefront6targetE0EEEvSK_
; %bb.0:
	s_clause 0x1
	s_load_b64 s[8:9], s[0:1], 0x38
	s_load_b128 s[4:7], s[0:1], 0x40
	s_mov_b32 s2, ttmp9
	s_mov_b32 s3, 0
	s_mov_b32 s32, 0
	s_lshl_b64 s[2:3], s[2:3], 2
	s_wait_kmcnt 0x0
	s_add_nc_u64 s[2:3], s[8:9], s[2:3]
	s_load_b32 s2, s[2:3], 0x0
	s_wait_kmcnt 0x0
	s_add_co_i32 s33, s2, s5
	s_add_co_i32 s34, s2, s7
	s_mul_i32 s33, s33, s4
	s_mul_i32 s34, s34, s6
	s_delay_alu instid0(SALU_CYCLE_1)
	s_cmp_le_u32 s34, s33
	s_cbranch_scc1 .LBB1538_670
; %bb.1:
	s_clause 0x3
	s_load_b32 s2, s[0:1], 0x30
	s_load_b128 s[24:27], s[0:1], 0x20
	s_load_b96 s[44:46], s[0:1], 0x50
	s_load_b256 s[36:43], s[0:1], 0x0
	s_wait_kmcnt 0x0
	s_bitcmp1_b32 s2, 0
	s_mov_b32 s2, -1
	s_cselect_b32 s35, -1, 0
	s_sub_co_i32 s47, s34, s33
	s_delay_alu instid0(SALU_CYCLE_1)
	s_cmp_lt_u32 s47, 0x801
	s_cbranch_scc0 .LBB1538_7
; %bb.2:
	v_cndmask_b32_e64 v1, 0, 1, s35
	s_and_b32 s2, s44, 1
	s_delay_alu instid0(VALU_DEP_1) | instid1(SALU_CYCLE_1)
	v_cmp_ne_u32_e32 vcc_lo, s2, v1
	s_mov_b32 s2, -1
	s_cbranch_vccnz .LBB1538_4
; %bb.3:
	s_mov_b64 s[2:3], src_shared_base
	v_dual_mov_b32 v31, v0 :: v_dual_mov_b32 v40, v0
	v_dual_mov_b32 v0, s36 :: v_dual_mov_b32 v1, s37
	v_dual_mov_b32 v2, s40 :: v_dual_mov_b32 v3, s41
	v_dual_mov_b32 v4, s42 :: v_dual_mov_b32 v5, s43
	v_dual_mov_b32 v6, s26 :: v_dual_mov_b32 v7, s27
	v_dual_mov_b32 v8, s33 :: v_dual_mov_b32 v9, s34
	v_dual_mov_b32 v10, s45 :: v_dual_mov_b32 v11, s46
	s_wait_alu 0xfffe
	v_dual_mov_b32 v12, 0 :: v_dual_mov_b32 v13, s3
	s_add_nc_u64 s[8:9], s[0:1], 0x60
	s_getpc_b64 s[4:5]
	s_sext_i32_i16 s5, s5
	s_add_co_u32 s4, s4, _ZN7rocprim17ROCPRIM_400000_NS6detail40segmented_radix_sort_single_block_helperIblLj256ELj8ELb1EE4sortIPKbPbPKlPlEEbT_T0_T1_T2_jjjjRNS3_12storage_typeE@rel32@lo+8
	s_add_co_ci_u32 s5, s5, _ZN7rocprim17ROCPRIM_400000_NS6detail40segmented_radix_sort_single_block_helperIblLj256ELj8ELb1EE4sortIPKbPbPKlPlEEbT_T0_T1_T2_jjjjRNS3_12storage_typeE@rel32@hi+16
	s_mov_b64 s[22:23], s[0:1]
	s_swappc_b64 s[30:31], s[4:5]
	v_mov_b32_e32 v0, v40
	s_mov_b64 s[0:1], s[22:23]
	s_mov_b32 s2, 0
.LBB1538_4:
	s_wait_alu 0xfffe
	s_and_not1_b32 vcc_lo, exec_lo, s2
	s_wait_alu 0xfffe
	s_cbranch_vccnz .LBB1538_6
; %bb.5:
	s_mov_b64 s[2:3], src_shared_base
	v_dual_mov_b32 v31, v0 :: v_dual_mov_b32 v40, v0
	v_dual_mov_b32 v0, s36 :: v_dual_mov_b32 v1, s37
	;; [unrolled: 1-line block ×7, first 2 shown]
	s_wait_alu 0xfffe
	v_dual_mov_b32 v12, 0 :: v_dual_mov_b32 v13, s3
	s_add_nc_u64 s[8:9], s[0:1], 0x60
	s_getpc_b64 s[4:5]
	s_wait_alu 0xfffe
	s_sext_i32_i16 s5, s5
	s_add_co_u32 s4, s4, _ZN7rocprim17ROCPRIM_400000_NS6detail40segmented_radix_sort_single_block_helperIblLj256ELj8ELb1EE4sortIPKbPbPKlPlEEbT_T0_T1_T2_jjjjRNS3_12storage_typeE@rel32@lo+12
	s_wait_alu 0xfffe
	s_add_co_ci_u32 s5, s5, _ZN7rocprim17ROCPRIM_400000_NS6detail40segmented_radix_sort_single_block_helperIblLj256ELj8ELb1EE4sortIPKbPbPKlPlEEbT_T0_T1_T2_jjjjRNS3_12storage_typeE@rel32@hi+24
	s_mov_b64 s[22:23], s[0:1]
	s_wait_alu 0xfffe
	s_swappc_b64 s[30:31], s[4:5]
	v_mov_b32_e32 v0, v40
	s_mov_b64 s[0:1], s[22:23]
.LBB1538_6:
	s_mov_b32 s2, 0
.LBB1538_7:
	s_wait_alu 0xfffe
	s_and_not1_b32 vcc_lo, exec_lo, s2
	s_wait_alu 0xfffe
	s_cbranch_vccnz .LBB1538_670
; %bb.8:
	s_cmp_ge_u32 s45, s46
	s_cbranch_scc1 .LBB1538_670
; %bb.9:
	v_and_b32_e32 v1, 0x3ff, v0
	v_dual_mov_b32 v61, 1 :: v_dual_and_b32 v2, 3, v0
	v_lshrrev_b32_e32 v4, 3, v0
	v_mbcnt_lo_u32_b32 v58, -1, 0
	s_delay_alu instid0(VALU_DEP_4) | instskip(NEXT) | instid1(VALU_DEP_4)
	v_or_b32_e32 v5, 31, v1
	v_lshlrev_b32_e32 v39, 2, v2
	v_lshlrev_b32_e32 v2, 3, v1
	v_and_b32_e32 v38, 28, v4
	v_lshlrev_b32_e32 v4, 5, v1
	v_cmp_eq_u32_e64 s3, v1, v5
	v_dual_mov_b32 v3, 0 :: v_dual_lshlrev_b32 v28, 2, v1
	v_and_b32_e32 v2, 0x700, v2
	s_delay_alu instid0(VALU_DEP_4) | instskip(SKIP_2) | instid1(VALU_DEP_4)
	v_sub_nc_u32_e32 v46, 0, v4
	v_lshlrev_b32_e32 v66, 3, v58
	v_add_co_u32 v32, s2, s40, v1
	v_lshlrev_b32_e32 v5, 3, v2
	v_mad_u32_u24 v40, v1, 12, v28
	v_or_b32_e32 v68, v58, v2
	v_or_b32_e32 v29, 0x100, v1
	;; [unrolled: 1-line block ×3, first 2 shown]
	v_add_co_u32 v4, s8, s26, v5
	s_wait_alu 0xf1ff
	v_add_co_ci_u32_e64 v6, null, s27, 0, s8
	v_add_co_u32 v7, s8, s40, v2
	s_wait_alu 0xf1ff
	v_add_co_ci_u32_e64 v8, null, s41, 0, s8
	;; [unrolled: 3-line block ×6, first 2 shown]
	v_add_co_u32 v56, s8, s42, v5
	v_add_co_u32 v69, vcc_lo, v4, v66
	s_wait_alu 0xf1ff
	v_add_co_ci_u32_e64 v57, null, s43, 0, s8
	v_add_co_u32 v59, s8, s36, v2
	s_wait_alu 0xfffd
	v_add_co_ci_u32_e64 v70, null, 0, v6, vcc_lo
	v_add_co_u32 v78, vcc_lo, v7, v58
	v_or_b32_e32 v31, 0x300, v1
	v_add_co_ci_u32_e64 v33, null, s41, 0, s2
	v_or_b32_e32 v34, 0x400, v1
	v_or_b32_e32 v35, 0x500, v1
	;; [unrolled: 1-line block ×4, first 2 shown]
	v_cmp_gt_u32_e64 s2, 0x100, v1
	v_or_b32_e32 v41, 0x4400, v38
	v_cmp_gt_u32_e64 s4, 8, v1
	v_add_nc_u32_e32 v42, 0x4400, v28
	v_cmp_lt_u32_e64 s5, 31, v1
	v_add_nc_u32_e32 v43, 0x43fc, v38
	v_bfe_u32 v44, v0, 20, 10
	v_bfe_u32 v0, v0, 10, 10
	v_mad_u32_u24 v45, v1, 20, v40
	v_cmp_eq_u32_e64 s6, 0, v1
	v_cmp_ne_u32_e64 s7, 0xff, v1
	v_mul_u32_u24_e32 v47, 7, v1
	s_wait_alu 0xf1ff
	v_add_co_ci_u32_e64 v60, null, s37, 0, s8
	v_and_b32_e32 v62, 15, v58
	v_bfe_i32 v63, v58, 4, 1
	v_and_b32_e32 v64, 16, v58
	v_and_b32_e32 v65, 7, v58
	v_sub_co_u32 v67, s8, v58, 1
	v_or_b32_e32 v71, 32, v68
	v_or_b32_e32 v72, 64, v68
	;; [unrolled: 1-line block ×7, first 2 shown]
	s_wait_alu 0xfffd
	v_add_co_ci_u32_e64 v79, null, 0, v8, vcc_lo
	s_add_nc_u64 s[28:29], s[0:1], 0x60
	s_mov_b32 s31, 0
	s_mov_b32 s23, s45
	s_branch .LBB1538_12
.LBB1538_10:                            ;   in Loop: Header=BB1538_12 Depth=1
	s_wait_loadcnt_dscnt 0x0
	s_barrier_signal -1
	s_barrier_wait -1
.LBB1538_11:                            ;   in Loop: Header=BB1538_12 Depth=1
	s_add_co_i32 s23, s23, 8
	global_inv scope:SCOPE_SE
	s_wait_alu 0xfffe
	s_cmp_ge_u32 s23, s46
	s_cbranch_scc1 .LBB1538_670
.LBB1538_12:                            ; =>This Loop Header: Depth=1
                                        ;     Child Loop BB1538_16 Depth 2
                                        ;     Child Loop BB1538_64 Depth 2
                                        ;     Child Loop BB1538_180 Depth 2
                                        ;     Child Loop BB1538_228 Depth 2
                                        ;     Child Loop BB1538_346 Depth 2
                                        ;     Child Loop BB1538_394 Depth 2
                                        ;     Child Loop BB1538_510 Depth 2
                                        ;     Child Loop BB1538_558 Depth 2
	s_wait_alu 0xfffe
	s_sub_co_i32 s0, s46, s23
	s_xor_b32 s35, s35, -1
	s_wait_alu 0xfffe
	s_min_u32 s0, s0, 8
	ds_store_2addr_stride64_b32 v28, v3, v3 offset1:4
	s_wait_alu 0xfffe
	s_lshl_b32 s0, -1, s0
	ds_store_2addr_stride64_b32 v28, v3, v3 offset0:8 offset1:12
	s_wait_alu 0xfffe
	s_not_b32 s42, s0
	s_cmp_lg_u32 s23, s45
	s_mov_b32 s0, -1
	s_wait_storecnt_dscnt 0x0
	s_cbranch_scc0 .LBB1538_342
; %bb.13:                               ;   in Loop: Header=BB1538_12 Depth=1
	s_and_b32 vcc_lo, exec_lo, s35
	s_wait_alu 0xfffe
	s_cbranch_vccz .LBB1538_177
; %bb.14:                               ;   in Loop: Header=BB1538_12 Depth=1
	v_dual_mov_b32 v7, 0 :: v_dual_mov_b32 v10, 0
	v_dual_mov_b32 v9, 0 :: v_dual_mov_b32 v8, 0
	;; [unrolled: 1-line block ×3, first 2 shown]
	v_mov_b32_e32 v4, 0
	v_mov_b32_e32 v2, 0
	s_mov_b32 s9, s47
	s_mov_b32 s30, s33
	s_barrier_signal -1
	s_barrier_wait -1
	global_inv scope:SCOPE_SE
	s_branch .LBB1538_16
.LBB1538_15:                            ;   in Loop: Header=BB1538_16 Depth=2
	s_wait_alu 0xfffe
	s_or_b32 exec_lo, exec_lo, s0
	s_addk_co_i32 s9, 0xf800
	s_cmp_ge_u32 s10, s34
	s_mov_b32 s30, s10
	s_cbranch_scc1 .LBB1538_52
.LBB1538_16:                            ;   Parent Loop BB1538_12 Depth=1
                                        ; =>  This Inner Loop Header: Depth=2
	s_wait_alu 0xfffe
	s_add_co_i32 s10, s30, 0x800
	s_mov_b32 s0, -1
	s_wait_alu 0xfffe
	s_cmp_gt_u32 s10, s34
                                        ; implicit-def: $vgpr11
                                        ; implicit-def: $vgpr12
                                        ; implicit-def: $vgpr13
                                        ; implicit-def: $vgpr14
                                        ; implicit-def: $vgpr15
                                        ; implicit-def: $vgpr16
                                        ; implicit-def: $vgpr17
                                        ; implicit-def: $vgpr18
	s_cbranch_scc1 .LBB1538_18
; %bb.17:                               ;   in Loop: Header=BB1538_16 Depth=2
	v_add_co_u32 v19, vcc_lo, v32, s30
	s_wait_alu 0xfffd
	v_add_co_ci_u32_e64 v20, null, 0, v33, vcc_lo
	s_mov_b32 s0, 0
	s_clause 0x7
	global_load_u8 v18, v[19:20], off offset:1792
	global_load_u8 v17, v[19:20], off offset:1536
	;; [unrolled: 1-line block ×7, first 2 shown]
	global_load_u8 v11, v[19:20], off
.LBB1538_18:                            ;   in Loop: Header=BB1538_16 Depth=2
	s_wait_alu 0xfffe
	s_and_not1_b32 vcc_lo, exec_lo, s0
	s_movk_i32 s0, 0x800
	s_wait_alu 0xfffe
	s_cbranch_vccnz .LBB1538_29
; %bb.19:                               ;   in Loop: Header=BB1538_16 Depth=2
	s_add_nc_u64 s[0:1], s[40:41], s[30:31]
	s_mov_b32 s11, exec_lo
	v_cmpx_gt_u32_e64 s9, v1
	s_cbranch_execnz .LBB1538_45
; %bb.20:                               ;   in Loop: Header=BB1538_16 Depth=2
	s_wait_alu 0xfffe
	s_or_b32 exec_lo, exec_lo, s11
	s_delay_alu instid0(SALU_CYCLE_1)
	s_mov_b32 s11, exec_lo
	v_cmpx_gt_u32_e64 s9, v29
	s_cbranch_execnz .LBB1538_46
.LBB1538_21:                            ;   in Loop: Header=BB1538_16 Depth=2
	s_wait_alu 0xfffe
	s_or_b32 exec_lo, exec_lo, s11
	s_delay_alu instid0(SALU_CYCLE_1)
	s_mov_b32 s11, exec_lo
	v_cmpx_gt_u32_e64 s9, v30
	s_cbranch_execnz .LBB1538_47
.LBB1538_22:                            ;   in Loop: Header=BB1538_16 Depth=2
	s_wait_alu 0xfffe
	s_or_b32 exec_lo, exec_lo, s11
	s_delay_alu instid0(SALU_CYCLE_1)
	s_mov_b32 s11, exec_lo
	v_cmpx_gt_u32_e64 s9, v31
	s_cbranch_execnz .LBB1538_48
.LBB1538_23:                            ;   in Loop: Header=BB1538_16 Depth=2
	s_wait_alu 0xfffe
	s_or_b32 exec_lo, exec_lo, s11
	s_delay_alu instid0(SALU_CYCLE_1)
	s_mov_b32 s11, exec_lo
	v_cmpx_gt_u32_e64 s9, v34
	s_cbranch_execnz .LBB1538_49
.LBB1538_24:                            ;   in Loop: Header=BB1538_16 Depth=2
	s_wait_alu 0xfffe
	s_or_b32 exec_lo, exec_lo, s11
	s_delay_alu instid0(SALU_CYCLE_1)
	s_mov_b32 s11, exec_lo
	v_cmpx_gt_u32_e64 s9, v35
	s_cbranch_execnz .LBB1538_50
.LBB1538_25:                            ;   in Loop: Header=BB1538_16 Depth=2
	s_wait_alu 0xfffe
	s_or_b32 exec_lo, exec_lo, s11
	s_delay_alu instid0(SALU_CYCLE_1)
	s_mov_b32 s11, exec_lo
	v_cmpx_gt_u32_e64 s9, v36
	s_cbranch_execnz .LBB1538_51
.LBB1538_26:                            ;   in Loop: Header=BB1538_16 Depth=2
	s_wait_alu 0xfffe
	s_or_b32 exec_lo, exec_lo, s11
	s_delay_alu instid0(SALU_CYCLE_1)
	s_mov_b32 s11, exec_lo
	v_cmpx_gt_u32_e64 s9, v37
	s_cbranch_execz .LBB1538_28
.LBB1538_27:                            ;   in Loop: Header=BB1538_16 Depth=2
	s_wait_loadcnt 0x0
	v_add_co_u32 v11, s0, s0, v1
	s_wait_alu 0xf1ff
	v_add_co_ci_u32_e64 v12, null, s1, 0, s0
	global_load_u8 v2, v[11:12], off offset:1792
.LBB1538_28:                            ;   in Loop: Header=BB1538_16 Depth=2
	s_wait_alu 0xfffe
	s_or_b32 exec_lo, exec_lo, s11
	s_wait_loadcnt 0x0
	v_dual_mov_b32 v11, v7 :: v_dual_mov_b32 v12, v10
	v_dual_mov_b32 v13, v9 :: v_dual_mov_b32 v14, v8
	;; [unrolled: 1-line block ×4, first 2 shown]
	s_mov_b32 s0, s9
.LBB1538_29:                            ;   in Loop: Header=BB1538_16 Depth=2
	s_wait_loadcnt 0x5
	s_delay_alu instid0(VALU_DEP_1)
	v_dual_mov_b32 v2, v18 :: v_dual_mov_b32 v5, v16
	s_wait_loadcnt 0x2
	v_dual_mov_b32 v4, v17 :: v_dual_mov_b32 v9, v13
	s_wait_loadcnt 0x0
	v_dual_mov_b32 v6, v15 :: v_dual_mov_b32 v7, v11
	v_mov_b32_e32 v8, v14
	v_mov_b32_e32 v10, v12
	s_mov_b32 s1, exec_lo
	s_wait_alu 0xfffe
	v_cmpx_gt_u32_e64 s0, v1
	s_cbranch_execnz .LBB1538_37
; %bb.30:                               ;   in Loop: Header=BB1538_16 Depth=2
	s_or_b32 exec_lo, exec_lo, s1
	s_delay_alu instid0(SALU_CYCLE_1)
	s_mov_b32 s1, exec_lo
	v_cmpx_gt_u32_e64 s0, v29
	s_cbranch_execnz .LBB1538_38
.LBB1538_31:                            ;   in Loop: Header=BB1538_16 Depth=2
	s_wait_alu 0xfffe
	s_or_b32 exec_lo, exec_lo, s1
	s_delay_alu instid0(SALU_CYCLE_1)
	s_mov_b32 s1, exec_lo
	v_cmpx_gt_u32_e64 s0, v30
	s_cbranch_execnz .LBB1538_39
.LBB1538_32:                            ;   in Loop: Header=BB1538_16 Depth=2
	s_wait_alu 0xfffe
	s_or_b32 exec_lo, exec_lo, s1
	s_delay_alu instid0(SALU_CYCLE_1)
	s_mov_b32 s1, exec_lo
	v_cmpx_gt_u32_e64 s0, v31
	s_cbranch_execnz .LBB1538_40
.LBB1538_33:                            ;   in Loop: Header=BB1538_16 Depth=2
	s_wait_alu 0xfffe
	s_or_b32 exec_lo, exec_lo, s1
	s_delay_alu instid0(SALU_CYCLE_1)
	s_mov_b32 s1, exec_lo
	v_cmpx_gt_u32_e64 s0, v34
	s_cbranch_execnz .LBB1538_41
.LBB1538_34:                            ;   in Loop: Header=BB1538_16 Depth=2
	s_wait_alu 0xfffe
	s_or_b32 exec_lo, exec_lo, s1
	s_delay_alu instid0(SALU_CYCLE_1)
	s_mov_b32 s1, exec_lo
	v_cmpx_gt_u32_e64 s0, v35
	s_cbranch_execnz .LBB1538_42
.LBB1538_35:                            ;   in Loop: Header=BB1538_16 Depth=2
	s_wait_alu 0xfffe
	s_or_b32 exec_lo, exec_lo, s1
	s_delay_alu instid0(SALU_CYCLE_1)
	s_mov_b32 s1, exec_lo
	v_cmpx_gt_u32_e64 s0, v36
	s_cbranch_execnz .LBB1538_43
.LBB1538_36:                            ;   in Loop: Header=BB1538_16 Depth=2
	s_wait_alu 0xfffe
	s_or_b32 exec_lo, exec_lo, s1
	v_cmp_gt_u32_e32 vcc_lo, s0, v37
	s_and_saveexec_b32 s0, vcc_lo
	s_cbranch_execz .LBB1538_15
	s_branch .LBB1538_44
.LBB1538_37:                            ;   in Loop: Header=BB1538_16 Depth=2
	v_xor_b32_e32 v11, -1, v7
	s_delay_alu instid0(VALU_DEP_1) | instskip(NEXT) | instid1(VALU_DEP_1)
	v_and_b32_e32 v11, 1, v11
	v_and_b32_e32 v11, 0xffff, v11
	s_delay_alu instid0(VALU_DEP_1) | instskip(NEXT) | instid1(VALU_DEP_1)
	v_lshrrev_b32_e32 v11, s23, v11
	v_and_b32_e32 v11, s42, v11
	s_delay_alu instid0(VALU_DEP_1) | instskip(SKIP_2) | instid1(SALU_CYCLE_1)
	v_lshl_or_b32 v11, v11, 4, v39
	ds_add_u32 v11, v61
	s_or_b32 exec_lo, exec_lo, s1
	s_mov_b32 s1, exec_lo
	v_cmpx_gt_u32_e64 s0, v29
	s_cbranch_execz .LBB1538_31
.LBB1538_38:                            ;   in Loop: Header=BB1538_16 Depth=2
	v_xor_b32_e32 v11, -1, v10
	s_delay_alu instid0(VALU_DEP_1) | instskip(NEXT) | instid1(VALU_DEP_1)
	v_and_b32_e32 v11, 1, v11
	v_and_b32_e32 v11, 0xffff, v11
	s_delay_alu instid0(VALU_DEP_1) | instskip(NEXT) | instid1(VALU_DEP_1)
	v_lshrrev_b32_e32 v11, s23, v11
	v_and_b32_e32 v11, s42, v11
	s_delay_alu instid0(VALU_DEP_1) | instskip(SKIP_3) | instid1(SALU_CYCLE_1)
	v_lshl_or_b32 v11, v11, 4, v39
	ds_add_u32 v11, v61
	s_wait_alu 0xfffe
	s_or_b32 exec_lo, exec_lo, s1
	s_mov_b32 s1, exec_lo
	v_cmpx_gt_u32_e64 s0, v30
	s_cbranch_execz .LBB1538_32
.LBB1538_39:                            ;   in Loop: Header=BB1538_16 Depth=2
	v_xor_b32_e32 v11, -1, v9
	s_delay_alu instid0(VALU_DEP_1) | instskip(NEXT) | instid1(VALU_DEP_1)
	v_and_b32_e32 v11, 1, v11
	v_and_b32_e32 v11, 0xffff, v11
	s_delay_alu instid0(VALU_DEP_1) | instskip(NEXT) | instid1(VALU_DEP_1)
	v_lshrrev_b32_e32 v11, s23, v11
	v_and_b32_e32 v11, s42, v11
	s_delay_alu instid0(VALU_DEP_1) | instskip(SKIP_3) | instid1(SALU_CYCLE_1)
	v_lshl_or_b32 v11, v11, 4, v39
	ds_add_u32 v11, v61
	s_wait_alu 0xfffe
	s_or_b32 exec_lo, exec_lo, s1
	s_mov_b32 s1, exec_lo
	v_cmpx_gt_u32_e64 s0, v31
	s_cbranch_execz .LBB1538_33
.LBB1538_40:                            ;   in Loop: Header=BB1538_16 Depth=2
	v_xor_b32_e32 v11, -1, v8
	s_delay_alu instid0(VALU_DEP_1) | instskip(NEXT) | instid1(VALU_DEP_1)
	v_and_b32_e32 v11, 1, v11
	v_and_b32_e32 v11, 0xffff, v11
	s_delay_alu instid0(VALU_DEP_1) | instskip(NEXT) | instid1(VALU_DEP_1)
	v_lshrrev_b32_e32 v11, s23, v11
	v_and_b32_e32 v11, s42, v11
	s_delay_alu instid0(VALU_DEP_1) | instskip(SKIP_3) | instid1(SALU_CYCLE_1)
	v_lshl_or_b32 v11, v11, 4, v39
	ds_add_u32 v11, v61
	s_wait_alu 0xfffe
	s_or_b32 exec_lo, exec_lo, s1
	s_mov_b32 s1, exec_lo
	v_cmpx_gt_u32_e64 s0, v34
	s_cbranch_execz .LBB1538_34
.LBB1538_41:                            ;   in Loop: Header=BB1538_16 Depth=2
	v_xor_b32_e32 v11, -1, v6
	s_delay_alu instid0(VALU_DEP_1) | instskip(NEXT) | instid1(VALU_DEP_1)
	v_and_b32_e32 v11, 1, v11
	v_and_b32_e32 v11, 0xffff, v11
	s_delay_alu instid0(VALU_DEP_1) | instskip(NEXT) | instid1(VALU_DEP_1)
	v_lshrrev_b32_e32 v11, s23, v11
	v_and_b32_e32 v11, s42, v11
	s_delay_alu instid0(VALU_DEP_1) | instskip(SKIP_3) | instid1(SALU_CYCLE_1)
	v_lshl_or_b32 v11, v11, 4, v39
	ds_add_u32 v11, v61
	s_wait_alu 0xfffe
	s_or_b32 exec_lo, exec_lo, s1
	s_mov_b32 s1, exec_lo
	v_cmpx_gt_u32_e64 s0, v35
	s_cbranch_execz .LBB1538_35
.LBB1538_42:                            ;   in Loop: Header=BB1538_16 Depth=2
	v_xor_b32_e32 v11, -1, v5
	s_delay_alu instid0(VALU_DEP_1) | instskip(NEXT) | instid1(VALU_DEP_1)
	v_and_b32_e32 v11, 1, v11
	v_and_b32_e32 v11, 0xffff, v11
	s_delay_alu instid0(VALU_DEP_1) | instskip(NEXT) | instid1(VALU_DEP_1)
	v_lshrrev_b32_e32 v11, s23, v11
	v_and_b32_e32 v11, s42, v11
	s_delay_alu instid0(VALU_DEP_1) | instskip(SKIP_3) | instid1(SALU_CYCLE_1)
	v_lshl_or_b32 v11, v11, 4, v39
	ds_add_u32 v11, v61
	s_wait_alu 0xfffe
	s_or_b32 exec_lo, exec_lo, s1
	s_mov_b32 s1, exec_lo
	v_cmpx_gt_u32_e64 s0, v36
	s_cbranch_execz .LBB1538_36
.LBB1538_43:                            ;   in Loop: Header=BB1538_16 Depth=2
	v_xor_b32_e32 v11, -1, v4
	s_delay_alu instid0(VALU_DEP_1) | instskip(NEXT) | instid1(VALU_DEP_1)
	v_and_b32_e32 v11, 1, v11
	v_and_b32_e32 v11, 0xffff, v11
	s_delay_alu instid0(VALU_DEP_1) | instskip(NEXT) | instid1(VALU_DEP_1)
	v_lshrrev_b32_e32 v11, s23, v11
	v_and_b32_e32 v11, s42, v11
	s_delay_alu instid0(VALU_DEP_1)
	v_lshl_or_b32 v11, v11, 4, v39
	ds_add_u32 v11, v61
	s_wait_alu 0xfffe
	s_or_b32 exec_lo, exec_lo, s1
	v_cmp_gt_u32_e32 vcc_lo, s0, v37
	s_and_saveexec_b32 s0, vcc_lo
	s_cbranch_execz .LBB1538_15
.LBB1538_44:                            ;   in Loop: Header=BB1538_16 Depth=2
	v_xor_b32_e32 v11, -1, v2
	s_delay_alu instid0(VALU_DEP_1) | instskip(NEXT) | instid1(VALU_DEP_1)
	v_and_b32_e32 v11, 1, v11
	v_and_b32_e32 v11, 0xffff, v11
	s_delay_alu instid0(VALU_DEP_1) | instskip(NEXT) | instid1(VALU_DEP_1)
	v_lshrrev_b32_e32 v11, s23, v11
	v_and_b32_e32 v11, s42, v11
	s_delay_alu instid0(VALU_DEP_1)
	v_lshl_or_b32 v11, v11, 4, v39
	ds_add_u32 v11, v61
	s_branch .LBB1538_15
.LBB1538_45:                            ;   in Loop: Header=BB1538_16 Depth=2
	s_wait_loadcnt 0x0
	s_wait_alu 0xfffe
	v_add_co_u32 v11, s12, s0, v1
	s_wait_alu 0xf1ff
	v_add_co_ci_u32_e64 v12, null, s1, 0, s12
	global_load_u8 v7, v[11:12], off
	s_or_b32 exec_lo, exec_lo, s11
	s_delay_alu instid0(SALU_CYCLE_1)
	s_mov_b32 s11, exec_lo
	v_cmpx_gt_u32_e64 s9, v29
	s_cbranch_execz .LBB1538_21
.LBB1538_46:                            ;   in Loop: Header=BB1538_16 Depth=2
	v_add_co_u32 v10, s12, s0, v1
	s_wait_loadcnt 0x0
	s_wait_alu 0xf1ff
	v_add_co_ci_u32_e64 v11, null, s1, 0, s12
	global_load_u8 v10, v[10:11], off offset:256
	s_wait_alu 0xfffe
	s_or_b32 exec_lo, exec_lo, s11
	s_delay_alu instid0(SALU_CYCLE_1)
	s_mov_b32 s11, exec_lo
	v_cmpx_gt_u32_e64 s9, v30
	s_cbranch_execz .LBB1538_22
.LBB1538_47:                            ;   in Loop: Header=BB1538_16 Depth=2
	s_wait_loadcnt 0x0
	v_add_co_u32 v11, s12, s0, v1
	s_wait_alu 0xf1ff
	v_add_co_ci_u32_e64 v12, null, s1, 0, s12
	global_load_u8 v9, v[11:12], off offset:512
	s_wait_alu 0xfffe
	s_or_b32 exec_lo, exec_lo, s11
	s_delay_alu instid0(SALU_CYCLE_1)
	s_mov_b32 s11, exec_lo
	v_cmpx_gt_u32_e64 s9, v31
	s_cbranch_execz .LBB1538_23
.LBB1538_48:                            ;   in Loop: Header=BB1538_16 Depth=2
	s_wait_loadcnt 0x0
	v_add_co_u32 v11, s12, s0, v1
	s_wait_alu 0xf1ff
	v_add_co_ci_u32_e64 v12, null, s1, 0, s12
	global_load_u8 v8, v[11:12], off offset:768
	s_wait_alu 0xfffe
	s_or_b32 exec_lo, exec_lo, s11
	s_delay_alu instid0(SALU_CYCLE_1)
	s_mov_b32 s11, exec_lo
	v_cmpx_gt_u32_e64 s9, v34
	s_cbranch_execz .LBB1538_24
.LBB1538_49:                            ;   in Loop: Header=BB1538_16 Depth=2
	s_wait_loadcnt 0x0
	v_add_co_u32 v11, s12, s0, v1
	s_wait_alu 0xf1ff
	v_add_co_ci_u32_e64 v12, null, s1, 0, s12
	global_load_u8 v6, v[11:12], off offset:1024
	s_wait_alu 0xfffe
	s_or_b32 exec_lo, exec_lo, s11
	s_delay_alu instid0(SALU_CYCLE_1)
	s_mov_b32 s11, exec_lo
	v_cmpx_gt_u32_e64 s9, v35
	s_cbranch_execz .LBB1538_25
.LBB1538_50:                            ;   in Loop: Header=BB1538_16 Depth=2
	s_wait_loadcnt 0x0
	v_add_co_u32 v11, s12, s0, v1
	s_wait_alu 0xf1ff
	v_add_co_ci_u32_e64 v12, null, s1, 0, s12
	global_load_u8 v5, v[11:12], off offset:1280
	s_wait_alu 0xfffe
	s_or_b32 exec_lo, exec_lo, s11
	s_delay_alu instid0(SALU_CYCLE_1)
	s_mov_b32 s11, exec_lo
	v_cmpx_gt_u32_e64 s9, v36
	s_cbranch_execz .LBB1538_26
.LBB1538_51:                            ;   in Loop: Header=BB1538_16 Depth=2
	s_wait_loadcnt 0x0
	v_add_co_u32 v11, s12, s0, v1
	s_wait_alu 0xf1ff
	v_add_co_ci_u32_e64 v12, null, s1, 0, s12
	global_load_u8 v4, v[11:12], off offset:1536
	s_wait_alu 0xfffe
	s_or_b32 exec_lo, exec_lo, s11
	s_delay_alu instid0(SALU_CYCLE_1)
	s_mov_b32 s11, exec_lo
	v_cmpx_gt_u32_e64 s9, v37
	s_cbranch_execnz .LBB1538_27
	s_branch .LBB1538_28
.LBB1538_52:                            ;   in Loop: Header=BB1538_12 Depth=1
	v_mov_b32_e32 v2, 0
	s_wait_dscnt 0x0
	s_barrier_signal -1
	s_barrier_wait -1
	global_inv scope:SCOPE_SE
	s_and_saveexec_b32 s0, s2
	s_cbranch_execz .LBB1538_54
; %bb.53:                               ;   in Loop: Header=BB1538_12 Depth=1
	ds_load_2addr_b64 v[4:7], v40 offset1:1
	s_wait_dscnt 0x0
	v_add_nc_u32_e32 v2, v5, v4
	s_delay_alu instid0(VALU_DEP_1)
	v_add3_u32 v2, v2, v6, v7
.LBB1538_54:                            ;   in Loop: Header=BB1538_12 Depth=1
	s_wait_alu 0xfffe
	s_or_b32 exec_lo, exec_lo, s0
	s_delay_alu instid0(VALU_DEP_1)
	v_mov_b32_dpp v4, v2 row_shr:1 row_mask:0xf bank_mask:0xf
	v_cmp_eq_u32_e64 s0, 0, v62
	v_cmp_lt_u32_e64 s1, 1, v62
	v_cmp_lt_u32_e64 s9, 3, v62
	;; [unrolled: 1-line block ×3, first 2 shown]
	v_cmp_eq_u32_e64 s11, 0, v64
	s_wait_alu 0xf1ff
	v_cndmask_b32_e64 v4, v4, 0, s0
	s_delay_alu instid0(VALU_DEP_1) | instskip(NEXT) | instid1(VALU_DEP_1)
	v_add_nc_u32_e32 v2, v4, v2
	v_mov_b32_dpp v4, v2 row_shr:2 row_mask:0xf bank_mask:0xf
	s_delay_alu instid0(VALU_DEP_1) | instskip(NEXT) | instid1(VALU_DEP_1)
	v_cndmask_b32_e64 v4, 0, v4, s1
	v_add_nc_u32_e32 v2, v2, v4
	s_delay_alu instid0(VALU_DEP_1) | instskip(NEXT) | instid1(VALU_DEP_1)
	v_mov_b32_dpp v4, v2 row_shr:4 row_mask:0xf bank_mask:0xf
	v_cndmask_b32_e64 v4, 0, v4, s9
	s_delay_alu instid0(VALU_DEP_1) | instskip(NEXT) | instid1(VALU_DEP_1)
	v_add_nc_u32_e32 v2, v2, v4
	v_mov_b32_dpp v4, v2 row_shr:8 row_mask:0xf bank_mask:0xf
	s_delay_alu instid0(VALU_DEP_1) | instskip(NEXT) | instid1(VALU_DEP_1)
	v_cndmask_b32_e64 v4, 0, v4, s10
	v_add_nc_u32_e32 v2, v2, v4
	ds_swizzle_b32 v4, v2 offset:swizzle(BROADCAST,32,15)
	s_wait_dscnt 0x0
	v_and_b32_e32 v4, v63, v4
	s_delay_alu instid0(VALU_DEP_1)
	v_add_nc_u32_e32 v2, v2, v4
	s_and_saveexec_b32 s12, s3
; %bb.55:                               ;   in Loop: Header=BB1538_12 Depth=1
	ds_store_b32 v41, v2
; %bb.56:                               ;   in Loop: Header=BB1538_12 Depth=1
	s_wait_alu 0xfffe
	s_or_b32 exec_lo, exec_lo, s12
	s_wait_loadcnt_dscnt 0x0
	s_barrier_signal -1
	s_barrier_wait -1
	global_inv scope:SCOPE_SE
	s_and_saveexec_b32 s12, s4
	s_cbranch_execz .LBB1538_58
; %bb.57:                               ;   in Loop: Header=BB1538_12 Depth=1
	ds_load_b32 v4, v42
	v_cmp_ne_u32_e32 vcc_lo, 0, v65
	s_wait_dscnt 0x0
	v_mov_b32_dpp v5, v4 row_shr:1 row_mask:0xf bank_mask:0xf
	s_wait_alu 0xfffd
	s_delay_alu instid0(VALU_DEP_1) | instskip(SKIP_1) | instid1(VALU_DEP_2)
	v_cndmask_b32_e32 v5, 0, v5, vcc_lo
	v_cmp_lt_u32_e32 vcc_lo, 1, v65
	v_add_nc_u32_e32 v4, v5, v4
	s_delay_alu instid0(VALU_DEP_1) | instskip(SKIP_1) | instid1(VALU_DEP_1)
	v_mov_b32_dpp v5, v4 row_shr:2 row_mask:0xf bank_mask:0xf
	s_wait_alu 0xfffd
	v_cndmask_b32_e32 v5, 0, v5, vcc_lo
	v_cmp_lt_u32_e32 vcc_lo, 3, v65
	s_delay_alu instid0(VALU_DEP_2) | instskip(NEXT) | instid1(VALU_DEP_1)
	v_add_nc_u32_e32 v4, v4, v5
	v_mov_b32_dpp v5, v4 row_shr:4 row_mask:0xf bank_mask:0xf
	s_wait_alu 0xfffd
	s_delay_alu instid0(VALU_DEP_1) | instskip(NEXT) | instid1(VALU_DEP_1)
	v_cndmask_b32_e32 v5, 0, v5, vcc_lo
	v_add_nc_u32_e32 v4, v4, v5
	ds_store_b32 v42, v4
.LBB1538_58:                            ;   in Loop: Header=BB1538_12 Depth=1
	s_wait_alu 0xfffe
	s_or_b32 exec_lo, exec_lo, s12
	v_mov_b32_e32 v4, 0
	s_wait_loadcnt_dscnt 0x0
	s_barrier_signal -1
	s_barrier_wait -1
	global_inv scope:SCOPE_SE
	s_and_saveexec_b32 s12, s5
; %bb.59:                               ;   in Loop: Header=BB1538_12 Depth=1
	ds_load_b32 v4, v43
; %bb.60:                               ;   in Loop: Header=BB1538_12 Depth=1
	s_wait_alu 0xfffe
	s_or_b32 exec_lo, exec_lo, s12
	v_cmp_gt_i32_e32 vcc_lo, 0, v67
	s_wait_dscnt 0x0
	v_add_nc_u32_e32 v2, v4, v2
	s_wait_loadcnt 0x0
	s_barrier_signal -1
	s_barrier_wait -1
	s_wait_alu 0xfffd
	v_cndmask_b32_e32 v5, v67, v58, vcc_lo
	global_inv scope:SCOPE_SE
	v_lshlrev_b32_e32 v80, 2, v5
	ds_bpermute_b32 v2, v80, v2
	s_and_saveexec_b32 s12, s2
	s_cbranch_execz .LBB1538_62
; %bb.61:                               ;   in Loop: Header=BB1538_12 Depth=1
	s_wait_dscnt 0x0
	v_cndmask_b32_e64 v2, v2, v4, s8
	s_delay_alu instid0(VALU_DEP_1)
	v_add_nc_u32_e32 v2, s33, v2
	ds_store_b32 v28, v2
.LBB1538_62:                            ;   in Loop: Header=BB1538_12 Depth=1
	s_wait_alu 0xfffe
	s_or_b32 exec_lo, exec_lo, s12
	s_clause 0x1
	s_load_b32 s12, s[28:29], 0x4
	s_load_b32 s14, s[28:29], 0xc
	s_mov_b32 s43, s47
                                        ; implicit-def: $vgpr6_vgpr7
                                        ; implicit-def: $vgpr8_vgpr9
                                        ; implicit-def: $vgpr10_vgpr11
                                        ; implicit-def: $vgpr12_vgpr13
                                        ; implicit-def: $vgpr14_vgpr15
                                        ; implicit-def: $vgpr16_vgpr17
                                        ; implicit-def: $vgpr18_vgpr19
                                        ; implicit-def: $vgpr82
                                        ; implicit-def: $vgpr83
                                        ; implicit-def: $vgpr84
                                        ; implicit-def: $vgpr85
                                        ; implicit-def: $vgpr86
                                        ; implicit-def: $vgpr87
                                        ; implicit-def: $vgpr88
                                        ; implicit-def: $vgpr89
	s_wait_kmcnt 0x0
	s_cmp_lt_u32 ttmp7, s12
	s_cselect_b32 s30, 14, 20
	s_wait_alu 0xfffe
	s_add_nc_u64 s[12:13], s[28:29], s[30:31]
	s_mov_b32 s30, s33
	s_load_u16 s12, s[12:13], 0x0
	v_cmp_lt_u32_e64 s13, 1, v65
	s_wait_dscnt 0x0
	s_wait_kmcnt 0x0
	v_mad_u32_u24 v2, v44, s12, v0
	s_and_b32 s12, s14, 0xffff
	v_cmp_lt_u32_e64 s14, 3, v65
	s_wait_alu 0xfffe
	s_delay_alu instid0(VALU_DEP_2) | instskip(SKIP_1) | instid1(VALU_DEP_2)
	v_mad_co_u64_u32 v[4:5], null, v2, s12, v[1:2]
	v_cmp_eq_u32_e64 s12, 0, v65
	v_lshrrev_b32_e32 v2, 3, v4
                                        ; implicit-def: $vgpr4_vgpr5
	s_delay_alu instid0(VALU_DEP_1)
	v_and_b32_e32 v81, 0x1ffffffc, v2
	s_branch .LBB1538_64
.LBB1538_63:                            ;   in Loop: Header=BB1538_64 Depth=2
	s_wait_alu 0xfffe
	s_or_b32 exec_lo, exec_lo, s15
	s_addk_co_i32 s43, 0xf800
	s_cmp_lt_u32 s44, s34
	s_mov_b32 s30, s44
	s_cbranch_scc0 .LBB1538_176
.LBB1538_64:                            ;   Parent Loop BB1538_12 Depth=1
                                        ; =>  This Inner Loop Header: Depth=2
	s_wait_alu 0xfffe
	s_add_co_i32 s44, s30, 0x800
	s_wait_alu 0xfffe
	s_cmp_gt_u32 s44, s34
	s_cbranch_scc1 .LBB1538_66
; %bb.65:                               ;   in Loop: Header=BB1538_64 Depth=2
	v_add_co_u32 v20, vcc_lo, v78, s30
	s_wait_alu 0xfffd
	v_add_co_ci_u32_e64 v21, null, 0, v79, vcc_lo
	s_mov_b32 s15, -1
	s_clause 0x6
	global_load_u8 v25, v[20:21], off offset:192
	global_load_u8 v24, v[20:21], off offset:160
	;; [unrolled: 1-line block ×6, first 2 shown]
	global_load_u8 v27, v[20:21], off
	s_movk_i32 s16, 0x800
                                        ; implicit-def: $vgpr92
	s_cbranch_execz .LBB1538_67
	s_branch .LBB1538_77
.LBB1538_66:                            ;   in Loop: Header=BB1538_64 Depth=2
	s_mov_b32 s15, 0
                                        ; implicit-def: $vgpr27
                                        ; implicit-def: $vgpr91
                                        ; implicit-def: $vgpr22
                                        ; implicit-def: $vgpr26
                                        ; implicit-def: $vgpr23
                                        ; implicit-def: $vgpr24
                                        ; implicit-def: $vgpr25
	s_movk_i32 s16, 0x800
                                        ; implicit-def: $vgpr92
.LBB1538_67:                            ;   in Loop: Header=BB1538_64 Depth=2
	v_add_co_u32 v20, vcc_lo, v78, s30
	s_wait_alu 0xfffd
	v_add_co_ci_u32_e64 v21, null, 0, v79, vcc_lo
	s_wait_loadcnt 0x0
	v_dual_mov_b32 v22, 0 :: v_dual_mov_b32 v27, 0
	v_dual_mov_b32 v26, 0 :: v_dual_mov_b32 v23, 0
	;; [unrolled: 1-line block ×3, first 2 shown]
	v_mov_b32_e32 v92, 0
	s_mov_b32 s15, exec_lo
	v_cmpx_gt_u32_e64 s43, v68
	s_cbranch_execz .LBB1538_69
; %bb.68:                               ;   in Loop: Header=BB1538_64 Depth=2
	global_load_u8 v27, v[20:21], off
	v_dual_mov_b32 v26, 0 :: v_dual_mov_b32 v23, 0
	v_dual_mov_b32 v24, 0 :: v_dual_mov_b32 v25, 0
	v_mov_b32_e32 v92, 0
.LBB1538_69:                            ;   in Loop: Header=BB1538_64 Depth=2
	s_wait_alu 0xfffe
	s_or_b32 exec_lo, exec_lo, s15
	v_mov_b32_e32 v91, v22
	s_mov_b32 s15, exec_lo
	v_cmpx_gt_u32_e64 s43, v71
	s_cbranch_execnz .LBB1538_171
; %bb.70:                               ;   in Loop: Header=BB1538_64 Depth=2
	s_wait_alu 0xfffe
	s_or_b32 exec_lo, exec_lo, s15
	s_delay_alu instid0(SALU_CYCLE_1)
	s_mov_b32 s15, exec_lo
	v_cmpx_gt_u32_e64 s43, v72
	s_cbranch_execnz .LBB1538_172
.LBB1538_71:                            ;   in Loop: Header=BB1538_64 Depth=2
	s_wait_alu 0xfffe
	s_or_b32 exec_lo, exec_lo, s15
	s_delay_alu instid0(SALU_CYCLE_1)
	s_mov_b32 s15, exec_lo
	v_cmpx_gt_u32_e64 s43, v73
	s_cbranch_execnz .LBB1538_173
.LBB1538_72:                            ;   in Loop: Header=BB1538_64 Depth=2
	s_wait_alu 0xfffe
	s_or_b32 exec_lo, exec_lo, s15
	s_delay_alu instid0(SALU_CYCLE_1)
	s_mov_b32 s15, exec_lo
	v_cmpx_gt_u32_e64 s43, v74
	s_cbranch_execnz .LBB1538_174
.LBB1538_73:                            ;   in Loop: Header=BB1538_64 Depth=2
	s_wait_alu 0xfffe
	s_or_b32 exec_lo, exec_lo, s15
	s_delay_alu instid0(SALU_CYCLE_1)
	s_mov_b32 s15, exec_lo
	v_cmpx_gt_u32_e64 s43, v75
	s_cbranch_execnz .LBB1538_175
.LBB1538_74:                            ;   in Loop: Header=BB1538_64 Depth=2
	s_wait_alu 0xfffe
	s_or_b32 exec_lo, exec_lo, s15
	s_delay_alu instid0(SALU_CYCLE_1)
	s_mov_b32 s15, exec_lo
	v_cmpx_gt_u32_e64 s43, v76
	s_cbranch_execz .LBB1538_76
.LBB1538_75:                            ;   in Loop: Header=BB1538_64 Depth=2
	global_load_u8 v25, v[20:21], off offset:192
.LBB1538_76:                            ;   in Loop: Header=BB1538_64 Depth=2
	s_wait_alu 0xfffe
	s_or_b32 exec_lo, exec_lo, s15
	v_cmp_gt_u32_e64 s15, s43, v77
	s_sub_co_i32 s16, s34, s30
.LBB1538_77:                            ;   in Loop: Header=BB1538_64 Depth=2
	v_mov_b32_e32 v2, s43
	s_wait_alu 0xfffe
	s_and_saveexec_b32 s17, s15
	s_cbranch_execz .LBB1538_79
; %bb.78:                               ;   in Loop: Header=BB1538_64 Depth=2
	v_add_co_u32 v20, vcc_lo, v78, s30
	s_wait_alu 0xfffd
	v_add_co_ci_u32_e64 v21, null, s31, v79, vcc_lo
	v_mov_b32_e32 v2, s16
	global_load_u8 v92, v[20:21], off offset:224
.LBB1538_79:                            ;   in Loop: Header=BB1538_64 Depth=2
	s_wait_alu 0xfffe
	s_or_b32 exec_lo, exec_lo, s17
	s_wait_loadcnt 0x0
	v_and_b32_e32 v20, 1, v27
	v_and_b32_e32 v22, 1, v22
	;; [unrolled: 1-line block ×5, first 2 shown]
	v_cmp_eq_u32_e32 vcc_lo, 1, v20
	v_and_b32_e32 v25, 1, v25
	v_and_b32_e32 v92, 1, v92
	v_add_nc_u32_e32 v93, 0x420, v45
	v_add_nc_u32_e32 v94, 0x428, v45
	s_xor_b32 s15, vcc_lo, -1
	v_add_nc_u32_e32 v95, 0x430, v45
	s_wait_alu 0xfffe
	v_cndmask_b32_e64 v90, 0, 1, s15
	v_add_nc_u32_e32 v96, 0x438, v45
	v_cmp_eq_u32_e64 s19, 1, v22
	v_cmp_eq_u32_e64 s18, 1, v26
	;; [unrolled: 1-line block ×3, first 2 shown]
	v_lshrrev_b32_e32 v20, s23, v90
	v_cmp_eq_u32_e64 s16, 1, v24
	ds_store_2addr_b32 v96, v3, v3 offset1:1
	ds_store_2addr_b32 v93, v3, v3 offset1:1
	;; [unrolled: 1-line block ×4, first 2 shown]
	ds_store_b32 v45, v3 offset:1088
	s_wait_dscnt 0x0
	v_and_b32_e32 v21, s42, v20
	v_and_b32_e32 v20, 1, v91
	s_barrier_signal -1
	s_barrier_wait -1
	global_inv scope:SCOPE_SE
	v_add_co_u32 v27, s15, v21, -1
	s_wait_alu 0xf1ff
	v_cndmask_b32_e64 v91, 0, 1, s15
	v_cmp_eq_u32_e64 s20, 1, v20
	v_mul_u32_u24_e32 v21, 36, v21
	v_cmp_eq_u32_e64 s15, 1, v25
	s_delay_alu instid0(VALU_DEP_4) | instskip(NEXT) | instid1(VALU_DEP_3)
	v_cmp_ne_u32_e32 vcc_lo, 0, v91
	; wave barrier
	v_add_nc_u32_e32 v98, v81, v21
	s_wait_alu 0xfffd
	v_xor_b32_e32 v27, vcc_lo, v27
	v_cmp_eq_u32_e32 vcc_lo, 1, v92
	s_delay_alu instid0(VALU_DEP_2) | instskip(NEXT) | instid1(VALU_DEP_1)
	v_and_b32_e32 v20, exec_lo, v27
	v_mbcnt_lo_u32_b32 v91, v20, 0
	v_cmp_ne_u32_e64 s22, 0, v20
	s_delay_alu instid0(VALU_DEP_2)
	v_cmp_eq_u32_e64 s21, 0, v91
	s_and_b32 s22, s22, s21
	s_wait_alu 0xfffe
	s_and_saveexec_b32 s21, s22
; %bb.80:                               ;   in Loop: Header=BB1538_64 Depth=2
	v_bcnt_u32_b32 v20, v20, 0
	ds_store_b32 v98, v20 offset:1056
; %bb.81:                               ;   in Loop: Header=BB1538_64 Depth=2
	s_wait_alu 0xfffe
	s_or_b32 exec_lo, exec_lo, s21
	s_xor_b32 s20, s20, -1
	s_wait_alu 0xfffe
	v_cndmask_b32_e64 v92, 0, 1, s20
	; wave barrier
	s_delay_alu instid0(VALU_DEP_1) | instskip(NEXT) | instid1(VALU_DEP_1)
	v_lshrrev_b32_e32 v20, s23, v92
	v_and_b32_e32 v21, s42, v20
	s_delay_alu instid0(VALU_DEP_1) | instskip(SKIP_2) | instid1(VALU_DEP_1)
	v_add_co_u32 v20, s20, v21, -1
	s_wait_alu 0xf1ff
	v_cndmask_b32_e64 v22, 0, 1, s20
	v_cmp_ne_u32_e64 s20, 0, v22
	v_mad_u32_u24 v22, v21, 36, v81
	v_mul_u32_u24_e32 v21, 36, v21
	s_wait_alu 0xf1ff
	s_delay_alu instid0(VALU_DEP_3) | instskip(SKIP_3) | instid1(VALU_DEP_1)
	v_xor_b32_e32 v20, s20, v20
	ds_load_b32 v97, v22 offset:1056
	v_add_nc_u32_e32 v102, v81, v21
	; wave barrier
	v_and_b32_e32 v20, exec_lo, v20
	v_mbcnt_lo_u32_b32 v99, v20, 0
	v_cmp_ne_u32_e64 s21, 0, v20
	s_delay_alu instid0(VALU_DEP_2)
	v_cmp_eq_u32_e64 s20, 0, v99
	s_and_b32 s21, s21, s20
	s_wait_alu 0xfffe
	s_and_saveexec_b32 s20, s21
	s_cbranch_execz .LBB1538_83
; %bb.82:                               ;   in Loop: Header=BB1538_64 Depth=2
	s_wait_dscnt 0x0
	v_bcnt_u32_b32 v20, v20, v97
	ds_store_b32 v102, v20 offset:1056
.LBB1538_83:                            ;   in Loop: Header=BB1538_64 Depth=2
	s_wait_alu 0xfffe
	s_or_b32 exec_lo, exec_lo, s20
	s_xor_b32 s19, s19, -1
	s_wait_alu 0xfffe
	v_cndmask_b32_e64 v100, 0, 1, s19
	; wave barrier
	s_delay_alu instid0(VALU_DEP_1) | instskip(NEXT) | instid1(VALU_DEP_1)
	v_lshrrev_b32_e32 v20, s23, v100
	v_and_b32_e32 v21, s42, v20
	s_delay_alu instid0(VALU_DEP_1) | instskip(SKIP_2) | instid1(VALU_DEP_1)
	v_add_co_u32 v20, s19, v21, -1
	s_wait_alu 0xf1ff
	v_cndmask_b32_e64 v22, 0, 1, s19
	v_cmp_ne_u32_e64 s19, 0, v22
	v_mad_u32_u24 v22, v21, 36, v81
	v_mul_u32_u24_e32 v21, 36, v21
	s_wait_alu 0xf1ff
	s_delay_alu instid0(VALU_DEP_3) | instskip(SKIP_3) | instid1(VALU_DEP_1)
	v_xor_b32_e32 v20, s19, v20
	ds_load_b32 v101, v22 offset:1056
	v_add_nc_u32_e32 v106, v81, v21
	; wave barrier
	v_and_b32_e32 v20, exec_lo, v20
	v_mbcnt_lo_u32_b32 v103, v20, 0
	v_cmp_ne_u32_e64 s20, 0, v20
	s_delay_alu instid0(VALU_DEP_2)
	v_cmp_eq_u32_e64 s19, 0, v103
	s_and_b32 s20, s20, s19
	s_wait_alu 0xfffe
	s_and_saveexec_b32 s19, s20
	s_cbranch_execz .LBB1538_85
; %bb.84:                               ;   in Loop: Header=BB1538_64 Depth=2
	s_wait_dscnt 0x0
	v_bcnt_u32_b32 v20, v20, v101
	ds_store_b32 v106, v20 offset:1056
.LBB1538_85:                            ;   in Loop: Header=BB1538_64 Depth=2
	;; [unrolled: 36-line block ×6, first 2 shown]
	s_wait_alu 0xfffe
	s_or_b32 exec_lo, exec_lo, s15
	s_xor_b32 s15, vcc_lo, -1
	s_wait_alu 0xfffe
	v_cndmask_b32_e64 v120, 0, 1, s15
	; wave barrier
	s_delay_alu instid0(VALU_DEP_1) | instskip(NEXT) | instid1(VALU_DEP_1)
	v_lshrrev_b32_e32 v20, s23, v120
	v_and_b32_e32 v21, s42, v20
	s_delay_alu instid0(VALU_DEP_1) | instskip(SKIP_2) | instid1(VALU_DEP_1)
	v_add_co_u32 v20, s15, v21, -1
	s_wait_alu 0xf1ff
	v_cndmask_b32_e64 v22, 0, 1, s15
	v_cmp_ne_u32_e32 vcc_lo, 0, v22
	v_mad_u32_u24 v22, v21, 36, v81
	v_mul_u32_u24_e32 v21, 36, v21
	s_wait_alu 0xfffd
	v_xor_b32_e32 v20, vcc_lo, v20
	ds_load_b32 v121, v22 offset:1056
	v_add_nc_u32_e32 v124, v81, v21
	; wave barrier
	v_and_b32_e32 v20, exec_lo, v20
	s_delay_alu instid0(VALU_DEP_1) | instskip(SKIP_1) | instid1(VALU_DEP_2)
	v_mbcnt_lo_u32_b32 v123, v20, 0
	v_cmp_ne_u32_e64 s15, 0, v20
	v_cmp_eq_u32_e32 vcc_lo, 0, v123
	s_and_b32 s16, s15, vcc_lo
	s_wait_alu 0xfffe
	s_and_saveexec_b32 s15, s16
	s_cbranch_execz .LBB1538_95
; %bb.94:                               ;   in Loop: Header=BB1538_64 Depth=2
	s_wait_dscnt 0x0
	v_bcnt_u32_b32 v20, v20, v121
	ds_store_b32 v124, v20 offset:1056
.LBB1538_95:                            ;   in Loop: Header=BB1538_64 Depth=2
	s_wait_alu 0xfffe
	s_or_b32 exec_lo, exec_lo, s15
	; wave barrier
	s_wait_loadcnt_dscnt 0x0
	s_barrier_signal -1
	s_barrier_wait -1
	global_inv scope:SCOPE_SE
	ds_load_2addr_b32 v[26:27], v93 offset1:1
	ds_load_2addr_b32 v[24:25], v94 offset1:1
	;; [unrolled: 1-line block ×4, first 2 shown]
	ds_load_b32 v125, v45 offset:1088
	s_wait_dscnt 0x3
	v_add3_u32 v126, v27, v26, v24
	s_wait_dscnt 0x2
	s_delay_alu instid0(VALU_DEP_1) | instskip(SKIP_1) | instid1(VALU_DEP_1)
	v_add3_u32 v126, v126, v25, v22
	s_wait_dscnt 0x1
	v_add3_u32 v126, v126, v23, v20
	s_wait_dscnt 0x0
	s_delay_alu instid0(VALU_DEP_1) | instskip(NEXT) | instid1(VALU_DEP_1)
	v_add3_u32 v125, v126, v21, v125
	v_mov_b32_dpp v126, v125 row_shr:1 row_mask:0xf bank_mask:0xf
	s_delay_alu instid0(VALU_DEP_1) | instskip(NEXT) | instid1(VALU_DEP_1)
	v_cndmask_b32_e64 v126, v126, 0, s0
	v_add_nc_u32_e32 v125, v126, v125
	s_delay_alu instid0(VALU_DEP_1) | instskip(NEXT) | instid1(VALU_DEP_1)
	v_mov_b32_dpp v126, v125 row_shr:2 row_mask:0xf bank_mask:0xf
	v_cndmask_b32_e64 v126, 0, v126, s1
	s_delay_alu instid0(VALU_DEP_1) | instskip(NEXT) | instid1(VALU_DEP_1)
	v_add_nc_u32_e32 v125, v125, v126
	v_mov_b32_dpp v126, v125 row_shr:4 row_mask:0xf bank_mask:0xf
	s_delay_alu instid0(VALU_DEP_1) | instskip(NEXT) | instid1(VALU_DEP_1)
	v_cndmask_b32_e64 v126, 0, v126, s9
	v_add_nc_u32_e32 v125, v125, v126
	s_delay_alu instid0(VALU_DEP_1) | instskip(NEXT) | instid1(VALU_DEP_1)
	v_mov_b32_dpp v126, v125 row_shr:8 row_mask:0xf bank_mask:0xf
	v_cndmask_b32_e64 v126, 0, v126, s10
	s_delay_alu instid0(VALU_DEP_1) | instskip(SKIP_3) | instid1(VALU_DEP_1)
	v_add_nc_u32_e32 v125, v125, v126
	ds_swizzle_b32 v126, v125 offset:swizzle(BROADCAST,32,15)
	s_wait_dscnt 0x0
	v_cndmask_b32_e64 v126, v126, 0, s11
	v_add_nc_u32_e32 v125, v125, v126
	s_and_saveexec_b32 s15, s3
; %bb.96:                               ;   in Loop: Header=BB1538_64 Depth=2
	ds_store_b32 v38, v125 offset:1024
; %bb.97:                               ;   in Loop: Header=BB1538_64 Depth=2
	s_wait_alu 0xfffe
	s_or_b32 exec_lo, exec_lo, s15
	s_wait_loadcnt_dscnt 0x0
	s_barrier_signal -1
	s_barrier_wait -1
	global_inv scope:SCOPE_SE
	s_and_saveexec_b32 s15, s4
	s_cbranch_execz .LBB1538_99
; %bb.98:                               ;   in Loop: Header=BB1538_64 Depth=2
	v_add_nc_u32_e32 v126, v45, v46
	ds_load_b32 v127, v126 offset:1024
	s_wait_dscnt 0x0
	v_mov_b32_dpp v128, v127 row_shr:1 row_mask:0xf bank_mask:0xf
	s_delay_alu instid0(VALU_DEP_1) | instskip(NEXT) | instid1(VALU_DEP_1)
	v_cndmask_b32_e64 v128, v128, 0, s12
	v_add_nc_u32_e32 v127, v128, v127
	s_delay_alu instid0(VALU_DEP_1) | instskip(NEXT) | instid1(VALU_DEP_1)
	v_mov_b32_dpp v128, v127 row_shr:2 row_mask:0xf bank_mask:0xf
	v_cndmask_b32_e64 v128, 0, v128, s13
	s_delay_alu instid0(VALU_DEP_1) | instskip(NEXT) | instid1(VALU_DEP_1)
	v_add_nc_u32_e32 v127, v127, v128
	v_mov_b32_dpp v128, v127 row_shr:4 row_mask:0xf bank_mask:0xf
	s_delay_alu instid0(VALU_DEP_1) | instskip(NEXT) | instid1(VALU_DEP_1)
	v_cndmask_b32_e64 v128, 0, v128, s14
	v_add_nc_u32_e32 v127, v127, v128
	ds_store_b32 v126, v127 offset:1024
.LBB1538_99:                            ;   in Loop: Header=BB1538_64 Depth=2
	s_wait_alu 0xfffe
	s_or_b32 exec_lo, exec_lo, s15
	v_mov_b32_e32 v126, 0
	s_wait_loadcnt_dscnt 0x0
	s_barrier_signal -1
	s_barrier_wait -1
	global_inv scope:SCOPE_SE
	s_and_saveexec_b32 s15, s5
; %bb.100:                              ;   in Loop: Header=BB1538_64 Depth=2
	ds_load_b32 v126, v38 offset:1020
; %bb.101:                              ;   in Loop: Header=BB1538_64 Depth=2
	s_wait_alu 0xfffe
	s_or_b32 exec_lo, exec_lo, s15
	s_wait_dscnt 0x0
	v_add_nc_u32_e32 v125, v126, v125
	ds_bpermute_b32 v125, v80, v125
	s_wait_dscnt 0x0
	v_cndmask_b32_e64 v125, v125, v126, s8
	s_delay_alu instid0(VALU_DEP_1) | instskip(NEXT) | instid1(VALU_DEP_1)
	v_cndmask_b32_e64 v125, v125, 0, s6
	v_add_nc_u32_e32 v26, v125, v26
	s_delay_alu instid0(VALU_DEP_1) | instskip(NEXT) | instid1(VALU_DEP_1)
	v_add_nc_u32_e32 v27, v26, v27
	v_add_nc_u32_e32 v24, v27, v24
	s_delay_alu instid0(VALU_DEP_1) | instskip(NEXT) | instid1(VALU_DEP_1)
	v_add_nc_u32_e32 v25, v24, v25
	;; [unrolled: 3-line block ×3, first 2 shown]
	v_add_nc_u32_e32 v20, v23, v20
	s_delay_alu instid0(VALU_DEP_1)
	v_add_nc_u32_e32 v21, v20, v21
	ds_store_2addr_b32 v96, v23, v20 offset1:1
	ds_store_2addr_b32 v93, v125, v26 offset1:1
	;; [unrolled: 1-line block ×4, first 2 shown]
	ds_store_b32 v45, v21 offset:1088
	s_wait_loadcnt_dscnt 0x0
	s_barrier_signal -1
	s_barrier_wait -1
	global_inv scope:SCOPE_SE
	ds_load_b32 v20, v98 offset:1056
	ds_load_b32 v21, v102 offset:1056
	;; [unrolled: 1-line block ×9, first 2 shown]
	v_mov_b32_e32 v22, 0x800
	s_and_saveexec_b32 s15, s7
; %bb.102:                              ;   in Loop: Header=BB1538_64 Depth=2
	ds_load_b32 v22, v45 offset:1092
; %bb.103:                              ;   in Loop: Header=BB1538_64 Depth=2
	s_wait_alu 0xfffe
	s_or_b32 exec_lo, exec_lo, s15
	s_wait_loadcnt_dscnt 0x0
	s_barrier_signal -1
	s_barrier_wait -1
	global_inv scope:SCOPE_SE
	s_and_saveexec_b32 s15, s2
	s_cbranch_execz .LBB1538_105
; %bb.104:                              ;   in Loop: Header=BB1538_64 Depth=2
	ds_load_b32 v27, v28
	s_wait_dscnt 0x0
	v_sub_nc_u32_e32 v26, v27, v26
	ds_store_b32 v28, v26
.LBB1538_105:                           ;   in Loop: Header=BB1538_64 Depth=2
	s_wait_alu 0xfffe
	s_or_b32 exec_lo, exec_lo, s15
	v_add_nc_u32_e32 v94, v20, v91
	v_add3_u32 v93, v99, v97, v21
	v_add3_u32 v91, v103, v101, v23
	;; [unrolled: 1-line block ×7, first 2 shown]
	v_cmp_lt_u32_e64 s20, v1, v2
	ds_store_b8 v94, v90 offset:1024
	ds_store_b8 v93, v92 offset:1024
	;; [unrolled: 1-line block ×8, first 2 shown]
	s_wait_loadcnt_dscnt 0x0
	s_barrier_signal -1
	s_barrier_wait -1
	global_inv scope:SCOPE_SE
	s_and_saveexec_b32 s15, s20
	s_cbranch_execnz .LBB1538_142
; %bb.106:                              ;   in Loop: Header=BB1538_64 Depth=2
	s_wait_alu 0xfffe
	s_or_b32 exec_lo, exec_lo, s15
	v_cmp_lt_u32_e64 s21, v29, v2
	s_and_saveexec_b32 s15, s21
	s_cbranch_execnz .LBB1538_143
.LBB1538_107:                           ;   in Loop: Header=BB1538_64 Depth=2
	s_wait_alu 0xfffe
	s_or_b32 exec_lo, exec_lo, s15
	v_cmp_lt_u32_e64 s19, v30, v2
	s_and_saveexec_b32 s15, s19
	s_cbranch_execnz .LBB1538_144
.LBB1538_108:                           ;   in Loop: Header=BB1538_64 Depth=2
	s_wait_alu 0xfffe
	s_or_b32 exec_lo, exec_lo, s15
	v_cmp_lt_u32_e64 s18, v31, v2
	s_and_saveexec_b32 s15, s18
	s_cbranch_execnz .LBB1538_145
.LBB1538_109:                           ;   in Loop: Header=BB1538_64 Depth=2
	s_wait_alu 0xfffe
	s_or_b32 exec_lo, exec_lo, s15
	v_cmp_lt_u32_e64 s17, v34, v2
	s_and_saveexec_b32 s15, s17
	s_cbranch_execnz .LBB1538_146
.LBB1538_110:                           ;   in Loop: Header=BB1538_64 Depth=2
	s_wait_alu 0xfffe
	s_or_b32 exec_lo, exec_lo, s15
	v_cmp_lt_u32_e64 s16, v35, v2
	s_and_saveexec_b32 s15, s16
	s_cbranch_execnz .LBB1538_147
.LBB1538_111:                           ;   in Loop: Header=BB1538_64 Depth=2
	s_wait_alu 0xfffe
	s_or_b32 exec_lo, exec_lo, s15
	v_cmp_lt_u32_e64 s15, v36, v2
	s_and_saveexec_b32 s22, s15
	s_cbranch_execnz .LBB1538_148
.LBB1538_112:                           ;   in Loop: Header=BB1538_64 Depth=2
	s_wait_alu 0xfffe
	s_or_b32 exec_lo, exec_lo, s22
	v_cmp_lt_u32_e32 vcc_lo, v37, v2
	s_and_saveexec_b32 s22, vcc_lo
	s_cbranch_execz .LBB1538_114
.LBB1538_113:                           ;   in Loop: Header=BB1538_64 Depth=2
	ds_load_u8 v20, v1 offset:2816
	s_wait_dscnt 0x0
	v_and_b32_e32 v21, 1, v20
	v_xor_b32_e32 v20, 1, v20
	s_delay_alu instid0(VALU_DEP_2) | instskip(NEXT) | instid1(VALU_DEP_1)
	v_lshrrev_b32_e32 v21, s23, v21
	v_and_b32_e32 v21, s42, v21
	s_delay_alu instid0(VALU_DEP_1)
	v_lshlrev_b32_e32 v21, 2, v21
	ds_load_b32 v21, v21
	s_wait_dscnt 0x0
	v_add_nc_u32_e32 v21, v21, v37
	global_store_b8 v21, v20, s[38:39]
.LBB1538_114:                           ;   in Loop: Header=BB1538_64 Depth=2
	s_wait_alu 0xfffe
	s_or_b32 exec_lo, exec_lo, s22
	s_lshl_b64 s[48:49], s[30:31], 3
	s_wait_alu 0xfffe
	v_add_co_u32 v20, s22, v69, s48
	s_wait_alu 0xf1ff
	v_add_co_ci_u32_e64 v21, null, s49, v70, s22
	v_cmp_lt_u32_e64 s22, v68, v2
	s_and_saveexec_b32 s30, s22
	s_wait_alu 0xfffe
	s_xor_b32 s22, exec_lo, s30
	s_cbranch_execnz .LBB1538_149
; %bb.115:                              ;   in Loop: Header=BB1538_64 Depth=2
	s_wait_alu 0xfffe
	s_or_b32 exec_lo, exec_lo, s22
	s_delay_alu instid0(SALU_CYCLE_1)
	s_mov_b32 s30, exec_lo
	v_cmpx_lt_u32_e64 v71, v2
	s_cbranch_execnz .LBB1538_150
.LBB1538_116:                           ;   in Loop: Header=BB1538_64 Depth=2
	s_wait_alu 0xfffe
	s_or_b32 exec_lo, exec_lo, s30
	s_delay_alu instid0(SALU_CYCLE_1)
	s_mov_b32 s30, exec_lo
	v_cmpx_lt_u32_e64 v72, v2
	s_cbranch_execnz .LBB1538_151
.LBB1538_117:                           ;   in Loop: Header=BB1538_64 Depth=2
	s_wait_alu 0xfffe
	s_or_b32 exec_lo, exec_lo, s30
	s_delay_alu instid0(SALU_CYCLE_1)
	s_mov_b32 s30, exec_lo
	v_cmpx_lt_u32_e64 v73, v2
	s_cbranch_execnz .LBB1538_152
.LBB1538_118:                           ;   in Loop: Header=BB1538_64 Depth=2
	s_wait_alu 0xfffe
	s_or_b32 exec_lo, exec_lo, s30
	s_delay_alu instid0(SALU_CYCLE_1)
	s_mov_b32 s30, exec_lo
	v_cmpx_lt_u32_e64 v74, v2
	s_cbranch_execnz .LBB1538_153
.LBB1538_119:                           ;   in Loop: Header=BB1538_64 Depth=2
	s_wait_alu 0xfffe
	s_or_b32 exec_lo, exec_lo, s30
	s_delay_alu instid0(SALU_CYCLE_1)
	s_mov_b32 s30, exec_lo
	v_cmpx_lt_u32_e64 v75, v2
	s_cbranch_execnz .LBB1538_154
.LBB1538_120:                           ;   in Loop: Header=BB1538_64 Depth=2
	s_wait_alu 0xfffe
	s_or_b32 exec_lo, exec_lo, s30
	s_delay_alu instid0(SALU_CYCLE_1)
	s_mov_b32 s30, exec_lo
	v_cmpx_lt_u32_e64 v76, v2
	s_cbranch_execnz .LBB1538_155
.LBB1538_121:                           ;   in Loop: Header=BB1538_64 Depth=2
	s_wait_alu 0xfffe
	s_or_b32 exec_lo, exec_lo, s30
	s_delay_alu instid0(SALU_CYCLE_1)
	s_mov_b32 s30, exec_lo
	v_cmpx_lt_u32_e64 v77, v2
	s_cbranch_execnz .LBB1538_156
.LBB1538_122:                           ;   in Loop: Header=BB1538_64 Depth=2
	s_wait_alu 0xfffe
	s_or_b32 exec_lo, exec_lo, s30
	s_and_saveexec_b32 s22, s20
	s_cbranch_execnz .LBB1538_157
.LBB1538_123:                           ;   in Loop: Header=BB1538_64 Depth=2
	s_wait_alu 0xfffe
	s_or_b32 exec_lo, exec_lo, s22
	s_and_saveexec_b32 s22, s21
	s_cbranch_execnz .LBB1538_158
.LBB1538_124:                           ;   in Loop: Header=BB1538_64 Depth=2
	s_wait_alu 0xfffe
	s_or_b32 exec_lo, exec_lo, s22
	s_and_saveexec_b32 s22, s19
	s_cbranch_execnz .LBB1538_159
.LBB1538_125:                           ;   in Loop: Header=BB1538_64 Depth=2
	s_wait_alu 0xfffe
	s_or_b32 exec_lo, exec_lo, s22
	s_and_saveexec_b32 s22, s18
	s_cbranch_execnz .LBB1538_160
.LBB1538_126:                           ;   in Loop: Header=BB1538_64 Depth=2
	s_wait_alu 0xfffe
	s_or_b32 exec_lo, exec_lo, s22
	s_and_saveexec_b32 s22, s17
	s_cbranch_execnz .LBB1538_161
.LBB1538_127:                           ;   in Loop: Header=BB1538_64 Depth=2
	s_wait_alu 0xfffe
	s_or_b32 exec_lo, exec_lo, s22
	s_and_saveexec_b32 s22, s16
	s_cbranch_execnz .LBB1538_162
.LBB1538_128:                           ;   in Loop: Header=BB1538_64 Depth=2
	s_wait_alu 0xfffe
	s_or_b32 exec_lo, exec_lo, s22
	s_and_saveexec_b32 s22, s15
	s_cbranch_execnz .LBB1538_163
.LBB1538_129:                           ;   in Loop: Header=BB1538_64 Depth=2
	s_wait_alu 0xfffe
	s_or_b32 exec_lo, exec_lo, s22
	s_and_saveexec_b32 s22, vcc_lo
	s_cbranch_execz .LBB1538_131
.LBB1538_130:                           ;   in Loop: Header=BB1538_64 Depth=2
	ds_load_u8 v2, v1 offset:2816
	s_wait_dscnt 0x0
	v_lshrrev_b32_e32 v2, s23, v2
	s_delay_alu instid0(VALU_DEP_1)
	v_and_b32_e32 v82, s42, v2
.LBB1538_131:                           ;   in Loop: Header=BB1538_64 Depth=2
	s_wait_alu 0xfffe
	s_or_b32 exec_lo, exec_lo, s22
	v_lshlrev_b32_e32 v2, 3, v94
	v_lshlrev_b32_e32 v20, 3, v93
	;; [unrolled: 1-line block ×3, first 2 shown]
	s_wait_loadcnt 0x0
	s_wait_storecnt 0x0
	s_barrier_signal -1
	s_barrier_wait -1
	global_inv scope:SCOPE_SE
	ds_store_b64 v2, v[18:19] offset:1024
	ds_store_b64 v20, v[16:17] offset:1024
	;; [unrolled: 1-line block ×3, first 2 shown]
	v_lshlrev_b32_e32 v2, 3, v27
	v_lshlrev_b32_e32 v20, 3, v26
	v_lshlrev_b32_e32 v21, 3, v25
	v_lshlrev_b32_e32 v24, 3, v24
	v_lshlrev_b32_e32 v23, 3, v23
	ds_store_b64 v2, v[12:13] offset:1024
	ds_store_b64 v20, v[10:11] offset:1024
	;; [unrolled: 1-line block ×5, first 2 shown]
	s_wait_loadcnt_dscnt 0x0
	s_barrier_signal -1
	s_barrier_wait -1
	global_inv scope:SCOPE_SE
	s_and_saveexec_b32 s22, s20
	s_cbranch_execnz .LBB1538_164
; %bb.132:                              ;   in Loop: Header=BB1538_64 Depth=2
	s_wait_alu 0xfffe
	s_or_b32 exec_lo, exec_lo, s22
	s_and_saveexec_b32 s22, s21
	s_cbranch_execnz .LBB1538_165
.LBB1538_133:                           ;   in Loop: Header=BB1538_64 Depth=2
	s_wait_alu 0xfffe
	s_or_b32 exec_lo, exec_lo, s22
	s_and_saveexec_b32 s20, s19
	s_cbranch_execnz .LBB1538_166
.LBB1538_134:                           ;   in Loop: Header=BB1538_64 Depth=2
	s_wait_alu 0xfffe
	s_or_b32 exec_lo, exec_lo, s20
	s_and_saveexec_b32 s19, s18
	s_cbranch_execnz .LBB1538_167
.LBB1538_135:                           ;   in Loop: Header=BB1538_64 Depth=2
	s_wait_alu 0xfffe
	s_or_b32 exec_lo, exec_lo, s19
	s_and_saveexec_b32 s18, s17
	s_cbranch_execnz .LBB1538_168
.LBB1538_136:                           ;   in Loop: Header=BB1538_64 Depth=2
	s_wait_alu 0xfffe
	s_or_b32 exec_lo, exec_lo, s18
	s_and_saveexec_b32 s17, s16
	s_cbranch_execnz .LBB1538_169
.LBB1538_137:                           ;   in Loop: Header=BB1538_64 Depth=2
	s_wait_alu 0xfffe
	s_or_b32 exec_lo, exec_lo, s17
	s_and_saveexec_b32 s16, s15
	s_cbranch_execnz .LBB1538_170
.LBB1538_138:                           ;   in Loop: Header=BB1538_64 Depth=2
	s_wait_alu 0xfffe
	s_or_b32 exec_lo, exec_lo, s16
	s_and_saveexec_b32 s15, vcc_lo
	s_cbranch_execz .LBB1538_140
.LBB1538_139:                           ;   in Loop: Header=BB1538_64 Depth=2
	v_lshlrev_b32_e32 v2, 2, v82
	v_add_nc_u32_e32 v20, v1, v47
	ds_load_b32 v2, v2
	ds_load_b64 v[20:21], v20 offset:15360
	s_wait_dscnt 0x1
	v_add_nc_u32_e32 v2, v2, v37
	s_delay_alu instid0(VALU_DEP_1) | instskip(NEXT) | instid1(VALU_DEP_1)
	v_lshlrev_b64_e32 v[23:24], 3, v[2:3]
	v_add_co_u32 v23, vcc_lo, s24, v23
	s_wait_alu 0xfffd
	s_delay_alu instid0(VALU_DEP_2)
	v_add_co_ci_u32_e64 v24, null, s25, v24, vcc_lo
	s_wait_dscnt 0x0
	global_store_b64 v[23:24], v[20:21], off
.LBB1538_140:                           ;   in Loop: Header=BB1538_64 Depth=2
	s_wait_alu 0xfffe
	s_or_b32 exec_lo, exec_lo, s15
	s_wait_loadcnt 0x0
	s_wait_storecnt 0x0
	s_barrier_signal -1
	s_barrier_wait -1
	global_inv scope:SCOPE_SE
	s_and_saveexec_b32 s15, s2
	s_cbranch_execz .LBB1538_63
; %bb.141:                              ;   in Loop: Header=BB1538_64 Depth=2
	ds_load_b32 v2, v28
	s_wait_dscnt 0x0
	v_add_nc_u32_e32 v2, v2, v22
	ds_store_b32 v28, v2
	s_branch .LBB1538_63
.LBB1538_142:                           ;   in Loop: Header=BB1538_64 Depth=2
	ds_load_u8 v20, v1 offset:1024
	s_wait_dscnt 0x0
	v_and_b32_e32 v21, 1, v20
	v_xor_b32_e32 v20, 1, v20
	s_delay_alu instid0(VALU_DEP_2) | instskip(NEXT) | instid1(VALU_DEP_1)
	v_lshrrev_b32_e32 v21, s23, v21
	v_and_b32_e32 v21, s42, v21
	s_delay_alu instid0(VALU_DEP_1)
	v_lshlrev_b32_e32 v21, 2, v21
	ds_load_b32 v21, v21
	s_wait_dscnt 0x0
	v_add_nc_u32_e32 v21, v21, v1
	global_store_b8 v21, v20, s[38:39]
	s_wait_alu 0xfffe
	s_or_b32 exec_lo, exec_lo, s15
	v_cmp_lt_u32_e64 s21, v29, v2
	s_and_saveexec_b32 s15, s21
	s_cbranch_execz .LBB1538_107
.LBB1538_143:                           ;   in Loop: Header=BB1538_64 Depth=2
	ds_load_u8 v20, v1 offset:1280
	s_wait_dscnt 0x0
	v_and_b32_e32 v21, 1, v20
	v_xor_b32_e32 v20, 1, v20
	s_delay_alu instid0(VALU_DEP_2) | instskip(NEXT) | instid1(VALU_DEP_1)
	v_lshrrev_b32_e32 v21, s23, v21
	v_and_b32_e32 v21, s42, v21
	s_delay_alu instid0(VALU_DEP_1)
	v_lshlrev_b32_e32 v21, 2, v21
	ds_load_b32 v21, v21
	s_wait_dscnt 0x0
	v_add_nc_u32_e32 v21, v21, v29
	global_store_b8 v21, v20, s[38:39]
	s_wait_alu 0xfffe
	s_or_b32 exec_lo, exec_lo, s15
	v_cmp_lt_u32_e64 s19, v30, v2
	s_and_saveexec_b32 s15, s19
	s_cbranch_execz .LBB1538_108
.LBB1538_144:                           ;   in Loop: Header=BB1538_64 Depth=2
	ds_load_u8 v20, v1 offset:1536
	s_wait_dscnt 0x0
	v_and_b32_e32 v21, 1, v20
	v_xor_b32_e32 v20, 1, v20
	s_delay_alu instid0(VALU_DEP_2) | instskip(NEXT) | instid1(VALU_DEP_1)
	v_lshrrev_b32_e32 v21, s23, v21
	v_and_b32_e32 v21, s42, v21
	s_delay_alu instid0(VALU_DEP_1)
	v_lshlrev_b32_e32 v21, 2, v21
	ds_load_b32 v21, v21
	s_wait_dscnt 0x0
	v_add_nc_u32_e32 v21, v21, v30
	global_store_b8 v21, v20, s[38:39]
	s_wait_alu 0xfffe
	s_or_b32 exec_lo, exec_lo, s15
	v_cmp_lt_u32_e64 s18, v31, v2
	s_and_saveexec_b32 s15, s18
	s_cbranch_execz .LBB1538_109
.LBB1538_145:                           ;   in Loop: Header=BB1538_64 Depth=2
	ds_load_u8 v20, v1 offset:1792
	s_wait_dscnt 0x0
	v_and_b32_e32 v21, 1, v20
	v_xor_b32_e32 v20, 1, v20
	s_delay_alu instid0(VALU_DEP_2) | instskip(NEXT) | instid1(VALU_DEP_1)
	v_lshrrev_b32_e32 v21, s23, v21
	v_and_b32_e32 v21, s42, v21
	s_delay_alu instid0(VALU_DEP_1)
	v_lshlrev_b32_e32 v21, 2, v21
	ds_load_b32 v21, v21
	s_wait_dscnt 0x0
	v_add_nc_u32_e32 v21, v21, v31
	global_store_b8 v21, v20, s[38:39]
	s_wait_alu 0xfffe
	s_or_b32 exec_lo, exec_lo, s15
	v_cmp_lt_u32_e64 s17, v34, v2
	s_and_saveexec_b32 s15, s17
	s_cbranch_execz .LBB1538_110
.LBB1538_146:                           ;   in Loop: Header=BB1538_64 Depth=2
	ds_load_u8 v20, v1 offset:2048
	s_wait_dscnt 0x0
	v_and_b32_e32 v21, 1, v20
	v_xor_b32_e32 v20, 1, v20
	s_delay_alu instid0(VALU_DEP_2) | instskip(NEXT) | instid1(VALU_DEP_1)
	v_lshrrev_b32_e32 v21, s23, v21
	v_and_b32_e32 v21, s42, v21
	s_delay_alu instid0(VALU_DEP_1)
	v_lshlrev_b32_e32 v21, 2, v21
	ds_load_b32 v21, v21
	s_wait_dscnt 0x0
	v_add_nc_u32_e32 v21, v21, v34
	global_store_b8 v21, v20, s[38:39]
	s_wait_alu 0xfffe
	s_or_b32 exec_lo, exec_lo, s15
	v_cmp_lt_u32_e64 s16, v35, v2
	s_and_saveexec_b32 s15, s16
	s_cbranch_execz .LBB1538_111
.LBB1538_147:                           ;   in Loop: Header=BB1538_64 Depth=2
	ds_load_u8 v20, v1 offset:2304
	s_wait_dscnt 0x0
	v_and_b32_e32 v21, 1, v20
	v_xor_b32_e32 v20, 1, v20
	s_delay_alu instid0(VALU_DEP_2) | instskip(NEXT) | instid1(VALU_DEP_1)
	v_lshrrev_b32_e32 v21, s23, v21
	v_and_b32_e32 v21, s42, v21
	s_delay_alu instid0(VALU_DEP_1)
	v_lshlrev_b32_e32 v21, 2, v21
	ds_load_b32 v21, v21
	s_wait_dscnt 0x0
	v_add_nc_u32_e32 v21, v21, v35
	global_store_b8 v21, v20, s[38:39]
	s_wait_alu 0xfffe
	s_or_b32 exec_lo, exec_lo, s15
	v_cmp_lt_u32_e64 s15, v36, v2
	s_and_saveexec_b32 s22, s15
	s_cbranch_execz .LBB1538_112
.LBB1538_148:                           ;   in Loop: Header=BB1538_64 Depth=2
	ds_load_u8 v20, v1 offset:2560
	s_wait_dscnt 0x0
	v_and_b32_e32 v21, 1, v20
	v_xor_b32_e32 v20, 1, v20
	s_delay_alu instid0(VALU_DEP_2) | instskip(NEXT) | instid1(VALU_DEP_1)
	v_lshrrev_b32_e32 v21, s23, v21
	v_and_b32_e32 v21, s42, v21
	s_delay_alu instid0(VALU_DEP_1)
	v_lshlrev_b32_e32 v21, 2, v21
	ds_load_b32 v21, v21
	s_wait_dscnt 0x0
	v_add_nc_u32_e32 v21, v21, v36
	global_store_b8 v21, v20, s[38:39]
	s_wait_alu 0xfffe
	s_or_b32 exec_lo, exec_lo, s22
	v_cmp_lt_u32_e32 vcc_lo, v37, v2
	s_and_saveexec_b32 s22, vcc_lo
	s_cbranch_execnz .LBB1538_113
	s_branch .LBB1538_114
.LBB1538_149:                           ;   in Loop: Header=BB1538_64 Depth=2
	global_load_b64 v[18:19], v[20:21], off
	s_wait_alu 0xfffe
	s_or_b32 exec_lo, exec_lo, s22
	s_delay_alu instid0(SALU_CYCLE_1)
	s_mov_b32 s30, exec_lo
	v_cmpx_lt_u32_e64 v71, v2
	s_cbranch_execz .LBB1538_116
.LBB1538_150:                           ;   in Loop: Header=BB1538_64 Depth=2
	global_load_b64 v[16:17], v[20:21], off offset:256
	s_wait_alu 0xfffe
	s_or_b32 exec_lo, exec_lo, s30
	s_delay_alu instid0(SALU_CYCLE_1)
	s_mov_b32 s30, exec_lo
	v_cmpx_lt_u32_e64 v72, v2
	s_cbranch_execz .LBB1538_117
.LBB1538_151:                           ;   in Loop: Header=BB1538_64 Depth=2
	global_load_b64 v[14:15], v[20:21], off offset:512
	s_wait_alu 0xfffe
	s_or_b32 exec_lo, exec_lo, s30
	s_delay_alu instid0(SALU_CYCLE_1)
	s_mov_b32 s30, exec_lo
	v_cmpx_lt_u32_e64 v73, v2
	s_cbranch_execz .LBB1538_118
.LBB1538_152:                           ;   in Loop: Header=BB1538_64 Depth=2
	global_load_b64 v[12:13], v[20:21], off offset:768
	s_wait_alu 0xfffe
	s_or_b32 exec_lo, exec_lo, s30
	s_delay_alu instid0(SALU_CYCLE_1)
	s_mov_b32 s30, exec_lo
	v_cmpx_lt_u32_e64 v74, v2
	s_cbranch_execz .LBB1538_119
.LBB1538_153:                           ;   in Loop: Header=BB1538_64 Depth=2
	global_load_b64 v[10:11], v[20:21], off offset:1024
	s_wait_alu 0xfffe
	s_or_b32 exec_lo, exec_lo, s30
	s_delay_alu instid0(SALU_CYCLE_1)
	s_mov_b32 s30, exec_lo
	v_cmpx_lt_u32_e64 v75, v2
	s_cbranch_execz .LBB1538_120
.LBB1538_154:                           ;   in Loop: Header=BB1538_64 Depth=2
	global_load_b64 v[8:9], v[20:21], off offset:1280
	s_wait_alu 0xfffe
	s_or_b32 exec_lo, exec_lo, s30
	s_delay_alu instid0(SALU_CYCLE_1)
	s_mov_b32 s30, exec_lo
	v_cmpx_lt_u32_e64 v76, v2
	s_cbranch_execz .LBB1538_121
.LBB1538_155:                           ;   in Loop: Header=BB1538_64 Depth=2
	global_load_b64 v[6:7], v[20:21], off offset:1536
	s_wait_alu 0xfffe
	s_or_b32 exec_lo, exec_lo, s30
	s_delay_alu instid0(SALU_CYCLE_1)
	s_mov_b32 s30, exec_lo
	v_cmpx_lt_u32_e64 v77, v2
	s_cbranch_execz .LBB1538_122
.LBB1538_156:                           ;   in Loop: Header=BB1538_64 Depth=2
	global_load_b64 v[4:5], v[20:21], off offset:1792
	s_wait_alu 0xfffe
	s_or_b32 exec_lo, exec_lo, s30
	s_and_saveexec_b32 s22, s20
	s_cbranch_execz .LBB1538_123
.LBB1538_157:                           ;   in Loop: Header=BB1538_64 Depth=2
	ds_load_u8 v2, v1 offset:1024
	s_wait_dscnt 0x0
	v_lshrrev_b32_e32 v2, s23, v2
	s_delay_alu instid0(VALU_DEP_1)
	v_and_b32_e32 v89, s42, v2
	s_wait_alu 0xfffe
	s_or_b32 exec_lo, exec_lo, s22
	s_and_saveexec_b32 s22, s21
	s_cbranch_execz .LBB1538_124
.LBB1538_158:                           ;   in Loop: Header=BB1538_64 Depth=2
	ds_load_u8 v2, v1 offset:1280
	s_wait_dscnt 0x0
	v_lshrrev_b32_e32 v2, s23, v2
	s_delay_alu instid0(VALU_DEP_1)
	v_and_b32_e32 v88, s42, v2
	s_wait_alu 0xfffe
	s_or_b32 exec_lo, exec_lo, s22
	s_and_saveexec_b32 s22, s19
	s_cbranch_execz .LBB1538_125
.LBB1538_159:                           ;   in Loop: Header=BB1538_64 Depth=2
	ds_load_u8 v2, v1 offset:1536
	s_wait_dscnt 0x0
	v_lshrrev_b32_e32 v2, s23, v2
	s_delay_alu instid0(VALU_DEP_1)
	v_and_b32_e32 v87, s42, v2
	s_wait_alu 0xfffe
	s_or_b32 exec_lo, exec_lo, s22
	s_and_saveexec_b32 s22, s18
	s_cbranch_execz .LBB1538_126
.LBB1538_160:                           ;   in Loop: Header=BB1538_64 Depth=2
	ds_load_u8 v2, v1 offset:1792
	s_wait_dscnt 0x0
	v_lshrrev_b32_e32 v2, s23, v2
	s_delay_alu instid0(VALU_DEP_1)
	v_and_b32_e32 v86, s42, v2
	s_wait_alu 0xfffe
	s_or_b32 exec_lo, exec_lo, s22
	s_and_saveexec_b32 s22, s17
	s_cbranch_execz .LBB1538_127
.LBB1538_161:                           ;   in Loop: Header=BB1538_64 Depth=2
	ds_load_u8 v2, v1 offset:2048
	s_wait_dscnt 0x0
	v_lshrrev_b32_e32 v2, s23, v2
	s_delay_alu instid0(VALU_DEP_1)
	v_and_b32_e32 v85, s42, v2
	s_wait_alu 0xfffe
	s_or_b32 exec_lo, exec_lo, s22
	s_and_saveexec_b32 s22, s16
	s_cbranch_execz .LBB1538_128
.LBB1538_162:                           ;   in Loop: Header=BB1538_64 Depth=2
	ds_load_u8 v2, v1 offset:2304
	s_wait_dscnt 0x0
	v_lshrrev_b32_e32 v2, s23, v2
	s_delay_alu instid0(VALU_DEP_1)
	v_and_b32_e32 v84, s42, v2
	s_wait_alu 0xfffe
	s_or_b32 exec_lo, exec_lo, s22
	s_and_saveexec_b32 s22, s15
	s_cbranch_execz .LBB1538_129
.LBB1538_163:                           ;   in Loop: Header=BB1538_64 Depth=2
	ds_load_u8 v2, v1 offset:2560
	s_wait_dscnt 0x0
	v_lshrrev_b32_e32 v2, s23, v2
	s_delay_alu instid0(VALU_DEP_1)
	v_and_b32_e32 v83, s42, v2
	s_wait_alu 0xfffe
	s_or_b32 exec_lo, exec_lo, s22
	s_and_saveexec_b32 s22, vcc_lo
	s_cbranch_execnz .LBB1538_130
	s_branch .LBB1538_131
.LBB1538_164:                           ;   in Loop: Header=BB1538_64 Depth=2
	v_lshlrev_b32_e32 v2, 2, v89
	v_add_nc_u32_e32 v20, v1, v47
	ds_load_b32 v2, v2
	ds_load_b64 v[20:21], v20 offset:1024
	s_wait_dscnt 0x1
	v_add_nc_u32_e32 v2, v2, v1
	s_delay_alu instid0(VALU_DEP_1) | instskip(NEXT) | instid1(VALU_DEP_1)
	v_lshlrev_b64_e32 v[23:24], 3, v[2:3]
	v_add_co_u32 v23, s20, s24, v23
	s_wait_alu 0xf1ff
	s_delay_alu instid0(VALU_DEP_2)
	v_add_co_ci_u32_e64 v24, null, s25, v24, s20
	s_wait_dscnt 0x0
	global_store_b64 v[23:24], v[20:21], off
	s_wait_alu 0xfffe
	s_or_b32 exec_lo, exec_lo, s22
	s_and_saveexec_b32 s22, s21
	s_cbranch_execz .LBB1538_133
.LBB1538_165:                           ;   in Loop: Header=BB1538_64 Depth=2
	v_lshlrev_b32_e32 v2, 2, v88
	v_add_nc_u32_e32 v20, v1, v47
	ds_load_b32 v2, v2
	ds_load_b64 v[20:21], v20 offset:3072
	s_wait_dscnt 0x1
	v_add_nc_u32_e32 v2, v2, v29
	s_delay_alu instid0(VALU_DEP_1) | instskip(NEXT) | instid1(VALU_DEP_1)
	v_lshlrev_b64_e32 v[23:24], 3, v[2:3]
	v_add_co_u32 v23, s20, s24, v23
	s_wait_alu 0xf1ff
	s_delay_alu instid0(VALU_DEP_2)
	v_add_co_ci_u32_e64 v24, null, s25, v24, s20
	s_wait_dscnt 0x0
	global_store_b64 v[23:24], v[20:21], off
	s_wait_alu 0xfffe
	s_or_b32 exec_lo, exec_lo, s22
	s_and_saveexec_b32 s20, s19
	s_cbranch_execz .LBB1538_134
.LBB1538_166:                           ;   in Loop: Header=BB1538_64 Depth=2
	v_lshlrev_b32_e32 v2, 2, v87
	v_add_nc_u32_e32 v20, v1, v47
	ds_load_b32 v2, v2
	ds_load_b64 v[20:21], v20 offset:5120
	s_wait_dscnt 0x1
	v_add_nc_u32_e32 v2, v2, v30
	s_delay_alu instid0(VALU_DEP_1) | instskip(NEXT) | instid1(VALU_DEP_1)
	v_lshlrev_b64_e32 v[23:24], 3, v[2:3]
	v_add_co_u32 v23, s19, s24, v23
	s_wait_alu 0xf1ff
	s_delay_alu instid0(VALU_DEP_2)
	v_add_co_ci_u32_e64 v24, null, s25, v24, s19
	s_wait_dscnt 0x0
	global_store_b64 v[23:24], v[20:21], off
	s_wait_alu 0xfffe
	s_or_b32 exec_lo, exec_lo, s20
	s_and_saveexec_b32 s19, s18
	s_cbranch_execz .LBB1538_135
.LBB1538_167:                           ;   in Loop: Header=BB1538_64 Depth=2
	v_lshlrev_b32_e32 v2, 2, v86
	v_add_nc_u32_e32 v20, v1, v47
	ds_load_b32 v2, v2
	ds_load_b64 v[20:21], v20 offset:7168
	s_wait_dscnt 0x1
	v_add_nc_u32_e32 v2, v2, v31
	s_delay_alu instid0(VALU_DEP_1) | instskip(NEXT) | instid1(VALU_DEP_1)
	v_lshlrev_b64_e32 v[23:24], 3, v[2:3]
	v_add_co_u32 v23, s18, s24, v23
	s_wait_alu 0xf1ff
	s_delay_alu instid0(VALU_DEP_2)
	v_add_co_ci_u32_e64 v24, null, s25, v24, s18
	s_wait_dscnt 0x0
	global_store_b64 v[23:24], v[20:21], off
	s_wait_alu 0xfffe
	s_or_b32 exec_lo, exec_lo, s19
	s_and_saveexec_b32 s18, s17
	s_cbranch_execz .LBB1538_136
.LBB1538_168:                           ;   in Loop: Header=BB1538_64 Depth=2
	v_lshlrev_b32_e32 v2, 2, v85
	v_add_nc_u32_e32 v20, v1, v47
	ds_load_b32 v2, v2
	ds_load_b64 v[20:21], v20 offset:9216
	s_wait_dscnt 0x1
	v_add_nc_u32_e32 v2, v2, v34
	s_delay_alu instid0(VALU_DEP_1) | instskip(NEXT) | instid1(VALU_DEP_1)
	v_lshlrev_b64_e32 v[23:24], 3, v[2:3]
	v_add_co_u32 v23, s17, s24, v23
	s_wait_alu 0xf1ff
	s_delay_alu instid0(VALU_DEP_2)
	v_add_co_ci_u32_e64 v24, null, s25, v24, s17
	s_wait_dscnt 0x0
	global_store_b64 v[23:24], v[20:21], off
	s_wait_alu 0xfffe
	s_or_b32 exec_lo, exec_lo, s18
	s_and_saveexec_b32 s17, s16
	s_cbranch_execz .LBB1538_137
.LBB1538_169:                           ;   in Loop: Header=BB1538_64 Depth=2
	v_lshlrev_b32_e32 v2, 2, v84
	v_add_nc_u32_e32 v20, v1, v47
	ds_load_b32 v2, v2
	ds_load_b64 v[20:21], v20 offset:11264
	s_wait_dscnt 0x1
	v_add_nc_u32_e32 v2, v2, v35
	s_delay_alu instid0(VALU_DEP_1) | instskip(NEXT) | instid1(VALU_DEP_1)
	v_lshlrev_b64_e32 v[23:24], 3, v[2:3]
	v_add_co_u32 v23, s16, s24, v23
	s_wait_alu 0xf1ff
	s_delay_alu instid0(VALU_DEP_2)
	v_add_co_ci_u32_e64 v24, null, s25, v24, s16
	s_wait_dscnt 0x0
	global_store_b64 v[23:24], v[20:21], off
	s_wait_alu 0xfffe
	s_or_b32 exec_lo, exec_lo, s17
	s_and_saveexec_b32 s16, s15
	s_cbranch_execz .LBB1538_138
.LBB1538_170:                           ;   in Loop: Header=BB1538_64 Depth=2
	v_lshlrev_b32_e32 v2, 2, v83
	v_add_nc_u32_e32 v20, v1, v47
	ds_load_b32 v2, v2
	ds_load_b64 v[20:21], v20 offset:13312
	s_wait_dscnt 0x1
	v_add_nc_u32_e32 v2, v2, v36
	s_delay_alu instid0(VALU_DEP_1) | instskip(NEXT) | instid1(VALU_DEP_1)
	v_lshlrev_b64_e32 v[23:24], 3, v[2:3]
	v_add_co_u32 v23, s15, s24, v23
	s_wait_alu 0xf1ff
	s_delay_alu instid0(VALU_DEP_2)
	v_add_co_ci_u32_e64 v24, null, s25, v24, s15
	s_wait_dscnt 0x0
	global_store_b64 v[23:24], v[20:21], off
	s_wait_alu 0xfffe
	s_or_b32 exec_lo, exec_lo, s16
	s_and_saveexec_b32 s15, vcc_lo
	s_cbranch_execnz .LBB1538_139
	s_branch .LBB1538_140
.LBB1538_171:                           ;   in Loop: Header=BB1538_64 Depth=2
	global_load_u8 v91, v[20:21], off offset:32
	s_wait_alu 0xfffe
	s_or_b32 exec_lo, exec_lo, s15
	s_delay_alu instid0(SALU_CYCLE_1)
	s_mov_b32 s15, exec_lo
	v_cmpx_gt_u32_e64 s43, v72
	s_cbranch_execz .LBB1538_71
.LBB1538_172:                           ;   in Loop: Header=BB1538_64 Depth=2
	global_load_u8 v22, v[20:21], off offset:64
	s_wait_alu 0xfffe
	s_or_b32 exec_lo, exec_lo, s15
	s_delay_alu instid0(SALU_CYCLE_1)
	s_mov_b32 s15, exec_lo
	v_cmpx_gt_u32_e64 s43, v73
	s_cbranch_execz .LBB1538_72
.LBB1538_173:                           ;   in Loop: Header=BB1538_64 Depth=2
	global_load_u8 v26, v[20:21], off offset:96
	s_wait_alu 0xfffe
	s_or_b32 exec_lo, exec_lo, s15
	s_delay_alu instid0(SALU_CYCLE_1)
	s_mov_b32 s15, exec_lo
	v_cmpx_gt_u32_e64 s43, v74
	s_cbranch_execz .LBB1538_73
.LBB1538_174:                           ;   in Loop: Header=BB1538_64 Depth=2
	global_load_u8 v23, v[20:21], off offset:128
	s_wait_alu 0xfffe
	s_or_b32 exec_lo, exec_lo, s15
	s_delay_alu instid0(SALU_CYCLE_1)
	s_mov_b32 s15, exec_lo
	v_cmpx_gt_u32_e64 s43, v75
	s_cbranch_execz .LBB1538_74
.LBB1538_175:                           ;   in Loop: Header=BB1538_64 Depth=2
	global_load_u8 v24, v[20:21], off offset:160
	s_wait_alu 0xfffe
	s_or_b32 exec_lo, exec_lo, s15
	s_delay_alu instid0(SALU_CYCLE_1)
	s_mov_b32 s15, exec_lo
	v_cmpx_gt_u32_e64 s43, v76
	s_cbranch_execnz .LBB1538_75
	s_branch .LBB1538_76
.LBB1538_176:                           ;   in Loop: Header=BB1538_12 Depth=1
	s_wait_loadcnt_dscnt 0x0
	s_barrier_signal -1
	s_mov_b32 s0, 0
	s_barrier_wait -1
.LBB1538_177:                           ;   in Loop: Header=BB1538_12 Depth=1
	s_wait_alu 0xfffe
	s_and_b32 vcc_lo, exec_lo, s0
	s_wait_alu 0xfffe
	s_cbranch_vccz .LBB1538_341
; %bb.178:                              ;   in Loop: Header=BB1538_12 Depth=1
	v_dual_mov_b32 v7, 0 :: v_dual_mov_b32 v10, 0
	v_dual_mov_b32 v9, 0 :: v_dual_mov_b32 v8, 0
	;; [unrolled: 1-line block ×3, first 2 shown]
	v_mov_b32_e32 v4, 0
	v_mov_b32_e32 v2, 0
	s_mov_b32 s9, s47
	s_mov_b32 s30, s33
	s_barrier_signal -1
	s_barrier_wait -1
	global_inv scope:SCOPE_SE
	s_branch .LBB1538_180
.LBB1538_179:                           ;   in Loop: Header=BB1538_180 Depth=2
	s_wait_alu 0xfffe
	s_or_b32 exec_lo, exec_lo, s0
	s_addk_co_i32 s9, 0xf800
	s_cmp_ge_u32 s10, s34
	s_mov_b32 s30, s10
	s_cbranch_scc1 .LBB1538_216
.LBB1538_180:                           ;   Parent Loop BB1538_12 Depth=1
                                        ; =>  This Inner Loop Header: Depth=2
	s_wait_alu 0xfffe
	s_add_co_i32 s10, s30, 0x800
	s_mov_b32 s0, -1
	s_wait_alu 0xfffe
	s_cmp_gt_u32 s10, s34
                                        ; implicit-def: $vgpr11
                                        ; implicit-def: $vgpr12
                                        ; implicit-def: $vgpr13
                                        ; implicit-def: $vgpr14
                                        ; implicit-def: $vgpr15
                                        ; implicit-def: $vgpr16
                                        ; implicit-def: $vgpr17
                                        ; implicit-def: $vgpr18
	s_cbranch_scc1 .LBB1538_182
; %bb.181:                              ;   in Loop: Header=BB1538_180 Depth=2
	v_add_co_u32 v19, vcc_lo, v48, s30
	s_wait_alu 0xfffd
	v_add_co_ci_u32_e64 v20, null, 0, v49, vcc_lo
	s_mov_b32 s0, 0
	s_clause 0x7
	global_load_u8 v18, v[19:20], off offset:1792
	global_load_u8 v17, v[19:20], off offset:1536
	;; [unrolled: 1-line block ×7, first 2 shown]
	global_load_u8 v11, v[19:20], off
.LBB1538_182:                           ;   in Loop: Header=BB1538_180 Depth=2
	s_wait_alu 0xfffe
	s_and_not1_b32 vcc_lo, exec_lo, s0
	s_movk_i32 s0, 0x800
	s_wait_alu 0xfffe
	s_cbranch_vccnz .LBB1538_193
; %bb.183:                              ;   in Loop: Header=BB1538_180 Depth=2
	s_add_nc_u64 s[0:1], s[38:39], s[30:31]
	s_mov_b32 s11, exec_lo
	v_cmpx_gt_u32_e64 s9, v1
	s_cbranch_execnz .LBB1538_209
; %bb.184:                              ;   in Loop: Header=BB1538_180 Depth=2
	s_wait_alu 0xfffe
	s_or_b32 exec_lo, exec_lo, s11
	s_delay_alu instid0(SALU_CYCLE_1)
	s_mov_b32 s11, exec_lo
	v_cmpx_gt_u32_e64 s9, v29
	s_cbranch_execnz .LBB1538_210
.LBB1538_185:                           ;   in Loop: Header=BB1538_180 Depth=2
	s_wait_alu 0xfffe
	s_or_b32 exec_lo, exec_lo, s11
	s_delay_alu instid0(SALU_CYCLE_1)
	s_mov_b32 s11, exec_lo
	v_cmpx_gt_u32_e64 s9, v30
	s_cbranch_execnz .LBB1538_211
.LBB1538_186:                           ;   in Loop: Header=BB1538_180 Depth=2
	s_wait_alu 0xfffe
	s_or_b32 exec_lo, exec_lo, s11
	s_delay_alu instid0(SALU_CYCLE_1)
	s_mov_b32 s11, exec_lo
	v_cmpx_gt_u32_e64 s9, v31
	s_cbranch_execnz .LBB1538_212
.LBB1538_187:                           ;   in Loop: Header=BB1538_180 Depth=2
	s_wait_alu 0xfffe
	s_or_b32 exec_lo, exec_lo, s11
	s_delay_alu instid0(SALU_CYCLE_1)
	s_mov_b32 s11, exec_lo
	v_cmpx_gt_u32_e64 s9, v34
	s_cbranch_execnz .LBB1538_213
.LBB1538_188:                           ;   in Loop: Header=BB1538_180 Depth=2
	s_wait_alu 0xfffe
	s_or_b32 exec_lo, exec_lo, s11
	s_delay_alu instid0(SALU_CYCLE_1)
	s_mov_b32 s11, exec_lo
	v_cmpx_gt_u32_e64 s9, v35
	s_cbranch_execnz .LBB1538_214
.LBB1538_189:                           ;   in Loop: Header=BB1538_180 Depth=2
	s_wait_alu 0xfffe
	s_or_b32 exec_lo, exec_lo, s11
	s_delay_alu instid0(SALU_CYCLE_1)
	s_mov_b32 s11, exec_lo
	v_cmpx_gt_u32_e64 s9, v36
	s_cbranch_execnz .LBB1538_215
.LBB1538_190:                           ;   in Loop: Header=BB1538_180 Depth=2
	s_wait_alu 0xfffe
	s_or_b32 exec_lo, exec_lo, s11
	s_delay_alu instid0(SALU_CYCLE_1)
	s_mov_b32 s11, exec_lo
	v_cmpx_gt_u32_e64 s9, v37
	s_cbranch_execz .LBB1538_192
.LBB1538_191:                           ;   in Loop: Header=BB1538_180 Depth=2
	s_wait_loadcnt 0x0
	v_add_co_u32 v11, s0, s0, v1
	s_wait_alu 0xf1ff
	v_add_co_ci_u32_e64 v12, null, s1, 0, s0
	global_load_u8 v2, v[11:12], off offset:1792
.LBB1538_192:                           ;   in Loop: Header=BB1538_180 Depth=2
	s_wait_alu 0xfffe
	s_or_b32 exec_lo, exec_lo, s11
	s_wait_loadcnt 0x0
	v_dual_mov_b32 v11, v7 :: v_dual_mov_b32 v12, v10
	v_dual_mov_b32 v13, v9 :: v_dual_mov_b32 v14, v8
	;; [unrolled: 1-line block ×4, first 2 shown]
	s_mov_b32 s0, s9
.LBB1538_193:                           ;   in Loop: Header=BB1538_180 Depth=2
	s_wait_loadcnt 0x5
	s_delay_alu instid0(VALU_DEP_1)
	v_dual_mov_b32 v2, v18 :: v_dual_mov_b32 v5, v16
	s_wait_loadcnt 0x2
	v_dual_mov_b32 v4, v17 :: v_dual_mov_b32 v9, v13
	s_wait_loadcnt 0x0
	v_dual_mov_b32 v6, v15 :: v_dual_mov_b32 v7, v11
	v_mov_b32_e32 v8, v14
	v_mov_b32_e32 v10, v12
	s_mov_b32 s1, exec_lo
	s_wait_alu 0xfffe
	v_cmpx_gt_u32_e64 s0, v1
	s_cbranch_execnz .LBB1538_201
; %bb.194:                              ;   in Loop: Header=BB1538_180 Depth=2
	s_or_b32 exec_lo, exec_lo, s1
	s_delay_alu instid0(SALU_CYCLE_1)
	s_mov_b32 s1, exec_lo
	v_cmpx_gt_u32_e64 s0, v29
	s_cbranch_execnz .LBB1538_202
.LBB1538_195:                           ;   in Loop: Header=BB1538_180 Depth=2
	s_wait_alu 0xfffe
	s_or_b32 exec_lo, exec_lo, s1
	s_delay_alu instid0(SALU_CYCLE_1)
	s_mov_b32 s1, exec_lo
	v_cmpx_gt_u32_e64 s0, v30
	s_cbranch_execnz .LBB1538_203
.LBB1538_196:                           ;   in Loop: Header=BB1538_180 Depth=2
	s_wait_alu 0xfffe
	s_or_b32 exec_lo, exec_lo, s1
	s_delay_alu instid0(SALU_CYCLE_1)
	s_mov_b32 s1, exec_lo
	v_cmpx_gt_u32_e64 s0, v31
	s_cbranch_execnz .LBB1538_204
.LBB1538_197:                           ;   in Loop: Header=BB1538_180 Depth=2
	s_wait_alu 0xfffe
	s_or_b32 exec_lo, exec_lo, s1
	s_delay_alu instid0(SALU_CYCLE_1)
	s_mov_b32 s1, exec_lo
	v_cmpx_gt_u32_e64 s0, v34
	s_cbranch_execnz .LBB1538_205
.LBB1538_198:                           ;   in Loop: Header=BB1538_180 Depth=2
	s_wait_alu 0xfffe
	s_or_b32 exec_lo, exec_lo, s1
	s_delay_alu instid0(SALU_CYCLE_1)
	s_mov_b32 s1, exec_lo
	v_cmpx_gt_u32_e64 s0, v35
	s_cbranch_execnz .LBB1538_206
.LBB1538_199:                           ;   in Loop: Header=BB1538_180 Depth=2
	s_wait_alu 0xfffe
	s_or_b32 exec_lo, exec_lo, s1
	s_delay_alu instid0(SALU_CYCLE_1)
	s_mov_b32 s1, exec_lo
	v_cmpx_gt_u32_e64 s0, v36
	s_cbranch_execnz .LBB1538_207
.LBB1538_200:                           ;   in Loop: Header=BB1538_180 Depth=2
	s_wait_alu 0xfffe
	s_or_b32 exec_lo, exec_lo, s1
	v_cmp_gt_u32_e32 vcc_lo, s0, v37
	s_and_saveexec_b32 s0, vcc_lo
	s_cbranch_execz .LBB1538_179
	s_branch .LBB1538_208
.LBB1538_201:                           ;   in Loop: Header=BB1538_180 Depth=2
	v_xor_b32_e32 v11, -1, v7
	s_delay_alu instid0(VALU_DEP_1) | instskip(NEXT) | instid1(VALU_DEP_1)
	v_and_b32_e32 v11, 1, v11
	v_and_b32_e32 v11, 0xffff, v11
	s_delay_alu instid0(VALU_DEP_1) | instskip(NEXT) | instid1(VALU_DEP_1)
	v_lshrrev_b32_e32 v11, s23, v11
	v_and_b32_e32 v11, s42, v11
	s_delay_alu instid0(VALU_DEP_1) | instskip(SKIP_2) | instid1(SALU_CYCLE_1)
	v_lshl_or_b32 v11, v11, 4, v39
	ds_add_u32 v11, v61
	s_or_b32 exec_lo, exec_lo, s1
	s_mov_b32 s1, exec_lo
	v_cmpx_gt_u32_e64 s0, v29
	s_cbranch_execz .LBB1538_195
.LBB1538_202:                           ;   in Loop: Header=BB1538_180 Depth=2
	v_xor_b32_e32 v11, -1, v10
	s_delay_alu instid0(VALU_DEP_1) | instskip(NEXT) | instid1(VALU_DEP_1)
	v_and_b32_e32 v11, 1, v11
	v_and_b32_e32 v11, 0xffff, v11
	s_delay_alu instid0(VALU_DEP_1) | instskip(NEXT) | instid1(VALU_DEP_1)
	v_lshrrev_b32_e32 v11, s23, v11
	v_and_b32_e32 v11, s42, v11
	s_delay_alu instid0(VALU_DEP_1) | instskip(SKIP_3) | instid1(SALU_CYCLE_1)
	v_lshl_or_b32 v11, v11, 4, v39
	ds_add_u32 v11, v61
	s_wait_alu 0xfffe
	s_or_b32 exec_lo, exec_lo, s1
	s_mov_b32 s1, exec_lo
	v_cmpx_gt_u32_e64 s0, v30
	s_cbranch_execz .LBB1538_196
.LBB1538_203:                           ;   in Loop: Header=BB1538_180 Depth=2
	v_xor_b32_e32 v11, -1, v9
	s_delay_alu instid0(VALU_DEP_1) | instskip(NEXT) | instid1(VALU_DEP_1)
	v_and_b32_e32 v11, 1, v11
	v_and_b32_e32 v11, 0xffff, v11
	s_delay_alu instid0(VALU_DEP_1) | instskip(NEXT) | instid1(VALU_DEP_1)
	v_lshrrev_b32_e32 v11, s23, v11
	v_and_b32_e32 v11, s42, v11
	s_delay_alu instid0(VALU_DEP_1) | instskip(SKIP_3) | instid1(SALU_CYCLE_1)
	v_lshl_or_b32 v11, v11, 4, v39
	ds_add_u32 v11, v61
	s_wait_alu 0xfffe
	s_or_b32 exec_lo, exec_lo, s1
	s_mov_b32 s1, exec_lo
	v_cmpx_gt_u32_e64 s0, v31
	s_cbranch_execz .LBB1538_197
.LBB1538_204:                           ;   in Loop: Header=BB1538_180 Depth=2
	v_xor_b32_e32 v11, -1, v8
	s_delay_alu instid0(VALU_DEP_1) | instskip(NEXT) | instid1(VALU_DEP_1)
	v_and_b32_e32 v11, 1, v11
	v_and_b32_e32 v11, 0xffff, v11
	s_delay_alu instid0(VALU_DEP_1) | instskip(NEXT) | instid1(VALU_DEP_1)
	v_lshrrev_b32_e32 v11, s23, v11
	v_and_b32_e32 v11, s42, v11
	s_delay_alu instid0(VALU_DEP_1) | instskip(SKIP_3) | instid1(SALU_CYCLE_1)
	v_lshl_or_b32 v11, v11, 4, v39
	ds_add_u32 v11, v61
	s_wait_alu 0xfffe
	s_or_b32 exec_lo, exec_lo, s1
	s_mov_b32 s1, exec_lo
	v_cmpx_gt_u32_e64 s0, v34
	s_cbranch_execz .LBB1538_198
.LBB1538_205:                           ;   in Loop: Header=BB1538_180 Depth=2
	v_xor_b32_e32 v11, -1, v6
	s_delay_alu instid0(VALU_DEP_1) | instskip(NEXT) | instid1(VALU_DEP_1)
	v_and_b32_e32 v11, 1, v11
	v_and_b32_e32 v11, 0xffff, v11
	s_delay_alu instid0(VALU_DEP_1) | instskip(NEXT) | instid1(VALU_DEP_1)
	v_lshrrev_b32_e32 v11, s23, v11
	v_and_b32_e32 v11, s42, v11
	s_delay_alu instid0(VALU_DEP_1) | instskip(SKIP_3) | instid1(SALU_CYCLE_1)
	v_lshl_or_b32 v11, v11, 4, v39
	ds_add_u32 v11, v61
	s_wait_alu 0xfffe
	s_or_b32 exec_lo, exec_lo, s1
	s_mov_b32 s1, exec_lo
	v_cmpx_gt_u32_e64 s0, v35
	s_cbranch_execz .LBB1538_199
.LBB1538_206:                           ;   in Loop: Header=BB1538_180 Depth=2
	v_xor_b32_e32 v11, -1, v5
	s_delay_alu instid0(VALU_DEP_1) | instskip(NEXT) | instid1(VALU_DEP_1)
	v_and_b32_e32 v11, 1, v11
	v_and_b32_e32 v11, 0xffff, v11
	s_delay_alu instid0(VALU_DEP_1) | instskip(NEXT) | instid1(VALU_DEP_1)
	v_lshrrev_b32_e32 v11, s23, v11
	v_and_b32_e32 v11, s42, v11
	s_delay_alu instid0(VALU_DEP_1) | instskip(SKIP_3) | instid1(SALU_CYCLE_1)
	v_lshl_or_b32 v11, v11, 4, v39
	ds_add_u32 v11, v61
	s_wait_alu 0xfffe
	s_or_b32 exec_lo, exec_lo, s1
	s_mov_b32 s1, exec_lo
	v_cmpx_gt_u32_e64 s0, v36
	s_cbranch_execz .LBB1538_200
.LBB1538_207:                           ;   in Loop: Header=BB1538_180 Depth=2
	v_xor_b32_e32 v11, -1, v4
	s_delay_alu instid0(VALU_DEP_1) | instskip(NEXT) | instid1(VALU_DEP_1)
	v_and_b32_e32 v11, 1, v11
	v_and_b32_e32 v11, 0xffff, v11
	s_delay_alu instid0(VALU_DEP_1) | instskip(NEXT) | instid1(VALU_DEP_1)
	v_lshrrev_b32_e32 v11, s23, v11
	v_and_b32_e32 v11, s42, v11
	s_delay_alu instid0(VALU_DEP_1)
	v_lshl_or_b32 v11, v11, 4, v39
	ds_add_u32 v11, v61
	s_wait_alu 0xfffe
	s_or_b32 exec_lo, exec_lo, s1
	v_cmp_gt_u32_e32 vcc_lo, s0, v37
	s_and_saveexec_b32 s0, vcc_lo
	s_cbranch_execz .LBB1538_179
.LBB1538_208:                           ;   in Loop: Header=BB1538_180 Depth=2
	v_xor_b32_e32 v11, -1, v2
	s_delay_alu instid0(VALU_DEP_1) | instskip(NEXT) | instid1(VALU_DEP_1)
	v_and_b32_e32 v11, 1, v11
	v_and_b32_e32 v11, 0xffff, v11
	s_delay_alu instid0(VALU_DEP_1) | instskip(NEXT) | instid1(VALU_DEP_1)
	v_lshrrev_b32_e32 v11, s23, v11
	v_and_b32_e32 v11, s42, v11
	s_delay_alu instid0(VALU_DEP_1)
	v_lshl_or_b32 v11, v11, 4, v39
	ds_add_u32 v11, v61
	s_branch .LBB1538_179
.LBB1538_209:                           ;   in Loop: Header=BB1538_180 Depth=2
	s_wait_loadcnt 0x0
	s_wait_alu 0xfffe
	v_add_co_u32 v11, s12, s0, v1
	s_wait_alu 0xf1ff
	v_add_co_ci_u32_e64 v12, null, s1, 0, s12
	global_load_u8 v7, v[11:12], off
	s_or_b32 exec_lo, exec_lo, s11
	s_delay_alu instid0(SALU_CYCLE_1)
	s_mov_b32 s11, exec_lo
	v_cmpx_gt_u32_e64 s9, v29
	s_cbranch_execz .LBB1538_185
.LBB1538_210:                           ;   in Loop: Header=BB1538_180 Depth=2
	v_add_co_u32 v10, s12, s0, v1
	s_wait_loadcnt 0x0
	s_wait_alu 0xf1ff
	v_add_co_ci_u32_e64 v11, null, s1, 0, s12
	global_load_u8 v10, v[10:11], off offset:256
	s_wait_alu 0xfffe
	s_or_b32 exec_lo, exec_lo, s11
	s_delay_alu instid0(SALU_CYCLE_1)
	s_mov_b32 s11, exec_lo
	v_cmpx_gt_u32_e64 s9, v30
	s_cbranch_execz .LBB1538_186
.LBB1538_211:                           ;   in Loop: Header=BB1538_180 Depth=2
	s_wait_loadcnt 0x0
	v_add_co_u32 v11, s12, s0, v1
	s_wait_alu 0xf1ff
	v_add_co_ci_u32_e64 v12, null, s1, 0, s12
	global_load_u8 v9, v[11:12], off offset:512
	s_wait_alu 0xfffe
	s_or_b32 exec_lo, exec_lo, s11
	s_delay_alu instid0(SALU_CYCLE_1)
	s_mov_b32 s11, exec_lo
	v_cmpx_gt_u32_e64 s9, v31
	s_cbranch_execz .LBB1538_187
.LBB1538_212:                           ;   in Loop: Header=BB1538_180 Depth=2
	s_wait_loadcnt 0x0
	v_add_co_u32 v11, s12, s0, v1
	s_wait_alu 0xf1ff
	v_add_co_ci_u32_e64 v12, null, s1, 0, s12
	global_load_u8 v8, v[11:12], off offset:768
	s_wait_alu 0xfffe
	s_or_b32 exec_lo, exec_lo, s11
	s_delay_alu instid0(SALU_CYCLE_1)
	s_mov_b32 s11, exec_lo
	v_cmpx_gt_u32_e64 s9, v34
	s_cbranch_execz .LBB1538_188
.LBB1538_213:                           ;   in Loop: Header=BB1538_180 Depth=2
	s_wait_loadcnt 0x0
	v_add_co_u32 v11, s12, s0, v1
	s_wait_alu 0xf1ff
	v_add_co_ci_u32_e64 v12, null, s1, 0, s12
	global_load_u8 v6, v[11:12], off offset:1024
	s_wait_alu 0xfffe
	s_or_b32 exec_lo, exec_lo, s11
	s_delay_alu instid0(SALU_CYCLE_1)
	s_mov_b32 s11, exec_lo
	v_cmpx_gt_u32_e64 s9, v35
	s_cbranch_execz .LBB1538_189
.LBB1538_214:                           ;   in Loop: Header=BB1538_180 Depth=2
	s_wait_loadcnt 0x0
	v_add_co_u32 v11, s12, s0, v1
	s_wait_alu 0xf1ff
	v_add_co_ci_u32_e64 v12, null, s1, 0, s12
	global_load_u8 v5, v[11:12], off offset:1280
	s_wait_alu 0xfffe
	s_or_b32 exec_lo, exec_lo, s11
	s_delay_alu instid0(SALU_CYCLE_1)
	s_mov_b32 s11, exec_lo
	v_cmpx_gt_u32_e64 s9, v36
	s_cbranch_execz .LBB1538_190
.LBB1538_215:                           ;   in Loop: Header=BB1538_180 Depth=2
	s_wait_loadcnt 0x0
	v_add_co_u32 v11, s12, s0, v1
	s_wait_alu 0xf1ff
	v_add_co_ci_u32_e64 v12, null, s1, 0, s12
	global_load_u8 v4, v[11:12], off offset:1536
	s_wait_alu 0xfffe
	s_or_b32 exec_lo, exec_lo, s11
	s_delay_alu instid0(SALU_CYCLE_1)
	s_mov_b32 s11, exec_lo
	v_cmpx_gt_u32_e64 s9, v37
	s_cbranch_execnz .LBB1538_191
	s_branch .LBB1538_192
.LBB1538_216:                           ;   in Loop: Header=BB1538_12 Depth=1
	v_mov_b32_e32 v2, 0
	s_wait_dscnt 0x0
	s_barrier_signal -1
	s_barrier_wait -1
	global_inv scope:SCOPE_SE
	s_and_saveexec_b32 s0, s2
	s_cbranch_execz .LBB1538_218
; %bb.217:                              ;   in Loop: Header=BB1538_12 Depth=1
	ds_load_2addr_b64 v[4:7], v40 offset1:1
	s_wait_dscnt 0x0
	v_add_nc_u32_e32 v2, v5, v4
	s_delay_alu instid0(VALU_DEP_1)
	v_add3_u32 v2, v2, v6, v7
.LBB1538_218:                           ;   in Loop: Header=BB1538_12 Depth=1
	s_wait_alu 0xfffe
	s_or_b32 exec_lo, exec_lo, s0
	s_delay_alu instid0(VALU_DEP_1)
	v_mov_b32_dpp v4, v2 row_shr:1 row_mask:0xf bank_mask:0xf
	v_cmp_eq_u32_e64 s0, 0, v62
	v_cmp_lt_u32_e64 s1, 1, v62
	v_cmp_lt_u32_e64 s9, 3, v62
	;; [unrolled: 1-line block ×3, first 2 shown]
	v_cmp_eq_u32_e64 s11, 0, v64
	s_wait_alu 0xf1ff
	v_cndmask_b32_e64 v4, v4, 0, s0
	s_delay_alu instid0(VALU_DEP_1) | instskip(NEXT) | instid1(VALU_DEP_1)
	v_add_nc_u32_e32 v2, v4, v2
	v_mov_b32_dpp v4, v2 row_shr:2 row_mask:0xf bank_mask:0xf
	s_delay_alu instid0(VALU_DEP_1) | instskip(NEXT) | instid1(VALU_DEP_1)
	v_cndmask_b32_e64 v4, 0, v4, s1
	v_add_nc_u32_e32 v2, v2, v4
	s_delay_alu instid0(VALU_DEP_1) | instskip(NEXT) | instid1(VALU_DEP_1)
	v_mov_b32_dpp v4, v2 row_shr:4 row_mask:0xf bank_mask:0xf
	v_cndmask_b32_e64 v4, 0, v4, s9
	s_delay_alu instid0(VALU_DEP_1) | instskip(NEXT) | instid1(VALU_DEP_1)
	v_add_nc_u32_e32 v2, v2, v4
	v_mov_b32_dpp v4, v2 row_shr:8 row_mask:0xf bank_mask:0xf
	s_delay_alu instid0(VALU_DEP_1) | instskip(NEXT) | instid1(VALU_DEP_1)
	v_cndmask_b32_e64 v4, 0, v4, s10
	v_add_nc_u32_e32 v2, v2, v4
	ds_swizzle_b32 v4, v2 offset:swizzle(BROADCAST,32,15)
	s_wait_dscnt 0x0
	v_and_b32_e32 v4, v63, v4
	s_delay_alu instid0(VALU_DEP_1)
	v_add_nc_u32_e32 v2, v2, v4
	s_and_saveexec_b32 s12, s3
; %bb.219:                              ;   in Loop: Header=BB1538_12 Depth=1
	ds_store_b32 v41, v2
; %bb.220:                              ;   in Loop: Header=BB1538_12 Depth=1
	s_wait_alu 0xfffe
	s_or_b32 exec_lo, exec_lo, s12
	s_wait_loadcnt_dscnt 0x0
	s_barrier_signal -1
	s_barrier_wait -1
	global_inv scope:SCOPE_SE
	s_and_saveexec_b32 s12, s4
	s_cbranch_execz .LBB1538_222
; %bb.221:                              ;   in Loop: Header=BB1538_12 Depth=1
	ds_load_b32 v4, v42
	v_cmp_ne_u32_e32 vcc_lo, 0, v65
	s_wait_dscnt 0x0
	v_mov_b32_dpp v5, v4 row_shr:1 row_mask:0xf bank_mask:0xf
	s_wait_alu 0xfffd
	s_delay_alu instid0(VALU_DEP_1) | instskip(SKIP_1) | instid1(VALU_DEP_2)
	v_cndmask_b32_e32 v5, 0, v5, vcc_lo
	v_cmp_lt_u32_e32 vcc_lo, 1, v65
	v_add_nc_u32_e32 v4, v5, v4
	s_delay_alu instid0(VALU_DEP_1) | instskip(SKIP_1) | instid1(VALU_DEP_1)
	v_mov_b32_dpp v5, v4 row_shr:2 row_mask:0xf bank_mask:0xf
	s_wait_alu 0xfffd
	v_cndmask_b32_e32 v5, 0, v5, vcc_lo
	v_cmp_lt_u32_e32 vcc_lo, 3, v65
	s_delay_alu instid0(VALU_DEP_2) | instskip(NEXT) | instid1(VALU_DEP_1)
	v_add_nc_u32_e32 v4, v4, v5
	v_mov_b32_dpp v5, v4 row_shr:4 row_mask:0xf bank_mask:0xf
	s_wait_alu 0xfffd
	s_delay_alu instid0(VALU_DEP_1) | instskip(NEXT) | instid1(VALU_DEP_1)
	v_cndmask_b32_e32 v5, 0, v5, vcc_lo
	v_add_nc_u32_e32 v4, v4, v5
	ds_store_b32 v42, v4
.LBB1538_222:                           ;   in Loop: Header=BB1538_12 Depth=1
	s_wait_alu 0xfffe
	s_or_b32 exec_lo, exec_lo, s12
	v_mov_b32_e32 v4, 0
	s_wait_loadcnt_dscnt 0x0
	s_barrier_signal -1
	s_barrier_wait -1
	global_inv scope:SCOPE_SE
	s_and_saveexec_b32 s12, s5
; %bb.223:                              ;   in Loop: Header=BB1538_12 Depth=1
	ds_load_b32 v4, v43
; %bb.224:                              ;   in Loop: Header=BB1538_12 Depth=1
	s_wait_alu 0xfffe
	s_or_b32 exec_lo, exec_lo, s12
	v_cmp_gt_i32_e32 vcc_lo, 0, v67
	s_wait_dscnt 0x0
	v_add_nc_u32_e32 v2, v4, v2
	s_wait_loadcnt 0x0
	s_barrier_signal -1
	s_barrier_wait -1
	s_wait_alu 0xfffd
	v_cndmask_b32_e32 v5, v67, v58, vcc_lo
	global_inv scope:SCOPE_SE
	v_lshlrev_b32_e32 v80, 2, v5
	ds_bpermute_b32 v2, v80, v2
	s_and_saveexec_b32 s12, s2
	s_cbranch_execz .LBB1538_226
; %bb.225:                              ;   in Loop: Header=BB1538_12 Depth=1
	s_wait_dscnt 0x0
	v_cndmask_b32_e64 v2, v2, v4, s8
	s_delay_alu instid0(VALU_DEP_1)
	v_add_nc_u32_e32 v2, s33, v2
	ds_store_b32 v28, v2
.LBB1538_226:                           ;   in Loop: Header=BB1538_12 Depth=1
	s_wait_alu 0xfffe
	s_or_b32 exec_lo, exec_lo, s12
	s_load_b64 s[12:13], s[28:29], 0x0
	v_add_co_u32 v81, vcc_lo, v50, v66
	s_wait_alu 0xfffd
	v_add_co_ci_u32_e64 v82, null, 0, v51, vcc_lo
	v_add_co_u32 v83, vcc_lo, v52, v58
	s_wait_alu 0xfffd
	v_add_co_ci_u32_e64 v84, null, 0, v53, vcc_lo
	s_mov_b32 s43, s47
                                        ; implicit-def: $vgpr6_vgpr7
                                        ; implicit-def: $vgpr8_vgpr9
                                        ; implicit-def: $vgpr10_vgpr11
                                        ; implicit-def: $vgpr12_vgpr13
                                        ; implicit-def: $vgpr14_vgpr15
                                        ; implicit-def: $vgpr16_vgpr17
                                        ; implicit-def: $vgpr18_vgpr19
                                        ; implicit-def: $vgpr86
                                        ; implicit-def: $vgpr87
                                        ; implicit-def: $vgpr88
                                        ; implicit-def: $vgpr89
                                        ; implicit-def: $vgpr90
                                        ; implicit-def: $vgpr91
                                        ; implicit-def: $vgpr92
                                        ; implicit-def: $vgpr93
	s_wait_kmcnt 0x0
	s_cmp_lt_u32 ttmp7, s13
	s_cselect_b32 s30, 14, 20
	s_cmp_lt_u32 ttmp9, s12
	s_wait_alu 0xfffe
	s_add_nc_u64 s[14:15], s[28:29], s[30:31]
	s_cselect_b32 s30, 12, 18
	s_load_u16 s14, s[14:15], 0x0
	s_add_nc_u64 s[12:13], s[28:29], s[30:31]
	s_mov_b32 s30, s33
	s_load_u16 s12, s[12:13], 0x0
	v_cmp_lt_u32_e64 s13, 1, v65
	s_wait_dscnt 0x0
	s_wait_kmcnt 0x0
	v_mad_u32_u24 v2, v44, s14, v0
	v_cmp_lt_u32_e64 s14, 3, v65
	s_delay_alu instid0(VALU_DEP_2) | instskip(SKIP_1) | instid1(VALU_DEP_2)
	v_mad_co_u64_u32 v[4:5], null, v2, s12, v[1:2]
	v_cmp_eq_u32_e64 s12, 0, v65
	v_lshrrev_b32_e32 v2, 3, v4
                                        ; implicit-def: $vgpr4_vgpr5
	s_delay_alu instid0(VALU_DEP_1)
	v_and_b32_e32 v85, 0x1ffffffc, v2
	s_branch .LBB1538_228
.LBB1538_227:                           ;   in Loop: Header=BB1538_228 Depth=2
	s_wait_alu 0xfffe
	s_or_b32 exec_lo, exec_lo, s15
	s_addk_co_i32 s43, 0xf800
	s_cmp_lt_u32 s44, s34
	s_mov_b32 s30, s44
	s_cbranch_scc0 .LBB1538_340
.LBB1538_228:                           ;   Parent Loop BB1538_12 Depth=1
                                        ; =>  This Inner Loop Header: Depth=2
	s_wait_alu 0xfffe
	s_add_co_i32 s44, s30, 0x800
	s_wait_alu 0xfffe
	s_cmp_gt_u32 s44, s34
	s_cbranch_scc1 .LBB1538_230
; %bb.229:                              ;   in Loop: Header=BB1538_228 Depth=2
	v_add_co_u32 v20, vcc_lo, v83, s30
	s_wait_alu 0xfffd
	v_add_co_ci_u32_e64 v21, null, 0, v84, vcc_lo
	s_mov_b32 s15, -1
	s_clause 0x6
	global_load_u8 v25, v[20:21], off offset:192
	global_load_u8 v24, v[20:21], off offset:160
	;; [unrolled: 1-line block ×6, first 2 shown]
	global_load_u8 v27, v[20:21], off
	s_movk_i32 s16, 0x800
                                        ; implicit-def: $vgpr96
	s_cbranch_execz .LBB1538_231
	s_branch .LBB1538_241
.LBB1538_230:                           ;   in Loop: Header=BB1538_228 Depth=2
	s_mov_b32 s15, 0
                                        ; implicit-def: $vgpr27
                                        ; implicit-def: $vgpr95
                                        ; implicit-def: $vgpr22
                                        ; implicit-def: $vgpr26
                                        ; implicit-def: $vgpr23
                                        ; implicit-def: $vgpr24
                                        ; implicit-def: $vgpr25
	s_movk_i32 s16, 0x800
                                        ; implicit-def: $vgpr96
.LBB1538_231:                           ;   in Loop: Header=BB1538_228 Depth=2
	v_add_co_u32 v20, vcc_lo, v83, s30
	s_wait_alu 0xfffd
	v_add_co_ci_u32_e64 v21, null, 0, v84, vcc_lo
	s_wait_loadcnt 0x0
	v_dual_mov_b32 v22, 0 :: v_dual_mov_b32 v27, 0
	v_dual_mov_b32 v26, 0 :: v_dual_mov_b32 v23, 0
	;; [unrolled: 1-line block ×3, first 2 shown]
	v_mov_b32_e32 v96, 0
	s_mov_b32 s15, exec_lo
	v_cmpx_gt_u32_e64 s43, v68
	s_cbranch_execz .LBB1538_233
; %bb.232:                              ;   in Loop: Header=BB1538_228 Depth=2
	global_load_u8 v27, v[20:21], off
	v_dual_mov_b32 v26, 0 :: v_dual_mov_b32 v23, 0
	v_dual_mov_b32 v24, 0 :: v_dual_mov_b32 v25, 0
	v_mov_b32_e32 v96, 0
.LBB1538_233:                           ;   in Loop: Header=BB1538_228 Depth=2
	s_wait_alu 0xfffe
	s_or_b32 exec_lo, exec_lo, s15
	v_mov_b32_e32 v95, v22
	s_mov_b32 s15, exec_lo
	v_cmpx_gt_u32_e64 s43, v71
	s_cbranch_execnz .LBB1538_335
; %bb.234:                              ;   in Loop: Header=BB1538_228 Depth=2
	s_wait_alu 0xfffe
	s_or_b32 exec_lo, exec_lo, s15
	s_delay_alu instid0(SALU_CYCLE_1)
	s_mov_b32 s15, exec_lo
	v_cmpx_gt_u32_e64 s43, v72
	s_cbranch_execnz .LBB1538_336
.LBB1538_235:                           ;   in Loop: Header=BB1538_228 Depth=2
	s_wait_alu 0xfffe
	s_or_b32 exec_lo, exec_lo, s15
	s_delay_alu instid0(SALU_CYCLE_1)
	s_mov_b32 s15, exec_lo
	v_cmpx_gt_u32_e64 s43, v73
	s_cbranch_execnz .LBB1538_337
.LBB1538_236:                           ;   in Loop: Header=BB1538_228 Depth=2
	s_wait_alu 0xfffe
	s_or_b32 exec_lo, exec_lo, s15
	s_delay_alu instid0(SALU_CYCLE_1)
	s_mov_b32 s15, exec_lo
	v_cmpx_gt_u32_e64 s43, v74
	s_cbranch_execnz .LBB1538_338
.LBB1538_237:                           ;   in Loop: Header=BB1538_228 Depth=2
	s_wait_alu 0xfffe
	s_or_b32 exec_lo, exec_lo, s15
	s_delay_alu instid0(SALU_CYCLE_1)
	s_mov_b32 s15, exec_lo
	v_cmpx_gt_u32_e64 s43, v75
	s_cbranch_execnz .LBB1538_339
.LBB1538_238:                           ;   in Loop: Header=BB1538_228 Depth=2
	s_wait_alu 0xfffe
	s_or_b32 exec_lo, exec_lo, s15
	s_delay_alu instid0(SALU_CYCLE_1)
	s_mov_b32 s15, exec_lo
	v_cmpx_gt_u32_e64 s43, v76
	s_cbranch_execz .LBB1538_240
.LBB1538_239:                           ;   in Loop: Header=BB1538_228 Depth=2
	global_load_u8 v25, v[20:21], off offset:192
.LBB1538_240:                           ;   in Loop: Header=BB1538_228 Depth=2
	s_wait_alu 0xfffe
	s_or_b32 exec_lo, exec_lo, s15
	v_cmp_gt_u32_e64 s15, s43, v77
	s_sub_co_i32 s16, s34, s30
.LBB1538_241:                           ;   in Loop: Header=BB1538_228 Depth=2
	v_mov_b32_e32 v2, s43
	s_wait_alu 0xfffe
	s_and_saveexec_b32 s17, s15
	s_cbranch_execz .LBB1538_243
; %bb.242:                              ;   in Loop: Header=BB1538_228 Depth=2
	v_add_co_u32 v20, vcc_lo, v83, s30
	s_wait_alu 0xfffd
	v_add_co_ci_u32_e64 v21, null, s31, v84, vcc_lo
	v_mov_b32_e32 v2, s16
	global_load_u8 v96, v[20:21], off offset:224
.LBB1538_243:                           ;   in Loop: Header=BB1538_228 Depth=2
	s_wait_alu 0xfffe
	s_or_b32 exec_lo, exec_lo, s17
	s_wait_loadcnt 0x0
	v_and_b32_e32 v20, 1, v27
	v_and_b32_e32 v22, 1, v22
	;; [unrolled: 1-line block ×5, first 2 shown]
	v_cmp_eq_u32_e32 vcc_lo, 1, v20
	v_and_b32_e32 v25, 1, v25
	v_and_b32_e32 v96, 1, v96
	v_add_nc_u32_e32 v97, 0x420, v45
	v_add_nc_u32_e32 v98, 0x428, v45
	s_xor_b32 s15, vcc_lo, -1
	v_add_nc_u32_e32 v99, 0x430, v45
	s_wait_alu 0xfffe
	v_cndmask_b32_e64 v94, 0, 1, s15
	v_add_nc_u32_e32 v100, 0x438, v45
	v_cmp_eq_u32_e64 s19, 1, v22
	v_cmp_eq_u32_e64 s18, 1, v26
	;; [unrolled: 1-line block ×3, first 2 shown]
	v_lshrrev_b32_e32 v20, s23, v94
	v_cmp_eq_u32_e64 s16, 1, v24
	ds_store_2addr_b32 v100, v3, v3 offset1:1
	ds_store_2addr_b32 v97, v3, v3 offset1:1
	;; [unrolled: 1-line block ×4, first 2 shown]
	ds_store_b32 v45, v3 offset:1088
	s_wait_dscnt 0x0
	v_and_b32_e32 v21, s42, v20
	v_and_b32_e32 v20, 1, v95
	s_barrier_signal -1
	s_barrier_wait -1
	global_inv scope:SCOPE_SE
	v_add_co_u32 v27, s15, v21, -1
	s_wait_alu 0xf1ff
	v_cndmask_b32_e64 v95, 0, 1, s15
	v_cmp_eq_u32_e64 s20, 1, v20
	v_mul_u32_u24_e32 v21, 36, v21
	v_cmp_eq_u32_e64 s15, 1, v25
	s_delay_alu instid0(VALU_DEP_4) | instskip(NEXT) | instid1(VALU_DEP_3)
	v_cmp_ne_u32_e32 vcc_lo, 0, v95
	; wave barrier
	v_add_nc_u32_e32 v102, v85, v21
	s_wait_alu 0xfffd
	v_xor_b32_e32 v27, vcc_lo, v27
	v_cmp_eq_u32_e32 vcc_lo, 1, v96
	s_delay_alu instid0(VALU_DEP_2) | instskip(NEXT) | instid1(VALU_DEP_1)
	v_and_b32_e32 v20, exec_lo, v27
	v_mbcnt_lo_u32_b32 v95, v20, 0
	v_cmp_ne_u32_e64 s22, 0, v20
	s_delay_alu instid0(VALU_DEP_2)
	v_cmp_eq_u32_e64 s21, 0, v95
	s_and_b32 s22, s22, s21
	s_wait_alu 0xfffe
	s_and_saveexec_b32 s21, s22
; %bb.244:                              ;   in Loop: Header=BB1538_228 Depth=2
	v_bcnt_u32_b32 v20, v20, 0
	ds_store_b32 v102, v20 offset:1056
; %bb.245:                              ;   in Loop: Header=BB1538_228 Depth=2
	s_wait_alu 0xfffe
	s_or_b32 exec_lo, exec_lo, s21
	s_xor_b32 s20, s20, -1
	s_wait_alu 0xfffe
	v_cndmask_b32_e64 v96, 0, 1, s20
	; wave barrier
	s_delay_alu instid0(VALU_DEP_1) | instskip(NEXT) | instid1(VALU_DEP_1)
	v_lshrrev_b32_e32 v20, s23, v96
	v_and_b32_e32 v21, s42, v20
	s_delay_alu instid0(VALU_DEP_1) | instskip(SKIP_2) | instid1(VALU_DEP_1)
	v_add_co_u32 v20, s20, v21, -1
	s_wait_alu 0xf1ff
	v_cndmask_b32_e64 v22, 0, 1, s20
	v_cmp_ne_u32_e64 s20, 0, v22
	v_mad_u32_u24 v22, v21, 36, v85
	v_mul_u32_u24_e32 v21, 36, v21
	s_wait_alu 0xf1ff
	s_delay_alu instid0(VALU_DEP_3) | instskip(SKIP_3) | instid1(VALU_DEP_1)
	v_xor_b32_e32 v20, s20, v20
	ds_load_b32 v101, v22 offset:1056
	v_add_nc_u32_e32 v106, v85, v21
	; wave barrier
	v_and_b32_e32 v20, exec_lo, v20
	v_mbcnt_lo_u32_b32 v103, v20, 0
	v_cmp_ne_u32_e64 s21, 0, v20
	s_delay_alu instid0(VALU_DEP_2)
	v_cmp_eq_u32_e64 s20, 0, v103
	s_and_b32 s21, s21, s20
	s_wait_alu 0xfffe
	s_and_saveexec_b32 s20, s21
	s_cbranch_execz .LBB1538_247
; %bb.246:                              ;   in Loop: Header=BB1538_228 Depth=2
	s_wait_dscnt 0x0
	v_bcnt_u32_b32 v20, v20, v101
	ds_store_b32 v106, v20 offset:1056
.LBB1538_247:                           ;   in Loop: Header=BB1538_228 Depth=2
	s_wait_alu 0xfffe
	s_or_b32 exec_lo, exec_lo, s20
	s_xor_b32 s19, s19, -1
	s_wait_alu 0xfffe
	v_cndmask_b32_e64 v104, 0, 1, s19
	; wave barrier
	s_delay_alu instid0(VALU_DEP_1) | instskip(NEXT) | instid1(VALU_DEP_1)
	v_lshrrev_b32_e32 v20, s23, v104
	v_and_b32_e32 v21, s42, v20
	s_delay_alu instid0(VALU_DEP_1) | instskip(SKIP_2) | instid1(VALU_DEP_1)
	v_add_co_u32 v20, s19, v21, -1
	s_wait_alu 0xf1ff
	v_cndmask_b32_e64 v22, 0, 1, s19
	v_cmp_ne_u32_e64 s19, 0, v22
	v_mad_u32_u24 v22, v21, 36, v85
	v_mul_u32_u24_e32 v21, 36, v21
	s_wait_alu 0xf1ff
	s_delay_alu instid0(VALU_DEP_3) | instskip(SKIP_3) | instid1(VALU_DEP_1)
	v_xor_b32_e32 v20, s19, v20
	ds_load_b32 v105, v22 offset:1056
	v_add_nc_u32_e32 v110, v85, v21
	; wave barrier
	v_and_b32_e32 v20, exec_lo, v20
	v_mbcnt_lo_u32_b32 v107, v20, 0
	v_cmp_ne_u32_e64 s20, 0, v20
	s_delay_alu instid0(VALU_DEP_2)
	v_cmp_eq_u32_e64 s19, 0, v107
	s_and_b32 s20, s20, s19
	s_wait_alu 0xfffe
	s_and_saveexec_b32 s19, s20
	s_cbranch_execz .LBB1538_249
; %bb.248:                              ;   in Loop: Header=BB1538_228 Depth=2
	s_wait_dscnt 0x0
	v_bcnt_u32_b32 v20, v20, v105
	ds_store_b32 v110, v20 offset:1056
.LBB1538_249:                           ;   in Loop: Header=BB1538_228 Depth=2
	;; [unrolled: 36-line block ×6, first 2 shown]
	s_wait_alu 0xfffe
	s_or_b32 exec_lo, exec_lo, s15
	s_xor_b32 s15, vcc_lo, -1
	s_wait_alu 0xfffe
	v_cndmask_b32_e64 v124, 0, 1, s15
	; wave barrier
	s_delay_alu instid0(VALU_DEP_1) | instskip(NEXT) | instid1(VALU_DEP_1)
	v_lshrrev_b32_e32 v20, s23, v124
	v_and_b32_e32 v21, s42, v20
	s_delay_alu instid0(VALU_DEP_1) | instskip(SKIP_2) | instid1(VALU_DEP_1)
	v_add_co_u32 v20, s15, v21, -1
	s_wait_alu 0xf1ff
	v_cndmask_b32_e64 v22, 0, 1, s15
	v_cmp_ne_u32_e32 vcc_lo, 0, v22
	v_mad_u32_u24 v22, v21, 36, v85
	v_mul_u32_u24_e32 v21, 36, v21
	s_wait_alu 0xfffd
	v_xor_b32_e32 v20, vcc_lo, v20
	ds_load_b32 v125, v22 offset:1056
	v_add_nc_u32_e32 v128, v85, v21
	; wave barrier
	v_and_b32_e32 v20, exec_lo, v20
	s_delay_alu instid0(VALU_DEP_1) | instskip(SKIP_1) | instid1(VALU_DEP_2)
	v_mbcnt_lo_u32_b32 v127, v20, 0
	v_cmp_ne_u32_e64 s15, 0, v20
	v_cmp_eq_u32_e32 vcc_lo, 0, v127
	s_and_b32 s16, s15, vcc_lo
	s_wait_alu 0xfffe
	s_and_saveexec_b32 s15, s16
	s_cbranch_execz .LBB1538_259
; %bb.258:                              ;   in Loop: Header=BB1538_228 Depth=2
	s_wait_dscnt 0x0
	v_bcnt_u32_b32 v20, v20, v125
	ds_store_b32 v128, v20 offset:1056
.LBB1538_259:                           ;   in Loop: Header=BB1538_228 Depth=2
	s_wait_alu 0xfffe
	s_or_b32 exec_lo, exec_lo, s15
	; wave barrier
	s_wait_loadcnt_dscnt 0x0
	s_barrier_signal -1
	s_barrier_wait -1
	global_inv scope:SCOPE_SE
	ds_load_2addr_b32 v[26:27], v97 offset1:1
	ds_load_2addr_b32 v[24:25], v98 offset1:1
	;; [unrolled: 1-line block ×4, first 2 shown]
	ds_load_b32 v129, v45 offset:1088
	s_wait_dscnt 0x3
	v_add3_u32 v130, v27, v26, v24
	s_wait_dscnt 0x2
	s_delay_alu instid0(VALU_DEP_1) | instskip(SKIP_1) | instid1(VALU_DEP_1)
	v_add3_u32 v130, v130, v25, v22
	s_wait_dscnt 0x1
	v_add3_u32 v130, v130, v23, v20
	s_wait_dscnt 0x0
	s_delay_alu instid0(VALU_DEP_1) | instskip(NEXT) | instid1(VALU_DEP_1)
	v_add3_u32 v129, v130, v21, v129
	v_mov_b32_dpp v130, v129 row_shr:1 row_mask:0xf bank_mask:0xf
	s_delay_alu instid0(VALU_DEP_1) | instskip(NEXT) | instid1(VALU_DEP_1)
	v_cndmask_b32_e64 v130, v130, 0, s0
	v_add_nc_u32_e32 v129, v130, v129
	s_delay_alu instid0(VALU_DEP_1) | instskip(NEXT) | instid1(VALU_DEP_1)
	v_mov_b32_dpp v130, v129 row_shr:2 row_mask:0xf bank_mask:0xf
	v_cndmask_b32_e64 v130, 0, v130, s1
	s_delay_alu instid0(VALU_DEP_1) | instskip(NEXT) | instid1(VALU_DEP_1)
	v_add_nc_u32_e32 v129, v129, v130
	v_mov_b32_dpp v130, v129 row_shr:4 row_mask:0xf bank_mask:0xf
	s_delay_alu instid0(VALU_DEP_1) | instskip(NEXT) | instid1(VALU_DEP_1)
	v_cndmask_b32_e64 v130, 0, v130, s9
	v_add_nc_u32_e32 v129, v129, v130
	s_delay_alu instid0(VALU_DEP_1) | instskip(NEXT) | instid1(VALU_DEP_1)
	v_mov_b32_dpp v130, v129 row_shr:8 row_mask:0xf bank_mask:0xf
	v_cndmask_b32_e64 v130, 0, v130, s10
	s_delay_alu instid0(VALU_DEP_1) | instskip(SKIP_3) | instid1(VALU_DEP_1)
	v_add_nc_u32_e32 v129, v129, v130
	ds_swizzle_b32 v130, v129 offset:swizzle(BROADCAST,32,15)
	s_wait_dscnt 0x0
	v_cndmask_b32_e64 v130, v130, 0, s11
	v_add_nc_u32_e32 v129, v129, v130
	s_and_saveexec_b32 s15, s3
; %bb.260:                              ;   in Loop: Header=BB1538_228 Depth=2
	ds_store_b32 v38, v129 offset:1024
; %bb.261:                              ;   in Loop: Header=BB1538_228 Depth=2
	s_wait_alu 0xfffe
	s_or_b32 exec_lo, exec_lo, s15
	s_wait_loadcnt_dscnt 0x0
	s_barrier_signal -1
	s_barrier_wait -1
	global_inv scope:SCOPE_SE
	s_and_saveexec_b32 s15, s4
	s_cbranch_execz .LBB1538_263
; %bb.262:                              ;   in Loop: Header=BB1538_228 Depth=2
	v_add_nc_u32_e32 v130, v45, v46
	ds_load_b32 v131, v130 offset:1024
	s_wait_dscnt 0x0
	v_mov_b32_dpp v132, v131 row_shr:1 row_mask:0xf bank_mask:0xf
	s_delay_alu instid0(VALU_DEP_1) | instskip(NEXT) | instid1(VALU_DEP_1)
	v_cndmask_b32_e64 v132, v132, 0, s12
	v_add_nc_u32_e32 v131, v132, v131
	s_delay_alu instid0(VALU_DEP_1) | instskip(NEXT) | instid1(VALU_DEP_1)
	v_mov_b32_dpp v132, v131 row_shr:2 row_mask:0xf bank_mask:0xf
	v_cndmask_b32_e64 v132, 0, v132, s13
	s_delay_alu instid0(VALU_DEP_1) | instskip(NEXT) | instid1(VALU_DEP_1)
	v_add_nc_u32_e32 v131, v131, v132
	v_mov_b32_dpp v132, v131 row_shr:4 row_mask:0xf bank_mask:0xf
	s_delay_alu instid0(VALU_DEP_1) | instskip(NEXT) | instid1(VALU_DEP_1)
	v_cndmask_b32_e64 v132, 0, v132, s14
	v_add_nc_u32_e32 v131, v131, v132
	ds_store_b32 v130, v131 offset:1024
.LBB1538_263:                           ;   in Loop: Header=BB1538_228 Depth=2
	s_wait_alu 0xfffe
	s_or_b32 exec_lo, exec_lo, s15
	v_mov_b32_e32 v130, 0
	s_wait_loadcnt_dscnt 0x0
	s_barrier_signal -1
	s_barrier_wait -1
	global_inv scope:SCOPE_SE
	s_and_saveexec_b32 s15, s5
; %bb.264:                              ;   in Loop: Header=BB1538_228 Depth=2
	ds_load_b32 v130, v38 offset:1020
; %bb.265:                              ;   in Loop: Header=BB1538_228 Depth=2
	s_wait_alu 0xfffe
	s_or_b32 exec_lo, exec_lo, s15
	s_wait_dscnt 0x0
	v_add_nc_u32_e32 v129, v130, v129
	ds_bpermute_b32 v129, v80, v129
	s_wait_dscnt 0x0
	v_cndmask_b32_e64 v129, v129, v130, s8
	s_delay_alu instid0(VALU_DEP_1) | instskip(NEXT) | instid1(VALU_DEP_1)
	v_cndmask_b32_e64 v129, v129, 0, s6
	v_add_nc_u32_e32 v26, v129, v26
	s_delay_alu instid0(VALU_DEP_1) | instskip(NEXT) | instid1(VALU_DEP_1)
	v_add_nc_u32_e32 v27, v26, v27
	v_add_nc_u32_e32 v24, v27, v24
	s_delay_alu instid0(VALU_DEP_1) | instskip(NEXT) | instid1(VALU_DEP_1)
	v_add_nc_u32_e32 v25, v24, v25
	;; [unrolled: 3-line block ×3, first 2 shown]
	v_add_nc_u32_e32 v20, v23, v20
	s_delay_alu instid0(VALU_DEP_1)
	v_add_nc_u32_e32 v21, v20, v21
	ds_store_2addr_b32 v100, v23, v20 offset1:1
	ds_store_2addr_b32 v97, v129, v26 offset1:1
	;; [unrolled: 1-line block ×4, first 2 shown]
	ds_store_b32 v45, v21 offset:1088
	s_wait_loadcnt_dscnt 0x0
	s_barrier_signal -1
	s_barrier_wait -1
	global_inv scope:SCOPE_SE
	ds_load_b32 v20, v102 offset:1056
	ds_load_b32 v21, v106 offset:1056
	;; [unrolled: 1-line block ×9, first 2 shown]
	v_mov_b32_e32 v22, 0x800
	s_and_saveexec_b32 s15, s7
; %bb.266:                              ;   in Loop: Header=BB1538_228 Depth=2
	ds_load_b32 v22, v45 offset:1092
; %bb.267:                              ;   in Loop: Header=BB1538_228 Depth=2
	s_wait_alu 0xfffe
	s_or_b32 exec_lo, exec_lo, s15
	s_wait_loadcnt_dscnt 0x0
	s_barrier_signal -1
	s_barrier_wait -1
	global_inv scope:SCOPE_SE
	s_and_saveexec_b32 s15, s2
	s_cbranch_execz .LBB1538_269
; %bb.268:                              ;   in Loop: Header=BB1538_228 Depth=2
	ds_load_b32 v27, v28
	s_wait_dscnt 0x0
	v_sub_nc_u32_e32 v26, v27, v26
	ds_store_b32 v28, v26
.LBB1538_269:                           ;   in Loop: Header=BB1538_228 Depth=2
	s_wait_alu 0xfffe
	s_or_b32 exec_lo, exec_lo, s15
	v_add_nc_u32_e32 v98, v20, v95
	v_add3_u32 v97, v103, v101, v21
	v_add3_u32 v95, v107, v105, v23
	;; [unrolled: 1-line block ×7, first 2 shown]
	v_cmp_lt_u32_e64 s20, v1, v2
	ds_store_b8 v98, v94 offset:1024
	ds_store_b8 v97, v96 offset:1024
	;; [unrolled: 1-line block ×8, first 2 shown]
	s_wait_loadcnt_dscnt 0x0
	s_barrier_signal -1
	s_barrier_wait -1
	global_inv scope:SCOPE_SE
	s_and_saveexec_b32 s15, s20
	s_cbranch_execnz .LBB1538_306
; %bb.270:                              ;   in Loop: Header=BB1538_228 Depth=2
	s_wait_alu 0xfffe
	s_or_b32 exec_lo, exec_lo, s15
	v_cmp_lt_u32_e64 s21, v29, v2
	s_and_saveexec_b32 s15, s21
	s_cbranch_execnz .LBB1538_307
.LBB1538_271:                           ;   in Loop: Header=BB1538_228 Depth=2
	s_wait_alu 0xfffe
	s_or_b32 exec_lo, exec_lo, s15
	v_cmp_lt_u32_e64 s19, v30, v2
	s_and_saveexec_b32 s15, s19
	s_cbranch_execnz .LBB1538_308
.LBB1538_272:                           ;   in Loop: Header=BB1538_228 Depth=2
	s_wait_alu 0xfffe
	s_or_b32 exec_lo, exec_lo, s15
	v_cmp_lt_u32_e64 s18, v31, v2
	s_and_saveexec_b32 s15, s18
	s_cbranch_execnz .LBB1538_309
.LBB1538_273:                           ;   in Loop: Header=BB1538_228 Depth=2
	s_wait_alu 0xfffe
	s_or_b32 exec_lo, exec_lo, s15
	v_cmp_lt_u32_e64 s17, v34, v2
	s_and_saveexec_b32 s15, s17
	s_cbranch_execnz .LBB1538_310
.LBB1538_274:                           ;   in Loop: Header=BB1538_228 Depth=2
	s_wait_alu 0xfffe
	s_or_b32 exec_lo, exec_lo, s15
	v_cmp_lt_u32_e64 s16, v35, v2
	s_and_saveexec_b32 s15, s16
	s_cbranch_execnz .LBB1538_311
.LBB1538_275:                           ;   in Loop: Header=BB1538_228 Depth=2
	s_wait_alu 0xfffe
	s_or_b32 exec_lo, exec_lo, s15
	v_cmp_lt_u32_e64 s15, v36, v2
	s_and_saveexec_b32 s22, s15
	s_cbranch_execnz .LBB1538_312
.LBB1538_276:                           ;   in Loop: Header=BB1538_228 Depth=2
	s_wait_alu 0xfffe
	s_or_b32 exec_lo, exec_lo, s22
	v_cmp_lt_u32_e32 vcc_lo, v37, v2
	s_and_saveexec_b32 s22, vcc_lo
	s_cbranch_execz .LBB1538_278
.LBB1538_277:                           ;   in Loop: Header=BB1538_228 Depth=2
	ds_load_u8 v20, v1 offset:2816
	s_wait_dscnt 0x0
	v_and_b32_e32 v21, 1, v20
	v_xor_b32_e32 v20, 1, v20
	s_delay_alu instid0(VALU_DEP_2) | instskip(NEXT) | instid1(VALU_DEP_1)
	v_lshrrev_b32_e32 v21, s23, v21
	v_and_b32_e32 v21, s42, v21
	s_delay_alu instid0(VALU_DEP_1)
	v_lshlrev_b32_e32 v21, 2, v21
	ds_load_b32 v21, v21
	s_wait_dscnt 0x0
	v_add_nc_u32_e32 v21, v21, v37
	global_store_b8 v21, v20, s[40:41]
.LBB1538_278:                           ;   in Loop: Header=BB1538_228 Depth=2
	s_wait_alu 0xfffe
	s_or_b32 exec_lo, exec_lo, s22
	s_lshl_b64 s[48:49], s[30:31], 3
	s_wait_alu 0xfffe
	v_add_co_u32 v20, s22, v81, s48
	s_wait_alu 0xf1ff
	v_add_co_ci_u32_e64 v21, null, s49, v82, s22
	v_cmp_lt_u32_e64 s22, v68, v2
	s_and_saveexec_b32 s30, s22
	s_wait_alu 0xfffe
	s_xor_b32 s22, exec_lo, s30
	s_cbranch_execnz .LBB1538_313
; %bb.279:                              ;   in Loop: Header=BB1538_228 Depth=2
	s_wait_alu 0xfffe
	s_or_b32 exec_lo, exec_lo, s22
	s_delay_alu instid0(SALU_CYCLE_1)
	s_mov_b32 s30, exec_lo
	v_cmpx_lt_u32_e64 v71, v2
	s_cbranch_execnz .LBB1538_314
.LBB1538_280:                           ;   in Loop: Header=BB1538_228 Depth=2
	s_wait_alu 0xfffe
	s_or_b32 exec_lo, exec_lo, s30
	s_delay_alu instid0(SALU_CYCLE_1)
	s_mov_b32 s30, exec_lo
	v_cmpx_lt_u32_e64 v72, v2
	s_cbranch_execnz .LBB1538_315
.LBB1538_281:                           ;   in Loop: Header=BB1538_228 Depth=2
	s_wait_alu 0xfffe
	s_or_b32 exec_lo, exec_lo, s30
	s_delay_alu instid0(SALU_CYCLE_1)
	s_mov_b32 s30, exec_lo
	v_cmpx_lt_u32_e64 v73, v2
	s_cbranch_execnz .LBB1538_316
.LBB1538_282:                           ;   in Loop: Header=BB1538_228 Depth=2
	s_wait_alu 0xfffe
	s_or_b32 exec_lo, exec_lo, s30
	s_delay_alu instid0(SALU_CYCLE_1)
	s_mov_b32 s30, exec_lo
	v_cmpx_lt_u32_e64 v74, v2
	s_cbranch_execnz .LBB1538_317
.LBB1538_283:                           ;   in Loop: Header=BB1538_228 Depth=2
	s_wait_alu 0xfffe
	s_or_b32 exec_lo, exec_lo, s30
	s_delay_alu instid0(SALU_CYCLE_1)
	s_mov_b32 s30, exec_lo
	v_cmpx_lt_u32_e64 v75, v2
	s_cbranch_execnz .LBB1538_318
.LBB1538_284:                           ;   in Loop: Header=BB1538_228 Depth=2
	s_wait_alu 0xfffe
	s_or_b32 exec_lo, exec_lo, s30
	s_delay_alu instid0(SALU_CYCLE_1)
	s_mov_b32 s30, exec_lo
	v_cmpx_lt_u32_e64 v76, v2
	s_cbranch_execnz .LBB1538_319
.LBB1538_285:                           ;   in Loop: Header=BB1538_228 Depth=2
	s_wait_alu 0xfffe
	s_or_b32 exec_lo, exec_lo, s30
	s_delay_alu instid0(SALU_CYCLE_1)
	s_mov_b32 s30, exec_lo
	v_cmpx_lt_u32_e64 v77, v2
	s_cbranch_execnz .LBB1538_320
.LBB1538_286:                           ;   in Loop: Header=BB1538_228 Depth=2
	s_wait_alu 0xfffe
	s_or_b32 exec_lo, exec_lo, s30
	s_and_saveexec_b32 s22, s20
	s_cbranch_execnz .LBB1538_321
.LBB1538_287:                           ;   in Loop: Header=BB1538_228 Depth=2
	s_wait_alu 0xfffe
	s_or_b32 exec_lo, exec_lo, s22
	s_and_saveexec_b32 s22, s21
	s_cbranch_execnz .LBB1538_322
.LBB1538_288:                           ;   in Loop: Header=BB1538_228 Depth=2
	s_wait_alu 0xfffe
	s_or_b32 exec_lo, exec_lo, s22
	s_and_saveexec_b32 s22, s19
	s_cbranch_execnz .LBB1538_323
.LBB1538_289:                           ;   in Loop: Header=BB1538_228 Depth=2
	s_wait_alu 0xfffe
	s_or_b32 exec_lo, exec_lo, s22
	s_and_saveexec_b32 s22, s18
	s_cbranch_execnz .LBB1538_324
.LBB1538_290:                           ;   in Loop: Header=BB1538_228 Depth=2
	s_wait_alu 0xfffe
	s_or_b32 exec_lo, exec_lo, s22
	s_and_saveexec_b32 s22, s17
	s_cbranch_execnz .LBB1538_325
.LBB1538_291:                           ;   in Loop: Header=BB1538_228 Depth=2
	s_wait_alu 0xfffe
	s_or_b32 exec_lo, exec_lo, s22
	s_and_saveexec_b32 s22, s16
	s_cbranch_execnz .LBB1538_326
.LBB1538_292:                           ;   in Loop: Header=BB1538_228 Depth=2
	s_wait_alu 0xfffe
	s_or_b32 exec_lo, exec_lo, s22
	s_and_saveexec_b32 s22, s15
	s_cbranch_execnz .LBB1538_327
.LBB1538_293:                           ;   in Loop: Header=BB1538_228 Depth=2
	s_wait_alu 0xfffe
	s_or_b32 exec_lo, exec_lo, s22
	s_and_saveexec_b32 s22, vcc_lo
	s_cbranch_execz .LBB1538_295
.LBB1538_294:                           ;   in Loop: Header=BB1538_228 Depth=2
	ds_load_u8 v2, v1 offset:2816
	s_wait_dscnt 0x0
	v_lshrrev_b32_e32 v2, s23, v2
	s_delay_alu instid0(VALU_DEP_1)
	v_and_b32_e32 v86, s42, v2
.LBB1538_295:                           ;   in Loop: Header=BB1538_228 Depth=2
	s_wait_alu 0xfffe
	s_or_b32 exec_lo, exec_lo, s22
	v_lshlrev_b32_e32 v2, 3, v98
	v_lshlrev_b32_e32 v20, 3, v97
	;; [unrolled: 1-line block ×3, first 2 shown]
	s_wait_loadcnt 0x0
	s_wait_storecnt 0x0
	s_barrier_signal -1
	s_barrier_wait -1
	global_inv scope:SCOPE_SE
	ds_store_b64 v2, v[18:19] offset:1024
	ds_store_b64 v20, v[16:17] offset:1024
	;; [unrolled: 1-line block ×3, first 2 shown]
	v_lshlrev_b32_e32 v2, 3, v27
	v_lshlrev_b32_e32 v20, 3, v26
	;; [unrolled: 1-line block ×5, first 2 shown]
	ds_store_b64 v2, v[12:13] offset:1024
	ds_store_b64 v20, v[10:11] offset:1024
	;; [unrolled: 1-line block ×5, first 2 shown]
	s_wait_loadcnt_dscnt 0x0
	s_barrier_signal -1
	s_barrier_wait -1
	global_inv scope:SCOPE_SE
	s_and_saveexec_b32 s22, s20
	s_cbranch_execnz .LBB1538_328
; %bb.296:                              ;   in Loop: Header=BB1538_228 Depth=2
	s_wait_alu 0xfffe
	s_or_b32 exec_lo, exec_lo, s22
	s_and_saveexec_b32 s22, s21
	s_cbranch_execnz .LBB1538_329
.LBB1538_297:                           ;   in Loop: Header=BB1538_228 Depth=2
	s_wait_alu 0xfffe
	s_or_b32 exec_lo, exec_lo, s22
	s_and_saveexec_b32 s20, s19
	s_cbranch_execnz .LBB1538_330
.LBB1538_298:                           ;   in Loop: Header=BB1538_228 Depth=2
	s_wait_alu 0xfffe
	s_or_b32 exec_lo, exec_lo, s20
	s_and_saveexec_b32 s19, s18
	s_cbranch_execnz .LBB1538_331
.LBB1538_299:                           ;   in Loop: Header=BB1538_228 Depth=2
	s_wait_alu 0xfffe
	s_or_b32 exec_lo, exec_lo, s19
	s_and_saveexec_b32 s18, s17
	s_cbranch_execnz .LBB1538_332
.LBB1538_300:                           ;   in Loop: Header=BB1538_228 Depth=2
	s_wait_alu 0xfffe
	s_or_b32 exec_lo, exec_lo, s18
	s_and_saveexec_b32 s17, s16
	s_cbranch_execnz .LBB1538_333
.LBB1538_301:                           ;   in Loop: Header=BB1538_228 Depth=2
	s_wait_alu 0xfffe
	s_or_b32 exec_lo, exec_lo, s17
	s_and_saveexec_b32 s16, s15
	s_cbranch_execnz .LBB1538_334
.LBB1538_302:                           ;   in Loop: Header=BB1538_228 Depth=2
	s_wait_alu 0xfffe
	s_or_b32 exec_lo, exec_lo, s16
	s_and_saveexec_b32 s15, vcc_lo
	s_cbranch_execz .LBB1538_304
.LBB1538_303:                           ;   in Loop: Header=BB1538_228 Depth=2
	v_lshlrev_b32_e32 v2, 2, v86
	v_add_nc_u32_e32 v20, v1, v47
	ds_load_b32 v2, v2
	ds_load_b64 v[20:21], v20 offset:15360
	s_wait_dscnt 0x1
	v_add_nc_u32_e32 v2, v2, v37
	s_delay_alu instid0(VALU_DEP_1) | instskip(NEXT) | instid1(VALU_DEP_1)
	v_lshlrev_b64_e32 v[23:24], 3, v[2:3]
	v_add_co_u32 v23, vcc_lo, s26, v23
	s_wait_alu 0xfffd
	s_delay_alu instid0(VALU_DEP_2)
	v_add_co_ci_u32_e64 v24, null, s27, v24, vcc_lo
	s_wait_dscnt 0x0
	global_store_b64 v[23:24], v[20:21], off
.LBB1538_304:                           ;   in Loop: Header=BB1538_228 Depth=2
	s_wait_alu 0xfffe
	s_or_b32 exec_lo, exec_lo, s15
	s_wait_loadcnt 0x0
	s_wait_storecnt 0x0
	s_barrier_signal -1
	s_barrier_wait -1
	global_inv scope:SCOPE_SE
	s_and_saveexec_b32 s15, s2
	s_cbranch_execz .LBB1538_227
; %bb.305:                              ;   in Loop: Header=BB1538_228 Depth=2
	ds_load_b32 v2, v28
	s_wait_dscnt 0x0
	v_add_nc_u32_e32 v2, v2, v22
	ds_store_b32 v28, v2
	s_branch .LBB1538_227
.LBB1538_306:                           ;   in Loop: Header=BB1538_228 Depth=2
	ds_load_u8 v20, v1 offset:1024
	s_wait_dscnt 0x0
	v_and_b32_e32 v21, 1, v20
	v_xor_b32_e32 v20, 1, v20
	s_delay_alu instid0(VALU_DEP_2) | instskip(NEXT) | instid1(VALU_DEP_1)
	v_lshrrev_b32_e32 v21, s23, v21
	v_and_b32_e32 v21, s42, v21
	s_delay_alu instid0(VALU_DEP_1)
	v_lshlrev_b32_e32 v21, 2, v21
	ds_load_b32 v21, v21
	s_wait_dscnt 0x0
	v_add_nc_u32_e32 v21, v21, v1
	global_store_b8 v21, v20, s[40:41]
	s_wait_alu 0xfffe
	s_or_b32 exec_lo, exec_lo, s15
	v_cmp_lt_u32_e64 s21, v29, v2
	s_and_saveexec_b32 s15, s21
	s_cbranch_execz .LBB1538_271
.LBB1538_307:                           ;   in Loop: Header=BB1538_228 Depth=2
	ds_load_u8 v20, v1 offset:1280
	s_wait_dscnt 0x0
	v_and_b32_e32 v21, 1, v20
	v_xor_b32_e32 v20, 1, v20
	s_delay_alu instid0(VALU_DEP_2) | instskip(NEXT) | instid1(VALU_DEP_1)
	v_lshrrev_b32_e32 v21, s23, v21
	v_and_b32_e32 v21, s42, v21
	s_delay_alu instid0(VALU_DEP_1)
	v_lshlrev_b32_e32 v21, 2, v21
	ds_load_b32 v21, v21
	s_wait_dscnt 0x0
	v_add_nc_u32_e32 v21, v21, v29
	global_store_b8 v21, v20, s[40:41]
	s_wait_alu 0xfffe
	s_or_b32 exec_lo, exec_lo, s15
	v_cmp_lt_u32_e64 s19, v30, v2
	s_and_saveexec_b32 s15, s19
	s_cbranch_execz .LBB1538_272
.LBB1538_308:                           ;   in Loop: Header=BB1538_228 Depth=2
	ds_load_u8 v20, v1 offset:1536
	s_wait_dscnt 0x0
	v_and_b32_e32 v21, 1, v20
	v_xor_b32_e32 v20, 1, v20
	s_delay_alu instid0(VALU_DEP_2) | instskip(NEXT) | instid1(VALU_DEP_1)
	v_lshrrev_b32_e32 v21, s23, v21
	v_and_b32_e32 v21, s42, v21
	s_delay_alu instid0(VALU_DEP_1)
	v_lshlrev_b32_e32 v21, 2, v21
	ds_load_b32 v21, v21
	s_wait_dscnt 0x0
	v_add_nc_u32_e32 v21, v21, v30
	global_store_b8 v21, v20, s[40:41]
	s_wait_alu 0xfffe
	s_or_b32 exec_lo, exec_lo, s15
	v_cmp_lt_u32_e64 s18, v31, v2
	s_and_saveexec_b32 s15, s18
	s_cbranch_execz .LBB1538_273
.LBB1538_309:                           ;   in Loop: Header=BB1538_228 Depth=2
	ds_load_u8 v20, v1 offset:1792
	s_wait_dscnt 0x0
	v_and_b32_e32 v21, 1, v20
	v_xor_b32_e32 v20, 1, v20
	s_delay_alu instid0(VALU_DEP_2) | instskip(NEXT) | instid1(VALU_DEP_1)
	v_lshrrev_b32_e32 v21, s23, v21
	v_and_b32_e32 v21, s42, v21
	s_delay_alu instid0(VALU_DEP_1)
	v_lshlrev_b32_e32 v21, 2, v21
	ds_load_b32 v21, v21
	s_wait_dscnt 0x0
	v_add_nc_u32_e32 v21, v21, v31
	global_store_b8 v21, v20, s[40:41]
	s_wait_alu 0xfffe
	s_or_b32 exec_lo, exec_lo, s15
	v_cmp_lt_u32_e64 s17, v34, v2
	s_and_saveexec_b32 s15, s17
	s_cbranch_execz .LBB1538_274
.LBB1538_310:                           ;   in Loop: Header=BB1538_228 Depth=2
	ds_load_u8 v20, v1 offset:2048
	s_wait_dscnt 0x0
	v_and_b32_e32 v21, 1, v20
	v_xor_b32_e32 v20, 1, v20
	s_delay_alu instid0(VALU_DEP_2) | instskip(NEXT) | instid1(VALU_DEP_1)
	v_lshrrev_b32_e32 v21, s23, v21
	v_and_b32_e32 v21, s42, v21
	s_delay_alu instid0(VALU_DEP_1)
	v_lshlrev_b32_e32 v21, 2, v21
	ds_load_b32 v21, v21
	s_wait_dscnt 0x0
	v_add_nc_u32_e32 v21, v21, v34
	global_store_b8 v21, v20, s[40:41]
	s_wait_alu 0xfffe
	s_or_b32 exec_lo, exec_lo, s15
	v_cmp_lt_u32_e64 s16, v35, v2
	s_and_saveexec_b32 s15, s16
	s_cbranch_execz .LBB1538_275
.LBB1538_311:                           ;   in Loop: Header=BB1538_228 Depth=2
	ds_load_u8 v20, v1 offset:2304
	s_wait_dscnt 0x0
	v_and_b32_e32 v21, 1, v20
	v_xor_b32_e32 v20, 1, v20
	s_delay_alu instid0(VALU_DEP_2) | instskip(NEXT) | instid1(VALU_DEP_1)
	v_lshrrev_b32_e32 v21, s23, v21
	v_and_b32_e32 v21, s42, v21
	s_delay_alu instid0(VALU_DEP_1)
	v_lshlrev_b32_e32 v21, 2, v21
	ds_load_b32 v21, v21
	s_wait_dscnt 0x0
	v_add_nc_u32_e32 v21, v21, v35
	global_store_b8 v21, v20, s[40:41]
	s_wait_alu 0xfffe
	s_or_b32 exec_lo, exec_lo, s15
	v_cmp_lt_u32_e64 s15, v36, v2
	s_and_saveexec_b32 s22, s15
	s_cbranch_execz .LBB1538_276
.LBB1538_312:                           ;   in Loop: Header=BB1538_228 Depth=2
	ds_load_u8 v20, v1 offset:2560
	s_wait_dscnt 0x0
	v_and_b32_e32 v21, 1, v20
	v_xor_b32_e32 v20, 1, v20
	s_delay_alu instid0(VALU_DEP_2) | instskip(NEXT) | instid1(VALU_DEP_1)
	v_lshrrev_b32_e32 v21, s23, v21
	v_and_b32_e32 v21, s42, v21
	s_delay_alu instid0(VALU_DEP_1)
	v_lshlrev_b32_e32 v21, 2, v21
	ds_load_b32 v21, v21
	s_wait_dscnt 0x0
	v_add_nc_u32_e32 v21, v21, v36
	global_store_b8 v21, v20, s[40:41]
	s_wait_alu 0xfffe
	s_or_b32 exec_lo, exec_lo, s22
	v_cmp_lt_u32_e32 vcc_lo, v37, v2
	s_and_saveexec_b32 s22, vcc_lo
	s_cbranch_execnz .LBB1538_277
	s_branch .LBB1538_278
.LBB1538_313:                           ;   in Loop: Header=BB1538_228 Depth=2
	global_load_b64 v[18:19], v[20:21], off
	s_wait_alu 0xfffe
	s_or_b32 exec_lo, exec_lo, s22
	s_delay_alu instid0(SALU_CYCLE_1)
	s_mov_b32 s30, exec_lo
	v_cmpx_lt_u32_e64 v71, v2
	s_cbranch_execz .LBB1538_280
.LBB1538_314:                           ;   in Loop: Header=BB1538_228 Depth=2
	global_load_b64 v[16:17], v[20:21], off offset:256
	s_wait_alu 0xfffe
	s_or_b32 exec_lo, exec_lo, s30
	s_delay_alu instid0(SALU_CYCLE_1)
	s_mov_b32 s30, exec_lo
	v_cmpx_lt_u32_e64 v72, v2
	s_cbranch_execz .LBB1538_281
.LBB1538_315:                           ;   in Loop: Header=BB1538_228 Depth=2
	global_load_b64 v[14:15], v[20:21], off offset:512
	s_wait_alu 0xfffe
	s_or_b32 exec_lo, exec_lo, s30
	s_delay_alu instid0(SALU_CYCLE_1)
	s_mov_b32 s30, exec_lo
	v_cmpx_lt_u32_e64 v73, v2
	s_cbranch_execz .LBB1538_282
.LBB1538_316:                           ;   in Loop: Header=BB1538_228 Depth=2
	global_load_b64 v[12:13], v[20:21], off offset:768
	s_wait_alu 0xfffe
	s_or_b32 exec_lo, exec_lo, s30
	s_delay_alu instid0(SALU_CYCLE_1)
	s_mov_b32 s30, exec_lo
	v_cmpx_lt_u32_e64 v74, v2
	s_cbranch_execz .LBB1538_283
.LBB1538_317:                           ;   in Loop: Header=BB1538_228 Depth=2
	global_load_b64 v[10:11], v[20:21], off offset:1024
	s_wait_alu 0xfffe
	s_or_b32 exec_lo, exec_lo, s30
	s_delay_alu instid0(SALU_CYCLE_1)
	s_mov_b32 s30, exec_lo
	v_cmpx_lt_u32_e64 v75, v2
	s_cbranch_execz .LBB1538_284
.LBB1538_318:                           ;   in Loop: Header=BB1538_228 Depth=2
	global_load_b64 v[8:9], v[20:21], off offset:1280
	s_wait_alu 0xfffe
	s_or_b32 exec_lo, exec_lo, s30
	s_delay_alu instid0(SALU_CYCLE_1)
	s_mov_b32 s30, exec_lo
	v_cmpx_lt_u32_e64 v76, v2
	s_cbranch_execz .LBB1538_285
.LBB1538_319:                           ;   in Loop: Header=BB1538_228 Depth=2
	global_load_b64 v[6:7], v[20:21], off offset:1536
	s_wait_alu 0xfffe
	s_or_b32 exec_lo, exec_lo, s30
	s_delay_alu instid0(SALU_CYCLE_1)
	s_mov_b32 s30, exec_lo
	v_cmpx_lt_u32_e64 v77, v2
	s_cbranch_execz .LBB1538_286
.LBB1538_320:                           ;   in Loop: Header=BB1538_228 Depth=2
	global_load_b64 v[4:5], v[20:21], off offset:1792
	s_wait_alu 0xfffe
	s_or_b32 exec_lo, exec_lo, s30
	s_and_saveexec_b32 s22, s20
	s_cbranch_execz .LBB1538_287
.LBB1538_321:                           ;   in Loop: Header=BB1538_228 Depth=2
	ds_load_u8 v2, v1 offset:1024
	s_wait_dscnt 0x0
	v_lshrrev_b32_e32 v2, s23, v2
	s_delay_alu instid0(VALU_DEP_1)
	v_and_b32_e32 v93, s42, v2
	s_wait_alu 0xfffe
	s_or_b32 exec_lo, exec_lo, s22
	s_and_saveexec_b32 s22, s21
	s_cbranch_execz .LBB1538_288
.LBB1538_322:                           ;   in Loop: Header=BB1538_228 Depth=2
	ds_load_u8 v2, v1 offset:1280
	s_wait_dscnt 0x0
	v_lshrrev_b32_e32 v2, s23, v2
	s_delay_alu instid0(VALU_DEP_1)
	v_and_b32_e32 v92, s42, v2
	s_wait_alu 0xfffe
	s_or_b32 exec_lo, exec_lo, s22
	s_and_saveexec_b32 s22, s19
	s_cbranch_execz .LBB1538_289
.LBB1538_323:                           ;   in Loop: Header=BB1538_228 Depth=2
	ds_load_u8 v2, v1 offset:1536
	s_wait_dscnt 0x0
	v_lshrrev_b32_e32 v2, s23, v2
	s_delay_alu instid0(VALU_DEP_1)
	v_and_b32_e32 v91, s42, v2
	s_wait_alu 0xfffe
	s_or_b32 exec_lo, exec_lo, s22
	s_and_saveexec_b32 s22, s18
	s_cbranch_execz .LBB1538_290
.LBB1538_324:                           ;   in Loop: Header=BB1538_228 Depth=2
	ds_load_u8 v2, v1 offset:1792
	s_wait_dscnt 0x0
	v_lshrrev_b32_e32 v2, s23, v2
	s_delay_alu instid0(VALU_DEP_1)
	v_and_b32_e32 v90, s42, v2
	s_wait_alu 0xfffe
	s_or_b32 exec_lo, exec_lo, s22
	s_and_saveexec_b32 s22, s17
	s_cbranch_execz .LBB1538_291
.LBB1538_325:                           ;   in Loop: Header=BB1538_228 Depth=2
	ds_load_u8 v2, v1 offset:2048
	s_wait_dscnt 0x0
	v_lshrrev_b32_e32 v2, s23, v2
	s_delay_alu instid0(VALU_DEP_1)
	v_and_b32_e32 v89, s42, v2
	s_wait_alu 0xfffe
	s_or_b32 exec_lo, exec_lo, s22
	s_and_saveexec_b32 s22, s16
	s_cbranch_execz .LBB1538_292
.LBB1538_326:                           ;   in Loop: Header=BB1538_228 Depth=2
	ds_load_u8 v2, v1 offset:2304
	s_wait_dscnt 0x0
	v_lshrrev_b32_e32 v2, s23, v2
	s_delay_alu instid0(VALU_DEP_1)
	v_and_b32_e32 v88, s42, v2
	s_wait_alu 0xfffe
	s_or_b32 exec_lo, exec_lo, s22
	s_and_saveexec_b32 s22, s15
	s_cbranch_execz .LBB1538_293
.LBB1538_327:                           ;   in Loop: Header=BB1538_228 Depth=2
	ds_load_u8 v2, v1 offset:2560
	s_wait_dscnt 0x0
	v_lshrrev_b32_e32 v2, s23, v2
	s_delay_alu instid0(VALU_DEP_1)
	v_and_b32_e32 v87, s42, v2
	s_wait_alu 0xfffe
	s_or_b32 exec_lo, exec_lo, s22
	s_and_saveexec_b32 s22, vcc_lo
	s_cbranch_execnz .LBB1538_294
	s_branch .LBB1538_295
.LBB1538_328:                           ;   in Loop: Header=BB1538_228 Depth=2
	v_lshlrev_b32_e32 v2, 2, v93
	v_add_nc_u32_e32 v20, v1, v47
	ds_load_b32 v2, v2
	ds_load_b64 v[20:21], v20 offset:1024
	s_wait_dscnt 0x1
	v_add_nc_u32_e32 v2, v2, v1
	s_delay_alu instid0(VALU_DEP_1) | instskip(NEXT) | instid1(VALU_DEP_1)
	v_lshlrev_b64_e32 v[23:24], 3, v[2:3]
	v_add_co_u32 v23, s20, s26, v23
	s_wait_alu 0xf1ff
	s_delay_alu instid0(VALU_DEP_2)
	v_add_co_ci_u32_e64 v24, null, s27, v24, s20
	s_wait_dscnt 0x0
	global_store_b64 v[23:24], v[20:21], off
	s_wait_alu 0xfffe
	s_or_b32 exec_lo, exec_lo, s22
	s_and_saveexec_b32 s22, s21
	s_cbranch_execz .LBB1538_297
.LBB1538_329:                           ;   in Loop: Header=BB1538_228 Depth=2
	v_lshlrev_b32_e32 v2, 2, v92
	v_add_nc_u32_e32 v20, v1, v47
	ds_load_b32 v2, v2
	ds_load_b64 v[20:21], v20 offset:3072
	s_wait_dscnt 0x1
	v_add_nc_u32_e32 v2, v2, v29
	s_delay_alu instid0(VALU_DEP_1) | instskip(NEXT) | instid1(VALU_DEP_1)
	v_lshlrev_b64_e32 v[23:24], 3, v[2:3]
	v_add_co_u32 v23, s20, s26, v23
	s_wait_alu 0xf1ff
	s_delay_alu instid0(VALU_DEP_2)
	v_add_co_ci_u32_e64 v24, null, s27, v24, s20
	s_wait_dscnt 0x0
	global_store_b64 v[23:24], v[20:21], off
	s_wait_alu 0xfffe
	s_or_b32 exec_lo, exec_lo, s22
	s_and_saveexec_b32 s20, s19
	s_cbranch_execz .LBB1538_298
.LBB1538_330:                           ;   in Loop: Header=BB1538_228 Depth=2
	v_lshlrev_b32_e32 v2, 2, v91
	v_add_nc_u32_e32 v20, v1, v47
	ds_load_b32 v2, v2
	ds_load_b64 v[20:21], v20 offset:5120
	s_wait_dscnt 0x1
	v_add_nc_u32_e32 v2, v2, v30
	s_delay_alu instid0(VALU_DEP_1) | instskip(NEXT) | instid1(VALU_DEP_1)
	v_lshlrev_b64_e32 v[23:24], 3, v[2:3]
	v_add_co_u32 v23, s19, s26, v23
	s_wait_alu 0xf1ff
	s_delay_alu instid0(VALU_DEP_2)
	v_add_co_ci_u32_e64 v24, null, s27, v24, s19
	s_wait_dscnt 0x0
	global_store_b64 v[23:24], v[20:21], off
	s_wait_alu 0xfffe
	s_or_b32 exec_lo, exec_lo, s20
	s_and_saveexec_b32 s19, s18
	s_cbranch_execz .LBB1538_299
.LBB1538_331:                           ;   in Loop: Header=BB1538_228 Depth=2
	v_lshlrev_b32_e32 v2, 2, v90
	v_add_nc_u32_e32 v20, v1, v47
	ds_load_b32 v2, v2
	ds_load_b64 v[20:21], v20 offset:7168
	s_wait_dscnt 0x1
	v_add_nc_u32_e32 v2, v2, v31
	s_delay_alu instid0(VALU_DEP_1) | instskip(NEXT) | instid1(VALU_DEP_1)
	v_lshlrev_b64_e32 v[23:24], 3, v[2:3]
	v_add_co_u32 v23, s18, s26, v23
	s_wait_alu 0xf1ff
	s_delay_alu instid0(VALU_DEP_2)
	v_add_co_ci_u32_e64 v24, null, s27, v24, s18
	s_wait_dscnt 0x0
	global_store_b64 v[23:24], v[20:21], off
	s_wait_alu 0xfffe
	s_or_b32 exec_lo, exec_lo, s19
	s_and_saveexec_b32 s18, s17
	s_cbranch_execz .LBB1538_300
.LBB1538_332:                           ;   in Loop: Header=BB1538_228 Depth=2
	v_lshlrev_b32_e32 v2, 2, v89
	v_add_nc_u32_e32 v20, v1, v47
	ds_load_b32 v2, v2
	ds_load_b64 v[20:21], v20 offset:9216
	s_wait_dscnt 0x1
	v_add_nc_u32_e32 v2, v2, v34
	s_delay_alu instid0(VALU_DEP_1) | instskip(NEXT) | instid1(VALU_DEP_1)
	v_lshlrev_b64_e32 v[23:24], 3, v[2:3]
	v_add_co_u32 v23, s17, s26, v23
	s_wait_alu 0xf1ff
	s_delay_alu instid0(VALU_DEP_2)
	v_add_co_ci_u32_e64 v24, null, s27, v24, s17
	s_wait_dscnt 0x0
	global_store_b64 v[23:24], v[20:21], off
	s_wait_alu 0xfffe
	s_or_b32 exec_lo, exec_lo, s18
	s_and_saveexec_b32 s17, s16
	s_cbranch_execz .LBB1538_301
.LBB1538_333:                           ;   in Loop: Header=BB1538_228 Depth=2
	v_lshlrev_b32_e32 v2, 2, v88
	v_add_nc_u32_e32 v20, v1, v47
	ds_load_b32 v2, v2
	ds_load_b64 v[20:21], v20 offset:11264
	s_wait_dscnt 0x1
	v_add_nc_u32_e32 v2, v2, v35
	s_delay_alu instid0(VALU_DEP_1) | instskip(NEXT) | instid1(VALU_DEP_1)
	v_lshlrev_b64_e32 v[23:24], 3, v[2:3]
	v_add_co_u32 v23, s16, s26, v23
	s_wait_alu 0xf1ff
	s_delay_alu instid0(VALU_DEP_2)
	v_add_co_ci_u32_e64 v24, null, s27, v24, s16
	s_wait_dscnt 0x0
	global_store_b64 v[23:24], v[20:21], off
	s_wait_alu 0xfffe
	s_or_b32 exec_lo, exec_lo, s17
	s_and_saveexec_b32 s16, s15
	s_cbranch_execz .LBB1538_302
.LBB1538_334:                           ;   in Loop: Header=BB1538_228 Depth=2
	v_lshlrev_b32_e32 v2, 2, v87
	v_add_nc_u32_e32 v20, v1, v47
	ds_load_b32 v2, v2
	ds_load_b64 v[20:21], v20 offset:13312
	s_wait_dscnt 0x1
	v_add_nc_u32_e32 v2, v2, v36
	s_delay_alu instid0(VALU_DEP_1) | instskip(NEXT) | instid1(VALU_DEP_1)
	v_lshlrev_b64_e32 v[23:24], 3, v[2:3]
	v_add_co_u32 v23, s15, s26, v23
	s_wait_alu 0xf1ff
	s_delay_alu instid0(VALU_DEP_2)
	v_add_co_ci_u32_e64 v24, null, s27, v24, s15
	s_wait_dscnt 0x0
	global_store_b64 v[23:24], v[20:21], off
	s_wait_alu 0xfffe
	s_or_b32 exec_lo, exec_lo, s16
	s_and_saveexec_b32 s15, vcc_lo
	s_cbranch_execnz .LBB1538_303
	s_branch .LBB1538_304
.LBB1538_335:                           ;   in Loop: Header=BB1538_228 Depth=2
	global_load_u8 v95, v[20:21], off offset:32
	s_wait_alu 0xfffe
	s_or_b32 exec_lo, exec_lo, s15
	s_delay_alu instid0(SALU_CYCLE_1)
	s_mov_b32 s15, exec_lo
	v_cmpx_gt_u32_e64 s43, v72
	s_cbranch_execz .LBB1538_235
.LBB1538_336:                           ;   in Loop: Header=BB1538_228 Depth=2
	global_load_u8 v22, v[20:21], off offset:64
	s_wait_alu 0xfffe
	s_or_b32 exec_lo, exec_lo, s15
	s_delay_alu instid0(SALU_CYCLE_1)
	s_mov_b32 s15, exec_lo
	v_cmpx_gt_u32_e64 s43, v73
	s_cbranch_execz .LBB1538_236
.LBB1538_337:                           ;   in Loop: Header=BB1538_228 Depth=2
	global_load_u8 v26, v[20:21], off offset:96
	s_wait_alu 0xfffe
	s_or_b32 exec_lo, exec_lo, s15
	s_delay_alu instid0(SALU_CYCLE_1)
	s_mov_b32 s15, exec_lo
	v_cmpx_gt_u32_e64 s43, v74
	s_cbranch_execz .LBB1538_237
.LBB1538_338:                           ;   in Loop: Header=BB1538_228 Depth=2
	global_load_u8 v23, v[20:21], off offset:128
	s_wait_alu 0xfffe
	s_or_b32 exec_lo, exec_lo, s15
	s_delay_alu instid0(SALU_CYCLE_1)
	s_mov_b32 s15, exec_lo
	v_cmpx_gt_u32_e64 s43, v75
	s_cbranch_execz .LBB1538_238
.LBB1538_339:                           ;   in Loop: Header=BB1538_228 Depth=2
	global_load_u8 v24, v[20:21], off offset:160
	s_wait_alu 0xfffe
	s_or_b32 exec_lo, exec_lo, s15
	s_delay_alu instid0(SALU_CYCLE_1)
	s_mov_b32 s15, exec_lo
	v_cmpx_gt_u32_e64 s43, v76
	s_cbranch_execnz .LBB1538_239
	s_branch .LBB1538_240
.LBB1538_340:                           ;   in Loop: Header=BB1538_12 Depth=1
	s_wait_loadcnt_dscnt 0x0
	s_barrier_signal -1
	s_barrier_wait -1
.LBB1538_341:                           ;   in Loop: Header=BB1538_12 Depth=1
	s_mov_b32 s0, 0
.LBB1538_342:                           ;   in Loop: Header=BB1538_12 Depth=1
	s_wait_alu 0xfffe
	s_and_not1_b32 vcc_lo, exec_lo, s0
	s_wait_alu 0xfffe
	s_cbranch_vccnz .LBB1538_11
; %bb.343:                              ;   in Loop: Header=BB1538_12 Depth=1
	s_and_b32 vcc_lo, exec_lo, s35
	s_mov_b32 s0, -1
	s_wait_alu 0xfffe
	s_cbranch_vccz .LBB1538_507
; %bb.344:                              ;   in Loop: Header=BB1538_12 Depth=1
	v_dual_mov_b32 v7, 0 :: v_dual_mov_b32 v10, 0
	v_dual_mov_b32 v9, 0 :: v_dual_mov_b32 v8, 0
	;; [unrolled: 1-line block ×3, first 2 shown]
	v_mov_b32_e32 v4, 0
	v_mov_b32_e32 v2, 0
	s_mov_b32 s9, s47
	s_mov_b32 s30, s33
	s_barrier_signal -1
	s_barrier_wait -1
	global_inv scope:SCOPE_SE
	s_branch .LBB1538_346
.LBB1538_345:                           ;   in Loop: Header=BB1538_346 Depth=2
	s_wait_alu 0xfffe
	s_or_b32 exec_lo, exec_lo, s0
	s_addk_co_i32 s9, 0xf800
	s_cmp_ge_u32 s10, s34
	s_mov_b32 s30, s10
	s_cbranch_scc1 .LBB1538_382
.LBB1538_346:                           ;   Parent Loop BB1538_12 Depth=1
                                        ; =>  This Inner Loop Header: Depth=2
	s_wait_alu 0xfffe
	s_add_co_i32 s10, s30, 0x800
	s_mov_b32 s0, -1
	s_wait_alu 0xfffe
	s_cmp_gt_u32 s10, s34
                                        ; implicit-def: $vgpr11
                                        ; implicit-def: $vgpr12
                                        ; implicit-def: $vgpr13
                                        ; implicit-def: $vgpr14
                                        ; implicit-def: $vgpr15
                                        ; implicit-def: $vgpr16
                                        ; implicit-def: $vgpr17
                                        ; implicit-def: $vgpr18
	s_cbranch_scc1 .LBB1538_348
; %bb.347:                              ;   in Loop: Header=BB1538_346 Depth=2
	v_add_co_u32 v19, vcc_lo, v54, s30
	s_wait_alu 0xfffd
	v_add_co_ci_u32_e64 v20, null, 0, v55, vcc_lo
	s_mov_b32 s0, 0
	s_clause 0x7
	global_load_u8 v18, v[19:20], off offset:1792
	global_load_u8 v17, v[19:20], off offset:1536
	;; [unrolled: 1-line block ×7, first 2 shown]
	global_load_u8 v11, v[19:20], off
.LBB1538_348:                           ;   in Loop: Header=BB1538_346 Depth=2
	s_wait_alu 0xfffe
	s_and_not1_b32 vcc_lo, exec_lo, s0
	s_movk_i32 s0, 0x800
	s_wait_alu 0xfffe
	s_cbranch_vccnz .LBB1538_359
; %bb.349:                              ;   in Loop: Header=BB1538_346 Depth=2
	s_add_nc_u64 s[0:1], s[36:37], s[30:31]
	s_mov_b32 s11, exec_lo
	v_cmpx_gt_u32_e64 s9, v1
	s_cbranch_execnz .LBB1538_375
; %bb.350:                              ;   in Loop: Header=BB1538_346 Depth=2
	s_wait_alu 0xfffe
	s_or_b32 exec_lo, exec_lo, s11
	s_delay_alu instid0(SALU_CYCLE_1)
	s_mov_b32 s11, exec_lo
	v_cmpx_gt_u32_e64 s9, v29
	s_cbranch_execnz .LBB1538_376
.LBB1538_351:                           ;   in Loop: Header=BB1538_346 Depth=2
	s_wait_alu 0xfffe
	s_or_b32 exec_lo, exec_lo, s11
	s_delay_alu instid0(SALU_CYCLE_1)
	s_mov_b32 s11, exec_lo
	v_cmpx_gt_u32_e64 s9, v30
	s_cbranch_execnz .LBB1538_377
.LBB1538_352:                           ;   in Loop: Header=BB1538_346 Depth=2
	s_wait_alu 0xfffe
	s_or_b32 exec_lo, exec_lo, s11
	s_delay_alu instid0(SALU_CYCLE_1)
	s_mov_b32 s11, exec_lo
	v_cmpx_gt_u32_e64 s9, v31
	s_cbranch_execnz .LBB1538_378
.LBB1538_353:                           ;   in Loop: Header=BB1538_346 Depth=2
	s_wait_alu 0xfffe
	s_or_b32 exec_lo, exec_lo, s11
	s_delay_alu instid0(SALU_CYCLE_1)
	s_mov_b32 s11, exec_lo
	v_cmpx_gt_u32_e64 s9, v34
	s_cbranch_execnz .LBB1538_379
.LBB1538_354:                           ;   in Loop: Header=BB1538_346 Depth=2
	s_wait_alu 0xfffe
	s_or_b32 exec_lo, exec_lo, s11
	s_delay_alu instid0(SALU_CYCLE_1)
	s_mov_b32 s11, exec_lo
	v_cmpx_gt_u32_e64 s9, v35
	s_cbranch_execnz .LBB1538_380
.LBB1538_355:                           ;   in Loop: Header=BB1538_346 Depth=2
	s_wait_alu 0xfffe
	s_or_b32 exec_lo, exec_lo, s11
	s_delay_alu instid0(SALU_CYCLE_1)
	s_mov_b32 s11, exec_lo
	v_cmpx_gt_u32_e64 s9, v36
	s_cbranch_execnz .LBB1538_381
.LBB1538_356:                           ;   in Loop: Header=BB1538_346 Depth=2
	s_wait_alu 0xfffe
	s_or_b32 exec_lo, exec_lo, s11
	s_delay_alu instid0(SALU_CYCLE_1)
	s_mov_b32 s11, exec_lo
	v_cmpx_gt_u32_e64 s9, v37
	s_cbranch_execz .LBB1538_358
.LBB1538_357:                           ;   in Loop: Header=BB1538_346 Depth=2
	s_wait_loadcnt 0x0
	v_add_co_u32 v11, s0, s0, v1
	s_wait_alu 0xf1ff
	v_add_co_ci_u32_e64 v12, null, s1, 0, s0
	global_load_u8 v2, v[11:12], off offset:1792
.LBB1538_358:                           ;   in Loop: Header=BB1538_346 Depth=2
	s_wait_alu 0xfffe
	s_or_b32 exec_lo, exec_lo, s11
	s_wait_loadcnt 0x0
	v_dual_mov_b32 v11, v7 :: v_dual_mov_b32 v12, v10
	v_dual_mov_b32 v13, v9 :: v_dual_mov_b32 v14, v8
	;; [unrolled: 1-line block ×4, first 2 shown]
	s_mov_b32 s0, s9
.LBB1538_359:                           ;   in Loop: Header=BB1538_346 Depth=2
	s_wait_loadcnt 0x5
	s_delay_alu instid0(VALU_DEP_1)
	v_dual_mov_b32 v2, v18 :: v_dual_mov_b32 v5, v16
	s_wait_loadcnt 0x2
	v_dual_mov_b32 v4, v17 :: v_dual_mov_b32 v9, v13
	s_wait_loadcnt 0x0
	v_dual_mov_b32 v6, v15 :: v_dual_mov_b32 v7, v11
	v_mov_b32_e32 v8, v14
	v_mov_b32_e32 v10, v12
	s_mov_b32 s1, exec_lo
	s_wait_alu 0xfffe
	v_cmpx_gt_u32_e64 s0, v1
	s_cbranch_execnz .LBB1538_367
; %bb.360:                              ;   in Loop: Header=BB1538_346 Depth=2
	s_or_b32 exec_lo, exec_lo, s1
	s_delay_alu instid0(SALU_CYCLE_1)
	s_mov_b32 s1, exec_lo
	v_cmpx_gt_u32_e64 s0, v29
	s_cbranch_execnz .LBB1538_368
.LBB1538_361:                           ;   in Loop: Header=BB1538_346 Depth=2
	s_wait_alu 0xfffe
	s_or_b32 exec_lo, exec_lo, s1
	s_delay_alu instid0(SALU_CYCLE_1)
	s_mov_b32 s1, exec_lo
	v_cmpx_gt_u32_e64 s0, v30
	s_cbranch_execnz .LBB1538_369
.LBB1538_362:                           ;   in Loop: Header=BB1538_346 Depth=2
	s_wait_alu 0xfffe
	s_or_b32 exec_lo, exec_lo, s1
	s_delay_alu instid0(SALU_CYCLE_1)
	s_mov_b32 s1, exec_lo
	v_cmpx_gt_u32_e64 s0, v31
	s_cbranch_execnz .LBB1538_370
.LBB1538_363:                           ;   in Loop: Header=BB1538_346 Depth=2
	s_wait_alu 0xfffe
	s_or_b32 exec_lo, exec_lo, s1
	s_delay_alu instid0(SALU_CYCLE_1)
	s_mov_b32 s1, exec_lo
	v_cmpx_gt_u32_e64 s0, v34
	s_cbranch_execnz .LBB1538_371
.LBB1538_364:                           ;   in Loop: Header=BB1538_346 Depth=2
	s_wait_alu 0xfffe
	s_or_b32 exec_lo, exec_lo, s1
	s_delay_alu instid0(SALU_CYCLE_1)
	s_mov_b32 s1, exec_lo
	v_cmpx_gt_u32_e64 s0, v35
	s_cbranch_execnz .LBB1538_372
.LBB1538_365:                           ;   in Loop: Header=BB1538_346 Depth=2
	s_wait_alu 0xfffe
	s_or_b32 exec_lo, exec_lo, s1
	s_delay_alu instid0(SALU_CYCLE_1)
	s_mov_b32 s1, exec_lo
	v_cmpx_gt_u32_e64 s0, v36
	s_cbranch_execnz .LBB1538_373
.LBB1538_366:                           ;   in Loop: Header=BB1538_346 Depth=2
	s_wait_alu 0xfffe
	s_or_b32 exec_lo, exec_lo, s1
	v_cmp_gt_u32_e32 vcc_lo, s0, v37
	s_and_saveexec_b32 s0, vcc_lo
	s_cbranch_execz .LBB1538_345
	s_branch .LBB1538_374
.LBB1538_367:                           ;   in Loop: Header=BB1538_346 Depth=2
	v_xor_b32_e32 v11, -1, v7
	s_delay_alu instid0(VALU_DEP_1) | instskip(NEXT) | instid1(VALU_DEP_1)
	v_and_b32_e32 v11, 1, v11
	v_and_b32_e32 v11, 0xffff, v11
	s_delay_alu instid0(VALU_DEP_1) | instskip(NEXT) | instid1(VALU_DEP_1)
	v_lshrrev_b32_e32 v11, s45, v11
	v_and_b32_e32 v11, s42, v11
	s_delay_alu instid0(VALU_DEP_1) | instskip(SKIP_2) | instid1(SALU_CYCLE_1)
	v_lshl_or_b32 v11, v11, 4, v39
	ds_add_u32 v11, v61
	s_or_b32 exec_lo, exec_lo, s1
	s_mov_b32 s1, exec_lo
	v_cmpx_gt_u32_e64 s0, v29
	s_cbranch_execz .LBB1538_361
.LBB1538_368:                           ;   in Loop: Header=BB1538_346 Depth=2
	v_xor_b32_e32 v11, -1, v10
	s_delay_alu instid0(VALU_DEP_1) | instskip(NEXT) | instid1(VALU_DEP_1)
	v_and_b32_e32 v11, 1, v11
	v_and_b32_e32 v11, 0xffff, v11
	s_delay_alu instid0(VALU_DEP_1) | instskip(NEXT) | instid1(VALU_DEP_1)
	v_lshrrev_b32_e32 v11, s45, v11
	v_and_b32_e32 v11, s42, v11
	s_delay_alu instid0(VALU_DEP_1) | instskip(SKIP_3) | instid1(SALU_CYCLE_1)
	v_lshl_or_b32 v11, v11, 4, v39
	ds_add_u32 v11, v61
	s_wait_alu 0xfffe
	s_or_b32 exec_lo, exec_lo, s1
	s_mov_b32 s1, exec_lo
	v_cmpx_gt_u32_e64 s0, v30
	s_cbranch_execz .LBB1538_362
.LBB1538_369:                           ;   in Loop: Header=BB1538_346 Depth=2
	v_xor_b32_e32 v11, -1, v9
	s_delay_alu instid0(VALU_DEP_1) | instskip(NEXT) | instid1(VALU_DEP_1)
	v_and_b32_e32 v11, 1, v11
	v_and_b32_e32 v11, 0xffff, v11
	s_delay_alu instid0(VALU_DEP_1) | instskip(NEXT) | instid1(VALU_DEP_1)
	v_lshrrev_b32_e32 v11, s45, v11
	v_and_b32_e32 v11, s42, v11
	s_delay_alu instid0(VALU_DEP_1) | instskip(SKIP_3) | instid1(SALU_CYCLE_1)
	v_lshl_or_b32 v11, v11, 4, v39
	ds_add_u32 v11, v61
	s_wait_alu 0xfffe
	s_or_b32 exec_lo, exec_lo, s1
	s_mov_b32 s1, exec_lo
	v_cmpx_gt_u32_e64 s0, v31
	s_cbranch_execz .LBB1538_363
.LBB1538_370:                           ;   in Loop: Header=BB1538_346 Depth=2
	v_xor_b32_e32 v11, -1, v8
	s_delay_alu instid0(VALU_DEP_1) | instskip(NEXT) | instid1(VALU_DEP_1)
	v_and_b32_e32 v11, 1, v11
	v_and_b32_e32 v11, 0xffff, v11
	s_delay_alu instid0(VALU_DEP_1) | instskip(NEXT) | instid1(VALU_DEP_1)
	v_lshrrev_b32_e32 v11, s45, v11
	v_and_b32_e32 v11, s42, v11
	s_delay_alu instid0(VALU_DEP_1) | instskip(SKIP_3) | instid1(SALU_CYCLE_1)
	v_lshl_or_b32 v11, v11, 4, v39
	ds_add_u32 v11, v61
	s_wait_alu 0xfffe
	s_or_b32 exec_lo, exec_lo, s1
	s_mov_b32 s1, exec_lo
	v_cmpx_gt_u32_e64 s0, v34
	s_cbranch_execz .LBB1538_364
.LBB1538_371:                           ;   in Loop: Header=BB1538_346 Depth=2
	v_xor_b32_e32 v11, -1, v6
	s_delay_alu instid0(VALU_DEP_1) | instskip(NEXT) | instid1(VALU_DEP_1)
	v_and_b32_e32 v11, 1, v11
	v_and_b32_e32 v11, 0xffff, v11
	s_delay_alu instid0(VALU_DEP_1) | instskip(NEXT) | instid1(VALU_DEP_1)
	v_lshrrev_b32_e32 v11, s45, v11
	v_and_b32_e32 v11, s42, v11
	s_delay_alu instid0(VALU_DEP_1) | instskip(SKIP_3) | instid1(SALU_CYCLE_1)
	v_lshl_or_b32 v11, v11, 4, v39
	ds_add_u32 v11, v61
	s_wait_alu 0xfffe
	s_or_b32 exec_lo, exec_lo, s1
	s_mov_b32 s1, exec_lo
	v_cmpx_gt_u32_e64 s0, v35
	s_cbranch_execz .LBB1538_365
.LBB1538_372:                           ;   in Loop: Header=BB1538_346 Depth=2
	v_xor_b32_e32 v11, -1, v5
	s_delay_alu instid0(VALU_DEP_1) | instskip(NEXT) | instid1(VALU_DEP_1)
	v_and_b32_e32 v11, 1, v11
	v_and_b32_e32 v11, 0xffff, v11
	s_delay_alu instid0(VALU_DEP_1) | instskip(NEXT) | instid1(VALU_DEP_1)
	v_lshrrev_b32_e32 v11, s45, v11
	v_and_b32_e32 v11, s42, v11
	s_delay_alu instid0(VALU_DEP_1) | instskip(SKIP_3) | instid1(SALU_CYCLE_1)
	v_lshl_or_b32 v11, v11, 4, v39
	ds_add_u32 v11, v61
	s_wait_alu 0xfffe
	s_or_b32 exec_lo, exec_lo, s1
	s_mov_b32 s1, exec_lo
	v_cmpx_gt_u32_e64 s0, v36
	s_cbranch_execz .LBB1538_366
.LBB1538_373:                           ;   in Loop: Header=BB1538_346 Depth=2
	v_xor_b32_e32 v11, -1, v4
	s_delay_alu instid0(VALU_DEP_1) | instskip(NEXT) | instid1(VALU_DEP_1)
	v_and_b32_e32 v11, 1, v11
	v_and_b32_e32 v11, 0xffff, v11
	s_delay_alu instid0(VALU_DEP_1) | instskip(NEXT) | instid1(VALU_DEP_1)
	v_lshrrev_b32_e32 v11, s45, v11
	v_and_b32_e32 v11, s42, v11
	s_delay_alu instid0(VALU_DEP_1)
	v_lshl_or_b32 v11, v11, 4, v39
	ds_add_u32 v11, v61
	s_wait_alu 0xfffe
	s_or_b32 exec_lo, exec_lo, s1
	v_cmp_gt_u32_e32 vcc_lo, s0, v37
	s_and_saveexec_b32 s0, vcc_lo
	s_cbranch_execz .LBB1538_345
.LBB1538_374:                           ;   in Loop: Header=BB1538_346 Depth=2
	v_xor_b32_e32 v11, -1, v2
	s_delay_alu instid0(VALU_DEP_1) | instskip(NEXT) | instid1(VALU_DEP_1)
	v_and_b32_e32 v11, 1, v11
	v_and_b32_e32 v11, 0xffff, v11
	s_delay_alu instid0(VALU_DEP_1) | instskip(NEXT) | instid1(VALU_DEP_1)
	v_lshrrev_b32_e32 v11, s45, v11
	v_and_b32_e32 v11, s42, v11
	s_delay_alu instid0(VALU_DEP_1)
	v_lshl_or_b32 v11, v11, 4, v39
	ds_add_u32 v11, v61
	s_branch .LBB1538_345
.LBB1538_375:                           ;   in Loop: Header=BB1538_346 Depth=2
	s_wait_loadcnt 0x0
	s_wait_alu 0xfffe
	v_add_co_u32 v11, s12, s0, v1
	s_wait_alu 0xf1ff
	v_add_co_ci_u32_e64 v12, null, s1, 0, s12
	global_load_u8 v7, v[11:12], off
	s_or_b32 exec_lo, exec_lo, s11
	s_delay_alu instid0(SALU_CYCLE_1)
	s_mov_b32 s11, exec_lo
	v_cmpx_gt_u32_e64 s9, v29
	s_cbranch_execz .LBB1538_351
.LBB1538_376:                           ;   in Loop: Header=BB1538_346 Depth=2
	v_add_co_u32 v10, s12, s0, v1
	s_wait_loadcnt 0x0
	s_wait_alu 0xf1ff
	v_add_co_ci_u32_e64 v11, null, s1, 0, s12
	global_load_u8 v10, v[10:11], off offset:256
	s_wait_alu 0xfffe
	s_or_b32 exec_lo, exec_lo, s11
	s_delay_alu instid0(SALU_CYCLE_1)
	s_mov_b32 s11, exec_lo
	v_cmpx_gt_u32_e64 s9, v30
	s_cbranch_execz .LBB1538_352
.LBB1538_377:                           ;   in Loop: Header=BB1538_346 Depth=2
	s_wait_loadcnt 0x0
	v_add_co_u32 v11, s12, s0, v1
	s_wait_alu 0xf1ff
	v_add_co_ci_u32_e64 v12, null, s1, 0, s12
	global_load_u8 v9, v[11:12], off offset:512
	s_wait_alu 0xfffe
	s_or_b32 exec_lo, exec_lo, s11
	s_delay_alu instid0(SALU_CYCLE_1)
	s_mov_b32 s11, exec_lo
	v_cmpx_gt_u32_e64 s9, v31
	s_cbranch_execz .LBB1538_353
.LBB1538_378:                           ;   in Loop: Header=BB1538_346 Depth=2
	s_wait_loadcnt 0x0
	v_add_co_u32 v11, s12, s0, v1
	s_wait_alu 0xf1ff
	v_add_co_ci_u32_e64 v12, null, s1, 0, s12
	global_load_u8 v8, v[11:12], off offset:768
	s_wait_alu 0xfffe
	s_or_b32 exec_lo, exec_lo, s11
	s_delay_alu instid0(SALU_CYCLE_1)
	s_mov_b32 s11, exec_lo
	v_cmpx_gt_u32_e64 s9, v34
	s_cbranch_execz .LBB1538_354
.LBB1538_379:                           ;   in Loop: Header=BB1538_346 Depth=2
	s_wait_loadcnt 0x0
	v_add_co_u32 v11, s12, s0, v1
	s_wait_alu 0xf1ff
	v_add_co_ci_u32_e64 v12, null, s1, 0, s12
	global_load_u8 v6, v[11:12], off offset:1024
	s_wait_alu 0xfffe
	s_or_b32 exec_lo, exec_lo, s11
	s_delay_alu instid0(SALU_CYCLE_1)
	s_mov_b32 s11, exec_lo
	v_cmpx_gt_u32_e64 s9, v35
	s_cbranch_execz .LBB1538_355
.LBB1538_380:                           ;   in Loop: Header=BB1538_346 Depth=2
	s_wait_loadcnt 0x0
	v_add_co_u32 v11, s12, s0, v1
	s_wait_alu 0xf1ff
	v_add_co_ci_u32_e64 v12, null, s1, 0, s12
	global_load_u8 v5, v[11:12], off offset:1280
	s_wait_alu 0xfffe
	s_or_b32 exec_lo, exec_lo, s11
	s_delay_alu instid0(SALU_CYCLE_1)
	s_mov_b32 s11, exec_lo
	v_cmpx_gt_u32_e64 s9, v36
	s_cbranch_execz .LBB1538_356
.LBB1538_381:                           ;   in Loop: Header=BB1538_346 Depth=2
	s_wait_loadcnt 0x0
	v_add_co_u32 v11, s12, s0, v1
	s_wait_alu 0xf1ff
	v_add_co_ci_u32_e64 v12, null, s1, 0, s12
	global_load_u8 v4, v[11:12], off offset:1536
	s_wait_alu 0xfffe
	s_or_b32 exec_lo, exec_lo, s11
	s_delay_alu instid0(SALU_CYCLE_1)
	s_mov_b32 s11, exec_lo
	v_cmpx_gt_u32_e64 s9, v37
	s_cbranch_execnz .LBB1538_357
	s_branch .LBB1538_358
.LBB1538_382:                           ;   in Loop: Header=BB1538_12 Depth=1
	v_mov_b32_e32 v2, 0
	s_wait_dscnt 0x0
	s_barrier_signal -1
	s_barrier_wait -1
	global_inv scope:SCOPE_SE
	s_and_saveexec_b32 s0, s2
	s_cbranch_execz .LBB1538_384
; %bb.383:                              ;   in Loop: Header=BB1538_12 Depth=1
	ds_load_2addr_b64 v[4:7], v40 offset1:1
	s_wait_dscnt 0x0
	v_add_nc_u32_e32 v2, v5, v4
	s_delay_alu instid0(VALU_DEP_1)
	v_add3_u32 v2, v2, v6, v7
.LBB1538_384:                           ;   in Loop: Header=BB1538_12 Depth=1
	s_wait_alu 0xfffe
	s_or_b32 exec_lo, exec_lo, s0
	s_delay_alu instid0(VALU_DEP_1)
	v_mov_b32_dpp v4, v2 row_shr:1 row_mask:0xf bank_mask:0xf
	v_cmp_eq_u32_e64 s0, 0, v62
	v_cmp_lt_u32_e64 s1, 1, v62
	v_cmp_lt_u32_e64 s9, 3, v62
	;; [unrolled: 1-line block ×3, first 2 shown]
	v_cmp_eq_u32_e64 s11, 0, v64
	s_wait_alu 0xf1ff
	v_cndmask_b32_e64 v4, v4, 0, s0
	s_delay_alu instid0(VALU_DEP_1) | instskip(NEXT) | instid1(VALU_DEP_1)
	v_add_nc_u32_e32 v2, v4, v2
	v_mov_b32_dpp v4, v2 row_shr:2 row_mask:0xf bank_mask:0xf
	s_delay_alu instid0(VALU_DEP_1) | instskip(NEXT) | instid1(VALU_DEP_1)
	v_cndmask_b32_e64 v4, 0, v4, s1
	v_add_nc_u32_e32 v2, v2, v4
	s_delay_alu instid0(VALU_DEP_1) | instskip(NEXT) | instid1(VALU_DEP_1)
	v_mov_b32_dpp v4, v2 row_shr:4 row_mask:0xf bank_mask:0xf
	v_cndmask_b32_e64 v4, 0, v4, s9
	s_delay_alu instid0(VALU_DEP_1) | instskip(NEXT) | instid1(VALU_DEP_1)
	v_add_nc_u32_e32 v2, v2, v4
	v_mov_b32_dpp v4, v2 row_shr:8 row_mask:0xf bank_mask:0xf
	s_delay_alu instid0(VALU_DEP_1) | instskip(NEXT) | instid1(VALU_DEP_1)
	v_cndmask_b32_e64 v4, 0, v4, s10
	v_add_nc_u32_e32 v2, v2, v4
	ds_swizzle_b32 v4, v2 offset:swizzle(BROADCAST,32,15)
	s_wait_dscnt 0x0
	v_and_b32_e32 v4, v63, v4
	s_delay_alu instid0(VALU_DEP_1)
	v_add_nc_u32_e32 v2, v2, v4
	s_and_saveexec_b32 s12, s3
; %bb.385:                              ;   in Loop: Header=BB1538_12 Depth=1
	ds_store_b32 v41, v2
; %bb.386:                              ;   in Loop: Header=BB1538_12 Depth=1
	s_wait_alu 0xfffe
	s_or_b32 exec_lo, exec_lo, s12
	s_wait_loadcnt_dscnt 0x0
	s_barrier_signal -1
	s_barrier_wait -1
	global_inv scope:SCOPE_SE
	s_and_saveexec_b32 s12, s4
	s_cbranch_execz .LBB1538_388
; %bb.387:                              ;   in Loop: Header=BB1538_12 Depth=1
	ds_load_b32 v4, v42
	v_cmp_ne_u32_e32 vcc_lo, 0, v65
	s_wait_dscnt 0x0
	v_mov_b32_dpp v5, v4 row_shr:1 row_mask:0xf bank_mask:0xf
	s_wait_alu 0xfffd
	s_delay_alu instid0(VALU_DEP_1) | instskip(SKIP_1) | instid1(VALU_DEP_2)
	v_cndmask_b32_e32 v5, 0, v5, vcc_lo
	v_cmp_lt_u32_e32 vcc_lo, 1, v65
	v_add_nc_u32_e32 v4, v5, v4
	s_delay_alu instid0(VALU_DEP_1) | instskip(SKIP_1) | instid1(VALU_DEP_1)
	v_mov_b32_dpp v5, v4 row_shr:2 row_mask:0xf bank_mask:0xf
	s_wait_alu 0xfffd
	v_cndmask_b32_e32 v5, 0, v5, vcc_lo
	v_cmp_lt_u32_e32 vcc_lo, 3, v65
	s_delay_alu instid0(VALU_DEP_2) | instskip(NEXT) | instid1(VALU_DEP_1)
	v_add_nc_u32_e32 v4, v4, v5
	v_mov_b32_dpp v5, v4 row_shr:4 row_mask:0xf bank_mask:0xf
	s_wait_alu 0xfffd
	s_delay_alu instid0(VALU_DEP_1) | instskip(NEXT) | instid1(VALU_DEP_1)
	v_cndmask_b32_e32 v5, 0, v5, vcc_lo
	v_add_nc_u32_e32 v4, v4, v5
	ds_store_b32 v42, v4
.LBB1538_388:                           ;   in Loop: Header=BB1538_12 Depth=1
	s_wait_alu 0xfffe
	s_or_b32 exec_lo, exec_lo, s12
	v_mov_b32_e32 v4, 0
	s_wait_loadcnt_dscnt 0x0
	s_barrier_signal -1
	s_barrier_wait -1
	global_inv scope:SCOPE_SE
	s_and_saveexec_b32 s12, s5
; %bb.389:                              ;   in Loop: Header=BB1538_12 Depth=1
	ds_load_b32 v4, v43
; %bb.390:                              ;   in Loop: Header=BB1538_12 Depth=1
	s_wait_alu 0xfffe
	s_or_b32 exec_lo, exec_lo, s12
	v_cmp_gt_i32_e32 vcc_lo, 0, v67
	s_wait_dscnt 0x0
	v_add_nc_u32_e32 v2, v4, v2
	s_wait_loadcnt 0x0
	s_barrier_signal -1
	s_barrier_wait -1
	s_wait_alu 0xfffd
	v_cndmask_b32_e32 v5, v67, v58, vcc_lo
	global_inv scope:SCOPE_SE
	v_lshlrev_b32_e32 v80, 2, v5
	ds_bpermute_b32 v2, v80, v2
	s_and_saveexec_b32 s12, s2
	s_cbranch_execz .LBB1538_392
; %bb.391:                              ;   in Loop: Header=BB1538_12 Depth=1
	s_wait_dscnt 0x0
	v_cndmask_b32_e64 v2, v2, v4, s8
	s_delay_alu instid0(VALU_DEP_1)
	v_add_nc_u32_e32 v2, s33, v2
	ds_store_b32 v28, v2
.LBB1538_392:                           ;   in Loop: Header=BB1538_12 Depth=1
	s_wait_alu 0xfffe
	s_or_b32 exec_lo, exec_lo, s12
	s_load_b64 s[12:13], s[28:29], 0x0
	v_add_co_u32 v81, vcc_lo, v56, v66
	s_wait_alu 0xfffd
	v_add_co_ci_u32_e64 v82, null, 0, v57, vcc_lo
	v_add_co_u32 v83, vcc_lo, v59, v58
	s_wait_alu 0xfffd
	v_add_co_ci_u32_e64 v84, null, 0, v60, vcc_lo
	s_mov_b32 s43, s47
                                        ; implicit-def: $vgpr6_vgpr7
                                        ; implicit-def: $vgpr8_vgpr9
                                        ; implicit-def: $vgpr10_vgpr11
                                        ; implicit-def: $vgpr12_vgpr13
                                        ; implicit-def: $vgpr14_vgpr15
                                        ; implicit-def: $vgpr16_vgpr17
                                        ; implicit-def: $vgpr18_vgpr19
                                        ; implicit-def: $vgpr86
                                        ; implicit-def: $vgpr87
                                        ; implicit-def: $vgpr88
                                        ; implicit-def: $vgpr89
                                        ; implicit-def: $vgpr90
                                        ; implicit-def: $vgpr91
                                        ; implicit-def: $vgpr92
                                        ; implicit-def: $vgpr93
	s_wait_kmcnt 0x0
	s_cmp_lt_u32 ttmp7, s13
	s_cselect_b32 s30, 14, 20
	s_cmp_lt_u32 ttmp9, s12
	s_wait_alu 0xfffe
	s_add_nc_u64 s[14:15], s[28:29], s[30:31]
	s_cselect_b32 s30, 12, 18
	s_load_u16 s14, s[14:15], 0x0
	s_add_nc_u64 s[12:13], s[28:29], s[30:31]
	s_mov_b32 s30, s33
	s_load_u16 s12, s[12:13], 0x0
	v_cmp_lt_u32_e64 s13, 1, v65
	s_wait_dscnt 0x0
	s_wait_kmcnt 0x0
	v_mad_u32_u24 v2, v44, s14, v0
	v_cmp_lt_u32_e64 s14, 3, v65
	s_delay_alu instid0(VALU_DEP_2) | instskip(SKIP_1) | instid1(VALU_DEP_2)
	v_mad_co_u64_u32 v[4:5], null, v2, s12, v[1:2]
	v_cmp_eq_u32_e64 s12, 0, v65
	v_lshrrev_b32_e32 v2, 3, v4
                                        ; implicit-def: $vgpr4_vgpr5
	s_delay_alu instid0(VALU_DEP_1)
	v_and_b32_e32 v85, 0x1ffffffc, v2
	s_branch .LBB1538_394
.LBB1538_393:                           ;   in Loop: Header=BB1538_394 Depth=2
	s_wait_alu 0xfffe
	s_or_b32 exec_lo, exec_lo, s15
	s_addk_co_i32 s43, 0xf800
	s_cmp_lt_u32 s44, s34
	s_mov_b32 s30, s44
	s_cbranch_scc0 .LBB1538_506
.LBB1538_394:                           ;   Parent Loop BB1538_12 Depth=1
                                        ; =>  This Inner Loop Header: Depth=2
	s_wait_alu 0xfffe
	s_add_co_i32 s44, s30, 0x800
	s_wait_alu 0xfffe
	s_cmp_gt_u32 s44, s34
	s_cbranch_scc1 .LBB1538_396
; %bb.395:                              ;   in Loop: Header=BB1538_394 Depth=2
	v_add_co_u32 v20, vcc_lo, v83, s30
	s_wait_alu 0xfffd
	v_add_co_ci_u32_e64 v21, null, 0, v84, vcc_lo
	s_mov_b32 s15, -1
	s_clause 0x6
	global_load_u8 v25, v[20:21], off offset:192
	global_load_u8 v24, v[20:21], off offset:160
	;; [unrolled: 1-line block ×6, first 2 shown]
	global_load_u8 v27, v[20:21], off
	s_movk_i32 s16, 0x800
                                        ; implicit-def: $vgpr96
	s_cbranch_execz .LBB1538_397
	s_branch .LBB1538_407
.LBB1538_396:                           ;   in Loop: Header=BB1538_394 Depth=2
	s_mov_b32 s15, 0
                                        ; implicit-def: $vgpr27
                                        ; implicit-def: $vgpr95
                                        ; implicit-def: $vgpr22
                                        ; implicit-def: $vgpr26
                                        ; implicit-def: $vgpr23
                                        ; implicit-def: $vgpr24
                                        ; implicit-def: $vgpr25
	s_movk_i32 s16, 0x800
                                        ; implicit-def: $vgpr96
.LBB1538_397:                           ;   in Loop: Header=BB1538_394 Depth=2
	v_add_co_u32 v20, vcc_lo, v83, s30
	s_wait_alu 0xfffd
	v_add_co_ci_u32_e64 v21, null, 0, v84, vcc_lo
	s_wait_loadcnt 0x0
	v_dual_mov_b32 v22, 0 :: v_dual_mov_b32 v27, 0
	v_dual_mov_b32 v26, 0 :: v_dual_mov_b32 v23, 0
	;; [unrolled: 1-line block ×3, first 2 shown]
	v_mov_b32_e32 v96, 0
	s_mov_b32 s15, exec_lo
	v_cmpx_gt_u32_e64 s43, v68
	s_cbranch_execz .LBB1538_399
; %bb.398:                              ;   in Loop: Header=BB1538_394 Depth=2
	global_load_u8 v27, v[20:21], off
	v_dual_mov_b32 v26, 0 :: v_dual_mov_b32 v23, 0
	v_dual_mov_b32 v24, 0 :: v_dual_mov_b32 v25, 0
	v_mov_b32_e32 v96, 0
.LBB1538_399:                           ;   in Loop: Header=BB1538_394 Depth=2
	s_wait_alu 0xfffe
	s_or_b32 exec_lo, exec_lo, s15
	v_mov_b32_e32 v95, v22
	s_mov_b32 s15, exec_lo
	v_cmpx_gt_u32_e64 s43, v71
	s_cbranch_execnz .LBB1538_501
; %bb.400:                              ;   in Loop: Header=BB1538_394 Depth=2
	s_wait_alu 0xfffe
	s_or_b32 exec_lo, exec_lo, s15
	s_delay_alu instid0(SALU_CYCLE_1)
	s_mov_b32 s15, exec_lo
	v_cmpx_gt_u32_e64 s43, v72
	s_cbranch_execnz .LBB1538_502
.LBB1538_401:                           ;   in Loop: Header=BB1538_394 Depth=2
	s_wait_alu 0xfffe
	s_or_b32 exec_lo, exec_lo, s15
	s_delay_alu instid0(SALU_CYCLE_1)
	s_mov_b32 s15, exec_lo
	v_cmpx_gt_u32_e64 s43, v73
	s_cbranch_execnz .LBB1538_503
.LBB1538_402:                           ;   in Loop: Header=BB1538_394 Depth=2
	s_wait_alu 0xfffe
	s_or_b32 exec_lo, exec_lo, s15
	s_delay_alu instid0(SALU_CYCLE_1)
	s_mov_b32 s15, exec_lo
	v_cmpx_gt_u32_e64 s43, v74
	s_cbranch_execnz .LBB1538_504
.LBB1538_403:                           ;   in Loop: Header=BB1538_394 Depth=2
	s_wait_alu 0xfffe
	s_or_b32 exec_lo, exec_lo, s15
	s_delay_alu instid0(SALU_CYCLE_1)
	s_mov_b32 s15, exec_lo
	v_cmpx_gt_u32_e64 s43, v75
	s_cbranch_execnz .LBB1538_505
.LBB1538_404:                           ;   in Loop: Header=BB1538_394 Depth=2
	s_wait_alu 0xfffe
	s_or_b32 exec_lo, exec_lo, s15
	s_delay_alu instid0(SALU_CYCLE_1)
	s_mov_b32 s15, exec_lo
	v_cmpx_gt_u32_e64 s43, v76
	s_cbranch_execz .LBB1538_406
.LBB1538_405:                           ;   in Loop: Header=BB1538_394 Depth=2
	global_load_u8 v25, v[20:21], off offset:192
.LBB1538_406:                           ;   in Loop: Header=BB1538_394 Depth=2
	s_wait_alu 0xfffe
	s_or_b32 exec_lo, exec_lo, s15
	v_cmp_gt_u32_e64 s15, s43, v77
	s_sub_co_i32 s16, s34, s30
.LBB1538_407:                           ;   in Loop: Header=BB1538_394 Depth=2
	v_mov_b32_e32 v2, s43
	s_wait_alu 0xfffe
	s_and_saveexec_b32 s17, s15
	s_cbranch_execz .LBB1538_409
; %bb.408:                              ;   in Loop: Header=BB1538_394 Depth=2
	v_add_co_u32 v20, vcc_lo, v83, s30
	s_wait_alu 0xfffd
	v_add_co_ci_u32_e64 v21, null, s31, v84, vcc_lo
	v_mov_b32_e32 v2, s16
	global_load_u8 v96, v[20:21], off offset:224
.LBB1538_409:                           ;   in Loop: Header=BB1538_394 Depth=2
	s_wait_alu 0xfffe
	s_or_b32 exec_lo, exec_lo, s17
	s_wait_loadcnt 0x0
	v_and_b32_e32 v20, 1, v27
	v_and_b32_e32 v22, 1, v22
	;; [unrolled: 1-line block ×5, first 2 shown]
	v_cmp_eq_u32_e32 vcc_lo, 1, v20
	v_and_b32_e32 v25, 1, v25
	v_and_b32_e32 v96, 1, v96
	v_add_nc_u32_e32 v97, 0x420, v45
	v_add_nc_u32_e32 v98, 0x428, v45
	s_xor_b32 s15, vcc_lo, -1
	v_add_nc_u32_e32 v99, 0x430, v45
	s_wait_alu 0xfffe
	v_cndmask_b32_e64 v94, 0, 1, s15
	v_add_nc_u32_e32 v100, 0x438, v45
	v_cmp_eq_u32_e64 s19, 1, v22
	v_cmp_eq_u32_e64 s18, 1, v26
	;; [unrolled: 1-line block ×3, first 2 shown]
	v_lshrrev_b32_e32 v20, s45, v94
	v_cmp_eq_u32_e64 s16, 1, v24
	ds_store_2addr_b32 v100, v3, v3 offset1:1
	ds_store_2addr_b32 v97, v3, v3 offset1:1
	;; [unrolled: 1-line block ×4, first 2 shown]
	ds_store_b32 v45, v3 offset:1088
	s_wait_dscnt 0x0
	v_and_b32_e32 v21, s42, v20
	v_and_b32_e32 v20, 1, v95
	s_barrier_signal -1
	s_barrier_wait -1
	global_inv scope:SCOPE_SE
	v_add_co_u32 v27, s15, v21, -1
	s_wait_alu 0xf1ff
	v_cndmask_b32_e64 v95, 0, 1, s15
	v_cmp_eq_u32_e64 s20, 1, v20
	v_mul_u32_u24_e32 v21, 36, v21
	v_cmp_eq_u32_e64 s15, 1, v25
	s_delay_alu instid0(VALU_DEP_4) | instskip(NEXT) | instid1(VALU_DEP_3)
	v_cmp_ne_u32_e32 vcc_lo, 0, v95
	; wave barrier
	v_add_nc_u32_e32 v102, v85, v21
	s_wait_alu 0xfffd
	v_xor_b32_e32 v27, vcc_lo, v27
	v_cmp_eq_u32_e32 vcc_lo, 1, v96
	s_delay_alu instid0(VALU_DEP_2) | instskip(NEXT) | instid1(VALU_DEP_1)
	v_and_b32_e32 v20, exec_lo, v27
	v_mbcnt_lo_u32_b32 v95, v20, 0
	v_cmp_ne_u32_e64 s22, 0, v20
	s_delay_alu instid0(VALU_DEP_2)
	v_cmp_eq_u32_e64 s21, 0, v95
	s_and_b32 s22, s22, s21
	s_wait_alu 0xfffe
	s_and_saveexec_b32 s21, s22
; %bb.410:                              ;   in Loop: Header=BB1538_394 Depth=2
	v_bcnt_u32_b32 v20, v20, 0
	ds_store_b32 v102, v20 offset:1056
; %bb.411:                              ;   in Loop: Header=BB1538_394 Depth=2
	s_wait_alu 0xfffe
	s_or_b32 exec_lo, exec_lo, s21
	s_xor_b32 s20, s20, -1
	s_wait_alu 0xfffe
	v_cndmask_b32_e64 v96, 0, 1, s20
	; wave barrier
	s_delay_alu instid0(VALU_DEP_1) | instskip(NEXT) | instid1(VALU_DEP_1)
	v_lshrrev_b32_e32 v20, s45, v96
	v_and_b32_e32 v21, s42, v20
	s_delay_alu instid0(VALU_DEP_1) | instskip(SKIP_2) | instid1(VALU_DEP_1)
	v_add_co_u32 v20, s20, v21, -1
	s_wait_alu 0xf1ff
	v_cndmask_b32_e64 v22, 0, 1, s20
	v_cmp_ne_u32_e64 s20, 0, v22
	v_mad_u32_u24 v22, v21, 36, v85
	v_mul_u32_u24_e32 v21, 36, v21
	s_wait_alu 0xf1ff
	s_delay_alu instid0(VALU_DEP_3) | instskip(SKIP_3) | instid1(VALU_DEP_1)
	v_xor_b32_e32 v20, s20, v20
	ds_load_b32 v101, v22 offset:1056
	v_add_nc_u32_e32 v106, v85, v21
	; wave barrier
	v_and_b32_e32 v20, exec_lo, v20
	v_mbcnt_lo_u32_b32 v103, v20, 0
	v_cmp_ne_u32_e64 s21, 0, v20
	s_delay_alu instid0(VALU_DEP_2)
	v_cmp_eq_u32_e64 s20, 0, v103
	s_and_b32 s21, s21, s20
	s_wait_alu 0xfffe
	s_and_saveexec_b32 s20, s21
	s_cbranch_execz .LBB1538_413
; %bb.412:                              ;   in Loop: Header=BB1538_394 Depth=2
	s_wait_dscnt 0x0
	v_bcnt_u32_b32 v20, v20, v101
	ds_store_b32 v106, v20 offset:1056
.LBB1538_413:                           ;   in Loop: Header=BB1538_394 Depth=2
	s_wait_alu 0xfffe
	s_or_b32 exec_lo, exec_lo, s20
	s_xor_b32 s19, s19, -1
	s_wait_alu 0xfffe
	v_cndmask_b32_e64 v104, 0, 1, s19
	; wave barrier
	s_delay_alu instid0(VALU_DEP_1) | instskip(NEXT) | instid1(VALU_DEP_1)
	v_lshrrev_b32_e32 v20, s45, v104
	v_and_b32_e32 v21, s42, v20
	s_delay_alu instid0(VALU_DEP_1) | instskip(SKIP_2) | instid1(VALU_DEP_1)
	v_add_co_u32 v20, s19, v21, -1
	s_wait_alu 0xf1ff
	v_cndmask_b32_e64 v22, 0, 1, s19
	v_cmp_ne_u32_e64 s19, 0, v22
	v_mad_u32_u24 v22, v21, 36, v85
	v_mul_u32_u24_e32 v21, 36, v21
	s_wait_alu 0xf1ff
	s_delay_alu instid0(VALU_DEP_3) | instskip(SKIP_3) | instid1(VALU_DEP_1)
	v_xor_b32_e32 v20, s19, v20
	ds_load_b32 v105, v22 offset:1056
	v_add_nc_u32_e32 v110, v85, v21
	; wave barrier
	v_and_b32_e32 v20, exec_lo, v20
	v_mbcnt_lo_u32_b32 v107, v20, 0
	v_cmp_ne_u32_e64 s20, 0, v20
	s_delay_alu instid0(VALU_DEP_2)
	v_cmp_eq_u32_e64 s19, 0, v107
	s_and_b32 s20, s20, s19
	s_wait_alu 0xfffe
	s_and_saveexec_b32 s19, s20
	s_cbranch_execz .LBB1538_415
; %bb.414:                              ;   in Loop: Header=BB1538_394 Depth=2
	s_wait_dscnt 0x0
	v_bcnt_u32_b32 v20, v20, v105
	ds_store_b32 v110, v20 offset:1056
.LBB1538_415:                           ;   in Loop: Header=BB1538_394 Depth=2
	;; [unrolled: 36-line block ×6, first 2 shown]
	s_wait_alu 0xfffe
	s_or_b32 exec_lo, exec_lo, s15
	s_xor_b32 s15, vcc_lo, -1
	s_wait_alu 0xfffe
	v_cndmask_b32_e64 v124, 0, 1, s15
	; wave barrier
	s_delay_alu instid0(VALU_DEP_1) | instskip(NEXT) | instid1(VALU_DEP_1)
	v_lshrrev_b32_e32 v20, s45, v124
	v_and_b32_e32 v21, s42, v20
	s_delay_alu instid0(VALU_DEP_1) | instskip(SKIP_2) | instid1(VALU_DEP_1)
	v_add_co_u32 v20, s15, v21, -1
	s_wait_alu 0xf1ff
	v_cndmask_b32_e64 v22, 0, 1, s15
	v_cmp_ne_u32_e32 vcc_lo, 0, v22
	v_mad_u32_u24 v22, v21, 36, v85
	v_mul_u32_u24_e32 v21, 36, v21
	s_wait_alu 0xfffd
	v_xor_b32_e32 v20, vcc_lo, v20
	ds_load_b32 v125, v22 offset:1056
	v_add_nc_u32_e32 v128, v85, v21
	; wave barrier
	v_and_b32_e32 v20, exec_lo, v20
	s_delay_alu instid0(VALU_DEP_1) | instskip(SKIP_1) | instid1(VALU_DEP_2)
	v_mbcnt_lo_u32_b32 v127, v20, 0
	v_cmp_ne_u32_e64 s15, 0, v20
	v_cmp_eq_u32_e32 vcc_lo, 0, v127
	s_and_b32 s16, s15, vcc_lo
	s_wait_alu 0xfffe
	s_and_saveexec_b32 s15, s16
	s_cbranch_execz .LBB1538_425
; %bb.424:                              ;   in Loop: Header=BB1538_394 Depth=2
	s_wait_dscnt 0x0
	v_bcnt_u32_b32 v20, v20, v125
	ds_store_b32 v128, v20 offset:1056
.LBB1538_425:                           ;   in Loop: Header=BB1538_394 Depth=2
	s_wait_alu 0xfffe
	s_or_b32 exec_lo, exec_lo, s15
	; wave barrier
	s_wait_loadcnt_dscnt 0x0
	s_barrier_signal -1
	s_barrier_wait -1
	global_inv scope:SCOPE_SE
	ds_load_2addr_b32 v[26:27], v97 offset1:1
	ds_load_2addr_b32 v[24:25], v98 offset1:1
	;; [unrolled: 1-line block ×4, first 2 shown]
	ds_load_b32 v129, v45 offset:1088
	s_wait_dscnt 0x3
	v_add3_u32 v130, v27, v26, v24
	s_wait_dscnt 0x2
	s_delay_alu instid0(VALU_DEP_1) | instskip(SKIP_1) | instid1(VALU_DEP_1)
	v_add3_u32 v130, v130, v25, v22
	s_wait_dscnt 0x1
	v_add3_u32 v130, v130, v23, v20
	s_wait_dscnt 0x0
	s_delay_alu instid0(VALU_DEP_1) | instskip(NEXT) | instid1(VALU_DEP_1)
	v_add3_u32 v129, v130, v21, v129
	v_mov_b32_dpp v130, v129 row_shr:1 row_mask:0xf bank_mask:0xf
	s_delay_alu instid0(VALU_DEP_1) | instskip(NEXT) | instid1(VALU_DEP_1)
	v_cndmask_b32_e64 v130, v130, 0, s0
	v_add_nc_u32_e32 v129, v130, v129
	s_delay_alu instid0(VALU_DEP_1) | instskip(NEXT) | instid1(VALU_DEP_1)
	v_mov_b32_dpp v130, v129 row_shr:2 row_mask:0xf bank_mask:0xf
	v_cndmask_b32_e64 v130, 0, v130, s1
	s_delay_alu instid0(VALU_DEP_1) | instskip(NEXT) | instid1(VALU_DEP_1)
	v_add_nc_u32_e32 v129, v129, v130
	v_mov_b32_dpp v130, v129 row_shr:4 row_mask:0xf bank_mask:0xf
	s_delay_alu instid0(VALU_DEP_1) | instskip(NEXT) | instid1(VALU_DEP_1)
	v_cndmask_b32_e64 v130, 0, v130, s9
	v_add_nc_u32_e32 v129, v129, v130
	s_delay_alu instid0(VALU_DEP_1) | instskip(NEXT) | instid1(VALU_DEP_1)
	v_mov_b32_dpp v130, v129 row_shr:8 row_mask:0xf bank_mask:0xf
	v_cndmask_b32_e64 v130, 0, v130, s10
	s_delay_alu instid0(VALU_DEP_1) | instskip(SKIP_3) | instid1(VALU_DEP_1)
	v_add_nc_u32_e32 v129, v129, v130
	ds_swizzle_b32 v130, v129 offset:swizzle(BROADCAST,32,15)
	s_wait_dscnt 0x0
	v_cndmask_b32_e64 v130, v130, 0, s11
	v_add_nc_u32_e32 v129, v129, v130
	s_and_saveexec_b32 s15, s3
; %bb.426:                              ;   in Loop: Header=BB1538_394 Depth=2
	ds_store_b32 v38, v129 offset:1024
; %bb.427:                              ;   in Loop: Header=BB1538_394 Depth=2
	s_wait_alu 0xfffe
	s_or_b32 exec_lo, exec_lo, s15
	s_wait_loadcnt_dscnt 0x0
	s_barrier_signal -1
	s_barrier_wait -1
	global_inv scope:SCOPE_SE
	s_and_saveexec_b32 s15, s4
	s_cbranch_execz .LBB1538_429
; %bb.428:                              ;   in Loop: Header=BB1538_394 Depth=2
	v_add_nc_u32_e32 v130, v45, v46
	ds_load_b32 v131, v130 offset:1024
	s_wait_dscnt 0x0
	v_mov_b32_dpp v132, v131 row_shr:1 row_mask:0xf bank_mask:0xf
	s_delay_alu instid0(VALU_DEP_1) | instskip(NEXT) | instid1(VALU_DEP_1)
	v_cndmask_b32_e64 v132, v132, 0, s12
	v_add_nc_u32_e32 v131, v132, v131
	s_delay_alu instid0(VALU_DEP_1) | instskip(NEXT) | instid1(VALU_DEP_1)
	v_mov_b32_dpp v132, v131 row_shr:2 row_mask:0xf bank_mask:0xf
	v_cndmask_b32_e64 v132, 0, v132, s13
	s_delay_alu instid0(VALU_DEP_1) | instskip(NEXT) | instid1(VALU_DEP_1)
	v_add_nc_u32_e32 v131, v131, v132
	v_mov_b32_dpp v132, v131 row_shr:4 row_mask:0xf bank_mask:0xf
	s_delay_alu instid0(VALU_DEP_1) | instskip(NEXT) | instid1(VALU_DEP_1)
	v_cndmask_b32_e64 v132, 0, v132, s14
	v_add_nc_u32_e32 v131, v131, v132
	ds_store_b32 v130, v131 offset:1024
.LBB1538_429:                           ;   in Loop: Header=BB1538_394 Depth=2
	s_wait_alu 0xfffe
	s_or_b32 exec_lo, exec_lo, s15
	v_mov_b32_e32 v130, 0
	s_wait_loadcnt_dscnt 0x0
	s_barrier_signal -1
	s_barrier_wait -1
	global_inv scope:SCOPE_SE
	s_and_saveexec_b32 s15, s5
; %bb.430:                              ;   in Loop: Header=BB1538_394 Depth=2
	ds_load_b32 v130, v38 offset:1020
; %bb.431:                              ;   in Loop: Header=BB1538_394 Depth=2
	s_wait_alu 0xfffe
	s_or_b32 exec_lo, exec_lo, s15
	s_wait_dscnt 0x0
	v_add_nc_u32_e32 v129, v130, v129
	ds_bpermute_b32 v129, v80, v129
	s_wait_dscnt 0x0
	v_cndmask_b32_e64 v129, v129, v130, s8
	s_delay_alu instid0(VALU_DEP_1) | instskip(NEXT) | instid1(VALU_DEP_1)
	v_cndmask_b32_e64 v129, v129, 0, s6
	v_add_nc_u32_e32 v26, v129, v26
	s_delay_alu instid0(VALU_DEP_1) | instskip(NEXT) | instid1(VALU_DEP_1)
	v_add_nc_u32_e32 v27, v26, v27
	v_add_nc_u32_e32 v24, v27, v24
	s_delay_alu instid0(VALU_DEP_1) | instskip(NEXT) | instid1(VALU_DEP_1)
	v_add_nc_u32_e32 v25, v24, v25
	;; [unrolled: 3-line block ×3, first 2 shown]
	v_add_nc_u32_e32 v20, v23, v20
	s_delay_alu instid0(VALU_DEP_1)
	v_add_nc_u32_e32 v21, v20, v21
	ds_store_2addr_b32 v100, v23, v20 offset1:1
	ds_store_2addr_b32 v97, v129, v26 offset1:1
	;; [unrolled: 1-line block ×4, first 2 shown]
	ds_store_b32 v45, v21 offset:1088
	s_wait_loadcnt_dscnt 0x0
	s_barrier_signal -1
	s_barrier_wait -1
	global_inv scope:SCOPE_SE
	ds_load_b32 v20, v102 offset:1056
	ds_load_b32 v21, v106 offset:1056
	;; [unrolled: 1-line block ×9, first 2 shown]
	v_mov_b32_e32 v22, 0x800
	s_and_saveexec_b32 s15, s7
; %bb.432:                              ;   in Loop: Header=BB1538_394 Depth=2
	ds_load_b32 v22, v45 offset:1092
; %bb.433:                              ;   in Loop: Header=BB1538_394 Depth=2
	s_wait_alu 0xfffe
	s_or_b32 exec_lo, exec_lo, s15
	s_wait_loadcnt_dscnt 0x0
	s_barrier_signal -1
	s_barrier_wait -1
	global_inv scope:SCOPE_SE
	s_and_saveexec_b32 s15, s2
	s_cbranch_execz .LBB1538_435
; %bb.434:                              ;   in Loop: Header=BB1538_394 Depth=2
	ds_load_b32 v27, v28
	s_wait_dscnt 0x0
	v_sub_nc_u32_e32 v26, v27, v26
	ds_store_b32 v28, v26
.LBB1538_435:                           ;   in Loop: Header=BB1538_394 Depth=2
	s_wait_alu 0xfffe
	s_or_b32 exec_lo, exec_lo, s15
	v_add_nc_u32_e32 v98, v20, v95
	v_add3_u32 v97, v103, v101, v21
	v_add3_u32 v95, v107, v105, v23
	;; [unrolled: 1-line block ×7, first 2 shown]
	v_cmp_lt_u32_e64 s20, v1, v2
	ds_store_b8 v98, v94 offset:1024
	ds_store_b8 v97, v96 offset:1024
	;; [unrolled: 1-line block ×8, first 2 shown]
	s_wait_loadcnt_dscnt 0x0
	s_barrier_signal -1
	s_barrier_wait -1
	global_inv scope:SCOPE_SE
	s_and_saveexec_b32 s15, s20
	s_cbranch_execnz .LBB1538_472
; %bb.436:                              ;   in Loop: Header=BB1538_394 Depth=2
	s_wait_alu 0xfffe
	s_or_b32 exec_lo, exec_lo, s15
	v_cmp_lt_u32_e64 s21, v29, v2
	s_and_saveexec_b32 s15, s21
	s_cbranch_execnz .LBB1538_473
.LBB1538_437:                           ;   in Loop: Header=BB1538_394 Depth=2
	s_wait_alu 0xfffe
	s_or_b32 exec_lo, exec_lo, s15
	v_cmp_lt_u32_e64 s19, v30, v2
	s_and_saveexec_b32 s15, s19
	s_cbranch_execnz .LBB1538_474
.LBB1538_438:                           ;   in Loop: Header=BB1538_394 Depth=2
	s_wait_alu 0xfffe
	s_or_b32 exec_lo, exec_lo, s15
	v_cmp_lt_u32_e64 s18, v31, v2
	s_and_saveexec_b32 s15, s18
	s_cbranch_execnz .LBB1538_475
.LBB1538_439:                           ;   in Loop: Header=BB1538_394 Depth=2
	s_wait_alu 0xfffe
	s_or_b32 exec_lo, exec_lo, s15
	v_cmp_lt_u32_e64 s17, v34, v2
	s_and_saveexec_b32 s15, s17
	s_cbranch_execnz .LBB1538_476
.LBB1538_440:                           ;   in Loop: Header=BB1538_394 Depth=2
	s_wait_alu 0xfffe
	s_or_b32 exec_lo, exec_lo, s15
	v_cmp_lt_u32_e64 s16, v35, v2
	s_and_saveexec_b32 s15, s16
	s_cbranch_execnz .LBB1538_477
.LBB1538_441:                           ;   in Loop: Header=BB1538_394 Depth=2
	s_wait_alu 0xfffe
	s_or_b32 exec_lo, exec_lo, s15
	v_cmp_lt_u32_e64 s15, v36, v2
	s_and_saveexec_b32 s22, s15
	s_cbranch_execnz .LBB1538_478
.LBB1538_442:                           ;   in Loop: Header=BB1538_394 Depth=2
	s_wait_alu 0xfffe
	s_or_b32 exec_lo, exec_lo, s22
	v_cmp_lt_u32_e32 vcc_lo, v37, v2
	s_and_saveexec_b32 s22, vcc_lo
	s_cbranch_execz .LBB1538_444
.LBB1538_443:                           ;   in Loop: Header=BB1538_394 Depth=2
	ds_load_u8 v20, v1 offset:2816
	s_wait_dscnt 0x0
	v_and_b32_e32 v21, 1, v20
	v_xor_b32_e32 v20, 1, v20
	s_delay_alu instid0(VALU_DEP_2) | instskip(NEXT) | instid1(VALU_DEP_1)
	v_lshrrev_b32_e32 v21, s45, v21
	v_and_b32_e32 v21, s42, v21
	s_delay_alu instid0(VALU_DEP_1)
	v_lshlrev_b32_e32 v21, 2, v21
	ds_load_b32 v21, v21
	s_wait_dscnt 0x0
	v_add_nc_u32_e32 v21, v21, v37
	global_store_b8 v21, v20, s[38:39]
.LBB1538_444:                           ;   in Loop: Header=BB1538_394 Depth=2
	s_wait_alu 0xfffe
	s_or_b32 exec_lo, exec_lo, s22
	s_lshl_b64 s[48:49], s[30:31], 3
	s_wait_alu 0xfffe
	v_add_co_u32 v20, s22, v81, s48
	s_wait_alu 0xf1ff
	v_add_co_ci_u32_e64 v21, null, s49, v82, s22
	v_cmp_lt_u32_e64 s22, v68, v2
	s_and_saveexec_b32 s30, s22
	s_wait_alu 0xfffe
	s_xor_b32 s22, exec_lo, s30
	s_cbranch_execnz .LBB1538_479
; %bb.445:                              ;   in Loop: Header=BB1538_394 Depth=2
	s_wait_alu 0xfffe
	s_or_b32 exec_lo, exec_lo, s22
	s_delay_alu instid0(SALU_CYCLE_1)
	s_mov_b32 s30, exec_lo
	v_cmpx_lt_u32_e64 v71, v2
	s_cbranch_execnz .LBB1538_480
.LBB1538_446:                           ;   in Loop: Header=BB1538_394 Depth=2
	s_wait_alu 0xfffe
	s_or_b32 exec_lo, exec_lo, s30
	s_delay_alu instid0(SALU_CYCLE_1)
	s_mov_b32 s30, exec_lo
	v_cmpx_lt_u32_e64 v72, v2
	s_cbranch_execnz .LBB1538_481
.LBB1538_447:                           ;   in Loop: Header=BB1538_394 Depth=2
	s_wait_alu 0xfffe
	s_or_b32 exec_lo, exec_lo, s30
	s_delay_alu instid0(SALU_CYCLE_1)
	s_mov_b32 s30, exec_lo
	v_cmpx_lt_u32_e64 v73, v2
	s_cbranch_execnz .LBB1538_482
.LBB1538_448:                           ;   in Loop: Header=BB1538_394 Depth=2
	s_wait_alu 0xfffe
	s_or_b32 exec_lo, exec_lo, s30
	s_delay_alu instid0(SALU_CYCLE_1)
	s_mov_b32 s30, exec_lo
	v_cmpx_lt_u32_e64 v74, v2
	s_cbranch_execnz .LBB1538_483
.LBB1538_449:                           ;   in Loop: Header=BB1538_394 Depth=2
	s_wait_alu 0xfffe
	s_or_b32 exec_lo, exec_lo, s30
	s_delay_alu instid0(SALU_CYCLE_1)
	s_mov_b32 s30, exec_lo
	v_cmpx_lt_u32_e64 v75, v2
	s_cbranch_execnz .LBB1538_484
.LBB1538_450:                           ;   in Loop: Header=BB1538_394 Depth=2
	s_wait_alu 0xfffe
	s_or_b32 exec_lo, exec_lo, s30
	s_delay_alu instid0(SALU_CYCLE_1)
	s_mov_b32 s30, exec_lo
	v_cmpx_lt_u32_e64 v76, v2
	s_cbranch_execnz .LBB1538_485
.LBB1538_451:                           ;   in Loop: Header=BB1538_394 Depth=2
	s_wait_alu 0xfffe
	s_or_b32 exec_lo, exec_lo, s30
	s_delay_alu instid0(SALU_CYCLE_1)
	s_mov_b32 s30, exec_lo
	v_cmpx_lt_u32_e64 v77, v2
	s_cbranch_execnz .LBB1538_486
.LBB1538_452:                           ;   in Loop: Header=BB1538_394 Depth=2
	s_wait_alu 0xfffe
	s_or_b32 exec_lo, exec_lo, s30
	s_and_saveexec_b32 s22, s20
	s_cbranch_execnz .LBB1538_487
.LBB1538_453:                           ;   in Loop: Header=BB1538_394 Depth=2
	s_wait_alu 0xfffe
	s_or_b32 exec_lo, exec_lo, s22
	s_and_saveexec_b32 s22, s21
	s_cbranch_execnz .LBB1538_488
.LBB1538_454:                           ;   in Loop: Header=BB1538_394 Depth=2
	s_wait_alu 0xfffe
	s_or_b32 exec_lo, exec_lo, s22
	s_and_saveexec_b32 s22, s19
	s_cbranch_execnz .LBB1538_489
.LBB1538_455:                           ;   in Loop: Header=BB1538_394 Depth=2
	s_wait_alu 0xfffe
	s_or_b32 exec_lo, exec_lo, s22
	s_and_saveexec_b32 s22, s18
	s_cbranch_execnz .LBB1538_490
.LBB1538_456:                           ;   in Loop: Header=BB1538_394 Depth=2
	s_wait_alu 0xfffe
	s_or_b32 exec_lo, exec_lo, s22
	s_and_saveexec_b32 s22, s17
	s_cbranch_execnz .LBB1538_491
.LBB1538_457:                           ;   in Loop: Header=BB1538_394 Depth=2
	s_wait_alu 0xfffe
	s_or_b32 exec_lo, exec_lo, s22
	s_and_saveexec_b32 s22, s16
	s_cbranch_execnz .LBB1538_492
.LBB1538_458:                           ;   in Loop: Header=BB1538_394 Depth=2
	s_wait_alu 0xfffe
	s_or_b32 exec_lo, exec_lo, s22
	s_and_saveexec_b32 s22, s15
	s_cbranch_execnz .LBB1538_493
.LBB1538_459:                           ;   in Loop: Header=BB1538_394 Depth=2
	s_wait_alu 0xfffe
	s_or_b32 exec_lo, exec_lo, s22
	s_and_saveexec_b32 s22, vcc_lo
	s_cbranch_execz .LBB1538_461
.LBB1538_460:                           ;   in Loop: Header=BB1538_394 Depth=2
	ds_load_u8 v2, v1 offset:2816
	s_wait_dscnt 0x0
	v_lshrrev_b32_e32 v2, s45, v2
	s_delay_alu instid0(VALU_DEP_1)
	v_and_b32_e32 v86, s42, v2
.LBB1538_461:                           ;   in Loop: Header=BB1538_394 Depth=2
	s_wait_alu 0xfffe
	s_or_b32 exec_lo, exec_lo, s22
	v_lshlrev_b32_e32 v2, 3, v98
	v_lshlrev_b32_e32 v20, 3, v97
	;; [unrolled: 1-line block ×3, first 2 shown]
	s_wait_loadcnt 0x0
	s_wait_storecnt 0x0
	s_barrier_signal -1
	s_barrier_wait -1
	global_inv scope:SCOPE_SE
	ds_store_b64 v2, v[18:19] offset:1024
	ds_store_b64 v20, v[16:17] offset:1024
	;; [unrolled: 1-line block ×3, first 2 shown]
	v_lshlrev_b32_e32 v2, 3, v27
	v_lshlrev_b32_e32 v20, 3, v26
	;; [unrolled: 1-line block ×5, first 2 shown]
	ds_store_b64 v2, v[12:13] offset:1024
	ds_store_b64 v20, v[10:11] offset:1024
	;; [unrolled: 1-line block ×5, first 2 shown]
	s_wait_loadcnt_dscnt 0x0
	s_barrier_signal -1
	s_barrier_wait -1
	global_inv scope:SCOPE_SE
	s_and_saveexec_b32 s22, s20
	s_cbranch_execnz .LBB1538_494
; %bb.462:                              ;   in Loop: Header=BB1538_394 Depth=2
	s_wait_alu 0xfffe
	s_or_b32 exec_lo, exec_lo, s22
	s_and_saveexec_b32 s22, s21
	s_cbranch_execnz .LBB1538_495
.LBB1538_463:                           ;   in Loop: Header=BB1538_394 Depth=2
	s_wait_alu 0xfffe
	s_or_b32 exec_lo, exec_lo, s22
	s_and_saveexec_b32 s20, s19
	s_cbranch_execnz .LBB1538_496
.LBB1538_464:                           ;   in Loop: Header=BB1538_394 Depth=2
	s_wait_alu 0xfffe
	s_or_b32 exec_lo, exec_lo, s20
	s_and_saveexec_b32 s19, s18
	s_cbranch_execnz .LBB1538_497
.LBB1538_465:                           ;   in Loop: Header=BB1538_394 Depth=2
	s_wait_alu 0xfffe
	s_or_b32 exec_lo, exec_lo, s19
	s_and_saveexec_b32 s18, s17
	s_cbranch_execnz .LBB1538_498
.LBB1538_466:                           ;   in Loop: Header=BB1538_394 Depth=2
	s_wait_alu 0xfffe
	s_or_b32 exec_lo, exec_lo, s18
	s_and_saveexec_b32 s17, s16
	s_cbranch_execnz .LBB1538_499
.LBB1538_467:                           ;   in Loop: Header=BB1538_394 Depth=2
	s_wait_alu 0xfffe
	s_or_b32 exec_lo, exec_lo, s17
	s_and_saveexec_b32 s16, s15
	s_cbranch_execnz .LBB1538_500
.LBB1538_468:                           ;   in Loop: Header=BB1538_394 Depth=2
	s_wait_alu 0xfffe
	s_or_b32 exec_lo, exec_lo, s16
	s_and_saveexec_b32 s15, vcc_lo
	s_cbranch_execz .LBB1538_470
.LBB1538_469:                           ;   in Loop: Header=BB1538_394 Depth=2
	v_lshlrev_b32_e32 v2, 2, v86
	v_add_nc_u32_e32 v20, v1, v47
	ds_load_b32 v2, v2
	ds_load_b64 v[20:21], v20 offset:15360
	s_wait_dscnt 0x1
	v_add_nc_u32_e32 v2, v2, v37
	s_delay_alu instid0(VALU_DEP_1) | instskip(NEXT) | instid1(VALU_DEP_1)
	v_lshlrev_b64_e32 v[23:24], 3, v[2:3]
	v_add_co_u32 v23, vcc_lo, s24, v23
	s_wait_alu 0xfffd
	s_delay_alu instid0(VALU_DEP_2)
	v_add_co_ci_u32_e64 v24, null, s25, v24, vcc_lo
	s_wait_dscnt 0x0
	global_store_b64 v[23:24], v[20:21], off
.LBB1538_470:                           ;   in Loop: Header=BB1538_394 Depth=2
	s_wait_alu 0xfffe
	s_or_b32 exec_lo, exec_lo, s15
	s_wait_loadcnt 0x0
	s_wait_storecnt 0x0
	s_barrier_signal -1
	s_barrier_wait -1
	global_inv scope:SCOPE_SE
	s_and_saveexec_b32 s15, s2
	s_cbranch_execz .LBB1538_393
; %bb.471:                              ;   in Loop: Header=BB1538_394 Depth=2
	ds_load_b32 v2, v28
	s_wait_dscnt 0x0
	v_add_nc_u32_e32 v2, v2, v22
	ds_store_b32 v28, v2
	s_branch .LBB1538_393
.LBB1538_472:                           ;   in Loop: Header=BB1538_394 Depth=2
	ds_load_u8 v20, v1 offset:1024
	s_wait_dscnt 0x0
	v_and_b32_e32 v21, 1, v20
	v_xor_b32_e32 v20, 1, v20
	s_delay_alu instid0(VALU_DEP_2) | instskip(NEXT) | instid1(VALU_DEP_1)
	v_lshrrev_b32_e32 v21, s45, v21
	v_and_b32_e32 v21, s42, v21
	s_delay_alu instid0(VALU_DEP_1)
	v_lshlrev_b32_e32 v21, 2, v21
	ds_load_b32 v21, v21
	s_wait_dscnt 0x0
	v_add_nc_u32_e32 v21, v21, v1
	global_store_b8 v21, v20, s[38:39]
	s_wait_alu 0xfffe
	s_or_b32 exec_lo, exec_lo, s15
	v_cmp_lt_u32_e64 s21, v29, v2
	s_and_saveexec_b32 s15, s21
	s_cbranch_execz .LBB1538_437
.LBB1538_473:                           ;   in Loop: Header=BB1538_394 Depth=2
	ds_load_u8 v20, v1 offset:1280
	s_wait_dscnt 0x0
	v_and_b32_e32 v21, 1, v20
	v_xor_b32_e32 v20, 1, v20
	s_delay_alu instid0(VALU_DEP_2) | instskip(NEXT) | instid1(VALU_DEP_1)
	v_lshrrev_b32_e32 v21, s45, v21
	v_and_b32_e32 v21, s42, v21
	s_delay_alu instid0(VALU_DEP_1)
	v_lshlrev_b32_e32 v21, 2, v21
	ds_load_b32 v21, v21
	s_wait_dscnt 0x0
	v_add_nc_u32_e32 v21, v21, v29
	global_store_b8 v21, v20, s[38:39]
	s_wait_alu 0xfffe
	s_or_b32 exec_lo, exec_lo, s15
	v_cmp_lt_u32_e64 s19, v30, v2
	s_and_saveexec_b32 s15, s19
	s_cbranch_execz .LBB1538_438
.LBB1538_474:                           ;   in Loop: Header=BB1538_394 Depth=2
	ds_load_u8 v20, v1 offset:1536
	s_wait_dscnt 0x0
	v_and_b32_e32 v21, 1, v20
	v_xor_b32_e32 v20, 1, v20
	s_delay_alu instid0(VALU_DEP_2) | instskip(NEXT) | instid1(VALU_DEP_1)
	v_lshrrev_b32_e32 v21, s45, v21
	v_and_b32_e32 v21, s42, v21
	s_delay_alu instid0(VALU_DEP_1)
	v_lshlrev_b32_e32 v21, 2, v21
	ds_load_b32 v21, v21
	s_wait_dscnt 0x0
	v_add_nc_u32_e32 v21, v21, v30
	global_store_b8 v21, v20, s[38:39]
	s_wait_alu 0xfffe
	s_or_b32 exec_lo, exec_lo, s15
	v_cmp_lt_u32_e64 s18, v31, v2
	s_and_saveexec_b32 s15, s18
	s_cbranch_execz .LBB1538_439
.LBB1538_475:                           ;   in Loop: Header=BB1538_394 Depth=2
	ds_load_u8 v20, v1 offset:1792
	s_wait_dscnt 0x0
	v_and_b32_e32 v21, 1, v20
	v_xor_b32_e32 v20, 1, v20
	s_delay_alu instid0(VALU_DEP_2) | instskip(NEXT) | instid1(VALU_DEP_1)
	v_lshrrev_b32_e32 v21, s45, v21
	v_and_b32_e32 v21, s42, v21
	s_delay_alu instid0(VALU_DEP_1)
	v_lshlrev_b32_e32 v21, 2, v21
	ds_load_b32 v21, v21
	s_wait_dscnt 0x0
	v_add_nc_u32_e32 v21, v21, v31
	global_store_b8 v21, v20, s[38:39]
	s_wait_alu 0xfffe
	s_or_b32 exec_lo, exec_lo, s15
	v_cmp_lt_u32_e64 s17, v34, v2
	s_and_saveexec_b32 s15, s17
	s_cbranch_execz .LBB1538_440
.LBB1538_476:                           ;   in Loop: Header=BB1538_394 Depth=2
	ds_load_u8 v20, v1 offset:2048
	s_wait_dscnt 0x0
	v_and_b32_e32 v21, 1, v20
	v_xor_b32_e32 v20, 1, v20
	s_delay_alu instid0(VALU_DEP_2) | instskip(NEXT) | instid1(VALU_DEP_1)
	v_lshrrev_b32_e32 v21, s45, v21
	v_and_b32_e32 v21, s42, v21
	s_delay_alu instid0(VALU_DEP_1)
	v_lshlrev_b32_e32 v21, 2, v21
	ds_load_b32 v21, v21
	s_wait_dscnt 0x0
	v_add_nc_u32_e32 v21, v21, v34
	global_store_b8 v21, v20, s[38:39]
	s_wait_alu 0xfffe
	s_or_b32 exec_lo, exec_lo, s15
	v_cmp_lt_u32_e64 s16, v35, v2
	s_and_saveexec_b32 s15, s16
	s_cbranch_execz .LBB1538_441
.LBB1538_477:                           ;   in Loop: Header=BB1538_394 Depth=2
	ds_load_u8 v20, v1 offset:2304
	s_wait_dscnt 0x0
	v_and_b32_e32 v21, 1, v20
	v_xor_b32_e32 v20, 1, v20
	s_delay_alu instid0(VALU_DEP_2) | instskip(NEXT) | instid1(VALU_DEP_1)
	v_lshrrev_b32_e32 v21, s45, v21
	v_and_b32_e32 v21, s42, v21
	s_delay_alu instid0(VALU_DEP_1)
	v_lshlrev_b32_e32 v21, 2, v21
	ds_load_b32 v21, v21
	s_wait_dscnt 0x0
	v_add_nc_u32_e32 v21, v21, v35
	global_store_b8 v21, v20, s[38:39]
	s_wait_alu 0xfffe
	s_or_b32 exec_lo, exec_lo, s15
	v_cmp_lt_u32_e64 s15, v36, v2
	s_and_saveexec_b32 s22, s15
	s_cbranch_execz .LBB1538_442
.LBB1538_478:                           ;   in Loop: Header=BB1538_394 Depth=2
	ds_load_u8 v20, v1 offset:2560
	s_wait_dscnt 0x0
	v_and_b32_e32 v21, 1, v20
	v_xor_b32_e32 v20, 1, v20
	s_delay_alu instid0(VALU_DEP_2) | instskip(NEXT) | instid1(VALU_DEP_1)
	v_lshrrev_b32_e32 v21, s45, v21
	v_and_b32_e32 v21, s42, v21
	s_delay_alu instid0(VALU_DEP_1)
	v_lshlrev_b32_e32 v21, 2, v21
	ds_load_b32 v21, v21
	s_wait_dscnt 0x0
	v_add_nc_u32_e32 v21, v21, v36
	global_store_b8 v21, v20, s[38:39]
	s_wait_alu 0xfffe
	s_or_b32 exec_lo, exec_lo, s22
	v_cmp_lt_u32_e32 vcc_lo, v37, v2
	s_and_saveexec_b32 s22, vcc_lo
	s_cbranch_execnz .LBB1538_443
	s_branch .LBB1538_444
.LBB1538_479:                           ;   in Loop: Header=BB1538_394 Depth=2
	global_load_b64 v[18:19], v[20:21], off
	s_wait_alu 0xfffe
	s_or_b32 exec_lo, exec_lo, s22
	s_delay_alu instid0(SALU_CYCLE_1)
	s_mov_b32 s30, exec_lo
	v_cmpx_lt_u32_e64 v71, v2
	s_cbranch_execz .LBB1538_446
.LBB1538_480:                           ;   in Loop: Header=BB1538_394 Depth=2
	global_load_b64 v[16:17], v[20:21], off offset:256
	s_wait_alu 0xfffe
	s_or_b32 exec_lo, exec_lo, s30
	s_delay_alu instid0(SALU_CYCLE_1)
	s_mov_b32 s30, exec_lo
	v_cmpx_lt_u32_e64 v72, v2
	s_cbranch_execz .LBB1538_447
.LBB1538_481:                           ;   in Loop: Header=BB1538_394 Depth=2
	global_load_b64 v[14:15], v[20:21], off offset:512
	s_wait_alu 0xfffe
	s_or_b32 exec_lo, exec_lo, s30
	s_delay_alu instid0(SALU_CYCLE_1)
	s_mov_b32 s30, exec_lo
	v_cmpx_lt_u32_e64 v73, v2
	s_cbranch_execz .LBB1538_448
.LBB1538_482:                           ;   in Loop: Header=BB1538_394 Depth=2
	global_load_b64 v[12:13], v[20:21], off offset:768
	s_wait_alu 0xfffe
	s_or_b32 exec_lo, exec_lo, s30
	s_delay_alu instid0(SALU_CYCLE_1)
	s_mov_b32 s30, exec_lo
	v_cmpx_lt_u32_e64 v74, v2
	s_cbranch_execz .LBB1538_449
.LBB1538_483:                           ;   in Loop: Header=BB1538_394 Depth=2
	global_load_b64 v[10:11], v[20:21], off offset:1024
	s_wait_alu 0xfffe
	s_or_b32 exec_lo, exec_lo, s30
	s_delay_alu instid0(SALU_CYCLE_1)
	s_mov_b32 s30, exec_lo
	v_cmpx_lt_u32_e64 v75, v2
	s_cbranch_execz .LBB1538_450
.LBB1538_484:                           ;   in Loop: Header=BB1538_394 Depth=2
	global_load_b64 v[8:9], v[20:21], off offset:1280
	s_wait_alu 0xfffe
	s_or_b32 exec_lo, exec_lo, s30
	s_delay_alu instid0(SALU_CYCLE_1)
	s_mov_b32 s30, exec_lo
	v_cmpx_lt_u32_e64 v76, v2
	s_cbranch_execz .LBB1538_451
.LBB1538_485:                           ;   in Loop: Header=BB1538_394 Depth=2
	global_load_b64 v[6:7], v[20:21], off offset:1536
	s_wait_alu 0xfffe
	s_or_b32 exec_lo, exec_lo, s30
	s_delay_alu instid0(SALU_CYCLE_1)
	s_mov_b32 s30, exec_lo
	v_cmpx_lt_u32_e64 v77, v2
	s_cbranch_execz .LBB1538_452
.LBB1538_486:                           ;   in Loop: Header=BB1538_394 Depth=2
	global_load_b64 v[4:5], v[20:21], off offset:1792
	s_wait_alu 0xfffe
	s_or_b32 exec_lo, exec_lo, s30
	s_and_saveexec_b32 s22, s20
	s_cbranch_execz .LBB1538_453
.LBB1538_487:                           ;   in Loop: Header=BB1538_394 Depth=2
	ds_load_u8 v2, v1 offset:1024
	s_wait_dscnt 0x0
	v_lshrrev_b32_e32 v2, s45, v2
	s_delay_alu instid0(VALU_DEP_1)
	v_and_b32_e32 v93, s42, v2
	s_wait_alu 0xfffe
	s_or_b32 exec_lo, exec_lo, s22
	s_and_saveexec_b32 s22, s21
	s_cbranch_execz .LBB1538_454
.LBB1538_488:                           ;   in Loop: Header=BB1538_394 Depth=2
	ds_load_u8 v2, v1 offset:1280
	s_wait_dscnt 0x0
	v_lshrrev_b32_e32 v2, s45, v2
	s_delay_alu instid0(VALU_DEP_1)
	v_and_b32_e32 v92, s42, v2
	s_wait_alu 0xfffe
	s_or_b32 exec_lo, exec_lo, s22
	s_and_saveexec_b32 s22, s19
	s_cbranch_execz .LBB1538_455
.LBB1538_489:                           ;   in Loop: Header=BB1538_394 Depth=2
	ds_load_u8 v2, v1 offset:1536
	s_wait_dscnt 0x0
	v_lshrrev_b32_e32 v2, s45, v2
	s_delay_alu instid0(VALU_DEP_1)
	v_and_b32_e32 v91, s42, v2
	s_wait_alu 0xfffe
	s_or_b32 exec_lo, exec_lo, s22
	s_and_saveexec_b32 s22, s18
	s_cbranch_execz .LBB1538_456
.LBB1538_490:                           ;   in Loop: Header=BB1538_394 Depth=2
	ds_load_u8 v2, v1 offset:1792
	s_wait_dscnt 0x0
	v_lshrrev_b32_e32 v2, s45, v2
	s_delay_alu instid0(VALU_DEP_1)
	v_and_b32_e32 v90, s42, v2
	s_wait_alu 0xfffe
	s_or_b32 exec_lo, exec_lo, s22
	s_and_saveexec_b32 s22, s17
	s_cbranch_execz .LBB1538_457
.LBB1538_491:                           ;   in Loop: Header=BB1538_394 Depth=2
	ds_load_u8 v2, v1 offset:2048
	s_wait_dscnt 0x0
	v_lshrrev_b32_e32 v2, s45, v2
	s_delay_alu instid0(VALU_DEP_1)
	v_and_b32_e32 v89, s42, v2
	s_wait_alu 0xfffe
	s_or_b32 exec_lo, exec_lo, s22
	s_and_saveexec_b32 s22, s16
	s_cbranch_execz .LBB1538_458
.LBB1538_492:                           ;   in Loop: Header=BB1538_394 Depth=2
	ds_load_u8 v2, v1 offset:2304
	s_wait_dscnt 0x0
	v_lshrrev_b32_e32 v2, s45, v2
	s_delay_alu instid0(VALU_DEP_1)
	v_and_b32_e32 v88, s42, v2
	s_wait_alu 0xfffe
	s_or_b32 exec_lo, exec_lo, s22
	s_and_saveexec_b32 s22, s15
	s_cbranch_execz .LBB1538_459
.LBB1538_493:                           ;   in Loop: Header=BB1538_394 Depth=2
	ds_load_u8 v2, v1 offset:2560
	s_wait_dscnt 0x0
	v_lshrrev_b32_e32 v2, s45, v2
	s_delay_alu instid0(VALU_DEP_1)
	v_and_b32_e32 v87, s42, v2
	s_wait_alu 0xfffe
	s_or_b32 exec_lo, exec_lo, s22
	s_and_saveexec_b32 s22, vcc_lo
	s_cbranch_execnz .LBB1538_460
	s_branch .LBB1538_461
.LBB1538_494:                           ;   in Loop: Header=BB1538_394 Depth=2
	v_lshlrev_b32_e32 v2, 2, v93
	v_add_nc_u32_e32 v20, v1, v47
	ds_load_b32 v2, v2
	ds_load_b64 v[20:21], v20 offset:1024
	s_wait_dscnt 0x1
	v_add_nc_u32_e32 v2, v2, v1
	s_delay_alu instid0(VALU_DEP_1) | instskip(NEXT) | instid1(VALU_DEP_1)
	v_lshlrev_b64_e32 v[23:24], 3, v[2:3]
	v_add_co_u32 v23, s20, s24, v23
	s_wait_alu 0xf1ff
	s_delay_alu instid0(VALU_DEP_2)
	v_add_co_ci_u32_e64 v24, null, s25, v24, s20
	s_wait_dscnt 0x0
	global_store_b64 v[23:24], v[20:21], off
	s_wait_alu 0xfffe
	s_or_b32 exec_lo, exec_lo, s22
	s_and_saveexec_b32 s22, s21
	s_cbranch_execz .LBB1538_463
.LBB1538_495:                           ;   in Loop: Header=BB1538_394 Depth=2
	v_lshlrev_b32_e32 v2, 2, v92
	v_add_nc_u32_e32 v20, v1, v47
	ds_load_b32 v2, v2
	ds_load_b64 v[20:21], v20 offset:3072
	s_wait_dscnt 0x1
	v_add_nc_u32_e32 v2, v2, v29
	s_delay_alu instid0(VALU_DEP_1) | instskip(NEXT) | instid1(VALU_DEP_1)
	v_lshlrev_b64_e32 v[23:24], 3, v[2:3]
	v_add_co_u32 v23, s20, s24, v23
	s_wait_alu 0xf1ff
	s_delay_alu instid0(VALU_DEP_2)
	v_add_co_ci_u32_e64 v24, null, s25, v24, s20
	s_wait_dscnt 0x0
	global_store_b64 v[23:24], v[20:21], off
	s_wait_alu 0xfffe
	s_or_b32 exec_lo, exec_lo, s22
	s_and_saveexec_b32 s20, s19
	s_cbranch_execz .LBB1538_464
.LBB1538_496:                           ;   in Loop: Header=BB1538_394 Depth=2
	v_lshlrev_b32_e32 v2, 2, v91
	v_add_nc_u32_e32 v20, v1, v47
	ds_load_b32 v2, v2
	ds_load_b64 v[20:21], v20 offset:5120
	s_wait_dscnt 0x1
	v_add_nc_u32_e32 v2, v2, v30
	s_delay_alu instid0(VALU_DEP_1) | instskip(NEXT) | instid1(VALU_DEP_1)
	v_lshlrev_b64_e32 v[23:24], 3, v[2:3]
	v_add_co_u32 v23, s19, s24, v23
	s_wait_alu 0xf1ff
	s_delay_alu instid0(VALU_DEP_2)
	v_add_co_ci_u32_e64 v24, null, s25, v24, s19
	s_wait_dscnt 0x0
	global_store_b64 v[23:24], v[20:21], off
	s_wait_alu 0xfffe
	s_or_b32 exec_lo, exec_lo, s20
	s_and_saveexec_b32 s19, s18
	s_cbranch_execz .LBB1538_465
.LBB1538_497:                           ;   in Loop: Header=BB1538_394 Depth=2
	v_lshlrev_b32_e32 v2, 2, v90
	v_add_nc_u32_e32 v20, v1, v47
	ds_load_b32 v2, v2
	ds_load_b64 v[20:21], v20 offset:7168
	s_wait_dscnt 0x1
	v_add_nc_u32_e32 v2, v2, v31
	s_delay_alu instid0(VALU_DEP_1) | instskip(NEXT) | instid1(VALU_DEP_1)
	v_lshlrev_b64_e32 v[23:24], 3, v[2:3]
	v_add_co_u32 v23, s18, s24, v23
	s_wait_alu 0xf1ff
	s_delay_alu instid0(VALU_DEP_2)
	v_add_co_ci_u32_e64 v24, null, s25, v24, s18
	s_wait_dscnt 0x0
	global_store_b64 v[23:24], v[20:21], off
	s_wait_alu 0xfffe
	s_or_b32 exec_lo, exec_lo, s19
	s_and_saveexec_b32 s18, s17
	s_cbranch_execz .LBB1538_466
.LBB1538_498:                           ;   in Loop: Header=BB1538_394 Depth=2
	v_lshlrev_b32_e32 v2, 2, v89
	v_add_nc_u32_e32 v20, v1, v47
	ds_load_b32 v2, v2
	ds_load_b64 v[20:21], v20 offset:9216
	s_wait_dscnt 0x1
	v_add_nc_u32_e32 v2, v2, v34
	s_delay_alu instid0(VALU_DEP_1) | instskip(NEXT) | instid1(VALU_DEP_1)
	v_lshlrev_b64_e32 v[23:24], 3, v[2:3]
	v_add_co_u32 v23, s17, s24, v23
	s_wait_alu 0xf1ff
	s_delay_alu instid0(VALU_DEP_2)
	v_add_co_ci_u32_e64 v24, null, s25, v24, s17
	s_wait_dscnt 0x0
	global_store_b64 v[23:24], v[20:21], off
	s_wait_alu 0xfffe
	s_or_b32 exec_lo, exec_lo, s18
	s_and_saveexec_b32 s17, s16
	s_cbranch_execz .LBB1538_467
.LBB1538_499:                           ;   in Loop: Header=BB1538_394 Depth=2
	v_lshlrev_b32_e32 v2, 2, v88
	v_add_nc_u32_e32 v20, v1, v47
	ds_load_b32 v2, v2
	ds_load_b64 v[20:21], v20 offset:11264
	s_wait_dscnt 0x1
	v_add_nc_u32_e32 v2, v2, v35
	s_delay_alu instid0(VALU_DEP_1) | instskip(NEXT) | instid1(VALU_DEP_1)
	v_lshlrev_b64_e32 v[23:24], 3, v[2:3]
	v_add_co_u32 v23, s16, s24, v23
	s_wait_alu 0xf1ff
	s_delay_alu instid0(VALU_DEP_2)
	v_add_co_ci_u32_e64 v24, null, s25, v24, s16
	s_wait_dscnt 0x0
	global_store_b64 v[23:24], v[20:21], off
	s_wait_alu 0xfffe
	s_or_b32 exec_lo, exec_lo, s17
	s_and_saveexec_b32 s16, s15
	s_cbranch_execz .LBB1538_468
.LBB1538_500:                           ;   in Loop: Header=BB1538_394 Depth=2
	v_lshlrev_b32_e32 v2, 2, v87
	v_add_nc_u32_e32 v20, v1, v47
	ds_load_b32 v2, v2
	ds_load_b64 v[20:21], v20 offset:13312
	s_wait_dscnt 0x1
	v_add_nc_u32_e32 v2, v2, v36
	s_delay_alu instid0(VALU_DEP_1) | instskip(NEXT) | instid1(VALU_DEP_1)
	v_lshlrev_b64_e32 v[23:24], 3, v[2:3]
	v_add_co_u32 v23, s15, s24, v23
	s_wait_alu 0xf1ff
	s_delay_alu instid0(VALU_DEP_2)
	v_add_co_ci_u32_e64 v24, null, s25, v24, s15
	s_wait_dscnt 0x0
	global_store_b64 v[23:24], v[20:21], off
	s_wait_alu 0xfffe
	s_or_b32 exec_lo, exec_lo, s16
	s_and_saveexec_b32 s15, vcc_lo
	s_cbranch_execnz .LBB1538_469
	s_branch .LBB1538_470
.LBB1538_501:                           ;   in Loop: Header=BB1538_394 Depth=2
	global_load_u8 v95, v[20:21], off offset:32
	s_wait_alu 0xfffe
	s_or_b32 exec_lo, exec_lo, s15
	s_delay_alu instid0(SALU_CYCLE_1)
	s_mov_b32 s15, exec_lo
	v_cmpx_gt_u32_e64 s43, v72
	s_cbranch_execz .LBB1538_401
.LBB1538_502:                           ;   in Loop: Header=BB1538_394 Depth=2
	global_load_u8 v22, v[20:21], off offset:64
	s_wait_alu 0xfffe
	s_or_b32 exec_lo, exec_lo, s15
	s_delay_alu instid0(SALU_CYCLE_1)
	s_mov_b32 s15, exec_lo
	v_cmpx_gt_u32_e64 s43, v73
	s_cbranch_execz .LBB1538_402
.LBB1538_503:                           ;   in Loop: Header=BB1538_394 Depth=2
	global_load_u8 v26, v[20:21], off offset:96
	s_wait_alu 0xfffe
	s_or_b32 exec_lo, exec_lo, s15
	s_delay_alu instid0(SALU_CYCLE_1)
	s_mov_b32 s15, exec_lo
	v_cmpx_gt_u32_e64 s43, v74
	s_cbranch_execz .LBB1538_403
.LBB1538_504:                           ;   in Loop: Header=BB1538_394 Depth=2
	global_load_u8 v23, v[20:21], off offset:128
	s_wait_alu 0xfffe
	s_or_b32 exec_lo, exec_lo, s15
	s_delay_alu instid0(SALU_CYCLE_1)
	s_mov_b32 s15, exec_lo
	v_cmpx_gt_u32_e64 s43, v75
	s_cbranch_execz .LBB1538_404
.LBB1538_505:                           ;   in Loop: Header=BB1538_394 Depth=2
	global_load_u8 v24, v[20:21], off offset:160
	s_wait_alu 0xfffe
	s_or_b32 exec_lo, exec_lo, s15
	s_delay_alu instid0(SALU_CYCLE_1)
	s_mov_b32 s15, exec_lo
	v_cmpx_gt_u32_e64 s43, v76
	s_cbranch_execnz .LBB1538_405
	s_branch .LBB1538_406
.LBB1538_506:                           ;   in Loop: Header=BB1538_12 Depth=1
	s_wait_loadcnt_dscnt 0x0
	s_barrier_signal -1
	s_mov_b32 s0, 0
	s_barrier_wait -1
.LBB1538_507:                           ;   in Loop: Header=BB1538_12 Depth=1
	s_wait_alu 0xfffe
	s_and_b32 vcc_lo, exec_lo, s0
	s_wait_alu 0xfffe
	s_cbranch_vccz .LBB1538_11
; %bb.508:                              ;   in Loop: Header=BB1538_12 Depth=1
	v_dual_mov_b32 v7, 0 :: v_dual_mov_b32 v10, 0
	v_dual_mov_b32 v9, 0 :: v_dual_mov_b32 v8, 0
	;; [unrolled: 1-line block ×3, first 2 shown]
	v_mov_b32_e32 v4, 0
	v_mov_b32_e32 v2, 0
	s_mov_b32 s9, s47
	s_mov_b32 s30, s33
	s_barrier_signal -1
	s_barrier_wait -1
	global_inv scope:SCOPE_SE
	s_branch .LBB1538_510
.LBB1538_509:                           ;   in Loop: Header=BB1538_510 Depth=2
	s_wait_alu 0xfffe
	s_or_b32 exec_lo, exec_lo, s0
	s_addk_co_i32 s9, 0xf800
	s_cmp_ge_u32 s10, s34
	s_mov_b32 s30, s10
	s_cbranch_scc1 .LBB1538_546
.LBB1538_510:                           ;   Parent Loop BB1538_12 Depth=1
                                        ; =>  This Inner Loop Header: Depth=2
	s_wait_alu 0xfffe
	s_add_co_i32 s10, s30, 0x800
	s_mov_b32 s0, -1
	s_wait_alu 0xfffe
	s_cmp_gt_u32 s10, s34
                                        ; implicit-def: $vgpr11
                                        ; implicit-def: $vgpr12
                                        ; implicit-def: $vgpr13
                                        ; implicit-def: $vgpr14
                                        ; implicit-def: $vgpr15
                                        ; implicit-def: $vgpr16
                                        ; implicit-def: $vgpr17
                                        ; implicit-def: $vgpr18
	s_cbranch_scc1 .LBB1538_512
; %bb.511:                              ;   in Loop: Header=BB1538_510 Depth=2
	v_add_co_u32 v19, vcc_lo, v54, s30
	s_wait_alu 0xfffd
	v_add_co_ci_u32_e64 v20, null, 0, v55, vcc_lo
	s_mov_b32 s0, 0
	s_clause 0x7
	global_load_u8 v18, v[19:20], off offset:1792
	global_load_u8 v17, v[19:20], off offset:1536
	;; [unrolled: 1-line block ×7, first 2 shown]
	global_load_u8 v11, v[19:20], off
.LBB1538_512:                           ;   in Loop: Header=BB1538_510 Depth=2
	s_wait_alu 0xfffe
	s_and_not1_b32 vcc_lo, exec_lo, s0
	s_movk_i32 s0, 0x800
	s_wait_alu 0xfffe
	s_cbranch_vccnz .LBB1538_523
; %bb.513:                              ;   in Loop: Header=BB1538_510 Depth=2
	s_add_nc_u64 s[0:1], s[36:37], s[30:31]
	s_mov_b32 s11, exec_lo
	v_cmpx_gt_u32_e64 s9, v1
	s_cbranch_execnz .LBB1538_539
; %bb.514:                              ;   in Loop: Header=BB1538_510 Depth=2
	s_wait_alu 0xfffe
	s_or_b32 exec_lo, exec_lo, s11
	s_delay_alu instid0(SALU_CYCLE_1)
	s_mov_b32 s11, exec_lo
	v_cmpx_gt_u32_e64 s9, v29
	s_cbranch_execnz .LBB1538_540
.LBB1538_515:                           ;   in Loop: Header=BB1538_510 Depth=2
	s_wait_alu 0xfffe
	s_or_b32 exec_lo, exec_lo, s11
	s_delay_alu instid0(SALU_CYCLE_1)
	s_mov_b32 s11, exec_lo
	v_cmpx_gt_u32_e64 s9, v30
	s_cbranch_execnz .LBB1538_541
.LBB1538_516:                           ;   in Loop: Header=BB1538_510 Depth=2
	s_wait_alu 0xfffe
	s_or_b32 exec_lo, exec_lo, s11
	s_delay_alu instid0(SALU_CYCLE_1)
	s_mov_b32 s11, exec_lo
	v_cmpx_gt_u32_e64 s9, v31
	s_cbranch_execnz .LBB1538_542
.LBB1538_517:                           ;   in Loop: Header=BB1538_510 Depth=2
	s_wait_alu 0xfffe
	s_or_b32 exec_lo, exec_lo, s11
	s_delay_alu instid0(SALU_CYCLE_1)
	s_mov_b32 s11, exec_lo
	v_cmpx_gt_u32_e64 s9, v34
	s_cbranch_execnz .LBB1538_543
.LBB1538_518:                           ;   in Loop: Header=BB1538_510 Depth=2
	s_wait_alu 0xfffe
	s_or_b32 exec_lo, exec_lo, s11
	s_delay_alu instid0(SALU_CYCLE_1)
	s_mov_b32 s11, exec_lo
	v_cmpx_gt_u32_e64 s9, v35
	s_cbranch_execnz .LBB1538_544
.LBB1538_519:                           ;   in Loop: Header=BB1538_510 Depth=2
	s_wait_alu 0xfffe
	s_or_b32 exec_lo, exec_lo, s11
	s_delay_alu instid0(SALU_CYCLE_1)
	s_mov_b32 s11, exec_lo
	v_cmpx_gt_u32_e64 s9, v36
	s_cbranch_execnz .LBB1538_545
.LBB1538_520:                           ;   in Loop: Header=BB1538_510 Depth=2
	s_wait_alu 0xfffe
	s_or_b32 exec_lo, exec_lo, s11
	s_delay_alu instid0(SALU_CYCLE_1)
	s_mov_b32 s11, exec_lo
	v_cmpx_gt_u32_e64 s9, v37
	s_cbranch_execz .LBB1538_522
.LBB1538_521:                           ;   in Loop: Header=BB1538_510 Depth=2
	s_wait_loadcnt 0x0
	v_add_co_u32 v11, s0, s0, v1
	s_wait_alu 0xf1ff
	v_add_co_ci_u32_e64 v12, null, s1, 0, s0
	global_load_u8 v2, v[11:12], off offset:1792
.LBB1538_522:                           ;   in Loop: Header=BB1538_510 Depth=2
	s_wait_alu 0xfffe
	s_or_b32 exec_lo, exec_lo, s11
	s_wait_loadcnt 0x0
	v_dual_mov_b32 v11, v7 :: v_dual_mov_b32 v12, v10
	v_dual_mov_b32 v13, v9 :: v_dual_mov_b32 v14, v8
	;; [unrolled: 1-line block ×4, first 2 shown]
	s_mov_b32 s0, s9
.LBB1538_523:                           ;   in Loop: Header=BB1538_510 Depth=2
	s_wait_loadcnt 0x5
	s_delay_alu instid0(VALU_DEP_1)
	v_dual_mov_b32 v2, v18 :: v_dual_mov_b32 v5, v16
	s_wait_loadcnt 0x2
	v_dual_mov_b32 v4, v17 :: v_dual_mov_b32 v9, v13
	s_wait_loadcnt 0x0
	v_dual_mov_b32 v6, v15 :: v_dual_mov_b32 v7, v11
	v_mov_b32_e32 v8, v14
	v_mov_b32_e32 v10, v12
	s_mov_b32 s1, exec_lo
	s_wait_alu 0xfffe
	v_cmpx_gt_u32_e64 s0, v1
	s_cbranch_execnz .LBB1538_531
; %bb.524:                              ;   in Loop: Header=BB1538_510 Depth=2
	s_or_b32 exec_lo, exec_lo, s1
	s_delay_alu instid0(SALU_CYCLE_1)
	s_mov_b32 s1, exec_lo
	v_cmpx_gt_u32_e64 s0, v29
	s_cbranch_execnz .LBB1538_532
.LBB1538_525:                           ;   in Loop: Header=BB1538_510 Depth=2
	s_wait_alu 0xfffe
	s_or_b32 exec_lo, exec_lo, s1
	s_delay_alu instid0(SALU_CYCLE_1)
	s_mov_b32 s1, exec_lo
	v_cmpx_gt_u32_e64 s0, v30
	s_cbranch_execnz .LBB1538_533
.LBB1538_526:                           ;   in Loop: Header=BB1538_510 Depth=2
	s_wait_alu 0xfffe
	s_or_b32 exec_lo, exec_lo, s1
	s_delay_alu instid0(SALU_CYCLE_1)
	s_mov_b32 s1, exec_lo
	v_cmpx_gt_u32_e64 s0, v31
	s_cbranch_execnz .LBB1538_534
.LBB1538_527:                           ;   in Loop: Header=BB1538_510 Depth=2
	s_wait_alu 0xfffe
	s_or_b32 exec_lo, exec_lo, s1
	s_delay_alu instid0(SALU_CYCLE_1)
	s_mov_b32 s1, exec_lo
	v_cmpx_gt_u32_e64 s0, v34
	s_cbranch_execnz .LBB1538_535
.LBB1538_528:                           ;   in Loop: Header=BB1538_510 Depth=2
	s_wait_alu 0xfffe
	s_or_b32 exec_lo, exec_lo, s1
	s_delay_alu instid0(SALU_CYCLE_1)
	s_mov_b32 s1, exec_lo
	v_cmpx_gt_u32_e64 s0, v35
	s_cbranch_execnz .LBB1538_536
.LBB1538_529:                           ;   in Loop: Header=BB1538_510 Depth=2
	s_wait_alu 0xfffe
	s_or_b32 exec_lo, exec_lo, s1
	s_delay_alu instid0(SALU_CYCLE_1)
	s_mov_b32 s1, exec_lo
	v_cmpx_gt_u32_e64 s0, v36
	s_cbranch_execnz .LBB1538_537
.LBB1538_530:                           ;   in Loop: Header=BB1538_510 Depth=2
	s_wait_alu 0xfffe
	s_or_b32 exec_lo, exec_lo, s1
	v_cmp_gt_u32_e32 vcc_lo, s0, v37
	s_and_saveexec_b32 s0, vcc_lo
	s_cbranch_execz .LBB1538_509
	s_branch .LBB1538_538
.LBB1538_531:                           ;   in Loop: Header=BB1538_510 Depth=2
	v_xor_b32_e32 v11, -1, v7
	s_delay_alu instid0(VALU_DEP_1) | instskip(NEXT) | instid1(VALU_DEP_1)
	v_and_b32_e32 v11, 1, v11
	v_and_b32_e32 v11, 0xffff, v11
	s_delay_alu instid0(VALU_DEP_1) | instskip(NEXT) | instid1(VALU_DEP_1)
	v_lshrrev_b32_e32 v11, s45, v11
	v_and_b32_e32 v11, s42, v11
	s_delay_alu instid0(VALU_DEP_1) | instskip(SKIP_2) | instid1(SALU_CYCLE_1)
	v_lshl_or_b32 v11, v11, 4, v39
	ds_add_u32 v11, v61
	s_or_b32 exec_lo, exec_lo, s1
	s_mov_b32 s1, exec_lo
	v_cmpx_gt_u32_e64 s0, v29
	s_cbranch_execz .LBB1538_525
.LBB1538_532:                           ;   in Loop: Header=BB1538_510 Depth=2
	v_xor_b32_e32 v11, -1, v10
	s_delay_alu instid0(VALU_DEP_1) | instskip(NEXT) | instid1(VALU_DEP_1)
	v_and_b32_e32 v11, 1, v11
	v_and_b32_e32 v11, 0xffff, v11
	s_delay_alu instid0(VALU_DEP_1) | instskip(NEXT) | instid1(VALU_DEP_1)
	v_lshrrev_b32_e32 v11, s45, v11
	v_and_b32_e32 v11, s42, v11
	s_delay_alu instid0(VALU_DEP_1) | instskip(SKIP_3) | instid1(SALU_CYCLE_1)
	v_lshl_or_b32 v11, v11, 4, v39
	ds_add_u32 v11, v61
	s_wait_alu 0xfffe
	s_or_b32 exec_lo, exec_lo, s1
	s_mov_b32 s1, exec_lo
	v_cmpx_gt_u32_e64 s0, v30
	s_cbranch_execz .LBB1538_526
.LBB1538_533:                           ;   in Loop: Header=BB1538_510 Depth=2
	v_xor_b32_e32 v11, -1, v9
	s_delay_alu instid0(VALU_DEP_1) | instskip(NEXT) | instid1(VALU_DEP_1)
	v_and_b32_e32 v11, 1, v11
	v_and_b32_e32 v11, 0xffff, v11
	s_delay_alu instid0(VALU_DEP_1) | instskip(NEXT) | instid1(VALU_DEP_1)
	v_lshrrev_b32_e32 v11, s45, v11
	v_and_b32_e32 v11, s42, v11
	s_delay_alu instid0(VALU_DEP_1) | instskip(SKIP_3) | instid1(SALU_CYCLE_1)
	v_lshl_or_b32 v11, v11, 4, v39
	ds_add_u32 v11, v61
	s_wait_alu 0xfffe
	s_or_b32 exec_lo, exec_lo, s1
	s_mov_b32 s1, exec_lo
	v_cmpx_gt_u32_e64 s0, v31
	s_cbranch_execz .LBB1538_527
.LBB1538_534:                           ;   in Loop: Header=BB1538_510 Depth=2
	v_xor_b32_e32 v11, -1, v8
	s_delay_alu instid0(VALU_DEP_1) | instskip(NEXT) | instid1(VALU_DEP_1)
	v_and_b32_e32 v11, 1, v11
	v_and_b32_e32 v11, 0xffff, v11
	s_delay_alu instid0(VALU_DEP_1) | instskip(NEXT) | instid1(VALU_DEP_1)
	v_lshrrev_b32_e32 v11, s45, v11
	v_and_b32_e32 v11, s42, v11
	s_delay_alu instid0(VALU_DEP_1) | instskip(SKIP_3) | instid1(SALU_CYCLE_1)
	v_lshl_or_b32 v11, v11, 4, v39
	ds_add_u32 v11, v61
	s_wait_alu 0xfffe
	s_or_b32 exec_lo, exec_lo, s1
	s_mov_b32 s1, exec_lo
	v_cmpx_gt_u32_e64 s0, v34
	s_cbranch_execz .LBB1538_528
.LBB1538_535:                           ;   in Loop: Header=BB1538_510 Depth=2
	v_xor_b32_e32 v11, -1, v6
	s_delay_alu instid0(VALU_DEP_1) | instskip(NEXT) | instid1(VALU_DEP_1)
	v_and_b32_e32 v11, 1, v11
	v_and_b32_e32 v11, 0xffff, v11
	s_delay_alu instid0(VALU_DEP_1) | instskip(NEXT) | instid1(VALU_DEP_1)
	v_lshrrev_b32_e32 v11, s45, v11
	v_and_b32_e32 v11, s42, v11
	s_delay_alu instid0(VALU_DEP_1) | instskip(SKIP_3) | instid1(SALU_CYCLE_1)
	v_lshl_or_b32 v11, v11, 4, v39
	ds_add_u32 v11, v61
	s_wait_alu 0xfffe
	s_or_b32 exec_lo, exec_lo, s1
	s_mov_b32 s1, exec_lo
	v_cmpx_gt_u32_e64 s0, v35
	s_cbranch_execz .LBB1538_529
.LBB1538_536:                           ;   in Loop: Header=BB1538_510 Depth=2
	v_xor_b32_e32 v11, -1, v5
	s_delay_alu instid0(VALU_DEP_1) | instskip(NEXT) | instid1(VALU_DEP_1)
	v_and_b32_e32 v11, 1, v11
	v_and_b32_e32 v11, 0xffff, v11
	s_delay_alu instid0(VALU_DEP_1) | instskip(NEXT) | instid1(VALU_DEP_1)
	v_lshrrev_b32_e32 v11, s45, v11
	v_and_b32_e32 v11, s42, v11
	s_delay_alu instid0(VALU_DEP_1) | instskip(SKIP_3) | instid1(SALU_CYCLE_1)
	v_lshl_or_b32 v11, v11, 4, v39
	ds_add_u32 v11, v61
	s_wait_alu 0xfffe
	s_or_b32 exec_lo, exec_lo, s1
	s_mov_b32 s1, exec_lo
	v_cmpx_gt_u32_e64 s0, v36
	s_cbranch_execz .LBB1538_530
.LBB1538_537:                           ;   in Loop: Header=BB1538_510 Depth=2
	v_xor_b32_e32 v11, -1, v4
	s_delay_alu instid0(VALU_DEP_1) | instskip(NEXT) | instid1(VALU_DEP_1)
	v_and_b32_e32 v11, 1, v11
	v_and_b32_e32 v11, 0xffff, v11
	s_delay_alu instid0(VALU_DEP_1) | instskip(NEXT) | instid1(VALU_DEP_1)
	v_lshrrev_b32_e32 v11, s45, v11
	v_and_b32_e32 v11, s42, v11
	s_delay_alu instid0(VALU_DEP_1)
	v_lshl_or_b32 v11, v11, 4, v39
	ds_add_u32 v11, v61
	s_wait_alu 0xfffe
	s_or_b32 exec_lo, exec_lo, s1
	v_cmp_gt_u32_e32 vcc_lo, s0, v37
	s_and_saveexec_b32 s0, vcc_lo
	s_cbranch_execz .LBB1538_509
.LBB1538_538:                           ;   in Loop: Header=BB1538_510 Depth=2
	v_xor_b32_e32 v11, -1, v2
	s_delay_alu instid0(VALU_DEP_1) | instskip(NEXT) | instid1(VALU_DEP_1)
	v_and_b32_e32 v11, 1, v11
	v_and_b32_e32 v11, 0xffff, v11
	s_delay_alu instid0(VALU_DEP_1) | instskip(NEXT) | instid1(VALU_DEP_1)
	v_lshrrev_b32_e32 v11, s45, v11
	v_and_b32_e32 v11, s42, v11
	s_delay_alu instid0(VALU_DEP_1)
	v_lshl_or_b32 v11, v11, 4, v39
	ds_add_u32 v11, v61
	s_branch .LBB1538_509
.LBB1538_539:                           ;   in Loop: Header=BB1538_510 Depth=2
	s_wait_loadcnt 0x0
	s_wait_alu 0xfffe
	v_add_co_u32 v11, s12, s0, v1
	s_wait_alu 0xf1ff
	v_add_co_ci_u32_e64 v12, null, s1, 0, s12
	global_load_u8 v7, v[11:12], off
	s_or_b32 exec_lo, exec_lo, s11
	s_delay_alu instid0(SALU_CYCLE_1)
	s_mov_b32 s11, exec_lo
	v_cmpx_gt_u32_e64 s9, v29
	s_cbranch_execz .LBB1538_515
.LBB1538_540:                           ;   in Loop: Header=BB1538_510 Depth=2
	v_add_co_u32 v10, s12, s0, v1
	s_wait_loadcnt 0x0
	s_wait_alu 0xf1ff
	v_add_co_ci_u32_e64 v11, null, s1, 0, s12
	global_load_u8 v10, v[10:11], off offset:256
	s_wait_alu 0xfffe
	s_or_b32 exec_lo, exec_lo, s11
	s_delay_alu instid0(SALU_CYCLE_1)
	s_mov_b32 s11, exec_lo
	v_cmpx_gt_u32_e64 s9, v30
	s_cbranch_execz .LBB1538_516
.LBB1538_541:                           ;   in Loop: Header=BB1538_510 Depth=2
	s_wait_loadcnt 0x0
	v_add_co_u32 v11, s12, s0, v1
	s_wait_alu 0xf1ff
	v_add_co_ci_u32_e64 v12, null, s1, 0, s12
	global_load_u8 v9, v[11:12], off offset:512
	s_wait_alu 0xfffe
	s_or_b32 exec_lo, exec_lo, s11
	s_delay_alu instid0(SALU_CYCLE_1)
	s_mov_b32 s11, exec_lo
	v_cmpx_gt_u32_e64 s9, v31
	s_cbranch_execz .LBB1538_517
.LBB1538_542:                           ;   in Loop: Header=BB1538_510 Depth=2
	s_wait_loadcnt 0x0
	v_add_co_u32 v11, s12, s0, v1
	s_wait_alu 0xf1ff
	v_add_co_ci_u32_e64 v12, null, s1, 0, s12
	global_load_u8 v8, v[11:12], off offset:768
	s_wait_alu 0xfffe
	s_or_b32 exec_lo, exec_lo, s11
	s_delay_alu instid0(SALU_CYCLE_1)
	s_mov_b32 s11, exec_lo
	v_cmpx_gt_u32_e64 s9, v34
	s_cbranch_execz .LBB1538_518
.LBB1538_543:                           ;   in Loop: Header=BB1538_510 Depth=2
	s_wait_loadcnt 0x0
	v_add_co_u32 v11, s12, s0, v1
	s_wait_alu 0xf1ff
	v_add_co_ci_u32_e64 v12, null, s1, 0, s12
	global_load_u8 v6, v[11:12], off offset:1024
	s_wait_alu 0xfffe
	s_or_b32 exec_lo, exec_lo, s11
	s_delay_alu instid0(SALU_CYCLE_1)
	s_mov_b32 s11, exec_lo
	v_cmpx_gt_u32_e64 s9, v35
	s_cbranch_execz .LBB1538_519
.LBB1538_544:                           ;   in Loop: Header=BB1538_510 Depth=2
	s_wait_loadcnt 0x0
	v_add_co_u32 v11, s12, s0, v1
	s_wait_alu 0xf1ff
	v_add_co_ci_u32_e64 v12, null, s1, 0, s12
	global_load_u8 v5, v[11:12], off offset:1280
	s_wait_alu 0xfffe
	s_or_b32 exec_lo, exec_lo, s11
	s_delay_alu instid0(SALU_CYCLE_1)
	s_mov_b32 s11, exec_lo
	v_cmpx_gt_u32_e64 s9, v36
	s_cbranch_execz .LBB1538_520
.LBB1538_545:                           ;   in Loop: Header=BB1538_510 Depth=2
	s_wait_loadcnt 0x0
	v_add_co_u32 v11, s12, s0, v1
	s_wait_alu 0xf1ff
	v_add_co_ci_u32_e64 v12, null, s1, 0, s12
	global_load_u8 v4, v[11:12], off offset:1536
	s_wait_alu 0xfffe
	s_or_b32 exec_lo, exec_lo, s11
	s_delay_alu instid0(SALU_CYCLE_1)
	s_mov_b32 s11, exec_lo
	v_cmpx_gt_u32_e64 s9, v37
	s_cbranch_execnz .LBB1538_521
	s_branch .LBB1538_522
.LBB1538_546:                           ;   in Loop: Header=BB1538_12 Depth=1
	v_mov_b32_e32 v2, 0
	s_wait_dscnt 0x0
	s_barrier_signal -1
	s_barrier_wait -1
	global_inv scope:SCOPE_SE
	s_and_saveexec_b32 s0, s2
	s_cbranch_execz .LBB1538_548
; %bb.547:                              ;   in Loop: Header=BB1538_12 Depth=1
	ds_load_2addr_b64 v[4:7], v40 offset1:1
	s_wait_dscnt 0x0
	v_add_nc_u32_e32 v2, v5, v4
	s_delay_alu instid0(VALU_DEP_1)
	v_add3_u32 v2, v2, v6, v7
.LBB1538_548:                           ;   in Loop: Header=BB1538_12 Depth=1
	s_wait_alu 0xfffe
	s_or_b32 exec_lo, exec_lo, s0
	s_delay_alu instid0(VALU_DEP_1)
	v_mov_b32_dpp v4, v2 row_shr:1 row_mask:0xf bank_mask:0xf
	v_cmp_eq_u32_e64 s0, 0, v62
	v_cmp_lt_u32_e64 s1, 1, v62
	v_cmp_lt_u32_e64 s9, 3, v62
	v_cmp_lt_u32_e64 s10, 7, v62
	v_cmp_eq_u32_e64 s11, 0, v64
	s_wait_alu 0xf1ff
	v_cndmask_b32_e64 v4, v4, 0, s0
	s_delay_alu instid0(VALU_DEP_1) | instskip(NEXT) | instid1(VALU_DEP_1)
	v_add_nc_u32_e32 v2, v4, v2
	v_mov_b32_dpp v4, v2 row_shr:2 row_mask:0xf bank_mask:0xf
	s_delay_alu instid0(VALU_DEP_1) | instskip(NEXT) | instid1(VALU_DEP_1)
	v_cndmask_b32_e64 v4, 0, v4, s1
	v_add_nc_u32_e32 v2, v2, v4
	s_delay_alu instid0(VALU_DEP_1) | instskip(NEXT) | instid1(VALU_DEP_1)
	v_mov_b32_dpp v4, v2 row_shr:4 row_mask:0xf bank_mask:0xf
	v_cndmask_b32_e64 v4, 0, v4, s9
	s_delay_alu instid0(VALU_DEP_1) | instskip(NEXT) | instid1(VALU_DEP_1)
	v_add_nc_u32_e32 v2, v2, v4
	v_mov_b32_dpp v4, v2 row_shr:8 row_mask:0xf bank_mask:0xf
	s_delay_alu instid0(VALU_DEP_1) | instskip(NEXT) | instid1(VALU_DEP_1)
	v_cndmask_b32_e64 v4, 0, v4, s10
	v_add_nc_u32_e32 v2, v2, v4
	ds_swizzle_b32 v4, v2 offset:swizzle(BROADCAST,32,15)
	s_wait_dscnt 0x0
	v_and_b32_e32 v4, v63, v4
	s_delay_alu instid0(VALU_DEP_1)
	v_add_nc_u32_e32 v2, v2, v4
	s_and_saveexec_b32 s12, s3
; %bb.549:                              ;   in Loop: Header=BB1538_12 Depth=1
	ds_store_b32 v41, v2
; %bb.550:                              ;   in Loop: Header=BB1538_12 Depth=1
	s_wait_alu 0xfffe
	s_or_b32 exec_lo, exec_lo, s12
	s_wait_loadcnt_dscnt 0x0
	s_barrier_signal -1
	s_barrier_wait -1
	global_inv scope:SCOPE_SE
	s_and_saveexec_b32 s12, s4
	s_cbranch_execz .LBB1538_552
; %bb.551:                              ;   in Loop: Header=BB1538_12 Depth=1
	ds_load_b32 v4, v42
	v_cmp_ne_u32_e32 vcc_lo, 0, v65
	s_wait_dscnt 0x0
	v_mov_b32_dpp v5, v4 row_shr:1 row_mask:0xf bank_mask:0xf
	s_wait_alu 0xfffd
	s_delay_alu instid0(VALU_DEP_1) | instskip(SKIP_1) | instid1(VALU_DEP_2)
	v_cndmask_b32_e32 v5, 0, v5, vcc_lo
	v_cmp_lt_u32_e32 vcc_lo, 1, v65
	v_add_nc_u32_e32 v4, v5, v4
	s_delay_alu instid0(VALU_DEP_1) | instskip(SKIP_1) | instid1(VALU_DEP_1)
	v_mov_b32_dpp v5, v4 row_shr:2 row_mask:0xf bank_mask:0xf
	s_wait_alu 0xfffd
	v_cndmask_b32_e32 v5, 0, v5, vcc_lo
	v_cmp_lt_u32_e32 vcc_lo, 3, v65
	s_delay_alu instid0(VALU_DEP_2) | instskip(NEXT) | instid1(VALU_DEP_1)
	v_add_nc_u32_e32 v4, v4, v5
	v_mov_b32_dpp v5, v4 row_shr:4 row_mask:0xf bank_mask:0xf
	s_wait_alu 0xfffd
	s_delay_alu instid0(VALU_DEP_1) | instskip(NEXT) | instid1(VALU_DEP_1)
	v_cndmask_b32_e32 v5, 0, v5, vcc_lo
	v_add_nc_u32_e32 v4, v4, v5
	ds_store_b32 v42, v4
.LBB1538_552:                           ;   in Loop: Header=BB1538_12 Depth=1
	s_wait_alu 0xfffe
	s_or_b32 exec_lo, exec_lo, s12
	v_mov_b32_e32 v4, 0
	s_wait_loadcnt_dscnt 0x0
	s_barrier_signal -1
	s_barrier_wait -1
	global_inv scope:SCOPE_SE
	s_and_saveexec_b32 s12, s5
; %bb.553:                              ;   in Loop: Header=BB1538_12 Depth=1
	ds_load_b32 v4, v43
; %bb.554:                              ;   in Loop: Header=BB1538_12 Depth=1
	s_wait_alu 0xfffe
	s_or_b32 exec_lo, exec_lo, s12
	v_cmp_gt_i32_e32 vcc_lo, 0, v67
	s_wait_dscnt 0x0
	v_add_nc_u32_e32 v2, v4, v2
	s_wait_loadcnt 0x0
	s_barrier_signal -1
	s_barrier_wait -1
	s_wait_alu 0xfffd
	v_cndmask_b32_e32 v5, v67, v58, vcc_lo
	global_inv scope:SCOPE_SE
	v_lshlrev_b32_e32 v80, 2, v5
	ds_bpermute_b32 v2, v80, v2
	s_and_saveexec_b32 s12, s2
	s_cbranch_execz .LBB1538_556
; %bb.555:                              ;   in Loop: Header=BB1538_12 Depth=1
	s_wait_dscnt 0x0
	v_cndmask_b32_e64 v2, v2, v4, s8
	s_delay_alu instid0(VALU_DEP_1)
	v_add_nc_u32_e32 v2, s33, v2
	ds_store_b32 v28, v2
.LBB1538_556:                           ;   in Loop: Header=BB1538_12 Depth=1
	s_wait_alu 0xfffe
	s_or_b32 exec_lo, exec_lo, s12
	s_load_b64 s[12:13], s[28:29], 0x0
	v_add_co_u32 v81, vcc_lo, v56, v66
	s_wait_alu 0xfffd
	v_add_co_ci_u32_e64 v82, null, 0, v57, vcc_lo
	v_add_co_u32 v83, vcc_lo, v59, v58
	s_wait_alu 0xfffd
	v_add_co_ci_u32_e64 v84, null, 0, v60, vcc_lo
	s_mov_b32 s43, s47
                                        ; implicit-def: $vgpr6_vgpr7
                                        ; implicit-def: $vgpr8_vgpr9
                                        ; implicit-def: $vgpr10_vgpr11
                                        ; implicit-def: $vgpr12_vgpr13
                                        ; implicit-def: $vgpr14_vgpr15
                                        ; implicit-def: $vgpr16_vgpr17
                                        ; implicit-def: $vgpr18_vgpr19
                                        ; implicit-def: $vgpr86
                                        ; implicit-def: $vgpr87
                                        ; implicit-def: $vgpr88
                                        ; implicit-def: $vgpr89
                                        ; implicit-def: $vgpr90
                                        ; implicit-def: $vgpr91
                                        ; implicit-def: $vgpr92
                                        ; implicit-def: $vgpr93
	s_wait_kmcnt 0x0
	s_cmp_lt_u32 ttmp7, s13
	s_cselect_b32 s30, 14, 20
	s_cmp_lt_u32 ttmp9, s12
	s_wait_alu 0xfffe
	s_add_nc_u64 s[14:15], s[28:29], s[30:31]
	s_cselect_b32 s30, 12, 18
	s_load_u16 s14, s[14:15], 0x0
	s_add_nc_u64 s[12:13], s[28:29], s[30:31]
	s_mov_b32 s30, s33
	s_load_u16 s12, s[12:13], 0x0
	v_cmp_lt_u32_e64 s13, 1, v65
	s_wait_dscnt 0x0
	s_wait_kmcnt 0x0
	v_mad_u32_u24 v2, v44, s14, v0
	v_cmp_lt_u32_e64 s14, 3, v65
	s_delay_alu instid0(VALU_DEP_2) | instskip(SKIP_1) | instid1(VALU_DEP_2)
	v_mad_co_u64_u32 v[4:5], null, v2, s12, v[1:2]
	v_cmp_eq_u32_e64 s12, 0, v65
	v_lshrrev_b32_e32 v2, 3, v4
                                        ; implicit-def: $vgpr4_vgpr5
	s_delay_alu instid0(VALU_DEP_1)
	v_and_b32_e32 v85, 0x1ffffffc, v2
	s_branch .LBB1538_558
.LBB1538_557:                           ;   in Loop: Header=BB1538_558 Depth=2
	s_wait_alu 0xfffe
	s_or_b32 exec_lo, exec_lo, s15
	s_addk_co_i32 s43, 0xf800
	s_cmp_lt_u32 s44, s34
	s_mov_b32 s30, s44
	s_cbranch_scc0 .LBB1538_10
.LBB1538_558:                           ;   Parent Loop BB1538_12 Depth=1
                                        ; =>  This Inner Loop Header: Depth=2
	s_wait_alu 0xfffe
	s_add_co_i32 s44, s30, 0x800
	s_wait_alu 0xfffe
	s_cmp_gt_u32 s44, s34
	s_cbranch_scc1 .LBB1538_560
; %bb.559:                              ;   in Loop: Header=BB1538_558 Depth=2
	v_add_co_u32 v20, vcc_lo, v83, s30
	s_wait_alu 0xfffd
	v_add_co_ci_u32_e64 v21, null, 0, v84, vcc_lo
	s_mov_b32 s15, -1
	s_clause 0x6
	global_load_u8 v25, v[20:21], off offset:192
	global_load_u8 v24, v[20:21], off offset:160
	;; [unrolled: 1-line block ×6, first 2 shown]
	global_load_u8 v27, v[20:21], off
	s_movk_i32 s16, 0x800
                                        ; implicit-def: $vgpr96
	s_cbranch_execz .LBB1538_561
	s_branch .LBB1538_571
.LBB1538_560:                           ;   in Loop: Header=BB1538_558 Depth=2
	s_mov_b32 s15, 0
                                        ; implicit-def: $vgpr27
                                        ; implicit-def: $vgpr95
                                        ; implicit-def: $vgpr22
                                        ; implicit-def: $vgpr26
                                        ; implicit-def: $vgpr23
                                        ; implicit-def: $vgpr24
                                        ; implicit-def: $vgpr25
	s_movk_i32 s16, 0x800
                                        ; implicit-def: $vgpr96
.LBB1538_561:                           ;   in Loop: Header=BB1538_558 Depth=2
	v_add_co_u32 v20, vcc_lo, v83, s30
	s_wait_alu 0xfffd
	v_add_co_ci_u32_e64 v21, null, 0, v84, vcc_lo
	s_wait_loadcnt 0x0
	v_dual_mov_b32 v22, 0 :: v_dual_mov_b32 v27, 0
	v_dual_mov_b32 v26, 0 :: v_dual_mov_b32 v23, 0
	;; [unrolled: 1-line block ×3, first 2 shown]
	v_mov_b32_e32 v96, 0
	s_mov_b32 s15, exec_lo
	v_cmpx_gt_u32_e64 s43, v68
	s_cbranch_execz .LBB1538_563
; %bb.562:                              ;   in Loop: Header=BB1538_558 Depth=2
	global_load_u8 v27, v[20:21], off
	v_dual_mov_b32 v26, 0 :: v_dual_mov_b32 v23, 0
	v_dual_mov_b32 v24, 0 :: v_dual_mov_b32 v25, 0
	v_mov_b32_e32 v96, 0
.LBB1538_563:                           ;   in Loop: Header=BB1538_558 Depth=2
	s_wait_alu 0xfffe
	s_or_b32 exec_lo, exec_lo, s15
	v_mov_b32_e32 v95, v22
	s_mov_b32 s15, exec_lo
	v_cmpx_gt_u32_e64 s43, v71
	s_cbranch_execnz .LBB1538_665
; %bb.564:                              ;   in Loop: Header=BB1538_558 Depth=2
	s_wait_alu 0xfffe
	s_or_b32 exec_lo, exec_lo, s15
	s_delay_alu instid0(SALU_CYCLE_1)
	s_mov_b32 s15, exec_lo
	v_cmpx_gt_u32_e64 s43, v72
	s_cbranch_execnz .LBB1538_666
.LBB1538_565:                           ;   in Loop: Header=BB1538_558 Depth=2
	s_wait_alu 0xfffe
	s_or_b32 exec_lo, exec_lo, s15
	s_delay_alu instid0(SALU_CYCLE_1)
	s_mov_b32 s15, exec_lo
	v_cmpx_gt_u32_e64 s43, v73
	s_cbranch_execnz .LBB1538_667
.LBB1538_566:                           ;   in Loop: Header=BB1538_558 Depth=2
	s_wait_alu 0xfffe
	s_or_b32 exec_lo, exec_lo, s15
	s_delay_alu instid0(SALU_CYCLE_1)
	s_mov_b32 s15, exec_lo
	v_cmpx_gt_u32_e64 s43, v74
	s_cbranch_execnz .LBB1538_668
.LBB1538_567:                           ;   in Loop: Header=BB1538_558 Depth=2
	s_wait_alu 0xfffe
	s_or_b32 exec_lo, exec_lo, s15
	s_delay_alu instid0(SALU_CYCLE_1)
	s_mov_b32 s15, exec_lo
	v_cmpx_gt_u32_e64 s43, v75
	s_cbranch_execnz .LBB1538_669
.LBB1538_568:                           ;   in Loop: Header=BB1538_558 Depth=2
	s_wait_alu 0xfffe
	s_or_b32 exec_lo, exec_lo, s15
	s_delay_alu instid0(SALU_CYCLE_1)
	s_mov_b32 s15, exec_lo
	v_cmpx_gt_u32_e64 s43, v76
	s_cbranch_execz .LBB1538_570
.LBB1538_569:                           ;   in Loop: Header=BB1538_558 Depth=2
	global_load_u8 v25, v[20:21], off offset:192
.LBB1538_570:                           ;   in Loop: Header=BB1538_558 Depth=2
	s_wait_alu 0xfffe
	s_or_b32 exec_lo, exec_lo, s15
	v_cmp_gt_u32_e64 s15, s43, v77
	s_sub_co_i32 s16, s34, s30
.LBB1538_571:                           ;   in Loop: Header=BB1538_558 Depth=2
	v_mov_b32_e32 v2, s43
	s_wait_alu 0xfffe
	s_and_saveexec_b32 s17, s15
	s_cbranch_execz .LBB1538_573
; %bb.572:                              ;   in Loop: Header=BB1538_558 Depth=2
	v_add_co_u32 v20, vcc_lo, v83, s30
	s_wait_alu 0xfffd
	v_add_co_ci_u32_e64 v21, null, s31, v84, vcc_lo
	v_mov_b32_e32 v2, s16
	global_load_u8 v96, v[20:21], off offset:224
.LBB1538_573:                           ;   in Loop: Header=BB1538_558 Depth=2
	s_wait_alu 0xfffe
	s_or_b32 exec_lo, exec_lo, s17
	s_wait_loadcnt 0x0
	v_and_b32_e32 v20, 1, v27
	v_and_b32_e32 v22, 1, v22
	;; [unrolled: 1-line block ×5, first 2 shown]
	v_cmp_eq_u32_e32 vcc_lo, 1, v20
	v_and_b32_e32 v25, 1, v25
	v_and_b32_e32 v96, 1, v96
	v_add_nc_u32_e32 v97, 0x420, v45
	v_add_nc_u32_e32 v98, 0x428, v45
	s_xor_b32 s15, vcc_lo, -1
	v_add_nc_u32_e32 v99, 0x430, v45
	s_wait_alu 0xfffe
	v_cndmask_b32_e64 v94, 0, 1, s15
	v_add_nc_u32_e32 v100, 0x438, v45
	v_cmp_eq_u32_e64 s19, 1, v22
	v_cmp_eq_u32_e64 s18, 1, v26
	;; [unrolled: 1-line block ×3, first 2 shown]
	v_lshrrev_b32_e32 v20, s45, v94
	v_cmp_eq_u32_e64 s16, 1, v24
	ds_store_2addr_b32 v100, v3, v3 offset1:1
	ds_store_2addr_b32 v97, v3, v3 offset1:1
	;; [unrolled: 1-line block ×4, first 2 shown]
	ds_store_b32 v45, v3 offset:1088
	s_wait_dscnt 0x0
	v_and_b32_e32 v21, s42, v20
	v_and_b32_e32 v20, 1, v95
	s_barrier_signal -1
	s_barrier_wait -1
	global_inv scope:SCOPE_SE
	v_add_co_u32 v27, s15, v21, -1
	s_wait_alu 0xf1ff
	v_cndmask_b32_e64 v95, 0, 1, s15
	v_cmp_eq_u32_e64 s20, 1, v20
	v_mul_u32_u24_e32 v21, 36, v21
	v_cmp_eq_u32_e64 s15, 1, v25
	s_delay_alu instid0(VALU_DEP_4) | instskip(NEXT) | instid1(VALU_DEP_3)
	v_cmp_ne_u32_e32 vcc_lo, 0, v95
	; wave barrier
	v_add_nc_u32_e32 v102, v85, v21
	s_wait_alu 0xfffd
	v_xor_b32_e32 v27, vcc_lo, v27
	v_cmp_eq_u32_e32 vcc_lo, 1, v96
	s_delay_alu instid0(VALU_DEP_2) | instskip(NEXT) | instid1(VALU_DEP_1)
	v_and_b32_e32 v20, exec_lo, v27
	v_mbcnt_lo_u32_b32 v95, v20, 0
	v_cmp_ne_u32_e64 s22, 0, v20
	s_delay_alu instid0(VALU_DEP_2)
	v_cmp_eq_u32_e64 s21, 0, v95
	s_and_b32 s22, s22, s21
	s_wait_alu 0xfffe
	s_and_saveexec_b32 s21, s22
; %bb.574:                              ;   in Loop: Header=BB1538_558 Depth=2
	v_bcnt_u32_b32 v20, v20, 0
	ds_store_b32 v102, v20 offset:1056
; %bb.575:                              ;   in Loop: Header=BB1538_558 Depth=2
	s_wait_alu 0xfffe
	s_or_b32 exec_lo, exec_lo, s21
	s_xor_b32 s20, s20, -1
	s_wait_alu 0xfffe
	v_cndmask_b32_e64 v96, 0, 1, s20
	; wave barrier
	s_delay_alu instid0(VALU_DEP_1) | instskip(NEXT) | instid1(VALU_DEP_1)
	v_lshrrev_b32_e32 v20, s45, v96
	v_and_b32_e32 v21, s42, v20
	s_delay_alu instid0(VALU_DEP_1) | instskip(SKIP_2) | instid1(VALU_DEP_1)
	v_add_co_u32 v20, s20, v21, -1
	s_wait_alu 0xf1ff
	v_cndmask_b32_e64 v22, 0, 1, s20
	v_cmp_ne_u32_e64 s20, 0, v22
	v_mad_u32_u24 v22, v21, 36, v85
	v_mul_u32_u24_e32 v21, 36, v21
	s_wait_alu 0xf1ff
	s_delay_alu instid0(VALU_DEP_3) | instskip(SKIP_3) | instid1(VALU_DEP_1)
	v_xor_b32_e32 v20, s20, v20
	ds_load_b32 v101, v22 offset:1056
	v_add_nc_u32_e32 v106, v85, v21
	; wave barrier
	v_and_b32_e32 v20, exec_lo, v20
	v_mbcnt_lo_u32_b32 v103, v20, 0
	v_cmp_ne_u32_e64 s21, 0, v20
	s_delay_alu instid0(VALU_DEP_2)
	v_cmp_eq_u32_e64 s20, 0, v103
	s_and_b32 s21, s21, s20
	s_wait_alu 0xfffe
	s_and_saveexec_b32 s20, s21
	s_cbranch_execz .LBB1538_577
; %bb.576:                              ;   in Loop: Header=BB1538_558 Depth=2
	s_wait_dscnt 0x0
	v_bcnt_u32_b32 v20, v20, v101
	ds_store_b32 v106, v20 offset:1056
.LBB1538_577:                           ;   in Loop: Header=BB1538_558 Depth=2
	s_wait_alu 0xfffe
	s_or_b32 exec_lo, exec_lo, s20
	s_xor_b32 s19, s19, -1
	s_wait_alu 0xfffe
	v_cndmask_b32_e64 v104, 0, 1, s19
	; wave barrier
	s_delay_alu instid0(VALU_DEP_1) | instskip(NEXT) | instid1(VALU_DEP_1)
	v_lshrrev_b32_e32 v20, s45, v104
	v_and_b32_e32 v21, s42, v20
	s_delay_alu instid0(VALU_DEP_1) | instskip(SKIP_2) | instid1(VALU_DEP_1)
	v_add_co_u32 v20, s19, v21, -1
	s_wait_alu 0xf1ff
	v_cndmask_b32_e64 v22, 0, 1, s19
	v_cmp_ne_u32_e64 s19, 0, v22
	v_mad_u32_u24 v22, v21, 36, v85
	v_mul_u32_u24_e32 v21, 36, v21
	s_wait_alu 0xf1ff
	s_delay_alu instid0(VALU_DEP_3) | instskip(SKIP_3) | instid1(VALU_DEP_1)
	v_xor_b32_e32 v20, s19, v20
	ds_load_b32 v105, v22 offset:1056
	v_add_nc_u32_e32 v110, v85, v21
	; wave barrier
	v_and_b32_e32 v20, exec_lo, v20
	v_mbcnt_lo_u32_b32 v107, v20, 0
	v_cmp_ne_u32_e64 s20, 0, v20
	s_delay_alu instid0(VALU_DEP_2)
	v_cmp_eq_u32_e64 s19, 0, v107
	s_and_b32 s20, s20, s19
	s_wait_alu 0xfffe
	s_and_saveexec_b32 s19, s20
	s_cbranch_execz .LBB1538_579
; %bb.578:                              ;   in Loop: Header=BB1538_558 Depth=2
	s_wait_dscnt 0x0
	v_bcnt_u32_b32 v20, v20, v105
	ds_store_b32 v110, v20 offset:1056
.LBB1538_579:                           ;   in Loop: Header=BB1538_558 Depth=2
	;; [unrolled: 36-line block ×6, first 2 shown]
	s_wait_alu 0xfffe
	s_or_b32 exec_lo, exec_lo, s15
	s_xor_b32 s15, vcc_lo, -1
	s_wait_alu 0xfffe
	v_cndmask_b32_e64 v124, 0, 1, s15
	; wave barrier
	s_delay_alu instid0(VALU_DEP_1) | instskip(NEXT) | instid1(VALU_DEP_1)
	v_lshrrev_b32_e32 v20, s45, v124
	v_and_b32_e32 v21, s42, v20
	s_delay_alu instid0(VALU_DEP_1) | instskip(SKIP_2) | instid1(VALU_DEP_1)
	v_add_co_u32 v20, s15, v21, -1
	s_wait_alu 0xf1ff
	v_cndmask_b32_e64 v22, 0, 1, s15
	v_cmp_ne_u32_e32 vcc_lo, 0, v22
	v_mad_u32_u24 v22, v21, 36, v85
	v_mul_u32_u24_e32 v21, 36, v21
	s_wait_alu 0xfffd
	v_xor_b32_e32 v20, vcc_lo, v20
	ds_load_b32 v125, v22 offset:1056
	v_add_nc_u32_e32 v128, v85, v21
	; wave barrier
	v_and_b32_e32 v20, exec_lo, v20
	s_delay_alu instid0(VALU_DEP_1) | instskip(SKIP_1) | instid1(VALU_DEP_2)
	v_mbcnt_lo_u32_b32 v127, v20, 0
	v_cmp_ne_u32_e64 s15, 0, v20
	v_cmp_eq_u32_e32 vcc_lo, 0, v127
	s_and_b32 s16, s15, vcc_lo
	s_wait_alu 0xfffe
	s_and_saveexec_b32 s15, s16
	s_cbranch_execz .LBB1538_589
; %bb.588:                              ;   in Loop: Header=BB1538_558 Depth=2
	s_wait_dscnt 0x0
	v_bcnt_u32_b32 v20, v20, v125
	ds_store_b32 v128, v20 offset:1056
.LBB1538_589:                           ;   in Loop: Header=BB1538_558 Depth=2
	s_wait_alu 0xfffe
	s_or_b32 exec_lo, exec_lo, s15
	; wave barrier
	s_wait_loadcnt_dscnt 0x0
	s_barrier_signal -1
	s_barrier_wait -1
	global_inv scope:SCOPE_SE
	ds_load_2addr_b32 v[26:27], v97 offset1:1
	ds_load_2addr_b32 v[24:25], v98 offset1:1
	;; [unrolled: 1-line block ×4, first 2 shown]
	ds_load_b32 v129, v45 offset:1088
	s_wait_dscnt 0x3
	v_add3_u32 v130, v27, v26, v24
	s_wait_dscnt 0x2
	s_delay_alu instid0(VALU_DEP_1) | instskip(SKIP_1) | instid1(VALU_DEP_1)
	v_add3_u32 v130, v130, v25, v22
	s_wait_dscnt 0x1
	v_add3_u32 v130, v130, v23, v20
	s_wait_dscnt 0x0
	s_delay_alu instid0(VALU_DEP_1) | instskip(NEXT) | instid1(VALU_DEP_1)
	v_add3_u32 v129, v130, v21, v129
	v_mov_b32_dpp v130, v129 row_shr:1 row_mask:0xf bank_mask:0xf
	s_delay_alu instid0(VALU_DEP_1) | instskip(NEXT) | instid1(VALU_DEP_1)
	v_cndmask_b32_e64 v130, v130, 0, s0
	v_add_nc_u32_e32 v129, v130, v129
	s_delay_alu instid0(VALU_DEP_1) | instskip(NEXT) | instid1(VALU_DEP_1)
	v_mov_b32_dpp v130, v129 row_shr:2 row_mask:0xf bank_mask:0xf
	v_cndmask_b32_e64 v130, 0, v130, s1
	s_delay_alu instid0(VALU_DEP_1) | instskip(NEXT) | instid1(VALU_DEP_1)
	v_add_nc_u32_e32 v129, v129, v130
	v_mov_b32_dpp v130, v129 row_shr:4 row_mask:0xf bank_mask:0xf
	s_delay_alu instid0(VALU_DEP_1) | instskip(NEXT) | instid1(VALU_DEP_1)
	v_cndmask_b32_e64 v130, 0, v130, s9
	v_add_nc_u32_e32 v129, v129, v130
	s_delay_alu instid0(VALU_DEP_1) | instskip(NEXT) | instid1(VALU_DEP_1)
	v_mov_b32_dpp v130, v129 row_shr:8 row_mask:0xf bank_mask:0xf
	v_cndmask_b32_e64 v130, 0, v130, s10
	s_delay_alu instid0(VALU_DEP_1) | instskip(SKIP_3) | instid1(VALU_DEP_1)
	v_add_nc_u32_e32 v129, v129, v130
	ds_swizzle_b32 v130, v129 offset:swizzle(BROADCAST,32,15)
	s_wait_dscnt 0x0
	v_cndmask_b32_e64 v130, v130, 0, s11
	v_add_nc_u32_e32 v129, v129, v130
	s_and_saveexec_b32 s15, s3
; %bb.590:                              ;   in Loop: Header=BB1538_558 Depth=2
	ds_store_b32 v38, v129 offset:1024
; %bb.591:                              ;   in Loop: Header=BB1538_558 Depth=2
	s_wait_alu 0xfffe
	s_or_b32 exec_lo, exec_lo, s15
	s_wait_loadcnt_dscnt 0x0
	s_barrier_signal -1
	s_barrier_wait -1
	global_inv scope:SCOPE_SE
	s_and_saveexec_b32 s15, s4
	s_cbranch_execz .LBB1538_593
; %bb.592:                              ;   in Loop: Header=BB1538_558 Depth=2
	v_add_nc_u32_e32 v130, v45, v46
	ds_load_b32 v131, v130 offset:1024
	s_wait_dscnt 0x0
	v_mov_b32_dpp v132, v131 row_shr:1 row_mask:0xf bank_mask:0xf
	s_delay_alu instid0(VALU_DEP_1) | instskip(NEXT) | instid1(VALU_DEP_1)
	v_cndmask_b32_e64 v132, v132, 0, s12
	v_add_nc_u32_e32 v131, v132, v131
	s_delay_alu instid0(VALU_DEP_1) | instskip(NEXT) | instid1(VALU_DEP_1)
	v_mov_b32_dpp v132, v131 row_shr:2 row_mask:0xf bank_mask:0xf
	v_cndmask_b32_e64 v132, 0, v132, s13
	s_delay_alu instid0(VALU_DEP_1) | instskip(NEXT) | instid1(VALU_DEP_1)
	v_add_nc_u32_e32 v131, v131, v132
	v_mov_b32_dpp v132, v131 row_shr:4 row_mask:0xf bank_mask:0xf
	s_delay_alu instid0(VALU_DEP_1) | instskip(NEXT) | instid1(VALU_DEP_1)
	v_cndmask_b32_e64 v132, 0, v132, s14
	v_add_nc_u32_e32 v131, v131, v132
	ds_store_b32 v130, v131 offset:1024
.LBB1538_593:                           ;   in Loop: Header=BB1538_558 Depth=2
	s_wait_alu 0xfffe
	s_or_b32 exec_lo, exec_lo, s15
	v_mov_b32_e32 v130, 0
	s_wait_loadcnt_dscnt 0x0
	s_barrier_signal -1
	s_barrier_wait -1
	global_inv scope:SCOPE_SE
	s_and_saveexec_b32 s15, s5
; %bb.594:                              ;   in Loop: Header=BB1538_558 Depth=2
	ds_load_b32 v130, v38 offset:1020
; %bb.595:                              ;   in Loop: Header=BB1538_558 Depth=2
	s_wait_alu 0xfffe
	s_or_b32 exec_lo, exec_lo, s15
	s_wait_dscnt 0x0
	v_add_nc_u32_e32 v129, v130, v129
	ds_bpermute_b32 v129, v80, v129
	s_wait_dscnt 0x0
	v_cndmask_b32_e64 v129, v129, v130, s8
	s_delay_alu instid0(VALU_DEP_1) | instskip(NEXT) | instid1(VALU_DEP_1)
	v_cndmask_b32_e64 v129, v129, 0, s6
	v_add_nc_u32_e32 v26, v129, v26
	s_delay_alu instid0(VALU_DEP_1) | instskip(NEXT) | instid1(VALU_DEP_1)
	v_add_nc_u32_e32 v27, v26, v27
	v_add_nc_u32_e32 v24, v27, v24
	s_delay_alu instid0(VALU_DEP_1) | instskip(NEXT) | instid1(VALU_DEP_1)
	v_add_nc_u32_e32 v25, v24, v25
	;; [unrolled: 3-line block ×3, first 2 shown]
	v_add_nc_u32_e32 v20, v23, v20
	s_delay_alu instid0(VALU_DEP_1)
	v_add_nc_u32_e32 v21, v20, v21
	ds_store_2addr_b32 v100, v23, v20 offset1:1
	ds_store_2addr_b32 v97, v129, v26 offset1:1
	;; [unrolled: 1-line block ×4, first 2 shown]
	ds_store_b32 v45, v21 offset:1088
	s_wait_loadcnt_dscnt 0x0
	s_barrier_signal -1
	s_barrier_wait -1
	global_inv scope:SCOPE_SE
	ds_load_b32 v20, v102 offset:1056
	ds_load_b32 v21, v106 offset:1056
	;; [unrolled: 1-line block ×9, first 2 shown]
	v_mov_b32_e32 v22, 0x800
	s_and_saveexec_b32 s15, s7
; %bb.596:                              ;   in Loop: Header=BB1538_558 Depth=2
	ds_load_b32 v22, v45 offset:1092
; %bb.597:                              ;   in Loop: Header=BB1538_558 Depth=2
	s_wait_alu 0xfffe
	s_or_b32 exec_lo, exec_lo, s15
	s_wait_loadcnt_dscnt 0x0
	s_barrier_signal -1
	s_barrier_wait -1
	global_inv scope:SCOPE_SE
	s_and_saveexec_b32 s15, s2
	s_cbranch_execz .LBB1538_599
; %bb.598:                              ;   in Loop: Header=BB1538_558 Depth=2
	ds_load_b32 v27, v28
	s_wait_dscnt 0x0
	v_sub_nc_u32_e32 v26, v27, v26
	ds_store_b32 v28, v26
.LBB1538_599:                           ;   in Loop: Header=BB1538_558 Depth=2
	s_wait_alu 0xfffe
	s_or_b32 exec_lo, exec_lo, s15
	v_add_nc_u32_e32 v98, v20, v95
	v_add3_u32 v97, v103, v101, v21
	v_add3_u32 v95, v107, v105, v23
	;; [unrolled: 1-line block ×7, first 2 shown]
	v_cmp_lt_u32_e64 s19, v1, v2
	ds_store_b8 v98, v94 offset:1024
	ds_store_b8 v97, v96 offset:1024
	;; [unrolled: 1-line block ×8, first 2 shown]
	s_wait_loadcnt_dscnt 0x0
	s_barrier_signal -1
	s_barrier_wait -1
	global_inv scope:SCOPE_SE
	s_and_saveexec_b32 s15, s19
	s_cbranch_execnz .LBB1538_636
; %bb.600:                              ;   in Loop: Header=BB1538_558 Depth=2
	s_wait_alu 0xfffe
	s_or_b32 exec_lo, exec_lo, s15
	v_cmp_lt_u32_e64 s21, v29, v2
	s_and_saveexec_b32 s15, s21
	s_cbranch_execnz .LBB1538_637
.LBB1538_601:                           ;   in Loop: Header=BB1538_558 Depth=2
	s_wait_alu 0xfffe
	s_or_b32 exec_lo, exec_lo, s15
	v_cmp_lt_u32_e64 s20, v30, v2
	s_and_saveexec_b32 s15, s20
	s_cbranch_execnz .LBB1538_638
.LBB1538_602:                           ;   in Loop: Header=BB1538_558 Depth=2
	s_wait_alu 0xfffe
	s_or_b32 exec_lo, exec_lo, s15
	v_cmp_lt_u32_e64 s18, v31, v2
	s_and_saveexec_b32 s15, s18
	s_cbranch_execnz .LBB1538_639
.LBB1538_603:                           ;   in Loop: Header=BB1538_558 Depth=2
	s_wait_alu 0xfffe
	s_or_b32 exec_lo, exec_lo, s15
	v_cmp_lt_u32_e64 s17, v34, v2
	s_and_saveexec_b32 s15, s17
	s_cbranch_execnz .LBB1538_640
.LBB1538_604:                           ;   in Loop: Header=BB1538_558 Depth=2
	s_wait_alu 0xfffe
	s_or_b32 exec_lo, exec_lo, s15
	v_cmp_lt_u32_e64 s16, v35, v2
	s_and_saveexec_b32 s15, s16
	s_cbranch_execnz .LBB1538_641
.LBB1538_605:                           ;   in Loop: Header=BB1538_558 Depth=2
	s_wait_alu 0xfffe
	s_or_b32 exec_lo, exec_lo, s15
	v_cmp_lt_u32_e64 s15, v36, v2
	s_and_saveexec_b32 s22, s15
	s_cbranch_execnz .LBB1538_642
.LBB1538_606:                           ;   in Loop: Header=BB1538_558 Depth=2
	s_wait_alu 0xfffe
	s_or_b32 exec_lo, exec_lo, s22
	v_cmp_lt_u32_e32 vcc_lo, v37, v2
	s_and_saveexec_b32 s22, vcc_lo
	s_cbranch_execz .LBB1538_608
.LBB1538_607:                           ;   in Loop: Header=BB1538_558 Depth=2
	ds_load_u8 v20, v1 offset:2816
	s_wait_dscnt 0x0
	v_and_b32_e32 v21, 1, v20
	v_xor_b32_e32 v20, 1, v20
	s_delay_alu instid0(VALU_DEP_2) | instskip(NEXT) | instid1(VALU_DEP_1)
	v_lshrrev_b32_e32 v21, s45, v21
	v_and_b32_e32 v21, s42, v21
	s_delay_alu instid0(VALU_DEP_1)
	v_lshlrev_b32_e32 v21, 2, v21
	ds_load_b32 v21, v21
	s_wait_dscnt 0x0
	v_add_nc_u32_e32 v21, v21, v37
	global_store_b8 v21, v20, s[40:41]
.LBB1538_608:                           ;   in Loop: Header=BB1538_558 Depth=2
	s_wait_alu 0xfffe
	s_or_b32 exec_lo, exec_lo, s22
	s_lshl_b64 s[48:49], s[30:31], 3
	s_wait_alu 0xfffe
	v_add_co_u32 v20, s22, v81, s48
	s_wait_alu 0xf1ff
	v_add_co_ci_u32_e64 v21, null, s49, v82, s22
	v_cmp_lt_u32_e64 s22, v68, v2
	s_and_saveexec_b32 s30, s22
	s_wait_alu 0xfffe
	s_xor_b32 s22, exec_lo, s30
	s_cbranch_execnz .LBB1538_643
; %bb.609:                              ;   in Loop: Header=BB1538_558 Depth=2
	s_wait_alu 0xfffe
	s_or_b32 exec_lo, exec_lo, s22
	s_delay_alu instid0(SALU_CYCLE_1)
	s_mov_b32 s30, exec_lo
	v_cmpx_lt_u32_e64 v71, v2
	s_cbranch_execnz .LBB1538_644
.LBB1538_610:                           ;   in Loop: Header=BB1538_558 Depth=2
	s_wait_alu 0xfffe
	s_or_b32 exec_lo, exec_lo, s30
	s_delay_alu instid0(SALU_CYCLE_1)
	s_mov_b32 s30, exec_lo
	v_cmpx_lt_u32_e64 v72, v2
	s_cbranch_execnz .LBB1538_645
.LBB1538_611:                           ;   in Loop: Header=BB1538_558 Depth=2
	s_wait_alu 0xfffe
	s_or_b32 exec_lo, exec_lo, s30
	s_delay_alu instid0(SALU_CYCLE_1)
	s_mov_b32 s30, exec_lo
	v_cmpx_lt_u32_e64 v73, v2
	s_cbranch_execnz .LBB1538_646
.LBB1538_612:                           ;   in Loop: Header=BB1538_558 Depth=2
	s_wait_alu 0xfffe
	s_or_b32 exec_lo, exec_lo, s30
	s_delay_alu instid0(SALU_CYCLE_1)
	s_mov_b32 s30, exec_lo
	v_cmpx_lt_u32_e64 v74, v2
	s_cbranch_execnz .LBB1538_647
.LBB1538_613:                           ;   in Loop: Header=BB1538_558 Depth=2
	s_wait_alu 0xfffe
	s_or_b32 exec_lo, exec_lo, s30
	s_delay_alu instid0(SALU_CYCLE_1)
	s_mov_b32 s30, exec_lo
	v_cmpx_lt_u32_e64 v75, v2
	s_cbranch_execnz .LBB1538_648
.LBB1538_614:                           ;   in Loop: Header=BB1538_558 Depth=2
	s_wait_alu 0xfffe
	s_or_b32 exec_lo, exec_lo, s30
	s_delay_alu instid0(SALU_CYCLE_1)
	s_mov_b32 s30, exec_lo
	v_cmpx_lt_u32_e64 v76, v2
	s_cbranch_execnz .LBB1538_649
.LBB1538_615:                           ;   in Loop: Header=BB1538_558 Depth=2
	s_wait_alu 0xfffe
	s_or_b32 exec_lo, exec_lo, s30
	s_delay_alu instid0(SALU_CYCLE_1)
	s_mov_b32 s30, exec_lo
	v_cmpx_lt_u32_e64 v77, v2
	s_cbranch_execnz .LBB1538_650
.LBB1538_616:                           ;   in Loop: Header=BB1538_558 Depth=2
	s_wait_alu 0xfffe
	s_or_b32 exec_lo, exec_lo, s30
	s_and_saveexec_b32 s22, s19
	s_cbranch_execnz .LBB1538_651
.LBB1538_617:                           ;   in Loop: Header=BB1538_558 Depth=2
	s_wait_alu 0xfffe
	s_or_b32 exec_lo, exec_lo, s22
	s_and_saveexec_b32 s22, s21
	s_cbranch_execnz .LBB1538_652
.LBB1538_618:                           ;   in Loop: Header=BB1538_558 Depth=2
	s_wait_alu 0xfffe
	s_or_b32 exec_lo, exec_lo, s22
	s_and_saveexec_b32 s22, s20
	s_cbranch_execnz .LBB1538_653
.LBB1538_619:                           ;   in Loop: Header=BB1538_558 Depth=2
	s_wait_alu 0xfffe
	s_or_b32 exec_lo, exec_lo, s22
	s_and_saveexec_b32 s22, s18
	s_cbranch_execnz .LBB1538_654
.LBB1538_620:                           ;   in Loop: Header=BB1538_558 Depth=2
	s_wait_alu 0xfffe
	s_or_b32 exec_lo, exec_lo, s22
	s_and_saveexec_b32 s22, s17
	s_cbranch_execnz .LBB1538_655
.LBB1538_621:                           ;   in Loop: Header=BB1538_558 Depth=2
	s_wait_alu 0xfffe
	s_or_b32 exec_lo, exec_lo, s22
	s_and_saveexec_b32 s22, s16
	s_cbranch_execnz .LBB1538_656
.LBB1538_622:                           ;   in Loop: Header=BB1538_558 Depth=2
	s_wait_alu 0xfffe
	s_or_b32 exec_lo, exec_lo, s22
	s_and_saveexec_b32 s22, s15
	s_cbranch_execnz .LBB1538_657
.LBB1538_623:                           ;   in Loop: Header=BB1538_558 Depth=2
	s_wait_alu 0xfffe
	s_or_b32 exec_lo, exec_lo, s22
	s_and_saveexec_b32 s22, vcc_lo
	s_cbranch_execz .LBB1538_625
.LBB1538_624:                           ;   in Loop: Header=BB1538_558 Depth=2
	ds_load_u8 v2, v1 offset:2816
	s_wait_dscnt 0x0
	v_lshrrev_b32_e32 v2, s45, v2
	s_delay_alu instid0(VALU_DEP_1)
	v_and_b32_e32 v86, s42, v2
.LBB1538_625:                           ;   in Loop: Header=BB1538_558 Depth=2
	s_wait_alu 0xfffe
	s_or_b32 exec_lo, exec_lo, s22
	v_lshlrev_b32_e32 v2, 3, v98
	v_lshlrev_b32_e32 v20, 3, v97
	;; [unrolled: 1-line block ×3, first 2 shown]
	s_wait_loadcnt 0x0
	s_wait_storecnt 0x0
	s_barrier_signal -1
	s_barrier_wait -1
	global_inv scope:SCOPE_SE
	ds_store_b64 v2, v[18:19] offset:1024
	ds_store_b64 v20, v[16:17] offset:1024
	;; [unrolled: 1-line block ×3, first 2 shown]
	v_lshlrev_b32_e32 v2, 3, v27
	v_lshlrev_b32_e32 v20, 3, v26
	;; [unrolled: 1-line block ×5, first 2 shown]
	ds_store_b64 v2, v[12:13] offset:1024
	ds_store_b64 v20, v[10:11] offset:1024
	;; [unrolled: 1-line block ×5, first 2 shown]
	v_add_nc_u32_e32 v20, v1, v47
	s_wait_loadcnt_dscnt 0x0
	s_barrier_signal -1
	s_barrier_wait -1
	global_inv scope:SCOPE_SE
	s_and_saveexec_b32 s22, s19
	s_cbranch_execnz .LBB1538_658
; %bb.626:                              ;   in Loop: Header=BB1538_558 Depth=2
	s_wait_alu 0xfffe
	s_or_b32 exec_lo, exec_lo, s22
	s_and_saveexec_b32 s22, s21
	s_cbranch_execnz .LBB1538_659
.LBB1538_627:                           ;   in Loop: Header=BB1538_558 Depth=2
	s_wait_alu 0xfffe
	s_or_b32 exec_lo, exec_lo, s22
	s_and_saveexec_b32 s21, s20
	s_cbranch_execnz .LBB1538_660
.LBB1538_628:                           ;   in Loop: Header=BB1538_558 Depth=2
	s_wait_alu 0xfffe
	s_or_b32 exec_lo, exec_lo, s21
	s_and_saveexec_b32 s19, s18
	s_cbranch_execnz .LBB1538_661
.LBB1538_629:                           ;   in Loop: Header=BB1538_558 Depth=2
	s_wait_alu 0xfffe
	s_or_b32 exec_lo, exec_lo, s19
	s_and_saveexec_b32 s18, s17
	s_cbranch_execnz .LBB1538_662
.LBB1538_630:                           ;   in Loop: Header=BB1538_558 Depth=2
	s_wait_alu 0xfffe
	s_or_b32 exec_lo, exec_lo, s18
	s_and_saveexec_b32 s17, s16
	s_cbranch_execnz .LBB1538_663
.LBB1538_631:                           ;   in Loop: Header=BB1538_558 Depth=2
	s_wait_alu 0xfffe
	s_or_b32 exec_lo, exec_lo, s17
	s_and_saveexec_b32 s16, s15
	s_cbranch_execnz .LBB1538_664
.LBB1538_632:                           ;   in Loop: Header=BB1538_558 Depth=2
	s_wait_alu 0xfffe
	s_or_b32 exec_lo, exec_lo, s16
	s_and_saveexec_b32 s15, vcc_lo
	s_cbranch_execz .LBB1538_634
.LBB1538_633:                           ;   in Loop: Header=BB1538_558 Depth=2
	v_lshlrev_b32_e32 v2, 2, v86
	ds_load_b32 v2, v2
	ds_load_b64 v[20:21], v20 offset:15360
	s_wait_dscnt 0x1
	v_add_nc_u32_e32 v2, v2, v37
	s_delay_alu instid0(VALU_DEP_1) | instskip(NEXT) | instid1(VALU_DEP_1)
	v_lshlrev_b64_e32 v[23:24], 3, v[2:3]
	v_add_co_u32 v23, vcc_lo, s26, v23
	s_wait_alu 0xfffd
	s_delay_alu instid0(VALU_DEP_2)
	v_add_co_ci_u32_e64 v24, null, s27, v24, vcc_lo
	s_wait_dscnt 0x0
	global_store_b64 v[23:24], v[20:21], off
.LBB1538_634:                           ;   in Loop: Header=BB1538_558 Depth=2
	s_wait_alu 0xfffe
	s_or_b32 exec_lo, exec_lo, s15
	s_wait_loadcnt 0x0
	s_wait_storecnt 0x0
	s_barrier_signal -1
	s_barrier_wait -1
	global_inv scope:SCOPE_SE
	s_and_saveexec_b32 s15, s2
	s_cbranch_execz .LBB1538_557
; %bb.635:                              ;   in Loop: Header=BB1538_558 Depth=2
	ds_load_b32 v2, v28
	s_wait_dscnt 0x0
	v_add_nc_u32_e32 v2, v2, v22
	ds_store_b32 v28, v2
	s_branch .LBB1538_557
.LBB1538_636:                           ;   in Loop: Header=BB1538_558 Depth=2
	ds_load_u8 v20, v1 offset:1024
	s_wait_dscnt 0x0
	v_and_b32_e32 v21, 1, v20
	v_xor_b32_e32 v20, 1, v20
	s_delay_alu instid0(VALU_DEP_2) | instskip(NEXT) | instid1(VALU_DEP_1)
	v_lshrrev_b32_e32 v21, s45, v21
	v_and_b32_e32 v21, s42, v21
	s_delay_alu instid0(VALU_DEP_1)
	v_lshlrev_b32_e32 v21, 2, v21
	ds_load_b32 v21, v21
	s_wait_dscnt 0x0
	v_add_nc_u32_e32 v21, v21, v1
	global_store_b8 v21, v20, s[40:41]
	s_wait_alu 0xfffe
	s_or_b32 exec_lo, exec_lo, s15
	v_cmp_lt_u32_e64 s21, v29, v2
	s_and_saveexec_b32 s15, s21
	s_cbranch_execz .LBB1538_601
.LBB1538_637:                           ;   in Loop: Header=BB1538_558 Depth=2
	ds_load_u8 v20, v1 offset:1280
	s_wait_dscnt 0x0
	v_and_b32_e32 v21, 1, v20
	v_xor_b32_e32 v20, 1, v20
	s_delay_alu instid0(VALU_DEP_2) | instskip(NEXT) | instid1(VALU_DEP_1)
	v_lshrrev_b32_e32 v21, s45, v21
	v_and_b32_e32 v21, s42, v21
	s_delay_alu instid0(VALU_DEP_1)
	v_lshlrev_b32_e32 v21, 2, v21
	ds_load_b32 v21, v21
	s_wait_dscnt 0x0
	v_add_nc_u32_e32 v21, v21, v29
	global_store_b8 v21, v20, s[40:41]
	s_wait_alu 0xfffe
	s_or_b32 exec_lo, exec_lo, s15
	v_cmp_lt_u32_e64 s20, v30, v2
	s_and_saveexec_b32 s15, s20
	s_cbranch_execz .LBB1538_602
.LBB1538_638:                           ;   in Loop: Header=BB1538_558 Depth=2
	ds_load_u8 v20, v1 offset:1536
	s_wait_dscnt 0x0
	v_and_b32_e32 v21, 1, v20
	v_xor_b32_e32 v20, 1, v20
	s_delay_alu instid0(VALU_DEP_2) | instskip(NEXT) | instid1(VALU_DEP_1)
	v_lshrrev_b32_e32 v21, s45, v21
	v_and_b32_e32 v21, s42, v21
	s_delay_alu instid0(VALU_DEP_1)
	v_lshlrev_b32_e32 v21, 2, v21
	ds_load_b32 v21, v21
	s_wait_dscnt 0x0
	v_add_nc_u32_e32 v21, v21, v30
	global_store_b8 v21, v20, s[40:41]
	s_wait_alu 0xfffe
	s_or_b32 exec_lo, exec_lo, s15
	v_cmp_lt_u32_e64 s18, v31, v2
	s_and_saveexec_b32 s15, s18
	s_cbranch_execz .LBB1538_603
.LBB1538_639:                           ;   in Loop: Header=BB1538_558 Depth=2
	ds_load_u8 v20, v1 offset:1792
	s_wait_dscnt 0x0
	v_and_b32_e32 v21, 1, v20
	v_xor_b32_e32 v20, 1, v20
	s_delay_alu instid0(VALU_DEP_2) | instskip(NEXT) | instid1(VALU_DEP_1)
	v_lshrrev_b32_e32 v21, s45, v21
	v_and_b32_e32 v21, s42, v21
	s_delay_alu instid0(VALU_DEP_1)
	v_lshlrev_b32_e32 v21, 2, v21
	ds_load_b32 v21, v21
	s_wait_dscnt 0x0
	v_add_nc_u32_e32 v21, v21, v31
	global_store_b8 v21, v20, s[40:41]
	s_wait_alu 0xfffe
	s_or_b32 exec_lo, exec_lo, s15
	v_cmp_lt_u32_e64 s17, v34, v2
	s_and_saveexec_b32 s15, s17
	s_cbranch_execz .LBB1538_604
.LBB1538_640:                           ;   in Loop: Header=BB1538_558 Depth=2
	ds_load_u8 v20, v1 offset:2048
	s_wait_dscnt 0x0
	v_and_b32_e32 v21, 1, v20
	v_xor_b32_e32 v20, 1, v20
	s_delay_alu instid0(VALU_DEP_2) | instskip(NEXT) | instid1(VALU_DEP_1)
	v_lshrrev_b32_e32 v21, s45, v21
	v_and_b32_e32 v21, s42, v21
	s_delay_alu instid0(VALU_DEP_1)
	v_lshlrev_b32_e32 v21, 2, v21
	ds_load_b32 v21, v21
	s_wait_dscnt 0x0
	v_add_nc_u32_e32 v21, v21, v34
	global_store_b8 v21, v20, s[40:41]
	s_wait_alu 0xfffe
	s_or_b32 exec_lo, exec_lo, s15
	v_cmp_lt_u32_e64 s16, v35, v2
	s_and_saveexec_b32 s15, s16
	s_cbranch_execz .LBB1538_605
.LBB1538_641:                           ;   in Loop: Header=BB1538_558 Depth=2
	ds_load_u8 v20, v1 offset:2304
	s_wait_dscnt 0x0
	v_and_b32_e32 v21, 1, v20
	v_xor_b32_e32 v20, 1, v20
	s_delay_alu instid0(VALU_DEP_2) | instskip(NEXT) | instid1(VALU_DEP_1)
	v_lshrrev_b32_e32 v21, s45, v21
	v_and_b32_e32 v21, s42, v21
	s_delay_alu instid0(VALU_DEP_1)
	v_lshlrev_b32_e32 v21, 2, v21
	ds_load_b32 v21, v21
	s_wait_dscnt 0x0
	v_add_nc_u32_e32 v21, v21, v35
	global_store_b8 v21, v20, s[40:41]
	s_wait_alu 0xfffe
	s_or_b32 exec_lo, exec_lo, s15
	v_cmp_lt_u32_e64 s15, v36, v2
	s_and_saveexec_b32 s22, s15
	s_cbranch_execz .LBB1538_606
.LBB1538_642:                           ;   in Loop: Header=BB1538_558 Depth=2
	ds_load_u8 v20, v1 offset:2560
	s_wait_dscnt 0x0
	v_and_b32_e32 v21, 1, v20
	v_xor_b32_e32 v20, 1, v20
	s_delay_alu instid0(VALU_DEP_2) | instskip(NEXT) | instid1(VALU_DEP_1)
	v_lshrrev_b32_e32 v21, s45, v21
	v_and_b32_e32 v21, s42, v21
	s_delay_alu instid0(VALU_DEP_1)
	v_lshlrev_b32_e32 v21, 2, v21
	ds_load_b32 v21, v21
	s_wait_dscnt 0x0
	v_add_nc_u32_e32 v21, v21, v36
	global_store_b8 v21, v20, s[40:41]
	s_wait_alu 0xfffe
	s_or_b32 exec_lo, exec_lo, s22
	v_cmp_lt_u32_e32 vcc_lo, v37, v2
	s_and_saveexec_b32 s22, vcc_lo
	s_cbranch_execnz .LBB1538_607
	s_branch .LBB1538_608
.LBB1538_643:                           ;   in Loop: Header=BB1538_558 Depth=2
	global_load_b64 v[18:19], v[20:21], off
	s_wait_alu 0xfffe
	s_or_b32 exec_lo, exec_lo, s22
	s_delay_alu instid0(SALU_CYCLE_1)
	s_mov_b32 s30, exec_lo
	v_cmpx_lt_u32_e64 v71, v2
	s_cbranch_execz .LBB1538_610
.LBB1538_644:                           ;   in Loop: Header=BB1538_558 Depth=2
	global_load_b64 v[16:17], v[20:21], off offset:256
	s_wait_alu 0xfffe
	s_or_b32 exec_lo, exec_lo, s30
	s_delay_alu instid0(SALU_CYCLE_1)
	s_mov_b32 s30, exec_lo
	v_cmpx_lt_u32_e64 v72, v2
	s_cbranch_execz .LBB1538_611
.LBB1538_645:                           ;   in Loop: Header=BB1538_558 Depth=2
	global_load_b64 v[14:15], v[20:21], off offset:512
	s_wait_alu 0xfffe
	s_or_b32 exec_lo, exec_lo, s30
	s_delay_alu instid0(SALU_CYCLE_1)
	s_mov_b32 s30, exec_lo
	v_cmpx_lt_u32_e64 v73, v2
	s_cbranch_execz .LBB1538_612
.LBB1538_646:                           ;   in Loop: Header=BB1538_558 Depth=2
	global_load_b64 v[12:13], v[20:21], off offset:768
	s_wait_alu 0xfffe
	s_or_b32 exec_lo, exec_lo, s30
	s_delay_alu instid0(SALU_CYCLE_1)
	s_mov_b32 s30, exec_lo
	v_cmpx_lt_u32_e64 v74, v2
	s_cbranch_execz .LBB1538_613
.LBB1538_647:                           ;   in Loop: Header=BB1538_558 Depth=2
	global_load_b64 v[10:11], v[20:21], off offset:1024
	s_wait_alu 0xfffe
	s_or_b32 exec_lo, exec_lo, s30
	s_delay_alu instid0(SALU_CYCLE_1)
	s_mov_b32 s30, exec_lo
	v_cmpx_lt_u32_e64 v75, v2
	s_cbranch_execz .LBB1538_614
.LBB1538_648:                           ;   in Loop: Header=BB1538_558 Depth=2
	global_load_b64 v[8:9], v[20:21], off offset:1280
	s_wait_alu 0xfffe
	s_or_b32 exec_lo, exec_lo, s30
	s_delay_alu instid0(SALU_CYCLE_1)
	s_mov_b32 s30, exec_lo
	v_cmpx_lt_u32_e64 v76, v2
	s_cbranch_execz .LBB1538_615
.LBB1538_649:                           ;   in Loop: Header=BB1538_558 Depth=2
	global_load_b64 v[6:7], v[20:21], off offset:1536
	s_wait_alu 0xfffe
	s_or_b32 exec_lo, exec_lo, s30
	s_delay_alu instid0(SALU_CYCLE_1)
	s_mov_b32 s30, exec_lo
	v_cmpx_lt_u32_e64 v77, v2
	s_cbranch_execz .LBB1538_616
.LBB1538_650:                           ;   in Loop: Header=BB1538_558 Depth=2
	global_load_b64 v[4:5], v[20:21], off offset:1792
	s_wait_alu 0xfffe
	s_or_b32 exec_lo, exec_lo, s30
	s_and_saveexec_b32 s22, s19
	s_cbranch_execz .LBB1538_617
.LBB1538_651:                           ;   in Loop: Header=BB1538_558 Depth=2
	ds_load_u8 v2, v1 offset:1024
	s_wait_dscnt 0x0
	v_lshrrev_b32_e32 v2, s45, v2
	s_delay_alu instid0(VALU_DEP_1)
	v_and_b32_e32 v93, s42, v2
	s_wait_alu 0xfffe
	s_or_b32 exec_lo, exec_lo, s22
	s_and_saveexec_b32 s22, s21
	s_cbranch_execz .LBB1538_618
.LBB1538_652:                           ;   in Loop: Header=BB1538_558 Depth=2
	ds_load_u8 v2, v1 offset:1280
	s_wait_dscnt 0x0
	v_lshrrev_b32_e32 v2, s45, v2
	s_delay_alu instid0(VALU_DEP_1)
	v_and_b32_e32 v92, s42, v2
	s_wait_alu 0xfffe
	s_or_b32 exec_lo, exec_lo, s22
	s_and_saveexec_b32 s22, s20
	s_cbranch_execz .LBB1538_619
.LBB1538_653:                           ;   in Loop: Header=BB1538_558 Depth=2
	ds_load_u8 v2, v1 offset:1536
	s_wait_dscnt 0x0
	v_lshrrev_b32_e32 v2, s45, v2
	s_delay_alu instid0(VALU_DEP_1)
	v_and_b32_e32 v91, s42, v2
	s_wait_alu 0xfffe
	s_or_b32 exec_lo, exec_lo, s22
	s_and_saveexec_b32 s22, s18
	s_cbranch_execz .LBB1538_620
.LBB1538_654:                           ;   in Loop: Header=BB1538_558 Depth=2
	ds_load_u8 v2, v1 offset:1792
	s_wait_dscnt 0x0
	v_lshrrev_b32_e32 v2, s45, v2
	s_delay_alu instid0(VALU_DEP_1)
	v_and_b32_e32 v90, s42, v2
	s_wait_alu 0xfffe
	s_or_b32 exec_lo, exec_lo, s22
	s_and_saveexec_b32 s22, s17
	s_cbranch_execz .LBB1538_621
.LBB1538_655:                           ;   in Loop: Header=BB1538_558 Depth=2
	ds_load_u8 v2, v1 offset:2048
	s_wait_dscnt 0x0
	v_lshrrev_b32_e32 v2, s45, v2
	s_delay_alu instid0(VALU_DEP_1)
	v_and_b32_e32 v89, s42, v2
	s_wait_alu 0xfffe
	s_or_b32 exec_lo, exec_lo, s22
	s_and_saveexec_b32 s22, s16
	s_cbranch_execz .LBB1538_622
.LBB1538_656:                           ;   in Loop: Header=BB1538_558 Depth=2
	ds_load_u8 v2, v1 offset:2304
	s_wait_dscnt 0x0
	v_lshrrev_b32_e32 v2, s45, v2
	s_delay_alu instid0(VALU_DEP_1)
	v_and_b32_e32 v88, s42, v2
	s_wait_alu 0xfffe
	s_or_b32 exec_lo, exec_lo, s22
	s_and_saveexec_b32 s22, s15
	s_cbranch_execz .LBB1538_623
.LBB1538_657:                           ;   in Loop: Header=BB1538_558 Depth=2
	ds_load_u8 v2, v1 offset:2560
	s_wait_dscnt 0x0
	v_lshrrev_b32_e32 v2, s45, v2
	s_delay_alu instid0(VALU_DEP_1)
	v_and_b32_e32 v87, s42, v2
	s_wait_alu 0xfffe
	s_or_b32 exec_lo, exec_lo, s22
	s_and_saveexec_b32 s22, vcc_lo
	s_cbranch_execnz .LBB1538_624
	s_branch .LBB1538_625
.LBB1538_658:                           ;   in Loop: Header=BB1538_558 Depth=2
	v_lshlrev_b32_e32 v2, 2, v93
	ds_load_b32 v2, v2
	ds_load_b64 v[23:24], v20 offset:1024
	s_wait_dscnt 0x1
	v_add_nc_u32_e32 v2, v2, v1
	s_delay_alu instid0(VALU_DEP_1) | instskip(NEXT) | instid1(VALU_DEP_1)
	v_lshlrev_b64_e32 v[25:26], 3, v[2:3]
	v_add_co_u32 v25, s19, s26, v25
	s_wait_alu 0xf1ff
	s_delay_alu instid0(VALU_DEP_2)
	v_add_co_ci_u32_e64 v26, null, s27, v26, s19
	s_wait_dscnt 0x0
	global_store_b64 v[25:26], v[23:24], off
	s_wait_alu 0xfffe
	s_or_b32 exec_lo, exec_lo, s22
	s_and_saveexec_b32 s22, s21
	s_cbranch_execz .LBB1538_627
.LBB1538_659:                           ;   in Loop: Header=BB1538_558 Depth=2
	v_lshlrev_b32_e32 v2, 2, v92
	ds_load_b32 v2, v2
	ds_load_b64 v[23:24], v20 offset:3072
	s_wait_dscnt 0x1
	v_add_nc_u32_e32 v2, v2, v29
	s_delay_alu instid0(VALU_DEP_1) | instskip(NEXT) | instid1(VALU_DEP_1)
	v_lshlrev_b64_e32 v[25:26], 3, v[2:3]
	v_add_co_u32 v25, s19, s26, v25
	s_wait_alu 0xf1ff
	s_delay_alu instid0(VALU_DEP_2)
	v_add_co_ci_u32_e64 v26, null, s27, v26, s19
	s_wait_dscnt 0x0
	global_store_b64 v[25:26], v[23:24], off
	s_wait_alu 0xfffe
	s_or_b32 exec_lo, exec_lo, s22
	s_and_saveexec_b32 s21, s20
	s_cbranch_execz .LBB1538_628
.LBB1538_660:                           ;   in Loop: Header=BB1538_558 Depth=2
	v_lshlrev_b32_e32 v2, 2, v91
	ds_load_b32 v2, v2
	ds_load_b64 v[23:24], v20 offset:5120
	s_wait_dscnt 0x1
	v_add_nc_u32_e32 v2, v2, v30
	s_delay_alu instid0(VALU_DEP_1) | instskip(NEXT) | instid1(VALU_DEP_1)
	v_lshlrev_b64_e32 v[25:26], 3, v[2:3]
	v_add_co_u32 v25, s19, s26, v25
	s_wait_alu 0xf1ff
	s_delay_alu instid0(VALU_DEP_2)
	v_add_co_ci_u32_e64 v26, null, s27, v26, s19
	s_wait_dscnt 0x0
	global_store_b64 v[25:26], v[23:24], off
	s_wait_alu 0xfffe
	s_or_b32 exec_lo, exec_lo, s21
	s_and_saveexec_b32 s19, s18
	s_cbranch_execz .LBB1538_629
.LBB1538_661:                           ;   in Loop: Header=BB1538_558 Depth=2
	v_lshlrev_b32_e32 v2, 2, v90
	ds_load_b32 v2, v2
	ds_load_b64 v[23:24], v20 offset:7168
	s_wait_dscnt 0x1
	v_add_nc_u32_e32 v2, v2, v31
	s_delay_alu instid0(VALU_DEP_1) | instskip(NEXT) | instid1(VALU_DEP_1)
	v_lshlrev_b64_e32 v[25:26], 3, v[2:3]
	v_add_co_u32 v25, s18, s26, v25
	s_wait_alu 0xf1ff
	s_delay_alu instid0(VALU_DEP_2)
	v_add_co_ci_u32_e64 v26, null, s27, v26, s18
	s_wait_dscnt 0x0
	global_store_b64 v[25:26], v[23:24], off
	s_wait_alu 0xfffe
	s_or_b32 exec_lo, exec_lo, s19
	s_and_saveexec_b32 s18, s17
	s_cbranch_execz .LBB1538_630
.LBB1538_662:                           ;   in Loop: Header=BB1538_558 Depth=2
	v_lshlrev_b32_e32 v2, 2, v89
	ds_load_b32 v2, v2
	ds_load_b64 v[23:24], v20 offset:9216
	s_wait_dscnt 0x1
	v_add_nc_u32_e32 v2, v2, v34
	s_delay_alu instid0(VALU_DEP_1) | instskip(NEXT) | instid1(VALU_DEP_1)
	v_lshlrev_b64_e32 v[25:26], 3, v[2:3]
	v_add_co_u32 v25, s17, s26, v25
	s_wait_alu 0xf1ff
	s_delay_alu instid0(VALU_DEP_2)
	v_add_co_ci_u32_e64 v26, null, s27, v26, s17
	s_wait_dscnt 0x0
	global_store_b64 v[25:26], v[23:24], off
	s_wait_alu 0xfffe
	s_or_b32 exec_lo, exec_lo, s18
	s_and_saveexec_b32 s17, s16
	s_cbranch_execz .LBB1538_631
.LBB1538_663:                           ;   in Loop: Header=BB1538_558 Depth=2
	v_lshlrev_b32_e32 v2, 2, v88
	ds_load_b32 v2, v2
	ds_load_b64 v[23:24], v20 offset:11264
	s_wait_dscnt 0x1
	v_add_nc_u32_e32 v2, v2, v35
	s_delay_alu instid0(VALU_DEP_1) | instskip(NEXT) | instid1(VALU_DEP_1)
	v_lshlrev_b64_e32 v[25:26], 3, v[2:3]
	v_add_co_u32 v25, s16, s26, v25
	s_wait_alu 0xf1ff
	s_delay_alu instid0(VALU_DEP_2)
	v_add_co_ci_u32_e64 v26, null, s27, v26, s16
	s_wait_dscnt 0x0
	global_store_b64 v[25:26], v[23:24], off
	s_wait_alu 0xfffe
	s_or_b32 exec_lo, exec_lo, s17
	s_and_saveexec_b32 s16, s15
	s_cbranch_execz .LBB1538_632
.LBB1538_664:                           ;   in Loop: Header=BB1538_558 Depth=2
	v_lshlrev_b32_e32 v2, 2, v87
	ds_load_b32 v2, v2
	ds_load_b64 v[23:24], v20 offset:13312
	s_wait_dscnt 0x1
	v_add_nc_u32_e32 v2, v2, v36
	s_delay_alu instid0(VALU_DEP_1) | instskip(NEXT) | instid1(VALU_DEP_1)
	v_lshlrev_b64_e32 v[25:26], 3, v[2:3]
	v_add_co_u32 v25, s15, s26, v25
	s_wait_alu 0xf1ff
	s_delay_alu instid0(VALU_DEP_2)
	v_add_co_ci_u32_e64 v26, null, s27, v26, s15
	s_wait_dscnt 0x0
	global_store_b64 v[25:26], v[23:24], off
	s_wait_alu 0xfffe
	s_or_b32 exec_lo, exec_lo, s16
	s_and_saveexec_b32 s15, vcc_lo
	s_cbranch_execnz .LBB1538_633
	s_branch .LBB1538_634
.LBB1538_665:                           ;   in Loop: Header=BB1538_558 Depth=2
	global_load_u8 v95, v[20:21], off offset:32
	s_wait_alu 0xfffe
	s_or_b32 exec_lo, exec_lo, s15
	s_delay_alu instid0(SALU_CYCLE_1)
	s_mov_b32 s15, exec_lo
	v_cmpx_gt_u32_e64 s43, v72
	s_cbranch_execz .LBB1538_565
.LBB1538_666:                           ;   in Loop: Header=BB1538_558 Depth=2
	global_load_u8 v22, v[20:21], off offset:64
	s_wait_alu 0xfffe
	s_or_b32 exec_lo, exec_lo, s15
	s_delay_alu instid0(SALU_CYCLE_1)
	s_mov_b32 s15, exec_lo
	v_cmpx_gt_u32_e64 s43, v73
	s_cbranch_execz .LBB1538_566
.LBB1538_667:                           ;   in Loop: Header=BB1538_558 Depth=2
	global_load_u8 v26, v[20:21], off offset:96
	s_wait_alu 0xfffe
	s_or_b32 exec_lo, exec_lo, s15
	s_delay_alu instid0(SALU_CYCLE_1)
	s_mov_b32 s15, exec_lo
	v_cmpx_gt_u32_e64 s43, v74
	s_cbranch_execz .LBB1538_567
.LBB1538_668:                           ;   in Loop: Header=BB1538_558 Depth=2
	global_load_u8 v23, v[20:21], off offset:128
	s_wait_alu 0xfffe
	s_or_b32 exec_lo, exec_lo, s15
	s_delay_alu instid0(SALU_CYCLE_1)
	s_mov_b32 s15, exec_lo
	v_cmpx_gt_u32_e64 s43, v75
	s_cbranch_execz .LBB1538_568
.LBB1538_669:                           ;   in Loop: Header=BB1538_558 Depth=2
	global_load_u8 v24, v[20:21], off offset:160
	s_wait_alu 0xfffe
	s_or_b32 exec_lo, exec_lo, s15
	s_delay_alu instid0(SALU_CYCLE_1)
	s_mov_b32 s15, exec_lo
	v_cmpx_gt_u32_e64 s43, v76
	s_cbranch_execnz .LBB1538_569
	s_branch .LBB1538_570
.LBB1538_670:
	s_endpgm
	.section	.rodata,"a",@progbits
	.p2align	6, 0x0
	.amdhsa_kernel _ZN7rocprim17ROCPRIM_400000_NS6detail17trampoline_kernelINS0_14default_configENS1_36segmented_radix_sort_config_selectorIblEEZNS1_25segmented_radix_sort_implIS3_Lb1EPKbPbPKlPlN2at6native12_GLOBAL__N_18offset_tEEE10hipError_tPvRmT1_PNSt15iterator_traitsISK_E10value_typeET2_T3_PNSL_ISQ_E10value_typeET4_jRbjT5_SW_jjP12ihipStream_tbEUlT_E_NS1_11comp_targetILNS1_3genE10ELNS1_11target_archE1201ELNS1_3gpuE5ELNS1_3repE0EEENS1_30default_config_static_selectorELNS0_4arch9wavefront6targetE0EEEvSK_
		.amdhsa_group_segment_fixed_size 17440
		.amdhsa_private_segment_fixed_size 0
		.amdhsa_kernarg_size 352
		.amdhsa_user_sgpr_count 2
		.amdhsa_user_sgpr_dispatch_ptr 0
		.amdhsa_user_sgpr_queue_ptr 0
		.amdhsa_user_sgpr_kernarg_segment_ptr 1
		.amdhsa_user_sgpr_dispatch_id 0
		.amdhsa_user_sgpr_private_segment_size 0
		.amdhsa_wavefront_size32 1
		.amdhsa_uses_dynamic_stack 0
		.amdhsa_enable_private_segment 0
		.amdhsa_system_sgpr_workgroup_id_x 1
		.amdhsa_system_sgpr_workgroup_id_y 1
		.amdhsa_system_sgpr_workgroup_id_z 0
		.amdhsa_system_sgpr_workgroup_info 0
		.amdhsa_system_vgpr_workitem_id 2
		.amdhsa_next_free_vgpr 197
		.amdhsa_next_free_sgpr 50
		.amdhsa_reserve_vcc 1
		.amdhsa_float_round_mode_32 0
		.amdhsa_float_round_mode_16_64 0
		.amdhsa_float_denorm_mode_32 3
		.amdhsa_float_denorm_mode_16_64 3
		.amdhsa_fp16_overflow 0
		.amdhsa_workgroup_processor_mode 1
		.amdhsa_memory_ordered 1
		.amdhsa_forward_progress 1
		.amdhsa_inst_pref_size 255
		.amdhsa_round_robin_scheduling 0
		.amdhsa_exception_fp_ieee_invalid_op 0
		.amdhsa_exception_fp_denorm_src 0
		.amdhsa_exception_fp_ieee_div_zero 0
		.amdhsa_exception_fp_ieee_overflow 0
		.amdhsa_exception_fp_ieee_underflow 0
		.amdhsa_exception_fp_ieee_inexact 0
		.amdhsa_exception_int_div_zero 0
	.end_amdhsa_kernel
	.section	.text._ZN7rocprim17ROCPRIM_400000_NS6detail17trampoline_kernelINS0_14default_configENS1_36segmented_radix_sort_config_selectorIblEEZNS1_25segmented_radix_sort_implIS3_Lb1EPKbPbPKlPlN2at6native12_GLOBAL__N_18offset_tEEE10hipError_tPvRmT1_PNSt15iterator_traitsISK_E10value_typeET2_T3_PNSL_ISQ_E10value_typeET4_jRbjT5_SW_jjP12ihipStream_tbEUlT_E_NS1_11comp_targetILNS1_3genE10ELNS1_11target_archE1201ELNS1_3gpuE5ELNS1_3repE0EEENS1_30default_config_static_selectorELNS0_4arch9wavefront6targetE0EEEvSK_,"axG",@progbits,_ZN7rocprim17ROCPRIM_400000_NS6detail17trampoline_kernelINS0_14default_configENS1_36segmented_radix_sort_config_selectorIblEEZNS1_25segmented_radix_sort_implIS3_Lb1EPKbPbPKlPlN2at6native12_GLOBAL__N_18offset_tEEE10hipError_tPvRmT1_PNSt15iterator_traitsISK_E10value_typeET2_T3_PNSL_ISQ_E10value_typeET4_jRbjT5_SW_jjP12ihipStream_tbEUlT_E_NS1_11comp_targetILNS1_3genE10ELNS1_11target_archE1201ELNS1_3gpuE5ELNS1_3repE0EEENS1_30default_config_static_selectorELNS0_4arch9wavefront6targetE0EEEvSK_,comdat
.Lfunc_end1538:
	.size	_ZN7rocprim17ROCPRIM_400000_NS6detail17trampoline_kernelINS0_14default_configENS1_36segmented_radix_sort_config_selectorIblEEZNS1_25segmented_radix_sort_implIS3_Lb1EPKbPbPKlPlN2at6native12_GLOBAL__N_18offset_tEEE10hipError_tPvRmT1_PNSt15iterator_traitsISK_E10value_typeET2_T3_PNSL_ISQ_E10value_typeET4_jRbjT5_SW_jjP12ihipStream_tbEUlT_E_NS1_11comp_targetILNS1_3genE10ELNS1_11target_archE1201ELNS1_3gpuE5ELNS1_3repE0EEENS1_30default_config_static_selectorELNS0_4arch9wavefront6targetE0EEEvSK_, .Lfunc_end1538-_ZN7rocprim17ROCPRIM_400000_NS6detail17trampoline_kernelINS0_14default_configENS1_36segmented_radix_sort_config_selectorIblEEZNS1_25segmented_radix_sort_implIS3_Lb1EPKbPbPKlPlN2at6native12_GLOBAL__N_18offset_tEEE10hipError_tPvRmT1_PNSt15iterator_traitsISK_E10value_typeET2_T3_PNSL_ISQ_E10value_typeET4_jRbjT5_SW_jjP12ihipStream_tbEUlT_E_NS1_11comp_targetILNS1_3genE10ELNS1_11target_archE1201ELNS1_3gpuE5ELNS1_3repE0EEENS1_30default_config_static_selectorELNS0_4arch9wavefront6targetE0EEEvSK_
                                        ; -- End function
	.set _ZN7rocprim17ROCPRIM_400000_NS6detail17trampoline_kernelINS0_14default_configENS1_36segmented_radix_sort_config_selectorIblEEZNS1_25segmented_radix_sort_implIS3_Lb1EPKbPbPKlPlN2at6native12_GLOBAL__N_18offset_tEEE10hipError_tPvRmT1_PNSt15iterator_traitsISK_E10value_typeET2_T3_PNSL_ISQ_E10value_typeET4_jRbjT5_SW_jjP12ihipStream_tbEUlT_E_NS1_11comp_targetILNS1_3genE10ELNS1_11target_archE1201ELNS1_3gpuE5ELNS1_3repE0EEENS1_30default_config_static_selectorELNS0_4arch9wavefront6targetE0EEEvSK_.num_vgpr, max(133, .L_ZN7rocprim17ROCPRIM_400000_NS6detail40segmented_radix_sort_single_block_helperIblLj256ELj8ELb1EE4sortIPKbPbPKlPlEEbT_T0_T1_T2_jjjjRNS3_12storage_typeE.num_vgpr)
	.set _ZN7rocprim17ROCPRIM_400000_NS6detail17trampoline_kernelINS0_14default_configENS1_36segmented_radix_sort_config_selectorIblEEZNS1_25segmented_radix_sort_implIS3_Lb1EPKbPbPKlPlN2at6native12_GLOBAL__N_18offset_tEEE10hipError_tPvRmT1_PNSt15iterator_traitsISK_E10value_typeET2_T3_PNSL_ISQ_E10value_typeET4_jRbjT5_SW_jjP12ihipStream_tbEUlT_E_NS1_11comp_targetILNS1_3genE10ELNS1_11target_archE1201ELNS1_3gpuE5ELNS1_3repE0EEENS1_30default_config_static_selectorELNS0_4arch9wavefront6targetE0EEEvSK_.num_agpr, max(0, .L_ZN7rocprim17ROCPRIM_400000_NS6detail40segmented_radix_sort_single_block_helperIblLj256ELj8ELb1EE4sortIPKbPbPKlPlEEbT_T0_T1_T2_jjjjRNS3_12storage_typeE.num_agpr)
	.set _ZN7rocprim17ROCPRIM_400000_NS6detail17trampoline_kernelINS0_14default_configENS1_36segmented_radix_sort_config_selectorIblEEZNS1_25segmented_radix_sort_implIS3_Lb1EPKbPbPKlPlN2at6native12_GLOBAL__N_18offset_tEEE10hipError_tPvRmT1_PNSt15iterator_traitsISK_E10value_typeET2_T3_PNSL_ISQ_E10value_typeET4_jRbjT5_SW_jjP12ihipStream_tbEUlT_E_NS1_11comp_targetILNS1_3genE10ELNS1_11target_archE1201ELNS1_3gpuE5ELNS1_3repE0EEENS1_30default_config_static_selectorELNS0_4arch9wavefront6targetE0EEEvSK_.numbered_sgpr, max(50, .L_ZN7rocprim17ROCPRIM_400000_NS6detail40segmented_radix_sort_single_block_helperIblLj256ELj8ELb1EE4sortIPKbPbPKlPlEEbT_T0_T1_T2_jjjjRNS3_12storage_typeE.numbered_sgpr)
	.set _ZN7rocprim17ROCPRIM_400000_NS6detail17trampoline_kernelINS0_14default_configENS1_36segmented_radix_sort_config_selectorIblEEZNS1_25segmented_radix_sort_implIS3_Lb1EPKbPbPKlPlN2at6native12_GLOBAL__N_18offset_tEEE10hipError_tPvRmT1_PNSt15iterator_traitsISK_E10value_typeET2_T3_PNSL_ISQ_E10value_typeET4_jRbjT5_SW_jjP12ihipStream_tbEUlT_E_NS1_11comp_targetILNS1_3genE10ELNS1_11target_archE1201ELNS1_3gpuE5ELNS1_3repE0EEENS1_30default_config_static_selectorELNS0_4arch9wavefront6targetE0EEEvSK_.num_named_barrier, max(0, .L_ZN7rocprim17ROCPRIM_400000_NS6detail40segmented_radix_sort_single_block_helperIblLj256ELj8ELb1EE4sortIPKbPbPKlPlEEbT_T0_T1_T2_jjjjRNS3_12storage_typeE.num_named_barrier)
	.set _ZN7rocprim17ROCPRIM_400000_NS6detail17trampoline_kernelINS0_14default_configENS1_36segmented_radix_sort_config_selectorIblEEZNS1_25segmented_radix_sort_implIS3_Lb1EPKbPbPKlPlN2at6native12_GLOBAL__N_18offset_tEEE10hipError_tPvRmT1_PNSt15iterator_traitsISK_E10value_typeET2_T3_PNSL_ISQ_E10value_typeET4_jRbjT5_SW_jjP12ihipStream_tbEUlT_E_NS1_11comp_targetILNS1_3genE10ELNS1_11target_archE1201ELNS1_3gpuE5ELNS1_3repE0EEENS1_30default_config_static_selectorELNS0_4arch9wavefront6targetE0EEEvSK_.private_seg_size, 0+max(.L_ZN7rocprim17ROCPRIM_400000_NS6detail40segmented_radix_sort_single_block_helperIblLj256ELj8ELb1EE4sortIPKbPbPKlPlEEbT_T0_T1_T2_jjjjRNS3_12storage_typeE.private_seg_size)
	.set _ZN7rocprim17ROCPRIM_400000_NS6detail17trampoline_kernelINS0_14default_configENS1_36segmented_radix_sort_config_selectorIblEEZNS1_25segmented_radix_sort_implIS3_Lb1EPKbPbPKlPlN2at6native12_GLOBAL__N_18offset_tEEE10hipError_tPvRmT1_PNSt15iterator_traitsISK_E10value_typeET2_T3_PNSL_ISQ_E10value_typeET4_jRbjT5_SW_jjP12ihipStream_tbEUlT_E_NS1_11comp_targetILNS1_3genE10ELNS1_11target_archE1201ELNS1_3gpuE5ELNS1_3repE0EEENS1_30default_config_static_selectorELNS0_4arch9wavefront6targetE0EEEvSK_.uses_vcc, or(1, .L_ZN7rocprim17ROCPRIM_400000_NS6detail40segmented_radix_sort_single_block_helperIblLj256ELj8ELb1EE4sortIPKbPbPKlPlEEbT_T0_T1_T2_jjjjRNS3_12storage_typeE.uses_vcc)
	.set _ZN7rocprim17ROCPRIM_400000_NS6detail17trampoline_kernelINS0_14default_configENS1_36segmented_radix_sort_config_selectorIblEEZNS1_25segmented_radix_sort_implIS3_Lb1EPKbPbPKlPlN2at6native12_GLOBAL__N_18offset_tEEE10hipError_tPvRmT1_PNSt15iterator_traitsISK_E10value_typeET2_T3_PNSL_ISQ_E10value_typeET4_jRbjT5_SW_jjP12ihipStream_tbEUlT_E_NS1_11comp_targetILNS1_3genE10ELNS1_11target_archE1201ELNS1_3gpuE5ELNS1_3repE0EEENS1_30default_config_static_selectorELNS0_4arch9wavefront6targetE0EEEvSK_.uses_flat_scratch, or(0, .L_ZN7rocprim17ROCPRIM_400000_NS6detail40segmented_radix_sort_single_block_helperIblLj256ELj8ELb1EE4sortIPKbPbPKlPlEEbT_T0_T1_T2_jjjjRNS3_12storage_typeE.uses_flat_scratch)
	.set _ZN7rocprim17ROCPRIM_400000_NS6detail17trampoline_kernelINS0_14default_configENS1_36segmented_radix_sort_config_selectorIblEEZNS1_25segmented_radix_sort_implIS3_Lb1EPKbPbPKlPlN2at6native12_GLOBAL__N_18offset_tEEE10hipError_tPvRmT1_PNSt15iterator_traitsISK_E10value_typeET2_T3_PNSL_ISQ_E10value_typeET4_jRbjT5_SW_jjP12ihipStream_tbEUlT_E_NS1_11comp_targetILNS1_3genE10ELNS1_11target_archE1201ELNS1_3gpuE5ELNS1_3repE0EEENS1_30default_config_static_selectorELNS0_4arch9wavefront6targetE0EEEvSK_.has_dyn_sized_stack, or(0, .L_ZN7rocprim17ROCPRIM_400000_NS6detail40segmented_radix_sort_single_block_helperIblLj256ELj8ELb1EE4sortIPKbPbPKlPlEEbT_T0_T1_T2_jjjjRNS3_12storage_typeE.has_dyn_sized_stack)
	.set _ZN7rocprim17ROCPRIM_400000_NS6detail17trampoline_kernelINS0_14default_configENS1_36segmented_radix_sort_config_selectorIblEEZNS1_25segmented_radix_sort_implIS3_Lb1EPKbPbPKlPlN2at6native12_GLOBAL__N_18offset_tEEE10hipError_tPvRmT1_PNSt15iterator_traitsISK_E10value_typeET2_T3_PNSL_ISQ_E10value_typeET4_jRbjT5_SW_jjP12ihipStream_tbEUlT_E_NS1_11comp_targetILNS1_3genE10ELNS1_11target_archE1201ELNS1_3gpuE5ELNS1_3repE0EEENS1_30default_config_static_selectorELNS0_4arch9wavefront6targetE0EEEvSK_.has_recursion, or(0, .L_ZN7rocprim17ROCPRIM_400000_NS6detail40segmented_radix_sort_single_block_helperIblLj256ELj8ELb1EE4sortIPKbPbPKlPlEEbT_T0_T1_T2_jjjjRNS3_12storage_typeE.has_recursion)
	.set _ZN7rocprim17ROCPRIM_400000_NS6detail17trampoline_kernelINS0_14default_configENS1_36segmented_radix_sort_config_selectorIblEEZNS1_25segmented_radix_sort_implIS3_Lb1EPKbPbPKlPlN2at6native12_GLOBAL__N_18offset_tEEE10hipError_tPvRmT1_PNSt15iterator_traitsISK_E10value_typeET2_T3_PNSL_ISQ_E10value_typeET4_jRbjT5_SW_jjP12ihipStream_tbEUlT_E_NS1_11comp_targetILNS1_3genE10ELNS1_11target_archE1201ELNS1_3gpuE5ELNS1_3repE0EEENS1_30default_config_static_selectorELNS0_4arch9wavefront6targetE0EEEvSK_.has_indirect_call, or(0, .L_ZN7rocprim17ROCPRIM_400000_NS6detail40segmented_radix_sort_single_block_helperIblLj256ELj8ELb1EE4sortIPKbPbPKlPlEEbT_T0_T1_T2_jjjjRNS3_12storage_typeE.has_indirect_call)
	.section	.AMDGPU.csdata,"",@progbits
; Kernel info:
; codeLenInByte = 36284
; TotalNumSgprs: 52
; NumVgprs: 197
; ScratchSize: 0
; MemoryBound: 0
; FloatMode: 240
; IeeeMode: 1
; LDSByteSize: 17440 bytes/workgroup (compile time only)
; SGPRBlocks: 0
; VGPRBlocks: 24
; NumSGPRsForWavesPerEU: 52
; NumVGPRsForWavesPerEU: 197
; Occupancy: 7
; WaveLimiterHint : 1
; COMPUTE_PGM_RSRC2:SCRATCH_EN: 0
; COMPUTE_PGM_RSRC2:USER_SGPR: 2
; COMPUTE_PGM_RSRC2:TRAP_HANDLER: 0
; COMPUTE_PGM_RSRC2:TGID_X_EN: 1
; COMPUTE_PGM_RSRC2:TGID_Y_EN: 1
; COMPUTE_PGM_RSRC2:TGID_Z_EN: 0
; COMPUTE_PGM_RSRC2:TIDIG_COMP_CNT: 2
	.section	.text._ZN7rocprim17ROCPRIM_400000_NS6detail17trampoline_kernelINS0_14default_configENS1_36segmented_radix_sort_config_selectorIblEEZNS1_25segmented_radix_sort_implIS3_Lb1EPKbPbPKlPlN2at6native12_GLOBAL__N_18offset_tEEE10hipError_tPvRmT1_PNSt15iterator_traitsISK_E10value_typeET2_T3_PNSL_ISQ_E10value_typeET4_jRbjT5_SW_jjP12ihipStream_tbEUlT_E_NS1_11comp_targetILNS1_3genE10ELNS1_11target_archE1200ELNS1_3gpuE4ELNS1_3repE0EEENS1_30default_config_static_selectorELNS0_4arch9wavefront6targetE0EEEvSK_,"axG",@progbits,_ZN7rocprim17ROCPRIM_400000_NS6detail17trampoline_kernelINS0_14default_configENS1_36segmented_radix_sort_config_selectorIblEEZNS1_25segmented_radix_sort_implIS3_Lb1EPKbPbPKlPlN2at6native12_GLOBAL__N_18offset_tEEE10hipError_tPvRmT1_PNSt15iterator_traitsISK_E10value_typeET2_T3_PNSL_ISQ_E10value_typeET4_jRbjT5_SW_jjP12ihipStream_tbEUlT_E_NS1_11comp_targetILNS1_3genE10ELNS1_11target_archE1200ELNS1_3gpuE4ELNS1_3repE0EEENS1_30default_config_static_selectorELNS0_4arch9wavefront6targetE0EEEvSK_,comdat
	.globl	_ZN7rocprim17ROCPRIM_400000_NS6detail17trampoline_kernelINS0_14default_configENS1_36segmented_radix_sort_config_selectorIblEEZNS1_25segmented_radix_sort_implIS3_Lb1EPKbPbPKlPlN2at6native12_GLOBAL__N_18offset_tEEE10hipError_tPvRmT1_PNSt15iterator_traitsISK_E10value_typeET2_T3_PNSL_ISQ_E10value_typeET4_jRbjT5_SW_jjP12ihipStream_tbEUlT_E_NS1_11comp_targetILNS1_3genE10ELNS1_11target_archE1200ELNS1_3gpuE4ELNS1_3repE0EEENS1_30default_config_static_selectorELNS0_4arch9wavefront6targetE0EEEvSK_ ; -- Begin function _ZN7rocprim17ROCPRIM_400000_NS6detail17trampoline_kernelINS0_14default_configENS1_36segmented_radix_sort_config_selectorIblEEZNS1_25segmented_radix_sort_implIS3_Lb1EPKbPbPKlPlN2at6native12_GLOBAL__N_18offset_tEEE10hipError_tPvRmT1_PNSt15iterator_traitsISK_E10value_typeET2_T3_PNSL_ISQ_E10value_typeET4_jRbjT5_SW_jjP12ihipStream_tbEUlT_E_NS1_11comp_targetILNS1_3genE10ELNS1_11target_archE1200ELNS1_3gpuE4ELNS1_3repE0EEENS1_30default_config_static_selectorELNS0_4arch9wavefront6targetE0EEEvSK_
	.p2align	8
	.type	_ZN7rocprim17ROCPRIM_400000_NS6detail17trampoline_kernelINS0_14default_configENS1_36segmented_radix_sort_config_selectorIblEEZNS1_25segmented_radix_sort_implIS3_Lb1EPKbPbPKlPlN2at6native12_GLOBAL__N_18offset_tEEE10hipError_tPvRmT1_PNSt15iterator_traitsISK_E10value_typeET2_T3_PNSL_ISQ_E10value_typeET4_jRbjT5_SW_jjP12ihipStream_tbEUlT_E_NS1_11comp_targetILNS1_3genE10ELNS1_11target_archE1200ELNS1_3gpuE4ELNS1_3repE0EEENS1_30default_config_static_selectorELNS0_4arch9wavefront6targetE0EEEvSK_,@function
_ZN7rocprim17ROCPRIM_400000_NS6detail17trampoline_kernelINS0_14default_configENS1_36segmented_radix_sort_config_selectorIblEEZNS1_25segmented_radix_sort_implIS3_Lb1EPKbPbPKlPlN2at6native12_GLOBAL__N_18offset_tEEE10hipError_tPvRmT1_PNSt15iterator_traitsISK_E10value_typeET2_T3_PNSL_ISQ_E10value_typeET4_jRbjT5_SW_jjP12ihipStream_tbEUlT_E_NS1_11comp_targetILNS1_3genE10ELNS1_11target_archE1200ELNS1_3gpuE4ELNS1_3repE0EEENS1_30default_config_static_selectorELNS0_4arch9wavefront6targetE0EEEvSK_: ; @_ZN7rocprim17ROCPRIM_400000_NS6detail17trampoline_kernelINS0_14default_configENS1_36segmented_radix_sort_config_selectorIblEEZNS1_25segmented_radix_sort_implIS3_Lb1EPKbPbPKlPlN2at6native12_GLOBAL__N_18offset_tEEE10hipError_tPvRmT1_PNSt15iterator_traitsISK_E10value_typeET2_T3_PNSL_ISQ_E10value_typeET4_jRbjT5_SW_jjP12ihipStream_tbEUlT_E_NS1_11comp_targetILNS1_3genE10ELNS1_11target_archE1200ELNS1_3gpuE4ELNS1_3repE0EEENS1_30default_config_static_selectorELNS0_4arch9wavefront6targetE0EEEvSK_
; %bb.0:
	.section	.rodata,"a",@progbits
	.p2align	6, 0x0
	.amdhsa_kernel _ZN7rocprim17ROCPRIM_400000_NS6detail17trampoline_kernelINS0_14default_configENS1_36segmented_radix_sort_config_selectorIblEEZNS1_25segmented_radix_sort_implIS3_Lb1EPKbPbPKlPlN2at6native12_GLOBAL__N_18offset_tEEE10hipError_tPvRmT1_PNSt15iterator_traitsISK_E10value_typeET2_T3_PNSL_ISQ_E10value_typeET4_jRbjT5_SW_jjP12ihipStream_tbEUlT_E_NS1_11comp_targetILNS1_3genE10ELNS1_11target_archE1200ELNS1_3gpuE4ELNS1_3repE0EEENS1_30default_config_static_selectorELNS0_4arch9wavefront6targetE0EEEvSK_
		.amdhsa_group_segment_fixed_size 0
		.amdhsa_private_segment_fixed_size 0
		.amdhsa_kernarg_size 96
		.amdhsa_user_sgpr_count 2
		.amdhsa_user_sgpr_dispatch_ptr 0
		.amdhsa_user_sgpr_queue_ptr 0
		.amdhsa_user_sgpr_kernarg_segment_ptr 1
		.amdhsa_user_sgpr_dispatch_id 0
		.amdhsa_user_sgpr_private_segment_size 0
		.amdhsa_wavefront_size32 1
		.amdhsa_uses_dynamic_stack 0
		.amdhsa_enable_private_segment 0
		.amdhsa_system_sgpr_workgroup_id_x 1
		.amdhsa_system_sgpr_workgroup_id_y 0
		.amdhsa_system_sgpr_workgroup_id_z 0
		.amdhsa_system_sgpr_workgroup_info 0
		.amdhsa_system_vgpr_workitem_id 0
		.amdhsa_next_free_vgpr 1
		.amdhsa_next_free_sgpr 1
		.amdhsa_reserve_vcc 0
		.amdhsa_float_round_mode_32 0
		.amdhsa_float_round_mode_16_64 0
		.amdhsa_float_denorm_mode_32 3
		.amdhsa_float_denorm_mode_16_64 3
		.amdhsa_fp16_overflow 0
		.amdhsa_workgroup_processor_mode 1
		.amdhsa_memory_ordered 1
		.amdhsa_forward_progress 1
		.amdhsa_inst_pref_size 0
		.amdhsa_round_robin_scheduling 0
		.amdhsa_exception_fp_ieee_invalid_op 0
		.amdhsa_exception_fp_denorm_src 0
		.amdhsa_exception_fp_ieee_div_zero 0
		.amdhsa_exception_fp_ieee_overflow 0
		.amdhsa_exception_fp_ieee_underflow 0
		.amdhsa_exception_fp_ieee_inexact 0
		.amdhsa_exception_int_div_zero 0
	.end_amdhsa_kernel
	.section	.text._ZN7rocprim17ROCPRIM_400000_NS6detail17trampoline_kernelINS0_14default_configENS1_36segmented_radix_sort_config_selectorIblEEZNS1_25segmented_radix_sort_implIS3_Lb1EPKbPbPKlPlN2at6native12_GLOBAL__N_18offset_tEEE10hipError_tPvRmT1_PNSt15iterator_traitsISK_E10value_typeET2_T3_PNSL_ISQ_E10value_typeET4_jRbjT5_SW_jjP12ihipStream_tbEUlT_E_NS1_11comp_targetILNS1_3genE10ELNS1_11target_archE1200ELNS1_3gpuE4ELNS1_3repE0EEENS1_30default_config_static_selectorELNS0_4arch9wavefront6targetE0EEEvSK_,"axG",@progbits,_ZN7rocprim17ROCPRIM_400000_NS6detail17trampoline_kernelINS0_14default_configENS1_36segmented_radix_sort_config_selectorIblEEZNS1_25segmented_radix_sort_implIS3_Lb1EPKbPbPKlPlN2at6native12_GLOBAL__N_18offset_tEEE10hipError_tPvRmT1_PNSt15iterator_traitsISK_E10value_typeET2_T3_PNSL_ISQ_E10value_typeET4_jRbjT5_SW_jjP12ihipStream_tbEUlT_E_NS1_11comp_targetILNS1_3genE10ELNS1_11target_archE1200ELNS1_3gpuE4ELNS1_3repE0EEENS1_30default_config_static_selectorELNS0_4arch9wavefront6targetE0EEEvSK_,comdat
.Lfunc_end1539:
	.size	_ZN7rocprim17ROCPRIM_400000_NS6detail17trampoline_kernelINS0_14default_configENS1_36segmented_radix_sort_config_selectorIblEEZNS1_25segmented_radix_sort_implIS3_Lb1EPKbPbPKlPlN2at6native12_GLOBAL__N_18offset_tEEE10hipError_tPvRmT1_PNSt15iterator_traitsISK_E10value_typeET2_T3_PNSL_ISQ_E10value_typeET4_jRbjT5_SW_jjP12ihipStream_tbEUlT_E_NS1_11comp_targetILNS1_3genE10ELNS1_11target_archE1200ELNS1_3gpuE4ELNS1_3repE0EEENS1_30default_config_static_selectorELNS0_4arch9wavefront6targetE0EEEvSK_, .Lfunc_end1539-_ZN7rocprim17ROCPRIM_400000_NS6detail17trampoline_kernelINS0_14default_configENS1_36segmented_radix_sort_config_selectorIblEEZNS1_25segmented_radix_sort_implIS3_Lb1EPKbPbPKlPlN2at6native12_GLOBAL__N_18offset_tEEE10hipError_tPvRmT1_PNSt15iterator_traitsISK_E10value_typeET2_T3_PNSL_ISQ_E10value_typeET4_jRbjT5_SW_jjP12ihipStream_tbEUlT_E_NS1_11comp_targetILNS1_3genE10ELNS1_11target_archE1200ELNS1_3gpuE4ELNS1_3repE0EEENS1_30default_config_static_selectorELNS0_4arch9wavefront6targetE0EEEvSK_
                                        ; -- End function
	.set _ZN7rocprim17ROCPRIM_400000_NS6detail17trampoline_kernelINS0_14default_configENS1_36segmented_radix_sort_config_selectorIblEEZNS1_25segmented_radix_sort_implIS3_Lb1EPKbPbPKlPlN2at6native12_GLOBAL__N_18offset_tEEE10hipError_tPvRmT1_PNSt15iterator_traitsISK_E10value_typeET2_T3_PNSL_ISQ_E10value_typeET4_jRbjT5_SW_jjP12ihipStream_tbEUlT_E_NS1_11comp_targetILNS1_3genE10ELNS1_11target_archE1200ELNS1_3gpuE4ELNS1_3repE0EEENS1_30default_config_static_selectorELNS0_4arch9wavefront6targetE0EEEvSK_.num_vgpr, 0
	.set _ZN7rocprim17ROCPRIM_400000_NS6detail17trampoline_kernelINS0_14default_configENS1_36segmented_radix_sort_config_selectorIblEEZNS1_25segmented_radix_sort_implIS3_Lb1EPKbPbPKlPlN2at6native12_GLOBAL__N_18offset_tEEE10hipError_tPvRmT1_PNSt15iterator_traitsISK_E10value_typeET2_T3_PNSL_ISQ_E10value_typeET4_jRbjT5_SW_jjP12ihipStream_tbEUlT_E_NS1_11comp_targetILNS1_3genE10ELNS1_11target_archE1200ELNS1_3gpuE4ELNS1_3repE0EEENS1_30default_config_static_selectorELNS0_4arch9wavefront6targetE0EEEvSK_.num_agpr, 0
	.set _ZN7rocprim17ROCPRIM_400000_NS6detail17trampoline_kernelINS0_14default_configENS1_36segmented_radix_sort_config_selectorIblEEZNS1_25segmented_radix_sort_implIS3_Lb1EPKbPbPKlPlN2at6native12_GLOBAL__N_18offset_tEEE10hipError_tPvRmT1_PNSt15iterator_traitsISK_E10value_typeET2_T3_PNSL_ISQ_E10value_typeET4_jRbjT5_SW_jjP12ihipStream_tbEUlT_E_NS1_11comp_targetILNS1_3genE10ELNS1_11target_archE1200ELNS1_3gpuE4ELNS1_3repE0EEENS1_30default_config_static_selectorELNS0_4arch9wavefront6targetE0EEEvSK_.numbered_sgpr, 0
	.set _ZN7rocprim17ROCPRIM_400000_NS6detail17trampoline_kernelINS0_14default_configENS1_36segmented_radix_sort_config_selectorIblEEZNS1_25segmented_radix_sort_implIS3_Lb1EPKbPbPKlPlN2at6native12_GLOBAL__N_18offset_tEEE10hipError_tPvRmT1_PNSt15iterator_traitsISK_E10value_typeET2_T3_PNSL_ISQ_E10value_typeET4_jRbjT5_SW_jjP12ihipStream_tbEUlT_E_NS1_11comp_targetILNS1_3genE10ELNS1_11target_archE1200ELNS1_3gpuE4ELNS1_3repE0EEENS1_30default_config_static_selectorELNS0_4arch9wavefront6targetE0EEEvSK_.num_named_barrier, 0
	.set _ZN7rocprim17ROCPRIM_400000_NS6detail17trampoline_kernelINS0_14default_configENS1_36segmented_radix_sort_config_selectorIblEEZNS1_25segmented_radix_sort_implIS3_Lb1EPKbPbPKlPlN2at6native12_GLOBAL__N_18offset_tEEE10hipError_tPvRmT1_PNSt15iterator_traitsISK_E10value_typeET2_T3_PNSL_ISQ_E10value_typeET4_jRbjT5_SW_jjP12ihipStream_tbEUlT_E_NS1_11comp_targetILNS1_3genE10ELNS1_11target_archE1200ELNS1_3gpuE4ELNS1_3repE0EEENS1_30default_config_static_selectorELNS0_4arch9wavefront6targetE0EEEvSK_.private_seg_size, 0
	.set _ZN7rocprim17ROCPRIM_400000_NS6detail17trampoline_kernelINS0_14default_configENS1_36segmented_radix_sort_config_selectorIblEEZNS1_25segmented_radix_sort_implIS3_Lb1EPKbPbPKlPlN2at6native12_GLOBAL__N_18offset_tEEE10hipError_tPvRmT1_PNSt15iterator_traitsISK_E10value_typeET2_T3_PNSL_ISQ_E10value_typeET4_jRbjT5_SW_jjP12ihipStream_tbEUlT_E_NS1_11comp_targetILNS1_3genE10ELNS1_11target_archE1200ELNS1_3gpuE4ELNS1_3repE0EEENS1_30default_config_static_selectorELNS0_4arch9wavefront6targetE0EEEvSK_.uses_vcc, 0
	.set _ZN7rocprim17ROCPRIM_400000_NS6detail17trampoline_kernelINS0_14default_configENS1_36segmented_radix_sort_config_selectorIblEEZNS1_25segmented_radix_sort_implIS3_Lb1EPKbPbPKlPlN2at6native12_GLOBAL__N_18offset_tEEE10hipError_tPvRmT1_PNSt15iterator_traitsISK_E10value_typeET2_T3_PNSL_ISQ_E10value_typeET4_jRbjT5_SW_jjP12ihipStream_tbEUlT_E_NS1_11comp_targetILNS1_3genE10ELNS1_11target_archE1200ELNS1_3gpuE4ELNS1_3repE0EEENS1_30default_config_static_selectorELNS0_4arch9wavefront6targetE0EEEvSK_.uses_flat_scratch, 0
	.set _ZN7rocprim17ROCPRIM_400000_NS6detail17trampoline_kernelINS0_14default_configENS1_36segmented_radix_sort_config_selectorIblEEZNS1_25segmented_radix_sort_implIS3_Lb1EPKbPbPKlPlN2at6native12_GLOBAL__N_18offset_tEEE10hipError_tPvRmT1_PNSt15iterator_traitsISK_E10value_typeET2_T3_PNSL_ISQ_E10value_typeET4_jRbjT5_SW_jjP12ihipStream_tbEUlT_E_NS1_11comp_targetILNS1_3genE10ELNS1_11target_archE1200ELNS1_3gpuE4ELNS1_3repE0EEENS1_30default_config_static_selectorELNS0_4arch9wavefront6targetE0EEEvSK_.has_dyn_sized_stack, 0
	.set _ZN7rocprim17ROCPRIM_400000_NS6detail17trampoline_kernelINS0_14default_configENS1_36segmented_radix_sort_config_selectorIblEEZNS1_25segmented_radix_sort_implIS3_Lb1EPKbPbPKlPlN2at6native12_GLOBAL__N_18offset_tEEE10hipError_tPvRmT1_PNSt15iterator_traitsISK_E10value_typeET2_T3_PNSL_ISQ_E10value_typeET4_jRbjT5_SW_jjP12ihipStream_tbEUlT_E_NS1_11comp_targetILNS1_3genE10ELNS1_11target_archE1200ELNS1_3gpuE4ELNS1_3repE0EEENS1_30default_config_static_selectorELNS0_4arch9wavefront6targetE0EEEvSK_.has_recursion, 0
	.set _ZN7rocprim17ROCPRIM_400000_NS6detail17trampoline_kernelINS0_14default_configENS1_36segmented_radix_sort_config_selectorIblEEZNS1_25segmented_radix_sort_implIS3_Lb1EPKbPbPKlPlN2at6native12_GLOBAL__N_18offset_tEEE10hipError_tPvRmT1_PNSt15iterator_traitsISK_E10value_typeET2_T3_PNSL_ISQ_E10value_typeET4_jRbjT5_SW_jjP12ihipStream_tbEUlT_E_NS1_11comp_targetILNS1_3genE10ELNS1_11target_archE1200ELNS1_3gpuE4ELNS1_3repE0EEENS1_30default_config_static_selectorELNS0_4arch9wavefront6targetE0EEEvSK_.has_indirect_call, 0
	.section	.AMDGPU.csdata,"",@progbits
; Kernel info:
; codeLenInByte = 0
; TotalNumSgprs: 0
; NumVgprs: 0
; ScratchSize: 0
; MemoryBound: 0
; FloatMode: 240
; IeeeMode: 1
; LDSByteSize: 0 bytes/workgroup (compile time only)
; SGPRBlocks: 0
; VGPRBlocks: 0
; NumSGPRsForWavesPerEU: 1
; NumVGPRsForWavesPerEU: 1
; Occupancy: 16
; WaveLimiterHint : 0
; COMPUTE_PGM_RSRC2:SCRATCH_EN: 0
; COMPUTE_PGM_RSRC2:USER_SGPR: 2
; COMPUTE_PGM_RSRC2:TRAP_HANDLER: 0
; COMPUTE_PGM_RSRC2:TGID_X_EN: 1
; COMPUTE_PGM_RSRC2:TGID_Y_EN: 0
; COMPUTE_PGM_RSRC2:TGID_Z_EN: 0
; COMPUTE_PGM_RSRC2:TIDIG_COMP_CNT: 0
	.section	.text._ZN7rocprim17ROCPRIM_400000_NS6detail17trampoline_kernelINS0_14default_configENS1_36segmented_radix_sort_config_selectorIblEEZNS1_25segmented_radix_sort_implIS3_Lb1EPKbPbPKlPlN2at6native12_GLOBAL__N_18offset_tEEE10hipError_tPvRmT1_PNSt15iterator_traitsISK_E10value_typeET2_T3_PNSL_ISQ_E10value_typeET4_jRbjT5_SW_jjP12ihipStream_tbEUlT_E_NS1_11comp_targetILNS1_3genE9ELNS1_11target_archE1100ELNS1_3gpuE3ELNS1_3repE0EEENS1_30default_config_static_selectorELNS0_4arch9wavefront6targetE0EEEvSK_,"axG",@progbits,_ZN7rocprim17ROCPRIM_400000_NS6detail17trampoline_kernelINS0_14default_configENS1_36segmented_radix_sort_config_selectorIblEEZNS1_25segmented_radix_sort_implIS3_Lb1EPKbPbPKlPlN2at6native12_GLOBAL__N_18offset_tEEE10hipError_tPvRmT1_PNSt15iterator_traitsISK_E10value_typeET2_T3_PNSL_ISQ_E10value_typeET4_jRbjT5_SW_jjP12ihipStream_tbEUlT_E_NS1_11comp_targetILNS1_3genE9ELNS1_11target_archE1100ELNS1_3gpuE3ELNS1_3repE0EEENS1_30default_config_static_selectorELNS0_4arch9wavefront6targetE0EEEvSK_,comdat
	.globl	_ZN7rocprim17ROCPRIM_400000_NS6detail17trampoline_kernelINS0_14default_configENS1_36segmented_radix_sort_config_selectorIblEEZNS1_25segmented_radix_sort_implIS3_Lb1EPKbPbPKlPlN2at6native12_GLOBAL__N_18offset_tEEE10hipError_tPvRmT1_PNSt15iterator_traitsISK_E10value_typeET2_T3_PNSL_ISQ_E10value_typeET4_jRbjT5_SW_jjP12ihipStream_tbEUlT_E_NS1_11comp_targetILNS1_3genE9ELNS1_11target_archE1100ELNS1_3gpuE3ELNS1_3repE0EEENS1_30default_config_static_selectorELNS0_4arch9wavefront6targetE0EEEvSK_ ; -- Begin function _ZN7rocprim17ROCPRIM_400000_NS6detail17trampoline_kernelINS0_14default_configENS1_36segmented_radix_sort_config_selectorIblEEZNS1_25segmented_radix_sort_implIS3_Lb1EPKbPbPKlPlN2at6native12_GLOBAL__N_18offset_tEEE10hipError_tPvRmT1_PNSt15iterator_traitsISK_E10value_typeET2_T3_PNSL_ISQ_E10value_typeET4_jRbjT5_SW_jjP12ihipStream_tbEUlT_E_NS1_11comp_targetILNS1_3genE9ELNS1_11target_archE1100ELNS1_3gpuE3ELNS1_3repE0EEENS1_30default_config_static_selectorELNS0_4arch9wavefront6targetE0EEEvSK_
	.p2align	8
	.type	_ZN7rocprim17ROCPRIM_400000_NS6detail17trampoline_kernelINS0_14default_configENS1_36segmented_radix_sort_config_selectorIblEEZNS1_25segmented_radix_sort_implIS3_Lb1EPKbPbPKlPlN2at6native12_GLOBAL__N_18offset_tEEE10hipError_tPvRmT1_PNSt15iterator_traitsISK_E10value_typeET2_T3_PNSL_ISQ_E10value_typeET4_jRbjT5_SW_jjP12ihipStream_tbEUlT_E_NS1_11comp_targetILNS1_3genE9ELNS1_11target_archE1100ELNS1_3gpuE3ELNS1_3repE0EEENS1_30default_config_static_selectorELNS0_4arch9wavefront6targetE0EEEvSK_,@function
_ZN7rocprim17ROCPRIM_400000_NS6detail17trampoline_kernelINS0_14default_configENS1_36segmented_radix_sort_config_selectorIblEEZNS1_25segmented_radix_sort_implIS3_Lb1EPKbPbPKlPlN2at6native12_GLOBAL__N_18offset_tEEE10hipError_tPvRmT1_PNSt15iterator_traitsISK_E10value_typeET2_T3_PNSL_ISQ_E10value_typeET4_jRbjT5_SW_jjP12ihipStream_tbEUlT_E_NS1_11comp_targetILNS1_3genE9ELNS1_11target_archE1100ELNS1_3gpuE3ELNS1_3repE0EEENS1_30default_config_static_selectorELNS0_4arch9wavefront6targetE0EEEvSK_: ; @_ZN7rocprim17ROCPRIM_400000_NS6detail17trampoline_kernelINS0_14default_configENS1_36segmented_radix_sort_config_selectorIblEEZNS1_25segmented_radix_sort_implIS3_Lb1EPKbPbPKlPlN2at6native12_GLOBAL__N_18offset_tEEE10hipError_tPvRmT1_PNSt15iterator_traitsISK_E10value_typeET2_T3_PNSL_ISQ_E10value_typeET4_jRbjT5_SW_jjP12ihipStream_tbEUlT_E_NS1_11comp_targetILNS1_3genE9ELNS1_11target_archE1100ELNS1_3gpuE3ELNS1_3repE0EEENS1_30default_config_static_selectorELNS0_4arch9wavefront6targetE0EEEvSK_
; %bb.0:
	.section	.rodata,"a",@progbits
	.p2align	6, 0x0
	.amdhsa_kernel _ZN7rocprim17ROCPRIM_400000_NS6detail17trampoline_kernelINS0_14default_configENS1_36segmented_radix_sort_config_selectorIblEEZNS1_25segmented_radix_sort_implIS3_Lb1EPKbPbPKlPlN2at6native12_GLOBAL__N_18offset_tEEE10hipError_tPvRmT1_PNSt15iterator_traitsISK_E10value_typeET2_T3_PNSL_ISQ_E10value_typeET4_jRbjT5_SW_jjP12ihipStream_tbEUlT_E_NS1_11comp_targetILNS1_3genE9ELNS1_11target_archE1100ELNS1_3gpuE3ELNS1_3repE0EEENS1_30default_config_static_selectorELNS0_4arch9wavefront6targetE0EEEvSK_
		.amdhsa_group_segment_fixed_size 0
		.amdhsa_private_segment_fixed_size 0
		.amdhsa_kernarg_size 96
		.amdhsa_user_sgpr_count 2
		.amdhsa_user_sgpr_dispatch_ptr 0
		.amdhsa_user_sgpr_queue_ptr 0
		.amdhsa_user_sgpr_kernarg_segment_ptr 1
		.amdhsa_user_sgpr_dispatch_id 0
		.amdhsa_user_sgpr_private_segment_size 0
		.amdhsa_wavefront_size32 1
		.amdhsa_uses_dynamic_stack 0
		.amdhsa_enable_private_segment 0
		.amdhsa_system_sgpr_workgroup_id_x 1
		.amdhsa_system_sgpr_workgroup_id_y 0
		.amdhsa_system_sgpr_workgroup_id_z 0
		.amdhsa_system_sgpr_workgroup_info 0
		.amdhsa_system_vgpr_workitem_id 0
		.amdhsa_next_free_vgpr 1
		.amdhsa_next_free_sgpr 1
		.amdhsa_reserve_vcc 0
		.amdhsa_float_round_mode_32 0
		.amdhsa_float_round_mode_16_64 0
		.amdhsa_float_denorm_mode_32 3
		.amdhsa_float_denorm_mode_16_64 3
		.amdhsa_fp16_overflow 0
		.amdhsa_workgroup_processor_mode 1
		.amdhsa_memory_ordered 1
		.amdhsa_forward_progress 1
		.amdhsa_inst_pref_size 0
		.amdhsa_round_robin_scheduling 0
		.amdhsa_exception_fp_ieee_invalid_op 0
		.amdhsa_exception_fp_denorm_src 0
		.amdhsa_exception_fp_ieee_div_zero 0
		.amdhsa_exception_fp_ieee_overflow 0
		.amdhsa_exception_fp_ieee_underflow 0
		.amdhsa_exception_fp_ieee_inexact 0
		.amdhsa_exception_int_div_zero 0
	.end_amdhsa_kernel
	.section	.text._ZN7rocprim17ROCPRIM_400000_NS6detail17trampoline_kernelINS0_14default_configENS1_36segmented_radix_sort_config_selectorIblEEZNS1_25segmented_radix_sort_implIS3_Lb1EPKbPbPKlPlN2at6native12_GLOBAL__N_18offset_tEEE10hipError_tPvRmT1_PNSt15iterator_traitsISK_E10value_typeET2_T3_PNSL_ISQ_E10value_typeET4_jRbjT5_SW_jjP12ihipStream_tbEUlT_E_NS1_11comp_targetILNS1_3genE9ELNS1_11target_archE1100ELNS1_3gpuE3ELNS1_3repE0EEENS1_30default_config_static_selectorELNS0_4arch9wavefront6targetE0EEEvSK_,"axG",@progbits,_ZN7rocprim17ROCPRIM_400000_NS6detail17trampoline_kernelINS0_14default_configENS1_36segmented_radix_sort_config_selectorIblEEZNS1_25segmented_radix_sort_implIS3_Lb1EPKbPbPKlPlN2at6native12_GLOBAL__N_18offset_tEEE10hipError_tPvRmT1_PNSt15iterator_traitsISK_E10value_typeET2_T3_PNSL_ISQ_E10value_typeET4_jRbjT5_SW_jjP12ihipStream_tbEUlT_E_NS1_11comp_targetILNS1_3genE9ELNS1_11target_archE1100ELNS1_3gpuE3ELNS1_3repE0EEENS1_30default_config_static_selectorELNS0_4arch9wavefront6targetE0EEEvSK_,comdat
.Lfunc_end1540:
	.size	_ZN7rocprim17ROCPRIM_400000_NS6detail17trampoline_kernelINS0_14default_configENS1_36segmented_radix_sort_config_selectorIblEEZNS1_25segmented_radix_sort_implIS3_Lb1EPKbPbPKlPlN2at6native12_GLOBAL__N_18offset_tEEE10hipError_tPvRmT1_PNSt15iterator_traitsISK_E10value_typeET2_T3_PNSL_ISQ_E10value_typeET4_jRbjT5_SW_jjP12ihipStream_tbEUlT_E_NS1_11comp_targetILNS1_3genE9ELNS1_11target_archE1100ELNS1_3gpuE3ELNS1_3repE0EEENS1_30default_config_static_selectorELNS0_4arch9wavefront6targetE0EEEvSK_, .Lfunc_end1540-_ZN7rocprim17ROCPRIM_400000_NS6detail17trampoline_kernelINS0_14default_configENS1_36segmented_radix_sort_config_selectorIblEEZNS1_25segmented_radix_sort_implIS3_Lb1EPKbPbPKlPlN2at6native12_GLOBAL__N_18offset_tEEE10hipError_tPvRmT1_PNSt15iterator_traitsISK_E10value_typeET2_T3_PNSL_ISQ_E10value_typeET4_jRbjT5_SW_jjP12ihipStream_tbEUlT_E_NS1_11comp_targetILNS1_3genE9ELNS1_11target_archE1100ELNS1_3gpuE3ELNS1_3repE0EEENS1_30default_config_static_selectorELNS0_4arch9wavefront6targetE0EEEvSK_
                                        ; -- End function
	.set _ZN7rocprim17ROCPRIM_400000_NS6detail17trampoline_kernelINS0_14default_configENS1_36segmented_radix_sort_config_selectorIblEEZNS1_25segmented_radix_sort_implIS3_Lb1EPKbPbPKlPlN2at6native12_GLOBAL__N_18offset_tEEE10hipError_tPvRmT1_PNSt15iterator_traitsISK_E10value_typeET2_T3_PNSL_ISQ_E10value_typeET4_jRbjT5_SW_jjP12ihipStream_tbEUlT_E_NS1_11comp_targetILNS1_3genE9ELNS1_11target_archE1100ELNS1_3gpuE3ELNS1_3repE0EEENS1_30default_config_static_selectorELNS0_4arch9wavefront6targetE0EEEvSK_.num_vgpr, 0
	.set _ZN7rocprim17ROCPRIM_400000_NS6detail17trampoline_kernelINS0_14default_configENS1_36segmented_radix_sort_config_selectorIblEEZNS1_25segmented_radix_sort_implIS3_Lb1EPKbPbPKlPlN2at6native12_GLOBAL__N_18offset_tEEE10hipError_tPvRmT1_PNSt15iterator_traitsISK_E10value_typeET2_T3_PNSL_ISQ_E10value_typeET4_jRbjT5_SW_jjP12ihipStream_tbEUlT_E_NS1_11comp_targetILNS1_3genE9ELNS1_11target_archE1100ELNS1_3gpuE3ELNS1_3repE0EEENS1_30default_config_static_selectorELNS0_4arch9wavefront6targetE0EEEvSK_.num_agpr, 0
	.set _ZN7rocprim17ROCPRIM_400000_NS6detail17trampoline_kernelINS0_14default_configENS1_36segmented_radix_sort_config_selectorIblEEZNS1_25segmented_radix_sort_implIS3_Lb1EPKbPbPKlPlN2at6native12_GLOBAL__N_18offset_tEEE10hipError_tPvRmT1_PNSt15iterator_traitsISK_E10value_typeET2_T3_PNSL_ISQ_E10value_typeET4_jRbjT5_SW_jjP12ihipStream_tbEUlT_E_NS1_11comp_targetILNS1_3genE9ELNS1_11target_archE1100ELNS1_3gpuE3ELNS1_3repE0EEENS1_30default_config_static_selectorELNS0_4arch9wavefront6targetE0EEEvSK_.numbered_sgpr, 0
	.set _ZN7rocprim17ROCPRIM_400000_NS6detail17trampoline_kernelINS0_14default_configENS1_36segmented_radix_sort_config_selectorIblEEZNS1_25segmented_radix_sort_implIS3_Lb1EPKbPbPKlPlN2at6native12_GLOBAL__N_18offset_tEEE10hipError_tPvRmT1_PNSt15iterator_traitsISK_E10value_typeET2_T3_PNSL_ISQ_E10value_typeET4_jRbjT5_SW_jjP12ihipStream_tbEUlT_E_NS1_11comp_targetILNS1_3genE9ELNS1_11target_archE1100ELNS1_3gpuE3ELNS1_3repE0EEENS1_30default_config_static_selectorELNS0_4arch9wavefront6targetE0EEEvSK_.num_named_barrier, 0
	.set _ZN7rocprim17ROCPRIM_400000_NS6detail17trampoline_kernelINS0_14default_configENS1_36segmented_radix_sort_config_selectorIblEEZNS1_25segmented_radix_sort_implIS3_Lb1EPKbPbPKlPlN2at6native12_GLOBAL__N_18offset_tEEE10hipError_tPvRmT1_PNSt15iterator_traitsISK_E10value_typeET2_T3_PNSL_ISQ_E10value_typeET4_jRbjT5_SW_jjP12ihipStream_tbEUlT_E_NS1_11comp_targetILNS1_3genE9ELNS1_11target_archE1100ELNS1_3gpuE3ELNS1_3repE0EEENS1_30default_config_static_selectorELNS0_4arch9wavefront6targetE0EEEvSK_.private_seg_size, 0
	.set _ZN7rocprim17ROCPRIM_400000_NS6detail17trampoline_kernelINS0_14default_configENS1_36segmented_radix_sort_config_selectorIblEEZNS1_25segmented_radix_sort_implIS3_Lb1EPKbPbPKlPlN2at6native12_GLOBAL__N_18offset_tEEE10hipError_tPvRmT1_PNSt15iterator_traitsISK_E10value_typeET2_T3_PNSL_ISQ_E10value_typeET4_jRbjT5_SW_jjP12ihipStream_tbEUlT_E_NS1_11comp_targetILNS1_3genE9ELNS1_11target_archE1100ELNS1_3gpuE3ELNS1_3repE0EEENS1_30default_config_static_selectorELNS0_4arch9wavefront6targetE0EEEvSK_.uses_vcc, 0
	.set _ZN7rocprim17ROCPRIM_400000_NS6detail17trampoline_kernelINS0_14default_configENS1_36segmented_radix_sort_config_selectorIblEEZNS1_25segmented_radix_sort_implIS3_Lb1EPKbPbPKlPlN2at6native12_GLOBAL__N_18offset_tEEE10hipError_tPvRmT1_PNSt15iterator_traitsISK_E10value_typeET2_T3_PNSL_ISQ_E10value_typeET4_jRbjT5_SW_jjP12ihipStream_tbEUlT_E_NS1_11comp_targetILNS1_3genE9ELNS1_11target_archE1100ELNS1_3gpuE3ELNS1_3repE0EEENS1_30default_config_static_selectorELNS0_4arch9wavefront6targetE0EEEvSK_.uses_flat_scratch, 0
	.set _ZN7rocprim17ROCPRIM_400000_NS6detail17trampoline_kernelINS0_14default_configENS1_36segmented_radix_sort_config_selectorIblEEZNS1_25segmented_radix_sort_implIS3_Lb1EPKbPbPKlPlN2at6native12_GLOBAL__N_18offset_tEEE10hipError_tPvRmT1_PNSt15iterator_traitsISK_E10value_typeET2_T3_PNSL_ISQ_E10value_typeET4_jRbjT5_SW_jjP12ihipStream_tbEUlT_E_NS1_11comp_targetILNS1_3genE9ELNS1_11target_archE1100ELNS1_3gpuE3ELNS1_3repE0EEENS1_30default_config_static_selectorELNS0_4arch9wavefront6targetE0EEEvSK_.has_dyn_sized_stack, 0
	.set _ZN7rocprim17ROCPRIM_400000_NS6detail17trampoline_kernelINS0_14default_configENS1_36segmented_radix_sort_config_selectorIblEEZNS1_25segmented_radix_sort_implIS3_Lb1EPKbPbPKlPlN2at6native12_GLOBAL__N_18offset_tEEE10hipError_tPvRmT1_PNSt15iterator_traitsISK_E10value_typeET2_T3_PNSL_ISQ_E10value_typeET4_jRbjT5_SW_jjP12ihipStream_tbEUlT_E_NS1_11comp_targetILNS1_3genE9ELNS1_11target_archE1100ELNS1_3gpuE3ELNS1_3repE0EEENS1_30default_config_static_selectorELNS0_4arch9wavefront6targetE0EEEvSK_.has_recursion, 0
	.set _ZN7rocprim17ROCPRIM_400000_NS6detail17trampoline_kernelINS0_14default_configENS1_36segmented_radix_sort_config_selectorIblEEZNS1_25segmented_radix_sort_implIS3_Lb1EPKbPbPKlPlN2at6native12_GLOBAL__N_18offset_tEEE10hipError_tPvRmT1_PNSt15iterator_traitsISK_E10value_typeET2_T3_PNSL_ISQ_E10value_typeET4_jRbjT5_SW_jjP12ihipStream_tbEUlT_E_NS1_11comp_targetILNS1_3genE9ELNS1_11target_archE1100ELNS1_3gpuE3ELNS1_3repE0EEENS1_30default_config_static_selectorELNS0_4arch9wavefront6targetE0EEEvSK_.has_indirect_call, 0
	.section	.AMDGPU.csdata,"",@progbits
; Kernel info:
; codeLenInByte = 0
; TotalNumSgprs: 0
; NumVgprs: 0
; ScratchSize: 0
; MemoryBound: 0
; FloatMode: 240
; IeeeMode: 1
; LDSByteSize: 0 bytes/workgroup (compile time only)
; SGPRBlocks: 0
; VGPRBlocks: 0
; NumSGPRsForWavesPerEU: 1
; NumVGPRsForWavesPerEU: 1
; Occupancy: 16
; WaveLimiterHint : 0
; COMPUTE_PGM_RSRC2:SCRATCH_EN: 0
; COMPUTE_PGM_RSRC2:USER_SGPR: 2
; COMPUTE_PGM_RSRC2:TRAP_HANDLER: 0
; COMPUTE_PGM_RSRC2:TGID_X_EN: 1
; COMPUTE_PGM_RSRC2:TGID_Y_EN: 0
; COMPUTE_PGM_RSRC2:TGID_Z_EN: 0
; COMPUTE_PGM_RSRC2:TIDIG_COMP_CNT: 0
	.section	.text._ZN7rocprim17ROCPRIM_400000_NS6detail17trampoline_kernelINS0_14default_configENS1_36segmented_radix_sort_config_selectorIblEEZNS1_25segmented_radix_sort_implIS3_Lb1EPKbPbPKlPlN2at6native12_GLOBAL__N_18offset_tEEE10hipError_tPvRmT1_PNSt15iterator_traitsISK_E10value_typeET2_T3_PNSL_ISQ_E10value_typeET4_jRbjT5_SW_jjP12ihipStream_tbEUlT_E_NS1_11comp_targetILNS1_3genE8ELNS1_11target_archE1030ELNS1_3gpuE2ELNS1_3repE0EEENS1_30default_config_static_selectorELNS0_4arch9wavefront6targetE0EEEvSK_,"axG",@progbits,_ZN7rocprim17ROCPRIM_400000_NS6detail17trampoline_kernelINS0_14default_configENS1_36segmented_radix_sort_config_selectorIblEEZNS1_25segmented_radix_sort_implIS3_Lb1EPKbPbPKlPlN2at6native12_GLOBAL__N_18offset_tEEE10hipError_tPvRmT1_PNSt15iterator_traitsISK_E10value_typeET2_T3_PNSL_ISQ_E10value_typeET4_jRbjT5_SW_jjP12ihipStream_tbEUlT_E_NS1_11comp_targetILNS1_3genE8ELNS1_11target_archE1030ELNS1_3gpuE2ELNS1_3repE0EEENS1_30default_config_static_selectorELNS0_4arch9wavefront6targetE0EEEvSK_,comdat
	.globl	_ZN7rocprim17ROCPRIM_400000_NS6detail17trampoline_kernelINS0_14default_configENS1_36segmented_radix_sort_config_selectorIblEEZNS1_25segmented_radix_sort_implIS3_Lb1EPKbPbPKlPlN2at6native12_GLOBAL__N_18offset_tEEE10hipError_tPvRmT1_PNSt15iterator_traitsISK_E10value_typeET2_T3_PNSL_ISQ_E10value_typeET4_jRbjT5_SW_jjP12ihipStream_tbEUlT_E_NS1_11comp_targetILNS1_3genE8ELNS1_11target_archE1030ELNS1_3gpuE2ELNS1_3repE0EEENS1_30default_config_static_selectorELNS0_4arch9wavefront6targetE0EEEvSK_ ; -- Begin function _ZN7rocprim17ROCPRIM_400000_NS6detail17trampoline_kernelINS0_14default_configENS1_36segmented_radix_sort_config_selectorIblEEZNS1_25segmented_radix_sort_implIS3_Lb1EPKbPbPKlPlN2at6native12_GLOBAL__N_18offset_tEEE10hipError_tPvRmT1_PNSt15iterator_traitsISK_E10value_typeET2_T3_PNSL_ISQ_E10value_typeET4_jRbjT5_SW_jjP12ihipStream_tbEUlT_E_NS1_11comp_targetILNS1_3genE8ELNS1_11target_archE1030ELNS1_3gpuE2ELNS1_3repE0EEENS1_30default_config_static_selectorELNS0_4arch9wavefront6targetE0EEEvSK_
	.p2align	8
	.type	_ZN7rocprim17ROCPRIM_400000_NS6detail17trampoline_kernelINS0_14default_configENS1_36segmented_radix_sort_config_selectorIblEEZNS1_25segmented_radix_sort_implIS3_Lb1EPKbPbPKlPlN2at6native12_GLOBAL__N_18offset_tEEE10hipError_tPvRmT1_PNSt15iterator_traitsISK_E10value_typeET2_T3_PNSL_ISQ_E10value_typeET4_jRbjT5_SW_jjP12ihipStream_tbEUlT_E_NS1_11comp_targetILNS1_3genE8ELNS1_11target_archE1030ELNS1_3gpuE2ELNS1_3repE0EEENS1_30default_config_static_selectorELNS0_4arch9wavefront6targetE0EEEvSK_,@function
_ZN7rocprim17ROCPRIM_400000_NS6detail17trampoline_kernelINS0_14default_configENS1_36segmented_radix_sort_config_selectorIblEEZNS1_25segmented_radix_sort_implIS3_Lb1EPKbPbPKlPlN2at6native12_GLOBAL__N_18offset_tEEE10hipError_tPvRmT1_PNSt15iterator_traitsISK_E10value_typeET2_T3_PNSL_ISQ_E10value_typeET4_jRbjT5_SW_jjP12ihipStream_tbEUlT_E_NS1_11comp_targetILNS1_3genE8ELNS1_11target_archE1030ELNS1_3gpuE2ELNS1_3repE0EEENS1_30default_config_static_selectorELNS0_4arch9wavefront6targetE0EEEvSK_: ; @_ZN7rocprim17ROCPRIM_400000_NS6detail17trampoline_kernelINS0_14default_configENS1_36segmented_radix_sort_config_selectorIblEEZNS1_25segmented_radix_sort_implIS3_Lb1EPKbPbPKlPlN2at6native12_GLOBAL__N_18offset_tEEE10hipError_tPvRmT1_PNSt15iterator_traitsISK_E10value_typeET2_T3_PNSL_ISQ_E10value_typeET4_jRbjT5_SW_jjP12ihipStream_tbEUlT_E_NS1_11comp_targetILNS1_3genE8ELNS1_11target_archE1030ELNS1_3gpuE2ELNS1_3repE0EEENS1_30default_config_static_selectorELNS0_4arch9wavefront6targetE0EEEvSK_
; %bb.0:
	.section	.rodata,"a",@progbits
	.p2align	6, 0x0
	.amdhsa_kernel _ZN7rocprim17ROCPRIM_400000_NS6detail17trampoline_kernelINS0_14default_configENS1_36segmented_radix_sort_config_selectorIblEEZNS1_25segmented_radix_sort_implIS3_Lb1EPKbPbPKlPlN2at6native12_GLOBAL__N_18offset_tEEE10hipError_tPvRmT1_PNSt15iterator_traitsISK_E10value_typeET2_T3_PNSL_ISQ_E10value_typeET4_jRbjT5_SW_jjP12ihipStream_tbEUlT_E_NS1_11comp_targetILNS1_3genE8ELNS1_11target_archE1030ELNS1_3gpuE2ELNS1_3repE0EEENS1_30default_config_static_selectorELNS0_4arch9wavefront6targetE0EEEvSK_
		.amdhsa_group_segment_fixed_size 0
		.amdhsa_private_segment_fixed_size 0
		.amdhsa_kernarg_size 96
		.amdhsa_user_sgpr_count 2
		.amdhsa_user_sgpr_dispatch_ptr 0
		.amdhsa_user_sgpr_queue_ptr 0
		.amdhsa_user_sgpr_kernarg_segment_ptr 1
		.amdhsa_user_sgpr_dispatch_id 0
		.amdhsa_user_sgpr_private_segment_size 0
		.amdhsa_wavefront_size32 1
		.amdhsa_uses_dynamic_stack 0
		.amdhsa_enable_private_segment 0
		.amdhsa_system_sgpr_workgroup_id_x 1
		.amdhsa_system_sgpr_workgroup_id_y 0
		.amdhsa_system_sgpr_workgroup_id_z 0
		.amdhsa_system_sgpr_workgroup_info 0
		.amdhsa_system_vgpr_workitem_id 0
		.amdhsa_next_free_vgpr 1
		.amdhsa_next_free_sgpr 1
		.amdhsa_reserve_vcc 0
		.amdhsa_float_round_mode_32 0
		.amdhsa_float_round_mode_16_64 0
		.amdhsa_float_denorm_mode_32 3
		.amdhsa_float_denorm_mode_16_64 3
		.amdhsa_fp16_overflow 0
		.amdhsa_workgroup_processor_mode 1
		.amdhsa_memory_ordered 1
		.amdhsa_forward_progress 1
		.amdhsa_inst_pref_size 0
		.amdhsa_round_robin_scheduling 0
		.amdhsa_exception_fp_ieee_invalid_op 0
		.amdhsa_exception_fp_denorm_src 0
		.amdhsa_exception_fp_ieee_div_zero 0
		.amdhsa_exception_fp_ieee_overflow 0
		.amdhsa_exception_fp_ieee_underflow 0
		.amdhsa_exception_fp_ieee_inexact 0
		.amdhsa_exception_int_div_zero 0
	.end_amdhsa_kernel
	.section	.text._ZN7rocprim17ROCPRIM_400000_NS6detail17trampoline_kernelINS0_14default_configENS1_36segmented_radix_sort_config_selectorIblEEZNS1_25segmented_radix_sort_implIS3_Lb1EPKbPbPKlPlN2at6native12_GLOBAL__N_18offset_tEEE10hipError_tPvRmT1_PNSt15iterator_traitsISK_E10value_typeET2_T3_PNSL_ISQ_E10value_typeET4_jRbjT5_SW_jjP12ihipStream_tbEUlT_E_NS1_11comp_targetILNS1_3genE8ELNS1_11target_archE1030ELNS1_3gpuE2ELNS1_3repE0EEENS1_30default_config_static_selectorELNS0_4arch9wavefront6targetE0EEEvSK_,"axG",@progbits,_ZN7rocprim17ROCPRIM_400000_NS6detail17trampoline_kernelINS0_14default_configENS1_36segmented_radix_sort_config_selectorIblEEZNS1_25segmented_radix_sort_implIS3_Lb1EPKbPbPKlPlN2at6native12_GLOBAL__N_18offset_tEEE10hipError_tPvRmT1_PNSt15iterator_traitsISK_E10value_typeET2_T3_PNSL_ISQ_E10value_typeET4_jRbjT5_SW_jjP12ihipStream_tbEUlT_E_NS1_11comp_targetILNS1_3genE8ELNS1_11target_archE1030ELNS1_3gpuE2ELNS1_3repE0EEENS1_30default_config_static_selectorELNS0_4arch9wavefront6targetE0EEEvSK_,comdat
.Lfunc_end1541:
	.size	_ZN7rocprim17ROCPRIM_400000_NS6detail17trampoline_kernelINS0_14default_configENS1_36segmented_radix_sort_config_selectorIblEEZNS1_25segmented_radix_sort_implIS3_Lb1EPKbPbPKlPlN2at6native12_GLOBAL__N_18offset_tEEE10hipError_tPvRmT1_PNSt15iterator_traitsISK_E10value_typeET2_T3_PNSL_ISQ_E10value_typeET4_jRbjT5_SW_jjP12ihipStream_tbEUlT_E_NS1_11comp_targetILNS1_3genE8ELNS1_11target_archE1030ELNS1_3gpuE2ELNS1_3repE0EEENS1_30default_config_static_selectorELNS0_4arch9wavefront6targetE0EEEvSK_, .Lfunc_end1541-_ZN7rocprim17ROCPRIM_400000_NS6detail17trampoline_kernelINS0_14default_configENS1_36segmented_radix_sort_config_selectorIblEEZNS1_25segmented_radix_sort_implIS3_Lb1EPKbPbPKlPlN2at6native12_GLOBAL__N_18offset_tEEE10hipError_tPvRmT1_PNSt15iterator_traitsISK_E10value_typeET2_T3_PNSL_ISQ_E10value_typeET4_jRbjT5_SW_jjP12ihipStream_tbEUlT_E_NS1_11comp_targetILNS1_3genE8ELNS1_11target_archE1030ELNS1_3gpuE2ELNS1_3repE0EEENS1_30default_config_static_selectorELNS0_4arch9wavefront6targetE0EEEvSK_
                                        ; -- End function
	.set _ZN7rocprim17ROCPRIM_400000_NS6detail17trampoline_kernelINS0_14default_configENS1_36segmented_radix_sort_config_selectorIblEEZNS1_25segmented_radix_sort_implIS3_Lb1EPKbPbPKlPlN2at6native12_GLOBAL__N_18offset_tEEE10hipError_tPvRmT1_PNSt15iterator_traitsISK_E10value_typeET2_T3_PNSL_ISQ_E10value_typeET4_jRbjT5_SW_jjP12ihipStream_tbEUlT_E_NS1_11comp_targetILNS1_3genE8ELNS1_11target_archE1030ELNS1_3gpuE2ELNS1_3repE0EEENS1_30default_config_static_selectorELNS0_4arch9wavefront6targetE0EEEvSK_.num_vgpr, 0
	.set _ZN7rocprim17ROCPRIM_400000_NS6detail17trampoline_kernelINS0_14default_configENS1_36segmented_radix_sort_config_selectorIblEEZNS1_25segmented_radix_sort_implIS3_Lb1EPKbPbPKlPlN2at6native12_GLOBAL__N_18offset_tEEE10hipError_tPvRmT1_PNSt15iterator_traitsISK_E10value_typeET2_T3_PNSL_ISQ_E10value_typeET4_jRbjT5_SW_jjP12ihipStream_tbEUlT_E_NS1_11comp_targetILNS1_3genE8ELNS1_11target_archE1030ELNS1_3gpuE2ELNS1_3repE0EEENS1_30default_config_static_selectorELNS0_4arch9wavefront6targetE0EEEvSK_.num_agpr, 0
	.set _ZN7rocprim17ROCPRIM_400000_NS6detail17trampoline_kernelINS0_14default_configENS1_36segmented_radix_sort_config_selectorIblEEZNS1_25segmented_radix_sort_implIS3_Lb1EPKbPbPKlPlN2at6native12_GLOBAL__N_18offset_tEEE10hipError_tPvRmT1_PNSt15iterator_traitsISK_E10value_typeET2_T3_PNSL_ISQ_E10value_typeET4_jRbjT5_SW_jjP12ihipStream_tbEUlT_E_NS1_11comp_targetILNS1_3genE8ELNS1_11target_archE1030ELNS1_3gpuE2ELNS1_3repE0EEENS1_30default_config_static_selectorELNS0_4arch9wavefront6targetE0EEEvSK_.numbered_sgpr, 0
	.set _ZN7rocprim17ROCPRIM_400000_NS6detail17trampoline_kernelINS0_14default_configENS1_36segmented_radix_sort_config_selectorIblEEZNS1_25segmented_radix_sort_implIS3_Lb1EPKbPbPKlPlN2at6native12_GLOBAL__N_18offset_tEEE10hipError_tPvRmT1_PNSt15iterator_traitsISK_E10value_typeET2_T3_PNSL_ISQ_E10value_typeET4_jRbjT5_SW_jjP12ihipStream_tbEUlT_E_NS1_11comp_targetILNS1_3genE8ELNS1_11target_archE1030ELNS1_3gpuE2ELNS1_3repE0EEENS1_30default_config_static_selectorELNS0_4arch9wavefront6targetE0EEEvSK_.num_named_barrier, 0
	.set _ZN7rocprim17ROCPRIM_400000_NS6detail17trampoline_kernelINS0_14default_configENS1_36segmented_radix_sort_config_selectorIblEEZNS1_25segmented_radix_sort_implIS3_Lb1EPKbPbPKlPlN2at6native12_GLOBAL__N_18offset_tEEE10hipError_tPvRmT1_PNSt15iterator_traitsISK_E10value_typeET2_T3_PNSL_ISQ_E10value_typeET4_jRbjT5_SW_jjP12ihipStream_tbEUlT_E_NS1_11comp_targetILNS1_3genE8ELNS1_11target_archE1030ELNS1_3gpuE2ELNS1_3repE0EEENS1_30default_config_static_selectorELNS0_4arch9wavefront6targetE0EEEvSK_.private_seg_size, 0
	.set _ZN7rocprim17ROCPRIM_400000_NS6detail17trampoline_kernelINS0_14default_configENS1_36segmented_radix_sort_config_selectorIblEEZNS1_25segmented_radix_sort_implIS3_Lb1EPKbPbPKlPlN2at6native12_GLOBAL__N_18offset_tEEE10hipError_tPvRmT1_PNSt15iterator_traitsISK_E10value_typeET2_T3_PNSL_ISQ_E10value_typeET4_jRbjT5_SW_jjP12ihipStream_tbEUlT_E_NS1_11comp_targetILNS1_3genE8ELNS1_11target_archE1030ELNS1_3gpuE2ELNS1_3repE0EEENS1_30default_config_static_selectorELNS0_4arch9wavefront6targetE0EEEvSK_.uses_vcc, 0
	.set _ZN7rocprim17ROCPRIM_400000_NS6detail17trampoline_kernelINS0_14default_configENS1_36segmented_radix_sort_config_selectorIblEEZNS1_25segmented_radix_sort_implIS3_Lb1EPKbPbPKlPlN2at6native12_GLOBAL__N_18offset_tEEE10hipError_tPvRmT1_PNSt15iterator_traitsISK_E10value_typeET2_T3_PNSL_ISQ_E10value_typeET4_jRbjT5_SW_jjP12ihipStream_tbEUlT_E_NS1_11comp_targetILNS1_3genE8ELNS1_11target_archE1030ELNS1_3gpuE2ELNS1_3repE0EEENS1_30default_config_static_selectorELNS0_4arch9wavefront6targetE0EEEvSK_.uses_flat_scratch, 0
	.set _ZN7rocprim17ROCPRIM_400000_NS6detail17trampoline_kernelINS0_14default_configENS1_36segmented_radix_sort_config_selectorIblEEZNS1_25segmented_radix_sort_implIS3_Lb1EPKbPbPKlPlN2at6native12_GLOBAL__N_18offset_tEEE10hipError_tPvRmT1_PNSt15iterator_traitsISK_E10value_typeET2_T3_PNSL_ISQ_E10value_typeET4_jRbjT5_SW_jjP12ihipStream_tbEUlT_E_NS1_11comp_targetILNS1_3genE8ELNS1_11target_archE1030ELNS1_3gpuE2ELNS1_3repE0EEENS1_30default_config_static_selectorELNS0_4arch9wavefront6targetE0EEEvSK_.has_dyn_sized_stack, 0
	.set _ZN7rocprim17ROCPRIM_400000_NS6detail17trampoline_kernelINS0_14default_configENS1_36segmented_radix_sort_config_selectorIblEEZNS1_25segmented_radix_sort_implIS3_Lb1EPKbPbPKlPlN2at6native12_GLOBAL__N_18offset_tEEE10hipError_tPvRmT1_PNSt15iterator_traitsISK_E10value_typeET2_T3_PNSL_ISQ_E10value_typeET4_jRbjT5_SW_jjP12ihipStream_tbEUlT_E_NS1_11comp_targetILNS1_3genE8ELNS1_11target_archE1030ELNS1_3gpuE2ELNS1_3repE0EEENS1_30default_config_static_selectorELNS0_4arch9wavefront6targetE0EEEvSK_.has_recursion, 0
	.set _ZN7rocprim17ROCPRIM_400000_NS6detail17trampoline_kernelINS0_14default_configENS1_36segmented_radix_sort_config_selectorIblEEZNS1_25segmented_radix_sort_implIS3_Lb1EPKbPbPKlPlN2at6native12_GLOBAL__N_18offset_tEEE10hipError_tPvRmT1_PNSt15iterator_traitsISK_E10value_typeET2_T3_PNSL_ISQ_E10value_typeET4_jRbjT5_SW_jjP12ihipStream_tbEUlT_E_NS1_11comp_targetILNS1_3genE8ELNS1_11target_archE1030ELNS1_3gpuE2ELNS1_3repE0EEENS1_30default_config_static_selectorELNS0_4arch9wavefront6targetE0EEEvSK_.has_indirect_call, 0
	.section	.AMDGPU.csdata,"",@progbits
; Kernel info:
; codeLenInByte = 0
; TotalNumSgprs: 0
; NumVgprs: 0
; ScratchSize: 0
; MemoryBound: 0
; FloatMode: 240
; IeeeMode: 1
; LDSByteSize: 0 bytes/workgroup (compile time only)
; SGPRBlocks: 0
; VGPRBlocks: 0
; NumSGPRsForWavesPerEU: 1
; NumVGPRsForWavesPerEU: 1
; Occupancy: 16
; WaveLimiterHint : 0
; COMPUTE_PGM_RSRC2:SCRATCH_EN: 0
; COMPUTE_PGM_RSRC2:USER_SGPR: 2
; COMPUTE_PGM_RSRC2:TRAP_HANDLER: 0
; COMPUTE_PGM_RSRC2:TGID_X_EN: 1
; COMPUTE_PGM_RSRC2:TGID_Y_EN: 0
; COMPUTE_PGM_RSRC2:TGID_Z_EN: 0
; COMPUTE_PGM_RSRC2:TIDIG_COMP_CNT: 0
	.section	.text._ZN7rocprim17ROCPRIM_400000_NS6detail17trampoline_kernelINS0_14default_configENS1_36segmented_radix_sort_config_selectorIblEEZNS1_25segmented_radix_sort_implIS3_Lb1EPKbPbPKlPlN2at6native12_GLOBAL__N_18offset_tEEE10hipError_tPvRmT1_PNSt15iterator_traitsISK_E10value_typeET2_T3_PNSL_ISQ_E10value_typeET4_jRbjT5_SW_jjP12ihipStream_tbEUlT_E0_NS1_11comp_targetILNS1_3genE0ELNS1_11target_archE4294967295ELNS1_3gpuE0ELNS1_3repE0EEENS1_60segmented_radix_sort_warp_sort_medium_config_static_selectorELNS0_4arch9wavefront6targetE0EEEvSK_,"axG",@progbits,_ZN7rocprim17ROCPRIM_400000_NS6detail17trampoline_kernelINS0_14default_configENS1_36segmented_radix_sort_config_selectorIblEEZNS1_25segmented_radix_sort_implIS3_Lb1EPKbPbPKlPlN2at6native12_GLOBAL__N_18offset_tEEE10hipError_tPvRmT1_PNSt15iterator_traitsISK_E10value_typeET2_T3_PNSL_ISQ_E10value_typeET4_jRbjT5_SW_jjP12ihipStream_tbEUlT_E0_NS1_11comp_targetILNS1_3genE0ELNS1_11target_archE4294967295ELNS1_3gpuE0ELNS1_3repE0EEENS1_60segmented_radix_sort_warp_sort_medium_config_static_selectorELNS0_4arch9wavefront6targetE0EEEvSK_,comdat
	.globl	_ZN7rocprim17ROCPRIM_400000_NS6detail17trampoline_kernelINS0_14default_configENS1_36segmented_radix_sort_config_selectorIblEEZNS1_25segmented_radix_sort_implIS3_Lb1EPKbPbPKlPlN2at6native12_GLOBAL__N_18offset_tEEE10hipError_tPvRmT1_PNSt15iterator_traitsISK_E10value_typeET2_T3_PNSL_ISQ_E10value_typeET4_jRbjT5_SW_jjP12ihipStream_tbEUlT_E0_NS1_11comp_targetILNS1_3genE0ELNS1_11target_archE4294967295ELNS1_3gpuE0ELNS1_3repE0EEENS1_60segmented_radix_sort_warp_sort_medium_config_static_selectorELNS0_4arch9wavefront6targetE0EEEvSK_ ; -- Begin function _ZN7rocprim17ROCPRIM_400000_NS6detail17trampoline_kernelINS0_14default_configENS1_36segmented_radix_sort_config_selectorIblEEZNS1_25segmented_radix_sort_implIS3_Lb1EPKbPbPKlPlN2at6native12_GLOBAL__N_18offset_tEEE10hipError_tPvRmT1_PNSt15iterator_traitsISK_E10value_typeET2_T3_PNSL_ISQ_E10value_typeET4_jRbjT5_SW_jjP12ihipStream_tbEUlT_E0_NS1_11comp_targetILNS1_3genE0ELNS1_11target_archE4294967295ELNS1_3gpuE0ELNS1_3repE0EEENS1_60segmented_radix_sort_warp_sort_medium_config_static_selectorELNS0_4arch9wavefront6targetE0EEEvSK_
	.p2align	8
	.type	_ZN7rocprim17ROCPRIM_400000_NS6detail17trampoline_kernelINS0_14default_configENS1_36segmented_radix_sort_config_selectorIblEEZNS1_25segmented_radix_sort_implIS3_Lb1EPKbPbPKlPlN2at6native12_GLOBAL__N_18offset_tEEE10hipError_tPvRmT1_PNSt15iterator_traitsISK_E10value_typeET2_T3_PNSL_ISQ_E10value_typeET4_jRbjT5_SW_jjP12ihipStream_tbEUlT_E0_NS1_11comp_targetILNS1_3genE0ELNS1_11target_archE4294967295ELNS1_3gpuE0ELNS1_3repE0EEENS1_60segmented_radix_sort_warp_sort_medium_config_static_selectorELNS0_4arch9wavefront6targetE0EEEvSK_,@function
_ZN7rocprim17ROCPRIM_400000_NS6detail17trampoline_kernelINS0_14default_configENS1_36segmented_radix_sort_config_selectorIblEEZNS1_25segmented_radix_sort_implIS3_Lb1EPKbPbPKlPlN2at6native12_GLOBAL__N_18offset_tEEE10hipError_tPvRmT1_PNSt15iterator_traitsISK_E10value_typeET2_T3_PNSL_ISQ_E10value_typeET4_jRbjT5_SW_jjP12ihipStream_tbEUlT_E0_NS1_11comp_targetILNS1_3genE0ELNS1_11target_archE4294967295ELNS1_3gpuE0ELNS1_3repE0EEENS1_60segmented_radix_sort_warp_sort_medium_config_static_selectorELNS0_4arch9wavefront6targetE0EEEvSK_: ; @_ZN7rocprim17ROCPRIM_400000_NS6detail17trampoline_kernelINS0_14default_configENS1_36segmented_radix_sort_config_selectorIblEEZNS1_25segmented_radix_sort_implIS3_Lb1EPKbPbPKlPlN2at6native12_GLOBAL__N_18offset_tEEE10hipError_tPvRmT1_PNSt15iterator_traitsISK_E10value_typeET2_T3_PNSL_ISQ_E10value_typeET4_jRbjT5_SW_jjP12ihipStream_tbEUlT_E0_NS1_11comp_targetILNS1_3genE0ELNS1_11target_archE4294967295ELNS1_3gpuE0ELNS1_3repE0EEENS1_60segmented_radix_sort_warp_sort_medium_config_static_selectorELNS0_4arch9wavefront6targetE0EEEvSK_
; %bb.0:
	.section	.rodata,"a",@progbits
	.p2align	6, 0x0
	.amdhsa_kernel _ZN7rocprim17ROCPRIM_400000_NS6detail17trampoline_kernelINS0_14default_configENS1_36segmented_radix_sort_config_selectorIblEEZNS1_25segmented_radix_sort_implIS3_Lb1EPKbPbPKlPlN2at6native12_GLOBAL__N_18offset_tEEE10hipError_tPvRmT1_PNSt15iterator_traitsISK_E10value_typeET2_T3_PNSL_ISQ_E10value_typeET4_jRbjT5_SW_jjP12ihipStream_tbEUlT_E0_NS1_11comp_targetILNS1_3genE0ELNS1_11target_archE4294967295ELNS1_3gpuE0ELNS1_3repE0EEENS1_60segmented_radix_sort_warp_sort_medium_config_static_selectorELNS0_4arch9wavefront6targetE0EEEvSK_
		.amdhsa_group_segment_fixed_size 0
		.amdhsa_private_segment_fixed_size 0
		.amdhsa_kernarg_size 88
		.amdhsa_user_sgpr_count 2
		.amdhsa_user_sgpr_dispatch_ptr 0
		.amdhsa_user_sgpr_queue_ptr 0
		.amdhsa_user_sgpr_kernarg_segment_ptr 1
		.amdhsa_user_sgpr_dispatch_id 0
		.amdhsa_user_sgpr_private_segment_size 0
		.amdhsa_wavefront_size32 1
		.amdhsa_uses_dynamic_stack 0
		.amdhsa_enable_private_segment 0
		.amdhsa_system_sgpr_workgroup_id_x 1
		.amdhsa_system_sgpr_workgroup_id_y 0
		.amdhsa_system_sgpr_workgroup_id_z 0
		.amdhsa_system_sgpr_workgroup_info 0
		.amdhsa_system_vgpr_workitem_id 0
		.amdhsa_next_free_vgpr 1
		.amdhsa_next_free_sgpr 1
		.amdhsa_reserve_vcc 0
		.amdhsa_float_round_mode_32 0
		.amdhsa_float_round_mode_16_64 0
		.amdhsa_float_denorm_mode_32 3
		.amdhsa_float_denorm_mode_16_64 3
		.amdhsa_fp16_overflow 0
		.amdhsa_workgroup_processor_mode 1
		.amdhsa_memory_ordered 1
		.amdhsa_forward_progress 1
		.amdhsa_inst_pref_size 0
		.amdhsa_round_robin_scheduling 0
		.amdhsa_exception_fp_ieee_invalid_op 0
		.amdhsa_exception_fp_denorm_src 0
		.amdhsa_exception_fp_ieee_div_zero 0
		.amdhsa_exception_fp_ieee_overflow 0
		.amdhsa_exception_fp_ieee_underflow 0
		.amdhsa_exception_fp_ieee_inexact 0
		.amdhsa_exception_int_div_zero 0
	.end_amdhsa_kernel
	.section	.text._ZN7rocprim17ROCPRIM_400000_NS6detail17trampoline_kernelINS0_14default_configENS1_36segmented_radix_sort_config_selectorIblEEZNS1_25segmented_radix_sort_implIS3_Lb1EPKbPbPKlPlN2at6native12_GLOBAL__N_18offset_tEEE10hipError_tPvRmT1_PNSt15iterator_traitsISK_E10value_typeET2_T3_PNSL_ISQ_E10value_typeET4_jRbjT5_SW_jjP12ihipStream_tbEUlT_E0_NS1_11comp_targetILNS1_3genE0ELNS1_11target_archE4294967295ELNS1_3gpuE0ELNS1_3repE0EEENS1_60segmented_radix_sort_warp_sort_medium_config_static_selectorELNS0_4arch9wavefront6targetE0EEEvSK_,"axG",@progbits,_ZN7rocprim17ROCPRIM_400000_NS6detail17trampoline_kernelINS0_14default_configENS1_36segmented_radix_sort_config_selectorIblEEZNS1_25segmented_radix_sort_implIS3_Lb1EPKbPbPKlPlN2at6native12_GLOBAL__N_18offset_tEEE10hipError_tPvRmT1_PNSt15iterator_traitsISK_E10value_typeET2_T3_PNSL_ISQ_E10value_typeET4_jRbjT5_SW_jjP12ihipStream_tbEUlT_E0_NS1_11comp_targetILNS1_3genE0ELNS1_11target_archE4294967295ELNS1_3gpuE0ELNS1_3repE0EEENS1_60segmented_radix_sort_warp_sort_medium_config_static_selectorELNS0_4arch9wavefront6targetE0EEEvSK_,comdat
.Lfunc_end1542:
	.size	_ZN7rocprim17ROCPRIM_400000_NS6detail17trampoline_kernelINS0_14default_configENS1_36segmented_radix_sort_config_selectorIblEEZNS1_25segmented_radix_sort_implIS3_Lb1EPKbPbPKlPlN2at6native12_GLOBAL__N_18offset_tEEE10hipError_tPvRmT1_PNSt15iterator_traitsISK_E10value_typeET2_T3_PNSL_ISQ_E10value_typeET4_jRbjT5_SW_jjP12ihipStream_tbEUlT_E0_NS1_11comp_targetILNS1_3genE0ELNS1_11target_archE4294967295ELNS1_3gpuE0ELNS1_3repE0EEENS1_60segmented_radix_sort_warp_sort_medium_config_static_selectorELNS0_4arch9wavefront6targetE0EEEvSK_, .Lfunc_end1542-_ZN7rocprim17ROCPRIM_400000_NS6detail17trampoline_kernelINS0_14default_configENS1_36segmented_radix_sort_config_selectorIblEEZNS1_25segmented_radix_sort_implIS3_Lb1EPKbPbPKlPlN2at6native12_GLOBAL__N_18offset_tEEE10hipError_tPvRmT1_PNSt15iterator_traitsISK_E10value_typeET2_T3_PNSL_ISQ_E10value_typeET4_jRbjT5_SW_jjP12ihipStream_tbEUlT_E0_NS1_11comp_targetILNS1_3genE0ELNS1_11target_archE4294967295ELNS1_3gpuE0ELNS1_3repE0EEENS1_60segmented_radix_sort_warp_sort_medium_config_static_selectorELNS0_4arch9wavefront6targetE0EEEvSK_
                                        ; -- End function
	.set _ZN7rocprim17ROCPRIM_400000_NS6detail17trampoline_kernelINS0_14default_configENS1_36segmented_radix_sort_config_selectorIblEEZNS1_25segmented_radix_sort_implIS3_Lb1EPKbPbPKlPlN2at6native12_GLOBAL__N_18offset_tEEE10hipError_tPvRmT1_PNSt15iterator_traitsISK_E10value_typeET2_T3_PNSL_ISQ_E10value_typeET4_jRbjT5_SW_jjP12ihipStream_tbEUlT_E0_NS1_11comp_targetILNS1_3genE0ELNS1_11target_archE4294967295ELNS1_3gpuE0ELNS1_3repE0EEENS1_60segmented_radix_sort_warp_sort_medium_config_static_selectorELNS0_4arch9wavefront6targetE0EEEvSK_.num_vgpr, 0
	.set _ZN7rocprim17ROCPRIM_400000_NS6detail17trampoline_kernelINS0_14default_configENS1_36segmented_radix_sort_config_selectorIblEEZNS1_25segmented_radix_sort_implIS3_Lb1EPKbPbPKlPlN2at6native12_GLOBAL__N_18offset_tEEE10hipError_tPvRmT1_PNSt15iterator_traitsISK_E10value_typeET2_T3_PNSL_ISQ_E10value_typeET4_jRbjT5_SW_jjP12ihipStream_tbEUlT_E0_NS1_11comp_targetILNS1_3genE0ELNS1_11target_archE4294967295ELNS1_3gpuE0ELNS1_3repE0EEENS1_60segmented_radix_sort_warp_sort_medium_config_static_selectorELNS0_4arch9wavefront6targetE0EEEvSK_.num_agpr, 0
	.set _ZN7rocprim17ROCPRIM_400000_NS6detail17trampoline_kernelINS0_14default_configENS1_36segmented_radix_sort_config_selectorIblEEZNS1_25segmented_radix_sort_implIS3_Lb1EPKbPbPKlPlN2at6native12_GLOBAL__N_18offset_tEEE10hipError_tPvRmT1_PNSt15iterator_traitsISK_E10value_typeET2_T3_PNSL_ISQ_E10value_typeET4_jRbjT5_SW_jjP12ihipStream_tbEUlT_E0_NS1_11comp_targetILNS1_3genE0ELNS1_11target_archE4294967295ELNS1_3gpuE0ELNS1_3repE0EEENS1_60segmented_radix_sort_warp_sort_medium_config_static_selectorELNS0_4arch9wavefront6targetE0EEEvSK_.numbered_sgpr, 0
	.set _ZN7rocprim17ROCPRIM_400000_NS6detail17trampoline_kernelINS0_14default_configENS1_36segmented_radix_sort_config_selectorIblEEZNS1_25segmented_radix_sort_implIS3_Lb1EPKbPbPKlPlN2at6native12_GLOBAL__N_18offset_tEEE10hipError_tPvRmT1_PNSt15iterator_traitsISK_E10value_typeET2_T3_PNSL_ISQ_E10value_typeET4_jRbjT5_SW_jjP12ihipStream_tbEUlT_E0_NS1_11comp_targetILNS1_3genE0ELNS1_11target_archE4294967295ELNS1_3gpuE0ELNS1_3repE0EEENS1_60segmented_radix_sort_warp_sort_medium_config_static_selectorELNS0_4arch9wavefront6targetE0EEEvSK_.num_named_barrier, 0
	.set _ZN7rocprim17ROCPRIM_400000_NS6detail17trampoline_kernelINS0_14default_configENS1_36segmented_radix_sort_config_selectorIblEEZNS1_25segmented_radix_sort_implIS3_Lb1EPKbPbPKlPlN2at6native12_GLOBAL__N_18offset_tEEE10hipError_tPvRmT1_PNSt15iterator_traitsISK_E10value_typeET2_T3_PNSL_ISQ_E10value_typeET4_jRbjT5_SW_jjP12ihipStream_tbEUlT_E0_NS1_11comp_targetILNS1_3genE0ELNS1_11target_archE4294967295ELNS1_3gpuE0ELNS1_3repE0EEENS1_60segmented_radix_sort_warp_sort_medium_config_static_selectorELNS0_4arch9wavefront6targetE0EEEvSK_.private_seg_size, 0
	.set _ZN7rocprim17ROCPRIM_400000_NS6detail17trampoline_kernelINS0_14default_configENS1_36segmented_radix_sort_config_selectorIblEEZNS1_25segmented_radix_sort_implIS3_Lb1EPKbPbPKlPlN2at6native12_GLOBAL__N_18offset_tEEE10hipError_tPvRmT1_PNSt15iterator_traitsISK_E10value_typeET2_T3_PNSL_ISQ_E10value_typeET4_jRbjT5_SW_jjP12ihipStream_tbEUlT_E0_NS1_11comp_targetILNS1_3genE0ELNS1_11target_archE4294967295ELNS1_3gpuE0ELNS1_3repE0EEENS1_60segmented_radix_sort_warp_sort_medium_config_static_selectorELNS0_4arch9wavefront6targetE0EEEvSK_.uses_vcc, 0
	.set _ZN7rocprim17ROCPRIM_400000_NS6detail17trampoline_kernelINS0_14default_configENS1_36segmented_radix_sort_config_selectorIblEEZNS1_25segmented_radix_sort_implIS3_Lb1EPKbPbPKlPlN2at6native12_GLOBAL__N_18offset_tEEE10hipError_tPvRmT1_PNSt15iterator_traitsISK_E10value_typeET2_T3_PNSL_ISQ_E10value_typeET4_jRbjT5_SW_jjP12ihipStream_tbEUlT_E0_NS1_11comp_targetILNS1_3genE0ELNS1_11target_archE4294967295ELNS1_3gpuE0ELNS1_3repE0EEENS1_60segmented_radix_sort_warp_sort_medium_config_static_selectorELNS0_4arch9wavefront6targetE0EEEvSK_.uses_flat_scratch, 0
	.set _ZN7rocprim17ROCPRIM_400000_NS6detail17trampoline_kernelINS0_14default_configENS1_36segmented_radix_sort_config_selectorIblEEZNS1_25segmented_radix_sort_implIS3_Lb1EPKbPbPKlPlN2at6native12_GLOBAL__N_18offset_tEEE10hipError_tPvRmT1_PNSt15iterator_traitsISK_E10value_typeET2_T3_PNSL_ISQ_E10value_typeET4_jRbjT5_SW_jjP12ihipStream_tbEUlT_E0_NS1_11comp_targetILNS1_3genE0ELNS1_11target_archE4294967295ELNS1_3gpuE0ELNS1_3repE0EEENS1_60segmented_radix_sort_warp_sort_medium_config_static_selectorELNS0_4arch9wavefront6targetE0EEEvSK_.has_dyn_sized_stack, 0
	.set _ZN7rocprim17ROCPRIM_400000_NS6detail17trampoline_kernelINS0_14default_configENS1_36segmented_radix_sort_config_selectorIblEEZNS1_25segmented_radix_sort_implIS3_Lb1EPKbPbPKlPlN2at6native12_GLOBAL__N_18offset_tEEE10hipError_tPvRmT1_PNSt15iterator_traitsISK_E10value_typeET2_T3_PNSL_ISQ_E10value_typeET4_jRbjT5_SW_jjP12ihipStream_tbEUlT_E0_NS1_11comp_targetILNS1_3genE0ELNS1_11target_archE4294967295ELNS1_3gpuE0ELNS1_3repE0EEENS1_60segmented_radix_sort_warp_sort_medium_config_static_selectorELNS0_4arch9wavefront6targetE0EEEvSK_.has_recursion, 0
	.set _ZN7rocprim17ROCPRIM_400000_NS6detail17trampoline_kernelINS0_14default_configENS1_36segmented_radix_sort_config_selectorIblEEZNS1_25segmented_radix_sort_implIS3_Lb1EPKbPbPKlPlN2at6native12_GLOBAL__N_18offset_tEEE10hipError_tPvRmT1_PNSt15iterator_traitsISK_E10value_typeET2_T3_PNSL_ISQ_E10value_typeET4_jRbjT5_SW_jjP12ihipStream_tbEUlT_E0_NS1_11comp_targetILNS1_3genE0ELNS1_11target_archE4294967295ELNS1_3gpuE0ELNS1_3repE0EEENS1_60segmented_radix_sort_warp_sort_medium_config_static_selectorELNS0_4arch9wavefront6targetE0EEEvSK_.has_indirect_call, 0
	.section	.AMDGPU.csdata,"",@progbits
; Kernel info:
; codeLenInByte = 0
; TotalNumSgprs: 0
; NumVgprs: 0
; ScratchSize: 0
; MemoryBound: 0
; FloatMode: 240
; IeeeMode: 1
; LDSByteSize: 0 bytes/workgroup (compile time only)
; SGPRBlocks: 0
; VGPRBlocks: 0
; NumSGPRsForWavesPerEU: 1
; NumVGPRsForWavesPerEU: 1
; Occupancy: 16
; WaveLimiterHint : 0
; COMPUTE_PGM_RSRC2:SCRATCH_EN: 0
; COMPUTE_PGM_RSRC2:USER_SGPR: 2
; COMPUTE_PGM_RSRC2:TRAP_HANDLER: 0
; COMPUTE_PGM_RSRC2:TGID_X_EN: 1
; COMPUTE_PGM_RSRC2:TGID_Y_EN: 0
; COMPUTE_PGM_RSRC2:TGID_Z_EN: 0
; COMPUTE_PGM_RSRC2:TIDIG_COMP_CNT: 0
	.section	.text._ZN7rocprim17ROCPRIM_400000_NS6detail17trampoline_kernelINS0_14default_configENS1_36segmented_radix_sort_config_selectorIblEEZNS1_25segmented_radix_sort_implIS3_Lb1EPKbPbPKlPlN2at6native12_GLOBAL__N_18offset_tEEE10hipError_tPvRmT1_PNSt15iterator_traitsISK_E10value_typeET2_T3_PNSL_ISQ_E10value_typeET4_jRbjT5_SW_jjP12ihipStream_tbEUlT_E0_NS1_11comp_targetILNS1_3genE5ELNS1_11target_archE942ELNS1_3gpuE9ELNS1_3repE0EEENS1_60segmented_radix_sort_warp_sort_medium_config_static_selectorELNS0_4arch9wavefront6targetE0EEEvSK_,"axG",@progbits,_ZN7rocprim17ROCPRIM_400000_NS6detail17trampoline_kernelINS0_14default_configENS1_36segmented_radix_sort_config_selectorIblEEZNS1_25segmented_radix_sort_implIS3_Lb1EPKbPbPKlPlN2at6native12_GLOBAL__N_18offset_tEEE10hipError_tPvRmT1_PNSt15iterator_traitsISK_E10value_typeET2_T3_PNSL_ISQ_E10value_typeET4_jRbjT5_SW_jjP12ihipStream_tbEUlT_E0_NS1_11comp_targetILNS1_3genE5ELNS1_11target_archE942ELNS1_3gpuE9ELNS1_3repE0EEENS1_60segmented_radix_sort_warp_sort_medium_config_static_selectorELNS0_4arch9wavefront6targetE0EEEvSK_,comdat
	.globl	_ZN7rocprim17ROCPRIM_400000_NS6detail17trampoline_kernelINS0_14default_configENS1_36segmented_radix_sort_config_selectorIblEEZNS1_25segmented_radix_sort_implIS3_Lb1EPKbPbPKlPlN2at6native12_GLOBAL__N_18offset_tEEE10hipError_tPvRmT1_PNSt15iterator_traitsISK_E10value_typeET2_T3_PNSL_ISQ_E10value_typeET4_jRbjT5_SW_jjP12ihipStream_tbEUlT_E0_NS1_11comp_targetILNS1_3genE5ELNS1_11target_archE942ELNS1_3gpuE9ELNS1_3repE0EEENS1_60segmented_radix_sort_warp_sort_medium_config_static_selectorELNS0_4arch9wavefront6targetE0EEEvSK_ ; -- Begin function _ZN7rocprim17ROCPRIM_400000_NS6detail17trampoline_kernelINS0_14default_configENS1_36segmented_radix_sort_config_selectorIblEEZNS1_25segmented_radix_sort_implIS3_Lb1EPKbPbPKlPlN2at6native12_GLOBAL__N_18offset_tEEE10hipError_tPvRmT1_PNSt15iterator_traitsISK_E10value_typeET2_T3_PNSL_ISQ_E10value_typeET4_jRbjT5_SW_jjP12ihipStream_tbEUlT_E0_NS1_11comp_targetILNS1_3genE5ELNS1_11target_archE942ELNS1_3gpuE9ELNS1_3repE0EEENS1_60segmented_radix_sort_warp_sort_medium_config_static_selectorELNS0_4arch9wavefront6targetE0EEEvSK_
	.p2align	8
	.type	_ZN7rocprim17ROCPRIM_400000_NS6detail17trampoline_kernelINS0_14default_configENS1_36segmented_radix_sort_config_selectorIblEEZNS1_25segmented_radix_sort_implIS3_Lb1EPKbPbPKlPlN2at6native12_GLOBAL__N_18offset_tEEE10hipError_tPvRmT1_PNSt15iterator_traitsISK_E10value_typeET2_T3_PNSL_ISQ_E10value_typeET4_jRbjT5_SW_jjP12ihipStream_tbEUlT_E0_NS1_11comp_targetILNS1_3genE5ELNS1_11target_archE942ELNS1_3gpuE9ELNS1_3repE0EEENS1_60segmented_radix_sort_warp_sort_medium_config_static_selectorELNS0_4arch9wavefront6targetE0EEEvSK_,@function
_ZN7rocprim17ROCPRIM_400000_NS6detail17trampoline_kernelINS0_14default_configENS1_36segmented_radix_sort_config_selectorIblEEZNS1_25segmented_radix_sort_implIS3_Lb1EPKbPbPKlPlN2at6native12_GLOBAL__N_18offset_tEEE10hipError_tPvRmT1_PNSt15iterator_traitsISK_E10value_typeET2_T3_PNSL_ISQ_E10value_typeET4_jRbjT5_SW_jjP12ihipStream_tbEUlT_E0_NS1_11comp_targetILNS1_3genE5ELNS1_11target_archE942ELNS1_3gpuE9ELNS1_3repE0EEENS1_60segmented_radix_sort_warp_sort_medium_config_static_selectorELNS0_4arch9wavefront6targetE0EEEvSK_: ; @_ZN7rocprim17ROCPRIM_400000_NS6detail17trampoline_kernelINS0_14default_configENS1_36segmented_radix_sort_config_selectorIblEEZNS1_25segmented_radix_sort_implIS3_Lb1EPKbPbPKlPlN2at6native12_GLOBAL__N_18offset_tEEE10hipError_tPvRmT1_PNSt15iterator_traitsISK_E10value_typeET2_T3_PNSL_ISQ_E10value_typeET4_jRbjT5_SW_jjP12ihipStream_tbEUlT_E0_NS1_11comp_targetILNS1_3genE5ELNS1_11target_archE942ELNS1_3gpuE9ELNS1_3repE0EEENS1_60segmented_radix_sort_warp_sort_medium_config_static_selectorELNS0_4arch9wavefront6targetE0EEEvSK_
; %bb.0:
	.section	.rodata,"a",@progbits
	.p2align	6, 0x0
	.amdhsa_kernel _ZN7rocprim17ROCPRIM_400000_NS6detail17trampoline_kernelINS0_14default_configENS1_36segmented_radix_sort_config_selectorIblEEZNS1_25segmented_radix_sort_implIS3_Lb1EPKbPbPKlPlN2at6native12_GLOBAL__N_18offset_tEEE10hipError_tPvRmT1_PNSt15iterator_traitsISK_E10value_typeET2_T3_PNSL_ISQ_E10value_typeET4_jRbjT5_SW_jjP12ihipStream_tbEUlT_E0_NS1_11comp_targetILNS1_3genE5ELNS1_11target_archE942ELNS1_3gpuE9ELNS1_3repE0EEENS1_60segmented_radix_sort_warp_sort_medium_config_static_selectorELNS0_4arch9wavefront6targetE0EEEvSK_
		.amdhsa_group_segment_fixed_size 0
		.amdhsa_private_segment_fixed_size 0
		.amdhsa_kernarg_size 88
		.amdhsa_user_sgpr_count 2
		.amdhsa_user_sgpr_dispatch_ptr 0
		.amdhsa_user_sgpr_queue_ptr 0
		.amdhsa_user_sgpr_kernarg_segment_ptr 1
		.amdhsa_user_sgpr_dispatch_id 0
		.amdhsa_user_sgpr_private_segment_size 0
		.amdhsa_wavefront_size32 1
		.amdhsa_uses_dynamic_stack 0
		.amdhsa_enable_private_segment 0
		.amdhsa_system_sgpr_workgroup_id_x 1
		.amdhsa_system_sgpr_workgroup_id_y 0
		.amdhsa_system_sgpr_workgroup_id_z 0
		.amdhsa_system_sgpr_workgroup_info 0
		.amdhsa_system_vgpr_workitem_id 0
		.amdhsa_next_free_vgpr 1
		.amdhsa_next_free_sgpr 1
		.amdhsa_reserve_vcc 0
		.amdhsa_float_round_mode_32 0
		.amdhsa_float_round_mode_16_64 0
		.amdhsa_float_denorm_mode_32 3
		.amdhsa_float_denorm_mode_16_64 3
		.amdhsa_fp16_overflow 0
		.amdhsa_workgroup_processor_mode 1
		.amdhsa_memory_ordered 1
		.amdhsa_forward_progress 1
		.amdhsa_inst_pref_size 0
		.amdhsa_round_robin_scheduling 0
		.amdhsa_exception_fp_ieee_invalid_op 0
		.amdhsa_exception_fp_denorm_src 0
		.amdhsa_exception_fp_ieee_div_zero 0
		.amdhsa_exception_fp_ieee_overflow 0
		.amdhsa_exception_fp_ieee_underflow 0
		.amdhsa_exception_fp_ieee_inexact 0
		.amdhsa_exception_int_div_zero 0
	.end_amdhsa_kernel
	.section	.text._ZN7rocprim17ROCPRIM_400000_NS6detail17trampoline_kernelINS0_14default_configENS1_36segmented_radix_sort_config_selectorIblEEZNS1_25segmented_radix_sort_implIS3_Lb1EPKbPbPKlPlN2at6native12_GLOBAL__N_18offset_tEEE10hipError_tPvRmT1_PNSt15iterator_traitsISK_E10value_typeET2_T3_PNSL_ISQ_E10value_typeET4_jRbjT5_SW_jjP12ihipStream_tbEUlT_E0_NS1_11comp_targetILNS1_3genE5ELNS1_11target_archE942ELNS1_3gpuE9ELNS1_3repE0EEENS1_60segmented_radix_sort_warp_sort_medium_config_static_selectorELNS0_4arch9wavefront6targetE0EEEvSK_,"axG",@progbits,_ZN7rocprim17ROCPRIM_400000_NS6detail17trampoline_kernelINS0_14default_configENS1_36segmented_radix_sort_config_selectorIblEEZNS1_25segmented_radix_sort_implIS3_Lb1EPKbPbPKlPlN2at6native12_GLOBAL__N_18offset_tEEE10hipError_tPvRmT1_PNSt15iterator_traitsISK_E10value_typeET2_T3_PNSL_ISQ_E10value_typeET4_jRbjT5_SW_jjP12ihipStream_tbEUlT_E0_NS1_11comp_targetILNS1_3genE5ELNS1_11target_archE942ELNS1_3gpuE9ELNS1_3repE0EEENS1_60segmented_radix_sort_warp_sort_medium_config_static_selectorELNS0_4arch9wavefront6targetE0EEEvSK_,comdat
.Lfunc_end1543:
	.size	_ZN7rocprim17ROCPRIM_400000_NS6detail17trampoline_kernelINS0_14default_configENS1_36segmented_radix_sort_config_selectorIblEEZNS1_25segmented_radix_sort_implIS3_Lb1EPKbPbPKlPlN2at6native12_GLOBAL__N_18offset_tEEE10hipError_tPvRmT1_PNSt15iterator_traitsISK_E10value_typeET2_T3_PNSL_ISQ_E10value_typeET4_jRbjT5_SW_jjP12ihipStream_tbEUlT_E0_NS1_11comp_targetILNS1_3genE5ELNS1_11target_archE942ELNS1_3gpuE9ELNS1_3repE0EEENS1_60segmented_radix_sort_warp_sort_medium_config_static_selectorELNS0_4arch9wavefront6targetE0EEEvSK_, .Lfunc_end1543-_ZN7rocprim17ROCPRIM_400000_NS6detail17trampoline_kernelINS0_14default_configENS1_36segmented_radix_sort_config_selectorIblEEZNS1_25segmented_radix_sort_implIS3_Lb1EPKbPbPKlPlN2at6native12_GLOBAL__N_18offset_tEEE10hipError_tPvRmT1_PNSt15iterator_traitsISK_E10value_typeET2_T3_PNSL_ISQ_E10value_typeET4_jRbjT5_SW_jjP12ihipStream_tbEUlT_E0_NS1_11comp_targetILNS1_3genE5ELNS1_11target_archE942ELNS1_3gpuE9ELNS1_3repE0EEENS1_60segmented_radix_sort_warp_sort_medium_config_static_selectorELNS0_4arch9wavefront6targetE0EEEvSK_
                                        ; -- End function
	.set _ZN7rocprim17ROCPRIM_400000_NS6detail17trampoline_kernelINS0_14default_configENS1_36segmented_radix_sort_config_selectorIblEEZNS1_25segmented_radix_sort_implIS3_Lb1EPKbPbPKlPlN2at6native12_GLOBAL__N_18offset_tEEE10hipError_tPvRmT1_PNSt15iterator_traitsISK_E10value_typeET2_T3_PNSL_ISQ_E10value_typeET4_jRbjT5_SW_jjP12ihipStream_tbEUlT_E0_NS1_11comp_targetILNS1_3genE5ELNS1_11target_archE942ELNS1_3gpuE9ELNS1_3repE0EEENS1_60segmented_radix_sort_warp_sort_medium_config_static_selectorELNS0_4arch9wavefront6targetE0EEEvSK_.num_vgpr, 0
	.set _ZN7rocprim17ROCPRIM_400000_NS6detail17trampoline_kernelINS0_14default_configENS1_36segmented_radix_sort_config_selectorIblEEZNS1_25segmented_radix_sort_implIS3_Lb1EPKbPbPKlPlN2at6native12_GLOBAL__N_18offset_tEEE10hipError_tPvRmT1_PNSt15iterator_traitsISK_E10value_typeET2_T3_PNSL_ISQ_E10value_typeET4_jRbjT5_SW_jjP12ihipStream_tbEUlT_E0_NS1_11comp_targetILNS1_3genE5ELNS1_11target_archE942ELNS1_3gpuE9ELNS1_3repE0EEENS1_60segmented_radix_sort_warp_sort_medium_config_static_selectorELNS0_4arch9wavefront6targetE0EEEvSK_.num_agpr, 0
	.set _ZN7rocprim17ROCPRIM_400000_NS6detail17trampoline_kernelINS0_14default_configENS1_36segmented_radix_sort_config_selectorIblEEZNS1_25segmented_radix_sort_implIS3_Lb1EPKbPbPKlPlN2at6native12_GLOBAL__N_18offset_tEEE10hipError_tPvRmT1_PNSt15iterator_traitsISK_E10value_typeET2_T3_PNSL_ISQ_E10value_typeET4_jRbjT5_SW_jjP12ihipStream_tbEUlT_E0_NS1_11comp_targetILNS1_3genE5ELNS1_11target_archE942ELNS1_3gpuE9ELNS1_3repE0EEENS1_60segmented_radix_sort_warp_sort_medium_config_static_selectorELNS0_4arch9wavefront6targetE0EEEvSK_.numbered_sgpr, 0
	.set _ZN7rocprim17ROCPRIM_400000_NS6detail17trampoline_kernelINS0_14default_configENS1_36segmented_radix_sort_config_selectorIblEEZNS1_25segmented_radix_sort_implIS3_Lb1EPKbPbPKlPlN2at6native12_GLOBAL__N_18offset_tEEE10hipError_tPvRmT1_PNSt15iterator_traitsISK_E10value_typeET2_T3_PNSL_ISQ_E10value_typeET4_jRbjT5_SW_jjP12ihipStream_tbEUlT_E0_NS1_11comp_targetILNS1_3genE5ELNS1_11target_archE942ELNS1_3gpuE9ELNS1_3repE0EEENS1_60segmented_radix_sort_warp_sort_medium_config_static_selectorELNS0_4arch9wavefront6targetE0EEEvSK_.num_named_barrier, 0
	.set _ZN7rocprim17ROCPRIM_400000_NS6detail17trampoline_kernelINS0_14default_configENS1_36segmented_radix_sort_config_selectorIblEEZNS1_25segmented_radix_sort_implIS3_Lb1EPKbPbPKlPlN2at6native12_GLOBAL__N_18offset_tEEE10hipError_tPvRmT1_PNSt15iterator_traitsISK_E10value_typeET2_T3_PNSL_ISQ_E10value_typeET4_jRbjT5_SW_jjP12ihipStream_tbEUlT_E0_NS1_11comp_targetILNS1_3genE5ELNS1_11target_archE942ELNS1_3gpuE9ELNS1_3repE0EEENS1_60segmented_radix_sort_warp_sort_medium_config_static_selectorELNS0_4arch9wavefront6targetE0EEEvSK_.private_seg_size, 0
	.set _ZN7rocprim17ROCPRIM_400000_NS6detail17trampoline_kernelINS0_14default_configENS1_36segmented_radix_sort_config_selectorIblEEZNS1_25segmented_radix_sort_implIS3_Lb1EPKbPbPKlPlN2at6native12_GLOBAL__N_18offset_tEEE10hipError_tPvRmT1_PNSt15iterator_traitsISK_E10value_typeET2_T3_PNSL_ISQ_E10value_typeET4_jRbjT5_SW_jjP12ihipStream_tbEUlT_E0_NS1_11comp_targetILNS1_3genE5ELNS1_11target_archE942ELNS1_3gpuE9ELNS1_3repE0EEENS1_60segmented_radix_sort_warp_sort_medium_config_static_selectorELNS0_4arch9wavefront6targetE0EEEvSK_.uses_vcc, 0
	.set _ZN7rocprim17ROCPRIM_400000_NS6detail17trampoline_kernelINS0_14default_configENS1_36segmented_radix_sort_config_selectorIblEEZNS1_25segmented_radix_sort_implIS3_Lb1EPKbPbPKlPlN2at6native12_GLOBAL__N_18offset_tEEE10hipError_tPvRmT1_PNSt15iterator_traitsISK_E10value_typeET2_T3_PNSL_ISQ_E10value_typeET4_jRbjT5_SW_jjP12ihipStream_tbEUlT_E0_NS1_11comp_targetILNS1_3genE5ELNS1_11target_archE942ELNS1_3gpuE9ELNS1_3repE0EEENS1_60segmented_radix_sort_warp_sort_medium_config_static_selectorELNS0_4arch9wavefront6targetE0EEEvSK_.uses_flat_scratch, 0
	.set _ZN7rocprim17ROCPRIM_400000_NS6detail17trampoline_kernelINS0_14default_configENS1_36segmented_radix_sort_config_selectorIblEEZNS1_25segmented_radix_sort_implIS3_Lb1EPKbPbPKlPlN2at6native12_GLOBAL__N_18offset_tEEE10hipError_tPvRmT1_PNSt15iterator_traitsISK_E10value_typeET2_T3_PNSL_ISQ_E10value_typeET4_jRbjT5_SW_jjP12ihipStream_tbEUlT_E0_NS1_11comp_targetILNS1_3genE5ELNS1_11target_archE942ELNS1_3gpuE9ELNS1_3repE0EEENS1_60segmented_radix_sort_warp_sort_medium_config_static_selectorELNS0_4arch9wavefront6targetE0EEEvSK_.has_dyn_sized_stack, 0
	.set _ZN7rocprim17ROCPRIM_400000_NS6detail17trampoline_kernelINS0_14default_configENS1_36segmented_radix_sort_config_selectorIblEEZNS1_25segmented_radix_sort_implIS3_Lb1EPKbPbPKlPlN2at6native12_GLOBAL__N_18offset_tEEE10hipError_tPvRmT1_PNSt15iterator_traitsISK_E10value_typeET2_T3_PNSL_ISQ_E10value_typeET4_jRbjT5_SW_jjP12ihipStream_tbEUlT_E0_NS1_11comp_targetILNS1_3genE5ELNS1_11target_archE942ELNS1_3gpuE9ELNS1_3repE0EEENS1_60segmented_radix_sort_warp_sort_medium_config_static_selectorELNS0_4arch9wavefront6targetE0EEEvSK_.has_recursion, 0
	.set _ZN7rocprim17ROCPRIM_400000_NS6detail17trampoline_kernelINS0_14default_configENS1_36segmented_radix_sort_config_selectorIblEEZNS1_25segmented_radix_sort_implIS3_Lb1EPKbPbPKlPlN2at6native12_GLOBAL__N_18offset_tEEE10hipError_tPvRmT1_PNSt15iterator_traitsISK_E10value_typeET2_T3_PNSL_ISQ_E10value_typeET4_jRbjT5_SW_jjP12ihipStream_tbEUlT_E0_NS1_11comp_targetILNS1_3genE5ELNS1_11target_archE942ELNS1_3gpuE9ELNS1_3repE0EEENS1_60segmented_radix_sort_warp_sort_medium_config_static_selectorELNS0_4arch9wavefront6targetE0EEEvSK_.has_indirect_call, 0
	.section	.AMDGPU.csdata,"",@progbits
; Kernel info:
; codeLenInByte = 0
; TotalNumSgprs: 0
; NumVgprs: 0
; ScratchSize: 0
; MemoryBound: 0
; FloatMode: 240
; IeeeMode: 1
; LDSByteSize: 0 bytes/workgroup (compile time only)
; SGPRBlocks: 0
; VGPRBlocks: 0
; NumSGPRsForWavesPerEU: 1
; NumVGPRsForWavesPerEU: 1
; Occupancy: 16
; WaveLimiterHint : 0
; COMPUTE_PGM_RSRC2:SCRATCH_EN: 0
; COMPUTE_PGM_RSRC2:USER_SGPR: 2
; COMPUTE_PGM_RSRC2:TRAP_HANDLER: 0
; COMPUTE_PGM_RSRC2:TGID_X_EN: 1
; COMPUTE_PGM_RSRC2:TGID_Y_EN: 0
; COMPUTE_PGM_RSRC2:TGID_Z_EN: 0
; COMPUTE_PGM_RSRC2:TIDIG_COMP_CNT: 0
	.section	.text._ZN7rocprim17ROCPRIM_400000_NS6detail17trampoline_kernelINS0_14default_configENS1_36segmented_radix_sort_config_selectorIblEEZNS1_25segmented_radix_sort_implIS3_Lb1EPKbPbPKlPlN2at6native12_GLOBAL__N_18offset_tEEE10hipError_tPvRmT1_PNSt15iterator_traitsISK_E10value_typeET2_T3_PNSL_ISQ_E10value_typeET4_jRbjT5_SW_jjP12ihipStream_tbEUlT_E0_NS1_11comp_targetILNS1_3genE4ELNS1_11target_archE910ELNS1_3gpuE8ELNS1_3repE0EEENS1_60segmented_radix_sort_warp_sort_medium_config_static_selectorELNS0_4arch9wavefront6targetE0EEEvSK_,"axG",@progbits,_ZN7rocprim17ROCPRIM_400000_NS6detail17trampoline_kernelINS0_14default_configENS1_36segmented_radix_sort_config_selectorIblEEZNS1_25segmented_radix_sort_implIS3_Lb1EPKbPbPKlPlN2at6native12_GLOBAL__N_18offset_tEEE10hipError_tPvRmT1_PNSt15iterator_traitsISK_E10value_typeET2_T3_PNSL_ISQ_E10value_typeET4_jRbjT5_SW_jjP12ihipStream_tbEUlT_E0_NS1_11comp_targetILNS1_3genE4ELNS1_11target_archE910ELNS1_3gpuE8ELNS1_3repE0EEENS1_60segmented_radix_sort_warp_sort_medium_config_static_selectorELNS0_4arch9wavefront6targetE0EEEvSK_,comdat
	.globl	_ZN7rocprim17ROCPRIM_400000_NS6detail17trampoline_kernelINS0_14default_configENS1_36segmented_radix_sort_config_selectorIblEEZNS1_25segmented_radix_sort_implIS3_Lb1EPKbPbPKlPlN2at6native12_GLOBAL__N_18offset_tEEE10hipError_tPvRmT1_PNSt15iterator_traitsISK_E10value_typeET2_T3_PNSL_ISQ_E10value_typeET4_jRbjT5_SW_jjP12ihipStream_tbEUlT_E0_NS1_11comp_targetILNS1_3genE4ELNS1_11target_archE910ELNS1_3gpuE8ELNS1_3repE0EEENS1_60segmented_radix_sort_warp_sort_medium_config_static_selectorELNS0_4arch9wavefront6targetE0EEEvSK_ ; -- Begin function _ZN7rocprim17ROCPRIM_400000_NS6detail17trampoline_kernelINS0_14default_configENS1_36segmented_radix_sort_config_selectorIblEEZNS1_25segmented_radix_sort_implIS3_Lb1EPKbPbPKlPlN2at6native12_GLOBAL__N_18offset_tEEE10hipError_tPvRmT1_PNSt15iterator_traitsISK_E10value_typeET2_T3_PNSL_ISQ_E10value_typeET4_jRbjT5_SW_jjP12ihipStream_tbEUlT_E0_NS1_11comp_targetILNS1_3genE4ELNS1_11target_archE910ELNS1_3gpuE8ELNS1_3repE0EEENS1_60segmented_radix_sort_warp_sort_medium_config_static_selectorELNS0_4arch9wavefront6targetE0EEEvSK_
	.p2align	8
	.type	_ZN7rocprim17ROCPRIM_400000_NS6detail17trampoline_kernelINS0_14default_configENS1_36segmented_radix_sort_config_selectorIblEEZNS1_25segmented_radix_sort_implIS3_Lb1EPKbPbPKlPlN2at6native12_GLOBAL__N_18offset_tEEE10hipError_tPvRmT1_PNSt15iterator_traitsISK_E10value_typeET2_T3_PNSL_ISQ_E10value_typeET4_jRbjT5_SW_jjP12ihipStream_tbEUlT_E0_NS1_11comp_targetILNS1_3genE4ELNS1_11target_archE910ELNS1_3gpuE8ELNS1_3repE0EEENS1_60segmented_radix_sort_warp_sort_medium_config_static_selectorELNS0_4arch9wavefront6targetE0EEEvSK_,@function
_ZN7rocprim17ROCPRIM_400000_NS6detail17trampoline_kernelINS0_14default_configENS1_36segmented_radix_sort_config_selectorIblEEZNS1_25segmented_radix_sort_implIS3_Lb1EPKbPbPKlPlN2at6native12_GLOBAL__N_18offset_tEEE10hipError_tPvRmT1_PNSt15iterator_traitsISK_E10value_typeET2_T3_PNSL_ISQ_E10value_typeET4_jRbjT5_SW_jjP12ihipStream_tbEUlT_E0_NS1_11comp_targetILNS1_3genE4ELNS1_11target_archE910ELNS1_3gpuE8ELNS1_3repE0EEENS1_60segmented_radix_sort_warp_sort_medium_config_static_selectorELNS0_4arch9wavefront6targetE0EEEvSK_: ; @_ZN7rocprim17ROCPRIM_400000_NS6detail17trampoline_kernelINS0_14default_configENS1_36segmented_radix_sort_config_selectorIblEEZNS1_25segmented_radix_sort_implIS3_Lb1EPKbPbPKlPlN2at6native12_GLOBAL__N_18offset_tEEE10hipError_tPvRmT1_PNSt15iterator_traitsISK_E10value_typeET2_T3_PNSL_ISQ_E10value_typeET4_jRbjT5_SW_jjP12ihipStream_tbEUlT_E0_NS1_11comp_targetILNS1_3genE4ELNS1_11target_archE910ELNS1_3gpuE8ELNS1_3repE0EEENS1_60segmented_radix_sort_warp_sort_medium_config_static_selectorELNS0_4arch9wavefront6targetE0EEEvSK_
; %bb.0:
	.section	.rodata,"a",@progbits
	.p2align	6, 0x0
	.amdhsa_kernel _ZN7rocprim17ROCPRIM_400000_NS6detail17trampoline_kernelINS0_14default_configENS1_36segmented_radix_sort_config_selectorIblEEZNS1_25segmented_radix_sort_implIS3_Lb1EPKbPbPKlPlN2at6native12_GLOBAL__N_18offset_tEEE10hipError_tPvRmT1_PNSt15iterator_traitsISK_E10value_typeET2_T3_PNSL_ISQ_E10value_typeET4_jRbjT5_SW_jjP12ihipStream_tbEUlT_E0_NS1_11comp_targetILNS1_3genE4ELNS1_11target_archE910ELNS1_3gpuE8ELNS1_3repE0EEENS1_60segmented_radix_sort_warp_sort_medium_config_static_selectorELNS0_4arch9wavefront6targetE0EEEvSK_
		.amdhsa_group_segment_fixed_size 0
		.amdhsa_private_segment_fixed_size 0
		.amdhsa_kernarg_size 88
		.amdhsa_user_sgpr_count 2
		.amdhsa_user_sgpr_dispatch_ptr 0
		.amdhsa_user_sgpr_queue_ptr 0
		.amdhsa_user_sgpr_kernarg_segment_ptr 1
		.amdhsa_user_sgpr_dispatch_id 0
		.amdhsa_user_sgpr_private_segment_size 0
		.amdhsa_wavefront_size32 1
		.amdhsa_uses_dynamic_stack 0
		.amdhsa_enable_private_segment 0
		.amdhsa_system_sgpr_workgroup_id_x 1
		.amdhsa_system_sgpr_workgroup_id_y 0
		.amdhsa_system_sgpr_workgroup_id_z 0
		.amdhsa_system_sgpr_workgroup_info 0
		.amdhsa_system_vgpr_workitem_id 0
		.amdhsa_next_free_vgpr 1
		.amdhsa_next_free_sgpr 1
		.amdhsa_reserve_vcc 0
		.amdhsa_float_round_mode_32 0
		.amdhsa_float_round_mode_16_64 0
		.amdhsa_float_denorm_mode_32 3
		.amdhsa_float_denorm_mode_16_64 3
		.amdhsa_fp16_overflow 0
		.amdhsa_workgroup_processor_mode 1
		.amdhsa_memory_ordered 1
		.amdhsa_forward_progress 1
		.amdhsa_inst_pref_size 0
		.amdhsa_round_robin_scheduling 0
		.amdhsa_exception_fp_ieee_invalid_op 0
		.amdhsa_exception_fp_denorm_src 0
		.amdhsa_exception_fp_ieee_div_zero 0
		.amdhsa_exception_fp_ieee_overflow 0
		.amdhsa_exception_fp_ieee_underflow 0
		.amdhsa_exception_fp_ieee_inexact 0
		.amdhsa_exception_int_div_zero 0
	.end_amdhsa_kernel
	.section	.text._ZN7rocprim17ROCPRIM_400000_NS6detail17trampoline_kernelINS0_14default_configENS1_36segmented_radix_sort_config_selectorIblEEZNS1_25segmented_radix_sort_implIS3_Lb1EPKbPbPKlPlN2at6native12_GLOBAL__N_18offset_tEEE10hipError_tPvRmT1_PNSt15iterator_traitsISK_E10value_typeET2_T3_PNSL_ISQ_E10value_typeET4_jRbjT5_SW_jjP12ihipStream_tbEUlT_E0_NS1_11comp_targetILNS1_3genE4ELNS1_11target_archE910ELNS1_3gpuE8ELNS1_3repE0EEENS1_60segmented_radix_sort_warp_sort_medium_config_static_selectorELNS0_4arch9wavefront6targetE0EEEvSK_,"axG",@progbits,_ZN7rocprim17ROCPRIM_400000_NS6detail17trampoline_kernelINS0_14default_configENS1_36segmented_radix_sort_config_selectorIblEEZNS1_25segmented_radix_sort_implIS3_Lb1EPKbPbPKlPlN2at6native12_GLOBAL__N_18offset_tEEE10hipError_tPvRmT1_PNSt15iterator_traitsISK_E10value_typeET2_T3_PNSL_ISQ_E10value_typeET4_jRbjT5_SW_jjP12ihipStream_tbEUlT_E0_NS1_11comp_targetILNS1_3genE4ELNS1_11target_archE910ELNS1_3gpuE8ELNS1_3repE0EEENS1_60segmented_radix_sort_warp_sort_medium_config_static_selectorELNS0_4arch9wavefront6targetE0EEEvSK_,comdat
.Lfunc_end1544:
	.size	_ZN7rocprim17ROCPRIM_400000_NS6detail17trampoline_kernelINS0_14default_configENS1_36segmented_radix_sort_config_selectorIblEEZNS1_25segmented_radix_sort_implIS3_Lb1EPKbPbPKlPlN2at6native12_GLOBAL__N_18offset_tEEE10hipError_tPvRmT1_PNSt15iterator_traitsISK_E10value_typeET2_T3_PNSL_ISQ_E10value_typeET4_jRbjT5_SW_jjP12ihipStream_tbEUlT_E0_NS1_11comp_targetILNS1_3genE4ELNS1_11target_archE910ELNS1_3gpuE8ELNS1_3repE0EEENS1_60segmented_radix_sort_warp_sort_medium_config_static_selectorELNS0_4arch9wavefront6targetE0EEEvSK_, .Lfunc_end1544-_ZN7rocprim17ROCPRIM_400000_NS6detail17trampoline_kernelINS0_14default_configENS1_36segmented_radix_sort_config_selectorIblEEZNS1_25segmented_radix_sort_implIS3_Lb1EPKbPbPKlPlN2at6native12_GLOBAL__N_18offset_tEEE10hipError_tPvRmT1_PNSt15iterator_traitsISK_E10value_typeET2_T3_PNSL_ISQ_E10value_typeET4_jRbjT5_SW_jjP12ihipStream_tbEUlT_E0_NS1_11comp_targetILNS1_3genE4ELNS1_11target_archE910ELNS1_3gpuE8ELNS1_3repE0EEENS1_60segmented_radix_sort_warp_sort_medium_config_static_selectorELNS0_4arch9wavefront6targetE0EEEvSK_
                                        ; -- End function
	.set _ZN7rocprim17ROCPRIM_400000_NS6detail17trampoline_kernelINS0_14default_configENS1_36segmented_radix_sort_config_selectorIblEEZNS1_25segmented_radix_sort_implIS3_Lb1EPKbPbPKlPlN2at6native12_GLOBAL__N_18offset_tEEE10hipError_tPvRmT1_PNSt15iterator_traitsISK_E10value_typeET2_T3_PNSL_ISQ_E10value_typeET4_jRbjT5_SW_jjP12ihipStream_tbEUlT_E0_NS1_11comp_targetILNS1_3genE4ELNS1_11target_archE910ELNS1_3gpuE8ELNS1_3repE0EEENS1_60segmented_radix_sort_warp_sort_medium_config_static_selectorELNS0_4arch9wavefront6targetE0EEEvSK_.num_vgpr, 0
	.set _ZN7rocprim17ROCPRIM_400000_NS6detail17trampoline_kernelINS0_14default_configENS1_36segmented_radix_sort_config_selectorIblEEZNS1_25segmented_radix_sort_implIS3_Lb1EPKbPbPKlPlN2at6native12_GLOBAL__N_18offset_tEEE10hipError_tPvRmT1_PNSt15iterator_traitsISK_E10value_typeET2_T3_PNSL_ISQ_E10value_typeET4_jRbjT5_SW_jjP12ihipStream_tbEUlT_E0_NS1_11comp_targetILNS1_3genE4ELNS1_11target_archE910ELNS1_3gpuE8ELNS1_3repE0EEENS1_60segmented_radix_sort_warp_sort_medium_config_static_selectorELNS0_4arch9wavefront6targetE0EEEvSK_.num_agpr, 0
	.set _ZN7rocprim17ROCPRIM_400000_NS6detail17trampoline_kernelINS0_14default_configENS1_36segmented_radix_sort_config_selectorIblEEZNS1_25segmented_radix_sort_implIS3_Lb1EPKbPbPKlPlN2at6native12_GLOBAL__N_18offset_tEEE10hipError_tPvRmT1_PNSt15iterator_traitsISK_E10value_typeET2_T3_PNSL_ISQ_E10value_typeET4_jRbjT5_SW_jjP12ihipStream_tbEUlT_E0_NS1_11comp_targetILNS1_3genE4ELNS1_11target_archE910ELNS1_3gpuE8ELNS1_3repE0EEENS1_60segmented_radix_sort_warp_sort_medium_config_static_selectorELNS0_4arch9wavefront6targetE0EEEvSK_.numbered_sgpr, 0
	.set _ZN7rocprim17ROCPRIM_400000_NS6detail17trampoline_kernelINS0_14default_configENS1_36segmented_radix_sort_config_selectorIblEEZNS1_25segmented_radix_sort_implIS3_Lb1EPKbPbPKlPlN2at6native12_GLOBAL__N_18offset_tEEE10hipError_tPvRmT1_PNSt15iterator_traitsISK_E10value_typeET2_T3_PNSL_ISQ_E10value_typeET4_jRbjT5_SW_jjP12ihipStream_tbEUlT_E0_NS1_11comp_targetILNS1_3genE4ELNS1_11target_archE910ELNS1_3gpuE8ELNS1_3repE0EEENS1_60segmented_radix_sort_warp_sort_medium_config_static_selectorELNS0_4arch9wavefront6targetE0EEEvSK_.num_named_barrier, 0
	.set _ZN7rocprim17ROCPRIM_400000_NS6detail17trampoline_kernelINS0_14default_configENS1_36segmented_radix_sort_config_selectorIblEEZNS1_25segmented_radix_sort_implIS3_Lb1EPKbPbPKlPlN2at6native12_GLOBAL__N_18offset_tEEE10hipError_tPvRmT1_PNSt15iterator_traitsISK_E10value_typeET2_T3_PNSL_ISQ_E10value_typeET4_jRbjT5_SW_jjP12ihipStream_tbEUlT_E0_NS1_11comp_targetILNS1_3genE4ELNS1_11target_archE910ELNS1_3gpuE8ELNS1_3repE0EEENS1_60segmented_radix_sort_warp_sort_medium_config_static_selectorELNS0_4arch9wavefront6targetE0EEEvSK_.private_seg_size, 0
	.set _ZN7rocprim17ROCPRIM_400000_NS6detail17trampoline_kernelINS0_14default_configENS1_36segmented_radix_sort_config_selectorIblEEZNS1_25segmented_radix_sort_implIS3_Lb1EPKbPbPKlPlN2at6native12_GLOBAL__N_18offset_tEEE10hipError_tPvRmT1_PNSt15iterator_traitsISK_E10value_typeET2_T3_PNSL_ISQ_E10value_typeET4_jRbjT5_SW_jjP12ihipStream_tbEUlT_E0_NS1_11comp_targetILNS1_3genE4ELNS1_11target_archE910ELNS1_3gpuE8ELNS1_3repE0EEENS1_60segmented_radix_sort_warp_sort_medium_config_static_selectorELNS0_4arch9wavefront6targetE0EEEvSK_.uses_vcc, 0
	.set _ZN7rocprim17ROCPRIM_400000_NS6detail17trampoline_kernelINS0_14default_configENS1_36segmented_radix_sort_config_selectorIblEEZNS1_25segmented_radix_sort_implIS3_Lb1EPKbPbPKlPlN2at6native12_GLOBAL__N_18offset_tEEE10hipError_tPvRmT1_PNSt15iterator_traitsISK_E10value_typeET2_T3_PNSL_ISQ_E10value_typeET4_jRbjT5_SW_jjP12ihipStream_tbEUlT_E0_NS1_11comp_targetILNS1_3genE4ELNS1_11target_archE910ELNS1_3gpuE8ELNS1_3repE0EEENS1_60segmented_radix_sort_warp_sort_medium_config_static_selectorELNS0_4arch9wavefront6targetE0EEEvSK_.uses_flat_scratch, 0
	.set _ZN7rocprim17ROCPRIM_400000_NS6detail17trampoline_kernelINS0_14default_configENS1_36segmented_radix_sort_config_selectorIblEEZNS1_25segmented_radix_sort_implIS3_Lb1EPKbPbPKlPlN2at6native12_GLOBAL__N_18offset_tEEE10hipError_tPvRmT1_PNSt15iterator_traitsISK_E10value_typeET2_T3_PNSL_ISQ_E10value_typeET4_jRbjT5_SW_jjP12ihipStream_tbEUlT_E0_NS1_11comp_targetILNS1_3genE4ELNS1_11target_archE910ELNS1_3gpuE8ELNS1_3repE0EEENS1_60segmented_radix_sort_warp_sort_medium_config_static_selectorELNS0_4arch9wavefront6targetE0EEEvSK_.has_dyn_sized_stack, 0
	.set _ZN7rocprim17ROCPRIM_400000_NS6detail17trampoline_kernelINS0_14default_configENS1_36segmented_radix_sort_config_selectorIblEEZNS1_25segmented_radix_sort_implIS3_Lb1EPKbPbPKlPlN2at6native12_GLOBAL__N_18offset_tEEE10hipError_tPvRmT1_PNSt15iterator_traitsISK_E10value_typeET2_T3_PNSL_ISQ_E10value_typeET4_jRbjT5_SW_jjP12ihipStream_tbEUlT_E0_NS1_11comp_targetILNS1_3genE4ELNS1_11target_archE910ELNS1_3gpuE8ELNS1_3repE0EEENS1_60segmented_radix_sort_warp_sort_medium_config_static_selectorELNS0_4arch9wavefront6targetE0EEEvSK_.has_recursion, 0
	.set _ZN7rocprim17ROCPRIM_400000_NS6detail17trampoline_kernelINS0_14default_configENS1_36segmented_radix_sort_config_selectorIblEEZNS1_25segmented_radix_sort_implIS3_Lb1EPKbPbPKlPlN2at6native12_GLOBAL__N_18offset_tEEE10hipError_tPvRmT1_PNSt15iterator_traitsISK_E10value_typeET2_T3_PNSL_ISQ_E10value_typeET4_jRbjT5_SW_jjP12ihipStream_tbEUlT_E0_NS1_11comp_targetILNS1_3genE4ELNS1_11target_archE910ELNS1_3gpuE8ELNS1_3repE0EEENS1_60segmented_radix_sort_warp_sort_medium_config_static_selectorELNS0_4arch9wavefront6targetE0EEEvSK_.has_indirect_call, 0
	.section	.AMDGPU.csdata,"",@progbits
; Kernel info:
; codeLenInByte = 0
; TotalNumSgprs: 0
; NumVgprs: 0
; ScratchSize: 0
; MemoryBound: 0
; FloatMode: 240
; IeeeMode: 1
; LDSByteSize: 0 bytes/workgroup (compile time only)
; SGPRBlocks: 0
; VGPRBlocks: 0
; NumSGPRsForWavesPerEU: 1
; NumVGPRsForWavesPerEU: 1
; Occupancy: 16
; WaveLimiterHint : 0
; COMPUTE_PGM_RSRC2:SCRATCH_EN: 0
; COMPUTE_PGM_RSRC2:USER_SGPR: 2
; COMPUTE_PGM_RSRC2:TRAP_HANDLER: 0
; COMPUTE_PGM_RSRC2:TGID_X_EN: 1
; COMPUTE_PGM_RSRC2:TGID_Y_EN: 0
; COMPUTE_PGM_RSRC2:TGID_Z_EN: 0
; COMPUTE_PGM_RSRC2:TIDIG_COMP_CNT: 0
	.section	.text._ZN7rocprim17ROCPRIM_400000_NS6detail17trampoline_kernelINS0_14default_configENS1_36segmented_radix_sort_config_selectorIblEEZNS1_25segmented_radix_sort_implIS3_Lb1EPKbPbPKlPlN2at6native12_GLOBAL__N_18offset_tEEE10hipError_tPvRmT1_PNSt15iterator_traitsISK_E10value_typeET2_T3_PNSL_ISQ_E10value_typeET4_jRbjT5_SW_jjP12ihipStream_tbEUlT_E0_NS1_11comp_targetILNS1_3genE3ELNS1_11target_archE908ELNS1_3gpuE7ELNS1_3repE0EEENS1_60segmented_radix_sort_warp_sort_medium_config_static_selectorELNS0_4arch9wavefront6targetE0EEEvSK_,"axG",@progbits,_ZN7rocprim17ROCPRIM_400000_NS6detail17trampoline_kernelINS0_14default_configENS1_36segmented_radix_sort_config_selectorIblEEZNS1_25segmented_radix_sort_implIS3_Lb1EPKbPbPKlPlN2at6native12_GLOBAL__N_18offset_tEEE10hipError_tPvRmT1_PNSt15iterator_traitsISK_E10value_typeET2_T3_PNSL_ISQ_E10value_typeET4_jRbjT5_SW_jjP12ihipStream_tbEUlT_E0_NS1_11comp_targetILNS1_3genE3ELNS1_11target_archE908ELNS1_3gpuE7ELNS1_3repE0EEENS1_60segmented_radix_sort_warp_sort_medium_config_static_selectorELNS0_4arch9wavefront6targetE0EEEvSK_,comdat
	.globl	_ZN7rocprim17ROCPRIM_400000_NS6detail17trampoline_kernelINS0_14default_configENS1_36segmented_radix_sort_config_selectorIblEEZNS1_25segmented_radix_sort_implIS3_Lb1EPKbPbPKlPlN2at6native12_GLOBAL__N_18offset_tEEE10hipError_tPvRmT1_PNSt15iterator_traitsISK_E10value_typeET2_T3_PNSL_ISQ_E10value_typeET4_jRbjT5_SW_jjP12ihipStream_tbEUlT_E0_NS1_11comp_targetILNS1_3genE3ELNS1_11target_archE908ELNS1_3gpuE7ELNS1_3repE0EEENS1_60segmented_radix_sort_warp_sort_medium_config_static_selectorELNS0_4arch9wavefront6targetE0EEEvSK_ ; -- Begin function _ZN7rocprim17ROCPRIM_400000_NS6detail17trampoline_kernelINS0_14default_configENS1_36segmented_radix_sort_config_selectorIblEEZNS1_25segmented_radix_sort_implIS3_Lb1EPKbPbPKlPlN2at6native12_GLOBAL__N_18offset_tEEE10hipError_tPvRmT1_PNSt15iterator_traitsISK_E10value_typeET2_T3_PNSL_ISQ_E10value_typeET4_jRbjT5_SW_jjP12ihipStream_tbEUlT_E0_NS1_11comp_targetILNS1_3genE3ELNS1_11target_archE908ELNS1_3gpuE7ELNS1_3repE0EEENS1_60segmented_radix_sort_warp_sort_medium_config_static_selectorELNS0_4arch9wavefront6targetE0EEEvSK_
	.p2align	8
	.type	_ZN7rocprim17ROCPRIM_400000_NS6detail17trampoline_kernelINS0_14default_configENS1_36segmented_radix_sort_config_selectorIblEEZNS1_25segmented_radix_sort_implIS3_Lb1EPKbPbPKlPlN2at6native12_GLOBAL__N_18offset_tEEE10hipError_tPvRmT1_PNSt15iterator_traitsISK_E10value_typeET2_T3_PNSL_ISQ_E10value_typeET4_jRbjT5_SW_jjP12ihipStream_tbEUlT_E0_NS1_11comp_targetILNS1_3genE3ELNS1_11target_archE908ELNS1_3gpuE7ELNS1_3repE0EEENS1_60segmented_radix_sort_warp_sort_medium_config_static_selectorELNS0_4arch9wavefront6targetE0EEEvSK_,@function
_ZN7rocprim17ROCPRIM_400000_NS6detail17trampoline_kernelINS0_14default_configENS1_36segmented_radix_sort_config_selectorIblEEZNS1_25segmented_radix_sort_implIS3_Lb1EPKbPbPKlPlN2at6native12_GLOBAL__N_18offset_tEEE10hipError_tPvRmT1_PNSt15iterator_traitsISK_E10value_typeET2_T3_PNSL_ISQ_E10value_typeET4_jRbjT5_SW_jjP12ihipStream_tbEUlT_E0_NS1_11comp_targetILNS1_3genE3ELNS1_11target_archE908ELNS1_3gpuE7ELNS1_3repE0EEENS1_60segmented_radix_sort_warp_sort_medium_config_static_selectorELNS0_4arch9wavefront6targetE0EEEvSK_: ; @_ZN7rocprim17ROCPRIM_400000_NS6detail17trampoline_kernelINS0_14default_configENS1_36segmented_radix_sort_config_selectorIblEEZNS1_25segmented_radix_sort_implIS3_Lb1EPKbPbPKlPlN2at6native12_GLOBAL__N_18offset_tEEE10hipError_tPvRmT1_PNSt15iterator_traitsISK_E10value_typeET2_T3_PNSL_ISQ_E10value_typeET4_jRbjT5_SW_jjP12ihipStream_tbEUlT_E0_NS1_11comp_targetILNS1_3genE3ELNS1_11target_archE908ELNS1_3gpuE7ELNS1_3repE0EEENS1_60segmented_radix_sort_warp_sort_medium_config_static_selectorELNS0_4arch9wavefront6targetE0EEEvSK_
; %bb.0:
	.section	.rodata,"a",@progbits
	.p2align	6, 0x0
	.amdhsa_kernel _ZN7rocprim17ROCPRIM_400000_NS6detail17trampoline_kernelINS0_14default_configENS1_36segmented_radix_sort_config_selectorIblEEZNS1_25segmented_radix_sort_implIS3_Lb1EPKbPbPKlPlN2at6native12_GLOBAL__N_18offset_tEEE10hipError_tPvRmT1_PNSt15iterator_traitsISK_E10value_typeET2_T3_PNSL_ISQ_E10value_typeET4_jRbjT5_SW_jjP12ihipStream_tbEUlT_E0_NS1_11comp_targetILNS1_3genE3ELNS1_11target_archE908ELNS1_3gpuE7ELNS1_3repE0EEENS1_60segmented_radix_sort_warp_sort_medium_config_static_selectorELNS0_4arch9wavefront6targetE0EEEvSK_
		.amdhsa_group_segment_fixed_size 0
		.amdhsa_private_segment_fixed_size 0
		.amdhsa_kernarg_size 88
		.amdhsa_user_sgpr_count 2
		.amdhsa_user_sgpr_dispatch_ptr 0
		.amdhsa_user_sgpr_queue_ptr 0
		.amdhsa_user_sgpr_kernarg_segment_ptr 1
		.amdhsa_user_sgpr_dispatch_id 0
		.amdhsa_user_sgpr_private_segment_size 0
		.amdhsa_wavefront_size32 1
		.amdhsa_uses_dynamic_stack 0
		.amdhsa_enable_private_segment 0
		.amdhsa_system_sgpr_workgroup_id_x 1
		.amdhsa_system_sgpr_workgroup_id_y 0
		.amdhsa_system_sgpr_workgroup_id_z 0
		.amdhsa_system_sgpr_workgroup_info 0
		.amdhsa_system_vgpr_workitem_id 0
		.amdhsa_next_free_vgpr 1
		.amdhsa_next_free_sgpr 1
		.amdhsa_reserve_vcc 0
		.amdhsa_float_round_mode_32 0
		.amdhsa_float_round_mode_16_64 0
		.amdhsa_float_denorm_mode_32 3
		.amdhsa_float_denorm_mode_16_64 3
		.amdhsa_fp16_overflow 0
		.amdhsa_workgroup_processor_mode 1
		.amdhsa_memory_ordered 1
		.amdhsa_forward_progress 1
		.amdhsa_inst_pref_size 0
		.amdhsa_round_robin_scheduling 0
		.amdhsa_exception_fp_ieee_invalid_op 0
		.amdhsa_exception_fp_denorm_src 0
		.amdhsa_exception_fp_ieee_div_zero 0
		.amdhsa_exception_fp_ieee_overflow 0
		.amdhsa_exception_fp_ieee_underflow 0
		.amdhsa_exception_fp_ieee_inexact 0
		.amdhsa_exception_int_div_zero 0
	.end_amdhsa_kernel
	.section	.text._ZN7rocprim17ROCPRIM_400000_NS6detail17trampoline_kernelINS0_14default_configENS1_36segmented_radix_sort_config_selectorIblEEZNS1_25segmented_radix_sort_implIS3_Lb1EPKbPbPKlPlN2at6native12_GLOBAL__N_18offset_tEEE10hipError_tPvRmT1_PNSt15iterator_traitsISK_E10value_typeET2_T3_PNSL_ISQ_E10value_typeET4_jRbjT5_SW_jjP12ihipStream_tbEUlT_E0_NS1_11comp_targetILNS1_3genE3ELNS1_11target_archE908ELNS1_3gpuE7ELNS1_3repE0EEENS1_60segmented_radix_sort_warp_sort_medium_config_static_selectorELNS0_4arch9wavefront6targetE0EEEvSK_,"axG",@progbits,_ZN7rocprim17ROCPRIM_400000_NS6detail17trampoline_kernelINS0_14default_configENS1_36segmented_radix_sort_config_selectorIblEEZNS1_25segmented_radix_sort_implIS3_Lb1EPKbPbPKlPlN2at6native12_GLOBAL__N_18offset_tEEE10hipError_tPvRmT1_PNSt15iterator_traitsISK_E10value_typeET2_T3_PNSL_ISQ_E10value_typeET4_jRbjT5_SW_jjP12ihipStream_tbEUlT_E0_NS1_11comp_targetILNS1_3genE3ELNS1_11target_archE908ELNS1_3gpuE7ELNS1_3repE0EEENS1_60segmented_radix_sort_warp_sort_medium_config_static_selectorELNS0_4arch9wavefront6targetE0EEEvSK_,comdat
.Lfunc_end1545:
	.size	_ZN7rocprim17ROCPRIM_400000_NS6detail17trampoline_kernelINS0_14default_configENS1_36segmented_radix_sort_config_selectorIblEEZNS1_25segmented_radix_sort_implIS3_Lb1EPKbPbPKlPlN2at6native12_GLOBAL__N_18offset_tEEE10hipError_tPvRmT1_PNSt15iterator_traitsISK_E10value_typeET2_T3_PNSL_ISQ_E10value_typeET4_jRbjT5_SW_jjP12ihipStream_tbEUlT_E0_NS1_11comp_targetILNS1_3genE3ELNS1_11target_archE908ELNS1_3gpuE7ELNS1_3repE0EEENS1_60segmented_radix_sort_warp_sort_medium_config_static_selectorELNS0_4arch9wavefront6targetE0EEEvSK_, .Lfunc_end1545-_ZN7rocprim17ROCPRIM_400000_NS6detail17trampoline_kernelINS0_14default_configENS1_36segmented_radix_sort_config_selectorIblEEZNS1_25segmented_radix_sort_implIS3_Lb1EPKbPbPKlPlN2at6native12_GLOBAL__N_18offset_tEEE10hipError_tPvRmT1_PNSt15iterator_traitsISK_E10value_typeET2_T3_PNSL_ISQ_E10value_typeET4_jRbjT5_SW_jjP12ihipStream_tbEUlT_E0_NS1_11comp_targetILNS1_3genE3ELNS1_11target_archE908ELNS1_3gpuE7ELNS1_3repE0EEENS1_60segmented_radix_sort_warp_sort_medium_config_static_selectorELNS0_4arch9wavefront6targetE0EEEvSK_
                                        ; -- End function
	.set _ZN7rocprim17ROCPRIM_400000_NS6detail17trampoline_kernelINS0_14default_configENS1_36segmented_radix_sort_config_selectorIblEEZNS1_25segmented_radix_sort_implIS3_Lb1EPKbPbPKlPlN2at6native12_GLOBAL__N_18offset_tEEE10hipError_tPvRmT1_PNSt15iterator_traitsISK_E10value_typeET2_T3_PNSL_ISQ_E10value_typeET4_jRbjT5_SW_jjP12ihipStream_tbEUlT_E0_NS1_11comp_targetILNS1_3genE3ELNS1_11target_archE908ELNS1_3gpuE7ELNS1_3repE0EEENS1_60segmented_radix_sort_warp_sort_medium_config_static_selectorELNS0_4arch9wavefront6targetE0EEEvSK_.num_vgpr, 0
	.set _ZN7rocprim17ROCPRIM_400000_NS6detail17trampoline_kernelINS0_14default_configENS1_36segmented_radix_sort_config_selectorIblEEZNS1_25segmented_radix_sort_implIS3_Lb1EPKbPbPKlPlN2at6native12_GLOBAL__N_18offset_tEEE10hipError_tPvRmT1_PNSt15iterator_traitsISK_E10value_typeET2_T3_PNSL_ISQ_E10value_typeET4_jRbjT5_SW_jjP12ihipStream_tbEUlT_E0_NS1_11comp_targetILNS1_3genE3ELNS1_11target_archE908ELNS1_3gpuE7ELNS1_3repE0EEENS1_60segmented_radix_sort_warp_sort_medium_config_static_selectorELNS0_4arch9wavefront6targetE0EEEvSK_.num_agpr, 0
	.set _ZN7rocprim17ROCPRIM_400000_NS6detail17trampoline_kernelINS0_14default_configENS1_36segmented_radix_sort_config_selectorIblEEZNS1_25segmented_radix_sort_implIS3_Lb1EPKbPbPKlPlN2at6native12_GLOBAL__N_18offset_tEEE10hipError_tPvRmT1_PNSt15iterator_traitsISK_E10value_typeET2_T3_PNSL_ISQ_E10value_typeET4_jRbjT5_SW_jjP12ihipStream_tbEUlT_E0_NS1_11comp_targetILNS1_3genE3ELNS1_11target_archE908ELNS1_3gpuE7ELNS1_3repE0EEENS1_60segmented_radix_sort_warp_sort_medium_config_static_selectorELNS0_4arch9wavefront6targetE0EEEvSK_.numbered_sgpr, 0
	.set _ZN7rocprim17ROCPRIM_400000_NS6detail17trampoline_kernelINS0_14default_configENS1_36segmented_radix_sort_config_selectorIblEEZNS1_25segmented_radix_sort_implIS3_Lb1EPKbPbPKlPlN2at6native12_GLOBAL__N_18offset_tEEE10hipError_tPvRmT1_PNSt15iterator_traitsISK_E10value_typeET2_T3_PNSL_ISQ_E10value_typeET4_jRbjT5_SW_jjP12ihipStream_tbEUlT_E0_NS1_11comp_targetILNS1_3genE3ELNS1_11target_archE908ELNS1_3gpuE7ELNS1_3repE0EEENS1_60segmented_radix_sort_warp_sort_medium_config_static_selectorELNS0_4arch9wavefront6targetE0EEEvSK_.num_named_barrier, 0
	.set _ZN7rocprim17ROCPRIM_400000_NS6detail17trampoline_kernelINS0_14default_configENS1_36segmented_radix_sort_config_selectorIblEEZNS1_25segmented_radix_sort_implIS3_Lb1EPKbPbPKlPlN2at6native12_GLOBAL__N_18offset_tEEE10hipError_tPvRmT1_PNSt15iterator_traitsISK_E10value_typeET2_T3_PNSL_ISQ_E10value_typeET4_jRbjT5_SW_jjP12ihipStream_tbEUlT_E0_NS1_11comp_targetILNS1_3genE3ELNS1_11target_archE908ELNS1_3gpuE7ELNS1_3repE0EEENS1_60segmented_radix_sort_warp_sort_medium_config_static_selectorELNS0_4arch9wavefront6targetE0EEEvSK_.private_seg_size, 0
	.set _ZN7rocprim17ROCPRIM_400000_NS6detail17trampoline_kernelINS0_14default_configENS1_36segmented_radix_sort_config_selectorIblEEZNS1_25segmented_radix_sort_implIS3_Lb1EPKbPbPKlPlN2at6native12_GLOBAL__N_18offset_tEEE10hipError_tPvRmT1_PNSt15iterator_traitsISK_E10value_typeET2_T3_PNSL_ISQ_E10value_typeET4_jRbjT5_SW_jjP12ihipStream_tbEUlT_E0_NS1_11comp_targetILNS1_3genE3ELNS1_11target_archE908ELNS1_3gpuE7ELNS1_3repE0EEENS1_60segmented_radix_sort_warp_sort_medium_config_static_selectorELNS0_4arch9wavefront6targetE0EEEvSK_.uses_vcc, 0
	.set _ZN7rocprim17ROCPRIM_400000_NS6detail17trampoline_kernelINS0_14default_configENS1_36segmented_radix_sort_config_selectorIblEEZNS1_25segmented_radix_sort_implIS3_Lb1EPKbPbPKlPlN2at6native12_GLOBAL__N_18offset_tEEE10hipError_tPvRmT1_PNSt15iterator_traitsISK_E10value_typeET2_T3_PNSL_ISQ_E10value_typeET4_jRbjT5_SW_jjP12ihipStream_tbEUlT_E0_NS1_11comp_targetILNS1_3genE3ELNS1_11target_archE908ELNS1_3gpuE7ELNS1_3repE0EEENS1_60segmented_radix_sort_warp_sort_medium_config_static_selectorELNS0_4arch9wavefront6targetE0EEEvSK_.uses_flat_scratch, 0
	.set _ZN7rocprim17ROCPRIM_400000_NS6detail17trampoline_kernelINS0_14default_configENS1_36segmented_radix_sort_config_selectorIblEEZNS1_25segmented_radix_sort_implIS3_Lb1EPKbPbPKlPlN2at6native12_GLOBAL__N_18offset_tEEE10hipError_tPvRmT1_PNSt15iterator_traitsISK_E10value_typeET2_T3_PNSL_ISQ_E10value_typeET4_jRbjT5_SW_jjP12ihipStream_tbEUlT_E0_NS1_11comp_targetILNS1_3genE3ELNS1_11target_archE908ELNS1_3gpuE7ELNS1_3repE0EEENS1_60segmented_radix_sort_warp_sort_medium_config_static_selectorELNS0_4arch9wavefront6targetE0EEEvSK_.has_dyn_sized_stack, 0
	.set _ZN7rocprim17ROCPRIM_400000_NS6detail17trampoline_kernelINS0_14default_configENS1_36segmented_radix_sort_config_selectorIblEEZNS1_25segmented_radix_sort_implIS3_Lb1EPKbPbPKlPlN2at6native12_GLOBAL__N_18offset_tEEE10hipError_tPvRmT1_PNSt15iterator_traitsISK_E10value_typeET2_T3_PNSL_ISQ_E10value_typeET4_jRbjT5_SW_jjP12ihipStream_tbEUlT_E0_NS1_11comp_targetILNS1_3genE3ELNS1_11target_archE908ELNS1_3gpuE7ELNS1_3repE0EEENS1_60segmented_radix_sort_warp_sort_medium_config_static_selectorELNS0_4arch9wavefront6targetE0EEEvSK_.has_recursion, 0
	.set _ZN7rocprim17ROCPRIM_400000_NS6detail17trampoline_kernelINS0_14default_configENS1_36segmented_radix_sort_config_selectorIblEEZNS1_25segmented_radix_sort_implIS3_Lb1EPKbPbPKlPlN2at6native12_GLOBAL__N_18offset_tEEE10hipError_tPvRmT1_PNSt15iterator_traitsISK_E10value_typeET2_T3_PNSL_ISQ_E10value_typeET4_jRbjT5_SW_jjP12ihipStream_tbEUlT_E0_NS1_11comp_targetILNS1_3genE3ELNS1_11target_archE908ELNS1_3gpuE7ELNS1_3repE0EEENS1_60segmented_radix_sort_warp_sort_medium_config_static_selectorELNS0_4arch9wavefront6targetE0EEEvSK_.has_indirect_call, 0
	.section	.AMDGPU.csdata,"",@progbits
; Kernel info:
; codeLenInByte = 0
; TotalNumSgprs: 0
; NumVgprs: 0
; ScratchSize: 0
; MemoryBound: 0
; FloatMode: 240
; IeeeMode: 1
; LDSByteSize: 0 bytes/workgroup (compile time only)
; SGPRBlocks: 0
; VGPRBlocks: 0
; NumSGPRsForWavesPerEU: 1
; NumVGPRsForWavesPerEU: 1
; Occupancy: 16
; WaveLimiterHint : 0
; COMPUTE_PGM_RSRC2:SCRATCH_EN: 0
; COMPUTE_PGM_RSRC2:USER_SGPR: 2
; COMPUTE_PGM_RSRC2:TRAP_HANDLER: 0
; COMPUTE_PGM_RSRC2:TGID_X_EN: 1
; COMPUTE_PGM_RSRC2:TGID_Y_EN: 0
; COMPUTE_PGM_RSRC2:TGID_Z_EN: 0
; COMPUTE_PGM_RSRC2:TIDIG_COMP_CNT: 0
	.section	.text._ZN7rocprim17ROCPRIM_400000_NS6detail17trampoline_kernelINS0_14default_configENS1_36segmented_radix_sort_config_selectorIblEEZNS1_25segmented_radix_sort_implIS3_Lb1EPKbPbPKlPlN2at6native12_GLOBAL__N_18offset_tEEE10hipError_tPvRmT1_PNSt15iterator_traitsISK_E10value_typeET2_T3_PNSL_ISQ_E10value_typeET4_jRbjT5_SW_jjP12ihipStream_tbEUlT_E0_NS1_11comp_targetILNS1_3genE2ELNS1_11target_archE906ELNS1_3gpuE6ELNS1_3repE0EEENS1_60segmented_radix_sort_warp_sort_medium_config_static_selectorELNS0_4arch9wavefront6targetE0EEEvSK_,"axG",@progbits,_ZN7rocprim17ROCPRIM_400000_NS6detail17trampoline_kernelINS0_14default_configENS1_36segmented_radix_sort_config_selectorIblEEZNS1_25segmented_radix_sort_implIS3_Lb1EPKbPbPKlPlN2at6native12_GLOBAL__N_18offset_tEEE10hipError_tPvRmT1_PNSt15iterator_traitsISK_E10value_typeET2_T3_PNSL_ISQ_E10value_typeET4_jRbjT5_SW_jjP12ihipStream_tbEUlT_E0_NS1_11comp_targetILNS1_3genE2ELNS1_11target_archE906ELNS1_3gpuE6ELNS1_3repE0EEENS1_60segmented_radix_sort_warp_sort_medium_config_static_selectorELNS0_4arch9wavefront6targetE0EEEvSK_,comdat
	.globl	_ZN7rocprim17ROCPRIM_400000_NS6detail17trampoline_kernelINS0_14default_configENS1_36segmented_radix_sort_config_selectorIblEEZNS1_25segmented_radix_sort_implIS3_Lb1EPKbPbPKlPlN2at6native12_GLOBAL__N_18offset_tEEE10hipError_tPvRmT1_PNSt15iterator_traitsISK_E10value_typeET2_T3_PNSL_ISQ_E10value_typeET4_jRbjT5_SW_jjP12ihipStream_tbEUlT_E0_NS1_11comp_targetILNS1_3genE2ELNS1_11target_archE906ELNS1_3gpuE6ELNS1_3repE0EEENS1_60segmented_radix_sort_warp_sort_medium_config_static_selectorELNS0_4arch9wavefront6targetE0EEEvSK_ ; -- Begin function _ZN7rocprim17ROCPRIM_400000_NS6detail17trampoline_kernelINS0_14default_configENS1_36segmented_radix_sort_config_selectorIblEEZNS1_25segmented_radix_sort_implIS3_Lb1EPKbPbPKlPlN2at6native12_GLOBAL__N_18offset_tEEE10hipError_tPvRmT1_PNSt15iterator_traitsISK_E10value_typeET2_T3_PNSL_ISQ_E10value_typeET4_jRbjT5_SW_jjP12ihipStream_tbEUlT_E0_NS1_11comp_targetILNS1_3genE2ELNS1_11target_archE906ELNS1_3gpuE6ELNS1_3repE0EEENS1_60segmented_radix_sort_warp_sort_medium_config_static_selectorELNS0_4arch9wavefront6targetE0EEEvSK_
	.p2align	8
	.type	_ZN7rocprim17ROCPRIM_400000_NS6detail17trampoline_kernelINS0_14default_configENS1_36segmented_radix_sort_config_selectorIblEEZNS1_25segmented_radix_sort_implIS3_Lb1EPKbPbPKlPlN2at6native12_GLOBAL__N_18offset_tEEE10hipError_tPvRmT1_PNSt15iterator_traitsISK_E10value_typeET2_T3_PNSL_ISQ_E10value_typeET4_jRbjT5_SW_jjP12ihipStream_tbEUlT_E0_NS1_11comp_targetILNS1_3genE2ELNS1_11target_archE906ELNS1_3gpuE6ELNS1_3repE0EEENS1_60segmented_radix_sort_warp_sort_medium_config_static_selectorELNS0_4arch9wavefront6targetE0EEEvSK_,@function
_ZN7rocprim17ROCPRIM_400000_NS6detail17trampoline_kernelINS0_14default_configENS1_36segmented_radix_sort_config_selectorIblEEZNS1_25segmented_radix_sort_implIS3_Lb1EPKbPbPKlPlN2at6native12_GLOBAL__N_18offset_tEEE10hipError_tPvRmT1_PNSt15iterator_traitsISK_E10value_typeET2_T3_PNSL_ISQ_E10value_typeET4_jRbjT5_SW_jjP12ihipStream_tbEUlT_E0_NS1_11comp_targetILNS1_3genE2ELNS1_11target_archE906ELNS1_3gpuE6ELNS1_3repE0EEENS1_60segmented_radix_sort_warp_sort_medium_config_static_selectorELNS0_4arch9wavefront6targetE0EEEvSK_: ; @_ZN7rocprim17ROCPRIM_400000_NS6detail17trampoline_kernelINS0_14default_configENS1_36segmented_radix_sort_config_selectorIblEEZNS1_25segmented_radix_sort_implIS3_Lb1EPKbPbPKlPlN2at6native12_GLOBAL__N_18offset_tEEE10hipError_tPvRmT1_PNSt15iterator_traitsISK_E10value_typeET2_T3_PNSL_ISQ_E10value_typeET4_jRbjT5_SW_jjP12ihipStream_tbEUlT_E0_NS1_11comp_targetILNS1_3genE2ELNS1_11target_archE906ELNS1_3gpuE6ELNS1_3repE0EEENS1_60segmented_radix_sort_warp_sort_medium_config_static_selectorELNS0_4arch9wavefront6targetE0EEEvSK_
; %bb.0:
	.section	.rodata,"a",@progbits
	.p2align	6, 0x0
	.amdhsa_kernel _ZN7rocprim17ROCPRIM_400000_NS6detail17trampoline_kernelINS0_14default_configENS1_36segmented_radix_sort_config_selectorIblEEZNS1_25segmented_radix_sort_implIS3_Lb1EPKbPbPKlPlN2at6native12_GLOBAL__N_18offset_tEEE10hipError_tPvRmT1_PNSt15iterator_traitsISK_E10value_typeET2_T3_PNSL_ISQ_E10value_typeET4_jRbjT5_SW_jjP12ihipStream_tbEUlT_E0_NS1_11comp_targetILNS1_3genE2ELNS1_11target_archE906ELNS1_3gpuE6ELNS1_3repE0EEENS1_60segmented_radix_sort_warp_sort_medium_config_static_selectorELNS0_4arch9wavefront6targetE0EEEvSK_
		.amdhsa_group_segment_fixed_size 0
		.amdhsa_private_segment_fixed_size 0
		.amdhsa_kernarg_size 88
		.amdhsa_user_sgpr_count 2
		.amdhsa_user_sgpr_dispatch_ptr 0
		.amdhsa_user_sgpr_queue_ptr 0
		.amdhsa_user_sgpr_kernarg_segment_ptr 1
		.amdhsa_user_sgpr_dispatch_id 0
		.amdhsa_user_sgpr_private_segment_size 0
		.amdhsa_wavefront_size32 1
		.amdhsa_uses_dynamic_stack 0
		.amdhsa_enable_private_segment 0
		.amdhsa_system_sgpr_workgroup_id_x 1
		.amdhsa_system_sgpr_workgroup_id_y 0
		.amdhsa_system_sgpr_workgroup_id_z 0
		.amdhsa_system_sgpr_workgroup_info 0
		.amdhsa_system_vgpr_workitem_id 0
		.amdhsa_next_free_vgpr 1
		.amdhsa_next_free_sgpr 1
		.amdhsa_reserve_vcc 0
		.amdhsa_float_round_mode_32 0
		.amdhsa_float_round_mode_16_64 0
		.amdhsa_float_denorm_mode_32 3
		.amdhsa_float_denorm_mode_16_64 3
		.amdhsa_fp16_overflow 0
		.amdhsa_workgroup_processor_mode 1
		.amdhsa_memory_ordered 1
		.amdhsa_forward_progress 1
		.amdhsa_inst_pref_size 0
		.amdhsa_round_robin_scheduling 0
		.amdhsa_exception_fp_ieee_invalid_op 0
		.amdhsa_exception_fp_denorm_src 0
		.amdhsa_exception_fp_ieee_div_zero 0
		.amdhsa_exception_fp_ieee_overflow 0
		.amdhsa_exception_fp_ieee_underflow 0
		.amdhsa_exception_fp_ieee_inexact 0
		.amdhsa_exception_int_div_zero 0
	.end_amdhsa_kernel
	.section	.text._ZN7rocprim17ROCPRIM_400000_NS6detail17trampoline_kernelINS0_14default_configENS1_36segmented_radix_sort_config_selectorIblEEZNS1_25segmented_radix_sort_implIS3_Lb1EPKbPbPKlPlN2at6native12_GLOBAL__N_18offset_tEEE10hipError_tPvRmT1_PNSt15iterator_traitsISK_E10value_typeET2_T3_PNSL_ISQ_E10value_typeET4_jRbjT5_SW_jjP12ihipStream_tbEUlT_E0_NS1_11comp_targetILNS1_3genE2ELNS1_11target_archE906ELNS1_3gpuE6ELNS1_3repE0EEENS1_60segmented_radix_sort_warp_sort_medium_config_static_selectorELNS0_4arch9wavefront6targetE0EEEvSK_,"axG",@progbits,_ZN7rocprim17ROCPRIM_400000_NS6detail17trampoline_kernelINS0_14default_configENS1_36segmented_radix_sort_config_selectorIblEEZNS1_25segmented_radix_sort_implIS3_Lb1EPKbPbPKlPlN2at6native12_GLOBAL__N_18offset_tEEE10hipError_tPvRmT1_PNSt15iterator_traitsISK_E10value_typeET2_T3_PNSL_ISQ_E10value_typeET4_jRbjT5_SW_jjP12ihipStream_tbEUlT_E0_NS1_11comp_targetILNS1_3genE2ELNS1_11target_archE906ELNS1_3gpuE6ELNS1_3repE0EEENS1_60segmented_radix_sort_warp_sort_medium_config_static_selectorELNS0_4arch9wavefront6targetE0EEEvSK_,comdat
.Lfunc_end1546:
	.size	_ZN7rocprim17ROCPRIM_400000_NS6detail17trampoline_kernelINS0_14default_configENS1_36segmented_radix_sort_config_selectorIblEEZNS1_25segmented_radix_sort_implIS3_Lb1EPKbPbPKlPlN2at6native12_GLOBAL__N_18offset_tEEE10hipError_tPvRmT1_PNSt15iterator_traitsISK_E10value_typeET2_T3_PNSL_ISQ_E10value_typeET4_jRbjT5_SW_jjP12ihipStream_tbEUlT_E0_NS1_11comp_targetILNS1_3genE2ELNS1_11target_archE906ELNS1_3gpuE6ELNS1_3repE0EEENS1_60segmented_radix_sort_warp_sort_medium_config_static_selectorELNS0_4arch9wavefront6targetE0EEEvSK_, .Lfunc_end1546-_ZN7rocprim17ROCPRIM_400000_NS6detail17trampoline_kernelINS0_14default_configENS1_36segmented_radix_sort_config_selectorIblEEZNS1_25segmented_radix_sort_implIS3_Lb1EPKbPbPKlPlN2at6native12_GLOBAL__N_18offset_tEEE10hipError_tPvRmT1_PNSt15iterator_traitsISK_E10value_typeET2_T3_PNSL_ISQ_E10value_typeET4_jRbjT5_SW_jjP12ihipStream_tbEUlT_E0_NS1_11comp_targetILNS1_3genE2ELNS1_11target_archE906ELNS1_3gpuE6ELNS1_3repE0EEENS1_60segmented_radix_sort_warp_sort_medium_config_static_selectorELNS0_4arch9wavefront6targetE0EEEvSK_
                                        ; -- End function
	.set _ZN7rocprim17ROCPRIM_400000_NS6detail17trampoline_kernelINS0_14default_configENS1_36segmented_radix_sort_config_selectorIblEEZNS1_25segmented_radix_sort_implIS3_Lb1EPKbPbPKlPlN2at6native12_GLOBAL__N_18offset_tEEE10hipError_tPvRmT1_PNSt15iterator_traitsISK_E10value_typeET2_T3_PNSL_ISQ_E10value_typeET4_jRbjT5_SW_jjP12ihipStream_tbEUlT_E0_NS1_11comp_targetILNS1_3genE2ELNS1_11target_archE906ELNS1_3gpuE6ELNS1_3repE0EEENS1_60segmented_radix_sort_warp_sort_medium_config_static_selectorELNS0_4arch9wavefront6targetE0EEEvSK_.num_vgpr, 0
	.set _ZN7rocprim17ROCPRIM_400000_NS6detail17trampoline_kernelINS0_14default_configENS1_36segmented_radix_sort_config_selectorIblEEZNS1_25segmented_radix_sort_implIS3_Lb1EPKbPbPKlPlN2at6native12_GLOBAL__N_18offset_tEEE10hipError_tPvRmT1_PNSt15iterator_traitsISK_E10value_typeET2_T3_PNSL_ISQ_E10value_typeET4_jRbjT5_SW_jjP12ihipStream_tbEUlT_E0_NS1_11comp_targetILNS1_3genE2ELNS1_11target_archE906ELNS1_3gpuE6ELNS1_3repE0EEENS1_60segmented_radix_sort_warp_sort_medium_config_static_selectorELNS0_4arch9wavefront6targetE0EEEvSK_.num_agpr, 0
	.set _ZN7rocprim17ROCPRIM_400000_NS6detail17trampoline_kernelINS0_14default_configENS1_36segmented_radix_sort_config_selectorIblEEZNS1_25segmented_radix_sort_implIS3_Lb1EPKbPbPKlPlN2at6native12_GLOBAL__N_18offset_tEEE10hipError_tPvRmT1_PNSt15iterator_traitsISK_E10value_typeET2_T3_PNSL_ISQ_E10value_typeET4_jRbjT5_SW_jjP12ihipStream_tbEUlT_E0_NS1_11comp_targetILNS1_3genE2ELNS1_11target_archE906ELNS1_3gpuE6ELNS1_3repE0EEENS1_60segmented_radix_sort_warp_sort_medium_config_static_selectorELNS0_4arch9wavefront6targetE0EEEvSK_.numbered_sgpr, 0
	.set _ZN7rocprim17ROCPRIM_400000_NS6detail17trampoline_kernelINS0_14default_configENS1_36segmented_radix_sort_config_selectorIblEEZNS1_25segmented_radix_sort_implIS3_Lb1EPKbPbPKlPlN2at6native12_GLOBAL__N_18offset_tEEE10hipError_tPvRmT1_PNSt15iterator_traitsISK_E10value_typeET2_T3_PNSL_ISQ_E10value_typeET4_jRbjT5_SW_jjP12ihipStream_tbEUlT_E0_NS1_11comp_targetILNS1_3genE2ELNS1_11target_archE906ELNS1_3gpuE6ELNS1_3repE0EEENS1_60segmented_radix_sort_warp_sort_medium_config_static_selectorELNS0_4arch9wavefront6targetE0EEEvSK_.num_named_barrier, 0
	.set _ZN7rocprim17ROCPRIM_400000_NS6detail17trampoline_kernelINS0_14default_configENS1_36segmented_radix_sort_config_selectorIblEEZNS1_25segmented_radix_sort_implIS3_Lb1EPKbPbPKlPlN2at6native12_GLOBAL__N_18offset_tEEE10hipError_tPvRmT1_PNSt15iterator_traitsISK_E10value_typeET2_T3_PNSL_ISQ_E10value_typeET4_jRbjT5_SW_jjP12ihipStream_tbEUlT_E0_NS1_11comp_targetILNS1_3genE2ELNS1_11target_archE906ELNS1_3gpuE6ELNS1_3repE0EEENS1_60segmented_radix_sort_warp_sort_medium_config_static_selectorELNS0_4arch9wavefront6targetE0EEEvSK_.private_seg_size, 0
	.set _ZN7rocprim17ROCPRIM_400000_NS6detail17trampoline_kernelINS0_14default_configENS1_36segmented_radix_sort_config_selectorIblEEZNS1_25segmented_radix_sort_implIS3_Lb1EPKbPbPKlPlN2at6native12_GLOBAL__N_18offset_tEEE10hipError_tPvRmT1_PNSt15iterator_traitsISK_E10value_typeET2_T3_PNSL_ISQ_E10value_typeET4_jRbjT5_SW_jjP12ihipStream_tbEUlT_E0_NS1_11comp_targetILNS1_3genE2ELNS1_11target_archE906ELNS1_3gpuE6ELNS1_3repE0EEENS1_60segmented_radix_sort_warp_sort_medium_config_static_selectorELNS0_4arch9wavefront6targetE0EEEvSK_.uses_vcc, 0
	.set _ZN7rocprim17ROCPRIM_400000_NS6detail17trampoline_kernelINS0_14default_configENS1_36segmented_radix_sort_config_selectorIblEEZNS1_25segmented_radix_sort_implIS3_Lb1EPKbPbPKlPlN2at6native12_GLOBAL__N_18offset_tEEE10hipError_tPvRmT1_PNSt15iterator_traitsISK_E10value_typeET2_T3_PNSL_ISQ_E10value_typeET4_jRbjT5_SW_jjP12ihipStream_tbEUlT_E0_NS1_11comp_targetILNS1_3genE2ELNS1_11target_archE906ELNS1_3gpuE6ELNS1_3repE0EEENS1_60segmented_radix_sort_warp_sort_medium_config_static_selectorELNS0_4arch9wavefront6targetE0EEEvSK_.uses_flat_scratch, 0
	.set _ZN7rocprim17ROCPRIM_400000_NS6detail17trampoline_kernelINS0_14default_configENS1_36segmented_radix_sort_config_selectorIblEEZNS1_25segmented_radix_sort_implIS3_Lb1EPKbPbPKlPlN2at6native12_GLOBAL__N_18offset_tEEE10hipError_tPvRmT1_PNSt15iterator_traitsISK_E10value_typeET2_T3_PNSL_ISQ_E10value_typeET4_jRbjT5_SW_jjP12ihipStream_tbEUlT_E0_NS1_11comp_targetILNS1_3genE2ELNS1_11target_archE906ELNS1_3gpuE6ELNS1_3repE0EEENS1_60segmented_radix_sort_warp_sort_medium_config_static_selectorELNS0_4arch9wavefront6targetE0EEEvSK_.has_dyn_sized_stack, 0
	.set _ZN7rocprim17ROCPRIM_400000_NS6detail17trampoline_kernelINS0_14default_configENS1_36segmented_radix_sort_config_selectorIblEEZNS1_25segmented_radix_sort_implIS3_Lb1EPKbPbPKlPlN2at6native12_GLOBAL__N_18offset_tEEE10hipError_tPvRmT1_PNSt15iterator_traitsISK_E10value_typeET2_T3_PNSL_ISQ_E10value_typeET4_jRbjT5_SW_jjP12ihipStream_tbEUlT_E0_NS1_11comp_targetILNS1_3genE2ELNS1_11target_archE906ELNS1_3gpuE6ELNS1_3repE0EEENS1_60segmented_radix_sort_warp_sort_medium_config_static_selectorELNS0_4arch9wavefront6targetE0EEEvSK_.has_recursion, 0
	.set _ZN7rocprim17ROCPRIM_400000_NS6detail17trampoline_kernelINS0_14default_configENS1_36segmented_radix_sort_config_selectorIblEEZNS1_25segmented_radix_sort_implIS3_Lb1EPKbPbPKlPlN2at6native12_GLOBAL__N_18offset_tEEE10hipError_tPvRmT1_PNSt15iterator_traitsISK_E10value_typeET2_T3_PNSL_ISQ_E10value_typeET4_jRbjT5_SW_jjP12ihipStream_tbEUlT_E0_NS1_11comp_targetILNS1_3genE2ELNS1_11target_archE906ELNS1_3gpuE6ELNS1_3repE0EEENS1_60segmented_radix_sort_warp_sort_medium_config_static_selectorELNS0_4arch9wavefront6targetE0EEEvSK_.has_indirect_call, 0
	.section	.AMDGPU.csdata,"",@progbits
; Kernel info:
; codeLenInByte = 0
; TotalNumSgprs: 0
; NumVgprs: 0
; ScratchSize: 0
; MemoryBound: 0
; FloatMode: 240
; IeeeMode: 1
; LDSByteSize: 0 bytes/workgroup (compile time only)
; SGPRBlocks: 0
; VGPRBlocks: 0
; NumSGPRsForWavesPerEU: 1
; NumVGPRsForWavesPerEU: 1
; Occupancy: 16
; WaveLimiterHint : 0
; COMPUTE_PGM_RSRC2:SCRATCH_EN: 0
; COMPUTE_PGM_RSRC2:USER_SGPR: 2
; COMPUTE_PGM_RSRC2:TRAP_HANDLER: 0
; COMPUTE_PGM_RSRC2:TGID_X_EN: 1
; COMPUTE_PGM_RSRC2:TGID_Y_EN: 0
; COMPUTE_PGM_RSRC2:TGID_Z_EN: 0
; COMPUTE_PGM_RSRC2:TIDIG_COMP_CNT: 0
	.text
	.p2align	2                               ; -- Begin function _ZN7rocprim17ROCPRIM_400000_NS6detail26segmented_warp_sort_helperINS1_20WarpSortHelperConfigILj16ELj8ELj256EEEblLi256ELb1EvE4sortIPKbPbPKlPlEEvT_T0_T1_T2_jjjjRNS5_12storage_typeE
	.type	_ZN7rocprim17ROCPRIM_400000_NS6detail26segmented_warp_sort_helperINS1_20WarpSortHelperConfigILj16ELj8ELj256EEEblLi256ELb1EvE4sortIPKbPbPKlPlEEvT_T0_T1_T2_jjjjRNS5_12storage_typeE,@function
_ZN7rocprim17ROCPRIM_400000_NS6detail26segmented_warp_sort_helperINS1_20WarpSortHelperConfigILj16ELj8ELj256EEEblLi256ELb1EvE4sortIPKbPbPKlPlEEvT_T0_T1_T2_jjjjRNS5_12storage_typeE: ; @_ZN7rocprim17ROCPRIM_400000_NS6detail26segmented_warp_sort_helperINS1_20WarpSortHelperConfigILj16ELj8ELj256EEEblLi256ELb1EvE4sortIPKbPbPKlPlEEvT_T0_T1_T2_jjjjRNS5_12storage_typeE
; %bb.0:
	s_wait_loadcnt_dscnt 0x0
	s_wait_expcnt 0x0
	s_wait_samplecnt 0x0
	s_wait_bvhcnt 0x0
	s_wait_kmcnt 0x0
	v_mbcnt_lo_u32_b32 v12, -1, 0
	v_dual_mov_b32 v36, 0 :: v_dual_mov_b32 v35, 0
	v_add_co_u32 v0, vcc_lo, v0, v8
	s_delay_alu instid0(VALU_DEP_3) | instskip(SKIP_1) | instid1(VALU_DEP_4)
	v_lshlrev_b32_e32 v34, 3, v12
	v_sub_nc_u32_e32 v12, v9, v8
	v_mov_b32_e32 v9, v36
	s_wait_alu 0xfffd
	v_add_co_ci_u32_e64 v1, null, 0, v1, vcc_lo
	v_and_b32_e32 v32, 0x78, v34
	s_delay_alu instid0(VALU_DEP_1) | instskip(SKIP_1) | instid1(VALU_DEP_3)
	v_add_co_u32 v0, vcc_lo, v0, v32
	s_wait_alu 0xfffd
	v_add_co_ci_u32_e64 v1, null, 0, v1, vcc_lo
	v_cmp_lt_u32_e32 vcc_lo, v32, v12
	s_and_saveexec_b32 s0, vcc_lo
	s_cbranch_execz .LBB1547_2
; %bb.1:
	flat_load_u8 v35, v[0:1]
.LBB1547_2:
	s_wait_alu 0xfffe
	s_or_b32 exec_lo, exec_lo, s0
	v_or_b32_e32 v13, 1, v32
	s_delay_alu instid0(VALU_DEP_1)
	v_cmp_lt_u32_e64 s0, v13, v12
	s_and_saveexec_b32 s1, s0
	s_cbranch_execz .LBB1547_4
; %bb.3:
	flat_load_u8 v36, v[0:1] offset:1
.LBB1547_4:
	s_wait_alu 0xfffe
	s_or_b32 exec_lo, exec_lo, s1
	v_or_b32_e32 v13, 2, v32
	v_dual_mov_b32 v48, 0 :: v_dual_mov_b32 v37, 0
	s_delay_alu instid0(VALU_DEP_2)
	v_cmp_lt_u32_e64 s1, v13, v12
	s_and_saveexec_b32 s2, s1
	s_cbranch_execz .LBB1547_6
; %bb.5:
	flat_load_u8 v37, v[0:1] offset:2
.LBB1547_6:
	s_wait_alu 0xfffe
	s_or_b32 exec_lo, exec_lo, s2
	v_or_b32_e32 v13, 3, v32
	s_delay_alu instid0(VALU_DEP_1)
	v_cmp_lt_u32_e64 s2, v13, v12
	s_and_saveexec_b32 s3, s2
	s_cbranch_execz .LBB1547_8
; %bb.7:
	flat_load_u8 v48, v[0:1] offset:3
.LBB1547_8:
	s_wait_alu 0xfffe
	s_or_b32 exec_lo, exec_lo, s3
	v_or_b32_e32 v13, 4, v32
	v_mov_b32_e32 v39, 0
	v_mov_b32_e32 v49, 0
	s_delay_alu instid0(VALU_DEP_3)
	v_cmp_lt_u32_e64 s3, v13, v12
	s_and_saveexec_b32 s4, s3
	s_cbranch_execz .LBB1547_10
; %bb.9:
	flat_load_u8 v49, v[0:1] offset:4
.LBB1547_10:
	s_wait_alu 0xfffe
	s_or_b32 exec_lo, exec_lo, s4
	v_or_b32_e32 v13, 5, v32
	s_delay_alu instid0(VALU_DEP_1)
	v_cmp_lt_u32_e64 s4, v13, v12
	s_and_saveexec_b32 s5, s4
	s_cbranch_execz .LBB1547_12
; %bb.11:
	flat_load_u8 v39, v[0:1] offset:5
.LBB1547_12:
	s_wait_alu 0xfffe
	s_or_b32 exec_lo, exec_lo, s5
	v_or_b32_e32 v13, 6, v32
	v_mov_b32_e32 v38, 0
	v_mov_b32_e32 v50, 0
	s_delay_alu instid0(VALU_DEP_3)
	v_cmp_lt_u32_e64 s5, v13, v12
	s_and_saveexec_b32 s6, s5
	s_cbranch_execz .LBB1547_14
; %bb.13:
	flat_load_u8 v50, v[0:1] offset:6
.LBB1547_14:
	s_wait_alu 0xfffe
	s_or_b32 exec_lo, exec_lo, s6
	v_or_b32_e32 v13, 7, v32
	s_delay_alu instid0(VALU_DEP_1)
	v_cmp_lt_u32_e64 s6, v13, v12
	s_and_saveexec_b32 s7, s6
	s_cbranch_execz .LBB1547_16
; %bb.15:
	flat_load_u8 v38, v[0:1] offset:7
.LBB1547_16:
	s_wait_alu 0xfffe
	s_or_b32 exec_lo, exec_lo, s7
	v_lshlrev_b64_e32 v[0:1], 3, v[8:9]
	v_lshlrev_b32_e32 v33, 3, v32
	; wave barrier
	s_delay_alu instid0(VALU_DEP_2) | instskip(SKIP_1) | instid1(VALU_DEP_3)
	v_add_co_u32 v4, s7, v4, v0
	s_wait_alu 0xf1ff
	v_add_co_ci_u32_e64 v5, null, v5, v1, s7
	s_delay_alu instid0(VALU_DEP_2) | instskip(SKIP_1) | instid1(VALU_DEP_2)
	v_add_co_u32 v26, s7, v4, v33
	s_wait_alu 0xf1ff
	v_add_co_ci_u32_e64 v27, null, 0, v5, s7
                                        ; implicit-def: $vgpr4_vgpr5
	s_and_saveexec_b32 s7, vcc_lo
	s_cbranch_execnz .LBB1547_243
; %bb.17:
	s_wait_alu 0xfffe
	s_or_b32 exec_lo, exec_lo, s7
	s_and_saveexec_b32 s7, s0
                                        ; implicit-def: $vgpr14_vgpr15
	s_cbranch_execnz .LBB1547_244
.LBB1547_18:
	s_wait_alu 0xfffe
	s_or_b32 exec_lo, exec_lo, s7
                                        ; implicit-def: $vgpr16_vgpr17
	s_and_saveexec_b32 s7, s1
	s_cbranch_execnz .LBB1547_245
.LBB1547_19:
	s_wait_alu 0xfffe
	s_or_b32 exec_lo, exec_lo, s7
	s_and_saveexec_b32 s7, s2
                                        ; implicit-def: $vgpr18_vgpr19
	s_cbranch_execnz .LBB1547_246
.LBB1547_20:
	s_wait_alu 0xfffe
	s_or_b32 exec_lo, exec_lo, s7
                                        ; implicit-def: $vgpr20_vgpr21
	s_and_saveexec_b32 s7, s3
	s_cbranch_execnz .LBB1547_247
.LBB1547_21:
	s_wait_alu 0xfffe
	s_or_b32 exec_lo, exec_lo, s7
	s_and_saveexec_b32 s7, s4
                                        ; implicit-def: $vgpr24_vgpr25
	s_cbranch_execnz .LBB1547_248
.LBB1547_22:
	s_wait_alu 0xfffe
	s_or_b32 exec_lo, exec_lo, s7
                                        ; implicit-def: $vgpr12_vgpr13
	s_and_saveexec_b32 s7, s5
	s_cbranch_execnz .LBB1547_249
.LBB1547_23:
	s_wait_alu 0xfffe
	s_or_b32 exec_lo, exec_lo, s7
	s_and_saveexec_b32 s7, s6
                                        ; implicit-def: $vgpr22_vgpr23
	s_cbranch_execz .LBB1547_25
.LBB1547_24:
	flat_load_b64 v[22:23], v[26:27] offset:56
.LBB1547_25:
	s_wait_alu 0xfffe
	s_or_b32 exec_lo, exec_lo, s7
	v_cmp_ne_u32_e64 s7, 0, v10
	v_cmp_ne_u32_e64 s10, 8, v11
	v_bfe_u32 v26, v31, 10, 10
	v_bfe_u32 v27, v31, 20, 10
	v_and_b32_e32 v9, 0x3ff, v31
	s_mov_b32 s11, 0
	s_or_b32 s7, s7, s10
	; wave barrier
	s_wait_alu 0xfffe
	s_and_saveexec_b32 s10, s7
	s_wait_alu 0xfffe
	s_xor_b32 s19, exec_lo, s10
	s_cbranch_execz .LBB1547_125
; %bb.26:
	v_cmp_ne_u32_e64 s7, 0, v11
	v_cmp_ne_u32_e64 s10, 0, v10
	s_load_b64 s[12:13], s[8:9], 0x0
	s_xor_b32 s7, s10, s7
	s_wait_alu 0xfffe
	v_cndmask_b32_e64 v10, 0, 1, s7
	s_and_b32 s7, ttmp7, 0xffff
	scratch_store_b8 off, v10, s32 offset:6
	scratch_load_u8 v10, off, s32 offset:6
	s_wait_kmcnt 0x0
	s_wait_alu 0xfffe
	s_cmp_lt_u32 s7, s13
	s_cselect_b32 s10, 14, 20
	s_cmp_lt_u32 ttmp9, s12
	s_wait_alu 0xfffe
	s_add_nc_u64 s[14:15], s[8:9], s[10:11]
	s_cselect_b32 s10, 12, 18
	s_load_u16 s7, s[14:15], 0x0
	s_add_nc_u64 s[10:11], s[8:9], s[10:11]
	s_load_u16 s10, s[10:11], 0x0
	s_mov_b32 s11, exec_lo
	s_wait_kmcnt 0x0
	v_mad_u32_u24 v11, v27, s7, v26
	s_delay_alu instid0(VALU_DEP_1) | instskip(NEXT) | instid1(VALU_DEP_1)
	v_mul_lo_u32 v11, v11, s10
	v_add_lshl_u32 v51, v11, v9, 3
	s_wait_loadcnt 0x0
	v_and_b32_e32 v10, 1, v10
	s_delay_alu instid0(VALU_DEP_1)
	v_cmp_eq_u32_e64 s7, 1, v10
	v_and_b32_e32 v9, 1, v10
	s_clause 0x1
	scratch_store_b8 off, v10, s32 offset:5
	scratch_store_b8 off, v9, s32 offset:4
	v_cmpx_gt_u32_e32 0x800, v51
	s_cbranch_execz .LBB1547_84
; %bb.27:
	scratch_load_u8 v52, off, s32 offset:4
	s_mov_b32 s12, exec_lo
	s_wait_dscnt 0x0
	v_dual_mov_b32 v27, v15 :: v_dual_mov_b32 v26, v14
	s_wait_loadcnt 0x0
	v_and_b32_e32 v9, v52, v36
	v_and_b32_e32 v10, v52, v35
	s_delay_alu instid0(VALU_DEP_2) | instskip(NEXT) | instid1(VALU_DEP_2)
	v_and_b32_e32 v9, 1, v9
	v_and_b32_e32 v10, 1, v10
	s_delay_alu instid0(VALU_DEP_1)
	v_cmpx_gt_u16_e64 v9, v10
; %bb.28:
	v_dual_mov_b32 v36, v35 :: v_dual_mov_b32 v35, 1
	v_dual_mov_b32 v27, v5 :: v_dual_mov_b32 v26, v4
	;; [unrolled: 1-line block ×3, first 2 shown]
; %bb.29:
	s_wait_alu 0xfffe
	s_or_b32 exec_lo, exec_lo, s12
	v_and_b32_e32 v9, v52, v48
	v_dual_mov_b32 v29, v19 :: v_dual_and_b32 v10, v52, v37
	v_mov_b32_e32 v28, v18
	s_mov_b32 s12, exec_lo
	s_delay_alu instid0(VALU_DEP_3) | instskip(NEXT) | instid1(VALU_DEP_3)
	v_and_b32_e32 v9, 0xff, v9
	v_and_b32_e32 v10, 0xff, v10
	s_delay_alu instid0(VALU_DEP_1)
	v_cmpx_gt_u16_e64 v9, v10
; %bb.30:
	v_dual_mov_b32 v48, v37 :: v_dual_mov_b32 v37, 1
	v_dual_mov_b32 v29, v17 :: v_dual_mov_b32 v28, v16
	;; [unrolled: 1-line block ×3, first 2 shown]
; %bb.31:
	s_wait_alu 0xfffe
	s_or_b32 exec_lo, exec_lo, s12
	v_and_b32_e32 v9, v52, v39
	v_and_b32_e32 v10, v52, v49
	s_mov_b32 s12, exec_lo
	v_dual_mov_b32 v14, v24 :: v_dual_mov_b32 v15, v25
	s_delay_alu instid0(VALU_DEP_3) | instskip(NEXT) | instid1(VALU_DEP_3)
	v_and_b32_e32 v9, 0xff, v9
	v_dual_mov_b32 v11, v49 :: v_dual_and_b32 v10, 0xff, v10
	s_delay_alu instid0(VALU_DEP_1)
	v_cmpx_gt_u16_e64 v9, v10
; %bb.32:
	v_dual_mov_b32 v11, 1 :: v_dual_mov_b32 v14, v20
	v_dual_mov_b32 v15, v21 :: v_dual_mov_b32 v20, v24
	v_mov_b32_e32 v21, v25
	v_mov_b32_e32 v39, v49
; %bb.33:
	s_wait_alu 0xfffe
	s_or_b32 exec_lo, exec_lo, s12
	v_and_b32_e32 v9, v52, v38
	v_dual_mov_b32 v53, v50 :: v_dual_and_b32 v10, v52, v50
	s_mov_b32 s12, exec_lo
	s_delay_alu instid0(VALU_DEP_2) | instskip(NEXT) | instid1(VALU_DEP_2)
	v_and_b32_e32 v18, 0xff, v9
	v_and_b32_e32 v19, 0xff, v10
	v_dual_mov_b32 v9, v22 :: v_dual_mov_b32 v10, v23
	s_delay_alu instid0(VALU_DEP_2)
	v_cmpx_gt_u16_e64 v18, v19
; %bb.34:
	v_mov_b32_e32 v9, v12
	v_dual_mov_b32 v53, 1 :: v_dual_mov_b32 v10, v13
	v_dual_mov_b32 v12, v22 :: v_dual_mov_b32 v13, v23
	v_mov_b32_e32 v38, v50
; %bb.35:
	s_wait_alu 0xfffe
	s_or_b32 exec_lo, exec_lo, s12
	v_and_b32_e32 v18, v37, v52
	v_and_b32_e32 v19, v36, v52
	v_dual_mov_b32 v23, v17 :: v_dual_mov_b32 v22, v16
	s_delay_alu instid0(VALU_DEP_3) | instskip(NEXT) | instid1(VALU_DEP_3)
	v_and_b32_e32 v18, 0xff, v18
	v_and_b32_e32 v19, 0xff, v19
	s_delay_alu instid0(VALU_DEP_1)
	v_cmp_gt_u16_e64 s10, v18, v19
	s_and_saveexec_b32 s12, s10
	s_wait_alu 0xfffe
	s_xor_b32 s10, exec_lo, s12
; %bb.36:
	v_dual_mov_b32 v37, v36 :: v_dual_mov_b32 v36, 1
	v_dual_mov_b32 v22, v26 :: v_dual_mov_b32 v23, v27
	;; [unrolled: 1-line block ×3, first 2 shown]
; %bb.37:
	s_wait_alu 0xfffe
	s_or_b32 exec_lo, exec_lo, s10
	v_dual_mov_b32 v49, v48 :: v_dual_and_b32 v16, v11, v52
	v_and_b32_e32 v17, v48, v52
	s_mov_b32 s12, exec_lo
	s_delay_alu instid0(VALU_DEP_2) | instskip(NEXT) | instid1(VALU_DEP_2)
	v_dual_mov_b32 v25, v21 :: v_dual_and_b32 v16, 0xff, v16
	v_dual_mov_b32 v24, v20 :: v_dual_and_b32 v17, 0xff, v17
	s_delay_alu instid0(VALU_DEP_1)
	v_cmpx_gt_u16_e64 v16, v17
; %bb.38:
	v_dual_mov_b32 v49, 1 :: v_dual_mov_b32 v24, v28
	v_mov_b32_e32 v25, v29
	v_dual_mov_b32 v29, v21 :: v_dual_mov_b32 v28, v20
	v_mov_b32_e32 v11, v48
; %bb.39:
	s_wait_alu 0xfffe
	s_or_b32 exec_lo, exec_lo, s12
	v_and_b32_e32 v16, v53, v52
	v_and_b32_e32 v17, v39, v52
	s_mov_b32 s12, exec_lo
	v_mov_b32_e32 v48, v39
	s_delay_alu instid0(VALU_DEP_3) | instskip(NEXT) | instid1(VALU_DEP_3)
	v_and_b32_e32 v18, 0xff, v16
	v_and_b32_e32 v19, 0xff, v17
	v_dual_mov_b32 v17, v13 :: v_dual_mov_b32 v16, v12
	s_delay_alu instid0(VALU_DEP_2)
	v_cmpx_gt_u16_e64 v18, v19
; %bb.40:
	v_dual_mov_b32 v48, 1 :: v_dual_mov_b32 v17, v15
	v_dual_mov_b32 v16, v14 :: v_dual_mov_b32 v15, v13
	;; [unrolled: 1-line block ×3, first 2 shown]
; %bb.41:
	s_wait_alu 0xfffe
	s_or_b32 exec_lo, exec_lo, s12
	v_dual_mov_b32 v31, v27 :: v_dual_and_b32 v12, v36, v52
	v_dual_mov_b32 v30, v26 :: v_dual_and_b32 v13, v35, v52
	s_mov_b32 s12, exec_lo
	s_delay_alu instid0(VALU_DEP_2) | instskip(NEXT) | instid1(VALU_DEP_2)
	v_and_b32_e32 v12, 0xff, v12
	v_and_b32_e32 v13, 0xff, v13
	s_delay_alu instid0(VALU_DEP_1)
	v_cmpx_gt_u16_e64 v12, v13
; %bb.42:
	v_dual_mov_b32 v36, v35 :: v_dual_mov_b32 v35, 1
	v_dual_mov_b32 v31, v5 :: v_dual_mov_b32 v30, v4
	;; [unrolled: 1-line block ×3, first 2 shown]
; %bb.43:
	s_wait_alu 0xfffe
	s_or_b32 exec_lo, exec_lo, s12
	v_and_b32_e32 v12, v49, v52
	v_dual_mov_b32 v26, v28 :: v_dual_and_b32 v13, v37, v52
	s_mov_b32 s12, exec_lo
	s_delay_alu instid0(VALU_DEP_2) | instskip(NEXT) | instid1(VALU_DEP_2)
	v_dual_mov_b32 v27, v29 :: v_dual_and_b32 v12, 0xff, v12
	v_and_b32_e32 v13, 0xff, v13
	s_delay_alu instid0(VALU_DEP_1)
	v_cmpx_gt_u16_e64 v12, v13
; %bb.44:
	v_mov_b32_e32 v27, v23
	v_dual_mov_b32 v49, v37 :: v_dual_mov_b32 v26, v22
	v_dual_mov_b32 v37, 1 :: v_dual_mov_b32 v22, v28
	v_mov_b32_e32 v23, v29
; %bb.45:
	s_wait_alu 0xfffe
	s_or_b32 exec_lo, exec_lo, s12
	v_dual_mov_b32 v19, v15 :: v_dual_and_b32 v12, v48, v52
	v_dual_mov_b32 v18, v14 :: v_dual_and_b32 v13, v11, v52
	s_mov_b32 s12, exec_lo
	s_delay_alu instid0(VALU_DEP_2) | instskip(NEXT) | instid1(VALU_DEP_2)
	v_dual_mov_b32 v39, v11 :: v_dual_and_b32 v12, 0xff, v12
	v_and_b32_e32 v13, 0xff, v13
	s_delay_alu instid0(VALU_DEP_1)
	v_cmpx_gt_u16_e64 v12, v13
; %bb.46:
	v_dual_mov_b32 v39, 1 :: v_dual_mov_b32 v18, v24
	v_mov_b32_e32 v19, v25
	v_dual_mov_b32 v25, v15 :: v_dual_mov_b32 v48, v11
	v_mov_b32_e32 v24, v14
; %bb.47:
	s_wait_alu 0xfffe
	s_or_b32 exec_lo, exec_lo, s12
	v_dual_mov_b32 v50, v53 :: v_dual_and_b32 v11, v38, v52
	v_and_b32_e32 v12, v53, v52
	s_mov_b32 s12, exec_lo
	s_delay_alu instid0(VALU_DEP_2) | instskip(NEXT) | instid1(VALU_DEP_2)
	v_and_b32_e32 v13, 0xff, v11
	v_and_b32_e32 v14, 0xff, v12
	v_dual_mov_b32 v12, v10 :: v_dual_mov_b32 v11, v9
	s_delay_alu instid0(VALU_DEP_2)
	v_cmpx_gt_u16_e64 v13, v14
; %bb.48:
	v_dual_mov_b32 v50, 1 :: v_dual_mov_b32 v11, v16
	v_dual_mov_b32 v12, v17 :: v_dual_mov_b32 v17, v10
	v_mov_b32_e32 v16, v9
	v_mov_b32_e32 v38, v53
; %bb.49:
	s_wait_alu 0xfffe
	s_or_b32 exec_lo, exec_lo, s12
	v_and_b32_e32 v9, v37, v52
	v_dual_mov_b32 v29, v23 :: v_dual_and_b32 v10, v36, v52
	v_mov_b32_e32 v28, v22
	s_mov_b32 s12, exec_lo
	s_delay_alu instid0(VALU_DEP_3) | instskip(NEXT) | instid1(VALU_DEP_3)
	v_and_b32_e32 v9, 0xff, v9
	v_and_b32_e32 v10, 0xff, v10
	s_delay_alu instid0(VALU_DEP_1)
	v_cmpx_gt_u16_e64 v9, v10
; %bb.50:
	v_dual_mov_b32 v37, v36 :: v_dual_mov_b32 v36, 1
	v_dual_mov_b32 v28, v30 :: v_dual_mov_b32 v29, v31
	;; [unrolled: 1-line block ×3, first 2 shown]
; %bb.51:
	s_wait_alu 0xfffe
	s_or_b32 exec_lo, exec_lo, s12
	v_dual_mov_b32 v20, v24 :: v_dual_and_b32 v9, v39, v52
	v_and_b32_e32 v10, v49, v52
	v_mov_b32_e32 v21, v25
	s_mov_b32 s12, exec_lo
	s_delay_alu instid0(VALU_DEP_3) | instskip(NEXT) | instid1(VALU_DEP_3)
	v_and_b32_e32 v9, 0xff, v9
	v_dual_mov_b32 v13, v49 :: v_dual_and_b32 v10, 0xff, v10
	s_delay_alu instid0(VALU_DEP_1)
	v_cmpx_gt_u16_e64 v9, v10
; %bb.52:
	v_dual_mov_b32 v13, 1 :: v_dual_mov_b32 v20, v26
	v_mov_b32_e32 v21, v27
	v_dual_mov_b32 v27, v25 :: v_dual_mov_b32 v26, v24
	v_mov_b32_e32 v39, v49
; %bb.53:
	s_wait_alu 0xfffe
	s_or_b32 exec_lo, exec_lo, s12
	v_dual_mov_b32 v14, v16 :: v_dual_and_b32 v9, v50, v52
	v_dual_mov_b32 v15, v17 :: v_dual_and_b32 v10, v48, v52
	s_mov_b32 s12, exec_lo
	s_delay_alu instid0(VALU_DEP_2) | instskip(NEXT) | instid1(VALU_DEP_2)
	v_and_b32_e32 v9, 0xff, v9
	v_dual_mov_b32 v49, v48 :: v_dual_and_b32 v10, 0xff, v10
	s_delay_alu instid0(VALU_DEP_1)
	v_cmpx_gt_u16_e64 v9, v10
; %bb.54:
	v_dual_mov_b32 v49, 1 :: v_dual_mov_b32 v14, v18
	v_mov_b32_e32 v15, v19
	v_dual_mov_b32 v19, v17 :: v_dual_mov_b32 v50, v48
	v_mov_b32_e32 v18, v16
; %bb.55:
	s_wait_alu 0xfffe
	s_or_b32 exec_lo, exec_lo, s12
	v_dual_mov_b32 v22, v30 :: v_dual_and_b32 v9, v36, v52
	v_and_b32_e32 v10, v35, v52
	s_mov_b32 s12, exec_lo
	v_mov_b32_e32 v23, v31
	s_delay_alu instid0(VALU_DEP_3) | instskip(NEXT) | instid1(VALU_DEP_3)
	v_and_b32_e32 v9, 0xff, v9
	v_and_b32_e32 v10, 0xff, v10
	s_delay_alu instid0(VALU_DEP_1)
	v_cmpx_gt_u16_e64 v9, v10
; %bb.56:
	v_dual_mov_b32 v36, v35 :: v_dual_mov_b32 v35, 1
	v_dual_mov_b32 v23, v5 :: v_dual_mov_b32 v22, v4
	;; [unrolled: 1-line block ×3, first 2 shown]
; %bb.57:
	s_wait_alu 0xfffe
	s_or_b32 exec_lo, exec_lo, s12
	v_and_b32_e32 v9, v13, v52
	v_dual_mov_b32 v31, v27 :: v_dual_and_b32 v10, v37, v52
	v_mov_b32_e32 v30, v26
	s_mov_b32 s12, exec_lo
	s_delay_alu instid0(VALU_DEP_3) | instskip(NEXT) | instid1(VALU_DEP_3)
	v_and_b32_e32 v9, 0xff, v9
	v_and_b32_e32 v10, 0xff, v10
	s_delay_alu instid0(VALU_DEP_1)
	v_cmpx_gt_u16_e64 v9, v10
; %bb.58:
	v_mov_b32_e32 v31, v29
	v_dual_mov_b32 v13, v37 :: v_dual_mov_b32 v30, v28
	v_mov_b32_e32 v29, v27
	v_dual_mov_b32 v37, 1 :: v_dual_mov_b32 v28, v26
; %bb.59:
	s_wait_alu 0xfffe
	s_or_b32 exec_lo, exec_lo, s12
	v_dual_mov_b32 v16, v18 :: v_dual_and_b32 v9, v49, v52
	v_and_b32_e32 v10, v39, v52
	s_mov_b32 s12, exec_lo
	v_mov_b32_e32 v17, v19
	s_delay_alu instid0(VALU_DEP_3) | instskip(NEXT) | instid1(VALU_DEP_3)
	v_dual_mov_b32 v48, v39 :: v_dual_and_b32 v9, 0xff, v9
	v_and_b32_e32 v10, 0xff, v10
	s_delay_alu instid0(VALU_DEP_1)
	v_cmpx_gt_u16_e64 v9, v10
; %bb.60:
	v_mov_b32_e32 v16, v20
	v_dual_mov_b32 v48, 1 :: v_dual_mov_b32 v17, v21
	v_dual_mov_b32 v21, v19 :: v_dual_mov_b32 v20, v18
	v_mov_b32_e32 v49, v39
; %bb.61:
	s_wait_alu 0xfffe
	s_or_b32 exec_lo, exec_lo, s12
	v_and_b32_e32 v9, v38, v52
	v_and_b32_e32 v10, v50, v52
	v_mov_b32_e32 v53, v50
	s_mov_b32 s12, exec_lo
	s_delay_alu instid0(VALU_DEP_3) | instskip(NEXT) | instid1(VALU_DEP_3)
	v_and_b32_e32 v18, 0xff, v9
	v_and_b32_e32 v19, 0xff, v10
	v_dual_mov_b32 v9, v11 :: v_dual_mov_b32 v10, v12
	s_delay_alu instid0(VALU_DEP_2)
	v_cmpx_gt_u16_e64 v18, v19
; %bb.62:
	v_mov_b32_e32 v9, v14
	v_dual_mov_b32 v53, 1 :: v_dual_mov_b32 v10, v15
	v_dual_mov_b32 v15, v12 :: v_dual_mov_b32 v38, v50
	v_mov_b32_e32 v14, v11
; %bb.63:
	s_wait_alu 0xfffe
	s_or_b32 exec_lo, exec_lo, s12
	v_dual_mov_b32 v26, v28 :: v_dual_and_b32 v11, v37, v52
	v_dual_mov_b32 v27, v29 :: v_dual_and_b32 v12, v36, v52
	s_mov_b32 s12, exec_lo
	s_delay_alu instid0(VALU_DEP_2) | instskip(NEXT) | instid1(VALU_DEP_2)
	v_and_b32_e32 v11, 0xff, v11
	v_and_b32_e32 v12, 0xff, v12
	s_delay_alu instid0(VALU_DEP_1)
	v_cmpx_gt_u16_e64 v11, v12
; %bb.64:
	v_dual_mov_b32 v37, v36 :: v_dual_mov_b32 v36, 1
	v_dual_mov_b32 v27, v23 :: v_dual_mov_b32 v26, v22
	;; [unrolled: 1-line block ×3, first 2 shown]
; %bb.65:
	s_wait_alu 0xfffe
	s_or_b32 exec_lo, exec_lo, s12
	v_and_b32_e32 v12, v13, v52
	v_and_b32_e32 v11, v48, v52
	s_mov_b32 s12, exec_lo
	v_dual_mov_b32 v25, v21 :: v_dual_mov_b32 v24, v20
	s_delay_alu instid0(VALU_DEP_3) | instskip(NEXT) | instid1(VALU_DEP_3)
	v_and_b32_e32 v12, 0xff, v12
	v_dual_mov_b32 v11, v13 :: v_dual_and_b32 v18, 0xff, v11
	s_delay_alu instid0(VALU_DEP_1)
	v_cmpx_gt_u16_e64 v18, v12
; %bb.66:
	v_dual_mov_b32 v11, 1 :: v_dual_mov_b32 v24, v30
	v_mov_b32_e32 v25, v31
	v_dual_mov_b32 v31, v21 :: v_dual_mov_b32 v48, v13
	v_mov_b32_e32 v30, v20
; %bb.67:
	s_wait_alu 0xfffe
	s_or_b32 exec_lo, exec_lo, s12
	v_and_b32_e32 v12, v53, v52
	v_and_b32_e32 v13, v49, v52
	s_mov_b32 s12, exec_lo
	s_delay_alu instid0(VALU_DEP_2) | instskip(NEXT) | instid1(VALU_DEP_2)
	v_dual_mov_b32 v39, v49 :: v_dual_and_b32 v18, 0xff, v12
	v_dual_mov_b32 v12, v14 :: v_dual_and_b32 v19, 0xff, v13
	v_mov_b32_e32 v13, v15
	s_delay_alu instid0(VALU_DEP_2)
	v_cmpx_gt_u16_e64 v18, v19
; %bb.68:
	v_dual_mov_b32 v39, 1 :: v_dual_mov_b32 v12, v16
	v_mov_b32_e32 v13, v17
	v_dual_mov_b32 v17, v15 :: v_dual_mov_b32 v16, v14
	v_mov_b32_e32 v53, v49
; %bb.69:
	s_wait_alu 0xfffe
	s_or_b32 exec_lo, exec_lo, s12
	v_and_b32_e32 v14, v36, v52
	v_and_b32_e32 v15, v35, v52
	s_delay_alu instid0(VALU_DEP_2) | instskip(NEXT) | instid1(VALU_DEP_2)
	v_and_b32_e32 v14, 0xff, v14
	v_and_b32_e32 v15, 0xff, v15
	s_delay_alu instid0(VALU_DEP_1)
	v_cmp_gt_u16_e64 s10, v14, v15
	v_dual_mov_b32 v14, v22 :: v_dual_mov_b32 v15, v23
	s_and_saveexec_b32 s12, s10
; %bb.70:
	v_dual_mov_b32 v36, v35 :: v_dual_mov_b32 v35, 1
	v_dual_mov_b32 v15, v5 :: v_dual_mov_b32 v14, v4
	;; [unrolled: 1-line block ×3, first 2 shown]
; %bb.71:
	s_wait_alu 0xfffe
	s_or_b32 exec_lo, exec_lo, s12
	v_and_b32_e32 v18, v11, v52
	v_and_b32_e32 v19, v37, v52
	s_delay_alu instid0(VALU_DEP_2) | instskip(NEXT) | instid1(VALU_DEP_2)
	v_and_b32_e32 v18, 0xff, v18
	v_and_b32_e32 v19, 0xff, v19
	s_delay_alu instid0(VALU_DEP_1)
	v_cmp_gt_u16_e64 s10, v18, v19
	v_dual_mov_b32 v18, v30 :: v_dual_mov_b32 v19, v31
	s_and_saveexec_b32 s12, s10
; %bb.72:
	v_dual_mov_b32 v11, v37 :: v_dual_mov_b32 v18, v26
	v_mov_b32_e32 v37, 1
	v_dual_mov_b32 v19, v27 :: v_dual_mov_b32 v26, v30
	v_mov_b32_e32 v27, v31
; %bb.73:
	s_wait_alu 0xfffe
	s_or_b32 exec_lo, exec_lo, s12
	v_dual_mov_b32 v29, v17 :: v_dual_and_b32 v20, v39, v52
	v_and_b32_e32 v21, v48, v52
	s_mov_b32 s12, exec_lo
	v_mov_b32_e32 v28, v16
	s_delay_alu instid0(VALU_DEP_3) | instskip(NEXT) | instid1(VALU_DEP_3)
	v_dual_mov_b32 v49, v48 :: v_dual_and_b32 v20, 0xff, v20
	v_and_b32_e32 v21, 0xff, v21
	s_delay_alu instid0(VALU_DEP_1)
	v_cmpx_gt_u16_e64 v20, v21
; %bb.74:
	v_mov_b32_e32 v29, v25
	v_dual_mov_b32 v49, 1 :: v_dual_mov_b32 v28, v24
	v_dual_mov_b32 v25, v17 :: v_dual_mov_b32 v24, v16
	v_mov_b32_e32 v39, v48
; %bb.75:
	s_wait_alu 0xfffe
	s_or_b32 exec_lo, exec_lo, s12
	v_and_b32_e32 v16, v38, v52
	v_and_b32_e32 v17, v53, v52
	v_mov_b32_e32 v50, v53
	s_mov_b32 s12, exec_lo
	s_delay_alu instid0(VALU_DEP_3) | instskip(NEXT) | instid1(VALU_DEP_3)
	v_dual_mov_b32 v23, v10 :: v_dual_and_b32 v16, 0xff, v16
	v_dual_mov_b32 v22, v9 :: v_dual_and_b32 v17, 0xff, v17
	s_delay_alu instid0(VALU_DEP_1)
	v_cmpx_gt_u16_e64 v16, v17
; %bb.76:
	v_dual_mov_b32 v50, 1 :: v_dual_mov_b32 v23, v13
	v_dual_mov_b32 v22, v12 :: v_dual_mov_b32 v13, v10
	v_mov_b32_e32 v12, v9
	v_mov_b32_e32 v38, v53
; %bb.77:
	s_wait_alu 0xfffe
	s_or_b32 exec_lo, exec_lo, s12
	v_dual_mov_b32 v16, v26 :: v_dual_and_b32 v9, v37, v52
	v_dual_mov_b32 v17, v27 :: v_dual_and_b32 v10, v36, v52
	s_mov_b32 s12, exec_lo
	s_delay_alu instid0(VALU_DEP_2) | instskip(NEXT) | instid1(VALU_DEP_2)
	v_and_b32_e32 v9, 0xff, v9
	v_and_b32_e32 v10, 0xff, v10
	s_delay_alu instid0(VALU_DEP_1)
	v_cmpx_gt_u16_e64 v9, v10
; %bb.78:
	v_dual_mov_b32 v37, v36 :: v_dual_mov_b32 v36, 1
	v_dual_mov_b32 v17, v15 :: v_dual_mov_b32 v16, v14
	;; [unrolled: 1-line block ×3, first 2 shown]
; %bb.79:
	s_wait_alu 0xfffe
	s_or_b32 exec_lo, exec_lo, s12
	v_dual_mov_b32 v48, v11 :: v_dual_and_b32 v9, v49, v52
	v_and_b32_e32 v10, v11, v52
	s_mov_b32 s12, exec_lo
	s_delay_alu instid0(VALU_DEP_2) | instskip(NEXT) | instid1(VALU_DEP_2)
	v_dual_mov_b32 v20, v24 :: v_dual_and_b32 v9, 0xff, v9
	v_dual_mov_b32 v21, v25 :: v_dual_and_b32 v10, 0xff, v10
	s_delay_alu instid0(VALU_DEP_1)
	v_cmpx_gt_u16_e64 v9, v10
; %bb.80:
	v_dual_mov_b32 v48, 1 :: v_dual_mov_b32 v21, v19
	v_mov_b32_e32 v20, v18
	v_dual_mov_b32 v18, v24 :: v_dual_mov_b32 v49, v11
	v_mov_b32_e32 v19, v25
; %bb.81:
	s_wait_alu 0xfffe
	s_or_b32 exec_lo, exec_lo, s12
	v_dual_mov_b32 v24, v28 :: v_dual_and_b32 v9, v50, v52
	v_dual_mov_b32 v25, v29 :: v_dual_and_b32 v10, v39, v52
	s_mov_b32 s12, exec_lo
	s_delay_alu instid0(VALU_DEP_2) | instskip(NEXT) | instid1(VALU_DEP_2)
	v_and_b32_e32 v9, 0xff, v9
	v_and_b32_e32 v10, 0xff, v10
	s_delay_alu instid0(VALU_DEP_1)
	v_cmpx_gt_u16_e64 v9, v10
; %bb.82:
	v_dual_mov_b32 v50, v39 :: v_dual_mov_b32 v39, 1
	v_dual_mov_b32 v25, v13 :: v_dual_mov_b32 v24, v12
	;; [unrolled: 1-line block ×3, first 2 shown]
; %bb.83:
	s_wait_alu 0xfffe
	s_or_b32 exec_lo, exec_lo, s12
.LBB1547_84:
	s_wait_alu 0xfffe
	s_or_b32 exec_lo, exec_lo, s11
	v_and_b32_e32 v10, 0xffffff00, v51
	s_wait_dscnt 0x0
	v_perm_b32 v26, v49, v39, 0xc0c0004
	v_perm_b32 v27, v50, v38, 0xc0c0004
	;; [unrolled: 1-line block ×4, first 2 shown]
	v_lshlrev_b32_e32 v9, 3, v10
	v_cndmask_b32_e64 v11, 0, 1, s7
	v_lshl_or_b32 v31, v27, 16, v26
	v_or_b32_e32 v52, v10, v34
	v_lshl_or_b32 v30, v30, 16, v28
	v_lshl_or_b32 v51, v34, 3, v9
	scratch_store_b8 off, v11, s32 offset:3
	v_sub_nc_u32_e64 v28, 0x800, v10 clamp
	s_mov_b32 s11, exec_lo
	v_add_nc_u32_e32 v27, 0x810, v51
	v_add_nc_u32_e32 v26, 0x820, v51
	v_add_nc_u32_e32 v29, 0x800, v51
	v_add_nc_u32_e32 v11, 0x830, v51
	v_and_b32_e32 v51, 0xf0, v34
	ds_store_2addr_b64 v27, v[16:17], v[18:19] offset1:1
	ds_store_2addr_b64 v26, v[20:21], v[24:25] offset1:1
	;; [unrolled: 1-line block ×3, first 2 shown]
	ds_store_b64 v52, v[30:31]
	ds_store_2addr_b64 v11, v[12:13], v[22:23] offset1:1
	; wave barrier
	scratch_load_u8 v53, off, s32 offset:3
	v_or_b32_e32 v30, 8, v34
	v_and_b32_e32 v52, 8, v34
	s_delay_alu instid0(VALU_DEP_2) | instskip(NEXT) | instid1(VALU_DEP_2)
	v_min_u32_e32 v30, v28, v30
	v_min_u32_e32 v52, v28, v52
	s_delay_alu instid0(VALU_DEP_2) | instskip(SKIP_1) | instid1(VALU_DEP_2)
	v_add_nc_u32_e32 v31, 8, v30
	v_sub_nc_u32_e32 v54, v30, v51
	v_min_u32_e32 v31, v28, v31
	s_delay_alu instid0(VALU_DEP_2) | instskip(NEXT) | instid1(VALU_DEP_2)
	v_min_u32_e32 v54, v52, v54
	v_sub_nc_u32_e32 v55, v31, v30
	s_wait_loadcnt 0x0
	v_and_b32_e32 v64, 1, v53
	s_delay_alu instid0(VALU_DEP_2) | instskip(NEXT) | instid1(VALU_DEP_2)
	v_sub_nc_u32_e64 v53, v52, v55 clamp
	v_cmp_eq_u32_e64 s7, 1, v64
	scratch_store_b8 off, v64, s32 offset:2
	v_cmpx_lt_u32_e64 v53, v54
	s_cbranch_execz .LBB1547_88
; %bb.85:
	scratch_load_u8 v55, off, s32 offset:2
	v_add_nc_u32_e32 v64, v10, v51
	v_add3_u32 v65, v10, v30, v52
	s_mov_b32 s12, 0
.LBB1547_86:                            ; =>This Inner Loop Header: Depth=1
	v_add_nc_u32_e32 v66, v54, v53
	s_delay_alu instid0(VALU_DEP_1) | instskip(NEXT) | instid1(VALU_DEP_1)
	v_lshrrev_b32_e32 v66, 1, v66
	v_xad_u32 v67, v66, -1, v65
	v_add_nc_u32_e32 v68, v64, v66
	v_add_nc_u32_e32 v69, 1, v66
	ds_load_u8 v67, v67
	ds_load_u8 v68, v68
	s_wait_loadcnt_dscnt 0x1
	v_and_b32_e32 v67, v67, v55
	s_wait_dscnt 0x0
	v_and_b32_e32 v68, v68, v55
	s_delay_alu instid0(VALU_DEP_2) | instskip(NEXT) | instid1(VALU_DEP_2)
	v_and_b32_e32 v67, 1, v67
	v_and_b32_e32 v68, 1, v68
	s_delay_alu instid0(VALU_DEP_1) | instskip(SKIP_1) | instid1(VALU_DEP_1)
	v_cmp_gt_u16_e64 s10, v67, v68
	s_wait_alu 0xf1ff
	v_cndmask_b32_e64 v54, v54, v66, s10
	v_cndmask_b32_e64 v53, v69, v53, s10
	s_delay_alu instid0(VALU_DEP_1)
	v_cmp_ge_u32_e64 s10, v53, v54
	s_wait_alu 0xfffe
	s_or_b32 s12, s10, s12
	s_wait_alu 0xfffe
	s_and_not1_b32 exec_lo, exec_lo, s12
	s_cbranch_execnz .LBB1547_86
; %bb.87:
	s_or_b32 exec_lo, exec_lo, s12
.LBB1547_88:
	s_wait_alu 0xfffe
	s_or_b32 exec_lo, exec_lo, s11
	v_cndmask_b32_e64 v54, 0, 1, s7
	v_add_nc_u32_e32 v55, v30, v52
	v_add_nc_u32_e32 v52, v53, v51
	scratch_store_b8 off, v54, s32 offset:1
	scratch_load_u8 v54, off, s32 offset:1
	v_sub_nc_u32_e32 v51, v55, v53
	v_cmp_le_u32_e64 s7, v52, v30
	s_delay_alu instid0(VALU_DEP_2)
	v_cmp_le_u32_e64 s10, v51, v31
	s_or_b32 s7, s7, s10
	s_wait_loadcnt 0x0
	v_and_b32_e32 v53, 1, v54
	scratch_store_b8 off, v53, s32
	s_wait_alu 0xfffe
	s_and_saveexec_b32 s20, s7
	s_cbranch_execz .LBB1547_94
; %bb.89:
	v_cmp_ge_u32_e64 s7, v52, v30
	s_mov_b32 s11, exec_lo
                                        ; implicit-def: $vgpr35
	v_cmpx_lt_u32_e64 v52, v30
; %bb.90:
	v_add_nc_u32_e32 v4, v10, v52
	ds_load_u8 v35, v4
; %bb.91:
	s_wait_alu 0xfffe
	s_or_b32 exec_lo, exec_lo, s11
	v_cmp_ge_u32_e64 s10, v51, v31
	s_mov_b32 s12, exec_lo
                                        ; implicit-def: $vgpr36
	v_cmpx_lt_u32_e64 v51, v31
; %bb.92:
	v_add_nc_u32_e32 v4, v10, v51
	ds_load_u8 v36, v4
; %bb.93:
	s_wait_alu 0xfffe
	s_or_b32 exec_lo, exec_lo, s12
	scratch_load_u8 v4, off, s32
	v_cndmask_b32_e64 v13, 0, 1, s10
	s_or_b32 s7, s7, s10
	s_wait_loadcnt_dscnt 0x0
	v_and_b32_e32 v5, v4, v36
	v_and_b32_e32 v12, v4, v35
	s_delay_alu instid0(VALU_DEP_2) | instskip(NEXT) | instid1(VALU_DEP_2)
	v_and_b32_e32 v5, 1, v5
	v_and_b32_e32 v12, 1, v12
	s_delay_alu instid0(VALU_DEP_1) | instskip(SKIP_1) | instid1(VALU_DEP_1)
	v_cmp_le_u16_e64 s11, v5, v12
	s_wait_alu 0xf1ff
	v_cndmask_b32_e64 v5, 0, 1, s11
	s_wait_alu 0xfffe
	s_delay_alu instid0(VALU_DEP_1) | instskip(NEXT) | instid1(VALU_DEP_1)
	v_cndmask_b32_e64 v5, v5, v13, s7
	v_and_b32_e32 v5, 1, v5
	s_delay_alu instid0(VALU_DEP_1) | instskip(SKIP_1) | instid1(VALU_DEP_1)
	v_cmp_eq_u32_e64 s7, 1, v5
	s_wait_alu 0xf1ff
	v_cndmask_b32_e64 v5, v51, v52, s7
	v_cndmask_b32_e64 v12, v31, v30, s7
	s_delay_alu instid0(VALU_DEP_2) | instskip(NEXT) | instid1(VALU_DEP_2)
	v_add_nc_u32_e32 v13, 1, v5
	v_add_nc_u32_e32 v12, -1, v12
	v_lshl_add_u32 v5, v5, 3, v9
	s_delay_alu instid0(VALU_DEP_3) | instskip(NEXT) | instid1(VALU_DEP_3)
	v_cndmask_b32_e64 v15, v52, v13, s7
	v_min_u32_e32 v12, v13, v12
	v_cndmask_b32_e64 v13, v13, v51, s7
	s_delay_alu instid0(VALU_DEP_3) | instskip(NEXT) | instid1(VALU_DEP_3)
	v_cmp_lt_u32_e64 s10, v15, v30
	v_add_nc_u32_e32 v12, v10, v12
	s_delay_alu instid0(VALU_DEP_3)
	v_cmp_ge_u32_e64 s12, v13, v31
	ds_load_u8 v12, v12
	s_wait_dscnt 0x0
	v_cndmask_b32_e64 v37, v12, v36, s7
	v_cndmask_b32_e64 v38, v35, v12, s7
	;; [unrolled: 1-line block ×3, first 2 shown]
	s_delay_alu instid0(VALU_DEP_3) | instskip(NEXT) | instid1(VALU_DEP_3)
	v_and_b32_e32 v12, v37, v4
	v_and_b32_e32 v14, v38, v4
	s_delay_alu instid0(VALU_DEP_2) | instskip(NEXT) | instid1(VALU_DEP_2)
	v_and_b32_e32 v12, 0xff, v12
	v_and_b32_e32 v14, 0xff, v14
	s_delay_alu instid0(VALU_DEP_1)
	v_cmp_le_u16_e64 s11, v12, v14
	s_and_b32 s10, s10, s11
	s_wait_alu 0xfffe
	s_or_b32 s10, s12, s10
	s_wait_alu 0xfffe
	v_cndmask_b32_e64 v12, v13, v15, s10
	v_cndmask_b32_e64 v14, v31, v30, s10
	;; [unrolled: 1-line block ×3, first 2 shown]
	s_delay_alu instid0(VALU_DEP_3) | instskip(NEXT) | instid1(VALU_DEP_3)
	v_add_nc_u32_e32 v16, 1, v12
	v_add_nc_u32_e32 v14, -1, v14
	v_lshl_add_u32 v12, v12, 3, v9
	s_delay_alu instid0(VALU_DEP_3) | instskip(NEXT) | instid1(VALU_DEP_3)
	v_cndmask_b32_e64 v15, v15, v16, s10
	v_min_u32_e32 v14, v16, v14
	v_cndmask_b32_e64 v13, v16, v13, s10
	s_delay_alu instid0(VALU_DEP_3) | instskip(NEXT) | instid1(VALU_DEP_3)
	v_cmp_lt_u32_e64 s11, v15, v30
	v_add_nc_u32_e32 v14, v10, v14
	s_delay_alu instid0(VALU_DEP_3) | instskip(SKIP_4) | instid1(VALU_DEP_2)
	v_cmp_ge_u32_e64 s13, v13, v31
	ds_load_u8 v14, v14
	s_wait_dscnt 0x0
	v_cndmask_b32_e64 v39, v14, v37, s10
	v_cndmask_b32_e64 v48, v38, v14, s10
	v_and_b32_e32 v14, v39, v4
	s_delay_alu instid0(VALU_DEP_2) | instskip(NEXT) | instid1(VALU_DEP_2)
	v_and_b32_e32 v17, v48, v4
	v_and_b32_e32 v14, 0xff, v14
	s_delay_alu instid0(VALU_DEP_2) | instskip(NEXT) | instid1(VALU_DEP_1)
	v_and_b32_e32 v17, 0xff, v17
	v_cmp_le_u16_e64 s12, v14, v17
	s_and_b32 s11, s11, s12
	s_wait_alu 0xfffe
	s_or_b32 s11, s13, s11
	s_wait_alu 0xfffe
	v_cndmask_b32_e64 v14, v13, v15, s11
	v_cndmask_b32_e64 v16, v31, v30, s11
	v_cndmask_b32_e64 v37, v39, v48, s11
	s_delay_alu instid0(VALU_DEP_3) | instskip(NEXT) | instid1(VALU_DEP_3)
	v_add_nc_u32_e32 v17, 1, v14
	v_add_nc_u32_e32 v16, -1, v16
	s_delay_alu instid0(VALU_DEP_2) | instskip(NEXT) | instid1(VALU_DEP_2)
	v_cndmask_b32_e64 v15, v15, v17, s11
	v_min_u32_e32 v16, v17, v16
	v_cndmask_b32_e64 v13, v17, v13, s11
	s_delay_alu instid0(VALU_DEP_3) | instskip(NEXT) | instid1(VALU_DEP_3)
	v_cmp_lt_u32_e64 s12, v15, v30
	v_add_nc_u32_e32 v16, v10, v16
	s_delay_alu instid0(VALU_DEP_3) | instskip(SKIP_4) | instid1(VALU_DEP_2)
	v_cmp_ge_u32_e64 s14, v13, v31
	ds_load_u8 v16, v16
	s_wait_dscnt 0x0
	v_cndmask_b32_e64 v49, v16, v39, s11
	v_cndmask_b32_e64 v50, v48, v16, s11
	v_and_b32_e32 v16, v49, v4
	s_delay_alu instid0(VALU_DEP_2) | instskip(NEXT) | instid1(VALU_DEP_2)
	v_and_b32_e32 v18, v50, v4
	v_and_b32_e32 v16, 0xff, v16
	s_delay_alu instid0(VALU_DEP_2) | instskip(NEXT) | instid1(VALU_DEP_1)
	v_and_b32_e32 v18, 0xff, v18
	v_cmp_le_u16_e64 s13, v16, v18
	s_and_b32 s12, s12, s13
	s_wait_alu 0xfffe
	s_or_b32 s12, s14, s12
	s_wait_alu 0xfffe
	v_cndmask_b32_e64 v18, v13, v15, s12
	v_cndmask_b32_e64 v16, v31, v30, s12
	v_cndmask_b32_e64 v48, v49, v50, s12
	s_delay_alu instid0(VALU_DEP_3) | instskip(NEXT) | instid1(VALU_DEP_3)
	v_add_nc_u32_e32 v17, 1, v18
	v_add_nc_u32_e32 v16, -1, v16
	s_delay_alu instid0(VALU_DEP_2) | instskip(NEXT) | instid1(VALU_DEP_2)
	;; [unrolled: 30-line block ×3, first 2 shown]
	v_cndmask_b32_e64 v15, v15, v17, s13
	v_min_u32_e32 v16, v17, v16
	v_cndmask_b32_e64 v13, v17, v13, s13
	s_delay_alu instid0(VALU_DEP_3) | instskip(NEXT) | instid1(VALU_DEP_3)
	v_cmp_lt_u32_e64 s14, v15, v30
	v_add_nc_u32_e32 v16, v10, v16
	s_delay_alu instid0(VALU_DEP_3) | instskip(SKIP_4) | instid1(VALU_DEP_2)
	v_cmp_ge_u32_e64 s16, v13, v31
	ds_load_u8 v16, v16
	s_wait_dscnt 0x0
	v_cndmask_b32_e64 v53, v16, v51, s13
	v_cndmask_b32_e64 v54, v52, v16, s13
	v_and_b32_e32 v16, v53, v4
	s_delay_alu instid0(VALU_DEP_2) | instskip(NEXT) | instid1(VALU_DEP_2)
	v_and_b32_e32 v20, v54, v4
	v_and_b32_e32 v16, 0xff, v16
	s_delay_alu instid0(VALU_DEP_2) | instskip(NEXT) | instid1(VALU_DEP_1)
	v_and_b32_e32 v20, 0xff, v20
	v_cmp_le_u16_e64 s15, v16, v20
	s_and_b32 s14, s14, s15
	s_wait_alu 0xfffe
	s_or_b32 s14, s16, s14
	s_wait_alu 0xfffe
	v_cndmask_b32_e64 v20, v13, v15, s14
	v_cndmask_b32_e64 v16, v31, v30, s14
	;; [unrolled: 1-line block ×3, first 2 shown]
	s_delay_alu instid0(VALU_DEP_3) | instskip(NEXT) | instid1(VALU_DEP_3)
	v_add_nc_u32_e32 v17, 1, v20
	v_add_nc_u32_e32 v16, -1, v16
	v_lshl_add_u32 v23, v20, 3, v9
	s_delay_alu instid0(VALU_DEP_3) | instskip(NEXT) | instid1(VALU_DEP_3)
	v_cndmask_b32_e64 v15, v15, v17, s14
	v_min_u32_e32 v16, v17, v16
	v_cndmask_b32_e64 v13, v17, v13, s14
	s_delay_alu instid0(VALU_DEP_3) | instskip(NEXT) | instid1(VALU_DEP_3)
	v_cmp_lt_u32_e64 s15, v15, v30
	v_add_nc_u32_e32 v16, v10, v16
	s_delay_alu instid0(VALU_DEP_3) | instskip(SKIP_4) | instid1(VALU_DEP_2)
	v_cmp_ge_u32_e64 s17, v13, v31
	ds_load_u8 v16, v16
	s_wait_dscnt 0x0
	v_cndmask_b32_e64 v55, v16, v53, s14
	v_cndmask_b32_e64 v64, v54, v16, s14
	v_and_b32_e32 v16, v55, v4
	s_delay_alu instid0(VALU_DEP_2) | instskip(NEXT) | instid1(VALU_DEP_2)
	v_and_b32_e32 v21, v64, v4
	v_and_b32_e32 v16, 0xff, v16
	s_delay_alu instid0(VALU_DEP_2) | instskip(NEXT) | instid1(VALU_DEP_1)
	v_and_b32_e32 v21, 0xff, v21
	v_cmp_le_u16_e64 s16, v16, v21
	s_and_b32 s15, s15, s16
	s_wait_alu 0xfffe
	s_or_b32 s15, s17, s15
	s_wait_alu 0xfffe
	v_cndmask_b32_e64 v21, v13, v15, s15
	v_cndmask_b32_e64 v16, v31, v30, s15
	;; [unrolled: 1-line block ×3, first 2 shown]
	s_delay_alu instid0(VALU_DEP_3) | instskip(NEXT) | instid1(VALU_DEP_3)
	v_add_nc_u32_e32 v17, 1, v21
	v_add_nc_u32_e32 v16, -1, v16
	s_delay_alu instid0(VALU_DEP_2) | instskip(NEXT) | instid1(VALU_DEP_2)
	v_cndmask_b32_e64 v22, v15, v17, s15
	v_min_u32_e32 v16, v17, v16
	v_cndmask_b32_e64 v13, v17, v13, s15
	s_delay_alu instid0(VALU_DEP_3) | instskip(NEXT) | instid1(VALU_DEP_3)
	v_cmp_lt_u32_e64 s16, v22, v30
	v_add_nc_u32_e32 v16, v10, v16
	s_delay_alu instid0(VALU_DEP_3)
	v_cmp_ge_u32_e64 s18, v13, v31
	v_lshl_add_u32 v30, v21, 3, v9
	ds_load_u8 v16, v16
	s_wait_dscnt 0x0
	v_cndmask_b32_e64 v65, v16, v55, s15
	v_cndmask_b32_e64 v66, v64, v16, s15
	s_delay_alu instid0(VALU_DEP_2) | instskip(NEXT) | instid1(VALU_DEP_2)
	v_and_b32_e32 v16, v65, v4
	v_and_b32_e32 v4, v66, v4
	s_delay_alu instid0(VALU_DEP_2) | instskip(NEXT) | instid1(VALU_DEP_2)
	v_and_b32_e32 v15, 0xff, v16
	v_and_b32_e32 v4, 0xff, v4
	v_lshl_add_u32 v16, v14, 3, v9
	s_delay_alu instid0(VALU_DEP_2)
	v_cmp_le_u16_e64 s17, v15, v4
	ds_load_b64 v[4:5], v5 offset:2048
	ds_load_b64 v[14:15], v12 offset:2048
	;; [unrolled: 1-line block ×3, first 2 shown]
	s_and_b32 s16, s16, s17
	s_wait_alu 0xfffe
	s_or_b32 s16, s18, s16
	s_wait_alu 0xfffe
	v_cndmask_b32_e64 v12, v13, v22, s16
	v_lshl_add_u32 v13, v18, 3, v9
	v_lshl_add_u32 v22, v19, 3, v9
	v_cndmask_b32_e64 v38, v65, v66, s16
	s_delay_alu instid0(VALU_DEP_4)
	v_lshl_add_u32 v31, v12, 3, v9
	ds_load_b64 v[18:19], v13 offset:2048
	ds_load_b64 v[20:21], v22 offset:2048
	;; [unrolled: 1-line block ×5, first 2 shown]
.LBB1547_94:
	s_wait_alu 0xfffe
	s_or_b32 exec_lo, exec_lo, s20
	v_perm_b32 v31, v49, v39, 0xc0c0004
	v_perm_b32 v51, v50, v38, 0xc0c0004
	;; [unrolled: 1-line block ×4, first 2 shown]
	v_add_nc_u32_e32 v30, v10, v34
	s_delay_alu instid0(VALU_DEP_4) | instskip(NEXT) | instid1(VALU_DEP_3)
	v_lshl_or_b32 v52, v51, 16, v31
	; wave barrier
	v_lshl_or_b32 v51, v54, 16, v53
	s_wait_dscnt 0x6
	ds_store_2addr_b64 v29, v[4:5], v[14:15] offset1:1
	s_wait_dscnt 0x5
	ds_store_2addr_b64 v27, v[16:17], v[18:19] offset1:1
	ds_store_b64 v30, v[51:52]
	s_wait_dscnt 0x5
	ds_store_2addr_b64 v26, v[20:21], v[24:25] offset1:1
	s_wait_dscnt 0x4
	ds_store_2addr_b64 v11, v[12:13], v[22:23] offset1:1
	; wave barrier
	scratch_load_u8 v54, off, s32 offset:3
	v_and_b32_e32 v52, 0xe0, v34
	v_and_b32_e32 v53, 24, v34
	s_mov_b32 s11, exec_lo
	s_delay_alu instid0(VALU_DEP_2) | instskip(NEXT) | instid1(VALU_DEP_2)
	v_or_b32_e32 v31, 16, v52
	v_min_u32_e32 v53, v28, v53
	s_delay_alu instid0(VALU_DEP_2) | instskip(NEXT) | instid1(VALU_DEP_1)
	v_min_u32_e32 v31, v28, v31
	v_add_nc_u32_e32 v51, 16, v31
	v_sub_nc_u32_e32 v55, v31, v52
	s_delay_alu instid0(VALU_DEP_2) | instskip(NEXT) | instid1(VALU_DEP_2)
	v_min_u32_e32 v51, v28, v51
	v_min_u32_e32 v55, v53, v55
	s_delay_alu instid0(VALU_DEP_2) | instskip(SKIP_2) | instid1(VALU_DEP_2)
	v_sub_nc_u32_e32 v64, v51, v31
	s_wait_loadcnt 0x0
	v_and_b32_e32 v65, 1, v54
	v_sub_nc_u32_e64 v54, v53, v64 clamp
	s_delay_alu instid0(VALU_DEP_2)
	v_cmp_eq_u32_e64 s7, 1, v65
	scratch_store_b8 off, v65, s32 offset:2
	v_cmpx_lt_u32_e64 v54, v55
	s_cbranch_execz .LBB1547_98
; %bb.95:
	scratch_load_u8 v64, off, s32 offset:2
	v_add_nc_u32_e32 v65, v10, v52
	v_add3_u32 v66, v10, v31, v53
	s_mov_b32 s12, 0
.LBB1547_96:                            ; =>This Inner Loop Header: Depth=1
	v_add_nc_u32_e32 v67, v55, v54
	s_delay_alu instid0(VALU_DEP_1) | instskip(NEXT) | instid1(VALU_DEP_1)
	v_lshrrev_b32_e32 v67, 1, v67
	v_xad_u32 v68, v67, -1, v66
	v_add_nc_u32_e32 v69, v65, v67
	v_add_nc_u32_e32 v70, 1, v67
	ds_load_u8 v68, v68
	ds_load_u8 v69, v69
	s_wait_loadcnt_dscnt 0x1
	v_and_b32_e32 v68, v68, v64
	s_wait_dscnt 0x0
	v_and_b32_e32 v69, v69, v64
	s_delay_alu instid0(VALU_DEP_2) | instskip(NEXT) | instid1(VALU_DEP_2)
	v_and_b32_e32 v68, 1, v68
	v_and_b32_e32 v69, 1, v69
	s_delay_alu instid0(VALU_DEP_1) | instskip(SKIP_1) | instid1(VALU_DEP_1)
	v_cmp_gt_u16_e64 s10, v68, v69
	s_wait_alu 0xf1ff
	v_cndmask_b32_e64 v55, v55, v67, s10
	v_cndmask_b32_e64 v54, v70, v54, s10
	s_delay_alu instid0(VALU_DEP_1)
	v_cmp_ge_u32_e64 s10, v54, v55
	s_wait_alu 0xfffe
	s_or_b32 s12, s10, s12
	s_wait_alu 0xfffe
	s_and_not1_b32 exec_lo, exec_lo, s12
	s_cbranch_execnz .LBB1547_96
; %bb.97:
	s_or_b32 exec_lo, exec_lo, s12
.LBB1547_98:
	s_wait_alu 0xfffe
	s_or_b32 exec_lo, exec_lo, s11
	v_cndmask_b32_e64 v55, 0, 1, s7
	v_add_nc_u32_e32 v64, v31, v53
	v_add_nc_u32_e32 v53, v54, v52
	scratch_store_b8 off, v55, s32 offset:1
	scratch_load_u8 v55, off, s32 offset:1
	v_sub_nc_u32_e32 v52, v64, v54
	v_cmp_le_u32_e64 s7, v53, v31
	s_delay_alu instid0(VALU_DEP_2)
	v_cmp_le_u32_e64 s10, v52, v51
	s_or_b32 s7, s7, s10
	s_wait_loadcnt 0x0
	v_and_b32_e32 v54, 1, v55
	scratch_store_b8 off, v54, s32
	s_wait_alu 0xfffe
	s_and_saveexec_b32 s20, s7
	s_cbranch_execz .LBB1547_104
; %bb.99:
	v_cmp_ge_u32_e64 s7, v53, v31
	s_mov_b32 s11, exec_lo
                                        ; implicit-def: $vgpr35
	v_cmpx_lt_u32_e64 v53, v31
; %bb.100:
	v_add_nc_u32_e32 v4, v10, v53
	ds_load_u8 v35, v4
; %bb.101:
	s_wait_alu 0xfffe
	s_or_b32 exec_lo, exec_lo, s11
	v_cmp_ge_u32_e64 s10, v52, v51
	s_mov_b32 s12, exec_lo
                                        ; implicit-def: $vgpr36
	v_cmpx_lt_u32_e64 v52, v51
; %bb.102:
	v_add_nc_u32_e32 v4, v10, v52
	ds_load_u8 v36, v4
; %bb.103:
	s_wait_alu 0xfffe
	s_or_b32 exec_lo, exec_lo, s12
	scratch_load_u8 v4, off, s32
	v_cndmask_b32_e64 v13, 0, 1, s10
	s_or_b32 s7, s7, s10
	s_wait_loadcnt_dscnt 0x0
	v_and_b32_e32 v5, v4, v36
	v_and_b32_e32 v12, v4, v35
	s_delay_alu instid0(VALU_DEP_2) | instskip(NEXT) | instid1(VALU_DEP_2)
	v_and_b32_e32 v5, 1, v5
	v_and_b32_e32 v12, 1, v12
	s_delay_alu instid0(VALU_DEP_1) | instskip(SKIP_1) | instid1(VALU_DEP_1)
	v_cmp_le_u16_e64 s11, v5, v12
	s_wait_alu 0xf1ff
	v_cndmask_b32_e64 v5, 0, 1, s11
	s_wait_alu 0xfffe
	s_delay_alu instid0(VALU_DEP_1) | instskip(NEXT) | instid1(VALU_DEP_1)
	v_cndmask_b32_e64 v5, v5, v13, s7
	v_and_b32_e32 v5, 1, v5
	s_delay_alu instid0(VALU_DEP_1) | instskip(SKIP_1) | instid1(VALU_DEP_1)
	v_cmp_eq_u32_e64 s7, 1, v5
	s_wait_alu 0xf1ff
	v_cndmask_b32_e64 v5, v52, v53, s7
	v_cndmask_b32_e64 v12, v51, v31, s7
	s_delay_alu instid0(VALU_DEP_2) | instskip(NEXT) | instid1(VALU_DEP_2)
	v_add_nc_u32_e32 v13, 1, v5
	v_add_nc_u32_e32 v12, -1, v12
	v_lshl_add_u32 v5, v5, 3, v9
	s_delay_alu instid0(VALU_DEP_3) | instskip(NEXT) | instid1(VALU_DEP_3)
	v_cndmask_b32_e64 v15, v53, v13, s7
	v_min_u32_e32 v12, v13, v12
	v_cndmask_b32_e64 v13, v13, v52, s7
	s_delay_alu instid0(VALU_DEP_3) | instskip(NEXT) | instid1(VALU_DEP_3)
	v_cmp_lt_u32_e64 s10, v15, v31
	v_add_nc_u32_e32 v12, v10, v12
	s_delay_alu instid0(VALU_DEP_3)
	v_cmp_ge_u32_e64 s12, v13, v51
	ds_load_u8 v12, v12
	s_wait_dscnt 0x0
	v_cndmask_b32_e64 v37, v12, v36, s7
	v_cndmask_b32_e64 v38, v35, v12, s7
	v_cndmask_b32_e64 v35, v36, v35, s7
	s_delay_alu instid0(VALU_DEP_3) | instskip(NEXT) | instid1(VALU_DEP_3)
	v_and_b32_e32 v12, v37, v4
	v_and_b32_e32 v14, v38, v4
	s_delay_alu instid0(VALU_DEP_2) | instskip(NEXT) | instid1(VALU_DEP_2)
	v_and_b32_e32 v12, 0xff, v12
	v_and_b32_e32 v14, 0xff, v14
	s_delay_alu instid0(VALU_DEP_1)
	v_cmp_le_u16_e64 s11, v12, v14
	s_and_b32 s10, s10, s11
	s_wait_alu 0xfffe
	s_or_b32 s10, s12, s10
	s_wait_alu 0xfffe
	v_cndmask_b32_e64 v12, v13, v15, s10
	v_cndmask_b32_e64 v14, v51, v31, s10
	;; [unrolled: 1-line block ×3, first 2 shown]
	s_delay_alu instid0(VALU_DEP_3) | instskip(NEXT) | instid1(VALU_DEP_3)
	v_add_nc_u32_e32 v16, 1, v12
	v_add_nc_u32_e32 v14, -1, v14
	v_lshl_add_u32 v12, v12, 3, v9
	s_delay_alu instid0(VALU_DEP_3) | instskip(NEXT) | instid1(VALU_DEP_3)
	v_cndmask_b32_e64 v15, v15, v16, s10
	v_min_u32_e32 v14, v16, v14
	v_cndmask_b32_e64 v13, v16, v13, s10
	s_delay_alu instid0(VALU_DEP_3) | instskip(NEXT) | instid1(VALU_DEP_3)
	v_cmp_lt_u32_e64 s11, v15, v31
	v_add_nc_u32_e32 v14, v10, v14
	s_delay_alu instid0(VALU_DEP_3) | instskip(SKIP_4) | instid1(VALU_DEP_2)
	v_cmp_ge_u32_e64 s13, v13, v51
	ds_load_u8 v14, v14
	s_wait_dscnt 0x0
	v_cndmask_b32_e64 v39, v14, v37, s10
	v_cndmask_b32_e64 v48, v38, v14, s10
	v_and_b32_e32 v14, v39, v4
	s_delay_alu instid0(VALU_DEP_2) | instskip(NEXT) | instid1(VALU_DEP_2)
	v_and_b32_e32 v17, v48, v4
	v_and_b32_e32 v14, 0xff, v14
	s_delay_alu instid0(VALU_DEP_2) | instskip(NEXT) | instid1(VALU_DEP_1)
	v_and_b32_e32 v17, 0xff, v17
	v_cmp_le_u16_e64 s12, v14, v17
	s_and_b32 s11, s11, s12
	s_wait_alu 0xfffe
	s_or_b32 s11, s13, s11
	s_wait_alu 0xfffe
	v_cndmask_b32_e64 v14, v13, v15, s11
	v_cndmask_b32_e64 v16, v51, v31, s11
	v_cndmask_b32_e64 v37, v39, v48, s11
	s_delay_alu instid0(VALU_DEP_3) | instskip(NEXT) | instid1(VALU_DEP_3)
	v_add_nc_u32_e32 v17, 1, v14
	v_add_nc_u32_e32 v16, -1, v16
	s_delay_alu instid0(VALU_DEP_2) | instskip(NEXT) | instid1(VALU_DEP_2)
	v_cndmask_b32_e64 v15, v15, v17, s11
	v_min_u32_e32 v16, v17, v16
	v_cndmask_b32_e64 v13, v17, v13, s11
	s_delay_alu instid0(VALU_DEP_3) | instskip(NEXT) | instid1(VALU_DEP_3)
	v_cmp_lt_u32_e64 s12, v15, v31
	v_add_nc_u32_e32 v16, v10, v16
	s_delay_alu instid0(VALU_DEP_3) | instskip(SKIP_4) | instid1(VALU_DEP_2)
	v_cmp_ge_u32_e64 s14, v13, v51
	ds_load_u8 v16, v16
	s_wait_dscnt 0x0
	v_cndmask_b32_e64 v49, v16, v39, s11
	v_cndmask_b32_e64 v50, v48, v16, s11
	v_and_b32_e32 v16, v49, v4
	s_delay_alu instid0(VALU_DEP_2) | instskip(NEXT) | instid1(VALU_DEP_2)
	v_and_b32_e32 v18, v50, v4
	v_and_b32_e32 v16, 0xff, v16
	s_delay_alu instid0(VALU_DEP_2) | instskip(NEXT) | instid1(VALU_DEP_1)
	v_and_b32_e32 v18, 0xff, v18
	v_cmp_le_u16_e64 s13, v16, v18
	s_and_b32 s12, s12, s13
	s_wait_alu 0xfffe
	s_or_b32 s12, s14, s12
	s_wait_alu 0xfffe
	v_cndmask_b32_e64 v18, v13, v15, s12
	v_cndmask_b32_e64 v16, v51, v31, s12
	v_cndmask_b32_e64 v48, v49, v50, s12
	s_delay_alu instid0(VALU_DEP_3) | instskip(NEXT) | instid1(VALU_DEP_3)
	v_add_nc_u32_e32 v17, 1, v18
	v_add_nc_u32_e32 v16, -1, v16
	s_delay_alu instid0(VALU_DEP_2) | instskip(NEXT) | instid1(VALU_DEP_2)
	;; [unrolled: 30-line block ×3, first 2 shown]
	v_cndmask_b32_e64 v15, v15, v17, s13
	v_min_u32_e32 v16, v17, v16
	v_cndmask_b32_e64 v13, v17, v13, s13
	s_delay_alu instid0(VALU_DEP_3) | instskip(NEXT) | instid1(VALU_DEP_3)
	v_cmp_lt_u32_e64 s14, v15, v31
	v_add_nc_u32_e32 v16, v10, v16
	s_delay_alu instid0(VALU_DEP_3) | instskip(SKIP_4) | instid1(VALU_DEP_2)
	v_cmp_ge_u32_e64 s16, v13, v51
	ds_load_u8 v16, v16
	s_wait_dscnt 0x0
	v_cndmask_b32_e64 v54, v16, v52, s13
	v_cndmask_b32_e64 v55, v53, v16, s13
	v_and_b32_e32 v16, v54, v4
	s_delay_alu instid0(VALU_DEP_2) | instskip(NEXT) | instid1(VALU_DEP_2)
	v_and_b32_e32 v20, v55, v4
	v_and_b32_e32 v16, 0xff, v16
	s_delay_alu instid0(VALU_DEP_2) | instskip(NEXT) | instid1(VALU_DEP_1)
	v_and_b32_e32 v20, 0xff, v20
	v_cmp_le_u16_e64 s15, v16, v20
	s_and_b32 s14, s14, s15
	s_wait_alu 0xfffe
	s_or_b32 s14, s16, s14
	s_wait_alu 0xfffe
	v_cndmask_b32_e64 v20, v13, v15, s14
	v_cndmask_b32_e64 v16, v51, v31, s14
	;; [unrolled: 1-line block ×3, first 2 shown]
	s_delay_alu instid0(VALU_DEP_3) | instskip(NEXT) | instid1(VALU_DEP_3)
	v_add_nc_u32_e32 v17, 1, v20
	v_add_nc_u32_e32 v16, -1, v16
	v_lshl_add_u32 v23, v20, 3, v9
	s_delay_alu instid0(VALU_DEP_3) | instskip(NEXT) | instid1(VALU_DEP_3)
	v_cndmask_b32_e64 v15, v15, v17, s14
	v_min_u32_e32 v16, v17, v16
	v_cndmask_b32_e64 v13, v17, v13, s14
	s_delay_alu instid0(VALU_DEP_3) | instskip(NEXT) | instid1(VALU_DEP_3)
	v_cmp_lt_u32_e64 s15, v15, v31
	v_add_nc_u32_e32 v16, v10, v16
	s_delay_alu instid0(VALU_DEP_3) | instskip(SKIP_4) | instid1(VALU_DEP_2)
	v_cmp_ge_u32_e64 s17, v13, v51
	ds_load_u8 v16, v16
	s_wait_dscnt 0x0
	v_cndmask_b32_e64 v64, v16, v54, s14
	v_cndmask_b32_e64 v65, v55, v16, s14
	v_and_b32_e32 v16, v64, v4
	s_delay_alu instid0(VALU_DEP_2) | instskip(NEXT) | instid1(VALU_DEP_2)
	v_and_b32_e32 v21, v65, v4
	v_and_b32_e32 v16, 0xff, v16
	s_delay_alu instid0(VALU_DEP_2) | instskip(NEXT) | instid1(VALU_DEP_1)
	v_and_b32_e32 v21, 0xff, v21
	v_cmp_le_u16_e64 s16, v16, v21
	s_and_b32 s15, s15, s16
	s_wait_alu 0xfffe
	s_or_b32 s15, s17, s15
	s_wait_alu 0xfffe
	v_cndmask_b32_e64 v21, v13, v15, s15
	v_cndmask_b32_e64 v16, v51, v31, s15
	v_cndmask_b32_e64 v50, v64, v65, s15
	s_delay_alu instid0(VALU_DEP_3) | instskip(NEXT) | instid1(VALU_DEP_3)
	v_add_nc_u32_e32 v17, 1, v21
	v_add_nc_u32_e32 v16, -1, v16
	s_delay_alu instid0(VALU_DEP_2) | instskip(NEXT) | instid1(VALU_DEP_2)
	v_cndmask_b32_e64 v22, v15, v17, s15
	v_min_u32_e32 v16, v17, v16
	v_cndmask_b32_e64 v13, v17, v13, s15
	s_delay_alu instid0(VALU_DEP_3) | instskip(NEXT) | instid1(VALU_DEP_3)
	v_cmp_lt_u32_e64 s16, v22, v31
	v_add_nc_u32_e32 v16, v10, v16
	s_delay_alu instid0(VALU_DEP_3)
	v_cmp_ge_u32_e64 s18, v13, v51
	v_lshl_add_u32 v31, v21, 3, v9
	ds_load_u8 v16, v16
	s_wait_dscnt 0x0
	v_cndmask_b32_e64 v66, v16, v64, s15
	v_cndmask_b32_e64 v67, v65, v16, s15
	s_delay_alu instid0(VALU_DEP_2) | instskip(NEXT) | instid1(VALU_DEP_2)
	v_and_b32_e32 v16, v66, v4
	v_and_b32_e32 v4, v67, v4
	s_delay_alu instid0(VALU_DEP_2) | instskip(NEXT) | instid1(VALU_DEP_2)
	v_and_b32_e32 v15, 0xff, v16
	v_and_b32_e32 v4, 0xff, v4
	v_lshl_add_u32 v16, v14, 3, v9
	s_delay_alu instid0(VALU_DEP_2)
	v_cmp_le_u16_e64 s17, v15, v4
	ds_load_b64 v[4:5], v5 offset:2048
	ds_load_b64 v[14:15], v12 offset:2048
	;; [unrolled: 1-line block ×3, first 2 shown]
	s_and_b32 s16, s16, s17
	s_wait_alu 0xfffe
	s_or_b32 s16, s18, s16
	s_wait_alu 0xfffe
	v_cndmask_b32_e64 v12, v13, v22, s16
	v_lshl_add_u32 v13, v18, 3, v9
	v_lshl_add_u32 v22, v19, 3, v9
	v_cndmask_b32_e64 v38, v66, v67, s16
	s_delay_alu instid0(VALU_DEP_4)
	v_lshl_add_u32 v51, v12, 3, v9
	ds_load_b64 v[18:19], v13 offset:2048
	ds_load_b64 v[20:21], v22 offset:2048
	;; [unrolled: 1-line block ×5, first 2 shown]
.LBB1547_104:
	s_wait_alu 0xfffe
	s_or_b32 exec_lo, exec_lo, s20
	v_perm_b32 v31, v49, v39, 0xc0c0004
	v_perm_b32 v51, v50, v38, 0xc0c0004
	;; [unrolled: 1-line block ×4, first 2 shown]
	; wave barrier
	s_delay_alu instid0(VALU_DEP_3) | instskip(SKIP_1) | instid1(VALU_DEP_2)
	v_lshl_or_b32 v52, v51, 16, v31
	s_mov_b32 s11, exec_lo
	v_lshl_or_b32 v51, v54, 16, v53
	s_wait_dscnt 0x6
	ds_store_2addr_b64 v29, v[4:5], v[14:15] offset1:1
	s_wait_dscnt 0x5
	ds_store_2addr_b64 v27, v[16:17], v[18:19] offset1:1
	ds_store_b64 v30, v[51:52]
	s_wait_dscnt 0x5
	ds_store_2addr_b64 v26, v[20:21], v[24:25] offset1:1
	s_wait_dscnt 0x4
	ds_store_2addr_b64 v11, v[12:13], v[22:23] offset1:1
	; wave barrier
	scratch_load_u8 v54, off, s32 offset:3
	v_and_b32_e32 v52, 0xc0, v34
	v_and_b32_e32 v53, 56, v34
	s_delay_alu instid0(VALU_DEP_2) | instskip(NEXT) | instid1(VALU_DEP_2)
	v_or_b32_e32 v31, 32, v52
	v_min_u32_e32 v53, v28, v53
	s_delay_alu instid0(VALU_DEP_2) | instskip(NEXT) | instid1(VALU_DEP_1)
	v_min_u32_e32 v31, v28, v31
	v_add_nc_u32_e32 v51, 32, v31
	v_sub_nc_u32_e32 v55, v31, v52
	s_delay_alu instid0(VALU_DEP_2) | instskip(NEXT) | instid1(VALU_DEP_2)
	v_min_u32_e32 v51, v28, v51
	v_min_u32_e32 v55, v53, v55
	s_delay_alu instid0(VALU_DEP_2) | instskip(SKIP_2) | instid1(VALU_DEP_2)
	v_sub_nc_u32_e32 v64, v51, v31
	s_wait_loadcnt 0x0
	v_and_b32_e32 v65, 1, v54
	v_sub_nc_u32_e64 v54, v53, v64 clamp
	s_delay_alu instid0(VALU_DEP_2)
	v_cmp_eq_u32_e64 s7, 1, v65
	scratch_store_b8 off, v65, s32 offset:2
	v_cmpx_lt_u32_e64 v54, v55
	s_cbranch_execz .LBB1547_108
; %bb.105:
	scratch_load_u8 v64, off, s32 offset:2
	v_add_nc_u32_e32 v65, v10, v52
	v_add3_u32 v66, v10, v31, v53
	s_mov_b32 s12, 0
.LBB1547_106:                           ; =>This Inner Loop Header: Depth=1
	v_add_nc_u32_e32 v67, v55, v54
	s_delay_alu instid0(VALU_DEP_1) | instskip(NEXT) | instid1(VALU_DEP_1)
	v_lshrrev_b32_e32 v67, 1, v67
	v_xad_u32 v68, v67, -1, v66
	v_add_nc_u32_e32 v69, v65, v67
	v_add_nc_u32_e32 v70, 1, v67
	ds_load_u8 v68, v68
	ds_load_u8 v69, v69
	s_wait_loadcnt_dscnt 0x1
	v_and_b32_e32 v68, v68, v64
	s_wait_dscnt 0x0
	v_and_b32_e32 v69, v69, v64
	s_delay_alu instid0(VALU_DEP_2) | instskip(NEXT) | instid1(VALU_DEP_2)
	v_and_b32_e32 v68, 1, v68
	v_and_b32_e32 v69, 1, v69
	s_delay_alu instid0(VALU_DEP_1) | instskip(SKIP_1) | instid1(VALU_DEP_1)
	v_cmp_gt_u16_e64 s10, v68, v69
	s_wait_alu 0xf1ff
	v_cndmask_b32_e64 v55, v55, v67, s10
	v_cndmask_b32_e64 v54, v70, v54, s10
	s_delay_alu instid0(VALU_DEP_1)
	v_cmp_ge_u32_e64 s10, v54, v55
	s_wait_alu 0xfffe
	s_or_b32 s12, s10, s12
	s_wait_alu 0xfffe
	s_and_not1_b32 exec_lo, exec_lo, s12
	s_cbranch_execnz .LBB1547_106
; %bb.107:
	s_or_b32 exec_lo, exec_lo, s12
.LBB1547_108:
	s_wait_alu 0xfffe
	s_or_b32 exec_lo, exec_lo, s11
	v_cndmask_b32_e64 v55, 0, 1, s7
	v_add_nc_u32_e32 v64, v31, v53
	v_add_nc_u32_e32 v53, v54, v52
	scratch_store_b8 off, v55, s32 offset:1
	scratch_load_u8 v55, off, s32 offset:1
	v_sub_nc_u32_e32 v52, v64, v54
	v_cmp_le_u32_e64 s7, v53, v31
	s_delay_alu instid0(VALU_DEP_2)
	v_cmp_le_u32_e64 s10, v52, v51
	s_or_b32 s7, s7, s10
	s_wait_loadcnt 0x0
	v_and_b32_e32 v54, 1, v55
	scratch_store_b8 off, v54, s32
	s_wait_alu 0xfffe
	s_and_saveexec_b32 s20, s7
	s_cbranch_execz .LBB1547_114
; %bb.109:
	v_cmp_ge_u32_e64 s7, v53, v31
	s_mov_b32 s11, exec_lo
                                        ; implicit-def: $vgpr35
	v_cmpx_lt_u32_e64 v53, v31
; %bb.110:
	v_add_nc_u32_e32 v4, v10, v53
	ds_load_u8 v35, v4
; %bb.111:
	s_wait_alu 0xfffe
	s_or_b32 exec_lo, exec_lo, s11
	v_cmp_ge_u32_e64 s10, v52, v51
	s_mov_b32 s12, exec_lo
                                        ; implicit-def: $vgpr36
	v_cmpx_lt_u32_e64 v52, v51
; %bb.112:
	v_add_nc_u32_e32 v4, v10, v52
	ds_load_u8 v36, v4
; %bb.113:
	s_wait_alu 0xfffe
	s_or_b32 exec_lo, exec_lo, s12
	scratch_load_u8 v4, off, s32
	v_cndmask_b32_e64 v13, 0, 1, s10
	s_or_b32 s7, s7, s10
	s_wait_loadcnt_dscnt 0x0
	v_and_b32_e32 v5, v4, v36
	v_and_b32_e32 v12, v4, v35
	s_delay_alu instid0(VALU_DEP_2) | instskip(NEXT) | instid1(VALU_DEP_2)
	v_and_b32_e32 v5, 1, v5
	v_and_b32_e32 v12, 1, v12
	s_delay_alu instid0(VALU_DEP_1) | instskip(SKIP_1) | instid1(VALU_DEP_1)
	v_cmp_le_u16_e64 s11, v5, v12
	s_wait_alu 0xf1ff
	v_cndmask_b32_e64 v5, 0, 1, s11
	s_wait_alu 0xfffe
	s_delay_alu instid0(VALU_DEP_1) | instskip(NEXT) | instid1(VALU_DEP_1)
	v_cndmask_b32_e64 v5, v5, v13, s7
	v_and_b32_e32 v5, 1, v5
	s_delay_alu instid0(VALU_DEP_1) | instskip(SKIP_1) | instid1(VALU_DEP_1)
	v_cmp_eq_u32_e64 s7, 1, v5
	s_wait_alu 0xf1ff
	v_cndmask_b32_e64 v5, v52, v53, s7
	v_cndmask_b32_e64 v12, v51, v31, s7
	s_delay_alu instid0(VALU_DEP_2) | instskip(NEXT) | instid1(VALU_DEP_2)
	v_add_nc_u32_e32 v13, 1, v5
	v_add_nc_u32_e32 v12, -1, v12
	v_lshl_add_u32 v5, v5, 3, v9
	s_delay_alu instid0(VALU_DEP_3) | instskip(NEXT) | instid1(VALU_DEP_3)
	v_cndmask_b32_e64 v15, v53, v13, s7
	v_min_u32_e32 v12, v13, v12
	v_cndmask_b32_e64 v13, v13, v52, s7
	s_delay_alu instid0(VALU_DEP_3) | instskip(NEXT) | instid1(VALU_DEP_3)
	v_cmp_lt_u32_e64 s10, v15, v31
	v_add_nc_u32_e32 v12, v10, v12
	s_delay_alu instid0(VALU_DEP_3)
	v_cmp_ge_u32_e64 s12, v13, v51
	ds_load_u8 v12, v12
	s_wait_dscnt 0x0
	v_cndmask_b32_e64 v37, v12, v36, s7
	v_cndmask_b32_e64 v38, v35, v12, s7
	v_cndmask_b32_e64 v35, v36, v35, s7
	s_delay_alu instid0(VALU_DEP_3) | instskip(NEXT) | instid1(VALU_DEP_3)
	v_and_b32_e32 v12, v37, v4
	v_and_b32_e32 v14, v38, v4
	s_delay_alu instid0(VALU_DEP_2) | instskip(NEXT) | instid1(VALU_DEP_2)
	v_and_b32_e32 v12, 0xff, v12
	v_and_b32_e32 v14, 0xff, v14
	s_delay_alu instid0(VALU_DEP_1)
	v_cmp_le_u16_e64 s11, v12, v14
	s_and_b32 s10, s10, s11
	s_wait_alu 0xfffe
	s_or_b32 s10, s12, s10
	s_wait_alu 0xfffe
	v_cndmask_b32_e64 v12, v13, v15, s10
	v_cndmask_b32_e64 v14, v51, v31, s10
	v_cndmask_b32_e64 v36, v37, v38, s10
	s_delay_alu instid0(VALU_DEP_3) | instskip(NEXT) | instid1(VALU_DEP_3)
	v_add_nc_u32_e32 v16, 1, v12
	v_add_nc_u32_e32 v14, -1, v14
	v_lshl_add_u32 v12, v12, 3, v9
	s_delay_alu instid0(VALU_DEP_3) | instskip(NEXT) | instid1(VALU_DEP_3)
	v_cndmask_b32_e64 v15, v15, v16, s10
	v_min_u32_e32 v14, v16, v14
	v_cndmask_b32_e64 v13, v16, v13, s10
	s_delay_alu instid0(VALU_DEP_3) | instskip(NEXT) | instid1(VALU_DEP_3)
	v_cmp_lt_u32_e64 s11, v15, v31
	v_add_nc_u32_e32 v14, v10, v14
	s_delay_alu instid0(VALU_DEP_3) | instskip(SKIP_4) | instid1(VALU_DEP_2)
	v_cmp_ge_u32_e64 s13, v13, v51
	ds_load_u8 v14, v14
	s_wait_dscnt 0x0
	v_cndmask_b32_e64 v39, v14, v37, s10
	v_cndmask_b32_e64 v48, v38, v14, s10
	v_and_b32_e32 v14, v39, v4
	s_delay_alu instid0(VALU_DEP_2) | instskip(NEXT) | instid1(VALU_DEP_2)
	v_and_b32_e32 v17, v48, v4
	v_and_b32_e32 v14, 0xff, v14
	s_delay_alu instid0(VALU_DEP_2) | instskip(NEXT) | instid1(VALU_DEP_1)
	v_and_b32_e32 v17, 0xff, v17
	v_cmp_le_u16_e64 s12, v14, v17
	s_and_b32 s11, s11, s12
	s_wait_alu 0xfffe
	s_or_b32 s11, s13, s11
	s_wait_alu 0xfffe
	v_cndmask_b32_e64 v14, v13, v15, s11
	v_cndmask_b32_e64 v16, v51, v31, s11
	v_cndmask_b32_e64 v37, v39, v48, s11
	s_delay_alu instid0(VALU_DEP_3) | instskip(NEXT) | instid1(VALU_DEP_3)
	v_add_nc_u32_e32 v17, 1, v14
	v_add_nc_u32_e32 v16, -1, v16
	s_delay_alu instid0(VALU_DEP_2) | instskip(NEXT) | instid1(VALU_DEP_2)
	v_cndmask_b32_e64 v15, v15, v17, s11
	v_min_u32_e32 v16, v17, v16
	v_cndmask_b32_e64 v13, v17, v13, s11
	s_delay_alu instid0(VALU_DEP_3) | instskip(NEXT) | instid1(VALU_DEP_3)
	v_cmp_lt_u32_e64 s12, v15, v31
	v_add_nc_u32_e32 v16, v10, v16
	s_delay_alu instid0(VALU_DEP_3) | instskip(SKIP_4) | instid1(VALU_DEP_2)
	v_cmp_ge_u32_e64 s14, v13, v51
	ds_load_u8 v16, v16
	s_wait_dscnt 0x0
	v_cndmask_b32_e64 v49, v16, v39, s11
	v_cndmask_b32_e64 v50, v48, v16, s11
	v_and_b32_e32 v16, v49, v4
	s_delay_alu instid0(VALU_DEP_2) | instskip(NEXT) | instid1(VALU_DEP_2)
	v_and_b32_e32 v18, v50, v4
	v_and_b32_e32 v16, 0xff, v16
	s_delay_alu instid0(VALU_DEP_2) | instskip(NEXT) | instid1(VALU_DEP_1)
	v_and_b32_e32 v18, 0xff, v18
	v_cmp_le_u16_e64 s13, v16, v18
	s_and_b32 s12, s12, s13
	s_wait_alu 0xfffe
	s_or_b32 s12, s14, s12
	s_wait_alu 0xfffe
	v_cndmask_b32_e64 v18, v13, v15, s12
	v_cndmask_b32_e64 v16, v51, v31, s12
	v_cndmask_b32_e64 v48, v49, v50, s12
	s_delay_alu instid0(VALU_DEP_3) | instskip(NEXT) | instid1(VALU_DEP_3)
	v_add_nc_u32_e32 v17, 1, v18
	v_add_nc_u32_e32 v16, -1, v16
	s_delay_alu instid0(VALU_DEP_2) | instskip(NEXT) | instid1(VALU_DEP_2)
	;; [unrolled: 30-line block ×3, first 2 shown]
	v_cndmask_b32_e64 v15, v15, v17, s13
	v_min_u32_e32 v16, v17, v16
	v_cndmask_b32_e64 v13, v17, v13, s13
	s_delay_alu instid0(VALU_DEP_3) | instskip(NEXT) | instid1(VALU_DEP_3)
	v_cmp_lt_u32_e64 s14, v15, v31
	v_add_nc_u32_e32 v16, v10, v16
	s_delay_alu instid0(VALU_DEP_3) | instskip(SKIP_4) | instid1(VALU_DEP_2)
	v_cmp_ge_u32_e64 s16, v13, v51
	ds_load_u8 v16, v16
	s_wait_dscnt 0x0
	v_cndmask_b32_e64 v54, v16, v52, s13
	v_cndmask_b32_e64 v55, v53, v16, s13
	v_and_b32_e32 v16, v54, v4
	s_delay_alu instid0(VALU_DEP_2) | instskip(NEXT) | instid1(VALU_DEP_2)
	v_and_b32_e32 v20, v55, v4
	v_and_b32_e32 v16, 0xff, v16
	s_delay_alu instid0(VALU_DEP_2) | instskip(NEXT) | instid1(VALU_DEP_1)
	v_and_b32_e32 v20, 0xff, v20
	v_cmp_le_u16_e64 s15, v16, v20
	s_and_b32 s14, s14, s15
	s_wait_alu 0xfffe
	s_or_b32 s14, s16, s14
	s_wait_alu 0xfffe
	v_cndmask_b32_e64 v20, v13, v15, s14
	v_cndmask_b32_e64 v16, v51, v31, s14
	;; [unrolled: 1-line block ×3, first 2 shown]
	s_delay_alu instid0(VALU_DEP_3) | instskip(NEXT) | instid1(VALU_DEP_3)
	v_add_nc_u32_e32 v17, 1, v20
	v_add_nc_u32_e32 v16, -1, v16
	v_lshl_add_u32 v23, v20, 3, v9
	s_delay_alu instid0(VALU_DEP_3) | instskip(NEXT) | instid1(VALU_DEP_3)
	v_cndmask_b32_e64 v15, v15, v17, s14
	v_min_u32_e32 v16, v17, v16
	v_cndmask_b32_e64 v13, v17, v13, s14
	s_delay_alu instid0(VALU_DEP_3) | instskip(NEXT) | instid1(VALU_DEP_3)
	v_cmp_lt_u32_e64 s15, v15, v31
	v_add_nc_u32_e32 v16, v10, v16
	s_delay_alu instid0(VALU_DEP_3) | instskip(SKIP_4) | instid1(VALU_DEP_2)
	v_cmp_ge_u32_e64 s17, v13, v51
	ds_load_u8 v16, v16
	s_wait_dscnt 0x0
	v_cndmask_b32_e64 v64, v16, v54, s14
	v_cndmask_b32_e64 v65, v55, v16, s14
	v_and_b32_e32 v16, v64, v4
	s_delay_alu instid0(VALU_DEP_2) | instskip(NEXT) | instid1(VALU_DEP_2)
	v_and_b32_e32 v21, v65, v4
	v_and_b32_e32 v16, 0xff, v16
	s_delay_alu instid0(VALU_DEP_2) | instskip(NEXT) | instid1(VALU_DEP_1)
	v_and_b32_e32 v21, 0xff, v21
	v_cmp_le_u16_e64 s16, v16, v21
	s_and_b32 s15, s15, s16
	s_wait_alu 0xfffe
	s_or_b32 s15, s17, s15
	s_wait_alu 0xfffe
	v_cndmask_b32_e64 v21, v13, v15, s15
	v_cndmask_b32_e64 v16, v51, v31, s15
	v_cndmask_b32_e64 v50, v64, v65, s15
	s_delay_alu instid0(VALU_DEP_3) | instskip(NEXT) | instid1(VALU_DEP_3)
	v_add_nc_u32_e32 v17, 1, v21
	v_add_nc_u32_e32 v16, -1, v16
	s_delay_alu instid0(VALU_DEP_2) | instskip(NEXT) | instid1(VALU_DEP_2)
	v_cndmask_b32_e64 v22, v15, v17, s15
	v_min_u32_e32 v16, v17, v16
	v_cndmask_b32_e64 v13, v17, v13, s15
	s_delay_alu instid0(VALU_DEP_3) | instskip(NEXT) | instid1(VALU_DEP_3)
	v_cmp_lt_u32_e64 s16, v22, v31
	v_add_nc_u32_e32 v16, v10, v16
	s_delay_alu instid0(VALU_DEP_3)
	v_cmp_ge_u32_e64 s18, v13, v51
	v_lshl_add_u32 v31, v21, 3, v9
	ds_load_u8 v16, v16
	s_wait_dscnt 0x0
	v_cndmask_b32_e64 v66, v16, v64, s15
	v_cndmask_b32_e64 v67, v65, v16, s15
	s_delay_alu instid0(VALU_DEP_2) | instskip(NEXT) | instid1(VALU_DEP_2)
	v_and_b32_e32 v16, v66, v4
	v_and_b32_e32 v4, v67, v4
	s_delay_alu instid0(VALU_DEP_2) | instskip(NEXT) | instid1(VALU_DEP_2)
	v_and_b32_e32 v15, 0xff, v16
	v_and_b32_e32 v4, 0xff, v4
	v_lshl_add_u32 v16, v14, 3, v9
	s_delay_alu instid0(VALU_DEP_2)
	v_cmp_le_u16_e64 s17, v15, v4
	ds_load_b64 v[4:5], v5 offset:2048
	ds_load_b64 v[14:15], v12 offset:2048
	;; [unrolled: 1-line block ×3, first 2 shown]
	s_and_b32 s16, s16, s17
	s_wait_alu 0xfffe
	s_or_b32 s16, s18, s16
	s_wait_alu 0xfffe
	v_cndmask_b32_e64 v12, v13, v22, s16
	v_lshl_add_u32 v13, v18, 3, v9
	v_lshl_add_u32 v22, v19, 3, v9
	v_cndmask_b32_e64 v38, v66, v67, s16
	s_delay_alu instid0(VALU_DEP_4)
	v_lshl_add_u32 v51, v12, 3, v9
	ds_load_b64 v[18:19], v13 offset:2048
	ds_load_b64 v[20:21], v22 offset:2048
	;; [unrolled: 1-line block ×5, first 2 shown]
.LBB1547_114:
	s_wait_alu 0xfffe
	s_or_b32 exec_lo, exec_lo, s20
	v_perm_b32 v31, v49, v39, 0xc0c0004
	v_perm_b32 v51, v50, v38, 0xc0c0004
	;; [unrolled: 1-line block ×4, first 2 shown]
	; wave barrier
	s_delay_alu instid0(VALU_DEP_3) | instskip(SKIP_1) | instid1(VALU_DEP_2)
	v_lshl_or_b32 v52, v51, 16, v31
	s_mov_b32 s11, exec_lo
	v_lshl_or_b32 v51, v54, 16, v53
	s_wait_dscnt 0x6
	ds_store_2addr_b64 v29, v[4:5], v[14:15] offset1:1
	s_wait_dscnt 0x5
	ds_store_2addr_b64 v27, v[16:17], v[18:19] offset1:1
	ds_store_b64 v30, v[51:52]
	s_wait_dscnt 0x5
	ds_store_2addr_b64 v26, v[20:21], v[24:25] offset1:1
	s_wait_dscnt 0x4
	ds_store_2addr_b64 v11, v[12:13], v[22:23] offset1:1
	; wave barrier
	scratch_load_u8 v29, off, s32 offset:3
	v_and_b32_e32 v27, 0x80, v34
	s_delay_alu instid0(VALU_DEP_1) | instskip(NEXT) | instid1(VALU_DEP_1)
	v_or_b32_e32 v11, 64, v27
	v_min_u32_e32 v26, v28, v11
	s_delay_alu instid0(VALU_DEP_1) | instskip(SKIP_1) | instid1(VALU_DEP_2)
	v_add_nc_u32_e32 v11, 64, v26
	v_sub_nc_u32_e32 v30, v26, v27
	v_min_u32_e32 v11, v28, v11
	v_min_u32_e32 v28, v28, v32
	s_delay_alu instid0(VALU_DEP_2) | instskip(NEXT) | instid1(VALU_DEP_2)
	v_sub_nc_u32_e32 v31, v11, v26
	v_min_u32_e32 v30, v28, v30
	s_wait_loadcnt 0x0
	v_and_b32_e32 v34, 1, v29
	s_delay_alu instid0(VALU_DEP_3) | instskip(NEXT) | instid1(VALU_DEP_2)
	v_sub_nc_u32_e64 v29, v28, v31 clamp
	v_cmp_eq_u32_e64 s7, 1, v34
	scratch_store_b8 off, v34, s32 offset:2
	v_cmpx_lt_u32_e64 v29, v30
	s_cbranch_execz .LBB1547_118
; %bb.115:
	scratch_load_u8 v31, off, s32 offset:2
	v_add_nc_u32_e32 v34, v10, v27
	v_add3_u32 v51, v10, v26, v28
	s_mov_b32 s12, 0
.LBB1547_116:                           ; =>This Inner Loop Header: Depth=1
	v_add_nc_u32_e32 v52, v30, v29
	s_delay_alu instid0(VALU_DEP_1) | instskip(NEXT) | instid1(VALU_DEP_1)
	v_lshrrev_b32_e32 v52, 1, v52
	v_xad_u32 v53, v52, -1, v51
	v_add_nc_u32_e32 v54, v34, v52
	v_add_nc_u32_e32 v55, 1, v52
	ds_load_u8 v53, v53
	ds_load_u8 v54, v54
	s_wait_loadcnt_dscnt 0x1
	v_and_b32_e32 v53, v53, v31
	s_wait_dscnt 0x0
	v_and_b32_e32 v54, v54, v31
	s_delay_alu instid0(VALU_DEP_2) | instskip(NEXT) | instid1(VALU_DEP_2)
	v_and_b32_e32 v53, 1, v53
	v_and_b32_e32 v54, 1, v54
	s_delay_alu instid0(VALU_DEP_1) | instskip(SKIP_1) | instid1(VALU_DEP_1)
	v_cmp_gt_u16_e64 s10, v53, v54
	s_wait_alu 0xf1ff
	v_cndmask_b32_e64 v30, v30, v52, s10
	v_cndmask_b32_e64 v29, v55, v29, s10
	s_delay_alu instid0(VALU_DEP_1)
	v_cmp_ge_u32_e64 s10, v29, v30
	s_wait_alu 0xfffe
	s_or_b32 s12, s10, s12
	s_wait_alu 0xfffe
	s_and_not1_b32 exec_lo, exec_lo, s12
	s_cbranch_execnz .LBB1547_116
; %bb.117:
	s_or_b32 exec_lo, exec_lo, s12
.LBB1547_118:
	s_wait_alu 0xfffe
	s_or_b32 exec_lo, exec_lo, s11
	v_cndmask_b32_e64 v30, 0, 1, s7
	v_add_nc_u32_e32 v28, v26, v28
	scratch_store_b8 off, v30, s32 offset:1
	scratch_load_u8 v31, off, s32 offset:1
	v_add_nc_u32_e32 v30, v29, v27
	v_sub_nc_u32_e32 v29, v28, v29
	s_delay_alu instid0(VALU_DEP_2) | instskip(NEXT) | instid1(VALU_DEP_2)
	v_cmp_le_u32_e64 s7, v30, v26
	v_cmp_le_u32_e64 s10, v29, v11
	s_or_b32 s7, s7, s10
	s_wait_loadcnt 0x0
	v_and_b32_e32 v27, 1, v31
	scratch_store_b8 off, v27, s32
	s_wait_alu 0xfffe
	s_and_saveexec_b32 s20, s7
	s_cbranch_execz .LBB1547_124
; %bb.119:
	v_cmp_ge_u32_e64 s7, v30, v26
	s_mov_b32 s11, exec_lo
                                        ; implicit-def: $vgpr27
	v_cmpx_lt_u32_e64 v30, v26
; %bb.120:
	v_add_nc_u32_e32 v4, v10, v30
	ds_load_u8 v27, v4
; %bb.121:
	s_wait_alu 0xfffe
	s_or_b32 exec_lo, exec_lo, s11
	v_cmp_ge_u32_e64 s10, v29, v11
	s_mov_b32 s12, exec_lo
                                        ; implicit-def: $vgpr28
	v_cmpx_lt_u32_e64 v29, v11
; %bb.122:
	v_add_nc_u32_e32 v4, v10, v29
	ds_load_u8 v28, v4
; %bb.123:
	s_wait_alu 0xfffe
	s_or_b32 exec_lo, exec_lo, s12
	scratch_load_u8 v4, off, s32
	v_cndmask_b32_e64 v13, 0, 1, s10
	s_or_b32 s7, s7, s10
	s_wait_loadcnt_dscnt 0x0
	v_and_b32_e32 v5, v4, v28
	v_and_b32_e32 v12, v4, v27
	s_delay_alu instid0(VALU_DEP_2) | instskip(NEXT) | instid1(VALU_DEP_2)
	v_and_b32_e32 v5, 1, v5
	v_and_b32_e32 v12, 1, v12
	s_delay_alu instid0(VALU_DEP_1) | instskip(SKIP_1) | instid1(VALU_DEP_1)
	v_cmp_le_u16_e64 s11, v5, v12
	s_wait_alu 0xf1ff
	v_cndmask_b32_e64 v5, 0, 1, s11
	s_wait_alu 0xfffe
	s_delay_alu instid0(VALU_DEP_1) | instskip(NEXT) | instid1(VALU_DEP_1)
	v_cndmask_b32_e64 v5, v5, v13, s7
	v_and_b32_e32 v5, 1, v5
	s_delay_alu instid0(VALU_DEP_1) | instskip(SKIP_1) | instid1(VALU_DEP_1)
	v_cmp_eq_u32_e64 s7, 1, v5
	s_wait_alu 0xf1ff
	v_cndmask_b32_e64 v5, v29, v30, s7
	v_cndmask_b32_e64 v12, v11, v26, s7
	;; [unrolled: 1-line block ×3, first 2 shown]
	s_delay_alu instid0(VALU_DEP_3) | instskip(NEXT) | instid1(VALU_DEP_3)
	v_add_nc_u32_e32 v13, 1, v5
	v_add_nc_u32_e32 v12, -1, v12
	v_lshl_add_u32 v5, v5, 3, v9
	s_delay_alu instid0(VALU_DEP_3) | instskip(NEXT) | instid1(VALU_DEP_3)
	v_cndmask_b32_e64 v15, v30, v13, s7
	v_min_u32_e32 v12, v13, v12
	v_cndmask_b32_e64 v13, v13, v29, s7
	s_delay_alu instid0(VALU_DEP_3) | instskip(NEXT) | instid1(VALU_DEP_3)
	v_cmp_lt_u32_e64 s10, v15, v26
	v_add_nc_u32_e32 v12, v10, v12
	s_delay_alu instid0(VALU_DEP_3) | instskip(SKIP_4) | instid1(VALU_DEP_2)
	v_cmp_ge_u32_e64 s12, v13, v11
	ds_load_u8 v12, v12
	s_wait_dscnt 0x0
	v_cndmask_b32_e64 v31, v12, v28, s7
	v_cndmask_b32_e64 v34, v27, v12, s7
	v_and_b32_e32 v12, v31, v4
	s_delay_alu instid0(VALU_DEP_2) | instskip(NEXT) | instid1(VALU_DEP_2)
	v_and_b32_e32 v14, v34, v4
	v_and_b32_e32 v12, 0xff, v12
	s_delay_alu instid0(VALU_DEP_2) | instskip(NEXT) | instid1(VALU_DEP_1)
	v_and_b32_e32 v14, 0xff, v14
	v_cmp_le_u16_e64 s11, v12, v14
	s_and_b32 s10, s10, s11
	s_wait_alu 0xfffe
	s_or_b32 s10, s12, s10
	s_wait_alu 0xfffe
	v_cndmask_b32_e64 v12, v13, v15, s10
	v_cndmask_b32_e64 v14, v11, v26, s10
	;; [unrolled: 1-line block ×3, first 2 shown]
	s_delay_alu instid0(VALU_DEP_3) | instskip(NEXT) | instid1(VALU_DEP_3)
	v_add_nc_u32_e32 v16, 1, v12
	v_add_nc_u32_e32 v14, -1, v14
	v_lshl_add_u32 v12, v12, 3, v9
	s_delay_alu instid0(VALU_DEP_3) | instskip(NEXT) | instid1(VALU_DEP_3)
	v_cndmask_b32_e64 v15, v15, v16, s10
	v_min_u32_e32 v14, v16, v14
	v_cndmask_b32_e64 v13, v16, v13, s10
	s_delay_alu instid0(VALU_DEP_3) | instskip(NEXT) | instid1(VALU_DEP_3)
	v_cmp_lt_u32_e64 s11, v15, v26
	v_add_nc_u32_e32 v14, v10, v14
	s_delay_alu instid0(VALU_DEP_3) | instskip(SKIP_4) | instid1(VALU_DEP_2)
	v_cmp_ge_u32_e64 s13, v13, v11
	ds_load_u8 v14, v14
	s_wait_dscnt 0x0
	v_cndmask_b32_e64 v29, v14, v31, s10
	v_cndmask_b32_e64 v30, v34, v14, s10
	v_and_b32_e32 v14, v29, v4
	s_delay_alu instid0(VALU_DEP_2) | instskip(NEXT) | instid1(VALU_DEP_2)
	v_and_b32_e32 v17, v30, v4
	v_and_b32_e32 v14, 0xff, v14
	s_delay_alu instid0(VALU_DEP_2) | instskip(NEXT) | instid1(VALU_DEP_1)
	v_and_b32_e32 v17, 0xff, v17
	v_cmp_le_u16_e64 s12, v14, v17
	s_and_b32 s11, s11, s12
	s_wait_alu 0xfffe
	s_or_b32 s11, s13, s11
	s_wait_alu 0xfffe
	v_cndmask_b32_e64 v14, v13, v15, s11
	v_cndmask_b32_e64 v16, v11, v26, s11
	;; [unrolled: 1-line block ×3, first 2 shown]
	s_delay_alu instid0(VALU_DEP_3) | instskip(NEXT) | instid1(VALU_DEP_3)
	v_add_nc_u32_e32 v17, 1, v14
	v_add_nc_u32_e32 v16, -1, v16
	s_delay_alu instid0(VALU_DEP_2) | instskip(NEXT) | instid1(VALU_DEP_2)
	v_cndmask_b32_e64 v15, v15, v17, s11
	v_min_u32_e32 v16, v17, v16
	v_cndmask_b32_e64 v13, v17, v13, s11
	s_delay_alu instid0(VALU_DEP_3) | instskip(NEXT) | instid1(VALU_DEP_3)
	v_cmp_lt_u32_e64 s12, v15, v26
	v_add_nc_u32_e32 v16, v10, v16
	s_delay_alu instid0(VALU_DEP_3) | instskip(SKIP_4) | instid1(VALU_DEP_2)
	v_cmp_ge_u32_e64 s14, v13, v11
	ds_load_u8 v16, v16
	s_wait_dscnt 0x0
	v_cndmask_b32_e64 v38, v16, v29, s11
	v_cndmask_b32_e64 v39, v30, v16, s11
	v_and_b32_e32 v16, v38, v4
	s_delay_alu instid0(VALU_DEP_2) | instskip(NEXT) | instid1(VALU_DEP_2)
	v_and_b32_e32 v18, v39, v4
	v_and_b32_e32 v16, 0xff, v16
	s_delay_alu instid0(VALU_DEP_2) | instskip(NEXT) | instid1(VALU_DEP_1)
	v_and_b32_e32 v18, 0xff, v18
	v_cmp_le_u16_e64 s13, v16, v18
	s_and_b32 s12, s12, s13
	s_wait_alu 0xfffe
	s_or_b32 s12, s14, s12
	s_wait_alu 0xfffe
	v_cndmask_b32_e64 v18, v13, v15, s12
	v_cndmask_b32_e64 v16, v11, v26, s12
	v_cndmask_b32_e64 v48, v38, v39, s12
	s_delay_alu instid0(VALU_DEP_3) | instskip(NEXT) | instid1(VALU_DEP_3)
	v_add_nc_u32_e32 v17, 1, v18
	v_add_nc_u32_e32 v16, -1, v16
	s_delay_alu instid0(VALU_DEP_2) | instskip(NEXT) | instid1(VALU_DEP_2)
	v_cndmask_b32_e64 v15, v15, v17, s12
	v_min_u32_e32 v16, v17, v16
	v_cndmask_b32_e64 v13, v17, v13, s12
	s_delay_alu instid0(VALU_DEP_3) | instskip(NEXT) | instid1(VALU_DEP_3)
	v_cmp_lt_u32_e64 s13, v15, v26
	v_add_nc_u32_e32 v16, v10, v16
	s_delay_alu instid0(VALU_DEP_3) | instskip(SKIP_4) | instid1(VALU_DEP_2)
	v_cmp_ge_u32_e64 s15, v13, v11
	ds_load_u8 v16, v16
	s_wait_dscnt 0x0
	v_cndmask_b32_e64 v49, v16, v38, s12
	v_cndmask_b32_e64 v50, v39, v16, s12
	v_and_b32_e32 v16, v49, v4
	s_delay_alu instid0(VALU_DEP_2) | instskip(NEXT) | instid1(VALU_DEP_2)
	v_and_b32_e32 v19, v50, v4
	v_and_b32_e32 v16, 0xff, v16
	s_delay_alu instid0(VALU_DEP_2) | instskip(NEXT) | instid1(VALU_DEP_1)
	v_and_b32_e32 v19, 0xff, v19
	v_cmp_le_u16_e64 s14, v16, v19
	s_and_b32 s13, s13, s14
	s_wait_alu 0xfffe
	s_or_b32 s13, s15, s13
	s_wait_alu 0xfffe
	v_cndmask_b32_e64 v19, v13, v15, s13
	v_cndmask_b32_e64 v16, v11, v26, s13
	s_delay_alu instid0(VALU_DEP_2) | instskip(NEXT) | instid1(VALU_DEP_2)
	v_add_nc_u32_e32 v17, 1, v19
	v_add_nc_u32_e32 v16, -1, v16
	s_delay_alu instid0(VALU_DEP_2) | instskip(NEXT) | instid1(VALU_DEP_2)
	v_cndmask_b32_e64 v15, v15, v17, s13
	v_min_u32_e32 v16, v17, v16
	v_cndmask_b32_e64 v13, v17, v13, s13
	s_delay_alu instid0(VALU_DEP_3) | instskip(NEXT) | instid1(VALU_DEP_3)
	v_cmp_lt_u32_e64 s14, v15, v26
	v_add_nc_u32_e32 v16, v10, v16
	s_delay_alu instid0(VALU_DEP_3)
	v_cmp_ge_u32_e64 s16, v13, v11
	ds_load_u8 v16, v16
	s_wait_dscnt 0x0
	v_cndmask_b32_e64 v51, v16, v49, s13
	v_cndmask_b32_e64 v52, v50, v16, s13
	;; [unrolled: 1-line block ×3, first 2 shown]
	s_delay_alu instid0(VALU_DEP_3) | instskip(NEXT) | instid1(VALU_DEP_3)
	v_and_b32_e32 v16, v51, v4
	v_and_b32_e32 v20, v52, v4
	s_delay_alu instid0(VALU_DEP_2) | instskip(NEXT) | instid1(VALU_DEP_2)
	v_and_b32_e32 v16, 0xff, v16
	v_and_b32_e32 v20, 0xff, v20
	s_delay_alu instid0(VALU_DEP_1)
	v_cmp_le_u16_e64 s15, v16, v20
	s_and_b32 s14, s14, s15
	s_wait_alu 0xfffe
	s_or_b32 s14, s16, s14
	s_wait_alu 0xfffe
	v_cndmask_b32_e64 v20, v13, v15, s14
	v_cndmask_b32_e64 v16, v11, v26, s14
	v_cndmask_b32_e64 v39, v51, v52, s14
	s_delay_alu instid0(VALU_DEP_3) | instskip(NEXT) | instid1(VALU_DEP_3)
	v_add_nc_u32_e32 v17, 1, v20
	v_add_nc_u32_e32 v16, -1, v16
	s_delay_alu instid0(VALU_DEP_2) | instskip(NEXT) | instid1(VALU_DEP_2)
	v_cndmask_b32_e64 v15, v15, v17, s14
	v_min_u32_e32 v16, v17, v16
	v_cndmask_b32_e64 v13, v17, v13, s14
	s_delay_alu instid0(VALU_DEP_3) | instskip(NEXT) | instid1(VALU_DEP_3)
	v_cmp_lt_u32_e64 s15, v15, v26
	v_add_nc_u32_e32 v16, v10, v16
	s_delay_alu instid0(VALU_DEP_3) | instskip(SKIP_4) | instid1(VALU_DEP_2)
	v_cmp_ge_u32_e64 s17, v13, v11
	ds_load_u8 v16, v16
	s_wait_dscnt 0x0
	v_cndmask_b32_e64 v53, v16, v51, s14
	v_cndmask_b32_e64 v54, v52, v16, s14
	v_and_b32_e32 v16, v53, v4
	s_delay_alu instid0(VALU_DEP_2) | instskip(NEXT) | instid1(VALU_DEP_2)
	v_and_b32_e32 v21, v54, v4
	v_and_b32_e32 v16, 0xff, v16
	s_delay_alu instid0(VALU_DEP_2) | instskip(NEXT) | instid1(VALU_DEP_1)
	v_and_b32_e32 v21, 0xff, v21
	v_cmp_le_u16_e64 s16, v16, v21
	s_and_b32 s15, s15, s16
	s_wait_alu 0xfffe
	s_or_b32 s15, s17, s15
	s_wait_alu 0xfffe
	v_cndmask_b32_e64 v21, v13, v15, s15
	v_cndmask_b32_e64 v16, v11, v26, s15
	;; [unrolled: 1-line block ×3, first 2 shown]
	s_delay_alu instid0(VALU_DEP_3) | instskip(NEXT) | instid1(VALU_DEP_3)
	v_add_nc_u32_e32 v17, 1, v21
	v_add_nc_u32_e32 v16, -1, v16
	v_lshl_add_u32 v23, v21, 3, v9
	s_delay_alu instid0(VALU_DEP_3) | instskip(NEXT) | instid1(VALU_DEP_3)
	v_cndmask_b32_e64 v22, v15, v17, s15
	v_min_u32_e32 v16, v17, v16
	v_cndmask_b32_e64 v13, v17, v13, s15
	s_delay_alu instid0(VALU_DEP_3) | instskip(NEXT) | instid1(VALU_DEP_3)
	v_cmp_lt_u32_e64 s16, v22, v26
	v_add_nc_u32_e32 v10, v10, v16
	s_delay_alu instid0(VALU_DEP_3) | instskip(SKIP_4) | instid1(VALU_DEP_2)
	v_cmp_ge_u32_e64 s18, v13, v11
	ds_load_u8 v10, v10
	s_wait_dscnt 0x0
	v_cndmask_b32_e64 v55, v10, v53, s15
	v_cndmask_b32_e64 v10, v54, v10, s15
	v_and_b32_e32 v16, v55, v4
	s_delay_alu instid0(VALU_DEP_2) | instskip(NEXT) | instid1(VALU_DEP_2)
	v_and_b32_e32 v4, v10, v4
	v_and_b32_e32 v15, 0xff, v16
	s_delay_alu instid0(VALU_DEP_2) | instskip(SKIP_1) | instid1(VALU_DEP_2)
	v_and_b32_e32 v4, 0xff, v4
	v_lshl_add_u32 v16, v14, 3, v9
	v_cmp_le_u16_e64 s17, v15, v4
	ds_load_b64 v[4:5], v5 offset:2048
	ds_load_b64 v[14:15], v12 offset:2048
	v_lshl_add_u32 v12, v18, 3, v9
	ds_load_b64 v[16:17], v16 offset:2048
	s_and_b32 s16, s16, s17
	s_wait_alu 0xfffe
	s_or_b32 s16, s18, s16
	s_wait_alu 0xfffe
	v_cndmask_b32_e64 v11, v13, v22, s16
	v_lshl_add_u32 v13, v19, 3, v9
	v_lshl_add_u32 v22, v20, 3, v9
	v_cndmask_b32_e64 v38, v55, v10, s16
	s_delay_alu instid0(VALU_DEP_4)
	v_lshl_add_u32 v9, v11, 3, v9
	ds_load_b64 v[18:19], v12 offset:2048
	ds_load_b64 v[20:21], v13 offset:2048
	;; [unrolled: 1-line block ×5, first 2 shown]
.LBB1547_124:
	s_wait_alu 0xfffe
	s_or_b32 exec_lo, exec_lo, s20
	; wave barrier
	s_wait_storecnt_dscnt 0x0
	s_barrier_signal -1
	s_barrier_wait -1
	global_inv scope:SCOPE_SE
                                        ; implicit-def: $vgpr34
                                        ; implicit-def: $vgpr26
                                        ; implicit-def: $vgpr27
                                        ; implicit-def: $vgpr9
.LBB1547_125:
	s_wait_alu 0xfffe
	s_and_not1_saveexec_b32 s17, s19
	s_cbranch_execz .LBB1547_225
; %bb.126:
	s_load_b64 s[10:11], s[8:9], 0x0
	s_and_b32 s7, ttmp7, 0xffff
	s_mov_b32 s13, 0
	s_wait_kmcnt 0x0
	s_wait_alu 0xfffe
	s_cmp_lt_u32 s7, s11
	s_cselect_b32 s12, 14, 20
	s_cmp_lt_u32 ttmp9, s10
	s_wait_alu 0xfffe
	s_add_nc_u64 s[14:15], s[8:9], s[12:13]
	s_cselect_b32 s12, 12, 18
	s_load_u16 s7, s[14:15], 0x0
	s_add_nc_u64 s[8:9], s[8:9], s[12:13]
	s_load_u16 s8, s[8:9], 0x0
	s_wait_kmcnt 0x0
	v_mad_u32_u24 v10, v27, s7, v26
	s_delay_alu instid0(VALU_DEP_1) | instskip(SKIP_1) | instid1(VALU_DEP_1)
	v_mul_lo_u32 v10, v10, s8
	s_mov_b32 s8, exec_lo
	v_add_lshl_u32 v51, v10, v9, 3
	s_delay_alu instid0(VALU_DEP_1)
	v_cmpx_gt_u32_e32 0x800, v51
	s_cbranch_execz .LBB1547_184
; %bb.127:
	s_wait_loadcnt_dscnt 0x0
	v_dual_mov_b32 v27, v15 :: v_dual_and_b32 v10, 0xff, v36
	v_dual_mov_b32 v26, v14 :: v_dual_and_b32 v9, 0xff, v35
	s_mov_b32 s9, exec_lo
	s_delay_alu instid0(VALU_DEP_1)
	v_cmpx_gt_u16_e64 v10, v9
; %bb.128:
	v_dual_mov_b32 v35, 1 :: v_dual_mov_b32 v36, 0
	v_dual_mov_b32 v27, v5 :: v_dual_mov_b32 v26, v4
	;; [unrolled: 1-line block ×3, first 2 shown]
; %bb.129:
	s_wait_alu 0xfffe
	s_or_b32 exec_lo, exec_lo, s9
	v_dual_mov_b32 v29, v19 :: v_dual_and_b32 v10, 0xff, v48
	v_dual_mov_b32 v28, v18 :: v_dual_and_b32 v9, 0xff, v37
	s_mov_b32 s9, exec_lo
	s_delay_alu instid0(VALU_DEP_1)
	v_cmpx_gt_u16_e64 v10, v9
; %bb.130:
	v_dual_mov_b32 v37, 1 :: v_dual_mov_b32 v48, 0
	v_dual_mov_b32 v29, v17 :: v_dual_mov_b32 v28, v16
	;; [unrolled: 1-line block ×3, first 2 shown]
; %bb.131:
	s_wait_alu 0xfffe
	s_or_b32 exec_lo, exec_lo, s9
	v_dual_mov_b32 v14, v24 :: v_dual_and_b32 v9, 0xff, v49
	v_dual_mov_b32 v15, v25 :: v_dual_and_b32 v10, 0xff, v39
	s_mov_b32 s9, exec_lo
	s_delay_alu instid0(VALU_DEP_1)
	v_cmpx_gt_u16_e64 v10, v9
; %bb.132:
	v_dual_mov_b32 v39, 0 :: v_dual_mov_b32 v14, v20
	v_mov_b32_e32 v49, 1
	v_dual_mov_b32 v15, v21 :: v_dual_mov_b32 v20, v24
	v_mov_b32_e32 v21, v25
; %bb.133:
	s_wait_alu 0xfffe
	s_or_b32 exec_lo, exec_lo, s9
	v_and_b32_e32 v9, 0xff, v50
	v_and_b32_e32 v10, 0xff, v38
	s_delay_alu instid0(VALU_DEP_1)
	v_cmp_gt_u16_e64 s7, v10, v9
	v_dual_mov_b32 v9, v22 :: v_dual_mov_b32 v10, v23
	s_and_saveexec_b32 s9, s7
; %bb.134:
	v_dual_mov_b32 v38, 0 :: v_dual_mov_b32 v9, v12
	v_mov_b32_e32 v10, v13
	v_mov_b32_e32 v12, v22
	v_dual_mov_b32 v50, 1 :: v_dual_mov_b32 v13, v23
; %bb.135:
	s_wait_alu 0xfffe
	s_or_b32 exec_lo, exec_lo, s9
	v_and_b32_e32 v11, 0xff, v36
	v_dual_mov_b32 v23, v17 :: v_dual_and_b32 v18, 0xff, v37
	v_mov_b32_e32 v22, v16
	s_delay_alu instid0(VALU_DEP_2)
	v_cmp_gt_u16_e64 s7, v18, v11
	s_and_saveexec_b32 s9, s7
	s_wait_alu 0xfffe
	s_xor_b32 s7, exec_lo, s9
; %bb.136:
	v_dual_mov_b32 v36, 1 :: v_dual_mov_b32 v37, 0
	v_dual_mov_b32 v22, v26 :: v_dual_mov_b32 v23, v27
	;; [unrolled: 1-line block ×3, first 2 shown]
; %bb.137:
	s_wait_alu 0xfffe
	s_or_b32 exec_lo, exec_lo, s7
	v_dual_mov_b32 v25, v21 :: v_dual_and_b32 v16, 0xff, v49
	v_dual_mov_b32 v24, v20 :: v_dual_and_b32 v11, 0xff, v48
	s_mov_b32 s9, exec_lo
	s_delay_alu instid0(VALU_DEP_1)
	v_cmpx_gt_u16_e64 v16, v11
; %bb.138:
	v_dual_mov_b32 v49, 0 :: v_dual_mov_b32 v48, 1
	v_dual_mov_b32 v24, v28 :: v_dual_mov_b32 v25, v29
	;; [unrolled: 1-line block ×3, first 2 shown]
; %bb.139:
	s_wait_alu 0xfffe
	s_or_b32 exec_lo, exec_lo, s9
	v_and_b32_e32 v11, 0xff, v39
	v_and_b32_e32 v16, 0xff, v50
	s_delay_alu instid0(VALU_DEP_1)
	v_cmp_gt_u16_e64 s7, v16, v11
	v_dual_mov_b32 v17, v13 :: v_dual_mov_b32 v16, v12
	s_and_saveexec_b32 s9, s7
; %bb.140:
	v_dual_mov_b32 v50, 0 :: v_dual_mov_b32 v39, 1
	v_dual_mov_b32 v17, v15 :: v_dual_mov_b32 v16, v14
	v_dual_mov_b32 v15, v13 :: v_dual_mov_b32 v14, v12
; %bb.141:
	s_wait_alu 0xfffe
	s_or_b32 exec_lo, exec_lo, s9
	v_dual_mov_b32 v31, v27 :: v_dual_and_b32 v12, 0xff, v36
	v_dual_mov_b32 v30, v26 :: v_dual_and_b32 v11, 0xff, v35
	s_mov_b32 s9, exec_lo
	s_delay_alu instid0(VALU_DEP_1)
	v_cmpx_gt_u16_e64 v12, v11
; %bb.142:
	v_dual_mov_b32 v35, 1 :: v_dual_mov_b32 v36, 0
	v_dual_mov_b32 v31, v5 :: v_dual_mov_b32 v30, v4
	v_dual_mov_b32 v4, v26 :: v_dual_mov_b32 v5, v27
; %bb.143:
	s_wait_alu 0xfffe
	s_or_b32 exec_lo, exec_lo, s9
	v_dual_mov_b32 v26, v28 :: v_dual_and_b32 v11, 0xff, v37
	v_dual_mov_b32 v27, v29 :: v_dual_and_b32 v12, 0xff, v48
	s_mov_b32 s9, exec_lo
	s_delay_alu instid0(VALU_DEP_1)
	v_cmpx_gt_u16_e64 v12, v11
	;; [unrolled: 12-line block ×3, first 2 shown]
; %bb.146:
	v_dual_mov_b32 v39, 0 :: v_dual_mov_b32 v18, v24
	v_mov_b32_e32 v19, v25
	v_mov_b32_e32 v25, v15
	v_dual_mov_b32 v49, 1 :: v_dual_mov_b32 v24, v14
; %bb.147:
	s_wait_alu 0xfffe
	s_or_b32 exec_lo, exec_lo, s9
	v_and_b32_e32 v11, 0xff, v50
	v_and_b32_e32 v12, 0xff, v38
	s_delay_alu instid0(VALU_DEP_1)
	v_cmp_gt_u16_e64 s7, v12, v11
	v_dual_mov_b32 v12, v10 :: v_dual_mov_b32 v11, v9
	s_and_saveexec_b32 s9, s7
; %bb.148:
	v_dual_mov_b32 v38, 0 :: v_dual_mov_b32 v11, v16
	v_mov_b32_e32 v50, 1
	v_dual_mov_b32 v12, v17 :: v_dual_mov_b32 v17, v10
	v_mov_b32_e32 v16, v9
; %bb.149:
	s_wait_alu 0xfffe
	s_or_b32 exec_lo, exec_lo, s9
	v_dual_mov_b32 v29, v23 :: v_dual_and_b32 v10, 0xff, v37
	v_dual_mov_b32 v28, v22 :: v_dual_and_b32 v9, 0xff, v36
	s_mov_b32 s9, exec_lo
	s_delay_alu instid0(VALU_DEP_1)
	v_cmpx_gt_u16_e64 v10, v9
; %bb.150:
	v_dual_mov_b32 v36, 1 :: v_dual_mov_b32 v37, 0
	v_dual_mov_b32 v28, v30 :: v_dual_mov_b32 v29, v31
	v_dual_mov_b32 v31, v23 :: v_dual_mov_b32 v30, v22
; %bb.151:
	s_wait_alu 0xfffe
	s_or_b32 exec_lo, exec_lo, s9
	v_dual_mov_b32 v20, v24 :: v_dual_and_b32 v9, 0xff, v48
	v_dual_mov_b32 v21, v25 :: v_dual_and_b32 v10, 0xff, v49
	s_mov_b32 s9, exec_lo
	s_delay_alu instid0(VALU_DEP_1)
	v_cmpx_gt_u16_e64 v10, v9
; %bb.152:
	v_dual_mov_b32 v49, 0 :: v_dual_mov_b32 v48, 1
	v_dual_mov_b32 v20, v26 :: v_dual_mov_b32 v21, v27
	v_dual_mov_b32 v27, v25 :: v_dual_mov_b32 v26, v24
	;; [unrolled: 12-line block ×5, first 2 shown]
; %bb.159:
	s_wait_alu 0xfffe
	s_or_b32 exec_lo, exec_lo, s9
	v_dual_mov_b32 v16, v18 :: v_dual_and_b32 v9, 0xff, v49
	v_dual_mov_b32 v17, v19 :: v_dual_and_b32 v10, 0xff, v39
	s_mov_b32 s9, exec_lo
	s_delay_alu instid0(VALU_DEP_1)
	v_cmpx_gt_u16_e64 v10, v9
; %bb.160:
	v_dual_mov_b32 v39, 0 :: v_dual_mov_b32 v16, v20
	v_mov_b32_e32 v17, v21
	v_mov_b32_e32 v21, v19
	v_dual_mov_b32 v49, 1 :: v_dual_mov_b32 v20, v18
; %bb.161:
	s_wait_alu 0xfffe
	s_or_b32 exec_lo, exec_lo, s9
	v_and_b32_e32 v9, 0xff, v50
	v_and_b32_e32 v10, 0xff, v38
	s_delay_alu instid0(VALU_DEP_1)
	v_cmp_gt_u16_e64 s7, v10, v9
	v_dual_mov_b32 v9, v11 :: v_dual_mov_b32 v10, v12
	s_and_saveexec_b32 s9, s7
; %bb.162:
	v_dual_mov_b32 v38, 0 :: v_dual_mov_b32 v9, v14
	v_mov_b32_e32 v50, 1
	v_dual_mov_b32 v10, v15 :: v_dual_mov_b32 v15, v12
	v_mov_b32_e32 v14, v11
; %bb.163:
	s_wait_alu 0xfffe
	s_or_b32 exec_lo, exec_lo, s9
	v_dual_mov_b32 v26, v28 :: v_dual_and_b32 v11, 0xff, v36
	v_dual_mov_b32 v27, v29 :: v_dual_and_b32 v12, 0xff, v37
	s_mov_b32 s9, exec_lo
	s_delay_alu instid0(VALU_DEP_1)
	v_cmpx_gt_u16_e64 v12, v11
; %bb.164:
	v_dual_mov_b32 v36, 1 :: v_dual_mov_b32 v37, 0
	v_dual_mov_b32 v27, v23 :: v_dual_mov_b32 v26, v22
	;; [unrolled: 1-line block ×3, first 2 shown]
; %bb.165:
	s_wait_alu 0xfffe
	s_or_b32 exec_lo, exec_lo, s9
	v_dual_mov_b32 v25, v21 :: v_dual_and_b32 v12, 0xff, v49
	v_dual_mov_b32 v24, v20 :: v_dual_and_b32 v11, 0xff, v48
	s_mov_b32 s9, exec_lo
	s_delay_alu instid0(VALU_DEP_1)
	v_cmpx_gt_u16_e64 v12, v11
; %bb.166:
	v_dual_mov_b32 v49, 0 :: v_dual_mov_b32 v48, 1
	v_dual_mov_b32 v24, v30 :: v_dual_mov_b32 v25, v31
	v_dual_mov_b32 v31, v21 :: v_dual_mov_b32 v30, v20
; %bb.167:
	s_wait_alu 0xfffe
	s_or_b32 exec_lo, exec_lo, s9
	v_and_b32_e32 v11, 0xff, v39
	v_and_b32_e32 v12, 0xff, v50
	s_delay_alu instid0(VALU_DEP_1)
	v_cmp_gt_u16_e64 s7, v12, v11
	v_dual_mov_b32 v12, v14 :: v_dual_mov_b32 v13, v15
	s_and_saveexec_b32 s9, s7
; %bb.168:
	v_dual_mov_b32 v50, 0 :: v_dual_mov_b32 v39, 1
	v_dual_mov_b32 v12, v16 :: v_dual_mov_b32 v13, v17
	v_dual_mov_b32 v17, v15 :: v_dual_mov_b32 v16, v14
; %bb.169:
	s_wait_alu 0xfffe
	s_or_b32 exec_lo, exec_lo, s9
	v_and_b32_e32 v11, 0xff, v35
	v_and_b32_e32 v14, 0xff, v36
	s_delay_alu instid0(VALU_DEP_1)
	v_cmp_gt_u16_e64 s7, v14, v11
	v_dual_mov_b32 v14, v22 :: v_dual_mov_b32 v15, v23
	s_and_saveexec_b32 s9, s7
	;; [unrolled: 13-line block ×3, first 2 shown]
; %bb.172:
	v_dual_mov_b32 v37, 1 :: v_dual_mov_b32 v48, 0
	v_dual_mov_b32 v18, v26 :: v_dual_mov_b32 v19, v27
	v_dual_mov_b32 v26, v30 :: v_dual_mov_b32 v27, v31
; %bb.173:
	s_wait_alu 0xfffe
	s_or_b32 exec_lo, exec_lo, s9
	v_dual_mov_b32 v29, v17 :: v_dual_and_b32 v20, 0xff, v39
	v_dual_mov_b32 v28, v16 :: v_dual_and_b32 v11, 0xff, v49
	s_mov_b32 s9, exec_lo
	s_delay_alu instid0(VALU_DEP_1)
	v_cmpx_gt_u16_e64 v20, v11
; %bb.174:
	v_mov_b32_e32 v29, v25
	v_dual_mov_b32 v39, 0 :: v_dual_mov_b32 v28, v24
	v_mov_b32_e32 v25, v17
	v_dual_mov_b32 v49, 1 :: v_dual_mov_b32 v24, v16
; %bb.175:
	s_wait_alu 0xfffe
	s_or_b32 exec_lo, exec_lo, s9
	v_dual_mov_b32 v23, v10 :: v_dual_and_b32 v16, 0xff, v38
	v_dual_mov_b32 v22, v9 :: v_dual_and_b32 v11, 0xff, v50
	s_mov_b32 s9, exec_lo
	s_delay_alu instid0(VALU_DEP_1)
	v_cmpx_gt_u16_e64 v16, v11
; %bb.176:
	v_dual_mov_b32 v38, 0 :: v_dual_mov_b32 v23, v13
	v_mov_b32_e32 v50, 1
	v_dual_mov_b32 v22, v12 :: v_dual_mov_b32 v13, v10
	v_mov_b32_e32 v12, v9
; %bb.177:
	s_wait_alu 0xfffe
	s_or_b32 exec_lo, exec_lo, s9
	v_dual_mov_b32 v16, v26 :: v_dual_and_b32 v9, 0xff, v36
	v_dual_mov_b32 v17, v27 :: v_dual_and_b32 v10, 0xff, v37
	s_mov_b32 s9, exec_lo
	s_delay_alu instid0(VALU_DEP_1)
	v_cmpx_gt_u16_e64 v10, v9
; %bb.178:
	v_dual_mov_b32 v36, 1 :: v_dual_mov_b32 v37, 0
	v_dual_mov_b32 v17, v15 :: v_dual_mov_b32 v16, v14
	v_dual_mov_b32 v14, v26 :: v_dual_mov_b32 v15, v27
; %bb.179:
	s_wait_alu 0xfffe
	s_or_b32 exec_lo, exec_lo, s9
	v_dual_mov_b32 v20, v24 :: v_dual_and_b32 v9, 0xff, v48
	v_dual_mov_b32 v21, v25 :: v_dual_and_b32 v10, 0xff, v49
	s_mov_b32 s9, exec_lo
	s_delay_alu instid0(VALU_DEP_1)
	v_cmpx_gt_u16_e64 v10, v9
; %bb.180:
	v_dual_mov_b32 v49, 0 :: v_dual_mov_b32 v48, 1
	v_dual_mov_b32 v21, v19 :: v_dual_mov_b32 v20, v18
	v_dual_mov_b32 v18, v24 :: v_dual_mov_b32 v19, v25
	;; [unrolled: 12-line block ×3, first 2 shown]
; %bb.183:
	s_wait_alu 0xfffe
	s_or_b32 exec_lo, exec_lo, s9
.LBB1547_184:
	s_wait_alu 0xfffe
	s_or_b32 exec_lo, exec_lo, s8
	v_and_b32_e32 v9, 0xffffff00, v51
	v_or_b32_e32 v10, 8, v34
	v_and_b32_e32 v51, 0xf0, v34
	v_and_b32_e32 v52, 8, v34
	s_wait_loadcnt_dscnt 0x0
	v_perm_b32 v26, v49, v39, 0xc0c0004
	v_sub_nc_u32_e64 v11, 0x800, v9 clamp
	v_perm_b32 v27, v50, v38, 0xc0c0004
	v_perm_b32 v28, v35, v36, 0xc0c0004
	;; [unrolled: 1-line block ×3, first 2 shown]
	v_or_b32_e32 v55, v9, v34
	v_min_u32_e32 v30, v11, v10
	v_lshlrev_b32_e32 v10, 3, v9
	v_min_u32_e32 v52, v11, v52
	v_lshl_or_b32 v65, v27, 16, v26
	v_lshl_or_b32 v64, v29, 16, v28
	v_add_nc_u32_e32 v31, 8, v30
	v_lshl_or_b32 v66, v34, 3, v10
	v_sub_nc_u32_e32 v53, v30, v51
	s_mov_b32 s8, exec_lo
	s_delay_alu instid0(VALU_DEP_3) | instskip(NEXT) | instid1(VALU_DEP_3)
	v_min_u32_e32 v31, v11, v31
	v_add_nc_u32_e32 v27, 0x810, v66
	v_add_nc_u32_e32 v26, 0x820, v66
	v_min_u32_e32 v54, v52, v53
	v_add_nc_u32_e32 v29, 0x800, v66
	v_sub_nc_u32_e32 v67, v31, v30
	v_add_nc_u32_e32 v28, 0x830, v66
	ds_store_2addr_b64 v27, v[16:17], v[18:19] offset1:1
	ds_store_2addr_b64 v26, v[20:21], v[24:25] offset1:1
	;; [unrolled: 1-line block ×3, first 2 shown]
	ds_store_b64 v55, v[64:65]
	ds_store_2addr_b64 v28, v[12:13], v[22:23] offset1:1
	; wave barrier
	v_sub_nc_u32_e64 v53, v52, v67 clamp
	s_delay_alu instid0(VALU_DEP_1)
	v_cmpx_lt_u32_e64 v53, v54
	s_cbranch_execz .LBB1547_188
; %bb.185:
	v_add_nc_u32_e32 v55, v9, v51
	v_add3_u32 v64, v9, v30, v52
	s_mov_b32 s9, 0
.LBB1547_186:                           ; =>This Inner Loop Header: Depth=1
	v_add_nc_u32_e32 v65, v54, v53
	s_delay_alu instid0(VALU_DEP_1) | instskip(NEXT) | instid1(VALU_DEP_1)
	v_lshrrev_b32_e32 v65, 1, v65
	v_add_nc_u32_e32 v66, v55, v65
	v_xad_u32 v67, v65, -1, v64
	v_add_nc_u32_e32 v68, 1, v65
	ds_load_u8 v66, v66
	ds_load_u8 v67, v67
	s_wait_dscnt 0x0
	v_cmp_gt_u16_e64 s7, v67, v66
	s_wait_alu 0xf1ff
	s_delay_alu instid0(VALU_DEP_1) | instskip(SKIP_1) | instid1(VALU_DEP_1)
	v_cndmask_b32_e64 v54, v54, v65, s7
	v_cndmask_b32_e64 v53, v68, v53, s7
	v_cmp_ge_u32_e64 s7, v53, v54
	s_wait_alu 0xfffe
	s_or_b32 s9, s7, s9
	s_wait_alu 0xfffe
	s_and_not1_b32 exec_lo, exec_lo, s9
	s_cbranch_execnz .LBB1547_186
; %bb.187:
	s_or_b32 exec_lo, exec_lo, s9
.LBB1547_188:
	s_wait_alu 0xfffe
	s_or_b32 exec_lo, exec_lo, s8
	v_add_nc_u32_e32 v54, v30, v52
	v_add_nc_u32_e32 v52, v53, v51
	s_delay_alu instid0(VALU_DEP_2) | instskip(NEXT) | instid1(VALU_DEP_2)
	v_sub_nc_u32_e32 v51, v54, v53
	v_cmp_le_u32_e64 s7, v52, v30
	s_delay_alu instid0(VALU_DEP_2)
	v_cmp_le_u32_e64 s8, v51, v31
	s_or_b32 s7, s7, s8
	s_wait_alu 0xfffe
	s_and_saveexec_b32 s18, s7
	s_cbranch_execz .LBB1547_194
; %bb.189:
	v_cmp_lt_u32_e64 s7, v52, v30
                                        ; implicit-def: $vgpr35
	s_and_saveexec_b32 s8, s7
; %bb.190:
	v_add_nc_u32_e32 v4, v9, v52
	ds_load_u8 v35, v4
; %bb.191:
	s_wait_alu 0xfffe
	s_or_b32 exec_lo, exec_lo, s8
	v_cmp_ge_u32_e64 s8, v51, v31
	s_mov_b32 s10, exec_lo
                                        ; implicit-def: $vgpr36
	v_cmpx_lt_u32_e64 v51, v31
; %bb.192:
	v_add_nc_u32_e32 v4, v9, v51
	ds_load_u8 v36, v4
; %bb.193:
	s_wait_alu 0xfffe
	s_or_b32 exec_lo, exec_lo, s10
	s_wait_dscnt 0x0
	v_and_b32_e32 v4, 0xff, v35
	v_and_b32_e32 v5, 0xff, v36
	s_delay_alu instid0(VALU_DEP_1)
	v_cmp_le_u16_e64 s9, v5, v4
	s_and_b32 s7, s7, s9
	s_wait_alu 0xfffe
	s_or_b32 s7, s8, s7
	s_wait_alu 0xfffe
	v_cndmask_b32_e64 v4, v51, v52, s7
	v_cndmask_b32_e64 v5, v31, v30, s7
	s_delay_alu instid0(VALU_DEP_2) | instskip(NEXT) | instid1(VALU_DEP_2)
	v_add_nc_u32_e32 v12, 1, v4
	v_add_nc_u32_e32 v5, -1, v5
	v_lshl_add_u32 v4, v4, 3, v10
	s_delay_alu instid0(VALU_DEP_2) | instskip(NEXT) | instid1(VALU_DEP_1)
	v_min_u32_e32 v5, v12, v5
	v_add_nc_u32_e32 v5, v9, v5
	ds_load_u8 v5, v5
	s_wait_dscnt 0x0
	v_cndmask_b32_e64 v37, v5, v36, s7
	v_cndmask_b32_e64 v38, v35, v5, s7
	;; [unrolled: 1-line block ×5, first 2 shown]
	v_and_b32_e32 v13, 0xff, v37
	v_and_b32_e32 v14, 0xff, v38
	v_cmp_lt_u32_e64 s8, v5, v30
	v_cmp_ge_u32_e64 s10, v12, v31
	s_delay_alu instid0(VALU_DEP_3)
	v_cmp_le_u16_e64 s9, v13, v14
	s_and_b32 s8, s8, s9
	s_wait_alu 0xfffe
	s_or_b32 s8, s10, s8
	s_wait_alu 0xfffe
	v_cndmask_b32_e64 v13, v12, v5, s8
	v_cndmask_b32_e64 v14, v31, v30, s8
	;; [unrolled: 1-line block ×3, first 2 shown]
	s_delay_alu instid0(VALU_DEP_3) | instskip(NEXT) | instid1(VALU_DEP_3)
	v_add_nc_u32_e32 v15, 1, v13
	v_add_nc_u32_e32 v14, -1, v14
	v_lshl_add_u32 v13, v13, 3, v10
	s_delay_alu instid0(VALU_DEP_3) | instskip(NEXT) | instid1(VALU_DEP_3)
	v_cndmask_b32_e64 v5, v5, v15, s8
	v_min_u32_e32 v14, v15, v14
	v_cndmask_b32_e64 v12, v15, v12, s8
	s_delay_alu instid0(VALU_DEP_3) | instskip(NEXT) | instid1(VALU_DEP_3)
	v_cmp_lt_u32_e64 s9, v5, v30
	v_add_nc_u32_e32 v14, v9, v14
	s_delay_alu instid0(VALU_DEP_3) | instskip(SKIP_4) | instid1(VALU_DEP_2)
	v_cmp_ge_u32_e64 s11, v12, v31
	ds_load_u8 v14, v14
	s_wait_dscnt 0x0
	v_cndmask_b32_e64 v39, v14, v37, s8
	v_cndmask_b32_e64 v48, v38, v14, s8
	v_and_b32_e32 v14, 0xff, v39
	s_delay_alu instid0(VALU_DEP_2) | instskip(NEXT) | instid1(VALU_DEP_1)
	v_and_b32_e32 v16, 0xff, v48
	v_cmp_le_u16_e64 s10, v14, v16
	s_and_b32 s9, s9, s10
	s_wait_alu 0xfffe
	s_or_b32 s9, s11, s9
	s_wait_alu 0xfffe
	v_cndmask_b32_e64 v14, v12, v5, s9
	v_cndmask_b32_e64 v15, v31, v30, s9
	v_cndmask_b32_e64 v37, v39, v48, s9
	s_delay_alu instid0(VALU_DEP_3) | instskip(NEXT) | instid1(VALU_DEP_3)
	v_add_nc_u32_e32 v16, 1, v14
	v_add_nc_u32_e32 v15, -1, v15
	s_delay_alu instid0(VALU_DEP_2) | instskip(NEXT) | instid1(VALU_DEP_2)
	v_cndmask_b32_e64 v5, v5, v16, s9
	v_min_u32_e32 v15, v16, v15
	v_cndmask_b32_e64 v12, v16, v12, s9
	s_delay_alu instid0(VALU_DEP_3) | instskip(NEXT) | instid1(VALU_DEP_3)
	v_cmp_lt_u32_e64 s10, v5, v30
	v_add_nc_u32_e32 v15, v9, v15
	s_delay_alu instid0(VALU_DEP_3) | instskip(SKIP_4) | instid1(VALU_DEP_2)
	v_cmp_ge_u32_e64 s12, v12, v31
	ds_load_u8 v15, v15
	s_wait_dscnt 0x0
	v_cndmask_b32_e64 v49, v15, v39, s9
	v_cndmask_b32_e64 v50, v48, v15, s9
	v_and_b32_e32 v15, 0xff, v49
	s_delay_alu instid0(VALU_DEP_2) | instskip(NEXT) | instid1(VALU_DEP_1)
	v_and_b32_e32 v17, 0xff, v50
	v_cmp_le_u16_e64 s11, v15, v17
	s_and_b32 s10, s10, s11
	s_wait_alu 0xfffe
	s_or_b32 s10, s12, s10
	s_wait_alu 0xfffe
	v_cndmask_b32_e64 v18, v12, v5, s10
	v_cndmask_b32_e64 v15, v31, v30, s10
	v_cndmask_b32_e64 v48, v49, v50, s10
	s_delay_alu instid0(VALU_DEP_3) | instskip(NEXT) | instid1(VALU_DEP_3)
	v_add_nc_u32_e32 v16, 1, v18
	v_add_nc_u32_e32 v15, -1, v15
	s_delay_alu instid0(VALU_DEP_2) | instskip(NEXT) | instid1(VALU_DEP_2)
	;; [unrolled: 27-line block ×3, first 2 shown]
	v_cndmask_b32_e64 v5, v5, v16, s11
	v_min_u32_e32 v15, v16, v15
	v_cndmask_b32_e64 v12, v16, v12, s11
	s_delay_alu instid0(VALU_DEP_3) | instskip(NEXT) | instid1(VALU_DEP_3)
	v_cmp_lt_u32_e64 s12, v5, v30
	v_add_nc_u32_e32 v15, v9, v15
	s_delay_alu instid0(VALU_DEP_3) | instskip(SKIP_4) | instid1(VALU_DEP_2)
	v_cmp_ge_u32_e64 s14, v12, v31
	ds_load_u8 v15, v15
	s_wait_dscnt 0x0
	v_cndmask_b32_e64 v53, v15, v51, s11
	v_cndmask_b32_e64 v54, v52, v15, s11
	v_and_b32_e32 v15, 0xff, v53
	s_delay_alu instid0(VALU_DEP_2) | instskip(NEXT) | instid1(VALU_DEP_1)
	v_and_b32_e32 v17, 0xff, v54
	v_cmp_le_u16_e64 s13, v15, v17
	s_and_b32 s12, s12, s13
	s_wait_alu 0xfffe
	s_or_b32 s12, s14, s12
	s_wait_alu 0xfffe
	v_cndmask_b32_e64 v20, v12, v5, s12
	v_cndmask_b32_e64 v15, v31, v30, s12
	;; [unrolled: 1-line block ×3, first 2 shown]
	s_delay_alu instid0(VALU_DEP_3) | instskip(NEXT) | instid1(VALU_DEP_3)
	v_add_nc_u32_e32 v16, 1, v20
	v_add_nc_u32_e32 v15, -1, v15
	v_lshl_add_u32 v23, v20, 3, v10
	s_delay_alu instid0(VALU_DEP_3) | instskip(NEXT) | instid1(VALU_DEP_3)
	v_cndmask_b32_e64 v5, v5, v16, s12
	v_min_u32_e32 v15, v16, v15
	v_cndmask_b32_e64 v12, v16, v12, s12
	s_delay_alu instid0(VALU_DEP_3) | instskip(NEXT) | instid1(VALU_DEP_3)
	v_cmp_lt_u32_e64 s13, v5, v30
	v_add_nc_u32_e32 v15, v9, v15
	s_delay_alu instid0(VALU_DEP_3) | instskip(SKIP_4) | instid1(VALU_DEP_2)
	v_cmp_ge_u32_e64 s15, v12, v31
	ds_load_u8 v15, v15
	s_wait_dscnt 0x0
	v_cndmask_b32_e64 v55, v15, v53, s12
	v_cndmask_b32_e64 v64, v54, v15, s12
	v_and_b32_e32 v15, 0xff, v55
	s_delay_alu instid0(VALU_DEP_2) | instskip(NEXT) | instid1(VALU_DEP_1)
	v_and_b32_e32 v17, 0xff, v64
	v_cmp_le_u16_e64 s14, v15, v17
	s_and_b32 s13, s13, s14
	s_wait_alu 0xfffe
	s_or_b32 s13, s15, s13
	s_wait_alu 0xfffe
	v_cndmask_b32_e64 v21, v12, v5, s13
	v_cndmask_b32_e64 v15, v31, v30, s13
	;; [unrolled: 1-line block ×3, first 2 shown]
	s_delay_alu instid0(VALU_DEP_3) | instskip(NEXT) | instid1(VALU_DEP_3)
	v_add_nc_u32_e32 v16, 1, v21
	v_add_nc_u32_e32 v15, -1, v15
	s_delay_alu instid0(VALU_DEP_2) | instskip(NEXT) | instid1(VALU_DEP_2)
	v_cndmask_b32_e64 v22, v5, v16, s13
	v_min_u32_e32 v15, v16, v15
	v_cndmask_b32_e64 v12, v16, v12, s13
	v_lshl_add_u32 v16, v14, 3, v10
	s_delay_alu instid0(VALU_DEP_4) | instskip(NEXT) | instid1(VALU_DEP_4)
	v_cmp_lt_u32_e64 s14, v22, v30
	v_add_nc_u32_e32 v15, v9, v15
	s_delay_alu instid0(VALU_DEP_4)
	v_cmp_ge_u32_e64 s16, v12, v31
	v_lshl_add_u32 v30, v21, 3, v10
	ds_load_u8 v15, v15
	s_wait_dscnt 0x0
	v_cndmask_b32_e64 v65, v15, v55, s13
	v_cndmask_b32_e64 v66, v64, v15, s13
	s_delay_alu instid0(VALU_DEP_2) | instskip(NEXT) | instid1(VALU_DEP_2)
	v_and_b32_e32 v5, 0xff, v65
	v_and_b32_e32 v15, 0xff, v66
	s_delay_alu instid0(VALU_DEP_1)
	v_cmp_le_u16_e64 s15, v5, v15
	ds_load_b64 v[4:5], v4 offset:2048
	ds_load_b64 v[14:15], v13 offset:2048
	v_lshl_add_u32 v13, v18, 3, v10
	ds_load_b64 v[16:17], v16 offset:2048
	s_and_b32 s14, s14, s15
	s_wait_alu 0xfffe
	s_or_b32 s14, s16, s14
	s_wait_alu 0xfffe
	v_cndmask_b32_e64 v12, v12, v22, s14
	v_lshl_add_u32 v22, v19, 3, v10
	v_cndmask_b32_e64 v38, v65, v66, s14
	s_delay_alu instid0(VALU_DEP_3)
	v_lshl_add_u32 v31, v12, 3, v10
	ds_load_b64 v[18:19], v13 offset:2048
	ds_load_b64 v[20:21], v22 offset:2048
	;; [unrolled: 1-line block ×5, first 2 shown]
.LBB1547_194:
	s_wait_alu 0xfffe
	s_or_b32 exec_lo, exec_lo, s18
	v_and_b32_e32 v52, 0xe0, v34
	v_and_b32_e32 v53, 24, v34
	v_perm_b32 v54, v49, v39, 0xc0c0004
	v_perm_b32 v55, v50, v38, 0xc0c0004
	;; [unrolled: 1-line block ×3, first 2 shown]
	v_or_b32_e32 v30, 16, v52
	v_min_u32_e32 v53, v11, v53
	v_perm_b32 v66, v37, v48, 0xc0c0004
	v_lshl_or_b32 v65, v55, 16, v54
	s_mov_b32 s8, exec_lo
	v_min_u32_e32 v31, v11, v30
	s_delay_alu instid0(VALU_DEP_3) | instskip(NEXT) | instid1(VALU_DEP_2)
	v_lshl_or_b32 v64, v66, 16, v64
	; wave barrier
	v_add_nc_u32_e32 v30, 16, v31
	v_sub_nc_u32_e32 v68, v31, v52
	s_delay_alu instid0(VALU_DEP_2) | instskip(SKIP_1) | instid1(VALU_DEP_3)
	v_min_u32_e32 v51, v11, v30
	v_add_nc_u32_e32 v30, v9, v34
	v_min_u32_e32 v55, v53, v68
	s_wait_dscnt 0x6
	ds_store_2addr_b64 v29, v[4:5], v[14:15] offset1:1
	s_wait_dscnt 0x5
	ds_store_2addr_b64 v27, v[16:17], v[18:19] offset1:1
	ds_store_b64 v30, v[64:65]
	s_wait_dscnt 0x5
	ds_store_2addr_b64 v26, v[20:21], v[24:25] offset1:1
	s_wait_dscnt 0x4
	ds_store_2addr_b64 v28, v[12:13], v[22:23] offset1:1
	v_sub_nc_u32_e32 v67, v51, v31
	; wave barrier
	s_delay_alu instid0(VALU_DEP_1) | instskip(NEXT) | instid1(VALU_DEP_1)
	v_sub_nc_u32_e64 v54, v53, v67 clamp
	v_cmpx_lt_u32_e64 v54, v55
	s_cbranch_execz .LBB1547_198
; %bb.195:
	v_add_nc_u32_e32 v64, v9, v52
	v_add3_u32 v65, v9, v31, v53
	s_mov_b32 s9, 0
.LBB1547_196:                           ; =>This Inner Loop Header: Depth=1
	v_add_nc_u32_e32 v66, v55, v54
	s_delay_alu instid0(VALU_DEP_1) | instskip(NEXT) | instid1(VALU_DEP_1)
	v_lshrrev_b32_e32 v66, 1, v66
	v_add_nc_u32_e32 v67, v64, v66
	v_xad_u32 v68, v66, -1, v65
	v_add_nc_u32_e32 v69, 1, v66
	ds_load_u8 v67, v67
	ds_load_u8 v68, v68
	s_wait_dscnt 0x0
	v_cmp_gt_u16_e64 s7, v68, v67
	s_wait_alu 0xf1ff
	s_delay_alu instid0(VALU_DEP_1) | instskip(SKIP_1) | instid1(VALU_DEP_1)
	v_cndmask_b32_e64 v55, v55, v66, s7
	v_cndmask_b32_e64 v54, v69, v54, s7
	v_cmp_ge_u32_e64 s7, v54, v55
	s_wait_alu 0xfffe
	s_or_b32 s9, s7, s9
	s_wait_alu 0xfffe
	s_and_not1_b32 exec_lo, exec_lo, s9
	s_cbranch_execnz .LBB1547_196
; %bb.197:
	s_or_b32 exec_lo, exec_lo, s9
.LBB1547_198:
	s_wait_alu 0xfffe
	s_or_b32 exec_lo, exec_lo, s8
	v_add_nc_u32_e32 v55, v31, v53
	v_add_nc_u32_e32 v53, v54, v52
	s_delay_alu instid0(VALU_DEP_2) | instskip(NEXT) | instid1(VALU_DEP_2)
	v_sub_nc_u32_e32 v52, v55, v54
	v_cmp_le_u32_e64 s7, v53, v31
	s_delay_alu instid0(VALU_DEP_2)
	v_cmp_le_u32_e64 s8, v52, v51
	s_or_b32 s7, s7, s8
	s_wait_alu 0xfffe
	s_and_saveexec_b32 s18, s7
	s_cbranch_execz .LBB1547_204
; %bb.199:
	v_cmp_lt_u32_e64 s7, v53, v31
                                        ; implicit-def: $vgpr35
	s_and_saveexec_b32 s8, s7
; %bb.200:
	v_add_nc_u32_e32 v4, v9, v53
	ds_load_u8 v35, v4
; %bb.201:
	s_wait_alu 0xfffe
	s_or_b32 exec_lo, exec_lo, s8
	v_cmp_ge_u32_e64 s8, v52, v51
	s_mov_b32 s10, exec_lo
                                        ; implicit-def: $vgpr36
	v_cmpx_lt_u32_e64 v52, v51
; %bb.202:
	v_add_nc_u32_e32 v4, v9, v52
	ds_load_u8 v36, v4
; %bb.203:
	s_wait_alu 0xfffe
	s_or_b32 exec_lo, exec_lo, s10
	s_wait_dscnt 0x0
	v_and_b32_e32 v4, 0xff, v35
	v_and_b32_e32 v5, 0xff, v36
	s_delay_alu instid0(VALU_DEP_1)
	v_cmp_le_u16_e64 s9, v5, v4
	s_and_b32 s7, s7, s9
	s_wait_alu 0xfffe
	s_or_b32 s7, s8, s7
	s_wait_alu 0xfffe
	v_cndmask_b32_e64 v4, v52, v53, s7
	v_cndmask_b32_e64 v5, v51, v31, s7
	s_delay_alu instid0(VALU_DEP_2) | instskip(NEXT) | instid1(VALU_DEP_2)
	v_add_nc_u32_e32 v12, 1, v4
	v_add_nc_u32_e32 v5, -1, v5
	v_lshl_add_u32 v4, v4, 3, v10
	s_delay_alu instid0(VALU_DEP_2) | instskip(NEXT) | instid1(VALU_DEP_1)
	v_min_u32_e32 v5, v12, v5
	v_add_nc_u32_e32 v5, v9, v5
	ds_load_u8 v5, v5
	s_wait_dscnt 0x0
	v_cndmask_b32_e64 v37, v5, v36, s7
	v_cndmask_b32_e64 v38, v35, v5, s7
	;; [unrolled: 1-line block ×5, first 2 shown]
	v_and_b32_e32 v13, 0xff, v37
	v_and_b32_e32 v14, 0xff, v38
	v_cmp_lt_u32_e64 s8, v5, v31
	v_cmp_ge_u32_e64 s10, v12, v51
	s_delay_alu instid0(VALU_DEP_3)
	v_cmp_le_u16_e64 s9, v13, v14
	s_and_b32 s8, s8, s9
	s_wait_alu 0xfffe
	s_or_b32 s8, s10, s8
	s_wait_alu 0xfffe
	v_cndmask_b32_e64 v13, v12, v5, s8
	v_cndmask_b32_e64 v14, v51, v31, s8
	;; [unrolled: 1-line block ×3, first 2 shown]
	s_delay_alu instid0(VALU_DEP_3) | instskip(NEXT) | instid1(VALU_DEP_3)
	v_add_nc_u32_e32 v15, 1, v13
	v_add_nc_u32_e32 v14, -1, v14
	v_lshl_add_u32 v13, v13, 3, v10
	s_delay_alu instid0(VALU_DEP_3) | instskip(NEXT) | instid1(VALU_DEP_3)
	v_cndmask_b32_e64 v5, v5, v15, s8
	v_min_u32_e32 v14, v15, v14
	v_cndmask_b32_e64 v12, v15, v12, s8
	s_delay_alu instid0(VALU_DEP_3) | instskip(NEXT) | instid1(VALU_DEP_3)
	v_cmp_lt_u32_e64 s9, v5, v31
	v_add_nc_u32_e32 v14, v9, v14
	s_delay_alu instid0(VALU_DEP_3) | instskip(SKIP_4) | instid1(VALU_DEP_2)
	v_cmp_ge_u32_e64 s11, v12, v51
	ds_load_u8 v14, v14
	s_wait_dscnt 0x0
	v_cndmask_b32_e64 v39, v14, v37, s8
	v_cndmask_b32_e64 v48, v38, v14, s8
	v_and_b32_e32 v14, 0xff, v39
	s_delay_alu instid0(VALU_DEP_2) | instskip(NEXT) | instid1(VALU_DEP_1)
	v_and_b32_e32 v16, 0xff, v48
	v_cmp_le_u16_e64 s10, v14, v16
	s_and_b32 s9, s9, s10
	s_wait_alu 0xfffe
	s_or_b32 s9, s11, s9
	s_wait_alu 0xfffe
	v_cndmask_b32_e64 v14, v12, v5, s9
	v_cndmask_b32_e64 v15, v51, v31, s9
	v_cndmask_b32_e64 v37, v39, v48, s9
	s_delay_alu instid0(VALU_DEP_3) | instskip(NEXT) | instid1(VALU_DEP_3)
	v_add_nc_u32_e32 v16, 1, v14
	v_add_nc_u32_e32 v15, -1, v15
	s_delay_alu instid0(VALU_DEP_2) | instskip(NEXT) | instid1(VALU_DEP_2)
	v_cndmask_b32_e64 v5, v5, v16, s9
	v_min_u32_e32 v15, v16, v15
	v_cndmask_b32_e64 v12, v16, v12, s9
	s_delay_alu instid0(VALU_DEP_3) | instskip(NEXT) | instid1(VALU_DEP_3)
	v_cmp_lt_u32_e64 s10, v5, v31
	v_add_nc_u32_e32 v15, v9, v15
	s_delay_alu instid0(VALU_DEP_3) | instskip(SKIP_4) | instid1(VALU_DEP_2)
	v_cmp_ge_u32_e64 s12, v12, v51
	ds_load_u8 v15, v15
	s_wait_dscnt 0x0
	v_cndmask_b32_e64 v49, v15, v39, s9
	v_cndmask_b32_e64 v50, v48, v15, s9
	v_and_b32_e32 v15, 0xff, v49
	s_delay_alu instid0(VALU_DEP_2) | instskip(NEXT) | instid1(VALU_DEP_1)
	v_and_b32_e32 v17, 0xff, v50
	v_cmp_le_u16_e64 s11, v15, v17
	s_and_b32 s10, s10, s11
	s_wait_alu 0xfffe
	s_or_b32 s10, s12, s10
	s_wait_alu 0xfffe
	v_cndmask_b32_e64 v18, v12, v5, s10
	v_cndmask_b32_e64 v15, v51, v31, s10
	v_cndmask_b32_e64 v48, v49, v50, s10
	s_delay_alu instid0(VALU_DEP_3) | instskip(NEXT) | instid1(VALU_DEP_3)
	v_add_nc_u32_e32 v16, 1, v18
	v_add_nc_u32_e32 v15, -1, v15
	s_delay_alu instid0(VALU_DEP_2) | instskip(NEXT) | instid1(VALU_DEP_2)
	;; [unrolled: 27-line block ×3, first 2 shown]
	v_cndmask_b32_e64 v5, v5, v16, s11
	v_min_u32_e32 v15, v16, v15
	v_cndmask_b32_e64 v12, v16, v12, s11
	s_delay_alu instid0(VALU_DEP_3) | instskip(NEXT) | instid1(VALU_DEP_3)
	v_cmp_lt_u32_e64 s12, v5, v31
	v_add_nc_u32_e32 v15, v9, v15
	s_delay_alu instid0(VALU_DEP_3) | instskip(SKIP_4) | instid1(VALU_DEP_2)
	v_cmp_ge_u32_e64 s14, v12, v51
	ds_load_u8 v15, v15
	s_wait_dscnt 0x0
	v_cndmask_b32_e64 v54, v15, v52, s11
	v_cndmask_b32_e64 v55, v53, v15, s11
	v_and_b32_e32 v15, 0xff, v54
	s_delay_alu instid0(VALU_DEP_2) | instskip(NEXT) | instid1(VALU_DEP_1)
	v_and_b32_e32 v17, 0xff, v55
	v_cmp_le_u16_e64 s13, v15, v17
	s_and_b32 s12, s12, s13
	s_wait_alu 0xfffe
	s_or_b32 s12, s14, s12
	s_wait_alu 0xfffe
	v_cndmask_b32_e64 v20, v12, v5, s12
	v_cndmask_b32_e64 v15, v51, v31, s12
	;; [unrolled: 1-line block ×3, first 2 shown]
	s_delay_alu instid0(VALU_DEP_3) | instskip(NEXT) | instid1(VALU_DEP_3)
	v_add_nc_u32_e32 v16, 1, v20
	v_add_nc_u32_e32 v15, -1, v15
	v_lshl_add_u32 v23, v20, 3, v10
	s_delay_alu instid0(VALU_DEP_3) | instskip(NEXT) | instid1(VALU_DEP_3)
	v_cndmask_b32_e64 v5, v5, v16, s12
	v_min_u32_e32 v15, v16, v15
	v_cndmask_b32_e64 v12, v16, v12, s12
	s_delay_alu instid0(VALU_DEP_3) | instskip(NEXT) | instid1(VALU_DEP_3)
	v_cmp_lt_u32_e64 s13, v5, v31
	v_add_nc_u32_e32 v15, v9, v15
	s_delay_alu instid0(VALU_DEP_3) | instskip(SKIP_4) | instid1(VALU_DEP_2)
	v_cmp_ge_u32_e64 s15, v12, v51
	ds_load_u8 v15, v15
	s_wait_dscnt 0x0
	v_cndmask_b32_e64 v64, v15, v54, s12
	v_cndmask_b32_e64 v65, v55, v15, s12
	v_and_b32_e32 v15, 0xff, v64
	s_delay_alu instid0(VALU_DEP_2) | instskip(NEXT) | instid1(VALU_DEP_1)
	v_and_b32_e32 v17, 0xff, v65
	v_cmp_le_u16_e64 s14, v15, v17
	s_and_b32 s13, s13, s14
	s_wait_alu 0xfffe
	s_or_b32 s13, s15, s13
	s_wait_alu 0xfffe
	v_cndmask_b32_e64 v21, v12, v5, s13
	v_cndmask_b32_e64 v15, v51, v31, s13
	;; [unrolled: 1-line block ×3, first 2 shown]
	s_delay_alu instid0(VALU_DEP_3) | instskip(NEXT) | instid1(VALU_DEP_3)
	v_add_nc_u32_e32 v16, 1, v21
	v_add_nc_u32_e32 v15, -1, v15
	s_delay_alu instid0(VALU_DEP_2) | instskip(NEXT) | instid1(VALU_DEP_2)
	v_cndmask_b32_e64 v22, v5, v16, s13
	v_min_u32_e32 v15, v16, v15
	v_cndmask_b32_e64 v12, v16, v12, s13
	v_lshl_add_u32 v16, v14, 3, v10
	s_delay_alu instid0(VALU_DEP_4) | instskip(NEXT) | instid1(VALU_DEP_4)
	v_cmp_lt_u32_e64 s14, v22, v31
	v_add_nc_u32_e32 v15, v9, v15
	s_delay_alu instid0(VALU_DEP_4)
	v_cmp_ge_u32_e64 s16, v12, v51
	v_lshl_add_u32 v31, v21, 3, v10
	ds_load_u8 v15, v15
	s_wait_dscnt 0x0
	v_cndmask_b32_e64 v66, v15, v64, s13
	v_cndmask_b32_e64 v67, v65, v15, s13
	s_delay_alu instid0(VALU_DEP_2) | instskip(NEXT) | instid1(VALU_DEP_2)
	v_and_b32_e32 v5, 0xff, v66
	v_and_b32_e32 v15, 0xff, v67
	s_delay_alu instid0(VALU_DEP_1)
	v_cmp_le_u16_e64 s15, v5, v15
	ds_load_b64 v[4:5], v4 offset:2048
	ds_load_b64 v[14:15], v13 offset:2048
	v_lshl_add_u32 v13, v18, 3, v10
	ds_load_b64 v[16:17], v16 offset:2048
	s_and_b32 s14, s14, s15
	s_wait_alu 0xfffe
	s_or_b32 s14, s16, s14
	s_wait_alu 0xfffe
	v_cndmask_b32_e64 v12, v12, v22, s14
	v_lshl_add_u32 v22, v19, 3, v10
	v_cndmask_b32_e64 v38, v66, v67, s14
	s_delay_alu instid0(VALU_DEP_3)
	v_lshl_add_u32 v51, v12, 3, v10
	ds_load_b64 v[18:19], v13 offset:2048
	ds_load_b64 v[20:21], v22 offset:2048
	;; [unrolled: 1-line block ×5, first 2 shown]
.LBB1547_204:
	s_wait_alu 0xfffe
	s_or_b32 exec_lo, exec_lo, s18
	v_and_b32_e32 v52, 0xc0, v34
	v_and_b32_e32 v53, 56, v34
	v_perm_b32 v54, v49, v39, 0xc0c0004
	v_perm_b32 v55, v50, v38, 0xc0c0004
	v_perm_b32 v64, v35, v36, 0xc0c0004
	v_or_b32_e32 v31, 32, v52
	v_min_u32_e32 v53, v11, v53
	v_perm_b32 v66, v37, v48, 0xc0c0004
	v_lshl_or_b32 v65, v55, 16, v54
	s_mov_b32 s8, exec_lo
	v_min_u32_e32 v31, v11, v31
	s_delay_alu instid0(VALU_DEP_3)
	v_lshl_or_b32 v64, v66, 16, v64
	; wave barrier
	s_wait_dscnt 0x6
	ds_store_2addr_b64 v29, v[4:5], v[14:15] offset1:1
	s_wait_dscnt 0x5
	ds_store_2addr_b64 v27, v[16:17], v[18:19] offset1:1
	ds_store_b64 v30, v[64:65]
	s_wait_dscnt 0x5
	ds_store_2addr_b64 v26, v[20:21], v[24:25] offset1:1
	s_wait_dscnt 0x4
	ds_store_2addr_b64 v28, v[12:13], v[22:23] offset1:1
	v_add_nc_u32_e32 v51, 32, v31
	v_sub_nc_u32_e32 v68, v31, v52
	; wave barrier
	s_delay_alu instid0(VALU_DEP_2) | instskip(NEXT) | instid1(VALU_DEP_2)
	v_min_u32_e32 v51, v11, v51
	v_min_u32_e32 v55, v53, v68
	s_delay_alu instid0(VALU_DEP_2) | instskip(NEXT) | instid1(VALU_DEP_1)
	v_sub_nc_u32_e32 v67, v51, v31
	v_sub_nc_u32_e64 v54, v53, v67 clamp
	s_delay_alu instid0(VALU_DEP_1)
	v_cmpx_lt_u32_e64 v54, v55
	s_cbranch_execz .LBB1547_208
; %bb.205:
	v_add_nc_u32_e32 v64, v9, v52
	v_add3_u32 v65, v9, v31, v53
	s_mov_b32 s9, 0
.LBB1547_206:                           ; =>This Inner Loop Header: Depth=1
	v_add_nc_u32_e32 v66, v55, v54
	s_delay_alu instid0(VALU_DEP_1) | instskip(NEXT) | instid1(VALU_DEP_1)
	v_lshrrev_b32_e32 v66, 1, v66
	v_add_nc_u32_e32 v67, v64, v66
	v_xad_u32 v68, v66, -1, v65
	v_add_nc_u32_e32 v69, 1, v66
	ds_load_u8 v67, v67
	ds_load_u8 v68, v68
	s_wait_dscnt 0x0
	v_cmp_gt_u16_e64 s7, v68, v67
	s_wait_alu 0xf1ff
	s_delay_alu instid0(VALU_DEP_1) | instskip(SKIP_1) | instid1(VALU_DEP_1)
	v_cndmask_b32_e64 v55, v55, v66, s7
	v_cndmask_b32_e64 v54, v69, v54, s7
	v_cmp_ge_u32_e64 s7, v54, v55
	s_wait_alu 0xfffe
	s_or_b32 s9, s7, s9
	s_wait_alu 0xfffe
	s_and_not1_b32 exec_lo, exec_lo, s9
	s_cbranch_execnz .LBB1547_206
; %bb.207:
	s_or_b32 exec_lo, exec_lo, s9
.LBB1547_208:
	s_wait_alu 0xfffe
	s_or_b32 exec_lo, exec_lo, s8
	v_add_nc_u32_e32 v55, v31, v53
	v_add_nc_u32_e32 v53, v54, v52
	s_delay_alu instid0(VALU_DEP_2) | instskip(NEXT) | instid1(VALU_DEP_2)
	v_sub_nc_u32_e32 v52, v55, v54
	v_cmp_le_u32_e64 s7, v53, v31
	s_delay_alu instid0(VALU_DEP_2)
	v_cmp_le_u32_e64 s8, v52, v51
	s_or_b32 s7, s7, s8
	s_wait_alu 0xfffe
	s_and_saveexec_b32 s18, s7
	s_cbranch_execz .LBB1547_214
; %bb.209:
	v_cmp_lt_u32_e64 s7, v53, v31
                                        ; implicit-def: $vgpr35
	s_and_saveexec_b32 s8, s7
; %bb.210:
	v_add_nc_u32_e32 v4, v9, v53
	ds_load_u8 v35, v4
; %bb.211:
	s_wait_alu 0xfffe
	s_or_b32 exec_lo, exec_lo, s8
	v_cmp_ge_u32_e64 s8, v52, v51
	s_mov_b32 s10, exec_lo
                                        ; implicit-def: $vgpr36
	v_cmpx_lt_u32_e64 v52, v51
; %bb.212:
	v_add_nc_u32_e32 v4, v9, v52
	ds_load_u8 v36, v4
; %bb.213:
	s_wait_alu 0xfffe
	s_or_b32 exec_lo, exec_lo, s10
	s_wait_dscnt 0x0
	v_and_b32_e32 v4, 0xff, v35
	v_and_b32_e32 v5, 0xff, v36
	s_delay_alu instid0(VALU_DEP_1)
	v_cmp_le_u16_e64 s9, v5, v4
	s_and_b32 s7, s7, s9
	s_wait_alu 0xfffe
	s_or_b32 s7, s8, s7
	s_wait_alu 0xfffe
	v_cndmask_b32_e64 v4, v52, v53, s7
	v_cndmask_b32_e64 v5, v51, v31, s7
	s_delay_alu instid0(VALU_DEP_2) | instskip(NEXT) | instid1(VALU_DEP_2)
	v_add_nc_u32_e32 v12, 1, v4
	v_add_nc_u32_e32 v5, -1, v5
	v_lshl_add_u32 v4, v4, 3, v10
	s_delay_alu instid0(VALU_DEP_2) | instskip(NEXT) | instid1(VALU_DEP_1)
	v_min_u32_e32 v5, v12, v5
	v_add_nc_u32_e32 v5, v9, v5
	ds_load_u8 v5, v5
	s_wait_dscnt 0x0
	v_cndmask_b32_e64 v37, v5, v36, s7
	v_cndmask_b32_e64 v38, v35, v5, s7
	;; [unrolled: 1-line block ×5, first 2 shown]
	v_and_b32_e32 v13, 0xff, v37
	v_and_b32_e32 v14, 0xff, v38
	v_cmp_lt_u32_e64 s8, v5, v31
	v_cmp_ge_u32_e64 s10, v12, v51
	s_delay_alu instid0(VALU_DEP_3)
	v_cmp_le_u16_e64 s9, v13, v14
	s_and_b32 s8, s8, s9
	s_wait_alu 0xfffe
	s_or_b32 s8, s10, s8
	s_wait_alu 0xfffe
	v_cndmask_b32_e64 v13, v12, v5, s8
	v_cndmask_b32_e64 v14, v51, v31, s8
	;; [unrolled: 1-line block ×3, first 2 shown]
	s_delay_alu instid0(VALU_DEP_3) | instskip(NEXT) | instid1(VALU_DEP_3)
	v_add_nc_u32_e32 v15, 1, v13
	v_add_nc_u32_e32 v14, -1, v14
	v_lshl_add_u32 v13, v13, 3, v10
	s_delay_alu instid0(VALU_DEP_3) | instskip(NEXT) | instid1(VALU_DEP_3)
	v_cndmask_b32_e64 v5, v5, v15, s8
	v_min_u32_e32 v14, v15, v14
	v_cndmask_b32_e64 v12, v15, v12, s8
	s_delay_alu instid0(VALU_DEP_3) | instskip(NEXT) | instid1(VALU_DEP_3)
	v_cmp_lt_u32_e64 s9, v5, v31
	v_add_nc_u32_e32 v14, v9, v14
	s_delay_alu instid0(VALU_DEP_3) | instskip(SKIP_4) | instid1(VALU_DEP_2)
	v_cmp_ge_u32_e64 s11, v12, v51
	ds_load_u8 v14, v14
	s_wait_dscnt 0x0
	v_cndmask_b32_e64 v39, v14, v37, s8
	v_cndmask_b32_e64 v48, v38, v14, s8
	v_and_b32_e32 v14, 0xff, v39
	s_delay_alu instid0(VALU_DEP_2) | instskip(NEXT) | instid1(VALU_DEP_1)
	v_and_b32_e32 v16, 0xff, v48
	v_cmp_le_u16_e64 s10, v14, v16
	s_and_b32 s9, s9, s10
	s_wait_alu 0xfffe
	s_or_b32 s9, s11, s9
	s_wait_alu 0xfffe
	v_cndmask_b32_e64 v14, v12, v5, s9
	v_cndmask_b32_e64 v15, v51, v31, s9
	v_cndmask_b32_e64 v37, v39, v48, s9
	s_delay_alu instid0(VALU_DEP_3) | instskip(NEXT) | instid1(VALU_DEP_3)
	v_add_nc_u32_e32 v16, 1, v14
	v_add_nc_u32_e32 v15, -1, v15
	s_delay_alu instid0(VALU_DEP_2) | instskip(NEXT) | instid1(VALU_DEP_2)
	v_cndmask_b32_e64 v5, v5, v16, s9
	v_min_u32_e32 v15, v16, v15
	v_cndmask_b32_e64 v12, v16, v12, s9
	s_delay_alu instid0(VALU_DEP_3) | instskip(NEXT) | instid1(VALU_DEP_3)
	v_cmp_lt_u32_e64 s10, v5, v31
	v_add_nc_u32_e32 v15, v9, v15
	s_delay_alu instid0(VALU_DEP_3) | instskip(SKIP_4) | instid1(VALU_DEP_2)
	v_cmp_ge_u32_e64 s12, v12, v51
	ds_load_u8 v15, v15
	s_wait_dscnt 0x0
	v_cndmask_b32_e64 v49, v15, v39, s9
	v_cndmask_b32_e64 v50, v48, v15, s9
	v_and_b32_e32 v15, 0xff, v49
	s_delay_alu instid0(VALU_DEP_2) | instskip(NEXT) | instid1(VALU_DEP_1)
	v_and_b32_e32 v17, 0xff, v50
	v_cmp_le_u16_e64 s11, v15, v17
	s_and_b32 s10, s10, s11
	s_wait_alu 0xfffe
	s_or_b32 s10, s12, s10
	s_wait_alu 0xfffe
	v_cndmask_b32_e64 v18, v12, v5, s10
	v_cndmask_b32_e64 v15, v51, v31, s10
	v_cndmask_b32_e64 v48, v49, v50, s10
	s_delay_alu instid0(VALU_DEP_3) | instskip(NEXT) | instid1(VALU_DEP_3)
	v_add_nc_u32_e32 v16, 1, v18
	v_add_nc_u32_e32 v15, -1, v15
	s_delay_alu instid0(VALU_DEP_2) | instskip(NEXT) | instid1(VALU_DEP_2)
	;; [unrolled: 27-line block ×3, first 2 shown]
	v_cndmask_b32_e64 v5, v5, v16, s11
	v_min_u32_e32 v15, v16, v15
	v_cndmask_b32_e64 v12, v16, v12, s11
	s_delay_alu instid0(VALU_DEP_3) | instskip(NEXT) | instid1(VALU_DEP_3)
	v_cmp_lt_u32_e64 s12, v5, v31
	v_add_nc_u32_e32 v15, v9, v15
	s_delay_alu instid0(VALU_DEP_3) | instskip(SKIP_4) | instid1(VALU_DEP_2)
	v_cmp_ge_u32_e64 s14, v12, v51
	ds_load_u8 v15, v15
	s_wait_dscnt 0x0
	v_cndmask_b32_e64 v54, v15, v52, s11
	v_cndmask_b32_e64 v55, v53, v15, s11
	v_and_b32_e32 v15, 0xff, v54
	s_delay_alu instid0(VALU_DEP_2) | instskip(NEXT) | instid1(VALU_DEP_1)
	v_and_b32_e32 v17, 0xff, v55
	v_cmp_le_u16_e64 s13, v15, v17
	s_and_b32 s12, s12, s13
	s_wait_alu 0xfffe
	s_or_b32 s12, s14, s12
	s_wait_alu 0xfffe
	v_cndmask_b32_e64 v20, v12, v5, s12
	v_cndmask_b32_e64 v15, v51, v31, s12
	;; [unrolled: 1-line block ×3, first 2 shown]
	s_delay_alu instid0(VALU_DEP_3) | instskip(NEXT) | instid1(VALU_DEP_3)
	v_add_nc_u32_e32 v16, 1, v20
	v_add_nc_u32_e32 v15, -1, v15
	v_lshl_add_u32 v23, v20, 3, v10
	s_delay_alu instid0(VALU_DEP_3) | instskip(NEXT) | instid1(VALU_DEP_3)
	v_cndmask_b32_e64 v5, v5, v16, s12
	v_min_u32_e32 v15, v16, v15
	v_cndmask_b32_e64 v12, v16, v12, s12
	s_delay_alu instid0(VALU_DEP_3) | instskip(NEXT) | instid1(VALU_DEP_3)
	v_cmp_lt_u32_e64 s13, v5, v31
	v_add_nc_u32_e32 v15, v9, v15
	s_delay_alu instid0(VALU_DEP_3) | instskip(SKIP_4) | instid1(VALU_DEP_2)
	v_cmp_ge_u32_e64 s15, v12, v51
	ds_load_u8 v15, v15
	s_wait_dscnt 0x0
	v_cndmask_b32_e64 v64, v15, v54, s12
	v_cndmask_b32_e64 v65, v55, v15, s12
	v_and_b32_e32 v15, 0xff, v64
	s_delay_alu instid0(VALU_DEP_2) | instskip(NEXT) | instid1(VALU_DEP_1)
	v_and_b32_e32 v17, 0xff, v65
	v_cmp_le_u16_e64 s14, v15, v17
	s_and_b32 s13, s13, s14
	s_wait_alu 0xfffe
	s_or_b32 s13, s15, s13
	s_wait_alu 0xfffe
	v_cndmask_b32_e64 v21, v12, v5, s13
	v_cndmask_b32_e64 v15, v51, v31, s13
	;; [unrolled: 1-line block ×3, first 2 shown]
	s_delay_alu instid0(VALU_DEP_3) | instskip(NEXT) | instid1(VALU_DEP_3)
	v_add_nc_u32_e32 v16, 1, v21
	v_add_nc_u32_e32 v15, -1, v15
	s_delay_alu instid0(VALU_DEP_2) | instskip(NEXT) | instid1(VALU_DEP_2)
	v_cndmask_b32_e64 v22, v5, v16, s13
	v_min_u32_e32 v15, v16, v15
	v_cndmask_b32_e64 v12, v16, v12, s13
	v_lshl_add_u32 v16, v14, 3, v10
	s_delay_alu instid0(VALU_DEP_4) | instskip(NEXT) | instid1(VALU_DEP_4)
	v_cmp_lt_u32_e64 s14, v22, v31
	v_add_nc_u32_e32 v15, v9, v15
	s_delay_alu instid0(VALU_DEP_4)
	v_cmp_ge_u32_e64 s16, v12, v51
	v_lshl_add_u32 v31, v21, 3, v10
	ds_load_u8 v15, v15
	s_wait_dscnt 0x0
	v_cndmask_b32_e64 v66, v15, v64, s13
	v_cndmask_b32_e64 v67, v65, v15, s13
	s_delay_alu instid0(VALU_DEP_2) | instskip(NEXT) | instid1(VALU_DEP_2)
	v_and_b32_e32 v5, 0xff, v66
	v_and_b32_e32 v15, 0xff, v67
	s_delay_alu instid0(VALU_DEP_1)
	v_cmp_le_u16_e64 s15, v5, v15
	ds_load_b64 v[4:5], v4 offset:2048
	ds_load_b64 v[14:15], v13 offset:2048
	v_lshl_add_u32 v13, v18, 3, v10
	ds_load_b64 v[16:17], v16 offset:2048
	s_and_b32 s14, s14, s15
	s_wait_alu 0xfffe
	s_or_b32 s14, s16, s14
	s_wait_alu 0xfffe
	v_cndmask_b32_e64 v12, v12, v22, s14
	v_lshl_add_u32 v22, v19, 3, v10
	v_cndmask_b32_e64 v38, v66, v67, s14
	s_delay_alu instid0(VALU_DEP_3)
	v_lshl_add_u32 v51, v12, 3, v10
	ds_load_b64 v[18:19], v13 offset:2048
	ds_load_b64 v[20:21], v22 offset:2048
	;; [unrolled: 1-line block ×5, first 2 shown]
.LBB1547_214:
	s_wait_alu 0xfffe
	s_or_b32 exec_lo, exec_lo, s18
	v_and_b32_e32 v51, 0x80, v34
	v_perm_b32 v52, v49, v39, 0xc0c0004
	v_perm_b32 v53, v50, v38, 0xc0c0004
	;; [unrolled: 1-line block ×4, first 2 shown]
	v_or_b32_e32 v31, 64, v51
	s_mov_b32 s8, exec_lo
	v_lshl_or_b32 v55, v53, 16, v52
	s_delay_alu instid0(VALU_DEP_3) | instskip(NEXT) | instid1(VALU_DEP_3)
	v_lshl_or_b32 v54, v64, 16, v54
	v_min_u32_e32 v31, v11, v31
	; wave barrier
	s_wait_dscnt 0x6
	ds_store_2addr_b64 v29, v[4:5], v[14:15] offset1:1
	s_wait_dscnt 0x5
	ds_store_2addr_b64 v27, v[16:17], v[18:19] offset1:1
	ds_store_b64 v30, v[54:55]
	s_wait_dscnt 0x5
	ds_store_2addr_b64 v26, v[20:21], v[24:25] offset1:1
	s_wait_dscnt 0x4
	ds_store_2addr_b64 v28, v[12:13], v[22:23] offset1:1
	; wave barrier
	v_add_nc_u32_e32 v34, 64, v31
	v_sub_nc_u32_e32 v66, v31, v51
	s_delay_alu instid0(VALU_DEP_2) | instskip(SKIP_1) | instid1(VALU_DEP_2)
	v_min_u32_e32 v34, v11, v34
	v_min_u32_e32 v11, v11, v32
	v_sub_nc_u32_e32 v65, v34, v31
	s_delay_alu instid0(VALU_DEP_2) | instskip(NEXT) | instid1(VALU_DEP_2)
	v_min_u32_e32 v53, v11, v66
	v_sub_nc_u32_e64 v52, v11, v65 clamp
	s_delay_alu instid0(VALU_DEP_1)
	v_cmpx_lt_u32_e64 v52, v53
	s_cbranch_execz .LBB1547_218
; %bb.215:
	v_add_nc_u32_e32 v26, v9, v51
	v_add3_u32 v27, v9, v31, v11
	s_mov_b32 s9, 0
.LBB1547_216:                           ; =>This Inner Loop Header: Depth=1
	v_add_nc_u32_e32 v28, v53, v52
	s_delay_alu instid0(VALU_DEP_1) | instskip(NEXT) | instid1(VALU_DEP_1)
	v_lshrrev_b32_e32 v28, 1, v28
	v_add_nc_u32_e32 v29, v26, v28
	v_xad_u32 v30, v28, -1, v27
	v_add_nc_u32_e32 v54, 1, v28
	ds_load_u8 v29, v29
	ds_load_u8 v30, v30
	s_wait_dscnt 0x0
	v_cmp_gt_u16_e64 s7, v30, v29
	s_wait_alu 0xf1ff
	s_delay_alu instid0(VALU_DEP_1) | instskip(SKIP_1) | instid1(VALU_DEP_1)
	v_cndmask_b32_e64 v53, v53, v28, s7
	v_cndmask_b32_e64 v52, v54, v52, s7
	v_cmp_ge_u32_e64 s7, v52, v53
	s_wait_alu 0xfffe
	s_or_b32 s9, s7, s9
	s_wait_alu 0xfffe
	s_and_not1_b32 exec_lo, exec_lo, s9
	s_cbranch_execnz .LBB1547_216
; %bb.217:
	s_or_b32 exec_lo, exec_lo, s9
.LBB1547_218:
	s_wait_alu 0xfffe
	s_or_b32 exec_lo, exec_lo, s8
	v_add_nc_u32_e32 v11, v31, v11
	v_add_nc_u32_e32 v28, v52, v51
	s_delay_alu instid0(VALU_DEP_2) | instskip(NEXT) | instid1(VALU_DEP_2)
	v_sub_nc_u32_e32 v27, v11, v52
	v_cmp_le_u32_e64 s7, v28, v31
	s_delay_alu instid0(VALU_DEP_2)
	v_cmp_le_u32_e64 s8, v27, v34
	s_or_b32 s7, s7, s8
	s_wait_alu 0xfffe
	s_and_saveexec_b32 s18, s7
	s_cbranch_execz .LBB1547_224
; %bb.219:
	v_cmp_lt_u32_e64 s7, v28, v31
                                        ; implicit-def: $vgpr11
	s_and_saveexec_b32 s8, s7
; %bb.220:
	v_add_nc_u32_e32 v4, v9, v28
	ds_load_u8 v11, v4
; %bb.221:
	s_wait_alu 0xfffe
	s_or_b32 exec_lo, exec_lo, s8
	v_cmp_ge_u32_e64 s8, v27, v34
	s_mov_b32 s10, exec_lo
                                        ; implicit-def: $vgpr26
	v_cmpx_lt_u32_e64 v27, v34
; %bb.222:
	v_add_nc_u32_e32 v4, v9, v27
	ds_load_u8 v26, v4
; %bb.223:
	s_wait_alu 0xfffe
	s_or_b32 exec_lo, exec_lo, s10
	s_wait_dscnt 0x0
	v_and_b32_e32 v4, 0xff, v11
	v_and_b32_e32 v5, 0xff, v26
	s_delay_alu instid0(VALU_DEP_1)
	v_cmp_le_u16_e64 s9, v5, v4
	s_and_b32 s7, s7, s9
	s_wait_alu 0xfffe
	s_or_b32 s7, s8, s7
	s_wait_alu 0xfffe
	v_cndmask_b32_e64 v4, v27, v28, s7
	v_cndmask_b32_e64 v5, v34, v31, s7
	;; [unrolled: 1-line block ×3, first 2 shown]
	s_delay_alu instid0(VALU_DEP_3) | instskip(NEXT) | instid1(VALU_DEP_3)
	v_add_nc_u32_e32 v12, 1, v4
	v_add_nc_u32_e32 v5, -1, v5
	v_lshl_add_u32 v4, v4, 3, v10
	s_delay_alu instid0(VALU_DEP_2) | instskip(NEXT) | instid1(VALU_DEP_1)
	v_min_u32_e32 v5, v12, v5
	v_add_nc_u32_e32 v5, v9, v5
	ds_load_u8 v5, v5
	s_wait_dscnt 0x0
	v_cndmask_b32_e64 v29, v5, v26, s7
	v_cndmask_b32_e64 v30, v11, v5, s7
	;; [unrolled: 1-line block ×4, first 2 shown]
	s_delay_alu instid0(VALU_DEP_4) | instskip(NEXT) | instid1(VALU_DEP_4)
	v_and_b32_e32 v13, 0xff, v29
	v_and_b32_e32 v14, 0xff, v30
	s_delay_alu instid0(VALU_DEP_4) | instskip(NEXT) | instid1(VALU_DEP_4)
	v_cmp_lt_u32_e64 s8, v5, v31
	v_cmp_ge_u32_e64 s10, v12, v34
	s_delay_alu instid0(VALU_DEP_3)
	v_cmp_le_u16_e64 s9, v13, v14
	s_and_b32 s8, s8, s9
	s_wait_alu 0xfffe
	s_or_b32 s8, s10, s8
	s_wait_alu 0xfffe
	v_cndmask_b32_e64 v13, v12, v5, s8
	v_cndmask_b32_e64 v14, v34, v31, s8
	;; [unrolled: 1-line block ×3, first 2 shown]
	s_delay_alu instid0(VALU_DEP_3) | instskip(NEXT) | instid1(VALU_DEP_3)
	v_add_nc_u32_e32 v15, 1, v13
	v_add_nc_u32_e32 v14, -1, v14
	v_lshl_add_u32 v13, v13, 3, v10
	s_delay_alu instid0(VALU_DEP_3) | instskip(NEXT) | instid1(VALU_DEP_3)
	v_cndmask_b32_e64 v5, v5, v15, s8
	v_min_u32_e32 v14, v15, v14
	v_cndmask_b32_e64 v12, v15, v12, s8
	s_delay_alu instid0(VALU_DEP_3) | instskip(NEXT) | instid1(VALU_DEP_3)
	v_cmp_lt_u32_e64 s9, v5, v31
	v_add_nc_u32_e32 v14, v9, v14
	s_delay_alu instid0(VALU_DEP_3) | instskip(SKIP_4) | instid1(VALU_DEP_2)
	v_cmp_ge_u32_e64 s11, v12, v34
	ds_load_u8 v14, v14
	s_wait_dscnt 0x0
	v_cndmask_b32_e64 v27, v14, v29, s8
	v_cndmask_b32_e64 v28, v30, v14, s8
	v_and_b32_e32 v14, 0xff, v27
	s_delay_alu instid0(VALU_DEP_2) | instskip(NEXT) | instid1(VALU_DEP_1)
	v_and_b32_e32 v16, 0xff, v28
	v_cmp_le_u16_e64 s10, v14, v16
	s_and_b32 s9, s9, s10
	s_wait_alu 0xfffe
	s_or_b32 s9, s11, s9
	s_wait_alu 0xfffe
	v_cndmask_b32_e64 v14, v12, v5, s9
	v_cndmask_b32_e64 v15, v34, v31, s9
	v_cndmask_b32_e64 v37, v27, v28, s9
	s_delay_alu instid0(VALU_DEP_3) | instskip(NEXT) | instid1(VALU_DEP_3)
	v_add_nc_u32_e32 v16, 1, v14
	v_add_nc_u32_e32 v15, -1, v15
	s_delay_alu instid0(VALU_DEP_2) | instskip(NEXT) | instid1(VALU_DEP_2)
	v_cndmask_b32_e64 v5, v5, v16, s9
	v_min_u32_e32 v15, v16, v15
	v_cndmask_b32_e64 v12, v16, v12, s9
	s_delay_alu instid0(VALU_DEP_3) | instskip(NEXT) | instid1(VALU_DEP_3)
	v_cmp_lt_u32_e64 s10, v5, v31
	v_add_nc_u32_e32 v15, v9, v15
	s_delay_alu instid0(VALU_DEP_3) | instskip(SKIP_4) | instid1(VALU_DEP_2)
	v_cmp_ge_u32_e64 s12, v12, v34
	ds_load_u8 v15, v15
	s_wait_dscnt 0x0
	v_cndmask_b32_e64 v38, v15, v27, s9
	v_cndmask_b32_e64 v39, v28, v15, s9
	v_and_b32_e32 v15, 0xff, v38
	s_delay_alu instid0(VALU_DEP_2) | instskip(NEXT) | instid1(VALU_DEP_1)
	v_and_b32_e32 v17, 0xff, v39
	v_cmp_le_u16_e64 s11, v15, v17
	s_and_b32 s10, s10, s11
	s_wait_alu 0xfffe
	s_or_b32 s10, s12, s10
	s_wait_alu 0xfffe
	v_cndmask_b32_e64 v18, v12, v5, s10
	v_cndmask_b32_e64 v15, v34, v31, s10
	;; [unrolled: 1-line block ×3, first 2 shown]
	s_delay_alu instid0(VALU_DEP_3) | instskip(NEXT) | instid1(VALU_DEP_3)
	v_add_nc_u32_e32 v16, 1, v18
	v_add_nc_u32_e32 v15, -1, v15
	s_delay_alu instid0(VALU_DEP_2) | instskip(NEXT) | instid1(VALU_DEP_2)
	v_cndmask_b32_e64 v5, v5, v16, s10
	v_min_u32_e32 v15, v16, v15
	v_cndmask_b32_e64 v12, v16, v12, s10
	s_delay_alu instid0(VALU_DEP_3) | instskip(NEXT) | instid1(VALU_DEP_3)
	v_cmp_lt_u32_e64 s11, v5, v31
	v_add_nc_u32_e32 v15, v9, v15
	s_delay_alu instid0(VALU_DEP_3) | instskip(SKIP_4) | instid1(VALU_DEP_2)
	v_cmp_ge_u32_e64 s13, v12, v34
	ds_load_u8 v15, v15
	s_wait_dscnt 0x0
	v_cndmask_b32_e64 v49, v15, v38, s10
	v_cndmask_b32_e64 v50, v39, v15, s10
	v_and_b32_e32 v15, 0xff, v49
	s_delay_alu instid0(VALU_DEP_2) | instskip(NEXT) | instid1(VALU_DEP_1)
	v_and_b32_e32 v17, 0xff, v50
	v_cmp_le_u16_e64 s12, v15, v17
	s_and_b32 s11, s11, s12
	s_wait_alu 0xfffe
	s_or_b32 s11, s13, s11
	s_wait_alu 0xfffe
	v_cndmask_b32_e64 v19, v12, v5, s11
	v_cndmask_b32_e64 v15, v34, v31, s11
	s_delay_alu instid0(VALU_DEP_2) | instskip(NEXT) | instid1(VALU_DEP_2)
	v_add_nc_u32_e32 v16, 1, v19
	v_add_nc_u32_e32 v15, -1, v15
	s_delay_alu instid0(VALU_DEP_2) | instskip(NEXT) | instid1(VALU_DEP_2)
	v_cndmask_b32_e64 v5, v5, v16, s11
	v_min_u32_e32 v15, v16, v15
	v_cndmask_b32_e64 v12, v16, v12, s11
	s_delay_alu instid0(VALU_DEP_3) | instskip(NEXT) | instid1(VALU_DEP_3)
	v_cmp_lt_u32_e64 s12, v5, v31
	v_add_nc_u32_e32 v15, v9, v15
	s_delay_alu instid0(VALU_DEP_3)
	v_cmp_ge_u32_e64 s14, v12, v34
	ds_load_u8 v15, v15
	s_wait_dscnt 0x0
	v_cndmask_b32_e64 v51, v15, v49, s11
	v_cndmask_b32_e64 v52, v50, v15, s11
	;; [unrolled: 1-line block ×3, first 2 shown]
	s_delay_alu instid0(VALU_DEP_3) | instskip(NEXT) | instid1(VALU_DEP_3)
	v_and_b32_e32 v15, 0xff, v51
	v_and_b32_e32 v17, 0xff, v52
	s_delay_alu instid0(VALU_DEP_1)
	v_cmp_le_u16_e64 s13, v15, v17
	s_and_b32 s12, s12, s13
	s_wait_alu 0xfffe
	s_or_b32 s12, s14, s12
	s_wait_alu 0xfffe
	v_cndmask_b32_e64 v20, v12, v5, s12
	v_cndmask_b32_e64 v15, v34, v31, s12
	;; [unrolled: 1-line block ×3, first 2 shown]
	s_delay_alu instid0(VALU_DEP_3) | instskip(NEXT) | instid1(VALU_DEP_3)
	v_add_nc_u32_e32 v16, 1, v20
	v_add_nc_u32_e32 v15, -1, v15
	v_lshl_add_u32 v23, v20, 3, v10
	s_delay_alu instid0(VALU_DEP_3) | instskip(NEXT) | instid1(VALU_DEP_3)
	v_cndmask_b32_e64 v5, v5, v16, s12
	v_min_u32_e32 v15, v16, v15
	v_cndmask_b32_e64 v12, v16, v12, s12
	s_delay_alu instid0(VALU_DEP_3) | instskip(NEXT) | instid1(VALU_DEP_3)
	v_cmp_lt_u32_e64 s13, v5, v31
	v_add_nc_u32_e32 v15, v9, v15
	s_delay_alu instid0(VALU_DEP_3) | instskip(SKIP_4) | instid1(VALU_DEP_2)
	v_cmp_ge_u32_e64 s15, v12, v34
	ds_load_u8 v15, v15
	s_wait_dscnt 0x0
	v_cndmask_b32_e64 v53, v15, v51, s12
	v_cndmask_b32_e64 v54, v52, v15, s12
	v_and_b32_e32 v15, 0xff, v53
	s_delay_alu instid0(VALU_DEP_2) | instskip(NEXT) | instid1(VALU_DEP_1)
	v_and_b32_e32 v17, 0xff, v54
	v_cmp_le_u16_e64 s14, v15, v17
	s_and_b32 s13, s13, s14
	s_wait_alu 0xfffe
	s_or_b32 s13, s15, s13
	s_wait_alu 0xfffe
	v_cndmask_b32_e64 v21, v12, v5, s13
	v_cndmask_b32_e64 v15, v34, v31, s13
	;; [unrolled: 1-line block ×3, first 2 shown]
	s_delay_alu instid0(VALU_DEP_3) | instskip(NEXT) | instid1(VALU_DEP_3)
	v_add_nc_u32_e32 v16, 1, v21
	v_add_nc_u32_e32 v15, -1, v15
	s_delay_alu instid0(VALU_DEP_2) | instskip(NEXT) | instid1(VALU_DEP_2)
	v_cndmask_b32_e64 v22, v5, v16, s13
	v_min_u32_e32 v15, v16, v15
	v_cndmask_b32_e64 v12, v16, v12, s13
	v_lshl_add_u32 v16, v14, 3, v10
	s_delay_alu instid0(VALU_DEP_4) | instskip(NEXT) | instid1(VALU_DEP_4)
	v_cmp_lt_u32_e64 s14, v22, v31
	v_add_nc_u32_e32 v9, v9, v15
	s_delay_alu instid0(VALU_DEP_4)
	v_cmp_ge_u32_e64 s16, v12, v34
	v_lshl_add_u32 v31, v21, 3, v10
	ds_load_u8 v9, v9
	s_wait_dscnt 0x0
	v_cndmask_b32_e64 v55, v9, v53, s13
	v_cndmask_b32_e64 v9, v54, v9, s13
	s_delay_alu instid0(VALU_DEP_2) | instskip(NEXT) | instid1(VALU_DEP_2)
	v_and_b32_e32 v5, 0xff, v55
	v_and_b32_e32 v15, 0xff, v9
	s_delay_alu instid0(VALU_DEP_1)
	v_cmp_le_u16_e64 s15, v5, v15
	ds_load_b64 v[4:5], v4 offset:2048
	ds_load_b64 v[14:15], v13 offset:2048
	v_lshl_add_u32 v13, v18, 3, v10
	ds_load_b64 v[16:17], v16 offset:2048
	s_and_b32 s14, s14, s15
	s_wait_alu 0xfffe
	s_or_b32 s14, s16, s14
	s_wait_alu 0xfffe
	v_cndmask_b32_e64 v12, v12, v22, s14
	v_lshl_add_u32 v22, v19, 3, v10
	v_cndmask_b32_e64 v38, v55, v9, s14
	s_delay_alu instid0(VALU_DEP_3)
	v_lshl_add_u32 v10, v12, 3, v10
	ds_load_b64 v[18:19], v13 offset:2048
	ds_load_b64 v[20:21], v22 offset:2048
	;; [unrolled: 1-line block ×5, first 2 shown]
.LBB1547_224:
	s_wait_alu 0xfffe
	s_or_b32 exec_lo, exec_lo, s18
	; wave barrier
	s_wait_storecnt_dscnt 0x0
	s_barrier_signal -1
	s_barrier_wait -1
	global_inv scope:SCOPE_SE
.LBB1547_225:
	s_wait_alu 0xfffe
	s_or_b32 exec_lo, exec_lo, s17
	v_add_co_u32 v2, s7, v2, v8
	s_wait_alu 0xf1ff
	v_add_co_ci_u32_e64 v3, null, 0, v3, s7
	s_delay_alu instid0(VALU_DEP_2) | instskip(SKIP_1) | instid1(VALU_DEP_2)
	v_add_co_u32 v2, s7, v2, v32
	s_wait_alu 0xf1ff
	v_add_co_ci_u32_e64 v3, null, 0, v3, s7
	; wave barrier
	s_and_saveexec_b32 s7, vcc_lo
	s_cbranch_execnz .LBB1547_250
; %bb.226:
	s_wait_alu 0xfffe
	s_or_b32 exec_lo, exec_lo, s7
	s_and_saveexec_b32 s7, s0
	s_cbranch_execnz .LBB1547_251
.LBB1547_227:
	s_wait_alu 0xfffe
	s_or_b32 exec_lo, exec_lo, s7
	s_and_saveexec_b32 s7, s1
	s_cbranch_execnz .LBB1547_252
.LBB1547_228:
	s_wait_alu 0xfffe
	s_or_b32 exec_lo, exec_lo, s7
	s_and_saveexec_b32 s7, s2
	s_cbranch_execnz .LBB1547_253
.LBB1547_229:
	s_wait_alu 0xfffe
	s_or_b32 exec_lo, exec_lo, s7
	s_and_saveexec_b32 s7, s3
	s_cbranch_execnz .LBB1547_254
.LBB1547_230:
	s_wait_alu 0xfffe
	s_or_b32 exec_lo, exec_lo, s7
	s_and_saveexec_b32 s7, s4
	s_cbranch_execnz .LBB1547_255
.LBB1547_231:
	s_wait_alu 0xfffe
	s_or_b32 exec_lo, exec_lo, s7
	s_and_saveexec_b32 s7, s5
	s_cbranch_execnz .LBB1547_256
.LBB1547_232:
	s_wait_alu 0xfffe
	s_or_b32 exec_lo, exec_lo, s7
	s_and_saveexec_b32 s7, s6
	s_cbranch_execz .LBB1547_234
.LBB1547_233:
	s_wait_loadcnt_dscnt 0x0
	flat_store_b8 v[2:3], v38 offset:7
.LBB1547_234:
	s_wait_alu 0xfffe
	s_or_b32 exec_lo, exec_lo, s7
	v_add_co_u32 v0, s7, v6, v0
	s_wait_alu 0xf1ff
	v_add_co_ci_u32_e64 v1, null, v7, v1, s7
	s_delay_alu instid0(VALU_DEP_2) | instskip(SKIP_1) | instid1(VALU_DEP_2)
	v_add_co_u32 v0, s7, v0, v33
	s_wait_alu 0xf1ff
	v_add_co_ci_u32_e64 v1, null, 0, v1, s7
	; wave barrier
	s_and_saveexec_b32 s7, vcc_lo
	s_cbranch_execnz .LBB1547_257
; %bb.235:
	s_wait_alu 0xfffe
	s_or_b32 exec_lo, exec_lo, s7
	s_and_saveexec_b32 s7, s0
	s_cbranch_execnz .LBB1547_258
.LBB1547_236:
	s_wait_alu 0xfffe
	s_or_b32 exec_lo, exec_lo, s7
	s_and_saveexec_b32 s0, s1
	s_cbranch_execnz .LBB1547_259
.LBB1547_237:
	s_wait_alu 0xfffe
	s_or_b32 exec_lo, exec_lo, s0
	s_and_saveexec_b32 s0, s2
	s_cbranch_execnz .LBB1547_260
.LBB1547_238:
	s_wait_alu 0xfffe
	s_or_b32 exec_lo, exec_lo, s0
	s_and_saveexec_b32 s0, s3
	s_cbranch_execnz .LBB1547_261
.LBB1547_239:
	s_wait_alu 0xfffe
	s_or_b32 exec_lo, exec_lo, s0
	s_and_saveexec_b32 s0, s4
	s_cbranch_execnz .LBB1547_262
.LBB1547_240:
	s_wait_alu 0xfffe
	s_or_b32 exec_lo, exec_lo, s0
	s_and_saveexec_b32 s0, s5
	s_cbranch_execnz .LBB1547_263
.LBB1547_241:
	s_wait_alu 0xfffe
	s_or_b32 exec_lo, exec_lo, s0
	s_and_saveexec_b32 s0, s6
	s_cbranch_execnz .LBB1547_264
.LBB1547_242:
	s_wait_alu 0xfffe
	s_or_b32 exec_lo, exec_lo, s0
	s_wait_loadcnt_dscnt 0x0
	s_setpc_b64 s[30:31]
.LBB1547_243:
	flat_load_b64 v[4:5], v[26:27]
	s_wait_alu 0xfffe
	s_or_b32 exec_lo, exec_lo, s7
	s_and_saveexec_b32 s7, s0
                                        ; implicit-def: $vgpr14_vgpr15
	s_cbranch_execz .LBB1547_18
.LBB1547_244:
	flat_load_b64 v[14:15], v[26:27] offset:8
	s_wait_alu 0xfffe
	s_or_b32 exec_lo, exec_lo, s7
                                        ; implicit-def: $vgpr16_vgpr17
	s_and_saveexec_b32 s7, s1
	s_cbranch_execz .LBB1547_19
.LBB1547_245:
	flat_load_b64 v[16:17], v[26:27] offset:16
	s_wait_alu 0xfffe
	s_or_b32 exec_lo, exec_lo, s7
	s_and_saveexec_b32 s7, s2
                                        ; implicit-def: $vgpr18_vgpr19
	s_cbranch_execz .LBB1547_20
.LBB1547_246:
	flat_load_b64 v[18:19], v[26:27] offset:24
	s_wait_alu 0xfffe
	s_or_b32 exec_lo, exec_lo, s7
                                        ; implicit-def: $vgpr20_vgpr21
	s_and_saveexec_b32 s7, s3
	s_cbranch_execz .LBB1547_21
.LBB1547_247:
	flat_load_b64 v[20:21], v[26:27] offset:32
	s_wait_alu 0xfffe
	s_or_b32 exec_lo, exec_lo, s7
	s_and_saveexec_b32 s7, s4
                                        ; implicit-def: $vgpr24_vgpr25
	s_cbranch_execz .LBB1547_22
.LBB1547_248:
	flat_load_b64 v[24:25], v[26:27] offset:40
	s_wait_alu 0xfffe
	s_or_b32 exec_lo, exec_lo, s7
                                        ; implicit-def: $vgpr12_vgpr13
	s_and_saveexec_b32 s7, s5
	s_cbranch_execz .LBB1547_23
.LBB1547_249:
	flat_load_b64 v[12:13], v[26:27] offset:48
	s_wait_alu 0xfffe
	s_or_b32 exec_lo, exec_lo, s7
	s_and_saveexec_b32 s7, s6
                                        ; implicit-def: $vgpr22_vgpr23
	s_cbranch_execnz .LBB1547_24
	s_branch .LBB1547_25
.LBB1547_250:
	s_wait_loadcnt_dscnt 0x0
	flat_store_b8 v[2:3], v35
	s_wait_alu 0xfffe
	s_or_b32 exec_lo, exec_lo, s7
	s_and_saveexec_b32 s7, s0
	s_cbranch_execz .LBB1547_227
.LBB1547_251:
	s_wait_loadcnt_dscnt 0x0
	flat_store_b8 v[2:3], v36 offset:1
	s_wait_alu 0xfffe
	s_or_b32 exec_lo, exec_lo, s7
	s_and_saveexec_b32 s7, s1
	s_cbranch_execz .LBB1547_228
.LBB1547_252:
	s_wait_loadcnt_dscnt 0x0
	flat_store_b8 v[2:3], v37 offset:2
	s_wait_alu 0xfffe
	s_or_b32 exec_lo, exec_lo, s7
	s_and_saveexec_b32 s7, s2
	s_cbranch_execz .LBB1547_229
.LBB1547_253:
	s_wait_loadcnt_dscnt 0x0
	flat_store_b8 v[2:3], v48 offset:3
	s_wait_alu 0xfffe
	s_or_b32 exec_lo, exec_lo, s7
	s_and_saveexec_b32 s7, s3
	s_cbranch_execz .LBB1547_230
.LBB1547_254:
	s_wait_loadcnt_dscnt 0x0
	flat_store_b8 v[2:3], v49 offset:4
	s_wait_alu 0xfffe
	s_or_b32 exec_lo, exec_lo, s7
	s_and_saveexec_b32 s7, s4
	s_cbranch_execz .LBB1547_231
.LBB1547_255:
	s_wait_loadcnt_dscnt 0x0
	flat_store_b8 v[2:3], v39 offset:5
	s_wait_alu 0xfffe
	s_or_b32 exec_lo, exec_lo, s7
	s_and_saveexec_b32 s7, s5
	s_cbranch_execz .LBB1547_232
.LBB1547_256:
	s_wait_loadcnt_dscnt 0x0
	flat_store_b8 v[2:3], v50 offset:6
	s_wait_alu 0xfffe
	s_or_b32 exec_lo, exec_lo, s7
	s_and_saveexec_b32 s7, s6
	s_cbranch_execnz .LBB1547_233
	s_branch .LBB1547_234
.LBB1547_257:
	s_wait_loadcnt_dscnt 0x0
	flat_store_b64 v[0:1], v[4:5]
	s_wait_alu 0xfffe
	s_or_b32 exec_lo, exec_lo, s7
	s_and_saveexec_b32 s7, s0
	s_cbranch_execz .LBB1547_236
.LBB1547_258:
	s_wait_loadcnt_dscnt 0x0
	flat_store_b64 v[0:1], v[14:15] offset:8
	s_wait_alu 0xfffe
	s_or_b32 exec_lo, exec_lo, s7
	s_and_saveexec_b32 s0, s1
	s_cbranch_execz .LBB1547_237
.LBB1547_259:
	s_wait_loadcnt_dscnt 0x0
	flat_store_b64 v[0:1], v[16:17] offset:16
	s_wait_alu 0xfffe
	s_or_b32 exec_lo, exec_lo, s0
	s_and_saveexec_b32 s0, s2
	s_cbranch_execz .LBB1547_238
.LBB1547_260:
	s_wait_loadcnt_dscnt 0x0
	flat_store_b64 v[0:1], v[18:19] offset:24
	s_wait_alu 0xfffe
	s_or_b32 exec_lo, exec_lo, s0
	s_and_saveexec_b32 s0, s3
	s_cbranch_execz .LBB1547_239
.LBB1547_261:
	s_wait_loadcnt_dscnt 0x0
	flat_store_b64 v[0:1], v[20:21] offset:32
	s_wait_alu 0xfffe
	s_or_b32 exec_lo, exec_lo, s0
	s_and_saveexec_b32 s0, s4
	s_cbranch_execz .LBB1547_240
.LBB1547_262:
	s_wait_loadcnt_dscnt 0x0
	flat_store_b64 v[0:1], v[24:25] offset:40
	s_wait_alu 0xfffe
	s_or_b32 exec_lo, exec_lo, s0
	s_and_saveexec_b32 s0, s5
	s_cbranch_execz .LBB1547_241
.LBB1547_263:
	s_wait_loadcnt_dscnt 0x0
	flat_store_b64 v[0:1], v[12:13] offset:48
	s_wait_alu 0xfffe
	s_or_b32 exec_lo, exec_lo, s0
	s_and_saveexec_b32 s0, s6
	s_cbranch_execz .LBB1547_242
.LBB1547_264:
	s_wait_loadcnt_dscnt 0x0
	flat_store_b64 v[0:1], v[22:23] offset:56
	s_wait_alu 0xfffe
	s_or_b32 exec_lo, exec_lo, s0
	s_wait_dscnt 0x0
	s_setpc_b64 s[30:31]
.Lfunc_end1547:
	.size	_ZN7rocprim17ROCPRIM_400000_NS6detail26segmented_warp_sort_helperINS1_20WarpSortHelperConfigILj16ELj8ELj256EEEblLi256ELb1EvE4sortIPKbPbPKlPlEEvT_T0_T1_T2_jjjjRNS5_12storage_typeE, .Lfunc_end1547-_ZN7rocprim17ROCPRIM_400000_NS6detail26segmented_warp_sort_helperINS1_20WarpSortHelperConfigILj16ELj8ELj256EEEblLi256ELb1EvE4sortIPKbPbPKlPlEEvT_T0_T1_T2_jjjjRNS5_12storage_typeE
                                        ; -- End function
	.set .L_ZN7rocprim17ROCPRIM_400000_NS6detail26segmented_warp_sort_helperINS1_20WarpSortHelperConfigILj16ELj8ELj256EEEblLi256ELb1EvE4sortIPKbPbPKlPlEEvT_T0_T1_T2_jjjjRNS5_12storage_typeE.num_vgpr, 71
	.set .L_ZN7rocprim17ROCPRIM_400000_NS6detail26segmented_warp_sort_helperINS1_20WarpSortHelperConfigILj16ELj8ELj256EEEblLi256ELb1EvE4sortIPKbPbPKlPlEEvT_T0_T1_T2_jjjjRNS5_12storage_typeE.num_agpr, 0
	.set .L_ZN7rocprim17ROCPRIM_400000_NS6detail26segmented_warp_sort_helperINS1_20WarpSortHelperConfigILj16ELj8ELj256EEEblLi256ELb1EvE4sortIPKbPbPKlPlEEvT_T0_T1_T2_jjjjRNS5_12storage_typeE.numbered_sgpr, 33
	.set .L_ZN7rocprim17ROCPRIM_400000_NS6detail26segmented_warp_sort_helperINS1_20WarpSortHelperConfigILj16ELj8ELj256EEEblLi256ELb1EvE4sortIPKbPbPKlPlEEvT_T0_T1_T2_jjjjRNS5_12storage_typeE.num_named_barrier, 0
	.set .L_ZN7rocprim17ROCPRIM_400000_NS6detail26segmented_warp_sort_helperINS1_20WarpSortHelperConfigILj16ELj8ELj256EEEblLi256ELb1EvE4sortIPKbPbPKlPlEEvT_T0_T1_T2_jjjjRNS5_12storage_typeE.private_seg_size, 12
	.set .L_ZN7rocprim17ROCPRIM_400000_NS6detail26segmented_warp_sort_helperINS1_20WarpSortHelperConfigILj16ELj8ELj256EEEblLi256ELb1EvE4sortIPKbPbPKlPlEEvT_T0_T1_T2_jjjjRNS5_12storage_typeE.uses_vcc, 1
	.set .L_ZN7rocprim17ROCPRIM_400000_NS6detail26segmented_warp_sort_helperINS1_20WarpSortHelperConfigILj16ELj8ELj256EEEblLi256ELb1EvE4sortIPKbPbPKlPlEEvT_T0_T1_T2_jjjjRNS5_12storage_typeE.uses_flat_scratch, 1
	.set .L_ZN7rocprim17ROCPRIM_400000_NS6detail26segmented_warp_sort_helperINS1_20WarpSortHelperConfigILj16ELj8ELj256EEEblLi256ELb1EvE4sortIPKbPbPKlPlEEvT_T0_T1_T2_jjjjRNS5_12storage_typeE.has_dyn_sized_stack, 0
	.set .L_ZN7rocprim17ROCPRIM_400000_NS6detail26segmented_warp_sort_helperINS1_20WarpSortHelperConfigILj16ELj8ELj256EEEblLi256ELb1EvE4sortIPKbPbPKlPlEEvT_T0_T1_T2_jjjjRNS5_12storage_typeE.has_recursion, 0
	.set .L_ZN7rocprim17ROCPRIM_400000_NS6detail26segmented_warp_sort_helperINS1_20WarpSortHelperConfigILj16ELj8ELj256EEEblLi256ELb1EvE4sortIPKbPbPKlPlEEvT_T0_T1_T2_jjjjRNS5_12storage_typeE.has_indirect_call, 0
	.section	.AMDGPU.csdata,"",@progbits
; Function info:
; codeLenInByte = 22264
; TotalNumSgprs: 35
; NumVgprs: 71
; ScratchSize: 12
; MemoryBound: 0
	.section	.text._ZN7rocprim17ROCPRIM_400000_NS6detail17trampoline_kernelINS0_14default_configENS1_36segmented_radix_sort_config_selectorIblEEZNS1_25segmented_radix_sort_implIS3_Lb1EPKbPbPKlPlN2at6native12_GLOBAL__N_18offset_tEEE10hipError_tPvRmT1_PNSt15iterator_traitsISK_E10value_typeET2_T3_PNSL_ISQ_E10value_typeET4_jRbjT5_SW_jjP12ihipStream_tbEUlT_E0_NS1_11comp_targetILNS1_3genE10ELNS1_11target_archE1201ELNS1_3gpuE5ELNS1_3repE0EEENS1_60segmented_radix_sort_warp_sort_medium_config_static_selectorELNS0_4arch9wavefront6targetE0EEEvSK_,"axG",@progbits,_ZN7rocprim17ROCPRIM_400000_NS6detail17trampoline_kernelINS0_14default_configENS1_36segmented_radix_sort_config_selectorIblEEZNS1_25segmented_radix_sort_implIS3_Lb1EPKbPbPKlPlN2at6native12_GLOBAL__N_18offset_tEEE10hipError_tPvRmT1_PNSt15iterator_traitsISK_E10value_typeET2_T3_PNSL_ISQ_E10value_typeET4_jRbjT5_SW_jjP12ihipStream_tbEUlT_E0_NS1_11comp_targetILNS1_3genE10ELNS1_11target_archE1201ELNS1_3gpuE5ELNS1_3repE0EEENS1_60segmented_radix_sort_warp_sort_medium_config_static_selectorELNS0_4arch9wavefront6targetE0EEEvSK_,comdat
	.globl	_ZN7rocprim17ROCPRIM_400000_NS6detail17trampoline_kernelINS0_14default_configENS1_36segmented_radix_sort_config_selectorIblEEZNS1_25segmented_radix_sort_implIS3_Lb1EPKbPbPKlPlN2at6native12_GLOBAL__N_18offset_tEEE10hipError_tPvRmT1_PNSt15iterator_traitsISK_E10value_typeET2_T3_PNSL_ISQ_E10value_typeET4_jRbjT5_SW_jjP12ihipStream_tbEUlT_E0_NS1_11comp_targetILNS1_3genE10ELNS1_11target_archE1201ELNS1_3gpuE5ELNS1_3repE0EEENS1_60segmented_radix_sort_warp_sort_medium_config_static_selectorELNS0_4arch9wavefront6targetE0EEEvSK_ ; -- Begin function _ZN7rocprim17ROCPRIM_400000_NS6detail17trampoline_kernelINS0_14default_configENS1_36segmented_radix_sort_config_selectorIblEEZNS1_25segmented_radix_sort_implIS3_Lb1EPKbPbPKlPlN2at6native12_GLOBAL__N_18offset_tEEE10hipError_tPvRmT1_PNSt15iterator_traitsISK_E10value_typeET2_T3_PNSL_ISQ_E10value_typeET4_jRbjT5_SW_jjP12ihipStream_tbEUlT_E0_NS1_11comp_targetILNS1_3genE10ELNS1_11target_archE1201ELNS1_3gpuE5ELNS1_3repE0EEENS1_60segmented_radix_sort_warp_sort_medium_config_static_selectorELNS0_4arch9wavefront6targetE0EEEvSK_
	.p2align	8
	.type	_ZN7rocprim17ROCPRIM_400000_NS6detail17trampoline_kernelINS0_14default_configENS1_36segmented_radix_sort_config_selectorIblEEZNS1_25segmented_radix_sort_implIS3_Lb1EPKbPbPKlPlN2at6native12_GLOBAL__N_18offset_tEEE10hipError_tPvRmT1_PNSt15iterator_traitsISK_E10value_typeET2_T3_PNSL_ISQ_E10value_typeET4_jRbjT5_SW_jjP12ihipStream_tbEUlT_E0_NS1_11comp_targetILNS1_3genE10ELNS1_11target_archE1201ELNS1_3gpuE5ELNS1_3repE0EEENS1_60segmented_radix_sort_warp_sort_medium_config_static_selectorELNS0_4arch9wavefront6targetE0EEEvSK_,@function
_ZN7rocprim17ROCPRIM_400000_NS6detail17trampoline_kernelINS0_14default_configENS1_36segmented_radix_sort_config_selectorIblEEZNS1_25segmented_radix_sort_implIS3_Lb1EPKbPbPKlPlN2at6native12_GLOBAL__N_18offset_tEEE10hipError_tPvRmT1_PNSt15iterator_traitsISK_E10value_typeET2_T3_PNSL_ISQ_E10value_typeET4_jRbjT5_SW_jjP12ihipStream_tbEUlT_E0_NS1_11comp_targetILNS1_3genE10ELNS1_11target_archE1201ELNS1_3gpuE5ELNS1_3repE0EEENS1_60segmented_radix_sort_warp_sort_medium_config_static_selectorELNS0_4arch9wavefront6targetE0EEEvSK_: ; @_ZN7rocprim17ROCPRIM_400000_NS6detail17trampoline_kernelINS0_14default_configENS1_36segmented_radix_sort_config_selectorIblEEZNS1_25segmented_radix_sort_implIS3_Lb1EPKbPbPKlPlN2at6native12_GLOBAL__N_18offset_tEEE10hipError_tPvRmT1_PNSt15iterator_traitsISK_E10value_typeET2_T3_PNSL_ISQ_E10value_typeET4_jRbjT5_SW_jjP12ihipStream_tbEUlT_E0_NS1_11comp_targetILNS1_3genE10ELNS1_11target_archE1201ELNS1_3gpuE5ELNS1_3repE0EEENS1_60segmented_radix_sort_warp_sort_medium_config_static_selectorELNS0_4arch9wavefront6targetE0EEEvSK_
; %bb.0:
	s_load_b32 s2, s[0:1], 0x64
	v_bfe_u32 v1, v0, 10, 10
	v_bfe_u32 v2, v0, 20, 10
	s_mov_b32 s32, 0
	s_wait_kmcnt 0x0
	s_lshr_b32 s3, s2, 16
	s_and_b32 s2, s2, 0xffff
	v_mad_u32_u24 v2, v2, s3, v1
	v_and_b32_e32 v1, 0x3ff, v0
	s_load_b32 s3, s[0:1], 0x34
	s_delay_alu instid0(VALU_DEP_1) | instskip(SKIP_2) | instid1(VALU_DEP_1)
	v_mad_co_u64_u32 v[1:2], null, v2, s2, v[1:2]
	s_mov_b32 s2, exec_lo
	v_lshrrev_b32_e32 v1, 4, v1
	v_lshl_add_u32 v1, ttmp9, 4, v1
	s_wait_kmcnt 0x0
	s_delay_alu instid0(VALU_DEP_1)
	v_cmpx_gt_u32_e64 s3, v1
	s_cbranch_execz .LBB1548_6
; %bb.1:
	s_clause 0x1
	s_load_b64 s[2:3], s[0:1], 0x38
	s_load_b128 s[4:7], s[0:1], 0x40
	v_mov_b32_e32 v2, 0
	s_delay_alu instid0(VALU_DEP_1) | instskip(SKIP_1) | instid1(VALU_DEP_1)
	v_lshlrev_b64_e32 v[1:2], 2, v[1:2]
	s_wait_kmcnt 0x0
	v_add_co_u32 v1, vcc_lo, s2, v1
	s_delay_alu instid0(VALU_DEP_1) | instskip(SKIP_4) | instid1(VALU_DEP_2)
	v_add_co_ci_u32_e64 v2, null, s3, v2, vcc_lo
	global_load_b32 v1, v[1:2], off
	s_wait_loadcnt 0x0
	v_add_nc_u32_e32 v2, s5, v1
	v_add_nc_u32_e32 v1, s7, v1
	v_mul_lo_u32 v8, v2, s4
	s_delay_alu instid0(VALU_DEP_2) | instskip(NEXT) | instid1(VALU_DEP_1)
	v_mul_lo_u32 v40, v1, s6
	v_cmp_gt_u32_e32 vcc_lo, v40, v8
	s_and_b32 exec_lo, exec_lo, vcc_lo
	s_cbranch_execz .LBB1548_6
; %bb.2:
	s_clause 0x3
	s_load_b32 s2, s[0:1], 0x30
	s_load_b128 s[24:27], s[0:1], 0x20
	s_load_b256 s[36:43], s[0:1], 0x0
	s_load_b64 s[28:29], s[0:1], 0x50
	s_add_nc_u64 s[22:23], s[0:1], 0x58
	s_wait_kmcnt 0x0
	s_bitcmp0_b32 s2, 0
	s_mov_b32 s2, -1
	s_cbranch_scc0 .LBB1548_4
; %bb.3:
	v_mov_b32_e32 v31, v0
	v_dual_mov_b32 v41, v0 :: v_dual_mov_b32 v2, s38
	v_dual_mov_b32 v0, s36 :: v_dual_mov_b32 v1, s37
	;; [unrolled: 1-line block ×5, first 2 shown]
	v_mov_b32_e32 v9, v40
	v_mov_b32_e32 v11, s29
	s_getpc_b64 s[0:1]
	s_wait_alu 0xfffe
	s_sext_i32_i16 s1, s1
	s_add_co_u32 s0, s0, _ZN7rocprim17ROCPRIM_400000_NS6detail26segmented_warp_sort_helperINS1_20WarpSortHelperConfigILj16ELj8ELj256EEEblLi256ELb1EvE4sortIPKbPbPKlPlEEvT_T0_T1_T2_jjjjRNS5_12storage_typeE@rel32@lo+12
	s_wait_alu 0xfffe
	s_add_co_ci_u32 s1, s1, _ZN7rocprim17ROCPRIM_400000_NS6detail26segmented_warp_sort_helperINS1_20WarpSortHelperConfigILj16ELj8ELj256EEEblLi256ELb1EvE4sortIPKbPbPKlPlEEvT_T0_T1_T2_jjjjRNS5_12storage_typeE@rel32@hi+24
	s_mov_b64 s[8:9], s[22:23]
	s_wait_alu 0xfffe
	s_swappc_b64 s[30:31], s[0:1]
	v_mov_b32_e32 v0, v41
	s_mov_b32 s2, 0
.LBB1548_4:
	s_wait_alu 0xfffe
	s_and_not1_b32 vcc_lo, exec_lo, s2
	s_wait_alu 0xfffe
	s_cbranch_vccnz .LBB1548_6
; %bb.5:
	v_dual_mov_b32 v31, v0 :: v_dual_mov_b32 v0, s36
	v_dual_mov_b32 v1, s37 :: v_dual_mov_b32 v2, s40
	;; [unrolled: 1-line block ×5, first 2 shown]
	v_mov_b32_e32 v9, v40
	v_mov_b32_e32 v11, s29
	s_getpc_b64 s[0:1]
	s_wait_alu 0xfffe
	s_sext_i32_i16 s1, s1
	s_add_co_u32 s0, s0, _ZN7rocprim17ROCPRIM_400000_NS6detail26segmented_warp_sort_helperINS1_20WarpSortHelperConfigILj16ELj8ELj256EEEblLi256ELb1EvE4sortIPKbPbPKlPlEEvT_T0_T1_T2_jjjjRNS5_12storage_typeE@rel32@lo+12
	s_wait_alu 0xfffe
	s_add_co_ci_u32 s1, s1, _ZN7rocprim17ROCPRIM_400000_NS6detail26segmented_warp_sort_helperINS1_20WarpSortHelperConfigILj16ELj8ELj256EEEblLi256ELb1EvE4sortIPKbPbPKlPlEEvT_T0_T1_T2_jjjjRNS5_12storage_typeE@rel32@hi+24
	s_mov_b64 s[8:9], s[22:23]
	s_wait_alu 0xfffe
	s_swappc_b64 s[30:31], s[0:1]
.LBB1548_6:
	s_endpgm
	.section	.rodata,"a",@progbits
	.p2align	6, 0x0
	.amdhsa_kernel _ZN7rocprim17ROCPRIM_400000_NS6detail17trampoline_kernelINS0_14default_configENS1_36segmented_radix_sort_config_selectorIblEEZNS1_25segmented_radix_sort_implIS3_Lb1EPKbPbPKlPlN2at6native12_GLOBAL__N_18offset_tEEE10hipError_tPvRmT1_PNSt15iterator_traitsISK_E10value_typeET2_T3_PNSL_ISQ_E10value_typeET4_jRbjT5_SW_jjP12ihipStream_tbEUlT_E0_NS1_11comp_targetILNS1_3genE10ELNS1_11target_archE1201ELNS1_3gpuE5ELNS1_3repE0EEENS1_60segmented_radix_sort_warp_sort_medium_config_static_selectorELNS0_4arch9wavefront6targetE0EEEvSK_
		.amdhsa_group_segment_fixed_size 18432
		.amdhsa_private_segment_fixed_size 12
		.amdhsa_kernarg_size 344
		.amdhsa_user_sgpr_count 2
		.amdhsa_user_sgpr_dispatch_ptr 0
		.amdhsa_user_sgpr_queue_ptr 0
		.amdhsa_user_sgpr_kernarg_segment_ptr 1
		.amdhsa_user_sgpr_dispatch_id 0
		.amdhsa_user_sgpr_private_segment_size 0
		.amdhsa_wavefront_size32 1
		.amdhsa_uses_dynamic_stack 0
		.amdhsa_enable_private_segment 1
		.amdhsa_system_sgpr_workgroup_id_x 1
		.amdhsa_system_sgpr_workgroup_id_y 1
		.amdhsa_system_sgpr_workgroup_id_z 0
		.amdhsa_system_sgpr_workgroup_info 0
		.amdhsa_system_vgpr_workitem_id 2
		.amdhsa_next_free_vgpr 71
		.amdhsa_next_free_sgpr 44
		.amdhsa_reserve_vcc 1
		.amdhsa_float_round_mode_32 0
		.amdhsa_float_round_mode_16_64 0
		.amdhsa_float_denorm_mode_32 3
		.amdhsa_float_denorm_mode_16_64 3
		.amdhsa_fp16_overflow 0
		.amdhsa_workgroup_processor_mode 1
		.amdhsa_memory_ordered 1
		.amdhsa_forward_progress 1
		.amdhsa_inst_pref_size 4
		.amdhsa_round_robin_scheduling 0
		.amdhsa_exception_fp_ieee_invalid_op 0
		.amdhsa_exception_fp_denorm_src 0
		.amdhsa_exception_fp_ieee_div_zero 0
		.amdhsa_exception_fp_ieee_overflow 0
		.amdhsa_exception_fp_ieee_underflow 0
		.amdhsa_exception_fp_ieee_inexact 0
		.amdhsa_exception_int_div_zero 0
	.end_amdhsa_kernel
	.section	.text._ZN7rocprim17ROCPRIM_400000_NS6detail17trampoline_kernelINS0_14default_configENS1_36segmented_radix_sort_config_selectorIblEEZNS1_25segmented_radix_sort_implIS3_Lb1EPKbPbPKlPlN2at6native12_GLOBAL__N_18offset_tEEE10hipError_tPvRmT1_PNSt15iterator_traitsISK_E10value_typeET2_T3_PNSL_ISQ_E10value_typeET4_jRbjT5_SW_jjP12ihipStream_tbEUlT_E0_NS1_11comp_targetILNS1_3genE10ELNS1_11target_archE1201ELNS1_3gpuE5ELNS1_3repE0EEENS1_60segmented_radix_sort_warp_sort_medium_config_static_selectorELNS0_4arch9wavefront6targetE0EEEvSK_,"axG",@progbits,_ZN7rocprim17ROCPRIM_400000_NS6detail17trampoline_kernelINS0_14default_configENS1_36segmented_radix_sort_config_selectorIblEEZNS1_25segmented_radix_sort_implIS3_Lb1EPKbPbPKlPlN2at6native12_GLOBAL__N_18offset_tEEE10hipError_tPvRmT1_PNSt15iterator_traitsISK_E10value_typeET2_T3_PNSL_ISQ_E10value_typeET4_jRbjT5_SW_jjP12ihipStream_tbEUlT_E0_NS1_11comp_targetILNS1_3genE10ELNS1_11target_archE1201ELNS1_3gpuE5ELNS1_3repE0EEENS1_60segmented_radix_sort_warp_sort_medium_config_static_selectorELNS0_4arch9wavefront6targetE0EEEvSK_,comdat
.Lfunc_end1548:
	.size	_ZN7rocprim17ROCPRIM_400000_NS6detail17trampoline_kernelINS0_14default_configENS1_36segmented_radix_sort_config_selectorIblEEZNS1_25segmented_radix_sort_implIS3_Lb1EPKbPbPKlPlN2at6native12_GLOBAL__N_18offset_tEEE10hipError_tPvRmT1_PNSt15iterator_traitsISK_E10value_typeET2_T3_PNSL_ISQ_E10value_typeET4_jRbjT5_SW_jjP12ihipStream_tbEUlT_E0_NS1_11comp_targetILNS1_3genE10ELNS1_11target_archE1201ELNS1_3gpuE5ELNS1_3repE0EEENS1_60segmented_radix_sort_warp_sort_medium_config_static_selectorELNS0_4arch9wavefront6targetE0EEEvSK_, .Lfunc_end1548-_ZN7rocprim17ROCPRIM_400000_NS6detail17trampoline_kernelINS0_14default_configENS1_36segmented_radix_sort_config_selectorIblEEZNS1_25segmented_radix_sort_implIS3_Lb1EPKbPbPKlPlN2at6native12_GLOBAL__N_18offset_tEEE10hipError_tPvRmT1_PNSt15iterator_traitsISK_E10value_typeET2_T3_PNSL_ISQ_E10value_typeET4_jRbjT5_SW_jjP12ihipStream_tbEUlT_E0_NS1_11comp_targetILNS1_3genE10ELNS1_11target_archE1201ELNS1_3gpuE5ELNS1_3repE0EEENS1_60segmented_radix_sort_warp_sort_medium_config_static_selectorELNS0_4arch9wavefront6targetE0EEEvSK_
                                        ; -- End function
	.set _ZN7rocprim17ROCPRIM_400000_NS6detail17trampoline_kernelINS0_14default_configENS1_36segmented_radix_sort_config_selectorIblEEZNS1_25segmented_radix_sort_implIS3_Lb1EPKbPbPKlPlN2at6native12_GLOBAL__N_18offset_tEEE10hipError_tPvRmT1_PNSt15iterator_traitsISK_E10value_typeET2_T3_PNSL_ISQ_E10value_typeET4_jRbjT5_SW_jjP12ihipStream_tbEUlT_E0_NS1_11comp_targetILNS1_3genE10ELNS1_11target_archE1201ELNS1_3gpuE5ELNS1_3repE0EEENS1_60segmented_radix_sort_warp_sort_medium_config_static_selectorELNS0_4arch9wavefront6targetE0EEEvSK_.num_vgpr, max(42, .L_ZN7rocprim17ROCPRIM_400000_NS6detail26segmented_warp_sort_helperINS1_20WarpSortHelperConfigILj16ELj8ELj256EEEblLi256ELb1EvE4sortIPKbPbPKlPlEEvT_T0_T1_T2_jjjjRNS5_12storage_typeE.num_vgpr)
	.set _ZN7rocprim17ROCPRIM_400000_NS6detail17trampoline_kernelINS0_14default_configENS1_36segmented_radix_sort_config_selectorIblEEZNS1_25segmented_radix_sort_implIS3_Lb1EPKbPbPKlPlN2at6native12_GLOBAL__N_18offset_tEEE10hipError_tPvRmT1_PNSt15iterator_traitsISK_E10value_typeET2_T3_PNSL_ISQ_E10value_typeET4_jRbjT5_SW_jjP12ihipStream_tbEUlT_E0_NS1_11comp_targetILNS1_3genE10ELNS1_11target_archE1201ELNS1_3gpuE5ELNS1_3repE0EEENS1_60segmented_radix_sort_warp_sort_medium_config_static_selectorELNS0_4arch9wavefront6targetE0EEEvSK_.num_agpr, max(0, .L_ZN7rocprim17ROCPRIM_400000_NS6detail26segmented_warp_sort_helperINS1_20WarpSortHelperConfigILj16ELj8ELj256EEEblLi256ELb1EvE4sortIPKbPbPKlPlEEvT_T0_T1_T2_jjjjRNS5_12storage_typeE.num_agpr)
	.set _ZN7rocprim17ROCPRIM_400000_NS6detail17trampoline_kernelINS0_14default_configENS1_36segmented_radix_sort_config_selectorIblEEZNS1_25segmented_radix_sort_implIS3_Lb1EPKbPbPKlPlN2at6native12_GLOBAL__N_18offset_tEEE10hipError_tPvRmT1_PNSt15iterator_traitsISK_E10value_typeET2_T3_PNSL_ISQ_E10value_typeET4_jRbjT5_SW_jjP12ihipStream_tbEUlT_E0_NS1_11comp_targetILNS1_3genE10ELNS1_11target_archE1201ELNS1_3gpuE5ELNS1_3repE0EEENS1_60segmented_radix_sort_warp_sort_medium_config_static_selectorELNS0_4arch9wavefront6targetE0EEEvSK_.numbered_sgpr, max(44, .L_ZN7rocprim17ROCPRIM_400000_NS6detail26segmented_warp_sort_helperINS1_20WarpSortHelperConfigILj16ELj8ELj256EEEblLi256ELb1EvE4sortIPKbPbPKlPlEEvT_T0_T1_T2_jjjjRNS5_12storage_typeE.numbered_sgpr)
	.set _ZN7rocprim17ROCPRIM_400000_NS6detail17trampoline_kernelINS0_14default_configENS1_36segmented_radix_sort_config_selectorIblEEZNS1_25segmented_radix_sort_implIS3_Lb1EPKbPbPKlPlN2at6native12_GLOBAL__N_18offset_tEEE10hipError_tPvRmT1_PNSt15iterator_traitsISK_E10value_typeET2_T3_PNSL_ISQ_E10value_typeET4_jRbjT5_SW_jjP12ihipStream_tbEUlT_E0_NS1_11comp_targetILNS1_3genE10ELNS1_11target_archE1201ELNS1_3gpuE5ELNS1_3repE0EEENS1_60segmented_radix_sort_warp_sort_medium_config_static_selectorELNS0_4arch9wavefront6targetE0EEEvSK_.num_named_barrier, max(0, .L_ZN7rocprim17ROCPRIM_400000_NS6detail26segmented_warp_sort_helperINS1_20WarpSortHelperConfigILj16ELj8ELj256EEEblLi256ELb1EvE4sortIPKbPbPKlPlEEvT_T0_T1_T2_jjjjRNS5_12storage_typeE.num_named_barrier)
	.set _ZN7rocprim17ROCPRIM_400000_NS6detail17trampoline_kernelINS0_14default_configENS1_36segmented_radix_sort_config_selectorIblEEZNS1_25segmented_radix_sort_implIS3_Lb1EPKbPbPKlPlN2at6native12_GLOBAL__N_18offset_tEEE10hipError_tPvRmT1_PNSt15iterator_traitsISK_E10value_typeET2_T3_PNSL_ISQ_E10value_typeET4_jRbjT5_SW_jjP12ihipStream_tbEUlT_E0_NS1_11comp_targetILNS1_3genE10ELNS1_11target_archE1201ELNS1_3gpuE5ELNS1_3repE0EEENS1_60segmented_radix_sort_warp_sort_medium_config_static_selectorELNS0_4arch9wavefront6targetE0EEEvSK_.private_seg_size, 0+max(.L_ZN7rocprim17ROCPRIM_400000_NS6detail26segmented_warp_sort_helperINS1_20WarpSortHelperConfigILj16ELj8ELj256EEEblLi256ELb1EvE4sortIPKbPbPKlPlEEvT_T0_T1_T2_jjjjRNS5_12storage_typeE.private_seg_size)
	.set _ZN7rocprim17ROCPRIM_400000_NS6detail17trampoline_kernelINS0_14default_configENS1_36segmented_radix_sort_config_selectorIblEEZNS1_25segmented_radix_sort_implIS3_Lb1EPKbPbPKlPlN2at6native12_GLOBAL__N_18offset_tEEE10hipError_tPvRmT1_PNSt15iterator_traitsISK_E10value_typeET2_T3_PNSL_ISQ_E10value_typeET4_jRbjT5_SW_jjP12ihipStream_tbEUlT_E0_NS1_11comp_targetILNS1_3genE10ELNS1_11target_archE1201ELNS1_3gpuE5ELNS1_3repE0EEENS1_60segmented_radix_sort_warp_sort_medium_config_static_selectorELNS0_4arch9wavefront6targetE0EEEvSK_.uses_vcc, or(1, .L_ZN7rocprim17ROCPRIM_400000_NS6detail26segmented_warp_sort_helperINS1_20WarpSortHelperConfigILj16ELj8ELj256EEEblLi256ELb1EvE4sortIPKbPbPKlPlEEvT_T0_T1_T2_jjjjRNS5_12storage_typeE.uses_vcc)
	.set _ZN7rocprim17ROCPRIM_400000_NS6detail17trampoline_kernelINS0_14default_configENS1_36segmented_radix_sort_config_selectorIblEEZNS1_25segmented_radix_sort_implIS3_Lb1EPKbPbPKlPlN2at6native12_GLOBAL__N_18offset_tEEE10hipError_tPvRmT1_PNSt15iterator_traitsISK_E10value_typeET2_T3_PNSL_ISQ_E10value_typeET4_jRbjT5_SW_jjP12ihipStream_tbEUlT_E0_NS1_11comp_targetILNS1_3genE10ELNS1_11target_archE1201ELNS1_3gpuE5ELNS1_3repE0EEENS1_60segmented_radix_sort_warp_sort_medium_config_static_selectorELNS0_4arch9wavefront6targetE0EEEvSK_.uses_flat_scratch, or(0, .L_ZN7rocprim17ROCPRIM_400000_NS6detail26segmented_warp_sort_helperINS1_20WarpSortHelperConfigILj16ELj8ELj256EEEblLi256ELb1EvE4sortIPKbPbPKlPlEEvT_T0_T1_T2_jjjjRNS5_12storage_typeE.uses_flat_scratch)
	.set _ZN7rocprim17ROCPRIM_400000_NS6detail17trampoline_kernelINS0_14default_configENS1_36segmented_radix_sort_config_selectorIblEEZNS1_25segmented_radix_sort_implIS3_Lb1EPKbPbPKlPlN2at6native12_GLOBAL__N_18offset_tEEE10hipError_tPvRmT1_PNSt15iterator_traitsISK_E10value_typeET2_T3_PNSL_ISQ_E10value_typeET4_jRbjT5_SW_jjP12ihipStream_tbEUlT_E0_NS1_11comp_targetILNS1_3genE10ELNS1_11target_archE1201ELNS1_3gpuE5ELNS1_3repE0EEENS1_60segmented_radix_sort_warp_sort_medium_config_static_selectorELNS0_4arch9wavefront6targetE0EEEvSK_.has_dyn_sized_stack, or(0, .L_ZN7rocprim17ROCPRIM_400000_NS6detail26segmented_warp_sort_helperINS1_20WarpSortHelperConfigILj16ELj8ELj256EEEblLi256ELb1EvE4sortIPKbPbPKlPlEEvT_T0_T1_T2_jjjjRNS5_12storage_typeE.has_dyn_sized_stack)
	.set _ZN7rocprim17ROCPRIM_400000_NS6detail17trampoline_kernelINS0_14default_configENS1_36segmented_radix_sort_config_selectorIblEEZNS1_25segmented_radix_sort_implIS3_Lb1EPKbPbPKlPlN2at6native12_GLOBAL__N_18offset_tEEE10hipError_tPvRmT1_PNSt15iterator_traitsISK_E10value_typeET2_T3_PNSL_ISQ_E10value_typeET4_jRbjT5_SW_jjP12ihipStream_tbEUlT_E0_NS1_11comp_targetILNS1_3genE10ELNS1_11target_archE1201ELNS1_3gpuE5ELNS1_3repE0EEENS1_60segmented_radix_sort_warp_sort_medium_config_static_selectorELNS0_4arch9wavefront6targetE0EEEvSK_.has_recursion, or(0, .L_ZN7rocprim17ROCPRIM_400000_NS6detail26segmented_warp_sort_helperINS1_20WarpSortHelperConfigILj16ELj8ELj256EEEblLi256ELb1EvE4sortIPKbPbPKlPlEEvT_T0_T1_T2_jjjjRNS5_12storage_typeE.has_recursion)
	.set _ZN7rocprim17ROCPRIM_400000_NS6detail17trampoline_kernelINS0_14default_configENS1_36segmented_radix_sort_config_selectorIblEEZNS1_25segmented_radix_sort_implIS3_Lb1EPKbPbPKlPlN2at6native12_GLOBAL__N_18offset_tEEE10hipError_tPvRmT1_PNSt15iterator_traitsISK_E10value_typeET2_T3_PNSL_ISQ_E10value_typeET4_jRbjT5_SW_jjP12ihipStream_tbEUlT_E0_NS1_11comp_targetILNS1_3genE10ELNS1_11target_archE1201ELNS1_3gpuE5ELNS1_3repE0EEENS1_60segmented_radix_sort_warp_sort_medium_config_static_selectorELNS0_4arch9wavefront6targetE0EEEvSK_.has_indirect_call, or(0, .L_ZN7rocprim17ROCPRIM_400000_NS6detail26segmented_warp_sort_helperINS1_20WarpSortHelperConfigILj16ELj8ELj256EEEblLi256ELb1EvE4sortIPKbPbPKlPlEEvT_T0_T1_T2_jjjjRNS5_12storage_typeE.has_indirect_call)
	.section	.AMDGPU.csdata,"",@progbits
; Kernel info:
; codeLenInByte = 504
; TotalNumSgprs: 46
; NumVgprs: 71
; ScratchSize: 12
; MemoryBound: 0
; FloatMode: 240
; IeeeMode: 1
; LDSByteSize: 18432 bytes/workgroup (compile time only)
; SGPRBlocks: 0
; VGPRBlocks: 8
; NumSGPRsForWavesPerEU: 46
; NumVGPRsForWavesPerEU: 71
; Occupancy: 14
; WaveLimiterHint : 0
; COMPUTE_PGM_RSRC2:SCRATCH_EN: 1
; COMPUTE_PGM_RSRC2:USER_SGPR: 2
; COMPUTE_PGM_RSRC2:TRAP_HANDLER: 0
; COMPUTE_PGM_RSRC2:TGID_X_EN: 1
; COMPUTE_PGM_RSRC2:TGID_Y_EN: 1
; COMPUTE_PGM_RSRC2:TGID_Z_EN: 0
; COMPUTE_PGM_RSRC2:TIDIG_COMP_CNT: 2
	.section	.text._ZN7rocprim17ROCPRIM_400000_NS6detail17trampoline_kernelINS0_14default_configENS1_36segmented_radix_sort_config_selectorIblEEZNS1_25segmented_radix_sort_implIS3_Lb1EPKbPbPKlPlN2at6native12_GLOBAL__N_18offset_tEEE10hipError_tPvRmT1_PNSt15iterator_traitsISK_E10value_typeET2_T3_PNSL_ISQ_E10value_typeET4_jRbjT5_SW_jjP12ihipStream_tbEUlT_E0_NS1_11comp_targetILNS1_3genE10ELNS1_11target_archE1200ELNS1_3gpuE4ELNS1_3repE0EEENS1_60segmented_radix_sort_warp_sort_medium_config_static_selectorELNS0_4arch9wavefront6targetE0EEEvSK_,"axG",@progbits,_ZN7rocprim17ROCPRIM_400000_NS6detail17trampoline_kernelINS0_14default_configENS1_36segmented_radix_sort_config_selectorIblEEZNS1_25segmented_radix_sort_implIS3_Lb1EPKbPbPKlPlN2at6native12_GLOBAL__N_18offset_tEEE10hipError_tPvRmT1_PNSt15iterator_traitsISK_E10value_typeET2_T3_PNSL_ISQ_E10value_typeET4_jRbjT5_SW_jjP12ihipStream_tbEUlT_E0_NS1_11comp_targetILNS1_3genE10ELNS1_11target_archE1200ELNS1_3gpuE4ELNS1_3repE0EEENS1_60segmented_radix_sort_warp_sort_medium_config_static_selectorELNS0_4arch9wavefront6targetE0EEEvSK_,comdat
	.globl	_ZN7rocprim17ROCPRIM_400000_NS6detail17trampoline_kernelINS0_14default_configENS1_36segmented_radix_sort_config_selectorIblEEZNS1_25segmented_radix_sort_implIS3_Lb1EPKbPbPKlPlN2at6native12_GLOBAL__N_18offset_tEEE10hipError_tPvRmT1_PNSt15iterator_traitsISK_E10value_typeET2_T3_PNSL_ISQ_E10value_typeET4_jRbjT5_SW_jjP12ihipStream_tbEUlT_E0_NS1_11comp_targetILNS1_3genE10ELNS1_11target_archE1200ELNS1_3gpuE4ELNS1_3repE0EEENS1_60segmented_radix_sort_warp_sort_medium_config_static_selectorELNS0_4arch9wavefront6targetE0EEEvSK_ ; -- Begin function _ZN7rocprim17ROCPRIM_400000_NS6detail17trampoline_kernelINS0_14default_configENS1_36segmented_radix_sort_config_selectorIblEEZNS1_25segmented_radix_sort_implIS3_Lb1EPKbPbPKlPlN2at6native12_GLOBAL__N_18offset_tEEE10hipError_tPvRmT1_PNSt15iterator_traitsISK_E10value_typeET2_T3_PNSL_ISQ_E10value_typeET4_jRbjT5_SW_jjP12ihipStream_tbEUlT_E0_NS1_11comp_targetILNS1_3genE10ELNS1_11target_archE1200ELNS1_3gpuE4ELNS1_3repE0EEENS1_60segmented_radix_sort_warp_sort_medium_config_static_selectorELNS0_4arch9wavefront6targetE0EEEvSK_
	.p2align	8
	.type	_ZN7rocprim17ROCPRIM_400000_NS6detail17trampoline_kernelINS0_14default_configENS1_36segmented_radix_sort_config_selectorIblEEZNS1_25segmented_radix_sort_implIS3_Lb1EPKbPbPKlPlN2at6native12_GLOBAL__N_18offset_tEEE10hipError_tPvRmT1_PNSt15iterator_traitsISK_E10value_typeET2_T3_PNSL_ISQ_E10value_typeET4_jRbjT5_SW_jjP12ihipStream_tbEUlT_E0_NS1_11comp_targetILNS1_3genE10ELNS1_11target_archE1200ELNS1_3gpuE4ELNS1_3repE0EEENS1_60segmented_radix_sort_warp_sort_medium_config_static_selectorELNS0_4arch9wavefront6targetE0EEEvSK_,@function
_ZN7rocprim17ROCPRIM_400000_NS6detail17trampoline_kernelINS0_14default_configENS1_36segmented_radix_sort_config_selectorIblEEZNS1_25segmented_radix_sort_implIS3_Lb1EPKbPbPKlPlN2at6native12_GLOBAL__N_18offset_tEEE10hipError_tPvRmT1_PNSt15iterator_traitsISK_E10value_typeET2_T3_PNSL_ISQ_E10value_typeET4_jRbjT5_SW_jjP12ihipStream_tbEUlT_E0_NS1_11comp_targetILNS1_3genE10ELNS1_11target_archE1200ELNS1_3gpuE4ELNS1_3repE0EEENS1_60segmented_radix_sort_warp_sort_medium_config_static_selectorELNS0_4arch9wavefront6targetE0EEEvSK_: ; @_ZN7rocprim17ROCPRIM_400000_NS6detail17trampoline_kernelINS0_14default_configENS1_36segmented_radix_sort_config_selectorIblEEZNS1_25segmented_radix_sort_implIS3_Lb1EPKbPbPKlPlN2at6native12_GLOBAL__N_18offset_tEEE10hipError_tPvRmT1_PNSt15iterator_traitsISK_E10value_typeET2_T3_PNSL_ISQ_E10value_typeET4_jRbjT5_SW_jjP12ihipStream_tbEUlT_E0_NS1_11comp_targetILNS1_3genE10ELNS1_11target_archE1200ELNS1_3gpuE4ELNS1_3repE0EEENS1_60segmented_radix_sort_warp_sort_medium_config_static_selectorELNS0_4arch9wavefront6targetE0EEEvSK_
; %bb.0:
	.section	.rodata,"a",@progbits
	.p2align	6, 0x0
	.amdhsa_kernel _ZN7rocprim17ROCPRIM_400000_NS6detail17trampoline_kernelINS0_14default_configENS1_36segmented_radix_sort_config_selectorIblEEZNS1_25segmented_radix_sort_implIS3_Lb1EPKbPbPKlPlN2at6native12_GLOBAL__N_18offset_tEEE10hipError_tPvRmT1_PNSt15iterator_traitsISK_E10value_typeET2_T3_PNSL_ISQ_E10value_typeET4_jRbjT5_SW_jjP12ihipStream_tbEUlT_E0_NS1_11comp_targetILNS1_3genE10ELNS1_11target_archE1200ELNS1_3gpuE4ELNS1_3repE0EEENS1_60segmented_radix_sort_warp_sort_medium_config_static_selectorELNS0_4arch9wavefront6targetE0EEEvSK_
		.amdhsa_group_segment_fixed_size 0
		.amdhsa_private_segment_fixed_size 0
		.amdhsa_kernarg_size 88
		.amdhsa_user_sgpr_count 2
		.amdhsa_user_sgpr_dispatch_ptr 0
		.amdhsa_user_sgpr_queue_ptr 0
		.amdhsa_user_sgpr_kernarg_segment_ptr 1
		.amdhsa_user_sgpr_dispatch_id 0
		.amdhsa_user_sgpr_private_segment_size 0
		.amdhsa_wavefront_size32 1
		.amdhsa_uses_dynamic_stack 0
		.amdhsa_enable_private_segment 0
		.amdhsa_system_sgpr_workgroup_id_x 1
		.amdhsa_system_sgpr_workgroup_id_y 0
		.amdhsa_system_sgpr_workgroup_id_z 0
		.amdhsa_system_sgpr_workgroup_info 0
		.amdhsa_system_vgpr_workitem_id 0
		.amdhsa_next_free_vgpr 1
		.amdhsa_next_free_sgpr 1
		.amdhsa_reserve_vcc 0
		.amdhsa_float_round_mode_32 0
		.amdhsa_float_round_mode_16_64 0
		.amdhsa_float_denorm_mode_32 3
		.amdhsa_float_denorm_mode_16_64 3
		.amdhsa_fp16_overflow 0
		.amdhsa_workgroup_processor_mode 1
		.amdhsa_memory_ordered 1
		.amdhsa_forward_progress 1
		.amdhsa_inst_pref_size 0
		.amdhsa_round_robin_scheduling 0
		.amdhsa_exception_fp_ieee_invalid_op 0
		.amdhsa_exception_fp_denorm_src 0
		.amdhsa_exception_fp_ieee_div_zero 0
		.amdhsa_exception_fp_ieee_overflow 0
		.amdhsa_exception_fp_ieee_underflow 0
		.amdhsa_exception_fp_ieee_inexact 0
		.amdhsa_exception_int_div_zero 0
	.end_amdhsa_kernel
	.section	.text._ZN7rocprim17ROCPRIM_400000_NS6detail17trampoline_kernelINS0_14default_configENS1_36segmented_radix_sort_config_selectorIblEEZNS1_25segmented_radix_sort_implIS3_Lb1EPKbPbPKlPlN2at6native12_GLOBAL__N_18offset_tEEE10hipError_tPvRmT1_PNSt15iterator_traitsISK_E10value_typeET2_T3_PNSL_ISQ_E10value_typeET4_jRbjT5_SW_jjP12ihipStream_tbEUlT_E0_NS1_11comp_targetILNS1_3genE10ELNS1_11target_archE1200ELNS1_3gpuE4ELNS1_3repE0EEENS1_60segmented_radix_sort_warp_sort_medium_config_static_selectorELNS0_4arch9wavefront6targetE0EEEvSK_,"axG",@progbits,_ZN7rocprim17ROCPRIM_400000_NS6detail17trampoline_kernelINS0_14default_configENS1_36segmented_radix_sort_config_selectorIblEEZNS1_25segmented_radix_sort_implIS3_Lb1EPKbPbPKlPlN2at6native12_GLOBAL__N_18offset_tEEE10hipError_tPvRmT1_PNSt15iterator_traitsISK_E10value_typeET2_T3_PNSL_ISQ_E10value_typeET4_jRbjT5_SW_jjP12ihipStream_tbEUlT_E0_NS1_11comp_targetILNS1_3genE10ELNS1_11target_archE1200ELNS1_3gpuE4ELNS1_3repE0EEENS1_60segmented_radix_sort_warp_sort_medium_config_static_selectorELNS0_4arch9wavefront6targetE0EEEvSK_,comdat
.Lfunc_end1549:
	.size	_ZN7rocprim17ROCPRIM_400000_NS6detail17trampoline_kernelINS0_14default_configENS1_36segmented_radix_sort_config_selectorIblEEZNS1_25segmented_radix_sort_implIS3_Lb1EPKbPbPKlPlN2at6native12_GLOBAL__N_18offset_tEEE10hipError_tPvRmT1_PNSt15iterator_traitsISK_E10value_typeET2_T3_PNSL_ISQ_E10value_typeET4_jRbjT5_SW_jjP12ihipStream_tbEUlT_E0_NS1_11comp_targetILNS1_3genE10ELNS1_11target_archE1200ELNS1_3gpuE4ELNS1_3repE0EEENS1_60segmented_radix_sort_warp_sort_medium_config_static_selectorELNS0_4arch9wavefront6targetE0EEEvSK_, .Lfunc_end1549-_ZN7rocprim17ROCPRIM_400000_NS6detail17trampoline_kernelINS0_14default_configENS1_36segmented_radix_sort_config_selectorIblEEZNS1_25segmented_radix_sort_implIS3_Lb1EPKbPbPKlPlN2at6native12_GLOBAL__N_18offset_tEEE10hipError_tPvRmT1_PNSt15iterator_traitsISK_E10value_typeET2_T3_PNSL_ISQ_E10value_typeET4_jRbjT5_SW_jjP12ihipStream_tbEUlT_E0_NS1_11comp_targetILNS1_3genE10ELNS1_11target_archE1200ELNS1_3gpuE4ELNS1_3repE0EEENS1_60segmented_radix_sort_warp_sort_medium_config_static_selectorELNS0_4arch9wavefront6targetE0EEEvSK_
                                        ; -- End function
	.set _ZN7rocprim17ROCPRIM_400000_NS6detail17trampoline_kernelINS0_14default_configENS1_36segmented_radix_sort_config_selectorIblEEZNS1_25segmented_radix_sort_implIS3_Lb1EPKbPbPKlPlN2at6native12_GLOBAL__N_18offset_tEEE10hipError_tPvRmT1_PNSt15iterator_traitsISK_E10value_typeET2_T3_PNSL_ISQ_E10value_typeET4_jRbjT5_SW_jjP12ihipStream_tbEUlT_E0_NS1_11comp_targetILNS1_3genE10ELNS1_11target_archE1200ELNS1_3gpuE4ELNS1_3repE0EEENS1_60segmented_radix_sort_warp_sort_medium_config_static_selectorELNS0_4arch9wavefront6targetE0EEEvSK_.num_vgpr, 0
	.set _ZN7rocprim17ROCPRIM_400000_NS6detail17trampoline_kernelINS0_14default_configENS1_36segmented_radix_sort_config_selectorIblEEZNS1_25segmented_radix_sort_implIS3_Lb1EPKbPbPKlPlN2at6native12_GLOBAL__N_18offset_tEEE10hipError_tPvRmT1_PNSt15iterator_traitsISK_E10value_typeET2_T3_PNSL_ISQ_E10value_typeET4_jRbjT5_SW_jjP12ihipStream_tbEUlT_E0_NS1_11comp_targetILNS1_3genE10ELNS1_11target_archE1200ELNS1_3gpuE4ELNS1_3repE0EEENS1_60segmented_radix_sort_warp_sort_medium_config_static_selectorELNS0_4arch9wavefront6targetE0EEEvSK_.num_agpr, 0
	.set _ZN7rocprim17ROCPRIM_400000_NS6detail17trampoline_kernelINS0_14default_configENS1_36segmented_radix_sort_config_selectorIblEEZNS1_25segmented_radix_sort_implIS3_Lb1EPKbPbPKlPlN2at6native12_GLOBAL__N_18offset_tEEE10hipError_tPvRmT1_PNSt15iterator_traitsISK_E10value_typeET2_T3_PNSL_ISQ_E10value_typeET4_jRbjT5_SW_jjP12ihipStream_tbEUlT_E0_NS1_11comp_targetILNS1_3genE10ELNS1_11target_archE1200ELNS1_3gpuE4ELNS1_3repE0EEENS1_60segmented_radix_sort_warp_sort_medium_config_static_selectorELNS0_4arch9wavefront6targetE0EEEvSK_.numbered_sgpr, 0
	.set _ZN7rocprim17ROCPRIM_400000_NS6detail17trampoline_kernelINS0_14default_configENS1_36segmented_radix_sort_config_selectorIblEEZNS1_25segmented_radix_sort_implIS3_Lb1EPKbPbPKlPlN2at6native12_GLOBAL__N_18offset_tEEE10hipError_tPvRmT1_PNSt15iterator_traitsISK_E10value_typeET2_T3_PNSL_ISQ_E10value_typeET4_jRbjT5_SW_jjP12ihipStream_tbEUlT_E0_NS1_11comp_targetILNS1_3genE10ELNS1_11target_archE1200ELNS1_3gpuE4ELNS1_3repE0EEENS1_60segmented_radix_sort_warp_sort_medium_config_static_selectorELNS0_4arch9wavefront6targetE0EEEvSK_.num_named_barrier, 0
	.set _ZN7rocprim17ROCPRIM_400000_NS6detail17trampoline_kernelINS0_14default_configENS1_36segmented_radix_sort_config_selectorIblEEZNS1_25segmented_radix_sort_implIS3_Lb1EPKbPbPKlPlN2at6native12_GLOBAL__N_18offset_tEEE10hipError_tPvRmT1_PNSt15iterator_traitsISK_E10value_typeET2_T3_PNSL_ISQ_E10value_typeET4_jRbjT5_SW_jjP12ihipStream_tbEUlT_E0_NS1_11comp_targetILNS1_3genE10ELNS1_11target_archE1200ELNS1_3gpuE4ELNS1_3repE0EEENS1_60segmented_radix_sort_warp_sort_medium_config_static_selectorELNS0_4arch9wavefront6targetE0EEEvSK_.private_seg_size, 0
	.set _ZN7rocprim17ROCPRIM_400000_NS6detail17trampoline_kernelINS0_14default_configENS1_36segmented_radix_sort_config_selectorIblEEZNS1_25segmented_radix_sort_implIS3_Lb1EPKbPbPKlPlN2at6native12_GLOBAL__N_18offset_tEEE10hipError_tPvRmT1_PNSt15iterator_traitsISK_E10value_typeET2_T3_PNSL_ISQ_E10value_typeET4_jRbjT5_SW_jjP12ihipStream_tbEUlT_E0_NS1_11comp_targetILNS1_3genE10ELNS1_11target_archE1200ELNS1_3gpuE4ELNS1_3repE0EEENS1_60segmented_radix_sort_warp_sort_medium_config_static_selectorELNS0_4arch9wavefront6targetE0EEEvSK_.uses_vcc, 0
	.set _ZN7rocprim17ROCPRIM_400000_NS6detail17trampoline_kernelINS0_14default_configENS1_36segmented_radix_sort_config_selectorIblEEZNS1_25segmented_radix_sort_implIS3_Lb1EPKbPbPKlPlN2at6native12_GLOBAL__N_18offset_tEEE10hipError_tPvRmT1_PNSt15iterator_traitsISK_E10value_typeET2_T3_PNSL_ISQ_E10value_typeET4_jRbjT5_SW_jjP12ihipStream_tbEUlT_E0_NS1_11comp_targetILNS1_3genE10ELNS1_11target_archE1200ELNS1_3gpuE4ELNS1_3repE0EEENS1_60segmented_radix_sort_warp_sort_medium_config_static_selectorELNS0_4arch9wavefront6targetE0EEEvSK_.uses_flat_scratch, 0
	.set _ZN7rocprim17ROCPRIM_400000_NS6detail17trampoline_kernelINS0_14default_configENS1_36segmented_radix_sort_config_selectorIblEEZNS1_25segmented_radix_sort_implIS3_Lb1EPKbPbPKlPlN2at6native12_GLOBAL__N_18offset_tEEE10hipError_tPvRmT1_PNSt15iterator_traitsISK_E10value_typeET2_T3_PNSL_ISQ_E10value_typeET4_jRbjT5_SW_jjP12ihipStream_tbEUlT_E0_NS1_11comp_targetILNS1_3genE10ELNS1_11target_archE1200ELNS1_3gpuE4ELNS1_3repE0EEENS1_60segmented_radix_sort_warp_sort_medium_config_static_selectorELNS0_4arch9wavefront6targetE0EEEvSK_.has_dyn_sized_stack, 0
	.set _ZN7rocprim17ROCPRIM_400000_NS6detail17trampoline_kernelINS0_14default_configENS1_36segmented_radix_sort_config_selectorIblEEZNS1_25segmented_radix_sort_implIS3_Lb1EPKbPbPKlPlN2at6native12_GLOBAL__N_18offset_tEEE10hipError_tPvRmT1_PNSt15iterator_traitsISK_E10value_typeET2_T3_PNSL_ISQ_E10value_typeET4_jRbjT5_SW_jjP12ihipStream_tbEUlT_E0_NS1_11comp_targetILNS1_3genE10ELNS1_11target_archE1200ELNS1_3gpuE4ELNS1_3repE0EEENS1_60segmented_radix_sort_warp_sort_medium_config_static_selectorELNS0_4arch9wavefront6targetE0EEEvSK_.has_recursion, 0
	.set _ZN7rocprim17ROCPRIM_400000_NS6detail17trampoline_kernelINS0_14default_configENS1_36segmented_radix_sort_config_selectorIblEEZNS1_25segmented_radix_sort_implIS3_Lb1EPKbPbPKlPlN2at6native12_GLOBAL__N_18offset_tEEE10hipError_tPvRmT1_PNSt15iterator_traitsISK_E10value_typeET2_T3_PNSL_ISQ_E10value_typeET4_jRbjT5_SW_jjP12ihipStream_tbEUlT_E0_NS1_11comp_targetILNS1_3genE10ELNS1_11target_archE1200ELNS1_3gpuE4ELNS1_3repE0EEENS1_60segmented_radix_sort_warp_sort_medium_config_static_selectorELNS0_4arch9wavefront6targetE0EEEvSK_.has_indirect_call, 0
	.section	.AMDGPU.csdata,"",@progbits
; Kernel info:
; codeLenInByte = 0
; TotalNumSgprs: 0
; NumVgprs: 0
; ScratchSize: 0
; MemoryBound: 0
; FloatMode: 240
; IeeeMode: 1
; LDSByteSize: 0 bytes/workgroup (compile time only)
; SGPRBlocks: 0
; VGPRBlocks: 0
; NumSGPRsForWavesPerEU: 1
; NumVGPRsForWavesPerEU: 1
; Occupancy: 16
; WaveLimiterHint : 0
; COMPUTE_PGM_RSRC2:SCRATCH_EN: 0
; COMPUTE_PGM_RSRC2:USER_SGPR: 2
; COMPUTE_PGM_RSRC2:TRAP_HANDLER: 0
; COMPUTE_PGM_RSRC2:TGID_X_EN: 1
; COMPUTE_PGM_RSRC2:TGID_Y_EN: 0
; COMPUTE_PGM_RSRC2:TGID_Z_EN: 0
; COMPUTE_PGM_RSRC2:TIDIG_COMP_CNT: 0
	.section	.text._ZN7rocprim17ROCPRIM_400000_NS6detail17trampoline_kernelINS0_14default_configENS1_36segmented_radix_sort_config_selectorIblEEZNS1_25segmented_radix_sort_implIS3_Lb1EPKbPbPKlPlN2at6native12_GLOBAL__N_18offset_tEEE10hipError_tPvRmT1_PNSt15iterator_traitsISK_E10value_typeET2_T3_PNSL_ISQ_E10value_typeET4_jRbjT5_SW_jjP12ihipStream_tbEUlT_E0_NS1_11comp_targetILNS1_3genE9ELNS1_11target_archE1100ELNS1_3gpuE3ELNS1_3repE0EEENS1_60segmented_radix_sort_warp_sort_medium_config_static_selectorELNS0_4arch9wavefront6targetE0EEEvSK_,"axG",@progbits,_ZN7rocprim17ROCPRIM_400000_NS6detail17trampoline_kernelINS0_14default_configENS1_36segmented_radix_sort_config_selectorIblEEZNS1_25segmented_radix_sort_implIS3_Lb1EPKbPbPKlPlN2at6native12_GLOBAL__N_18offset_tEEE10hipError_tPvRmT1_PNSt15iterator_traitsISK_E10value_typeET2_T3_PNSL_ISQ_E10value_typeET4_jRbjT5_SW_jjP12ihipStream_tbEUlT_E0_NS1_11comp_targetILNS1_3genE9ELNS1_11target_archE1100ELNS1_3gpuE3ELNS1_3repE0EEENS1_60segmented_radix_sort_warp_sort_medium_config_static_selectorELNS0_4arch9wavefront6targetE0EEEvSK_,comdat
	.globl	_ZN7rocprim17ROCPRIM_400000_NS6detail17trampoline_kernelINS0_14default_configENS1_36segmented_radix_sort_config_selectorIblEEZNS1_25segmented_radix_sort_implIS3_Lb1EPKbPbPKlPlN2at6native12_GLOBAL__N_18offset_tEEE10hipError_tPvRmT1_PNSt15iterator_traitsISK_E10value_typeET2_T3_PNSL_ISQ_E10value_typeET4_jRbjT5_SW_jjP12ihipStream_tbEUlT_E0_NS1_11comp_targetILNS1_3genE9ELNS1_11target_archE1100ELNS1_3gpuE3ELNS1_3repE0EEENS1_60segmented_radix_sort_warp_sort_medium_config_static_selectorELNS0_4arch9wavefront6targetE0EEEvSK_ ; -- Begin function _ZN7rocprim17ROCPRIM_400000_NS6detail17trampoline_kernelINS0_14default_configENS1_36segmented_radix_sort_config_selectorIblEEZNS1_25segmented_radix_sort_implIS3_Lb1EPKbPbPKlPlN2at6native12_GLOBAL__N_18offset_tEEE10hipError_tPvRmT1_PNSt15iterator_traitsISK_E10value_typeET2_T3_PNSL_ISQ_E10value_typeET4_jRbjT5_SW_jjP12ihipStream_tbEUlT_E0_NS1_11comp_targetILNS1_3genE9ELNS1_11target_archE1100ELNS1_3gpuE3ELNS1_3repE0EEENS1_60segmented_radix_sort_warp_sort_medium_config_static_selectorELNS0_4arch9wavefront6targetE0EEEvSK_
	.p2align	8
	.type	_ZN7rocprim17ROCPRIM_400000_NS6detail17trampoline_kernelINS0_14default_configENS1_36segmented_radix_sort_config_selectorIblEEZNS1_25segmented_radix_sort_implIS3_Lb1EPKbPbPKlPlN2at6native12_GLOBAL__N_18offset_tEEE10hipError_tPvRmT1_PNSt15iterator_traitsISK_E10value_typeET2_T3_PNSL_ISQ_E10value_typeET4_jRbjT5_SW_jjP12ihipStream_tbEUlT_E0_NS1_11comp_targetILNS1_3genE9ELNS1_11target_archE1100ELNS1_3gpuE3ELNS1_3repE0EEENS1_60segmented_radix_sort_warp_sort_medium_config_static_selectorELNS0_4arch9wavefront6targetE0EEEvSK_,@function
_ZN7rocprim17ROCPRIM_400000_NS6detail17trampoline_kernelINS0_14default_configENS1_36segmented_radix_sort_config_selectorIblEEZNS1_25segmented_radix_sort_implIS3_Lb1EPKbPbPKlPlN2at6native12_GLOBAL__N_18offset_tEEE10hipError_tPvRmT1_PNSt15iterator_traitsISK_E10value_typeET2_T3_PNSL_ISQ_E10value_typeET4_jRbjT5_SW_jjP12ihipStream_tbEUlT_E0_NS1_11comp_targetILNS1_3genE9ELNS1_11target_archE1100ELNS1_3gpuE3ELNS1_3repE0EEENS1_60segmented_radix_sort_warp_sort_medium_config_static_selectorELNS0_4arch9wavefront6targetE0EEEvSK_: ; @_ZN7rocprim17ROCPRIM_400000_NS6detail17trampoline_kernelINS0_14default_configENS1_36segmented_radix_sort_config_selectorIblEEZNS1_25segmented_radix_sort_implIS3_Lb1EPKbPbPKlPlN2at6native12_GLOBAL__N_18offset_tEEE10hipError_tPvRmT1_PNSt15iterator_traitsISK_E10value_typeET2_T3_PNSL_ISQ_E10value_typeET4_jRbjT5_SW_jjP12ihipStream_tbEUlT_E0_NS1_11comp_targetILNS1_3genE9ELNS1_11target_archE1100ELNS1_3gpuE3ELNS1_3repE0EEENS1_60segmented_radix_sort_warp_sort_medium_config_static_selectorELNS0_4arch9wavefront6targetE0EEEvSK_
; %bb.0:
	.section	.rodata,"a",@progbits
	.p2align	6, 0x0
	.amdhsa_kernel _ZN7rocprim17ROCPRIM_400000_NS6detail17trampoline_kernelINS0_14default_configENS1_36segmented_radix_sort_config_selectorIblEEZNS1_25segmented_radix_sort_implIS3_Lb1EPKbPbPKlPlN2at6native12_GLOBAL__N_18offset_tEEE10hipError_tPvRmT1_PNSt15iterator_traitsISK_E10value_typeET2_T3_PNSL_ISQ_E10value_typeET4_jRbjT5_SW_jjP12ihipStream_tbEUlT_E0_NS1_11comp_targetILNS1_3genE9ELNS1_11target_archE1100ELNS1_3gpuE3ELNS1_3repE0EEENS1_60segmented_radix_sort_warp_sort_medium_config_static_selectorELNS0_4arch9wavefront6targetE0EEEvSK_
		.amdhsa_group_segment_fixed_size 0
		.amdhsa_private_segment_fixed_size 0
		.amdhsa_kernarg_size 88
		.amdhsa_user_sgpr_count 2
		.amdhsa_user_sgpr_dispatch_ptr 0
		.amdhsa_user_sgpr_queue_ptr 0
		.amdhsa_user_sgpr_kernarg_segment_ptr 1
		.amdhsa_user_sgpr_dispatch_id 0
		.amdhsa_user_sgpr_private_segment_size 0
		.amdhsa_wavefront_size32 1
		.amdhsa_uses_dynamic_stack 0
		.amdhsa_enable_private_segment 0
		.amdhsa_system_sgpr_workgroup_id_x 1
		.amdhsa_system_sgpr_workgroup_id_y 0
		.amdhsa_system_sgpr_workgroup_id_z 0
		.amdhsa_system_sgpr_workgroup_info 0
		.amdhsa_system_vgpr_workitem_id 0
		.amdhsa_next_free_vgpr 1
		.amdhsa_next_free_sgpr 1
		.amdhsa_reserve_vcc 0
		.amdhsa_float_round_mode_32 0
		.amdhsa_float_round_mode_16_64 0
		.amdhsa_float_denorm_mode_32 3
		.amdhsa_float_denorm_mode_16_64 3
		.amdhsa_fp16_overflow 0
		.amdhsa_workgroup_processor_mode 1
		.amdhsa_memory_ordered 1
		.amdhsa_forward_progress 1
		.amdhsa_inst_pref_size 0
		.amdhsa_round_robin_scheduling 0
		.amdhsa_exception_fp_ieee_invalid_op 0
		.amdhsa_exception_fp_denorm_src 0
		.amdhsa_exception_fp_ieee_div_zero 0
		.amdhsa_exception_fp_ieee_overflow 0
		.amdhsa_exception_fp_ieee_underflow 0
		.amdhsa_exception_fp_ieee_inexact 0
		.amdhsa_exception_int_div_zero 0
	.end_amdhsa_kernel
	.section	.text._ZN7rocprim17ROCPRIM_400000_NS6detail17trampoline_kernelINS0_14default_configENS1_36segmented_radix_sort_config_selectorIblEEZNS1_25segmented_radix_sort_implIS3_Lb1EPKbPbPKlPlN2at6native12_GLOBAL__N_18offset_tEEE10hipError_tPvRmT1_PNSt15iterator_traitsISK_E10value_typeET2_T3_PNSL_ISQ_E10value_typeET4_jRbjT5_SW_jjP12ihipStream_tbEUlT_E0_NS1_11comp_targetILNS1_3genE9ELNS1_11target_archE1100ELNS1_3gpuE3ELNS1_3repE0EEENS1_60segmented_radix_sort_warp_sort_medium_config_static_selectorELNS0_4arch9wavefront6targetE0EEEvSK_,"axG",@progbits,_ZN7rocprim17ROCPRIM_400000_NS6detail17trampoline_kernelINS0_14default_configENS1_36segmented_radix_sort_config_selectorIblEEZNS1_25segmented_radix_sort_implIS3_Lb1EPKbPbPKlPlN2at6native12_GLOBAL__N_18offset_tEEE10hipError_tPvRmT1_PNSt15iterator_traitsISK_E10value_typeET2_T3_PNSL_ISQ_E10value_typeET4_jRbjT5_SW_jjP12ihipStream_tbEUlT_E0_NS1_11comp_targetILNS1_3genE9ELNS1_11target_archE1100ELNS1_3gpuE3ELNS1_3repE0EEENS1_60segmented_radix_sort_warp_sort_medium_config_static_selectorELNS0_4arch9wavefront6targetE0EEEvSK_,comdat
.Lfunc_end1550:
	.size	_ZN7rocprim17ROCPRIM_400000_NS6detail17trampoline_kernelINS0_14default_configENS1_36segmented_radix_sort_config_selectorIblEEZNS1_25segmented_radix_sort_implIS3_Lb1EPKbPbPKlPlN2at6native12_GLOBAL__N_18offset_tEEE10hipError_tPvRmT1_PNSt15iterator_traitsISK_E10value_typeET2_T3_PNSL_ISQ_E10value_typeET4_jRbjT5_SW_jjP12ihipStream_tbEUlT_E0_NS1_11comp_targetILNS1_3genE9ELNS1_11target_archE1100ELNS1_3gpuE3ELNS1_3repE0EEENS1_60segmented_radix_sort_warp_sort_medium_config_static_selectorELNS0_4arch9wavefront6targetE0EEEvSK_, .Lfunc_end1550-_ZN7rocprim17ROCPRIM_400000_NS6detail17trampoline_kernelINS0_14default_configENS1_36segmented_radix_sort_config_selectorIblEEZNS1_25segmented_radix_sort_implIS3_Lb1EPKbPbPKlPlN2at6native12_GLOBAL__N_18offset_tEEE10hipError_tPvRmT1_PNSt15iterator_traitsISK_E10value_typeET2_T3_PNSL_ISQ_E10value_typeET4_jRbjT5_SW_jjP12ihipStream_tbEUlT_E0_NS1_11comp_targetILNS1_3genE9ELNS1_11target_archE1100ELNS1_3gpuE3ELNS1_3repE0EEENS1_60segmented_radix_sort_warp_sort_medium_config_static_selectorELNS0_4arch9wavefront6targetE0EEEvSK_
                                        ; -- End function
	.set _ZN7rocprim17ROCPRIM_400000_NS6detail17trampoline_kernelINS0_14default_configENS1_36segmented_radix_sort_config_selectorIblEEZNS1_25segmented_radix_sort_implIS3_Lb1EPKbPbPKlPlN2at6native12_GLOBAL__N_18offset_tEEE10hipError_tPvRmT1_PNSt15iterator_traitsISK_E10value_typeET2_T3_PNSL_ISQ_E10value_typeET4_jRbjT5_SW_jjP12ihipStream_tbEUlT_E0_NS1_11comp_targetILNS1_3genE9ELNS1_11target_archE1100ELNS1_3gpuE3ELNS1_3repE0EEENS1_60segmented_radix_sort_warp_sort_medium_config_static_selectorELNS0_4arch9wavefront6targetE0EEEvSK_.num_vgpr, 0
	.set _ZN7rocprim17ROCPRIM_400000_NS6detail17trampoline_kernelINS0_14default_configENS1_36segmented_radix_sort_config_selectorIblEEZNS1_25segmented_radix_sort_implIS3_Lb1EPKbPbPKlPlN2at6native12_GLOBAL__N_18offset_tEEE10hipError_tPvRmT1_PNSt15iterator_traitsISK_E10value_typeET2_T3_PNSL_ISQ_E10value_typeET4_jRbjT5_SW_jjP12ihipStream_tbEUlT_E0_NS1_11comp_targetILNS1_3genE9ELNS1_11target_archE1100ELNS1_3gpuE3ELNS1_3repE0EEENS1_60segmented_radix_sort_warp_sort_medium_config_static_selectorELNS0_4arch9wavefront6targetE0EEEvSK_.num_agpr, 0
	.set _ZN7rocprim17ROCPRIM_400000_NS6detail17trampoline_kernelINS0_14default_configENS1_36segmented_radix_sort_config_selectorIblEEZNS1_25segmented_radix_sort_implIS3_Lb1EPKbPbPKlPlN2at6native12_GLOBAL__N_18offset_tEEE10hipError_tPvRmT1_PNSt15iterator_traitsISK_E10value_typeET2_T3_PNSL_ISQ_E10value_typeET4_jRbjT5_SW_jjP12ihipStream_tbEUlT_E0_NS1_11comp_targetILNS1_3genE9ELNS1_11target_archE1100ELNS1_3gpuE3ELNS1_3repE0EEENS1_60segmented_radix_sort_warp_sort_medium_config_static_selectorELNS0_4arch9wavefront6targetE0EEEvSK_.numbered_sgpr, 0
	.set _ZN7rocprim17ROCPRIM_400000_NS6detail17trampoline_kernelINS0_14default_configENS1_36segmented_radix_sort_config_selectorIblEEZNS1_25segmented_radix_sort_implIS3_Lb1EPKbPbPKlPlN2at6native12_GLOBAL__N_18offset_tEEE10hipError_tPvRmT1_PNSt15iterator_traitsISK_E10value_typeET2_T3_PNSL_ISQ_E10value_typeET4_jRbjT5_SW_jjP12ihipStream_tbEUlT_E0_NS1_11comp_targetILNS1_3genE9ELNS1_11target_archE1100ELNS1_3gpuE3ELNS1_3repE0EEENS1_60segmented_radix_sort_warp_sort_medium_config_static_selectorELNS0_4arch9wavefront6targetE0EEEvSK_.num_named_barrier, 0
	.set _ZN7rocprim17ROCPRIM_400000_NS6detail17trampoline_kernelINS0_14default_configENS1_36segmented_radix_sort_config_selectorIblEEZNS1_25segmented_radix_sort_implIS3_Lb1EPKbPbPKlPlN2at6native12_GLOBAL__N_18offset_tEEE10hipError_tPvRmT1_PNSt15iterator_traitsISK_E10value_typeET2_T3_PNSL_ISQ_E10value_typeET4_jRbjT5_SW_jjP12ihipStream_tbEUlT_E0_NS1_11comp_targetILNS1_3genE9ELNS1_11target_archE1100ELNS1_3gpuE3ELNS1_3repE0EEENS1_60segmented_radix_sort_warp_sort_medium_config_static_selectorELNS0_4arch9wavefront6targetE0EEEvSK_.private_seg_size, 0
	.set _ZN7rocprim17ROCPRIM_400000_NS6detail17trampoline_kernelINS0_14default_configENS1_36segmented_radix_sort_config_selectorIblEEZNS1_25segmented_radix_sort_implIS3_Lb1EPKbPbPKlPlN2at6native12_GLOBAL__N_18offset_tEEE10hipError_tPvRmT1_PNSt15iterator_traitsISK_E10value_typeET2_T3_PNSL_ISQ_E10value_typeET4_jRbjT5_SW_jjP12ihipStream_tbEUlT_E0_NS1_11comp_targetILNS1_3genE9ELNS1_11target_archE1100ELNS1_3gpuE3ELNS1_3repE0EEENS1_60segmented_radix_sort_warp_sort_medium_config_static_selectorELNS0_4arch9wavefront6targetE0EEEvSK_.uses_vcc, 0
	.set _ZN7rocprim17ROCPRIM_400000_NS6detail17trampoline_kernelINS0_14default_configENS1_36segmented_radix_sort_config_selectorIblEEZNS1_25segmented_radix_sort_implIS3_Lb1EPKbPbPKlPlN2at6native12_GLOBAL__N_18offset_tEEE10hipError_tPvRmT1_PNSt15iterator_traitsISK_E10value_typeET2_T3_PNSL_ISQ_E10value_typeET4_jRbjT5_SW_jjP12ihipStream_tbEUlT_E0_NS1_11comp_targetILNS1_3genE9ELNS1_11target_archE1100ELNS1_3gpuE3ELNS1_3repE0EEENS1_60segmented_radix_sort_warp_sort_medium_config_static_selectorELNS0_4arch9wavefront6targetE0EEEvSK_.uses_flat_scratch, 0
	.set _ZN7rocprim17ROCPRIM_400000_NS6detail17trampoline_kernelINS0_14default_configENS1_36segmented_radix_sort_config_selectorIblEEZNS1_25segmented_radix_sort_implIS3_Lb1EPKbPbPKlPlN2at6native12_GLOBAL__N_18offset_tEEE10hipError_tPvRmT1_PNSt15iterator_traitsISK_E10value_typeET2_T3_PNSL_ISQ_E10value_typeET4_jRbjT5_SW_jjP12ihipStream_tbEUlT_E0_NS1_11comp_targetILNS1_3genE9ELNS1_11target_archE1100ELNS1_3gpuE3ELNS1_3repE0EEENS1_60segmented_radix_sort_warp_sort_medium_config_static_selectorELNS0_4arch9wavefront6targetE0EEEvSK_.has_dyn_sized_stack, 0
	.set _ZN7rocprim17ROCPRIM_400000_NS6detail17trampoline_kernelINS0_14default_configENS1_36segmented_radix_sort_config_selectorIblEEZNS1_25segmented_radix_sort_implIS3_Lb1EPKbPbPKlPlN2at6native12_GLOBAL__N_18offset_tEEE10hipError_tPvRmT1_PNSt15iterator_traitsISK_E10value_typeET2_T3_PNSL_ISQ_E10value_typeET4_jRbjT5_SW_jjP12ihipStream_tbEUlT_E0_NS1_11comp_targetILNS1_3genE9ELNS1_11target_archE1100ELNS1_3gpuE3ELNS1_3repE0EEENS1_60segmented_radix_sort_warp_sort_medium_config_static_selectorELNS0_4arch9wavefront6targetE0EEEvSK_.has_recursion, 0
	.set _ZN7rocprim17ROCPRIM_400000_NS6detail17trampoline_kernelINS0_14default_configENS1_36segmented_radix_sort_config_selectorIblEEZNS1_25segmented_radix_sort_implIS3_Lb1EPKbPbPKlPlN2at6native12_GLOBAL__N_18offset_tEEE10hipError_tPvRmT1_PNSt15iterator_traitsISK_E10value_typeET2_T3_PNSL_ISQ_E10value_typeET4_jRbjT5_SW_jjP12ihipStream_tbEUlT_E0_NS1_11comp_targetILNS1_3genE9ELNS1_11target_archE1100ELNS1_3gpuE3ELNS1_3repE0EEENS1_60segmented_radix_sort_warp_sort_medium_config_static_selectorELNS0_4arch9wavefront6targetE0EEEvSK_.has_indirect_call, 0
	.section	.AMDGPU.csdata,"",@progbits
; Kernel info:
; codeLenInByte = 0
; TotalNumSgprs: 0
; NumVgprs: 0
; ScratchSize: 0
; MemoryBound: 0
; FloatMode: 240
; IeeeMode: 1
; LDSByteSize: 0 bytes/workgroup (compile time only)
; SGPRBlocks: 0
; VGPRBlocks: 0
; NumSGPRsForWavesPerEU: 1
; NumVGPRsForWavesPerEU: 1
; Occupancy: 16
; WaveLimiterHint : 0
; COMPUTE_PGM_RSRC2:SCRATCH_EN: 0
; COMPUTE_PGM_RSRC2:USER_SGPR: 2
; COMPUTE_PGM_RSRC2:TRAP_HANDLER: 0
; COMPUTE_PGM_RSRC2:TGID_X_EN: 1
; COMPUTE_PGM_RSRC2:TGID_Y_EN: 0
; COMPUTE_PGM_RSRC2:TGID_Z_EN: 0
; COMPUTE_PGM_RSRC2:TIDIG_COMP_CNT: 0
	.section	.text._ZN7rocprim17ROCPRIM_400000_NS6detail17trampoline_kernelINS0_14default_configENS1_36segmented_radix_sort_config_selectorIblEEZNS1_25segmented_radix_sort_implIS3_Lb1EPKbPbPKlPlN2at6native12_GLOBAL__N_18offset_tEEE10hipError_tPvRmT1_PNSt15iterator_traitsISK_E10value_typeET2_T3_PNSL_ISQ_E10value_typeET4_jRbjT5_SW_jjP12ihipStream_tbEUlT_E0_NS1_11comp_targetILNS1_3genE8ELNS1_11target_archE1030ELNS1_3gpuE2ELNS1_3repE0EEENS1_60segmented_radix_sort_warp_sort_medium_config_static_selectorELNS0_4arch9wavefront6targetE0EEEvSK_,"axG",@progbits,_ZN7rocprim17ROCPRIM_400000_NS6detail17trampoline_kernelINS0_14default_configENS1_36segmented_radix_sort_config_selectorIblEEZNS1_25segmented_radix_sort_implIS3_Lb1EPKbPbPKlPlN2at6native12_GLOBAL__N_18offset_tEEE10hipError_tPvRmT1_PNSt15iterator_traitsISK_E10value_typeET2_T3_PNSL_ISQ_E10value_typeET4_jRbjT5_SW_jjP12ihipStream_tbEUlT_E0_NS1_11comp_targetILNS1_3genE8ELNS1_11target_archE1030ELNS1_3gpuE2ELNS1_3repE0EEENS1_60segmented_radix_sort_warp_sort_medium_config_static_selectorELNS0_4arch9wavefront6targetE0EEEvSK_,comdat
	.globl	_ZN7rocprim17ROCPRIM_400000_NS6detail17trampoline_kernelINS0_14default_configENS1_36segmented_radix_sort_config_selectorIblEEZNS1_25segmented_radix_sort_implIS3_Lb1EPKbPbPKlPlN2at6native12_GLOBAL__N_18offset_tEEE10hipError_tPvRmT1_PNSt15iterator_traitsISK_E10value_typeET2_T3_PNSL_ISQ_E10value_typeET4_jRbjT5_SW_jjP12ihipStream_tbEUlT_E0_NS1_11comp_targetILNS1_3genE8ELNS1_11target_archE1030ELNS1_3gpuE2ELNS1_3repE0EEENS1_60segmented_radix_sort_warp_sort_medium_config_static_selectorELNS0_4arch9wavefront6targetE0EEEvSK_ ; -- Begin function _ZN7rocprim17ROCPRIM_400000_NS6detail17trampoline_kernelINS0_14default_configENS1_36segmented_radix_sort_config_selectorIblEEZNS1_25segmented_radix_sort_implIS3_Lb1EPKbPbPKlPlN2at6native12_GLOBAL__N_18offset_tEEE10hipError_tPvRmT1_PNSt15iterator_traitsISK_E10value_typeET2_T3_PNSL_ISQ_E10value_typeET4_jRbjT5_SW_jjP12ihipStream_tbEUlT_E0_NS1_11comp_targetILNS1_3genE8ELNS1_11target_archE1030ELNS1_3gpuE2ELNS1_3repE0EEENS1_60segmented_radix_sort_warp_sort_medium_config_static_selectorELNS0_4arch9wavefront6targetE0EEEvSK_
	.p2align	8
	.type	_ZN7rocprim17ROCPRIM_400000_NS6detail17trampoline_kernelINS0_14default_configENS1_36segmented_radix_sort_config_selectorIblEEZNS1_25segmented_radix_sort_implIS3_Lb1EPKbPbPKlPlN2at6native12_GLOBAL__N_18offset_tEEE10hipError_tPvRmT1_PNSt15iterator_traitsISK_E10value_typeET2_T3_PNSL_ISQ_E10value_typeET4_jRbjT5_SW_jjP12ihipStream_tbEUlT_E0_NS1_11comp_targetILNS1_3genE8ELNS1_11target_archE1030ELNS1_3gpuE2ELNS1_3repE0EEENS1_60segmented_radix_sort_warp_sort_medium_config_static_selectorELNS0_4arch9wavefront6targetE0EEEvSK_,@function
_ZN7rocprim17ROCPRIM_400000_NS6detail17trampoline_kernelINS0_14default_configENS1_36segmented_radix_sort_config_selectorIblEEZNS1_25segmented_radix_sort_implIS3_Lb1EPKbPbPKlPlN2at6native12_GLOBAL__N_18offset_tEEE10hipError_tPvRmT1_PNSt15iterator_traitsISK_E10value_typeET2_T3_PNSL_ISQ_E10value_typeET4_jRbjT5_SW_jjP12ihipStream_tbEUlT_E0_NS1_11comp_targetILNS1_3genE8ELNS1_11target_archE1030ELNS1_3gpuE2ELNS1_3repE0EEENS1_60segmented_radix_sort_warp_sort_medium_config_static_selectorELNS0_4arch9wavefront6targetE0EEEvSK_: ; @_ZN7rocprim17ROCPRIM_400000_NS6detail17trampoline_kernelINS0_14default_configENS1_36segmented_radix_sort_config_selectorIblEEZNS1_25segmented_radix_sort_implIS3_Lb1EPKbPbPKlPlN2at6native12_GLOBAL__N_18offset_tEEE10hipError_tPvRmT1_PNSt15iterator_traitsISK_E10value_typeET2_T3_PNSL_ISQ_E10value_typeET4_jRbjT5_SW_jjP12ihipStream_tbEUlT_E0_NS1_11comp_targetILNS1_3genE8ELNS1_11target_archE1030ELNS1_3gpuE2ELNS1_3repE0EEENS1_60segmented_radix_sort_warp_sort_medium_config_static_selectorELNS0_4arch9wavefront6targetE0EEEvSK_
; %bb.0:
	.section	.rodata,"a",@progbits
	.p2align	6, 0x0
	.amdhsa_kernel _ZN7rocprim17ROCPRIM_400000_NS6detail17trampoline_kernelINS0_14default_configENS1_36segmented_radix_sort_config_selectorIblEEZNS1_25segmented_radix_sort_implIS3_Lb1EPKbPbPKlPlN2at6native12_GLOBAL__N_18offset_tEEE10hipError_tPvRmT1_PNSt15iterator_traitsISK_E10value_typeET2_T3_PNSL_ISQ_E10value_typeET4_jRbjT5_SW_jjP12ihipStream_tbEUlT_E0_NS1_11comp_targetILNS1_3genE8ELNS1_11target_archE1030ELNS1_3gpuE2ELNS1_3repE0EEENS1_60segmented_radix_sort_warp_sort_medium_config_static_selectorELNS0_4arch9wavefront6targetE0EEEvSK_
		.amdhsa_group_segment_fixed_size 0
		.amdhsa_private_segment_fixed_size 0
		.amdhsa_kernarg_size 88
		.amdhsa_user_sgpr_count 2
		.amdhsa_user_sgpr_dispatch_ptr 0
		.amdhsa_user_sgpr_queue_ptr 0
		.amdhsa_user_sgpr_kernarg_segment_ptr 1
		.amdhsa_user_sgpr_dispatch_id 0
		.amdhsa_user_sgpr_private_segment_size 0
		.amdhsa_wavefront_size32 1
		.amdhsa_uses_dynamic_stack 0
		.amdhsa_enable_private_segment 0
		.amdhsa_system_sgpr_workgroup_id_x 1
		.amdhsa_system_sgpr_workgroup_id_y 0
		.amdhsa_system_sgpr_workgroup_id_z 0
		.amdhsa_system_sgpr_workgroup_info 0
		.amdhsa_system_vgpr_workitem_id 0
		.amdhsa_next_free_vgpr 1
		.amdhsa_next_free_sgpr 1
		.amdhsa_reserve_vcc 0
		.amdhsa_float_round_mode_32 0
		.amdhsa_float_round_mode_16_64 0
		.amdhsa_float_denorm_mode_32 3
		.amdhsa_float_denorm_mode_16_64 3
		.amdhsa_fp16_overflow 0
		.amdhsa_workgroup_processor_mode 1
		.amdhsa_memory_ordered 1
		.amdhsa_forward_progress 1
		.amdhsa_inst_pref_size 0
		.amdhsa_round_robin_scheduling 0
		.amdhsa_exception_fp_ieee_invalid_op 0
		.amdhsa_exception_fp_denorm_src 0
		.amdhsa_exception_fp_ieee_div_zero 0
		.amdhsa_exception_fp_ieee_overflow 0
		.amdhsa_exception_fp_ieee_underflow 0
		.amdhsa_exception_fp_ieee_inexact 0
		.amdhsa_exception_int_div_zero 0
	.end_amdhsa_kernel
	.section	.text._ZN7rocprim17ROCPRIM_400000_NS6detail17trampoline_kernelINS0_14default_configENS1_36segmented_radix_sort_config_selectorIblEEZNS1_25segmented_radix_sort_implIS3_Lb1EPKbPbPKlPlN2at6native12_GLOBAL__N_18offset_tEEE10hipError_tPvRmT1_PNSt15iterator_traitsISK_E10value_typeET2_T3_PNSL_ISQ_E10value_typeET4_jRbjT5_SW_jjP12ihipStream_tbEUlT_E0_NS1_11comp_targetILNS1_3genE8ELNS1_11target_archE1030ELNS1_3gpuE2ELNS1_3repE0EEENS1_60segmented_radix_sort_warp_sort_medium_config_static_selectorELNS0_4arch9wavefront6targetE0EEEvSK_,"axG",@progbits,_ZN7rocprim17ROCPRIM_400000_NS6detail17trampoline_kernelINS0_14default_configENS1_36segmented_radix_sort_config_selectorIblEEZNS1_25segmented_radix_sort_implIS3_Lb1EPKbPbPKlPlN2at6native12_GLOBAL__N_18offset_tEEE10hipError_tPvRmT1_PNSt15iterator_traitsISK_E10value_typeET2_T3_PNSL_ISQ_E10value_typeET4_jRbjT5_SW_jjP12ihipStream_tbEUlT_E0_NS1_11comp_targetILNS1_3genE8ELNS1_11target_archE1030ELNS1_3gpuE2ELNS1_3repE0EEENS1_60segmented_radix_sort_warp_sort_medium_config_static_selectorELNS0_4arch9wavefront6targetE0EEEvSK_,comdat
.Lfunc_end1551:
	.size	_ZN7rocprim17ROCPRIM_400000_NS6detail17trampoline_kernelINS0_14default_configENS1_36segmented_radix_sort_config_selectorIblEEZNS1_25segmented_radix_sort_implIS3_Lb1EPKbPbPKlPlN2at6native12_GLOBAL__N_18offset_tEEE10hipError_tPvRmT1_PNSt15iterator_traitsISK_E10value_typeET2_T3_PNSL_ISQ_E10value_typeET4_jRbjT5_SW_jjP12ihipStream_tbEUlT_E0_NS1_11comp_targetILNS1_3genE8ELNS1_11target_archE1030ELNS1_3gpuE2ELNS1_3repE0EEENS1_60segmented_radix_sort_warp_sort_medium_config_static_selectorELNS0_4arch9wavefront6targetE0EEEvSK_, .Lfunc_end1551-_ZN7rocprim17ROCPRIM_400000_NS6detail17trampoline_kernelINS0_14default_configENS1_36segmented_radix_sort_config_selectorIblEEZNS1_25segmented_radix_sort_implIS3_Lb1EPKbPbPKlPlN2at6native12_GLOBAL__N_18offset_tEEE10hipError_tPvRmT1_PNSt15iterator_traitsISK_E10value_typeET2_T3_PNSL_ISQ_E10value_typeET4_jRbjT5_SW_jjP12ihipStream_tbEUlT_E0_NS1_11comp_targetILNS1_3genE8ELNS1_11target_archE1030ELNS1_3gpuE2ELNS1_3repE0EEENS1_60segmented_radix_sort_warp_sort_medium_config_static_selectorELNS0_4arch9wavefront6targetE0EEEvSK_
                                        ; -- End function
	.set _ZN7rocprim17ROCPRIM_400000_NS6detail17trampoline_kernelINS0_14default_configENS1_36segmented_radix_sort_config_selectorIblEEZNS1_25segmented_radix_sort_implIS3_Lb1EPKbPbPKlPlN2at6native12_GLOBAL__N_18offset_tEEE10hipError_tPvRmT1_PNSt15iterator_traitsISK_E10value_typeET2_T3_PNSL_ISQ_E10value_typeET4_jRbjT5_SW_jjP12ihipStream_tbEUlT_E0_NS1_11comp_targetILNS1_3genE8ELNS1_11target_archE1030ELNS1_3gpuE2ELNS1_3repE0EEENS1_60segmented_radix_sort_warp_sort_medium_config_static_selectorELNS0_4arch9wavefront6targetE0EEEvSK_.num_vgpr, 0
	.set _ZN7rocprim17ROCPRIM_400000_NS6detail17trampoline_kernelINS0_14default_configENS1_36segmented_radix_sort_config_selectorIblEEZNS1_25segmented_radix_sort_implIS3_Lb1EPKbPbPKlPlN2at6native12_GLOBAL__N_18offset_tEEE10hipError_tPvRmT1_PNSt15iterator_traitsISK_E10value_typeET2_T3_PNSL_ISQ_E10value_typeET4_jRbjT5_SW_jjP12ihipStream_tbEUlT_E0_NS1_11comp_targetILNS1_3genE8ELNS1_11target_archE1030ELNS1_3gpuE2ELNS1_3repE0EEENS1_60segmented_radix_sort_warp_sort_medium_config_static_selectorELNS0_4arch9wavefront6targetE0EEEvSK_.num_agpr, 0
	.set _ZN7rocprim17ROCPRIM_400000_NS6detail17trampoline_kernelINS0_14default_configENS1_36segmented_radix_sort_config_selectorIblEEZNS1_25segmented_radix_sort_implIS3_Lb1EPKbPbPKlPlN2at6native12_GLOBAL__N_18offset_tEEE10hipError_tPvRmT1_PNSt15iterator_traitsISK_E10value_typeET2_T3_PNSL_ISQ_E10value_typeET4_jRbjT5_SW_jjP12ihipStream_tbEUlT_E0_NS1_11comp_targetILNS1_3genE8ELNS1_11target_archE1030ELNS1_3gpuE2ELNS1_3repE0EEENS1_60segmented_radix_sort_warp_sort_medium_config_static_selectorELNS0_4arch9wavefront6targetE0EEEvSK_.numbered_sgpr, 0
	.set _ZN7rocprim17ROCPRIM_400000_NS6detail17trampoline_kernelINS0_14default_configENS1_36segmented_radix_sort_config_selectorIblEEZNS1_25segmented_radix_sort_implIS3_Lb1EPKbPbPKlPlN2at6native12_GLOBAL__N_18offset_tEEE10hipError_tPvRmT1_PNSt15iterator_traitsISK_E10value_typeET2_T3_PNSL_ISQ_E10value_typeET4_jRbjT5_SW_jjP12ihipStream_tbEUlT_E0_NS1_11comp_targetILNS1_3genE8ELNS1_11target_archE1030ELNS1_3gpuE2ELNS1_3repE0EEENS1_60segmented_radix_sort_warp_sort_medium_config_static_selectorELNS0_4arch9wavefront6targetE0EEEvSK_.num_named_barrier, 0
	.set _ZN7rocprim17ROCPRIM_400000_NS6detail17trampoline_kernelINS0_14default_configENS1_36segmented_radix_sort_config_selectorIblEEZNS1_25segmented_radix_sort_implIS3_Lb1EPKbPbPKlPlN2at6native12_GLOBAL__N_18offset_tEEE10hipError_tPvRmT1_PNSt15iterator_traitsISK_E10value_typeET2_T3_PNSL_ISQ_E10value_typeET4_jRbjT5_SW_jjP12ihipStream_tbEUlT_E0_NS1_11comp_targetILNS1_3genE8ELNS1_11target_archE1030ELNS1_3gpuE2ELNS1_3repE0EEENS1_60segmented_radix_sort_warp_sort_medium_config_static_selectorELNS0_4arch9wavefront6targetE0EEEvSK_.private_seg_size, 0
	.set _ZN7rocprim17ROCPRIM_400000_NS6detail17trampoline_kernelINS0_14default_configENS1_36segmented_radix_sort_config_selectorIblEEZNS1_25segmented_radix_sort_implIS3_Lb1EPKbPbPKlPlN2at6native12_GLOBAL__N_18offset_tEEE10hipError_tPvRmT1_PNSt15iterator_traitsISK_E10value_typeET2_T3_PNSL_ISQ_E10value_typeET4_jRbjT5_SW_jjP12ihipStream_tbEUlT_E0_NS1_11comp_targetILNS1_3genE8ELNS1_11target_archE1030ELNS1_3gpuE2ELNS1_3repE0EEENS1_60segmented_radix_sort_warp_sort_medium_config_static_selectorELNS0_4arch9wavefront6targetE0EEEvSK_.uses_vcc, 0
	.set _ZN7rocprim17ROCPRIM_400000_NS6detail17trampoline_kernelINS0_14default_configENS1_36segmented_radix_sort_config_selectorIblEEZNS1_25segmented_radix_sort_implIS3_Lb1EPKbPbPKlPlN2at6native12_GLOBAL__N_18offset_tEEE10hipError_tPvRmT1_PNSt15iterator_traitsISK_E10value_typeET2_T3_PNSL_ISQ_E10value_typeET4_jRbjT5_SW_jjP12ihipStream_tbEUlT_E0_NS1_11comp_targetILNS1_3genE8ELNS1_11target_archE1030ELNS1_3gpuE2ELNS1_3repE0EEENS1_60segmented_radix_sort_warp_sort_medium_config_static_selectorELNS0_4arch9wavefront6targetE0EEEvSK_.uses_flat_scratch, 0
	.set _ZN7rocprim17ROCPRIM_400000_NS6detail17trampoline_kernelINS0_14default_configENS1_36segmented_radix_sort_config_selectorIblEEZNS1_25segmented_radix_sort_implIS3_Lb1EPKbPbPKlPlN2at6native12_GLOBAL__N_18offset_tEEE10hipError_tPvRmT1_PNSt15iterator_traitsISK_E10value_typeET2_T3_PNSL_ISQ_E10value_typeET4_jRbjT5_SW_jjP12ihipStream_tbEUlT_E0_NS1_11comp_targetILNS1_3genE8ELNS1_11target_archE1030ELNS1_3gpuE2ELNS1_3repE0EEENS1_60segmented_radix_sort_warp_sort_medium_config_static_selectorELNS0_4arch9wavefront6targetE0EEEvSK_.has_dyn_sized_stack, 0
	.set _ZN7rocprim17ROCPRIM_400000_NS6detail17trampoline_kernelINS0_14default_configENS1_36segmented_radix_sort_config_selectorIblEEZNS1_25segmented_radix_sort_implIS3_Lb1EPKbPbPKlPlN2at6native12_GLOBAL__N_18offset_tEEE10hipError_tPvRmT1_PNSt15iterator_traitsISK_E10value_typeET2_T3_PNSL_ISQ_E10value_typeET4_jRbjT5_SW_jjP12ihipStream_tbEUlT_E0_NS1_11comp_targetILNS1_3genE8ELNS1_11target_archE1030ELNS1_3gpuE2ELNS1_3repE0EEENS1_60segmented_radix_sort_warp_sort_medium_config_static_selectorELNS0_4arch9wavefront6targetE0EEEvSK_.has_recursion, 0
	.set _ZN7rocprim17ROCPRIM_400000_NS6detail17trampoline_kernelINS0_14default_configENS1_36segmented_radix_sort_config_selectorIblEEZNS1_25segmented_radix_sort_implIS3_Lb1EPKbPbPKlPlN2at6native12_GLOBAL__N_18offset_tEEE10hipError_tPvRmT1_PNSt15iterator_traitsISK_E10value_typeET2_T3_PNSL_ISQ_E10value_typeET4_jRbjT5_SW_jjP12ihipStream_tbEUlT_E0_NS1_11comp_targetILNS1_3genE8ELNS1_11target_archE1030ELNS1_3gpuE2ELNS1_3repE0EEENS1_60segmented_radix_sort_warp_sort_medium_config_static_selectorELNS0_4arch9wavefront6targetE0EEEvSK_.has_indirect_call, 0
	.section	.AMDGPU.csdata,"",@progbits
; Kernel info:
; codeLenInByte = 0
; TotalNumSgprs: 0
; NumVgprs: 0
; ScratchSize: 0
; MemoryBound: 0
; FloatMode: 240
; IeeeMode: 1
; LDSByteSize: 0 bytes/workgroup (compile time only)
; SGPRBlocks: 0
; VGPRBlocks: 0
; NumSGPRsForWavesPerEU: 1
; NumVGPRsForWavesPerEU: 1
; Occupancy: 16
; WaveLimiterHint : 0
; COMPUTE_PGM_RSRC2:SCRATCH_EN: 0
; COMPUTE_PGM_RSRC2:USER_SGPR: 2
; COMPUTE_PGM_RSRC2:TRAP_HANDLER: 0
; COMPUTE_PGM_RSRC2:TGID_X_EN: 1
; COMPUTE_PGM_RSRC2:TGID_Y_EN: 0
; COMPUTE_PGM_RSRC2:TGID_Z_EN: 0
; COMPUTE_PGM_RSRC2:TIDIG_COMP_CNT: 0
	.section	.text._ZN7rocprim17ROCPRIM_400000_NS6detail17trampoline_kernelINS0_14default_configENS1_36segmented_radix_sort_config_selectorIblEEZNS1_25segmented_radix_sort_implIS3_Lb1EPKbPbPKlPlN2at6native12_GLOBAL__N_18offset_tEEE10hipError_tPvRmT1_PNSt15iterator_traitsISK_E10value_typeET2_T3_PNSL_ISQ_E10value_typeET4_jRbjT5_SW_jjP12ihipStream_tbEUlT_E1_NS1_11comp_targetILNS1_3genE0ELNS1_11target_archE4294967295ELNS1_3gpuE0ELNS1_3repE0EEENS1_59segmented_radix_sort_warp_sort_small_config_static_selectorELNS0_4arch9wavefront6targetE0EEEvSK_,"axG",@progbits,_ZN7rocprim17ROCPRIM_400000_NS6detail17trampoline_kernelINS0_14default_configENS1_36segmented_radix_sort_config_selectorIblEEZNS1_25segmented_radix_sort_implIS3_Lb1EPKbPbPKlPlN2at6native12_GLOBAL__N_18offset_tEEE10hipError_tPvRmT1_PNSt15iterator_traitsISK_E10value_typeET2_T3_PNSL_ISQ_E10value_typeET4_jRbjT5_SW_jjP12ihipStream_tbEUlT_E1_NS1_11comp_targetILNS1_3genE0ELNS1_11target_archE4294967295ELNS1_3gpuE0ELNS1_3repE0EEENS1_59segmented_radix_sort_warp_sort_small_config_static_selectorELNS0_4arch9wavefront6targetE0EEEvSK_,comdat
	.globl	_ZN7rocprim17ROCPRIM_400000_NS6detail17trampoline_kernelINS0_14default_configENS1_36segmented_radix_sort_config_selectorIblEEZNS1_25segmented_radix_sort_implIS3_Lb1EPKbPbPKlPlN2at6native12_GLOBAL__N_18offset_tEEE10hipError_tPvRmT1_PNSt15iterator_traitsISK_E10value_typeET2_T3_PNSL_ISQ_E10value_typeET4_jRbjT5_SW_jjP12ihipStream_tbEUlT_E1_NS1_11comp_targetILNS1_3genE0ELNS1_11target_archE4294967295ELNS1_3gpuE0ELNS1_3repE0EEENS1_59segmented_radix_sort_warp_sort_small_config_static_selectorELNS0_4arch9wavefront6targetE0EEEvSK_ ; -- Begin function _ZN7rocprim17ROCPRIM_400000_NS6detail17trampoline_kernelINS0_14default_configENS1_36segmented_radix_sort_config_selectorIblEEZNS1_25segmented_radix_sort_implIS3_Lb1EPKbPbPKlPlN2at6native12_GLOBAL__N_18offset_tEEE10hipError_tPvRmT1_PNSt15iterator_traitsISK_E10value_typeET2_T3_PNSL_ISQ_E10value_typeET4_jRbjT5_SW_jjP12ihipStream_tbEUlT_E1_NS1_11comp_targetILNS1_3genE0ELNS1_11target_archE4294967295ELNS1_3gpuE0ELNS1_3repE0EEENS1_59segmented_radix_sort_warp_sort_small_config_static_selectorELNS0_4arch9wavefront6targetE0EEEvSK_
	.p2align	8
	.type	_ZN7rocprim17ROCPRIM_400000_NS6detail17trampoline_kernelINS0_14default_configENS1_36segmented_radix_sort_config_selectorIblEEZNS1_25segmented_radix_sort_implIS3_Lb1EPKbPbPKlPlN2at6native12_GLOBAL__N_18offset_tEEE10hipError_tPvRmT1_PNSt15iterator_traitsISK_E10value_typeET2_T3_PNSL_ISQ_E10value_typeET4_jRbjT5_SW_jjP12ihipStream_tbEUlT_E1_NS1_11comp_targetILNS1_3genE0ELNS1_11target_archE4294967295ELNS1_3gpuE0ELNS1_3repE0EEENS1_59segmented_radix_sort_warp_sort_small_config_static_selectorELNS0_4arch9wavefront6targetE0EEEvSK_,@function
_ZN7rocprim17ROCPRIM_400000_NS6detail17trampoline_kernelINS0_14default_configENS1_36segmented_radix_sort_config_selectorIblEEZNS1_25segmented_radix_sort_implIS3_Lb1EPKbPbPKlPlN2at6native12_GLOBAL__N_18offset_tEEE10hipError_tPvRmT1_PNSt15iterator_traitsISK_E10value_typeET2_T3_PNSL_ISQ_E10value_typeET4_jRbjT5_SW_jjP12ihipStream_tbEUlT_E1_NS1_11comp_targetILNS1_3genE0ELNS1_11target_archE4294967295ELNS1_3gpuE0ELNS1_3repE0EEENS1_59segmented_radix_sort_warp_sort_small_config_static_selectorELNS0_4arch9wavefront6targetE0EEEvSK_: ; @_ZN7rocprim17ROCPRIM_400000_NS6detail17trampoline_kernelINS0_14default_configENS1_36segmented_radix_sort_config_selectorIblEEZNS1_25segmented_radix_sort_implIS3_Lb1EPKbPbPKlPlN2at6native12_GLOBAL__N_18offset_tEEE10hipError_tPvRmT1_PNSt15iterator_traitsISK_E10value_typeET2_T3_PNSL_ISQ_E10value_typeET4_jRbjT5_SW_jjP12ihipStream_tbEUlT_E1_NS1_11comp_targetILNS1_3genE0ELNS1_11target_archE4294967295ELNS1_3gpuE0ELNS1_3repE0EEENS1_59segmented_radix_sort_warp_sort_small_config_static_selectorELNS0_4arch9wavefront6targetE0EEEvSK_
; %bb.0:
	.section	.rodata,"a",@progbits
	.p2align	6, 0x0
	.amdhsa_kernel _ZN7rocprim17ROCPRIM_400000_NS6detail17trampoline_kernelINS0_14default_configENS1_36segmented_radix_sort_config_selectorIblEEZNS1_25segmented_radix_sort_implIS3_Lb1EPKbPbPKlPlN2at6native12_GLOBAL__N_18offset_tEEE10hipError_tPvRmT1_PNSt15iterator_traitsISK_E10value_typeET2_T3_PNSL_ISQ_E10value_typeET4_jRbjT5_SW_jjP12ihipStream_tbEUlT_E1_NS1_11comp_targetILNS1_3genE0ELNS1_11target_archE4294967295ELNS1_3gpuE0ELNS1_3repE0EEENS1_59segmented_radix_sort_warp_sort_small_config_static_selectorELNS0_4arch9wavefront6targetE0EEEvSK_
		.amdhsa_group_segment_fixed_size 0
		.amdhsa_private_segment_fixed_size 0
		.amdhsa_kernarg_size 88
		.amdhsa_user_sgpr_count 2
		.amdhsa_user_sgpr_dispatch_ptr 0
		.amdhsa_user_sgpr_queue_ptr 0
		.amdhsa_user_sgpr_kernarg_segment_ptr 1
		.amdhsa_user_sgpr_dispatch_id 0
		.amdhsa_user_sgpr_private_segment_size 0
		.amdhsa_wavefront_size32 1
		.amdhsa_uses_dynamic_stack 0
		.amdhsa_enable_private_segment 0
		.amdhsa_system_sgpr_workgroup_id_x 1
		.amdhsa_system_sgpr_workgroup_id_y 0
		.amdhsa_system_sgpr_workgroup_id_z 0
		.amdhsa_system_sgpr_workgroup_info 0
		.amdhsa_system_vgpr_workitem_id 0
		.amdhsa_next_free_vgpr 1
		.amdhsa_next_free_sgpr 1
		.amdhsa_reserve_vcc 0
		.amdhsa_float_round_mode_32 0
		.amdhsa_float_round_mode_16_64 0
		.amdhsa_float_denorm_mode_32 3
		.amdhsa_float_denorm_mode_16_64 3
		.amdhsa_fp16_overflow 0
		.amdhsa_workgroup_processor_mode 1
		.amdhsa_memory_ordered 1
		.amdhsa_forward_progress 1
		.amdhsa_inst_pref_size 0
		.amdhsa_round_robin_scheduling 0
		.amdhsa_exception_fp_ieee_invalid_op 0
		.amdhsa_exception_fp_denorm_src 0
		.amdhsa_exception_fp_ieee_div_zero 0
		.amdhsa_exception_fp_ieee_overflow 0
		.amdhsa_exception_fp_ieee_underflow 0
		.amdhsa_exception_fp_ieee_inexact 0
		.amdhsa_exception_int_div_zero 0
	.end_amdhsa_kernel
	.section	.text._ZN7rocprim17ROCPRIM_400000_NS6detail17trampoline_kernelINS0_14default_configENS1_36segmented_radix_sort_config_selectorIblEEZNS1_25segmented_radix_sort_implIS3_Lb1EPKbPbPKlPlN2at6native12_GLOBAL__N_18offset_tEEE10hipError_tPvRmT1_PNSt15iterator_traitsISK_E10value_typeET2_T3_PNSL_ISQ_E10value_typeET4_jRbjT5_SW_jjP12ihipStream_tbEUlT_E1_NS1_11comp_targetILNS1_3genE0ELNS1_11target_archE4294967295ELNS1_3gpuE0ELNS1_3repE0EEENS1_59segmented_radix_sort_warp_sort_small_config_static_selectorELNS0_4arch9wavefront6targetE0EEEvSK_,"axG",@progbits,_ZN7rocprim17ROCPRIM_400000_NS6detail17trampoline_kernelINS0_14default_configENS1_36segmented_radix_sort_config_selectorIblEEZNS1_25segmented_radix_sort_implIS3_Lb1EPKbPbPKlPlN2at6native12_GLOBAL__N_18offset_tEEE10hipError_tPvRmT1_PNSt15iterator_traitsISK_E10value_typeET2_T3_PNSL_ISQ_E10value_typeET4_jRbjT5_SW_jjP12ihipStream_tbEUlT_E1_NS1_11comp_targetILNS1_3genE0ELNS1_11target_archE4294967295ELNS1_3gpuE0ELNS1_3repE0EEENS1_59segmented_radix_sort_warp_sort_small_config_static_selectorELNS0_4arch9wavefront6targetE0EEEvSK_,comdat
.Lfunc_end1552:
	.size	_ZN7rocprim17ROCPRIM_400000_NS6detail17trampoline_kernelINS0_14default_configENS1_36segmented_radix_sort_config_selectorIblEEZNS1_25segmented_radix_sort_implIS3_Lb1EPKbPbPKlPlN2at6native12_GLOBAL__N_18offset_tEEE10hipError_tPvRmT1_PNSt15iterator_traitsISK_E10value_typeET2_T3_PNSL_ISQ_E10value_typeET4_jRbjT5_SW_jjP12ihipStream_tbEUlT_E1_NS1_11comp_targetILNS1_3genE0ELNS1_11target_archE4294967295ELNS1_3gpuE0ELNS1_3repE0EEENS1_59segmented_radix_sort_warp_sort_small_config_static_selectorELNS0_4arch9wavefront6targetE0EEEvSK_, .Lfunc_end1552-_ZN7rocprim17ROCPRIM_400000_NS6detail17trampoline_kernelINS0_14default_configENS1_36segmented_radix_sort_config_selectorIblEEZNS1_25segmented_radix_sort_implIS3_Lb1EPKbPbPKlPlN2at6native12_GLOBAL__N_18offset_tEEE10hipError_tPvRmT1_PNSt15iterator_traitsISK_E10value_typeET2_T3_PNSL_ISQ_E10value_typeET4_jRbjT5_SW_jjP12ihipStream_tbEUlT_E1_NS1_11comp_targetILNS1_3genE0ELNS1_11target_archE4294967295ELNS1_3gpuE0ELNS1_3repE0EEENS1_59segmented_radix_sort_warp_sort_small_config_static_selectorELNS0_4arch9wavefront6targetE0EEEvSK_
                                        ; -- End function
	.set _ZN7rocprim17ROCPRIM_400000_NS6detail17trampoline_kernelINS0_14default_configENS1_36segmented_radix_sort_config_selectorIblEEZNS1_25segmented_radix_sort_implIS3_Lb1EPKbPbPKlPlN2at6native12_GLOBAL__N_18offset_tEEE10hipError_tPvRmT1_PNSt15iterator_traitsISK_E10value_typeET2_T3_PNSL_ISQ_E10value_typeET4_jRbjT5_SW_jjP12ihipStream_tbEUlT_E1_NS1_11comp_targetILNS1_3genE0ELNS1_11target_archE4294967295ELNS1_3gpuE0ELNS1_3repE0EEENS1_59segmented_radix_sort_warp_sort_small_config_static_selectorELNS0_4arch9wavefront6targetE0EEEvSK_.num_vgpr, 0
	.set _ZN7rocprim17ROCPRIM_400000_NS6detail17trampoline_kernelINS0_14default_configENS1_36segmented_radix_sort_config_selectorIblEEZNS1_25segmented_radix_sort_implIS3_Lb1EPKbPbPKlPlN2at6native12_GLOBAL__N_18offset_tEEE10hipError_tPvRmT1_PNSt15iterator_traitsISK_E10value_typeET2_T3_PNSL_ISQ_E10value_typeET4_jRbjT5_SW_jjP12ihipStream_tbEUlT_E1_NS1_11comp_targetILNS1_3genE0ELNS1_11target_archE4294967295ELNS1_3gpuE0ELNS1_3repE0EEENS1_59segmented_radix_sort_warp_sort_small_config_static_selectorELNS0_4arch9wavefront6targetE0EEEvSK_.num_agpr, 0
	.set _ZN7rocprim17ROCPRIM_400000_NS6detail17trampoline_kernelINS0_14default_configENS1_36segmented_radix_sort_config_selectorIblEEZNS1_25segmented_radix_sort_implIS3_Lb1EPKbPbPKlPlN2at6native12_GLOBAL__N_18offset_tEEE10hipError_tPvRmT1_PNSt15iterator_traitsISK_E10value_typeET2_T3_PNSL_ISQ_E10value_typeET4_jRbjT5_SW_jjP12ihipStream_tbEUlT_E1_NS1_11comp_targetILNS1_3genE0ELNS1_11target_archE4294967295ELNS1_3gpuE0ELNS1_3repE0EEENS1_59segmented_radix_sort_warp_sort_small_config_static_selectorELNS0_4arch9wavefront6targetE0EEEvSK_.numbered_sgpr, 0
	.set _ZN7rocprim17ROCPRIM_400000_NS6detail17trampoline_kernelINS0_14default_configENS1_36segmented_radix_sort_config_selectorIblEEZNS1_25segmented_radix_sort_implIS3_Lb1EPKbPbPKlPlN2at6native12_GLOBAL__N_18offset_tEEE10hipError_tPvRmT1_PNSt15iterator_traitsISK_E10value_typeET2_T3_PNSL_ISQ_E10value_typeET4_jRbjT5_SW_jjP12ihipStream_tbEUlT_E1_NS1_11comp_targetILNS1_3genE0ELNS1_11target_archE4294967295ELNS1_3gpuE0ELNS1_3repE0EEENS1_59segmented_radix_sort_warp_sort_small_config_static_selectorELNS0_4arch9wavefront6targetE0EEEvSK_.num_named_barrier, 0
	.set _ZN7rocprim17ROCPRIM_400000_NS6detail17trampoline_kernelINS0_14default_configENS1_36segmented_radix_sort_config_selectorIblEEZNS1_25segmented_radix_sort_implIS3_Lb1EPKbPbPKlPlN2at6native12_GLOBAL__N_18offset_tEEE10hipError_tPvRmT1_PNSt15iterator_traitsISK_E10value_typeET2_T3_PNSL_ISQ_E10value_typeET4_jRbjT5_SW_jjP12ihipStream_tbEUlT_E1_NS1_11comp_targetILNS1_3genE0ELNS1_11target_archE4294967295ELNS1_3gpuE0ELNS1_3repE0EEENS1_59segmented_radix_sort_warp_sort_small_config_static_selectorELNS0_4arch9wavefront6targetE0EEEvSK_.private_seg_size, 0
	.set _ZN7rocprim17ROCPRIM_400000_NS6detail17trampoline_kernelINS0_14default_configENS1_36segmented_radix_sort_config_selectorIblEEZNS1_25segmented_radix_sort_implIS3_Lb1EPKbPbPKlPlN2at6native12_GLOBAL__N_18offset_tEEE10hipError_tPvRmT1_PNSt15iterator_traitsISK_E10value_typeET2_T3_PNSL_ISQ_E10value_typeET4_jRbjT5_SW_jjP12ihipStream_tbEUlT_E1_NS1_11comp_targetILNS1_3genE0ELNS1_11target_archE4294967295ELNS1_3gpuE0ELNS1_3repE0EEENS1_59segmented_radix_sort_warp_sort_small_config_static_selectorELNS0_4arch9wavefront6targetE0EEEvSK_.uses_vcc, 0
	.set _ZN7rocprim17ROCPRIM_400000_NS6detail17trampoline_kernelINS0_14default_configENS1_36segmented_radix_sort_config_selectorIblEEZNS1_25segmented_radix_sort_implIS3_Lb1EPKbPbPKlPlN2at6native12_GLOBAL__N_18offset_tEEE10hipError_tPvRmT1_PNSt15iterator_traitsISK_E10value_typeET2_T3_PNSL_ISQ_E10value_typeET4_jRbjT5_SW_jjP12ihipStream_tbEUlT_E1_NS1_11comp_targetILNS1_3genE0ELNS1_11target_archE4294967295ELNS1_3gpuE0ELNS1_3repE0EEENS1_59segmented_radix_sort_warp_sort_small_config_static_selectorELNS0_4arch9wavefront6targetE0EEEvSK_.uses_flat_scratch, 0
	.set _ZN7rocprim17ROCPRIM_400000_NS6detail17trampoline_kernelINS0_14default_configENS1_36segmented_radix_sort_config_selectorIblEEZNS1_25segmented_radix_sort_implIS3_Lb1EPKbPbPKlPlN2at6native12_GLOBAL__N_18offset_tEEE10hipError_tPvRmT1_PNSt15iterator_traitsISK_E10value_typeET2_T3_PNSL_ISQ_E10value_typeET4_jRbjT5_SW_jjP12ihipStream_tbEUlT_E1_NS1_11comp_targetILNS1_3genE0ELNS1_11target_archE4294967295ELNS1_3gpuE0ELNS1_3repE0EEENS1_59segmented_radix_sort_warp_sort_small_config_static_selectorELNS0_4arch9wavefront6targetE0EEEvSK_.has_dyn_sized_stack, 0
	.set _ZN7rocprim17ROCPRIM_400000_NS6detail17trampoline_kernelINS0_14default_configENS1_36segmented_radix_sort_config_selectorIblEEZNS1_25segmented_radix_sort_implIS3_Lb1EPKbPbPKlPlN2at6native12_GLOBAL__N_18offset_tEEE10hipError_tPvRmT1_PNSt15iterator_traitsISK_E10value_typeET2_T3_PNSL_ISQ_E10value_typeET4_jRbjT5_SW_jjP12ihipStream_tbEUlT_E1_NS1_11comp_targetILNS1_3genE0ELNS1_11target_archE4294967295ELNS1_3gpuE0ELNS1_3repE0EEENS1_59segmented_radix_sort_warp_sort_small_config_static_selectorELNS0_4arch9wavefront6targetE0EEEvSK_.has_recursion, 0
	.set _ZN7rocprim17ROCPRIM_400000_NS6detail17trampoline_kernelINS0_14default_configENS1_36segmented_radix_sort_config_selectorIblEEZNS1_25segmented_radix_sort_implIS3_Lb1EPKbPbPKlPlN2at6native12_GLOBAL__N_18offset_tEEE10hipError_tPvRmT1_PNSt15iterator_traitsISK_E10value_typeET2_T3_PNSL_ISQ_E10value_typeET4_jRbjT5_SW_jjP12ihipStream_tbEUlT_E1_NS1_11comp_targetILNS1_3genE0ELNS1_11target_archE4294967295ELNS1_3gpuE0ELNS1_3repE0EEENS1_59segmented_radix_sort_warp_sort_small_config_static_selectorELNS0_4arch9wavefront6targetE0EEEvSK_.has_indirect_call, 0
	.section	.AMDGPU.csdata,"",@progbits
; Kernel info:
; codeLenInByte = 0
; TotalNumSgprs: 0
; NumVgprs: 0
; ScratchSize: 0
; MemoryBound: 0
; FloatMode: 240
; IeeeMode: 1
; LDSByteSize: 0 bytes/workgroup (compile time only)
; SGPRBlocks: 0
; VGPRBlocks: 0
; NumSGPRsForWavesPerEU: 1
; NumVGPRsForWavesPerEU: 1
; Occupancy: 16
; WaveLimiterHint : 0
; COMPUTE_PGM_RSRC2:SCRATCH_EN: 0
; COMPUTE_PGM_RSRC2:USER_SGPR: 2
; COMPUTE_PGM_RSRC2:TRAP_HANDLER: 0
; COMPUTE_PGM_RSRC2:TGID_X_EN: 1
; COMPUTE_PGM_RSRC2:TGID_Y_EN: 0
; COMPUTE_PGM_RSRC2:TGID_Z_EN: 0
; COMPUTE_PGM_RSRC2:TIDIG_COMP_CNT: 0
	.section	.text._ZN7rocprim17ROCPRIM_400000_NS6detail17trampoline_kernelINS0_14default_configENS1_36segmented_radix_sort_config_selectorIblEEZNS1_25segmented_radix_sort_implIS3_Lb1EPKbPbPKlPlN2at6native12_GLOBAL__N_18offset_tEEE10hipError_tPvRmT1_PNSt15iterator_traitsISK_E10value_typeET2_T3_PNSL_ISQ_E10value_typeET4_jRbjT5_SW_jjP12ihipStream_tbEUlT_E1_NS1_11comp_targetILNS1_3genE5ELNS1_11target_archE942ELNS1_3gpuE9ELNS1_3repE0EEENS1_59segmented_radix_sort_warp_sort_small_config_static_selectorELNS0_4arch9wavefront6targetE0EEEvSK_,"axG",@progbits,_ZN7rocprim17ROCPRIM_400000_NS6detail17trampoline_kernelINS0_14default_configENS1_36segmented_radix_sort_config_selectorIblEEZNS1_25segmented_radix_sort_implIS3_Lb1EPKbPbPKlPlN2at6native12_GLOBAL__N_18offset_tEEE10hipError_tPvRmT1_PNSt15iterator_traitsISK_E10value_typeET2_T3_PNSL_ISQ_E10value_typeET4_jRbjT5_SW_jjP12ihipStream_tbEUlT_E1_NS1_11comp_targetILNS1_3genE5ELNS1_11target_archE942ELNS1_3gpuE9ELNS1_3repE0EEENS1_59segmented_radix_sort_warp_sort_small_config_static_selectorELNS0_4arch9wavefront6targetE0EEEvSK_,comdat
	.globl	_ZN7rocprim17ROCPRIM_400000_NS6detail17trampoline_kernelINS0_14default_configENS1_36segmented_radix_sort_config_selectorIblEEZNS1_25segmented_radix_sort_implIS3_Lb1EPKbPbPKlPlN2at6native12_GLOBAL__N_18offset_tEEE10hipError_tPvRmT1_PNSt15iterator_traitsISK_E10value_typeET2_T3_PNSL_ISQ_E10value_typeET4_jRbjT5_SW_jjP12ihipStream_tbEUlT_E1_NS1_11comp_targetILNS1_3genE5ELNS1_11target_archE942ELNS1_3gpuE9ELNS1_3repE0EEENS1_59segmented_radix_sort_warp_sort_small_config_static_selectorELNS0_4arch9wavefront6targetE0EEEvSK_ ; -- Begin function _ZN7rocprim17ROCPRIM_400000_NS6detail17trampoline_kernelINS0_14default_configENS1_36segmented_radix_sort_config_selectorIblEEZNS1_25segmented_radix_sort_implIS3_Lb1EPKbPbPKlPlN2at6native12_GLOBAL__N_18offset_tEEE10hipError_tPvRmT1_PNSt15iterator_traitsISK_E10value_typeET2_T3_PNSL_ISQ_E10value_typeET4_jRbjT5_SW_jjP12ihipStream_tbEUlT_E1_NS1_11comp_targetILNS1_3genE5ELNS1_11target_archE942ELNS1_3gpuE9ELNS1_3repE0EEENS1_59segmented_radix_sort_warp_sort_small_config_static_selectorELNS0_4arch9wavefront6targetE0EEEvSK_
	.p2align	8
	.type	_ZN7rocprim17ROCPRIM_400000_NS6detail17trampoline_kernelINS0_14default_configENS1_36segmented_radix_sort_config_selectorIblEEZNS1_25segmented_radix_sort_implIS3_Lb1EPKbPbPKlPlN2at6native12_GLOBAL__N_18offset_tEEE10hipError_tPvRmT1_PNSt15iterator_traitsISK_E10value_typeET2_T3_PNSL_ISQ_E10value_typeET4_jRbjT5_SW_jjP12ihipStream_tbEUlT_E1_NS1_11comp_targetILNS1_3genE5ELNS1_11target_archE942ELNS1_3gpuE9ELNS1_3repE0EEENS1_59segmented_radix_sort_warp_sort_small_config_static_selectorELNS0_4arch9wavefront6targetE0EEEvSK_,@function
_ZN7rocprim17ROCPRIM_400000_NS6detail17trampoline_kernelINS0_14default_configENS1_36segmented_radix_sort_config_selectorIblEEZNS1_25segmented_radix_sort_implIS3_Lb1EPKbPbPKlPlN2at6native12_GLOBAL__N_18offset_tEEE10hipError_tPvRmT1_PNSt15iterator_traitsISK_E10value_typeET2_T3_PNSL_ISQ_E10value_typeET4_jRbjT5_SW_jjP12ihipStream_tbEUlT_E1_NS1_11comp_targetILNS1_3genE5ELNS1_11target_archE942ELNS1_3gpuE9ELNS1_3repE0EEENS1_59segmented_radix_sort_warp_sort_small_config_static_selectorELNS0_4arch9wavefront6targetE0EEEvSK_: ; @_ZN7rocprim17ROCPRIM_400000_NS6detail17trampoline_kernelINS0_14default_configENS1_36segmented_radix_sort_config_selectorIblEEZNS1_25segmented_radix_sort_implIS3_Lb1EPKbPbPKlPlN2at6native12_GLOBAL__N_18offset_tEEE10hipError_tPvRmT1_PNSt15iterator_traitsISK_E10value_typeET2_T3_PNSL_ISQ_E10value_typeET4_jRbjT5_SW_jjP12ihipStream_tbEUlT_E1_NS1_11comp_targetILNS1_3genE5ELNS1_11target_archE942ELNS1_3gpuE9ELNS1_3repE0EEENS1_59segmented_radix_sort_warp_sort_small_config_static_selectorELNS0_4arch9wavefront6targetE0EEEvSK_
; %bb.0:
	.section	.rodata,"a",@progbits
	.p2align	6, 0x0
	.amdhsa_kernel _ZN7rocprim17ROCPRIM_400000_NS6detail17trampoline_kernelINS0_14default_configENS1_36segmented_radix_sort_config_selectorIblEEZNS1_25segmented_radix_sort_implIS3_Lb1EPKbPbPKlPlN2at6native12_GLOBAL__N_18offset_tEEE10hipError_tPvRmT1_PNSt15iterator_traitsISK_E10value_typeET2_T3_PNSL_ISQ_E10value_typeET4_jRbjT5_SW_jjP12ihipStream_tbEUlT_E1_NS1_11comp_targetILNS1_3genE5ELNS1_11target_archE942ELNS1_3gpuE9ELNS1_3repE0EEENS1_59segmented_radix_sort_warp_sort_small_config_static_selectorELNS0_4arch9wavefront6targetE0EEEvSK_
		.amdhsa_group_segment_fixed_size 0
		.amdhsa_private_segment_fixed_size 0
		.amdhsa_kernarg_size 88
		.amdhsa_user_sgpr_count 2
		.amdhsa_user_sgpr_dispatch_ptr 0
		.amdhsa_user_sgpr_queue_ptr 0
		.amdhsa_user_sgpr_kernarg_segment_ptr 1
		.amdhsa_user_sgpr_dispatch_id 0
		.amdhsa_user_sgpr_private_segment_size 0
		.amdhsa_wavefront_size32 1
		.amdhsa_uses_dynamic_stack 0
		.amdhsa_enable_private_segment 0
		.amdhsa_system_sgpr_workgroup_id_x 1
		.amdhsa_system_sgpr_workgroup_id_y 0
		.amdhsa_system_sgpr_workgroup_id_z 0
		.amdhsa_system_sgpr_workgroup_info 0
		.amdhsa_system_vgpr_workitem_id 0
		.amdhsa_next_free_vgpr 1
		.amdhsa_next_free_sgpr 1
		.amdhsa_reserve_vcc 0
		.amdhsa_float_round_mode_32 0
		.amdhsa_float_round_mode_16_64 0
		.amdhsa_float_denorm_mode_32 3
		.amdhsa_float_denorm_mode_16_64 3
		.amdhsa_fp16_overflow 0
		.amdhsa_workgroup_processor_mode 1
		.amdhsa_memory_ordered 1
		.amdhsa_forward_progress 1
		.amdhsa_inst_pref_size 0
		.amdhsa_round_robin_scheduling 0
		.amdhsa_exception_fp_ieee_invalid_op 0
		.amdhsa_exception_fp_denorm_src 0
		.amdhsa_exception_fp_ieee_div_zero 0
		.amdhsa_exception_fp_ieee_overflow 0
		.amdhsa_exception_fp_ieee_underflow 0
		.amdhsa_exception_fp_ieee_inexact 0
		.amdhsa_exception_int_div_zero 0
	.end_amdhsa_kernel
	.section	.text._ZN7rocprim17ROCPRIM_400000_NS6detail17trampoline_kernelINS0_14default_configENS1_36segmented_radix_sort_config_selectorIblEEZNS1_25segmented_radix_sort_implIS3_Lb1EPKbPbPKlPlN2at6native12_GLOBAL__N_18offset_tEEE10hipError_tPvRmT1_PNSt15iterator_traitsISK_E10value_typeET2_T3_PNSL_ISQ_E10value_typeET4_jRbjT5_SW_jjP12ihipStream_tbEUlT_E1_NS1_11comp_targetILNS1_3genE5ELNS1_11target_archE942ELNS1_3gpuE9ELNS1_3repE0EEENS1_59segmented_radix_sort_warp_sort_small_config_static_selectorELNS0_4arch9wavefront6targetE0EEEvSK_,"axG",@progbits,_ZN7rocprim17ROCPRIM_400000_NS6detail17trampoline_kernelINS0_14default_configENS1_36segmented_radix_sort_config_selectorIblEEZNS1_25segmented_radix_sort_implIS3_Lb1EPKbPbPKlPlN2at6native12_GLOBAL__N_18offset_tEEE10hipError_tPvRmT1_PNSt15iterator_traitsISK_E10value_typeET2_T3_PNSL_ISQ_E10value_typeET4_jRbjT5_SW_jjP12ihipStream_tbEUlT_E1_NS1_11comp_targetILNS1_3genE5ELNS1_11target_archE942ELNS1_3gpuE9ELNS1_3repE0EEENS1_59segmented_radix_sort_warp_sort_small_config_static_selectorELNS0_4arch9wavefront6targetE0EEEvSK_,comdat
.Lfunc_end1553:
	.size	_ZN7rocprim17ROCPRIM_400000_NS6detail17trampoline_kernelINS0_14default_configENS1_36segmented_radix_sort_config_selectorIblEEZNS1_25segmented_radix_sort_implIS3_Lb1EPKbPbPKlPlN2at6native12_GLOBAL__N_18offset_tEEE10hipError_tPvRmT1_PNSt15iterator_traitsISK_E10value_typeET2_T3_PNSL_ISQ_E10value_typeET4_jRbjT5_SW_jjP12ihipStream_tbEUlT_E1_NS1_11comp_targetILNS1_3genE5ELNS1_11target_archE942ELNS1_3gpuE9ELNS1_3repE0EEENS1_59segmented_radix_sort_warp_sort_small_config_static_selectorELNS0_4arch9wavefront6targetE0EEEvSK_, .Lfunc_end1553-_ZN7rocprim17ROCPRIM_400000_NS6detail17trampoline_kernelINS0_14default_configENS1_36segmented_radix_sort_config_selectorIblEEZNS1_25segmented_radix_sort_implIS3_Lb1EPKbPbPKlPlN2at6native12_GLOBAL__N_18offset_tEEE10hipError_tPvRmT1_PNSt15iterator_traitsISK_E10value_typeET2_T3_PNSL_ISQ_E10value_typeET4_jRbjT5_SW_jjP12ihipStream_tbEUlT_E1_NS1_11comp_targetILNS1_3genE5ELNS1_11target_archE942ELNS1_3gpuE9ELNS1_3repE0EEENS1_59segmented_radix_sort_warp_sort_small_config_static_selectorELNS0_4arch9wavefront6targetE0EEEvSK_
                                        ; -- End function
	.set _ZN7rocprim17ROCPRIM_400000_NS6detail17trampoline_kernelINS0_14default_configENS1_36segmented_radix_sort_config_selectorIblEEZNS1_25segmented_radix_sort_implIS3_Lb1EPKbPbPKlPlN2at6native12_GLOBAL__N_18offset_tEEE10hipError_tPvRmT1_PNSt15iterator_traitsISK_E10value_typeET2_T3_PNSL_ISQ_E10value_typeET4_jRbjT5_SW_jjP12ihipStream_tbEUlT_E1_NS1_11comp_targetILNS1_3genE5ELNS1_11target_archE942ELNS1_3gpuE9ELNS1_3repE0EEENS1_59segmented_radix_sort_warp_sort_small_config_static_selectorELNS0_4arch9wavefront6targetE0EEEvSK_.num_vgpr, 0
	.set _ZN7rocprim17ROCPRIM_400000_NS6detail17trampoline_kernelINS0_14default_configENS1_36segmented_radix_sort_config_selectorIblEEZNS1_25segmented_radix_sort_implIS3_Lb1EPKbPbPKlPlN2at6native12_GLOBAL__N_18offset_tEEE10hipError_tPvRmT1_PNSt15iterator_traitsISK_E10value_typeET2_T3_PNSL_ISQ_E10value_typeET4_jRbjT5_SW_jjP12ihipStream_tbEUlT_E1_NS1_11comp_targetILNS1_3genE5ELNS1_11target_archE942ELNS1_3gpuE9ELNS1_3repE0EEENS1_59segmented_radix_sort_warp_sort_small_config_static_selectorELNS0_4arch9wavefront6targetE0EEEvSK_.num_agpr, 0
	.set _ZN7rocprim17ROCPRIM_400000_NS6detail17trampoline_kernelINS0_14default_configENS1_36segmented_radix_sort_config_selectorIblEEZNS1_25segmented_radix_sort_implIS3_Lb1EPKbPbPKlPlN2at6native12_GLOBAL__N_18offset_tEEE10hipError_tPvRmT1_PNSt15iterator_traitsISK_E10value_typeET2_T3_PNSL_ISQ_E10value_typeET4_jRbjT5_SW_jjP12ihipStream_tbEUlT_E1_NS1_11comp_targetILNS1_3genE5ELNS1_11target_archE942ELNS1_3gpuE9ELNS1_3repE0EEENS1_59segmented_radix_sort_warp_sort_small_config_static_selectorELNS0_4arch9wavefront6targetE0EEEvSK_.numbered_sgpr, 0
	.set _ZN7rocprim17ROCPRIM_400000_NS6detail17trampoline_kernelINS0_14default_configENS1_36segmented_radix_sort_config_selectorIblEEZNS1_25segmented_radix_sort_implIS3_Lb1EPKbPbPKlPlN2at6native12_GLOBAL__N_18offset_tEEE10hipError_tPvRmT1_PNSt15iterator_traitsISK_E10value_typeET2_T3_PNSL_ISQ_E10value_typeET4_jRbjT5_SW_jjP12ihipStream_tbEUlT_E1_NS1_11comp_targetILNS1_3genE5ELNS1_11target_archE942ELNS1_3gpuE9ELNS1_3repE0EEENS1_59segmented_radix_sort_warp_sort_small_config_static_selectorELNS0_4arch9wavefront6targetE0EEEvSK_.num_named_barrier, 0
	.set _ZN7rocprim17ROCPRIM_400000_NS6detail17trampoline_kernelINS0_14default_configENS1_36segmented_radix_sort_config_selectorIblEEZNS1_25segmented_radix_sort_implIS3_Lb1EPKbPbPKlPlN2at6native12_GLOBAL__N_18offset_tEEE10hipError_tPvRmT1_PNSt15iterator_traitsISK_E10value_typeET2_T3_PNSL_ISQ_E10value_typeET4_jRbjT5_SW_jjP12ihipStream_tbEUlT_E1_NS1_11comp_targetILNS1_3genE5ELNS1_11target_archE942ELNS1_3gpuE9ELNS1_3repE0EEENS1_59segmented_radix_sort_warp_sort_small_config_static_selectorELNS0_4arch9wavefront6targetE0EEEvSK_.private_seg_size, 0
	.set _ZN7rocprim17ROCPRIM_400000_NS6detail17trampoline_kernelINS0_14default_configENS1_36segmented_radix_sort_config_selectorIblEEZNS1_25segmented_radix_sort_implIS3_Lb1EPKbPbPKlPlN2at6native12_GLOBAL__N_18offset_tEEE10hipError_tPvRmT1_PNSt15iterator_traitsISK_E10value_typeET2_T3_PNSL_ISQ_E10value_typeET4_jRbjT5_SW_jjP12ihipStream_tbEUlT_E1_NS1_11comp_targetILNS1_3genE5ELNS1_11target_archE942ELNS1_3gpuE9ELNS1_3repE0EEENS1_59segmented_radix_sort_warp_sort_small_config_static_selectorELNS0_4arch9wavefront6targetE0EEEvSK_.uses_vcc, 0
	.set _ZN7rocprim17ROCPRIM_400000_NS6detail17trampoline_kernelINS0_14default_configENS1_36segmented_radix_sort_config_selectorIblEEZNS1_25segmented_radix_sort_implIS3_Lb1EPKbPbPKlPlN2at6native12_GLOBAL__N_18offset_tEEE10hipError_tPvRmT1_PNSt15iterator_traitsISK_E10value_typeET2_T3_PNSL_ISQ_E10value_typeET4_jRbjT5_SW_jjP12ihipStream_tbEUlT_E1_NS1_11comp_targetILNS1_3genE5ELNS1_11target_archE942ELNS1_3gpuE9ELNS1_3repE0EEENS1_59segmented_radix_sort_warp_sort_small_config_static_selectorELNS0_4arch9wavefront6targetE0EEEvSK_.uses_flat_scratch, 0
	.set _ZN7rocprim17ROCPRIM_400000_NS6detail17trampoline_kernelINS0_14default_configENS1_36segmented_radix_sort_config_selectorIblEEZNS1_25segmented_radix_sort_implIS3_Lb1EPKbPbPKlPlN2at6native12_GLOBAL__N_18offset_tEEE10hipError_tPvRmT1_PNSt15iterator_traitsISK_E10value_typeET2_T3_PNSL_ISQ_E10value_typeET4_jRbjT5_SW_jjP12ihipStream_tbEUlT_E1_NS1_11comp_targetILNS1_3genE5ELNS1_11target_archE942ELNS1_3gpuE9ELNS1_3repE0EEENS1_59segmented_radix_sort_warp_sort_small_config_static_selectorELNS0_4arch9wavefront6targetE0EEEvSK_.has_dyn_sized_stack, 0
	.set _ZN7rocprim17ROCPRIM_400000_NS6detail17trampoline_kernelINS0_14default_configENS1_36segmented_radix_sort_config_selectorIblEEZNS1_25segmented_radix_sort_implIS3_Lb1EPKbPbPKlPlN2at6native12_GLOBAL__N_18offset_tEEE10hipError_tPvRmT1_PNSt15iterator_traitsISK_E10value_typeET2_T3_PNSL_ISQ_E10value_typeET4_jRbjT5_SW_jjP12ihipStream_tbEUlT_E1_NS1_11comp_targetILNS1_3genE5ELNS1_11target_archE942ELNS1_3gpuE9ELNS1_3repE0EEENS1_59segmented_radix_sort_warp_sort_small_config_static_selectorELNS0_4arch9wavefront6targetE0EEEvSK_.has_recursion, 0
	.set _ZN7rocprim17ROCPRIM_400000_NS6detail17trampoline_kernelINS0_14default_configENS1_36segmented_radix_sort_config_selectorIblEEZNS1_25segmented_radix_sort_implIS3_Lb1EPKbPbPKlPlN2at6native12_GLOBAL__N_18offset_tEEE10hipError_tPvRmT1_PNSt15iterator_traitsISK_E10value_typeET2_T3_PNSL_ISQ_E10value_typeET4_jRbjT5_SW_jjP12ihipStream_tbEUlT_E1_NS1_11comp_targetILNS1_3genE5ELNS1_11target_archE942ELNS1_3gpuE9ELNS1_3repE0EEENS1_59segmented_radix_sort_warp_sort_small_config_static_selectorELNS0_4arch9wavefront6targetE0EEEvSK_.has_indirect_call, 0
	.section	.AMDGPU.csdata,"",@progbits
; Kernel info:
; codeLenInByte = 0
; TotalNumSgprs: 0
; NumVgprs: 0
; ScratchSize: 0
; MemoryBound: 0
; FloatMode: 240
; IeeeMode: 1
; LDSByteSize: 0 bytes/workgroup (compile time only)
; SGPRBlocks: 0
; VGPRBlocks: 0
; NumSGPRsForWavesPerEU: 1
; NumVGPRsForWavesPerEU: 1
; Occupancy: 16
; WaveLimiterHint : 0
; COMPUTE_PGM_RSRC2:SCRATCH_EN: 0
; COMPUTE_PGM_RSRC2:USER_SGPR: 2
; COMPUTE_PGM_RSRC2:TRAP_HANDLER: 0
; COMPUTE_PGM_RSRC2:TGID_X_EN: 1
; COMPUTE_PGM_RSRC2:TGID_Y_EN: 0
; COMPUTE_PGM_RSRC2:TGID_Z_EN: 0
; COMPUTE_PGM_RSRC2:TIDIG_COMP_CNT: 0
	.section	.text._ZN7rocprim17ROCPRIM_400000_NS6detail17trampoline_kernelINS0_14default_configENS1_36segmented_radix_sort_config_selectorIblEEZNS1_25segmented_radix_sort_implIS3_Lb1EPKbPbPKlPlN2at6native12_GLOBAL__N_18offset_tEEE10hipError_tPvRmT1_PNSt15iterator_traitsISK_E10value_typeET2_T3_PNSL_ISQ_E10value_typeET4_jRbjT5_SW_jjP12ihipStream_tbEUlT_E1_NS1_11comp_targetILNS1_3genE4ELNS1_11target_archE910ELNS1_3gpuE8ELNS1_3repE0EEENS1_59segmented_radix_sort_warp_sort_small_config_static_selectorELNS0_4arch9wavefront6targetE0EEEvSK_,"axG",@progbits,_ZN7rocprim17ROCPRIM_400000_NS6detail17trampoline_kernelINS0_14default_configENS1_36segmented_radix_sort_config_selectorIblEEZNS1_25segmented_radix_sort_implIS3_Lb1EPKbPbPKlPlN2at6native12_GLOBAL__N_18offset_tEEE10hipError_tPvRmT1_PNSt15iterator_traitsISK_E10value_typeET2_T3_PNSL_ISQ_E10value_typeET4_jRbjT5_SW_jjP12ihipStream_tbEUlT_E1_NS1_11comp_targetILNS1_3genE4ELNS1_11target_archE910ELNS1_3gpuE8ELNS1_3repE0EEENS1_59segmented_radix_sort_warp_sort_small_config_static_selectorELNS0_4arch9wavefront6targetE0EEEvSK_,comdat
	.globl	_ZN7rocprim17ROCPRIM_400000_NS6detail17trampoline_kernelINS0_14default_configENS1_36segmented_radix_sort_config_selectorIblEEZNS1_25segmented_radix_sort_implIS3_Lb1EPKbPbPKlPlN2at6native12_GLOBAL__N_18offset_tEEE10hipError_tPvRmT1_PNSt15iterator_traitsISK_E10value_typeET2_T3_PNSL_ISQ_E10value_typeET4_jRbjT5_SW_jjP12ihipStream_tbEUlT_E1_NS1_11comp_targetILNS1_3genE4ELNS1_11target_archE910ELNS1_3gpuE8ELNS1_3repE0EEENS1_59segmented_radix_sort_warp_sort_small_config_static_selectorELNS0_4arch9wavefront6targetE0EEEvSK_ ; -- Begin function _ZN7rocprim17ROCPRIM_400000_NS6detail17trampoline_kernelINS0_14default_configENS1_36segmented_radix_sort_config_selectorIblEEZNS1_25segmented_radix_sort_implIS3_Lb1EPKbPbPKlPlN2at6native12_GLOBAL__N_18offset_tEEE10hipError_tPvRmT1_PNSt15iterator_traitsISK_E10value_typeET2_T3_PNSL_ISQ_E10value_typeET4_jRbjT5_SW_jjP12ihipStream_tbEUlT_E1_NS1_11comp_targetILNS1_3genE4ELNS1_11target_archE910ELNS1_3gpuE8ELNS1_3repE0EEENS1_59segmented_radix_sort_warp_sort_small_config_static_selectorELNS0_4arch9wavefront6targetE0EEEvSK_
	.p2align	8
	.type	_ZN7rocprim17ROCPRIM_400000_NS6detail17trampoline_kernelINS0_14default_configENS1_36segmented_radix_sort_config_selectorIblEEZNS1_25segmented_radix_sort_implIS3_Lb1EPKbPbPKlPlN2at6native12_GLOBAL__N_18offset_tEEE10hipError_tPvRmT1_PNSt15iterator_traitsISK_E10value_typeET2_T3_PNSL_ISQ_E10value_typeET4_jRbjT5_SW_jjP12ihipStream_tbEUlT_E1_NS1_11comp_targetILNS1_3genE4ELNS1_11target_archE910ELNS1_3gpuE8ELNS1_3repE0EEENS1_59segmented_radix_sort_warp_sort_small_config_static_selectorELNS0_4arch9wavefront6targetE0EEEvSK_,@function
_ZN7rocprim17ROCPRIM_400000_NS6detail17trampoline_kernelINS0_14default_configENS1_36segmented_radix_sort_config_selectorIblEEZNS1_25segmented_radix_sort_implIS3_Lb1EPKbPbPKlPlN2at6native12_GLOBAL__N_18offset_tEEE10hipError_tPvRmT1_PNSt15iterator_traitsISK_E10value_typeET2_T3_PNSL_ISQ_E10value_typeET4_jRbjT5_SW_jjP12ihipStream_tbEUlT_E1_NS1_11comp_targetILNS1_3genE4ELNS1_11target_archE910ELNS1_3gpuE8ELNS1_3repE0EEENS1_59segmented_radix_sort_warp_sort_small_config_static_selectorELNS0_4arch9wavefront6targetE0EEEvSK_: ; @_ZN7rocprim17ROCPRIM_400000_NS6detail17trampoline_kernelINS0_14default_configENS1_36segmented_radix_sort_config_selectorIblEEZNS1_25segmented_radix_sort_implIS3_Lb1EPKbPbPKlPlN2at6native12_GLOBAL__N_18offset_tEEE10hipError_tPvRmT1_PNSt15iterator_traitsISK_E10value_typeET2_T3_PNSL_ISQ_E10value_typeET4_jRbjT5_SW_jjP12ihipStream_tbEUlT_E1_NS1_11comp_targetILNS1_3genE4ELNS1_11target_archE910ELNS1_3gpuE8ELNS1_3repE0EEENS1_59segmented_radix_sort_warp_sort_small_config_static_selectorELNS0_4arch9wavefront6targetE0EEEvSK_
; %bb.0:
	.section	.rodata,"a",@progbits
	.p2align	6, 0x0
	.amdhsa_kernel _ZN7rocprim17ROCPRIM_400000_NS6detail17trampoline_kernelINS0_14default_configENS1_36segmented_radix_sort_config_selectorIblEEZNS1_25segmented_radix_sort_implIS3_Lb1EPKbPbPKlPlN2at6native12_GLOBAL__N_18offset_tEEE10hipError_tPvRmT1_PNSt15iterator_traitsISK_E10value_typeET2_T3_PNSL_ISQ_E10value_typeET4_jRbjT5_SW_jjP12ihipStream_tbEUlT_E1_NS1_11comp_targetILNS1_3genE4ELNS1_11target_archE910ELNS1_3gpuE8ELNS1_3repE0EEENS1_59segmented_radix_sort_warp_sort_small_config_static_selectorELNS0_4arch9wavefront6targetE0EEEvSK_
		.amdhsa_group_segment_fixed_size 0
		.amdhsa_private_segment_fixed_size 0
		.amdhsa_kernarg_size 88
		.amdhsa_user_sgpr_count 2
		.amdhsa_user_sgpr_dispatch_ptr 0
		.amdhsa_user_sgpr_queue_ptr 0
		.amdhsa_user_sgpr_kernarg_segment_ptr 1
		.amdhsa_user_sgpr_dispatch_id 0
		.amdhsa_user_sgpr_private_segment_size 0
		.amdhsa_wavefront_size32 1
		.amdhsa_uses_dynamic_stack 0
		.amdhsa_enable_private_segment 0
		.amdhsa_system_sgpr_workgroup_id_x 1
		.amdhsa_system_sgpr_workgroup_id_y 0
		.amdhsa_system_sgpr_workgroup_id_z 0
		.amdhsa_system_sgpr_workgroup_info 0
		.amdhsa_system_vgpr_workitem_id 0
		.amdhsa_next_free_vgpr 1
		.amdhsa_next_free_sgpr 1
		.amdhsa_reserve_vcc 0
		.amdhsa_float_round_mode_32 0
		.amdhsa_float_round_mode_16_64 0
		.amdhsa_float_denorm_mode_32 3
		.amdhsa_float_denorm_mode_16_64 3
		.amdhsa_fp16_overflow 0
		.amdhsa_workgroup_processor_mode 1
		.amdhsa_memory_ordered 1
		.amdhsa_forward_progress 1
		.amdhsa_inst_pref_size 0
		.amdhsa_round_robin_scheduling 0
		.amdhsa_exception_fp_ieee_invalid_op 0
		.amdhsa_exception_fp_denorm_src 0
		.amdhsa_exception_fp_ieee_div_zero 0
		.amdhsa_exception_fp_ieee_overflow 0
		.amdhsa_exception_fp_ieee_underflow 0
		.amdhsa_exception_fp_ieee_inexact 0
		.amdhsa_exception_int_div_zero 0
	.end_amdhsa_kernel
	.section	.text._ZN7rocprim17ROCPRIM_400000_NS6detail17trampoline_kernelINS0_14default_configENS1_36segmented_radix_sort_config_selectorIblEEZNS1_25segmented_radix_sort_implIS3_Lb1EPKbPbPKlPlN2at6native12_GLOBAL__N_18offset_tEEE10hipError_tPvRmT1_PNSt15iterator_traitsISK_E10value_typeET2_T3_PNSL_ISQ_E10value_typeET4_jRbjT5_SW_jjP12ihipStream_tbEUlT_E1_NS1_11comp_targetILNS1_3genE4ELNS1_11target_archE910ELNS1_3gpuE8ELNS1_3repE0EEENS1_59segmented_radix_sort_warp_sort_small_config_static_selectorELNS0_4arch9wavefront6targetE0EEEvSK_,"axG",@progbits,_ZN7rocprim17ROCPRIM_400000_NS6detail17trampoline_kernelINS0_14default_configENS1_36segmented_radix_sort_config_selectorIblEEZNS1_25segmented_radix_sort_implIS3_Lb1EPKbPbPKlPlN2at6native12_GLOBAL__N_18offset_tEEE10hipError_tPvRmT1_PNSt15iterator_traitsISK_E10value_typeET2_T3_PNSL_ISQ_E10value_typeET4_jRbjT5_SW_jjP12ihipStream_tbEUlT_E1_NS1_11comp_targetILNS1_3genE4ELNS1_11target_archE910ELNS1_3gpuE8ELNS1_3repE0EEENS1_59segmented_radix_sort_warp_sort_small_config_static_selectorELNS0_4arch9wavefront6targetE0EEEvSK_,comdat
.Lfunc_end1554:
	.size	_ZN7rocprim17ROCPRIM_400000_NS6detail17trampoline_kernelINS0_14default_configENS1_36segmented_radix_sort_config_selectorIblEEZNS1_25segmented_radix_sort_implIS3_Lb1EPKbPbPKlPlN2at6native12_GLOBAL__N_18offset_tEEE10hipError_tPvRmT1_PNSt15iterator_traitsISK_E10value_typeET2_T3_PNSL_ISQ_E10value_typeET4_jRbjT5_SW_jjP12ihipStream_tbEUlT_E1_NS1_11comp_targetILNS1_3genE4ELNS1_11target_archE910ELNS1_3gpuE8ELNS1_3repE0EEENS1_59segmented_radix_sort_warp_sort_small_config_static_selectorELNS0_4arch9wavefront6targetE0EEEvSK_, .Lfunc_end1554-_ZN7rocprim17ROCPRIM_400000_NS6detail17trampoline_kernelINS0_14default_configENS1_36segmented_radix_sort_config_selectorIblEEZNS1_25segmented_radix_sort_implIS3_Lb1EPKbPbPKlPlN2at6native12_GLOBAL__N_18offset_tEEE10hipError_tPvRmT1_PNSt15iterator_traitsISK_E10value_typeET2_T3_PNSL_ISQ_E10value_typeET4_jRbjT5_SW_jjP12ihipStream_tbEUlT_E1_NS1_11comp_targetILNS1_3genE4ELNS1_11target_archE910ELNS1_3gpuE8ELNS1_3repE0EEENS1_59segmented_radix_sort_warp_sort_small_config_static_selectorELNS0_4arch9wavefront6targetE0EEEvSK_
                                        ; -- End function
	.set _ZN7rocprim17ROCPRIM_400000_NS6detail17trampoline_kernelINS0_14default_configENS1_36segmented_radix_sort_config_selectorIblEEZNS1_25segmented_radix_sort_implIS3_Lb1EPKbPbPKlPlN2at6native12_GLOBAL__N_18offset_tEEE10hipError_tPvRmT1_PNSt15iterator_traitsISK_E10value_typeET2_T3_PNSL_ISQ_E10value_typeET4_jRbjT5_SW_jjP12ihipStream_tbEUlT_E1_NS1_11comp_targetILNS1_3genE4ELNS1_11target_archE910ELNS1_3gpuE8ELNS1_3repE0EEENS1_59segmented_radix_sort_warp_sort_small_config_static_selectorELNS0_4arch9wavefront6targetE0EEEvSK_.num_vgpr, 0
	.set _ZN7rocprim17ROCPRIM_400000_NS6detail17trampoline_kernelINS0_14default_configENS1_36segmented_radix_sort_config_selectorIblEEZNS1_25segmented_radix_sort_implIS3_Lb1EPKbPbPKlPlN2at6native12_GLOBAL__N_18offset_tEEE10hipError_tPvRmT1_PNSt15iterator_traitsISK_E10value_typeET2_T3_PNSL_ISQ_E10value_typeET4_jRbjT5_SW_jjP12ihipStream_tbEUlT_E1_NS1_11comp_targetILNS1_3genE4ELNS1_11target_archE910ELNS1_3gpuE8ELNS1_3repE0EEENS1_59segmented_radix_sort_warp_sort_small_config_static_selectorELNS0_4arch9wavefront6targetE0EEEvSK_.num_agpr, 0
	.set _ZN7rocprim17ROCPRIM_400000_NS6detail17trampoline_kernelINS0_14default_configENS1_36segmented_radix_sort_config_selectorIblEEZNS1_25segmented_radix_sort_implIS3_Lb1EPKbPbPKlPlN2at6native12_GLOBAL__N_18offset_tEEE10hipError_tPvRmT1_PNSt15iterator_traitsISK_E10value_typeET2_T3_PNSL_ISQ_E10value_typeET4_jRbjT5_SW_jjP12ihipStream_tbEUlT_E1_NS1_11comp_targetILNS1_3genE4ELNS1_11target_archE910ELNS1_3gpuE8ELNS1_3repE0EEENS1_59segmented_radix_sort_warp_sort_small_config_static_selectorELNS0_4arch9wavefront6targetE0EEEvSK_.numbered_sgpr, 0
	.set _ZN7rocprim17ROCPRIM_400000_NS6detail17trampoline_kernelINS0_14default_configENS1_36segmented_radix_sort_config_selectorIblEEZNS1_25segmented_radix_sort_implIS3_Lb1EPKbPbPKlPlN2at6native12_GLOBAL__N_18offset_tEEE10hipError_tPvRmT1_PNSt15iterator_traitsISK_E10value_typeET2_T3_PNSL_ISQ_E10value_typeET4_jRbjT5_SW_jjP12ihipStream_tbEUlT_E1_NS1_11comp_targetILNS1_3genE4ELNS1_11target_archE910ELNS1_3gpuE8ELNS1_3repE0EEENS1_59segmented_radix_sort_warp_sort_small_config_static_selectorELNS0_4arch9wavefront6targetE0EEEvSK_.num_named_barrier, 0
	.set _ZN7rocprim17ROCPRIM_400000_NS6detail17trampoline_kernelINS0_14default_configENS1_36segmented_radix_sort_config_selectorIblEEZNS1_25segmented_radix_sort_implIS3_Lb1EPKbPbPKlPlN2at6native12_GLOBAL__N_18offset_tEEE10hipError_tPvRmT1_PNSt15iterator_traitsISK_E10value_typeET2_T3_PNSL_ISQ_E10value_typeET4_jRbjT5_SW_jjP12ihipStream_tbEUlT_E1_NS1_11comp_targetILNS1_3genE4ELNS1_11target_archE910ELNS1_3gpuE8ELNS1_3repE0EEENS1_59segmented_radix_sort_warp_sort_small_config_static_selectorELNS0_4arch9wavefront6targetE0EEEvSK_.private_seg_size, 0
	.set _ZN7rocprim17ROCPRIM_400000_NS6detail17trampoline_kernelINS0_14default_configENS1_36segmented_radix_sort_config_selectorIblEEZNS1_25segmented_radix_sort_implIS3_Lb1EPKbPbPKlPlN2at6native12_GLOBAL__N_18offset_tEEE10hipError_tPvRmT1_PNSt15iterator_traitsISK_E10value_typeET2_T3_PNSL_ISQ_E10value_typeET4_jRbjT5_SW_jjP12ihipStream_tbEUlT_E1_NS1_11comp_targetILNS1_3genE4ELNS1_11target_archE910ELNS1_3gpuE8ELNS1_3repE0EEENS1_59segmented_radix_sort_warp_sort_small_config_static_selectorELNS0_4arch9wavefront6targetE0EEEvSK_.uses_vcc, 0
	.set _ZN7rocprim17ROCPRIM_400000_NS6detail17trampoline_kernelINS0_14default_configENS1_36segmented_radix_sort_config_selectorIblEEZNS1_25segmented_radix_sort_implIS3_Lb1EPKbPbPKlPlN2at6native12_GLOBAL__N_18offset_tEEE10hipError_tPvRmT1_PNSt15iterator_traitsISK_E10value_typeET2_T3_PNSL_ISQ_E10value_typeET4_jRbjT5_SW_jjP12ihipStream_tbEUlT_E1_NS1_11comp_targetILNS1_3genE4ELNS1_11target_archE910ELNS1_3gpuE8ELNS1_3repE0EEENS1_59segmented_radix_sort_warp_sort_small_config_static_selectorELNS0_4arch9wavefront6targetE0EEEvSK_.uses_flat_scratch, 0
	.set _ZN7rocprim17ROCPRIM_400000_NS6detail17trampoline_kernelINS0_14default_configENS1_36segmented_radix_sort_config_selectorIblEEZNS1_25segmented_radix_sort_implIS3_Lb1EPKbPbPKlPlN2at6native12_GLOBAL__N_18offset_tEEE10hipError_tPvRmT1_PNSt15iterator_traitsISK_E10value_typeET2_T3_PNSL_ISQ_E10value_typeET4_jRbjT5_SW_jjP12ihipStream_tbEUlT_E1_NS1_11comp_targetILNS1_3genE4ELNS1_11target_archE910ELNS1_3gpuE8ELNS1_3repE0EEENS1_59segmented_radix_sort_warp_sort_small_config_static_selectorELNS0_4arch9wavefront6targetE0EEEvSK_.has_dyn_sized_stack, 0
	.set _ZN7rocprim17ROCPRIM_400000_NS6detail17trampoline_kernelINS0_14default_configENS1_36segmented_radix_sort_config_selectorIblEEZNS1_25segmented_radix_sort_implIS3_Lb1EPKbPbPKlPlN2at6native12_GLOBAL__N_18offset_tEEE10hipError_tPvRmT1_PNSt15iterator_traitsISK_E10value_typeET2_T3_PNSL_ISQ_E10value_typeET4_jRbjT5_SW_jjP12ihipStream_tbEUlT_E1_NS1_11comp_targetILNS1_3genE4ELNS1_11target_archE910ELNS1_3gpuE8ELNS1_3repE0EEENS1_59segmented_radix_sort_warp_sort_small_config_static_selectorELNS0_4arch9wavefront6targetE0EEEvSK_.has_recursion, 0
	.set _ZN7rocprim17ROCPRIM_400000_NS6detail17trampoline_kernelINS0_14default_configENS1_36segmented_radix_sort_config_selectorIblEEZNS1_25segmented_radix_sort_implIS3_Lb1EPKbPbPKlPlN2at6native12_GLOBAL__N_18offset_tEEE10hipError_tPvRmT1_PNSt15iterator_traitsISK_E10value_typeET2_T3_PNSL_ISQ_E10value_typeET4_jRbjT5_SW_jjP12ihipStream_tbEUlT_E1_NS1_11comp_targetILNS1_3genE4ELNS1_11target_archE910ELNS1_3gpuE8ELNS1_3repE0EEENS1_59segmented_radix_sort_warp_sort_small_config_static_selectorELNS0_4arch9wavefront6targetE0EEEvSK_.has_indirect_call, 0
	.section	.AMDGPU.csdata,"",@progbits
; Kernel info:
; codeLenInByte = 0
; TotalNumSgprs: 0
; NumVgprs: 0
; ScratchSize: 0
; MemoryBound: 0
; FloatMode: 240
; IeeeMode: 1
; LDSByteSize: 0 bytes/workgroup (compile time only)
; SGPRBlocks: 0
; VGPRBlocks: 0
; NumSGPRsForWavesPerEU: 1
; NumVGPRsForWavesPerEU: 1
; Occupancy: 16
; WaveLimiterHint : 0
; COMPUTE_PGM_RSRC2:SCRATCH_EN: 0
; COMPUTE_PGM_RSRC2:USER_SGPR: 2
; COMPUTE_PGM_RSRC2:TRAP_HANDLER: 0
; COMPUTE_PGM_RSRC2:TGID_X_EN: 1
; COMPUTE_PGM_RSRC2:TGID_Y_EN: 0
; COMPUTE_PGM_RSRC2:TGID_Z_EN: 0
; COMPUTE_PGM_RSRC2:TIDIG_COMP_CNT: 0
	.section	.text._ZN7rocprim17ROCPRIM_400000_NS6detail17trampoline_kernelINS0_14default_configENS1_36segmented_radix_sort_config_selectorIblEEZNS1_25segmented_radix_sort_implIS3_Lb1EPKbPbPKlPlN2at6native12_GLOBAL__N_18offset_tEEE10hipError_tPvRmT1_PNSt15iterator_traitsISK_E10value_typeET2_T3_PNSL_ISQ_E10value_typeET4_jRbjT5_SW_jjP12ihipStream_tbEUlT_E1_NS1_11comp_targetILNS1_3genE3ELNS1_11target_archE908ELNS1_3gpuE7ELNS1_3repE0EEENS1_59segmented_radix_sort_warp_sort_small_config_static_selectorELNS0_4arch9wavefront6targetE0EEEvSK_,"axG",@progbits,_ZN7rocprim17ROCPRIM_400000_NS6detail17trampoline_kernelINS0_14default_configENS1_36segmented_radix_sort_config_selectorIblEEZNS1_25segmented_radix_sort_implIS3_Lb1EPKbPbPKlPlN2at6native12_GLOBAL__N_18offset_tEEE10hipError_tPvRmT1_PNSt15iterator_traitsISK_E10value_typeET2_T3_PNSL_ISQ_E10value_typeET4_jRbjT5_SW_jjP12ihipStream_tbEUlT_E1_NS1_11comp_targetILNS1_3genE3ELNS1_11target_archE908ELNS1_3gpuE7ELNS1_3repE0EEENS1_59segmented_radix_sort_warp_sort_small_config_static_selectorELNS0_4arch9wavefront6targetE0EEEvSK_,comdat
	.globl	_ZN7rocprim17ROCPRIM_400000_NS6detail17trampoline_kernelINS0_14default_configENS1_36segmented_radix_sort_config_selectorIblEEZNS1_25segmented_radix_sort_implIS3_Lb1EPKbPbPKlPlN2at6native12_GLOBAL__N_18offset_tEEE10hipError_tPvRmT1_PNSt15iterator_traitsISK_E10value_typeET2_T3_PNSL_ISQ_E10value_typeET4_jRbjT5_SW_jjP12ihipStream_tbEUlT_E1_NS1_11comp_targetILNS1_3genE3ELNS1_11target_archE908ELNS1_3gpuE7ELNS1_3repE0EEENS1_59segmented_radix_sort_warp_sort_small_config_static_selectorELNS0_4arch9wavefront6targetE0EEEvSK_ ; -- Begin function _ZN7rocprim17ROCPRIM_400000_NS6detail17trampoline_kernelINS0_14default_configENS1_36segmented_radix_sort_config_selectorIblEEZNS1_25segmented_radix_sort_implIS3_Lb1EPKbPbPKlPlN2at6native12_GLOBAL__N_18offset_tEEE10hipError_tPvRmT1_PNSt15iterator_traitsISK_E10value_typeET2_T3_PNSL_ISQ_E10value_typeET4_jRbjT5_SW_jjP12ihipStream_tbEUlT_E1_NS1_11comp_targetILNS1_3genE3ELNS1_11target_archE908ELNS1_3gpuE7ELNS1_3repE0EEENS1_59segmented_radix_sort_warp_sort_small_config_static_selectorELNS0_4arch9wavefront6targetE0EEEvSK_
	.p2align	8
	.type	_ZN7rocprim17ROCPRIM_400000_NS6detail17trampoline_kernelINS0_14default_configENS1_36segmented_radix_sort_config_selectorIblEEZNS1_25segmented_radix_sort_implIS3_Lb1EPKbPbPKlPlN2at6native12_GLOBAL__N_18offset_tEEE10hipError_tPvRmT1_PNSt15iterator_traitsISK_E10value_typeET2_T3_PNSL_ISQ_E10value_typeET4_jRbjT5_SW_jjP12ihipStream_tbEUlT_E1_NS1_11comp_targetILNS1_3genE3ELNS1_11target_archE908ELNS1_3gpuE7ELNS1_3repE0EEENS1_59segmented_radix_sort_warp_sort_small_config_static_selectorELNS0_4arch9wavefront6targetE0EEEvSK_,@function
_ZN7rocprim17ROCPRIM_400000_NS6detail17trampoline_kernelINS0_14default_configENS1_36segmented_radix_sort_config_selectorIblEEZNS1_25segmented_radix_sort_implIS3_Lb1EPKbPbPKlPlN2at6native12_GLOBAL__N_18offset_tEEE10hipError_tPvRmT1_PNSt15iterator_traitsISK_E10value_typeET2_T3_PNSL_ISQ_E10value_typeET4_jRbjT5_SW_jjP12ihipStream_tbEUlT_E1_NS1_11comp_targetILNS1_3genE3ELNS1_11target_archE908ELNS1_3gpuE7ELNS1_3repE0EEENS1_59segmented_radix_sort_warp_sort_small_config_static_selectorELNS0_4arch9wavefront6targetE0EEEvSK_: ; @_ZN7rocprim17ROCPRIM_400000_NS6detail17trampoline_kernelINS0_14default_configENS1_36segmented_radix_sort_config_selectorIblEEZNS1_25segmented_radix_sort_implIS3_Lb1EPKbPbPKlPlN2at6native12_GLOBAL__N_18offset_tEEE10hipError_tPvRmT1_PNSt15iterator_traitsISK_E10value_typeET2_T3_PNSL_ISQ_E10value_typeET4_jRbjT5_SW_jjP12ihipStream_tbEUlT_E1_NS1_11comp_targetILNS1_3genE3ELNS1_11target_archE908ELNS1_3gpuE7ELNS1_3repE0EEENS1_59segmented_radix_sort_warp_sort_small_config_static_selectorELNS0_4arch9wavefront6targetE0EEEvSK_
; %bb.0:
	.section	.rodata,"a",@progbits
	.p2align	6, 0x0
	.amdhsa_kernel _ZN7rocprim17ROCPRIM_400000_NS6detail17trampoline_kernelINS0_14default_configENS1_36segmented_radix_sort_config_selectorIblEEZNS1_25segmented_radix_sort_implIS3_Lb1EPKbPbPKlPlN2at6native12_GLOBAL__N_18offset_tEEE10hipError_tPvRmT1_PNSt15iterator_traitsISK_E10value_typeET2_T3_PNSL_ISQ_E10value_typeET4_jRbjT5_SW_jjP12ihipStream_tbEUlT_E1_NS1_11comp_targetILNS1_3genE3ELNS1_11target_archE908ELNS1_3gpuE7ELNS1_3repE0EEENS1_59segmented_radix_sort_warp_sort_small_config_static_selectorELNS0_4arch9wavefront6targetE0EEEvSK_
		.amdhsa_group_segment_fixed_size 0
		.amdhsa_private_segment_fixed_size 0
		.amdhsa_kernarg_size 88
		.amdhsa_user_sgpr_count 2
		.amdhsa_user_sgpr_dispatch_ptr 0
		.amdhsa_user_sgpr_queue_ptr 0
		.amdhsa_user_sgpr_kernarg_segment_ptr 1
		.amdhsa_user_sgpr_dispatch_id 0
		.amdhsa_user_sgpr_private_segment_size 0
		.amdhsa_wavefront_size32 1
		.amdhsa_uses_dynamic_stack 0
		.amdhsa_enable_private_segment 0
		.amdhsa_system_sgpr_workgroup_id_x 1
		.amdhsa_system_sgpr_workgroup_id_y 0
		.amdhsa_system_sgpr_workgroup_id_z 0
		.amdhsa_system_sgpr_workgroup_info 0
		.amdhsa_system_vgpr_workitem_id 0
		.amdhsa_next_free_vgpr 1
		.amdhsa_next_free_sgpr 1
		.amdhsa_reserve_vcc 0
		.amdhsa_float_round_mode_32 0
		.amdhsa_float_round_mode_16_64 0
		.amdhsa_float_denorm_mode_32 3
		.amdhsa_float_denorm_mode_16_64 3
		.amdhsa_fp16_overflow 0
		.amdhsa_workgroup_processor_mode 1
		.amdhsa_memory_ordered 1
		.amdhsa_forward_progress 1
		.amdhsa_inst_pref_size 0
		.amdhsa_round_robin_scheduling 0
		.amdhsa_exception_fp_ieee_invalid_op 0
		.amdhsa_exception_fp_denorm_src 0
		.amdhsa_exception_fp_ieee_div_zero 0
		.amdhsa_exception_fp_ieee_overflow 0
		.amdhsa_exception_fp_ieee_underflow 0
		.amdhsa_exception_fp_ieee_inexact 0
		.amdhsa_exception_int_div_zero 0
	.end_amdhsa_kernel
	.section	.text._ZN7rocprim17ROCPRIM_400000_NS6detail17trampoline_kernelINS0_14default_configENS1_36segmented_radix_sort_config_selectorIblEEZNS1_25segmented_radix_sort_implIS3_Lb1EPKbPbPKlPlN2at6native12_GLOBAL__N_18offset_tEEE10hipError_tPvRmT1_PNSt15iterator_traitsISK_E10value_typeET2_T3_PNSL_ISQ_E10value_typeET4_jRbjT5_SW_jjP12ihipStream_tbEUlT_E1_NS1_11comp_targetILNS1_3genE3ELNS1_11target_archE908ELNS1_3gpuE7ELNS1_3repE0EEENS1_59segmented_radix_sort_warp_sort_small_config_static_selectorELNS0_4arch9wavefront6targetE0EEEvSK_,"axG",@progbits,_ZN7rocprim17ROCPRIM_400000_NS6detail17trampoline_kernelINS0_14default_configENS1_36segmented_radix_sort_config_selectorIblEEZNS1_25segmented_radix_sort_implIS3_Lb1EPKbPbPKlPlN2at6native12_GLOBAL__N_18offset_tEEE10hipError_tPvRmT1_PNSt15iterator_traitsISK_E10value_typeET2_T3_PNSL_ISQ_E10value_typeET4_jRbjT5_SW_jjP12ihipStream_tbEUlT_E1_NS1_11comp_targetILNS1_3genE3ELNS1_11target_archE908ELNS1_3gpuE7ELNS1_3repE0EEENS1_59segmented_radix_sort_warp_sort_small_config_static_selectorELNS0_4arch9wavefront6targetE0EEEvSK_,comdat
.Lfunc_end1555:
	.size	_ZN7rocprim17ROCPRIM_400000_NS6detail17trampoline_kernelINS0_14default_configENS1_36segmented_radix_sort_config_selectorIblEEZNS1_25segmented_radix_sort_implIS3_Lb1EPKbPbPKlPlN2at6native12_GLOBAL__N_18offset_tEEE10hipError_tPvRmT1_PNSt15iterator_traitsISK_E10value_typeET2_T3_PNSL_ISQ_E10value_typeET4_jRbjT5_SW_jjP12ihipStream_tbEUlT_E1_NS1_11comp_targetILNS1_3genE3ELNS1_11target_archE908ELNS1_3gpuE7ELNS1_3repE0EEENS1_59segmented_radix_sort_warp_sort_small_config_static_selectorELNS0_4arch9wavefront6targetE0EEEvSK_, .Lfunc_end1555-_ZN7rocprim17ROCPRIM_400000_NS6detail17trampoline_kernelINS0_14default_configENS1_36segmented_radix_sort_config_selectorIblEEZNS1_25segmented_radix_sort_implIS3_Lb1EPKbPbPKlPlN2at6native12_GLOBAL__N_18offset_tEEE10hipError_tPvRmT1_PNSt15iterator_traitsISK_E10value_typeET2_T3_PNSL_ISQ_E10value_typeET4_jRbjT5_SW_jjP12ihipStream_tbEUlT_E1_NS1_11comp_targetILNS1_3genE3ELNS1_11target_archE908ELNS1_3gpuE7ELNS1_3repE0EEENS1_59segmented_radix_sort_warp_sort_small_config_static_selectorELNS0_4arch9wavefront6targetE0EEEvSK_
                                        ; -- End function
	.set _ZN7rocprim17ROCPRIM_400000_NS6detail17trampoline_kernelINS0_14default_configENS1_36segmented_radix_sort_config_selectorIblEEZNS1_25segmented_radix_sort_implIS3_Lb1EPKbPbPKlPlN2at6native12_GLOBAL__N_18offset_tEEE10hipError_tPvRmT1_PNSt15iterator_traitsISK_E10value_typeET2_T3_PNSL_ISQ_E10value_typeET4_jRbjT5_SW_jjP12ihipStream_tbEUlT_E1_NS1_11comp_targetILNS1_3genE3ELNS1_11target_archE908ELNS1_3gpuE7ELNS1_3repE0EEENS1_59segmented_radix_sort_warp_sort_small_config_static_selectorELNS0_4arch9wavefront6targetE0EEEvSK_.num_vgpr, 0
	.set _ZN7rocprim17ROCPRIM_400000_NS6detail17trampoline_kernelINS0_14default_configENS1_36segmented_radix_sort_config_selectorIblEEZNS1_25segmented_radix_sort_implIS3_Lb1EPKbPbPKlPlN2at6native12_GLOBAL__N_18offset_tEEE10hipError_tPvRmT1_PNSt15iterator_traitsISK_E10value_typeET2_T3_PNSL_ISQ_E10value_typeET4_jRbjT5_SW_jjP12ihipStream_tbEUlT_E1_NS1_11comp_targetILNS1_3genE3ELNS1_11target_archE908ELNS1_3gpuE7ELNS1_3repE0EEENS1_59segmented_radix_sort_warp_sort_small_config_static_selectorELNS0_4arch9wavefront6targetE0EEEvSK_.num_agpr, 0
	.set _ZN7rocprim17ROCPRIM_400000_NS6detail17trampoline_kernelINS0_14default_configENS1_36segmented_radix_sort_config_selectorIblEEZNS1_25segmented_radix_sort_implIS3_Lb1EPKbPbPKlPlN2at6native12_GLOBAL__N_18offset_tEEE10hipError_tPvRmT1_PNSt15iterator_traitsISK_E10value_typeET2_T3_PNSL_ISQ_E10value_typeET4_jRbjT5_SW_jjP12ihipStream_tbEUlT_E1_NS1_11comp_targetILNS1_3genE3ELNS1_11target_archE908ELNS1_3gpuE7ELNS1_3repE0EEENS1_59segmented_radix_sort_warp_sort_small_config_static_selectorELNS0_4arch9wavefront6targetE0EEEvSK_.numbered_sgpr, 0
	.set _ZN7rocprim17ROCPRIM_400000_NS6detail17trampoline_kernelINS0_14default_configENS1_36segmented_radix_sort_config_selectorIblEEZNS1_25segmented_radix_sort_implIS3_Lb1EPKbPbPKlPlN2at6native12_GLOBAL__N_18offset_tEEE10hipError_tPvRmT1_PNSt15iterator_traitsISK_E10value_typeET2_T3_PNSL_ISQ_E10value_typeET4_jRbjT5_SW_jjP12ihipStream_tbEUlT_E1_NS1_11comp_targetILNS1_3genE3ELNS1_11target_archE908ELNS1_3gpuE7ELNS1_3repE0EEENS1_59segmented_radix_sort_warp_sort_small_config_static_selectorELNS0_4arch9wavefront6targetE0EEEvSK_.num_named_barrier, 0
	.set _ZN7rocprim17ROCPRIM_400000_NS6detail17trampoline_kernelINS0_14default_configENS1_36segmented_radix_sort_config_selectorIblEEZNS1_25segmented_radix_sort_implIS3_Lb1EPKbPbPKlPlN2at6native12_GLOBAL__N_18offset_tEEE10hipError_tPvRmT1_PNSt15iterator_traitsISK_E10value_typeET2_T3_PNSL_ISQ_E10value_typeET4_jRbjT5_SW_jjP12ihipStream_tbEUlT_E1_NS1_11comp_targetILNS1_3genE3ELNS1_11target_archE908ELNS1_3gpuE7ELNS1_3repE0EEENS1_59segmented_radix_sort_warp_sort_small_config_static_selectorELNS0_4arch9wavefront6targetE0EEEvSK_.private_seg_size, 0
	.set _ZN7rocprim17ROCPRIM_400000_NS6detail17trampoline_kernelINS0_14default_configENS1_36segmented_radix_sort_config_selectorIblEEZNS1_25segmented_radix_sort_implIS3_Lb1EPKbPbPKlPlN2at6native12_GLOBAL__N_18offset_tEEE10hipError_tPvRmT1_PNSt15iterator_traitsISK_E10value_typeET2_T3_PNSL_ISQ_E10value_typeET4_jRbjT5_SW_jjP12ihipStream_tbEUlT_E1_NS1_11comp_targetILNS1_3genE3ELNS1_11target_archE908ELNS1_3gpuE7ELNS1_3repE0EEENS1_59segmented_radix_sort_warp_sort_small_config_static_selectorELNS0_4arch9wavefront6targetE0EEEvSK_.uses_vcc, 0
	.set _ZN7rocprim17ROCPRIM_400000_NS6detail17trampoline_kernelINS0_14default_configENS1_36segmented_radix_sort_config_selectorIblEEZNS1_25segmented_radix_sort_implIS3_Lb1EPKbPbPKlPlN2at6native12_GLOBAL__N_18offset_tEEE10hipError_tPvRmT1_PNSt15iterator_traitsISK_E10value_typeET2_T3_PNSL_ISQ_E10value_typeET4_jRbjT5_SW_jjP12ihipStream_tbEUlT_E1_NS1_11comp_targetILNS1_3genE3ELNS1_11target_archE908ELNS1_3gpuE7ELNS1_3repE0EEENS1_59segmented_radix_sort_warp_sort_small_config_static_selectorELNS0_4arch9wavefront6targetE0EEEvSK_.uses_flat_scratch, 0
	.set _ZN7rocprim17ROCPRIM_400000_NS6detail17trampoline_kernelINS0_14default_configENS1_36segmented_radix_sort_config_selectorIblEEZNS1_25segmented_radix_sort_implIS3_Lb1EPKbPbPKlPlN2at6native12_GLOBAL__N_18offset_tEEE10hipError_tPvRmT1_PNSt15iterator_traitsISK_E10value_typeET2_T3_PNSL_ISQ_E10value_typeET4_jRbjT5_SW_jjP12ihipStream_tbEUlT_E1_NS1_11comp_targetILNS1_3genE3ELNS1_11target_archE908ELNS1_3gpuE7ELNS1_3repE0EEENS1_59segmented_radix_sort_warp_sort_small_config_static_selectorELNS0_4arch9wavefront6targetE0EEEvSK_.has_dyn_sized_stack, 0
	.set _ZN7rocprim17ROCPRIM_400000_NS6detail17trampoline_kernelINS0_14default_configENS1_36segmented_radix_sort_config_selectorIblEEZNS1_25segmented_radix_sort_implIS3_Lb1EPKbPbPKlPlN2at6native12_GLOBAL__N_18offset_tEEE10hipError_tPvRmT1_PNSt15iterator_traitsISK_E10value_typeET2_T3_PNSL_ISQ_E10value_typeET4_jRbjT5_SW_jjP12ihipStream_tbEUlT_E1_NS1_11comp_targetILNS1_3genE3ELNS1_11target_archE908ELNS1_3gpuE7ELNS1_3repE0EEENS1_59segmented_radix_sort_warp_sort_small_config_static_selectorELNS0_4arch9wavefront6targetE0EEEvSK_.has_recursion, 0
	.set _ZN7rocprim17ROCPRIM_400000_NS6detail17trampoline_kernelINS0_14default_configENS1_36segmented_radix_sort_config_selectorIblEEZNS1_25segmented_radix_sort_implIS3_Lb1EPKbPbPKlPlN2at6native12_GLOBAL__N_18offset_tEEE10hipError_tPvRmT1_PNSt15iterator_traitsISK_E10value_typeET2_T3_PNSL_ISQ_E10value_typeET4_jRbjT5_SW_jjP12ihipStream_tbEUlT_E1_NS1_11comp_targetILNS1_3genE3ELNS1_11target_archE908ELNS1_3gpuE7ELNS1_3repE0EEENS1_59segmented_radix_sort_warp_sort_small_config_static_selectorELNS0_4arch9wavefront6targetE0EEEvSK_.has_indirect_call, 0
	.section	.AMDGPU.csdata,"",@progbits
; Kernel info:
; codeLenInByte = 0
; TotalNumSgprs: 0
; NumVgprs: 0
; ScratchSize: 0
; MemoryBound: 0
; FloatMode: 240
; IeeeMode: 1
; LDSByteSize: 0 bytes/workgroup (compile time only)
; SGPRBlocks: 0
; VGPRBlocks: 0
; NumSGPRsForWavesPerEU: 1
; NumVGPRsForWavesPerEU: 1
; Occupancy: 16
; WaveLimiterHint : 0
; COMPUTE_PGM_RSRC2:SCRATCH_EN: 0
; COMPUTE_PGM_RSRC2:USER_SGPR: 2
; COMPUTE_PGM_RSRC2:TRAP_HANDLER: 0
; COMPUTE_PGM_RSRC2:TGID_X_EN: 1
; COMPUTE_PGM_RSRC2:TGID_Y_EN: 0
; COMPUTE_PGM_RSRC2:TGID_Z_EN: 0
; COMPUTE_PGM_RSRC2:TIDIG_COMP_CNT: 0
	.section	.text._ZN7rocprim17ROCPRIM_400000_NS6detail17trampoline_kernelINS0_14default_configENS1_36segmented_radix_sort_config_selectorIblEEZNS1_25segmented_radix_sort_implIS3_Lb1EPKbPbPKlPlN2at6native12_GLOBAL__N_18offset_tEEE10hipError_tPvRmT1_PNSt15iterator_traitsISK_E10value_typeET2_T3_PNSL_ISQ_E10value_typeET4_jRbjT5_SW_jjP12ihipStream_tbEUlT_E1_NS1_11comp_targetILNS1_3genE2ELNS1_11target_archE906ELNS1_3gpuE6ELNS1_3repE0EEENS1_59segmented_radix_sort_warp_sort_small_config_static_selectorELNS0_4arch9wavefront6targetE0EEEvSK_,"axG",@progbits,_ZN7rocprim17ROCPRIM_400000_NS6detail17trampoline_kernelINS0_14default_configENS1_36segmented_radix_sort_config_selectorIblEEZNS1_25segmented_radix_sort_implIS3_Lb1EPKbPbPKlPlN2at6native12_GLOBAL__N_18offset_tEEE10hipError_tPvRmT1_PNSt15iterator_traitsISK_E10value_typeET2_T3_PNSL_ISQ_E10value_typeET4_jRbjT5_SW_jjP12ihipStream_tbEUlT_E1_NS1_11comp_targetILNS1_3genE2ELNS1_11target_archE906ELNS1_3gpuE6ELNS1_3repE0EEENS1_59segmented_radix_sort_warp_sort_small_config_static_selectorELNS0_4arch9wavefront6targetE0EEEvSK_,comdat
	.globl	_ZN7rocprim17ROCPRIM_400000_NS6detail17trampoline_kernelINS0_14default_configENS1_36segmented_radix_sort_config_selectorIblEEZNS1_25segmented_radix_sort_implIS3_Lb1EPKbPbPKlPlN2at6native12_GLOBAL__N_18offset_tEEE10hipError_tPvRmT1_PNSt15iterator_traitsISK_E10value_typeET2_T3_PNSL_ISQ_E10value_typeET4_jRbjT5_SW_jjP12ihipStream_tbEUlT_E1_NS1_11comp_targetILNS1_3genE2ELNS1_11target_archE906ELNS1_3gpuE6ELNS1_3repE0EEENS1_59segmented_radix_sort_warp_sort_small_config_static_selectorELNS0_4arch9wavefront6targetE0EEEvSK_ ; -- Begin function _ZN7rocprim17ROCPRIM_400000_NS6detail17trampoline_kernelINS0_14default_configENS1_36segmented_radix_sort_config_selectorIblEEZNS1_25segmented_radix_sort_implIS3_Lb1EPKbPbPKlPlN2at6native12_GLOBAL__N_18offset_tEEE10hipError_tPvRmT1_PNSt15iterator_traitsISK_E10value_typeET2_T3_PNSL_ISQ_E10value_typeET4_jRbjT5_SW_jjP12ihipStream_tbEUlT_E1_NS1_11comp_targetILNS1_3genE2ELNS1_11target_archE906ELNS1_3gpuE6ELNS1_3repE0EEENS1_59segmented_radix_sort_warp_sort_small_config_static_selectorELNS0_4arch9wavefront6targetE0EEEvSK_
	.p2align	8
	.type	_ZN7rocprim17ROCPRIM_400000_NS6detail17trampoline_kernelINS0_14default_configENS1_36segmented_radix_sort_config_selectorIblEEZNS1_25segmented_radix_sort_implIS3_Lb1EPKbPbPKlPlN2at6native12_GLOBAL__N_18offset_tEEE10hipError_tPvRmT1_PNSt15iterator_traitsISK_E10value_typeET2_T3_PNSL_ISQ_E10value_typeET4_jRbjT5_SW_jjP12ihipStream_tbEUlT_E1_NS1_11comp_targetILNS1_3genE2ELNS1_11target_archE906ELNS1_3gpuE6ELNS1_3repE0EEENS1_59segmented_radix_sort_warp_sort_small_config_static_selectorELNS0_4arch9wavefront6targetE0EEEvSK_,@function
_ZN7rocprim17ROCPRIM_400000_NS6detail17trampoline_kernelINS0_14default_configENS1_36segmented_radix_sort_config_selectorIblEEZNS1_25segmented_radix_sort_implIS3_Lb1EPKbPbPKlPlN2at6native12_GLOBAL__N_18offset_tEEE10hipError_tPvRmT1_PNSt15iterator_traitsISK_E10value_typeET2_T3_PNSL_ISQ_E10value_typeET4_jRbjT5_SW_jjP12ihipStream_tbEUlT_E1_NS1_11comp_targetILNS1_3genE2ELNS1_11target_archE906ELNS1_3gpuE6ELNS1_3repE0EEENS1_59segmented_radix_sort_warp_sort_small_config_static_selectorELNS0_4arch9wavefront6targetE0EEEvSK_: ; @_ZN7rocprim17ROCPRIM_400000_NS6detail17trampoline_kernelINS0_14default_configENS1_36segmented_radix_sort_config_selectorIblEEZNS1_25segmented_radix_sort_implIS3_Lb1EPKbPbPKlPlN2at6native12_GLOBAL__N_18offset_tEEE10hipError_tPvRmT1_PNSt15iterator_traitsISK_E10value_typeET2_T3_PNSL_ISQ_E10value_typeET4_jRbjT5_SW_jjP12ihipStream_tbEUlT_E1_NS1_11comp_targetILNS1_3genE2ELNS1_11target_archE906ELNS1_3gpuE6ELNS1_3repE0EEENS1_59segmented_radix_sort_warp_sort_small_config_static_selectorELNS0_4arch9wavefront6targetE0EEEvSK_
; %bb.0:
	.section	.rodata,"a",@progbits
	.p2align	6, 0x0
	.amdhsa_kernel _ZN7rocprim17ROCPRIM_400000_NS6detail17trampoline_kernelINS0_14default_configENS1_36segmented_radix_sort_config_selectorIblEEZNS1_25segmented_radix_sort_implIS3_Lb1EPKbPbPKlPlN2at6native12_GLOBAL__N_18offset_tEEE10hipError_tPvRmT1_PNSt15iterator_traitsISK_E10value_typeET2_T3_PNSL_ISQ_E10value_typeET4_jRbjT5_SW_jjP12ihipStream_tbEUlT_E1_NS1_11comp_targetILNS1_3genE2ELNS1_11target_archE906ELNS1_3gpuE6ELNS1_3repE0EEENS1_59segmented_radix_sort_warp_sort_small_config_static_selectorELNS0_4arch9wavefront6targetE0EEEvSK_
		.amdhsa_group_segment_fixed_size 0
		.amdhsa_private_segment_fixed_size 0
		.amdhsa_kernarg_size 88
		.amdhsa_user_sgpr_count 2
		.amdhsa_user_sgpr_dispatch_ptr 0
		.amdhsa_user_sgpr_queue_ptr 0
		.amdhsa_user_sgpr_kernarg_segment_ptr 1
		.amdhsa_user_sgpr_dispatch_id 0
		.amdhsa_user_sgpr_private_segment_size 0
		.amdhsa_wavefront_size32 1
		.amdhsa_uses_dynamic_stack 0
		.amdhsa_enable_private_segment 0
		.amdhsa_system_sgpr_workgroup_id_x 1
		.amdhsa_system_sgpr_workgroup_id_y 0
		.amdhsa_system_sgpr_workgroup_id_z 0
		.amdhsa_system_sgpr_workgroup_info 0
		.amdhsa_system_vgpr_workitem_id 0
		.amdhsa_next_free_vgpr 1
		.amdhsa_next_free_sgpr 1
		.amdhsa_reserve_vcc 0
		.amdhsa_float_round_mode_32 0
		.amdhsa_float_round_mode_16_64 0
		.amdhsa_float_denorm_mode_32 3
		.amdhsa_float_denorm_mode_16_64 3
		.amdhsa_fp16_overflow 0
		.amdhsa_workgroup_processor_mode 1
		.amdhsa_memory_ordered 1
		.amdhsa_forward_progress 1
		.amdhsa_inst_pref_size 0
		.amdhsa_round_robin_scheduling 0
		.amdhsa_exception_fp_ieee_invalid_op 0
		.amdhsa_exception_fp_denorm_src 0
		.amdhsa_exception_fp_ieee_div_zero 0
		.amdhsa_exception_fp_ieee_overflow 0
		.amdhsa_exception_fp_ieee_underflow 0
		.amdhsa_exception_fp_ieee_inexact 0
		.amdhsa_exception_int_div_zero 0
	.end_amdhsa_kernel
	.section	.text._ZN7rocprim17ROCPRIM_400000_NS6detail17trampoline_kernelINS0_14default_configENS1_36segmented_radix_sort_config_selectorIblEEZNS1_25segmented_radix_sort_implIS3_Lb1EPKbPbPKlPlN2at6native12_GLOBAL__N_18offset_tEEE10hipError_tPvRmT1_PNSt15iterator_traitsISK_E10value_typeET2_T3_PNSL_ISQ_E10value_typeET4_jRbjT5_SW_jjP12ihipStream_tbEUlT_E1_NS1_11comp_targetILNS1_3genE2ELNS1_11target_archE906ELNS1_3gpuE6ELNS1_3repE0EEENS1_59segmented_radix_sort_warp_sort_small_config_static_selectorELNS0_4arch9wavefront6targetE0EEEvSK_,"axG",@progbits,_ZN7rocprim17ROCPRIM_400000_NS6detail17trampoline_kernelINS0_14default_configENS1_36segmented_radix_sort_config_selectorIblEEZNS1_25segmented_radix_sort_implIS3_Lb1EPKbPbPKlPlN2at6native12_GLOBAL__N_18offset_tEEE10hipError_tPvRmT1_PNSt15iterator_traitsISK_E10value_typeET2_T3_PNSL_ISQ_E10value_typeET4_jRbjT5_SW_jjP12ihipStream_tbEUlT_E1_NS1_11comp_targetILNS1_3genE2ELNS1_11target_archE906ELNS1_3gpuE6ELNS1_3repE0EEENS1_59segmented_radix_sort_warp_sort_small_config_static_selectorELNS0_4arch9wavefront6targetE0EEEvSK_,comdat
.Lfunc_end1556:
	.size	_ZN7rocprim17ROCPRIM_400000_NS6detail17trampoline_kernelINS0_14default_configENS1_36segmented_radix_sort_config_selectorIblEEZNS1_25segmented_radix_sort_implIS3_Lb1EPKbPbPKlPlN2at6native12_GLOBAL__N_18offset_tEEE10hipError_tPvRmT1_PNSt15iterator_traitsISK_E10value_typeET2_T3_PNSL_ISQ_E10value_typeET4_jRbjT5_SW_jjP12ihipStream_tbEUlT_E1_NS1_11comp_targetILNS1_3genE2ELNS1_11target_archE906ELNS1_3gpuE6ELNS1_3repE0EEENS1_59segmented_radix_sort_warp_sort_small_config_static_selectorELNS0_4arch9wavefront6targetE0EEEvSK_, .Lfunc_end1556-_ZN7rocprim17ROCPRIM_400000_NS6detail17trampoline_kernelINS0_14default_configENS1_36segmented_radix_sort_config_selectorIblEEZNS1_25segmented_radix_sort_implIS3_Lb1EPKbPbPKlPlN2at6native12_GLOBAL__N_18offset_tEEE10hipError_tPvRmT1_PNSt15iterator_traitsISK_E10value_typeET2_T3_PNSL_ISQ_E10value_typeET4_jRbjT5_SW_jjP12ihipStream_tbEUlT_E1_NS1_11comp_targetILNS1_3genE2ELNS1_11target_archE906ELNS1_3gpuE6ELNS1_3repE0EEENS1_59segmented_radix_sort_warp_sort_small_config_static_selectorELNS0_4arch9wavefront6targetE0EEEvSK_
                                        ; -- End function
	.set _ZN7rocprim17ROCPRIM_400000_NS6detail17trampoline_kernelINS0_14default_configENS1_36segmented_radix_sort_config_selectorIblEEZNS1_25segmented_radix_sort_implIS3_Lb1EPKbPbPKlPlN2at6native12_GLOBAL__N_18offset_tEEE10hipError_tPvRmT1_PNSt15iterator_traitsISK_E10value_typeET2_T3_PNSL_ISQ_E10value_typeET4_jRbjT5_SW_jjP12ihipStream_tbEUlT_E1_NS1_11comp_targetILNS1_3genE2ELNS1_11target_archE906ELNS1_3gpuE6ELNS1_3repE0EEENS1_59segmented_radix_sort_warp_sort_small_config_static_selectorELNS0_4arch9wavefront6targetE0EEEvSK_.num_vgpr, 0
	.set _ZN7rocprim17ROCPRIM_400000_NS6detail17trampoline_kernelINS0_14default_configENS1_36segmented_radix_sort_config_selectorIblEEZNS1_25segmented_radix_sort_implIS3_Lb1EPKbPbPKlPlN2at6native12_GLOBAL__N_18offset_tEEE10hipError_tPvRmT1_PNSt15iterator_traitsISK_E10value_typeET2_T3_PNSL_ISQ_E10value_typeET4_jRbjT5_SW_jjP12ihipStream_tbEUlT_E1_NS1_11comp_targetILNS1_3genE2ELNS1_11target_archE906ELNS1_3gpuE6ELNS1_3repE0EEENS1_59segmented_radix_sort_warp_sort_small_config_static_selectorELNS0_4arch9wavefront6targetE0EEEvSK_.num_agpr, 0
	.set _ZN7rocprim17ROCPRIM_400000_NS6detail17trampoline_kernelINS0_14default_configENS1_36segmented_radix_sort_config_selectorIblEEZNS1_25segmented_radix_sort_implIS3_Lb1EPKbPbPKlPlN2at6native12_GLOBAL__N_18offset_tEEE10hipError_tPvRmT1_PNSt15iterator_traitsISK_E10value_typeET2_T3_PNSL_ISQ_E10value_typeET4_jRbjT5_SW_jjP12ihipStream_tbEUlT_E1_NS1_11comp_targetILNS1_3genE2ELNS1_11target_archE906ELNS1_3gpuE6ELNS1_3repE0EEENS1_59segmented_radix_sort_warp_sort_small_config_static_selectorELNS0_4arch9wavefront6targetE0EEEvSK_.numbered_sgpr, 0
	.set _ZN7rocprim17ROCPRIM_400000_NS6detail17trampoline_kernelINS0_14default_configENS1_36segmented_radix_sort_config_selectorIblEEZNS1_25segmented_radix_sort_implIS3_Lb1EPKbPbPKlPlN2at6native12_GLOBAL__N_18offset_tEEE10hipError_tPvRmT1_PNSt15iterator_traitsISK_E10value_typeET2_T3_PNSL_ISQ_E10value_typeET4_jRbjT5_SW_jjP12ihipStream_tbEUlT_E1_NS1_11comp_targetILNS1_3genE2ELNS1_11target_archE906ELNS1_3gpuE6ELNS1_3repE0EEENS1_59segmented_radix_sort_warp_sort_small_config_static_selectorELNS0_4arch9wavefront6targetE0EEEvSK_.num_named_barrier, 0
	.set _ZN7rocprim17ROCPRIM_400000_NS6detail17trampoline_kernelINS0_14default_configENS1_36segmented_radix_sort_config_selectorIblEEZNS1_25segmented_radix_sort_implIS3_Lb1EPKbPbPKlPlN2at6native12_GLOBAL__N_18offset_tEEE10hipError_tPvRmT1_PNSt15iterator_traitsISK_E10value_typeET2_T3_PNSL_ISQ_E10value_typeET4_jRbjT5_SW_jjP12ihipStream_tbEUlT_E1_NS1_11comp_targetILNS1_3genE2ELNS1_11target_archE906ELNS1_3gpuE6ELNS1_3repE0EEENS1_59segmented_radix_sort_warp_sort_small_config_static_selectorELNS0_4arch9wavefront6targetE0EEEvSK_.private_seg_size, 0
	.set _ZN7rocprim17ROCPRIM_400000_NS6detail17trampoline_kernelINS0_14default_configENS1_36segmented_radix_sort_config_selectorIblEEZNS1_25segmented_radix_sort_implIS3_Lb1EPKbPbPKlPlN2at6native12_GLOBAL__N_18offset_tEEE10hipError_tPvRmT1_PNSt15iterator_traitsISK_E10value_typeET2_T3_PNSL_ISQ_E10value_typeET4_jRbjT5_SW_jjP12ihipStream_tbEUlT_E1_NS1_11comp_targetILNS1_3genE2ELNS1_11target_archE906ELNS1_3gpuE6ELNS1_3repE0EEENS1_59segmented_radix_sort_warp_sort_small_config_static_selectorELNS0_4arch9wavefront6targetE0EEEvSK_.uses_vcc, 0
	.set _ZN7rocprim17ROCPRIM_400000_NS6detail17trampoline_kernelINS0_14default_configENS1_36segmented_radix_sort_config_selectorIblEEZNS1_25segmented_radix_sort_implIS3_Lb1EPKbPbPKlPlN2at6native12_GLOBAL__N_18offset_tEEE10hipError_tPvRmT1_PNSt15iterator_traitsISK_E10value_typeET2_T3_PNSL_ISQ_E10value_typeET4_jRbjT5_SW_jjP12ihipStream_tbEUlT_E1_NS1_11comp_targetILNS1_3genE2ELNS1_11target_archE906ELNS1_3gpuE6ELNS1_3repE0EEENS1_59segmented_radix_sort_warp_sort_small_config_static_selectorELNS0_4arch9wavefront6targetE0EEEvSK_.uses_flat_scratch, 0
	.set _ZN7rocprim17ROCPRIM_400000_NS6detail17trampoline_kernelINS0_14default_configENS1_36segmented_radix_sort_config_selectorIblEEZNS1_25segmented_radix_sort_implIS3_Lb1EPKbPbPKlPlN2at6native12_GLOBAL__N_18offset_tEEE10hipError_tPvRmT1_PNSt15iterator_traitsISK_E10value_typeET2_T3_PNSL_ISQ_E10value_typeET4_jRbjT5_SW_jjP12ihipStream_tbEUlT_E1_NS1_11comp_targetILNS1_3genE2ELNS1_11target_archE906ELNS1_3gpuE6ELNS1_3repE0EEENS1_59segmented_radix_sort_warp_sort_small_config_static_selectorELNS0_4arch9wavefront6targetE0EEEvSK_.has_dyn_sized_stack, 0
	.set _ZN7rocprim17ROCPRIM_400000_NS6detail17trampoline_kernelINS0_14default_configENS1_36segmented_radix_sort_config_selectorIblEEZNS1_25segmented_radix_sort_implIS3_Lb1EPKbPbPKlPlN2at6native12_GLOBAL__N_18offset_tEEE10hipError_tPvRmT1_PNSt15iterator_traitsISK_E10value_typeET2_T3_PNSL_ISQ_E10value_typeET4_jRbjT5_SW_jjP12ihipStream_tbEUlT_E1_NS1_11comp_targetILNS1_3genE2ELNS1_11target_archE906ELNS1_3gpuE6ELNS1_3repE0EEENS1_59segmented_radix_sort_warp_sort_small_config_static_selectorELNS0_4arch9wavefront6targetE0EEEvSK_.has_recursion, 0
	.set _ZN7rocprim17ROCPRIM_400000_NS6detail17trampoline_kernelINS0_14default_configENS1_36segmented_radix_sort_config_selectorIblEEZNS1_25segmented_radix_sort_implIS3_Lb1EPKbPbPKlPlN2at6native12_GLOBAL__N_18offset_tEEE10hipError_tPvRmT1_PNSt15iterator_traitsISK_E10value_typeET2_T3_PNSL_ISQ_E10value_typeET4_jRbjT5_SW_jjP12ihipStream_tbEUlT_E1_NS1_11comp_targetILNS1_3genE2ELNS1_11target_archE906ELNS1_3gpuE6ELNS1_3repE0EEENS1_59segmented_radix_sort_warp_sort_small_config_static_selectorELNS0_4arch9wavefront6targetE0EEEvSK_.has_indirect_call, 0
	.section	.AMDGPU.csdata,"",@progbits
; Kernel info:
; codeLenInByte = 0
; TotalNumSgprs: 0
; NumVgprs: 0
; ScratchSize: 0
; MemoryBound: 0
; FloatMode: 240
; IeeeMode: 1
; LDSByteSize: 0 bytes/workgroup (compile time only)
; SGPRBlocks: 0
; VGPRBlocks: 0
; NumSGPRsForWavesPerEU: 1
; NumVGPRsForWavesPerEU: 1
; Occupancy: 16
; WaveLimiterHint : 0
; COMPUTE_PGM_RSRC2:SCRATCH_EN: 0
; COMPUTE_PGM_RSRC2:USER_SGPR: 2
; COMPUTE_PGM_RSRC2:TRAP_HANDLER: 0
; COMPUTE_PGM_RSRC2:TGID_X_EN: 1
; COMPUTE_PGM_RSRC2:TGID_Y_EN: 0
; COMPUTE_PGM_RSRC2:TGID_Z_EN: 0
; COMPUTE_PGM_RSRC2:TIDIG_COMP_CNT: 0
	.text
	.p2align	2                               ; -- Begin function _ZN7rocprim17ROCPRIM_400000_NS6detail26segmented_warp_sort_helperINS1_20WarpSortHelperConfigILj8ELj4ELj256EEEblLi256ELb1EvE4sortIPKbPbPKlPlEEvT_T0_T1_T2_jjjjRNS5_12storage_typeE
	.type	_ZN7rocprim17ROCPRIM_400000_NS6detail26segmented_warp_sort_helperINS1_20WarpSortHelperConfigILj8ELj4ELj256EEEblLi256ELb1EvE4sortIPKbPbPKlPlEEvT_T0_T1_T2_jjjjRNS5_12storage_typeE,@function
_ZN7rocprim17ROCPRIM_400000_NS6detail26segmented_warp_sort_helperINS1_20WarpSortHelperConfigILj8ELj4ELj256EEEblLi256ELb1EvE4sortIPKbPbPKlPlEEvT_T0_T1_T2_jjjjRNS5_12storage_typeE: ; @_ZN7rocprim17ROCPRIM_400000_NS6detail26segmented_warp_sort_helperINS1_20WarpSortHelperConfigILj8ELj4ELj256EEEblLi256ELb1EvE4sortIPKbPbPKlPlEEvT_T0_T1_T2_jjjjRNS5_12storage_typeE
; %bb.0:
	s_wait_loadcnt_dscnt 0x0
	s_wait_expcnt 0x0
	s_wait_samplecnt 0x0
	s_wait_bvhcnt 0x0
	s_wait_kmcnt 0x0
	v_mbcnt_lo_u32_b32 v14, -1, 0
	v_add_co_u32 v0, vcc_lo, v0, v8
	s_wait_alu 0xfffd
	v_add_co_ci_u32_e64 v1, null, 0, v1, vcc_lo
	s_delay_alu instid0(VALU_DEP_3) | instskip(SKIP_1) | instid1(VALU_DEP_2)
	v_dual_mov_b32 v26, 0 :: v_dual_lshlrev_b32 v35, 2, v14
	v_sub_nc_u32_e32 v14, v9, v8
	v_dual_mov_b32 v37, 0 :: v_dual_and_b32 v30, 28, v35
	s_delay_alu instid0(VALU_DEP_3) | instskip(NEXT) | instid1(VALU_DEP_2)
	v_mov_b32_e32 v9, v26
	v_add_co_u32 v0, vcc_lo, v0, v30
	s_wait_alu 0xfffd
	v_add_co_ci_u32_e64 v1, null, 0, v1, vcc_lo
	v_cmp_lt_u32_e32 vcc_lo, v30, v14
	s_and_saveexec_b32 s0, vcc_lo
	s_cbranch_execz .LBB1557_2
; %bb.1:
	flat_load_u8 v37, v[0:1]
.LBB1557_2:
	s_wait_alu 0xfffe
	s_or_b32 exec_lo, exec_lo, s0
	v_or_b32_e32 v15, 1, v30
	s_delay_alu instid0(VALU_DEP_1)
	v_cmp_lt_u32_e64 s0, v15, v14
	s_and_saveexec_b32 s1, s0
	s_cbranch_execz .LBB1557_4
; %bb.3:
	flat_load_u8 v26, v[0:1] offset:1
.LBB1557_4:
	s_wait_alu 0xfffe
	s_or_b32 exec_lo, exec_lo, s1
	v_or_b32_e32 v15, 2, v30
	v_dual_mov_b32 v36, 0 :: v_dual_mov_b32 v27, 0
	s_delay_alu instid0(VALU_DEP_2)
	v_cmp_lt_u32_e64 s1, v15, v14
	s_and_saveexec_b32 s2, s1
	s_cbranch_execz .LBB1557_6
; %bb.5:
	flat_load_u8 v27, v[0:1] offset:2
.LBB1557_6:
	s_wait_alu 0xfffe
	s_or_b32 exec_lo, exec_lo, s2
	v_or_b32_e32 v15, 3, v30
	s_delay_alu instid0(VALU_DEP_1)
	v_cmp_lt_u32_e64 s2, v15, v14
	s_and_saveexec_b32 s3, s2
	s_cbranch_execz .LBB1557_8
; %bb.7:
	flat_load_u8 v36, v[0:1] offset:3
.LBB1557_8:
	s_wait_alu 0xfffe
	s_or_b32 exec_lo, exec_lo, s3
	v_lshlrev_b64_e32 v[0:1], 3, v[8:9]
	v_lshlrev_b32_e32 v34, 3, v30
	v_mov_b32_e32 v22, 0
	v_mov_b32_e32 v23, 0
	; wave barrier
	s_delay_alu instid0(VALU_DEP_4) | instskip(SKIP_3) | instid1(VALU_DEP_3)
	v_add_co_u32 v9, s3, v4, v0
	s_wait_alu 0xf1ff
	v_add_co_ci_u32_e64 v14, null, v5, v1, s3
	v_mov_b32_e32 v4, 0
	v_add_co_u32 v16, s3, v9, v34
	v_mov_b32_e32 v5, 0
	s_wait_alu 0xf1ff
	v_add_co_ci_u32_e64 v17, null, 0, v14, s3
	s_and_saveexec_b32 s3, vcc_lo
	s_cbranch_execz .LBB1557_10
; %bb.9:
	flat_load_b64 v[4:5], v[16:17]
.LBB1557_10:
	s_wait_alu 0xfffe
	s_or_b32 exec_lo, exec_lo, s3
	s_mov_b32 s3, 0
	s_wait_alu 0xfffe
	v_dual_mov_b32 v18, s3 :: v_dual_mov_b32 v19, s3
	v_dual_mov_b32 v24, s3 :: v_dual_mov_b32 v25, s3
	;; [unrolled: 1-line block ×3, first 2 shown]
	s_and_saveexec_b32 s4, s0
	s_cbranch_execz .LBB1557_12
; %bb.11:
	flat_load_b64 v[18:19], v[16:17] offset:8
	v_dual_mov_b32 v24, s3 :: v_dual_mov_b32 v25, s3
	v_dual_mov_b32 v32, s3 :: v_dual_mov_b32 v33, s3
	s_wait_loadcnt_dscnt 0x0
	v_dual_mov_b32 v23, v19 :: v_dual_mov_b32 v22, v18
.LBB1557_12:
	s_wait_alu 0xfffe
	s_or_b32 exec_lo, exec_lo, s4
	v_mov_b32_e32 v20, 0
	v_dual_mov_b32 v21, 0 :: v_dual_mov_b32 v14, 0
	v_mov_b32_e32 v15, 0
	s_and_saveexec_b32 s3, s1
	s_cbranch_execz .LBB1557_14
; %bb.13:
	flat_load_b64 v[24:25], v[16:17] offset:16
	s_mov_b32 s4, 0
	s_wait_alu 0xfffe
	v_dual_mov_b32 v32, s4 :: v_dual_mov_b32 v33, s4
	s_wait_loadcnt_dscnt 0x0
	v_dual_mov_b32 v14, v24 :: v_dual_mov_b32 v15, v25
.LBB1557_14:
	s_wait_alu 0xfffe
	s_or_b32 exec_lo, exec_lo, s3
	s_and_saveexec_b32 s3, s2
	s_cbranch_execz .LBB1557_16
; %bb.15:
	flat_load_b64 v[32:33], v[16:17] offset:24
	s_wait_loadcnt_dscnt 0x0
	v_dual_mov_b32 v20, v32 :: v_dual_mov_b32 v21, v33
.LBB1557_16:
	s_wait_alu 0xfffe
	s_or_b32 exec_lo, exec_lo, s3
	v_cmp_ne_u32_e64 s3, 0, v10
	v_cmp_ne_u32_e64 s4, 8, v11
	v_bfe_u32 v16, v31, 10, 10
	v_bfe_u32 v17, v31, 20, 10
	v_and_b32_e32 v9, 0x3ff, v31
	s_mov_b32 s5, 0
	s_or_b32 s3, s3, s4
	; wave barrier
	s_wait_alu 0xfffe
	s_and_saveexec_b32 s4, s3
	s_wait_alu 0xfffe
	s_xor_b32 s11, exec_lo, s4
	s_cbranch_execz .LBB1557_60
; %bb.17:
	v_cmp_ne_u32_e64 s3, 0, v11
	v_cmp_ne_u32_e64 s4, 0, v10
	s_load_b64 s[6:7], s[8:9], 0x0
	s_xor_b32 s3, s4, s3
	s_wait_alu 0xfffe
	v_cndmask_b32_e64 v10, 0, 1, s3
	s_and_b32 s3, ttmp7, 0xffff
	scratch_store_b8 off, v10, s32 offset:6
	scratch_load_u8 v10, off, s32 offset:6
	s_wait_kmcnt 0x0
	s_wait_alu 0xfffe
	s_cmp_lt_u32 s3, s7
	s_cselect_b32 s4, 14, 20
	s_cmp_lt_u32 ttmp9, s6
	s_wait_alu 0xfffe
	s_add_nc_u64 s[12:13], s[8:9], s[4:5]
	s_cselect_b32 s4, 12, 18
	s_load_u16 s3, s[12:13], 0x0
	s_add_nc_u64 s[4:5], s[8:9], s[4:5]
	s_mov_b32 s6, exec_lo
	s_load_u16 s4, s[4:5], 0x0
	s_wait_kmcnt 0x0
	v_mad_u32_u24 v11, v17, s3, v16
	s_delay_alu instid0(VALU_DEP_1) | instskip(NEXT) | instid1(VALU_DEP_1)
	v_mul_lo_u32 v11, v11, s4
	v_add_lshl_u32 v9, v11, v9, 2
	s_wait_loadcnt 0x0
	v_and_b32_e32 v10, 1, v10
	s_delay_alu instid0(VALU_DEP_1)
	v_cmp_eq_u32_e64 s3, 1, v10
	v_and_b32_e32 v11, 1, v10
	s_clause 0x1
	scratch_store_b8 off, v10, s32 offset:5
	scratch_store_b8 off, v11, s32 offset:4
	v_cmpx_gt_u32_e32 0x400, v9
	s_cbranch_execz .LBB1557_29
; %bb.18:
	scratch_load_u8 v10, off, s32 offset:4
	s_wait_loadcnt_dscnt 0x0
	v_and_b32_e32 v11, v10, v26
	v_and_b32_e32 v14, v10, v37
	;; [unrolled: 1-line block ×4, first 2 shown]
	s_delay_alu instid0(VALU_DEP_4) | instskip(NEXT) | instid1(VALU_DEP_4)
	v_and_b32_e32 v11, 1, v11
	v_and_b32_e32 v14, 1, v14
	s_delay_alu instid0(VALU_DEP_4) | instskip(NEXT) | instid1(VALU_DEP_4)
	v_and_b32_e32 v15, 1, v15
	v_and_b32_e32 v16, 1, v20
	s_delay_alu instid0(VALU_DEP_3) | instskip(SKIP_1) | instid1(VALU_DEP_3)
	v_cmp_gt_u16_e64 s4, v11, v14
	v_mov_b32_e32 v11, v27
	v_cmp_gt_u16_e64 s5, v15, v16
	s_wait_alu 0xf1ff
	s_delay_alu instid0(VALU_DEP_3)
	v_cndmask_b32_e64 v17, v19, v5, s4
	v_cndmask_b32_e64 v16, v18, v4, s4
	;; [unrolled: 1-line block ×4, first 2 shown]
	v_dual_mov_b32 v18, v24 :: v_dual_mov_b32 v19, v25
	s_and_saveexec_b32 s7, s5
; %bb.19:
	v_mov_b32_e32 v18, v32
	v_dual_mov_b32 v20, 1 :: v_dual_mov_b32 v19, v33
	v_mov_b32_e32 v33, v25
	v_dual_mov_b32 v11, 1 :: v_dual_mov_b32 v36, v27
	v_mov_b32_e32 v32, v24
; %bb.20:
	s_wait_alu 0xfffe
	s_or_b32 exec_lo, exec_lo, s7
	v_cndmask_b32_e64 v5, v26, v37, s4
	s_delay_alu instid0(VALU_DEP_2) | instskip(NEXT) | instid1(VALU_DEP_2)
	v_dual_mov_b32 v20, v32 :: v_dual_and_b32 v21, 0xff, v20
                                        ; implicit-def: $vgpr31
	v_and_b32_e32 v4, v5, v10
	s_delay_alu instid0(VALU_DEP_1) | instskip(NEXT) | instid1(VALU_DEP_1)
	v_and_b32_e32 v22, 0xff, v4
	v_cmp_le_u16_e64 s5, v21, v22
	s_delay_alu instid0(VALU_DEP_4)
	v_dual_mov_b32 v29, v21 :: v_dual_mov_b32 v28, v20
	v_dual_mov_b32 v26, v18 :: v_dual_mov_b32 v23, v15
	v_dual_mov_b32 v22, v14 :: v_dual_mov_b32 v27, v19
	v_dual_mov_b32 v25, v17 :: v_dual_mov_b32 v24, v16
	s_and_saveexec_b32 s7, s5
	s_wait_alu 0xfffe
	s_xor_b32 s5, exec_lo, s7
; %bb.21:
	v_and_b32_e32 v31, v11, v10
                                        ; implicit-def: $vgpr22_vgpr23_vgpr24_vgpr25_vgpr26_vgpr27_vgpr28_vgpr29
; %bb.22:
	s_wait_alu 0xfffe
	s_or_saveexec_b32 s5, s5
	v_dual_mov_b32 v21, v33 :: v_dual_mov_b32 v24, v5
	s_wait_alu 0xfffe
	s_xor_b32 exec_lo, exec_lo, s5
	s_cbranch_execz .LBB1557_24
; %bb.23:
	v_dual_mov_b32 v24, v18 :: v_dual_mov_b32 v25, v19
	v_dual_mov_b32 v26, v16 :: v_dual_mov_b32 v27, v17
	;; [unrolled: 1-line block ×9, first 2 shown]
.LBB1557_24:
	s_or_b32 exec_lo, exec_lo, s5
	v_cndmask_b32_e64 v25, v37, 1, s4
	v_and_b32_e32 v22, v36, v10
	v_and_b32_e32 v4, 0xff, v4
	;; [unrolled: 1-line block ×3, first 2 shown]
	s_delay_alu instid0(VALU_DEP_4) | instskip(NEXT) | instid1(VALU_DEP_4)
	v_and_b32_e32 v5, v25, v10
	v_and_b32_e32 v22, 0xff, v22
	s_delay_alu instid0(VALU_DEP_2) | instskip(NEXT) | instid1(VALU_DEP_2)
	v_and_b32_e32 v5, 0xff, v5
	v_cmp_gt_u16_e64 s5, v22, v23
	s_delay_alu instid0(VALU_DEP_2) | instskip(SKIP_1) | instid1(VALU_DEP_1)
	v_cmp_gt_u16_e64 s4, v4, v5
	s_wait_alu 0xf1ff
	v_cndmask_b32_e64 v23, v17, v15, s4
	v_cndmask_b32_e64 v22, v16, v14, s4
	;; [unrolled: 1-line block ×4, first 2 shown]
	v_mov_b32_e32 v16, v11
	s_and_saveexec_b32 s7, s5
; %bb.25:
	v_dual_mov_b32 v14, v18 :: v_dual_mov_b32 v15, v19
	v_mov_b32_e32 v18, v20
	v_dual_mov_b32 v36, v11 :: v_dual_mov_b32 v19, v21
	v_dual_mov_b32 v16, 1 :: v_dual_mov_b32 v31, 1
	s_delay_alu instid0(VALU_DEP_4)
	v_dual_mov_b32 v21, v15 :: v_dual_mov_b32 v20, v14
; %bb.26:
	s_wait_alu 0xfffe
	s_or_b32 exec_lo, exec_lo, s7
	v_cndmask_b32_e64 v26, v24, v25, s4
	v_dual_mov_b32 v14, v18 :: v_dual_and_b32 v11, 0xff, v31
	s_mov_b32 s7, exec_lo
	s_delay_alu instid0(VALU_DEP_2) | instskip(NEXT) | instid1(VALU_DEP_1)
	v_dual_mov_b32 v15, v19 :: v_dual_and_b32 v10, v26, v10
	v_dual_mov_b32 v27, v16 :: v_dual_and_b32 v10, 0xff, v10
	s_delay_alu instid0(VALU_DEP_1)
	v_cmpx_gt_u16_e64 v11, v10
; %bb.27:
	v_dual_mov_b32 v14, v22 :: v_dual_mov_b32 v15, v23
	v_dual_mov_b32 v23, v19 :: v_dual_mov_b32 v22, v18
	;; [unrolled: 1-line block ×3, first 2 shown]
; %bb.28:
	s_wait_alu 0xfffe
	s_or_b32 exec_lo, exec_lo, s7
	v_cndmask_b32_e64 v37, v25, v24, s4
.LBB1557_29:
	s_or_b32 exec_lo, exec_lo, s6
	v_and_b32_e32 v16, 0xffffff80, v9
	v_and_b32_e32 v31, 0x78, v35
	s_mov_b32 s5, exec_lo
	s_delay_alu instid0(VALU_DEP_2) | instskip(SKIP_3) | instid1(VALU_DEP_2)
	v_add_co_u32 v11, s4, v12, v16
	s_wait_alu 0xf1ff
	v_add_co_ci_u32_e64 v12, null, 0, v13, s4
	v_or_b32_e32 v13, 4, v35
	v_mad_co_u64_u32 v[9:10], null, v16, 7, v[11:12]
	v_cndmask_b32_e64 v10, 0, 1, s3
	v_add_nc_u32_e32 v12, v11, v35
	scratch_store_b8 off, v10, s32 offset:3
	v_lshl_add_u32 v25, v35, 3, v9
	s_wait_dscnt 0x0
	ds_store_b8 v12, v37
	ds_store_b8 v12, v26 offset:1
	ds_store_b8 v12, v27 offset:2
	;; [unrolled: 1-line block ×3, first 2 shown]
	ds_store_2addr_b64 v25, v[4:5], v[22:23] offset0:128 offset1:129
	ds_store_2addr_b64 v25, v[14:15], v[20:21] offset0:130 offset1:131
	; wave barrier
	scratch_load_u8 v17, off, s32 offset:3
	v_sub_nc_u32_e64 v10, 0x400, v16 clamp
	v_and_b32_e32 v16, 4, v35
	s_delay_alu instid0(VALU_DEP_2) | instskip(NEXT) | instid1(VALU_DEP_2)
	v_min_u32_e32 v28, v10, v13
	v_min_u32_e32 v32, v10, v16
	s_delay_alu instid0(VALU_DEP_2) | instskip(NEXT) | instid1(VALU_DEP_1)
	v_add_nc_u32_e32 v13, 4, v28
	v_min_u32_e32 v29, v10, v13
	v_sub_nc_u32_e32 v13, v28, v31
	s_delay_alu instid0(VALU_DEP_2) | instskip(NEXT) | instid1(VALU_DEP_2)
	v_sub_nc_u32_e32 v16, v29, v28
	v_min_u32_e32 v13, v32, v13
	s_delay_alu instid0(VALU_DEP_2) | instskip(SKIP_2) | instid1(VALU_DEP_1)
	v_sub_nc_u32_e64 v33, v32, v16 clamp
	s_wait_loadcnt 0x0
	v_and_b32_e32 v17, 1, v17
	v_cmp_eq_u32_e64 s3, 1, v17
	scratch_store_b8 off, v17, s32 offset:2
	v_cmpx_lt_u32_e64 v33, v13
	s_cbranch_execz .LBB1557_33
; %bb.30:
	scratch_load_u8 v16, off, s32 offset:2
	v_add_co_u32 v17, null, v11, v31
	v_add_co_u32 v18, null, v11, v28
	s_mov_b32 s6, 0
.LBB1557_31:                            ; =>This Inner Loop Header: Depth=1
	v_add_nc_u32_e32 v19, v13, v33
	s_delay_alu instid0(VALU_DEP_1) | instskip(NEXT) | instid1(VALU_DEP_1)
	v_lshrrev_b32_e32 v19, 1, v19
	v_not_b32_e32 v24, v19
	v_add_nc_u32_e32 v38, v17, v19
	v_add_nc_u32_e32 v39, 1, v19
	s_delay_alu instid0(VALU_DEP_3)
	v_add3_u32 v24, v32, v24, v18
	ds_load_u8 v38, v38
	ds_load_u8 v24, v24
	s_wait_loadcnt_dscnt 0x1
	v_and_b32_e32 v38, v38, v16
	s_wait_dscnt 0x0
	v_and_b32_e32 v24, v24, v16
	s_delay_alu instid0(VALU_DEP_2) | instskip(NEXT) | instid1(VALU_DEP_2)
	v_and_b32_e32 v38, 1, v38
	v_and_b32_e32 v24, 1, v24
	s_delay_alu instid0(VALU_DEP_1) | instskip(SKIP_1) | instid1(VALU_DEP_1)
	v_cmp_gt_u16_e64 s4, v24, v38
	s_wait_alu 0xf1ff
	v_cndmask_b32_e64 v13, v13, v19, s4
	v_cndmask_b32_e64 v33, v39, v33, s4
	s_delay_alu instid0(VALU_DEP_1)
	v_cmp_ge_u32_e64 s4, v33, v13
	s_wait_alu 0xfffe
	s_or_b32 s6, s4, s6
	s_wait_alu 0xfffe
	s_and_not1_b32 exec_lo, exec_lo, s6
	s_cbranch_execnz .LBB1557_31
; %bb.32:
	s_or_b32 exec_lo, exec_lo, s6
.LBB1557_33:
	s_wait_alu 0xfffe
	s_or_b32 exec_lo, exec_lo, s5
	v_cndmask_b32_e64 v38, 0, 1, s3
	v_add_nc_u32_e32 v39, v28, v32
	v_add_nc_u32_e32 v32, v33, v31
	;; [unrolled: 1-line block ×4, first 2 shown]
	scratch_store_b8 off, v38, s32 offset:1
	scratch_load_u8 v38, off, s32 offset:1
	v_sub_nc_u32_e32 v31, v39, v33
	v_cmp_le_u32_e64 s3, v32, v28
	v_add_nc_u32_e32 v17, 0x408, v25
	v_add_nc_u32_e32 v18, 2, v12
	;; [unrolled: 1-line block ×3, first 2 shown]
	v_cmp_le_u32_e64 s4, v31, v29
	v_add_nc_u32_e32 v24, 3, v12
	v_add_nc_u32_e32 v25, 0x418, v25
	s_or_b32 s3, s3, s4
	s_wait_loadcnt 0x0
	v_and_b32_e32 v33, 1, v38
	scratch_store_b8 off, v33, s32
	s_wait_alu 0xfffe
	s_and_saveexec_b32 s12, s3
	s_cbranch_execz .LBB1557_39
; %bb.34:
	v_cmp_ge_u32_e64 s3, v32, v28
	s_mov_b32 s5, exec_lo
                                        ; implicit-def: $vgpr26
	v_cmpx_lt_u32_e64 v32, v28
; %bb.35:
	v_add_nc_u32_e32 v4, v11, v32
	ds_load_u8 v26, v4
; %bb.36:
	s_wait_alu 0xfffe
	s_or_b32 exec_lo, exec_lo, s5
	v_cmp_ge_u32_e64 s4, v31, v29
	s_mov_b32 s6, exec_lo
                                        ; implicit-def: $vgpr27
	v_cmpx_lt_u32_e64 v31, v29
; %bb.37:
	v_add_nc_u32_e32 v4, v11, v31
	ds_load_u8 v27, v4
; %bb.38:
	s_wait_alu 0xfffe
	s_or_b32 exec_lo, exec_lo, s6
	scratch_load_u8 v4, off, s32
	v_cndmask_b32_e64 v15, 0, 1, s4
	s_or_b32 s3, s3, s4
	s_wait_loadcnt_dscnt 0x0
	v_and_b32_e32 v5, v4, v27
	v_and_b32_e32 v14, v4, v26
	s_delay_alu instid0(VALU_DEP_2) | instskip(NEXT) | instid1(VALU_DEP_2)
	v_and_b32_e32 v5, 1, v5
	v_and_b32_e32 v14, 1, v14
	s_delay_alu instid0(VALU_DEP_1) | instskip(SKIP_1) | instid1(VALU_DEP_1)
	v_cmp_le_u16_e64 s5, v5, v14
	s_wait_alu 0xf1ff
	v_cndmask_b32_e64 v5, 0, 1, s5
	s_wait_alu 0xfffe
	s_delay_alu instid0(VALU_DEP_1) | instskip(NEXT) | instid1(VALU_DEP_1)
	v_cndmask_b32_e64 v5, v5, v15, s3
	v_and_b32_e32 v5, 1, v5
	s_delay_alu instid0(VALU_DEP_1) | instskip(SKIP_1) | instid1(VALU_DEP_1)
	v_cmp_eq_u32_e64 s3, 1, v5
	s_wait_alu 0xf1ff
	v_cndmask_b32_e64 v5, v31, v32, s3
	v_cndmask_b32_e64 v14, v29, v28, s3
	;; [unrolled: 1-line block ×3, first 2 shown]
	s_delay_alu instid0(VALU_DEP_3) | instskip(NEXT) | instid1(VALU_DEP_3)
	v_add_nc_u32_e32 v15, 1, v5
	v_add_nc_u32_e32 v14, -1, v14
	v_lshl_add_u32 v5, v5, 3, v9
	s_delay_alu instid0(VALU_DEP_3) | instskip(NEXT) | instid1(VALU_DEP_3)
	v_cndmask_b32_e64 v21, v32, v15, s3
	v_min_u32_e32 v14, v15, v14
	v_cndmask_b32_e64 v15, v15, v31, s3
	s_delay_alu instid0(VALU_DEP_3) | instskip(NEXT) | instid1(VALU_DEP_3)
	v_cmp_lt_u32_e64 s4, v21, v28
	v_add_nc_u32_e32 v14, v11, v14
	s_delay_alu instid0(VALU_DEP_3) | instskip(SKIP_4) | instid1(VALU_DEP_2)
	v_cmp_ge_u32_e64 s6, v15, v29
	ds_load_u8 v14, v14
	s_wait_dscnt 0x0
	v_cndmask_b32_e64 v33, v14, v27, s3
	v_cndmask_b32_e64 v36, v26, v14, s3
	v_and_b32_e32 v14, v33, v4
	s_delay_alu instid0(VALU_DEP_2) | instskip(NEXT) | instid1(VALU_DEP_2)
	v_and_b32_e32 v20, v36, v4
	v_and_b32_e32 v14, 0xff, v14
	s_delay_alu instid0(VALU_DEP_2) | instskip(NEXT) | instid1(VALU_DEP_1)
	v_and_b32_e32 v20, 0xff, v20
	v_cmp_le_u16_e64 s5, v14, v20
	s_and_b32 s4, s4, s5
	s_wait_alu 0xfffe
	s_or_b32 s4, s6, s4
	s_wait_alu 0xfffe
	v_cndmask_b32_e64 v14, v15, v21, s4
	v_cndmask_b32_e64 v20, v29, v28, s4
	;; [unrolled: 1-line block ×3, first 2 shown]
	s_delay_alu instid0(VALU_DEP_3) | instskip(NEXT) | instid1(VALU_DEP_3)
	v_add_nc_u32_e32 v22, 1, v14
	v_add_nc_u32_e32 v20, -1, v20
	v_lshl_add_u32 v14, v14, 3, v9
	s_delay_alu instid0(VALU_DEP_3) | instskip(NEXT) | instid1(VALU_DEP_3)
	v_cndmask_b32_e64 v21, v21, v22, s4
	v_min_u32_e32 v20, v22, v20
	v_cndmask_b32_e64 v15, v22, v15, s4
	s_delay_alu instid0(VALU_DEP_3) | instskip(NEXT) | instid1(VALU_DEP_3)
	v_cmp_lt_u32_e64 s5, v21, v28
	v_add_nc_u32_e32 v20, v11, v20
	s_delay_alu instid0(VALU_DEP_3) | instskip(SKIP_4) | instid1(VALU_DEP_2)
	v_cmp_ge_u32_e64 s7, v15, v29
	ds_load_u8 v20, v20
	s_wait_dscnt 0x0
	v_cndmask_b32_e64 v31, v20, v33, s4
	v_cndmask_b32_e64 v32, v36, v20, s4
	v_and_b32_e32 v20, v31, v4
	s_delay_alu instid0(VALU_DEP_2) | instskip(NEXT) | instid1(VALU_DEP_2)
	v_and_b32_e32 v23, v32, v4
	v_and_b32_e32 v20, 0xff, v20
	s_delay_alu instid0(VALU_DEP_2) | instskip(NEXT) | instid1(VALU_DEP_1)
	v_and_b32_e32 v23, 0xff, v23
	v_cmp_le_u16_e64 s6, v20, v23
	s_and_b32 s5, s5, s6
	s_wait_alu 0xfffe
	s_or_b32 s5, s7, s5
	s_wait_alu 0xfffe
	v_cndmask_b32_e64 v20, v15, v21, s5
	v_cndmask_b32_e64 v22, v29, v28, s5
	;; [unrolled: 1-line block ×3, first 2 shown]
	s_delay_alu instid0(VALU_DEP_3) | instskip(NEXT) | instid1(VALU_DEP_3)
	v_add_nc_u32_e32 v23, 1, v20
	v_add_nc_u32_e32 v22, -1, v22
	s_delay_alu instid0(VALU_DEP_2) | instskip(NEXT) | instid1(VALU_DEP_2)
	v_cndmask_b32_e64 v21, v21, v23, s5
	v_min_u32_e32 v22, v23, v22
	v_cndmask_b32_e64 v15, v23, v15, s5
	s_delay_alu instid0(VALU_DEP_3) | instskip(NEXT) | instid1(VALU_DEP_3)
	v_cmp_lt_u32_e64 s6, v21, v28
	v_add_nc_u32_e32 v22, v11, v22
	s_delay_alu instid0(VALU_DEP_3) | instskip(SKIP_4) | instid1(VALU_DEP_2)
	v_cmp_ge_u32_e64 s10, v15, v29
	ds_load_u8 v22, v22
	s_wait_dscnt 0x0
	v_cndmask_b32_e64 v38, v22, v31, s5
	v_cndmask_b32_e64 v39, v32, v22, s5
	v_and_b32_e32 v22, v38, v4
	s_delay_alu instid0(VALU_DEP_2) | instskip(NEXT) | instid1(VALU_DEP_2)
	v_and_b32_e32 v4, v39, v4
	v_and_b32_e32 v22, 0xff, v22
	s_delay_alu instid0(VALU_DEP_2) | instskip(NEXT) | instid1(VALU_DEP_1)
	v_and_b32_e32 v4, 0xff, v4
	v_cmp_le_u16_e64 s7, v22, v4
	s_and_b32 s6, s6, s7
	s_wait_alu 0xfffe
	s_or_b32 s6, s10, s6
	s_wait_alu 0xfffe
	v_cndmask_b32_e64 v4, v15, v21, s6
	v_lshl_add_u32 v15, v20, 3, v9
	v_cndmask_b32_e64 v36, v38, v39, s6
	s_delay_alu instid0(VALU_DEP_3)
	v_lshl_add_u32 v20, v4, 3, v9
	ds_load_b64 v[4:5], v5 offset:1024
	ds_load_b64 v[22:23], v14 offset:1024
	;; [unrolled: 1-line block ×4, first 2 shown]
.LBB1557_39:
	s_wait_alu 0xfffe
	s_or_b32 exec_lo, exec_lo, s12
	; wave barrier
	ds_store_b8 v12, v37
	s_wait_dscnt 0x4
	ds_store_b64 v13, v[4:5]
	ds_store_b8 v16, v26
	s_wait_dscnt 0x5
	ds_store_b64 v17, v[22:23]
	;; [unrolled: 3-line block ×4, first 2 shown]
	; wave barrier
	scratch_load_u8 v33, off, s32 offset:3
	v_and_b32_e32 v31, 0x70, v35
	v_and_b32_e32 v32, 12, v35
	s_mov_b32 s5, exec_lo
	s_delay_alu instid0(VALU_DEP_2) | instskip(NEXT) | instid1(VALU_DEP_2)
	v_or_b32_e32 v28, 8, v31
	v_min_u32_e32 v32, v10, v32
	s_delay_alu instid0(VALU_DEP_2) | instskip(NEXT) | instid1(VALU_DEP_1)
	v_min_u32_e32 v28, v10, v28
	v_add_nc_u32_e32 v29, 8, v28
	v_sub_nc_u32_e32 v38, v28, v31
	s_delay_alu instid0(VALU_DEP_2) | instskip(NEXT) | instid1(VALU_DEP_2)
	v_min_u32_e32 v29, v10, v29
	v_min_u32_e32 v38, v32, v38
	s_delay_alu instid0(VALU_DEP_2) | instskip(SKIP_2) | instid1(VALU_DEP_2)
	v_sub_nc_u32_e32 v39, v29, v28
	s_wait_loadcnt 0x0
	v_and_b32_e32 v48, 1, v33
	v_sub_nc_u32_e64 v33, v32, v39 clamp
	s_delay_alu instid0(VALU_DEP_2)
	v_cmp_eq_u32_e64 s3, 1, v48
	scratch_store_b8 off, v48, s32 offset:2
	v_cmpx_lt_u32_e64 v33, v38
	s_cbranch_execz .LBB1557_43
; %bb.40:
	scratch_load_u8 v39, off, s32 offset:2
	v_add_co_u32 v48, null, v11, v31
	v_add_co_u32 v49, null, v11, v28
	s_mov_b32 s6, 0
.LBB1557_41:                            ; =>This Inner Loop Header: Depth=1
	v_add_nc_u32_e32 v50, v38, v33
	s_delay_alu instid0(VALU_DEP_1) | instskip(NEXT) | instid1(VALU_DEP_1)
	v_lshrrev_b32_e32 v50, 1, v50
	v_not_b32_e32 v51, v50
	v_add_nc_u32_e32 v52, v48, v50
	v_add_nc_u32_e32 v53, 1, v50
	s_delay_alu instid0(VALU_DEP_3)
	v_add3_u32 v51, v32, v51, v49
	ds_load_u8 v52, v52
	ds_load_u8 v51, v51
	s_wait_loadcnt_dscnt 0x1
	v_and_b32_e32 v52, v52, v39
	s_wait_dscnt 0x0
	v_and_b32_e32 v51, v51, v39
	s_delay_alu instid0(VALU_DEP_2) | instskip(NEXT) | instid1(VALU_DEP_2)
	v_and_b32_e32 v52, 1, v52
	v_and_b32_e32 v51, 1, v51
	s_delay_alu instid0(VALU_DEP_1) | instskip(SKIP_1) | instid1(VALU_DEP_1)
	v_cmp_gt_u16_e64 s4, v51, v52
	s_wait_alu 0xf1ff
	v_cndmask_b32_e64 v38, v38, v50, s4
	v_cndmask_b32_e64 v33, v53, v33, s4
	s_delay_alu instid0(VALU_DEP_1)
	v_cmp_ge_u32_e64 s4, v33, v38
	s_wait_alu 0xfffe
	s_or_b32 s6, s4, s6
	s_wait_alu 0xfffe
	s_and_not1_b32 exec_lo, exec_lo, s6
	s_cbranch_execnz .LBB1557_41
; %bb.42:
	s_or_b32 exec_lo, exec_lo, s6
.LBB1557_43:
	s_wait_alu 0xfffe
	s_or_b32 exec_lo, exec_lo, s5
	v_cndmask_b32_e64 v38, 0, 1, s3
	v_add_nc_u32_e32 v39, v28, v32
	v_add_nc_u32_e32 v32, v33, v31
	scratch_store_b8 off, v38, s32 offset:1
	scratch_load_u8 v38, off, s32 offset:1
	v_sub_nc_u32_e32 v31, v39, v33
	v_cmp_le_u32_e64 s3, v32, v28
	s_delay_alu instid0(VALU_DEP_2)
	v_cmp_le_u32_e64 s4, v31, v29
	s_or_b32 s3, s3, s4
	s_wait_loadcnt 0x0
	v_and_b32_e32 v33, 1, v38
	scratch_store_b8 off, v33, s32
	s_wait_alu 0xfffe
	s_and_saveexec_b32 s12, s3
	s_cbranch_execz .LBB1557_49
; %bb.44:
	v_cmp_ge_u32_e64 s3, v32, v28
	s_mov_b32 s5, exec_lo
                                        ; implicit-def: $vgpr26
	v_cmpx_lt_u32_e64 v32, v28
; %bb.45:
	v_add_nc_u32_e32 v4, v11, v32
	ds_load_u8 v26, v4
; %bb.46:
	s_wait_alu 0xfffe
	s_or_b32 exec_lo, exec_lo, s5
	v_cmp_ge_u32_e64 s4, v31, v29
	s_mov_b32 s6, exec_lo
                                        ; implicit-def: $vgpr27
	v_cmpx_lt_u32_e64 v31, v29
; %bb.47:
	v_add_nc_u32_e32 v4, v11, v31
	ds_load_u8 v27, v4
; %bb.48:
	s_wait_alu 0xfffe
	s_or_b32 exec_lo, exec_lo, s6
	scratch_load_u8 v4, off, s32
	v_cndmask_b32_e64 v15, 0, 1, s4
	s_or_b32 s3, s3, s4
	s_wait_loadcnt_dscnt 0x0
	v_and_b32_e32 v5, v4, v27
	v_and_b32_e32 v14, v4, v26
	s_delay_alu instid0(VALU_DEP_2) | instskip(NEXT) | instid1(VALU_DEP_2)
	v_and_b32_e32 v5, 1, v5
	v_and_b32_e32 v14, 1, v14
	s_delay_alu instid0(VALU_DEP_1) | instskip(SKIP_1) | instid1(VALU_DEP_1)
	v_cmp_le_u16_e64 s5, v5, v14
	s_wait_alu 0xf1ff
	v_cndmask_b32_e64 v5, 0, 1, s5
	s_wait_alu 0xfffe
	s_delay_alu instid0(VALU_DEP_1) | instskip(NEXT) | instid1(VALU_DEP_1)
	v_cndmask_b32_e64 v5, v5, v15, s3
	v_and_b32_e32 v5, 1, v5
	s_delay_alu instid0(VALU_DEP_1) | instskip(SKIP_1) | instid1(VALU_DEP_1)
	v_cmp_eq_u32_e64 s3, 1, v5
	s_wait_alu 0xf1ff
	v_cndmask_b32_e64 v5, v31, v32, s3
	v_cndmask_b32_e64 v14, v29, v28, s3
	;; [unrolled: 1-line block ×3, first 2 shown]
	s_delay_alu instid0(VALU_DEP_3) | instskip(NEXT) | instid1(VALU_DEP_3)
	v_add_nc_u32_e32 v15, 1, v5
	v_add_nc_u32_e32 v14, -1, v14
	v_lshl_add_u32 v5, v5, 3, v9
	s_delay_alu instid0(VALU_DEP_3) | instskip(NEXT) | instid1(VALU_DEP_3)
	v_cndmask_b32_e64 v21, v32, v15, s3
	v_min_u32_e32 v14, v15, v14
	v_cndmask_b32_e64 v15, v15, v31, s3
	s_delay_alu instid0(VALU_DEP_3) | instskip(NEXT) | instid1(VALU_DEP_3)
	v_cmp_lt_u32_e64 s4, v21, v28
	v_add_nc_u32_e32 v14, v11, v14
	s_delay_alu instid0(VALU_DEP_3) | instskip(SKIP_4) | instid1(VALU_DEP_2)
	v_cmp_ge_u32_e64 s6, v15, v29
	ds_load_u8 v14, v14
	s_wait_dscnt 0x0
	v_cndmask_b32_e64 v33, v14, v27, s3
	v_cndmask_b32_e64 v36, v26, v14, s3
	v_and_b32_e32 v14, v33, v4
	s_delay_alu instid0(VALU_DEP_2) | instskip(NEXT) | instid1(VALU_DEP_2)
	v_and_b32_e32 v20, v36, v4
	v_and_b32_e32 v14, 0xff, v14
	s_delay_alu instid0(VALU_DEP_2) | instskip(NEXT) | instid1(VALU_DEP_1)
	v_and_b32_e32 v20, 0xff, v20
	v_cmp_le_u16_e64 s5, v14, v20
	s_and_b32 s4, s4, s5
	s_wait_alu 0xfffe
	s_or_b32 s4, s6, s4
	s_wait_alu 0xfffe
	v_cndmask_b32_e64 v14, v15, v21, s4
	v_cndmask_b32_e64 v20, v29, v28, s4
	;; [unrolled: 1-line block ×3, first 2 shown]
	s_delay_alu instid0(VALU_DEP_3) | instskip(NEXT) | instid1(VALU_DEP_3)
	v_add_nc_u32_e32 v22, 1, v14
	v_add_nc_u32_e32 v20, -1, v20
	v_lshl_add_u32 v14, v14, 3, v9
	s_delay_alu instid0(VALU_DEP_3) | instskip(NEXT) | instid1(VALU_DEP_3)
	v_cndmask_b32_e64 v21, v21, v22, s4
	v_min_u32_e32 v20, v22, v20
	v_cndmask_b32_e64 v15, v22, v15, s4
	s_delay_alu instid0(VALU_DEP_3) | instskip(NEXT) | instid1(VALU_DEP_3)
	v_cmp_lt_u32_e64 s5, v21, v28
	v_add_nc_u32_e32 v20, v11, v20
	s_delay_alu instid0(VALU_DEP_3) | instskip(SKIP_4) | instid1(VALU_DEP_2)
	v_cmp_ge_u32_e64 s7, v15, v29
	ds_load_u8 v20, v20
	s_wait_dscnt 0x0
	v_cndmask_b32_e64 v31, v20, v33, s4
	v_cndmask_b32_e64 v32, v36, v20, s4
	v_and_b32_e32 v20, v31, v4
	s_delay_alu instid0(VALU_DEP_2) | instskip(NEXT) | instid1(VALU_DEP_2)
	v_and_b32_e32 v23, v32, v4
	v_and_b32_e32 v20, 0xff, v20
	s_delay_alu instid0(VALU_DEP_2) | instskip(NEXT) | instid1(VALU_DEP_1)
	v_and_b32_e32 v23, 0xff, v23
	v_cmp_le_u16_e64 s6, v20, v23
	s_and_b32 s5, s5, s6
	s_wait_alu 0xfffe
	s_or_b32 s5, s7, s5
	s_wait_alu 0xfffe
	v_cndmask_b32_e64 v20, v15, v21, s5
	v_cndmask_b32_e64 v22, v29, v28, s5
	;; [unrolled: 1-line block ×3, first 2 shown]
	s_delay_alu instid0(VALU_DEP_3) | instskip(NEXT) | instid1(VALU_DEP_3)
	v_add_nc_u32_e32 v23, 1, v20
	v_add_nc_u32_e32 v22, -1, v22
	s_delay_alu instid0(VALU_DEP_2) | instskip(NEXT) | instid1(VALU_DEP_2)
	v_cndmask_b32_e64 v21, v21, v23, s5
	v_min_u32_e32 v22, v23, v22
	v_cndmask_b32_e64 v15, v23, v15, s5
	s_delay_alu instid0(VALU_DEP_3) | instskip(NEXT) | instid1(VALU_DEP_3)
	v_cmp_lt_u32_e64 s6, v21, v28
	v_add_nc_u32_e32 v22, v11, v22
	s_delay_alu instid0(VALU_DEP_3) | instskip(SKIP_4) | instid1(VALU_DEP_2)
	v_cmp_ge_u32_e64 s10, v15, v29
	ds_load_u8 v22, v22
	s_wait_dscnt 0x0
	v_cndmask_b32_e64 v38, v22, v31, s5
	v_cndmask_b32_e64 v39, v32, v22, s5
	v_and_b32_e32 v22, v38, v4
	s_delay_alu instid0(VALU_DEP_2) | instskip(NEXT) | instid1(VALU_DEP_2)
	v_and_b32_e32 v4, v39, v4
	v_and_b32_e32 v22, 0xff, v22
	s_delay_alu instid0(VALU_DEP_2) | instskip(NEXT) | instid1(VALU_DEP_1)
	v_and_b32_e32 v4, 0xff, v4
	v_cmp_le_u16_e64 s7, v22, v4
	s_and_b32 s6, s6, s7
	s_wait_alu 0xfffe
	s_or_b32 s6, s10, s6
	s_wait_alu 0xfffe
	v_cndmask_b32_e64 v4, v15, v21, s6
	v_lshl_add_u32 v15, v20, 3, v9
	v_cndmask_b32_e64 v36, v38, v39, s6
	s_delay_alu instid0(VALU_DEP_3)
	v_lshl_add_u32 v20, v4, 3, v9
	ds_load_b64 v[4:5], v5 offset:1024
	ds_load_b64 v[22:23], v14 offset:1024
	;; [unrolled: 1-line block ×4, first 2 shown]
.LBB1557_49:
	s_wait_alu 0xfffe
	s_or_b32 exec_lo, exec_lo, s12
	; wave barrier
	ds_store_b8 v12, v37
	s_wait_dscnt 0x4
	ds_store_b64 v13, v[4:5]
	ds_store_b8 v16, v26
	s_wait_dscnt 0x5
	ds_store_b64 v17, v[22:23]
	;; [unrolled: 3-line block ×4, first 2 shown]
	; wave barrier
	scratch_load_u8 v17, off, s32 offset:3
	v_and_b32_e32 v16, 0x60, v35
	s_mov_b32 s5, exec_lo
	s_delay_alu instid0(VALU_DEP_1) | instskip(NEXT) | instid1(VALU_DEP_1)
	v_or_b32_e32 v12, 16, v16
	v_min_u32_e32 v12, v10, v12
	s_delay_alu instid0(VALU_DEP_1) | instskip(SKIP_1) | instid1(VALU_DEP_2)
	v_add_nc_u32_e32 v13, 16, v12
	v_sub_nc_u32_e32 v18, v12, v16
	v_min_u32_e32 v13, v10, v13
	v_min_u32_e32 v10, v10, v30
	s_delay_alu instid0(VALU_DEP_2) | instskip(NEXT) | instid1(VALU_DEP_2)
	v_sub_nc_u32_e32 v19, v13, v12
	v_min_u32_e32 v18, v10, v18
	s_wait_loadcnt 0x0
	v_and_b32_e32 v24, 1, v17
	s_delay_alu instid0(VALU_DEP_3) | instskip(NEXT) | instid1(VALU_DEP_2)
	v_sub_nc_u32_e64 v17, v10, v19 clamp
	v_cmp_eq_u32_e64 s3, 1, v24
	scratch_store_b8 off, v24, s32 offset:2
	v_cmpx_lt_u32_e64 v17, v18
	s_cbranch_execz .LBB1557_53
; %bb.50:
	scratch_load_u8 v19, off, s32 offset:2
	v_add_co_u32 v24, null, v11, v16
	v_add_co_u32 v25, null, v11, v12
	s_mov_b32 s6, 0
.LBB1557_51:                            ; =>This Inner Loop Header: Depth=1
	v_add_nc_u32_e32 v28, v18, v17
	s_delay_alu instid0(VALU_DEP_1) | instskip(NEXT) | instid1(VALU_DEP_1)
	v_lshrrev_b32_e32 v28, 1, v28
	v_not_b32_e32 v29, v28
	v_add_nc_u32_e32 v31, v24, v28
	v_add_nc_u32_e32 v32, 1, v28
	s_delay_alu instid0(VALU_DEP_3)
	v_add3_u32 v29, v10, v29, v25
	ds_load_u8 v31, v31
	ds_load_u8 v29, v29
	s_wait_loadcnt_dscnt 0x1
	v_and_b32_e32 v31, v31, v19
	s_wait_dscnt 0x0
	v_and_b32_e32 v29, v29, v19
	s_delay_alu instid0(VALU_DEP_2) | instskip(NEXT) | instid1(VALU_DEP_2)
	v_and_b32_e32 v31, 1, v31
	v_and_b32_e32 v29, 1, v29
	s_delay_alu instid0(VALU_DEP_1) | instskip(SKIP_1) | instid1(VALU_DEP_1)
	v_cmp_gt_u16_e64 s4, v29, v31
	s_wait_alu 0xf1ff
	v_cndmask_b32_e64 v18, v18, v28, s4
	v_cndmask_b32_e64 v17, v32, v17, s4
	s_delay_alu instid0(VALU_DEP_1)
	v_cmp_ge_u32_e64 s4, v17, v18
	s_wait_alu 0xfffe
	s_or_b32 s6, s4, s6
	s_wait_alu 0xfffe
	s_and_not1_b32 exec_lo, exec_lo, s6
	s_cbranch_execnz .LBB1557_51
; %bb.52:
	s_or_b32 exec_lo, exec_lo, s6
.LBB1557_53:
	s_wait_alu 0xfffe
	s_or_b32 exec_lo, exec_lo, s5
	v_cndmask_b32_e64 v18, 0, 1, s3
	v_add_nc_u32_e32 v10, v12, v10
	scratch_store_b8 off, v18, s32 offset:1
	scratch_load_u8 v19, off, s32 offset:1
	v_add_nc_u32_e32 v18, v17, v16
	v_sub_nc_u32_e32 v17, v10, v17
	s_delay_alu instid0(VALU_DEP_2) | instskip(NEXT) | instid1(VALU_DEP_2)
	v_cmp_le_u32_e64 s3, v18, v12
	v_cmp_le_u32_e64 s4, v17, v13
	s_or_b32 s3, s3, s4
	s_wait_loadcnt 0x0
	v_and_b32_e32 v10, 1, v19
	scratch_store_b8 off, v10, s32
	s_wait_alu 0xfffe
	s_and_saveexec_b32 s12, s3
	s_cbranch_execz .LBB1557_59
; %bb.54:
	v_cmp_ge_u32_e64 s3, v18, v12
	s_mov_b32 s5, exec_lo
                                        ; implicit-def: $vgpr10
	v_cmpx_lt_u32_e64 v18, v12
; %bb.55:
	v_add_nc_u32_e32 v4, v11, v18
	ds_load_u8 v10, v4
; %bb.56:
	s_wait_alu 0xfffe
	s_or_b32 exec_lo, exec_lo, s5
	v_cmp_ge_u32_e64 s4, v17, v13
	s_mov_b32 s6, exec_lo
                                        ; implicit-def: $vgpr16
	v_cmpx_lt_u32_e64 v17, v13
; %bb.57:
	v_add_nc_u32_e32 v4, v11, v17
	ds_load_u8 v16, v4
; %bb.58:
	s_wait_alu 0xfffe
	s_or_b32 exec_lo, exec_lo, s6
	scratch_load_u8 v4, off, s32
	v_cndmask_b32_e64 v15, 0, 1, s4
	s_or_b32 s3, s3, s4
	s_wait_loadcnt_dscnt 0x0
	v_and_b32_e32 v5, v4, v16
	v_and_b32_e32 v14, v4, v10
	s_delay_alu instid0(VALU_DEP_2) | instskip(NEXT) | instid1(VALU_DEP_2)
	v_and_b32_e32 v5, 1, v5
	v_and_b32_e32 v14, 1, v14
	s_delay_alu instid0(VALU_DEP_1) | instskip(SKIP_1) | instid1(VALU_DEP_1)
	v_cmp_le_u16_e64 s5, v5, v14
	s_wait_alu 0xf1ff
	v_cndmask_b32_e64 v5, 0, 1, s5
	s_wait_alu 0xfffe
	s_delay_alu instid0(VALU_DEP_1) | instskip(NEXT) | instid1(VALU_DEP_1)
	v_cndmask_b32_e64 v5, v5, v15, s3
	v_and_b32_e32 v5, 1, v5
	s_delay_alu instid0(VALU_DEP_1) | instskip(SKIP_1) | instid1(VALU_DEP_1)
	v_cmp_eq_u32_e64 s3, 1, v5
	s_wait_alu 0xf1ff
	v_cndmask_b32_e64 v5, v17, v18, s3
	v_cndmask_b32_e64 v14, v13, v12, s3
	v_cndmask_b32_e64 v37, v16, v10, s3
	s_delay_alu instid0(VALU_DEP_3) | instskip(NEXT) | instid1(VALU_DEP_3)
	v_add_nc_u32_e32 v15, 1, v5
	v_add_nc_u32_e32 v14, -1, v14
	v_lshl_add_u32 v5, v5, 3, v9
	s_delay_alu instid0(VALU_DEP_3) | instskip(NEXT) | instid1(VALU_DEP_3)
	v_cndmask_b32_e64 v18, v18, v15, s3
	v_min_u32_e32 v14, v15, v14
	v_cndmask_b32_e64 v15, v15, v17, s3
	s_delay_alu instid0(VALU_DEP_3) | instskip(NEXT) | instid1(VALU_DEP_3)
	v_cmp_lt_u32_e64 s4, v18, v12
	v_add_nc_u32_e32 v14, v11, v14
	s_delay_alu instid0(VALU_DEP_3) | instskip(SKIP_4) | instid1(VALU_DEP_2)
	v_cmp_ge_u32_e64 s6, v15, v13
	ds_load_u8 v14, v14
	s_wait_dscnt 0x0
	v_cndmask_b32_e64 v19, v14, v16, s3
	v_cndmask_b32_e64 v24, v10, v14, s3
	v_and_b32_e32 v14, v19, v4
	s_delay_alu instid0(VALU_DEP_2) | instskip(NEXT) | instid1(VALU_DEP_2)
	v_and_b32_e32 v20, v24, v4
	v_and_b32_e32 v14, 0xff, v14
	s_delay_alu instid0(VALU_DEP_2) | instskip(NEXT) | instid1(VALU_DEP_1)
	v_and_b32_e32 v20, 0xff, v20
	v_cmp_le_u16_e64 s5, v14, v20
	s_and_b32 s4, s4, s5
	s_wait_alu 0xfffe
	s_or_b32 s4, s6, s4
	s_wait_alu 0xfffe
	v_cndmask_b32_e64 v14, v15, v18, s4
	v_cndmask_b32_e64 v17, v13, v12, s4
	;; [unrolled: 1-line block ×3, first 2 shown]
	s_delay_alu instid0(VALU_DEP_3) | instskip(NEXT) | instid1(VALU_DEP_3)
	v_add_nc_u32_e32 v20, 1, v14
	v_add_nc_u32_e32 v17, -1, v17
	s_delay_alu instid0(VALU_DEP_2) | instskip(NEXT) | instid1(VALU_DEP_2)
	v_cndmask_b32_e64 v18, v18, v20, s4
	v_min_u32_e32 v17, v20, v17
	v_cndmask_b32_e64 v15, v20, v15, s4
	s_delay_alu instid0(VALU_DEP_3) | instskip(NEXT) | instid1(VALU_DEP_3)
	v_cmp_lt_u32_e64 s5, v18, v12
	v_add_nc_u32_e32 v17, v11, v17
	s_delay_alu instid0(VALU_DEP_3) | instskip(SKIP_4) | instid1(VALU_DEP_2)
	v_cmp_ge_u32_e64 s7, v15, v13
	ds_load_u8 v17, v17
	s_wait_dscnt 0x0
	v_cndmask_b32_e64 v25, v17, v19, s4
	v_cndmask_b32_e64 v17, v24, v17, s4
	v_and_b32_e32 v21, v25, v4
	s_delay_alu instid0(VALU_DEP_2) | instskip(NEXT) | instid1(VALU_DEP_2)
	v_and_b32_e32 v22, v17, v4
	v_and_b32_e32 v21, 0xff, v21
	s_delay_alu instid0(VALU_DEP_2) | instskip(NEXT) | instid1(VALU_DEP_1)
	v_and_b32_e32 v22, 0xff, v22
	v_cmp_le_u16_e64 s6, v21, v22
	s_and_b32 s5, s5, s6
	s_wait_alu 0xfffe
	s_or_b32 s5, s7, s5
	s_wait_alu 0xfffe
	v_cndmask_b32_e64 v20, v15, v18, s5
	v_cndmask_b32_e64 v21, v13, v12, s5
	;; [unrolled: 1-line block ×3, first 2 shown]
	s_delay_alu instid0(VALU_DEP_3) | instskip(NEXT) | instid1(VALU_DEP_3)
	v_add_nc_u32_e32 v22, 1, v20
	v_add_nc_u32_e32 v21, -1, v21
	s_delay_alu instid0(VALU_DEP_2) | instskip(NEXT) | instid1(VALU_DEP_2)
	v_cndmask_b32_e64 v18, v18, v22, s5
	v_min_u32_e32 v21, v22, v21
	v_cndmask_b32_e64 v15, v22, v15, s5
	s_delay_alu instid0(VALU_DEP_3) | instskip(NEXT) | instid1(VALU_DEP_3)
	v_cmp_lt_u32_e64 s6, v18, v12
	v_add_nc_u32_e32 v11, v11, v21
	s_delay_alu instid0(VALU_DEP_3)
	v_cmp_ge_u32_e64 s10, v15, v13
	v_lshl_add_u32 v12, v14, 3, v9
	v_lshl_add_u32 v13, v20, 3, v9
	ds_load_u8 v11, v11
	s_wait_dscnt 0x0
	v_cndmask_b32_e64 v28, v11, v25, s5
	v_cndmask_b32_e64 v11, v17, v11, s5
	s_delay_alu instid0(VALU_DEP_2) | instskip(NEXT) | instid1(VALU_DEP_2)
	v_and_b32_e32 v21, v28, v4
	v_and_b32_e32 v4, v11, v4
	s_delay_alu instid0(VALU_DEP_2) | instskip(NEXT) | instid1(VALU_DEP_2)
	v_and_b32_e32 v21, 0xff, v21
	v_and_b32_e32 v4, 0xff, v4
	s_delay_alu instid0(VALU_DEP_1)
	v_cmp_le_u16_e64 s7, v21, v4
	s_and_b32 s6, s6, s7
	s_wait_alu 0xfffe
	s_or_b32 s6, s10, s6
	s_wait_alu 0xfffe
	v_cndmask_b32_e64 v4, v15, v18, s6
	v_cndmask_b32_e64 v36, v28, v11, s6
	s_delay_alu instid0(VALU_DEP_2)
	v_lshl_add_u32 v9, v4, 3, v9
	ds_load_b64 v[4:5], v5 offset:1024
	ds_load_b64 v[22:23], v12 offset:1024
	;; [unrolled: 1-line block ×4, first 2 shown]
.LBB1557_59:
	s_wait_alu 0xfffe
	s_or_b32 exec_lo, exec_lo, s12
	; wave barrier
	s_wait_storecnt_dscnt 0x0
	s_barrier_signal -1
	s_barrier_wait -1
	global_inv scope:SCOPE_SE
                                        ; implicit-def: $vgpr35
                                        ; implicit-def: $vgpr12
                                        ; implicit-def: $vgpr13
                                        ; implicit-def: $vgpr16
                                        ; implicit-def: $vgpr17
                                        ; implicit-def: $vgpr9
                                        ; implicit-def: $vgpr32_vgpr33
                                        ; implicit-def: $vgpr24_vgpr25
                                        ; implicit-def: $vgpr18_vgpr19
.LBB1557_60:
	s_wait_alu 0xfffe
	s_and_not1_saveexec_b32 s10, s11
	s_cbranch_execz .LBB1557_96
; %bb.61:
	s_load_b64 s[4:5], s[8:9], 0x0
	s_and_b32 s3, ttmp7, 0xffff
	s_mov_b32 s7, 0
	s_wait_kmcnt 0x0
	s_wait_alu 0xfffe
	s_cmp_lt_u32 s3, s5
	s_cselect_b32 s6, 14, 20
	s_cmp_lt_u32 ttmp9, s4
	s_wait_alu 0xfffe
	s_add_nc_u64 s[12:13], s[8:9], s[6:7]
	s_cselect_b32 s6, 12, 18
	s_load_u16 s3, s[12:13], 0x0
	s_add_nc_u64 s[4:5], s[8:9], s[6:7]
	s_mov_b32 s6, exec_lo
	s_load_u16 s4, s[4:5], 0x0
	s_wait_kmcnt 0x0
	v_mad_u32_u24 v10, v17, s3, v16
	s_delay_alu instid0(VALU_DEP_1) | instskip(NEXT) | instid1(VALU_DEP_1)
	v_mul_lo_u32 v10, v10, s4
	v_add_lshl_u32 v9, v10, v9, 2
	s_delay_alu instid0(VALU_DEP_1)
	v_cmpx_gt_u32_e32 0x400, v9
	s_cbranch_execz .LBB1557_65
; %bb.62:
	s_wait_loadcnt_dscnt 0x0
	v_and_b32_e32 v10, 0xff, v37
	v_and_b32_e32 v11, 0xff, v26
	;; [unrolled: 1-line block ×4, first 2 shown]
	s_mov_b32 s7, exec_lo
	s_delay_alu instid0(VALU_DEP_3) | instskip(NEXT) | instid1(VALU_DEP_2)
	v_cmp_gt_u16_e64 s3, v11, v10
	v_cmp_gt_u16_e64 s4, v15, v14
	s_wait_alu 0xf1ff
	s_delay_alu instid0(VALU_DEP_2) | instskip(SKIP_1) | instid1(VALU_DEP_3)
	v_cndmask_b32_e64 v11, v26, 0, s3
	v_cndmask_b32_e64 v10, v37, 1, s3
	;; [unrolled: 1-line block ×5, first 2 shown]
	v_and_b32_e32 v17, 0xff, v11
	v_and_b32_e32 v15, 0xff, v10
	;; [unrolled: 1-line block ×3, first 2 shown]
	v_cndmask_b32_e64 v5, v19, v5, s3
	v_cndmask_b32_e64 v4, v18, v4, s3
	;; [unrolled: 1-line block ×4, first 2 shown]
	v_cmp_gt_u16_e64 s5, v16, v17
	v_cndmask_b32_e64 v17, v32, v24, s4
	v_cndmask_b32_e64 v23, v25, v33, s4
	s_wait_alu 0xf1ff
	s_delay_alu instid0(VALU_DEP_3)
	v_cndmask_b32_e64 v16, v11, 1, s5
	v_cndmask_b32_e64 v11, v36, 0, s4
	;; [unrolled: 1-line block ×5, first 2 shown]
	v_and_b32_e32 v22, 0xff, v16
	v_and_b32_e32 v24, 0xff, v11
	s_delay_alu instid0(VALU_DEP_2) | instskip(SKIP_3) | instid1(VALU_DEP_3)
	v_cmp_gt_u16_e64 s3, v22, v15
	v_and_b32_e32 v15, 0xff, v14
	v_cndmask_b32_e64 v22, v5, v23, s5
	s_wait_alu 0xf1ff
	v_cndmask_b32_e64 v26, v16, 0, s3
	s_delay_alu instid0(VALU_DEP_3)
	v_cmp_gt_u16_e64 s4, v24, v15
	v_cndmask_b32_e64 v16, v23, v5, s5
	v_cndmask_b32_e64 v5, v21, v22, s3
	;; [unrolled: 1-line block ×3, first 2 shown]
	v_and_b32_e32 v28, 0xff, v26
	s_wait_alu 0xf1ff
	v_cndmask_b32_e64 v27, v14, 1, s4
	v_cndmask_b32_e64 v23, v22, v21, s3
	;; [unrolled: 1-line block ×5, first 2 shown]
	v_and_b32_e32 v19, 0xff, v27
	v_cndmask_b32_e64 v15, v16, v18, s4
	v_cndmask_b32_e64 v14, v25, v17, s4
	s_delay_alu instid0(VALU_DEP_3)
	v_cmpx_gt_u16_e64 v19, v28
; %bb.63:
	s_delay_alu instid0(VALU_DEP_2) | instskip(SKIP_2) | instid1(VALU_DEP_3)
	v_dual_mov_b32 v17, v15 :: v_dual_mov_b32 v16, v14
	v_dual_mov_b32 v26, 1 :: v_dual_mov_b32 v27, 0
	;; [unrolled: 1-line block ×4, first 2 shown]
; %bb.64:
	s_wait_alu 0xfffe
	s_or_b32 exec_lo, exec_lo, s7
	v_cndmask_b32_e64 v37, v10, 1, s3
	v_cndmask_b32_e64 v36, v11, 0, s4
.LBB1557_65:
	s_or_b32 exec_lo, exec_lo, s6
	v_and_b32_e32 v9, 0xffffff80, v9
	v_or_b32_e32 v10, 4, v35
	v_and_b32_e32 v31, 0x78, v35
	v_and_b32_e32 v17, 4, v35
	s_mov_b32 s4, exec_lo
	v_sub_nc_u32_e64 v16, 0x400, v9 clamp
	v_add_co_u32 v11, s3, v12, v9
	s_wait_alu 0xf1ff
	v_add_co_ci_u32_e64 v12, null, 0, v13, s3
	s_delay_alu instid0(VALU_DEP_3) | instskip(SKIP_1) | instid1(VALU_DEP_3)
	v_min_u32_e32 v28, v16, v10
	v_min_u32_e32 v32, v16, v17
	v_mad_co_u64_u32 v[9:10], null, v9, 7, v[11:12]
	s_delay_alu instid0(VALU_DEP_3) | instskip(SKIP_1) | instid1(VALU_DEP_2)
	v_add_nc_u32_e32 v13, 4, v28
	v_sub_nc_u32_e32 v10, v28, v31
	v_min_u32_e32 v29, v16, v13
	s_delay_alu instid0(VALU_DEP_4) | instskip(NEXT) | instid1(VALU_DEP_3)
	v_lshl_add_u32 v13, v35, 3, v9
	v_min_u32_e32 v12, v32, v10
	v_add_nc_u32_e32 v10, v11, v35
	s_wait_loadcnt_dscnt 0x0
	ds_store_2addr_b64 v13, v[4:5], v[22:23] offset0:128 offset1:129
	ds_store_b8 v10, v37
	ds_store_b8 v10, v26 offset:1
	ds_store_b8 v10, v27 offset:2
	ds_store_b8 v10, v36 offset:3
	ds_store_2addr_b64 v13, v[14:15], v[20:21] offset0:130 offset1:131
	v_sub_nc_u32_e32 v17, v29, v28
	; wave barrier
	s_delay_alu instid0(VALU_DEP_1) | instskip(NEXT) | instid1(VALU_DEP_1)
	v_sub_nc_u32_e64 v33, v32, v17 clamp
	v_cmpx_lt_u32_e64 v33, v12
	s_cbranch_execz .LBB1557_69
; %bb.66:
	v_add_co_u32 v17, null, v11, v31
	v_add_co_u32 v18, null, v11, v28
	s_mov_b32 s5, 0
.LBB1557_67:                            ; =>This Inner Loop Header: Depth=1
	v_add_nc_u32_e32 v19, v12, v33
	s_delay_alu instid0(VALU_DEP_1) | instskip(NEXT) | instid1(VALU_DEP_1)
	v_lshrrev_b32_e32 v19, 1, v19
	v_not_b32_e32 v24, v19
	v_add_nc_u32_e32 v25, v17, v19
	v_add_nc_u32_e32 v38, 1, v19
	s_delay_alu instid0(VALU_DEP_3)
	v_add3_u32 v24, v32, v24, v18
	ds_load_u8 v25, v25
	ds_load_u8 v24, v24
	s_wait_dscnt 0x0
	v_cmp_gt_u16_e64 s3, v24, v25
	s_wait_alu 0xf1ff
	s_delay_alu instid0(VALU_DEP_1) | instskip(SKIP_1) | instid1(VALU_DEP_1)
	v_cndmask_b32_e64 v12, v12, v19, s3
	v_cndmask_b32_e64 v33, v38, v33, s3
	v_cmp_ge_u32_e64 s3, v33, v12
	s_wait_alu 0xfffe
	s_or_b32 s5, s3, s5
	s_wait_alu 0xfffe
	s_and_not1_b32 exec_lo, exec_lo, s5
	s_cbranch_execnz .LBB1557_67
; %bb.68:
	s_or_b32 exec_lo, exec_lo, s5
.LBB1557_69:
	s_wait_alu 0xfffe
	s_or_b32 exec_lo, exec_lo, s4
	v_add_nc_u32_e32 v38, v28, v32
	v_add_nc_u32_e32 v32, v33, v31
	;; [unrolled: 1-line block ×5, first 2 shown]
	v_sub_nc_u32_e32 v31, v38, v33
	v_cmp_le_u32_e64 s3, v32, v28
	v_add_nc_u32_e32 v19, 2, v10
	v_add_nc_u32_e32 v24, 0x410, v13
	;; [unrolled: 1-line block ×3, first 2 shown]
	v_cmp_le_u32_e64 s4, v31, v29
	v_add_nc_u32_e32 v13, 0x418, v13
	s_or_b32 s3, s3, s4
	s_wait_alu 0xfffe
	s_and_saveexec_b32 s9, s3
	s_cbranch_execz .LBB1557_75
; %bb.70:
	v_cmp_lt_u32_e64 s3, v32, v28
                                        ; implicit-def: $vgpr26
	s_and_saveexec_b32 s4, s3
; %bb.71:
	v_add_nc_u32_e32 v4, v11, v32
	ds_load_u8 v26, v4
; %bb.72:
	s_wait_alu 0xfffe
	s_or_b32 exec_lo, exec_lo, s4
	v_cmp_ge_u32_e64 s4, v31, v29
	s_mov_b32 s6, exec_lo
                                        ; implicit-def: $vgpr27
	v_cmpx_lt_u32_e64 v31, v29
; %bb.73:
	v_add_nc_u32_e32 v4, v11, v31
	ds_load_u8 v27, v4
; %bb.74:
	s_wait_alu 0xfffe
	s_or_b32 exec_lo, exec_lo, s6
	s_wait_dscnt 0x0
	v_and_b32_e32 v4, 0xff, v26
	v_and_b32_e32 v5, 0xff, v27
	s_delay_alu instid0(VALU_DEP_1)
	v_cmp_le_u16_e64 s5, v5, v4
	s_and_b32 s3, s3, s5
	s_wait_alu 0xfffe
	s_or_b32 s3, s4, s3
	s_wait_alu 0xfffe
	v_cndmask_b32_e64 v4, v31, v32, s3
	v_cndmask_b32_e64 v5, v29, v28, s3
	;; [unrolled: 1-line block ×3, first 2 shown]
	s_delay_alu instid0(VALU_DEP_3) | instskip(NEXT) | instid1(VALU_DEP_3)
	v_add_nc_u32_e32 v14, 1, v4
	v_add_nc_u32_e32 v5, -1, v5
	v_lshl_add_u32 v4, v4, 3, v9
	s_delay_alu instid0(VALU_DEP_2) | instskip(NEXT) | instid1(VALU_DEP_1)
	v_min_u32_e32 v5, v14, v5
	v_add_nc_u32_e32 v5, v11, v5
	ds_load_u8 v5, v5
	s_wait_dscnt 0x0
	v_cndmask_b32_e64 v33, v5, v27, s3
	v_cndmask_b32_e64 v36, v26, v5, s3
	;; [unrolled: 1-line block ×4, first 2 shown]
	s_delay_alu instid0(VALU_DEP_4) | instskip(NEXT) | instid1(VALU_DEP_4)
	v_and_b32_e32 v15, 0xff, v33
	v_and_b32_e32 v20, 0xff, v36
	s_delay_alu instid0(VALU_DEP_4) | instskip(NEXT) | instid1(VALU_DEP_4)
	v_cmp_lt_u32_e64 s4, v5, v28
	v_cmp_ge_u32_e64 s6, v14, v29
	s_delay_alu instid0(VALU_DEP_3)
	v_cmp_le_u16_e64 s5, v15, v20
	s_and_b32 s4, s4, s5
	s_wait_alu 0xfffe
	s_or_b32 s4, s6, s4
	s_wait_alu 0xfffe
	v_cndmask_b32_e64 v15, v14, v5, s4
	v_cndmask_b32_e64 v20, v29, v28, s4
	;; [unrolled: 1-line block ×3, first 2 shown]
	s_delay_alu instid0(VALU_DEP_3) | instskip(NEXT) | instid1(VALU_DEP_3)
	v_add_nc_u32_e32 v21, 1, v15
	v_add_nc_u32_e32 v20, -1, v20
	s_delay_alu instid0(VALU_DEP_2) | instskip(NEXT) | instid1(VALU_DEP_2)
	v_cndmask_b32_e64 v5, v5, v21, s4
	v_min_u32_e32 v20, v21, v20
	v_cndmask_b32_e64 v14, v21, v14, s4
	s_delay_alu instid0(VALU_DEP_3) | instskip(NEXT) | instid1(VALU_DEP_3)
	v_cmp_lt_u32_e64 s5, v5, v28
	v_add_nc_u32_e32 v20, v11, v20
	s_delay_alu instid0(VALU_DEP_3) | instskip(SKIP_4) | instid1(VALU_DEP_2)
	v_cmp_ge_u32_e64 s7, v14, v29
	ds_load_u8 v20, v20
	s_wait_dscnt 0x0
	v_cndmask_b32_e64 v31, v20, v33, s4
	v_cndmask_b32_e64 v32, v36, v20, s4
	v_and_b32_e32 v20, 0xff, v31
	s_delay_alu instid0(VALU_DEP_2) | instskip(NEXT) | instid1(VALU_DEP_1)
	v_and_b32_e32 v22, 0xff, v32
	v_cmp_le_u16_e64 s6, v20, v22
	s_and_b32 s5, s5, s6
	s_wait_alu 0xfffe
	s_or_b32 s5, s7, s5
	s_wait_alu 0xfffe
	v_cndmask_b32_e64 v20, v14, v5, s5
	v_cndmask_b32_e64 v21, v29, v28, s5
	;; [unrolled: 1-line block ×3, first 2 shown]
	s_delay_alu instid0(VALU_DEP_3) | instskip(NEXT) | instid1(VALU_DEP_3)
	v_add_nc_u32_e32 v22, 1, v20
	v_add_nc_u32_e32 v21, -1, v21
	s_delay_alu instid0(VALU_DEP_2) | instskip(NEXT) | instid1(VALU_DEP_2)
	v_cndmask_b32_e64 v5, v5, v22, s5
	v_min_u32_e32 v21, v22, v21
	v_cndmask_b32_e64 v14, v22, v14, s5
	s_delay_alu instid0(VALU_DEP_3) | instskip(NEXT) | instid1(VALU_DEP_3)
	v_cmp_lt_u32_e64 s6, v5, v28
	v_add_nc_u32_e32 v21, v11, v21
	s_delay_alu instid0(VALU_DEP_3) | instskip(SKIP_4) | instid1(VALU_DEP_2)
	v_cmp_ge_u32_e64 s8, v14, v29
	ds_load_u8 v21, v21
	s_wait_dscnt 0x0
	v_cndmask_b32_e64 v38, v21, v31, s5
	v_cndmask_b32_e64 v39, v32, v21, s5
	v_and_b32_e32 v21, 0xff, v38
	s_delay_alu instid0(VALU_DEP_2) | instskip(NEXT) | instid1(VALU_DEP_1)
	v_and_b32_e32 v23, 0xff, v39
	v_cmp_le_u16_e64 s7, v21, v23
	s_and_b32 s6, s6, s7
	s_wait_alu 0xfffe
	s_or_b32 s6, s8, s6
	s_wait_alu 0xfffe
	v_cndmask_b32_e64 v5, v14, v5, s6
	v_lshl_add_u32 v14, v15, 3, v9
	v_lshl_add_u32 v15, v20, 3, v9
	v_cndmask_b32_e64 v36, v38, v39, s6
	s_delay_alu instid0(VALU_DEP_4)
	v_lshl_add_u32 v20, v5, 3, v9
	ds_load_b64 v[4:5], v4 offset:1024
	ds_load_b64 v[22:23], v14 offset:1024
	;; [unrolled: 1-line block ×4, first 2 shown]
.LBB1557_75:
	s_wait_alu 0xfffe
	s_or_b32 exec_lo, exec_lo, s9
	v_and_b32_e32 v31, 0x70, v35
	v_and_b32_e32 v32, 12, v35
	s_mov_b32 s4, exec_lo
	; wave barrier
	s_delay_alu instid0(VALU_DEP_2) | instskip(NEXT) | instid1(VALU_DEP_2)
	v_or_b32_e32 v28, 8, v31
	v_min_u32_e32 v32, v16, v32
	ds_store_b8 v10, v37
	s_wait_dscnt 0x4
	ds_store_b64 v25, v[4:5]
	ds_store_b8 v17, v26
	s_wait_dscnt 0x5
	ds_store_b64 v18, v[22:23]
	;; [unrolled: 3-line block ×4, first 2 shown]
	v_min_u32_e32 v28, v16, v28
	; wave barrier
	s_delay_alu instid0(VALU_DEP_1) | instskip(SKIP_1) | instid1(VALU_DEP_2)
	v_add_nc_u32_e32 v29, 8, v28
	v_sub_nc_u32_e32 v38, v28, v31
	v_min_u32_e32 v29, v16, v29
	s_delay_alu instid0(VALU_DEP_2) | instskip(NEXT) | instid1(VALU_DEP_2)
	v_min_u32_e32 v38, v32, v38
	v_sub_nc_u32_e32 v33, v29, v28
	s_delay_alu instid0(VALU_DEP_1) | instskip(NEXT) | instid1(VALU_DEP_1)
	v_sub_nc_u32_e64 v33, v32, v33 clamp
	v_cmpx_lt_u32_e64 v33, v38
	s_cbranch_execz .LBB1557_79
; %bb.76:
	v_add_co_u32 v39, null, v11, v31
	v_add_co_u32 v48, null, v11, v28
	s_mov_b32 s5, 0
.LBB1557_77:                            ; =>This Inner Loop Header: Depth=1
	v_add_nc_u32_e32 v49, v38, v33
	s_delay_alu instid0(VALU_DEP_1) | instskip(NEXT) | instid1(VALU_DEP_1)
	v_lshrrev_b32_e32 v49, 1, v49
	v_not_b32_e32 v50, v49
	v_add_nc_u32_e32 v51, v39, v49
	v_add_nc_u32_e32 v52, 1, v49
	s_delay_alu instid0(VALU_DEP_3)
	v_add3_u32 v50, v32, v50, v48
	ds_load_u8 v51, v51
	ds_load_u8 v50, v50
	s_wait_dscnt 0x0
	v_cmp_gt_u16_e64 s3, v50, v51
	s_wait_alu 0xf1ff
	s_delay_alu instid0(VALU_DEP_1) | instskip(SKIP_1) | instid1(VALU_DEP_1)
	v_cndmask_b32_e64 v38, v38, v49, s3
	v_cndmask_b32_e64 v33, v52, v33, s3
	v_cmp_ge_u32_e64 s3, v33, v38
	s_wait_alu 0xfffe
	s_or_b32 s5, s3, s5
	s_wait_alu 0xfffe
	s_and_not1_b32 exec_lo, exec_lo, s5
	s_cbranch_execnz .LBB1557_77
; %bb.78:
	s_or_b32 exec_lo, exec_lo, s5
.LBB1557_79:
	s_wait_alu 0xfffe
	s_or_b32 exec_lo, exec_lo, s4
	v_add_nc_u32_e32 v38, v28, v32
	v_add_nc_u32_e32 v32, v33, v31
	s_delay_alu instid0(VALU_DEP_2) | instskip(NEXT) | instid1(VALU_DEP_2)
	v_sub_nc_u32_e32 v31, v38, v33
	v_cmp_le_u32_e64 s3, v32, v28
	s_delay_alu instid0(VALU_DEP_2)
	v_cmp_le_u32_e64 s4, v31, v29
	s_or_b32 s3, s3, s4
	s_wait_alu 0xfffe
	s_and_saveexec_b32 s9, s3
	s_cbranch_execz .LBB1557_85
; %bb.80:
	v_cmp_lt_u32_e64 s3, v32, v28
                                        ; implicit-def: $vgpr26
	s_and_saveexec_b32 s4, s3
; %bb.81:
	v_add_nc_u32_e32 v4, v11, v32
	ds_load_u8 v26, v4
; %bb.82:
	s_wait_alu 0xfffe
	s_or_b32 exec_lo, exec_lo, s4
	v_cmp_ge_u32_e64 s4, v31, v29
	s_mov_b32 s6, exec_lo
                                        ; implicit-def: $vgpr27
	v_cmpx_lt_u32_e64 v31, v29
; %bb.83:
	v_add_nc_u32_e32 v4, v11, v31
	ds_load_u8 v27, v4
; %bb.84:
	s_wait_alu 0xfffe
	s_or_b32 exec_lo, exec_lo, s6
	s_wait_dscnt 0x0
	v_and_b32_e32 v4, 0xff, v26
	v_and_b32_e32 v5, 0xff, v27
	s_delay_alu instid0(VALU_DEP_1)
	v_cmp_le_u16_e64 s5, v5, v4
	s_and_b32 s3, s3, s5
	s_wait_alu 0xfffe
	s_or_b32 s3, s4, s3
	s_wait_alu 0xfffe
	v_cndmask_b32_e64 v4, v31, v32, s3
	v_cndmask_b32_e64 v5, v29, v28, s3
	;; [unrolled: 1-line block ×3, first 2 shown]
	s_delay_alu instid0(VALU_DEP_3) | instskip(NEXT) | instid1(VALU_DEP_3)
	v_add_nc_u32_e32 v14, 1, v4
	v_add_nc_u32_e32 v5, -1, v5
	v_lshl_add_u32 v4, v4, 3, v9
	s_delay_alu instid0(VALU_DEP_2) | instskip(NEXT) | instid1(VALU_DEP_1)
	v_min_u32_e32 v5, v14, v5
	v_add_nc_u32_e32 v5, v11, v5
	ds_load_u8 v5, v5
	s_wait_dscnt 0x0
	v_cndmask_b32_e64 v33, v5, v27, s3
	v_cndmask_b32_e64 v36, v26, v5, s3
	;; [unrolled: 1-line block ×4, first 2 shown]
	s_delay_alu instid0(VALU_DEP_4) | instskip(NEXT) | instid1(VALU_DEP_4)
	v_and_b32_e32 v15, 0xff, v33
	v_and_b32_e32 v20, 0xff, v36
	s_delay_alu instid0(VALU_DEP_4) | instskip(NEXT) | instid1(VALU_DEP_4)
	v_cmp_lt_u32_e64 s4, v5, v28
	v_cmp_ge_u32_e64 s6, v14, v29
	s_delay_alu instid0(VALU_DEP_3)
	v_cmp_le_u16_e64 s5, v15, v20
	s_and_b32 s4, s4, s5
	s_wait_alu 0xfffe
	s_or_b32 s4, s6, s4
	s_wait_alu 0xfffe
	v_cndmask_b32_e64 v15, v14, v5, s4
	v_cndmask_b32_e64 v20, v29, v28, s4
	;; [unrolled: 1-line block ×3, first 2 shown]
	s_delay_alu instid0(VALU_DEP_3) | instskip(NEXT) | instid1(VALU_DEP_3)
	v_add_nc_u32_e32 v21, 1, v15
	v_add_nc_u32_e32 v20, -1, v20
	s_delay_alu instid0(VALU_DEP_2) | instskip(NEXT) | instid1(VALU_DEP_2)
	v_cndmask_b32_e64 v5, v5, v21, s4
	v_min_u32_e32 v20, v21, v20
	v_cndmask_b32_e64 v14, v21, v14, s4
	s_delay_alu instid0(VALU_DEP_3) | instskip(NEXT) | instid1(VALU_DEP_3)
	v_cmp_lt_u32_e64 s5, v5, v28
	v_add_nc_u32_e32 v20, v11, v20
	s_delay_alu instid0(VALU_DEP_3) | instskip(SKIP_4) | instid1(VALU_DEP_2)
	v_cmp_ge_u32_e64 s7, v14, v29
	ds_load_u8 v20, v20
	s_wait_dscnt 0x0
	v_cndmask_b32_e64 v31, v20, v33, s4
	v_cndmask_b32_e64 v32, v36, v20, s4
	v_and_b32_e32 v20, 0xff, v31
	s_delay_alu instid0(VALU_DEP_2) | instskip(NEXT) | instid1(VALU_DEP_1)
	v_and_b32_e32 v22, 0xff, v32
	v_cmp_le_u16_e64 s6, v20, v22
	s_and_b32 s5, s5, s6
	s_wait_alu 0xfffe
	s_or_b32 s5, s7, s5
	s_wait_alu 0xfffe
	v_cndmask_b32_e64 v20, v14, v5, s5
	v_cndmask_b32_e64 v21, v29, v28, s5
	;; [unrolled: 1-line block ×3, first 2 shown]
	s_delay_alu instid0(VALU_DEP_3) | instskip(NEXT) | instid1(VALU_DEP_3)
	v_add_nc_u32_e32 v22, 1, v20
	v_add_nc_u32_e32 v21, -1, v21
	s_delay_alu instid0(VALU_DEP_2) | instskip(NEXT) | instid1(VALU_DEP_2)
	v_cndmask_b32_e64 v5, v5, v22, s5
	v_min_u32_e32 v21, v22, v21
	v_cndmask_b32_e64 v14, v22, v14, s5
	s_delay_alu instid0(VALU_DEP_3) | instskip(NEXT) | instid1(VALU_DEP_3)
	v_cmp_lt_u32_e64 s6, v5, v28
	v_add_nc_u32_e32 v21, v11, v21
	s_delay_alu instid0(VALU_DEP_3) | instskip(SKIP_4) | instid1(VALU_DEP_2)
	v_cmp_ge_u32_e64 s8, v14, v29
	ds_load_u8 v21, v21
	s_wait_dscnt 0x0
	v_cndmask_b32_e64 v38, v21, v31, s5
	v_cndmask_b32_e64 v39, v32, v21, s5
	v_and_b32_e32 v21, 0xff, v38
	s_delay_alu instid0(VALU_DEP_2) | instskip(NEXT) | instid1(VALU_DEP_1)
	v_and_b32_e32 v23, 0xff, v39
	v_cmp_le_u16_e64 s7, v21, v23
	s_and_b32 s6, s6, s7
	s_wait_alu 0xfffe
	s_or_b32 s6, s8, s6
	s_wait_alu 0xfffe
	v_cndmask_b32_e64 v5, v14, v5, s6
	v_lshl_add_u32 v14, v15, 3, v9
	v_lshl_add_u32 v15, v20, 3, v9
	v_cndmask_b32_e64 v36, v38, v39, s6
	s_delay_alu instid0(VALU_DEP_4)
	v_lshl_add_u32 v20, v5, 3, v9
	ds_load_b64 v[4:5], v4 offset:1024
	ds_load_b64 v[22:23], v14 offset:1024
	;; [unrolled: 1-line block ×4, first 2 shown]
.LBB1557_85:
	s_wait_alu 0xfffe
	s_or_b32 exec_lo, exec_lo, s9
	v_and_b32_e32 v31, 0x60, v35
	; wave barrier
	ds_store_b8 v10, v37
	s_wait_dscnt 0x4
	ds_store_b64 v25, v[4:5]
	s_mov_b32 s4, exec_lo
	v_or_b32_e32 v28, 16, v31
	ds_store_b8 v17, v26
	s_wait_dscnt 0x5
	ds_store_b64 v18, v[22:23]
	ds_store_b8 v19, v27
	s_wait_dscnt 0x6
	ds_store_b64 v24, v[14:15]
	;; [unrolled: 3-line block ×3, first 2 shown]
	; wave barrier
	v_min_u32_e32 v28, v16, v28
	s_delay_alu instid0(VALU_DEP_1) | instskip(SKIP_1) | instid1(VALU_DEP_2)
	v_add_nc_u32_e32 v29, 16, v28
	v_sub_nc_u32_e32 v33, v28, v31
	v_min_u32_e32 v29, v16, v29
	v_min_u32_e32 v16, v16, v30
	s_delay_alu instid0(VALU_DEP_2) | instskip(NEXT) | instid1(VALU_DEP_2)
	v_sub_nc_u32_e32 v32, v29, v28
	v_min_u32_e32 v25, v16, v33
	s_delay_alu instid0(VALU_DEP_2) | instskip(NEXT) | instid1(VALU_DEP_1)
	v_sub_nc_u32_e64 v10, v16, v32 clamp
	v_cmpx_lt_u32_e64 v10, v25
	s_cbranch_execz .LBB1557_89
; %bb.86:
	v_add_co_u32 v12, null, v11, v31
	v_add_co_u32 v13, null, v11, v28
	s_mov_b32 s5, 0
.LBB1557_87:                            ; =>This Inner Loop Header: Depth=1
	v_add_nc_u32_e32 v17, v25, v10
	s_delay_alu instid0(VALU_DEP_1) | instskip(NEXT) | instid1(VALU_DEP_1)
	v_lshrrev_b32_e32 v17, 1, v17
	v_not_b32_e32 v18, v17
	v_add_nc_u32_e32 v19, v12, v17
	v_add_nc_u32_e32 v24, 1, v17
	s_delay_alu instid0(VALU_DEP_3)
	v_add3_u32 v18, v16, v18, v13
	ds_load_u8 v19, v19
	ds_load_u8 v18, v18
	s_wait_dscnt 0x0
	v_cmp_gt_u16_e64 s3, v18, v19
	s_wait_alu 0xf1ff
	s_delay_alu instid0(VALU_DEP_1) | instskip(SKIP_1) | instid1(VALU_DEP_1)
	v_cndmask_b32_e64 v25, v25, v17, s3
	v_cndmask_b32_e64 v10, v24, v10, s3
	v_cmp_ge_u32_e64 s3, v10, v25
	s_wait_alu 0xfffe
	s_or_b32 s5, s3, s5
	s_wait_alu 0xfffe
	s_and_not1_b32 exec_lo, exec_lo, s5
	s_cbranch_execnz .LBB1557_87
; %bb.88:
	s_or_b32 exec_lo, exec_lo, s5
.LBB1557_89:
	s_wait_alu 0xfffe
	s_or_b32 exec_lo, exec_lo, s4
	v_add_nc_u32_e32 v12, v28, v16
	v_add_nc_u32_e32 v16, v10, v31
	s_delay_alu instid0(VALU_DEP_2) | instskip(NEXT) | instid1(VALU_DEP_2)
	v_sub_nc_u32_e32 v13, v12, v10
	v_cmp_le_u32_e64 s3, v16, v28
	s_delay_alu instid0(VALU_DEP_2)
	v_cmp_le_u32_e64 s4, v13, v29
	s_or_b32 s3, s3, s4
	s_wait_alu 0xfffe
	s_and_saveexec_b32 s9, s3
	s_cbranch_execz .LBB1557_95
; %bb.90:
	v_cmp_lt_u32_e64 s3, v16, v28
                                        ; implicit-def: $vgpr10
	s_and_saveexec_b32 s4, s3
; %bb.91:
	v_add_nc_u32_e32 v4, v11, v16
	ds_load_u8 v10, v4
; %bb.92:
	s_wait_alu 0xfffe
	s_or_b32 exec_lo, exec_lo, s4
	v_cmp_ge_u32_e64 s4, v13, v29
	s_mov_b32 s6, exec_lo
                                        ; implicit-def: $vgpr12
	v_cmpx_lt_u32_e64 v13, v29
; %bb.93:
	v_add_nc_u32_e32 v4, v11, v13
	ds_load_u8 v12, v4
; %bb.94:
	s_wait_alu 0xfffe
	s_or_b32 exec_lo, exec_lo, s6
	s_wait_dscnt 0x0
	v_and_b32_e32 v4, 0xff, v10
	v_and_b32_e32 v5, 0xff, v12
	s_delay_alu instid0(VALU_DEP_1)
	v_cmp_le_u16_e64 s5, v5, v4
	s_and_b32 s3, s3, s5
	s_wait_alu 0xfffe
	s_or_b32 s3, s4, s3
	s_wait_alu 0xfffe
	v_cndmask_b32_e64 v4, v13, v16, s3
	v_cndmask_b32_e64 v5, v29, v28, s3
	v_cndmask_b32_e64 v37, v12, v10, s3
	s_delay_alu instid0(VALU_DEP_3) | instskip(NEXT) | instid1(VALU_DEP_3)
	v_add_nc_u32_e32 v14, 1, v4
	v_add_nc_u32_e32 v5, -1, v5
	v_lshl_add_u32 v4, v4, 3, v9
	s_delay_alu instid0(VALU_DEP_3) | instskip(NEXT) | instid1(VALU_DEP_3)
	v_cndmask_b32_e64 v13, v14, v13, s3
	v_min_u32_e32 v5, v14, v5
	s_delay_alu instid0(VALU_DEP_2) | instskip(NEXT) | instid1(VALU_DEP_2)
	v_cmp_ge_u32_e64 s6, v13, v29
	v_add_nc_u32_e32 v5, v11, v5
	ds_load_u8 v5, v5
	s_wait_dscnt 0x0
	v_cndmask_b32_e64 v17, v5, v12, s3
	v_cndmask_b32_e64 v18, v10, v5, s3
	;; [unrolled: 1-line block ×3, first 2 shown]
	s_delay_alu instid0(VALU_DEP_3) | instskip(NEXT) | instid1(VALU_DEP_3)
	v_and_b32_e32 v15, 0xff, v17
	v_and_b32_e32 v16, 0xff, v18
	s_delay_alu instid0(VALU_DEP_3) | instskip(NEXT) | instid1(VALU_DEP_2)
	v_cmp_lt_u32_e64 s4, v5, v28
	v_cmp_le_u16_e64 s5, v15, v16
	s_and_b32 s4, s4, s5
	s_wait_alu 0xfffe
	s_or_b32 s4, s6, s4
	s_wait_alu 0xfffe
	v_cndmask_b32_e64 v14, v13, v5, s4
	v_cndmask_b32_e64 v15, v29, v28, s4
	;; [unrolled: 1-line block ×3, first 2 shown]
	s_delay_alu instid0(VALU_DEP_3) | instskip(NEXT) | instid1(VALU_DEP_3)
	v_add_nc_u32_e32 v16, 1, v14
	v_add_nc_u32_e32 v15, -1, v15
	s_delay_alu instid0(VALU_DEP_2) | instskip(NEXT) | instid1(VALU_DEP_2)
	v_cndmask_b32_e64 v5, v5, v16, s4
	v_min_u32_e32 v15, v16, v15
	v_cndmask_b32_e64 v13, v16, v13, s4
	s_delay_alu instid0(VALU_DEP_3) | instskip(NEXT) | instid1(VALU_DEP_3)
	v_cmp_lt_u32_e64 s5, v5, v28
	v_add_nc_u32_e32 v15, v11, v15
	s_delay_alu instid0(VALU_DEP_3) | instskip(SKIP_4) | instid1(VALU_DEP_2)
	v_cmp_ge_u32_e64 s7, v13, v29
	ds_load_u8 v15, v15
	s_wait_dscnt 0x0
	v_cndmask_b32_e64 v19, v15, v17, s4
	v_cndmask_b32_e64 v24, v18, v15, s4
	v_and_b32_e32 v15, 0xff, v19
	s_delay_alu instid0(VALU_DEP_2) | instskip(NEXT) | instid1(VALU_DEP_1)
	v_and_b32_e32 v20, 0xff, v24
	v_cmp_le_u16_e64 s6, v15, v20
	s_and_b32 s5, s5, s6
	s_wait_alu 0xfffe
	s_or_b32 s5, s7, s5
	s_wait_alu 0xfffe
	v_cndmask_b32_e64 v15, v13, v5, s5
	v_cndmask_b32_e64 v16, v29, v28, s5
	;; [unrolled: 1-line block ×3, first 2 shown]
	s_delay_alu instid0(VALU_DEP_3) | instskip(NEXT) | instid1(VALU_DEP_3)
	v_add_nc_u32_e32 v20, 1, v15
	v_add_nc_u32_e32 v16, -1, v16
	s_delay_alu instid0(VALU_DEP_2) | instskip(NEXT) | instid1(VALU_DEP_2)
	v_cndmask_b32_e64 v5, v5, v20, s5
	v_min_u32_e32 v16, v20, v16
	v_cndmask_b32_e64 v13, v20, v13, s5
	s_delay_alu instid0(VALU_DEP_3) | instskip(NEXT) | instid1(VALU_DEP_3)
	v_cmp_lt_u32_e64 s6, v5, v28
	v_add_nc_u32_e32 v11, v11, v16
	s_delay_alu instid0(VALU_DEP_3) | instskip(SKIP_4) | instid1(VALU_DEP_2)
	v_cmp_ge_u32_e64 s8, v13, v29
	ds_load_u8 v11, v11
	s_wait_dscnt 0x0
	v_cndmask_b32_e64 v16, v11, v19, s5
	v_cndmask_b32_e64 v11, v24, v11, s5
	v_and_b32_e32 v21, 0xff, v16
	s_delay_alu instid0(VALU_DEP_2) | instskip(NEXT) | instid1(VALU_DEP_1)
	v_and_b32_e32 v22, 0xff, v11
	v_cmp_le_u16_e64 s7, v21, v22
	s_and_b32 s6, s6, s7
	s_wait_alu 0xfffe
	s_or_b32 s6, s8, s6
	s_wait_alu 0xfffe
	v_cndmask_b32_e64 v5, v13, v5, s6
	v_lshl_add_u32 v13, v14, 3, v9
	v_lshl_add_u32 v14, v15, 3, v9
	v_cndmask_b32_e64 v36, v16, v11, s6
	s_delay_alu instid0(VALU_DEP_4)
	v_lshl_add_u32 v9, v5, 3, v9
	ds_load_b64 v[4:5], v4 offset:1024
	ds_load_b64 v[22:23], v13 offset:1024
	;; [unrolled: 1-line block ×4, first 2 shown]
.LBB1557_95:
	s_wait_alu 0xfffe
	s_or_b32 exec_lo, exec_lo, s9
	; wave barrier
	s_wait_storecnt_dscnt 0x0
	s_barrier_signal -1
	s_barrier_wait -1
	global_inv scope:SCOPE_SE
.LBB1557_96:
	s_wait_alu 0xfffe
	s_or_b32 exec_lo, exec_lo, s10
	v_add_co_u32 v2, s3, v2, v8
	s_wait_alu 0xf1ff
	v_add_co_ci_u32_e64 v3, null, 0, v3, s3
	s_delay_alu instid0(VALU_DEP_2) | instskip(SKIP_1) | instid1(VALU_DEP_2)
	v_add_co_u32 v2, s3, v2, v30
	s_wait_alu 0xf1ff
	v_add_co_ci_u32_e64 v3, null, 0, v3, s3
	; wave barrier
	s_and_saveexec_b32 s3, vcc_lo
	s_cbranch_execnz .LBB1557_106
; %bb.97:
	s_wait_alu 0xfffe
	s_or_b32 exec_lo, exec_lo, s3
	s_and_saveexec_b32 s3, s0
	s_cbranch_execnz .LBB1557_107
.LBB1557_98:
	s_wait_alu 0xfffe
	s_or_b32 exec_lo, exec_lo, s3
	s_and_saveexec_b32 s3, s1
	s_cbranch_execnz .LBB1557_108
.LBB1557_99:
	s_wait_alu 0xfffe
	s_or_b32 exec_lo, exec_lo, s3
	s_and_saveexec_b32 s3, s2
	s_cbranch_execz .LBB1557_101
.LBB1557_100:
	s_wait_loadcnt_dscnt 0x0
	flat_store_b8 v[2:3], v36 offset:3
.LBB1557_101:
	s_wait_alu 0xfffe
	s_or_b32 exec_lo, exec_lo, s3
	v_add_co_u32 v0, s3, v6, v0
	s_wait_alu 0xf1ff
	v_add_co_ci_u32_e64 v1, null, v7, v1, s3
	s_delay_alu instid0(VALU_DEP_2) | instskip(SKIP_1) | instid1(VALU_DEP_2)
	v_add_co_u32 v0, s3, v0, v34
	s_wait_alu 0xf1ff
	v_add_co_ci_u32_e64 v1, null, 0, v1, s3
	; wave barrier
	s_and_saveexec_b32 s3, vcc_lo
	s_cbranch_execnz .LBB1557_109
; %bb.102:
	s_wait_alu 0xfffe
	s_or_b32 exec_lo, exec_lo, s3
	s_and_saveexec_b32 s3, s0
	s_cbranch_execnz .LBB1557_110
.LBB1557_103:
	s_wait_alu 0xfffe
	s_or_b32 exec_lo, exec_lo, s3
	s_and_saveexec_b32 s0, s1
	s_cbranch_execnz .LBB1557_111
.LBB1557_104:
	s_wait_alu 0xfffe
	s_or_b32 exec_lo, exec_lo, s0
	s_and_saveexec_b32 s0, s2
	s_cbranch_execnz .LBB1557_112
.LBB1557_105:
	s_wait_alu 0xfffe
	s_or_b32 exec_lo, exec_lo, s0
	s_wait_loadcnt_dscnt 0x0
	s_setpc_b64 s[30:31]
.LBB1557_106:
	s_wait_loadcnt_dscnt 0x0
	flat_store_b8 v[2:3], v37
	s_wait_alu 0xfffe
	s_or_b32 exec_lo, exec_lo, s3
	s_and_saveexec_b32 s3, s0
	s_cbranch_execz .LBB1557_98
.LBB1557_107:
	s_wait_loadcnt_dscnt 0x0
	flat_store_b8 v[2:3], v26 offset:1
	s_wait_alu 0xfffe
	s_or_b32 exec_lo, exec_lo, s3
	s_and_saveexec_b32 s3, s1
	s_cbranch_execz .LBB1557_99
.LBB1557_108:
	s_wait_loadcnt_dscnt 0x0
	flat_store_b8 v[2:3], v27 offset:2
	s_wait_alu 0xfffe
	s_or_b32 exec_lo, exec_lo, s3
	s_and_saveexec_b32 s3, s2
	s_cbranch_execnz .LBB1557_100
	s_branch .LBB1557_101
.LBB1557_109:
	s_wait_loadcnt_dscnt 0x0
	flat_store_b64 v[0:1], v[4:5]
	s_wait_alu 0xfffe
	s_or_b32 exec_lo, exec_lo, s3
	s_and_saveexec_b32 s3, s0
	s_cbranch_execz .LBB1557_103
.LBB1557_110:
	flat_store_b64 v[0:1], v[22:23] offset:8
	s_wait_alu 0xfffe
	s_or_b32 exec_lo, exec_lo, s3
	s_and_saveexec_b32 s0, s1
	s_cbranch_execz .LBB1557_104
.LBB1557_111:
	flat_store_b64 v[0:1], v[14:15] offset:16
	s_wait_alu 0xfffe
	s_or_b32 exec_lo, exec_lo, s0
	s_and_saveexec_b32 s0, s2
	s_cbranch_execz .LBB1557_105
.LBB1557_112:
	flat_store_b64 v[0:1], v[20:21] offset:24
	s_wait_alu 0xfffe
	s_or_b32 exec_lo, exec_lo, s0
	s_wait_loadcnt_dscnt 0x0
	s_setpc_b64 s[30:31]
.Lfunc_end1557:
	.size	_ZN7rocprim17ROCPRIM_400000_NS6detail26segmented_warp_sort_helperINS1_20WarpSortHelperConfigILj8ELj4ELj256EEEblLi256ELb1EvE4sortIPKbPbPKlPlEEvT_T0_T1_T2_jjjjRNS5_12storage_typeE, .Lfunc_end1557-_ZN7rocprim17ROCPRIM_400000_NS6detail26segmented_warp_sort_helperINS1_20WarpSortHelperConfigILj8ELj4ELj256EEEblLi256ELb1EvE4sortIPKbPbPKlPlEEvT_T0_T1_T2_jjjjRNS5_12storage_typeE
                                        ; -- End function
	.set .L_ZN7rocprim17ROCPRIM_400000_NS6detail26segmented_warp_sort_helperINS1_20WarpSortHelperConfigILj8ELj4ELj256EEEblLi256ELb1EvE4sortIPKbPbPKlPlEEvT_T0_T1_T2_jjjjRNS5_12storage_typeE.num_vgpr, 54
	.set .L_ZN7rocprim17ROCPRIM_400000_NS6detail26segmented_warp_sort_helperINS1_20WarpSortHelperConfigILj8ELj4ELj256EEEblLi256ELb1EvE4sortIPKbPbPKlPlEEvT_T0_T1_T2_jjjjRNS5_12storage_typeE.num_agpr, 0
	.set .L_ZN7rocprim17ROCPRIM_400000_NS6detail26segmented_warp_sort_helperINS1_20WarpSortHelperConfigILj8ELj4ELj256EEEblLi256ELb1EvE4sortIPKbPbPKlPlEEvT_T0_T1_T2_jjjjRNS5_12storage_typeE.numbered_sgpr, 33
	.set .L_ZN7rocprim17ROCPRIM_400000_NS6detail26segmented_warp_sort_helperINS1_20WarpSortHelperConfigILj8ELj4ELj256EEEblLi256ELb1EvE4sortIPKbPbPKlPlEEvT_T0_T1_T2_jjjjRNS5_12storage_typeE.num_named_barrier, 0
	.set .L_ZN7rocprim17ROCPRIM_400000_NS6detail26segmented_warp_sort_helperINS1_20WarpSortHelperConfigILj8ELj4ELj256EEEblLi256ELb1EvE4sortIPKbPbPKlPlEEvT_T0_T1_T2_jjjjRNS5_12storage_typeE.private_seg_size, 12
	.set .L_ZN7rocprim17ROCPRIM_400000_NS6detail26segmented_warp_sort_helperINS1_20WarpSortHelperConfigILj8ELj4ELj256EEEblLi256ELb1EvE4sortIPKbPbPKlPlEEvT_T0_T1_T2_jjjjRNS5_12storage_typeE.uses_vcc, 1
	.set .L_ZN7rocprim17ROCPRIM_400000_NS6detail26segmented_warp_sort_helperINS1_20WarpSortHelperConfigILj8ELj4ELj256EEEblLi256ELb1EvE4sortIPKbPbPKlPlEEvT_T0_T1_T2_jjjjRNS5_12storage_typeE.uses_flat_scratch, 1
	.set .L_ZN7rocprim17ROCPRIM_400000_NS6detail26segmented_warp_sort_helperINS1_20WarpSortHelperConfigILj8ELj4ELj256EEEblLi256ELb1EvE4sortIPKbPbPKlPlEEvT_T0_T1_T2_jjjjRNS5_12storage_typeE.has_dyn_sized_stack, 0
	.set .L_ZN7rocprim17ROCPRIM_400000_NS6detail26segmented_warp_sort_helperINS1_20WarpSortHelperConfigILj8ELj4ELj256EEEblLi256ELb1EvE4sortIPKbPbPKlPlEEvT_T0_T1_T2_jjjjRNS5_12storage_typeE.has_recursion, 0
	.set .L_ZN7rocprim17ROCPRIM_400000_NS6detail26segmented_warp_sort_helperINS1_20WarpSortHelperConfigILj8ELj4ELj256EEEblLi256ELb1EvE4sortIPKbPbPKlPlEEvT_T0_T1_T2_jjjjRNS5_12storage_typeE.has_indirect_call, 0
	.section	.AMDGPU.csdata,"",@progbits
; Function info:
; codeLenInByte = 9824
; TotalNumSgprs: 35
; NumVgprs: 54
; ScratchSize: 12
; MemoryBound: 1
	.section	.text._ZN7rocprim17ROCPRIM_400000_NS6detail17trampoline_kernelINS0_14default_configENS1_36segmented_radix_sort_config_selectorIblEEZNS1_25segmented_radix_sort_implIS3_Lb1EPKbPbPKlPlN2at6native12_GLOBAL__N_18offset_tEEE10hipError_tPvRmT1_PNSt15iterator_traitsISK_E10value_typeET2_T3_PNSL_ISQ_E10value_typeET4_jRbjT5_SW_jjP12ihipStream_tbEUlT_E1_NS1_11comp_targetILNS1_3genE10ELNS1_11target_archE1201ELNS1_3gpuE5ELNS1_3repE0EEENS1_59segmented_radix_sort_warp_sort_small_config_static_selectorELNS0_4arch9wavefront6targetE0EEEvSK_,"axG",@progbits,_ZN7rocprim17ROCPRIM_400000_NS6detail17trampoline_kernelINS0_14default_configENS1_36segmented_radix_sort_config_selectorIblEEZNS1_25segmented_radix_sort_implIS3_Lb1EPKbPbPKlPlN2at6native12_GLOBAL__N_18offset_tEEE10hipError_tPvRmT1_PNSt15iterator_traitsISK_E10value_typeET2_T3_PNSL_ISQ_E10value_typeET4_jRbjT5_SW_jjP12ihipStream_tbEUlT_E1_NS1_11comp_targetILNS1_3genE10ELNS1_11target_archE1201ELNS1_3gpuE5ELNS1_3repE0EEENS1_59segmented_radix_sort_warp_sort_small_config_static_selectorELNS0_4arch9wavefront6targetE0EEEvSK_,comdat
	.globl	_ZN7rocprim17ROCPRIM_400000_NS6detail17trampoline_kernelINS0_14default_configENS1_36segmented_radix_sort_config_selectorIblEEZNS1_25segmented_radix_sort_implIS3_Lb1EPKbPbPKlPlN2at6native12_GLOBAL__N_18offset_tEEE10hipError_tPvRmT1_PNSt15iterator_traitsISK_E10value_typeET2_T3_PNSL_ISQ_E10value_typeET4_jRbjT5_SW_jjP12ihipStream_tbEUlT_E1_NS1_11comp_targetILNS1_3genE10ELNS1_11target_archE1201ELNS1_3gpuE5ELNS1_3repE0EEENS1_59segmented_radix_sort_warp_sort_small_config_static_selectorELNS0_4arch9wavefront6targetE0EEEvSK_ ; -- Begin function _ZN7rocprim17ROCPRIM_400000_NS6detail17trampoline_kernelINS0_14default_configENS1_36segmented_radix_sort_config_selectorIblEEZNS1_25segmented_radix_sort_implIS3_Lb1EPKbPbPKlPlN2at6native12_GLOBAL__N_18offset_tEEE10hipError_tPvRmT1_PNSt15iterator_traitsISK_E10value_typeET2_T3_PNSL_ISQ_E10value_typeET4_jRbjT5_SW_jjP12ihipStream_tbEUlT_E1_NS1_11comp_targetILNS1_3genE10ELNS1_11target_archE1201ELNS1_3gpuE5ELNS1_3repE0EEENS1_59segmented_radix_sort_warp_sort_small_config_static_selectorELNS0_4arch9wavefront6targetE0EEEvSK_
	.p2align	8
	.type	_ZN7rocprim17ROCPRIM_400000_NS6detail17trampoline_kernelINS0_14default_configENS1_36segmented_radix_sort_config_selectorIblEEZNS1_25segmented_radix_sort_implIS3_Lb1EPKbPbPKlPlN2at6native12_GLOBAL__N_18offset_tEEE10hipError_tPvRmT1_PNSt15iterator_traitsISK_E10value_typeET2_T3_PNSL_ISQ_E10value_typeET4_jRbjT5_SW_jjP12ihipStream_tbEUlT_E1_NS1_11comp_targetILNS1_3genE10ELNS1_11target_archE1201ELNS1_3gpuE5ELNS1_3repE0EEENS1_59segmented_radix_sort_warp_sort_small_config_static_selectorELNS0_4arch9wavefront6targetE0EEEvSK_,@function
_ZN7rocprim17ROCPRIM_400000_NS6detail17trampoline_kernelINS0_14default_configENS1_36segmented_radix_sort_config_selectorIblEEZNS1_25segmented_radix_sort_implIS3_Lb1EPKbPbPKlPlN2at6native12_GLOBAL__N_18offset_tEEE10hipError_tPvRmT1_PNSt15iterator_traitsISK_E10value_typeET2_T3_PNSL_ISQ_E10value_typeET4_jRbjT5_SW_jjP12ihipStream_tbEUlT_E1_NS1_11comp_targetILNS1_3genE10ELNS1_11target_archE1201ELNS1_3gpuE5ELNS1_3repE0EEENS1_59segmented_radix_sort_warp_sort_small_config_static_selectorELNS0_4arch9wavefront6targetE0EEEvSK_: ; @_ZN7rocprim17ROCPRIM_400000_NS6detail17trampoline_kernelINS0_14default_configENS1_36segmented_radix_sort_config_selectorIblEEZNS1_25segmented_radix_sort_implIS3_Lb1EPKbPbPKlPlN2at6native12_GLOBAL__N_18offset_tEEE10hipError_tPvRmT1_PNSt15iterator_traitsISK_E10value_typeET2_T3_PNSL_ISQ_E10value_typeET4_jRbjT5_SW_jjP12ihipStream_tbEUlT_E1_NS1_11comp_targetILNS1_3genE10ELNS1_11target_archE1201ELNS1_3gpuE5ELNS1_3repE0EEENS1_59segmented_radix_sort_warp_sort_small_config_static_selectorELNS0_4arch9wavefront6targetE0EEEvSK_
; %bb.0:
	s_load_b32 s2, s[0:1], 0x64
	v_bfe_u32 v1, v0, 10, 10
	v_bfe_u32 v2, v0, 20, 10
	s_mov_b32 s32, 0
	s_wait_kmcnt 0x0
	s_lshr_b32 s3, s2, 16
	s_and_b32 s2, s2, 0xffff
	v_mad_u32_u24 v2, v2, s3, v1
	v_and_b32_e32 v1, 0x3ff, v0
	s_load_b32 s3, s[0:1], 0x34
	s_delay_alu instid0(VALU_DEP_1) | instskip(SKIP_2) | instid1(VALU_DEP_1)
	v_mad_co_u64_u32 v[1:2], null, v2, s2, v[1:2]
	s_mov_b32 s2, exec_lo
	v_lshrrev_b32_e32 v1, 3, v1
	v_lshl_add_u32 v1, ttmp9, 5, v1
	s_wait_kmcnt 0x0
	s_delay_alu instid0(VALU_DEP_1)
	v_cmpx_gt_u32_e64 s3, v1
	s_cbranch_execz .LBB1558_6
; %bb.1:
	s_clause 0x1
	s_load_b64 s[2:3], s[0:1], 0x38
	s_load_b128 s[4:7], s[0:1], 0x40
	v_mov_b32_e32 v2, 0
	s_delay_alu instid0(VALU_DEP_1) | instskip(SKIP_1) | instid1(VALU_DEP_1)
	v_lshlrev_b64_e32 v[1:2], 2, v[1:2]
	s_wait_kmcnt 0x0
	v_sub_co_u32 v1, vcc_lo, s2, v1
	s_delay_alu instid0(VALU_DEP_1) | instskip(SKIP_4) | instid1(VALU_DEP_2)
	v_sub_co_ci_u32_e64 v2, null, s3, v2, vcc_lo
	global_load_b32 v1, v[1:2], off offset:-4
	s_wait_loadcnt 0x0
	v_add_nc_u32_e32 v2, s5, v1
	v_add_nc_u32_e32 v1, s7, v1
	v_mul_lo_u32 v8, v2, s4
	s_delay_alu instid0(VALU_DEP_2) | instskip(NEXT) | instid1(VALU_DEP_1)
	v_mul_lo_u32 v40, v1, s6
	v_cmp_gt_u32_e32 vcc_lo, v40, v8
	s_and_b32 exec_lo, exec_lo, vcc_lo
	s_cbranch_execz .LBB1558_6
; %bb.2:
	s_clause 0x3
	s_load_b32 s2, s[0:1], 0x30
	s_load_b128 s[24:27], s[0:1], 0x20
	s_load_b256 s[16:23], s[0:1], 0x0
	s_load_b64 s[28:29], s[0:1], 0x50
	s_add_nc_u64 s[14:15], s[0:1], 0x58
	s_wait_kmcnt 0x0
	s_bitcmp0_b32 s2, 0
	s_mov_b32 s2, -1
	s_cbranch_scc0 .LBB1558_4
; %bb.3:
	s_mov_b64 s[0:1], src_shared_base
	v_mov_b32_e32 v31, v0
	v_dual_mov_b32 v41, v0 :: v_dual_mov_b32 v2, s18
	v_dual_mov_b32 v0, s16 :: v_dual_mov_b32 v1, s17
	;; [unrolled: 1-line block ×6, first 2 shown]
	v_mov_b32_e32 v11, s29
	s_wait_alu 0xfffe
	v_mov_b32_e32 v13, s1
	s_getpc_b64 s[2:3]
	s_wait_alu 0xfffe
	s_sext_i32_i16 s3, s3
	s_add_co_u32 s2, s2, _ZN7rocprim17ROCPRIM_400000_NS6detail26segmented_warp_sort_helperINS1_20WarpSortHelperConfigILj8ELj4ELj256EEEblLi256ELb1EvE4sortIPKbPbPKlPlEEvT_T0_T1_T2_jjjjRNS5_12storage_typeE@rel32@lo+12
	s_wait_alu 0xfffe
	s_add_co_ci_u32 s3, s3, _ZN7rocprim17ROCPRIM_400000_NS6detail26segmented_warp_sort_helperINS1_20WarpSortHelperConfigILj8ELj4ELj256EEEblLi256ELb1EvE4sortIPKbPbPKlPlEEvT_T0_T1_T2_jjjjRNS5_12storage_typeE@rel32@hi+24
	s_mov_b64 s[8:9], s[14:15]
	s_wait_alu 0xfffe
	s_swappc_b64 s[30:31], s[2:3]
	v_mov_b32_e32 v0, v41
	s_mov_b32 s2, 0
.LBB1558_4:
	s_wait_alu 0xfffe
	s_and_not1_b32 vcc_lo, exec_lo, s2
	s_wait_alu 0xfffe
	s_cbranch_vccnz .LBB1558_6
; %bb.5:
	s_mov_b64 s[0:1], src_shared_base
	v_dual_mov_b32 v31, v0 :: v_dual_mov_b32 v0, s16
	v_dual_mov_b32 v1, s17 :: v_dual_mov_b32 v2, s20
	;; [unrolled: 1-line block ×6, first 2 shown]
	v_mov_b32_e32 v11, s29
	s_wait_alu 0xfffe
	v_mov_b32_e32 v13, s1
	s_getpc_b64 s[2:3]
	s_wait_alu 0xfffe
	s_sext_i32_i16 s3, s3
	s_add_co_u32 s2, s2, _ZN7rocprim17ROCPRIM_400000_NS6detail26segmented_warp_sort_helperINS1_20WarpSortHelperConfigILj8ELj4ELj256EEEblLi256ELb1EvE4sortIPKbPbPKlPlEEvT_T0_T1_T2_jjjjRNS5_12storage_typeE@rel32@lo+12
	s_wait_alu 0xfffe
	s_add_co_ci_u32 s3, s3, _ZN7rocprim17ROCPRIM_400000_NS6detail26segmented_warp_sort_helperINS1_20WarpSortHelperConfigILj8ELj4ELj256EEEblLi256ELb1EvE4sortIPKbPbPKlPlEEvT_T0_T1_T2_jjjjRNS5_12storage_typeE@rel32@hi+24
	s_mov_b64 s[8:9], s[14:15]
	s_wait_alu 0xfffe
	s_swappc_b64 s[30:31], s[2:3]
.LBB1558_6:
	s_endpgm
	.section	.rodata,"a",@progbits
	.p2align	6, 0x0
	.amdhsa_kernel _ZN7rocprim17ROCPRIM_400000_NS6detail17trampoline_kernelINS0_14default_configENS1_36segmented_radix_sort_config_selectorIblEEZNS1_25segmented_radix_sort_implIS3_Lb1EPKbPbPKlPlN2at6native12_GLOBAL__N_18offset_tEEE10hipError_tPvRmT1_PNSt15iterator_traitsISK_E10value_typeET2_T3_PNSL_ISQ_E10value_typeET4_jRbjT5_SW_jjP12ihipStream_tbEUlT_E1_NS1_11comp_targetILNS1_3genE10ELNS1_11target_archE1201ELNS1_3gpuE5ELNS1_3repE0EEENS1_59segmented_radix_sort_warp_sort_small_config_static_selectorELNS0_4arch9wavefront6targetE0EEEvSK_
		.amdhsa_group_segment_fixed_size 9216
		.amdhsa_private_segment_fixed_size 12
		.amdhsa_kernarg_size 344
		.amdhsa_user_sgpr_count 2
		.amdhsa_user_sgpr_dispatch_ptr 0
		.amdhsa_user_sgpr_queue_ptr 0
		.amdhsa_user_sgpr_kernarg_segment_ptr 1
		.amdhsa_user_sgpr_dispatch_id 0
		.amdhsa_user_sgpr_private_segment_size 0
		.amdhsa_wavefront_size32 1
		.amdhsa_uses_dynamic_stack 0
		.amdhsa_enable_private_segment 1
		.amdhsa_system_sgpr_workgroup_id_x 1
		.amdhsa_system_sgpr_workgroup_id_y 1
		.amdhsa_system_sgpr_workgroup_id_z 0
		.amdhsa_system_sgpr_workgroup_info 0
		.amdhsa_system_vgpr_workitem_id 2
		.amdhsa_next_free_vgpr 54
		.amdhsa_next_free_sgpr 33
		.amdhsa_reserve_vcc 1
		.amdhsa_float_round_mode_32 0
		.amdhsa_float_round_mode_16_64 0
		.amdhsa_float_denorm_mode_32 3
		.amdhsa_float_denorm_mode_16_64 3
		.amdhsa_fp16_overflow 0
		.amdhsa_workgroup_processor_mode 1
		.amdhsa_memory_ordered 1
		.amdhsa_forward_progress 1
		.amdhsa_inst_pref_size 5
		.amdhsa_round_robin_scheduling 0
		.amdhsa_exception_fp_ieee_invalid_op 0
		.amdhsa_exception_fp_denorm_src 0
		.amdhsa_exception_fp_ieee_div_zero 0
		.amdhsa_exception_fp_ieee_overflow 0
		.amdhsa_exception_fp_ieee_underflow 0
		.amdhsa_exception_fp_ieee_inexact 0
		.amdhsa_exception_int_div_zero 0
	.end_amdhsa_kernel
	.section	.text._ZN7rocprim17ROCPRIM_400000_NS6detail17trampoline_kernelINS0_14default_configENS1_36segmented_radix_sort_config_selectorIblEEZNS1_25segmented_radix_sort_implIS3_Lb1EPKbPbPKlPlN2at6native12_GLOBAL__N_18offset_tEEE10hipError_tPvRmT1_PNSt15iterator_traitsISK_E10value_typeET2_T3_PNSL_ISQ_E10value_typeET4_jRbjT5_SW_jjP12ihipStream_tbEUlT_E1_NS1_11comp_targetILNS1_3genE10ELNS1_11target_archE1201ELNS1_3gpuE5ELNS1_3repE0EEENS1_59segmented_radix_sort_warp_sort_small_config_static_selectorELNS0_4arch9wavefront6targetE0EEEvSK_,"axG",@progbits,_ZN7rocprim17ROCPRIM_400000_NS6detail17trampoline_kernelINS0_14default_configENS1_36segmented_radix_sort_config_selectorIblEEZNS1_25segmented_radix_sort_implIS3_Lb1EPKbPbPKlPlN2at6native12_GLOBAL__N_18offset_tEEE10hipError_tPvRmT1_PNSt15iterator_traitsISK_E10value_typeET2_T3_PNSL_ISQ_E10value_typeET4_jRbjT5_SW_jjP12ihipStream_tbEUlT_E1_NS1_11comp_targetILNS1_3genE10ELNS1_11target_archE1201ELNS1_3gpuE5ELNS1_3repE0EEENS1_59segmented_radix_sort_warp_sort_small_config_static_selectorELNS0_4arch9wavefront6targetE0EEEvSK_,comdat
.Lfunc_end1558:
	.size	_ZN7rocprim17ROCPRIM_400000_NS6detail17trampoline_kernelINS0_14default_configENS1_36segmented_radix_sort_config_selectorIblEEZNS1_25segmented_radix_sort_implIS3_Lb1EPKbPbPKlPlN2at6native12_GLOBAL__N_18offset_tEEE10hipError_tPvRmT1_PNSt15iterator_traitsISK_E10value_typeET2_T3_PNSL_ISQ_E10value_typeET4_jRbjT5_SW_jjP12ihipStream_tbEUlT_E1_NS1_11comp_targetILNS1_3genE10ELNS1_11target_archE1201ELNS1_3gpuE5ELNS1_3repE0EEENS1_59segmented_radix_sort_warp_sort_small_config_static_selectorELNS0_4arch9wavefront6targetE0EEEvSK_, .Lfunc_end1558-_ZN7rocprim17ROCPRIM_400000_NS6detail17trampoline_kernelINS0_14default_configENS1_36segmented_radix_sort_config_selectorIblEEZNS1_25segmented_radix_sort_implIS3_Lb1EPKbPbPKlPlN2at6native12_GLOBAL__N_18offset_tEEE10hipError_tPvRmT1_PNSt15iterator_traitsISK_E10value_typeET2_T3_PNSL_ISQ_E10value_typeET4_jRbjT5_SW_jjP12ihipStream_tbEUlT_E1_NS1_11comp_targetILNS1_3genE10ELNS1_11target_archE1201ELNS1_3gpuE5ELNS1_3repE0EEENS1_59segmented_radix_sort_warp_sort_small_config_static_selectorELNS0_4arch9wavefront6targetE0EEEvSK_
                                        ; -- End function
	.set _ZN7rocprim17ROCPRIM_400000_NS6detail17trampoline_kernelINS0_14default_configENS1_36segmented_radix_sort_config_selectorIblEEZNS1_25segmented_radix_sort_implIS3_Lb1EPKbPbPKlPlN2at6native12_GLOBAL__N_18offset_tEEE10hipError_tPvRmT1_PNSt15iterator_traitsISK_E10value_typeET2_T3_PNSL_ISQ_E10value_typeET4_jRbjT5_SW_jjP12ihipStream_tbEUlT_E1_NS1_11comp_targetILNS1_3genE10ELNS1_11target_archE1201ELNS1_3gpuE5ELNS1_3repE0EEENS1_59segmented_radix_sort_warp_sort_small_config_static_selectorELNS0_4arch9wavefront6targetE0EEEvSK_.num_vgpr, max(42, .L_ZN7rocprim17ROCPRIM_400000_NS6detail26segmented_warp_sort_helperINS1_20WarpSortHelperConfigILj8ELj4ELj256EEEblLi256ELb1EvE4sortIPKbPbPKlPlEEvT_T0_T1_T2_jjjjRNS5_12storage_typeE.num_vgpr)
	.set _ZN7rocprim17ROCPRIM_400000_NS6detail17trampoline_kernelINS0_14default_configENS1_36segmented_radix_sort_config_selectorIblEEZNS1_25segmented_radix_sort_implIS3_Lb1EPKbPbPKlPlN2at6native12_GLOBAL__N_18offset_tEEE10hipError_tPvRmT1_PNSt15iterator_traitsISK_E10value_typeET2_T3_PNSL_ISQ_E10value_typeET4_jRbjT5_SW_jjP12ihipStream_tbEUlT_E1_NS1_11comp_targetILNS1_3genE10ELNS1_11target_archE1201ELNS1_3gpuE5ELNS1_3repE0EEENS1_59segmented_radix_sort_warp_sort_small_config_static_selectorELNS0_4arch9wavefront6targetE0EEEvSK_.num_agpr, max(0, .L_ZN7rocprim17ROCPRIM_400000_NS6detail26segmented_warp_sort_helperINS1_20WarpSortHelperConfigILj8ELj4ELj256EEEblLi256ELb1EvE4sortIPKbPbPKlPlEEvT_T0_T1_T2_jjjjRNS5_12storage_typeE.num_agpr)
	.set _ZN7rocprim17ROCPRIM_400000_NS6detail17trampoline_kernelINS0_14default_configENS1_36segmented_radix_sort_config_selectorIblEEZNS1_25segmented_radix_sort_implIS3_Lb1EPKbPbPKlPlN2at6native12_GLOBAL__N_18offset_tEEE10hipError_tPvRmT1_PNSt15iterator_traitsISK_E10value_typeET2_T3_PNSL_ISQ_E10value_typeET4_jRbjT5_SW_jjP12ihipStream_tbEUlT_E1_NS1_11comp_targetILNS1_3genE10ELNS1_11target_archE1201ELNS1_3gpuE5ELNS1_3repE0EEENS1_59segmented_radix_sort_warp_sort_small_config_static_selectorELNS0_4arch9wavefront6targetE0EEEvSK_.numbered_sgpr, max(33, .L_ZN7rocprim17ROCPRIM_400000_NS6detail26segmented_warp_sort_helperINS1_20WarpSortHelperConfigILj8ELj4ELj256EEEblLi256ELb1EvE4sortIPKbPbPKlPlEEvT_T0_T1_T2_jjjjRNS5_12storage_typeE.numbered_sgpr)
	.set _ZN7rocprim17ROCPRIM_400000_NS6detail17trampoline_kernelINS0_14default_configENS1_36segmented_radix_sort_config_selectorIblEEZNS1_25segmented_radix_sort_implIS3_Lb1EPKbPbPKlPlN2at6native12_GLOBAL__N_18offset_tEEE10hipError_tPvRmT1_PNSt15iterator_traitsISK_E10value_typeET2_T3_PNSL_ISQ_E10value_typeET4_jRbjT5_SW_jjP12ihipStream_tbEUlT_E1_NS1_11comp_targetILNS1_3genE10ELNS1_11target_archE1201ELNS1_3gpuE5ELNS1_3repE0EEENS1_59segmented_radix_sort_warp_sort_small_config_static_selectorELNS0_4arch9wavefront6targetE0EEEvSK_.num_named_barrier, max(0, .L_ZN7rocprim17ROCPRIM_400000_NS6detail26segmented_warp_sort_helperINS1_20WarpSortHelperConfigILj8ELj4ELj256EEEblLi256ELb1EvE4sortIPKbPbPKlPlEEvT_T0_T1_T2_jjjjRNS5_12storage_typeE.num_named_barrier)
	.set _ZN7rocprim17ROCPRIM_400000_NS6detail17trampoline_kernelINS0_14default_configENS1_36segmented_radix_sort_config_selectorIblEEZNS1_25segmented_radix_sort_implIS3_Lb1EPKbPbPKlPlN2at6native12_GLOBAL__N_18offset_tEEE10hipError_tPvRmT1_PNSt15iterator_traitsISK_E10value_typeET2_T3_PNSL_ISQ_E10value_typeET4_jRbjT5_SW_jjP12ihipStream_tbEUlT_E1_NS1_11comp_targetILNS1_3genE10ELNS1_11target_archE1201ELNS1_3gpuE5ELNS1_3repE0EEENS1_59segmented_radix_sort_warp_sort_small_config_static_selectorELNS0_4arch9wavefront6targetE0EEEvSK_.private_seg_size, 0+max(.L_ZN7rocprim17ROCPRIM_400000_NS6detail26segmented_warp_sort_helperINS1_20WarpSortHelperConfigILj8ELj4ELj256EEEblLi256ELb1EvE4sortIPKbPbPKlPlEEvT_T0_T1_T2_jjjjRNS5_12storage_typeE.private_seg_size)
	.set _ZN7rocprim17ROCPRIM_400000_NS6detail17trampoline_kernelINS0_14default_configENS1_36segmented_radix_sort_config_selectorIblEEZNS1_25segmented_radix_sort_implIS3_Lb1EPKbPbPKlPlN2at6native12_GLOBAL__N_18offset_tEEE10hipError_tPvRmT1_PNSt15iterator_traitsISK_E10value_typeET2_T3_PNSL_ISQ_E10value_typeET4_jRbjT5_SW_jjP12ihipStream_tbEUlT_E1_NS1_11comp_targetILNS1_3genE10ELNS1_11target_archE1201ELNS1_3gpuE5ELNS1_3repE0EEENS1_59segmented_radix_sort_warp_sort_small_config_static_selectorELNS0_4arch9wavefront6targetE0EEEvSK_.uses_vcc, or(1, .L_ZN7rocprim17ROCPRIM_400000_NS6detail26segmented_warp_sort_helperINS1_20WarpSortHelperConfigILj8ELj4ELj256EEEblLi256ELb1EvE4sortIPKbPbPKlPlEEvT_T0_T1_T2_jjjjRNS5_12storage_typeE.uses_vcc)
	.set _ZN7rocprim17ROCPRIM_400000_NS6detail17trampoline_kernelINS0_14default_configENS1_36segmented_radix_sort_config_selectorIblEEZNS1_25segmented_radix_sort_implIS3_Lb1EPKbPbPKlPlN2at6native12_GLOBAL__N_18offset_tEEE10hipError_tPvRmT1_PNSt15iterator_traitsISK_E10value_typeET2_T3_PNSL_ISQ_E10value_typeET4_jRbjT5_SW_jjP12ihipStream_tbEUlT_E1_NS1_11comp_targetILNS1_3genE10ELNS1_11target_archE1201ELNS1_3gpuE5ELNS1_3repE0EEENS1_59segmented_radix_sort_warp_sort_small_config_static_selectorELNS0_4arch9wavefront6targetE0EEEvSK_.uses_flat_scratch, or(0, .L_ZN7rocprim17ROCPRIM_400000_NS6detail26segmented_warp_sort_helperINS1_20WarpSortHelperConfigILj8ELj4ELj256EEEblLi256ELb1EvE4sortIPKbPbPKlPlEEvT_T0_T1_T2_jjjjRNS5_12storage_typeE.uses_flat_scratch)
	.set _ZN7rocprim17ROCPRIM_400000_NS6detail17trampoline_kernelINS0_14default_configENS1_36segmented_radix_sort_config_selectorIblEEZNS1_25segmented_radix_sort_implIS3_Lb1EPKbPbPKlPlN2at6native12_GLOBAL__N_18offset_tEEE10hipError_tPvRmT1_PNSt15iterator_traitsISK_E10value_typeET2_T3_PNSL_ISQ_E10value_typeET4_jRbjT5_SW_jjP12ihipStream_tbEUlT_E1_NS1_11comp_targetILNS1_3genE10ELNS1_11target_archE1201ELNS1_3gpuE5ELNS1_3repE0EEENS1_59segmented_radix_sort_warp_sort_small_config_static_selectorELNS0_4arch9wavefront6targetE0EEEvSK_.has_dyn_sized_stack, or(0, .L_ZN7rocprim17ROCPRIM_400000_NS6detail26segmented_warp_sort_helperINS1_20WarpSortHelperConfigILj8ELj4ELj256EEEblLi256ELb1EvE4sortIPKbPbPKlPlEEvT_T0_T1_T2_jjjjRNS5_12storage_typeE.has_dyn_sized_stack)
	.set _ZN7rocprim17ROCPRIM_400000_NS6detail17trampoline_kernelINS0_14default_configENS1_36segmented_radix_sort_config_selectorIblEEZNS1_25segmented_radix_sort_implIS3_Lb1EPKbPbPKlPlN2at6native12_GLOBAL__N_18offset_tEEE10hipError_tPvRmT1_PNSt15iterator_traitsISK_E10value_typeET2_T3_PNSL_ISQ_E10value_typeET4_jRbjT5_SW_jjP12ihipStream_tbEUlT_E1_NS1_11comp_targetILNS1_3genE10ELNS1_11target_archE1201ELNS1_3gpuE5ELNS1_3repE0EEENS1_59segmented_radix_sort_warp_sort_small_config_static_selectorELNS0_4arch9wavefront6targetE0EEEvSK_.has_recursion, or(0, .L_ZN7rocprim17ROCPRIM_400000_NS6detail26segmented_warp_sort_helperINS1_20WarpSortHelperConfigILj8ELj4ELj256EEEblLi256ELb1EvE4sortIPKbPbPKlPlEEvT_T0_T1_T2_jjjjRNS5_12storage_typeE.has_recursion)
	.set _ZN7rocprim17ROCPRIM_400000_NS6detail17trampoline_kernelINS0_14default_configENS1_36segmented_radix_sort_config_selectorIblEEZNS1_25segmented_radix_sort_implIS3_Lb1EPKbPbPKlPlN2at6native12_GLOBAL__N_18offset_tEEE10hipError_tPvRmT1_PNSt15iterator_traitsISK_E10value_typeET2_T3_PNSL_ISQ_E10value_typeET4_jRbjT5_SW_jjP12ihipStream_tbEUlT_E1_NS1_11comp_targetILNS1_3genE10ELNS1_11target_archE1201ELNS1_3gpuE5ELNS1_3repE0EEENS1_59segmented_radix_sort_warp_sort_small_config_static_selectorELNS0_4arch9wavefront6targetE0EEEvSK_.has_indirect_call, or(0, .L_ZN7rocprim17ROCPRIM_400000_NS6detail26segmented_warp_sort_helperINS1_20WarpSortHelperConfigILj8ELj4ELj256EEEblLi256ELb1EvE4sortIPKbPbPKlPlEEvT_T0_T1_T2_jjjjRNS5_12storage_typeE.has_indirect_call)
	.section	.AMDGPU.csdata,"",@progbits
; Kernel info:
; codeLenInByte = 536
; TotalNumSgprs: 35
; NumVgprs: 54
; ScratchSize: 12
; MemoryBound: 0
; FloatMode: 240
; IeeeMode: 1
; LDSByteSize: 9216 bytes/workgroup (compile time only)
; SGPRBlocks: 0
; VGPRBlocks: 6
; NumSGPRsForWavesPerEU: 35
; NumVGPRsForWavesPerEU: 54
; Occupancy: 16
; WaveLimiterHint : 0
; COMPUTE_PGM_RSRC2:SCRATCH_EN: 1
; COMPUTE_PGM_RSRC2:USER_SGPR: 2
; COMPUTE_PGM_RSRC2:TRAP_HANDLER: 0
; COMPUTE_PGM_RSRC2:TGID_X_EN: 1
; COMPUTE_PGM_RSRC2:TGID_Y_EN: 1
; COMPUTE_PGM_RSRC2:TGID_Z_EN: 0
; COMPUTE_PGM_RSRC2:TIDIG_COMP_CNT: 2
	.section	.text._ZN7rocprim17ROCPRIM_400000_NS6detail17trampoline_kernelINS0_14default_configENS1_36segmented_radix_sort_config_selectorIblEEZNS1_25segmented_radix_sort_implIS3_Lb1EPKbPbPKlPlN2at6native12_GLOBAL__N_18offset_tEEE10hipError_tPvRmT1_PNSt15iterator_traitsISK_E10value_typeET2_T3_PNSL_ISQ_E10value_typeET4_jRbjT5_SW_jjP12ihipStream_tbEUlT_E1_NS1_11comp_targetILNS1_3genE10ELNS1_11target_archE1200ELNS1_3gpuE4ELNS1_3repE0EEENS1_59segmented_radix_sort_warp_sort_small_config_static_selectorELNS0_4arch9wavefront6targetE0EEEvSK_,"axG",@progbits,_ZN7rocprim17ROCPRIM_400000_NS6detail17trampoline_kernelINS0_14default_configENS1_36segmented_radix_sort_config_selectorIblEEZNS1_25segmented_radix_sort_implIS3_Lb1EPKbPbPKlPlN2at6native12_GLOBAL__N_18offset_tEEE10hipError_tPvRmT1_PNSt15iterator_traitsISK_E10value_typeET2_T3_PNSL_ISQ_E10value_typeET4_jRbjT5_SW_jjP12ihipStream_tbEUlT_E1_NS1_11comp_targetILNS1_3genE10ELNS1_11target_archE1200ELNS1_3gpuE4ELNS1_3repE0EEENS1_59segmented_radix_sort_warp_sort_small_config_static_selectorELNS0_4arch9wavefront6targetE0EEEvSK_,comdat
	.globl	_ZN7rocprim17ROCPRIM_400000_NS6detail17trampoline_kernelINS0_14default_configENS1_36segmented_radix_sort_config_selectorIblEEZNS1_25segmented_radix_sort_implIS3_Lb1EPKbPbPKlPlN2at6native12_GLOBAL__N_18offset_tEEE10hipError_tPvRmT1_PNSt15iterator_traitsISK_E10value_typeET2_T3_PNSL_ISQ_E10value_typeET4_jRbjT5_SW_jjP12ihipStream_tbEUlT_E1_NS1_11comp_targetILNS1_3genE10ELNS1_11target_archE1200ELNS1_3gpuE4ELNS1_3repE0EEENS1_59segmented_radix_sort_warp_sort_small_config_static_selectorELNS0_4arch9wavefront6targetE0EEEvSK_ ; -- Begin function _ZN7rocprim17ROCPRIM_400000_NS6detail17trampoline_kernelINS0_14default_configENS1_36segmented_radix_sort_config_selectorIblEEZNS1_25segmented_radix_sort_implIS3_Lb1EPKbPbPKlPlN2at6native12_GLOBAL__N_18offset_tEEE10hipError_tPvRmT1_PNSt15iterator_traitsISK_E10value_typeET2_T3_PNSL_ISQ_E10value_typeET4_jRbjT5_SW_jjP12ihipStream_tbEUlT_E1_NS1_11comp_targetILNS1_3genE10ELNS1_11target_archE1200ELNS1_3gpuE4ELNS1_3repE0EEENS1_59segmented_radix_sort_warp_sort_small_config_static_selectorELNS0_4arch9wavefront6targetE0EEEvSK_
	.p2align	8
	.type	_ZN7rocprim17ROCPRIM_400000_NS6detail17trampoline_kernelINS0_14default_configENS1_36segmented_radix_sort_config_selectorIblEEZNS1_25segmented_radix_sort_implIS3_Lb1EPKbPbPKlPlN2at6native12_GLOBAL__N_18offset_tEEE10hipError_tPvRmT1_PNSt15iterator_traitsISK_E10value_typeET2_T3_PNSL_ISQ_E10value_typeET4_jRbjT5_SW_jjP12ihipStream_tbEUlT_E1_NS1_11comp_targetILNS1_3genE10ELNS1_11target_archE1200ELNS1_3gpuE4ELNS1_3repE0EEENS1_59segmented_radix_sort_warp_sort_small_config_static_selectorELNS0_4arch9wavefront6targetE0EEEvSK_,@function
_ZN7rocprim17ROCPRIM_400000_NS6detail17trampoline_kernelINS0_14default_configENS1_36segmented_radix_sort_config_selectorIblEEZNS1_25segmented_radix_sort_implIS3_Lb1EPKbPbPKlPlN2at6native12_GLOBAL__N_18offset_tEEE10hipError_tPvRmT1_PNSt15iterator_traitsISK_E10value_typeET2_T3_PNSL_ISQ_E10value_typeET4_jRbjT5_SW_jjP12ihipStream_tbEUlT_E1_NS1_11comp_targetILNS1_3genE10ELNS1_11target_archE1200ELNS1_3gpuE4ELNS1_3repE0EEENS1_59segmented_radix_sort_warp_sort_small_config_static_selectorELNS0_4arch9wavefront6targetE0EEEvSK_: ; @_ZN7rocprim17ROCPRIM_400000_NS6detail17trampoline_kernelINS0_14default_configENS1_36segmented_radix_sort_config_selectorIblEEZNS1_25segmented_radix_sort_implIS3_Lb1EPKbPbPKlPlN2at6native12_GLOBAL__N_18offset_tEEE10hipError_tPvRmT1_PNSt15iterator_traitsISK_E10value_typeET2_T3_PNSL_ISQ_E10value_typeET4_jRbjT5_SW_jjP12ihipStream_tbEUlT_E1_NS1_11comp_targetILNS1_3genE10ELNS1_11target_archE1200ELNS1_3gpuE4ELNS1_3repE0EEENS1_59segmented_radix_sort_warp_sort_small_config_static_selectorELNS0_4arch9wavefront6targetE0EEEvSK_
; %bb.0:
	.section	.rodata,"a",@progbits
	.p2align	6, 0x0
	.amdhsa_kernel _ZN7rocprim17ROCPRIM_400000_NS6detail17trampoline_kernelINS0_14default_configENS1_36segmented_radix_sort_config_selectorIblEEZNS1_25segmented_radix_sort_implIS3_Lb1EPKbPbPKlPlN2at6native12_GLOBAL__N_18offset_tEEE10hipError_tPvRmT1_PNSt15iterator_traitsISK_E10value_typeET2_T3_PNSL_ISQ_E10value_typeET4_jRbjT5_SW_jjP12ihipStream_tbEUlT_E1_NS1_11comp_targetILNS1_3genE10ELNS1_11target_archE1200ELNS1_3gpuE4ELNS1_3repE0EEENS1_59segmented_radix_sort_warp_sort_small_config_static_selectorELNS0_4arch9wavefront6targetE0EEEvSK_
		.amdhsa_group_segment_fixed_size 0
		.amdhsa_private_segment_fixed_size 0
		.amdhsa_kernarg_size 88
		.amdhsa_user_sgpr_count 2
		.amdhsa_user_sgpr_dispatch_ptr 0
		.amdhsa_user_sgpr_queue_ptr 0
		.amdhsa_user_sgpr_kernarg_segment_ptr 1
		.amdhsa_user_sgpr_dispatch_id 0
		.amdhsa_user_sgpr_private_segment_size 0
		.amdhsa_wavefront_size32 1
		.amdhsa_uses_dynamic_stack 0
		.amdhsa_enable_private_segment 0
		.amdhsa_system_sgpr_workgroup_id_x 1
		.amdhsa_system_sgpr_workgroup_id_y 0
		.amdhsa_system_sgpr_workgroup_id_z 0
		.amdhsa_system_sgpr_workgroup_info 0
		.amdhsa_system_vgpr_workitem_id 0
		.amdhsa_next_free_vgpr 1
		.amdhsa_next_free_sgpr 1
		.amdhsa_reserve_vcc 0
		.amdhsa_float_round_mode_32 0
		.amdhsa_float_round_mode_16_64 0
		.amdhsa_float_denorm_mode_32 3
		.amdhsa_float_denorm_mode_16_64 3
		.amdhsa_fp16_overflow 0
		.amdhsa_workgroup_processor_mode 1
		.amdhsa_memory_ordered 1
		.amdhsa_forward_progress 1
		.amdhsa_inst_pref_size 0
		.amdhsa_round_robin_scheduling 0
		.amdhsa_exception_fp_ieee_invalid_op 0
		.amdhsa_exception_fp_denorm_src 0
		.amdhsa_exception_fp_ieee_div_zero 0
		.amdhsa_exception_fp_ieee_overflow 0
		.amdhsa_exception_fp_ieee_underflow 0
		.amdhsa_exception_fp_ieee_inexact 0
		.amdhsa_exception_int_div_zero 0
	.end_amdhsa_kernel
	.section	.text._ZN7rocprim17ROCPRIM_400000_NS6detail17trampoline_kernelINS0_14default_configENS1_36segmented_radix_sort_config_selectorIblEEZNS1_25segmented_radix_sort_implIS3_Lb1EPKbPbPKlPlN2at6native12_GLOBAL__N_18offset_tEEE10hipError_tPvRmT1_PNSt15iterator_traitsISK_E10value_typeET2_T3_PNSL_ISQ_E10value_typeET4_jRbjT5_SW_jjP12ihipStream_tbEUlT_E1_NS1_11comp_targetILNS1_3genE10ELNS1_11target_archE1200ELNS1_3gpuE4ELNS1_3repE0EEENS1_59segmented_radix_sort_warp_sort_small_config_static_selectorELNS0_4arch9wavefront6targetE0EEEvSK_,"axG",@progbits,_ZN7rocprim17ROCPRIM_400000_NS6detail17trampoline_kernelINS0_14default_configENS1_36segmented_radix_sort_config_selectorIblEEZNS1_25segmented_radix_sort_implIS3_Lb1EPKbPbPKlPlN2at6native12_GLOBAL__N_18offset_tEEE10hipError_tPvRmT1_PNSt15iterator_traitsISK_E10value_typeET2_T3_PNSL_ISQ_E10value_typeET4_jRbjT5_SW_jjP12ihipStream_tbEUlT_E1_NS1_11comp_targetILNS1_3genE10ELNS1_11target_archE1200ELNS1_3gpuE4ELNS1_3repE0EEENS1_59segmented_radix_sort_warp_sort_small_config_static_selectorELNS0_4arch9wavefront6targetE0EEEvSK_,comdat
.Lfunc_end1559:
	.size	_ZN7rocprim17ROCPRIM_400000_NS6detail17trampoline_kernelINS0_14default_configENS1_36segmented_radix_sort_config_selectorIblEEZNS1_25segmented_radix_sort_implIS3_Lb1EPKbPbPKlPlN2at6native12_GLOBAL__N_18offset_tEEE10hipError_tPvRmT1_PNSt15iterator_traitsISK_E10value_typeET2_T3_PNSL_ISQ_E10value_typeET4_jRbjT5_SW_jjP12ihipStream_tbEUlT_E1_NS1_11comp_targetILNS1_3genE10ELNS1_11target_archE1200ELNS1_3gpuE4ELNS1_3repE0EEENS1_59segmented_radix_sort_warp_sort_small_config_static_selectorELNS0_4arch9wavefront6targetE0EEEvSK_, .Lfunc_end1559-_ZN7rocprim17ROCPRIM_400000_NS6detail17trampoline_kernelINS0_14default_configENS1_36segmented_radix_sort_config_selectorIblEEZNS1_25segmented_radix_sort_implIS3_Lb1EPKbPbPKlPlN2at6native12_GLOBAL__N_18offset_tEEE10hipError_tPvRmT1_PNSt15iterator_traitsISK_E10value_typeET2_T3_PNSL_ISQ_E10value_typeET4_jRbjT5_SW_jjP12ihipStream_tbEUlT_E1_NS1_11comp_targetILNS1_3genE10ELNS1_11target_archE1200ELNS1_3gpuE4ELNS1_3repE0EEENS1_59segmented_radix_sort_warp_sort_small_config_static_selectorELNS0_4arch9wavefront6targetE0EEEvSK_
                                        ; -- End function
	.set _ZN7rocprim17ROCPRIM_400000_NS6detail17trampoline_kernelINS0_14default_configENS1_36segmented_radix_sort_config_selectorIblEEZNS1_25segmented_radix_sort_implIS3_Lb1EPKbPbPKlPlN2at6native12_GLOBAL__N_18offset_tEEE10hipError_tPvRmT1_PNSt15iterator_traitsISK_E10value_typeET2_T3_PNSL_ISQ_E10value_typeET4_jRbjT5_SW_jjP12ihipStream_tbEUlT_E1_NS1_11comp_targetILNS1_3genE10ELNS1_11target_archE1200ELNS1_3gpuE4ELNS1_3repE0EEENS1_59segmented_radix_sort_warp_sort_small_config_static_selectorELNS0_4arch9wavefront6targetE0EEEvSK_.num_vgpr, 0
	.set _ZN7rocprim17ROCPRIM_400000_NS6detail17trampoline_kernelINS0_14default_configENS1_36segmented_radix_sort_config_selectorIblEEZNS1_25segmented_radix_sort_implIS3_Lb1EPKbPbPKlPlN2at6native12_GLOBAL__N_18offset_tEEE10hipError_tPvRmT1_PNSt15iterator_traitsISK_E10value_typeET2_T3_PNSL_ISQ_E10value_typeET4_jRbjT5_SW_jjP12ihipStream_tbEUlT_E1_NS1_11comp_targetILNS1_3genE10ELNS1_11target_archE1200ELNS1_3gpuE4ELNS1_3repE0EEENS1_59segmented_radix_sort_warp_sort_small_config_static_selectorELNS0_4arch9wavefront6targetE0EEEvSK_.num_agpr, 0
	.set _ZN7rocprim17ROCPRIM_400000_NS6detail17trampoline_kernelINS0_14default_configENS1_36segmented_radix_sort_config_selectorIblEEZNS1_25segmented_radix_sort_implIS3_Lb1EPKbPbPKlPlN2at6native12_GLOBAL__N_18offset_tEEE10hipError_tPvRmT1_PNSt15iterator_traitsISK_E10value_typeET2_T3_PNSL_ISQ_E10value_typeET4_jRbjT5_SW_jjP12ihipStream_tbEUlT_E1_NS1_11comp_targetILNS1_3genE10ELNS1_11target_archE1200ELNS1_3gpuE4ELNS1_3repE0EEENS1_59segmented_radix_sort_warp_sort_small_config_static_selectorELNS0_4arch9wavefront6targetE0EEEvSK_.numbered_sgpr, 0
	.set _ZN7rocprim17ROCPRIM_400000_NS6detail17trampoline_kernelINS0_14default_configENS1_36segmented_radix_sort_config_selectorIblEEZNS1_25segmented_radix_sort_implIS3_Lb1EPKbPbPKlPlN2at6native12_GLOBAL__N_18offset_tEEE10hipError_tPvRmT1_PNSt15iterator_traitsISK_E10value_typeET2_T3_PNSL_ISQ_E10value_typeET4_jRbjT5_SW_jjP12ihipStream_tbEUlT_E1_NS1_11comp_targetILNS1_3genE10ELNS1_11target_archE1200ELNS1_3gpuE4ELNS1_3repE0EEENS1_59segmented_radix_sort_warp_sort_small_config_static_selectorELNS0_4arch9wavefront6targetE0EEEvSK_.num_named_barrier, 0
	.set _ZN7rocprim17ROCPRIM_400000_NS6detail17trampoline_kernelINS0_14default_configENS1_36segmented_radix_sort_config_selectorIblEEZNS1_25segmented_radix_sort_implIS3_Lb1EPKbPbPKlPlN2at6native12_GLOBAL__N_18offset_tEEE10hipError_tPvRmT1_PNSt15iterator_traitsISK_E10value_typeET2_T3_PNSL_ISQ_E10value_typeET4_jRbjT5_SW_jjP12ihipStream_tbEUlT_E1_NS1_11comp_targetILNS1_3genE10ELNS1_11target_archE1200ELNS1_3gpuE4ELNS1_3repE0EEENS1_59segmented_radix_sort_warp_sort_small_config_static_selectorELNS0_4arch9wavefront6targetE0EEEvSK_.private_seg_size, 0
	.set _ZN7rocprim17ROCPRIM_400000_NS6detail17trampoline_kernelINS0_14default_configENS1_36segmented_radix_sort_config_selectorIblEEZNS1_25segmented_radix_sort_implIS3_Lb1EPKbPbPKlPlN2at6native12_GLOBAL__N_18offset_tEEE10hipError_tPvRmT1_PNSt15iterator_traitsISK_E10value_typeET2_T3_PNSL_ISQ_E10value_typeET4_jRbjT5_SW_jjP12ihipStream_tbEUlT_E1_NS1_11comp_targetILNS1_3genE10ELNS1_11target_archE1200ELNS1_3gpuE4ELNS1_3repE0EEENS1_59segmented_radix_sort_warp_sort_small_config_static_selectorELNS0_4arch9wavefront6targetE0EEEvSK_.uses_vcc, 0
	.set _ZN7rocprim17ROCPRIM_400000_NS6detail17trampoline_kernelINS0_14default_configENS1_36segmented_radix_sort_config_selectorIblEEZNS1_25segmented_radix_sort_implIS3_Lb1EPKbPbPKlPlN2at6native12_GLOBAL__N_18offset_tEEE10hipError_tPvRmT1_PNSt15iterator_traitsISK_E10value_typeET2_T3_PNSL_ISQ_E10value_typeET4_jRbjT5_SW_jjP12ihipStream_tbEUlT_E1_NS1_11comp_targetILNS1_3genE10ELNS1_11target_archE1200ELNS1_3gpuE4ELNS1_3repE0EEENS1_59segmented_radix_sort_warp_sort_small_config_static_selectorELNS0_4arch9wavefront6targetE0EEEvSK_.uses_flat_scratch, 0
	.set _ZN7rocprim17ROCPRIM_400000_NS6detail17trampoline_kernelINS0_14default_configENS1_36segmented_radix_sort_config_selectorIblEEZNS1_25segmented_radix_sort_implIS3_Lb1EPKbPbPKlPlN2at6native12_GLOBAL__N_18offset_tEEE10hipError_tPvRmT1_PNSt15iterator_traitsISK_E10value_typeET2_T3_PNSL_ISQ_E10value_typeET4_jRbjT5_SW_jjP12ihipStream_tbEUlT_E1_NS1_11comp_targetILNS1_3genE10ELNS1_11target_archE1200ELNS1_3gpuE4ELNS1_3repE0EEENS1_59segmented_radix_sort_warp_sort_small_config_static_selectorELNS0_4arch9wavefront6targetE0EEEvSK_.has_dyn_sized_stack, 0
	.set _ZN7rocprim17ROCPRIM_400000_NS6detail17trampoline_kernelINS0_14default_configENS1_36segmented_radix_sort_config_selectorIblEEZNS1_25segmented_radix_sort_implIS3_Lb1EPKbPbPKlPlN2at6native12_GLOBAL__N_18offset_tEEE10hipError_tPvRmT1_PNSt15iterator_traitsISK_E10value_typeET2_T3_PNSL_ISQ_E10value_typeET4_jRbjT5_SW_jjP12ihipStream_tbEUlT_E1_NS1_11comp_targetILNS1_3genE10ELNS1_11target_archE1200ELNS1_3gpuE4ELNS1_3repE0EEENS1_59segmented_radix_sort_warp_sort_small_config_static_selectorELNS0_4arch9wavefront6targetE0EEEvSK_.has_recursion, 0
	.set _ZN7rocprim17ROCPRIM_400000_NS6detail17trampoline_kernelINS0_14default_configENS1_36segmented_radix_sort_config_selectorIblEEZNS1_25segmented_radix_sort_implIS3_Lb1EPKbPbPKlPlN2at6native12_GLOBAL__N_18offset_tEEE10hipError_tPvRmT1_PNSt15iterator_traitsISK_E10value_typeET2_T3_PNSL_ISQ_E10value_typeET4_jRbjT5_SW_jjP12ihipStream_tbEUlT_E1_NS1_11comp_targetILNS1_3genE10ELNS1_11target_archE1200ELNS1_3gpuE4ELNS1_3repE0EEENS1_59segmented_radix_sort_warp_sort_small_config_static_selectorELNS0_4arch9wavefront6targetE0EEEvSK_.has_indirect_call, 0
	.section	.AMDGPU.csdata,"",@progbits
; Kernel info:
; codeLenInByte = 0
; TotalNumSgprs: 0
; NumVgprs: 0
; ScratchSize: 0
; MemoryBound: 0
; FloatMode: 240
; IeeeMode: 1
; LDSByteSize: 0 bytes/workgroup (compile time only)
; SGPRBlocks: 0
; VGPRBlocks: 0
; NumSGPRsForWavesPerEU: 1
; NumVGPRsForWavesPerEU: 1
; Occupancy: 16
; WaveLimiterHint : 0
; COMPUTE_PGM_RSRC2:SCRATCH_EN: 0
; COMPUTE_PGM_RSRC2:USER_SGPR: 2
; COMPUTE_PGM_RSRC2:TRAP_HANDLER: 0
; COMPUTE_PGM_RSRC2:TGID_X_EN: 1
; COMPUTE_PGM_RSRC2:TGID_Y_EN: 0
; COMPUTE_PGM_RSRC2:TGID_Z_EN: 0
; COMPUTE_PGM_RSRC2:TIDIG_COMP_CNT: 0
	.section	.text._ZN7rocprim17ROCPRIM_400000_NS6detail17trampoline_kernelINS0_14default_configENS1_36segmented_radix_sort_config_selectorIblEEZNS1_25segmented_radix_sort_implIS3_Lb1EPKbPbPKlPlN2at6native12_GLOBAL__N_18offset_tEEE10hipError_tPvRmT1_PNSt15iterator_traitsISK_E10value_typeET2_T3_PNSL_ISQ_E10value_typeET4_jRbjT5_SW_jjP12ihipStream_tbEUlT_E1_NS1_11comp_targetILNS1_3genE9ELNS1_11target_archE1100ELNS1_3gpuE3ELNS1_3repE0EEENS1_59segmented_radix_sort_warp_sort_small_config_static_selectorELNS0_4arch9wavefront6targetE0EEEvSK_,"axG",@progbits,_ZN7rocprim17ROCPRIM_400000_NS6detail17trampoline_kernelINS0_14default_configENS1_36segmented_radix_sort_config_selectorIblEEZNS1_25segmented_radix_sort_implIS3_Lb1EPKbPbPKlPlN2at6native12_GLOBAL__N_18offset_tEEE10hipError_tPvRmT1_PNSt15iterator_traitsISK_E10value_typeET2_T3_PNSL_ISQ_E10value_typeET4_jRbjT5_SW_jjP12ihipStream_tbEUlT_E1_NS1_11comp_targetILNS1_3genE9ELNS1_11target_archE1100ELNS1_3gpuE3ELNS1_3repE0EEENS1_59segmented_radix_sort_warp_sort_small_config_static_selectorELNS0_4arch9wavefront6targetE0EEEvSK_,comdat
	.globl	_ZN7rocprim17ROCPRIM_400000_NS6detail17trampoline_kernelINS0_14default_configENS1_36segmented_radix_sort_config_selectorIblEEZNS1_25segmented_radix_sort_implIS3_Lb1EPKbPbPKlPlN2at6native12_GLOBAL__N_18offset_tEEE10hipError_tPvRmT1_PNSt15iterator_traitsISK_E10value_typeET2_T3_PNSL_ISQ_E10value_typeET4_jRbjT5_SW_jjP12ihipStream_tbEUlT_E1_NS1_11comp_targetILNS1_3genE9ELNS1_11target_archE1100ELNS1_3gpuE3ELNS1_3repE0EEENS1_59segmented_radix_sort_warp_sort_small_config_static_selectorELNS0_4arch9wavefront6targetE0EEEvSK_ ; -- Begin function _ZN7rocprim17ROCPRIM_400000_NS6detail17trampoline_kernelINS0_14default_configENS1_36segmented_radix_sort_config_selectorIblEEZNS1_25segmented_radix_sort_implIS3_Lb1EPKbPbPKlPlN2at6native12_GLOBAL__N_18offset_tEEE10hipError_tPvRmT1_PNSt15iterator_traitsISK_E10value_typeET2_T3_PNSL_ISQ_E10value_typeET4_jRbjT5_SW_jjP12ihipStream_tbEUlT_E1_NS1_11comp_targetILNS1_3genE9ELNS1_11target_archE1100ELNS1_3gpuE3ELNS1_3repE0EEENS1_59segmented_radix_sort_warp_sort_small_config_static_selectorELNS0_4arch9wavefront6targetE0EEEvSK_
	.p2align	8
	.type	_ZN7rocprim17ROCPRIM_400000_NS6detail17trampoline_kernelINS0_14default_configENS1_36segmented_radix_sort_config_selectorIblEEZNS1_25segmented_radix_sort_implIS3_Lb1EPKbPbPKlPlN2at6native12_GLOBAL__N_18offset_tEEE10hipError_tPvRmT1_PNSt15iterator_traitsISK_E10value_typeET2_T3_PNSL_ISQ_E10value_typeET4_jRbjT5_SW_jjP12ihipStream_tbEUlT_E1_NS1_11comp_targetILNS1_3genE9ELNS1_11target_archE1100ELNS1_3gpuE3ELNS1_3repE0EEENS1_59segmented_radix_sort_warp_sort_small_config_static_selectorELNS0_4arch9wavefront6targetE0EEEvSK_,@function
_ZN7rocprim17ROCPRIM_400000_NS6detail17trampoline_kernelINS0_14default_configENS1_36segmented_radix_sort_config_selectorIblEEZNS1_25segmented_radix_sort_implIS3_Lb1EPKbPbPKlPlN2at6native12_GLOBAL__N_18offset_tEEE10hipError_tPvRmT1_PNSt15iterator_traitsISK_E10value_typeET2_T3_PNSL_ISQ_E10value_typeET4_jRbjT5_SW_jjP12ihipStream_tbEUlT_E1_NS1_11comp_targetILNS1_3genE9ELNS1_11target_archE1100ELNS1_3gpuE3ELNS1_3repE0EEENS1_59segmented_radix_sort_warp_sort_small_config_static_selectorELNS0_4arch9wavefront6targetE0EEEvSK_: ; @_ZN7rocprim17ROCPRIM_400000_NS6detail17trampoline_kernelINS0_14default_configENS1_36segmented_radix_sort_config_selectorIblEEZNS1_25segmented_radix_sort_implIS3_Lb1EPKbPbPKlPlN2at6native12_GLOBAL__N_18offset_tEEE10hipError_tPvRmT1_PNSt15iterator_traitsISK_E10value_typeET2_T3_PNSL_ISQ_E10value_typeET4_jRbjT5_SW_jjP12ihipStream_tbEUlT_E1_NS1_11comp_targetILNS1_3genE9ELNS1_11target_archE1100ELNS1_3gpuE3ELNS1_3repE0EEENS1_59segmented_radix_sort_warp_sort_small_config_static_selectorELNS0_4arch9wavefront6targetE0EEEvSK_
; %bb.0:
	.section	.rodata,"a",@progbits
	.p2align	6, 0x0
	.amdhsa_kernel _ZN7rocprim17ROCPRIM_400000_NS6detail17trampoline_kernelINS0_14default_configENS1_36segmented_radix_sort_config_selectorIblEEZNS1_25segmented_radix_sort_implIS3_Lb1EPKbPbPKlPlN2at6native12_GLOBAL__N_18offset_tEEE10hipError_tPvRmT1_PNSt15iterator_traitsISK_E10value_typeET2_T3_PNSL_ISQ_E10value_typeET4_jRbjT5_SW_jjP12ihipStream_tbEUlT_E1_NS1_11comp_targetILNS1_3genE9ELNS1_11target_archE1100ELNS1_3gpuE3ELNS1_3repE0EEENS1_59segmented_radix_sort_warp_sort_small_config_static_selectorELNS0_4arch9wavefront6targetE0EEEvSK_
		.amdhsa_group_segment_fixed_size 0
		.amdhsa_private_segment_fixed_size 0
		.amdhsa_kernarg_size 88
		.amdhsa_user_sgpr_count 2
		.amdhsa_user_sgpr_dispatch_ptr 0
		.amdhsa_user_sgpr_queue_ptr 0
		.amdhsa_user_sgpr_kernarg_segment_ptr 1
		.amdhsa_user_sgpr_dispatch_id 0
		.amdhsa_user_sgpr_private_segment_size 0
		.amdhsa_wavefront_size32 1
		.amdhsa_uses_dynamic_stack 0
		.amdhsa_enable_private_segment 0
		.amdhsa_system_sgpr_workgroup_id_x 1
		.amdhsa_system_sgpr_workgroup_id_y 0
		.amdhsa_system_sgpr_workgroup_id_z 0
		.amdhsa_system_sgpr_workgroup_info 0
		.amdhsa_system_vgpr_workitem_id 0
		.amdhsa_next_free_vgpr 1
		.amdhsa_next_free_sgpr 1
		.amdhsa_reserve_vcc 0
		.amdhsa_float_round_mode_32 0
		.amdhsa_float_round_mode_16_64 0
		.amdhsa_float_denorm_mode_32 3
		.amdhsa_float_denorm_mode_16_64 3
		.amdhsa_fp16_overflow 0
		.amdhsa_workgroup_processor_mode 1
		.amdhsa_memory_ordered 1
		.amdhsa_forward_progress 1
		.amdhsa_inst_pref_size 0
		.amdhsa_round_robin_scheduling 0
		.amdhsa_exception_fp_ieee_invalid_op 0
		.amdhsa_exception_fp_denorm_src 0
		.amdhsa_exception_fp_ieee_div_zero 0
		.amdhsa_exception_fp_ieee_overflow 0
		.amdhsa_exception_fp_ieee_underflow 0
		.amdhsa_exception_fp_ieee_inexact 0
		.amdhsa_exception_int_div_zero 0
	.end_amdhsa_kernel
	.section	.text._ZN7rocprim17ROCPRIM_400000_NS6detail17trampoline_kernelINS0_14default_configENS1_36segmented_radix_sort_config_selectorIblEEZNS1_25segmented_radix_sort_implIS3_Lb1EPKbPbPKlPlN2at6native12_GLOBAL__N_18offset_tEEE10hipError_tPvRmT1_PNSt15iterator_traitsISK_E10value_typeET2_T3_PNSL_ISQ_E10value_typeET4_jRbjT5_SW_jjP12ihipStream_tbEUlT_E1_NS1_11comp_targetILNS1_3genE9ELNS1_11target_archE1100ELNS1_3gpuE3ELNS1_3repE0EEENS1_59segmented_radix_sort_warp_sort_small_config_static_selectorELNS0_4arch9wavefront6targetE0EEEvSK_,"axG",@progbits,_ZN7rocprim17ROCPRIM_400000_NS6detail17trampoline_kernelINS0_14default_configENS1_36segmented_radix_sort_config_selectorIblEEZNS1_25segmented_radix_sort_implIS3_Lb1EPKbPbPKlPlN2at6native12_GLOBAL__N_18offset_tEEE10hipError_tPvRmT1_PNSt15iterator_traitsISK_E10value_typeET2_T3_PNSL_ISQ_E10value_typeET4_jRbjT5_SW_jjP12ihipStream_tbEUlT_E1_NS1_11comp_targetILNS1_3genE9ELNS1_11target_archE1100ELNS1_3gpuE3ELNS1_3repE0EEENS1_59segmented_radix_sort_warp_sort_small_config_static_selectorELNS0_4arch9wavefront6targetE0EEEvSK_,comdat
.Lfunc_end1560:
	.size	_ZN7rocprim17ROCPRIM_400000_NS6detail17trampoline_kernelINS0_14default_configENS1_36segmented_radix_sort_config_selectorIblEEZNS1_25segmented_radix_sort_implIS3_Lb1EPKbPbPKlPlN2at6native12_GLOBAL__N_18offset_tEEE10hipError_tPvRmT1_PNSt15iterator_traitsISK_E10value_typeET2_T3_PNSL_ISQ_E10value_typeET4_jRbjT5_SW_jjP12ihipStream_tbEUlT_E1_NS1_11comp_targetILNS1_3genE9ELNS1_11target_archE1100ELNS1_3gpuE3ELNS1_3repE0EEENS1_59segmented_radix_sort_warp_sort_small_config_static_selectorELNS0_4arch9wavefront6targetE0EEEvSK_, .Lfunc_end1560-_ZN7rocprim17ROCPRIM_400000_NS6detail17trampoline_kernelINS0_14default_configENS1_36segmented_radix_sort_config_selectorIblEEZNS1_25segmented_radix_sort_implIS3_Lb1EPKbPbPKlPlN2at6native12_GLOBAL__N_18offset_tEEE10hipError_tPvRmT1_PNSt15iterator_traitsISK_E10value_typeET2_T3_PNSL_ISQ_E10value_typeET4_jRbjT5_SW_jjP12ihipStream_tbEUlT_E1_NS1_11comp_targetILNS1_3genE9ELNS1_11target_archE1100ELNS1_3gpuE3ELNS1_3repE0EEENS1_59segmented_radix_sort_warp_sort_small_config_static_selectorELNS0_4arch9wavefront6targetE0EEEvSK_
                                        ; -- End function
	.set _ZN7rocprim17ROCPRIM_400000_NS6detail17trampoline_kernelINS0_14default_configENS1_36segmented_radix_sort_config_selectorIblEEZNS1_25segmented_radix_sort_implIS3_Lb1EPKbPbPKlPlN2at6native12_GLOBAL__N_18offset_tEEE10hipError_tPvRmT1_PNSt15iterator_traitsISK_E10value_typeET2_T3_PNSL_ISQ_E10value_typeET4_jRbjT5_SW_jjP12ihipStream_tbEUlT_E1_NS1_11comp_targetILNS1_3genE9ELNS1_11target_archE1100ELNS1_3gpuE3ELNS1_3repE0EEENS1_59segmented_radix_sort_warp_sort_small_config_static_selectorELNS0_4arch9wavefront6targetE0EEEvSK_.num_vgpr, 0
	.set _ZN7rocprim17ROCPRIM_400000_NS6detail17trampoline_kernelINS0_14default_configENS1_36segmented_radix_sort_config_selectorIblEEZNS1_25segmented_radix_sort_implIS3_Lb1EPKbPbPKlPlN2at6native12_GLOBAL__N_18offset_tEEE10hipError_tPvRmT1_PNSt15iterator_traitsISK_E10value_typeET2_T3_PNSL_ISQ_E10value_typeET4_jRbjT5_SW_jjP12ihipStream_tbEUlT_E1_NS1_11comp_targetILNS1_3genE9ELNS1_11target_archE1100ELNS1_3gpuE3ELNS1_3repE0EEENS1_59segmented_radix_sort_warp_sort_small_config_static_selectorELNS0_4arch9wavefront6targetE0EEEvSK_.num_agpr, 0
	.set _ZN7rocprim17ROCPRIM_400000_NS6detail17trampoline_kernelINS0_14default_configENS1_36segmented_radix_sort_config_selectorIblEEZNS1_25segmented_radix_sort_implIS3_Lb1EPKbPbPKlPlN2at6native12_GLOBAL__N_18offset_tEEE10hipError_tPvRmT1_PNSt15iterator_traitsISK_E10value_typeET2_T3_PNSL_ISQ_E10value_typeET4_jRbjT5_SW_jjP12ihipStream_tbEUlT_E1_NS1_11comp_targetILNS1_3genE9ELNS1_11target_archE1100ELNS1_3gpuE3ELNS1_3repE0EEENS1_59segmented_radix_sort_warp_sort_small_config_static_selectorELNS0_4arch9wavefront6targetE0EEEvSK_.numbered_sgpr, 0
	.set _ZN7rocprim17ROCPRIM_400000_NS6detail17trampoline_kernelINS0_14default_configENS1_36segmented_radix_sort_config_selectorIblEEZNS1_25segmented_radix_sort_implIS3_Lb1EPKbPbPKlPlN2at6native12_GLOBAL__N_18offset_tEEE10hipError_tPvRmT1_PNSt15iterator_traitsISK_E10value_typeET2_T3_PNSL_ISQ_E10value_typeET4_jRbjT5_SW_jjP12ihipStream_tbEUlT_E1_NS1_11comp_targetILNS1_3genE9ELNS1_11target_archE1100ELNS1_3gpuE3ELNS1_3repE0EEENS1_59segmented_radix_sort_warp_sort_small_config_static_selectorELNS0_4arch9wavefront6targetE0EEEvSK_.num_named_barrier, 0
	.set _ZN7rocprim17ROCPRIM_400000_NS6detail17trampoline_kernelINS0_14default_configENS1_36segmented_radix_sort_config_selectorIblEEZNS1_25segmented_radix_sort_implIS3_Lb1EPKbPbPKlPlN2at6native12_GLOBAL__N_18offset_tEEE10hipError_tPvRmT1_PNSt15iterator_traitsISK_E10value_typeET2_T3_PNSL_ISQ_E10value_typeET4_jRbjT5_SW_jjP12ihipStream_tbEUlT_E1_NS1_11comp_targetILNS1_3genE9ELNS1_11target_archE1100ELNS1_3gpuE3ELNS1_3repE0EEENS1_59segmented_radix_sort_warp_sort_small_config_static_selectorELNS0_4arch9wavefront6targetE0EEEvSK_.private_seg_size, 0
	.set _ZN7rocprim17ROCPRIM_400000_NS6detail17trampoline_kernelINS0_14default_configENS1_36segmented_radix_sort_config_selectorIblEEZNS1_25segmented_radix_sort_implIS3_Lb1EPKbPbPKlPlN2at6native12_GLOBAL__N_18offset_tEEE10hipError_tPvRmT1_PNSt15iterator_traitsISK_E10value_typeET2_T3_PNSL_ISQ_E10value_typeET4_jRbjT5_SW_jjP12ihipStream_tbEUlT_E1_NS1_11comp_targetILNS1_3genE9ELNS1_11target_archE1100ELNS1_3gpuE3ELNS1_3repE0EEENS1_59segmented_radix_sort_warp_sort_small_config_static_selectorELNS0_4arch9wavefront6targetE0EEEvSK_.uses_vcc, 0
	.set _ZN7rocprim17ROCPRIM_400000_NS6detail17trampoline_kernelINS0_14default_configENS1_36segmented_radix_sort_config_selectorIblEEZNS1_25segmented_radix_sort_implIS3_Lb1EPKbPbPKlPlN2at6native12_GLOBAL__N_18offset_tEEE10hipError_tPvRmT1_PNSt15iterator_traitsISK_E10value_typeET2_T3_PNSL_ISQ_E10value_typeET4_jRbjT5_SW_jjP12ihipStream_tbEUlT_E1_NS1_11comp_targetILNS1_3genE9ELNS1_11target_archE1100ELNS1_3gpuE3ELNS1_3repE0EEENS1_59segmented_radix_sort_warp_sort_small_config_static_selectorELNS0_4arch9wavefront6targetE0EEEvSK_.uses_flat_scratch, 0
	.set _ZN7rocprim17ROCPRIM_400000_NS6detail17trampoline_kernelINS0_14default_configENS1_36segmented_radix_sort_config_selectorIblEEZNS1_25segmented_radix_sort_implIS3_Lb1EPKbPbPKlPlN2at6native12_GLOBAL__N_18offset_tEEE10hipError_tPvRmT1_PNSt15iterator_traitsISK_E10value_typeET2_T3_PNSL_ISQ_E10value_typeET4_jRbjT5_SW_jjP12ihipStream_tbEUlT_E1_NS1_11comp_targetILNS1_3genE9ELNS1_11target_archE1100ELNS1_3gpuE3ELNS1_3repE0EEENS1_59segmented_radix_sort_warp_sort_small_config_static_selectorELNS0_4arch9wavefront6targetE0EEEvSK_.has_dyn_sized_stack, 0
	.set _ZN7rocprim17ROCPRIM_400000_NS6detail17trampoline_kernelINS0_14default_configENS1_36segmented_radix_sort_config_selectorIblEEZNS1_25segmented_radix_sort_implIS3_Lb1EPKbPbPKlPlN2at6native12_GLOBAL__N_18offset_tEEE10hipError_tPvRmT1_PNSt15iterator_traitsISK_E10value_typeET2_T3_PNSL_ISQ_E10value_typeET4_jRbjT5_SW_jjP12ihipStream_tbEUlT_E1_NS1_11comp_targetILNS1_3genE9ELNS1_11target_archE1100ELNS1_3gpuE3ELNS1_3repE0EEENS1_59segmented_radix_sort_warp_sort_small_config_static_selectorELNS0_4arch9wavefront6targetE0EEEvSK_.has_recursion, 0
	.set _ZN7rocprim17ROCPRIM_400000_NS6detail17trampoline_kernelINS0_14default_configENS1_36segmented_radix_sort_config_selectorIblEEZNS1_25segmented_radix_sort_implIS3_Lb1EPKbPbPKlPlN2at6native12_GLOBAL__N_18offset_tEEE10hipError_tPvRmT1_PNSt15iterator_traitsISK_E10value_typeET2_T3_PNSL_ISQ_E10value_typeET4_jRbjT5_SW_jjP12ihipStream_tbEUlT_E1_NS1_11comp_targetILNS1_3genE9ELNS1_11target_archE1100ELNS1_3gpuE3ELNS1_3repE0EEENS1_59segmented_radix_sort_warp_sort_small_config_static_selectorELNS0_4arch9wavefront6targetE0EEEvSK_.has_indirect_call, 0
	.section	.AMDGPU.csdata,"",@progbits
; Kernel info:
; codeLenInByte = 0
; TotalNumSgprs: 0
; NumVgprs: 0
; ScratchSize: 0
; MemoryBound: 0
; FloatMode: 240
; IeeeMode: 1
; LDSByteSize: 0 bytes/workgroup (compile time only)
; SGPRBlocks: 0
; VGPRBlocks: 0
; NumSGPRsForWavesPerEU: 1
; NumVGPRsForWavesPerEU: 1
; Occupancy: 16
; WaveLimiterHint : 0
; COMPUTE_PGM_RSRC2:SCRATCH_EN: 0
; COMPUTE_PGM_RSRC2:USER_SGPR: 2
; COMPUTE_PGM_RSRC2:TRAP_HANDLER: 0
; COMPUTE_PGM_RSRC2:TGID_X_EN: 1
; COMPUTE_PGM_RSRC2:TGID_Y_EN: 0
; COMPUTE_PGM_RSRC2:TGID_Z_EN: 0
; COMPUTE_PGM_RSRC2:TIDIG_COMP_CNT: 0
	.section	.text._ZN7rocprim17ROCPRIM_400000_NS6detail17trampoline_kernelINS0_14default_configENS1_36segmented_radix_sort_config_selectorIblEEZNS1_25segmented_radix_sort_implIS3_Lb1EPKbPbPKlPlN2at6native12_GLOBAL__N_18offset_tEEE10hipError_tPvRmT1_PNSt15iterator_traitsISK_E10value_typeET2_T3_PNSL_ISQ_E10value_typeET4_jRbjT5_SW_jjP12ihipStream_tbEUlT_E1_NS1_11comp_targetILNS1_3genE8ELNS1_11target_archE1030ELNS1_3gpuE2ELNS1_3repE0EEENS1_59segmented_radix_sort_warp_sort_small_config_static_selectorELNS0_4arch9wavefront6targetE0EEEvSK_,"axG",@progbits,_ZN7rocprim17ROCPRIM_400000_NS6detail17trampoline_kernelINS0_14default_configENS1_36segmented_radix_sort_config_selectorIblEEZNS1_25segmented_radix_sort_implIS3_Lb1EPKbPbPKlPlN2at6native12_GLOBAL__N_18offset_tEEE10hipError_tPvRmT1_PNSt15iterator_traitsISK_E10value_typeET2_T3_PNSL_ISQ_E10value_typeET4_jRbjT5_SW_jjP12ihipStream_tbEUlT_E1_NS1_11comp_targetILNS1_3genE8ELNS1_11target_archE1030ELNS1_3gpuE2ELNS1_3repE0EEENS1_59segmented_radix_sort_warp_sort_small_config_static_selectorELNS0_4arch9wavefront6targetE0EEEvSK_,comdat
	.globl	_ZN7rocprim17ROCPRIM_400000_NS6detail17trampoline_kernelINS0_14default_configENS1_36segmented_radix_sort_config_selectorIblEEZNS1_25segmented_radix_sort_implIS3_Lb1EPKbPbPKlPlN2at6native12_GLOBAL__N_18offset_tEEE10hipError_tPvRmT1_PNSt15iterator_traitsISK_E10value_typeET2_T3_PNSL_ISQ_E10value_typeET4_jRbjT5_SW_jjP12ihipStream_tbEUlT_E1_NS1_11comp_targetILNS1_3genE8ELNS1_11target_archE1030ELNS1_3gpuE2ELNS1_3repE0EEENS1_59segmented_radix_sort_warp_sort_small_config_static_selectorELNS0_4arch9wavefront6targetE0EEEvSK_ ; -- Begin function _ZN7rocprim17ROCPRIM_400000_NS6detail17trampoline_kernelINS0_14default_configENS1_36segmented_radix_sort_config_selectorIblEEZNS1_25segmented_radix_sort_implIS3_Lb1EPKbPbPKlPlN2at6native12_GLOBAL__N_18offset_tEEE10hipError_tPvRmT1_PNSt15iterator_traitsISK_E10value_typeET2_T3_PNSL_ISQ_E10value_typeET4_jRbjT5_SW_jjP12ihipStream_tbEUlT_E1_NS1_11comp_targetILNS1_3genE8ELNS1_11target_archE1030ELNS1_3gpuE2ELNS1_3repE0EEENS1_59segmented_radix_sort_warp_sort_small_config_static_selectorELNS0_4arch9wavefront6targetE0EEEvSK_
	.p2align	8
	.type	_ZN7rocprim17ROCPRIM_400000_NS6detail17trampoline_kernelINS0_14default_configENS1_36segmented_radix_sort_config_selectorIblEEZNS1_25segmented_radix_sort_implIS3_Lb1EPKbPbPKlPlN2at6native12_GLOBAL__N_18offset_tEEE10hipError_tPvRmT1_PNSt15iterator_traitsISK_E10value_typeET2_T3_PNSL_ISQ_E10value_typeET4_jRbjT5_SW_jjP12ihipStream_tbEUlT_E1_NS1_11comp_targetILNS1_3genE8ELNS1_11target_archE1030ELNS1_3gpuE2ELNS1_3repE0EEENS1_59segmented_radix_sort_warp_sort_small_config_static_selectorELNS0_4arch9wavefront6targetE0EEEvSK_,@function
_ZN7rocprim17ROCPRIM_400000_NS6detail17trampoline_kernelINS0_14default_configENS1_36segmented_radix_sort_config_selectorIblEEZNS1_25segmented_radix_sort_implIS3_Lb1EPKbPbPKlPlN2at6native12_GLOBAL__N_18offset_tEEE10hipError_tPvRmT1_PNSt15iterator_traitsISK_E10value_typeET2_T3_PNSL_ISQ_E10value_typeET4_jRbjT5_SW_jjP12ihipStream_tbEUlT_E1_NS1_11comp_targetILNS1_3genE8ELNS1_11target_archE1030ELNS1_3gpuE2ELNS1_3repE0EEENS1_59segmented_radix_sort_warp_sort_small_config_static_selectorELNS0_4arch9wavefront6targetE0EEEvSK_: ; @_ZN7rocprim17ROCPRIM_400000_NS6detail17trampoline_kernelINS0_14default_configENS1_36segmented_radix_sort_config_selectorIblEEZNS1_25segmented_radix_sort_implIS3_Lb1EPKbPbPKlPlN2at6native12_GLOBAL__N_18offset_tEEE10hipError_tPvRmT1_PNSt15iterator_traitsISK_E10value_typeET2_T3_PNSL_ISQ_E10value_typeET4_jRbjT5_SW_jjP12ihipStream_tbEUlT_E1_NS1_11comp_targetILNS1_3genE8ELNS1_11target_archE1030ELNS1_3gpuE2ELNS1_3repE0EEENS1_59segmented_radix_sort_warp_sort_small_config_static_selectorELNS0_4arch9wavefront6targetE0EEEvSK_
; %bb.0:
	.section	.rodata,"a",@progbits
	.p2align	6, 0x0
	.amdhsa_kernel _ZN7rocprim17ROCPRIM_400000_NS6detail17trampoline_kernelINS0_14default_configENS1_36segmented_radix_sort_config_selectorIblEEZNS1_25segmented_radix_sort_implIS3_Lb1EPKbPbPKlPlN2at6native12_GLOBAL__N_18offset_tEEE10hipError_tPvRmT1_PNSt15iterator_traitsISK_E10value_typeET2_T3_PNSL_ISQ_E10value_typeET4_jRbjT5_SW_jjP12ihipStream_tbEUlT_E1_NS1_11comp_targetILNS1_3genE8ELNS1_11target_archE1030ELNS1_3gpuE2ELNS1_3repE0EEENS1_59segmented_radix_sort_warp_sort_small_config_static_selectorELNS0_4arch9wavefront6targetE0EEEvSK_
		.amdhsa_group_segment_fixed_size 0
		.amdhsa_private_segment_fixed_size 0
		.amdhsa_kernarg_size 88
		.amdhsa_user_sgpr_count 2
		.amdhsa_user_sgpr_dispatch_ptr 0
		.amdhsa_user_sgpr_queue_ptr 0
		.amdhsa_user_sgpr_kernarg_segment_ptr 1
		.amdhsa_user_sgpr_dispatch_id 0
		.amdhsa_user_sgpr_private_segment_size 0
		.amdhsa_wavefront_size32 1
		.amdhsa_uses_dynamic_stack 0
		.amdhsa_enable_private_segment 0
		.amdhsa_system_sgpr_workgroup_id_x 1
		.amdhsa_system_sgpr_workgroup_id_y 0
		.amdhsa_system_sgpr_workgroup_id_z 0
		.amdhsa_system_sgpr_workgroup_info 0
		.amdhsa_system_vgpr_workitem_id 0
		.amdhsa_next_free_vgpr 1
		.amdhsa_next_free_sgpr 1
		.amdhsa_reserve_vcc 0
		.amdhsa_float_round_mode_32 0
		.amdhsa_float_round_mode_16_64 0
		.amdhsa_float_denorm_mode_32 3
		.amdhsa_float_denorm_mode_16_64 3
		.amdhsa_fp16_overflow 0
		.amdhsa_workgroup_processor_mode 1
		.amdhsa_memory_ordered 1
		.amdhsa_forward_progress 1
		.amdhsa_inst_pref_size 0
		.amdhsa_round_robin_scheduling 0
		.amdhsa_exception_fp_ieee_invalid_op 0
		.amdhsa_exception_fp_denorm_src 0
		.amdhsa_exception_fp_ieee_div_zero 0
		.amdhsa_exception_fp_ieee_overflow 0
		.amdhsa_exception_fp_ieee_underflow 0
		.amdhsa_exception_fp_ieee_inexact 0
		.amdhsa_exception_int_div_zero 0
	.end_amdhsa_kernel
	.section	.text._ZN7rocprim17ROCPRIM_400000_NS6detail17trampoline_kernelINS0_14default_configENS1_36segmented_radix_sort_config_selectorIblEEZNS1_25segmented_radix_sort_implIS3_Lb1EPKbPbPKlPlN2at6native12_GLOBAL__N_18offset_tEEE10hipError_tPvRmT1_PNSt15iterator_traitsISK_E10value_typeET2_T3_PNSL_ISQ_E10value_typeET4_jRbjT5_SW_jjP12ihipStream_tbEUlT_E1_NS1_11comp_targetILNS1_3genE8ELNS1_11target_archE1030ELNS1_3gpuE2ELNS1_3repE0EEENS1_59segmented_radix_sort_warp_sort_small_config_static_selectorELNS0_4arch9wavefront6targetE0EEEvSK_,"axG",@progbits,_ZN7rocprim17ROCPRIM_400000_NS6detail17trampoline_kernelINS0_14default_configENS1_36segmented_radix_sort_config_selectorIblEEZNS1_25segmented_radix_sort_implIS3_Lb1EPKbPbPKlPlN2at6native12_GLOBAL__N_18offset_tEEE10hipError_tPvRmT1_PNSt15iterator_traitsISK_E10value_typeET2_T3_PNSL_ISQ_E10value_typeET4_jRbjT5_SW_jjP12ihipStream_tbEUlT_E1_NS1_11comp_targetILNS1_3genE8ELNS1_11target_archE1030ELNS1_3gpuE2ELNS1_3repE0EEENS1_59segmented_radix_sort_warp_sort_small_config_static_selectorELNS0_4arch9wavefront6targetE0EEEvSK_,comdat
.Lfunc_end1561:
	.size	_ZN7rocprim17ROCPRIM_400000_NS6detail17trampoline_kernelINS0_14default_configENS1_36segmented_radix_sort_config_selectorIblEEZNS1_25segmented_radix_sort_implIS3_Lb1EPKbPbPKlPlN2at6native12_GLOBAL__N_18offset_tEEE10hipError_tPvRmT1_PNSt15iterator_traitsISK_E10value_typeET2_T3_PNSL_ISQ_E10value_typeET4_jRbjT5_SW_jjP12ihipStream_tbEUlT_E1_NS1_11comp_targetILNS1_3genE8ELNS1_11target_archE1030ELNS1_3gpuE2ELNS1_3repE0EEENS1_59segmented_radix_sort_warp_sort_small_config_static_selectorELNS0_4arch9wavefront6targetE0EEEvSK_, .Lfunc_end1561-_ZN7rocprim17ROCPRIM_400000_NS6detail17trampoline_kernelINS0_14default_configENS1_36segmented_radix_sort_config_selectorIblEEZNS1_25segmented_radix_sort_implIS3_Lb1EPKbPbPKlPlN2at6native12_GLOBAL__N_18offset_tEEE10hipError_tPvRmT1_PNSt15iterator_traitsISK_E10value_typeET2_T3_PNSL_ISQ_E10value_typeET4_jRbjT5_SW_jjP12ihipStream_tbEUlT_E1_NS1_11comp_targetILNS1_3genE8ELNS1_11target_archE1030ELNS1_3gpuE2ELNS1_3repE0EEENS1_59segmented_radix_sort_warp_sort_small_config_static_selectorELNS0_4arch9wavefront6targetE0EEEvSK_
                                        ; -- End function
	.set _ZN7rocprim17ROCPRIM_400000_NS6detail17trampoline_kernelINS0_14default_configENS1_36segmented_radix_sort_config_selectorIblEEZNS1_25segmented_radix_sort_implIS3_Lb1EPKbPbPKlPlN2at6native12_GLOBAL__N_18offset_tEEE10hipError_tPvRmT1_PNSt15iterator_traitsISK_E10value_typeET2_T3_PNSL_ISQ_E10value_typeET4_jRbjT5_SW_jjP12ihipStream_tbEUlT_E1_NS1_11comp_targetILNS1_3genE8ELNS1_11target_archE1030ELNS1_3gpuE2ELNS1_3repE0EEENS1_59segmented_radix_sort_warp_sort_small_config_static_selectorELNS0_4arch9wavefront6targetE0EEEvSK_.num_vgpr, 0
	.set _ZN7rocprim17ROCPRIM_400000_NS6detail17trampoline_kernelINS0_14default_configENS1_36segmented_radix_sort_config_selectorIblEEZNS1_25segmented_radix_sort_implIS3_Lb1EPKbPbPKlPlN2at6native12_GLOBAL__N_18offset_tEEE10hipError_tPvRmT1_PNSt15iterator_traitsISK_E10value_typeET2_T3_PNSL_ISQ_E10value_typeET4_jRbjT5_SW_jjP12ihipStream_tbEUlT_E1_NS1_11comp_targetILNS1_3genE8ELNS1_11target_archE1030ELNS1_3gpuE2ELNS1_3repE0EEENS1_59segmented_radix_sort_warp_sort_small_config_static_selectorELNS0_4arch9wavefront6targetE0EEEvSK_.num_agpr, 0
	.set _ZN7rocprim17ROCPRIM_400000_NS6detail17trampoline_kernelINS0_14default_configENS1_36segmented_radix_sort_config_selectorIblEEZNS1_25segmented_radix_sort_implIS3_Lb1EPKbPbPKlPlN2at6native12_GLOBAL__N_18offset_tEEE10hipError_tPvRmT1_PNSt15iterator_traitsISK_E10value_typeET2_T3_PNSL_ISQ_E10value_typeET4_jRbjT5_SW_jjP12ihipStream_tbEUlT_E1_NS1_11comp_targetILNS1_3genE8ELNS1_11target_archE1030ELNS1_3gpuE2ELNS1_3repE0EEENS1_59segmented_radix_sort_warp_sort_small_config_static_selectorELNS0_4arch9wavefront6targetE0EEEvSK_.numbered_sgpr, 0
	.set _ZN7rocprim17ROCPRIM_400000_NS6detail17trampoline_kernelINS0_14default_configENS1_36segmented_radix_sort_config_selectorIblEEZNS1_25segmented_radix_sort_implIS3_Lb1EPKbPbPKlPlN2at6native12_GLOBAL__N_18offset_tEEE10hipError_tPvRmT1_PNSt15iterator_traitsISK_E10value_typeET2_T3_PNSL_ISQ_E10value_typeET4_jRbjT5_SW_jjP12ihipStream_tbEUlT_E1_NS1_11comp_targetILNS1_3genE8ELNS1_11target_archE1030ELNS1_3gpuE2ELNS1_3repE0EEENS1_59segmented_radix_sort_warp_sort_small_config_static_selectorELNS0_4arch9wavefront6targetE0EEEvSK_.num_named_barrier, 0
	.set _ZN7rocprim17ROCPRIM_400000_NS6detail17trampoline_kernelINS0_14default_configENS1_36segmented_radix_sort_config_selectorIblEEZNS1_25segmented_radix_sort_implIS3_Lb1EPKbPbPKlPlN2at6native12_GLOBAL__N_18offset_tEEE10hipError_tPvRmT1_PNSt15iterator_traitsISK_E10value_typeET2_T3_PNSL_ISQ_E10value_typeET4_jRbjT5_SW_jjP12ihipStream_tbEUlT_E1_NS1_11comp_targetILNS1_3genE8ELNS1_11target_archE1030ELNS1_3gpuE2ELNS1_3repE0EEENS1_59segmented_radix_sort_warp_sort_small_config_static_selectorELNS0_4arch9wavefront6targetE0EEEvSK_.private_seg_size, 0
	.set _ZN7rocprim17ROCPRIM_400000_NS6detail17trampoline_kernelINS0_14default_configENS1_36segmented_radix_sort_config_selectorIblEEZNS1_25segmented_radix_sort_implIS3_Lb1EPKbPbPKlPlN2at6native12_GLOBAL__N_18offset_tEEE10hipError_tPvRmT1_PNSt15iterator_traitsISK_E10value_typeET2_T3_PNSL_ISQ_E10value_typeET4_jRbjT5_SW_jjP12ihipStream_tbEUlT_E1_NS1_11comp_targetILNS1_3genE8ELNS1_11target_archE1030ELNS1_3gpuE2ELNS1_3repE0EEENS1_59segmented_radix_sort_warp_sort_small_config_static_selectorELNS0_4arch9wavefront6targetE0EEEvSK_.uses_vcc, 0
	.set _ZN7rocprim17ROCPRIM_400000_NS6detail17trampoline_kernelINS0_14default_configENS1_36segmented_radix_sort_config_selectorIblEEZNS1_25segmented_radix_sort_implIS3_Lb1EPKbPbPKlPlN2at6native12_GLOBAL__N_18offset_tEEE10hipError_tPvRmT1_PNSt15iterator_traitsISK_E10value_typeET2_T3_PNSL_ISQ_E10value_typeET4_jRbjT5_SW_jjP12ihipStream_tbEUlT_E1_NS1_11comp_targetILNS1_3genE8ELNS1_11target_archE1030ELNS1_3gpuE2ELNS1_3repE0EEENS1_59segmented_radix_sort_warp_sort_small_config_static_selectorELNS0_4arch9wavefront6targetE0EEEvSK_.uses_flat_scratch, 0
	.set _ZN7rocprim17ROCPRIM_400000_NS6detail17trampoline_kernelINS0_14default_configENS1_36segmented_radix_sort_config_selectorIblEEZNS1_25segmented_radix_sort_implIS3_Lb1EPKbPbPKlPlN2at6native12_GLOBAL__N_18offset_tEEE10hipError_tPvRmT1_PNSt15iterator_traitsISK_E10value_typeET2_T3_PNSL_ISQ_E10value_typeET4_jRbjT5_SW_jjP12ihipStream_tbEUlT_E1_NS1_11comp_targetILNS1_3genE8ELNS1_11target_archE1030ELNS1_3gpuE2ELNS1_3repE0EEENS1_59segmented_radix_sort_warp_sort_small_config_static_selectorELNS0_4arch9wavefront6targetE0EEEvSK_.has_dyn_sized_stack, 0
	.set _ZN7rocprim17ROCPRIM_400000_NS6detail17trampoline_kernelINS0_14default_configENS1_36segmented_radix_sort_config_selectorIblEEZNS1_25segmented_radix_sort_implIS3_Lb1EPKbPbPKlPlN2at6native12_GLOBAL__N_18offset_tEEE10hipError_tPvRmT1_PNSt15iterator_traitsISK_E10value_typeET2_T3_PNSL_ISQ_E10value_typeET4_jRbjT5_SW_jjP12ihipStream_tbEUlT_E1_NS1_11comp_targetILNS1_3genE8ELNS1_11target_archE1030ELNS1_3gpuE2ELNS1_3repE0EEENS1_59segmented_radix_sort_warp_sort_small_config_static_selectorELNS0_4arch9wavefront6targetE0EEEvSK_.has_recursion, 0
	.set _ZN7rocprim17ROCPRIM_400000_NS6detail17trampoline_kernelINS0_14default_configENS1_36segmented_radix_sort_config_selectorIblEEZNS1_25segmented_radix_sort_implIS3_Lb1EPKbPbPKlPlN2at6native12_GLOBAL__N_18offset_tEEE10hipError_tPvRmT1_PNSt15iterator_traitsISK_E10value_typeET2_T3_PNSL_ISQ_E10value_typeET4_jRbjT5_SW_jjP12ihipStream_tbEUlT_E1_NS1_11comp_targetILNS1_3genE8ELNS1_11target_archE1030ELNS1_3gpuE2ELNS1_3repE0EEENS1_59segmented_radix_sort_warp_sort_small_config_static_selectorELNS0_4arch9wavefront6targetE0EEEvSK_.has_indirect_call, 0
	.section	.AMDGPU.csdata,"",@progbits
; Kernel info:
; codeLenInByte = 0
; TotalNumSgprs: 0
; NumVgprs: 0
; ScratchSize: 0
; MemoryBound: 0
; FloatMode: 240
; IeeeMode: 1
; LDSByteSize: 0 bytes/workgroup (compile time only)
; SGPRBlocks: 0
; VGPRBlocks: 0
; NumSGPRsForWavesPerEU: 1
; NumVGPRsForWavesPerEU: 1
; Occupancy: 16
; WaveLimiterHint : 0
; COMPUTE_PGM_RSRC2:SCRATCH_EN: 0
; COMPUTE_PGM_RSRC2:USER_SGPR: 2
; COMPUTE_PGM_RSRC2:TRAP_HANDLER: 0
; COMPUTE_PGM_RSRC2:TGID_X_EN: 1
; COMPUTE_PGM_RSRC2:TGID_Y_EN: 0
; COMPUTE_PGM_RSRC2:TGID_Z_EN: 0
; COMPUTE_PGM_RSRC2:TIDIG_COMP_CNT: 0
	.section	.text._ZN7rocprim17ROCPRIM_400000_NS6detail17trampoline_kernelINS0_14default_configENS1_36segmented_radix_sort_config_selectorIblEEZNS1_25segmented_radix_sort_implIS3_Lb1EPKbPbPKlPlN2at6native12_GLOBAL__N_18offset_tEEE10hipError_tPvRmT1_PNSt15iterator_traitsISK_E10value_typeET2_T3_PNSL_ISQ_E10value_typeET4_jRbjT5_SW_jjP12ihipStream_tbEUlT_E2_NS1_11comp_targetILNS1_3genE0ELNS1_11target_archE4294967295ELNS1_3gpuE0ELNS1_3repE0EEENS1_30default_config_static_selectorELNS0_4arch9wavefront6targetE0EEEvSK_,"axG",@progbits,_ZN7rocprim17ROCPRIM_400000_NS6detail17trampoline_kernelINS0_14default_configENS1_36segmented_radix_sort_config_selectorIblEEZNS1_25segmented_radix_sort_implIS3_Lb1EPKbPbPKlPlN2at6native12_GLOBAL__N_18offset_tEEE10hipError_tPvRmT1_PNSt15iterator_traitsISK_E10value_typeET2_T3_PNSL_ISQ_E10value_typeET4_jRbjT5_SW_jjP12ihipStream_tbEUlT_E2_NS1_11comp_targetILNS1_3genE0ELNS1_11target_archE4294967295ELNS1_3gpuE0ELNS1_3repE0EEENS1_30default_config_static_selectorELNS0_4arch9wavefront6targetE0EEEvSK_,comdat
	.globl	_ZN7rocprim17ROCPRIM_400000_NS6detail17trampoline_kernelINS0_14default_configENS1_36segmented_radix_sort_config_selectorIblEEZNS1_25segmented_radix_sort_implIS3_Lb1EPKbPbPKlPlN2at6native12_GLOBAL__N_18offset_tEEE10hipError_tPvRmT1_PNSt15iterator_traitsISK_E10value_typeET2_T3_PNSL_ISQ_E10value_typeET4_jRbjT5_SW_jjP12ihipStream_tbEUlT_E2_NS1_11comp_targetILNS1_3genE0ELNS1_11target_archE4294967295ELNS1_3gpuE0ELNS1_3repE0EEENS1_30default_config_static_selectorELNS0_4arch9wavefront6targetE0EEEvSK_ ; -- Begin function _ZN7rocprim17ROCPRIM_400000_NS6detail17trampoline_kernelINS0_14default_configENS1_36segmented_radix_sort_config_selectorIblEEZNS1_25segmented_radix_sort_implIS3_Lb1EPKbPbPKlPlN2at6native12_GLOBAL__N_18offset_tEEE10hipError_tPvRmT1_PNSt15iterator_traitsISK_E10value_typeET2_T3_PNSL_ISQ_E10value_typeET4_jRbjT5_SW_jjP12ihipStream_tbEUlT_E2_NS1_11comp_targetILNS1_3genE0ELNS1_11target_archE4294967295ELNS1_3gpuE0ELNS1_3repE0EEENS1_30default_config_static_selectorELNS0_4arch9wavefront6targetE0EEEvSK_
	.p2align	8
	.type	_ZN7rocprim17ROCPRIM_400000_NS6detail17trampoline_kernelINS0_14default_configENS1_36segmented_radix_sort_config_selectorIblEEZNS1_25segmented_radix_sort_implIS3_Lb1EPKbPbPKlPlN2at6native12_GLOBAL__N_18offset_tEEE10hipError_tPvRmT1_PNSt15iterator_traitsISK_E10value_typeET2_T3_PNSL_ISQ_E10value_typeET4_jRbjT5_SW_jjP12ihipStream_tbEUlT_E2_NS1_11comp_targetILNS1_3genE0ELNS1_11target_archE4294967295ELNS1_3gpuE0ELNS1_3repE0EEENS1_30default_config_static_selectorELNS0_4arch9wavefront6targetE0EEEvSK_,@function
_ZN7rocprim17ROCPRIM_400000_NS6detail17trampoline_kernelINS0_14default_configENS1_36segmented_radix_sort_config_selectorIblEEZNS1_25segmented_radix_sort_implIS3_Lb1EPKbPbPKlPlN2at6native12_GLOBAL__N_18offset_tEEE10hipError_tPvRmT1_PNSt15iterator_traitsISK_E10value_typeET2_T3_PNSL_ISQ_E10value_typeET4_jRbjT5_SW_jjP12ihipStream_tbEUlT_E2_NS1_11comp_targetILNS1_3genE0ELNS1_11target_archE4294967295ELNS1_3gpuE0ELNS1_3repE0EEENS1_30default_config_static_selectorELNS0_4arch9wavefront6targetE0EEEvSK_: ; @_ZN7rocprim17ROCPRIM_400000_NS6detail17trampoline_kernelINS0_14default_configENS1_36segmented_radix_sort_config_selectorIblEEZNS1_25segmented_radix_sort_implIS3_Lb1EPKbPbPKlPlN2at6native12_GLOBAL__N_18offset_tEEE10hipError_tPvRmT1_PNSt15iterator_traitsISK_E10value_typeET2_T3_PNSL_ISQ_E10value_typeET4_jRbjT5_SW_jjP12ihipStream_tbEUlT_E2_NS1_11comp_targetILNS1_3genE0ELNS1_11target_archE4294967295ELNS1_3gpuE0ELNS1_3repE0EEENS1_30default_config_static_selectorELNS0_4arch9wavefront6targetE0EEEvSK_
; %bb.0:
	.section	.rodata,"a",@progbits
	.p2align	6, 0x0
	.amdhsa_kernel _ZN7rocprim17ROCPRIM_400000_NS6detail17trampoline_kernelINS0_14default_configENS1_36segmented_radix_sort_config_selectorIblEEZNS1_25segmented_radix_sort_implIS3_Lb1EPKbPbPKlPlN2at6native12_GLOBAL__N_18offset_tEEE10hipError_tPvRmT1_PNSt15iterator_traitsISK_E10value_typeET2_T3_PNSL_ISQ_E10value_typeET4_jRbjT5_SW_jjP12ihipStream_tbEUlT_E2_NS1_11comp_targetILNS1_3genE0ELNS1_11target_archE4294967295ELNS1_3gpuE0ELNS1_3repE0EEENS1_30default_config_static_selectorELNS0_4arch9wavefront6targetE0EEEvSK_
		.amdhsa_group_segment_fixed_size 0
		.amdhsa_private_segment_fixed_size 0
		.amdhsa_kernarg_size 80
		.amdhsa_user_sgpr_count 2
		.amdhsa_user_sgpr_dispatch_ptr 0
		.amdhsa_user_sgpr_queue_ptr 0
		.amdhsa_user_sgpr_kernarg_segment_ptr 1
		.amdhsa_user_sgpr_dispatch_id 0
		.amdhsa_user_sgpr_private_segment_size 0
		.amdhsa_wavefront_size32 1
		.amdhsa_uses_dynamic_stack 0
		.amdhsa_enable_private_segment 0
		.amdhsa_system_sgpr_workgroup_id_x 1
		.amdhsa_system_sgpr_workgroup_id_y 0
		.amdhsa_system_sgpr_workgroup_id_z 0
		.amdhsa_system_sgpr_workgroup_info 0
		.amdhsa_system_vgpr_workitem_id 0
		.amdhsa_next_free_vgpr 1
		.amdhsa_next_free_sgpr 1
		.amdhsa_reserve_vcc 0
		.amdhsa_float_round_mode_32 0
		.amdhsa_float_round_mode_16_64 0
		.amdhsa_float_denorm_mode_32 3
		.amdhsa_float_denorm_mode_16_64 3
		.amdhsa_fp16_overflow 0
		.amdhsa_workgroup_processor_mode 1
		.amdhsa_memory_ordered 1
		.amdhsa_forward_progress 1
		.amdhsa_inst_pref_size 0
		.amdhsa_round_robin_scheduling 0
		.amdhsa_exception_fp_ieee_invalid_op 0
		.amdhsa_exception_fp_denorm_src 0
		.amdhsa_exception_fp_ieee_div_zero 0
		.amdhsa_exception_fp_ieee_overflow 0
		.amdhsa_exception_fp_ieee_underflow 0
		.amdhsa_exception_fp_ieee_inexact 0
		.amdhsa_exception_int_div_zero 0
	.end_amdhsa_kernel
	.section	.text._ZN7rocprim17ROCPRIM_400000_NS6detail17trampoline_kernelINS0_14default_configENS1_36segmented_radix_sort_config_selectorIblEEZNS1_25segmented_radix_sort_implIS3_Lb1EPKbPbPKlPlN2at6native12_GLOBAL__N_18offset_tEEE10hipError_tPvRmT1_PNSt15iterator_traitsISK_E10value_typeET2_T3_PNSL_ISQ_E10value_typeET4_jRbjT5_SW_jjP12ihipStream_tbEUlT_E2_NS1_11comp_targetILNS1_3genE0ELNS1_11target_archE4294967295ELNS1_3gpuE0ELNS1_3repE0EEENS1_30default_config_static_selectorELNS0_4arch9wavefront6targetE0EEEvSK_,"axG",@progbits,_ZN7rocprim17ROCPRIM_400000_NS6detail17trampoline_kernelINS0_14default_configENS1_36segmented_radix_sort_config_selectorIblEEZNS1_25segmented_radix_sort_implIS3_Lb1EPKbPbPKlPlN2at6native12_GLOBAL__N_18offset_tEEE10hipError_tPvRmT1_PNSt15iterator_traitsISK_E10value_typeET2_T3_PNSL_ISQ_E10value_typeET4_jRbjT5_SW_jjP12ihipStream_tbEUlT_E2_NS1_11comp_targetILNS1_3genE0ELNS1_11target_archE4294967295ELNS1_3gpuE0ELNS1_3repE0EEENS1_30default_config_static_selectorELNS0_4arch9wavefront6targetE0EEEvSK_,comdat
.Lfunc_end1562:
	.size	_ZN7rocprim17ROCPRIM_400000_NS6detail17trampoline_kernelINS0_14default_configENS1_36segmented_radix_sort_config_selectorIblEEZNS1_25segmented_radix_sort_implIS3_Lb1EPKbPbPKlPlN2at6native12_GLOBAL__N_18offset_tEEE10hipError_tPvRmT1_PNSt15iterator_traitsISK_E10value_typeET2_T3_PNSL_ISQ_E10value_typeET4_jRbjT5_SW_jjP12ihipStream_tbEUlT_E2_NS1_11comp_targetILNS1_3genE0ELNS1_11target_archE4294967295ELNS1_3gpuE0ELNS1_3repE0EEENS1_30default_config_static_selectorELNS0_4arch9wavefront6targetE0EEEvSK_, .Lfunc_end1562-_ZN7rocprim17ROCPRIM_400000_NS6detail17trampoline_kernelINS0_14default_configENS1_36segmented_radix_sort_config_selectorIblEEZNS1_25segmented_radix_sort_implIS3_Lb1EPKbPbPKlPlN2at6native12_GLOBAL__N_18offset_tEEE10hipError_tPvRmT1_PNSt15iterator_traitsISK_E10value_typeET2_T3_PNSL_ISQ_E10value_typeET4_jRbjT5_SW_jjP12ihipStream_tbEUlT_E2_NS1_11comp_targetILNS1_3genE0ELNS1_11target_archE4294967295ELNS1_3gpuE0ELNS1_3repE0EEENS1_30default_config_static_selectorELNS0_4arch9wavefront6targetE0EEEvSK_
                                        ; -- End function
	.set _ZN7rocprim17ROCPRIM_400000_NS6detail17trampoline_kernelINS0_14default_configENS1_36segmented_radix_sort_config_selectorIblEEZNS1_25segmented_radix_sort_implIS3_Lb1EPKbPbPKlPlN2at6native12_GLOBAL__N_18offset_tEEE10hipError_tPvRmT1_PNSt15iterator_traitsISK_E10value_typeET2_T3_PNSL_ISQ_E10value_typeET4_jRbjT5_SW_jjP12ihipStream_tbEUlT_E2_NS1_11comp_targetILNS1_3genE0ELNS1_11target_archE4294967295ELNS1_3gpuE0ELNS1_3repE0EEENS1_30default_config_static_selectorELNS0_4arch9wavefront6targetE0EEEvSK_.num_vgpr, 0
	.set _ZN7rocprim17ROCPRIM_400000_NS6detail17trampoline_kernelINS0_14default_configENS1_36segmented_radix_sort_config_selectorIblEEZNS1_25segmented_radix_sort_implIS3_Lb1EPKbPbPKlPlN2at6native12_GLOBAL__N_18offset_tEEE10hipError_tPvRmT1_PNSt15iterator_traitsISK_E10value_typeET2_T3_PNSL_ISQ_E10value_typeET4_jRbjT5_SW_jjP12ihipStream_tbEUlT_E2_NS1_11comp_targetILNS1_3genE0ELNS1_11target_archE4294967295ELNS1_3gpuE0ELNS1_3repE0EEENS1_30default_config_static_selectorELNS0_4arch9wavefront6targetE0EEEvSK_.num_agpr, 0
	.set _ZN7rocprim17ROCPRIM_400000_NS6detail17trampoline_kernelINS0_14default_configENS1_36segmented_radix_sort_config_selectorIblEEZNS1_25segmented_radix_sort_implIS3_Lb1EPKbPbPKlPlN2at6native12_GLOBAL__N_18offset_tEEE10hipError_tPvRmT1_PNSt15iterator_traitsISK_E10value_typeET2_T3_PNSL_ISQ_E10value_typeET4_jRbjT5_SW_jjP12ihipStream_tbEUlT_E2_NS1_11comp_targetILNS1_3genE0ELNS1_11target_archE4294967295ELNS1_3gpuE0ELNS1_3repE0EEENS1_30default_config_static_selectorELNS0_4arch9wavefront6targetE0EEEvSK_.numbered_sgpr, 0
	.set _ZN7rocprim17ROCPRIM_400000_NS6detail17trampoline_kernelINS0_14default_configENS1_36segmented_radix_sort_config_selectorIblEEZNS1_25segmented_radix_sort_implIS3_Lb1EPKbPbPKlPlN2at6native12_GLOBAL__N_18offset_tEEE10hipError_tPvRmT1_PNSt15iterator_traitsISK_E10value_typeET2_T3_PNSL_ISQ_E10value_typeET4_jRbjT5_SW_jjP12ihipStream_tbEUlT_E2_NS1_11comp_targetILNS1_3genE0ELNS1_11target_archE4294967295ELNS1_3gpuE0ELNS1_3repE0EEENS1_30default_config_static_selectorELNS0_4arch9wavefront6targetE0EEEvSK_.num_named_barrier, 0
	.set _ZN7rocprim17ROCPRIM_400000_NS6detail17trampoline_kernelINS0_14default_configENS1_36segmented_radix_sort_config_selectorIblEEZNS1_25segmented_radix_sort_implIS3_Lb1EPKbPbPKlPlN2at6native12_GLOBAL__N_18offset_tEEE10hipError_tPvRmT1_PNSt15iterator_traitsISK_E10value_typeET2_T3_PNSL_ISQ_E10value_typeET4_jRbjT5_SW_jjP12ihipStream_tbEUlT_E2_NS1_11comp_targetILNS1_3genE0ELNS1_11target_archE4294967295ELNS1_3gpuE0ELNS1_3repE0EEENS1_30default_config_static_selectorELNS0_4arch9wavefront6targetE0EEEvSK_.private_seg_size, 0
	.set _ZN7rocprim17ROCPRIM_400000_NS6detail17trampoline_kernelINS0_14default_configENS1_36segmented_radix_sort_config_selectorIblEEZNS1_25segmented_radix_sort_implIS3_Lb1EPKbPbPKlPlN2at6native12_GLOBAL__N_18offset_tEEE10hipError_tPvRmT1_PNSt15iterator_traitsISK_E10value_typeET2_T3_PNSL_ISQ_E10value_typeET4_jRbjT5_SW_jjP12ihipStream_tbEUlT_E2_NS1_11comp_targetILNS1_3genE0ELNS1_11target_archE4294967295ELNS1_3gpuE0ELNS1_3repE0EEENS1_30default_config_static_selectorELNS0_4arch9wavefront6targetE0EEEvSK_.uses_vcc, 0
	.set _ZN7rocprim17ROCPRIM_400000_NS6detail17trampoline_kernelINS0_14default_configENS1_36segmented_radix_sort_config_selectorIblEEZNS1_25segmented_radix_sort_implIS3_Lb1EPKbPbPKlPlN2at6native12_GLOBAL__N_18offset_tEEE10hipError_tPvRmT1_PNSt15iterator_traitsISK_E10value_typeET2_T3_PNSL_ISQ_E10value_typeET4_jRbjT5_SW_jjP12ihipStream_tbEUlT_E2_NS1_11comp_targetILNS1_3genE0ELNS1_11target_archE4294967295ELNS1_3gpuE0ELNS1_3repE0EEENS1_30default_config_static_selectorELNS0_4arch9wavefront6targetE0EEEvSK_.uses_flat_scratch, 0
	.set _ZN7rocprim17ROCPRIM_400000_NS6detail17trampoline_kernelINS0_14default_configENS1_36segmented_radix_sort_config_selectorIblEEZNS1_25segmented_radix_sort_implIS3_Lb1EPKbPbPKlPlN2at6native12_GLOBAL__N_18offset_tEEE10hipError_tPvRmT1_PNSt15iterator_traitsISK_E10value_typeET2_T3_PNSL_ISQ_E10value_typeET4_jRbjT5_SW_jjP12ihipStream_tbEUlT_E2_NS1_11comp_targetILNS1_3genE0ELNS1_11target_archE4294967295ELNS1_3gpuE0ELNS1_3repE0EEENS1_30default_config_static_selectorELNS0_4arch9wavefront6targetE0EEEvSK_.has_dyn_sized_stack, 0
	.set _ZN7rocprim17ROCPRIM_400000_NS6detail17trampoline_kernelINS0_14default_configENS1_36segmented_radix_sort_config_selectorIblEEZNS1_25segmented_radix_sort_implIS3_Lb1EPKbPbPKlPlN2at6native12_GLOBAL__N_18offset_tEEE10hipError_tPvRmT1_PNSt15iterator_traitsISK_E10value_typeET2_T3_PNSL_ISQ_E10value_typeET4_jRbjT5_SW_jjP12ihipStream_tbEUlT_E2_NS1_11comp_targetILNS1_3genE0ELNS1_11target_archE4294967295ELNS1_3gpuE0ELNS1_3repE0EEENS1_30default_config_static_selectorELNS0_4arch9wavefront6targetE0EEEvSK_.has_recursion, 0
	.set _ZN7rocprim17ROCPRIM_400000_NS6detail17trampoline_kernelINS0_14default_configENS1_36segmented_radix_sort_config_selectorIblEEZNS1_25segmented_radix_sort_implIS3_Lb1EPKbPbPKlPlN2at6native12_GLOBAL__N_18offset_tEEE10hipError_tPvRmT1_PNSt15iterator_traitsISK_E10value_typeET2_T3_PNSL_ISQ_E10value_typeET4_jRbjT5_SW_jjP12ihipStream_tbEUlT_E2_NS1_11comp_targetILNS1_3genE0ELNS1_11target_archE4294967295ELNS1_3gpuE0ELNS1_3repE0EEENS1_30default_config_static_selectorELNS0_4arch9wavefront6targetE0EEEvSK_.has_indirect_call, 0
	.section	.AMDGPU.csdata,"",@progbits
; Kernel info:
; codeLenInByte = 0
; TotalNumSgprs: 0
; NumVgprs: 0
; ScratchSize: 0
; MemoryBound: 0
; FloatMode: 240
; IeeeMode: 1
; LDSByteSize: 0 bytes/workgroup (compile time only)
; SGPRBlocks: 0
; VGPRBlocks: 0
; NumSGPRsForWavesPerEU: 1
; NumVGPRsForWavesPerEU: 1
; Occupancy: 16
; WaveLimiterHint : 0
; COMPUTE_PGM_RSRC2:SCRATCH_EN: 0
; COMPUTE_PGM_RSRC2:USER_SGPR: 2
; COMPUTE_PGM_RSRC2:TRAP_HANDLER: 0
; COMPUTE_PGM_RSRC2:TGID_X_EN: 1
; COMPUTE_PGM_RSRC2:TGID_Y_EN: 0
; COMPUTE_PGM_RSRC2:TGID_Z_EN: 0
; COMPUTE_PGM_RSRC2:TIDIG_COMP_CNT: 0
	.section	.text._ZN7rocprim17ROCPRIM_400000_NS6detail17trampoline_kernelINS0_14default_configENS1_36segmented_radix_sort_config_selectorIblEEZNS1_25segmented_radix_sort_implIS3_Lb1EPKbPbPKlPlN2at6native12_GLOBAL__N_18offset_tEEE10hipError_tPvRmT1_PNSt15iterator_traitsISK_E10value_typeET2_T3_PNSL_ISQ_E10value_typeET4_jRbjT5_SW_jjP12ihipStream_tbEUlT_E2_NS1_11comp_targetILNS1_3genE5ELNS1_11target_archE942ELNS1_3gpuE9ELNS1_3repE0EEENS1_30default_config_static_selectorELNS0_4arch9wavefront6targetE0EEEvSK_,"axG",@progbits,_ZN7rocprim17ROCPRIM_400000_NS6detail17trampoline_kernelINS0_14default_configENS1_36segmented_radix_sort_config_selectorIblEEZNS1_25segmented_radix_sort_implIS3_Lb1EPKbPbPKlPlN2at6native12_GLOBAL__N_18offset_tEEE10hipError_tPvRmT1_PNSt15iterator_traitsISK_E10value_typeET2_T3_PNSL_ISQ_E10value_typeET4_jRbjT5_SW_jjP12ihipStream_tbEUlT_E2_NS1_11comp_targetILNS1_3genE5ELNS1_11target_archE942ELNS1_3gpuE9ELNS1_3repE0EEENS1_30default_config_static_selectorELNS0_4arch9wavefront6targetE0EEEvSK_,comdat
	.globl	_ZN7rocprim17ROCPRIM_400000_NS6detail17trampoline_kernelINS0_14default_configENS1_36segmented_radix_sort_config_selectorIblEEZNS1_25segmented_radix_sort_implIS3_Lb1EPKbPbPKlPlN2at6native12_GLOBAL__N_18offset_tEEE10hipError_tPvRmT1_PNSt15iterator_traitsISK_E10value_typeET2_T3_PNSL_ISQ_E10value_typeET4_jRbjT5_SW_jjP12ihipStream_tbEUlT_E2_NS1_11comp_targetILNS1_3genE5ELNS1_11target_archE942ELNS1_3gpuE9ELNS1_3repE0EEENS1_30default_config_static_selectorELNS0_4arch9wavefront6targetE0EEEvSK_ ; -- Begin function _ZN7rocprim17ROCPRIM_400000_NS6detail17trampoline_kernelINS0_14default_configENS1_36segmented_radix_sort_config_selectorIblEEZNS1_25segmented_radix_sort_implIS3_Lb1EPKbPbPKlPlN2at6native12_GLOBAL__N_18offset_tEEE10hipError_tPvRmT1_PNSt15iterator_traitsISK_E10value_typeET2_T3_PNSL_ISQ_E10value_typeET4_jRbjT5_SW_jjP12ihipStream_tbEUlT_E2_NS1_11comp_targetILNS1_3genE5ELNS1_11target_archE942ELNS1_3gpuE9ELNS1_3repE0EEENS1_30default_config_static_selectorELNS0_4arch9wavefront6targetE0EEEvSK_
	.p2align	8
	.type	_ZN7rocprim17ROCPRIM_400000_NS6detail17trampoline_kernelINS0_14default_configENS1_36segmented_radix_sort_config_selectorIblEEZNS1_25segmented_radix_sort_implIS3_Lb1EPKbPbPKlPlN2at6native12_GLOBAL__N_18offset_tEEE10hipError_tPvRmT1_PNSt15iterator_traitsISK_E10value_typeET2_T3_PNSL_ISQ_E10value_typeET4_jRbjT5_SW_jjP12ihipStream_tbEUlT_E2_NS1_11comp_targetILNS1_3genE5ELNS1_11target_archE942ELNS1_3gpuE9ELNS1_3repE0EEENS1_30default_config_static_selectorELNS0_4arch9wavefront6targetE0EEEvSK_,@function
_ZN7rocprim17ROCPRIM_400000_NS6detail17trampoline_kernelINS0_14default_configENS1_36segmented_radix_sort_config_selectorIblEEZNS1_25segmented_radix_sort_implIS3_Lb1EPKbPbPKlPlN2at6native12_GLOBAL__N_18offset_tEEE10hipError_tPvRmT1_PNSt15iterator_traitsISK_E10value_typeET2_T3_PNSL_ISQ_E10value_typeET4_jRbjT5_SW_jjP12ihipStream_tbEUlT_E2_NS1_11comp_targetILNS1_3genE5ELNS1_11target_archE942ELNS1_3gpuE9ELNS1_3repE0EEENS1_30default_config_static_selectorELNS0_4arch9wavefront6targetE0EEEvSK_: ; @_ZN7rocprim17ROCPRIM_400000_NS6detail17trampoline_kernelINS0_14default_configENS1_36segmented_radix_sort_config_selectorIblEEZNS1_25segmented_radix_sort_implIS3_Lb1EPKbPbPKlPlN2at6native12_GLOBAL__N_18offset_tEEE10hipError_tPvRmT1_PNSt15iterator_traitsISK_E10value_typeET2_T3_PNSL_ISQ_E10value_typeET4_jRbjT5_SW_jjP12ihipStream_tbEUlT_E2_NS1_11comp_targetILNS1_3genE5ELNS1_11target_archE942ELNS1_3gpuE9ELNS1_3repE0EEENS1_30default_config_static_selectorELNS0_4arch9wavefront6targetE0EEEvSK_
; %bb.0:
	.section	.rodata,"a",@progbits
	.p2align	6, 0x0
	.amdhsa_kernel _ZN7rocprim17ROCPRIM_400000_NS6detail17trampoline_kernelINS0_14default_configENS1_36segmented_radix_sort_config_selectorIblEEZNS1_25segmented_radix_sort_implIS3_Lb1EPKbPbPKlPlN2at6native12_GLOBAL__N_18offset_tEEE10hipError_tPvRmT1_PNSt15iterator_traitsISK_E10value_typeET2_T3_PNSL_ISQ_E10value_typeET4_jRbjT5_SW_jjP12ihipStream_tbEUlT_E2_NS1_11comp_targetILNS1_3genE5ELNS1_11target_archE942ELNS1_3gpuE9ELNS1_3repE0EEENS1_30default_config_static_selectorELNS0_4arch9wavefront6targetE0EEEvSK_
		.amdhsa_group_segment_fixed_size 0
		.amdhsa_private_segment_fixed_size 0
		.amdhsa_kernarg_size 80
		.amdhsa_user_sgpr_count 2
		.amdhsa_user_sgpr_dispatch_ptr 0
		.amdhsa_user_sgpr_queue_ptr 0
		.amdhsa_user_sgpr_kernarg_segment_ptr 1
		.amdhsa_user_sgpr_dispatch_id 0
		.amdhsa_user_sgpr_private_segment_size 0
		.amdhsa_wavefront_size32 1
		.amdhsa_uses_dynamic_stack 0
		.amdhsa_enable_private_segment 0
		.amdhsa_system_sgpr_workgroup_id_x 1
		.amdhsa_system_sgpr_workgroup_id_y 0
		.amdhsa_system_sgpr_workgroup_id_z 0
		.amdhsa_system_sgpr_workgroup_info 0
		.amdhsa_system_vgpr_workitem_id 0
		.amdhsa_next_free_vgpr 1
		.amdhsa_next_free_sgpr 1
		.amdhsa_reserve_vcc 0
		.amdhsa_float_round_mode_32 0
		.amdhsa_float_round_mode_16_64 0
		.amdhsa_float_denorm_mode_32 3
		.amdhsa_float_denorm_mode_16_64 3
		.amdhsa_fp16_overflow 0
		.amdhsa_workgroup_processor_mode 1
		.amdhsa_memory_ordered 1
		.amdhsa_forward_progress 1
		.amdhsa_inst_pref_size 0
		.amdhsa_round_robin_scheduling 0
		.amdhsa_exception_fp_ieee_invalid_op 0
		.amdhsa_exception_fp_denorm_src 0
		.amdhsa_exception_fp_ieee_div_zero 0
		.amdhsa_exception_fp_ieee_overflow 0
		.amdhsa_exception_fp_ieee_underflow 0
		.amdhsa_exception_fp_ieee_inexact 0
		.amdhsa_exception_int_div_zero 0
	.end_amdhsa_kernel
	.section	.text._ZN7rocprim17ROCPRIM_400000_NS6detail17trampoline_kernelINS0_14default_configENS1_36segmented_radix_sort_config_selectorIblEEZNS1_25segmented_radix_sort_implIS3_Lb1EPKbPbPKlPlN2at6native12_GLOBAL__N_18offset_tEEE10hipError_tPvRmT1_PNSt15iterator_traitsISK_E10value_typeET2_T3_PNSL_ISQ_E10value_typeET4_jRbjT5_SW_jjP12ihipStream_tbEUlT_E2_NS1_11comp_targetILNS1_3genE5ELNS1_11target_archE942ELNS1_3gpuE9ELNS1_3repE0EEENS1_30default_config_static_selectorELNS0_4arch9wavefront6targetE0EEEvSK_,"axG",@progbits,_ZN7rocprim17ROCPRIM_400000_NS6detail17trampoline_kernelINS0_14default_configENS1_36segmented_radix_sort_config_selectorIblEEZNS1_25segmented_radix_sort_implIS3_Lb1EPKbPbPKlPlN2at6native12_GLOBAL__N_18offset_tEEE10hipError_tPvRmT1_PNSt15iterator_traitsISK_E10value_typeET2_T3_PNSL_ISQ_E10value_typeET4_jRbjT5_SW_jjP12ihipStream_tbEUlT_E2_NS1_11comp_targetILNS1_3genE5ELNS1_11target_archE942ELNS1_3gpuE9ELNS1_3repE0EEENS1_30default_config_static_selectorELNS0_4arch9wavefront6targetE0EEEvSK_,comdat
.Lfunc_end1563:
	.size	_ZN7rocprim17ROCPRIM_400000_NS6detail17trampoline_kernelINS0_14default_configENS1_36segmented_radix_sort_config_selectorIblEEZNS1_25segmented_radix_sort_implIS3_Lb1EPKbPbPKlPlN2at6native12_GLOBAL__N_18offset_tEEE10hipError_tPvRmT1_PNSt15iterator_traitsISK_E10value_typeET2_T3_PNSL_ISQ_E10value_typeET4_jRbjT5_SW_jjP12ihipStream_tbEUlT_E2_NS1_11comp_targetILNS1_3genE5ELNS1_11target_archE942ELNS1_3gpuE9ELNS1_3repE0EEENS1_30default_config_static_selectorELNS0_4arch9wavefront6targetE0EEEvSK_, .Lfunc_end1563-_ZN7rocprim17ROCPRIM_400000_NS6detail17trampoline_kernelINS0_14default_configENS1_36segmented_radix_sort_config_selectorIblEEZNS1_25segmented_radix_sort_implIS3_Lb1EPKbPbPKlPlN2at6native12_GLOBAL__N_18offset_tEEE10hipError_tPvRmT1_PNSt15iterator_traitsISK_E10value_typeET2_T3_PNSL_ISQ_E10value_typeET4_jRbjT5_SW_jjP12ihipStream_tbEUlT_E2_NS1_11comp_targetILNS1_3genE5ELNS1_11target_archE942ELNS1_3gpuE9ELNS1_3repE0EEENS1_30default_config_static_selectorELNS0_4arch9wavefront6targetE0EEEvSK_
                                        ; -- End function
	.set _ZN7rocprim17ROCPRIM_400000_NS6detail17trampoline_kernelINS0_14default_configENS1_36segmented_radix_sort_config_selectorIblEEZNS1_25segmented_radix_sort_implIS3_Lb1EPKbPbPKlPlN2at6native12_GLOBAL__N_18offset_tEEE10hipError_tPvRmT1_PNSt15iterator_traitsISK_E10value_typeET2_T3_PNSL_ISQ_E10value_typeET4_jRbjT5_SW_jjP12ihipStream_tbEUlT_E2_NS1_11comp_targetILNS1_3genE5ELNS1_11target_archE942ELNS1_3gpuE9ELNS1_3repE0EEENS1_30default_config_static_selectorELNS0_4arch9wavefront6targetE0EEEvSK_.num_vgpr, 0
	.set _ZN7rocprim17ROCPRIM_400000_NS6detail17trampoline_kernelINS0_14default_configENS1_36segmented_radix_sort_config_selectorIblEEZNS1_25segmented_radix_sort_implIS3_Lb1EPKbPbPKlPlN2at6native12_GLOBAL__N_18offset_tEEE10hipError_tPvRmT1_PNSt15iterator_traitsISK_E10value_typeET2_T3_PNSL_ISQ_E10value_typeET4_jRbjT5_SW_jjP12ihipStream_tbEUlT_E2_NS1_11comp_targetILNS1_3genE5ELNS1_11target_archE942ELNS1_3gpuE9ELNS1_3repE0EEENS1_30default_config_static_selectorELNS0_4arch9wavefront6targetE0EEEvSK_.num_agpr, 0
	.set _ZN7rocprim17ROCPRIM_400000_NS6detail17trampoline_kernelINS0_14default_configENS1_36segmented_radix_sort_config_selectorIblEEZNS1_25segmented_radix_sort_implIS3_Lb1EPKbPbPKlPlN2at6native12_GLOBAL__N_18offset_tEEE10hipError_tPvRmT1_PNSt15iterator_traitsISK_E10value_typeET2_T3_PNSL_ISQ_E10value_typeET4_jRbjT5_SW_jjP12ihipStream_tbEUlT_E2_NS1_11comp_targetILNS1_3genE5ELNS1_11target_archE942ELNS1_3gpuE9ELNS1_3repE0EEENS1_30default_config_static_selectorELNS0_4arch9wavefront6targetE0EEEvSK_.numbered_sgpr, 0
	.set _ZN7rocprim17ROCPRIM_400000_NS6detail17trampoline_kernelINS0_14default_configENS1_36segmented_radix_sort_config_selectorIblEEZNS1_25segmented_radix_sort_implIS3_Lb1EPKbPbPKlPlN2at6native12_GLOBAL__N_18offset_tEEE10hipError_tPvRmT1_PNSt15iterator_traitsISK_E10value_typeET2_T3_PNSL_ISQ_E10value_typeET4_jRbjT5_SW_jjP12ihipStream_tbEUlT_E2_NS1_11comp_targetILNS1_3genE5ELNS1_11target_archE942ELNS1_3gpuE9ELNS1_3repE0EEENS1_30default_config_static_selectorELNS0_4arch9wavefront6targetE0EEEvSK_.num_named_barrier, 0
	.set _ZN7rocprim17ROCPRIM_400000_NS6detail17trampoline_kernelINS0_14default_configENS1_36segmented_radix_sort_config_selectorIblEEZNS1_25segmented_radix_sort_implIS3_Lb1EPKbPbPKlPlN2at6native12_GLOBAL__N_18offset_tEEE10hipError_tPvRmT1_PNSt15iterator_traitsISK_E10value_typeET2_T3_PNSL_ISQ_E10value_typeET4_jRbjT5_SW_jjP12ihipStream_tbEUlT_E2_NS1_11comp_targetILNS1_3genE5ELNS1_11target_archE942ELNS1_3gpuE9ELNS1_3repE0EEENS1_30default_config_static_selectorELNS0_4arch9wavefront6targetE0EEEvSK_.private_seg_size, 0
	.set _ZN7rocprim17ROCPRIM_400000_NS6detail17trampoline_kernelINS0_14default_configENS1_36segmented_radix_sort_config_selectorIblEEZNS1_25segmented_radix_sort_implIS3_Lb1EPKbPbPKlPlN2at6native12_GLOBAL__N_18offset_tEEE10hipError_tPvRmT1_PNSt15iterator_traitsISK_E10value_typeET2_T3_PNSL_ISQ_E10value_typeET4_jRbjT5_SW_jjP12ihipStream_tbEUlT_E2_NS1_11comp_targetILNS1_3genE5ELNS1_11target_archE942ELNS1_3gpuE9ELNS1_3repE0EEENS1_30default_config_static_selectorELNS0_4arch9wavefront6targetE0EEEvSK_.uses_vcc, 0
	.set _ZN7rocprim17ROCPRIM_400000_NS6detail17trampoline_kernelINS0_14default_configENS1_36segmented_radix_sort_config_selectorIblEEZNS1_25segmented_radix_sort_implIS3_Lb1EPKbPbPKlPlN2at6native12_GLOBAL__N_18offset_tEEE10hipError_tPvRmT1_PNSt15iterator_traitsISK_E10value_typeET2_T3_PNSL_ISQ_E10value_typeET4_jRbjT5_SW_jjP12ihipStream_tbEUlT_E2_NS1_11comp_targetILNS1_3genE5ELNS1_11target_archE942ELNS1_3gpuE9ELNS1_3repE0EEENS1_30default_config_static_selectorELNS0_4arch9wavefront6targetE0EEEvSK_.uses_flat_scratch, 0
	.set _ZN7rocprim17ROCPRIM_400000_NS6detail17trampoline_kernelINS0_14default_configENS1_36segmented_radix_sort_config_selectorIblEEZNS1_25segmented_radix_sort_implIS3_Lb1EPKbPbPKlPlN2at6native12_GLOBAL__N_18offset_tEEE10hipError_tPvRmT1_PNSt15iterator_traitsISK_E10value_typeET2_T3_PNSL_ISQ_E10value_typeET4_jRbjT5_SW_jjP12ihipStream_tbEUlT_E2_NS1_11comp_targetILNS1_3genE5ELNS1_11target_archE942ELNS1_3gpuE9ELNS1_3repE0EEENS1_30default_config_static_selectorELNS0_4arch9wavefront6targetE0EEEvSK_.has_dyn_sized_stack, 0
	.set _ZN7rocprim17ROCPRIM_400000_NS6detail17trampoline_kernelINS0_14default_configENS1_36segmented_radix_sort_config_selectorIblEEZNS1_25segmented_radix_sort_implIS3_Lb1EPKbPbPKlPlN2at6native12_GLOBAL__N_18offset_tEEE10hipError_tPvRmT1_PNSt15iterator_traitsISK_E10value_typeET2_T3_PNSL_ISQ_E10value_typeET4_jRbjT5_SW_jjP12ihipStream_tbEUlT_E2_NS1_11comp_targetILNS1_3genE5ELNS1_11target_archE942ELNS1_3gpuE9ELNS1_3repE0EEENS1_30default_config_static_selectorELNS0_4arch9wavefront6targetE0EEEvSK_.has_recursion, 0
	.set _ZN7rocprim17ROCPRIM_400000_NS6detail17trampoline_kernelINS0_14default_configENS1_36segmented_radix_sort_config_selectorIblEEZNS1_25segmented_radix_sort_implIS3_Lb1EPKbPbPKlPlN2at6native12_GLOBAL__N_18offset_tEEE10hipError_tPvRmT1_PNSt15iterator_traitsISK_E10value_typeET2_T3_PNSL_ISQ_E10value_typeET4_jRbjT5_SW_jjP12ihipStream_tbEUlT_E2_NS1_11comp_targetILNS1_3genE5ELNS1_11target_archE942ELNS1_3gpuE9ELNS1_3repE0EEENS1_30default_config_static_selectorELNS0_4arch9wavefront6targetE0EEEvSK_.has_indirect_call, 0
	.section	.AMDGPU.csdata,"",@progbits
; Kernel info:
; codeLenInByte = 0
; TotalNumSgprs: 0
; NumVgprs: 0
; ScratchSize: 0
; MemoryBound: 0
; FloatMode: 240
; IeeeMode: 1
; LDSByteSize: 0 bytes/workgroup (compile time only)
; SGPRBlocks: 0
; VGPRBlocks: 0
; NumSGPRsForWavesPerEU: 1
; NumVGPRsForWavesPerEU: 1
; Occupancy: 16
; WaveLimiterHint : 0
; COMPUTE_PGM_RSRC2:SCRATCH_EN: 0
; COMPUTE_PGM_RSRC2:USER_SGPR: 2
; COMPUTE_PGM_RSRC2:TRAP_HANDLER: 0
; COMPUTE_PGM_RSRC2:TGID_X_EN: 1
; COMPUTE_PGM_RSRC2:TGID_Y_EN: 0
; COMPUTE_PGM_RSRC2:TGID_Z_EN: 0
; COMPUTE_PGM_RSRC2:TIDIG_COMP_CNT: 0
	.section	.text._ZN7rocprim17ROCPRIM_400000_NS6detail17trampoline_kernelINS0_14default_configENS1_36segmented_radix_sort_config_selectorIblEEZNS1_25segmented_radix_sort_implIS3_Lb1EPKbPbPKlPlN2at6native12_GLOBAL__N_18offset_tEEE10hipError_tPvRmT1_PNSt15iterator_traitsISK_E10value_typeET2_T3_PNSL_ISQ_E10value_typeET4_jRbjT5_SW_jjP12ihipStream_tbEUlT_E2_NS1_11comp_targetILNS1_3genE4ELNS1_11target_archE910ELNS1_3gpuE8ELNS1_3repE0EEENS1_30default_config_static_selectorELNS0_4arch9wavefront6targetE0EEEvSK_,"axG",@progbits,_ZN7rocprim17ROCPRIM_400000_NS6detail17trampoline_kernelINS0_14default_configENS1_36segmented_radix_sort_config_selectorIblEEZNS1_25segmented_radix_sort_implIS3_Lb1EPKbPbPKlPlN2at6native12_GLOBAL__N_18offset_tEEE10hipError_tPvRmT1_PNSt15iterator_traitsISK_E10value_typeET2_T3_PNSL_ISQ_E10value_typeET4_jRbjT5_SW_jjP12ihipStream_tbEUlT_E2_NS1_11comp_targetILNS1_3genE4ELNS1_11target_archE910ELNS1_3gpuE8ELNS1_3repE0EEENS1_30default_config_static_selectorELNS0_4arch9wavefront6targetE0EEEvSK_,comdat
	.globl	_ZN7rocprim17ROCPRIM_400000_NS6detail17trampoline_kernelINS0_14default_configENS1_36segmented_radix_sort_config_selectorIblEEZNS1_25segmented_radix_sort_implIS3_Lb1EPKbPbPKlPlN2at6native12_GLOBAL__N_18offset_tEEE10hipError_tPvRmT1_PNSt15iterator_traitsISK_E10value_typeET2_T3_PNSL_ISQ_E10value_typeET4_jRbjT5_SW_jjP12ihipStream_tbEUlT_E2_NS1_11comp_targetILNS1_3genE4ELNS1_11target_archE910ELNS1_3gpuE8ELNS1_3repE0EEENS1_30default_config_static_selectorELNS0_4arch9wavefront6targetE0EEEvSK_ ; -- Begin function _ZN7rocprim17ROCPRIM_400000_NS6detail17trampoline_kernelINS0_14default_configENS1_36segmented_radix_sort_config_selectorIblEEZNS1_25segmented_radix_sort_implIS3_Lb1EPKbPbPKlPlN2at6native12_GLOBAL__N_18offset_tEEE10hipError_tPvRmT1_PNSt15iterator_traitsISK_E10value_typeET2_T3_PNSL_ISQ_E10value_typeET4_jRbjT5_SW_jjP12ihipStream_tbEUlT_E2_NS1_11comp_targetILNS1_3genE4ELNS1_11target_archE910ELNS1_3gpuE8ELNS1_3repE0EEENS1_30default_config_static_selectorELNS0_4arch9wavefront6targetE0EEEvSK_
	.p2align	8
	.type	_ZN7rocprim17ROCPRIM_400000_NS6detail17trampoline_kernelINS0_14default_configENS1_36segmented_radix_sort_config_selectorIblEEZNS1_25segmented_radix_sort_implIS3_Lb1EPKbPbPKlPlN2at6native12_GLOBAL__N_18offset_tEEE10hipError_tPvRmT1_PNSt15iterator_traitsISK_E10value_typeET2_T3_PNSL_ISQ_E10value_typeET4_jRbjT5_SW_jjP12ihipStream_tbEUlT_E2_NS1_11comp_targetILNS1_3genE4ELNS1_11target_archE910ELNS1_3gpuE8ELNS1_3repE0EEENS1_30default_config_static_selectorELNS0_4arch9wavefront6targetE0EEEvSK_,@function
_ZN7rocprim17ROCPRIM_400000_NS6detail17trampoline_kernelINS0_14default_configENS1_36segmented_radix_sort_config_selectorIblEEZNS1_25segmented_radix_sort_implIS3_Lb1EPKbPbPKlPlN2at6native12_GLOBAL__N_18offset_tEEE10hipError_tPvRmT1_PNSt15iterator_traitsISK_E10value_typeET2_T3_PNSL_ISQ_E10value_typeET4_jRbjT5_SW_jjP12ihipStream_tbEUlT_E2_NS1_11comp_targetILNS1_3genE4ELNS1_11target_archE910ELNS1_3gpuE8ELNS1_3repE0EEENS1_30default_config_static_selectorELNS0_4arch9wavefront6targetE0EEEvSK_: ; @_ZN7rocprim17ROCPRIM_400000_NS6detail17trampoline_kernelINS0_14default_configENS1_36segmented_radix_sort_config_selectorIblEEZNS1_25segmented_radix_sort_implIS3_Lb1EPKbPbPKlPlN2at6native12_GLOBAL__N_18offset_tEEE10hipError_tPvRmT1_PNSt15iterator_traitsISK_E10value_typeET2_T3_PNSL_ISQ_E10value_typeET4_jRbjT5_SW_jjP12ihipStream_tbEUlT_E2_NS1_11comp_targetILNS1_3genE4ELNS1_11target_archE910ELNS1_3gpuE8ELNS1_3repE0EEENS1_30default_config_static_selectorELNS0_4arch9wavefront6targetE0EEEvSK_
; %bb.0:
	.section	.rodata,"a",@progbits
	.p2align	6, 0x0
	.amdhsa_kernel _ZN7rocprim17ROCPRIM_400000_NS6detail17trampoline_kernelINS0_14default_configENS1_36segmented_radix_sort_config_selectorIblEEZNS1_25segmented_radix_sort_implIS3_Lb1EPKbPbPKlPlN2at6native12_GLOBAL__N_18offset_tEEE10hipError_tPvRmT1_PNSt15iterator_traitsISK_E10value_typeET2_T3_PNSL_ISQ_E10value_typeET4_jRbjT5_SW_jjP12ihipStream_tbEUlT_E2_NS1_11comp_targetILNS1_3genE4ELNS1_11target_archE910ELNS1_3gpuE8ELNS1_3repE0EEENS1_30default_config_static_selectorELNS0_4arch9wavefront6targetE0EEEvSK_
		.amdhsa_group_segment_fixed_size 0
		.amdhsa_private_segment_fixed_size 0
		.amdhsa_kernarg_size 80
		.amdhsa_user_sgpr_count 2
		.amdhsa_user_sgpr_dispatch_ptr 0
		.amdhsa_user_sgpr_queue_ptr 0
		.amdhsa_user_sgpr_kernarg_segment_ptr 1
		.amdhsa_user_sgpr_dispatch_id 0
		.amdhsa_user_sgpr_private_segment_size 0
		.amdhsa_wavefront_size32 1
		.amdhsa_uses_dynamic_stack 0
		.amdhsa_enable_private_segment 0
		.amdhsa_system_sgpr_workgroup_id_x 1
		.amdhsa_system_sgpr_workgroup_id_y 0
		.amdhsa_system_sgpr_workgroup_id_z 0
		.amdhsa_system_sgpr_workgroup_info 0
		.amdhsa_system_vgpr_workitem_id 0
		.amdhsa_next_free_vgpr 1
		.amdhsa_next_free_sgpr 1
		.amdhsa_reserve_vcc 0
		.amdhsa_float_round_mode_32 0
		.amdhsa_float_round_mode_16_64 0
		.amdhsa_float_denorm_mode_32 3
		.amdhsa_float_denorm_mode_16_64 3
		.amdhsa_fp16_overflow 0
		.amdhsa_workgroup_processor_mode 1
		.amdhsa_memory_ordered 1
		.amdhsa_forward_progress 1
		.amdhsa_inst_pref_size 0
		.amdhsa_round_robin_scheduling 0
		.amdhsa_exception_fp_ieee_invalid_op 0
		.amdhsa_exception_fp_denorm_src 0
		.amdhsa_exception_fp_ieee_div_zero 0
		.amdhsa_exception_fp_ieee_overflow 0
		.amdhsa_exception_fp_ieee_underflow 0
		.amdhsa_exception_fp_ieee_inexact 0
		.amdhsa_exception_int_div_zero 0
	.end_amdhsa_kernel
	.section	.text._ZN7rocprim17ROCPRIM_400000_NS6detail17trampoline_kernelINS0_14default_configENS1_36segmented_radix_sort_config_selectorIblEEZNS1_25segmented_radix_sort_implIS3_Lb1EPKbPbPKlPlN2at6native12_GLOBAL__N_18offset_tEEE10hipError_tPvRmT1_PNSt15iterator_traitsISK_E10value_typeET2_T3_PNSL_ISQ_E10value_typeET4_jRbjT5_SW_jjP12ihipStream_tbEUlT_E2_NS1_11comp_targetILNS1_3genE4ELNS1_11target_archE910ELNS1_3gpuE8ELNS1_3repE0EEENS1_30default_config_static_selectorELNS0_4arch9wavefront6targetE0EEEvSK_,"axG",@progbits,_ZN7rocprim17ROCPRIM_400000_NS6detail17trampoline_kernelINS0_14default_configENS1_36segmented_radix_sort_config_selectorIblEEZNS1_25segmented_radix_sort_implIS3_Lb1EPKbPbPKlPlN2at6native12_GLOBAL__N_18offset_tEEE10hipError_tPvRmT1_PNSt15iterator_traitsISK_E10value_typeET2_T3_PNSL_ISQ_E10value_typeET4_jRbjT5_SW_jjP12ihipStream_tbEUlT_E2_NS1_11comp_targetILNS1_3genE4ELNS1_11target_archE910ELNS1_3gpuE8ELNS1_3repE0EEENS1_30default_config_static_selectorELNS0_4arch9wavefront6targetE0EEEvSK_,comdat
.Lfunc_end1564:
	.size	_ZN7rocprim17ROCPRIM_400000_NS6detail17trampoline_kernelINS0_14default_configENS1_36segmented_radix_sort_config_selectorIblEEZNS1_25segmented_radix_sort_implIS3_Lb1EPKbPbPKlPlN2at6native12_GLOBAL__N_18offset_tEEE10hipError_tPvRmT1_PNSt15iterator_traitsISK_E10value_typeET2_T3_PNSL_ISQ_E10value_typeET4_jRbjT5_SW_jjP12ihipStream_tbEUlT_E2_NS1_11comp_targetILNS1_3genE4ELNS1_11target_archE910ELNS1_3gpuE8ELNS1_3repE0EEENS1_30default_config_static_selectorELNS0_4arch9wavefront6targetE0EEEvSK_, .Lfunc_end1564-_ZN7rocprim17ROCPRIM_400000_NS6detail17trampoline_kernelINS0_14default_configENS1_36segmented_radix_sort_config_selectorIblEEZNS1_25segmented_radix_sort_implIS3_Lb1EPKbPbPKlPlN2at6native12_GLOBAL__N_18offset_tEEE10hipError_tPvRmT1_PNSt15iterator_traitsISK_E10value_typeET2_T3_PNSL_ISQ_E10value_typeET4_jRbjT5_SW_jjP12ihipStream_tbEUlT_E2_NS1_11comp_targetILNS1_3genE4ELNS1_11target_archE910ELNS1_3gpuE8ELNS1_3repE0EEENS1_30default_config_static_selectorELNS0_4arch9wavefront6targetE0EEEvSK_
                                        ; -- End function
	.set _ZN7rocprim17ROCPRIM_400000_NS6detail17trampoline_kernelINS0_14default_configENS1_36segmented_radix_sort_config_selectorIblEEZNS1_25segmented_radix_sort_implIS3_Lb1EPKbPbPKlPlN2at6native12_GLOBAL__N_18offset_tEEE10hipError_tPvRmT1_PNSt15iterator_traitsISK_E10value_typeET2_T3_PNSL_ISQ_E10value_typeET4_jRbjT5_SW_jjP12ihipStream_tbEUlT_E2_NS1_11comp_targetILNS1_3genE4ELNS1_11target_archE910ELNS1_3gpuE8ELNS1_3repE0EEENS1_30default_config_static_selectorELNS0_4arch9wavefront6targetE0EEEvSK_.num_vgpr, 0
	.set _ZN7rocprim17ROCPRIM_400000_NS6detail17trampoline_kernelINS0_14default_configENS1_36segmented_radix_sort_config_selectorIblEEZNS1_25segmented_radix_sort_implIS3_Lb1EPKbPbPKlPlN2at6native12_GLOBAL__N_18offset_tEEE10hipError_tPvRmT1_PNSt15iterator_traitsISK_E10value_typeET2_T3_PNSL_ISQ_E10value_typeET4_jRbjT5_SW_jjP12ihipStream_tbEUlT_E2_NS1_11comp_targetILNS1_3genE4ELNS1_11target_archE910ELNS1_3gpuE8ELNS1_3repE0EEENS1_30default_config_static_selectorELNS0_4arch9wavefront6targetE0EEEvSK_.num_agpr, 0
	.set _ZN7rocprim17ROCPRIM_400000_NS6detail17trampoline_kernelINS0_14default_configENS1_36segmented_radix_sort_config_selectorIblEEZNS1_25segmented_radix_sort_implIS3_Lb1EPKbPbPKlPlN2at6native12_GLOBAL__N_18offset_tEEE10hipError_tPvRmT1_PNSt15iterator_traitsISK_E10value_typeET2_T3_PNSL_ISQ_E10value_typeET4_jRbjT5_SW_jjP12ihipStream_tbEUlT_E2_NS1_11comp_targetILNS1_3genE4ELNS1_11target_archE910ELNS1_3gpuE8ELNS1_3repE0EEENS1_30default_config_static_selectorELNS0_4arch9wavefront6targetE0EEEvSK_.numbered_sgpr, 0
	.set _ZN7rocprim17ROCPRIM_400000_NS6detail17trampoline_kernelINS0_14default_configENS1_36segmented_radix_sort_config_selectorIblEEZNS1_25segmented_radix_sort_implIS3_Lb1EPKbPbPKlPlN2at6native12_GLOBAL__N_18offset_tEEE10hipError_tPvRmT1_PNSt15iterator_traitsISK_E10value_typeET2_T3_PNSL_ISQ_E10value_typeET4_jRbjT5_SW_jjP12ihipStream_tbEUlT_E2_NS1_11comp_targetILNS1_3genE4ELNS1_11target_archE910ELNS1_3gpuE8ELNS1_3repE0EEENS1_30default_config_static_selectorELNS0_4arch9wavefront6targetE0EEEvSK_.num_named_barrier, 0
	.set _ZN7rocprim17ROCPRIM_400000_NS6detail17trampoline_kernelINS0_14default_configENS1_36segmented_radix_sort_config_selectorIblEEZNS1_25segmented_radix_sort_implIS3_Lb1EPKbPbPKlPlN2at6native12_GLOBAL__N_18offset_tEEE10hipError_tPvRmT1_PNSt15iterator_traitsISK_E10value_typeET2_T3_PNSL_ISQ_E10value_typeET4_jRbjT5_SW_jjP12ihipStream_tbEUlT_E2_NS1_11comp_targetILNS1_3genE4ELNS1_11target_archE910ELNS1_3gpuE8ELNS1_3repE0EEENS1_30default_config_static_selectorELNS0_4arch9wavefront6targetE0EEEvSK_.private_seg_size, 0
	.set _ZN7rocprim17ROCPRIM_400000_NS6detail17trampoline_kernelINS0_14default_configENS1_36segmented_radix_sort_config_selectorIblEEZNS1_25segmented_radix_sort_implIS3_Lb1EPKbPbPKlPlN2at6native12_GLOBAL__N_18offset_tEEE10hipError_tPvRmT1_PNSt15iterator_traitsISK_E10value_typeET2_T3_PNSL_ISQ_E10value_typeET4_jRbjT5_SW_jjP12ihipStream_tbEUlT_E2_NS1_11comp_targetILNS1_3genE4ELNS1_11target_archE910ELNS1_3gpuE8ELNS1_3repE0EEENS1_30default_config_static_selectorELNS0_4arch9wavefront6targetE0EEEvSK_.uses_vcc, 0
	.set _ZN7rocprim17ROCPRIM_400000_NS6detail17trampoline_kernelINS0_14default_configENS1_36segmented_radix_sort_config_selectorIblEEZNS1_25segmented_radix_sort_implIS3_Lb1EPKbPbPKlPlN2at6native12_GLOBAL__N_18offset_tEEE10hipError_tPvRmT1_PNSt15iterator_traitsISK_E10value_typeET2_T3_PNSL_ISQ_E10value_typeET4_jRbjT5_SW_jjP12ihipStream_tbEUlT_E2_NS1_11comp_targetILNS1_3genE4ELNS1_11target_archE910ELNS1_3gpuE8ELNS1_3repE0EEENS1_30default_config_static_selectorELNS0_4arch9wavefront6targetE0EEEvSK_.uses_flat_scratch, 0
	.set _ZN7rocprim17ROCPRIM_400000_NS6detail17trampoline_kernelINS0_14default_configENS1_36segmented_radix_sort_config_selectorIblEEZNS1_25segmented_radix_sort_implIS3_Lb1EPKbPbPKlPlN2at6native12_GLOBAL__N_18offset_tEEE10hipError_tPvRmT1_PNSt15iterator_traitsISK_E10value_typeET2_T3_PNSL_ISQ_E10value_typeET4_jRbjT5_SW_jjP12ihipStream_tbEUlT_E2_NS1_11comp_targetILNS1_3genE4ELNS1_11target_archE910ELNS1_3gpuE8ELNS1_3repE0EEENS1_30default_config_static_selectorELNS0_4arch9wavefront6targetE0EEEvSK_.has_dyn_sized_stack, 0
	.set _ZN7rocprim17ROCPRIM_400000_NS6detail17trampoline_kernelINS0_14default_configENS1_36segmented_radix_sort_config_selectorIblEEZNS1_25segmented_radix_sort_implIS3_Lb1EPKbPbPKlPlN2at6native12_GLOBAL__N_18offset_tEEE10hipError_tPvRmT1_PNSt15iterator_traitsISK_E10value_typeET2_T3_PNSL_ISQ_E10value_typeET4_jRbjT5_SW_jjP12ihipStream_tbEUlT_E2_NS1_11comp_targetILNS1_3genE4ELNS1_11target_archE910ELNS1_3gpuE8ELNS1_3repE0EEENS1_30default_config_static_selectorELNS0_4arch9wavefront6targetE0EEEvSK_.has_recursion, 0
	.set _ZN7rocprim17ROCPRIM_400000_NS6detail17trampoline_kernelINS0_14default_configENS1_36segmented_radix_sort_config_selectorIblEEZNS1_25segmented_radix_sort_implIS3_Lb1EPKbPbPKlPlN2at6native12_GLOBAL__N_18offset_tEEE10hipError_tPvRmT1_PNSt15iterator_traitsISK_E10value_typeET2_T3_PNSL_ISQ_E10value_typeET4_jRbjT5_SW_jjP12ihipStream_tbEUlT_E2_NS1_11comp_targetILNS1_3genE4ELNS1_11target_archE910ELNS1_3gpuE8ELNS1_3repE0EEENS1_30default_config_static_selectorELNS0_4arch9wavefront6targetE0EEEvSK_.has_indirect_call, 0
	.section	.AMDGPU.csdata,"",@progbits
; Kernel info:
; codeLenInByte = 0
; TotalNumSgprs: 0
; NumVgprs: 0
; ScratchSize: 0
; MemoryBound: 0
; FloatMode: 240
; IeeeMode: 1
; LDSByteSize: 0 bytes/workgroup (compile time only)
; SGPRBlocks: 0
; VGPRBlocks: 0
; NumSGPRsForWavesPerEU: 1
; NumVGPRsForWavesPerEU: 1
; Occupancy: 16
; WaveLimiterHint : 0
; COMPUTE_PGM_RSRC2:SCRATCH_EN: 0
; COMPUTE_PGM_RSRC2:USER_SGPR: 2
; COMPUTE_PGM_RSRC2:TRAP_HANDLER: 0
; COMPUTE_PGM_RSRC2:TGID_X_EN: 1
; COMPUTE_PGM_RSRC2:TGID_Y_EN: 0
; COMPUTE_PGM_RSRC2:TGID_Z_EN: 0
; COMPUTE_PGM_RSRC2:TIDIG_COMP_CNT: 0
	.section	.text._ZN7rocprim17ROCPRIM_400000_NS6detail17trampoline_kernelINS0_14default_configENS1_36segmented_radix_sort_config_selectorIblEEZNS1_25segmented_radix_sort_implIS3_Lb1EPKbPbPKlPlN2at6native12_GLOBAL__N_18offset_tEEE10hipError_tPvRmT1_PNSt15iterator_traitsISK_E10value_typeET2_T3_PNSL_ISQ_E10value_typeET4_jRbjT5_SW_jjP12ihipStream_tbEUlT_E2_NS1_11comp_targetILNS1_3genE3ELNS1_11target_archE908ELNS1_3gpuE7ELNS1_3repE0EEENS1_30default_config_static_selectorELNS0_4arch9wavefront6targetE0EEEvSK_,"axG",@progbits,_ZN7rocprim17ROCPRIM_400000_NS6detail17trampoline_kernelINS0_14default_configENS1_36segmented_radix_sort_config_selectorIblEEZNS1_25segmented_radix_sort_implIS3_Lb1EPKbPbPKlPlN2at6native12_GLOBAL__N_18offset_tEEE10hipError_tPvRmT1_PNSt15iterator_traitsISK_E10value_typeET2_T3_PNSL_ISQ_E10value_typeET4_jRbjT5_SW_jjP12ihipStream_tbEUlT_E2_NS1_11comp_targetILNS1_3genE3ELNS1_11target_archE908ELNS1_3gpuE7ELNS1_3repE0EEENS1_30default_config_static_selectorELNS0_4arch9wavefront6targetE0EEEvSK_,comdat
	.globl	_ZN7rocprim17ROCPRIM_400000_NS6detail17trampoline_kernelINS0_14default_configENS1_36segmented_radix_sort_config_selectorIblEEZNS1_25segmented_radix_sort_implIS3_Lb1EPKbPbPKlPlN2at6native12_GLOBAL__N_18offset_tEEE10hipError_tPvRmT1_PNSt15iterator_traitsISK_E10value_typeET2_T3_PNSL_ISQ_E10value_typeET4_jRbjT5_SW_jjP12ihipStream_tbEUlT_E2_NS1_11comp_targetILNS1_3genE3ELNS1_11target_archE908ELNS1_3gpuE7ELNS1_3repE0EEENS1_30default_config_static_selectorELNS0_4arch9wavefront6targetE0EEEvSK_ ; -- Begin function _ZN7rocprim17ROCPRIM_400000_NS6detail17trampoline_kernelINS0_14default_configENS1_36segmented_radix_sort_config_selectorIblEEZNS1_25segmented_radix_sort_implIS3_Lb1EPKbPbPKlPlN2at6native12_GLOBAL__N_18offset_tEEE10hipError_tPvRmT1_PNSt15iterator_traitsISK_E10value_typeET2_T3_PNSL_ISQ_E10value_typeET4_jRbjT5_SW_jjP12ihipStream_tbEUlT_E2_NS1_11comp_targetILNS1_3genE3ELNS1_11target_archE908ELNS1_3gpuE7ELNS1_3repE0EEENS1_30default_config_static_selectorELNS0_4arch9wavefront6targetE0EEEvSK_
	.p2align	8
	.type	_ZN7rocprim17ROCPRIM_400000_NS6detail17trampoline_kernelINS0_14default_configENS1_36segmented_radix_sort_config_selectorIblEEZNS1_25segmented_radix_sort_implIS3_Lb1EPKbPbPKlPlN2at6native12_GLOBAL__N_18offset_tEEE10hipError_tPvRmT1_PNSt15iterator_traitsISK_E10value_typeET2_T3_PNSL_ISQ_E10value_typeET4_jRbjT5_SW_jjP12ihipStream_tbEUlT_E2_NS1_11comp_targetILNS1_3genE3ELNS1_11target_archE908ELNS1_3gpuE7ELNS1_3repE0EEENS1_30default_config_static_selectorELNS0_4arch9wavefront6targetE0EEEvSK_,@function
_ZN7rocprim17ROCPRIM_400000_NS6detail17trampoline_kernelINS0_14default_configENS1_36segmented_radix_sort_config_selectorIblEEZNS1_25segmented_radix_sort_implIS3_Lb1EPKbPbPKlPlN2at6native12_GLOBAL__N_18offset_tEEE10hipError_tPvRmT1_PNSt15iterator_traitsISK_E10value_typeET2_T3_PNSL_ISQ_E10value_typeET4_jRbjT5_SW_jjP12ihipStream_tbEUlT_E2_NS1_11comp_targetILNS1_3genE3ELNS1_11target_archE908ELNS1_3gpuE7ELNS1_3repE0EEENS1_30default_config_static_selectorELNS0_4arch9wavefront6targetE0EEEvSK_: ; @_ZN7rocprim17ROCPRIM_400000_NS6detail17trampoline_kernelINS0_14default_configENS1_36segmented_radix_sort_config_selectorIblEEZNS1_25segmented_radix_sort_implIS3_Lb1EPKbPbPKlPlN2at6native12_GLOBAL__N_18offset_tEEE10hipError_tPvRmT1_PNSt15iterator_traitsISK_E10value_typeET2_T3_PNSL_ISQ_E10value_typeET4_jRbjT5_SW_jjP12ihipStream_tbEUlT_E2_NS1_11comp_targetILNS1_3genE3ELNS1_11target_archE908ELNS1_3gpuE7ELNS1_3repE0EEENS1_30default_config_static_selectorELNS0_4arch9wavefront6targetE0EEEvSK_
; %bb.0:
	.section	.rodata,"a",@progbits
	.p2align	6, 0x0
	.amdhsa_kernel _ZN7rocprim17ROCPRIM_400000_NS6detail17trampoline_kernelINS0_14default_configENS1_36segmented_radix_sort_config_selectorIblEEZNS1_25segmented_radix_sort_implIS3_Lb1EPKbPbPKlPlN2at6native12_GLOBAL__N_18offset_tEEE10hipError_tPvRmT1_PNSt15iterator_traitsISK_E10value_typeET2_T3_PNSL_ISQ_E10value_typeET4_jRbjT5_SW_jjP12ihipStream_tbEUlT_E2_NS1_11comp_targetILNS1_3genE3ELNS1_11target_archE908ELNS1_3gpuE7ELNS1_3repE0EEENS1_30default_config_static_selectorELNS0_4arch9wavefront6targetE0EEEvSK_
		.amdhsa_group_segment_fixed_size 0
		.amdhsa_private_segment_fixed_size 0
		.amdhsa_kernarg_size 80
		.amdhsa_user_sgpr_count 2
		.amdhsa_user_sgpr_dispatch_ptr 0
		.amdhsa_user_sgpr_queue_ptr 0
		.amdhsa_user_sgpr_kernarg_segment_ptr 1
		.amdhsa_user_sgpr_dispatch_id 0
		.amdhsa_user_sgpr_private_segment_size 0
		.amdhsa_wavefront_size32 1
		.amdhsa_uses_dynamic_stack 0
		.amdhsa_enable_private_segment 0
		.amdhsa_system_sgpr_workgroup_id_x 1
		.amdhsa_system_sgpr_workgroup_id_y 0
		.amdhsa_system_sgpr_workgroup_id_z 0
		.amdhsa_system_sgpr_workgroup_info 0
		.amdhsa_system_vgpr_workitem_id 0
		.amdhsa_next_free_vgpr 1
		.amdhsa_next_free_sgpr 1
		.amdhsa_reserve_vcc 0
		.amdhsa_float_round_mode_32 0
		.amdhsa_float_round_mode_16_64 0
		.amdhsa_float_denorm_mode_32 3
		.amdhsa_float_denorm_mode_16_64 3
		.amdhsa_fp16_overflow 0
		.amdhsa_workgroup_processor_mode 1
		.amdhsa_memory_ordered 1
		.amdhsa_forward_progress 1
		.amdhsa_inst_pref_size 0
		.amdhsa_round_robin_scheduling 0
		.amdhsa_exception_fp_ieee_invalid_op 0
		.amdhsa_exception_fp_denorm_src 0
		.amdhsa_exception_fp_ieee_div_zero 0
		.amdhsa_exception_fp_ieee_overflow 0
		.amdhsa_exception_fp_ieee_underflow 0
		.amdhsa_exception_fp_ieee_inexact 0
		.amdhsa_exception_int_div_zero 0
	.end_amdhsa_kernel
	.section	.text._ZN7rocprim17ROCPRIM_400000_NS6detail17trampoline_kernelINS0_14default_configENS1_36segmented_radix_sort_config_selectorIblEEZNS1_25segmented_radix_sort_implIS3_Lb1EPKbPbPKlPlN2at6native12_GLOBAL__N_18offset_tEEE10hipError_tPvRmT1_PNSt15iterator_traitsISK_E10value_typeET2_T3_PNSL_ISQ_E10value_typeET4_jRbjT5_SW_jjP12ihipStream_tbEUlT_E2_NS1_11comp_targetILNS1_3genE3ELNS1_11target_archE908ELNS1_3gpuE7ELNS1_3repE0EEENS1_30default_config_static_selectorELNS0_4arch9wavefront6targetE0EEEvSK_,"axG",@progbits,_ZN7rocprim17ROCPRIM_400000_NS6detail17trampoline_kernelINS0_14default_configENS1_36segmented_radix_sort_config_selectorIblEEZNS1_25segmented_radix_sort_implIS3_Lb1EPKbPbPKlPlN2at6native12_GLOBAL__N_18offset_tEEE10hipError_tPvRmT1_PNSt15iterator_traitsISK_E10value_typeET2_T3_PNSL_ISQ_E10value_typeET4_jRbjT5_SW_jjP12ihipStream_tbEUlT_E2_NS1_11comp_targetILNS1_3genE3ELNS1_11target_archE908ELNS1_3gpuE7ELNS1_3repE0EEENS1_30default_config_static_selectorELNS0_4arch9wavefront6targetE0EEEvSK_,comdat
.Lfunc_end1565:
	.size	_ZN7rocprim17ROCPRIM_400000_NS6detail17trampoline_kernelINS0_14default_configENS1_36segmented_radix_sort_config_selectorIblEEZNS1_25segmented_radix_sort_implIS3_Lb1EPKbPbPKlPlN2at6native12_GLOBAL__N_18offset_tEEE10hipError_tPvRmT1_PNSt15iterator_traitsISK_E10value_typeET2_T3_PNSL_ISQ_E10value_typeET4_jRbjT5_SW_jjP12ihipStream_tbEUlT_E2_NS1_11comp_targetILNS1_3genE3ELNS1_11target_archE908ELNS1_3gpuE7ELNS1_3repE0EEENS1_30default_config_static_selectorELNS0_4arch9wavefront6targetE0EEEvSK_, .Lfunc_end1565-_ZN7rocprim17ROCPRIM_400000_NS6detail17trampoline_kernelINS0_14default_configENS1_36segmented_radix_sort_config_selectorIblEEZNS1_25segmented_radix_sort_implIS3_Lb1EPKbPbPKlPlN2at6native12_GLOBAL__N_18offset_tEEE10hipError_tPvRmT1_PNSt15iterator_traitsISK_E10value_typeET2_T3_PNSL_ISQ_E10value_typeET4_jRbjT5_SW_jjP12ihipStream_tbEUlT_E2_NS1_11comp_targetILNS1_3genE3ELNS1_11target_archE908ELNS1_3gpuE7ELNS1_3repE0EEENS1_30default_config_static_selectorELNS0_4arch9wavefront6targetE0EEEvSK_
                                        ; -- End function
	.set _ZN7rocprim17ROCPRIM_400000_NS6detail17trampoline_kernelINS0_14default_configENS1_36segmented_radix_sort_config_selectorIblEEZNS1_25segmented_radix_sort_implIS3_Lb1EPKbPbPKlPlN2at6native12_GLOBAL__N_18offset_tEEE10hipError_tPvRmT1_PNSt15iterator_traitsISK_E10value_typeET2_T3_PNSL_ISQ_E10value_typeET4_jRbjT5_SW_jjP12ihipStream_tbEUlT_E2_NS1_11comp_targetILNS1_3genE3ELNS1_11target_archE908ELNS1_3gpuE7ELNS1_3repE0EEENS1_30default_config_static_selectorELNS0_4arch9wavefront6targetE0EEEvSK_.num_vgpr, 0
	.set _ZN7rocprim17ROCPRIM_400000_NS6detail17trampoline_kernelINS0_14default_configENS1_36segmented_radix_sort_config_selectorIblEEZNS1_25segmented_radix_sort_implIS3_Lb1EPKbPbPKlPlN2at6native12_GLOBAL__N_18offset_tEEE10hipError_tPvRmT1_PNSt15iterator_traitsISK_E10value_typeET2_T3_PNSL_ISQ_E10value_typeET4_jRbjT5_SW_jjP12ihipStream_tbEUlT_E2_NS1_11comp_targetILNS1_3genE3ELNS1_11target_archE908ELNS1_3gpuE7ELNS1_3repE0EEENS1_30default_config_static_selectorELNS0_4arch9wavefront6targetE0EEEvSK_.num_agpr, 0
	.set _ZN7rocprim17ROCPRIM_400000_NS6detail17trampoline_kernelINS0_14default_configENS1_36segmented_radix_sort_config_selectorIblEEZNS1_25segmented_radix_sort_implIS3_Lb1EPKbPbPKlPlN2at6native12_GLOBAL__N_18offset_tEEE10hipError_tPvRmT1_PNSt15iterator_traitsISK_E10value_typeET2_T3_PNSL_ISQ_E10value_typeET4_jRbjT5_SW_jjP12ihipStream_tbEUlT_E2_NS1_11comp_targetILNS1_3genE3ELNS1_11target_archE908ELNS1_3gpuE7ELNS1_3repE0EEENS1_30default_config_static_selectorELNS0_4arch9wavefront6targetE0EEEvSK_.numbered_sgpr, 0
	.set _ZN7rocprim17ROCPRIM_400000_NS6detail17trampoline_kernelINS0_14default_configENS1_36segmented_radix_sort_config_selectorIblEEZNS1_25segmented_radix_sort_implIS3_Lb1EPKbPbPKlPlN2at6native12_GLOBAL__N_18offset_tEEE10hipError_tPvRmT1_PNSt15iterator_traitsISK_E10value_typeET2_T3_PNSL_ISQ_E10value_typeET4_jRbjT5_SW_jjP12ihipStream_tbEUlT_E2_NS1_11comp_targetILNS1_3genE3ELNS1_11target_archE908ELNS1_3gpuE7ELNS1_3repE0EEENS1_30default_config_static_selectorELNS0_4arch9wavefront6targetE0EEEvSK_.num_named_barrier, 0
	.set _ZN7rocprim17ROCPRIM_400000_NS6detail17trampoline_kernelINS0_14default_configENS1_36segmented_radix_sort_config_selectorIblEEZNS1_25segmented_radix_sort_implIS3_Lb1EPKbPbPKlPlN2at6native12_GLOBAL__N_18offset_tEEE10hipError_tPvRmT1_PNSt15iterator_traitsISK_E10value_typeET2_T3_PNSL_ISQ_E10value_typeET4_jRbjT5_SW_jjP12ihipStream_tbEUlT_E2_NS1_11comp_targetILNS1_3genE3ELNS1_11target_archE908ELNS1_3gpuE7ELNS1_3repE0EEENS1_30default_config_static_selectorELNS0_4arch9wavefront6targetE0EEEvSK_.private_seg_size, 0
	.set _ZN7rocprim17ROCPRIM_400000_NS6detail17trampoline_kernelINS0_14default_configENS1_36segmented_radix_sort_config_selectorIblEEZNS1_25segmented_radix_sort_implIS3_Lb1EPKbPbPKlPlN2at6native12_GLOBAL__N_18offset_tEEE10hipError_tPvRmT1_PNSt15iterator_traitsISK_E10value_typeET2_T3_PNSL_ISQ_E10value_typeET4_jRbjT5_SW_jjP12ihipStream_tbEUlT_E2_NS1_11comp_targetILNS1_3genE3ELNS1_11target_archE908ELNS1_3gpuE7ELNS1_3repE0EEENS1_30default_config_static_selectorELNS0_4arch9wavefront6targetE0EEEvSK_.uses_vcc, 0
	.set _ZN7rocprim17ROCPRIM_400000_NS6detail17trampoline_kernelINS0_14default_configENS1_36segmented_radix_sort_config_selectorIblEEZNS1_25segmented_radix_sort_implIS3_Lb1EPKbPbPKlPlN2at6native12_GLOBAL__N_18offset_tEEE10hipError_tPvRmT1_PNSt15iterator_traitsISK_E10value_typeET2_T3_PNSL_ISQ_E10value_typeET4_jRbjT5_SW_jjP12ihipStream_tbEUlT_E2_NS1_11comp_targetILNS1_3genE3ELNS1_11target_archE908ELNS1_3gpuE7ELNS1_3repE0EEENS1_30default_config_static_selectorELNS0_4arch9wavefront6targetE0EEEvSK_.uses_flat_scratch, 0
	.set _ZN7rocprim17ROCPRIM_400000_NS6detail17trampoline_kernelINS0_14default_configENS1_36segmented_radix_sort_config_selectorIblEEZNS1_25segmented_radix_sort_implIS3_Lb1EPKbPbPKlPlN2at6native12_GLOBAL__N_18offset_tEEE10hipError_tPvRmT1_PNSt15iterator_traitsISK_E10value_typeET2_T3_PNSL_ISQ_E10value_typeET4_jRbjT5_SW_jjP12ihipStream_tbEUlT_E2_NS1_11comp_targetILNS1_3genE3ELNS1_11target_archE908ELNS1_3gpuE7ELNS1_3repE0EEENS1_30default_config_static_selectorELNS0_4arch9wavefront6targetE0EEEvSK_.has_dyn_sized_stack, 0
	.set _ZN7rocprim17ROCPRIM_400000_NS6detail17trampoline_kernelINS0_14default_configENS1_36segmented_radix_sort_config_selectorIblEEZNS1_25segmented_radix_sort_implIS3_Lb1EPKbPbPKlPlN2at6native12_GLOBAL__N_18offset_tEEE10hipError_tPvRmT1_PNSt15iterator_traitsISK_E10value_typeET2_T3_PNSL_ISQ_E10value_typeET4_jRbjT5_SW_jjP12ihipStream_tbEUlT_E2_NS1_11comp_targetILNS1_3genE3ELNS1_11target_archE908ELNS1_3gpuE7ELNS1_3repE0EEENS1_30default_config_static_selectorELNS0_4arch9wavefront6targetE0EEEvSK_.has_recursion, 0
	.set _ZN7rocprim17ROCPRIM_400000_NS6detail17trampoline_kernelINS0_14default_configENS1_36segmented_radix_sort_config_selectorIblEEZNS1_25segmented_radix_sort_implIS3_Lb1EPKbPbPKlPlN2at6native12_GLOBAL__N_18offset_tEEE10hipError_tPvRmT1_PNSt15iterator_traitsISK_E10value_typeET2_T3_PNSL_ISQ_E10value_typeET4_jRbjT5_SW_jjP12ihipStream_tbEUlT_E2_NS1_11comp_targetILNS1_3genE3ELNS1_11target_archE908ELNS1_3gpuE7ELNS1_3repE0EEENS1_30default_config_static_selectorELNS0_4arch9wavefront6targetE0EEEvSK_.has_indirect_call, 0
	.section	.AMDGPU.csdata,"",@progbits
; Kernel info:
; codeLenInByte = 0
; TotalNumSgprs: 0
; NumVgprs: 0
; ScratchSize: 0
; MemoryBound: 0
; FloatMode: 240
; IeeeMode: 1
; LDSByteSize: 0 bytes/workgroup (compile time only)
; SGPRBlocks: 0
; VGPRBlocks: 0
; NumSGPRsForWavesPerEU: 1
; NumVGPRsForWavesPerEU: 1
; Occupancy: 16
; WaveLimiterHint : 0
; COMPUTE_PGM_RSRC2:SCRATCH_EN: 0
; COMPUTE_PGM_RSRC2:USER_SGPR: 2
; COMPUTE_PGM_RSRC2:TRAP_HANDLER: 0
; COMPUTE_PGM_RSRC2:TGID_X_EN: 1
; COMPUTE_PGM_RSRC2:TGID_Y_EN: 0
; COMPUTE_PGM_RSRC2:TGID_Z_EN: 0
; COMPUTE_PGM_RSRC2:TIDIG_COMP_CNT: 0
	.section	.text._ZN7rocprim17ROCPRIM_400000_NS6detail17trampoline_kernelINS0_14default_configENS1_36segmented_radix_sort_config_selectorIblEEZNS1_25segmented_radix_sort_implIS3_Lb1EPKbPbPKlPlN2at6native12_GLOBAL__N_18offset_tEEE10hipError_tPvRmT1_PNSt15iterator_traitsISK_E10value_typeET2_T3_PNSL_ISQ_E10value_typeET4_jRbjT5_SW_jjP12ihipStream_tbEUlT_E2_NS1_11comp_targetILNS1_3genE2ELNS1_11target_archE906ELNS1_3gpuE6ELNS1_3repE0EEENS1_30default_config_static_selectorELNS0_4arch9wavefront6targetE0EEEvSK_,"axG",@progbits,_ZN7rocprim17ROCPRIM_400000_NS6detail17trampoline_kernelINS0_14default_configENS1_36segmented_radix_sort_config_selectorIblEEZNS1_25segmented_radix_sort_implIS3_Lb1EPKbPbPKlPlN2at6native12_GLOBAL__N_18offset_tEEE10hipError_tPvRmT1_PNSt15iterator_traitsISK_E10value_typeET2_T3_PNSL_ISQ_E10value_typeET4_jRbjT5_SW_jjP12ihipStream_tbEUlT_E2_NS1_11comp_targetILNS1_3genE2ELNS1_11target_archE906ELNS1_3gpuE6ELNS1_3repE0EEENS1_30default_config_static_selectorELNS0_4arch9wavefront6targetE0EEEvSK_,comdat
	.globl	_ZN7rocprim17ROCPRIM_400000_NS6detail17trampoline_kernelINS0_14default_configENS1_36segmented_radix_sort_config_selectorIblEEZNS1_25segmented_radix_sort_implIS3_Lb1EPKbPbPKlPlN2at6native12_GLOBAL__N_18offset_tEEE10hipError_tPvRmT1_PNSt15iterator_traitsISK_E10value_typeET2_T3_PNSL_ISQ_E10value_typeET4_jRbjT5_SW_jjP12ihipStream_tbEUlT_E2_NS1_11comp_targetILNS1_3genE2ELNS1_11target_archE906ELNS1_3gpuE6ELNS1_3repE0EEENS1_30default_config_static_selectorELNS0_4arch9wavefront6targetE0EEEvSK_ ; -- Begin function _ZN7rocprim17ROCPRIM_400000_NS6detail17trampoline_kernelINS0_14default_configENS1_36segmented_radix_sort_config_selectorIblEEZNS1_25segmented_radix_sort_implIS3_Lb1EPKbPbPKlPlN2at6native12_GLOBAL__N_18offset_tEEE10hipError_tPvRmT1_PNSt15iterator_traitsISK_E10value_typeET2_T3_PNSL_ISQ_E10value_typeET4_jRbjT5_SW_jjP12ihipStream_tbEUlT_E2_NS1_11comp_targetILNS1_3genE2ELNS1_11target_archE906ELNS1_3gpuE6ELNS1_3repE0EEENS1_30default_config_static_selectorELNS0_4arch9wavefront6targetE0EEEvSK_
	.p2align	8
	.type	_ZN7rocprim17ROCPRIM_400000_NS6detail17trampoline_kernelINS0_14default_configENS1_36segmented_radix_sort_config_selectorIblEEZNS1_25segmented_radix_sort_implIS3_Lb1EPKbPbPKlPlN2at6native12_GLOBAL__N_18offset_tEEE10hipError_tPvRmT1_PNSt15iterator_traitsISK_E10value_typeET2_T3_PNSL_ISQ_E10value_typeET4_jRbjT5_SW_jjP12ihipStream_tbEUlT_E2_NS1_11comp_targetILNS1_3genE2ELNS1_11target_archE906ELNS1_3gpuE6ELNS1_3repE0EEENS1_30default_config_static_selectorELNS0_4arch9wavefront6targetE0EEEvSK_,@function
_ZN7rocprim17ROCPRIM_400000_NS6detail17trampoline_kernelINS0_14default_configENS1_36segmented_radix_sort_config_selectorIblEEZNS1_25segmented_radix_sort_implIS3_Lb1EPKbPbPKlPlN2at6native12_GLOBAL__N_18offset_tEEE10hipError_tPvRmT1_PNSt15iterator_traitsISK_E10value_typeET2_T3_PNSL_ISQ_E10value_typeET4_jRbjT5_SW_jjP12ihipStream_tbEUlT_E2_NS1_11comp_targetILNS1_3genE2ELNS1_11target_archE906ELNS1_3gpuE6ELNS1_3repE0EEENS1_30default_config_static_selectorELNS0_4arch9wavefront6targetE0EEEvSK_: ; @_ZN7rocprim17ROCPRIM_400000_NS6detail17trampoline_kernelINS0_14default_configENS1_36segmented_radix_sort_config_selectorIblEEZNS1_25segmented_radix_sort_implIS3_Lb1EPKbPbPKlPlN2at6native12_GLOBAL__N_18offset_tEEE10hipError_tPvRmT1_PNSt15iterator_traitsISK_E10value_typeET2_T3_PNSL_ISQ_E10value_typeET4_jRbjT5_SW_jjP12ihipStream_tbEUlT_E2_NS1_11comp_targetILNS1_3genE2ELNS1_11target_archE906ELNS1_3gpuE6ELNS1_3repE0EEENS1_30default_config_static_selectorELNS0_4arch9wavefront6targetE0EEEvSK_
; %bb.0:
	.section	.rodata,"a",@progbits
	.p2align	6, 0x0
	.amdhsa_kernel _ZN7rocprim17ROCPRIM_400000_NS6detail17trampoline_kernelINS0_14default_configENS1_36segmented_radix_sort_config_selectorIblEEZNS1_25segmented_radix_sort_implIS3_Lb1EPKbPbPKlPlN2at6native12_GLOBAL__N_18offset_tEEE10hipError_tPvRmT1_PNSt15iterator_traitsISK_E10value_typeET2_T3_PNSL_ISQ_E10value_typeET4_jRbjT5_SW_jjP12ihipStream_tbEUlT_E2_NS1_11comp_targetILNS1_3genE2ELNS1_11target_archE906ELNS1_3gpuE6ELNS1_3repE0EEENS1_30default_config_static_selectorELNS0_4arch9wavefront6targetE0EEEvSK_
		.amdhsa_group_segment_fixed_size 0
		.amdhsa_private_segment_fixed_size 0
		.amdhsa_kernarg_size 80
		.amdhsa_user_sgpr_count 2
		.amdhsa_user_sgpr_dispatch_ptr 0
		.amdhsa_user_sgpr_queue_ptr 0
		.amdhsa_user_sgpr_kernarg_segment_ptr 1
		.amdhsa_user_sgpr_dispatch_id 0
		.amdhsa_user_sgpr_private_segment_size 0
		.amdhsa_wavefront_size32 1
		.amdhsa_uses_dynamic_stack 0
		.amdhsa_enable_private_segment 0
		.amdhsa_system_sgpr_workgroup_id_x 1
		.amdhsa_system_sgpr_workgroup_id_y 0
		.amdhsa_system_sgpr_workgroup_id_z 0
		.amdhsa_system_sgpr_workgroup_info 0
		.amdhsa_system_vgpr_workitem_id 0
		.amdhsa_next_free_vgpr 1
		.amdhsa_next_free_sgpr 1
		.amdhsa_reserve_vcc 0
		.amdhsa_float_round_mode_32 0
		.amdhsa_float_round_mode_16_64 0
		.amdhsa_float_denorm_mode_32 3
		.amdhsa_float_denorm_mode_16_64 3
		.amdhsa_fp16_overflow 0
		.amdhsa_workgroup_processor_mode 1
		.amdhsa_memory_ordered 1
		.amdhsa_forward_progress 1
		.amdhsa_inst_pref_size 0
		.amdhsa_round_robin_scheduling 0
		.amdhsa_exception_fp_ieee_invalid_op 0
		.amdhsa_exception_fp_denorm_src 0
		.amdhsa_exception_fp_ieee_div_zero 0
		.amdhsa_exception_fp_ieee_overflow 0
		.amdhsa_exception_fp_ieee_underflow 0
		.amdhsa_exception_fp_ieee_inexact 0
		.amdhsa_exception_int_div_zero 0
	.end_amdhsa_kernel
	.section	.text._ZN7rocprim17ROCPRIM_400000_NS6detail17trampoline_kernelINS0_14default_configENS1_36segmented_radix_sort_config_selectorIblEEZNS1_25segmented_radix_sort_implIS3_Lb1EPKbPbPKlPlN2at6native12_GLOBAL__N_18offset_tEEE10hipError_tPvRmT1_PNSt15iterator_traitsISK_E10value_typeET2_T3_PNSL_ISQ_E10value_typeET4_jRbjT5_SW_jjP12ihipStream_tbEUlT_E2_NS1_11comp_targetILNS1_3genE2ELNS1_11target_archE906ELNS1_3gpuE6ELNS1_3repE0EEENS1_30default_config_static_selectorELNS0_4arch9wavefront6targetE0EEEvSK_,"axG",@progbits,_ZN7rocprim17ROCPRIM_400000_NS6detail17trampoline_kernelINS0_14default_configENS1_36segmented_radix_sort_config_selectorIblEEZNS1_25segmented_radix_sort_implIS3_Lb1EPKbPbPKlPlN2at6native12_GLOBAL__N_18offset_tEEE10hipError_tPvRmT1_PNSt15iterator_traitsISK_E10value_typeET2_T3_PNSL_ISQ_E10value_typeET4_jRbjT5_SW_jjP12ihipStream_tbEUlT_E2_NS1_11comp_targetILNS1_3genE2ELNS1_11target_archE906ELNS1_3gpuE6ELNS1_3repE0EEENS1_30default_config_static_selectorELNS0_4arch9wavefront6targetE0EEEvSK_,comdat
.Lfunc_end1566:
	.size	_ZN7rocprim17ROCPRIM_400000_NS6detail17trampoline_kernelINS0_14default_configENS1_36segmented_radix_sort_config_selectorIblEEZNS1_25segmented_radix_sort_implIS3_Lb1EPKbPbPKlPlN2at6native12_GLOBAL__N_18offset_tEEE10hipError_tPvRmT1_PNSt15iterator_traitsISK_E10value_typeET2_T3_PNSL_ISQ_E10value_typeET4_jRbjT5_SW_jjP12ihipStream_tbEUlT_E2_NS1_11comp_targetILNS1_3genE2ELNS1_11target_archE906ELNS1_3gpuE6ELNS1_3repE0EEENS1_30default_config_static_selectorELNS0_4arch9wavefront6targetE0EEEvSK_, .Lfunc_end1566-_ZN7rocprim17ROCPRIM_400000_NS6detail17trampoline_kernelINS0_14default_configENS1_36segmented_radix_sort_config_selectorIblEEZNS1_25segmented_radix_sort_implIS3_Lb1EPKbPbPKlPlN2at6native12_GLOBAL__N_18offset_tEEE10hipError_tPvRmT1_PNSt15iterator_traitsISK_E10value_typeET2_T3_PNSL_ISQ_E10value_typeET4_jRbjT5_SW_jjP12ihipStream_tbEUlT_E2_NS1_11comp_targetILNS1_3genE2ELNS1_11target_archE906ELNS1_3gpuE6ELNS1_3repE0EEENS1_30default_config_static_selectorELNS0_4arch9wavefront6targetE0EEEvSK_
                                        ; -- End function
	.set _ZN7rocprim17ROCPRIM_400000_NS6detail17trampoline_kernelINS0_14default_configENS1_36segmented_radix_sort_config_selectorIblEEZNS1_25segmented_radix_sort_implIS3_Lb1EPKbPbPKlPlN2at6native12_GLOBAL__N_18offset_tEEE10hipError_tPvRmT1_PNSt15iterator_traitsISK_E10value_typeET2_T3_PNSL_ISQ_E10value_typeET4_jRbjT5_SW_jjP12ihipStream_tbEUlT_E2_NS1_11comp_targetILNS1_3genE2ELNS1_11target_archE906ELNS1_3gpuE6ELNS1_3repE0EEENS1_30default_config_static_selectorELNS0_4arch9wavefront6targetE0EEEvSK_.num_vgpr, 0
	.set _ZN7rocprim17ROCPRIM_400000_NS6detail17trampoline_kernelINS0_14default_configENS1_36segmented_radix_sort_config_selectorIblEEZNS1_25segmented_radix_sort_implIS3_Lb1EPKbPbPKlPlN2at6native12_GLOBAL__N_18offset_tEEE10hipError_tPvRmT1_PNSt15iterator_traitsISK_E10value_typeET2_T3_PNSL_ISQ_E10value_typeET4_jRbjT5_SW_jjP12ihipStream_tbEUlT_E2_NS1_11comp_targetILNS1_3genE2ELNS1_11target_archE906ELNS1_3gpuE6ELNS1_3repE0EEENS1_30default_config_static_selectorELNS0_4arch9wavefront6targetE0EEEvSK_.num_agpr, 0
	.set _ZN7rocprim17ROCPRIM_400000_NS6detail17trampoline_kernelINS0_14default_configENS1_36segmented_radix_sort_config_selectorIblEEZNS1_25segmented_radix_sort_implIS3_Lb1EPKbPbPKlPlN2at6native12_GLOBAL__N_18offset_tEEE10hipError_tPvRmT1_PNSt15iterator_traitsISK_E10value_typeET2_T3_PNSL_ISQ_E10value_typeET4_jRbjT5_SW_jjP12ihipStream_tbEUlT_E2_NS1_11comp_targetILNS1_3genE2ELNS1_11target_archE906ELNS1_3gpuE6ELNS1_3repE0EEENS1_30default_config_static_selectorELNS0_4arch9wavefront6targetE0EEEvSK_.numbered_sgpr, 0
	.set _ZN7rocprim17ROCPRIM_400000_NS6detail17trampoline_kernelINS0_14default_configENS1_36segmented_radix_sort_config_selectorIblEEZNS1_25segmented_radix_sort_implIS3_Lb1EPKbPbPKlPlN2at6native12_GLOBAL__N_18offset_tEEE10hipError_tPvRmT1_PNSt15iterator_traitsISK_E10value_typeET2_T3_PNSL_ISQ_E10value_typeET4_jRbjT5_SW_jjP12ihipStream_tbEUlT_E2_NS1_11comp_targetILNS1_3genE2ELNS1_11target_archE906ELNS1_3gpuE6ELNS1_3repE0EEENS1_30default_config_static_selectorELNS0_4arch9wavefront6targetE0EEEvSK_.num_named_barrier, 0
	.set _ZN7rocprim17ROCPRIM_400000_NS6detail17trampoline_kernelINS0_14default_configENS1_36segmented_radix_sort_config_selectorIblEEZNS1_25segmented_radix_sort_implIS3_Lb1EPKbPbPKlPlN2at6native12_GLOBAL__N_18offset_tEEE10hipError_tPvRmT1_PNSt15iterator_traitsISK_E10value_typeET2_T3_PNSL_ISQ_E10value_typeET4_jRbjT5_SW_jjP12ihipStream_tbEUlT_E2_NS1_11comp_targetILNS1_3genE2ELNS1_11target_archE906ELNS1_3gpuE6ELNS1_3repE0EEENS1_30default_config_static_selectorELNS0_4arch9wavefront6targetE0EEEvSK_.private_seg_size, 0
	.set _ZN7rocprim17ROCPRIM_400000_NS6detail17trampoline_kernelINS0_14default_configENS1_36segmented_radix_sort_config_selectorIblEEZNS1_25segmented_radix_sort_implIS3_Lb1EPKbPbPKlPlN2at6native12_GLOBAL__N_18offset_tEEE10hipError_tPvRmT1_PNSt15iterator_traitsISK_E10value_typeET2_T3_PNSL_ISQ_E10value_typeET4_jRbjT5_SW_jjP12ihipStream_tbEUlT_E2_NS1_11comp_targetILNS1_3genE2ELNS1_11target_archE906ELNS1_3gpuE6ELNS1_3repE0EEENS1_30default_config_static_selectorELNS0_4arch9wavefront6targetE0EEEvSK_.uses_vcc, 0
	.set _ZN7rocprim17ROCPRIM_400000_NS6detail17trampoline_kernelINS0_14default_configENS1_36segmented_radix_sort_config_selectorIblEEZNS1_25segmented_radix_sort_implIS3_Lb1EPKbPbPKlPlN2at6native12_GLOBAL__N_18offset_tEEE10hipError_tPvRmT1_PNSt15iterator_traitsISK_E10value_typeET2_T3_PNSL_ISQ_E10value_typeET4_jRbjT5_SW_jjP12ihipStream_tbEUlT_E2_NS1_11comp_targetILNS1_3genE2ELNS1_11target_archE906ELNS1_3gpuE6ELNS1_3repE0EEENS1_30default_config_static_selectorELNS0_4arch9wavefront6targetE0EEEvSK_.uses_flat_scratch, 0
	.set _ZN7rocprim17ROCPRIM_400000_NS6detail17trampoline_kernelINS0_14default_configENS1_36segmented_radix_sort_config_selectorIblEEZNS1_25segmented_radix_sort_implIS3_Lb1EPKbPbPKlPlN2at6native12_GLOBAL__N_18offset_tEEE10hipError_tPvRmT1_PNSt15iterator_traitsISK_E10value_typeET2_T3_PNSL_ISQ_E10value_typeET4_jRbjT5_SW_jjP12ihipStream_tbEUlT_E2_NS1_11comp_targetILNS1_3genE2ELNS1_11target_archE906ELNS1_3gpuE6ELNS1_3repE0EEENS1_30default_config_static_selectorELNS0_4arch9wavefront6targetE0EEEvSK_.has_dyn_sized_stack, 0
	.set _ZN7rocprim17ROCPRIM_400000_NS6detail17trampoline_kernelINS0_14default_configENS1_36segmented_radix_sort_config_selectorIblEEZNS1_25segmented_radix_sort_implIS3_Lb1EPKbPbPKlPlN2at6native12_GLOBAL__N_18offset_tEEE10hipError_tPvRmT1_PNSt15iterator_traitsISK_E10value_typeET2_T3_PNSL_ISQ_E10value_typeET4_jRbjT5_SW_jjP12ihipStream_tbEUlT_E2_NS1_11comp_targetILNS1_3genE2ELNS1_11target_archE906ELNS1_3gpuE6ELNS1_3repE0EEENS1_30default_config_static_selectorELNS0_4arch9wavefront6targetE0EEEvSK_.has_recursion, 0
	.set _ZN7rocprim17ROCPRIM_400000_NS6detail17trampoline_kernelINS0_14default_configENS1_36segmented_radix_sort_config_selectorIblEEZNS1_25segmented_radix_sort_implIS3_Lb1EPKbPbPKlPlN2at6native12_GLOBAL__N_18offset_tEEE10hipError_tPvRmT1_PNSt15iterator_traitsISK_E10value_typeET2_T3_PNSL_ISQ_E10value_typeET4_jRbjT5_SW_jjP12ihipStream_tbEUlT_E2_NS1_11comp_targetILNS1_3genE2ELNS1_11target_archE906ELNS1_3gpuE6ELNS1_3repE0EEENS1_30default_config_static_selectorELNS0_4arch9wavefront6targetE0EEEvSK_.has_indirect_call, 0
	.section	.AMDGPU.csdata,"",@progbits
; Kernel info:
; codeLenInByte = 0
; TotalNumSgprs: 0
; NumVgprs: 0
; ScratchSize: 0
; MemoryBound: 0
; FloatMode: 240
; IeeeMode: 1
; LDSByteSize: 0 bytes/workgroup (compile time only)
; SGPRBlocks: 0
; VGPRBlocks: 0
; NumSGPRsForWavesPerEU: 1
; NumVGPRsForWavesPerEU: 1
; Occupancy: 16
; WaveLimiterHint : 0
; COMPUTE_PGM_RSRC2:SCRATCH_EN: 0
; COMPUTE_PGM_RSRC2:USER_SGPR: 2
; COMPUTE_PGM_RSRC2:TRAP_HANDLER: 0
; COMPUTE_PGM_RSRC2:TGID_X_EN: 1
; COMPUTE_PGM_RSRC2:TGID_Y_EN: 0
; COMPUTE_PGM_RSRC2:TGID_Z_EN: 0
; COMPUTE_PGM_RSRC2:TIDIG_COMP_CNT: 0
	.section	.text._ZN7rocprim17ROCPRIM_400000_NS6detail17trampoline_kernelINS0_14default_configENS1_36segmented_radix_sort_config_selectorIblEEZNS1_25segmented_radix_sort_implIS3_Lb1EPKbPbPKlPlN2at6native12_GLOBAL__N_18offset_tEEE10hipError_tPvRmT1_PNSt15iterator_traitsISK_E10value_typeET2_T3_PNSL_ISQ_E10value_typeET4_jRbjT5_SW_jjP12ihipStream_tbEUlT_E2_NS1_11comp_targetILNS1_3genE10ELNS1_11target_archE1201ELNS1_3gpuE5ELNS1_3repE0EEENS1_30default_config_static_selectorELNS0_4arch9wavefront6targetE0EEEvSK_,"axG",@progbits,_ZN7rocprim17ROCPRIM_400000_NS6detail17trampoline_kernelINS0_14default_configENS1_36segmented_radix_sort_config_selectorIblEEZNS1_25segmented_radix_sort_implIS3_Lb1EPKbPbPKlPlN2at6native12_GLOBAL__N_18offset_tEEE10hipError_tPvRmT1_PNSt15iterator_traitsISK_E10value_typeET2_T3_PNSL_ISQ_E10value_typeET4_jRbjT5_SW_jjP12ihipStream_tbEUlT_E2_NS1_11comp_targetILNS1_3genE10ELNS1_11target_archE1201ELNS1_3gpuE5ELNS1_3repE0EEENS1_30default_config_static_selectorELNS0_4arch9wavefront6targetE0EEEvSK_,comdat
	.globl	_ZN7rocprim17ROCPRIM_400000_NS6detail17trampoline_kernelINS0_14default_configENS1_36segmented_radix_sort_config_selectorIblEEZNS1_25segmented_radix_sort_implIS3_Lb1EPKbPbPKlPlN2at6native12_GLOBAL__N_18offset_tEEE10hipError_tPvRmT1_PNSt15iterator_traitsISK_E10value_typeET2_T3_PNSL_ISQ_E10value_typeET4_jRbjT5_SW_jjP12ihipStream_tbEUlT_E2_NS1_11comp_targetILNS1_3genE10ELNS1_11target_archE1201ELNS1_3gpuE5ELNS1_3repE0EEENS1_30default_config_static_selectorELNS0_4arch9wavefront6targetE0EEEvSK_ ; -- Begin function _ZN7rocprim17ROCPRIM_400000_NS6detail17trampoline_kernelINS0_14default_configENS1_36segmented_radix_sort_config_selectorIblEEZNS1_25segmented_radix_sort_implIS3_Lb1EPKbPbPKlPlN2at6native12_GLOBAL__N_18offset_tEEE10hipError_tPvRmT1_PNSt15iterator_traitsISK_E10value_typeET2_T3_PNSL_ISQ_E10value_typeET4_jRbjT5_SW_jjP12ihipStream_tbEUlT_E2_NS1_11comp_targetILNS1_3genE10ELNS1_11target_archE1201ELNS1_3gpuE5ELNS1_3repE0EEENS1_30default_config_static_selectorELNS0_4arch9wavefront6targetE0EEEvSK_
	.p2align	8
	.type	_ZN7rocprim17ROCPRIM_400000_NS6detail17trampoline_kernelINS0_14default_configENS1_36segmented_radix_sort_config_selectorIblEEZNS1_25segmented_radix_sort_implIS3_Lb1EPKbPbPKlPlN2at6native12_GLOBAL__N_18offset_tEEE10hipError_tPvRmT1_PNSt15iterator_traitsISK_E10value_typeET2_T3_PNSL_ISQ_E10value_typeET4_jRbjT5_SW_jjP12ihipStream_tbEUlT_E2_NS1_11comp_targetILNS1_3genE10ELNS1_11target_archE1201ELNS1_3gpuE5ELNS1_3repE0EEENS1_30default_config_static_selectorELNS0_4arch9wavefront6targetE0EEEvSK_,@function
_ZN7rocprim17ROCPRIM_400000_NS6detail17trampoline_kernelINS0_14default_configENS1_36segmented_radix_sort_config_selectorIblEEZNS1_25segmented_radix_sort_implIS3_Lb1EPKbPbPKlPlN2at6native12_GLOBAL__N_18offset_tEEE10hipError_tPvRmT1_PNSt15iterator_traitsISK_E10value_typeET2_T3_PNSL_ISQ_E10value_typeET4_jRbjT5_SW_jjP12ihipStream_tbEUlT_E2_NS1_11comp_targetILNS1_3genE10ELNS1_11target_archE1201ELNS1_3gpuE5ELNS1_3repE0EEENS1_30default_config_static_selectorELNS0_4arch9wavefront6targetE0EEEvSK_: ; @_ZN7rocprim17ROCPRIM_400000_NS6detail17trampoline_kernelINS0_14default_configENS1_36segmented_radix_sort_config_selectorIblEEZNS1_25segmented_radix_sort_implIS3_Lb1EPKbPbPKlPlN2at6native12_GLOBAL__N_18offset_tEEE10hipError_tPvRmT1_PNSt15iterator_traitsISK_E10value_typeET2_T3_PNSL_ISQ_E10value_typeET4_jRbjT5_SW_jjP12ihipStream_tbEUlT_E2_NS1_11comp_targetILNS1_3genE10ELNS1_11target_archE1201ELNS1_3gpuE5ELNS1_3repE0EEENS1_30default_config_static_selectorELNS0_4arch9wavefront6targetE0EEEvSK_
; %bb.0:
	s_load_b128 s[4:7], s[0:1], 0x34
	s_mov_b32 s32, 0
	s_wait_kmcnt 0x0
	s_add_co_i32 s33, s5, ttmp9
	s_add_co_i32 s34, s7, ttmp9
	s_mul_i32 s33, s33, s4
	s_mul_i32 s34, s34, s6
	s_delay_alu instid0(SALU_CYCLE_1)
	s_cmp_le_u32 s34, s33
	s_cbranch_scc1 .LBB1567_678
; %bb.1:
	s_clause 0x3
	s_load_b32 s2, s[0:1], 0x30
	s_load_b128 s[24:27], s[0:1], 0x20
	s_load_b96 s[44:46], s[0:1], 0x44
	s_load_b256 s[36:43], s[0:1], 0x0
	s_wait_kmcnt 0x0
	s_bitcmp1_b32 s2, 0
	s_mov_b32 s2, -1
	s_cselect_b32 s35, -1, 0
	s_sub_co_i32 s47, s34, s33
	s_delay_alu instid0(SALU_CYCLE_1)
	s_cmp_lt_u32 s47, 0x801
	s_cbranch_scc0 .LBB1567_15
; %bb.2:
	s_cmp_lt_u32 s47, 33
	s_cbranch_scc0 .LBB1567_9
; %bb.3:
	s_load_b32 s2, s[0:1], 0x5c
	v_bfe_u32 v1, v0, 10, 10
	v_bfe_u32 v2, v0, 20, 10
	s_mov_b32 s16, exec_lo
	s_wait_kmcnt 0x0
	s_lshr_b32 s3, s2, 16
	s_and_b32 s2, s2, 0xffff
	v_mad_u32_u24 v2, v2, s3, v1
	v_and_b32_e32 v1, 0x3ff, v0
	s_delay_alu instid0(VALU_DEP_1) | instskip(NEXT) | instid1(VALU_DEP_1)
	v_mad_co_u64_u32 v[1:2], null, v2, s2, v[1:2]
	v_cmpx_gt_u32_e32 8, v1
	s_cbranch_execz .LBB1567_8
; %bb.4:
	v_cndmask_b32_e64 v1, 0, 1, s35
	s_and_b32 s2, s44, 1
	s_wait_alu 0xfffe
	s_delay_alu instid0(VALU_DEP_1)
	v_cmp_ne_u32_e32 vcc_lo, s2, v1
	s_mov_b32 s2, -1
	s_cbranch_vccnz .LBB1567_6
; %bb.5:
	s_mov_b64 s[2:3], src_shared_base
	v_dual_mov_b32 v31, v0 :: v_dual_mov_b32 v40, v0
	v_dual_mov_b32 v0, s36 :: v_dual_mov_b32 v1, s37
	;; [unrolled: 1-line block ×7, first 2 shown]
	s_wait_alu 0xfffe
	v_dual_mov_b32 v12, 0 :: v_dual_mov_b32 v13, s3
	s_add_nc_u64 s[8:9], s[0:1], 0x50
	s_getpc_b64 s[4:5]
	s_sext_i32_i16 s5, s5
	s_add_co_u32 s4, s4, _ZN7rocprim17ROCPRIM_400000_NS6detail26segmented_warp_sort_helperINS1_20WarpSortHelperConfigILj8ELj4ELj256EEEblLi256ELb1EvE4sortIPKbPbPKlPlEEvT_T0_T1_T2_jjjjRNS5_12storage_typeE@rel32@lo+8
	s_add_co_ci_u32 s5, s5, _ZN7rocprim17ROCPRIM_400000_NS6detail26segmented_warp_sort_helperINS1_20WarpSortHelperConfigILj8ELj4ELj256EEEblLi256ELb1EvE4sortIPKbPbPKlPlEEvT_T0_T1_T2_jjjjRNS5_12storage_typeE@rel32@hi+16
	s_mov_b64 s[14:15], s[0:1]
	s_swappc_b64 s[30:31], s[4:5]
	v_mov_b32_e32 v0, v40
	s_mov_b64 s[0:1], s[14:15]
	s_mov_b32 s2, 0
.LBB1567_6:
	s_wait_alu 0xfffe
	s_and_not1_b32 vcc_lo, exec_lo, s2
	s_wait_alu 0xfffe
	s_cbranch_vccnz .LBB1567_8
; %bb.7:
	s_mov_b64 s[2:3], src_shared_base
	v_dual_mov_b32 v31, v0 :: v_dual_mov_b32 v40, v0
	v_dual_mov_b32 v0, s36 :: v_dual_mov_b32 v1, s37
	;; [unrolled: 1-line block ×7, first 2 shown]
	s_wait_alu 0xfffe
	v_dual_mov_b32 v12, 0 :: v_dual_mov_b32 v13, s3
	s_add_nc_u64 s[8:9], s[0:1], 0x50
	s_getpc_b64 s[4:5]
	s_wait_alu 0xfffe
	s_sext_i32_i16 s5, s5
	s_add_co_u32 s4, s4, _ZN7rocprim17ROCPRIM_400000_NS6detail26segmented_warp_sort_helperINS1_20WarpSortHelperConfigILj8ELj4ELj256EEEblLi256ELb1EvE4sortIPKbPbPKlPlEEvT_T0_T1_T2_jjjjRNS5_12storage_typeE@rel32@lo+12
	s_wait_alu 0xfffe
	s_add_co_ci_u32 s5, s5, _ZN7rocprim17ROCPRIM_400000_NS6detail26segmented_warp_sort_helperINS1_20WarpSortHelperConfigILj8ELj4ELj256EEEblLi256ELb1EvE4sortIPKbPbPKlPlEEvT_T0_T1_T2_jjjjRNS5_12storage_typeE@rel32@hi+24
	s_mov_b64 s[14:15], s[0:1]
	s_wait_alu 0xfffe
	s_swappc_b64 s[30:31], s[4:5]
	v_mov_b32_e32 v0, v40
	s_mov_b64 s[0:1], s[14:15]
.LBB1567_8:
	s_or_b32 exec_lo, exec_lo, s16
	s_mov_b32 s2, 0
.LBB1567_9:
	s_wait_alu 0xfffe
	s_and_not1_b32 vcc_lo, exec_lo, s2
	s_wait_alu 0xfffe
	s_cbranch_vccnz .LBB1567_14
; %bb.10:
	v_cndmask_b32_e64 v1, 0, 1, s35
	s_and_b32 s2, s44, 1
	s_wait_alu 0xfffe
	s_delay_alu instid0(VALU_DEP_1)
	v_cmp_ne_u32_e32 vcc_lo, s2, v1
	s_mov_b32 s2, -1
	s_cbranch_vccnz .LBB1567_12
; %bb.11:
	s_mov_b64 s[2:3], src_shared_base
	v_dual_mov_b32 v31, v0 :: v_dual_mov_b32 v40, v0
	v_dual_mov_b32 v0, s36 :: v_dual_mov_b32 v1, s37
	;; [unrolled: 1-line block ×7, first 2 shown]
	s_wait_alu 0xfffe
	v_dual_mov_b32 v12, 0 :: v_dual_mov_b32 v13, s3
	s_add_nc_u64 s[8:9], s[0:1], 0x50
	s_getpc_b64 s[4:5]
	s_wait_alu 0xfffe
	s_sext_i32_i16 s5, s5
	s_add_co_u32 s4, s4, _ZN7rocprim17ROCPRIM_400000_NS6detail40segmented_radix_sort_single_block_helperIblLj256ELj8ELb1EE4sortIPKbPbPKlPlEEbT_T0_T1_T2_jjjjRNS3_12storage_typeE@rel32@lo+12
	s_wait_alu 0xfffe
	s_add_co_ci_u32 s5, s5, _ZN7rocprim17ROCPRIM_400000_NS6detail40segmented_radix_sort_single_block_helperIblLj256ELj8ELb1EE4sortIPKbPbPKlPlEEbT_T0_T1_T2_jjjjRNS3_12storage_typeE@rel32@hi+24
	s_mov_b64 s[22:23], s[0:1]
	s_wait_alu 0xfffe
	s_swappc_b64 s[30:31], s[4:5]
	v_mov_b32_e32 v0, v40
	s_mov_b64 s[0:1], s[22:23]
	s_mov_b32 s2, 0
.LBB1567_12:
	s_wait_alu 0xfffe
	s_and_not1_b32 vcc_lo, exec_lo, s2
	s_wait_alu 0xfffe
	s_cbranch_vccnz .LBB1567_14
; %bb.13:
	s_mov_b64 s[2:3], src_shared_base
	v_dual_mov_b32 v31, v0 :: v_dual_mov_b32 v40, v0
	v_dual_mov_b32 v0, s36 :: v_dual_mov_b32 v1, s37
	v_dual_mov_b32 v2, s38 :: v_dual_mov_b32 v3, s39
	v_dual_mov_b32 v4, s42 :: v_dual_mov_b32 v5, s43
	v_dual_mov_b32 v6, s24 :: v_dual_mov_b32 v7, s25
	v_dual_mov_b32 v8, s33 :: v_dual_mov_b32 v9, s34
	v_dual_mov_b32 v10, s45 :: v_dual_mov_b32 v11, s46
	s_wait_alu 0xfffe
	v_dual_mov_b32 v12, 0 :: v_dual_mov_b32 v13, s3
	s_add_nc_u64 s[8:9], s[0:1], 0x50
	s_getpc_b64 s[4:5]
	s_wait_alu 0xfffe
	s_sext_i32_i16 s5, s5
	s_add_co_u32 s4, s4, _ZN7rocprim17ROCPRIM_400000_NS6detail40segmented_radix_sort_single_block_helperIblLj256ELj8ELb1EE4sortIPKbPbPKlPlEEbT_T0_T1_T2_jjjjRNS3_12storage_typeE@rel32@lo+12
	s_wait_alu 0xfffe
	s_add_co_ci_u32 s5, s5, _ZN7rocprim17ROCPRIM_400000_NS6detail40segmented_radix_sort_single_block_helperIblLj256ELj8ELb1EE4sortIPKbPbPKlPlEEbT_T0_T1_T2_jjjjRNS3_12storage_typeE@rel32@hi+24
	s_mov_b64 s[22:23], s[0:1]
	s_wait_alu 0xfffe
	s_swappc_b64 s[30:31], s[4:5]
	v_mov_b32_e32 v0, v40
	s_mov_b64 s[0:1], s[22:23]
.LBB1567_14:
	s_mov_b32 s2, 0
.LBB1567_15:
	s_wait_alu 0xfffe
	s_and_not1_b32 vcc_lo, exec_lo, s2
	s_wait_alu 0xfffe
	s_cbranch_vccnz .LBB1567_678
; %bb.16:
	s_cmp_ge_u32 s45, s46
	s_cbranch_scc1 .LBB1567_678
; %bb.17:
	v_and_b32_e32 v1, 0x3ff, v0
	v_dual_mov_b32 v61, 1 :: v_dual_and_b32 v2, 3, v0
	v_lshrrev_b32_e32 v4, 3, v0
	v_mbcnt_lo_u32_b32 v58, -1, 0
	s_delay_alu instid0(VALU_DEP_4) | instskip(NEXT) | instid1(VALU_DEP_4)
	v_or_b32_e32 v5, 31, v1
	v_lshlrev_b32_e32 v39, 2, v2
	v_lshlrev_b32_e32 v2, 3, v1
	v_and_b32_e32 v38, 28, v4
	v_lshlrev_b32_e32 v4, 5, v1
	v_cmp_eq_u32_e64 s3, v1, v5
	v_dual_mov_b32 v3, 0 :: v_dual_lshlrev_b32 v28, 2, v1
	v_and_b32_e32 v2, 0x700, v2
	s_delay_alu instid0(VALU_DEP_4) | instskip(SKIP_2) | instid1(VALU_DEP_4)
	v_sub_nc_u32_e32 v46, 0, v4
	v_lshlrev_b32_e32 v66, 3, v58
	v_add_co_u32 v32, s2, s40, v1
	v_lshlrev_b32_e32 v5, 3, v2
	v_mad_u32_u24 v40, v1, 12, v28
	v_or_b32_e32 v68, v58, v2
	v_or_b32_e32 v29, 0x100, v1
	;; [unrolled: 1-line block ×3, first 2 shown]
	v_add_co_u32 v4, s8, s26, v5
	s_wait_alu 0xf1ff
	v_add_co_ci_u32_e64 v6, null, s27, 0, s8
	v_add_co_u32 v7, s8, s40, v2
	s_wait_alu 0xf1ff
	v_add_co_ci_u32_e64 v8, null, s41, 0, s8
	;; [unrolled: 3-line block ×6, first 2 shown]
	v_add_co_u32 v56, s8, s42, v5
	v_add_co_u32 v69, vcc_lo, v4, v66
	s_wait_alu 0xf1ff
	v_add_co_ci_u32_e64 v57, null, s43, 0, s8
	v_add_co_u32 v59, s8, s36, v2
	s_wait_alu 0xfffd
	v_add_co_ci_u32_e64 v70, null, 0, v6, vcc_lo
	v_add_co_u32 v78, vcc_lo, v7, v58
	v_or_b32_e32 v31, 0x300, v1
	v_add_co_ci_u32_e64 v33, null, s41, 0, s2
	v_or_b32_e32 v34, 0x400, v1
	v_or_b32_e32 v35, 0x500, v1
	;; [unrolled: 1-line block ×4, first 2 shown]
	v_cmp_gt_u32_e64 s2, 0x100, v1
	v_or_b32_e32 v41, 0x4400, v38
	v_cmp_gt_u32_e64 s4, 8, v1
	v_add_nc_u32_e32 v42, 0x4400, v28
	v_cmp_lt_u32_e64 s5, 31, v1
	v_add_nc_u32_e32 v43, 0x43fc, v38
	v_bfe_u32 v44, v0, 20, 10
	v_bfe_u32 v0, v0, 10, 10
	v_mad_u32_u24 v45, v1, 20, v40
	v_cmp_eq_u32_e64 s6, 0, v1
	v_cmp_ne_u32_e64 s7, 0xff, v1
	v_mul_u32_u24_e32 v47, 7, v1
	s_wait_alu 0xf1ff
	v_add_co_ci_u32_e64 v60, null, s37, 0, s8
	v_and_b32_e32 v62, 15, v58
	v_bfe_i32 v63, v58, 4, 1
	v_and_b32_e32 v64, 16, v58
	v_and_b32_e32 v65, 7, v58
	v_sub_co_u32 v67, s8, v58, 1
	v_or_b32_e32 v71, 32, v68
	v_or_b32_e32 v72, 64, v68
	;; [unrolled: 1-line block ×7, first 2 shown]
	s_wait_alu 0xfffd
	v_add_co_ci_u32_e64 v79, null, 0, v8, vcc_lo
	s_add_nc_u64 s[28:29], s[0:1], 0x50
	s_mov_b32 s31, 0
	s_mov_b32 s23, s45
	s_branch .LBB1567_20
.LBB1567_18:                            ;   in Loop: Header=BB1567_20 Depth=1
	s_wait_loadcnt_dscnt 0x0
	s_barrier_signal -1
	s_barrier_wait -1
.LBB1567_19:                            ;   in Loop: Header=BB1567_20 Depth=1
	s_add_co_i32 s23, s23, 8
	global_inv scope:SCOPE_SE
	s_wait_alu 0xfffe
	s_cmp_ge_u32 s23, s46
	s_cbranch_scc1 .LBB1567_678
.LBB1567_20:                            ; =>This Loop Header: Depth=1
                                        ;     Child Loop BB1567_24 Depth 2
                                        ;     Child Loop BB1567_72 Depth 2
	;; [unrolled: 1-line block ×8, first 2 shown]
	s_wait_alu 0xfffe
	s_sub_co_i32 s0, s46, s23
	s_xor_b32 s35, s35, -1
	s_wait_alu 0xfffe
	s_min_u32 s0, s0, 8
	ds_store_2addr_stride64_b32 v28, v3, v3 offset1:4
	s_wait_alu 0xfffe
	s_lshl_b32 s0, -1, s0
	ds_store_2addr_stride64_b32 v28, v3, v3 offset0:8 offset1:12
	s_wait_alu 0xfffe
	s_not_b32 s42, s0
	s_cmp_lg_u32 s23, s45
	s_mov_b32 s0, -1
	s_wait_storecnt_dscnt 0x0
	s_cbranch_scc0 .LBB1567_350
; %bb.21:                               ;   in Loop: Header=BB1567_20 Depth=1
	s_and_b32 vcc_lo, exec_lo, s35
	s_wait_alu 0xfffe
	s_cbranch_vccz .LBB1567_185
; %bb.22:                               ;   in Loop: Header=BB1567_20 Depth=1
	v_dual_mov_b32 v7, 0 :: v_dual_mov_b32 v10, 0
	v_dual_mov_b32 v9, 0 :: v_dual_mov_b32 v8, 0
	v_dual_mov_b32 v6, 0 :: v_dual_mov_b32 v5, 0
	v_mov_b32_e32 v4, 0
	v_mov_b32_e32 v2, 0
	s_mov_b32 s9, s47
	s_mov_b32 s30, s33
	s_barrier_signal -1
	s_barrier_wait -1
	global_inv scope:SCOPE_SE
	s_branch .LBB1567_24
.LBB1567_23:                            ;   in Loop: Header=BB1567_24 Depth=2
	s_wait_alu 0xfffe
	s_or_b32 exec_lo, exec_lo, s0
	s_addk_co_i32 s9, 0xf800
	s_cmp_ge_u32 s10, s34
	s_mov_b32 s30, s10
	s_cbranch_scc1 .LBB1567_60
.LBB1567_24:                            ;   Parent Loop BB1567_20 Depth=1
                                        ; =>  This Inner Loop Header: Depth=2
	s_wait_alu 0xfffe
	s_add_co_i32 s10, s30, 0x800
	s_mov_b32 s0, -1
	s_wait_alu 0xfffe
	s_cmp_gt_u32 s10, s34
                                        ; implicit-def: $vgpr11
                                        ; implicit-def: $vgpr12
                                        ; implicit-def: $vgpr13
                                        ; implicit-def: $vgpr14
                                        ; implicit-def: $vgpr15
                                        ; implicit-def: $vgpr16
                                        ; implicit-def: $vgpr17
                                        ; implicit-def: $vgpr18
	s_cbranch_scc1 .LBB1567_26
; %bb.25:                               ;   in Loop: Header=BB1567_24 Depth=2
	v_add_co_u32 v19, vcc_lo, v32, s30
	s_wait_alu 0xfffd
	v_add_co_ci_u32_e64 v20, null, 0, v33, vcc_lo
	s_mov_b32 s0, 0
	s_clause 0x7
	global_load_u8 v18, v[19:20], off offset:1792
	global_load_u8 v17, v[19:20], off offset:1536
	;; [unrolled: 1-line block ×7, first 2 shown]
	global_load_u8 v11, v[19:20], off
.LBB1567_26:                            ;   in Loop: Header=BB1567_24 Depth=2
	s_wait_alu 0xfffe
	s_and_not1_b32 vcc_lo, exec_lo, s0
	s_movk_i32 s0, 0x800
	s_wait_alu 0xfffe
	s_cbranch_vccnz .LBB1567_37
; %bb.27:                               ;   in Loop: Header=BB1567_24 Depth=2
	s_add_nc_u64 s[0:1], s[40:41], s[30:31]
	s_mov_b32 s11, exec_lo
	v_cmpx_gt_u32_e64 s9, v1
	s_cbranch_execnz .LBB1567_53
; %bb.28:                               ;   in Loop: Header=BB1567_24 Depth=2
	s_wait_alu 0xfffe
	s_or_b32 exec_lo, exec_lo, s11
	s_delay_alu instid0(SALU_CYCLE_1)
	s_mov_b32 s11, exec_lo
	v_cmpx_gt_u32_e64 s9, v29
	s_cbranch_execnz .LBB1567_54
.LBB1567_29:                            ;   in Loop: Header=BB1567_24 Depth=2
	s_wait_alu 0xfffe
	s_or_b32 exec_lo, exec_lo, s11
	s_delay_alu instid0(SALU_CYCLE_1)
	s_mov_b32 s11, exec_lo
	v_cmpx_gt_u32_e64 s9, v30
	s_cbranch_execnz .LBB1567_55
.LBB1567_30:                            ;   in Loop: Header=BB1567_24 Depth=2
	s_wait_alu 0xfffe
	s_or_b32 exec_lo, exec_lo, s11
	s_delay_alu instid0(SALU_CYCLE_1)
	s_mov_b32 s11, exec_lo
	v_cmpx_gt_u32_e64 s9, v31
	s_cbranch_execnz .LBB1567_56
.LBB1567_31:                            ;   in Loop: Header=BB1567_24 Depth=2
	s_wait_alu 0xfffe
	s_or_b32 exec_lo, exec_lo, s11
	s_delay_alu instid0(SALU_CYCLE_1)
	s_mov_b32 s11, exec_lo
	v_cmpx_gt_u32_e64 s9, v34
	s_cbranch_execnz .LBB1567_57
.LBB1567_32:                            ;   in Loop: Header=BB1567_24 Depth=2
	s_wait_alu 0xfffe
	s_or_b32 exec_lo, exec_lo, s11
	s_delay_alu instid0(SALU_CYCLE_1)
	s_mov_b32 s11, exec_lo
	v_cmpx_gt_u32_e64 s9, v35
	s_cbranch_execnz .LBB1567_58
.LBB1567_33:                            ;   in Loop: Header=BB1567_24 Depth=2
	s_wait_alu 0xfffe
	s_or_b32 exec_lo, exec_lo, s11
	s_delay_alu instid0(SALU_CYCLE_1)
	s_mov_b32 s11, exec_lo
	v_cmpx_gt_u32_e64 s9, v36
	s_cbranch_execnz .LBB1567_59
.LBB1567_34:                            ;   in Loop: Header=BB1567_24 Depth=2
	s_wait_alu 0xfffe
	s_or_b32 exec_lo, exec_lo, s11
	s_delay_alu instid0(SALU_CYCLE_1)
	s_mov_b32 s11, exec_lo
	v_cmpx_gt_u32_e64 s9, v37
	s_cbranch_execz .LBB1567_36
.LBB1567_35:                            ;   in Loop: Header=BB1567_24 Depth=2
	s_wait_loadcnt 0x0
	v_add_co_u32 v11, s0, s0, v1
	s_wait_alu 0xf1ff
	v_add_co_ci_u32_e64 v12, null, s1, 0, s0
	global_load_u8 v2, v[11:12], off offset:1792
.LBB1567_36:                            ;   in Loop: Header=BB1567_24 Depth=2
	s_wait_alu 0xfffe
	s_or_b32 exec_lo, exec_lo, s11
	s_wait_loadcnt 0x0
	v_dual_mov_b32 v11, v7 :: v_dual_mov_b32 v12, v10
	v_dual_mov_b32 v13, v9 :: v_dual_mov_b32 v14, v8
	;; [unrolled: 1-line block ×4, first 2 shown]
	s_mov_b32 s0, s9
.LBB1567_37:                            ;   in Loop: Header=BB1567_24 Depth=2
	s_wait_loadcnt 0x5
	s_delay_alu instid0(VALU_DEP_1)
	v_dual_mov_b32 v2, v18 :: v_dual_mov_b32 v5, v16
	s_wait_loadcnt 0x2
	v_dual_mov_b32 v4, v17 :: v_dual_mov_b32 v9, v13
	s_wait_loadcnt 0x0
	v_dual_mov_b32 v6, v15 :: v_dual_mov_b32 v7, v11
	v_mov_b32_e32 v8, v14
	v_mov_b32_e32 v10, v12
	s_mov_b32 s1, exec_lo
	s_wait_alu 0xfffe
	v_cmpx_gt_u32_e64 s0, v1
	s_cbranch_execnz .LBB1567_45
; %bb.38:                               ;   in Loop: Header=BB1567_24 Depth=2
	s_or_b32 exec_lo, exec_lo, s1
	s_delay_alu instid0(SALU_CYCLE_1)
	s_mov_b32 s1, exec_lo
	v_cmpx_gt_u32_e64 s0, v29
	s_cbranch_execnz .LBB1567_46
.LBB1567_39:                            ;   in Loop: Header=BB1567_24 Depth=2
	s_wait_alu 0xfffe
	s_or_b32 exec_lo, exec_lo, s1
	s_delay_alu instid0(SALU_CYCLE_1)
	s_mov_b32 s1, exec_lo
	v_cmpx_gt_u32_e64 s0, v30
	s_cbranch_execnz .LBB1567_47
.LBB1567_40:                            ;   in Loop: Header=BB1567_24 Depth=2
	s_wait_alu 0xfffe
	s_or_b32 exec_lo, exec_lo, s1
	s_delay_alu instid0(SALU_CYCLE_1)
	s_mov_b32 s1, exec_lo
	v_cmpx_gt_u32_e64 s0, v31
	s_cbranch_execnz .LBB1567_48
.LBB1567_41:                            ;   in Loop: Header=BB1567_24 Depth=2
	s_wait_alu 0xfffe
	s_or_b32 exec_lo, exec_lo, s1
	s_delay_alu instid0(SALU_CYCLE_1)
	s_mov_b32 s1, exec_lo
	v_cmpx_gt_u32_e64 s0, v34
	s_cbranch_execnz .LBB1567_49
.LBB1567_42:                            ;   in Loop: Header=BB1567_24 Depth=2
	s_wait_alu 0xfffe
	s_or_b32 exec_lo, exec_lo, s1
	s_delay_alu instid0(SALU_CYCLE_1)
	s_mov_b32 s1, exec_lo
	v_cmpx_gt_u32_e64 s0, v35
	s_cbranch_execnz .LBB1567_50
.LBB1567_43:                            ;   in Loop: Header=BB1567_24 Depth=2
	s_wait_alu 0xfffe
	s_or_b32 exec_lo, exec_lo, s1
	s_delay_alu instid0(SALU_CYCLE_1)
	s_mov_b32 s1, exec_lo
	v_cmpx_gt_u32_e64 s0, v36
	s_cbranch_execnz .LBB1567_51
.LBB1567_44:                            ;   in Loop: Header=BB1567_24 Depth=2
	s_wait_alu 0xfffe
	s_or_b32 exec_lo, exec_lo, s1
	v_cmp_gt_u32_e32 vcc_lo, s0, v37
	s_and_saveexec_b32 s0, vcc_lo
	s_cbranch_execz .LBB1567_23
	s_branch .LBB1567_52
.LBB1567_45:                            ;   in Loop: Header=BB1567_24 Depth=2
	v_xor_b32_e32 v11, -1, v7
	s_delay_alu instid0(VALU_DEP_1) | instskip(NEXT) | instid1(VALU_DEP_1)
	v_and_b32_e32 v11, 1, v11
	v_and_b32_e32 v11, 0xffff, v11
	s_delay_alu instid0(VALU_DEP_1) | instskip(NEXT) | instid1(VALU_DEP_1)
	v_lshrrev_b32_e32 v11, s23, v11
	v_and_b32_e32 v11, s42, v11
	s_delay_alu instid0(VALU_DEP_1) | instskip(SKIP_2) | instid1(SALU_CYCLE_1)
	v_lshl_or_b32 v11, v11, 4, v39
	ds_add_u32 v11, v61
	s_or_b32 exec_lo, exec_lo, s1
	s_mov_b32 s1, exec_lo
	v_cmpx_gt_u32_e64 s0, v29
	s_cbranch_execz .LBB1567_39
.LBB1567_46:                            ;   in Loop: Header=BB1567_24 Depth=2
	v_xor_b32_e32 v11, -1, v10
	s_delay_alu instid0(VALU_DEP_1) | instskip(NEXT) | instid1(VALU_DEP_1)
	v_and_b32_e32 v11, 1, v11
	v_and_b32_e32 v11, 0xffff, v11
	s_delay_alu instid0(VALU_DEP_1) | instskip(NEXT) | instid1(VALU_DEP_1)
	v_lshrrev_b32_e32 v11, s23, v11
	v_and_b32_e32 v11, s42, v11
	s_delay_alu instid0(VALU_DEP_1) | instskip(SKIP_3) | instid1(SALU_CYCLE_1)
	v_lshl_or_b32 v11, v11, 4, v39
	ds_add_u32 v11, v61
	s_wait_alu 0xfffe
	s_or_b32 exec_lo, exec_lo, s1
	s_mov_b32 s1, exec_lo
	v_cmpx_gt_u32_e64 s0, v30
	s_cbranch_execz .LBB1567_40
.LBB1567_47:                            ;   in Loop: Header=BB1567_24 Depth=2
	v_xor_b32_e32 v11, -1, v9
	s_delay_alu instid0(VALU_DEP_1) | instskip(NEXT) | instid1(VALU_DEP_1)
	v_and_b32_e32 v11, 1, v11
	v_and_b32_e32 v11, 0xffff, v11
	s_delay_alu instid0(VALU_DEP_1) | instskip(NEXT) | instid1(VALU_DEP_1)
	v_lshrrev_b32_e32 v11, s23, v11
	v_and_b32_e32 v11, s42, v11
	s_delay_alu instid0(VALU_DEP_1) | instskip(SKIP_3) | instid1(SALU_CYCLE_1)
	v_lshl_or_b32 v11, v11, 4, v39
	ds_add_u32 v11, v61
	s_wait_alu 0xfffe
	s_or_b32 exec_lo, exec_lo, s1
	s_mov_b32 s1, exec_lo
	v_cmpx_gt_u32_e64 s0, v31
	s_cbranch_execz .LBB1567_41
.LBB1567_48:                            ;   in Loop: Header=BB1567_24 Depth=2
	v_xor_b32_e32 v11, -1, v8
	s_delay_alu instid0(VALU_DEP_1) | instskip(NEXT) | instid1(VALU_DEP_1)
	v_and_b32_e32 v11, 1, v11
	v_and_b32_e32 v11, 0xffff, v11
	s_delay_alu instid0(VALU_DEP_1) | instskip(NEXT) | instid1(VALU_DEP_1)
	v_lshrrev_b32_e32 v11, s23, v11
	v_and_b32_e32 v11, s42, v11
	s_delay_alu instid0(VALU_DEP_1) | instskip(SKIP_3) | instid1(SALU_CYCLE_1)
	v_lshl_or_b32 v11, v11, 4, v39
	ds_add_u32 v11, v61
	s_wait_alu 0xfffe
	s_or_b32 exec_lo, exec_lo, s1
	s_mov_b32 s1, exec_lo
	v_cmpx_gt_u32_e64 s0, v34
	s_cbranch_execz .LBB1567_42
.LBB1567_49:                            ;   in Loop: Header=BB1567_24 Depth=2
	v_xor_b32_e32 v11, -1, v6
	s_delay_alu instid0(VALU_DEP_1) | instskip(NEXT) | instid1(VALU_DEP_1)
	v_and_b32_e32 v11, 1, v11
	v_and_b32_e32 v11, 0xffff, v11
	s_delay_alu instid0(VALU_DEP_1) | instskip(NEXT) | instid1(VALU_DEP_1)
	v_lshrrev_b32_e32 v11, s23, v11
	v_and_b32_e32 v11, s42, v11
	s_delay_alu instid0(VALU_DEP_1) | instskip(SKIP_3) | instid1(SALU_CYCLE_1)
	v_lshl_or_b32 v11, v11, 4, v39
	ds_add_u32 v11, v61
	s_wait_alu 0xfffe
	s_or_b32 exec_lo, exec_lo, s1
	s_mov_b32 s1, exec_lo
	v_cmpx_gt_u32_e64 s0, v35
	s_cbranch_execz .LBB1567_43
.LBB1567_50:                            ;   in Loop: Header=BB1567_24 Depth=2
	v_xor_b32_e32 v11, -1, v5
	s_delay_alu instid0(VALU_DEP_1) | instskip(NEXT) | instid1(VALU_DEP_1)
	v_and_b32_e32 v11, 1, v11
	v_and_b32_e32 v11, 0xffff, v11
	s_delay_alu instid0(VALU_DEP_1) | instskip(NEXT) | instid1(VALU_DEP_1)
	v_lshrrev_b32_e32 v11, s23, v11
	v_and_b32_e32 v11, s42, v11
	s_delay_alu instid0(VALU_DEP_1) | instskip(SKIP_3) | instid1(SALU_CYCLE_1)
	v_lshl_or_b32 v11, v11, 4, v39
	ds_add_u32 v11, v61
	s_wait_alu 0xfffe
	s_or_b32 exec_lo, exec_lo, s1
	s_mov_b32 s1, exec_lo
	v_cmpx_gt_u32_e64 s0, v36
	s_cbranch_execz .LBB1567_44
.LBB1567_51:                            ;   in Loop: Header=BB1567_24 Depth=2
	v_xor_b32_e32 v11, -1, v4
	s_delay_alu instid0(VALU_DEP_1) | instskip(NEXT) | instid1(VALU_DEP_1)
	v_and_b32_e32 v11, 1, v11
	v_and_b32_e32 v11, 0xffff, v11
	s_delay_alu instid0(VALU_DEP_1) | instskip(NEXT) | instid1(VALU_DEP_1)
	v_lshrrev_b32_e32 v11, s23, v11
	v_and_b32_e32 v11, s42, v11
	s_delay_alu instid0(VALU_DEP_1)
	v_lshl_or_b32 v11, v11, 4, v39
	ds_add_u32 v11, v61
	s_wait_alu 0xfffe
	s_or_b32 exec_lo, exec_lo, s1
	v_cmp_gt_u32_e32 vcc_lo, s0, v37
	s_and_saveexec_b32 s0, vcc_lo
	s_cbranch_execz .LBB1567_23
.LBB1567_52:                            ;   in Loop: Header=BB1567_24 Depth=2
	v_xor_b32_e32 v11, -1, v2
	s_delay_alu instid0(VALU_DEP_1) | instskip(NEXT) | instid1(VALU_DEP_1)
	v_and_b32_e32 v11, 1, v11
	v_and_b32_e32 v11, 0xffff, v11
	s_delay_alu instid0(VALU_DEP_1) | instskip(NEXT) | instid1(VALU_DEP_1)
	v_lshrrev_b32_e32 v11, s23, v11
	v_and_b32_e32 v11, s42, v11
	s_delay_alu instid0(VALU_DEP_1)
	v_lshl_or_b32 v11, v11, 4, v39
	ds_add_u32 v11, v61
	s_branch .LBB1567_23
.LBB1567_53:                            ;   in Loop: Header=BB1567_24 Depth=2
	s_wait_loadcnt 0x0
	s_wait_alu 0xfffe
	v_add_co_u32 v11, s12, s0, v1
	s_wait_alu 0xf1ff
	v_add_co_ci_u32_e64 v12, null, s1, 0, s12
	global_load_u8 v7, v[11:12], off
	s_or_b32 exec_lo, exec_lo, s11
	s_delay_alu instid0(SALU_CYCLE_1)
	s_mov_b32 s11, exec_lo
	v_cmpx_gt_u32_e64 s9, v29
	s_cbranch_execz .LBB1567_29
.LBB1567_54:                            ;   in Loop: Header=BB1567_24 Depth=2
	v_add_co_u32 v10, s12, s0, v1
	s_wait_loadcnt 0x0
	s_wait_alu 0xf1ff
	v_add_co_ci_u32_e64 v11, null, s1, 0, s12
	global_load_u8 v10, v[10:11], off offset:256
	s_wait_alu 0xfffe
	s_or_b32 exec_lo, exec_lo, s11
	s_delay_alu instid0(SALU_CYCLE_1)
	s_mov_b32 s11, exec_lo
	v_cmpx_gt_u32_e64 s9, v30
	s_cbranch_execz .LBB1567_30
.LBB1567_55:                            ;   in Loop: Header=BB1567_24 Depth=2
	s_wait_loadcnt 0x0
	v_add_co_u32 v11, s12, s0, v1
	s_wait_alu 0xf1ff
	v_add_co_ci_u32_e64 v12, null, s1, 0, s12
	global_load_u8 v9, v[11:12], off offset:512
	s_wait_alu 0xfffe
	s_or_b32 exec_lo, exec_lo, s11
	s_delay_alu instid0(SALU_CYCLE_1)
	s_mov_b32 s11, exec_lo
	v_cmpx_gt_u32_e64 s9, v31
	s_cbranch_execz .LBB1567_31
.LBB1567_56:                            ;   in Loop: Header=BB1567_24 Depth=2
	s_wait_loadcnt 0x0
	v_add_co_u32 v11, s12, s0, v1
	s_wait_alu 0xf1ff
	v_add_co_ci_u32_e64 v12, null, s1, 0, s12
	global_load_u8 v8, v[11:12], off offset:768
	s_wait_alu 0xfffe
	s_or_b32 exec_lo, exec_lo, s11
	s_delay_alu instid0(SALU_CYCLE_1)
	s_mov_b32 s11, exec_lo
	v_cmpx_gt_u32_e64 s9, v34
	s_cbranch_execz .LBB1567_32
.LBB1567_57:                            ;   in Loop: Header=BB1567_24 Depth=2
	s_wait_loadcnt 0x0
	v_add_co_u32 v11, s12, s0, v1
	s_wait_alu 0xf1ff
	v_add_co_ci_u32_e64 v12, null, s1, 0, s12
	global_load_u8 v6, v[11:12], off offset:1024
	s_wait_alu 0xfffe
	s_or_b32 exec_lo, exec_lo, s11
	s_delay_alu instid0(SALU_CYCLE_1)
	s_mov_b32 s11, exec_lo
	v_cmpx_gt_u32_e64 s9, v35
	s_cbranch_execz .LBB1567_33
.LBB1567_58:                            ;   in Loop: Header=BB1567_24 Depth=2
	s_wait_loadcnt 0x0
	v_add_co_u32 v11, s12, s0, v1
	s_wait_alu 0xf1ff
	v_add_co_ci_u32_e64 v12, null, s1, 0, s12
	global_load_u8 v5, v[11:12], off offset:1280
	s_wait_alu 0xfffe
	s_or_b32 exec_lo, exec_lo, s11
	s_delay_alu instid0(SALU_CYCLE_1)
	s_mov_b32 s11, exec_lo
	v_cmpx_gt_u32_e64 s9, v36
	s_cbranch_execz .LBB1567_34
.LBB1567_59:                            ;   in Loop: Header=BB1567_24 Depth=2
	s_wait_loadcnt 0x0
	v_add_co_u32 v11, s12, s0, v1
	s_wait_alu 0xf1ff
	v_add_co_ci_u32_e64 v12, null, s1, 0, s12
	global_load_u8 v4, v[11:12], off offset:1536
	s_wait_alu 0xfffe
	s_or_b32 exec_lo, exec_lo, s11
	s_delay_alu instid0(SALU_CYCLE_1)
	s_mov_b32 s11, exec_lo
	v_cmpx_gt_u32_e64 s9, v37
	s_cbranch_execnz .LBB1567_35
	s_branch .LBB1567_36
.LBB1567_60:                            ;   in Loop: Header=BB1567_20 Depth=1
	v_mov_b32_e32 v2, 0
	s_wait_dscnt 0x0
	s_barrier_signal -1
	s_barrier_wait -1
	global_inv scope:SCOPE_SE
	s_and_saveexec_b32 s0, s2
	s_cbranch_execz .LBB1567_62
; %bb.61:                               ;   in Loop: Header=BB1567_20 Depth=1
	ds_load_2addr_b64 v[4:7], v40 offset1:1
	s_wait_dscnt 0x0
	v_add_nc_u32_e32 v2, v5, v4
	s_delay_alu instid0(VALU_DEP_1)
	v_add3_u32 v2, v2, v6, v7
.LBB1567_62:                            ;   in Loop: Header=BB1567_20 Depth=1
	s_wait_alu 0xfffe
	s_or_b32 exec_lo, exec_lo, s0
	s_delay_alu instid0(VALU_DEP_1)
	v_mov_b32_dpp v4, v2 row_shr:1 row_mask:0xf bank_mask:0xf
	v_cmp_eq_u32_e64 s0, 0, v62
	v_cmp_lt_u32_e64 s1, 1, v62
	v_cmp_lt_u32_e64 s9, 3, v62
	;; [unrolled: 1-line block ×3, first 2 shown]
	v_cmp_eq_u32_e64 s11, 0, v64
	s_wait_alu 0xf1ff
	v_cndmask_b32_e64 v4, v4, 0, s0
	s_delay_alu instid0(VALU_DEP_1) | instskip(NEXT) | instid1(VALU_DEP_1)
	v_add_nc_u32_e32 v2, v4, v2
	v_mov_b32_dpp v4, v2 row_shr:2 row_mask:0xf bank_mask:0xf
	s_delay_alu instid0(VALU_DEP_1) | instskip(NEXT) | instid1(VALU_DEP_1)
	v_cndmask_b32_e64 v4, 0, v4, s1
	v_add_nc_u32_e32 v2, v2, v4
	s_delay_alu instid0(VALU_DEP_1) | instskip(NEXT) | instid1(VALU_DEP_1)
	v_mov_b32_dpp v4, v2 row_shr:4 row_mask:0xf bank_mask:0xf
	v_cndmask_b32_e64 v4, 0, v4, s9
	s_delay_alu instid0(VALU_DEP_1) | instskip(NEXT) | instid1(VALU_DEP_1)
	v_add_nc_u32_e32 v2, v2, v4
	v_mov_b32_dpp v4, v2 row_shr:8 row_mask:0xf bank_mask:0xf
	s_delay_alu instid0(VALU_DEP_1) | instskip(NEXT) | instid1(VALU_DEP_1)
	v_cndmask_b32_e64 v4, 0, v4, s10
	v_add_nc_u32_e32 v2, v2, v4
	ds_swizzle_b32 v4, v2 offset:swizzle(BROADCAST,32,15)
	s_wait_dscnt 0x0
	v_and_b32_e32 v4, v63, v4
	s_delay_alu instid0(VALU_DEP_1)
	v_add_nc_u32_e32 v2, v2, v4
	s_and_saveexec_b32 s12, s3
; %bb.63:                               ;   in Loop: Header=BB1567_20 Depth=1
	ds_store_b32 v41, v2
; %bb.64:                               ;   in Loop: Header=BB1567_20 Depth=1
	s_wait_alu 0xfffe
	s_or_b32 exec_lo, exec_lo, s12
	s_wait_loadcnt_dscnt 0x0
	s_barrier_signal -1
	s_barrier_wait -1
	global_inv scope:SCOPE_SE
	s_and_saveexec_b32 s12, s4
	s_cbranch_execz .LBB1567_66
; %bb.65:                               ;   in Loop: Header=BB1567_20 Depth=1
	ds_load_b32 v4, v42
	v_cmp_ne_u32_e32 vcc_lo, 0, v65
	s_wait_dscnt 0x0
	v_mov_b32_dpp v5, v4 row_shr:1 row_mask:0xf bank_mask:0xf
	s_wait_alu 0xfffd
	s_delay_alu instid0(VALU_DEP_1) | instskip(SKIP_1) | instid1(VALU_DEP_2)
	v_cndmask_b32_e32 v5, 0, v5, vcc_lo
	v_cmp_lt_u32_e32 vcc_lo, 1, v65
	v_add_nc_u32_e32 v4, v5, v4
	s_delay_alu instid0(VALU_DEP_1) | instskip(SKIP_1) | instid1(VALU_DEP_1)
	v_mov_b32_dpp v5, v4 row_shr:2 row_mask:0xf bank_mask:0xf
	s_wait_alu 0xfffd
	v_cndmask_b32_e32 v5, 0, v5, vcc_lo
	v_cmp_lt_u32_e32 vcc_lo, 3, v65
	s_delay_alu instid0(VALU_DEP_2) | instskip(NEXT) | instid1(VALU_DEP_1)
	v_add_nc_u32_e32 v4, v4, v5
	v_mov_b32_dpp v5, v4 row_shr:4 row_mask:0xf bank_mask:0xf
	s_wait_alu 0xfffd
	s_delay_alu instid0(VALU_DEP_1) | instskip(NEXT) | instid1(VALU_DEP_1)
	v_cndmask_b32_e32 v5, 0, v5, vcc_lo
	v_add_nc_u32_e32 v4, v4, v5
	ds_store_b32 v42, v4
.LBB1567_66:                            ;   in Loop: Header=BB1567_20 Depth=1
	s_wait_alu 0xfffe
	s_or_b32 exec_lo, exec_lo, s12
	v_mov_b32_e32 v4, 0
	s_wait_loadcnt_dscnt 0x0
	s_barrier_signal -1
	s_barrier_wait -1
	global_inv scope:SCOPE_SE
	s_and_saveexec_b32 s12, s5
; %bb.67:                               ;   in Loop: Header=BB1567_20 Depth=1
	ds_load_b32 v4, v43
; %bb.68:                               ;   in Loop: Header=BB1567_20 Depth=1
	s_wait_alu 0xfffe
	s_or_b32 exec_lo, exec_lo, s12
	v_cmp_gt_i32_e32 vcc_lo, 0, v67
	s_wait_dscnt 0x0
	v_add_nc_u32_e32 v2, v4, v2
	s_wait_loadcnt 0x0
	s_barrier_signal -1
	s_barrier_wait -1
	s_wait_alu 0xfffd
	v_cndmask_b32_e32 v5, v67, v58, vcc_lo
	global_inv scope:SCOPE_SE
	v_lshlrev_b32_e32 v80, 2, v5
	ds_bpermute_b32 v2, v80, v2
	s_and_saveexec_b32 s12, s2
	s_cbranch_execz .LBB1567_70
; %bb.69:                               ;   in Loop: Header=BB1567_20 Depth=1
	s_wait_dscnt 0x0
	v_cndmask_b32_e64 v2, v2, v4, s8
	s_delay_alu instid0(VALU_DEP_1)
	v_add_nc_u32_e32 v2, s33, v2
	ds_store_b32 v28, v2
.LBB1567_70:                            ;   in Loop: Header=BB1567_20 Depth=1
	s_wait_alu 0xfffe
	s_or_b32 exec_lo, exec_lo, s12
	s_clause 0x1
	s_load_b32 s12, s[28:29], 0x4
	s_load_b32 s14, s[28:29], 0xc
	s_mov_b32 s43, s47
                                        ; implicit-def: $vgpr6_vgpr7
                                        ; implicit-def: $vgpr8_vgpr9
                                        ; implicit-def: $vgpr10_vgpr11
                                        ; implicit-def: $vgpr12_vgpr13
                                        ; implicit-def: $vgpr14_vgpr15
                                        ; implicit-def: $vgpr16_vgpr17
                                        ; implicit-def: $vgpr18_vgpr19
                                        ; implicit-def: $vgpr82
                                        ; implicit-def: $vgpr83
                                        ; implicit-def: $vgpr84
                                        ; implicit-def: $vgpr85
                                        ; implicit-def: $vgpr86
                                        ; implicit-def: $vgpr87
                                        ; implicit-def: $vgpr88
                                        ; implicit-def: $vgpr89
	s_wait_kmcnt 0x0
	s_cmp_lt_u32 ttmp7, s12
	s_cselect_b32 s30, 14, 20
	s_wait_alu 0xfffe
	s_add_nc_u64 s[12:13], s[28:29], s[30:31]
	s_mov_b32 s30, s33
	s_load_u16 s12, s[12:13], 0x0
	v_cmp_lt_u32_e64 s13, 1, v65
	s_wait_dscnt 0x0
	s_wait_kmcnt 0x0
	v_mad_u32_u24 v2, v44, s12, v0
	s_and_b32 s12, s14, 0xffff
	v_cmp_lt_u32_e64 s14, 3, v65
	s_wait_alu 0xfffe
	s_delay_alu instid0(VALU_DEP_2) | instskip(SKIP_1) | instid1(VALU_DEP_2)
	v_mad_co_u64_u32 v[4:5], null, v2, s12, v[1:2]
	v_cmp_eq_u32_e64 s12, 0, v65
	v_lshrrev_b32_e32 v2, 3, v4
                                        ; implicit-def: $vgpr4_vgpr5
	s_delay_alu instid0(VALU_DEP_1)
	v_and_b32_e32 v81, 0x1ffffffc, v2
	s_branch .LBB1567_72
.LBB1567_71:                            ;   in Loop: Header=BB1567_72 Depth=2
	s_wait_alu 0xfffe
	s_or_b32 exec_lo, exec_lo, s15
	s_addk_co_i32 s43, 0xf800
	s_cmp_lt_u32 s44, s34
	s_mov_b32 s30, s44
	s_cbranch_scc0 .LBB1567_184
.LBB1567_72:                            ;   Parent Loop BB1567_20 Depth=1
                                        ; =>  This Inner Loop Header: Depth=2
	s_wait_alu 0xfffe
	s_add_co_i32 s44, s30, 0x800
	s_wait_alu 0xfffe
	s_cmp_gt_u32 s44, s34
	s_cbranch_scc1 .LBB1567_74
; %bb.73:                               ;   in Loop: Header=BB1567_72 Depth=2
	v_add_co_u32 v20, vcc_lo, v78, s30
	s_wait_alu 0xfffd
	v_add_co_ci_u32_e64 v21, null, 0, v79, vcc_lo
	s_mov_b32 s15, -1
	s_clause 0x6
	global_load_u8 v25, v[20:21], off offset:192
	global_load_u8 v24, v[20:21], off offset:160
	;; [unrolled: 1-line block ×6, first 2 shown]
	global_load_u8 v27, v[20:21], off
	s_movk_i32 s16, 0x800
                                        ; implicit-def: $vgpr92
	s_cbranch_execz .LBB1567_75
	s_branch .LBB1567_85
.LBB1567_74:                            ;   in Loop: Header=BB1567_72 Depth=2
	s_mov_b32 s15, 0
                                        ; implicit-def: $vgpr27
                                        ; implicit-def: $vgpr91
                                        ; implicit-def: $vgpr22
                                        ; implicit-def: $vgpr26
                                        ; implicit-def: $vgpr23
                                        ; implicit-def: $vgpr24
                                        ; implicit-def: $vgpr25
	s_movk_i32 s16, 0x800
                                        ; implicit-def: $vgpr92
.LBB1567_75:                            ;   in Loop: Header=BB1567_72 Depth=2
	v_add_co_u32 v20, vcc_lo, v78, s30
	s_wait_alu 0xfffd
	v_add_co_ci_u32_e64 v21, null, 0, v79, vcc_lo
	s_wait_loadcnt 0x0
	v_dual_mov_b32 v22, 0 :: v_dual_mov_b32 v27, 0
	v_dual_mov_b32 v26, 0 :: v_dual_mov_b32 v23, 0
	;; [unrolled: 1-line block ×3, first 2 shown]
	v_mov_b32_e32 v92, 0
	s_mov_b32 s15, exec_lo
	v_cmpx_gt_u32_e64 s43, v68
	s_cbranch_execz .LBB1567_77
; %bb.76:                               ;   in Loop: Header=BB1567_72 Depth=2
	global_load_u8 v27, v[20:21], off
	v_dual_mov_b32 v26, 0 :: v_dual_mov_b32 v23, 0
	v_dual_mov_b32 v24, 0 :: v_dual_mov_b32 v25, 0
	v_mov_b32_e32 v92, 0
.LBB1567_77:                            ;   in Loop: Header=BB1567_72 Depth=2
	s_wait_alu 0xfffe
	s_or_b32 exec_lo, exec_lo, s15
	v_mov_b32_e32 v91, v22
	s_mov_b32 s15, exec_lo
	v_cmpx_gt_u32_e64 s43, v71
	s_cbranch_execnz .LBB1567_179
; %bb.78:                               ;   in Loop: Header=BB1567_72 Depth=2
	s_wait_alu 0xfffe
	s_or_b32 exec_lo, exec_lo, s15
	s_delay_alu instid0(SALU_CYCLE_1)
	s_mov_b32 s15, exec_lo
	v_cmpx_gt_u32_e64 s43, v72
	s_cbranch_execnz .LBB1567_180
.LBB1567_79:                            ;   in Loop: Header=BB1567_72 Depth=2
	s_wait_alu 0xfffe
	s_or_b32 exec_lo, exec_lo, s15
	s_delay_alu instid0(SALU_CYCLE_1)
	s_mov_b32 s15, exec_lo
	v_cmpx_gt_u32_e64 s43, v73
	s_cbranch_execnz .LBB1567_181
.LBB1567_80:                            ;   in Loop: Header=BB1567_72 Depth=2
	s_wait_alu 0xfffe
	s_or_b32 exec_lo, exec_lo, s15
	s_delay_alu instid0(SALU_CYCLE_1)
	s_mov_b32 s15, exec_lo
	v_cmpx_gt_u32_e64 s43, v74
	s_cbranch_execnz .LBB1567_182
.LBB1567_81:                            ;   in Loop: Header=BB1567_72 Depth=2
	s_wait_alu 0xfffe
	s_or_b32 exec_lo, exec_lo, s15
	s_delay_alu instid0(SALU_CYCLE_1)
	s_mov_b32 s15, exec_lo
	v_cmpx_gt_u32_e64 s43, v75
	s_cbranch_execnz .LBB1567_183
.LBB1567_82:                            ;   in Loop: Header=BB1567_72 Depth=2
	s_wait_alu 0xfffe
	s_or_b32 exec_lo, exec_lo, s15
	s_delay_alu instid0(SALU_CYCLE_1)
	s_mov_b32 s15, exec_lo
	v_cmpx_gt_u32_e64 s43, v76
	s_cbranch_execz .LBB1567_84
.LBB1567_83:                            ;   in Loop: Header=BB1567_72 Depth=2
	global_load_u8 v25, v[20:21], off offset:192
.LBB1567_84:                            ;   in Loop: Header=BB1567_72 Depth=2
	s_wait_alu 0xfffe
	s_or_b32 exec_lo, exec_lo, s15
	v_cmp_gt_u32_e64 s15, s43, v77
	s_sub_co_i32 s16, s34, s30
.LBB1567_85:                            ;   in Loop: Header=BB1567_72 Depth=2
	v_mov_b32_e32 v2, s43
	s_wait_alu 0xfffe
	s_and_saveexec_b32 s17, s15
	s_cbranch_execz .LBB1567_87
; %bb.86:                               ;   in Loop: Header=BB1567_72 Depth=2
	v_add_co_u32 v20, vcc_lo, v78, s30
	s_wait_alu 0xfffd
	v_add_co_ci_u32_e64 v21, null, s31, v79, vcc_lo
	v_mov_b32_e32 v2, s16
	global_load_u8 v92, v[20:21], off offset:224
.LBB1567_87:                            ;   in Loop: Header=BB1567_72 Depth=2
	s_wait_alu 0xfffe
	s_or_b32 exec_lo, exec_lo, s17
	s_wait_loadcnt 0x0
	v_and_b32_e32 v20, 1, v27
	v_and_b32_e32 v22, 1, v22
	;; [unrolled: 1-line block ×5, first 2 shown]
	v_cmp_eq_u32_e32 vcc_lo, 1, v20
	v_and_b32_e32 v25, 1, v25
	v_and_b32_e32 v92, 1, v92
	v_add_nc_u32_e32 v93, 0x420, v45
	v_add_nc_u32_e32 v94, 0x428, v45
	s_xor_b32 s15, vcc_lo, -1
	v_add_nc_u32_e32 v95, 0x430, v45
	s_wait_alu 0xfffe
	v_cndmask_b32_e64 v90, 0, 1, s15
	v_add_nc_u32_e32 v96, 0x438, v45
	v_cmp_eq_u32_e64 s19, 1, v22
	v_cmp_eq_u32_e64 s18, 1, v26
	;; [unrolled: 1-line block ×3, first 2 shown]
	v_lshrrev_b32_e32 v20, s23, v90
	v_cmp_eq_u32_e64 s16, 1, v24
	ds_store_2addr_b32 v96, v3, v3 offset1:1
	ds_store_2addr_b32 v93, v3, v3 offset1:1
	;; [unrolled: 1-line block ×4, first 2 shown]
	ds_store_b32 v45, v3 offset:1088
	s_wait_dscnt 0x0
	v_and_b32_e32 v21, s42, v20
	v_and_b32_e32 v20, 1, v91
	s_barrier_signal -1
	s_barrier_wait -1
	global_inv scope:SCOPE_SE
	v_add_co_u32 v27, s15, v21, -1
	s_wait_alu 0xf1ff
	v_cndmask_b32_e64 v91, 0, 1, s15
	v_cmp_eq_u32_e64 s20, 1, v20
	v_mul_u32_u24_e32 v21, 36, v21
	v_cmp_eq_u32_e64 s15, 1, v25
	s_delay_alu instid0(VALU_DEP_4) | instskip(NEXT) | instid1(VALU_DEP_3)
	v_cmp_ne_u32_e32 vcc_lo, 0, v91
	; wave barrier
	v_add_nc_u32_e32 v98, v81, v21
	s_wait_alu 0xfffd
	v_xor_b32_e32 v27, vcc_lo, v27
	v_cmp_eq_u32_e32 vcc_lo, 1, v92
	s_delay_alu instid0(VALU_DEP_2) | instskip(NEXT) | instid1(VALU_DEP_1)
	v_and_b32_e32 v20, exec_lo, v27
	v_mbcnt_lo_u32_b32 v91, v20, 0
	v_cmp_ne_u32_e64 s22, 0, v20
	s_delay_alu instid0(VALU_DEP_2)
	v_cmp_eq_u32_e64 s21, 0, v91
	s_and_b32 s22, s22, s21
	s_wait_alu 0xfffe
	s_and_saveexec_b32 s21, s22
; %bb.88:                               ;   in Loop: Header=BB1567_72 Depth=2
	v_bcnt_u32_b32 v20, v20, 0
	ds_store_b32 v98, v20 offset:1056
; %bb.89:                               ;   in Loop: Header=BB1567_72 Depth=2
	s_wait_alu 0xfffe
	s_or_b32 exec_lo, exec_lo, s21
	s_xor_b32 s20, s20, -1
	s_wait_alu 0xfffe
	v_cndmask_b32_e64 v92, 0, 1, s20
	; wave barrier
	s_delay_alu instid0(VALU_DEP_1) | instskip(NEXT) | instid1(VALU_DEP_1)
	v_lshrrev_b32_e32 v20, s23, v92
	v_and_b32_e32 v21, s42, v20
	s_delay_alu instid0(VALU_DEP_1) | instskip(SKIP_2) | instid1(VALU_DEP_1)
	v_add_co_u32 v20, s20, v21, -1
	s_wait_alu 0xf1ff
	v_cndmask_b32_e64 v22, 0, 1, s20
	v_cmp_ne_u32_e64 s20, 0, v22
	v_mad_u32_u24 v22, v21, 36, v81
	v_mul_u32_u24_e32 v21, 36, v21
	s_wait_alu 0xf1ff
	s_delay_alu instid0(VALU_DEP_3) | instskip(SKIP_3) | instid1(VALU_DEP_1)
	v_xor_b32_e32 v20, s20, v20
	ds_load_b32 v97, v22 offset:1056
	v_add_nc_u32_e32 v102, v81, v21
	; wave barrier
	v_and_b32_e32 v20, exec_lo, v20
	v_mbcnt_lo_u32_b32 v99, v20, 0
	v_cmp_ne_u32_e64 s21, 0, v20
	s_delay_alu instid0(VALU_DEP_2)
	v_cmp_eq_u32_e64 s20, 0, v99
	s_and_b32 s21, s21, s20
	s_wait_alu 0xfffe
	s_and_saveexec_b32 s20, s21
	s_cbranch_execz .LBB1567_91
; %bb.90:                               ;   in Loop: Header=BB1567_72 Depth=2
	s_wait_dscnt 0x0
	v_bcnt_u32_b32 v20, v20, v97
	ds_store_b32 v102, v20 offset:1056
.LBB1567_91:                            ;   in Loop: Header=BB1567_72 Depth=2
	s_wait_alu 0xfffe
	s_or_b32 exec_lo, exec_lo, s20
	s_xor_b32 s19, s19, -1
	s_wait_alu 0xfffe
	v_cndmask_b32_e64 v100, 0, 1, s19
	; wave barrier
	s_delay_alu instid0(VALU_DEP_1) | instskip(NEXT) | instid1(VALU_DEP_1)
	v_lshrrev_b32_e32 v20, s23, v100
	v_and_b32_e32 v21, s42, v20
	s_delay_alu instid0(VALU_DEP_1) | instskip(SKIP_2) | instid1(VALU_DEP_1)
	v_add_co_u32 v20, s19, v21, -1
	s_wait_alu 0xf1ff
	v_cndmask_b32_e64 v22, 0, 1, s19
	v_cmp_ne_u32_e64 s19, 0, v22
	v_mad_u32_u24 v22, v21, 36, v81
	v_mul_u32_u24_e32 v21, 36, v21
	s_wait_alu 0xf1ff
	s_delay_alu instid0(VALU_DEP_3) | instskip(SKIP_3) | instid1(VALU_DEP_1)
	v_xor_b32_e32 v20, s19, v20
	ds_load_b32 v101, v22 offset:1056
	v_add_nc_u32_e32 v106, v81, v21
	; wave barrier
	v_and_b32_e32 v20, exec_lo, v20
	v_mbcnt_lo_u32_b32 v103, v20, 0
	v_cmp_ne_u32_e64 s20, 0, v20
	s_delay_alu instid0(VALU_DEP_2)
	v_cmp_eq_u32_e64 s19, 0, v103
	s_and_b32 s20, s20, s19
	s_wait_alu 0xfffe
	s_and_saveexec_b32 s19, s20
	s_cbranch_execz .LBB1567_93
; %bb.92:                               ;   in Loop: Header=BB1567_72 Depth=2
	s_wait_dscnt 0x0
	v_bcnt_u32_b32 v20, v20, v101
	ds_store_b32 v106, v20 offset:1056
.LBB1567_93:                            ;   in Loop: Header=BB1567_72 Depth=2
	;; [unrolled: 36-line block ×5, first 2 shown]
	s_wait_alu 0xfffe
	s_or_b32 exec_lo, exec_lo, s16
	s_xor_b32 s15, s15, -1
	s_wait_alu 0xfffe
	v_cndmask_b32_e64 v116, 0, 1, s15
	; wave barrier
	s_delay_alu instid0(VALU_DEP_1) | instskip(NEXT) | instid1(VALU_DEP_1)
	v_lshrrev_b32_e32 v20, s23, v116
	v_and_b32_e32 v21, s42, v20
	s_delay_alu instid0(VALU_DEP_1) | instskip(SKIP_2) | instid1(VALU_DEP_1)
	v_add_co_u32 v20, s15, v21, -1
	s_wait_alu 0xf1ff
	v_cndmask_b32_e64 v22, 0, 1, s15
	v_cmp_ne_u32_e64 s15, 0, v22
	v_mad_u32_u24 v22, v21, 36, v81
	v_mul_u32_u24_e32 v21, 36, v21
	s_wait_alu 0xf1ff
	s_delay_alu instid0(VALU_DEP_3) | instskip(SKIP_3) | instid1(VALU_DEP_1)
	v_xor_b32_e32 v20, s15, v20
	ds_load_b32 v117, v22 offset:1056
	v_add_nc_u32_e32 v122, v81, v21
	; wave barrier
	v_and_b32_e32 v20, exec_lo, v20
	v_mbcnt_lo_u32_b32 v119, v20, 0
	v_cmp_ne_u32_e64 s16, 0, v20
	s_delay_alu instid0(VALU_DEP_2)
	v_cmp_eq_u32_e64 s15, 0, v119
	s_and_b32 s16, s16, s15
	s_wait_alu 0xfffe
	s_and_saveexec_b32 s15, s16
	s_cbranch_execz .LBB1567_101
; %bb.100:                              ;   in Loop: Header=BB1567_72 Depth=2
	s_wait_dscnt 0x0
	v_bcnt_u32_b32 v20, v20, v117
	ds_store_b32 v122, v20 offset:1056
.LBB1567_101:                           ;   in Loop: Header=BB1567_72 Depth=2
	s_wait_alu 0xfffe
	s_or_b32 exec_lo, exec_lo, s15
	s_xor_b32 s15, vcc_lo, -1
	s_wait_alu 0xfffe
	v_cndmask_b32_e64 v120, 0, 1, s15
	; wave barrier
	s_delay_alu instid0(VALU_DEP_1) | instskip(NEXT) | instid1(VALU_DEP_1)
	v_lshrrev_b32_e32 v20, s23, v120
	v_and_b32_e32 v21, s42, v20
	s_delay_alu instid0(VALU_DEP_1) | instskip(SKIP_2) | instid1(VALU_DEP_1)
	v_add_co_u32 v20, s15, v21, -1
	s_wait_alu 0xf1ff
	v_cndmask_b32_e64 v22, 0, 1, s15
	v_cmp_ne_u32_e32 vcc_lo, 0, v22
	v_mad_u32_u24 v22, v21, 36, v81
	v_mul_u32_u24_e32 v21, 36, v21
	s_wait_alu 0xfffd
	v_xor_b32_e32 v20, vcc_lo, v20
	ds_load_b32 v121, v22 offset:1056
	v_add_nc_u32_e32 v124, v81, v21
	; wave barrier
	v_and_b32_e32 v20, exec_lo, v20
	s_delay_alu instid0(VALU_DEP_1) | instskip(SKIP_1) | instid1(VALU_DEP_2)
	v_mbcnt_lo_u32_b32 v123, v20, 0
	v_cmp_ne_u32_e64 s15, 0, v20
	v_cmp_eq_u32_e32 vcc_lo, 0, v123
	s_and_b32 s16, s15, vcc_lo
	s_wait_alu 0xfffe
	s_and_saveexec_b32 s15, s16
	s_cbranch_execz .LBB1567_103
; %bb.102:                              ;   in Loop: Header=BB1567_72 Depth=2
	s_wait_dscnt 0x0
	v_bcnt_u32_b32 v20, v20, v121
	ds_store_b32 v124, v20 offset:1056
.LBB1567_103:                           ;   in Loop: Header=BB1567_72 Depth=2
	s_wait_alu 0xfffe
	s_or_b32 exec_lo, exec_lo, s15
	; wave barrier
	s_wait_loadcnt_dscnt 0x0
	s_barrier_signal -1
	s_barrier_wait -1
	global_inv scope:SCOPE_SE
	ds_load_2addr_b32 v[26:27], v93 offset1:1
	ds_load_2addr_b32 v[24:25], v94 offset1:1
	;; [unrolled: 1-line block ×4, first 2 shown]
	ds_load_b32 v125, v45 offset:1088
	s_wait_dscnt 0x3
	v_add3_u32 v126, v27, v26, v24
	s_wait_dscnt 0x2
	s_delay_alu instid0(VALU_DEP_1) | instskip(SKIP_1) | instid1(VALU_DEP_1)
	v_add3_u32 v126, v126, v25, v22
	s_wait_dscnt 0x1
	v_add3_u32 v126, v126, v23, v20
	s_wait_dscnt 0x0
	s_delay_alu instid0(VALU_DEP_1) | instskip(NEXT) | instid1(VALU_DEP_1)
	v_add3_u32 v125, v126, v21, v125
	v_mov_b32_dpp v126, v125 row_shr:1 row_mask:0xf bank_mask:0xf
	s_delay_alu instid0(VALU_DEP_1) | instskip(NEXT) | instid1(VALU_DEP_1)
	v_cndmask_b32_e64 v126, v126, 0, s0
	v_add_nc_u32_e32 v125, v126, v125
	s_delay_alu instid0(VALU_DEP_1) | instskip(NEXT) | instid1(VALU_DEP_1)
	v_mov_b32_dpp v126, v125 row_shr:2 row_mask:0xf bank_mask:0xf
	v_cndmask_b32_e64 v126, 0, v126, s1
	s_delay_alu instid0(VALU_DEP_1) | instskip(NEXT) | instid1(VALU_DEP_1)
	v_add_nc_u32_e32 v125, v125, v126
	v_mov_b32_dpp v126, v125 row_shr:4 row_mask:0xf bank_mask:0xf
	s_delay_alu instid0(VALU_DEP_1) | instskip(NEXT) | instid1(VALU_DEP_1)
	v_cndmask_b32_e64 v126, 0, v126, s9
	v_add_nc_u32_e32 v125, v125, v126
	s_delay_alu instid0(VALU_DEP_1) | instskip(NEXT) | instid1(VALU_DEP_1)
	v_mov_b32_dpp v126, v125 row_shr:8 row_mask:0xf bank_mask:0xf
	v_cndmask_b32_e64 v126, 0, v126, s10
	s_delay_alu instid0(VALU_DEP_1) | instskip(SKIP_3) | instid1(VALU_DEP_1)
	v_add_nc_u32_e32 v125, v125, v126
	ds_swizzle_b32 v126, v125 offset:swizzle(BROADCAST,32,15)
	s_wait_dscnt 0x0
	v_cndmask_b32_e64 v126, v126, 0, s11
	v_add_nc_u32_e32 v125, v125, v126
	s_and_saveexec_b32 s15, s3
; %bb.104:                              ;   in Loop: Header=BB1567_72 Depth=2
	ds_store_b32 v38, v125 offset:1024
; %bb.105:                              ;   in Loop: Header=BB1567_72 Depth=2
	s_wait_alu 0xfffe
	s_or_b32 exec_lo, exec_lo, s15
	s_wait_loadcnt_dscnt 0x0
	s_barrier_signal -1
	s_barrier_wait -1
	global_inv scope:SCOPE_SE
	s_and_saveexec_b32 s15, s4
	s_cbranch_execz .LBB1567_107
; %bb.106:                              ;   in Loop: Header=BB1567_72 Depth=2
	v_add_nc_u32_e32 v126, v45, v46
	ds_load_b32 v127, v126 offset:1024
	s_wait_dscnt 0x0
	v_mov_b32_dpp v128, v127 row_shr:1 row_mask:0xf bank_mask:0xf
	s_delay_alu instid0(VALU_DEP_1) | instskip(NEXT) | instid1(VALU_DEP_1)
	v_cndmask_b32_e64 v128, v128, 0, s12
	v_add_nc_u32_e32 v127, v128, v127
	s_delay_alu instid0(VALU_DEP_1) | instskip(NEXT) | instid1(VALU_DEP_1)
	v_mov_b32_dpp v128, v127 row_shr:2 row_mask:0xf bank_mask:0xf
	v_cndmask_b32_e64 v128, 0, v128, s13
	s_delay_alu instid0(VALU_DEP_1) | instskip(NEXT) | instid1(VALU_DEP_1)
	v_add_nc_u32_e32 v127, v127, v128
	v_mov_b32_dpp v128, v127 row_shr:4 row_mask:0xf bank_mask:0xf
	s_delay_alu instid0(VALU_DEP_1) | instskip(NEXT) | instid1(VALU_DEP_1)
	v_cndmask_b32_e64 v128, 0, v128, s14
	v_add_nc_u32_e32 v127, v127, v128
	ds_store_b32 v126, v127 offset:1024
.LBB1567_107:                           ;   in Loop: Header=BB1567_72 Depth=2
	s_wait_alu 0xfffe
	s_or_b32 exec_lo, exec_lo, s15
	v_mov_b32_e32 v126, 0
	s_wait_loadcnt_dscnt 0x0
	s_barrier_signal -1
	s_barrier_wait -1
	global_inv scope:SCOPE_SE
	s_and_saveexec_b32 s15, s5
; %bb.108:                              ;   in Loop: Header=BB1567_72 Depth=2
	ds_load_b32 v126, v38 offset:1020
; %bb.109:                              ;   in Loop: Header=BB1567_72 Depth=2
	s_wait_alu 0xfffe
	s_or_b32 exec_lo, exec_lo, s15
	s_wait_dscnt 0x0
	v_add_nc_u32_e32 v125, v126, v125
	ds_bpermute_b32 v125, v80, v125
	s_wait_dscnt 0x0
	v_cndmask_b32_e64 v125, v125, v126, s8
	s_delay_alu instid0(VALU_DEP_1) | instskip(NEXT) | instid1(VALU_DEP_1)
	v_cndmask_b32_e64 v125, v125, 0, s6
	v_add_nc_u32_e32 v26, v125, v26
	s_delay_alu instid0(VALU_DEP_1) | instskip(NEXT) | instid1(VALU_DEP_1)
	v_add_nc_u32_e32 v27, v26, v27
	v_add_nc_u32_e32 v24, v27, v24
	s_delay_alu instid0(VALU_DEP_1) | instskip(NEXT) | instid1(VALU_DEP_1)
	v_add_nc_u32_e32 v25, v24, v25
	v_add_nc_u32_e32 v22, v25, v22
	s_delay_alu instid0(VALU_DEP_1) | instskip(NEXT) | instid1(VALU_DEP_1)
	v_add_nc_u32_e32 v23, v22, v23
	v_add_nc_u32_e32 v20, v23, v20
	s_delay_alu instid0(VALU_DEP_1)
	v_add_nc_u32_e32 v21, v20, v21
	ds_store_2addr_b32 v96, v23, v20 offset1:1
	ds_store_2addr_b32 v93, v125, v26 offset1:1
	;; [unrolled: 1-line block ×4, first 2 shown]
	ds_store_b32 v45, v21 offset:1088
	s_wait_loadcnt_dscnt 0x0
	s_barrier_signal -1
	s_barrier_wait -1
	global_inv scope:SCOPE_SE
	ds_load_b32 v20, v98 offset:1056
	ds_load_b32 v21, v102 offset:1056
	;; [unrolled: 1-line block ×9, first 2 shown]
	v_mov_b32_e32 v22, 0x800
	s_and_saveexec_b32 s15, s7
; %bb.110:                              ;   in Loop: Header=BB1567_72 Depth=2
	ds_load_b32 v22, v45 offset:1092
; %bb.111:                              ;   in Loop: Header=BB1567_72 Depth=2
	s_wait_alu 0xfffe
	s_or_b32 exec_lo, exec_lo, s15
	s_wait_loadcnt_dscnt 0x0
	s_barrier_signal -1
	s_barrier_wait -1
	global_inv scope:SCOPE_SE
	s_and_saveexec_b32 s15, s2
	s_cbranch_execz .LBB1567_113
; %bb.112:                              ;   in Loop: Header=BB1567_72 Depth=2
	ds_load_b32 v27, v28
	s_wait_dscnt 0x0
	v_sub_nc_u32_e32 v26, v27, v26
	ds_store_b32 v28, v26
.LBB1567_113:                           ;   in Loop: Header=BB1567_72 Depth=2
	s_wait_alu 0xfffe
	s_or_b32 exec_lo, exec_lo, s15
	v_add_nc_u32_e32 v94, v20, v91
	v_add3_u32 v93, v99, v97, v21
	v_add3_u32 v91, v103, v101, v23
	;; [unrolled: 1-line block ×7, first 2 shown]
	v_cmp_lt_u32_e64 s20, v1, v2
	ds_store_b8 v94, v90 offset:1024
	ds_store_b8 v93, v92 offset:1024
	;; [unrolled: 1-line block ×8, first 2 shown]
	s_wait_loadcnt_dscnt 0x0
	s_barrier_signal -1
	s_barrier_wait -1
	global_inv scope:SCOPE_SE
	s_and_saveexec_b32 s15, s20
	s_cbranch_execnz .LBB1567_150
; %bb.114:                              ;   in Loop: Header=BB1567_72 Depth=2
	s_wait_alu 0xfffe
	s_or_b32 exec_lo, exec_lo, s15
	v_cmp_lt_u32_e64 s21, v29, v2
	s_and_saveexec_b32 s15, s21
	s_cbranch_execnz .LBB1567_151
.LBB1567_115:                           ;   in Loop: Header=BB1567_72 Depth=2
	s_wait_alu 0xfffe
	s_or_b32 exec_lo, exec_lo, s15
	v_cmp_lt_u32_e64 s19, v30, v2
	s_and_saveexec_b32 s15, s19
	s_cbranch_execnz .LBB1567_152
.LBB1567_116:                           ;   in Loop: Header=BB1567_72 Depth=2
	s_wait_alu 0xfffe
	s_or_b32 exec_lo, exec_lo, s15
	v_cmp_lt_u32_e64 s18, v31, v2
	s_and_saveexec_b32 s15, s18
	s_cbranch_execnz .LBB1567_153
.LBB1567_117:                           ;   in Loop: Header=BB1567_72 Depth=2
	s_wait_alu 0xfffe
	s_or_b32 exec_lo, exec_lo, s15
	v_cmp_lt_u32_e64 s17, v34, v2
	s_and_saveexec_b32 s15, s17
	s_cbranch_execnz .LBB1567_154
.LBB1567_118:                           ;   in Loop: Header=BB1567_72 Depth=2
	s_wait_alu 0xfffe
	s_or_b32 exec_lo, exec_lo, s15
	v_cmp_lt_u32_e64 s16, v35, v2
	s_and_saveexec_b32 s15, s16
	s_cbranch_execnz .LBB1567_155
.LBB1567_119:                           ;   in Loop: Header=BB1567_72 Depth=2
	s_wait_alu 0xfffe
	s_or_b32 exec_lo, exec_lo, s15
	v_cmp_lt_u32_e64 s15, v36, v2
	s_and_saveexec_b32 s22, s15
	s_cbranch_execnz .LBB1567_156
.LBB1567_120:                           ;   in Loop: Header=BB1567_72 Depth=2
	s_wait_alu 0xfffe
	s_or_b32 exec_lo, exec_lo, s22
	v_cmp_lt_u32_e32 vcc_lo, v37, v2
	s_and_saveexec_b32 s22, vcc_lo
	s_cbranch_execz .LBB1567_122
.LBB1567_121:                           ;   in Loop: Header=BB1567_72 Depth=2
	ds_load_u8 v20, v1 offset:2816
	s_wait_dscnt 0x0
	v_and_b32_e32 v21, 1, v20
	v_xor_b32_e32 v20, 1, v20
	s_delay_alu instid0(VALU_DEP_2) | instskip(NEXT) | instid1(VALU_DEP_1)
	v_lshrrev_b32_e32 v21, s23, v21
	v_and_b32_e32 v21, s42, v21
	s_delay_alu instid0(VALU_DEP_1)
	v_lshlrev_b32_e32 v21, 2, v21
	ds_load_b32 v21, v21
	s_wait_dscnt 0x0
	v_add_nc_u32_e32 v21, v21, v37
	global_store_b8 v21, v20, s[38:39]
.LBB1567_122:                           ;   in Loop: Header=BB1567_72 Depth=2
	s_wait_alu 0xfffe
	s_or_b32 exec_lo, exec_lo, s22
	s_lshl_b64 s[48:49], s[30:31], 3
	s_wait_alu 0xfffe
	v_add_co_u32 v20, s22, v69, s48
	s_wait_alu 0xf1ff
	v_add_co_ci_u32_e64 v21, null, s49, v70, s22
	v_cmp_lt_u32_e64 s22, v68, v2
	s_and_saveexec_b32 s30, s22
	s_wait_alu 0xfffe
	s_xor_b32 s22, exec_lo, s30
	s_cbranch_execnz .LBB1567_157
; %bb.123:                              ;   in Loop: Header=BB1567_72 Depth=2
	s_wait_alu 0xfffe
	s_or_b32 exec_lo, exec_lo, s22
	s_delay_alu instid0(SALU_CYCLE_1)
	s_mov_b32 s30, exec_lo
	v_cmpx_lt_u32_e64 v71, v2
	s_cbranch_execnz .LBB1567_158
.LBB1567_124:                           ;   in Loop: Header=BB1567_72 Depth=2
	s_wait_alu 0xfffe
	s_or_b32 exec_lo, exec_lo, s30
	s_delay_alu instid0(SALU_CYCLE_1)
	s_mov_b32 s30, exec_lo
	v_cmpx_lt_u32_e64 v72, v2
	s_cbranch_execnz .LBB1567_159
.LBB1567_125:                           ;   in Loop: Header=BB1567_72 Depth=2
	s_wait_alu 0xfffe
	s_or_b32 exec_lo, exec_lo, s30
	s_delay_alu instid0(SALU_CYCLE_1)
	s_mov_b32 s30, exec_lo
	v_cmpx_lt_u32_e64 v73, v2
	s_cbranch_execnz .LBB1567_160
.LBB1567_126:                           ;   in Loop: Header=BB1567_72 Depth=2
	s_wait_alu 0xfffe
	s_or_b32 exec_lo, exec_lo, s30
	s_delay_alu instid0(SALU_CYCLE_1)
	s_mov_b32 s30, exec_lo
	v_cmpx_lt_u32_e64 v74, v2
	s_cbranch_execnz .LBB1567_161
.LBB1567_127:                           ;   in Loop: Header=BB1567_72 Depth=2
	s_wait_alu 0xfffe
	s_or_b32 exec_lo, exec_lo, s30
	s_delay_alu instid0(SALU_CYCLE_1)
	s_mov_b32 s30, exec_lo
	v_cmpx_lt_u32_e64 v75, v2
	s_cbranch_execnz .LBB1567_162
.LBB1567_128:                           ;   in Loop: Header=BB1567_72 Depth=2
	s_wait_alu 0xfffe
	s_or_b32 exec_lo, exec_lo, s30
	s_delay_alu instid0(SALU_CYCLE_1)
	s_mov_b32 s30, exec_lo
	v_cmpx_lt_u32_e64 v76, v2
	s_cbranch_execnz .LBB1567_163
.LBB1567_129:                           ;   in Loop: Header=BB1567_72 Depth=2
	s_wait_alu 0xfffe
	s_or_b32 exec_lo, exec_lo, s30
	s_delay_alu instid0(SALU_CYCLE_1)
	s_mov_b32 s30, exec_lo
	v_cmpx_lt_u32_e64 v77, v2
	s_cbranch_execnz .LBB1567_164
.LBB1567_130:                           ;   in Loop: Header=BB1567_72 Depth=2
	s_wait_alu 0xfffe
	s_or_b32 exec_lo, exec_lo, s30
	s_and_saveexec_b32 s22, s20
	s_cbranch_execnz .LBB1567_165
.LBB1567_131:                           ;   in Loop: Header=BB1567_72 Depth=2
	s_wait_alu 0xfffe
	s_or_b32 exec_lo, exec_lo, s22
	s_and_saveexec_b32 s22, s21
	s_cbranch_execnz .LBB1567_166
.LBB1567_132:                           ;   in Loop: Header=BB1567_72 Depth=2
	s_wait_alu 0xfffe
	s_or_b32 exec_lo, exec_lo, s22
	s_and_saveexec_b32 s22, s19
	s_cbranch_execnz .LBB1567_167
.LBB1567_133:                           ;   in Loop: Header=BB1567_72 Depth=2
	s_wait_alu 0xfffe
	s_or_b32 exec_lo, exec_lo, s22
	s_and_saveexec_b32 s22, s18
	s_cbranch_execnz .LBB1567_168
.LBB1567_134:                           ;   in Loop: Header=BB1567_72 Depth=2
	s_wait_alu 0xfffe
	s_or_b32 exec_lo, exec_lo, s22
	s_and_saveexec_b32 s22, s17
	s_cbranch_execnz .LBB1567_169
.LBB1567_135:                           ;   in Loop: Header=BB1567_72 Depth=2
	s_wait_alu 0xfffe
	s_or_b32 exec_lo, exec_lo, s22
	s_and_saveexec_b32 s22, s16
	s_cbranch_execnz .LBB1567_170
.LBB1567_136:                           ;   in Loop: Header=BB1567_72 Depth=2
	s_wait_alu 0xfffe
	s_or_b32 exec_lo, exec_lo, s22
	s_and_saveexec_b32 s22, s15
	s_cbranch_execnz .LBB1567_171
.LBB1567_137:                           ;   in Loop: Header=BB1567_72 Depth=2
	s_wait_alu 0xfffe
	s_or_b32 exec_lo, exec_lo, s22
	s_and_saveexec_b32 s22, vcc_lo
	s_cbranch_execz .LBB1567_139
.LBB1567_138:                           ;   in Loop: Header=BB1567_72 Depth=2
	ds_load_u8 v2, v1 offset:2816
	s_wait_dscnt 0x0
	v_lshrrev_b32_e32 v2, s23, v2
	s_delay_alu instid0(VALU_DEP_1)
	v_and_b32_e32 v82, s42, v2
.LBB1567_139:                           ;   in Loop: Header=BB1567_72 Depth=2
	s_wait_alu 0xfffe
	s_or_b32 exec_lo, exec_lo, s22
	v_lshlrev_b32_e32 v2, 3, v94
	v_lshlrev_b32_e32 v20, 3, v93
	;; [unrolled: 1-line block ×3, first 2 shown]
	s_wait_loadcnt 0x0
	s_wait_storecnt 0x0
	s_barrier_signal -1
	s_barrier_wait -1
	global_inv scope:SCOPE_SE
	ds_store_b64 v2, v[18:19] offset:1024
	ds_store_b64 v20, v[16:17] offset:1024
	;; [unrolled: 1-line block ×3, first 2 shown]
	v_lshlrev_b32_e32 v2, 3, v27
	v_lshlrev_b32_e32 v20, 3, v26
	;; [unrolled: 1-line block ×5, first 2 shown]
	ds_store_b64 v2, v[12:13] offset:1024
	ds_store_b64 v20, v[10:11] offset:1024
	;; [unrolled: 1-line block ×5, first 2 shown]
	s_wait_loadcnt_dscnt 0x0
	s_barrier_signal -1
	s_barrier_wait -1
	global_inv scope:SCOPE_SE
	s_and_saveexec_b32 s22, s20
	s_cbranch_execnz .LBB1567_172
; %bb.140:                              ;   in Loop: Header=BB1567_72 Depth=2
	s_wait_alu 0xfffe
	s_or_b32 exec_lo, exec_lo, s22
	s_and_saveexec_b32 s22, s21
	s_cbranch_execnz .LBB1567_173
.LBB1567_141:                           ;   in Loop: Header=BB1567_72 Depth=2
	s_wait_alu 0xfffe
	s_or_b32 exec_lo, exec_lo, s22
	s_and_saveexec_b32 s20, s19
	s_cbranch_execnz .LBB1567_174
.LBB1567_142:                           ;   in Loop: Header=BB1567_72 Depth=2
	s_wait_alu 0xfffe
	s_or_b32 exec_lo, exec_lo, s20
	s_and_saveexec_b32 s19, s18
	s_cbranch_execnz .LBB1567_175
.LBB1567_143:                           ;   in Loop: Header=BB1567_72 Depth=2
	s_wait_alu 0xfffe
	s_or_b32 exec_lo, exec_lo, s19
	s_and_saveexec_b32 s18, s17
	s_cbranch_execnz .LBB1567_176
.LBB1567_144:                           ;   in Loop: Header=BB1567_72 Depth=2
	s_wait_alu 0xfffe
	s_or_b32 exec_lo, exec_lo, s18
	s_and_saveexec_b32 s17, s16
	s_cbranch_execnz .LBB1567_177
.LBB1567_145:                           ;   in Loop: Header=BB1567_72 Depth=2
	s_wait_alu 0xfffe
	s_or_b32 exec_lo, exec_lo, s17
	s_and_saveexec_b32 s16, s15
	s_cbranch_execnz .LBB1567_178
.LBB1567_146:                           ;   in Loop: Header=BB1567_72 Depth=2
	s_wait_alu 0xfffe
	s_or_b32 exec_lo, exec_lo, s16
	s_and_saveexec_b32 s15, vcc_lo
	s_cbranch_execz .LBB1567_148
.LBB1567_147:                           ;   in Loop: Header=BB1567_72 Depth=2
	v_lshlrev_b32_e32 v2, 2, v82
	v_add_nc_u32_e32 v20, v1, v47
	ds_load_b32 v2, v2
	ds_load_b64 v[20:21], v20 offset:15360
	s_wait_dscnt 0x1
	v_add_nc_u32_e32 v2, v2, v37
	s_delay_alu instid0(VALU_DEP_1) | instskip(NEXT) | instid1(VALU_DEP_1)
	v_lshlrev_b64_e32 v[23:24], 3, v[2:3]
	v_add_co_u32 v23, vcc_lo, s24, v23
	s_wait_alu 0xfffd
	s_delay_alu instid0(VALU_DEP_2)
	v_add_co_ci_u32_e64 v24, null, s25, v24, vcc_lo
	s_wait_dscnt 0x0
	global_store_b64 v[23:24], v[20:21], off
.LBB1567_148:                           ;   in Loop: Header=BB1567_72 Depth=2
	s_wait_alu 0xfffe
	s_or_b32 exec_lo, exec_lo, s15
	s_wait_loadcnt 0x0
	s_wait_storecnt 0x0
	s_barrier_signal -1
	s_barrier_wait -1
	global_inv scope:SCOPE_SE
	s_and_saveexec_b32 s15, s2
	s_cbranch_execz .LBB1567_71
; %bb.149:                              ;   in Loop: Header=BB1567_72 Depth=2
	ds_load_b32 v2, v28
	s_wait_dscnt 0x0
	v_add_nc_u32_e32 v2, v2, v22
	ds_store_b32 v28, v2
	s_branch .LBB1567_71
.LBB1567_150:                           ;   in Loop: Header=BB1567_72 Depth=2
	ds_load_u8 v20, v1 offset:1024
	s_wait_dscnt 0x0
	v_and_b32_e32 v21, 1, v20
	v_xor_b32_e32 v20, 1, v20
	s_delay_alu instid0(VALU_DEP_2) | instskip(NEXT) | instid1(VALU_DEP_1)
	v_lshrrev_b32_e32 v21, s23, v21
	v_and_b32_e32 v21, s42, v21
	s_delay_alu instid0(VALU_DEP_1)
	v_lshlrev_b32_e32 v21, 2, v21
	ds_load_b32 v21, v21
	s_wait_dscnt 0x0
	v_add_nc_u32_e32 v21, v21, v1
	global_store_b8 v21, v20, s[38:39]
	s_wait_alu 0xfffe
	s_or_b32 exec_lo, exec_lo, s15
	v_cmp_lt_u32_e64 s21, v29, v2
	s_and_saveexec_b32 s15, s21
	s_cbranch_execz .LBB1567_115
.LBB1567_151:                           ;   in Loop: Header=BB1567_72 Depth=2
	ds_load_u8 v20, v1 offset:1280
	s_wait_dscnt 0x0
	v_and_b32_e32 v21, 1, v20
	v_xor_b32_e32 v20, 1, v20
	s_delay_alu instid0(VALU_DEP_2) | instskip(NEXT) | instid1(VALU_DEP_1)
	v_lshrrev_b32_e32 v21, s23, v21
	v_and_b32_e32 v21, s42, v21
	s_delay_alu instid0(VALU_DEP_1)
	v_lshlrev_b32_e32 v21, 2, v21
	ds_load_b32 v21, v21
	s_wait_dscnt 0x0
	v_add_nc_u32_e32 v21, v21, v29
	global_store_b8 v21, v20, s[38:39]
	s_wait_alu 0xfffe
	s_or_b32 exec_lo, exec_lo, s15
	v_cmp_lt_u32_e64 s19, v30, v2
	s_and_saveexec_b32 s15, s19
	s_cbranch_execz .LBB1567_116
.LBB1567_152:                           ;   in Loop: Header=BB1567_72 Depth=2
	ds_load_u8 v20, v1 offset:1536
	s_wait_dscnt 0x0
	v_and_b32_e32 v21, 1, v20
	v_xor_b32_e32 v20, 1, v20
	s_delay_alu instid0(VALU_DEP_2) | instskip(NEXT) | instid1(VALU_DEP_1)
	v_lshrrev_b32_e32 v21, s23, v21
	v_and_b32_e32 v21, s42, v21
	s_delay_alu instid0(VALU_DEP_1)
	v_lshlrev_b32_e32 v21, 2, v21
	ds_load_b32 v21, v21
	s_wait_dscnt 0x0
	v_add_nc_u32_e32 v21, v21, v30
	global_store_b8 v21, v20, s[38:39]
	s_wait_alu 0xfffe
	s_or_b32 exec_lo, exec_lo, s15
	v_cmp_lt_u32_e64 s18, v31, v2
	s_and_saveexec_b32 s15, s18
	s_cbranch_execz .LBB1567_117
.LBB1567_153:                           ;   in Loop: Header=BB1567_72 Depth=2
	ds_load_u8 v20, v1 offset:1792
	s_wait_dscnt 0x0
	v_and_b32_e32 v21, 1, v20
	v_xor_b32_e32 v20, 1, v20
	s_delay_alu instid0(VALU_DEP_2) | instskip(NEXT) | instid1(VALU_DEP_1)
	v_lshrrev_b32_e32 v21, s23, v21
	v_and_b32_e32 v21, s42, v21
	s_delay_alu instid0(VALU_DEP_1)
	v_lshlrev_b32_e32 v21, 2, v21
	ds_load_b32 v21, v21
	s_wait_dscnt 0x0
	v_add_nc_u32_e32 v21, v21, v31
	global_store_b8 v21, v20, s[38:39]
	s_wait_alu 0xfffe
	s_or_b32 exec_lo, exec_lo, s15
	v_cmp_lt_u32_e64 s17, v34, v2
	s_and_saveexec_b32 s15, s17
	s_cbranch_execz .LBB1567_118
.LBB1567_154:                           ;   in Loop: Header=BB1567_72 Depth=2
	ds_load_u8 v20, v1 offset:2048
	s_wait_dscnt 0x0
	v_and_b32_e32 v21, 1, v20
	v_xor_b32_e32 v20, 1, v20
	s_delay_alu instid0(VALU_DEP_2) | instskip(NEXT) | instid1(VALU_DEP_1)
	v_lshrrev_b32_e32 v21, s23, v21
	v_and_b32_e32 v21, s42, v21
	s_delay_alu instid0(VALU_DEP_1)
	v_lshlrev_b32_e32 v21, 2, v21
	ds_load_b32 v21, v21
	s_wait_dscnt 0x0
	v_add_nc_u32_e32 v21, v21, v34
	global_store_b8 v21, v20, s[38:39]
	s_wait_alu 0xfffe
	s_or_b32 exec_lo, exec_lo, s15
	v_cmp_lt_u32_e64 s16, v35, v2
	s_and_saveexec_b32 s15, s16
	s_cbranch_execz .LBB1567_119
.LBB1567_155:                           ;   in Loop: Header=BB1567_72 Depth=2
	ds_load_u8 v20, v1 offset:2304
	s_wait_dscnt 0x0
	v_and_b32_e32 v21, 1, v20
	v_xor_b32_e32 v20, 1, v20
	s_delay_alu instid0(VALU_DEP_2) | instskip(NEXT) | instid1(VALU_DEP_1)
	v_lshrrev_b32_e32 v21, s23, v21
	v_and_b32_e32 v21, s42, v21
	s_delay_alu instid0(VALU_DEP_1)
	v_lshlrev_b32_e32 v21, 2, v21
	ds_load_b32 v21, v21
	s_wait_dscnt 0x0
	v_add_nc_u32_e32 v21, v21, v35
	global_store_b8 v21, v20, s[38:39]
	s_wait_alu 0xfffe
	s_or_b32 exec_lo, exec_lo, s15
	v_cmp_lt_u32_e64 s15, v36, v2
	s_and_saveexec_b32 s22, s15
	s_cbranch_execz .LBB1567_120
.LBB1567_156:                           ;   in Loop: Header=BB1567_72 Depth=2
	ds_load_u8 v20, v1 offset:2560
	s_wait_dscnt 0x0
	v_and_b32_e32 v21, 1, v20
	v_xor_b32_e32 v20, 1, v20
	s_delay_alu instid0(VALU_DEP_2) | instskip(NEXT) | instid1(VALU_DEP_1)
	v_lshrrev_b32_e32 v21, s23, v21
	v_and_b32_e32 v21, s42, v21
	s_delay_alu instid0(VALU_DEP_1)
	v_lshlrev_b32_e32 v21, 2, v21
	ds_load_b32 v21, v21
	s_wait_dscnt 0x0
	v_add_nc_u32_e32 v21, v21, v36
	global_store_b8 v21, v20, s[38:39]
	s_wait_alu 0xfffe
	s_or_b32 exec_lo, exec_lo, s22
	v_cmp_lt_u32_e32 vcc_lo, v37, v2
	s_and_saveexec_b32 s22, vcc_lo
	s_cbranch_execnz .LBB1567_121
	s_branch .LBB1567_122
.LBB1567_157:                           ;   in Loop: Header=BB1567_72 Depth=2
	global_load_b64 v[18:19], v[20:21], off
	s_wait_alu 0xfffe
	s_or_b32 exec_lo, exec_lo, s22
	s_delay_alu instid0(SALU_CYCLE_1)
	s_mov_b32 s30, exec_lo
	v_cmpx_lt_u32_e64 v71, v2
	s_cbranch_execz .LBB1567_124
.LBB1567_158:                           ;   in Loop: Header=BB1567_72 Depth=2
	global_load_b64 v[16:17], v[20:21], off offset:256
	s_wait_alu 0xfffe
	s_or_b32 exec_lo, exec_lo, s30
	s_delay_alu instid0(SALU_CYCLE_1)
	s_mov_b32 s30, exec_lo
	v_cmpx_lt_u32_e64 v72, v2
	s_cbranch_execz .LBB1567_125
.LBB1567_159:                           ;   in Loop: Header=BB1567_72 Depth=2
	global_load_b64 v[14:15], v[20:21], off offset:512
	s_wait_alu 0xfffe
	s_or_b32 exec_lo, exec_lo, s30
	s_delay_alu instid0(SALU_CYCLE_1)
	s_mov_b32 s30, exec_lo
	v_cmpx_lt_u32_e64 v73, v2
	s_cbranch_execz .LBB1567_126
.LBB1567_160:                           ;   in Loop: Header=BB1567_72 Depth=2
	global_load_b64 v[12:13], v[20:21], off offset:768
	s_wait_alu 0xfffe
	s_or_b32 exec_lo, exec_lo, s30
	s_delay_alu instid0(SALU_CYCLE_1)
	s_mov_b32 s30, exec_lo
	v_cmpx_lt_u32_e64 v74, v2
	s_cbranch_execz .LBB1567_127
.LBB1567_161:                           ;   in Loop: Header=BB1567_72 Depth=2
	global_load_b64 v[10:11], v[20:21], off offset:1024
	s_wait_alu 0xfffe
	s_or_b32 exec_lo, exec_lo, s30
	s_delay_alu instid0(SALU_CYCLE_1)
	s_mov_b32 s30, exec_lo
	v_cmpx_lt_u32_e64 v75, v2
	s_cbranch_execz .LBB1567_128
.LBB1567_162:                           ;   in Loop: Header=BB1567_72 Depth=2
	global_load_b64 v[8:9], v[20:21], off offset:1280
	s_wait_alu 0xfffe
	s_or_b32 exec_lo, exec_lo, s30
	s_delay_alu instid0(SALU_CYCLE_1)
	s_mov_b32 s30, exec_lo
	v_cmpx_lt_u32_e64 v76, v2
	s_cbranch_execz .LBB1567_129
.LBB1567_163:                           ;   in Loop: Header=BB1567_72 Depth=2
	global_load_b64 v[6:7], v[20:21], off offset:1536
	s_wait_alu 0xfffe
	s_or_b32 exec_lo, exec_lo, s30
	s_delay_alu instid0(SALU_CYCLE_1)
	s_mov_b32 s30, exec_lo
	v_cmpx_lt_u32_e64 v77, v2
	s_cbranch_execz .LBB1567_130
.LBB1567_164:                           ;   in Loop: Header=BB1567_72 Depth=2
	global_load_b64 v[4:5], v[20:21], off offset:1792
	s_wait_alu 0xfffe
	s_or_b32 exec_lo, exec_lo, s30
	s_and_saveexec_b32 s22, s20
	s_cbranch_execz .LBB1567_131
.LBB1567_165:                           ;   in Loop: Header=BB1567_72 Depth=2
	ds_load_u8 v2, v1 offset:1024
	s_wait_dscnt 0x0
	v_lshrrev_b32_e32 v2, s23, v2
	s_delay_alu instid0(VALU_DEP_1)
	v_and_b32_e32 v89, s42, v2
	s_wait_alu 0xfffe
	s_or_b32 exec_lo, exec_lo, s22
	s_and_saveexec_b32 s22, s21
	s_cbranch_execz .LBB1567_132
.LBB1567_166:                           ;   in Loop: Header=BB1567_72 Depth=2
	ds_load_u8 v2, v1 offset:1280
	s_wait_dscnt 0x0
	v_lshrrev_b32_e32 v2, s23, v2
	s_delay_alu instid0(VALU_DEP_1)
	v_and_b32_e32 v88, s42, v2
	s_wait_alu 0xfffe
	s_or_b32 exec_lo, exec_lo, s22
	s_and_saveexec_b32 s22, s19
	s_cbranch_execz .LBB1567_133
.LBB1567_167:                           ;   in Loop: Header=BB1567_72 Depth=2
	ds_load_u8 v2, v1 offset:1536
	s_wait_dscnt 0x0
	v_lshrrev_b32_e32 v2, s23, v2
	s_delay_alu instid0(VALU_DEP_1)
	v_and_b32_e32 v87, s42, v2
	s_wait_alu 0xfffe
	s_or_b32 exec_lo, exec_lo, s22
	s_and_saveexec_b32 s22, s18
	s_cbranch_execz .LBB1567_134
.LBB1567_168:                           ;   in Loop: Header=BB1567_72 Depth=2
	ds_load_u8 v2, v1 offset:1792
	s_wait_dscnt 0x0
	v_lshrrev_b32_e32 v2, s23, v2
	s_delay_alu instid0(VALU_DEP_1)
	v_and_b32_e32 v86, s42, v2
	s_wait_alu 0xfffe
	s_or_b32 exec_lo, exec_lo, s22
	s_and_saveexec_b32 s22, s17
	s_cbranch_execz .LBB1567_135
.LBB1567_169:                           ;   in Loop: Header=BB1567_72 Depth=2
	ds_load_u8 v2, v1 offset:2048
	s_wait_dscnt 0x0
	v_lshrrev_b32_e32 v2, s23, v2
	s_delay_alu instid0(VALU_DEP_1)
	v_and_b32_e32 v85, s42, v2
	s_wait_alu 0xfffe
	s_or_b32 exec_lo, exec_lo, s22
	s_and_saveexec_b32 s22, s16
	s_cbranch_execz .LBB1567_136
.LBB1567_170:                           ;   in Loop: Header=BB1567_72 Depth=2
	ds_load_u8 v2, v1 offset:2304
	s_wait_dscnt 0x0
	v_lshrrev_b32_e32 v2, s23, v2
	s_delay_alu instid0(VALU_DEP_1)
	v_and_b32_e32 v84, s42, v2
	s_wait_alu 0xfffe
	s_or_b32 exec_lo, exec_lo, s22
	s_and_saveexec_b32 s22, s15
	s_cbranch_execz .LBB1567_137
.LBB1567_171:                           ;   in Loop: Header=BB1567_72 Depth=2
	ds_load_u8 v2, v1 offset:2560
	s_wait_dscnt 0x0
	v_lshrrev_b32_e32 v2, s23, v2
	s_delay_alu instid0(VALU_DEP_1)
	v_and_b32_e32 v83, s42, v2
	s_wait_alu 0xfffe
	s_or_b32 exec_lo, exec_lo, s22
	s_and_saveexec_b32 s22, vcc_lo
	s_cbranch_execnz .LBB1567_138
	s_branch .LBB1567_139
.LBB1567_172:                           ;   in Loop: Header=BB1567_72 Depth=2
	v_lshlrev_b32_e32 v2, 2, v89
	v_add_nc_u32_e32 v20, v1, v47
	ds_load_b32 v2, v2
	ds_load_b64 v[20:21], v20 offset:1024
	s_wait_dscnt 0x1
	v_add_nc_u32_e32 v2, v2, v1
	s_delay_alu instid0(VALU_DEP_1) | instskip(NEXT) | instid1(VALU_DEP_1)
	v_lshlrev_b64_e32 v[23:24], 3, v[2:3]
	v_add_co_u32 v23, s20, s24, v23
	s_wait_alu 0xf1ff
	s_delay_alu instid0(VALU_DEP_2)
	v_add_co_ci_u32_e64 v24, null, s25, v24, s20
	s_wait_dscnt 0x0
	global_store_b64 v[23:24], v[20:21], off
	s_wait_alu 0xfffe
	s_or_b32 exec_lo, exec_lo, s22
	s_and_saveexec_b32 s22, s21
	s_cbranch_execz .LBB1567_141
.LBB1567_173:                           ;   in Loop: Header=BB1567_72 Depth=2
	v_lshlrev_b32_e32 v2, 2, v88
	v_add_nc_u32_e32 v20, v1, v47
	ds_load_b32 v2, v2
	ds_load_b64 v[20:21], v20 offset:3072
	s_wait_dscnt 0x1
	v_add_nc_u32_e32 v2, v2, v29
	s_delay_alu instid0(VALU_DEP_1) | instskip(NEXT) | instid1(VALU_DEP_1)
	v_lshlrev_b64_e32 v[23:24], 3, v[2:3]
	v_add_co_u32 v23, s20, s24, v23
	s_wait_alu 0xf1ff
	s_delay_alu instid0(VALU_DEP_2)
	v_add_co_ci_u32_e64 v24, null, s25, v24, s20
	s_wait_dscnt 0x0
	global_store_b64 v[23:24], v[20:21], off
	s_wait_alu 0xfffe
	s_or_b32 exec_lo, exec_lo, s22
	s_and_saveexec_b32 s20, s19
	s_cbranch_execz .LBB1567_142
.LBB1567_174:                           ;   in Loop: Header=BB1567_72 Depth=2
	v_lshlrev_b32_e32 v2, 2, v87
	v_add_nc_u32_e32 v20, v1, v47
	ds_load_b32 v2, v2
	ds_load_b64 v[20:21], v20 offset:5120
	s_wait_dscnt 0x1
	v_add_nc_u32_e32 v2, v2, v30
	s_delay_alu instid0(VALU_DEP_1) | instskip(NEXT) | instid1(VALU_DEP_1)
	v_lshlrev_b64_e32 v[23:24], 3, v[2:3]
	v_add_co_u32 v23, s19, s24, v23
	s_wait_alu 0xf1ff
	s_delay_alu instid0(VALU_DEP_2)
	v_add_co_ci_u32_e64 v24, null, s25, v24, s19
	s_wait_dscnt 0x0
	global_store_b64 v[23:24], v[20:21], off
	s_wait_alu 0xfffe
	s_or_b32 exec_lo, exec_lo, s20
	s_and_saveexec_b32 s19, s18
	s_cbranch_execz .LBB1567_143
.LBB1567_175:                           ;   in Loop: Header=BB1567_72 Depth=2
	v_lshlrev_b32_e32 v2, 2, v86
	v_add_nc_u32_e32 v20, v1, v47
	ds_load_b32 v2, v2
	ds_load_b64 v[20:21], v20 offset:7168
	s_wait_dscnt 0x1
	v_add_nc_u32_e32 v2, v2, v31
	s_delay_alu instid0(VALU_DEP_1) | instskip(NEXT) | instid1(VALU_DEP_1)
	v_lshlrev_b64_e32 v[23:24], 3, v[2:3]
	v_add_co_u32 v23, s18, s24, v23
	s_wait_alu 0xf1ff
	s_delay_alu instid0(VALU_DEP_2)
	v_add_co_ci_u32_e64 v24, null, s25, v24, s18
	s_wait_dscnt 0x0
	global_store_b64 v[23:24], v[20:21], off
	s_wait_alu 0xfffe
	s_or_b32 exec_lo, exec_lo, s19
	s_and_saveexec_b32 s18, s17
	s_cbranch_execz .LBB1567_144
.LBB1567_176:                           ;   in Loop: Header=BB1567_72 Depth=2
	v_lshlrev_b32_e32 v2, 2, v85
	v_add_nc_u32_e32 v20, v1, v47
	ds_load_b32 v2, v2
	ds_load_b64 v[20:21], v20 offset:9216
	s_wait_dscnt 0x1
	v_add_nc_u32_e32 v2, v2, v34
	s_delay_alu instid0(VALU_DEP_1) | instskip(NEXT) | instid1(VALU_DEP_1)
	v_lshlrev_b64_e32 v[23:24], 3, v[2:3]
	v_add_co_u32 v23, s17, s24, v23
	s_wait_alu 0xf1ff
	s_delay_alu instid0(VALU_DEP_2)
	v_add_co_ci_u32_e64 v24, null, s25, v24, s17
	s_wait_dscnt 0x0
	global_store_b64 v[23:24], v[20:21], off
	s_wait_alu 0xfffe
	s_or_b32 exec_lo, exec_lo, s18
	s_and_saveexec_b32 s17, s16
	s_cbranch_execz .LBB1567_145
.LBB1567_177:                           ;   in Loop: Header=BB1567_72 Depth=2
	v_lshlrev_b32_e32 v2, 2, v84
	v_add_nc_u32_e32 v20, v1, v47
	ds_load_b32 v2, v2
	ds_load_b64 v[20:21], v20 offset:11264
	s_wait_dscnt 0x1
	v_add_nc_u32_e32 v2, v2, v35
	s_delay_alu instid0(VALU_DEP_1) | instskip(NEXT) | instid1(VALU_DEP_1)
	v_lshlrev_b64_e32 v[23:24], 3, v[2:3]
	v_add_co_u32 v23, s16, s24, v23
	s_wait_alu 0xf1ff
	s_delay_alu instid0(VALU_DEP_2)
	v_add_co_ci_u32_e64 v24, null, s25, v24, s16
	s_wait_dscnt 0x0
	global_store_b64 v[23:24], v[20:21], off
	s_wait_alu 0xfffe
	s_or_b32 exec_lo, exec_lo, s17
	s_and_saveexec_b32 s16, s15
	s_cbranch_execz .LBB1567_146
.LBB1567_178:                           ;   in Loop: Header=BB1567_72 Depth=2
	v_lshlrev_b32_e32 v2, 2, v83
	v_add_nc_u32_e32 v20, v1, v47
	ds_load_b32 v2, v2
	ds_load_b64 v[20:21], v20 offset:13312
	s_wait_dscnt 0x1
	v_add_nc_u32_e32 v2, v2, v36
	s_delay_alu instid0(VALU_DEP_1) | instskip(NEXT) | instid1(VALU_DEP_1)
	v_lshlrev_b64_e32 v[23:24], 3, v[2:3]
	v_add_co_u32 v23, s15, s24, v23
	s_wait_alu 0xf1ff
	s_delay_alu instid0(VALU_DEP_2)
	v_add_co_ci_u32_e64 v24, null, s25, v24, s15
	s_wait_dscnt 0x0
	global_store_b64 v[23:24], v[20:21], off
	s_wait_alu 0xfffe
	s_or_b32 exec_lo, exec_lo, s16
	s_and_saveexec_b32 s15, vcc_lo
	s_cbranch_execnz .LBB1567_147
	s_branch .LBB1567_148
.LBB1567_179:                           ;   in Loop: Header=BB1567_72 Depth=2
	global_load_u8 v91, v[20:21], off offset:32
	s_wait_alu 0xfffe
	s_or_b32 exec_lo, exec_lo, s15
	s_delay_alu instid0(SALU_CYCLE_1)
	s_mov_b32 s15, exec_lo
	v_cmpx_gt_u32_e64 s43, v72
	s_cbranch_execz .LBB1567_79
.LBB1567_180:                           ;   in Loop: Header=BB1567_72 Depth=2
	global_load_u8 v22, v[20:21], off offset:64
	s_wait_alu 0xfffe
	s_or_b32 exec_lo, exec_lo, s15
	s_delay_alu instid0(SALU_CYCLE_1)
	s_mov_b32 s15, exec_lo
	v_cmpx_gt_u32_e64 s43, v73
	s_cbranch_execz .LBB1567_80
.LBB1567_181:                           ;   in Loop: Header=BB1567_72 Depth=2
	global_load_u8 v26, v[20:21], off offset:96
	s_wait_alu 0xfffe
	s_or_b32 exec_lo, exec_lo, s15
	s_delay_alu instid0(SALU_CYCLE_1)
	s_mov_b32 s15, exec_lo
	v_cmpx_gt_u32_e64 s43, v74
	s_cbranch_execz .LBB1567_81
.LBB1567_182:                           ;   in Loop: Header=BB1567_72 Depth=2
	global_load_u8 v23, v[20:21], off offset:128
	s_wait_alu 0xfffe
	s_or_b32 exec_lo, exec_lo, s15
	s_delay_alu instid0(SALU_CYCLE_1)
	s_mov_b32 s15, exec_lo
	v_cmpx_gt_u32_e64 s43, v75
	s_cbranch_execz .LBB1567_82
.LBB1567_183:                           ;   in Loop: Header=BB1567_72 Depth=2
	global_load_u8 v24, v[20:21], off offset:160
	s_wait_alu 0xfffe
	s_or_b32 exec_lo, exec_lo, s15
	s_delay_alu instid0(SALU_CYCLE_1)
	s_mov_b32 s15, exec_lo
	v_cmpx_gt_u32_e64 s43, v76
	s_cbranch_execnz .LBB1567_83
	s_branch .LBB1567_84
.LBB1567_184:                           ;   in Loop: Header=BB1567_20 Depth=1
	s_wait_loadcnt_dscnt 0x0
	s_barrier_signal -1
	s_mov_b32 s0, 0
	s_barrier_wait -1
.LBB1567_185:                           ;   in Loop: Header=BB1567_20 Depth=1
	s_wait_alu 0xfffe
	s_and_b32 vcc_lo, exec_lo, s0
	s_wait_alu 0xfffe
	s_cbranch_vccz .LBB1567_349
; %bb.186:                              ;   in Loop: Header=BB1567_20 Depth=1
	v_dual_mov_b32 v7, 0 :: v_dual_mov_b32 v10, 0
	v_dual_mov_b32 v9, 0 :: v_dual_mov_b32 v8, 0
	;; [unrolled: 1-line block ×3, first 2 shown]
	v_mov_b32_e32 v4, 0
	v_mov_b32_e32 v2, 0
	s_mov_b32 s9, s47
	s_mov_b32 s30, s33
	s_barrier_signal -1
	s_barrier_wait -1
	global_inv scope:SCOPE_SE
	s_branch .LBB1567_188
.LBB1567_187:                           ;   in Loop: Header=BB1567_188 Depth=2
	s_wait_alu 0xfffe
	s_or_b32 exec_lo, exec_lo, s0
	s_addk_co_i32 s9, 0xf800
	s_cmp_ge_u32 s10, s34
	s_mov_b32 s30, s10
	s_cbranch_scc1 .LBB1567_224
.LBB1567_188:                           ;   Parent Loop BB1567_20 Depth=1
                                        ; =>  This Inner Loop Header: Depth=2
	s_wait_alu 0xfffe
	s_add_co_i32 s10, s30, 0x800
	s_mov_b32 s0, -1
	s_wait_alu 0xfffe
	s_cmp_gt_u32 s10, s34
                                        ; implicit-def: $vgpr11
                                        ; implicit-def: $vgpr12
                                        ; implicit-def: $vgpr13
                                        ; implicit-def: $vgpr14
                                        ; implicit-def: $vgpr15
                                        ; implicit-def: $vgpr16
                                        ; implicit-def: $vgpr17
                                        ; implicit-def: $vgpr18
	s_cbranch_scc1 .LBB1567_190
; %bb.189:                              ;   in Loop: Header=BB1567_188 Depth=2
	v_add_co_u32 v19, vcc_lo, v48, s30
	s_wait_alu 0xfffd
	v_add_co_ci_u32_e64 v20, null, 0, v49, vcc_lo
	s_mov_b32 s0, 0
	s_clause 0x7
	global_load_u8 v18, v[19:20], off offset:1792
	global_load_u8 v17, v[19:20], off offset:1536
	;; [unrolled: 1-line block ×7, first 2 shown]
	global_load_u8 v11, v[19:20], off
.LBB1567_190:                           ;   in Loop: Header=BB1567_188 Depth=2
	s_wait_alu 0xfffe
	s_and_not1_b32 vcc_lo, exec_lo, s0
	s_movk_i32 s0, 0x800
	s_wait_alu 0xfffe
	s_cbranch_vccnz .LBB1567_201
; %bb.191:                              ;   in Loop: Header=BB1567_188 Depth=2
	s_add_nc_u64 s[0:1], s[38:39], s[30:31]
	s_mov_b32 s11, exec_lo
	v_cmpx_gt_u32_e64 s9, v1
	s_cbranch_execnz .LBB1567_217
; %bb.192:                              ;   in Loop: Header=BB1567_188 Depth=2
	s_wait_alu 0xfffe
	s_or_b32 exec_lo, exec_lo, s11
	s_delay_alu instid0(SALU_CYCLE_1)
	s_mov_b32 s11, exec_lo
	v_cmpx_gt_u32_e64 s9, v29
	s_cbranch_execnz .LBB1567_218
.LBB1567_193:                           ;   in Loop: Header=BB1567_188 Depth=2
	s_wait_alu 0xfffe
	s_or_b32 exec_lo, exec_lo, s11
	s_delay_alu instid0(SALU_CYCLE_1)
	s_mov_b32 s11, exec_lo
	v_cmpx_gt_u32_e64 s9, v30
	s_cbranch_execnz .LBB1567_219
.LBB1567_194:                           ;   in Loop: Header=BB1567_188 Depth=2
	s_wait_alu 0xfffe
	s_or_b32 exec_lo, exec_lo, s11
	s_delay_alu instid0(SALU_CYCLE_1)
	s_mov_b32 s11, exec_lo
	v_cmpx_gt_u32_e64 s9, v31
	s_cbranch_execnz .LBB1567_220
.LBB1567_195:                           ;   in Loop: Header=BB1567_188 Depth=2
	s_wait_alu 0xfffe
	s_or_b32 exec_lo, exec_lo, s11
	s_delay_alu instid0(SALU_CYCLE_1)
	s_mov_b32 s11, exec_lo
	v_cmpx_gt_u32_e64 s9, v34
	s_cbranch_execnz .LBB1567_221
.LBB1567_196:                           ;   in Loop: Header=BB1567_188 Depth=2
	s_wait_alu 0xfffe
	s_or_b32 exec_lo, exec_lo, s11
	s_delay_alu instid0(SALU_CYCLE_1)
	s_mov_b32 s11, exec_lo
	v_cmpx_gt_u32_e64 s9, v35
	s_cbranch_execnz .LBB1567_222
.LBB1567_197:                           ;   in Loop: Header=BB1567_188 Depth=2
	s_wait_alu 0xfffe
	s_or_b32 exec_lo, exec_lo, s11
	s_delay_alu instid0(SALU_CYCLE_1)
	s_mov_b32 s11, exec_lo
	v_cmpx_gt_u32_e64 s9, v36
	s_cbranch_execnz .LBB1567_223
.LBB1567_198:                           ;   in Loop: Header=BB1567_188 Depth=2
	s_wait_alu 0xfffe
	s_or_b32 exec_lo, exec_lo, s11
	s_delay_alu instid0(SALU_CYCLE_1)
	s_mov_b32 s11, exec_lo
	v_cmpx_gt_u32_e64 s9, v37
	s_cbranch_execz .LBB1567_200
.LBB1567_199:                           ;   in Loop: Header=BB1567_188 Depth=2
	s_wait_loadcnt 0x0
	v_add_co_u32 v11, s0, s0, v1
	s_wait_alu 0xf1ff
	v_add_co_ci_u32_e64 v12, null, s1, 0, s0
	global_load_u8 v2, v[11:12], off offset:1792
.LBB1567_200:                           ;   in Loop: Header=BB1567_188 Depth=2
	s_wait_alu 0xfffe
	s_or_b32 exec_lo, exec_lo, s11
	s_wait_loadcnt 0x0
	v_dual_mov_b32 v11, v7 :: v_dual_mov_b32 v12, v10
	v_dual_mov_b32 v13, v9 :: v_dual_mov_b32 v14, v8
	;; [unrolled: 1-line block ×4, first 2 shown]
	s_mov_b32 s0, s9
.LBB1567_201:                           ;   in Loop: Header=BB1567_188 Depth=2
	s_wait_loadcnt 0x5
	s_delay_alu instid0(VALU_DEP_1)
	v_dual_mov_b32 v2, v18 :: v_dual_mov_b32 v5, v16
	s_wait_loadcnt 0x2
	v_dual_mov_b32 v4, v17 :: v_dual_mov_b32 v9, v13
	s_wait_loadcnt 0x0
	v_dual_mov_b32 v6, v15 :: v_dual_mov_b32 v7, v11
	v_mov_b32_e32 v8, v14
	v_mov_b32_e32 v10, v12
	s_mov_b32 s1, exec_lo
	s_wait_alu 0xfffe
	v_cmpx_gt_u32_e64 s0, v1
	s_cbranch_execnz .LBB1567_209
; %bb.202:                              ;   in Loop: Header=BB1567_188 Depth=2
	s_or_b32 exec_lo, exec_lo, s1
	s_delay_alu instid0(SALU_CYCLE_1)
	s_mov_b32 s1, exec_lo
	v_cmpx_gt_u32_e64 s0, v29
	s_cbranch_execnz .LBB1567_210
.LBB1567_203:                           ;   in Loop: Header=BB1567_188 Depth=2
	s_wait_alu 0xfffe
	s_or_b32 exec_lo, exec_lo, s1
	s_delay_alu instid0(SALU_CYCLE_1)
	s_mov_b32 s1, exec_lo
	v_cmpx_gt_u32_e64 s0, v30
	s_cbranch_execnz .LBB1567_211
.LBB1567_204:                           ;   in Loop: Header=BB1567_188 Depth=2
	s_wait_alu 0xfffe
	s_or_b32 exec_lo, exec_lo, s1
	s_delay_alu instid0(SALU_CYCLE_1)
	s_mov_b32 s1, exec_lo
	v_cmpx_gt_u32_e64 s0, v31
	s_cbranch_execnz .LBB1567_212
.LBB1567_205:                           ;   in Loop: Header=BB1567_188 Depth=2
	s_wait_alu 0xfffe
	s_or_b32 exec_lo, exec_lo, s1
	s_delay_alu instid0(SALU_CYCLE_1)
	s_mov_b32 s1, exec_lo
	v_cmpx_gt_u32_e64 s0, v34
	s_cbranch_execnz .LBB1567_213
.LBB1567_206:                           ;   in Loop: Header=BB1567_188 Depth=2
	s_wait_alu 0xfffe
	s_or_b32 exec_lo, exec_lo, s1
	s_delay_alu instid0(SALU_CYCLE_1)
	s_mov_b32 s1, exec_lo
	v_cmpx_gt_u32_e64 s0, v35
	s_cbranch_execnz .LBB1567_214
.LBB1567_207:                           ;   in Loop: Header=BB1567_188 Depth=2
	s_wait_alu 0xfffe
	s_or_b32 exec_lo, exec_lo, s1
	s_delay_alu instid0(SALU_CYCLE_1)
	s_mov_b32 s1, exec_lo
	v_cmpx_gt_u32_e64 s0, v36
	s_cbranch_execnz .LBB1567_215
.LBB1567_208:                           ;   in Loop: Header=BB1567_188 Depth=2
	s_wait_alu 0xfffe
	s_or_b32 exec_lo, exec_lo, s1
	v_cmp_gt_u32_e32 vcc_lo, s0, v37
	s_and_saveexec_b32 s0, vcc_lo
	s_cbranch_execz .LBB1567_187
	s_branch .LBB1567_216
.LBB1567_209:                           ;   in Loop: Header=BB1567_188 Depth=2
	v_xor_b32_e32 v11, -1, v7
	s_delay_alu instid0(VALU_DEP_1) | instskip(NEXT) | instid1(VALU_DEP_1)
	v_and_b32_e32 v11, 1, v11
	v_and_b32_e32 v11, 0xffff, v11
	s_delay_alu instid0(VALU_DEP_1) | instskip(NEXT) | instid1(VALU_DEP_1)
	v_lshrrev_b32_e32 v11, s23, v11
	v_and_b32_e32 v11, s42, v11
	s_delay_alu instid0(VALU_DEP_1) | instskip(SKIP_2) | instid1(SALU_CYCLE_1)
	v_lshl_or_b32 v11, v11, 4, v39
	ds_add_u32 v11, v61
	s_or_b32 exec_lo, exec_lo, s1
	s_mov_b32 s1, exec_lo
	v_cmpx_gt_u32_e64 s0, v29
	s_cbranch_execz .LBB1567_203
.LBB1567_210:                           ;   in Loop: Header=BB1567_188 Depth=2
	v_xor_b32_e32 v11, -1, v10
	s_delay_alu instid0(VALU_DEP_1) | instskip(NEXT) | instid1(VALU_DEP_1)
	v_and_b32_e32 v11, 1, v11
	v_and_b32_e32 v11, 0xffff, v11
	s_delay_alu instid0(VALU_DEP_1) | instskip(NEXT) | instid1(VALU_DEP_1)
	v_lshrrev_b32_e32 v11, s23, v11
	v_and_b32_e32 v11, s42, v11
	s_delay_alu instid0(VALU_DEP_1) | instskip(SKIP_3) | instid1(SALU_CYCLE_1)
	v_lshl_or_b32 v11, v11, 4, v39
	ds_add_u32 v11, v61
	s_wait_alu 0xfffe
	s_or_b32 exec_lo, exec_lo, s1
	s_mov_b32 s1, exec_lo
	v_cmpx_gt_u32_e64 s0, v30
	s_cbranch_execz .LBB1567_204
.LBB1567_211:                           ;   in Loop: Header=BB1567_188 Depth=2
	v_xor_b32_e32 v11, -1, v9
	s_delay_alu instid0(VALU_DEP_1) | instskip(NEXT) | instid1(VALU_DEP_1)
	v_and_b32_e32 v11, 1, v11
	v_and_b32_e32 v11, 0xffff, v11
	s_delay_alu instid0(VALU_DEP_1) | instskip(NEXT) | instid1(VALU_DEP_1)
	v_lshrrev_b32_e32 v11, s23, v11
	v_and_b32_e32 v11, s42, v11
	s_delay_alu instid0(VALU_DEP_1) | instskip(SKIP_3) | instid1(SALU_CYCLE_1)
	v_lshl_or_b32 v11, v11, 4, v39
	ds_add_u32 v11, v61
	s_wait_alu 0xfffe
	s_or_b32 exec_lo, exec_lo, s1
	s_mov_b32 s1, exec_lo
	v_cmpx_gt_u32_e64 s0, v31
	s_cbranch_execz .LBB1567_205
.LBB1567_212:                           ;   in Loop: Header=BB1567_188 Depth=2
	v_xor_b32_e32 v11, -1, v8
	s_delay_alu instid0(VALU_DEP_1) | instskip(NEXT) | instid1(VALU_DEP_1)
	v_and_b32_e32 v11, 1, v11
	v_and_b32_e32 v11, 0xffff, v11
	s_delay_alu instid0(VALU_DEP_1) | instskip(NEXT) | instid1(VALU_DEP_1)
	v_lshrrev_b32_e32 v11, s23, v11
	v_and_b32_e32 v11, s42, v11
	s_delay_alu instid0(VALU_DEP_1) | instskip(SKIP_3) | instid1(SALU_CYCLE_1)
	v_lshl_or_b32 v11, v11, 4, v39
	ds_add_u32 v11, v61
	s_wait_alu 0xfffe
	s_or_b32 exec_lo, exec_lo, s1
	s_mov_b32 s1, exec_lo
	v_cmpx_gt_u32_e64 s0, v34
	s_cbranch_execz .LBB1567_206
.LBB1567_213:                           ;   in Loop: Header=BB1567_188 Depth=2
	v_xor_b32_e32 v11, -1, v6
	s_delay_alu instid0(VALU_DEP_1) | instskip(NEXT) | instid1(VALU_DEP_1)
	v_and_b32_e32 v11, 1, v11
	v_and_b32_e32 v11, 0xffff, v11
	s_delay_alu instid0(VALU_DEP_1) | instskip(NEXT) | instid1(VALU_DEP_1)
	v_lshrrev_b32_e32 v11, s23, v11
	v_and_b32_e32 v11, s42, v11
	s_delay_alu instid0(VALU_DEP_1) | instskip(SKIP_3) | instid1(SALU_CYCLE_1)
	v_lshl_or_b32 v11, v11, 4, v39
	ds_add_u32 v11, v61
	s_wait_alu 0xfffe
	s_or_b32 exec_lo, exec_lo, s1
	s_mov_b32 s1, exec_lo
	v_cmpx_gt_u32_e64 s0, v35
	s_cbranch_execz .LBB1567_207
.LBB1567_214:                           ;   in Loop: Header=BB1567_188 Depth=2
	v_xor_b32_e32 v11, -1, v5
	s_delay_alu instid0(VALU_DEP_1) | instskip(NEXT) | instid1(VALU_DEP_1)
	v_and_b32_e32 v11, 1, v11
	v_and_b32_e32 v11, 0xffff, v11
	s_delay_alu instid0(VALU_DEP_1) | instskip(NEXT) | instid1(VALU_DEP_1)
	v_lshrrev_b32_e32 v11, s23, v11
	v_and_b32_e32 v11, s42, v11
	s_delay_alu instid0(VALU_DEP_1) | instskip(SKIP_3) | instid1(SALU_CYCLE_1)
	v_lshl_or_b32 v11, v11, 4, v39
	ds_add_u32 v11, v61
	s_wait_alu 0xfffe
	s_or_b32 exec_lo, exec_lo, s1
	s_mov_b32 s1, exec_lo
	v_cmpx_gt_u32_e64 s0, v36
	s_cbranch_execz .LBB1567_208
.LBB1567_215:                           ;   in Loop: Header=BB1567_188 Depth=2
	v_xor_b32_e32 v11, -1, v4
	s_delay_alu instid0(VALU_DEP_1) | instskip(NEXT) | instid1(VALU_DEP_1)
	v_and_b32_e32 v11, 1, v11
	v_and_b32_e32 v11, 0xffff, v11
	s_delay_alu instid0(VALU_DEP_1) | instskip(NEXT) | instid1(VALU_DEP_1)
	v_lshrrev_b32_e32 v11, s23, v11
	v_and_b32_e32 v11, s42, v11
	s_delay_alu instid0(VALU_DEP_1)
	v_lshl_or_b32 v11, v11, 4, v39
	ds_add_u32 v11, v61
	s_wait_alu 0xfffe
	s_or_b32 exec_lo, exec_lo, s1
	v_cmp_gt_u32_e32 vcc_lo, s0, v37
	s_and_saveexec_b32 s0, vcc_lo
	s_cbranch_execz .LBB1567_187
.LBB1567_216:                           ;   in Loop: Header=BB1567_188 Depth=2
	v_xor_b32_e32 v11, -1, v2
	s_delay_alu instid0(VALU_DEP_1) | instskip(NEXT) | instid1(VALU_DEP_1)
	v_and_b32_e32 v11, 1, v11
	v_and_b32_e32 v11, 0xffff, v11
	s_delay_alu instid0(VALU_DEP_1) | instskip(NEXT) | instid1(VALU_DEP_1)
	v_lshrrev_b32_e32 v11, s23, v11
	v_and_b32_e32 v11, s42, v11
	s_delay_alu instid0(VALU_DEP_1)
	v_lshl_or_b32 v11, v11, 4, v39
	ds_add_u32 v11, v61
	s_branch .LBB1567_187
.LBB1567_217:                           ;   in Loop: Header=BB1567_188 Depth=2
	s_wait_loadcnt 0x0
	s_wait_alu 0xfffe
	v_add_co_u32 v11, s12, s0, v1
	s_wait_alu 0xf1ff
	v_add_co_ci_u32_e64 v12, null, s1, 0, s12
	global_load_u8 v7, v[11:12], off
	s_or_b32 exec_lo, exec_lo, s11
	s_delay_alu instid0(SALU_CYCLE_1)
	s_mov_b32 s11, exec_lo
	v_cmpx_gt_u32_e64 s9, v29
	s_cbranch_execz .LBB1567_193
.LBB1567_218:                           ;   in Loop: Header=BB1567_188 Depth=2
	v_add_co_u32 v10, s12, s0, v1
	s_wait_loadcnt 0x0
	s_wait_alu 0xf1ff
	v_add_co_ci_u32_e64 v11, null, s1, 0, s12
	global_load_u8 v10, v[10:11], off offset:256
	s_wait_alu 0xfffe
	s_or_b32 exec_lo, exec_lo, s11
	s_delay_alu instid0(SALU_CYCLE_1)
	s_mov_b32 s11, exec_lo
	v_cmpx_gt_u32_e64 s9, v30
	s_cbranch_execz .LBB1567_194
.LBB1567_219:                           ;   in Loop: Header=BB1567_188 Depth=2
	s_wait_loadcnt 0x0
	v_add_co_u32 v11, s12, s0, v1
	s_wait_alu 0xf1ff
	v_add_co_ci_u32_e64 v12, null, s1, 0, s12
	global_load_u8 v9, v[11:12], off offset:512
	s_wait_alu 0xfffe
	s_or_b32 exec_lo, exec_lo, s11
	s_delay_alu instid0(SALU_CYCLE_1)
	s_mov_b32 s11, exec_lo
	v_cmpx_gt_u32_e64 s9, v31
	s_cbranch_execz .LBB1567_195
.LBB1567_220:                           ;   in Loop: Header=BB1567_188 Depth=2
	s_wait_loadcnt 0x0
	v_add_co_u32 v11, s12, s0, v1
	s_wait_alu 0xf1ff
	v_add_co_ci_u32_e64 v12, null, s1, 0, s12
	global_load_u8 v8, v[11:12], off offset:768
	s_wait_alu 0xfffe
	s_or_b32 exec_lo, exec_lo, s11
	s_delay_alu instid0(SALU_CYCLE_1)
	s_mov_b32 s11, exec_lo
	v_cmpx_gt_u32_e64 s9, v34
	s_cbranch_execz .LBB1567_196
.LBB1567_221:                           ;   in Loop: Header=BB1567_188 Depth=2
	s_wait_loadcnt 0x0
	v_add_co_u32 v11, s12, s0, v1
	s_wait_alu 0xf1ff
	v_add_co_ci_u32_e64 v12, null, s1, 0, s12
	global_load_u8 v6, v[11:12], off offset:1024
	s_wait_alu 0xfffe
	s_or_b32 exec_lo, exec_lo, s11
	s_delay_alu instid0(SALU_CYCLE_1)
	s_mov_b32 s11, exec_lo
	v_cmpx_gt_u32_e64 s9, v35
	s_cbranch_execz .LBB1567_197
.LBB1567_222:                           ;   in Loop: Header=BB1567_188 Depth=2
	s_wait_loadcnt 0x0
	v_add_co_u32 v11, s12, s0, v1
	s_wait_alu 0xf1ff
	v_add_co_ci_u32_e64 v12, null, s1, 0, s12
	global_load_u8 v5, v[11:12], off offset:1280
	s_wait_alu 0xfffe
	s_or_b32 exec_lo, exec_lo, s11
	s_delay_alu instid0(SALU_CYCLE_1)
	s_mov_b32 s11, exec_lo
	v_cmpx_gt_u32_e64 s9, v36
	s_cbranch_execz .LBB1567_198
.LBB1567_223:                           ;   in Loop: Header=BB1567_188 Depth=2
	s_wait_loadcnt 0x0
	v_add_co_u32 v11, s12, s0, v1
	s_wait_alu 0xf1ff
	v_add_co_ci_u32_e64 v12, null, s1, 0, s12
	global_load_u8 v4, v[11:12], off offset:1536
	s_wait_alu 0xfffe
	s_or_b32 exec_lo, exec_lo, s11
	s_delay_alu instid0(SALU_CYCLE_1)
	s_mov_b32 s11, exec_lo
	v_cmpx_gt_u32_e64 s9, v37
	s_cbranch_execnz .LBB1567_199
	s_branch .LBB1567_200
.LBB1567_224:                           ;   in Loop: Header=BB1567_20 Depth=1
	v_mov_b32_e32 v2, 0
	s_wait_dscnt 0x0
	s_barrier_signal -1
	s_barrier_wait -1
	global_inv scope:SCOPE_SE
	s_and_saveexec_b32 s0, s2
	s_cbranch_execz .LBB1567_226
; %bb.225:                              ;   in Loop: Header=BB1567_20 Depth=1
	ds_load_2addr_b64 v[4:7], v40 offset1:1
	s_wait_dscnt 0x0
	v_add_nc_u32_e32 v2, v5, v4
	s_delay_alu instid0(VALU_DEP_1)
	v_add3_u32 v2, v2, v6, v7
.LBB1567_226:                           ;   in Loop: Header=BB1567_20 Depth=1
	s_wait_alu 0xfffe
	s_or_b32 exec_lo, exec_lo, s0
	s_delay_alu instid0(VALU_DEP_1)
	v_mov_b32_dpp v4, v2 row_shr:1 row_mask:0xf bank_mask:0xf
	v_cmp_eq_u32_e64 s0, 0, v62
	v_cmp_lt_u32_e64 s1, 1, v62
	v_cmp_lt_u32_e64 s9, 3, v62
	;; [unrolled: 1-line block ×3, first 2 shown]
	v_cmp_eq_u32_e64 s11, 0, v64
	s_wait_alu 0xf1ff
	v_cndmask_b32_e64 v4, v4, 0, s0
	s_delay_alu instid0(VALU_DEP_1) | instskip(NEXT) | instid1(VALU_DEP_1)
	v_add_nc_u32_e32 v2, v4, v2
	v_mov_b32_dpp v4, v2 row_shr:2 row_mask:0xf bank_mask:0xf
	s_delay_alu instid0(VALU_DEP_1) | instskip(NEXT) | instid1(VALU_DEP_1)
	v_cndmask_b32_e64 v4, 0, v4, s1
	v_add_nc_u32_e32 v2, v2, v4
	s_delay_alu instid0(VALU_DEP_1) | instskip(NEXT) | instid1(VALU_DEP_1)
	v_mov_b32_dpp v4, v2 row_shr:4 row_mask:0xf bank_mask:0xf
	v_cndmask_b32_e64 v4, 0, v4, s9
	s_delay_alu instid0(VALU_DEP_1) | instskip(NEXT) | instid1(VALU_DEP_1)
	v_add_nc_u32_e32 v2, v2, v4
	v_mov_b32_dpp v4, v2 row_shr:8 row_mask:0xf bank_mask:0xf
	s_delay_alu instid0(VALU_DEP_1) | instskip(NEXT) | instid1(VALU_DEP_1)
	v_cndmask_b32_e64 v4, 0, v4, s10
	v_add_nc_u32_e32 v2, v2, v4
	ds_swizzle_b32 v4, v2 offset:swizzle(BROADCAST,32,15)
	s_wait_dscnt 0x0
	v_and_b32_e32 v4, v63, v4
	s_delay_alu instid0(VALU_DEP_1)
	v_add_nc_u32_e32 v2, v2, v4
	s_and_saveexec_b32 s12, s3
; %bb.227:                              ;   in Loop: Header=BB1567_20 Depth=1
	ds_store_b32 v41, v2
; %bb.228:                              ;   in Loop: Header=BB1567_20 Depth=1
	s_wait_alu 0xfffe
	s_or_b32 exec_lo, exec_lo, s12
	s_wait_loadcnt_dscnt 0x0
	s_barrier_signal -1
	s_barrier_wait -1
	global_inv scope:SCOPE_SE
	s_and_saveexec_b32 s12, s4
	s_cbranch_execz .LBB1567_230
; %bb.229:                              ;   in Loop: Header=BB1567_20 Depth=1
	ds_load_b32 v4, v42
	v_cmp_ne_u32_e32 vcc_lo, 0, v65
	s_wait_dscnt 0x0
	v_mov_b32_dpp v5, v4 row_shr:1 row_mask:0xf bank_mask:0xf
	s_wait_alu 0xfffd
	s_delay_alu instid0(VALU_DEP_1) | instskip(SKIP_1) | instid1(VALU_DEP_2)
	v_cndmask_b32_e32 v5, 0, v5, vcc_lo
	v_cmp_lt_u32_e32 vcc_lo, 1, v65
	v_add_nc_u32_e32 v4, v5, v4
	s_delay_alu instid0(VALU_DEP_1) | instskip(SKIP_1) | instid1(VALU_DEP_1)
	v_mov_b32_dpp v5, v4 row_shr:2 row_mask:0xf bank_mask:0xf
	s_wait_alu 0xfffd
	v_cndmask_b32_e32 v5, 0, v5, vcc_lo
	v_cmp_lt_u32_e32 vcc_lo, 3, v65
	s_delay_alu instid0(VALU_DEP_2) | instskip(NEXT) | instid1(VALU_DEP_1)
	v_add_nc_u32_e32 v4, v4, v5
	v_mov_b32_dpp v5, v4 row_shr:4 row_mask:0xf bank_mask:0xf
	s_wait_alu 0xfffd
	s_delay_alu instid0(VALU_DEP_1) | instskip(NEXT) | instid1(VALU_DEP_1)
	v_cndmask_b32_e32 v5, 0, v5, vcc_lo
	v_add_nc_u32_e32 v4, v4, v5
	ds_store_b32 v42, v4
.LBB1567_230:                           ;   in Loop: Header=BB1567_20 Depth=1
	s_wait_alu 0xfffe
	s_or_b32 exec_lo, exec_lo, s12
	v_mov_b32_e32 v4, 0
	s_wait_loadcnt_dscnt 0x0
	s_barrier_signal -1
	s_barrier_wait -1
	global_inv scope:SCOPE_SE
	s_and_saveexec_b32 s12, s5
; %bb.231:                              ;   in Loop: Header=BB1567_20 Depth=1
	ds_load_b32 v4, v43
; %bb.232:                              ;   in Loop: Header=BB1567_20 Depth=1
	s_wait_alu 0xfffe
	s_or_b32 exec_lo, exec_lo, s12
	v_cmp_gt_i32_e32 vcc_lo, 0, v67
	s_wait_dscnt 0x0
	v_add_nc_u32_e32 v2, v4, v2
	s_wait_loadcnt 0x0
	s_barrier_signal -1
	s_barrier_wait -1
	s_wait_alu 0xfffd
	v_cndmask_b32_e32 v5, v67, v58, vcc_lo
	global_inv scope:SCOPE_SE
	v_lshlrev_b32_e32 v80, 2, v5
	ds_bpermute_b32 v2, v80, v2
	s_and_saveexec_b32 s12, s2
	s_cbranch_execz .LBB1567_234
; %bb.233:                              ;   in Loop: Header=BB1567_20 Depth=1
	s_wait_dscnt 0x0
	v_cndmask_b32_e64 v2, v2, v4, s8
	s_delay_alu instid0(VALU_DEP_1)
	v_add_nc_u32_e32 v2, s33, v2
	ds_store_b32 v28, v2
.LBB1567_234:                           ;   in Loop: Header=BB1567_20 Depth=1
	s_wait_alu 0xfffe
	s_or_b32 exec_lo, exec_lo, s12
	s_load_b64 s[12:13], s[28:29], 0x0
	v_add_co_u32 v81, vcc_lo, v50, v66
	s_wait_alu 0xfffd
	v_add_co_ci_u32_e64 v82, null, 0, v51, vcc_lo
	v_add_co_u32 v83, vcc_lo, v52, v58
	s_wait_alu 0xfffd
	v_add_co_ci_u32_e64 v84, null, 0, v53, vcc_lo
	s_mov_b32 s43, s47
                                        ; implicit-def: $vgpr6_vgpr7
                                        ; implicit-def: $vgpr8_vgpr9
                                        ; implicit-def: $vgpr10_vgpr11
                                        ; implicit-def: $vgpr12_vgpr13
                                        ; implicit-def: $vgpr14_vgpr15
                                        ; implicit-def: $vgpr16_vgpr17
                                        ; implicit-def: $vgpr18_vgpr19
                                        ; implicit-def: $vgpr86
                                        ; implicit-def: $vgpr87
                                        ; implicit-def: $vgpr88
                                        ; implicit-def: $vgpr89
                                        ; implicit-def: $vgpr90
                                        ; implicit-def: $vgpr91
                                        ; implicit-def: $vgpr92
                                        ; implicit-def: $vgpr93
	s_wait_kmcnt 0x0
	s_cmp_lt_u32 ttmp7, s13
	s_cselect_b32 s30, 14, 20
	s_cmp_lt_u32 ttmp9, s12
	s_wait_alu 0xfffe
	s_add_nc_u64 s[14:15], s[28:29], s[30:31]
	s_cselect_b32 s30, 12, 18
	s_load_u16 s14, s[14:15], 0x0
	s_add_nc_u64 s[12:13], s[28:29], s[30:31]
	s_mov_b32 s30, s33
	s_load_u16 s12, s[12:13], 0x0
	v_cmp_lt_u32_e64 s13, 1, v65
	s_wait_dscnt 0x0
	s_wait_kmcnt 0x0
	v_mad_u32_u24 v2, v44, s14, v0
	v_cmp_lt_u32_e64 s14, 3, v65
	s_delay_alu instid0(VALU_DEP_2) | instskip(SKIP_1) | instid1(VALU_DEP_2)
	v_mad_co_u64_u32 v[4:5], null, v2, s12, v[1:2]
	v_cmp_eq_u32_e64 s12, 0, v65
	v_lshrrev_b32_e32 v2, 3, v4
                                        ; implicit-def: $vgpr4_vgpr5
	s_delay_alu instid0(VALU_DEP_1)
	v_and_b32_e32 v85, 0x1ffffffc, v2
	s_branch .LBB1567_236
.LBB1567_235:                           ;   in Loop: Header=BB1567_236 Depth=2
	s_wait_alu 0xfffe
	s_or_b32 exec_lo, exec_lo, s15
	s_addk_co_i32 s43, 0xf800
	s_cmp_lt_u32 s44, s34
	s_mov_b32 s30, s44
	s_cbranch_scc0 .LBB1567_348
.LBB1567_236:                           ;   Parent Loop BB1567_20 Depth=1
                                        ; =>  This Inner Loop Header: Depth=2
	s_wait_alu 0xfffe
	s_add_co_i32 s44, s30, 0x800
	s_wait_alu 0xfffe
	s_cmp_gt_u32 s44, s34
	s_cbranch_scc1 .LBB1567_238
; %bb.237:                              ;   in Loop: Header=BB1567_236 Depth=2
	v_add_co_u32 v20, vcc_lo, v83, s30
	s_wait_alu 0xfffd
	v_add_co_ci_u32_e64 v21, null, 0, v84, vcc_lo
	s_mov_b32 s15, -1
	s_clause 0x6
	global_load_u8 v25, v[20:21], off offset:192
	global_load_u8 v24, v[20:21], off offset:160
	;; [unrolled: 1-line block ×6, first 2 shown]
	global_load_u8 v27, v[20:21], off
	s_movk_i32 s16, 0x800
                                        ; implicit-def: $vgpr96
	s_cbranch_execz .LBB1567_239
	s_branch .LBB1567_249
.LBB1567_238:                           ;   in Loop: Header=BB1567_236 Depth=2
	s_mov_b32 s15, 0
                                        ; implicit-def: $vgpr27
                                        ; implicit-def: $vgpr95
                                        ; implicit-def: $vgpr22
                                        ; implicit-def: $vgpr26
                                        ; implicit-def: $vgpr23
                                        ; implicit-def: $vgpr24
                                        ; implicit-def: $vgpr25
	s_movk_i32 s16, 0x800
                                        ; implicit-def: $vgpr96
.LBB1567_239:                           ;   in Loop: Header=BB1567_236 Depth=2
	v_add_co_u32 v20, vcc_lo, v83, s30
	s_wait_alu 0xfffd
	v_add_co_ci_u32_e64 v21, null, 0, v84, vcc_lo
	s_wait_loadcnt 0x0
	v_dual_mov_b32 v22, 0 :: v_dual_mov_b32 v27, 0
	v_dual_mov_b32 v26, 0 :: v_dual_mov_b32 v23, 0
	;; [unrolled: 1-line block ×3, first 2 shown]
	v_mov_b32_e32 v96, 0
	s_mov_b32 s15, exec_lo
	v_cmpx_gt_u32_e64 s43, v68
	s_cbranch_execz .LBB1567_241
; %bb.240:                              ;   in Loop: Header=BB1567_236 Depth=2
	global_load_u8 v27, v[20:21], off
	v_dual_mov_b32 v26, 0 :: v_dual_mov_b32 v23, 0
	v_dual_mov_b32 v24, 0 :: v_dual_mov_b32 v25, 0
	v_mov_b32_e32 v96, 0
.LBB1567_241:                           ;   in Loop: Header=BB1567_236 Depth=2
	s_wait_alu 0xfffe
	s_or_b32 exec_lo, exec_lo, s15
	v_mov_b32_e32 v95, v22
	s_mov_b32 s15, exec_lo
	v_cmpx_gt_u32_e64 s43, v71
	s_cbranch_execnz .LBB1567_343
; %bb.242:                              ;   in Loop: Header=BB1567_236 Depth=2
	s_wait_alu 0xfffe
	s_or_b32 exec_lo, exec_lo, s15
	s_delay_alu instid0(SALU_CYCLE_1)
	s_mov_b32 s15, exec_lo
	v_cmpx_gt_u32_e64 s43, v72
	s_cbranch_execnz .LBB1567_344
.LBB1567_243:                           ;   in Loop: Header=BB1567_236 Depth=2
	s_wait_alu 0xfffe
	s_or_b32 exec_lo, exec_lo, s15
	s_delay_alu instid0(SALU_CYCLE_1)
	s_mov_b32 s15, exec_lo
	v_cmpx_gt_u32_e64 s43, v73
	s_cbranch_execnz .LBB1567_345
.LBB1567_244:                           ;   in Loop: Header=BB1567_236 Depth=2
	s_wait_alu 0xfffe
	s_or_b32 exec_lo, exec_lo, s15
	s_delay_alu instid0(SALU_CYCLE_1)
	s_mov_b32 s15, exec_lo
	v_cmpx_gt_u32_e64 s43, v74
	s_cbranch_execnz .LBB1567_346
.LBB1567_245:                           ;   in Loop: Header=BB1567_236 Depth=2
	s_wait_alu 0xfffe
	s_or_b32 exec_lo, exec_lo, s15
	s_delay_alu instid0(SALU_CYCLE_1)
	s_mov_b32 s15, exec_lo
	v_cmpx_gt_u32_e64 s43, v75
	s_cbranch_execnz .LBB1567_347
.LBB1567_246:                           ;   in Loop: Header=BB1567_236 Depth=2
	s_wait_alu 0xfffe
	s_or_b32 exec_lo, exec_lo, s15
	s_delay_alu instid0(SALU_CYCLE_1)
	s_mov_b32 s15, exec_lo
	v_cmpx_gt_u32_e64 s43, v76
	s_cbranch_execz .LBB1567_248
.LBB1567_247:                           ;   in Loop: Header=BB1567_236 Depth=2
	global_load_u8 v25, v[20:21], off offset:192
.LBB1567_248:                           ;   in Loop: Header=BB1567_236 Depth=2
	s_wait_alu 0xfffe
	s_or_b32 exec_lo, exec_lo, s15
	v_cmp_gt_u32_e64 s15, s43, v77
	s_sub_co_i32 s16, s34, s30
.LBB1567_249:                           ;   in Loop: Header=BB1567_236 Depth=2
	v_mov_b32_e32 v2, s43
	s_wait_alu 0xfffe
	s_and_saveexec_b32 s17, s15
	s_cbranch_execz .LBB1567_251
; %bb.250:                              ;   in Loop: Header=BB1567_236 Depth=2
	v_add_co_u32 v20, vcc_lo, v83, s30
	s_wait_alu 0xfffd
	v_add_co_ci_u32_e64 v21, null, s31, v84, vcc_lo
	v_mov_b32_e32 v2, s16
	global_load_u8 v96, v[20:21], off offset:224
.LBB1567_251:                           ;   in Loop: Header=BB1567_236 Depth=2
	s_wait_alu 0xfffe
	s_or_b32 exec_lo, exec_lo, s17
	s_wait_loadcnt 0x0
	v_and_b32_e32 v20, 1, v27
	v_and_b32_e32 v22, 1, v22
	;; [unrolled: 1-line block ×5, first 2 shown]
	v_cmp_eq_u32_e32 vcc_lo, 1, v20
	v_and_b32_e32 v25, 1, v25
	v_and_b32_e32 v96, 1, v96
	v_add_nc_u32_e32 v97, 0x420, v45
	v_add_nc_u32_e32 v98, 0x428, v45
	s_xor_b32 s15, vcc_lo, -1
	v_add_nc_u32_e32 v99, 0x430, v45
	s_wait_alu 0xfffe
	v_cndmask_b32_e64 v94, 0, 1, s15
	v_add_nc_u32_e32 v100, 0x438, v45
	v_cmp_eq_u32_e64 s19, 1, v22
	v_cmp_eq_u32_e64 s18, 1, v26
	v_cmp_eq_u32_e64 s17, 1, v23
	v_lshrrev_b32_e32 v20, s23, v94
	v_cmp_eq_u32_e64 s16, 1, v24
	ds_store_2addr_b32 v100, v3, v3 offset1:1
	ds_store_2addr_b32 v97, v3, v3 offset1:1
	;; [unrolled: 1-line block ×4, first 2 shown]
	ds_store_b32 v45, v3 offset:1088
	s_wait_dscnt 0x0
	v_and_b32_e32 v21, s42, v20
	v_and_b32_e32 v20, 1, v95
	s_barrier_signal -1
	s_barrier_wait -1
	global_inv scope:SCOPE_SE
	v_add_co_u32 v27, s15, v21, -1
	s_wait_alu 0xf1ff
	v_cndmask_b32_e64 v95, 0, 1, s15
	v_cmp_eq_u32_e64 s20, 1, v20
	v_mul_u32_u24_e32 v21, 36, v21
	v_cmp_eq_u32_e64 s15, 1, v25
	s_delay_alu instid0(VALU_DEP_4) | instskip(NEXT) | instid1(VALU_DEP_3)
	v_cmp_ne_u32_e32 vcc_lo, 0, v95
	; wave barrier
	v_add_nc_u32_e32 v102, v85, v21
	s_wait_alu 0xfffd
	v_xor_b32_e32 v27, vcc_lo, v27
	v_cmp_eq_u32_e32 vcc_lo, 1, v96
	s_delay_alu instid0(VALU_DEP_2) | instskip(NEXT) | instid1(VALU_DEP_1)
	v_and_b32_e32 v20, exec_lo, v27
	v_mbcnt_lo_u32_b32 v95, v20, 0
	v_cmp_ne_u32_e64 s22, 0, v20
	s_delay_alu instid0(VALU_DEP_2)
	v_cmp_eq_u32_e64 s21, 0, v95
	s_and_b32 s22, s22, s21
	s_wait_alu 0xfffe
	s_and_saveexec_b32 s21, s22
; %bb.252:                              ;   in Loop: Header=BB1567_236 Depth=2
	v_bcnt_u32_b32 v20, v20, 0
	ds_store_b32 v102, v20 offset:1056
; %bb.253:                              ;   in Loop: Header=BB1567_236 Depth=2
	s_wait_alu 0xfffe
	s_or_b32 exec_lo, exec_lo, s21
	s_xor_b32 s20, s20, -1
	s_wait_alu 0xfffe
	v_cndmask_b32_e64 v96, 0, 1, s20
	; wave barrier
	s_delay_alu instid0(VALU_DEP_1) | instskip(NEXT) | instid1(VALU_DEP_1)
	v_lshrrev_b32_e32 v20, s23, v96
	v_and_b32_e32 v21, s42, v20
	s_delay_alu instid0(VALU_DEP_1) | instskip(SKIP_2) | instid1(VALU_DEP_1)
	v_add_co_u32 v20, s20, v21, -1
	s_wait_alu 0xf1ff
	v_cndmask_b32_e64 v22, 0, 1, s20
	v_cmp_ne_u32_e64 s20, 0, v22
	v_mad_u32_u24 v22, v21, 36, v85
	v_mul_u32_u24_e32 v21, 36, v21
	s_wait_alu 0xf1ff
	s_delay_alu instid0(VALU_DEP_3) | instskip(SKIP_3) | instid1(VALU_DEP_1)
	v_xor_b32_e32 v20, s20, v20
	ds_load_b32 v101, v22 offset:1056
	v_add_nc_u32_e32 v106, v85, v21
	; wave barrier
	v_and_b32_e32 v20, exec_lo, v20
	v_mbcnt_lo_u32_b32 v103, v20, 0
	v_cmp_ne_u32_e64 s21, 0, v20
	s_delay_alu instid0(VALU_DEP_2)
	v_cmp_eq_u32_e64 s20, 0, v103
	s_and_b32 s21, s21, s20
	s_wait_alu 0xfffe
	s_and_saveexec_b32 s20, s21
	s_cbranch_execz .LBB1567_255
; %bb.254:                              ;   in Loop: Header=BB1567_236 Depth=2
	s_wait_dscnt 0x0
	v_bcnt_u32_b32 v20, v20, v101
	ds_store_b32 v106, v20 offset:1056
.LBB1567_255:                           ;   in Loop: Header=BB1567_236 Depth=2
	s_wait_alu 0xfffe
	s_or_b32 exec_lo, exec_lo, s20
	s_xor_b32 s19, s19, -1
	s_wait_alu 0xfffe
	v_cndmask_b32_e64 v104, 0, 1, s19
	; wave barrier
	s_delay_alu instid0(VALU_DEP_1) | instskip(NEXT) | instid1(VALU_DEP_1)
	v_lshrrev_b32_e32 v20, s23, v104
	v_and_b32_e32 v21, s42, v20
	s_delay_alu instid0(VALU_DEP_1) | instskip(SKIP_2) | instid1(VALU_DEP_1)
	v_add_co_u32 v20, s19, v21, -1
	s_wait_alu 0xf1ff
	v_cndmask_b32_e64 v22, 0, 1, s19
	v_cmp_ne_u32_e64 s19, 0, v22
	v_mad_u32_u24 v22, v21, 36, v85
	v_mul_u32_u24_e32 v21, 36, v21
	s_wait_alu 0xf1ff
	s_delay_alu instid0(VALU_DEP_3) | instskip(SKIP_3) | instid1(VALU_DEP_1)
	v_xor_b32_e32 v20, s19, v20
	ds_load_b32 v105, v22 offset:1056
	v_add_nc_u32_e32 v110, v85, v21
	; wave barrier
	v_and_b32_e32 v20, exec_lo, v20
	v_mbcnt_lo_u32_b32 v107, v20, 0
	v_cmp_ne_u32_e64 s20, 0, v20
	s_delay_alu instid0(VALU_DEP_2)
	v_cmp_eq_u32_e64 s19, 0, v107
	s_and_b32 s20, s20, s19
	s_wait_alu 0xfffe
	s_and_saveexec_b32 s19, s20
	s_cbranch_execz .LBB1567_257
; %bb.256:                              ;   in Loop: Header=BB1567_236 Depth=2
	s_wait_dscnt 0x0
	v_bcnt_u32_b32 v20, v20, v105
	ds_store_b32 v110, v20 offset:1056
.LBB1567_257:                           ;   in Loop: Header=BB1567_236 Depth=2
	;; [unrolled: 36-line block ×6, first 2 shown]
	s_wait_alu 0xfffe
	s_or_b32 exec_lo, exec_lo, s15
	s_xor_b32 s15, vcc_lo, -1
	s_wait_alu 0xfffe
	v_cndmask_b32_e64 v124, 0, 1, s15
	; wave barrier
	s_delay_alu instid0(VALU_DEP_1) | instskip(NEXT) | instid1(VALU_DEP_1)
	v_lshrrev_b32_e32 v20, s23, v124
	v_and_b32_e32 v21, s42, v20
	s_delay_alu instid0(VALU_DEP_1) | instskip(SKIP_2) | instid1(VALU_DEP_1)
	v_add_co_u32 v20, s15, v21, -1
	s_wait_alu 0xf1ff
	v_cndmask_b32_e64 v22, 0, 1, s15
	v_cmp_ne_u32_e32 vcc_lo, 0, v22
	v_mad_u32_u24 v22, v21, 36, v85
	v_mul_u32_u24_e32 v21, 36, v21
	s_wait_alu 0xfffd
	v_xor_b32_e32 v20, vcc_lo, v20
	ds_load_b32 v125, v22 offset:1056
	v_add_nc_u32_e32 v128, v85, v21
	; wave barrier
	v_and_b32_e32 v20, exec_lo, v20
	s_delay_alu instid0(VALU_DEP_1) | instskip(SKIP_1) | instid1(VALU_DEP_2)
	v_mbcnt_lo_u32_b32 v127, v20, 0
	v_cmp_ne_u32_e64 s15, 0, v20
	v_cmp_eq_u32_e32 vcc_lo, 0, v127
	s_and_b32 s16, s15, vcc_lo
	s_wait_alu 0xfffe
	s_and_saveexec_b32 s15, s16
	s_cbranch_execz .LBB1567_267
; %bb.266:                              ;   in Loop: Header=BB1567_236 Depth=2
	s_wait_dscnt 0x0
	v_bcnt_u32_b32 v20, v20, v125
	ds_store_b32 v128, v20 offset:1056
.LBB1567_267:                           ;   in Loop: Header=BB1567_236 Depth=2
	s_wait_alu 0xfffe
	s_or_b32 exec_lo, exec_lo, s15
	; wave barrier
	s_wait_loadcnt_dscnt 0x0
	s_barrier_signal -1
	s_barrier_wait -1
	global_inv scope:SCOPE_SE
	ds_load_2addr_b32 v[26:27], v97 offset1:1
	ds_load_2addr_b32 v[24:25], v98 offset1:1
	;; [unrolled: 1-line block ×4, first 2 shown]
	ds_load_b32 v129, v45 offset:1088
	s_wait_dscnt 0x3
	v_add3_u32 v130, v27, v26, v24
	s_wait_dscnt 0x2
	s_delay_alu instid0(VALU_DEP_1) | instskip(SKIP_1) | instid1(VALU_DEP_1)
	v_add3_u32 v130, v130, v25, v22
	s_wait_dscnt 0x1
	v_add3_u32 v130, v130, v23, v20
	s_wait_dscnt 0x0
	s_delay_alu instid0(VALU_DEP_1) | instskip(NEXT) | instid1(VALU_DEP_1)
	v_add3_u32 v129, v130, v21, v129
	v_mov_b32_dpp v130, v129 row_shr:1 row_mask:0xf bank_mask:0xf
	s_delay_alu instid0(VALU_DEP_1) | instskip(NEXT) | instid1(VALU_DEP_1)
	v_cndmask_b32_e64 v130, v130, 0, s0
	v_add_nc_u32_e32 v129, v130, v129
	s_delay_alu instid0(VALU_DEP_1) | instskip(NEXT) | instid1(VALU_DEP_1)
	v_mov_b32_dpp v130, v129 row_shr:2 row_mask:0xf bank_mask:0xf
	v_cndmask_b32_e64 v130, 0, v130, s1
	s_delay_alu instid0(VALU_DEP_1) | instskip(NEXT) | instid1(VALU_DEP_1)
	v_add_nc_u32_e32 v129, v129, v130
	v_mov_b32_dpp v130, v129 row_shr:4 row_mask:0xf bank_mask:0xf
	s_delay_alu instid0(VALU_DEP_1) | instskip(NEXT) | instid1(VALU_DEP_1)
	v_cndmask_b32_e64 v130, 0, v130, s9
	v_add_nc_u32_e32 v129, v129, v130
	s_delay_alu instid0(VALU_DEP_1) | instskip(NEXT) | instid1(VALU_DEP_1)
	v_mov_b32_dpp v130, v129 row_shr:8 row_mask:0xf bank_mask:0xf
	v_cndmask_b32_e64 v130, 0, v130, s10
	s_delay_alu instid0(VALU_DEP_1) | instskip(SKIP_3) | instid1(VALU_DEP_1)
	v_add_nc_u32_e32 v129, v129, v130
	ds_swizzle_b32 v130, v129 offset:swizzle(BROADCAST,32,15)
	s_wait_dscnt 0x0
	v_cndmask_b32_e64 v130, v130, 0, s11
	v_add_nc_u32_e32 v129, v129, v130
	s_and_saveexec_b32 s15, s3
; %bb.268:                              ;   in Loop: Header=BB1567_236 Depth=2
	ds_store_b32 v38, v129 offset:1024
; %bb.269:                              ;   in Loop: Header=BB1567_236 Depth=2
	s_wait_alu 0xfffe
	s_or_b32 exec_lo, exec_lo, s15
	s_wait_loadcnt_dscnt 0x0
	s_barrier_signal -1
	s_barrier_wait -1
	global_inv scope:SCOPE_SE
	s_and_saveexec_b32 s15, s4
	s_cbranch_execz .LBB1567_271
; %bb.270:                              ;   in Loop: Header=BB1567_236 Depth=2
	v_add_nc_u32_e32 v130, v45, v46
	ds_load_b32 v131, v130 offset:1024
	s_wait_dscnt 0x0
	v_mov_b32_dpp v132, v131 row_shr:1 row_mask:0xf bank_mask:0xf
	s_delay_alu instid0(VALU_DEP_1) | instskip(NEXT) | instid1(VALU_DEP_1)
	v_cndmask_b32_e64 v132, v132, 0, s12
	v_add_nc_u32_e32 v131, v132, v131
	s_delay_alu instid0(VALU_DEP_1) | instskip(NEXT) | instid1(VALU_DEP_1)
	v_mov_b32_dpp v132, v131 row_shr:2 row_mask:0xf bank_mask:0xf
	v_cndmask_b32_e64 v132, 0, v132, s13
	s_delay_alu instid0(VALU_DEP_1) | instskip(NEXT) | instid1(VALU_DEP_1)
	v_add_nc_u32_e32 v131, v131, v132
	v_mov_b32_dpp v132, v131 row_shr:4 row_mask:0xf bank_mask:0xf
	s_delay_alu instid0(VALU_DEP_1) | instskip(NEXT) | instid1(VALU_DEP_1)
	v_cndmask_b32_e64 v132, 0, v132, s14
	v_add_nc_u32_e32 v131, v131, v132
	ds_store_b32 v130, v131 offset:1024
.LBB1567_271:                           ;   in Loop: Header=BB1567_236 Depth=2
	s_wait_alu 0xfffe
	s_or_b32 exec_lo, exec_lo, s15
	v_mov_b32_e32 v130, 0
	s_wait_loadcnt_dscnt 0x0
	s_barrier_signal -1
	s_barrier_wait -1
	global_inv scope:SCOPE_SE
	s_and_saveexec_b32 s15, s5
; %bb.272:                              ;   in Loop: Header=BB1567_236 Depth=2
	ds_load_b32 v130, v38 offset:1020
; %bb.273:                              ;   in Loop: Header=BB1567_236 Depth=2
	s_wait_alu 0xfffe
	s_or_b32 exec_lo, exec_lo, s15
	s_wait_dscnt 0x0
	v_add_nc_u32_e32 v129, v130, v129
	ds_bpermute_b32 v129, v80, v129
	s_wait_dscnt 0x0
	v_cndmask_b32_e64 v129, v129, v130, s8
	s_delay_alu instid0(VALU_DEP_1) | instskip(NEXT) | instid1(VALU_DEP_1)
	v_cndmask_b32_e64 v129, v129, 0, s6
	v_add_nc_u32_e32 v26, v129, v26
	s_delay_alu instid0(VALU_DEP_1) | instskip(NEXT) | instid1(VALU_DEP_1)
	v_add_nc_u32_e32 v27, v26, v27
	v_add_nc_u32_e32 v24, v27, v24
	s_delay_alu instid0(VALU_DEP_1) | instskip(NEXT) | instid1(VALU_DEP_1)
	v_add_nc_u32_e32 v25, v24, v25
	;; [unrolled: 3-line block ×3, first 2 shown]
	v_add_nc_u32_e32 v20, v23, v20
	s_delay_alu instid0(VALU_DEP_1)
	v_add_nc_u32_e32 v21, v20, v21
	ds_store_2addr_b32 v100, v23, v20 offset1:1
	ds_store_2addr_b32 v97, v129, v26 offset1:1
	;; [unrolled: 1-line block ×4, first 2 shown]
	ds_store_b32 v45, v21 offset:1088
	s_wait_loadcnt_dscnt 0x0
	s_barrier_signal -1
	s_barrier_wait -1
	global_inv scope:SCOPE_SE
	ds_load_b32 v20, v102 offset:1056
	ds_load_b32 v21, v106 offset:1056
	;; [unrolled: 1-line block ×9, first 2 shown]
	v_mov_b32_e32 v22, 0x800
	s_and_saveexec_b32 s15, s7
; %bb.274:                              ;   in Loop: Header=BB1567_236 Depth=2
	ds_load_b32 v22, v45 offset:1092
; %bb.275:                              ;   in Loop: Header=BB1567_236 Depth=2
	s_wait_alu 0xfffe
	s_or_b32 exec_lo, exec_lo, s15
	s_wait_loadcnt_dscnt 0x0
	s_barrier_signal -1
	s_barrier_wait -1
	global_inv scope:SCOPE_SE
	s_and_saveexec_b32 s15, s2
	s_cbranch_execz .LBB1567_277
; %bb.276:                              ;   in Loop: Header=BB1567_236 Depth=2
	ds_load_b32 v27, v28
	s_wait_dscnt 0x0
	v_sub_nc_u32_e32 v26, v27, v26
	ds_store_b32 v28, v26
.LBB1567_277:                           ;   in Loop: Header=BB1567_236 Depth=2
	s_wait_alu 0xfffe
	s_or_b32 exec_lo, exec_lo, s15
	v_add_nc_u32_e32 v98, v20, v95
	v_add3_u32 v97, v103, v101, v21
	v_add3_u32 v95, v107, v105, v23
	;; [unrolled: 1-line block ×7, first 2 shown]
	v_cmp_lt_u32_e64 s20, v1, v2
	ds_store_b8 v98, v94 offset:1024
	ds_store_b8 v97, v96 offset:1024
	;; [unrolled: 1-line block ×8, first 2 shown]
	s_wait_loadcnt_dscnt 0x0
	s_barrier_signal -1
	s_barrier_wait -1
	global_inv scope:SCOPE_SE
	s_and_saveexec_b32 s15, s20
	s_cbranch_execnz .LBB1567_314
; %bb.278:                              ;   in Loop: Header=BB1567_236 Depth=2
	s_wait_alu 0xfffe
	s_or_b32 exec_lo, exec_lo, s15
	v_cmp_lt_u32_e64 s21, v29, v2
	s_and_saveexec_b32 s15, s21
	s_cbranch_execnz .LBB1567_315
.LBB1567_279:                           ;   in Loop: Header=BB1567_236 Depth=2
	s_wait_alu 0xfffe
	s_or_b32 exec_lo, exec_lo, s15
	v_cmp_lt_u32_e64 s19, v30, v2
	s_and_saveexec_b32 s15, s19
	s_cbranch_execnz .LBB1567_316
.LBB1567_280:                           ;   in Loop: Header=BB1567_236 Depth=2
	s_wait_alu 0xfffe
	s_or_b32 exec_lo, exec_lo, s15
	v_cmp_lt_u32_e64 s18, v31, v2
	s_and_saveexec_b32 s15, s18
	s_cbranch_execnz .LBB1567_317
.LBB1567_281:                           ;   in Loop: Header=BB1567_236 Depth=2
	s_wait_alu 0xfffe
	s_or_b32 exec_lo, exec_lo, s15
	v_cmp_lt_u32_e64 s17, v34, v2
	s_and_saveexec_b32 s15, s17
	s_cbranch_execnz .LBB1567_318
.LBB1567_282:                           ;   in Loop: Header=BB1567_236 Depth=2
	s_wait_alu 0xfffe
	s_or_b32 exec_lo, exec_lo, s15
	v_cmp_lt_u32_e64 s16, v35, v2
	s_and_saveexec_b32 s15, s16
	s_cbranch_execnz .LBB1567_319
.LBB1567_283:                           ;   in Loop: Header=BB1567_236 Depth=2
	s_wait_alu 0xfffe
	s_or_b32 exec_lo, exec_lo, s15
	v_cmp_lt_u32_e64 s15, v36, v2
	s_and_saveexec_b32 s22, s15
	s_cbranch_execnz .LBB1567_320
.LBB1567_284:                           ;   in Loop: Header=BB1567_236 Depth=2
	s_wait_alu 0xfffe
	s_or_b32 exec_lo, exec_lo, s22
	v_cmp_lt_u32_e32 vcc_lo, v37, v2
	s_and_saveexec_b32 s22, vcc_lo
	s_cbranch_execz .LBB1567_286
.LBB1567_285:                           ;   in Loop: Header=BB1567_236 Depth=2
	ds_load_u8 v20, v1 offset:2816
	s_wait_dscnt 0x0
	v_and_b32_e32 v21, 1, v20
	v_xor_b32_e32 v20, 1, v20
	s_delay_alu instid0(VALU_DEP_2) | instskip(NEXT) | instid1(VALU_DEP_1)
	v_lshrrev_b32_e32 v21, s23, v21
	v_and_b32_e32 v21, s42, v21
	s_delay_alu instid0(VALU_DEP_1)
	v_lshlrev_b32_e32 v21, 2, v21
	ds_load_b32 v21, v21
	s_wait_dscnt 0x0
	v_add_nc_u32_e32 v21, v21, v37
	global_store_b8 v21, v20, s[40:41]
.LBB1567_286:                           ;   in Loop: Header=BB1567_236 Depth=2
	s_wait_alu 0xfffe
	s_or_b32 exec_lo, exec_lo, s22
	s_lshl_b64 s[48:49], s[30:31], 3
	s_wait_alu 0xfffe
	v_add_co_u32 v20, s22, v81, s48
	s_wait_alu 0xf1ff
	v_add_co_ci_u32_e64 v21, null, s49, v82, s22
	v_cmp_lt_u32_e64 s22, v68, v2
	s_and_saveexec_b32 s30, s22
	s_wait_alu 0xfffe
	s_xor_b32 s22, exec_lo, s30
	s_cbranch_execnz .LBB1567_321
; %bb.287:                              ;   in Loop: Header=BB1567_236 Depth=2
	s_wait_alu 0xfffe
	s_or_b32 exec_lo, exec_lo, s22
	s_delay_alu instid0(SALU_CYCLE_1)
	s_mov_b32 s30, exec_lo
	v_cmpx_lt_u32_e64 v71, v2
	s_cbranch_execnz .LBB1567_322
.LBB1567_288:                           ;   in Loop: Header=BB1567_236 Depth=2
	s_wait_alu 0xfffe
	s_or_b32 exec_lo, exec_lo, s30
	s_delay_alu instid0(SALU_CYCLE_1)
	s_mov_b32 s30, exec_lo
	v_cmpx_lt_u32_e64 v72, v2
	s_cbranch_execnz .LBB1567_323
.LBB1567_289:                           ;   in Loop: Header=BB1567_236 Depth=2
	s_wait_alu 0xfffe
	s_or_b32 exec_lo, exec_lo, s30
	s_delay_alu instid0(SALU_CYCLE_1)
	s_mov_b32 s30, exec_lo
	v_cmpx_lt_u32_e64 v73, v2
	s_cbranch_execnz .LBB1567_324
.LBB1567_290:                           ;   in Loop: Header=BB1567_236 Depth=2
	s_wait_alu 0xfffe
	s_or_b32 exec_lo, exec_lo, s30
	s_delay_alu instid0(SALU_CYCLE_1)
	s_mov_b32 s30, exec_lo
	v_cmpx_lt_u32_e64 v74, v2
	s_cbranch_execnz .LBB1567_325
.LBB1567_291:                           ;   in Loop: Header=BB1567_236 Depth=2
	s_wait_alu 0xfffe
	s_or_b32 exec_lo, exec_lo, s30
	s_delay_alu instid0(SALU_CYCLE_1)
	s_mov_b32 s30, exec_lo
	v_cmpx_lt_u32_e64 v75, v2
	s_cbranch_execnz .LBB1567_326
.LBB1567_292:                           ;   in Loop: Header=BB1567_236 Depth=2
	s_wait_alu 0xfffe
	s_or_b32 exec_lo, exec_lo, s30
	s_delay_alu instid0(SALU_CYCLE_1)
	s_mov_b32 s30, exec_lo
	v_cmpx_lt_u32_e64 v76, v2
	s_cbranch_execnz .LBB1567_327
.LBB1567_293:                           ;   in Loop: Header=BB1567_236 Depth=2
	s_wait_alu 0xfffe
	s_or_b32 exec_lo, exec_lo, s30
	s_delay_alu instid0(SALU_CYCLE_1)
	s_mov_b32 s30, exec_lo
	v_cmpx_lt_u32_e64 v77, v2
	s_cbranch_execnz .LBB1567_328
.LBB1567_294:                           ;   in Loop: Header=BB1567_236 Depth=2
	s_wait_alu 0xfffe
	s_or_b32 exec_lo, exec_lo, s30
	s_and_saveexec_b32 s22, s20
	s_cbranch_execnz .LBB1567_329
.LBB1567_295:                           ;   in Loop: Header=BB1567_236 Depth=2
	s_wait_alu 0xfffe
	s_or_b32 exec_lo, exec_lo, s22
	s_and_saveexec_b32 s22, s21
	s_cbranch_execnz .LBB1567_330
.LBB1567_296:                           ;   in Loop: Header=BB1567_236 Depth=2
	s_wait_alu 0xfffe
	s_or_b32 exec_lo, exec_lo, s22
	s_and_saveexec_b32 s22, s19
	s_cbranch_execnz .LBB1567_331
.LBB1567_297:                           ;   in Loop: Header=BB1567_236 Depth=2
	s_wait_alu 0xfffe
	s_or_b32 exec_lo, exec_lo, s22
	s_and_saveexec_b32 s22, s18
	s_cbranch_execnz .LBB1567_332
.LBB1567_298:                           ;   in Loop: Header=BB1567_236 Depth=2
	s_wait_alu 0xfffe
	s_or_b32 exec_lo, exec_lo, s22
	s_and_saveexec_b32 s22, s17
	s_cbranch_execnz .LBB1567_333
.LBB1567_299:                           ;   in Loop: Header=BB1567_236 Depth=2
	s_wait_alu 0xfffe
	s_or_b32 exec_lo, exec_lo, s22
	s_and_saveexec_b32 s22, s16
	s_cbranch_execnz .LBB1567_334
.LBB1567_300:                           ;   in Loop: Header=BB1567_236 Depth=2
	s_wait_alu 0xfffe
	s_or_b32 exec_lo, exec_lo, s22
	s_and_saveexec_b32 s22, s15
	s_cbranch_execnz .LBB1567_335
.LBB1567_301:                           ;   in Loop: Header=BB1567_236 Depth=2
	s_wait_alu 0xfffe
	s_or_b32 exec_lo, exec_lo, s22
	s_and_saveexec_b32 s22, vcc_lo
	s_cbranch_execz .LBB1567_303
.LBB1567_302:                           ;   in Loop: Header=BB1567_236 Depth=2
	ds_load_u8 v2, v1 offset:2816
	s_wait_dscnt 0x0
	v_lshrrev_b32_e32 v2, s23, v2
	s_delay_alu instid0(VALU_DEP_1)
	v_and_b32_e32 v86, s42, v2
.LBB1567_303:                           ;   in Loop: Header=BB1567_236 Depth=2
	s_wait_alu 0xfffe
	s_or_b32 exec_lo, exec_lo, s22
	v_lshlrev_b32_e32 v2, 3, v98
	v_lshlrev_b32_e32 v20, 3, v97
	;; [unrolled: 1-line block ×3, first 2 shown]
	s_wait_loadcnt 0x0
	s_wait_storecnt 0x0
	s_barrier_signal -1
	s_barrier_wait -1
	global_inv scope:SCOPE_SE
	ds_store_b64 v2, v[18:19] offset:1024
	ds_store_b64 v20, v[16:17] offset:1024
	;; [unrolled: 1-line block ×3, first 2 shown]
	v_lshlrev_b32_e32 v2, 3, v27
	v_lshlrev_b32_e32 v20, 3, v26
	;; [unrolled: 1-line block ×5, first 2 shown]
	ds_store_b64 v2, v[12:13] offset:1024
	ds_store_b64 v20, v[10:11] offset:1024
	;; [unrolled: 1-line block ×5, first 2 shown]
	s_wait_loadcnt_dscnt 0x0
	s_barrier_signal -1
	s_barrier_wait -1
	global_inv scope:SCOPE_SE
	s_and_saveexec_b32 s22, s20
	s_cbranch_execnz .LBB1567_336
; %bb.304:                              ;   in Loop: Header=BB1567_236 Depth=2
	s_wait_alu 0xfffe
	s_or_b32 exec_lo, exec_lo, s22
	s_and_saveexec_b32 s22, s21
	s_cbranch_execnz .LBB1567_337
.LBB1567_305:                           ;   in Loop: Header=BB1567_236 Depth=2
	s_wait_alu 0xfffe
	s_or_b32 exec_lo, exec_lo, s22
	s_and_saveexec_b32 s20, s19
	s_cbranch_execnz .LBB1567_338
.LBB1567_306:                           ;   in Loop: Header=BB1567_236 Depth=2
	s_wait_alu 0xfffe
	s_or_b32 exec_lo, exec_lo, s20
	s_and_saveexec_b32 s19, s18
	s_cbranch_execnz .LBB1567_339
.LBB1567_307:                           ;   in Loop: Header=BB1567_236 Depth=2
	s_wait_alu 0xfffe
	s_or_b32 exec_lo, exec_lo, s19
	s_and_saveexec_b32 s18, s17
	s_cbranch_execnz .LBB1567_340
.LBB1567_308:                           ;   in Loop: Header=BB1567_236 Depth=2
	s_wait_alu 0xfffe
	s_or_b32 exec_lo, exec_lo, s18
	s_and_saveexec_b32 s17, s16
	s_cbranch_execnz .LBB1567_341
.LBB1567_309:                           ;   in Loop: Header=BB1567_236 Depth=2
	s_wait_alu 0xfffe
	s_or_b32 exec_lo, exec_lo, s17
	s_and_saveexec_b32 s16, s15
	s_cbranch_execnz .LBB1567_342
.LBB1567_310:                           ;   in Loop: Header=BB1567_236 Depth=2
	s_wait_alu 0xfffe
	s_or_b32 exec_lo, exec_lo, s16
	s_and_saveexec_b32 s15, vcc_lo
	s_cbranch_execz .LBB1567_312
.LBB1567_311:                           ;   in Loop: Header=BB1567_236 Depth=2
	v_lshlrev_b32_e32 v2, 2, v86
	v_add_nc_u32_e32 v20, v1, v47
	ds_load_b32 v2, v2
	ds_load_b64 v[20:21], v20 offset:15360
	s_wait_dscnt 0x1
	v_add_nc_u32_e32 v2, v2, v37
	s_delay_alu instid0(VALU_DEP_1) | instskip(NEXT) | instid1(VALU_DEP_1)
	v_lshlrev_b64_e32 v[23:24], 3, v[2:3]
	v_add_co_u32 v23, vcc_lo, s26, v23
	s_wait_alu 0xfffd
	s_delay_alu instid0(VALU_DEP_2)
	v_add_co_ci_u32_e64 v24, null, s27, v24, vcc_lo
	s_wait_dscnt 0x0
	global_store_b64 v[23:24], v[20:21], off
.LBB1567_312:                           ;   in Loop: Header=BB1567_236 Depth=2
	s_wait_alu 0xfffe
	s_or_b32 exec_lo, exec_lo, s15
	s_wait_loadcnt 0x0
	s_wait_storecnt 0x0
	s_barrier_signal -1
	s_barrier_wait -1
	global_inv scope:SCOPE_SE
	s_and_saveexec_b32 s15, s2
	s_cbranch_execz .LBB1567_235
; %bb.313:                              ;   in Loop: Header=BB1567_236 Depth=2
	ds_load_b32 v2, v28
	s_wait_dscnt 0x0
	v_add_nc_u32_e32 v2, v2, v22
	ds_store_b32 v28, v2
	s_branch .LBB1567_235
.LBB1567_314:                           ;   in Loop: Header=BB1567_236 Depth=2
	ds_load_u8 v20, v1 offset:1024
	s_wait_dscnt 0x0
	v_and_b32_e32 v21, 1, v20
	v_xor_b32_e32 v20, 1, v20
	s_delay_alu instid0(VALU_DEP_2) | instskip(NEXT) | instid1(VALU_DEP_1)
	v_lshrrev_b32_e32 v21, s23, v21
	v_and_b32_e32 v21, s42, v21
	s_delay_alu instid0(VALU_DEP_1)
	v_lshlrev_b32_e32 v21, 2, v21
	ds_load_b32 v21, v21
	s_wait_dscnt 0x0
	v_add_nc_u32_e32 v21, v21, v1
	global_store_b8 v21, v20, s[40:41]
	s_wait_alu 0xfffe
	s_or_b32 exec_lo, exec_lo, s15
	v_cmp_lt_u32_e64 s21, v29, v2
	s_and_saveexec_b32 s15, s21
	s_cbranch_execz .LBB1567_279
.LBB1567_315:                           ;   in Loop: Header=BB1567_236 Depth=2
	ds_load_u8 v20, v1 offset:1280
	s_wait_dscnt 0x0
	v_and_b32_e32 v21, 1, v20
	v_xor_b32_e32 v20, 1, v20
	s_delay_alu instid0(VALU_DEP_2) | instskip(NEXT) | instid1(VALU_DEP_1)
	v_lshrrev_b32_e32 v21, s23, v21
	v_and_b32_e32 v21, s42, v21
	s_delay_alu instid0(VALU_DEP_1)
	v_lshlrev_b32_e32 v21, 2, v21
	ds_load_b32 v21, v21
	s_wait_dscnt 0x0
	v_add_nc_u32_e32 v21, v21, v29
	global_store_b8 v21, v20, s[40:41]
	s_wait_alu 0xfffe
	s_or_b32 exec_lo, exec_lo, s15
	v_cmp_lt_u32_e64 s19, v30, v2
	s_and_saveexec_b32 s15, s19
	s_cbranch_execz .LBB1567_280
.LBB1567_316:                           ;   in Loop: Header=BB1567_236 Depth=2
	ds_load_u8 v20, v1 offset:1536
	s_wait_dscnt 0x0
	v_and_b32_e32 v21, 1, v20
	v_xor_b32_e32 v20, 1, v20
	s_delay_alu instid0(VALU_DEP_2) | instskip(NEXT) | instid1(VALU_DEP_1)
	v_lshrrev_b32_e32 v21, s23, v21
	v_and_b32_e32 v21, s42, v21
	s_delay_alu instid0(VALU_DEP_1)
	v_lshlrev_b32_e32 v21, 2, v21
	ds_load_b32 v21, v21
	s_wait_dscnt 0x0
	v_add_nc_u32_e32 v21, v21, v30
	global_store_b8 v21, v20, s[40:41]
	s_wait_alu 0xfffe
	s_or_b32 exec_lo, exec_lo, s15
	v_cmp_lt_u32_e64 s18, v31, v2
	s_and_saveexec_b32 s15, s18
	s_cbranch_execz .LBB1567_281
.LBB1567_317:                           ;   in Loop: Header=BB1567_236 Depth=2
	ds_load_u8 v20, v1 offset:1792
	s_wait_dscnt 0x0
	v_and_b32_e32 v21, 1, v20
	v_xor_b32_e32 v20, 1, v20
	s_delay_alu instid0(VALU_DEP_2) | instskip(NEXT) | instid1(VALU_DEP_1)
	v_lshrrev_b32_e32 v21, s23, v21
	v_and_b32_e32 v21, s42, v21
	s_delay_alu instid0(VALU_DEP_1)
	v_lshlrev_b32_e32 v21, 2, v21
	ds_load_b32 v21, v21
	s_wait_dscnt 0x0
	v_add_nc_u32_e32 v21, v21, v31
	global_store_b8 v21, v20, s[40:41]
	s_wait_alu 0xfffe
	s_or_b32 exec_lo, exec_lo, s15
	v_cmp_lt_u32_e64 s17, v34, v2
	s_and_saveexec_b32 s15, s17
	s_cbranch_execz .LBB1567_282
.LBB1567_318:                           ;   in Loop: Header=BB1567_236 Depth=2
	ds_load_u8 v20, v1 offset:2048
	s_wait_dscnt 0x0
	v_and_b32_e32 v21, 1, v20
	v_xor_b32_e32 v20, 1, v20
	s_delay_alu instid0(VALU_DEP_2) | instskip(NEXT) | instid1(VALU_DEP_1)
	v_lshrrev_b32_e32 v21, s23, v21
	v_and_b32_e32 v21, s42, v21
	s_delay_alu instid0(VALU_DEP_1)
	v_lshlrev_b32_e32 v21, 2, v21
	ds_load_b32 v21, v21
	s_wait_dscnt 0x0
	v_add_nc_u32_e32 v21, v21, v34
	global_store_b8 v21, v20, s[40:41]
	s_wait_alu 0xfffe
	s_or_b32 exec_lo, exec_lo, s15
	v_cmp_lt_u32_e64 s16, v35, v2
	s_and_saveexec_b32 s15, s16
	s_cbranch_execz .LBB1567_283
.LBB1567_319:                           ;   in Loop: Header=BB1567_236 Depth=2
	ds_load_u8 v20, v1 offset:2304
	s_wait_dscnt 0x0
	v_and_b32_e32 v21, 1, v20
	v_xor_b32_e32 v20, 1, v20
	s_delay_alu instid0(VALU_DEP_2) | instskip(NEXT) | instid1(VALU_DEP_1)
	v_lshrrev_b32_e32 v21, s23, v21
	v_and_b32_e32 v21, s42, v21
	s_delay_alu instid0(VALU_DEP_1)
	v_lshlrev_b32_e32 v21, 2, v21
	ds_load_b32 v21, v21
	s_wait_dscnt 0x0
	v_add_nc_u32_e32 v21, v21, v35
	global_store_b8 v21, v20, s[40:41]
	s_wait_alu 0xfffe
	s_or_b32 exec_lo, exec_lo, s15
	v_cmp_lt_u32_e64 s15, v36, v2
	s_and_saveexec_b32 s22, s15
	s_cbranch_execz .LBB1567_284
.LBB1567_320:                           ;   in Loop: Header=BB1567_236 Depth=2
	ds_load_u8 v20, v1 offset:2560
	s_wait_dscnt 0x0
	v_and_b32_e32 v21, 1, v20
	v_xor_b32_e32 v20, 1, v20
	s_delay_alu instid0(VALU_DEP_2) | instskip(NEXT) | instid1(VALU_DEP_1)
	v_lshrrev_b32_e32 v21, s23, v21
	v_and_b32_e32 v21, s42, v21
	s_delay_alu instid0(VALU_DEP_1)
	v_lshlrev_b32_e32 v21, 2, v21
	ds_load_b32 v21, v21
	s_wait_dscnt 0x0
	v_add_nc_u32_e32 v21, v21, v36
	global_store_b8 v21, v20, s[40:41]
	s_wait_alu 0xfffe
	s_or_b32 exec_lo, exec_lo, s22
	v_cmp_lt_u32_e32 vcc_lo, v37, v2
	s_and_saveexec_b32 s22, vcc_lo
	s_cbranch_execnz .LBB1567_285
	s_branch .LBB1567_286
.LBB1567_321:                           ;   in Loop: Header=BB1567_236 Depth=2
	global_load_b64 v[18:19], v[20:21], off
	s_wait_alu 0xfffe
	s_or_b32 exec_lo, exec_lo, s22
	s_delay_alu instid0(SALU_CYCLE_1)
	s_mov_b32 s30, exec_lo
	v_cmpx_lt_u32_e64 v71, v2
	s_cbranch_execz .LBB1567_288
.LBB1567_322:                           ;   in Loop: Header=BB1567_236 Depth=2
	global_load_b64 v[16:17], v[20:21], off offset:256
	s_wait_alu 0xfffe
	s_or_b32 exec_lo, exec_lo, s30
	s_delay_alu instid0(SALU_CYCLE_1)
	s_mov_b32 s30, exec_lo
	v_cmpx_lt_u32_e64 v72, v2
	s_cbranch_execz .LBB1567_289
.LBB1567_323:                           ;   in Loop: Header=BB1567_236 Depth=2
	global_load_b64 v[14:15], v[20:21], off offset:512
	s_wait_alu 0xfffe
	s_or_b32 exec_lo, exec_lo, s30
	s_delay_alu instid0(SALU_CYCLE_1)
	s_mov_b32 s30, exec_lo
	v_cmpx_lt_u32_e64 v73, v2
	s_cbranch_execz .LBB1567_290
.LBB1567_324:                           ;   in Loop: Header=BB1567_236 Depth=2
	global_load_b64 v[12:13], v[20:21], off offset:768
	s_wait_alu 0xfffe
	s_or_b32 exec_lo, exec_lo, s30
	s_delay_alu instid0(SALU_CYCLE_1)
	s_mov_b32 s30, exec_lo
	v_cmpx_lt_u32_e64 v74, v2
	s_cbranch_execz .LBB1567_291
.LBB1567_325:                           ;   in Loop: Header=BB1567_236 Depth=2
	global_load_b64 v[10:11], v[20:21], off offset:1024
	s_wait_alu 0xfffe
	s_or_b32 exec_lo, exec_lo, s30
	s_delay_alu instid0(SALU_CYCLE_1)
	s_mov_b32 s30, exec_lo
	v_cmpx_lt_u32_e64 v75, v2
	s_cbranch_execz .LBB1567_292
.LBB1567_326:                           ;   in Loop: Header=BB1567_236 Depth=2
	global_load_b64 v[8:9], v[20:21], off offset:1280
	s_wait_alu 0xfffe
	s_or_b32 exec_lo, exec_lo, s30
	s_delay_alu instid0(SALU_CYCLE_1)
	s_mov_b32 s30, exec_lo
	v_cmpx_lt_u32_e64 v76, v2
	s_cbranch_execz .LBB1567_293
.LBB1567_327:                           ;   in Loop: Header=BB1567_236 Depth=2
	global_load_b64 v[6:7], v[20:21], off offset:1536
	s_wait_alu 0xfffe
	s_or_b32 exec_lo, exec_lo, s30
	s_delay_alu instid0(SALU_CYCLE_1)
	s_mov_b32 s30, exec_lo
	v_cmpx_lt_u32_e64 v77, v2
	s_cbranch_execz .LBB1567_294
.LBB1567_328:                           ;   in Loop: Header=BB1567_236 Depth=2
	global_load_b64 v[4:5], v[20:21], off offset:1792
	s_wait_alu 0xfffe
	s_or_b32 exec_lo, exec_lo, s30
	s_and_saveexec_b32 s22, s20
	s_cbranch_execz .LBB1567_295
.LBB1567_329:                           ;   in Loop: Header=BB1567_236 Depth=2
	ds_load_u8 v2, v1 offset:1024
	s_wait_dscnt 0x0
	v_lshrrev_b32_e32 v2, s23, v2
	s_delay_alu instid0(VALU_DEP_1)
	v_and_b32_e32 v93, s42, v2
	s_wait_alu 0xfffe
	s_or_b32 exec_lo, exec_lo, s22
	s_and_saveexec_b32 s22, s21
	s_cbranch_execz .LBB1567_296
.LBB1567_330:                           ;   in Loop: Header=BB1567_236 Depth=2
	ds_load_u8 v2, v1 offset:1280
	s_wait_dscnt 0x0
	v_lshrrev_b32_e32 v2, s23, v2
	s_delay_alu instid0(VALU_DEP_1)
	v_and_b32_e32 v92, s42, v2
	s_wait_alu 0xfffe
	s_or_b32 exec_lo, exec_lo, s22
	s_and_saveexec_b32 s22, s19
	s_cbranch_execz .LBB1567_297
.LBB1567_331:                           ;   in Loop: Header=BB1567_236 Depth=2
	ds_load_u8 v2, v1 offset:1536
	s_wait_dscnt 0x0
	v_lshrrev_b32_e32 v2, s23, v2
	s_delay_alu instid0(VALU_DEP_1)
	v_and_b32_e32 v91, s42, v2
	s_wait_alu 0xfffe
	s_or_b32 exec_lo, exec_lo, s22
	s_and_saveexec_b32 s22, s18
	s_cbranch_execz .LBB1567_298
.LBB1567_332:                           ;   in Loop: Header=BB1567_236 Depth=2
	ds_load_u8 v2, v1 offset:1792
	s_wait_dscnt 0x0
	v_lshrrev_b32_e32 v2, s23, v2
	s_delay_alu instid0(VALU_DEP_1)
	v_and_b32_e32 v90, s42, v2
	s_wait_alu 0xfffe
	s_or_b32 exec_lo, exec_lo, s22
	s_and_saveexec_b32 s22, s17
	s_cbranch_execz .LBB1567_299
.LBB1567_333:                           ;   in Loop: Header=BB1567_236 Depth=2
	ds_load_u8 v2, v1 offset:2048
	s_wait_dscnt 0x0
	v_lshrrev_b32_e32 v2, s23, v2
	s_delay_alu instid0(VALU_DEP_1)
	v_and_b32_e32 v89, s42, v2
	s_wait_alu 0xfffe
	s_or_b32 exec_lo, exec_lo, s22
	s_and_saveexec_b32 s22, s16
	s_cbranch_execz .LBB1567_300
.LBB1567_334:                           ;   in Loop: Header=BB1567_236 Depth=2
	ds_load_u8 v2, v1 offset:2304
	s_wait_dscnt 0x0
	v_lshrrev_b32_e32 v2, s23, v2
	s_delay_alu instid0(VALU_DEP_1)
	v_and_b32_e32 v88, s42, v2
	s_wait_alu 0xfffe
	s_or_b32 exec_lo, exec_lo, s22
	s_and_saveexec_b32 s22, s15
	s_cbranch_execz .LBB1567_301
.LBB1567_335:                           ;   in Loop: Header=BB1567_236 Depth=2
	ds_load_u8 v2, v1 offset:2560
	s_wait_dscnt 0x0
	v_lshrrev_b32_e32 v2, s23, v2
	s_delay_alu instid0(VALU_DEP_1)
	v_and_b32_e32 v87, s42, v2
	s_wait_alu 0xfffe
	s_or_b32 exec_lo, exec_lo, s22
	s_and_saveexec_b32 s22, vcc_lo
	s_cbranch_execnz .LBB1567_302
	s_branch .LBB1567_303
.LBB1567_336:                           ;   in Loop: Header=BB1567_236 Depth=2
	v_lshlrev_b32_e32 v2, 2, v93
	v_add_nc_u32_e32 v20, v1, v47
	ds_load_b32 v2, v2
	ds_load_b64 v[20:21], v20 offset:1024
	s_wait_dscnt 0x1
	v_add_nc_u32_e32 v2, v2, v1
	s_delay_alu instid0(VALU_DEP_1) | instskip(NEXT) | instid1(VALU_DEP_1)
	v_lshlrev_b64_e32 v[23:24], 3, v[2:3]
	v_add_co_u32 v23, s20, s26, v23
	s_wait_alu 0xf1ff
	s_delay_alu instid0(VALU_DEP_2)
	v_add_co_ci_u32_e64 v24, null, s27, v24, s20
	s_wait_dscnt 0x0
	global_store_b64 v[23:24], v[20:21], off
	s_wait_alu 0xfffe
	s_or_b32 exec_lo, exec_lo, s22
	s_and_saveexec_b32 s22, s21
	s_cbranch_execz .LBB1567_305
.LBB1567_337:                           ;   in Loop: Header=BB1567_236 Depth=2
	v_lshlrev_b32_e32 v2, 2, v92
	v_add_nc_u32_e32 v20, v1, v47
	ds_load_b32 v2, v2
	ds_load_b64 v[20:21], v20 offset:3072
	s_wait_dscnt 0x1
	v_add_nc_u32_e32 v2, v2, v29
	s_delay_alu instid0(VALU_DEP_1) | instskip(NEXT) | instid1(VALU_DEP_1)
	v_lshlrev_b64_e32 v[23:24], 3, v[2:3]
	v_add_co_u32 v23, s20, s26, v23
	s_wait_alu 0xf1ff
	s_delay_alu instid0(VALU_DEP_2)
	v_add_co_ci_u32_e64 v24, null, s27, v24, s20
	s_wait_dscnt 0x0
	global_store_b64 v[23:24], v[20:21], off
	s_wait_alu 0xfffe
	s_or_b32 exec_lo, exec_lo, s22
	s_and_saveexec_b32 s20, s19
	s_cbranch_execz .LBB1567_306
.LBB1567_338:                           ;   in Loop: Header=BB1567_236 Depth=2
	v_lshlrev_b32_e32 v2, 2, v91
	v_add_nc_u32_e32 v20, v1, v47
	ds_load_b32 v2, v2
	ds_load_b64 v[20:21], v20 offset:5120
	s_wait_dscnt 0x1
	v_add_nc_u32_e32 v2, v2, v30
	s_delay_alu instid0(VALU_DEP_1) | instskip(NEXT) | instid1(VALU_DEP_1)
	v_lshlrev_b64_e32 v[23:24], 3, v[2:3]
	v_add_co_u32 v23, s19, s26, v23
	s_wait_alu 0xf1ff
	s_delay_alu instid0(VALU_DEP_2)
	v_add_co_ci_u32_e64 v24, null, s27, v24, s19
	s_wait_dscnt 0x0
	global_store_b64 v[23:24], v[20:21], off
	s_wait_alu 0xfffe
	s_or_b32 exec_lo, exec_lo, s20
	s_and_saveexec_b32 s19, s18
	s_cbranch_execz .LBB1567_307
.LBB1567_339:                           ;   in Loop: Header=BB1567_236 Depth=2
	v_lshlrev_b32_e32 v2, 2, v90
	v_add_nc_u32_e32 v20, v1, v47
	ds_load_b32 v2, v2
	ds_load_b64 v[20:21], v20 offset:7168
	s_wait_dscnt 0x1
	v_add_nc_u32_e32 v2, v2, v31
	s_delay_alu instid0(VALU_DEP_1) | instskip(NEXT) | instid1(VALU_DEP_1)
	v_lshlrev_b64_e32 v[23:24], 3, v[2:3]
	v_add_co_u32 v23, s18, s26, v23
	s_wait_alu 0xf1ff
	s_delay_alu instid0(VALU_DEP_2)
	v_add_co_ci_u32_e64 v24, null, s27, v24, s18
	s_wait_dscnt 0x0
	global_store_b64 v[23:24], v[20:21], off
	s_wait_alu 0xfffe
	s_or_b32 exec_lo, exec_lo, s19
	s_and_saveexec_b32 s18, s17
	s_cbranch_execz .LBB1567_308
.LBB1567_340:                           ;   in Loop: Header=BB1567_236 Depth=2
	v_lshlrev_b32_e32 v2, 2, v89
	v_add_nc_u32_e32 v20, v1, v47
	ds_load_b32 v2, v2
	ds_load_b64 v[20:21], v20 offset:9216
	s_wait_dscnt 0x1
	v_add_nc_u32_e32 v2, v2, v34
	s_delay_alu instid0(VALU_DEP_1) | instskip(NEXT) | instid1(VALU_DEP_1)
	v_lshlrev_b64_e32 v[23:24], 3, v[2:3]
	v_add_co_u32 v23, s17, s26, v23
	s_wait_alu 0xf1ff
	s_delay_alu instid0(VALU_DEP_2)
	v_add_co_ci_u32_e64 v24, null, s27, v24, s17
	s_wait_dscnt 0x0
	global_store_b64 v[23:24], v[20:21], off
	s_wait_alu 0xfffe
	s_or_b32 exec_lo, exec_lo, s18
	s_and_saveexec_b32 s17, s16
	s_cbranch_execz .LBB1567_309
.LBB1567_341:                           ;   in Loop: Header=BB1567_236 Depth=2
	v_lshlrev_b32_e32 v2, 2, v88
	v_add_nc_u32_e32 v20, v1, v47
	ds_load_b32 v2, v2
	ds_load_b64 v[20:21], v20 offset:11264
	s_wait_dscnt 0x1
	v_add_nc_u32_e32 v2, v2, v35
	s_delay_alu instid0(VALU_DEP_1) | instskip(NEXT) | instid1(VALU_DEP_1)
	v_lshlrev_b64_e32 v[23:24], 3, v[2:3]
	v_add_co_u32 v23, s16, s26, v23
	s_wait_alu 0xf1ff
	s_delay_alu instid0(VALU_DEP_2)
	v_add_co_ci_u32_e64 v24, null, s27, v24, s16
	s_wait_dscnt 0x0
	global_store_b64 v[23:24], v[20:21], off
	s_wait_alu 0xfffe
	s_or_b32 exec_lo, exec_lo, s17
	s_and_saveexec_b32 s16, s15
	s_cbranch_execz .LBB1567_310
.LBB1567_342:                           ;   in Loop: Header=BB1567_236 Depth=2
	v_lshlrev_b32_e32 v2, 2, v87
	v_add_nc_u32_e32 v20, v1, v47
	ds_load_b32 v2, v2
	ds_load_b64 v[20:21], v20 offset:13312
	s_wait_dscnt 0x1
	v_add_nc_u32_e32 v2, v2, v36
	s_delay_alu instid0(VALU_DEP_1) | instskip(NEXT) | instid1(VALU_DEP_1)
	v_lshlrev_b64_e32 v[23:24], 3, v[2:3]
	v_add_co_u32 v23, s15, s26, v23
	s_wait_alu 0xf1ff
	s_delay_alu instid0(VALU_DEP_2)
	v_add_co_ci_u32_e64 v24, null, s27, v24, s15
	s_wait_dscnt 0x0
	global_store_b64 v[23:24], v[20:21], off
	s_wait_alu 0xfffe
	s_or_b32 exec_lo, exec_lo, s16
	s_and_saveexec_b32 s15, vcc_lo
	s_cbranch_execnz .LBB1567_311
	s_branch .LBB1567_312
.LBB1567_343:                           ;   in Loop: Header=BB1567_236 Depth=2
	global_load_u8 v95, v[20:21], off offset:32
	s_wait_alu 0xfffe
	s_or_b32 exec_lo, exec_lo, s15
	s_delay_alu instid0(SALU_CYCLE_1)
	s_mov_b32 s15, exec_lo
	v_cmpx_gt_u32_e64 s43, v72
	s_cbranch_execz .LBB1567_243
.LBB1567_344:                           ;   in Loop: Header=BB1567_236 Depth=2
	global_load_u8 v22, v[20:21], off offset:64
	s_wait_alu 0xfffe
	s_or_b32 exec_lo, exec_lo, s15
	s_delay_alu instid0(SALU_CYCLE_1)
	s_mov_b32 s15, exec_lo
	v_cmpx_gt_u32_e64 s43, v73
	s_cbranch_execz .LBB1567_244
.LBB1567_345:                           ;   in Loop: Header=BB1567_236 Depth=2
	global_load_u8 v26, v[20:21], off offset:96
	s_wait_alu 0xfffe
	s_or_b32 exec_lo, exec_lo, s15
	s_delay_alu instid0(SALU_CYCLE_1)
	s_mov_b32 s15, exec_lo
	v_cmpx_gt_u32_e64 s43, v74
	s_cbranch_execz .LBB1567_245
.LBB1567_346:                           ;   in Loop: Header=BB1567_236 Depth=2
	global_load_u8 v23, v[20:21], off offset:128
	s_wait_alu 0xfffe
	s_or_b32 exec_lo, exec_lo, s15
	s_delay_alu instid0(SALU_CYCLE_1)
	s_mov_b32 s15, exec_lo
	v_cmpx_gt_u32_e64 s43, v75
	s_cbranch_execz .LBB1567_246
.LBB1567_347:                           ;   in Loop: Header=BB1567_236 Depth=2
	global_load_u8 v24, v[20:21], off offset:160
	s_wait_alu 0xfffe
	s_or_b32 exec_lo, exec_lo, s15
	s_delay_alu instid0(SALU_CYCLE_1)
	s_mov_b32 s15, exec_lo
	v_cmpx_gt_u32_e64 s43, v76
	s_cbranch_execnz .LBB1567_247
	s_branch .LBB1567_248
.LBB1567_348:                           ;   in Loop: Header=BB1567_20 Depth=1
	s_wait_loadcnt_dscnt 0x0
	s_barrier_signal -1
	s_barrier_wait -1
.LBB1567_349:                           ;   in Loop: Header=BB1567_20 Depth=1
	s_mov_b32 s0, 0
.LBB1567_350:                           ;   in Loop: Header=BB1567_20 Depth=1
	s_wait_alu 0xfffe
	s_and_not1_b32 vcc_lo, exec_lo, s0
	s_wait_alu 0xfffe
	s_cbranch_vccnz .LBB1567_19
; %bb.351:                              ;   in Loop: Header=BB1567_20 Depth=1
	s_and_b32 vcc_lo, exec_lo, s35
	s_mov_b32 s0, -1
	s_wait_alu 0xfffe
	s_cbranch_vccz .LBB1567_515
; %bb.352:                              ;   in Loop: Header=BB1567_20 Depth=1
	v_dual_mov_b32 v7, 0 :: v_dual_mov_b32 v10, 0
	v_dual_mov_b32 v9, 0 :: v_dual_mov_b32 v8, 0
	;; [unrolled: 1-line block ×3, first 2 shown]
	v_mov_b32_e32 v4, 0
	v_mov_b32_e32 v2, 0
	s_mov_b32 s9, s47
	s_mov_b32 s30, s33
	s_barrier_signal -1
	s_barrier_wait -1
	global_inv scope:SCOPE_SE
	s_branch .LBB1567_354
.LBB1567_353:                           ;   in Loop: Header=BB1567_354 Depth=2
	s_wait_alu 0xfffe
	s_or_b32 exec_lo, exec_lo, s0
	s_addk_co_i32 s9, 0xf800
	s_cmp_ge_u32 s10, s34
	s_mov_b32 s30, s10
	s_cbranch_scc1 .LBB1567_390
.LBB1567_354:                           ;   Parent Loop BB1567_20 Depth=1
                                        ; =>  This Inner Loop Header: Depth=2
	s_wait_alu 0xfffe
	s_add_co_i32 s10, s30, 0x800
	s_mov_b32 s0, -1
	s_wait_alu 0xfffe
	s_cmp_gt_u32 s10, s34
                                        ; implicit-def: $vgpr11
                                        ; implicit-def: $vgpr12
                                        ; implicit-def: $vgpr13
                                        ; implicit-def: $vgpr14
                                        ; implicit-def: $vgpr15
                                        ; implicit-def: $vgpr16
                                        ; implicit-def: $vgpr17
                                        ; implicit-def: $vgpr18
	s_cbranch_scc1 .LBB1567_356
; %bb.355:                              ;   in Loop: Header=BB1567_354 Depth=2
	v_add_co_u32 v19, vcc_lo, v54, s30
	s_wait_alu 0xfffd
	v_add_co_ci_u32_e64 v20, null, 0, v55, vcc_lo
	s_mov_b32 s0, 0
	s_clause 0x7
	global_load_u8 v18, v[19:20], off offset:1792
	global_load_u8 v17, v[19:20], off offset:1536
	;; [unrolled: 1-line block ×7, first 2 shown]
	global_load_u8 v11, v[19:20], off
.LBB1567_356:                           ;   in Loop: Header=BB1567_354 Depth=2
	s_wait_alu 0xfffe
	s_and_not1_b32 vcc_lo, exec_lo, s0
	s_movk_i32 s0, 0x800
	s_wait_alu 0xfffe
	s_cbranch_vccnz .LBB1567_367
; %bb.357:                              ;   in Loop: Header=BB1567_354 Depth=2
	s_add_nc_u64 s[0:1], s[36:37], s[30:31]
	s_mov_b32 s11, exec_lo
	v_cmpx_gt_u32_e64 s9, v1
	s_cbranch_execnz .LBB1567_383
; %bb.358:                              ;   in Loop: Header=BB1567_354 Depth=2
	s_wait_alu 0xfffe
	s_or_b32 exec_lo, exec_lo, s11
	s_delay_alu instid0(SALU_CYCLE_1)
	s_mov_b32 s11, exec_lo
	v_cmpx_gt_u32_e64 s9, v29
	s_cbranch_execnz .LBB1567_384
.LBB1567_359:                           ;   in Loop: Header=BB1567_354 Depth=2
	s_wait_alu 0xfffe
	s_or_b32 exec_lo, exec_lo, s11
	s_delay_alu instid0(SALU_CYCLE_1)
	s_mov_b32 s11, exec_lo
	v_cmpx_gt_u32_e64 s9, v30
	s_cbranch_execnz .LBB1567_385
.LBB1567_360:                           ;   in Loop: Header=BB1567_354 Depth=2
	s_wait_alu 0xfffe
	s_or_b32 exec_lo, exec_lo, s11
	s_delay_alu instid0(SALU_CYCLE_1)
	s_mov_b32 s11, exec_lo
	v_cmpx_gt_u32_e64 s9, v31
	s_cbranch_execnz .LBB1567_386
.LBB1567_361:                           ;   in Loop: Header=BB1567_354 Depth=2
	s_wait_alu 0xfffe
	s_or_b32 exec_lo, exec_lo, s11
	s_delay_alu instid0(SALU_CYCLE_1)
	s_mov_b32 s11, exec_lo
	v_cmpx_gt_u32_e64 s9, v34
	s_cbranch_execnz .LBB1567_387
.LBB1567_362:                           ;   in Loop: Header=BB1567_354 Depth=2
	s_wait_alu 0xfffe
	s_or_b32 exec_lo, exec_lo, s11
	s_delay_alu instid0(SALU_CYCLE_1)
	s_mov_b32 s11, exec_lo
	v_cmpx_gt_u32_e64 s9, v35
	s_cbranch_execnz .LBB1567_388
.LBB1567_363:                           ;   in Loop: Header=BB1567_354 Depth=2
	s_wait_alu 0xfffe
	s_or_b32 exec_lo, exec_lo, s11
	s_delay_alu instid0(SALU_CYCLE_1)
	s_mov_b32 s11, exec_lo
	v_cmpx_gt_u32_e64 s9, v36
	s_cbranch_execnz .LBB1567_389
.LBB1567_364:                           ;   in Loop: Header=BB1567_354 Depth=2
	s_wait_alu 0xfffe
	s_or_b32 exec_lo, exec_lo, s11
	s_delay_alu instid0(SALU_CYCLE_1)
	s_mov_b32 s11, exec_lo
	v_cmpx_gt_u32_e64 s9, v37
	s_cbranch_execz .LBB1567_366
.LBB1567_365:                           ;   in Loop: Header=BB1567_354 Depth=2
	s_wait_loadcnt 0x0
	v_add_co_u32 v11, s0, s0, v1
	s_wait_alu 0xf1ff
	v_add_co_ci_u32_e64 v12, null, s1, 0, s0
	global_load_u8 v2, v[11:12], off offset:1792
.LBB1567_366:                           ;   in Loop: Header=BB1567_354 Depth=2
	s_wait_alu 0xfffe
	s_or_b32 exec_lo, exec_lo, s11
	s_wait_loadcnt 0x0
	v_dual_mov_b32 v11, v7 :: v_dual_mov_b32 v12, v10
	v_dual_mov_b32 v13, v9 :: v_dual_mov_b32 v14, v8
	;; [unrolled: 1-line block ×4, first 2 shown]
	s_mov_b32 s0, s9
.LBB1567_367:                           ;   in Loop: Header=BB1567_354 Depth=2
	s_wait_loadcnt 0x5
	s_delay_alu instid0(VALU_DEP_1)
	v_dual_mov_b32 v2, v18 :: v_dual_mov_b32 v5, v16
	s_wait_loadcnt 0x2
	v_dual_mov_b32 v4, v17 :: v_dual_mov_b32 v9, v13
	s_wait_loadcnt 0x0
	v_dual_mov_b32 v6, v15 :: v_dual_mov_b32 v7, v11
	v_mov_b32_e32 v8, v14
	v_mov_b32_e32 v10, v12
	s_mov_b32 s1, exec_lo
	s_wait_alu 0xfffe
	v_cmpx_gt_u32_e64 s0, v1
	s_cbranch_execnz .LBB1567_375
; %bb.368:                              ;   in Loop: Header=BB1567_354 Depth=2
	s_or_b32 exec_lo, exec_lo, s1
	s_delay_alu instid0(SALU_CYCLE_1)
	s_mov_b32 s1, exec_lo
	v_cmpx_gt_u32_e64 s0, v29
	s_cbranch_execnz .LBB1567_376
.LBB1567_369:                           ;   in Loop: Header=BB1567_354 Depth=2
	s_wait_alu 0xfffe
	s_or_b32 exec_lo, exec_lo, s1
	s_delay_alu instid0(SALU_CYCLE_1)
	s_mov_b32 s1, exec_lo
	v_cmpx_gt_u32_e64 s0, v30
	s_cbranch_execnz .LBB1567_377
.LBB1567_370:                           ;   in Loop: Header=BB1567_354 Depth=2
	s_wait_alu 0xfffe
	s_or_b32 exec_lo, exec_lo, s1
	s_delay_alu instid0(SALU_CYCLE_1)
	s_mov_b32 s1, exec_lo
	v_cmpx_gt_u32_e64 s0, v31
	s_cbranch_execnz .LBB1567_378
.LBB1567_371:                           ;   in Loop: Header=BB1567_354 Depth=2
	s_wait_alu 0xfffe
	s_or_b32 exec_lo, exec_lo, s1
	s_delay_alu instid0(SALU_CYCLE_1)
	s_mov_b32 s1, exec_lo
	v_cmpx_gt_u32_e64 s0, v34
	s_cbranch_execnz .LBB1567_379
.LBB1567_372:                           ;   in Loop: Header=BB1567_354 Depth=2
	s_wait_alu 0xfffe
	s_or_b32 exec_lo, exec_lo, s1
	s_delay_alu instid0(SALU_CYCLE_1)
	s_mov_b32 s1, exec_lo
	v_cmpx_gt_u32_e64 s0, v35
	s_cbranch_execnz .LBB1567_380
.LBB1567_373:                           ;   in Loop: Header=BB1567_354 Depth=2
	s_wait_alu 0xfffe
	s_or_b32 exec_lo, exec_lo, s1
	s_delay_alu instid0(SALU_CYCLE_1)
	s_mov_b32 s1, exec_lo
	v_cmpx_gt_u32_e64 s0, v36
	s_cbranch_execnz .LBB1567_381
.LBB1567_374:                           ;   in Loop: Header=BB1567_354 Depth=2
	s_wait_alu 0xfffe
	s_or_b32 exec_lo, exec_lo, s1
	v_cmp_gt_u32_e32 vcc_lo, s0, v37
	s_and_saveexec_b32 s0, vcc_lo
	s_cbranch_execz .LBB1567_353
	s_branch .LBB1567_382
.LBB1567_375:                           ;   in Loop: Header=BB1567_354 Depth=2
	v_xor_b32_e32 v11, -1, v7
	s_delay_alu instid0(VALU_DEP_1) | instskip(NEXT) | instid1(VALU_DEP_1)
	v_and_b32_e32 v11, 1, v11
	v_and_b32_e32 v11, 0xffff, v11
	s_delay_alu instid0(VALU_DEP_1) | instskip(NEXT) | instid1(VALU_DEP_1)
	v_lshrrev_b32_e32 v11, s45, v11
	v_and_b32_e32 v11, s42, v11
	s_delay_alu instid0(VALU_DEP_1) | instskip(SKIP_2) | instid1(SALU_CYCLE_1)
	v_lshl_or_b32 v11, v11, 4, v39
	ds_add_u32 v11, v61
	s_or_b32 exec_lo, exec_lo, s1
	s_mov_b32 s1, exec_lo
	v_cmpx_gt_u32_e64 s0, v29
	s_cbranch_execz .LBB1567_369
.LBB1567_376:                           ;   in Loop: Header=BB1567_354 Depth=2
	v_xor_b32_e32 v11, -1, v10
	s_delay_alu instid0(VALU_DEP_1) | instskip(NEXT) | instid1(VALU_DEP_1)
	v_and_b32_e32 v11, 1, v11
	v_and_b32_e32 v11, 0xffff, v11
	s_delay_alu instid0(VALU_DEP_1) | instskip(NEXT) | instid1(VALU_DEP_1)
	v_lshrrev_b32_e32 v11, s45, v11
	v_and_b32_e32 v11, s42, v11
	s_delay_alu instid0(VALU_DEP_1) | instskip(SKIP_3) | instid1(SALU_CYCLE_1)
	v_lshl_or_b32 v11, v11, 4, v39
	ds_add_u32 v11, v61
	s_wait_alu 0xfffe
	s_or_b32 exec_lo, exec_lo, s1
	s_mov_b32 s1, exec_lo
	v_cmpx_gt_u32_e64 s0, v30
	s_cbranch_execz .LBB1567_370
.LBB1567_377:                           ;   in Loop: Header=BB1567_354 Depth=2
	v_xor_b32_e32 v11, -1, v9
	s_delay_alu instid0(VALU_DEP_1) | instskip(NEXT) | instid1(VALU_DEP_1)
	v_and_b32_e32 v11, 1, v11
	v_and_b32_e32 v11, 0xffff, v11
	s_delay_alu instid0(VALU_DEP_1) | instskip(NEXT) | instid1(VALU_DEP_1)
	v_lshrrev_b32_e32 v11, s45, v11
	v_and_b32_e32 v11, s42, v11
	s_delay_alu instid0(VALU_DEP_1) | instskip(SKIP_3) | instid1(SALU_CYCLE_1)
	v_lshl_or_b32 v11, v11, 4, v39
	ds_add_u32 v11, v61
	s_wait_alu 0xfffe
	s_or_b32 exec_lo, exec_lo, s1
	s_mov_b32 s1, exec_lo
	v_cmpx_gt_u32_e64 s0, v31
	s_cbranch_execz .LBB1567_371
.LBB1567_378:                           ;   in Loop: Header=BB1567_354 Depth=2
	v_xor_b32_e32 v11, -1, v8
	s_delay_alu instid0(VALU_DEP_1) | instskip(NEXT) | instid1(VALU_DEP_1)
	v_and_b32_e32 v11, 1, v11
	v_and_b32_e32 v11, 0xffff, v11
	s_delay_alu instid0(VALU_DEP_1) | instskip(NEXT) | instid1(VALU_DEP_1)
	v_lshrrev_b32_e32 v11, s45, v11
	v_and_b32_e32 v11, s42, v11
	s_delay_alu instid0(VALU_DEP_1) | instskip(SKIP_3) | instid1(SALU_CYCLE_1)
	v_lshl_or_b32 v11, v11, 4, v39
	ds_add_u32 v11, v61
	s_wait_alu 0xfffe
	s_or_b32 exec_lo, exec_lo, s1
	s_mov_b32 s1, exec_lo
	v_cmpx_gt_u32_e64 s0, v34
	s_cbranch_execz .LBB1567_372
.LBB1567_379:                           ;   in Loop: Header=BB1567_354 Depth=2
	v_xor_b32_e32 v11, -1, v6
	s_delay_alu instid0(VALU_DEP_1) | instskip(NEXT) | instid1(VALU_DEP_1)
	v_and_b32_e32 v11, 1, v11
	v_and_b32_e32 v11, 0xffff, v11
	s_delay_alu instid0(VALU_DEP_1) | instskip(NEXT) | instid1(VALU_DEP_1)
	v_lshrrev_b32_e32 v11, s45, v11
	v_and_b32_e32 v11, s42, v11
	s_delay_alu instid0(VALU_DEP_1) | instskip(SKIP_3) | instid1(SALU_CYCLE_1)
	v_lshl_or_b32 v11, v11, 4, v39
	ds_add_u32 v11, v61
	s_wait_alu 0xfffe
	s_or_b32 exec_lo, exec_lo, s1
	s_mov_b32 s1, exec_lo
	v_cmpx_gt_u32_e64 s0, v35
	s_cbranch_execz .LBB1567_373
.LBB1567_380:                           ;   in Loop: Header=BB1567_354 Depth=2
	v_xor_b32_e32 v11, -1, v5
	s_delay_alu instid0(VALU_DEP_1) | instskip(NEXT) | instid1(VALU_DEP_1)
	v_and_b32_e32 v11, 1, v11
	v_and_b32_e32 v11, 0xffff, v11
	s_delay_alu instid0(VALU_DEP_1) | instskip(NEXT) | instid1(VALU_DEP_1)
	v_lshrrev_b32_e32 v11, s45, v11
	v_and_b32_e32 v11, s42, v11
	s_delay_alu instid0(VALU_DEP_1) | instskip(SKIP_3) | instid1(SALU_CYCLE_1)
	v_lshl_or_b32 v11, v11, 4, v39
	ds_add_u32 v11, v61
	s_wait_alu 0xfffe
	s_or_b32 exec_lo, exec_lo, s1
	s_mov_b32 s1, exec_lo
	v_cmpx_gt_u32_e64 s0, v36
	s_cbranch_execz .LBB1567_374
.LBB1567_381:                           ;   in Loop: Header=BB1567_354 Depth=2
	v_xor_b32_e32 v11, -1, v4
	s_delay_alu instid0(VALU_DEP_1) | instskip(NEXT) | instid1(VALU_DEP_1)
	v_and_b32_e32 v11, 1, v11
	v_and_b32_e32 v11, 0xffff, v11
	s_delay_alu instid0(VALU_DEP_1) | instskip(NEXT) | instid1(VALU_DEP_1)
	v_lshrrev_b32_e32 v11, s45, v11
	v_and_b32_e32 v11, s42, v11
	s_delay_alu instid0(VALU_DEP_1)
	v_lshl_or_b32 v11, v11, 4, v39
	ds_add_u32 v11, v61
	s_wait_alu 0xfffe
	s_or_b32 exec_lo, exec_lo, s1
	v_cmp_gt_u32_e32 vcc_lo, s0, v37
	s_and_saveexec_b32 s0, vcc_lo
	s_cbranch_execz .LBB1567_353
.LBB1567_382:                           ;   in Loop: Header=BB1567_354 Depth=2
	v_xor_b32_e32 v11, -1, v2
	s_delay_alu instid0(VALU_DEP_1) | instskip(NEXT) | instid1(VALU_DEP_1)
	v_and_b32_e32 v11, 1, v11
	v_and_b32_e32 v11, 0xffff, v11
	s_delay_alu instid0(VALU_DEP_1) | instskip(NEXT) | instid1(VALU_DEP_1)
	v_lshrrev_b32_e32 v11, s45, v11
	v_and_b32_e32 v11, s42, v11
	s_delay_alu instid0(VALU_DEP_1)
	v_lshl_or_b32 v11, v11, 4, v39
	ds_add_u32 v11, v61
	s_branch .LBB1567_353
.LBB1567_383:                           ;   in Loop: Header=BB1567_354 Depth=2
	s_wait_loadcnt 0x0
	s_wait_alu 0xfffe
	v_add_co_u32 v11, s12, s0, v1
	s_wait_alu 0xf1ff
	v_add_co_ci_u32_e64 v12, null, s1, 0, s12
	global_load_u8 v7, v[11:12], off
	s_or_b32 exec_lo, exec_lo, s11
	s_delay_alu instid0(SALU_CYCLE_1)
	s_mov_b32 s11, exec_lo
	v_cmpx_gt_u32_e64 s9, v29
	s_cbranch_execz .LBB1567_359
.LBB1567_384:                           ;   in Loop: Header=BB1567_354 Depth=2
	v_add_co_u32 v10, s12, s0, v1
	s_wait_loadcnt 0x0
	s_wait_alu 0xf1ff
	v_add_co_ci_u32_e64 v11, null, s1, 0, s12
	global_load_u8 v10, v[10:11], off offset:256
	s_wait_alu 0xfffe
	s_or_b32 exec_lo, exec_lo, s11
	s_delay_alu instid0(SALU_CYCLE_1)
	s_mov_b32 s11, exec_lo
	v_cmpx_gt_u32_e64 s9, v30
	s_cbranch_execz .LBB1567_360
.LBB1567_385:                           ;   in Loop: Header=BB1567_354 Depth=2
	s_wait_loadcnt 0x0
	v_add_co_u32 v11, s12, s0, v1
	s_wait_alu 0xf1ff
	v_add_co_ci_u32_e64 v12, null, s1, 0, s12
	global_load_u8 v9, v[11:12], off offset:512
	s_wait_alu 0xfffe
	s_or_b32 exec_lo, exec_lo, s11
	s_delay_alu instid0(SALU_CYCLE_1)
	s_mov_b32 s11, exec_lo
	v_cmpx_gt_u32_e64 s9, v31
	s_cbranch_execz .LBB1567_361
.LBB1567_386:                           ;   in Loop: Header=BB1567_354 Depth=2
	s_wait_loadcnt 0x0
	v_add_co_u32 v11, s12, s0, v1
	s_wait_alu 0xf1ff
	v_add_co_ci_u32_e64 v12, null, s1, 0, s12
	global_load_u8 v8, v[11:12], off offset:768
	s_wait_alu 0xfffe
	s_or_b32 exec_lo, exec_lo, s11
	s_delay_alu instid0(SALU_CYCLE_1)
	s_mov_b32 s11, exec_lo
	v_cmpx_gt_u32_e64 s9, v34
	s_cbranch_execz .LBB1567_362
.LBB1567_387:                           ;   in Loop: Header=BB1567_354 Depth=2
	s_wait_loadcnt 0x0
	v_add_co_u32 v11, s12, s0, v1
	s_wait_alu 0xf1ff
	v_add_co_ci_u32_e64 v12, null, s1, 0, s12
	global_load_u8 v6, v[11:12], off offset:1024
	s_wait_alu 0xfffe
	s_or_b32 exec_lo, exec_lo, s11
	s_delay_alu instid0(SALU_CYCLE_1)
	s_mov_b32 s11, exec_lo
	v_cmpx_gt_u32_e64 s9, v35
	s_cbranch_execz .LBB1567_363
.LBB1567_388:                           ;   in Loop: Header=BB1567_354 Depth=2
	s_wait_loadcnt 0x0
	v_add_co_u32 v11, s12, s0, v1
	s_wait_alu 0xf1ff
	v_add_co_ci_u32_e64 v12, null, s1, 0, s12
	global_load_u8 v5, v[11:12], off offset:1280
	s_wait_alu 0xfffe
	s_or_b32 exec_lo, exec_lo, s11
	s_delay_alu instid0(SALU_CYCLE_1)
	s_mov_b32 s11, exec_lo
	v_cmpx_gt_u32_e64 s9, v36
	s_cbranch_execz .LBB1567_364
.LBB1567_389:                           ;   in Loop: Header=BB1567_354 Depth=2
	s_wait_loadcnt 0x0
	v_add_co_u32 v11, s12, s0, v1
	s_wait_alu 0xf1ff
	v_add_co_ci_u32_e64 v12, null, s1, 0, s12
	global_load_u8 v4, v[11:12], off offset:1536
	s_wait_alu 0xfffe
	s_or_b32 exec_lo, exec_lo, s11
	s_delay_alu instid0(SALU_CYCLE_1)
	s_mov_b32 s11, exec_lo
	v_cmpx_gt_u32_e64 s9, v37
	s_cbranch_execnz .LBB1567_365
	s_branch .LBB1567_366
.LBB1567_390:                           ;   in Loop: Header=BB1567_20 Depth=1
	v_mov_b32_e32 v2, 0
	s_wait_dscnt 0x0
	s_barrier_signal -1
	s_barrier_wait -1
	global_inv scope:SCOPE_SE
	s_and_saveexec_b32 s0, s2
	s_cbranch_execz .LBB1567_392
; %bb.391:                              ;   in Loop: Header=BB1567_20 Depth=1
	ds_load_2addr_b64 v[4:7], v40 offset1:1
	s_wait_dscnt 0x0
	v_add_nc_u32_e32 v2, v5, v4
	s_delay_alu instid0(VALU_DEP_1)
	v_add3_u32 v2, v2, v6, v7
.LBB1567_392:                           ;   in Loop: Header=BB1567_20 Depth=1
	s_wait_alu 0xfffe
	s_or_b32 exec_lo, exec_lo, s0
	s_delay_alu instid0(VALU_DEP_1)
	v_mov_b32_dpp v4, v2 row_shr:1 row_mask:0xf bank_mask:0xf
	v_cmp_eq_u32_e64 s0, 0, v62
	v_cmp_lt_u32_e64 s1, 1, v62
	v_cmp_lt_u32_e64 s9, 3, v62
	;; [unrolled: 1-line block ×3, first 2 shown]
	v_cmp_eq_u32_e64 s11, 0, v64
	s_wait_alu 0xf1ff
	v_cndmask_b32_e64 v4, v4, 0, s0
	s_delay_alu instid0(VALU_DEP_1) | instskip(NEXT) | instid1(VALU_DEP_1)
	v_add_nc_u32_e32 v2, v4, v2
	v_mov_b32_dpp v4, v2 row_shr:2 row_mask:0xf bank_mask:0xf
	s_delay_alu instid0(VALU_DEP_1) | instskip(NEXT) | instid1(VALU_DEP_1)
	v_cndmask_b32_e64 v4, 0, v4, s1
	v_add_nc_u32_e32 v2, v2, v4
	s_delay_alu instid0(VALU_DEP_1) | instskip(NEXT) | instid1(VALU_DEP_1)
	v_mov_b32_dpp v4, v2 row_shr:4 row_mask:0xf bank_mask:0xf
	v_cndmask_b32_e64 v4, 0, v4, s9
	s_delay_alu instid0(VALU_DEP_1) | instskip(NEXT) | instid1(VALU_DEP_1)
	v_add_nc_u32_e32 v2, v2, v4
	v_mov_b32_dpp v4, v2 row_shr:8 row_mask:0xf bank_mask:0xf
	s_delay_alu instid0(VALU_DEP_1) | instskip(NEXT) | instid1(VALU_DEP_1)
	v_cndmask_b32_e64 v4, 0, v4, s10
	v_add_nc_u32_e32 v2, v2, v4
	ds_swizzle_b32 v4, v2 offset:swizzle(BROADCAST,32,15)
	s_wait_dscnt 0x0
	v_and_b32_e32 v4, v63, v4
	s_delay_alu instid0(VALU_DEP_1)
	v_add_nc_u32_e32 v2, v2, v4
	s_and_saveexec_b32 s12, s3
; %bb.393:                              ;   in Loop: Header=BB1567_20 Depth=1
	ds_store_b32 v41, v2
; %bb.394:                              ;   in Loop: Header=BB1567_20 Depth=1
	s_wait_alu 0xfffe
	s_or_b32 exec_lo, exec_lo, s12
	s_wait_loadcnt_dscnt 0x0
	s_barrier_signal -1
	s_barrier_wait -1
	global_inv scope:SCOPE_SE
	s_and_saveexec_b32 s12, s4
	s_cbranch_execz .LBB1567_396
; %bb.395:                              ;   in Loop: Header=BB1567_20 Depth=1
	ds_load_b32 v4, v42
	v_cmp_ne_u32_e32 vcc_lo, 0, v65
	s_wait_dscnt 0x0
	v_mov_b32_dpp v5, v4 row_shr:1 row_mask:0xf bank_mask:0xf
	s_wait_alu 0xfffd
	s_delay_alu instid0(VALU_DEP_1) | instskip(SKIP_1) | instid1(VALU_DEP_2)
	v_cndmask_b32_e32 v5, 0, v5, vcc_lo
	v_cmp_lt_u32_e32 vcc_lo, 1, v65
	v_add_nc_u32_e32 v4, v5, v4
	s_delay_alu instid0(VALU_DEP_1) | instskip(SKIP_1) | instid1(VALU_DEP_1)
	v_mov_b32_dpp v5, v4 row_shr:2 row_mask:0xf bank_mask:0xf
	s_wait_alu 0xfffd
	v_cndmask_b32_e32 v5, 0, v5, vcc_lo
	v_cmp_lt_u32_e32 vcc_lo, 3, v65
	s_delay_alu instid0(VALU_DEP_2) | instskip(NEXT) | instid1(VALU_DEP_1)
	v_add_nc_u32_e32 v4, v4, v5
	v_mov_b32_dpp v5, v4 row_shr:4 row_mask:0xf bank_mask:0xf
	s_wait_alu 0xfffd
	s_delay_alu instid0(VALU_DEP_1) | instskip(NEXT) | instid1(VALU_DEP_1)
	v_cndmask_b32_e32 v5, 0, v5, vcc_lo
	v_add_nc_u32_e32 v4, v4, v5
	ds_store_b32 v42, v4
.LBB1567_396:                           ;   in Loop: Header=BB1567_20 Depth=1
	s_wait_alu 0xfffe
	s_or_b32 exec_lo, exec_lo, s12
	v_mov_b32_e32 v4, 0
	s_wait_loadcnt_dscnt 0x0
	s_barrier_signal -1
	s_barrier_wait -1
	global_inv scope:SCOPE_SE
	s_and_saveexec_b32 s12, s5
; %bb.397:                              ;   in Loop: Header=BB1567_20 Depth=1
	ds_load_b32 v4, v43
; %bb.398:                              ;   in Loop: Header=BB1567_20 Depth=1
	s_wait_alu 0xfffe
	s_or_b32 exec_lo, exec_lo, s12
	v_cmp_gt_i32_e32 vcc_lo, 0, v67
	s_wait_dscnt 0x0
	v_add_nc_u32_e32 v2, v4, v2
	s_wait_loadcnt 0x0
	s_barrier_signal -1
	s_barrier_wait -1
	s_wait_alu 0xfffd
	v_cndmask_b32_e32 v5, v67, v58, vcc_lo
	global_inv scope:SCOPE_SE
	v_lshlrev_b32_e32 v80, 2, v5
	ds_bpermute_b32 v2, v80, v2
	s_and_saveexec_b32 s12, s2
	s_cbranch_execz .LBB1567_400
; %bb.399:                              ;   in Loop: Header=BB1567_20 Depth=1
	s_wait_dscnt 0x0
	v_cndmask_b32_e64 v2, v2, v4, s8
	s_delay_alu instid0(VALU_DEP_1)
	v_add_nc_u32_e32 v2, s33, v2
	ds_store_b32 v28, v2
.LBB1567_400:                           ;   in Loop: Header=BB1567_20 Depth=1
	s_wait_alu 0xfffe
	s_or_b32 exec_lo, exec_lo, s12
	s_load_b64 s[12:13], s[28:29], 0x0
	v_add_co_u32 v81, vcc_lo, v56, v66
	s_wait_alu 0xfffd
	v_add_co_ci_u32_e64 v82, null, 0, v57, vcc_lo
	v_add_co_u32 v83, vcc_lo, v59, v58
	s_wait_alu 0xfffd
	v_add_co_ci_u32_e64 v84, null, 0, v60, vcc_lo
	s_mov_b32 s43, s47
                                        ; implicit-def: $vgpr6_vgpr7
                                        ; implicit-def: $vgpr8_vgpr9
                                        ; implicit-def: $vgpr10_vgpr11
                                        ; implicit-def: $vgpr12_vgpr13
                                        ; implicit-def: $vgpr14_vgpr15
                                        ; implicit-def: $vgpr16_vgpr17
                                        ; implicit-def: $vgpr18_vgpr19
                                        ; implicit-def: $vgpr86
                                        ; implicit-def: $vgpr87
                                        ; implicit-def: $vgpr88
                                        ; implicit-def: $vgpr89
                                        ; implicit-def: $vgpr90
                                        ; implicit-def: $vgpr91
                                        ; implicit-def: $vgpr92
                                        ; implicit-def: $vgpr93
	s_wait_kmcnt 0x0
	s_cmp_lt_u32 ttmp7, s13
	s_cselect_b32 s30, 14, 20
	s_cmp_lt_u32 ttmp9, s12
	s_wait_alu 0xfffe
	s_add_nc_u64 s[14:15], s[28:29], s[30:31]
	s_cselect_b32 s30, 12, 18
	s_load_u16 s14, s[14:15], 0x0
	s_add_nc_u64 s[12:13], s[28:29], s[30:31]
	s_mov_b32 s30, s33
	s_load_u16 s12, s[12:13], 0x0
	v_cmp_lt_u32_e64 s13, 1, v65
	s_wait_dscnt 0x0
	s_wait_kmcnt 0x0
	v_mad_u32_u24 v2, v44, s14, v0
	v_cmp_lt_u32_e64 s14, 3, v65
	s_delay_alu instid0(VALU_DEP_2) | instskip(SKIP_1) | instid1(VALU_DEP_2)
	v_mad_co_u64_u32 v[4:5], null, v2, s12, v[1:2]
	v_cmp_eq_u32_e64 s12, 0, v65
	v_lshrrev_b32_e32 v2, 3, v4
                                        ; implicit-def: $vgpr4_vgpr5
	s_delay_alu instid0(VALU_DEP_1)
	v_and_b32_e32 v85, 0x1ffffffc, v2
	s_branch .LBB1567_402
.LBB1567_401:                           ;   in Loop: Header=BB1567_402 Depth=2
	s_wait_alu 0xfffe
	s_or_b32 exec_lo, exec_lo, s15
	s_addk_co_i32 s43, 0xf800
	s_cmp_lt_u32 s44, s34
	s_mov_b32 s30, s44
	s_cbranch_scc0 .LBB1567_514
.LBB1567_402:                           ;   Parent Loop BB1567_20 Depth=1
                                        ; =>  This Inner Loop Header: Depth=2
	s_wait_alu 0xfffe
	s_add_co_i32 s44, s30, 0x800
	s_wait_alu 0xfffe
	s_cmp_gt_u32 s44, s34
	s_cbranch_scc1 .LBB1567_404
; %bb.403:                              ;   in Loop: Header=BB1567_402 Depth=2
	v_add_co_u32 v20, vcc_lo, v83, s30
	s_wait_alu 0xfffd
	v_add_co_ci_u32_e64 v21, null, 0, v84, vcc_lo
	s_mov_b32 s15, -1
	s_clause 0x6
	global_load_u8 v25, v[20:21], off offset:192
	global_load_u8 v24, v[20:21], off offset:160
	;; [unrolled: 1-line block ×6, first 2 shown]
	global_load_u8 v27, v[20:21], off
	s_movk_i32 s16, 0x800
                                        ; implicit-def: $vgpr96
	s_cbranch_execz .LBB1567_405
	s_branch .LBB1567_415
.LBB1567_404:                           ;   in Loop: Header=BB1567_402 Depth=2
	s_mov_b32 s15, 0
                                        ; implicit-def: $vgpr27
                                        ; implicit-def: $vgpr95
                                        ; implicit-def: $vgpr22
                                        ; implicit-def: $vgpr26
                                        ; implicit-def: $vgpr23
                                        ; implicit-def: $vgpr24
                                        ; implicit-def: $vgpr25
	s_movk_i32 s16, 0x800
                                        ; implicit-def: $vgpr96
.LBB1567_405:                           ;   in Loop: Header=BB1567_402 Depth=2
	v_add_co_u32 v20, vcc_lo, v83, s30
	s_wait_alu 0xfffd
	v_add_co_ci_u32_e64 v21, null, 0, v84, vcc_lo
	s_wait_loadcnt 0x0
	v_dual_mov_b32 v22, 0 :: v_dual_mov_b32 v27, 0
	v_dual_mov_b32 v26, 0 :: v_dual_mov_b32 v23, 0
	;; [unrolled: 1-line block ×3, first 2 shown]
	v_mov_b32_e32 v96, 0
	s_mov_b32 s15, exec_lo
	v_cmpx_gt_u32_e64 s43, v68
	s_cbranch_execz .LBB1567_407
; %bb.406:                              ;   in Loop: Header=BB1567_402 Depth=2
	global_load_u8 v27, v[20:21], off
	v_dual_mov_b32 v26, 0 :: v_dual_mov_b32 v23, 0
	v_dual_mov_b32 v24, 0 :: v_dual_mov_b32 v25, 0
	v_mov_b32_e32 v96, 0
.LBB1567_407:                           ;   in Loop: Header=BB1567_402 Depth=2
	s_wait_alu 0xfffe
	s_or_b32 exec_lo, exec_lo, s15
	v_mov_b32_e32 v95, v22
	s_mov_b32 s15, exec_lo
	v_cmpx_gt_u32_e64 s43, v71
	s_cbranch_execnz .LBB1567_509
; %bb.408:                              ;   in Loop: Header=BB1567_402 Depth=2
	s_wait_alu 0xfffe
	s_or_b32 exec_lo, exec_lo, s15
	s_delay_alu instid0(SALU_CYCLE_1)
	s_mov_b32 s15, exec_lo
	v_cmpx_gt_u32_e64 s43, v72
	s_cbranch_execnz .LBB1567_510
.LBB1567_409:                           ;   in Loop: Header=BB1567_402 Depth=2
	s_wait_alu 0xfffe
	s_or_b32 exec_lo, exec_lo, s15
	s_delay_alu instid0(SALU_CYCLE_1)
	s_mov_b32 s15, exec_lo
	v_cmpx_gt_u32_e64 s43, v73
	s_cbranch_execnz .LBB1567_511
.LBB1567_410:                           ;   in Loop: Header=BB1567_402 Depth=2
	s_wait_alu 0xfffe
	s_or_b32 exec_lo, exec_lo, s15
	s_delay_alu instid0(SALU_CYCLE_1)
	s_mov_b32 s15, exec_lo
	v_cmpx_gt_u32_e64 s43, v74
	s_cbranch_execnz .LBB1567_512
.LBB1567_411:                           ;   in Loop: Header=BB1567_402 Depth=2
	s_wait_alu 0xfffe
	s_or_b32 exec_lo, exec_lo, s15
	s_delay_alu instid0(SALU_CYCLE_1)
	s_mov_b32 s15, exec_lo
	v_cmpx_gt_u32_e64 s43, v75
	s_cbranch_execnz .LBB1567_513
.LBB1567_412:                           ;   in Loop: Header=BB1567_402 Depth=2
	s_wait_alu 0xfffe
	s_or_b32 exec_lo, exec_lo, s15
	s_delay_alu instid0(SALU_CYCLE_1)
	s_mov_b32 s15, exec_lo
	v_cmpx_gt_u32_e64 s43, v76
	s_cbranch_execz .LBB1567_414
.LBB1567_413:                           ;   in Loop: Header=BB1567_402 Depth=2
	global_load_u8 v25, v[20:21], off offset:192
.LBB1567_414:                           ;   in Loop: Header=BB1567_402 Depth=2
	s_wait_alu 0xfffe
	s_or_b32 exec_lo, exec_lo, s15
	v_cmp_gt_u32_e64 s15, s43, v77
	s_sub_co_i32 s16, s34, s30
.LBB1567_415:                           ;   in Loop: Header=BB1567_402 Depth=2
	v_mov_b32_e32 v2, s43
	s_wait_alu 0xfffe
	s_and_saveexec_b32 s17, s15
	s_cbranch_execz .LBB1567_417
; %bb.416:                              ;   in Loop: Header=BB1567_402 Depth=2
	v_add_co_u32 v20, vcc_lo, v83, s30
	s_wait_alu 0xfffd
	v_add_co_ci_u32_e64 v21, null, s31, v84, vcc_lo
	v_mov_b32_e32 v2, s16
	global_load_u8 v96, v[20:21], off offset:224
.LBB1567_417:                           ;   in Loop: Header=BB1567_402 Depth=2
	s_wait_alu 0xfffe
	s_or_b32 exec_lo, exec_lo, s17
	s_wait_loadcnt 0x0
	v_and_b32_e32 v20, 1, v27
	v_and_b32_e32 v22, 1, v22
	;; [unrolled: 1-line block ×5, first 2 shown]
	v_cmp_eq_u32_e32 vcc_lo, 1, v20
	v_and_b32_e32 v25, 1, v25
	v_and_b32_e32 v96, 1, v96
	v_add_nc_u32_e32 v97, 0x420, v45
	v_add_nc_u32_e32 v98, 0x428, v45
	s_xor_b32 s15, vcc_lo, -1
	v_add_nc_u32_e32 v99, 0x430, v45
	s_wait_alu 0xfffe
	v_cndmask_b32_e64 v94, 0, 1, s15
	v_add_nc_u32_e32 v100, 0x438, v45
	v_cmp_eq_u32_e64 s19, 1, v22
	v_cmp_eq_u32_e64 s18, 1, v26
	;; [unrolled: 1-line block ×3, first 2 shown]
	v_lshrrev_b32_e32 v20, s45, v94
	v_cmp_eq_u32_e64 s16, 1, v24
	ds_store_2addr_b32 v100, v3, v3 offset1:1
	ds_store_2addr_b32 v97, v3, v3 offset1:1
	;; [unrolled: 1-line block ×4, first 2 shown]
	ds_store_b32 v45, v3 offset:1088
	s_wait_dscnt 0x0
	v_and_b32_e32 v21, s42, v20
	v_and_b32_e32 v20, 1, v95
	s_barrier_signal -1
	s_barrier_wait -1
	global_inv scope:SCOPE_SE
	v_add_co_u32 v27, s15, v21, -1
	s_wait_alu 0xf1ff
	v_cndmask_b32_e64 v95, 0, 1, s15
	v_cmp_eq_u32_e64 s20, 1, v20
	v_mul_u32_u24_e32 v21, 36, v21
	v_cmp_eq_u32_e64 s15, 1, v25
	s_delay_alu instid0(VALU_DEP_4) | instskip(NEXT) | instid1(VALU_DEP_3)
	v_cmp_ne_u32_e32 vcc_lo, 0, v95
	; wave barrier
	v_add_nc_u32_e32 v102, v85, v21
	s_wait_alu 0xfffd
	v_xor_b32_e32 v27, vcc_lo, v27
	v_cmp_eq_u32_e32 vcc_lo, 1, v96
	s_delay_alu instid0(VALU_DEP_2) | instskip(NEXT) | instid1(VALU_DEP_1)
	v_and_b32_e32 v20, exec_lo, v27
	v_mbcnt_lo_u32_b32 v95, v20, 0
	v_cmp_ne_u32_e64 s22, 0, v20
	s_delay_alu instid0(VALU_DEP_2)
	v_cmp_eq_u32_e64 s21, 0, v95
	s_and_b32 s22, s22, s21
	s_wait_alu 0xfffe
	s_and_saveexec_b32 s21, s22
; %bb.418:                              ;   in Loop: Header=BB1567_402 Depth=2
	v_bcnt_u32_b32 v20, v20, 0
	ds_store_b32 v102, v20 offset:1056
; %bb.419:                              ;   in Loop: Header=BB1567_402 Depth=2
	s_wait_alu 0xfffe
	s_or_b32 exec_lo, exec_lo, s21
	s_xor_b32 s20, s20, -1
	s_wait_alu 0xfffe
	v_cndmask_b32_e64 v96, 0, 1, s20
	; wave barrier
	s_delay_alu instid0(VALU_DEP_1) | instskip(NEXT) | instid1(VALU_DEP_1)
	v_lshrrev_b32_e32 v20, s45, v96
	v_and_b32_e32 v21, s42, v20
	s_delay_alu instid0(VALU_DEP_1) | instskip(SKIP_2) | instid1(VALU_DEP_1)
	v_add_co_u32 v20, s20, v21, -1
	s_wait_alu 0xf1ff
	v_cndmask_b32_e64 v22, 0, 1, s20
	v_cmp_ne_u32_e64 s20, 0, v22
	v_mad_u32_u24 v22, v21, 36, v85
	v_mul_u32_u24_e32 v21, 36, v21
	s_wait_alu 0xf1ff
	s_delay_alu instid0(VALU_DEP_3) | instskip(SKIP_3) | instid1(VALU_DEP_1)
	v_xor_b32_e32 v20, s20, v20
	ds_load_b32 v101, v22 offset:1056
	v_add_nc_u32_e32 v106, v85, v21
	; wave barrier
	v_and_b32_e32 v20, exec_lo, v20
	v_mbcnt_lo_u32_b32 v103, v20, 0
	v_cmp_ne_u32_e64 s21, 0, v20
	s_delay_alu instid0(VALU_DEP_2)
	v_cmp_eq_u32_e64 s20, 0, v103
	s_and_b32 s21, s21, s20
	s_wait_alu 0xfffe
	s_and_saveexec_b32 s20, s21
	s_cbranch_execz .LBB1567_421
; %bb.420:                              ;   in Loop: Header=BB1567_402 Depth=2
	s_wait_dscnt 0x0
	v_bcnt_u32_b32 v20, v20, v101
	ds_store_b32 v106, v20 offset:1056
.LBB1567_421:                           ;   in Loop: Header=BB1567_402 Depth=2
	s_wait_alu 0xfffe
	s_or_b32 exec_lo, exec_lo, s20
	s_xor_b32 s19, s19, -1
	s_wait_alu 0xfffe
	v_cndmask_b32_e64 v104, 0, 1, s19
	; wave barrier
	s_delay_alu instid0(VALU_DEP_1) | instskip(NEXT) | instid1(VALU_DEP_1)
	v_lshrrev_b32_e32 v20, s45, v104
	v_and_b32_e32 v21, s42, v20
	s_delay_alu instid0(VALU_DEP_1) | instskip(SKIP_2) | instid1(VALU_DEP_1)
	v_add_co_u32 v20, s19, v21, -1
	s_wait_alu 0xf1ff
	v_cndmask_b32_e64 v22, 0, 1, s19
	v_cmp_ne_u32_e64 s19, 0, v22
	v_mad_u32_u24 v22, v21, 36, v85
	v_mul_u32_u24_e32 v21, 36, v21
	s_wait_alu 0xf1ff
	s_delay_alu instid0(VALU_DEP_3) | instskip(SKIP_3) | instid1(VALU_DEP_1)
	v_xor_b32_e32 v20, s19, v20
	ds_load_b32 v105, v22 offset:1056
	v_add_nc_u32_e32 v110, v85, v21
	; wave barrier
	v_and_b32_e32 v20, exec_lo, v20
	v_mbcnt_lo_u32_b32 v107, v20, 0
	v_cmp_ne_u32_e64 s20, 0, v20
	s_delay_alu instid0(VALU_DEP_2)
	v_cmp_eq_u32_e64 s19, 0, v107
	s_and_b32 s20, s20, s19
	s_wait_alu 0xfffe
	s_and_saveexec_b32 s19, s20
	s_cbranch_execz .LBB1567_423
; %bb.422:                              ;   in Loop: Header=BB1567_402 Depth=2
	s_wait_dscnt 0x0
	v_bcnt_u32_b32 v20, v20, v105
	ds_store_b32 v110, v20 offset:1056
.LBB1567_423:                           ;   in Loop: Header=BB1567_402 Depth=2
	;; [unrolled: 36-line block ×6, first 2 shown]
	s_wait_alu 0xfffe
	s_or_b32 exec_lo, exec_lo, s15
	s_xor_b32 s15, vcc_lo, -1
	s_wait_alu 0xfffe
	v_cndmask_b32_e64 v124, 0, 1, s15
	; wave barrier
	s_delay_alu instid0(VALU_DEP_1) | instskip(NEXT) | instid1(VALU_DEP_1)
	v_lshrrev_b32_e32 v20, s45, v124
	v_and_b32_e32 v21, s42, v20
	s_delay_alu instid0(VALU_DEP_1) | instskip(SKIP_2) | instid1(VALU_DEP_1)
	v_add_co_u32 v20, s15, v21, -1
	s_wait_alu 0xf1ff
	v_cndmask_b32_e64 v22, 0, 1, s15
	v_cmp_ne_u32_e32 vcc_lo, 0, v22
	v_mad_u32_u24 v22, v21, 36, v85
	v_mul_u32_u24_e32 v21, 36, v21
	s_wait_alu 0xfffd
	v_xor_b32_e32 v20, vcc_lo, v20
	ds_load_b32 v125, v22 offset:1056
	v_add_nc_u32_e32 v128, v85, v21
	; wave barrier
	v_and_b32_e32 v20, exec_lo, v20
	s_delay_alu instid0(VALU_DEP_1) | instskip(SKIP_1) | instid1(VALU_DEP_2)
	v_mbcnt_lo_u32_b32 v127, v20, 0
	v_cmp_ne_u32_e64 s15, 0, v20
	v_cmp_eq_u32_e32 vcc_lo, 0, v127
	s_and_b32 s16, s15, vcc_lo
	s_wait_alu 0xfffe
	s_and_saveexec_b32 s15, s16
	s_cbranch_execz .LBB1567_433
; %bb.432:                              ;   in Loop: Header=BB1567_402 Depth=2
	s_wait_dscnt 0x0
	v_bcnt_u32_b32 v20, v20, v125
	ds_store_b32 v128, v20 offset:1056
.LBB1567_433:                           ;   in Loop: Header=BB1567_402 Depth=2
	s_wait_alu 0xfffe
	s_or_b32 exec_lo, exec_lo, s15
	; wave barrier
	s_wait_loadcnt_dscnt 0x0
	s_barrier_signal -1
	s_barrier_wait -1
	global_inv scope:SCOPE_SE
	ds_load_2addr_b32 v[26:27], v97 offset1:1
	ds_load_2addr_b32 v[24:25], v98 offset1:1
	;; [unrolled: 1-line block ×4, first 2 shown]
	ds_load_b32 v129, v45 offset:1088
	s_wait_dscnt 0x3
	v_add3_u32 v130, v27, v26, v24
	s_wait_dscnt 0x2
	s_delay_alu instid0(VALU_DEP_1) | instskip(SKIP_1) | instid1(VALU_DEP_1)
	v_add3_u32 v130, v130, v25, v22
	s_wait_dscnt 0x1
	v_add3_u32 v130, v130, v23, v20
	s_wait_dscnt 0x0
	s_delay_alu instid0(VALU_DEP_1) | instskip(NEXT) | instid1(VALU_DEP_1)
	v_add3_u32 v129, v130, v21, v129
	v_mov_b32_dpp v130, v129 row_shr:1 row_mask:0xf bank_mask:0xf
	s_delay_alu instid0(VALU_DEP_1) | instskip(NEXT) | instid1(VALU_DEP_1)
	v_cndmask_b32_e64 v130, v130, 0, s0
	v_add_nc_u32_e32 v129, v130, v129
	s_delay_alu instid0(VALU_DEP_1) | instskip(NEXT) | instid1(VALU_DEP_1)
	v_mov_b32_dpp v130, v129 row_shr:2 row_mask:0xf bank_mask:0xf
	v_cndmask_b32_e64 v130, 0, v130, s1
	s_delay_alu instid0(VALU_DEP_1) | instskip(NEXT) | instid1(VALU_DEP_1)
	v_add_nc_u32_e32 v129, v129, v130
	v_mov_b32_dpp v130, v129 row_shr:4 row_mask:0xf bank_mask:0xf
	s_delay_alu instid0(VALU_DEP_1) | instskip(NEXT) | instid1(VALU_DEP_1)
	v_cndmask_b32_e64 v130, 0, v130, s9
	v_add_nc_u32_e32 v129, v129, v130
	s_delay_alu instid0(VALU_DEP_1) | instskip(NEXT) | instid1(VALU_DEP_1)
	v_mov_b32_dpp v130, v129 row_shr:8 row_mask:0xf bank_mask:0xf
	v_cndmask_b32_e64 v130, 0, v130, s10
	s_delay_alu instid0(VALU_DEP_1) | instskip(SKIP_3) | instid1(VALU_DEP_1)
	v_add_nc_u32_e32 v129, v129, v130
	ds_swizzle_b32 v130, v129 offset:swizzle(BROADCAST,32,15)
	s_wait_dscnt 0x0
	v_cndmask_b32_e64 v130, v130, 0, s11
	v_add_nc_u32_e32 v129, v129, v130
	s_and_saveexec_b32 s15, s3
; %bb.434:                              ;   in Loop: Header=BB1567_402 Depth=2
	ds_store_b32 v38, v129 offset:1024
; %bb.435:                              ;   in Loop: Header=BB1567_402 Depth=2
	s_wait_alu 0xfffe
	s_or_b32 exec_lo, exec_lo, s15
	s_wait_loadcnt_dscnt 0x0
	s_barrier_signal -1
	s_barrier_wait -1
	global_inv scope:SCOPE_SE
	s_and_saveexec_b32 s15, s4
	s_cbranch_execz .LBB1567_437
; %bb.436:                              ;   in Loop: Header=BB1567_402 Depth=2
	v_add_nc_u32_e32 v130, v45, v46
	ds_load_b32 v131, v130 offset:1024
	s_wait_dscnt 0x0
	v_mov_b32_dpp v132, v131 row_shr:1 row_mask:0xf bank_mask:0xf
	s_delay_alu instid0(VALU_DEP_1) | instskip(NEXT) | instid1(VALU_DEP_1)
	v_cndmask_b32_e64 v132, v132, 0, s12
	v_add_nc_u32_e32 v131, v132, v131
	s_delay_alu instid0(VALU_DEP_1) | instskip(NEXT) | instid1(VALU_DEP_1)
	v_mov_b32_dpp v132, v131 row_shr:2 row_mask:0xf bank_mask:0xf
	v_cndmask_b32_e64 v132, 0, v132, s13
	s_delay_alu instid0(VALU_DEP_1) | instskip(NEXT) | instid1(VALU_DEP_1)
	v_add_nc_u32_e32 v131, v131, v132
	v_mov_b32_dpp v132, v131 row_shr:4 row_mask:0xf bank_mask:0xf
	s_delay_alu instid0(VALU_DEP_1) | instskip(NEXT) | instid1(VALU_DEP_1)
	v_cndmask_b32_e64 v132, 0, v132, s14
	v_add_nc_u32_e32 v131, v131, v132
	ds_store_b32 v130, v131 offset:1024
.LBB1567_437:                           ;   in Loop: Header=BB1567_402 Depth=2
	s_wait_alu 0xfffe
	s_or_b32 exec_lo, exec_lo, s15
	v_mov_b32_e32 v130, 0
	s_wait_loadcnt_dscnt 0x0
	s_barrier_signal -1
	s_barrier_wait -1
	global_inv scope:SCOPE_SE
	s_and_saveexec_b32 s15, s5
; %bb.438:                              ;   in Loop: Header=BB1567_402 Depth=2
	ds_load_b32 v130, v38 offset:1020
; %bb.439:                              ;   in Loop: Header=BB1567_402 Depth=2
	s_wait_alu 0xfffe
	s_or_b32 exec_lo, exec_lo, s15
	s_wait_dscnt 0x0
	v_add_nc_u32_e32 v129, v130, v129
	ds_bpermute_b32 v129, v80, v129
	s_wait_dscnt 0x0
	v_cndmask_b32_e64 v129, v129, v130, s8
	s_delay_alu instid0(VALU_DEP_1) | instskip(NEXT) | instid1(VALU_DEP_1)
	v_cndmask_b32_e64 v129, v129, 0, s6
	v_add_nc_u32_e32 v26, v129, v26
	s_delay_alu instid0(VALU_DEP_1) | instskip(NEXT) | instid1(VALU_DEP_1)
	v_add_nc_u32_e32 v27, v26, v27
	v_add_nc_u32_e32 v24, v27, v24
	s_delay_alu instid0(VALU_DEP_1) | instskip(NEXT) | instid1(VALU_DEP_1)
	v_add_nc_u32_e32 v25, v24, v25
	;; [unrolled: 3-line block ×3, first 2 shown]
	v_add_nc_u32_e32 v20, v23, v20
	s_delay_alu instid0(VALU_DEP_1)
	v_add_nc_u32_e32 v21, v20, v21
	ds_store_2addr_b32 v100, v23, v20 offset1:1
	ds_store_2addr_b32 v97, v129, v26 offset1:1
	;; [unrolled: 1-line block ×4, first 2 shown]
	ds_store_b32 v45, v21 offset:1088
	s_wait_loadcnt_dscnt 0x0
	s_barrier_signal -1
	s_barrier_wait -1
	global_inv scope:SCOPE_SE
	ds_load_b32 v20, v102 offset:1056
	ds_load_b32 v21, v106 offset:1056
	;; [unrolled: 1-line block ×9, first 2 shown]
	v_mov_b32_e32 v22, 0x800
	s_and_saveexec_b32 s15, s7
; %bb.440:                              ;   in Loop: Header=BB1567_402 Depth=2
	ds_load_b32 v22, v45 offset:1092
; %bb.441:                              ;   in Loop: Header=BB1567_402 Depth=2
	s_wait_alu 0xfffe
	s_or_b32 exec_lo, exec_lo, s15
	s_wait_loadcnt_dscnt 0x0
	s_barrier_signal -1
	s_barrier_wait -1
	global_inv scope:SCOPE_SE
	s_and_saveexec_b32 s15, s2
	s_cbranch_execz .LBB1567_443
; %bb.442:                              ;   in Loop: Header=BB1567_402 Depth=2
	ds_load_b32 v27, v28
	s_wait_dscnt 0x0
	v_sub_nc_u32_e32 v26, v27, v26
	ds_store_b32 v28, v26
.LBB1567_443:                           ;   in Loop: Header=BB1567_402 Depth=2
	s_wait_alu 0xfffe
	s_or_b32 exec_lo, exec_lo, s15
	v_add_nc_u32_e32 v98, v20, v95
	v_add3_u32 v97, v103, v101, v21
	v_add3_u32 v95, v107, v105, v23
	;; [unrolled: 1-line block ×7, first 2 shown]
	v_cmp_lt_u32_e64 s20, v1, v2
	ds_store_b8 v98, v94 offset:1024
	ds_store_b8 v97, v96 offset:1024
	;; [unrolled: 1-line block ×8, first 2 shown]
	s_wait_loadcnt_dscnt 0x0
	s_barrier_signal -1
	s_barrier_wait -1
	global_inv scope:SCOPE_SE
	s_and_saveexec_b32 s15, s20
	s_cbranch_execnz .LBB1567_480
; %bb.444:                              ;   in Loop: Header=BB1567_402 Depth=2
	s_wait_alu 0xfffe
	s_or_b32 exec_lo, exec_lo, s15
	v_cmp_lt_u32_e64 s21, v29, v2
	s_and_saveexec_b32 s15, s21
	s_cbranch_execnz .LBB1567_481
.LBB1567_445:                           ;   in Loop: Header=BB1567_402 Depth=2
	s_wait_alu 0xfffe
	s_or_b32 exec_lo, exec_lo, s15
	v_cmp_lt_u32_e64 s19, v30, v2
	s_and_saveexec_b32 s15, s19
	s_cbranch_execnz .LBB1567_482
.LBB1567_446:                           ;   in Loop: Header=BB1567_402 Depth=2
	s_wait_alu 0xfffe
	s_or_b32 exec_lo, exec_lo, s15
	v_cmp_lt_u32_e64 s18, v31, v2
	s_and_saveexec_b32 s15, s18
	s_cbranch_execnz .LBB1567_483
.LBB1567_447:                           ;   in Loop: Header=BB1567_402 Depth=2
	s_wait_alu 0xfffe
	s_or_b32 exec_lo, exec_lo, s15
	v_cmp_lt_u32_e64 s17, v34, v2
	s_and_saveexec_b32 s15, s17
	s_cbranch_execnz .LBB1567_484
.LBB1567_448:                           ;   in Loop: Header=BB1567_402 Depth=2
	s_wait_alu 0xfffe
	s_or_b32 exec_lo, exec_lo, s15
	v_cmp_lt_u32_e64 s16, v35, v2
	s_and_saveexec_b32 s15, s16
	s_cbranch_execnz .LBB1567_485
.LBB1567_449:                           ;   in Loop: Header=BB1567_402 Depth=2
	s_wait_alu 0xfffe
	s_or_b32 exec_lo, exec_lo, s15
	v_cmp_lt_u32_e64 s15, v36, v2
	s_and_saveexec_b32 s22, s15
	s_cbranch_execnz .LBB1567_486
.LBB1567_450:                           ;   in Loop: Header=BB1567_402 Depth=2
	s_wait_alu 0xfffe
	s_or_b32 exec_lo, exec_lo, s22
	v_cmp_lt_u32_e32 vcc_lo, v37, v2
	s_and_saveexec_b32 s22, vcc_lo
	s_cbranch_execz .LBB1567_452
.LBB1567_451:                           ;   in Loop: Header=BB1567_402 Depth=2
	ds_load_u8 v20, v1 offset:2816
	s_wait_dscnt 0x0
	v_and_b32_e32 v21, 1, v20
	v_xor_b32_e32 v20, 1, v20
	s_delay_alu instid0(VALU_DEP_2) | instskip(NEXT) | instid1(VALU_DEP_1)
	v_lshrrev_b32_e32 v21, s45, v21
	v_and_b32_e32 v21, s42, v21
	s_delay_alu instid0(VALU_DEP_1)
	v_lshlrev_b32_e32 v21, 2, v21
	ds_load_b32 v21, v21
	s_wait_dscnt 0x0
	v_add_nc_u32_e32 v21, v21, v37
	global_store_b8 v21, v20, s[38:39]
.LBB1567_452:                           ;   in Loop: Header=BB1567_402 Depth=2
	s_wait_alu 0xfffe
	s_or_b32 exec_lo, exec_lo, s22
	s_lshl_b64 s[48:49], s[30:31], 3
	s_wait_alu 0xfffe
	v_add_co_u32 v20, s22, v81, s48
	s_wait_alu 0xf1ff
	v_add_co_ci_u32_e64 v21, null, s49, v82, s22
	v_cmp_lt_u32_e64 s22, v68, v2
	s_and_saveexec_b32 s30, s22
	s_wait_alu 0xfffe
	s_xor_b32 s22, exec_lo, s30
	s_cbranch_execnz .LBB1567_487
; %bb.453:                              ;   in Loop: Header=BB1567_402 Depth=2
	s_wait_alu 0xfffe
	s_or_b32 exec_lo, exec_lo, s22
	s_delay_alu instid0(SALU_CYCLE_1)
	s_mov_b32 s30, exec_lo
	v_cmpx_lt_u32_e64 v71, v2
	s_cbranch_execnz .LBB1567_488
.LBB1567_454:                           ;   in Loop: Header=BB1567_402 Depth=2
	s_wait_alu 0xfffe
	s_or_b32 exec_lo, exec_lo, s30
	s_delay_alu instid0(SALU_CYCLE_1)
	s_mov_b32 s30, exec_lo
	v_cmpx_lt_u32_e64 v72, v2
	s_cbranch_execnz .LBB1567_489
.LBB1567_455:                           ;   in Loop: Header=BB1567_402 Depth=2
	s_wait_alu 0xfffe
	s_or_b32 exec_lo, exec_lo, s30
	s_delay_alu instid0(SALU_CYCLE_1)
	s_mov_b32 s30, exec_lo
	v_cmpx_lt_u32_e64 v73, v2
	s_cbranch_execnz .LBB1567_490
.LBB1567_456:                           ;   in Loop: Header=BB1567_402 Depth=2
	s_wait_alu 0xfffe
	s_or_b32 exec_lo, exec_lo, s30
	s_delay_alu instid0(SALU_CYCLE_1)
	s_mov_b32 s30, exec_lo
	v_cmpx_lt_u32_e64 v74, v2
	s_cbranch_execnz .LBB1567_491
.LBB1567_457:                           ;   in Loop: Header=BB1567_402 Depth=2
	s_wait_alu 0xfffe
	s_or_b32 exec_lo, exec_lo, s30
	s_delay_alu instid0(SALU_CYCLE_1)
	s_mov_b32 s30, exec_lo
	v_cmpx_lt_u32_e64 v75, v2
	s_cbranch_execnz .LBB1567_492
.LBB1567_458:                           ;   in Loop: Header=BB1567_402 Depth=2
	s_wait_alu 0xfffe
	s_or_b32 exec_lo, exec_lo, s30
	s_delay_alu instid0(SALU_CYCLE_1)
	s_mov_b32 s30, exec_lo
	v_cmpx_lt_u32_e64 v76, v2
	s_cbranch_execnz .LBB1567_493
.LBB1567_459:                           ;   in Loop: Header=BB1567_402 Depth=2
	s_wait_alu 0xfffe
	s_or_b32 exec_lo, exec_lo, s30
	s_delay_alu instid0(SALU_CYCLE_1)
	s_mov_b32 s30, exec_lo
	v_cmpx_lt_u32_e64 v77, v2
	s_cbranch_execnz .LBB1567_494
.LBB1567_460:                           ;   in Loop: Header=BB1567_402 Depth=2
	s_wait_alu 0xfffe
	s_or_b32 exec_lo, exec_lo, s30
	s_and_saveexec_b32 s22, s20
	s_cbranch_execnz .LBB1567_495
.LBB1567_461:                           ;   in Loop: Header=BB1567_402 Depth=2
	s_wait_alu 0xfffe
	s_or_b32 exec_lo, exec_lo, s22
	s_and_saveexec_b32 s22, s21
	s_cbranch_execnz .LBB1567_496
.LBB1567_462:                           ;   in Loop: Header=BB1567_402 Depth=2
	s_wait_alu 0xfffe
	s_or_b32 exec_lo, exec_lo, s22
	s_and_saveexec_b32 s22, s19
	s_cbranch_execnz .LBB1567_497
.LBB1567_463:                           ;   in Loop: Header=BB1567_402 Depth=2
	s_wait_alu 0xfffe
	s_or_b32 exec_lo, exec_lo, s22
	s_and_saveexec_b32 s22, s18
	s_cbranch_execnz .LBB1567_498
.LBB1567_464:                           ;   in Loop: Header=BB1567_402 Depth=2
	s_wait_alu 0xfffe
	s_or_b32 exec_lo, exec_lo, s22
	s_and_saveexec_b32 s22, s17
	s_cbranch_execnz .LBB1567_499
.LBB1567_465:                           ;   in Loop: Header=BB1567_402 Depth=2
	s_wait_alu 0xfffe
	s_or_b32 exec_lo, exec_lo, s22
	s_and_saveexec_b32 s22, s16
	s_cbranch_execnz .LBB1567_500
.LBB1567_466:                           ;   in Loop: Header=BB1567_402 Depth=2
	s_wait_alu 0xfffe
	s_or_b32 exec_lo, exec_lo, s22
	s_and_saveexec_b32 s22, s15
	s_cbranch_execnz .LBB1567_501
.LBB1567_467:                           ;   in Loop: Header=BB1567_402 Depth=2
	s_wait_alu 0xfffe
	s_or_b32 exec_lo, exec_lo, s22
	s_and_saveexec_b32 s22, vcc_lo
	s_cbranch_execz .LBB1567_469
.LBB1567_468:                           ;   in Loop: Header=BB1567_402 Depth=2
	ds_load_u8 v2, v1 offset:2816
	s_wait_dscnt 0x0
	v_lshrrev_b32_e32 v2, s45, v2
	s_delay_alu instid0(VALU_DEP_1)
	v_and_b32_e32 v86, s42, v2
.LBB1567_469:                           ;   in Loop: Header=BB1567_402 Depth=2
	s_wait_alu 0xfffe
	s_or_b32 exec_lo, exec_lo, s22
	v_lshlrev_b32_e32 v2, 3, v98
	v_lshlrev_b32_e32 v20, 3, v97
	;; [unrolled: 1-line block ×3, first 2 shown]
	s_wait_loadcnt 0x0
	s_wait_storecnt 0x0
	s_barrier_signal -1
	s_barrier_wait -1
	global_inv scope:SCOPE_SE
	ds_store_b64 v2, v[18:19] offset:1024
	ds_store_b64 v20, v[16:17] offset:1024
	;; [unrolled: 1-line block ×3, first 2 shown]
	v_lshlrev_b32_e32 v2, 3, v27
	v_lshlrev_b32_e32 v20, 3, v26
	;; [unrolled: 1-line block ×5, first 2 shown]
	ds_store_b64 v2, v[12:13] offset:1024
	ds_store_b64 v20, v[10:11] offset:1024
	;; [unrolled: 1-line block ×5, first 2 shown]
	s_wait_loadcnt_dscnt 0x0
	s_barrier_signal -1
	s_barrier_wait -1
	global_inv scope:SCOPE_SE
	s_and_saveexec_b32 s22, s20
	s_cbranch_execnz .LBB1567_502
; %bb.470:                              ;   in Loop: Header=BB1567_402 Depth=2
	s_wait_alu 0xfffe
	s_or_b32 exec_lo, exec_lo, s22
	s_and_saveexec_b32 s22, s21
	s_cbranch_execnz .LBB1567_503
.LBB1567_471:                           ;   in Loop: Header=BB1567_402 Depth=2
	s_wait_alu 0xfffe
	s_or_b32 exec_lo, exec_lo, s22
	s_and_saveexec_b32 s20, s19
	s_cbranch_execnz .LBB1567_504
.LBB1567_472:                           ;   in Loop: Header=BB1567_402 Depth=2
	s_wait_alu 0xfffe
	s_or_b32 exec_lo, exec_lo, s20
	s_and_saveexec_b32 s19, s18
	s_cbranch_execnz .LBB1567_505
.LBB1567_473:                           ;   in Loop: Header=BB1567_402 Depth=2
	s_wait_alu 0xfffe
	s_or_b32 exec_lo, exec_lo, s19
	s_and_saveexec_b32 s18, s17
	s_cbranch_execnz .LBB1567_506
.LBB1567_474:                           ;   in Loop: Header=BB1567_402 Depth=2
	s_wait_alu 0xfffe
	s_or_b32 exec_lo, exec_lo, s18
	s_and_saveexec_b32 s17, s16
	s_cbranch_execnz .LBB1567_507
.LBB1567_475:                           ;   in Loop: Header=BB1567_402 Depth=2
	s_wait_alu 0xfffe
	s_or_b32 exec_lo, exec_lo, s17
	s_and_saveexec_b32 s16, s15
	s_cbranch_execnz .LBB1567_508
.LBB1567_476:                           ;   in Loop: Header=BB1567_402 Depth=2
	s_wait_alu 0xfffe
	s_or_b32 exec_lo, exec_lo, s16
	s_and_saveexec_b32 s15, vcc_lo
	s_cbranch_execz .LBB1567_478
.LBB1567_477:                           ;   in Loop: Header=BB1567_402 Depth=2
	v_lshlrev_b32_e32 v2, 2, v86
	v_add_nc_u32_e32 v20, v1, v47
	ds_load_b32 v2, v2
	ds_load_b64 v[20:21], v20 offset:15360
	s_wait_dscnt 0x1
	v_add_nc_u32_e32 v2, v2, v37
	s_delay_alu instid0(VALU_DEP_1) | instskip(NEXT) | instid1(VALU_DEP_1)
	v_lshlrev_b64_e32 v[23:24], 3, v[2:3]
	v_add_co_u32 v23, vcc_lo, s24, v23
	s_wait_alu 0xfffd
	s_delay_alu instid0(VALU_DEP_2)
	v_add_co_ci_u32_e64 v24, null, s25, v24, vcc_lo
	s_wait_dscnt 0x0
	global_store_b64 v[23:24], v[20:21], off
.LBB1567_478:                           ;   in Loop: Header=BB1567_402 Depth=2
	s_wait_alu 0xfffe
	s_or_b32 exec_lo, exec_lo, s15
	s_wait_loadcnt 0x0
	s_wait_storecnt 0x0
	s_barrier_signal -1
	s_barrier_wait -1
	global_inv scope:SCOPE_SE
	s_and_saveexec_b32 s15, s2
	s_cbranch_execz .LBB1567_401
; %bb.479:                              ;   in Loop: Header=BB1567_402 Depth=2
	ds_load_b32 v2, v28
	s_wait_dscnt 0x0
	v_add_nc_u32_e32 v2, v2, v22
	ds_store_b32 v28, v2
	s_branch .LBB1567_401
.LBB1567_480:                           ;   in Loop: Header=BB1567_402 Depth=2
	ds_load_u8 v20, v1 offset:1024
	s_wait_dscnt 0x0
	v_and_b32_e32 v21, 1, v20
	v_xor_b32_e32 v20, 1, v20
	s_delay_alu instid0(VALU_DEP_2) | instskip(NEXT) | instid1(VALU_DEP_1)
	v_lshrrev_b32_e32 v21, s45, v21
	v_and_b32_e32 v21, s42, v21
	s_delay_alu instid0(VALU_DEP_1)
	v_lshlrev_b32_e32 v21, 2, v21
	ds_load_b32 v21, v21
	s_wait_dscnt 0x0
	v_add_nc_u32_e32 v21, v21, v1
	global_store_b8 v21, v20, s[38:39]
	s_wait_alu 0xfffe
	s_or_b32 exec_lo, exec_lo, s15
	v_cmp_lt_u32_e64 s21, v29, v2
	s_and_saveexec_b32 s15, s21
	s_cbranch_execz .LBB1567_445
.LBB1567_481:                           ;   in Loop: Header=BB1567_402 Depth=2
	ds_load_u8 v20, v1 offset:1280
	s_wait_dscnt 0x0
	v_and_b32_e32 v21, 1, v20
	v_xor_b32_e32 v20, 1, v20
	s_delay_alu instid0(VALU_DEP_2) | instskip(NEXT) | instid1(VALU_DEP_1)
	v_lshrrev_b32_e32 v21, s45, v21
	v_and_b32_e32 v21, s42, v21
	s_delay_alu instid0(VALU_DEP_1)
	v_lshlrev_b32_e32 v21, 2, v21
	ds_load_b32 v21, v21
	s_wait_dscnt 0x0
	v_add_nc_u32_e32 v21, v21, v29
	global_store_b8 v21, v20, s[38:39]
	s_wait_alu 0xfffe
	s_or_b32 exec_lo, exec_lo, s15
	v_cmp_lt_u32_e64 s19, v30, v2
	s_and_saveexec_b32 s15, s19
	s_cbranch_execz .LBB1567_446
.LBB1567_482:                           ;   in Loop: Header=BB1567_402 Depth=2
	ds_load_u8 v20, v1 offset:1536
	s_wait_dscnt 0x0
	v_and_b32_e32 v21, 1, v20
	v_xor_b32_e32 v20, 1, v20
	s_delay_alu instid0(VALU_DEP_2) | instskip(NEXT) | instid1(VALU_DEP_1)
	v_lshrrev_b32_e32 v21, s45, v21
	v_and_b32_e32 v21, s42, v21
	s_delay_alu instid0(VALU_DEP_1)
	v_lshlrev_b32_e32 v21, 2, v21
	ds_load_b32 v21, v21
	s_wait_dscnt 0x0
	v_add_nc_u32_e32 v21, v21, v30
	global_store_b8 v21, v20, s[38:39]
	s_wait_alu 0xfffe
	s_or_b32 exec_lo, exec_lo, s15
	v_cmp_lt_u32_e64 s18, v31, v2
	s_and_saveexec_b32 s15, s18
	s_cbranch_execz .LBB1567_447
.LBB1567_483:                           ;   in Loop: Header=BB1567_402 Depth=2
	ds_load_u8 v20, v1 offset:1792
	s_wait_dscnt 0x0
	v_and_b32_e32 v21, 1, v20
	v_xor_b32_e32 v20, 1, v20
	s_delay_alu instid0(VALU_DEP_2) | instskip(NEXT) | instid1(VALU_DEP_1)
	v_lshrrev_b32_e32 v21, s45, v21
	v_and_b32_e32 v21, s42, v21
	s_delay_alu instid0(VALU_DEP_1)
	v_lshlrev_b32_e32 v21, 2, v21
	ds_load_b32 v21, v21
	s_wait_dscnt 0x0
	v_add_nc_u32_e32 v21, v21, v31
	global_store_b8 v21, v20, s[38:39]
	s_wait_alu 0xfffe
	s_or_b32 exec_lo, exec_lo, s15
	v_cmp_lt_u32_e64 s17, v34, v2
	s_and_saveexec_b32 s15, s17
	s_cbranch_execz .LBB1567_448
.LBB1567_484:                           ;   in Loop: Header=BB1567_402 Depth=2
	ds_load_u8 v20, v1 offset:2048
	s_wait_dscnt 0x0
	v_and_b32_e32 v21, 1, v20
	v_xor_b32_e32 v20, 1, v20
	s_delay_alu instid0(VALU_DEP_2) | instskip(NEXT) | instid1(VALU_DEP_1)
	v_lshrrev_b32_e32 v21, s45, v21
	v_and_b32_e32 v21, s42, v21
	s_delay_alu instid0(VALU_DEP_1)
	v_lshlrev_b32_e32 v21, 2, v21
	ds_load_b32 v21, v21
	s_wait_dscnt 0x0
	v_add_nc_u32_e32 v21, v21, v34
	global_store_b8 v21, v20, s[38:39]
	s_wait_alu 0xfffe
	s_or_b32 exec_lo, exec_lo, s15
	v_cmp_lt_u32_e64 s16, v35, v2
	s_and_saveexec_b32 s15, s16
	s_cbranch_execz .LBB1567_449
.LBB1567_485:                           ;   in Loop: Header=BB1567_402 Depth=2
	ds_load_u8 v20, v1 offset:2304
	s_wait_dscnt 0x0
	v_and_b32_e32 v21, 1, v20
	v_xor_b32_e32 v20, 1, v20
	s_delay_alu instid0(VALU_DEP_2) | instskip(NEXT) | instid1(VALU_DEP_1)
	v_lshrrev_b32_e32 v21, s45, v21
	v_and_b32_e32 v21, s42, v21
	s_delay_alu instid0(VALU_DEP_1)
	v_lshlrev_b32_e32 v21, 2, v21
	ds_load_b32 v21, v21
	s_wait_dscnt 0x0
	v_add_nc_u32_e32 v21, v21, v35
	global_store_b8 v21, v20, s[38:39]
	s_wait_alu 0xfffe
	s_or_b32 exec_lo, exec_lo, s15
	v_cmp_lt_u32_e64 s15, v36, v2
	s_and_saveexec_b32 s22, s15
	s_cbranch_execz .LBB1567_450
.LBB1567_486:                           ;   in Loop: Header=BB1567_402 Depth=2
	ds_load_u8 v20, v1 offset:2560
	s_wait_dscnt 0x0
	v_and_b32_e32 v21, 1, v20
	v_xor_b32_e32 v20, 1, v20
	s_delay_alu instid0(VALU_DEP_2) | instskip(NEXT) | instid1(VALU_DEP_1)
	v_lshrrev_b32_e32 v21, s45, v21
	v_and_b32_e32 v21, s42, v21
	s_delay_alu instid0(VALU_DEP_1)
	v_lshlrev_b32_e32 v21, 2, v21
	ds_load_b32 v21, v21
	s_wait_dscnt 0x0
	v_add_nc_u32_e32 v21, v21, v36
	global_store_b8 v21, v20, s[38:39]
	s_wait_alu 0xfffe
	s_or_b32 exec_lo, exec_lo, s22
	v_cmp_lt_u32_e32 vcc_lo, v37, v2
	s_and_saveexec_b32 s22, vcc_lo
	s_cbranch_execnz .LBB1567_451
	s_branch .LBB1567_452
.LBB1567_487:                           ;   in Loop: Header=BB1567_402 Depth=2
	global_load_b64 v[18:19], v[20:21], off
	s_wait_alu 0xfffe
	s_or_b32 exec_lo, exec_lo, s22
	s_delay_alu instid0(SALU_CYCLE_1)
	s_mov_b32 s30, exec_lo
	v_cmpx_lt_u32_e64 v71, v2
	s_cbranch_execz .LBB1567_454
.LBB1567_488:                           ;   in Loop: Header=BB1567_402 Depth=2
	global_load_b64 v[16:17], v[20:21], off offset:256
	s_wait_alu 0xfffe
	s_or_b32 exec_lo, exec_lo, s30
	s_delay_alu instid0(SALU_CYCLE_1)
	s_mov_b32 s30, exec_lo
	v_cmpx_lt_u32_e64 v72, v2
	s_cbranch_execz .LBB1567_455
.LBB1567_489:                           ;   in Loop: Header=BB1567_402 Depth=2
	global_load_b64 v[14:15], v[20:21], off offset:512
	s_wait_alu 0xfffe
	s_or_b32 exec_lo, exec_lo, s30
	s_delay_alu instid0(SALU_CYCLE_1)
	s_mov_b32 s30, exec_lo
	v_cmpx_lt_u32_e64 v73, v2
	s_cbranch_execz .LBB1567_456
.LBB1567_490:                           ;   in Loop: Header=BB1567_402 Depth=2
	global_load_b64 v[12:13], v[20:21], off offset:768
	s_wait_alu 0xfffe
	s_or_b32 exec_lo, exec_lo, s30
	s_delay_alu instid0(SALU_CYCLE_1)
	s_mov_b32 s30, exec_lo
	v_cmpx_lt_u32_e64 v74, v2
	s_cbranch_execz .LBB1567_457
.LBB1567_491:                           ;   in Loop: Header=BB1567_402 Depth=2
	global_load_b64 v[10:11], v[20:21], off offset:1024
	s_wait_alu 0xfffe
	s_or_b32 exec_lo, exec_lo, s30
	s_delay_alu instid0(SALU_CYCLE_1)
	s_mov_b32 s30, exec_lo
	v_cmpx_lt_u32_e64 v75, v2
	s_cbranch_execz .LBB1567_458
.LBB1567_492:                           ;   in Loop: Header=BB1567_402 Depth=2
	global_load_b64 v[8:9], v[20:21], off offset:1280
	s_wait_alu 0xfffe
	s_or_b32 exec_lo, exec_lo, s30
	s_delay_alu instid0(SALU_CYCLE_1)
	s_mov_b32 s30, exec_lo
	v_cmpx_lt_u32_e64 v76, v2
	s_cbranch_execz .LBB1567_459
.LBB1567_493:                           ;   in Loop: Header=BB1567_402 Depth=2
	global_load_b64 v[6:7], v[20:21], off offset:1536
	s_wait_alu 0xfffe
	s_or_b32 exec_lo, exec_lo, s30
	s_delay_alu instid0(SALU_CYCLE_1)
	s_mov_b32 s30, exec_lo
	v_cmpx_lt_u32_e64 v77, v2
	s_cbranch_execz .LBB1567_460
.LBB1567_494:                           ;   in Loop: Header=BB1567_402 Depth=2
	global_load_b64 v[4:5], v[20:21], off offset:1792
	s_wait_alu 0xfffe
	s_or_b32 exec_lo, exec_lo, s30
	s_and_saveexec_b32 s22, s20
	s_cbranch_execz .LBB1567_461
.LBB1567_495:                           ;   in Loop: Header=BB1567_402 Depth=2
	ds_load_u8 v2, v1 offset:1024
	s_wait_dscnt 0x0
	v_lshrrev_b32_e32 v2, s45, v2
	s_delay_alu instid0(VALU_DEP_1)
	v_and_b32_e32 v93, s42, v2
	s_wait_alu 0xfffe
	s_or_b32 exec_lo, exec_lo, s22
	s_and_saveexec_b32 s22, s21
	s_cbranch_execz .LBB1567_462
.LBB1567_496:                           ;   in Loop: Header=BB1567_402 Depth=2
	ds_load_u8 v2, v1 offset:1280
	s_wait_dscnt 0x0
	v_lshrrev_b32_e32 v2, s45, v2
	s_delay_alu instid0(VALU_DEP_1)
	v_and_b32_e32 v92, s42, v2
	s_wait_alu 0xfffe
	s_or_b32 exec_lo, exec_lo, s22
	s_and_saveexec_b32 s22, s19
	s_cbranch_execz .LBB1567_463
.LBB1567_497:                           ;   in Loop: Header=BB1567_402 Depth=2
	ds_load_u8 v2, v1 offset:1536
	s_wait_dscnt 0x0
	v_lshrrev_b32_e32 v2, s45, v2
	s_delay_alu instid0(VALU_DEP_1)
	v_and_b32_e32 v91, s42, v2
	s_wait_alu 0xfffe
	s_or_b32 exec_lo, exec_lo, s22
	s_and_saveexec_b32 s22, s18
	s_cbranch_execz .LBB1567_464
.LBB1567_498:                           ;   in Loop: Header=BB1567_402 Depth=2
	ds_load_u8 v2, v1 offset:1792
	s_wait_dscnt 0x0
	v_lshrrev_b32_e32 v2, s45, v2
	s_delay_alu instid0(VALU_DEP_1)
	v_and_b32_e32 v90, s42, v2
	s_wait_alu 0xfffe
	s_or_b32 exec_lo, exec_lo, s22
	s_and_saveexec_b32 s22, s17
	s_cbranch_execz .LBB1567_465
.LBB1567_499:                           ;   in Loop: Header=BB1567_402 Depth=2
	ds_load_u8 v2, v1 offset:2048
	s_wait_dscnt 0x0
	v_lshrrev_b32_e32 v2, s45, v2
	s_delay_alu instid0(VALU_DEP_1)
	v_and_b32_e32 v89, s42, v2
	s_wait_alu 0xfffe
	s_or_b32 exec_lo, exec_lo, s22
	s_and_saveexec_b32 s22, s16
	s_cbranch_execz .LBB1567_466
.LBB1567_500:                           ;   in Loop: Header=BB1567_402 Depth=2
	ds_load_u8 v2, v1 offset:2304
	s_wait_dscnt 0x0
	v_lshrrev_b32_e32 v2, s45, v2
	s_delay_alu instid0(VALU_DEP_1)
	v_and_b32_e32 v88, s42, v2
	s_wait_alu 0xfffe
	s_or_b32 exec_lo, exec_lo, s22
	s_and_saveexec_b32 s22, s15
	s_cbranch_execz .LBB1567_467
.LBB1567_501:                           ;   in Loop: Header=BB1567_402 Depth=2
	ds_load_u8 v2, v1 offset:2560
	s_wait_dscnt 0x0
	v_lshrrev_b32_e32 v2, s45, v2
	s_delay_alu instid0(VALU_DEP_1)
	v_and_b32_e32 v87, s42, v2
	s_wait_alu 0xfffe
	s_or_b32 exec_lo, exec_lo, s22
	s_and_saveexec_b32 s22, vcc_lo
	s_cbranch_execnz .LBB1567_468
	s_branch .LBB1567_469
.LBB1567_502:                           ;   in Loop: Header=BB1567_402 Depth=2
	v_lshlrev_b32_e32 v2, 2, v93
	v_add_nc_u32_e32 v20, v1, v47
	ds_load_b32 v2, v2
	ds_load_b64 v[20:21], v20 offset:1024
	s_wait_dscnt 0x1
	v_add_nc_u32_e32 v2, v2, v1
	s_delay_alu instid0(VALU_DEP_1) | instskip(NEXT) | instid1(VALU_DEP_1)
	v_lshlrev_b64_e32 v[23:24], 3, v[2:3]
	v_add_co_u32 v23, s20, s24, v23
	s_wait_alu 0xf1ff
	s_delay_alu instid0(VALU_DEP_2)
	v_add_co_ci_u32_e64 v24, null, s25, v24, s20
	s_wait_dscnt 0x0
	global_store_b64 v[23:24], v[20:21], off
	s_wait_alu 0xfffe
	s_or_b32 exec_lo, exec_lo, s22
	s_and_saveexec_b32 s22, s21
	s_cbranch_execz .LBB1567_471
.LBB1567_503:                           ;   in Loop: Header=BB1567_402 Depth=2
	v_lshlrev_b32_e32 v2, 2, v92
	v_add_nc_u32_e32 v20, v1, v47
	ds_load_b32 v2, v2
	ds_load_b64 v[20:21], v20 offset:3072
	s_wait_dscnt 0x1
	v_add_nc_u32_e32 v2, v2, v29
	s_delay_alu instid0(VALU_DEP_1) | instskip(NEXT) | instid1(VALU_DEP_1)
	v_lshlrev_b64_e32 v[23:24], 3, v[2:3]
	v_add_co_u32 v23, s20, s24, v23
	s_wait_alu 0xf1ff
	s_delay_alu instid0(VALU_DEP_2)
	v_add_co_ci_u32_e64 v24, null, s25, v24, s20
	s_wait_dscnt 0x0
	global_store_b64 v[23:24], v[20:21], off
	s_wait_alu 0xfffe
	s_or_b32 exec_lo, exec_lo, s22
	s_and_saveexec_b32 s20, s19
	s_cbranch_execz .LBB1567_472
.LBB1567_504:                           ;   in Loop: Header=BB1567_402 Depth=2
	v_lshlrev_b32_e32 v2, 2, v91
	v_add_nc_u32_e32 v20, v1, v47
	ds_load_b32 v2, v2
	ds_load_b64 v[20:21], v20 offset:5120
	s_wait_dscnt 0x1
	v_add_nc_u32_e32 v2, v2, v30
	s_delay_alu instid0(VALU_DEP_1) | instskip(NEXT) | instid1(VALU_DEP_1)
	v_lshlrev_b64_e32 v[23:24], 3, v[2:3]
	v_add_co_u32 v23, s19, s24, v23
	s_wait_alu 0xf1ff
	s_delay_alu instid0(VALU_DEP_2)
	v_add_co_ci_u32_e64 v24, null, s25, v24, s19
	s_wait_dscnt 0x0
	global_store_b64 v[23:24], v[20:21], off
	s_wait_alu 0xfffe
	s_or_b32 exec_lo, exec_lo, s20
	s_and_saveexec_b32 s19, s18
	s_cbranch_execz .LBB1567_473
.LBB1567_505:                           ;   in Loop: Header=BB1567_402 Depth=2
	v_lshlrev_b32_e32 v2, 2, v90
	v_add_nc_u32_e32 v20, v1, v47
	ds_load_b32 v2, v2
	ds_load_b64 v[20:21], v20 offset:7168
	s_wait_dscnt 0x1
	v_add_nc_u32_e32 v2, v2, v31
	s_delay_alu instid0(VALU_DEP_1) | instskip(NEXT) | instid1(VALU_DEP_1)
	v_lshlrev_b64_e32 v[23:24], 3, v[2:3]
	v_add_co_u32 v23, s18, s24, v23
	s_wait_alu 0xf1ff
	s_delay_alu instid0(VALU_DEP_2)
	v_add_co_ci_u32_e64 v24, null, s25, v24, s18
	s_wait_dscnt 0x0
	global_store_b64 v[23:24], v[20:21], off
	s_wait_alu 0xfffe
	s_or_b32 exec_lo, exec_lo, s19
	s_and_saveexec_b32 s18, s17
	s_cbranch_execz .LBB1567_474
.LBB1567_506:                           ;   in Loop: Header=BB1567_402 Depth=2
	v_lshlrev_b32_e32 v2, 2, v89
	v_add_nc_u32_e32 v20, v1, v47
	ds_load_b32 v2, v2
	ds_load_b64 v[20:21], v20 offset:9216
	s_wait_dscnt 0x1
	v_add_nc_u32_e32 v2, v2, v34
	s_delay_alu instid0(VALU_DEP_1) | instskip(NEXT) | instid1(VALU_DEP_1)
	v_lshlrev_b64_e32 v[23:24], 3, v[2:3]
	v_add_co_u32 v23, s17, s24, v23
	s_wait_alu 0xf1ff
	s_delay_alu instid0(VALU_DEP_2)
	v_add_co_ci_u32_e64 v24, null, s25, v24, s17
	s_wait_dscnt 0x0
	global_store_b64 v[23:24], v[20:21], off
	s_wait_alu 0xfffe
	s_or_b32 exec_lo, exec_lo, s18
	s_and_saveexec_b32 s17, s16
	s_cbranch_execz .LBB1567_475
.LBB1567_507:                           ;   in Loop: Header=BB1567_402 Depth=2
	v_lshlrev_b32_e32 v2, 2, v88
	v_add_nc_u32_e32 v20, v1, v47
	ds_load_b32 v2, v2
	ds_load_b64 v[20:21], v20 offset:11264
	s_wait_dscnt 0x1
	v_add_nc_u32_e32 v2, v2, v35
	s_delay_alu instid0(VALU_DEP_1) | instskip(NEXT) | instid1(VALU_DEP_1)
	v_lshlrev_b64_e32 v[23:24], 3, v[2:3]
	v_add_co_u32 v23, s16, s24, v23
	s_wait_alu 0xf1ff
	s_delay_alu instid0(VALU_DEP_2)
	v_add_co_ci_u32_e64 v24, null, s25, v24, s16
	s_wait_dscnt 0x0
	global_store_b64 v[23:24], v[20:21], off
	s_wait_alu 0xfffe
	s_or_b32 exec_lo, exec_lo, s17
	s_and_saveexec_b32 s16, s15
	s_cbranch_execz .LBB1567_476
.LBB1567_508:                           ;   in Loop: Header=BB1567_402 Depth=2
	v_lshlrev_b32_e32 v2, 2, v87
	v_add_nc_u32_e32 v20, v1, v47
	ds_load_b32 v2, v2
	ds_load_b64 v[20:21], v20 offset:13312
	s_wait_dscnt 0x1
	v_add_nc_u32_e32 v2, v2, v36
	s_delay_alu instid0(VALU_DEP_1) | instskip(NEXT) | instid1(VALU_DEP_1)
	v_lshlrev_b64_e32 v[23:24], 3, v[2:3]
	v_add_co_u32 v23, s15, s24, v23
	s_wait_alu 0xf1ff
	s_delay_alu instid0(VALU_DEP_2)
	v_add_co_ci_u32_e64 v24, null, s25, v24, s15
	s_wait_dscnt 0x0
	global_store_b64 v[23:24], v[20:21], off
	s_wait_alu 0xfffe
	s_or_b32 exec_lo, exec_lo, s16
	s_and_saveexec_b32 s15, vcc_lo
	s_cbranch_execnz .LBB1567_477
	s_branch .LBB1567_478
.LBB1567_509:                           ;   in Loop: Header=BB1567_402 Depth=2
	global_load_u8 v95, v[20:21], off offset:32
	s_wait_alu 0xfffe
	s_or_b32 exec_lo, exec_lo, s15
	s_delay_alu instid0(SALU_CYCLE_1)
	s_mov_b32 s15, exec_lo
	v_cmpx_gt_u32_e64 s43, v72
	s_cbranch_execz .LBB1567_409
.LBB1567_510:                           ;   in Loop: Header=BB1567_402 Depth=2
	global_load_u8 v22, v[20:21], off offset:64
	s_wait_alu 0xfffe
	s_or_b32 exec_lo, exec_lo, s15
	s_delay_alu instid0(SALU_CYCLE_1)
	s_mov_b32 s15, exec_lo
	v_cmpx_gt_u32_e64 s43, v73
	s_cbranch_execz .LBB1567_410
.LBB1567_511:                           ;   in Loop: Header=BB1567_402 Depth=2
	global_load_u8 v26, v[20:21], off offset:96
	s_wait_alu 0xfffe
	s_or_b32 exec_lo, exec_lo, s15
	s_delay_alu instid0(SALU_CYCLE_1)
	s_mov_b32 s15, exec_lo
	v_cmpx_gt_u32_e64 s43, v74
	s_cbranch_execz .LBB1567_411
.LBB1567_512:                           ;   in Loop: Header=BB1567_402 Depth=2
	global_load_u8 v23, v[20:21], off offset:128
	s_wait_alu 0xfffe
	s_or_b32 exec_lo, exec_lo, s15
	s_delay_alu instid0(SALU_CYCLE_1)
	s_mov_b32 s15, exec_lo
	v_cmpx_gt_u32_e64 s43, v75
	s_cbranch_execz .LBB1567_412
.LBB1567_513:                           ;   in Loop: Header=BB1567_402 Depth=2
	global_load_u8 v24, v[20:21], off offset:160
	s_wait_alu 0xfffe
	s_or_b32 exec_lo, exec_lo, s15
	s_delay_alu instid0(SALU_CYCLE_1)
	s_mov_b32 s15, exec_lo
	v_cmpx_gt_u32_e64 s43, v76
	s_cbranch_execnz .LBB1567_413
	s_branch .LBB1567_414
.LBB1567_514:                           ;   in Loop: Header=BB1567_20 Depth=1
	s_wait_loadcnt_dscnt 0x0
	s_barrier_signal -1
	s_mov_b32 s0, 0
	s_barrier_wait -1
.LBB1567_515:                           ;   in Loop: Header=BB1567_20 Depth=1
	s_wait_alu 0xfffe
	s_and_b32 vcc_lo, exec_lo, s0
	s_wait_alu 0xfffe
	s_cbranch_vccz .LBB1567_19
; %bb.516:                              ;   in Loop: Header=BB1567_20 Depth=1
	v_dual_mov_b32 v7, 0 :: v_dual_mov_b32 v10, 0
	v_dual_mov_b32 v9, 0 :: v_dual_mov_b32 v8, 0
	v_dual_mov_b32 v6, 0 :: v_dual_mov_b32 v5, 0
	v_mov_b32_e32 v4, 0
	v_mov_b32_e32 v2, 0
	s_mov_b32 s9, s47
	s_mov_b32 s30, s33
	s_barrier_signal -1
	s_barrier_wait -1
	global_inv scope:SCOPE_SE
	s_branch .LBB1567_518
.LBB1567_517:                           ;   in Loop: Header=BB1567_518 Depth=2
	s_wait_alu 0xfffe
	s_or_b32 exec_lo, exec_lo, s0
	s_addk_co_i32 s9, 0xf800
	s_cmp_ge_u32 s10, s34
	s_mov_b32 s30, s10
	s_cbranch_scc1 .LBB1567_554
.LBB1567_518:                           ;   Parent Loop BB1567_20 Depth=1
                                        ; =>  This Inner Loop Header: Depth=2
	s_wait_alu 0xfffe
	s_add_co_i32 s10, s30, 0x800
	s_mov_b32 s0, -1
	s_wait_alu 0xfffe
	s_cmp_gt_u32 s10, s34
                                        ; implicit-def: $vgpr11
                                        ; implicit-def: $vgpr12
                                        ; implicit-def: $vgpr13
                                        ; implicit-def: $vgpr14
                                        ; implicit-def: $vgpr15
                                        ; implicit-def: $vgpr16
                                        ; implicit-def: $vgpr17
                                        ; implicit-def: $vgpr18
	s_cbranch_scc1 .LBB1567_520
; %bb.519:                              ;   in Loop: Header=BB1567_518 Depth=2
	v_add_co_u32 v19, vcc_lo, v54, s30
	s_wait_alu 0xfffd
	v_add_co_ci_u32_e64 v20, null, 0, v55, vcc_lo
	s_mov_b32 s0, 0
	s_clause 0x7
	global_load_u8 v18, v[19:20], off offset:1792
	global_load_u8 v17, v[19:20], off offset:1536
	;; [unrolled: 1-line block ×7, first 2 shown]
	global_load_u8 v11, v[19:20], off
.LBB1567_520:                           ;   in Loop: Header=BB1567_518 Depth=2
	s_wait_alu 0xfffe
	s_and_not1_b32 vcc_lo, exec_lo, s0
	s_movk_i32 s0, 0x800
	s_wait_alu 0xfffe
	s_cbranch_vccnz .LBB1567_531
; %bb.521:                              ;   in Loop: Header=BB1567_518 Depth=2
	s_add_nc_u64 s[0:1], s[36:37], s[30:31]
	s_mov_b32 s11, exec_lo
	v_cmpx_gt_u32_e64 s9, v1
	s_cbranch_execnz .LBB1567_547
; %bb.522:                              ;   in Loop: Header=BB1567_518 Depth=2
	s_wait_alu 0xfffe
	s_or_b32 exec_lo, exec_lo, s11
	s_delay_alu instid0(SALU_CYCLE_1)
	s_mov_b32 s11, exec_lo
	v_cmpx_gt_u32_e64 s9, v29
	s_cbranch_execnz .LBB1567_548
.LBB1567_523:                           ;   in Loop: Header=BB1567_518 Depth=2
	s_wait_alu 0xfffe
	s_or_b32 exec_lo, exec_lo, s11
	s_delay_alu instid0(SALU_CYCLE_1)
	s_mov_b32 s11, exec_lo
	v_cmpx_gt_u32_e64 s9, v30
	s_cbranch_execnz .LBB1567_549
.LBB1567_524:                           ;   in Loop: Header=BB1567_518 Depth=2
	s_wait_alu 0xfffe
	s_or_b32 exec_lo, exec_lo, s11
	s_delay_alu instid0(SALU_CYCLE_1)
	s_mov_b32 s11, exec_lo
	v_cmpx_gt_u32_e64 s9, v31
	s_cbranch_execnz .LBB1567_550
.LBB1567_525:                           ;   in Loop: Header=BB1567_518 Depth=2
	s_wait_alu 0xfffe
	s_or_b32 exec_lo, exec_lo, s11
	s_delay_alu instid0(SALU_CYCLE_1)
	s_mov_b32 s11, exec_lo
	v_cmpx_gt_u32_e64 s9, v34
	s_cbranch_execnz .LBB1567_551
.LBB1567_526:                           ;   in Loop: Header=BB1567_518 Depth=2
	s_wait_alu 0xfffe
	s_or_b32 exec_lo, exec_lo, s11
	s_delay_alu instid0(SALU_CYCLE_1)
	s_mov_b32 s11, exec_lo
	v_cmpx_gt_u32_e64 s9, v35
	s_cbranch_execnz .LBB1567_552
.LBB1567_527:                           ;   in Loop: Header=BB1567_518 Depth=2
	s_wait_alu 0xfffe
	s_or_b32 exec_lo, exec_lo, s11
	s_delay_alu instid0(SALU_CYCLE_1)
	s_mov_b32 s11, exec_lo
	v_cmpx_gt_u32_e64 s9, v36
	s_cbranch_execnz .LBB1567_553
.LBB1567_528:                           ;   in Loop: Header=BB1567_518 Depth=2
	s_wait_alu 0xfffe
	s_or_b32 exec_lo, exec_lo, s11
	s_delay_alu instid0(SALU_CYCLE_1)
	s_mov_b32 s11, exec_lo
	v_cmpx_gt_u32_e64 s9, v37
	s_cbranch_execz .LBB1567_530
.LBB1567_529:                           ;   in Loop: Header=BB1567_518 Depth=2
	s_wait_loadcnt 0x0
	v_add_co_u32 v11, s0, s0, v1
	s_wait_alu 0xf1ff
	v_add_co_ci_u32_e64 v12, null, s1, 0, s0
	global_load_u8 v2, v[11:12], off offset:1792
.LBB1567_530:                           ;   in Loop: Header=BB1567_518 Depth=2
	s_wait_alu 0xfffe
	s_or_b32 exec_lo, exec_lo, s11
	s_wait_loadcnt 0x0
	v_dual_mov_b32 v11, v7 :: v_dual_mov_b32 v12, v10
	v_dual_mov_b32 v13, v9 :: v_dual_mov_b32 v14, v8
	;; [unrolled: 1-line block ×4, first 2 shown]
	s_mov_b32 s0, s9
.LBB1567_531:                           ;   in Loop: Header=BB1567_518 Depth=2
	s_wait_loadcnt 0x5
	s_delay_alu instid0(VALU_DEP_1)
	v_dual_mov_b32 v2, v18 :: v_dual_mov_b32 v5, v16
	s_wait_loadcnt 0x2
	v_dual_mov_b32 v4, v17 :: v_dual_mov_b32 v9, v13
	s_wait_loadcnt 0x0
	v_dual_mov_b32 v6, v15 :: v_dual_mov_b32 v7, v11
	v_mov_b32_e32 v8, v14
	v_mov_b32_e32 v10, v12
	s_mov_b32 s1, exec_lo
	s_wait_alu 0xfffe
	v_cmpx_gt_u32_e64 s0, v1
	s_cbranch_execnz .LBB1567_539
; %bb.532:                              ;   in Loop: Header=BB1567_518 Depth=2
	s_or_b32 exec_lo, exec_lo, s1
	s_delay_alu instid0(SALU_CYCLE_1)
	s_mov_b32 s1, exec_lo
	v_cmpx_gt_u32_e64 s0, v29
	s_cbranch_execnz .LBB1567_540
.LBB1567_533:                           ;   in Loop: Header=BB1567_518 Depth=2
	s_wait_alu 0xfffe
	s_or_b32 exec_lo, exec_lo, s1
	s_delay_alu instid0(SALU_CYCLE_1)
	s_mov_b32 s1, exec_lo
	v_cmpx_gt_u32_e64 s0, v30
	s_cbranch_execnz .LBB1567_541
.LBB1567_534:                           ;   in Loop: Header=BB1567_518 Depth=2
	s_wait_alu 0xfffe
	s_or_b32 exec_lo, exec_lo, s1
	s_delay_alu instid0(SALU_CYCLE_1)
	s_mov_b32 s1, exec_lo
	v_cmpx_gt_u32_e64 s0, v31
	s_cbranch_execnz .LBB1567_542
.LBB1567_535:                           ;   in Loop: Header=BB1567_518 Depth=2
	s_wait_alu 0xfffe
	s_or_b32 exec_lo, exec_lo, s1
	s_delay_alu instid0(SALU_CYCLE_1)
	s_mov_b32 s1, exec_lo
	v_cmpx_gt_u32_e64 s0, v34
	s_cbranch_execnz .LBB1567_543
.LBB1567_536:                           ;   in Loop: Header=BB1567_518 Depth=2
	s_wait_alu 0xfffe
	s_or_b32 exec_lo, exec_lo, s1
	s_delay_alu instid0(SALU_CYCLE_1)
	s_mov_b32 s1, exec_lo
	v_cmpx_gt_u32_e64 s0, v35
	s_cbranch_execnz .LBB1567_544
.LBB1567_537:                           ;   in Loop: Header=BB1567_518 Depth=2
	s_wait_alu 0xfffe
	s_or_b32 exec_lo, exec_lo, s1
	s_delay_alu instid0(SALU_CYCLE_1)
	s_mov_b32 s1, exec_lo
	v_cmpx_gt_u32_e64 s0, v36
	s_cbranch_execnz .LBB1567_545
.LBB1567_538:                           ;   in Loop: Header=BB1567_518 Depth=2
	s_wait_alu 0xfffe
	s_or_b32 exec_lo, exec_lo, s1
	v_cmp_gt_u32_e32 vcc_lo, s0, v37
	s_and_saveexec_b32 s0, vcc_lo
	s_cbranch_execz .LBB1567_517
	s_branch .LBB1567_546
.LBB1567_539:                           ;   in Loop: Header=BB1567_518 Depth=2
	v_xor_b32_e32 v11, -1, v7
	s_delay_alu instid0(VALU_DEP_1) | instskip(NEXT) | instid1(VALU_DEP_1)
	v_and_b32_e32 v11, 1, v11
	v_and_b32_e32 v11, 0xffff, v11
	s_delay_alu instid0(VALU_DEP_1) | instskip(NEXT) | instid1(VALU_DEP_1)
	v_lshrrev_b32_e32 v11, s45, v11
	v_and_b32_e32 v11, s42, v11
	s_delay_alu instid0(VALU_DEP_1) | instskip(SKIP_2) | instid1(SALU_CYCLE_1)
	v_lshl_or_b32 v11, v11, 4, v39
	ds_add_u32 v11, v61
	s_or_b32 exec_lo, exec_lo, s1
	s_mov_b32 s1, exec_lo
	v_cmpx_gt_u32_e64 s0, v29
	s_cbranch_execz .LBB1567_533
.LBB1567_540:                           ;   in Loop: Header=BB1567_518 Depth=2
	v_xor_b32_e32 v11, -1, v10
	s_delay_alu instid0(VALU_DEP_1) | instskip(NEXT) | instid1(VALU_DEP_1)
	v_and_b32_e32 v11, 1, v11
	v_and_b32_e32 v11, 0xffff, v11
	s_delay_alu instid0(VALU_DEP_1) | instskip(NEXT) | instid1(VALU_DEP_1)
	v_lshrrev_b32_e32 v11, s45, v11
	v_and_b32_e32 v11, s42, v11
	s_delay_alu instid0(VALU_DEP_1) | instskip(SKIP_3) | instid1(SALU_CYCLE_1)
	v_lshl_or_b32 v11, v11, 4, v39
	ds_add_u32 v11, v61
	s_wait_alu 0xfffe
	s_or_b32 exec_lo, exec_lo, s1
	s_mov_b32 s1, exec_lo
	v_cmpx_gt_u32_e64 s0, v30
	s_cbranch_execz .LBB1567_534
.LBB1567_541:                           ;   in Loop: Header=BB1567_518 Depth=2
	v_xor_b32_e32 v11, -1, v9
	s_delay_alu instid0(VALU_DEP_1) | instskip(NEXT) | instid1(VALU_DEP_1)
	v_and_b32_e32 v11, 1, v11
	v_and_b32_e32 v11, 0xffff, v11
	s_delay_alu instid0(VALU_DEP_1) | instskip(NEXT) | instid1(VALU_DEP_1)
	v_lshrrev_b32_e32 v11, s45, v11
	v_and_b32_e32 v11, s42, v11
	s_delay_alu instid0(VALU_DEP_1) | instskip(SKIP_3) | instid1(SALU_CYCLE_1)
	v_lshl_or_b32 v11, v11, 4, v39
	ds_add_u32 v11, v61
	s_wait_alu 0xfffe
	s_or_b32 exec_lo, exec_lo, s1
	s_mov_b32 s1, exec_lo
	v_cmpx_gt_u32_e64 s0, v31
	s_cbranch_execz .LBB1567_535
.LBB1567_542:                           ;   in Loop: Header=BB1567_518 Depth=2
	v_xor_b32_e32 v11, -1, v8
	s_delay_alu instid0(VALU_DEP_1) | instskip(NEXT) | instid1(VALU_DEP_1)
	v_and_b32_e32 v11, 1, v11
	v_and_b32_e32 v11, 0xffff, v11
	s_delay_alu instid0(VALU_DEP_1) | instskip(NEXT) | instid1(VALU_DEP_1)
	v_lshrrev_b32_e32 v11, s45, v11
	v_and_b32_e32 v11, s42, v11
	s_delay_alu instid0(VALU_DEP_1) | instskip(SKIP_3) | instid1(SALU_CYCLE_1)
	v_lshl_or_b32 v11, v11, 4, v39
	ds_add_u32 v11, v61
	s_wait_alu 0xfffe
	s_or_b32 exec_lo, exec_lo, s1
	s_mov_b32 s1, exec_lo
	v_cmpx_gt_u32_e64 s0, v34
	s_cbranch_execz .LBB1567_536
.LBB1567_543:                           ;   in Loop: Header=BB1567_518 Depth=2
	v_xor_b32_e32 v11, -1, v6
	s_delay_alu instid0(VALU_DEP_1) | instskip(NEXT) | instid1(VALU_DEP_1)
	v_and_b32_e32 v11, 1, v11
	v_and_b32_e32 v11, 0xffff, v11
	s_delay_alu instid0(VALU_DEP_1) | instskip(NEXT) | instid1(VALU_DEP_1)
	v_lshrrev_b32_e32 v11, s45, v11
	v_and_b32_e32 v11, s42, v11
	s_delay_alu instid0(VALU_DEP_1) | instskip(SKIP_3) | instid1(SALU_CYCLE_1)
	v_lshl_or_b32 v11, v11, 4, v39
	ds_add_u32 v11, v61
	s_wait_alu 0xfffe
	s_or_b32 exec_lo, exec_lo, s1
	s_mov_b32 s1, exec_lo
	v_cmpx_gt_u32_e64 s0, v35
	s_cbranch_execz .LBB1567_537
.LBB1567_544:                           ;   in Loop: Header=BB1567_518 Depth=2
	v_xor_b32_e32 v11, -1, v5
	s_delay_alu instid0(VALU_DEP_1) | instskip(NEXT) | instid1(VALU_DEP_1)
	v_and_b32_e32 v11, 1, v11
	v_and_b32_e32 v11, 0xffff, v11
	s_delay_alu instid0(VALU_DEP_1) | instskip(NEXT) | instid1(VALU_DEP_1)
	v_lshrrev_b32_e32 v11, s45, v11
	v_and_b32_e32 v11, s42, v11
	s_delay_alu instid0(VALU_DEP_1) | instskip(SKIP_3) | instid1(SALU_CYCLE_1)
	v_lshl_or_b32 v11, v11, 4, v39
	ds_add_u32 v11, v61
	s_wait_alu 0xfffe
	s_or_b32 exec_lo, exec_lo, s1
	s_mov_b32 s1, exec_lo
	v_cmpx_gt_u32_e64 s0, v36
	s_cbranch_execz .LBB1567_538
.LBB1567_545:                           ;   in Loop: Header=BB1567_518 Depth=2
	v_xor_b32_e32 v11, -1, v4
	s_delay_alu instid0(VALU_DEP_1) | instskip(NEXT) | instid1(VALU_DEP_1)
	v_and_b32_e32 v11, 1, v11
	v_and_b32_e32 v11, 0xffff, v11
	s_delay_alu instid0(VALU_DEP_1) | instskip(NEXT) | instid1(VALU_DEP_1)
	v_lshrrev_b32_e32 v11, s45, v11
	v_and_b32_e32 v11, s42, v11
	s_delay_alu instid0(VALU_DEP_1)
	v_lshl_or_b32 v11, v11, 4, v39
	ds_add_u32 v11, v61
	s_wait_alu 0xfffe
	s_or_b32 exec_lo, exec_lo, s1
	v_cmp_gt_u32_e32 vcc_lo, s0, v37
	s_and_saveexec_b32 s0, vcc_lo
	s_cbranch_execz .LBB1567_517
.LBB1567_546:                           ;   in Loop: Header=BB1567_518 Depth=2
	v_xor_b32_e32 v11, -1, v2
	s_delay_alu instid0(VALU_DEP_1) | instskip(NEXT) | instid1(VALU_DEP_1)
	v_and_b32_e32 v11, 1, v11
	v_and_b32_e32 v11, 0xffff, v11
	s_delay_alu instid0(VALU_DEP_1) | instskip(NEXT) | instid1(VALU_DEP_1)
	v_lshrrev_b32_e32 v11, s45, v11
	v_and_b32_e32 v11, s42, v11
	s_delay_alu instid0(VALU_DEP_1)
	v_lshl_or_b32 v11, v11, 4, v39
	ds_add_u32 v11, v61
	s_branch .LBB1567_517
.LBB1567_547:                           ;   in Loop: Header=BB1567_518 Depth=2
	s_wait_loadcnt 0x0
	s_wait_alu 0xfffe
	v_add_co_u32 v11, s12, s0, v1
	s_wait_alu 0xf1ff
	v_add_co_ci_u32_e64 v12, null, s1, 0, s12
	global_load_u8 v7, v[11:12], off
	s_or_b32 exec_lo, exec_lo, s11
	s_delay_alu instid0(SALU_CYCLE_1)
	s_mov_b32 s11, exec_lo
	v_cmpx_gt_u32_e64 s9, v29
	s_cbranch_execz .LBB1567_523
.LBB1567_548:                           ;   in Loop: Header=BB1567_518 Depth=2
	v_add_co_u32 v10, s12, s0, v1
	s_wait_loadcnt 0x0
	s_wait_alu 0xf1ff
	v_add_co_ci_u32_e64 v11, null, s1, 0, s12
	global_load_u8 v10, v[10:11], off offset:256
	s_wait_alu 0xfffe
	s_or_b32 exec_lo, exec_lo, s11
	s_delay_alu instid0(SALU_CYCLE_1)
	s_mov_b32 s11, exec_lo
	v_cmpx_gt_u32_e64 s9, v30
	s_cbranch_execz .LBB1567_524
.LBB1567_549:                           ;   in Loop: Header=BB1567_518 Depth=2
	s_wait_loadcnt 0x0
	v_add_co_u32 v11, s12, s0, v1
	s_wait_alu 0xf1ff
	v_add_co_ci_u32_e64 v12, null, s1, 0, s12
	global_load_u8 v9, v[11:12], off offset:512
	s_wait_alu 0xfffe
	s_or_b32 exec_lo, exec_lo, s11
	s_delay_alu instid0(SALU_CYCLE_1)
	s_mov_b32 s11, exec_lo
	v_cmpx_gt_u32_e64 s9, v31
	s_cbranch_execz .LBB1567_525
.LBB1567_550:                           ;   in Loop: Header=BB1567_518 Depth=2
	s_wait_loadcnt 0x0
	v_add_co_u32 v11, s12, s0, v1
	s_wait_alu 0xf1ff
	v_add_co_ci_u32_e64 v12, null, s1, 0, s12
	global_load_u8 v8, v[11:12], off offset:768
	s_wait_alu 0xfffe
	s_or_b32 exec_lo, exec_lo, s11
	s_delay_alu instid0(SALU_CYCLE_1)
	s_mov_b32 s11, exec_lo
	v_cmpx_gt_u32_e64 s9, v34
	s_cbranch_execz .LBB1567_526
.LBB1567_551:                           ;   in Loop: Header=BB1567_518 Depth=2
	s_wait_loadcnt 0x0
	v_add_co_u32 v11, s12, s0, v1
	s_wait_alu 0xf1ff
	v_add_co_ci_u32_e64 v12, null, s1, 0, s12
	global_load_u8 v6, v[11:12], off offset:1024
	s_wait_alu 0xfffe
	s_or_b32 exec_lo, exec_lo, s11
	s_delay_alu instid0(SALU_CYCLE_1)
	s_mov_b32 s11, exec_lo
	v_cmpx_gt_u32_e64 s9, v35
	s_cbranch_execz .LBB1567_527
.LBB1567_552:                           ;   in Loop: Header=BB1567_518 Depth=2
	s_wait_loadcnt 0x0
	v_add_co_u32 v11, s12, s0, v1
	s_wait_alu 0xf1ff
	v_add_co_ci_u32_e64 v12, null, s1, 0, s12
	global_load_u8 v5, v[11:12], off offset:1280
	s_wait_alu 0xfffe
	s_or_b32 exec_lo, exec_lo, s11
	s_delay_alu instid0(SALU_CYCLE_1)
	s_mov_b32 s11, exec_lo
	v_cmpx_gt_u32_e64 s9, v36
	s_cbranch_execz .LBB1567_528
.LBB1567_553:                           ;   in Loop: Header=BB1567_518 Depth=2
	s_wait_loadcnt 0x0
	v_add_co_u32 v11, s12, s0, v1
	s_wait_alu 0xf1ff
	v_add_co_ci_u32_e64 v12, null, s1, 0, s12
	global_load_u8 v4, v[11:12], off offset:1536
	s_wait_alu 0xfffe
	s_or_b32 exec_lo, exec_lo, s11
	s_delay_alu instid0(SALU_CYCLE_1)
	s_mov_b32 s11, exec_lo
	v_cmpx_gt_u32_e64 s9, v37
	s_cbranch_execnz .LBB1567_529
	s_branch .LBB1567_530
.LBB1567_554:                           ;   in Loop: Header=BB1567_20 Depth=1
	v_mov_b32_e32 v2, 0
	s_wait_dscnt 0x0
	s_barrier_signal -1
	s_barrier_wait -1
	global_inv scope:SCOPE_SE
	s_and_saveexec_b32 s0, s2
	s_cbranch_execz .LBB1567_556
; %bb.555:                              ;   in Loop: Header=BB1567_20 Depth=1
	ds_load_2addr_b64 v[4:7], v40 offset1:1
	s_wait_dscnt 0x0
	v_add_nc_u32_e32 v2, v5, v4
	s_delay_alu instid0(VALU_DEP_1)
	v_add3_u32 v2, v2, v6, v7
.LBB1567_556:                           ;   in Loop: Header=BB1567_20 Depth=1
	s_wait_alu 0xfffe
	s_or_b32 exec_lo, exec_lo, s0
	s_delay_alu instid0(VALU_DEP_1)
	v_mov_b32_dpp v4, v2 row_shr:1 row_mask:0xf bank_mask:0xf
	v_cmp_eq_u32_e64 s0, 0, v62
	v_cmp_lt_u32_e64 s1, 1, v62
	v_cmp_lt_u32_e64 s9, 3, v62
	;; [unrolled: 1-line block ×3, first 2 shown]
	v_cmp_eq_u32_e64 s11, 0, v64
	s_wait_alu 0xf1ff
	v_cndmask_b32_e64 v4, v4, 0, s0
	s_delay_alu instid0(VALU_DEP_1) | instskip(NEXT) | instid1(VALU_DEP_1)
	v_add_nc_u32_e32 v2, v4, v2
	v_mov_b32_dpp v4, v2 row_shr:2 row_mask:0xf bank_mask:0xf
	s_delay_alu instid0(VALU_DEP_1) | instskip(NEXT) | instid1(VALU_DEP_1)
	v_cndmask_b32_e64 v4, 0, v4, s1
	v_add_nc_u32_e32 v2, v2, v4
	s_delay_alu instid0(VALU_DEP_1) | instskip(NEXT) | instid1(VALU_DEP_1)
	v_mov_b32_dpp v4, v2 row_shr:4 row_mask:0xf bank_mask:0xf
	v_cndmask_b32_e64 v4, 0, v4, s9
	s_delay_alu instid0(VALU_DEP_1) | instskip(NEXT) | instid1(VALU_DEP_1)
	v_add_nc_u32_e32 v2, v2, v4
	v_mov_b32_dpp v4, v2 row_shr:8 row_mask:0xf bank_mask:0xf
	s_delay_alu instid0(VALU_DEP_1) | instskip(NEXT) | instid1(VALU_DEP_1)
	v_cndmask_b32_e64 v4, 0, v4, s10
	v_add_nc_u32_e32 v2, v2, v4
	ds_swizzle_b32 v4, v2 offset:swizzle(BROADCAST,32,15)
	s_wait_dscnt 0x0
	v_and_b32_e32 v4, v63, v4
	s_delay_alu instid0(VALU_DEP_1)
	v_add_nc_u32_e32 v2, v2, v4
	s_and_saveexec_b32 s12, s3
; %bb.557:                              ;   in Loop: Header=BB1567_20 Depth=1
	ds_store_b32 v41, v2
; %bb.558:                              ;   in Loop: Header=BB1567_20 Depth=1
	s_wait_alu 0xfffe
	s_or_b32 exec_lo, exec_lo, s12
	s_wait_loadcnt_dscnt 0x0
	s_barrier_signal -1
	s_barrier_wait -1
	global_inv scope:SCOPE_SE
	s_and_saveexec_b32 s12, s4
	s_cbranch_execz .LBB1567_560
; %bb.559:                              ;   in Loop: Header=BB1567_20 Depth=1
	ds_load_b32 v4, v42
	v_cmp_ne_u32_e32 vcc_lo, 0, v65
	s_wait_dscnt 0x0
	v_mov_b32_dpp v5, v4 row_shr:1 row_mask:0xf bank_mask:0xf
	s_wait_alu 0xfffd
	s_delay_alu instid0(VALU_DEP_1) | instskip(SKIP_1) | instid1(VALU_DEP_2)
	v_cndmask_b32_e32 v5, 0, v5, vcc_lo
	v_cmp_lt_u32_e32 vcc_lo, 1, v65
	v_add_nc_u32_e32 v4, v5, v4
	s_delay_alu instid0(VALU_DEP_1) | instskip(SKIP_1) | instid1(VALU_DEP_1)
	v_mov_b32_dpp v5, v4 row_shr:2 row_mask:0xf bank_mask:0xf
	s_wait_alu 0xfffd
	v_cndmask_b32_e32 v5, 0, v5, vcc_lo
	v_cmp_lt_u32_e32 vcc_lo, 3, v65
	s_delay_alu instid0(VALU_DEP_2) | instskip(NEXT) | instid1(VALU_DEP_1)
	v_add_nc_u32_e32 v4, v4, v5
	v_mov_b32_dpp v5, v4 row_shr:4 row_mask:0xf bank_mask:0xf
	s_wait_alu 0xfffd
	s_delay_alu instid0(VALU_DEP_1) | instskip(NEXT) | instid1(VALU_DEP_1)
	v_cndmask_b32_e32 v5, 0, v5, vcc_lo
	v_add_nc_u32_e32 v4, v4, v5
	ds_store_b32 v42, v4
.LBB1567_560:                           ;   in Loop: Header=BB1567_20 Depth=1
	s_wait_alu 0xfffe
	s_or_b32 exec_lo, exec_lo, s12
	v_mov_b32_e32 v4, 0
	s_wait_loadcnt_dscnt 0x0
	s_barrier_signal -1
	s_barrier_wait -1
	global_inv scope:SCOPE_SE
	s_and_saveexec_b32 s12, s5
; %bb.561:                              ;   in Loop: Header=BB1567_20 Depth=1
	ds_load_b32 v4, v43
; %bb.562:                              ;   in Loop: Header=BB1567_20 Depth=1
	s_wait_alu 0xfffe
	s_or_b32 exec_lo, exec_lo, s12
	v_cmp_gt_i32_e32 vcc_lo, 0, v67
	s_wait_dscnt 0x0
	v_add_nc_u32_e32 v2, v4, v2
	s_wait_loadcnt 0x0
	s_barrier_signal -1
	s_barrier_wait -1
	s_wait_alu 0xfffd
	v_cndmask_b32_e32 v5, v67, v58, vcc_lo
	global_inv scope:SCOPE_SE
	v_lshlrev_b32_e32 v80, 2, v5
	ds_bpermute_b32 v2, v80, v2
	s_and_saveexec_b32 s12, s2
	s_cbranch_execz .LBB1567_564
; %bb.563:                              ;   in Loop: Header=BB1567_20 Depth=1
	s_wait_dscnt 0x0
	v_cndmask_b32_e64 v2, v2, v4, s8
	s_delay_alu instid0(VALU_DEP_1)
	v_add_nc_u32_e32 v2, s33, v2
	ds_store_b32 v28, v2
.LBB1567_564:                           ;   in Loop: Header=BB1567_20 Depth=1
	s_wait_alu 0xfffe
	s_or_b32 exec_lo, exec_lo, s12
	s_load_b64 s[12:13], s[28:29], 0x0
	v_add_co_u32 v81, vcc_lo, v56, v66
	s_wait_alu 0xfffd
	v_add_co_ci_u32_e64 v82, null, 0, v57, vcc_lo
	v_add_co_u32 v83, vcc_lo, v59, v58
	s_wait_alu 0xfffd
	v_add_co_ci_u32_e64 v84, null, 0, v60, vcc_lo
	s_mov_b32 s43, s47
                                        ; implicit-def: $vgpr6_vgpr7
                                        ; implicit-def: $vgpr8_vgpr9
                                        ; implicit-def: $vgpr10_vgpr11
                                        ; implicit-def: $vgpr12_vgpr13
                                        ; implicit-def: $vgpr14_vgpr15
                                        ; implicit-def: $vgpr16_vgpr17
                                        ; implicit-def: $vgpr18_vgpr19
                                        ; implicit-def: $vgpr86
                                        ; implicit-def: $vgpr87
                                        ; implicit-def: $vgpr88
                                        ; implicit-def: $vgpr89
                                        ; implicit-def: $vgpr90
                                        ; implicit-def: $vgpr91
                                        ; implicit-def: $vgpr92
                                        ; implicit-def: $vgpr93
	s_wait_kmcnt 0x0
	s_cmp_lt_u32 ttmp7, s13
	s_cselect_b32 s30, 14, 20
	s_cmp_lt_u32 ttmp9, s12
	s_wait_alu 0xfffe
	s_add_nc_u64 s[14:15], s[28:29], s[30:31]
	s_cselect_b32 s30, 12, 18
	s_load_u16 s14, s[14:15], 0x0
	s_add_nc_u64 s[12:13], s[28:29], s[30:31]
	s_mov_b32 s30, s33
	s_load_u16 s12, s[12:13], 0x0
	v_cmp_lt_u32_e64 s13, 1, v65
	s_wait_dscnt 0x0
	s_wait_kmcnt 0x0
	v_mad_u32_u24 v2, v44, s14, v0
	v_cmp_lt_u32_e64 s14, 3, v65
	s_delay_alu instid0(VALU_DEP_2) | instskip(SKIP_1) | instid1(VALU_DEP_2)
	v_mad_co_u64_u32 v[4:5], null, v2, s12, v[1:2]
	v_cmp_eq_u32_e64 s12, 0, v65
	v_lshrrev_b32_e32 v2, 3, v4
                                        ; implicit-def: $vgpr4_vgpr5
	s_delay_alu instid0(VALU_DEP_1)
	v_and_b32_e32 v85, 0x1ffffffc, v2
	s_branch .LBB1567_566
.LBB1567_565:                           ;   in Loop: Header=BB1567_566 Depth=2
	s_wait_alu 0xfffe
	s_or_b32 exec_lo, exec_lo, s15
	s_addk_co_i32 s43, 0xf800
	s_cmp_lt_u32 s44, s34
	s_mov_b32 s30, s44
	s_cbranch_scc0 .LBB1567_18
.LBB1567_566:                           ;   Parent Loop BB1567_20 Depth=1
                                        ; =>  This Inner Loop Header: Depth=2
	s_wait_alu 0xfffe
	s_add_co_i32 s44, s30, 0x800
	s_wait_alu 0xfffe
	s_cmp_gt_u32 s44, s34
	s_cbranch_scc1 .LBB1567_568
; %bb.567:                              ;   in Loop: Header=BB1567_566 Depth=2
	v_add_co_u32 v20, vcc_lo, v83, s30
	s_wait_alu 0xfffd
	v_add_co_ci_u32_e64 v21, null, 0, v84, vcc_lo
	s_mov_b32 s15, -1
	s_clause 0x6
	global_load_u8 v25, v[20:21], off offset:192
	global_load_u8 v24, v[20:21], off offset:160
	;; [unrolled: 1-line block ×6, first 2 shown]
	global_load_u8 v27, v[20:21], off
	s_movk_i32 s16, 0x800
                                        ; implicit-def: $vgpr96
	s_cbranch_execz .LBB1567_569
	s_branch .LBB1567_579
.LBB1567_568:                           ;   in Loop: Header=BB1567_566 Depth=2
	s_mov_b32 s15, 0
                                        ; implicit-def: $vgpr27
                                        ; implicit-def: $vgpr95
                                        ; implicit-def: $vgpr22
                                        ; implicit-def: $vgpr26
                                        ; implicit-def: $vgpr23
                                        ; implicit-def: $vgpr24
                                        ; implicit-def: $vgpr25
	s_movk_i32 s16, 0x800
                                        ; implicit-def: $vgpr96
.LBB1567_569:                           ;   in Loop: Header=BB1567_566 Depth=2
	v_add_co_u32 v20, vcc_lo, v83, s30
	s_wait_alu 0xfffd
	v_add_co_ci_u32_e64 v21, null, 0, v84, vcc_lo
	s_wait_loadcnt 0x0
	v_dual_mov_b32 v22, 0 :: v_dual_mov_b32 v27, 0
	v_dual_mov_b32 v26, 0 :: v_dual_mov_b32 v23, 0
	;; [unrolled: 1-line block ×3, first 2 shown]
	v_mov_b32_e32 v96, 0
	s_mov_b32 s15, exec_lo
	v_cmpx_gt_u32_e64 s43, v68
	s_cbranch_execz .LBB1567_571
; %bb.570:                              ;   in Loop: Header=BB1567_566 Depth=2
	global_load_u8 v27, v[20:21], off
	v_dual_mov_b32 v26, 0 :: v_dual_mov_b32 v23, 0
	v_dual_mov_b32 v24, 0 :: v_dual_mov_b32 v25, 0
	v_mov_b32_e32 v96, 0
.LBB1567_571:                           ;   in Loop: Header=BB1567_566 Depth=2
	s_wait_alu 0xfffe
	s_or_b32 exec_lo, exec_lo, s15
	v_mov_b32_e32 v95, v22
	s_mov_b32 s15, exec_lo
	v_cmpx_gt_u32_e64 s43, v71
	s_cbranch_execnz .LBB1567_673
; %bb.572:                              ;   in Loop: Header=BB1567_566 Depth=2
	s_wait_alu 0xfffe
	s_or_b32 exec_lo, exec_lo, s15
	s_delay_alu instid0(SALU_CYCLE_1)
	s_mov_b32 s15, exec_lo
	v_cmpx_gt_u32_e64 s43, v72
	s_cbranch_execnz .LBB1567_674
.LBB1567_573:                           ;   in Loop: Header=BB1567_566 Depth=2
	s_wait_alu 0xfffe
	s_or_b32 exec_lo, exec_lo, s15
	s_delay_alu instid0(SALU_CYCLE_1)
	s_mov_b32 s15, exec_lo
	v_cmpx_gt_u32_e64 s43, v73
	s_cbranch_execnz .LBB1567_675
.LBB1567_574:                           ;   in Loop: Header=BB1567_566 Depth=2
	s_wait_alu 0xfffe
	s_or_b32 exec_lo, exec_lo, s15
	s_delay_alu instid0(SALU_CYCLE_1)
	s_mov_b32 s15, exec_lo
	v_cmpx_gt_u32_e64 s43, v74
	s_cbranch_execnz .LBB1567_676
.LBB1567_575:                           ;   in Loop: Header=BB1567_566 Depth=2
	s_wait_alu 0xfffe
	s_or_b32 exec_lo, exec_lo, s15
	s_delay_alu instid0(SALU_CYCLE_1)
	s_mov_b32 s15, exec_lo
	v_cmpx_gt_u32_e64 s43, v75
	s_cbranch_execnz .LBB1567_677
.LBB1567_576:                           ;   in Loop: Header=BB1567_566 Depth=2
	s_wait_alu 0xfffe
	s_or_b32 exec_lo, exec_lo, s15
	s_delay_alu instid0(SALU_CYCLE_1)
	s_mov_b32 s15, exec_lo
	v_cmpx_gt_u32_e64 s43, v76
	s_cbranch_execz .LBB1567_578
.LBB1567_577:                           ;   in Loop: Header=BB1567_566 Depth=2
	global_load_u8 v25, v[20:21], off offset:192
.LBB1567_578:                           ;   in Loop: Header=BB1567_566 Depth=2
	s_wait_alu 0xfffe
	s_or_b32 exec_lo, exec_lo, s15
	v_cmp_gt_u32_e64 s15, s43, v77
	s_sub_co_i32 s16, s34, s30
.LBB1567_579:                           ;   in Loop: Header=BB1567_566 Depth=2
	v_mov_b32_e32 v2, s43
	s_wait_alu 0xfffe
	s_and_saveexec_b32 s17, s15
	s_cbranch_execz .LBB1567_581
; %bb.580:                              ;   in Loop: Header=BB1567_566 Depth=2
	v_add_co_u32 v20, vcc_lo, v83, s30
	s_wait_alu 0xfffd
	v_add_co_ci_u32_e64 v21, null, s31, v84, vcc_lo
	v_mov_b32_e32 v2, s16
	global_load_u8 v96, v[20:21], off offset:224
.LBB1567_581:                           ;   in Loop: Header=BB1567_566 Depth=2
	s_wait_alu 0xfffe
	s_or_b32 exec_lo, exec_lo, s17
	s_wait_loadcnt 0x0
	v_and_b32_e32 v20, 1, v27
	v_and_b32_e32 v22, 1, v22
	;; [unrolled: 1-line block ×5, first 2 shown]
	v_cmp_eq_u32_e32 vcc_lo, 1, v20
	v_and_b32_e32 v25, 1, v25
	v_and_b32_e32 v96, 1, v96
	v_add_nc_u32_e32 v97, 0x420, v45
	v_add_nc_u32_e32 v98, 0x428, v45
	s_xor_b32 s15, vcc_lo, -1
	v_add_nc_u32_e32 v99, 0x430, v45
	s_wait_alu 0xfffe
	v_cndmask_b32_e64 v94, 0, 1, s15
	v_add_nc_u32_e32 v100, 0x438, v45
	v_cmp_eq_u32_e64 s19, 1, v22
	v_cmp_eq_u32_e64 s18, 1, v26
	;; [unrolled: 1-line block ×3, first 2 shown]
	v_lshrrev_b32_e32 v20, s45, v94
	v_cmp_eq_u32_e64 s16, 1, v24
	ds_store_2addr_b32 v100, v3, v3 offset1:1
	ds_store_2addr_b32 v97, v3, v3 offset1:1
	;; [unrolled: 1-line block ×4, first 2 shown]
	ds_store_b32 v45, v3 offset:1088
	s_wait_dscnt 0x0
	v_and_b32_e32 v21, s42, v20
	v_and_b32_e32 v20, 1, v95
	s_barrier_signal -1
	s_barrier_wait -1
	global_inv scope:SCOPE_SE
	v_add_co_u32 v27, s15, v21, -1
	s_wait_alu 0xf1ff
	v_cndmask_b32_e64 v95, 0, 1, s15
	v_cmp_eq_u32_e64 s20, 1, v20
	v_mul_u32_u24_e32 v21, 36, v21
	v_cmp_eq_u32_e64 s15, 1, v25
	s_delay_alu instid0(VALU_DEP_4) | instskip(NEXT) | instid1(VALU_DEP_3)
	v_cmp_ne_u32_e32 vcc_lo, 0, v95
	; wave barrier
	v_add_nc_u32_e32 v102, v85, v21
	s_wait_alu 0xfffd
	v_xor_b32_e32 v27, vcc_lo, v27
	v_cmp_eq_u32_e32 vcc_lo, 1, v96
	s_delay_alu instid0(VALU_DEP_2) | instskip(NEXT) | instid1(VALU_DEP_1)
	v_and_b32_e32 v20, exec_lo, v27
	v_mbcnt_lo_u32_b32 v95, v20, 0
	v_cmp_ne_u32_e64 s22, 0, v20
	s_delay_alu instid0(VALU_DEP_2)
	v_cmp_eq_u32_e64 s21, 0, v95
	s_and_b32 s22, s22, s21
	s_wait_alu 0xfffe
	s_and_saveexec_b32 s21, s22
; %bb.582:                              ;   in Loop: Header=BB1567_566 Depth=2
	v_bcnt_u32_b32 v20, v20, 0
	ds_store_b32 v102, v20 offset:1056
; %bb.583:                              ;   in Loop: Header=BB1567_566 Depth=2
	s_wait_alu 0xfffe
	s_or_b32 exec_lo, exec_lo, s21
	s_xor_b32 s20, s20, -1
	s_wait_alu 0xfffe
	v_cndmask_b32_e64 v96, 0, 1, s20
	; wave barrier
	s_delay_alu instid0(VALU_DEP_1) | instskip(NEXT) | instid1(VALU_DEP_1)
	v_lshrrev_b32_e32 v20, s45, v96
	v_and_b32_e32 v21, s42, v20
	s_delay_alu instid0(VALU_DEP_1) | instskip(SKIP_2) | instid1(VALU_DEP_1)
	v_add_co_u32 v20, s20, v21, -1
	s_wait_alu 0xf1ff
	v_cndmask_b32_e64 v22, 0, 1, s20
	v_cmp_ne_u32_e64 s20, 0, v22
	v_mad_u32_u24 v22, v21, 36, v85
	v_mul_u32_u24_e32 v21, 36, v21
	s_wait_alu 0xf1ff
	s_delay_alu instid0(VALU_DEP_3) | instskip(SKIP_3) | instid1(VALU_DEP_1)
	v_xor_b32_e32 v20, s20, v20
	ds_load_b32 v101, v22 offset:1056
	v_add_nc_u32_e32 v106, v85, v21
	; wave barrier
	v_and_b32_e32 v20, exec_lo, v20
	v_mbcnt_lo_u32_b32 v103, v20, 0
	v_cmp_ne_u32_e64 s21, 0, v20
	s_delay_alu instid0(VALU_DEP_2)
	v_cmp_eq_u32_e64 s20, 0, v103
	s_and_b32 s21, s21, s20
	s_wait_alu 0xfffe
	s_and_saveexec_b32 s20, s21
	s_cbranch_execz .LBB1567_585
; %bb.584:                              ;   in Loop: Header=BB1567_566 Depth=2
	s_wait_dscnt 0x0
	v_bcnt_u32_b32 v20, v20, v101
	ds_store_b32 v106, v20 offset:1056
.LBB1567_585:                           ;   in Loop: Header=BB1567_566 Depth=2
	s_wait_alu 0xfffe
	s_or_b32 exec_lo, exec_lo, s20
	s_xor_b32 s19, s19, -1
	s_wait_alu 0xfffe
	v_cndmask_b32_e64 v104, 0, 1, s19
	; wave barrier
	s_delay_alu instid0(VALU_DEP_1) | instskip(NEXT) | instid1(VALU_DEP_1)
	v_lshrrev_b32_e32 v20, s45, v104
	v_and_b32_e32 v21, s42, v20
	s_delay_alu instid0(VALU_DEP_1) | instskip(SKIP_2) | instid1(VALU_DEP_1)
	v_add_co_u32 v20, s19, v21, -1
	s_wait_alu 0xf1ff
	v_cndmask_b32_e64 v22, 0, 1, s19
	v_cmp_ne_u32_e64 s19, 0, v22
	v_mad_u32_u24 v22, v21, 36, v85
	v_mul_u32_u24_e32 v21, 36, v21
	s_wait_alu 0xf1ff
	s_delay_alu instid0(VALU_DEP_3) | instskip(SKIP_3) | instid1(VALU_DEP_1)
	v_xor_b32_e32 v20, s19, v20
	ds_load_b32 v105, v22 offset:1056
	v_add_nc_u32_e32 v110, v85, v21
	; wave barrier
	v_and_b32_e32 v20, exec_lo, v20
	v_mbcnt_lo_u32_b32 v107, v20, 0
	v_cmp_ne_u32_e64 s20, 0, v20
	s_delay_alu instid0(VALU_DEP_2)
	v_cmp_eq_u32_e64 s19, 0, v107
	s_and_b32 s20, s20, s19
	s_wait_alu 0xfffe
	s_and_saveexec_b32 s19, s20
	s_cbranch_execz .LBB1567_587
; %bb.586:                              ;   in Loop: Header=BB1567_566 Depth=2
	s_wait_dscnt 0x0
	v_bcnt_u32_b32 v20, v20, v105
	ds_store_b32 v110, v20 offset:1056
.LBB1567_587:                           ;   in Loop: Header=BB1567_566 Depth=2
	;; [unrolled: 36-line block ×6, first 2 shown]
	s_wait_alu 0xfffe
	s_or_b32 exec_lo, exec_lo, s15
	s_xor_b32 s15, vcc_lo, -1
	s_wait_alu 0xfffe
	v_cndmask_b32_e64 v124, 0, 1, s15
	; wave barrier
	s_delay_alu instid0(VALU_DEP_1) | instskip(NEXT) | instid1(VALU_DEP_1)
	v_lshrrev_b32_e32 v20, s45, v124
	v_and_b32_e32 v21, s42, v20
	s_delay_alu instid0(VALU_DEP_1) | instskip(SKIP_2) | instid1(VALU_DEP_1)
	v_add_co_u32 v20, s15, v21, -1
	s_wait_alu 0xf1ff
	v_cndmask_b32_e64 v22, 0, 1, s15
	v_cmp_ne_u32_e32 vcc_lo, 0, v22
	v_mad_u32_u24 v22, v21, 36, v85
	v_mul_u32_u24_e32 v21, 36, v21
	s_wait_alu 0xfffd
	v_xor_b32_e32 v20, vcc_lo, v20
	ds_load_b32 v125, v22 offset:1056
	v_add_nc_u32_e32 v128, v85, v21
	; wave barrier
	v_and_b32_e32 v20, exec_lo, v20
	s_delay_alu instid0(VALU_DEP_1) | instskip(SKIP_1) | instid1(VALU_DEP_2)
	v_mbcnt_lo_u32_b32 v127, v20, 0
	v_cmp_ne_u32_e64 s15, 0, v20
	v_cmp_eq_u32_e32 vcc_lo, 0, v127
	s_and_b32 s16, s15, vcc_lo
	s_wait_alu 0xfffe
	s_and_saveexec_b32 s15, s16
	s_cbranch_execz .LBB1567_597
; %bb.596:                              ;   in Loop: Header=BB1567_566 Depth=2
	s_wait_dscnt 0x0
	v_bcnt_u32_b32 v20, v20, v125
	ds_store_b32 v128, v20 offset:1056
.LBB1567_597:                           ;   in Loop: Header=BB1567_566 Depth=2
	s_wait_alu 0xfffe
	s_or_b32 exec_lo, exec_lo, s15
	; wave barrier
	s_wait_loadcnt_dscnt 0x0
	s_barrier_signal -1
	s_barrier_wait -1
	global_inv scope:SCOPE_SE
	ds_load_2addr_b32 v[26:27], v97 offset1:1
	ds_load_2addr_b32 v[24:25], v98 offset1:1
	;; [unrolled: 1-line block ×4, first 2 shown]
	ds_load_b32 v129, v45 offset:1088
	s_wait_dscnt 0x3
	v_add3_u32 v130, v27, v26, v24
	s_wait_dscnt 0x2
	s_delay_alu instid0(VALU_DEP_1) | instskip(SKIP_1) | instid1(VALU_DEP_1)
	v_add3_u32 v130, v130, v25, v22
	s_wait_dscnt 0x1
	v_add3_u32 v130, v130, v23, v20
	s_wait_dscnt 0x0
	s_delay_alu instid0(VALU_DEP_1) | instskip(NEXT) | instid1(VALU_DEP_1)
	v_add3_u32 v129, v130, v21, v129
	v_mov_b32_dpp v130, v129 row_shr:1 row_mask:0xf bank_mask:0xf
	s_delay_alu instid0(VALU_DEP_1) | instskip(NEXT) | instid1(VALU_DEP_1)
	v_cndmask_b32_e64 v130, v130, 0, s0
	v_add_nc_u32_e32 v129, v130, v129
	s_delay_alu instid0(VALU_DEP_1) | instskip(NEXT) | instid1(VALU_DEP_1)
	v_mov_b32_dpp v130, v129 row_shr:2 row_mask:0xf bank_mask:0xf
	v_cndmask_b32_e64 v130, 0, v130, s1
	s_delay_alu instid0(VALU_DEP_1) | instskip(NEXT) | instid1(VALU_DEP_1)
	v_add_nc_u32_e32 v129, v129, v130
	v_mov_b32_dpp v130, v129 row_shr:4 row_mask:0xf bank_mask:0xf
	s_delay_alu instid0(VALU_DEP_1) | instskip(NEXT) | instid1(VALU_DEP_1)
	v_cndmask_b32_e64 v130, 0, v130, s9
	v_add_nc_u32_e32 v129, v129, v130
	s_delay_alu instid0(VALU_DEP_1) | instskip(NEXT) | instid1(VALU_DEP_1)
	v_mov_b32_dpp v130, v129 row_shr:8 row_mask:0xf bank_mask:0xf
	v_cndmask_b32_e64 v130, 0, v130, s10
	s_delay_alu instid0(VALU_DEP_1) | instskip(SKIP_3) | instid1(VALU_DEP_1)
	v_add_nc_u32_e32 v129, v129, v130
	ds_swizzle_b32 v130, v129 offset:swizzle(BROADCAST,32,15)
	s_wait_dscnt 0x0
	v_cndmask_b32_e64 v130, v130, 0, s11
	v_add_nc_u32_e32 v129, v129, v130
	s_and_saveexec_b32 s15, s3
; %bb.598:                              ;   in Loop: Header=BB1567_566 Depth=2
	ds_store_b32 v38, v129 offset:1024
; %bb.599:                              ;   in Loop: Header=BB1567_566 Depth=2
	s_wait_alu 0xfffe
	s_or_b32 exec_lo, exec_lo, s15
	s_wait_loadcnt_dscnt 0x0
	s_barrier_signal -1
	s_barrier_wait -1
	global_inv scope:SCOPE_SE
	s_and_saveexec_b32 s15, s4
	s_cbranch_execz .LBB1567_601
; %bb.600:                              ;   in Loop: Header=BB1567_566 Depth=2
	v_add_nc_u32_e32 v130, v45, v46
	ds_load_b32 v131, v130 offset:1024
	s_wait_dscnt 0x0
	v_mov_b32_dpp v132, v131 row_shr:1 row_mask:0xf bank_mask:0xf
	s_delay_alu instid0(VALU_DEP_1) | instskip(NEXT) | instid1(VALU_DEP_1)
	v_cndmask_b32_e64 v132, v132, 0, s12
	v_add_nc_u32_e32 v131, v132, v131
	s_delay_alu instid0(VALU_DEP_1) | instskip(NEXT) | instid1(VALU_DEP_1)
	v_mov_b32_dpp v132, v131 row_shr:2 row_mask:0xf bank_mask:0xf
	v_cndmask_b32_e64 v132, 0, v132, s13
	s_delay_alu instid0(VALU_DEP_1) | instskip(NEXT) | instid1(VALU_DEP_1)
	v_add_nc_u32_e32 v131, v131, v132
	v_mov_b32_dpp v132, v131 row_shr:4 row_mask:0xf bank_mask:0xf
	s_delay_alu instid0(VALU_DEP_1) | instskip(NEXT) | instid1(VALU_DEP_1)
	v_cndmask_b32_e64 v132, 0, v132, s14
	v_add_nc_u32_e32 v131, v131, v132
	ds_store_b32 v130, v131 offset:1024
.LBB1567_601:                           ;   in Loop: Header=BB1567_566 Depth=2
	s_wait_alu 0xfffe
	s_or_b32 exec_lo, exec_lo, s15
	v_mov_b32_e32 v130, 0
	s_wait_loadcnt_dscnt 0x0
	s_barrier_signal -1
	s_barrier_wait -1
	global_inv scope:SCOPE_SE
	s_and_saveexec_b32 s15, s5
; %bb.602:                              ;   in Loop: Header=BB1567_566 Depth=2
	ds_load_b32 v130, v38 offset:1020
; %bb.603:                              ;   in Loop: Header=BB1567_566 Depth=2
	s_wait_alu 0xfffe
	s_or_b32 exec_lo, exec_lo, s15
	s_wait_dscnt 0x0
	v_add_nc_u32_e32 v129, v130, v129
	ds_bpermute_b32 v129, v80, v129
	s_wait_dscnt 0x0
	v_cndmask_b32_e64 v129, v129, v130, s8
	s_delay_alu instid0(VALU_DEP_1) | instskip(NEXT) | instid1(VALU_DEP_1)
	v_cndmask_b32_e64 v129, v129, 0, s6
	v_add_nc_u32_e32 v26, v129, v26
	s_delay_alu instid0(VALU_DEP_1) | instskip(NEXT) | instid1(VALU_DEP_1)
	v_add_nc_u32_e32 v27, v26, v27
	v_add_nc_u32_e32 v24, v27, v24
	s_delay_alu instid0(VALU_DEP_1) | instskip(NEXT) | instid1(VALU_DEP_1)
	v_add_nc_u32_e32 v25, v24, v25
	;; [unrolled: 3-line block ×3, first 2 shown]
	v_add_nc_u32_e32 v20, v23, v20
	s_delay_alu instid0(VALU_DEP_1)
	v_add_nc_u32_e32 v21, v20, v21
	ds_store_2addr_b32 v100, v23, v20 offset1:1
	ds_store_2addr_b32 v97, v129, v26 offset1:1
	;; [unrolled: 1-line block ×4, first 2 shown]
	ds_store_b32 v45, v21 offset:1088
	s_wait_loadcnt_dscnt 0x0
	s_barrier_signal -1
	s_barrier_wait -1
	global_inv scope:SCOPE_SE
	ds_load_b32 v20, v102 offset:1056
	ds_load_b32 v21, v106 offset:1056
	;; [unrolled: 1-line block ×9, first 2 shown]
	v_mov_b32_e32 v22, 0x800
	s_and_saveexec_b32 s15, s7
; %bb.604:                              ;   in Loop: Header=BB1567_566 Depth=2
	ds_load_b32 v22, v45 offset:1092
; %bb.605:                              ;   in Loop: Header=BB1567_566 Depth=2
	s_wait_alu 0xfffe
	s_or_b32 exec_lo, exec_lo, s15
	s_wait_loadcnt_dscnt 0x0
	s_barrier_signal -1
	s_barrier_wait -1
	global_inv scope:SCOPE_SE
	s_and_saveexec_b32 s15, s2
	s_cbranch_execz .LBB1567_607
; %bb.606:                              ;   in Loop: Header=BB1567_566 Depth=2
	ds_load_b32 v27, v28
	s_wait_dscnt 0x0
	v_sub_nc_u32_e32 v26, v27, v26
	ds_store_b32 v28, v26
.LBB1567_607:                           ;   in Loop: Header=BB1567_566 Depth=2
	s_wait_alu 0xfffe
	s_or_b32 exec_lo, exec_lo, s15
	v_add_nc_u32_e32 v98, v20, v95
	v_add3_u32 v97, v103, v101, v21
	v_add3_u32 v95, v107, v105, v23
	;; [unrolled: 1-line block ×7, first 2 shown]
	v_cmp_lt_u32_e64 s19, v1, v2
	ds_store_b8 v98, v94 offset:1024
	ds_store_b8 v97, v96 offset:1024
	;; [unrolled: 1-line block ×8, first 2 shown]
	s_wait_loadcnt_dscnt 0x0
	s_barrier_signal -1
	s_barrier_wait -1
	global_inv scope:SCOPE_SE
	s_and_saveexec_b32 s15, s19
	s_cbranch_execnz .LBB1567_644
; %bb.608:                              ;   in Loop: Header=BB1567_566 Depth=2
	s_wait_alu 0xfffe
	s_or_b32 exec_lo, exec_lo, s15
	v_cmp_lt_u32_e64 s21, v29, v2
	s_and_saveexec_b32 s15, s21
	s_cbranch_execnz .LBB1567_645
.LBB1567_609:                           ;   in Loop: Header=BB1567_566 Depth=2
	s_wait_alu 0xfffe
	s_or_b32 exec_lo, exec_lo, s15
	v_cmp_lt_u32_e64 s20, v30, v2
	s_and_saveexec_b32 s15, s20
	s_cbranch_execnz .LBB1567_646
.LBB1567_610:                           ;   in Loop: Header=BB1567_566 Depth=2
	s_wait_alu 0xfffe
	s_or_b32 exec_lo, exec_lo, s15
	v_cmp_lt_u32_e64 s18, v31, v2
	s_and_saveexec_b32 s15, s18
	s_cbranch_execnz .LBB1567_647
.LBB1567_611:                           ;   in Loop: Header=BB1567_566 Depth=2
	s_wait_alu 0xfffe
	s_or_b32 exec_lo, exec_lo, s15
	v_cmp_lt_u32_e64 s17, v34, v2
	s_and_saveexec_b32 s15, s17
	s_cbranch_execnz .LBB1567_648
.LBB1567_612:                           ;   in Loop: Header=BB1567_566 Depth=2
	s_wait_alu 0xfffe
	s_or_b32 exec_lo, exec_lo, s15
	v_cmp_lt_u32_e64 s16, v35, v2
	s_and_saveexec_b32 s15, s16
	s_cbranch_execnz .LBB1567_649
.LBB1567_613:                           ;   in Loop: Header=BB1567_566 Depth=2
	s_wait_alu 0xfffe
	s_or_b32 exec_lo, exec_lo, s15
	v_cmp_lt_u32_e64 s15, v36, v2
	s_and_saveexec_b32 s22, s15
	s_cbranch_execnz .LBB1567_650
.LBB1567_614:                           ;   in Loop: Header=BB1567_566 Depth=2
	s_wait_alu 0xfffe
	s_or_b32 exec_lo, exec_lo, s22
	v_cmp_lt_u32_e32 vcc_lo, v37, v2
	s_and_saveexec_b32 s22, vcc_lo
	s_cbranch_execz .LBB1567_616
.LBB1567_615:                           ;   in Loop: Header=BB1567_566 Depth=2
	ds_load_u8 v20, v1 offset:2816
	s_wait_dscnt 0x0
	v_and_b32_e32 v21, 1, v20
	v_xor_b32_e32 v20, 1, v20
	s_delay_alu instid0(VALU_DEP_2) | instskip(NEXT) | instid1(VALU_DEP_1)
	v_lshrrev_b32_e32 v21, s45, v21
	v_and_b32_e32 v21, s42, v21
	s_delay_alu instid0(VALU_DEP_1)
	v_lshlrev_b32_e32 v21, 2, v21
	ds_load_b32 v21, v21
	s_wait_dscnt 0x0
	v_add_nc_u32_e32 v21, v21, v37
	global_store_b8 v21, v20, s[40:41]
.LBB1567_616:                           ;   in Loop: Header=BB1567_566 Depth=2
	s_wait_alu 0xfffe
	s_or_b32 exec_lo, exec_lo, s22
	s_lshl_b64 s[48:49], s[30:31], 3
	s_wait_alu 0xfffe
	v_add_co_u32 v20, s22, v81, s48
	s_wait_alu 0xf1ff
	v_add_co_ci_u32_e64 v21, null, s49, v82, s22
	v_cmp_lt_u32_e64 s22, v68, v2
	s_and_saveexec_b32 s30, s22
	s_wait_alu 0xfffe
	s_xor_b32 s22, exec_lo, s30
	s_cbranch_execnz .LBB1567_651
; %bb.617:                              ;   in Loop: Header=BB1567_566 Depth=2
	s_wait_alu 0xfffe
	s_or_b32 exec_lo, exec_lo, s22
	s_delay_alu instid0(SALU_CYCLE_1)
	s_mov_b32 s30, exec_lo
	v_cmpx_lt_u32_e64 v71, v2
	s_cbranch_execnz .LBB1567_652
.LBB1567_618:                           ;   in Loop: Header=BB1567_566 Depth=2
	s_wait_alu 0xfffe
	s_or_b32 exec_lo, exec_lo, s30
	s_delay_alu instid0(SALU_CYCLE_1)
	s_mov_b32 s30, exec_lo
	v_cmpx_lt_u32_e64 v72, v2
	s_cbranch_execnz .LBB1567_653
.LBB1567_619:                           ;   in Loop: Header=BB1567_566 Depth=2
	s_wait_alu 0xfffe
	s_or_b32 exec_lo, exec_lo, s30
	s_delay_alu instid0(SALU_CYCLE_1)
	s_mov_b32 s30, exec_lo
	v_cmpx_lt_u32_e64 v73, v2
	s_cbranch_execnz .LBB1567_654
.LBB1567_620:                           ;   in Loop: Header=BB1567_566 Depth=2
	s_wait_alu 0xfffe
	s_or_b32 exec_lo, exec_lo, s30
	s_delay_alu instid0(SALU_CYCLE_1)
	s_mov_b32 s30, exec_lo
	v_cmpx_lt_u32_e64 v74, v2
	s_cbranch_execnz .LBB1567_655
.LBB1567_621:                           ;   in Loop: Header=BB1567_566 Depth=2
	s_wait_alu 0xfffe
	s_or_b32 exec_lo, exec_lo, s30
	s_delay_alu instid0(SALU_CYCLE_1)
	s_mov_b32 s30, exec_lo
	v_cmpx_lt_u32_e64 v75, v2
	s_cbranch_execnz .LBB1567_656
.LBB1567_622:                           ;   in Loop: Header=BB1567_566 Depth=2
	s_wait_alu 0xfffe
	s_or_b32 exec_lo, exec_lo, s30
	s_delay_alu instid0(SALU_CYCLE_1)
	s_mov_b32 s30, exec_lo
	v_cmpx_lt_u32_e64 v76, v2
	s_cbranch_execnz .LBB1567_657
.LBB1567_623:                           ;   in Loop: Header=BB1567_566 Depth=2
	s_wait_alu 0xfffe
	s_or_b32 exec_lo, exec_lo, s30
	s_delay_alu instid0(SALU_CYCLE_1)
	s_mov_b32 s30, exec_lo
	v_cmpx_lt_u32_e64 v77, v2
	s_cbranch_execnz .LBB1567_658
.LBB1567_624:                           ;   in Loop: Header=BB1567_566 Depth=2
	s_wait_alu 0xfffe
	s_or_b32 exec_lo, exec_lo, s30
	s_and_saveexec_b32 s22, s19
	s_cbranch_execnz .LBB1567_659
.LBB1567_625:                           ;   in Loop: Header=BB1567_566 Depth=2
	s_wait_alu 0xfffe
	s_or_b32 exec_lo, exec_lo, s22
	s_and_saveexec_b32 s22, s21
	s_cbranch_execnz .LBB1567_660
.LBB1567_626:                           ;   in Loop: Header=BB1567_566 Depth=2
	s_wait_alu 0xfffe
	s_or_b32 exec_lo, exec_lo, s22
	s_and_saveexec_b32 s22, s20
	s_cbranch_execnz .LBB1567_661
.LBB1567_627:                           ;   in Loop: Header=BB1567_566 Depth=2
	s_wait_alu 0xfffe
	s_or_b32 exec_lo, exec_lo, s22
	s_and_saveexec_b32 s22, s18
	s_cbranch_execnz .LBB1567_662
.LBB1567_628:                           ;   in Loop: Header=BB1567_566 Depth=2
	s_wait_alu 0xfffe
	s_or_b32 exec_lo, exec_lo, s22
	s_and_saveexec_b32 s22, s17
	s_cbranch_execnz .LBB1567_663
.LBB1567_629:                           ;   in Loop: Header=BB1567_566 Depth=2
	s_wait_alu 0xfffe
	s_or_b32 exec_lo, exec_lo, s22
	s_and_saveexec_b32 s22, s16
	s_cbranch_execnz .LBB1567_664
.LBB1567_630:                           ;   in Loop: Header=BB1567_566 Depth=2
	s_wait_alu 0xfffe
	s_or_b32 exec_lo, exec_lo, s22
	s_and_saveexec_b32 s22, s15
	s_cbranch_execnz .LBB1567_665
.LBB1567_631:                           ;   in Loop: Header=BB1567_566 Depth=2
	s_wait_alu 0xfffe
	s_or_b32 exec_lo, exec_lo, s22
	s_and_saveexec_b32 s22, vcc_lo
	s_cbranch_execz .LBB1567_633
.LBB1567_632:                           ;   in Loop: Header=BB1567_566 Depth=2
	ds_load_u8 v2, v1 offset:2816
	s_wait_dscnt 0x0
	v_lshrrev_b32_e32 v2, s45, v2
	s_delay_alu instid0(VALU_DEP_1)
	v_and_b32_e32 v86, s42, v2
.LBB1567_633:                           ;   in Loop: Header=BB1567_566 Depth=2
	s_wait_alu 0xfffe
	s_or_b32 exec_lo, exec_lo, s22
	v_lshlrev_b32_e32 v2, 3, v98
	v_lshlrev_b32_e32 v20, 3, v97
	;; [unrolled: 1-line block ×3, first 2 shown]
	s_wait_loadcnt 0x0
	s_wait_storecnt 0x0
	s_barrier_signal -1
	s_barrier_wait -1
	global_inv scope:SCOPE_SE
	ds_store_b64 v2, v[18:19] offset:1024
	ds_store_b64 v20, v[16:17] offset:1024
	;; [unrolled: 1-line block ×3, first 2 shown]
	v_lshlrev_b32_e32 v2, 3, v27
	v_lshlrev_b32_e32 v20, 3, v26
	;; [unrolled: 1-line block ×5, first 2 shown]
	ds_store_b64 v2, v[12:13] offset:1024
	ds_store_b64 v20, v[10:11] offset:1024
	;; [unrolled: 1-line block ×5, first 2 shown]
	v_add_nc_u32_e32 v20, v1, v47
	s_wait_loadcnt_dscnt 0x0
	s_barrier_signal -1
	s_barrier_wait -1
	global_inv scope:SCOPE_SE
	s_and_saveexec_b32 s22, s19
	s_cbranch_execnz .LBB1567_666
; %bb.634:                              ;   in Loop: Header=BB1567_566 Depth=2
	s_wait_alu 0xfffe
	s_or_b32 exec_lo, exec_lo, s22
	s_and_saveexec_b32 s22, s21
	s_cbranch_execnz .LBB1567_667
.LBB1567_635:                           ;   in Loop: Header=BB1567_566 Depth=2
	s_wait_alu 0xfffe
	s_or_b32 exec_lo, exec_lo, s22
	s_and_saveexec_b32 s21, s20
	s_cbranch_execnz .LBB1567_668
.LBB1567_636:                           ;   in Loop: Header=BB1567_566 Depth=2
	s_wait_alu 0xfffe
	s_or_b32 exec_lo, exec_lo, s21
	s_and_saveexec_b32 s19, s18
	s_cbranch_execnz .LBB1567_669
.LBB1567_637:                           ;   in Loop: Header=BB1567_566 Depth=2
	s_wait_alu 0xfffe
	s_or_b32 exec_lo, exec_lo, s19
	s_and_saveexec_b32 s18, s17
	s_cbranch_execnz .LBB1567_670
.LBB1567_638:                           ;   in Loop: Header=BB1567_566 Depth=2
	s_wait_alu 0xfffe
	s_or_b32 exec_lo, exec_lo, s18
	s_and_saveexec_b32 s17, s16
	s_cbranch_execnz .LBB1567_671
.LBB1567_639:                           ;   in Loop: Header=BB1567_566 Depth=2
	s_wait_alu 0xfffe
	s_or_b32 exec_lo, exec_lo, s17
	s_and_saveexec_b32 s16, s15
	s_cbranch_execnz .LBB1567_672
.LBB1567_640:                           ;   in Loop: Header=BB1567_566 Depth=2
	s_wait_alu 0xfffe
	s_or_b32 exec_lo, exec_lo, s16
	s_and_saveexec_b32 s15, vcc_lo
	s_cbranch_execz .LBB1567_642
.LBB1567_641:                           ;   in Loop: Header=BB1567_566 Depth=2
	v_lshlrev_b32_e32 v2, 2, v86
	ds_load_b32 v2, v2
	ds_load_b64 v[20:21], v20 offset:15360
	s_wait_dscnt 0x1
	v_add_nc_u32_e32 v2, v2, v37
	s_delay_alu instid0(VALU_DEP_1) | instskip(NEXT) | instid1(VALU_DEP_1)
	v_lshlrev_b64_e32 v[23:24], 3, v[2:3]
	v_add_co_u32 v23, vcc_lo, s26, v23
	s_wait_alu 0xfffd
	s_delay_alu instid0(VALU_DEP_2)
	v_add_co_ci_u32_e64 v24, null, s27, v24, vcc_lo
	s_wait_dscnt 0x0
	global_store_b64 v[23:24], v[20:21], off
.LBB1567_642:                           ;   in Loop: Header=BB1567_566 Depth=2
	s_wait_alu 0xfffe
	s_or_b32 exec_lo, exec_lo, s15
	s_wait_loadcnt 0x0
	s_wait_storecnt 0x0
	s_barrier_signal -1
	s_barrier_wait -1
	global_inv scope:SCOPE_SE
	s_and_saveexec_b32 s15, s2
	s_cbranch_execz .LBB1567_565
; %bb.643:                              ;   in Loop: Header=BB1567_566 Depth=2
	ds_load_b32 v2, v28
	s_wait_dscnt 0x0
	v_add_nc_u32_e32 v2, v2, v22
	ds_store_b32 v28, v2
	s_branch .LBB1567_565
.LBB1567_644:                           ;   in Loop: Header=BB1567_566 Depth=2
	ds_load_u8 v20, v1 offset:1024
	s_wait_dscnt 0x0
	v_and_b32_e32 v21, 1, v20
	v_xor_b32_e32 v20, 1, v20
	s_delay_alu instid0(VALU_DEP_2) | instskip(NEXT) | instid1(VALU_DEP_1)
	v_lshrrev_b32_e32 v21, s45, v21
	v_and_b32_e32 v21, s42, v21
	s_delay_alu instid0(VALU_DEP_1)
	v_lshlrev_b32_e32 v21, 2, v21
	ds_load_b32 v21, v21
	s_wait_dscnt 0x0
	v_add_nc_u32_e32 v21, v21, v1
	global_store_b8 v21, v20, s[40:41]
	s_wait_alu 0xfffe
	s_or_b32 exec_lo, exec_lo, s15
	v_cmp_lt_u32_e64 s21, v29, v2
	s_and_saveexec_b32 s15, s21
	s_cbranch_execz .LBB1567_609
.LBB1567_645:                           ;   in Loop: Header=BB1567_566 Depth=2
	ds_load_u8 v20, v1 offset:1280
	s_wait_dscnt 0x0
	v_and_b32_e32 v21, 1, v20
	v_xor_b32_e32 v20, 1, v20
	s_delay_alu instid0(VALU_DEP_2) | instskip(NEXT) | instid1(VALU_DEP_1)
	v_lshrrev_b32_e32 v21, s45, v21
	v_and_b32_e32 v21, s42, v21
	s_delay_alu instid0(VALU_DEP_1)
	v_lshlrev_b32_e32 v21, 2, v21
	ds_load_b32 v21, v21
	s_wait_dscnt 0x0
	v_add_nc_u32_e32 v21, v21, v29
	global_store_b8 v21, v20, s[40:41]
	s_wait_alu 0xfffe
	s_or_b32 exec_lo, exec_lo, s15
	v_cmp_lt_u32_e64 s20, v30, v2
	s_and_saveexec_b32 s15, s20
	s_cbranch_execz .LBB1567_610
.LBB1567_646:                           ;   in Loop: Header=BB1567_566 Depth=2
	ds_load_u8 v20, v1 offset:1536
	s_wait_dscnt 0x0
	v_and_b32_e32 v21, 1, v20
	v_xor_b32_e32 v20, 1, v20
	s_delay_alu instid0(VALU_DEP_2) | instskip(NEXT) | instid1(VALU_DEP_1)
	v_lshrrev_b32_e32 v21, s45, v21
	v_and_b32_e32 v21, s42, v21
	s_delay_alu instid0(VALU_DEP_1)
	v_lshlrev_b32_e32 v21, 2, v21
	ds_load_b32 v21, v21
	s_wait_dscnt 0x0
	v_add_nc_u32_e32 v21, v21, v30
	global_store_b8 v21, v20, s[40:41]
	s_wait_alu 0xfffe
	s_or_b32 exec_lo, exec_lo, s15
	v_cmp_lt_u32_e64 s18, v31, v2
	s_and_saveexec_b32 s15, s18
	s_cbranch_execz .LBB1567_611
.LBB1567_647:                           ;   in Loop: Header=BB1567_566 Depth=2
	ds_load_u8 v20, v1 offset:1792
	s_wait_dscnt 0x0
	v_and_b32_e32 v21, 1, v20
	v_xor_b32_e32 v20, 1, v20
	s_delay_alu instid0(VALU_DEP_2) | instskip(NEXT) | instid1(VALU_DEP_1)
	v_lshrrev_b32_e32 v21, s45, v21
	v_and_b32_e32 v21, s42, v21
	s_delay_alu instid0(VALU_DEP_1)
	v_lshlrev_b32_e32 v21, 2, v21
	ds_load_b32 v21, v21
	s_wait_dscnt 0x0
	v_add_nc_u32_e32 v21, v21, v31
	global_store_b8 v21, v20, s[40:41]
	s_wait_alu 0xfffe
	s_or_b32 exec_lo, exec_lo, s15
	v_cmp_lt_u32_e64 s17, v34, v2
	s_and_saveexec_b32 s15, s17
	s_cbranch_execz .LBB1567_612
.LBB1567_648:                           ;   in Loop: Header=BB1567_566 Depth=2
	ds_load_u8 v20, v1 offset:2048
	s_wait_dscnt 0x0
	v_and_b32_e32 v21, 1, v20
	v_xor_b32_e32 v20, 1, v20
	s_delay_alu instid0(VALU_DEP_2) | instskip(NEXT) | instid1(VALU_DEP_1)
	v_lshrrev_b32_e32 v21, s45, v21
	v_and_b32_e32 v21, s42, v21
	s_delay_alu instid0(VALU_DEP_1)
	v_lshlrev_b32_e32 v21, 2, v21
	ds_load_b32 v21, v21
	s_wait_dscnt 0x0
	v_add_nc_u32_e32 v21, v21, v34
	global_store_b8 v21, v20, s[40:41]
	s_wait_alu 0xfffe
	s_or_b32 exec_lo, exec_lo, s15
	v_cmp_lt_u32_e64 s16, v35, v2
	s_and_saveexec_b32 s15, s16
	s_cbranch_execz .LBB1567_613
.LBB1567_649:                           ;   in Loop: Header=BB1567_566 Depth=2
	ds_load_u8 v20, v1 offset:2304
	s_wait_dscnt 0x0
	v_and_b32_e32 v21, 1, v20
	v_xor_b32_e32 v20, 1, v20
	s_delay_alu instid0(VALU_DEP_2) | instskip(NEXT) | instid1(VALU_DEP_1)
	v_lshrrev_b32_e32 v21, s45, v21
	v_and_b32_e32 v21, s42, v21
	s_delay_alu instid0(VALU_DEP_1)
	v_lshlrev_b32_e32 v21, 2, v21
	ds_load_b32 v21, v21
	s_wait_dscnt 0x0
	v_add_nc_u32_e32 v21, v21, v35
	global_store_b8 v21, v20, s[40:41]
	s_wait_alu 0xfffe
	s_or_b32 exec_lo, exec_lo, s15
	v_cmp_lt_u32_e64 s15, v36, v2
	s_and_saveexec_b32 s22, s15
	s_cbranch_execz .LBB1567_614
.LBB1567_650:                           ;   in Loop: Header=BB1567_566 Depth=2
	ds_load_u8 v20, v1 offset:2560
	s_wait_dscnt 0x0
	v_and_b32_e32 v21, 1, v20
	v_xor_b32_e32 v20, 1, v20
	s_delay_alu instid0(VALU_DEP_2) | instskip(NEXT) | instid1(VALU_DEP_1)
	v_lshrrev_b32_e32 v21, s45, v21
	v_and_b32_e32 v21, s42, v21
	s_delay_alu instid0(VALU_DEP_1)
	v_lshlrev_b32_e32 v21, 2, v21
	ds_load_b32 v21, v21
	s_wait_dscnt 0x0
	v_add_nc_u32_e32 v21, v21, v36
	global_store_b8 v21, v20, s[40:41]
	s_wait_alu 0xfffe
	s_or_b32 exec_lo, exec_lo, s22
	v_cmp_lt_u32_e32 vcc_lo, v37, v2
	s_and_saveexec_b32 s22, vcc_lo
	s_cbranch_execnz .LBB1567_615
	s_branch .LBB1567_616
.LBB1567_651:                           ;   in Loop: Header=BB1567_566 Depth=2
	global_load_b64 v[18:19], v[20:21], off
	s_wait_alu 0xfffe
	s_or_b32 exec_lo, exec_lo, s22
	s_delay_alu instid0(SALU_CYCLE_1)
	s_mov_b32 s30, exec_lo
	v_cmpx_lt_u32_e64 v71, v2
	s_cbranch_execz .LBB1567_618
.LBB1567_652:                           ;   in Loop: Header=BB1567_566 Depth=2
	global_load_b64 v[16:17], v[20:21], off offset:256
	s_wait_alu 0xfffe
	s_or_b32 exec_lo, exec_lo, s30
	s_delay_alu instid0(SALU_CYCLE_1)
	s_mov_b32 s30, exec_lo
	v_cmpx_lt_u32_e64 v72, v2
	s_cbranch_execz .LBB1567_619
.LBB1567_653:                           ;   in Loop: Header=BB1567_566 Depth=2
	global_load_b64 v[14:15], v[20:21], off offset:512
	s_wait_alu 0xfffe
	s_or_b32 exec_lo, exec_lo, s30
	s_delay_alu instid0(SALU_CYCLE_1)
	s_mov_b32 s30, exec_lo
	v_cmpx_lt_u32_e64 v73, v2
	s_cbranch_execz .LBB1567_620
.LBB1567_654:                           ;   in Loop: Header=BB1567_566 Depth=2
	global_load_b64 v[12:13], v[20:21], off offset:768
	s_wait_alu 0xfffe
	s_or_b32 exec_lo, exec_lo, s30
	s_delay_alu instid0(SALU_CYCLE_1)
	s_mov_b32 s30, exec_lo
	v_cmpx_lt_u32_e64 v74, v2
	s_cbranch_execz .LBB1567_621
.LBB1567_655:                           ;   in Loop: Header=BB1567_566 Depth=2
	global_load_b64 v[10:11], v[20:21], off offset:1024
	s_wait_alu 0xfffe
	s_or_b32 exec_lo, exec_lo, s30
	s_delay_alu instid0(SALU_CYCLE_1)
	s_mov_b32 s30, exec_lo
	v_cmpx_lt_u32_e64 v75, v2
	s_cbranch_execz .LBB1567_622
.LBB1567_656:                           ;   in Loop: Header=BB1567_566 Depth=2
	global_load_b64 v[8:9], v[20:21], off offset:1280
	s_wait_alu 0xfffe
	s_or_b32 exec_lo, exec_lo, s30
	s_delay_alu instid0(SALU_CYCLE_1)
	s_mov_b32 s30, exec_lo
	v_cmpx_lt_u32_e64 v76, v2
	s_cbranch_execz .LBB1567_623
.LBB1567_657:                           ;   in Loop: Header=BB1567_566 Depth=2
	global_load_b64 v[6:7], v[20:21], off offset:1536
	s_wait_alu 0xfffe
	s_or_b32 exec_lo, exec_lo, s30
	s_delay_alu instid0(SALU_CYCLE_1)
	s_mov_b32 s30, exec_lo
	v_cmpx_lt_u32_e64 v77, v2
	s_cbranch_execz .LBB1567_624
.LBB1567_658:                           ;   in Loop: Header=BB1567_566 Depth=2
	global_load_b64 v[4:5], v[20:21], off offset:1792
	s_wait_alu 0xfffe
	s_or_b32 exec_lo, exec_lo, s30
	s_and_saveexec_b32 s22, s19
	s_cbranch_execz .LBB1567_625
.LBB1567_659:                           ;   in Loop: Header=BB1567_566 Depth=2
	ds_load_u8 v2, v1 offset:1024
	s_wait_dscnt 0x0
	v_lshrrev_b32_e32 v2, s45, v2
	s_delay_alu instid0(VALU_DEP_1)
	v_and_b32_e32 v93, s42, v2
	s_wait_alu 0xfffe
	s_or_b32 exec_lo, exec_lo, s22
	s_and_saveexec_b32 s22, s21
	s_cbranch_execz .LBB1567_626
.LBB1567_660:                           ;   in Loop: Header=BB1567_566 Depth=2
	ds_load_u8 v2, v1 offset:1280
	s_wait_dscnt 0x0
	v_lshrrev_b32_e32 v2, s45, v2
	s_delay_alu instid0(VALU_DEP_1)
	v_and_b32_e32 v92, s42, v2
	s_wait_alu 0xfffe
	s_or_b32 exec_lo, exec_lo, s22
	s_and_saveexec_b32 s22, s20
	s_cbranch_execz .LBB1567_627
.LBB1567_661:                           ;   in Loop: Header=BB1567_566 Depth=2
	ds_load_u8 v2, v1 offset:1536
	s_wait_dscnt 0x0
	v_lshrrev_b32_e32 v2, s45, v2
	s_delay_alu instid0(VALU_DEP_1)
	v_and_b32_e32 v91, s42, v2
	s_wait_alu 0xfffe
	s_or_b32 exec_lo, exec_lo, s22
	s_and_saveexec_b32 s22, s18
	s_cbranch_execz .LBB1567_628
.LBB1567_662:                           ;   in Loop: Header=BB1567_566 Depth=2
	ds_load_u8 v2, v1 offset:1792
	s_wait_dscnt 0x0
	v_lshrrev_b32_e32 v2, s45, v2
	s_delay_alu instid0(VALU_DEP_1)
	v_and_b32_e32 v90, s42, v2
	s_wait_alu 0xfffe
	s_or_b32 exec_lo, exec_lo, s22
	s_and_saveexec_b32 s22, s17
	s_cbranch_execz .LBB1567_629
.LBB1567_663:                           ;   in Loop: Header=BB1567_566 Depth=2
	ds_load_u8 v2, v1 offset:2048
	s_wait_dscnt 0x0
	v_lshrrev_b32_e32 v2, s45, v2
	s_delay_alu instid0(VALU_DEP_1)
	v_and_b32_e32 v89, s42, v2
	s_wait_alu 0xfffe
	s_or_b32 exec_lo, exec_lo, s22
	s_and_saveexec_b32 s22, s16
	s_cbranch_execz .LBB1567_630
.LBB1567_664:                           ;   in Loop: Header=BB1567_566 Depth=2
	ds_load_u8 v2, v1 offset:2304
	s_wait_dscnt 0x0
	v_lshrrev_b32_e32 v2, s45, v2
	s_delay_alu instid0(VALU_DEP_1)
	v_and_b32_e32 v88, s42, v2
	s_wait_alu 0xfffe
	s_or_b32 exec_lo, exec_lo, s22
	s_and_saveexec_b32 s22, s15
	s_cbranch_execz .LBB1567_631
.LBB1567_665:                           ;   in Loop: Header=BB1567_566 Depth=2
	ds_load_u8 v2, v1 offset:2560
	s_wait_dscnt 0x0
	v_lshrrev_b32_e32 v2, s45, v2
	s_delay_alu instid0(VALU_DEP_1)
	v_and_b32_e32 v87, s42, v2
	s_wait_alu 0xfffe
	s_or_b32 exec_lo, exec_lo, s22
	s_and_saveexec_b32 s22, vcc_lo
	s_cbranch_execnz .LBB1567_632
	s_branch .LBB1567_633
.LBB1567_666:                           ;   in Loop: Header=BB1567_566 Depth=2
	v_lshlrev_b32_e32 v2, 2, v93
	ds_load_b32 v2, v2
	ds_load_b64 v[23:24], v20 offset:1024
	s_wait_dscnt 0x1
	v_add_nc_u32_e32 v2, v2, v1
	s_delay_alu instid0(VALU_DEP_1) | instskip(NEXT) | instid1(VALU_DEP_1)
	v_lshlrev_b64_e32 v[25:26], 3, v[2:3]
	v_add_co_u32 v25, s19, s26, v25
	s_wait_alu 0xf1ff
	s_delay_alu instid0(VALU_DEP_2)
	v_add_co_ci_u32_e64 v26, null, s27, v26, s19
	s_wait_dscnt 0x0
	global_store_b64 v[25:26], v[23:24], off
	s_wait_alu 0xfffe
	s_or_b32 exec_lo, exec_lo, s22
	s_and_saveexec_b32 s22, s21
	s_cbranch_execz .LBB1567_635
.LBB1567_667:                           ;   in Loop: Header=BB1567_566 Depth=2
	v_lshlrev_b32_e32 v2, 2, v92
	ds_load_b32 v2, v2
	ds_load_b64 v[23:24], v20 offset:3072
	s_wait_dscnt 0x1
	v_add_nc_u32_e32 v2, v2, v29
	s_delay_alu instid0(VALU_DEP_1) | instskip(NEXT) | instid1(VALU_DEP_1)
	v_lshlrev_b64_e32 v[25:26], 3, v[2:3]
	v_add_co_u32 v25, s19, s26, v25
	s_wait_alu 0xf1ff
	s_delay_alu instid0(VALU_DEP_2)
	v_add_co_ci_u32_e64 v26, null, s27, v26, s19
	s_wait_dscnt 0x0
	global_store_b64 v[25:26], v[23:24], off
	s_wait_alu 0xfffe
	s_or_b32 exec_lo, exec_lo, s22
	s_and_saveexec_b32 s21, s20
	s_cbranch_execz .LBB1567_636
.LBB1567_668:                           ;   in Loop: Header=BB1567_566 Depth=2
	v_lshlrev_b32_e32 v2, 2, v91
	ds_load_b32 v2, v2
	ds_load_b64 v[23:24], v20 offset:5120
	s_wait_dscnt 0x1
	v_add_nc_u32_e32 v2, v2, v30
	s_delay_alu instid0(VALU_DEP_1) | instskip(NEXT) | instid1(VALU_DEP_1)
	v_lshlrev_b64_e32 v[25:26], 3, v[2:3]
	v_add_co_u32 v25, s19, s26, v25
	s_wait_alu 0xf1ff
	s_delay_alu instid0(VALU_DEP_2)
	v_add_co_ci_u32_e64 v26, null, s27, v26, s19
	s_wait_dscnt 0x0
	global_store_b64 v[25:26], v[23:24], off
	s_wait_alu 0xfffe
	s_or_b32 exec_lo, exec_lo, s21
	s_and_saveexec_b32 s19, s18
	s_cbranch_execz .LBB1567_637
.LBB1567_669:                           ;   in Loop: Header=BB1567_566 Depth=2
	v_lshlrev_b32_e32 v2, 2, v90
	ds_load_b32 v2, v2
	ds_load_b64 v[23:24], v20 offset:7168
	s_wait_dscnt 0x1
	v_add_nc_u32_e32 v2, v2, v31
	s_delay_alu instid0(VALU_DEP_1) | instskip(NEXT) | instid1(VALU_DEP_1)
	v_lshlrev_b64_e32 v[25:26], 3, v[2:3]
	v_add_co_u32 v25, s18, s26, v25
	s_wait_alu 0xf1ff
	s_delay_alu instid0(VALU_DEP_2)
	v_add_co_ci_u32_e64 v26, null, s27, v26, s18
	s_wait_dscnt 0x0
	global_store_b64 v[25:26], v[23:24], off
	s_wait_alu 0xfffe
	s_or_b32 exec_lo, exec_lo, s19
	s_and_saveexec_b32 s18, s17
	s_cbranch_execz .LBB1567_638
.LBB1567_670:                           ;   in Loop: Header=BB1567_566 Depth=2
	v_lshlrev_b32_e32 v2, 2, v89
	ds_load_b32 v2, v2
	ds_load_b64 v[23:24], v20 offset:9216
	s_wait_dscnt 0x1
	v_add_nc_u32_e32 v2, v2, v34
	s_delay_alu instid0(VALU_DEP_1) | instskip(NEXT) | instid1(VALU_DEP_1)
	v_lshlrev_b64_e32 v[25:26], 3, v[2:3]
	v_add_co_u32 v25, s17, s26, v25
	s_wait_alu 0xf1ff
	s_delay_alu instid0(VALU_DEP_2)
	v_add_co_ci_u32_e64 v26, null, s27, v26, s17
	s_wait_dscnt 0x0
	global_store_b64 v[25:26], v[23:24], off
	s_wait_alu 0xfffe
	s_or_b32 exec_lo, exec_lo, s18
	s_and_saveexec_b32 s17, s16
	s_cbranch_execz .LBB1567_639
.LBB1567_671:                           ;   in Loop: Header=BB1567_566 Depth=2
	v_lshlrev_b32_e32 v2, 2, v88
	ds_load_b32 v2, v2
	ds_load_b64 v[23:24], v20 offset:11264
	s_wait_dscnt 0x1
	v_add_nc_u32_e32 v2, v2, v35
	s_delay_alu instid0(VALU_DEP_1) | instskip(NEXT) | instid1(VALU_DEP_1)
	v_lshlrev_b64_e32 v[25:26], 3, v[2:3]
	v_add_co_u32 v25, s16, s26, v25
	s_wait_alu 0xf1ff
	s_delay_alu instid0(VALU_DEP_2)
	v_add_co_ci_u32_e64 v26, null, s27, v26, s16
	s_wait_dscnt 0x0
	global_store_b64 v[25:26], v[23:24], off
	s_wait_alu 0xfffe
	s_or_b32 exec_lo, exec_lo, s17
	s_and_saveexec_b32 s16, s15
	s_cbranch_execz .LBB1567_640
.LBB1567_672:                           ;   in Loop: Header=BB1567_566 Depth=2
	v_lshlrev_b32_e32 v2, 2, v87
	ds_load_b32 v2, v2
	ds_load_b64 v[23:24], v20 offset:13312
	s_wait_dscnt 0x1
	v_add_nc_u32_e32 v2, v2, v36
	s_delay_alu instid0(VALU_DEP_1) | instskip(NEXT) | instid1(VALU_DEP_1)
	v_lshlrev_b64_e32 v[25:26], 3, v[2:3]
	v_add_co_u32 v25, s15, s26, v25
	s_wait_alu 0xf1ff
	s_delay_alu instid0(VALU_DEP_2)
	v_add_co_ci_u32_e64 v26, null, s27, v26, s15
	s_wait_dscnt 0x0
	global_store_b64 v[25:26], v[23:24], off
	s_wait_alu 0xfffe
	s_or_b32 exec_lo, exec_lo, s16
	s_and_saveexec_b32 s15, vcc_lo
	s_cbranch_execnz .LBB1567_641
	s_branch .LBB1567_642
.LBB1567_673:                           ;   in Loop: Header=BB1567_566 Depth=2
	global_load_u8 v95, v[20:21], off offset:32
	s_wait_alu 0xfffe
	s_or_b32 exec_lo, exec_lo, s15
	s_delay_alu instid0(SALU_CYCLE_1)
	s_mov_b32 s15, exec_lo
	v_cmpx_gt_u32_e64 s43, v72
	s_cbranch_execz .LBB1567_573
.LBB1567_674:                           ;   in Loop: Header=BB1567_566 Depth=2
	global_load_u8 v22, v[20:21], off offset:64
	s_wait_alu 0xfffe
	s_or_b32 exec_lo, exec_lo, s15
	s_delay_alu instid0(SALU_CYCLE_1)
	s_mov_b32 s15, exec_lo
	v_cmpx_gt_u32_e64 s43, v73
	s_cbranch_execz .LBB1567_574
.LBB1567_675:                           ;   in Loop: Header=BB1567_566 Depth=2
	global_load_u8 v26, v[20:21], off offset:96
	s_wait_alu 0xfffe
	s_or_b32 exec_lo, exec_lo, s15
	s_delay_alu instid0(SALU_CYCLE_1)
	s_mov_b32 s15, exec_lo
	v_cmpx_gt_u32_e64 s43, v74
	s_cbranch_execz .LBB1567_575
.LBB1567_676:                           ;   in Loop: Header=BB1567_566 Depth=2
	global_load_u8 v23, v[20:21], off offset:128
	s_wait_alu 0xfffe
	s_or_b32 exec_lo, exec_lo, s15
	s_delay_alu instid0(SALU_CYCLE_1)
	s_mov_b32 s15, exec_lo
	v_cmpx_gt_u32_e64 s43, v75
	s_cbranch_execz .LBB1567_576
.LBB1567_677:                           ;   in Loop: Header=BB1567_566 Depth=2
	global_load_u8 v24, v[20:21], off offset:160
	s_wait_alu 0xfffe
	s_or_b32 exec_lo, exec_lo, s15
	s_delay_alu instid0(SALU_CYCLE_1)
	s_mov_b32 s15, exec_lo
	v_cmpx_gt_u32_e64 s43, v76
	s_cbranch_execnz .LBB1567_577
	s_branch .LBB1567_578
.LBB1567_678:
	s_endpgm
	.section	.rodata,"a",@progbits
	.p2align	6, 0x0
	.amdhsa_kernel _ZN7rocprim17ROCPRIM_400000_NS6detail17trampoline_kernelINS0_14default_configENS1_36segmented_radix_sort_config_selectorIblEEZNS1_25segmented_radix_sort_implIS3_Lb1EPKbPbPKlPlN2at6native12_GLOBAL__N_18offset_tEEE10hipError_tPvRmT1_PNSt15iterator_traitsISK_E10value_typeET2_T3_PNSL_ISQ_E10value_typeET4_jRbjT5_SW_jjP12ihipStream_tbEUlT_E2_NS1_11comp_targetILNS1_3genE10ELNS1_11target_archE1201ELNS1_3gpuE5ELNS1_3repE0EEENS1_30default_config_static_selectorELNS0_4arch9wavefront6targetE0EEEvSK_
		.amdhsa_group_segment_fixed_size 17440
		.amdhsa_private_segment_fixed_size 12
		.amdhsa_kernarg_size 336
		.amdhsa_user_sgpr_count 2
		.amdhsa_user_sgpr_dispatch_ptr 0
		.amdhsa_user_sgpr_queue_ptr 0
		.amdhsa_user_sgpr_kernarg_segment_ptr 1
		.amdhsa_user_sgpr_dispatch_id 0
		.amdhsa_user_sgpr_private_segment_size 0
		.amdhsa_wavefront_size32 1
		.amdhsa_uses_dynamic_stack 0
		.amdhsa_enable_private_segment 1
		.amdhsa_system_sgpr_workgroup_id_x 1
		.amdhsa_system_sgpr_workgroup_id_y 1
		.amdhsa_system_sgpr_workgroup_id_z 0
		.amdhsa_system_sgpr_workgroup_info 0
		.amdhsa_system_vgpr_workitem_id 2
		.amdhsa_next_free_vgpr 197
		.amdhsa_next_free_sgpr 50
		.amdhsa_reserve_vcc 1
		.amdhsa_float_round_mode_32 0
		.amdhsa_float_round_mode_16_64 0
		.amdhsa_float_denorm_mode_32 3
		.amdhsa_float_denorm_mode_16_64 3
		.amdhsa_fp16_overflow 0
		.amdhsa_workgroup_processor_mode 1
		.amdhsa_memory_ordered 1
		.amdhsa_forward_progress 1
		.amdhsa_inst_pref_size 255
		.amdhsa_round_robin_scheduling 0
		.amdhsa_exception_fp_ieee_invalid_op 0
		.amdhsa_exception_fp_denorm_src 0
		.amdhsa_exception_fp_ieee_div_zero 0
		.amdhsa_exception_fp_ieee_overflow 0
		.amdhsa_exception_fp_ieee_underflow 0
		.amdhsa_exception_fp_ieee_inexact 0
		.amdhsa_exception_int_div_zero 0
	.end_amdhsa_kernel
	.section	.text._ZN7rocprim17ROCPRIM_400000_NS6detail17trampoline_kernelINS0_14default_configENS1_36segmented_radix_sort_config_selectorIblEEZNS1_25segmented_radix_sort_implIS3_Lb1EPKbPbPKlPlN2at6native12_GLOBAL__N_18offset_tEEE10hipError_tPvRmT1_PNSt15iterator_traitsISK_E10value_typeET2_T3_PNSL_ISQ_E10value_typeET4_jRbjT5_SW_jjP12ihipStream_tbEUlT_E2_NS1_11comp_targetILNS1_3genE10ELNS1_11target_archE1201ELNS1_3gpuE5ELNS1_3repE0EEENS1_30default_config_static_selectorELNS0_4arch9wavefront6targetE0EEEvSK_,"axG",@progbits,_ZN7rocprim17ROCPRIM_400000_NS6detail17trampoline_kernelINS0_14default_configENS1_36segmented_radix_sort_config_selectorIblEEZNS1_25segmented_radix_sort_implIS3_Lb1EPKbPbPKlPlN2at6native12_GLOBAL__N_18offset_tEEE10hipError_tPvRmT1_PNSt15iterator_traitsISK_E10value_typeET2_T3_PNSL_ISQ_E10value_typeET4_jRbjT5_SW_jjP12ihipStream_tbEUlT_E2_NS1_11comp_targetILNS1_3genE10ELNS1_11target_archE1201ELNS1_3gpuE5ELNS1_3repE0EEENS1_30default_config_static_selectorELNS0_4arch9wavefront6targetE0EEEvSK_,comdat
.Lfunc_end1567:
	.size	_ZN7rocprim17ROCPRIM_400000_NS6detail17trampoline_kernelINS0_14default_configENS1_36segmented_radix_sort_config_selectorIblEEZNS1_25segmented_radix_sort_implIS3_Lb1EPKbPbPKlPlN2at6native12_GLOBAL__N_18offset_tEEE10hipError_tPvRmT1_PNSt15iterator_traitsISK_E10value_typeET2_T3_PNSL_ISQ_E10value_typeET4_jRbjT5_SW_jjP12ihipStream_tbEUlT_E2_NS1_11comp_targetILNS1_3genE10ELNS1_11target_archE1201ELNS1_3gpuE5ELNS1_3repE0EEENS1_30default_config_static_selectorELNS0_4arch9wavefront6targetE0EEEvSK_, .Lfunc_end1567-_ZN7rocprim17ROCPRIM_400000_NS6detail17trampoline_kernelINS0_14default_configENS1_36segmented_radix_sort_config_selectorIblEEZNS1_25segmented_radix_sort_implIS3_Lb1EPKbPbPKlPlN2at6native12_GLOBAL__N_18offset_tEEE10hipError_tPvRmT1_PNSt15iterator_traitsISK_E10value_typeET2_T3_PNSL_ISQ_E10value_typeET4_jRbjT5_SW_jjP12ihipStream_tbEUlT_E2_NS1_11comp_targetILNS1_3genE10ELNS1_11target_archE1201ELNS1_3gpuE5ELNS1_3repE0EEENS1_30default_config_static_selectorELNS0_4arch9wavefront6targetE0EEEvSK_
                                        ; -- End function
	.set _ZN7rocprim17ROCPRIM_400000_NS6detail17trampoline_kernelINS0_14default_configENS1_36segmented_radix_sort_config_selectorIblEEZNS1_25segmented_radix_sort_implIS3_Lb1EPKbPbPKlPlN2at6native12_GLOBAL__N_18offset_tEEE10hipError_tPvRmT1_PNSt15iterator_traitsISK_E10value_typeET2_T3_PNSL_ISQ_E10value_typeET4_jRbjT5_SW_jjP12ihipStream_tbEUlT_E2_NS1_11comp_targetILNS1_3genE10ELNS1_11target_archE1201ELNS1_3gpuE5ELNS1_3repE0EEENS1_30default_config_static_selectorELNS0_4arch9wavefront6targetE0EEEvSK_.num_vgpr, max(133, .L_ZN7rocprim17ROCPRIM_400000_NS6detail26segmented_warp_sort_helperINS1_20WarpSortHelperConfigILj8ELj4ELj256EEEblLi256ELb1EvE4sortIPKbPbPKlPlEEvT_T0_T1_T2_jjjjRNS5_12storage_typeE.num_vgpr, .L_ZN7rocprim17ROCPRIM_400000_NS6detail40segmented_radix_sort_single_block_helperIblLj256ELj8ELb1EE4sortIPKbPbPKlPlEEbT_T0_T1_T2_jjjjRNS3_12storage_typeE.num_vgpr)
	.set _ZN7rocprim17ROCPRIM_400000_NS6detail17trampoline_kernelINS0_14default_configENS1_36segmented_radix_sort_config_selectorIblEEZNS1_25segmented_radix_sort_implIS3_Lb1EPKbPbPKlPlN2at6native12_GLOBAL__N_18offset_tEEE10hipError_tPvRmT1_PNSt15iterator_traitsISK_E10value_typeET2_T3_PNSL_ISQ_E10value_typeET4_jRbjT5_SW_jjP12ihipStream_tbEUlT_E2_NS1_11comp_targetILNS1_3genE10ELNS1_11target_archE1201ELNS1_3gpuE5ELNS1_3repE0EEENS1_30default_config_static_selectorELNS0_4arch9wavefront6targetE0EEEvSK_.num_agpr, max(0, .L_ZN7rocprim17ROCPRIM_400000_NS6detail26segmented_warp_sort_helperINS1_20WarpSortHelperConfigILj8ELj4ELj256EEEblLi256ELb1EvE4sortIPKbPbPKlPlEEvT_T0_T1_T2_jjjjRNS5_12storage_typeE.num_agpr, .L_ZN7rocprim17ROCPRIM_400000_NS6detail40segmented_radix_sort_single_block_helperIblLj256ELj8ELb1EE4sortIPKbPbPKlPlEEbT_T0_T1_T2_jjjjRNS3_12storage_typeE.num_agpr)
	.set _ZN7rocprim17ROCPRIM_400000_NS6detail17trampoline_kernelINS0_14default_configENS1_36segmented_radix_sort_config_selectorIblEEZNS1_25segmented_radix_sort_implIS3_Lb1EPKbPbPKlPlN2at6native12_GLOBAL__N_18offset_tEEE10hipError_tPvRmT1_PNSt15iterator_traitsISK_E10value_typeET2_T3_PNSL_ISQ_E10value_typeET4_jRbjT5_SW_jjP12ihipStream_tbEUlT_E2_NS1_11comp_targetILNS1_3genE10ELNS1_11target_archE1201ELNS1_3gpuE5ELNS1_3repE0EEENS1_30default_config_static_selectorELNS0_4arch9wavefront6targetE0EEEvSK_.numbered_sgpr, max(50, .L_ZN7rocprim17ROCPRIM_400000_NS6detail26segmented_warp_sort_helperINS1_20WarpSortHelperConfigILj8ELj4ELj256EEEblLi256ELb1EvE4sortIPKbPbPKlPlEEvT_T0_T1_T2_jjjjRNS5_12storage_typeE.numbered_sgpr, .L_ZN7rocprim17ROCPRIM_400000_NS6detail40segmented_radix_sort_single_block_helperIblLj256ELj8ELb1EE4sortIPKbPbPKlPlEEbT_T0_T1_T2_jjjjRNS3_12storage_typeE.numbered_sgpr)
	.set _ZN7rocprim17ROCPRIM_400000_NS6detail17trampoline_kernelINS0_14default_configENS1_36segmented_radix_sort_config_selectorIblEEZNS1_25segmented_radix_sort_implIS3_Lb1EPKbPbPKlPlN2at6native12_GLOBAL__N_18offset_tEEE10hipError_tPvRmT1_PNSt15iterator_traitsISK_E10value_typeET2_T3_PNSL_ISQ_E10value_typeET4_jRbjT5_SW_jjP12ihipStream_tbEUlT_E2_NS1_11comp_targetILNS1_3genE10ELNS1_11target_archE1201ELNS1_3gpuE5ELNS1_3repE0EEENS1_30default_config_static_selectorELNS0_4arch9wavefront6targetE0EEEvSK_.num_named_barrier, max(0, .L_ZN7rocprim17ROCPRIM_400000_NS6detail26segmented_warp_sort_helperINS1_20WarpSortHelperConfigILj8ELj4ELj256EEEblLi256ELb1EvE4sortIPKbPbPKlPlEEvT_T0_T1_T2_jjjjRNS5_12storage_typeE.num_named_barrier, .L_ZN7rocprim17ROCPRIM_400000_NS6detail40segmented_radix_sort_single_block_helperIblLj256ELj8ELb1EE4sortIPKbPbPKlPlEEbT_T0_T1_T2_jjjjRNS3_12storage_typeE.num_named_barrier)
	.set _ZN7rocprim17ROCPRIM_400000_NS6detail17trampoline_kernelINS0_14default_configENS1_36segmented_radix_sort_config_selectorIblEEZNS1_25segmented_radix_sort_implIS3_Lb1EPKbPbPKlPlN2at6native12_GLOBAL__N_18offset_tEEE10hipError_tPvRmT1_PNSt15iterator_traitsISK_E10value_typeET2_T3_PNSL_ISQ_E10value_typeET4_jRbjT5_SW_jjP12ihipStream_tbEUlT_E2_NS1_11comp_targetILNS1_3genE10ELNS1_11target_archE1201ELNS1_3gpuE5ELNS1_3repE0EEENS1_30default_config_static_selectorELNS0_4arch9wavefront6targetE0EEEvSK_.private_seg_size, 0+max(.L_ZN7rocprim17ROCPRIM_400000_NS6detail26segmented_warp_sort_helperINS1_20WarpSortHelperConfigILj8ELj4ELj256EEEblLi256ELb1EvE4sortIPKbPbPKlPlEEvT_T0_T1_T2_jjjjRNS5_12storage_typeE.private_seg_size, .L_ZN7rocprim17ROCPRIM_400000_NS6detail40segmented_radix_sort_single_block_helperIblLj256ELj8ELb1EE4sortIPKbPbPKlPlEEbT_T0_T1_T2_jjjjRNS3_12storage_typeE.private_seg_size)
	.set _ZN7rocprim17ROCPRIM_400000_NS6detail17trampoline_kernelINS0_14default_configENS1_36segmented_radix_sort_config_selectorIblEEZNS1_25segmented_radix_sort_implIS3_Lb1EPKbPbPKlPlN2at6native12_GLOBAL__N_18offset_tEEE10hipError_tPvRmT1_PNSt15iterator_traitsISK_E10value_typeET2_T3_PNSL_ISQ_E10value_typeET4_jRbjT5_SW_jjP12ihipStream_tbEUlT_E2_NS1_11comp_targetILNS1_3genE10ELNS1_11target_archE1201ELNS1_3gpuE5ELNS1_3repE0EEENS1_30default_config_static_selectorELNS0_4arch9wavefront6targetE0EEEvSK_.uses_vcc, or(1, .L_ZN7rocprim17ROCPRIM_400000_NS6detail26segmented_warp_sort_helperINS1_20WarpSortHelperConfigILj8ELj4ELj256EEEblLi256ELb1EvE4sortIPKbPbPKlPlEEvT_T0_T1_T2_jjjjRNS5_12storage_typeE.uses_vcc, .L_ZN7rocprim17ROCPRIM_400000_NS6detail40segmented_radix_sort_single_block_helperIblLj256ELj8ELb1EE4sortIPKbPbPKlPlEEbT_T0_T1_T2_jjjjRNS3_12storage_typeE.uses_vcc)
	.set _ZN7rocprim17ROCPRIM_400000_NS6detail17trampoline_kernelINS0_14default_configENS1_36segmented_radix_sort_config_selectorIblEEZNS1_25segmented_radix_sort_implIS3_Lb1EPKbPbPKlPlN2at6native12_GLOBAL__N_18offset_tEEE10hipError_tPvRmT1_PNSt15iterator_traitsISK_E10value_typeET2_T3_PNSL_ISQ_E10value_typeET4_jRbjT5_SW_jjP12ihipStream_tbEUlT_E2_NS1_11comp_targetILNS1_3genE10ELNS1_11target_archE1201ELNS1_3gpuE5ELNS1_3repE0EEENS1_30default_config_static_selectorELNS0_4arch9wavefront6targetE0EEEvSK_.uses_flat_scratch, or(0, .L_ZN7rocprim17ROCPRIM_400000_NS6detail26segmented_warp_sort_helperINS1_20WarpSortHelperConfigILj8ELj4ELj256EEEblLi256ELb1EvE4sortIPKbPbPKlPlEEvT_T0_T1_T2_jjjjRNS5_12storage_typeE.uses_flat_scratch, .L_ZN7rocprim17ROCPRIM_400000_NS6detail40segmented_radix_sort_single_block_helperIblLj256ELj8ELb1EE4sortIPKbPbPKlPlEEbT_T0_T1_T2_jjjjRNS3_12storage_typeE.uses_flat_scratch)
	.set _ZN7rocprim17ROCPRIM_400000_NS6detail17trampoline_kernelINS0_14default_configENS1_36segmented_radix_sort_config_selectorIblEEZNS1_25segmented_radix_sort_implIS3_Lb1EPKbPbPKlPlN2at6native12_GLOBAL__N_18offset_tEEE10hipError_tPvRmT1_PNSt15iterator_traitsISK_E10value_typeET2_T3_PNSL_ISQ_E10value_typeET4_jRbjT5_SW_jjP12ihipStream_tbEUlT_E2_NS1_11comp_targetILNS1_3genE10ELNS1_11target_archE1201ELNS1_3gpuE5ELNS1_3repE0EEENS1_30default_config_static_selectorELNS0_4arch9wavefront6targetE0EEEvSK_.has_dyn_sized_stack, or(0, .L_ZN7rocprim17ROCPRIM_400000_NS6detail26segmented_warp_sort_helperINS1_20WarpSortHelperConfigILj8ELj4ELj256EEEblLi256ELb1EvE4sortIPKbPbPKlPlEEvT_T0_T1_T2_jjjjRNS5_12storage_typeE.has_dyn_sized_stack, .L_ZN7rocprim17ROCPRIM_400000_NS6detail40segmented_radix_sort_single_block_helperIblLj256ELj8ELb1EE4sortIPKbPbPKlPlEEbT_T0_T1_T2_jjjjRNS3_12storage_typeE.has_dyn_sized_stack)
	.set _ZN7rocprim17ROCPRIM_400000_NS6detail17trampoline_kernelINS0_14default_configENS1_36segmented_radix_sort_config_selectorIblEEZNS1_25segmented_radix_sort_implIS3_Lb1EPKbPbPKlPlN2at6native12_GLOBAL__N_18offset_tEEE10hipError_tPvRmT1_PNSt15iterator_traitsISK_E10value_typeET2_T3_PNSL_ISQ_E10value_typeET4_jRbjT5_SW_jjP12ihipStream_tbEUlT_E2_NS1_11comp_targetILNS1_3genE10ELNS1_11target_archE1201ELNS1_3gpuE5ELNS1_3repE0EEENS1_30default_config_static_selectorELNS0_4arch9wavefront6targetE0EEEvSK_.has_recursion, or(0, .L_ZN7rocprim17ROCPRIM_400000_NS6detail26segmented_warp_sort_helperINS1_20WarpSortHelperConfigILj8ELj4ELj256EEEblLi256ELb1EvE4sortIPKbPbPKlPlEEvT_T0_T1_T2_jjjjRNS5_12storage_typeE.has_recursion, .L_ZN7rocprim17ROCPRIM_400000_NS6detail40segmented_radix_sort_single_block_helperIblLj256ELj8ELb1EE4sortIPKbPbPKlPlEEbT_T0_T1_T2_jjjjRNS3_12storage_typeE.has_recursion)
	.set _ZN7rocprim17ROCPRIM_400000_NS6detail17trampoline_kernelINS0_14default_configENS1_36segmented_radix_sort_config_selectorIblEEZNS1_25segmented_radix_sort_implIS3_Lb1EPKbPbPKlPlN2at6native12_GLOBAL__N_18offset_tEEE10hipError_tPvRmT1_PNSt15iterator_traitsISK_E10value_typeET2_T3_PNSL_ISQ_E10value_typeET4_jRbjT5_SW_jjP12ihipStream_tbEUlT_E2_NS1_11comp_targetILNS1_3genE10ELNS1_11target_archE1201ELNS1_3gpuE5ELNS1_3repE0EEENS1_30default_config_static_selectorELNS0_4arch9wavefront6targetE0EEEvSK_.has_indirect_call, or(0, .L_ZN7rocprim17ROCPRIM_400000_NS6detail26segmented_warp_sort_helperINS1_20WarpSortHelperConfigILj8ELj4ELj256EEEblLi256ELb1EvE4sortIPKbPbPKlPlEEvT_T0_T1_T2_jjjjRNS5_12storage_typeE.has_indirect_call, .L_ZN7rocprim17ROCPRIM_400000_NS6detail40segmented_radix_sort_single_block_helperIblLj256ELj8ELb1EE4sortIPKbPbPKlPlEEbT_T0_T1_T2_jjjjRNS3_12storage_typeE.has_indirect_call)
	.section	.AMDGPU.csdata,"",@progbits
; Kernel info:
; codeLenInByte = 36676
; TotalNumSgprs: 52
; NumVgprs: 197
; ScratchSize: 12
; MemoryBound: 0
; FloatMode: 240
; IeeeMode: 1
; LDSByteSize: 17440 bytes/workgroup (compile time only)
; SGPRBlocks: 0
; VGPRBlocks: 24
; NumSGPRsForWavesPerEU: 52
; NumVGPRsForWavesPerEU: 197
; Occupancy: 7
; WaveLimiterHint : 1
; COMPUTE_PGM_RSRC2:SCRATCH_EN: 1
; COMPUTE_PGM_RSRC2:USER_SGPR: 2
; COMPUTE_PGM_RSRC2:TRAP_HANDLER: 0
; COMPUTE_PGM_RSRC2:TGID_X_EN: 1
; COMPUTE_PGM_RSRC2:TGID_Y_EN: 1
; COMPUTE_PGM_RSRC2:TGID_Z_EN: 0
; COMPUTE_PGM_RSRC2:TIDIG_COMP_CNT: 2
	.section	.text._ZN7rocprim17ROCPRIM_400000_NS6detail17trampoline_kernelINS0_14default_configENS1_36segmented_radix_sort_config_selectorIblEEZNS1_25segmented_radix_sort_implIS3_Lb1EPKbPbPKlPlN2at6native12_GLOBAL__N_18offset_tEEE10hipError_tPvRmT1_PNSt15iterator_traitsISK_E10value_typeET2_T3_PNSL_ISQ_E10value_typeET4_jRbjT5_SW_jjP12ihipStream_tbEUlT_E2_NS1_11comp_targetILNS1_3genE10ELNS1_11target_archE1200ELNS1_3gpuE4ELNS1_3repE0EEENS1_30default_config_static_selectorELNS0_4arch9wavefront6targetE0EEEvSK_,"axG",@progbits,_ZN7rocprim17ROCPRIM_400000_NS6detail17trampoline_kernelINS0_14default_configENS1_36segmented_radix_sort_config_selectorIblEEZNS1_25segmented_radix_sort_implIS3_Lb1EPKbPbPKlPlN2at6native12_GLOBAL__N_18offset_tEEE10hipError_tPvRmT1_PNSt15iterator_traitsISK_E10value_typeET2_T3_PNSL_ISQ_E10value_typeET4_jRbjT5_SW_jjP12ihipStream_tbEUlT_E2_NS1_11comp_targetILNS1_3genE10ELNS1_11target_archE1200ELNS1_3gpuE4ELNS1_3repE0EEENS1_30default_config_static_selectorELNS0_4arch9wavefront6targetE0EEEvSK_,comdat
	.globl	_ZN7rocprim17ROCPRIM_400000_NS6detail17trampoline_kernelINS0_14default_configENS1_36segmented_radix_sort_config_selectorIblEEZNS1_25segmented_radix_sort_implIS3_Lb1EPKbPbPKlPlN2at6native12_GLOBAL__N_18offset_tEEE10hipError_tPvRmT1_PNSt15iterator_traitsISK_E10value_typeET2_T3_PNSL_ISQ_E10value_typeET4_jRbjT5_SW_jjP12ihipStream_tbEUlT_E2_NS1_11comp_targetILNS1_3genE10ELNS1_11target_archE1200ELNS1_3gpuE4ELNS1_3repE0EEENS1_30default_config_static_selectorELNS0_4arch9wavefront6targetE0EEEvSK_ ; -- Begin function _ZN7rocprim17ROCPRIM_400000_NS6detail17trampoline_kernelINS0_14default_configENS1_36segmented_radix_sort_config_selectorIblEEZNS1_25segmented_radix_sort_implIS3_Lb1EPKbPbPKlPlN2at6native12_GLOBAL__N_18offset_tEEE10hipError_tPvRmT1_PNSt15iterator_traitsISK_E10value_typeET2_T3_PNSL_ISQ_E10value_typeET4_jRbjT5_SW_jjP12ihipStream_tbEUlT_E2_NS1_11comp_targetILNS1_3genE10ELNS1_11target_archE1200ELNS1_3gpuE4ELNS1_3repE0EEENS1_30default_config_static_selectorELNS0_4arch9wavefront6targetE0EEEvSK_
	.p2align	8
	.type	_ZN7rocprim17ROCPRIM_400000_NS6detail17trampoline_kernelINS0_14default_configENS1_36segmented_radix_sort_config_selectorIblEEZNS1_25segmented_radix_sort_implIS3_Lb1EPKbPbPKlPlN2at6native12_GLOBAL__N_18offset_tEEE10hipError_tPvRmT1_PNSt15iterator_traitsISK_E10value_typeET2_T3_PNSL_ISQ_E10value_typeET4_jRbjT5_SW_jjP12ihipStream_tbEUlT_E2_NS1_11comp_targetILNS1_3genE10ELNS1_11target_archE1200ELNS1_3gpuE4ELNS1_3repE0EEENS1_30default_config_static_selectorELNS0_4arch9wavefront6targetE0EEEvSK_,@function
_ZN7rocprim17ROCPRIM_400000_NS6detail17trampoline_kernelINS0_14default_configENS1_36segmented_radix_sort_config_selectorIblEEZNS1_25segmented_radix_sort_implIS3_Lb1EPKbPbPKlPlN2at6native12_GLOBAL__N_18offset_tEEE10hipError_tPvRmT1_PNSt15iterator_traitsISK_E10value_typeET2_T3_PNSL_ISQ_E10value_typeET4_jRbjT5_SW_jjP12ihipStream_tbEUlT_E2_NS1_11comp_targetILNS1_3genE10ELNS1_11target_archE1200ELNS1_3gpuE4ELNS1_3repE0EEENS1_30default_config_static_selectorELNS0_4arch9wavefront6targetE0EEEvSK_: ; @_ZN7rocprim17ROCPRIM_400000_NS6detail17trampoline_kernelINS0_14default_configENS1_36segmented_radix_sort_config_selectorIblEEZNS1_25segmented_radix_sort_implIS3_Lb1EPKbPbPKlPlN2at6native12_GLOBAL__N_18offset_tEEE10hipError_tPvRmT1_PNSt15iterator_traitsISK_E10value_typeET2_T3_PNSL_ISQ_E10value_typeET4_jRbjT5_SW_jjP12ihipStream_tbEUlT_E2_NS1_11comp_targetILNS1_3genE10ELNS1_11target_archE1200ELNS1_3gpuE4ELNS1_3repE0EEENS1_30default_config_static_selectorELNS0_4arch9wavefront6targetE0EEEvSK_
; %bb.0:
	.section	.rodata,"a",@progbits
	.p2align	6, 0x0
	.amdhsa_kernel _ZN7rocprim17ROCPRIM_400000_NS6detail17trampoline_kernelINS0_14default_configENS1_36segmented_radix_sort_config_selectorIblEEZNS1_25segmented_radix_sort_implIS3_Lb1EPKbPbPKlPlN2at6native12_GLOBAL__N_18offset_tEEE10hipError_tPvRmT1_PNSt15iterator_traitsISK_E10value_typeET2_T3_PNSL_ISQ_E10value_typeET4_jRbjT5_SW_jjP12ihipStream_tbEUlT_E2_NS1_11comp_targetILNS1_3genE10ELNS1_11target_archE1200ELNS1_3gpuE4ELNS1_3repE0EEENS1_30default_config_static_selectorELNS0_4arch9wavefront6targetE0EEEvSK_
		.amdhsa_group_segment_fixed_size 0
		.amdhsa_private_segment_fixed_size 0
		.amdhsa_kernarg_size 80
		.amdhsa_user_sgpr_count 2
		.amdhsa_user_sgpr_dispatch_ptr 0
		.amdhsa_user_sgpr_queue_ptr 0
		.amdhsa_user_sgpr_kernarg_segment_ptr 1
		.amdhsa_user_sgpr_dispatch_id 0
		.amdhsa_user_sgpr_private_segment_size 0
		.amdhsa_wavefront_size32 1
		.amdhsa_uses_dynamic_stack 0
		.amdhsa_enable_private_segment 0
		.amdhsa_system_sgpr_workgroup_id_x 1
		.amdhsa_system_sgpr_workgroup_id_y 0
		.amdhsa_system_sgpr_workgroup_id_z 0
		.amdhsa_system_sgpr_workgroup_info 0
		.amdhsa_system_vgpr_workitem_id 0
		.amdhsa_next_free_vgpr 1
		.amdhsa_next_free_sgpr 1
		.amdhsa_reserve_vcc 0
		.amdhsa_float_round_mode_32 0
		.amdhsa_float_round_mode_16_64 0
		.amdhsa_float_denorm_mode_32 3
		.amdhsa_float_denorm_mode_16_64 3
		.amdhsa_fp16_overflow 0
		.amdhsa_workgroup_processor_mode 1
		.amdhsa_memory_ordered 1
		.amdhsa_forward_progress 1
		.amdhsa_inst_pref_size 0
		.amdhsa_round_robin_scheduling 0
		.amdhsa_exception_fp_ieee_invalid_op 0
		.amdhsa_exception_fp_denorm_src 0
		.amdhsa_exception_fp_ieee_div_zero 0
		.amdhsa_exception_fp_ieee_overflow 0
		.amdhsa_exception_fp_ieee_underflow 0
		.amdhsa_exception_fp_ieee_inexact 0
		.amdhsa_exception_int_div_zero 0
	.end_amdhsa_kernel
	.section	.text._ZN7rocprim17ROCPRIM_400000_NS6detail17trampoline_kernelINS0_14default_configENS1_36segmented_radix_sort_config_selectorIblEEZNS1_25segmented_radix_sort_implIS3_Lb1EPKbPbPKlPlN2at6native12_GLOBAL__N_18offset_tEEE10hipError_tPvRmT1_PNSt15iterator_traitsISK_E10value_typeET2_T3_PNSL_ISQ_E10value_typeET4_jRbjT5_SW_jjP12ihipStream_tbEUlT_E2_NS1_11comp_targetILNS1_3genE10ELNS1_11target_archE1200ELNS1_3gpuE4ELNS1_3repE0EEENS1_30default_config_static_selectorELNS0_4arch9wavefront6targetE0EEEvSK_,"axG",@progbits,_ZN7rocprim17ROCPRIM_400000_NS6detail17trampoline_kernelINS0_14default_configENS1_36segmented_radix_sort_config_selectorIblEEZNS1_25segmented_radix_sort_implIS3_Lb1EPKbPbPKlPlN2at6native12_GLOBAL__N_18offset_tEEE10hipError_tPvRmT1_PNSt15iterator_traitsISK_E10value_typeET2_T3_PNSL_ISQ_E10value_typeET4_jRbjT5_SW_jjP12ihipStream_tbEUlT_E2_NS1_11comp_targetILNS1_3genE10ELNS1_11target_archE1200ELNS1_3gpuE4ELNS1_3repE0EEENS1_30default_config_static_selectorELNS0_4arch9wavefront6targetE0EEEvSK_,comdat
.Lfunc_end1568:
	.size	_ZN7rocprim17ROCPRIM_400000_NS6detail17trampoline_kernelINS0_14default_configENS1_36segmented_radix_sort_config_selectorIblEEZNS1_25segmented_radix_sort_implIS3_Lb1EPKbPbPKlPlN2at6native12_GLOBAL__N_18offset_tEEE10hipError_tPvRmT1_PNSt15iterator_traitsISK_E10value_typeET2_T3_PNSL_ISQ_E10value_typeET4_jRbjT5_SW_jjP12ihipStream_tbEUlT_E2_NS1_11comp_targetILNS1_3genE10ELNS1_11target_archE1200ELNS1_3gpuE4ELNS1_3repE0EEENS1_30default_config_static_selectorELNS0_4arch9wavefront6targetE0EEEvSK_, .Lfunc_end1568-_ZN7rocprim17ROCPRIM_400000_NS6detail17trampoline_kernelINS0_14default_configENS1_36segmented_radix_sort_config_selectorIblEEZNS1_25segmented_radix_sort_implIS3_Lb1EPKbPbPKlPlN2at6native12_GLOBAL__N_18offset_tEEE10hipError_tPvRmT1_PNSt15iterator_traitsISK_E10value_typeET2_T3_PNSL_ISQ_E10value_typeET4_jRbjT5_SW_jjP12ihipStream_tbEUlT_E2_NS1_11comp_targetILNS1_3genE10ELNS1_11target_archE1200ELNS1_3gpuE4ELNS1_3repE0EEENS1_30default_config_static_selectorELNS0_4arch9wavefront6targetE0EEEvSK_
                                        ; -- End function
	.set _ZN7rocprim17ROCPRIM_400000_NS6detail17trampoline_kernelINS0_14default_configENS1_36segmented_radix_sort_config_selectorIblEEZNS1_25segmented_radix_sort_implIS3_Lb1EPKbPbPKlPlN2at6native12_GLOBAL__N_18offset_tEEE10hipError_tPvRmT1_PNSt15iterator_traitsISK_E10value_typeET2_T3_PNSL_ISQ_E10value_typeET4_jRbjT5_SW_jjP12ihipStream_tbEUlT_E2_NS1_11comp_targetILNS1_3genE10ELNS1_11target_archE1200ELNS1_3gpuE4ELNS1_3repE0EEENS1_30default_config_static_selectorELNS0_4arch9wavefront6targetE0EEEvSK_.num_vgpr, 0
	.set _ZN7rocprim17ROCPRIM_400000_NS6detail17trampoline_kernelINS0_14default_configENS1_36segmented_radix_sort_config_selectorIblEEZNS1_25segmented_radix_sort_implIS3_Lb1EPKbPbPKlPlN2at6native12_GLOBAL__N_18offset_tEEE10hipError_tPvRmT1_PNSt15iterator_traitsISK_E10value_typeET2_T3_PNSL_ISQ_E10value_typeET4_jRbjT5_SW_jjP12ihipStream_tbEUlT_E2_NS1_11comp_targetILNS1_3genE10ELNS1_11target_archE1200ELNS1_3gpuE4ELNS1_3repE0EEENS1_30default_config_static_selectorELNS0_4arch9wavefront6targetE0EEEvSK_.num_agpr, 0
	.set _ZN7rocprim17ROCPRIM_400000_NS6detail17trampoline_kernelINS0_14default_configENS1_36segmented_radix_sort_config_selectorIblEEZNS1_25segmented_radix_sort_implIS3_Lb1EPKbPbPKlPlN2at6native12_GLOBAL__N_18offset_tEEE10hipError_tPvRmT1_PNSt15iterator_traitsISK_E10value_typeET2_T3_PNSL_ISQ_E10value_typeET4_jRbjT5_SW_jjP12ihipStream_tbEUlT_E2_NS1_11comp_targetILNS1_3genE10ELNS1_11target_archE1200ELNS1_3gpuE4ELNS1_3repE0EEENS1_30default_config_static_selectorELNS0_4arch9wavefront6targetE0EEEvSK_.numbered_sgpr, 0
	.set _ZN7rocprim17ROCPRIM_400000_NS6detail17trampoline_kernelINS0_14default_configENS1_36segmented_radix_sort_config_selectorIblEEZNS1_25segmented_radix_sort_implIS3_Lb1EPKbPbPKlPlN2at6native12_GLOBAL__N_18offset_tEEE10hipError_tPvRmT1_PNSt15iterator_traitsISK_E10value_typeET2_T3_PNSL_ISQ_E10value_typeET4_jRbjT5_SW_jjP12ihipStream_tbEUlT_E2_NS1_11comp_targetILNS1_3genE10ELNS1_11target_archE1200ELNS1_3gpuE4ELNS1_3repE0EEENS1_30default_config_static_selectorELNS0_4arch9wavefront6targetE0EEEvSK_.num_named_barrier, 0
	.set _ZN7rocprim17ROCPRIM_400000_NS6detail17trampoline_kernelINS0_14default_configENS1_36segmented_radix_sort_config_selectorIblEEZNS1_25segmented_radix_sort_implIS3_Lb1EPKbPbPKlPlN2at6native12_GLOBAL__N_18offset_tEEE10hipError_tPvRmT1_PNSt15iterator_traitsISK_E10value_typeET2_T3_PNSL_ISQ_E10value_typeET4_jRbjT5_SW_jjP12ihipStream_tbEUlT_E2_NS1_11comp_targetILNS1_3genE10ELNS1_11target_archE1200ELNS1_3gpuE4ELNS1_3repE0EEENS1_30default_config_static_selectorELNS0_4arch9wavefront6targetE0EEEvSK_.private_seg_size, 0
	.set _ZN7rocprim17ROCPRIM_400000_NS6detail17trampoline_kernelINS0_14default_configENS1_36segmented_radix_sort_config_selectorIblEEZNS1_25segmented_radix_sort_implIS3_Lb1EPKbPbPKlPlN2at6native12_GLOBAL__N_18offset_tEEE10hipError_tPvRmT1_PNSt15iterator_traitsISK_E10value_typeET2_T3_PNSL_ISQ_E10value_typeET4_jRbjT5_SW_jjP12ihipStream_tbEUlT_E2_NS1_11comp_targetILNS1_3genE10ELNS1_11target_archE1200ELNS1_3gpuE4ELNS1_3repE0EEENS1_30default_config_static_selectorELNS0_4arch9wavefront6targetE0EEEvSK_.uses_vcc, 0
	.set _ZN7rocprim17ROCPRIM_400000_NS6detail17trampoline_kernelINS0_14default_configENS1_36segmented_radix_sort_config_selectorIblEEZNS1_25segmented_radix_sort_implIS3_Lb1EPKbPbPKlPlN2at6native12_GLOBAL__N_18offset_tEEE10hipError_tPvRmT1_PNSt15iterator_traitsISK_E10value_typeET2_T3_PNSL_ISQ_E10value_typeET4_jRbjT5_SW_jjP12ihipStream_tbEUlT_E2_NS1_11comp_targetILNS1_3genE10ELNS1_11target_archE1200ELNS1_3gpuE4ELNS1_3repE0EEENS1_30default_config_static_selectorELNS0_4arch9wavefront6targetE0EEEvSK_.uses_flat_scratch, 0
	.set _ZN7rocprim17ROCPRIM_400000_NS6detail17trampoline_kernelINS0_14default_configENS1_36segmented_radix_sort_config_selectorIblEEZNS1_25segmented_radix_sort_implIS3_Lb1EPKbPbPKlPlN2at6native12_GLOBAL__N_18offset_tEEE10hipError_tPvRmT1_PNSt15iterator_traitsISK_E10value_typeET2_T3_PNSL_ISQ_E10value_typeET4_jRbjT5_SW_jjP12ihipStream_tbEUlT_E2_NS1_11comp_targetILNS1_3genE10ELNS1_11target_archE1200ELNS1_3gpuE4ELNS1_3repE0EEENS1_30default_config_static_selectorELNS0_4arch9wavefront6targetE0EEEvSK_.has_dyn_sized_stack, 0
	.set _ZN7rocprim17ROCPRIM_400000_NS6detail17trampoline_kernelINS0_14default_configENS1_36segmented_radix_sort_config_selectorIblEEZNS1_25segmented_radix_sort_implIS3_Lb1EPKbPbPKlPlN2at6native12_GLOBAL__N_18offset_tEEE10hipError_tPvRmT1_PNSt15iterator_traitsISK_E10value_typeET2_T3_PNSL_ISQ_E10value_typeET4_jRbjT5_SW_jjP12ihipStream_tbEUlT_E2_NS1_11comp_targetILNS1_3genE10ELNS1_11target_archE1200ELNS1_3gpuE4ELNS1_3repE0EEENS1_30default_config_static_selectorELNS0_4arch9wavefront6targetE0EEEvSK_.has_recursion, 0
	.set _ZN7rocprim17ROCPRIM_400000_NS6detail17trampoline_kernelINS0_14default_configENS1_36segmented_radix_sort_config_selectorIblEEZNS1_25segmented_radix_sort_implIS3_Lb1EPKbPbPKlPlN2at6native12_GLOBAL__N_18offset_tEEE10hipError_tPvRmT1_PNSt15iterator_traitsISK_E10value_typeET2_T3_PNSL_ISQ_E10value_typeET4_jRbjT5_SW_jjP12ihipStream_tbEUlT_E2_NS1_11comp_targetILNS1_3genE10ELNS1_11target_archE1200ELNS1_3gpuE4ELNS1_3repE0EEENS1_30default_config_static_selectorELNS0_4arch9wavefront6targetE0EEEvSK_.has_indirect_call, 0
	.section	.AMDGPU.csdata,"",@progbits
; Kernel info:
; codeLenInByte = 0
; TotalNumSgprs: 0
; NumVgprs: 0
; ScratchSize: 0
; MemoryBound: 0
; FloatMode: 240
; IeeeMode: 1
; LDSByteSize: 0 bytes/workgroup (compile time only)
; SGPRBlocks: 0
; VGPRBlocks: 0
; NumSGPRsForWavesPerEU: 1
; NumVGPRsForWavesPerEU: 1
; Occupancy: 16
; WaveLimiterHint : 0
; COMPUTE_PGM_RSRC2:SCRATCH_EN: 0
; COMPUTE_PGM_RSRC2:USER_SGPR: 2
; COMPUTE_PGM_RSRC2:TRAP_HANDLER: 0
; COMPUTE_PGM_RSRC2:TGID_X_EN: 1
; COMPUTE_PGM_RSRC2:TGID_Y_EN: 0
; COMPUTE_PGM_RSRC2:TGID_Z_EN: 0
; COMPUTE_PGM_RSRC2:TIDIG_COMP_CNT: 0
	.section	.text._ZN7rocprim17ROCPRIM_400000_NS6detail17trampoline_kernelINS0_14default_configENS1_36segmented_radix_sort_config_selectorIblEEZNS1_25segmented_radix_sort_implIS3_Lb1EPKbPbPKlPlN2at6native12_GLOBAL__N_18offset_tEEE10hipError_tPvRmT1_PNSt15iterator_traitsISK_E10value_typeET2_T3_PNSL_ISQ_E10value_typeET4_jRbjT5_SW_jjP12ihipStream_tbEUlT_E2_NS1_11comp_targetILNS1_3genE9ELNS1_11target_archE1100ELNS1_3gpuE3ELNS1_3repE0EEENS1_30default_config_static_selectorELNS0_4arch9wavefront6targetE0EEEvSK_,"axG",@progbits,_ZN7rocprim17ROCPRIM_400000_NS6detail17trampoline_kernelINS0_14default_configENS1_36segmented_radix_sort_config_selectorIblEEZNS1_25segmented_radix_sort_implIS3_Lb1EPKbPbPKlPlN2at6native12_GLOBAL__N_18offset_tEEE10hipError_tPvRmT1_PNSt15iterator_traitsISK_E10value_typeET2_T3_PNSL_ISQ_E10value_typeET4_jRbjT5_SW_jjP12ihipStream_tbEUlT_E2_NS1_11comp_targetILNS1_3genE9ELNS1_11target_archE1100ELNS1_3gpuE3ELNS1_3repE0EEENS1_30default_config_static_selectorELNS0_4arch9wavefront6targetE0EEEvSK_,comdat
	.globl	_ZN7rocprim17ROCPRIM_400000_NS6detail17trampoline_kernelINS0_14default_configENS1_36segmented_radix_sort_config_selectorIblEEZNS1_25segmented_radix_sort_implIS3_Lb1EPKbPbPKlPlN2at6native12_GLOBAL__N_18offset_tEEE10hipError_tPvRmT1_PNSt15iterator_traitsISK_E10value_typeET2_T3_PNSL_ISQ_E10value_typeET4_jRbjT5_SW_jjP12ihipStream_tbEUlT_E2_NS1_11comp_targetILNS1_3genE9ELNS1_11target_archE1100ELNS1_3gpuE3ELNS1_3repE0EEENS1_30default_config_static_selectorELNS0_4arch9wavefront6targetE0EEEvSK_ ; -- Begin function _ZN7rocprim17ROCPRIM_400000_NS6detail17trampoline_kernelINS0_14default_configENS1_36segmented_radix_sort_config_selectorIblEEZNS1_25segmented_radix_sort_implIS3_Lb1EPKbPbPKlPlN2at6native12_GLOBAL__N_18offset_tEEE10hipError_tPvRmT1_PNSt15iterator_traitsISK_E10value_typeET2_T3_PNSL_ISQ_E10value_typeET4_jRbjT5_SW_jjP12ihipStream_tbEUlT_E2_NS1_11comp_targetILNS1_3genE9ELNS1_11target_archE1100ELNS1_3gpuE3ELNS1_3repE0EEENS1_30default_config_static_selectorELNS0_4arch9wavefront6targetE0EEEvSK_
	.p2align	8
	.type	_ZN7rocprim17ROCPRIM_400000_NS6detail17trampoline_kernelINS0_14default_configENS1_36segmented_radix_sort_config_selectorIblEEZNS1_25segmented_radix_sort_implIS3_Lb1EPKbPbPKlPlN2at6native12_GLOBAL__N_18offset_tEEE10hipError_tPvRmT1_PNSt15iterator_traitsISK_E10value_typeET2_T3_PNSL_ISQ_E10value_typeET4_jRbjT5_SW_jjP12ihipStream_tbEUlT_E2_NS1_11comp_targetILNS1_3genE9ELNS1_11target_archE1100ELNS1_3gpuE3ELNS1_3repE0EEENS1_30default_config_static_selectorELNS0_4arch9wavefront6targetE0EEEvSK_,@function
_ZN7rocprim17ROCPRIM_400000_NS6detail17trampoline_kernelINS0_14default_configENS1_36segmented_radix_sort_config_selectorIblEEZNS1_25segmented_radix_sort_implIS3_Lb1EPKbPbPKlPlN2at6native12_GLOBAL__N_18offset_tEEE10hipError_tPvRmT1_PNSt15iterator_traitsISK_E10value_typeET2_T3_PNSL_ISQ_E10value_typeET4_jRbjT5_SW_jjP12ihipStream_tbEUlT_E2_NS1_11comp_targetILNS1_3genE9ELNS1_11target_archE1100ELNS1_3gpuE3ELNS1_3repE0EEENS1_30default_config_static_selectorELNS0_4arch9wavefront6targetE0EEEvSK_: ; @_ZN7rocprim17ROCPRIM_400000_NS6detail17trampoline_kernelINS0_14default_configENS1_36segmented_radix_sort_config_selectorIblEEZNS1_25segmented_radix_sort_implIS3_Lb1EPKbPbPKlPlN2at6native12_GLOBAL__N_18offset_tEEE10hipError_tPvRmT1_PNSt15iterator_traitsISK_E10value_typeET2_T3_PNSL_ISQ_E10value_typeET4_jRbjT5_SW_jjP12ihipStream_tbEUlT_E2_NS1_11comp_targetILNS1_3genE9ELNS1_11target_archE1100ELNS1_3gpuE3ELNS1_3repE0EEENS1_30default_config_static_selectorELNS0_4arch9wavefront6targetE0EEEvSK_
; %bb.0:
	.section	.rodata,"a",@progbits
	.p2align	6, 0x0
	.amdhsa_kernel _ZN7rocprim17ROCPRIM_400000_NS6detail17trampoline_kernelINS0_14default_configENS1_36segmented_radix_sort_config_selectorIblEEZNS1_25segmented_radix_sort_implIS3_Lb1EPKbPbPKlPlN2at6native12_GLOBAL__N_18offset_tEEE10hipError_tPvRmT1_PNSt15iterator_traitsISK_E10value_typeET2_T3_PNSL_ISQ_E10value_typeET4_jRbjT5_SW_jjP12ihipStream_tbEUlT_E2_NS1_11comp_targetILNS1_3genE9ELNS1_11target_archE1100ELNS1_3gpuE3ELNS1_3repE0EEENS1_30default_config_static_selectorELNS0_4arch9wavefront6targetE0EEEvSK_
		.amdhsa_group_segment_fixed_size 0
		.amdhsa_private_segment_fixed_size 0
		.amdhsa_kernarg_size 80
		.amdhsa_user_sgpr_count 2
		.amdhsa_user_sgpr_dispatch_ptr 0
		.amdhsa_user_sgpr_queue_ptr 0
		.amdhsa_user_sgpr_kernarg_segment_ptr 1
		.amdhsa_user_sgpr_dispatch_id 0
		.amdhsa_user_sgpr_private_segment_size 0
		.amdhsa_wavefront_size32 1
		.amdhsa_uses_dynamic_stack 0
		.amdhsa_enable_private_segment 0
		.amdhsa_system_sgpr_workgroup_id_x 1
		.amdhsa_system_sgpr_workgroup_id_y 0
		.amdhsa_system_sgpr_workgroup_id_z 0
		.amdhsa_system_sgpr_workgroup_info 0
		.amdhsa_system_vgpr_workitem_id 0
		.amdhsa_next_free_vgpr 1
		.amdhsa_next_free_sgpr 1
		.amdhsa_reserve_vcc 0
		.amdhsa_float_round_mode_32 0
		.amdhsa_float_round_mode_16_64 0
		.amdhsa_float_denorm_mode_32 3
		.amdhsa_float_denorm_mode_16_64 3
		.amdhsa_fp16_overflow 0
		.amdhsa_workgroup_processor_mode 1
		.amdhsa_memory_ordered 1
		.amdhsa_forward_progress 1
		.amdhsa_inst_pref_size 0
		.amdhsa_round_robin_scheduling 0
		.amdhsa_exception_fp_ieee_invalid_op 0
		.amdhsa_exception_fp_denorm_src 0
		.amdhsa_exception_fp_ieee_div_zero 0
		.amdhsa_exception_fp_ieee_overflow 0
		.amdhsa_exception_fp_ieee_underflow 0
		.amdhsa_exception_fp_ieee_inexact 0
		.amdhsa_exception_int_div_zero 0
	.end_amdhsa_kernel
	.section	.text._ZN7rocprim17ROCPRIM_400000_NS6detail17trampoline_kernelINS0_14default_configENS1_36segmented_radix_sort_config_selectorIblEEZNS1_25segmented_radix_sort_implIS3_Lb1EPKbPbPKlPlN2at6native12_GLOBAL__N_18offset_tEEE10hipError_tPvRmT1_PNSt15iterator_traitsISK_E10value_typeET2_T3_PNSL_ISQ_E10value_typeET4_jRbjT5_SW_jjP12ihipStream_tbEUlT_E2_NS1_11comp_targetILNS1_3genE9ELNS1_11target_archE1100ELNS1_3gpuE3ELNS1_3repE0EEENS1_30default_config_static_selectorELNS0_4arch9wavefront6targetE0EEEvSK_,"axG",@progbits,_ZN7rocprim17ROCPRIM_400000_NS6detail17trampoline_kernelINS0_14default_configENS1_36segmented_radix_sort_config_selectorIblEEZNS1_25segmented_radix_sort_implIS3_Lb1EPKbPbPKlPlN2at6native12_GLOBAL__N_18offset_tEEE10hipError_tPvRmT1_PNSt15iterator_traitsISK_E10value_typeET2_T3_PNSL_ISQ_E10value_typeET4_jRbjT5_SW_jjP12ihipStream_tbEUlT_E2_NS1_11comp_targetILNS1_3genE9ELNS1_11target_archE1100ELNS1_3gpuE3ELNS1_3repE0EEENS1_30default_config_static_selectorELNS0_4arch9wavefront6targetE0EEEvSK_,comdat
.Lfunc_end1569:
	.size	_ZN7rocprim17ROCPRIM_400000_NS6detail17trampoline_kernelINS0_14default_configENS1_36segmented_radix_sort_config_selectorIblEEZNS1_25segmented_radix_sort_implIS3_Lb1EPKbPbPKlPlN2at6native12_GLOBAL__N_18offset_tEEE10hipError_tPvRmT1_PNSt15iterator_traitsISK_E10value_typeET2_T3_PNSL_ISQ_E10value_typeET4_jRbjT5_SW_jjP12ihipStream_tbEUlT_E2_NS1_11comp_targetILNS1_3genE9ELNS1_11target_archE1100ELNS1_3gpuE3ELNS1_3repE0EEENS1_30default_config_static_selectorELNS0_4arch9wavefront6targetE0EEEvSK_, .Lfunc_end1569-_ZN7rocprim17ROCPRIM_400000_NS6detail17trampoline_kernelINS0_14default_configENS1_36segmented_radix_sort_config_selectorIblEEZNS1_25segmented_radix_sort_implIS3_Lb1EPKbPbPKlPlN2at6native12_GLOBAL__N_18offset_tEEE10hipError_tPvRmT1_PNSt15iterator_traitsISK_E10value_typeET2_T3_PNSL_ISQ_E10value_typeET4_jRbjT5_SW_jjP12ihipStream_tbEUlT_E2_NS1_11comp_targetILNS1_3genE9ELNS1_11target_archE1100ELNS1_3gpuE3ELNS1_3repE0EEENS1_30default_config_static_selectorELNS0_4arch9wavefront6targetE0EEEvSK_
                                        ; -- End function
	.set _ZN7rocprim17ROCPRIM_400000_NS6detail17trampoline_kernelINS0_14default_configENS1_36segmented_radix_sort_config_selectorIblEEZNS1_25segmented_radix_sort_implIS3_Lb1EPKbPbPKlPlN2at6native12_GLOBAL__N_18offset_tEEE10hipError_tPvRmT1_PNSt15iterator_traitsISK_E10value_typeET2_T3_PNSL_ISQ_E10value_typeET4_jRbjT5_SW_jjP12ihipStream_tbEUlT_E2_NS1_11comp_targetILNS1_3genE9ELNS1_11target_archE1100ELNS1_3gpuE3ELNS1_3repE0EEENS1_30default_config_static_selectorELNS0_4arch9wavefront6targetE0EEEvSK_.num_vgpr, 0
	.set _ZN7rocprim17ROCPRIM_400000_NS6detail17trampoline_kernelINS0_14default_configENS1_36segmented_radix_sort_config_selectorIblEEZNS1_25segmented_radix_sort_implIS3_Lb1EPKbPbPKlPlN2at6native12_GLOBAL__N_18offset_tEEE10hipError_tPvRmT1_PNSt15iterator_traitsISK_E10value_typeET2_T3_PNSL_ISQ_E10value_typeET4_jRbjT5_SW_jjP12ihipStream_tbEUlT_E2_NS1_11comp_targetILNS1_3genE9ELNS1_11target_archE1100ELNS1_3gpuE3ELNS1_3repE0EEENS1_30default_config_static_selectorELNS0_4arch9wavefront6targetE0EEEvSK_.num_agpr, 0
	.set _ZN7rocprim17ROCPRIM_400000_NS6detail17trampoline_kernelINS0_14default_configENS1_36segmented_radix_sort_config_selectorIblEEZNS1_25segmented_radix_sort_implIS3_Lb1EPKbPbPKlPlN2at6native12_GLOBAL__N_18offset_tEEE10hipError_tPvRmT1_PNSt15iterator_traitsISK_E10value_typeET2_T3_PNSL_ISQ_E10value_typeET4_jRbjT5_SW_jjP12ihipStream_tbEUlT_E2_NS1_11comp_targetILNS1_3genE9ELNS1_11target_archE1100ELNS1_3gpuE3ELNS1_3repE0EEENS1_30default_config_static_selectorELNS0_4arch9wavefront6targetE0EEEvSK_.numbered_sgpr, 0
	.set _ZN7rocprim17ROCPRIM_400000_NS6detail17trampoline_kernelINS0_14default_configENS1_36segmented_radix_sort_config_selectorIblEEZNS1_25segmented_radix_sort_implIS3_Lb1EPKbPbPKlPlN2at6native12_GLOBAL__N_18offset_tEEE10hipError_tPvRmT1_PNSt15iterator_traitsISK_E10value_typeET2_T3_PNSL_ISQ_E10value_typeET4_jRbjT5_SW_jjP12ihipStream_tbEUlT_E2_NS1_11comp_targetILNS1_3genE9ELNS1_11target_archE1100ELNS1_3gpuE3ELNS1_3repE0EEENS1_30default_config_static_selectorELNS0_4arch9wavefront6targetE0EEEvSK_.num_named_barrier, 0
	.set _ZN7rocprim17ROCPRIM_400000_NS6detail17trampoline_kernelINS0_14default_configENS1_36segmented_radix_sort_config_selectorIblEEZNS1_25segmented_radix_sort_implIS3_Lb1EPKbPbPKlPlN2at6native12_GLOBAL__N_18offset_tEEE10hipError_tPvRmT1_PNSt15iterator_traitsISK_E10value_typeET2_T3_PNSL_ISQ_E10value_typeET4_jRbjT5_SW_jjP12ihipStream_tbEUlT_E2_NS1_11comp_targetILNS1_3genE9ELNS1_11target_archE1100ELNS1_3gpuE3ELNS1_3repE0EEENS1_30default_config_static_selectorELNS0_4arch9wavefront6targetE0EEEvSK_.private_seg_size, 0
	.set _ZN7rocprim17ROCPRIM_400000_NS6detail17trampoline_kernelINS0_14default_configENS1_36segmented_radix_sort_config_selectorIblEEZNS1_25segmented_radix_sort_implIS3_Lb1EPKbPbPKlPlN2at6native12_GLOBAL__N_18offset_tEEE10hipError_tPvRmT1_PNSt15iterator_traitsISK_E10value_typeET2_T3_PNSL_ISQ_E10value_typeET4_jRbjT5_SW_jjP12ihipStream_tbEUlT_E2_NS1_11comp_targetILNS1_3genE9ELNS1_11target_archE1100ELNS1_3gpuE3ELNS1_3repE0EEENS1_30default_config_static_selectorELNS0_4arch9wavefront6targetE0EEEvSK_.uses_vcc, 0
	.set _ZN7rocprim17ROCPRIM_400000_NS6detail17trampoline_kernelINS0_14default_configENS1_36segmented_radix_sort_config_selectorIblEEZNS1_25segmented_radix_sort_implIS3_Lb1EPKbPbPKlPlN2at6native12_GLOBAL__N_18offset_tEEE10hipError_tPvRmT1_PNSt15iterator_traitsISK_E10value_typeET2_T3_PNSL_ISQ_E10value_typeET4_jRbjT5_SW_jjP12ihipStream_tbEUlT_E2_NS1_11comp_targetILNS1_3genE9ELNS1_11target_archE1100ELNS1_3gpuE3ELNS1_3repE0EEENS1_30default_config_static_selectorELNS0_4arch9wavefront6targetE0EEEvSK_.uses_flat_scratch, 0
	.set _ZN7rocprim17ROCPRIM_400000_NS6detail17trampoline_kernelINS0_14default_configENS1_36segmented_radix_sort_config_selectorIblEEZNS1_25segmented_radix_sort_implIS3_Lb1EPKbPbPKlPlN2at6native12_GLOBAL__N_18offset_tEEE10hipError_tPvRmT1_PNSt15iterator_traitsISK_E10value_typeET2_T3_PNSL_ISQ_E10value_typeET4_jRbjT5_SW_jjP12ihipStream_tbEUlT_E2_NS1_11comp_targetILNS1_3genE9ELNS1_11target_archE1100ELNS1_3gpuE3ELNS1_3repE0EEENS1_30default_config_static_selectorELNS0_4arch9wavefront6targetE0EEEvSK_.has_dyn_sized_stack, 0
	.set _ZN7rocprim17ROCPRIM_400000_NS6detail17trampoline_kernelINS0_14default_configENS1_36segmented_radix_sort_config_selectorIblEEZNS1_25segmented_radix_sort_implIS3_Lb1EPKbPbPKlPlN2at6native12_GLOBAL__N_18offset_tEEE10hipError_tPvRmT1_PNSt15iterator_traitsISK_E10value_typeET2_T3_PNSL_ISQ_E10value_typeET4_jRbjT5_SW_jjP12ihipStream_tbEUlT_E2_NS1_11comp_targetILNS1_3genE9ELNS1_11target_archE1100ELNS1_3gpuE3ELNS1_3repE0EEENS1_30default_config_static_selectorELNS0_4arch9wavefront6targetE0EEEvSK_.has_recursion, 0
	.set _ZN7rocprim17ROCPRIM_400000_NS6detail17trampoline_kernelINS0_14default_configENS1_36segmented_radix_sort_config_selectorIblEEZNS1_25segmented_radix_sort_implIS3_Lb1EPKbPbPKlPlN2at6native12_GLOBAL__N_18offset_tEEE10hipError_tPvRmT1_PNSt15iterator_traitsISK_E10value_typeET2_T3_PNSL_ISQ_E10value_typeET4_jRbjT5_SW_jjP12ihipStream_tbEUlT_E2_NS1_11comp_targetILNS1_3genE9ELNS1_11target_archE1100ELNS1_3gpuE3ELNS1_3repE0EEENS1_30default_config_static_selectorELNS0_4arch9wavefront6targetE0EEEvSK_.has_indirect_call, 0
	.section	.AMDGPU.csdata,"",@progbits
; Kernel info:
; codeLenInByte = 0
; TotalNumSgprs: 0
; NumVgprs: 0
; ScratchSize: 0
; MemoryBound: 0
; FloatMode: 240
; IeeeMode: 1
; LDSByteSize: 0 bytes/workgroup (compile time only)
; SGPRBlocks: 0
; VGPRBlocks: 0
; NumSGPRsForWavesPerEU: 1
; NumVGPRsForWavesPerEU: 1
; Occupancy: 16
; WaveLimiterHint : 0
; COMPUTE_PGM_RSRC2:SCRATCH_EN: 0
; COMPUTE_PGM_RSRC2:USER_SGPR: 2
; COMPUTE_PGM_RSRC2:TRAP_HANDLER: 0
; COMPUTE_PGM_RSRC2:TGID_X_EN: 1
; COMPUTE_PGM_RSRC2:TGID_Y_EN: 0
; COMPUTE_PGM_RSRC2:TGID_Z_EN: 0
; COMPUTE_PGM_RSRC2:TIDIG_COMP_CNT: 0
	.section	.text._ZN7rocprim17ROCPRIM_400000_NS6detail17trampoline_kernelINS0_14default_configENS1_36segmented_radix_sort_config_selectorIblEEZNS1_25segmented_radix_sort_implIS3_Lb1EPKbPbPKlPlN2at6native12_GLOBAL__N_18offset_tEEE10hipError_tPvRmT1_PNSt15iterator_traitsISK_E10value_typeET2_T3_PNSL_ISQ_E10value_typeET4_jRbjT5_SW_jjP12ihipStream_tbEUlT_E2_NS1_11comp_targetILNS1_3genE8ELNS1_11target_archE1030ELNS1_3gpuE2ELNS1_3repE0EEENS1_30default_config_static_selectorELNS0_4arch9wavefront6targetE0EEEvSK_,"axG",@progbits,_ZN7rocprim17ROCPRIM_400000_NS6detail17trampoline_kernelINS0_14default_configENS1_36segmented_radix_sort_config_selectorIblEEZNS1_25segmented_radix_sort_implIS3_Lb1EPKbPbPKlPlN2at6native12_GLOBAL__N_18offset_tEEE10hipError_tPvRmT1_PNSt15iterator_traitsISK_E10value_typeET2_T3_PNSL_ISQ_E10value_typeET4_jRbjT5_SW_jjP12ihipStream_tbEUlT_E2_NS1_11comp_targetILNS1_3genE8ELNS1_11target_archE1030ELNS1_3gpuE2ELNS1_3repE0EEENS1_30default_config_static_selectorELNS0_4arch9wavefront6targetE0EEEvSK_,comdat
	.globl	_ZN7rocprim17ROCPRIM_400000_NS6detail17trampoline_kernelINS0_14default_configENS1_36segmented_radix_sort_config_selectorIblEEZNS1_25segmented_radix_sort_implIS3_Lb1EPKbPbPKlPlN2at6native12_GLOBAL__N_18offset_tEEE10hipError_tPvRmT1_PNSt15iterator_traitsISK_E10value_typeET2_T3_PNSL_ISQ_E10value_typeET4_jRbjT5_SW_jjP12ihipStream_tbEUlT_E2_NS1_11comp_targetILNS1_3genE8ELNS1_11target_archE1030ELNS1_3gpuE2ELNS1_3repE0EEENS1_30default_config_static_selectorELNS0_4arch9wavefront6targetE0EEEvSK_ ; -- Begin function _ZN7rocprim17ROCPRIM_400000_NS6detail17trampoline_kernelINS0_14default_configENS1_36segmented_radix_sort_config_selectorIblEEZNS1_25segmented_radix_sort_implIS3_Lb1EPKbPbPKlPlN2at6native12_GLOBAL__N_18offset_tEEE10hipError_tPvRmT1_PNSt15iterator_traitsISK_E10value_typeET2_T3_PNSL_ISQ_E10value_typeET4_jRbjT5_SW_jjP12ihipStream_tbEUlT_E2_NS1_11comp_targetILNS1_3genE8ELNS1_11target_archE1030ELNS1_3gpuE2ELNS1_3repE0EEENS1_30default_config_static_selectorELNS0_4arch9wavefront6targetE0EEEvSK_
	.p2align	8
	.type	_ZN7rocprim17ROCPRIM_400000_NS6detail17trampoline_kernelINS0_14default_configENS1_36segmented_radix_sort_config_selectorIblEEZNS1_25segmented_radix_sort_implIS3_Lb1EPKbPbPKlPlN2at6native12_GLOBAL__N_18offset_tEEE10hipError_tPvRmT1_PNSt15iterator_traitsISK_E10value_typeET2_T3_PNSL_ISQ_E10value_typeET4_jRbjT5_SW_jjP12ihipStream_tbEUlT_E2_NS1_11comp_targetILNS1_3genE8ELNS1_11target_archE1030ELNS1_3gpuE2ELNS1_3repE0EEENS1_30default_config_static_selectorELNS0_4arch9wavefront6targetE0EEEvSK_,@function
_ZN7rocprim17ROCPRIM_400000_NS6detail17trampoline_kernelINS0_14default_configENS1_36segmented_radix_sort_config_selectorIblEEZNS1_25segmented_radix_sort_implIS3_Lb1EPKbPbPKlPlN2at6native12_GLOBAL__N_18offset_tEEE10hipError_tPvRmT1_PNSt15iterator_traitsISK_E10value_typeET2_T3_PNSL_ISQ_E10value_typeET4_jRbjT5_SW_jjP12ihipStream_tbEUlT_E2_NS1_11comp_targetILNS1_3genE8ELNS1_11target_archE1030ELNS1_3gpuE2ELNS1_3repE0EEENS1_30default_config_static_selectorELNS0_4arch9wavefront6targetE0EEEvSK_: ; @_ZN7rocprim17ROCPRIM_400000_NS6detail17trampoline_kernelINS0_14default_configENS1_36segmented_radix_sort_config_selectorIblEEZNS1_25segmented_radix_sort_implIS3_Lb1EPKbPbPKlPlN2at6native12_GLOBAL__N_18offset_tEEE10hipError_tPvRmT1_PNSt15iterator_traitsISK_E10value_typeET2_T3_PNSL_ISQ_E10value_typeET4_jRbjT5_SW_jjP12ihipStream_tbEUlT_E2_NS1_11comp_targetILNS1_3genE8ELNS1_11target_archE1030ELNS1_3gpuE2ELNS1_3repE0EEENS1_30default_config_static_selectorELNS0_4arch9wavefront6targetE0EEEvSK_
; %bb.0:
	.section	.rodata,"a",@progbits
	.p2align	6, 0x0
	.amdhsa_kernel _ZN7rocprim17ROCPRIM_400000_NS6detail17trampoline_kernelINS0_14default_configENS1_36segmented_radix_sort_config_selectorIblEEZNS1_25segmented_radix_sort_implIS3_Lb1EPKbPbPKlPlN2at6native12_GLOBAL__N_18offset_tEEE10hipError_tPvRmT1_PNSt15iterator_traitsISK_E10value_typeET2_T3_PNSL_ISQ_E10value_typeET4_jRbjT5_SW_jjP12ihipStream_tbEUlT_E2_NS1_11comp_targetILNS1_3genE8ELNS1_11target_archE1030ELNS1_3gpuE2ELNS1_3repE0EEENS1_30default_config_static_selectorELNS0_4arch9wavefront6targetE0EEEvSK_
		.amdhsa_group_segment_fixed_size 0
		.amdhsa_private_segment_fixed_size 0
		.amdhsa_kernarg_size 80
		.amdhsa_user_sgpr_count 2
		.amdhsa_user_sgpr_dispatch_ptr 0
		.amdhsa_user_sgpr_queue_ptr 0
		.amdhsa_user_sgpr_kernarg_segment_ptr 1
		.amdhsa_user_sgpr_dispatch_id 0
		.amdhsa_user_sgpr_private_segment_size 0
		.amdhsa_wavefront_size32 1
		.amdhsa_uses_dynamic_stack 0
		.amdhsa_enable_private_segment 0
		.amdhsa_system_sgpr_workgroup_id_x 1
		.amdhsa_system_sgpr_workgroup_id_y 0
		.amdhsa_system_sgpr_workgroup_id_z 0
		.amdhsa_system_sgpr_workgroup_info 0
		.amdhsa_system_vgpr_workitem_id 0
		.amdhsa_next_free_vgpr 1
		.amdhsa_next_free_sgpr 1
		.amdhsa_reserve_vcc 0
		.amdhsa_float_round_mode_32 0
		.amdhsa_float_round_mode_16_64 0
		.amdhsa_float_denorm_mode_32 3
		.amdhsa_float_denorm_mode_16_64 3
		.amdhsa_fp16_overflow 0
		.amdhsa_workgroup_processor_mode 1
		.amdhsa_memory_ordered 1
		.amdhsa_forward_progress 1
		.amdhsa_inst_pref_size 0
		.amdhsa_round_robin_scheduling 0
		.amdhsa_exception_fp_ieee_invalid_op 0
		.amdhsa_exception_fp_denorm_src 0
		.amdhsa_exception_fp_ieee_div_zero 0
		.amdhsa_exception_fp_ieee_overflow 0
		.amdhsa_exception_fp_ieee_underflow 0
		.amdhsa_exception_fp_ieee_inexact 0
		.amdhsa_exception_int_div_zero 0
	.end_amdhsa_kernel
	.section	.text._ZN7rocprim17ROCPRIM_400000_NS6detail17trampoline_kernelINS0_14default_configENS1_36segmented_radix_sort_config_selectorIblEEZNS1_25segmented_radix_sort_implIS3_Lb1EPKbPbPKlPlN2at6native12_GLOBAL__N_18offset_tEEE10hipError_tPvRmT1_PNSt15iterator_traitsISK_E10value_typeET2_T3_PNSL_ISQ_E10value_typeET4_jRbjT5_SW_jjP12ihipStream_tbEUlT_E2_NS1_11comp_targetILNS1_3genE8ELNS1_11target_archE1030ELNS1_3gpuE2ELNS1_3repE0EEENS1_30default_config_static_selectorELNS0_4arch9wavefront6targetE0EEEvSK_,"axG",@progbits,_ZN7rocprim17ROCPRIM_400000_NS6detail17trampoline_kernelINS0_14default_configENS1_36segmented_radix_sort_config_selectorIblEEZNS1_25segmented_radix_sort_implIS3_Lb1EPKbPbPKlPlN2at6native12_GLOBAL__N_18offset_tEEE10hipError_tPvRmT1_PNSt15iterator_traitsISK_E10value_typeET2_T3_PNSL_ISQ_E10value_typeET4_jRbjT5_SW_jjP12ihipStream_tbEUlT_E2_NS1_11comp_targetILNS1_3genE8ELNS1_11target_archE1030ELNS1_3gpuE2ELNS1_3repE0EEENS1_30default_config_static_selectorELNS0_4arch9wavefront6targetE0EEEvSK_,comdat
.Lfunc_end1570:
	.size	_ZN7rocprim17ROCPRIM_400000_NS6detail17trampoline_kernelINS0_14default_configENS1_36segmented_radix_sort_config_selectorIblEEZNS1_25segmented_radix_sort_implIS3_Lb1EPKbPbPKlPlN2at6native12_GLOBAL__N_18offset_tEEE10hipError_tPvRmT1_PNSt15iterator_traitsISK_E10value_typeET2_T3_PNSL_ISQ_E10value_typeET4_jRbjT5_SW_jjP12ihipStream_tbEUlT_E2_NS1_11comp_targetILNS1_3genE8ELNS1_11target_archE1030ELNS1_3gpuE2ELNS1_3repE0EEENS1_30default_config_static_selectorELNS0_4arch9wavefront6targetE0EEEvSK_, .Lfunc_end1570-_ZN7rocprim17ROCPRIM_400000_NS6detail17trampoline_kernelINS0_14default_configENS1_36segmented_radix_sort_config_selectorIblEEZNS1_25segmented_radix_sort_implIS3_Lb1EPKbPbPKlPlN2at6native12_GLOBAL__N_18offset_tEEE10hipError_tPvRmT1_PNSt15iterator_traitsISK_E10value_typeET2_T3_PNSL_ISQ_E10value_typeET4_jRbjT5_SW_jjP12ihipStream_tbEUlT_E2_NS1_11comp_targetILNS1_3genE8ELNS1_11target_archE1030ELNS1_3gpuE2ELNS1_3repE0EEENS1_30default_config_static_selectorELNS0_4arch9wavefront6targetE0EEEvSK_
                                        ; -- End function
	.set _ZN7rocprim17ROCPRIM_400000_NS6detail17trampoline_kernelINS0_14default_configENS1_36segmented_radix_sort_config_selectorIblEEZNS1_25segmented_radix_sort_implIS3_Lb1EPKbPbPKlPlN2at6native12_GLOBAL__N_18offset_tEEE10hipError_tPvRmT1_PNSt15iterator_traitsISK_E10value_typeET2_T3_PNSL_ISQ_E10value_typeET4_jRbjT5_SW_jjP12ihipStream_tbEUlT_E2_NS1_11comp_targetILNS1_3genE8ELNS1_11target_archE1030ELNS1_3gpuE2ELNS1_3repE0EEENS1_30default_config_static_selectorELNS0_4arch9wavefront6targetE0EEEvSK_.num_vgpr, 0
	.set _ZN7rocprim17ROCPRIM_400000_NS6detail17trampoline_kernelINS0_14default_configENS1_36segmented_radix_sort_config_selectorIblEEZNS1_25segmented_radix_sort_implIS3_Lb1EPKbPbPKlPlN2at6native12_GLOBAL__N_18offset_tEEE10hipError_tPvRmT1_PNSt15iterator_traitsISK_E10value_typeET2_T3_PNSL_ISQ_E10value_typeET4_jRbjT5_SW_jjP12ihipStream_tbEUlT_E2_NS1_11comp_targetILNS1_3genE8ELNS1_11target_archE1030ELNS1_3gpuE2ELNS1_3repE0EEENS1_30default_config_static_selectorELNS0_4arch9wavefront6targetE0EEEvSK_.num_agpr, 0
	.set _ZN7rocprim17ROCPRIM_400000_NS6detail17trampoline_kernelINS0_14default_configENS1_36segmented_radix_sort_config_selectorIblEEZNS1_25segmented_radix_sort_implIS3_Lb1EPKbPbPKlPlN2at6native12_GLOBAL__N_18offset_tEEE10hipError_tPvRmT1_PNSt15iterator_traitsISK_E10value_typeET2_T3_PNSL_ISQ_E10value_typeET4_jRbjT5_SW_jjP12ihipStream_tbEUlT_E2_NS1_11comp_targetILNS1_3genE8ELNS1_11target_archE1030ELNS1_3gpuE2ELNS1_3repE0EEENS1_30default_config_static_selectorELNS0_4arch9wavefront6targetE0EEEvSK_.numbered_sgpr, 0
	.set _ZN7rocprim17ROCPRIM_400000_NS6detail17trampoline_kernelINS0_14default_configENS1_36segmented_radix_sort_config_selectorIblEEZNS1_25segmented_radix_sort_implIS3_Lb1EPKbPbPKlPlN2at6native12_GLOBAL__N_18offset_tEEE10hipError_tPvRmT1_PNSt15iterator_traitsISK_E10value_typeET2_T3_PNSL_ISQ_E10value_typeET4_jRbjT5_SW_jjP12ihipStream_tbEUlT_E2_NS1_11comp_targetILNS1_3genE8ELNS1_11target_archE1030ELNS1_3gpuE2ELNS1_3repE0EEENS1_30default_config_static_selectorELNS0_4arch9wavefront6targetE0EEEvSK_.num_named_barrier, 0
	.set _ZN7rocprim17ROCPRIM_400000_NS6detail17trampoline_kernelINS0_14default_configENS1_36segmented_radix_sort_config_selectorIblEEZNS1_25segmented_radix_sort_implIS3_Lb1EPKbPbPKlPlN2at6native12_GLOBAL__N_18offset_tEEE10hipError_tPvRmT1_PNSt15iterator_traitsISK_E10value_typeET2_T3_PNSL_ISQ_E10value_typeET4_jRbjT5_SW_jjP12ihipStream_tbEUlT_E2_NS1_11comp_targetILNS1_3genE8ELNS1_11target_archE1030ELNS1_3gpuE2ELNS1_3repE0EEENS1_30default_config_static_selectorELNS0_4arch9wavefront6targetE0EEEvSK_.private_seg_size, 0
	.set _ZN7rocprim17ROCPRIM_400000_NS6detail17trampoline_kernelINS0_14default_configENS1_36segmented_radix_sort_config_selectorIblEEZNS1_25segmented_radix_sort_implIS3_Lb1EPKbPbPKlPlN2at6native12_GLOBAL__N_18offset_tEEE10hipError_tPvRmT1_PNSt15iterator_traitsISK_E10value_typeET2_T3_PNSL_ISQ_E10value_typeET4_jRbjT5_SW_jjP12ihipStream_tbEUlT_E2_NS1_11comp_targetILNS1_3genE8ELNS1_11target_archE1030ELNS1_3gpuE2ELNS1_3repE0EEENS1_30default_config_static_selectorELNS0_4arch9wavefront6targetE0EEEvSK_.uses_vcc, 0
	.set _ZN7rocprim17ROCPRIM_400000_NS6detail17trampoline_kernelINS0_14default_configENS1_36segmented_radix_sort_config_selectorIblEEZNS1_25segmented_radix_sort_implIS3_Lb1EPKbPbPKlPlN2at6native12_GLOBAL__N_18offset_tEEE10hipError_tPvRmT1_PNSt15iterator_traitsISK_E10value_typeET2_T3_PNSL_ISQ_E10value_typeET4_jRbjT5_SW_jjP12ihipStream_tbEUlT_E2_NS1_11comp_targetILNS1_3genE8ELNS1_11target_archE1030ELNS1_3gpuE2ELNS1_3repE0EEENS1_30default_config_static_selectorELNS0_4arch9wavefront6targetE0EEEvSK_.uses_flat_scratch, 0
	.set _ZN7rocprim17ROCPRIM_400000_NS6detail17trampoline_kernelINS0_14default_configENS1_36segmented_radix_sort_config_selectorIblEEZNS1_25segmented_radix_sort_implIS3_Lb1EPKbPbPKlPlN2at6native12_GLOBAL__N_18offset_tEEE10hipError_tPvRmT1_PNSt15iterator_traitsISK_E10value_typeET2_T3_PNSL_ISQ_E10value_typeET4_jRbjT5_SW_jjP12ihipStream_tbEUlT_E2_NS1_11comp_targetILNS1_3genE8ELNS1_11target_archE1030ELNS1_3gpuE2ELNS1_3repE0EEENS1_30default_config_static_selectorELNS0_4arch9wavefront6targetE0EEEvSK_.has_dyn_sized_stack, 0
	.set _ZN7rocprim17ROCPRIM_400000_NS6detail17trampoline_kernelINS0_14default_configENS1_36segmented_radix_sort_config_selectorIblEEZNS1_25segmented_radix_sort_implIS3_Lb1EPKbPbPKlPlN2at6native12_GLOBAL__N_18offset_tEEE10hipError_tPvRmT1_PNSt15iterator_traitsISK_E10value_typeET2_T3_PNSL_ISQ_E10value_typeET4_jRbjT5_SW_jjP12ihipStream_tbEUlT_E2_NS1_11comp_targetILNS1_3genE8ELNS1_11target_archE1030ELNS1_3gpuE2ELNS1_3repE0EEENS1_30default_config_static_selectorELNS0_4arch9wavefront6targetE0EEEvSK_.has_recursion, 0
	.set _ZN7rocprim17ROCPRIM_400000_NS6detail17trampoline_kernelINS0_14default_configENS1_36segmented_radix_sort_config_selectorIblEEZNS1_25segmented_radix_sort_implIS3_Lb1EPKbPbPKlPlN2at6native12_GLOBAL__N_18offset_tEEE10hipError_tPvRmT1_PNSt15iterator_traitsISK_E10value_typeET2_T3_PNSL_ISQ_E10value_typeET4_jRbjT5_SW_jjP12ihipStream_tbEUlT_E2_NS1_11comp_targetILNS1_3genE8ELNS1_11target_archE1030ELNS1_3gpuE2ELNS1_3repE0EEENS1_30default_config_static_selectorELNS0_4arch9wavefront6targetE0EEEvSK_.has_indirect_call, 0
	.section	.AMDGPU.csdata,"",@progbits
; Kernel info:
; codeLenInByte = 0
; TotalNumSgprs: 0
; NumVgprs: 0
; ScratchSize: 0
; MemoryBound: 0
; FloatMode: 240
; IeeeMode: 1
; LDSByteSize: 0 bytes/workgroup (compile time only)
; SGPRBlocks: 0
; VGPRBlocks: 0
; NumSGPRsForWavesPerEU: 1
; NumVGPRsForWavesPerEU: 1
; Occupancy: 16
; WaveLimiterHint : 0
; COMPUTE_PGM_RSRC2:SCRATCH_EN: 0
; COMPUTE_PGM_RSRC2:USER_SGPR: 2
; COMPUTE_PGM_RSRC2:TRAP_HANDLER: 0
; COMPUTE_PGM_RSRC2:TGID_X_EN: 1
; COMPUTE_PGM_RSRC2:TGID_Y_EN: 0
; COMPUTE_PGM_RSRC2:TGID_Z_EN: 0
; COMPUTE_PGM_RSRC2:TIDIG_COMP_CNT: 0
	.section	.text._ZN7rocprim17ROCPRIM_400000_NS6detail17trampoline_kernelINS0_13select_configILj256ELj13ELNS0_17block_load_methodE3ELS4_3ELS4_3ELNS0_20block_scan_algorithmE0ELj4294967295EEENS1_25partition_config_selectorILNS1_17partition_subalgoE4EjNS0_10empty_typeEbEEZZNS1_14partition_implILS8_4ELb0ES6_15HIP_vector_typeIjLj2EENS0_17counting_iteratorIjlEEPS9_SG_NS0_5tupleIJPjSI_NS0_16reverse_iteratorISI_EEEEENSH_IJSG_SG_SG_EEES9_SI_JZNS1_25segmented_radix_sort_implINS0_14default_configELb0EPKbPbPKlPlN2at6native12_GLOBAL__N_18offset_tEEE10hipError_tPvRmT1_PNSt15iterator_traitsIS12_E10value_typeET2_T3_PNS13_IS18_E10value_typeET4_jRbjT5_S1E_jjP12ihipStream_tbEUljE_ZNSN_ISO_Lb0ESQ_SR_ST_SU_SY_EESZ_S10_S11_S12_S16_S17_S18_S1B_S1C_jS1D_jS1E_S1E_jjS1G_bEUljE0_EEESZ_S10_S11_S18_S1C_S1E_T6_T7_T9_mT8_S1G_bDpT10_ENKUlT_T0_E_clISt17integral_constantIbLb0EES1U_EEDaS1P_S1Q_EUlS1P_E_NS1_11comp_targetILNS1_3genE0ELNS1_11target_archE4294967295ELNS1_3gpuE0ELNS1_3repE0EEENS1_30default_config_static_selectorELNS0_4arch9wavefront6targetE0EEEvS12_,"axG",@progbits,_ZN7rocprim17ROCPRIM_400000_NS6detail17trampoline_kernelINS0_13select_configILj256ELj13ELNS0_17block_load_methodE3ELS4_3ELS4_3ELNS0_20block_scan_algorithmE0ELj4294967295EEENS1_25partition_config_selectorILNS1_17partition_subalgoE4EjNS0_10empty_typeEbEEZZNS1_14partition_implILS8_4ELb0ES6_15HIP_vector_typeIjLj2EENS0_17counting_iteratorIjlEEPS9_SG_NS0_5tupleIJPjSI_NS0_16reverse_iteratorISI_EEEEENSH_IJSG_SG_SG_EEES9_SI_JZNS1_25segmented_radix_sort_implINS0_14default_configELb0EPKbPbPKlPlN2at6native12_GLOBAL__N_18offset_tEEE10hipError_tPvRmT1_PNSt15iterator_traitsIS12_E10value_typeET2_T3_PNS13_IS18_E10value_typeET4_jRbjT5_S1E_jjP12ihipStream_tbEUljE_ZNSN_ISO_Lb0ESQ_SR_ST_SU_SY_EESZ_S10_S11_S12_S16_S17_S18_S1B_S1C_jS1D_jS1E_S1E_jjS1G_bEUljE0_EEESZ_S10_S11_S18_S1C_S1E_T6_T7_T9_mT8_S1G_bDpT10_ENKUlT_T0_E_clISt17integral_constantIbLb0EES1U_EEDaS1P_S1Q_EUlS1P_E_NS1_11comp_targetILNS1_3genE0ELNS1_11target_archE4294967295ELNS1_3gpuE0ELNS1_3repE0EEENS1_30default_config_static_selectorELNS0_4arch9wavefront6targetE0EEEvS12_,comdat
	.globl	_ZN7rocprim17ROCPRIM_400000_NS6detail17trampoline_kernelINS0_13select_configILj256ELj13ELNS0_17block_load_methodE3ELS4_3ELS4_3ELNS0_20block_scan_algorithmE0ELj4294967295EEENS1_25partition_config_selectorILNS1_17partition_subalgoE4EjNS0_10empty_typeEbEEZZNS1_14partition_implILS8_4ELb0ES6_15HIP_vector_typeIjLj2EENS0_17counting_iteratorIjlEEPS9_SG_NS0_5tupleIJPjSI_NS0_16reverse_iteratorISI_EEEEENSH_IJSG_SG_SG_EEES9_SI_JZNS1_25segmented_radix_sort_implINS0_14default_configELb0EPKbPbPKlPlN2at6native12_GLOBAL__N_18offset_tEEE10hipError_tPvRmT1_PNSt15iterator_traitsIS12_E10value_typeET2_T3_PNS13_IS18_E10value_typeET4_jRbjT5_S1E_jjP12ihipStream_tbEUljE_ZNSN_ISO_Lb0ESQ_SR_ST_SU_SY_EESZ_S10_S11_S12_S16_S17_S18_S1B_S1C_jS1D_jS1E_S1E_jjS1G_bEUljE0_EEESZ_S10_S11_S18_S1C_S1E_T6_T7_T9_mT8_S1G_bDpT10_ENKUlT_T0_E_clISt17integral_constantIbLb0EES1U_EEDaS1P_S1Q_EUlS1P_E_NS1_11comp_targetILNS1_3genE0ELNS1_11target_archE4294967295ELNS1_3gpuE0ELNS1_3repE0EEENS1_30default_config_static_selectorELNS0_4arch9wavefront6targetE0EEEvS12_ ; -- Begin function _ZN7rocprim17ROCPRIM_400000_NS6detail17trampoline_kernelINS0_13select_configILj256ELj13ELNS0_17block_load_methodE3ELS4_3ELS4_3ELNS0_20block_scan_algorithmE0ELj4294967295EEENS1_25partition_config_selectorILNS1_17partition_subalgoE4EjNS0_10empty_typeEbEEZZNS1_14partition_implILS8_4ELb0ES6_15HIP_vector_typeIjLj2EENS0_17counting_iteratorIjlEEPS9_SG_NS0_5tupleIJPjSI_NS0_16reverse_iteratorISI_EEEEENSH_IJSG_SG_SG_EEES9_SI_JZNS1_25segmented_radix_sort_implINS0_14default_configELb0EPKbPbPKlPlN2at6native12_GLOBAL__N_18offset_tEEE10hipError_tPvRmT1_PNSt15iterator_traitsIS12_E10value_typeET2_T3_PNS13_IS18_E10value_typeET4_jRbjT5_S1E_jjP12ihipStream_tbEUljE_ZNSN_ISO_Lb0ESQ_SR_ST_SU_SY_EESZ_S10_S11_S12_S16_S17_S18_S1B_S1C_jS1D_jS1E_S1E_jjS1G_bEUljE0_EEESZ_S10_S11_S18_S1C_S1E_T6_T7_T9_mT8_S1G_bDpT10_ENKUlT_T0_E_clISt17integral_constantIbLb0EES1U_EEDaS1P_S1Q_EUlS1P_E_NS1_11comp_targetILNS1_3genE0ELNS1_11target_archE4294967295ELNS1_3gpuE0ELNS1_3repE0EEENS1_30default_config_static_selectorELNS0_4arch9wavefront6targetE0EEEvS12_
	.p2align	8
	.type	_ZN7rocprim17ROCPRIM_400000_NS6detail17trampoline_kernelINS0_13select_configILj256ELj13ELNS0_17block_load_methodE3ELS4_3ELS4_3ELNS0_20block_scan_algorithmE0ELj4294967295EEENS1_25partition_config_selectorILNS1_17partition_subalgoE4EjNS0_10empty_typeEbEEZZNS1_14partition_implILS8_4ELb0ES6_15HIP_vector_typeIjLj2EENS0_17counting_iteratorIjlEEPS9_SG_NS0_5tupleIJPjSI_NS0_16reverse_iteratorISI_EEEEENSH_IJSG_SG_SG_EEES9_SI_JZNS1_25segmented_radix_sort_implINS0_14default_configELb0EPKbPbPKlPlN2at6native12_GLOBAL__N_18offset_tEEE10hipError_tPvRmT1_PNSt15iterator_traitsIS12_E10value_typeET2_T3_PNS13_IS18_E10value_typeET4_jRbjT5_S1E_jjP12ihipStream_tbEUljE_ZNSN_ISO_Lb0ESQ_SR_ST_SU_SY_EESZ_S10_S11_S12_S16_S17_S18_S1B_S1C_jS1D_jS1E_S1E_jjS1G_bEUljE0_EEESZ_S10_S11_S18_S1C_S1E_T6_T7_T9_mT8_S1G_bDpT10_ENKUlT_T0_E_clISt17integral_constantIbLb0EES1U_EEDaS1P_S1Q_EUlS1P_E_NS1_11comp_targetILNS1_3genE0ELNS1_11target_archE4294967295ELNS1_3gpuE0ELNS1_3repE0EEENS1_30default_config_static_selectorELNS0_4arch9wavefront6targetE0EEEvS12_,@function
_ZN7rocprim17ROCPRIM_400000_NS6detail17trampoline_kernelINS0_13select_configILj256ELj13ELNS0_17block_load_methodE3ELS4_3ELS4_3ELNS0_20block_scan_algorithmE0ELj4294967295EEENS1_25partition_config_selectorILNS1_17partition_subalgoE4EjNS0_10empty_typeEbEEZZNS1_14partition_implILS8_4ELb0ES6_15HIP_vector_typeIjLj2EENS0_17counting_iteratorIjlEEPS9_SG_NS0_5tupleIJPjSI_NS0_16reverse_iteratorISI_EEEEENSH_IJSG_SG_SG_EEES9_SI_JZNS1_25segmented_radix_sort_implINS0_14default_configELb0EPKbPbPKlPlN2at6native12_GLOBAL__N_18offset_tEEE10hipError_tPvRmT1_PNSt15iterator_traitsIS12_E10value_typeET2_T3_PNS13_IS18_E10value_typeET4_jRbjT5_S1E_jjP12ihipStream_tbEUljE_ZNSN_ISO_Lb0ESQ_SR_ST_SU_SY_EESZ_S10_S11_S12_S16_S17_S18_S1B_S1C_jS1D_jS1E_S1E_jjS1G_bEUljE0_EEESZ_S10_S11_S18_S1C_S1E_T6_T7_T9_mT8_S1G_bDpT10_ENKUlT_T0_E_clISt17integral_constantIbLb0EES1U_EEDaS1P_S1Q_EUlS1P_E_NS1_11comp_targetILNS1_3genE0ELNS1_11target_archE4294967295ELNS1_3gpuE0ELNS1_3repE0EEENS1_30default_config_static_selectorELNS0_4arch9wavefront6targetE0EEEvS12_: ; @_ZN7rocprim17ROCPRIM_400000_NS6detail17trampoline_kernelINS0_13select_configILj256ELj13ELNS0_17block_load_methodE3ELS4_3ELS4_3ELNS0_20block_scan_algorithmE0ELj4294967295EEENS1_25partition_config_selectorILNS1_17partition_subalgoE4EjNS0_10empty_typeEbEEZZNS1_14partition_implILS8_4ELb0ES6_15HIP_vector_typeIjLj2EENS0_17counting_iteratorIjlEEPS9_SG_NS0_5tupleIJPjSI_NS0_16reverse_iteratorISI_EEEEENSH_IJSG_SG_SG_EEES9_SI_JZNS1_25segmented_radix_sort_implINS0_14default_configELb0EPKbPbPKlPlN2at6native12_GLOBAL__N_18offset_tEEE10hipError_tPvRmT1_PNSt15iterator_traitsIS12_E10value_typeET2_T3_PNS13_IS18_E10value_typeET4_jRbjT5_S1E_jjP12ihipStream_tbEUljE_ZNSN_ISO_Lb0ESQ_SR_ST_SU_SY_EESZ_S10_S11_S12_S16_S17_S18_S1B_S1C_jS1D_jS1E_S1E_jjS1G_bEUljE0_EEESZ_S10_S11_S18_S1C_S1E_T6_T7_T9_mT8_S1G_bDpT10_ENKUlT_T0_E_clISt17integral_constantIbLb0EES1U_EEDaS1P_S1Q_EUlS1P_E_NS1_11comp_targetILNS1_3genE0ELNS1_11target_archE4294967295ELNS1_3gpuE0ELNS1_3repE0EEENS1_30default_config_static_selectorELNS0_4arch9wavefront6targetE0EEEvS12_
; %bb.0:
	.section	.rodata,"a",@progbits
	.p2align	6, 0x0
	.amdhsa_kernel _ZN7rocprim17ROCPRIM_400000_NS6detail17trampoline_kernelINS0_13select_configILj256ELj13ELNS0_17block_load_methodE3ELS4_3ELS4_3ELNS0_20block_scan_algorithmE0ELj4294967295EEENS1_25partition_config_selectorILNS1_17partition_subalgoE4EjNS0_10empty_typeEbEEZZNS1_14partition_implILS8_4ELb0ES6_15HIP_vector_typeIjLj2EENS0_17counting_iteratorIjlEEPS9_SG_NS0_5tupleIJPjSI_NS0_16reverse_iteratorISI_EEEEENSH_IJSG_SG_SG_EEES9_SI_JZNS1_25segmented_radix_sort_implINS0_14default_configELb0EPKbPbPKlPlN2at6native12_GLOBAL__N_18offset_tEEE10hipError_tPvRmT1_PNSt15iterator_traitsIS12_E10value_typeET2_T3_PNS13_IS18_E10value_typeET4_jRbjT5_S1E_jjP12ihipStream_tbEUljE_ZNSN_ISO_Lb0ESQ_SR_ST_SU_SY_EESZ_S10_S11_S12_S16_S17_S18_S1B_S1C_jS1D_jS1E_S1E_jjS1G_bEUljE0_EEESZ_S10_S11_S18_S1C_S1E_T6_T7_T9_mT8_S1G_bDpT10_ENKUlT_T0_E_clISt17integral_constantIbLb0EES1U_EEDaS1P_S1Q_EUlS1P_E_NS1_11comp_targetILNS1_3genE0ELNS1_11target_archE4294967295ELNS1_3gpuE0ELNS1_3repE0EEENS1_30default_config_static_selectorELNS0_4arch9wavefront6targetE0EEEvS12_
		.amdhsa_group_segment_fixed_size 0
		.amdhsa_private_segment_fixed_size 0
		.amdhsa_kernarg_size 176
		.amdhsa_user_sgpr_count 2
		.amdhsa_user_sgpr_dispatch_ptr 0
		.amdhsa_user_sgpr_queue_ptr 0
		.amdhsa_user_sgpr_kernarg_segment_ptr 1
		.amdhsa_user_sgpr_dispatch_id 0
		.amdhsa_user_sgpr_private_segment_size 0
		.amdhsa_wavefront_size32 1
		.amdhsa_uses_dynamic_stack 0
		.amdhsa_enable_private_segment 0
		.amdhsa_system_sgpr_workgroup_id_x 1
		.amdhsa_system_sgpr_workgroup_id_y 0
		.amdhsa_system_sgpr_workgroup_id_z 0
		.amdhsa_system_sgpr_workgroup_info 0
		.amdhsa_system_vgpr_workitem_id 0
		.amdhsa_next_free_vgpr 1
		.amdhsa_next_free_sgpr 1
		.amdhsa_reserve_vcc 0
		.amdhsa_float_round_mode_32 0
		.amdhsa_float_round_mode_16_64 0
		.amdhsa_float_denorm_mode_32 3
		.amdhsa_float_denorm_mode_16_64 3
		.amdhsa_fp16_overflow 0
		.amdhsa_workgroup_processor_mode 1
		.amdhsa_memory_ordered 1
		.amdhsa_forward_progress 1
		.amdhsa_inst_pref_size 0
		.amdhsa_round_robin_scheduling 0
		.amdhsa_exception_fp_ieee_invalid_op 0
		.amdhsa_exception_fp_denorm_src 0
		.amdhsa_exception_fp_ieee_div_zero 0
		.amdhsa_exception_fp_ieee_overflow 0
		.amdhsa_exception_fp_ieee_underflow 0
		.amdhsa_exception_fp_ieee_inexact 0
		.amdhsa_exception_int_div_zero 0
	.end_amdhsa_kernel
	.section	.text._ZN7rocprim17ROCPRIM_400000_NS6detail17trampoline_kernelINS0_13select_configILj256ELj13ELNS0_17block_load_methodE3ELS4_3ELS4_3ELNS0_20block_scan_algorithmE0ELj4294967295EEENS1_25partition_config_selectorILNS1_17partition_subalgoE4EjNS0_10empty_typeEbEEZZNS1_14partition_implILS8_4ELb0ES6_15HIP_vector_typeIjLj2EENS0_17counting_iteratorIjlEEPS9_SG_NS0_5tupleIJPjSI_NS0_16reverse_iteratorISI_EEEEENSH_IJSG_SG_SG_EEES9_SI_JZNS1_25segmented_radix_sort_implINS0_14default_configELb0EPKbPbPKlPlN2at6native12_GLOBAL__N_18offset_tEEE10hipError_tPvRmT1_PNSt15iterator_traitsIS12_E10value_typeET2_T3_PNS13_IS18_E10value_typeET4_jRbjT5_S1E_jjP12ihipStream_tbEUljE_ZNSN_ISO_Lb0ESQ_SR_ST_SU_SY_EESZ_S10_S11_S12_S16_S17_S18_S1B_S1C_jS1D_jS1E_S1E_jjS1G_bEUljE0_EEESZ_S10_S11_S18_S1C_S1E_T6_T7_T9_mT8_S1G_bDpT10_ENKUlT_T0_E_clISt17integral_constantIbLb0EES1U_EEDaS1P_S1Q_EUlS1P_E_NS1_11comp_targetILNS1_3genE0ELNS1_11target_archE4294967295ELNS1_3gpuE0ELNS1_3repE0EEENS1_30default_config_static_selectorELNS0_4arch9wavefront6targetE0EEEvS12_,"axG",@progbits,_ZN7rocprim17ROCPRIM_400000_NS6detail17trampoline_kernelINS0_13select_configILj256ELj13ELNS0_17block_load_methodE3ELS4_3ELS4_3ELNS0_20block_scan_algorithmE0ELj4294967295EEENS1_25partition_config_selectorILNS1_17partition_subalgoE4EjNS0_10empty_typeEbEEZZNS1_14partition_implILS8_4ELb0ES6_15HIP_vector_typeIjLj2EENS0_17counting_iteratorIjlEEPS9_SG_NS0_5tupleIJPjSI_NS0_16reverse_iteratorISI_EEEEENSH_IJSG_SG_SG_EEES9_SI_JZNS1_25segmented_radix_sort_implINS0_14default_configELb0EPKbPbPKlPlN2at6native12_GLOBAL__N_18offset_tEEE10hipError_tPvRmT1_PNSt15iterator_traitsIS12_E10value_typeET2_T3_PNS13_IS18_E10value_typeET4_jRbjT5_S1E_jjP12ihipStream_tbEUljE_ZNSN_ISO_Lb0ESQ_SR_ST_SU_SY_EESZ_S10_S11_S12_S16_S17_S18_S1B_S1C_jS1D_jS1E_S1E_jjS1G_bEUljE0_EEESZ_S10_S11_S18_S1C_S1E_T6_T7_T9_mT8_S1G_bDpT10_ENKUlT_T0_E_clISt17integral_constantIbLb0EES1U_EEDaS1P_S1Q_EUlS1P_E_NS1_11comp_targetILNS1_3genE0ELNS1_11target_archE4294967295ELNS1_3gpuE0ELNS1_3repE0EEENS1_30default_config_static_selectorELNS0_4arch9wavefront6targetE0EEEvS12_,comdat
.Lfunc_end1571:
	.size	_ZN7rocprim17ROCPRIM_400000_NS6detail17trampoline_kernelINS0_13select_configILj256ELj13ELNS0_17block_load_methodE3ELS4_3ELS4_3ELNS0_20block_scan_algorithmE0ELj4294967295EEENS1_25partition_config_selectorILNS1_17partition_subalgoE4EjNS0_10empty_typeEbEEZZNS1_14partition_implILS8_4ELb0ES6_15HIP_vector_typeIjLj2EENS0_17counting_iteratorIjlEEPS9_SG_NS0_5tupleIJPjSI_NS0_16reverse_iteratorISI_EEEEENSH_IJSG_SG_SG_EEES9_SI_JZNS1_25segmented_radix_sort_implINS0_14default_configELb0EPKbPbPKlPlN2at6native12_GLOBAL__N_18offset_tEEE10hipError_tPvRmT1_PNSt15iterator_traitsIS12_E10value_typeET2_T3_PNS13_IS18_E10value_typeET4_jRbjT5_S1E_jjP12ihipStream_tbEUljE_ZNSN_ISO_Lb0ESQ_SR_ST_SU_SY_EESZ_S10_S11_S12_S16_S17_S18_S1B_S1C_jS1D_jS1E_S1E_jjS1G_bEUljE0_EEESZ_S10_S11_S18_S1C_S1E_T6_T7_T9_mT8_S1G_bDpT10_ENKUlT_T0_E_clISt17integral_constantIbLb0EES1U_EEDaS1P_S1Q_EUlS1P_E_NS1_11comp_targetILNS1_3genE0ELNS1_11target_archE4294967295ELNS1_3gpuE0ELNS1_3repE0EEENS1_30default_config_static_selectorELNS0_4arch9wavefront6targetE0EEEvS12_, .Lfunc_end1571-_ZN7rocprim17ROCPRIM_400000_NS6detail17trampoline_kernelINS0_13select_configILj256ELj13ELNS0_17block_load_methodE3ELS4_3ELS4_3ELNS0_20block_scan_algorithmE0ELj4294967295EEENS1_25partition_config_selectorILNS1_17partition_subalgoE4EjNS0_10empty_typeEbEEZZNS1_14partition_implILS8_4ELb0ES6_15HIP_vector_typeIjLj2EENS0_17counting_iteratorIjlEEPS9_SG_NS0_5tupleIJPjSI_NS0_16reverse_iteratorISI_EEEEENSH_IJSG_SG_SG_EEES9_SI_JZNS1_25segmented_radix_sort_implINS0_14default_configELb0EPKbPbPKlPlN2at6native12_GLOBAL__N_18offset_tEEE10hipError_tPvRmT1_PNSt15iterator_traitsIS12_E10value_typeET2_T3_PNS13_IS18_E10value_typeET4_jRbjT5_S1E_jjP12ihipStream_tbEUljE_ZNSN_ISO_Lb0ESQ_SR_ST_SU_SY_EESZ_S10_S11_S12_S16_S17_S18_S1B_S1C_jS1D_jS1E_S1E_jjS1G_bEUljE0_EEESZ_S10_S11_S18_S1C_S1E_T6_T7_T9_mT8_S1G_bDpT10_ENKUlT_T0_E_clISt17integral_constantIbLb0EES1U_EEDaS1P_S1Q_EUlS1P_E_NS1_11comp_targetILNS1_3genE0ELNS1_11target_archE4294967295ELNS1_3gpuE0ELNS1_3repE0EEENS1_30default_config_static_selectorELNS0_4arch9wavefront6targetE0EEEvS12_
                                        ; -- End function
	.set _ZN7rocprim17ROCPRIM_400000_NS6detail17trampoline_kernelINS0_13select_configILj256ELj13ELNS0_17block_load_methodE3ELS4_3ELS4_3ELNS0_20block_scan_algorithmE0ELj4294967295EEENS1_25partition_config_selectorILNS1_17partition_subalgoE4EjNS0_10empty_typeEbEEZZNS1_14partition_implILS8_4ELb0ES6_15HIP_vector_typeIjLj2EENS0_17counting_iteratorIjlEEPS9_SG_NS0_5tupleIJPjSI_NS0_16reverse_iteratorISI_EEEEENSH_IJSG_SG_SG_EEES9_SI_JZNS1_25segmented_radix_sort_implINS0_14default_configELb0EPKbPbPKlPlN2at6native12_GLOBAL__N_18offset_tEEE10hipError_tPvRmT1_PNSt15iterator_traitsIS12_E10value_typeET2_T3_PNS13_IS18_E10value_typeET4_jRbjT5_S1E_jjP12ihipStream_tbEUljE_ZNSN_ISO_Lb0ESQ_SR_ST_SU_SY_EESZ_S10_S11_S12_S16_S17_S18_S1B_S1C_jS1D_jS1E_S1E_jjS1G_bEUljE0_EEESZ_S10_S11_S18_S1C_S1E_T6_T7_T9_mT8_S1G_bDpT10_ENKUlT_T0_E_clISt17integral_constantIbLb0EES1U_EEDaS1P_S1Q_EUlS1P_E_NS1_11comp_targetILNS1_3genE0ELNS1_11target_archE4294967295ELNS1_3gpuE0ELNS1_3repE0EEENS1_30default_config_static_selectorELNS0_4arch9wavefront6targetE0EEEvS12_.num_vgpr, 0
	.set _ZN7rocprim17ROCPRIM_400000_NS6detail17trampoline_kernelINS0_13select_configILj256ELj13ELNS0_17block_load_methodE3ELS4_3ELS4_3ELNS0_20block_scan_algorithmE0ELj4294967295EEENS1_25partition_config_selectorILNS1_17partition_subalgoE4EjNS0_10empty_typeEbEEZZNS1_14partition_implILS8_4ELb0ES6_15HIP_vector_typeIjLj2EENS0_17counting_iteratorIjlEEPS9_SG_NS0_5tupleIJPjSI_NS0_16reverse_iteratorISI_EEEEENSH_IJSG_SG_SG_EEES9_SI_JZNS1_25segmented_radix_sort_implINS0_14default_configELb0EPKbPbPKlPlN2at6native12_GLOBAL__N_18offset_tEEE10hipError_tPvRmT1_PNSt15iterator_traitsIS12_E10value_typeET2_T3_PNS13_IS18_E10value_typeET4_jRbjT5_S1E_jjP12ihipStream_tbEUljE_ZNSN_ISO_Lb0ESQ_SR_ST_SU_SY_EESZ_S10_S11_S12_S16_S17_S18_S1B_S1C_jS1D_jS1E_S1E_jjS1G_bEUljE0_EEESZ_S10_S11_S18_S1C_S1E_T6_T7_T9_mT8_S1G_bDpT10_ENKUlT_T0_E_clISt17integral_constantIbLb0EES1U_EEDaS1P_S1Q_EUlS1P_E_NS1_11comp_targetILNS1_3genE0ELNS1_11target_archE4294967295ELNS1_3gpuE0ELNS1_3repE0EEENS1_30default_config_static_selectorELNS0_4arch9wavefront6targetE0EEEvS12_.num_agpr, 0
	.set _ZN7rocprim17ROCPRIM_400000_NS6detail17trampoline_kernelINS0_13select_configILj256ELj13ELNS0_17block_load_methodE3ELS4_3ELS4_3ELNS0_20block_scan_algorithmE0ELj4294967295EEENS1_25partition_config_selectorILNS1_17partition_subalgoE4EjNS0_10empty_typeEbEEZZNS1_14partition_implILS8_4ELb0ES6_15HIP_vector_typeIjLj2EENS0_17counting_iteratorIjlEEPS9_SG_NS0_5tupleIJPjSI_NS0_16reverse_iteratorISI_EEEEENSH_IJSG_SG_SG_EEES9_SI_JZNS1_25segmented_radix_sort_implINS0_14default_configELb0EPKbPbPKlPlN2at6native12_GLOBAL__N_18offset_tEEE10hipError_tPvRmT1_PNSt15iterator_traitsIS12_E10value_typeET2_T3_PNS13_IS18_E10value_typeET4_jRbjT5_S1E_jjP12ihipStream_tbEUljE_ZNSN_ISO_Lb0ESQ_SR_ST_SU_SY_EESZ_S10_S11_S12_S16_S17_S18_S1B_S1C_jS1D_jS1E_S1E_jjS1G_bEUljE0_EEESZ_S10_S11_S18_S1C_S1E_T6_T7_T9_mT8_S1G_bDpT10_ENKUlT_T0_E_clISt17integral_constantIbLb0EES1U_EEDaS1P_S1Q_EUlS1P_E_NS1_11comp_targetILNS1_3genE0ELNS1_11target_archE4294967295ELNS1_3gpuE0ELNS1_3repE0EEENS1_30default_config_static_selectorELNS0_4arch9wavefront6targetE0EEEvS12_.numbered_sgpr, 0
	.set _ZN7rocprim17ROCPRIM_400000_NS6detail17trampoline_kernelINS0_13select_configILj256ELj13ELNS0_17block_load_methodE3ELS4_3ELS4_3ELNS0_20block_scan_algorithmE0ELj4294967295EEENS1_25partition_config_selectorILNS1_17partition_subalgoE4EjNS0_10empty_typeEbEEZZNS1_14partition_implILS8_4ELb0ES6_15HIP_vector_typeIjLj2EENS0_17counting_iteratorIjlEEPS9_SG_NS0_5tupleIJPjSI_NS0_16reverse_iteratorISI_EEEEENSH_IJSG_SG_SG_EEES9_SI_JZNS1_25segmented_radix_sort_implINS0_14default_configELb0EPKbPbPKlPlN2at6native12_GLOBAL__N_18offset_tEEE10hipError_tPvRmT1_PNSt15iterator_traitsIS12_E10value_typeET2_T3_PNS13_IS18_E10value_typeET4_jRbjT5_S1E_jjP12ihipStream_tbEUljE_ZNSN_ISO_Lb0ESQ_SR_ST_SU_SY_EESZ_S10_S11_S12_S16_S17_S18_S1B_S1C_jS1D_jS1E_S1E_jjS1G_bEUljE0_EEESZ_S10_S11_S18_S1C_S1E_T6_T7_T9_mT8_S1G_bDpT10_ENKUlT_T0_E_clISt17integral_constantIbLb0EES1U_EEDaS1P_S1Q_EUlS1P_E_NS1_11comp_targetILNS1_3genE0ELNS1_11target_archE4294967295ELNS1_3gpuE0ELNS1_3repE0EEENS1_30default_config_static_selectorELNS0_4arch9wavefront6targetE0EEEvS12_.num_named_barrier, 0
	.set _ZN7rocprim17ROCPRIM_400000_NS6detail17trampoline_kernelINS0_13select_configILj256ELj13ELNS0_17block_load_methodE3ELS4_3ELS4_3ELNS0_20block_scan_algorithmE0ELj4294967295EEENS1_25partition_config_selectorILNS1_17partition_subalgoE4EjNS0_10empty_typeEbEEZZNS1_14partition_implILS8_4ELb0ES6_15HIP_vector_typeIjLj2EENS0_17counting_iteratorIjlEEPS9_SG_NS0_5tupleIJPjSI_NS0_16reverse_iteratorISI_EEEEENSH_IJSG_SG_SG_EEES9_SI_JZNS1_25segmented_radix_sort_implINS0_14default_configELb0EPKbPbPKlPlN2at6native12_GLOBAL__N_18offset_tEEE10hipError_tPvRmT1_PNSt15iterator_traitsIS12_E10value_typeET2_T3_PNS13_IS18_E10value_typeET4_jRbjT5_S1E_jjP12ihipStream_tbEUljE_ZNSN_ISO_Lb0ESQ_SR_ST_SU_SY_EESZ_S10_S11_S12_S16_S17_S18_S1B_S1C_jS1D_jS1E_S1E_jjS1G_bEUljE0_EEESZ_S10_S11_S18_S1C_S1E_T6_T7_T9_mT8_S1G_bDpT10_ENKUlT_T0_E_clISt17integral_constantIbLb0EES1U_EEDaS1P_S1Q_EUlS1P_E_NS1_11comp_targetILNS1_3genE0ELNS1_11target_archE4294967295ELNS1_3gpuE0ELNS1_3repE0EEENS1_30default_config_static_selectorELNS0_4arch9wavefront6targetE0EEEvS12_.private_seg_size, 0
	.set _ZN7rocprim17ROCPRIM_400000_NS6detail17trampoline_kernelINS0_13select_configILj256ELj13ELNS0_17block_load_methodE3ELS4_3ELS4_3ELNS0_20block_scan_algorithmE0ELj4294967295EEENS1_25partition_config_selectorILNS1_17partition_subalgoE4EjNS0_10empty_typeEbEEZZNS1_14partition_implILS8_4ELb0ES6_15HIP_vector_typeIjLj2EENS0_17counting_iteratorIjlEEPS9_SG_NS0_5tupleIJPjSI_NS0_16reverse_iteratorISI_EEEEENSH_IJSG_SG_SG_EEES9_SI_JZNS1_25segmented_radix_sort_implINS0_14default_configELb0EPKbPbPKlPlN2at6native12_GLOBAL__N_18offset_tEEE10hipError_tPvRmT1_PNSt15iterator_traitsIS12_E10value_typeET2_T3_PNS13_IS18_E10value_typeET4_jRbjT5_S1E_jjP12ihipStream_tbEUljE_ZNSN_ISO_Lb0ESQ_SR_ST_SU_SY_EESZ_S10_S11_S12_S16_S17_S18_S1B_S1C_jS1D_jS1E_S1E_jjS1G_bEUljE0_EEESZ_S10_S11_S18_S1C_S1E_T6_T7_T9_mT8_S1G_bDpT10_ENKUlT_T0_E_clISt17integral_constantIbLb0EES1U_EEDaS1P_S1Q_EUlS1P_E_NS1_11comp_targetILNS1_3genE0ELNS1_11target_archE4294967295ELNS1_3gpuE0ELNS1_3repE0EEENS1_30default_config_static_selectorELNS0_4arch9wavefront6targetE0EEEvS12_.uses_vcc, 0
	.set _ZN7rocprim17ROCPRIM_400000_NS6detail17trampoline_kernelINS0_13select_configILj256ELj13ELNS0_17block_load_methodE3ELS4_3ELS4_3ELNS0_20block_scan_algorithmE0ELj4294967295EEENS1_25partition_config_selectorILNS1_17partition_subalgoE4EjNS0_10empty_typeEbEEZZNS1_14partition_implILS8_4ELb0ES6_15HIP_vector_typeIjLj2EENS0_17counting_iteratorIjlEEPS9_SG_NS0_5tupleIJPjSI_NS0_16reverse_iteratorISI_EEEEENSH_IJSG_SG_SG_EEES9_SI_JZNS1_25segmented_radix_sort_implINS0_14default_configELb0EPKbPbPKlPlN2at6native12_GLOBAL__N_18offset_tEEE10hipError_tPvRmT1_PNSt15iterator_traitsIS12_E10value_typeET2_T3_PNS13_IS18_E10value_typeET4_jRbjT5_S1E_jjP12ihipStream_tbEUljE_ZNSN_ISO_Lb0ESQ_SR_ST_SU_SY_EESZ_S10_S11_S12_S16_S17_S18_S1B_S1C_jS1D_jS1E_S1E_jjS1G_bEUljE0_EEESZ_S10_S11_S18_S1C_S1E_T6_T7_T9_mT8_S1G_bDpT10_ENKUlT_T0_E_clISt17integral_constantIbLb0EES1U_EEDaS1P_S1Q_EUlS1P_E_NS1_11comp_targetILNS1_3genE0ELNS1_11target_archE4294967295ELNS1_3gpuE0ELNS1_3repE0EEENS1_30default_config_static_selectorELNS0_4arch9wavefront6targetE0EEEvS12_.uses_flat_scratch, 0
	.set _ZN7rocprim17ROCPRIM_400000_NS6detail17trampoline_kernelINS0_13select_configILj256ELj13ELNS0_17block_load_methodE3ELS4_3ELS4_3ELNS0_20block_scan_algorithmE0ELj4294967295EEENS1_25partition_config_selectorILNS1_17partition_subalgoE4EjNS0_10empty_typeEbEEZZNS1_14partition_implILS8_4ELb0ES6_15HIP_vector_typeIjLj2EENS0_17counting_iteratorIjlEEPS9_SG_NS0_5tupleIJPjSI_NS0_16reverse_iteratorISI_EEEEENSH_IJSG_SG_SG_EEES9_SI_JZNS1_25segmented_radix_sort_implINS0_14default_configELb0EPKbPbPKlPlN2at6native12_GLOBAL__N_18offset_tEEE10hipError_tPvRmT1_PNSt15iterator_traitsIS12_E10value_typeET2_T3_PNS13_IS18_E10value_typeET4_jRbjT5_S1E_jjP12ihipStream_tbEUljE_ZNSN_ISO_Lb0ESQ_SR_ST_SU_SY_EESZ_S10_S11_S12_S16_S17_S18_S1B_S1C_jS1D_jS1E_S1E_jjS1G_bEUljE0_EEESZ_S10_S11_S18_S1C_S1E_T6_T7_T9_mT8_S1G_bDpT10_ENKUlT_T0_E_clISt17integral_constantIbLb0EES1U_EEDaS1P_S1Q_EUlS1P_E_NS1_11comp_targetILNS1_3genE0ELNS1_11target_archE4294967295ELNS1_3gpuE0ELNS1_3repE0EEENS1_30default_config_static_selectorELNS0_4arch9wavefront6targetE0EEEvS12_.has_dyn_sized_stack, 0
	.set _ZN7rocprim17ROCPRIM_400000_NS6detail17trampoline_kernelINS0_13select_configILj256ELj13ELNS0_17block_load_methodE3ELS4_3ELS4_3ELNS0_20block_scan_algorithmE0ELj4294967295EEENS1_25partition_config_selectorILNS1_17partition_subalgoE4EjNS0_10empty_typeEbEEZZNS1_14partition_implILS8_4ELb0ES6_15HIP_vector_typeIjLj2EENS0_17counting_iteratorIjlEEPS9_SG_NS0_5tupleIJPjSI_NS0_16reverse_iteratorISI_EEEEENSH_IJSG_SG_SG_EEES9_SI_JZNS1_25segmented_radix_sort_implINS0_14default_configELb0EPKbPbPKlPlN2at6native12_GLOBAL__N_18offset_tEEE10hipError_tPvRmT1_PNSt15iterator_traitsIS12_E10value_typeET2_T3_PNS13_IS18_E10value_typeET4_jRbjT5_S1E_jjP12ihipStream_tbEUljE_ZNSN_ISO_Lb0ESQ_SR_ST_SU_SY_EESZ_S10_S11_S12_S16_S17_S18_S1B_S1C_jS1D_jS1E_S1E_jjS1G_bEUljE0_EEESZ_S10_S11_S18_S1C_S1E_T6_T7_T9_mT8_S1G_bDpT10_ENKUlT_T0_E_clISt17integral_constantIbLb0EES1U_EEDaS1P_S1Q_EUlS1P_E_NS1_11comp_targetILNS1_3genE0ELNS1_11target_archE4294967295ELNS1_3gpuE0ELNS1_3repE0EEENS1_30default_config_static_selectorELNS0_4arch9wavefront6targetE0EEEvS12_.has_recursion, 0
	.set _ZN7rocprim17ROCPRIM_400000_NS6detail17trampoline_kernelINS0_13select_configILj256ELj13ELNS0_17block_load_methodE3ELS4_3ELS4_3ELNS0_20block_scan_algorithmE0ELj4294967295EEENS1_25partition_config_selectorILNS1_17partition_subalgoE4EjNS0_10empty_typeEbEEZZNS1_14partition_implILS8_4ELb0ES6_15HIP_vector_typeIjLj2EENS0_17counting_iteratorIjlEEPS9_SG_NS0_5tupleIJPjSI_NS0_16reverse_iteratorISI_EEEEENSH_IJSG_SG_SG_EEES9_SI_JZNS1_25segmented_radix_sort_implINS0_14default_configELb0EPKbPbPKlPlN2at6native12_GLOBAL__N_18offset_tEEE10hipError_tPvRmT1_PNSt15iterator_traitsIS12_E10value_typeET2_T3_PNS13_IS18_E10value_typeET4_jRbjT5_S1E_jjP12ihipStream_tbEUljE_ZNSN_ISO_Lb0ESQ_SR_ST_SU_SY_EESZ_S10_S11_S12_S16_S17_S18_S1B_S1C_jS1D_jS1E_S1E_jjS1G_bEUljE0_EEESZ_S10_S11_S18_S1C_S1E_T6_T7_T9_mT8_S1G_bDpT10_ENKUlT_T0_E_clISt17integral_constantIbLb0EES1U_EEDaS1P_S1Q_EUlS1P_E_NS1_11comp_targetILNS1_3genE0ELNS1_11target_archE4294967295ELNS1_3gpuE0ELNS1_3repE0EEENS1_30default_config_static_selectorELNS0_4arch9wavefront6targetE0EEEvS12_.has_indirect_call, 0
	.section	.AMDGPU.csdata,"",@progbits
; Kernel info:
; codeLenInByte = 0
; TotalNumSgprs: 0
; NumVgprs: 0
; ScratchSize: 0
; MemoryBound: 0
; FloatMode: 240
; IeeeMode: 1
; LDSByteSize: 0 bytes/workgroup (compile time only)
; SGPRBlocks: 0
; VGPRBlocks: 0
; NumSGPRsForWavesPerEU: 1
; NumVGPRsForWavesPerEU: 1
; Occupancy: 16
; WaveLimiterHint : 0
; COMPUTE_PGM_RSRC2:SCRATCH_EN: 0
; COMPUTE_PGM_RSRC2:USER_SGPR: 2
; COMPUTE_PGM_RSRC2:TRAP_HANDLER: 0
; COMPUTE_PGM_RSRC2:TGID_X_EN: 1
; COMPUTE_PGM_RSRC2:TGID_Y_EN: 0
; COMPUTE_PGM_RSRC2:TGID_Z_EN: 0
; COMPUTE_PGM_RSRC2:TIDIG_COMP_CNT: 0
	.section	.text._ZN7rocprim17ROCPRIM_400000_NS6detail17trampoline_kernelINS0_13select_configILj256ELj13ELNS0_17block_load_methodE3ELS4_3ELS4_3ELNS0_20block_scan_algorithmE0ELj4294967295EEENS1_25partition_config_selectorILNS1_17partition_subalgoE4EjNS0_10empty_typeEbEEZZNS1_14partition_implILS8_4ELb0ES6_15HIP_vector_typeIjLj2EENS0_17counting_iteratorIjlEEPS9_SG_NS0_5tupleIJPjSI_NS0_16reverse_iteratorISI_EEEEENSH_IJSG_SG_SG_EEES9_SI_JZNS1_25segmented_radix_sort_implINS0_14default_configELb0EPKbPbPKlPlN2at6native12_GLOBAL__N_18offset_tEEE10hipError_tPvRmT1_PNSt15iterator_traitsIS12_E10value_typeET2_T3_PNS13_IS18_E10value_typeET4_jRbjT5_S1E_jjP12ihipStream_tbEUljE_ZNSN_ISO_Lb0ESQ_SR_ST_SU_SY_EESZ_S10_S11_S12_S16_S17_S18_S1B_S1C_jS1D_jS1E_S1E_jjS1G_bEUljE0_EEESZ_S10_S11_S18_S1C_S1E_T6_T7_T9_mT8_S1G_bDpT10_ENKUlT_T0_E_clISt17integral_constantIbLb0EES1U_EEDaS1P_S1Q_EUlS1P_E_NS1_11comp_targetILNS1_3genE5ELNS1_11target_archE942ELNS1_3gpuE9ELNS1_3repE0EEENS1_30default_config_static_selectorELNS0_4arch9wavefront6targetE0EEEvS12_,"axG",@progbits,_ZN7rocprim17ROCPRIM_400000_NS6detail17trampoline_kernelINS0_13select_configILj256ELj13ELNS0_17block_load_methodE3ELS4_3ELS4_3ELNS0_20block_scan_algorithmE0ELj4294967295EEENS1_25partition_config_selectorILNS1_17partition_subalgoE4EjNS0_10empty_typeEbEEZZNS1_14partition_implILS8_4ELb0ES6_15HIP_vector_typeIjLj2EENS0_17counting_iteratorIjlEEPS9_SG_NS0_5tupleIJPjSI_NS0_16reverse_iteratorISI_EEEEENSH_IJSG_SG_SG_EEES9_SI_JZNS1_25segmented_radix_sort_implINS0_14default_configELb0EPKbPbPKlPlN2at6native12_GLOBAL__N_18offset_tEEE10hipError_tPvRmT1_PNSt15iterator_traitsIS12_E10value_typeET2_T3_PNS13_IS18_E10value_typeET4_jRbjT5_S1E_jjP12ihipStream_tbEUljE_ZNSN_ISO_Lb0ESQ_SR_ST_SU_SY_EESZ_S10_S11_S12_S16_S17_S18_S1B_S1C_jS1D_jS1E_S1E_jjS1G_bEUljE0_EEESZ_S10_S11_S18_S1C_S1E_T6_T7_T9_mT8_S1G_bDpT10_ENKUlT_T0_E_clISt17integral_constantIbLb0EES1U_EEDaS1P_S1Q_EUlS1P_E_NS1_11comp_targetILNS1_3genE5ELNS1_11target_archE942ELNS1_3gpuE9ELNS1_3repE0EEENS1_30default_config_static_selectorELNS0_4arch9wavefront6targetE0EEEvS12_,comdat
	.globl	_ZN7rocprim17ROCPRIM_400000_NS6detail17trampoline_kernelINS0_13select_configILj256ELj13ELNS0_17block_load_methodE3ELS4_3ELS4_3ELNS0_20block_scan_algorithmE0ELj4294967295EEENS1_25partition_config_selectorILNS1_17partition_subalgoE4EjNS0_10empty_typeEbEEZZNS1_14partition_implILS8_4ELb0ES6_15HIP_vector_typeIjLj2EENS0_17counting_iteratorIjlEEPS9_SG_NS0_5tupleIJPjSI_NS0_16reverse_iteratorISI_EEEEENSH_IJSG_SG_SG_EEES9_SI_JZNS1_25segmented_radix_sort_implINS0_14default_configELb0EPKbPbPKlPlN2at6native12_GLOBAL__N_18offset_tEEE10hipError_tPvRmT1_PNSt15iterator_traitsIS12_E10value_typeET2_T3_PNS13_IS18_E10value_typeET4_jRbjT5_S1E_jjP12ihipStream_tbEUljE_ZNSN_ISO_Lb0ESQ_SR_ST_SU_SY_EESZ_S10_S11_S12_S16_S17_S18_S1B_S1C_jS1D_jS1E_S1E_jjS1G_bEUljE0_EEESZ_S10_S11_S18_S1C_S1E_T6_T7_T9_mT8_S1G_bDpT10_ENKUlT_T0_E_clISt17integral_constantIbLb0EES1U_EEDaS1P_S1Q_EUlS1P_E_NS1_11comp_targetILNS1_3genE5ELNS1_11target_archE942ELNS1_3gpuE9ELNS1_3repE0EEENS1_30default_config_static_selectorELNS0_4arch9wavefront6targetE0EEEvS12_ ; -- Begin function _ZN7rocprim17ROCPRIM_400000_NS6detail17trampoline_kernelINS0_13select_configILj256ELj13ELNS0_17block_load_methodE3ELS4_3ELS4_3ELNS0_20block_scan_algorithmE0ELj4294967295EEENS1_25partition_config_selectorILNS1_17partition_subalgoE4EjNS0_10empty_typeEbEEZZNS1_14partition_implILS8_4ELb0ES6_15HIP_vector_typeIjLj2EENS0_17counting_iteratorIjlEEPS9_SG_NS0_5tupleIJPjSI_NS0_16reverse_iteratorISI_EEEEENSH_IJSG_SG_SG_EEES9_SI_JZNS1_25segmented_radix_sort_implINS0_14default_configELb0EPKbPbPKlPlN2at6native12_GLOBAL__N_18offset_tEEE10hipError_tPvRmT1_PNSt15iterator_traitsIS12_E10value_typeET2_T3_PNS13_IS18_E10value_typeET4_jRbjT5_S1E_jjP12ihipStream_tbEUljE_ZNSN_ISO_Lb0ESQ_SR_ST_SU_SY_EESZ_S10_S11_S12_S16_S17_S18_S1B_S1C_jS1D_jS1E_S1E_jjS1G_bEUljE0_EEESZ_S10_S11_S18_S1C_S1E_T6_T7_T9_mT8_S1G_bDpT10_ENKUlT_T0_E_clISt17integral_constantIbLb0EES1U_EEDaS1P_S1Q_EUlS1P_E_NS1_11comp_targetILNS1_3genE5ELNS1_11target_archE942ELNS1_3gpuE9ELNS1_3repE0EEENS1_30default_config_static_selectorELNS0_4arch9wavefront6targetE0EEEvS12_
	.p2align	8
	.type	_ZN7rocprim17ROCPRIM_400000_NS6detail17trampoline_kernelINS0_13select_configILj256ELj13ELNS0_17block_load_methodE3ELS4_3ELS4_3ELNS0_20block_scan_algorithmE0ELj4294967295EEENS1_25partition_config_selectorILNS1_17partition_subalgoE4EjNS0_10empty_typeEbEEZZNS1_14partition_implILS8_4ELb0ES6_15HIP_vector_typeIjLj2EENS0_17counting_iteratorIjlEEPS9_SG_NS0_5tupleIJPjSI_NS0_16reverse_iteratorISI_EEEEENSH_IJSG_SG_SG_EEES9_SI_JZNS1_25segmented_radix_sort_implINS0_14default_configELb0EPKbPbPKlPlN2at6native12_GLOBAL__N_18offset_tEEE10hipError_tPvRmT1_PNSt15iterator_traitsIS12_E10value_typeET2_T3_PNS13_IS18_E10value_typeET4_jRbjT5_S1E_jjP12ihipStream_tbEUljE_ZNSN_ISO_Lb0ESQ_SR_ST_SU_SY_EESZ_S10_S11_S12_S16_S17_S18_S1B_S1C_jS1D_jS1E_S1E_jjS1G_bEUljE0_EEESZ_S10_S11_S18_S1C_S1E_T6_T7_T9_mT8_S1G_bDpT10_ENKUlT_T0_E_clISt17integral_constantIbLb0EES1U_EEDaS1P_S1Q_EUlS1P_E_NS1_11comp_targetILNS1_3genE5ELNS1_11target_archE942ELNS1_3gpuE9ELNS1_3repE0EEENS1_30default_config_static_selectorELNS0_4arch9wavefront6targetE0EEEvS12_,@function
_ZN7rocprim17ROCPRIM_400000_NS6detail17trampoline_kernelINS0_13select_configILj256ELj13ELNS0_17block_load_methodE3ELS4_3ELS4_3ELNS0_20block_scan_algorithmE0ELj4294967295EEENS1_25partition_config_selectorILNS1_17partition_subalgoE4EjNS0_10empty_typeEbEEZZNS1_14partition_implILS8_4ELb0ES6_15HIP_vector_typeIjLj2EENS0_17counting_iteratorIjlEEPS9_SG_NS0_5tupleIJPjSI_NS0_16reverse_iteratorISI_EEEEENSH_IJSG_SG_SG_EEES9_SI_JZNS1_25segmented_radix_sort_implINS0_14default_configELb0EPKbPbPKlPlN2at6native12_GLOBAL__N_18offset_tEEE10hipError_tPvRmT1_PNSt15iterator_traitsIS12_E10value_typeET2_T3_PNS13_IS18_E10value_typeET4_jRbjT5_S1E_jjP12ihipStream_tbEUljE_ZNSN_ISO_Lb0ESQ_SR_ST_SU_SY_EESZ_S10_S11_S12_S16_S17_S18_S1B_S1C_jS1D_jS1E_S1E_jjS1G_bEUljE0_EEESZ_S10_S11_S18_S1C_S1E_T6_T7_T9_mT8_S1G_bDpT10_ENKUlT_T0_E_clISt17integral_constantIbLb0EES1U_EEDaS1P_S1Q_EUlS1P_E_NS1_11comp_targetILNS1_3genE5ELNS1_11target_archE942ELNS1_3gpuE9ELNS1_3repE0EEENS1_30default_config_static_selectorELNS0_4arch9wavefront6targetE0EEEvS12_: ; @_ZN7rocprim17ROCPRIM_400000_NS6detail17trampoline_kernelINS0_13select_configILj256ELj13ELNS0_17block_load_methodE3ELS4_3ELS4_3ELNS0_20block_scan_algorithmE0ELj4294967295EEENS1_25partition_config_selectorILNS1_17partition_subalgoE4EjNS0_10empty_typeEbEEZZNS1_14partition_implILS8_4ELb0ES6_15HIP_vector_typeIjLj2EENS0_17counting_iteratorIjlEEPS9_SG_NS0_5tupleIJPjSI_NS0_16reverse_iteratorISI_EEEEENSH_IJSG_SG_SG_EEES9_SI_JZNS1_25segmented_radix_sort_implINS0_14default_configELb0EPKbPbPKlPlN2at6native12_GLOBAL__N_18offset_tEEE10hipError_tPvRmT1_PNSt15iterator_traitsIS12_E10value_typeET2_T3_PNS13_IS18_E10value_typeET4_jRbjT5_S1E_jjP12ihipStream_tbEUljE_ZNSN_ISO_Lb0ESQ_SR_ST_SU_SY_EESZ_S10_S11_S12_S16_S17_S18_S1B_S1C_jS1D_jS1E_S1E_jjS1G_bEUljE0_EEESZ_S10_S11_S18_S1C_S1E_T6_T7_T9_mT8_S1G_bDpT10_ENKUlT_T0_E_clISt17integral_constantIbLb0EES1U_EEDaS1P_S1Q_EUlS1P_E_NS1_11comp_targetILNS1_3genE5ELNS1_11target_archE942ELNS1_3gpuE9ELNS1_3repE0EEENS1_30default_config_static_selectorELNS0_4arch9wavefront6targetE0EEEvS12_
; %bb.0:
	.section	.rodata,"a",@progbits
	.p2align	6, 0x0
	.amdhsa_kernel _ZN7rocprim17ROCPRIM_400000_NS6detail17trampoline_kernelINS0_13select_configILj256ELj13ELNS0_17block_load_methodE3ELS4_3ELS4_3ELNS0_20block_scan_algorithmE0ELj4294967295EEENS1_25partition_config_selectorILNS1_17partition_subalgoE4EjNS0_10empty_typeEbEEZZNS1_14partition_implILS8_4ELb0ES6_15HIP_vector_typeIjLj2EENS0_17counting_iteratorIjlEEPS9_SG_NS0_5tupleIJPjSI_NS0_16reverse_iteratorISI_EEEEENSH_IJSG_SG_SG_EEES9_SI_JZNS1_25segmented_radix_sort_implINS0_14default_configELb0EPKbPbPKlPlN2at6native12_GLOBAL__N_18offset_tEEE10hipError_tPvRmT1_PNSt15iterator_traitsIS12_E10value_typeET2_T3_PNS13_IS18_E10value_typeET4_jRbjT5_S1E_jjP12ihipStream_tbEUljE_ZNSN_ISO_Lb0ESQ_SR_ST_SU_SY_EESZ_S10_S11_S12_S16_S17_S18_S1B_S1C_jS1D_jS1E_S1E_jjS1G_bEUljE0_EEESZ_S10_S11_S18_S1C_S1E_T6_T7_T9_mT8_S1G_bDpT10_ENKUlT_T0_E_clISt17integral_constantIbLb0EES1U_EEDaS1P_S1Q_EUlS1P_E_NS1_11comp_targetILNS1_3genE5ELNS1_11target_archE942ELNS1_3gpuE9ELNS1_3repE0EEENS1_30default_config_static_selectorELNS0_4arch9wavefront6targetE0EEEvS12_
		.amdhsa_group_segment_fixed_size 0
		.amdhsa_private_segment_fixed_size 0
		.amdhsa_kernarg_size 176
		.amdhsa_user_sgpr_count 2
		.amdhsa_user_sgpr_dispatch_ptr 0
		.amdhsa_user_sgpr_queue_ptr 0
		.amdhsa_user_sgpr_kernarg_segment_ptr 1
		.amdhsa_user_sgpr_dispatch_id 0
		.amdhsa_user_sgpr_private_segment_size 0
		.amdhsa_wavefront_size32 1
		.amdhsa_uses_dynamic_stack 0
		.amdhsa_enable_private_segment 0
		.amdhsa_system_sgpr_workgroup_id_x 1
		.amdhsa_system_sgpr_workgroup_id_y 0
		.amdhsa_system_sgpr_workgroup_id_z 0
		.amdhsa_system_sgpr_workgroup_info 0
		.amdhsa_system_vgpr_workitem_id 0
		.amdhsa_next_free_vgpr 1
		.amdhsa_next_free_sgpr 1
		.amdhsa_reserve_vcc 0
		.amdhsa_float_round_mode_32 0
		.amdhsa_float_round_mode_16_64 0
		.amdhsa_float_denorm_mode_32 3
		.amdhsa_float_denorm_mode_16_64 3
		.amdhsa_fp16_overflow 0
		.amdhsa_workgroup_processor_mode 1
		.amdhsa_memory_ordered 1
		.amdhsa_forward_progress 1
		.amdhsa_inst_pref_size 0
		.amdhsa_round_robin_scheduling 0
		.amdhsa_exception_fp_ieee_invalid_op 0
		.amdhsa_exception_fp_denorm_src 0
		.amdhsa_exception_fp_ieee_div_zero 0
		.amdhsa_exception_fp_ieee_overflow 0
		.amdhsa_exception_fp_ieee_underflow 0
		.amdhsa_exception_fp_ieee_inexact 0
		.amdhsa_exception_int_div_zero 0
	.end_amdhsa_kernel
	.section	.text._ZN7rocprim17ROCPRIM_400000_NS6detail17trampoline_kernelINS0_13select_configILj256ELj13ELNS0_17block_load_methodE3ELS4_3ELS4_3ELNS0_20block_scan_algorithmE0ELj4294967295EEENS1_25partition_config_selectorILNS1_17partition_subalgoE4EjNS0_10empty_typeEbEEZZNS1_14partition_implILS8_4ELb0ES6_15HIP_vector_typeIjLj2EENS0_17counting_iteratorIjlEEPS9_SG_NS0_5tupleIJPjSI_NS0_16reverse_iteratorISI_EEEEENSH_IJSG_SG_SG_EEES9_SI_JZNS1_25segmented_radix_sort_implINS0_14default_configELb0EPKbPbPKlPlN2at6native12_GLOBAL__N_18offset_tEEE10hipError_tPvRmT1_PNSt15iterator_traitsIS12_E10value_typeET2_T3_PNS13_IS18_E10value_typeET4_jRbjT5_S1E_jjP12ihipStream_tbEUljE_ZNSN_ISO_Lb0ESQ_SR_ST_SU_SY_EESZ_S10_S11_S12_S16_S17_S18_S1B_S1C_jS1D_jS1E_S1E_jjS1G_bEUljE0_EEESZ_S10_S11_S18_S1C_S1E_T6_T7_T9_mT8_S1G_bDpT10_ENKUlT_T0_E_clISt17integral_constantIbLb0EES1U_EEDaS1P_S1Q_EUlS1P_E_NS1_11comp_targetILNS1_3genE5ELNS1_11target_archE942ELNS1_3gpuE9ELNS1_3repE0EEENS1_30default_config_static_selectorELNS0_4arch9wavefront6targetE0EEEvS12_,"axG",@progbits,_ZN7rocprim17ROCPRIM_400000_NS6detail17trampoline_kernelINS0_13select_configILj256ELj13ELNS0_17block_load_methodE3ELS4_3ELS4_3ELNS0_20block_scan_algorithmE0ELj4294967295EEENS1_25partition_config_selectorILNS1_17partition_subalgoE4EjNS0_10empty_typeEbEEZZNS1_14partition_implILS8_4ELb0ES6_15HIP_vector_typeIjLj2EENS0_17counting_iteratorIjlEEPS9_SG_NS0_5tupleIJPjSI_NS0_16reverse_iteratorISI_EEEEENSH_IJSG_SG_SG_EEES9_SI_JZNS1_25segmented_radix_sort_implINS0_14default_configELb0EPKbPbPKlPlN2at6native12_GLOBAL__N_18offset_tEEE10hipError_tPvRmT1_PNSt15iterator_traitsIS12_E10value_typeET2_T3_PNS13_IS18_E10value_typeET4_jRbjT5_S1E_jjP12ihipStream_tbEUljE_ZNSN_ISO_Lb0ESQ_SR_ST_SU_SY_EESZ_S10_S11_S12_S16_S17_S18_S1B_S1C_jS1D_jS1E_S1E_jjS1G_bEUljE0_EEESZ_S10_S11_S18_S1C_S1E_T6_T7_T9_mT8_S1G_bDpT10_ENKUlT_T0_E_clISt17integral_constantIbLb0EES1U_EEDaS1P_S1Q_EUlS1P_E_NS1_11comp_targetILNS1_3genE5ELNS1_11target_archE942ELNS1_3gpuE9ELNS1_3repE0EEENS1_30default_config_static_selectorELNS0_4arch9wavefront6targetE0EEEvS12_,comdat
.Lfunc_end1572:
	.size	_ZN7rocprim17ROCPRIM_400000_NS6detail17trampoline_kernelINS0_13select_configILj256ELj13ELNS0_17block_load_methodE3ELS4_3ELS4_3ELNS0_20block_scan_algorithmE0ELj4294967295EEENS1_25partition_config_selectorILNS1_17partition_subalgoE4EjNS0_10empty_typeEbEEZZNS1_14partition_implILS8_4ELb0ES6_15HIP_vector_typeIjLj2EENS0_17counting_iteratorIjlEEPS9_SG_NS0_5tupleIJPjSI_NS0_16reverse_iteratorISI_EEEEENSH_IJSG_SG_SG_EEES9_SI_JZNS1_25segmented_radix_sort_implINS0_14default_configELb0EPKbPbPKlPlN2at6native12_GLOBAL__N_18offset_tEEE10hipError_tPvRmT1_PNSt15iterator_traitsIS12_E10value_typeET2_T3_PNS13_IS18_E10value_typeET4_jRbjT5_S1E_jjP12ihipStream_tbEUljE_ZNSN_ISO_Lb0ESQ_SR_ST_SU_SY_EESZ_S10_S11_S12_S16_S17_S18_S1B_S1C_jS1D_jS1E_S1E_jjS1G_bEUljE0_EEESZ_S10_S11_S18_S1C_S1E_T6_T7_T9_mT8_S1G_bDpT10_ENKUlT_T0_E_clISt17integral_constantIbLb0EES1U_EEDaS1P_S1Q_EUlS1P_E_NS1_11comp_targetILNS1_3genE5ELNS1_11target_archE942ELNS1_3gpuE9ELNS1_3repE0EEENS1_30default_config_static_selectorELNS0_4arch9wavefront6targetE0EEEvS12_, .Lfunc_end1572-_ZN7rocprim17ROCPRIM_400000_NS6detail17trampoline_kernelINS0_13select_configILj256ELj13ELNS0_17block_load_methodE3ELS4_3ELS4_3ELNS0_20block_scan_algorithmE0ELj4294967295EEENS1_25partition_config_selectorILNS1_17partition_subalgoE4EjNS0_10empty_typeEbEEZZNS1_14partition_implILS8_4ELb0ES6_15HIP_vector_typeIjLj2EENS0_17counting_iteratorIjlEEPS9_SG_NS0_5tupleIJPjSI_NS0_16reverse_iteratorISI_EEEEENSH_IJSG_SG_SG_EEES9_SI_JZNS1_25segmented_radix_sort_implINS0_14default_configELb0EPKbPbPKlPlN2at6native12_GLOBAL__N_18offset_tEEE10hipError_tPvRmT1_PNSt15iterator_traitsIS12_E10value_typeET2_T3_PNS13_IS18_E10value_typeET4_jRbjT5_S1E_jjP12ihipStream_tbEUljE_ZNSN_ISO_Lb0ESQ_SR_ST_SU_SY_EESZ_S10_S11_S12_S16_S17_S18_S1B_S1C_jS1D_jS1E_S1E_jjS1G_bEUljE0_EEESZ_S10_S11_S18_S1C_S1E_T6_T7_T9_mT8_S1G_bDpT10_ENKUlT_T0_E_clISt17integral_constantIbLb0EES1U_EEDaS1P_S1Q_EUlS1P_E_NS1_11comp_targetILNS1_3genE5ELNS1_11target_archE942ELNS1_3gpuE9ELNS1_3repE0EEENS1_30default_config_static_selectorELNS0_4arch9wavefront6targetE0EEEvS12_
                                        ; -- End function
	.set _ZN7rocprim17ROCPRIM_400000_NS6detail17trampoline_kernelINS0_13select_configILj256ELj13ELNS0_17block_load_methodE3ELS4_3ELS4_3ELNS0_20block_scan_algorithmE0ELj4294967295EEENS1_25partition_config_selectorILNS1_17partition_subalgoE4EjNS0_10empty_typeEbEEZZNS1_14partition_implILS8_4ELb0ES6_15HIP_vector_typeIjLj2EENS0_17counting_iteratorIjlEEPS9_SG_NS0_5tupleIJPjSI_NS0_16reverse_iteratorISI_EEEEENSH_IJSG_SG_SG_EEES9_SI_JZNS1_25segmented_radix_sort_implINS0_14default_configELb0EPKbPbPKlPlN2at6native12_GLOBAL__N_18offset_tEEE10hipError_tPvRmT1_PNSt15iterator_traitsIS12_E10value_typeET2_T3_PNS13_IS18_E10value_typeET4_jRbjT5_S1E_jjP12ihipStream_tbEUljE_ZNSN_ISO_Lb0ESQ_SR_ST_SU_SY_EESZ_S10_S11_S12_S16_S17_S18_S1B_S1C_jS1D_jS1E_S1E_jjS1G_bEUljE0_EEESZ_S10_S11_S18_S1C_S1E_T6_T7_T9_mT8_S1G_bDpT10_ENKUlT_T0_E_clISt17integral_constantIbLb0EES1U_EEDaS1P_S1Q_EUlS1P_E_NS1_11comp_targetILNS1_3genE5ELNS1_11target_archE942ELNS1_3gpuE9ELNS1_3repE0EEENS1_30default_config_static_selectorELNS0_4arch9wavefront6targetE0EEEvS12_.num_vgpr, 0
	.set _ZN7rocprim17ROCPRIM_400000_NS6detail17trampoline_kernelINS0_13select_configILj256ELj13ELNS0_17block_load_methodE3ELS4_3ELS4_3ELNS0_20block_scan_algorithmE0ELj4294967295EEENS1_25partition_config_selectorILNS1_17partition_subalgoE4EjNS0_10empty_typeEbEEZZNS1_14partition_implILS8_4ELb0ES6_15HIP_vector_typeIjLj2EENS0_17counting_iteratorIjlEEPS9_SG_NS0_5tupleIJPjSI_NS0_16reverse_iteratorISI_EEEEENSH_IJSG_SG_SG_EEES9_SI_JZNS1_25segmented_radix_sort_implINS0_14default_configELb0EPKbPbPKlPlN2at6native12_GLOBAL__N_18offset_tEEE10hipError_tPvRmT1_PNSt15iterator_traitsIS12_E10value_typeET2_T3_PNS13_IS18_E10value_typeET4_jRbjT5_S1E_jjP12ihipStream_tbEUljE_ZNSN_ISO_Lb0ESQ_SR_ST_SU_SY_EESZ_S10_S11_S12_S16_S17_S18_S1B_S1C_jS1D_jS1E_S1E_jjS1G_bEUljE0_EEESZ_S10_S11_S18_S1C_S1E_T6_T7_T9_mT8_S1G_bDpT10_ENKUlT_T0_E_clISt17integral_constantIbLb0EES1U_EEDaS1P_S1Q_EUlS1P_E_NS1_11comp_targetILNS1_3genE5ELNS1_11target_archE942ELNS1_3gpuE9ELNS1_3repE0EEENS1_30default_config_static_selectorELNS0_4arch9wavefront6targetE0EEEvS12_.num_agpr, 0
	.set _ZN7rocprim17ROCPRIM_400000_NS6detail17trampoline_kernelINS0_13select_configILj256ELj13ELNS0_17block_load_methodE3ELS4_3ELS4_3ELNS0_20block_scan_algorithmE0ELj4294967295EEENS1_25partition_config_selectorILNS1_17partition_subalgoE4EjNS0_10empty_typeEbEEZZNS1_14partition_implILS8_4ELb0ES6_15HIP_vector_typeIjLj2EENS0_17counting_iteratorIjlEEPS9_SG_NS0_5tupleIJPjSI_NS0_16reverse_iteratorISI_EEEEENSH_IJSG_SG_SG_EEES9_SI_JZNS1_25segmented_radix_sort_implINS0_14default_configELb0EPKbPbPKlPlN2at6native12_GLOBAL__N_18offset_tEEE10hipError_tPvRmT1_PNSt15iterator_traitsIS12_E10value_typeET2_T3_PNS13_IS18_E10value_typeET4_jRbjT5_S1E_jjP12ihipStream_tbEUljE_ZNSN_ISO_Lb0ESQ_SR_ST_SU_SY_EESZ_S10_S11_S12_S16_S17_S18_S1B_S1C_jS1D_jS1E_S1E_jjS1G_bEUljE0_EEESZ_S10_S11_S18_S1C_S1E_T6_T7_T9_mT8_S1G_bDpT10_ENKUlT_T0_E_clISt17integral_constantIbLb0EES1U_EEDaS1P_S1Q_EUlS1P_E_NS1_11comp_targetILNS1_3genE5ELNS1_11target_archE942ELNS1_3gpuE9ELNS1_3repE0EEENS1_30default_config_static_selectorELNS0_4arch9wavefront6targetE0EEEvS12_.numbered_sgpr, 0
	.set _ZN7rocprim17ROCPRIM_400000_NS6detail17trampoline_kernelINS0_13select_configILj256ELj13ELNS0_17block_load_methodE3ELS4_3ELS4_3ELNS0_20block_scan_algorithmE0ELj4294967295EEENS1_25partition_config_selectorILNS1_17partition_subalgoE4EjNS0_10empty_typeEbEEZZNS1_14partition_implILS8_4ELb0ES6_15HIP_vector_typeIjLj2EENS0_17counting_iteratorIjlEEPS9_SG_NS0_5tupleIJPjSI_NS0_16reverse_iteratorISI_EEEEENSH_IJSG_SG_SG_EEES9_SI_JZNS1_25segmented_radix_sort_implINS0_14default_configELb0EPKbPbPKlPlN2at6native12_GLOBAL__N_18offset_tEEE10hipError_tPvRmT1_PNSt15iterator_traitsIS12_E10value_typeET2_T3_PNS13_IS18_E10value_typeET4_jRbjT5_S1E_jjP12ihipStream_tbEUljE_ZNSN_ISO_Lb0ESQ_SR_ST_SU_SY_EESZ_S10_S11_S12_S16_S17_S18_S1B_S1C_jS1D_jS1E_S1E_jjS1G_bEUljE0_EEESZ_S10_S11_S18_S1C_S1E_T6_T7_T9_mT8_S1G_bDpT10_ENKUlT_T0_E_clISt17integral_constantIbLb0EES1U_EEDaS1P_S1Q_EUlS1P_E_NS1_11comp_targetILNS1_3genE5ELNS1_11target_archE942ELNS1_3gpuE9ELNS1_3repE0EEENS1_30default_config_static_selectorELNS0_4arch9wavefront6targetE0EEEvS12_.num_named_barrier, 0
	.set _ZN7rocprim17ROCPRIM_400000_NS6detail17trampoline_kernelINS0_13select_configILj256ELj13ELNS0_17block_load_methodE3ELS4_3ELS4_3ELNS0_20block_scan_algorithmE0ELj4294967295EEENS1_25partition_config_selectorILNS1_17partition_subalgoE4EjNS0_10empty_typeEbEEZZNS1_14partition_implILS8_4ELb0ES6_15HIP_vector_typeIjLj2EENS0_17counting_iteratorIjlEEPS9_SG_NS0_5tupleIJPjSI_NS0_16reverse_iteratorISI_EEEEENSH_IJSG_SG_SG_EEES9_SI_JZNS1_25segmented_radix_sort_implINS0_14default_configELb0EPKbPbPKlPlN2at6native12_GLOBAL__N_18offset_tEEE10hipError_tPvRmT1_PNSt15iterator_traitsIS12_E10value_typeET2_T3_PNS13_IS18_E10value_typeET4_jRbjT5_S1E_jjP12ihipStream_tbEUljE_ZNSN_ISO_Lb0ESQ_SR_ST_SU_SY_EESZ_S10_S11_S12_S16_S17_S18_S1B_S1C_jS1D_jS1E_S1E_jjS1G_bEUljE0_EEESZ_S10_S11_S18_S1C_S1E_T6_T7_T9_mT8_S1G_bDpT10_ENKUlT_T0_E_clISt17integral_constantIbLb0EES1U_EEDaS1P_S1Q_EUlS1P_E_NS1_11comp_targetILNS1_3genE5ELNS1_11target_archE942ELNS1_3gpuE9ELNS1_3repE0EEENS1_30default_config_static_selectorELNS0_4arch9wavefront6targetE0EEEvS12_.private_seg_size, 0
	.set _ZN7rocprim17ROCPRIM_400000_NS6detail17trampoline_kernelINS0_13select_configILj256ELj13ELNS0_17block_load_methodE3ELS4_3ELS4_3ELNS0_20block_scan_algorithmE0ELj4294967295EEENS1_25partition_config_selectorILNS1_17partition_subalgoE4EjNS0_10empty_typeEbEEZZNS1_14partition_implILS8_4ELb0ES6_15HIP_vector_typeIjLj2EENS0_17counting_iteratorIjlEEPS9_SG_NS0_5tupleIJPjSI_NS0_16reverse_iteratorISI_EEEEENSH_IJSG_SG_SG_EEES9_SI_JZNS1_25segmented_radix_sort_implINS0_14default_configELb0EPKbPbPKlPlN2at6native12_GLOBAL__N_18offset_tEEE10hipError_tPvRmT1_PNSt15iterator_traitsIS12_E10value_typeET2_T3_PNS13_IS18_E10value_typeET4_jRbjT5_S1E_jjP12ihipStream_tbEUljE_ZNSN_ISO_Lb0ESQ_SR_ST_SU_SY_EESZ_S10_S11_S12_S16_S17_S18_S1B_S1C_jS1D_jS1E_S1E_jjS1G_bEUljE0_EEESZ_S10_S11_S18_S1C_S1E_T6_T7_T9_mT8_S1G_bDpT10_ENKUlT_T0_E_clISt17integral_constantIbLb0EES1U_EEDaS1P_S1Q_EUlS1P_E_NS1_11comp_targetILNS1_3genE5ELNS1_11target_archE942ELNS1_3gpuE9ELNS1_3repE0EEENS1_30default_config_static_selectorELNS0_4arch9wavefront6targetE0EEEvS12_.uses_vcc, 0
	.set _ZN7rocprim17ROCPRIM_400000_NS6detail17trampoline_kernelINS0_13select_configILj256ELj13ELNS0_17block_load_methodE3ELS4_3ELS4_3ELNS0_20block_scan_algorithmE0ELj4294967295EEENS1_25partition_config_selectorILNS1_17partition_subalgoE4EjNS0_10empty_typeEbEEZZNS1_14partition_implILS8_4ELb0ES6_15HIP_vector_typeIjLj2EENS0_17counting_iteratorIjlEEPS9_SG_NS0_5tupleIJPjSI_NS0_16reverse_iteratorISI_EEEEENSH_IJSG_SG_SG_EEES9_SI_JZNS1_25segmented_radix_sort_implINS0_14default_configELb0EPKbPbPKlPlN2at6native12_GLOBAL__N_18offset_tEEE10hipError_tPvRmT1_PNSt15iterator_traitsIS12_E10value_typeET2_T3_PNS13_IS18_E10value_typeET4_jRbjT5_S1E_jjP12ihipStream_tbEUljE_ZNSN_ISO_Lb0ESQ_SR_ST_SU_SY_EESZ_S10_S11_S12_S16_S17_S18_S1B_S1C_jS1D_jS1E_S1E_jjS1G_bEUljE0_EEESZ_S10_S11_S18_S1C_S1E_T6_T7_T9_mT8_S1G_bDpT10_ENKUlT_T0_E_clISt17integral_constantIbLb0EES1U_EEDaS1P_S1Q_EUlS1P_E_NS1_11comp_targetILNS1_3genE5ELNS1_11target_archE942ELNS1_3gpuE9ELNS1_3repE0EEENS1_30default_config_static_selectorELNS0_4arch9wavefront6targetE0EEEvS12_.uses_flat_scratch, 0
	.set _ZN7rocprim17ROCPRIM_400000_NS6detail17trampoline_kernelINS0_13select_configILj256ELj13ELNS0_17block_load_methodE3ELS4_3ELS4_3ELNS0_20block_scan_algorithmE0ELj4294967295EEENS1_25partition_config_selectorILNS1_17partition_subalgoE4EjNS0_10empty_typeEbEEZZNS1_14partition_implILS8_4ELb0ES6_15HIP_vector_typeIjLj2EENS0_17counting_iteratorIjlEEPS9_SG_NS0_5tupleIJPjSI_NS0_16reverse_iteratorISI_EEEEENSH_IJSG_SG_SG_EEES9_SI_JZNS1_25segmented_radix_sort_implINS0_14default_configELb0EPKbPbPKlPlN2at6native12_GLOBAL__N_18offset_tEEE10hipError_tPvRmT1_PNSt15iterator_traitsIS12_E10value_typeET2_T3_PNS13_IS18_E10value_typeET4_jRbjT5_S1E_jjP12ihipStream_tbEUljE_ZNSN_ISO_Lb0ESQ_SR_ST_SU_SY_EESZ_S10_S11_S12_S16_S17_S18_S1B_S1C_jS1D_jS1E_S1E_jjS1G_bEUljE0_EEESZ_S10_S11_S18_S1C_S1E_T6_T7_T9_mT8_S1G_bDpT10_ENKUlT_T0_E_clISt17integral_constantIbLb0EES1U_EEDaS1P_S1Q_EUlS1P_E_NS1_11comp_targetILNS1_3genE5ELNS1_11target_archE942ELNS1_3gpuE9ELNS1_3repE0EEENS1_30default_config_static_selectorELNS0_4arch9wavefront6targetE0EEEvS12_.has_dyn_sized_stack, 0
	.set _ZN7rocprim17ROCPRIM_400000_NS6detail17trampoline_kernelINS0_13select_configILj256ELj13ELNS0_17block_load_methodE3ELS4_3ELS4_3ELNS0_20block_scan_algorithmE0ELj4294967295EEENS1_25partition_config_selectorILNS1_17partition_subalgoE4EjNS0_10empty_typeEbEEZZNS1_14partition_implILS8_4ELb0ES6_15HIP_vector_typeIjLj2EENS0_17counting_iteratorIjlEEPS9_SG_NS0_5tupleIJPjSI_NS0_16reverse_iteratorISI_EEEEENSH_IJSG_SG_SG_EEES9_SI_JZNS1_25segmented_radix_sort_implINS0_14default_configELb0EPKbPbPKlPlN2at6native12_GLOBAL__N_18offset_tEEE10hipError_tPvRmT1_PNSt15iterator_traitsIS12_E10value_typeET2_T3_PNS13_IS18_E10value_typeET4_jRbjT5_S1E_jjP12ihipStream_tbEUljE_ZNSN_ISO_Lb0ESQ_SR_ST_SU_SY_EESZ_S10_S11_S12_S16_S17_S18_S1B_S1C_jS1D_jS1E_S1E_jjS1G_bEUljE0_EEESZ_S10_S11_S18_S1C_S1E_T6_T7_T9_mT8_S1G_bDpT10_ENKUlT_T0_E_clISt17integral_constantIbLb0EES1U_EEDaS1P_S1Q_EUlS1P_E_NS1_11comp_targetILNS1_3genE5ELNS1_11target_archE942ELNS1_3gpuE9ELNS1_3repE0EEENS1_30default_config_static_selectorELNS0_4arch9wavefront6targetE0EEEvS12_.has_recursion, 0
	.set _ZN7rocprim17ROCPRIM_400000_NS6detail17trampoline_kernelINS0_13select_configILj256ELj13ELNS0_17block_load_methodE3ELS4_3ELS4_3ELNS0_20block_scan_algorithmE0ELj4294967295EEENS1_25partition_config_selectorILNS1_17partition_subalgoE4EjNS0_10empty_typeEbEEZZNS1_14partition_implILS8_4ELb0ES6_15HIP_vector_typeIjLj2EENS0_17counting_iteratorIjlEEPS9_SG_NS0_5tupleIJPjSI_NS0_16reverse_iteratorISI_EEEEENSH_IJSG_SG_SG_EEES9_SI_JZNS1_25segmented_radix_sort_implINS0_14default_configELb0EPKbPbPKlPlN2at6native12_GLOBAL__N_18offset_tEEE10hipError_tPvRmT1_PNSt15iterator_traitsIS12_E10value_typeET2_T3_PNS13_IS18_E10value_typeET4_jRbjT5_S1E_jjP12ihipStream_tbEUljE_ZNSN_ISO_Lb0ESQ_SR_ST_SU_SY_EESZ_S10_S11_S12_S16_S17_S18_S1B_S1C_jS1D_jS1E_S1E_jjS1G_bEUljE0_EEESZ_S10_S11_S18_S1C_S1E_T6_T7_T9_mT8_S1G_bDpT10_ENKUlT_T0_E_clISt17integral_constantIbLb0EES1U_EEDaS1P_S1Q_EUlS1P_E_NS1_11comp_targetILNS1_3genE5ELNS1_11target_archE942ELNS1_3gpuE9ELNS1_3repE0EEENS1_30default_config_static_selectorELNS0_4arch9wavefront6targetE0EEEvS12_.has_indirect_call, 0
	.section	.AMDGPU.csdata,"",@progbits
; Kernel info:
; codeLenInByte = 0
; TotalNumSgprs: 0
; NumVgprs: 0
; ScratchSize: 0
; MemoryBound: 0
; FloatMode: 240
; IeeeMode: 1
; LDSByteSize: 0 bytes/workgroup (compile time only)
; SGPRBlocks: 0
; VGPRBlocks: 0
; NumSGPRsForWavesPerEU: 1
; NumVGPRsForWavesPerEU: 1
; Occupancy: 16
; WaveLimiterHint : 0
; COMPUTE_PGM_RSRC2:SCRATCH_EN: 0
; COMPUTE_PGM_RSRC2:USER_SGPR: 2
; COMPUTE_PGM_RSRC2:TRAP_HANDLER: 0
; COMPUTE_PGM_RSRC2:TGID_X_EN: 1
; COMPUTE_PGM_RSRC2:TGID_Y_EN: 0
; COMPUTE_PGM_RSRC2:TGID_Z_EN: 0
; COMPUTE_PGM_RSRC2:TIDIG_COMP_CNT: 0
	.section	.text._ZN7rocprim17ROCPRIM_400000_NS6detail17trampoline_kernelINS0_13select_configILj256ELj13ELNS0_17block_load_methodE3ELS4_3ELS4_3ELNS0_20block_scan_algorithmE0ELj4294967295EEENS1_25partition_config_selectorILNS1_17partition_subalgoE4EjNS0_10empty_typeEbEEZZNS1_14partition_implILS8_4ELb0ES6_15HIP_vector_typeIjLj2EENS0_17counting_iteratorIjlEEPS9_SG_NS0_5tupleIJPjSI_NS0_16reverse_iteratorISI_EEEEENSH_IJSG_SG_SG_EEES9_SI_JZNS1_25segmented_radix_sort_implINS0_14default_configELb0EPKbPbPKlPlN2at6native12_GLOBAL__N_18offset_tEEE10hipError_tPvRmT1_PNSt15iterator_traitsIS12_E10value_typeET2_T3_PNS13_IS18_E10value_typeET4_jRbjT5_S1E_jjP12ihipStream_tbEUljE_ZNSN_ISO_Lb0ESQ_SR_ST_SU_SY_EESZ_S10_S11_S12_S16_S17_S18_S1B_S1C_jS1D_jS1E_S1E_jjS1G_bEUljE0_EEESZ_S10_S11_S18_S1C_S1E_T6_T7_T9_mT8_S1G_bDpT10_ENKUlT_T0_E_clISt17integral_constantIbLb0EES1U_EEDaS1P_S1Q_EUlS1P_E_NS1_11comp_targetILNS1_3genE4ELNS1_11target_archE910ELNS1_3gpuE8ELNS1_3repE0EEENS1_30default_config_static_selectorELNS0_4arch9wavefront6targetE0EEEvS12_,"axG",@progbits,_ZN7rocprim17ROCPRIM_400000_NS6detail17trampoline_kernelINS0_13select_configILj256ELj13ELNS0_17block_load_methodE3ELS4_3ELS4_3ELNS0_20block_scan_algorithmE0ELj4294967295EEENS1_25partition_config_selectorILNS1_17partition_subalgoE4EjNS0_10empty_typeEbEEZZNS1_14partition_implILS8_4ELb0ES6_15HIP_vector_typeIjLj2EENS0_17counting_iteratorIjlEEPS9_SG_NS0_5tupleIJPjSI_NS0_16reverse_iteratorISI_EEEEENSH_IJSG_SG_SG_EEES9_SI_JZNS1_25segmented_radix_sort_implINS0_14default_configELb0EPKbPbPKlPlN2at6native12_GLOBAL__N_18offset_tEEE10hipError_tPvRmT1_PNSt15iterator_traitsIS12_E10value_typeET2_T3_PNS13_IS18_E10value_typeET4_jRbjT5_S1E_jjP12ihipStream_tbEUljE_ZNSN_ISO_Lb0ESQ_SR_ST_SU_SY_EESZ_S10_S11_S12_S16_S17_S18_S1B_S1C_jS1D_jS1E_S1E_jjS1G_bEUljE0_EEESZ_S10_S11_S18_S1C_S1E_T6_T7_T9_mT8_S1G_bDpT10_ENKUlT_T0_E_clISt17integral_constantIbLb0EES1U_EEDaS1P_S1Q_EUlS1P_E_NS1_11comp_targetILNS1_3genE4ELNS1_11target_archE910ELNS1_3gpuE8ELNS1_3repE0EEENS1_30default_config_static_selectorELNS0_4arch9wavefront6targetE0EEEvS12_,comdat
	.globl	_ZN7rocprim17ROCPRIM_400000_NS6detail17trampoline_kernelINS0_13select_configILj256ELj13ELNS0_17block_load_methodE3ELS4_3ELS4_3ELNS0_20block_scan_algorithmE0ELj4294967295EEENS1_25partition_config_selectorILNS1_17partition_subalgoE4EjNS0_10empty_typeEbEEZZNS1_14partition_implILS8_4ELb0ES6_15HIP_vector_typeIjLj2EENS0_17counting_iteratorIjlEEPS9_SG_NS0_5tupleIJPjSI_NS0_16reverse_iteratorISI_EEEEENSH_IJSG_SG_SG_EEES9_SI_JZNS1_25segmented_radix_sort_implINS0_14default_configELb0EPKbPbPKlPlN2at6native12_GLOBAL__N_18offset_tEEE10hipError_tPvRmT1_PNSt15iterator_traitsIS12_E10value_typeET2_T3_PNS13_IS18_E10value_typeET4_jRbjT5_S1E_jjP12ihipStream_tbEUljE_ZNSN_ISO_Lb0ESQ_SR_ST_SU_SY_EESZ_S10_S11_S12_S16_S17_S18_S1B_S1C_jS1D_jS1E_S1E_jjS1G_bEUljE0_EEESZ_S10_S11_S18_S1C_S1E_T6_T7_T9_mT8_S1G_bDpT10_ENKUlT_T0_E_clISt17integral_constantIbLb0EES1U_EEDaS1P_S1Q_EUlS1P_E_NS1_11comp_targetILNS1_3genE4ELNS1_11target_archE910ELNS1_3gpuE8ELNS1_3repE0EEENS1_30default_config_static_selectorELNS0_4arch9wavefront6targetE0EEEvS12_ ; -- Begin function _ZN7rocprim17ROCPRIM_400000_NS6detail17trampoline_kernelINS0_13select_configILj256ELj13ELNS0_17block_load_methodE3ELS4_3ELS4_3ELNS0_20block_scan_algorithmE0ELj4294967295EEENS1_25partition_config_selectorILNS1_17partition_subalgoE4EjNS0_10empty_typeEbEEZZNS1_14partition_implILS8_4ELb0ES6_15HIP_vector_typeIjLj2EENS0_17counting_iteratorIjlEEPS9_SG_NS0_5tupleIJPjSI_NS0_16reverse_iteratorISI_EEEEENSH_IJSG_SG_SG_EEES9_SI_JZNS1_25segmented_radix_sort_implINS0_14default_configELb0EPKbPbPKlPlN2at6native12_GLOBAL__N_18offset_tEEE10hipError_tPvRmT1_PNSt15iterator_traitsIS12_E10value_typeET2_T3_PNS13_IS18_E10value_typeET4_jRbjT5_S1E_jjP12ihipStream_tbEUljE_ZNSN_ISO_Lb0ESQ_SR_ST_SU_SY_EESZ_S10_S11_S12_S16_S17_S18_S1B_S1C_jS1D_jS1E_S1E_jjS1G_bEUljE0_EEESZ_S10_S11_S18_S1C_S1E_T6_T7_T9_mT8_S1G_bDpT10_ENKUlT_T0_E_clISt17integral_constantIbLb0EES1U_EEDaS1P_S1Q_EUlS1P_E_NS1_11comp_targetILNS1_3genE4ELNS1_11target_archE910ELNS1_3gpuE8ELNS1_3repE0EEENS1_30default_config_static_selectorELNS0_4arch9wavefront6targetE0EEEvS12_
	.p2align	8
	.type	_ZN7rocprim17ROCPRIM_400000_NS6detail17trampoline_kernelINS0_13select_configILj256ELj13ELNS0_17block_load_methodE3ELS4_3ELS4_3ELNS0_20block_scan_algorithmE0ELj4294967295EEENS1_25partition_config_selectorILNS1_17partition_subalgoE4EjNS0_10empty_typeEbEEZZNS1_14partition_implILS8_4ELb0ES6_15HIP_vector_typeIjLj2EENS0_17counting_iteratorIjlEEPS9_SG_NS0_5tupleIJPjSI_NS0_16reverse_iteratorISI_EEEEENSH_IJSG_SG_SG_EEES9_SI_JZNS1_25segmented_radix_sort_implINS0_14default_configELb0EPKbPbPKlPlN2at6native12_GLOBAL__N_18offset_tEEE10hipError_tPvRmT1_PNSt15iterator_traitsIS12_E10value_typeET2_T3_PNS13_IS18_E10value_typeET4_jRbjT5_S1E_jjP12ihipStream_tbEUljE_ZNSN_ISO_Lb0ESQ_SR_ST_SU_SY_EESZ_S10_S11_S12_S16_S17_S18_S1B_S1C_jS1D_jS1E_S1E_jjS1G_bEUljE0_EEESZ_S10_S11_S18_S1C_S1E_T6_T7_T9_mT8_S1G_bDpT10_ENKUlT_T0_E_clISt17integral_constantIbLb0EES1U_EEDaS1P_S1Q_EUlS1P_E_NS1_11comp_targetILNS1_3genE4ELNS1_11target_archE910ELNS1_3gpuE8ELNS1_3repE0EEENS1_30default_config_static_selectorELNS0_4arch9wavefront6targetE0EEEvS12_,@function
_ZN7rocprim17ROCPRIM_400000_NS6detail17trampoline_kernelINS0_13select_configILj256ELj13ELNS0_17block_load_methodE3ELS4_3ELS4_3ELNS0_20block_scan_algorithmE0ELj4294967295EEENS1_25partition_config_selectorILNS1_17partition_subalgoE4EjNS0_10empty_typeEbEEZZNS1_14partition_implILS8_4ELb0ES6_15HIP_vector_typeIjLj2EENS0_17counting_iteratorIjlEEPS9_SG_NS0_5tupleIJPjSI_NS0_16reverse_iteratorISI_EEEEENSH_IJSG_SG_SG_EEES9_SI_JZNS1_25segmented_radix_sort_implINS0_14default_configELb0EPKbPbPKlPlN2at6native12_GLOBAL__N_18offset_tEEE10hipError_tPvRmT1_PNSt15iterator_traitsIS12_E10value_typeET2_T3_PNS13_IS18_E10value_typeET4_jRbjT5_S1E_jjP12ihipStream_tbEUljE_ZNSN_ISO_Lb0ESQ_SR_ST_SU_SY_EESZ_S10_S11_S12_S16_S17_S18_S1B_S1C_jS1D_jS1E_S1E_jjS1G_bEUljE0_EEESZ_S10_S11_S18_S1C_S1E_T6_T7_T9_mT8_S1G_bDpT10_ENKUlT_T0_E_clISt17integral_constantIbLb0EES1U_EEDaS1P_S1Q_EUlS1P_E_NS1_11comp_targetILNS1_3genE4ELNS1_11target_archE910ELNS1_3gpuE8ELNS1_3repE0EEENS1_30default_config_static_selectorELNS0_4arch9wavefront6targetE0EEEvS12_: ; @_ZN7rocprim17ROCPRIM_400000_NS6detail17trampoline_kernelINS0_13select_configILj256ELj13ELNS0_17block_load_methodE3ELS4_3ELS4_3ELNS0_20block_scan_algorithmE0ELj4294967295EEENS1_25partition_config_selectorILNS1_17partition_subalgoE4EjNS0_10empty_typeEbEEZZNS1_14partition_implILS8_4ELb0ES6_15HIP_vector_typeIjLj2EENS0_17counting_iteratorIjlEEPS9_SG_NS0_5tupleIJPjSI_NS0_16reverse_iteratorISI_EEEEENSH_IJSG_SG_SG_EEES9_SI_JZNS1_25segmented_radix_sort_implINS0_14default_configELb0EPKbPbPKlPlN2at6native12_GLOBAL__N_18offset_tEEE10hipError_tPvRmT1_PNSt15iterator_traitsIS12_E10value_typeET2_T3_PNS13_IS18_E10value_typeET4_jRbjT5_S1E_jjP12ihipStream_tbEUljE_ZNSN_ISO_Lb0ESQ_SR_ST_SU_SY_EESZ_S10_S11_S12_S16_S17_S18_S1B_S1C_jS1D_jS1E_S1E_jjS1G_bEUljE0_EEESZ_S10_S11_S18_S1C_S1E_T6_T7_T9_mT8_S1G_bDpT10_ENKUlT_T0_E_clISt17integral_constantIbLb0EES1U_EEDaS1P_S1Q_EUlS1P_E_NS1_11comp_targetILNS1_3genE4ELNS1_11target_archE910ELNS1_3gpuE8ELNS1_3repE0EEENS1_30default_config_static_selectorELNS0_4arch9wavefront6targetE0EEEvS12_
; %bb.0:
	.section	.rodata,"a",@progbits
	.p2align	6, 0x0
	.amdhsa_kernel _ZN7rocprim17ROCPRIM_400000_NS6detail17trampoline_kernelINS0_13select_configILj256ELj13ELNS0_17block_load_methodE3ELS4_3ELS4_3ELNS0_20block_scan_algorithmE0ELj4294967295EEENS1_25partition_config_selectorILNS1_17partition_subalgoE4EjNS0_10empty_typeEbEEZZNS1_14partition_implILS8_4ELb0ES6_15HIP_vector_typeIjLj2EENS0_17counting_iteratorIjlEEPS9_SG_NS0_5tupleIJPjSI_NS0_16reverse_iteratorISI_EEEEENSH_IJSG_SG_SG_EEES9_SI_JZNS1_25segmented_radix_sort_implINS0_14default_configELb0EPKbPbPKlPlN2at6native12_GLOBAL__N_18offset_tEEE10hipError_tPvRmT1_PNSt15iterator_traitsIS12_E10value_typeET2_T3_PNS13_IS18_E10value_typeET4_jRbjT5_S1E_jjP12ihipStream_tbEUljE_ZNSN_ISO_Lb0ESQ_SR_ST_SU_SY_EESZ_S10_S11_S12_S16_S17_S18_S1B_S1C_jS1D_jS1E_S1E_jjS1G_bEUljE0_EEESZ_S10_S11_S18_S1C_S1E_T6_T7_T9_mT8_S1G_bDpT10_ENKUlT_T0_E_clISt17integral_constantIbLb0EES1U_EEDaS1P_S1Q_EUlS1P_E_NS1_11comp_targetILNS1_3genE4ELNS1_11target_archE910ELNS1_3gpuE8ELNS1_3repE0EEENS1_30default_config_static_selectorELNS0_4arch9wavefront6targetE0EEEvS12_
		.amdhsa_group_segment_fixed_size 0
		.amdhsa_private_segment_fixed_size 0
		.amdhsa_kernarg_size 176
		.amdhsa_user_sgpr_count 2
		.amdhsa_user_sgpr_dispatch_ptr 0
		.amdhsa_user_sgpr_queue_ptr 0
		.amdhsa_user_sgpr_kernarg_segment_ptr 1
		.amdhsa_user_sgpr_dispatch_id 0
		.amdhsa_user_sgpr_private_segment_size 0
		.amdhsa_wavefront_size32 1
		.amdhsa_uses_dynamic_stack 0
		.amdhsa_enable_private_segment 0
		.amdhsa_system_sgpr_workgroup_id_x 1
		.amdhsa_system_sgpr_workgroup_id_y 0
		.amdhsa_system_sgpr_workgroup_id_z 0
		.amdhsa_system_sgpr_workgroup_info 0
		.amdhsa_system_vgpr_workitem_id 0
		.amdhsa_next_free_vgpr 1
		.amdhsa_next_free_sgpr 1
		.amdhsa_reserve_vcc 0
		.amdhsa_float_round_mode_32 0
		.amdhsa_float_round_mode_16_64 0
		.amdhsa_float_denorm_mode_32 3
		.amdhsa_float_denorm_mode_16_64 3
		.amdhsa_fp16_overflow 0
		.amdhsa_workgroup_processor_mode 1
		.amdhsa_memory_ordered 1
		.amdhsa_forward_progress 1
		.amdhsa_inst_pref_size 0
		.amdhsa_round_robin_scheduling 0
		.amdhsa_exception_fp_ieee_invalid_op 0
		.amdhsa_exception_fp_denorm_src 0
		.amdhsa_exception_fp_ieee_div_zero 0
		.amdhsa_exception_fp_ieee_overflow 0
		.amdhsa_exception_fp_ieee_underflow 0
		.amdhsa_exception_fp_ieee_inexact 0
		.amdhsa_exception_int_div_zero 0
	.end_amdhsa_kernel
	.section	.text._ZN7rocprim17ROCPRIM_400000_NS6detail17trampoline_kernelINS0_13select_configILj256ELj13ELNS0_17block_load_methodE3ELS4_3ELS4_3ELNS0_20block_scan_algorithmE0ELj4294967295EEENS1_25partition_config_selectorILNS1_17partition_subalgoE4EjNS0_10empty_typeEbEEZZNS1_14partition_implILS8_4ELb0ES6_15HIP_vector_typeIjLj2EENS0_17counting_iteratorIjlEEPS9_SG_NS0_5tupleIJPjSI_NS0_16reverse_iteratorISI_EEEEENSH_IJSG_SG_SG_EEES9_SI_JZNS1_25segmented_radix_sort_implINS0_14default_configELb0EPKbPbPKlPlN2at6native12_GLOBAL__N_18offset_tEEE10hipError_tPvRmT1_PNSt15iterator_traitsIS12_E10value_typeET2_T3_PNS13_IS18_E10value_typeET4_jRbjT5_S1E_jjP12ihipStream_tbEUljE_ZNSN_ISO_Lb0ESQ_SR_ST_SU_SY_EESZ_S10_S11_S12_S16_S17_S18_S1B_S1C_jS1D_jS1E_S1E_jjS1G_bEUljE0_EEESZ_S10_S11_S18_S1C_S1E_T6_T7_T9_mT8_S1G_bDpT10_ENKUlT_T0_E_clISt17integral_constantIbLb0EES1U_EEDaS1P_S1Q_EUlS1P_E_NS1_11comp_targetILNS1_3genE4ELNS1_11target_archE910ELNS1_3gpuE8ELNS1_3repE0EEENS1_30default_config_static_selectorELNS0_4arch9wavefront6targetE0EEEvS12_,"axG",@progbits,_ZN7rocprim17ROCPRIM_400000_NS6detail17trampoline_kernelINS0_13select_configILj256ELj13ELNS0_17block_load_methodE3ELS4_3ELS4_3ELNS0_20block_scan_algorithmE0ELj4294967295EEENS1_25partition_config_selectorILNS1_17partition_subalgoE4EjNS0_10empty_typeEbEEZZNS1_14partition_implILS8_4ELb0ES6_15HIP_vector_typeIjLj2EENS0_17counting_iteratorIjlEEPS9_SG_NS0_5tupleIJPjSI_NS0_16reverse_iteratorISI_EEEEENSH_IJSG_SG_SG_EEES9_SI_JZNS1_25segmented_radix_sort_implINS0_14default_configELb0EPKbPbPKlPlN2at6native12_GLOBAL__N_18offset_tEEE10hipError_tPvRmT1_PNSt15iterator_traitsIS12_E10value_typeET2_T3_PNS13_IS18_E10value_typeET4_jRbjT5_S1E_jjP12ihipStream_tbEUljE_ZNSN_ISO_Lb0ESQ_SR_ST_SU_SY_EESZ_S10_S11_S12_S16_S17_S18_S1B_S1C_jS1D_jS1E_S1E_jjS1G_bEUljE0_EEESZ_S10_S11_S18_S1C_S1E_T6_T7_T9_mT8_S1G_bDpT10_ENKUlT_T0_E_clISt17integral_constantIbLb0EES1U_EEDaS1P_S1Q_EUlS1P_E_NS1_11comp_targetILNS1_3genE4ELNS1_11target_archE910ELNS1_3gpuE8ELNS1_3repE0EEENS1_30default_config_static_selectorELNS0_4arch9wavefront6targetE0EEEvS12_,comdat
.Lfunc_end1573:
	.size	_ZN7rocprim17ROCPRIM_400000_NS6detail17trampoline_kernelINS0_13select_configILj256ELj13ELNS0_17block_load_methodE3ELS4_3ELS4_3ELNS0_20block_scan_algorithmE0ELj4294967295EEENS1_25partition_config_selectorILNS1_17partition_subalgoE4EjNS0_10empty_typeEbEEZZNS1_14partition_implILS8_4ELb0ES6_15HIP_vector_typeIjLj2EENS0_17counting_iteratorIjlEEPS9_SG_NS0_5tupleIJPjSI_NS0_16reverse_iteratorISI_EEEEENSH_IJSG_SG_SG_EEES9_SI_JZNS1_25segmented_radix_sort_implINS0_14default_configELb0EPKbPbPKlPlN2at6native12_GLOBAL__N_18offset_tEEE10hipError_tPvRmT1_PNSt15iterator_traitsIS12_E10value_typeET2_T3_PNS13_IS18_E10value_typeET4_jRbjT5_S1E_jjP12ihipStream_tbEUljE_ZNSN_ISO_Lb0ESQ_SR_ST_SU_SY_EESZ_S10_S11_S12_S16_S17_S18_S1B_S1C_jS1D_jS1E_S1E_jjS1G_bEUljE0_EEESZ_S10_S11_S18_S1C_S1E_T6_T7_T9_mT8_S1G_bDpT10_ENKUlT_T0_E_clISt17integral_constantIbLb0EES1U_EEDaS1P_S1Q_EUlS1P_E_NS1_11comp_targetILNS1_3genE4ELNS1_11target_archE910ELNS1_3gpuE8ELNS1_3repE0EEENS1_30default_config_static_selectorELNS0_4arch9wavefront6targetE0EEEvS12_, .Lfunc_end1573-_ZN7rocprim17ROCPRIM_400000_NS6detail17trampoline_kernelINS0_13select_configILj256ELj13ELNS0_17block_load_methodE3ELS4_3ELS4_3ELNS0_20block_scan_algorithmE0ELj4294967295EEENS1_25partition_config_selectorILNS1_17partition_subalgoE4EjNS0_10empty_typeEbEEZZNS1_14partition_implILS8_4ELb0ES6_15HIP_vector_typeIjLj2EENS0_17counting_iteratorIjlEEPS9_SG_NS0_5tupleIJPjSI_NS0_16reverse_iteratorISI_EEEEENSH_IJSG_SG_SG_EEES9_SI_JZNS1_25segmented_radix_sort_implINS0_14default_configELb0EPKbPbPKlPlN2at6native12_GLOBAL__N_18offset_tEEE10hipError_tPvRmT1_PNSt15iterator_traitsIS12_E10value_typeET2_T3_PNS13_IS18_E10value_typeET4_jRbjT5_S1E_jjP12ihipStream_tbEUljE_ZNSN_ISO_Lb0ESQ_SR_ST_SU_SY_EESZ_S10_S11_S12_S16_S17_S18_S1B_S1C_jS1D_jS1E_S1E_jjS1G_bEUljE0_EEESZ_S10_S11_S18_S1C_S1E_T6_T7_T9_mT8_S1G_bDpT10_ENKUlT_T0_E_clISt17integral_constantIbLb0EES1U_EEDaS1P_S1Q_EUlS1P_E_NS1_11comp_targetILNS1_3genE4ELNS1_11target_archE910ELNS1_3gpuE8ELNS1_3repE0EEENS1_30default_config_static_selectorELNS0_4arch9wavefront6targetE0EEEvS12_
                                        ; -- End function
	.set _ZN7rocprim17ROCPRIM_400000_NS6detail17trampoline_kernelINS0_13select_configILj256ELj13ELNS0_17block_load_methodE3ELS4_3ELS4_3ELNS0_20block_scan_algorithmE0ELj4294967295EEENS1_25partition_config_selectorILNS1_17partition_subalgoE4EjNS0_10empty_typeEbEEZZNS1_14partition_implILS8_4ELb0ES6_15HIP_vector_typeIjLj2EENS0_17counting_iteratorIjlEEPS9_SG_NS0_5tupleIJPjSI_NS0_16reverse_iteratorISI_EEEEENSH_IJSG_SG_SG_EEES9_SI_JZNS1_25segmented_radix_sort_implINS0_14default_configELb0EPKbPbPKlPlN2at6native12_GLOBAL__N_18offset_tEEE10hipError_tPvRmT1_PNSt15iterator_traitsIS12_E10value_typeET2_T3_PNS13_IS18_E10value_typeET4_jRbjT5_S1E_jjP12ihipStream_tbEUljE_ZNSN_ISO_Lb0ESQ_SR_ST_SU_SY_EESZ_S10_S11_S12_S16_S17_S18_S1B_S1C_jS1D_jS1E_S1E_jjS1G_bEUljE0_EEESZ_S10_S11_S18_S1C_S1E_T6_T7_T9_mT8_S1G_bDpT10_ENKUlT_T0_E_clISt17integral_constantIbLb0EES1U_EEDaS1P_S1Q_EUlS1P_E_NS1_11comp_targetILNS1_3genE4ELNS1_11target_archE910ELNS1_3gpuE8ELNS1_3repE0EEENS1_30default_config_static_selectorELNS0_4arch9wavefront6targetE0EEEvS12_.num_vgpr, 0
	.set _ZN7rocprim17ROCPRIM_400000_NS6detail17trampoline_kernelINS0_13select_configILj256ELj13ELNS0_17block_load_methodE3ELS4_3ELS4_3ELNS0_20block_scan_algorithmE0ELj4294967295EEENS1_25partition_config_selectorILNS1_17partition_subalgoE4EjNS0_10empty_typeEbEEZZNS1_14partition_implILS8_4ELb0ES6_15HIP_vector_typeIjLj2EENS0_17counting_iteratorIjlEEPS9_SG_NS0_5tupleIJPjSI_NS0_16reverse_iteratorISI_EEEEENSH_IJSG_SG_SG_EEES9_SI_JZNS1_25segmented_radix_sort_implINS0_14default_configELb0EPKbPbPKlPlN2at6native12_GLOBAL__N_18offset_tEEE10hipError_tPvRmT1_PNSt15iterator_traitsIS12_E10value_typeET2_T3_PNS13_IS18_E10value_typeET4_jRbjT5_S1E_jjP12ihipStream_tbEUljE_ZNSN_ISO_Lb0ESQ_SR_ST_SU_SY_EESZ_S10_S11_S12_S16_S17_S18_S1B_S1C_jS1D_jS1E_S1E_jjS1G_bEUljE0_EEESZ_S10_S11_S18_S1C_S1E_T6_T7_T9_mT8_S1G_bDpT10_ENKUlT_T0_E_clISt17integral_constantIbLb0EES1U_EEDaS1P_S1Q_EUlS1P_E_NS1_11comp_targetILNS1_3genE4ELNS1_11target_archE910ELNS1_3gpuE8ELNS1_3repE0EEENS1_30default_config_static_selectorELNS0_4arch9wavefront6targetE0EEEvS12_.num_agpr, 0
	.set _ZN7rocprim17ROCPRIM_400000_NS6detail17trampoline_kernelINS0_13select_configILj256ELj13ELNS0_17block_load_methodE3ELS4_3ELS4_3ELNS0_20block_scan_algorithmE0ELj4294967295EEENS1_25partition_config_selectorILNS1_17partition_subalgoE4EjNS0_10empty_typeEbEEZZNS1_14partition_implILS8_4ELb0ES6_15HIP_vector_typeIjLj2EENS0_17counting_iteratorIjlEEPS9_SG_NS0_5tupleIJPjSI_NS0_16reverse_iteratorISI_EEEEENSH_IJSG_SG_SG_EEES9_SI_JZNS1_25segmented_radix_sort_implINS0_14default_configELb0EPKbPbPKlPlN2at6native12_GLOBAL__N_18offset_tEEE10hipError_tPvRmT1_PNSt15iterator_traitsIS12_E10value_typeET2_T3_PNS13_IS18_E10value_typeET4_jRbjT5_S1E_jjP12ihipStream_tbEUljE_ZNSN_ISO_Lb0ESQ_SR_ST_SU_SY_EESZ_S10_S11_S12_S16_S17_S18_S1B_S1C_jS1D_jS1E_S1E_jjS1G_bEUljE0_EEESZ_S10_S11_S18_S1C_S1E_T6_T7_T9_mT8_S1G_bDpT10_ENKUlT_T0_E_clISt17integral_constantIbLb0EES1U_EEDaS1P_S1Q_EUlS1P_E_NS1_11comp_targetILNS1_3genE4ELNS1_11target_archE910ELNS1_3gpuE8ELNS1_3repE0EEENS1_30default_config_static_selectorELNS0_4arch9wavefront6targetE0EEEvS12_.numbered_sgpr, 0
	.set _ZN7rocprim17ROCPRIM_400000_NS6detail17trampoline_kernelINS0_13select_configILj256ELj13ELNS0_17block_load_methodE3ELS4_3ELS4_3ELNS0_20block_scan_algorithmE0ELj4294967295EEENS1_25partition_config_selectorILNS1_17partition_subalgoE4EjNS0_10empty_typeEbEEZZNS1_14partition_implILS8_4ELb0ES6_15HIP_vector_typeIjLj2EENS0_17counting_iteratorIjlEEPS9_SG_NS0_5tupleIJPjSI_NS0_16reverse_iteratorISI_EEEEENSH_IJSG_SG_SG_EEES9_SI_JZNS1_25segmented_radix_sort_implINS0_14default_configELb0EPKbPbPKlPlN2at6native12_GLOBAL__N_18offset_tEEE10hipError_tPvRmT1_PNSt15iterator_traitsIS12_E10value_typeET2_T3_PNS13_IS18_E10value_typeET4_jRbjT5_S1E_jjP12ihipStream_tbEUljE_ZNSN_ISO_Lb0ESQ_SR_ST_SU_SY_EESZ_S10_S11_S12_S16_S17_S18_S1B_S1C_jS1D_jS1E_S1E_jjS1G_bEUljE0_EEESZ_S10_S11_S18_S1C_S1E_T6_T7_T9_mT8_S1G_bDpT10_ENKUlT_T0_E_clISt17integral_constantIbLb0EES1U_EEDaS1P_S1Q_EUlS1P_E_NS1_11comp_targetILNS1_3genE4ELNS1_11target_archE910ELNS1_3gpuE8ELNS1_3repE0EEENS1_30default_config_static_selectorELNS0_4arch9wavefront6targetE0EEEvS12_.num_named_barrier, 0
	.set _ZN7rocprim17ROCPRIM_400000_NS6detail17trampoline_kernelINS0_13select_configILj256ELj13ELNS0_17block_load_methodE3ELS4_3ELS4_3ELNS0_20block_scan_algorithmE0ELj4294967295EEENS1_25partition_config_selectorILNS1_17partition_subalgoE4EjNS0_10empty_typeEbEEZZNS1_14partition_implILS8_4ELb0ES6_15HIP_vector_typeIjLj2EENS0_17counting_iteratorIjlEEPS9_SG_NS0_5tupleIJPjSI_NS0_16reverse_iteratorISI_EEEEENSH_IJSG_SG_SG_EEES9_SI_JZNS1_25segmented_radix_sort_implINS0_14default_configELb0EPKbPbPKlPlN2at6native12_GLOBAL__N_18offset_tEEE10hipError_tPvRmT1_PNSt15iterator_traitsIS12_E10value_typeET2_T3_PNS13_IS18_E10value_typeET4_jRbjT5_S1E_jjP12ihipStream_tbEUljE_ZNSN_ISO_Lb0ESQ_SR_ST_SU_SY_EESZ_S10_S11_S12_S16_S17_S18_S1B_S1C_jS1D_jS1E_S1E_jjS1G_bEUljE0_EEESZ_S10_S11_S18_S1C_S1E_T6_T7_T9_mT8_S1G_bDpT10_ENKUlT_T0_E_clISt17integral_constantIbLb0EES1U_EEDaS1P_S1Q_EUlS1P_E_NS1_11comp_targetILNS1_3genE4ELNS1_11target_archE910ELNS1_3gpuE8ELNS1_3repE0EEENS1_30default_config_static_selectorELNS0_4arch9wavefront6targetE0EEEvS12_.private_seg_size, 0
	.set _ZN7rocprim17ROCPRIM_400000_NS6detail17trampoline_kernelINS0_13select_configILj256ELj13ELNS0_17block_load_methodE3ELS4_3ELS4_3ELNS0_20block_scan_algorithmE0ELj4294967295EEENS1_25partition_config_selectorILNS1_17partition_subalgoE4EjNS0_10empty_typeEbEEZZNS1_14partition_implILS8_4ELb0ES6_15HIP_vector_typeIjLj2EENS0_17counting_iteratorIjlEEPS9_SG_NS0_5tupleIJPjSI_NS0_16reverse_iteratorISI_EEEEENSH_IJSG_SG_SG_EEES9_SI_JZNS1_25segmented_radix_sort_implINS0_14default_configELb0EPKbPbPKlPlN2at6native12_GLOBAL__N_18offset_tEEE10hipError_tPvRmT1_PNSt15iterator_traitsIS12_E10value_typeET2_T3_PNS13_IS18_E10value_typeET4_jRbjT5_S1E_jjP12ihipStream_tbEUljE_ZNSN_ISO_Lb0ESQ_SR_ST_SU_SY_EESZ_S10_S11_S12_S16_S17_S18_S1B_S1C_jS1D_jS1E_S1E_jjS1G_bEUljE0_EEESZ_S10_S11_S18_S1C_S1E_T6_T7_T9_mT8_S1G_bDpT10_ENKUlT_T0_E_clISt17integral_constantIbLb0EES1U_EEDaS1P_S1Q_EUlS1P_E_NS1_11comp_targetILNS1_3genE4ELNS1_11target_archE910ELNS1_3gpuE8ELNS1_3repE0EEENS1_30default_config_static_selectorELNS0_4arch9wavefront6targetE0EEEvS12_.uses_vcc, 0
	.set _ZN7rocprim17ROCPRIM_400000_NS6detail17trampoline_kernelINS0_13select_configILj256ELj13ELNS0_17block_load_methodE3ELS4_3ELS4_3ELNS0_20block_scan_algorithmE0ELj4294967295EEENS1_25partition_config_selectorILNS1_17partition_subalgoE4EjNS0_10empty_typeEbEEZZNS1_14partition_implILS8_4ELb0ES6_15HIP_vector_typeIjLj2EENS0_17counting_iteratorIjlEEPS9_SG_NS0_5tupleIJPjSI_NS0_16reverse_iteratorISI_EEEEENSH_IJSG_SG_SG_EEES9_SI_JZNS1_25segmented_radix_sort_implINS0_14default_configELb0EPKbPbPKlPlN2at6native12_GLOBAL__N_18offset_tEEE10hipError_tPvRmT1_PNSt15iterator_traitsIS12_E10value_typeET2_T3_PNS13_IS18_E10value_typeET4_jRbjT5_S1E_jjP12ihipStream_tbEUljE_ZNSN_ISO_Lb0ESQ_SR_ST_SU_SY_EESZ_S10_S11_S12_S16_S17_S18_S1B_S1C_jS1D_jS1E_S1E_jjS1G_bEUljE0_EEESZ_S10_S11_S18_S1C_S1E_T6_T7_T9_mT8_S1G_bDpT10_ENKUlT_T0_E_clISt17integral_constantIbLb0EES1U_EEDaS1P_S1Q_EUlS1P_E_NS1_11comp_targetILNS1_3genE4ELNS1_11target_archE910ELNS1_3gpuE8ELNS1_3repE0EEENS1_30default_config_static_selectorELNS0_4arch9wavefront6targetE0EEEvS12_.uses_flat_scratch, 0
	.set _ZN7rocprim17ROCPRIM_400000_NS6detail17trampoline_kernelINS0_13select_configILj256ELj13ELNS0_17block_load_methodE3ELS4_3ELS4_3ELNS0_20block_scan_algorithmE0ELj4294967295EEENS1_25partition_config_selectorILNS1_17partition_subalgoE4EjNS0_10empty_typeEbEEZZNS1_14partition_implILS8_4ELb0ES6_15HIP_vector_typeIjLj2EENS0_17counting_iteratorIjlEEPS9_SG_NS0_5tupleIJPjSI_NS0_16reverse_iteratorISI_EEEEENSH_IJSG_SG_SG_EEES9_SI_JZNS1_25segmented_radix_sort_implINS0_14default_configELb0EPKbPbPKlPlN2at6native12_GLOBAL__N_18offset_tEEE10hipError_tPvRmT1_PNSt15iterator_traitsIS12_E10value_typeET2_T3_PNS13_IS18_E10value_typeET4_jRbjT5_S1E_jjP12ihipStream_tbEUljE_ZNSN_ISO_Lb0ESQ_SR_ST_SU_SY_EESZ_S10_S11_S12_S16_S17_S18_S1B_S1C_jS1D_jS1E_S1E_jjS1G_bEUljE0_EEESZ_S10_S11_S18_S1C_S1E_T6_T7_T9_mT8_S1G_bDpT10_ENKUlT_T0_E_clISt17integral_constantIbLb0EES1U_EEDaS1P_S1Q_EUlS1P_E_NS1_11comp_targetILNS1_3genE4ELNS1_11target_archE910ELNS1_3gpuE8ELNS1_3repE0EEENS1_30default_config_static_selectorELNS0_4arch9wavefront6targetE0EEEvS12_.has_dyn_sized_stack, 0
	.set _ZN7rocprim17ROCPRIM_400000_NS6detail17trampoline_kernelINS0_13select_configILj256ELj13ELNS0_17block_load_methodE3ELS4_3ELS4_3ELNS0_20block_scan_algorithmE0ELj4294967295EEENS1_25partition_config_selectorILNS1_17partition_subalgoE4EjNS0_10empty_typeEbEEZZNS1_14partition_implILS8_4ELb0ES6_15HIP_vector_typeIjLj2EENS0_17counting_iteratorIjlEEPS9_SG_NS0_5tupleIJPjSI_NS0_16reverse_iteratorISI_EEEEENSH_IJSG_SG_SG_EEES9_SI_JZNS1_25segmented_radix_sort_implINS0_14default_configELb0EPKbPbPKlPlN2at6native12_GLOBAL__N_18offset_tEEE10hipError_tPvRmT1_PNSt15iterator_traitsIS12_E10value_typeET2_T3_PNS13_IS18_E10value_typeET4_jRbjT5_S1E_jjP12ihipStream_tbEUljE_ZNSN_ISO_Lb0ESQ_SR_ST_SU_SY_EESZ_S10_S11_S12_S16_S17_S18_S1B_S1C_jS1D_jS1E_S1E_jjS1G_bEUljE0_EEESZ_S10_S11_S18_S1C_S1E_T6_T7_T9_mT8_S1G_bDpT10_ENKUlT_T0_E_clISt17integral_constantIbLb0EES1U_EEDaS1P_S1Q_EUlS1P_E_NS1_11comp_targetILNS1_3genE4ELNS1_11target_archE910ELNS1_3gpuE8ELNS1_3repE0EEENS1_30default_config_static_selectorELNS0_4arch9wavefront6targetE0EEEvS12_.has_recursion, 0
	.set _ZN7rocprim17ROCPRIM_400000_NS6detail17trampoline_kernelINS0_13select_configILj256ELj13ELNS0_17block_load_methodE3ELS4_3ELS4_3ELNS0_20block_scan_algorithmE0ELj4294967295EEENS1_25partition_config_selectorILNS1_17partition_subalgoE4EjNS0_10empty_typeEbEEZZNS1_14partition_implILS8_4ELb0ES6_15HIP_vector_typeIjLj2EENS0_17counting_iteratorIjlEEPS9_SG_NS0_5tupleIJPjSI_NS0_16reverse_iteratorISI_EEEEENSH_IJSG_SG_SG_EEES9_SI_JZNS1_25segmented_radix_sort_implINS0_14default_configELb0EPKbPbPKlPlN2at6native12_GLOBAL__N_18offset_tEEE10hipError_tPvRmT1_PNSt15iterator_traitsIS12_E10value_typeET2_T3_PNS13_IS18_E10value_typeET4_jRbjT5_S1E_jjP12ihipStream_tbEUljE_ZNSN_ISO_Lb0ESQ_SR_ST_SU_SY_EESZ_S10_S11_S12_S16_S17_S18_S1B_S1C_jS1D_jS1E_S1E_jjS1G_bEUljE0_EEESZ_S10_S11_S18_S1C_S1E_T6_T7_T9_mT8_S1G_bDpT10_ENKUlT_T0_E_clISt17integral_constantIbLb0EES1U_EEDaS1P_S1Q_EUlS1P_E_NS1_11comp_targetILNS1_3genE4ELNS1_11target_archE910ELNS1_3gpuE8ELNS1_3repE0EEENS1_30default_config_static_selectorELNS0_4arch9wavefront6targetE0EEEvS12_.has_indirect_call, 0
	.section	.AMDGPU.csdata,"",@progbits
; Kernel info:
; codeLenInByte = 0
; TotalNumSgprs: 0
; NumVgprs: 0
; ScratchSize: 0
; MemoryBound: 0
; FloatMode: 240
; IeeeMode: 1
; LDSByteSize: 0 bytes/workgroup (compile time only)
; SGPRBlocks: 0
; VGPRBlocks: 0
; NumSGPRsForWavesPerEU: 1
; NumVGPRsForWavesPerEU: 1
; Occupancy: 16
; WaveLimiterHint : 0
; COMPUTE_PGM_RSRC2:SCRATCH_EN: 0
; COMPUTE_PGM_RSRC2:USER_SGPR: 2
; COMPUTE_PGM_RSRC2:TRAP_HANDLER: 0
; COMPUTE_PGM_RSRC2:TGID_X_EN: 1
; COMPUTE_PGM_RSRC2:TGID_Y_EN: 0
; COMPUTE_PGM_RSRC2:TGID_Z_EN: 0
; COMPUTE_PGM_RSRC2:TIDIG_COMP_CNT: 0
	.section	.text._ZN7rocprim17ROCPRIM_400000_NS6detail17trampoline_kernelINS0_13select_configILj256ELj13ELNS0_17block_load_methodE3ELS4_3ELS4_3ELNS0_20block_scan_algorithmE0ELj4294967295EEENS1_25partition_config_selectorILNS1_17partition_subalgoE4EjNS0_10empty_typeEbEEZZNS1_14partition_implILS8_4ELb0ES6_15HIP_vector_typeIjLj2EENS0_17counting_iteratorIjlEEPS9_SG_NS0_5tupleIJPjSI_NS0_16reverse_iteratorISI_EEEEENSH_IJSG_SG_SG_EEES9_SI_JZNS1_25segmented_radix_sort_implINS0_14default_configELb0EPKbPbPKlPlN2at6native12_GLOBAL__N_18offset_tEEE10hipError_tPvRmT1_PNSt15iterator_traitsIS12_E10value_typeET2_T3_PNS13_IS18_E10value_typeET4_jRbjT5_S1E_jjP12ihipStream_tbEUljE_ZNSN_ISO_Lb0ESQ_SR_ST_SU_SY_EESZ_S10_S11_S12_S16_S17_S18_S1B_S1C_jS1D_jS1E_S1E_jjS1G_bEUljE0_EEESZ_S10_S11_S18_S1C_S1E_T6_T7_T9_mT8_S1G_bDpT10_ENKUlT_T0_E_clISt17integral_constantIbLb0EES1U_EEDaS1P_S1Q_EUlS1P_E_NS1_11comp_targetILNS1_3genE3ELNS1_11target_archE908ELNS1_3gpuE7ELNS1_3repE0EEENS1_30default_config_static_selectorELNS0_4arch9wavefront6targetE0EEEvS12_,"axG",@progbits,_ZN7rocprim17ROCPRIM_400000_NS6detail17trampoline_kernelINS0_13select_configILj256ELj13ELNS0_17block_load_methodE3ELS4_3ELS4_3ELNS0_20block_scan_algorithmE0ELj4294967295EEENS1_25partition_config_selectorILNS1_17partition_subalgoE4EjNS0_10empty_typeEbEEZZNS1_14partition_implILS8_4ELb0ES6_15HIP_vector_typeIjLj2EENS0_17counting_iteratorIjlEEPS9_SG_NS0_5tupleIJPjSI_NS0_16reverse_iteratorISI_EEEEENSH_IJSG_SG_SG_EEES9_SI_JZNS1_25segmented_radix_sort_implINS0_14default_configELb0EPKbPbPKlPlN2at6native12_GLOBAL__N_18offset_tEEE10hipError_tPvRmT1_PNSt15iterator_traitsIS12_E10value_typeET2_T3_PNS13_IS18_E10value_typeET4_jRbjT5_S1E_jjP12ihipStream_tbEUljE_ZNSN_ISO_Lb0ESQ_SR_ST_SU_SY_EESZ_S10_S11_S12_S16_S17_S18_S1B_S1C_jS1D_jS1E_S1E_jjS1G_bEUljE0_EEESZ_S10_S11_S18_S1C_S1E_T6_T7_T9_mT8_S1G_bDpT10_ENKUlT_T0_E_clISt17integral_constantIbLb0EES1U_EEDaS1P_S1Q_EUlS1P_E_NS1_11comp_targetILNS1_3genE3ELNS1_11target_archE908ELNS1_3gpuE7ELNS1_3repE0EEENS1_30default_config_static_selectorELNS0_4arch9wavefront6targetE0EEEvS12_,comdat
	.globl	_ZN7rocprim17ROCPRIM_400000_NS6detail17trampoline_kernelINS0_13select_configILj256ELj13ELNS0_17block_load_methodE3ELS4_3ELS4_3ELNS0_20block_scan_algorithmE0ELj4294967295EEENS1_25partition_config_selectorILNS1_17partition_subalgoE4EjNS0_10empty_typeEbEEZZNS1_14partition_implILS8_4ELb0ES6_15HIP_vector_typeIjLj2EENS0_17counting_iteratorIjlEEPS9_SG_NS0_5tupleIJPjSI_NS0_16reverse_iteratorISI_EEEEENSH_IJSG_SG_SG_EEES9_SI_JZNS1_25segmented_radix_sort_implINS0_14default_configELb0EPKbPbPKlPlN2at6native12_GLOBAL__N_18offset_tEEE10hipError_tPvRmT1_PNSt15iterator_traitsIS12_E10value_typeET2_T3_PNS13_IS18_E10value_typeET4_jRbjT5_S1E_jjP12ihipStream_tbEUljE_ZNSN_ISO_Lb0ESQ_SR_ST_SU_SY_EESZ_S10_S11_S12_S16_S17_S18_S1B_S1C_jS1D_jS1E_S1E_jjS1G_bEUljE0_EEESZ_S10_S11_S18_S1C_S1E_T6_T7_T9_mT8_S1G_bDpT10_ENKUlT_T0_E_clISt17integral_constantIbLb0EES1U_EEDaS1P_S1Q_EUlS1P_E_NS1_11comp_targetILNS1_3genE3ELNS1_11target_archE908ELNS1_3gpuE7ELNS1_3repE0EEENS1_30default_config_static_selectorELNS0_4arch9wavefront6targetE0EEEvS12_ ; -- Begin function _ZN7rocprim17ROCPRIM_400000_NS6detail17trampoline_kernelINS0_13select_configILj256ELj13ELNS0_17block_load_methodE3ELS4_3ELS4_3ELNS0_20block_scan_algorithmE0ELj4294967295EEENS1_25partition_config_selectorILNS1_17partition_subalgoE4EjNS0_10empty_typeEbEEZZNS1_14partition_implILS8_4ELb0ES6_15HIP_vector_typeIjLj2EENS0_17counting_iteratorIjlEEPS9_SG_NS0_5tupleIJPjSI_NS0_16reverse_iteratorISI_EEEEENSH_IJSG_SG_SG_EEES9_SI_JZNS1_25segmented_radix_sort_implINS0_14default_configELb0EPKbPbPKlPlN2at6native12_GLOBAL__N_18offset_tEEE10hipError_tPvRmT1_PNSt15iterator_traitsIS12_E10value_typeET2_T3_PNS13_IS18_E10value_typeET4_jRbjT5_S1E_jjP12ihipStream_tbEUljE_ZNSN_ISO_Lb0ESQ_SR_ST_SU_SY_EESZ_S10_S11_S12_S16_S17_S18_S1B_S1C_jS1D_jS1E_S1E_jjS1G_bEUljE0_EEESZ_S10_S11_S18_S1C_S1E_T6_T7_T9_mT8_S1G_bDpT10_ENKUlT_T0_E_clISt17integral_constantIbLb0EES1U_EEDaS1P_S1Q_EUlS1P_E_NS1_11comp_targetILNS1_3genE3ELNS1_11target_archE908ELNS1_3gpuE7ELNS1_3repE0EEENS1_30default_config_static_selectorELNS0_4arch9wavefront6targetE0EEEvS12_
	.p2align	8
	.type	_ZN7rocprim17ROCPRIM_400000_NS6detail17trampoline_kernelINS0_13select_configILj256ELj13ELNS0_17block_load_methodE3ELS4_3ELS4_3ELNS0_20block_scan_algorithmE0ELj4294967295EEENS1_25partition_config_selectorILNS1_17partition_subalgoE4EjNS0_10empty_typeEbEEZZNS1_14partition_implILS8_4ELb0ES6_15HIP_vector_typeIjLj2EENS0_17counting_iteratorIjlEEPS9_SG_NS0_5tupleIJPjSI_NS0_16reverse_iteratorISI_EEEEENSH_IJSG_SG_SG_EEES9_SI_JZNS1_25segmented_radix_sort_implINS0_14default_configELb0EPKbPbPKlPlN2at6native12_GLOBAL__N_18offset_tEEE10hipError_tPvRmT1_PNSt15iterator_traitsIS12_E10value_typeET2_T3_PNS13_IS18_E10value_typeET4_jRbjT5_S1E_jjP12ihipStream_tbEUljE_ZNSN_ISO_Lb0ESQ_SR_ST_SU_SY_EESZ_S10_S11_S12_S16_S17_S18_S1B_S1C_jS1D_jS1E_S1E_jjS1G_bEUljE0_EEESZ_S10_S11_S18_S1C_S1E_T6_T7_T9_mT8_S1G_bDpT10_ENKUlT_T0_E_clISt17integral_constantIbLb0EES1U_EEDaS1P_S1Q_EUlS1P_E_NS1_11comp_targetILNS1_3genE3ELNS1_11target_archE908ELNS1_3gpuE7ELNS1_3repE0EEENS1_30default_config_static_selectorELNS0_4arch9wavefront6targetE0EEEvS12_,@function
_ZN7rocprim17ROCPRIM_400000_NS6detail17trampoline_kernelINS0_13select_configILj256ELj13ELNS0_17block_load_methodE3ELS4_3ELS4_3ELNS0_20block_scan_algorithmE0ELj4294967295EEENS1_25partition_config_selectorILNS1_17partition_subalgoE4EjNS0_10empty_typeEbEEZZNS1_14partition_implILS8_4ELb0ES6_15HIP_vector_typeIjLj2EENS0_17counting_iteratorIjlEEPS9_SG_NS0_5tupleIJPjSI_NS0_16reverse_iteratorISI_EEEEENSH_IJSG_SG_SG_EEES9_SI_JZNS1_25segmented_radix_sort_implINS0_14default_configELb0EPKbPbPKlPlN2at6native12_GLOBAL__N_18offset_tEEE10hipError_tPvRmT1_PNSt15iterator_traitsIS12_E10value_typeET2_T3_PNS13_IS18_E10value_typeET4_jRbjT5_S1E_jjP12ihipStream_tbEUljE_ZNSN_ISO_Lb0ESQ_SR_ST_SU_SY_EESZ_S10_S11_S12_S16_S17_S18_S1B_S1C_jS1D_jS1E_S1E_jjS1G_bEUljE0_EEESZ_S10_S11_S18_S1C_S1E_T6_T7_T9_mT8_S1G_bDpT10_ENKUlT_T0_E_clISt17integral_constantIbLb0EES1U_EEDaS1P_S1Q_EUlS1P_E_NS1_11comp_targetILNS1_3genE3ELNS1_11target_archE908ELNS1_3gpuE7ELNS1_3repE0EEENS1_30default_config_static_selectorELNS0_4arch9wavefront6targetE0EEEvS12_: ; @_ZN7rocprim17ROCPRIM_400000_NS6detail17trampoline_kernelINS0_13select_configILj256ELj13ELNS0_17block_load_methodE3ELS4_3ELS4_3ELNS0_20block_scan_algorithmE0ELj4294967295EEENS1_25partition_config_selectorILNS1_17partition_subalgoE4EjNS0_10empty_typeEbEEZZNS1_14partition_implILS8_4ELb0ES6_15HIP_vector_typeIjLj2EENS0_17counting_iteratorIjlEEPS9_SG_NS0_5tupleIJPjSI_NS0_16reverse_iteratorISI_EEEEENSH_IJSG_SG_SG_EEES9_SI_JZNS1_25segmented_radix_sort_implINS0_14default_configELb0EPKbPbPKlPlN2at6native12_GLOBAL__N_18offset_tEEE10hipError_tPvRmT1_PNSt15iterator_traitsIS12_E10value_typeET2_T3_PNS13_IS18_E10value_typeET4_jRbjT5_S1E_jjP12ihipStream_tbEUljE_ZNSN_ISO_Lb0ESQ_SR_ST_SU_SY_EESZ_S10_S11_S12_S16_S17_S18_S1B_S1C_jS1D_jS1E_S1E_jjS1G_bEUljE0_EEESZ_S10_S11_S18_S1C_S1E_T6_T7_T9_mT8_S1G_bDpT10_ENKUlT_T0_E_clISt17integral_constantIbLb0EES1U_EEDaS1P_S1Q_EUlS1P_E_NS1_11comp_targetILNS1_3genE3ELNS1_11target_archE908ELNS1_3gpuE7ELNS1_3repE0EEENS1_30default_config_static_selectorELNS0_4arch9wavefront6targetE0EEEvS12_
; %bb.0:
	.section	.rodata,"a",@progbits
	.p2align	6, 0x0
	.amdhsa_kernel _ZN7rocprim17ROCPRIM_400000_NS6detail17trampoline_kernelINS0_13select_configILj256ELj13ELNS0_17block_load_methodE3ELS4_3ELS4_3ELNS0_20block_scan_algorithmE0ELj4294967295EEENS1_25partition_config_selectorILNS1_17partition_subalgoE4EjNS0_10empty_typeEbEEZZNS1_14partition_implILS8_4ELb0ES6_15HIP_vector_typeIjLj2EENS0_17counting_iteratorIjlEEPS9_SG_NS0_5tupleIJPjSI_NS0_16reverse_iteratorISI_EEEEENSH_IJSG_SG_SG_EEES9_SI_JZNS1_25segmented_radix_sort_implINS0_14default_configELb0EPKbPbPKlPlN2at6native12_GLOBAL__N_18offset_tEEE10hipError_tPvRmT1_PNSt15iterator_traitsIS12_E10value_typeET2_T3_PNS13_IS18_E10value_typeET4_jRbjT5_S1E_jjP12ihipStream_tbEUljE_ZNSN_ISO_Lb0ESQ_SR_ST_SU_SY_EESZ_S10_S11_S12_S16_S17_S18_S1B_S1C_jS1D_jS1E_S1E_jjS1G_bEUljE0_EEESZ_S10_S11_S18_S1C_S1E_T6_T7_T9_mT8_S1G_bDpT10_ENKUlT_T0_E_clISt17integral_constantIbLb0EES1U_EEDaS1P_S1Q_EUlS1P_E_NS1_11comp_targetILNS1_3genE3ELNS1_11target_archE908ELNS1_3gpuE7ELNS1_3repE0EEENS1_30default_config_static_selectorELNS0_4arch9wavefront6targetE0EEEvS12_
		.amdhsa_group_segment_fixed_size 0
		.amdhsa_private_segment_fixed_size 0
		.amdhsa_kernarg_size 176
		.amdhsa_user_sgpr_count 2
		.amdhsa_user_sgpr_dispatch_ptr 0
		.amdhsa_user_sgpr_queue_ptr 0
		.amdhsa_user_sgpr_kernarg_segment_ptr 1
		.amdhsa_user_sgpr_dispatch_id 0
		.amdhsa_user_sgpr_private_segment_size 0
		.amdhsa_wavefront_size32 1
		.amdhsa_uses_dynamic_stack 0
		.amdhsa_enable_private_segment 0
		.amdhsa_system_sgpr_workgroup_id_x 1
		.amdhsa_system_sgpr_workgroup_id_y 0
		.amdhsa_system_sgpr_workgroup_id_z 0
		.amdhsa_system_sgpr_workgroup_info 0
		.amdhsa_system_vgpr_workitem_id 0
		.amdhsa_next_free_vgpr 1
		.amdhsa_next_free_sgpr 1
		.amdhsa_reserve_vcc 0
		.amdhsa_float_round_mode_32 0
		.amdhsa_float_round_mode_16_64 0
		.amdhsa_float_denorm_mode_32 3
		.amdhsa_float_denorm_mode_16_64 3
		.amdhsa_fp16_overflow 0
		.amdhsa_workgroup_processor_mode 1
		.amdhsa_memory_ordered 1
		.amdhsa_forward_progress 1
		.amdhsa_inst_pref_size 0
		.amdhsa_round_robin_scheduling 0
		.amdhsa_exception_fp_ieee_invalid_op 0
		.amdhsa_exception_fp_denorm_src 0
		.amdhsa_exception_fp_ieee_div_zero 0
		.amdhsa_exception_fp_ieee_overflow 0
		.amdhsa_exception_fp_ieee_underflow 0
		.amdhsa_exception_fp_ieee_inexact 0
		.amdhsa_exception_int_div_zero 0
	.end_amdhsa_kernel
	.section	.text._ZN7rocprim17ROCPRIM_400000_NS6detail17trampoline_kernelINS0_13select_configILj256ELj13ELNS0_17block_load_methodE3ELS4_3ELS4_3ELNS0_20block_scan_algorithmE0ELj4294967295EEENS1_25partition_config_selectorILNS1_17partition_subalgoE4EjNS0_10empty_typeEbEEZZNS1_14partition_implILS8_4ELb0ES6_15HIP_vector_typeIjLj2EENS0_17counting_iteratorIjlEEPS9_SG_NS0_5tupleIJPjSI_NS0_16reverse_iteratorISI_EEEEENSH_IJSG_SG_SG_EEES9_SI_JZNS1_25segmented_radix_sort_implINS0_14default_configELb0EPKbPbPKlPlN2at6native12_GLOBAL__N_18offset_tEEE10hipError_tPvRmT1_PNSt15iterator_traitsIS12_E10value_typeET2_T3_PNS13_IS18_E10value_typeET4_jRbjT5_S1E_jjP12ihipStream_tbEUljE_ZNSN_ISO_Lb0ESQ_SR_ST_SU_SY_EESZ_S10_S11_S12_S16_S17_S18_S1B_S1C_jS1D_jS1E_S1E_jjS1G_bEUljE0_EEESZ_S10_S11_S18_S1C_S1E_T6_T7_T9_mT8_S1G_bDpT10_ENKUlT_T0_E_clISt17integral_constantIbLb0EES1U_EEDaS1P_S1Q_EUlS1P_E_NS1_11comp_targetILNS1_3genE3ELNS1_11target_archE908ELNS1_3gpuE7ELNS1_3repE0EEENS1_30default_config_static_selectorELNS0_4arch9wavefront6targetE0EEEvS12_,"axG",@progbits,_ZN7rocprim17ROCPRIM_400000_NS6detail17trampoline_kernelINS0_13select_configILj256ELj13ELNS0_17block_load_methodE3ELS4_3ELS4_3ELNS0_20block_scan_algorithmE0ELj4294967295EEENS1_25partition_config_selectorILNS1_17partition_subalgoE4EjNS0_10empty_typeEbEEZZNS1_14partition_implILS8_4ELb0ES6_15HIP_vector_typeIjLj2EENS0_17counting_iteratorIjlEEPS9_SG_NS0_5tupleIJPjSI_NS0_16reverse_iteratorISI_EEEEENSH_IJSG_SG_SG_EEES9_SI_JZNS1_25segmented_radix_sort_implINS0_14default_configELb0EPKbPbPKlPlN2at6native12_GLOBAL__N_18offset_tEEE10hipError_tPvRmT1_PNSt15iterator_traitsIS12_E10value_typeET2_T3_PNS13_IS18_E10value_typeET4_jRbjT5_S1E_jjP12ihipStream_tbEUljE_ZNSN_ISO_Lb0ESQ_SR_ST_SU_SY_EESZ_S10_S11_S12_S16_S17_S18_S1B_S1C_jS1D_jS1E_S1E_jjS1G_bEUljE0_EEESZ_S10_S11_S18_S1C_S1E_T6_T7_T9_mT8_S1G_bDpT10_ENKUlT_T0_E_clISt17integral_constantIbLb0EES1U_EEDaS1P_S1Q_EUlS1P_E_NS1_11comp_targetILNS1_3genE3ELNS1_11target_archE908ELNS1_3gpuE7ELNS1_3repE0EEENS1_30default_config_static_selectorELNS0_4arch9wavefront6targetE0EEEvS12_,comdat
.Lfunc_end1574:
	.size	_ZN7rocprim17ROCPRIM_400000_NS6detail17trampoline_kernelINS0_13select_configILj256ELj13ELNS0_17block_load_methodE3ELS4_3ELS4_3ELNS0_20block_scan_algorithmE0ELj4294967295EEENS1_25partition_config_selectorILNS1_17partition_subalgoE4EjNS0_10empty_typeEbEEZZNS1_14partition_implILS8_4ELb0ES6_15HIP_vector_typeIjLj2EENS0_17counting_iteratorIjlEEPS9_SG_NS0_5tupleIJPjSI_NS0_16reverse_iteratorISI_EEEEENSH_IJSG_SG_SG_EEES9_SI_JZNS1_25segmented_radix_sort_implINS0_14default_configELb0EPKbPbPKlPlN2at6native12_GLOBAL__N_18offset_tEEE10hipError_tPvRmT1_PNSt15iterator_traitsIS12_E10value_typeET2_T3_PNS13_IS18_E10value_typeET4_jRbjT5_S1E_jjP12ihipStream_tbEUljE_ZNSN_ISO_Lb0ESQ_SR_ST_SU_SY_EESZ_S10_S11_S12_S16_S17_S18_S1B_S1C_jS1D_jS1E_S1E_jjS1G_bEUljE0_EEESZ_S10_S11_S18_S1C_S1E_T6_T7_T9_mT8_S1G_bDpT10_ENKUlT_T0_E_clISt17integral_constantIbLb0EES1U_EEDaS1P_S1Q_EUlS1P_E_NS1_11comp_targetILNS1_3genE3ELNS1_11target_archE908ELNS1_3gpuE7ELNS1_3repE0EEENS1_30default_config_static_selectorELNS0_4arch9wavefront6targetE0EEEvS12_, .Lfunc_end1574-_ZN7rocprim17ROCPRIM_400000_NS6detail17trampoline_kernelINS0_13select_configILj256ELj13ELNS0_17block_load_methodE3ELS4_3ELS4_3ELNS0_20block_scan_algorithmE0ELj4294967295EEENS1_25partition_config_selectorILNS1_17partition_subalgoE4EjNS0_10empty_typeEbEEZZNS1_14partition_implILS8_4ELb0ES6_15HIP_vector_typeIjLj2EENS0_17counting_iteratorIjlEEPS9_SG_NS0_5tupleIJPjSI_NS0_16reverse_iteratorISI_EEEEENSH_IJSG_SG_SG_EEES9_SI_JZNS1_25segmented_radix_sort_implINS0_14default_configELb0EPKbPbPKlPlN2at6native12_GLOBAL__N_18offset_tEEE10hipError_tPvRmT1_PNSt15iterator_traitsIS12_E10value_typeET2_T3_PNS13_IS18_E10value_typeET4_jRbjT5_S1E_jjP12ihipStream_tbEUljE_ZNSN_ISO_Lb0ESQ_SR_ST_SU_SY_EESZ_S10_S11_S12_S16_S17_S18_S1B_S1C_jS1D_jS1E_S1E_jjS1G_bEUljE0_EEESZ_S10_S11_S18_S1C_S1E_T6_T7_T9_mT8_S1G_bDpT10_ENKUlT_T0_E_clISt17integral_constantIbLb0EES1U_EEDaS1P_S1Q_EUlS1P_E_NS1_11comp_targetILNS1_3genE3ELNS1_11target_archE908ELNS1_3gpuE7ELNS1_3repE0EEENS1_30default_config_static_selectorELNS0_4arch9wavefront6targetE0EEEvS12_
                                        ; -- End function
	.set _ZN7rocprim17ROCPRIM_400000_NS6detail17trampoline_kernelINS0_13select_configILj256ELj13ELNS0_17block_load_methodE3ELS4_3ELS4_3ELNS0_20block_scan_algorithmE0ELj4294967295EEENS1_25partition_config_selectorILNS1_17partition_subalgoE4EjNS0_10empty_typeEbEEZZNS1_14partition_implILS8_4ELb0ES6_15HIP_vector_typeIjLj2EENS0_17counting_iteratorIjlEEPS9_SG_NS0_5tupleIJPjSI_NS0_16reverse_iteratorISI_EEEEENSH_IJSG_SG_SG_EEES9_SI_JZNS1_25segmented_radix_sort_implINS0_14default_configELb0EPKbPbPKlPlN2at6native12_GLOBAL__N_18offset_tEEE10hipError_tPvRmT1_PNSt15iterator_traitsIS12_E10value_typeET2_T3_PNS13_IS18_E10value_typeET4_jRbjT5_S1E_jjP12ihipStream_tbEUljE_ZNSN_ISO_Lb0ESQ_SR_ST_SU_SY_EESZ_S10_S11_S12_S16_S17_S18_S1B_S1C_jS1D_jS1E_S1E_jjS1G_bEUljE0_EEESZ_S10_S11_S18_S1C_S1E_T6_T7_T9_mT8_S1G_bDpT10_ENKUlT_T0_E_clISt17integral_constantIbLb0EES1U_EEDaS1P_S1Q_EUlS1P_E_NS1_11comp_targetILNS1_3genE3ELNS1_11target_archE908ELNS1_3gpuE7ELNS1_3repE0EEENS1_30default_config_static_selectorELNS0_4arch9wavefront6targetE0EEEvS12_.num_vgpr, 0
	.set _ZN7rocprim17ROCPRIM_400000_NS6detail17trampoline_kernelINS0_13select_configILj256ELj13ELNS0_17block_load_methodE3ELS4_3ELS4_3ELNS0_20block_scan_algorithmE0ELj4294967295EEENS1_25partition_config_selectorILNS1_17partition_subalgoE4EjNS0_10empty_typeEbEEZZNS1_14partition_implILS8_4ELb0ES6_15HIP_vector_typeIjLj2EENS0_17counting_iteratorIjlEEPS9_SG_NS0_5tupleIJPjSI_NS0_16reverse_iteratorISI_EEEEENSH_IJSG_SG_SG_EEES9_SI_JZNS1_25segmented_radix_sort_implINS0_14default_configELb0EPKbPbPKlPlN2at6native12_GLOBAL__N_18offset_tEEE10hipError_tPvRmT1_PNSt15iterator_traitsIS12_E10value_typeET2_T3_PNS13_IS18_E10value_typeET4_jRbjT5_S1E_jjP12ihipStream_tbEUljE_ZNSN_ISO_Lb0ESQ_SR_ST_SU_SY_EESZ_S10_S11_S12_S16_S17_S18_S1B_S1C_jS1D_jS1E_S1E_jjS1G_bEUljE0_EEESZ_S10_S11_S18_S1C_S1E_T6_T7_T9_mT8_S1G_bDpT10_ENKUlT_T0_E_clISt17integral_constantIbLb0EES1U_EEDaS1P_S1Q_EUlS1P_E_NS1_11comp_targetILNS1_3genE3ELNS1_11target_archE908ELNS1_3gpuE7ELNS1_3repE0EEENS1_30default_config_static_selectorELNS0_4arch9wavefront6targetE0EEEvS12_.num_agpr, 0
	.set _ZN7rocprim17ROCPRIM_400000_NS6detail17trampoline_kernelINS0_13select_configILj256ELj13ELNS0_17block_load_methodE3ELS4_3ELS4_3ELNS0_20block_scan_algorithmE0ELj4294967295EEENS1_25partition_config_selectorILNS1_17partition_subalgoE4EjNS0_10empty_typeEbEEZZNS1_14partition_implILS8_4ELb0ES6_15HIP_vector_typeIjLj2EENS0_17counting_iteratorIjlEEPS9_SG_NS0_5tupleIJPjSI_NS0_16reverse_iteratorISI_EEEEENSH_IJSG_SG_SG_EEES9_SI_JZNS1_25segmented_radix_sort_implINS0_14default_configELb0EPKbPbPKlPlN2at6native12_GLOBAL__N_18offset_tEEE10hipError_tPvRmT1_PNSt15iterator_traitsIS12_E10value_typeET2_T3_PNS13_IS18_E10value_typeET4_jRbjT5_S1E_jjP12ihipStream_tbEUljE_ZNSN_ISO_Lb0ESQ_SR_ST_SU_SY_EESZ_S10_S11_S12_S16_S17_S18_S1B_S1C_jS1D_jS1E_S1E_jjS1G_bEUljE0_EEESZ_S10_S11_S18_S1C_S1E_T6_T7_T9_mT8_S1G_bDpT10_ENKUlT_T0_E_clISt17integral_constantIbLb0EES1U_EEDaS1P_S1Q_EUlS1P_E_NS1_11comp_targetILNS1_3genE3ELNS1_11target_archE908ELNS1_3gpuE7ELNS1_3repE0EEENS1_30default_config_static_selectorELNS0_4arch9wavefront6targetE0EEEvS12_.numbered_sgpr, 0
	.set _ZN7rocprim17ROCPRIM_400000_NS6detail17trampoline_kernelINS0_13select_configILj256ELj13ELNS0_17block_load_methodE3ELS4_3ELS4_3ELNS0_20block_scan_algorithmE0ELj4294967295EEENS1_25partition_config_selectorILNS1_17partition_subalgoE4EjNS0_10empty_typeEbEEZZNS1_14partition_implILS8_4ELb0ES6_15HIP_vector_typeIjLj2EENS0_17counting_iteratorIjlEEPS9_SG_NS0_5tupleIJPjSI_NS0_16reverse_iteratorISI_EEEEENSH_IJSG_SG_SG_EEES9_SI_JZNS1_25segmented_radix_sort_implINS0_14default_configELb0EPKbPbPKlPlN2at6native12_GLOBAL__N_18offset_tEEE10hipError_tPvRmT1_PNSt15iterator_traitsIS12_E10value_typeET2_T3_PNS13_IS18_E10value_typeET4_jRbjT5_S1E_jjP12ihipStream_tbEUljE_ZNSN_ISO_Lb0ESQ_SR_ST_SU_SY_EESZ_S10_S11_S12_S16_S17_S18_S1B_S1C_jS1D_jS1E_S1E_jjS1G_bEUljE0_EEESZ_S10_S11_S18_S1C_S1E_T6_T7_T9_mT8_S1G_bDpT10_ENKUlT_T0_E_clISt17integral_constantIbLb0EES1U_EEDaS1P_S1Q_EUlS1P_E_NS1_11comp_targetILNS1_3genE3ELNS1_11target_archE908ELNS1_3gpuE7ELNS1_3repE0EEENS1_30default_config_static_selectorELNS0_4arch9wavefront6targetE0EEEvS12_.num_named_barrier, 0
	.set _ZN7rocprim17ROCPRIM_400000_NS6detail17trampoline_kernelINS0_13select_configILj256ELj13ELNS0_17block_load_methodE3ELS4_3ELS4_3ELNS0_20block_scan_algorithmE0ELj4294967295EEENS1_25partition_config_selectorILNS1_17partition_subalgoE4EjNS0_10empty_typeEbEEZZNS1_14partition_implILS8_4ELb0ES6_15HIP_vector_typeIjLj2EENS0_17counting_iteratorIjlEEPS9_SG_NS0_5tupleIJPjSI_NS0_16reverse_iteratorISI_EEEEENSH_IJSG_SG_SG_EEES9_SI_JZNS1_25segmented_radix_sort_implINS0_14default_configELb0EPKbPbPKlPlN2at6native12_GLOBAL__N_18offset_tEEE10hipError_tPvRmT1_PNSt15iterator_traitsIS12_E10value_typeET2_T3_PNS13_IS18_E10value_typeET4_jRbjT5_S1E_jjP12ihipStream_tbEUljE_ZNSN_ISO_Lb0ESQ_SR_ST_SU_SY_EESZ_S10_S11_S12_S16_S17_S18_S1B_S1C_jS1D_jS1E_S1E_jjS1G_bEUljE0_EEESZ_S10_S11_S18_S1C_S1E_T6_T7_T9_mT8_S1G_bDpT10_ENKUlT_T0_E_clISt17integral_constantIbLb0EES1U_EEDaS1P_S1Q_EUlS1P_E_NS1_11comp_targetILNS1_3genE3ELNS1_11target_archE908ELNS1_3gpuE7ELNS1_3repE0EEENS1_30default_config_static_selectorELNS0_4arch9wavefront6targetE0EEEvS12_.private_seg_size, 0
	.set _ZN7rocprim17ROCPRIM_400000_NS6detail17trampoline_kernelINS0_13select_configILj256ELj13ELNS0_17block_load_methodE3ELS4_3ELS4_3ELNS0_20block_scan_algorithmE0ELj4294967295EEENS1_25partition_config_selectorILNS1_17partition_subalgoE4EjNS0_10empty_typeEbEEZZNS1_14partition_implILS8_4ELb0ES6_15HIP_vector_typeIjLj2EENS0_17counting_iteratorIjlEEPS9_SG_NS0_5tupleIJPjSI_NS0_16reverse_iteratorISI_EEEEENSH_IJSG_SG_SG_EEES9_SI_JZNS1_25segmented_radix_sort_implINS0_14default_configELb0EPKbPbPKlPlN2at6native12_GLOBAL__N_18offset_tEEE10hipError_tPvRmT1_PNSt15iterator_traitsIS12_E10value_typeET2_T3_PNS13_IS18_E10value_typeET4_jRbjT5_S1E_jjP12ihipStream_tbEUljE_ZNSN_ISO_Lb0ESQ_SR_ST_SU_SY_EESZ_S10_S11_S12_S16_S17_S18_S1B_S1C_jS1D_jS1E_S1E_jjS1G_bEUljE0_EEESZ_S10_S11_S18_S1C_S1E_T6_T7_T9_mT8_S1G_bDpT10_ENKUlT_T0_E_clISt17integral_constantIbLb0EES1U_EEDaS1P_S1Q_EUlS1P_E_NS1_11comp_targetILNS1_3genE3ELNS1_11target_archE908ELNS1_3gpuE7ELNS1_3repE0EEENS1_30default_config_static_selectorELNS0_4arch9wavefront6targetE0EEEvS12_.uses_vcc, 0
	.set _ZN7rocprim17ROCPRIM_400000_NS6detail17trampoline_kernelINS0_13select_configILj256ELj13ELNS0_17block_load_methodE3ELS4_3ELS4_3ELNS0_20block_scan_algorithmE0ELj4294967295EEENS1_25partition_config_selectorILNS1_17partition_subalgoE4EjNS0_10empty_typeEbEEZZNS1_14partition_implILS8_4ELb0ES6_15HIP_vector_typeIjLj2EENS0_17counting_iteratorIjlEEPS9_SG_NS0_5tupleIJPjSI_NS0_16reverse_iteratorISI_EEEEENSH_IJSG_SG_SG_EEES9_SI_JZNS1_25segmented_radix_sort_implINS0_14default_configELb0EPKbPbPKlPlN2at6native12_GLOBAL__N_18offset_tEEE10hipError_tPvRmT1_PNSt15iterator_traitsIS12_E10value_typeET2_T3_PNS13_IS18_E10value_typeET4_jRbjT5_S1E_jjP12ihipStream_tbEUljE_ZNSN_ISO_Lb0ESQ_SR_ST_SU_SY_EESZ_S10_S11_S12_S16_S17_S18_S1B_S1C_jS1D_jS1E_S1E_jjS1G_bEUljE0_EEESZ_S10_S11_S18_S1C_S1E_T6_T7_T9_mT8_S1G_bDpT10_ENKUlT_T0_E_clISt17integral_constantIbLb0EES1U_EEDaS1P_S1Q_EUlS1P_E_NS1_11comp_targetILNS1_3genE3ELNS1_11target_archE908ELNS1_3gpuE7ELNS1_3repE0EEENS1_30default_config_static_selectorELNS0_4arch9wavefront6targetE0EEEvS12_.uses_flat_scratch, 0
	.set _ZN7rocprim17ROCPRIM_400000_NS6detail17trampoline_kernelINS0_13select_configILj256ELj13ELNS0_17block_load_methodE3ELS4_3ELS4_3ELNS0_20block_scan_algorithmE0ELj4294967295EEENS1_25partition_config_selectorILNS1_17partition_subalgoE4EjNS0_10empty_typeEbEEZZNS1_14partition_implILS8_4ELb0ES6_15HIP_vector_typeIjLj2EENS0_17counting_iteratorIjlEEPS9_SG_NS0_5tupleIJPjSI_NS0_16reverse_iteratorISI_EEEEENSH_IJSG_SG_SG_EEES9_SI_JZNS1_25segmented_radix_sort_implINS0_14default_configELb0EPKbPbPKlPlN2at6native12_GLOBAL__N_18offset_tEEE10hipError_tPvRmT1_PNSt15iterator_traitsIS12_E10value_typeET2_T3_PNS13_IS18_E10value_typeET4_jRbjT5_S1E_jjP12ihipStream_tbEUljE_ZNSN_ISO_Lb0ESQ_SR_ST_SU_SY_EESZ_S10_S11_S12_S16_S17_S18_S1B_S1C_jS1D_jS1E_S1E_jjS1G_bEUljE0_EEESZ_S10_S11_S18_S1C_S1E_T6_T7_T9_mT8_S1G_bDpT10_ENKUlT_T0_E_clISt17integral_constantIbLb0EES1U_EEDaS1P_S1Q_EUlS1P_E_NS1_11comp_targetILNS1_3genE3ELNS1_11target_archE908ELNS1_3gpuE7ELNS1_3repE0EEENS1_30default_config_static_selectorELNS0_4arch9wavefront6targetE0EEEvS12_.has_dyn_sized_stack, 0
	.set _ZN7rocprim17ROCPRIM_400000_NS6detail17trampoline_kernelINS0_13select_configILj256ELj13ELNS0_17block_load_methodE3ELS4_3ELS4_3ELNS0_20block_scan_algorithmE0ELj4294967295EEENS1_25partition_config_selectorILNS1_17partition_subalgoE4EjNS0_10empty_typeEbEEZZNS1_14partition_implILS8_4ELb0ES6_15HIP_vector_typeIjLj2EENS0_17counting_iteratorIjlEEPS9_SG_NS0_5tupleIJPjSI_NS0_16reverse_iteratorISI_EEEEENSH_IJSG_SG_SG_EEES9_SI_JZNS1_25segmented_radix_sort_implINS0_14default_configELb0EPKbPbPKlPlN2at6native12_GLOBAL__N_18offset_tEEE10hipError_tPvRmT1_PNSt15iterator_traitsIS12_E10value_typeET2_T3_PNS13_IS18_E10value_typeET4_jRbjT5_S1E_jjP12ihipStream_tbEUljE_ZNSN_ISO_Lb0ESQ_SR_ST_SU_SY_EESZ_S10_S11_S12_S16_S17_S18_S1B_S1C_jS1D_jS1E_S1E_jjS1G_bEUljE0_EEESZ_S10_S11_S18_S1C_S1E_T6_T7_T9_mT8_S1G_bDpT10_ENKUlT_T0_E_clISt17integral_constantIbLb0EES1U_EEDaS1P_S1Q_EUlS1P_E_NS1_11comp_targetILNS1_3genE3ELNS1_11target_archE908ELNS1_3gpuE7ELNS1_3repE0EEENS1_30default_config_static_selectorELNS0_4arch9wavefront6targetE0EEEvS12_.has_recursion, 0
	.set _ZN7rocprim17ROCPRIM_400000_NS6detail17trampoline_kernelINS0_13select_configILj256ELj13ELNS0_17block_load_methodE3ELS4_3ELS4_3ELNS0_20block_scan_algorithmE0ELj4294967295EEENS1_25partition_config_selectorILNS1_17partition_subalgoE4EjNS0_10empty_typeEbEEZZNS1_14partition_implILS8_4ELb0ES6_15HIP_vector_typeIjLj2EENS0_17counting_iteratorIjlEEPS9_SG_NS0_5tupleIJPjSI_NS0_16reverse_iteratorISI_EEEEENSH_IJSG_SG_SG_EEES9_SI_JZNS1_25segmented_radix_sort_implINS0_14default_configELb0EPKbPbPKlPlN2at6native12_GLOBAL__N_18offset_tEEE10hipError_tPvRmT1_PNSt15iterator_traitsIS12_E10value_typeET2_T3_PNS13_IS18_E10value_typeET4_jRbjT5_S1E_jjP12ihipStream_tbEUljE_ZNSN_ISO_Lb0ESQ_SR_ST_SU_SY_EESZ_S10_S11_S12_S16_S17_S18_S1B_S1C_jS1D_jS1E_S1E_jjS1G_bEUljE0_EEESZ_S10_S11_S18_S1C_S1E_T6_T7_T9_mT8_S1G_bDpT10_ENKUlT_T0_E_clISt17integral_constantIbLb0EES1U_EEDaS1P_S1Q_EUlS1P_E_NS1_11comp_targetILNS1_3genE3ELNS1_11target_archE908ELNS1_3gpuE7ELNS1_3repE0EEENS1_30default_config_static_selectorELNS0_4arch9wavefront6targetE0EEEvS12_.has_indirect_call, 0
	.section	.AMDGPU.csdata,"",@progbits
; Kernel info:
; codeLenInByte = 0
; TotalNumSgprs: 0
; NumVgprs: 0
; ScratchSize: 0
; MemoryBound: 0
; FloatMode: 240
; IeeeMode: 1
; LDSByteSize: 0 bytes/workgroup (compile time only)
; SGPRBlocks: 0
; VGPRBlocks: 0
; NumSGPRsForWavesPerEU: 1
; NumVGPRsForWavesPerEU: 1
; Occupancy: 16
; WaveLimiterHint : 0
; COMPUTE_PGM_RSRC2:SCRATCH_EN: 0
; COMPUTE_PGM_RSRC2:USER_SGPR: 2
; COMPUTE_PGM_RSRC2:TRAP_HANDLER: 0
; COMPUTE_PGM_RSRC2:TGID_X_EN: 1
; COMPUTE_PGM_RSRC2:TGID_Y_EN: 0
; COMPUTE_PGM_RSRC2:TGID_Z_EN: 0
; COMPUTE_PGM_RSRC2:TIDIG_COMP_CNT: 0
	.section	.text._ZN7rocprim17ROCPRIM_400000_NS6detail17trampoline_kernelINS0_13select_configILj256ELj13ELNS0_17block_load_methodE3ELS4_3ELS4_3ELNS0_20block_scan_algorithmE0ELj4294967295EEENS1_25partition_config_selectorILNS1_17partition_subalgoE4EjNS0_10empty_typeEbEEZZNS1_14partition_implILS8_4ELb0ES6_15HIP_vector_typeIjLj2EENS0_17counting_iteratorIjlEEPS9_SG_NS0_5tupleIJPjSI_NS0_16reverse_iteratorISI_EEEEENSH_IJSG_SG_SG_EEES9_SI_JZNS1_25segmented_radix_sort_implINS0_14default_configELb0EPKbPbPKlPlN2at6native12_GLOBAL__N_18offset_tEEE10hipError_tPvRmT1_PNSt15iterator_traitsIS12_E10value_typeET2_T3_PNS13_IS18_E10value_typeET4_jRbjT5_S1E_jjP12ihipStream_tbEUljE_ZNSN_ISO_Lb0ESQ_SR_ST_SU_SY_EESZ_S10_S11_S12_S16_S17_S18_S1B_S1C_jS1D_jS1E_S1E_jjS1G_bEUljE0_EEESZ_S10_S11_S18_S1C_S1E_T6_T7_T9_mT8_S1G_bDpT10_ENKUlT_T0_E_clISt17integral_constantIbLb0EES1U_EEDaS1P_S1Q_EUlS1P_E_NS1_11comp_targetILNS1_3genE2ELNS1_11target_archE906ELNS1_3gpuE6ELNS1_3repE0EEENS1_30default_config_static_selectorELNS0_4arch9wavefront6targetE0EEEvS12_,"axG",@progbits,_ZN7rocprim17ROCPRIM_400000_NS6detail17trampoline_kernelINS0_13select_configILj256ELj13ELNS0_17block_load_methodE3ELS4_3ELS4_3ELNS0_20block_scan_algorithmE0ELj4294967295EEENS1_25partition_config_selectorILNS1_17partition_subalgoE4EjNS0_10empty_typeEbEEZZNS1_14partition_implILS8_4ELb0ES6_15HIP_vector_typeIjLj2EENS0_17counting_iteratorIjlEEPS9_SG_NS0_5tupleIJPjSI_NS0_16reverse_iteratorISI_EEEEENSH_IJSG_SG_SG_EEES9_SI_JZNS1_25segmented_radix_sort_implINS0_14default_configELb0EPKbPbPKlPlN2at6native12_GLOBAL__N_18offset_tEEE10hipError_tPvRmT1_PNSt15iterator_traitsIS12_E10value_typeET2_T3_PNS13_IS18_E10value_typeET4_jRbjT5_S1E_jjP12ihipStream_tbEUljE_ZNSN_ISO_Lb0ESQ_SR_ST_SU_SY_EESZ_S10_S11_S12_S16_S17_S18_S1B_S1C_jS1D_jS1E_S1E_jjS1G_bEUljE0_EEESZ_S10_S11_S18_S1C_S1E_T6_T7_T9_mT8_S1G_bDpT10_ENKUlT_T0_E_clISt17integral_constantIbLb0EES1U_EEDaS1P_S1Q_EUlS1P_E_NS1_11comp_targetILNS1_3genE2ELNS1_11target_archE906ELNS1_3gpuE6ELNS1_3repE0EEENS1_30default_config_static_selectorELNS0_4arch9wavefront6targetE0EEEvS12_,comdat
	.globl	_ZN7rocprim17ROCPRIM_400000_NS6detail17trampoline_kernelINS0_13select_configILj256ELj13ELNS0_17block_load_methodE3ELS4_3ELS4_3ELNS0_20block_scan_algorithmE0ELj4294967295EEENS1_25partition_config_selectorILNS1_17partition_subalgoE4EjNS0_10empty_typeEbEEZZNS1_14partition_implILS8_4ELb0ES6_15HIP_vector_typeIjLj2EENS0_17counting_iteratorIjlEEPS9_SG_NS0_5tupleIJPjSI_NS0_16reverse_iteratorISI_EEEEENSH_IJSG_SG_SG_EEES9_SI_JZNS1_25segmented_radix_sort_implINS0_14default_configELb0EPKbPbPKlPlN2at6native12_GLOBAL__N_18offset_tEEE10hipError_tPvRmT1_PNSt15iterator_traitsIS12_E10value_typeET2_T3_PNS13_IS18_E10value_typeET4_jRbjT5_S1E_jjP12ihipStream_tbEUljE_ZNSN_ISO_Lb0ESQ_SR_ST_SU_SY_EESZ_S10_S11_S12_S16_S17_S18_S1B_S1C_jS1D_jS1E_S1E_jjS1G_bEUljE0_EEESZ_S10_S11_S18_S1C_S1E_T6_T7_T9_mT8_S1G_bDpT10_ENKUlT_T0_E_clISt17integral_constantIbLb0EES1U_EEDaS1P_S1Q_EUlS1P_E_NS1_11comp_targetILNS1_3genE2ELNS1_11target_archE906ELNS1_3gpuE6ELNS1_3repE0EEENS1_30default_config_static_selectorELNS0_4arch9wavefront6targetE0EEEvS12_ ; -- Begin function _ZN7rocprim17ROCPRIM_400000_NS6detail17trampoline_kernelINS0_13select_configILj256ELj13ELNS0_17block_load_methodE3ELS4_3ELS4_3ELNS0_20block_scan_algorithmE0ELj4294967295EEENS1_25partition_config_selectorILNS1_17partition_subalgoE4EjNS0_10empty_typeEbEEZZNS1_14partition_implILS8_4ELb0ES6_15HIP_vector_typeIjLj2EENS0_17counting_iteratorIjlEEPS9_SG_NS0_5tupleIJPjSI_NS0_16reverse_iteratorISI_EEEEENSH_IJSG_SG_SG_EEES9_SI_JZNS1_25segmented_radix_sort_implINS0_14default_configELb0EPKbPbPKlPlN2at6native12_GLOBAL__N_18offset_tEEE10hipError_tPvRmT1_PNSt15iterator_traitsIS12_E10value_typeET2_T3_PNS13_IS18_E10value_typeET4_jRbjT5_S1E_jjP12ihipStream_tbEUljE_ZNSN_ISO_Lb0ESQ_SR_ST_SU_SY_EESZ_S10_S11_S12_S16_S17_S18_S1B_S1C_jS1D_jS1E_S1E_jjS1G_bEUljE0_EEESZ_S10_S11_S18_S1C_S1E_T6_T7_T9_mT8_S1G_bDpT10_ENKUlT_T0_E_clISt17integral_constantIbLb0EES1U_EEDaS1P_S1Q_EUlS1P_E_NS1_11comp_targetILNS1_3genE2ELNS1_11target_archE906ELNS1_3gpuE6ELNS1_3repE0EEENS1_30default_config_static_selectorELNS0_4arch9wavefront6targetE0EEEvS12_
	.p2align	8
	.type	_ZN7rocprim17ROCPRIM_400000_NS6detail17trampoline_kernelINS0_13select_configILj256ELj13ELNS0_17block_load_methodE3ELS4_3ELS4_3ELNS0_20block_scan_algorithmE0ELj4294967295EEENS1_25partition_config_selectorILNS1_17partition_subalgoE4EjNS0_10empty_typeEbEEZZNS1_14partition_implILS8_4ELb0ES6_15HIP_vector_typeIjLj2EENS0_17counting_iteratorIjlEEPS9_SG_NS0_5tupleIJPjSI_NS0_16reverse_iteratorISI_EEEEENSH_IJSG_SG_SG_EEES9_SI_JZNS1_25segmented_radix_sort_implINS0_14default_configELb0EPKbPbPKlPlN2at6native12_GLOBAL__N_18offset_tEEE10hipError_tPvRmT1_PNSt15iterator_traitsIS12_E10value_typeET2_T3_PNS13_IS18_E10value_typeET4_jRbjT5_S1E_jjP12ihipStream_tbEUljE_ZNSN_ISO_Lb0ESQ_SR_ST_SU_SY_EESZ_S10_S11_S12_S16_S17_S18_S1B_S1C_jS1D_jS1E_S1E_jjS1G_bEUljE0_EEESZ_S10_S11_S18_S1C_S1E_T6_T7_T9_mT8_S1G_bDpT10_ENKUlT_T0_E_clISt17integral_constantIbLb0EES1U_EEDaS1P_S1Q_EUlS1P_E_NS1_11comp_targetILNS1_3genE2ELNS1_11target_archE906ELNS1_3gpuE6ELNS1_3repE0EEENS1_30default_config_static_selectorELNS0_4arch9wavefront6targetE0EEEvS12_,@function
_ZN7rocprim17ROCPRIM_400000_NS6detail17trampoline_kernelINS0_13select_configILj256ELj13ELNS0_17block_load_methodE3ELS4_3ELS4_3ELNS0_20block_scan_algorithmE0ELj4294967295EEENS1_25partition_config_selectorILNS1_17partition_subalgoE4EjNS0_10empty_typeEbEEZZNS1_14partition_implILS8_4ELb0ES6_15HIP_vector_typeIjLj2EENS0_17counting_iteratorIjlEEPS9_SG_NS0_5tupleIJPjSI_NS0_16reverse_iteratorISI_EEEEENSH_IJSG_SG_SG_EEES9_SI_JZNS1_25segmented_radix_sort_implINS0_14default_configELb0EPKbPbPKlPlN2at6native12_GLOBAL__N_18offset_tEEE10hipError_tPvRmT1_PNSt15iterator_traitsIS12_E10value_typeET2_T3_PNS13_IS18_E10value_typeET4_jRbjT5_S1E_jjP12ihipStream_tbEUljE_ZNSN_ISO_Lb0ESQ_SR_ST_SU_SY_EESZ_S10_S11_S12_S16_S17_S18_S1B_S1C_jS1D_jS1E_S1E_jjS1G_bEUljE0_EEESZ_S10_S11_S18_S1C_S1E_T6_T7_T9_mT8_S1G_bDpT10_ENKUlT_T0_E_clISt17integral_constantIbLb0EES1U_EEDaS1P_S1Q_EUlS1P_E_NS1_11comp_targetILNS1_3genE2ELNS1_11target_archE906ELNS1_3gpuE6ELNS1_3repE0EEENS1_30default_config_static_selectorELNS0_4arch9wavefront6targetE0EEEvS12_: ; @_ZN7rocprim17ROCPRIM_400000_NS6detail17trampoline_kernelINS0_13select_configILj256ELj13ELNS0_17block_load_methodE3ELS4_3ELS4_3ELNS0_20block_scan_algorithmE0ELj4294967295EEENS1_25partition_config_selectorILNS1_17partition_subalgoE4EjNS0_10empty_typeEbEEZZNS1_14partition_implILS8_4ELb0ES6_15HIP_vector_typeIjLj2EENS0_17counting_iteratorIjlEEPS9_SG_NS0_5tupleIJPjSI_NS0_16reverse_iteratorISI_EEEEENSH_IJSG_SG_SG_EEES9_SI_JZNS1_25segmented_radix_sort_implINS0_14default_configELb0EPKbPbPKlPlN2at6native12_GLOBAL__N_18offset_tEEE10hipError_tPvRmT1_PNSt15iterator_traitsIS12_E10value_typeET2_T3_PNS13_IS18_E10value_typeET4_jRbjT5_S1E_jjP12ihipStream_tbEUljE_ZNSN_ISO_Lb0ESQ_SR_ST_SU_SY_EESZ_S10_S11_S12_S16_S17_S18_S1B_S1C_jS1D_jS1E_S1E_jjS1G_bEUljE0_EEESZ_S10_S11_S18_S1C_S1E_T6_T7_T9_mT8_S1G_bDpT10_ENKUlT_T0_E_clISt17integral_constantIbLb0EES1U_EEDaS1P_S1Q_EUlS1P_E_NS1_11comp_targetILNS1_3genE2ELNS1_11target_archE906ELNS1_3gpuE6ELNS1_3repE0EEENS1_30default_config_static_selectorELNS0_4arch9wavefront6targetE0EEEvS12_
; %bb.0:
	.section	.rodata,"a",@progbits
	.p2align	6, 0x0
	.amdhsa_kernel _ZN7rocprim17ROCPRIM_400000_NS6detail17trampoline_kernelINS0_13select_configILj256ELj13ELNS0_17block_load_methodE3ELS4_3ELS4_3ELNS0_20block_scan_algorithmE0ELj4294967295EEENS1_25partition_config_selectorILNS1_17partition_subalgoE4EjNS0_10empty_typeEbEEZZNS1_14partition_implILS8_4ELb0ES6_15HIP_vector_typeIjLj2EENS0_17counting_iteratorIjlEEPS9_SG_NS0_5tupleIJPjSI_NS0_16reverse_iteratorISI_EEEEENSH_IJSG_SG_SG_EEES9_SI_JZNS1_25segmented_radix_sort_implINS0_14default_configELb0EPKbPbPKlPlN2at6native12_GLOBAL__N_18offset_tEEE10hipError_tPvRmT1_PNSt15iterator_traitsIS12_E10value_typeET2_T3_PNS13_IS18_E10value_typeET4_jRbjT5_S1E_jjP12ihipStream_tbEUljE_ZNSN_ISO_Lb0ESQ_SR_ST_SU_SY_EESZ_S10_S11_S12_S16_S17_S18_S1B_S1C_jS1D_jS1E_S1E_jjS1G_bEUljE0_EEESZ_S10_S11_S18_S1C_S1E_T6_T7_T9_mT8_S1G_bDpT10_ENKUlT_T0_E_clISt17integral_constantIbLb0EES1U_EEDaS1P_S1Q_EUlS1P_E_NS1_11comp_targetILNS1_3genE2ELNS1_11target_archE906ELNS1_3gpuE6ELNS1_3repE0EEENS1_30default_config_static_selectorELNS0_4arch9wavefront6targetE0EEEvS12_
		.amdhsa_group_segment_fixed_size 0
		.amdhsa_private_segment_fixed_size 0
		.amdhsa_kernarg_size 176
		.amdhsa_user_sgpr_count 2
		.amdhsa_user_sgpr_dispatch_ptr 0
		.amdhsa_user_sgpr_queue_ptr 0
		.amdhsa_user_sgpr_kernarg_segment_ptr 1
		.amdhsa_user_sgpr_dispatch_id 0
		.amdhsa_user_sgpr_private_segment_size 0
		.amdhsa_wavefront_size32 1
		.amdhsa_uses_dynamic_stack 0
		.amdhsa_enable_private_segment 0
		.amdhsa_system_sgpr_workgroup_id_x 1
		.amdhsa_system_sgpr_workgroup_id_y 0
		.amdhsa_system_sgpr_workgroup_id_z 0
		.amdhsa_system_sgpr_workgroup_info 0
		.amdhsa_system_vgpr_workitem_id 0
		.amdhsa_next_free_vgpr 1
		.amdhsa_next_free_sgpr 1
		.amdhsa_reserve_vcc 0
		.amdhsa_float_round_mode_32 0
		.amdhsa_float_round_mode_16_64 0
		.amdhsa_float_denorm_mode_32 3
		.amdhsa_float_denorm_mode_16_64 3
		.amdhsa_fp16_overflow 0
		.amdhsa_workgroup_processor_mode 1
		.amdhsa_memory_ordered 1
		.amdhsa_forward_progress 1
		.amdhsa_inst_pref_size 0
		.amdhsa_round_robin_scheduling 0
		.amdhsa_exception_fp_ieee_invalid_op 0
		.amdhsa_exception_fp_denorm_src 0
		.amdhsa_exception_fp_ieee_div_zero 0
		.amdhsa_exception_fp_ieee_overflow 0
		.amdhsa_exception_fp_ieee_underflow 0
		.amdhsa_exception_fp_ieee_inexact 0
		.amdhsa_exception_int_div_zero 0
	.end_amdhsa_kernel
	.section	.text._ZN7rocprim17ROCPRIM_400000_NS6detail17trampoline_kernelINS0_13select_configILj256ELj13ELNS0_17block_load_methodE3ELS4_3ELS4_3ELNS0_20block_scan_algorithmE0ELj4294967295EEENS1_25partition_config_selectorILNS1_17partition_subalgoE4EjNS0_10empty_typeEbEEZZNS1_14partition_implILS8_4ELb0ES6_15HIP_vector_typeIjLj2EENS0_17counting_iteratorIjlEEPS9_SG_NS0_5tupleIJPjSI_NS0_16reverse_iteratorISI_EEEEENSH_IJSG_SG_SG_EEES9_SI_JZNS1_25segmented_radix_sort_implINS0_14default_configELb0EPKbPbPKlPlN2at6native12_GLOBAL__N_18offset_tEEE10hipError_tPvRmT1_PNSt15iterator_traitsIS12_E10value_typeET2_T3_PNS13_IS18_E10value_typeET4_jRbjT5_S1E_jjP12ihipStream_tbEUljE_ZNSN_ISO_Lb0ESQ_SR_ST_SU_SY_EESZ_S10_S11_S12_S16_S17_S18_S1B_S1C_jS1D_jS1E_S1E_jjS1G_bEUljE0_EEESZ_S10_S11_S18_S1C_S1E_T6_T7_T9_mT8_S1G_bDpT10_ENKUlT_T0_E_clISt17integral_constantIbLb0EES1U_EEDaS1P_S1Q_EUlS1P_E_NS1_11comp_targetILNS1_3genE2ELNS1_11target_archE906ELNS1_3gpuE6ELNS1_3repE0EEENS1_30default_config_static_selectorELNS0_4arch9wavefront6targetE0EEEvS12_,"axG",@progbits,_ZN7rocprim17ROCPRIM_400000_NS6detail17trampoline_kernelINS0_13select_configILj256ELj13ELNS0_17block_load_methodE3ELS4_3ELS4_3ELNS0_20block_scan_algorithmE0ELj4294967295EEENS1_25partition_config_selectorILNS1_17partition_subalgoE4EjNS0_10empty_typeEbEEZZNS1_14partition_implILS8_4ELb0ES6_15HIP_vector_typeIjLj2EENS0_17counting_iteratorIjlEEPS9_SG_NS0_5tupleIJPjSI_NS0_16reverse_iteratorISI_EEEEENSH_IJSG_SG_SG_EEES9_SI_JZNS1_25segmented_radix_sort_implINS0_14default_configELb0EPKbPbPKlPlN2at6native12_GLOBAL__N_18offset_tEEE10hipError_tPvRmT1_PNSt15iterator_traitsIS12_E10value_typeET2_T3_PNS13_IS18_E10value_typeET4_jRbjT5_S1E_jjP12ihipStream_tbEUljE_ZNSN_ISO_Lb0ESQ_SR_ST_SU_SY_EESZ_S10_S11_S12_S16_S17_S18_S1B_S1C_jS1D_jS1E_S1E_jjS1G_bEUljE0_EEESZ_S10_S11_S18_S1C_S1E_T6_T7_T9_mT8_S1G_bDpT10_ENKUlT_T0_E_clISt17integral_constantIbLb0EES1U_EEDaS1P_S1Q_EUlS1P_E_NS1_11comp_targetILNS1_3genE2ELNS1_11target_archE906ELNS1_3gpuE6ELNS1_3repE0EEENS1_30default_config_static_selectorELNS0_4arch9wavefront6targetE0EEEvS12_,comdat
.Lfunc_end1575:
	.size	_ZN7rocprim17ROCPRIM_400000_NS6detail17trampoline_kernelINS0_13select_configILj256ELj13ELNS0_17block_load_methodE3ELS4_3ELS4_3ELNS0_20block_scan_algorithmE0ELj4294967295EEENS1_25partition_config_selectorILNS1_17partition_subalgoE4EjNS0_10empty_typeEbEEZZNS1_14partition_implILS8_4ELb0ES6_15HIP_vector_typeIjLj2EENS0_17counting_iteratorIjlEEPS9_SG_NS0_5tupleIJPjSI_NS0_16reverse_iteratorISI_EEEEENSH_IJSG_SG_SG_EEES9_SI_JZNS1_25segmented_radix_sort_implINS0_14default_configELb0EPKbPbPKlPlN2at6native12_GLOBAL__N_18offset_tEEE10hipError_tPvRmT1_PNSt15iterator_traitsIS12_E10value_typeET2_T3_PNS13_IS18_E10value_typeET4_jRbjT5_S1E_jjP12ihipStream_tbEUljE_ZNSN_ISO_Lb0ESQ_SR_ST_SU_SY_EESZ_S10_S11_S12_S16_S17_S18_S1B_S1C_jS1D_jS1E_S1E_jjS1G_bEUljE0_EEESZ_S10_S11_S18_S1C_S1E_T6_T7_T9_mT8_S1G_bDpT10_ENKUlT_T0_E_clISt17integral_constantIbLb0EES1U_EEDaS1P_S1Q_EUlS1P_E_NS1_11comp_targetILNS1_3genE2ELNS1_11target_archE906ELNS1_3gpuE6ELNS1_3repE0EEENS1_30default_config_static_selectorELNS0_4arch9wavefront6targetE0EEEvS12_, .Lfunc_end1575-_ZN7rocprim17ROCPRIM_400000_NS6detail17trampoline_kernelINS0_13select_configILj256ELj13ELNS0_17block_load_methodE3ELS4_3ELS4_3ELNS0_20block_scan_algorithmE0ELj4294967295EEENS1_25partition_config_selectorILNS1_17partition_subalgoE4EjNS0_10empty_typeEbEEZZNS1_14partition_implILS8_4ELb0ES6_15HIP_vector_typeIjLj2EENS0_17counting_iteratorIjlEEPS9_SG_NS0_5tupleIJPjSI_NS0_16reverse_iteratorISI_EEEEENSH_IJSG_SG_SG_EEES9_SI_JZNS1_25segmented_radix_sort_implINS0_14default_configELb0EPKbPbPKlPlN2at6native12_GLOBAL__N_18offset_tEEE10hipError_tPvRmT1_PNSt15iterator_traitsIS12_E10value_typeET2_T3_PNS13_IS18_E10value_typeET4_jRbjT5_S1E_jjP12ihipStream_tbEUljE_ZNSN_ISO_Lb0ESQ_SR_ST_SU_SY_EESZ_S10_S11_S12_S16_S17_S18_S1B_S1C_jS1D_jS1E_S1E_jjS1G_bEUljE0_EEESZ_S10_S11_S18_S1C_S1E_T6_T7_T9_mT8_S1G_bDpT10_ENKUlT_T0_E_clISt17integral_constantIbLb0EES1U_EEDaS1P_S1Q_EUlS1P_E_NS1_11comp_targetILNS1_3genE2ELNS1_11target_archE906ELNS1_3gpuE6ELNS1_3repE0EEENS1_30default_config_static_selectorELNS0_4arch9wavefront6targetE0EEEvS12_
                                        ; -- End function
	.set _ZN7rocprim17ROCPRIM_400000_NS6detail17trampoline_kernelINS0_13select_configILj256ELj13ELNS0_17block_load_methodE3ELS4_3ELS4_3ELNS0_20block_scan_algorithmE0ELj4294967295EEENS1_25partition_config_selectorILNS1_17partition_subalgoE4EjNS0_10empty_typeEbEEZZNS1_14partition_implILS8_4ELb0ES6_15HIP_vector_typeIjLj2EENS0_17counting_iteratorIjlEEPS9_SG_NS0_5tupleIJPjSI_NS0_16reverse_iteratorISI_EEEEENSH_IJSG_SG_SG_EEES9_SI_JZNS1_25segmented_radix_sort_implINS0_14default_configELb0EPKbPbPKlPlN2at6native12_GLOBAL__N_18offset_tEEE10hipError_tPvRmT1_PNSt15iterator_traitsIS12_E10value_typeET2_T3_PNS13_IS18_E10value_typeET4_jRbjT5_S1E_jjP12ihipStream_tbEUljE_ZNSN_ISO_Lb0ESQ_SR_ST_SU_SY_EESZ_S10_S11_S12_S16_S17_S18_S1B_S1C_jS1D_jS1E_S1E_jjS1G_bEUljE0_EEESZ_S10_S11_S18_S1C_S1E_T6_T7_T9_mT8_S1G_bDpT10_ENKUlT_T0_E_clISt17integral_constantIbLb0EES1U_EEDaS1P_S1Q_EUlS1P_E_NS1_11comp_targetILNS1_3genE2ELNS1_11target_archE906ELNS1_3gpuE6ELNS1_3repE0EEENS1_30default_config_static_selectorELNS0_4arch9wavefront6targetE0EEEvS12_.num_vgpr, 0
	.set _ZN7rocprim17ROCPRIM_400000_NS6detail17trampoline_kernelINS0_13select_configILj256ELj13ELNS0_17block_load_methodE3ELS4_3ELS4_3ELNS0_20block_scan_algorithmE0ELj4294967295EEENS1_25partition_config_selectorILNS1_17partition_subalgoE4EjNS0_10empty_typeEbEEZZNS1_14partition_implILS8_4ELb0ES6_15HIP_vector_typeIjLj2EENS0_17counting_iteratorIjlEEPS9_SG_NS0_5tupleIJPjSI_NS0_16reverse_iteratorISI_EEEEENSH_IJSG_SG_SG_EEES9_SI_JZNS1_25segmented_radix_sort_implINS0_14default_configELb0EPKbPbPKlPlN2at6native12_GLOBAL__N_18offset_tEEE10hipError_tPvRmT1_PNSt15iterator_traitsIS12_E10value_typeET2_T3_PNS13_IS18_E10value_typeET4_jRbjT5_S1E_jjP12ihipStream_tbEUljE_ZNSN_ISO_Lb0ESQ_SR_ST_SU_SY_EESZ_S10_S11_S12_S16_S17_S18_S1B_S1C_jS1D_jS1E_S1E_jjS1G_bEUljE0_EEESZ_S10_S11_S18_S1C_S1E_T6_T7_T9_mT8_S1G_bDpT10_ENKUlT_T0_E_clISt17integral_constantIbLb0EES1U_EEDaS1P_S1Q_EUlS1P_E_NS1_11comp_targetILNS1_3genE2ELNS1_11target_archE906ELNS1_3gpuE6ELNS1_3repE0EEENS1_30default_config_static_selectorELNS0_4arch9wavefront6targetE0EEEvS12_.num_agpr, 0
	.set _ZN7rocprim17ROCPRIM_400000_NS6detail17trampoline_kernelINS0_13select_configILj256ELj13ELNS0_17block_load_methodE3ELS4_3ELS4_3ELNS0_20block_scan_algorithmE0ELj4294967295EEENS1_25partition_config_selectorILNS1_17partition_subalgoE4EjNS0_10empty_typeEbEEZZNS1_14partition_implILS8_4ELb0ES6_15HIP_vector_typeIjLj2EENS0_17counting_iteratorIjlEEPS9_SG_NS0_5tupleIJPjSI_NS0_16reverse_iteratorISI_EEEEENSH_IJSG_SG_SG_EEES9_SI_JZNS1_25segmented_radix_sort_implINS0_14default_configELb0EPKbPbPKlPlN2at6native12_GLOBAL__N_18offset_tEEE10hipError_tPvRmT1_PNSt15iterator_traitsIS12_E10value_typeET2_T3_PNS13_IS18_E10value_typeET4_jRbjT5_S1E_jjP12ihipStream_tbEUljE_ZNSN_ISO_Lb0ESQ_SR_ST_SU_SY_EESZ_S10_S11_S12_S16_S17_S18_S1B_S1C_jS1D_jS1E_S1E_jjS1G_bEUljE0_EEESZ_S10_S11_S18_S1C_S1E_T6_T7_T9_mT8_S1G_bDpT10_ENKUlT_T0_E_clISt17integral_constantIbLb0EES1U_EEDaS1P_S1Q_EUlS1P_E_NS1_11comp_targetILNS1_3genE2ELNS1_11target_archE906ELNS1_3gpuE6ELNS1_3repE0EEENS1_30default_config_static_selectorELNS0_4arch9wavefront6targetE0EEEvS12_.numbered_sgpr, 0
	.set _ZN7rocprim17ROCPRIM_400000_NS6detail17trampoline_kernelINS0_13select_configILj256ELj13ELNS0_17block_load_methodE3ELS4_3ELS4_3ELNS0_20block_scan_algorithmE0ELj4294967295EEENS1_25partition_config_selectorILNS1_17partition_subalgoE4EjNS0_10empty_typeEbEEZZNS1_14partition_implILS8_4ELb0ES6_15HIP_vector_typeIjLj2EENS0_17counting_iteratorIjlEEPS9_SG_NS0_5tupleIJPjSI_NS0_16reverse_iteratorISI_EEEEENSH_IJSG_SG_SG_EEES9_SI_JZNS1_25segmented_radix_sort_implINS0_14default_configELb0EPKbPbPKlPlN2at6native12_GLOBAL__N_18offset_tEEE10hipError_tPvRmT1_PNSt15iterator_traitsIS12_E10value_typeET2_T3_PNS13_IS18_E10value_typeET4_jRbjT5_S1E_jjP12ihipStream_tbEUljE_ZNSN_ISO_Lb0ESQ_SR_ST_SU_SY_EESZ_S10_S11_S12_S16_S17_S18_S1B_S1C_jS1D_jS1E_S1E_jjS1G_bEUljE0_EEESZ_S10_S11_S18_S1C_S1E_T6_T7_T9_mT8_S1G_bDpT10_ENKUlT_T0_E_clISt17integral_constantIbLb0EES1U_EEDaS1P_S1Q_EUlS1P_E_NS1_11comp_targetILNS1_3genE2ELNS1_11target_archE906ELNS1_3gpuE6ELNS1_3repE0EEENS1_30default_config_static_selectorELNS0_4arch9wavefront6targetE0EEEvS12_.num_named_barrier, 0
	.set _ZN7rocprim17ROCPRIM_400000_NS6detail17trampoline_kernelINS0_13select_configILj256ELj13ELNS0_17block_load_methodE3ELS4_3ELS4_3ELNS0_20block_scan_algorithmE0ELj4294967295EEENS1_25partition_config_selectorILNS1_17partition_subalgoE4EjNS0_10empty_typeEbEEZZNS1_14partition_implILS8_4ELb0ES6_15HIP_vector_typeIjLj2EENS0_17counting_iteratorIjlEEPS9_SG_NS0_5tupleIJPjSI_NS0_16reverse_iteratorISI_EEEEENSH_IJSG_SG_SG_EEES9_SI_JZNS1_25segmented_radix_sort_implINS0_14default_configELb0EPKbPbPKlPlN2at6native12_GLOBAL__N_18offset_tEEE10hipError_tPvRmT1_PNSt15iterator_traitsIS12_E10value_typeET2_T3_PNS13_IS18_E10value_typeET4_jRbjT5_S1E_jjP12ihipStream_tbEUljE_ZNSN_ISO_Lb0ESQ_SR_ST_SU_SY_EESZ_S10_S11_S12_S16_S17_S18_S1B_S1C_jS1D_jS1E_S1E_jjS1G_bEUljE0_EEESZ_S10_S11_S18_S1C_S1E_T6_T7_T9_mT8_S1G_bDpT10_ENKUlT_T0_E_clISt17integral_constantIbLb0EES1U_EEDaS1P_S1Q_EUlS1P_E_NS1_11comp_targetILNS1_3genE2ELNS1_11target_archE906ELNS1_3gpuE6ELNS1_3repE0EEENS1_30default_config_static_selectorELNS0_4arch9wavefront6targetE0EEEvS12_.private_seg_size, 0
	.set _ZN7rocprim17ROCPRIM_400000_NS6detail17trampoline_kernelINS0_13select_configILj256ELj13ELNS0_17block_load_methodE3ELS4_3ELS4_3ELNS0_20block_scan_algorithmE0ELj4294967295EEENS1_25partition_config_selectorILNS1_17partition_subalgoE4EjNS0_10empty_typeEbEEZZNS1_14partition_implILS8_4ELb0ES6_15HIP_vector_typeIjLj2EENS0_17counting_iteratorIjlEEPS9_SG_NS0_5tupleIJPjSI_NS0_16reverse_iteratorISI_EEEEENSH_IJSG_SG_SG_EEES9_SI_JZNS1_25segmented_radix_sort_implINS0_14default_configELb0EPKbPbPKlPlN2at6native12_GLOBAL__N_18offset_tEEE10hipError_tPvRmT1_PNSt15iterator_traitsIS12_E10value_typeET2_T3_PNS13_IS18_E10value_typeET4_jRbjT5_S1E_jjP12ihipStream_tbEUljE_ZNSN_ISO_Lb0ESQ_SR_ST_SU_SY_EESZ_S10_S11_S12_S16_S17_S18_S1B_S1C_jS1D_jS1E_S1E_jjS1G_bEUljE0_EEESZ_S10_S11_S18_S1C_S1E_T6_T7_T9_mT8_S1G_bDpT10_ENKUlT_T0_E_clISt17integral_constantIbLb0EES1U_EEDaS1P_S1Q_EUlS1P_E_NS1_11comp_targetILNS1_3genE2ELNS1_11target_archE906ELNS1_3gpuE6ELNS1_3repE0EEENS1_30default_config_static_selectorELNS0_4arch9wavefront6targetE0EEEvS12_.uses_vcc, 0
	.set _ZN7rocprim17ROCPRIM_400000_NS6detail17trampoline_kernelINS0_13select_configILj256ELj13ELNS0_17block_load_methodE3ELS4_3ELS4_3ELNS0_20block_scan_algorithmE0ELj4294967295EEENS1_25partition_config_selectorILNS1_17partition_subalgoE4EjNS0_10empty_typeEbEEZZNS1_14partition_implILS8_4ELb0ES6_15HIP_vector_typeIjLj2EENS0_17counting_iteratorIjlEEPS9_SG_NS0_5tupleIJPjSI_NS0_16reverse_iteratorISI_EEEEENSH_IJSG_SG_SG_EEES9_SI_JZNS1_25segmented_radix_sort_implINS0_14default_configELb0EPKbPbPKlPlN2at6native12_GLOBAL__N_18offset_tEEE10hipError_tPvRmT1_PNSt15iterator_traitsIS12_E10value_typeET2_T3_PNS13_IS18_E10value_typeET4_jRbjT5_S1E_jjP12ihipStream_tbEUljE_ZNSN_ISO_Lb0ESQ_SR_ST_SU_SY_EESZ_S10_S11_S12_S16_S17_S18_S1B_S1C_jS1D_jS1E_S1E_jjS1G_bEUljE0_EEESZ_S10_S11_S18_S1C_S1E_T6_T7_T9_mT8_S1G_bDpT10_ENKUlT_T0_E_clISt17integral_constantIbLb0EES1U_EEDaS1P_S1Q_EUlS1P_E_NS1_11comp_targetILNS1_3genE2ELNS1_11target_archE906ELNS1_3gpuE6ELNS1_3repE0EEENS1_30default_config_static_selectorELNS0_4arch9wavefront6targetE0EEEvS12_.uses_flat_scratch, 0
	.set _ZN7rocprim17ROCPRIM_400000_NS6detail17trampoline_kernelINS0_13select_configILj256ELj13ELNS0_17block_load_methodE3ELS4_3ELS4_3ELNS0_20block_scan_algorithmE0ELj4294967295EEENS1_25partition_config_selectorILNS1_17partition_subalgoE4EjNS0_10empty_typeEbEEZZNS1_14partition_implILS8_4ELb0ES6_15HIP_vector_typeIjLj2EENS0_17counting_iteratorIjlEEPS9_SG_NS0_5tupleIJPjSI_NS0_16reverse_iteratorISI_EEEEENSH_IJSG_SG_SG_EEES9_SI_JZNS1_25segmented_radix_sort_implINS0_14default_configELb0EPKbPbPKlPlN2at6native12_GLOBAL__N_18offset_tEEE10hipError_tPvRmT1_PNSt15iterator_traitsIS12_E10value_typeET2_T3_PNS13_IS18_E10value_typeET4_jRbjT5_S1E_jjP12ihipStream_tbEUljE_ZNSN_ISO_Lb0ESQ_SR_ST_SU_SY_EESZ_S10_S11_S12_S16_S17_S18_S1B_S1C_jS1D_jS1E_S1E_jjS1G_bEUljE0_EEESZ_S10_S11_S18_S1C_S1E_T6_T7_T9_mT8_S1G_bDpT10_ENKUlT_T0_E_clISt17integral_constantIbLb0EES1U_EEDaS1P_S1Q_EUlS1P_E_NS1_11comp_targetILNS1_3genE2ELNS1_11target_archE906ELNS1_3gpuE6ELNS1_3repE0EEENS1_30default_config_static_selectorELNS0_4arch9wavefront6targetE0EEEvS12_.has_dyn_sized_stack, 0
	.set _ZN7rocprim17ROCPRIM_400000_NS6detail17trampoline_kernelINS0_13select_configILj256ELj13ELNS0_17block_load_methodE3ELS4_3ELS4_3ELNS0_20block_scan_algorithmE0ELj4294967295EEENS1_25partition_config_selectorILNS1_17partition_subalgoE4EjNS0_10empty_typeEbEEZZNS1_14partition_implILS8_4ELb0ES6_15HIP_vector_typeIjLj2EENS0_17counting_iteratorIjlEEPS9_SG_NS0_5tupleIJPjSI_NS0_16reverse_iteratorISI_EEEEENSH_IJSG_SG_SG_EEES9_SI_JZNS1_25segmented_radix_sort_implINS0_14default_configELb0EPKbPbPKlPlN2at6native12_GLOBAL__N_18offset_tEEE10hipError_tPvRmT1_PNSt15iterator_traitsIS12_E10value_typeET2_T3_PNS13_IS18_E10value_typeET4_jRbjT5_S1E_jjP12ihipStream_tbEUljE_ZNSN_ISO_Lb0ESQ_SR_ST_SU_SY_EESZ_S10_S11_S12_S16_S17_S18_S1B_S1C_jS1D_jS1E_S1E_jjS1G_bEUljE0_EEESZ_S10_S11_S18_S1C_S1E_T6_T7_T9_mT8_S1G_bDpT10_ENKUlT_T0_E_clISt17integral_constantIbLb0EES1U_EEDaS1P_S1Q_EUlS1P_E_NS1_11comp_targetILNS1_3genE2ELNS1_11target_archE906ELNS1_3gpuE6ELNS1_3repE0EEENS1_30default_config_static_selectorELNS0_4arch9wavefront6targetE0EEEvS12_.has_recursion, 0
	.set _ZN7rocprim17ROCPRIM_400000_NS6detail17trampoline_kernelINS0_13select_configILj256ELj13ELNS0_17block_load_methodE3ELS4_3ELS4_3ELNS0_20block_scan_algorithmE0ELj4294967295EEENS1_25partition_config_selectorILNS1_17partition_subalgoE4EjNS0_10empty_typeEbEEZZNS1_14partition_implILS8_4ELb0ES6_15HIP_vector_typeIjLj2EENS0_17counting_iteratorIjlEEPS9_SG_NS0_5tupleIJPjSI_NS0_16reverse_iteratorISI_EEEEENSH_IJSG_SG_SG_EEES9_SI_JZNS1_25segmented_radix_sort_implINS0_14default_configELb0EPKbPbPKlPlN2at6native12_GLOBAL__N_18offset_tEEE10hipError_tPvRmT1_PNSt15iterator_traitsIS12_E10value_typeET2_T3_PNS13_IS18_E10value_typeET4_jRbjT5_S1E_jjP12ihipStream_tbEUljE_ZNSN_ISO_Lb0ESQ_SR_ST_SU_SY_EESZ_S10_S11_S12_S16_S17_S18_S1B_S1C_jS1D_jS1E_S1E_jjS1G_bEUljE0_EEESZ_S10_S11_S18_S1C_S1E_T6_T7_T9_mT8_S1G_bDpT10_ENKUlT_T0_E_clISt17integral_constantIbLb0EES1U_EEDaS1P_S1Q_EUlS1P_E_NS1_11comp_targetILNS1_3genE2ELNS1_11target_archE906ELNS1_3gpuE6ELNS1_3repE0EEENS1_30default_config_static_selectorELNS0_4arch9wavefront6targetE0EEEvS12_.has_indirect_call, 0
	.section	.AMDGPU.csdata,"",@progbits
; Kernel info:
; codeLenInByte = 0
; TotalNumSgprs: 0
; NumVgprs: 0
; ScratchSize: 0
; MemoryBound: 0
; FloatMode: 240
; IeeeMode: 1
; LDSByteSize: 0 bytes/workgroup (compile time only)
; SGPRBlocks: 0
; VGPRBlocks: 0
; NumSGPRsForWavesPerEU: 1
; NumVGPRsForWavesPerEU: 1
; Occupancy: 16
; WaveLimiterHint : 0
; COMPUTE_PGM_RSRC2:SCRATCH_EN: 0
; COMPUTE_PGM_RSRC2:USER_SGPR: 2
; COMPUTE_PGM_RSRC2:TRAP_HANDLER: 0
; COMPUTE_PGM_RSRC2:TGID_X_EN: 1
; COMPUTE_PGM_RSRC2:TGID_Y_EN: 0
; COMPUTE_PGM_RSRC2:TGID_Z_EN: 0
; COMPUTE_PGM_RSRC2:TIDIG_COMP_CNT: 0
	.section	.text._ZN7rocprim17ROCPRIM_400000_NS6detail17trampoline_kernelINS0_13select_configILj256ELj13ELNS0_17block_load_methodE3ELS4_3ELS4_3ELNS0_20block_scan_algorithmE0ELj4294967295EEENS1_25partition_config_selectorILNS1_17partition_subalgoE4EjNS0_10empty_typeEbEEZZNS1_14partition_implILS8_4ELb0ES6_15HIP_vector_typeIjLj2EENS0_17counting_iteratorIjlEEPS9_SG_NS0_5tupleIJPjSI_NS0_16reverse_iteratorISI_EEEEENSH_IJSG_SG_SG_EEES9_SI_JZNS1_25segmented_radix_sort_implINS0_14default_configELb0EPKbPbPKlPlN2at6native12_GLOBAL__N_18offset_tEEE10hipError_tPvRmT1_PNSt15iterator_traitsIS12_E10value_typeET2_T3_PNS13_IS18_E10value_typeET4_jRbjT5_S1E_jjP12ihipStream_tbEUljE_ZNSN_ISO_Lb0ESQ_SR_ST_SU_SY_EESZ_S10_S11_S12_S16_S17_S18_S1B_S1C_jS1D_jS1E_S1E_jjS1G_bEUljE0_EEESZ_S10_S11_S18_S1C_S1E_T6_T7_T9_mT8_S1G_bDpT10_ENKUlT_T0_E_clISt17integral_constantIbLb0EES1U_EEDaS1P_S1Q_EUlS1P_E_NS1_11comp_targetILNS1_3genE10ELNS1_11target_archE1200ELNS1_3gpuE4ELNS1_3repE0EEENS1_30default_config_static_selectorELNS0_4arch9wavefront6targetE0EEEvS12_,"axG",@progbits,_ZN7rocprim17ROCPRIM_400000_NS6detail17trampoline_kernelINS0_13select_configILj256ELj13ELNS0_17block_load_methodE3ELS4_3ELS4_3ELNS0_20block_scan_algorithmE0ELj4294967295EEENS1_25partition_config_selectorILNS1_17partition_subalgoE4EjNS0_10empty_typeEbEEZZNS1_14partition_implILS8_4ELb0ES6_15HIP_vector_typeIjLj2EENS0_17counting_iteratorIjlEEPS9_SG_NS0_5tupleIJPjSI_NS0_16reverse_iteratorISI_EEEEENSH_IJSG_SG_SG_EEES9_SI_JZNS1_25segmented_radix_sort_implINS0_14default_configELb0EPKbPbPKlPlN2at6native12_GLOBAL__N_18offset_tEEE10hipError_tPvRmT1_PNSt15iterator_traitsIS12_E10value_typeET2_T3_PNS13_IS18_E10value_typeET4_jRbjT5_S1E_jjP12ihipStream_tbEUljE_ZNSN_ISO_Lb0ESQ_SR_ST_SU_SY_EESZ_S10_S11_S12_S16_S17_S18_S1B_S1C_jS1D_jS1E_S1E_jjS1G_bEUljE0_EEESZ_S10_S11_S18_S1C_S1E_T6_T7_T9_mT8_S1G_bDpT10_ENKUlT_T0_E_clISt17integral_constantIbLb0EES1U_EEDaS1P_S1Q_EUlS1P_E_NS1_11comp_targetILNS1_3genE10ELNS1_11target_archE1200ELNS1_3gpuE4ELNS1_3repE0EEENS1_30default_config_static_selectorELNS0_4arch9wavefront6targetE0EEEvS12_,comdat
	.globl	_ZN7rocprim17ROCPRIM_400000_NS6detail17trampoline_kernelINS0_13select_configILj256ELj13ELNS0_17block_load_methodE3ELS4_3ELS4_3ELNS0_20block_scan_algorithmE0ELj4294967295EEENS1_25partition_config_selectorILNS1_17partition_subalgoE4EjNS0_10empty_typeEbEEZZNS1_14partition_implILS8_4ELb0ES6_15HIP_vector_typeIjLj2EENS0_17counting_iteratorIjlEEPS9_SG_NS0_5tupleIJPjSI_NS0_16reverse_iteratorISI_EEEEENSH_IJSG_SG_SG_EEES9_SI_JZNS1_25segmented_radix_sort_implINS0_14default_configELb0EPKbPbPKlPlN2at6native12_GLOBAL__N_18offset_tEEE10hipError_tPvRmT1_PNSt15iterator_traitsIS12_E10value_typeET2_T3_PNS13_IS18_E10value_typeET4_jRbjT5_S1E_jjP12ihipStream_tbEUljE_ZNSN_ISO_Lb0ESQ_SR_ST_SU_SY_EESZ_S10_S11_S12_S16_S17_S18_S1B_S1C_jS1D_jS1E_S1E_jjS1G_bEUljE0_EEESZ_S10_S11_S18_S1C_S1E_T6_T7_T9_mT8_S1G_bDpT10_ENKUlT_T0_E_clISt17integral_constantIbLb0EES1U_EEDaS1P_S1Q_EUlS1P_E_NS1_11comp_targetILNS1_3genE10ELNS1_11target_archE1200ELNS1_3gpuE4ELNS1_3repE0EEENS1_30default_config_static_selectorELNS0_4arch9wavefront6targetE0EEEvS12_ ; -- Begin function _ZN7rocprim17ROCPRIM_400000_NS6detail17trampoline_kernelINS0_13select_configILj256ELj13ELNS0_17block_load_methodE3ELS4_3ELS4_3ELNS0_20block_scan_algorithmE0ELj4294967295EEENS1_25partition_config_selectorILNS1_17partition_subalgoE4EjNS0_10empty_typeEbEEZZNS1_14partition_implILS8_4ELb0ES6_15HIP_vector_typeIjLj2EENS0_17counting_iteratorIjlEEPS9_SG_NS0_5tupleIJPjSI_NS0_16reverse_iteratorISI_EEEEENSH_IJSG_SG_SG_EEES9_SI_JZNS1_25segmented_radix_sort_implINS0_14default_configELb0EPKbPbPKlPlN2at6native12_GLOBAL__N_18offset_tEEE10hipError_tPvRmT1_PNSt15iterator_traitsIS12_E10value_typeET2_T3_PNS13_IS18_E10value_typeET4_jRbjT5_S1E_jjP12ihipStream_tbEUljE_ZNSN_ISO_Lb0ESQ_SR_ST_SU_SY_EESZ_S10_S11_S12_S16_S17_S18_S1B_S1C_jS1D_jS1E_S1E_jjS1G_bEUljE0_EEESZ_S10_S11_S18_S1C_S1E_T6_T7_T9_mT8_S1G_bDpT10_ENKUlT_T0_E_clISt17integral_constantIbLb0EES1U_EEDaS1P_S1Q_EUlS1P_E_NS1_11comp_targetILNS1_3genE10ELNS1_11target_archE1200ELNS1_3gpuE4ELNS1_3repE0EEENS1_30default_config_static_selectorELNS0_4arch9wavefront6targetE0EEEvS12_
	.p2align	8
	.type	_ZN7rocprim17ROCPRIM_400000_NS6detail17trampoline_kernelINS0_13select_configILj256ELj13ELNS0_17block_load_methodE3ELS4_3ELS4_3ELNS0_20block_scan_algorithmE0ELj4294967295EEENS1_25partition_config_selectorILNS1_17partition_subalgoE4EjNS0_10empty_typeEbEEZZNS1_14partition_implILS8_4ELb0ES6_15HIP_vector_typeIjLj2EENS0_17counting_iteratorIjlEEPS9_SG_NS0_5tupleIJPjSI_NS0_16reverse_iteratorISI_EEEEENSH_IJSG_SG_SG_EEES9_SI_JZNS1_25segmented_radix_sort_implINS0_14default_configELb0EPKbPbPKlPlN2at6native12_GLOBAL__N_18offset_tEEE10hipError_tPvRmT1_PNSt15iterator_traitsIS12_E10value_typeET2_T3_PNS13_IS18_E10value_typeET4_jRbjT5_S1E_jjP12ihipStream_tbEUljE_ZNSN_ISO_Lb0ESQ_SR_ST_SU_SY_EESZ_S10_S11_S12_S16_S17_S18_S1B_S1C_jS1D_jS1E_S1E_jjS1G_bEUljE0_EEESZ_S10_S11_S18_S1C_S1E_T6_T7_T9_mT8_S1G_bDpT10_ENKUlT_T0_E_clISt17integral_constantIbLb0EES1U_EEDaS1P_S1Q_EUlS1P_E_NS1_11comp_targetILNS1_3genE10ELNS1_11target_archE1200ELNS1_3gpuE4ELNS1_3repE0EEENS1_30default_config_static_selectorELNS0_4arch9wavefront6targetE0EEEvS12_,@function
_ZN7rocprim17ROCPRIM_400000_NS6detail17trampoline_kernelINS0_13select_configILj256ELj13ELNS0_17block_load_methodE3ELS4_3ELS4_3ELNS0_20block_scan_algorithmE0ELj4294967295EEENS1_25partition_config_selectorILNS1_17partition_subalgoE4EjNS0_10empty_typeEbEEZZNS1_14partition_implILS8_4ELb0ES6_15HIP_vector_typeIjLj2EENS0_17counting_iteratorIjlEEPS9_SG_NS0_5tupleIJPjSI_NS0_16reverse_iteratorISI_EEEEENSH_IJSG_SG_SG_EEES9_SI_JZNS1_25segmented_radix_sort_implINS0_14default_configELb0EPKbPbPKlPlN2at6native12_GLOBAL__N_18offset_tEEE10hipError_tPvRmT1_PNSt15iterator_traitsIS12_E10value_typeET2_T3_PNS13_IS18_E10value_typeET4_jRbjT5_S1E_jjP12ihipStream_tbEUljE_ZNSN_ISO_Lb0ESQ_SR_ST_SU_SY_EESZ_S10_S11_S12_S16_S17_S18_S1B_S1C_jS1D_jS1E_S1E_jjS1G_bEUljE0_EEESZ_S10_S11_S18_S1C_S1E_T6_T7_T9_mT8_S1G_bDpT10_ENKUlT_T0_E_clISt17integral_constantIbLb0EES1U_EEDaS1P_S1Q_EUlS1P_E_NS1_11comp_targetILNS1_3genE10ELNS1_11target_archE1200ELNS1_3gpuE4ELNS1_3repE0EEENS1_30default_config_static_selectorELNS0_4arch9wavefront6targetE0EEEvS12_: ; @_ZN7rocprim17ROCPRIM_400000_NS6detail17trampoline_kernelINS0_13select_configILj256ELj13ELNS0_17block_load_methodE3ELS4_3ELS4_3ELNS0_20block_scan_algorithmE0ELj4294967295EEENS1_25partition_config_selectorILNS1_17partition_subalgoE4EjNS0_10empty_typeEbEEZZNS1_14partition_implILS8_4ELb0ES6_15HIP_vector_typeIjLj2EENS0_17counting_iteratorIjlEEPS9_SG_NS0_5tupleIJPjSI_NS0_16reverse_iteratorISI_EEEEENSH_IJSG_SG_SG_EEES9_SI_JZNS1_25segmented_radix_sort_implINS0_14default_configELb0EPKbPbPKlPlN2at6native12_GLOBAL__N_18offset_tEEE10hipError_tPvRmT1_PNSt15iterator_traitsIS12_E10value_typeET2_T3_PNS13_IS18_E10value_typeET4_jRbjT5_S1E_jjP12ihipStream_tbEUljE_ZNSN_ISO_Lb0ESQ_SR_ST_SU_SY_EESZ_S10_S11_S12_S16_S17_S18_S1B_S1C_jS1D_jS1E_S1E_jjS1G_bEUljE0_EEESZ_S10_S11_S18_S1C_S1E_T6_T7_T9_mT8_S1G_bDpT10_ENKUlT_T0_E_clISt17integral_constantIbLb0EES1U_EEDaS1P_S1Q_EUlS1P_E_NS1_11comp_targetILNS1_3genE10ELNS1_11target_archE1200ELNS1_3gpuE4ELNS1_3repE0EEENS1_30default_config_static_selectorELNS0_4arch9wavefront6targetE0EEEvS12_
; %bb.0:
	s_clause 0x6
	s_load_b32 s6, s[0:1], 0x80
	s_load_b128 s[24:27], s[0:1], 0x58
	s_load_b64 s[34:35], s[0:1], 0x10
	s_load_b64 s[2:3], s[0:1], 0x68
	s_load_b32 s7, s[0:1], 0x8
	s_load_b64 s[42:43], s[0:1], 0xa8
	s_load_b256 s[16:23], s[0:1], 0x88
	s_mov_b32 s5, 0
	s_mul_i32 s40, ttmp9, 0xd00
	s_wait_kmcnt 0x0
	s_mul_i32 s4, s6, 0xd00
	s_load_b128 s[28:31], s[26:27], 0x0
	s_add_co_i32 s8, s4, s34
	s_add_co_i32 s6, s6, -1
	s_sub_co_i32 s33, s2, s8
	s_add_nc_u64 s[4:5], s[34:35], s[4:5]
	s_addk_co_i32 s33, 0xd00
	s_cmp_eq_u32 ttmp9, s6
	v_cmp_gt_u64_e64 s2, s[2:3], s[4:5]
	s_cselect_b32 s15, -1, 0
	s_cmp_lg_u32 ttmp9, s6
	s_mov_b32 s5, -1
	s_cselect_b32 s3, -1, 0
	s_add_co_i32 s4, s7, s40
	s_wait_alu 0xfffe
	s_or_b32 s3, s3, s2
	s_add_co_i32 s4, s4, s34
	s_wait_alu 0xfffe
	s_and_b32 vcc_lo, exec_lo, s3
	v_add_nc_u32_e32 v1, s4, v0
	s_cbranch_vccz .LBB1576_2
; %bb.1:
	s_delay_alu instid0(VALU_DEP_1)
	v_add_nc_u32_e32 v2, 0x100, v1
	v_lshlrev_b32_e32 v10, 2, v0
	v_add_nc_u32_e32 v3, 0x200, v1
	v_add_nc_u32_e32 v4, 0x300, v1
	;; [unrolled: 1-line block ×11, first 2 shown]
	ds_store_2addr_stride64_b32 v10, v1, v2 offset1:4
	ds_store_2addr_stride64_b32 v10, v3, v4 offset0:8 offset1:12
	ds_store_2addr_stride64_b32 v10, v5, v6 offset0:16 offset1:20
	;; [unrolled: 1-line block ×5, first 2 shown]
	ds_store_b32 v10, v14 offset:12288
	s_wait_dscnt 0x0
	s_barrier_signal -1
	s_mov_b32 s5, 0
	s_barrier_wait -1
.LBB1576_2:
	v_cmp_gt_u32_e64 s2, s33, v0
	v_or_b32_e32 v38, 0x100, v0
	v_or_b32_e32 v37, 0x200, v0
	;; [unrolled: 1-line block ×12, first 2 shown]
	s_wait_alu 0xfffe
	s_and_not1_b32 vcc_lo, exec_lo, s5
	s_cbranch_vccnz .LBB1576_4
; %bb.3:
	v_cmp_gt_u32_e32 vcc_lo, s33, v38
	v_add_nc_u32_e32 v3, s4, v37
	v_add_nc_u32_e32 v2, s4, v38
	v_cndmask_b32_e64 v1, 0, v1, s2
	v_lshlrev_b32_e32 v14, 2, v0
	s_delay_alu instid0(VALU_DEP_3)
	v_cndmask_b32_e32 v2, 0, v2, vcc_lo
	v_cmp_gt_u32_e32 vcc_lo, s33, v37
	s_wait_alu 0xfffd
	v_cndmask_b32_e32 v3, 0, v3, vcc_lo
	v_cmp_gt_u32_e32 vcc_lo, s33, v36
	v_add_nc_u32_e32 v5, s4, v35
	v_add_nc_u32_e32 v4, s4, v36
	s_wait_alu 0xfffd
	s_delay_alu instid0(VALU_DEP_1)
	v_cndmask_b32_e32 v4, 0, v4, vcc_lo
	v_cmp_gt_u32_e32 vcc_lo, s33, v35
	s_wait_alu 0xfffd
	v_cndmask_b32_e32 v5, 0, v5, vcc_lo
	v_cmp_gt_u32_e32 vcc_lo, s33, v34
	v_add_nc_u32_e32 v7, s4, v33
	v_add_nc_u32_e32 v6, s4, v34
	s_wait_alu 0xfffd
	s_delay_alu instid0(VALU_DEP_1)
	v_cndmask_b32_e32 v6, 0, v6, vcc_lo
	v_cmp_gt_u32_e32 vcc_lo, s33, v33
	s_wait_alu 0xfffd
	v_cndmask_b32_e32 v7, 0, v7, vcc_lo
	v_cmp_gt_u32_e32 vcc_lo, s33, v32
	v_add_nc_u32_e32 v9, s4, v31
	v_add_nc_u32_e32 v8, s4, v32
	s_wait_alu 0xfffd
	s_delay_alu instid0(VALU_DEP_1)
	v_cndmask_b32_e32 v8, 0, v8, vcc_lo
	v_cmp_gt_u32_e32 vcc_lo, s33, v31
	s_wait_alu 0xfffd
	v_cndmask_b32_e32 v9, 0, v9, vcc_lo
	v_cmp_gt_u32_e32 vcc_lo, s33, v30
	v_add_nc_u32_e32 v11, s4, v29
	v_add_nc_u32_e32 v10, s4, v30
	s_wait_alu 0xfffd
	s_delay_alu instid0(VALU_DEP_1)
	v_cndmask_b32_e32 v10, 0, v10, vcc_lo
	v_cmp_gt_u32_e32 vcc_lo, s33, v29
	s_wait_alu 0xfffd
	v_cndmask_b32_e32 v11, 0, v11, vcc_lo
	v_cmp_gt_u32_e32 vcc_lo, s33, v28
	v_add_nc_u32_e32 v13, s4, v27
	v_add_nc_u32_e32 v12, s4, v28
	s_wait_alu 0xfffd
	s_delay_alu instid0(VALU_DEP_1)
	v_cndmask_b32_e32 v12, 0, v12, vcc_lo
	v_cmp_gt_u32_e32 vcc_lo, s33, v27
	s_wait_alu 0xfffd
	v_cndmask_b32_e32 v13, 0, v13, vcc_lo
	ds_store_2addr_stride64_b32 v14, v1, v2 offset1:4
	ds_store_2addr_stride64_b32 v14, v3, v4 offset0:8 offset1:12
	ds_store_2addr_stride64_b32 v14, v5, v6 offset0:16 offset1:20
	;; [unrolled: 1-line block ×5, first 2 shown]
	ds_store_b32 v14, v13 offset:12288
	s_wait_dscnt 0x0
	s_barrier_signal -1
	s_barrier_wait -1
.LBB1576_4:
	v_mul_u32_u24_e32 v41, 13, v0
	s_clause 0x1
	s_load_b128 s[36:39], s[0:1], 0x28
	s_load_b64 s[26:27], s[0:1], 0x38
	global_inv scope:SCOPE_SE
	v_cndmask_b32_e64 v39, 0, 1, s3
	s_and_not1_b32 vcc_lo, exec_lo, s3
	v_lshlrev_b32_e32 v1, 2, v41
	ds_load_2addr_b32 v[19:20], v1 offset1:1
	ds_load_2addr_b32 v[17:18], v1 offset0:2 offset1:3
	ds_load_2addr_b32 v[15:16], v1 offset0:4 offset1:5
	;; [unrolled: 1-line block ×5, first 2 shown]
	ds_load_b32 v40, v1 offset:48
	s_wait_loadcnt_dscnt 0x0
	s_barrier_signal -1
	s_barrier_wait -1
	global_inv scope:SCOPE_SE
	s_wait_alu 0xfffe
	s_cbranch_vccnz .LBB1576_32
; %bb.5:
	v_add_nc_u32_e32 v1, s17, v19
	v_add_nc_u32_e32 v2, s19, v19
	s_mov_b32 s44, 0
	s_mov_b32 s41, 0
	s_mov_b32 s3, exec_lo
	v_mul_lo_u32 v1, v1, s16
	v_mul_lo_u32 v2, v2, s18
	s_delay_alu instid0(VALU_DEP_1) | instskip(NEXT) | instid1(VALU_DEP_1)
	v_sub_nc_u32_e32 v1, v1, v2
	v_cmp_lt_u32_e32 vcc_lo, s20, v1
	v_cmpx_ge_u32_e64 s20, v1
	s_cbranch_execz .LBB1576_7
; %bb.6:
	v_add_nc_u32_e32 v1, s22, v19
	v_add_nc_u32_e32 v2, s42, v19
	s_delay_alu instid0(VALU_DEP_2) | instskip(NEXT) | instid1(VALU_DEP_2)
	v_mul_lo_u32 v1, v1, s21
	v_mul_lo_u32 v2, v2, s23
	s_delay_alu instid0(VALU_DEP_1) | instskip(NEXT) | instid1(VALU_DEP_1)
	v_sub_nc_u32_e32 v1, v1, v2
	v_cmp_lt_u32_e64 s2, s43, v1
	s_and_b32 s41, s2, exec_lo
.LBB1576_7:
	s_wait_alu 0xfffe
	s_or_b32 exec_lo, exec_lo, s3
	v_add_nc_u32_e32 v1, s17, v20
	v_add_nc_u32_e32 v2, s19, v20
	s_mov_b32 s4, exec_lo
	s_delay_alu instid0(VALU_DEP_2) | instskip(NEXT) | instid1(VALU_DEP_2)
	v_mul_lo_u32 v1, v1, s16
	v_mul_lo_u32 v2, v2, s18
	s_delay_alu instid0(VALU_DEP_1) | instskip(NEXT) | instid1(VALU_DEP_1)
	v_sub_nc_u32_e32 v1, v1, v2
	v_cmp_lt_u32_e64 s2, s20, v1
	v_cmpx_ge_u32_e64 s20, v1
	s_cbranch_execz .LBB1576_9
; %bb.8:
	v_add_nc_u32_e32 v1, s22, v20
	v_add_nc_u32_e32 v2, s42, v20
	s_delay_alu instid0(VALU_DEP_2) | instskip(NEXT) | instid1(VALU_DEP_2)
	v_mul_lo_u32 v1, v1, s21
	v_mul_lo_u32 v2, v2, s23
	s_delay_alu instid0(VALU_DEP_1) | instskip(NEXT) | instid1(VALU_DEP_1)
	v_sub_nc_u32_e32 v1, v1, v2
	v_cmp_lt_u32_e64 s3, s43, v1
	s_and_b32 s44, s3, exec_lo
.LBB1576_9:
	s_wait_alu 0xfffe
	s_or_b32 exec_lo, exec_lo, s4
	v_add_nc_u32_e32 v1, s17, v17
	v_add_nc_u32_e32 v2, s19, v17
	s_mov_b32 s46, 0
	s_mov_b32 s45, 0
	s_mov_b32 s5, exec_lo
	v_mul_lo_u32 v1, v1, s16
	v_mul_lo_u32 v2, v2, s18
	s_delay_alu instid0(VALU_DEP_1) | instskip(NEXT) | instid1(VALU_DEP_1)
	v_sub_nc_u32_e32 v1, v1, v2
	v_cmp_lt_u32_e64 s3, s20, v1
	v_cmpx_ge_u32_e64 s20, v1
	s_cbranch_execz .LBB1576_11
; %bb.10:
	v_add_nc_u32_e32 v1, s22, v17
	v_add_nc_u32_e32 v2, s42, v17
	s_delay_alu instid0(VALU_DEP_2) | instskip(NEXT) | instid1(VALU_DEP_2)
	v_mul_lo_u32 v1, v1, s21
	v_mul_lo_u32 v2, v2, s23
	s_delay_alu instid0(VALU_DEP_1) | instskip(NEXT) | instid1(VALU_DEP_1)
	v_sub_nc_u32_e32 v1, v1, v2
	v_cmp_lt_u32_e64 s4, s43, v1
	s_and_b32 s45, s4, exec_lo
.LBB1576_11:
	s_wait_alu 0xfffe
	s_or_b32 exec_lo, exec_lo, s5
	v_add_nc_u32_e32 v1, s17, v18
	v_add_nc_u32_e32 v2, s19, v18
	s_mov_b32 s6, exec_lo
	s_delay_alu instid0(VALU_DEP_2) | instskip(NEXT) | instid1(VALU_DEP_2)
	v_mul_lo_u32 v1, v1, s16
	v_mul_lo_u32 v2, v2, s18
	s_delay_alu instid0(VALU_DEP_1) | instskip(NEXT) | instid1(VALU_DEP_1)
	v_sub_nc_u32_e32 v1, v1, v2
	v_cmp_lt_u32_e64 s4, s20, v1
	v_cmpx_ge_u32_e64 s20, v1
	s_cbranch_execz .LBB1576_13
; %bb.12:
	v_add_nc_u32_e32 v1, s22, v18
	v_add_nc_u32_e32 v2, s42, v18
	s_delay_alu instid0(VALU_DEP_2) | instskip(NEXT) | instid1(VALU_DEP_2)
	v_mul_lo_u32 v1, v1, s21
	v_mul_lo_u32 v2, v2, s23
	s_delay_alu instid0(VALU_DEP_1) | instskip(NEXT) | instid1(VALU_DEP_1)
	v_sub_nc_u32_e32 v1, v1, v2
	v_cmp_lt_u32_e64 s5, s43, v1
	s_and_b32 s46, s5, exec_lo
.LBB1576_13:
	s_or_b32 exec_lo, exec_lo, s6
	v_add_nc_u32_e32 v1, s17, v15
	v_add_nc_u32_e32 v2, s19, v15
	s_mov_b32 s48, 0
	s_mov_b32 s47, 0
	s_mov_b32 s7, exec_lo
	v_mul_lo_u32 v1, v1, s16
	v_mul_lo_u32 v2, v2, s18
	s_delay_alu instid0(VALU_DEP_1) | instskip(NEXT) | instid1(VALU_DEP_1)
	v_sub_nc_u32_e32 v1, v1, v2
	v_cmp_lt_u32_e64 s5, s20, v1
	v_cmpx_ge_u32_e64 s20, v1
	s_cbranch_execz .LBB1576_15
; %bb.14:
	v_add_nc_u32_e32 v1, s22, v15
	v_add_nc_u32_e32 v2, s42, v15
	s_delay_alu instid0(VALU_DEP_2) | instskip(NEXT) | instid1(VALU_DEP_2)
	v_mul_lo_u32 v1, v1, s21
	v_mul_lo_u32 v2, v2, s23
	s_delay_alu instid0(VALU_DEP_1) | instskip(NEXT) | instid1(VALU_DEP_1)
	v_sub_nc_u32_e32 v1, v1, v2
	v_cmp_lt_u32_e64 s6, s43, v1
	s_and_b32 s47, s6, exec_lo
.LBB1576_15:
	s_or_b32 exec_lo, exec_lo, s7
	v_add_nc_u32_e32 v1, s17, v16
	v_add_nc_u32_e32 v2, s19, v16
	s_mov_b32 s8, exec_lo
	s_delay_alu instid0(VALU_DEP_2) | instskip(NEXT) | instid1(VALU_DEP_2)
	v_mul_lo_u32 v1, v1, s16
	v_mul_lo_u32 v2, v2, s18
	s_delay_alu instid0(VALU_DEP_1) | instskip(NEXT) | instid1(VALU_DEP_1)
	v_sub_nc_u32_e32 v1, v1, v2
	v_cmp_lt_u32_e64 s6, s20, v1
	v_cmpx_ge_u32_e64 s20, v1
	s_cbranch_execz .LBB1576_17
; %bb.16:
	v_add_nc_u32_e32 v1, s22, v16
	v_add_nc_u32_e32 v2, s42, v16
	s_delay_alu instid0(VALU_DEP_2) | instskip(NEXT) | instid1(VALU_DEP_2)
	v_mul_lo_u32 v1, v1, s21
	v_mul_lo_u32 v2, v2, s23
	s_delay_alu instid0(VALU_DEP_1) | instskip(NEXT) | instid1(VALU_DEP_1)
	v_sub_nc_u32_e32 v1, v1, v2
	v_cmp_lt_u32_e64 s7, s43, v1
	s_and_b32 s48, s7, exec_lo
.LBB1576_17:
	s_or_b32 exec_lo, exec_lo, s8
	v_add_nc_u32_e32 v1, s17, v13
	v_add_nc_u32_e32 v2, s19, v13
	s_mov_b32 s50, 0
	s_mov_b32 s49, 0
	s_mov_b32 s9, exec_lo
	v_mul_lo_u32 v1, v1, s16
	v_mul_lo_u32 v2, v2, s18
	s_delay_alu instid0(VALU_DEP_1) | instskip(NEXT) | instid1(VALU_DEP_1)
	v_sub_nc_u32_e32 v1, v1, v2
	v_cmp_lt_u32_e64 s7, s20, v1
	v_cmpx_ge_u32_e64 s20, v1
	s_cbranch_execz .LBB1576_19
; %bb.18:
	v_add_nc_u32_e32 v1, s22, v13
	v_add_nc_u32_e32 v2, s42, v13
	s_delay_alu instid0(VALU_DEP_2) | instskip(NEXT) | instid1(VALU_DEP_2)
	v_mul_lo_u32 v1, v1, s21
	v_mul_lo_u32 v2, v2, s23
	s_delay_alu instid0(VALU_DEP_1) | instskip(NEXT) | instid1(VALU_DEP_1)
	v_sub_nc_u32_e32 v1, v1, v2
	v_cmp_lt_u32_e64 s8, s43, v1
	s_and_b32 s49, s8, exec_lo
.LBB1576_19:
	;; [unrolled: 47-line block ×5, first 2 shown]
	s_or_b32 exec_lo, exec_lo, s57
	v_cndmask_b32_e64 v2, 0, 1, s2
	s_wait_alu 0xf1ff
	v_cndmask_b32_e64 v4, 0, 1, s4
	s_wait_alu 0xfffd
	v_cndmask_b32_e64 v1, 0, 1, vcc_lo
	v_cndmask_b32_e64 v3, 0, 1, s3
	v_cndmask_b32_e64 v6, 0, 1, s6
	v_lshlrev_b16 v2, 8, v2
	v_lshlrev_b16 v4, 8, v4
	v_cndmask_b32_e64 v8, 0, 1, s8
	v_cndmask_b32_e64 v22, 0, 1, s10
	;; [unrolled: 1-line block ×3, first 2 shown]
	v_or_b32_e32 v1, v1, v2
	v_or_b32_e32 v2, v3, v4
	v_cndmask_b32_e64 v51, 0, 1, s41
	v_cndmask_b32_e64 v5, 0, 1, s5
	v_cndmask_b32_e64 v7, 0, 1, s7
	v_and_b32_e32 v1, 0xffff, v1
	v_lshlrev_b32_e32 v2, 16, v2
	v_cndmask_b32_e64 v21, 0, 1, s9
	v_cndmask_b32_e64 v23, 0, 1, s11
	;; [unrolled: 1-line block ×8, first 2 shown]
	v_or_b32_e32 v42, v1, v2
	v_lshlrev_b16 v1, 8, v6
	v_lshlrev_b16 v2, 8, v8
	;; [unrolled: 1-line block ×5, first 2 shown]
	v_cndmask_b32_e64 v26, 0, 1, s53
	v_cndmask_b32_e64 v44, 0, 1, s50
	;; [unrolled: 1-line block ×5, first 2 shown]
	v_or_b32_e32 v1, v5, v1
	v_or_b32_e32 v2, v7, v2
	;; [unrolled: 1-line block ×5, first 2 shown]
	v_lshlrev_b16 v4, 8, v4
	v_lshlrev_b16 v8, 8, v49
	;; [unrolled: 1-line block ×5, first 2 shown]
	v_or_b32_e32 v4, v50, v4
	v_or_b32_e32 v3, v3, v8
	;; [unrolled: 1-line block ×5, first 2 shown]
	v_and_b32_e32 v1, 0xffff, v1
	v_lshlrev_b32_e32 v2, 16, v2
	v_and_b32_e32 v5, 0xffff, v5
	v_lshlrev_b32_e32 v6, 16, v6
	;; [unrolled: 2-line block ×5, first 2 shown]
	v_cndmask_b32_e64 v45, 0, 1, s54
	v_cndmask_b32_e64 v48, 0, 1, s56
	v_or_b32_e32 v44, v1, v2
	v_or_b32_e32 v47, v5, v6
	;; [unrolled: 1-line block ×5, first 2 shown]
	s_load_b64 s[4:5], s[0:1], 0x78
	s_and_b32 vcc_lo, exec_lo, s51
	s_wait_alu 0xfffe
	s_cbranch_vccnz .LBB1576_33
	s_branch .LBB1576_110
.LBB1576_32:
                                        ; implicit-def: $vgpr48
                                        ; implicit-def: $vgpr45
                                        ; implicit-def: $vgpr46
                                        ; implicit-def: $vgpr43
                                        ; implicit-def: $vgpr49
                                        ; implicit-def: $vgpr47
                                        ; implicit-def: $vgpr44
                                        ; implicit-def: $vgpr42
	s_load_b64 s[4:5], s[0:1], 0x78
	s_cbranch_execz .LBB1576_110
.LBB1576_33:
	v_dual_mov_b32 v2, 0 :: v_dual_mov_b32 v1, 0
	s_mov_b32 s1, exec_lo
	v_cmpx_gt_u32_e64 s33, v41
	s_cbranch_execz .LBB1576_37
; %bb.34:
	v_add_nc_u32_e32 v1, s17, v19
	v_add_nc_u32_e32 v2, s19, v19
	s_mov_b32 s3, 0
	s_mov_b32 s2, exec_lo
	s_delay_alu instid0(VALU_DEP_2) | instskip(NEXT) | instid1(VALU_DEP_2)
	v_mul_lo_u32 v1, v1, s16
	v_mul_lo_u32 v2, v2, s18
	s_delay_alu instid0(VALU_DEP_1) | instskip(NEXT) | instid1(VALU_DEP_1)
	v_sub_nc_u32_e32 v1, v1, v2
	v_cmp_lt_u32_e32 vcc_lo, s20, v1
	v_cmpx_ge_u32_e64 s20, v1
	s_cbranch_execz .LBB1576_36
; %bb.35:
	v_add_nc_u32_e32 v1, s22, v19
	v_add_nc_u32_e32 v2, s42, v19
	s_delay_alu instid0(VALU_DEP_2) | instskip(NEXT) | instid1(VALU_DEP_2)
	v_mul_lo_u32 v1, v1, s21
	v_mul_lo_u32 v2, v2, s23
	s_delay_alu instid0(VALU_DEP_1) | instskip(NEXT) | instid1(VALU_DEP_1)
	v_sub_nc_u32_e32 v1, v1, v2
	v_cmp_lt_u32_e64 s0, s43, v1
	s_and_b32 s3, s0, exec_lo
.LBB1576_36:
	s_wait_alu 0xfffe
	s_or_b32 exec_lo, exec_lo, s2
	v_cndmask_b32_e64 v2, 0, 1, s3
	s_wait_alu 0xfffd
	v_cndmask_b32_e64 v1, 0, 1, vcc_lo
.LBB1576_37:
	s_or_b32 exec_lo, exec_lo, s1
	s_delay_alu instid0(VALU_DEP_2) | instskip(SKIP_1) | instid1(VALU_DEP_3)
	v_lshlrev_b16 v2, 8, v2
	v_add_nc_u32_e32 v3, 1, v41
	v_and_b32_e32 v6, 0xff, v1
	v_lshlrev_b16 v1, 8, 0
                                        ; implicit-def: $vgpr5
                                        ; implicit-def: $vgpr8
                                        ; implicit-def: $vgpr4
	s_delay_alu instid0(VALU_DEP_4) | instskip(NEXT) | instid1(VALU_DEP_4)
	v_and_b32_e32 v2, 0xffff, v2
	v_cmp_le_u32_e32 vcc_lo, s33, v3
                                        ; implicit-def: $vgpr3
	s_delay_alu instid0(VALU_DEP_2) | instskip(SKIP_2) | instid1(SALU_CYCLE_1)
	v_lshrrev_b32_e32 v21, 8, v2
	v_and_b32_e32 v7, 0xff, v2
                                        ; implicit-def: $vgpr2
	s_and_saveexec_b32 s0, vcc_lo
	s_xor_b32 s0, exec_lo, s0
	s_cbranch_execz .LBB1576_39
; %bb.38:
	v_lshlrev_b16 v2, 8, v21
	v_and_b32_e32 v4, 0xffff, v1
                                        ; implicit-def: $vgpr21
	v_mov_b32_e32 v5, 0
	s_delay_alu instid0(VALU_DEP_3) | instskip(SKIP_1) | instid1(VALU_DEP_2)
	v_or_b32_e32 v3, v7, v2
	v_mov_b32_e32 v2, 0
                                        ; implicit-def: $vgpr7
	v_and_b32_e32 v8, 0xffff, v3
	v_and_b32_e32 v3, 0xffff, v1
                                        ; implicit-def: $vgpr1
.LBB1576_39:
	s_and_not1_saveexec_b32 s1, s0
	s_cbranch_execz .LBB1576_43
; %bb.40:
	v_add_nc_u32_e32 v2, s17, v20
	v_add_nc_u32_e32 v3, s19, v20
	s_mov_b32 s2, 0
	s_mov_b32 s3, exec_lo
	s_delay_alu instid0(VALU_DEP_2) | instskip(NEXT) | instid1(VALU_DEP_2)
	v_mul_lo_u32 v2, v2, s16
	v_mul_lo_u32 v3, v3, s18
	s_delay_alu instid0(VALU_DEP_1) | instskip(NEXT) | instid1(VALU_DEP_1)
	v_sub_nc_u32_e32 v2, v2, v3
	v_cmp_lt_u32_e32 vcc_lo, s20, v2
	v_cmpx_ge_u32_e64 s20, v2
	s_cbranch_execz .LBB1576_42
; %bb.41:
	v_add_nc_u32_e32 v2, s22, v20
	v_add_nc_u32_e32 v3, s42, v20
	s_delay_alu instid0(VALU_DEP_2) | instskip(NEXT) | instid1(VALU_DEP_2)
	v_mul_lo_u32 v2, v2, s21
	v_mul_lo_u32 v3, v3, s23
	s_delay_alu instid0(VALU_DEP_1) | instskip(NEXT) | instid1(VALU_DEP_1)
	v_sub_nc_u32_e32 v2, v2, v3
	v_cmp_lt_u32_e64 s0, s43, v2
	s_and_b32 s2, s0, exec_lo
.LBB1576_42:
	s_wait_alu 0xfffe
	s_or_b32 exec_lo, exec_lo, s3
	s_wait_alu 0xfffd
	v_cndmask_b32_e64 v2, 0, 1, vcc_lo
	v_lshlrev_b16 v3, 8, v21
	v_dual_mov_b32 v5, 0 :: v_dual_and_b32 v4, 0xffff, v1
	s_delay_alu instid0(VALU_DEP_3) | instskip(NEXT) | instid1(VALU_DEP_3)
	v_lshlrev_b16 v2, 8, v2
	v_or_b32_e32 v3, v7, v3
	v_cndmask_b32_e64 v7, 0, 1, s2
	s_delay_alu instid0(VALU_DEP_3) | instskip(NEXT) | instid1(VALU_DEP_3)
	v_or_b32_e32 v6, v6, v2
	v_dual_mov_b32 v2, 0 :: v_dual_and_b32 v3, 0xffff, v3
	s_delay_alu instid0(VALU_DEP_2) | instskip(NEXT) | instid1(VALU_DEP_2)
	v_and_b32_e32 v6, 0xffff, v6
	v_lshl_or_b32 v8, v7, 16, v3
	v_and_b32_e32 v3, 0xffff, v1
.LBB1576_43:
	s_or_b32 exec_lo, exec_lo, s1
	v_add_nc_u32_e32 v1, 2, v41
	v_and_b32_e32 v21, 0xff, v6
	v_lshrrev_b32_e32 v22, 8, v6
                                        ; implicit-def: $vgpr7
	s_delay_alu instid0(VALU_DEP_3) | instskip(SKIP_1) | instid1(SALU_CYCLE_1)
	v_cmp_le_u32_e32 vcc_lo, s33, v1
                                        ; implicit-def: $vgpr1
	s_and_saveexec_b32 s0, vcc_lo
	s_xor_b32 s0, exec_lo, s0
	s_cbranch_execz .LBB1576_45
; %bb.44:
	v_lshlrev_b16 v1, 8, v22
	v_perm_b32 v4, v4, v4, 0x3060504
                                        ; implicit-def: $vgpr22
	s_delay_alu instid0(VALU_DEP_2) | instskip(SKIP_1) | instid1(VALU_DEP_2)
	v_or_b32_e32 v1, v21, v1
	v_and_b32_e32 v21, 0xff0000, v8
	v_and_b32_e32 v1, 0xffff, v1
	s_delay_alu instid0(VALU_DEP_1) | instskip(NEXT) | instid1(VALU_DEP_3)
	v_and_or_b32 v7, 0xff000000, v6, v1
	v_perm_b32 v1, v8, v21, 0x3020504
                                        ; implicit-def: $vgpr21
                                        ; implicit-def: $vgpr6
                                        ; implicit-def: $vgpr8
.LBB1576_45:
	s_and_not1_saveexec_b32 s1, s0
	s_cbranch_execz .LBB1576_49
; %bb.46:
	v_add_nc_u32_e32 v1, s17, v17
	v_add_nc_u32_e32 v7, s19, v17
	s_mov_b32 s2, 0
	s_mov_b32 s3, exec_lo
	s_delay_alu instid0(VALU_DEP_2) | instskip(NEXT) | instid1(VALU_DEP_2)
	v_mul_lo_u32 v1, v1, s16
	v_mul_lo_u32 v7, v7, s18
	s_delay_alu instid0(VALU_DEP_1) | instskip(NEXT) | instid1(VALU_DEP_1)
	v_sub_nc_u32_e32 v1, v1, v7
	v_cmp_lt_u32_e32 vcc_lo, s20, v1
	v_cmpx_ge_u32_e64 s20, v1
	s_cbranch_execz .LBB1576_48
; %bb.47:
	v_add_nc_u32_e32 v1, s22, v17
	v_add_nc_u32_e32 v7, s42, v17
	s_delay_alu instid0(VALU_DEP_2) | instskip(NEXT) | instid1(VALU_DEP_2)
	v_mul_lo_u32 v1, v1, s21
	v_mul_lo_u32 v7, v7, s23
	s_delay_alu instid0(VALU_DEP_1) | instskip(NEXT) | instid1(VALU_DEP_1)
	v_sub_nc_u32_e32 v1, v1, v7
	v_cmp_lt_u32_e64 s0, s43, v1
	s_and_b32 s2, s0, exec_lo
.LBB1576_48:
	s_wait_alu 0xfffe
	s_or_b32 exec_lo, exec_lo, s3
	v_lshrrev_b32_e32 v6, 24, v6
	v_cndmask_b32_e64 v7, 0, 1, s2
	v_lshrrev_b32_e32 v23, 8, v8
	v_lshrrev_b32_e32 v24, 16, v8
	s_wait_alu 0xfffd
	v_cndmask_b32_e64 v1, 0, 1, vcc_lo
	v_lshlrev_b16 v22, 8, v22
	v_lshlrev_b16 v6, 8, v6
	v_and_b32_e32 v8, 0xff, v8
	v_lshlrev_b16 v23, 8, v23
	v_lshlrev_b16 v7, 8, v7
	v_and_b32_e32 v24, 0xff, v24
	v_or_b32_e32 v21, v21, v22
	v_or_b32_e32 v1, v1, v6
	;; [unrolled: 1-line block ×3, first 2 shown]
	s_delay_alu instid0(VALU_DEP_4) | instskip(NEXT) | instid1(VALU_DEP_4)
	v_or_b32_e32 v7, v24, v7
	v_and_b32_e32 v8, 0xffff, v21
	s_delay_alu instid0(VALU_DEP_4) | instskip(NEXT) | instid1(VALU_DEP_4)
	v_lshlrev_b32_e32 v1, 16, v1
	v_and_b32_e32 v6, 0xffff, v6
	s_delay_alu instid0(VALU_DEP_4) | instskip(NEXT) | instid1(VALU_DEP_3)
	v_lshlrev_b32_e32 v21, 16, v7
	v_or_b32_e32 v7, v8, v1
	s_delay_alu instid0(VALU_DEP_2)
	v_or_b32_e32 v1, v6, v21
.LBB1576_49:
	s_or_b32 exec_lo, exec_lo, s1
	v_add_nc_u32_e32 v6, 3, v41
	v_lshrrev_b32_e32 v8, 24, v5
	v_lshrrev_b32_e32 v21, 16, v5
	;; [unrolled: 1-line block ×3, first 2 shown]
                                        ; implicit-def: $vgpr42
	s_delay_alu instid0(VALU_DEP_4) | instskip(SKIP_1) | instid1(SALU_CYCLE_1)
	v_cmp_le_u32_e32 vcc_lo, s33, v6
                                        ; implicit-def: $vgpr6
	s_and_saveexec_b32 s0, vcc_lo
	s_xor_b32 s0, exec_lo, s0
	s_cbranch_execz .LBB1576_51
; %bb.50:
	v_lshlrev_b16 v6, 8, v8
	v_and_b32_e32 v8, 0xff, v21
	v_lshlrev_b16 v5, 8, v5
	v_perm_b32 v4, v4, v4, 0x3060504
	v_perm_b32 v3, v3, v3, 0x3060504
                                        ; implicit-def: $vgpr21
	s_delay_alu instid0(VALU_DEP_4) | instskip(SKIP_2) | instid1(VALU_DEP_3)
	v_or_b32_e32 v6, v8, v6
	v_and_b32_e32 v8, 0xff0000, v7
	v_and_b32_e32 v5, 0xffff, v5
	v_lshlrev_b32_e32 v6, 16, v6
	s_delay_alu instid0(VALU_DEP_3) | instskip(NEXT) | instid1(VALU_DEP_2)
	v_perm_b32 v42, v7, v8, 0x3020504
                                        ; implicit-def: $vgpr7
                                        ; implicit-def: $vgpr8
	v_or_b32_e32 v6, v5, v6
                                        ; implicit-def: $vgpr5
.LBB1576_51:
	s_and_not1_saveexec_b32 s1, s0
	s_cbranch_execz .LBB1576_55
; %bb.52:
	v_add_nc_u32_e32 v6, s17, v18
	v_add_nc_u32_e32 v22, s19, v18
	s_mov_b32 s2, 0
	s_mov_b32 s3, exec_lo
	s_delay_alu instid0(VALU_DEP_2) | instskip(NEXT) | instid1(VALU_DEP_2)
	v_mul_lo_u32 v6, v6, s16
	v_mul_lo_u32 v22, v22, s18
	s_delay_alu instid0(VALU_DEP_1) | instskip(NEXT) | instid1(VALU_DEP_1)
	v_sub_nc_u32_e32 v6, v6, v22
	v_cmp_lt_u32_e32 vcc_lo, s20, v6
	v_cmpx_ge_u32_e64 s20, v6
	s_cbranch_execz .LBB1576_54
; %bb.53:
	v_add_nc_u32_e32 v6, s22, v18
	v_add_nc_u32_e32 v22, s42, v18
	s_delay_alu instid0(VALU_DEP_2) | instskip(NEXT) | instid1(VALU_DEP_2)
	v_mul_lo_u32 v6, v6, s21
	v_mul_lo_u32 v22, v22, s23
	s_delay_alu instid0(VALU_DEP_1) | instskip(NEXT) | instid1(VALU_DEP_1)
	v_sub_nc_u32_e32 v6, v6, v22
	v_cmp_lt_u32_e64 s0, s43, v6
	s_and_b32 s2, s0, exec_lo
.LBB1576_54:
	s_wait_alu 0xfffe
	s_or_b32 exec_lo, exec_lo, s3
	v_lshrrev_b32_e32 v6, 8, v7
	s_wait_alu 0xfffd
	v_cndmask_b32_e64 v22, 0, 1, vcc_lo
	v_lshrrev_b32_e32 v23, 16, v7
	v_cndmask_b32_e64 v24, 0, 1, s2
	v_and_b32_e32 v7, 0xff, v7
	v_lshlrev_b16 v6, 8, v6
	v_lshlrev_b16 v22, 8, v22
	v_and_b32_e32 v23, 0xff, v23
	v_lshlrev_b16 v8, 8, v8
	v_and_b32_e32 v21, 0xff, v21
	v_lshlrev_b16 v5, 8, v5
	v_or_b32_e32 v6, v7, v6
	v_or_b32_e32 v7, v23, v22
	s_delay_alu instid0(VALU_DEP_4) | instskip(NEXT) | instid1(VALU_DEP_4)
	v_or_b32_e32 v8, v21, v8
	v_or_b32_e32 v5, v24, v5
	s_delay_alu instid0(VALU_DEP_4) | instskip(NEXT) | instid1(VALU_DEP_4)
	v_and_b32_e32 v6, 0xffff, v6
	v_lshlrev_b32_e32 v7, 16, v7
	s_delay_alu instid0(VALU_DEP_4) | instskip(NEXT) | instid1(VALU_DEP_4)
	v_lshlrev_b32_e32 v8, 16, v8
	v_and_b32_e32 v5, 0xffff, v5
	s_delay_alu instid0(VALU_DEP_3) | instskip(NEXT) | instid1(VALU_DEP_2)
	v_or_b32_e32 v42, v6, v7
	v_or_b32_e32 v6, v5, v8
.LBB1576_55:
	s_or_b32 exec_lo, exec_lo, s1
	v_add_nc_u32_e32 v5, 4, v41
	v_lshrrev_b32_e32 v21, 8, v4
	v_lshrrev_b32_e32 v22, 16, v4
	;; [unrolled: 1-line block ×4, first 2 shown]
	v_cmp_le_u32_e32 vcc_lo, s33, v5
	v_lshrrev_b32_e32 v8, 16, v6
                                        ; implicit-def: $vgpr4
                                        ; implicit-def: $vgpr5
	s_and_saveexec_b32 s0, vcc_lo
	s_delay_alu instid0(SALU_CYCLE_1)
	s_xor_b32 s0, exec_lo, s0
	s_cbranch_execz .LBB1576_57
; %bb.56:
	v_lshlrev_b16 v4, 8, v23
	v_and_b32_e32 v5, 0xff, v22
	v_lshlrev_b16 v21, 8, v21
	v_lshlrev_b16 v7, 8, v7
	v_and_b32_e32 v8, 0xff, v8
	v_perm_b32 v3, v3, v3, 0x3060504
	v_or_b32_e32 v4, v5, v4
	v_and_b32_e32 v5, 0xffff, v21
                                        ; implicit-def: $vgpr21
                                        ; implicit-def: $vgpr22
                                        ; implicit-def: $vgpr23
	s_delay_alu instid0(VALU_DEP_4) | instskip(NEXT) | instid1(VALU_DEP_3)
	v_or_b32_e32 v7, v8, v7
	v_lshlrev_b32_e32 v8, 16, v4
	s_delay_alu instid0(VALU_DEP_2) | instskip(NEXT) | instid1(VALU_DEP_2)
	v_perm_b32 v4, v7, v6, 0x5040c00
                                        ; implicit-def: $vgpr6
                                        ; implicit-def: $vgpr7
	v_or_b32_e32 v5, v5, v8
                                        ; implicit-def: $vgpr8
.LBB1576_57:
	s_and_not1_saveexec_b32 s1, s0
	s_cbranch_execz .LBB1576_61
; %bb.58:
	v_add_nc_u32_e32 v4, s17, v15
	v_add_nc_u32_e32 v5, s19, v15
	s_mov_b32 s2, 0
	s_mov_b32 s3, exec_lo
	s_delay_alu instid0(VALU_DEP_2) | instskip(NEXT) | instid1(VALU_DEP_2)
	v_mul_lo_u32 v4, v4, s16
	v_mul_lo_u32 v5, v5, s18
	s_delay_alu instid0(VALU_DEP_1) | instskip(NEXT) | instid1(VALU_DEP_1)
	v_sub_nc_u32_e32 v4, v4, v5
	v_cmp_lt_u32_e32 vcc_lo, s20, v4
	v_cmpx_ge_u32_e64 s20, v4
	s_cbranch_execz .LBB1576_60
; %bb.59:
	v_add_nc_u32_e32 v4, s22, v15
	v_add_nc_u32_e32 v5, s42, v15
	s_delay_alu instid0(VALU_DEP_2) | instskip(NEXT) | instid1(VALU_DEP_2)
	v_mul_lo_u32 v4, v4, s21
	v_mul_lo_u32 v5, v5, s23
	s_delay_alu instid0(VALU_DEP_1) | instskip(NEXT) | instid1(VALU_DEP_1)
	v_sub_nc_u32_e32 v4, v4, v5
	v_cmp_lt_u32_e64 s0, s43, v4
	s_and_b32 s2, s0, exec_lo
.LBB1576_60:
	s_wait_alu 0xfffe
	s_or_b32 exec_lo, exec_lo, s3
	v_cndmask_b32_e64 v4, 0, 1, s2
	s_wait_alu 0xfffd
	v_cndmask_b32_e64 v5, 0, 1, vcc_lo
	v_lshlrev_b16 v23, 8, v23
	v_and_b32_e32 v22, 0xff, v22
	v_lshlrev_b16 v21, 8, v21
	v_lshlrev_b16 v4, 8, v4
	v_and_b32_e32 v6, 0xff, v6
	v_lshlrev_b16 v7, 8, v7
	v_and_b32_e32 v8, 0xff, v8
	v_or_b32_e32 v22, v22, v23
	v_or_b32_e32 v5, v5, v21
	;; [unrolled: 1-line block ×3, first 2 shown]
	s_delay_alu instid0(VALU_DEP_4) | instskip(NEXT) | instid1(VALU_DEP_4)
	v_or_b32_e32 v6, v8, v7
	v_lshlrev_b32_e32 v7, 16, v22
	s_delay_alu instid0(VALU_DEP_4) | instskip(NEXT) | instid1(VALU_DEP_4)
	v_and_b32_e32 v5, 0xffff, v5
	v_and_b32_e32 v4, 0xffff, v4
	s_delay_alu instid0(VALU_DEP_4) | instskip(NEXT) | instid1(VALU_DEP_3)
	v_lshlrev_b32_e32 v6, 16, v6
	v_or_b32_e32 v5, v5, v7
	s_delay_alu instid0(VALU_DEP_2)
	v_or_b32_e32 v4, v4, v6
.LBB1576_61:
	s_or_b32 exec_lo, exec_lo, s1
	v_add_nc_u32_e32 v6, 5, v41
	s_delay_alu instid0(VALU_DEP_2)
	v_lshrrev_b32_e32 v21, 16, v5
	v_lshrrev_b32_e32 v23, 24, v5
	v_and_b32_e32 v8, 0xff, v4
	v_lshrrev_b32_e32 v22, 8, v4
	v_cmp_le_u32_e32 vcc_lo, s33, v6
                                        ; implicit-def: $vgpr6
                                        ; implicit-def: $vgpr7
	s_and_saveexec_b32 s0, vcc_lo
	s_delay_alu instid0(SALU_CYCLE_1)
	s_xor_b32 s0, exec_lo, s0
	s_cbranch_execz .LBB1576_63
; %bb.62:
	v_lshlrev_b16 v6, 8, v22
	v_lshlrev_b16 v7, 8, v23
	v_and_b32_e32 v21, 0xff, v21
	v_perm_b32 v3, v3, v3, 0x3060504
                                        ; implicit-def: $vgpr23
                                        ; implicit-def: $vgpr22
	s_delay_alu instid0(VALU_DEP_4) | instskip(NEXT) | instid1(VALU_DEP_3)
	v_or_b32_e32 v6, v8, v6
                                        ; implicit-def: $vgpr8
	v_or_b32_e32 v7, v21, v7
                                        ; implicit-def: $vgpr21
	s_delay_alu instid0(VALU_DEP_2) | instskip(NEXT) | instid1(VALU_DEP_2)
	v_and_b32_e32 v6, 0xffff, v6
	v_perm_b32 v7, v7, v5, 0x5040c00
                                        ; implicit-def: $vgpr5
	s_delay_alu instid0(VALU_DEP_2)
	v_and_or_b32 v6, 0xff000000, v4, v6
                                        ; implicit-def: $vgpr4
.LBB1576_63:
	s_and_not1_saveexec_b32 s1, s0
	s_cbranch_execz .LBB1576_67
; %bb.64:
	v_add_nc_u32_e32 v6, s17, v16
	v_add_nc_u32_e32 v7, s19, v16
	s_mov_b32 s2, 0
	s_mov_b32 s3, exec_lo
	s_delay_alu instid0(VALU_DEP_2) | instskip(NEXT) | instid1(VALU_DEP_2)
	v_mul_lo_u32 v6, v6, s16
	v_mul_lo_u32 v7, v7, s18
	s_delay_alu instid0(VALU_DEP_1) | instskip(NEXT) | instid1(VALU_DEP_1)
	v_sub_nc_u32_e32 v6, v6, v7
	v_cmp_lt_u32_e32 vcc_lo, s20, v6
	v_cmpx_ge_u32_e64 s20, v6
	s_cbranch_execz .LBB1576_66
; %bb.65:
	v_add_nc_u32_e32 v6, s22, v16
	v_add_nc_u32_e32 v7, s42, v16
	s_delay_alu instid0(VALU_DEP_2) | instskip(NEXT) | instid1(VALU_DEP_2)
	v_mul_lo_u32 v6, v6, s21
	v_mul_lo_u32 v7, v7, s23
	s_delay_alu instid0(VALU_DEP_1) | instskip(NEXT) | instid1(VALU_DEP_1)
	v_sub_nc_u32_e32 v6, v6, v7
	v_cmp_lt_u32_e64 s0, s43, v6
	s_and_b32 s2, s0, exec_lo
.LBB1576_66:
	s_wait_alu 0xfffe
	s_or_b32 exec_lo, exec_lo, s3
	s_wait_alu 0xfffd
	v_cndmask_b32_e64 v6, 0, 1, vcc_lo
	v_lshrrev_b32_e32 v4, 24, v4
	v_cndmask_b32_e64 v7, 0, 1, s2
	v_lshlrev_b16 v23, 8, v23
	v_and_b32_e32 v21, 0xff, v21
	v_lshlrev_b16 v6, 8, v6
	v_lshlrev_b16 v22, 8, v22
	v_and_b32_e32 v5, 0xff, v5
	v_lshlrev_b16 v4, 8, v4
	v_or_b32_e32 v21, v21, v23
	s_delay_alu instid0(VALU_DEP_4) | instskip(NEXT) | instid1(VALU_DEP_4)
	v_or_b32_e32 v8, v8, v22
	v_or_b32_e32 v5, v5, v6
	s_delay_alu instid0(VALU_DEP_4) | instskip(NEXT) | instid1(VALU_DEP_4)
	v_or_b32_e32 v4, v7, v4
	v_lshlrev_b32_e32 v6, 16, v21
	s_delay_alu instid0(VALU_DEP_4) | instskip(NEXT) | instid1(VALU_DEP_4)
	v_and_b32_e32 v8, 0xffff, v8
	v_and_b32_e32 v5, 0xffff, v5
	s_delay_alu instid0(VALU_DEP_4) | instskip(NEXT) | instid1(VALU_DEP_2)
	v_lshlrev_b32_e32 v4, 16, v4
	v_or_b32_e32 v7, v5, v6
	s_delay_alu instid0(VALU_DEP_2)
	v_or_b32_e32 v6, v8, v4
.LBB1576_67:
	s_or_b32 exec_lo, exec_lo, s1
	v_add_nc_u32_e32 v4, 6, v41
	s_delay_alu instid0(VALU_DEP_3) | instskip(NEXT) | instid1(VALU_DEP_2)
	v_lshrrev_b32_e32 v8, 8, v7
                                        ; implicit-def: $vgpr43
                                        ; implicit-def: $vgpr5
	v_cmp_le_u32_e32 vcc_lo, s33, v4
	v_and_b32_e32 v4, 0xff, v7
	s_and_saveexec_b32 s0, vcc_lo
	s_delay_alu instid0(SALU_CYCLE_1)
	s_xor_b32 s0, exec_lo, s0
	s_cbranch_execz .LBB1576_69
; %bb.68:
	v_lshlrev_b16 v5, 8, v8
	v_perm_b32 v3, v3, v3, 0x3060504
                                        ; implicit-def: $vgpr8
	s_delay_alu instid0(VALU_DEP_2) | instskip(SKIP_1) | instid1(VALU_DEP_2)
	v_or_b32_e32 v4, v4, v5
	v_and_b32_e32 v5, 0xff0000, v6
	v_and_b32_e32 v4, 0xffff, v4
	s_delay_alu instid0(VALU_DEP_2) | instskip(NEXT) | instid1(VALU_DEP_2)
	v_perm_b32 v43, v6, v5, 0x3020504
                                        ; implicit-def: $vgpr6
	v_and_or_b32 v5, 0xff000000, v7, v4
                                        ; implicit-def: $vgpr4
                                        ; implicit-def: $vgpr7
.LBB1576_69:
	s_and_not1_saveexec_b32 s1, s0
	s_cbranch_execz .LBB1576_73
; %bb.70:
	v_add_nc_u32_e32 v5, s17, v13
	v_add_nc_u32_e32 v21, s19, v13
	s_mov_b32 s2, 0
	s_mov_b32 s3, exec_lo
	s_delay_alu instid0(VALU_DEP_2) | instskip(NEXT) | instid1(VALU_DEP_2)
	v_mul_lo_u32 v5, v5, s16
	v_mul_lo_u32 v21, v21, s18
	s_delay_alu instid0(VALU_DEP_1) | instskip(NEXT) | instid1(VALU_DEP_1)
	v_sub_nc_u32_e32 v5, v5, v21
	v_cmp_lt_u32_e32 vcc_lo, s20, v5
	v_cmpx_ge_u32_e64 s20, v5
	s_cbranch_execz .LBB1576_72
; %bb.71:
	v_add_nc_u32_e32 v5, s22, v13
	v_add_nc_u32_e32 v21, s42, v13
	s_delay_alu instid0(VALU_DEP_2) | instskip(NEXT) | instid1(VALU_DEP_2)
	v_mul_lo_u32 v5, v5, s21
	v_mul_lo_u32 v21, v21, s23
	s_delay_alu instid0(VALU_DEP_1) | instskip(NEXT) | instid1(VALU_DEP_1)
	v_sub_nc_u32_e32 v5, v5, v21
	v_cmp_lt_u32_e64 s0, s43, v5
	s_and_b32 s2, s0, exec_lo
.LBB1576_72:
	s_wait_alu 0xfffe
	s_or_b32 exec_lo, exec_lo, s3
	v_lshrrev_b32_e32 v7, 24, v7
	v_cndmask_b32_e64 v21, 0, 1, s2
	v_lshrrev_b32_e32 v22, 8, v6
	v_lshrrev_b32_e32 v23, 16, v6
	s_wait_alu 0xfffd
	v_cndmask_b32_e64 v5, 0, 1, vcc_lo
	v_lshlrev_b16 v8, 8, v8
	v_lshlrev_b16 v7, 8, v7
	v_and_b32_e32 v6, 0xff, v6
	v_lshlrev_b16 v22, 8, v22
	v_lshlrev_b16 v21, 8, v21
	v_and_b32_e32 v23, 0xff, v23
	v_or_b32_e32 v4, v4, v8
	v_or_b32_e32 v5, v5, v7
	;; [unrolled: 1-line block ×3, first 2 shown]
	s_delay_alu instid0(VALU_DEP_4) | instskip(NEXT) | instid1(VALU_DEP_4)
	v_or_b32_e32 v7, v23, v21
	v_and_b32_e32 v4, 0xffff, v4
	s_delay_alu instid0(VALU_DEP_4) | instskip(NEXT) | instid1(VALU_DEP_4)
	v_lshlrev_b32_e32 v5, 16, v5
	v_and_b32_e32 v6, 0xffff, v6
	s_delay_alu instid0(VALU_DEP_4) | instskip(NEXT) | instid1(VALU_DEP_3)
	v_lshlrev_b32_e32 v7, 16, v7
	v_or_b32_e32 v5, v4, v5
	s_delay_alu instid0(VALU_DEP_2)
	v_or_b32_e32 v43, v6, v7
.LBB1576_73:
	s_or_b32 exec_lo, exec_lo, s1
	v_add_nc_u32_e32 v4, 7, v41
	v_lshrrev_b32_e32 v6, 8, v3
	v_lshrrev_b32_e32 v7, 16, v3
	v_lshrrev_b32_e32 v3, 24, v3
                                        ; implicit-def: $vgpr44
	s_delay_alu instid0(VALU_DEP_4) | instskip(SKIP_1) | instid1(SALU_CYCLE_1)
	v_cmp_le_u32_e32 vcc_lo, s33, v4
                                        ; implicit-def: $vgpr4
	s_and_saveexec_b32 s0, vcc_lo
	s_xor_b32 s0, exec_lo, s0
	s_cbranch_execz .LBB1576_75
; %bb.74:
	v_lshlrev_b16 v3, 8, v3
	v_and_b32_e32 v4, 0xff, v7
                                        ; implicit-def: $vgpr7
	s_delay_alu instid0(VALU_DEP_1) | instskip(SKIP_2) | instid1(VALU_DEP_3)
	v_or_b32_e32 v3, v4, v3
	v_lshlrev_b16 v4, 8, v6
	v_and_b32_e32 v6, 0xff0000, v5
	v_lshlrev_b32_e32 v3, 16, v3
	s_delay_alu instid0(VALU_DEP_3) | instskip(NEXT) | instid1(VALU_DEP_3)
	v_and_b32_e32 v4, 0xffff, v4
	v_perm_b32 v44, v5, v6, 0x3020504
                                        ; implicit-def: $vgpr5
                                        ; implicit-def: $vgpr6
	s_delay_alu instid0(VALU_DEP_2)
	v_or_b32_e32 v4, v4, v3
                                        ; implicit-def: $vgpr3
.LBB1576_75:
	s_and_not1_saveexec_b32 s1, s0
	s_cbranch_execz .LBB1576_79
; %bb.76:
	v_add_nc_u32_e32 v4, s17, v14
	v_add_nc_u32_e32 v8, s19, v14
	s_mov_b32 s2, 0
	s_mov_b32 s3, exec_lo
	s_delay_alu instid0(VALU_DEP_2) | instskip(NEXT) | instid1(VALU_DEP_2)
	v_mul_lo_u32 v4, v4, s16
	v_mul_lo_u32 v8, v8, s18
	s_delay_alu instid0(VALU_DEP_1) | instskip(NEXT) | instid1(VALU_DEP_1)
	v_sub_nc_u32_e32 v4, v4, v8
	v_cmp_lt_u32_e32 vcc_lo, s20, v4
	v_cmpx_ge_u32_e64 s20, v4
	s_cbranch_execz .LBB1576_78
; %bb.77:
	v_add_nc_u32_e32 v4, s22, v14
	v_add_nc_u32_e32 v8, s42, v14
	s_delay_alu instid0(VALU_DEP_2) | instskip(NEXT) | instid1(VALU_DEP_2)
	v_mul_lo_u32 v4, v4, s21
	v_mul_lo_u32 v8, v8, s23
	s_delay_alu instid0(VALU_DEP_1) | instskip(NEXT) | instid1(VALU_DEP_1)
	v_sub_nc_u32_e32 v4, v4, v8
	v_cmp_lt_u32_e64 s0, s43, v4
	s_and_b32 s2, s0, exec_lo
.LBB1576_78:
	s_wait_alu 0xfffe
	s_or_b32 exec_lo, exec_lo, s3
	v_lshrrev_b32_e32 v4, 8, v5
	s_wait_alu 0xfffd
	v_cndmask_b32_e64 v8, 0, 1, vcc_lo
	v_lshrrev_b32_e32 v21, 16, v5
	v_cndmask_b32_e64 v22, 0, 1, s2
	v_and_b32_e32 v5, 0xff, v5
	v_lshlrev_b16 v4, 8, v4
	v_lshlrev_b16 v8, 8, v8
	v_and_b32_e32 v21, 0xff, v21
	v_lshlrev_b16 v3, 8, v3
	v_and_b32_e32 v7, 0xff, v7
	v_lshlrev_b16 v6, 8, v6
	v_or_b32_e32 v4, v5, v4
	v_or_b32_e32 v5, v21, v8
	s_delay_alu instid0(VALU_DEP_4) | instskip(NEXT) | instid1(VALU_DEP_4)
	v_or_b32_e32 v3, v7, v3
	v_or_b32_e32 v6, v22, v6
	s_delay_alu instid0(VALU_DEP_4) | instskip(NEXT) | instid1(VALU_DEP_4)
	v_and_b32_e32 v4, 0xffff, v4
	v_lshlrev_b32_e32 v5, 16, v5
	s_delay_alu instid0(VALU_DEP_4) | instskip(NEXT) | instid1(VALU_DEP_4)
	v_lshlrev_b32_e32 v3, 16, v3
	v_and_b32_e32 v6, 0xffff, v6
	s_delay_alu instid0(VALU_DEP_3) | instskip(NEXT) | instid1(VALU_DEP_2)
	v_or_b32_e32 v44, v4, v5
	v_or_b32_e32 v4, v6, v3
.LBB1576_79:
	s_or_b32 exec_lo, exec_lo, s1
	v_add_nc_u32_e32 v3, 8, v41
	s_delay_alu instid0(VALU_DEP_2)
	v_lshrrev_b32_e32 v5, 16, v4
	v_lshrrev_b32_e32 v6, 24, v4
	;; [unrolled: 1-line block ×4, first 2 shown]
	v_cmp_le_u32_e32 vcc_lo, s33, v3
	v_lshrrev_b32_e32 v7, 8, v2
                                        ; implicit-def: $vgpr2
                                        ; implicit-def: $vgpr3
	s_and_saveexec_b32 s0, vcc_lo
	s_delay_alu instid0(SALU_CYCLE_1)
	s_xor_b32 s0, exec_lo, s0
	s_cbranch_execz .LBB1576_81
; %bb.80:
	v_lshlrev_b16 v2, 8, v8
	v_and_b32_e32 v3, 0xff, v21
	v_lshlrev_b16 v7, 8, v7
	v_lshlrev_b16 v6, 8, v6
	v_perm_b32 v1, v1, v1, 0x3060504
                                        ; implicit-def: $vgpr8
                                        ; implicit-def: $vgpr21
	s_delay_alu instid0(VALU_DEP_4) | instskip(SKIP_2) | instid1(VALU_DEP_3)
	v_or_b32_e32 v2, v3, v2
	v_and_b32_e32 v3, 0xff, v5
	v_and_b32_e32 v5, 0xffff, v7
                                        ; implicit-def: $vgpr7
	v_lshlrev_b32_e32 v2, 16, v2
	s_delay_alu instid0(VALU_DEP_3) | instskip(NEXT) | instid1(VALU_DEP_2)
	v_or_b32_e32 v6, v3, v6
	v_or_b32_e32 v3, v5, v2
	s_delay_alu instid0(VALU_DEP_2)
	v_perm_b32 v2, v6, v4, 0x5040c00
                                        ; implicit-def: $vgpr4
                                        ; implicit-def: $vgpr5
                                        ; implicit-def: $vgpr6
.LBB1576_81:
	s_and_not1_saveexec_b32 s1, s0
	s_cbranch_execz .LBB1576_85
; %bb.82:
	v_add_nc_u32_e32 v2, s17, v11
	v_add_nc_u32_e32 v3, s19, v11
	s_mov_b32 s2, 0
	s_mov_b32 s3, exec_lo
	s_delay_alu instid0(VALU_DEP_2) | instskip(NEXT) | instid1(VALU_DEP_2)
	v_mul_lo_u32 v2, v2, s16
	v_mul_lo_u32 v3, v3, s18
	s_delay_alu instid0(VALU_DEP_1) | instskip(NEXT) | instid1(VALU_DEP_1)
	v_sub_nc_u32_e32 v2, v2, v3
	v_cmp_lt_u32_e32 vcc_lo, s20, v2
	v_cmpx_ge_u32_e64 s20, v2
	s_cbranch_execz .LBB1576_84
; %bb.83:
	v_add_nc_u32_e32 v2, s22, v11
	v_add_nc_u32_e32 v3, s42, v11
	s_delay_alu instid0(VALU_DEP_2) | instskip(NEXT) | instid1(VALU_DEP_2)
	v_mul_lo_u32 v2, v2, s21
	v_mul_lo_u32 v3, v3, s23
	s_delay_alu instid0(VALU_DEP_1) | instskip(NEXT) | instid1(VALU_DEP_1)
	v_sub_nc_u32_e32 v2, v2, v3
	v_cmp_lt_u32_e64 s0, s43, v2
	s_and_b32 s2, s0, exec_lo
.LBB1576_84:
	s_wait_alu 0xfffe
	s_or_b32 exec_lo, exec_lo, s3
	v_cndmask_b32_e64 v2, 0, 1, s2
	s_wait_alu 0xfffd
	v_cndmask_b32_e64 v3, 0, 1, vcc_lo
	v_lshlrev_b16 v8, 8, v8
	v_and_b32_e32 v21, 0xff, v21
	v_lshlrev_b16 v7, 8, v7
	v_lshlrev_b16 v2, 8, v2
	v_and_b32_e32 v4, 0xff, v4
	v_lshlrev_b16 v6, 8, v6
	v_and_b32_e32 v5, 0xff, v5
	v_or_b32_e32 v8, v21, v8
	v_or_b32_e32 v3, v3, v7
	;; [unrolled: 1-line block ×3, first 2 shown]
	s_delay_alu instid0(VALU_DEP_4) | instskip(NEXT) | instid1(VALU_DEP_4)
	v_or_b32_e32 v4, v5, v6
	v_lshlrev_b32_e32 v5, 16, v8
	s_delay_alu instid0(VALU_DEP_4) | instskip(NEXT) | instid1(VALU_DEP_4)
	v_and_b32_e32 v3, 0xffff, v3
	v_and_b32_e32 v2, 0xffff, v2
	s_delay_alu instid0(VALU_DEP_4) | instskip(NEXT) | instid1(VALU_DEP_3)
	v_lshlrev_b32_e32 v4, 16, v4
	v_or_b32_e32 v3, v3, v5
	s_delay_alu instid0(VALU_DEP_2)
	v_or_b32_e32 v2, v2, v4
.LBB1576_85:
	s_or_b32 exec_lo, exec_lo, s1
	v_add_nc_u32_e32 v4, 9, v41
	s_delay_alu instid0(VALU_DEP_2)
	v_lshrrev_b32_e32 v6, 8, v2
	v_lshrrev_b32_e32 v21, 24, v3
	;; [unrolled: 1-line block ×3, first 2 shown]
	v_and_b32_e32 v7, 0xff, v2
	v_cmp_le_u32_e32 vcc_lo, s33, v4
                                        ; implicit-def: $vgpr4
                                        ; implicit-def: $vgpr5
	s_and_saveexec_b32 s0, vcc_lo
	s_delay_alu instid0(SALU_CYCLE_1)
	s_xor_b32 s0, exec_lo, s0
	s_cbranch_execz .LBB1576_87
; %bb.86:
	v_lshlrev_b16 v4, 8, v6
	v_lshlrev_b16 v5, 8, v21
	v_and_b32_e32 v6, 0xff, v8
	v_perm_b32 v1, v1, v1, 0x3060504
                                        ; implicit-def: $vgpr21
                                        ; implicit-def: $vgpr8
	s_delay_alu instid0(VALU_DEP_4) | instskip(NEXT) | instid1(VALU_DEP_3)
	v_or_b32_e32 v4, v7, v4
                                        ; implicit-def: $vgpr7
	v_or_b32_e32 v5, v6, v5
                                        ; implicit-def: $vgpr6
	s_delay_alu instid0(VALU_DEP_2) | instskip(NEXT) | instid1(VALU_DEP_2)
	v_and_b32_e32 v4, 0xffff, v4
	v_perm_b32 v5, v5, v3, 0x5040c00
                                        ; implicit-def: $vgpr3
	s_delay_alu instid0(VALU_DEP_2)
	v_and_or_b32 v4, 0xff000000, v2, v4
                                        ; implicit-def: $vgpr2
.LBB1576_87:
	s_and_not1_saveexec_b32 s1, s0
	s_cbranch_execz .LBB1576_91
; %bb.88:
	v_add_nc_u32_e32 v4, s17, v12
	v_add_nc_u32_e32 v5, s19, v12
	s_mov_b32 s2, 0
	s_mov_b32 s3, exec_lo
	s_delay_alu instid0(VALU_DEP_2) | instskip(NEXT) | instid1(VALU_DEP_2)
	v_mul_lo_u32 v4, v4, s16
	v_mul_lo_u32 v5, v5, s18
	s_delay_alu instid0(VALU_DEP_1) | instskip(NEXT) | instid1(VALU_DEP_1)
	v_sub_nc_u32_e32 v4, v4, v5
	v_cmp_lt_u32_e32 vcc_lo, s20, v4
	v_cmpx_ge_u32_e64 s20, v4
	s_cbranch_execz .LBB1576_90
; %bb.89:
	v_add_nc_u32_e32 v4, s22, v12
	v_add_nc_u32_e32 v5, s42, v12
	s_delay_alu instid0(VALU_DEP_2) | instskip(NEXT) | instid1(VALU_DEP_2)
	v_mul_lo_u32 v4, v4, s21
	v_mul_lo_u32 v5, v5, s23
	s_delay_alu instid0(VALU_DEP_1) | instskip(NEXT) | instid1(VALU_DEP_1)
	v_sub_nc_u32_e32 v4, v4, v5
	v_cmp_lt_u32_e64 s0, s43, v4
	s_and_b32 s2, s0, exec_lo
.LBB1576_90:
	s_wait_alu 0xfffe
	s_or_b32 exec_lo, exec_lo, s3
	s_wait_alu 0xfffd
	v_cndmask_b32_e64 v4, 0, 1, vcc_lo
	v_lshrrev_b32_e32 v2, 24, v2
	v_cndmask_b32_e64 v5, 0, 1, s2
	v_lshlrev_b16 v21, 8, v21
	v_and_b32_e32 v8, 0xff, v8
	v_lshlrev_b16 v4, 8, v4
	v_lshlrev_b16 v6, 8, v6
	v_and_b32_e32 v3, 0xff, v3
	v_lshlrev_b16 v2, 8, v2
	v_or_b32_e32 v8, v8, v21
	s_delay_alu instid0(VALU_DEP_4) | instskip(NEXT) | instid1(VALU_DEP_4)
	v_or_b32_e32 v6, v7, v6
	v_or_b32_e32 v3, v3, v4
	s_delay_alu instid0(VALU_DEP_4) | instskip(NEXT) | instid1(VALU_DEP_4)
	v_or_b32_e32 v2, v5, v2
	v_lshlrev_b32_e32 v4, 16, v8
	s_delay_alu instid0(VALU_DEP_4) | instskip(NEXT) | instid1(VALU_DEP_4)
	v_and_b32_e32 v6, 0xffff, v6
	v_and_b32_e32 v3, 0xffff, v3
	s_delay_alu instid0(VALU_DEP_4) | instskip(NEXT) | instid1(VALU_DEP_2)
	v_lshlrev_b32_e32 v2, 16, v2
	v_or_b32_e32 v5, v3, v4
	s_delay_alu instid0(VALU_DEP_2)
	v_or_b32_e32 v4, v6, v2
.LBB1576_91:
	s_or_b32 exec_lo, exec_lo, s1
	v_add_nc_u32_e32 v2, 10, v41
	s_delay_alu instid0(VALU_DEP_3) | instskip(SKIP_1) | instid1(VALU_DEP_3)
	v_and_b32_e32 v3, 0xff, v5
	v_lshrrev_b32_e32 v6, 8, v5
                                        ; implicit-def: $vgpr46
	v_cmp_le_u32_e32 vcc_lo, s33, v2
                                        ; implicit-def: $vgpr2
	s_and_saveexec_b32 s0, vcc_lo
	s_delay_alu instid0(SALU_CYCLE_1)
	s_xor_b32 s0, exec_lo, s0
	s_cbranch_execz .LBB1576_93
; %bb.92:
	v_lshlrev_b16 v2, 8, v6
	v_perm_b32 v1, v1, v1, 0x3060504
                                        ; implicit-def: $vgpr6
	s_delay_alu instid0(VALU_DEP_2) | instskip(SKIP_1) | instid1(VALU_DEP_2)
	v_or_b32_e32 v2, v3, v2
	v_and_b32_e32 v3, 0xff0000, v4
	v_and_b32_e32 v2, 0xffff, v2
	s_delay_alu instid0(VALU_DEP_2) | instskip(NEXT) | instid1(VALU_DEP_2)
	v_perm_b32 v46, v4, v3, 0x3020504
                                        ; implicit-def: $vgpr3
                                        ; implicit-def: $vgpr4
	v_and_or_b32 v2, 0xff000000, v5, v2
                                        ; implicit-def: $vgpr5
.LBB1576_93:
	s_and_not1_saveexec_b32 s1, s0
	s_cbranch_execz .LBB1576_97
; %bb.94:
	v_add_nc_u32_e32 v2, s17, v9
	v_add_nc_u32_e32 v7, s19, v9
	s_mov_b32 s2, 0
	s_mov_b32 s3, exec_lo
	s_delay_alu instid0(VALU_DEP_2) | instskip(NEXT) | instid1(VALU_DEP_2)
	v_mul_lo_u32 v2, v2, s16
	v_mul_lo_u32 v7, v7, s18
	s_delay_alu instid0(VALU_DEP_1) | instskip(NEXT) | instid1(VALU_DEP_1)
	v_sub_nc_u32_e32 v2, v2, v7
	v_cmp_lt_u32_e32 vcc_lo, s20, v2
	v_cmpx_ge_u32_e64 s20, v2
	s_cbranch_execz .LBB1576_96
; %bb.95:
	v_add_nc_u32_e32 v2, s22, v9
	v_add_nc_u32_e32 v7, s42, v9
	s_delay_alu instid0(VALU_DEP_2) | instskip(NEXT) | instid1(VALU_DEP_2)
	v_mul_lo_u32 v2, v2, s21
	v_mul_lo_u32 v7, v7, s23
	s_delay_alu instid0(VALU_DEP_1) | instskip(NEXT) | instid1(VALU_DEP_1)
	v_sub_nc_u32_e32 v2, v2, v7
	v_cmp_lt_u32_e64 s0, s43, v2
	s_and_b32 s2, s0, exec_lo
.LBB1576_96:
	s_wait_alu 0xfffe
	s_or_b32 exec_lo, exec_lo, s3
	v_lshrrev_b32_e32 v5, 24, v5
	v_cndmask_b32_e64 v7, 0, 1, s2
	v_lshrrev_b32_e32 v8, 8, v4
	v_lshrrev_b32_e32 v21, 16, v4
	s_wait_alu 0xfffd
	v_cndmask_b32_e64 v2, 0, 1, vcc_lo
	v_lshlrev_b16 v6, 8, v6
	v_lshlrev_b16 v5, 8, v5
	v_and_b32_e32 v4, 0xff, v4
	v_lshlrev_b16 v8, 8, v8
	v_lshlrev_b16 v7, 8, v7
	v_and_b32_e32 v21, 0xff, v21
	v_or_b32_e32 v3, v3, v6
	v_or_b32_e32 v2, v2, v5
	;; [unrolled: 1-line block ×3, first 2 shown]
	s_delay_alu instid0(VALU_DEP_4) | instskip(NEXT) | instid1(VALU_DEP_4)
	v_or_b32_e32 v5, v21, v7
	v_and_b32_e32 v3, 0xffff, v3
	s_delay_alu instid0(VALU_DEP_4) | instskip(NEXT) | instid1(VALU_DEP_4)
	v_lshlrev_b32_e32 v2, 16, v2
	v_and_b32_e32 v4, 0xffff, v4
	s_delay_alu instid0(VALU_DEP_4) | instskip(NEXT) | instid1(VALU_DEP_3)
	v_lshlrev_b32_e32 v5, 16, v5
	v_or_b32_e32 v2, v3, v2
	s_delay_alu instid0(VALU_DEP_2)
	v_or_b32_e32 v46, v4, v5
.LBB1576_97:
	s_or_b32 exec_lo, exec_lo, s1
	v_add_nc_u32_e32 v3, 11, v41
	v_mov_b32_e32 v45, 0
	s_mov_b32 s0, exec_lo
                                        ; implicit-def: $vgpr47
	s_delay_alu instid0(VALU_DEP_2)
	v_cmpx_le_u32_e64 s33, v3
	s_xor_b32 s0, exec_lo, s0
; %bb.98:
	v_and_b32_e32 v3, 0xff0000, v2
	v_perm_b32 v1, v1, v1, 0x3060504
	s_delay_alu instid0(VALU_DEP_2)
	v_perm_b32 v47, v2, v3, 0x3020504
                                        ; implicit-def: $vgpr2
; %bb.99:
	s_and_not1_saveexec_b32 s1, s0
	s_cbranch_execz .LBB1576_103
; %bb.100:
	v_add_nc_u32_e32 v3, s17, v10
	v_add_nc_u32_e32 v4, s19, v10
	s_mov_b32 s2, 0
	s_mov_b32 s3, exec_lo
	s_delay_alu instid0(VALU_DEP_2) | instskip(NEXT) | instid1(VALU_DEP_2)
	v_mul_lo_u32 v3, v3, s16
	v_mul_lo_u32 v4, v4, s18
	s_delay_alu instid0(VALU_DEP_1) | instskip(NEXT) | instid1(VALU_DEP_1)
	v_sub_nc_u32_e32 v3, v3, v4
	v_cmp_lt_u32_e32 vcc_lo, s20, v3
	v_cmpx_ge_u32_e64 s20, v3
	s_cbranch_execz .LBB1576_102
; %bb.101:
	v_add_nc_u32_e32 v3, s22, v10
	v_add_nc_u32_e32 v4, s42, v10
	s_delay_alu instid0(VALU_DEP_2) | instskip(NEXT) | instid1(VALU_DEP_2)
	v_mul_lo_u32 v3, v3, s21
	v_mul_lo_u32 v4, v4, s23
	s_delay_alu instid0(VALU_DEP_1) | instskip(NEXT) | instid1(VALU_DEP_1)
	v_sub_nc_u32_e32 v3, v3, v4
	v_cmp_lt_u32_e64 s0, s43, v3
	s_and_b32 s2, s0, exec_lo
.LBB1576_102:
	s_wait_alu 0xfffe
	s_or_b32 exec_lo, exec_lo, s3
	v_lshrrev_b32_e32 v3, 8, v2
	s_wait_alu 0xfffd
	v_cndmask_b32_e64 v4, 0, 1, vcc_lo
	v_lshrrev_b32_e32 v5, 16, v2
	v_and_b32_e32 v2, 0xff, v2
	v_cndmask_b32_e64 v45, 0, 1, s2
	v_lshlrev_b16 v3, 8, v3
	v_lshlrev_b16 v4, 8, v4
	v_and_b32_e32 v5, 0xff, v5
	s_delay_alu instid0(VALU_DEP_3) | instskip(NEXT) | instid1(VALU_DEP_2)
	v_or_b32_e32 v2, v2, v3
	v_or_b32_e32 v3, v5, v4
	s_delay_alu instid0(VALU_DEP_2) | instskip(NEXT) | instid1(VALU_DEP_2)
	v_and_b32_e32 v2, 0xffff, v2
	v_lshlrev_b32_e32 v3, 16, v3
	s_delay_alu instid0(VALU_DEP_1)
	v_or_b32_e32 v47, v2, v3
.LBB1576_103:
	s_or_b32 exec_lo, exec_lo, s1
	v_add_nc_u32_e32 v4, 12, v41
	v_lshrrev_b32_e32 v2, 8, v1
	v_lshrrev_b32_e32 v3, 16, v1
	;; [unrolled: 1-line block ×3, first 2 shown]
	s_mov_b32 s0, exec_lo
                                        ; implicit-def: $vgpr49
	v_cmpx_le_u32_e64 s33, v4
	s_xor_b32 s0, exec_lo, s0
	s_cbranch_execz .LBB1576_105
; %bb.104:
	v_lshlrev_b16 v1, 8, v1
	v_and_b32_e32 v3, 0xff, v3
	v_lshlrev_b16 v2, 8, v2
	s_delay_alu instid0(VALU_DEP_2) | instskip(NEXT) | instid1(VALU_DEP_2)
	v_or_b32_e32 v1, v3, v1
	v_and_b32_e32 v2, 0xffff, v2
                                        ; implicit-def: $vgpr3
	s_delay_alu instid0(VALU_DEP_2) | instskip(NEXT) | instid1(VALU_DEP_1)
	v_lshlrev_b32_e32 v1, 16, v1
	v_or_b32_e32 v49, v2, v1
                                        ; implicit-def: $vgpr1
                                        ; implicit-def: $vgpr2
.LBB1576_105:
	s_or_saveexec_b32 s1, s0
	v_mov_b32_e32 v48, 0
	s_xor_b32 exec_lo, exec_lo, s1
	s_cbranch_execz .LBB1576_109
; %bb.106:
	v_add_nc_u32_e32 v4, s17, v40
	v_add_nc_u32_e32 v5, s19, v40
	s_mov_b32 s2, 0
	s_mov_b32 s3, exec_lo
	s_delay_alu instid0(VALU_DEP_2) | instskip(NEXT) | instid1(VALU_DEP_2)
	v_mul_lo_u32 v4, v4, s16
	v_mul_lo_u32 v5, v5, s18
	s_delay_alu instid0(VALU_DEP_1) | instskip(NEXT) | instid1(VALU_DEP_1)
	v_sub_nc_u32_e32 v4, v4, v5
	v_cmp_lt_u32_e32 vcc_lo, s20, v4
	v_cmpx_ge_u32_e64 s20, v4
	s_cbranch_execz .LBB1576_108
; %bb.107:
	v_add_nc_u32_e32 v4, s22, v40
	v_add_nc_u32_e32 v5, s42, v40
	s_delay_alu instid0(VALU_DEP_2) | instskip(NEXT) | instid1(VALU_DEP_2)
	v_mul_lo_u32 v4, v4, s21
	v_mul_lo_u32 v5, v5, s23
	s_delay_alu instid0(VALU_DEP_1) | instskip(NEXT) | instid1(VALU_DEP_1)
	v_sub_nc_u32_e32 v4, v4, v5
	v_cmp_lt_u32_e64 s0, s43, v4
	s_and_b32 s2, s0, exec_lo
.LBB1576_108:
	s_wait_alu 0xfffe
	s_or_b32 exec_lo, exec_lo, s3
	s_wait_alu 0xfffd
	v_cndmask_b32_e64 v4, 0, 1, vcc_lo
	v_lshlrev_b16 v1, 8, v1
	v_and_b32_e32 v3, 0xff, v3
	v_lshlrev_b16 v2, 8, v2
	v_cndmask_b32_e64 v48, 0, 1, s2
	s_delay_alu instid0(VALU_DEP_3) | instskip(NEXT) | instid1(VALU_DEP_3)
	v_or_b32_e32 v1, v3, v1
	v_or_b32_e32 v2, v4, v2
	s_delay_alu instid0(VALU_DEP_2) | instskip(NEXT) | instid1(VALU_DEP_2)
	v_lshlrev_b32_e32 v1, 16, v1
	v_and_b32_e32 v2, 0xffff, v2
	s_delay_alu instid0(VALU_DEP_1)
	v_or_b32_e32 v49, v2, v1
.LBB1576_109:
	s_or_b32 exec_lo, exec_lo, s1
.LBB1576_110:
	v_and_b32_e32 v72, 0xff, v42
	s_delay_alu instid0(VALU_DEP_2)
	v_bfe_u32 v73, v49, 8, 8
	v_bfe_u32 v70, v42, 8, 8
	;; [unrolled: 1-line block ×4, first 2 shown]
	v_lshrrev_b32_e32 v55, 24, v49
	v_lshrrev_b32_e32 v54, 24, v42
	v_and_b32_e32 v68, 0xff, v43
	v_and_b32_e32 v66, 0xff, v44
	v_bfe_u32 v67, v43, 8, 8
	v_add3_u32 v1, v70, v72, v69
	v_add3_u32 v2, v71, v73, v55
	v_bfe_u32 v64, v44, 8, 8
	v_bfe_u32 v65, v43, 16, 8
	;; [unrolled: 1-line block ×3, first 2 shown]
	v_lshrrev_b32_e32 v53, 24, v43
	v_add3_u32 v1, v1, v54, v66
	v_add3_u32 v2, v2, v68, v67
	v_lshrrev_b32_e32 v52, 24, v44
	v_and_b32_e32 v63, 0xff, v46
	v_and_b32_e32 v61, 0xff, v47
	v_bfe_u32 v62, v46, 8, 8
	v_add3_u32 v1, v1, v64, v59
	v_add3_u32 v2, v2, v65, v53
	v_bfe_u32 v58, v47, 8, 8
	v_bfe_u32 v60, v46, 16, 8
	;; [unrolled: 1-line block ×3, first 2 shown]
	v_lshrrev_b32_e32 v51, 24, v46
	v_add3_u32 v1, v1, v52, v61
	v_add3_u32 v2, v2, v63, v62
	v_mbcnt_lo_u32_b32 v74, -1, 0
	v_lshrrev_b32_e32 v50, 24, v47
	v_and_b32_e32 v57, 0xff, v45
	v_and_b32_e32 v3, 0xff, v49
	;; [unrolled: 1-line block ×3, first 2 shown]
	v_add3_u32 v1, v1, v58, v56
	v_add3_u32 v2, v2, v60, v51
	v_and_b32_e32 v76, 15, v74
	v_and_b32_e32 v78, 16, v74
	v_lshrrev_b32_e32 v75, 5, v0
	v_add3_u32 v79, v1, v50, v3
	v_add3_u32 v80, v2, v57, v4
	v_cmp_eq_u32_e64 s1, 0, v76
	v_cmp_lt_u32_e64 s0, 1, v76
	v_cmp_lt_u32_e64 s2, 3, v76
	v_or_b32_e32 v77, 31, v0
	s_cmp_lg_u32 ttmp9, 0
	s_mov_b32 s3, -1
	v_cmp_lt_u32_e32 vcc_lo, 7, v76
	s_cbranch_scc0 .LBB1576_131
; %bb.111:
	v_mov_b32_dpp v2, v79 row_shr:1 row_mask:0xf bank_mask:0xf
	v_mov_b32_dpp v1, v80 row_shr:1 row_mask:0xf bank_mask:0xf
	s_mov_b32 s3, exec_lo
	s_delay_alu instid0(VALU_DEP_2) | instskip(NEXT) | instid1(VALU_DEP_2)
	v_add_nc_u32_e32 v2, v2, v79
	v_add_nc_u32_e32 v1, v1, v80
	s_delay_alu instid0(VALU_DEP_2) | instskip(NEXT) | instid1(VALU_DEP_2)
	v_cndmask_b32_e64 v2, v2, v79, s1
	v_cndmask_b32_e64 v1, v1, v80, s1
	s_delay_alu instid0(VALU_DEP_2) | instskip(NEXT) | instid1(VALU_DEP_2)
	v_mov_b32_dpp v4, v2 row_shr:2 row_mask:0xf bank_mask:0xf
	v_mov_b32_dpp v3, v1 row_shr:2 row_mask:0xf bank_mask:0xf
	s_delay_alu instid0(VALU_DEP_2) | instskip(NEXT) | instid1(VALU_DEP_1)
	v_add_nc_u32_e32 v4, v2, v4
	v_cndmask_b32_e64 v2, v2, v4, s0
	s_delay_alu instid0(VALU_DEP_1) | instskip(NEXT) | instid1(VALU_DEP_1)
	v_mov_b32_dpp v4, v2 row_shr:4 row_mask:0xf bank_mask:0xf
	v_add_nc_u32_e32 v4, v2, v4
	s_wait_alu 0xf1ff
	s_delay_alu instid0(VALU_DEP_1) | instskip(NEXT) | instid1(VALU_DEP_1)
	v_cndmask_b32_e64 v2, v2, v4, s2
	v_mov_b32_dpp v4, v2 row_shr:8 row_mask:0xf bank_mask:0xf
	s_delay_alu instid0(VALU_DEP_1) | instskip(SKIP_1) | instid1(VALU_DEP_1)
	v_add_nc_u32_e32 v4, v2, v4
	s_wait_alu 0xfffd
	v_dual_cndmask_b32 v2, v2, v4 :: v_dual_add_nc_u32 v3, v1, v3
	s_delay_alu instid0(VALU_DEP_1) | instskip(SKIP_2) | instid1(VALU_DEP_1)
	v_cndmask_b32_e64 v1, v1, v3, s0
	ds_swizzle_b32 v4, v2 offset:swizzle(BROADCAST,32,15)
	v_mov_b32_dpp v3, v1 row_shr:4 row_mask:0xf bank_mask:0xf
	v_add_nc_u32_e32 v3, v1, v3
	s_delay_alu instid0(VALU_DEP_1) | instskip(NEXT) | instid1(VALU_DEP_1)
	v_cndmask_b32_e64 v1, v1, v3, s2
	v_mov_b32_dpp v3, v1 row_shr:8 row_mask:0xf bank_mask:0xf
	s_wait_dscnt 0x0
	v_add_nc_u32_e32 v4, v2, v4
	s_delay_alu instid0(VALU_DEP_2) | instskip(NEXT) | instid1(VALU_DEP_1)
	v_add_nc_u32_e32 v3, v1, v3
	v_cndmask_b32_e32 v1, v1, v3, vcc_lo
	v_cmp_eq_u32_e32 vcc_lo, 0, v78
	ds_swizzle_b32 v3, v1 offset:swizzle(BROADCAST,32,15)
	s_wait_dscnt 0x0
	v_add_nc_u32_e32 v3, v1, v3
	v_cmpx_eq_u32_e64 v0, v77
; %bb.112:
	s_wait_alu 0xfffd
	s_delay_alu instid0(VALU_DEP_2)
	v_dual_cndmask_b32 v6, v3, v1 :: v_dual_lshlrev_b32 v7, 3, v75
	v_cndmask_b32_e32 v5, v4, v2, vcc_lo
	ds_store_b64 v7, v[5:6]
; %bb.113:
	s_wait_alu 0xfffe
	s_or_b32 exec_lo, exec_lo, s3
	s_delay_alu instid0(SALU_CYCLE_1)
	s_mov_b32 s3, exec_lo
	s_wait_loadcnt_dscnt 0x0
	s_barrier_signal -1
	s_barrier_wait -1
	global_inv scope:SCOPE_SE
	v_cmpx_gt_u32_e32 8, v0
	s_cbranch_execz .LBB1576_115
; %bb.114:
	v_lshlrev_b32_e32 v7, 3, v0
	v_and_b32_e32 v22, 7, v74
	ds_load_b64 v[5:6], v7
	v_cmp_eq_u32_e64 s2, 0, v22
	s_wait_dscnt 0x0
	v_mov_b32_dpp v8, v5 row_shr:1 row_mask:0xf bank_mask:0xf
	v_mov_b32_dpp v21, v6 row_shr:1 row_mask:0xf bank_mask:0xf
	s_delay_alu instid0(VALU_DEP_2) | instskip(NEXT) | instid1(VALU_DEP_2)
	v_add_nc_u32_e32 v8, v8, v5
	v_add_nc_u32_e32 v21, v21, v6
	s_wait_alu 0xf1ff
	s_delay_alu instid0(VALU_DEP_2) | instskip(NEXT) | instid1(VALU_DEP_2)
	v_cndmask_b32_e64 v5, v8, v5, s2
	v_cndmask_b32_e64 v6, v21, v6, s2
	v_cmp_lt_u32_e64 s2, 1, v22
	s_delay_alu instid0(VALU_DEP_3) | instskip(NEXT) | instid1(VALU_DEP_3)
	v_mov_b32_dpp v8, v5 row_shr:2 row_mask:0xf bank_mask:0xf
	v_mov_b32_dpp v21, v6 row_shr:2 row_mask:0xf bank_mask:0xf
	s_delay_alu instid0(VALU_DEP_2) | instskip(NEXT) | instid1(VALU_DEP_2)
	v_add_nc_u32_e32 v8, v5, v8
	v_add_nc_u32_e32 v21, v6, v21
	s_wait_alu 0xf1ff
	s_delay_alu instid0(VALU_DEP_2) | instskip(NEXT) | instid1(VALU_DEP_2)
	v_cndmask_b32_e64 v5, v5, v8, s2
	v_cndmask_b32_e64 v6, v6, v21, s2
	v_cmp_lt_u32_e64 s2, 3, v22
	s_delay_alu instid0(VALU_DEP_3) | instskip(NEXT) | instid1(VALU_DEP_3)
	v_mov_b32_dpp v8, v5 row_shr:4 row_mask:0xf bank_mask:0xf
	v_mov_b32_dpp v21, v6 row_shr:4 row_mask:0xf bank_mask:0xf
	s_wait_alu 0xf1ff
	s_delay_alu instid0(VALU_DEP_2) | instskip(NEXT) | instid1(VALU_DEP_2)
	v_cndmask_b32_e64 v8, 0, v8, s2
	v_cndmask_b32_e64 v21, 0, v21, s2
	s_delay_alu instid0(VALU_DEP_2) | instskip(NEXT) | instid1(VALU_DEP_2)
	v_add_nc_u32_e32 v5, v8, v5
	v_add_nc_u32_e32 v6, v21, v6
	ds_store_b64 v7, v[5:6]
.LBB1576_115:
	s_wait_alu 0xfffe
	s_or_b32 exec_lo, exec_lo, s3
	v_dual_cndmask_b32 v1, v3, v1 :: v_dual_cndmask_b32 v2, v4, v2
	s_mov_b32 s3, exec_lo
	v_cmp_gt_u32_e32 vcc_lo, 32, v0
	s_wait_loadcnt_dscnt 0x0
	s_barrier_signal -1
	s_barrier_wait -1
	global_inv scope:SCOPE_SE
                                        ; implicit-def: $vgpr21
	v_cmpx_lt_u32_e32 31, v0
	s_cbranch_execz .LBB1576_117
; %bb.116:
	v_lshl_add_u32 v3, v75, 3, -8
	ds_load_b64 v[21:22], v3
	s_wait_dscnt 0x0
	v_add_nc_u32_e32 v1, v22, v1
	v_add_nc_u32_e32 v2, v21, v2
.LBB1576_117:
	s_wait_alu 0xfffe
	s_or_b32 exec_lo, exec_lo, s3
	v_sub_co_u32 v3, s2, v74, 1
	s_delay_alu instid0(VALU_DEP_1) | instskip(SKIP_1) | instid1(VALU_DEP_1)
	v_cmp_gt_i32_e64 s3, 0, v3
	s_wait_alu 0xf1ff
	v_cndmask_b32_e64 v3, v3, v74, s3
	s_delay_alu instid0(VALU_DEP_1)
	v_lshlrev_b32_e32 v3, 2, v3
	ds_bpermute_b32 v81, v3, v2
	ds_bpermute_b32 v82, v3, v1
	s_and_saveexec_b32 s3, vcc_lo
	s_cbranch_execz .LBB1576_136
; %bb.118:
	v_mov_b32_e32 v4, 0
	ds_load_b64 v[1:2], v4 offset:56
	s_and_saveexec_b32 s6, s2
	s_cbranch_execz .LBB1576_120
; %bb.119:
	s_add_co_i32 s8, ttmp9, 32
	s_mov_b32 s9, 0
	s_wait_alu 0xfffe
	s_lshl_b64 s[8:9], s[8:9], 4
	s_wait_kmcnt 0x0
	s_wait_alu 0xfffe
	s_add_nc_u64 s[8:9], s[4:5], s[8:9]
	v_mov_b32_e32 v3, 1
	s_wait_alu 0xfffe
	v_dual_mov_b32 v5, s8 :: v_dual_mov_b32 v6, s9
	s_wait_dscnt 0x0
	;;#ASMSTART
	global_store_b128 v[5:6], v[1:4] off scope:SCOPE_DEV	
s_wait_storecnt 0x0
	;;#ASMEND
.LBB1576_120:
	s_wait_alu 0xfffe
	s_or_b32 exec_lo, exec_lo, s6
	v_xad_u32 v23, v74, -1, ttmp9
	s_mov_b32 s7, 0
	s_mov_b32 s6, exec_lo
	s_delay_alu instid0(VALU_DEP_1) | instskip(NEXT) | instid1(VALU_DEP_1)
	v_add_nc_u32_e32 v3, 32, v23
	v_lshlrev_b64_e32 v[3:4], 4, v[3:4]
	s_wait_kmcnt 0x0
	s_delay_alu instid0(VALU_DEP_1) | instskip(SKIP_1) | instid1(VALU_DEP_2)
	v_add_co_u32 v3, vcc_lo, s4, v3
	s_wait_alu 0xfffd
	v_add_co_ci_u32_e64 v4, null, s5, v4, vcc_lo
	;;#ASMSTART
	global_load_b128 v[5:8], v[3:4] off scope:SCOPE_DEV	
s_wait_loadcnt 0x0
	;;#ASMEND
	v_and_b32_e32 v8, 0xff, v7
	s_delay_alu instid0(VALU_DEP_1)
	v_cmpx_eq_u16_e32 0, v8
	s_cbranch_execz .LBB1576_123
.LBB1576_121:                           ; =>This Inner Loop Header: Depth=1
	;;#ASMSTART
	global_load_b128 v[5:8], v[3:4] off scope:SCOPE_DEV	
s_wait_loadcnt 0x0
	;;#ASMEND
	v_and_b32_e32 v8, 0xff, v7
	s_delay_alu instid0(VALU_DEP_1)
	v_cmp_ne_u16_e32 vcc_lo, 0, v8
	s_wait_alu 0xfffe
	s_or_b32 s7, vcc_lo, s7
	s_wait_alu 0xfffe
	s_and_not1_b32 exec_lo, exec_lo, s7
	s_cbranch_execnz .LBB1576_121
; %bb.122:
	s_or_b32 exec_lo, exec_lo, s7
.LBB1576_123:
	s_wait_alu 0xfffe
	s_or_b32 exec_lo, exec_lo, s6
	v_cmp_ne_u32_e32 vcc_lo, 31, v74
	v_lshlrev_b32_e64 v84, v74, -1
	v_add_nc_u32_e32 v86, 2, v74
	v_add_nc_u32_e32 v88, 4, v74
	v_add_nc_u32_e32 v90, 8, v74
	s_wait_alu 0xfffd
	v_add_co_ci_u32_e64 v3, null, 0, v74, vcc_lo
	v_lshl_or_b32 v91, v74, 2, 64
	v_add_nc_u32_e32 v92, 16, v74
	s_delay_alu instid0(VALU_DEP_3)
	v_lshlrev_b32_e32 v83, 2, v3
	v_and_b32_e32 v3, 0xff, v7
	ds_bpermute_b32 v4, v83, v6
	v_cmp_eq_u16_e32 vcc_lo, 2, v3
	s_wait_alu 0xfffd
	v_and_b32_e32 v8, vcc_lo, v84
	v_cmp_gt_u32_e32 vcc_lo, 30, v74
	s_delay_alu instid0(VALU_DEP_2) | instskip(SKIP_2) | instid1(VALU_DEP_2)
	v_or_b32_e32 v8, 0x80000000, v8
	s_wait_alu 0xfffd
	v_cndmask_b32_e64 v24, 0, 2, vcc_lo
	v_ctz_i32_b32_e32 v8, v8
	s_delay_alu instid0(VALU_DEP_2) | instskip(SKIP_2) | instid1(VALU_DEP_3)
	v_add_lshl_u32 v85, v24, v74, 2
	s_wait_dscnt 0x0
	v_add_nc_u32_e32 v4, v4, v6
	v_cmp_lt_u32_e32 vcc_lo, v74, v8
	s_wait_alu 0xfffd
	s_delay_alu instid0(VALU_DEP_2) | instskip(SKIP_3) | instid1(VALU_DEP_1)
	v_cndmask_b32_e32 v4, v6, v4, vcc_lo
	ds_bpermute_b32 v3, v83, v5
	s_wait_dscnt 0x0
	v_add_nc_u32_e32 v3, v3, v5
	v_cndmask_b32_e32 v3, v5, v3, vcc_lo
	ds_bpermute_b32 v5, v85, v4
	v_cmp_gt_u32_e32 vcc_lo, 28, v74
	ds_bpermute_b32 v6, v85, v3
	s_wait_alu 0xfffd
	v_cndmask_b32_e64 v24, 0, 4, vcc_lo
	v_cmp_gt_u32_e32 vcc_lo, v86, v8
	s_delay_alu instid0(VALU_DEP_2)
	v_add_lshl_u32 v87, v24, v74, 2
	s_wait_dscnt 0x1
	v_add_nc_u32_e32 v5, v4, v5
	s_wait_dscnt 0x0
	v_add_nc_u32_e32 v6, v3, v6
	s_wait_alu 0xfffd
	s_delay_alu instid0(VALU_DEP_1)
	v_dual_cndmask_b32 v4, v5, v4 :: v_dual_cndmask_b32 v3, v6, v3
	ds_bpermute_b32 v5, v87, v4
	v_cmp_gt_u32_e32 vcc_lo, 24, v74
	ds_bpermute_b32 v6, v87, v3
	s_wait_alu 0xfffd
	v_cndmask_b32_e64 v24, 0, 8, vcc_lo
	v_cmp_gt_u32_e32 vcc_lo, v88, v8
	s_delay_alu instid0(VALU_DEP_2)
	v_add_lshl_u32 v89, v24, v74, 2
	s_wait_dscnt 0x1
	v_dual_mov_b32 v24, 0 :: v_dual_add_nc_u32 v5, v4, v5
	s_wait_dscnt 0x0
	v_add_nc_u32_e32 v6, v3, v6
	s_wait_alu 0xfffd
	s_delay_alu instid0(VALU_DEP_1)
	v_dual_cndmask_b32 v4, v5, v4 :: v_dual_cndmask_b32 v3, v6, v3
	ds_bpermute_b32 v5, v89, v4
	v_cmp_gt_u32_e32 vcc_lo, v90, v8
	ds_bpermute_b32 v6, v89, v3
	s_wait_dscnt 0x1
	v_add_nc_u32_e32 v5, v4, v5
	s_wait_dscnt 0x0
	v_add_nc_u32_e32 v6, v3, v6
	s_wait_alu 0xfffd
	s_delay_alu instid0(VALU_DEP_1)
	v_dual_cndmask_b32 v4, v5, v4 :: v_dual_cndmask_b32 v3, v6, v3
	ds_bpermute_b32 v6, v91, v4
	v_cmp_le_u32_e32 vcc_lo, v92, v8
	ds_bpermute_b32 v5, v91, v3
	s_wait_dscnt 0x0
	s_wait_alu 0xfffd
	v_dual_cndmask_b32 v6, 0, v6 :: v_dual_cndmask_b32 v5, 0, v5
	s_delay_alu instid0(VALU_DEP_1) | instskip(NEXT) | instid1(VALU_DEP_2)
	v_add_nc_u32_e32 v6, v6, v4
	v_add_nc_u32_e32 v5, v5, v3
	s_branch .LBB1576_127
.LBB1576_124:                           ;   in Loop: Header=BB1576_127 Depth=1
	s_or_b32 exec_lo, exec_lo, s7
.LBB1576_125:                           ;   in Loop: Header=BB1576_127 Depth=1
	s_wait_alu 0xfffe
	s_or_b32 exec_lo, exec_lo, s6
	ds_bpermute_b32 v8, v83, v5
	ds_bpermute_b32 v25, v83, v6
	v_subrev_nc_u32_e32 v23, 32, v23
	s_mov_b32 s6, 0
	s_wait_dscnt 0x1
	v_add_nc_u32_e32 v8, v8, v5
	v_and_b32_e32 v26, 0xff, v7
	s_wait_dscnt 0x0
	v_add_nc_u32_e32 v25, v25, v6
	s_delay_alu instid0(VALU_DEP_2) | instskip(SKIP_2) | instid1(VALU_DEP_1)
	v_cmp_eq_u16_e32 vcc_lo, 2, v26
	s_wait_alu 0xfffd
	v_and_or_b32 v26, vcc_lo, v84, 0x80000000
	v_ctz_i32_b32_e32 v26, v26
	s_delay_alu instid0(VALU_DEP_1)
	v_cmp_lt_u32_e32 vcc_lo, v74, v26
	s_wait_alu 0xfffd
	v_dual_cndmask_b32 v6, v6, v25 :: v_dual_cndmask_b32 v5, v5, v8
	v_cmp_gt_u32_e32 vcc_lo, v86, v26
	ds_bpermute_b32 v25, v85, v6
	ds_bpermute_b32 v8, v85, v5
	s_wait_dscnt 0x1
	v_add_nc_u32_e32 v25, v6, v25
	s_wait_dscnt 0x0
	v_add_nc_u32_e32 v8, v5, v8
	s_wait_alu 0xfffd
	s_delay_alu instid0(VALU_DEP_1)
	v_dual_cndmask_b32 v6, v25, v6 :: v_dual_cndmask_b32 v5, v8, v5
	v_cmp_gt_u32_e32 vcc_lo, v88, v26
	ds_bpermute_b32 v25, v87, v6
	ds_bpermute_b32 v8, v87, v5
	s_wait_dscnt 0x1
	v_add_nc_u32_e32 v25, v6, v25
	s_wait_dscnt 0x0
	v_add_nc_u32_e32 v8, v5, v8
	s_wait_alu 0xfffd
	s_delay_alu instid0(VALU_DEP_1)
	;; [unrolled: 10-line block ×3, first 2 shown]
	v_dual_cndmask_b32 v6, v25, v6 :: v_dual_cndmask_b32 v5, v8, v5
	v_cmp_le_u32_e32 vcc_lo, v92, v26
	ds_bpermute_b32 v25, v91, v6
	ds_bpermute_b32 v8, v91, v5
	s_wait_dscnt 0x0
	s_wait_alu 0xfffd
	v_dual_cndmask_b32 v25, 0, v25 :: v_dual_cndmask_b32 v8, 0, v8
	s_delay_alu instid0(VALU_DEP_1) | instskip(NEXT) | instid1(VALU_DEP_2)
	v_add3_u32 v6, v6, v4, v25
	v_add3_u32 v5, v5, v3, v8
.LBB1576_126:                           ;   in Loop: Header=BB1576_127 Depth=1
	s_wait_alu 0xfffe
	s_and_b32 vcc_lo, exec_lo, s6
	s_wait_alu 0xfffe
	s_cbranch_vccnz .LBB1576_132
.LBB1576_127:                           ; =>This Loop Header: Depth=1
                                        ;     Child Loop BB1576_130 Depth 2
	v_and_b32_e32 v3, 0xff, v7
	s_mov_b32 s6, -1
                                        ; implicit-def: $vgpr7
	s_delay_alu instid0(VALU_DEP_1)
	v_cmp_ne_u16_e32 vcc_lo, 2, v3
	v_dual_mov_b32 v3, v5 :: v_dual_mov_b32 v4, v6
                                        ; implicit-def: $vgpr5_vgpr6
	s_cmp_lg_u32 vcc_lo, exec_lo
	s_cbranch_scc1 .LBB1576_126
; %bb.128:                              ;   in Loop: Header=BB1576_127 Depth=1
	v_lshlrev_b64_e32 v[5:6], 4, v[23:24]
	s_mov_b32 s6, exec_lo
	s_delay_alu instid0(VALU_DEP_1) | instskip(SKIP_1) | instid1(VALU_DEP_2)
	v_add_co_u32 v25, vcc_lo, s4, v5
	s_wait_alu 0xfffd
	v_add_co_ci_u32_e64 v26, null, s5, v6, vcc_lo
	;;#ASMSTART
	global_load_b128 v[5:8], v[25:26] off scope:SCOPE_DEV	
s_wait_loadcnt 0x0
	;;#ASMEND
	v_and_b32_e32 v8, 0xff, v7
	s_delay_alu instid0(VALU_DEP_1)
	v_cmpx_eq_u16_e32 0, v8
	s_cbranch_execz .LBB1576_125
; %bb.129:                              ;   in Loop: Header=BB1576_127 Depth=1
	s_mov_b32 s7, 0
.LBB1576_130:                           ;   Parent Loop BB1576_127 Depth=1
                                        ; =>  This Inner Loop Header: Depth=2
	;;#ASMSTART
	global_load_b128 v[5:8], v[25:26] off scope:SCOPE_DEV	
s_wait_loadcnt 0x0
	;;#ASMEND
	v_and_b32_e32 v8, 0xff, v7
	s_delay_alu instid0(VALU_DEP_1)
	v_cmp_ne_u16_e32 vcc_lo, 0, v8
	s_wait_alu 0xfffe
	s_or_b32 s7, vcc_lo, s7
	s_wait_alu 0xfffe
	s_and_not1_b32 exec_lo, exec_lo, s7
	s_cbranch_execnz .LBB1576_130
	s_branch .LBB1576_124
.LBB1576_131:
                                        ; implicit-def: $vgpr81
                                        ; implicit-def: $vgpr3
                                        ; implicit-def: $vgpr82
	s_wait_alu 0xfffe
	s_and_b32 vcc_lo, exec_lo, s3
	s_wait_alu 0xfffe
	s_cbranch_vccnz .LBB1576_137
	s_branch .LBB1576_146
.LBB1576_132:
	s_and_saveexec_b32 s6, s2
	s_cbranch_execnz .LBB1576_374
; %bb.133:
	s_wait_alu 0xfffe
	s_or_b32 exec_lo, exec_lo, s6
	s_and_saveexec_b32 s6, s2
	s_cbranch_execnz .LBB1576_375
.LBB1576_134:
	s_wait_alu 0xfffe
	s_or_b32 exec_lo, exec_lo, s6
	v_cmp_eq_u32_e32 vcc_lo, 0, v0
	s_and_b32 exec_lo, exec_lo, vcc_lo
.LBB1576_135:
	v_mov_b32_e32 v1, 0
	ds_store_b64 v1, v[3:4] offset:56
.LBB1576_136:
	s_wait_alu 0xfffe
	s_or_b32 exec_lo, exec_lo, s3
	s_wait_dscnt 0x0
	v_cndmask_b32_e64 v8, v82, v22, s2
	v_mov_b32_e32 v1, 0
	s_wait_loadcnt 0x0
	s_barrier_signal -1
	s_barrier_wait -1
	global_inv scope:SCOPE_SE
	ds_load_b64 v[5:6], v1 offset:56
	s_wait_loadcnt_dscnt 0x0
	s_barrier_signal -1
	s_barrier_wait -1
	global_inv scope:SCOPE_SE
	v_cndmask_b32_e64 v7, v81, v21, s2
	v_cmp_eq_u32_e32 vcc_lo, 0, v0
	v_add_nc_u32_e32 v8, v6, v8
	ds_load_b128 v[1:4], v1 offset:13312
	v_add_nc_u32_e32 v7, v5, v7
	s_wait_alu 0xfffd
	s_delay_alu instid0(VALU_DEP_1)
	v_dual_cndmask_b32 v81, v8, v6 :: v_dual_cndmask_b32 v82, v7, v5
	s_branch .LBB1576_146
.LBB1576_137:
	s_wait_dscnt 0x0
	v_mov_b32_dpp v2, v80 row_shr:1 row_mask:0xf bank_mask:0xf
	v_cmp_lt_u32_e32 vcc_lo, 3, v76
	v_mov_b32_dpp v1, v79 row_shr:1 row_mask:0xf bank_mask:0xf
	s_delay_alu instid0(VALU_DEP_3) | instskip(NEXT) | instid1(VALU_DEP_1)
	v_add_nc_u32_e32 v2, v2, v80
	v_cndmask_b32_e64 v2, v2, v80, s1
	s_delay_alu instid0(VALU_DEP_1) | instskip(NEXT) | instid1(VALU_DEP_1)
	v_mov_b32_dpp v4, v2 row_shr:2 row_mask:0xf bank_mask:0xf
	v_add_nc_u32_e32 v4, v2, v4
	s_delay_alu instid0(VALU_DEP_1) | instskip(NEXT) | instid1(VALU_DEP_1)
	v_cndmask_b32_e64 v2, v2, v4, s0
	v_mov_b32_dpp v4, v2 row_shr:4 row_mask:0xf bank_mask:0xf
	s_delay_alu instid0(VALU_DEP_1) | instskip(SKIP_1) | instid1(VALU_DEP_1)
	v_add_nc_u32_e32 v4, v2, v4
	s_wait_alu 0xfffd
	v_dual_cndmask_b32 v2, v2, v4 :: v_dual_add_nc_u32 v1, v1, v79
	s_delay_alu instid0(VALU_DEP_1) | instskip(SKIP_1) | instid1(VALU_DEP_2)
	v_cndmask_b32_e64 v1, v1, v79, s1
	s_mov_b32 s1, exec_lo
	v_mov_b32_dpp v4, v2 row_shr:8 row_mask:0xf bank_mask:0xf
	s_delay_alu instid0(VALU_DEP_2) | instskip(NEXT) | instid1(VALU_DEP_1)
	v_mov_b32_dpp v3, v1 row_shr:2 row_mask:0xf bank_mask:0xf
	v_add_nc_u32_e32 v3, v1, v3
	s_delay_alu instid0(VALU_DEP_1) | instskip(NEXT) | instid1(VALU_DEP_1)
	v_cndmask_b32_e64 v1, v1, v3, s0
	v_mov_b32_dpp v3, v1 row_shr:4 row_mask:0xf bank_mask:0xf
	s_delay_alu instid0(VALU_DEP_1) | instskip(NEXT) | instid1(VALU_DEP_1)
	v_add_nc_u32_e32 v3, v1, v3
	v_cndmask_b32_e32 v3, v1, v3, vcc_lo
	v_cmp_lt_u32_e32 vcc_lo, 7, v76
	s_delay_alu instid0(VALU_DEP_2) | instskip(NEXT) | instid1(VALU_DEP_1)
	v_mov_b32_dpp v1, v3 row_shr:8 row_mask:0xf bank_mask:0xf
	v_add_nc_u32_e32 v5, v3, v1
	v_add_nc_u32_e32 v1, v2, v4
	s_wait_alu 0xfffd
	s_delay_alu instid0(VALU_DEP_1) | instskip(NEXT) | instid1(VALU_DEP_3)
	v_cndmask_b32_e32 v1, v2, v1, vcc_lo
	v_cndmask_b32_e32 v2, v3, v5, vcc_lo
	v_cmp_eq_u32_e32 vcc_lo, 0, v78
	ds_swizzle_b32 v3, v1 offset:swizzle(BROADCAST,32,15)
	ds_swizzle_b32 v4, v2 offset:swizzle(BROADCAST,32,15)
	s_wait_dscnt 0x1
	v_add_nc_u32_e32 v3, v1, v3
	s_wait_dscnt 0x0
	v_add_nc_u32_e32 v4, v2, v4
	v_cmpx_eq_u32_e64 v0, v77
; %bb.138:
	s_wait_alu 0xfffd
	s_delay_alu instid0(VALU_DEP_2)
	v_dual_cndmask_b32 v5, v4, v2 :: v_dual_cndmask_b32 v6, v3, v1
	v_lshlrev_b32_e32 v7, 3, v75
	ds_store_b64 v7, v[5:6]
; %bb.139:
	s_wait_alu 0xfffe
	s_or_b32 exec_lo, exec_lo, s1
	s_delay_alu instid0(SALU_CYCLE_1)
	s_mov_b32 s1, exec_lo
	s_wait_loadcnt_dscnt 0x0
	s_barrier_signal -1
	s_barrier_wait -1
	global_inv scope:SCOPE_SE
	v_cmpx_gt_u32_e32 8, v0
	s_cbranch_execz .LBB1576_141
; %bb.140:
	v_lshlrev_b32_e32 v7, 3, v0
	v_and_b32_e32 v22, 7, v74
	ds_load_b64 v[5:6], v7
	v_cmp_eq_u32_e64 s0, 0, v22
	s_wait_dscnt 0x0
	v_mov_b32_dpp v8, v5 row_shr:1 row_mask:0xf bank_mask:0xf
	v_mov_b32_dpp v21, v6 row_shr:1 row_mask:0xf bank_mask:0xf
	s_delay_alu instid0(VALU_DEP_2) | instskip(NEXT) | instid1(VALU_DEP_2)
	v_add_nc_u32_e32 v8, v8, v5
	v_add_nc_u32_e32 v21, v21, v6
	s_wait_alu 0xf1ff
	s_delay_alu instid0(VALU_DEP_2) | instskip(NEXT) | instid1(VALU_DEP_2)
	v_cndmask_b32_e64 v5, v8, v5, s0
	v_cndmask_b32_e64 v6, v21, v6, s0
	v_cmp_lt_u32_e64 s0, 1, v22
	s_delay_alu instid0(VALU_DEP_3) | instskip(NEXT) | instid1(VALU_DEP_3)
	v_mov_b32_dpp v8, v5 row_shr:2 row_mask:0xf bank_mask:0xf
	v_mov_b32_dpp v21, v6 row_shr:2 row_mask:0xf bank_mask:0xf
	s_delay_alu instid0(VALU_DEP_2) | instskip(NEXT) | instid1(VALU_DEP_2)
	v_add_nc_u32_e32 v8, v5, v8
	v_add_nc_u32_e32 v21, v6, v21
	s_wait_alu 0xf1ff
	s_delay_alu instid0(VALU_DEP_2) | instskip(NEXT) | instid1(VALU_DEP_2)
	v_cndmask_b32_e64 v5, v5, v8, s0
	v_cndmask_b32_e64 v6, v6, v21, s0
	v_cmp_lt_u32_e64 s0, 3, v22
	s_delay_alu instid0(VALU_DEP_3) | instskip(NEXT) | instid1(VALU_DEP_3)
	v_mov_b32_dpp v8, v5 row_shr:4 row_mask:0xf bank_mask:0xf
	v_mov_b32_dpp v21, v6 row_shr:4 row_mask:0xf bank_mask:0xf
	s_wait_alu 0xf1ff
	s_delay_alu instid0(VALU_DEP_2) | instskip(NEXT) | instid1(VALU_DEP_2)
	v_cndmask_b32_e64 v8, 0, v8, s0
	v_cndmask_b32_e64 v21, 0, v21, s0
	s_delay_alu instid0(VALU_DEP_2) | instskip(NEXT) | instid1(VALU_DEP_2)
	v_add_nc_u32_e32 v5, v8, v5
	v_add_nc_u32_e32 v6, v21, v6
	ds_store_b64 v7, v[5:6]
.LBB1576_141:
	s_wait_alu 0xfffe
	s_or_b32 exec_lo, exec_lo, s1
	v_dual_mov_b32 v7, 0 :: v_dual_mov_b32 v6, 0
	v_mov_b32_e32 v5, 0
	s_mov_b32 s1, exec_lo
	s_wait_loadcnt_dscnt 0x0
	s_barrier_signal -1
	s_barrier_wait -1
	global_inv scope:SCOPE_SE
	v_cmpx_lt_u32_e32 31, v0
; %bb.142:
	v_lshl_add_u32 v5, v75, 3, -8
	ds_load_b64 v[5:6], v5
; %bb.143:
	s_wait_alu 0xfffe
	s_or_b32 exec_lo, exec_lo, s1
	v_sub_co_u32 v8, s0, v74, 1
	v_dual_cndmask_b32 v2, v4, v2 :: v_dual_cndmask_b32 v1, v3, v1
	v_cmp_eq_u32_e32 vcc_lo, 0, v0
	s_delay_alu instid0(VALU_DEP_3) | instskip(SKIP_1) | instid1(VALU_DEP_3)
	v_cmp_gt_i32_e64 s1, 0, v8
	s_wait_dscnt 0x0
	v_add_nc_u32_e32 v2, v5, v2
	v_add_nc_u32_e32 v1, v6, v1
	s_wait_alu 0xf1ff
	v_cndmask_b32_e64 v4, v8, v74, s1
	s_delay_alu instid0(VALU_DEP_1)
	v_lshlrev_b32_e32 v3, 2, v4
	ds_bpermute_b32 v8, v3, v2
	ds_bpermute_b32 v21, v3, v1
	ds_load_b64 v[1:2], v7 offset:56
	s_and_saveexec_b32 s1, vcc_lo
	s_cbranch_execz .LBB1576_145
; %bb.144:
	s_wait_kmcnt 0x0
	s_add_nc_u64 s[2:3], s[4:5], 0x200
	v_dual_mov_b32 v3, 2 :: v_dual_mov_b32 v4, 0
	s_wait_alu 0xfffe
	v_dual_mov_b32 v23, s3 :: v_dual_mov_b32 v22, s2
	s_wait_dscnt 0x0
	;;#ASMSTART
	global_store_b128 v[22:23], v[1:4] off scope:SCOPE_DEV	
s_wait_storecnt 0x0
	;;#ASMEND
.LBB1576_145:
	s_wait_alu 0xfffe
	s_or_b32 exec_lo, exec_lo, s1
	s_wait_dscnt 0x1
	v_cndmask_b32_e64 v3, v21, v6, s0
	v_cndmask_b32_e64 v5, v8, v5, s0
	v_mov_b32_e32 v4, 0
	s_wait_loadcnt_dscnt 0x0
	s_barrier_signal -1
	v_cndmask_b32_e64 v81, v3, 0, vcc_lo
	v_cndmask_b32_e64 v82, v5, 0, vcc_lo
	v_mov_b32_e32 v3, 0
	s_barrier_wait -1
	global_inv scope:SCOPE_SE
.LBB1576_146:
	v_lshrrev_b32_e32 v77, 8, v49
	s_delay_alu instid0(VALU_DEP_2)
	v_add_nc_u32_e32 v73, v81, v73
	s_wait_dscnt 0x0
	v_sub_nc_u32_e32 v81, v81, v4
	v_lshlrev_b32_e32 v84, 1, v1
	v_lshrrev_b32_e32 v75, 16, v49
	v_and_b32_e32 v77, 1, v77
	v_add_nc_u32_e32 v71, v73, v71
	v_add_nc_u32_e32 v81, v81, v1
	v_add3_u32 v87, v84, v2, v41
	v_and_b32_e32 v75, 1, v75
	v_cmp_eq_u32_e32 vcc_lo, 1, v77
	v_add_nc_u32_e32 v72, v82, v72
	v_sub_nc_u32_e32 v82, v82, v3
	v_sub_nc_u32_e32 v73, v73, v4
	v_lshrrev_b32_e32 v76, 8, v42
	v_lshrrev_b32_e32 v74, 16, v42
	v_and_b32_e32 v42, 1, v42
	v_add_nc_u32_e32 v41, v82, v81
	v_add_nc_u32_e32 v73, v73, v1
	v_and_b32_e32 v76, 1, v76
	s_wait_kmcnt 0x0
	v_add_co_u32 v5, s0, s28, v3
	v_sub_nc_u32_e32 v41, v87, v41
	s_wait_alu 0xf1ff
	v_add_co_ci_u32_e64 v6, null, s29, 0, s0
	v_sub_co_u32 v80, s0, s30, v1
	s_wait_alu 0xfffd
	v_cndmask_b32_e32 v41, v41, v81, vcc_lo
	v_cmp_eq_u32_e32 vcc_lo, 1, v75
	v_add_nc_u32_e32 v78, v71, v55
	v_sub_nc_u32_e32 v71, v71, v4
	s_wait_alu 0xf1ff
	v_sub_co_ci_u32_e64 v83, null, s31, 0, s0
	v_and_b32_e32 v55, 1, v55
	v_and_b32_e32 v74, 1, v74
	v_add_nc_u32_e32 v71, v71, v1
	v_add_nc_u32_e32 v70, v72, v70
	v_sub_nc_u32_e32 v72, v72, v3
	v_lshrrev_b32_e32 v26, 8, v43
	v_lshrrev_b32_e32 v25, 16, v43
	v_and_b32_e32 v43, 1, v43
	v_lshrrev_b32_e32 v23, 16, v44
	v_add_nc_u32_e32 v88, v73, v72
	v_and_b32_e32 v26, 1, v26
	v_lshrrev_b32_e32 v24, 8, v44
	v_and_b32_e32 v44, 1, v44
	v_lshrrev_b32_e32 v8, 16, v46
	v_sub_nc_u32_e32 v88, v87, v88
	v_lshrrev_b32_e32 v22, 8, v46
	v_and_b32_e32 v24, 1, v24
	v_lshrrev_b32_e32 v21, 8, v47
	v_and_b32_e32 v8, 1, v8
	v_add_nc_u32_e32 v88, 1, v88
	v_and_b32_e32 v22, 1, v22
	v_lshrrev_b32_e32 v7, 16, v47
	s_mov_b32 s41, 0
	s_wait_alu 0xfffd
	v_cndmask_b32_e32 v73, v88, v73, vcc_lo
	v_cmp_eq_u32_e32 vcc_lo, 1, v42
	v_add_nc_u32_e32 v68, v78, v68
	v_and_b32_e32 v7, 1, v7
	s_wait_alu 0xfffd
	v_cndmask_b32_e32 v81, v41, v82, vcc_lo
	v_cmp_eq_u32_e32 vcc_lo, 1, v76
	v_add_nc_u32_e32 v69, v70, v69
	v_sub_nc_u32_e32 v70, v70, v3
	v_sub_nc_u32_e32 v76, v78, v4
	s_wait_alu 0xfffd
	v_dual_cndmask_b32 v72, v73, v72 :: v_dual_add_nc_u32 v67, v68, v67
	v_add_co_u32 v41, vcc_lo, v80, v4
	v_add_nc_u32_e32 v75, v71, v70
	s_wait_alu 0xfffd
	v_add_co_ci_u32_e64 v42, null, 0, v83, vcc_lo
	v_cmp_eq_u32_e32 vcc_lo, 1, v55
	v_add_nc_u32_e32 v79, v69, v54
	v_sub_nc_u32_e32 v73, v87, v75
	v_sub_nc_u32_e32 v69, v69, v3
	;; [unrolled: 1-line block ×3, first 2 shown]
	v_lshlrev_b32_e32 v75, 2, v81
	v_lshlrev_b32_e32 v72, 2, v72
	v_add_nc_u32_e32 v73, 2, v73
	ds_store_b32 v75, v19
	ds_store_b32 v72, v20
	s_wait_alu 0xfffd
	v_dual_cndmask_b32 v55, v73, v71 :: v_dual_add_nc_u32 v68, v68, v1
	v_add_nc_u32_e32 v71, v76, v1
	v_cmp_eq_u32_e32 vcc_lo, 1, v74
	v_and_b32_e32 v54, 1, v54
	s_delay_alu instid0(VALU_DEP_3) | instskip(SKIP_4) | instid1(VALU_DEP_3)
	v_add_nc_u32_e32 v73, v69, v71
	s_wait_alu 0xfffd
	v_cndmask_b32_e32 v55, v55, v70, vcc_lo
	v_sub_nc_u32_e32 v70, v79, v3
	v_cmp_eq_u32_e32 vcc_lo, 1, v43
	v_lshlrev_b32_e32 v19, 2, v55
	s_delay_alu instid0(VALU_DEP_3)
	v_add_nc_u32_e32 v20, v70, v68
	v_sub_nc_u32_e32 v55, v87, v73
	ds_store_b32 v19, v17
	v_sub_nc_u32_e32 v20, v87, v20
	v_add_nc_u32_e32 v55, 3, v55
	v_and_b32_e32 v19, 1, v25
	s_wait_alu 0xfffd
	s_delay_alu instid0(VALU_DEP_2) | instskip(SKIP_2) | instid1(VALU_DEP_2)
	v_dual_cndmask_b32 v43, v55, v71 :: v_dual_add_nc_u32 v20, 4, v20
	v_cmp_eq_u32_e32 vcc_lo, 1, v26
	s_wait_alu 0xfffd
	v_cndmask_b32_e32 v20, v20, v68, vcc_lo
	v_cmp_eq_u32_e32 vcc_lo, 1, v54
	s_wait_alu 0xfffd
	v_cndmask_b32_e32 v26, v43, v69, vcc_lo
	v_cmp_eq_u32_e32 vcc_lo, 1, v44
	v_add_nc_u32_e32 v65, v67, v65
	v_sub_nc_u32_e32 v67, v67, v4
	s_delay_alu instid0(VALU_DEP_4)
	v_lshlrev_b32_e32 v17, 2, v26
	s_wait_alu 0xfffd
	v_cndmask_b32_e32 v20, v20, v70, vcc_lo
	v_cmp_eq_u32_e32 vcc_lo, 1, v19
	v_add_nc_u32_e32 v67, v67, v1
	v_add_nc_u32_e32 v66, v79, v66
	;; [unrolled: 1-line block ×3, first 2 shown]
	v_sub_nc_u32_e32 v26, v65, v4
	v_lshlrev_b32_e32 v20, 2, v20
	ds_store_b32 v17, v18
	ds_store_b32 v20, v15
	v_add_nc_u32_e32 v64, v66, v64
	v_sub_nc_u32_e32 v66, v66, v3
	v_add_nc_u32_e32 v26, v26, v1
	v_add_nc_u32_e32 v63, v85, v63
	v_and_b32_e32 v20, 1, v53
	s_delay_alu instid0(VALU_DEP_4) | instskip(NEXT) | instid1(VALU_DEP_1)
	v_add_nc_u32_e32 v55, v66, v67
	v_sub_nc_u32_e32 v43, v87, v55
	s_delay_alu instid0(VALU_DEP_1) | instskip(SKIP_2) | instid1(VALU_DEP_2)
	v_add_nc_u32_e32 v25, 5, v43
	v_sub_nc_u32_e32 v43, v85, v4
	s_wait_alu 0xfffd
	v_cndmask_b32_e32 v19, v25, v67, vcc_lo
	v_cmp_eq_u32_e32 vcc_lo, 1, v24
	s_delay_alu instid0(VALU_DEP_3) | instskip(SKIP_1) | instid1(VALU_DEP_3)
	v_add_nc_u32_e32 v43, v43, v1
	s_wait_alu 0xfffd
	v_cndmask_b32_e32 v19, v19, v66, vcc_lo
	v_add_nc_u32_e32 v59, v64, v59
	v_sub_nc_u32_e32 v25, v64, v3
	v_cmp_eq_u32_e32 vcc_lo, 1, v20
	v_and_b32_e32 v20, 1, v52
	v_lshlrev_b32_e32 v15, 2, v19
	v_sub_nc_u32_e32 v24, v59, v3
	v_add_nc_u32_e32 v44, v25, v26
	v_add_nc_u32_e32 v86, v59, v52
	v_and_b32_e32 v19, 1, v23
	v_sub_nc_u32_e32 v23, v63, v4
	v_add_nc_u32_e32 v17, v24, v43
	v_sub_nc_u32_e32 v18, v87, v44
	v_and_b32_e32 v44, 1, v46
	v_sub_nc_u32_e32 v46, v86, v3
	v_add_nc_u32_e32 v23, v23, v1
	v_sub_nc_u32_e32 v17, v87, v17
	v_add_nc_u32_e32 v18, 6, v18
	v_add_nc_u32_e32 v61, v86, v61
	s_wait_alu 0xfffd
	s_delay_alu instid0(VALU_DEP_2)
	v_dual_cndmask_b32 v18, v18, v26 :: v_dual_add_nc_u32 v17, 7, v17
	v_cmp_eq_u32_e32 vcc_lo, 1, v44
	v_add_nc_u32_e32 v26, v46, v23
	v_add_nc_u32_e32 v58, v61, v58
	s_wait_alu 0xfffd
	v_cndmask_b32_e32 v17, v17, v43, vcc_lo
	v_cmp_eq_u32_e32 vcc_lo, 1, v19
	v_sub_nc_u32_e32 v19, v87, v26
	s_wait_alu 0xfffd
	v_cndmask_b32_e32 v18, v18, v25, vcc_lo
	v_cmp_eq_u32_e32 vcc_lo, 1, v20
	v_add_nc_u32_e32 v62, v63, v62
	v_add_nc_u32_e32 v19, 8, v19
	v_sub_nc_u32_e32 v25, v61, v3
	s_wait_alu 0xfffd
	v_dual_cndmask_b32 v17, v17, v24 :: v_dual_lshlrev_b32 v18, 2, v18
	v_sub_nc_u32_e32 v20, v62, v4
	v_and_b32_e32 v24, 1, v47
	v_cmp_eq_u32_e32 vcc_lo, 1, v22
	s_delay_alu instid0(VALU_DEP_4) | instskip(NEXT) | instid1(VALU_DEP_4)
	v_lshlrev_b32_e32 v17, 2, v17
	v_add_nc_u32_e32 v20, v20, v1
	ds_store_b32 v15, v16
	ds_store_b32 v18, v13
	;; [unrolled: 1-line block ×3, first 2 shown]
	s_wait_alu 0xfffd
	v_cndmask_b32_e32 v19, v19, v23, vcc_lo
	v_cmp_eq_u32_e32 vcc_lo, 1, v24
	v_add_nc_u32_e32 v60, v62, v60
	v_add_nc_u32_e32 v22, v25, v20
	v_sub_nc_u32_e32 v17, v58, v3
	v_and_b32_e32 v15, 1, v21
	s_wait_alu 0xfffd
	v_cndmask_b32_e32 v19, v19, v46, vcc_lo
	v_sub_nc_u32_e32 v16, v60, v4
	v_sub_nc_u32_e32 v13, v87, v22
	v_cmp_eq_u32_e32 vcc_lo, 1, v8
	v_add_nc_u32_e32 v89, v60, v51
	v_lshlrev_b32_e32 v14, 2, v19
	v_add_nc_u32_e32 v16, v16, v1
	v_add_nc_u32_e32 v13, 9, v13
	s_delay_alu instid0(VALU_DEP_4)
	v_sub_nc_u32_e32 v18, v89, v4
	ds_store_b32 v14, v11
	v_add_nc_u32_e32 v19, v17, v16
	s_wait_alu 0xfffd
	v_cndmask_b32_e32 v8, v13, v20, vcc_lo
	v_cmp_eq_u32_e32 vcc_lo, 1, v15
	v_and_b32_e32 v15, 1, v51
	v_and_b32_e32 v20, 1, v45
	v_sub_nc_u32_e32 v14, v87, v19
	v_add_nc_u32_e32 v18, v18, v1
	s_wait_alu 0xfffd
	v_cndmask_b32_e32 v8, v8, v25, vcc_lo
	v_cmp_eq_u32_e32 vcc_lo, 1, v15
	v_add_nc_u32_e32 v57, v89, v57
	v_add_nc_u32_e32 v14, 10, v14
	v_and_b32_e32 v15, 1, v50
	v_lshlrev_b32_e32 v8, 2, v8
	s_delay_alu instid0(VALU_DEP_4)
	v_sub_nc_u32_e32 v19, v57, v4
	s_wait_alu 0xfffd
	v_cndmask_b32_e32 v14, v14, v16, vcc_lo
	v_cmp_eq_u32_e32 vcc_lo, 1, v20
	v_add_nc_u32_e32 v56, v58, v56
	v_add_nc_u32_e32 v19, v19, v1
	s_delay_alu instid0(VALU_DEP_2) | instskip(NEXT) | instid1(VALU_DEP_1)
	v_sub_nc_u32_e32 v13, v56, v3
	v_add_nc_u32_e32 v11, v13, v18
	s_delay_alu instid0(VALU_DEP_1) | instskip(NEXT) | instid1(VALU_DEP_1)
	v_sub_nc_u32_e32 v11, v87, v11
	v_add_nc_u32_e32 v11, 11, v11
	s_wait_alu 0xfffd
	s_delay_alu instid0(VALU_DEP_1) | instskip(SKIP_2) | instid1(VALU_DEP_2)
	v_cndmask_b32_e32 v11, v11, v18, vcc_lo
	v_add_nc_u32_e32 v77, v56, v50
	v_cmp_eq_u32_e32 vcc_lo, 1, v7
	v_sub_nc_u32_e32 v3, v77, v3
	s_wait_alu 0xfffd
	v_cndmask_b32_e32 v7, v14, v17, vcc_lo
	v_cmp_eq_u32_e32 vcc_lo, 1, v15
	v_and_b32_e32 v15, 1, v49
	v_add_nc_u32_e32 v16, v3, v19
	s_delay_alu instid0(VALU_DEP_4) | instskip(SKIP_4) | instid1(VALU_DEP_3)
	v_lshlrev_b32_e32 v7, 2, v7
	s_wait_alu 0xfffd
	v_cndmask_b32_e32 v11, v11, v13, vcc_lo
	v_and_b32_e32 v13, 1, v48
	v_sub_nc_u32_e32 v14, v87, v16
	v_lshlrev_b32_e32 v11, 2, v11
	s_delay_alu instid0(VALU_DEP_3)
	v_cmp_eq_u32_e32 vcc_lo, 1, v13
	ds_store_b32 v8, v12
	ds_store_b32 v7, v9
	;; [unrolled: 1-line block ×3, first 2 shown]
	v_add_nc_u32_e32 v14, 12, v14
	v_add_co_u32 v7, s0, v2, v84
	s_wait_alu 0xf1ff
	v_add_co_ci_u32_e64 v8, null, 0, 0, s0
	s_wait_alu 0xfffd
	v_cndmask_b32_e32 v13, v14, v19, vcc_lo
	v_cmp_eq_u32_e32 vcc_lo, 1, v15
	s_wait_alu 0xfffe
	s_add_nc_u64 s[0:1], s[34:35], s[40:41]
	v_lshlrev_b64_e32 v[9:10], 2, v[5:6]
	v_add_nc_u32_e32 v12, v1, v2
	s_wait_alu 0xfffd
	v_cndmask_b32_e32 v3, v13, v3, vcc_lo
	v_add_co_u32 v7, vcc_lo, v7, v41
	s_wait_alu 0xfffd
	v_add_co_ci_u32_e64 v8, null, v8, v42, vcc_lo
	s_delay_alu instid0(VALU_DEP_3)
	v_lshlrev_b32_e32 v3, 2, v3
	ds_store_b32 v3, v40
	v_add_co_u32 v3, vcc_lo, v7, v5
	s_wait_alu 0xfffd
	v_add_co_ci_u32_e64 v7, null, v8, v6, vcc_lo
	s_wait_loadcnt_dscnt 0x0
	s_wait_alu 0xfffe
	v_sub_co_u32 v3, vcc_lo, s0, v3
	s_wait_alu 0xfffd
	v_sub_co_ci_u32_e64 v11, null, s1, v7, vcc_lo
	v_lshlrev_b64_e32 v[7:8], 2, v[41:42]
	v_add_co_u32 v9, s0, s36, v9
	s_wait_alu 0xf1ff
	v_add_co_ci_u32_e64 v10, null, s37, v10, s0
	s_mov_b32 s0, -1
	v_add_co_u32 v7, vcc_lo, s38, v7
	s_wait_alu 0xfffd
	v_add_co_ci_u32_e64 v8, null, s39, v8, vcc_lo
	v_cmp_ne_u32_e32 vcc_lo, 1, v39
	s_barrier_signal -1
	s_barrier_wait -1
	global_inv scope:SCOPE_SE
	s_cbranch_vccz .LBB1576_150
; %bb.147:
	s_wait_alu 0xfffe
	s_and_b32 vcc_lo, exec_lo, s0
	s_wait_alu 0xfffe
	s_cbranch_vccnz .LBB1576_255
.LBB1576_148:
	v_cmp_eq_u32_e32 vcc_lo, 0, v0
	s_and_b32 s0, vcc_lo, s15
	s_wait_alu 0xfffe
	s_and_saveexec_b32 s1, s0
	s_cbranch_execnz .LBB1576_373
.LBB1576_149:
	s_endpgm
.LBB1576_150:
	s_mov_b32 s0, exec_lo
	v_cmpx_ge_u32_e64 v0, v1
	s_wait_alu 0xfffe
	s_xor_b32 s0, exec_lo, s0
	s_cbranch_execz .LBB1576_156
; %bb.151:
	s_mov_b32 s1, exec_lo
	v_cmpx_ge_u32_e64 v0, v12
	s_wait_alu 0xfffe
	s_xor_b32 s1, exec_lo, s1
	s_cbranch_execz .LBB1576_153
; %bb.152:
	v_lshlrev_b32_e32 v13, 2, v0
	ds_load_b32 v15, v13
	v_add_co_u32 v13, vcc_lo, v3, v0
	s_wait_alu 0xfffd
	v_add_co_ci_u32_e64 v14, null, 0, v11, vcc_lo
	s_delay_alu instid0(VALU_DEP_1) | instskip(NEXT) | instid1(VALU_DEP_1)
	v_lshlrev_b64_e32 v[13:14], 2, v[13:14]
	v_sub_co_u32 v13, vcc_lo, s26, v13
	s_wait_alu 0xfffd
	s_delay_alu instid0(VALU_DEP_2)
	v_sub_co_ci_u32_e64 v14, null, s27, v14, vcc_lo
	s_wait_dscnt 0x0
	global_store_b32 v[13:14], v15, off offset:-4
.LBB1576_153:
	s_wait_alu 0xfffe
	s_and_not1_saveexec_b32 s1, s1
	s_cbranch_execz .LBB1576_155
; %bb.154:
	v_lshlrev_b32_e32 v13, 2, v0
	v_readfirstlane_b32 s2, v7
	v_readfirstlane_b32 s3, v8
	ds_load_b32 v14, v13
	s_wait_dscnt 0x0
	global_store_b32 v13, v14, s[2:3]
.LBB1576_155:
	s_wait_alu 0xfffe
	s_or_b32 exec_lo, exec_lo, s1
.LBB1576_156:
	s_wait_alu 0xfffe
	s_and_not1_saveexec_b32 s0, s0
	s_cbranch_execz .LBB1576_158
; %bb.157:
	v_lshlrev_b32_e32 v13, 2, v0
	v_readfirstlane_b32 s2, v9
	v_readfirstlane_b32 s3, v10
	ds_load_b32 v14, v13
	s_wait_dscnt 0x0
	global_store_b32 v13, v14, s[2:3]
.LBB1576_158:
	s_wait_alu 0xfffe
	s_or_b32 exec_lo, exec_lo, s0
	s_delay_alu instid0(SALU_CYCLE_1)
	s_mov_b32 s0, exec_lo
	v_cmpx_ge_u32_e64 v38, v1
	s_wait_alu 0xfffe
	s_xor_b32 s0, exec_lo, s0
	s_cbranch_execz .LBB1576_164
; %bb.159:
	s_mov_b32 s1, exec_lo
	v_cmpx_ge_u32_e64 v38, v12
	s_wait_alu 0xfffe
	s_xor_b32 s1, exec_lo, s1
	s_cbranch_execz .LBB1576_161
; %bb.160:
	v_lshlrev_b32_e32 v13, 2, v0
	ds_load_b32 v15, v13 offset:1024
	v_add_co_u32 v13, vcc_lo, v3, v0
	s_wait_alu 0xfffd
	v_add_co_ci_u32_e64 v14, null, 0, v11, vcc_lo
	s_delay_alu instid0(VALU_DEP_1) | instskip(NEXT) | instid1(VALU_DEP_1)
	v_lshlrev_b64_e32 v[13:14], 2, v[13:14]
	v_sub_co_u32 v13, vcc_lo, s26, v13
	s_wait_alu 0xfffd
	s_delay_alu instid0(VALU_DEP_2)
	v_sub_co_ci_u32_e64 v14, null, s27, v14, vcc_lo
	s_wait_dscnt 0x0
	global_store_b32 v[13:14], v15, off offset:-1028
.LBB1576_161:
	s_wait_alu 0xfffe
	s_and_not1_saveexec_b32 s1, s1
	s_cbranch_execz .LBB1576_163
; %bb.162:
	v_lshlrev_b32_e32 v13, 2, v0
	v_readfirstlane_b32 s2, v7
	v_readfirstlane_b32 s3, v8
	ds_load_b32 v14, v13 offset:1024
	s_wait_dscnt 0x0
	global_store_b32 v13, v14, s[2:3] offset:1024
.LBB1576_163:
	s_wait_alu 0xfffe
	s_or_b32 exec_lo, exec_lo, s1
.LBB1576_164:
	s_wait_alu 0xfffe
	s_and_not1_saveexec_b32 s0, s0
	s_cbranch_execz .LBB1576_166
; %bb.165:
	v_lshlrev_b32_e32 v13, 2, v0
	v_readfirstlane_b32 s2, v9
	v_readfirstlane_b32 s3, v10
	ds_load_b32 v14, v13 offset:1024
	s_wait_dscnt 0x0
	global_store_b32 v13, v14, s[2:3] offset:1024
.LBB1576_166:
	s_wait_alu 0xfffe
	s_or_b32 exec_lo, exec_lo, s0
	s_delay_alu instid0(SALU_CYCLE_1)
	s_mov_b32 s0, exec_lo
	v_cmpx_ge_u32_e64 v37, v1
	s_wait_alu 0xfffe
	s_xor_b32 s0, exec_lo, s0
	s_cbranch_execz .LBB1576_172
; %bb.167:
	s_mov_b32 s1, exec_lo
	v_cmpx_ge_u32_e64 v37, v12
	s_wait_alu 0xfffe
	s_xor_b32 s1, exec_lo, s1
	s_cbranch_execz .LBB1576_169
; %bb.168:
	v_lshlrev_b32_e32 v13, 2, v0
	ds_load_b32 v15, v13 offset:2048
	v_add_co_u32 v13, vcc_lo, v3, v0
	s_wait_alu 0xfffd
	v_add_co_ci_u32_e64 v14, null, 0, v11, vcc_lo
	s_delay_alu instid0(VALU_DEP_1) | instskip(NEXT) | instid1(VALU_DEP_1)
	v_lshlrev_b64_e32 v[13:14], 2, v[13:14]
	v_sub_co_u32 v13, vcc_lo, s26, v13
	s_wait_alu 0xfffd
	s_delay_alu instid0(VALU_DEP_2)
	v_sub_co_ci_u32_e64 v14, null, s27, v14, vcc_lo
	s_wait_dscnt 0x0
	global_store_b32 v[13:14], v15, off offset:-2052
.LBB1576_169:
	s_wait_alu 0xfffe
	s_and_not1_saveexec_b32 s1, s1
	s_cbranch_execz .LBB1576_171
; %bb.170:
	v_lshlrev_b32_e32 v13, 2, v0
	v_readfirstlane_b32 s2, v7
	v_readfirstlane_b32 s3, v8
	ds_load_b32 v14, v13 offset:2048
	s_wait_dscnt 0x0
	global_store_b32 v13, v14, s[2:3] offset:2048
.LBB1576_171:
	s_wait_alu 0xfffe
	s_or_b32 exec_lo, exec_lo, s1
.LBB1576_172:
	s_wait_alu 0xfffe
	s_and_not1_saveexec_b32 s0, s0
	s_cbranch_execz .LBB1576_174
; %bb.173:
	v_lshlrev_b32_e32 v13, 2, v0
	v_readfirstlane_b32 s2, v9
	v_readfirstlane_b32 s3, v10
	ds_load_b32 v14, v13 offset:2048
	s_wait_dscnt 0x0
	global_store_b32 v13, v14, s[2:3] offset:2048
.LBB1576_174:
	;; [unrolled: 54-line block ×12, first 2 shown]
	s_wait_alu 0xfffe
	s_or_b32 exec_lo, exec_lo, s0
	s_branch .LBB1576_148
.LBB1576_255:
	s_mov_b32 s0, exec_lo
	v_cmpx_gt_u32_e64 s33, v0
	s_cbranch_execz .LBB1576_264
; %bb.256:
	s_mov_b32 s1, exec_lo
	v_cmpx_ge_u32_e64 v0, v1
	s_wait_alu 0xfffe
	s_xor_b32 s1, exec_lo, s1
	s_cbranch_execz .LBB1576_262
; %bb.257:
	s_mov_b32 s2, exec_lo
	v_cmpx_ge_u32_e64 v0, v12
	s_wait_alu 0xfffe
	s_xor_b32 s2, exec_lo, s2
	s_cbranch_execz .LBB1576_259
; %bb.258:
	v_lshlrev_b32_e32 v13, 2, v0
	ds_load_b32 v15, v13
	v_add_co_u32 v13, vcc_lo, v3, v0
	s_wait_alu 0xfffd
	v_add_co_ci_u32_e64 v14, null, 0, v11, vcc_lo
	s_delay_alu instid0(VALU_DEP_1) | instskip(NEXT) | instid1(VALU_DEP_1)
	v_lshlrev_b64_e32 v[13:14], 2, v[13:14]
	v_sub_co_u32 v13, vcc_lo, s26, v13
	s_wait_alu 0xfffd
	s_delay_alu instid0(VALU_DEP_2)
	v_sub_co_ci_u32_e64 v14, null, s27, v14, vcc_lo
	s_wait_dscnt 0x0
	global_store_b32 v[13:14], v15, off offset:-4
.LBB1576_259:
	s_wait_alu 0xfffe
	s_and_not1_saveexec_b32 s2, s2
	s_cbranch_execz .LBB1576_261
; %bb.260:
	v_lshlrev_b32_e32 v13, 2, v0
	v_readfirstlane_b32 s4, v7
	v_readfirstlane_b32 s5, v8
	ds_load_b32 v14, v13
	s_wait_dscnt 0x0
	global_store_b32 v13, v14, s[4:5]
.LBB1576_261:
	s_wait_alu 0xfffe
	s_or_b32 exec_lo, exec_lo, s2
.LBB1576_262:
	s_wait_alu 0xfffe
	s_and_not1_saveexec_b32 s1, s1
	s_cbranch_execz .LBB1576_264
; %bb.263:
	v_lshlrev_b32_e32 v13, 2, v0
	v_readfirstlane_b32 s2, v9
	v_readfirstlane_b32 s3, v10
	ds_load_b32 v14, v13
	s_wait_dscnt 0x0
	global_store_b32 v13, v14, s[2:3]
.LBB1576_264:
	s_wait_alu 0xfffe
	s_or_b32 exec_lo, exec_lo, s0
	s_delay_alu instid0(SALU_CYCLE_1)
	s_mov_b32 s0, exec_lo
	v_cmpx_gt_u32_e64 s33, v38
	s_cbranch_execz .LBB1576_273
; %bb.265:
	s_mov_b32 s1, exec_lo
	v_cmpx_ge_u32_e64 v38, v1
	s_wait_alu 0xfffe
	s_xor_b32 s1, exec_lo, s1
	s_cbranch_execz .LBB1576_271
; %bb.266:
	s_mov_b32 s2, exec_lo
	v_cmpx_ge_u32_e64 v38, v12
	s_wait_alu 0xfffe
	s_xor_b32 s2, exec_lo, s2
	s_cbranch_execz .LBB1576_268
; %bb.267:
	v_lshlrev_b32_e32 v13, 2, v0
	ds_load_b32 v15, v13 offset:1024
	v_add_co_u32 v13, vcc_lo, v3, v0
	s_wait_alu 0xfffd
	v_add_co_ci_u32_e64 v14, null, 0, v11, vcc_lo
	s_delay_alu instid0(VALU_DEP_1) | instskip(NEXT) | instid1(VALU_DEP_1)
	v_lshlrev_b64_e32 v[13:14], 2, v[13:14]
	v_sub_co_u32 v13, vcc_lo, s26, v13
	s_wait_alu 0xfffd
	s_delay_alu instid0(VALU_DEP_2)
	v_sub_co_ci_u32_e64 v14, null, s27, v14, vcc_lo
	s_wait_dscnt 0x0
	global_store_b32 v[13:14], v15, off offset:-1028
.LBB1576_268:
	s_wait_alu 0xfffe
	s_and_not1_saveexec_b32 s2, s2
	s_cbranch_execz .LBB1576_270
; %bb.269:
	v_lshlrev_b32_e32 v13, 2, v0
	v_readfirstlane_b32 s4, v7
	v_readfirstlane_b32 s5, v8
	ds_load_b32 v14, v13 offset:1024
	s_wait_dscnt 0x0
	global_store_b32 v13, v14, s[4:5] offset:1024
.LBB1576_270:
	s_wait_alu 0xfffe
	s_or_b32 exec_lo, exec_lo, s2
.LBB1576_271:
	s_wait_alu 0xfffe
	s_and_not1_saveexec_b32 s1, s1
	s_cbranch_execz .LBB1576_273
; %bb.272:
	v_lshlrev_b32_e32 v13, 2, v0
	v_readfirstlane_b32 s2, v9
	v_readfirstlane_b32 s3, v10
	ds_load_b32 v14, v13 offset:1024
	s_wait_dscnt 0x0
	global_store_b32 v13, v14, s[2:3] offset:1024
.LBB1576_273:
	s_wait_alu 0xfffe
	s_or_b32 exec_lo, exec_lo, s0
	s_delay_alu instid0(SALU_CYCLE_1)
	s_mov_b32 s0, exec_lo
	v_cmpx_gt_u32_e64 s33, v37
	s_cbranch_execz .LBB1576_282
; %bb.274:
	s_mov_b32 s1, exec_lo
	v_cmpx_ge_u32_e64 v37, v1
	s_wait_alu 0xfffe
	s_xor_b32 s1, exec_lo, s1
	s_cbranch_execz .LBB1576_280
; %bb.275:
	s_mov_b32 s2, exec_lo
	v_cmpx_ge_u32_e64 v37, v12
	s_wait_alu 0xfffe
	s_xor_b32 s2, exec_lo, s2
	s_cbranch_execz .LBB1576_277
; %bb.276:
	v_lshlrev_b32_e32 v13, 2, v0
	ds_load_b32 v15, v13 offset:2048
	v_add_co_u32 v13, vcc_lo, v3, v0
	s_wait_alu 0xfffd
	v_add_co_ci_u32_e64 v14, null, 0, v11, vcc_lo
	s_delay_alu instid0(VALU_DEP_1) | instskip(NEXT) | instid1(VALU_DEP_1)
	v_lshlrev_b64_e32 v[13:14], 2, v[13:14]
	v_sub_co_u32 v13, vcc_lo, s26, v13
	s_wait_alu 0xfffd
	s_delay_alu instid0(VALU_DEP_2)
	v_sub_co_ci_u32_e64 v14, null, s27, v14, vcc_lo
	s_wait_dscnt 0x0
	global_store_b32 v[13:14], v15, off offset:-2052
.LBB1576_277:
	s_wait_alu 0xfffe
	s_and_not1_saveexec_b32 s2, s2
	s_cbranch_execz .LBB1576_279
; %bb.278:
	v_lshlrev_b32_e32 v13, 2, v0
	v_readfirstlane_b32 s4, v7
	v_readfirstlane_b32 s5, v8
	ds_load_b32 v14, v13 offset:2048
	s_wait_dscnt 0x0
	global_store_b32 v13, v14, s[4:5] offset:2048
.LBB1576_279:
	s_wait_alu 0xfffe
	s_or_b32 exec_lo, exec_lo, s2
.LBB1576_280:
	s_wait_alu 0xfffe
	s_and_not1_saveexec_b32 s1, s1
	s_cbranch_execz .LBB1576_282
; %bb.281:
	v_lshlrev_b32_e32 v13, 2, v0
	v_readfirstlane_b32 s2, v9
	v_readfirstlane_b32 s3, v10
	ds_load_b32 v14, v13 offset:2048
	s_wait_dscnt 0x0
	global_store_b32 v13, v14, s[2:3] offset:2048
.LBB1576_282:
	;; [unrolled: 58-line block ×11, first 2 shown]
	s_wait_alu 0xfffe
	s_or_b32 exec_lo, exec_lo, s0
	s_delay_alu instid0(SALU_CYCLE_1)
	s_mov_b32 s0, exec_lo
	v_cmpx_gt_u32_e64 s33, v27
	s_cbranch_execz .LBB1576_372
; %bb.364:
	s_mov_b32 s1, exec_lo
	v_cmpx_ge_u32_e64 v27, v1
	s_wait_alu 0xfffe
	s_xor_b32 s1, exec_lo, s1
	s_cbranch_execz .LBB1576_370
; %bb.365:
	s_mov_b32 s2, exec_lo
	v_cmpx_ge_u32_e64 v27, v12
	s_wait_alu 0xfffe
	s_xor_b32 s2, exec_lo, s2
	s_cbranch_execz .LBB1576_367
; %bb.366:
	v_lshlrev_b32_e32 v7, 2, v0
	ds_load_b32 v9, v7 offset:12288
	v_add_co_u32 v7, vcc_lo, v3, v0
	s_wait_alu 0xfffd
	v_add_co_ci_u32_e64 v8, null, 0, v11, vcc_lo
	s_delay_alu instid0(VALU_DEP_1) | instskip(NEXT) | instid1(VALU_DEP_1)
	v_lshlrev_b64_e32 v[7:8], 2, v[7:8]
	v_sub_co_u32 v7, vcc_lo, s26, v7
	s_wait_alu 0xfffd
	s_delay_alu instid0(VALU_DEP_2)
	v_sub_co_ci_u32_e64 v8, null, s27, v8, vcc_lo
	s_wait_dscnt 0x0
	global_store_b32 v[7:8], v9, off offset:-12292
                                        ; implicit-def: $vgpr7_vgpr8
.LBB1576_367:
	s_wait_alu 0xfffe
	s_and_not1_saveexec_b32 s2, s2
	s_cbranch_execz .LBB1576_369
; %bb.368:
	v_lshlrev_b32_e32 v3, 2, v0
	v_readfirstlane_b32 s4, v7
	v_readfirstlane_b32 s5, v8
	ds_load_b32 v9, v3 offset:12288
	s_wait_dscnt 0x0
	global_store_b32 v3, v9, s[4:5] offset:12288
.LBB1576_369:
	s_wait_alu 0xfffe
	s_or_b32 exec_lo, exec_lo, s2
                                        ; implicit-def: $vgpr9_vgpr10
.LBB1576_370:
	s_wait_alu 0xfffe
	s_and_not1_saveexec_b32 s1, s1
	s_cbranch_execz .LBB1576_372
; %bb.371:
	v_lshlrev_b32_e32 v3, 2, v0
	v_readfirstlane_b32 s2, v9
	v_readfirstlane_b32 s3, v10
	ds_load_b32 v7, v3 offset:12288
	s_wait_dscnt 0x0
	global_store_b32 v3, v7, s[2:3] offset:12288
.LBB1576_372:
	s_wait_alu 0xfffe
	s_or_b32 exec_lo, exec_lo, s0
	v_cmp_eq_u32_e32 vcc_lo, 0, v0
	s_and_b32 s0, vcc_lo, s15
	s_wait_alu 0xfffe
	s_and_saveexec_b32 s1, s0
	s_cbranch_execz .LBB1576_149
.LBB1576_373:
	v_add_co_u32 v0, s0, s30, v2
	s_wait_alu 0xf1ff
	v_add_co_ci_u32_e64 v3, null, s31, 0, s0
	v_mov_b32_e32 v7, 0
	s_delay_alu instid0(VALU_DEP_3) | instskip(SKIP_1) | instid1(VALU_DEP_3)
	v_add_co_u32 v2, vcc_lo, v0, v4
	s_wait_alu 0xfffd
	v_add_co_ci_u32_e64 v3, null, 0, v3, vcc_lo
	v_add_co_u32 v0, vcc_lo, v5, v1
	s_wait_alu 0xfffd
	v_add_co_ci_u32_e64 v1, null, 0, v6, vcc_lo
	global_store_b128 v7, v[0:3], s[24:25]
	s_endpgm
.LBB1576_374:
	s_add_co_i32 s8, ttmp9, 32
	s_mov_b32 s9, 0
	v_dual_mov_b32 v7, 2 :: v_dual_add_nc_u32 v6, v4, v2
	s_wait_alu 0xfffe
	s_lshl_b64 s[8:9], s[8:9], 4
	v_dual_mov_b32 v8, 0 :: v_dual_add_nc_u32 v5, v3, v1
	s_wait_alu 0xfffe
	s_add_nc_u64 s[8:9], s[4:5], s[8:9]
	s_wait_alu 0xfffe
	v_dual_mov_b32 v24, s9 :: v_dual_mov_b32 v23, s8
	;;#ASMSTART
	global_store_b128 v[23:24], v[5:8] off scope:SCOPE_DEV	
s_wait_storecnt 0x0
	;;#ASMEND
	s_or_b32 exec_lo, exec_lo, s6
	s_and_saveexec_b32 s6, s2
	s_cbranch_execz .LBB1576_134
.LBB1576_375:
	v_mov_b32_e32 v5, 0
	ds_store_b128 v5, v[1:4] offset:13312
	s_wait_alu 0xfffe
	s_or_b32 exec_lo, exec_lo, s6
	v_cmp_eq_u32_e32 vcc_lo, 0, v0
	s_and_b32 exec_lo, exec_lo, vcc_lo
	s_cbranch_execnz .LBB1576_135
	s_branch .LBB1576_136
	.section	.rodata,"a",@progbits
	.p2align	6, 0x0
	.amdhsa_kernel _ZN7rocprim17ROCPRIM_400000_NS6detail17trampoline_kernelINS0_13select_configILj256ELj13ELNS0_17block_load_methodE3ELS4_3ELS4_3ELNS0_20block_scan_algorithmE0ELj4294967295EEENS1_25partition_config_selectorILNS1_17partition_subalgoE4EjNS0_10empty_typeEbEEZZNS1_14partition_implILS8_4ELb0ES6_15HIP_vector_typeIjLj2EENS0_17counting_iteratorIjlEEPS9_SG_NS0_5tupleIJPjSI_NS0_16reverse_iteratorISI_EEEEENSH_IJSG_SG_SG_EEES9_SI_JZNS1_25segmented_radix_sort_implINS0_14default_configELb0EPKbPbPKlPlN2at6native12_GLOBAL__N_18offset_tEEE10hipError_tPvRmT1_PNSt15iterator_traitsIS12_E10value_typeET2_T3_PNS13_IS18_E10value_typeET4_jRbjT5_S1E_jjP12ihipStream_tbEUljE_ZNSN_ISO_Lb0ESQ_SR_ST_SU_SY_EESZ_S10_S11_S12_S16_S17_S18_S1B_S1C_jS1D_jS1E_S1E_jjS1G_bEUljE0_EEESZ_S10_S11_S18_S1C_S1E_T6_T7_T9_mT8_S1G_bDpT10_ENKUlT_T0_E_clISt17integral_constantIbLb0EES1U_EEDaS1P_S1Q_EUlS1P_E_NS1_11comp_targetILNS1_3genE10ELNS1_11target_archE1200ELNS1_3gpuE4ELNS1_3repE0EEENS1_30default_config_static_selectorELNS0_4arch9wavefront6targetE0EEEvS12_
		.amdhsa_group_segment_fixed_size 13328
		.amdhsa_private_segment_fixed_size 0
		.amdhsa_kernarg_size 176
		.amdhsa_user_sgpr_count 2
		.amdhsa_user_sgpr_dispatch_ptr 0
		.amdhsa_user_sgpr_queue_ptr 0
		.amdhsa_user_sgpr_kernarg_segment_ptr 1
		.amdhsa_user_sgpr_dispatch_id 0
		.amdhsa_user_sgpr_private_segment_size 0
		.amdhsa_wavefront_size32 1
		.amdhsa_uses_dynamic_stack 0
		.amdhsa_enable_private_segment 0
		.amdhsa_system_sgpr_workgroup_id_x 1
		.amdhsa_system_sgpr_workgroup_id_y 0
		.amdhsa_system_sgpr_workgroup_id_z 0
		.amdhsa_system_sgpr_workgroup_info 0
		.amdhsa_system_vgpr_workitem_id 0
		.amdhsa_next_free_vgpr 93
		.amdhsa_next_free_sgpr 58
		.amdhsa_reserve_vcc 1
		.amdhsa_float_round_mode_32 0
		.amdhsa_float_round_mode_16_64 0
		.amdhsa_float_denorm_mode_32 3
		.amdhsa_float_denorm_mode_16_64 3
		.amdhsa_fp16_overflow 0
		.amdhsa_workgroup_processor_mode 1
		.amdhsa_memory_ordered 1
		.amdhsa_forward_progress 1
		.amdhsa_inst_pref_size 148
		.amdhsa_round_robin_scheduling 0
		.amdhsa_exception_fp_ieee_invalid_op 0
		.amdhsa_exception_fp_denorm_src 0
		.amdhsa_exception_fp_ieee_div_zero 0
		.amdhsa_exception_fp_ieee_overflow 0
		.amdhsa_exception_fp_ieee_underflow 0
		.amdhsa_exception_fp_ieee_inexact 0
		.amdhsa_exception_int_div_zero 0
	.end_amdhsa_kernel
	.section	.text._ZN7rocprim17ROCPRIM_400000_NS6detail17trampoline_kernelINS0_13select_configILj256ELj13ELNS0_17block_load_methodE3ELS4_3ELS4_3ELNS0_20block_scan_algorithmE0ELj4294967295EEENS1_25partition_config_selectorILNS1_17partition_subalgoE4EjNS0_10empty_typeEbEEZZNS1_14partition_implILS8_4ELb0ES6_15HIP_vector_typeIjLj2EENS0_17counting_iteratorIjlEEPS9_SG_NS0_5tupleIJPjSI_NS0_16reverse_iteratorISI_EEEEENSH_IJSG_SG_SG_EEES9_SI_JZNS1_25segmented_radix_sort_implINS0_14default_configELb0EPKbPbPKlPlN2at6native12_GLOBAL__N_18offset_tEEE10hipError_tPvRmT1_PNSt15iterator_traitsIS12_E10value_typeET2_T3_PNS13_IS18_E10value_typeET4_jRbjT5_S1E_jjP12ihipStream_tbEUljE_ZNSN_ISO_Lb0ESQ_SR_ST_SU_SY_EESZ_S10_S11_S12_S16_S17_S18_S1B_S1C_jS1D_jS1E_S1E_jjS1G_bEUljE0_EEESZ_S10_S11_S18_S1C_S1E_T6_T7_T9_mT8_S1G_bDpT10_ENKUlT_T0_E_clISt17integral_constantIbLb0EES1U_EEDaS1P_S1Q_EUlS1P_E_NS1_11comp_targetILNS1_3genE10ELNS1_11target_archE1200ELNS1_3gpuE4ELNS1_3repE0EEENS1_30default_config_static_selectorELNS0_4arch9wavefront6targetE0EEEvS12_,"axG",@progbits,_ZN7rocprim17ROCPRIM_400000_NS6detail17trampoline_kernelINS0_13select_configILj256ELj13ELNS0_17block_load_methodE3ELS4_3ELS4_3ELNS0_20block_scan_algorithmE0ELj4294967295EEENS1_25partition_config_selectorILNS1_17partition_subalgoE4EjNS0_10empty_typeEbEEZZNS1_14partition_implILS8_4ELb0ES6_15HIP_vector_typeIjLj2EENS0_17counting_iteratorIjlEEPS9_SG_NS0_5tupleIJPjSI_NS0_16reverse_iteratorISI_EEEEENSH_IJSG_SG_SG_EEES9_SI_JZNS1_25segmented_radix_sort_implINS0_14default_configELb0EPKbPbPKlPlN2at6native12_GLOBAL__N_18offset_tEEE10hipError_tPvRmT1_PNSt15iterator_traitsIS12_E10value_typeET2_T3_PNS13_IS18_E10value_typeET4_jRbjT5_S1E_jjP12ihipStream_tbEUljE_ZNSN_ISO_Lb0ESQ_SR_ST_SU_SY_EESZ_S10_S11_S12_S16_S17_S18_S1B_S1C_jS1D_jS1E_S1E_jjS1G_bEUljE0_EEESZ_S10_S11_S18_S1C_S1E_T6_T7_T9_mT8_S1G_bDpT10_ENKUlT_T0_E_clISt17integral_constantIbLb0EES1U_EEDaS1P_S1Q_EUlS1P_E_NS1_11comp_targetILNS1_3genE10ELNS1_11target_archE1200ELNS1_3gpuE4ELNS1_3repE0EEENS1_30default_config_static_selectorELNS0_4arch9wavefront6targetE0EEEvS12_,comdat
.Lfunc_end1576:
	.size	_ZN7rocprim17ROCPRIM_400000_NS6detail17trampoline_kernelINS0_13select_configILj256ELj13ELNS0_17block_load_methodE3ELS4_3ELS4_3ELNS0_20block_scan_algorithmE0ELj4294967295EEENS1_25partition_config_selectorILNS1_17partition_subalgoE4EjNS0_10empty_typeEbEEZZNS1_14partition_implILS8_4ELb0ES6_15HIP_vector_typeIjLj2EENS0_17counting_iteratorIjlEEPS9_SG_NS0_5tupleIJPjSI_NS0_16reverse_iteratorISI_EEEEENSH_IJSG_SG_SG_EEES9_SI_JZNS1_25segmented_radix_sort_implINS0_14default_configELb0EPKbPbPKlPlN2at6native12_GLOBAL__N_18offset_tEEE10hipError_tPvRmT1_PNSt15iterator_traitsIS12_E10value_typeET2_T3_PNS13_IS18_E10value_typeET4_jRbjT5_S1E_jjP12ihipStream_tbEUljE_ZNSN_ISO_Lb0ESQ_SR_ST_SU_SY_EESZ_S10_S11_S12_S16_S17_S18_S1B_S1C_jS1D_jS1E_S1E_jjS1G_bEUljE0_EEESZ_S10_S11_S18_S1C_S1E_T6_T7_T9_mT8_S1G_bDpT10_ENKUlT_T0_E_clISt17integral_constantIbLb0EES1U_EEDaS1P_S1Q_EUlS1P_E_NS1_11comp_targetILNS1_3genE10ELNS1_11target_archE1200ELNS1_3gpuE4ELNS1_3repE0EEENS1_30default_config_static_selectorELNS0_4arch9wavefront6targetE0EEEvS12_, .Lfunc_end1576-_ZN7rocprim17ROCPRIM_400000_NS6detail17trampoline_kernelINS0_13select_configILj256ELj13ELNS0_17block_load_methodE3ELS4_3ELS4_3ELNS0_20block_scan_algorithmE0ELj4294967295EEENS1_25partition_config_selectorILNS1_17partition_subalgoE4EjNS0_10empty_typeEbEEZZNS1_14partition_implILS8_4ELb0ES6_15HIP_vector_typeIjLj2EENS0_17counting_iteratorIjlEEPS9_SG_NS0_5tupleIJPjSI_NS0_16reverse_iteratorISI_EEEEENSH_IJSG_SG_SG_EEES9_SI_JZNS1_25segmented_radix_sort_implINS0_14default_configELb0EPKbPbPKlPlN2at6native12_GLOBAL__N_18offset_tEEE10hipError_tPvRmT1_PNSt15iterator_traitsIS12_E10value_typeET2_T3_PNS13_IS18_E10value_typeET4_jRbjT5_S1E_jjP12ihipStream_tbEUljE_ZNSN_ISO_Lb0ESQ_SR_ST_SU_SY_EESZ_S10_S11_S12_S16_S17_S18_S1B_S1C_jS1D_jS1E_S1E_jjS1G_bEUljE0_EEESZ_S10_S11_S18_S1C_S1E_T6_T7_T9_mT8_S1G_bDpT10_ENKUlT_T0_E_clISt17integral_constantIbLb0EES1U_EEDaS1P_S1Q_EUlS1P_E_NS1_11comp_targetILNS1_3genE10ELNS1_11target_archE1200ELNS1_3gpuE4ELNS1_3repE0EEENS1_30default_config_static_selectorELNS0_4arch9wavefront6targetE0EEEvS12_
                                        ; -- End function
	.set _ZN7rocprim17ROCPRIM_400000_NS6detail17trampoline_kernelINS0_13select_configILj256ELj13ELNS0_17block_load_methodE3ELS4_3ELS4_3ELNS0_20block_scan_algorithmE0ELj4294967295EEENS1_25partition_config_selectorILNS1_17partition_subalgoE4EjNS0_10empty_typeEbEEZZNS1_14partition_implILS8_4ELb0ES6_15HIP_vector_typeIjLj2EENS0_17counting_iteratorIjlEEPS9_SG_NS0_5tupleIJPjSI_NS0_16reverse_iteratorISI_EEEEENSH_IJSG_SG_SG_EEES9_SI_JZNS1_25segmented_radix_sort_implINS0_14default_configELb0EPKbPbPKlPlN2at6native12_GLOBAL__N_18offset_tEEE10hipError_tPvRmT1_PNSt15iterator_traitsIS12_E10value_typeET2_T3_PNS13_IS18_E10value_typeET4_jRbjT5_S1E_jjP12ihipStream_tbEUljE_ZNSN_ISO_Lb0ESQ_SR_ST_SU_SY_EESZ_S10_S11_S12_S16_S17_S18_S1B_S1C_jS1D_jS1E_S1E_jjS1G_bEUljE0_EEESZ_S10_S11_S18_S1C_S1E_T6_T7_T9_mT8_S1G_bDpT10_ENKUlT_T0_E_clISt17integral_constantIbLb0EES1U_EEDaS1P_S1Q_EUlS1P_E_NS1_11comp_targetILNS1_3genE10ELNS1_11target_archE1200ELNS1_3gpuE4ELNS1_3repE0EEENS1_30default_config_static_selectorELNS0_4arch9wavefront6targetE0EEEvS12_.num_vgpr, 93
	.set _ZN7rocprim17ROCPRIM_400000_NS6detail17trampoline_kernelINS0_13select_configILj256ELj13ELNS0_17block_load_methodE3ELS4_3ELS4_3ELNS0_20block_scan_algorithmE0ELj4294967295EEENS1_25partition_config_selectorILNS1_17partition_subalgoE4EjNS0_10empty_typeEbEEZZNS1_14partition_implILS8_4ELb0ES6_15HIP_vector_typeIjLj2EENS0_17counting_iteratorIjlEEPS9_SG_NS0_5tupleIJPjSI_NS0_16reverse_iteratorISI_EEEEENSH_IJSG_SG_SG_EEES9_SI_JZNS1_25segmented_radix_sort_implINS0_14default_configELb0EPKbPbPKlPlN2at6native12_GLOBAL__N_18offset_tEEE10hipError_tPvRmT1_PNSt15iterator_traitsIS12_E10value_typeET2_T3_PNS13_IS18_E10value_typeET4_jRbjT5_S1E_jjP12ihipStream_tbEUljE_ZNSN_ISO_Lb0ESQ_SR_ST_SU_SY_EESZ_S10_S11_S12_S16_S17_S18_S1B_S1C_jS1D_jS1E_S1E_jjS1G_bEUljE0_EEESZ_S10_S11_S18_S1C_S1E_T6_T7_T9_mT8_S1G_bDpT10_ENKUlT_T0_E_clISt17integral_constantIbLb0EES1U_EEDaS1P_S1Q_EUlS1P_E_NS1_11comp_targetILNS1_3genE10ELNS1_11target_archE1200ELNS1_3gpuE4ELNS1_3repE0EEENS1_30default_config_static_selectorELNS0_4arch9wavefront6targetE0EEEvS12_.num_agpr, 0
	.set _ZN7rocprim17ROCPRIM_400000_NS6detail17trampoline_kernelINS0_13select_configILj256ELj13ELNS0_17block_load_methodE3ELS4_3ELS4_3ELNS0_20block_scan_algorithmE0ELj4294967295EEENS1_25partition_config_selectorILNS1_17partition_subalgoE4EjNS0_10empty_typeEbEEZZNS1_14partition_implILS8_4ELb0ES6_15HIP_vector_typeIjLj2EENS0_17counting_iteratorIjlEEPS9_SG_NS0_5tupleIJPjSI_NS0_16reverse_iteratorISI_EEEEENSH_IJSG_SG_SG_EEES9_SI_JZNS1_25segmented_radix_sort_implINS0_14default_configELb0EPKbPbPKlPlN2at6native12_GLOBAL__N_18offset_tEEE10hipError_tPvRmT1_PNSt15iterator_traitsIS12_E10value_typeET2_T3_PNS13_IS18_E10value_typeET4_jRbjT5_S1E_jjP12ihipStream_tbEUljE_ZNSN_ISO_Lb0ESQ_SR_ST_SU_SY_EESZ_S10_S11_S12_S16_S17_S18_S1B_S1C_jS1D_jS1E_S1E_jjS1G_bEUljE0_EEESZ_S10_S11_S18_S1C_S1E_T6_T7_T9_mT8_S1G_bDpT10_ENKUlT_T0_E_clISt17integral_constantIbLb0EES1U_EEDaS1P_S1Q_EUlS1P_E_NS1_11comp_targetILNS1_3genE10ELNS1_11target_archE1200ELNS1_3gpuE4ELNS1_3repE0EEENS1_30default_config_static_selectorELNS0_4arch9wavefront6targetE0EEEvS12_.numbered_sgpr, 58
	.set _ZN7rocprim17ROCPRIM_400000_NS6detail17trampoline_kernelINS0_13select_configILj256ELj13ELNS0_17block_load_methodE3ELS4_3ELS4_3ELNS0_20block_scan_algorithmE0ELj4294967295EEENS1_25partition_config_selectorILNS1_17partition_subalgoE4EjNS0_10empty_typeEbEEZZNS1_14partition_implILS8_4ELb0ES6_15HIP_vector_typeIjLj2EENS0_17counting_iteratorIjlEEPS9_SG_NS0_5tupleIJPjSI_NS0_16reverse_iteratorISI_EEEEENSH_IJSG_SG_SG_EEES9_SI_JZNS1_25segmented_radix_sort_implINS0_14default_configELb0EPKbPbPKlPlN2at6native12_GLOBAL__N_18offset_tEEE10hipError_tPvRmT1_PNSt15iterator_traitsIS12_E10value_typeET2_T3_PNS13_IS18_E10value_typeET4_jRbjT5_S1E_jjP12ihipStream_tbEUljE_ZNSN_ISO_Lb0ESQ_SR_ST_SU_SY_EESZ_S10_S11_S12_S16_S17_S18_S1B_S1C_jS1D_jS1E_S1E_jjS1G_bEUljE0_EEESZ_S10_S11_S18_S1C_S1E_T6_T7_T9_mT8_S1G_bDpT10_ENKUlT_T0_E_clISt17integral_constantIbLb0EES1U_EEDaS1P_S1Q_EUlS1P_E_NS1_11comp_targetILNS1_3genE10ELNS1_11target_archE1200ELNS1_3gpuE4ELNS1_3repE0EEENS1_30default_config_static_selectorELNS0_4arch9wavefront6targetE0EEEvS12_.num_named_barrier, 0
	.set _ZN7rocprim17ROCPRIM_400000_NS6detail17trampoline_kernelINS0_13select_configILj256ELj13ELNS0_17block_load_methodE3ELS4_3ELS4_3ELNS0_20block_scan_algorithmE0ELj4294967295EEENS1_25partition_config_selectorILNS1_17partition_subalgoE4EjNS0_10empty_typeEbEEZZNS1_14partition_implILS8_4ELb0ES6_15HIP_vector_typeIjLj2EENS0_17counting_iteratorIjlEEPS9_SG_NS0_5tupleIJPjSI_NS0_16reverse_iteratorISI_EEEEENSH_IJSG_SG_SG_EEES9_SI_JZNS1_25segmented_radix_sort_implINS0_14default_configELb0EPKbPbPKlPlN2at6native12_GLOBAL__N_18offset_tEEE10hipError_tPvRmT1_PNSt15iterator_traitsIS12_E10value_typeET2_T3_PNS13_IS18_E10value_typeET4_jRbjT5_S1E_jjP12ihipStream_tbEUljE_ZNSN_ISO_Lb0ESQ_SR_ST_SU_SY_EESZ_S10_S11_S12_S16_S17_S18_S1B_S1C_jS1D_jS1E_S1E_jjS1G_bEUljE0_EEESZ_S10_S11_S18_S1C_S1E_T6_T7_T9_mT8_S1G_bDpT10_ENKUlT_T0_E_clISt17integral_constantIbLb0EES1U_EEDaS1P_S1Q_EUlS1P_E_NS1_11comp_targetILNS1_3genE10ELNS1_11target_archE1200ELNS1_3gpuE4ELNS1_3repE0EEENS1_30default_config_static_selectorELNS0_4arch9wavefront6targetE0EEEvS12_.private_seg_size, 0
	.set _ZN7rocprim17ROCPRIM_400000_NS6detail17trampoline_kernelINS0_13select_configILj256ELj13ELNS0_17block_load_methodE3ELS4_3ELS4_3ELNS0_20block_scan_algorithmE0ELj4294967295EEENS1_25partition_config_selectorILNS1_17partition_subalgoE4EjNS0_10empty_typeEbEEZZNS1_14partition_implILS8_4ELb0ES6_15HIP_vector_typeIjLj2EENS0_17counting_iteratorIjlEEPS9_SG_NS0_5tupleIJPjSI_NS0_16reverse_iteratorISI_EEEEENSH_IJSG_SG_SG_EEES9_SI_JZNS1_25segmented_radix_sort_implINS0_14default_configELb0EPKbPbPKlPlN2at6native12_GLOBAL__N_18offset_tEEE10hipError_tPvRmT1_PNSt15iterator_traitsIS12_E10value_typeET2_T3_PNS13_IS18_E10value_typeET4_jRbjT5_S1E_jjP12ihipStream_tbEUljE_ZNSN_ISO_Lb0ESQ_SR_ST_SU_SY_EESZ_S10_S11_S12_S16_S17_S18_S1B_S1C_jS1D_jS1E_S1E_jjS1G_bEUljE0_EEESZ_S10_S11_S18_S1C_S1E_T6_T7_T9_mT8_S1G_bDpT10_ENKUlT_T0_E_clISt17integral_constantIbLb0EES1U_EEDaS1P_S1Q_EUlS1P_E_NS1_11comp_targetILNS1_3genE10ELNS1_11target_archE1200ELNS1_3gpuE4ELNS1_3repE0EEENS1_30default_config_static_selectorELNS0_4arch9wavefront6targetE0EEEvS12_.uses_vcc, 1
	.set _ZN7rocprim17ROCPRIM_400000_NS6detail17trampoline_kernelINS0_13select_configILj256ELj13ELNS0_17block_load_methodE3ELS4_3ELS4_3ELNS0_20block_scan_algorithmE0ELj4294967295EEENS1_25partition_config_selectorILNS1_17partition_subalgoE4EjNS0_10empty_typeEbEEZZNS1_14partition_implILS8_4ELb0ES6_15HIP_vector_typeIjLj2EENS0_17counting_iteratorIjlEEPS9_SG_NS0_5tupleIJPjSI_NS0_16reverse_iteratorISI_EEEEENSH_IJSG_SG_SG_EEES9_SI_JZNS1_25segmented_radix_sort_implINS0_14default_configELb0EPKbPbPKlPlN2at6native12_GLOBAL__N_18offset_tEEE10hipError_tPvRmT1_PNSt15iterator_traitsIS12_E10value_typeET2_T3_PNS13_IS18_E10value_typeET4_jRbjT5_S1E_jjP12ihipStream_tbEUljE_ZNSN_ISO_Lb0ESQ_SR_ST_SU_SY_EESZ_S10_S11_S12_S16_S17_S18_S1B_S1C_jS1D_jS1E_S1E_jjS1G_bEUljE0_EEESZ_S10_S11_S18_S1C_S1E_T6_T7_T9_mT8_S1G_bDpT10_ENKUlT_T0_E_clISt17integral_constantIbLb0EES1U_EEDaS1P_S1Q_EUlS1P_E_NS1_11comp_targetILNS1_3genE10ELNS1_11target_archE1200ELNS1_3gpuE4ELNS1_3repE0EEENS1_30default_config_static_selectorELNS0_4arch9wavefront6targetE0EEEvS12_.uses_flat_scratch, 0
	.set _ZN7rocprim17ROCPRIM_400000_NS6detail17trampoline_kernelINS0_13select_configILj256ELj13ELNS0_17block_load_methodE3ELS4_3ELS4_3ELNS0_20block_scan_algorithmE0ELj4294967295EEENS1_25partition_config_selectorILNS1_17partition_subalgoE4EjNS0_10empty_typeEbEEZZNS1_14partition_implILS8_4ELb0ES6_15HIP_vector_typeIjLj2EENS0_17counting_iteratorIjlEEPS9_SG_NS0_5tupleIJPjSI_NS0_16reverse_iteratorISI_EEEEENSH_IJSG_SG_SG_EEES9_SI_JZNS1_25segmented_radix_sort_implINS0_14default_configELb0EPKbPbPKlPlN2at6native12_GLOBAL__N_18offset_tEEE10hipError_tPvRmT1_PNSt15iterator_traitsIS12_E10value_typeET2_T3_PNS13_IS18_E10value_typeET4_jRbjT5_S1E_jjP12ihipStream_tbEUljE_ZNSN_ISO_Lb0ESQ_SR_ST_SU_SY_EESZ_S10_S11_S12_S16_S17_S18_S1B_S1C_jS1D_jS1E_S1E_jjS1G_bEUljE0_EEESZ_S10_S11_S18_S1C_S1E_T6_T7_T9_mT8_S1G_bDpT10_ENKUlT_T0_E_clISt17integral_constantIbLb0EES1U_EEDaS1P_S1Q_EUlS1P_E_NS1_11comp_targetILNS1_3genE10ELNS1_11target_archE1200ELNS1_3gpuE4ELNS1_3repE0EEENS1_30default_config_static_selectorELNS0_4arch9wavefront6targetE0EEEvS12_.has_dyn_sized_stack, 0
	.set _ZN7rocprim17ROCPRIM_400000_NS6detail17trampoline_kernelINS0_13select_configILj256ELj13ELNS0_17block_load_methodE3ELS4_3ELS4_3ELNS0_20block_scan_algorithmE0ELj4294967295EEENS1_25partition_config_selectorILNS1_17partition_subalgoE4EjNS0_10empty_typeEbEEZZNS1_14partition_implILS8_4ELb0ES6_15HIP_vector_typeIjLj2EENS0_17counting_iteratorIjlEEPS9_SG_NS0_5tupleIJPjSI_NS0_16reverse_iteratorISI_EEEEENSH_IJSG_SG_SG_EEES9_SI_JZNS1_25segmented_radix_sort_implINS0_14default_configELb0EPKbPbPKlPlN2at6native12_GLOBAL__N_18offset_tEEE10hipError_tPvRmT1_PNSt15iterator_traitsIS12_E10value_typeET2_T3_PNS13_IS18_E10value_typeET4_jRbjT5_S1E_jjP12ihipStream_tbEUljE_ZNSN_ISO_Lb0ESQ_SR_ST_SU_SY_EESZ_S10_S11_S12_S16_S17_S18_S1B_S1C_jS1D_jS1E_S1E_jjS1G_bEUljE0_EEESZ_S10_S11_S18_S1C_S1E_T6_T7_T9_mT8_S1G_bDpT10_ENKUlT_T0_E_clISt17integral_constantIbLb0EES1U_EEDaS1P_S1Q_EUlS1P_E_NS1_11comp_targetILNS1_3genE10ELNS1_11target_archE1200ELNS1_3gpuE4ELNS1_3repE0EEENS1_30default_config_static_selectorELNS0_4arch9wavefront6targetE0EEEvS12_.has_recursion, 0
	.set _ZN7rocprim17ROCPRIM_400000_NS6detail17trampoline_kernelINS0_13select_configILj256ELj13ELNS0_17block_load_methodE3ELS4_3ELS4_3ELNS0_20block_scan_algorithmE0ELj4294967295EEENS1_25partition_config_selectorILNS1_17partition_subalgoE4EjNS0_10empty_typeEbEEZZNS1_14partition_implILS8_4ELb0ES6_15HIP_vector_typeIjLj2EENS0_17counting_iteratorIjlEEPS9_SG_NS0_5tupleIJPjSI_NS0_16reverse_iteratorISI_EEEEENSH_IJSG_SG_SG_EEES9_SI_JZNS1_25segmented_radix_sort_implINS0_14default_configELb0EPKbPbPKlPlN2at6native12_GLOBAL__N_18offset_tEEE10hipError_tPvRmT1_PNSt15iterator_traitsIS12_E10value_typeET2_T3_PNS13_IS18_E10value_typeET4_jRbjT5_S1E_jjP12ihipStream_tbEUljE_ZNSN_ISO_Lb0ESQ_SR_ST_SU_SY_EESZ_S10_S11_S12_S16_S17_S18_S1B_S1C_jS1D_jS1E_S1E_jjS1G_bEUljE0_EEESZ_S10_S11_S18_S1C_S1E_T6_T7_T9_mT8_S1G_bDpT10_ENKUlT_T0_E_clISt17integral_constantIbLb0EES1U_EEDaS1P_S1Q_EUlS1P_E_NS1_11comp_targetILNS1_3genE10ELNS1_11target_archE1200ELNS1_3gpuE4ELNS1_3repE0EEENS1_30default_config_static_selectorELNS0_4arch9wavefront6targetE0EEEvS12_.has_indirect_call, 0
	.section	.AMDGPU.csdata,"",@progbits
; Kernel info:
; codeLenInByte = 18900
; TotalNumSgprs: 60
; NumVgprs: 93
; ScratchSize: 0
; MemoryBound: 0
; FloatMode: 240
; IeeeMode: 1
; LDSByteSize: 13328 bytes/workgroup (compile time only)
; SGPRBlocks: 0
; VGPRBlocks: 11
; NumSGPRsForWavesPerEU: 60
; NumVGPRsForWavesPerEU: 93
; Occupancy: 16
; WaveLimiterHint : 1
; COMPUTE_PGM_RSRC2:SCRATCH_EN: 0
; COMPUTE_PGM_RSRC2:USER_SGPR: 2
; COMPUTE_PGM_RSRC2:TRAP_HANDLER: 0
; COMPUTE_PGM_RSRC2:TGID_X_EN: 1
; COMPUTE_PGM_RSRC2:TGID_Y_EN: 0
; COMPUTE_PGM_RSRC2:TGID_Z_EN: 0
; COMPUTE_PGM_RSRC2:TIDIG_COMP_CNT: 0
	.section	.text._ZN7rocprim17ROCPRIM_400000_NS6detail17trampoline_kernelINS0_13select_configILj256ELj13ELNS0_17block_load_methodE3ELS4_3ELS4_3ELNS0_20block_scan_algorithmE0ELj4294967295EEENS1_25partition_config_selectorILNS1_17partition_subalgoE4EjNS0_10empty_typeEbEEZZNS1_14partition_implILS8_4ELb0ES6_15HIP_vector_typeIjLj2EENS0_17counting_iteratorIjlEEPS9_SG_NS0_5tupleIJPjSI_NS0_16reverse_iteratorISI_EEEEENSH_IJSG_SG_SG_EEES9_SI_JZNS1_25segmented_radix_sort_implINS0_14default_configELb0EPKbPbPKlPlN2at6native12_GLOBAL__N_18offset_tEEE10hipError_tPvRmT1_PNSt15iterator_traitsIS12_E10value_typeET2_T3_PNS13_IS18_E10value_typeET4_jRbjT5_S1E_jjP12ihipStream_tbEUljE_ZNSN_ISO_Lb0ESQ_SR_ST_SU_SY_EESZ_S10_S11_S12_S16_S17_S18_S1B_S1C_jS1D_jS1E_S1E_jjS1G_bEUljE0_EEESZ_S10_S11_S18_S1C_S1E_T6_T7_T9_mT8_S1G_bDpT10_ENKUlT_T0_E_clISt17integral_constantIbLb0EES1U_EEDaS1P_S1Q_EUlS1P_E_NS1_11comp_targetILNS1_3genE9ELNS1_11target_archE1100ELNS1_3gpuE3ELNS1_3repE0EEENS1_30default_config_static_selectorELNS0_4arch9wavefront6targetE0EEEvS12_,"axG",@progbits,_ZN7rocprim17ROCPRIM_400000_NS6detail17trampoline_kernelINS0_13select_configILj256ELj13ELNS0_17block_load_methodE3ELS4_3ELS4_3ELNS0_20block_scan_algorithmE0ELj4294967295EEENS1_25partition_config_selectorILNS1_17partition_subalgoE4EjNS0_10empty_typeEbEEZZNS1_14partition_implILS8_4ELb0ES6_15HIP_vector_typeIjLj2EENS0_17counting_iteratorIjlEEPS9_SG_NS0_5tupleIJPjSI_NS0_16reverse_iteratorISI_EEEEENSH_IJSG_SG_SG_EEES9_SI_JZNS1_25segmented_radix_sort_implINS0_14default_configELb0EPKbPbPKlPlN2at6native12_GLOBAL__N_18offset_tEEE10hipError_tPvRmT1_PNSt15iterator_traitsIS12_E10value_typeET2_T3_PNS13_IS18_E10value_typeET4_jRbjT5_S1E_jjP12ihipStream_tbEUljE_ZNSN_ISO_Lb0ESQ_SR_ST_SU_SY_EESZ_S10_S11_S12_S16_S17_S18_S1B_S1C_jS1D_jS1E_S1E_jjS1G_bEUljE0_EEESZ_S10_S11_S18_S1C_S1E_T6_T7_T9_mT8_S1G_bDpT10_ENKUlT_T0_E_clISt17integral_constantIbLb0EES1U_EEDaS1P_S1Q_EUlS1P_E_NS1_11comp_targetILNS1_3genE9ELNS1_11target_archE1100ELNS1_3gpuE3ELNS1_3repE0EEENS1_30default_config_static_selectorELNS0_4arch9wavefront6targetE0EEEvS12_,comdat
	.globl	_ZN7rocprim17ROCPRIM_400000_NS6detail17trampoline_kernelINS0_13select_configILj256ELj13ELNS0_17block_load_methodE3ELS4_3ELS4_3ELNS0_20block_scan_algorithmE0ELj4294967295EEENS1_25partition_config_selectorILNS1_17partition_subalgoE4EjNS0_10empty_typeEbEEZZNS1_14partition_implILS8_4ELb0ES6_15HIP_vector_typeIjLj2EENS0_17counting_iteratorIjlEEPS9_SG_NS0_5tupleIJPjSI_NS0_16reverse_iteratorISI_EEEEENSH_IJSG_SG_SG_EEES9_SI_JZNS1_25segmented_radix_sort_implINS0_14default_configELb0EPKbPbPKlPlN2at6native12_GLOBAL__N_18offset_tEEE10hipError_tPvRmT1_PNSt15iterator_traitsIS12_E10value_typeET2_T3_PNS13_IS18_E10value_typeET4_jRbjT5_S1E_jjP12ihipStream_tbEUljE_ZNSN_ISO_Lb0ESQ_SR_ST_SU_SY_EESZ_S10_S11_S12_S16_S17_S18_S1B_S1C_jS1D_jS1E_S1E_jjS1G_bEUljE0_EEESZ_S10_S11_S18_S1C_S1E_T6_T7_T9_mT8_S1G_bDpT10_ENKUlT_T0_E_clISt17integral_constantIbLb0EES1U_EEDaS1P_S1Q_EUlS1P_E_NS1_11comp_targetILNS1_3genE9ELNS1_11target_archE1100ELNS1_3gpuE3ELNS1_3repE0EEENS1_30default_config_static_selectorELNS0_4arch9wavefront6targetE0EEEvS12_ ; -- Begin function _ZN7rocprim17ROCPRIM_400000_NS6detail17trampoline_kernelINS0_13select_configILj256ELj13ELNS0_17block_load_methodE3ELS4_3ELS4_3ELNS0_20block_scan_algorithmE0ELj4294967295EEENS1_25partition_config_selectorILNS1_17partition_subalgoE4EjNS0_10empty_typeEbEEZZNS1_14partition_implILS8_4ELb0ES6_15HIP_vector_typeIjLj2EENS0_17counting_iteratorIjlEEPS9_SG_NS0_5tupleIJPjSI_NS0_16reverse_iteratorISI_EEEEENSH_IJSG_SG_SG_EEES9_SI_JZNS1_25segmented_radix_sort_implINS0_14default_configELb0EPKbPbPKlPlN2at6native12_GLOBAL__N_18offset_tEEE10hipError_tPvRmT1_PNSt15iterator_traitsIS12_E10value_typeET2_T3_PNS13_IS18_E10value_typeET4_jRbjT5_S1E_jjP12ihipStream_tbEUljE_ZNSN_ISO_Lb0ESQ_SR_ST_SU_SY_EESZ_S10_S11_S12_S16_S17_S18_S1B_S1C_jS1D_jS1E_S1E_jjS1G_bEUljE0_EEESZ_S10_S11_S18_S1C_S1E_T6_T7_T9_mT8_S1G_bDpT10_ENKUlT_T0_E_clISt17integral_constantIbLb0EES1U_EEDaS1P_S1Q_EUlS1P_E_NS1_11comp_targetILNS1_3genE9ELNS1_11target_archE1100ELNS1_3gpuE3ELNS1_3repE0EEENS1_30default_config_static_selectorELNS0_4arch9wavefront6targetE0EEEvS12_
	.p2align	8
	.type	_ZN7rocprim17ROCPRIM_400000_NS6detail17trampoline_kernelINS0_13select_configILj256ELj13ELNS0_17block_load_methodE3ELS4_3ELS4_3ELNS0_20block_scan_algorithmE0ELj4294967295EEENS1_25partition_config_selectorILNS1_17partition_subalgoE4EjNS0_10empty_typeEbEEZZNS1_14partition_implILS8_4ELb0ES6_15HIP_vector_typeIjLj2EENS0_17counting_iteratorIjlEEPS9_SG_NS0_5tupleIJPjSI_NS0_16reverse_iteratorISI_EEEEENSH_IJSG_SG_SG_EEES9_SI_JZNS1_25segmented_radix_sort_implINS0_14default_configELb0EPKbPbPKlPlN2at6native12_GLOBAL__N_18offset_tEEE10hipError_tPvRmT1_PNSt15iterator_traitsIS12_E10value_typeET2_T3_PNS13_IS18_E10value_typeET4_jRbjT5_S1E_jjP12ihipStream_tbEUljE_ZNSN_ISO_Lb0ESQ_SR_ST_SU_SY_EESZ_S10_S11_S12_S16_S17_S18_S1B_S1C_jS1D_jS1E_S1E_jjS1G_bEUljE0_EEESZ_S10_S11_S18_S1C_S1E_T6_T7_T9_mT8_S1G_bDpT10_ENKUlT_T0_E_clISt17integral_constantIbLb0EES1U_EEDaS1P_S1Q_EUlS1P_E_NS1_11comp_targetILNS1_3genE9ELNS1_11target_archE1100ELNS1_3gpuE3ELNS1_3repE0EEENS1_30default_config_static_selectorELNS0_4arch9wavefront6targetE0EEEvS12_,@function
_ZN7rocprim17ROCPRIM_400000_NS6detail17trampoline_kernelINS0_13select_configILj256ELj13ELNS0_17block_load_methodE3ELS4_3ELS4_3ELNS0_20block_scan_algorithmE0ELj4294967295EEENS1_25partition_config_selectorILNS1_17partition_subalgoE4EjNS0_10empty_typeEbEEZZNS1_14partition_implILS8_4ELb0ES6_15HIP_vector_typeIjLj2EENS0_17counting_iteratorIjlEEPS9_SG_NS0_5tupleIJPjSI_NS0_16reverse_iteratorISI_EEEEENSH_IJSG_SG_SG_EEES9_SI_JZNS1_25segmented_radix_sort_implINS0_14default_configELb0EPKbPbPKlPlN2at6native12_GLOBAL__N_18offset_tEEE10hipError_tPvRmT1_PNSt15iterator_traitsIS12_E10value_typeET2_T3_PNS13_IS18_E10value_typeET4_jRbjT5_S1E_jjP12ihipStream_tbEUljE_ZNSN_ISO_Lb0ESQ_SR_ST_SU_SY_EESZ_S10_S11_S12_S16_S17_S18_S1B_S1C_jS1D_jS1E_S1E_jjS1G_bEUljE0_EEESZ_S10_S11_S18_S1C_S1E_T6_T7_T9_mT8_S1G_bDpT10_ENKUlT_T0_E_clISt17integral_constantIbLb0EES1U_EEDaS1P_S1Q_EUlS1P_E_NS1_11comp_targetILNS1_3genE9ELNS1_11target_archE1100ELNS1_3gpuE3ELNS1_3repE0EEENS1_30default_config_static_selectorELNS0_4arch9wavefront6targetE0EEEvS12_: ; @_ZN7rocprim17ROCPRIM_400000_NS6detail17trampoline_kernelINS0_13select_configILj256ELj13ELNS0_17block_load_methodE3ELS4_3ELS4_3ELNS0_20block_scan_algorithmE0ELj4294967295EEENS1_25partition_config_selectorILNS1_17partition_subalgoE4EjNS0_10empty_typeEbEEZZNS1_14partition_implILS8_4ELb0ES6_15HIP_vector_typeIjLj2EENS0_17counting_iteratorIjlEEPS9_SG_NS0_5tupleIJPjSI_NS0_16reverse_iteratorISI_EEEEENSH_IJSG_SG_SG_EEES9_SI_JZNS1_25segmented_radix_sort_implINS0_14default_configELb0EPKbPbPKlPlN2at6native12_GLOBAL__N_18offset_tEEE10hipError_tPvRmT1_PNSt15iterator_traitsIS12_E10value_typeET2_T3_PNS13_IS18_E10value_typeET4_jRbjT5_S1E_jjP12ihipStream_tbEUljE_ZNSN_ISO_Lb0ESQ_SR_ST_SU_SY_EESZ_S10_S11_S12_S16_S17_S18_S1B_S1C_jS1D_jS1E_S1E_jjS1G_bEUljE0_EEESZ_S10_S11_S18_S1C_S1E_T6_T7_T9_mT8_S1G_bDpT10_ENKUlT_T0_E_clISt17integral_constantIbLb0EES1U_EEDaS1P_S1Q_EUlS1P_E_NS1_11comp_targetILNS1_3genE9ELNS1_11target_archE1100ELNS1_3gpuE3ELNS1_3repE0EEENS1_30default_config_static_selectorELNS0_4arch9wavefront6targetE0EEEvS12_
; %bb.0:
	.section	.rodata,"a",@progbits
	.p2align	6, 0x0
	.amdhsa_kernel _ZN7rocprim17ROCPRIM_400000_NS6detail17trampoline_kernelINS0_13select_configILj256ELj13ELNS0_17block_load_methodE3ELS4_3ELS4_3ELNS0_20block_scan_algorithmE0ELj4294967295EEENS1_25partition_config_selectorILNS1_17partition_subalgoE4EjNS0_10empty_typeEbEEZZNS1_14partition_implILS8_4ELb0ES6_15HIP_vector_typeIjLj2EENS0_17counting_iteratorIjlEEPS9_SG_NS0_5tupleIJPjSI_NS0_16reverse_iteratorISI_EEEEENSH_IJSG_SG_SG_EEES9_SI_JZNS1_25segmented_radix_sort_implINS0_14default_configELb0EPKbPbPKlPlN2at6native12_GLOBAL__N_18offset_tEEE10hipError_tPvRmT1_PNSt15iterator_traitsIS12_E10value_typeET2_T3_PNS13_IS18_E10value_typeET4_jRbjT5_S1E_jjP12ihipStream_tbEUljE_ZNSN_ISO_Lb0ESQ_SR_ST_SU_SY_EESZ_S10_S11_S12_S16_S17_S18_S1B_S1C_jS1D_jS1E_S1E_jjS1G_bEUljE0_EEESZ_S10_S11_S18_S1C_S1E_T6_T7_T9_mT8_S1G_bDpT10_ENKUlT_T0_E_clISt17integral_constantIbLb0EES1U_EEDaS1P_S1Q_EUlS1P_E_NS1_11comp_targetILNS1_3genE9ELNS1_11target_archE1100ELNS1_3gpuE3ELNS1_3repE0EEENS1_30default_config_static_selectorELNS0_4arch9wavefront6targetE0EEEvS12_
		.amdhsa_group_segment_fixed_size 0
		.amdhsa_private_segment_fixed_size 0
		.amdhsa_kernarg_size 176
		.amdhsa_user_sgpr_count 2
		.amdhsa_user_sgpr_dispatch_ptr 0
		.amdhsa_user_sgpr_queue_ptr 0
		.amdhsa_user_sgpr_kernarg_segment_ptr 1
		.amdhsa_user_sgpr_dispatch_id 0
		.amdhsa_user_sgpr_private_segment_size 0
		.amdhsa_wavefront_size32 1
		.amdhsa_uses_dynamic_stack 0
		.amdhsa_enable_private_segment 0
		.amdhsa_system_sgpr_workgroup_id_x 1
		.amdhsa_system_sgpr_workgroup_id_y 0
		.amdhsa_system_sgpr_workgroup_id_z 0
		.amdhsa_system_sgpr_workgroup_info 0
		.amdhsa_system_vgpr_workitem_id 0
		.amdhsa_next_free_vgpr 1
		.amdhsa_next_free_sgpr 1
		.amdhsa_reserve_vcc 0
		.amdhsa_float_round_mode_32 0
		.amdhsa_float_round_mode_16_64 0
		.amdhsa_float_denorm_mode_32 3
		.amdhsa_float_denorm_mode_16_64 3
		.amdhsa_fp16_overflow 0
		.amdhsa_workgroup_processor_mode 1
		.amdhsa_memory_ordered 1
		.amdhsa_forward_progress 1
		.amdhsa_inst_pref_size 0
		.amdhsa_round_robin_scheduling 0
		.amdhsa_exception_fp_ieee_invalid_op 0
		.amdhsa_exception_fp_denorm_src 0
		.amdhsa_exception_fp_ieee_div_zero 0
		.amdhsa_exception_fp_ieee_overflow 0
		.amdhsa_exception_fp_ieee_underflow 0
		.amdhsa_exception_fp_ieee_inexact 0
		.amdhsa_exception_int_div_zero 0
	.end_amdhsa_kernel
	.section	.text._ZN7rocprim17ROCPRIM_400000_NS6detail17trampoline_kernelINS0_13select_configILj256ELj13ELNS0_17block_load_methodE3ELS4_3ELS4_3ELNS0_20block_scan_algorithmE0ELj4294967295EEENS1_25partition_config_selectorILNS1_17partition_subalgoE4EjNS0_10empty_typeEbEEZZNS1_14partition_implILS8_4ELb0ES6_15HIP_vector_typeIjLj2EENS0_17counting_iteratorIjlEEPS9_SG_NS0_5tupleIJPjSI_NS0_16reverse_iteratorISI_EEEEENSH_IJSG_SG_SG_EEES9_SI_JZNS1_25segmented_radix_sort_implINS0_14default_configELb0EPKbPbPKlPlN2at6native12_GLOBAL__N_18offset_tEEE10hipError_tPvRmT1_PNSt15iterator_traitsIS12_E10value_typeET2_T3_PNS13_IS18_E10value_typeET4_jRbjT5_S1E_jjP12ihipStream_tbEUljE_ZNSN_ISO_Lb0ESQ_SR_ST_SU_SY_EESZ_S10_S11_S12_S16_S17_S18_S1B_S1C_jS1D_jS1E_S1E_jjS1G_bEUljE0_EEESZ_S10_S11_S18_S1C_S1E_T6_T7_T9_mT8_S1G_bDpT10_ENKUlT_T0_E_clISt17integral_constantIbLb0EES1U_EEDaS1P_S1Q_EUlS1P_E_NS1_11comp_targetILNS1_3genE9ELNS1_11target_archE1100ELNS1_3gpuE3ELNS1_3repE0EEENS1_30default_config_static_selectorELNS0_4arch9wavefront6targetE0EEEvS12_,"axG",@progbits,_ZN7rocprim17ROCPRIM_400000_NS6detail17trampoline_kernelINS0_13select_configILj256ELj13ELNS0_17block_load_methodE3ELS4_3ELS4_3ELNS0_20block_scan_algorithmE0ELj4294967295EEENS1_25partition_config_selectorILNS1_17partition_subalgoE4EjNS0_10empty_typeEbEEZZNS1_14partition_implILS8_4ELb0ES6_15HIP_vector_typeIjLj2EENS0_17counting_iteratorIjlEEPS9_SG_NS0_5tupleIJPjSI_NS0_16reverse_iteratorISI_EEEEENSH_IJSG_SG_SG_EEES9_SI_JZNS1_25segmented_radix_sort_implINS0_14default_configELb0EPKbPbPKlPlN2at6native12_GLOBAL__N_18offset_tEEE10hipError_tPvRmT1_PNSt15iterator_traitsIS12_E10value_typeET2_T3_PNS13_IS18_E10value_typeET4_jRbjT5_S1E_jjP12ihipStream_tbEUljE_ZNSN_ISO_Lb0ESQ_SR_ST_SU_SY_EESZ_S10_S11_S12_S16_S17_S18_S1B_S1C_jS1D_jS1E_S1E_jjS1G_bEUljE0_EEESZ_S10_S11_S18_S1C_S1E_T6_T7_T9_mT8_S1G_bDpT10_ENKUlT_T0_E_clISt17integral_constantIbLb0EES1U_EEDaS1P_S1Q_EUlS1P_E_NS1_11comp_targetILNS1_3genE9ELNS1_11target_archE1100ELNS1_3gpuE3ELNS1_3repE0EEENS1_30default_config_static_selectorELNS0_4arch9wavefront6targetE0EEEvS12_,comdat
.Lfunc_end1577:
	.size	_ZN7rocprim17ROCPRIM_400000_NS6detail17trampoline_kernelINS0_13select_configILj256ELj13ELNS0_17block_load_methodE3ELS4_3ELS4_3ELNS0_20block_scan_algorithmE0ELj4294967295EEENS1_25partition_config_selectorILNS1_17partition_subalgoE4EjNS0_10empty_typeEbEEZZNS1_14partition_implILS8_4ELb0ES6_15HIP_vector_typeIjLj2EENS0_17counting_iteratorIjlEEPS9_SG_NS0_5tupleIJPjSI_NS0_16reverse_iteratorISI_EEEEENSH_IJSG_SG_SG_EEES9_SI_JZNS1_25segmented_radix_sort_implINS0_14default_configELb0EPKbPbPKlPlN2at6native12_GLOBAL__N_18offset_tEEE10hipError_tPvRmT1_PNSt15iterator_traitsIS12_E10value_typeET2_T3_PNS13_IS18_E10value_typeET4_jRbjT5_S1E_jjP12ihipStream_tbEUljE_ZNSN_ISO_Lb0ESQ_SR_ST_SU_SY_EESZ_S10_S11_S12_S16_S17_S18_S1B_S1C_jS1D_jS1E_S1E_jjS1G_bEUljE0_EEESZ_S10_S11_S18_S1C_S1E_T6_T7_T9_mT8_S1G_bDpT10_ENKUlT_T0_E_clISt17integral_constantIbLb0EES1U_EEDaS1P_S1Q_EUlS1P_E_NS1_11comp_targetILNS1_3genE9ELNS1_11target_archE1100ELNS1_3gpuE3ELNS1_3repE0EEENS1_30default_config_static_selectorELNS0_4arch9wavefront6targetE0EEEvS12_, .Lfunc_end1577-_ZN7rocprim17ROCPRIM_400000_NS6detail17trampoline_kernelINS0_13select_configILj256ELj13ELNS0_17block_load_methodE3ELS4_3ELS4_3ELNS0_20block_scan_algorithmE0ELj4294967295EEENS1_25partition_config_selectorILNS1_17partition_subalgoE4EjNS0_10empty_typeEbEEZZNS1_14partition_implILS8_4ELb0ES6_15HIP_vector_typeIjLj2EENS0_17counting_iteratorIjlEEPS9_SG_NS0_5tupleIJPjSI_NS0_16reverse_iteratorISI_EEEEENSH_IJSG_SG_SG_EEES9_SI_JZNS1_25segmented_radix_sort_implINS0_14default_configELb0EPKbPbPKlPlN2at6native12_GLOBAL__N_18offset_tEEE10hipError_tPvRmT1_PNSt15iterator_traitsIS12_E10value_typeET2_T3_PNS13_IS18_E10value_typeET4_jRbjT5_S1E_jjP12ihipStream_tbEUljE_ZNSN_ISO_Lb0ESQ_SR_ST_SU_SY_EESZ_S10_S11_S12_S16_S17_S18_S1B_S1C_jS1D_jS1E_S1E_jjS1G_bEUljE0_EEESZ_S10_S11_S18_S1C_S1E_T6_T7_T9_mT8_S1G_bDpT10_ENKUlT_T0_E_clISt17integral_constantIbLb0EES1U_EEDaS1P_S1Q_EUlS1P_E_NS1_11comp_targetILNS1_3genE9ELNS1_11target_archE1100ELNS1_3gpuE3ELNS1_3repE0EEENS1_30default_config_static_selectorELNS0_4arch9wavefront6targetE0EEEvS12_
                                        ; -- End function
	.set _ZN7rocprim17ROCPRIM_400000_NS6detail17trampoline_kernelINS0_13select_configILj256ELj13ELNS0_17block_load_methodE3ELS4_3ELS4_3ELNS0_20block_scan_algorithmE0ELj4294967295EEENS1_25partition_config_selectorILNS1_17partition_subalgoE4EjNS0_10empty_typeEbEEZZNS1_14partition_implILS8_4ELb0ES6_15HIP_vector_typeIjLj2EENS0_17counting_iteratorIjlEEPS9_SG_NS0_5tupleIJPjSI_NS0_16reverse_iteratorISI_EEEEENSH_IJSG_SG_SG_EEES9_SI_JZNS1_25segmented_radix_sort_implINS0_14default_configELb0EPKbPbPKlPlN2at6native12_GLOBAL__N_18offset_tEEE10hipError_tPvRmT1_PNSt15iterator_traitsIS12_E10value_typeET2_T3_PNS13_IS18_E10value_typeET4_jRbjT5_S1E_jjP12ihipStream_tbEUljE_ZNSN_ISO_Lb0ESQ_SR_ST_SU_SY_EESZ_S10_S11_S12_S16_S17_S18_S1B_S1C_jS1D_jS1E_S1E_jjS1G_bEUljE0_EEESZ_S10_S11_S18_S1C_S1E_T6_T7_T9_mT8_S1G_bDpT10_ENKUlT_T0_E_clISt17integral_constantIbLb0EES1U_EEDaS1P_S1Q_EUlS1P_E_NS1_11comp_targetILNS1_3genE9ELNS1_11target_archE1100ELNS1_3gpuE3ELNS1_3repE0EEENS1_30default_config_static_selectorELNS0_4arch9wavefront6targetE0EEEvS12_.num_vgpr, 0
	.set _ZN7rocprim17ROCPRIM_400000_NS6detail17trampoline_kernelINS0_13select_configILj256ELj13ELNS0_17block_load_methodE3ELS4_3ELS4_3ELNS0_20block_scan_algorithmE0ELj4294967295EEENS1_25partition_config_selectorILNS1_17partition_subalgoE4EjNS0_10empty_typeEbEEZZNS1_14partition_implILS8_4ELb0ES6_15HIP_vector_typeIjLj2EENS0_17counting_iteratorIjlEEPS9_SG_NS0_5tupleIJPjSI_NS0_16reverse_iteratorISI_EEEEENSH_IJSG_SG_SG_EEES9_SI_JZNS1_25segmented_radix_sort_implINS0_14default_configELb0EPKbPbPKlPlN2at6native12_GLOBAL__N_18offset_tEEE10hipError_tPvRmT1_PNSt15iterator_traitsIS12_E10value_typeET2_T3_PNS13_IS18_E10value_typeET4_jRbjT5_S1E_jjP12ihipStream_tbEUljE_ZNSN_ISO_Lb0ESQ_SR_ST_SU_SY_EESZ_S10_S11_S12_S16_S17_S18_S1B_S1C_jS1D_jS1E_S1E_jjS1G_bEUljE0_EEESZ_S10_S11_S18_S1C_S1E_T6_T7_T9_mT8_S1G_bDpT10_ENKUlT_T0_E_clISt17integral_constantIbLb0EES1U_EEDaS1P_S1Q_EUlS1P_E_NS1_11comp_targetILNS1_3genE9ELNS1_11target_archE1100ELNS1_3gpuE3ELNS1_3repE0EEENS1_30default_config_static_selectorELNS0_4arch9wavefront6targetE0EEEvS12_.num_agpr, 0
	.set _ZN7rocprim17ROCPRIM_400000_NS6detail17trampoline_kernelINS0_13select_configILj256ELj13ELNS0_17block_load_methodE3ELS4_3ELS4_3ELNS0_20block_scan_algorithmE0ELj4294967295EEENS1_25partition_config_selectorILNS1_17partition_subalgoE4EjNS0_10empty_typeEbEEZZNS1_14partition_implILS8_4ELb0ES6_15HIP_vector_typeIjLj2EENS0_17counting_iteratorIjlEEPS9_SG_NS0_5tupleIJPjSI_NS0_16reverse_iteratorISI_EEEEENSH_IJSG_SG_SG_EEES9_SI_JZNS1_25segmented_radix_sort_implINS0_14default_configELb0EPKbPbPKlPlN2at6native12_GLOBAL__N_18offset_tEEE10hipError_tPvRmT1_PNSt15iterator_traitsIS12_E10value_typeET2_T3_PNS13_IS18_E10value_typeET4_jRbjT5_S1E_jjP12ihipStream_tbEUljE_ZNSN_ISO_Lb0ESQ_SR_ST_SU_SY_EESZ_S10_S11_S12_S16_S17_S18_S1B_S1C_jS1D_jS1E_S1E_jjS1G_bEUljE0_EEESZ_S10_S11_S18_S1C_S1E_T6_T7_T9_mT8_S1G_bDpT10_ENKUlT_T0_E_clISt17integral_constantIbLb0EES1U_EEDaS1P_S1Q_EUlS1P_E_NS1_11comp_targetILNS1_3genE9ELNS1_11target_archE1100ELNS1_3gpuE3ELNS1_3repE0EEENS1_30default_config_static_selectorELNS0_4arch9wavefront6targetE0EEEvS12_.numbered_sgpr, 0
	.set _ZN7rocprim17ROCPRIM_400000_NS6detail17trampoline_kernelINS0_13select_configILj256ELj13ELNS0_17block_load_methodE3ELS4_3ELS4_3ELNS0_20block_scan_algorithmE0ELj4294967295EEENS1_25partition_config_selectorILNS1_17partition_subalgoE4EjNS0_10empty_typeEbEEZZNS1_14partition_implILS8_4ELb0ES6_15HIP_vector_typeIjLj2EENS0_17counting_iteratorIjlEEPS9_SG_NS0_5tupleIJPjSI_NS0_16reverse_iteratorISI_EEEEENSH_IJSG_SG_SG_EEES9_SI_JZNS1_25segmented_radix_sort_implINS0_14default_configELb0EPKbPbPKlPlN2at6native12_GLOBAL__N_18offset_tEEE10hipError_tPvRmT1_PNSt15iterator_traitsIS12_E10value_typeET2_T3_PNS13_IS18_E10value_typeET4_jRbjT5_S1E_jjP12ihipStream_tbEUljE_ZNSN_ISO_Lb0ESQ_SR_ST_SU_SY_EESZ_S10_S11_S12_S16_S17_S18_S1B_S1C_jS1D_jS1E_S1E_jjS1G_bEUljE0_EEESZ_S10_S11_S18_S1C_S1E_T6_T7_T9_mT8_S1G_bDpT10_ENKUlT_T0_E_clISt17integral_constantIbLb0EES1U_EEDaS1P_S1Q_EUlS1P_E_NS1_11comp_targetILNS1_3genE9ELNS1_11target_archE1100ELNS1_3gpuE3ELNS1_3repE0EEENS1_30default_config_static_selectorELNS0_4arch9wavefront6targetE0EEEvS12_.num_named_barrier, 0
	.set _ZN7rocprim17ROCPRIM_400000_NS6detail17trampoline_kernelINS0_13select_configILj256ELj13ELNS0_17block_load_methodE3ELS4_3ELS4_3ELNS0_20block_scan_algorithmE0ELj4294967295EEENS1_25partition_config_selectorILNS1_17partition_subalgoE4EjNS0_10empty_typeEbEEZZNS1_14partition_implILS8_4ELb0ES6_15HIP_vector_typeIjLj2EENS0_17counting_iteratorIjlEEPS9_SG_NS0_5tupleIJPjSI_NS0_16reverse_iteratorISI_EEEEENSH_IJSG_SG_SG_EEES9_SI_JZNS1_25segmented_radix_sort_implINS0_14default_configELb0EPKbPbPKlPlN2at6native12_GLOBAL__N_18offset_tEEE10hipError_tPvRmT1_PNSt15iterator_traitsIS12_E10value_typeET2_T3_PNS13_IS18_E10value_typeET4_jRbjT5_S1E_jjP12ihipStream_tbEUljE_ZNSN_ISO_Lb0ESQ_SR_ST_SU_SY_EESZ_S10_S11_S12_S16_S17_S18_S1B_S1C_jS1D_jS1E_S1E_jjS1G_bEUljE0_EEESZ_S10_S11_S18_S1C_S1E_T6_T7_T9_mT8_S1G_bDpT10_ENKUlT_T0_E_clISt17integral_constantIbLb0EES1U_EEDaS1P_S1Q_EUlS1P_E_NS1_11comp_targetILNS1_3genE9ELNS1_11target_archE1100ELNS1_3gpuE3ELNS1_3repE0EEENS1_30default_config_static_selectorELNS0_4arch9wavefront6targetE0EEEvS12_.private_seg_size, 0
	.set _ZN7rocprim17ROCPRIM_400000_NS6detail17trampoline_kernelINS0_13select_configILj256ELj13ELNS0_17block_load_methodE3ELS4_3ELS4_3ELNS0_20block_scan_algorithmE0ELj4294967295EEENS1_25partition_config_selectorILNS1_17partition_subalgoE4EjNS0_10empty_typeEbEEZZNS1_14partition_implILS8_4ELb0ES6_15HIP_vector_typeIjLj2EENS0_17counting_iteratorIjlEEPS9_SG_NS0_5tupleIJPjSI_NS0_16reverse_iteratorISI_EEEEENSH_IJSG_SG_SG_EEES9_SI_JZNS1_25segmented_radix_sort_implINS0_14default_configELb0EPKbPbPKlPlN2at6native12_GLOBAL__N_18offset_tEEE10hipError_tPvRmT1_PNSt15iterator_traitsIS12_E10value_typeET2_T3_PNS13_IS18_E10value_typeET4_jRbjT5_S1E_jjP12ihipStream_tbEUljE_ZNSN_ISO_Lb0ESQ_SR_ST_SU_SY_EESZ_S10_S11_S12_S16_S17_S18_S1B_S1C_jS1D_jS1E_S1E_jjS1G_bEUljE0_EEESZ_S10_S11_S18_S1C_S1E_T6_T7_T9_mT8_S1G_bDpT10_ENKUlT_T0_E_clISt17integral_constantIbLb0EES1U_EEDaS1P_S1Q_EUlS1P_E_NS1_11comp_targetILNS1_3genE9ELNS1_11target_archE1100ELNS1_3gpuE3ELNS1_3repE0EEENS1_30default_config_static_selectorELNS0_4arch9wavefront6targetE0EEEvS12_.uses_vcc, 0
	.set _ZN7rocprim17ROCPRIM_400000_NS6detail17trampoline_kernelINS0_13select_configILj256ELj13ELNS0_17block_load_methodE3ELS4_3ELS4_3ELNS0_20block_scan_algorithmE0ELj4294967295EEENS1_25partition_config_selectorILNS1_17partition_subalgoE4EjNS0_10empty_typeEbEEZZNS1_14partition_implILS8_4ELb0ES6_15HIP_vector_typeIjLj2EENS0_17counting_iteratorIjlEEPS9_SG_NS0_5tupleIJPjSI_NS0_16reverse_iteratorISI_EEEEENSH_IJSG_SG_SG_EEES9_SI_JZNS1_25segmented_radix_sort_implINS0_14default_configELb0EPKbPbPKlPlN2at6native12_GLOBAL__N_18offset_tEEE10hipError_tPvRmT1_PNSt15iterator_traitsIS12_E10value_typeET2_T3_PNS13_IS18_E10value_typeET4_jRbjT5_S1E_jjP12ihipStream_tbEUljE_ZNSN_ISO_Lb0ESQ_SR_ST_SU_SY_EESZ_S10_S11_S12_S16_S17_S18_S1B_S1C_jS1D_jS1E_S1E_jjS1G_bEUljE0_EEESZ_S10_S11_S18_S1C_S1E_T6_T7_T9_mT8_S1G_bDpT10_ENKUlT_T0_E_clISt17integral_constantIbLb0EES1U_EEDaS1P_S1Q_EUlS1P_E_NS1_11comp_targetILNS1_3genE9ELNS1_11target_archE1100ELNS1_3gpuE3ELNS1_3repE0EEENS1_30default_config_static_selectorELNS0_4arch9wavefront6targetE0EEEvS12_.uses_flat_scratch, 0
	.set _ZN7rocprim17ROCPRIM_400000_NS6detail17trampoline_kernelINS0_13select_configILj256ELj13ELNS0_17block_load_methodE3ELS4_3ELS4_3ELNS0_20block_scan_algorithmE0ELj4294967295EEENS1_25partition_config_selectorILNS1_17partition_subalgoE4EjNS0_10empty_typeEbEEZZNS1_14partition_implILS8_4ELb0ES6_15HIP_vector_typeIjLj2EENS0_17counting_iteratorIjlEEPS9_SG_NS0_5tupleIJPjSI_NS0_16reverse_iteratorISI_EEEEENSH_IJSG_SG_SG_EEES9_SI_JZNS1_25segmented_radix_sort_implINS0_14default_configELb0EPKbPbPKlPlN2at6native12_GLOBAL__N_18offset_tEEE10hipError_tPvRmT1_PNSt15iterator_traitsIS12_E10value_typeET2_T3_PNS13_IS18_E10value_typeET4_jRbjT5_S1E_jjP12ihipStream_tbEUljE_ZNSN_ISO_Lb0ESQ_SR_ST_SU_SY_EESZ_S10_S11_S12_S16_S17_S18_S1B_S1C_jS1D_jS1E_S1E_jjS1G_bEUljE0_EEESZ_S10_S11_S18_S1C_S1E_T6_T7_T9_mT8_S1G_bDpT10_ENKUlT_T0_E_clISt17integral_constantIbLb0EES1U_EEDaS1P_S1Q_EUlS1P_E_NS1_11comp_targetILNS1_3genE9ELNS1_11target_archE1100ELNS1_3gpuE3ELNS1_3repE0EEENS1_30default_config_static_selectorELNS0_4arch9wavefront6targetE0EEEvS12_.has_dyn_sized_stack, 0
	.set _ZN7rocprim17ROCPRIM_400000_NS6detail17trampoline_kernelINS0_13select_configILj256ELj13ELNS0_17block_load_methodE3ELS4_3ELS4_3ELNS0_20block_scan_algorithmE0ELj4294967295EEENS1_25partition_config_selectorILNS1_17partition_subalgoE4EjNS0_10empty_typeEbEEZZNS1_14partition_implILS8_4ELb0ES6_15HIP_vector_typeIjLj2EENS0_17counting_iteratorIjlEEPS9_SG_NS0_5tupleIJPjSI_NS0_16reverse_iteratorISI_EEEEENSH_IJSG_SG_SG_EEES9_SI_JZNS1_25segmented_radix_sort_implINS0_14default_configELb0EPKbPbPKlPlN2at6native12_GLOBAL__N_18offset_tEEE10hipError_tPvRmT1_PNSt15iterator_traitsIS12_E10value_typeET2_T3_PNS13_IS18_E10value_typeET4_jRbjT5_S1E_jjP12ihipStream_tbEUljE_ZNSN_ISO_Lb0ESQ_SR_ST_SU_SY_EESZ_S10_S11_S12_S16_S17_S18_S1B_S1C_jS1D_jS1E_S1E_jjS1G_bEUljE0_EEESZ_S10_S11_S18_S1C_S1E_T6_T7_T9_mT8_S1G_bDpT10_ENKUlT_T0_E_clISt17integral_constantIbLb0EES1U_EEDaS1P_S1Q_EUlS1P_E_NS1_11comp_targetILNS1_3genE9ELNS1_11target_archE1100ELNS1_3gpuE3ELNS1_3repE0EEENS1_30default_config_static_selectorELNS0_4arch9wavefront6targetE0EEEvS12_.has_recursion, 0
	.set _ZN7rocprim17ROCPRIM_400000_NS6detail17trampoline_kernelINS0_13select_configILj256ELj13ELNS0_17block_load_methodE3ELS4_3ELS4_3ELNS0_20block_scan_algorithmE0ELj4294967295EEENS1_25partition_config_selectorILNS1_17partition_subalgoE4EjNS0_10empty_typeEbEEZZNS1_14partition_implILS8_4ELb0ES6_15HIP_vector_typeIjLj2EENS0_17counting_iteratorIjlEEPS9_SG_NS0_5tupleIJPjSI_NS0_16reverse_iteratorISI_EEEEENSH_IJSG_SG_SG_EEES9_SI_JZNS1_25segmented_radix_sort_implINS0_14default_configELb0EPKbPbPKlPlN2at6native12_GLOBAL__N_18offset_tEEE10hipError_tPvRmT1_PNSt15iterator_traitsIS12_E10value_typeET2_T3_PNS13_IS18_E10value_typeET4_jRbjT5_S1E_jjP12ihipStream_tbEUljE_ZNSN_ISO_Lb0ESQ_SR_ST_SU_SY_EESZ_S10_S11_S12_S16_S17_S18_S1B_S1C_jS1D_jS1E_S1E_jjS1G_bEUljE0_EEESZ_S10_S11_S18_S1C_S1E_T6_T7_T9_mT8_S1G_bDpT10_ENKUlT_T0_E_clISt17integral_constantIbLb0EES1U_EEDaS1P_S1Q_EUlS1P_E_NS1_11comp_targetILNS1_3genE9ELNS1_11target_archE1100ELNS1_3gpuE3ELNS1_3repE0EEENS1_30default_config_static_selectorELNS0_4arch9wavefront6targetE0EEEvS12_.has_indirect_call, 0
	.section	.AMDGPU.csdata,"",@progbits
; Kernel info:
; codeLenInByte = 0
; TotalNumSgprs: 0
; NumVgprs: 0
; ScratchSize: 0
; MemoryBound: 0
; FloatMode: 240
; IeeeMode: 1
; LDSByteSize: 0 bytes/workgroup (compile time only)
; SGPRBlocks: 0
; VGPRBlocks: 0
; NumSGPRsForWavesPerEU: 1
; NumVGPRsForWavesPerEU: 1
; Occupancy: 16
; WaveLimiterHint : 0
; COMPUTE_PGM_RSRC2:SCRATCH_EN: 0
; COMPUTE_PGM_RSRC2:USER_SGPR: 2
; COMPUTE_PGM_RSRC2:TRAP_HANDLER: 0
; COMPUTE_PGM_RSRC2:TGID_X_EN: 1
; COMPUTE_PGM_RSRC2:TGID_Y_EN: 0
; COMPUTE_PGM_RSRC2:TGID_Z_EN: 0
; COMPUTE_PGM_RSRC2:TIDIG_COMP_CNT: 0
	.section	.text._ZN7rocprim17ROCPRIM_400000_NS6detail17trampoline_kernelINS0_13select_configILj256ELj13ELNS0_17block_load_methodE3ELS4_3ELS4_3ELNS0_20block_scan_algorithmE0ELj4294967295EEENS1_25partition_config_selectorILNS1_17partition_subalgoE4EjNS0_10empty_typeEbEEZZNS1_14partition_implILS8_4ELb0ES6_15HIP_vector_typeIjLj2EENS0_17counting_iteratorIjlEEPS9_SG_NS0_5tupleIJPjSI_NS0_16reverse_iteratorISI_EEEEENSH_IJSG_SG_SG_EEES9_SI_JZNS1_25segmented_radix_sort_implINS0_14default_configELb0EPKbPbPKlPlN2at6native12_GLOBAL__N_18offset_tEEE10hipError_tPvRmT1_PNSt15iterator_traitsIS12_E10value_typeET2_T3_PNS13_IS18_E10value_typeET4_jRbjT5_S1E_jjP12ihipStream_tbEUljE_ZNSN_ISO_Lb0ESQ_SR_ST_SU_SY_EESZ_S10_S11_S12_S16_S17_S18_S1B_S1C_jS1D_jS1E_S1E_jjS1G_bEUljE0_EEESZ_S10_S11_S18_S1C_S1E_T6_T7_T9_mT8_S1G_bDpT10_ENKUlT_T0_E_clISt17integral_constantIbLb0EES1U_EEDaS1P_S1Q_EUlS1P_E_NS1_11comp_targetILNS1_3genE8ELNS1_11target_archE1030ELNS1_3gpuE2ELNS1_3repE0EEENS1_30default_config_static_selectorELNS0_4arch9wavefront6targetE0EEEvS12_,"axG",@progbits,_ZN7rocprim17ROCPRIM_400000_NS6detail17trampoline_kernelINS0_13select_configILj256ELj13ELNS0_17block_load_methodE3ELS4_3ELS4_3ELNS0_20block_scan_algorithmE0ELj4294967295EEENS1_25partition_config_selectorILNS1_17partition_subalgoE4EjNS0_10empty_typeEbEEZZNS1_14partition_implILS8_4ELb0ES6_15HIP_vector_typeIjLj2EENS0_17counting_iteratorIjlEEPS9_SG_NS0_5tupleIJPjSI_NS0_16reverse_iteratorISI_EEEEENSH_IJSG_SG_SG_EEES9_SI_JZNS1_25segmented_radix_sort_implINS0_14default_configELb0EPKbPbPKlPlN2at6native12_GLOBAL__N_18offset_tEEE10hipError_tPvRmT1_PNSt15iterator_traitsIS12_E10value_typeET2_T3_PNS13_IS18_E10value_typeET4_jRbjT5_S1E_jjP12ihipStream_tbEUljE_ZNSN_ISO_Lb0ESQ_SR_ST_SU_SY_EESZ_S10_S11_S12_S16_S17_S18_S1B_S1C_jS1D_jS1E_S1E_jjS1G_bEUljE0_EEESZ_S10_S11_S18_S1C_S1E_T6_T7_T9_mT8_S1G_bDpT10_ENKUlT_T0_E_clISt17integral_constantIbLb0EES1U_EEDaS1P_S1Q_EUlS1P_E_NS1_11comp_targetILNS1_3genE8ELNS1_11target_archE1030ELNS1_3gpuE2ELNS1_3repE0EEENS1_30default_config_static_selectorELNS0_4arch9wavefront6targetE0EEEvS12_,comdat
	.globl	_ZN7rocprim17ROCPRIM_400000_NS6detail17trampoline_kernelINS0_13select_configILj256ELj13ELNS0_17block_load_methodE3ELS4_3ELS4_3ELNS0_20block_scan_algorithmE0ELj4294967295EEENS1_25partition_config_selectorILNS1_17partition_subalgoE4EjNS0_10empty_typeEbEEZZNS1_14partition_implILS8_4ELb0ES6_15HIP_vector_typeIjLj2EENS0_17counting_iteratorIjlEEPS9_SG_NS0_5tupleIJPjSI_NS0_16reverse_iteratorISI_EEEEENSH_IJSG_SG_SG_EEES9_SI_JZNS1_25segmented_radix_sort_implINS0_14default_configELb0EPKbPbPKlPlN2at6native12_GLOBAL__N_18offset_tEEE10hipError_tPvRmT1_PNSt15iterator_traitsIS12_E10value_typeET2_T3_PNS13_IS18_E10value_typeET4_jRbjT5_S1E_jjP12ihipStream_tbEUljE_ZNSN_ISO_Lb0ESQ_SR_ST_SU_SY_EESZ_S10_S11_S12_S16_S17_S18_S1B_S1C_jS1D_jS1E_S1E_jjS1G_bEUljE0_EEESZ_S10_S11_S18_S1C_S1E_T6_T7_T9_mT8_S1G_bDpT10_ENKUlT_T0_E_clISt17integral_constantIbLb0EES1U_EEDaS1P_S1Q_EUlS1P_E_NS1_11comp_targetILNS1_3genE8ELNS1_11target_archE1030ELNS1_3gpuE2ELNS1_3repE0EEENS1_30default_config_static_selectorELNS0_4arch9wavefront6targetE0EEEvS12_ ; -- Begin function _ZN7rocprim17ROCPRIM_400000_NS6detail17trampoline_kernelINS0_13select_configILj256ELj13ELNS0_17block_load_methodE3ELS4_3ELS4_3ELNS0_20block_scan_algorithmE0ELj4294967295EEENS1_25partition_config_selectorILNS1_17partition_subalgoE4EjNS0_10empty_typeEbEEZZNS1_14partition_implILS8_4ELb0ES6_15HIP_vector_typeIjLj2EENS0_17counting_iteratorIjlEEPS9_SG_NS0_5tupleIJPjSI_NS0_16reverse_iteratorISI_EEEEENSH_IJSG_SG_SG_EEES9_SI_JZNS1_25segmented_radix_sort_implINS0_14default_configELb0EPKbPbPKlPlN2at6native12_GLOBAL__N_18offset_tEEE10hipError_tPvRmT1_PNSt15iterator_traitsIS12_E10value_typeET2_T3_PNS13_IS18_E10value_typeET4_jRbjT5_S1E_jjP12ihipStream_tbEUljE_ZNSN_ISO_Lb0ESQ_SR_ST_SU_SY_EESZ_S10_S11_S12_S16_S17_S18_S1B_S1C_jS1D_jS1E_S1E_jjS1G_bEUljE0_EEESZ_S10_S11_S18_S1C_S1E_T6_T7_T9_mT8_S1G_bDpT10_ENKUlT_T0_E_clISt17integral_constantIbLb0EES1U_EEDaS1P_S1Q_EUlS1P_E_NS1_11comp_targetILNS1_3genE8ELNS1_11target_archE1030ELNS1_3gpuE2ELNS1_3repE0EEENS1_30default_config_static_selectorELNS0_4arch9wavefront6targetE0EEEvS12_
	.p2align	8
	.type	_ZN7rocprim17ROCPRIM_400000_NS6detail17trampoline_kernelINS0_13select_configILj256ELj13ELNS0_17block_load_methodE3ELS4_3ELS4_3ELNS0_20block_scan_algorithmE0ELj4294967295EEENS1_25partition_config_selectorILNS1_17partition_subalgoE4EjNS0_10empty_typeEbEEZZNS1_14partition_implILS8_4ELb0ES6_15HIP_vector_typeIjLj2EENS0_17counting_iteratorIjlEEPS9_SG_NS0_5tupleIJPjSI_NS0_16reverse_iteratorISI_EEEEENSH_IJSG_SG_SG_EEES9_SI_JZNS1_25segmented_radix_sort_implINS0_14default_configELb0EPKbPbPKlPlN2at6native12_GLOBAL__N_18offset_tEEE10hipError_tPvRmT1_PNSt15iterator_traitsIS12_E10value_typeET2_T3_PNS13_IS18_E10value_typeET4_jRbjT5_S1E_jjP12ihipStream_tbEUljE_ZNSN_ISO_Lb0ESQ_SR_ST_SU_SY_EESZ_S10_S11_S12_S16_S17_S18_S1B_S1C_jS1D_jS1E_S1E_jjS1G_bEUljE0_EEESZ_S10_S11_S18_S1C_S1E_T6_T7_T9_mT8_S1G_bDpT10_ENKUlT_T0_E_clISt17integral_constantIbLb0EES1U_EEDaS1P_S1Q_EUlS1P_E_NS1_11comp_targetILNS1_3genE8ELNS1_11target_archE1030ELNS1_3gpuE2ELNS1_3repE0EEENS1_30default_config_static_selectorELNS0_4arch9wavefront6targetE0EEEvS12_,@function
_ZN7rocprim17ROCPRIM_400000_NS6detail17trampoline_kernelINS0_13select_configILj256ELj13ELNS0_17block_load_methodE3ELS4_3ELS4_3ELNS0_20block_scan_algorithmE0ELj4294967295EEENS1_25partition_config_selectorILNS1_17partition_subalgoE4EjNS0_10empty_typeEbEEZZNS1_14partition_implILS8_4ELb0ES6_15HIP_vector_typeIjLj2EENS0_17counting_iteratorIjlEEPS9_SG_NS0_5tupleIJPjSI_NS0_16reverse_iteratorISI_EEEEENSH_IJSG_SG_SG_EEES9_SI_JZNS1_25segmented_radix_sort_implINS0_14default_configELb0EPKbPbPKlPlN2at6native12_GLOBAL__N_18offset_tEEE10hipError_tPvRmT1_PNSt15iterator_traitsIS12_E10value_typeET2_T3_PNS13_IS18_E10value_typeET4_jRbjT5_S1E_jjP12ihipStream_tbEUljE_ZNSN_ISO_Lb0ESQ_SR_ST_SU_SY_EESZ_S10_S11_S12_S16_S17_S18_S1B_S1C_jS1D_jS1E_S1E_jjS1G_bEUljE0_EEESZ_S10_S11_S18_S1C_S1E_T6_T7_T9_mT8_S1G_bDpT10_ENKUlT_T0_E_clISt17integral_constantIbLb0EES1U_EEDaS1P_S1Q_EUlS1P_E_NS1_11comp_targetILNS1_3genE8ELNS1_11target_archE1030ELNS1_3gpuE2ELNS1_3repE0EEENS1_30default_config_static_selectorELNS0_4arch9wavefront6targetE0EEEvS12_: ; @_ZN7rocprim17ROCPRIM_400000_NS6detail17trampoline_kernelINS0_13select_configILj256ELj13ELNS0_17block_load_methodE3ELS4_3ELS4_3ELNS0_20block_scan_algorithmE0ELj4294967295EEENS1_25partition_config_selectorILNS1_17partition_subalgoE4EjNS0_10empty_typeEbEEZZNS1_14partition_implILS8_4ELb0ES6_15HIP_vector_typeIjLj2EENS0_17counting_iteratorIjlEEPS9_SG_NS0_5tupleIJPjSI_NS0_16reverse_iteratorISI_EEEEENSH_IJSG_SG_SG_EEES9_SI_JZNS1_25segmented_radix_sort_implINS0_14default_configELb0EPKbPbPKlPlN2at6native12_GLOBAL__N_18offset_tEEE10hipError_tPvRmT1_PNSt15iterator_traitsIS12_E10value_typeET2_T3_PNS13_IS18_E10value_typeET4_jRbjT5_S1E_jjP12ihipStream_tbEUljE_ZNSN_ISO_Lb0ESQ_SR_ST_SU_SY_EESZ_S10_S11_S12_S16_S17_S18_S1B_S1C_jS1D_jS1E_S1E_jjS1G_bEUljE0_EEESZ_S10_S11_S18_S1C_S1E_T6_T7_T9_mT8_S1G_bDpT10_ENKUlT_T0_E_clISt17integral_constantIbLb0EES1U_EEDaS1P_S1Q_EUlS1P_E_NS1_11comp_targetILNS1_3genE8ELNS1_11target_archE1030ELNS1_3gpuE2ELNS1_3repE0EEENS1_30default_config_static_selectorELNS0_4arch9wavefront6targetE0EEEvS12_
; %bb.0:
	.section	.rodata,"a",@progbits
	.p2align	6, 0x0
	.amdhsa_kernel _ZN7rocprim17ROCPRIM_400000_NS6detail17trampoline_kernelINS0_13select_configILj256ELj13ELNS0_17block_load_methodE3ELS4_3ELS4_3ELNS0_20block_scan_algorithmE0ELj4294967295EEENS1_25partition_config_selectorILNS1_17partition_subalgoE4EjNS0_10empty_typeEbEEZZNS1_14partition_implILS8_4ELb0ES6_15HIP_vector_typeIjLj2EENS0_17counting_iteratorIjlEEPS9_SG_NS0_5tupleIJPjSI_NS0_16reverse_iteratorISI_EEEEENSH_IJSG_SG_SG_EEES9_SI_JZNS1_25segmented_radix_sort_implINS0_14default_configELb0EPKbPbPKlPlN2at6native12_GLOBAL__N_18offset_tEEE10hipError_tPvRmT1_PNSt15iterator_traitsIS12_E10value_typeET2_T3_PNS13_IS18_E10value_typeET4_jRbjT5_S1E_jjP12ihipStream_tbEUljE_ZNSN_ISO_Lb0ESQ_SR_ST_SU_SY_EESZ_S10_S11_S12_S16_S17_S18_S1B_S1C_jS1D_jS1E_S1E_jjS1G_bEUljE0_EEESZ_S10_S11_S18_S1C_S1E_T6_T7_T9_mT8_S1G_bDpT10_ENKUlT_T0_E_clISt17integral_constantIbLb0EES1U_EEDaS1P_S1Q_EUlS1P_E_NS1_11comp_targetILNS1_3genE8ELNS1_11target_archE1030ELNS1_3gpuE2ELNS1_3repE0EEENS1_30default_config_static_selectorELNS0_4arch9wavefront6targetE0EEEvS12_
		.amdhsa_group_segment_fixed_size 0
		.amdhsa_private_segment_fixed_size 0
		.amdhsa_kernarg_size 176
		.amdhsa_user_sgpr_count 2
		.amdhsa_user_sgpr_dispatch_ptr 0
		.amdhsa_user_sgpr_queue_ptr 0
		.amdhsa_user_sgpr_kernarg_segment_ptr 1
		.amdhsa_user_sgpr_dispatch_id 0
		.amdhsa_user_sgpr_private_segment_size 0
		.amdhsa_wavefront_size32 1
		.amdhsa_uses_dynamic_stack 0
		.amdhsa_enable_private_segment 0
		.amdhsa_system_sgpr_workgroup_id_x 1
		.amdhsa_system_sgpr_workgroup_id_y 0
		.amdhsa_system_sgpr_workgroup_id_z 0
		.amdhsa_system_sgpr_workgroup_info 0
		.amdhsa_system_vgpr_workitem_id 0
		.amdhsa_next_free_vgpr 1
		.amdhsa_next_free_sgpr 1
		.amdhsa_reserve_vcc 0
		.amdhsa_float_round_mode_32 0
		.amdhsa_float_round_mode_16_64 0
		.amdhsa_float_denorm_mode_32 3
		.amdhsa_float_denorm_mode_16_64 3
		.amdhsa_fp16_overflow 0
		.amdhsa_workgroup_processor_mode 1
		.amdhsa_memory_ordered 1
		.amdhsa_forward_progress 1
		.amdhsa_inst_pref_size 0
		.amdhsa_round_robin_scheduling 0
		.amdhsa_exception_fp_ieee_invalid_op 0
		.amdhsa_exception_fp_denorm_src 0
		.amdhsa_exception_fp_ieee_div_zero 0
		.amdhsa_exception_fp_ieee_overflow 0
		.amdhsa_exception_fp_ieee_underflow 0
		.amdhsa_exception_fp_ieee_inexact 0
		.amdhsa_exception_int_div_zero 0
	.end_amdhsa_kernel
	.section	.text._ZN7rocprim17ROCPRIM_400000_NS6detail17trampoline_kernelINS0_13select_configILj256ELj13ELNS0_17block_load_methodE3ELS4_3ELS4_3ELNS0_20block_scan_algorithmE0ELj4294967295EEENS1_25partition_config_selectorILNS1_17partition_subalgoE4EjNS0_10empty_typeEbEEZZNS1_14partition_implILS8_4ELb0ES6_15HIP_vector_typeIjLj2EENS0_17counting_iteratorIjlEEPS9_SG_NS0_5tupleIJPjSI_NS0_16reverse_iteratorISI_EEEEENSH_IJSG_SG_SG_EEES9_SI_JZNS1_25segmented_radix_sort_implINS0_14default_configELb0EPKbPbPKlPlN2at6native12_GLOBAL__N_18offset_tEEE10hipError_tPvRmT1_PNSt15iterator_traitsIS12_E10value_typeET2_T3_PNS13_IS18_E10value_typeET4_jRbjT5_S1E_jjP12ihipStream_tbEUljE_ZNSN_ISO_Lb0ESQ_SR_ST_SU_SY_EESZ_S10_S11_S12_S16_S17_S18_S1B_S1C_jS1D_jS1E_S1E_jjS1G_bEUljE0_EEESZ_S10_S11_S18_S1C_S1E_T6_T7_T9_mT8_S1G_bDpT10_ENKUlT_T0_E_clISt17integral_constantIbLb0EES1U_EEDaS1P_S1Q_EUlS1P_E_NS1_11comp_targetILNS1_3genE8ELNS1_11target_archE1030ELNS1_3gpuE2ELNS1_3repE0EEENS1_30default_config_static_selectorELNS0_4arch9wavefront6targetE0EEEvS12_,"axG",@progbits,_ZN7rocprim17ROCPRIM_400000_NS6detail17trampoline_kernelINS0_13select_configILj256ELj13ELNS0_17block_load_methodE3ELS4_3ELS4_3ELNS0_20block_scan_algorithmE0ELj4294967295EEENS1_25partition_config_selectorILNS1_17partition_subalgoE4EjNS0_10empty_typeEbEEZZNS1_14partition_implILS8_4ELb0ES6_15HIP_vector_typeIjLj2EENS0_17counting_iteratorIjlEEPS9_SG_NS0_5tupleIJPjSI_NS0_16reverse_iteratorISI_EEEEENSH_IJSG_SG_SG_EEES9_SI_JZNS1_25segmented_radix_sort_implINS0_14default_configELb0EPKbPbPKlPlN2at6native12_GLOBAL__N_18offset_tEEE10hipError_tPvRmT1_PNSt15iterator_traitsIS12_E10value_typeET2_T3_PNS13_IS18_E10value_typeET4_jRbjT5_S1E_jjP12ihipStream_tbEUljE_ZNSN_ISO_Lb0ESQ_SR_ST_SU_SY_EESZ_S10_S11_S12_S16_S17_S18_S1B_S1C_jS1D_jS1E_S1E_jjS1G_bEUljE0_EEESZ_S10_S11_S18_S1C_S1E_T6_T7_T9_mT8_S1G_bDpT10_ENKUlT_T0_E_clISt17integral_constantIbLb0EES1U_EEDaS1P_S1Q_EUlS1P_E_NS1_11comp_targetILNS1_3genE8ELNS1_11target_archE1030ELNS1_3gpuE2ELNS1_3repE0EEENS1_30default_config_static_selectorELNS0_4arch9wavefront6targetE0EEEvS12_,comdat
.Lfunc_end1578:
	.size	_ZN7rocprim17ROCPRIM_400000_NS6detail17trampoline_kernelINS0_13select_configILj256ELj13ELNS0_17block_load_methodE3ELS4_3ELS4_3ELNS0_20block_scan_algorithmE0ELj4294967295EEENS1_25partition_config_selectorILNS1_17partition_subalgoE4EjNS0_10empty_typeEbEEZZNS1_14partition_implILS8_4ELb0ES6_15HIP_vector_typeIjLj2EENS0_17counting_iteratorIjlEEPS9_SG_NS0_5tupleIJPjSI_NS0_16reverse_iteratorISI_EEEEENSH_IJSG_SG_SG_EEES9_SI_JZNS1_25segmented_radix_sort_implINS0_14default_configELb0EPKbPbPKlPlN2at6native12_GLOBAL__N_18offset_tEEE10hipError_tPvRmT1_PNSt15iterator_traitsIS12_E10value_typeET2_T3_PNS13_IS18_E10value_typeET4_jRbjT5_S1E_jjP12ihipStream_tbEUljE_ZNSN_ISO_Lb0ESQ_SR_ST_SU_SY_EESZ_S10_S11_S12_S16_S17_S18_S1B_S1C_jS1D_jS1E_S1E_jjS1G_bEUljE0_EEESZ_S10_S11_S18_S1C_S1E_T6_T7_T9_mT8_S1G_bDpT10_ENKUlT_T0_E_clISt17integral_constantIbLb0EES1U_EEDaS1P_S1Q_EUlS1P_E_NS1_11comp_targetILNS1_3genE8ELNS1_11target_archE1030ELNS1_3gpuE2ELNS1_3repE0EEENS1_30default_config_static_selectorELNS0_4arch9wavefront6targetE0EEEvS12_, .Lfunc_end1578-_ZN7rocprim17ROCPRIM_400000_NS6detail17trampoline_kernelINS0_13select_configILj256ELj13ELNS0_17block_load_methodE3ELS4_3ELS4_3ELNS0_20block_scan_algorithmE0ELj4294967295EEENS1_25partition_config_selectorILNS1_17partition_subalgoE4EjNS0_10empty_typeEbEEZZNS1_14partition_implILS8_4ELb0ES6_15HIP_vector_typeIjLj2EENS0_17counting_iteratorIjlEEPS9_SG_NS0_5tupleIJPjSI_NS0_16reverse_iteratorISI_EEEEENSH_IJSG_SG_SG_EEES9_SI_JZNS1_25segmented_radix_sort_implINS0_14default_configELb0EPKbPbPKlPlN2at6native12_GLOBAL__N_18offset_tEEE10hipError_tPvRmT1_PNSt15iterator_traitsIS12_E10value_typeET2_T3_PNS13_IS18_E10value_typeET4_jRbjT5_S1E_jjP12ihipStream_tbEUljE_ZNSN_ISO_Lb0ESQ_SR_ST_SU_SY_EESZ_S10_S11_S12_S16_S17_S18_S1B_S1C_jS1D_jS1E_S1E_jjS1G_bEUljE0_EEESZ_S10_S11_S18_S1C_S1E_T6_T7_T9_mT8_S1G_bDpT10_ENKUlT_T0_E_clISt17integral_constantIbLb0EES1U_EEDaS1P_S1Q_EUlS1P_E_NS1_11comp_targetILNS1_3genE8ELNS1_11target_archE1030ELNS1_3gpuE2ELNS1_3repE0EEENS1_30default_config_static_selectorELNS0_4arch9wavefront6targetE0EEEvS12_
                                        ; -- End function
	.set _ZN7rocprim17ROCPRIM_400000_NS6detail17trampoline_kernelINS0_13select_configILj256ELj13ELNS0_17block_load_methodE3ELS4_3ELS4_3ELNS0_20block_scan_algorithmE0ELj4294967295EEENS1_25partition_config_selectorILNS1_17partition_subalgoE4EjNS0_10empty_typeEbEEZZNS1_14partition_implILS8_4ELb0ES6_15HIP_vector_typeIjLj2EENS0_17counting_iteratorIjlEEPS9_SG_NS0_5tupleIJPjSI_NS0_16reverse_iteratorISI_EEEEENSH_IJSG_SG_SG_EEES9_SI_JZNS1_25segmented_radix_sort_implINS0_14default_configELb0EPKbPbPKlPlN2at6native12_GLOBAL__N_18offset_tEEE10hipError_tPvRmT1_PNSt15iterator_traitsIS12_E10value_typeET2_T3_PNS13_IS18_E10value_typeET4_jRbjT5_S1E_jjP12ihipStream_tbEUljE_ZNSN_ISO_Lb0ESQ_SR_ST_SU_SY_EESZ_S10_S11_S12_S16_S17_S18_S1B_S1C_jS1D_jS1E_S1E_jjS1G_bEUljE0_EEESZ_S10_S11_S18_S1C_S1E_T6_T7_T9_mT8_S1G_bDpT10_ENKUlT_T0_E_clISt17integral_constantIbLb0EES1U_EEDaS1P_S1Q_EUlS1P_E_NS1_11comp_targetILNS1_3genE8ELNS1_11target_archE1030ELNS1_3gpuE2ELNS1_3repE0EEENS1_30default_config_static_selectorELNS0_4arch9wavefront6targetE0EEEvS12_.num_vgpr, 0
	.set _ZN7rocprim17ROCPRIM_400000_NS6detail17trampoline_kernelINS0_13select_configILj256ELj13ELNS0_17block_load_methodE3ELS4_3ELS4_3ELNS0_20block_scan_algorithmE0ELj4294967295EEENS1_25partition_config_selectorILNS1_17partition_subalgoE4EjNS0_10empty_typeEbEEZZNS1_14partition_implILS8_4ELb0ES6_15HIP_vector_typeIjLj2EENS0_17counting_iteratorIjlEEPS9_SG_NS0_5tupleIJPjSI_NS0_16reverse_iteratorISI_EEEEENSH_IJSG_SG_SG_EEES9_SI_JZNS1_25segmented_radix_sort_implINS0_14default_configELb0EPKbPbPKlPlN2at6native12_GLOBAL__N_18offset_tEEE10hipError_tPvRmT1_PNSt15iterator_traitsIS12_E10value_typeET2_T3_PNS13_IS18_E10value_typeET4_jRbjT5_S1E_jjP12ihipStream_tbEUljE_ZNSN_ISO_Lb0ESQ_SR_ST_SU_SY_EESZ_S10_S11_S12_S16_S17_S18_S1B_S1C_jS1D_jS1E_S1E_jjS1G_bEUljE0_EEESZ_S10_S11_S18_S1C_S1E_T6_T7_T9_mT8_S1G_bDpT10_ENKUlT_T0_E_clISt17integral_constantIbLb0EES1U_EEDaS1P_S1Q_EUlS1P_E_NS1_11comp_targetILNS1_3genE8ELNS1_11target_archE1030ELNS1_3gpuE2ELNS1_3repE0EEENS1_30default_config_static_selectorELNS0_4arch9wavefront6targetE0EEEvS12_.num_agpr, 0
	.set _ZN7rocprim17ROCPRIM_400000_NS6detail17trampoline_kernelINS0_13select_configILj256ELj13ELNS0_17block_load_methodE3ELS4_3ELS4_3ELNS0_20block_scan_algorithmE0ELj4294967295EEENS1_25partition_config_selectorILNS1_17partition_subalgoE4EjNS0_10empty_typeEbEEZZNS1_14partition_implILS8_4ELb0ES6_15HIP_vector_typeIjLj2EENS0_17counting_iteratorIjlEEPS9_SG_NS0_5tupleIJPjSI_NS0_16reverse_iteratorISI_EEEEENSH_IJSG_SG_SG_EEES9_SI_JZNS1_25segmented_radix_sort_implINS0_14default_configELb0EPKbPbPKlPlN2at6native12_GLOBAL__N_18offset_tEEE10hipError_tPvRmT1_PNSt15iterator_traitsIS12_E10value_typeET2_T3_PNS13_IS18_E10value_typeET4_jRbjT5_S1E_jjP12ihipStream_tbEUljE_ZNSN_ISO_Lb0ESQ_SR_ST_SU_SY_EESZ_S10_S11_S12_S16_S17_S18_S1B_S1C_jS1D_jS1E_S1E_jjS1G_bEUljE0_EEESZ_S10_S11_S18_S1C_S1E_T6_T7_T9_mT8_S1G_bDpT10_ENKUlT_T0_E_clISt17integral_constantIbLb0EES1U_EEDaS1P_S1Q_EUlS1P_E_NS1_11comp_targetILNS1_3genE8ELNS1_11target_archE1030ELNS1_3gpuE2ELNS1_3repE0EEENS1_30default_config_static_selectorELNS0_4arch9wavefront6targetE0EEEvS12_.numbered_sgpr, 0
	.set _ZN7rocprim17ROCPRIM_400000_NS6detail17trampoline_kernelINS0_13select_configILj256ELj13ELNS0_17block_load_methodE3ELS4_3ELS4_3ELNS0_20block_scan_algorithmE0ELj4294967295EEENS1_25partition_config_selectorILNS1_17partition_subalgoE4EjNS0_10empty_typeEbEEZZNS1_14partition_implILS8_4ELb0ES6_15HIP_vector_typeIjLj2EENS0_17counting_iteratorIjlEEPS9_SG_NS0_5tupleIJPjSI_NS0_16reverse_iteratorISI_EEEEENSH_IJSG_SG_SG_EEES9_SI_JZNS1_25segmented_radix_sort_implINS0_14default_configELb0EPKbPbPKlPlN2at6native12_GLOBAL__N_18offset_tEEE10hipError_tPvRmT1_PNSt15iterator_traitsIS12_E10value_typeET2_T3_PNS13_IS18_E10value_typeET4_jRbjT5_S1E_jjP12ihipStream_tbEUljE_ZNSN_ISO_Lb0ESQ_SR_ST_SU_SY_EESZ_S10_S11_S12_S16_S17_S18_S1B_S1C_jS1D_jS1E_S1E_jjS1G_bEUljE0_EEESZ_S10_S11_S18_S1C_S1E_T6_T7_T9_mT8_S1G_bDpT10_ENKUlT_T0_E_clISt17integral_constantIbLb0EES1U_EEDaS1P_S1Q_EUlS1P_E_NS1_11comp_targetILNS1_3genE8ELNS1_11target_archE1030ELNS1_3gpuE2ELNS1_3repE0EEENS1_30default_config_static_selectorELNS0_4arch9wavefront6targetE0EEEvS12_.num_named_barrier, 0
	.set _ZN7rocprim17ROCPRIM_400000_NS6detail17trampoline_kernelINS0_13select_configILj256ELj13ELNS0_17block_load_methodE3ELS4_3ELS4_3ELNS0_20block_scan_algorithmE0ELj4294967295EEENS1_25partition_config_selectorILNS1_17partition_subalgoE4EjNS0_10empty_typeEbEEZZNS1_14partition_implILS8_4ELb0ES6_15HIP_vector_typeIjLj2EENS0_17counting_iteratorIjlEEPS9_SG_NS0_5tupleIJPjSI_NS0_16reverse_iteratorISI_EEEEENSH_IJSG_SG_SG_EEES9_SI_JZNS1_25segmented_radix_sort_implINS0_14default_configELb0EPKbPbPKlPlN2at6native12_GLOBAL__N_18offset_tEEE10hipError_tPvRmT1_PNSt15iterator_traitsIS12_E10value_typeET2_T3_PNS13_IS18_E10value_typeET4_jRbjT5_S1E_jjP12ihipStream_tbEUljE_ZNSN_ISO_Lb0ESQ_SR_ST_SU_SY_EESZ_S10_S11_S12_S16_S17_S18_S1B_S1C_jS1D_jS1E_S1E_jjS1G_bEUljE0_EEESZ_S10_S11_S18_S1C_S1E_T6_T7_T9_mT8_S1G_bDpT10_ENKUlT_T0_E_clISt17integral_constantIbLb0EES1U_EEDaS1P_S1Q_EUlS1P_E_NS1_11comp_targetILNS1_3genE8ELNS1_11target_archE1030ELNS1_3gpuE2ELNS1_3repE0EEENS1_30default_config_static_selectorELNS0_4arch9wavefront6targetE0EEEvS12_.private_seg_size, 0
	.set _ZN7rocprim17ROCPRIM_400000_NS6detail17trampoline_kernelINS0_13select_configILj256ELj13ELNS0_17block_load_methodE3ELS4_3ELS4_3ELNS0_20block_scan_algorithmE0ELj4294967295EEENS1_25partition_config_selectorILNS1_17partition_subalgoE4EjNS0_10empty_typeEbEEZZNS1_14partition_implILS8_4ELb0ES6_15HIP_vector_typeIjLj2EENS0_17counting_iteratorIjlEEPS9_SG_NS0_5tupleIJPjSI_NS0_16reverse_iteratorISI_EEEEENSH_IJSG_SG_SG_EEES9_SI_JZNS1_25segmented_radix_sort_implINS0_14default_configELb0EPKbPbPKlPlN2at6native12_GLOBAL__N_18offset_tEEE10hipError_tPvRmT1_PNSt15iterator_traitsIS12_E10value_typeET2_T3_PNS13_IS18_E10value_typeET4_jRbjT5_S1E_jjP12ihipStream_tbEUljE_ZNSN_ISO_Lb0ESQ_SR_ST_SU_SY_EESZ_S10_S11_S12_S16_S17_S18_S1B_S1C_jS1D_jS1E_S1E_jjS1G_bEUljE0_EEESZ_S10_S11_S18_S1C_S1E_T6_T7_T9_mT8_S1G_bDpT10_ENKUlT_T0_E_clISt17integral_constantIbLb0EES1U_EEDaS1P_S1Q_EUlS1P_E_NS1_11comp_targetILNS1_3genE8ELNS1_11target_archE1030ELNS1_3gpuE2ELNS1_3repE0EEENS1_30default_config_static_selectorELNS0_4arch9wavefront6targetE0EEEvS12_.uses_vcc, 0
	.set _ZN7rocprim17ROCPRIM_400000_NS6detail17trampoline_kernelINS0_13select_configILj256ELj13ELNS0_17block_load_methodE3ELS4_3ELS4_3ELNS0_20block_scan_algorithmE0ELj4294967295EEENS1_25partition_config_selectorILNS1_17partition_subalgoE4EjNS0_10empty_typeEbEEZZNS1_14partition_implILS8_4ELb0ES6_15HIP_vector_typeIjLj2EENS0_17counting_iteratorIjlEEPS9_SG_NS0_5tupleIJPjSI_NS0_16reverse_iteratorISI_EEEEENSH_IJSG_SG_SG_EEES9_SI_JZNS1_25segmented_radix_sort_implINS0_14default_configELb0EPKbPbPKlPlN2at6native12_GLOBAL__N_18offset_tEEE10hipError_tPvRmT1_PNSt15iterator_traitsIS12_E10value_typeET2_T3_PNS13_IS18_E10value_typeET4_jRbjT5_S1E_jjP12ihipStream_tbEUljE_ZNSN_ISO_Lb0ESQ_SR_ST_SU_SY_EESZ_S10_S11_S12_S16_S17_S18_S1B_S1C_jS1D_jS1E_S1E_jjS1G_bEUljE0_EEESZ_S10_S11_S18_S1C_S1E_T6_T7_T9_mT8_S1G_bDpT10_ENKUlT_T0_E_clISt17integral_constantIbLb0EES1U_EEDaS1P_S1Q_EUlS1P_E_NS1_11comp_targetILNS1_3genE8ELNS1_11target_archE1030ELNS1_3gpuE2ELNS1_3repE0EEENS1_30default_config_static_selectorELNS0_4arch9wavefront6targetE0EEEvS12_.uses_flat_scratch, 0
	.set _ZN7rocprim17ROCPRIM_400000_NS6detail17trampoline_kernelINS0_13select_configILj256ELj13ELNS0_17block_load_methodE3ELS4_3ELS4_3ELNS0_20block_scan_algorithmE0ELj4294967295EEENS1_25partition_config_selectorILNS1_17partition_subalgoE4EjNS0_10empty_typeEbEEZZNS1_14partition_implILS8_4ELb0ES6_15HIP_vector_typeIjLj2EENS0_17counting_iteratorIjlEEPS9_SG_NS0_5tupleIJPjSI_NS0_16reverse_iteratorISI_EEEEENSH_IJSG_SG_SG_EEES9_SI_JZNS1_25segmented_radix_sort_implINS0_14default_configELb0EPKbPbPKlPlN2at6native12_GLOBAL__N_18offset_tEEE10hipError_tPvRmT1_PNSt15iterator_traitsIS12_E10value_typeET2_T3_PNS13_IS18_E10value_typeET4_jRbjT5_S1E_jjP12ihipStream_tbEUljE_ZNSN_ISO_Lb0ESQ_SR_ST_SU_SY_EESZ_S10_S11_S12_S16_S17_S18_S1B_S1C_jS1D_jS1E_S1E_jjS1G_bEUljE0_EEESZ_S10_S11_S18_S1C_S1E_T6_T7_T9_mT8_S1G_bDpT10_ENKUlT_T0_E_clISt17integral_constantIbLb0EES1U_EEDaS1P_S1Q_EUlS1P_E_NS1_11comp_targetILNS1_3genE8ELNS1_11target_archE1030ELNS1_3gpuE2ELNS1_3repE0EEENS1_30default_config_static_selectorELNS0_4arch9wavefront6targetE0EEEvS12_.has_dyn_sized_stack, 0
	.set _ZN7rocprim17ROCPRIM_400000_NS6detail17trampoline_kernelINS0_13select_configILj256ELj13ELNS0_17block_load_methodE3ELS4_3ELS4_3ELNS0_20block_scan_algorithmE0ELj4294967295EEENS1_25partition_config_selectorILNS1_17partition_subalgoE4EjNS0_10empty_typeEbEEZZNS1_14partition_implILS8_4ELb0ES6_15HIP_vector_typeIjLj2EENS0_17counting_iteratorIjlEEPS9_SG_NS0_5tupleIJPjSI_NS0_16reverse_iteratorISI_EEEEENSH_IJSG_SG_SG_EEES9_SI_JZNS1_25segmented_radix_sort_implINS0_14default_configELb0EPKbPbPKlPlN2at6native12_GLOBAL__N_18offset_tEEE10hipError_tPvRmT1_PNSt15iterator_traitsIS12_E10value_typeET2_T3_PNS13_IS18_E10value_typeET4_jRbjT5_S1E_jjP12ihipStream_tbEUljE_ZNSN_ISO_Lb0ESQ_SR_ST_SU_SY_EESZ_S10_S11_S12_S16_S17_S18_S1B_S1C_jS1D_jS1E_S1E_jjS1G_bEUljE0_EEESZ_S10_S11_S18_S1C_S1E_T6_T7_T9_mT8_S1G_bDpT10_ENKUlT_T0_E_clISt17integral_constantIbLb0EES1U_EEDaS1P_S1Q_EUlS1P_E_NS1_11comp_targetILNS1_3genE8ELNS1_11target_archE1030ELNS1_3gpuE2ELNS1_3repE0EEENS1_30default_config_static_selectorELNS0_4arch9wavefront6targetE0EEEvS12_.has_recursion, 0
	.set _ZN7rocprim17ROCPRIM_400000_NS6detail17trampoline_kernelINS0_13select_configILj256ELj13ELNS0_17block_load_methodE3ELS4_3ELS4_3ELNS0_20block_scan_algorithmE0ELj4294967295EEENS1_25partition_config_selectorILNS1_17partition_subalgoE4EjNS0_10empty_typeEbEEZZNS1_14partition_implILS8_4ELb0ES6_15HIP_vector_typeIjLj2EENS0_17counting_iteratorIjlEEPS9_SG_NS0_5tupleIJPjSI_NS0_16reverse_iteratorISI_EEEEENSH_IJSG_SG_SG_EEES9_SI_JZNS1_25segmented_radix_sort_implINS0_14default_configELb0EPKbPbPKlPlN2at6native12_GLOBAL__N_18offset_tEEE10hipError_tPvRmT1_PNSt15iterator_traitsIS12_E10value_typeET2_T3_PNS13_IS18_E10value_typeET4_jRbjT5_S1E_jjP12ihipStream_tbEUljE_ZNSN_ISO_Lb0ESQ_SR_ST_SU_SY_EESZ_S10_S11_S12_S16_S17_S18_S1B_S1C_jS1D_jS1E_S1E_jjS1G_bEUljE0_EEESZ_S10_S11_S18_S1C_S1E_T6_T7_T9_mT8_S1G_bDpT10_ENKUlT_T0_E_clISt17integral_constantIbLb0EES1U_EEDaS1P_S1Q_EUlS1P_E_NS1_11comp_targetILNS1_3genE8ELNS1_11target_archE1030ELNS1_3gpuE2ELNS1_3repE0EEENS1_30default_config_static_selectorELNS0_4arch9wavefront6targetE0EEEvS12_.has_indirect_call, 0
	.section	.AMDGPU.csdata,"",@progbits
; Kernel info:
; codeLenInByte = 0
; TotalNumSgprs: 0
; NumVgprs: 0
; ScratchSize: 0
; MemoryBound: 0
; FloatMode: 240
; IeeeMode: 1
; LDSByteSize: 0 bytes/workgroup (compile time only)
; SGPRBlocks: 0
; VGPRBlocks: 0
; NumSGPRsForWavesPerEU: 1
; NumVGPRsForWavesPerEU: 1
; Occupancy: 16
; WaveLimiterHint : 0
; COMPUTE_PGM_RSRC2:SCRATCH_EN: 0
; COMPUTE_PGM_RSRC2:USER_SGPR: 2
; COMPUTE_PGM_RSRC2:TRAP_HANDLER: 0
; COMPUTE_PGM_RSRC2:TGID_X_EN: 1
; COMPUTE_PGM_RSRC2:TGID_Y_EN: 0
; COMPUTE_PGM_RSRC2:TGID_Z_EN: 0
; COMPUTE_PGM_RSRC2:TIDIG_COMP_CNT: 0
	.section	.text._ZN7rocprim17ROCPRIM_400000_NS6detail17trampoline_kernelINS0_13select_configILj256ELj13ELNS0_17block_load_methodE3ELS4_3ELS4_3ELNS0_20block_scan_algorithmE0ELj4294967295EEENS1_25partition_config_selectorILNS1_17partition_subalgoE4EjNS0_10empty_typeEbEEZZNS1_14partition_implILS8_4ELb0ES6_15HIP_vector_typeIjLj2EENS0_17counting_iteratorIjlEEPS9_SG_NS0_5tupleIJPjSI_NS0_16reverse_iteratorISI_EEEEENSH_IJSG_SG_SG_EEES9_SI_JZNS1_25segmented_radix_sort_implINS0_14default_configELb0EPKbPbPKlPlN2at6native12_GLOBAL__N_18offset_tEEE10hipError_tPvRmT1_PNSt15iterator_traitsIS12_E10value_typeET2_T3_PNS13_IS18_E10value_typeET4_jRbjT5_S1E_jjP12ihipStream_tbEUljE_ZNSN_ISO_Lb0ESQ_SR_ST_SU_SY_EESZ_S10_S11_S12_S16_S17_S18_S1B_S1C_jS1D_jS1E_S1E_jjS1G_bEUljE0_EEESZ_S10_S11_S18_S1C_S1E_T6_T7_T9_mT8_S1G_bDpT10_ENKUlT_T0_E_clISt17integral_constantIbLb1EES1U_EEDaS1P_S1Q_EUlS1P_E_NS1_11comp_targetILNS1_3genE0ELNS1_11target_archE4294967295ELNS1_3gpuE0ELNS1_3repE0EEENS1_30default_config_static_selectorELNS0_4arch9wavefront6targetE0EEEvS12_,"axG",@progbits,_ZN7rocprim17ROCPRIM_400000_NS6detail17trampoline_kernelINS0_13select_configILj256ELj13ELNS0_17block_load_methodE3ELS4_3ELS4_3ELNS0_20block_scan_algorithmE0ELj4294967295EEENS1_25partition_config_selectorILNS1_17partition_subalgoE4EjNS0_10empty_typeEbEEZZNS1_14partition_implILS8_4ELb0ES6_15HIP_vector_typeIjLj2EENS0_17counting_iteratorIjlEEPS9_SG_NS0_5tupleIJPjSI_NS0_16reverse_iteratorISI_EEEEENSH_IJSG_SG_SG_EEES9_SI_JZNS1_25segmented_radix_sort_implINS0_14default_configELb0EPKbPbPKlPlN2at6native12_GLOBAL__N_18offset_tEEE10hipError_tPvRmT1_PNSt15iterator_traitsIS12_E10value_typeET2_T3_PNS13_IS18_E10value_typeET4_jRbjT5_S1E_jjP12ihipStream_tbEUljE_ZNSN_ISO_Lb0ESQ_SR_ST_SU_SY_EESZ_S10_S11_S12_S16_S17_S18_S1B_S1C_jS1D_jS1E_S1E_jjS1G_bEUljE0_EEESZ_S10_S11_S18_S1C_S1E_T6_T7_T9_mT8_S1G_bDpT10_ENKUlT_T0_E_clISt17integral_constantIbLb1EES1U_EEDaS1P_S1Q_EUlS1P_E_NS1_11comp_targetILNS1_3genE0ELNS1_11target_archE4294967295ELNS1_3gpuE0ELNS1_3repE0EEENS1_30default_config_static_selectorELNS0_4arch9wavefront6targetE0EEEvS12_,comdat
	.globl	_ZN7rocprim17ROCPRIM_400000_NS6detail17trampoline_kernelINS0_13select_configILj256ELj13ELNS0_17block_load_methodE3ELS4_3ELS4_3ELNS0_20block_scan_algorithmE0ELj4294967295EEENS1_25partition_config_selectorILNS1_17partition_subalgoE4EjNS0_10empty_typeEbEEZZNS1_14partition_implILS8_4ELb0ES6_15HIP_vector_typeIjLj2EENS0_17counting_iteratorIjlEEPS9_SG_NS0_5tupleIJPjSI_NS0_16reverse_iteratorISI_EEEEENSH_IJSG_SG_SG_EEES9_SI_JZNS1_25segmented_radix_sort_implINS0_14default_configELb0EPKbPbPKlPlN2at6native12_GLOBAL__N_18offset_tEEE10hipError_tPvRmT1_PNSt15iterator_traitsIS12_E10value_typeET2_T3_PNS13_IS18_E10value_typeET4_jRbjT5_S1E_jjP12ihipStream_tbEUljE_ZNSN_ISO_Lb0ESQ_SR_ST_SU_SY_EESZ_S10_S11_S12_S16_S17_S18_S1B_S1C_jS1D_jS1E_S1E_jjS1G_bEUljE0_EEESZ_S10_S11_S18_S1C_S1E_T6_T7_T9_mT8_S1G_bDpT10_ENKUlT_T0_E_clISt17integral_constantIbLb1EES1U_EEDaS1P_S1Q_EUlS1P_E_NS1_11comp_targetILNS1_3genE0ELNS1_11target_archE4294967295ELNS1_3gpuE0ELNS1_3repE0EEENS1_30default_config_static_selectorELNS0_4arch9wavefront6targetE0EEEvS12_ ; -- Begin function _ZN7rocprim17ROCPRIM_400000_NS6detail17trampoline_kernelINS0_13select_configILj256ELj13ELNS0_17block_load_methodE3ELS4_3ELS4_3ELNS0_20block_scan_algorithmE0ELj4294967295EEENS1_25partition_config_selectorILNS1_17partition_subalgoE4EjNS0_10empty_typeEbEEZZNS1_14partition_implILS8_4ELb0ES6_15HIP_vector_typeIjLj2EENS0_17counting_iteratorIjlEEPS9_SG_NS0_5tupleIJPjSI_NS0_16reverse_iteratorISI_EEEEENSH_IJSG_SG_SG_EEES9_SI_JZNS1_25segmented_radix_sort_implINS0_14default_configELb0EPKbPbPKlPlN2at6native12_GLOBAL__N_18offset_tEEE10hipError_tPvRmT1_PNSt15iterator_traitsIS12_E10value_typeET2_T3_PNS13_IS18_E10value_typeET4_jRbjT5_S1E_jjP12ihipStream_tbEUljE_ZNSN_ISO_Lb0ESQ_SR_ST_SU_SY_EESZ_S10_S11_S12_S16_S17_S18_S1B_S1C_jS1D_jS1E_S1E_jjS1G_bEUljE0_EEESZ_S10_S11_S18_S1C_S1E_T6_T7_T9_mT8_S1G_bDpT10_ENKUlT_T0_E_clISt17integral_constantIbLb1EES1U_EEDaS1P_S1Q_EUlS1P_E_NS1_11comp_targetILNS1_3genE0ELNS1_11target_archE4294967295ELNS1_3gpuE0ELNS1_3repE0EEENS1_30default_config_static_selectorELNS0_4arch9wavefront6targetE0EEEvS12_
	.p2align	8
	.type	_ZN7rocprim17ROCPRIM_400000_NS6detail17trampoline_kernelINS0_13select_configILj256ELj13ELNS0_17block_load_methodE3ELS4_3ELS4_3ELNS0_20block_scan_algorithmE0ELj4294967295EEENS1_25partition_config_selectorILNS1_17partition_subalgoE4EjNS0_10empty_typeEbEEZZNS1_14partition_implILS8_4ELb0ES6_15HIP_vector_typeIjLj2EENS0_17counting_iteratorIjlEEPS9_SG_NS0_5tupleIJPjSI_NS0_16reverse_iteratorISI_EEEEENSH_IJSG_SG_SG_EEES9_SI_JZNS1_25segmented_radix_sort_implINS0_14default_configELb0EPKbPbPKlPlN2at6native12_GLOBAL__N_18offset_tEEE10hipError_tPvRmT1_PNSt15iterator_traitsIS12_E10value_typeET2_T3_PNS13_IS18_E10value_typeET4_jRbjT5_S1E_jjP12ihipStream_tbEUljE_ZNSN_ISO_Lb0ESQ_SR_ST_SU_SY_EESZ_S10_S11_S12_S16_S17_S18_S1B_S1C_jS1D_jS1E_S1E_jjS1G_bEUljE0_EEESZ_S10_S11_S18_S1C_S1E_T6_T7_T9_mT8_S1G_bDpT10_ENKUlT_T0_E_clISt17integral_constantIbLb1EES1U_EEDaS1P_S1Q_EUlS1P_E_NS1_11comp_targetILNS1_3genE0ELNS1_11target_archE4294967295ELNS1_3gpuE0ELNS1_3repE0EEENS1_30default_config_static_selectorELNS0_4arch9wavefront6targetE0EEEvS12_,@function
_ZN7rocprim17ROCPRIM_400000_NS6detail17trampoline_kernelINS0_13select_configILj256ELj13ELNS0_17block_load_methodE3ELS4_3ELS4_3ELNS0_20block_scan_algorithmE0ELj4294967295EEENS1_25partition_config_selectorILNS1_17partition_subalgoE4EjNS0_10empty_typeEbEEZZNS1_14partition_implILS8_4ELb0ES6_15HIP_vector_typeIjLj2EENS0_17counting_iteratorIjlEEPS9_SG_NS0_5tupleIJPjSI_NS0_16reverse_iteratorISI_EEEEENSH_IJSG_SG_SG_EEES9_SI_JZNS1_25segmented_radix_sort_implINS0_14default_configELb0EPKbPbPKlPlN2at6native12_GLOBAL__N_18offset_tEEE10hipError_tPvRmT1_PNSt15iterator_traitsIS12_E10value_typeET2_T3_PNS13_IS18_E10value_typeET4_jRbjT5_S1E_jjP12ihipStream_tbEUljE_ZNSN_ISO_Lb0ESQ_SR_ST_SU_SY_EESZ_S10_S11_S12_S16_S17_S18_S1B_S1C_jS1D_jS1E_S1E_jjS1G_bEUljE0_EEESZ_S10_S11_S18_S1C_S1E_T6_T7_T9_mT8_S1G_bDpT10_ENKUlT_T0_E_clISt17integral_constantIbLb1EES1U_EEDaS1P_S1Q_EUlS1P_E_NS1_11comp_targetILNS1_3genE0ELNS1_11target_archE4294967295ELNS1_3gpuE0ELNS1_3repE0EEENS1_30default_config_static_selectorELNS0_4arch9wavefront6targetE0EEEvS12_: ; @_ZN7rocprim17ROCPRIM_400000_NS6detail17trampoline_kernelINS0_13select_configILj256ELj13ELNS0_17block_load_methodE3ELS4_3ELS4_3ELNS0_20block_scan_algorithmE0ELj4294967295EEENS1_25partition_config_selectorILNS1_17partition_subalgoE4EjNS0_10empty_typeEbEEZZNS1_14partition_implILS8_4ELb0ES6_15HIP_vector_typeIjLj2EENS0_17counting_iteratorIjlEEPS9_SG_NS0_5tupleIJPjSI_NS0_16reverse_iteratorISI_EEEEENSH_IJSG_SG_SG_EEES9_SI_JZNS1_25segmented_radix_sort_implINS0_14default_configELb0EPKbPbPKlPlN2at6native12_GLOBAL__N_18offset_tEEE10hipError_tPvRmT1_PNSt15iterator_traitsIS12_E10value_typeET2_T3_PNS13_IS18_E10value_typeET4_jRbjT5_S1E_jjP12ihipStream_tbEUljE_ZNSN_ISO_Lb0ESQ_SR_ST_SU_SY_EESZ_S10_S11_S12_S16_S17_S18_S1B_S1C_jS1D_jS1E_S1E_jjS1G_bEUljE0_EEESZ_S10_S11_S18_S1C_S1E_T6_T7_T9_mT8_S1G_bDpT10_ENKUlT_T0_E_clISt17integral_constantIbLb1EES1U_EEDaS1P_S1Q_EUlS1P_E_NS1_11comp_targetILNS1_3genE0ELNS1_11target_archE4294967295ELNS1_3gpuE0ELNS1_3repE0EEENS1_30default_config_static_selectorELNS0_4arch9wavefront6targetE0EEEvS12_
; %bb.0:
	.section	.rodata,"a",@progbits
	.p2align	6, 0x0
	.amdhsa_kernel _ZN7rocprim17ROCPRIM_400000_NS6detail17trampoline_kernelINS0_13select_configILj256ELj13ELNS0_17block_load_methodE3ELS4_3ELS4_3ELNS0_20block_scan_algorithmE0ELj4294967295EEENS1_25partition_config_selectorILNS1_17partition_subalgoE4EjNS0_10empty_typeEbEEZZNS1_14partition_implILS8_4ELb0ES6_15HIP_vector_typeIjLj2EENS0_17counting_iteratorIjlEEPS9_SG_NS0_5tupleIJPjSI_NS0_16reverse_iteratorISI_EEEEENSH_IJSG_SG_SG_EEES9_SI_JZNS1_25segmented_radix_sort_implINS0_14default_configELb0EPKbPbPKlPlN2at6native12_GLOBAL__N_18offset_tEEE10hipError_tPvRmT1_PNSt15iterator_traitsIS12_E10value_typeET2_T3_PNS13_IS18_E10value_typeET4_jRbjT5_S1E_jjP12ihipStream_tbEUljE_ZNSN_ISO_Lb0ESQ_SR_ST_SU_SY_EESZ_S10_S11_S12_S16_S17_S18_S1B_S1C_jS1D_jS1E_S1E_jjS1G_bEUljE0_EEESZ_S10_S11_S18_S1C_S1E_T6_T7_T9_mT8_S1G_bDpT10_ENKUlT_T0_E_clISt17integral_constantIbLb1EES1U_EEDaS1P_S1Q_EUlS1P_E_NS1_11comp_targetILNS1_3genE0ELNS1_11target_archE4294967295ELNS1_3gpuE0ELNS1_3repE0EEENS1_30default_config_static_selectorELNS0_4arch9wavefront6targetE0EEEvS12_
		.amdhsa_group_segment_fixed_size 0
		.amdhsa_private_segment_fixed_size 0
		.amdhsa_kernarg_size 184
		.amdhsa_user_sgpr_count 2
		.amdhsa_user_sgpr_dispatch_ptr 0
		.amdhsa_user_sgpr_queue_ptr 0
		.amdhsa_user_sgpr_kernarg_segment_ptr 1
		.amdhsa_user_sgpr_dispatch_id 0
		.amdhsa_user_sgpr_private_segment_size 0
		.amdhsa_wavefront_size32 1
		.amdhsa_uses_dynamic_stack 0
		.amdhsa_enable_private_segment 0
		.amdhsa_system_sgpr_workgroup_id_x 1
		.amdhsa_system_sgpr_workgroup_id_y 0
		.amdhsa_system_sgpr_workgroup_id_z 0
		.amdhsa_system_sgpr_workgroup_info 0
		.amdhsa_system_vgpr_workitem_id 0
		.amdhsa_next_free_vgpr 1
		.amdhsa_next_free_sgpr 1
		.amdhsa_reserve_vcc 0
		.amdhsa_float_round_mode_32 0
		.amdhsa_float_round_mode_16_64 0
		.amdhsa_float_denorm_mode_32 3
		.amdhsa_float_denorm_mode_16_64 3
		.amdhsa_fp16_overflow 0
		.amdhsa_workgroup_processor_mode 1
		.amdhsa_memory_ordered 1
		.amdhsa_forward_progress 1
		.amdhsa_inst_pref_size 0
		.amdhsa_round_robin_scheduling 0
		.amdhsa_exception_fp_ieee_invalid_op 0
		.amdhsa_exception_fp_denorm_src 0
		.amdhsa_exception_fp_ieee_div_zero 0
		.amdhsa_exception_fp_ieee_overflow 0
		.amdhsa_exception_fp_ieee_underflow 0
		.amdhsa_exception_fp_ieee_inexact 0
		.amdhsa_exception_int_div_zero 0
	.end_amdhsa_kernel
	.section	.text._ZN7rocprim17ROCPRIM_400000_NS6detail17trampoline_kernelINS0_13select_configILj256ELj13ELNS0_17block_load_methodE3ELS4_3ELS4_3ELNS0_20block_scan_algorithmE0ELj4294967295EEENS1_25partition_config_selectorILNS1_17partition_subalgoE4EjNS0_10empty_typeEbEEZZNS1_14partition_implILS8_4ELb0ES6_15HIP_vector_typeIjLj2EENS0_17counting_iteratorIjlEEPS9_SG_NS0_5tupleIJPjSI_NS0_16reverse_iteratorISI_EEEEENSH_IJSG_SG_SG_EEES9_SI_JZNS1_25segmented_radix_sort_implINS0_14default_configELb0EPKbPbPKlPlN2at6native12_GLOBAL__N_18offset_tEEE10hipError_tPvRmT1_PNSt15iterator_traitsIS12_E10value_typeET2_T3_PNS13_IS18_E10value_typeET4_jRbjT5_S1E_jjP12ihipStream_tbEUljE_ZNSN_ISO_Lb0ESQ_SR_ST_SU_SY_EESZ_S10_S11_S12_S16_S17_S18_S1B_S1C_jS1D_jS1E_S1E_jjS1G_bEUljE0_EEESZ_S10_S11_S18_S1C_S1E_T6_T7_T9_mT8_S1G_bDpT10_ENKUlT_T0_E_clISt17integral_constantIbLb1EES1U_EEDaS1P_S1Q_EUlS1P_E_NS1_11comp_targetILNS1_3genE0ELNS1_11target_archE4294967295ELNS1_3gpuE0ELNS1_3repE0EEENS1_30default_config_static_selectorELNS0_4arch9wavefront6targetE0EEEvS12_,"axG",@progbits,_ZN7rocprim17ROCPRIM_400000_NS6detail17trampoline_kernelINS0_13select_configILj256ELj13ELNS0_17block_load_methodE3ELS4_3ELS4_3ELNS0_20block_scan_algorithmE0ELj4294967295EEENS1_25partition_config_selectorILNS1_17partition_subalgoE4EjNS0_10empty_typeEbEEZZNS1_14partition_implILS8_4ELb0ES6_15HIP_vector_typeIjLj2EENS0_17counting_iteratorIjlEEPS9_SG_NS0_5tupleIJPjSI_NS0_16reverse_iteratorISI_EEEEENSH_IJSG_SG_SG_EEES9_SI_JZNS1_25segmented_radix_sort_implINS0_14default_configELb0EPKbPbPKlPlN2at6native12_GLOBAL__N_18offset_tEEE10hipError_tPvRmT1_PNSt15iterator_traitsIS12_E10value_typeET2_T3_PNS13_IS18_E10value_typeET4_jRbjT5_S1E_jjP12ihipStream_tbEUljE_ZNSN_ISO_Lb0ESQ_SR_ST_SU_SY_EESZ_S10_S11_S12_S16_S17_S18_S1B_S1C_jS1D_jS1E_S1E_jjS1G_bEUljE0_EEESZ_S10_S11_S18_S1C_S1E_T6_T7_T9_mT8_S1G_bDpT10_ENKUlT_T0_E_clISt17integral_constantIbLb1EES1U_EEDaS1P_S1Q_EUlS1P_E_NS1_11comp_targetILNS1_3genE0ELNS1_11target_archE4294967295ELNS1_3gpuE0ELNS1_3repE0EEENS1_30default_config_static_selectorELNS0_4arch9wavefront6targetE0EEEvS12_,comdat
.Lfunc_end1579:
	.size	_ZN7rocprim17ROCPRIM_400000_NS6detail17trampoline_kernelINS0_13select_configILj256ELj13ELNS0_17block_load_methodE3ELS4_3ELS4_3ELNS0_20block_scan_algorithmE0ELj4294967295EEENS1_25partition_config_selectorILNS1_17partition_subalgoE4EjNS0_10empty_typeEbEEZZNS1_14partition_implILS8_4ELb0ES6_15HIP_vector_typeIjLj2EENS0_17counting_iteratorIjlEEPS9_SG_NS0_5tupleIJPjSI_NS0_16reverse_iteratorISI_EEEEENSH_IJSG_SG_SG_EEES9_SI_JZNS1_25segmented_radix_sort_implINS0_14default_configELb0EPKbPbPKlPlN2at6native12_GLOBAL__N_18offset_tEEE10hipError_tPvRmT1_PNSt15iterator_traitsIS12_E10value_typeET2_T3_PNS13_IS18_E10value_typeET4_jRbjT5_S1E_jjP12ihipStream_tbEUljE_ZNSN_ISO_Lb0ESQ_SR_ST_SU_SY_EESZ_S10_S11_S12_S16_S17_S18_S1B_S1C_jS1D_jS1E_S1E_jjS1G_bEUljE0_EEESZ_S10_S11_S18_S1C_S1E_T6_T7_T9_mT8_S1G_bDpT10_ENKUlT_T0_E_clISt17integral_constantIbLb1EES1U_EEDaS1P_S1Q_EUlS1P_E_NS1_11comp_targetILNS1_3genE0ELNS1_11target_archE4294967295ELNS1_3gpuE0ELNS1_3repE0EEENS1_30default_config_static_selectorELNS0_4arch9wavefront6targetE0EEEvS12_, .Lfunc_end1579-_ZN7rocprim17ROCPRIM_400000_NS6detail17trampoline_kernelINS0_13select_configILj256ELj13ELNS0_17block_load_methodE3ELS4_3ELS4_3ELNS0_20block_scan_algorithmE0ELj4294967295EEENS1_25partition_config_selectorILNS1_17partition_subalgoE4EjNS0_10empty_typeEbEEZZNS1_14partition_implILS8_4ELb0ES6_15HIP_vector_typeIjLj2EENS0_17counting_iteratorIjlEEPS9_SG_NS0_5tupleIJPjSI_NS0_16reverse_iteratorISI_EEEEENSH_IJSG_SG_SG_EEES9_SI_JZNS1_25segmented_radix_sort_implINS0_14default_configELb0EPKbPbPKlPlN2at6native12_GLOBAL__N_18offset_tEEE10hipError_tPvRmT1_PNSt15iterator_traitsIS12_E10value_typeET2_T3_PNS13_IS18_E10value_typeET4_jRbjT5_S1E_jjP12ihipStream_tbEUljE_ZNSN_ISO_Lb0ESQ_SR_ST_SU_SY_EESZ_S10_S11_S12_S16_S17_S18_S1B_S1C_jS1D_jS1E_S1E_jjS1G_bEUljE0_EEESZ_S10_S11_S18_S1C_S1E_T6_T7_T9_mT8_S1G_bDpT10_ENKUlT_T0_E_clISt17integral_constantIbLb1EES1U_EEDaS1P_S1Q_EUlS1P_E_NS1_11comp_targetILNS1_3genE0ELNS1_11target_archE4294967295ELNS1_3gpuE0ELNS1_3repE0EEENS1_30default_config_static_selectorELNS0_4arch9wavefront6targetE0EEEvS12_
                                        ; -- End function
	.set _ZN7rocprim17ROCPRIM_400000_NS6detail17trampoline_kernelINS0_13select_configILj256ELj13ELNS0_17block_load_methodE3ELS4_3ELS4_3ELNS0_20block_scan_algorithmE0ELj4294967295EEENS1_25partition_config_selectorILNS1_17partition_subalgoE4EjNS0_10empty_typeEbEEZZNS1_14partition_implILS8_4ELb0ES6_15HIP_vector_typeIjLj2EENS0_17counting_iteratorIjlEEPS9_SG_NS0_5tupleIJPjSI_NS0_16reverse_iteratorISI_EEEEENSH_IJSG_SG_SG_EEES9_SI_JZNS1_25segmented_radix_sort_implINS0_14default_configELb0EPKbPbPKlPlN2at6native12_GLOBAL__N_18offset_tEEE10hipError_tPvRmT1_PNSt15iterator_traitsIS12_E10value_typeET2_T3_PNS13_IS18_E10value_typeET4_jRbjT5_S1E_jjP12ihipStream_tbEUljE_ZNSN_ISO_Lb0ESQ_SR_ST_SU_SY_EESZ_S10_S11_S12_S16_S17_S18_S1B_S1C_jS1D_jS1E_S1E_jjS1G_bEUljE0_EEESZ_S10_S11_S18_S1C_S1E_T6_T7_T9_mT8_S1G_bDpT10_ENKUlT_T0_E_clISt17integral_constantIbLb1EES1U_EEDaS1P_S1Q_EUlS1P_E_NS1_11comp_targetILNS1_3genE0ELNS1_11target_archE4294967295ELNS1_3gpuE0ELNS1_3repE0EEENS1_30default_config_static_selectorELNS0_4arch9wavefront6targetE0EEEvS12_.num_vgpr, 0
	.set _ZN7rocprim17ROCPRIM_400000_NS6detail17trampoline_kernelINS0_13select_configILj256ELj13ELNS0_17block_load_methodE3ELS4_3ELS4_3ELNS0_20block_scan_algorithmE0ELj4294967295EEENS1_25partition_config_selectorILNS1_17partition_subalgoE4EjNS0_10empty_typeEbEEZZNS1_14partition_implILS8_4ELb0ES6_15HIP_vector_typeIjLj2EENS0_17counting_iteratorIjlEEPS9_SG_NS0_5tupleIJPjSI_NS0_16reverse_iteratorISI_EEEEENSH_IJSG_SG_SG_EEES9_SI_JZNS1_25segmented_radix_sort_implINS0_14default_configELb0EPKbPbPKlPlN2at6native12_GLOBAL__N_18offset_tEEE10hipError_tPvRmT1_PNSt15iterator_traitsIS12_E10value_typeET2_T3_PNS13_IS18_E10value_typeET4_jRbjT5_S1E_jjP12ihipStream_tbEUljE_ZNSN_ISO_Lb0ESQ_SR_ST_SU_SY_EESZ_S10_S11_S12_S16_S17_S18_S1B_S1C_jS1D_jS1E_S1E_jjS1G_bEUljE0_EEESZ_S10_S11_S18_S1C_S1E_T6_T7_T9_mT8_S1G_bDpT10_ENKUlT_T0_E_clISt17integral_constantIbLb1EES1U_EEDaS1P_S1Q_EUlS1P_E_NS1_11comp_targetILNS1_3genE0ELNS1_11target_archE4294967295ELNS1_3gpuE0ELNS1_3repE0EEENS1_30default_config_static_selectorELNS0_4arch9wavefront6targetE0EEEvS12_.num_agpr, 0
	.set _ZN7rocprim17ROCPRIM_400000_NS6detail17trampoline_kernelINS0_13select_configILj256ELj13ELNS0_17block_load_methodE3ELS4_3ELS4_3ELNS0_20block_scan_algorithmE0ELj4294967295EEENS1_25partition_config_selectorILNS1_17partition_subalgoE4EjNS0_10empty_typeEbEEZZNS1_14partition_implILS8_4ELb0ES6_15HIP_vector_typeIjLj2EENS0_17counting_iteratorIjlEEPS9_SG_NS0_5tupleIJPjSI_NS0_16reverse_iteratorISI_EEEEENSH_IJSG_SG_SG_EEES9_SI_JZNS1_25segmented_radix_sort_implINS0_14default_configELb0EPKbPbPKlPlN2at6native12_GLOBAL__N_18offset_tEEE10hipError_tPvRmT1_PNSt15iterator_traitsIS12_E10value_typeET2_T3_PNS13_IS18_E10value_typeET4_jRbjT5_S1E_jjP12ihipStream_tbEUljE_ZNSN_ISO_Lb0ESQ_SR_ST_SU_SY_EESZ_S10_S11_S12_S16_S17_S18_S1B_S1C_jS1D_jS1E_S1E_jjS1G_bEUljE0_EEESZ_S10_S11_S18_S1C_S1E_T6_T7_T9_mT8_S1G_bDpT10_ENKUlT_T0_E_clISt17integral_constantIbLb1EES1U_EEDaS1P_S1Q_EUlS1P_E_NS1_11comp_targetILNS1_3genE0ELNS1_11target_archE4294967295ELNS1_3gpuE0ELNS1_3repE0EEENS1_30default_config_static_selectorELNS0_4arch9wavefront6targetE0EEEvS12_.numbered_sgpr, 0
	.set _ZN7rocprim17ROCPRIM_400000_NS6detail17trampoline_kernelINS0_13select_configILj256ELj13ELNS0_17block_load_methodE3ELS4_3ELS4_3ELNS0_20block_scan_algorithmE0ELj4294967295EEENS1_25partition_config_selectorILNS1_17partition_subalgoE4EjNS0_10empty_typeEbEEZZNS1_14partition_implILS8_4ELb0ES6_15HIP_vector_typeIjLj2EENS0_17counting_iteratorIjlEEPS9_SG_NS0_5tupleIJPjSI_NS0_16reverse_iteratorISI_EEEEENSH_IJSG_SG_SG_EEES9_SI_JZNS1_25segmented_radix_sort_implINS0_14default_configELb0EPKbPbPKlPlN2at6native12_GLOBAL__N_18offset_tEEE10hipError_tPvRmT1_PNSt15iterator_traitsIS12_E10value_typeET2_T3_PNS13_IS18_E10value_typeET4_jRbjT5_S1E_jjP12ihipStream_tbEUljE_ZNSN_ISO_Lb0ESQ_SR_ST_SU_SY_EESZ_S10_S11_S12_S16_S17_S18_S1B_S1C_jS1D_jS1E_S1E_jjS1G_bEUljE0_EEESZ_S10_S11_S18_S1C_S1E_T6_T7_T9_mT8_S1G_bDpT10_ENKUlT_T0_E_clISt17integral_constantIbLb1EES1U_EEDaS1P_S1Q_EUlS1P_E_NS1_11comp_targetILNS1_3genE0ELNS1_11target_archE4294967295ELNS1_3gpuE0ELNS1_3repE0EEENS1_30default_config_static_selectorELNS0_4arch9wavefront6targetE0EEEvS12_.num_named_barrier, 0
	.set _ZN7rocprim17ROCPRIM_400000_NS6detail17trampoline_kernelINS0_13select_configILj256ELj13ELNS0_17block_load_methodE3ELS4_3ELS4_3ELNS0_20block_scan_algorithmE0ELj4294967295EEENS1_25partition_config_selectorILNS1_17partition_subalgoE4EjNS0_10empty_typeEbEEZZNS1_14partition_implILS8_4ELb0ES6_15HIP_vector_typeIjLj2EENS0_17counting_iteratorIjlEEPS9_SG_NS0_5tupleIJPjSI_NS0_16reverse_iteratorISI_EEEEENSH_IJSG_SG_SG_EEES9_SI_JZNS1_25segmented_radix_sort_implINS0_14default_configELb0EPKbPbPKlPlN2at6native12_GLOBAL__N_18offset_tEEE10hipError_tPvRmT1_PNSt15iterator_traitsIS12_E10value_typeET2_T3_PNS13_IS18_E10value_typeET4_jRbjT5_S1E_jjP12ihipStream_tbEUljE_ZNSN_ISO_Lb0ESQ_SR_ST_SU_SY_EESZ_S10_S11_S12_S16_S17_S18_S1B_S1C_jS1D_jS1E_S1E_jjS1G_bEUljE0_EEESZ_S10_S11_S18_S1C_S1E_T6_T7_T9_mT8_S1G_bDpT10_ENKUlT_T0_E_clISt17integral_constantIbLb1EES1U_EEDaS1P_S1Q_EUlS1P_E_NS1_11comp_targetILNS1_3genE0ELNS1_11target_archE4294967295ELNS1_3gpuE0ELNS1_3repE0EEENS1_30default_config_static_selectorELNS0_4arch9wavefront6targetE0EEEvS12_.private_seg_size, 0
	.set _ZN7rocprim17ROCPRIM_400000_NS6detail17trampoline_kernelINS0_13select_configILj256ELj13ELNS0_17block_load_methodE3ELS4_3ELS4_3ELNS0_20block_scan_algorithmE0ELj4294967295EEENS1_25partition_config_selectorILNS1_17partition_subalgoE4EjNS0_10empty_typeEbEEZZNS1_14partition_implILS8_4ELb0ES6_15HIP_vector_typeIjLj2EENS0_17counting_iteratorIjlEEPS9_SG_NS0_5tupleIJPjSI_NS0_16reverse_iteratorISI_EEEEENSH_IJSG_SG_SG_EEES9_SI_JZNS1_25segmented_radix_sort_implINS0_14default_configELb0EPKbPbPKlPlN2at6native12_GLOBAL__N_18offset_tEEE10hipError_tPvRmT1_PNSt15iterator_traitsIS12_E10value_typeET2_T3_PNS13_IS18_E10value_typeET4_jRbjT5_S1E_jjP12ihipStream_tbEUljE_ZNSN_ISO_Lb0ESQ_SR_ST_SU_SY_EESZ_S10_S11_S12_S16_S17_S18_S1B_S1C_jS1D_jS1E_S1E_jjS1G_bEUljE0_EEESZ_S10_S11_S18_S1C_S1E_T6_T7_T9_mT8_S1G_bDpT10_ENKUlT_T0_E_clISt17integral_constantIbLb1EES1U_EEDaS1P_S1Q_EUlS1P_E_NS1_11comp_targetILNS1_3genE0ELNS1_11target_archE4294967295ELNS1_3gpuE0ELNS1_3repE0EEENS1_30default_config_static_selectorELNS0_4arch9wavefront6targetE0EEEvS12_.uses_vcc, 0
	.set _ZN7rocprim17ROCPRIM_400000_NS6detail17trampoline_kernelINS0_13select_configILj256ELj13ELNS0_17block_load_methodE3ELS4_3ELS4_3ELNS0_20block_scan_algorithmE0ELj4294967295EEENS1_25partition_config_selectorILNS1_17partition_subalgoE4EjNS0_10empty_typeEbEEZZNS1_14partition_implILS8_4ELb0ES6_15HIP_vector_typeIjLj2EENS0_17counting_iteratorIjlEEPS9_SG_NS0_5tupleIJPjSI_NS0_16reverse_iteratorISI_EEEEENSH_IJSG_SG_SG_EEES9_SI_JZNS1_25segmented_radix_sort_implINS0_14default_configELb0EPKbPbPKlPlN2at6native12_GLOBAL__N_18offset_tEEE10hipError_tPvRmT1_PNSt15iterator_traitsIS12_E10value_typeET2_T3_PNS13_IS18_E10value_typeET4_jRbjT5_S1E_jjP12ihipStream_tbEUljE_ZNSN_ISO_Lb0ESQ_SR_ST_SU_SY_EESZ_S10_S11_S12_S16_S17_S18_S1B_S1C_jS1D_jS1E_S1E_jjS1G_bEUljE0_EEESZ_S10_S11_S18_S1C_S1E_T6_T7_T9_mT8_S1G_bDpT10_ENKUlT_T0_E_clISt17integral_constantIbLb1EES1U_EEDaS1P_S1Q_EUlS1P_E_NS1_11comp_targetILNS1_3genE0ELNS1_11target_archE4294967295ELNS1_3gpuE0ELNS1_3repE0EEENS1_30default_config_static_selectorELNS0_4arch9wavefront6targetE0EEEvS12_.uses_flat_scratch, 0
	.set _ZN7rocprim17ROCPRIM_400000_NS6detail17trampoline_kernelINS0_13select_configILj256ELj13ELNS0_17block_load_methodE3ELS4_3ELS4_3ELNS0_20block_scan_algorithmE0ELj4294967295EEENS1_25partition_config_selectorILNS1_17partition_subalgoE4EjNS0_10empty_typeEbEEZZNS1_14partition_implILS8_4ELb0ES6_15HIP_vector_typeIjLj2EENS0_17counting_iteratorIjlEEPS9_SG_NS0_5tupleIJPjSI_NS0_16reverse_iteratorISI_EEEEENSH_IJSG_SG_SG_EEES9_SI_JZNS1_25segmented_radix_sort_implINS0_14default_configELb0EPKbPbPKlPlN2at6native12_GLOBAL__N_18offset_tEEE10hipError_tPvRmT1_PNSt15iterator_traitsIS12_E10value_typeET2_T3_PNS13_IS18_E10value_typeET4_jRbjT5_S1E_jjP12ihipStream_tbEUljE_ZNSN_ISO_Lb0ESQ_SR_ST_SU_SY_EESZ_S10_S11_S12_S16_S17_S18_S1B_S1C_jS1D_jS1E_S1E_jjS1G_bEUljE0_EEESZ_S10_S11_S18_S1C_S1E_T6_T7_T9_mT8_S1G_bDpT10_ENKUlT_T0_E_clISt17integral_constantIbLb1EES1U_EEDaS1P_S1Q_EUlS1P_E_NS1_11comp_targetILNS1_3genE0ELNS1_11target_archE4294967295ELNS1_3gpuE0ELNS1_3repE0EEENS1_30default_config_static_selectorELNS0_4arch9wavefront6targetE0EEEvS12_.has_dyn_sized_stack, 0
	.set _ZN7rocprim17ROCPRIM_400000_NS6detail17trampoline_kernelINS0_13select_configILj256ELj13ELNS0_17block_load_methodE3ELS4_3ELS4_3ELNS0_20block_scan_algorithmE0ELj4294967295EEENS1_25partition_config_selectorILNS1_17partition_subalgoE4EjNS0_10empty_typeEbEEZZNS1_14partition_implILS8_4ELb0ES6_15HIP_vector_typeIjLj2EENS0_17counting_iteratorIjlEEPS9_SG_NS0_5tupleIJPjSI_NS0_16reverse_iteratorISI_EEEEENSH_IJSG_SG_SG_EEES9_SI_JZNS1_25segmented_radix_sort_implINS0_14default_configELb0EPKbPbPKlPlN2at6native12_GLOBAL__N_18offset_tEEE10hipError_tPvRmT1_PNSt15iterator_traitsIS12_E10value_typeET2_T3_PNS13_IS18_E10value_typeET4_jRbjT5_S1E_jjP12ihipStream_tbEUljE_ZNSN_ISO_Lb0ESQ_SR_ST_SU_SY_EESZ_S10_S11_S12_S16_S17_S18_S1B_S1C_jS1D_jS1E_S1E_jjS1G_bEUljE0_EEESZ_S10_S11_S18_S1C_S1E_T6_T7_T9_mT8_S1G_bDpT10_ENKUlT_T0_E_clISt17integral_constantIbLb1EES1U_EEDaS1P_S1Q_EUlS1P_E_NS1_11comp_targetILNS1_3genE0ELNS1_11target_archE4294967295ELNS1_3gpuE0ELNS1_3repE0EEENS1_30default_config_static_selectorELNS0_4arch9wavefront6targetE0EEEvS12_.has_recursion, 0
	.set _ZN7rocprim17ROCPRIM_400000_NS6detail17trampoline_kernelINS0_13select_configILj256ELj13ELNS0_17block_load_methodE3ELS4_3ELS4_3ELNS0_20block_scan_algorithmE0ELj4294967295EEENS1_25partition_config_selectorILNS1_17partition_subalgoE4EjNS0_10empty_typeEbEEZZNS1_14partition_implILS8_4ELb0ES6_15HIP_vector_typeIjLj2EENS0_17counting_iteratorIjlEEPS9_SG_NS0_5tupleIJPjSI_NS0_16reverse_iteratorISI_EEEEENSH_IJSG_SG_SG_EEES9_SI_JZNS1_25segmented_radix_sort_implINS0_14default_configELb0EPKbPbPKlPlN2at6native12_GLOBAL__N_18offset_tEEE10hipError_tPvRmT1_PNSt15iterator_traitsIS12_E10value_typeET2_T3_PNS13_IS18_E10value_typeET4_jRbjT5_S1E_jjP12ihipStream_tbEUljE_ZNSN_ISO_Lb0ESQ_SR_ST_SU_SY_EESZ_S10_S11_S12_S16_S17_S18_S1B_S1C_jS1D_jS1E_S1E_jjS1G_bEUljE0_EEESZ_S10_S11_S18_S1C_S1E_T6_T7_T9_mT8_S1G_bDpT10_ENKUlT_T0_E_clISt17integral_constantIbLb1EES1U_EEDaS1P_S1Q_EUlS1P_E_NS1_11comp_targetILNS1_3genE0ELNS1_11target_archE4294967295ELNS1_3gpuE0ELNS1_3repE0EEENS1_30default_config_static_selectorELNS0_4arch9wavefront6targetE0EEEvS12_.has_indirect_call, 0
	.section	.AMDGPU.csdata,"",@progbits
; Kernel info:
; codeLenInByte = 0
; TotalNumSgprs: 0
; NumVgprs: 0
; ScratchSize: 0
; MemoryBound: 0
; FloatMode: 240
; IeeeMode: 1
; LDSByteSize: 0 bytes/workgroup (compile time only)
; SGPRBlocks: 0
; VGPRBlocks: 0
; NumSGPRsForWavesPerEU: 1
; NumVGPRsForWavesPerEU: 1
; Occupancy: 16
; WaveLimiterHint : 0
; COMPUTE_PGM_RSRC2:SCRATCH_EN: 0
; COMPUTE_PGM_RSRC2:USER_SGPR: 2
; COMPUTE_PGM_RSRC2:TRAP_HANDLER: 0
; COMPUTE_PGM_RSRC2:TGID_X_EN: 1
; COMPUTE_PGM_RSRC2:TGID_Y_EN: 0
; COMPUTE_PGM_RSRC2:TGID_Z_EN: 0
; COMPUTE_PGM_RSRC2:TIDIG_COMP_CNT: 0
	.section	.text._ZN7rocprim17ROCPRIM_400000_NS6detail17trampoline_kernelINS0_13select_configILj256ELj13ELNS0_17block_load_methodE3ELS4_3ELS4_3ELNS0_20block_scan_algorithmE0ELj4294967295EEENS1_25partition_config_selectorILNS1_17partition_subalgoE4EjNS0_10empty_typeEbEEZZNS1_14partition_implILS8_4ELb0ES6_15HIP_vector_typeIjLj2EENS0_17counting_iteratorIjlEEPS9_SG_NS0_5tupleIJPjSI_NS0_16reverse_iteratorISI_EEEEENSH_IJSG_SG_SG_EEES9_SI_JZNS1_25segmented_radix_sort_implINS0_14default_configELb0EPKbPbPKlPlN2at6native12_GLOBAL__N_18offset_tEEE10hipError_tPvRmT1_PNSt15iterator_traitsIS12_E10value_typeET2_T3_PNS13_IS18_E10value_typeET4_jRbjT5_S1E_jjP12ihipStream_tbEUljE_ZNSN_ISO_Lb0ESQ_SR_ST_SU_SY_EESZ_S10_S11_S12_S16_S17_S18_S1B_S1C_jS1D_jS1E_S1E_jjS1G_bEUljE0_EEESZ_S10_S11_S18_S1C_S1E_T6_T7_T9_mT8_S1G_bDpT10_ENKUlT_T0_E_clISt17integral_constantIbLb1EES1U_EEDaS1P_S1Q_EUlS1P_E_NS1_11comp_targetILNS1_3genE5ELNS1_11target_archE942ELNS1_3gpuE9ELNS1_3repE0EEENS1_30default_config_static_selectorELNS0_4arch9wavefront6targetE0EEEvS12_,"axG",@progbits,_ZN7rocprim17ROCPRIM_400000_NS6detail17trampoline_kernelINS0_13select_configILj256ELj13ELNS0_17block_load_methodE3ELS4_3ELS4_3ELNS0_20block_scan_algorithmE0ELj4294967295EEENS1_25partition_config_selectorILNS1_17partition_subalgoE4EjNS0_10empty_typeEbEEZZNS1_14partition_implILS8_4ELb0ES6_15HIP_vector_typeIjLj2EENS0_17counting_iteratorIjlEEPS9_SG_NS0_5tupleIJPjSI_NS0_16reverse_iteratorISI_EEEEENSH_IJSG_SG_SG_EEES9_SI_JZNS1_25segmented_radix_sort_implINS0_14default_configELb0EPKbPbPKlPlN2at6native12_GLOBAL__N_18offset_tEEE10hipError_tPvRmT1_PNSt15iterator_traitsIS12_E10value_typeET2_T3_PNS13_IS18_E10value_typeET4_jRbjT5_S1E_jjP12ihipStream_tbEUljE_ZNSN_ISO_Lb0ESQ_SR_ST_SU_SY_EESZ_S10_S11_S12_S16_S17_S18_S1B_S1C_jS1D_jS1E_S1E_jjS1G_bEUljE0_EEESZ_S10_S11_S18_S1C_S1E_T6_T7_T9_mT8_S1G_bDpT10_ENKUlT_T0_E_clISt17integral_constantIbLb1EES1U_EEDaS1P_S1Q_EUlS1P_E_NS1_11comp_targetILNS1_3genE5ELNS1_11target_archE942ELNS1_3gpuE9ELNS1_3repE0EEENS1_30default_config_static_selectorELNS0_4arch9wavefront6targetE0EEEvS12_,comdat
	.globl	_ZN7rocprim17ROCPRIM_400000_NS6detail17trampoline_kernelINS0_13select_configILj256ELj13ELNS0_17block_load_methodE3ELS4_3ELS4_3ELNS0_20block_scan_algorithmE0ELj4294967295EEENS1_25partition_config_selectorILNS1_17partition_subalgoE4EjNS0_10empty_typeEbEEZZNS1_14partition_implILS8_4ELb0ES6_15HIP_vector_typeIjLj2EENS0_17counting_iteratorIjlEEPS9_SG_NS0_5tupleIJPjSI_NS0_16reverse_iteratorISI_EEEEENSH_IJSG_SG_SG_EEES9_SI_JZNS1_25segmented_radix_sort_implINS0_14default_configELb0EPKbPbPKlPlN2at6native12_GLOBAL__N_18offset_tEEE10hipError_tPvRmT1_PNSt15iterator_traitsIS12_E10value_typeET2_T3_PNS13_IS18_E10value_typeET4_jRbjT5_S1E_jjP12ihipStream_tbEUljE_ZNSN_ISO_Lb0ESQ_SR_ST_SU_SY_EESZ_S10_S11_S12_S16_S17_S18_S1B_S1C_jS1D_jS1E_S1E_jjS1G_bEUljE0_EEESZ_S10_S11_S18_S1C_S1E_T6_T7_T9_mT8_S1G_bDpT10_ENKUlT_T0_E_clISt17integral_constantIbLb1EES1U_EEDaS1P_S1Q_EUlS1P_E_NS1_11comp_targetILNS1_3genE5ELNS1_11target_archE942ELNS1_3gpuE9ELNS1_3repE0EEENS1_30default_config_static_selectorELNS0_4arch9wavefront6targetE0EEEvS12_ ; -- Begin function _ZN7rocprim17ROCPRIM_400000_NS6detail17trampoline_kernelINS0_13select_configILj256ELj13ELNS0_17block_load_methodE3ELS4_3ELS4_3ELNS0_20block_scan_algorithmE0ELj4294967295EEENS1_25partition_config_selectorILNS1_17partition_subalgoE4EjNS0_10empty_typeEbEEZZNS1_14partition_implILS8_4ELb0ES6_15HIP_vector_typeIjLj2EENS0_17counting_iteratorIjlEEPS9_SG_NS0_5tupleIJPjSI_NS0_16reverse_iteratorISI_EEEEENSH_IJSG_SG_SG_EEES9_SI_JZNS1_25segmented_radix_sort_implINS0_14default_configELb0EPKbPbPKlPlN2at6native12_GLOBAL__N_18offset_tEEE10hipError_tPvRmT1_PNSt15iterator_traitsIS12_E10value_typeET2_T3_PNS13_IS18_E10value_typeET4_jRbjT5_S1E_jjP12ihipStream_tbEUljE_ZNSN_ISO_Lb0ESQ_SR_ST_SU_SY_EESZ_S10_S11_S12_S16_S17_S18_S1B_S1C_jS1D_jS1E_S1E_jjS1G_bEUljE0_EEESZ_S10_S11_S18_S1C_S1E_T6_T7_T9_mT8_S1G_bDpT10_ENKUlT_T0_E_clISt17integral_constantIbLb1EES1U_EEDaS1P_S1Q_EUlS1P_E_NS1_11comp_targetILNS1_3genE5ELNS1_11target_archE942ELNS1_3gpuE9ELNS1_3repE0EEENS1_30default_config_static_selectorELNS0_4arch9wavefront6targetE0EEEvS12_
	.p2align	8
	.type	_ZN7rocprim17ROCPRIM_400000_NS6detail17trampoline_kernelINS0_13select_configILj256ELj13ELNS0_17block_load_methodE3ELS4_3ELS4_3ELNS0_20block_scan_algorithmE0ELj4294967295EEENS1_25partition_config_selectorILNS1_17partition_subalgoE4EjNS0_10empty_typeEbEEZZNS1_14partition_implILS8_4ELb0ES6_15HIP_vector_typeIjLj2EENS0_17counting_iteratorIjlEEPS9_SG_NS0_5tupleIJPjSI_NS0_16reverse_iteratorISI_EEEEENSH_IJSG_SG_SG_EEES9_SI_JZNS1_25segmented_radix_sort_implINS0_14default_configELb0EPKbPbPKlPlN2at6native12_GLOBAL__N_18offset_tEEE10hipError_tPvRmT1_PNSt15iterator_traitsIS12_E10value_typeET2_T3_PNS13_IS18_E10value_typeET4_jRbjT5_S1E_jjP12ihipStream_tbEUljE_ZNSN_ISO_Lb0ESQ_SR_ST_SU_SY_EESZ_S10_S11_S12_S16_S17_S18_S1B_S1C_jS1D_jS1E_S1E_jjS1G_bEUljE0_EEESZ_S10_S11_S18_S1C_S1E_T6_T7_T9_mT8_S1G_bDpT10_ENKUlT_T0_E_clISt17integral_constantIbLb1EES1U_EEDaS1P_S1Q_EUlS1P_E_NS1_11comp_targetILNS1_3genE5ELNS1_11target_archE942ELNS1_3gpuE9ELNS1_3repE0EEENS1_30default_config_static_selectorELNS0_4arch9wavefront6targetE0EEEvS12_,@function
_ZN7rocprim17ROCPRIM_400000_NS6detail17trampoline_kernelINS0_13select_configILj256ELj13ELNS0_17block_load_methodE3ELS4_3ELS4_3ELNS0_20block_scan_algorithmE0ELj4294967295EEENS1_25partition_config_selectorILNS1_17partition_subalgoE4EjNS0_10empty_typeEbEEZZNS1_14partition_implILS8_4ELb0ES6_15HIP_vector_typeIjLj2EENS0_17counting_iteratorIjlEEPS9_SG_NS0_5tupleIJPjSI_NS0_16reverse_iteratorISI_EEEEENSH_IJSG_SG_SG_EEES9_SI_JZNS1_25segmented_radix_sort_implINS0_14default_configELb0EPKbPbPKlPlN2at6native12_GLOBAL__N_18offset_tEEE10hipError_tPvRmT1_PNSt15iterator_traitsIS12_E10value_typeET2_T3_PNS13_IS18_E10value_typeET4_jRbjT5_S1E_jjP12ihipStream_tbEUljE_ZNSN_ISO_Lb0ESQ_SR_ST_SU_SY_EESZ_S10_S11_S12_S16_S17_S18_S1B_S1C_jS1D_jS1E_S1E_jjS1G_bEUljE0_EEESZ_S10_S11_S18_S1C_S1E_T6_T7_T9_mT8_S1G_bDpT10_ENKUlT_T0_E_clISt17integral_constantIbLb1EES1U_EEDaS1P_S1Q_EUlS1P_E_NS1_11comp_targetILNS1_3genE5ELNS1_11target_archE942ELNS1_3gpuE9ELNS1_3repE0EEENS1_30default_config_static_selectorELNS0_4arch9wavefront6targetE0EEEvS12_: ; @_ZN7rocprim17ROCPRIM_400000_NS6detail17trampoline_kernelINS0_13select_configILj256ELj13ELNS0_17block_load_methodE3ELS4_3ELS4_3ELNS0_20block_scan_algorithmE0ELj4294967295EEENS1_25partition_config_selectorILNS1_17partition_subalgoE4EjNS0_10empty_typeEbEEZZNS1_14partition_implILS8_4ELb0ES6_15HIP_vector_typeIjLj2EENS0_17counting_iteratorIjlEEPS9_SG_NS0_5tupleIJPjSI_NS0_16reverse_iteratorISI_EEEEENSH_IJSG_SG_SG_EEES9_SI_JZNS1_25segmented_radix_sort_implINS0_14default_configELb0EPKbPbPKlPlN2at6native12_GLOBAL__N_18offset_tEEE10hipError_tPvRmT1_PNSt15iterator_traitsIS12_E10value_typeET2_T3_PNS13_IS18_E10value_typeET4_jRbjT5_S1E_jjP12ihipStream_tbEUljE_ZNSN_ISO_Lb0ESQ_SR_ST_SU_SY_EESZ_S10_S11_S12_S16_S17_S18_S1B_S1C_jS1D_jS1E_S1E_jjS1G_bEUljE0_EEESZ_S10_S11_S18_S1C_S1E_T6_T7_T9_mT8_S1G_bDpT10_ENKUlT_T0_E_clISt17integral_constantIbLb1EES1U_EEDaS1P_S1Q_EUlS1P_E_NS1_11comp_targetILNS1_3genE5ELNS1_11target_archE942ELNS1_3gpuE9ELNS1_3repE0EEENS1_30default_config_static_selectorELNS0_4arch9wavefront6targetE0EEEvS12_
; %bb.0:
	.section	.rodata,"a",@progbits
	.p2align	6, 0x0
	.amdhsa_kernel _ZN7rocprim17ROCPRIM_400000_NS6detail17trampoline_kernelINS0_13select_configILj256ELj13ELNS0_17block_load_methodE3ELS4_3ELS4_3ELNS0_20block_scan_algorithmE0ELj4294967295EEENS1_25partition_config_selectorILNS1_17partition_subalgoE4EjNS0_10empty_typeEbEEZZNS1_14partition_implILS8_4ELb0ES6_15HIP_vector_typeIjLj2EENS0_17counting_iteratorIjlEEPS9_SG_NS0_5tupleIJPjSI_NS0_16reverse_iteratorISI_EEEEENSH_IJSG_SG_SG_EEES9_SI_JZNS1_25segmented_radix_sort_implINS0_14default_configELb0EPKbPbPKlPlN2at6native12_GLOBAL__N_18offset_tEEE10hipError_tPvRmT1_PNSt15iterator_traitsIS12_E10value_typeET2_T3_PNS13_IS18_E10value_typeET4_jRbjT5_S1E_jjP12ihipStream_tbEUljE_ZNSN_ISO_Lb0ESQ_SR_ST_SU_SY_EESZ_S10_S11_S12_S16_S17_S18_S1B_S1C_jS1D_jS1E_S1E_jjS1G_bEUljE0_EEESZ_S10_S11_S18_S1C_S1E_T6_T7_T9_mT8_S1G_bDpT10_ENKUlT_T0_E_clISt17integral_constantIbLb1EES1U_EEDaS1P_S1Q_EUlS1P_E_NS1_11comp_targetILNS1_3genE5ELNS1_11target_archE942ELNS1_3gpuE9ELNS1_3repE0EEENS1_30default_config_static_selectorELNS0_4arch9wavefront6targetE0EEEvS12_
		.amdhsa_group_segment_fixed_size 0
		.amdhsa_private_segment_fixed_size 0
		.amdhsa_kernarg_size 184
		.amdhsa_user_sgpr_count 2
		.amdhsa_user_sgpr_dispatch_ptr 0
		.amdhsa_user_sgpr_queue_ptr 0
		.amdhsa_user_sgpr_kernarg_segment_ptr 1
		.amdhsa_user_sgpr_dispatch_id 0
		.amdhsa_user_sgpr_private_segment_size 0
		.amdhsa_wavefront_size32 1
		.amdhsa_uses_dynamic_stack 0
		.amdhsa_enable_private_segment 0
		.amdhsa_system_sgpr_workgroup_id_x 1
		.amdhsa_system_sgpr_workgroup_id_y 0
		.amdhsa_system_sgpr_workgroup_id_z 0
		.amdhsa_system_sgpr_workgroup_info 0
		.amdhsa_system_vgpr_workitem_id 0
		.amdhsa_next_free_vgpr 1
		.amdhsa_next_free_sgpr 1
		.amdhsa_reserve_vcc 0
		.amdhsa_float_round_mode_32 0
		.amdhsa_float_round_mode_16_64 0
		.amdhsa_float_denorm_mode_32 3
		.amdhsa_float_denorm_mode_16_64 3
		.amdhsa_fp16_overflow 0
		.amdhsa_workgroup_processor_mode 1
		.amdhsa_memory_ordered 1
		.amdhsa_forward_progress 1
		.amdhsa_inst_pref_size 0
		.amdhsa_round_robin_scheduling 0
		.amdhsa_exception_fp_ieee_invalid_op 0
		.amdhsa_exception_fp_denorm_src 0
		.amdhsa_exception_fp_ieee_div_zero 0
		.amdhsa_exception_fp_ieee_overflow 0
		.amdhsa_exception_fp_ieee_underflow 0
		.amdhsa_exception_fp_ieee_inexact 0
		.amdhsa_exception_int_div_zero 0
	.end_amdhsa_kernel
	.section	.text._ZN7rocprim17ROCPRIM_400000_NS6detail17trampoline_kernelINS0_13select_configILj256ELj13ELNS0_17block_load_methodE3ELS4_3ELS4_3ELNS0_20block_scan_algorithmE0ELj4294967295EEENS1_25partition_config_selectorILNS1_17partition_subalgoE4EjNS0_10empty_typeEbEEZZNS1_14partition_implILS8_4ELb0ES6_15HIP_vector_typeIjLj2EENS0_17counting_iteratorIjlEEPS9_SG_NS0_5tupleIJPjSI_NS0_16reverse_iteratorISI_EEEEENSH_IJSG_SG_SG_EEES9_SI_JZNS1_25segmented_radix_sort_implINS0_14default_configELb0EPKbPbPKlPlN2at6native12_GLOBAL__N_18offset_tEEE10hipError_tPvRmT1_PNSt15iterator_traitsIS12_E10value_typeET2_T3_PNS13_IS18_E10value_typeET4_jRbjT5_S1E_jjP12ihipStream_tbEUljE_ZNSN_ISO_Lb0ESQ_SR_ST_SU_SY_EESZ_S10_S11_S12_S16_S17_S18_S1B_S1C_jS1D_jS1E_S1E_jjS1G_bEUljE0_EEESZ_S10_S11_S18_S1C_S1E_T6_T7_T9_mT8_S1G_bDpT10_ENKUlT_T0_E_clISt17integral_constantIbLb1EES1U_EEDaS1P_S1Q_EUlS1P_E_NS1_11comp_targetILNS1_3genE5ELNS1_11target_archE942ELNS1_3gpuE9ELNS1_3repE0EEENS1_30default_config_static_selectorELNS0_4arch9wavefront6targetE0EEEvS12_,"axG",@progbits,_ZN7rocprim17ROCPRIM_400000_NS6detail17trampoline_kernelINS0_13select_configILj256ELj13ELNS0_17block_load_methodE3ELS4_3ELS4_3ELNS0_20block_scan_algorithmE0ELj4294967295EEENS1_25partition_config_selectorILNS1_17partition_subalgoE4EjNS0_10empty_typeEbEEZZNS1_14partition_implILS8_4ELb0ES6_15HIP_vector_typeIjLj2EENS0_17counting_iteratorIjlEEPS9_SG_NS0_5tupleIJPjSI_NS0_16reverse_iteratorISI_EEEEENSH_IJSG_SG_SG_EEES9_SI_JZNS1_25segmented_radix_sort_implINS0_14default_configELb0EPKbPbPKlPlN2at6native12_GLOBAL__N_18offset_tEEE10hipError_tPvRmT1_PNSt15iterator_traitsIS12_E10value_typeET2_T3_PNS13_IS18_E10value_typeET4_jRbjT5_S1E_jjP12ihipStream_tbEUljE_ZNSN_ISO_Lb0ESQ_SR_ST_SU_SY_EESZ_S10_S11_S12_S16_S17_S18_S1B_S1C_jS1D_jS1E_S1E_jjS1G_bEUljE0_EEESZ_S10_S11_S18_S1C_S1E_T6_T7_T9_mT8_S1G_bDpT10_ENKUlT_T0_E_clISt17integral_constantIbLb1EES1U_EEDaS1P_S1Q_EUlS1P_E_NS1_11comp_targetILNS1_3genE5ELNS1_11target_archE942ELNS1_3gpuE9ELNS1_3repE0EEENS1_30default_config_static_selectorELNS0_4arch9wavefront6targetE0EEEvS12_,comdat
.Lfunc_end1580:
	.size	_ZN7rocprim17ROCPRIM_400000_NS6detail17trampoline_kernelINS0_13select_configILj256ELj13ELNS0_17block_load_methodE3ELS4_3ELS4_3ELNS0_20block_scan_algorithmE0ELj4294967295EEENS1_25partition_config_selectorILNS1_17partition_subalgoE4EjNS0_10empty_typeEbEEZZNS1_14partition_implILS8_4ELb0ES6_15HIP_vector_typeIjLj2EENS0_17counting_iteratorIjlEEPS9_SG_NS0_5tupleIJPjSI_NS0_16reverse_iteratorISI_EEEEENSH_IJSG_SG_SG_EEES9_SI_JZNS1_25segmented_radix_sort_implINS0_14default_configELb0EPKbPbPKlPlN2at6native12_GLOBAL__N_18offset_tEEE10hipError_tPvRmT1_PNSt15iterator_traitsIS12_E10value_typeET2_T3_PNS13_IS18_E10value_typeET4_jRbjT5_S1E_jjP12ihipStream_tbEUljE_ZNSN_ISO_Lb0ESQ_SR_ST_SU_SY_EESZ_S10_S11_S12_S16_S17_S18_S1B_S1C_jS1D_jS1E_S1E_jjS1G_bEUljE0_EEESZ_S10_S11_S18_S1C_S1E_T6_T7_T9_mT8_S1G_bDpT10_ENKUlT_T0_E_clISt17integral_constantIbLb1EES1U_EEDaS1P_S1Q_EUlS1P_E_NS1_11comp_targetILNS1_3genE5ELNS1_11target_archE942ELNS1_3gpuE9ELNS1_3repE0EEENS1_30default_config_static_selectorELNS0_4arch9wavefront6targetE0EEEvS12_, .Lfunc_end1580-_ZN7rocprim17ROCPRIM_400000_NS6detail17trampoline_kernelINS0_13select_configILj256ELj13ELNS0_17block_load_methodE3ELS4_3ELS4_3ELNS0_20block_scan_algorithmE0ELj4294967295EEENS1_25partition_config_selectorILNS1_17partition_subalgoE4EjNS0_10empty_typeEbEEZZNS1_14partition_implILS8_4ELb0ES6_15HIP_vector_typeIjLj2EENS0_17counting_iteratorIjlEEPS9_SG_NS0_5tupleIJPjSI_NS0_16reverse_iteratorISI_EEEEENSH_IJSG_SG_SG_EEES9_SI_JZNS1_25segmented_radix_sort_implINS0_14default_configELb0EPKbPbPKlPlN2at6native12_GLOBAL__N_18offset_tEEE10hipError_tPvRmT1_PNSt15iterator_traitsIS12_E10value_typeET2_T3_PNS13_IS18_E10value_typeET4_jRbjT5_S1E_jjP12ihipStream_tbEUljE_ZNSN_ISO_Lb0ESQ_SR_ST_SU_SY_EESZ_S10_S11_S12_S16_S17_S18_S1B_S1C_jS1D_jS1E_S1E_jjS1G_bEUljE0_EEESZ_S10_S11_S18_S1C_S1E_T6_T7_T9_mT8_S1G_bDpT10_ENKUlT_T0_E_clISt17integral_constantIbLb1EES1U_EEDaS1P_S1Q_EUlS1P_E_NS1_11comp_targetILNS1_3genE5ELNS1_11target_archE942ELNS1_3gpuE9ELNS1_3repE0EEENS1_30default_config_static_selectorELNS0_4arch9wavefront6targetE0EEEvS12_
                                        ; -- End function
	.set _ZN7rocprim17ROCPRIM_400000_NS6detail17trampoline_kernelINS0_13select_configILj256ELj13ELNS0_17block_load_methodE3ELS4_3ELS4_3ELNS0_20block_scan_algorithmE0ELj4294967295EEENS1_25partition_config_selectorILNS1_17partition_subalgoE4EjNS0_10empty_typeEbEEZZNS1_14partition_implILS8_4ELb0ES6_15HIP_vector_typeIjLj2EENS0_17counting_iteratorIjlEEPS9_SG_NS0_5tupleIJPjSI_NS0_16reverse_iteratorISI_EEEEENSH_IJSG_SG_SG_EEES9_SI_JZNS1_25segmented_radix_sort_implINS0_14default_configELb0EPKbPbPKlPlN2at6native12_GLOBAL__N_18offset_tEEE10hipError_tPvRmT1_PNSt15iterator_traitsIS12_E10value_typeET2_T3_PNS13_IS18_E10value_typeET4_jRbjT5_S1E_jjP12ihipStream_tbEUljE_ZNSN_ISO_Lb0ESQ_SR_ST_SU_SY_EESZ_S10_S11_S12_S16_S17_S18_S1B_S1C_jS1D_jS1E_S1E_jjS1G_bEUljE0_EEESZ_S10_S11_S18_S1C_S1E_T6_T7_T9_mT8_S1G_bDpT10_ENKUlT_T0_E_clISt17integral_constantIbLb1EES1U_EEDaS1P_S1Q_EUlS1P_E_NS1_11comp_targetILNS1_3genE5ELNS1_11target_archE942ELNS1_3gpuE9ELNS1_3repE0EEENS1_30default_config_static_selectorELNS0_4arch9wavefront6targetE0EEEvS12_.num_vgpr, 0
	.set _ZN7rocprim17ROCPRIM_400000_NS6detail17trampoline_kernelINS0_13select_configILj256ELj13ELNS0_17block_load_methodE3ELS4_3ELS4_3ELNS0_20block_scan_algorithmE0ELj4294967295EEENS1_25partition_config_selectorILNS1_17partition_subalgoE4EjNS0_10empty_typeEbEEZZNS1_14partition_implILS8_4ELb0ES6_15HIP_vector_typeIjLj2EENS0_17counting_iteratorIjlEEPS9_SG_NS0_5tupleIJPjSI_NS0_16reverse_iteratorISI_EEEEENSH_IJSG_SG_SG_EEES9_SI_JZNS1_25segmented_radix_sort_implINS0_14default_configELb0EPKbPbPKlPlN2at6native12_GLOBAL__N_18offset_tEEE10hipError_tPvRmT1_PNSt15iterator_traitsIS12_E10value_typeET2_T3_PNS13_IS18_E10value_typeET4_jRbjT5_S1E_jjP12ihipStream_tbEUljE_ZNSN_ISO_Lb0ESQ_SR_ST_SU_SY_EESZ_S10_S11_S12_S16_S17_S18_S1B_S1C_jS1D_jS1E_S1E_jjS1G_bEUljE0_EEESZ_S10_S11_S18_S1C_S1E_T6_T7_T9_mT8_S1G_bDpT10_ENKUlT_T0_E_clISt17integral_constantIbLb1EES1U_EEDaS1P_S1Q_EUlS1P_E_NS1_11comp_targetILNS1_3genE5ELNS1_11target_archE942ELNS1_3gpuE9ELNS1_3repE0EEENS1_30default_config_static_selectorELNS0_4arch9wavefront6targetE0EEEvS12_.num_agpr, 0
	.set _ZN7rocprim17ROCPRIM_400000_NS6detail17trampoline_kernelINS0_13select_configILj256ELj13ELNS0_17block_load_methodE3ELS4_3ELS4_3ELNS0_20block_scan_algorithmE0ELj4294967295EEENS1_25partition_config_selectorILNS1_17partition_subalgoE4EjNS0_10empty_typeEbEEZZNS1_14partition_implILS8_4ELb0ES6_15HIP_vector_typeIjLj2EENS0_17counting_iteratorIjlEEPS9_SG_NS0_5tupleIJPjSI_NS0_16reverse_iteratorISI_EEEEENSH_IJSG_SG_SG_EEES9_SI_JZNS1_25segmented_radix_sort_implINS0_14default_configELb0EPKbPbPKlPlN2at6native12_GLOBAL__N_18offset_tEEE10hipError_tPvRmT1_PNSt15iterator_traitsIS12_E10value_typeET2_T3_PNS13_IS18_E10value_typeET4_jRbjT5_S1E_jjP12ihipStream_tbEUljE_ZNSN_ISO_Lb0ESQ_SR_ST_SU_SY_EESZ_S10_S11_S12_S16_S17_S18_S1B_S1C_jS1D_jS1E_S1E_jjS1G_bEUljE0_EEESZ_S10_S11_S18_S1C_S1E_T6_T7_T9_mT8_S1G_bDpT10_ENKUlT_T0_E_clISt17integral_constantIbLb1EES1U_EEDaS1P_S1Q_EUlS1P_E_NS1_11comp_targetILNS1_3genE5ELNS1_11target_archE942ELNS1_3gpuE9ELNS1_3repE0EEENS1_30default_config_static_selectorELNS0_4arch9wavefront6targetE0EEEvS12_.numbered_sgpr, 0
	.set _ZN7rocprim17ROCPRIM_400000_NS6detail17trampoline_kernelINS0_13select_configILj256ELj13ELNS0_17block_load_methodE3ELS4_3ELS4_3ELNS0_20block_scan_algorithmE0ELj4294967295EEENS1_25partition_config_selectorILNS1_17partition_subalgoE4EjNS0_10empty_typeEbEEZZNS1_14partition_implILS8_4ELb0ES6_15HIP_vector_typeIjLj2EENS0_17counting_iteratorIjlEEPS9_SG_NS0_5tupleIJPjSI_NS0_16reverse_iteratorISI_EEEEENSH_IJSG_SG_SG_EEES9_SI_JZNS1_25segmented_radix_sort_implINS0_14default_configELb0EPKbPbPKlPlN2at6native12_GLOBAL__N_18offset_tEEE10hipError_tPvRmT1_PNSt15iterator_traitsIS12_E10value_typeET2_T3_PNS13_IS18_E10value_typeET4_jRbjT5_S1E_jjP12ihipStream_tbEUljE_ZNSN_ISO_Lb0ESQ_SR_ST_SU_SY_EESZ_S10_S11_S12_S16_S17_S18_S1B_S1C_jS1D_jS1E_S1E_jjS1G_bEUljE0_EEESZ_S10_S11_S18_S1C_S1E_T6_T7_T9_mT8_S1G_bDpT10_ENKUlT_T0_E_clISt17integral_constantIbLb1EES1U_EEDaS1P_S1Q_EUlS1P_E_NS1_11comp_targetILNS1_3genE5ELNS1_11target_archE942ELNS1_3gpuE9ELNS1_3repE0EEENS1_30default_config_static_selectorELNS0_4arch9wavefront6targetE0EEEvS12_.num_named_barrier, 0
	.set _ZN7rocprim17ROCPRIM_400000_NS6detail17trampoline_kernelINS0_13select_configILj256ELj13ELNS0_17block_load_methodE3ELS4_3ELS4_3ELNS0_20block_scan_algorithmE0ELj4294967295EEENS1_25partition_config_selectorILNS1_17partition_subalgoE4EjNS0_10empty_typeEbEEZZNS1_14partition_implILS8_4ELb0ES6_15HIP_vector_typeIjLj2EENS0_17counting_iteratorIjlEEPS9_SG_NS0_5tupleIJPjSI_NS0_16reverse_iteratorISI_EEEEENSH_IJSG_SG_SG_EEES9_SI_JZNS1_25segmented_radix_sort_implINS0_14default_configELb0EPKbPbPKlPlN2at6native12_GLOBAL__N_18offset_tEEE10hipError_tPvRmT1_PNSt15iterator_traitsIS12_E10value_typeET2_T3_PNS13_IS18_E10value_typeET4_jRbjT5_S1E_jjP12ihipStream_tbEUljE_ZNSN_ISO_Lb0ESQ_SR_ST_SU_SY_EESZ_S10_S11_S12_S16_S17_S18_S1B_S1C_jS1D_jS1E_S1E_jjS1G_bEUljE0_EEESZ_S10_S11_S18_S1C_S1E_T6_T7_T9_mT8_S1G_bDpT10_ENKUlT_T0_E_clISt17integral_constantIbLb1EES1U_EEDaS1P_S1Q_EUlS1P_E_NS1_11comp_targetILNS1_3genE5ELNS1_11target_archE942ELNS1_3gpuE9ELNS1_3repE0EEENS1_30default_config_static_selectorELNS0_4arch9wavefront6targetE0EEEvS12_.private_seg_size, 0
	.set _ZN7rocprim17ROCPRIM_400000_NS6detail17trampoline_kernelINS0_13select_configILj256ELj13ELNS0_17block_load_methodE3ELS4_3ELS4_3ELNS0_20block_scan_algorithmE0ELj4294967295EEENS1_25partition_config_selectorILNS1_17partition_subalgoE4EjNS0_10empty_typeEbEEZZNS1_14partition_implILS8_4ELb0ES6_15HIP_vector_typeIjLj2EENS0_17counting_iteratorIjlEEPS9_SG_NS0_5tupleIJPjSI_NS0_16reverse_iteratorISI_EEEEENSH_IJSG_SG_SG_EEES9_SI_JZNS1_25segmented_radix_sort_implINS0_14default_configELb0EPKbPbPKlPlN2at6native12_GLOBAL__N_18offset_tEEE10hipError_tPvRmT1_PNSt15iterator_traitsIS12_E10value_typeET2_T3_PNS13_IS18_E10value_typeET4_jRbjT5_S1E_jjP12ihipStream_tbEUljE_ZNSN_ISO_Lb0ESQ_SR_ST_SU_SY_EESZ_S10_S11_S12_S16_S17_S18_S1B_S1C_jS1D_jS1E_S1E_jjS1G_bEUljE0_EEESZ_S10_S11_S18_S1C_S1E_T6_T7_T9_mT8_S1G_bDpT10_ENKUlT_T0_E_clISt17integral_constantIbLb1EES1U_EEDaS1P_S1Q_EUlS1P_E_NS1_11comp_targetILNS1_3genE5ELNS1_11target_archE942ELNS1_3gpuE9ELNS1_3repE0EEENS1_30default_config_static_selectorELNS0_4arch9wavefront6targetE0EEEvS12_.uses_vcc, 0
	.set _ZN7rocprim17ROCPRIM_400000_NS6detail17trampoline_kernelINS0_13select_configILj256ELj13ELNS0_17block_load_methodE3ELS4_3ELS4_3ELNS0_20block_scan_algorithmE0ELj4294967295EEENS1_25partition_config_selectorILNS1_17partition_subalgoE4EjNS0_10empty_typeEbEEZZNS1_14partition_implILS8_4ELb0ES6_15HIP_vector_typeIjLj2EENS0_17counting_iteratorIjlEEPS9_SG_NS0_5tupleIJPjSI_NS0_16reverse_iteratorISI_EEEEENSH_IJSG_SG_SG_EEES9_SI_JZNS1_25segmented_radix_sort_implINS0_14default_configELb0EPKbPbPKlPlN2at6native12_GLOBAL__N_18offset_tEEE10hipError_tPvRmT1_PNSt15iterator_traitsIS12_E10value_typeET2_T3_PNS13_IS18_E10value_typeET4_jRbjT5_S1E_jjP12ihipStream_tbEUljE_ZNSN_ISO_Lb0ESQ_SR_ST_SU_SY_EESZ_S10_S11_S12_S16_S17_S18_S1B_S1C_jS1D_jS1E_S1E_jjS1G_bEUljE0_EEESZ_S10_S11_S18_S1C_S1E_T6_T7_T9_mT8_S1G_bDpT10_ENKUlT_T0_E_clISt17integral_constantIbLb1EES1U_EEDaS1P_S1Q_EUlS1P_E_NS1_11comp_targetILNS1_3genE5ELNS1_11target_archE942ELNS1_3gpuE9ELNS1_3repE0EEENS1_30default_config_static_selectorELNS0_4arch9wavefront6targetE0EEEvS12_.uses_flat_scratch, 0
	.set _ZN7rocprim17ROCPRIM_400000_NS6detail17trampoline_kernelINS0_13select_configILj256ELj13ELNS0_17block_load_methodE3ELS4_3ELS4_3ELNS0_20block_scan_algorithmE0ELj4294967295EEENS1_25partition_config_selectorILNS1_17partition_subalgoE4EjNS0_10empty_typeEbEEZZNS1_14partition_implILS8_4ELb0ES6_15HIP_vector_typeIjLj2EENS0_17counting_iteratorIjlEEPS9_SG_NS0_5tupleIJPjSI_NS0_16reverse_iteratorISI_EEEEENSH_IJSG_SG_SG_EEES9_SI_JZNS1_25segmented_radix_sort_implINS0_14default_configELb0EPKbPbPKlPlN2at6native12_GLOBAL__N_18offset_tEEE10hipError_tPvRmT1_PNSt15iterator_traitsIS12_E10value_typeET2_T3_PNS13_IS18_E10value_typeET4_jRbjT5_S1E_jjP12ihipStream_tbEUljE_ZNSN_ISO_Lb0ESQ_SR_ST_SU_SY_EESZ_S10_S11_S12_S16_S17_S18_S1B_S1C_jS1D_jS1E_S1E_jjS1G_bEUljE0_EEESZ_S10_S11_S18_S1C_S1E_T6_T7_T9_mT8_S1G_bDpT10_ENKUlT_T0_E_clISt17integral_constantIbLb1EES1U_EEDaS1P_S1Q_EUlS1P_E_NS1_11comp_targetILNS1_3genE5ELNS1_11target_archE942ELNS1_3gpuE9ELNS1_3repE0EEENS1_30default_config_static_selectorELNS0_4arch9wavefront6targetE0EEEvS12_.has_dyn_sized_stack, 0
	.set _ZN7rocprim17ROCPRIM_400000_NS6detail17trampoline_kernelINS0_13select_configILj256ELj13ELNS0_17block_load_methodE3ELS4_3ELS4_3ELNS0_20block_scan_algorithmE0ELj4294967295EEENS1_25partition_config_selectorILNS1_17partition_subalgoE4EjNS0_10empty_typeEbEEZZNS1_14partition_implILS8_4ELb0ES6_15HIP_vector_typeIjLj2EENS0_17counting_iteratorIjlEEPS9_SG_NS0_5tupleIJPjSI_NS0_16reverse_iteratorISI_EEEEENSH_IJSG_SG_SG_EEES9_SI_JZNS1_25segmented_radix_sort_implINS0_14default_configELb0EPKbPbPKlPlN2at6native12_GLOBAL__N_18offset_tEEE10hipError_tPvRmT1_PNSt15iterator_traitsIS12_E10value_typeET2_T3_PNS13_IS18_E10value_typeET4_jRbjT5_S1E_jjP12ihipStream_tbEUljE_ZNSN_ISO_Lb0ESQ_SR_ST_SU_SY_EESZ_S10_S11_S12_S16_S17_S18_S1B_S1C_jS1D_jS1E_S1E_jjS1G_bEUljE0_EEESZ_S10_S11_S18_S1C_S1E_T6_T7_T9_mT8_S1G_bDpT10_ENKUlT_T0_E_clISt17integral_constantIbLb1EES1U_EEDaS1P_S1Q_EUlS1P_E_NS1_11comp_targetILNS1_3genE5ELNS1_11target_archE942ELNS1_3gpuE9ELNS1_3repE0EEENS1_30default_config_static_selectorELNS0_4arch9wavefront6targetE0EEEvS12_.has_recursion, 0
	.set _ZN7rocprim17ROCPRIM_400000_NS6detail17trampoline_kernelINS0_13select_configILj256ELj13ELNS0_17block_load_methodE3ELS4_3ELS4_3ELNS0_20block_scan_algorithmE0ELj4294967295EEENS1_25partition_config_selectorILNS1_17partition_subalgoE4EjNS0_10empty_typeEbEEZZNS1_14partition_implILS8_4ELb0ES6_15HIP_vector_typeIjLj2EENS0_17counting_iteratorIjlEEPS9_SG_NS0_5tupleIJPjSI_NS0_16reverse_iteratorISI_EEEEENSH_IJSG_SG_SG_EEES9_SI_JZNS1_25segmented_radix_sort_implINS0_14default_configELb0EPKbPbPKlPlN2at6native12_GLOBAL__N_18offset_tEEE10hipError_tPvRmT1_PNSt15iterator_traitsIS12_E10value_typeET2_T3_PNS13_IS18_E10value_typeET4_jRbjT5_S1E_jjP12ihipStream_tbEUljE_ZNSN_ISO_Lb0ESQ_SR_ST_SU_SY_EESZ_S10_S11_S12_S16_S17_S18_S1B_S1C_jS1D_jS1E_S1E_jjS1G_bEUljE0_EEESZ_S10_S11_S18_S1C_S1E_T6_T7_T9_mT8_S1G_bDpT10_ENKUlT_T0_E_clISt17integral_constantIbLb1EES1U_EEDaS1P_S1Q_EUlS1P_E_NS1_11comp_targetILNS1_3genE5ELNS1_11target_archE942ELNS1_3gpuE9ELNS1_3repE0EEENS1_30default_config_static_selectorELNS0_4arch9wavefront6targetE0EEEvS12_.has_indirect_call, 0
	.section	.AMDGPU.csdata,"",@progbits
; Kernel info:
; codeLenInByte = 0
; TotalNumSgprs: 0
; NumVgprs: 0
; ScratchSize: 0
; MemoryBound: 0
; FloatMode: 240
; IeeeMode: 1
; LDSByteSize: 0 bytes/workgroup (compile time only)
; SGPRBlocks: 0
; VGPRBlocks: 0
; NumSGPRsForWavesPerEU: 1
; NumVGPRsForWavesPerEU: 1
; Occupancy: 16
; WaveLimiterHint : 0
; COMPUTE_PGM_RSRC2:SCRATCH_EN: 0
; COMPUTE_PGM_RSRC2:USER_SGPR: 2
; COMPUTE_PGM_RSRC2:TRAP_HANDLER: 0
; COMPUTE_PGM_RSRC2:TGID_X_EN: 1
; COMPUTE_PGM_RSRC2:TGID_Y_EN: 0
; COMPUTE_PGM_RSRC2:TGID_Z_EN: 0
; COMPUTE_PGM_RSRC2:TIDIG_COMP_CNT: 0
	.section	.text._ZN7rocprim17ROCPRIM_400000_NS6detail17trampoline_kernelINS0_13select_configILj256ELj13ELNS0_17block_load_methodE3ELS4_3ELS4_3ELNS0_20block_scan_algorithmE0ELj4294967295EEENS1_25partition_config_selectorILNS1_17partition_subalgoE4EjNS0_10empty_typeEbEEZZNS1_14partition_implILS8_4ELb0ES6_15HIP_vector_typeIjLj2EENS0_17counting_iteratorIjlEEPS9_SG_NS0_5tupleIJPjSI_NS0_16reverse_iteratorISI_EEEEENSH_IJSG_SG_SG_EEES9_SI_JZNS1_25segmented_radix_sort_implINS0_14default_configELb0EPKbPbPKlPlN2at6native12_GLOBAL__N_18offset_tEEE10hipError_tPvRmT1_PNSt15iterator_traitsIS12_E10value_typeET2_T3_PNS13_IS18_E10value_typeET4_jRbjT5_S1E_jjP12ihipStream_tbEUljE_ZNSN_ISO_Lb0ESQ_SR_ST_SU_SY_EESZ_S10_S11_S12_S16_S17_S18_S1B_S1C_jS1D_jS1E_S1E_jjS1G_bEUljE0_EEESZ_S10_S11_S18_S1C_S1E_T6_T7_T9_mT8_S1G_bDpT10_ENKUlT_T0_E_clISt17integral_constantIbLb1EES1U_EEDaS1P_S1Q_EUlS1P_E_NS1_11comp_targetILNS1_3genE4ELNS1_11target_archE910ELNS1_3gpuE8ELNS1_3repE0EEENS1_30default_config_static_selectorELNS0_4arch9wavefront6targetE0EEEvS12_,"axG",@progbits,_ZN7rocprim17ROCPRIM_400000_NS6detail17trampoline_kernelINS0_13select_configILj256ELj13ELNS0_17block_load_methodE3ELS4_3ELS4_3ELNS0_20block_scan_algorithmE0ELj4294967295EEENS1_25partition_config_selectorILNS1_17partition_subalgoE4EjNS0_10empty_typeEbEEZZNS1_14partition_implILS8_4ELb0ES6_15HIP_vector_typeIjLj2EENS0_17counting_iteratorIjlEEPS9_SG_NS0_5tupleIJPjSI_NS0_16reverse_iteratorISI_EEEEENSH_IJSG_SG_SG_EEES9_SI_JZNS1_25segmented_radix_sort_implINS0_14default_configELb0EPKbPbPKlPlN2at6native12_GLOBAL__N_18offset_tEEE10hipError_tPvRmT1_PNSt15iterator_traitsIS12_E10value_typeET2_T3_PNS13_IS18_E10value_typeET4_jRbjT5_S1E_jjP12ihipStream_tbEUljE_ZNSN_ISO_Lb0ESQ_SR_ST_SU_SY_EESZ_S10_S11_S12_S16_S17_S18_S1B_S1C_jS1D_jS1E_S1E_jjS1G_bEUljE0_EEESZ_S10_S11_S18_S1C_S1E_T6_T7_T9_mT8_S1G_bDpT10_ENKUlT_T0_E_clISt17integral_constantIbLb1EES1U_EEDaS1P_S1Q_EUlS1P_E_NS1_11comp_targetILNS1_3genE4ELNS1_11target_archE910ELNS1_3gpuE8ELNS1_3repE0EEENS1_30default_config_static_selectorELNS0_4arch9wavefront6targetE0EEEvS12_,comdat
	.globl	_ZN7rocprim17ROCPRIM_400000_NS6detail17trampoline_kernelINS0_13select_configILj256ELj13ELNS0_17block_load_methodE3ELS4_3ELS4_3ELNS0_20block_scan_algorithmE0ELj4294967295EEENS1_25partition_config_selectorILNS1_17partition_subalgoE4EjNS0_10empty_typeEbEEZZNS1_14partition_implILS8_4ELb0ES6_15HIP_vector_typeIjLj2EENS0_17counting_iteratorIjlEEPS9_SG_NS0_5tupleIJPjSI_NS0_16reverse_iteratorISI_EEEEENSH_IJSG_SG_SG_EEES9_SI_JZNS1_25segmented_radix_sort_implINS0_14default_configELb0EPKbPbPKlPlN2at6native12_GLOBAL__N_18offset_tEEE10hipError_tPvRmT1_PNSt15iterator_traitsIS12_E10value_typeET2_T3_PNS13_IS18_E10value_typeET4_jRbjT5_S1E_jjP12ihipStream_tbEUljE_ZNSN_ISO_Lb0ESQ_SR_ST_SU_SY_EESZ_S10_S11_S12_S16_S17_S18_S1B_S1C_jS1D_jS1E_S1E_jjS1G_bEUljE0_EEESZ_S10_S11_S18_S1C_S1E_T6_T7_T9_mT8_S1G_bDpT10_ENKUlT_T0_E_clISt17integral_constantIbLb1EES1U_EEDaS1P_S1Q_EUlS1P_E_NS1_11comp_targetILNS1_3genE4ELNS1_11target_archE910ELNS1_3gpuE8ELNS1_3repE0EEENS1_30default_config_static_selectorELNS0_4arch9wavefront6targetE0EEEvS12_ ; -- Begin function _ZN7rocprim17ROCPRIM_400000_NS6detail17trampoline_kernelINS0_13select_configILj256ELj13ELNS0_17block_load_methodE3ELS4_3ELS4_3ELNS0_20block_scan_algorithmE0ELj4294967295EEENS1_25partition_config_selectorILNS1_17partition_subalgoE4EjNS0_10empty_typeEbEEZZNS1_14partition_implILS8_4ELb0ES6_15HIP_vector_typeIjLj2EENS0_17counting_iteratorIjlEEPS9_SG_NS0_5tupleIJPjSI_NS0_16reverse_iteratorISI_EEEEENSH_IJSG_SG_SG_EEES9_SI_JZNS1_25segmented_radix_sort_implINS0_14default_configELb0EPKbPbPKlPlN2at6native12_GLOBAL__N_18offset_tEEE10hipError_tPvRmT1_PNSt15iterator_traitsIS12_E10value_typeET2_T3_PNS13_IS18_E10value_typeET4_jRbjT5_S1E_jjP12ihipStream_tbEUljE_ZNSN_ISO_Lb0ESQ_SR_ST_SU_SY_EESZ_S10_S11_S12_S16_S17_S18_S1B_S1C_jS1D_jS1E_S1E_jjS1G_bEUljE0_EEESZ_S10_S11_S18_S1C_S1E_T6_T7_T9_mT8_S1G_bDpT10_ENKUlT_T0_E_clISt17integral_constantIbLb1EES1U_EEDaS1P_S1Q_EUlS1P_E_NS1_11comp_targetILNS1_3genE4ELNS1_11target_archE910ELNS1_3gpuE8ELNS1_3repE0EEENS1_30default_config_static_selectorELNS0_4arch9wavefront6targetE0EEEvS12_
	.p2align	8
	.type	_ZN7rocprim17ROCPRIM_400000_NS6detail17trampoline_kernelINS0_13select_configILj256ELj13ELNS0_17block_load_methodE3ELS4_3ELS4_3ELNS0_20block_scan_algorithmE0ELj4294967295EEENS1_25partition_config_selectorILNS1_17partition_subalgoE4EjNS0_10empty_typeEbEEZZNS1_14partition_implILS8_4ELb0ES6_15HIP_vector_typeIjLj2EENS0_17counting_iteratorIjlEEPS9_SG_NS0_5tupleIJPjSI_NS0_16reverse_iteratorISI_EEEEENSH_IJSG_SG_SG_EEES9_SI_JZNS1_25segmented_radix_sort_implINS0_14default_configELb0EPKbPbPKlPlN2at6native12_GLOBAL__N_18offset_tEEE10hipError_tPvRmT1_PNSt15iterator_traitsIS12_E10value_typeET2_T3_PNS13_IS18_E10value_typeET4_jRbjT5_S1E_jjP12ihipStream_tbEUljE_ZNSN_ISO_Lb0ESQ_SR_ST_SU_SY_EESZ_S10_S11_S12_S16_S17_S18_S1B_S1C_jS1D_jS1E_S1E_jjS1G_bEUljE0_EEESZ_S10_S11_S18_S1C_S1E_T6_T7_T9_mT8_S1G_bDpT10_ENKUlT_T0_E_clISt17integral_constantIbLb1EES1U_EEDaS1P_S1Q_EUlS1P_E_NS1_11comp_targetILNS1_3genE4ELNS1_11target_archE910ELNS1_3gpuE8ELNS1_3repE0EEENS1_30default_config_static_selectorELNS0_4arch9wavefront6targetE0EEEvS12_,@function
_ZN7rocprim17ROCPRIM_400000_NS6detail17trampoline_kernelINS0_13select_configILj256ELj13ELNS0_17block_load_methodE3ELS4_3ELS4_3ELNS0_20block_scan_algorithmE0ELj4294967295EEENS1_25partition_config_selectorILNS1_17partition_subalgoE4EjNS0_10empty_typeEbEEZZNS1_14partition_implILS8_4ELb0ES6_15HIP_vector_typeIjLj2EENS0_17counting_iteratorIjlEEPS9_SG_NS0_5tupleIJPjSI_NS0_16reverse_iteratorISI_EEEEENSH_IJSG_SG_SG_EEES9_SI_JZNS1_25segmented_radix_sort_implINS0_14default_configELb0EPKbPbPKlPlN2at6native12_GLOBAL__N_18offset_tEEE10hipError_tPvRmT1_PNSt15iterator_traitsIS12_E10value_typeET2_T3_PNS13_IS18_E10value_typeET4_jRbjT5_S1E_jjP12ihipStream_tbEUljE_ZNSN_ISO_Lb0ESQ_SR_ST_SU_SY_EESZ_S10_S11_S12_S16_S17_S18_S1B_S1C_jS1D_jS1E_S1E_jjS1G_bEUljE0_EEESZ_S10_S11_S18_S1C_S1E_T6_T7_T9_mT8_S1G_bDpT10_ENKUlT_T0_E_clISt17integral_constantIbLb1EES1U_EEDaS1P_S1Q_EUlS1P_E_NS1_11comp_targetILNS1_3genE4ELNS1_11target_archE910ELNS1_3gpuE8ELNS1_3repE0EEENS1_30default_config_static_selectorELNS0_4arch9wavefront6targetE0EEEvS12_: ; @_ZN7rocprim17ROCPRIM_400000_NS6detail17trampoline_kernelINS0_13select_configILj256ELj13ELNS0_17block_load_methodE3ELS4_3ELS4_3ELNS0_20block_scan_algorithmE0ELj4294967295EEENS1_25partition_config_selectorILNS1_17partition_subalgoE4EjNS0_10empty_typeEbEEZZNS1_14partition_implILS8_4ELb0ES6_15HIP_vector_typeIjLj2EENS0_17counting_iteratorIjlEEPS9_SG_NS0_5tupleIJPjSI_NS0_16reverse_iteratorISI_EEEEENSH_IJSG_SG_SG_EEES9_SI_JZNS1_25segmented_radix_sort_implINS0_14default_configELb0EPKbPbPKlPlN2at6native12_GLOBAL__N_18offset_tEEE10hipError_tPvRmT1_PNSt15iterator_traitsIS12_E10value_typeET2_T3_PNS13_IS18_E10value_typeET4_jRbjT5_S1E_jjP12ihipStream_tbEUljE_ZNSN_ISO_Lb0ESQ_SR_ST_SU_SY_EESZ_S10_S11_S12_S16_S17_S18_S1B_S1C_jS1D_jS1E_S1E_jjS1G_bEUljE0_EEESZ_S10_S11_S18_S1C_S1E_T6_T7_T9_mT8_S1G_bDpT10_ENKUlT_T0_E_clISt17integral_constantIbLb1EES1U_EEDaS1P_S1Q_EUlS1P_E_NS1_11comp_targetILNS1_3genE4ELNS1_11target_archE910ELNS1_3gpuE8ELNS1_3repE0EEENS1_30default_config_static_selectorELNS0_4arch9wavefront6targetE0EEEvS12_
; %bb.0:
	.section	.rodata,"a",@progbits
	.p2align	6, 0x0
	.amdhsa_kernel _ZN7rocprim17ROCPRIM_400000_NS6detail17trampoline_kernelINS0_13select_configILj256ELj13ELNS0_17block_load_methodE3ELS4_3ELS4_3ELNS0_20block_scan_algorithmE0ELj4294967295EEENS1_25partition_config_selectorILNS1_17partition_subalgoE4EjNS0_10empty_typeEbEEZZNS1_14partition_implILS8_4ELb0ES6_15HIP_vector_typeIjLj2EENS0_17counting_iteratorIjlEEPS9_SG_NS0_5tupleIJPjSI_NS0_16reverse_iteratorISI_EEEEENSH_IJSG_SG_SG_EEES9_SI_JZNS1_25segmented_radix_sort_implINS0_14default_configELb0EPKbPbPKlPlN2at6native12_GLOBAL__N_18offset_tEEE10hipError_tPvRmT1_PNSt15iterator_traitsIS12_E10value_typeET2_T3_PNS13_IS18_E10value_typeET4_jRbjT5_S1E_jjP12ihipStream_tbEUljE_ZNSN_ISO_Lb0ESQ_SR_ST_SU_SY_EESZ_S10_S11_S12_S16_S17_S18_S1B_S1C_jS1D_jS1E_S1E_jjS1G_bEUljE0_EEESZ_S10_S11_S18_S1C_S1E_T6_T7_T9_mT8_S1G_bDpT10_ENKUlT_T0_E_clISt17integral_constantIbLb1EES1U_EEDaS1P_S1Q_EUlS1P_E_NS1_11comp_targetILNS1_3genE4ELNS1_11target_archE910ELNS1_3gpuE8ELNS1_3repE0EEENS1_30default_config_static_selectorELNS0_4arch9wavefront6targetE0EEEvS12_
		.amdhsa_group_segment_fixed_size 0
		.amdhsa_private_segment_fixed_size 0
		.amdhsa_kernarg_size 184
		.amdhsa_user_sgpr_count 2
		.amdhsa_user_sgpr_dispatch_ptr 0
		.amdhsa_user_sgpr_queue_ptr 0
		.amdhsa_user_sgpr_kernarg_segment_ptr 1
		.amdhsa_user_sgpr_dispatch_id 0
		.amdhsa_user_sgpr_private_segment_size 0
		.amdhsa_wavefront_size32 1
		.amdhsa_uses_dynamic_stack 0
		.amdhsa_enable_private_segment 0
		.amdhsa_system_sgpr_workgroup_id_x 1
		.amdhsa_system_sgpr_workgroup_id_y 0
		.amdhsa_system_sgpr_workgroup_id_z 0
		.amdhsa_system_sgpr_workgroup_info 0
		.amdhsa_system_vgpr_workitem_id 0
		.amdhsa_next_free_vgpr 1
		.amdhsa_next_free_sgpr 1
		.amdhsa_reserve_vcc 0
		.amdhsa_float_round_mode_32 0
		.amdhsa_float_round_mode_16_64 0
		.amdhsa_float_denorm_mode_32 3
		.amdhsa_float_denorm_mode_16_64 3
		.amdhsa_fp16_overflow 0
		.amdhsa_workgroup_processor_mode 1
		.amdhsa_memory_ordered 1
		.amdhsa_forward_progress 1
		.amdhsa_inst_pref_size 0
		.amdhsa_round_robin_scheduling 0
		.amdhsa_exception_fp_ieee_invalid_op 0
		.amdhsa_exception_fp_denorm_src 0
		.amdhsa_exception_fp_ieee_div_zero 0
		.amdhsa_exception_fp_ieee_overflow 0
		.amdhsa_exception_fp_ieee_underflow 0
		.amdhsa_exception_fp_ieee_inexact 0
		.amdhsa_exception_int_div_zero 0
	.end_amdhsa_kernel
	.section	.text._ZN7rocprim17ROCPRIM_400000_NS6detail17trampoline_kernelINS0_13select_configILj256ELj13ELNS0_17block_load_methodE3ELS4_3ELS4_3ELNS0_20block_scan_algorithmE0ELj4294967295EEENS1_25partition_config_selectorILNS1_17partition_subalgoE4EjNS0_10empty_typeEbEEZZNS1_14partition_implILS8_4ELb0ES6_15HIP_vector_typeIjLj2EENS0_17counting_iteratorIjlEEPS9_SG_NS0_5tupleIJPjSI_NS0_16reverse_iteratorISI_EEEEENSH_IJSG_SG_SG_EEES9_SI_JZNS1_25segmented_radix_sort_implINS0_14default_configELb0EPKbPbPKlPlN2at6native12_GLOBAL__N_18offset_tEEE10hipError_tPvRmT1_PNSt15iterator_traitsIS12_E10value_typeET2_T3_PNS13_IS18_E10value_typeET4_jRbjT5_S1E_jjP12ihipStream_tbEUljE_ZNSN_ISO_Lb0ESQ_SR_ST_SU_SY_EESZ_S10_S11_S12_S16_S17_S18_S1B_S1C_jS1D_jS1E_S1E_jjS1G_bEUljE0_EEESZ_S10_S11_S18_S1C_S1E_T6_T7_T9_mT8_S1G_bDpT10_ENKUlT_T0_E_clISt17integral_constantIbLb1EES1U_EEDaS1P_S1Q_EUlS1P_E_NS1_11comp_targetILNS1_3genE4ELNS1_11target_archE910ELNS1_3gpuE8ELNS1_3repE0EEENS1_30default_config_static_selectorELNS0_4arch9wavefront6targetE0EEEvS12_,"axG",@progbits,_ZN7rocprim17ROCPRIM_400000_NS6detail17trampoline_kernelINS0_13select_configILj256ELj13ELNS0_17block_load_methodE3ELS4_3ELS4_3ELNS0_20block_scan_algorithmE0ELj4294967295EEENS1_25partition_config_selectorILNS1_17partition_subalgoE4EjNS0_10empty_typeEbEEZZNS1_14partition_implILS8_4ELb0ES6_15HIP_vector_typeIjLj2EENS0_17counting_iteratorIjlEEPS9_SG_NS0_5tupleIJPjSI_NS0_16reverse_iteratorISI_EEEEENSH_IJSG_SG_SG_EEES9_SI_JZNS1_25segmented_radix_sort_implINS0_14default_configELb0EPKbPbPKlPlN2at6native12_GLOBAL__N_18offset_tEEE10hipError_tPvRmT1_PNSt15iterator_traitsIS12_E10value_typeET2_T3_PNS13_IS18_E10value_typeET4_jRbjT5_S1E_jjP12ihipStream_tbEUljE_ZNSN_ISO_Lb0ESQ_SR_ST_SU_SY_EESZ_S10_S11_S12_S16_S17_S18_S1B_S1C_jS1D_jS1E_S1E_jjS1G_bEUljE0_EEESZ_S10_S11_S18_S1C_S1E_T6_T7_T9_mT8_S1G_bDpT10_ENKUlT_T0_E_clISt17integral_constantIbLb1EES1U_EEDaS1P_S1Q_EUlS1P_E_NS1_11comp_targetILNS1_3genE4ELNS1_11target_archE910ELNS1_3gpuE8ELNS1_3repE0EEENS1_30default_config_static_selectorELNS0_4arch9wavefront6targetE0EEEvS12_,comdat
.Lfunc_end1581:
	.size	_ZN7rocprim17ROCPRIM_400000_NS6detail17trampoline_kernelINS0_13select_configILj256ELj13ELNS0_17block_load_methodE3ELS4_3ELS4_3ELNS0_20block_scan_algorithmE0ELj4294967295EEENS1_25partition_config_selectorILNS1_17partition_subalgoE4EjNS0_10empty_typeEbEEZZNS1_14partition_implILS8_4ELb0ES6_15HIP_vector_typeIjLj2EENS0_17counting_iteratorIjlEEPS9_SG_NS0_5tupleIJPjSI_NS0_16reverse_iteratorISI_EEEEENSH_IJSG_SG_SG_EEES9_SI_JZNS1_25segmented_radix_sort_implINS0_14default_configELb0EPKbPbPKlPlN2at6native12_GLOBAL__N_18offset_tEEE10hipError_tPvRmT1_PNSt15iterator_traitsIS12_E10value_typeET2_T3_PNS13_IS18_E10value_typeET4_jRbjT5_S1E_jjP12ihipStream_tbEUljE_ZNSN_ISO_Lb0ESQ_SR_ST_SU_SY_EESZ_S10_S11_S12_S16_S17_S18_S1B_S1C_jS1D_jS1E_S1E_jjS1G_bEUljE0_EEESZ_S10_S11_S18_S1C_S1E_T6_T7_T9_mT8_S1G_bDpT10_ENKUlT_T0_E_clISt17integral_constantIbLb1EES1U_EEDaS1P_S1Q_EUlS1P_E_NS1_11comp_targetILNS1_3genE4ELNS1_11target_archE910ELNS1_3gpuE8ELNS1_3repE0EEENS1_30default_config_static_selectorELNS0_4arch9wavefront6targetE0EEEvS12_, .Lfunc_end1581-_ZN7rocprim17ROCPRIM_400000_NS6detail17trampoline_kernelINS0_13select_configILj256ELj13ELNS0_17block_load_methodE3ELS4_3ELS4_3ELNS0_20block_scan_algorithmE0ELj4294967295EEENS1_25partition_config_selectorILNS1_17partition_subalgoE4EjNS0_10empty_typeEbEEZZNS1_14partition_implILS8_4ELb0ES6_15HIP_vector_typeIjLj2EENS0_17counting_iteratorIjlEEPS9_SG_NS0_5tupleIJPjSI_NS0_16reverse_iteratorISI_EEEEENSH_IJSG_SG_SG_EEES9_SI_JZNS1_25segmented_radix_sort_implINS0_14default_configELb0EPKbPbPKlPlN2at6native12_GLOBAL__N_18offset_tEEE10hipError_tPvRmT1_PNSt15iterator_traitsIS12_E10value_typeET2_T3_PNS13_IS18_E10value_typeET4_jRbjT5_S1E_jjP12ihipStream_tbEUljE_ZNSN_ISO_Lb0ESQ_SR_ST_SU_SY_EESZ_S10_S11_S12_S16_S17_S18_S1B_S1C_jS1D_jS1E_S1E_jjS1G_bEUljE0_EEESZ_S10_S11_S18_S1C_S1E_T6_T7_T9_mT8_S1G_bDpT10_ENKUlT_T0_E_clISt17integral_constantIbLb1EES1U_EEDaS1P_S1Q_EUlS1P_E_NS1_11comp_targetILNS1_3genE4ELNS1_11target_archE910ELNS1_3gpuE8ELNS1_3repE0EEENS1_30default_config_static_selectorELNS0_4arch9wavefront6targetE0EEEvS12_
                                        ; -- End function
	.set _ZN7rocprim17ROCPRIM_400000_NS6detail17trampoline_kernelINS0_13select_configILj256ELj13ELNS0_17block_load_methodE3ELS4_3ELS4_3ELNS0_20block_scan_algorithmE0ELj4294967295EEENS1_25partition_config_selectorILNS1_17partition_subalgoE4EjNS0_10empty_typeEbEEZZNS1_14partition_implILS8_4ELb0ES6_15HIP_vector_typeIjLj2EENS0_17counting_iteratorIjlEEPS9_SG_NS0_5tupleIJPjSI_NS0_16reverse_iteratorISI_EEEEENSH_IJSG_SG_SG_EEES9_SI_JZNS1_25segmented_radix_sort_implINS0_14default_configELb0EPKbPbPKlPlN2at6native12_GLOBAL__N_18offset_tEEE10hipError_tPvRmT1_PNSt15iterator_traitsIS12_E10value_typeET2_T3_PNS13_IS18_E10value_typeET4_jRbjT5_S1E_jjP12ihipStream_tbEUljE_ZNSN_ISO_Lb0ESQ_SR_ST_SU_SY_EESZ_S10_S11_S12_S16_S17_S18_S1B_S1C_jS1D_jS1E_S1E_jjS1G_bEUljE0_EEESZ_S10_S11_S18_S1C_S1E_T6_T7_T9_mT8_S1G_bDpT10_ENKUlT_T0_E_clISt17integral_constantIbLb1EES1U_EEDaS1P_S1Q_EUlS1P_E_NS1_11comp_targetILNS1_3genE4ELNS1_11target_archE910ELNS1_3gpuE8ELNS1_3repE0EEENS1_30default_config_static_selectorELNS0_4arch9wavefront6targetE0EEEvS12_.num_vgpr, 0
	.set _ZN7rocprim17ROCPRIM_400000_NS6detail17trampoline_kernelINS0_13select_configILj256ELj13ELNS0_17block_load_methodE3ELS4_3ELS4_3ELNS0_20block_scan_algorithmE0ELj4294967295EEENS1_25partition_config_selectorILNS1_17partition_subalgoE4EjNS0_10empty_typeEbEEZZNS1_14partition_implILS8_4ELb0ES6_15HIP_vector_typeIjLj2EENS0_17counting_iteratorIjlEEPS9_SG_NS0_5tupleIJPjSI_NS0_16reverse_iteratorISI_EEEEENSH_IJSG_SG_SG_EEES9_SI_JZNS1_25segmented_radix_sort_implINS0_14default_configELb0EPKbPbPKlPlN2at6native12_GLOBAL__N_18offset_tEEE10hipError_tPvRmT1_PNSt15iterator_traitsIS12_E10value_typeET2_T3_PNS13_IS18_E10value_typeET4_jRbjT5_S1E_jjP12ihipStream_tbEUljE_ZNSN_ISO_Lb0ESQ_SR_ST_SU_SY_EESZ_S10_S11_S12_S16_S17_S18_S1B_S1C_jS1D_jS1E_S1E_jjS1G_bEUljE0_EEESZ_S10_S11_S18_S1C_S1E_T6_T7_T9_mT8_S1G_bDpT10_ENKUlT_T0_E_clISt17integral_constantIbLb1EES1U_EEDaS1P_S1Q_EUlS1P_E_NS1_11comp_targetILNS1_3genE4ELNS1_11target_archE910ELNS1_3gpuE8ELNS1_3repE0EEENS1_30default_config_static_selectorELNS0_4arch9wavefront6targetE0EEEvS12_.num_agpr, 0
	.set _ZN7rocprim17ROCPRIM_400000_NS6detail17trampoline_kernelINS0_13select_configILj256ELj13ELNS0_17block_load_methodE3ELS4_3ELS4_3ELNS0_20block_scan_algorithmE0ELj4294967295EEENS1_25partition_config_selectorILNS1_17partition_subalgoE4EjNS0_10empty_typeEbEEZZNS1_14partition_implILS8_4ELb0ES6_15HIP_vector_typeIjLj2EENS0_17counting_iteratorIjlEEPS9_SG_NS0_5tupleIJPjSI_NS0_16reverse_iteratorISI_EEEEENSH_IJSG_SG_SG_EEES9_SI_JZNS1_25segmented_radix_sort_implINS0_14default_configELb0EPKbPbPKlPlN2at6native12_GLOBAL__N_18offset_tEEE10hipError_tPvRmT1_PNSt15iterator_traitsIS12_E10value_typeET2_T3_PNS13_IS18_E10value_typeET4_jRbjT5_S1E_jjP12ihipStream_tbEUljE_ZNSN_ISO_Lb0ESQ_SR_ST_SU_SY_EESZ_S10_S11_S12_S16_S17_S18_S1B_S1C_jS1D_jS1E_S1E_jjS1G_bEUljE0_EEESZ_S10_S11_S18_S1C_S1E_T6_T7_T9_mT8_S1G_bDpT10_ENKUlT_T0_E_clISt17integral_constantIbLb1EES1U_EEDaS1P_S1Q_EUlS1P_E_NS1_11comp_targetILNS1_3genE4ELNS1_11target_archE910ELNS1_3gpuE8ELNS1_3repE0EEENS1_30default_config_static_selectorELNS0_4arch9wavefront6targetE0EEEvS12_.numbered_sgpr, 0
	.set _ZN7rocprim17ROCPRIM_400000_NS6detail17trampoline_kernelINS0_13select_configILj256ELj13ELNS0_17block_load_methodE3ELS4_3ELS4_3ELNS0_20block_scan_algorithmE0ELj4294967295EEENS1_25partition_config_selectorILNS1_17partition_subalgoE4EjNS0_10empty_typeEbEEZZNS1_14partition_implILS8_4ELb0ES6_15HIP_vector_typeIjLj2EENS0_17counting_iteratorIjlEEPS9_SG_NS0_5tupleIJPjSI_NS0_16reverse_iteratorISI_EEEEENSH_IJSG_SG_SG_EEES9_SI_JZNS1_25segmented_radix_sort_implINS0_14default_configELb0EPKbPbPKlPlN2at6native12_GLOBAL__N_18offset_tEEE10hipError_tPvRmT1_PNSt15iterator_traitsIS12_E10value_typeET2_T3_PNS13_IS18_E10value_typeET4_jRbjT5_S1E_jjP12ihipStream_tbEUljE_ZNSN_ISO_Lb0ESQ_SR_ST_SU_SY_EESZ_S10_S11_S12_S16_S17_S18_S1B_S1C_jS1D_jS1E_S1E_jjS1G_bEUljE0_EEESZ_S10_S11_S18_S1C_S1E_T6_T7_T9_mT8_S1G_bDpT10_ENKUlT_T0_E_clISt17integral_constantIbLb1EES1U_EEDaS1P_S1Q_EUlS1P_E_NS1_11comp_targetILNS1_3genE4ELNS1_11target_archE910ELNS1_3gpuE8ELNS1_3repE0EEENS1_30default_config_static_selectorELNS0_4arch9wavefront6targetE0EEEvS12_.num_named_barrier, 0
	.set _ZN7rocprim17ROCPRIM_400000_NS6detail17trampoline_kernelINS0_13select_configILj256ELj13ELNS0_17block_load_methodE3ELS4_3ELS4_3ELNS0_20block_scan_algorithmE0ELj4294967295EEENS1_25partition_config_selectorILNS1_17partition_subalgoE4EjNS0_10empty_typeEbEEZZNS1_14partition_implILS8_4ELb0ES6_15HIP_vector_typeIjLj2EENS0_17counting_iteratorIjlEEPS9_SG_NS0_5tupleIJPjSI_NS0_16reverse_iteratorISI_EEEEENSH_IJSG_SG_SG_EEES9_SI_JZNS1_25segmented_radix_sort_implINS0_14default_configELb0EPKbPbPKlPlN2at6native12_GLOBAL__N_18offset_tEEE10hipError_tPvRmT1_PNSt15iterator_traitsIS12_E10value_typeET2_T3_PNS13_IS18_E10value_typeET4_jRbjT5_S1E_jjP12ihipStream_tbEUljE_ZNSN_ISO_Lb0ESQ_SR_ST_SU_SY_EESZ_S10_S11_S12_S16_S17_S18_S1B_S1C_jS1D_jS1E_S1E_jjS1G_bEUljE0_EEESZ_S10_S11_S18_S1C_S1E_T6_T7_T9_mT8_S1G_bDpT10_ENKUlT_T0_E_clISt17integral_constantIbLb1EES1U_EEDaS1P_S1Q_EUlS1P_E_NS1_11comp_targetILNS1_3genE4ELNS1_11target_archE910ELNS1_3gpuE8ELNS1_3repE0EEENS1_30default_config_static_selectorELNS0_4arch9wavefront6targetE0EEEvS12_.private_seg_size, 0
	.set _ZN7rocprim17ROCPRIM_400000_NS6detail17trampoline_kernelINS0_13select_configILj256ELj13ELNS0_17block_load_methodE3ELS4_3ELS4_3ELNS0_20block_scan_algorithmE0ELj4294967295EEENS1_25partition_config_selectorILNS1_17partition_subalgoE4EjNS0_10empty_typeEbEEZZNS1_14partition_implILS8_4ELb0ES6_15HIP_vector_typeIjLj2EENS0_17counting_iteratorIjlEEPS9_SG_NS0_5tupleIJPjSI_NS0_16reverse_iteratorISI_EEEEENSH_IJSG_SG_SG_EEES9_SI_JZNS1_25segmented_radix_sort_implINS0_14default_configELb0EPKbPbPKlPlN2at6native12_GLOBAL__N_18offset_tEEE10hipError_tPvRmT1_PNSt15iterator_traitsIS12_E10value_typeET2_T3_PNS13_IS18_E10value_typeET4_jRbjT5_S1E_jjP12ihipStream_tbEUljE_ZNSN_ISO_Lb0ESQ_SR_ST_SU_SY_EESZ_S10_S11_S12_S16_S17_S18_S1B_S1C_jS1D_jS1E_S1E_jjS1G_bEUljE0_EEESZ_S10_S11_S18_S1C_S1E_T6_T7_T9_mT8_S1G_bDpT10_ENKUlT_T0_E_clISt17integral_constantIbLb1EES1U_EEDaS1P_S1Q_EUlS1P_E_NS1_11comp_targetILNS1_3genE4ELNS1_11target_archE910ELNS1_3gpuE8ELNS1_3repE0EEENS1_30default_config_static_selectorELNS0_4arch9wavefront6targetE0EEEvS12_.uses_vcc, 0
	.set _ZN7rocprim17ROCPRIM_400000_NS6detail17trampoline_kernelINS0_13select_configILj256ELj13ELNS0_17block_load_methodE3ELS4_3ELS4_3ELNS0_20block_scan_algorithmE0ELj4294967295EEENS1_25partition_config_selectorILNS1_17partition_subalgoE4EjNS0_10empty_typeEbEEZZNS1_14partition_implILS8_4ELb0ES6_15HIP_vector_typeIjLj2EENS0_17counting_iteratorIjlEEPS9_SG_NS0_5tupleIJPjSI_NS0_16reverse_iteratorISI_EEEEENSH_IJSG_SG_SG_EEES9_SI_JZNS1_25segmented_radix_sort_implINS0_14default_configELb0EPKbPbPKlPlN2at6native12_GLOBAL__N_18offset_tEEE10hipError_tPvRmT1_PNSt15iterator_traitsIS12_E10value_typeET2_T3_PNS13_IS18_E10value_typeET4_jRbjT5_S1E_jjP12ihipStream_tbEUljE_ZNSN_ISO_Lb0ESQ_SR_ST_SU_SY_EESZ_S10_S11_S12_S16_S17_S18_S1B_S1C_jS1D_jS1E_S1E_jjS1G_bEUljE0_EEESZ_S10_S11_S18_S1C_S1E_T6_T7_T9_mT8_S1G_bDpT10_ENKUlT_T0_E_clISt17integral_constantIbLb1EES1U_EEDaS1P_S1Q_EUlS1P_E_NS1_11comp_targetILNS1_3genE4ELNS1_11target_archE910ELNS1_3gpuE8ELNS1_3repE0EEENS1_30default_config_static_selectorELNS0_4arch9wavefront6targetE0EEEvS12_.uses_flat_scratch, 0
	.set _ZN7rocprim17ROCPRIM_400000_NS6detail17trampoline_kernelINS0_13select_configILj256ELj13ELNS0_17block_load_methodE3ELS4_3ELS4_3ELNS0_20block_scan_algorithmE0ELj4294967295EEENS1_25partition_config_selectorILNS1_17partition_subalgoE4EjNS0_10empty_typeEbEEZZNS1_14partition_implILS8_4ELb0ES6_15HIP_vector_typeIjLj2EENS0_17counting_iteratorIjlEEPS9_SG_NS0_5tupleIJPjSI_NS0_16reverse_iteratorISI_EEEEENSH_IJSG_SG_SG_EEES9_SI_JZNS1_25segmented_radix_sort_implINS0_14default_configELb0EPKbPbPKlPlN2at6native12_GLOBAL__N_18offset_tEEE10hipError_tPvRmT1_PNSt15iterator_traitsIS12_E10value_typeET2_T3_PNS13_IS18_E10value_typeET4_jRbjT5_S1E_jjP12ihipStream_tbEUljE_ZNSN_ISO_Lb0ESQ_SR_ST_SU_SY_EESZ_S10_S11_S12_S16_S17_S18_S1B_S1C_jS1D_jS1E_S1E_jjS1G_bEUljE0_EEESZ_S10_S11_S18_S1C_S1E_T6_T7_T9_mT8_S1G_bDpT10_ENKUlT_T0_E_clISt17integral_constantIbLb1EES1U_EEDaS1P_S1Q_EUlS1P_E_NS1_11comp_targetILNS1_3genE4ELNS1_11target_archE910ELNS1_3gpuE8ELNS1_3repE0EEENS1_30default_config_static_selectorELNS0_4arch9wavefront6targetE0EEEvS12_.has_dyn_sized_stack, 0
	.set _ZN7rocprim17ROCPRIM_400000_NS6detail17trampoline_kernelINS0_13select_configILj256ELj13ELNS0_17block_load_methodE3ELS4_3ELS4_3ELNS0_20block_scan_algorithmE0ELj4294967295EEENS1_25partition_config_selectorILNS1_17partition_subalgoE4EjNS0_10empty_typeEbEEZZNS1_14partition_implILS8_4ELb0ES6_15HIP_vector_typeIjLj2EENS0_17counting_iteratorIjlEEPS9_SG_NS0_5tupleIJPjSI_NS0_16reverse_iteratorISI_EEEEENSH_IJSG_SG_SG_EEES9_SI_JZNS1_25segmented_radix_sort_implINS0_14default_configELb0EPKbPbPKlPlN2at6native12_GLOBAL__N_18offset_tEEE10hipError_tPvRmT1_PNSt15iterator_traitsIS12_E10value_typeET2_T3_PNS13_IS18_E10value_typeET4_jRbjT5_S1E_jjP12ihipStream_tbEUljE_ZNSN_ISO_Lb0ESQ_SR_ST_SU_SY_EESZ_S10_S11_S12_S16_S17_S18_S1B_S1C_jS1D_jS1E_S1E_jjS1G_bEUljE0_EEESZ_S10_S11_S18_S1C_S1E_T6_T7_T9_mT8_S1G_bDpT10_ENKUlT_T0_E_clISt17integral_constantIbLb1EES1U_EEDaS1P_S1Q_EUlS1P_E_NS1_11comp_targetILNS1_3genE4ELNS1_11target_archE910ELNS1_3gpuE8ELNS1_3repE0EEENS1_30default_config_static_selectorELNS0_4arch9wavefront6targetE0EEEvS12_.has_recursion, 0
	.set _ZN7rocprim17ROCPRIM_400000_NS6detail17trampoline_kernelINS0_13select_configILj256ELj13ELNS0_17block_load_methodE3ELS4_3ELS4_3ELNS0_20block_scan_algorithmE0ELj4294967295EEENS1_25partition_config_selectorILNS1_17partition_subalgoE4EjNS0_10empty_typeEbEEZZNS1_14partition_implILS8_4ELb0ES6_15HIP_vector_typeIjLj2EENS0_17counting_iteratorIjlEEPS9_SG_NS0_5tupleIJPjSI_NS0_16reverse_iteratorISI_EEEEENSH_IJSG_SG_SG_EEES9_SI_JZNS1_25segmented_radix_sort_implINS0_14default_configELb0EPKbPbPKlPlN2at6native12_GLOBAL__N_18offset_tEEE10hipError_tPvRmT1_PNSt15iterator_traitsIS12_E10value_typeET2_T3_PNS13_IS18_E10value_typeET4_jRbjT5_S1E_jjP12ihipStream_tbEUljE_ZNSN_ISO_Lb0ESQ_SR_ST_SU_SY_EESZ_S10_S11_S12_S16_S17_S18_S1B_S1C_jS1D_jS1E_S1E_jjS1G_bEUljE0_EEESZ_S10_S11_S18_S1C_S1E_T6_T7_T9_mT8_S1G_bDpT10_ENKUlT_T0_E_clISt17integral_constantIbLb1EES1U_EEDaS1P_S1Q_EUlS1P_E_NS1_11comp_targetILNS1_3genE4ELNS1_11target_archE910ELNS1_3gpuE8ELNS1_3repE0EEENS1_30default_config_static_selectorELNS0_4arch9wavefront6targetE0EEEvS12_.has_indirect_call, 0
	.section	.AMDGPU.csdata,"",@progbits
; Kernel info:
; codeLenInByte = 0
; TotalNumSgprs: 0
; NumVgprs: 0
; ScratchSize: 0
; MemoryBound: 0
; FloatMode: 240
; IeeeMode: 1
; LDSByteSize: 0 bytes/workgroup (compile time only)
; SGPRBlocks: 0
; VGPRBlocks: 0
; NumSGPRsForWavesPerEU: 1
; NumVGPRsForWavesPerEU: 1
; Occupancy: 16
; WaveLimiterHint : 0
; COMPUTE_PGM_RSRC2:SCRATCH_EN: 0
; COMPUTE_PGM_RSRC2:USER_SGPR: 2
; COMPUTE_PGM_RSRC2:TRAP_HANDLER: 0
; COMPUTE_PGM_RSRC2:TGID_X_EN: 1
; COMPUTE_PGM_RSRC2:TGID_Y_EN: 0
; COMPUTE_PGM_RSRC2:TGID_Z_EN: 0
; COMPUTE_PGM_RSRC2:TIDIG_COMP_CNT: 0
	.section	.text._ZN7rocprim17ROCPRIM_400000_NS6detail17trampoline_kernelINS0_13select_configILj256ELj13ELNS0_17block_load_methodE3ELS4_3ELS4_3ELNS0_20block_scan_algorithmE0ELj4294967295EEENS1_25partition_config_selectorILNS1_17partition_subalgoE4EjNS0_10empty_typeEbEEZZNS1_14partition_implILS8_4ELb0ES6_15HIP_vector_typeIjLj2EENS0_17counting_iteratorIjlEEPS9_SG_NS0_5tupleIJPjSI_NS0_16reverse_iteratorISI_EEEEENSH_IJSG_SG_SG_EEES9_SI_JZNS1_25segmented_radix_sort_implINS0_14default_configELb0EPKbPbPKlPlN2at6native12_GLOBAL__N_18offset_tEEE10hipError_tPvRmT1_PNSt15iterator_traitsIS12_E10value_typeET2_T3_PNS13_IS18_E10value_typeET4_jRbjT5_S1E_jjP12ihipStream_tbEUljE_ZNSN_ISO_Lb0ESQ_SR_ST_SU_SY_EESZ_S10_S11_S12_S16_S17_S18_S1B_S1C_jS1D_jS1E_S1E_jjS1G_bEUljE0_EEESZ_S10_S11_S18_S1C_S1E_T6_T7_T9_mT8_S1G_bDpT10_ENKUlT_T0_E_clISt17integral_constantIbLb1EES1U_EEDaS1P_S1Q_EUlS1P_E_NS1_11comp_targetILNS1_3genE3ELNS1_11target_archE908ELNS1_3gpuE7ELNS1_3repE0EEENS1_30default_config_static_selectorELNS0_4arch9wavefront6targetE0EEEvS12_,"axG",@progbits,_ZN7rocprim17ROCPRIM_400000_NS6detail17trampoline_kernelINS0_13select_configILj256ELj13ELNS0_17block_load_methodE3ELS4_3ELS4_3ELNS0_20block_scan_algorithmE0ELj4294967295EEENS1_25partition_config_selectorILNS1_17partition_subalgoE4EjNS0_10empty_typeEbEEZZNS1_14partition_implILS8_4ELb0ES6_15HIP_vector_typeIjLj2EENS0_17counting_iteratorIjlEEPS9_SG_NS0_5tupleIJPjSI_NS0_16reverse_iteratorISI_EEEEENSH_IJSG_SG_SG_EEES9_SI_JZNS1_25segmented_radix_sort_implINS0_14default_configELb0EPKbPbPKlPlN2at6native12_GLOBAL__N_18offset_tEEE10hipError_tPvRmT1_PNSt15iterator_traitsIS12_E10value_typeET2_T3_PNS13_IS18_E10value_typeET4_jRbjT5_S1E_jjP12ihipStream_tbEUljE_ZNSN_ISO_Lb0ESQ_SR_ST_SU_SY_EESZ_S10_S11_S12_S16_S17_S18_S1B_S1C_jS1D_jS1E_S1E_jjS1G_bEUljE0_EEESZ_S10_S11_S18_S1C_S1E_T6_T7_T9_mT8_S1G_bDpT10_ENKUlT_T0_E_clISt17integral_constantIbLb1EES1U_EEDaS1P_S1Q_EUlS1P_E_NS1_11comp_targetILNS1_3genE3ELNS1_11target_archE908ELNS1_3gpuE7ELNS1_3repE0EEENS1_30default_config_static_selectorELNS0_4arch9wavefront6targetE0EEEvS12_,comdat
	.globl	_ZN7rocprim17ROCPRIM_400000_NS6detail17trampoline_kernelINS0_13select_configILj256ELj13ELNS0_17block_load_methodE3ELS4_3ELS4_3ELNS0_20block_scan_algorithmE0ELj4294967295EEENS1_25partition_config_selectorILNS1_17partition_subalgoE4EjNS0_10empty_typeEbEEZZNS1_14partition_implILS8_4ELb0ES6_15HIP_vector_typeIjLj2EENS0_17counting_iteratorIjlEEPS9_SG_NS0_5tupleIJPjSI_NS0_16reverse_iteratorISI_EEEEENSH_IJSG_SG_SG_EEES9_SI_JZNS1_25segmented_radix_sort_implINS0_14default_configELb0EPKbPbPKlPlN2at6native12_GLOBAL__N_18offset_tEEE10hipError_tPvRmT1_PNSt15iterator_traitsIS12_E10value_typeET2_T3_PNS13_IS18_E10value_typeET4_jRbjT5_S1E_jjP12ihipStream_tbEUljE_ZNSN_ISO_Lb0ESQ_SR_ST_SU_SY_EESZ_S10_S11_S12_S16_S17_S18_S1B_S1C_jS1D_jS1E_S1E_jjS1G_bEUljE0_EEESZ_S10_S11_S18_S1C_S1E_T6_T7_T9_mT8_S1G_bDpT10_ENKUlT_T0_E_clISt17integral_constantIbLb1EES1U_EEDaS1P_S1Q_EUlS1P_E_NS1_11comp_targetILNS1_3genE3ELNS1_11target_archE908ELNS1_3gpuE7ELNS1_3repE0EEENS1_30default_config_static_selectorELNS0_4arch9wavefront6targetE0EEEvS12_ ; -- Begin function _ZN7rocprim17ROCPRIM_400000_NS6detail17trampoline_kernelINS0_13select_configILj256ELj13ELNS0_17block_load_methodE3ELS4_3ELS4_3ELNS0_20block_scan_algorithmE0ELj4294967295EEENS1_25partition_config_selectorILNS1_17partition_subalgoE4EjNS0_10empty_typeEbEEZZNS1_14partition_implILS8_4ELb0ES6_15HIP_vector_typeIjLj2EENS0_17counting_iteratorIjlEEPS9_SG_NS0_5tupleIJPjSI_NS0_16reverse_iteratorISI_EEEEENSH_IJSG_SG_SG_EEES9_SI_JZNS1_25segmented_radix_sort_implINS0_14default_configELb0EPKbPbPKlPlN2at6native12_GLOBAL__N_18offset_tEEE10hipError_tPvRmT1_PNSt15iterator_traitsIS12_E10value_typeET2_T3_PNS13_IS18_E10value_typeET4_jRbjT5_S1E_jjP12ihipStream_tbEUljE_ZNSN_ISO_Lb0ESQ_SR_ST_SU_SY_EESZ_S10_S11_S12_S16_S17_S18_S1B_S1C_jS1D_jS1E_S1E_jjS1G_bEUljE0_EEESZ_S10_S11_S18_S1C_S1E_T6_T7_T9_mT8_S1G_bDpT10_ENKUlT_T0_E_clISt17integral_constantIbLb1EES1U_EEDaS1P_S1Q_EUlS1P_E_NS1_11comp_targetILNS1_3genE3ELNS1_11target_archE908ELNS1_3gpuE7ELNS1_3repE0EEENS1_30default_config_static_selectorELNS0_4arch9wavefront6targetE0EEEvS12_
	.p2align	8
	.type	_ZN7rocprim17ROCPRIM_400000_NS6detail17trampoline_kernelINS0_13select_configILj256ELj13ELNS0_17block_load_methodE3ELS4_3ELS4_3ELNS0_20block_scan_algorithmE0ELj4294967295EEENS1_25partition_config_selectorILNS1_17partition_subalgoE4EjNS0_10empty_typeEbEEZZNS1_14partition_implILS8_4ELb0ES6_15HIP_vector_typeIjLj2EENS0_17counting_iteratorIjlEEPS9_SG_NS0_5tupleIJPjSI_NS0_16reverse_iteratorISI_EEEEENSH_IJSG_SG_SG_EEES9_SI_JZNS1_25segmented_radix_sort_implINS0_14default_configELb0EPKbPbPKlPlN2at6native12_GLOBAL__N_18offset_tEEE10hipError_tPvRmT1_PNSt15iterator_traitsIS12_E10value_typeET2_T3_PNS13_IS18_E10value_typeET4_jRbjT5_S1E_jjP12ihipStream_tbEUljE_ZNSN_ISO_Lb0ESQ_SR_ST_SU_SY_EESZ_S10_S11_S12_S16_S17_S18_S1B_S1C_jS1D_jS1E_S1E_jjS1G_bEUljE0_EEESZ_S10_S11_S18_S1C_S1E_T6_T7_T9_mT8_S1G_bDpT10_ENKUlT_T0_E_clISt17integral_constantIbLb1EES1U_EEDaS1P_S1Q_EUlS1P_E_NS1_11comp_targetILNS1_3genE3ELNS1_11target_archE908ELNS1_3gpuE7ELNS1_3repE0EEENS1_30default_config_static_selectorELNS0_4arch9wavefront6targetE0EEEvS12_,@function
_ZN7rocprim17ROCPRIM_400000_NS6detail17trampoline_kernelINS0_13select_configILj256ELj13ELNS0_17block_load_methodE3ELS4_3ELS4_3ELNS0_20block_scan_algorithmE0ELj4294967295EEENS1_25partition_config_selectorILNS1_17partition_subalgoE4EjNS0_10empty_typeEbEEZZNS1_14partition_implILS8_4ELb0ES6_15HIP_vector_typeIjLj2EENS0_17counting_iteratorIjlEEPS9_SG_NS0_5tupleIJPjSI_NS0_16reverse_iteratorISI_EEEEENSH_IJSG_SG_SG_EEES9_SI_JZNS1_25segmented_radix_sort_implINS0_14default_configELb0EPKbPbPKlPlN2at6native12_GLOBAL__N_18offset_tEEE10hipError_tPvRmT1_PNSt15iterator_traitsIS12_E10value_typeET2_T3_PNS13_IS18_E10value_typeET4_jRbjT5_S1E_jjP12ihipStream_tbEUljE_ZNSN_ISO_Lb0ESQ_SR_ST_SU_SY_EESZ_S10_S11_S12_S16_S17_S18_S1B_S1C_jS1D_jS1E_S1E_jjS1G_bEUljE0_EEESZ_S10_S11_S18_S1C_S1E_T6_T7_T9_mT8_S1G_bDpT10_ENKUlT_T0_E_clISt17integral_constantIbLb1EES1U_EEDaS1P_S1Q_EUlS1P_E_NS1_11comp_targetILNS1_3genE3ELNS1_11target_archE908ELNS1_3gpuE7ELNS1_3repE0EEENS1_30default_config_static_selectorELNS0_4arch9wavefront6targetE0EEEvS12_: ; @_ZN7rocprim17ROCPRIM_400000_NS6detail17trampoline_kernelINS0_13select_configILj256ELj13ELNS0_17block_load_methodE3ELS4_3ELS4_3ELNS0_20block_scan_algorithmE0ELj4294967295EEENS1_25partition_config_selectorILNS1_17partition_subalgoE4EjNS0_10empty_typeEbEEZZNS1_14partition_implILS8_4ELb0ES6_15HIP_vector_typeIjLj2EENS0_17counting_iteratorIjlEEPS9_SG_NS0_5tupleIJPjSI_NS0_16reverse_iteratorISI_EEEEENSH_IJSG_SG_SG_EEES9_SI_JZNS1_25segmented_radix_sort_implINS0_14default_configELb0EPKbPbPKlPlN2at6native12_GLOBAL__N_18offset_tEEE10hipError_tPvRmT1_PNSt15iterator_traitsIS12_E10value_typeET2_T3_PNS13_IS18_E10value_typeET4_jRbjT5_S1E_jjP12ihipStream_tbEUljE_ZNSN_ISO_Lb0ESQ_SR_ST_SU_SY_EESZ_S10_S11_S12_S16_S17_S18_S1B_S1C_jS1D_jS1E_S1E_jjS1G_bEUljE0_EEESZ_S10_S11_S18_S1C_S1E_T6_T7_T9_mT8_S1G_bDpT10_ENKUlT_T0_E_clISt17integral_constantIbLb1EES1U_EEDaS1P_S1Q_EUlS1P_E_NS1_11comp_targetILNS1_3genE3ELNS1_11target_archE908ELNS1_3gpuE7ELNS1_3repE0EEENS1_30default_config_static_selectorELNS0_4arch9wavefront6targetE0EEEvS12_
; %bb.0:
	.section	.rodata,"a",@progbits
	.p2align	6, 0x0
	.amdhsa_kernel _ZN7rocprim17ROCPRIM_400000_NS6detail17trampoline_kernelINS0_13select_configILj256ELj13ELNS0_17block_load_methodE3ELS4_3ELS4_3ELNS0_20block_scan_algorithmE0ELj4294967295EEENS1_25partition_config_selectorILNS1_17partition_subalgoE4EjNS0_10empty_typeEbEEZZNS1_14partition_implILS8_4ELb0ES6_15HIP_vector_typeIjLj2EENS0_17counting_iteratorIjlEEPS9_SG_NS0_5tupleIJPjSI_NS0_16reverse_iteratorISI_EEEEENSH_IJSG_SG_SG_EEES9_SI_JZNS1_25segmented_radix_sort_implINS0_14default_configELb0EPKbPbPKlPlN2at6native12_GLOBAL__N_18offset_tEEE10hipError_tPvRmT1_PNSt15iterator_traitsIS12_E10value_typeET2_T3_PNS13_IS18_E10value_typeET4_jRbjT5_S1E_jjP12ihipStream_tbEUljE_ZNSN_ISO_Lb0ESQ_SR_ST_SU_SY_EESZ_S10_S11_S12_S16_S17_S18_S1B_S1C_jS1D_jS1E_S1E_jjS1G_bEUljE0_EEESZ_S10_S11_S18_S1C_S1E_T6_T7_T9_mT8_S1G_bDpT10_ENKUlT_T0_E_clISt17integral_constantIbLb1EES1U_EEDaS1P_S1Q_EUlS1P_E_NS1_11comp_targetILNS1_3genE3ELNS1_11target_archE908ELNS1_3gpuE7ELNS1_3repE0EEENS1_30default_config_static_selectorELNS0_4arch9wavefront6targetE0EEEvS12_
		.amdhsa_group_segment_fixed_size 0
		.amdhsa_private_segment_fixed_size 0
		.amdhsa_kernarg_size 184
		.amdhsa_user_sgpr_count 2
		.amdhsa_user_sgpr_dispatch_ptr 0
		.amdhsa_user_sgpr_queue_ptr 0
		.amdhsa_user_sgpr_kernarg_segment_ptr 1
		.amdhsa_user_sgpr_dispatch_id 0
		.amdhsa_user_sgpr_private_segment_size 0
		.amdhsa_wavefront_size32 1
		.amdhsa_uses_dynamic_stack 0
		.amdhsa_enable_private_segment 0
		.amdhsa_system_sgpr_workgroup_id_x 1
		.amdhsa_system_sgpr_workgroup_id_y 0
		.amdhsa_system_sgpr_workgroup_id_z 0
		.amdhsa_system_sgpr_workgroup_info 0
		.amdhsa_system_vgpr_workitem_id 0
		.amdhsa_next_free_vgpr 1
		.amdhsa_next_free_sgpr 1
		.amdhsa_reserve_vcc 0
		.amdhsa_float_round_mode_32 0
		.amdhsa_float_round_mode_16_64 0
		.amdhsa_float_denorm_mode_32 3
		.amdhsa_float_denorm_mode_16_64 3
		.amdhsa_fp16_overflow 0
		.amdhsa_workgroup_processor_mode 1
		.amdhsa_memory_ordered 1
		.amdhsa_forward_progress 1
		.amdhsa_inst_pref_size 0
		.amdhsa_round_robin_scheduling 0
		.amdhsa_exception_fp_ieee_invalid_op 0
		.amdhsa_exception_fp_denorm_src 0
		.amdhsa_exception_fp_ieee_div_zero 0
		.amdhsa_exception_fp_ieee_overflow 0
		.amdhsa_exception_fp_ieee_underflow 0
		.amdhsa_exception_fp_ieee_inexact 0
		.amdhsa_exception_int_div_zero 0
	.end_amdhsa_kernel
	.section	.text._ZN7rocprim17ROCPRIM_400000_NS6detail17trampoline_kernelINS0_13select_configILj256ELj13ELNS0_17block_load_methodE3ELS4_3ELS4_3ELNS0_20block_scan_algorithmE0ELj4294967295EEENS1_25partition_config_selectorILNS1_17partition_subalgoE4EjNS0_10empty_typeEbEEZZNS1_14partition_implILS8_4ELb0ES6_15HIP_vector_typeIjLj2EENS0_17counting_iteratorIjlEEPS9_SG_NS0_5tupleIJPjSI_NS0_16reverse_iteratorISI_EEEEENSH_IJSG_SG_SG_EEES9_SI_JZNS1_25segmented_radix_sort_implINS0_14default_configELb0EPKbPbPKlPlN2at6native12_GLOBAL__N_18offset_tEEE10hipError_tPvRmT1_PNSt15iterator_traitsIS12_E10value_typeET2_T3_PNS13_IS18_E10value_typeET4_jRbjT5_S1E_jjP12ihipStream_tbEUljE_ZNSN_ISO_Lb0ESQ_SR_ST_SU_SY_EESZ_S10_S11_S12_S16_S17_S18_S1B_S1C_jS1D_jS1E_S1E_jjS1G_bEUljE0_EEESZ_S10_S11_S18_S1C_S1E_T6_T7_T9_mT8_S1G_bDpT10_ENKUlT_T0_E_clISt17integral_constantIbLb1EES1U_EEDaS1P_S1Q_EUlS1P_E_NS1_11comp_targetILNS1_3genE3ELNS1_11target_archE908ELNS1_3gpuE7ELNS1_3repE0EEENS1_30default_config_static_selectorELNS0_4arch9wavefront6targetE0EEEvS12_,"axG",@progbits,_ZN7rocprim17ROCPRIM_400000_NS6detail17trampoline_kernelINS0_13select_configILj256ELj13ELNS0_17block_load_methodE3ELS4_3ELS4_3ELNS0_20block_scan_algorithmE0ELj4294967295EEENS1_25partition_config_selectorILNS1_17partition_subalgoE4EjNS0_10empty_typeEbEEZZNS1_14partition_implILS8_4ELb0ES6_15HIP_vector_typeIjLj2EENS0_17counting_iteratorIjlEEPS9_SG_NS0_5tupleIJPjSI_NS0_16reverse_iteratorISI_EEEEENSH_IJSG_SG_SG_EEES9_SI_JZNS1_25segmented_radix_sort_implINS0_14default_configELb0EPKbPbPKlPlN2at6native12_GLOBAL__N_18offset_tEEE10hipError_tPvRmT1_PNSt15iterator_traitsIS12_E10value_typeET2_T3_PNS13_IS18_E10value_typeET4_jRbjT5_S1E_jjP12ihipStream_tbEUljE_ZNSN_ISO_Lb0ESQ_SR_ST_SU_SY_EESZ_S10_S11_S12_S16_S17_S18_S1B_S1C_jS1D_jS1E_S1E_jjS1G_bEUljE0_EEESZ_S10_S11_S18_S1C_S1E_T6_T7_T9_mT8_S1G_bDpT10_ENKUlT_T0_E_clISt17integral_constantIbLb1EES1U_EEDaS1P_S1Q_EUlS1P_E_NS1_11comp_targetILNS1_3genE3ELNS1_11target_archE908ELNS1_3gpuE7ELNS1_3repE0EEENS1_30default_config_static_selectorELNS0_4arch9wavefront6targetE0EEEvS12_,comdat
.Lfunc_end1582:
	.size	_ZN7rocprim17ROCPRIM_400000_NS6detail17trampoline_kernelINS0_13select_configILj256ELj13ELNS0_17block_load_methodE3ELS4_3ELS4_3ELNS0_20block_scan_algorithmE0ELj4294967295EEENS1_25partition_config_selectorILNS1_17partition_subalgoE4EjNS0_10empty_typeEbEEZZNS1_14partition_implILS8_4ELb0ES6_15HIP_vector_typeIjLj2EENS0_17counting_iteratorIjlEEPS9_SG_NS0_5tupleIJPjSI_NS0_16reverse_iteratorISI_EEEEENSH_IJSG_SG_SG_EEES9_SI_JZNS1_25segmented_radix_sort_implINS0_14default_configELb0EPKbPbPKlPlN2at6native12_GLOBAL__N_18offset_tEEE10hipError_tPvRmT1_PNSt15iterator_traitsIS12_E10value_typeET2_T3_PNS13_IS18_E10value_typeET4_jRbjT5_S1E_jjP12ihipStream_tbEUljE_ZNSN_ISO_Lb0ESQ_SR_ST_SU_SY_EESZ_S10_S11_S12_S16_S17_S18_S1B_S1C_jS1D_jS1E_S1E_jjS1G_bEUljE0_EEESZ_S10_S11_S18_S1C_S1E_T6_T7_T9_mT8_S1G_bDpT10_ENKUlT_T0_E_clISt17integral_constantIbLb1EES1U_EEDaS1P_S1Q_EUlS1P_E_NS1_11comp_targetILNS1_3genE3ELNS1_11target_archE908ELNS1_3gpuE7ELNS1_3repE0EEENS1_30default_config_static_selectorELNS0_4arch9wavefront6targetE0EEEvS12_, .Lfunc_end1582-_ZN7rocprim17ROCPRIM_400000_NS6detail17trampoline_kernelINS0_13select_configILj256ELj13ELNS0_17block_load_methodE3ELS4_3ELS4_3ELNS0_20block_scan_algorithmE0ELj4294967295EEENS1_25partition_config_selectorILNS1_17partition_subalgoE4EjNS0_10empty_typeEbEEZZNS1_14partition_implILS8_4ELb0ES6_15HIP_vector_typeIjLj2EENS0_17counting_iteratorIjlEEPS9_SG_NS0_5tupleIJPjSI_NS0_16reverse_iteratorISI_EEEEENSH_IJSG_SG_SG_EEES9_SI_JZNS1_25segmented_radix_sort_implINS0_14default_configELb0EPKbPbPKlPlN2at6native12_GLOBAL__N_18offset_tEEE10hipError_tPvRmT1_PNSt15iterator_traitsIS12_E10value_typeET2_T3_PNS13_IS18_E10value_typeET4_jRbjT5_S1E_jjP12ihipStream_tbEUljE_ZNSN_ISO_Lb0ESQ_SR_ST_SU_SY_EESZ_S10_S11_S12_S16_S17_S18_S1B_S1C_jS1D_jS1E_S1E_jjS1G_bEUljE0_EEESZ_S10_S11_S18_S1C_S1E_T6_T7_T9_mT8_S1G_bDpT10_ENKUlT_T0_E_clISt17integral_constantIbLb1EES1U_EEDaS1P_S1Q_EUlS1P_E_NS1_11comp_targetILNS1_3genE3ELNS1_11target_archE908ELNS1_3gpuE7ELNS1_3repE0EEENS1_30default_config_static_selectorELNS0_4arch9wavefront6targetE0EEEvS12_
                                        ; -- End function
	.set _ZN7rocprim17ROCPRIM_400000_NS6detail17trampoline_kernelINS0_13select_configILj256ELj13ELNS0_17block_load_methodE3ELS4_3ELS4_3ELNS0_20block_scan_algorithmE0ELj4294967295EEENS1_25partition_config_selectorILNS1_17partition_subalgoE4EjNS0_10empty_typeEbEEZZNS1_14partition_implILS8_4ELb0ES6_15HIP_vector_typeIjLj2EENS0_17counting_iteratorIjlEEPS9_SG_NS0_5tupleIJPjSI_NS0_16reverse_iteratorISI_EEEEENSH_IJSG_SG_SG_EEES9_SI_JZNS1_25segmented_radix_sort_implINS0_14default_configELb0EPKbPbPKlPlN2at6native12_GLOBAL__N_18offset_tEEE10hipError_tPvRmT1_PNSt15iterator_traitsIS12_E10value_typeET2_T3_PNS13_IS18_E10value_typeET4_jRbjT5_S1E_jjP12ihipStream_tbEUljE_ZNSN_ISO_Lb0ESQ_SR_ST_SU_SY_EESZ_S10_S11_S12_S16_S17_S18_S1B_S1C_jS1D_jS1E_S1E_jjS1G_bEUljE0_EEESZ_S10_S11_S18_S1C_S1E_T6_T7_T9_mT8_S1G_bDpT10_ENKUlT_T0_E_clISt17integral_constantIbLb1EES1U_EEDaS1P_S1Q_EUlS1P_E_NS1_11comp_targetILNS1_3genE3ELNS1_11target_archE908ELNS1_3gpuE7ELNS1_3repE0EEENS1_30default_config_static_selectorELNS0_4arch9wavefront6targetE0EEEvS12_.num_vgpr, 0
	.set _ZN7rocprim17ROCPRIM_400000_NS6detail17trampoline_kernelINS0_13select_configILj256ELj13ELNS0_17block_load_methodE3ELS4_3ELS4_3ELNS0_20block_scan_algorithmE0ELj4294967295EEENS1_25partition_config_selectorILNS1_17partition_subalgoE4EjNS0_10empty_typeEbEEZZNS1_14partition_implILS8_4ELb0ES6_15HIP_vector_typeIjLj2EENS0_17counting_iteratorIjlEEPS9_SG_NS0_5tupleIJPjSI_NS0_16reverse_iteratorISI_EEEEENSH_IJSG_SG_SG_EEES9_SI_JZNS1_25segmented_radix_sort_implINS0_14default_configELb0EPKbPbPKlPlN2at6native12_GLOBAL__N_18offset_tEEE10hipError_tPvRmT1_PNSt15iterator_traitsIS12_E10value_typeET2_T3_PNS13_IS18_E10value_typeET4_jRbjT5_S1E_jjP12ihipStream_tbEUljE_ZNSN_ISO_Lb0ESQ_SR_ST_SU_SY_EESZ_S10_S11_S12_S16_S17_S18_S1B_S1C_jS1D_jS1E_S1E_jjS1G_bEUljE0_EEESZ_S10_S11_S18_S1C_S1E_T6_T7_T9_mT8_S1G_bDpT10_ENKUlT_T0_E_clISt17integral_constantIbLb1EES1U_EEDaS1P_S1Q_EUlS1P_E_NS1_11comp_targetILNS1_3genE3ELNS1_11target_archE908ELNS1_3gpuE7ELNS1_3repE0EEENS1_30default_config_static_selectorELNS0_4arch9wavefront6targetE0EEEvS12_.num_agpr, 0
	.set _ZN7rocprim17ROCPRIM_400000_NS6detail17trampoline_kernelINS0_13select_configILj256ELj13ELNS0_17block_load_methodE3ELS4_3ELS4_3ELNS0_20block_scan_algorithmE0ELj4294967295EEENS1_25partition_config_selectorILNS1_17partition_subalgoE4EjNS0_10empty_typeEbEEZZNS1_14partition_implILS8_4ELb0ES6_15HIP_vector_typeIjLj2EENS0_17counting_iteratorIjlEEPS9_SG_NS0_5tupleIJPjSI_NS0_16reverse_iteratorISI_EEEEENSH_IJSG_SG_SG_EEES9_SI_JZNS1_25segmented_radix_sort_implINS0_14default_configELb0EPKbPbPKlPlN2at6native12_GLOBAL__N_18offset_tEEE10hipError_tPvRmT1_PNSt15iterator_traitsIS12_E10value_typeET2_T3_PNS13_IS18_E10value_typeET4_jRbjT5_S1E_jjP12ihipStream_tbEUljE_ZNSN_ISO_Lb0ESQ_SR_ST_SU_SY_EESZ_S10_S11_S12_S16_S17_S18_S1B_S1C_jS1D_jS1E_S1E_jjS1G_bEUljE0_EEESZ_S10_S11_S18_S1C_S1E_T6_T7_T9_mT8_S1G_bDpT10_ENKUlT_T0_E_clISt17integral_constantIbLb1EES1U_EEDaS1P_S1Q_EUlS1P_E_NS1_11comp_targetILNS1_3genE3ELNS1_11target_archE908ELNS1_3gpuE7ELNS1_3repE0EEENS1_30default_config_static_selectorELNS0_4arch9wavefront6targetE0EEEvS12_.numbered_sgpr, 0
	.set _ZN7rocprim17ROCPRIM_400000_NS6detail17trampoline_kernelINS0_13select_configILj256ELj13ELNS0_17block_load_methodE3ELS4_3ELS4_3ELNS0_20block_scan_algorithmE0ELj4294967295EEENS1_25partition_config_selectorILNS1_17partition_subalgoE4EjNS0_10empty_typeEbEEZZNS1_14partition_implILS8_4ELb0ES6_15HIP_vector_typeIjLj2EENS0_17counting_iteratorIjlEEPS9_SG_NS0_5tupleIJPjSI_NS0_16reverse_iteratorISI_EEEEENSH_IJSG_SG_SG_EEES9_SI_JZNS1_25segmented_radix_sort_implINS0_14default_configELb0EPKbPbPKlPlN2at6native12_GLOBAL__N_18offset_tEEE10hipError_tPvRmT1_PNSt15iterator_traitsIS12_E10value_typeET2_T3_PNS13_IS18_E10value_typeET4_jRbjT5_S1E_jjP12ihipStream_tbEUljE_ZNSN_ISO_Lb0ESQ_SR_ST_SU_SY_EESZ_S10_S11_S12_S16_S17_S18_S1B_S1C_jS1D_jS1E_S1E_jjS1G_bEUljE0_EEESZ_S10_S11_S18_S1C_S1E_T6_T7_T9_mT8_S1G_bDpT10_ENKUlT_T0_E_clISt17integral_constantIbLb1EES1U_EEDaS1P_S1Q_EUlS1P_E_NS1_11comp_targetILNS1_3genE3ELNS1_11target_archE908ELNS1_3gpuE7ELNS1_3repE0EEENS1_30default_config_static_selectorELNS0_4arch9wavefront6targetE0EEEvS12_.num_named_barrier, 0
	.set _ZN7rocprim17ROCPRIM_400000_NS6detail17trampoline_kernelINS0_13select_configILj256ELj13ELNS0_17block_load_methodE3ELS4_3ELS4_3ELNS0_20block_scan_algorithmE0ELj4294967295EEENS1_25partition_config_selectorILNS1_17partition_subalgoE4EjNS0_10empty_typeEbEEZZNS1_14partition_implILS8_4ELb0ES6_15HIP_vector_typeIjLj2EENS0_17counting_iteratorIjlEEPS9_SG_NS0_5tupleIJPjSI_NS0_16reverse_iteratorISI_EEEEENSH_IJSG_SG_SG_EEES9_SI_JZNS1_25segmented_radix_sort_implINS0_14default_configELb0EPKbPbPKlPlN2at6native12_GLOBAL__N_18offset_tEEE10hipError_tPvRmT1_PNSt15iterator_traitsIS12_E10value_typeET2_T3_PNS13_IS18_E10value_typeET4_jRbjT5_S1E_jjP12ihipStream_tbEUljE_ZNSN_ISO_Lb0ESQ_SR_ST_SU_SY_EESZ_S10_S11_S12_S16_S17_S18_S1B_S1C_jS1D_jS1E_S1E_jjS1G_bEUljE0_EEESZ_S10_S11_S18_S1C_S1E_T6_T7_T9_mT8_S1G_bDpT10_ENKUlT_T0_E_clISt17integral_constantIbLb1EES1U_EEDaS1P_S1Q_EUlS1P_E_NS1_11comp_targetILNS1_3genE3ELNS1_11target_archE908ELNS1_3gpuE7ELNS1_3repE0EEENS1_30default_config_static_selectorELNS0_4arch9wavefront6targetE0EEEvS12_.private_seg_size, 0
	.set _ZN7rocprim17ROCPRIM_400000_NS6detail17trampoline_kernelINS0_13select_configILj256ELj13ELNS0_17block_load_methodE3ELS4_3ELS4_3ELNS0_20block_scan_algorithmE0ELj4294967295EEENS1_25partition_config_selectorILNS1_17partition_subalgoE4EjNS0_10empty_typeEbEEZZNS1_14partition_implILS8_4ELb0ES6_15HIP_vector_typeIjLj2EENS0_17counting_iteratorIjlEEPS9_SG_NS0_5tupleIJPjSI_NS0_16reverse_iteratorISI_EEEEENSH_IJSG_SG_SG_EEES9_SI_JZNS1_25segmented_radix_sort_implINS0_14default_configELb0EPKbPbPKlPlN2at6native12_GLOBAL__N_18offset_tEEE10hipError_tPvRmT1_PNSt15iterator_traitsIS12_E10value_typeET2_T3_PNS13_IS18_E10value_typeET4_jRbjT5_S1E_jjP12ihipStream_tbEUljE_ZNSN_ISO_Lb0ESQ_SR_ST_SU_SY_EESZ_S10_S11_S12_S16_S17_S18_S1B_S1C_jS1D_jS1E_S1E_jjS1G_bEUljE0_EEESZ_S10_S11_S18_S1C_S1E_T6_T7_T9_mT8_S1G_bDpT10_ENKUlT_T0_E_clISt17integral_constantIbLb1EES1U_EEDaS1P_S1Q_EUlS1P_E_NS1_11comp_targetILNS1_3genE3ELNS1_11target_archE908ELNS1_3gpuE7ELNS1_3repE0EEENS1_30default_config_static_selectorELNS0_4arch9wavefront6targetE0EEEvS12_.uses_vcc, 0
	.set _ZN7rocprim17ROCPRIM_400000_NS6detail17trampoline_kernelINS0_13select_configILj256ELj13ELNS0_17block_load_methodE3ELS4_3ELS4_3ELNS0_20block_scan_algorithmE0ELj4294967295EEENS1_25partition_config_selectorILNS1_17partition_subalgoE4EjNS0_10empty_typeEbEEZZNS1_14partition_implILS8_4ELb0ES6_15HIP_vector_typeIjLj2EENS0_17counting_iteratorIjlEEPS9_SG_NS0_5tupleIJPjSI_NS0_16reverse_iteratorISI_EEEEENSH_IJSG_SG_SG_EEES9_SI_JZNS1_25segmented_radix_sort_implINS0_14default_configELb0EPKbPbPKlPlN2at6native12_GLOBAL__N_18offset_tEEE10hipError_tPvRmT1_PNSt15iterator_traitsIS12_E10value_typeET2_T3_PNS13_IS18_E10value_typeET4_jRbjT5_S1E_jjP12ihipStream_tbEUljE_ZNSN_ISO_Lb0ESQ_SR_ST_SU_SY_EESZ_S10_S11_S12_S16_S17_S18_S1B_S1C_jS1D_jS1E_S1E_jjS1G_bEUljE0_EEESZ_S10_S11_S18_S1C_S1E_T6_T7_T9_mT8_S1G_bDpT10_ENKUlT_T0_E_clISt17integral_constantIbLb1EES1U_EEDaS1P_S1Q_EUlS1P_E_NS1_11comp_targetILNS1_3genE3ELNS1_11target_archE908ELNS1_3gpuE7ELNS1_3repE0EEENS1_30default_config_static_selectorELNS0_4arch9wavefront6targetE0EEEvS12_.uses_flat_scratch, 0
	.set _ZN7rocprim17ROCPRIM_400000_NS6detail17trampoline_kernelINS0_13select_configILj256ELj13ELNS0_17block_load_methodE3ELS4_3ELS4_3ELNS0_20block_scan_algorithmE0ELj4294967295EEENS1_25partition_config_selectorILNS1_17partition_subalgoE4EjNS0_10empty_typeEbEEZZNS1_14partition_implILS8_4ELb0ES6_15HIP_vector_typeIjLj2EENS0_17counting_iteratorIjlEEPS9_SG_NS0_5tupleIJPjSI_NS0_16reverse_iteratorISI_EEEEENSH_IJSG_SG_SG_EEES9_SI_JZNS1_25segmented_radix_sort_implINS0_14default_configELb0EPKbPbPKlPlN2at6native12_GLOBAL__N_18offset_tEEE10hipError_tPvRmT1_PNSt15iterator_traitsIS12_E10value_typeET2_T3_PNS13_IS18_E10value_typeET4_jRbjT5_S1E_jjP12ihipStream_tbEUljE_ZNSN_ISO_Lb0ESQ_SR_ST_SU_SY_EESZ_S10_S11_S12_S16_S17_S18_S1B_S1C_jS1D_jS1E_S1E_jjS1G_bEUljE0_EEESZ_S10_S11_S18_S1C_S1E_T6_T7_T9_mT8_S1G_bDpT10_ENKUlT_T0_E_clISt17integral_constantIbLb1EES1U_EEDaS1P_S1Q_EUlS1P_E_NS1_11comp_targetILNS1_3genE3ELNS1_11target_archE908ELNS1_3gpuE7ELNS1_3repE0EEENS1_30default_config_static_selectorELNS0_4arch9wavefront6targetE0EEEvS12_.has_dyn_sized_stack, 0
	.set _ZN7rocprim17ROCPRIM_400000_NS6detail17trampoline_kernelINS0_13select_configILj256ELj13ELNS0_17block_load_methodE3ELS4_3ELS4_3ELNS0_20block_scan_algorithmE0ELj4294967295EEENS1_25partition_config_selectorILNS1_17partition_subalgoE4EjNS0_10empty_typeEbEEZZNS1_14partition_implILS8_4ELb0ES6_15HIP_vector_typeIjLj2EENS0_17counting_iteratorIjlEEPS9_SG_NS0_5tupleIJPjSI_NS0_16reverse_iteratorISI_EEEEENSH_IJSG_SG_SG_EEES9_SI_JZNS1_25segmented_radix_sort_implINS0_14default_configELb0EPKbPbPKlPlN2at6native12_GLOBAL__N_18offset_tEEE10hipError_tPvRmT1_PNSt15iterator_traitsIS12_E10value_typeET2_T3_PNS13_IS18_E10value_typeET4_jRbjT5_S1E_jjP12ihipStream_tbEUljE_ZNSN_ISO_Lb0ESQ_SR_ST_SU_SY_EESZ_S10_S11_S12_S16_S17_S18_S1B_S1C_jS1D_jS1E_S1E_jjS1G_bEUljE0_EEESZ_S10_S11_S18_S1C_S1E_T6_T7_T9_mT8_S1G_bDpT10_ENKUlT_T0_E_clISt17integral_constantIbLb1EES1U_EEDaS1P_S1Q_EUlS1P_E_NS1_11comp_targetILNS1_3genE3ELNS1_11target_archE908ELNS1_3gpuE7ELNS1_3repE0EEENS1_30default_config_static_selectorELNS0_4arch9wavefront6targetE0EEEvS12_.has_recursion, 0
	.set _ZN7rocprim17ROCPRIM_400000_NS6detail17trampoline_kernelINS0_13select_configILj256ELj13ELNS0_17block_load_methodE3ELS4_3ELS4_3ELNS0_20block_scan_algorithmE0ELj4294967295EEENS1_25partition_config_selectorILNS1_17partition_subalgoE4EjNS0_10empty_typeEbEEZZNS1_14partition_implILS8_4ELb0ES6_15HIP_vector_typeIjLj2EENS0_17counting_iteratorIjlEEPS9_SG_NS0_5tupleIJPjSI_NS0_16reverse_iteratorISI_EEEEENSH_IJSG_SG_SG_EEES9_SI_JZNS1_25segmented_radix_sort_implINS0_14default_configELb0EPKbPbPKlPlN2at6native12_GLOBAL__N_18offset_tEEE10hipError_tPvRmT1_PNSt15iterator_traitsIS12_E10value_typeET2_T3_PNS13_IS18_E10value_typeET4_jRbjT5_S1E_jjP12ihipStream_tbEUljE_ZNSN_ISO_Lb0ESQ_SR_ST_SU_SY_EESZ_S10_S11_S12_S16_S17_S18_S1B_S1C_jS1D_jS1E_S1E_jjS1G_bEUljE0_EEESZ_S10_S11_S18_S1C_S1E_T6_T7_T9_mT8_S1G_bDpT10_ENKUlT_T0_E_clISt17integral_constantIbLb1EES1U_EEDaS1P_S1Q_EUlS1P_E_NS1_11comp_targetILNS1_3genE3ELNS1_11target_archE908ELNS1_3gpuE7ELNS1_3repE0EEENS1_30default_config_static_selectorELNS0_4arch9wavefront6targetE0EEEvS12_.has_indirect_call, 0
	.section	.AMDGPU.csdata,"",@progbits
; Kernel info:
; codeLenInByte = 0
; TotalNumSgprs: 0
; NumVgprs: 0
; ScratchSize: 0
; MemoryBound: 0
; FloatMode: 240
; IeeeMode: 1
; LDSByteSize: 0 bytes/workgroup (compile time only)
; SGPRBlocks: 0
; VGPRBlocks: 0
; NumSGPRsForWavesPerEU: 1
; NumVGPRsForWavesPerEU: 1
; Occupancy: 16
; WaveLimiterHint : 0
; COMPUTE_PGM_RSRC2:SCRATCH_EN: 0
; COMPUTE_PGM_RSRC2:USER_SGPR: 2
; COMPUTE_PGM_RSRC2:TRAP_HANDLER: 0
; COMPUTE_PGM_RSRC2:TGID_X_EN: 1
; COMPUTE_PGM_RSRC2:TGID_Y_EN: 0
; COMPUTE_PGM_RSRC2:TGID_Z_EN: 0
; COMPUTE_PGM_RSRC2:TIDIG_COMP_CNT: 0
	.section	.text._ZN7rocprim17ROCPRIM_400000_NS6detail17trampoline_kernelINS0_13select_configILj256ELj13ELNS0_17block_load_methodE3ELS4_3ELS4_3ELNS0_20block_scan_algorithmE0ELj4294967295EEENS1_25partition_config_selectorILNS1_17partition_subalgoE4EjNS0_10empty_typeEbEEZZNS1_14partition_implILS8_4ELb0ES6_15HIP_vector_typeIjLj2EENS0_17counting_iteratorIjlEEPS9_SG_NS0_5tupleIJPjSI_NS0_16reverse_iteratorISI_EEEEENSH_IJSG_SG_SG_EEES9_SI_JZNS1_25segmented_radix_sort_implINS0_14default_configELb0EPKbPbPKlPlN2at6native12_GLOBAL__N_18offset_tEEE10hipError_tPvRmT1_PNSt15iterator_traitsIS12_E10value_typeET2_T3_PNS13_IS18_E10value_typeET4_jRbjT5_S1E_jjP12ihipStream_tbEUljE_ZNSN_ISO_Lb0ESQ_SR_ST_SU_SY_EESZ_S10_S11_S12_S16_S17_S18_S1B_S1C_jS1D_jS1E_S1E_jjS1G_bEUljE0_EEESZ_S10_S11_S18_S1C_S1E_T6_T7_T9_mT8_S1G_bDpT10_ENKUlT_T0_E_clISt17integral_constantIbLb1EES1U_EEDaS1P_S1Q_EUlS1P_E_NS1_11comp_targetILNS1_3genE2ELNS1_11target_archE906ELNS1_3gpuE6ELNS1_3repE0EEENS1_30default_config_static_selectorELNS0_4arch9wavefront6targetE0EEEvS12_,"axG",@progbits,_ZN7rocprim17ROCPRIM_400000_NS6detail17trampoline_kernelINS0_13select_configILj256ELj13ELNS0_17block_load_methodE3ELS4_3ELS4_3ELNS0_20block_scan_algorithmE0ELj4294967295EEENS1_25partition_config_selectorILNS1_17partition_subalgoE4EjNS0_10empty_typeEbEEZZNS1_14partition_implILS8_4ELb0ES6_15HIP_vector_typeIjLj2EENS0_17counting_iteratorIjlEEPS9_SG_NS0_5tupleIJPjSI_NS0_16reverse_iteratorISI_EEEEENSH_IJSG_SG_SG_EEES9_SI_JZNS1_25segmented_radix_sort_implINS0_14default_configELb0EPKbPbPKlPlN2at6native12_GLOBAL__N_18offset_tEEE10hipError_tPvRmT1_PNSt15iterator_traitsIS12_E10value_typeET2_T3_PNS13_IS18_E10value_typeET4_jRbjT5_S1E_jjP12ihipStream_tbEUljE_ZNSN_ISO_Lb0ESQ_SR_ST_SU_SY_EESZ_S10_S11_S12_S16_S17_S18_S1B_S1C_jS1D_jS1E_S1E_jjS1G_bEUljE0_EEESZ_S10_S11_S18_S1C_S1E_T6_T7_T9_mT8_S1G_bDpT10_ENKUlT_T0_E_clISt17integral_constantIbLb1EES1U_EEDaS1P_S1Q_EUlS1P_E_NS1_11comp_targetILNS1_3genE2ELNS1_11target_archE906ELNS1_3gpuE6ELNS1_3repE0EEENS1_30default_config_static_selectorELNS0_4arch9wavefront6targetE0EEEvS12_,comdat
	.globl	_ZN7rocprim17ROCPRIM_400000_NS6detail17trampoline_kernelINS0_13select_configILj256ELj13ELNS0_17block_load_methodE3ELS4_3ELS4_3ELNS0_20block_scan_algorithmE0ELj4294967295EEENS1_25partition_config_selectorILNS1_17partition_subalgoE4EjNS0_10empty_typeEbEEZZNS1_14partition_implILS8_4ELb0ES6_15HIP_vector_typeIjLj2EENS0_17counting_iteratorIjlEEPS9_SG_NS0_5tupleIJPjSI_NS0_16reverse_iteratorISI_EEEEENSH_IJSG_SG_SG_EEES9_SI_JZNS1_25segmented_radix_sort_implINS0_14default_configELb0EPKbPbPKlPlN2at6native12_GLOBAL__N_18offset_tEEE10hipError_tPvRmT1_PNSt15iterator_traitsIS12_E10value_typeET2_T3_PNS13_IS18_E10value_typeET4_jRbjT5_S1E_jjP12ihipStream_tbEUljE_ZNSN_ISO_Lb0ESQ_SR_ST_SU_SY_EESZ_S10_S11_S12_S16_S17_S18_S1B_S1C_jS1D_jS1E_S1E_jjS1G_bEUljE0_EEESZ_S10_S11_S18_S1C_S1E_T6_T7_T9_mT8_S1G_bDpT10_ENKUlT_T0_E_clISt17integral_constantIbLb1EES1U_EEDaS1P_S1Q_EUlS1P_E_NS1_11comp_targetILNS1_3genE2ELNS1_11target_archE906ELNS1_3gpuE6ELNS1_3repE0EEENS1_30default_config_static_selectorELNS0_4arch9wavefront6targetE0EEEvS12_ ; -- Begin function _ZN7rocprim17ROCPRIM_400000_NS6detail17trampoline_kernelINS0_13select_configILj256ELj13ELNS0_17block_load_methodE3ELS4_3ELS4_3ELNS0_20block_scan_algorithmE0ELj4294967295EEENS1_25partition_config_selectorILNS1_17partition_subalgoE4EjNS0_10empty_typeEbEEZZNS1_14partition_implILS8_4ELb0ES6_15HIP_vector_typeIjLj2EENS0_17counting_iteratorIjlEEPS9_SG_NS0_5tupleIJPjSI_NS0_16reverse_iteratorISI_EEEEENSH_IJSG_SG_SG_EEES9_SI_JZNS1_25segmented_radix_sort_implINS0_14default_configELb0EPKbPbPKlPlN2at6native12_GLOBAL__N_18offset_tEEE10hipError_tPvRmT1_PNSt15iterator_traitsIS12_E10value_typeET2_T3_PNS13_IS18_E10value_typeET4_jRbjT5_S1E_jjP12ihipStream_tbEUljE_ZNSN_ISO_Lb0ESQ_SR_ST_SU_SY_EESZ_S10_S11_S12_S16_S17_S18_S1B_S1C_jS1D_jS1E_S1E_jjS1G_bEUljE0_EEESZ_S10_S11_S18_S1C_S1E_T6_T7_T9_mT8_S1G_bDpT10_ENKUlT_T0_E_clISt17integral_constantIbLb1EES1U_EEDaS1P_S1Q_EUlS1P_E_NS1_11comp_targetILNS1_3genE2ELNS1_11target_archE906ELNS1_3gpuE6ELNS1_3repE0EEENS1_30default_config_static_selectorELNS0_4arch9wavefront6targetE0EEEvS12_
	.p2align	8
	.type	_ZN7rocprim17ROCPRIM_400000_NS6detail17trampoline_kernelINS0_13select_configILj256ELj13ELNS0_17block_load_methodE3ELS4_3ELS4_3ELNS0_20block_scan_algorithmE0ELj4294967295EEENS1_25partition_config_selectorILNS1_17partition_subalgoE4EjNS0_10empty_typeEbEEZZNS1_14partition_implILS8_4ELb0ES6_15HIP_vector_typeIjLj2EENS0_17counting_iteratorIjlEEPS9_SG_NS0_5tupleIJPjSI_NS0_16reverse_iteratorISI_EEEEENSH_IJSG_SG_SG_EEES9_SI_JZNS1_25segmented_radix_sort_implINS0_14default_configELb0EPKbPbPKlPlN2at6native12_GLOBAL__N_18offset_tEEE10hipError_tPvRmT1_PNSt15iterator_traitsIS12_E10value_typeET2_T3_PNS13_IS18_E10value_typeET4_jRbjT5_S1E_jjP12ihipStream_tbEUljE_ZNSN_ISO_Lb0ESQ_SR_ST_SU_SY_EESZ_S10_S11_S12_S16_S17_S18_S1B_S1C_jS1D_jS1E_S1E_jjS1G_bEUljE0_EEESZ_S10_S11_S18_S1C_S1E_T6_T7_T9_mT8_S1G_bDpT10_ENKUlT_T0_E_clISt17integral_constantIbLb1EES1U_EEDaS1P_S1Q_EUlS1P_E_NS1_11comp_targetILNS1_3genE2ELNS1_11target_archE906ELNS1_3gpuE6ELNS1_3repE0EEENS1_30default_config_static_selectorELNS0_4arch9wavefront6targetE0EEEvS12_,@function
_ZN7rocprim17ROCPRIM_400000_NS6detail17trampoline_kernelINS0_13select_configILj256ELj13ELNS0_17block_load_methodE3ELS4_3ELS4_3ELNS0_20block_scan_algorithmE0ELj4294967295EEENS1_25partition_config_selectorILNS1_17partition_subalgoE4EjNS0_10empty_typeEbEEZZNS1_14partition_implILS8_4ELb0ES6_15HIP_vector_typeIjLj2EENS0_17counting_iteratorIjlEEPS9_SG_NS0_5tupleIJPjSI_NS0_16reverse_iteratorISI_EEEEENSH_IJSG_SG_SG_EEES9_SI_JZNS1_25segmented_radix_sort_implINS0_14default_configELb0EPKbPbPKlPlN2at6native12_GLOBAL__N_18offset_tEEE10hipError_tPvRmT1_PNSt15iterator_traitsIS12_E10value_typeET2_T3_PNS13_IS18_E10value_typeET4_jRbjT5_S1E_jjP12ihipStream_tbEUljE_ZNSN_ISO_Lb0ESQ_SR_ST_SU_SY_EESZ_S10_S11_S12_S16_S17_S18_S1B_S1C_jS1D_jS1E_S1E_jjS1G_bEUljE0_EEESZ_S10_S11_S18_S1C_S1E_T6_T7_T9_mT8_S1G_bDpT10_ENKUlT_T0_E_clISt17integral_constantIbLb1EES1U_EEDaS1P_S1Q_EUlS1P_E_NS1_11comp_targetILNS1_3genE2ELNS1_11target_archE906ELNS1_3gpuE6ELNS1_3repE0EEENS1_30default_config_static_selectorELNS0_4arch9wavefront6targetE0EEEvS12_: ; @_ZN7rocprim17ROCPRIM_400000_NS6detail17trampoline_kernelINS0_13select_configILj256ELj13ELNS0_17block_load_methodE3ELS4_3ELS4_3ELNS0_20block_scan_algorithmE0ELj4294967295EEENS1_25partition_config_selectorILNS1_17partition_subalgoE4EjNS0_10empty_typeEbEEZZNS1_14partition_implILS8_4ELb0ES6_15HIP_vector_typeIjLj2EENS0_17counting_iteratorIjlEEPS9_SG_NS0_5tupleIJPjSI_NS0_16reverse_iteratorISI_EEEEENSH_IJSG_SG_SG_EEES9_SI_JZNS1_25segmented_radix_sort_implINS0_14default_configELb0EPKbPbPKlPlN2at6native12_GLOBAL__N_18offset_tEEE10hipError_tPvRmT1_PNSt15iterator_traitsIS12_E10value_typeET2_T3_PNS13_IS18_E10value_typeET4_jRbjT5_S1E_jjP12ihipStream_tbEUljE_ZNSN_ISO_Lb0ESQ_SR_ST_SU_SY_EESZ_S10_S11_S12_S16_S17_S18_S1B_S1C_jS1D_jS1E_S1E_jjS1G_bEUljE0_EEESZ_S10_S11_S18_S1C_S1E_T6_T7_T9_mT8_S1G_bDpT10_ENKUlT_T0_E_clISt17integral_constantIbLb1EES1U_EEDaS1P_S1Q_EUlS1P_E_NS1_11comp_targetILNS1_3genE2ELNS1_11target_archE906ELNS1_3gpuE6ELNS1_3repE0EEENS1_30default_config_static_selectorELNS0_4arch9wavefront6targetE0EEEvS12_
; %bb.0:
	.section	.rodata,"a",@progbits
	.p2align	6, 0x0
	.amdhsa_kernel _ZN7rocprim17ROCPRIM_400000_NS6detail17trampoline_kernelINS0_13select_configILj256ELj13ELNS0_17block_load_methodE3ELS4_3ELS4_3ELNS0_20block_scan_algorithmE0ELj4294967295EEENS1_25partition_config_selectorILNS1_17partition_subalgoE4EjNS0_10empty_typeEbEEZZNS1_14partition_implILS8_4ELb0ES6_15HIP_vector_typeIjLj2EENS0_17counting_iteratorIjlEEPS9_SG_NS0_5tupleIJPjSI_NS0_16reverse_iteratorISI_EEEEENSH_IJSG_SG_SG_EEES9_SI_JZNS1_25segmented_radix_sort_implINS0_14default_configELb0EPKbPbPKlPlN2at6native12_GLOBAL__N_18offset_tEEE10hipError_tPvRmT1_PNSt15iterator_traitsIS12_E10value_typeET2_T3_PNS13_IS18_E10value_typeET4_jRbjT5_S1E_jjP12ihipStream_tbEUljE_ZNSN_ISO_Lb0ESQ_SR_ST_SU_SY_EESZ_S10_S11_S12_S16_S17_S18_S1B_S1C_jS1D_jS1E_S1E_jjS1G_bEUljE0_EEESZ_S10_S11_S18_S1C_S1E_T6_T7_T9_mT8_S1G_bDpT10_ENKUlT_T0_E_clISt17integral_constantIbLb1EES1U_EEDaS1P_S1Q_EUlS1P_E_NS1_11comp_targetILNS1_3genE2ELNS1_11target_archE906ELNS1_3gpuE6ELNS1_3repE0EEENS1_30default_config_static_selectorELNS0_4arch9wavefront6targetE0EEEvS12_
		.amdhsa_group_segment_fixed_size 0
		.amdhsa_private_segment_fixed_size 0
		.amdhsa_kernarg_size 184
		.amdhsa_user_sgpr_count 2
		.amdhsa_user_sgpr_dispatch_ptr 0
		.amdhsa_user_sgpr_queue_ptr 0
		.amdhsa_user_sgpr_kernarg_segment_ptr 1
		.amdhsa_user_sgpr_dispatch_id 0
		.amdhsa_user_sgpr_private_segment_size 0
		.amdhsa_wavefront_size32 1
		.amdhsa_uses_dynamic_stack 0
		.amdhsa_enable_private_segment 0
		.amdhsa_system_sgpr_workgroup_id_x 1
		.amdhsa_system_sgpr_workgroup_id_y 0
		.amdhsa_system_sgpr_workgroup_id_z 0
		.amdhsa_system_sgpr_workgroup_info 0
		.amdhsa_system_vgpr_workitem_id 0
		.amdhsa_next_free_vgpr 1
		.amdhsa_next_free_sgpr 1
		.amdhsa_reserve_vcc 0
		.amdhsa_float_round_mode_32 0
		.amdhsa_float_round_mode_16_64 0
		.amdhsa_float_denorm_mode_32 3
		.amdhsa_float_denorm_mode_16_64 3
		.amdhsa_fp16_overflow 0
		.amdhsa_workgroup_processor_mode 1
		.amdhsa_memory_ordered 1
		.amdhsa_forward_progress 1
		.amdhsa_inst_pref_size 0
		.amdhsa_round_robin_scheduling 0
		.amdhsa_exception_fp_ieee_invalid_op 0
		.amdhsa_exception_fp_denorm_src 0
		.amdhsa_exception_fp_ieee_div_zero 0
		.amdhsa_exception_fp_ieee_overflow 0
		.amdhsa_exception_fp_ieee_underflow 0
		.amdhsa_exception_fp_ieee_inexact 0
		.amdhsa_exception_int_div_zero 0
	.end_amdhsa_kernel
	.section	.text._ZN7rocprim17ROCPRIM_400000_NS6detail17trampoline_kernelINS0_13select_configILj256ELj13ELNS0_17block_load_methodE3ELS4_3ELS4_3ELNS0_20block_scan_algorithmE0ELj4294967295EEENS1_25partition_config_selectorILNS1_17partition_subalgoE4EjNS0_10empty_typeEbEEZZNS1_14partition_implILS8_4ELb0ES6_15HIP_vector_typeIjLj2EENS0_17counting_iteratorIjlEEPS9_SG_NS0_5tupleIJPjSI_NS0_16reverse_iteratorISI_EEEEENSH_IJSG_SG_SG_EEES9_SI_JZNS1_25segmented_radix_sort_implINS0_14default_configELb0EPKbPbPKlPlN2at6native12_GLOBAL__N_18offset_tEEE10hipError_tPvRmT1_PNSt15iterator_traitsIS12_E10value_typeET2_T3_PNS13_IS18_E10value_typeET4_jRbjT5_S1E_jjP12ihipStream_tbEUljE_ZNSN_ISO_Lb0ESQ_SR_ST_SU_SY_EESZ_S10_S11_S12_S16_S17_S18_S1B_S1C_jS1D_jS1E_S1E_jjS1G_bEUljE0_EEESZ_S10_S11_S18_S1C_S1E_T6_T7_T9_mT8_S1G_bDpT10_ENKUlT_T0_E_clISt17integral_constantIbLb1EES1U_EEDaS1P_S1Q_EUlS1P_E_NS1_11comp_targetILNS1_3genE2ELNS1_11target_archE906ELNS1_3gpuE6ELNS1_3repE0EEENS1_30default_config_static_selectorELNS0_4arch9wavefront6targetE0EEEvS12_,"axG",@progbits,_ZN7rocprim17ROCPRIM_400000_NS6detail17trampoline_kernelINS0_13select_configILj256ELj13ELNS0_17block_load_methodE3ELS4_3ELS4_3ELNS0_20block_scan_algorithmE0ELj4294967295EEENS1_25partition_config_selectorILNS1_17partition_subalgoE4EjNS0_10empty_typeEbEEZZNS1_14partition_implILS8_4ELb0ES6_15HIP_vector_typeIjLj2EENS0_17counting_iteratorIjlEEPS9_SG_NS0_5tupleIJPjSI_NS0_16reverse_iteratorISI_EEEEENSH_IJSG_SG_SG_EEES9_SI_JZNS1_25segmented_radix_sort_implINS0_14default_configELb0EPKbPbPKlPlN2at6native12_GLOBAL__N_18offset_tEEE10hipError_tPvRmT1_PNSt15iterator_traitsIS12_E10value_typeET2_T3_PNS13_IS18_E10value_typeET4_jRbjT5_S1E_jjP12ihipStream_tbEUljE_ZNSN_ISO_Lb0ESQ_SR_ST_SU_SY_EESZ_S10_S11_S12_S16_S17_S18_S1B_S1C_jS1D_jS1E_S1E_jjS1G_bEUljE0_EEESZ_S10_S11_S18_S1C_S1E_T6_T7_T9_mT8_S1G_bDpT10_ENKUlT_T0_E_clISt17integral_constantIbLb1EES1U_EEDaS1P_S1Q_EUlS1P_E_NS1_11comp_targetILNS1_3genE2ELNS1_11target_archE906ELNS1_3gpuE6ELNS1_3repE0EEENS1_30default_config_static_selectorELNS0_4arch9wavefront6targetE0EEEvS12_,comdat
.Lfunc_end1583:
	.size	_ZN7rocprim17ROCPRIM_400000_NS6detail17trampoline_kernelINS0_13select_configILj256ELj13ELNS0_17block_load_methodE3ELS4_3ELS4_3ELNS0_20block_scan_algorithmE0ELj4294967295EEENS1_25partition_config_selectorILNS1_17partition_subalgoE4EjNS0_10empty_typeEbEEZZNS1_14partition_implILS8_4ELb0ES6_15HIP_vector_typeIjLj2EENS0_17counting_iteratorIjlEEPS9_SG_NS0_5tupleIJPjSI_NS0_16reverse_iteratorISI_EEEEENSH_IJSG_SG_SG_EEES9_SI_JZNS1_25segmented_radix_sort_implINS0_14default_configELb0EPKbPbPKlPlN2at6native12_GLOBAL__N_18offset_tEEE10hipError_tPvRmT1_PNSt15iterator_traitsIS12_E10value_typeET2_T3_PNS13_IS18_E10value_typeET4_jRbjT5_S1E_jjP12ihipStream_tbEUljE_ZNSN_ISO_Lb0ESQ_SR_ST_SU_SY_EESZ_S10_S11_S12_S16_S17_S18_S1B_S1C_jS1D_jS1E_S1E_jjS1G_bEUljE0_EEESZ_S10_S11_S18_S1C_S1E_T6_T7_T9_mT8_S1G_bDpT10_ENKUlT_T0_E_clISt17integral_constantIbLb1EES1U_EEDaS1P_S1Q_EUlS1P_E_NS1_11comp_targetILNS1_3genE2ELNS1_11target_archE906ELNS1_3gpuE6ELNS1_3repE0EEENS1_30default_config_static_selectorELNS0_4arch9wavefront6targetE0EEEvS12_, .Lfunc_end1583-_ZN7rocprim17ROCPRIM_400000_NS6detail17trampoline_kernelINS0_13select_configILj256ELj13ELNS0_17block_load_methodE3ELS4_3ELS4_3ELNS0_20block_scan_algorithmE0ELj4294967295EEENS1_25partition_config_selectorILNS1_17partition_subalgoE4EjNS0_10empty_typeEbEEZZNS1_14partition_implILS8_4ELb0ES6_15HIP_vector_typeIjLj2EENS0_17counting_iteratorIjlEEPS9_SG_NS0_5tupleIJPjSI_NS0_16reverse_iteratorISI_EEEEENSH_IJSG_SG_SG_EEES9_SI_JZNS1_25segmented_radix_sort_implINS0_14default_configELb0EPKbPbPKlPlN2at6native12_GLOBAL__N_18offset_tEEE10hipError_tPvRmT1_PNSt15iterator_traitsIS12_E10value_typeET2_T3_PNS13_IS18_E10value_typeET4_jRbjT5_S1E_jjP12ihipStream_tbEUljE_ZNSN_ISO_Lb0ESQ_SR_ST_SU_SY_EESZ_S10_S11_S12_S16_S17_S18_S1B_S1C_jS1D_jS1E_S1E_jjS1G_bEUljE0_EEESZ_S10_S11_S18_S1C_S1E_T6_T7_T9_mT8_S1G_bDpT10_ENKUlT_T0_E_clISt17integral_constantIbLb1EES1U_EEDaS1P_S1Q_EUlS1P_E_NS1_11comp_targetILNS1_3genE2ELNS1_11target_archE906ELNS1_3gpuE6ELNS1_3repE0EEENS1_30default_config_static_selectorELNS0_4arch9wavefront6targetE0EEEvS12_
                                        ; -- End function
	.set _ZN7rocprim17ROCPRIM_400000_NS6detail17trampoline_kernelINS0_13select_configILj256ELj13ELNS0_17block_load_methodE3ELS4_3ELS4_3ELNS0_20block_scan_algorithmE0ELj4294967295EEENS1_25partition_config_selectorILNS1_17partition_subalgoE4EjNS0_10empty_typeEbEEZZNS1_14partition_implILS8_4ELb0ES6_15HIP_vector_typeIjLj2EENS0_17counting_iteratorIjlEEPS9_SG_NS0_5tupleIJPjSI_NS0_16reverse_iteratorISI_EEEEENSH_IJSG_SG_SG_EEES9_SI_JZNS1_25segmented_radix_sort_implINS0_14default_configELb0EPKbPbPKlPlN2at6native12_GLOBAL__N_18offset_tEEE10hipError_tPvRmT1_PNSt15iterator_traitsIS12_E10value_typeET2_T3_PNS13_IS18_E10value_typeET4_jRbjT5_S1E_jjP12ihipStream_tbEUljE_ZNSN_ISO_Lb0ESQ_SR_ST_SU_SY_EESZ_S10_S11_S12_S16_S17_S18_S1B_S1C_jS1D_jS1E_S1E_jjS1G_bEUljE0_EEESZ_S10_S11_S18_S1C_S1E_T6_T7_T9_mT8_S1G_bDpT10_ENKUlT_T0_E_clISt17integral_constantIbLb1EES1U_EEDaS1P_S1Q_EUlS1P_E_NS1_11comp_targetILNS1_3genE2ELNS1_11target_archE906ELNS1_3gpuE6ELNS1_3repE0EEENS1_30default_config_static_selectorELNS0_4arch9wavefront6targetE0EEEvS12_.num_vgpr, 0
	.set _ZN7rocprim17ROCPRIM_400000_NS6detail17trampoline_kernelINS0_13select_configILj256ELj13ELNS0_17block_load_methodE3ELS4_3ELS4_3ELNS0_20block_scan_algorithmE0ELj4294967295EEENS1_25partition_config_selectorILNS1_17partition_subalgoE4EjNS0_10empty_typeEbEEZZNS1_14partition_implILS8_4ELb0ES6_15HIP_vector_typeIjLj2EENS0_17counting_iteratorIjlEEPS9_SG_NS0_5tupleIJPjSI_NS0_16reverse_iteratorISI_EEEEENSH_IJSG_SG_SG_EEES9_SI_JZNS1_25segmented_radix_sort_implINS0_14default_configELb0EPKbPbPKlPlN2at6native12_GLOBAL__N_18offset_tEEE10hipError_tPvRmT1_PNSt15iterator_traitsIS12_E10value_typeET2_T3_PNS13_IS18_E10value_typeET4_jRbjT5_S1E_jjP12ihipStream_tbEUljE_ZNSN_ISO_Lb0ESQ_SR_ST_SU_SY_EESZ_S10_S11_S12_S16_S17_S18_S1B_S1C_jS1D_jS1E_S1E_jjS1G_bEUljE0_EEESZ_S10_S11_S18_S1C_S1E_T6_T7_T9_mT8_S1G_bDpT10_ENKUlT_T0_E_clISt17integral_constantIbLb1EES1U_EEDaS1P_S1Q_EUlS1P_E_NS1_11comp_targetILNS1_3genE2ELNS1_11target_archE906ELNS1_3gpuE6ELNS1_3repE0EEENS1_30default_config_static_selectorELNS0_4arch9wavefront6targetE0EEEvS12_.num_agpr, 0
	.set _ZN7rocprim17ROCPRIM_400000_NS6detail17trampoline_kernelINS0_13select_configILj256ELj13ELNS0_17block_load_methodE3ELS4_3ELS4_3ELNS0_20block_scan_algorithmE0ELj4294967295EEENS1_25partition_config_selectorILNS1_17partition_subalgoE4EjNS0_10empty_typeEbEEZZNS1_14partition_implILS8_4ELb0ES6_15HIP_vector_typeIjLj2EENS0_17counting_iteratorIjlEEPS9_SG_NS0_5tupleIJPjSI_NS0_16reverse_iteratorISI_EEEEENSH_IJSG_SG_SG_EEES9_SI_JZNS1_25segmented_radix_sort_implINS0_14default_configELb0EPKbPbPKlPlN2at6native12_GLOBAL__N_18offset_tEEE10hipError_tPvRmT1_PNSt15iterator_traitsIS12_E10value_typeET2_T3_PNS13_IS18_E10value_typeET4_jRbjT5_S1E_jjP12ihipStream_tbEUljE_ZNSN_ISO_Lb0ESQ_SR_ST_SU_SY_EESZ_S10_S11_S12_S16_S17_S18_S1B_S1C_jS1D_jS1E_S1E_jjS1G_bEUljE0_EEESZ_S10_S11_S18_S1C_S1E_T6_T7_T9_mT8_S1G_bDpT10_ENKUlT_T0_E_clISt17integral_constantIbLb1EES1U_EEDaS1P_S1Q_EUlS1P_E_NS1_11comp_targetILNS1_3genE2ELNS1_11target_archE906ELNS1_3gpuE6ELNS1_3repE0EEENS1_30default_config_static_selectorELNS0_4arch9wavefront6targetE0EEEvS12_.numbered_sgpr, 0
	.set _ZN7rocprim17ROCPRIM_400000_NS6detail17trampoline_kernelINS0_13select_configILj256ELj13ELNS0_17block_load_methodE3ELS4_3ELS4_3ELNS0_20block_scan_algorithmE0ELj4294967295EEENS1_25partition_config_selectorILNS1_17partition_subalgoE4EjNS0_10empty_typeEbEEZZNS1_14partition_implILS8_4ELb0ES6_15HIP_vector_typeIjLj2EENS0_17counting_iteratorIjlEEPS9_SG_NS0_5tupleIJPjSI_NS0_16reverse_iteratorISI_EEEEENSH_IJSG_SG_SG_EEES9_SI_JZNS1_25segmented_radix_sort_implINS0_14default_configELb0EPKbPbPKlPlN2at6native12_GLOBAL__N_18offset_tEEE10hipError_tPvRmT1_PNSt15iterator_traitsIS12_E10value_typeET2_T3_PNS13_IS18_E10value_typeET4_jRbjT5_S1E_jjP12ihipStream_tbEUljE_ZNSN_ISO_Lb0ESQ_SR_ST_SU_SY_EESZ_S10_S11_S12_S16_S17_S18_S1B_S1C_jS1D_jS1E_S1E_jjS1G_bEUljE0_EEESZ_S10_S11_S18_S1C_S1E_T6_T7_T9_mT8_S1G_bDpT10_ENKUlT_T0_E_clISt17integral_constantIbLb1EES1U_EEDaS1P_S1Q_EUlS1P_E_NS1_11comp_targetILNS1_3genE2ELNS1_11target_archE906ELNS1_3gpuE6ELNS1_3repE0EEENS1_30default_config_static_selectorELNS0_4arch9wavefront6targetE0EEEvS12_.num_named_barrier, 0
	.set _ZN7rocprim17ROCPRIM_400000_NS6detail17trampoline_kernelINS0_13select_configILj256ELj13ELNS0_17block_load_methodE3ELS4_3ELS4_3ELNS0_20block_scan_algorithmE0ELj4294967295EEENS1_25partition_config_selectorILNS1_17partition_subalgoE4EjNS0_10empty_typeEbEEZZNS1_14partition_implILS8_4ELb0ES6_15HIP_vector_typeIjLj2EENS0_17counting_iteratorIjlEEPS9_SG_NS0_5tupleIJPjSI_NS0_16reverse_iteratorISI_EEEEENSH_IJSG_SG_SG_EEES9_SI_JZNS1_25segmented_radix_sort_implINS0_14default_configELb0EPKbPbPKlPlN2at6native12_GLOBAL__N_18offset_tEEE10hipError_tPvRmT1_PNSt15iterator_traitsIS12_E10value_typeET2_T3_PNS13_IS18_E10value_typeET4_jRbjT5_S1E_jjP12ihipStream_tbEUljE_ZNSN_ISO_Lb0ESQ_SR_ST_SU_SY_EESZ_S10_S11_S12_S16_S17_S18_S1B_S1C_jS1D_jS1E_S1E_jjS1G_bEUljE0_EEESZ_S10_S11_S18_S1C_S1E_T6_T7_T9_mT8_S1G_bDpT10_ENKUlT_T0_E_clISt17integral_constantIbLb1EES1U_EEDaS1P_S1Q_EUlS1P_E_NS1_11comp_targetILNS1_3genE2ELNS1_11target_archE906ELNS1_3gpuE6ELNS1_3repE0EEENS1_30default_config_static_selectorELNS0_4arch9wavefront6targetE0EEEvS12_.private_seg_size, 0
	.set _ZN7rocprim17ROCPRIM_400000_NS6detail17trampoline_kernelINS0_13select_configILj256ELj13ELNS0_17block_load_methodE3ELS4_3ELS4_3ELNS0_20block_scan_algorithmE0ELj4294967295EEENS1_25partition_config_selectorILNS1_17partition_subalgoE4EjNS0_10empty_typeEbEEZZNS1_14partition_implILS8_4ELb0ES6_15HIP_vector_typeIjLj2EENS0_17counting_iteratorIjlEEPS9_SG_NS0_5tupleIJPjSI_NS0_16reverse_iteratorISI_EEEEENSH_IJSG_SG_SG_EEES9_SI_JZNS1_25segmented_radix_sort_implINS0_14default_configELb0EPKbPbPKlPlN2at6native12_GLOBAL__N_18offset_tEEE10hipError_tPvRmT1_PNSt15iterator_traitsIS12_E10value_typeET2_T3_PNS13_IS18_E10value_typeET4_jRbjT5_S1E_jjP12ihipStream_tbEUljE_ZNSN_ISO_Lb0ESQ_SR_ST_SU_SY_EESZ_S10_S11_S12_S16_S17_S18_S1B_S1C_jS1D_jS1E_S1E_jjS1G_bEUljE0_EEESZ_S10_S11_S18_S1C_S1E_T6_T7_T9_mT8_S1G_bDpT10_ENKUlT_T0_E_clISt17integral_constantIbLb1EES1U_EEDaS1P_S1Q_EUlS1P_E_NS1_11comp_targetILNS1_3genE2ELNS1_11target_archE906ELNS1_3gpuE6ELNS1_3repE0EEENS1_30default_config_static_selectorELNS0_4arch9wavefront6targetE0EEEvS12_.uses_vcc, 0
	.set _ZN7rocprim17ROCPRIM_400000_NS6detail17trampoline_kernelINS0_13select_configILj256ELj13ELNS0_17block_load_methodE3ELS4_3ELS4_3ELNS0_20block_scan_algorithmE0ELj4294967295EEENS1_25partition_config_selectorILNS1_17partition_subalgoE4EjNS0_10empty_typeEbEEZZNS1_14partition_implILS8_4ELb0ES6_15HIP_vector_typeIjLj2EENS0_17counting_iteratorIjlEEPS9_SG_NS0_5tupleIJPjSI_NS0_16reverse_iteratorISI_EEEEENSH_IJSG_SG_SG_EEES9_SI_JZNS1_25segmented_radix_sort_implINS0_14default_configELb0EPKbPbPKlPlN2at6native12_GLOBAL__N_18offset_tEEE10hipError_tPvRmT1_PNSt15iterator_traitsIS12_E10value_typeET2_T3_PNS13_IS18_E10value_typeET4_jRbjT5_S1E_jjP12ihipStream_tbEUljE_ZNSN_ISO_Lb0ESQ_SR_ST_SU_SY_EESZ_S10_S11_S12_S16_S17_S18_S1B_S1C_jS1D_jS1E_S1E_jjS1G_bEUljE0_EEESZ_S10_S11_S18_S1C_S1E_T6_T7_T9_mT8_S1G_bDpT10_ENKUlT_T0_E_clISt17integral_constantIbLb1EES1U_EEDaS1P_S1Q_EUlS1P_E_NS1_11comp_targetILNS1_3genE2ELNS1_11target_archE906ELNS1_3gpuE6ELNS1_3repE0EEENS1_30default_config_static_selectorELNS0_4arch9wavefront6targetE0EEEvS12_.uses_flat_scratch, 0
	.set _ZN7rocprim17ROCPRIM_400000_NS6detail17trampoline_kernelINS0_13select_configILj256ELj13ELNS0_17block_load_methodE3ELS4_3ELS4_3ELNS0_20block_scan_algorithmE0ELj4294967295EEENS1_25partition_config_selectorILNS1_17partition_subalgoE4EjNS0_10empty_typeEbEEZZNS1_14partition_implILS8_4ELb0ES6_15HIP_vector_typeIjLj2EENS0_17counting_iteratorIjlEEPS9_SG_NS0_5tupleIJPjSI_NS0_16reverse_iteratorISI_EEEEENSH_IJSG_SG_SG_EEES9_SI_JZNS1_25segmented_radix_sort_implINS0_14default_configELb0EPKbPbPKlPlN2at6native12_GLOBAL__N_18offset_tEEE10hipError_tPvRmT1_PNSt15iterator_traitsIS12_E10value_typeET2_T3_PNS13_IS18_E10value_typeET4_jRbjT5_S1E_jjP12ihipStream_tbEUljE_ZNSN_ISO_Lb0ESQ_SR_ST_SU_SY_EESZ_S10_S11_S12_S16_S17_S18_S1B_S1C_jS1D_jS1E_S1E_jjS1G_bEUljE0_EEESZ_S10_S11_S18_S1C_S1E_T6_T7_T9_mT8_S1G_bDpT10_ENKUlT_T0_E_clISt17integral_constantIbLb1EES1U_EEDaS1P_S1Q_EUlS1P_E_NS1_11comp_targetILNS1_3genE2ELNS1_11target_archE906ELNS1_3gpuE6ELNS1_3repE0EEENS1_30default_config_static_selectorELNS0_4arch9wavefront6targetE0EEEvS12_.has_dyn_sized_stack, 0
	.set _ZN7rocprim17ROCPRIM_400000_NS6detail17trampoline_kernelINS0_13select_configILj256ELj13ELNS0_17block_load_methodE3ELS4_3ELS4_3ELNS0_20block_scan_algorithmE0ELj4294967295EEENS1_25partition_config_selectorILNS1_17partition_subalgoE4EjNS0_10empty_typeEbEEZZNS1_14partition_implILS8_4ELb0ES6_15HIP_vector_typeIjLj2EENS0_17counting_iteratorIjlEEPS9_SG_NS0_5tupleIJPjSI_NS0_16reverse_iteratorISI_EEEEENSH_IJSG_SG_SG_EEES9_SI_JZNS1_25segmented_radix_sort_implINS0_14default_configELb0EPKbPbPKlPlN2at6native12_GLOBAL__N_18offset_tEEE10hipError_tPvRmT1_PNSt15iterator_traitsIS12_E10value_typeET2_T3_PNS13_IS18_E10value_typeET4_jRbjT5_S1E_jjP12ihipStream_tbEUljE_ZNSN_ISO_Lb0ESQ_SR_ST_SU_SY_EESZ_S10_S11_S12_S16_S17_S18_S1B_S1C_jS1D_jS1E_S1E_jjS1G_bEUljE0_EEESZ_S10_S11_S18_S1C_S1E_T6_T7_T9_mT8_S1G_bDpT10_ENKUlT_T0_E_clISt17integral_constantIbLb1EES1U_EEDaS1P_S1Q_EUlS1P_E_NS1_11comp_targetILNS1_3genE2ELNS1_11target_archE906ELNS1_3gpuE6ELNS1_3repE0EEENS1_30default_config_static_selectorELNS0_4arch9wavefront6targetE0EEEvS12_.has_recursion, 0
	.set _ZN7rocprim17ROCPRIM_400000_NS6detail17trampoline_kernelINS0_13select_configILj256ELj13ELNS0_17block_load_methodE3ELS4_3ELS4_3ELNS0_20block_scan_algorithmE0ELj4294967295EEENS1_25partition_config_selectorILNS1_17partition_subalgoE4EjNS0_10empty_typeEbEEZZNS1_14partition_implILS8_4ELb0ES6_15HIP_vector_typeIjLj2EENS0_17counting_iteratorIjlEEPS9_SG_NS0_5tupleIJPjSI_NS0_16reverse_iteratorISI_EEEEENSH_IJSG_SG_SG_EEES9_SI_JZNS1_25segmented_radix_sort_implINS0_14default_configELb0EPKbPbPKlPlN2at6native12_GLOBAL__N_18offset_tEEE10hipError_tPvRmT1_PNSt15iterator_traitsIS12_E10value_typeET2_T3_PNS13_IS18_E10value_typeET4_jRbjT5_S1E_jjP12ihipStream_tbEUljE_ZNSN_ISO_Lb0ESQ_SR_ST_SU_SY_EESZ_S10_S11_S12_S16_S17_S18_S1B_S1C_jS1D_jS1E_S1E_jjS1G_bEUljE0_EEESZ_S10_S11_S18_S1C_S1E_T6_T7_T9_mT8_S1G_bDpT10_ENKUlT_T0_E_clISt17integral_constantIbLb1EES1U_EEDaS1P_S1Q_EUlS1P_E_NS1_11comp_targetILNS1_3genE2ELNS1_11target_archE906ELNS1_3gpuE6ELNS1_3repE0EEENS1_30default_config_static_selectorELNS0_4arch9wavefront6targetE0EEEvS12_.has_indirect_call, 0
	.section	.AMDGPU.csdata,"",@progbits
; Kernel info:
; codeLenInByte = 0
; TotalNumSgprs: 0
; NumVgprs: 0
; ScratchSize: 0
; MemoryBound: 0
; FloatMode: 240
; IeeeMode: 1
; LDSByteSize: 0 bytes/workgroup (compile time only)
; SGPRBlocks: 0
; VGPRBlocks: 0
; NumSGPRsForWavesPerEU: 1
; NumVGPRsForWavesPerEU: 1
; Occupancy: 16
; WaveLimiterHint : 0
; COMPUTE_PGM_RSRC2:SCRATCH_EN: 0
; COMPUTE_PGM_RSRC2:USER_SGPR: 2
; COMPUTE_PGM_RSRC2:TRAP_HANDLER: 0
; COMPUTE_PGM_RSRC2:TGID_X_EN: 1
; COMPUTE_PGM_RSRC2:TGID_Y_EN: 0
; COMPUTE_PGM_RSRC2:TGID_Z_EN: 0
; COMPUTE_PGM_RSRC2:TIDIG_COMP_CNT: 0
	.section	.text._ZN7rocprim17ROCPRIM_400000_NS6detail17trampoline_kernelINS0_13select_configILj256ELj13ELNS0_17block_load_methodE3ELS4_3ELS4_3ELNS0_20block_scan_algorithmE0ELj4294967295EEENS1_25partition_config_selectorILNS1_17partition_subalgoE4EjNS0_10empty_typeEbEEZZNS1_14partition_implILS8_4ELb0ES6_15HIP_vector_typeIjLj2EENS0_17counting_iteratorIjlEEPS9_SG_NS0_5tupleIJPjSI_NS0_16reverse_iteratorISI_EEEEENSH_IJSG_SG_SG_EEES9_SI_JZNS1_25segmented_radix_sort_implINS0_14default_configELb0EPKbPbPKlPlN2at6native12_GLOBAL__N_18offset_tEEE10hipError_tPvRmT1_PNSt15iterator_traitsIS12_E10value_typeET2_T3_PNS13_IS18_E10value_typeET4_jRbjT5_S1E_jjP12ihipStream_tbEUljE_ZNSN_ISO_Lb0ESQ_SR_ST_SU_SY_EESZ_S10_S11_S12_S16_S17_S18_S1B_S1C_jS1D_jS1E_S1E_jjS1G_bEUljE0_EEESZ_S10_S11_S18_S1C_S1E_T6_T7_T9_mT8_S1G_bDpT10_ENKUlT_T0_E_clISt17integral_constantIbLb1EES1U_EEDaS1P_S1Q_EUlS1P_E_NS1_11comp_targetILNS1_3genE10ELNS1_11target_archE1200ELNS1_3gpuE4ELNS1_3repE0EEENS1_30default_config_static_selectorELNS0_4arch9wavefront6targetE0EEEvS12_,"axG",@progbits,_ZN7rocprim17ROCPRIM_400000_NS6detail17trampoline_kernelINS0_13select_configILj256ELj13ELNS0_17block_load_methodE3ELS4_3ELS4_3ELNS0_20block_scan_algorithmE0ELj4294967295EEENS1_25partition_config_selectorILNS1_17partition_subalgoE4EjNS0_10empty_typeEbEEZZNS1_14partition_implILS8_4ELb0ES6_15HIP_vector_typeIjLj2EENS0_17counting_iteratorIjlEEPS9_SG_NS0_5tupleIJPjSI_NS0_16reverse_iteratorISI_EEEEENSH_IJSG_SG_SG_EEES9_SI_JZNS1_25segmented_radix_sort_implINS0_14default_configELb0EPKbPbPKlPlN2at6native12_GLOBAL__N_18offset_tEEE10hipError_tPvRmT1_PNSt15iterator_traitsIS12_E10value_typeET2_T3_PNS13_IS18_E10value_typeET4_jRbjT5_S1E_jjP12ihipStream_tbEUljE_ZNSN_ISO_Lb0ESQ_SR_ST_SU_SY_EESZ_S10_S11_S12_S16_S17_S18_S1B_S1C_jS1D_jS1E_S1E_jjS1G_bEUljE0_EEESZ_S10_S11_S18_S1C_S1E_T6_T7_T9_mT8_S1G_bDpT10_ENKUlT_T0_E_clISt17integral_constantIbLb1EES1U_EEDaS1P_S1Q_EUlS1P_E_NS1_11comp_targetILNS1_3genE10ELNS1_11target_archE1200ELNS1_3gpuE4ELNS1_3repE0EEENS1_30default_config_static_selectorELNS0_4arch9wavefront6targetE0EEEvS12_,comdat
	.globl	_ZN7rocprim17ROCPRIM_400000_NS6detail17trampoline_kernelINS0_13select_configILj256ELj13ELNS0_17block_load_methodE3ELS4_3ELS4_3ELNS0_20block_scan_algorithmE0ELj4294967295EEENS1_25partition_config_selectorILNS1_17partition_subalgoE4EjNS0_10empty_typeEbEEZZNS1_14partition_implILS8_4ELb0ES6_15HIP_vector_typeIjLj2EENS0_17counting_iteratorIjlEEPS9_SG_NS0_5tupleIJPjSI_NS0_16reverse_iteratorISI_EEEEENSH_IJSG_SG_SG_EEES9_SI_JZNS1_25segmented_radix_sort_implINS0_14default_configELb0EPKbPbPKlPlN2at6native12_GLOBAL__N_18offset_tEEE10hipError_tPvRmT1_PNSt15iterator_traitsIS12_E10value_typeET2_T3_PNS13_IS18_E10value_typeET4_jRbjT5_S1E_jjP12ihipStream_tbEUljE_ZNSN_ISO_Lb0ESQ_SR_ST_SU_SY_EESZ_S10_S11_S12_S16_S17_S18_S1B_S1C_jS1D_jS1E_S1E_jjS1G_bEUljE0_EEESZ_S10_S11_S18_S1C_S1E_T6_T7_T9_mT8_S1G_bDpT10_ENKUlT_T0_E_clISt17integral_constantIbLb1EES1U_EEDaS1P_S1Q_EUlS1P_E_NS1_11comp_targetILNS1_3genE10ELNS1_11target_archE1200ELNS1_3gpuE4ELNS1_3repE0EEENS1_30default_config_static_selectorELNS0_4arch9wavefront6targetE0EEEvS12_ ; -- Begin function _ZN7rocprim17ROCPRIM_400000_NS6detail17trampoline_kernelINS0_13select_configILj256ELj13ELNS0_17block_load_methodE3ELS4_3ELS4_3ELNS0_20block_scan_algorithmE0ELj4294967295EEENS1_25partition_config_selectorILNS1_17partition_subalgoE4EjNS0_10empty_typeEbEEZZNS1_14partition_implILS8_4ELb0ES6_15HIP_vector_typeIjLj2EENS0_17counting_iteratorIjlEEPS9_SG_NS0_5tupleIJPjSI_NS0_16reverse_iteratorISI_EEEEENSH_IJSG_SG_SG_EEES9_SI_JZNS1_25segmented_radix_sort_implINS0_14default_configELb0EPKbPbPKlPlN2at6native12_GLOBAL__N_18offset_tEEE10hipError_tPvRmT1_PNSt15iterator_traitsIS12_E10value_typeET2_T3_PNS13_IS18_E10value_typeET4_jRbjT5_S1E_jjP12ihipStream_tbEUljE_ZNSN_ISO_Lb0ESQ_SR_ST_SU_SY_EESZ_S10_S11_S12_S16_S17_S18_S1B_S1C_jS1D_jS1E_S1E_jjS1G_bEUljE0_EEESZ_S10_S11_S18_S1C_S1E_T6_T7_T9_mT8_S1G_bDpT10_ENKUlT_T0_E_clISt17integral_constantIbLb1EES1U_EEDaS1P_S1Q_EUlS1P_E_NS1_11comp_targetILNS1_3genE10ELNS1_11target_archE1200ELNS1_3gpuE4ELNS1_3repE0EEENS1_30default_config_static_selectorELNS0_4arch9wavefront6targetE0EEEvS12_
	.p2align	8
	.type	_ZN7rocprim17ROCPRIM_400000_NS6detail17trampoline_kernelINS0_13select_configILj256ELj13ELNS0_17block_load_methodE3ELS4_3ELS4_3ELNS0_20block_scan_algorithmE0ELj4294967295EEENS1_25partition_config_selectorILNS1_17partition_subalgoE4EjNS0_10empty_typeEbEEZZNS1_14partition_implILS8_4ELb0ES6_15HIP_vector_typeIjLj2EENS0_17counting_iteratorIjlEEPS9_SG_NS0_5tupleIJPjSI_NS0_16reverse_iteratorISI_EEEEENSH_IJSG_SG_SG_EEES9_SI_JZNS1_25segmented_radix_sort_implINS0_14default_configELb0EPKbPbPKlPlN2at6native12_GLOBAL__N_18offset_tEEE10hipError_tPvRmT1_PNSt15iterator_traitsIS12_E10value_typeET2_T3_PNS13_IS18_E10value_typeET4_jRbjT5_S1E_jjP12ihipStream_tbEUljE_ZNSN_ISO_Lb0ESQ_SR_ST_SU_SY_EESZ_S10_S11_S12_S16_S17_S18_S1B_S1C_jS1D_jS1E_S1E_jjS1G_bEUljE0_EEESZ_S10_S11_S18_S1C_S1E_T6_T7_T9_mT8_S1G_bDpT10_ENKUlT_T0_E_clISt17integral_constantIbLb1EES1U_EEDaS1P_S1Q_EUlS1P_E_NS1_11comp_targetILNS1_3genE10ELNS1_11target_archE1200ELNS1_3gpuE4ELNS1_3repE0EEENS1_30default_config_static_selectorELNS0_4arch9wavefront6targetE0EEEvS12_,@function
_ZN7rocprim17ROCPRIM_400000_NS6detail17trampoline_kernelINS0_13select_configILj256ELj13ELNS0_17block_load_methodE3ELS4_3ELS4_3ELNS0_20block_scan_algorithmE0ELj4294967295EEENS1_25partition_config_selectorILNS1_17partition_subalgoE4EjNS0_10empty_typeEbEEZZNS1_14partition_implILS8_4ELb0ES6_15HIP_vector_typeIjLj2EENS0_17counting_iteratorIjlEEPS9_SG_NS0_5tupleIJPjSI_NS0_16reverse_iteratorISI_EEEEENSH_IJSG_SG_SG_EEES9_SI_JZNS1_25segmented_radix_sort_implINS0_14default_configELb0EPKbPbPKlPlN2at6native12_GLOBAL__N_18offset_tEEE10hipError_tPvRmT1_PNSt15iterator_traitsIS12_E10value_typeET2_T3_PNS13_IS18_E10value_typeET4_jRbjT5_S1E_jjP12ihipStream_tbEUljE_ZNSN_ISO_Lb0ESQ_SR_ST_SU_SY_EESZ_S10_S11_S12_S16_S17_S18_S1B_S1C_jS1D_jS1E_S1E_jjS1G_bEUljE0_EEESZ_S10_S11_S18_S1C_S1E_T6_T7_T9_mT8_S1G_bDpT10_ENKUlT_T0_E_clISt17integral_constantIbLb1EES1U_EEDaS1P_S1Q_EUlS1P_E_NS1_11comp_targetILNS1_3genE10ELNS1_11target_archE1200ELNS1_3gpuE4ELNS1_3repE0EEENS1_30default_config_static_selectorELNS0_4arch9wavefront6targetE0EEEvS12_: ; @_ZN7rocprim17ROCPRIM_400000_NS6detail17trampoline_kernelINS0_13select_configILj256ELj13ELNS0_17block_load_methodE3ELS4_3ELS4_3ELNS0_20block_scan_algorithmE0ELj4294967295EEENS1_25partition_config_selectorILNS1_17partition_subalgoE4EjNS0_10empty_typeEbEEZZNS1_14partition_implILS8_4ELb0ES6_15HIP_vector_typeIjLj2EENS0_17counting_iteratorIjlEEPS9_SG_NS0_5tupleIJPjSI_NS0_16reverse_iteratorISI_EEEEENSH_IJSG_SG_SG_EEES9_SI_JZNS1_25segmented_radix_sort_implINS0_14default_configELb0EPKbPbPKlPlN2at6native12_GLOBAL__N_18offset_tEEE10hipError_tPvRmT1_PNSt15iterator_traitsIS12_E10value_typeET2_T3_PNS13_IS18_E10value_typeET4_jRbjT5_S1E_jjP12ihipStream_tbEUljE_ZNSN_ISO_Lb0ESQ_SR_ST_SU_SY_EESZ_S10_S11_S12_S16_S17_S18_S1B_S1C_jS1D_jS1E_S1E_jjS1G_bEUljE0_EEESZ_S10_S11_S18_S1C_S1E_T6_T7_T9_mT8_S1G_bDpT10_ENKUlT_T0_E_clISt17integral_constantIbLb1EES1U_EEDaS1P_S1Q_EUlS1P_E_NS1_11comp_targetILNS1_3genE10ELNS1_11target_archE1200ELNS1_3gpuE4ELNS1_3repE0EEENS1_30default_config_static_selectorELNS0_4arch9wavefront6targetE0EEEvS12_
; %bb.0:
	s_endpgm
	.section	.rodata,"a",@progbits
	.p2align	6, 0x0
	.amdhsa_kernel _ZN7rocprim17ROCPRIM_400000_NS6detail17trampoline_kernelINS0_13select_configILj256ELj13ELNS0_17block_load_methodE3ELS4_3ELS4_3ELNS0_20block_scan_algorithmE0ELj4294967295EEENS1_25partition_config_selectorILNS1_17partition_subalgoE4EjNS0_10empty_typeEbEEZZNS1_14partition_implILS8_4ELb0ES6_15HIP_vector_typeIjLj2EENS0_17counting_iteratorIjlEEPS9_SG_NS0_5tupleIJPjSI_NS0_16reverse_iteratorISI_EEEEENSH_IJSG_SG_SG_EEES9_SI_JZNS1_25segmented_radix_sort_implINS0_14default_configELb0EPKbPbPKlPlN2at6native12_GLOBAL__N_18offset_tEEE10hipError_tPvRmT1_PNSt15iterator_traitsIS12_E10value_typeET2_T3_PNS13_IS18_E10value_typeET4_jRbjT5_S1E_jjP12ihipStream_tbEUljE_ZNSN_ISO_Lb0ESQ_SR_ST_SU_SY_EESZ_S10_S11_S12_S16_S17_S18_S1B_S1C_jS1D_jS1E_S1E_jjS1G_bEUljE0_EEESZ_S10_S11_S18_S1C_S1E_T6_T7_T9_mT8_S1G_bDpT10_ENKUlT_T0_E_clISt17integral_constantIbLb1EES1U_EEDaS1P_S1Q_EUlS1P_E_NS1_11comp_targetILNS1_3genE10ELNS1_11target_archE1200ELNS1_3gpuE4ELNS1_3repE0EEENS1_30default_config_static_selectorELNS0_4arch9wavefront6targetE0EEEvS12_
		.amdhsa_group_segment_fixed_size 0
		.amdhsa_private_segment_fixed_size 0
		.amdhsa_kernarg_size 184
		.amdhsa_user_sgpr_count 2
		.amdhsa_user_sgpr_dispatch_ptr 0
		.amdhsa_user_sgpr_queue_ptr 0
		.amdhsa_user_sgpr_kernarg_segment_ptr 1
		.amdhsa_user_sgpr_dispatch_id 0
		.amdhsa_user_sgpr_private_segment_size 0
		.amdhsa_wavefront_size32 1
		.amdhsa_uses_dynamic_stack 0
		.amdhsa_enable_private_segment 0
		.amdhsa_system_sgpr_workgroup_id_x 1
		.amdhsa_system_sgpr_workgroup_id_y 0
		.amdhsa_system_sgpr_workgroup_id_z 0
		.amdhsa_system_sgpr_workgroup_info 0
		.amdhsa_system_vgpr_workitem_id 0
		.amdhsa_next_free_vgpr 1
		.amdhsa_next_free_sgpr 1
		.amdhsa_reserve_vcc 0
		.amdhsa_float_round_mode_32 0
		.amdhsa_float_round_mode_16_64 0
		.amdhsa_float_denorm_mode_32 3
		.amdhsa_float_denorm_mode_16_64 3
		.amdhsa_fp16_overflow 0
		.amdhsa_workgroup_processor_mode 1
		.amdhsa_memory_ordered 1
		.amdhsa_forward_progress 1
		.amdhsa_inst_pref_size 1
		.amdhsa_round_robin_scheduling 0
		.amdhsa_exception_fp_ieee_invalid_op 0
		.amdhsa_exception_fp_denorm_src 0
		.amdhsa_exception_fp_ieee_div_zero 0
		.amdhsa_exception_fp_ieee_overflow 0
		.amdhsa_exception_fp_ieee_underflow 0
		.amdhsa_exception_fp_ieee_inexact 0
		.amdhsa_exception_int_div_zero 0
	.end_amdhsa_kernel
	.section	.text._ZN7rocprim17ROCPRIM_400000_NS6detail17trampoline_kernelINS0_13select_configILj256ELj13ELNS0_17block_load_methodE3ELS4_3ELS4_3ELNS0_20block_scan_algorithmE0ELj4294967295EEENS1_25partition_config_selectorILNS1_17partition_subalgoE4EjNS0_10empty_typeEbEEZZNS1_14partition_implILS8_4ELb0ES6_15HIP_vector_typeIjLj2EENS0_17counting_iteratorIjlEEPS9_SG_NS0_5tupleIJPjSI_NS0_16reverse_iteratorISI_EEEEENSH_IJSG_SG_SG_EEES9_SI_JZNS1_25segmented_radix_sort_implINS0_14default_configELb0EPKbPbPKlPlN2at6native12_GLOBAL__N_18offset_tEEE10hipError_tPvRmT1_PNSt15iterator_traitsIS12_E10value_typeET2_T3_PNS13_IS18_E10value_typeET4_jRbjT5_S1E_jjP12ihipStream_tbEUljE_ZNSN_ISO_Lb0ESQ_SR_ST_SU_SY_EESZ_S10_S11_S12_S16_S17_S18_S1B_S1C_jS1D_jS1E_S1E_jjS1G_bEUljE0_EEESZ_S10_S11_S18_S1C_S1E_T6_T7_T9_mT8_S1G_bDpT10_ENKUlT_T0_E_clISt17integral_constantIbLb1EES1U_EEDaS1P_S1Q_EUlS1P_E_NS1_11comp_targetILNS1_3genE10ELNS1_11target_archE1200ELNS1_3gpuE4ELNS1_3repE0EEENS1_30default_config_static_selectorELNS0_4arch9wavefront6targetE0EEEvS12_,"axG",@progbits,_ZN7rocprim17ROCPRIM_400000_NS6detail17trampoline_kernelINS0_13select_configILj256ELj13ELNS0_17block_load_methodE3ELS4_3ELS4_3ELNS0_20block_scan_algorithmE0ELj4294967295EEENS1_25partition_config_selectorILNS1_17partition_subalgoE4EjNS0_10empty_typeEbEEZZNS1_14partition_implILS8_4ELb0ES6_15HIP_vector_typeIjLj2EENS0_17counting_iteratorIjlEEPS9_SG_NS0_5tupleIJPjSI_NS0_16reverse_iteratorISI_EEEEENSH_IJSG_SG_SG_EEES9_SI_JZNS1_25segmented_radix_sort_implINS0_14default_configELb0EPKbPbPKlPlN2at6native12_GLOBAL__N_18offset_tEEE10hipError_tPvRmT1_PNSt15iterator_traitsIS12_E10value_typeET2_T3_PNS13_IS18_E10value_typeET4_jRbjT5_S1E_jjP12ihipStream_tbEUljE_ZNSN_ISO_Lb0ESQ_SR_ST_SU_SY_EESZ_S10_S11_S12_S16_S17_S18_S1B_S1C_jS1D_jS1E_S1E_jjS1G_bEUljE0_EEESZ_S10_S11_S18_S1C_S1E_T6_T7_T9_mT8_S1G_bDpT10_ENKUlT_T0_E_clISt17integral_constantIbLb1EES1U_EEDaS1P_S1Q_EUlS1P_E_NS1_11comp_targetILNS1_3genE10ELNS1_11target_archE1200ELNS1_3gpuE4ELNS1_3repE0EEENS1_30default_config_static_selectorELNS0_4arch9wavefront6targetE0EEEvS12_,comdat
.Lfunc_end1584:
	.size	_ZN7rocprim17ROCPRIM_400000_NS6detail17trampoline_kernelINS0_13select_configILj256ELj13ELNS0_17block_load_methodE3ELS4_3ELS4_3ELNS0_20block_scan_algorithmE0ELj4294967295EEENS1_25partition_config_selectorILNS1_17partition_subalgoE4EjNS0_10empty_typeEbEEZZNS1_14partition_implILS8_4ELb0ES6_15HIP_vector_typeIjLj2EENS0_17counting_iteratorIjlEEPS9_SG_NS0_5tupleIJPjSI_NS0_16reverse_iteratorISI_EEEEENSH_IJSG_SG_SG_EEES9_SI_JZNS1_25segmented_radix_sort_implINS0_14default_configELb0EPKbPbPKlPlN2at6native12_GLOBAL__N_18offset_tEEE10hipError_tPvRmT1_PNSt15iterator_traitsIS12_E10value_typeET2_T3_PNS13_IS18_E10value_typeET4_jRbjT5_S1E_jjP12ihipStream_tbEUljE_ZNSN_ISO_Lb0ESQ_SR_ST_SU_SY_EESZ_S10_S11_S12_S16_S17_S18_S1B_S1C_jS1D_jS1E_S1E_jjS1G_bEUljE0_EEESZ_S10_S11_S18_S1C_S1E_T6_T7_T9_mT8_S1G_bDpT10_ENKUlT_T0_E_clISt17integral_constantIbLb1EES1U_EEDaS1P_S1Q_EUlS1P_E_NS1_11comp_targetILNS1_3genE10ELNS1_11target_archE1200ELNS1_3gpuE4ELNS1_3repE0EEENS1_30default_config_static_selectorELNS0_4arch9wavefront6targetE0EEEvS12_, .Lfunc_end1584-_ZN7rocprim17ROCPRIM_400000_NS6detail17trampoline_kernelINS0_13select_configILj256ELj13ELNS0_17block_load_methodE3ELS4_3ELS4_3ELNS0_20block_scan_algorithmE0ELj4294967295EEENS1_25partition_config_selectorILNS1_17partition_subalgoE4EjNS0_10empty_typeEbEEZZNS1_14partition_implILS8_4ELb0ES6_15HIP_vector_typeIjLj2EENS0_17counting_iteratorIjlEEPS9_SG_NS0_5tupleIJPjSI_NS0_16reverse_iteratorISI_EEEEENSH_IJSG_SG_SG_EEES9_SI_JZNS1_25segmented_radix_sort_implINS0_14default_configELb0EPKbPbPKlPlN2at6native12_GLOBAL__N_18offset_tEEE10hipError_tPvRmT1_PNSt15iterator_traitsIS12_E10value_typeET2_T3_PNS13_IS18_E10value_typeET4_jRbjT5_S1E_jjP12ihipStream_tbEUljE_ZNSN_ISO_Lb0ESQ_SR_ST_SU_SY_EESZ_S10_S11_S12_S16_S17_S18_S1B_S1C_jS1D_jS1E_S1E_jjS1G_bEUljE0_EEESZ_S10_S11_S18_S1C_S1E_T6_T7_T9_mT8_S1G_bDpT10_ENKUlT_T0_E_clISt17integral_constantIbLb1EES1U_EEDaS1P_S1Q_EUlS1P_E_NS1_11comp_targetILNS1_3genE10ELNS1_11target_archE1200ELNS1_3gpuE4ELNS1_3repE0EEENS1_30default_config_static_selectorELNS0_4arch9wavefront6targetE0EEEvS12_
                                        ; -- End function
	.set _ZN7rocprim17ROCPRIM_400000_NS6detail17trampoline_kernelINS0_13select_configILj256ELj13ELNS0_17block_load_methodE3ELS4_3ELS4_3ELNS0_20block_scan_algorithmE0ELj4294967295EEENS1_25partition_config_selectorILNS1_17partition_subalgoE4EjNS0_10empty_typeEbEEZZNS1_14partition_implILS8_4ELb0ES6_15HIP_vector_typeIjLj2EENS0_17counting_iteratorIjlEEPS9_SG_NS0_5tupleIJPjSI_NS0_16reverse_iteratorISI_EEEEENSH_IJSG_SG_SG_EEES9_SI_JZNS1_25segmented_radix_sort_implINS0_14default_configELb0EPKbPbPKlPlN2at6native12_GLOBAL__N_18offset_tEEE10hipError_tPvRmT1_PNSt15iterator_traitsIS12_E10value_typeET2_T3_PNS13_IS18_E10value_typeET4_jRbjT5_S1E_jjP12ihipStream_tbEUljE_ZNSN_ISO_Lb0ESQ_SR_ST_SU_SY_EESZ_S10_S11_S12_S16_S17_S18_S1B_S1C_jS1D_jS1E_S1E_jjS1G_bEUljE0_EEESZ_S10_S11_S18_S1C_S1E_T6_T7_T9_mT8_S1G_bDpT10_ENKUlT_T0_E_clISt17integral_constantIbLb1EES1U_EEDaS1P_S1Q_EUlS1P_E_NS1_11comp_targetILNS1_3genE10ELNS1_11target_archE1200ELNS1_3gpuE4ELNS1_3repE0EEENS1_30default_config_static_selectorELNS0_4arch9wavefront6targetE0EEEvS12_.num_vgpr, 0
	.set _ZN7rocprim17ROCPRIM_400000_NS6detail17trampoline_kernelINS0_13select_configILj256ELj13ELNS0_17block_load_methodE3ELS4_3ELS4_3ELNS0_20block_scan_algorithmE0ELj4294967295EEENS1_25partition_config_selectorILNS1_17partition_subalgoE4EjNS0_10empty_typeEbEEZZNS1_14partition_implILS8_4ELb0ES6_15HIP_vector_typeIjLj2EENS0_17counting_iteratorIjlEEPS9_SG_NS0_5tupleIJPjSI_NS0_16reverse_iteratorISI_EEEEENSH_IJSG_SG_SG_EEES9_SI_JZNS1_25segmented_radix_sort_implINS0_14default_configELb0EPKbPbPKlPlN2at6native12_GLOBAL__N_18offset_tEEE10hipError_tPvRmT1_PNSt15iterator_traitsIS12_E10value_typeET2_T3_PNS13_IS18_E10value_typeET4_jRbjT5_S1E_jjP12ihipStream_tbEUljE_ZNSN_ISO_Lb0ESQ_SR_ST_SU_SY_EESZ_S10_S11_S12_S16_S17_S18_S1B_S1C_jS1D_jS1E_S1E_jjS1G_bEUljE0_EEESZ_S10_S11_S18_S1C_S1E_T6_T7_T9_mT8_S1G_bDpT10_ENKUlT_T0_E_clISt17integral_constantIbLb1EES1U_EEDaS1P_S1Q_EUlS1P_E_NS1_11comp_targetILNS1_3genE10ELNS1_11target_archE1200ELNS1_3gpuE4ELNS1_3repE0EEENS1_30default_config_static_selectorELNS0_4arch9wavefront6targetE0EEEvS12_.num_agpr, 0
	.set _ZN7rocprim17ROCPRIM_400000_NS6detail17trampoline_kernelINS0_13select_configILj256ELj13ELNS0_17block_load_methodE3ELS4_3ELS4_3ELNS0_20block_scan_algorithmE0ELj4294967295EEENS1_25partition_config_selectorILNS1_17partition_subalgoE4EjNS0_10empty_typeEbEEZZNS1_14partition_implILS8_4ELb0ES6_15HIP_vector_typeIjLj2EENS0_17counting_iteratorIjlEEPS9_SG_NS0_5tupleIJPjSI_NS0_16reverse_iteratorISI_EEEEENSH_IJSG_SG_SG_EEES9_SI_JZNS1_25segmented_radix_sort_implINS0_14default_configELb0EPKbPbPKlPlN2at6native12_GLOBAL__N_18offset_tEEE10hipError_tPvRmT1_PNSt15iterator_traitsIS12_E10value_typeET2_T3_PNS13_IS18_E10value_typeET4_jRbjT5_S1E_jjP12ihipStream_tbEUljE_ZNSN_ISO_Lb0ESQ_SR_ST_SU_SY_EESZ_S10_S11_S12_S16_S17_S18_S1B_S1C_jS1D_jS1E_S1E_jjS1G_bEUljE0_EEESZ_S10_S11_S18_S1C_S1E_T6_T7_T9_mT8_S1G_bDpT10_ENKUlT_T0_E_clISt17integral_constantIbLb1EES1U_EEDaS1P_S1Q_EUlS1P_E_NS1_11comp_targetILNS1_3genE10ELNS1_11target_archE1200ELNS1_3gpuE4ELNS1_3repE0EEENS1_30default_config_static_selectorELNS0_4arch9wavefront6targetE0EEEvS12_.numbered_sgpr, 0
	.set _ZN7rocprim17ROCPRIM_400000_NS6detail17trampoline_kernelINS0_13select_configILj256ELj13ELNS0_17block_load_methodE3ELS4_3ELS4_3ELNS0_20block_scan_algorithmE0ELj4294967295EEENS1_25partition_config_selectorILNS1_17partition_subalgoE4EjNS0_10empty_typeEbEEZZNS1_14partition_implILS8_4ELb0ES6_15HIP_vector_typeIjLj2EENS0_17counting_iteratorIjlEEPS9_SG_NS0_5tupleIJPjSI_NS0_16reverse_iteratorISI_EEEEENSH_IJSG_SG_SG_EEES9_SI_JZNS1_25segmented_radix_sort_implINS0_14default_configELb0EPKbPbPKlPlN2at6native12_GLOBAL__N_18offset_tEEE10hipError_tPvRmT1_PNSt15iterator_traitsIS12_E10value_typeET2_T3_PNS13_IS18_E10value_typeET4_jRbjT5_S1E_jjP12ihipStream_tbEUljE_ZNSN_ISO_Lb0ESQ_SR_ST_SU_SY_EESZ_S10_S11_S12_S16_S17_S18_S1B_S1C_jS1D_jS1E_S1E_jjS1G_bEUljE0_EEESZ_S10_S11_S18_S1C_S1E_T6_T7_T9_mT8_S1G_bDpT10_ENKUlT_T0_E_clISt17integral_constantIbLb1EES1U_EEDaS1P_S1Q_EUlS1P_E_NS1_11comp_targetILNS1_3genE10ELNS1_11target_archE1200ELNS1_3gpuE4ELNS1_3repE0EEENS1_30default_config_static_selectorELNS0_4arch9wavefront6targetE0EEEvS12_.num_named_barrier, 0
	.set _ZN7rocprim17ROCPRIM_400000_NS6detail17trampoline_kernelINS0_13select_configILj256ELj13ELNS0_17block_load_methodE3ELS4_3ELS4_3ELNS0_20block_scan_algorithmE0ELj4294967295EEENS1_25partition_config_selectorILNS1_17partition_subalgoE4EjNS0_10empty_typeEbEEZZNS1_14partition_implILS8_4ELb0ES6_15HIP_vector_typeIjLj2EENS0_17counting_iteratorIjlEEPS9_SG_NS0_5tupleIJPjSI_NS0_16reverse_iteratorISI_EEEEENSH_IJSG_SG_SG_EEES9_SI_JZNS1_25segmented_radix_sort_implINS0_14default_configELb0EPKbPbPKlPlN2at6native12_GLOBAL__N_18offset_tEEE10hipError_tPvRmT1_PNSt15iterator_traitsIS12_E10value_typeET2_T3_PNS13_IS18_E10value_typeET4_jRbjT5_S1E_jjP12ihipStream_tbEUljE_ZNSN_ISO_Lb0ESQ_SR_ST_SU_SY_EESZ_S10_S11_S12_S16_S17_S18_S1B_S1C_jS1D_jS1E_S1E_jjS1G_bEUljE0_EEESZ_S10_S11_S18_S1C_S1E_T6_T7_T9_mT8_S1G_bDpT10_ENKUlT_T0_E_clISt17integral_constantIbLb1EES1U_EEDaS1P_S1Q_EUlS1P_E_NS1_11comp_targetILNS1_3genE10ELNS1_11target_archE1200ELNS1_3gpuE4ELNS1_3repE0EEENS1_30default_config_static_selectorELNS0_4arch9wavefront6targetE0EEEvS12_.private_seg_size, 0
	.set _ZN7rocprim17ROCPRIM_400000_NS6detail17trampoline_kernelINS0_13select_configILj256ELj13ELNS0_17block_load_methodE3ELS4_3ELS4_3ELNS0_20block_scan_algorithmE0ELj4294967295EEENS1_25partition_config_selectorILNS1_17partition_subalgoE4EjNS0_10empty_typeEbEEZZNS1_14partition_implILS8_4ELb0ES6_15HIP_vector_typeIjLj2EENS0_17counting_iteratorIjlEEPS9_SG_NS0_5tupleIJPjSI_NS0_16reverse_iteratorISI_EEEEENSH_IJSG_SG_SG_EEES9_SI_JZNS1_25segmented_radix_sort_implINS0_14default_configELb0EPKbPbPKlPlN2at6native12_GLOBAL__N_18offset_tEEE10hipError_tPvRmT1_PNSt15iterator_traitsIS12_E10value_typeET2_T3_PNS13_IS18_E10value_typeET4_jRbjT5_S1E_jjP12ihipStream_tbEUljE_ZNSN_ISO_Lb0ESQ_SR_ST_SU_SY_EESZ_S10_S11_S12_S16_S17_S18_S1B_S1C_jS1D_jS1E_S1E_jjS1G_bEUljE0_EEESZ_S10_S11_S18_S1C_S1E_T6_T7_T9_mT8_S1G_bDpT10_ENKUlT_T0_E_clISt17integral_constantIbLb1EES1U_EEDaS1P_S1Q_EUlS1P_E_NS1_11comp_targetILNS1_3genE10ELNS1_11target_archE1200ELNS1_3gpuE4ELNS1_3repE0EEENS1_30default_config_static_selectorELNS0_4arch9wavefront6targetE0EEEvS12_.uses_vcc, 0
	.set _ZN7rocprim17ROCPRIM_400000_NS6detail17trampoline_kernelINS0_13select_configILj256ELj13ELNS0_17block_load_methodE3ELS4_3ELS4_3ELNS0_20block_scan_algorithmE0ELj4294967295EEENS1_25partition_config_selectorILNS1_17partition_subalgoE4EjNS0_10empty_typeEbEEZZNS1_14partition_implILS8_4ELb0ES6_15HIP_vector_typeIjLj2EENS0_17counting_iteratorIjlEEPS9_SG_NS0_5tupleIJPjSI_NS0_16reverse_iteratorISI_EEEEENSH_IJSG_SG_SG_EEES9_SI_JZNS1_25segmented_radix_sort_implINS0_14default_configELb0EPKbPbPKlPlN2at6native12_GLOBAL__N_18offset_tEEE10hipError_tPvRmT1_PNSt15iterator_traitsIS12_E10value_typeET2_T3_PNS13_IS18_E10value_typeET4_jRbjT5_S1E_jjP12ihipStream_tbEUljE_ZNSN_ISO_Lb0ESQ_SR_ST_SU_SY_EESZ_S10_S11_S12_S16_S17_S18_S1B_S1C_jS1D_jS1E_S1E_jjS1G_bEUljE0_EEESZ_S10_S11_S18_S1C_S1E_T6_T7_T9_mT8_S1G_bDpT10_ENKUlT_T0_E_clISt17integral_constantIbLb1EES1U_EEDaS1P_S1Q_EUlS1P_E_NS1_11comp_targetILNS1_3genE10ELNS1_11target_archE1200ELNS1_3gpuE4ELNS1_3repE0EEENS1_30default_config_static_selectorELNS0_4arch9wavefront6targetE0EEEvS12_.uses_flat_scratch, 0
	.set _ZN7rocprim17ROCPRIM_400000_NS6detail17trampoline_kernelINS0_13select_configILj256ELj13ELNS0_17block_load_methodE3ELS4_3ELS4_3ELNS0_20block_scan_algorithmE0ELj4294967295EEENS1_25partition_config_selectorILNS1_17partition_subalgoE4EjNS0_10empty_typeEbEEZZNS1_14partition_implILS8_4ELb0ES6_15HIP_vector_typeIjLj2EENS0_17counting_iteratorIjlEEPS9_SG_NS0_5tupleIJPjSI_NS0_16reverse_iteratorISI_EEEEENSH_IJSG_SG_SG_EEES9_SI_JZNS1_25segmented_radix_sort_implINS0_14default_configELb0EPKbPbPKlPlN2at6native12_GLOBAL__N_18offset_tEEE10hipError_tPvRmT1_PNSt15iterator_traitsIS12_E10value_typeET2_T3_PNS13_IS18_E10value_typeET4_jRbjT5_S1E_jjP12ihipStream_tbEUljE_ZNSN_ISO_Lb0ESQ_SR_ST_SU_SY_EESZ_S10_S11_S12_S16_S17_S18_S1B_S1C_jS1D_jS1E_S1E_jjS1G_bEUljE0_EEESZ_S10_S11_S18_S1C_S1E_T6_T7_T9_mT8_S1G_bDpT10_ENKUlT_T0_E_clISt17integral_constantIbLb1EES1U_EEDaS1P_S1Q_EUlS1P_E_NS1_11comp_targetILNS1_3genE10ELNS1_11target_archE1200ELNS1_3gpuE4ELNS1_3repE0EEENS1_30default_config_static_selectorELNS0_4arch9wavefront6targetE0EEEvS12_.has_dyn_sized_stack, 0
	.set _ZN7rocprim17ROCPRIM_400000_NS6detail17trampoline_kernelINS0_13select_configILj256ELj13ELNS0_17block_load_methodE3ELS4_3ELS4_3ELNS0_20block_scan_algorithmE0ELj4294967295EEENS1_25partition_config_selectorILNS1_17partition_subalgoE4EjNS0_10empty_typeEbEEZZNS1_14partition_implILS8_4ELb0ES6_15HIP_vector_typeIjLj2EENS0_17counting_iteratorIjlEEPS9_SG_NS0_5tupleIJPjSI_NS0_16reverse_iteratorISI_EEEEENSH_IJSG_SG_SG_EEES9_SI_JZNS1_25segmented_radix_sort_implINS0_14default_configELb0EPKbPbPKlPlN2at6native12_GLOBAL__N_18offset_tEEE10hipError_tPvRmT1_PNSt15iterator_traitsIS12_E10value_typeET2_T3_PNS13_IS18_E10value_typeET4_jRbjT5_S1E_jjP12ihipStream_tbEUljE_ZNSN_ISO_Lb0ESQ_SR_ST_SU_SY_EESZ_S10_S11_S12_S16_S17_S18_S1B_S1C_jS1D_jS1E_S1E_jjS1G_bEUljE0_EEESZ_S10_S11_S18_S1C_S1E_T6_T7_T9_mT8_S1G_bDpT10_ENKUlT_T0_E_clISt17integral_constantIbLb1EES1U_EEDaS1P_S1Q_EUlS1P_E_NS1_11comp_targetILNS1_3genE10ELNS1_11target_archE1200ELNS1_3gpuE4ELNS1_3repE0EEENS1_30default_config_static_selectorELNS0_4arch9wavefront6targetE0EEEvS12_.has_recursion, 0
	.set _ZN7rocprim17ROCPRIM_400000_NS6detail17trampoline_kernelINS0_13select_configILj256ELj13ELNS0_17block_load_methodE3ELS4_3ELS4_3ELNS0_20block_scan_algorithmE0ELj4294967295EEENS1_25partition_config_selectorILNS1_17partition_subalgoE4EjNS0_10empty_typeEbEEZZNS1_14partition_implILS8_4ELb0ES6_15HIP_vector_typeIjLj2EENS0_17counting_iteratorIjlEEPS9_SG_NS0_5tupleIJPjSI_NS0_16reverse_iteratorISI_EEEEENSH_IJSG_SG_SG_EEES9_SI_JZNS1_25segmented_radix_sort_implINS0_14default_configELb0EPKbPbPKlPlN2at6native12_GLOBAL__N_18offset_tEEE10hipError_tPvRmT1_PNSt15iterator_traitsIS12_E10value_typeET2_T3_PNS13_IS18_E10value_typeET4_jRbjT5_S1E_jjP12ihipStream_tbEUljE_ZNSN_ISO_Lb0ESQ_SR_ST_SU_SY_EESZ_S10_S11_S12_S16_S17_S18_S1B_S1C_jS1D_jS1E_S1E_jjS1G_bEUljE0_EEESZ_S10_S11_S18_S1C_S1E_T6_T7_T9_mT8_S1G_bDpT10_ENKUlT_T0_E_clISt17integral_constantIbLb1EES1U_EEDaS1P_S1Q_EUlS1P_E_NS1_11comp_targetILNS1_3genE10ELNS1_11target_archE1200ELNS1_3gpuE4ELNS1_3repE0EEENS1_30default_config_static_selectorELNS0_4arch9wavefront6targetE0EEEvS12_.has_indirect_call, 0
	.section	.AMDGPU.csdata,"",@progbits
; Kernel info:
; codeLenInByte = 4
; TotalNumSgprs: 0
; NumVgprs: 0
; ScratchSize: 0
; MemoryBound: 0
; FloatMode: 240
; IeeeMode: 1
; LDSByteSize: 0 bytes/workgroup (compile time only)
; SGPRBlocks: 0
; VGPRBlocks: 0
; NumSGPRsForWavesPerEU: 1
; NumVGPRsForWavesPerEU: 1
; Occupancy: 16
; WaveLimiterHint : 0
; COMPUTE_PGM_RSRC2:SCRATCH_EN: 0
; COMPUTE_PGM_RSRC2:USER_SGPR: 2
; COMPUTE_PGM_RSRC2:TRAP_HANDLER: 0
; COMPUTE_PGM_RSRC2:TGID_X_EN: 1
; COMPUTE_PGM_RSRC2:TGID_Y_EN: 0
; COMPUTE_PGM_RSRC2:TGID_Z_EN: 0
; COMPUTE_PGM_RSRC2:TIDIG_COMP_CNT: 0
	.section	.text._ZN7rocprim17ROCPRIM_400000_NS6detail17trampoline_kernelINS0_13select_configILj256ELj13ELNS0_17block_load_methodE3ELS4_3ELS4_3ELNS0_20block_scan_algorithmE0ELj4294967295EEENS1_25partition_config_selectorILNS1_17partition_subalgoE4EjNS0_10empty_typeEbEEZZNS1_14partition_implILS8_4ELb0ES6_15HIP_vector_typeIjLj2EENS0_17counting_iteratorIjlEEPS9_SG_NS0_5tupleIJPjSI_NS0_16reverse_iteratorISI_EEEEENSH_IJSG_SG_SG_EEES9_SI_JZNS1_25segmented_radix_sort_implINS0_14default_configELb0EPKbPbPKlPlN2at6native12_GLOBAL__N_18offset_tEEE10hipError_tPvRmT1_PNSt15iterator_traitsIS12_E10value_typeET2_T3_PNS13_IS18_E10value_typeET4_jRbjT5_S1E_jjP12ihipStream_tbEUljE_ZNSN_ISO_Lb0ESQ_SR_ST_SU_SY_EESZ_S10_S11_S12_S16_S17_S18_S1B_S1C_jS1D_jS1E_S1E_jjS1G_bEUljE0_EEESZ_S10_S11_S18_S1C_S1E_T6_T7_T9_mT8_S1G_bDpT10_ENKUlT_T0_E_clISt17integral_constantIbLb1EES1U_EEDaS1P_S1Q_EUlS1P_E_NS1_11comp_targetILNS1_3genE9ELNS1_11target_archE1100ELNS1_3gpuE3ELNS1_3repE0EEENS1_30default_config_static_selectorELNS0_4arch9wavefront6targetE0EEEvS12_,"axG",@progbits,_ZN7rocprim17ROCPRIM_400000_NS6detail17trampoline_kernelINS0_13select_configILj256ELj13ELNS0_17block_load_methodE3ELS4_3ELS4_3ELNS0_20block_scan_algorithmE0ELj4294967295EEENS1_25partition_config_selectorILNS1_17partition_subalgoE4EjNS0_10empty_typeEbEEZZNS1_14partition_implILS8_4ELb0ES6_15HIP_vector_typeIjLj2EENS0_17counting_iteratorIjlEEPS9_SG_NS0_5tupleIJPjSI_NS0_16reverse_iteratorISI_EEEEENSH_IJSG_SG_SG_EEES9_SI_JZNS1_25segmented_radix_sort_implINS0_14default_configELb0EPKbPbPKlPlN2at6native12_GLOBAL__N_18offset_tEEE10hipError_tPvRmT1_PNSt15iterator_traitsIS12_E10value_typeET2_T3_PNS13_IS18_E10value_typeET4_jRbjT5_S1E_jjP12ihipStream_tbEUljE_ZNSN_ISO_Lb0ESQ_SR_ST_SU_SY_EESZ_S10_S11_S12_S16_S17_S18_S1B_S1C_jS1D_jS1E_S1E_jjS1G_bEUljE0_EEESZ_S10_S11_S18_S1C_S1E_T6_T7_T9_mT8_S1G_bDpT10_ENKUlT_T0_E_clISt17integral_constantIbLb1EES1U_EEDaS1P_S1Q_EUlS1P_E_NS1_11comp_targetILNS1_3genE9ELNS1_11target_archE1100ELNS1_3gpuE3ELNS1_3repE0EEENS1_30default_config_static_selectorELNS0_4arch9wavefront6targetE0EEEvS12_,comdat
	.globl	_ZN7rocprim17ROCPRIM_400000_NS6detail17trampoline_kernelINS0_13select_configILj256ELj13ELNS0_17block_load_methodE3ELS4_3ELS4_3ELNS0_20block_scan_algorithmE0ELj4294967295EEENS1_25partition_config_selectorILNS1_17partition_subalgoE4EjNS0_10empty_typeEbEEZZNS1_14partition_implILS8_4ELb0ES6_15HIP_vector_typeIjLj2EENS0_17counting_iteratorIjlEEPS9_SG_NS0_5tupleIJPjSI_NS0_16reverse_iteratorISI_EEEEENSH_IJSG_SG_SG_EEES9_SI_JZNS1_25segmented_radix_sort_implINS0_14default_configELb0EPKbPbPKlPlN2at6native12_GLOBAL__N_18offset_tEEE10hipError_tPvRmT1_PNSt15iterator_traitsIS12_E10value_typeET2_T3_PNS13_IS18_E10value_typeET4_jRbjT5_S1E_jjP12ihipStream_tbEUljE_ZNSN_ISO_Lb0ESQ_SR_ST_SU_SY_EESZ_S10_S11_S12_S16_S17_S18_S1B_S1C_jS1D_jS1E_S1E_jjS1G_bEUljE0_EEESZ_S10_S11_S18_S1C_S1E_T6_T7_T9_mT8_S1G_bDpT10_ENKUlT_T0_E_clISt17integral_constantIbLb1EES1U_EEDaS1P_S1Q_EUlS1P_E_NS1_11comp_targetILNS1_3genE9ELNS1_11target_archE1100ELNS1_3gpuE3ELNS1_3repE0EEENS1_30default_config_static_selectorELNS0_4arch9wavefront6targetE0EEEvS12_ ; -- Begin function _ZN7rocprim17ROCPRIM_400000_NS6detail17trampoline_kernelINS0_13select_configILj256ELj13ELNS0_17block_load_methodE3ELS4_3ELS4_3ELNS0_20block_scan_algorithmE0ELj4294967295EEENS1_25partition_config_selectorILNS1_17partition_subalgoE4EjNS0_10empty_typeEbEEZZNS1_14partition_implILS8_4ELb0ES6_15HIP_vector_typeIjLj2EENS0_17counting_iteratorIjlEEPS9_SG_NS0_5tupleIJPjSI_NS0_16reverse_iteratorISI_EEEEENSH_IJSG_SG_SG_EEES9_SI_JZNS1_25segmented_radix_sort_implINS0_14default_configELb0EPKbPbPKlPlN2at6native12_GLOBAL__N_18offset_tEEE10hipError_tPvRmT1_PNSt15iterator_traitsIS12_E10value_typeET2_T3_PNS13_IS18_E10value_typeET4_jRbjT5_S1E_jjP12ihipStream_tbEUljE_ZNSN_ISO_Lb0ESQ_SR_ST_SU_SY_EESZ_S10_S11_S12_S16_S17_S18_S1B_S1C_jS1D_jS1E_S1E_jjS1G_bEUljE0_EEESZ_S10_S11_S18_S1C_S1E_T6_T7_T9_mT8_S1G_bDpT10_ENKUlT_T0_E_clISt17integral_constantIbLb1EES1U_EEDaS1P_S1Q_EUlS1P_E_NS1_11comp_targetILNS1_3genE9ELNS1_11target_archE1100ELNS1_3gpuE3ELNS1_3repE0EEENS1_30default_config_static_selectorELNS0_4arch9wavefront6targetE0EEEvS12_
	.p2align	8
	.type	_ZN7rocprim17ROCPRIM_400000_NS6detail17trampoline_kernelINS0_13select_configILj256ELj13ELNS0_17block_load_methodE3ELS4_3ELS4_3ELNS0_20block_scan_algorithmE0ELj4294967295EEENS1_25partition_config_selectorILNS1_17partition_subalgoE4EjNS0_10empty_typeEbEEZZNS1_14partition_implILS8_4ELb0ES6_15HIP_vector_typeIjLj2EENS0_17counting_iteratorIjlEEPS9_SG_NS0_5tupleIJPjSI_NS0_16reverse_iteratorISI_EEEEENSH_IJSG_SG_SG_EEES9_SI_JZNS1_25segmented_radix_sort_implINS0_14default_configELb0EPKbPbPKlPlN2at6native12_GLOBAL__N_18offset_tEEE10hipError_tPvRmT1_PNSt15iterator_traitsIS12_E10value_typeET2_T3_PNS13_IS18_E10value_typeET4_jRbjT5_S1E_jjP12ihipStream_tbEUljE_ZNSN_ISO_Lb0ESQ_SR_ST_SU_SY_EESZ_S10_S11_S12_S16_S17_S18_S1B_S1C_jS1D_jS1E_S1E_jjS1G_bEUljE0_EEESZ_S10_S11_S18_S1C_S1E_T6_T7_T9_mT8_S1G_bDpT10_ENKUlT_T0_E_clISt17integral_constantIbLb1EES1U_EEDaS1P_S1Q_EUlS1P_E_NS1_11comp_targetILNS1_3genE9ELNS1_11target_archE1100ELNS1_3gpuE3ELNS1_3repE0EEENS1_30default_config_static_selectorELNS0_4arch9wavefront6targetE0EEEvS12_,@function
_ZN7rocprim17ROCPRIM_400000_NS6detail17trampoline_kernelINS0_13select_configILj256ELj13ELNS0_17block_load_methodE3ELS4_3ELS4_3ELNS0_20block_scan_algorithmE0ELj4294967295EEENS1_25partition_config_selectorILNS1_17partition_subalgoE4EjNS0_10empty_typeEbEEZZNS1_14partition_implILS8_4ELb0ES6_15HIP_vector_typeIjLj2EENS0_17counting_iteratorIjlEEPS9_SG_NS0_5tupleIJPjSI_NS0_16reverse_iteratorISI_EEEEENSH_IJSG_SG_SG_EEES9_SI_JZNS1_25segmented_radix_sort_implINS0_14default_configELb0EPKbPbPKlPlN2at6native12_GLOBAL__N_18offset_tEEE10hipError_tPvRmT1_PNSt15iterator_traitsIS12_E10value_typeET2_T3_PNS13_IS18_E10value_typeET4_jRbjT5_S1E_jjP12ihipStream_tbEUljE_ZNSN_ISO_Lb0ESQ_SR_ST_SU_SY_EESZ_S10_S11_S12_S16_S17_S18_S1B_S1C_jS1D_jS1E_S1E_jjS1G_bEUljE0_EEESZ_S10_S11_S18_S1C_S1E_T6_T7_T9_mT8_S1G_bDpT10_ENKUlT_T0_E_clISt17integral_constantIbLb1EES1U_EEDaS1P_S1Q_EUlS1P_E_NS1_11comp_targetILNS1_3genE9ELNS1_11target_archE1100ELNS1_3gpuE3ELNS1_3repE0EEENS1_30default_config_static_selectorELNS0_4arch9wavefront6targetE0EEEvS12_: ; @_ZN7rocprim17ROCPRIM_400000_NS6detail17trampoline_kernelINS0_13select_configILj256ELj13ELNS0_17block_load_methodE3ELS4_3ELS4_3ELNS0_20block_scan_algorithmE0ELj4294967295EEENS1_25partition_config_selectorILNS1_17partition_subalgoE4EjNS0_10empty_typeEbEEZZNS1_14partition_implILS8_4ELb0ES6_15HIP_vector_typeIjLj2EENS0_17counting_iteratorIjlEEPS9_SG_NS0_5tupleIJPjSI_NS0_16reverse_iteratorISI_EEEEENSH_IJSG_SG_SG_EEES9_SI_JZNS1_25segmented_radix_sort_implINS0_14default_configELb0EPKbPbPKlPlN2at6native12_GLOBAL__N_18offset_tEEE10hipError_tPvRmT1_PNSt15iterator_traitsIS12_E10value_typeET2_T3_PNS13_IS18_E10value_typeET4_jRbjT5_S1E_jjP12ihipStream_tbEUljE_ZNSN_ISO_Lb0ESQ_SR_ST_SU_SY_EESZ_S10_S11_S12_S16_S17_S18_S1B_S1C_jS1D_jS1E_S1E_jjS1G_bEUljE0_EEESZ_S10_S11_S18_S1C_S1E_T6_T7_T9_mT8_S1G_bDpT10_ENKUlT_T0_E_clISt17integral_constantIbLb1EES1U_EEDaS1P_S1Q_EUlS1P_E_NS1_11comp_targetILNS1_3genE9ELNS1_11target_archE1100ELNS1_3gpuE3ELNS1_3repE0EEENS1_30default_config_static_selectorELNS0_4arch9wavefront6targetE0EEEvS12_
; %bb.0:
	.section	.rodata,"a",@progbits
	.p2align	6, 0x0
	.amdhsa_kernel _ZN7rocprim17ROCPRIM_400000_NS6detail17trampoline_kernelINS0_13select_configILj256ELj13ELNS0_17block_load_methodE3ELS4_3ELS4_3ELNS0_20block_scan_algorithmE0ELj4294967295EEENS1_25partition_config_selectorILNS1_17partition_subalgoE4EjNS0_10empty_typeEbEEZZNS1_14partition_implILS8_4ELb0ES6_15HIP_vector_typeIjLj2EENS0_17counting_iteratorIjlEEPS9_SG_NS0_5tupleIJPjSI_NS0_16reverse_iteratorISI_EEEEENSH_IJSG_SG_SG_EEES9_SI_JZNS1_25segmented_radix_sort_implINS0_14default_configELb0EPKbPbPKlPlN2at6native12_GLOBAL__N_18offset_tEEE10hipError_tPvRmT1_PNSt15iterator_traitsIS12_E10value_typeET2_T3_PNS13_IS18_E10value_typeET4_jRbjT5_S1E_jjP12ihipStream_tbEUljE_ZNSN_ISO_Lb0ESQ_SR_ST_SU_SY_EESZ_S10_S11_S12_S16_S17_S18_S1B_S1C_jS1D_jS1E_S1E_jjS1G_bEUljE0_EEESZ_S10_S11_S18_S1C_S1E_T6_T7_T9_mT8_S1G_bDpT10_ENKUlT_T0_E_clISt17integral_constantIbLb1EES1U_EEDaS1P_S1Q_EUlS1P_E_NS1_11comp_targetILNS1_3genE9ELNS1_11target_archE1100ELNS1_3gpuE3ELNS1_3repE0EEENS1_30default_config_static_selectorELNS0_4arch9wavefront6targetE0EEEvS12_
		.amdhsa_group_segment_fixed_size 0
		.amdhsa_private_segment_fixed_size 0
		.amdhsa_kernarg_size 184
		.amdhsa_user_sgpr_count 2
		.amdhsa_user_sgpr_dispatch_ptr 0
		.amdhsa_user_sgpr_queue_ptr 0
		.amdhsa_user_sgpr_kernarg_segment_ptr 1
		.amdhsa_user_sgpr_dispatch_id 0
		.amdhsa_user_sgpr_private_segment_size 0
		.amdhsa_wavefront_size32 1
		.amdhsa_uses_dynamic_stack 0
		.amdhsa_enable_private_segment 0
		.amdhsa_system_sgpr_workgroup_id_x 1
		.amdhsa_system_sgpr_workgroup_id_y 0
		.amdhsa_system_sgpr_workgroup_id_z 0
		.amdhsa_system_sgpr_workgroup_info 0
		.amdhsa_system_vgpr_workitem_id 0
		.amdhsa_next_free_vgpr 1
		.amdhsa_next_free_sgpr 1
		.amdhsa_reserve_vcc 0
		.amdhsa_float_round_mode_32 0
		.amdhsa_float_round_mode_16_64 0
		.amdhsa_float_denorm_mode_32 3
		.amdhsa_float_denorm_mode_16_64 3
		.amdhsa_fp16_overflow 0
		.amdhsa_workgroup_processor_mode 1
		.amdhsa_memory_ordered 1
		.amdhsa_forward_progress 1
		.amdhsa_inst_pref_size 0
		.amdhsa_round_robin_scheduling 0
		.amdhsa_exception_fp_ieee_invalid_op 0
		.amdhsa_exception_fp_denorm_src 0
		.amdhsa_exception_fp_ieee_div_zero 0
		.amdhsa_exception_fp_ieee_overflow 0
		.amdhsa_exception_fp_ieee_underflow 0
		.amdhsa_exception_fp_ieee_inexact 0
		.amdhsa_exception_int_div_zero 0
	.end_amdhsa_kernel
	.section	.text._ZN7rocprim17ROCPRIM_400000_NS6detail17trampoline_kernelINS0_13select_configILj256ELj13ELNS0_17block_load_methodE3ELS4_3ELS4_3ELNS0_20block_scan_algorithmE0ELj4294967295EEENS1_25partition_config_selectorILNS1_17partition_subalgoE4EjNS0_10empty_typeEbEEZZNS1_14partition_implILS8_4ELb0ES6_15HIP_vector_typeIjLj2EENS0_17counting_iteratorIjlEEPS9_SG_NS0_5tupleIJPjSI_NS0_16reverse_iteratorISI_EEEEENSH_IJSG_SG_SG_EEES9_SI_JZNS1_25segmented_radix_sort_implINS0_14default_configELb0EPKbPbPKlPlN2at6native12_GLOBAL__N_18offset_tEEE10hipError_tPvRmT1_PNSt15iterator_traitsIS12_E10value_typeET2_T3_PNS13_IS18_E10value_typeET4_jRbjT5_S1E_jjP12ihipStream_tbEUljE_ZNSN_ISO_Lb0ESQ_SR_ST_SU_SY_EESZ_S10_S11_S12_S16_S17_S18_S1B_S1C_jS1D_jS1E_S1E_jjS1G_bEUljE0_EEESZ_S10_S11_S18_S1C_S1E_T6_T7_T9_mT8_S1G_bDpT10_ENKUlT_T0_E_clISt17integral_constantIbLb1EES1U_EEDaS1P_S1Q_EUlS1P_E_NS1_11comp_targetILNS1_3genE9ELNS1_11target_archE1100ELNS1_3gpuE3ELNS1_3repE0EEENS1_30default_config_static_selectorELNS0_4arch9wavefront6targetE0EEEvS12_,"axG",@progbits,_ZN7rocprim17ROCPRIM_400000_NS6detail17trampoline_kernelINS0_13select_configILj256ELj13ELNS0_17block_load_methodE3ELS4_3ELS4_3ELNS0_20block_scan_algorithmE0ELj4294967295EEENS1_25partition_config_selectorILNS1_17partition_subalgoE4EjNS0_10empty_typeEbEEZZNS1_14partition_implILS8_4ELb0ES6_15HIP_vector_typeIjLj2EENS0_17counting_iteratorIjlEEPS9_SG_NS0_5tupleIJPjSI_NS0_16reverse_iteratorISI_EEEEENSH_IJSG_SG_SG_EEES9_SI_JZNS1_25segmented_radix_sort_implINS0_14default_configELb0EPKbPbPKlPlN2at6native12_GLOBAL__N_18offset_tEEE10hipError_tPvRmT1_PNSt15iterator_traitsIS12_E10value_typeET2_T3_PNS13_IS18_E10value_typeET4_jRbjT5_S1E_jjP12ihipStream_tbEUljE_ZNSN_ISO_Lb0ESQ_SR_ST_SU_SY_EESZ_S10_S11_S12_S16_S17_S18_S1B_S1C_jS1D_jS1E_S1E_jjS1G_bEUljE0_EEESZ_S10_S11_S18_S1C_S1E_T6_T7_T9_mT8_S1G_bDpT10_ENKUlT_T0_E_clISt17integral_constantIbLb1EES1U_EEDaS1P_S1Q_EUlS1P_E_NS1_11comp_targetILNS1_3genE9ELNS1_11target_archE1100ELNS1_3gpuE3ELNS1_3repE0EEENS1_30default_config_static_selectorELNS0_4arch9wavefront6targetE0EEEvS12_,comdat
.Lfunc_end1585:
	.size	_ZN7rocprim17ROCPRIM_400000_NS6detail17trampoline_kernelINS0_13select_configILj256ELj13ELNS0_17block_load_methodE3ELS4_3ELS4_3ELNS0_20block_scan_algorithmE0ELj4294967295EEENS1_25partition_config_selectorILNS1_17partition_subalgoE4EjNS0_10empty_typeEbEEZZNS1_14partition_implILS8_4ELb0ES6_15HIP_vector_typeIjLj2EENS0_17counting_iteratorIjlEEPS9_SG_NS0_5tupleIJPjSI_NS0_16reverse_iteratorISI_EEEEENSH_IJSG_SG_SG_EEES9_SI_JZNS1_25segmented_radix_sort_implINS0_14default_configELb0EPKbPbPKlPlN2at6native12_GLOBAL__N_18offset_tEEE10hipError_tPvRmT1_PNSt15iterator_traitsIS12_E10value_typeET2_T3_PNS13_IS18_E10value_typeET4_jRbjT5_S1E_jjP12ihipStream_tbEUljE_ZNSN_ISO_Lb0ESQ_SR_ST_SU_SY_EESZ_S10_S11_S12_S16_S17_S18_S1B_S1C_jS1D_jS1E_S1E_jjS1G_bEUljE0_EEESZ_S10_S11_S18_S1C_S1E_T6_T7_T9_mT8_S1G_bDpT10_ENKUlT_T0_E_clISt17integral_constantIbLb1EES1U_EEDaS1P_S1Q_EUlS1P_E_NS1_11comp_targetILNS1_3genE9ELNS1_11target_archE1100ELNS1_3gpuE3ELNS1_3repE0EEENS1_30default_config_static_selectorELNS0_4arch9wavefront6targetE0EEEvS12_, .Lfunc_end1585-_ZN7rocprim17ROCPRIM_400000_NS6detail17trampoline_kernelINS0_13select_configILj256ELj13ELNS0_17block_load_methodE3ELS4_3ELS4_3ELNS0_20block_scan_algorithmE0ELj4294967295EEENS1_25partition_config_selectorILNS1_17partition_subalgoE4EjNS0_10empty_typeEbEEZZNS1_14partition_implILS8_4ELb0ES6_15HIP_vector_typeIjLj2EENS0_17counting_iteratorIjlEEPS9_SG_NS0_5tupleIJPjSI_NS0_16reverse_iteratorISI_EEEEENSH_IJSG_SG_SG_EEES9_SI_JZNS1_25segmented_radix_sort_implINS0_14default_configELb0EPKbPbPKlPlN2at6native12_GLOBAL__N_18offset_tEEE10hipError_tPvRmT1_PNSt15iterator_traitsIS12_E10value_typeET2_T3_PNS13_IS18_E10value_typeET4_jRbjT5_S1E_jjP12ihipStream_tbEUljE_ZNSN_ISO_Lb0ESQ_SR_ST_SU_SY_EESZ_S10_S11_S12_S16_S17_S18_S1B_S1C_jS1D_jS1E_S1E_jjS1G_bEUljE0_EEESZ_S10_S11_S18_S1C_S1E_T6_T7_T9_mT8_S1G_bDpT10_ENKUlT_T0_E_clISt17integral_constantIbLb1EES1U_EEDaS1P_S1Q_EUlS1P_E_NS1_11comp_targetILNS1_3genE9ELNS1_11target_archE1100ELNS1_3gpuE3ELNS1_3repE0EEENS1_30default_config_static_selectorELNS0_4arch9wavefront6targetE0EEEvS12_
                                        ; -- End function
	.set _ZN7rocprim17ROCPRIM_400000_NS6detail17trampoline_kernelINS0_13select_configILj256ELj13ELNS0_17block_load_methodE3ELS4_3ELS4_3ELNS0_20block_scan_algorithmE0ELj4294967295EEENS1_25partition_config_selectorILNS1_17partition_subalgoE4EjNS0_10empty_typeEbEEZZNS1_14partition_implILS8_4ELb0ES6_15HIP_vector_typeIjLj2EENS0_17counting_iteratorIjlEEPS9_SG_NS0_5tupleIJPjSI_NS0_16reverse_iteratorISI_EEEEENSH_IJSG_SG_SG_EEES9_SI_JZNS1_25segmented_radix_sort_implINS0_14default_configELb0EPKbPbPKlPlN2at6native12_GLOBAL__N_18offset_tEEE10hipError_tPvRmT1_PNSt15iterator_traitsIS12_E10value_typeET2_T3_PNS13_IS18_E10value_typeET4_jRbjT5_S1E_jjP12ihipStream_tbEUljE_ZNSN_ISO_Lb0ESQ_SR_ST_SU_SY_EESZ_S10_S11_S12_S16_S17_S18_S1B_S1C_jS1D_jS1E_S1E_jjS1G_bEUljE0_EEESZ_S10_S11_S18_S1C_S1E_T6_T7_T9_mT8_S1G_bDpT10_ENKUlT_T0_E_clISt17integral_constantIbLb1EES1U_EEDaS1P_S1Q_EUlS1P_E_NS1_11comp_targetILNS1_3genE9ELNS1_11target_archE1100ELNS1_3gpuE3ELNS1_3repE0EEENS1_30default_config_static_selectorELNS0_4arch9wavefront6targetE0EEEvS12_.num_vgpr, 0
	.set _ZN7rocprim17ROCPRIM_400000_NS6detail17trampoline_kernelINS0_13select_configILj256ELj13ELNS0_17block_load_methodE3ELS4_3ELS4_3ELNS0_20block_scan_algorithmE0ELj4294967295EEENS1_25partition_config_selectorILNS1_17partition_subalgoE4EjNS0_10empty_typeEbEEZZNS1_14partition_implILS8_4ELb0ES6_15HIP_vector_typeIjLj2EENS0_17counting_iteratorIjlEEPS9_SG_NS0_5tupleIJPjSI_NS0_16reverse_iteratorISI_EEEEENSH_IJSG_SG_SG_EEES9_SI_JZNS1_25segmented_radix_sort_implINS0_14default_configELb0EPKbPbPKlPlN2at6native12_GLOBAL__N_18offset_tEEE10hipError_tPvRmT1_PNSt15iterator_traitsIS12_E10value_typeET2_T3_PNS13_IS18_E10value_typeET4_jRbjT5_S1E_jjP12ihipStream_tbEUljE_ZNSN_ISO_Lb0ESQ_SR_ST_SU_SY_EESZ_S10_S11_S12_S16_S17_S18_S1B_S1C_jS1D_jS1E_S1E_jjS1G_bEUljE0_EEESZ_S10_S11_S18_S1C_S1E_T6_T7_T9_mT8_S1G_bDpT10_ENKUlT_T0_E_clISt17integral_constantIbLb1EES1U_EEDaS1P_S1Q_EUlS1P_E_NS1_11comp_targetILNS1_3genE9ELNS1_11target_archE1100ELNS1_3gpuE3ELNS1_3repE0EEENS1_30default_config_static_selectorELNS0_4arch9wavefront6targetE0EEEvS12_.num_agpr, 0
	.set _ZN7rocprim17ROCPRIM_400000_NS6detail17trampoline_kernelINS0_13select_configILj256ELj13ELNS0_17block_load_methodE3ELS4_3ELS4_3ELNS0_20block_scan_algorithmE0ELj4294967295EEENS1_25partition_config_selectorILNS1_17partition_subalgoE4EjNS0_10empty_typeEbEEZZNS1_14partition_implILS8_4ELb0ES6_15HIP_vector_typeIjLj2EENS0_17counting_iteratorIjlEEPS9_SG_NS0_5tupleIJPjSI_NS0_16reverse_iteratorISI_EEEEENSH_IJSG_SG_SG_EEES9_SI_JZNS1_25segmented_radix_sort_implINS0_14default_configELb0EPKbPbPKlPlN2at6native12_GLOBAL__N_18offset_tEEE10hipError_tPvRmT1_PNSt15iterator_traitsIS12_E10value_typeET2_T3_PNS13_IS18_E10value_typeET4_jRbjT5_S1E_jjP12ihipStream_tbEUljE_ZNSN_ISO_Lb0ESQ_SR_ST_SU_SY_EESZ_S10_S11_S12_S16_S17_S18_S1B_S1C_jS1D_jS1E_S1E_jjS1G_bEUljE0_EEESZ_S10_S11_S18_S1C_S1E_T6_T7_T9_mT8_S1G_bDpT10_ENKUlT_T0_E_clISt17integral_constantIbLb1EES1U_EEDaS1P_S1Q_EUlS1P_E_NS1_11comp_targetILNS1_3genE9ELNS1_11target_archE1100ELNS1_3gpuE3ELNS1_3repE0EEENS1_30default_config_static_selectorELNS0_4arch9wavefront6targetE0EEEvS12_.numbered_sgpr, 0
	.set _ZN7rocprim17ROCPRIM_400000_NS6detail17trampoline_kernelINS0_13select_configILj256ELj13ELNS0_17block_load_methodE3ELS4_3ELS4_3ELNS0_20block_scan_algorithmE0ELj4294967295EEENS1_25partition_config_selectorILNS1_17partition_subalgoE4EjNS0_10empty_typeEbEEZZNS1_14partition_implILS8_4ELb0ES6_15HIP_vector_typeIjLj2EENS0_17counting_iteratorIjlEEPS9_SG_NS0_5tupleIJPjSI_NS0_16reverse_iteratorISI_EEEEENSH_IJSG_SG_SG_EEES9_SI_JZNS1_25segmented_radix_sort_implINS0_14default_configELb0EPKbPbPKlPlN2at6native12_GLOBAL__N_18offset_tEEE10hipError_tPvRmT1_PNSt15iterator_traitsIS12_E10value_typeET2_T3_PNS13_IS18_E10value_typeET4_jRbjT5_S1E_jjP12ihipStream_tbEUljE_ZNSN_ISO_Lb0ESQ_SR_ST_SU_SY_EESZ_S10_S11_S12_S16_S17_S18_S1B_S1C_jS1D_jS1E_S1E_jjS1G_bEUljE0_EEESZ_S10_S11_S18_S1C_S1E_T6_T7_T9_mT8_S1G_bDpT10_ENKUlT_T0_E_clISt17integral_constantIbLb1EES1U_EEDaS1P_S1Q_EUlS1P_E_NS1_11comp_targetILNS1_3genE9ELNS1_11target_archE1100ELNS1_3gpuE3ELNS1_3repE0EEENS1_30default_config_static_selectorELNS0_4arch9wavefront6targetE0EEEvS12_.num_named_barrier, 0
	.set _ZN7rocprim17ROCPRIM_400000_NS6detail17trampoline_kernelINS0_13select_configILj256ELj13ELNS0_17block_load_methodE3ELS4_3ELS4_3ELNS0_20block_scan_algorithmE0ELj4294967295EEENS1_25partition_config_selectorILNS1_17partition_subalgoE4EjNS0_10empty_typeEbEEZZNS1_14partition_implILS8_4ELb0ES6_15HIP_vector_typeIjLj2EENS0_17counting_iteratorIjlEEPS9_SG_NS0_5tupleIJPjSI_NS0_16reverse_iteratorISI_EEEEENSH_IJSG_SG_SG_EEES9_SI_JZNS1_25segmented_radix_sort_implINS0_14default_configELb0EPKbPbPKlPlN2at6native12_GLOBAL__N_18offset_tEEE10hipError_tPvRmT1_PNSt15iterator_traitsIS12_E10value_typeET2_T3_PNS13_IS18_E10value_typeET4_jRbjT5_S1E_jjP12ihipStream_tbEUljE_ZNSN_ISO_Lb0ESQ_SR_ST_SU_SY_EESZ_S10_S11_S12_S16_S17_S18_S1B_S1C_jS1D_jS1E_S1E_jjS1G_bEUljE0_EEESZ_S10_S11_S18_S1C_S1E_T6_T7_T9_mT8_S1G_bDpT10_ENKUlT_T0_E_clISt17integral_constantIbLb1EES1U_EEDaS1P_S1Q_EUlS1P_E_NS1_11comp_targetILNS1_3genE9ELNS1_11target_archE1100ELNS1_3gpuE3ELNS1_3repE0EEENS1_30default_config_static_selectorELNS0_4arch9wavefront6targetE0EEEvS12_.private_seg_size, 0
	.set _ZN7rocprim17ROCPRIM_400000_NS6detail17trampoline_kernelINS0_13select_configILj256ELj13ELNS0_17block_load_methodE3ELS4_3ELS4_3ELNS0_20block_scan_algorithmE0ELj4294967295EEENS1_25partition_config_selectorILNS1_17partition_subalgoE4EjNS0_10empty_typeEbEEZZNS1_14partition_implILS8_4ELb0ES6_15HIP_vector_typeIjLj2EENS0_17counting_iteratorIjlEEPS9_SG_NS0_5tupleIJPjSI_NS0_16reverse_iteratorISI_EEEEENSH_IJSG_SG_SG_EEES9_SI_JZNS1_25segmented_radix_sort_implINS0_14default_configELb0EPKbPbPKlPlN2at6native12_GLOBAL__N_18offset_tEEE10hipError_tPvRmT1_PNSt15iterator_traitsIS12_E10value_typeET2_T3_PNS13_IS18_E10value_typeET4_jRbjT5_S1E_jjP12ihipStream_tbEUljE_ZNSN_ISO_Lb0ESQ_SR_ST_SU_SY_EESZ_S10_S11_S12_S16_S17_S18_S1B_S1C_jS1D_jS1E_S1E_jjS1G_bEUljE0_EEESZ_S10_S11_S18_S1C_S1E_T6_T7_T9_mT8_S1G_bDpT10_ENKUlT_T0_E_clISt17integral_constantIbLb1EES1U_EEDaS1P_S1Q_EUlS1P_E_NS1_11comp_targetILNS1_3genE9ELNS1_11target_archE1100ELNS1_3gpuE3ELNS1_3repE0EEENS1_30default_config_static_selectorELNS0_4arch9wavefront6targetE0EEEvS12_.uses_vcc, 0
	.set _ZN7rocprim17ROCPRIM_400000_NS6detail17trampoline_kernelINS0_13select_configILj256ELj13ELNS0_17block_load_methodE3ELS4_3ELS4_3ELNS0_20block_scan_algorithmE0ELj4294967295EEENS1_25partition_config_selectorILNS1_17partition_subalgoE4EjNS0_10empty_typeEbEEZZNS1_14partition_implILS8_4ELb0ES6_15HIP_vector_typeIjLj2EENS0_17counting_iteratorIjlEEPS9_SG_NS0_5tupleIJPjSI_NS0_16reverse_iteratorISI_EEEEENSH_IJSG_SG_SG_EEES9_SI_JZNS1_25segmented_radix_sort_implINS0_14default_configELb0EPKbPbPKlPlN2at6native12_GLOBAL__N_18offset_tEEE10hipError_tPvRmT1_PNSt15iterator_traitsIS12_E10value_typeET2_T3_PNS13_IS18_E10value_typeET4_jRbjT5_S1E_jjP12ihipStream_tbEUljE_ZNSN_ISO_Lb0ESQ_SR_ST_SU_SY_EESZ_S10_S11_S12_S16_S17_S18_S1B_S1C_jS1D_jS1E_S1E_jjS1G_bEUljE0_EEESZ_S10_S11_S18_S1C_S1E_T6_T7_T9_mT8_S1G_bDpT10_ENKUlT_T0_E_clISt17integral_constantIbLb1EES1U_EEDaS1P_S1Q_EUlS1P_E_NS1_11comp_targetILNS1_3genE9ELNS1_11target_archE1100ELNS1_3gpuE3ELNS1_3repE0EEENS1_30default_config_static_selectorELNS0_4arch9wavefront6targetE0EEEvS12_.uses_flat_scratch, 0
	.set _ZN7rocprim17ROCPRIM_400000_NS6detail17trampoline_kernelINS0_13select_configILj256ELj13ELNS0_17block_load_methodE3ELS4_3ELS4_3ELNS0_20block_scan_algorithmE0ELj4294967295EEENS1_25partition_config_selectorILNS1_17partition_subalgoE4EjNS0_10empty_typeEbEEZZNS1_14partition_implILS8_4ELb0ES6_15HIP_vector_typeIjLj2EENS0_17counting_iteratorIjlEEPS9_SG_NS0_5tupleIJPjSI_NS0_16reverse_iteratorISI_EEEEENSH_IJSG_SG_SG_EEES9_SI_JZNS1_25segmented_radix_sort_implINS0_14default_configELb0EPKbPbPKlPlN2at6native12_GLOBAL__N_18offset_tEEE10hipError_tPvRmT1_PNSt15iterator_traitsIS12_E10value_typeET2_T3_PNS13_IS18_E10value_typeET4_jRbjT5_S1E_jjP12ihipStream_tbEUljE_ZNSN_ISO_Lb0ESQ_SR_ST_SU_SY_EESZ_S10_S11_S12_S16_S17_S18_S1B_S1C_jS1D_jS1E_S1E_jjS1G_bEUljE0_EEESZ_S10_S11_S18_S1C_S1E_T6_T7_T9_mT8_S1G_bDpT10_ENKUlT_T0_E_clISt17integral_constantIbLb1EES1U_EEDaS1P_S1Q_EUlS1P_E_NS1_11comp_targetILNS1_3genE9ELNS1_11target_archE1100ELNS1_3gpuE3ELNS1_3repE0EEENS1_30default_config_static_selectorELNS0_4arch9wavefront6targetE0EEEvS12_.has_dyn_sized_stack, 0
	.set _ZN7rocprim17ROCPRIM_400000_NS6detail17trampoline_kernelINS0_13select_configILj256ELj13ELNS0_17block_load_methodE3ELS4_3ELS4_3ELNS0_20block_scan_algorithmE0ELj4294967295EEENS1_25partition_config_selectorILNS1_17partition_subalgoE4EjNS0_10empty_typeEbEEZZNS1_14partition_implILS8_4ELb0ES6_15HIP_vector_typeIjLj2EENS0_17counting_iteratorIjlEEPS9_SG_NS0_5tupleIJPjSI_NS0_16reverse_iteratorISI_EEEEENSH_IJSG_SG_SG_EEES9_SI_JZNS1_25segmented_radix_sort_implINS0_14default_configELb0EPKbPbPKlPlN2at6native12_GLOBAL__N_18offset_tEEE10hipError_tPvRmT1_PNSt15iterator_traitsIS12_E10value_typeET2_T3_PNS13_IS18_E10value_typeET4_jRbjT5_S1E_jjP12ihipStream_tbEUljE_ZNSN_ISO_Lb0ESQ_SR_ST_SU_SY_EESZ_S10_S11_S12_S16_S17_S18_S1B_S1C_jS1D_jS1E_S1E_jjS1G_bEUljE0_EEESZ_S10_S11_S18_S1C_S1E_T6_T7_T9_mT8_S1G_bDpT10_ENKUlT_T0_E_clISt17integral_constantIbLb1EES1U_EEDaS1P_S1Q_EUlS1P_E_NS1_11comp_targetILNS1_3genE9ELNS1_11target_archE1100ELNS1_3gpuE3ELNS1_3repE0EEENS1_30default_config_static_selectorELNS0_4arch9wavefront6targetE0EEEvS12_.has_recursion, 0
	.set _ZN7rocprim17ROCPRIM_400000_NS6detail17trampoline_kernelINS0_13select_configILj256ELj13ELNS0_17block_load_methodE3ELS4_3ELS4_3ELNS0_20block_scan_algorithmE0ELj4294967295EEENS1_25partition_config_selectorILNS1_17partition_subalgoE4EjNS0_10empty_typeEbEEZZNS1_14partition_implILS8_4ELb0ES6_15HIP_vector_typeIjLj2EENS0_17counting_iteratorIjlEEPS9_SG_NS0_5tupleIJPjSI_NS0_16reverse_iteratorISI_EEEEENSH_IJSG_SG_SG_EEES9_SI_JZNS1_25segmented_radix_sort_implINS0_14default_configELb0EPKbPbPKlPlN2at6native12_GLOBAL__N_18offset_tEEE10hipError_tPvRmT1_PNSt15iterator_traitsIS12_E10value_typeET2_T3_PNS13_IS18_E10value_typeET4_jRbjT5_S1E_jjP12ihipStream_tbEUljE_ZNSN_ISO_Lb0ESQ_SR_ST_SU_SY_EESZ_S10_S11_S12_S16_S17_S18_S1B_S1C_jS1D_jS1E_S1E_jjS1G_bEUljE0_EEESZ_S10_S11_S18_S1C_S1E_T6_T7_T9_mT8_S1G_bDpT10_ENKUlT_T0_E_clISt17integral_constantIbLb1EES1U_EEDaS1P_S1Q_EUlS1P_E_NS1_11comp_targetILNS1_3genE9ELNS1_11target_archE1100ELNS1_3gpuE3ELNS1_3repE0EEENS1_30default_config_static_selectorELNS0_4arch9wavefront6targetE0EEEvS12_.has_indirect_call, 0
	.section	.AMDGPU.csdata,"",@progbits
; Kernel info:
; codeLenInByte = 0
; TotalNumSgprs: 0
; NumVgprs: 0
; ScratchSize: 0
; MemoryBound: 0
; FloatMode: 240
; IeeeMode: 1
; LDSByteSize: 0 bytes/workgroup (compile time only)
; SGPRBlocks: 0
; VGPRBlocks: 0
; NumSGPRsForWavesPerEU: 1
; NumVGPRsForWavesPerEU: 1
; Occupancy: 16
; WaveLimiterHint : 0
; COMPUTE_PGM_RSRC2:SCRATCH_EN: 0
; COMPUTE_PGM_RSRC2:USER_SGPR: 2
; COMPUTE_PGM_RSRC2:TRAP_HANDLER: 0
; COMPUTE_PGM_RSRC2:TGID_X_EN: 1
; COMPUTE_PGM_RSRC2:TGID_Y_EN: 0
; COMPUTE_PGM_RSRC2:TGID_Z_EN: 0
; COMPUTE_PGM_RSRC2:TIDIG_COMP_CNT: 0
	.section	.text._ZN7rocprim17ROCPRIM_400000_NS6detail17trampoline_kernelINS0_13select_configILj256ELj13ELNS0_17block_load_methodE3ELS4_3ELS4_3ELNS0_20block_scan_algorithmE0ELj4294967295EEENS1_25partition_config_selectorILNS1_17partition_subalgoE4EjNS0_10empty_typeEbEEZZNS1_14partition_implILS8_4ELb0ES6_15HIP_vector_typeIjLj2EENS0_17counting_iteratorIjlEEPS9_SG_NS0_5tupleIJPjSI_NS0_16reverse_iteratorISI_EEEEENSH_IJSG_SG_SG_EEES9_SI_JZNS1_25segmented_radix_sort_implINS0_14default_configELb0EPKbPbPKlPlN2at6native12_GLOBAL__N_18offset_tEEE10hipError_tPvRmT1_PNSt15iterator_traitsIS12_E10value_typeET2_T3_PNS13_IS18_E10value_typeET4_jRbjT5_S1E_jjP12ihipStream_tbEUljE_ZNSN_ISO_Lb0ESQ_SR_ST_SU_SY_EESZ_S10_S11_S12_S16_S17_S18_S1B_S1C_jS1D_jS1E_S1E_jjS1G_bEUljE0_EEESZ_S10_S11_S18_S1C_S1E_T6_T7_T9_mT8_S1G_bDpT10_ENKUlT_T0_E_clISt17integral_constantIbLb1EES1U_EEDaS1P_S1Q_EUlS1P_E_NS1_11comp_targetILNS1_3genE8ELNS1_11target_archE1030ELNS1_3gpuE2ELNS1_3repE0EEENS1_30default_config_static_selectorELNS0_4arch9wavefront6targetE0EEEvS12_,"axG",@progbits,_ZN7rocprim17ROCPRIM_400000_NS6detail17trampoline_kernelINS0_13select_configILj256ELj13ELNS0_17block_load_methodE3ELS4_3ELS4_3ELNS0_20block_scan_algorithmE0ELj4294967295EEENS1_25partition_config_selectorILNS1_17partition_subalgoE4EjNS0_10empty_typeEbEEZZNS1_14partition_implILS8_4ELb0ES6_15HIP_vector_typeIjLj2EENS0_17counting_iteratorIjlEEPS9_SG_NS0_5tupleIJPjSI_NS0_16reverse_iteratorISI_EEEEENSH_IJSG_SG_SG_EEES9_SI_JZNS1_25segmented_radix_sort_implINS0_14default_configELb0EPKbPbPKlPlN2at6native12_GLOBAL__N_18offset_tEEE10hipError_tPvRmT1_PNSt15iterator_traitsIS12_E10value_typeET2_T3_PNS13_IS18_E10value_typeET4_jRbjT5_S1E_jjP12ihipStream_tbEUljE_ZNSN_ISO_Lb0ESQ_SR_ST_SU_SY_EESZ_S10_S11_S12_S16_S17_S18_S1B_S1C_jS1D_jS1E_S1E_jjS1G_bEUljE0_EEESZ_S10_S11_S18_S1C_S1E_T6_T7_T9_mT8_S1G_bDpT10_ENKUlT_T0_E_clISt17integral_constantIbLb1EES1U_EEDaS1P_S1Q_EUlS1P_E_NS1_11comp_targetILNS1_3genE8ELNS1_11target_archE1030ELNS1_3gpuE2ELNS1_3repE0EEENS1_30default_config_static_selectorELNS0_4arch9wavefront6targetE0EEEvS12_,comdat
	.globl	_ZN7rocprim17ROCPRIM_400000_NS6detail17trampoline_kernelINS0_13select_configILj256ELj13ELNS0_17block_load_methodE3ELS4_3ELS4_3ELNS0_20block_scan_algorithmE0ELj4294967295EEENS1_25partition_config_selectorILNS1_17partition_subalgoE4EjNS0_10empty_typeEbEEZZNS1_14partition_implILS8_4ELb0ES6_15HIP_vector_typeIjLj2EENS0_17counting_iteratorIjlEEPS9_SG_NS0_5tupleIJPjSI_NS0_16reverse_iteratorISI_EEEEENSH_IJSG_SG_SG_EEES9_SI_JZNS1_25segmented_radix_sort_implINS0_14default_configELb0EPKbPbPKlPlN2at6native12_GLOBAL__N_18offset_tEEE10hipError_tPvRmT1_PNSt15iterator_traitsIS12_E10value_typeET2_T3_PNS13_IS18_E10value_typeET4_jRbjT5_S1E_jjP12ihipStream_tbEUljE_ZNSN_ISO_Lb0ESQ_SR_ST_SU_SY_EESZ_S10_S11_S12_S16_S17_S18_S1B_S1C_jS1D_jS1E_S1E_jjS1G_bEUljE0_EEESZ_S10_S11_S18_S1C_S1E_T6_T7_T9_mT8_S1G_bDpT10_ENKUlT_T0_E_clISt17integral_constantIbLb1EES1U_EEDaS1P_S1Q_EUlS1P_E_NS1_11comp_targetILNS1_3genE8ELNS1_11target_archE1030ELNS1_3gpuE2ELNS1_3repE0EEENS1_30default_config_static_selectorELNS0_4arch9wavefront6targetE0EEEvS12_ ; -- Begin function _ZN7rocprim17ROCPRIM_400000_NS6detail17trampoline_kernelINS0_13select_configILj256ELj13ELNS0_17block_load_methodE3ELS4_3ELS4_3ELNS0_20block_scan_algorithmE0ELj4294967295EEENS1_25partition_config_selectorILNS1_17partition_subalgoE4EjNS0_10empty_typeEbEEZZNS1_14partition_implILS8_4ELb0ES6_15HIP_vector_typeIjLj2EENS0_17counting_iteratorIjlEEPS9_SG_NS0_5tupleIJPjSI_NS0_16reverse_iteratorISI_EEEEENSH_IJSG_SG_SG_EEES9_SI_JZNS1_25segmented_radix_sort_implINS0_14default_configELb0EPKbPbPKlPlN2at6native12_GLOBAL__N_18offset_tEEE10hipError_tPvRmT1_PNSt15iterator_traitsIS12_E10value_typeET2_T3_PNS13_IS18_E10value_typeET4_jRbjT5_S1E_jjP12ihipStream_tbEUljE_ZNSN_ISO_Lb0ESQ_SR_ST_SU_SY_EESZ_S10_S11_S12_S16_S17_S18_S1B_S1C_jS1D_jS1E_S1E_jjS1G_bEUljE0_EEESZ_S10_S11_S18_S1C_S1E_T6_T7_T9_mT8_S1G_bDpT10_ENKUlT_T0_E_clISt17integral_constantIbLb1EES1U_EEDaS1P_S1Q_EUlS1P_E_NS1_11comp_targetILNS1_3genE8ELNS1_11target_archE1030ELNS1_3gpuE2ELNS1_3repE0EEENS1_30default_config_static_selectorELNS0_4arch9wavefront6targetE0EEEvS12_
	.p2align	8
	.type	_ZN7rocprim17ROCPRIM_400000_NS6detail17trampoline_kernelINS0_13select_configILj256ELj13ELNS0_17block_load_methodE3ELS4_3ELS4_3ELNS0_20block_scan_algorithmE0ELj4294967295EEENS1_25partition_config_selectorILNS1_17partition_subalgoE4EjNS0_10empty_typeEbEEZZNS1_14partition_implILS8_4ELb0ES6_15HIP_vector_typeIjLj2EENS0_17counting_iteratorIjlEEPS9_SG_NS0_5tupleIJPjSI_NS0_16reverse_iteratorISI_EEEEENSH_IJSG_SG_SG_EEES9_SI_JZNS1_25segmented_radix_sort_implINS0_14default_configELb0EPKbPbPKlPlN2at6native12_GLOBAL__N_18offset_tEEE10hipError_tPvRmT1_PNSt15iterator_traitsIS12_E10value_typeET2_T3_PNS13_IS18_E10value_typeET4_jRbjT5_S1E_jjP12ihipStream_tbEUljE_ZNSN_ISO_Lb0ESQ_SR_ST_SU_SY_EESZ_S10_S11_S12_S16_S17_S18_S1B_S1C_jS1D_jS1E_S1E_jjS1G_bEUljE0_EEESZ_S10_S11_S18_S1C_S1E_T6_T7_T9_mT8_S1G_bDpT10_ENKUlT_T0_E_clISt17integral_constantIbLb1EES1U_EEDaS1P_S1Q_EUlS1P_E_NS1_11comp_targetILNS1_3genE8ELNS1_11target_archE1030ELNS1_3gpuE2ELNS1_3repE0EEENS1_30default_config_static_selectorELNS0_4arch9wavefront6targetE0EEEvS12_,@function
_ZN7rocprim17ROCPRIM_400000_NS6detail17trampoline_kernelINS0_13select_configILj256ELj13ELNS0_17block_load_methodE3ELS4_3ELS4_3ELNS0_20block_scan_algorithmE0ELj4294967295EEENS1_25partition_config_selectorILNS1_17partition_subalgoE4EjNS0_10empty_typeEbEEZZNS1_14partition_implILS8_4ELb0ES6_15HIP_vector_typeIjLj2EENS0_17counting_iteratorIjlEEPS9_SG_NS0_5tupleIJPjSI_NS0_16reverse_iteratorISI_EEEEENSH_IJSG_SG_SG_EEES9_SI_JZNS1_25segmented_radix_sort_implINS0_14default_configELb0EPKbPbPKlPlN2at6native12_GLOBAL__N_18offset_tEEE10hipError_tPvRmT1_PNSt15iterator_traitsIS12_E10value_typeET2_T3_PNS13_IS18_E10value_typeET4_jRbjT5_S1E_jjP12ihipStream_tbEUljE_ZNSN_ISO_Lb0ESQ_SR_ST_SU_SY_EESZ_S10_S11_S12_S16_S17_S18_S1B_S1C_jS1D_jS1E_S1E_jjS1G_bEUljE0_EEESZ_S10_S11_S18_S1C_S1E_T6_T7_T9_mT8_S1G_bDpT10_ENKUlT_T0_E_clISt17integral_constantIbLb1EES1U_EEDaS1P_S1Q_EUlS1P_E_NS1_11comp_targetILNS1_3genE8ELNS1_11target_archE1030ELNS1_3gpuE2ELNS1_3repE0EEENS1_30default_config_static_selectorELNS0_4arch9wavefront6targetE0EEEvS12_: ; @_ZN7rocprim17ROCPRIM_400000_NS6detail17trampoline_kernelINS0_13select_configILj256ELj13ELNS0_17block_load_methodE3ELS4_3ELS4_3ELNS0_20block_scan_algorithmE0ELj4294967295EEENS1_25partition_config_selectorILNS1_17partition_subalgoE4EjNS0_10empty_typeEbEEZZNS1_14partition_implILS8_4ELb0ES6_15HIP_vector_typeIjLj2EENS0_17counting_iteratorIjlEEPS9_SG_NS0_5tupleIJPjSI_NS0_16reverse_iteratorISI_EEEEENSH_IJSG_SG_SG_EEES9_SI_JZNS1_25segmented_radix_sort_implINS0_14default_configELb0EPKbPbPKlPlN2at6native12_GLOBAL__N_18offset_tEEE10hipError_tPvRmT1_PNSt15iterator_traitsIS12_E10value_typeET2_T3_PNS13_IS18_E10value_typeET4_jRbjT5_S1E_jjP12ihipStream_tbEUljE_ZNSN_ISO_Lb0ESQ_SR_ST_SU_SY_EESZ_S10_S11_S12_S16_S17_S18_S1B_S1C_jS1D_jS1E_S1E_jjS1G_bEUljE0_EEESZ_S10_S11_S18_S1C_S1E_T6_T7_T9_mT8_S1G_bDpT10_ENKUlT_T0_E_clISt17integral_constantIbLb1EES1U_EEDaS1P_S1Q_EUlS1P_E_NS1_11comp_targetILNS1_3genE8ELNS1_11target_archE1030ELNS1_3gpuE2ELNS1_3repE0EEENS1_30default_config_static_selectorELNS0_4arch9wavefront6targetE0EEEvS12_
; %bb.0:
	.section	.rodata,"a",@progbits
	.p2align	6, 0x0
	.amdhsa_kernel _ZN7rocprim17ROCPRIM_400000_NS6detail17trampoline_kernelINS0_13select_configILj256ELj13ELNS0_17block_load_methodE3ELS4_3ELS4_3ELNS0_20block_scan_algorithmE0ELj4294967295EEENS1_25partition_config_selectorILNS1_17partition_subalgoE4EjNS0_10empty_typeEbEEZZNS1_14partition_implILS8_4ELb0ES6_15HIP_vector_typeIjLj2EENS0_17counting_iteratorIjlEEPS9_SG_NS0_5tupleIJPjSI_NS0_16reverse_iteratorISI_EEEEENSH_IJSG_SG_SG_EEES9_SI_JZNS1_25segmented_radix_sort_implINS0_14default_configELb0EPKbPbPKlPlN2at6native12_GLOBAL__N_18offset_tEEE10hipError_tPvRmT1_PNSt15iterator_traitsIS12_E10value_typeET2_T3_PNS13_IS18_E10value_typeET4_jRbjT5_S1E_jjP12ihipStream_tbEUljE_ZNSN_ISO_Lb0ESQ_SR_ST_SU_SY_EESZ_S10_S11_S12_S16_S17_S18_S1B_S1C_jS1D_jS1E_S1E_jjS1G_bEUljE0_EEESZ_S10_S11_S18_S1C_S1E_T6_T7_T9_mT8_S1G_bDpT10_ENKUlT_T0_E_clISt17integral_constantIbLb1EES1U_EEDaS1P_S1Q_EUlS1P_E_NS1_11comp_targetILNS1_3genE8ELNS1_11target_archE1030ELNS1_3gpuE2ELNS1_3repE0EEENS1_30default_config_static_selectorELNS0_4arch9wavefront6targetE0EEEvS12_
		.amdhsa_group_segment_fixed_size 0
		.amdhsa_private_segment_fixed_size 0
		.amdhsa_kernarg_size 184
		.amdhsa_user_sgpr_count 2
		.amdhsa_user_sgpr_dispatch_ptr 0
		.amdhsa_user_sgpr_queue_ptr 0
		.amdhsa_user_sgpr_kernarg_segment_ptr 1
		.amdhsa_user_sgpr_dispatch_id 0
		.amdhsa_user_sgpr_private_segment_size 0
		.amdhsa_wavefront_size32 1
		.amdhsa_uses_dynamic_stack 0
		.amdhsa_enable_private_segment 0
		.amdhsa_system_sgpr_workgroup_id_x 1
		.amdhsa_system_sgpr_workgroup_id_y 0
		.amdhsa_system_sgpr_workgroup_id_z 0
		.amdhsa_system_sgpr_workgroup_info 0
		.amdhsa_system_vgpr_workitem_id 0
		.amdhsa_next_free_vgpr 1
		.amdhsa_next_free_sgpr 1
		.amdhsa_reserve_vcc 0
		.amdhsa_float_round_mode_32 0
		.amdhsa_float_round_mode_16_64 0
		.amdhsa_float_denorm_mode_32 3
		.amdhsa_float_denorm_mode_16_64 3
		.amdhsa_fp16_overflow 0
		.amdhsa_workgroup_processor_mode 1
		.amdhsa_memory_ordered 1
		.amdhsa_forward_progress 1
		.amdhsa_inst_pref_size 0
		.amdhsa_round_robin_scheduling 0
		.amdhsa_exception_fp_ieee_invalid_op 0
		.amdhsa_exception_fp_denorm_src 0
		.amdhsa_exception_fp_ieee_div_zero 0
		.amdhsa_exception_fp_ieee_overflow 0
		.amdhsa_exception_fp_ieee_underflow 0
		.amdhsa_exception_fp_ieee_inexact 0
		.amdhsa_exception_int_div_zero 0
	.end_amdhsa_kernel
	.section	.text._ZN7rocprim17ROCPRIM_400000_NS6detail17trampoline_kernelINS0_13select_configILj256ELj13ELNS0_17block_load_methodE3ELS4_3ELS4_3ELNS0_20block_scan_algorithmE0ELj4294967295EEENS1_25partition_config_selectorILNS1_17partition_subalgoE4EjNS0_10empty_typeEbEEZZNS1_14partition_implILS8_4ELb0ES6_15HIP_vector_typeIjLj2EENS0_17counting_iteratorIjlEEPS9_SG_NS0_5tupleIJPjSI_NS0_16reverse_iteratorISI_EEEEENSH_IJSG_SG_SG_EEES9_SI_JZNS1_25segmented_radix_sort_implINS0_14default_configELb0EPKbPbPKlPlN2at6native12_GLOBAL__N_18offset_tEEE10hipError_tPvRmT1_PNSt15iterator_traitsIS12_E10value_typeET2_T3_PNS13_IS18_E10value_typeET4_jRbjT5_S1E_jjP12ihipStream_tbEUljE_ZNSN_ISO_Lb0ESQ_SR_ST_SU_SY_EESZ_S10_S11_S12_S16_S17_S18_S1B_S1C_jS1D_jS1E_S1E_jjS1G_bEUljE0_EEESZ_S10_S11_S18_S1C_S1E_T6_T7_T9_mT8_S1G_bDpT10_ENKUlT_T0_E_clISt17integral_constantIbLb1EES1U_EEDaS1P_S1Q_EUlS1P_E_NS1_11comp_targetILNS1_3genE8ELNS1_11target_archE1030ELNS1_3gpuE2ELNS1_3repE0EEENS1_30default_config_static_selectorELNS0_4arch9wavefront6targetE0EEEvS12_,"axG",@progbits,_ZN7rocprim17ROCPRIM_400000_NS6detail17trampoline_kernelINS0_13select_configILj256ELj13ELNS0_17block_load_methodE3ELS4_3ELS4_3ELNS0_20block_scan_algorithmE0ELj4294967295EEENS1_25partition_config_selectorILNS1_17partition_subalgoE4EjNS0_10empty_typeEbEEZZNS1_14partition_implILS8_4ELb0ES6_15HIP_vector_typeIjLj2EENS0_17counting_iteratorIjlEEPS9_SG_NS0_5tupleIJPjSI_NS0_16reverse_iteratorISI_EEEEENSH_IJSG_SG_SG_EEES9_SI_JZNS1_25segmented_radix_sort_implINS0_14default_configELb0EPKbPbPKlPlN2at6native12_GLOBAL__N_18offset_tEEE10hipError_tPvRmT1_PNSt15iterator_traitsIS12_E10value_typeET2_T3_PNS13_IS18_E10value_typeET4_jRbjT5_S1E_jjP12ihipStream_tbEUljE_ZNSN_ISO_Lb0ESQ_SR_ST_SU_SY_EESZ_S10_S11_S12_S16_S17_S18_S1B_S1C_jS1D_jS1E_S1E_jjS1G_bEUljE0_EEESZ_S10_S11_S18_S1C_S1E_T6_T7_T9_mT8_S1G_bDpT10_ENKUlT_T0_E_clISt17integral_constantIbLb1EES1U_EEDaS1P_S1Q_EUlS1P_E_NS1_11comp_targetILNS1_3genE8ELNS1_11target_archE1030ELNS1_3gpuE2ELNS1_3repE0EEENS1_30default_config_static_selectorELNS0_4arch9wavefront6targetE0EEEvS12_,comdat
.Lfunc_end1586:
	.size	_ZN7rocprim17ROCPRIM_400000_NS6detail17trampoline_kernelINS0_13select_configILj256ELj13ELNS0_17block_load_methodE3ELS4_3ELS4_3ELNS0_20block_scan_algorithmE0ELj4294967295EEENS1_25partition_config_selectorILNS1_17partition_subalgoE4EjNS0_10empty_typeEbEEZZNS1_14partition_implILS8_4ELb0ES6_15HIP_vector_typeIjLj2EENS0_17counting_iteratorIjlEEPS9_SG_NS0_5tupleIJPjSI_NS0_16reverse_iteratorISI_EEEEENSH_IJSG_SG_SG_EEES9_SI_JZNS1_25segmented_radix_sort_implINS0_14default_configELb0EPKbPbPKlPlN2at6native12_GLOBAL__N_18offset_tEEE10hipError_tPvRmT1_PNSt15iterator_traitsIS12_E10value_typeET2_T3_PNS13_IS18_E10value_typeET4_jRbjT5_S1E_jjP12ihipStream_tbEUljE_ZNSN_ISO_Lb0ESQ_SR_ST_SU_SY_EESZ_S10_S11_S12_S16_S17_S18_S1B_S1C_jS1D_jS1E_S1E_jjS1G_bEUljE0_EEESZ_S10_S11_S18_S1C_S1E_T6_T7_T9_mT8_S1G_bDpT10_ENKUlT_T0_E_clISt17integral_constantIbLb1EES1U_EEDaS1P_S1Q_EUlS1P_E_NS1_11comp_targetILNS1_3genE8ELNS1_11target_archE1030ELNS1_3gpuE2ELNS1_3repE0EEENS1_30default_config_static_selectorELNS0_4arch9wavefront6targetE0EEEvS12_, .Lfunc_end1586-_ZN7rocprim17ROCPRIM_400000_NS6detail17trampoline_kernelINS0_13select_configILj256ELj13ELNS0_17block_load_methodE3ELS4_3ELS4_3ELNS0_20block_scan_algorithmE0ELj4294967295EEENS1_25partition_config_selectorILNS1_17partition_subalgoE4EjNS0_10empty_typeEbEEZZNS1_14partition_implILS8_4ELb0ES6_15HIP_vector_typeIjLj2EENS0_17counting_iteratorIjlEEPS9_SG_NS0_5tupleIJPjSI_NS0_16reverse_iteratorISI_EEEEENSH_IJSG_SG_SG_EEES9_SI_JZNS1_25segmented_radix_sort_implINS0_14default_configELb0EPKbPbPKlPlN2at6native12_GLOBAL__N_18offset_tEEE10hipError_tPvRmT1_PNSt15iterator_traitsIS12_E10value_typeET2_T3_PNS13_IS18_E10value_typeET4_jRbjT5_S1E_jjP12ihipStream_tbEUljE_ZNSN_ISO_Lb0ESQ_SR_ST_SU_SY_EESZ_S10_S11_S12_S16_S17_S18_S1B_S1C_jS1D_jS1E_S1E_jjS1G_bEUljE0_EEESZ_S10_S11_S18_S1C_S1E_T6_T7_T9_mT8_S1G_bDpT10_ENKUlT_T0_E_clISt17integral_constantIbLb1EES1U_EEDaS1P_S1Q_EUlS1P_E_NS1_11comp_targetILNS1_3genE8ELNS1_11target_archE1030ELNS1_3gpuE2ELNS1_3repE0EEENS1_30default_config_static_selectorELNS0_4arch9wavefront6targetE0EEEvS12_
                                        ; -- End function
	.set _ZN7rocprim17ROCPRIM_400000_NS6detail17trampoline_kernelINS0_13select_configILj256ELj13ELNS0_17block_load_methodE3ELS4_3ELS4_3ELNS0_20block_scan_algorithmE0ELj4294967295EEENS1_25partition_config_selectorILNS1_17partition_subalgoE4EjNS0_10empty_typeEbEEZZNS1_14partition_implILS8_4ELb0ES6_15HIP_vector_typeIjLj2EENS0_17counting_iteratorIjlEEPS9_SG_NS0_5tupleIJPjSI_NS0_16reverse_iteratorISI_EEEEENSH_IJSG_SG_SG_EEES9_SI_JZNS1_25segmented_radix_sort_implINS0_14default_configELb0EPKbPbPKlPlN2at6native12_GLOBAL__N_18offset_tEEE10hipError_tPvRmT1_PNSt15iterator_traitsIS12_E10value_typeET2_T3_PNS13_IS18_E10value_typeET4_jRbjT5_S1E_jjP12ihipStream_tbEUljE_ZNSN_ISO_Lb0ESQ_SR_ST_SU_SY_EESZ_S10_S11_S12_S16_S17_S18_S1B_S1C_jS1D_jS1E_S1E_jjS1G_bEUljE0_EEESZ_S10_S11_S18_S1C_S1E_T6_T7_T9_mT8_S1G_bDpT10_ENKUlT_T0_E_clISt17integral_constantIbLb1EES1U_EEDaS1P_S1Q_EUlS1P_E_NS1_11comp_targetILNS1_3genE8ELNS1_11target_archE1030ELNS1_3gpuE2ELNS1_3repE0EEENS1_30default_config_static_selectorELNS0_4arch9wavefront6targetE0EEEvS12_.num_vgpr, 0
	.set _ZN7rocprim17ROCPRIM_400000_NS6detail17trampoline_kernelINS0_13select_configILj256ELj13ELNS0_17block_load_methodE3ELS4_3ELS4_3ELNS0_20block_scan_algorithmE0ELj4294967295EEENS1_25partition_config_selectorILNS1_17partition_subalgoE4EjNS0_10empty_typeEbEEZZNS1_14partition_implILS8_4ELb0ES6_15HIP_vector_typeIjLj2EENS0_17counting_iteratorIjlEEPS9_SG_NS0_5tupleIJPjSI_NS0_16reverse_iteratorISI_EEEEENSH_IJSG_SG_SG_EEES9_SI_JZNS1_25segmented_radix_sort_implINS0_14default_configELb0EPKbPbPKlPlN2at6native12_GLOBAL__N_18offset_tEEE10hipError_tPvRmT1_PNSt15iterator_traitsIS12_E10value_typeET2_T3_PNS13_IS18_E10value_typeET4_jRbjT5_S1E_jjP12ihipStream_tbEUljE_ZNSN_ISO_Lb0ESQ_SR_ST_SU_SY_EESZ_S10_S11_S12_S16_S17_S18_S1B_S1C_jS1D_jS1E_S1E_jjS1G_bEUljE0_EEESZ_S10_S11_S18_S1C_S1E_T6_T7_T9_mT8_S1G_bDpT10_ENKUlT_T0_E_clISt17integral_constantIbLb1EES1U_EEDaS1P_S1Q_EUlS1P_E_NS1_11comp_targetILNS1_3genE8ELNS1_11target_archE1030ELNS1_3gpuE2ELNS1_3repE0EEENS1_30default_config_static_selectorELNS0_4arch9wavefront6targetE0EEEvS12_.num_agpr, 0
	.set _ZN7rocprim17ROCPRIM_400000_NS6detail17trampoline_kernelINS0_13select_configILj256ELj13ELNS0_17block_load_methodE3ELS4_3ELS4_3ELNS0_20block_scan_algorithmE0ELj4294967295EEENS1_25partition_config_selectorILNS1_17partition_subalgoE4EjNS0_10empty_typeEbEEZZNS1_14partition_implILS8_4ELb0ES6_15HIP_vector_typeIjLj2EENS0_17counting_iteratorIjlEEPS9_SG_NS0_5tupleIJPjSI_NS0_16reverse_iteratorISI_EEEEENSH_IJSG_SG_SG_EEES9_SI_JZNS1_25segmented_radix_sort_implINS0_14default_configELb0EPKbPbPKlPlN2at6native12_GLOBAL__N_18offset_tEEE10hipError_tPvRmT1_PNSt15iterator_traitsIS12_E10value_typeET2_T3_PNS13_IS18_E10value_typeET4_jRbjT5_S1E_jjP12ihipStream_tbEUljE_ZNSN_ISO_Lb0ESQ_SR_ST_SU_SY_EESZ_S10_S11_S12_S16_S17_S18_S1B_S1C_jS1D_jS1E_S1E_jjS1G_bEUljE0_EEESZ_S10_S11_S18_S1C_S1E_T6_T7_T9_mT8_S1G_bDpT10_ENKUlT_T0_E_clISt17integral_constantIbLb1EES1U_EEDaS1P_S1Q_EUlS1P_E_NS1_11comp_targetILNS1_3genE8ELNS1_11target_archE1030ELNS1_3gpuE2ELNS1_3repE0EEENS1_30default_config_static_selectorELNS0_4arch9wavefront6targetE0EEEvS12_.numbered_sgpr, 0
	.set _ZN7rocprim17ROCPRIM_400000_NS6detail17trampoline_kernelINS0_13select_configILj256ELj13ELNS0_17block_load_methodE3ELS4_3ELS4_3ELNS0_20block_scan_algorithmE0ELj4294967295EEENS1_25partition_config_selectorILNS1_17partition_subalgoE4EjNS0_10empty_typeEbEEZZNS1_14partition_implILS8_4ELb0ES6_15HIP_vector_typeIjLj2EENS0_17counting_iteratorIjlEEPS9_SG_NS0_5tupleIJPjSI_NS0_16reverse_iteratorISI_EEEEENSH_IJSG_SG_SG_EEES9_SI_JZNS1_25segmented_radix_sort_implINS0_14default_configELb0EPKbPbPKlPlN2at6native12_GLOBAL__N_18offset_tEEE10hipError_tPvRmT1_PNSt15iterator_traitsIS12_E10value_typeET2_T3_PNS13_IS18_E10value_typeET4_jRbjT5_S1E_jjP12ihipStream_tbEUljE_ZNSN_ISO_Lb0ESQ_SR_ST_SU_SY_EESZ_S10_S11_S12_S16_S17_S18_S1B_S1C_jS1D_jS1E_S1E_jjS1G_bEUljE0_EEESZ_S10_S11_S18_S1C_S1E_T6_T7_T9_mT8_S1G_bDpT10_ENKUlT_T0_E_clISt17integral_constantIbLb1EES1U_EEDaS1P_S1Q_EUlS1P_E_NS1_11comp_targetILNS1_3genE8ELNS1_11target_archE1030ELNS1_3gpuE2ELNS1_3repE0EEENS1_30default_config_static_selectorELNS0_4arch9wavefront6targetE0EEEvS12_.num_named_barrier, 0
	.set _ZN7rocprim17ROCPRIM_400000_NS6detail17trampoline_kernelINS0_13select_configILj256ELj13ELNS0_17block_load_methodE3ELS4_3ELS4_3ELNS0_20block_scan_algorithmE0ELj4294967295EEENS1_25partition_config_selectorILNS1_17partition_subalgoE4EjNS0_10empty_typeEbEEZZNS1_14partition_implILS8_4ELb0ES6_15HIP_vector_typeIjLj2EENS0_17counting_iteratorIjlEEPS9_SG_NS0_5tupleIJPjSI_NS0_16reverse_iteratorISI_EEEEENSH_IJSG_SG_SG_EEES9_SI_JZNS1_25segmented_radix_sort_implINS0_14default_configELb0EPKbPbPKlPlN2at6native12_GLOBAL__N_18offset_tEEE10hipError_tPvRmT1_PNSt15iterator_traitsIS12_E10value_typeET2_T3_PNS13_IS18_E10value_typeET4_jRbjT5_S1E_jjP12ihipStream_tbEUljE_ZNSN_ISO_Lb0ESQ_SR_ST_SU_SY_EESZ_S10_S11_S12_S16_S17_S18_S1B_S1C_jS1D_jS1E_S1E_jjS1G_bEUljE0_EEESZ_S10_S11_S18_S1C_S1E_T6_T7_T9_mT8_S1G_bDpT10_ENKUlT_T0_E_clISt17integral_constantIbLb1EES1U_EEDaS1P_S1Q_EUlS1P_E_NS1_11comp_targetILNS1_3genE8ELNS1_11target_archE1030ELNS1_3gpuE2ELNS1_3repE0EEENS1_30default_config_static_selectorELNS0_4arch9wavefront6targetE0EEEvS12_.private_seg_size, 0
	.set _ZN7rocprim17ROCPRIM_400000_NS6detail17trampoline_kernelINS0_13select_configILj256ELj13ELNS0_17block_load_methodE3ELS4_3ELS4_3ELNS0_20block_scan_algorithmE0ELj4294967295EEENS1_25partition_config_selectorILNS1_17partition_subalgoE4EjNS0_10empty_typeEbEEZZNS1_14partition_implILS8_4ELb0ES6_15HIP_vector_typeIjLj2EENS0_17counting_iteratorIjlEEPS9_SG_NS0_5tupleIJPjSI_NS0_16reverse_iteratorISI_EEEEENSH_IJSG_SG_SG_EEES9_SI_JZNS1_25segmented_radix_sort_implINS0_14default_configELb0EPKbPbPKlPlN2at6native12_GLOBAL__N_18offset_tEEE10hipError_tPvRmT1_PNSt15iterator_traitsIS12_E10value_typeET2_T3_PNS13_IS18_E10value_typeET4_jRbjT5_S1E_jjP12ihipStream_tbEUljE_ZNSN_ISO_Lb0ESQ_SR_ST_SU_SY_EESZ_S10_S11_S12_S16_S17_S18_S1B_S1C_jS1D_jS1E_S1E_jjS1G_bEUljE0_EEESZ_S10_S11_S18_S1C_S1E_T6_T7_T9_mT8_S1G_bDpT10_ENKUlT_T0_E_clISt17integral_constantIbLb1EES1U_EEDaS1P_S1Q_EUlS1P_E_NS1_11comp_targetILNS1_3genE8ELNS1_11target_archE1030ELNS1_3gpuE2ELNS1_3repE0EEENS1_30default_config_static_selectorELNS0_4arch9wavefront6targetE0EEEvS12_.uses_vcc, 0
	.set _ZN7rocprim17ROCPRIM_400000_NS6detail17trampoline_kernelINS0_13select_configILj256ELj13ELNS0_17block_load_methodE3ELS4_3ELS4_3ELNS0_20block_scan_algorithmE0ELj4294967295EEENS1_25partition_config_selectorILNS1_17partition_subalgoE4EjNS0_10empty_typeEbEEZZNS1_14partition_implILS8_4ELb0ES6_15HIP_vector_typeIjLj2EENS0_17counting_iteratorIjlEEPS9_SG_NS0_5tupleIJPjSI_NS0_16reverse_iteratorISI_EEEEENSH_IJSG_SG_SG_EEES9_SI_JZNS1_25segmented_radix_sort_implINS0_14default_configELb0EPKbPbPKlPlN2at6native12_GLOBAL__N_18offset_tEEE10hipError_tPvRmT1_PNSt15iterator_traitsIS12_E10value_typeET2_T3_PNS13_IS18_E10value_typeET4_jRbjT5_S1E_jjP12ihipStream_tbEUljE_ZNSN_ISO_Lb0ESQ_SR_ST_SU_SY_EESZ_S10_S11_S12_S16_S17_S18_S1B_S1C_jS1D_jS1E_S1E_jjS1G_bEUljE0_EEESZ_S10_S11_S18_S1C_S1E_T6_T7_T9_mT8_S1G_bDpT10_ENKUlT_T0_E_clISt17integral_constantIbLb1EES1U_EEDaS1P_S1Q_EUlS1P_E_NS1_11comp_targetILNS1_3genE8ELNS1_11target_archE1030ELNS1_3gpuE2ELNS1_3repE0EEENS1_30default_config_static_selectorELNS0_4arch9wavefront6targetE0EEEvS12_.uses_flat_scratch, 0
	.set _ZN7rocprim17ROCPRIM_400000_NS6detail17trampoline_kernelINS0_13select_configILj256ELj13ELNS0_17block_load_methodE3ELS4_3ELS4_3ELNS0_20block_scan_algorithmE0ELj4294967295EEENS1_25partition_config_selectorILNS1_17partition_subalgoE4EjNS0_10empty_typeEbEEZZNS1_14partition_implILS8_4ELb0ES6_15HIP_vector_typeIjLj2EENS0_17counting_iteratorIjlEEPS9_SG_NS0_5tupleIJPjSI_NS0_16reverse_iteratorISI_EEEEENSH_IJSG_SG_SG_EEES9_SI_JZNS1_25segmented_radix_sort_implINS0_14default_configELb0EPKbPbPKlPlN2at6native12_GLOBAL__N_18offset_tEEE10hipError_tPvRmT1_PNSt15iterator_traitsIS12_E10value_typeET2_T3_PNS13_IS18_E10value_typeET4_jRbjT5_S1E_jjP12ihipStream_tbEUljE_ZNSN_ISO_Lb0ESQ_SR_ST_SU_SY_EESZ_S10_S11_S12_S16_S17_S18_S1B_S1C_jS1D_jS1E_S1E_jjS1G_bEUljE0_EEESZ_S10_S11_S18_S1C_S1E_T6_T7_T9_mT8_S1G_bDpT10_ENKUlT_T0_E_clISt17integral_constantIbLb1EES1U_EEDaS1P_S1Q_EUlS1P_E_NS1_11comp_targetILNS1_3genE8ELNS1_11target_archE1030ELNS1_3gpuE2ELNS1_3repE0EEENS1_30default_config_static_selectorELNS0_4arch9wavefront6targetE0EEEvS12_.has_dyn_sized_stack, 0
	.set _ZN7rocprim17ROCPRIM_400000_NS6detail17trampoline_kernelINS0_13select_configILj256ELj13ELNS0_17block_load_methodE3ELS4_3ELS4_3ELNS0_20block_scan_algorithmE0ELj4294967295EEENS1_25partition_config_selectorILNS1_17partition_subalgoE4EjNS0_10empty_typeEbEEZZNS1_14partition_implILS8_4ELb0ES6_15HIP_vector_typeIjLj2EENS0_17counting_iteratorIjlEEPS9_SG_NS0_5tupleIJPjSI_NS0_16reverse_iteratorISI_EEEEENSH_IJSG_SG_SG_EEES9_SI_JZNS1_25segmented_radix_sort_implINS0_14default_configELb0EPKbPbPKlPlN2at6native12_GLOBAL__N_18offset_tEEE10hipError_tPvRmT1_PNSt15iterator_traitsIS12_E10value_typeET2_T3_PNS13_IS18_E10value_typeET4_jRbjT5_S1E_jjP12ihipStream_tbEUljE_ZNSN_ISO_Lb0ESQ_SR_ST_SU_SY_EESZ_S10_S11_S12_S16_S17_S18_S1B_S1C_jS1D_jS1E_S1E_jjS1G_bEUljE0_EEESZ_S10_S11_S18_S1C_S1E_T6_T7_T9_mT8_S1G_bDpT10_ENKUlT_T0_E_clISt17integral_constantIbLb1EES1U_EEDaS1P_S1Q_EUlS1P_E_NS1_11comp_targetILNS1_3genE8ELNS1_11target_archE1030ELNS1_3gpuE2ELNS1_3repE0EEENS1_30default_config_static_selectorELNS0_4arch9wavefront6targetE0EEEvS12_.has_recursion, 0
	.set _ZN7rocprim17ROCPRIM_400000_NS6detail17trampoline_kernelINS0_13select_configILj256ELj13ELNS0_17block_load_methodE3ELS4_3ELS4_3ELNS0_20block_scan_algorithmE0ELj4294967295EEENS1_25partition_config_selectorILNS1_17partition_subalgoE4EjNS0_10empty_typeEbEEZZNS1_14partition_implILS8_4ELb0ES6_15HIP_vector_typeIjLj2EENS0_17counting_iteratorIjlEEPS9_SG_NS0_5tupleIJPjSI_NS0_16reverse_iteratorISI_EEEEENSH_IJSG_SG_SG_EEES9_SI_JZNS1_25segmented_radix_sort_implINS0_14default_configELb0EPKbPbPKlPlN2at6native12_GLOBAL__N_18offset_tEEE10hipError_tPvRmT1_PNSt15iterator_traitsIS12_E10value_typeET2_T3_PNS13_IS18_E10value_typeET4_jRbjT5_S1E_jjP12ihipStream_tbEUljE_ZNSN_ISO_Lb0ESQ_SR_ST_SU_SY_EESZ_S10_S11_S12_S16_S17_S18_S1B_S1C_jS1D_jS1E_S1E_jjS1G_bEUljE0_EEESZ_S10_S11_S18_S1C_S1E_T6_T7_T9_mT8_S1G_bDpT10_ENKUlT_T0_E_clISt17integral_constantIbLb1EES1U_EEDaS1P_S1Q_EUlS1P_E_NS1_11comp_targetILNS1_3genE8ELNS1_11target_archE1030ELNS1_3gpuE2ELNS1_3repE0EEENS1_30default_config_static_selectorELNS0_4arch9wavefront6targetE0EEEvS12_.has_indirect_call, 0
	.section	.AMDGPU.csdata,"",@progbits
; Kernel info:
; codeLenInByte = 0
; TotalNumSgprs: 0
; NumVgprs: 0
; ScratchSize: 0
; MemoryBound: 0
; FloatMode: 240
; IeeeMode: 1
; LDSByteSize: 0 bytes/workgroup (compile time only)
; SGPRBlocks: 0
; VGPRBlocks: 0
; NumSGPRsForWavesPerEU: 1
; NumVGPRsForWavesPerEU: 1
; Occupancy: 16
; WaveLimiterHint : 0
; COMPUTE_PGM_RSRC2:SCRATCH_EN: 0
; COMPUTE_PGM_RSRC2:USER_SGPR: 2
; COMPUTE_PGM_RSRC2:TRAP_HANDLER: 0
; COMPUTE_PGM_RSRC2:TGID_X_EN: 1
; COMPUTE_PGM_RSRC2:TGID_Y_EN: 0
; COMPUTE_PGM_RSRC2:TGID_Z_EN: 0
; COMPUTE_PGM_RSRC2:TIDIG_COMP_CNT: 0
	.section	.text._ZN7rocprim17ROCPRIM_400000_NS6detail17trampoline_kernelINS0_13select_configILj256ELj13ELNS0_17block_load_methodE3ELS4_3ELS4_3ELNS0_20block_scan_algorithmE0ELj4294967295EEENS1_25partition_config_selectorILNS1_17partition_subalgoE4EjNS0_10empty_typeEbEEZZNS1_14partition_implILS8_4ELb0ES6_15HIP_vector_typeIjLj2EENS0_17counting_iteratorIjlEEPS9_SG_NS0_5tupleIJPjSI_NS0_16reverse_iteratorISI_EEEEENSH_IJSG_SG_SG_EEES9_SI_JZNS1_25segmented_radix_sort_implINS0_14default_configELb0EPKbPbPKlPlN2at6native12_GLOBAL__N_18offset_tEEE10hipError_tPvRmT1_PNSt15iterator_traitsIS12_E10value_typeET2_T3_PNS13_IS18_E10value_typeET4_jRbjT5_S1E_jjP12ihipStream_tbEUljE_ZNSN_ISO_Lb0ESQ_SR_ST_SU_SY_EESZ_S10_S11_S12_S16_S17_S18_S1B_S1C_jS1D_jS1E_S1E_jjS1G_bEUljE0_EEESZ_S10_S11_S18_S1C_S1E_T6_T7_T9_mT8_S1G_bDpT10_ENKUlT_T0_E_clISt17integral_constantIbLb1EES1T_IbLb0EEEEDaS1P_S1Q_EUlS1P_E_NS1_11comp_targetILNS1_3genE0ELNS1_11target_archE4294967295ELNS1_3gpuE0ELNS1_3repE0EEENS1_30default_config_static_selectorELNS0_4arch9wavefront6targetE0EEEvS12_,"axG",@progbits,_ZN7rocprim17ROCPRIM_400000_NS6detail17trampoline_kernelINS0_13select_configILj256ELj13ELNS0_17block_load_methodE3ELS4_3ELS4_3ELNS0_20block_scan_algorithmE0ELj4294967295EEENS1_25partition_config_selectorILNS1_17partition_subalgoE4EjNS0_10empty_typeEbEEZZNS1_14partition_implILS8_4ELb0ES6_15HIP_vector_typeIjLj2EENS0_17counting_iteratorIjlEEPS9_SG_NS0_5tupleIJPjSI_NS0_16reverse_iteratorISI_EEEEENSH_IJSG_SG_SG_EEES9_SI_JZNS1_25segmented_radix_sort_implINS0_14default_configELb0EPKbPbPKlPlN2at6native12_GLOBAL__N_18offset_tEEE10hipError_tPvRmT1_PNSt15iterator_traitsIS12_E10value_typeET2_T3_PNS13_IS18_E10value_typeET4_jRbjT5_S1E_jjP12ihipStream_tbEUljE_ZNSN_ISO_Lb0ESQ_SR_ST_SU_SY_EESZ_S10_S11_S12_S16_S17_S18_S1B_S1C_jS1D_jS1E_S1E_jjS1G_bEUljE0_EEESZ_S10_S11_S18_S1C_S1E_T6_T7_T9_mT8_S1G_bDpT10_ENKUlT_T0_E_clISt17integral_constantIbLb1EES1T_IbLb0EEEEDaS1P_S1Q_EUlS1P_E_NS1_11comp_targetILNS1_3genE0ELNS1_11target_archE4294967295ELNS1_3gpuE0ELNS1_3repE0EEENS1_30default_config_static_selectorELNS0_4arch9wavefront6targetE0EEEvS12_,comdat
	.globl	_ZN7rocprim17ROCPRIM_400000_NS6detail17trampoline_kernelINS0_13select_configILj256ELj13ELNS0_17block_load_methodE3ELS4_3ELS4_3ELNS0_20block_scan_algorithmE0ELj4294967295EEENS1_25partition_config_selectorILNS1_17partition_subalgoE4EjNS0_10empty_typeEbEEZZNS1_14partition_implILS8_4ELb0ES6_15HIP_vector_typeIjLj2EENS0_17counting_iteratorIjlEEPS9_SG_NS0_5tupleIJPjSI_NS0_16reverse_iteratorISI_EEEEENSH_IJSG_SG_SG_EEES9_SI_JZNS1_25segmented_radix_sort_implINS0_14default_configELb0EPKbPbPKlPlN2at6native12_GLOBAL__N_18offset_tEEE10hipError_tPvRmT1_PNSt15iterator_traitsIS12_E10value_typeET2_T3_PNS13_IS18_E10value_typeET4_jRbjT5_S1E_jjP12ihipStream_tbEUljE_ZNSN_ISO_Lb0ESQ_SR_ST_SU_SY_EESZ_S10_S11_S12_S16_S17_S18_S1B_S1C_jS1D_jS1E_S1E_jjS1G_bEUljE0_EEESZ_S10_S11_S18_S1C_S1E_T6_T7_T9_mT8_S1G_bDpT10_ENKUlT_T0_E_clISt17integral_constantIbLb1EES1T_IbLb0EEEEDaS1P_S1Q_EUlS1P_E_NS1_11comp_targetILNS1_3genE0ELNS1_11target_archE4294967295ELNS1_3gpuE0ELNS1_3repE0EEENS1_30default_config_static_selectorELNS0_4arch9wavefront6targetE0EEEvS12_ ; -- Begin function _ZN7rocprim17ROCPRIM_400000_NS6detail17trampoline_kernelINS0_13select_configILj256ELj13ELNS0_17block_load_methodE3ELS4_3ELS4_3ELNS0_20block_scan_algorithmE0ELj4294967295EEENS1_25partition_config_selectorILNS1_17partition_subalgoE4EjNS0_10empty_typeEbEEZZNS1_14partition_implILS8_4ELb0ES6_15HIP_vector_typeIjLj2EENS0_17counting_iteratorIjlEEPS9_SG_NS0_5tupleIJPjSI_NS0_16reverse_iteratorISI_EEEEENSH_IJSG_SG_SG_EEES9_SI_JZNS1_25segmented_radix_sort_implINS0_14default_configELb0EPKbPbPKlPlN2at6native12_GLOBAL__N_18offset_tEEE10hipError_tPvRmT1_PNSt15iterator_traitsIS12_E10value_typeET2_T3_PNS13_IS18_E10value_typeET4_jRbjT5_S1E_jjP12ihipStream_tbEUljE_ZNSN_ISO_Lb0ESQ_SR_ST_SU_SY_EESZ_S10_S11_S12_S16_S17_S18_S1B_S1C_jS1D_jS1E_S1E_jjS1G_bEUljE0_EEESZ_S10_S11_S18_S1C_S1E_T6_T7_T9_mT8_S1G_bDpT10_ENKUlT_T0_E_clISt17integral_constantIbLb1EES1T_IbLb0EEEEDaS1P_S1Q_EUlS1P_E_NS1_11comp_targetILNS1_3genE0ELNS1_11target_archE4294967295ELNS1_3gpuE0ELNS1_3repE0EEENS1_30default_config_static_selectorELNS0_4arch9wavefront6targetE0EEEvS12_
	.p2align	8
	.type	_ZN7rocprim17ROCPRIM_400000_NS6detail17trampoline_kernelINS0_13select_configILj256ELj13ELNS0_17block_load_methodE3ELS4_3ELS4_3ELNS0_20block_scan_algorithmE0ELj4294967295EEENS1_25partition_config_selectorILNS1_17partition_subalgoE4EjNS0_10empty_typeEbEEZZNS1_14partition_implILS8_4ELb0ES6_15HIP_vector_typeIjLj2EENS0_17counting_iteratorIjlEEPS9_SG_NS0_5tupleIJPjSI_NS0_16reverse_iteratorISI_EEEEENSH_IJSG_SG_SG_EEES9_SI_JZNS1_25segmented_radix_sort_implINS0_14default_configELb0EPKbPbPKlPlN2at6native12_GLOBAL__N_18offset_tEEE10hipError_tPvRmT1_PNSt15iterator_traitsIS12_E10value_typeET2_T3_PNS13_IS18_E10value_typeET4_jRbjT5_S1E_jjP12ihipStream_tbEUljE_ZNSN_ISO_Lb0ESQ_SR_ST_SU_SY_EESZ_S10_S11_S12_S16_S17_S18_S1B_S1C_jS1D_jS1E_S1E_jjS1G_bEUljE0_EEESZ_S10_S11_S18_S1C_S1E_T6_T7_T9_mT8_S1G_bDpT10_ENKUlT_T0_E_clISt17integral_constantIbLb1EES1T_IbLb0EEEEDaS1P_S1Q_EUlS1P_E_NS1_11comp_targetILNS1_3genE0ELNS1_11target_archE4294967295ELNS1_3gpuE0ELNS1_3repE0EEENS1_30default_config_static_selectorELNS0_4arch9wavefront6targetE0EEEvS12_,@function
_ZN7rocprim17ROCPRIM_400000_NS6detail17trampoline_kernelINS0_13select_configILj256ELj13ELNS0_17block_load_methodE3ELS4_3ELS4_3ELNS0_20block_scan_algorithmE0ELj4294967295EEENS1_25partition_config_selectorILNS1_17partition_subalgoE4EjNS0_10empty_typeEbEEZZNS1_14partition_implILS8_4ELb0ES6_15HIP_vector_typeIjLj2EENS0_17counting_iteratorIjlEEPS9_SG_NS0_5tupleIJPjSI_NS0_16reverse_iteratorISI_EEEEENSH_IJSG_SG_SG_EEES9_SI_JZNS1_25segmented_radix_sort_implINS0_14default_configELb0EPKbPbPKlPlN2at6native12_GLOBAL__N_18offset_tEEE10hipError_tPvRmT1_PNSt15iterator_traitsIS12_E10value_typeET2_T3_PNS13_IS18_E10value_typeET4_jRbjT5_S1E_jjP12ihipStream_tbEUljE_ZNSN_ISO_Lb0ESQ_SR_ST_SU_SY_EESZ_S10_S11_S12_S16_S17_S18_S1B_S1C_jS1D_jS1E_S1E_jjS1G_bEUljE0_EEESZ_S10_S11_S18_S1C_S1E_T6_T7_T9_mT8_S1G_bDpT10_ENKUlT_T0_E_clISt17integral_constantIbLb1EES1T_IbLb0EEEEDaS1P_S1Q_EUlS1P_E_NS1_11comp_targetILNS1_3genE0ELNS1_11target_archE4294967295ELNS1_3gpuE0ELNS1_3repE0EEENS1_30default_config_static_selectorELNS0_4arch9wavefront6targetE0EEEvS12_: ; @_ZN7rocprim17ROCPRIM_400000_NS6detail17trampoline_kernelINS0_13select_configILj256ELj13ELNS0_17block_load_methodE3ELS4_3ELS4_3ELNS0_20block_scan_algorithmE0ELj4294967295EEENS1_25partition_config_selectorILNS1_17partition_subalgoE4EjNS0_10empty_typeEbEEZZNS1_14partition_implILS8_4ELb0ES6_15HIP_vector_typeIjLj2EENS0_17counting_iteratorIjlEEPS9_SG_NS0_5tupleIJPjSI_NS0_16reverse_iteratorISI_EEEEENSH_IJSG_SG_SG_EEES9_SI_JZNS1_25segmented_radix_sort_implINS0_14default_configELb0EPKbPbPKlPlN2at6native12_GLOBAL__N_18offset_tEEE10hipError_tPvRmT1_PNSt15iterator_traitsIS12_E10value_typeET2_T3_PNS13_IS18_E10value_typeET4_jRbjT5_S1E_jjP12ihipStream_tbEUljE_ZNSN_ISO_Lb0ESQ_SR_ST_SU_SY_EESZ_S10_S11_S12_S16_S17_S18_S1B_S1C_jS1D_jS1E_S1E_jjS1G_bEUljE0_EEESZ_S10_S11_S18_S1C_S1E_T6_T7_T9_mT8_S1G_bDpT10_ENKUlT_T0_E_clISt17integral_constantIbLb1EES1T_IbLb0EEEEDaS1P_S1Q_EUlS1P_E_NS1_11comp_targetILNS1_3genE0ELNS1_11target_archE4294967295ELNS1_3gpuE0ELNS1_3repE0EEENS1_30default_config_static_selectorELNS0_4arch9wavefront6targetE0EEEvS12_
; %bb.0:
	.section	.rodata,"a",@progbits
	.p2align	6, 0x0
	.amdhsa_kernel _ZN7rocprim17ROCPRIM_400000_NS6detail17trampoline_kernelINS0_13select_configILj256ELj13ELNS0_17block_load_methodE3ELS4_3ELS4_3ELNS0_20block_scan_algorithmE0ELj4294967295EEENS1_25partition_config_selectorILNS1_17partition_subalgoE4EjNS0_10empty_typeEbEEZZNS1_14partition_implILS8_4ELb0ES6_15HIP_vector_typeIjLj2EENS0_17counting_iteratorIjlEEPS9_SG_NS0_5tupleIJPjSI_NS0_16reverse_iteratorISI_EEEEENSH_IJSG_SG_SG_EEES9_SI_JZNS1_25segmented_radix_sort_implINS0_14default_configELb0EPKbPbPKlPlN2at6native12_GLOBAL__N_18offset_tEEE10hipError_tPvRmT1_PNSt15iterator_traitsIS12_E10value_typeET2_T3_PNS13_IS18_E10value_typeET4_jRbjT5_S1E_jjP12ihipStream_tbEUljE_ZNSN_ISO_Lb0ESQ_SR_ST_SU_SY_EESZ_S10_S11_S12_S16_S17_S18_S1B_S1C_jS1D_jS1E_S1E_jjS1G_bEUljE0_EEESZ_S10_S11_S18_S1C_S1E_T6_T7_T9_mT8_S1G_bDpT10_ENKUlT_T0_E_clISt17integral_constantIbLb1EES1T_IbLb0EEEEDaS1P_S1Q_EUlS1P_E_NS1_11comp_targetILNS1_3genE0ELNS1_11target_archE4294967295ELNS1_3gpuE0ELNS1_3repE0EEENS1_30default_config_static_selectorELNS0_4arch9wavefront6targetE0EEEvS12_
		.amdhsa_group_segment_fixed_size 0
		.amdhsa_private_segment_fixed_size 0
		.amdhsa_kernarg_size 176
		.amdhsa_user_sgpr_count 2
		.amdhsa_user_sgpr_dispatch_ptr 0
		.amdhsa_user_sgpr_queue_ptr 0
		.amdhsa_user_sgpr_kernarg_segment_ptr 1
		.amdhsa_user_sgpr_dispatch_id 0
		.amdhsa_user_sgpr_private_segment_size 0
		.amdhsa_wavefront_size32 1
		.amdhsa_uses_dynamic_stack 0
		.amdhsa_enable_private_segment 0
		.amdhsa_system_sgpr_workgroup_id_x 1
		.amdhsa_system_sgpr_workgroup_id_y 0
		.amdhsa_system_sgpr_workgroup_id_z 0
		.amdhsa_system_sgpr_workgroup_info 0
		.amdhsa_system_vgpr_workitem_id 0
		.amdhsa_next_free_vgpr 1
		.amdhsa_next_free_sgpr 1
		.amdhsa_reserve_vcc 0
		.amdhsa_float_round_mode_32 0
		.amdhsa_float_round_mode_16_64 0
		.amdhsa_float_denorm_mode_32 3
		.amdhsa_float_denorm_mode_16_64 3
		.amdhsa_fp16_overflow 0
		.amdhsa_workgroup_processor_mode 1
		.amdhsa_memory_ordered 1
		.amdhsa_forward_progress 1
		.amdhsa_inst_pref_size 0
		.amdhsa_round_robin_scheduling 0
		.amdhsa_exception_fp_ieee_invalid_op 0
		.amdhsa_exception_fp_denorm_src 0
		.amdhsa_exception_fp_ieee_div_zero 0
		.amdhsa_exception_fp_ieee_overflow 0
		.amdhsa_exception_fp_ieee_underflow 0
		.amdhsa_exception_fp_ieee_inexact 0
		.amdhsa_exception_int_div_zero 0
	.end_amdhsa_kernel
	.section	.text._ZN7rocprim17ROCPRIM_400000_NS6detail17trampoline_kernelINS0_13select_configILj256ELj13ELNS0_17block_load_methodE3ELS4_3ELS4_3ELNS0_20block_scan_algorithmE0ELj4294967295EEENS1_25partition_config_selectorILNS1_17partition_subalgoE4EjNS0_10empty_typeEbEEZZNS1_14partition_implILS8_4ELb0ES6_15HIP_vector_typeIjLj2EENS0_17counting_iteratorIjlEEPS9_SG_NS0_5tupleIJPjSI_NS0_16reverse_iteratorISI_EEEEENSH_IJSG_SG_SG_EEES9_SI_JZNS1_25segmented_radix_sort_implINS0_14default_configELb0EPKbPbPKlPlN2at6native12_GLOBAL__N_18offset_tEEE10hipError_tPvRmT1_PNSt15iterator_traitsIS12_E10value_typeET2_T3_PNS13_IS18_E10value_typeET4_jRbjT5_S1E_jjP12ihipStream_tbEUljE_ZNSN_ISO_Lb0ESQ_SR_ST_SU_SY_EESZ_S10_S11_S12_S16_S17_S18_S1B_S1C_jS1D_jS1E_S1E_jjS1G_bEUljE0_EEESZ_S10_S11_S18_S1C_S1E_T6_T7_T9_mT8_S1G_bDpT10_ENKUlT_T0_E_clISt17integral_constantIbLb1EES1T_IbLb0EEEEDaS1P_S1Q_EUlS1P_E_NS1_11comp_targetILNS1_3genE0ELNS1_11target_archE4294967295ELNS1_3gpuE0ELNS1_3repE0EEENS1_30default_config_static_selectorELNS0_4arch9wavefront6targetE0EEEvS12_,"axG",@progbits,_ZN7rocprim17ROCPRIM_400000_NS6detail17trampoline_kernelINS0_13select_configILj256ELj13ELNS0_17block_load_methodE3ELS4_3ELS4_3ELNS0_20block_scan_algorithmE0ELj4294967295EEENS1_25partition_config_selectorILNS1_17partition_subalgoE4EjNS0_10empty_typeEbEEZZNS1_14partition_implILS8_4ELb0ES6_15HIP_vector_typeIjLj2EENS0_17counting_iteratorIjlEEPS9_SG_NS0_5tupleIJPjSI_NS0_16reverse_iteratorISI_EEEEENSH_IJSG_SG_SG_EEES9_SI_JZNS1_25segmented_radix_sort_implINS0_14default_configELb0EPKbPbPKlPlN2at6native12_GLOBAL__N_18offset_tEEE10hipError_tPvRmT1_PNSt15iterator_traitsIS12_E10value_typeET2_T3_PNS13_IS18_E10value_typeET4_jRbjT5_S1E_jjP12ihipStream_tbEUljE_ZNSN_ISO_Lb0ESQ_SR_ST_SU_SY_EESZ_S10_S11_S12_S16_S17_S18_S1B_S1C_jS1D_jS1E_S1E_jjS1G_bEUljE0_EEESZ_S10_S11_S18_S1C_S1E_T6_T7_T9_mT8_S1G_bDpT10_ENKUlT_T0_E_clISt17integral_constantIbLb1EES1T_IbLb0EEEEDaS1P_S1Q_EUlS1P_E_NS1_11comp_targetILNS1_3genE0ELNS1_11target_archE4294967295ELNS1_3gpuE0ELNS1_3repE0EEENS1_30default_config_static_selectorELNS0_4arch9wavefront6targetE0EEEvS12_,comdat
.Lfunc_end1587:
	.size	_ZN7rocprim17ROCPRIM_400000_NS6detail17trampoline_kernelINS0_13select_configILj256ELj13ELNS0_17block_load_methodE3ELS4_3ELS4_3ELNS0_20block_scan_algorithmE0ELj4294967295EEENS1_25partition_config_selectorILNS1_17partition_subalgoE4EjNS0_10empty_typeEbEEZZNS1_14partition_implILS8_4ELb0ES6_15HIP_vector_typeIjLj2EENS0_17counting_iteratorIjlEEPS9_SG_NS0_5tupleIJPjSI_NS0_16reverse_iteratorISI_EEEEENSH_IJSG_SG_SG_EEES9_SI_JZNS1_25segmented_radix_sort_implINS0_14default_configELb0EPKbPbPKlPlN2at6native12_GLOBAL__N_18offset_tEEE10hipError_tPvRmT1_PNSt15iterator_traitsIS12_E10value_typeET2_T3_PNS13_IS18_E10value_typeET4_jRbjT5_S1E_jjP12ihipStream_tbEUljE_ZNSN_ISO_Lb0ESQ_SR_ST_SU_SY_EESZ_S10_S11_S12_S16_S17_S18_S1B_S1C_jS1D_jS1E_S1E_jjS1G_bEUljE0_EEESZ_S10_S11_S18_S1C_S1E_T6_T7_T9_mT8_S1G_bDpT10_ENKUlT_T0_E_clISt17integral_constantIbLb1EES1T_IbLb0EEEEDaS1P_S1Q_EUlS1P_E_NS1_11comp_targetILNS1_3genE0ELNS1_11target_archE4294967295ELNS1_3gpuE0ELNS1_3repE0EEENS1_30default_config_static_selectorELNS0_4arch9wavefront6targetE0EEEvS12_, .Lfunc_end1587-_ZN7rocprim17ROCPRIM_400000_NS6detail17trampoline_kernelINS0_13select_configILj256ELj13ELNS0_17block_load_methodE3ELS4_3ELS4_3ELNS0_20block_scan_algorithmE0ELj4294967295EEENS1_25partition_config_selectorILNS1_17partition_subalgoE4EjNS0_10empty_typeEbEEZZNS1_14partition_implILS8_4ELb0ES6_15HIP_vector_typeIjLj2EENS0_17counting_iteratorIjlEEPS9_SG_NS0_5tupleIJPjSI_NS0_16reverse_iteratorISI_EEEEENSH_IJSG_SG_SG_EEES9_SI_JZNS1_25segmented_radix_sort_implINS0_14default_configELb0EPKbPbPKlPlN2at6native12_GLOBAL__N_18offset_tEEE10hipError_tPvRmT1_PNSt15iterator_traitsIS12_E10value_typeET2_T3_PNS13_IS18_E10value_typeET4_jRbjT5_S1E_jjP12ihipStream_tbEUljE_ZNSN_ISO_Lb0ESQ_SR_ST_SU_SY_EESZ_S10_S11_S12_S16_S17_S18_S1B_S1C_jS1D_jS1E_S1E_jjS1G_bEUljE0_EEESZ_S10_S11_S18_S1C_S1E_T6_T7_T9_mT8_S1G_bDpT10_ENKUlT_T0_E_clISt17integral_constantIbLb1EES1T_IbLb0EEEEDaS1P_S1Q_EUlS1P_E_NS1_11comp_targetILNS1_3genE0ELNS1_11target_archE4294967295ELNS1_3gpuE0ELNS1_3repE0EEENS1_30default_config_static_selectorELNS0_4arch9wavefront6targetE0EEEvS12_
                                        ; -- End function
	.set _ZN7rocprim17ROCPRIM_400000_NS6detail17trampoline_kernelINS0_13select_configILj256ELj13ELNS0_17block_load_methodE3ELS4_3ELS4_3ELNS0_20block_scan_algorithmE0ELj4294967295EEENS1_25partition_config_selectorILNS1_17partition_subalgoE4EjNS0_10empty_typeEbEEZZNS1_14partition_implILS8_4ELb0ES6_15HIP_vector_typeIjLj2EENS0_17counting_iteratorIjlEEPS9_SG_NS0_5tupleIJPjSI_NS0_16reverse_iteratorISI_EEEEENSH_IJSG_SG_SG_EEES9_SI_JZNS1_25segmented_radix_sort_implINS0_14default_configELb0EPKbPbPKlPlN2at6native12_GLOBAL__N_18offset_tEEE10hipError_tPvRmT1_PNSt15iterator_traitsIS12_E10value_typeET2_T3_PNS13_IS18_E10value_typeET4_jRbjT5_S1E_jjP12ihipStream_tbEUljE_ZNSN_ISO_Lb0ESQ_SR_ST_SU_SY_EESZ_S10_S11_S12_S16_S17_S18_S1B_S1C_jS1D_jS1E_S1E_jjS1G_bEUljE0_EEESZ_S10_S11_S18_S1C_S1E_T6_T7_T9_mT8_S1G_bDpT10_ENKUlT_T0_E_clISt17integral_constantIbLb1EES1T_IbLb0EEEEDaS1P_S1Q_EUlS1P_E_NS1_11comp_targetILNS1_3genE0ELNS1_11target_archE4294967295ELNS1_3gpuE0ELNS1_3repE0EEENS1_30default_config_static_selectorELNS0_4arch9wavefront6targetE0EEEvS12_.num_vgpr, 0
	.set _ZN7rocprim17ROCPRIM_400000_NS6detail17trampoline_kernelINS0_13select_configILj256ELj13ELNS0_17block_load_methodE3ELS4_3ELS4_3ELNS0_20block_scan_algorithmE0ELj4294967295EEENS1_25partition_config_selectorILNS1_17partition_subalgoE4EjNS0_10empty_typeEbEEZZNS1_14partition_implILS8_4ELb0ES6_15HIP_vector_typeIjLj2EENS0_17counting_iteratorIjlEEPS9_SG_NS0_5tupleIJPjSI_NS0_16reverse_iteratorISI_EEEEENSH_IJSG_SG_SG_EEES9_SI_JZNS1_25segmented_radix_sort_implINS0_14default_configELb0EPKbPbPKlPlN2at6native12_GLOBAL__N_18offset_tEEE10hipError_tPvRmT1_PNSt15iterator_traitsIS12_E10value_typeET2_T3_PNS13_IS18_E10value_typeET4_jRbjT5_S1E_jjP12ihipStream_tbEUljE_ZNSN_ISO_Lb0ESQ_SR_ST_SU_SY_EESZ_S10_S11_S12_S16_S17_S18_S1B_S1C_jS1D_jS1E_S1E_jjS1G_bEUljE0_EEESZ_S10_S11_S18_S1C_S1E_T6_T7_T9_mT8_S1G_bDpT10_ENKUlT_T0_E_clISt17integral_constantIbLb1EES1T_IbLb0EEEEDaS1P_S1Q_EUlS1P_E_NS1_11comp_targetILNS1_3genE0ELNS1_11target_archE4294967295ELNS1_3gpuE0ELNS1_3repE0EEENS1_30default_config_static_selectorELNS0_4arch9wavefront6targetE0EEEvS12_.num_agpr, 0
	.set _ZN7rocprim17ROCPRIM_400000_NS6detail17trampoline_kernelINS0_13select_configILj256ELj13ELNS0_17block_load_methodE3ELS4_3ELS4_3ELNS0_20block_scan_algorithmE0ELj4294967295EEENS1_25partition_config_selectorILNS1_17partition_subalgoE4EjNS0_10empty_typeEbEEZZNS1_14partition_implILS8_4ELb0ES6_15HIP_vector_typeIjLj2EENS0_17counting_iteratorIjlEEPS9_SG_NS0_5tupleIJPjSI_NS0_16reverse_iteratorISI_EEEEENSH_IJSG_SG_SG_EEES9_SI_JZNS1_25segmented_radix_sort_implINS0_14default_configELb0EPKbPbPKlPlN2at6native12_GLOBAL__N_18offset_tEEE10hipError_tPvRmT1_PNSt15iterator_traitsIS12_E10value_typeET2_T3_PNS13_IS18_E10value_typeET4_jRbjT5_S1E_jjP12ihipStream_tbEUljE_ZNSN_ISO_Lb0ESQ_SR_ST_SU_SY_EESZ_S10_S11_S12_S16_S17_S18_S1B_S1C_jS1D_jS1E_S1E_jjS1G_bEUljE0_EEESZ_S10_S11_S18_S1C_S1E_T6_T7_T9_mT8_S1G_bDpT10_ENKUlT_T0_E_clISt17integral_constantIbLb1EES1T_IbLb0EEEEDaS1P_S1Q_EUlS1P_E_NS1_11comp_targetILNS1_3genE0ELNS1_11target_archE4294967295ELNS1_3gpuE0ELNS1_3repE0EEENS1_30default_config_static_selectorELNS0_4arch9wavefront6targetE0EEEvS12_.numbered_sgpr, 0
	.set _ZN7rocprim17ROCPRIM_400000_NS6detail17trampoline_kernelINS0_13select_configILj256ELj13ELNS0_17block_load_methodE3ELS4_3ELS4_3ELNS0_20block_scan_algorithmE0ELj4294967295EEENS1_25partition_config_selectorILNS1_17partition_subalgoE4EjNS0_10empty_typeEbEEZZNS1_14partition_implILS8_4ELb0ES6_15HIP_vector_typeIjLj2EENS0_17counting_iteratorIjlEEPS9_SG_NS0_5tupleIJPjSI_NS0_16reverse_iteratorISI_EEEEENSH_IJSG_SG_SG_EEES9_SI_JZNS1_25segmented_radix_sort_implINS0_14default_configELb0EPKbPbPKlPlN2at6native12_GLOBAL__N_18offset_tEEE10hipError_tPvRmT1_PNSt15iterator_traitsIS12_E10value_typeET2_T3_PNS13_IS18_E10value_typeET4_jRbjT5_S1E_jjP12ihipStream_tbEUljE_ZNSN_ISO_Lb0ESQ_SR_ST_SU_SY_EESZ_S10_S11_S12_S16_S17_S18_S1B_S1C_jS1D_jS1E_S1E_jjS1G_bEUljE0_EEESZ_S10_S11_S18_S1C_S1E_T6_T7_T9_mT8_S1G_bDpT10_ENKUlT_T0_E_clISt17integral_constantIbLb1EES1T_IbLb0EEEEDaS1P_S1Q_EUlS1P_E_NS1_11comp_targetILNS1_3genE0ELNS1_11target_archE4294967295ELNS1_3gpuE0ELNS1_3repE0EEENS1_30default_config_static_selectorELNS0_4arch9wavefront6targetE0EEEvS12_.num_named_barrier, 0
	.set _ZN7rocprim17ROCPRIM_400000_NS6detail17trampoline_kernelINS0_13select_configILj256ELj13ELNS0_17block_load_methodE3ELS4_3ELS4_3ELNS0_20block_scan_algorithmE0ELj4294967295EEENS1_25partition_config_selectorILNS1_17partition_subalgoE4EjNS0_10empty_typeEbEEZZNS1_14partition_implILS8_4ELb0ES6_15HIP_vector_typeIjLj2EENS0_17counting_iteratorIjlEEPS9_SG_NS0_5tupleIJPjSI_NS0_16reverse_iteratorISI_EEEEENSH_IJSG_SG_SG_EEES9_SI_JZNS1_25segmented_radix_sort_implINS0_14default_configELb0EPKbPbPKlPlN2at6native12_GLOBAL__N_18offset_tEEE10hipError_tPvRmT1_PNSt15iterator_traitsIS12_E10value_typeET2_T3_PNS13_IS18_E10value_typeET4_jRbjT5_S1E_jjP12ihipStream_tbEUljE_ZNSN_ISO_Lb0ESQ_SR_ST_SU_SY_EESZ_S10_S11_S12_S16_S17_S18_S1B_S1C_jS1D_jS1E_S1E_jjS1G_bEUljE0_EEESZ_S10_S11_S18_S1C_S1E_T6_T7_T9_mT8_S1G_bDpT10_ENKUlT_T0_E_clISt17integral_constantIbLb1EES1T_IbLb0EEEEDaS1P_S1Q_EUlS1P_E_NS1_11comp_targetILNS1_3genE0ELNS1_11target_archE4294967295ELNS1_3gpuE0ELNS1_3repE0EEENS1_30default_config_static_selectorELNS0_4arch9wavefront6targetE0EEEvS12_.private_seg_size, 0
	.set _ZN7rocprim17ROCPRIM_400000_NS6detail17trampoline_kernelINS0_13select_configILj256ELj13ELNS0_17block_load_methodE3ELS4_3ELS4_3ELNS0_20block_scan_algorithmE0ELj4294967295EEENS1_25partition_config_selectorILNS1_17partition_subalgoE4EjNS0_10empty_typeEbEEZZNS1_14partition_implILS8_4ELb0ES6_15HIP_vector_typeIjLj2EENS0_17counting_iteratorIjlEEPS9_SG_NS0_5tupleIJPjSI_NS0_16reverse_iteratorISI_EEEEENSH_IJSG_SG_SG_EEES9_SI_JZNS1_25segmented_radix_sort_implINS0_14default_configELb0EPKbPbPKlPlN2at6native12_GLOBAL__N_18offset_tEEE10hipError_tPvRmT1_PNSt15iterator_traitsIS12_E10value_typeET2_T3_PNS13_IS18_E10value_typeET4_jRbjT5_S1E_jjP12ihipStream_tbEUljE_ZNSN_ISO_Lb0ESQ_SR_ST_SU_SY_EESZ_S10_S11_S12_S16_S17_S18_S1B_S1C_jS1D_jS1E_S1E_jjS1G_bEUljE0_EEESZ_S10_S11_S18_S1C_S1E_T6_T7_T9_mT8_S1G_bDpT10_ENKUlT_T0_E_clISt17integral_constantIbLb1EES1T_IbLb0EEEEDaS1P_S1Q_EUlS1P_E_NS1_11comp_targetILNS1_3genE0ELNS1_11target_archE4294967295ELNS1_3gpuE0ELNS1_3repE0EEENS1_30default_config_static_selectorELNS0_4arch9wavefront6targetE0EEEvS12_.uses_vcc, 0
	.set _ZN7rocprim17ROCPRIM_400000_NS6detail17trampoline_kernelINS0_13select_configILj256ELj13ELNS0_17block_load_methodE3ELS4_3ELS4_3ELNS0_20block_scan_algorithmE0ELj4294967295EEENS1_25partition_config_selectorILNS1_17partition_subalgoE4EjNS0_10empty_typeEbEEZZNS1_14partition_implILS8_4ELb0ES6_15HIP_vector_typeIjLj2EENS0_17counting_iteratorIjlEEPS9_SG_NS0_5tupleIJPjSI_NS0_16reverse_iteratorISI_EEEEENSH_IJSG_SG_SG_EEES9_SI_JZNS1_25segmented_radix_sort_implINS0_14default_configELb0EPKbPbPKlPlN2at6native12_GLOBAL__N_18offset_tEEE10hipError_tPvRmT1_PNSt15iterator_traitsIS12_E10value_typeET2_T3_PNS13_IS18_E10value_typeET4_jRbjT5_S1E_jjP12ihipStream_tbEUljE_ZNSN_ISO_Lb0ESQ_SR_ST_SU_SY_EESZ_S10_S11_S12_S16_S17_S18_S1B_S1C_jS1D_jS1E_S1E_jjS1G_bEUljE0_EEESZ_S10_S11_S18_S1C_S1E_T6_T7_T9_mT8_S1G_bDpT10_ENKUlT_T0_E_clISt17integral_constantIbLb1EES1T_IbLb0EEEEDaS1P_S1Q_EUlS1P_E_NS1_11comp_targetILNS1_3genE0ELNS1_11target_archE4294967295ELNS1_3gpuE0ELNS1_3repE0EEENS1_30default_config_static_selectorELNS0_4arch9wavefront6targetE0EEEvS12_.uses_flat_scratch, 0
	.set _ZN7rocprim17ROCPRIM_400000_NS6detail17trampoline_kernelINS0_13select_configILj256ELj13ELNS0_17block_load_methodE3ELS4_3ELS4_3ELNS0_20block_scan_algorithmE0ELj4294967295EEENS1_25partition_config_selectorILNS1_17partition_subalgoE4EjNS0_10empty_typeEbEEZZNS1_14partition_implILS8_4ELb0ES6_15HIP_vector_typeIjLj2EENS0_17counting_iteratorIjlEEPS9_SG_NS0_5tupleIJPjSI_NS0_16reverse_iteratorISI_EEEEENSH_IJSG_SG_SG_EEES9_SI_JZNS1_25segmented_radix_sort_implINS0_14default_configELb0EPKbPbPKlPlN2at6native12_GLOBAL__N_18offset_tEEE10hipError_tPvRmT1_PNSt15iterator_traitsIS12_E10value_typeET2_T3_PNS13_IS18_E10value_typeET4_jRbjT5_S1E_jjP12ihipStream_tbEUljE_ZNSN_ISO_Lb0ESQ_SR_ST_SU_SY_EESZ_S10_S11_S12_S16_S17_S18_S1B_S1C_jS1D_jS1E_S1E_jjS1G_bEUljE0_EEESZ_S10_S11_S18_S1C_S1E_T6_T7_T9_mT8_S1G_bDpT10_ENKUlT_T0_E_clISt17integral_constantIbLb1EES1T_IbLb0EEEEDaS1P_S1Q_EUlS1P_E_NS1_11comp_targetILNS1_3genE0ELNS1_11target_archE4294967295ELNS1_3gpuE0ELNS1_3repE0EEENS1_30default_config_static_selectorELNS0_4arch9wavefront6targetE0EEEvS12_.has_dyn_sized_stack, 0
	.set _ZN7rocprim17ROCPRIM_400000_NS6detail17trampoline_kernelINS0_13select_configILj256ELj13ELNS0_17block_load_methodE3ELS4_3ELS4_3ELNS0_20block_scan_algorithmE0ELj4294967295EEENS1_25partition_config_selectorILNS1_17partition_subalgoE4EjNS0_10empty_typeEbEEZZNS1_14partition_implILS8_4ELb0ES6_15HIP_vector_typeIjLj2EENS0_17counting_iteratorIjlEEPS9_SG_NS0_5tupleIJPjSI_NS0_16reverse_iteratorISI_EEEEENSH_IJSG_SG_SG_EEES9_SI_JZNS1_25segmented_radix_sort_implINS0_14default_configELb0EPKbPbPKlPlN2at6native12_GLOBAL__N_18offset_tEEE10hipError_tPvRmT1_PNSt15iterator_traitsIS12_E10value_typeET2_T3_PNS13_IS18_E10value_typeET4_jRbjT5_S1E_jjP12ihipStream_tbEUljE_ZNSN_ISO_Lb0ESQ_SR_ST_SU_SY_EESZ_S10_S11_S12_S16_S17_S18_S1B_S1C_jS1D_jS1E_S1E_jjS1G_bEUljE0_EEESZ_S10_S11_S18_S1C_S1E_T6_T7_T9_mT8_S1G_bDpT10_ENKUlT_T0_E_clISt17integral_constantIbLb1EES1T_IbLb0EEEEDaS1P_S1Q_EUlS1P_E_NS1_11comp_targetILNS1_3genE0ELNS1_11target_archE4294967295ELNS1_3gpuE0ELNS1_3repE0EEENS1_30default_config_static_selectorELNS0_4arch9wavefront6targetE0EEEvS12_.has_recursion, 0
	.set _ZN7rocprim17ROCPRIM_400000_NS6detail17trampoline_kernelINS0_13select_configILj256ELj13ELNS0_17block_load_methodE3ELS4_3ELS4_3ELNS0_20block_scan_algorithmE0ELj4294967295EEENS1_25partition_config_selectorILNS1_17partition_subalgoE4EjNS0_10empty_typeEbEEZZNS1_14partition_implILS8_4ELb0ES6_15HIP_vector_typeIjLj2EENS0_17counting_iteratorIjlEEPS9_SG_NS0_5tupleIJPjSI_NS0_16reverse_iteratorISI_EEEEENSH_IJSG_SG_SG_EEES9_SI_JZNS1_25segmented_radix_sort_implINS0_14default_configELb0EPKbPbPKlPlN2at6native12_GLOBAL__N_18offset_tEEE10hipError_tPvRmT1_PNSt15iterator_traitsIS12_E10value_typeET2_T3_PNS13_IS18_E10value_typeET4_jRbjT5_S1E_jjP12ihipStream_tbEUljE_ZNSN_ISO_Lb0ESQ_SR_ST_SU_SY_EESZ_S10_S11_S12_S16_S17_S18_S1B_S1C_jS1D_jS1E_S1E_jjS1G_bEUljE0_EEESZ_S10_S11_S18_S1C_S1E_T6_T7_T9_mT8_S1G_bDpT10_ENKUlT_T0_E_clISt17integral_constantIbLb1EES1T_IbLb0EEEEDaS1P_S1Q_EUlS1P_E_NS1_11comp_targetILNS1_3genE0ELNS1_11target_archE4294967295ELNS1_3gpuE0ELNS1_3repE0EEENS1_30default_config_static_selectorELNS0_4arch9wavefront6targetE0EEEvS12_.has_indirect_call, 0
	.section	.AMDGPU.csdata,"",@progbits
; Kernel info:
; codeLenInByte = 0
; TotalNumSgprs: 0
; NumVgprs: 0
; ScratchSize: 0
; MemoryBound: 0
; FloatMode: 240
; IeeeMode: 1
; LDSByteSize: 0 bytes/workgroup (compile time only)
; SGPRBlocks: 0
; VGPRBlocks: 0
; NumSGPRsForWavesPerEU: 1
; NumVGPRsForWavesPerEU: 1
; Occupancy: 16
; WaveLimiterHint : 0
; COMPUTE_PGM_RSRC2:SCRATCH_EN: 0
; COMPUTE_PGM_RSRC2:USER_SGPR: 2
; COMPUTE_PGM_RSRC2:TRAP_HANDLER: 0
; COMPUTE_PGM_RSRC2:TGID_X_EN: 1
; COMPUTE_PGM_RSRC2:TGID_Y_EN: 0
; COMPUTE_PGM_RSRC2:TGID_Z_EN: 0
; COMPUTE_PGM_RSRC2:TIDIG_COMP_CNT: 0
	.section	.text._ZN7rocprim17ROCPRIM_400000_NS6detail17trampoline_kernelINS0_13select_configILj256ELj13ELNS0_17block_load_methodE3ELS4_3ELS4_3ELNS0_20block_scan_algorithmE0ELj4294967295EEENS1_25partition_config_selectorILNS1_17partition_subalgoE4EjNS0_10empty_typeEbEEZZNS1_14partition_implILS8_4ELb0ES6_15HIP_vector_typeIjLj2EENS0_17counting_iteratorIjlEEPS9_SG_NS0_5tupleIJPjSI_NS0_16reverse_iteratorISI_EEEEENSH_IJSG_SG_SG_EEES9_SI_JZNS1_25segmented_radix_sort_implINS0_14default_configELb0EPKbPbPKlPlN2at6native12_GLOBAL__N_18offset_tEEE10hipError_tPvRmT1_PNSt15iterator_traitsIS12_E10value_typeET2_T3_PNS13_IS18_E10value_typeET4_jRbjT5_S1E_jjP12ihipStream_tbEUljE_ZNSN_ISO_Lb0ESQ_SR_ST_SU_SY_EESZ_S10_S11_S12_S16_S17_S18_S1B_S1C_jS1D_jS1E_S1E_jjS1G_bEUljE0_EEESZ_S10_S11_S18_S1C_S1E_T6_T7_T9_mT8_S1G_bDpT10_ENKUlT_T0_E_clISt17integral_constantIbLb1EES1T_IbLb0EEEEDaS1P_S1Q_EUlS1P_E_NS1_11comp_targetILNS1_3genE5ELNS1_11target_archE942ELNS1_3gpuE9ELNS1_3repE0EEENS1_30default_config_static_selectorELNS0_4arch9wavefront6targetE0EEEvS12_,"axG",@progbits,_ZN7rocprim17ROCPRIM_400000_NS6detail17trampoline_kernelINS0_13select_configILj256ELj13ELNS0_17block_load_methodE3ELS4_3ELS4_3ELNS0_20block_scan_algorithmE0ELj4294967295EEENS1_25partition_config_selectorILNS1_17partition_subalgoE4EjNS0_10empty_typeEbEEZZNS1_14partition_implILS8_4ELb0ES6_15HIP_vector_typeIjLj2EENS0_17counting_iteratorIjlEEPS9_SG_NS0_5tupleIJPjSI_NS0_16reverse_iteratorISI_EEEEENSH_IJSG_SG_SG_EEES9_SI_JZNS1_25segmented_radix_sort_implINS0_14default_configELb0EPKbPbPKlPlN2at6native12_GLOBAL__N_18offset_tEEE10hipError_tPvRmT1_PNSt15iterator_traitsIS12_E10value_typeET2_T3_PNS13_IS18_E10value_typeET4_jRbjT5_S1E_jjP12ihipStream_tbEUljE_ZNSN_ISO_Lb0ESQ_SR_ST_SU_SY_EESZ_S10_S11_S12_S16_S17_S18_S1B_S1C_jS1D_jS1E_S1E_jjS1G_bEUljE0_EEESZ_S10_S11_S18_S1C_S1E_T6_T7_T9_mT8_S1G_bDpT10_ENKUlT_T0_E_clISt17integral_constantIbLb1EES1T_IbLb0EEEEDaS1P_S1Q_EUlS1P_E_NS1_11comp_targetILNS1_3genE5ELNS1_11target_archE942ELNS1_3gpuE9ELNS1_3repE0EEENS1_30default_config_static_selectorELNS0_4arch9wavefront6targetE0EEEvS12_,comdat
	.globl	_ZN7rocprim17ROCPRIM_400000_NS6detail17trampoline_kernelINS0_13select_configILj256ELj13ELNS0_17block_load_methodE3ELS4_3ELS4_3ELNS0_20block_scan_algorithmE0ELj4294967295EEENS1_25partition_config_selectorILNS1_17partition_subalgoE4EjNS0_10empty_typeEbEEZZNS1_14partition_implILS8_4ELb0ES6_15HIP_vector_typeIjLj2EENS0_17counting_iteratorIjlEEPS9_SG_NS0_5tupleIJPjSI_NS0_16reverse_iteratorISI_EEEEENSH_IJSG_SG_SG_EEES9_SI_JZNS1_25segmented_radix_sort_implINS0_14default_configELb0EPKbPbPKlPlN2at6native12_GLOBAL__N_18offset_tEEE10hipError_tPvRmT1_PNSt15iterator_traitsIS12_E10value_typeET2_T3_PNS13_IS18_E10value_typeET4_jRbjT5_S1E_jjP12ihipStream_tbEUljE_ZNSN_ISO_Lb0ESQ_SR_ST_SU_SY_EESZ_S10_S11_S12_S16_S17_S18_S1B_S1C_jS1D_jS1E_S1E_jjS1G_bEUljE0_EEESZ_S10_S11_S18_S1C_S1E_T6_T7_T9_mT8_S1G_bDpT10_ENKUlT_T0_E_clISt17integral_constantIbLb1EES1T_IbLb0EEEEDaS1P_S1Q_EUlS1P_E_NS1_11comp_targetILNS1_3genE5ELNS1_11target_archE942ELNS1_3gpuE9ELNS1_3repE0EEENS1_30default_config_static_selectorELNS0_4arch9wavefront6targetE0EEEvS12_ ; -- Begin function _ZN7rocprim17ROCPRIM_400000_NS6detail17trampoline_kernelINS0_13select_configILj256ELj13ELNS0_17block_load_methodE3ELS4_3ELS4_3ELNS0_20block_scan_algorithmE0ELj4294967295EEENS1_25partition_config_selectorILNS1_17partition_subalgoE4EjNS0_10empty_typeEbEEZZNS1_14partition_implILS8_4ELb0ES6_15HIP_vector_typeIjLj2EENS0_17counting_iteratorIjlEEPS9_SG_NS0_5tupleIJPjSI_NS0_16reverse_iteratorISI_EEEEENSH_IJSG_SG_SG_EEES9_SI_JZNS1_25segmented_radix_sort_implINS0_14default_configELb0EPKbPbPKlPlN2at6native12_GLOBAL__N_18offset_tEEE10hipError_tPvRmT1_PNSt15iterator_traitsIS12_E10value_typeET2_T3_PNS13_IS18_E10value_typeET4_jRbjT5_S1E_jjP12ihipStream_tbEUljE_ZNSN_ISO_Lb0ESQ_SR_ST_SU_SY_EESZ_S10_S11_S12_S16_S17_S18_S1B_S1C_jS1D_jS1E_S1E_jjS1G_bEUljE0_EEESZ_S10_S11_S18_S1C_S1E_T6_T7_T9_mT8_S1G_bDpT10_ENKUlT_T0_E_clISt17integral_constantIbLb1EES1T_IbLb0EEEEDaS1P_S1Q_EUlS1P_E_NS1_11comp_targetILNS1_3genE5ELNS1_11target_archE942ELNS1_3gpuE9ELNS1_3repE0EEENS1_30default_config_static_selectorELNS0_4arch9wavefront6targetE0EEEvS12_
	.p2align	8
	.type	_ZN7rocprim17ROCPRIM_400000_NS6detail17trampoline_kernelINS0_13select_configILj256ELj13ELNS0_17block_load_methodE3ELS4_3ELS4_3ELNS0_20block_scan_algorithmE0ELj4294967295EEENS1_25partition_config_selectorILNS1_17partition_subalgoE4EjNS0_10empty_typeEbEEZZNS1_14partition_implILS8_4ELb0ES6_15HIP_vector_typeIjLj2EENS0_17counting_iteratorIjlEEPS9_SG_NS0_5tupleIJPjSI_NS0_16reverse_iteratorISI_EEEEENSH_IJSG_SG_SG_EEES9_SI_JZNS1_25segmented_radix_sort_implINS0_14default_configELb0EPKbPbPKlPlN2at6native12_GLOBAL__N_18offset_tEEE10hipError_tPvRmT1_PNSt15iterator_traitsIS12_E10value_typeET2_T3_PNS13_IS18_E10value_typeET4_jRbjT5_S1E_jjP12ihipStream_tbEUljE_ZNSN_ISO_Lb0ESQ_SR_ST_SU_SY_EESZ_S10_S11_S12_S16_S17_S18_S1B_S1C_jS1D_jS1E_S1E_jjS1G_bEUljE0_EEESZ_S10_S11_S18_S1C_S1E_T6_T7_T9_mT8_S1G_bDpT10_ENKUlT_T0_E_clISt17integral_constantIbLb1EES1T_IbLb0EEEEDaS1P_S1Q_EUlS1P_E_NS1_11comp_targetILNS1_3genE5ELNS1_11target_archE942ELNS1_3gpuE9ELNS1_3repE0EEENS1_30default_config_static_selectorELNS0_4arch9wavefront6targetE0EEEvS12_,@function
_ZN7rocprim17ROCPRIM_400000_NS6detail17trampoline_kernelINS0_13select_configILj256ELj13ELNS0_17block_load_methodE3ELS4_3ELS4_3ELNS0_20block_scan_algorithmE0ELj4294967295EEENS1_25partition_config_selectorILNS1_17partition_subalgoE4EjNS0_10empty_typeEbEEZZNS1_14partition_implILS8_4ELb0ES6_15HIP_vector_typeIjLj2EENS0_17counting_iteratorIjlEEPS9_SG_NS0_5tupleIJPjSI_NS0_16reverse_iteratorISI_EEEEENSH_IJSG_SG_SG_EEES9_SI_JZNS1_25segmented_radix_sort_implINS0_14default_configELb0EPKbPbPKlPlN2at6native12_GLOBAL__N_18offset_tEEE10hipError_tPvRmT1_PNSt15iterator_traitsIS12_E10value_typeET2_T3_PNS13_IS18_E10value_typeET4_jRbjT5_S1E_jjP12ihipStream_tbEUljE_ZNSN_ISO_Lb0ESQ_SR_ST_SU_SY_EESZ_S10_S11_S12_S16_S17_S18_S1B_S1C_jS1D_jS1E_S1E_jjS1G_bEUljE0_EEESZ_S10_S11_S18_S1C_S1E_T6_T7_T9_mT8_S1G_bDpT10_ENKUlT_T0_E_clISt17integral_constantIbLb1EES1T_IbLb0EEEEDaS1P_S1Q_EUlS1P_E_NS1_11comp_targetILNS1_3genE5ELNS1_11target_archE942ELNS1_3gpuE9ELNS1_3repE0EEENS1_30default_config_static_selectorELNS0_4arch9wavefront6targetE0EEEvS12_: ; @_ZN7rocprim17ROCPRIM_400000_NS6detail17trampoline_kernelINS0_13select_configILj256ELj13ELNS0_17block_load_methodE3ELS4_3ELS4_3ELNS0_20block_scan_algorithmE0ELj4294967295EEENS1_25partition_config_selectorILNS1_17partition_subalgoE4EjNS0_10empty_typeEbEEZZNS1_14partition_implILS8_4ELb0ES6_15HIP_vector_typeIjLj2EENS0_17counting_iteratorIjlEEPS9_SG_NS0_5tupleIJPjSI_NS0_16reverse_iteratorISI_EEEEENSH_IJSG_SG_SG_EEES9_SI_JZNS1_25segmented_radix_sort_implINS0_14default_configELb0EPKbPbPKlPlN2at6native12_GLOBAL__N_18offset_tEEE10hipError_tPvRmT1_PNSt15iterator_traitsIS12_E10value_typeET2_T3_PNS13_IS18_E10value_typeET4_jRbjT5_S1E_jjP12ihipStream_tbEUljE_ZNSN_ISO_Lb0ESQ_SR_ST_SU_SY_EESZ_S10_S11_S12_S16_S17_S18_S1B_S1C_jS1D_jS1E_S1E_jjS1G_bEUljE0_EEESZ_S10_S11_S18_S1C_S1E_T6_T7_T9_mT8_S1G_bDpT10_ENKUlT_T0_E_clISt17integral_constantIbLb1EES1T_IbLb0EEEEDaS1P_S1Q_EUlS1P_E_NS1_11comp_targetILNS1_3genE5ELNS1_11target_archE942ELNS1_3gpuE9ELNS1_3repE0EEENS1_30default_config_static_selectorELNS0_4arch9wavefront6targetE0EEEvS12_
; %bb.0:
	.section	.rodata,"a",@progbits
	.p2align	6, 0x0
	.amdhsa_kernel _ZN7rocprim17ROCPRIM_400000_NS6detail17trampoline_kernelINS0_13select_configILj256ELj13ELNS0_17block_load_methodE3ELS4_3ELS4_3ELNS0_20block_scan_algorithmE0ELj4294967295EEENS1_25partition_config_selectorILNS1_17partition_subalgoE4EjNS0_10empty_typeEbEEZZNS1_14partition_implILS8_4ELb0ES6_15HIP_vector_typeIjLj2EENS0_17counting_iteratorIjlEEPS9_SG_NS0_5tupleIJPjSI_NS0_16reverse_iteratorISI_EEEEENSH_IJSG_SG_SG_EEES9_SI_JZNS1_25segmented_radix_sort_implINS0_14default_configELb0EPKbPbPKlPlN2at6native12_GLOBAL__N_18offset_tEEE10hipError_tPvRmT1_PNSt15iterator_traitsIS12_E10value_typeET2_T3_PNS13_IS18_E10value_typeET4_jRbjT5_S1E_jjP12ihipStream_tbEUljE_ZNSN_ISO_Lb0ESQ_SR_ST_SU_SY_EESZ_S10_S11_S12_S16_S17_S18_S1B_S1C_jS1D_jS1E_S1E_jjS1G_bEUljE0_EEESZ_S10_S11_S18_S1C_S1E_T6_T7_T9_mT8_S1G_bDpT10_ENKUlT_T0_E_clISt17integral_constantIbLb1EES1T_IbLb0EEEEDaS1P_S1Q_EUlS1P_E_NS1_11comp_targetILNS1_3genE5ELNS1_11target_archE942ELNS1_3gpuE9ELNS1_3repE0EEENS1_30default_config_static_selectorELNS0_4arch9wavefront6targetE0EEEvS12_
		.amdhsa_group_segment_fixed_size 0
		.amdhsa_private_segment_fixed_size 0
		.amdhsa_kernarg_size 176
		.amdhsa_user_sgpr_count 2
		.amdhsa_user_sgpr_dispatch_ptr 0
		.amdhsa_user_sgpr_queue_ptr 0
		.amdhsa_user_sgpr_kernarg_segment_ptr 1
		.amdhsa_user_sgpr_dispatch_id 0
		.amdhsa_user_sgpr_private_segment_size 0
		.amdhsa_wavefront_size32 1
		.amdhsa_uses_dynamic_stack 0
		.amdhsa_enable_private_segment 0
		.amdhsa_system_sgpr_workgroup_id_x 1
		.amdhsa_system_sgpr_workgroup_id_y 0
		.amdhsa_system_sgpr_workgroup_id_z 0
		.amdhsa_system_sgpr_workgroup_info 0
		.amdhsa_system_vgpr_workitem_id 0
		.amdhsa_next_free_vgpr 1
		.amdhsa_next_free_sgpr 1
		.amdhsa_reserve_vcc 0
		.amdhsa_float_round_mode_32 0
		.amdhsa_float_round_mode_16_64 0
		.amdhsa_float_denorm_mode_32 3
		.amdhsa_float_denorm_mode_16_64 3
		.amdhsa_fp16_overflow 0
		.amdhsa_workgroup_processor_mode 1
		.amdhsa_memory_ordered 1
		.amdhsa_forward_progress 1
		.amdhsa_inst_pref_size 0
		.amdhsa_round_robin_scheduling 0
		.amdhsa_exception_fp_ieee_invalid_op 0
		.amdhsa_exception_fp_denorm_src 0
		.amdhsa_exception_fp_ieee_div_zero 0
		.amdhsa_exception_fp_ieee_overflow 0
		.amdhsa_exception_fp_ieee_underflow 0
		.amdhsa_exception_fp_ieee_inexact 0
		.amdhsa_exception_int_div_zero 0
	.end_amdhsa_kernel
	.section	.text._ZN7rocprim17ROCPRIM_400000_NS6detail17trampoline_kernelINS0_13select_configILj256ELj13ELNS0_17block_load_methodE3ELS4_3ELS4_3ELNS0_20block_scan_algorithmE0ELj4294967295EEENS1_25partition_config_selectorILNS1_17partition_subalgoE4EjNS0_10empty_typeEbEEZZNS1_14partition_implILS8_4ELb0ES6_15HIP_vector_typeIjLj2EENS0_17counting_iteratorIjlEEPS9_SG_NS0_5tupleIJPjSI_NS0_16reverse_iteratorISI_EEEEENSH_IJSG_SG_SG_EEES9_SI_JZNS1_25segmented_radix_sort_implINS0_14default_configELb0EPKbPbPKlPlN2at6native12_GLOBAL__N_18offset_tEEE10hipError_tPvRmT1_PNSt15iterator_traitsIS12_E10value_typeET2_T3_PNS13_IS18_E10value_typeET4_jRbjT5_S1E_jjP12ihipStream_tbEUljE_ZNSN_ISO_Lb0ESQ_SR_ST_SU_SY_EESZ_S10_S11_S12_S16_S17_S18_S1B_S1C_jS1D_jS1E_S1E_jjS1G_bEUljE0_EEESZ_S10_S11_S18_S1C_S1E_T6_T7_T9_mT8_S1G_bDpT10_ENKUlT_T0_E_clISt17integral_constantIbLb1EES1T_IbLb0EEEEDaS1P_S1Q_EUlS1P_E_NS1_11comp_targetILNS1_3genE5ELNS1_11target_archE942ELNS1_3gpuE9ELNS1_3repE0EEENS1_30default_config_static_selectorELNS0_4arch9wavefront6targetE0EEEvS12_,"axG",@progbits,_ZN7rocprim17ROCPRIM_400000_NS6detail17trampoline_kernelINS0_13select_configILj256ELj13ELNS0_17block_load_methodE3ELS4_3ELS4_3ELNS0_20block_scan_algorithmE0ELj4294967295EEENS1_25partition_config_selectorILNS1_17partition_subalgoE4EjNS0_10empty_typeEbEEZZNS1_14partition_implILS8_4ELb0ES6_15HIP_vector_typeIjLj2EENS0_17counting_iteratorIjlEEPS9_SG_NS0_5tupleIJPjSI_NS0_16reverse_iteratorISI_EEEEENSH_IJSG_SG_SG_EEES9_SI_JZNS1_25segmented_radix_sort_implINS0_14default_configELb0EPKbPbPKlPlN2at6native12_GLOBAL__N_18offset_tEEE10hipError_tPvRmT1_PNSt15iterator_traitsIS12_E10value_typeET2_T3_PNS13_IS18_E10value_typeET4_jRbjT5_S1E_jjP12ihipStream_tbEUljE_ZNSN_ISO_Lb0ESQ_SR_ST_SU_SY_EESZ_S10_S11_S12_S16_S17_S18_S1B_S1C_jS1D_jS1E_S1E_jjS1G_bEUljE0_EEESZ_S10_S11_S18_S1C_S1E_T6_T7_T9_mT8_S1G_bDpT10_ENKUlT_T0_E_clISt17integral_constantIbLb1EES1T_IbLb0EEEEDaS1P_S1Q_EUlS1P_E_NS1_11comp_targetILNS1_3genE5ELNS1_11target_archE942ELNS1_3gpuE9ELNS1_3repE0EEENS1_30default_config_static_selectorELNS0_4arch9wavefront6targetE0EEEvS12_,comdat
.Lfunc_end1588:
	.size	_ZN7rocprim17ROCPRIM_400000_NS6detail17trampoline_kernelINS0_13select_configILj256ELj13ELNS0_17block_load_methodE3ELS4_3ELS4_3ELNS0_20block_scan_algorithmE0ELj4294967295EEENS1_25partition_config_selectorILNS1_17partition_subalgoE4EjNS0_10empty_typeEbEEZZNS1_14partition_implILS8_4ELb0ES6_15HIP_vector_typeIjLj2EENS0_17counting_iteratorIjlEEPS9_SG_NS0_5tupleIJPjSI_NS0_16reverse_iteratorISI_EEEEENSH_IJSG_SG_SG_EEES9_SI_JZNS1_25segmented_radix_sort_implINS0_14default_configELb0EPKbPbPKlPlN2at6native12_GLOBAL__N_18offset_tEEE10hipError_tPvRmT1_PNSt15iterator_traitsIS12_E10value_typeET2_T3_PNS13_IS18_E10value_typeET4_jRbjT5_S1E_jjP12ihipStream_tbEUljE_ZNSN_ISO_Lb0ESQ_SR_ST_SU_SY_EESZ_S10_S11_S12_S16_S17_S18_S1B_S1C_jS1D_jS1E_S1E_jjS1G_bEUljE0_EEESZ_S10_S11_S18_S1C_S1E_T6_T7_T9_mT8_S1G_bDpT10_ENKUlT_T0_E_clISt17integral_constantIbLb1EES1T_IbLb0EEEEDaS1P_S1Q_EUlS1P_E_NS1_11comp_targetILNS1_3genE5ELNS1_11target_archE942ELNS1_3gpuE9ELNS1_3repE0EEENS1_30default_config_static_selectorELNS0_4arch9wavefront6targetE0EEEvS12_, .Lfunc_end1588-_ZN7rocprim17ROCPRIM_400000_NS6detail17trampoline_kernelINS0_13select_configILj256ELj13ELNS0_17block_load_methodE3ELS4_3ELS4_3ELNS0_20block_scan_algorithmE0ELj4294967295EEENS1_25partition_config_selectorILNS1_17partition_subalgoE4EjNS0_10empty_typeEbEEZZNS1_14partition_implILS8_4ELb0ES6_15HIP_vector_typeIjLj2EENS0_17counting_iteratorIjlEEPS9_SG_NS0_5tupleIJPjSI_NS0_16reverse_iteratorISI_EEEEENSH_IJSG_SG_SG_EEES9_SI_JZNS1_25segmented_radix_sort_implINS0_14default_configELb0EPKbPbPKlPlN2at6native12_GLOBAL__N_18offset_tEEE10hipError_tPvRmT1_PNSt15iterator_traitsIS12_E10value_typeET2_T3_PNS13_IS18_E10value_typeET4_jRbjT5_S1E_jjP12ihipStream_tbEUljE_ZNSN_ISO_Lb0ESQ_SR_ST_SU_SY_EESZ_S10_S11_S12_S16_S17_S18_S1B_S1C_jS1D_jS1E_S1E_jjS1G_bEUljE0_EEESZ_S10_S11_S18_S1C_S1E_T6_T7_T9_mT8_S1G_bDpT10_ENKUlT_T0_E_clISt17integral_constantIbLb1EES1T_IbLb0EEEEDaS1P_S1Q_EUlS1P_E_NS1_11comp_targetILNS1_3genE5ELNS1_11target_archE942ELNS1_3gpuE9ELNS1_3repE0EEENS1_30default_config_static_selectorELNS0_4arch9wavefront6targetE0EEEvS12_
                                        ; -- End function
	.set _ZN7rocprim17ROCPRIM_400000_NS6detail17trampoline_kernelINS0_13select_configILj256ELj13ELNS0_17block_load_methodE3ELS4_3ELS4_3ELNS0_20block_scan_algorithmE0ELj4294967295EEENS1_25partition_config_selectorILNS1_17partition_subalgoE4EjNS0_10empty_typeEbEEZZNS1_14partition_implILS8_4ELb0ES6_15HIP_vector_typeIjLj2EENS0_17counting_iteratorIjlEEPS9_SG_NS0_5tupleIJPjSI_NS0_16reverse_iteratorISI_EEEEENSH_IJSG_SG_SG_EEES9_SI_JZNS1_25segmented_radix_sort_implINS0_14default_configELb0EPKbPbPKlPlN2at6native12_GLOBAL__N_18offset_tEEE10hipError_tPvRmT1_PNSt15iterator_traitsIS12_E10value_typeET2_T3_PNS13_IS18_E10value_typeET4_jRbjT5_S1E_jjP12ihipStream_tbEUljE_ZNSN_ISO_Lb0ESQ_SR_ST_SU_SY_EESZ_S10_S11_S12_S16_S17_S18_S1B_S1C_jS1D_jS1E_S1E_jjS1G_bEUljE0_EEESZ_S10_S11_S18_S1C_S1E_T6_T7_T9_mT8_S1G_bDpT10_ENKUlT_T0_E_clISt17integral_constantIbLb1EES1T_IbLb0EEEEDaS1P_S1Q_EUlS1P_E_NS1_11comp_targetILNS1_3genE5ELNS1_11target_archE942ELNS1_3gpuE9ELNS1_3repE0EEENS1_30default_config_static_selectorELNS0_4arch9wavefront6targetE0EEEvS12_.num_vgpr, 0
	.set _ZN7rocprim17ROCPRIM_400000_NS6detail17trampoline_kernelINS0_13select_configILj256ELj13ELNS0_17block_load_methodE3ELS4_3ELS4_3ELNS0_20block_scan_algorithmE0ELj4294967295EEENS1_25partition_config_selectorILNS1_17partition_subalgoE4EjNS0_10empty_typeEbEEZZNS1_14partition_implILS8_4ELb0ES6_15HIP_vector_typeIjLj2EENS0_17counting_iteratorIjlEEPS9_SG_NS0_5tupleIJPjSI_NS0_16reverse_iteratorISI_EEEEENSH_IJSG_SG_SG_EEES9_SI_JZNS1_25segmented_radix_sort_implINS0_14default_configELb0EPKbPbPKlPlN2at6native12_GLOBAL__N_18offset_tEEE10hipError_tPvRmT1_PNSt15iterator_traitsIS12_E10value_typeET2_T3_PNS13_IS18_E10value_typeET4_jRbjT5_S1E_jjP12ihipStream_tbEUljE_ZNSN_ISO_Lb0ESQ_SR_ST_SU_SY_EESZ_S10_S11_S12_S16_S17_S18_S1B_S1C_jS1D_jS1E_S1E_jjS1G_bEUljE0_EEESZ_S10_S11_S18_S1C_S1E_T6_T7_T9_mT8_S1G_bDpT10_ENKUlT_T0_E_clISt17integral_constantIbLb1EES1T_IbLb0EEEEDaS1P_S1Q_EUlS1P_E_NS1_11comp_targetILNS1_3genE5ELNS1_11target_archE942ELNS1_3gpuE9ELNS1_3repE0EEENS1_30default_config_static_selectorELNS0_4arch9wavefront6targetE0EEEvS12_.num_agpr, 0
	.set _ZN7rocprim17ROCPRIM_400000_NS6detail17trampoline_kernelINS0_13select_configILj256ELj13ELNS0_17block_load_methodE3ELS4_3ELS4_3ELNS0_20block_scan_algorithmE0ELj4294967295EEENS1_25partition_config_selectorILNS1_17partition_subalgoE4EjNS0_10empty_typeEbEEZZNS1_14partition_implILS8_4ELb0ES6_15HIP_vector_typeIjLj2EENS0_17counting_iteratorIjlEEPS9_SG_NS0_5tupleIJPjSI_NS0_16reverse_iteratorISI_EEEEENSH_IJSG_SG_SG_EEES9_SI_JZNS1_25segmented_radix_sort_implINS0_14default_configELb0EPKbPbPKlPlN2at6native12_GLOBAL__N_18offset_tEEE10hipError_tPvRmT1_PNSt15iterator_traitsIS12_E10value_typeET2_T3_PNS13_IS18_E10value_typeET4_jRbjT5_S1E_jjP12ihipStream_tbEUljE_ZNSN_ISO_Lb0ESQ_SR_ST_SU_SY_EESZ_S10_S11_S12_S16_S17_S18_S1B_S1C_jS1D_jS1E_S1E_jjS1G_bEUljE0_EEESZ_S10_S11_S18_S1C_S1E_T6_T7_T9_mT8_S1G_bDpT10_ENKUlT_T0_E_clISt17integral_constantIbLb1EES1T_IbLb0EEEEDaS1P_S1Q_EUlS1P_E_NS1_11comp_targetILNS1_3genE5ELNS1_11target_archE942ELNS1_3gpuE9ELNS1_3repE0EEENS1_30default_config_static_selectorELNS0_4arch9wavefront6targetE0EEEvS12_.numbered_sgpr, 0
	.set _ZN7rocprim17ROCPRIM_400000_NS6detail17trampoline_kernelINS0_13select_configILj256ELj13ELNS0_17block_load_methodE3ELS4_3ELS4_3ELNS0_20block_scan_algorithmE0ELj4294967295EEENS1_25partition_config_selectorILNS1_17partition_subalgoE4EjNS0_10empty_typeEbEEZZNS1_14partition_implILS8_4ELb0ES6_15HIP_vector_typeIjLj2EENS0_17counting_iteratorIjlEEPS9_SG_NS0_5tupleIJPjSI_NS0_16reverse_iteratorISI_EEEEENSH_IJSG_SG_SG_EEES9_SI_JZNS1_25segmented_radix_sort_implINS0_14default_configELb0EPKbPbPKlPlN2at6native12_GLOBAL__N_18offset_tEEE10hipError_tPvRmT1_PNSt15iterator_traitsIS12_E10value_typeET2_T3_PNS13_IS18_E10value_typeET4_jRbjT5_S1E_jjP12ihipStream_tbEUljE_ZNSN_ISO_Lb0ESQ_SR_ST_SU_SY_EESZ_S10_S11_S12_S16_S17_S18_S1B_S1C_jS1D_jS1E_S1E_jjS1G_bEUljE0_EEESZ_S10_S11_S18_S1C_S1E_T6_T7_T9_mT8_S1G_bDpT10_ENKUlT_T0_E_clISt17integral_constantIbLb1EES1T_IbLb0EEEEDaS1P_S1Q_EUlS1P_E_NS1_11comp_targetILNS1_3genE5ELNS1_11target_archE942ELNS1_3gpuE9ELNS1_3repE0EEENS1_30default_config_static_selectorELNS0_4arch9wavefront6targetE0EEEvS12_.num_named_barrier, 0
	.set _ZN7rocprim17ROCPRIM_400000_NS6detail17trampoline_kernelINS0_13select_configILj256ELj13ELNS0_17block_load_methodE3ELS4_3ELS4_3ELNS0_20block_scan_algorithmE0ELj4294967295EEENS1_25partition_config_selectorILNS1_17partition_subalgoE4EjNS0_10empty_typeEbEEZZNS1_14partition_implILS8_4ELb0ES6_15HIP_vector_typeIjLj2EENS0_17counting_iteratorIjlEEPS9_SG_NS0_5tupleIJPjSI_NS0_16reverse_iteratorISI_EEEEENSH_IJSG_SG_SG_EEES9_SI_JZNS1_25segmented_radix_sort_implINS0_14default_configELb0EPKbPbPKlPlN2at6native12_GLOBAL__N_18offset_tEEE10hipError_tPvRmT1_PNSt15iterator_traitsIS12_E10value_typeET2_T3_PNS13_IS18_E10value_typeET4_jRbjT5_S1E_jjP12ihipStream_tbEUljE_ZNSN_ISO_Lb0ESQ_SR_ST_SU_SY_EESZ_S10_S11_S12_S16_S17_S18_S1B_S1C_jS1D_jS1E_S1E_jjS1G_bEUljE0_EEESZ_S10_S11_S18_S1C_S1E_T6_T7_T9_mT8_S1G_bDpT10_ENKUlT_T0_E_clISt17integral_constantIbLb1EES1T_IbLb0EEEEDaS1P_S1Q_EUlS1P_E_NS1_11comp_targetILNS1_3genE5ELNS1_11target_archE942ELNS1_3gpuE9ELNS1_3repE0EEENS1_30default_config_static_selectorELNS0_4arch9wavefront6targetE0EEEvS12_.private_seg_size, 0
	.set _ZN7rocprim17ROCPRIM_400000_NS6detail17trampoline_kernelINS0_13select_configILj256ELj13ELNS0_17block_load_methodE3ELS4_3ELS4_3ELNS0_20block_scan_algorithmE0ELj4294967295EEENS1_25partition_config_selectorILNS1_17partition_subalgoE4EjNS0_10empty_typeEbEEZZNS1_14partition_implILS8_4ELb0ES6_15HIP_vector_typeIjLj2EENS0_17counting_iteratorIjlEEPS9_SG_NS0_5tupleIJPjSI_NS0_16reverse_iteratorISI_EEEEENSH_IJSG_SG_SG_EEES9_SI_JZNS1_25segmented_radix_sort_implINS0_14default_configELb0EPKbPbPKlPlN2at6native12_GLOBAL__N_18offset_tEEE10hipError_tPvRmT1_PNSt15iterator_traitsIS12_E10value_typeET2_T3_PNS13_IS18_E10value_typeET4_jRbjT5_S1E_jjP12ihipStream_tbEUljE_ZNSN_ISO_Lb0ESQ_SR_ST_SU_SY_EESZ_S10_S11_S12_S16_S17_S18_S1B_S1C_jS1D_jS1E_S1E_jjS1G_bEUljE0_EEESZ_S10_S11_S18_S1C_S1E_T6_T7_T9_mT8_S1G_bDpT10_ENKUlT_T0_E_clISt17integral_constantIbLb1EES1T_IbLb0EEEEDaS1P_S1Q_EUlS1P_E_NS1_11comp_targetILNS1_3genE5ELNS1_11target_archE942ELNS1_3gpuE9ELNS1_3repE0EEENS1_30default_config_static_selectorELNS0_4arch9wavefront6targetE0EEEvS12_.uses_vcc, 0
	.set _ZN7rocprim17ROCPRIM_400000_NS6detail17trampoline_kernelINS0_13select_configILj256ELj13ELNS0_17block_load_methodE3ELS4_3ELS4_3ELNS0_20block_scan_algorithmE0ELj4294967295EEENS1_25partition_config_selectorILNS1_17partition_subalgoE4EjNS0_10empty_typeEbEEZZNS1_14partition_implILS8_4ELb0ES6_15HIP_vector_typeIjLj2EENS0_17counting_iteratorIjlEEPS9_SG_NS0_5tupleIJPjSI_NS0_16reverse_iteratorISI_EEEEENSH_IJSG_SG_SG_EEES9_SI_JZNS1_25segmented_radix_sort_implINS0_14default_configELb0EPKbPbPKlPlN2at6native12_GLOBAL__N_18offset_tEEE10hipError_tPvRmT1_PNSt15iterator_traitsIS12_E10value_typeET2_T3_PNS13_IS18_E10value_typeET4_jRbjT5_S1E_jjP12ihipStream_tbEUljE_ZNSN_ISO_Lb0ESQ_SR_ST_SU_SY_EESZ_S10_S11_S12_S16_S17_S18_S1B_S1C_jS1D_jS1E_S1E_jjS1G_bEUljE0_EEESZ_S10_S11_S18_S1C_S1E_T6_T7_T9_mT8_S1G_bDpT10_ENKUlT_T0_E_clISt17integral_constantIbLb1EES1T_IbLb0EEEEDaS1P_S1Q_EUlS1P_E_NS1_11comp_targetILNS1_3genE5ELNS1_11target_archE942ELNS1_3gpuE9ELNS1_3repE0EEENS1_30default_config_static_selectorELNS0_4arch9wavefront6targetE0EEEvS12_.uses_flat_scratch, 0
	.set _ZN7rocprim17ROCPRIM_400000_NS6detail17trampoline_kernelINS0_13select_configILj256ELj13ELNS0_17block_load_methodE3ELS4_3ELS4_3ELNS0_20block_scan_algorithmE0ELj4294967295EEENS1_25partition_config_selectorILNS1_17partition_subalgoE4EjNS0_10empty_typeEbEEZZNS1_14partition_implILS8_4ELb0ES6_15HIP_vector_typeIjLj2EENS0_17counting_iteratorIjlEEPS9_SG_NS0_5tupleIJPjSI_NS0_16reverse_iteratorISI_EEEEENSH_IJSG_SG_SG_EEES9_SI_JZNS1_25segmented_radix_sort_implINS0_14default_configELb0EPKbPbPKlPlN2at6native12_GLOBAL__N_18offset_tEEE10hipError_tPvRmT1_PNSt15iterator_traitsIS12_E10value_typeET2_T3_PNS13_IS18_E10value_typeET4_jRbjT5_S1E_jjP12ihipStream_tbEUljE_ZNSN_ISO_Lb0ESQ_SR_ST_SU_SY_EESZ_S10_S11_S12_S16_S17_S18_S1B_S1C_jS1D_jS1E_S1E_jjS1G_bEUljE0_EEESZ_S10_S11_S18_S1C_S1E_T6_T7_T9_mT8_S1G_bDpT10_ENKUlT_T0_E_clISt17integral_constantIbLb1EES1T_IbLb0EEEEDaS1P_S1Q_EUlS1P_E_NS1_11comp_targetILNS1_3genE5ELNS1_11target_archE942ELNS1_3gpuE9ELNS1_3repE0EEENS1_30default_config_static_selectorELNS0_4arch9wavefront6targetE0EEEvS12_.has_dyn_sized_stack, 0
	.set _ZN7rocprim17ROCPRIM_400000_NS6detail17trampoline_kernelINS0_13select_configILj256ELj13ELNS0_17block_load_methodE3ELS4_3ELS4_3ELNS0_20block_scan_algorithmE0ELj4294967295EEENS1_25partition_config_selectorILNS1_17partition_subalgoE4EjNS0_10empty_typeEbEEZZNS1_14partition_implILS8_4ELb0ES6_15HIP_vector_typeIjLj2EENS0_17counting_iteratorIjlEEPS9_SG_NS0_5tupleIJPjSI_NS0_16reverse_iteratorISI_EEEEENSH_IJSG_SG_SG_EEES9_SI_JZNS1_25segmented_radix_sort_implINS0_14default_configELb0EPKbPbPKlPlN2at6native12_GLOBAL__N_18offset_tEEE10hipError_tPvRmT1_PNSt15iterator_traitsIS12_E10value_typeET2_T3_PNS13_IS18_E10value_typeET4_jRbjT5_S1E_jjP12ihipStream_tbEUljE_ZNSN_ISO_Lb0ESQ_SR_ST_SU_SY_EESZ_S10_S11_S12_S16_S17_S18_S1B_S1C_jS1D_jS1E_S1E_jjS1G_bEUljE0_EEESZ_S10_S11_S18_S1C_S1E_T6_T7_T9_mT8_S1G_bDpT10_ENKUlT_T0_E_clISt17integral_constantIbLb1EES1T_IbLb0EEEEDaS1P_S1Q_EUlS1P_E_NS1_11comp_targetILNS1_3genE5ELNS1_11target_archE942ELNS1_3gpuE9ELNS1_3repE0EEENS1_30default_config_static_selectorELNS0_4arch9wavefront6targetE0EEEvS12_.has_recursion, 0
	.set _ZN7rocprim17ROCPRIM_400000_NS6detail17trampoline_kernelINS0_13select_configILj256ELj13ELNS0_17block_load_methodE3ELS4_3ELS4_3ELNS0_20block_scan_algorithmE0ELj4294967295EEENS1_25partition_config_selectorILNS1_17partition_subalgoE4EjNS0_10empty_typeEbEEZZNS1_14partition_implILS8_4ELb0ES6_15HIP_vector_typeIjLj2EENS0_17counting_iteratorIjlEEPS9_SG_NS0_5tupleIJPjSI_NS0_16reverse_iteratorISI_EEEEENSH_IJSG_SG_SG_EEES9_SI_JZNS1_25segmented_radix_sort_implINS0_14default_configELb0EPKbPbPKlPlN2at6native12_GLOBAL__N_18offset_tEEE10hipError_tPvRmT1_PNSt15iterator_traitsIS12_E10value_typeET2_T3_PNS13_IS18_E10value_typeET4_jRbjT5_S1E_jjP12ihipStream_tbEUljE_ZNSN_ISO_Lb0ESQ_SR_ST_SU_SY_EESZ_S10_S11_S12_S16_S17_S18_S1B_S1C_jS1D_jS1E_S1E_jjS1G_bEUljE0_EEESZ_S10_S11_S18_S1C_S1E_T6_T7_T9_mT8_S1G_bDpT10_ENKUlT_T0_E_clISt17integral_constantIbLb1EES1T_IbLb0EEEEDaS1P_S1Q_EUlS1P_E_NS1_11comp_targetILNS1_3genE5ELNS1_11target_archE942ELNS1_3gpuE9ELNS1_3repE0EEENS1_30default_config_static_selectorELNS0_4arch9wavefront6targetE0EEEvS12_.has_indirect_call, 0
	.section	.AMDGPU.csdata,"",@progbits
; Kernel info:
; codeLenInByte = 0
; TotalNumSgprs: 0
; NumVgprs: 0
; ScratchSize: 0
; MemoryBound: 0
; FloatMode: 240
; IeeeMode: 1
; LDSByteSize: 0 bytes/workgroup (compile time only)
; SGPRBlocks: 0
; VGPRBlocks: 0
; NumSGPRsForWavesPerEU: 1
; NumVGPRsForWavesPerEU: 1
; Occupancy: 16
; WaveLimiterHint : 0
; COMPUTE_PGM_RSRC2:SCRATCH_EN: 0
; COMPUTE_PGM_RSRC2:USER_SGPR: 2
; COMPUTE_PGM_RSRC2:TRAP_HANDLER: 0
; COMPUTE_PGM_RSRC2:TGID_X_EN: 1
; COMPUTE_PGM_RSRC2:TGID_Y_EN: 0
; COMPUTE_PGM_RSRC2:TGID_Z_EN: 0
; COMPUTE_PGM_RSRC2:TIDIG_COMP_CNT: 0
	.section	.text._ZN7rocprim17ROCPRIM_400000_NS6detail17trampoline_kernelINS0_13select_configILj256ELj13ELNS0_17block_load_methodE3ELS4_3ELS4_3ELNS0_20block_scan_algorithmE0ELj4294967295EEENS1_25partition_config_selectorILNS1_17partition_subalgoE4EjNS0_10empty_typeEbEEZZNS1_14partition_implILS8_4ELb0ES6_15HIP_vector_typeIjLj2EENS0_17counting_iteratorIjlEEPS9_SG_NS0_5tupleIJPjSI_NS0_16reverse_iteratorISI_EEEEENSH_IJSG_SG_SG_EEES9_SI_JZNS1_25segmented_radix_sort_implINS0_14default_configELb0EPKbPbPKlPlN2at6native12_GLOBAL__N_18offset_tEEE10hipError_tPvRmT1_PNSt15iterator_traitsIS12_E10value_typeET2_T3_PNS13_IS18_E10value_typeET4_jRbjT5_S1E_jjP12ihipStream_tbEUljE_ZNSN_ISO_Lb0ESQ_SR_ST_SU_SY_EESZ_S10_S11_S12_S16_S17_S18_S1B_S1C_jS1D_jS1E_S1E_jjS1G_bEUljE0_EEESZ_S10_S11_S18_S1C_S1E_T6_T7_T9_mT8_S1G_bDpT10_ENKUlT_T0_E_clISt17integral_constantIbLb1EES1T_IbLb0EEEEDaS1P_S1Q_EUlS1P_E_NS1_11comp_targetILNS1_3genE4ELNS1_11target_archE910ELNS1_3gpuE8ELNS1_3repE0EEENS1_30default_config_static_selectorELNS0_4arch9wavefront6targetE0EEEvS12_,"axG",@progbits,_ZN7rocprim17ROCPRIM_400000_NS6detail17trampoline_kernelINS0_13select_configILj256ELj13ELNS0_17block_load_methodE3ELS4_3ELS4_3ELNS0_20block_scan_algorithmE0ELj4294967295EEENS1_25partition_config_selectorILNS1_17partition_subalgoE4EjNS0_10empty_typeEbEEZZNS1_14partition_implILS8_4ELb0ES6_15HIP_vector_typeIjLj2EENS0_17counting_iteratorIjlEEPS9_SG_NS0_5tupleIJPjSI_NS0_16reverse_iteratorISI_EEEEENSH_IJSG_SG_SG_EEES9_SI_JZNS1_25segmented_radix_sort_implINS0_14default_configELb0EPKbPbPKlPlN2at6native12_GLOBAL__N_18offset_tEEE10hipError_tPvRmT1_PNSt15iterator_traitsIS12_E10value_typeET2_T3_PNS13_IS18_E10value_typeET4_jRbjT5_S1E_jjP12ihipStream_tbEUljE_ZNSN_ISO_Lb0ESQ_SR_ST_SU_SY_EESZ_S10_S11_S12_S16_S17_S18_S1B_S1C_jS1D_jS1E_S1E_jjS1G_bEUljE0_EEESZ_S10_S11_S18_S1C_S1E_T6_T7_T9_mT8_S1G_bDpT10_ENKUlT_T0_E_clISt17integral_constantIbLb1EES1T_IbLb0EEEEDaS1P_S1Q_EUlS1P_E_NS1_11comp_targetILNS1_3genE4ELNS1_11target_archE910ELNS1_3gpuE8ELNS1_3repE0EEENS1_30default_config_static_selectorELNS0_4arch9wavefront6targetE0EEEvS12_,comdat
	.globl	_ZN7rocprim17ROCPRIM_400000_NS6detail17trampoline_kernelINS0_13select_configILj256ELj13ELNS0_17block_load_methodE3ELS4_3ELS4_3ELNS0_20block_scan_algorithmE0ELj4294967295EEENS1_25partition_config_selectorILNS1_17partition_subalgoE4EjNS0_10empty_typeEbEEZZNS1_14partition_implILS8_4ELb0ES6_15HIP_vector_typeIjLj2EENS0_17counting_iteratorIjlEEPS9_SG_NS0_5tupleIJPjSI_NS0_16reverse_iteratorISI_EEEEENSH_IJSG_SG_SG_EEES9_SI_JZNS1_25segmented_radix_sort_implINS0_14default_configELb0EPKbPbPKlPlN2at6native12_GLOBAL__N_18offset_tEEE10hipError_tPvRmT1_PNSt15iterator_traitsIS12_E10value_typeET2_T3_PNS13_IS18_E10value_typeET4_jRbjT5_S1E_jjP12ihipStream_tbEUljE_ZNSN_ISO_Lb0ESQ_SR_ST_SU_SY_EESZ_S10_S11_S12_S16_S17_S18_S1B_S1C_jS1D_jS1E_S1E_jjS1G_bEUljE0_EEESZ_S10_S11_S18_S1C_S1E_T6_T7_T9_mT8_S1G_bDpT10_ENKUlT_T0_E_clISt17integral_constantIbLb1EES1T_IbLb0EEEEDaS1P_S1Q_EUlS1P_E_NS1_11comp_targetILNS1_3genE4ELNS1_11target_archE910ELNS1_3gpuE8ELNS1_3repE0EEENS1_30default_config_static_selectorELNS0_4arch9wavefront6targetE0EEEvS12_ ; -- Begin function _ZN7rocprim17ROCPRIM_400000_NS6detail17trampoline_kernelINS0_13select_configILj256ELj13ELNS0_17block_load_methodE3ELS4_3ELS4_3ELNS0_20block_scan_algorithmE0ELj4294967295EEENS1_25partition_config_selectorILNS1_17partition_subalgoE4EjNS0_10empty_typeEbEEZZNS1_14partition_implILS8_4ELb0ES6_15HIP_vector_typeIjLj2EENS0_17counting_iteratorIjlEEPS9_SG_NS0_5tupleIJPjSI_NS0_16reverse_iteratorISI_EEEEENSH_IJSG_SG_SG_EEES9_SI_JZNS1_25segmented_radix_sort_implINS0_14default_configELb0EPKbPbPKlPlN2at6native12_GLOBAL__N_18offset_tEEE10hipError_tPvRmT1_PNSt15iterator_traitsIS12_E10value_typeET2_T3_PNS13_IS18_E10value_typeET4_jRbjT5_S1E_jjP12ihipStream_tbEUljE_ZNSN_ISO_Lb0ESQ_SR_ST_SU_SY_EESZ_S10_S11_S12_S16_S17_S18_S1B_S1C_jS1D_jS1E_S1E_jjS1G_bEUljE0_EEESZ_S10_S11_S18_S1C_S1E_T6_T7_T9_mT8_S1G_bDpT10_ENKUlT_T0_E_clISt17integral_constantIbLb1EES1T_IbLb0EEEEDaS1P_S1Q_EUlS1P_E_NS1_11comp_targetILNS1_3genE4ELNS1_11target_archE910ELNS1_3gpuE8ELNS1_3repE0EEENS1_30default_config_static_selectorELNS0_4arch9wavefront6targetE0EEEvS12_
	.p2align	8
	.type	_ZN7rocprim17ROCPRIM_400000_NS6detail17trampoline_kernelINS0_13select_configILj256ELj13ELNS0_17block_load_methodE3ELS4_3ELS4_3ELNS0_20block_scan_algorithmE0ELj4294967295EEENS1_25partition_config_selectorILNS1_17partition_subalgoE4EjNS0_10empty_typeEbEEZZNS1_14partition_implILS8_4ELb0ES6_15HIP_vector_typeIjLj2EENS0_17counting_iteratorIjlEEPS9_SG_NS0_5tupleIJPjSI_NS0_16reverse_iteratorISI_EEEEENSH_IJSG_SG_SG_EEES9_SI_JZNS1_25segmented_radix_sort_implINS0_14default_configELb0EPKbPbPKlPlN2at6native12_GLOBAL__N_18offset_tEEE10hipError_tPvRmT1_PNSt15iterator_traitsIS12_E10value_typeET2_T3_PNS13_IS18_E10value_typeET4_jRbjT5_S1E_jjP12ihipStream_tbEUljE_ZNSN_ISO_Lb0ESQ_SR_ST_SU_SY_EESZ_S10_S11_S12_S16_S17_S18_S1B_S1C_jS1D_jS1E_S1E_jjS1G_bEUljE0_EEESZ_S10_S11_S18_S1C_S1E_T6_T7_T9_mT8_S1G_bDpT10_ENKUlT_T0_E_clISt17integral_constantIbLb1EES1T_IbLb0EEEEDaS1P_S1Q_EUlS1P_E_NS1_11comp_targetILNS1_3genE4ELNS1_11target_archE910ELNS1_3gpuE8ELNS1_3repE0EEENS1_30default_config_static_selectorELNS0_4arch9wavefront6targetE0EEEvS12_,@function
_ZN7rocprim17ROCPRIM_400000_NS6detail17trampoline_kernelINS0_13select_configILj256ELj13ELNS0_17block_load_methodE3ELS4_3ELS4_3ELNS0_20block_scan_algorithmE0ELj4294967295EEENS1_25partition_config_selectorILNS1_17partition_subalgoE4EjNS0_10empty_typeEbEEZZNS1_14partition_implILS8_4ELb0ES6_15HIP_vector_typeIjLj2EENS0_17counting_iteratorIjlEEPS9_SG_NS0_5tupleIJPjSI_NS0_16reverse_iteratorISI_EEEEENSH_IJSG_SG_SG_EEES9_SI_JZNS1_25segmented_radix_sort_implINS0_14default_configELb0EPKbPbPKlPlN2at6native12_GLOBAL__N_18offset_tEEE10hipError_tPvRmT1_PNSt15iterator_traitsIS12_E10value_typeET2_T3_PNS13_IS18_E10value_typeET4_jRbjT5_S1E_jjP12ihipStream_tbEUljE_ZNSN_ISO_Lb0ESQ_SR_ST_SU_SY_EESZ_S10_S11_S12_S16_S17_S18_S1B_S1C_jS1D_jS1E_S1E_jjS1G_bEUljE0_EEESZ_S10_S11_S18_S1C_S1E_T6_T7_T9_mT8_S1G_bDpT10_ENKUlT_T0_E_clISt17integral_constantIbLb1EES1T_IbLb0EEEEDaS1P_S1Q_EUlS1P_E_NS1_11comp_targetILNS1_3genE4ELNS1_11target_archE910ELNS1_3gpuE8ELNS1_3repE0EEENS1_30default_config_static_selectorELNS0_4arch9wavefront6targetE0EEEvS12_: ; @_ZN7rocprim17ROCPRIM_400000_NS6detail17trampoline_kernelINS0_13select_configILj256ELj13ELNS0_17block_load_methodE3ELS4_3ELS4_3ELNS0_20block_scan_algorithmE0ELj4294967295EEENS1_25partition_config_selectorILNS1_17partition_subalgoE4EjNS0_10empty_typeEbEEZZNS1_14partition_implILS8_4ELb0ES6_15HIP_vector_typeIjLj2EENS0_17counting_iteratorIjlEEPS9_SG_NS0_5tupleIJPjSI_NS0_16reverse_iteratorISI_EEEEENSH_IJSG_SG_SG_EEES9_SI_JZNS1_25segmented_radix_sort_implINS0_14default_configELb0EPKbPbPKlPlN2at6native12_GLOBAL__N_18offset_tEEE10hipError_tPvRmT1_PNSt15iterator_traitsIS12_E10value_typeET2_T3_PNS13_IS18_E10value_typeET4_jRbjT5_S1E_jjP12ihipStream_tbEUljE_ZNSN_ISO_Lb0ESQ_SR_ST_SU_SY_EESZ_S10_S11_S12_S16_S17_S18_S1B_S1C_jS1D_jS1E_S1E_jjS1G_bEUljE0_EEESZ_S10_S11_S18_S1C_S1E_T6_T7_T9_mT8_S1G_bDpT10_ENKUlT_T0_E_clISt17integral_constantIbLb1EES1T_IbLb0EEEEDaS1P_S1Q_EUlS1P_E_NS1_11comp_targetILNS1_3genE4ELNS1_11target_archE910ELNS1_3gpuE8ELNS1_3repE0EEENS1_30default_config_static_selectorELNS0_4arch9wavefront6targetE0EEEvS12_
; %bb.0:
	.section	.rodata,"a",@progbits
	.p2align	6, 0x0
	.amdhsa_kernel _ZN7rocprim17ROCPRIM_400000_NS6detail17trampoline_kernelINS0_13select_configILj256ELj13ELNS0_17block_load_methodE3ELS4_3ELS4_3ELNS0_20block_scan_algorithmE0ELj4294967295EEENS1_25partition_config_selectorILNS1_17partition_subalgoE4EjNS0_10empty_typeEbEEZZNS1_14partition_implILS8_4ELb0ES6_15HIP_vector_typeIjLj2EENS0_17counting_iteratorIjlEEPS9_SG_NS0_5tupleIJPjSI_NS0_16reverse_iteratorISI_EEEEENSH_IJSG_SG_SG_EEES9_SI_JZNS1_25segmented_radix_sort_implINS0_14default_configELb0EPKbPbPKlPlN2at6native12_GLOBAL__N_18offset_tEEE10hipError_tPvRmT1_PNSt15iterator_traitsIS12_E10value_typeET2_T3_PNS13_IS18_E10value_typeET4_jRbjT5_S1E_jjP12ihipStream_tbEUljE_ZNSN_ISO_Lb0ESQ_SR_ST_SU_SY_EESZ_S10_S11_S12_S16_S17_S18_S1B_S1C_jS1D_jS1E_S1E_jjS1G_bEUljE0_EEESZ_S10_S11_S18_S1C_S1E_T6_T7_T9_mT8_S1G_bDpT10_ENKUlT_T0_E_clISt17integral_constantIbLb1EES1T_IbLb0EEEEDaS1P_S1Q_EUlS1P_E_NS1_11comp_targetILNS1_3genE4ELNS1_11target_archE910ELNS1_3gpuE8ELNS1_3repE0EEENS1_30default_config_static_selectorELNS0_4arch9wavefront6targetE0EEEvS12_
		.amdhsa_group_segment_fixed_size 0
		.amdhsa_private_segment_fixed_size 0
		.amdhsa_kernarg_size 176
		.amdhsa_user_sgpr_count 2
		.amdhsa_user_sgpr_dispatch_ptr 0
		.amdhsa_user_sgpr_queue_ptr 0
		.amdhsa_user_sgpr_kernarg_segment_ptr 1
		.amdhsa_user_sgpr_dispatch_id 0
		.amdhsa_user_sgpr_private_segment_size 0
		.amdhsa_wavefront_size32 1
		.amdhsa_uses_dynamic_stack 0
		.amdhsa_enable_private_segment 0
		.amdhsa_system_sgpr_workgroup_id_x 1
		.amdhsa_system_sgpr_workgroup_id_y 0
		.amdhsa_system_sgpr_workgroup_id_z 0
		.amdhsa_system_sgpr_workgroup_info 0
		.amdhsa_system_vgpr_workitem_id 0
		.amdhsa_next_free_vgpr 1
		.amdhsa_next_free_sgpr 1
		.amdhsa_reserve_vcc 0
		.amdhsa_float_round_mode_32 0
		.amdhsa_float_round_mode_16_64 0
		.amdhsa_float_denorm_mode_32 3
		.amdhsa_float_denorm_mode_16_64 3
		.amdhsa_fp16_overflow 0
		.amdhsa_workgroup_processor_mode 1
		.amdhsa_memory_ordered 1
		.amdhsa_forward_progress 1
		.amdhsa_inst_pref_size 0
		.amdhsa_round_robin_scheduling 0
		.amdhsa_exception_fp_ieee_invalid_op 0
		.amdhsa_exception_fp_denorm_src 0
		.amdhsa_exception_fp_ieee_div_zero 0
		.amdhsa_exception_fp_ieee_overflow 0
		.amdhsa_exception_fp_ieee_underflow 0
		.amdhsa_exception_fp_ieee_inexact 0
		.amdhsa_exception_int_div_zero 0
	.end_amdhsa_kernel
	.section	.text._ZN7rocprim17ROCPRIM_400000_NS6detail17trampoline_kernelINS0_13select_configILj256ELj13ELNS0_17block_load_methodE3ELS4_3ELS4_3ELNS0_20block_scan_algorithmE0ELj4294967295EEENS1_25partition_config_selectorILNS1_17partition_subalgoE4EjNS0_10empty_typeEbEEZZNS1_14partition_implILS8_4ELb0ES6_15HIP_vector_typeIjLj2EENS0_17counting_iteratorIjlEEPS9_SG_NS0_5tupleIJPjSI_NS0_16reverse_iteratorISI_EEEEENSH_IJSG_SG_SG_EEES9_SI_JZNS1_25segmented_radix_sort_implINS0_14default_configELb0EPKbPbPKlPlN2at6native12_GLOBAL__N_18offset_tEEE10hipError_tPvRmT1_PNSt15iterator_traitsIS12_E10value_typeET2_T3_PNS13_IS18_E10value_typeET4_jRbjT5_S1E_jjP12ihipStream_tbEUljE_ZNSN_ISO_Lb0ESQ_SR_ST_SU_SY_EESZ_S10_S11_S12_S16_S17_S18_S1B_S1C_jS1D_jS1E_S1E_jjS1G_bEUljE0_EEESZ_S10_S11_S18_S1C_S1E_T6_T7_T9_mT8_S1G_bDpT10_ENKUlT_T0_E_clISt17integral_constantIbLb1EES1T_IbLb0EEEEDaS1P_S1Q_EUlS1P_E_NS1_11comp_targetILNS1_3genE4ELNS1_11target_archE910ELNS1_3gpuE8ELNS1_3repE0EEENS1_30default_config_static_selectorELNS0_4arch9wavefront6targetE0EEEvS12_,"axG",@progbits,_ZN7rocprim17ROCPRIM_400000_NS6detail17trampoline_kernelINS0_13select_configILj256ELj13ELNS0_17block_load_methodE3ELS4_3ELS4_3ELNS0_20block_scan_algorithmE0ELj4294967295EEENS1_25partition_config_selectorILNS1_17partition_subalgoE4EjNS0_10empty_typeEbEEZZNS1_14partition_implILS8_4ELb0ES6_15HIP_vector_typeIjLj2EENS0_17counting_iteratorIjlEEPS9_SG_NS0_5tupleIJPjSI_NS0_16reverse_iteratorISI_EEEEENSH_IJSG_SG_SG_EEES9_SI_JZNS1_25segmented_radix_sort_implINS0_14default_configELb0EPKbPbPKlPlN2at6native12_GLOBAL__N_18offset_tEEE10hipError_tPvRmT1_PNSt15iterator_traitsIS12_E10value_typeET2_T3_PNS13_IS18_E10value_typeET4_jRbjT5_S1E_jjP12ihipStream_tbEUljE_ZNSN_ISO_Lb0ESQ_SR_ST_SU_SY_EESZ_S10_S11_S12_S16_S17_S18_S1B_S1C_jS1D_jS1E_S1E_jjS1G_bEUljE0_EEESZ_S10_S11_S18_S1C_S1E_T6_T7_T9_mT8_S1G_bDpT10_ENKUlT_T0_E_clISt17integral_constantIbLb1EES1T_IbLb0EEEEDaS1P_S1Q_EUlS1P_E_NS1_11comp_targetILNS1_3genE4ELNS1_11target_archE910ELNS1_3gpuE8ELNS1_3repE0EEENS1_30default_config_static_selectorELNS0_4arch9wavefront6targetE0EEEvS12_,comdat
.Lfunc_end1589:
	.size	_ZN7rocprim17ROCPRIM_400000_NS6detail17trampoline_kernelINS0_13select_configILj256ELj13ELNS0_17block_load_methodE3ELS4_3ELS4_3ELNS0_20block_scan_algorithmE0ELj4294967295EEENS1_25partition_config_selectorILNS1_17partition_subalgoE4EjNS0_10empty_typeEbEEZZNS1_14partition_implILS8_4ELb0ES6_15HIP_vector_typeIjLj2EENS0_17counting_iteratorIjlEEPS9_SG_NS0_5tupleIJPjSI_NS0_16reverse_iteratorISI_EEEEENSH_IJSG_SG_SG_EEES9_SI_JZNS1_25segmented_radix_sort_implINS0_14default_configELb0EPKbPbPKlPlN2at6native12_GLOBAL__N_18offset_tEEE10hipError_tPvRmT1_PNSt15iterator_traitsIS12_E10value_typeET2_T3_PNS13_IS18_E10value_typeET4_jRbjT5_S1E_jjP12ihipStream_tbEUljE_ZNSN_ISO_Lb0ESQ_SR_ST_SU_SY_EESZ_S10_S11_S12_S16_S17_S18_S1B_S1C_jS1D_jS1E_S1E_jjS1G_bEUljE0_EEESZ_S10_S11_S18_S1C_S1E_T6_T7_T9_mT8_S1G_bDpT10_ENKUlT_T0_E_clISt17integral_constantIbLb1EES1T_IbLb0EEEEDaS1P_S1Q_EUlS1P_E_NS1_11comp_targetILNS1_3genE4ELNS1_11target_archE910ELNS1_3gpuE8ELNS1_3repE0EEENS1_30default_config_static_selectorELNS0_4arch9wavefront6targetE0EEEvS12_, .Lfunc_end1589-_ZN7rocprim17ROCPRIM_400000_NS6detail17trampoline_kernelINS0_13select_configILj256ELj13ELNS0_17block_load_methodE3ELS4_3ELS4_3ELNS0_20block_scan_algorithmE0ELj4294967295EEENS1_25partition_config_selectorILNS1_17partition_subalgoE4EjNS0_10empty_typeEbEEZZNS1_14partition_implILS8_4ELb0ES6_15HIP_vector_typeIjLj2EENS0_17counting_iteratorIjlEEPS9_SG_NS0_5tupleIJPjSI_NS0_16reverse_iteratorISI_EEEEENSH_IJSG_SG_SG_EEES9_SI_JZNS1_25segmented_radix_sort_implINS0_14default_configELb0EPKbPbPKlPlN2at6native12_GLOBAL__N_18offset_tEEE10hipError_tPvRmT1_PNSt15iterator_traitsIS12_E10value_typeET2_T3_PNS13_IS18_E10value_typeET4_jRbjT5_S1E_jjP12ihipStream_tbEUljE_ZNSN_ISO_Lb0ESQ_SR_ST_SU_SY_EESZ_S10_S11_S12_S16_S17_S18_S1B_S1C_jS1D_jS1E_S1E_jjS1G_bEUljE0_EEESZ_S10_S11_S18_S1C_S1E_T6_T7_T9_mT8_S1G_bDpT10_ENKUlT_T0_E_clISt17integral_constantIbLb1EES1T_IbLb0EEEEDaS1P_S1Q_EUlS1P_E_NS1_11comp_targetILNS1_3genE4ELNS1_11target_archE910ELNS1_3gpuE8ELNS1_3repE0EEENS1_30default_config_static_selectorELNS0_4arch9wavefront6targetE0EEEvS12_
                                        ; -- End function
	.set _ZN7rocprim17ROCPRIM_400000_NS6detail17trampoline_kernelINS0_13select_configILj256ELj13ELNS0_17block_load_methodE3ELS4_3ELS4_3ELNS0_20block_scan_algorithmE0ELj4294967295EEENS1_25partition_config_selectorILNS1_17partition_subalgoE4EjNS0_10empty_typeEbEEZZNS1_14partition_implILS8_4ELb0ES6_15HIP_vector_typeIjLj2EENS0_17counting_iteratorIjlEEPS9_SG_NS0_5tupleIJPjSI_NS0_16reverse_iteratorISI_EEEEENSH_IJSG_SG_SG_EEES9_SI_JZNS1_25segmented_radix_sort_implINS0_14default_configELb0EPKbPbPKlPlN2at6native12_GLOBAL__N_18offset_tEEE10hipError_tPvRmT1_PNSt15iterator_traitsIS12_E10value_typeET2_T3_PNS13_IS18_E10value_typeET4_jRbjT5_S1E_jjP12ihipStream_tbEUljE_ZNSN_ISO_Lb0ESQ_SR_ST_SU_SY_EESZ_S10_S11_S12_S16_S17_S18_S1B_S1C_jS1D_jS1E_S1E_jjS1G_bEUljE0_EEESZ_S10_S11_S18_S1C_S1E_T6_T7_T9_mT8_S1G_bDpT10_ENKUlT_T0_E_clISt17integral_constantIbLb1EES1T_IbLb0EEEEDaS1P_S1Q_EUlS1P_E_NS1_11comp_targetILNS1_3genE4ELNS1_11target_archE910ELNS1_3gpuE8ELNS1_3repE0EEENS1_30default_config_static_selectorELNS0_4arch9wavefront6targetE0EEEvS12_.num_vgpr, 0
	.set _ZN7rocprim17ROCPRIM_400000_NS6detail17trampoline_kernelINS0_13select_configILj256ELj13ELNS0_17block_load_methodE3ELS4_3ELS4_3ELNS0_20block_scan_algorithmE0ELj4294967295EEENS1_25partition_config_selectorILNS1_17partition_subalgoE4EjNS0_10empty_typeEbEEZZNS1_14partition_implILS8_4ELb0ES6_15HIP_vector_typeIjLj2EENS0_17counting_iteratorIjlEEPS9_SG_NS0_5tupleIJPjSI_NS0_16reverse_iteratorISI_EEEEENSH_IJSG_SG_SG_EEES9_SI_JZNS1_25segmented_radix_sort_implINS0_14default_configELb0EPKbPbPKlPlN2at6native12_GLOBAL__N_18offset_tEEE10hipError_tPvRmT1_PNSt15iterator_traitsIS12_E10value_typeET2_T3_PNS13_IS18_E10value_typeET4_jRbjT5_S1E_jjP12ihipStream_tbEUljE_ZNSN_ISO_Lb0ESQ_SR_ST_SU_SY_EESZ_S10_S11_S12_S16_S17_S18_S1B_S1C_jS1D_jS1E_S1E_jjS1G_bEUljE0_EEESZ_S10_S11_S18_S1C_S1E_T6_T7_T9_mT8_S1G_bDpT10_ENKUlT_T0_E_clISt17integral_constantIbLb1EES1T_IbLb0EEEEDaS1P_S1Q_EUlS1P_E_NS1_11comp_targetILNS1_3genE4ELNS1_11target_archE910ELNS1_3gpuE8ELNS1_3repE0EEENS1_30default_config_static_selectorELNS0_4arch9wavefront6targetE0EEEvS12_.num_agpr, 0
	.set _ZN7rocprim17ROCPRIM_400000_NS6detail17trampoline_kernelINS0_13select_configILj256ELj13ELNS0_17block_load_methodE3ELS4_3ELS4_3ELNS0_20block_scan_algorithmE0ELj4294967295EEENS1_25partition_config_selectorILNS1_17partition_subalgoE4EjNS0_10empty_typeEbEEZZNS1_14partition_implILS8_4ELb0ES6_15HIP_vector_typeIjLj2EENS0_17counting_iteratorIjlEEPS9_SG_NS0_5tupleIJPjSI_NS0_16reverse_iteratorISI_EEEEENSH_IJSG_SG_SG_EEES9_SI_JZNS1_25segmented_radix_sort_implINS0_14default_configELb0EPKbPbPKlPlN2at6native12_GLOBAL__N_18offset_tEEE10hipError_tPvRmT1_PNSt15iterator_traitsIS12_E10value_typeET2_T3_PNS13_IS18_E10value_typeET4_jRbjT5_S1E_jjP12ihipStream_tbEUljE_ZNSN_ISO_Lb0ESQ_SR_ST_SU_SY_EESZ_S10_S11_S12_S16_S17_S18_S1B_S1C_jS1D_jS1E_S1E_jjS1G_bEUljE0_EEESZ_S10_S11_S18_S1C_S1E_T6_T7_T9_mT8_S1G_bDpT10_ENKUlT_T0_E_clISt17integral_constantIbLb1EES1T_IbLb0EEEEDaS1P_S1Q_EUlS1P_E_NS1_11comp_targetILNS1_3genE4ELNS1_11target_archE910ELNS1_3gpuE8ELNS1_3repE0EEENS1_30default_config_static_selectorELNS0_4arch9wavefront6targetE0EEEvS12_.numbered_sgpr, 0
	.set _ZN7rocprim17ROCPRIM_400000_NS6detail17trampoline_kernelINS0_13select_configILj256ELj13ELNS0_17block_load_methodE3ELS4_3ELS4_3ELNS0_20block_scan_algorithmE0ELj4294967295EEENS1_25partition_config_selectorILNS1_17partition_subalgoE4EjNS0_10empty_typeEbEEZZNS1_14partition_implILS8_4ELb0ES6_15HIP_vector_typeIjLj2EENS0_17counting_iteratorIjlEEPS9_SG_NS0_5tupleIJPjSI_NS0_16reverse_iteratorISI_EEEEENSH_IJSG_SG_SG_EEES9_SI_JZNS1_25segmented_radix_sort_implINS0_14default_configELb0EPKbPbPKlPlN2at6native12_GLOBAL__N_18offset_tEEE10hipError_tPvRmT1_PNSt15iterator_traitsIS12_E10value_typeET2_T3_PNS13_IS18_E10value_typeET4_jRbjT5_S1E_jjP12ihipStream_tbEUljE_ZNSN_ISO_Lb0ESQ_SR_ST_SU_SY_EESZ_S10_S11_S12_S16_S17_S18_S1B_S1C_jS1D_jS1E_S1E_jjS1G_bEUljE0_EEESZ_S10_S11_S18_S1C_S1E_T6_T7_T9_mT8_S1G_bDpT10_ENKUlT_T0_E_clISt17integral_constantIbLb1EES1T_IbLb0EEEEDaS1P_S1Q_EUlS1P_E_NS1_11comp_targetILNS1_3genE4ELNS1_11target_archE910ELNS1_3gpuE8ELNS1_3repE0EEENS1_30default_config_static_selectorELNS0_4arch9wavefront6targetE0EEEvS12_.num_named_barrier, 0
	.set _ZN7rocprim17ROCPRIM_400000_NS6detail17trampoline_kernelINS0_13select_configILj256ELj13ELNS0_17block_load_methodE3ELS4_3ELS4_3ELNS0_20block_scan_algorithmE0ELj4294967295EEENS1_25partition_config_selectorILNS1_17partition_subalgoE4EjNS0_10empty_typeEbEEZZNS1_14partition_implILS8_4ELb0ES6_15HIP_vector_typeIjLj2EENS0_17counting_iteratorIjlEEPS9_SG_NS0_5tupleIJPjSI_NS0_16reverse_iteratorISI_EEEEENSH_IJSG_SG_SG_EEES9_SI_JZNS1_25segmented_radix_sort_implINS0_14default_configELb0EPKbPbPKlPlN2at6native12_GLOBAL__N_18offset_tEEE10hipError_tPvRmT1_PNSt15iterator_traitsIS12_E10value_typeET2_T3_PNS13_IS18_E10value_typeET4_jRbjT5_S1E_jjP12ihipStream_tbEUljE_ZNSN_ISO_Lb0ESQ_SR_ST_SU_SY_EESZ_S10_S11_S12_S16_S17_S18_S1B_S1C_jS1D_jS1E_S1E_jjS1G_bEUljE0_EEESZ_S10_S11_S18_S1C_S1E_T6_T7_T9_mT8_S1G_bDpT10_ENKUlT_T0_E_clISt17integral_constantIbLb1EES1T_IbLb0EEEEDaS1P_S1Q_EUlS1P_E_NS1_11comp_targetILNS1_3genE4ELNS1_11target_archE910ELNS1_3gpuE8ELNS1_3repE0EEENS1_30default_config_static_selectorELNS0_4arch9wavefront6targetE0EEEvS12_.private_seg_size, 0
	.set _ZN7rocprim17ROCPRIM_400000_NS6detail17trampoline_kernelINS0_13select_configILj256ELj13ELNS0_17block_load_methodE3ELS4_3ELS4_3ELNS0_20block_scan_algorithmE0ELj4294967295EEENS1_25partition_config_selectorILNS1_17partition_subalgoE4EjNS0_10empty_typeEbEEZZNS1_14partition_implILS8_4ELb0ES6_15HIP_vector_typeIjLj2EENS0_17counting_iteratorIjlEEPS9_SG_NS0_5tupleIJPjSI_NS0_16reverse_iteratorISI_EEEEENSH_IJSG_SG_SG_EEES9_SI_JZNS1_25segmented_radix_sort_implINS0_14default_configELb0EPKbPbPKlPlN2at6native12_GLOBAL__N_18offset_tEEE10hipError_tPvRmT1_PNSt15iterator_traitsIS12_E10value_typeET2_T3_PNS13_IS18_E10value_typeET4_jRbjT5_S1E_jjP12ihipStream_tbEUljE_ZNSN_ISO_Lb0ESQ_SR_ST_SU_SY_EESZ_S10_S11_S12_S16_S17_S18_S1B_S1C_jS1D_jS1E_S1E_jjS1G_bEUljE0_EEESZ_S10_S11_S18_S1C_S1E_T6_T7_T9_mT8_S1G_bDpT10_ENKUlT_T0_E_clISt17integral_constantIbLb1EES1T_IbLb0EEEEDaS1P_S1Q_EUlS1P_E_NS1_11comp_targetILNS1_3genE4ELNS1_11target_archE910ELNS1_3gpuE8ELNS1_3repE0EEENS1_30default_config_static_selectorELNS0_4arch9wavefront6targetE0EEEvS12_.uses_vcc, 0
	.set _ZN7rocprim17ROCPRIM_400000_NS6detail17trampoline_kernelINS0_13select_configILj256ELj13ELNS0_17block_load_methodE3ELS4_3ELS4_3ELNS0_20block_scan_algorithmE0ELj4294967295EEENS1_25partition_config_selectorILNS1_17partition_subalgoE4EjNS0_10empty_typeEbEEZZNS1_14partition_implILS8_4ELb0ES6_15HIP_vector_typeIjLj2EENS0_17counting_iteratorIjlEEPS9_SG_NS0_5tupleIJPjSI_NS0_16reverse_iteratorISI_EEEEENSH_IJSG_SG_SG_EEES9_SI_JZNS1_25segmented_radix_sort_implINS0_14default_configELb0EPKbPbPKlPlN2at6native12_GLOBAL__N_18offset_tEEE10hipError_tPvRmT1_PNSt15iterator_traitsIS12_E10value_typeET2_T3_PNS13_IS18_E10value_typeET4_jRbjT5_S1E_jjP12ihipStream_tbEUljE_ZNSN_ISO_Lb0ESQ_SR_ST_SU_SY_EESZ_S10_S11_S12_S16_S17_S18_S1B_S1C_jS1D_jS1E_S1E_jjS1G_bEUljE0_EEESZ_S10_S11_S18_S1C_S1E_T6_T7_T9_mT8_S1G_bDpT10_ENKUlT_T0_E_clISt17integral_constantIbLb1EES1T_IbLb0EEEEDaS1P_S1Q_EUlS1P_E_NS1_11comp_targetILNS1_3genE4ELNS1_11target_archE910ELNS1_3gpuE8ELNS1_3repE0EEENS1_30default_config_static_selectorELNS0_4arch9wavefront6targetE0EEEvS12_.uses_flat_scratch, 0
	.set _ZN7rocprim17ROCPRIM_400000_NS6detail17trampoline_kernelINS0_13select_configILj256ELj13ELNS0_17block_load_methodE3ELS4_3ELS4_3ELNS0_20block_scan_algorithmE0ELj4294967295EEENS1_25partition_config_selectorILNS1_17partition_subalgoE4EjNS0_10empty_typeEbEEZZNS1_14partition_implILS8_4ELb0ES6_15HIP_vector_typeIjLj2EENS0_17counting_iteratorIjlEEPS9_SG_NS0_5tupleIJPjSI_NS0_16reverse_iteratorISI_EEEEENSH_IJSG_SG_SG_EEES9_SI_JZNS1_25segmented_radix_sort_implINS0_14default_configELb0EPKbPbPKlPlN2at6native12_GLOBAL__N_18offset_tEEE10hipError_tPvRmT1_PNSt15iterator_traitsIS12_E10value_typeET2_T3_PNS13_IS18_E10value_typeET4_jRbjT5_S1E_jjP12ihipStream_tbEUljE_ZNSN_ISO_Lb0ESQ_SR_ST_SU_SY_EESZ_S10_S11_S12_S16_S17_S18_S1B_S1C_jS1D_jS1E_S1E_jjS1G_bEUljE0_EEESZ_S10_S11_S18_S1C_S1E_T6_T7_T9_mT8_S1G_bDpT10_ENKUlT_T0_E_clISt17integral_constantIbLb1EES1T_IbLb0EEEEDaS1P_S1Q_EUlS1P_E_NS1_11comp_targetILNS1_3genE4ELNS1_11target_archE910ELNS1_3gpuE8ELNS1_3repE0EEENS1_30default_config_static_selectorELNS0_4arch9wavefront6targetE0EEEvS12_.has_dyn_sized_stack, 0
	.set _ZN7rocprim17ROCPRIM_400000_NS6detail17trampoline_kernelINS0_13select_configILj256ELj13ELNS0_17block_load_methodE3ELS4_3ELS4_3ELNS0_20block_scan_algorithmE0ELj4294967295EEENS1_25partition_config_selectorILNS1_17partition_subalgoE4EjNS0_10empty_typeEbEEZZNS1_14partition_implILS8_4ELb0ES6_15HIP_vector_typeIjLj2EENS0_17counting_iteratorIjlEEPS9_SG_NS0_5tupleIJPjSI_NS0_16reverse_iteratorISI_EEEEENSH_IJSG_SG_SG_EEES9_SI_JZNS1_25segmented_radix_sort_implINS0_14default_configELb0EPKbPbPKlPlN2at6native12_GLOBAL__N_18offset_tEEE10hipError_tPvRmT1_PNSt15iterator_traitsIS12_E10value_typeET2_T3_PNS13_IS18_E10value_typeET4_jRbjT5_S1E_jjP12ihipStream_tbEUljE_ZNSN_ISO_Lb0ESQ_SR_ST_SU_SY_EESZ_S10_S11_S12_S16_S17_S18_S1B_S1C_jS1D_jS1E_S1E_jjS1G_bEUljE0_EEESZ_S10_S11_S18_S1C_S1E_T6_T7_T9_mT8_S1G_bDpT10_ENKUlT_T0_E_clISt17integral_constantIbLb1EES1T_IbLb0EEEEDaS1P_S1Q_EUlS1P_E_NS1_11comp_targetILNS1_3genE4ELNS1_11target_archE910ELNS1_3gpuE8ELNS1_3repE0EEENS1_30default_config_static_selectorELNS0_4arch9wavefront6targetE0EEEvS12_.has_recursion, 0
	.set _ZN7rocprim17ROCPRIM_400000_NS6detail17trampoline_kernelINS0_13select_configILj256ELj13ELNS0_17block_load_methodE3ELS4_3ELS4_3ELNS0_20block_scan_algorithmE0ELj4294967295EEENS1_25partition_config_selectorILNS1_17partition_subalgoE4EjNS0_10empty_typeEbEEZZNS1_14partition_implILS8_4ELb0ES6_15HIP_vector_typeIjLj2EENS0_17counting_iteratorIjlEEPS9_SG_NS0_5tupleIJPjSI_NS0_16reverse_iteratorISI_EEEEENSH_IJSG_SG_SG_EEES9_SI_JZNS1_25segmented_radix_sort_implINS0_14default_configELb0EPKbPbPKlPlN2at6native12_GLOBAL__N_18offset_tEEE10hipError_tPvRmT1_PNSt15iterator_traitsIS12_E10value_typeET2_T3_PNS13_IS18_E10value_typeET4_jRbjT5_S1E_jjP12ihipStream_tbEUljE_ZNSN_ISO_Lb0ESQ_SR_ST_SU_SY_EESZ_S10_S11_S12_S16_S17_S18_S1B_S1C_jS1D_jS1E_S1E_jjS1G_bEUljE0_EEESZ_S10_S11_S18_S1C_S1E_T6_T7_T9_mT8_S1G_bDpT10_ENKUlT_T0_E_clISt17integral_constantIbLb1EES1T_IbLb0EEEEDaS1P_S1Q_EUlS1P_E_NS1_11comp_targetILNS1_3genE4ELNS1_11target_archE910ELNS1_3gpuE8ELNS1_3repE0EEENS1_30default_config_static_selectorELNS0_4arch9wavefront6targetE0EEEvS12_.has_indirect_call, 0
	.section	.AMDGPU.csdata,"",@progbits
; Kernel info:
; codeLenInByte = 0
; TotalNumSgprs: 0
; NumVgprs: 0
; ScratchSize: 0
; MemoryBound: 0
; FloatMode: 240
; IeeeMode: 1
; LDSByteSize: 0 bytes/workgroup (compile time only)
; SGPRBlocks: 0
; VGPRBlocks: 0
; NumSGPRsForWavesPerEU: 1
; NumVGPRsForWavesPerEU: 1
; Occupancy: 16
; WaveLimiterHint : 0
; COMPUTE_PGM_RSRC2:SCRATCH_EN: 0
; COMPUTE_PGM_RSRC2:USER_SGPR: 2
; COMPUTE_PGM_RSRC2:TRAP_HANDLER: 0
; COMPUTE_PGM_RSRC2:TGID_X_EN: 1
; COMPUTE_PGM_RSRC2:TGID_Y_EN: 0
; COMPUTE_PGM_RSRC2:TGID_Z_EN: 0
; COMPUTE_PGM_RSRC2:TIDIG_COMP_CNT: 0
	.section	.text._ZN7rocprim17ROCPRIM_400000_NS6detail17trampoline_kernelINS0_13select_configILj256ELj13ELNS0_17block_load_methodE3ELS4_3ELS4_3ELNS0_20block_scan_algorithmE0ELj4294967295EEENS1_25partition_config_selectorILNS1_17partition_subalgoE4EjNS0_10empty_typeEbEEZZNS1_14partition_implILS8_4ELb0ES6_15HIP_vector_typeIjLj2EENS0_17counting_iteratorIjlEEPS9_SG_NS0_5tupleIJPjSI_NS0_16reverse_iteratorISI_EEEEENSH_IJSG_SG_SG_EEES9_SI_JZNS1_25segmented_radix_sort_implINS0_14default_configELb0EPKbPbPKlPlN2at6native12_GLOBAL__N_18offset_tEEE10hipError_tPvRmT1_PNSt15iterator_traitsIS12_E10value_typeET2_T3_PNS13_IS18_E10value_typeET4_jRbjT5_S1E_jjP12ihipStream_tbEUljE_ZNSN_ISO_Lb0ESQ_SR_ST_SU_SY_EESZ_S10_S11_S12_S16_S17_S18_S1B_S1C_jS1D_jS1E_S1E_jjS1G_bEUljE0_EEESZ_S10_S11_S18_S1C_S1E_T6_T7_T9_mT8_S1G_bDpT10_ENKUlT_T0_E_clISt17integral_constantIbLb1EES1T_IbLb0EEEEDaS1P_S1Q_EUlS1P_E_NS1_11comp_targetILNS1_3genE3ELNS1_11target_archE908ELNS1_3gpuE7ELNS1_3repE0EEENS1_30default_config_static_selectorELNS0_4arch9wavefront6targetE0EEEvS12_,"axG",@progbits,_ZN7rocprim17ROCPRIM_400000_NS6detail17trampoline_kernelINS0_13select_configILj256ELj13ELNS0_17block_load_methodE3ELS4_3ELS4_3ELNS0_20block_scan_algorithmE0ELj4294967295EEENS1_25partition_config_selectorILNS1_17partition_subalgoE4EjNS0_10empty_typeEbEEZZNS1_14partition_implILS8_4ELb0ES6_15HIP_vector_typeIjLj2EENS0_17counting_iteratorIjlEEPS9_SG_NS0_5tupleIJPjSI_NS0_16reverse_iteratorISI_EEEEENSH_IJSG_SG_SG_EEES9_SI_JZNS1_25segmented_radix_sort_implINS0_14default_configELb0EPKbPbPKlPlN2at6native12_GLOBAL__N_18offset_tEEE10hipError_tPvRmT1_PNSt15iterator_traitsIS12_E10value_typeET2_T3_PNS13_IS18_E10value_typeET4_jRbjT5_S1E_jjP12ihipStream_tbEUljE_ZNSN_ISO_Lb0ESQ_SR_ST_SU_SY_EESZ_S10_S11_S12_S16_S17_S18_S1B_S1C_jS1D_jS1E_S1E_jjS1G_bEUljE0_EEESZ_S10_S11_S18_S1C_S1E_T6_T7_T9_mT8_S1G_bDpT10_ENKUlT_T0_E_clISt17integral_constantIbLb1EES1T_IbLb0EEEEDaS1P_S1Q_EUlS1P_E_NS1_11comp_targetILNS1_3genE3ELNS1_11target_archE908ELNS1_3gpuE7ELNS1_3repE0EEENS1_30default_config_static_selectorELNS0_4arch9wavefront6targetE0EEEvS12_,comdat
	.globl	_ZN7rocprim17ROCPRIM_400000_NS6detail17trampoline_kernelINS0_13select_configILj256ELj13ELNS0_17block_load_methodE3ELS4_3ELS4_3ELNS0_20block_scan_algorithmE0ELj4294967295EEENS1_25partition_config_selectorILNS1_17partition_subalgoE4EjNS0_10empty_typeEbEEZZNS1_14partition_implILS8_4ELb0ES6_15HIP_vector_typeIjLj2EENS0_17counting_iteratorIjlEEPS9_SG_NS0_5tupleIJPjSI_NS0_16reverse_iteratorISI_EEEEENSH_IJSG_SG_SG_EEES9_SI_JZNS1_25segmented_radix_sort_implINS0_14default_configELb0EPKbPbPKlPlN2at6native12_GLOBAL__N_18offset_tEEE10hipError_tPvRmT1_PNSt15iterator_traitsIS12_E10value_typeET2_T3_PNS13_IS18_E10value_typeET4_jRbjT5_S1E_jjP12ihipStream_tbEUljE_ZNSN_ISO_Lb0ESQ_SR_ST_SU_SY_EESZ_S10_S11_S12_S16_S17_S18_S1B_S1C_jS1D_jS1E_S1E_jjS1G_bEUljE0_EEESZ_S10_S11_S18_S1C_S1E_T6_T7_T9_mT8_S1G_bDpT10_ENKUlT_T0_E_clISt17integral_constantIbLb1EES1T_IbLb0EEEEDaS1P_S1Q_EUlS1P_E_NS1_11comp_targetILNS1_3genE3ELNS1_11target_archE908ELNS1_3gpuE7ELNS1_3repE0EEENS1_30default_config_static_selectorELNS0_4arch9wavefront6targetE0EEEvS12_ ; -- Begin function _ZN7rocprim17ROCPRIM_400000_NS6detail17trampoline_kernelINS0_13select_configILj256ELj13ELNS0_17block_load_methodE3ELS4_3ELS4_3ELNS0_20block_scan_algorithmE0ELj4294967295EEENS1_25partition_config_selectorILNS1_17partition_subalgoE4EjNS0_10empty_typeEbEEZZNS1_14partition_implILS8_4ELb0ES6_15HIP_vector_typeIjLj2EENS0_17counting_iteratorIjlEEPS9_SG_NS0_5tupleIJPjSI_NS0_16reverse_iteratorISI_EEEEENSH_IJSG_SG_SG_EEES9_SI_JZNS1_25segmented_radix_sort_implINS0_14default_configELb0EPKbPbPKlPlN2at6native12_GLOBAL__N_18offset_tEEE10hipError_tPvRmT1_PNSt15iterator_traitsIS12_E10value_typeET2_T3_PNS13_IS18_E10value_typeET4_jRbjT5_S1E_jjP12ihipStream_tbEUljE_ZNSN_ISO_Lb0ESQ_SR_ST_SU_SY_EESZ_S10_S11_S12_S16_S17_S18_S1B_S1C_jS1D_jS1E_S1E_jjS1G_bEUljE0_EEESZ_S10_S11_S18_S1C_S1E_T6_T7_T9_mT8_S1G_bDpT10_ENKUlT_T0_E_clISt17integral_constantIbLb1EES1T_IbLb0EEEEDaS1P_S1Q_EUlS1P_E_NS1_11comp_targetILNS1_3genE3ELNS1_11target_archE908ELNS1_3gpuE7ELNS1_3repE0EEENS1_30default_config_static_selectorELNS0_4arch9wavefront6targetE0EEEvS12_
	.p2align	8
	.type	_ZN7rocprim17ROCPRIM_400000_NS6detail17trampoline_kernelINS0_13select_configILj256ELj13ELNS0_17block_load_methodE3ELS4_3ELS4_3ELNS0_20block_scan_algorithmE0ELj4294967295EEENS1_25partition_config_selectorILNS1_17partition_subalgoE4EjNS0_10empty_typeEbEEZZNS1_14partition_implILS8_4ELb0ES6_15HIP_vector_typeIjLj2EENS0_17counting_iteratorIjlEEPS9_SG_NS0_5tupleIJPjSI_NS0_16reverse_iteratorISI_EEEEENSH_IJSG_SG_SG_EEES9_SI_JZNS1_25segmented_radix_sort_implINS0_14default_configELb0EPKbPbPKlPlN2at6native12_GLOBAL__N_18offset_tEEE10hipError_tPvRmT1_PNSt15iterator_traitsIS12_E10value_typeET2_T3_PNS13_IS18_E10value_typeET4_jRbjT5_S1E_jjP12ihipStream_tbEUljE_ZNSN_ISO_Lb0ESQ_SR_ST_SU_SY_EESZ_S10_S11_S12_S16_S17_S18_S1B_S1C_jS1D_jS1E_S1E_jjS1G_bEUljE0_EEESZ_S10_S11_S18_S1C_S1E_T6_T7_T9_mT8_S1G_bDpT10_ENKUlT_T0_E_clISt17integral_constantIbLb1EES1T_IbLb0EEEEDaS1P_S1Q_EUlS1P_E_NS1_11comp_targetILNS1_3genE3ELNS1_11target_archE908ELNS1_3gpuE7ELNS1_3repE0EEENS1_30default_config_static_selectorELNS0_4arch9wavefront6targetE0EEEvS12_,@function
_ZN7rocprim17ROCPRIM_400000_NS6detail17trampoline_kernelINS0_13select_configILj256ELj13ELNS0_17block_load_methodE3ELS4_3ELS4_3ELNS0_20block_scan_algorithmE0ELj4294967295EEENS1_25partition_config_selectorILNS1_17partition_subalgoE4EjNS0_10empty_typeEbEEZZNS1_14partition_implILS8_4ELb0ES6_15HIP_vector_typeIjLj2EENS0_17counting_iteratorIjlEEPS9_SG_NS0_5tupleIJPjSI_NS0_16reverse_iteratorISI_EEEEENSH_IJSG_SG_SG_EEES9_SI_JZNS1_25segmented_radix_sort_implINS0_14default_configELb0EPKbPbPKlPlN2at6native12_GLOBAL__N_18offset_tEEE10hipError_tPvRmT1_PNSt15iterator_traitsIS12_E10value_typeET2_T3_PNS13_IS18_E10value_typeET4_jRbjT5_S1E_jjP12ihipStream_tbEUljE_ZNSN_ISO_Lb0ESQ_SR_ST_SU_SY_EESZ_S10_S11_S12_S16_S17_S18_S1B_S1C_jS1D_jS1E_S1E_jjS1G_bEUljE0_EEESZ_S10_S11_S18_S1C_S1E_T6_T7_T9_mT8_S1G_bDpT10_ENKUlT_T0_E_clISt17integral_constantIbLb1EES1T_IbLb0EEEEDaS1P_S1Q_EUlS1P_E_NS1_11comp_targetILNS1_3genE3ELNS1_11target_archE908ELNS1_3gpuE7ELNS1_3repE0EEENS1_30default_config_static_selectorELNS0_4arch9wavefront6targetE0EEEvS12_: ; @_ZN7rocprim17ROCPRIM_400000_NS6detail17trampoline_kernelINS0_13select_configILj256ELj13ELNS0_17block_load_methodE3ELS4_3ELS4_3ELNS0_20block_scan_algorithmE0ELj4294967295EEENS1_25partition_config_selectorILNS1_17partition_subalgoE4EjNS0_10empty_typeEbEEZZNS1_14partition_implILS8_4ELb0ES6_15HIP_vector_typeIjLj2EENS0_17counting_iteratorIjlEEPS9_SG_NS0_5tupleIJPjSI_NS0_16reverse_iteratorISI_EEEEENSH_IJSG_SG_SG_EEES9_SI_JZNS1_25segmented_radix_sort_implINS0_14default_configELb0EPKbPbPKlPlN2at6native12_GLOBAL__N_18offset_tEEE10hipError_tPvRmT1_PNSt15iterator_traitsIS12_E10value_typeET2_T3_PNS13_IS18_E10value_typeET4_jRbjT5_S1E_jjP12ihipStream_tbEUljE_ZNSN_ISO_Lb0ESQ_SR_ST_SU_SY_EESZ_S10_S11_S12_S16_S17_S18_S1B_S1C_jS1D_jS1E_S1E_jjS1G_bEUljE0_EEESZ_S10_S11_S18_S1C_S1E_T6_T7_T9_mT8_S1G_bDpT10_ENKUlT_T0_E_clISt17integral_constantIbLb1EES1T_IbLb0EEEEDaS1P_S1Q_EUlS1P_E_NS1_11comp_targetILNS1_3genE3ELNS1_11target_archE908ELNS1_3gpuE7ELNS1_3repE0EEENS1_30default_config_static_selectorELNS0_4arch9wavefront6targetE0EEEvS12_
; %bb.0:
	.section	.rodata,"a",@progbits
	.p2align	6, 0x0
	.amdhsa_kernel _ZN7rocprim17ROCPRIM_400000_NS6detail17trampoline_kernelINS0_13select_configILj256ELj13ELNS0_17block_load_methodE3ELS4_3ELS4_3ELNS0_20block_scan_algorithmE0ELj4294967295EEENS1_25partition_config_selectorILNS1_17partition_subalgoE4EjNS0_10empty_typeEbEEZZNS1_14partition_implILS8_4ELb0ES6_15HIP_vector_typeIjLj2EENS0_17counting_iteratorIjlEEPS9_SG_NS0_5tupleIJPjSI_NS0_16reverse_iteratorISI_EEEEENSH_IJSG_SG_SG_EEES9_SI_JZNS1_25segmented_radix_sort_implINS0_14default_configELb0EPKbPbPKlPlN2at6native12_GLOBAL__N_18offset_tEEE10hipError_tPvRmT1_PNSt15iterator_traitsIS12_E10value_typeET2_T3_PNS13_IS18_E10value_typeET4_jRbjT5_S1E_jjP12ihipStream_tbEUljE_ZNSN_ISO_Lb0ESQ_SR_ST_SU_SY_EESZ_S10_S11_S12_S16_S17_S18_S1B_S1C_jS1D_jS1E_S1E_jjS1G_bEUljE0_EEESZ_S10_S11_S18_S1C_S1E_T6_T7_T9_mT8_S1G_bDpT10_ENKUlT_T0_E_clISt17integral_constantIbLb1EES1T_IbLb0EEEEDaS1P_S1Q_EUlS1P_E_NS1_11comp_targetILNS1_3genE3ELNS1_11target_archE908ELNS1_3gpuE7ELNS1_3repE0EEENS1_30default_config_static_selectorELNS0_4arch9wavefront6targetE0EEEvS12_
		.amdhsa_group_segment_fixed_size 0
		.amdhsa_private_segment_fixed_size 0
		.amdhsa_kernarg_size 176
		.amdhsa_user_sgpr_count 2
		.amdhsa_user_sgpr_dispatch_ptr 0
		.amdhsa_user_sgpr_queue_ptr 0
		.amdhsa_user_sgpr_kernarg_segment_ptr 1
		.amdhsa_user_sgpr_dispatch_id 0
		.amdhsa_user_sgpr_private_segment_size 0
		.amdhsa_wavefront_size32 1
		.amdhsa_uses_dynamic_stack 0
		.amdhsa_enable_private_segment 0
		.amdhsa_system_sgpr_workgroup_id_x 1
		.amdhsa_system_sgpr_workgroup_id_y 0
		.amdhsa_system_sgpr_workgroup_id_z 0
		.amdhsa_system_sgpr_workgroup_info 0
		.amdhsa_system_vgpr_workitem_id 0
		.amdhsa_next_free_vgpr 1
		.amdhsa_next_free_sgpr 1
		.amdhsa_reserve_vcc 0
		.amdhsa_float_round_mode_32 0
		.amdhsa_float_round_mode_16_64 0
		.amdhsa_float_denorm_mode_32 3
		.amdhsa_float_denorm_mode_16_64 3
		.amdhsa_fp16_overflow 0
		.amdhsa_workgroup_processor_mode 1
		.amdhsa_memory_ordered 1
		.amdhsa_forward_progress 1
		.amdhsa_inst_pref_size 0
		.amdhsa_round_robin_scheduling 0
		.amdhsa_exception_fp_ieee_invalid_op 0
		.amdhsa_exception_fp_denorm_src 0
		.amdhsa_exception_fp_ieee_div_zero 0
		.amdhsa_exception_fp_ieee_overflow 0
		.amdhsa_exception_fp_ieee_underflow 0
		.amdhsa_exception_fp_ieee_inexact 0
		.amdhsa_exception_int_div_zero 0
	.end_amdhsa_kernel
	.section	.text._ZN7rocprim17ROCPRIM_400000_NS6detail17trampoline_kernelINS0_13select_configILj256ELj13ELNS0_17block_load_methodE3ELS4_3ELS4_3ELNS0_20block_scan_algorithmE0ELj4294967295EEENS1_25partition_config_selectorILNS1_17partition_subalgoE4EjNS0_10empty_typeEbEEZZNS1_14partition_implILS8_4ELb0ES6_15HIP_vector_typeIjLj2EENS0_17counting_iteratorIjlEEPS9_SG_NS0_5tupleIJPjSI_NS0_16reverse_iteratorISI_EEEEENSH_IJSG_SG_SG_EEES9_SI_JZNS1_25segmented_radix_sort_implINS0_14default_configELb0EPKbPbPKlPlN2at6native12_GLOBAL__N_18offset_tEEE10hipError_tPvRmT1_PNSt15iterator_traitsIS12_E10value_typeET2_T3_PNS13_IS18_E10value_typeET4_jRbjT5_S1E_jjP12ihipStream_tbEUljE_ZNSN_ISO_Lb0ESQ_SR_ST_SU_SY_EESZ_S10_S11_S12_S16_S17_S18_S1B_S1C_jS1D_jS1E_S1E_jjS1G_bEUljE0_EEESZ_S10_S11_S18_S1C_S1E_T6_T7_T9_mT8_S1G_bDpT10_ENKUlT_T0_E_clISt17integral_constantIbLb1EES1T_IbLb0EEEEDaS1P_S1Q_EUlS1P_E_NS1_11comp_targetILNS1_3genE3ELNS1_11target_archE908ELNS1_3gpuE7ELNS1_3repE0EEENS1_30default_config_static_selectorELNS0_4arch9wavefront6targetE0EEEvS12_,"axG",@progbits,_ZN7rocprim17ROCPRIM_400000_NS6detail17trampoline_kernelINS0_13select_configILj256ELj13ELNS0_17block_load_methodE3ELS4_3ELS4_3ELNS0_20block_scan_algorithmE0ELj4294967295EEENS1_25partition_config_selectorILNS1_17partition_subalgoE4EjNS0_10empty_typeEbEEZZNS1_14partition_implILS8_4ELb0ES6_15HIP_vector_typeIjLj2EENS0_17counting_iteratorIjlEEPS9_SG_NS0_5tupleIJPjSI_NS0_16reverse_iteratorISI_EEEEENSH_IJSG_SG_SG_EEES9_SI_JZNS1_25segmented_radix_sort_implINS0_14default_configELb0EPKbPbPKlPlN2at6native12_GLOBAL__N_18offset_tEEE10hipError_tPvRmT1_PNSt15iterator_traitsIS12_E10value_typeET2_T3_PNS13_IS18_E10value_typeET4_jRbjT5_S1E_jjP12ihipStream_tbEUljE_ZNSN_ISO_Lb0ESQ_SR_ST_SU_SY_EESZ_S10_S11_S12_S16_S17_S18_S1B_S1C_jS1D_jS1E_S1E_jjS1G_bEUljE0_EEESZ_S10_S11_S18_S1C_S1E_T6_T7_T9_mT8_S1G_bDpT10_ENKUlT_T0_E_clISt17integral_constantIbLb1EES1T_IbLb0EEEEDaS1P_S1Q_EUlS1P_E_NS1_11comp_targetILNS1_3genE3ELNS1_11target_archE908ELNS1_3gpuE7ELNS1_3repE0EEENS1_30default_config_static_selectorELNS0_4arch9wavefront6targetE0EEEvS12_,comdat
.Lfunc_end1590:
	.size	_ZN7rocprim17ROCPRIM_400000_NS6detail17trampoline_kernelINS0_13select_configILj256ELj13ELNS0_17block_load_methodE3ELS4_3ELS4_3ELNS0_20block_scan_algorithmE0ELj4294967295EEENS1_25partition_config_selectorILNS1_17partition_subalgoE4EjNS0_10empty_typeEbEEZZNS1_14partition_implILS8_4ELb0ES6_15HIP_vector_typeIjLj2EENS0_17counting_iteratorIjlEEPS9_SG_NS0_5tupleIJPjSI_NS0_16reverse_iteratorISI_EEEEENSH_IJSG_SG_SG_EEES9_SI_JZNS1_25segmented_radix_sort_implINS0_14default_configELb0EPKbPbPKlPlN2at6native12_GLOBAL__N_18offset_tEEE10hipError_tPvRmT1_PNSt15iterator_traitsIS12_E10value_typeET2_T3_PNS13_IS18_E10value_typeET4_jRbjT5_S1E_jjP12ihipStream_tbEUljE_ZNSN_ISO_Lb0ESQ_SR_ST_SU_SY_EESZ_S10_S11_S12_S16_S17_S18_S1B_S1C_jS1D_jS1E_S1E_jjS1G_bEUljE0_EEESZ_S10_S11_S18_S1C_S1E_T6_T7_T9_mT8_S1G_bDpT10_ENKUlT_T0_E_clISt17integral_constantIbLb1EES1T_IbLb0EEEEDaS1P_S1Q_EUlS1P_E_NS1_11comp_targetILNS1_3genE3ELNS1_11target_archE908ELNS1_3gpuE7ELNS1_3repE0EEENS1_30default_config_static_selectorELNS0_4arch9wavefront6targetE0EEEvS12_, .Lfunc_end1590-_ZN7rocprim17ROCPRIM_400000_NS6detail17trampoline_kernelINS0_13select_configILj256ELj13ELNS0_17block_load_methodE3ELS4_3ELS4_3ELNS0_20block_scan_algorithmE0ELj4294967295EEENS1_25partition_config_selectorILNS1_17partition_subalgoE4EjNS0_10empty_typeEbEEZZNS1_14partition_implILS8_4ELb0ES6_15HIP_vector_typeIjLj2EENS0_17counting_iteratorIjlEEPS9_SG_NS0_5tupleIJPjSI_NS0_16reverse_iteratorISI_EEEEENSH_IJSG_SG_SG_EEES9_SI_JZNS1_25segmented_radix_sort_implINS0_14default_configELb0EPKbPbPKlPlN2at6native12_GLOBAL__N_18offset_tEEE10hipError_tPvRmT1_PNSt15iterator_traitsIS12_E10value_typeET2_T3_PNS13_IS18_E10value_typeET4_jRbjT5_S1E_jjP12ihipStream_tbEUljE_ZNSN_ISO_Lb0ESQ_SR_ST_SU_SY_EESZ_S10_S11_S12_S16_S17_S18_S1B_S1C_jS1D_jS1E_S1E_jjS1G_bEUljE0_EEESZ_S10_S11_S18_S1C_S1E_T6_T7_T9_mT8_S1G_bDpT10_ENKUlT_T0_E_clISt17integral_constantIbLb1EES1T_IbLb0EEEEDaS1P_S1Q_EUlS1P_E_NS1_11comp_targetILNS1_3genE3ELNS1_11target_archE908ELNS1_3gpuE7ELNS1_3repE0EEENS1_30default_config_static_selectorELNS0_4arch9wavefront6targetE0EEEvS12_
                                        ; -- End function
	.set _ZN7rocprim17ROCPRIM_400000_NS6detail17trampoline_kernelINS0_13select_configILj256ELj13ELNS0_17block_load_methodE3ELS4_3ELS4_3ELNS0_20block_scan_algorithmE0ELj4294967295EEENS1_25partition_config_selectorILNS1_17partition_subalgoE4EjNS0_10empty_typeEbEEZZNS1_14partition_implILS8_4ELb0ES6_15HIP_vector_typeIjLj2EENS0_17counting_iteratorIjlEEPS9_SG_NS0_5tupleIJPjSI_NS0_16reverse_iteratorISI_EEEEENSH_IJSG_SG_SG_EEES9_SI_JZNS1_25segmented_radix_sort_implINS0_14default_configELb0EPKbPbPKlPlN2at6native12_GLOBAL__N_18offset_tEEE10hipError_tPvRmT1_PNSt15iterator_traitsIS12_E10value_typeET2_T3_PNS13_IS18_E10value_typeET4_jRbjT5_S1E_jjP12ihipStream_tbEUljE_ZNSN_ISO_Lb0ESQ_SR_ST_SU_SY_EESZ_S10_S11_S12_S16_S17_S18_S1B_S1C_jS1D_jS1E_S1E_jjS1G_bEUljE0_EEESZ_S10_S11_S18_S1C_S1E_T6_T7_T9_mT8_S1G_bDpT10_ENKUlT_T0_E_clISt17integral_constantIbLb1EES1T_IbLb0EEEEDaS1P_S1Q_EUlS1P_E_NS1_11comp_targetILNS1_3genE3ELNS1_11target_archE908ELNS1_3gpuE7ELNS1_3repE0EEENS1_30default_config_static_selectorELNS0_4arch9wavefront6targetE0EEEvS12_.num_vgpr, 0
	.set _ZN7rocprim17ROCPRIM_400000_NS6detail17trampoline_kernelINS0_13select_configILj256ELj13ELNS0_17block_load_methodE3ELS4_3ELS4_3ELNS0_20block_scan_algorithmE0ELj4294967295EEENS1_25partition_config_selectorILNS1_17partition_subalgoE4EjNS0_10empty_typeEbEEZZNS1_14partition_implILS8_4ELb0ES6_15HIP_vector_typeIjLj2EENS0_17counting_iteratorIjlEEPS9_SG_NS0_5tupleIJPjSI_NS0_16reverse_iteratorISI_EEEEENSH_IJSG_SG_SG_EEES9_SI_JZNS1_25segmented_radix_sort_implINS0_14default_configELb0EPKbPbPKlPlN2at6native12_GLOBAL__N_18offset_tEEE10hipError_tPvRmT1_PNSt15iterator_traitsIS12_E10value_typeET2_T3_PNS13_IS18_E10value_typeET4_jRbjT5_S1E_jjP12ihipStream_tbEUljE_ZNSN_ISO_Lb0ESQ_SR_ST_SU_SY_EESZ_S10_S11_S12_S16_S17_S18_S1B_S1C_jS1D_jS1E_S1E_jjS1G_bEUljE0_EEESZ_S10_S11_S18_S1C_S1E_T6_T7_T9_mT8_S1G_bDpT10_ENKUlT_T0_E_clISt17integral_constantIbLb1EES1T_IbLb0EEEEDaS1P_S1Q_EUlS1P_E_NS1_11comp_targetILNS1_3genE3ELNS1_11target_archE908ELNS1_3gpuE7ELNS1_3repE0EEENS1_30default_config_static_selectorELNS0_4arch9wavefront6targetE0EEEvS12_.num_agpr, 0
	.set _ZN7rocprim17ROCPRIM_400000_NS6detail17trampoline_kernelINS0_13select_configILj256ELj13ELNS0_17block_load_methodE3ELS4_3ELS4_3ELNS0_20block_scan_algorithmE0ELj4294967295EEENS1_25partition_config_selectorILNS1_17partition_subalgoE4EjNS0_10empty_typeEbEEZZNS1_14partition_implILS8_4ELb0ES6_15HIP_vector_typeIjLj2EENS0_17counting_iteratorIjlEEPS9_SG_NS0_5tupleIJPjSI_NS0_16reverse_iteratorISI_EEEEENSH_IJSG_SG_SG_EEES9_SI_JZNS1_25segmented_radix_sort_implINS0_14default_configELb0EPKbPbPKlPlN2at6native12_GLOBAL__N_18offset_tEEE10hipError_tPvRmT1_PNSt15iterator_traitsIS12_E10value_typeET2_T3_PNS13_IS18_E10value_typeET4_jRbjT5_S1E_jjP12ihipStream_tbEUljE_ZNSN_ISO_Lb0ESQ_SR_ST_SU_SY_EESZ_S10_S11_S12_S16_S17_S18_S1B_S1C_jS1D_jS1E_S1E_jjS1G_bEUljE0_EEESZ_S10_S11_S18_S1C_S1E_T6_T7_T9_mT8_S1G_bDpT10_ENKUlT_T0_E_clISt17integral_constantIbLb1EES1T_IbLb0EEEEDaS1P_S1Q_EUlS1P_E_NS1_11comp_targetILNS1_3genE3ELNS1_11target_archE908ELNS1_3gpuE7ELNS1_3repE0EEENS1_30default_config_static_selectorELNS0_4arch9wavefront6targetE0EEEvS12_.numbered_sgpr, 0
	.set _ZN7rocprim17ROCPRIM_400000_NS6detail17trampoline_kernelINS0_13select_configILj256ELj13ELNS0_17block_load_methodE3ELS4_3ELS4_3ELNS0_20block_scan_algorithmE0ELj4294967295EEENS1_25partition_config_selectorILNS1_17partition_subalgoE4EjNS0_10empty_typeEbEEZZNS1_14partition_implILS8_4ELb0ES6_15HIP_vector_typeIjLj2EENS0_17counting_iteratorIjlEEPS9_SG_NS0_5tupleIJPjSI_NS0_16reverse_iteratorISI_EEEEENSH_IJSG_SG_SG_EEES9_SI_JZNS1_25segmented_radix_sort_implINS0_14default_configELb0EPKbPbPKlPlN2at6native12_GLOBAL__N_18offset_tEEE10hipError_tPvRmT1_PNSt15iterator_traitsIS12_E10value_typeET2_T3_PNS13_IS18_E10value_typeET4_jRbjT5_S1E_jjP12ihipStream_tbEUljE_ZNSN_ISO_Lb0ESQ_SR_ST_SU_SY_EESZ_S10_S11_S12_S16_S17_S18_S1B_S1C_jS1D_jS1E_S1E_jjS1G_bEUljE0_EEESZ_S10_S11_S18_S1C_S1E_T6_T7_T9_mT8_S1G_bDpT10_ENKUlT_T0_E_clISt17integral_constantIbLb1EES1T_IbLb0EEEEDaS1P_S1Q_EUlS1P_E_NS1_11comp_targetILNS1_3genE3ELNS1_11target_archE908ELNS1_3gpuE7ELNS1_3repE0EEENS1_30default_config_static_selectorELNS0_4arch9wavefront6targetE0EEEvS12_.num_named_barrier, 0
	.set _ZN7rocprim17ROCPRIM_400000_NS6detail17trampoline_kernelINS0_13select_configILj256ELj13ELNS0_17block_load_methodE3ELS4_3ELS4_3ELNS0_20block_scan_algorithmE0ELj4294967295EEENS1_25partition_config_selectorILNS1_17partition_subalgoE4EjNS0_10empty_typeEbEEZZNS1_14partition_implILS8_4ELb0ES6_15HIP_vector_typeIjLj2EENS0_17counting_iteratorIjlEEPS9_SG_NS0_5tupleIJPjSI_NS0_16reverse_iteratorISI_EEEEENSH_IJSG_SG_SG_EEES9_SI_JZNS1_25segmented_radix_sort_implINS0_14default_configELb0EPKbPbPKlPlN2at6native12_GLOBAL__N_18offset_tEEE10hipError_tPvRmT1_PNSt15iterator_traitsIS12_E10value_typeET2_T3_PNS13_IS18_E10value_typeET4_jRbjT5_S1E_jjP12ihipStream_tbEUljE_ZNSN_ISO_Lb0ESQ_SR_ST_SU_SY_EESZ_S10_S11_S12_S16_S17_S18_S1B_S1C_jS1D_jS1E_S1E_jjS1G_bEUljE0_EEESZ_S10_S11_S18_S1C_S1E_T6_T7_T9_mT8_S1G_bDpT10_ENKUlT_T0_E_clISt17integral_constantIbLb1EES1T_IbLb0EEEEDaS1P_S1Q_EUlS1P_E_NS1_11comp_targetILNS1_3genE3ELNS1_11target_archE908ELNS1_3gpuE7ELNS1_3repE0EEENS1_30default_config_static_selectorELNS0_4arch9wavefront6targetE0EEEvS12_.private_seg_size, 0
	.set _ZN7rocprim17ROCPRIM_400000_NS6detail17trampoline_kernelINS0_13select_configILj256ELj13ELNS0_17block_load_methodE3ELS4_3ELS4_3ELNS0_20block_scan_algorithmE0ELj4294967295EEENS1_25partition_config_selectorILNS1_17partition_subalgoE4EjNS0_10empty_typeEbEEZZNS1_14partition_implILS8_4ELb0ES6_15HIP_vector_typeIjLj2EENS0_17counting_iteratorIjlEEPS9_SG_NS0_5tupleIJPjSI_NS0_16reverse_iteratorISI_EEEEENSH_IJSG_SG_SG_EEES9_SI_JZNS1_25segmented_radix_sort_implINS0_14default_configELb0EPKbPbPKlPlN2at6native12_GLOBAL__N_18offset_tEEE10hipError_tPvRmT1_PNSt15iterator_traitsIS12_E10value_typeET2_T3_PNS13_IS18_E10value_typeET4_jRbjT5_S1E_jjP12ihipStream_tbEUljE_ZNSN_ISO_Lb0ESQ_SR_ST_SU_SY_EESZ_S10_S11_S12_S16_S17_S18_S1B_S1C_jS1D_jS1E_S1E_jjS1G_bEUljE0_EEESZ_S10_S11_S18_S1C_S1E_T6_T7_T9_mT8_S1G_bDpT10_ENKUlT_T0_E_clISt17integral_constantIbLb1EES1T_IbLb0EEEEDaS1P_S1Q_EUlS1P_E_NS1_11comp_targetILNS1_3genE3ELNS1_11target_archE908ELNS1_3gpuE7ELNS1_3repE0EEENS1_30default_config_static_selectorELNS0_4arch9wavefront6targetE0EEEvS12_.uses_vcc, 0
	.set _ZN7rocprim17ROCPRIM_400000_NS6detail17trampoline_kernelINS0_13select_configILj256ELj13ELNS0_17block_load_methodE3ELS4_3ELS4_3ELNS0_20block_scan_algorithmE0ELj4294967295EEENS1_25partition_config_selectorILNS1_17partition_subalgoE4EjNS0_10empty_typeEbEEZZNS1_14partition_implILS8_4ELb0ES6_15HIP_vector_typeIjLj2EENS0_17counting_iteratorIjlEEPS9_SG_NS0_5tupleIJPjSI_NS0_16reverse_iteratorISI_EEEEENSH_IJSG_SG_SG_EEES9_SI_JZNS1_25segmented_radix_sort_implINS0_14default_configELb0EPKbPbPKlPlN2at6native12_GLOBAL__N_18offset_tEEE10hipError_tPvRmT1_PNSt15iterator_traitsIS12_E10value_typeET2_T3_PNS13_IS18_E10value_typeET4_jRbjT5_S1E_jjP12ihipStream_tbEUljE_ZNSN_ISO_Lb0ESQ_SR_ST_SU_SY_EESZ_S10_S11_S12_S16_S17_S18_S1B_S1C_jS1D_jS1E_S1E_jjS1G_bEUljE0_EEESZ_S10_S11_S18_S1C_S1E_T6_T7_T9_mT8_S1G_bDpT10_ENKUlT_T0_E_clISt17integral_constantIbLb1EES1T_IbLb0EEEEDaS1P_S1Q_EUlS1P_E_NS1_11comp_targetILNS1_3genE3ELNS1_11target_archE908ELNS1_3gpuE7ELNS1_3repE0EEENS1_30default_config_static_selectorELNS0_4arch9wavefront6targetE0EEEvS12_.uses_flat_scratch, 0
	.set _ZN7rocprim17ROCPRIM_400000_NS6detail17trampoline_kernelINS0_13select_configILj256ELj13ELNS0_17block_load_methodE3ELS4_3ELS4_3ELNS0_20block_scan_algorithmE0ELj4294967295EEENS1_25partition_config_selectorILNS1_17partition_subalgoE4EjNS0_10empty_typeEbEEZZNS1_14partition_implILS8_4ELb0ES6_15HIP_vector_typeIjLj2EENS0_17counting_iteratorIjlEEPS9_SG_NS0_5tupleIJPjSI_NS0_16reverse_iteratorISI_EEEEENSH_IJSG_SG_SG_EEES9_SI_JZNS1_25segmented_radix_sort_implINS0_14default_configELb0EPKbPbPKlPlN2at6native12_GLOBAL__N_18offset_tEEE10hipError_tPvRmT1_PNSt15iterator_traitsIS12_E10value_typeET2_T3_PNS13_IS18_E10value_typeET4_jRbjT5_S1E_jjP12ihipStream_tbEUljE_ZNSN_ISO_Lb0ESQ_SR_ST_SU_SY_EESZ_S10_S11_S12_S16_S17_S18_S1B_S1C_jS1D_jS1E_S1E_jjS1G_bEUljE0_EEESZ_S10_S11_S18_S1C_S1E_T6_T7_T9_mT8_S1G_bDpT10_ENKUlT_T0_E_clISt17integral_constantIbLb1EES1T_IbLb0EEEEDaS1P_S1Q_EUlS1P_E_NS1_11comp_targetILNS1_3genE3ELNS1_11target_archE908ELNS1_3gpuE7ELNS1_3repE0EEENS1_30default_config_static_selectorELNS0_4arch9wavefront6targetE0EEEvS12_.has_dyn_sized_stack, 0
	.set _ZN7rocprim17ROCPRIM_400000_NS6detail17trampoline_kernelINS0_13select_configILj256ELj13ELNS0_17block_load_methodE3ELS4_3ELS4_3ELNS0_20block_scan_algorithmE0ELj4294967295EEENS1_25partition_config_selectorILNS1_17partition_subalgoE4EjNS0_10empty_typeEbEEZZNS1_14partition_implILS8_4ELb0ES6_15HIP_vector_typeIjLj2EENS0_17counting_iteratorIjlEEPS9_SG_NS0_5tupleIJPjSI_NS0_16reverse_iteratorISI_EEEEENSH_IJSG_SG_SG_EEES9_SI_JZNS1_25segmented_radix_sort_implINS0_14default_configELb0EPKbPbPKlPlN2at6native12_GLOBAL__N_18offset_tEEE10hipError_tPvRmT1_PNSt15iterator_traitsIS12_E10value_typeET2_T3_PNS13_IS18_E10value_typeET4_jRbjT5_S1E_jjP12ihipStream_tbEUljE_ZNSN_ISO_Lb0ESQ_SR_ST_SU_SY_EESZ_S10_S11_S12_S16_S17_S18_S1B_S1C_jS1D_jS1E_S1E_jjS1G_bEUljE0_EEESZ_S10_S11_S18_S1C_S1E_T6_T7_T9_mT8_S1G_bDpT10_ENKUlT_T0_E_clISt17integral_constantIbLb1EES1T_IbLb0EEEEDaS1P_S1Q_EUlS1P_E_NS1_11comp_targetILNS1_3genE3ELNS1_11target_archE908ELNS1_3gpuE7ELNS1_3repE0EEENS1_30default_config_static_selectorELNS0_4arch9wavefront6targetE0EEEvS12_.has_recursion, 0
	.set _ZN7rocprim17ROCPRIM_400000_NS6detail17trampoline_kernelINS0_13select_configILj256ELj13ELNS0_17block_load_methodE3ELS4_3ELS4_3ELNS0_20block_scan_algorithmE0ELj4294967295EEENS1_25partition_config_selectorILNS1_17partition_subalgoE4EjNS0_10empty_typeEbEEZZNS1_14partition_implILS8_4ELb0ES6_15HIP_vector_typeIjLj2EENS0_17counting_iteratorIjlEEPS9_SG_NS0_5tupleIJPjSI_NS0_16reverse_iteratorISI_EEEEENSH_IJSG_SG_SG_EEES9_SI_JZNS1_25segmented_radix_sort_implINS0_14default_configELb0EPKbPbPKlPlN2at6native12_GLOBAL__N_18offset_tEEE10hipError_tPvRmT1_PNSt15iterator_traitsIS12_E10value_typeET2_T3_PNS13_IS18_E10value_typeET4_jRbjT5_S1E_jjP12ihipStream_tbEUljE_ZNSN_ISO_Lb0ESQ_SR_ST_SU_SY_EESZ_S10_S11_S12_S16_S17_S18_S1B_S1C_jS1D_jS1E_S1E_jjS1G_bEUljE0_EEESZ_S10_S11_S18_S1C_S1E_T6_T7_T9_mT8_S1G_bDpT10_ENKUlT_T0_E_clISt17integral_constantIbLb1EES1T_IbLb0EEEEDaS1P_S1Q_EUlS1P_E_NS1_11comp_targetILNS1_3genE3ELNS1_11target_archE908ELNS1_3gpuE7ELNS1_3repE0EEENS1_30default_config_static_selectorELNS0_4arch9wavefront6targetE0EEEvS12_.has_indirect_call, 0
	.section	.AMDGPU.csdata,"",@progbits
; Kernel info:
; codeLenInByte = 0
; TotalNumSgprs: 0
; NumVgprs: 0
; ScratchSize: 0
; MemoryBound: 0
; FloatMode: 240
; IeeeMode: 1
; LDSByteSize: 0 bytes/workgroup (compile time only)
; SGPRBlocks: 0
; VGPRBlocks: 0
; NumSGPRsForWavesPerEU: 1
; NumVGPRsForWavesPerEU: 1
; Occupancy: 16
; WaveLimiterHint : 0
; COMPUTE_PGM_RSRC2:SCRATCH_EN: 0
; COMPUTE_PGM_RSRC2:USER_SGPR: 2
; COMPUTE_PGM_RSRC2:TRAP_HANDLER: 0
; COMPUTE_PGM_RSRC2:TGID_X_EN: 1
; COMPUTE_PGM_RSRC2:TGID_Y_EN: 0
; COMPUTE_PGM_RSRC2:TGID_Z_EN: 0
; COMPUTE_PGM_RSRC2:TIDIG_COMP_CNT: 0
	.section	.text._ZN7rocprim17ROCPRIM_400000_NS6detail17trampoline_kernelINS0_13select_configILj256ELj13ELNS0_17block_load_methodE3ELS4_3ELS4_3ELNS0_20block_scan_algorithmE0ELj4294967295EEENS1_25partition_config_selectorILNS1_17partition_subalgoE4EjNS0_10empty_typeEbEEZZNS1_14partition_implILS8_4ELb0ES6_15HIP_vector_typeIjLj2EENS0_17counting_iteratorIjlEEPS9_SG_NS0_5tupleIJPjSI_NS0_16reverse_iteratorISI_EEEEENSH_IJSG_SG_SG_EEES9_SI_JZNS1_25segmented_radix_sort_implINS0_14default_configELb0EPKbPbPKlPlN2at6native12_GLOBAL__N_18offset_tEEE10hipError_tPvRmT1_PNSt15iterator_traitsIS12_E10value_typeET2_T3_PNS13_IS18_E10value_typeET4_jRbjT5_S1E_jjP12ihipStream_tbEUljE_ZNSN_ISO_Lb0ESQ_SR_ST_SU_SY_EESZ_S10_S11_S12_S16_S17_S18_S1B_S1C_jS1D_jS1E_S1E_jjS1G_bEUljE0_EEESZ_S10_S11_S18_S1C_S1E_T6_T7_T9_mT8_S1G_bDpT10_ENKUlT_T0_E_clISt17integral_constantIbLb1EES1T_IbLb0EEEEDaS1P_S1Q_EUlS1P_E_NS1_11comp_targetILNS1_3genE2ELNS1_11target_archE906ELNS1_3gpuE6ELNS1_3repE0EEENS1_30default_config_static_selectorELNS0_4arch9wavefront6targetE0EEEvS12_,"axG",@progbits,_ZN7rocprim17ROCPRIM_400000_NS6detail17trampoline_kernelINS0_13select_configILj256ELj13ELNS0_17block_load_methodE3ELS4_3ELS4_3ELNS0_20block_scan_algorithmE0ELj4294967295EEENS1_25partition_config_selectorILNS1_17partition_subalgoE4EjNS0_10empty_typeEbEEZZNS1_14partition_implILS8_4ELb0ES6_15HIP_vector_typeIjLj2EENS0_17counting_iteratorIjlEEPS9_SG_NS0_5tupleIJPjSI_NS0_16reverse_iteratorISI_EEEEENSH_IJSG_SG_SG_EEES9_SI_JZNS1_25segmented_radix_sort_implINS0_14default_configELb0EPKbPbPKlPlN2at6native12_GLOBAL__N_18offset_tEEE10hipError_tPvRmT1_PNSt15iterator_traitsIS12_E10value_typeET2_T3_PNS13_IS18_E10value_typeET4_jRbjT5_S1E_jjP12ihipStream_tbEUljE_ZNSN_ISO_Lb0ESQ_SR_ST_SU_SY_EESZ_S10_S11_S12_S16_S17_S18_S1B_S1C_jS1D_jS1E_S1E_jjS1G_bEUljE0_EEESZ_S10_S11_S18_S1C_S1E_T6_T7_T9_mT8_S1G_bDpT10_ENKUlT_T0_E_clISt17integral_constantIbLb1EES1T_IbLb0EEEEDaS1P_S1Q_EUlS1P_E_NS1_11comp_targetILNS1_3genE2ELNS1_11target_archE906ELNS1_3gpuE6ELNS1_3repE0EEENS1_30default_config_static_selectorELNS0_4arch9wavefront6targetE0EEEvS12_,comdat
	.globl	_ZN7rocprim17ROCPRIM_400000_NS6detail17trampoline_kernelINS0_13select_configILj256ELj13ELNS0_17block_load_methodE3ELS4_3ELS4_3ELNS0_20block_scan_algorithmE0ELj4294967295EEENS1_25partition_config_selectorILNS1_17partition_subalgoE4EjNS0_10empty_typeEbEEZZNS1_14partition_implILS8_4ELb0ES6_15HIP_vector_typeIjLj2EENS0_17counting_iteratorIjlEEPS9_SG_NS0_5tupleIJPjSI_NS0_16reverse_iteratorISI_EEEEENSH_IJSG_SG_SG_EEES9_SI_JZNS1_25segmented_radix_sort_implINS0_14default_configELb0EPKbPbPKlPlN2at6native12_GLOBAL__N_18offset_tEEE10hipError_tPvRmT1_PNSt15iterator_traitsIS12_E10value_typeET2_T3_PNS13_IS18_E10value_typeET4_jRbjT5_S1E_jjP12ihipStream_tbEUljE_ZNSN_ISO_Lb0ESQ_SR_ST_SU_SY_EESZ_S10_S11_S12_S16_S17_S18_S1B_S1C_jS1D_jS1E_S1E_jjS1G_bEUljE0_EEESZ_S10_S11_S18_S1C_S1E_T6_T7_T9_mT8_S1G_bDpT10_ENKUlT_T0_E_clISt17integral_constantIbLb1EES1T_IbLb0EEEEDaS1P_S1Q_EUlS1P_E_NS1_11comp_targetILNS1_3genE2ELNS1_11target_archE906ELNS1_3gpuE6ELNS1_3repE0EEENS1_30default_config_static_selectorELNS0_4arch9wavefront6targetE0EEEvS12_ ; -- Begin function _ZN7rocprim17ROCPRIM_400000_NS6detail17trampoline_kernelINS0_13select_configILj256ELj13ELNS0_17block_load_methodE3ELS4_3ELS4_3ELNS0_20block_scan_algorithmE0ELj4294967295EEENS1_25partition_config_selectorILNS1_17partition_subalgoE4EjNS0_10empty_typeEbEEZZNS1_14partition_implILS8_4ELb0ES6_15HIP_vector_typeIjLj2EENS0_17counting_iteratorIjlEEPS9_SG_NS0_5tupleIJPjSI_NS0_16reverse_iteratorISI_EEEEENSH_IJSG_SG_SG_EEES9_SI_JZNS1_25segmented_radix_sort_implINS0_14default_configELb0EPKbPbPKlPlN2at6native12_GLOBAL__N_18offset_tEEE10hipError_tPvRmT1_PNSt15iterator_traitsIS12_E10value_typeET2_T3_PNS13_IS18_E10value_typeET4_jRbjT5_S1E_jjP12ihipStream_tbEUljE_ZNSN_ISO_Lb0ESQ_SR_ST_SU_SY_EESZ_S10_S11_S12_S16_S17_S18_S1B_S1C_jS1D_jS1E_S1E_jjS1G_bEUljE0_EEESZ_S10_S11_S18_S1C_S1E_T6_T7_T9_mT8_S1G_bDpT10_ENKUlT_T0_E_clISt17integral_constantIbLb1EES1T_IbLb0EEEEDaS1P_S1Q_EUlS1P_E_NS1_11comp_targetILNS1_3genE2ELNS1_11target_archE906ELNS1_3gpuE6ELNS1_3repE0EEENS1_30default_config_static_selectorELNS0_4arch9wavefront6targetE0EEEvS12_
	.p2align	8
	.type	_ZN7rocprim17ROCPRIM_400000_NS6detail17trampoline_kernelINS0_13select_configILj256ELj13ELNS0_17block_load_methodE3ELS4_3ELS4_3ELNS0_20block_scan_algorithmE0ELj4294967295EEENS1_25partition_config_selectorILNS1_17partition_subalgoE4EjNS0_10empty_typeEbEEZZNS1_14partition_implILS8_4ELb0ES6_15HIP_vector_typeIjLj2EENS0_17counting_iteratorIjlEEPS9_SG_NS0_5tupleIJPjSI_NS0_16reverse_iteratorISI_EEEEENSH_IJSG_SG_SG_EEES9_SI_JZNS1_25segmented_radix_sort_implINS0_14default_configELb0EPKbPbPKlPlN2at6native12_GLOBAL__N_18offset_tEEE10hipError_tPvRmT1_PNSt15iterator_traitsIS12_E10value_typeET2_T3_PNS13_IS18_E10value_typeET4_jRbjT5_S1E_jjP12ihipStream_tbEUljE_ZNSN_ISO_Lb0ESQ_SR_ST_SU_SY_EESZ_S10_S11_S12_S16_S17_S18_S1B_S1C_jS1D_jS1E_S1E_jjS1G_bEUljE0_EEESZ_S10_S11_S18_S1C_S1E_T6_T7_T9_mT8_S1G_bDpT10_ENKUlT_T0_E_clISt17integral_constantIbLb1EES1T_IbLb0EEEEDaS1P_S1Q_EUlS1P_E_NS1_11comp_targetILNS1_3genE2ELNS1_11target_archE906ELNS1_3gpuE6ELNS1_3repE0EEENS1_30default_config_static_selectorELNS0_4arch9wavefront6targetE0EEEvS12_,@function
_ZN7rocprim17ROCPRIM_400000_NS6detail17trampoline_kernelINS0_13select_configILj256ELj13ELNS0_17block_load_methodE3ELS4_3ELS4_3ELNS0_20block_scan_algorithmE0ELj4294967295EEENS1_25partition_config_selectorILNS1_17partition_subalgoE4EjNS0_10empty_typeEbEEZZNS1_14partition_implILS8_4ELb0ES6_15HIP_vector_typeIjLj2EENS0_17counting_iteratorIjlEEPS9_SG_NS0_5tupleIJPjSI_NS0_16reverse_iteratorISI_EEEEENSH_IJSG_SG_SG_EEES9_SI_JZNS1_25segmented_radix_sort_implINS0_14default_configELb0EPKbPbPKlPlN2at6native12_GLOBAL__N_18offset_tEEE10hipError_tPvRmT1_PNSt15iterator_traitsIS12_E10value_typeET2_T3_PNS13_IS18_E10value_typeET4_jRbjT5_S1E_jjP12ihipStream_tbEUljE_ZNSN_ISO_Lb0ESQ_SR_ST_SU_SY_EESZ_S10_S11_S12_S16_S17_S18_S1B_S1C_jS1D_jS1E_S1E_jjS1G_bEUljE0_EEESZ_S10_S11_S18_S1C_S1E_T6_T7_T9_mT8_S1G_bDpT10_ENKUlT_T0_E_clISt17integral_constantIbLb1EES1T_IbLb0EEEEDaS1P_S1Q_EUlS1P_E_NS1_11comp_targetILNS1_3genE2ELNS1_11target_archE906ELNS1_3gpuE6ELNS1_3repE0EEENS1_30default_config_static_selectorELNS0_4arch9wavefront6targetE0EEEvS12_: ; @_ZN7rocprim17ROCPRIM_400000_NS6detail17trampoline_kernelINS0_13select_configILj256ELj13ELNS0_17block_load_methodE3ELS4_3ELS4_3ELNS0_20block_scan_algorithmE0ELj4294967295EEENS1_25partition_config_selectorILNS1_17partition_subalgoE4EjNS0_10empty_typeEbEEZZNS1_14partition_implILS8_4ELb0ES6_15HIP_vector_typeIjLj2EENS0_17counting_iteratorIjlEEPS9_SG_NS0_5tupleIJPjSI_NS0_16reverse_iteratorISI_EEEEENSH_IJSG_SG_SG_EEES9_SI_JZNS1_25segmented_radix_sort_implINS0_14default_configELb0EPKbPbPKlPlN2at6native12_GLOBAL__N_18offset_tEEE10hipError_tPvRmT1_PNSt15iterator_traitsIS12_E10value_typeET2_T3_PNS13_IS18_E10value_typeET4_jRbjT5_S1E_jjP12ihipStream_tbEUljE_ZNSN_ISO_Lb0ESQ_SR_ST_SU_SY_EESZ_S10_S11_S12_S16_S17_S18_S1B_S1C_jS1D_jS1E_S1E_jjS1G_bEUljE0_EEESZ_S10_S11_S18_S1C_S1E_T6_T7_T9_mT8_S1G_bDpT10_ENKUlT_T0_E_clISt17integral_constantIbLb1EES1T_IbLb0EEEEDaS1P_S1Q_EUlS1P_E_NS1_11comp_targetILNS1_3genE2ELNS1_11target_archE906ELNS1_3gpuE6ELNS1_3repE0EEENS1_30default_config_static_selectorELNS0_4arch9wavefront6targetE0EEEvS12_
; %bb.0:
	.section	.rodata,"a",@progbits
	.p2align	6, 0x0
	.amdhsa_kernel _ZN7rocprim17ROCPRIM_400000_NS6detail17trampoline_kernelINS0_13select_configILj256ELj13ELNS0_17block_load_methodE3ELS4_3ELS4_3ELNS0_20block_scan_algorithmE0ELj4294967295EEENS1_25partition_config_selectorILNS1_17partition_subalgoE4EjNS0_10empty_typeEbEEZZNS1_14partition_implILS8_4ELb0ES6_15HIP_vector_typeIjLj2EENS0_17counting_iteratorIjlEEPS9_SG_NS0_5tupleIJPjSI_NS0_16reverse_iteratorISI_EEEEENSH_IJSG_SG_SG_EEES9_SI_JZNS1_25segmented_radix_sort_implINS0_14default_configELb0EPKbPbPKlPlN2at6native12_GLOBAL__N_18offset_tEEE10hipError_tPvRmT1_PNSt15iterator_traitsIS12_E10value_typeET2_T3_PNS13_IS18_E10value_typeET4_jRbjT5_S1E_jjP12ihipStream_tbEUljE_ZNSN_ISO_Lb0ESQ_SR_ST_SU_SY_EESZ_S10_S11_S12_S16_S17_S18_S1B_S1C_jS1D_jS1E_S1E_jjS1G_bEUljE0_EEESZ_S10_S11_S18_S1C_S1E_T6_T7_T9_mT8_S1G_bDpT10_ENKUlT_T0_E_clISt17integral_constantIbLb1EES1T_IbLb0EEEEDaS1P_S1Q_EUlS1P_E_NS1_11comp_targetILNS1_3genE2ELNS1_11target_archE906ELNS1_3gpuE6ELNS1_3repE0EEENS1_30default_config_static_selectorELNS0_4arch9wavefront6targetE0EEEvS12_
		.amdhsa_group_segment_fixed_size 0
		.amdhsa_private_segment_fixed_size 0
		.amdhsa_kernarg_size 176
		.amdhsa_user_sgpr_count 2
		.amdhsa_user_sgpr_dispatch_ptr 0
		.amdhsa_user_sgpr_queue_ptr 0
		.amdhsa_user_sgpr_kernarg_segment_ptr 1
		.amdhsa_user_sgpr_dispatch_id 0
		.amdhsa_user_sgpr_private_segment_size 0
		.amdhsa_wavefront_size32 1
		.amdhsa_uses_dynamic_stack 0
		.amdhsa_enable_private_segment 0
		.amdhsa_system_sgpr_workgroup_id_x 1
		.amdhsa_system_sgpr_workgroup_id_y 0
		.amdhsa_system_sgpr_workgroup_id_z 0
		.amdhsa_system_sgpr_workgroup_info 0
		.amdhsa_system_vgpr_workitem_id 0
		.amdhsa_next_free_vgpr 1
		.amdhsa_next_free_sgpr 1
		.amdhsa_reserve_vcc 0
		.amdhsa_float_round_mode_32 0
		.amdhsa_float_round_mode_16_64 0
		.amdhsa_float_denorm_mode_32 3
		.amdhsa_float_denorm_mode_16_64 3
		.amdhsa_fp16_overflow 0
		.amdhsa_workgroup_processor_mode 1
		.amdhsa_memory_ordered 1
		.amdhsa_forward_progress 1
		.amdhsa_inst_pref_size 0
		.amdhsa_round_robin_scheduling 0
		.amdhsa_exception_fp_ieee_invalid_op 0
		.amdhsa_exception_fp_denorm_src 0
		.amdhsa_exception_fp_ieee_div_zero 0
		.amdhsa_exception_fp_ieee_overflow 0
		.amdhsa_exception_fp_ieee_underflow 0
		.amdhsa_exception_fp_ieee_inexact 0
		.amdhsa_exception_int_div_zero 0
	.end_amdhsa_kernel
	.section	.text._ZN7rocprim17ROCPRIM_400000_NS6detail17trampoline_kernelINS0_13select_configILj256ELj13ELNS0_17block_load_methodE3ELS4_3ELS4_3ELNS0_20block_scan_algorithmE0ELj4294967295EEENS1_25partition_config_selectorILNS1_17partition_subalgoE4EjNS0_10empty_typeEbEEZZNS1_14partition_implILS8_4ELb0ES6_15HIP_vector_typeIjLj2EENS0_17counting_iteratorIjlEEPS9_SG_NS0_5tupleIJPjSI_NS0_16reverse_iteratorISI_EEEEENSH_IJSG_SG_SG_EEES9_SI_JZNS1_25segmented_radix_sort_implINS0_14default_configELb0EPKbPbPKlPlN2at6native12_GLOBAL__N_18offset_tEEE10hipError_tPvRmT1_PNSt15iterator_traitsIS12_E10value_typeET2_T3_PNS13_IS18_E10value_typeET4_jRbjT5_S1E_jjP12ihipStream_tbEUljE_ZNSN_ISO_Lb0ESQ_SR_ST_SU_SY_EESZ_S10_S11_S12_S16_S17_S18_S1B_S1C_jS1D_jS1E_S1E_jjS1G_bEUljE0_EEESZ_S10_S11_S18_S1C_S1E_T6_T7_T9_mT8_S1G_bDpT10_ENKUlT_T0_E_clISt17integral_constantIbLb1EES1T_IbLb0EEEEDaS1P_S1Q_EUlS1P_E_NS1_11comp_targetILNS1_3genE2ELNS1_11target_archE906ELNS1_3gpuE6ELNS1_3repE0EEENS1_30default_config_static_selectorELNS0_4arch9wavefront6targetE0EEEvS12_,"axG",@progbits,_ZN7rocprim17ROCPRIM_400000_NS6detail17trampoline_kernelINS0_13select_configILj256ELj13ELNS0_17block_load_methodE3ELS4_3ELS4_3ELNS0_20block_scan_algorithmE0ELj4294967295EEENS1_25partition_config_selectorILNS1_17partition_subalgoE4EjNS0_10empty_typeEbEEZZNS1_14partition_implILS8_4ELb0ES6_15HIP_vector_typeIjLj2EENS0_17counting_iteratorIjlEEPS9_SG_NS0_5tupleIJPjSI_NS0_16reverse_iteratorISI_EEEEENSH_IJSG_SG_SG_EEES9_SI_JZNS1_25segmented_radix_sort_implINS0_14default_configELb0EPKbPbPKlPlN2at6native12_GLOBAL__N_18offset_tEEE10hipError_tPvRmT1_PNSt15iterator_traitsIS12_E10value_typeET2_T3_PNS13_IS18_E10value_typeET4_jRbjT5_S1E_jjP12ihipStream_tbEUljE_ZNSN_ISO_Lb0ESQ_SR_ST_SU_SY_EESZ_S10_S11_S12_S16_S17_S18_S1B_S1C_jS1D_jS1E_S1E_jjS1G_bEUljE0_EEESZ_S10_S11_S18_S1C_S1E_T6_T7_T9_mT8_S1G_bDpT10_ENKUlT_T0_E_clISt17integral_constantIbLb1EES1T_IbLb0EEEEDaS1P_S1Q_EUlS1P_E_NS1_11comp_targetILNS1_3genE2ELNS1_11target_archE906ELNS1_3gpuE6ELNS1_3repE0EEENS1_30default_config_static_selectorELNS0_4arch9wavefront6targetE0EEEvS12_,comdat
.Lfunc_end1591:
	.size	_ZN7rocprim17ROCPRIM_400000_NS6detail17trampoline_kernelINS0_13select_configILj256ELj13ELNS0_17block_load_methodE3ELS4_3ELS4_3ELNS0_20block_scan_algorithmE0ELj4294967295EEENS1_25partition_config_selectorILNS1_17partition_subalgoE4EjNS0_10empty_typeEbEEZZNS1_14partition_implILS8_4ELb0ES6_15HIP_vector_typeIjLj2EENS0_17counting_iteratorIjlEEPS9_SG_NS0_5tupleIJPjSI_NS0_16reverse_iteratorISI_EEEEENSH_IJSG_SG_SG_EEES9_SI_JZNS1_25segmented_radix_sort_implINS0_14default_configELb0EPKbPbPKlPlN2at6native12_GLOBAL__N_18offset_tEEE10hipError_tPvRmT1_PNSt15iterator_traitsIS12_E10value_typeET2_T3_PNS13_IS18_E10value_typeET4_jRbjT5_S1E_jjP12ihipStream_tbEUljE_ZNSN_ISO_Lb0ESQ_SR_ST_SU_SY_EESZ_S10_S11_S12_S16_S17_S18_S1B_S1C_jS1D_jS1E_S1E_jjS1G_bEUljE0_EEESZ_S10_S11_S18_S1C_S1E_T6_T7_T9_mT8_S1G_bDpT10_ENKUlT_T0_E_clISt17integral_constantIbLb1EES1T_IbLb0EEEEDaS1P_S1Q_EUlS1P_E_NS1_11comp_targetILNS1_3genE2ELNS1_11target_archE906ELNS1_3gpuE6ELNS1_3repE0EEENS1_30default_config_static_selectorELNS0_4arch9wavefront6targetE0EEEvS12_, .Lfunc_end1591-_ZN7rocprim17ROCPRIM_400000_NS6detail17trampoline_kernelINS0_13select_configILj256ELj13ELNS0_17block_load_methodE3ELS4_3ELS4_3ELNS0_20block_scan_algorithmE0ELj4294967295EEENS1_25partition_config_selectorILNS1_17partition_subalgoE4EjNS0_10empty_typeEbEEZZNS1_14partition_implILS8_4ELb0ES6_15HIP_vector_typeIjLj2EENS0_17counting_iteratorIjlEEPS9_SG_NS0_5tupleIJPjSI_NS0_16reverse_iteratorISI_EEEEENSH_IJSG_SG_SG_EEES9_SI_JZNS1_25segmented_radix_sort_implINS0_14default_configELb0EPKbPbPKlPlN2at6native12_GLOBAL__N_18offset_tEEE10hipError_tPvRmT1_PNSt15iterator_traitsIS12_E10value_typeET2_T3_PNS13_IS18_E10value_typeET4_jRbjT5_S1E_jjP12ihipStream_tbEUljE_ZNSN_ISO_Lb0ESQ_SR_ST_SU_SY_EESZ_S10_S11_S12_S16_S17_S18_S1B_S1C_jS1D_jS1E_S1E_jjS1G_bEUljE0_EEESZ_S10_S11_S18_S1C_S1E_T6_T7_T9_mT8_S1G_bDpT10_ENKUlT_T0_E_clISt17integral_constantIbLb1EES1T_IbLb0EEEEDaS1P_S1Q_EUlS1P_E_NS1_11comp_targetILNS1_3genE2ELNS1_11target_archE906ELNS1_3gpuE6ELNS1_3repE0EEENS1_30default_config_static_selectorELNS0_4arch9wavefront6targetE0EEEvS12_
                                        ; -- End function
	.set _ZN7rocprim17ROCPRIM_400000_NS6detail17trampoline_kernelINS0_13select_configILj256ELj13ELNS0_17block_load_methodE3ELS4_3ELS4_3ELNS0_20block_scan_algorithmE0ELj4294967295EEENS1_25partition_config_selectorILNS1_17partition_subalgoE4EjNS0_10empty_typeEbEEZZNS1_14partition_implILS8_4ELb0ES6_15HIP_vector_typeIjLj2EENS0_17counting_iteratorIjlEEPS9_SG_NS0_5tupleIJPjSI_NS0_16reverse_iteratorISI_EEEEENSH_IJSG_SG_SG_EEES9_SI_JZNS1_25segmented_radix_sort_implINS0_14default_configELb0EPKbPbPKlPlN2at6native12_GLOBAL__N_18offset_tEEE10hipError_tPvRmT1_PNSt15iterator_traitsIS12_E10value_typeET2_T3_PNS13_IS18_E10value_typeET4_jRbjT5_S1E_jjP12ihipStream_tbEUljE_ZNSN_ISO_Lb0ESQ_SR_ST_SU_SY_EESZ_S10_S11_S12_S16_S17_S18_S1B_S1C_jS1D_jS1E_S1E_jjS1G_bEUljE0_EEESZ_S10_S11_S18_S1C_S1E_T6_T7_T9_mT8_S1G_bDpT10_ENKUlT_T0_E_clISt17integral_constantIbLb1EES1T_IbLb0EEEEDaS1P_S1Q_EUlS1P_E_NS1_11comp_targetILNS1_3genE2ELNS1_11target_archE906ELNS1_3gpuE6ELNS1_3repE0EEENS1_30default_config_static_selectorELNS0_4arch9wavefront6targetE0EEEvS12_.num_vgpr, 0
	.set _ZN7rocprim17ROCPRIM_400000_NS6detail17trampoline_kernelINS0_13select_configILj256ELj13ELNS0_17block_load_methodE3ELS4_3ELS4_3ELNS0_20block_scan_algorithmE0ELj4294967295EEENS1_25partition_config_selectorILNS1_17partition_subalgoE4EjNS0_10empty_typeEbEEZZNS1_14partition_implILS8_4ELb0ES6_15HIP_vector_typeIjLj2EENS0_17counting_iteratorIjlEEPS9_SG_NS0_5tupleIJPjSI_NS0_16reverse_iteratorISI_EEEEENSH_IJSG_SG_SG_EEES9_SI_JZNS1_25segmented_radix_sort_implINS0_14default_configELb0EPKbPbPKlPlN2at6native12_GLOBAL__N_18offset_tEEE10hipError_tPvRmT1_PNSt15iterator_traitsIS12_E10value_typeET2_T3_PNS13_IS18_E10value_typeET4_jRbjT5_S1E_jjP12ihipStream_tbEUljE_ZNSN_ISO_Lb0ESQ_SR_ST_SU_SY_EESZ_S10_S11_S12_S16_S17_S18_S1B_S1C_jS1D_jS1E_S1E_jjS1G_bEUljE0_EEESZ_S10_S11_S18_S1C_S1E_T6_T7_T9_mT8_S1G_bDpT10_ENKUlT_T0_E_clISt17integral_constantIbLb1EES1T_IbLb0EEEEDaS1P_S1Q_EUlS1P_E_NS1_11comp_targetILNS1_3genE2ELNS1_11target_archE906ELNS1_3gpuE6ELNS1_3repE0EEENS1_30default_config_static_selectorELNS0_4arch9wavefront6targetE0EEEvS12_.num_agpr, 0
	.set _ZN7rocprim17ROCPRIM_400000_NS6detail17trampoline_kernelINS0_13select_configILj256ELj13ELNS0_17block_load_methodE3ELS4_3ELS4_3ELNS0_20block_scan_algorithmE0ELj4294967295EEENS1_25partition_config_selectorILNS1_17partition_subalgoE4EjNS0_10empty_typeEbEEZZNS1_14partition_implILS8_4ELb0ES6_15HIP_vector_typeIjLj2EENS0_17counting_iteratorIjlEEPS9_SG_NS0_5tupleIJPjSI_NS0_16reverse_iteratorISI_EEEEENSH_IJSG_SG_SG_EEES9_SI_JZNS1_25segmented_radix_sort_implINS0_14default_configELb0EPKbPbPKlPlN2at6native12_GLOBAL__N_18offset_tEEE10hipError_tPvRmT1_PNSt15iterator_traitsIS12_E10value_typeET2_T3_PNS13_IS18_E10value_typeET4_jRbjT5_S1E_jjP12ihipStream_tbEUljE_ZNSN_ISO_Lb0ESQ_SR_ST_SU_SY_EESZ_S10_S11_S12_S16_S17_S18_S1B_S1C_jS1D_jS1E_S1E_jjS1G_bEUljE0_EEESZ_S10_S11_S18_S1C_S1E_T6_T7_T9_mT8_S1G_bDpT10_ENKUlT_T0_E_clISt17integral_constantIbLb1EES1T_IbLb0EEEEDaS1P_S1Q_EUlS1P_E_NS1_11comp_targetILNS1_3genE2ELNS1_11target_archE906ELNS1_3gpuE6ELNS1_3repE0EEENS1_30default_config_static_selectorELNS0_4arch9wavefront6targetE0EEEvS12_.numbered_sgpr, 0
	.set _ZN7rocprim17ROCPRIM_400000_NS6detail17trampoline_kernelINS0_13select_configILj256ELj13ELNS0_17block_load_methodE3ELS4_3ELS4_3ELNS0_20block_scan_algorithmE0ELj4294967295EEENS1_25partition_config_selectorILNS1_17partition_subalgoE4EjNS0_10empty_typeEbEEZZNS1_14partition_implILS8_4ELb0ES6_15HIP_vector_typeIjLj2EENS0_17counting_iteratorIjlEEPS9_SG_NS0_5tupleIJPjSI_NS0_16reverse_iteratorISI_EEEEENSH_IJSG_SG_SG_EEES9_SI_JZNS1_25segmented_radix_sort_implINS0_14default_configELb0EPKbPbPKlPlN2at6native12_GLOBAL__N_18offset_tEEE10hipError_tPvRmT1_PNSt15iterator_traitsIS12_E10value_typeET2_T3_PNS13_IS18_E10value_typeET4_jRbjT5_S1E_jjP12ihipStream_tbEUljE_ZNSN_ISO_Lb0ESQ_SR_ST_SU_SY_EESZ_S10_S11_S12_S16_S17_S18_S1B_S1C_jS1D_jS1E_S1E_jjS1G_bEUljE0_EEESZ_S10_S11_S18_S1C_S1E_T6_T7_T9_mT8_S1G_bDpT10_ENKUlT_T0_E_clISt17integral_constantIbLb1EES1T_IbLb0EEEEDaS1P_S1Q_EUlS1P_E_NS1_11comp_targetILNS1_3genE2ELNS1_11target_archE906ELNS1_3gpuE6ELNS1_3repE0EEENS1_30default_config_static_selectorELNS0_4arch9wavefront6targetE0EEEvS12_.num_named_barrier, 0
	.set _ZN7rocprim17ROCPRIM_400000_NS6detail17trampoline_kernelINS0_13select_configILj256ELj13ELNS0_17block_load_methodE3ELS4_3ELS4_3ELNS0_20block_scan_algorithmE0ELj4294967295EEENS1_25partition_config_selectorILNS1_17partition_subalgoE4EjNS0_10empty_typeEbEEZZNS1_14partition_implILS8_4ELb0ES6_15HIP_vector_typeIjLj2EENS0_17counting_iteratorIjlEEPS9_SG_NS0_5tupleIJPjSI_NS0_16reverse_iteratorISI_EEEEENSH_IJSG_SG_SG_EEES9_SI_JZNS1_25segmented_radix_sort_implINS0_14default_configELb0EPKbPbPKlPlN2at6native12_GLOBAL__N_18offset_tEEE10hipError_tPvRmT1_PNSt15iterator_traitsIS12_E10value_typeET2_T3_PNS13_IS18_E10value_typeET4_jRbjT5_S1E_jjP12ihipStream_tbEUljE_ZNSN_ISO_Lb0ESQ_SR_ST_SU_SY_EESZ_S10_S11_S12_S16_S17_S18_S1B_S1C_jS1D_jS1E_S1E_jjS1G_bEUljE0_EEESZ_S10_S11_S18_S1C_S1E_T6_T7_T9_mT8_S1G_bDpT10_ENKUlT_T0_E_clISt17integral_constantIbLb1EES1T_IbLb0EEEEDaS1P_S1Q_EUlS1P_E_NS1_11comp_targetILNS1_3genE2ELNS1_11target_archE906ELNS1_3gpuE6ELNS1_3repE0EEENS1_30default_config_static_selectorELNS0_4arch9wavefront6targetE0EEEvS12_.private_seg_size, 0
	.set _ZN7rocprim17ROCPRIM_400000_NS6detail17trampoline_kernelINS0_13select_configILj256ELj13ELNS0_17block_load_methodE3ELS4_3ELS4_3ELNS0_20block_scan_algorithmE0ELj4294967295EEENS1_25partition_config_selectorILNS1_17partition_subalgoE4EjNS0_10empty_typeEbEEZZNS1_14partition_implILS8_4ELb0ES6_15HIP_vector_typeIjLj2EENS0_17counting_iteratorIjlEEPS9_SG_NS0_5tupleIJPjSI_NS0_16reverse_iteratorISI_EEEEENSH_IJSG_SG_SG_EEES9_SI_JZNS1_25segmented_radix_sort_implINS0_14default_configELb0EPKbPbPKlPlN2at6native12_GLOBAL__N_18offset_tEEE10hipError_tPvRmT1_PNSt15iterator_traitsIS12_E10value_typeET2_T3_PNS13_IS18_E10value_typeET4_jRbjT5_S1E_jjP12ihipStream_tbEUljE_ZNSN_ISO_Lb0ESQ_SR_ST_SU_SY_EESZ_S10_S11_S12_S16_S17_S18_S1B_S1C_jS1D_jS1E_S1E_jjS1G_bEUljE0_EEESZ_S10_S11_S18_S1C_S1E_T6_T7_T9_mT8_S1G_bDpT10_ENKUlT_T0_E_clISt17integral_constantIbLb1EES1T_IbLb0EEEEDaS1P_S1Q_EUlS1P_E_NS1_11comp_targetILNS1_3genE2ELNS1_11target_archE906ELNS1_3gpuE6ELNS1_3repE0EEENS1_30default_config_static_selectorELNS0_4arch9wavefront6targetE0EEEvS12_.uses_vcc, 0
	.set _ZN7rocprim17ROCPRIM_400000_NS6detail17trampoline_kernelINS0_13select_configILj256ELj13ELNS0_17block_load_methodE3ELS4_3ELS4_3ELNS0_20block_scan_algorithmE0ELj4294967295EEENS1_25partition_config_selectorILNS1_17partition_subalgoE4EjNS0_10empty_typeEbEEZZNS1_14partition_implILS8_4ELb0ES6_15HIP_vector_typeIjLj2EENS0_17counting_iteratorIjlEEPS9_SG_NS0_5tupleIJPjSI_NS0_16reverse_iteratorISI_EEEEENSH_IJSG_SG_SG_EEES9_SI_JZNS1_25segmented_radix_sort_implINS0_14default_configELb0EPKbPbPKlPlN2at6native12_GLOBAL__N_18offset_tEEE10hipError_tPvRmT1_PNSt15iterator_traitsIS12_E10value_typeET2_T3_PNS13_IS18_E10value_typeET4_jRbjT5_S1E_jjP12ihipStream_tbEUljE_ZNSN_ISO_Lb0ESQ_SR_ST_SU_SY_EESZ_S10_S11_S12_S16_S17_S18_S1B_S1C_jS1D_jS1E_S1E_jjS1G_bEUljE0_EEESZ_S10_S11_S18_S1C_S1E_T6_T7_T9_mT8_S1G_bDpT10_ENKUlT_T0_E_clISt17integral_constantIbLb1EES1T_IbLb0EEEEDaS1P_S1Q_EUlS1P_E_NS1_11comp_targetILNS1_3genE2ELNS1_11target_archE906ELNS1_3gpuE6ELNS1_3repE0EEENS1_30default_config_static_selectorELNS0_4arch9wavefront6targetE0EEEvS12_.uses_flat_scratch, 0
	.set _ZN7rocprim17ROCPRIM_400000_NS6detail17trampoline_kernelINS0_13select_configILj256ELj13ELNS0_17block_load_methodE3ELS4_3ELS4_3ELNS0_20block_scan_algorithmE0ELj4294967295EEENS1_25partition_config_selectorILNS1_17partition_subalgoE4EjNS0_10empty_typeEbEEZZNS1_14partition_implILS8_4ELb0ES6_15HIP_vector_typeIjLj2EENS0_17counting_iteratorIjlEEPS9_SG_NS0_5tupleIJPjSI_NS0_16reverse_iteratorISI_EEEEENSH_IJSG_SG_SG_EEES9_SI_JZNS1_25segmented_radix_sort_implINS0_14default_configELb0EPKbPbPKlPlN2at6native12_GLOBAL__N_18offset_tEEE10hipError_tPvRmT1_PNSt15iterator_traitsIS12_E10value_typeET2_T3_PNS13_IS18_E10value_typeET4_jRbjT5_S1E_jjP12ihipStream_tbEUljE_ZNSN_ISO_Lb0ESQ_SR_ST_SU_SY_EESZ_S10_S11_S12_S16_S17_S18_S1B_S1C_jS1D_jS1E_S1E_jjS1G_bEUljE0_EEESZ_S10_S11_S18_S1C_S1E_T6_T7_T9_mT8_S1G_bDpT10_ENKUlT_T0_E_clISt17integral_constantIbLb1EES1T_IbLb0EEEEDaS1P_S1Q_EUlS1P_E_NS1_11comp_targetILNS1_3genE2ELNS1_11target_archE906ELNS1_3gpuE6ELNS1_3repE0EEENS1_30default_config_static_selectorELNS0_4arch9wavefront6targetE0EEEvS12_.has_dyn_sized_stack, 0
	.set _ZN7rocprim17ROCPRIM_400000_NS6detail17trampoline_kernelINS0_13select_configILj256ELj13ELNS0_17block_load_methodE3ELS4_3ELS4_3ELNS0_20block_scan_algorithmE0ELj4294967295EEENS1_25partition_config_selectorILNS1_17partition_subalgoE4EjNS0_10empty_typeEbEEZZNS1_14partition_implILS8_4ELb0ES6_15HIP_vector_typeIjLj2EENS0_17counting_iteratorIjlEEPS9_SG_NS0_5tupleIJPjSI_NS0_16reverse_iteratorISI_EEEEENSH_IJSG_SG_SG_EEES9_SI_JZNS1_25segmented_radix_sort_implINS0_14default_configELb0EPKbPbPKlPlN2at6native12_GLOBAL__N_18offset_tEEE10hipError_tPvRmT1_PNSt15iterator_traitsIS12_E10value_typeET2_T3_PNS13_IS18_E10value_typeET4_jRbjT5_S1E_jjP12ihipStream_tbEUljE_ZNSN_ISO_Lb0ESQ_SR_ST_SU_SY_EESZ_S10_S11_S12_S16_S17_S18_S1B_S1C_jS1D_jS1E_S1E_jjS1G_bEUljE0_EEESZ_S10_S11_S18_S1C_S1E_T6_T7_T9_mT8_S1G_bDpT10_ENKUlT_T0_E_clISt17integral_constantIbLb1EES1T_IbLb0EEEEDaS1P_S1Q_EUlS1P_E_NS1_11comp_targetILNS1_3genE2ELNS1_11target_archE906ELNS1_3gpuE6ELNS1_3repE0EEENS1_30default_config_static_selectorELNS0_4arch9wavefront6targetE0EEEvS12_.has_recursion, 0
	.set _ZN7rocprim17ROCPRIM_400000_NS6detail17trampoline_kernelINS0_13select_configILj256ELj13ELNS0_17block_load_methodE3ELS4_3ELS4_3ELNS0_20block_scan_algorithmE0ELj4294967295EEENS1_25partition_config_selectorILNS1_17partition_subalgoE4EjNS0_10empty_typeEbEEZZNS1_14partition_implILS8_4ELb0ES6_15HIP_vector_typeIjLj2EENS0_17counting_iteratorIjlEEPS9_SG_NS0_5tupleIJPjSI_NS0_16reverse_iteratorISI_EEEEENSH_IJSG_SG_SG_EEES9_SI_JZNS1_25segmented_radix_sort_implINS0_14default_configELb0EPKbPbPKlPlN2at6native12_GLOBAL__N_18offset_tEEE10hipError_tPvRmT1_PNSt15iterator_traitsIS12_E10value_typeET2_T3_PNS13_IS18_E10value_typeET4_jRbjT5_S1E_jjP12ihipStream_tbEUljE_ZNSN_ISO_Lb0ESQ_SR_ST_SU_SY_EESZ_S10_S11_S12_S16_S17_S18_S1B_S1C_jS1D_jS1E_S1E_jjS1G_bEUljE0_EEESZ_S10_S11_S18_S1C_S1E_T6_T7_T9_mT8_S1G_bDpT10_ENKUlT_T0_E_clISt17integral_constantIbLb1EES1T_IbLb0EEEEDaS1P_S1Q_EUlS1P_E_NS1_11comp_targetILNS1_3genE2ELNS1_11target_archE906ELNS1_3gpuE6ELNS1_3repE0EEENS1_30default_config_static_selectorELNS0_4arch9wavefront6targetE0EEEvS12_.has_indirect_call, 0
	.section	.AMDGPU.csdata,"",@progbits
; Kernel info:
; codeLenInByte = 0
; TotalNumSgprs: 0
; NumVgprs: 0
; ScratchSize: 0
; MemoryBound: 0
; FloatMode: 240
; IeeeMode: 1
; LDSByteSize: 0 bytes/workgroup (compile time only)
; SGPRBlocks: 0
; VGPRBlocks: 0
; NumSGPRsForWavesPerEU: 1
; NumVGPRsForWavesPerEU: 1
; Occupancy: 16
; WaveLimiterHint : 0
; COMPUTE_PGM_RSRC2:SCRATCH_EN: 0
; COMPUTE_PGM_RSRC2:USER_SGPR: 2
; COMPUTE_PGM_RSRC2:TRAP_HANDLER: 0
; COMPUTE_PGM_RSRC2:TGID_X_EN: 1
; COMPUTE_PGM_RSRC2:TGID_Y_EN: 0
; COMPUTE_PGM_RSRC2:TGID_Z_EN: 0
; COMPUTE_PGM_RSRC2:TIDIG_COMP_CNT: 0
	.section	.text._ZN7rocprim17ROCPRIM_400000_NS6detail17trampoline_kernelINS0_13select_configILj256ELj13ELNS0_17block_load_methodE3ELS4_3ELS4_3ELNS0_20block_scan_algorithmE0ELj4294967295EEENS1_25partition_config_selectorILNS1_17partition_subalgoE4EjNS0_10empty_typeEbEEZZNS1_14partition_implILS8_4ELb0ES6_15HIP_vector_typeIjLj2EENS0_17counting_iteratorIjlEEPS9_SG_NS0_5tupleIJPjSI_NS0_16reverse_iteratorISI_EEEEENSH_IJSG_SG_SG_EEES9_SI_JZNS1_25segmented_radix_sort_implINS0_14default_configELb0EPKbPbPKlPlN2at6native12_GLOBAL__N_18offset_tEEE10hipError_tPvRmT1_PNSt15iterator_traitsIS12_E10value_typeET2_T3_PNS13_IS18_E10value_typeET4_jRbjT5_S1E_jjP12ihipStream_tbEUljE_ZNSN_ISO_Lb0ESQ_SR_ST_SU_SY_EESZ_S10_S11_S12_S16_S17_S18_S1B_S1C_jS1D_jS1E_S1E_jjS1G_bEUljE0_EEESZ_S10_S11_S18_S1C_S1E_T6_T7_T9_mT8_S1G_bDpT10_ENKUlT_T0_E_clISt17integral_constantIbLb1EES1T_IbLb0EEEEDaS1P_S1Q_EUlS1P_E_NS1_11comp_targetILNS1_3genE10ELNS1_11target_archE1200ELNS1_3gpuE4ELNS1_3repE0EEENS1_30default_config_static_selectorELNS0_4arch9wavefront6targetE0EEEvS12_,"axG",@progbits,_ZN7rocprim17ROCPRIM_400000_NS6detail17trampoline_kernelINS0_13select_configILj256ELj13ELNS0_17block_load_methodE3ELS4_3ELS4_3ELNS0_20block_scan_algorithmE0ELj4294967295EEENS1_25partition_config_selectorILNS1_17partition_subalgoE4EjNS0_10empty_typeEbEEZZNS1_14partition_implILS8_4ELb0ES6_15HIP_vector_typeIjLj2EENS0_17counting_iteratorIjlEEPS9_SG_NS0_5tupleIJPjSI_NS0_16reverse_iteratorISI_EEEEENSH_IJSG_SG_SG_EEES9_SI_JZNS1_25segmented_radix_sort_implINS0_14default_configELb0EPKbPbPKlPlN2at6native12_GLOBAL__N_18offset_tEEE10hipError_tPvRmT1_PNSt15iterator_traitsIS12_E10value_typeET2_T3_PNS13_IS18_E10value_typeET4_jRbjT5_S1E_jjP12ihipStream_tbEUljE_ZNSN_ISO_Lb0ESQ_SR_ST_SU_SY_EESZ_S10_S11_S12_S16_S17_S18_S1B_S1C_jS1D_jS1E_S1E_jjS1G_bEUljE0_EEESZ_S10_S11_S18_S1C_S1E_T6_T7_T9_mT8_S1G_bDpT10_ENKUlT_T0_E_clISt17integral_constantIbLb1EES1T_IbLb0EEEEDaS1P_S1Q_EUlS1P_E_NS1_11comp_targetILNS1_3genE10ELNS1_11target_archE1200ELNS1_3gpuE4ELNS1_3repE0EEENS1_30default_config_static_selectorELNS0_4arch9wavefront6targetE0EEEvS12_,comdat
	.globl	_ZN7rocprim17ROCPRIM_400000_NS6detail17trampoline_kernelINS0_13select_configILj256ELj13ELNS0_17block_load_methodE3ELS4_3ELS4_3ELNS0_20block_scan_algorithmE0ELj4294967295EEENS1_25partition_config_selectorILNS1_17partition_subalgoE4EjNS0_10empty_typeEbEEZZNS1_14partition_implILS8_4ELb0ES6_15HIP_vector_typeIjLj2EENS0_17counting_iteratorIjlEEPS9_SG_NS0_5tupleIJPjSI_NS0_16reverse_iteratorISI_EEEEENSH_IJSG_SG_SG_EEES9_SI_JZNS1_25segmented_radix_sort_implINS0_14default_configELb0EPKbPbPKlPlN2at6native12_GLOBAL__N_18offset_tEEE10hipError_tPvRmT1_PNSt15iterator_traitsIS12_E10value_typeET2_T3_PNS13_IS18_E10value_typeET4_jRbjT5_S1E_jjP12ihipStream_tbEUljE_ZNSN_ISO_Lb0ESQ_SR_ST_SU_SY_EESZ_S10_S11_S12_S16_S17_S18_S1B_S1C_jS1D_jS1E_S1E_jjS1G_bEUljE0_EEESZ_S10_S11_S18_S1C_S1E_T6_T7_T9_mT8_S1G_bDpT10_ENKUlT_T0_E_clISt17integral_constantIbLb1EES1T_IbLb0EEEEDaS1P_S1Q_EUlS1P_E_NS1_11comp_targetILNS1_3genE10ELNS1_11target_archE1200ELNS1_3gpuE4ELNS1_3repE0EEENS1_30default_config_static_selectorELNS0_4arch9wavefront6targetE0EEEvS12_ ; -- Begin function _ZN7rocprim17ROCPRIM_400000_NS6detail17trampoline_kernelINS0_13select_configILj256ELj13ELNS0_17block_load_methodE3ELS4_3ELS4_3ELNS0_20block_scan_algorithmE0ELj4294967295EEENS1_25partition_config_selectorILNS1_17partition_subalgoE4EjNS0_10empty_typeEbEEZZNS1_14partition_implILS8_4ELb0ES6_15HIP_vector_typeIjLj2EENS0_17counting_iteratorIjlEEPS9_SG_NS0_5tupleIJPjSI_NS0_16reverse_iteratorISI_EEEEENSH_IJSG_SG_SG_EEES9_SI_JZNS1_25segmented_radix_sort_implINS0_14default_configELb0EPKbPbPKlPlN2at6native12_GLOBAL__N_18offset_tEEE10hipError_tPvRmT1_PNSt15iterator_traitsIS12_E10value_typeET2_T3_PNS13_IS18_E10value_typeET4_jRbjT5_S1E_jjP12ihipStream_tbEUljE_ZNSN_ISO_Lb0ESQ_SR_ST_SU_SY_EESZ_S10_S11_S12_S16_S17_S18_S1B_S1C_jS1D_jS1E_S1E_jjS1G_bEUljE0_EEESZ_S10_S11_S18_S1C_S1E_T6_T7_T9_mT8_S1G_bDpT10_ENKUlT_T0_E_clISt17integral_constantIbLb1EES1T_IbLb0EEEEDaS1P_S1Q_EUlS1P_E_NS1_11comp_targetILNS1_3genE10ELNS1_11target_archE1200ELNS1_3gpuE4ELNS1_3repE0EEENS1_30default_config_static_selectorELNS0_4arch9wavefront6targetE0EEEvS12_
	.p2align	8
	.type	_ZN7rocprim17ROCPRIM_400000_NS6detail17trampoline_kernelINS0_13select_configILj256ELj13ELNS0_17block_load_methodE3ELS4_3ELS4_3ELNS0_20block_scan_algorithmE0ELj4294967295EEENS1_25partition_config_selectorILNS1_17partition_subalgoE4EjNS0_10empty_typeEbEEZZNS1_14partition_implILS8_4ELb0ES6_15HIP_vector_typeIjLj2EENS0_17counting_iteratorIjlEEPS9_SG_NS0_5tupleIJPjSI_NS0_16reverse_iteratorISI_EEEEENSH_IJSG_SG_SG_EEES9_SI_JZNS1_25segmented_radix_sort_implINS0_14default_configELb0EPKbPbPKlPlN2at6native12_GLOBAL__N_18offset_tEEE10hipError_tPvRmT1_PNSt15iterator_traitsIS12_E10value_typeET2_T3_PNS13_IS18_E10value_typeET4_jRbjT5_S1E_jjP12ihipStream_tbEUljE_ZNSN_ISO_Lb0ESQ_SR_ST_SU_SY_EESZ_S10_S11_S12_S16_S17_S18_S1B_S1C_jS1D_jS1E_S1E_jjS1G_bEUljE0_EEESZ_S10_S11_S18_S1C_S1E_T6_T7_T9_mT8_S1G_bDpT10_ENKUlT_T0_E_clISt17integral_constantIbLb1EES1T_IbLb0EEEEDaS1P_S1Q_EUlS1P_E_NS1_11comp_targetILNS1_3genE10ELNS1_11target_archE1200ELNS1_3gpuE4ELNS1_3repE0EEENS1_30default_config_static_selectorELNS0_4arch9wavefront6targetE0EEEvS12_,@function
_ZN7rocprim17ROCPRIM_400000_NS6detail17trampoline_kernelINS0_13select_configILj256ELj13ELNS0_17block_load_methodE3ELS4_3ELS4_3ELNS0_20block_scan_algorithmE0ELj4294967295EEENS1_25partition_config_selectorILNS1_17partition_subalgoE4EjNS0_10empty_typeEbEEZZNS1_14partition_implILS8_4ELb0ES6_15HIP_vector_typeIjLj2EENS0_17counting_iteratorIjlEEPS9_SG_NS0_5tupleIJPjSI_NS0_16reverse_iteratorISI_EEEEENSH_IJSG_SG_SG_EEES9_SI_JZNS1_25segmented_radix_sort_implINS0_14default_configELb0EPKbPbPKlPlN2at6native12_GLOBAL__N_18offset_tEEE10hipError_tPvRmT1_PNSt15iterator_traitsIS12_E10value_typeET2_T3_PNS13_IS18_E10value_typeET4_jRbjT5_S1E_jjP12ihipStream_tbEUljE_ZNSN_ISO_Lb0ESQ_SR_ST_SU_SY_EESZ_S10_S11_S12_S16_S17_S18_S1B_S1C_jS1D_jS1E_S1E_jjS1G_bEUljE0_EEESZ_S10_S11_S18_S1C_S1E_T6_T7_T9_mT8_S1G_bDpT10_ENKUlT_T0_E_clISt17integral_constantIbLb1EES1T_IbLb0EEEEDaS1P_S1Q_EUlS1P_E_NS1_11comp_targetILNS1_3genE10ELNS1_11target_archE1200ELNS1_3gpuE4ELNS1_3repE0EEENS1_30default_config_static_selectorELNS0_4arch9wavefront6targetE0EEEvS12_: ; @_ZN7rocprim17ROCPRIM_400000_NS6detail17trampoline_kernelINS0_13select_configILj256ELj13ELNS0_17block_load_methodE3ELS4_3ELS4_3ELNS0_20block_scan_algorithmE0ELj4294967295EEENS1_25partition_config_selectorILNS1_17partition_subalgoE4EjNS0_10empty_typeEbEEZZNS1_14partition_implILS8_4ELb0ES6_15HIP_vector_typeIjLj2EENS0_17counting_iteratorIjlEEPS9_SG_NS0_5tupleIJPjSI_NS0_16reverse_iteratorISI_EEEEENSH_IJSG_SG_SG_EEES9_SI_JZNS1_25segmented_radix_sort_implINS0_14default_configELb0EPKbPbPKlPlN2at6native12_GLOBAL__N_18offset_tEEE10hipError_tPvRmT1_PNSt15iterator_traitsIS12_E10value_typeET2_T3_PNS13_IS18_E10value_typeET4_jRbjT5_S1E_jjP12ihipStream_tbEUljE_ZNSN_ISO_Lb0ESQ_SR_ST_SU_SY_EESZ_S10_S11_S12_S16_S17_S18_S1B_S1C_jS1D_jS1E_S1E_jjS1G_bEUljE0_EEESZ_S10_S11_S18_S1C_S1E_T6_T7_T9_mT8_S1G_bDpT10_ENKUlT_T0_E_clISt17integral_constantIbLb1EES1T_IbLb0EEEEDaS1P_S1Q_EUlS1P_E_NS1_11comp_targetILNS1_3genE10ELNS1_11target_archE1200ELNS1_3gpuE4ELNS1_3repE0EEENS1_30default_config_static_selectorELNS0_4arch9wavefront6targetE0EEEvS12_
; %bb.0:
	s_endpgm
	.section	.rodata,"a",@progbits
	.p2align	6, 0x0
	.amdhsa_kernel _ZN7rocprim17ROCPRIM_400000_NS6detail17trampoline_kernelINS0_13select_configILj256ELj13ELNS0_17block_load_methodE3ELS4_3ELS4_3ELNS0_20block_scan_algorithmE0ELj4294967295EEENS1_25partition_config_selectorILNS1_17partition_subalgoE4EjNS0_10empty_typeEbEEZZNS1_14partition_implILS8_4ELb0ES6_15HIP_vector_typeIjLj2EENS0_17counting_iteratorIjlEEPS9_SG_NS0_5tupleIJPjSI_NS0_16reverse_iteratorISI_EEEEENSH_IJSG_SG_SG_EEES9_SI_JZNS1_25segmented_radix_sort_implINS0_14default_configELb0EPKbPbPKlPlN2at6native12_GLOBAL__N_18offset_tEEE10hipError_tPvRmT1_PNSt15iterator_traitsIS12_E10value_typeET2_T3_PNS13_IS18_E10value_typeET4_jRbjT5_S1E_jjP12ihipStream_tbEUljE_ZNSN_ISO_Lb0ESQ_SR_ST_SU_SY_EESZ_S10_S11_S12_S16_S17_S18_S1B_S1C_jS1D_jS1E_S1E_jjS1G_bEUljE0_EEESZ_S10_S11_S18_S1C_S1E_T6_T7_T9_mT8_S1G_bDpT10_ENKUlT_T0_E_clISt17integral_constantIbLb1EES1T_IbLb0EEEEDaS1P_S1Q_EUlS1P_E_NS1_11comp_targetILNS1_3genE10ELNS1_11target_archE1200ELNS1_3gpuE4ELNS1_3repE0EEENS1_30default_config_static_selectorELNS0_4arch9wavefront6targetE0EEEvS12_
		.amdhsa_group_segment_fixed_size 0
		.amdhsa_private_segment_fixed_size 0
		.amdhsa_kernarg_size 176
		.amdhsa_user_sgpr_count 2
		.amdhsa_user_sgpr_dispatch_ptr 0
		.amdhsa_user_sgpr_queue_ptr 0
		.amdhsa_user_sgpr_kernarg_segment_ptr 1
		.amdhsa_user_sgpr_dispatch_id 0
		.amdhsa_user_sgpr_private_segment_size 0
		.amdhsa_wavefront_size32 1
		.amdhsa_uses_dynamic_stack 0
		.amdhsa_enable_private_segment 0
		.amdhsa_system_sgpr_workgroup_id_x 1
		.amdhsa_system_sgpr_workgroup_id_y 0
		.amdhsa_system_sgpr_workgroup_id_z 0
		.amdhsa_system_sgpr_workgroup_info 0
		.amdhsa_system_vgpr_workitem_id 0
		.amdhsa_next_free_vgpr 1
		.amdhsa_next_free_sgpr 1
		.amdhsa_reserve_vcc 0
		.amdhsa_float_round_mode_32 0
		.amdhsa_float_round_mode_16_64 0
		.amdhsa_float_denorm_mode_32 3
		.amdhsa_float_denorm_mode_16_64 3
		.amdhsa_fp16_overflow 0
		.amdhsa_workgroup_processor_mode 1
		.amdhsa_memory_ordered 1
		.amdhsa_forward_progress 1
		.amdhsa_inst_pref_size 1
		.amdhsa_round_robin_scheduling 0
		.amdhsa_exception_fp_ieee_invalid_op 0
		.amdhsa_exception_fp_denorm_src 0
		.amdhsa_exception_fp_ieee_div_zero 0
		.amdhsa_exception_fp_ieee_overflow 0
		.amdhsa_exception_fp_ieee_underflow 0
		.amdhsa_exception_fp_ieee_inexact 0
		.amdhsa_exception_int_div_zero 0
	.end_amdhsa_kernel
	.section	.text._ZN7rocprim17ROCPRIM_400000_NS6detail17trampoline_kernelINS0_13select_configILj256ELj13ELNS0_17block_load_methodE3ELS4_3ELS4_3ELNS0_20block_scan_algorithmE0ELj4294967295EEENS1_25partition_config_selectorILNS1_17partition_subalgoE4EjNS0_10empty_typeEbEEZZNS1_14partition_implILS8_4ELb0ES6_15HIP_vector_typeIjLj2EENS0_17counting_iteratorIjlEEPS9_SG_NS0_5tupleIJPjSI_NS0_16reverse_iteratorISI_EEEEENSH_IJSG_SG_SG_EEES9_SI_JZNS1_25segmented_radix_sort_implINS0_14default_configELb0EPKbPbPKlPlN2at6native12_GLOBAL__N_18offset_tEEE10hipError_tPvRmT1_PNSt15iterator_traitsIS12_E10value_typeET2_T3_PNS13_IS18_E10value_typeET4_jRbjT5_S1E_jjP12ihipStream_tbEUljE_ZNSN_ISO_Lb0ESQ_SR_ST_SU_SY_EESZ_S10_S11_S12_S16_S17_S18_S1B_S1C_jS1D_jS1E_S1E_jjS1G_bEUljE0_EEESZ_S10_S11_S18_S1C_S1E_T6_T7_T9_mT8_S1G_bDpT10_ENKUlT_T0_E_clISt17integral_constantIbLb1EES1T_IbLb0EEEEDaS1P_S1Q_EUlS1P_E_NS1_11comp_targetILNS1_3genE10ELNS1_11target_archE1200ELNS1_3gpuE4ELNS1_3repE0EEENS1_30default_config_static_selectorELNS0_4arch9wavefront6targetE0EEEvS12_,"axG",@progbits,_ZN7rocprim17ROCPRIM_400000_NS6detail17trampoline_kernelINS0_13select_configILj256ELj13ELNS0_17block_load_methodE3ELS4_3ELS4_3ELNS0_20block_scan_algorithmE0ELj4294967295EEENS1_25partition_config_selectorILNS1_17partition_subalgoE4EjNS0_10empty_typeEbEEZZNS1_14partition_implILS8_4ELb0ES6_15HIP_vector_typeIjLj2EENS0_17counting_iteratorIjlEEPS9_SG_NS0_5tupleIJPjSI_NS0_16reverse_iteratorISI_EEEEENSH_IJSG_SG_SG_EEES9_SI_JZNS1_25segmented_radix_sort_implINS0_14default_configELb0EPKbPbPKlPlN2at6native12_GLOBAL__N_18offset_tEEE10hipError_tPvRmT1_PNSt15iterator_traitsIS12_E10value_typeET2_T3_PNS13_IS18_E10value_typeET4_jRbjT5_S1E_jjP12ihipStream_tbEUljE_ZNSN_ISO_Lb0ESQ_SR_ST_SU_SY_EESZ_S10_S11_S12_S16_S17_S18_S1B_S1C_jS1D_jS1E_S1E_jjS1G_bEUljE0_EEESZ_S10_S11_S18_S1C_S1E_T6_T7_T9_mT8_S1G_bDpT10_ENKUlT_T0_E_clISt17integral_constantIbLb1EES1T_IbLb0EEEEDaS1P_S1Q_EUlS1P_E_NS1_11comp_targetILNS1_3genE10ELNS1_11target_archE1200ELNS1_3gpuE4ELNS1_3repE0EEENS1_30default_config_static_selectorELNS0_4arch9wavefront6targetE0EEEvS12_,comdat
.Lfunc_end1592:
	.size	_ZN7rocprim17ROCPRIM_400000_NS6detail17trampoline_kernelINS0_13select_configILj256ELj13ELNS0_17block_load_methodE3ELS4_3ELS4_3ELNS0_20block_scan_algorithmE0ELj4294967295EEENS1_25partition_config_selectorILNS1_17partition_subalgoE4EjNS0_10empty_typeEbEEZZNS1_14partition_implILS8_4ELb0ES6_15HIP_vector_typeIjLj2EENS0_17counting_iteratorIjlEEPS9_SG_NS0_5tupleIJPjSI_NS0_16reverse_iteratorISI_EEEEENSH_IJSG_SG_SG_EEES9_SI_JZNS1_25segmented_radix_sort_implINS0_14default_configELb0EPKbPbPKlPlN2at6native12_GLOBAL__N_18offset_tEEE10hipError_tPvRmT1_PNSt15iterator_traitsIS12_E10value_typeET2_T3_PNS13_IS18_E10value_typeET4_jRbjT5_S1E_jjP12ihipStream_tbEUljE_ZNSN_ISO_Lb0ESQ_SR_ST_SU_SY_EESZ_S10_S11_S12_S16_S17_S18_S1B_S1C_jS1D_jS1E_S1E_jjS1G_bEUljE0_EEESZ_S10_S11_S18_S1C_S1E_T6_T7_T9_mT8_S1G_bDpT10_ENKUlT_T0_E_clISt17integral_constantIbLb1EES1T_IbLb0EEEEDaS1P_S1Q_EUlS1P_E_NS1_11comp_targetILNS1_3genE10ELNS1_11target_archE1200ELNS1_3gpuE4ELNS1_3repE0EEENS1_30default_config_static_selectorELNS0_4arch9wavefront6targetE0EEEvS12_, .Lfunc_end1592-_ZN7rocprim17ROCPRIM_400000_NS6detail17trampoline_kernelINS0_13select_configILj256ELj13ELNS0_17block_load_methodE3ELS4_3ELS4_3ELNS0_20block_scan_algorithmE0ELj4294967295EEENS1_25partition_config_selectorILNS1_17partition_subalgoE4EjNS0_10empty_typeEbEEZZNS1_14partition_implILS8_4ELb0ES6_15HIP_vector_typeIjLj2EENS0_17counting_iteratorIjlEEPS9_SG_NS0_5tupleIJPjSI_NS0_16reverse_iteratorISI_EEEEENSH_IJSG_SG_SG_EEES9_SI_JZNS1_25segmented_radix_sort_implINS0_14default_configELb0EPKbPbPKlPlN2at6native12_GLOBAL__N_18offset_tEEE10hipError_tPvRmT1_PNSt15iterator_traitsIS12_E10value_typeET2_T3_PNS13_IS18_E10value_typeET4_jRbjT5_S1E_jjP12ihipStream_tbEUljE_ZNSN_ISO_Lb0ESQ_SR_ST_SU_SY_EESZ_S10_S11_S12_S16_S17_S18_S1B_S1C_jS1D_jS1E_S1E_jjS1G_bEUljE0_EEESZ_S10_S11_S18_S1C_S1E_T6_T7_T9_mT8_S1G_bDpT10_ENKUlT_T0_E_clISt17integral_constantIbLb1EES1T_IbLb0EEEEDaS1P_S1Q_EUlS1P_E_NS1_11comp_targetILNS1_3genE10ELNS1_11target_archE1200ELNS1_3gpuE4ELNS1_3repE0EEENS1_30default_config_static_selectorELNS0_4arch9wavefront6targetE0EEEvS12_
                                        ; -- End function
	.set _ZN7rocprim17ROCPRIM_400000_NS6detail17trampoline_kernelINS0_13select_configILj256ELj13ELNS0_17block_load_methodE3ELS4_3ELS4_3ELNS0_20block_scan_algorithmE0ELj4294967295EEENS1_25partition_config_selectorILNS1_17partition_subalgoE4EjNS0_10empty_typeEbEEZZNS1_14partition_implILS8_4ELb0ES6_15HIP_vector_typeIjLj2EENS0_17counting_iteratorIjlEEPS9_SG_NS0_5tupleIJPjSI_NS0_16reverse_iteratorISI_EEEEENSH_IJSG_SG_SG_EEES9_SI_JZNS1_25segmented_radix_sort_implINS0_14default_configELb0EPKbPbPKlPlN2at6native12_GLOBAL__N_18offset_tEEE10hipError_tPvRmT1_PNSt15iterator_traitsIS12_E10value_typeET2_T3_PNS13_IS18_E10value_typeET4_jRbjT5_S1E_jjP12ihipStream_tbEUljE_ZNSN_ISO_Lb0ESQ_SR_ST_SU_SY_EESZ_S10_S11_S12_S16_S17_S18_S1B_S1C_jS1D_jS1E_S1E_jjS1G_bEUljE0_EEESZ_S10_S11_S18_S1C_S1E_T6_T7_T9_mT8_S1G_bDpT10_ENKUlT_T0_E_clISt17integral_constantIbLb1EES1T_IbLb0EEEEDaS1P_S1Q_EUlS1P_E_NS1_11comp_targetILNS1_3genE10ELNS1_11target_archE1200ELNS1_3gpuE4ELNS1_3repE0EEENS1_30default_config_static_selectorELNS0_4arch9wavefront6targetE0EEEvS12_.num_vgpr, 0
	.set _ZN7rocprim17ROCPRIM_400000_NS6detail17trampoline_kernelINS0_13select_configILj256ELj13ELNS0_17block_load_methodE3ELS4_3ELS4_3ELNS0_20block_scan_algorithmE0ELj4294967295EEENS1_25partition_config_selectorILNS1_17partition_subalgoE4EjNS0_10empty_typeEbEEZZNS1_14partition_implILS8_4ELb0ES6_15HIP_vector_typeIjLj2EENS0_17counting_iteratorIjlEEPS9_SG_NS0_5tupleIJPjSI_NS0_16reverse_iteratorISI_EEEEENSH_IJSG_SG_SG_EEES9_SI_JZNS1_25segmented_radix_sort_implINS0_14default_configELb0EPKbPbPKlPlN2at6native12_GLOBAL__N_18offset_tEEE10hipError_tPvRmT1_PNSt15iterator_traitsIS12_E10value_typeET2_T3_PNS13_IS18_E10value_typeET4_jRbjT5_S1E_jjP12ihipStream_tbEUljE_ZNSN_ISO_Lb0ESQ_SR_ST_SU_SY_EESZ_S10_S11_S12_S16_S17_S18_S1B_S1C_jS1D_jS1E_S1E_jjS1G_bEUljE0_EEESZ_S10_S11_S18_S1C_S1E_T6_T7_T9_mT8_S1G_bDpT10_ENKUlT_T0_E_clISt17integral_constantIbLb1EES1T_IbLb0EEEEDaS1P_S1Q_EUlS1P_E_NS1_11comp_targetILNS1_3genE10ELNS1_11target_archE1200ELNS1_3gpuE4ELNS1_3repE0EEENS1_30default_config_static_selectorELNS0_4arch9wavefront6targetE0EEEvS12_.num_agpr, 0
	.set _ZN7rocprim17ROCPRIM_400000_NS6detail17trampoline_kernelINS0_13select_configILj256ELj13ELNS0_17block_load_methodE3ELS4_3ELS4_3ELNS0_20block_scan_algorithmE0ELj4294967295EEENS1_25partition_config_selectorILNS1_17partition_subalgoE4EjNS0_10empty_typeEbEEZZNS1_14partition_implILS8_4ELb0ES6_15HIP_vector_typeIjLj2EENS0_17counting_iteratorIjlEEPS9_SG_NS0_5tupleIJPjSI_NS0_16reverse_iteratorISI_EEEEENSH_IJSG_SG_SG_EEES9_SI_JZNS1_25segmented_radix_sort_implINS0_14default_configELb0EPKbPbPKlPlN2at6native12_GLOBAL__N_18offset_tEEE10hipError_tPvRmT1_PNSt15iterator_traitsIS12_E10value_typeET2_T3_PNS13_IS18_E10value_typeET4_jRbjT5_S1E_jjP12ihipStream_tbEUljE_ZNSN_ISO_Lb0ESQ_SR_ST_SU_SY_EESZ_S10_S11_S12_S16_S17_S18_S1B_S1C_jS1D_jS1E_S1E_jjS1G_bEUljE0_EEESZ_S10_S11_S18_S1C_S1E_T6_T7_T9_mT8_S1G_bDpT10_ENKUlT_T0_E_clISt17integral_constantIbLb1EES1T_IbLb0EEEEDaS1P_S1Q_EUlS1P_E_NS1_11comp_targetILNS1_3genE10ELNS1_11target_archE1200ELNS1_3gpuE4ELNS1_3repE0EEENS1_30default_config_static_selectorELNS0_4arch9wavefront6targetE0EEEvS12_.numbered_sgpr, 0
	.set _ZN7rocprim17ROCPRIM_400000_NS6detail17trampoline_kernelINS0_13select_configILj256ELj13ELNS0_17block_load_methodE3ELS4_3ELS4_3ELNS0_20block_scan_algorithmE0ELj4294967295EEENS1_25partition_config_selectorILNS1_17partition_subalgoE4EjNS0_10empty_typeEbEEZZNS1_14partition_implILS8_4ELb0ES6_15HIP_vector_typeIjLj2EENS0_17counting_iteratorIjlEEPS9_SG_NS0_5tupleIJPjSI_NS0_16reverse_iteratorISI_EEEEENSH_IJSG_SG_SG_EEES9_SI_JZNS1_25segmented_radix_sort_implINS0_14default_configELb0EPKbPbPKlPlN2at6native12_GLOBAL__N_18offset_tEEE10hipError_tPvRmT1_PNSt15iterator_traitsIS12_E10value_typeET2_T3_PNS13_IS18_E10value_typeET4_jRbjT5_S1E_jjP12ihipStream_tbEUljE_ZNSN_ISO_Lb0ESQ_SR_ST_SU_SY_EESZ_S10_S11_S12_S16_S17_S18_S1B_S1C_jS1D_jS1E_S1E_jjS1G_bEUljE0_EEESZ_S10_S11_S18_S1C_S1E_T6_T7_T9_mT8_S1G_bDpT10_ENKUlT_T0_E_clISt17integral_constantIbLb1EES1T_IbLb0EEEEDaS1P_S1Q_EUlS1P_E_NS1_11comp_targetILNS1_3genE10ELNS1_11target_archE1200ELNS1_3gpuE4ELNS1_3repE0EEENS1_30default_config_static_selectorELNS0_4arch9wavefront6targetE0EEEvS12_.num_named_barrier, 0
	.set _ZN7rocprim17ROCPRIM_400000_NS6detail17trampoline_kernelINS0_13select_configILj256ELj13ELNS0_17block_load_methodE3ELS4_3ELS4_3ELNS0_20block_scan_algorithmE0ELj4294967295EEENS1_25partition_config_selectorILNS1_17partition_subalgoE4EjNS0_10empty_typeEbEEZZNS1_14partition_implILS8_4ELb0ES6_15HIP_vector_typeIjLj2EENS0_17counting_iteratorIjlEEPS9_SG_NS0_5tupleIJPjSI_NS0_16reverse_iteratorISI_EEEEENSH_IJSG_SG_SG_EEES9_SI_JZNS1_25segmented_radix_sort_implINS0_14default_configELb0EPKbPbPKlPlN2at6native12_GLOBAL__N_18offset_tEEE10hipError_tPvRmT1_PNSt15iterator_traitsIS12_E10value_typeET2_T3_PNS13_IS18_E10value_typeET4_jRbjT5_S1E_jjP12ihipStream_tbEUljE_ZNSN_ISO_Lb0ESQ_SR_ST_SU_SY_EESZ_S10_S11_S12_S16_S17_S18_S1B_S1C_jS1D_jS1E_S1E_jjS1G_bEUljE0_EEESZ_S10_S11_S18_S1C_S1E_T6_T7_T9_mT8_S1G_bDpT10_ENKUlT_T0_E_clISt17integral_constantIbLb1EES1T_IbLb0EEEEDaS1P_S1Q_EUlS1P_E_NS1_11comp_targetILNS1_3genE10ELNS1_11target_archE1200ELNS1_3gpuE4ELNS1_3repE0EEENS1_30default_config_static_selectorELNS0_4arch9wavefront6targetE0EEEvS12_.private_seg_size, 0
	.set _ZN7rocprim17ROCPRIM_400000_NS6detail17trampoline_kernelINS0_13select_configILj256ELj13ELNS0_17block_load_methodE3ELS4_3ELS4_3ELNS0_20block_scan_algorithmE0ELj4294967295EEENS1_25partition_config_selectorILNS1_17partition_subalgoE4EjNS0_10empty_typeEbEEZZNS1_14partition_implILS8_4ELb0ES6_15HIP_vector_typeIjLj2EENS0_17counting_iteratorIjlEEPS9_SG_NS0_5tupleIJPjSI_NS0_16reverse_iteratorISI_EEEEENSH_IJSG_SG_SG_EEES9_SI_JZNS1_25segmented_radix_sort_implINS0_14default_configELb0EPKbPbPKlPlN2at6native12_GLOBAL__N_18offset_tEEE10hipError_tPvRmT1_PNSt15iterator_traitsIS12_E10value_typeET2_T3_PNS13_IS18_E10value_typeET4_jRbjT5_S1E_jjP12ihipStream_tbEUljE_ZNSN_ISO_Lb0ESQ_SR_ST_SU_SY_EESZ_S10_S11_S12_S16_S17_S18_S1B_S1C_jS1D_jS1E_S1E_jjS1G_bEUljE0_EEESZ_S10_S11_S18_S1C_S1E_T6_T7_T9_mT8_S1G_bDpT10_ENKUlT_T0_E_clISt17integral_constantIbLb1EES1T_IbLb0EEEEDaS1P_S1Q_EUlS1P_E_NS1_11comp_targetILNS1_3genE10ELNS1_11target_archE1200ELNS1_3gpuE4ELNS1_3repE0EEENS1_30default_config_static_selectorELNS0_4arch9wavefront6targetE0EEEvS12_.uses_vcc, 0
	.set _ZN7rocprim17ROCPRIM_400000_NS6detail17trampoline_kernelINS0_13select_configILj256ELj13ELNS0_17block_load_methodE3ELS4_3ELS4_3ELNS0_20block_scan_algorithmE0ELj4294967295EEENS1_25partition_config_selectorILNS1_17partition_subalgoE4EjNS0_10empty_typeEbEEZZNS1_14partition_implILS8_4ELb0ES6_15HIP_vector_typeIjLj2EENS0_17counting_iteratorIjlEEPS9_SG_NS0_5tupleIJPjSI_NS0_16reverse_iteratorISI_EEEEENSH_IJSG_SG_SG_EEES9_SI_JZNS1_25segmented_radix_sort_implINS0_14default_configELb0EPKbPbPKlPlN2at6native12_GLOBAL__N_18offset_tEEE10hipError_tPvRmT1_PNSt15iterator_traitsIS12_E10value_typeET2_T3_PNS13_IS18_E10value_typeET4_jRbjT5_S1E_jjP12ihipStream_tbEUljE_ZNSN_ISO_Lb0ESQ_SR_ST_SU_SY_EESZ_S10_S11_S12_S16_S17_S18_S1B_S1C_jS1D_jS1E_S1E_jjS1G_bEUljE0_EEESZ_S10_S11_S18_S1C_S1E_T6_T7_T9_mT8_S1G_bDpT10_ENKUlT_T0_E_clISt17integral_constantIbLb1EES1T_IbLb0EEEEDaS1P_S1Q_EUlS1P_E_NS1_11comp_targetILNS1_3genE10ELNS1_11target_archE1200ELNS1_3gpuE4ELNS1_3repE0EEENS1_30default_config_static_selectorELNS0_4arch9wavefront6targetE0EEEvS12_.uses_flat_scratch, 0
	.set _ZN7rocprim17ROCPRIM_400000_NS6detail17trampoline_kernelINS0_13select_configILj256ELj13ELNS0_17block_load_methodE3ELS4_3ELS4_3ELNS0_20block_scan_algorithmE0ELj4294967295EEENS1_25partition_config_selectorILNS1_17partition_subalgoE4EjNS0_10empty_typeEbEEZZNS1_14partition_implILS8_4ELb0ES6_15HIP_vector_typeIjLj2EENS0_17counting_iteratorIjlEEPS9_SG_NS0_5tupleIJPjSI_NS0_16reverse_iteratorISI_EEEEENSH_IJSG_SG_SG_EEES9_SI_JZNS1_25segmented_radix_sort_implINS0_14default_configELb0EPKbPbPKlPlN2at6native12_GLOBAL__N_18offset_tEEE10hipError_tPvRmT1_PNSt15iterator_traitsIS12_E10value_typeET2_T3_PNS13_IS18_E10value_typeET4_jRbjT5_S1E_jjP12ihipStream_tbEUljE_ZNSN_ISO_Lb0ESQ_SR_ST_SU_SY_EESZ_S10_S11_S12_S16_S17_S18_S1B_S1C_jS1D_jS1E_S1E_jjS1G_bEUljE0_EEESZ_S10_S11_S18_S1C_S1E_T6_T7_T9_mT8_S1G_bDpT10_ENKUlT_T0_E_clISt17integral_constantIbLb1EES1T_IbLb0EEEEDaS1P_S1Q_EUlS1P_E_NS1_11comp_targetILNS1_3genE10ELNS1_11target_archE1200ELNS1_3gpuE4ELNS1_3repE0EEENS1_30default_config_static_selectorELNS0_4arch9wavefront6targetE0EEEvS12_.has_dyn_sized_stack, 0
	.set _ZN7rocprim17ROCPRIM_400000_NS6detail17trampoline_kernelINS0_13select_configILj256ELj13ELNS0_17block_load_methodE3ELS4_3ELS4_3ELNS0_20block_scan_algorithmE0ELj4294967295EEENS1_25partition_config_selectorILNS1_17partition_subalgoE4EjNS0_10empty_typeEbEEZZNS1_14partition_implILS8_4ELb0ES6_15HIP_vector_typeIjLj2EENS0_17counting_iteratorIjlEEPS9_SG_NS0_5tupleIJPjSI_NS0_16reverse_iteratorISI_EEEEENSH_IJSG_SG_SG_EEES9_SI_JZNS1_25segmented_radix_sort_implINS0_14default_configELb0EPKbPbPKlPlN2at6native12_GLOBAL__N_18offset_tEEE10hipError_tPvRmT1_PNSt15iterator_traitsIS12_E10value_typeET2_T3_PNS13_IS18_E10value_typeET4_jRbjT5_S1E_jjP12ihipStream_tbEUljE_ZNSN_ISO_Lb0ESQ_SR_ST_SU_SY_EESZ_S10_S11_S12_S16_S17_S18_S1B_S1C_jS1D_jS1E_S1E_jjS1G_bEUljE0_EEESZ_S10_S11_S18_S1C_S1E_T6_T7_T9_mT8_S1G_bDpT10_ENKUlT_T0_E_clISt17integral_constantIbLb1EES1T_IbLb0EEEEDaS1P_S1Q_EUlS1P_E_NS1_11comp_targetILNS1_3genE10ELNS1_11target_archE1200ELNS1_3gpuE4ELNS1_3repE0EEENS1_30default_config_static_selectorELNS0_4arch9wavefront6targetE0EEEvS12_.has_recursion, 0
	.set _ZN7rocprim17ROCPRIM_400000_NS6detail17trampoline_kernelINS0_13select_configILj256ELj13ELNS0_17block_load_methodE3ELS4_3ELS4_3ELNS0_20block_scan_algorithmE0ELj4294967295EEENS1_25partition_config_selectorILNS1_17partition_subalgoE4EjNS0_10empty_typeEbEEZZNS1_14partition_implILS8_4ELb0ES6_15HIP_vector_typeIjLj2EENS0_17counting_iteratorIjlEEPS9_SG_NS0_5tupleIJPjSI_NS0_16reverse_iteratorISI_EEEEENSH_IJSG_SG_SG_EEES9_SI_JZNS1_25segmented_radix_sort_implINS0_14default_configELb0EPKbPbPKlPlN2at6native12_GLOBAL__N_18offset_tEEE10hipError_tPvRmT1_PNSt15iterator_traitsIS12_E10value_typeET2_T3_PNS13_IS18_E10value_typeET4_jRbjT5_S1E_jjP12ihipStream_tbEUljE_ZNSN_ISO_Lb0ESQ_SR_ST_SU_SY_EESZ_S10_S11_S12_S16_S17_S18_S1B_S1C_jS1D_jS1E_S1E_jjS1G_bEUljE0_EEESZ_S10_S11_S18_S1C_S1E_T6_T7_T9_mT8_S1G_bDpT10_ENKUlT_T0_E_clISt17integral_constantIbLb1EES1T_IbLb0EEEEDaS1P_S1Q_EUlS1P_E_NS1_11comp_targetILNS1_3genE10ELNS1_11target_archE1200ELNS1_3gpuE4ELNS1_3repE0EEENS1_30default_config_static_selectorELNS0_4arch9wavefront6targetE0EEEvS12_.has_indirect_call, 0
	.section	.AMDGPU.csdata,"",@progbits
; Kernel info:
; codeLenInByte = 4
; TotalNumSgprs: 0
; NumVgprs: 0
; ScratchSize: 0
; MemoryBound: 0
; FloatMode: 240
; IeeeMode: 1
; LDSByteSize: 0 bytes/workgroup (compile time only)
; SGPRBlocks: 0
; VGPRBlocks: 0
; NumSGPRsForWavesPerEU: 1
; NumVGPRsForWavesPerEU: 1
; Occupancy: 16
; WaveLimiterHint : 0
; COMPUTE_PGM_RSRC2:SCRATCH_EN: 0
; COMPUTE_PGM_RSRC2:USER_SGPR: 2
; COMPUTE_PGM_RSRC2:TRAP_HANDLER: 0
; COMPUTE_PGM_RSRC2:TGID_X_EN: 1
; COMPUTE_PGM_RSRC2:TGID_Y_EN: 0
; COMPUTE_PGM_RSRC2:TGID_Z_EN: 0
; COMPUTE_PGM_RSRC2:TIDIG_COMP_CNT: 0
	.section	.text._ZN7rocprim17ROCPRIM_400000_NS6detail17trampoline_kernelINS0_13select_configILj256ELj13ELNS0_17block_load_methodE3ELS4_3ELS4_3ELNS0_20block_scan_algorithmE0ELj4294967295EEENS1_25partition_config_selectorILNS1_17partition_subalgoE4EjNS0_10empty_typeEbEEZZNS1_14partition_implILS8_4ELb0ES6_15HIP_vector_typeIjLj2EENS0_17counting_iteratorIjlEEPS9_SG_NS0_5tupleIJPjSI_NS0_16reverse_iteratorISI_EEEEENSH_IJSG_SG_SG_EEES9_SI_JZNS1_25segmented_radix_sort_implINS0_14default_configELb0EPKbPbPKlPlN2at6native12_GLOBAL__N_18offset_tEEE10hipError_tPvRmT1_PNSt15iterator_traitsIS12_E10value_typeET2_T3_PNS13_IS18_E10value_typeET4_jRbjT5_S1E_jjP12ihipStream_tbEUljE_ZNSN_ISO_Lb0ESQ_SR_ST_SU_SY_EESZ_S10_S11_S12_S16_S17_S18_S1B_S1C_jS1D_jS1E_S1E_jjS1G_bEUljE0_EEESZ_S10_S11_S18_S1C_S1E_T6_T7_T9_mT8_S1G_bDpT10_ENKUlT_T0_E_clISt17integral_constantIbLb1EES1T_IbLb0EEEEDaS1P_S1Q_EUlS1P_E_NS1_11comp_targetILNS1_3genE9ELNS1_11target_archE1100ELNS1_3gpuE3ELNS1_3repE0EEENS1_30default_config_static_selectorELNS0_4arch9wavefront6targetE0EEEvS12_,"axG",@progbits,_ZN7rocprim17ROCPRIM_400000_NS6detail17trampoline_kernelINS0_13select_configILj256ELj13ELNS0_17block_load_methodE3ELS4_3ELS4_3ELNS0_20block_scan_algorithmE0ELj4294967295EEENS1_25partition_config_selectorILNS1_17partition_subalgoE4EjNS0_10empty_typeEbEEZZNS1_14partition_implILS8_4ELb0ES6_15HIP_vector_typeIjLj2EENS0_17counting_iteratorIjlEEPS9_SG_NS0_5tupleIJPjSI_NS0_16reverse_iteratorISI_EEEEENSH_IJSG_SG_SG_EEES9_SI_JZNS1_25segmented_radix_sort_implINS0_14default_configELb0EPKbPbPKlPlN2at6native12_GLOBAL__N_18offset_tEEE10hipError_tPvRmT1_PNSt15iterator_traitsIS12_E10value_typeET2_T3_PNS13_IS18_E10value_typeET4_jRbjT5_S1E_jjP12ihipStream_tbEUljE_ZNSN_ISO_Lb0ESQ_SR_ST_SU_SY_EESZ_S10_S11_S12_S16_S17_S18_S1B_S1C_jS1D_jS1E_S1E_jjS1G_bEUljE0_EEESZ_S10_S11_S18_S1C_S1E_T6_T7_T9_mT8_S1G_bDpT10_ENKUlT_T0_E_clISt17integral_constantIbLb1EES1T_IbLb0EEEEDaS1P_S1Q_EUlS1P_E_NS1_11comp_targetILNS1_3genE9ELNS1_11target_archE1100ELNS1_3gpuE3ELNS1_3repE0EEENS1_30default_config_static_selectorELNS0_4arch9wavefront6targetE0EEEvS12_,comdat
	.globl	_ZN7rocprim17ROCPRIM_400000_NS6detail17trampoline_kernelINS0_13select_configILj256ELj13ELNS0_17block_load_methodE3ELS4_3ELS4_3ELNS0_20block_scan_algorithmE0ELj4294967295EEENS1_25partition_config_selectorILNS1_17partition_subalgoE4EjNS0_10empty_typeEbEEZZNS1_14partition_implILS8_4ELb0ES6_15HIP_vector_typeIjLj2EENS0_17counting_iteratorIjlEEPS9_SG_NS0_5tupleIJPjSI_NS0_16reverse_iteratorISI_EEEEENSH_IJSG_SG_SG_EEES9_SI_JZNS1_25segmented_radix_sort_implINS0_14default_configELb0EPKbPbPKlPlN2at6native12_GLOBAL__N_18offset_tEEE10hipError_tPvRmT1_PNSt15iterator_traitsIS12_E10value_typeET2_T3_PNS13_IS18_E10value_typeET4_jRbjT5_S1E_jjP12ihipStream_tbEUljE_ZNSN_ISO_Lb0ESQ_SR_ST_SU_SY_EESZ_S10_S11_S12_S16_S17_S18_S1B_S1C_jS1D_jS1E_S1E_jjS1G_bEUljE0_EEESZ_S10_S11_S18_S1C_S1E_T6_T7_T9_mT8_S1G_bDpT10_ENKUlT_T0_E_clISt17integral_constantIbLb1EES1T_IbLb0EEEEDaS1P_S1Q_EUlS1P_E_NS1_11comp_targetILNS1_3genE9ELNS1_11target_archE1100ELNS1_3gpuE3ELNS1_3repE0EEENS1_30default_config_static_selectorELNS0_4arch9wavefront6targetE0EEEvS12_ ; -- Begin function _ZN7rocprim17ROCPRIM_400000_NS6detail17trampoline_kernelINS0_13select_configILj256ELj13ELNS0_17block_load_methodE3ELS4_3ELS4_3ELNS0_20block_scan_algorithmE0ELj4294967295EEENS1_25partition_config_selectorILNS1_17partition_subalgoE4EjNS0_10empty_typeEbEEZZNS1_14partition_implILS8_4ELb0ES6_15HIP_vector_typeIjLj2EENS0_17counting_iteratorIjlEEPS9_SG_NS0_5tupleIJPjSI_NS0_16reverse_iteratorISI_EEEEENSH_IJSG_SG_SG_EEES9_SI_JZNS1_25segmented_radix_sort_implINS0_14default_configELb0EPKbPbPKlPlN2at6native12_GLOBAL__N_18offset_tEEE10hipError_tPvRmT1_PNSt15iterator_traitsIS12_E10value_typeET2_T3_PNS13_IS18_E10value_typeET4_jRbjT5_S1E_jjP12ihipStream_tbEUljE_ZNSN_ISO_Lb0ESQ_SR_ST_SU_SY_EESZ_S10_S11_S12_S16_S17_S18_S1B_S1C_jS1D_jS1E_S1E_jjS1G_bEUljE0_EEESZ_S10_S11_S18_S1C_S1E_T6_T7_T9_mT8_S1G_bDpT10_ENKUlT_T0_E_clISt17integral_constantIbLb1EES1T_IbLb0EEEEDaS1P_S1Q_EUlS1P_E_NS1_11comp_targetILNS1_3genE9ELNS1_11target_archE1100ELNS1_3gpuE3ELNS1_3repE0EEENS1_30default_config_static_selectorELNS0_4arch9wavefront6targetE0EEEvS12_
	.p2align	8
	.type	_ZN7rocprim17ROCPRIM_400000_NS6detail17trampoline_kernelINS0_13select_configILj256ELj13ELNS0_17block_load_methodE3ELS4_3ELS4_3ELNS0_20block_scan_algorithmE0ELj4294967295EEENS1_25partition_config_selectorILNS1_17partition_subalgoE4EjNS0_10empty_typeEbEEZZNS1_14partition_implILS8_4ELb0ES6_15HIP_vector_typeIjLj2EENS0_17counting_iteratorIjlEEPS9_SG_NS0_5tupleIJPjSI_NS0_16reverse_iteratorISI_EEEEENSH_IJSG_SG_SG_EEES9_SI_JZNS1_25segmented_radix_sort_implINS0_14default_configELb0EPKbPbPKlPlN2at6native12_GLOBAL__N_18offset_tEEE10hipError_tPvRmT1_PNSt15iterator_traitsIS12_E10value_typeET2_T3_PNS13_IS18_E10value_typeET4_jRbjT5_S1E_jjP12ihipStream_tbEUljE_ZNSN_ISO_Lb0ESQ_SR_ST_SU_SY_EESZ_S10_S11_S12_S16_S17_S18_S1B_S1C_jS1D_jS1E_S1E_jjS1G_bEUljE0_EEESZ_S10_S11_S18_S1C_S1E_T6_T7_T9_mT8_S1G_bDpT10_ENKUlT_T0_E_clISt17integral_constantIbLb1EES1T_IbLb0EEEEDaS1P_S1Q_EUlS1P_E_NS1_11comp_targetILNS1_3genE9ELNS1_11target_archE1100ELNS1_3gpuE3ELNS1_3repE0EEENS1_30default_config_static_selectorELNS0_4arch9wavefront6targetE0EEEvS12_,@function
_ZN7rocprim17ROCPRIM_400000_NS6detail17trampoline_kernelINS0_13select_configILj256ELj13ELNS0_17block_load_methodE3ELS4_3ELS4_3ELNS0_20block_scan_algorithmE0ELj4294967295EEENS1_25partition_config_selectorILNS1_17partition_subalgoE4EjNS0_10empty_typeEbEEZZNS1_14partition_implILS8_4ELb0ES6_15HIP_vector_typeIjLj2EENS0_17counting_iteratorIjlEEPS9_SG_NS0_5tupleIJPjSI_NS0_16reverse_iteratorISI_EEEEENSH_IJSG_SG_SG_EEES9_SI_JZNS1_25segmented_radix_sort_implINS0_14default_configELb0EPKbPbPKlPlN2at6native12_GLOBAL__N_18offset_tEEE10hipError_tPvRmT1_PNSt15iterator_traitsIS12_E10value_typeET2_T3_PNS13_IS18_E10value_typeET4_jRbjT5_S1E_jjP12ihipStream_tbEUljE_ZNSN_ISO_Lb0ESQ_SR_ST_SU_SY_EESZ_S10_S11_S12_S16_S17_S18_S1B_S1C_jS1D_jS1E_S1E_jjS1G_bEUljE0_EEESZ_S10_S11_S18_S1C_S1E_T6_T7_T9_mT8_S1G_bDpT10_ENKUlT_T0_E_clISt17integral_constantIbLb1EES1T_IbLb0EEEEDaS1P_S1Q_EUlS1P_E_NS1_11comp_targetILNS1_3genE9ELNS1_11target_archE1100ELNS1_3gpuE3ELNS1_3repE0EEENS1_30default_config_static_selectorELNS0_4arch9wavefront6targetE0EEEvS12_: ; @_ZN7rocprim17ROCPRIM_400000_NS6detail17trampoline_kernelINS0_13select_configILj256ELj13ELNS0_17block_load_methodE3ELS4_3ELS4_3ELNS0_20block_scan_algorithmE0ELj4294967295EEENS1_25partition_config_selectorILNS1_17partition_subalgoE4EjNS0_10empty_typeEbEEZZNS1_14partition_implILS8_4ELb0ES6_15HIP_vector_typeIjLj2EENS0_17counting_iteratorIjlEEPS9_SG_NS0_5tupleIJPjSI_NS0_16reverse_iteratorISI_EEEEENSH_IJSG_SG_SG_EEES9_SI_JZNS1_25segmented_radix_sort_implINS0_14default_configELb0EPKbPbPKlPlN2at6native12_GLOBAL__N_18offset_tEEE10hipError_tPvRmT1_PNSt15iterator_traitsIS12_E10value_typeET2_T3_PNS13_IS18_E10value_typeET4_jRbjT5_S1E_jjP12ihipStream_tbEUljE_ZNSN_ISO_Lb0ESQ_SR_ST_SU_SY_EESZ_S10_S11_S12_S16_S17_S18_S1B_S1C_jS1D_jS1E_S1E_jjS1G_bEUljE0_EEESZ_S10_S11_S18_S1C_S1E_T6_T7_T9_mT8_S1G_bDpT10_ENKUlT_T0_E_clISt17integral_constantIbLb1EES1T_IbLb0EEEEDaS1P_S1Q_EUlS1P_E_NS1_11comp_targetILNS1_3genE9ELNS1_11target_archE1100ELNS1_3gpuE3ELNS1_3repE0EEENS1_30default_config_static_selectorELNS0_4arch9wavefront6targetE0EEEvS12_
; %bb.0:
	.section	.rodata,"a",@progbits
	.p2align	6, 0x0
	.amdhsa_kernel _ZN7rocprim17ROCPRIM_400000_NS6detail17trampoline_kernelINS0_13select_configILj256ELj13ELNS0_17block_load_methodE3ELS4_3ELS4_3ELNS0_20block_scan_algorithmE0ELj4294967295EEENS1_25partition_config_selectorILNS1_17partition_subalgoE4EjNS0_10empty_typeEbEEZZNS1_14partition_implILS8_4ELb0ES6_15HIP_vector_typeIjLj2EENS0_17counting_iteratorIjlEEPS9_SG_NS0_5tupleIJPjSI_NS0_16reverse_iteratorISI_EEEEENSH_IJSG_SG_SG_EEES9_SI_JZNS1_25segmented_radix_sort_implINS0_14default_configELb0EPKbPbPKlPlN2at6native12_GLOBAL__N_18offset_tEEE10hipError_tPvRmT1_PNSt15iterator_traitsIS12_E10value_typeET2_T3_PNS13_IS18_E10value_typeET4_jRbjT5_S1E_jjP12ihipStream_tbEUljE_ZNSN_ISO_Lb0ESQ_SR_ST_SU_SY_EESZ_S10_S11_S12_S16_S17_S18_S1B_S1C_jS1D_jS1E_S1E_jjS1G_bEUljE0_EEESZ_S10_S11_S18_S1C_S1E_T6_T7_T9_mT8_S1G_bDpT10_ENKUlT_T0_E_clISt17integral_constantIbLb1EES1T_IbLb0EEEEDaS1P_S1Q_EUlS1P_E_NS1_11comp_targetILNS1_3genE9ELNS1_11target_archE1100ELNS1_3gpuE3ELNS1_3repE0EEENS1_30default_config_static_selectorELNS0_4arch9wavefront6targetE0EEEvS12_
		.amdhsa_group_segment_fixed_size 0
		.amdhsa_private_segment_fixed_size 0
		.amdhsa_kernarg_size 176
		.amdhsa_user_sgpr_count 2
		.amdhsa_user_sgpr_dispatch_ptr 0
		.amdhsa_user_sgpr_queue_ptr 0
		.amdhsa_user_sgpr_kernarg_segment_ptr 1
		.amdhsa_user_sgpr_dispatch_id 0
		.amdhsa_user_sgpr_private_segment_size 0
		.amdhsa_wavefront_size32 1
		.amdhsa_uses_dynamic_stack 0
		.amdhsa_enable_private_segment 0
		.amdhsa_system_sgpr_workgroup_id_x 1
		.amdhsa_system_sgpr_workgroup_id_y 0
		.amdhsa_system_sgpr_workgroup_id_z 0
		.amdhsa_system_sgpr_workgroup_info 0
		.amdhsa_system_vgpr_workitem_id 0
		.amdhsa_next_free_vgpr 1
		.amdhsa_next_free_sgpr 1
		.amdhsa_reserve_vcc 0
		.amdhsa_float_round_mode_32 0
		.amdhsa_float_round_mode_16_64 0
		.amdhsa_float_denorm_mode_32 3
		.amdhsa_float_denorm_mode_16_64 3
		.amdhsa_fp16_overflow 0
		.amdhsa_workgroup_processor_mode 1
		.amdhsa_memory_ordered 1
		.amdhsa_forward_progress 1
		.amdhsa_inst_pref_size 0
		.amdhsa_round_robin_scheduling 0
		.amdhsa_exception_fp_ieee_invalid_op 0
		.amdhsa_exception_fp_denorm_src 0
		.amdhsa_exception_fp_ieee_div_zero 0
		.amdhsa_exception_fp_ieee_overflow 0
		.amdhsa_exception_fp_ieee_underflow 0
		.amdhsa_exception_fp_ieee_inexact 0
		.amdhsa_exception_int_div_zero 0
	.end_amdhsa_kernel
	.section	.text._ZN7rocprim17ROCPRIM_400000_NS6detail17trampoline_kernelINS0_13select_configILj256ELj13ELNS0_17block_load_methodE3ELS4_3ELS4_3ELNS0_20block_scan_algorithmE0ELj4294967295EEENS1_25partition_config_selectorILNS1_17partition_subalgoE4EjNS0_10empty_typeEbEEZZNS1_14partition_implILS8_4ELb0ES6_15HIP_vector_typeIjLj2EENS0_17counting_iteratorIjlEEPS9_SG_NS0_5tupleIJPjSI_NS0_16reverse_iteratorISI_EEEEENSH_IJSG_SG_SG_EEES9_SI_JZNS1_25segmented_radix_sort_implINS0_14default_configELb0EPKbPbPKlPlN2at6native12_GLOBAL__N_18offset_tEEE10hipError_tPvRmT1_PNSt15iterator_traitsIS12_E10value_typeET2_T3_PNS13_IS18_E10value_typeET4_jRbjT5_S1E_jjP12ihipStream_tbEUljE_ZNSN_ISO_Lb0ESQ_SR_ST_SU_SY_EESZ_S10_S11_S12_S16_S17_S18_S1B_S1C_jS1D_jS1E_S1E_jjS1G_bEUljE0_EEESZ_S10_S11_S18_S1C_S1E_T6_T7_T9_mT8_S1G_bDpT10_ENKUlT_T0_E_clISt17integral_constantIbLb1EES1T_IbLb0EEEEDaS1P_S1Q_EUlS1P_E_NS1_11comp_targetILNS1_3genE9ELNS1_11target_archE1100ELNS1_3gpuE3ELNS1_3repE0EEENS1_30default_config_static_selectorELNS0_4arch9wavefront6targetE0EEEvS12_,"axG",@progbits,_ZN7rocprim17ROCPRIM_400000_NS6detail17trampoline_kernelINS0_13select_configILj256ELj13ELNS0_17block_load_methodE3ELS4_3ELS4_3ELNS0_20block_scan_algorithmE0ELj4294967295EEENS1_25partition_config_selectorILNS1_17partition_subalgoE4EjNS0_10empty_typeEbEEZZNS1_14partition_implILS8_4ELb0ES6_15HIP_vector_typeIjLj2EENS0_17counting_iteratorIjlEEPS9_SG_NS0_5tupleIJPjSI_NS0_16reverse_iteratorISI_EEEEENSH_IJSG_SG_SG_EEES9_SI_JZNS1_25segmented_radix_sort_implINS0_14default_configELb0EPKbPbPKlPlN2at6native12_GLOBAL__N_18offset_tEEE10hipError_tPvRmT1_PNSt15iterator_traitsIS12_E10value_typeET2_T3_PNS13_IS18_E10value_typeET4_jRbjT5_S1E_jjP12ihipStream_tbEUljE_ZNSN_ISO_Lb0ESQ_SR_ST_SU_SY_EESZ_S10_S11_S12_S16_S17_S18_S1B_S1C_jS1D_jS1E_S1E_jjS1G_bEUljE0_EEESZ_S10_S11_S18_S1C_S1E_T6_T7_T9_mT8_S1G_bDpT10_ENKUlT_T0_E_clISt17integral_constantIbLb1EES1T_IbLb0EEEEDaS1P_S1Q_EUlS1P_E_NS1_11comp_targetILNS1_3genE9ELNS1_11target_archE1100ELNS1_3gpuE3ELNS1_3repE0EEENS1_30default_config_static_selectorELNS0_4arch9wavefront6targetE0EEEvS12_,comdat
.Lfunc_end1593:
	.size	_ZN7rocprim17ROCPRIM_400000_NS6detail17trampoline_kernelINS0_13select_configILj256ELj13ELNS0_17block_load_methodE3ELS4_3ELS4_3ELNS0_20block_scan_algorithmE0ELj4294967295EEENS1_25partition_config_selectorILNS1_17partition_subalgoE4EjNS0_10empty_typeEbEEZZNS1_14partition_implILS8_4ELb0ES6_15HIP_vector_typeIjLj2EENS0_17counting_iteratorIjlEEPS9_SG_NS0_5tupleIJPjSI_NS0_16reverse_iteratorISI_EEEEENSH_IJSG_SG_SG_EEES9_SI_JZNS1_25segmented_radix_sort_implINS0_14default_configELb0EPKbPbPKlPlN2at6native12_GLOBAL__N_18offset_tEEE10hipError_tPvRmT1_PNSt15iterator_traitsIS12_E10value_typeET2_T3_PNS13_IS18_E10value_typeET4_jRbjT5_S1E_jjP12ihipStream_tbEUljE_ZNSN_ISO_Lb0ESQ_SR_ST_SU_SY_EESZ_S10_S11_S12_S16_S17_S18_S1B_S1C_jS1D_jS1E_S1E_jjS1G_bEUljE0_EEESZ_S10_S11_S18_S1C_S1E_T6_T7_T9_mT8_S1G_bDpT10_ENKUlT_T0_E_clISt17integral_constantIbLb1EES1T_IbLb0EEEEDaS1P_S1Q_EUlS1P_E_NS1_11comp_targetILNS1_3genE9ELNS1_11target_archE1100ELNS1_3gpuE3ELNS1_3repE0EEENS1_30default_config_static_selectorELNS0_4arch9wavefront6targetE0EEEvS12_, .Lfunc_end1593-_ZN7rocprim17ROCPRIM_400000_NS6detail17trampoline_kernelINS0_13select_configILj256ELj13ELNS0_17block_load_methodE3ELS4_3ELS4_3ELNS0_20block_scan_algorithmE0ELj4294967295EEENS1_25partition_config_selectorILNS1_17partition_subalgoE4EjNS0_10empty_typeEbEEZZNS1_14partition_implILS8_4ELb0ES6_15HIP_vector_typeIjLj2EENS0_17counting_iteratorIjlEEPS9_SG_NS0_5tupleIJPjSI_NS0_16reverse_iteratorISI_EEEEENSH_IJSG_SG_SG_EEES9_SI_JZNS1_25segmented_radix_sort_implINS0_14default_configELb0EPKbPbPKlPlN2at6native12_GLOBAL__N_18offset_tEEE10hipError_tPvRmT1_PNSt15iterator_traitsIS12_E10value_typeET2_T3_PNS13_IS18_E10value_typeET4_jRbjT5_S1E_jjP12ihipStream_tbEUljE_ZNSN_ISO_Lb0ESQ_SR_ST_SU_SY_EESZ_S10_S11_S12_S16_S17_S18_S1B_S1C_jS1D_jS1E_S1E_jjS1G_bEUljE0_EEESZ_S10_S11_S18_S1C_S1E_T6_T7_T9_mT8_S1G_bDpT10_ENKUlT_T0_E_clISt17integral_constantIbLb1EES1T_IbLb0EEEEDaS1P_S1Q_EUlS1P_E_NS1_11comp_targetILNS1_3genE9ELNS1_11target_archE1100ELNS1_3gpuE3ELNS1_3repE0EEENS1_30default_config_static_selectorELNS0_4arch9wavefront6targetE0EEEvS12_
                                        ; -- End function
	.set _ZN7rocprim17ROCPRIM_400000_NS6detail17trampoline_kernelINS0_13select_configILj256ELj13ELNS0_17block_load_methodE3ELS4_3ELS4_3ELNS0_20block_scan_algorithmE0ELj4294967295EEENS1_25partition_config_selectorILNS1_17partition_subalgoE4EjNS0_10empty_typeEbEEZZNS1_14partition_implILS8_4ELb0ES6_15HIP_vector_typeIjLj2EENS0_17counting_iteratorIjlEEPS9_SG_NS0_5tupleIJPjSI_NS0_16reverse_iteratorISI_EEEEENSH_IJSG_SG_SG_EEES9_SI_JZNS1_25segmented_radix_sort_implINS0_14default_configELb0EPKbPbPKlPlN2at6native12_GLOBAL__N_18offset_tEEE10hipError_tPvRmT1_PNSt15iterator_traitsIS12_E10value_typeET2_T3_PNS13_IS18_E10value_typeET4_jRbjT5_S1E_jjP12ihipStream_tbEUljE_ZNSN_ISO_Lb0ESQ_SR_ST_SU_SY_EESZ_S10_S11_S12_S16_S17_S18_S1B_S1C_jS1D_jS1E_S1E_jjS1G_bEUljE0_EEESZ_S10_S11_S18_S1C_S1E_T6_T7_T9_mT8_S1G_bDpT10_ENKUlT_T0_E_clISt17integral_constantIbLb1EES1T_IbLb0EEEEDaS1P_S1Q_EUlS1P_E_NS1_11comp_targetILNS1_3genE9ELNS1_11target_archE1100ELNS1_3gpuE3ELNS1_3repE0EEENS1_30default_config_static_selectorELNS0_4arch9wavefront6targetE0EEEvS12_.num_vgpr, 0
	.set _ZN7rocprim17ROCPRIM_400000_NS6detail17trampoline_kernelINS0_13select_configILj256ELj13ELNS0_17block_load_methodE3ELS4_3ELS4_3ELNS0_20block_scan_algorithmE0ELj4294967295EEENS1_25partition_config_selectorILNS1_17partition_subalgoE4EjNS0_10empty_typeEbEEZZNS1_14partition_implILS8_4ELb0ES6_15HIP_vector_typeIjLj2EENS0_17counting_iteratorIjlEEPS9_SG_NS0_5tupleIJPjSI_NS0_16reverse_iteratorISI_EEEEENSH_IJSG_SG_SG_EEES9_SI_JZNS1_25segmented_radix_sort_implINS0_14default_configELb0EPKbPbPKlPlN2at6native12_GLOBAL__N_18offset_tEEE10hipError_tPvRmT1_PNSt15iterator_traitsIS12_E10value_typeET2_T3_PNS13_IS18_E10value_typeET4_jRbjT5_S1E_jjP12ihipStream_tbEUljE_ZNSN_ISO_Lb0ESQ_SR_ST_SU_SY_EESZ_S10_S11_S12_S16_S17_S18_S1B_S1C_jS1D_jS1E_S1E_jjS1G_bEUljE0_EEESZ_S10_S11_S18_S1C_S1E_T6_T7_T9_mT8_S1G_bDpT10_ENKUlT_T0_E_clISt17integral_constantIbLb1EES1T_IbLb0EEEEDaS1P_S1Q_EUlS1P_E_NS1_11comp_targetILNS1_3genE9ELNS1_11target_archE1100ELNS1_3gpuE3ELNS1_3repE0EEENS1_30default_config_static_selectorELNS0_4arch9wavefront6targetE0EEEvS12_.num_agpr, 0
	.set _ZN7rocprim17ROCPRIM_400000_NS6detail17trampoline_kernelINS0_13select_configILj256ELj13ELNS0_17block_load_methodE3ELS4_3ELS4_3ELNS0_20block_scan_algorithmE0ELj4294967295EEENS1_25partition_config_selectorILNS1_17partition_subalgoE4EjNS0_10empty_typeEbEEZZNS1_14partition_implILS8_4ELb0ES6_15HIP_vector_typeIjLj2EENS0_17counting_iteratorIjlEEPS9_SG_NS0_5tupleIJPjSI_NS0_16reverse_iteratorISI_EEEEENSH_IJSG_SG_SG_EEES9_SI_JZNS1_25segmented_radix_sort_implINS0_14default_configELb0EPKbPbPKlPlN2at6native12_GLOBAL__N_18offset_tEEE10hipError_tPvRmT1_PNSt15iterator_traitsIS12_E10value_typeET2_T3_PNS13_IS18_E10value_typeET4_jRbjT5_S1E_jjP12ihipStream_tbEUljE_ZNSN_ISO_Lb0ESQ_SR_ST_SU_SY_EESZ_S10_S11_S12_S16_S17_S18_S1B_S1C_jS1D_jS1E_S1E_jjS1G_bEUljE0_EEESZ_S10_S11_S18_S1C_S1E_T6_T7_T9_mT8_S1G_bDpT10_ENKUlT_T0_E_clISt17integral_constantIbLb1EES1T_IbLb0EEEEDaS1P_S1Q_EUlS1P_E_NS1_11comp_targetILNS1_3genE9ELNS1_11target_archE1100ELNS1_3gpuE3ELNS1_3repE0EEENS1_30default_config_static_selectorELNS0_4arch9wavefront6targetE0EEEvS12_.numbered_sgpr, 0
	.set _ZN7rocprim17ROCPRIM_400000_NS6detail17trampoline_kernelINS0_13select_configILj256ELj13ELNS0_17block_load_methodE3ELS4_3ELS4_3ELNS0_20block_scan_algorithmE0ELj4294967295EEENS1_25partition_config_selectorILNS1_17partition_subalgoE4EjNS0_10empty_typeEbEEZZNS1_14partition_implILS8_4ELb0ES6_15HIP_vector_typeIjLj2EENS0_17counting_iteratorIjlEEPS9_SG_NS0_5tupleIJPjSI_NS0_16reverse_iteratorISI_EEEEENSH_IJSG_SG_SG_EEES9_SI_JZNS1_25segmented_radix_sort_implINS0_14default_configELb0EPKbPbPKlPlN2at6native12_GLOBAL__N_18offset_tEEE10hipError_tPvRmT1_PNSt15iterator_traitsIS12_E10value_typeET2_T3_PNS13_IS18_E10value_typeET4_jRbjT5_S1E_jjP12ihipStream_tbEUljE_ZNSN_ISO_Lb0ESQ_SR_ST_SU_SY_EESZ_S10_S11_S12_S16_S17_S18_S1B_S1C_jS1D_jS1E_S1E_jjS1G_bEUljE0_EEESZ_S10_S11_S18_S1C_S1E_T6_T7_T9_mT8_S1G_bDpT10_ENKUlT_T0_E_clISt17integral_constantIbLb1EES1T_IbLb0EEEEDaS1P_S1Q_EUlS1P_E_NS1_11comp_targetILNS1_3genE9ELNS1_11target_archE1100ELNS1_3gpuE3ELNS1_3repE0EEENS1_30default_config_static_selectorELNS0_4arch9wavefront6targetE0EEEvS12_.num_named_barrier, 0
	.set _ZN7rocprim17ROCPRIM_400000_NS6detail17trampoline_kernelINS0_13select_configILj256ELj13ELNS0_17block_load_methodE3ELS4_3ELS4_3ELNS0_20block_scan_algorithmE0ELj4294967295EEENS1_25partition_config_selectorILNS1_17partition_subalgoE4EjNS0_10empty_typeEbEEZZNS1_14partition_implILS8_4ELb0ES6_15HIP_vector_typeIjLj2EENS0_17counting_iteratorIjlEEPS9_SG_NS0_5tupleIJPjSI_NS0_16reverse_iteratorISI_EEEEENSH_IJSG_SG_SG_EEES9_SI_JZNS1_25segmented_radix_sort_implINS0_14default_configELb0EPKbPbPKlPlN2at6native12_GLOBAL__N_18offset_tEEE10hipError_tPvRmT1_PNSt15iterator_traitsIS12_E10value_typeET2_T3_PNS13_IS18_E10value_typeET4_jRbjT5_S1E_jjP12ihipStream_tbEUljE_ZNSN_ISO_Lb0ESQ_SR_ST_SU_SY_EESZ_S10_S11_S12_S16_S17_S18_S1B_S1C_jS1D_jS1E_S1E_jjS1G_bEUljE0_EEESZ_S10_S11_S18_S1C_S1E_T6_T7_T9_mT8_S1G_bDpT10_ENKUlT_T0_E_clISt17integral_constantIbLb1EES1T_IbLb0EEEEDaS1P_S1Q_EUlS1P_E_NS1_11comp_targetILNS1_3genE9ELNS1_11target_archE1100ELNS1_3gpuE3ELNS1_3repE0EEENS1_30default_config_static_selectorELNS0_4arch9wavefront6targetE0EEEvS12_.private_seg_size, 0
	.set _ZN7rocprim17ROCPRIM_400000_NS6detail17trampoline_kernelINS0_13select_configILj256ELj13ELNS0_17block_load_methodE3ELS4_3ELS4_3ELNS0_20block_scan_algorithmE0ELj4294967295EEENS1_25partition_config_selectorILNS1_17partition_subalgoE4EjNS0_10empty_typeEbEEZZNS1_14partition_implILS8_4ELb0ES6_15HIP_vector_typeIjLj2EENS0_17counting_iteratorIjlEEPS9_SG_NS0_5tupleIJPjSI_NS0_16reverse_iteratorISI_EEEEENSH_IJSG_SG_SG_EEES9_SI_JZNS1_25segmented_radix_sort_implINS0_14default_configELb0EPKbPbPKlPlN2at6native12_GLOBAL__N_18offset_tEEE10hipError_tPvRmT1_PNSt15iterator_traitsIS12_E10value_typeET2_T3_PNS13_IS18_E10value_typeET4_jRbjT5_S1E_jjP12ihipStream_tbEUljE_ZNSN_ISO_Lb0ESQ_SR_ST_SU_SY_EESZ_S10_S11_S12_S16_S17_S18_S1B_S1C_jS1D_jS1E_S1E_jjS1G_bEUljE0_EEESZ_S10_S11_S18_S1C_S1E_T6_T7_T9_mT8_S1G_bDpT10_ENKUlT_T0_E_clISt17integral_constantIbLb1EES1T_IbLb0EEEEDaS1P_S1Q_EUlS1P_E_NS1_11comp_targetILNS1_3genE9ELNS1_11target_archE1100ELNS1_3gpuE3ELNS1_3repE0EEENS1_30default_config_static_selectorELNS0_4arch9wavefront6targetE0EEEvS12_.uses_vcc, 0
	.set _ZN7rocprim17ROCPRIM_400000_NS6detail17trampoline_kernelINS0_13select_configILj256ELj13ELNS0_17block_load_methodE3ELS4_3ELS4_3ELNS0_20block_scan_algorithmE0ELj4294967295EEENS1_25partition_config_selectorILNS1_17partition_subalgoE4EjNS0_10empty_typeEbEEZZNS1_14partition_implILS8_4ELb0ES6_15HIP_vector_typeIjLj2EENS0_17counting_iteratorIjlEEPS9_SG_NS0_5tupleIJPjSI_NS0_16reverse_iteratorISI_EEEEENSH_IJSG_SG_SG_EEES9_SI_JZNS1_25segmented_radix_sort_implINS0_14default_configELb0EPKbPbPKlPlN2at6native12_GLOBAL__N_18offset_tEEE10hipError_tPvRmT1_PNSt15iterator_traitsIS12_E10value_typeET2_T3_PNS13_IS18_E10value_typeET4_jRbjT5_S1E_jjP12ihipStream_tbEUljE_ZNSN_ISO_Lb0ESQ_SR_ST_SU_SY_EESZ_S10_S11_S12_S16_S17_S18_S1B_S1C_jS1D_jS1E_S1E_jjS1G_bEUljE0_EEESZ_S10_S11_S18_S1C_S1E_T6_T7_T9_mT8_S1G_bDpT10_ENKUlT_T0_E_clISt17integral_constantIbLb1EES1T_IbLb0EEEEDaS1P_S1Q_EUlS1P_E_NS1_11comp_targetILNS1_3genE9ELNS1_11target_archE1100ELNS1_3gpuE3ELNS1_3repE0EEENS1_30default_config_static_selectorELNS0_4arch9wavefront6targetE0EEEvS12_.uses_flat_scratch, 0
	.set _ZN7rocprim17ROCPRIM_400000_NS6detail17trampoline_kernelINS0_13select_configILj256ELj13ELNS0_17block_load_methodE3ELS4_3ELS4_3ELNS0_20block_scan_algorithmE0ELj4294967295EEENS1_25partition_config_selectorILNS1_17partition_subalgoE4EjNS0_10empty_typeEbEEZZNS1_14partition_implILS8_4ELb0ES6_15HIP_vector_typeIjLj2EENS0_17counting_iteratorIjlEEPS9_SG_NS0_5tupleIJPjSI_NS0_16reverse_iteratorISI_EEEEENSH_IJSG_SG_SG_EEES9_SI_JZNS1_25segmented_radix_sort_implINS0_14default_configELb0EPKbPbPKlPlN2at6native12_GLOBAL__N_18offset_tEEE10hipError_tPvRmT1_PNSt15iterator_traitsIS12_E10value_typeET2_T3_PNS13_IS18_E10value_typeET4_jRbjT5_S1E_jjP12ihipStream_tbEUljE_ZNSN_ISO_Lb0ESQ_SR_ST_SU_SY_EESZ_S10_S11_S12_S16_S17_S18_S1B_S1C_jS1D_jS1E_S1E_jjS1G_bEUljE0_EEESZ_S10_S11_S18_S1C_S1E_T6_T7_T9_mT8_S1G_bDpT10_ENKUlT_T0_E_clISt17integral_constantIbLb1EES1T_IbLb0EEEEDaS1P_S1Q_EUlS1P_E_NS1_11comp_targetILNS1_3genE9ELNS1_11target_archE1100ELNS1_3gpuE3ELNS1_3repE0EEENS1_30default_config_static_selectorELNS0_4arch9wavefront6targetE0EEEvS12_.has_dyn_sized_stack, 0
	.set _ZN7rocprim17ROCPRIM_400000_NS6detail17trampoline_kernelINS0_13select_configILj256ELj13ELNS0_17block_load_methodE3ELS4_3ELS4_3ELNS0_20block_scan_algorithmE0ELj4294967295EEENS1_25partition_config_selectorILNS1_17partition_subalgoE4EjNS0_10empty_typeEbEEZZNS1_14partition_implILS8_4ELb0ES6_15HIP_vector_typeIjLj2EENS0_17counting_iteratorIjlEEPS9_SG_NS0_5tupleIJPjSI_NS0_16reverse_iteratorISI_EEEEENSH_IJSG_SG_SG_EEES9_SI_JZNS1_25segmented_radix_sort_implINS0_14default_configELb0EPKbPbPKlPlN2at6native12_GLOBAL__N_18offset_tEEE10hipError_tPvRmT1_PNSt15iterator_traitsIS12_E10value_typeET2_T3_PNS13_IS18_E10value_typeET4_jRbjT5_S1E_jjP12ihipStream_tbEUljE_ZNSN_ISO_Lb0ESQ_SR_ST_SU_SY_EESZ_S10_S11_S12_S16_S17_S18_S1B_S1C_jS1D_jS1E_S1E_jjS1G_bEUljE0_EEESZ_S10_S11_S18_S1C_S1E_T6_T7_T9_mT8_S1G_bDpT10_ENKUlT_T0_E_clISt17integral_constantIbLb1EES1T_IbLb0EEEEDaS1P_S1Q_EUlS1P_E_NS1_11comp_targetILNS1_3genE9ELNS1_11target_archE1100ELNS1_3gpuE3ELNS1_3repE0EEENS1_30default_config_static_selectorELNS0_4arch9wavefront6targetE0EEEvS12_.has_recursion, 0
	.set _ZN7rocprim17ROCPRIM_400000_NS6detail17trampoline_kernelINS0_13select_configILj256ELj13ELNS0_17block_load_methodE3ELS4_3ELS4_3ELNS0_20block_scan_algorithmE0ELj4294967295EEENS1_25partition_config_selectorILNS1_17partition_subalgoE4EjNS0_10empty_typeEbEEZZNS1_14partition_implILS8_4ELb0ES6_15HIP_vector_typeIjLj2EENS0_17counting_iteratorIjlEEPS9_SG_NS0_5tupleIJPjSI_NS0_16reverse_iteratorISI_EEEEENSH_IJSG_SG_SG_EEES9_SI_JZNS1_25segmented_radix_sort_implINS0_14default_configELb0EPKbPbPKlPlN2at6native12_GLOBAL__N_18offset_tEEE10hipError_tPvRmT1_PNSt15iterator_traitsIS12_E10value_typeET2_T3_PNS13_IS18_E10value_typeET4_jRbjT5_S1E_jjP12ihipStream_tbEUljE_ZNSN_ISO_Lb0ESQ_SR_ST_SU_SY_EESZ_S10_S11_S12_S16_S17_S18_S1B_S1C_jS1D_jS1E_S1E_jjS1G_bEUljE0_EEESZ_S10_S11_S18_S1C_S1E_T6_T7_T9_mT8_S1G_bDpT10_ENKUlT_T0_E_clISt17integral_constantIbLb1EES1T_IbLb0EEEEDaS1P_S1Q_EUlS1P_E_NS1_11comp_targetILNS1_3genE9ELNS1_11target_archE1100ELNS1_3gpuE3ELNS1_3repE0EEENS1_30default_config_static_selectorELNS0_4arch9wavefront6targetE0EEEvS12_.has_indirect_call, 0
	.section	.AMDGPU.csdata,"",@progbits
; Kernel info:
; codeLenInByte = 0
; TotalNumSgprs: 0
; NumVgprs: 0
; ScratchSize: 0
; MemoryBound: 0
; FloatMode: 240
; IeeeMode: 1
; LDSByteSize: 0 bytes/workgroup (compile time only)
; SGPRBlocks: 0
; VGPRBlocks: 0
; NumSGPRsForWavesPerEU: 1
; NumVGPRsForWavesPerEU: 1
; Occupancy: 16
; WaveLimiterHint : 0
; COMPUTE_PGM_RSRC2:SCRATCH_EN: 0
; COMPUTE_PGM_RSRC2:USER_SGPR: 2
; COMPUTE_PGM_RSRC2:TRAP_HANDLER: 0
; COMPUTE_PGM_RSRC2:TGID_X_EN: 1
; COMPUTE_PGM_RSRC2:TGID_Y_EN: 0
; COMPUTE_PGM_RSRC2:TGID_Z_EN: 0
; COMPUTE_PGM_RSRC2:TIDIG_COMP_CNT: 0
	.section	.text._ZN7rocprim17ROCPRIM_400000_NS6detail17trampoline_kernelINS0_13select_configILj256ELj13ELNS0_17block_load_methodE3ELS4_3ELS4_3ELNS0_20block_scan_algorithmE0ELj4294967295EEENS1_25partition_config_selectorILNS1_17partition_subalgoE4EjNS0_10empty_typeEbEEZZNS1_14partition_implILS8_4ELb0ES6_15HIP_vector_typeIjLj2EENS0_17counting_iteratorIjlEEPS9_SG_NS0_5tupleIJPjSI_NS0_16reverse_iteratorISI_EEEEENSH_IJSG_SG_SG_EEES9_SI_JZNS1_25segmented_radix_sort_implINS0_14default_configELb0EPKbPbPKlPlN2at6native12_GLOBAL__N_18offset_tEEE10hipError_tPvRmT1_PNSt15iterator_traitsIS12_E10value_typeET2_T3_PNS13_IS18_E10value_typeET4_jRbjT5_S1E_jjP12ihipStream_tbEUljE_ZNSN_ISO_Lb0ESQ_SR_ST_SU_SY_EESZ_S10_S11_S12_S16_S17_S18_S1B_S1C_jS1D_jS1E_S1E_jjS1G_bEUljE0_EEESZ_S10_S11_S18_S1C_S1E_T6_T7_T9_mT8_S1G_bDpT10_ENKUlT_T0_E_clISt17integral_constantIbLb1EES1T_IbLb0EEEEDaS1P_S1Q_EUlS1P_E_NS1_11comp_targetILNS1_3genE8ELNS1_11target_archE1030ELNS1_3gpuE2ELNS1_3repE0EEENS1_30default_config_static_selectorELNS0_4arch9wavefront6targetE0EEEvS12_,"axG",@progbits,_ZN7rocprim17ROCPRIM_400000_NS6detail17trampoline_kernelINS0_13select_configILj256ELj13ELNS0_17block_load_methodE3ELS4_3ELS4_3ELNS0_20block_scan_algorithmE0ELj4294967295EEENS1_25partition_config_selectorILNS1_17partition_subalgoE4EjNS0_10empty_typeEbEEZZNS1_14partition_implILS8_4ELb0ES6_15HIP_vector_typeIjLj2EENS0_17counting_iteratorIjlEEPS9_SG_NS0_5tupleIJPjSI_NS0_16reverse_iteratorISI_EEEEENSH_IJSG_SG_SG_EEES9_SI_JZNS1_25segmented_radix_sort_implINS0_14default_configELb0EPKbPbPKlPlN2at6native12_GLOBAL__N_18offset_tEEE10hipError_tPvRmT1_PNSt15iterator_traitsIS12_E10value_typeET2_T3_PNS13_IS18_E10value_typeET4_jRbjT5_S1E_jjP12ihipStream_tbEUljE_ZNSN_ISO_Lb0ESQ_SR_ST_SU_SY_EESZ_S10_S11_S12_S16_S17_S18_S1B_S1C_jS1D_jS1E_S1E_jjS1G_bEUljE0_EEESZ_S10_S11_S18_S1C_S1E_T6_T7_T9_mT8_S1G_bDpT10_ENKUlT_T0_E_clISt17integral_constantIbLb1EES1T_IbLb0EEEEDaS1P_S1Q_EUlS1P_E_NS1_11comp_targetILNS1_3genE8ELNS1_11target_archE1030ELNS1_3gpuE2ELNS1_3repE0EEENS1_30default_config_static_selectorELNS0_4arch9wavefront6targetE0EEEvS12_,comdat
	.globl	_ZN7rocprim17ROCPRIM_400000_NS6detail17trampoline_kernelINS0_13select_configILj256ELj13ELNS0_17block_load_methodE3ELS4_3ELS4_3ELNS0_20block_scan_algorithmE0ELj4294967295EEENS1_25partition_config_selectorILNS1_17partition_subalgoE4EjNS0_10empty_typeEbEEZZNS1_14partition_implILS8_4ELb0ES6_15HIP_vector_typeIjLj2EENS0_17counting_iteratorIjlEEPS9_SG_NS0_5tupleIJPjSI_NS0_16reverse_iteratorISI_EEEEENSH_IJSG_SG_SG_EEES9_SI_JZNS1_25segmented_radix_sort_implINS0_14default_configELb0EPKbPbPKlPlN2at6native12_GLOBAL__N_18offset_tEEE10hipError_tPvRmT1_PNSt15iterator_traitsIS12_E10value_typeET2_T3_PNS13_IS18_E10value_typeET4_jRbjT5_S1E_jjP12ihipStream_tbEUljE_ZNSN_ISO_Lb0ESQ_SR_ST_SU_SY_EESZ_S10_S11_S12_S16_S17_S18_S1B_S1C_jS1D_jS1E_S1E_jjS1G_bEUljE0_EEESZ_S10_S11_S18_S1C_S1E_T6_T7_T9_mT8_S1G_bDpT10_ENKUlT_T0_E_clISt17integral_constantIbLb1EES1T_IbLb0EEEEDaS1P_S1Q_EUlS1P_E_NS1_11comp_targetILNS1_3genE8ELNS1_11target_archE1030ELNS1_3gpuE2ELNS1_3repE0EEENS1_30default_config_static_selectorELNS0_4arch9wavefront6targetE0EEEvS12_ ; -- Begin function _ZN7rocprim17ROCPRIM_400000_NS6detail17trampoline_kernelINS0_13select_configILj256ELj13ELNS0_17block_load_methodE3ELS4_3ELS4_3ELNS0_20block_scan_algorithmE0ELj4294967295EEENS1_25partition_config_selectorILNS1_17partition_subalgoE4EjNS0_10empty_typeEbEEZZNS1_14partition_implILS8_4ELb0ES6_15HIP_vector_typeIjLj2EENS0_17counting_iteratorIjlEEPS9_SG_NS0_5tupleIJPjSI_NS0_16reverse_iteratorISI_EEEEENSH_IJSG_SG_SG_EEES9_SI_JZNS1_25segmented_radix_sort_implINS0_14default_configELb0EPKbPbPKlPlN2at6native12_GLOBAL__N_18offset_tEEE10hipError_tPvRmT1_PNSt15iterator_traitsIS12_E10value_typeET2_T3_PNS13_IS18_E10value_typeET4_jRbjT5_S1E_jjP12ihipStream_tbEUljE_ZNSN_ISO_Lb0ESQ_SR_ST_SU_SY_EESZ_S10_S11_S12_S16_S17_S18_S1B_S1C_jS1D_jS1E_S1E_jjS1G_bEUljE0_EEESZ_S10_S11_S18_S1C_S1E_T6_T7_T9_mT8_S1G_bDpT10_ENKUlT_T0_E_clISt17integral_constantIbLb1EES1T_IbLb0EEEEDaS1P_S1Q_EUlS1P_E_NS1_11comp_targetILNS1_3genE8ELNS1_11target_archE1030ELNS1_3gpuE2ELNS1_3repE0EEENS1_30default_config_static_selectorELNS0_4arch9wavefront6targetE0EEEvS12_
	.p2align	8
	.type	_ZN7rocprim17ROCPRIM_400000_NS6detail17trampoline_kernelINS0_13select_configILj256ELj13ELNS0_17block_load_methodE3ELS4_3ELS4_3ELNS0_20block_scan_algorithmE0ELj4294967295EEENS1_25partition_config_selectorILNS1_17partition_subalgoE4EjNS0_10empty_typeEbEEZZNS1_14partition_implILS8_4ELb0ES6_15HIP_vector_typeIjLj2EENS0_17counting_iteratorIjlEEPS9_SG_NS0_5tupleIJPjSI_NS0_16reverse_iteratorISI_EEEEENSH_IJSG_SG_SG_EEES9_SI_JZNS1_25segmented_radix_sort_implINS0_14default_configELb0EPKbPbPKlPlN2at6native12_GLOBAL__N_18offset_tEEE10hipError_tPvRmT1_PNSt15iterator_traitsIS12_E10value_typeET2_T3_PNS13_IS18_E10value_typeET4_jRbjT5_S1E_jjP12ihipStream_tbEUljE_ZNSN_ISO_Lb0ESQ_SR_ST_SU_SY_EESZ_S10_S11_S12_S16_S17_S18_S1B_S1C_jS1D_jS1E_S1E_jjS1G_bEUljE0_EEESZ_S10_S11_S18_S1C_S1E_T6_T7_T9_mT8_S1G_bDpT10_ENKUlT_T0_E_clISt17integral_constantIbLb1EES1T_IbLb0EEEEDaS1P_S1Q_EUlS1P_E_NS1_11comp_targetILNS1_3genE8ELNS1_11target_archE1030ELNS1_3gpuE2ELNS1_3repE0EEENS1_30default_config_static_selectorELNS0_4arch9wavefront6targetE0EEEvS12_,@function
_ZN7rocprim17ROCPRIM_400000_NS6detail17trampoline_kernelINS0_13select_configILj256ELj13ELNS0_17block_load_methodE3ELS4_3ELS4_3ELNS0_20block_scan_algorithmE0ELj4294967295EEENS1_25partition_config_selectorILNS1_17partition_subalgoE4EjNS0_10empty_typeEbEEZZNS1_14partition_implILS8_4ELb0ES6_15HIP_vector_typeIjLj2EENS0_17counting_iteratorIjlEEPS9_SG_NS0_5tupleIJPjSI_NS0_16reverse_iteratorISI_EEEEENSH_IJSG_SG_SG_EEES9_SI_JZNS1_25segmented_radix_sort_implINS0_14default_configELb0EPKbPbPKlPlN2at6native12_GLOBAL__N_18offset_tEEE10hipError_tPvRmT1_PNSt15iterator_traitsIS12_E10value_typeET2_T3_PNS13_IS18_E10value_typeET4_jRbjT5_S1E_jjP12ihipStream_tbEUljE_ZNSN_ISO_Lb0ESQ_SR_ST_SU_SY_EESZ_S10_S11_S12_S16_S17_S18_S1B_S1C_jS1D_jS1E_S1E_jjS1G_bEUljE0_EEESZ_S10_S11_S18_S1C_S1E_T6_T7_T9_mT8_S1G_bDpT10_ENKUlT_T0_E_clISt17integral_constantIbLb1EES1T_IbLb0EEEEDaS1P_S1Q_EUlS1P_E_NS1_11comp_targetILNS1_3genE8ELNS1_11target_archE1030ELNS1_3gpuE2ELNS1_3repE0EEENS1_30default_config_static_selectorELNS0_4arch9wavefront6targetE0EEEvS12_: ; @_ZN7rocprim17ROCPRIM_400000_NS6detail17trampoline_kernelINS0_13select_configILj256ELj13ELNS0_17block_load_methodE3ELS4_3ELS4_3ELNS0_20block_scan_algorithmE0ELj4294967295EEENS1_25partition_config_selectorILNS1_17partition_subalgoE4EjNS0_10empty_typeEbEEZZNS1_14partition_implILS8_4ELb0ES6_15HIP_vector_typeIjLj2EENS0_17counting_iteratorIjlEEPS9_SG_NS0_5tupleIJPjSI_NS0_16reverse_iteratorISI_EEEEENSH_IJSG_SG_SG_EEES9_SI_JZNS1_25segmented_radix_sort_implINS0_14default_configELb0EPKbPbPKlPlN2at6native12_GLOBAL__N_18offset_tEEE10hipError_tPvRmT1_PNSt15iterator_traitsIS12_E10value_typeET2_T3_PNS13_IS18_E10value_typeET4_jRbjT5_S1E_jjP12ihipStream_tbEUljE_ZNSN_ISO_Lb0ESQ_SR_ST_SU_SY_EESZ_S10_S11_S12_S16_S17_S18_S1B_S1C_jS1D_jS1E_S1E_jjS1G_bEUljE0_EEESZ_S10_S11_S18_S1C_S1E_T6_T7_T9_mT8_S1G_bDpT10_ENKUlT_T0_E_clISt17integral_constantIbLb1EES1T_IbLb0EEEEDaS1P_S1Q_EUlS1P_E_NS1_11comp_targetILNS1_3genE8ELNS1_11target_archE1030ELNS1_3gpuE2ELNS1_3repE0EEENS1_30default_config_static_selectorELNS0_4arch9wavefront6targetE0EEEvS12_
; %bb.0:
	.section	.rodata,"a",@progbits
	.p2align	6, 0x0
	.amdhsa_kernel _ZN7rocprim17ROCPRIM_400000_NS6detail17trampoline_kernelINS0_13select_configILj256ELj13ELNS0_17block_load_methodE3ELS4_3ELS4_3ELNS0_20block_scan_algorithmE0ELj4294967295EEENS1_25partition_config_selectorILNS1_17partition_subalgoE4EjNS0_10empty_typeEbEEZZNS1_14partition_implILS8_4ELb0ES6_15HIP_vector_typeIjLj2EENS0_17counting_iteratorIjlEEPS9_SG_NS0_5tupleIJPjSI_NS0_16reverse_iteratorISI_EEEEENSH_IJSG_SG_SG_EEES9_SI_JZNS1_25segmented_radix_sort_implINS0_14default_configELb0EPKbPbPKlPlN2at6native12_GLOBAL__N_18offset_tEEE10hipError_tPvRmT1_PNSt15iterator_traitsIS12_E10value_typeET2_T3_PNS13_IS18_E10value_typeET4_jRbjT5_S1E_jjP12ihipStream_tbEUljE_ZNSN_ISO_Lb0ESQ_SR_ST_SU_SY_EESZ_S10_S11_S12_S16_S17_S18_S1B_S1C_jS1D_jS1E_S1E_jjS1G_bEUljE0_EEESZ_S10_S11_S18_S1C_S1E_T6_T7_T9_mT8_S1G_bDpT10_ENKUlT_T0_E_clISt17integral_constantIbLb1EES1T_IbLb0EEEEDaS1P_S1Q_EUlS1P_E_NS1_11comp_targetILNS1_3genE8ELNS1_11target_archE1030ELNS1_3gpuE2ELNS1_3repE0EEENS1_30default_config_static_selectorELNS0_4arch9wavefront6targetE0EEEvS12_
		.amdhsa_group_segment_fixed_size 0
		.amdhsa_private_segment_fixed_size 0
		.amdhsa_kernarg_size 176
		.amdhsa_user_sgpr_count 2
		.amdhsa_user_sgpr_dispatch_ptr 0
		.amdhsa_user_sgpr_queue_ptr 0
		.amdhsa_user_sgpr_kernarg_segment_ptr 1
		.amdhsa_user_sgpr_dispatch_id 0
		.amdhsa_user_sgpr_private_segment_size 0
		.amdhsa_wavefront_size32 1
		.amdhsa_uses_dynamic_stack 0
		.amdhsa_enable_private_segment 0
		.amdhsa_system_sgpr_workgroup_id_x 1
		.amdhsa_system_sgpr_workgroup_id_y 0
		.amdhsa_system_sgpr_workgroup_id_z 0
		.amdhsa_system_sgpr_workgroup_info 0
		.amdhsa_system_vgpr_workitem_id 0
		.amdhsa_next_free_vgpr 1
		.amdhsa_next_free_sgpr 1
		.amdhsa_reserve_vcc 0
		.amdhsa_float_round_mode_32 0
		.amdhsa_float_round_mode_16_64 0
		.amdhsa_float_denorm_mode_32 3
		.amdhsa_float_denorm_mode_16_64 3
		.amdhsa_fp16_overflow 0
		.amdhsa_workgroup_processor_mode 1
		.amdhsa_memory_ordered 1
		.amdhsa_forward_progress 1
		.amdhsa_inst_pref_size 0
		.amdhsa_round_robin_scheduling 0
		.amdhsa_exception_fp_ieee_invalid_op 0
		.amdhsa_exception_fp_denorm_src 0
		.amdhsa_exception_fp_ieee_div_zero 0
		.amdhsa_exception_fp_ieee_overflow 0
		.amdhsa_exception_fp_ieee_underflow 0
		.amdhsa_exception_fp_ieee_inexact 0
		.amdhsa_exception_int_div_zero 0
	.end_amdhsa_kernel
	.section	.text._ZN7rocprim17ROCPRIM_400000_NS6detail17trampoline_kernelINS0_13select_configILj256ELj13ELNS0_17block_load_methodE3ELS4_3ELS4_3ELNS0_20block_scan_algorithmE0ELj4294967295EEENS1_25partition_config_selectorILNS1_17partition_subalgoE4EjNS0_10empty_typeEbEEZZNS1_14partition_implILS8_4ELb0ES6_15HIP_vector_typeIjLj2EENS0_17counting_iteratorIjlEEPS9_SG_NS0_5tupleIJPjSI_NS0_16reverse_iteratorISI_EEEEENSH_IJSG_SG_SG_EEES9_SI_JZNS1_25segmented_radix_sort_implINS0_14default_configELb0EPKbPbPKlPlN2at6native12_GLOBAL__N_18offset_tEEE10hipError_tPvRmT1_PNSt15iterator_traitsIS12_E10value_typeET2_T3_PNS13_IS18_E10value_typeET4_jRbjT5_S1E_jjP12ihipStream_tbEUljE_ZNSN_ISO_Lb0ESQ_SR_ST_SU_SY_EESZ_S10_S11_S12_S16_S17_S18_S1B_S1C_jS1D_jS1E_S1E_jjS1G_bEUljE0_EEESZ_S10_S11_S18_S1C_S1E_T6_T7_T9_mT8_S1G_bDpT10_ENKUlT_T0_E_clISt17integral_constantIbLb1EES1T_IbLb0EEEEDaS1P_S1Q_EUlS1P_E_NS1_11comp_targetILNS1_3genE8ELNS1_11target_archE1030ELNS1_3gpuE2ELNS1_3repE0EEENS1_30default_config_static_selectorELNS0_4arch9wavefront6targetE0EEEvS12_,"axG",@progbits,_ZN7rocprim17ROCPRIM_400000_NS6detail17trampoline_kernelINS0_13select_configILj256ELj13ELNS0_17block_load_methodE3ELS4_3ELS4_3ELNS0_20block_scan_algorithmE0ELj4294967295EEENS1_25partition_config_selectorILNS1_17partition_subalgoE4EjNS0_10empty_typeEbEEZZNS1_14partition_implILS8_4ELb0ES6_15HIP_vector_typeIjLj2EENS0_17counting_iteratorIjlEEPS9_SG_NS0_5tupleIJPjSI_NS0_16reverse_iteratorISI_EEEEENSH_IJSG_SG_SG_EEES9_SI_JZNS1_25segmented_radix_sort_implINS0_14default_configELb0EPKbPbPKlPlN2at6native12_GLOBAL__N_18offset_tEEE10hipError_tPvRmT1_PNSt15iterator_traitsIS12_E10value_typeET2_T3_PNS13_IS18_E10value_typeET4_jRbjT5_S1E_jjP12ihipStream_tbEUljE_ZNSN_ISO_Lb0ESQ_SR_ST_SU_SY_EESZ_S10_S11_S12_S16_S17_S18_S1B_S1C_jS1D_jS1E_S1E_jjS1G_bEUljE0_EEESZ_S10_S11_S18_S1C_S1E_T6_T7_T9_mT8_S1G_bDpT10_ENKUlT_T0_E_clISt17integral_constantIbLb1EES1T_IbLb0EEEEDaS1P_S1Q_EUlS1P_E_NS1_11comp_targetILNS1_3genE8ELNS1_11target_archE1030ELNS1_3gpuE2ELNS1_3repE0EEENS1_30default_config_static_selectorELNS0_4arch9wavefront6targetE0EEEvS12_,comdat
.Lfunc_end1594:
	.size	_ZN7rocprim17ROCPRIM_400000_NS6detail17trampoline_kernelINS0_13select_configILj256ELj13ELNS0_17block_load_methodE3ELS4_3ELS4_3ELNS0_20block_scan_algorithmE0ELj4294967295EEENS1_25partition_config_selectorILNS1_17partition_subalgoE4EjNS0_10empty_typeEbEEZZNS1_14partition_implILS8_4ELb0ES6_15HIP_vector_typeIjLj2EENS0_17counting_iteratorIjlEEPS9_SG_NS0_5tupleIJPjSI_NS0_16reverse_iteratorISI_EEEEENSH_IJSG_SG_SG_EEES9_SI_JZNS1_25segmented_radix_sort_implINS0_14default_configELb0EPKbPbPKlPlN2at6native12_GLOBAL__N_18offset_tEEE10hipError_tPvRmT1_PNSt15iterator_traitsIS12_E10value_typeET2_T3_PNS13_IS18_E10value_typeET4_jRbjT5_S1E_jjP12ihipStream_tbEUljE_ZNSN_ISO_Lb0ESQ_SR_ST_SU_SY_EESZ_S10_S11_S12_S16_S17_S18_S1B_S1C_jS1D_jS1E_S1E_jjS1G_bEUljE0_EEESZ_S10_S11_S18_S1C_S1E_T6_T7_T9_mT8_S1G_bDpT10_ENKUlT_T0_E_clISt17integral_constantIbLb1EES1T_IbLb0EEEEDaS1P_S1Q_EUlS1P_E_NS1_11comp_targetILNS1_3genE8ELNS1_11target_archE1030ELNS1_3gpuE2ELNS1_3repE0EEENS1_30default_config_static_selectorELNS0_4arch9wavefront6targetE0EEEvS12_, .Lfunc_end1594-_ZN7rocprim17ROCPRIM_400000_NS6detail17trampoline_kernelINS0_13select_configILj256ELj13ELNS0_17block_load_methodE3ELS4_3ELS4_3ELNS0_20block_scan_algorithmE0ELj4294967295EEENS1_25partition_config_selectorILNS1_17partition_subalgoE4EjNS0_10empty_typeEbEEZZNS1_14partition_implILS8_4ELb0ES6_15HIP_vector_typeIjLj2EENS0_17counting_iteratorIjlEEPS9_SG_NS0_5tupleIJPjSI_NS0_16reverse_iteratorISI_EEEEENSH_IJSG_SG_SG_EEES9_SI_JZNS1_25segmented_radix_sort_implINS0_14default_configELb0EPKbPbPKlPlN2at6native12_GLOBAL__N_18offset_tEEE10hipError_tPvRmT1_PNSt15iterator_traitsIS12_E10value_typeET2_T3_PNS13_IS18_E10value_typeET4_jRbjT5_S1E_jjP12ihipStream_tbEUljE_ZNSN_ISO_Lb0ESQ_SR_ST_SU_SY_EESZ_S10_S11_S12_S16_S17_S18_S1B_S1C_jS1D_jS1E_S1E_jjS1G_bEUljE0_EEESZ_S10_S11_S18_S1C_S1E_T6_T7_T9_mT8_S1G_bDpT10_ENKUlT_T0_E_clISt17integral_constantIbLb1EES1T_IbLb0EEEEDaS1P_S1Q_EUlS1P_E_NS1_11comp_targetILNS1_3genE8ELNS1_11target_archE1030ELNS1_3gpuE2ELNS1_3repE0EEENS1_30default_config_static_selectorELNS0_4arch9wavefront6targetE0EEEvS12_
                                        ; -- End function
	.set _ZN7rocprim17ROCPRIM_400000_NS6detail17trampoline_kernelINS0_13select_configILj256ELj13ELNS0_17block_load_methodE3ELS4_3ELS4_3ELNS0_20block_scan_algorithmE0ELj4294967295EEENS1_25partition_config_selectorILNS1_17partition_subalgoE4EjNS0_10empty_typeEbEEZZNS1_14partition_implILS8_4ELb0ES6_15HIP_vector_typeIjLj2EENS0_17counting_iteratorIjlEEPS9_SG_NS0_5tupleIJPjSI_NS0_16reverse_iteratorISI_EEEEENSH_IJSG_SG_SG_EEES9_SI_JZNS1_25segmented_radix_sort_implINS0_14default_configELb0EPKbPbPKlPlN2at6native12_GLOBAL__N_18offset_tEEE10hipError_tPvRmT1_PNSt15iterator_traitsIS12_E10value_typeET2_T3_PNS13_IS18_E10value_typeET4_jRbjT5_S1E_jjP12ihipStream_tbEUljE_ZNSN_ISO_Lb0ESQ_SR_ST_SU_SY_EESZ_S10_S11_S12_S16_S17_S18_S1B_S1C_jS1D_jS1E_S1E_jjS1G_bEUljE0_EEESZ_S10_S11_S18_S1C_S1E_T6_T7_T9_mT8_S1G_bDpT10_ENKUlT_T0_E_clISt17integral_constantIbLb1EES1T_IbLb0EEEEDaS1P_S1Q_EUlS1P_E_NS1_11comp_targetILNS1_3genE8ELNS1_11target_archE1030ELNS1_3gpuE2ELNS1_3repE0EEENS1_30default_config_static_selectorELNS0_4arch9wavefront6targetE0EEEvS12_.num_vgpr, 0
	.set _ZN7rocprim17ROCPRIM_400000_NS6detail17trampoline_kernelINS0_13select_configILj256ELj13ELNS0_17block_load_methodE3ELS4_3ELS4_3ELNS0_20block_scan_algorithmE0ELj4294967295EEENS1_25partition_config_selectorILNS1_17partition_subalgoE4EjNS0_10empty_typeEbEEZZNS1_14partition_implILS8_4ELb0ES6_15HIP_vector_typeIjLj2EENS0_17counting_iteratorIjlEEPS9_SG_NS0_5tupleIJPjSI_NS0_16reverse_iteratorISI_EEEEENSH_IJSG_SG_SG_EEES9_SI_JZNS1_25segmented_radix_sort_implINS0_14default_configELb0EPKbPbPKlPlN2at6native12_GLOBAL__N_18offset_tEEE10hipError_tPvRmT1_PNSt15iterator_traitsIS12_E10value_typeET2_T3_PNS13_IS18_E10value_typeET4_jRbjT5_S1E_jjP12ihipStream_tbEUljE_ZNSN_ISO_Lb0ESQ_SR_ST_SU_SY_EESZ_S10_S11_S12_S16_S17_S18_S1B_S1C_jS1D_jS1E_S1E_jjS1G_bEUljE0_EEESZ_S10_S11_S18_S1C_S1E_T6_T7_T9_mT8_S1G_bDpT10_ENKUlT_T0_E_clISt17integral_constantIbLb1EES1T_IbLb0EEEEDaS1P_S1Q_EUlS1P_E_NS1_11comp_targetILNS1_3genE8ELNS1_11target_archE1030ELNS1_3gpuE2ELNS1_3repE0EEENS1_30default_config_static_selectorELNS0_4arch9wavefront6targetE0EEEvS12_.num_agpr, 0
	.set _ZN7rocprim17ROCPRIM_400000_NS6detail17trampoline_kernelINS0_13select_configILj256ELj13ELNS0_17block_load_methodE3ELS4_3ELS4_3ELNS0_20block_scan_algorithmE0ELj4294967295EEENS1_25partition_config_selectorILNS1_17partition_subalgoE4EjNS0_10empty_typeEbEEZZNS1_14partition_implILS8_4ELb0ES6_15HIP_vector_typeIjLj2EENS0_17counting_iteratorIjlEEPS9_SG_NS0_5tupleIJPjSI_NS0_16reverse_iteratorISI_EEEEENSH_IJSG_SG_SG_EEES9_SI_JZNS1_25segmented_radix_sort_implINS0_14default_configELb0EPKbPbPKlPlN2at6native12_GLOBAL__N_18offset_tEEE10hipError_tPvRmT1_PNSt15iterator_traitsIS12_E10value_typeET2_T3_PNS13_IS18_E10value_typeET4_jRbjT5_S1E_jjP12ihipStream_tbEUljE_ZNSN_ISO_Lb0ESQ_SR_ST_SU_SY_EESZ_S10_S11_S12_S16_S17_S18_S1B_S1C_jS1D_jS1E_S1E_jjS1G_bEUljE0_EEESZ_S10_S11_S18_S1C_S1E_T6_T7_T9_mT8_S1G_bDpT10_ENKUlT_T0_E_clISt17integral_constantIbLb1EES1T_IbLb0EEEEDaS1P_S1Q_EUlS1P_E_NS1_11comp_targetILNS1_3genE8ELNS1_11target_archE1030ELNS1_3gpuE2ELNS1_3repE0EEENS1_30default_config_static_selectorELNS0_4arch9wavefront6targetE0EEEvS12_.numbered_sgpr, 0
	.set _ZN7rocprim17ROCPRIM_400000_NS6detail17trampoline_kernelINS0_13select_configILj256ELj13ELNS0_17block_load_methodE3ELS4_3ELS4_3ELNS0_20block_scan_algorithmE0ELj4294967295EEENS1_25partition_config_selectorILNS1_17partition_subalgoE4EjNS0_10empty_typeEbEEZZNS1_14partition_implILS8_4ELb0ES6_15HIP_vector_typeIjLj2EENS0_17counting_iteratorIjlEEPS9_SG_NS0_5tupleIJPjSI_NS0_16reverse_iteratorISI_EEEEENSH_IJSG_SG_SG_EEES9_SI_JZNS1_25segmented_radix_sort_implINS0_14default_configELb0EPKbPbPKlPlN2at6native12_GLOBAL__N_18offset_tEEE10hipError_tPvRmT1_PNSt15iterator_traitsIS12_E10value_typeET2_T3_PNS13_IS18_E10value_typeET4_jRbjT5_S1E_jjP12ihipStream_tbEUljE_ZNSN_ISO_Lb0ESQ_SR_ST_SU_SY_EESZ_S10_S11_S12_S16_S17_S18_S1B_S1C_jS1D_jS1E_S1E_jjS1G_bEUljE0_EEESZ_S10_S11_S18_S1C_S1E_T6_T7_T9_mT8_S1G_bDpT10_ENKUlT_T0_E_clISt17integral_constantIbLb1EES1T_IbLb0EEEEDaS1P_S1Q_EUlS1P_E_NS1_11comp_targetILNS1_3genE8ELNS1_11target_archE1030ELNS1_3gpuE2ELNS1_3repE0EEENS1_30default_config_static_selectorELNS0_4arch9wavefront6targetE0EEEvS12_.num_named_barrier, 0
	.set _ZN7rocprim17ROCPRIM_400000_NS6detail17trampoline_kernelINS0_13select_configILj256ELj13ELNS0_17block_load_methodE3ELS4_3ELS4_3ELNS0_20block_scan_algorithmE0ELj4294967295EEENS1_25partition_config_selectorILNS1_17partition_subalgoE4EjNS0_10empty_typeEbEEZZNS1_14partition_implILS8_4ELb0ES6_15HIP_vector_typeIjLj2EENS0_17counting_iteratorIjlEEPS9_SG_NS0_5tupleIJPjSI_NS0_16reverse_iteratorISI_EEEEENSH_IJSG_SG_SG_EEES9_SI_JZNS1_25segmented_radix_sort_implINS0_14default_configELb0EPKbPbPKlPlN2at6native12_GLOBAL__N_18offset_tEEE10hipError_tPvRmT1_PNSt15iterator_traitsIS12_E10value_typeET2_T3_PNS13_IS18_E10value_typeET4_jRbjT5_S1E_jjP12ihipStream_tbEUljE_ZNSN_ISO_Lb0ESQ_SR_ST_SU_SY_EESZ_S10_S11_S12_S16_S17_S18_S1B_S1C_jS1D_jS1E_S1E_jjS1G_bEUljE0_EEESZ_S10_S11_S18_S1C_S1E_T6_T7_T9_mT8_S1G_bDpT10_ENKUlT_T0_E_clISt17integral_constantIbLb1EES1T_IbLb0EEEEDaS1P_S1Q_EUlS1P_E_NS1_11comp_targetILNS1_3genE8ELNS1_11target_archE1030ELNS1_3gpuE2ELNS1_3repE0EEENS1_30default_config_static_selectorELNS0_4arch9wavefront6targetE0EEEvS12_.private_seg_size, 0
	.set _ZN7rocprim17ROCPRIM_400000_NS6detail17trampoline_kernelINS0_13select_configILj256ELj13ELNS0_17block_load_methodE3ELS4_3ELS4_3ELNS0_20block_scan_algorithmE0ELj4294967295EEENS1_25partition_config_selectorILNS1_17partition_subalgoE4EjNS0_10empty_typeEbEEZZNS1_14partition_implILS8_4ELb0ES6_15HIP_vector_typeIjLj2EENS0_17counting_iteratorIjlEEPS9_SG_NS0_5tupleIJPjSI_NS0_16reverse_iteratorISI_EEEEENSH_IJSG_SG_SG_EEES9_SI_JZNS1_25segmented_radix_sort_implINS0_14default_configELb0EPKbPbPKlPlN2at6native12_GLOBAL__N_18offset_tEEE10hipError_tPvRmT1_PNSt15iterator_traitsIS12_E10value_typeET2_T3_PNS13_IS18_E10value_typeET4_jRbjT5_S1E_jjP12ihipStream_tbEUljE_ZNSN_ISO_Lb0ESQ_SR_ST_SU_SY_EESZ_S10_S11_S12_S16_S17_S18_S1B_S1C_jS1D_jS1E_S1E_jjS1G_bEUljE0_EEESZ_S10_S11_S18_S1C_S1E_T6_T7_T9_mT8_S1G_bDpT10_ENKUlT_T0_E_clISt17integral_constantIbLb1EES1T_IbLb0EEEEDaS1P_S1Q_EUlS1P_E_NS1_11comp_targetILNS1_3genE8ELNS1_11target_archE1030ELNS1_3gpuE2ELNS1_3repE0EEENS1_30default_config_static_selectorELNS0_4arch9wavefront6targetE0EEEvS12_.uses_vcc, 0
	.set _ZN7rocprim17ROCPRIM_400000_NS6detail17trampoline_kernelINS0_13select_configILj256ELj13ELNS0_17block_load_methodE3ELS4_3ELS4_3ELNS0_20block_scan_algorithmE0ELj4294967295EEENS1_25partition_config_selectorILNS1_17partition_subalgoE4EjNS0_10empty_typeEbEEZZNS1_14partition_implILS8_4ELb0ES6_15HIP_vector_typeIjLj2EENS0_17counting_iteratorIjlEEPS9_SG_NS0_5tupleIJPjSI_NS0_16reverse_iteratorISI_EEEEENSH_IJSG_SG_SG_EEES9_SI_JZNS1_25segmented_radix_sort_implINS0_14default_configELb0EPKbPbPKlPlN2at6native12_GLOBAL__N_18offset_tEEE10hipError_tPvRmT1_PNSt15iterator_traitsIS12_E10value_typeET2_T3_PNS13_IS18_E10value_typeET4_jRbjT5_S1E_jjP12ihipStream_tbEUljE_ZNSN_ISO_Lb0ESQ_SR_ST_SU_SY_EESZ_S10_S11_S12_S16_S17_S18_S1B_S1C_jS1D_jS1E_S1E_jjS1G_bEUljE0_EEESZ_S10_S11_S18_S1C_S1E_T6_T7_T9_mT8_S1G_bDpT10_ENKUlT_T0_E_clISt17integral_constantIbLb1EES1T_IbLb0EEEEDaS1P_S1Q_EUlS1P_E_NS1_11comp_targetILNS1_3genE8ELNS1_11target_archE1030ELNS1_3gpuE2ELNS1_3repE0EEENS1_30default_config_static_selectorELNS0_4arch9wavefront6targetE0EEEvS12_.uses_flat_scratch, 0
	.set _ZN7rocprim17ROCPRIM_400000_NS6detail17trampoline_kernelINS0_13select_configILj256ELj13ELNS0_17block_load_methodE3ELS4_3ELS4_3ELNS0_20block_scan_algorithmE0ELj4294967295EEENS1_25partition_config_selectorILNS1_17partition_subalgoE4EjNS0_10empty_typeEbEEZZNS1_14partition_implILS8_4ELb0ES6_15HIP_vector_typeIjLj2EENS0_17counting_iteratorIjlEEPS9_SG_NS0_5tupleIJPjSI_NS0_16reverse_iteratorISI_EEEEENSH_IJSG_SG_SG_EEES9_SI_JZNS1_25segmented_radix_sort_implINS0_14default_configELb0EPKbPbPKlPlN2at6native12_GLOBAL__N_18offset_tEEE10hipError_tPvRmT1_PNSt15iterator_traitsIS12_E10value_typeET2_T3_PNS13_IS18_E10value_typeET4_jRbjT5_S1E_jjP12ihipStream_tbEUljE_ZNSN_ISO_Lb0ESQ_SR_ST_SU_SY_EESZ_S10_S11_S12_S16_S17_S18_S1B_S1C_jS1D_jS1E_S1E_jjS1G_bEUljE0_EEESZ_S10_S11_S18_S1C_S1E_T6_T7_T9_mT8_S1G_bDpT10_ENKUlT_T0_E_clISt17integral_constantIbLb1EES1T_IbLb0EEEEDaS1P_S1Q_EUlS1P_E_NS1_11comp_targetILNS1_3genE8ELNS1_11target_archE1030ELNS1_3gpuE2ELNS1_3repE0EEENS1_30default_config_static_selectorELNS0_4arch9wavefront6targetE0EEEvS12_.has_dyn_sized_stack, 0
	.set _ZN7rocprim17ROCPRIM_400000_NS6detail17trampoline_kernelINS0_13select_configILj256ELj13ELNS0_17block_load_methodE3ELS4_3ELS4_3ELNS0_20block_scan_algorithmE0ELj4294967295EEENS1_25partition_config_selectorILNS1_17partition_subalgoE4EjNS0_10empty_typeEbEEZZNS1_14partition_implILS8_4ELb0ES6_15HIP_vector_typeIjLj2EENS0_17counting_iteratorIjlEEPS9_SG_NS0_5tupleIJPjSI_NS0_16reverse_iteratorISI_EEEEENSH_IJSG_SG_SG_EEES9_SI_JZNS1_25segmented_radix_sort_implINS0_14default_configELb0EPKbPbPKlPlN2at6native12_GLOBAL__N_18offset_tEEE10hipError_tPvRmT1_PNSt15iterator_traitsIS12_E10value_typeET2_T3_PNS13_IS18_E10value_typeET4_jRbjT5_S1E_jjP12ihipStream_tbEUljE_ZNSN_ISO_Lb0ESQ_SR_ST_SU_SY_EESZ_S10_S11_S12_S16_S17_S18_S1B_S1C_jS1D_jS1E_S1E_jjS1G_bEUljE0_EEESZ_S10_S11_S18_S1C_S1E_T6_T7_T9_mT8_S1G_bDpT10_ENKUlT_T0_E_clISt17integral_constantIbLb1EES1T_IbLb0EEEEDaS1P_S1Q_EUlS1P_E_NS1_11comp_targetILNS1_3genE8ELNS1_11target_archE1030ELNS1_3gpuE2ELNS1_3repE0EEENS1_30default_config_static_selectorELNS0_4arch9wavefront6targetE0EEEvS12_.has_recursion, 0
	.set _ZN7rocprim17ROCPRIM_400000_NS6detail17trampoline_kernelINS0_13select_configILj256ELj13ELNS0_17block_load_methodE3ELS4_3ELS4_3ELNS0_20block_scan_algorithmE0ELj4294967295EEENS1_25partition_config_selectorILNS1_17partition_subalgoE4EjNS0_10empty_typeEbEEZZNS1_14partition_implILS8_4ELb0ES6_15HIP_vector_typeIjLj2EENS0_17counting_iteratorIjlEEPS9_SG_NS0_5tupleIJPjSI_NS0_16reverse_iteratorISI_EEEEENSH_IJSG_SG_SG_EEES9_SI_JZNS1_25segmented_radix_sort_implINS0_14default_configELb0EPKbPbPKlPlN2at6native12_GLOBAL__N_18offset_tEEE10hipError_tPvRmT1_PNSt15iterator_traitsIS12_E10value_typeET2_T3_PNS13_IS18_E10value_typeET4_jRbjT5_S1E_jjP12ihipStream_tbEUljE_ZNSN_ISO_Lb0ESQ_SR_ST_SU_SY_EESZ_S10_S11_S12_S16_S17_S18_S1B_S1C_jS1D_jS1E_S1E_jjS1G_bEUljE0_EEESZ_S10_S11_S18_S1C_S1E_T6_T7_T9_mT8_S1G_bDpT10_ENKUlT_T0_E_clISt17integral_constantIbLb1EES1T_IbLb0EEEEDaS1P_S1Q_EUlS1P_E_NS1_11comp_targetILNS1_3genE8ELNS1_11target_archE1030ELNS1_3gpuE2ELNS1_3repE0EEENS1_30default_config_static_selectorELNS0_4arch9wavefront6targetE0EEEvS12_.has_indirect_call, 0
	.section	.AMDGPU.csdata,"",@progbits
; Kernel info:
; codeLenInByte = 0
; TotalNumSgprs: 0
; NumVgprs: 0
; ScratchSize: 0
; MemoryBound: 0
; FloatMode: 240
; IeeeMode: 1
; LDSByteSize: 0 bytes/workgroup (compile time only)
; SGPRBlocks: 0
; VGPRBlocks: 0
; NumSGPRsForWavesPerEU: 1
; NumVGPRsForWavesPerEU: 1
; Occupancy: 16
; WaveLimiterHint : 0
; COMPUTE_PGM_RSRC2:SCRATCH_EN: 0
; COMPUTE_PGM_RSRC2:USER_SGPR: 2
; COMPUTE_PGM_RSRC2:TRAP_HANDLER: 0
; COMPUTE_PGM_RSRC2:TGID_X_EN: 1
; COMPUTE_PGM_RSRC2:TGID_Y_EN: 0
; COMPUTE_PGM_RSRC2:TGID_Z_EN: 0
; COMPUTE_PGM_RSRC2:TIDIG_COMP_CNT: 0
	.section	.text._ZN7rocprim17ROCPRIM_400000_NS6detail17trampoline_kernelINS0_13select_configILj256ELj13ELNS0_17block_load_methodE3ELS4_3ELS4_3ELNS0_20block_scan_algorithmE0ELj4294967295EEENS1_25partition_config_selectorILNS1_17partition_subalgoE4EjNS0_10empty_typeEbEEZZNS1_14partition_implILS8_4ELb0ES6_15HIP_vector_typeIjLj2EENS0_17counting_iteratorIjlEEPS9_SG_NS0_5tupleIJPjSI_NS0_16reverse_iteratorISI_EEEEENSH_IJSG_SG_SG_EEES9_SI_JZNS1_25segmented_radix_sort_implINS0_14default_configELb0EPKbPbPKlPlN2at6native12_GLOBAL__N_18offset_tEEE10hipError_tPvRmT1_PNSt15iterator_traitsIS12_E10value_typeET2_T3_PNS13_IS18_E10value_typeET4_jRbjT5_S1E_jjP12ihipStream_tbEUljE_ZNSN_ISO_Lb0ESQ_SR_ST_SU_SY_EESZ_S10_S11_S12_S16_S17_S18_S1B_S1C_jS1D_jS1E_S1E_jjS1G_bEUljE0_EEESZ_S10_S11_S18_S1C_S1E_T6_T7_T9_mT8_S1G_bDpT10_ENKUlT_T0_E_clISt17integral_constantIbLb0EES1T_IbLb1EEEEDaS1P_S1Q_EUlS1P_E_NS1_11comp_targetILNS1_3genE0ELNS1_11target_archE4294967295ELNS1_3gpuE0ELNS1_3repE0EEENS1_30default_config_static_selectorELNS0_4arch9wavefront6targetE0EEEvS12_,"axG",@progbits,_ZN7rocprim17ROCPRIM_400000_NS6detail17trampoline_kernelINS0_13select_configILj256ELj13ELNS0_17block_load_methodE3ELS4_3ELS4_3ELNS0_20block_scan_algorithmE0ELj4294967295EEENS1_25partition_config_selectorILNS1_17partition_subalgoE4EjNS0_10empty_typeEbEEZZNS1_14partition_implILS8_4ELb0ES6_15HIP_vector_typeIjLj2EENS0_17counting_iteratorIjlEEPS9_SG_NS0_5tupleIJPjSI_NS0_16reverse_iteratorISI_EEEEENSH_IJSG_SG_SG_EEES9_SI_JZNS1_25segmented_radix_sort_implINS0_14default_configELb0EPKbPbPKlPlN2at6native12_GLOBAL__N_18offset_tEEE10hipError_tPvRmT1_PNSt15iterator_traitsIS12_E10value_typeET2_T3_PNS13_IS18_E10value_typeET4_jRbjT5_S1E_jjP12ihipStream_tbEUljE_ZNSN_ISO_Lb0ESQ_SR_ST_SU_SY_EESZ_S10_S11_S12_S16_S17_S18_S1B_S1C_jS1D_jS1E_S1E_jjS1G_bEUljE0_EEESZ_S10_S11_S18_S1C_S1E_T6_T7_T9_mT8_S1G_bDpT10_ENKUlT_T0_E_clISt17integral_constantIbLb0EES1T_IbLb1EEEEDaS1P_S1Q_EUlS1P_E_NS1_11comp_targetILNS1_3genE0ELNS1_11target_archE4294967295ELNS1_3gpuE0ELNS1_3repE0EEENS1_30default_config_static_selectorELNS0_4arch9wavefront6targetE0EEEvS12_,comdat
	.globl	_ZN7rocprim17ROCPRIM_400000_NS6detail17trampoline_kernelINS0_13select_configILj256ELj13ELNS0_17block_load_methodE3ELS4_3ELS4_3ELNS0_20block_scan_algorithmE0ELj4294967295EEENS1_25partition_config_selectorILNS1_17partition_subalgoE4EjNS0_10empty_typeEbEEZZNS1_14partition_implILS8_4ELb0ES6_15HIP_vector_typeIjLj2EENS0_17counting_iteratorIjlEEPS9_SG_NS0_5tupleIJPjSI_NS0_16reverse_iteratorISI_EEEEENSH_IJSG_SG_SG_EEES9_SI_JZNS1_25segmented_radix_sort_implINS0_14default_configELb0EPKbPbPKlPlN2at6native12_GLOBAL__N_18offset_tEEE10hipError_tPvRmT1_PNSt15iterator_traitsIS12_E10value_typeET2_T3_PNS13_IS18_E10value_typeET4_jRbjT5_S1E_jjP12ihipStream_tbEUljE_ZNSN_ISO_Lb0ESQ_SR_ST_SU_SY_EESZ_S10_S11_S12_S16_S17_S18_S1B_S1C_jS1D_jS1E_S1E_jjS1G_bEUljE0_EEESZ_S10_S11_S18_S1C_S1E_T6_T7_T9_mT8_S1G_bDpT10_ENKUlT_T0_E_clISt17integral_constantIbLb0EES1T_IbLb1EEEEDaS1P_S1Q_EUlS1P_E_NS1_11comp_targetILNS1_3genE0ELNS1_11target_archE4294967295ELNS1_3gpuE0ELNS1_3repE0EEENS1_30default_config_static_selectorELNS0_4arch9wavefront6targetE0EEEvS12_ ; -- Begin function _ZN7rocprim17ROCPRIM_400000_NS6detail17trampoline_kernelINS0_13select_configILj256ELj13ELNS0_17block_load_methodE3ELS4_3ELS4_3ELNS0_20block_scan_algorithmE0ELj4294967295EEENS1_25partition_config_selectorILNS1_17partition_subalgoE4EjNS0_10empty_typeEbEEZZNS1_14partition_implILS8_4ELb0ES6_15HIP_vector_typeIjLj2EENS0_17counting_iteratorIjlEEPS9_SG_NS0_5tupleIJPjSI_NS0_16reverse_iteratorISI_EEEEENSH_IJSG_SG_SG_EEES9_SI_JZNS1_25segmented_radix_sort_implINS0_14default_configELb0EPKbPbPKlPlN2at6native12_GLOBAL__N_18offset_tEEE10hipError_tPvRmT1_PNSt15iterator_traitsIS12_E10value_typeET2_T3_PNS13_IS18_E10value_typeET4_jRbjT5_S1E_jjP12ihipStream_tbEUljE_ZNSN_ISO_Lb0ESQ_SR_ST_SU_SY_EESZ_S10_S11_S12_S16_S17_S18_S1B_S1C_jS1D_jS1E_S1E_jjS1G_bEUljE0_EEESZ_S10_S11_S18_S1C_S1E_T6_T7_T9_mT8_S1G_bDpT10_ENKUlT_T0_E_clISt17integral_constantIbLb0EES1T_IbLb1EEEEDaS1P_S1Q_EUlS1P_E_NS1_11comp_targetILNS1_3genE0ELNS1_11target_archE4294967295ELNS1_3gpuE0ELNS1_3repE0EEENS1_30default_config_static_selectorELNS0_4arch9wavefront6targetE0EEEvS12_
	.p2align	8
	.type	_ZN7rocprim17ROCPRIM_400000_NS6detail17trampoline_kernelINS0_13select_configILj256ELj13ELNS0_17block_load_methodE3ELS4_3ELS4_3ELNS0_20block_scan_algorithmE0ELj4294967295EEENS1_25partition_config_selectorILNS1_17partition_subalgoE4EjNS0_10empty_typeEbEEZZNS1_14partition_implILS8_4ELb0ES6_15HIP_vector_typeIjLj2EENS0_17counting_iteratorIjlEEPS9_SG_NS0_5tupleIJPjSI_NS0_16reverse_iteratorISI_EEEEENSH_IJSG_SG_SG_EEES9_SI_JZNS1_25segmented_radix_sort_implINS0_14default_configELb0EPKbPbPKlPlN2at6native12_GLOBAL__N_18offset_tEEE10hipError_tPvRmT1_PNSt15iterator_traitsIS12_E10value_typeET2_T3_PNS13_IS18_E10value_typeET4_jRbjT5_S1E_jjP12ihipStream_tbEUljE_ZNSN_ISO_Lb0ESQ_SR_ST_SU_SY_EESZ_S10_S11_S12_S16_S17_S18_S1B_S1C_jS1D_jS1E_S1E_jjS1G_bEUljE0_EEESZ_S10_S11_S18_S1C_S1E_T6_T7_T9_mT8_S1G_bDpT10_ENKUlT_T0_E_clISt17integral_constantIbLb0EES1T_IbLb1EEEEDaS1P_S1Q_EUlS1P_E_NS1_11comp_targetILNS1_3genE0ELNS1_11target_archE4294967295ELNS1_3gpuE0ELNS1_3repE0EEENS1_30default_config_static_selectorELNS0_4arch9wavefront6targetE0EEEvS12_,@function
_ZN7rocprim17ROCPRIM_400000_NS6detail17trampoline_kernelINS0_13select_configILj256ELj13ELNS0_17block_load_methodE3ELS4_3ELS4_3ELNS0_20block_scan_algorithmE0ELj4294967295EEENS1_25partition_config_selectorILNS1_17partition_subalgoE4EjNS0_10empty_typeEbEEZZNS1_14partition_implILS8_4ELb0ES6_15HIP_vector_typeIjLj2EENS0_17counting_iteratorIjlEEPS9_SG_NS0_5tupleIJPjSI_NS0_16reverse_iteratorISI_EEEEENSH_IJSG_SG_SG_EEES9_SI_JZNS1_25segmented_radix_sort_implINS0_14default_configELb0EPKbPbPKlPlN2at6native12_GLOBAL__N_18offset_tEEE10hipError_tPvRmT1_PNSt15iterator_traitsIS12_E10value_typeET2_T3_PNS13_IS18_E10value_typeET4_jRbjT5_S1E_jjP12ihipStream_tbEUljE_ZNSN_ISO_Lb0ESQ_SR_ST_SU_SY_EESZ_S10_S11_S12_S16_S17_S18_S1B_S1C_jS1D_jS1E_S1E_jjS1G_bEUljE0_EEESZ_S10_S11_S18_S1C_S1E_T6_T7_T9_mT8_S1G_bDpT10_ENKUlT_T0_E_clISt17integral_constantIbLb0EES1T_IbLb1EEEEDaS1P_S1Q_EUlS1P_E_NS1_11comp_targetILNS1_3genE0ELNS1_11target_archE4294967295ELNS1_3gpuE0ELNS1_3repE0EEENS1_30default_config_static_selectorELNS0_4arch9wavefront6targetE0EEEvS12_: ; @_ZN7rocprim17ROCPRIM_400000_NS6detail17trampoline_kernelINS0_13select_configILj256ELj13ELNS0_17block_load_methodE3ELS4_3ELS4_3ELNS0_20block_scan_algorithmE0ELj4294967295EEENS1_25partition_config_selectorILNS1_17partition_subalgoE4EjNS0_10empty_typeEbEEZZNS1_14partition_implILS8_4ELb0ES6_15HIP_vector_typeIjLj2EENS0_17counting_iteratorIjlEEPS9_SG_NS0_5tupleIJPjSI_NS0_16reverse_iteratorISI_EEEEENSH_IJSG_SG_SG_EEES9_SI_JZNS1_25segmented_radix_sort_implINS0_14default_configELb0EPKbPbPKlPlN2at6native12_GLOBAL__N_18offset_tEEE10hipError_tPvRmT1_PNSt15iterator_traitsIS12_E10value_typeET2_T3_PNS13_IS18_E10value_typeET4_jRbjT5_S1E_jjP12ihipStream_tbEUljE_ZNSN_ISO_Lb0ESQ_SR_ST_SU_SY_EESZ_S10_S11_S12_S16_S17_S18_S1B_S1C_jS1D_jS1E_S1E_jjS1G_bEUljE0_EEESZ_S10_S11_S18_S1C_S1E_T6_T7_T9_mT8_S1G_bDpT10_ENKUlT_T0_E_clISt17integral_constantIbLb0EES1T_IbLb1EEEEDaS1P_S1Q_EUlS1P_E_NS1_11comp_targetILNS1_3genE0ELNS1_11target_archE4294967295ELNS1_3gpuE0ELNS1_3repE0EEENS1_30default_config_static_selectorELNS0_4arch9wavefront6targetE0EEEvS12_
; %bb.0:
	.section	.rodata,"a",@progbits
	.p2align	6, 0x0
	.amdhsa_kernel _ZN7rocprim17ROCPRIM_400000_NS6detail17trampoline_kernelINS0_13select_configILj256ELj13ELNS0_17block_load_methodE3ELS4_3ELS4_3ELNS0_20block_scan_algorithmE0ELj4294967295EEENS1_25partition_config_selectorILNS1_17partition_subalgoE4EjNS0_10empty_typeEbEEZZNS1_14partition_implILS8_4ELb0ES6_15HIP_vector_typeIjLj2EENS0_17counting_iteratorIjlEEPS9_SG_NS0_5tupleIJPjSI_NS0_16reverse_iteratorISI_EEEEENSH_IJSG_SG_SG_EEES9_SI_JZNS1_25segmented_radix_sort_implINS0_14default_configELb0EPKbPbPKlPlN2at6native12_GLOBAL__N_18offset_tEEE10hipError_tPvRmT1_PNSt15iterator_traitsIS12_E10value_typeET2_T3_PNS13_IS18_E10value_typeET4_jRbjT5_S1E_jjP12ihipStream_tbEUljE_ZNSN_ISO_Lb0ESQ_SR_ST_SU_SY_EESZ_S10_S11_S12_S16_S17_S18_S1B_S1C_jS1D_jS1E_S1E_jjS1G_bEUljE0_EEESZ_S10_S11_S18_S1C_S1E_T6_T7_T9_mT8_S1G_bDpT10_ENKUlT_T0_E_clISt17integral_constantIbLb0EES1T_IbLb1EEEEDaS1P_S1Q_EUlS1P_E_NS1_11comp_targetILNS1_3genE0ELNS1_11target_archE4294967295ELNS1_3gpuE0ELNS1_3repE0EEENS1_30default_config_static_selectorELNS0_4arch9wavefront6targetE0EEEvS12_
		.amdhsa_group_segment_fixed_size 0
		.amdhsa_private_segment_fixed_size 0
		.amdhsa_kernarg_size 184
		.amdhsa_user_sgpr_count 2
		.amdhsa_user_sgpr_dispatch_ptr 0
		.amdhsa_user_sgpr_queue_ptr 0
		.amdhsa_user_sgpr_kernarg_segment_ptr 1
		.amdhsa_user_sgpr_dispatch_id 0
		.amdhsa_user_sgpr_private_segment_size 0
		.amdhsa_wavefront_size32 1
		.amdhsa_uses_dynamic_stack 0
		.amdhsa_enable_private_segment 0
		.amdhsa_system_sgpr_workgroup_id_x 1
		.amdhsa_system_sgpr_workgroup_id_y 0
		.amdhsa_system_sgpr_workgroup_id_z 0
		.amdhsa_system_sgpr_workgroup_info 0
		.amdhsa_system_vgpr_workitem_id 0
		.amdhsa_next_free_vgpr 1
		.amdhsa_next_free_sgpr 1
		.amdhsa_reserve_vcc 0
		.amdhsa_float_round_mode_32 0
		.amdhsa_float_round_mode_16_64 0
		.amdhsa_float_denorm_mode_32 3
		.amdhsa_float_denorm_mode_16_64 3
		.amdhsa_fp16_overflow 0
		.amdhsa_workgroup_processor_mode 1
		.amdhsa_memory_ordered 1
		.amdhsa_forward_progress 1
		.amdhsa_inst_pref_size 0
		.amdhsa_round_robin_scheduling 0
		.amdhsa_exception_fp_ieee_invalid_op 0
		.amdhsa_exception_fp_denorm_src 0
		.amdhsa_exception_fp_ieee_div_zero 0
		.amdhsa_exception_fp_ieee_overflow 0
		.amdhsa_exception_fp_ieee_underflow 0
		.amdhsa_exception_fp_ieee_inexact 0
		.amdhsa_exception_int_div_zero 0
	.end_amdhsa_kernel
	.section	.text._ZN7rocprim17ROCPRIM_400000_NS6detail17trampoline_kernelINS0_13select_configILj256ELj13ELNS0_17block_load_methodE3ELS4_3ELS4_3ELNS0_20block_scan_algorithmE0ELj4294967295EEENS1_25partition_config_selectorILNS1_17partition_subalgoE4EjNS0_10empty_typeEbEEZZNS1_14partition_implILS8_4ELb0ES6_15HIP_vector_typeIjLj2EENS0_17counting_iteratorIjlEEPS9_SG_NS0_5tupleIJPjSI_NS0_16reverse_iteratorISI_EEEEENSH_IJSG_SG_SG_EEES9_SI_JZNS1_25segmented_radix_sort_implINS0_14default_configELb0EPKbPbPKlPlN2at6native12_GLOBAL__N_18offset_tEEE10hipError_tPvRmT1_PNSt15iterator_traitsIS12_E10value_typeET2_T3_PNS13_IS18_E10value_typeET4_jRbjT5_S1E_jjP12ihipStream_tbEUljE_ZNSN_ISO_Lb0ESQ_SR_ST_SU_SY_EESZ_S10_S11_S12_S16_S17_S18_S1B_S1C_jS1D_jS1E_S1E_jjS1G_bEUljE0_EEESZ_S10_S11_S18_S1C_S1E_T6_T7_T9_mT8_S1G_bDpT10_ENKUlT_T0_E_clISt17integral_constantIbLb0EES1T_IbLb1EEEEDaS1P_S1Q_EUlS1P_E_NS1_11comp_targetILNS1_3genE0ELNS1_11target_archE4294967295ELNS1_3gpuE0ELNS1_3repE0EEENS1_30default_config_static_selectorELNS0_4arch9wavefront6targetE0EEEvS12_,"axG",@progbits,_ZN7rocprim17ROCPRIM_400000_NS6detail17trampoline_kernelINS0_13select_configILj256ELj13ELNS0_17block_load_methodE3ELS4_3ELS4_3ELNS0_20block_scan_algorithmE0ELj4294967295EEENS1_25partition_config_selectorILNS1_17partition_subalgoE4EjNS0_10empty_typeEbEEZZNS1_14partition_implILS8_4ELb0ES6_15HIP_vector_typeIjLj2EENS0_17counting_iteratorIjlEEPS9_SG_NS0_5tupleIJPjSI_NS0_16reverse_iteratorISI_EEEEENSH_IJSG_SG_SG_EEES9_SI_JZNS1_25segmented_radix_sort_implINS0_14default_configELb0EPKbPbPKlPlN2at6native12_GLOBAL__N_18offset_tEEE10hipError_tPvRmT1_PNSt15iterator_traitsIS12_E10value_typeET2_T3_PNS13_IS18_E10value_typeET4_jRbjT5_S1E_jjP12ihipStream_tbEUljE_ZNSN_ISO_Lb0ESQ_SR_ST_SU_SY_EESZ_S10_S11_S12_S16_S17_S18_S1B_S1C_jS1D_jS1E_S1E_jjS1G_bEUljE0_EEESZ_S10_S11_S18_S1C_S1E_T6_T7_T9_mT8_S1G_bDpT10_ENKUlT_T0_E_clISt17integral_constantIbLb0EES1T_IbLb1EEEEDaS1P_S1Q_EUlS1P_E_NS1_11comp_targetILNS1_3genE0ELNS1_11target_archE4294967295ELNS1_3gpuE0ELNS1_3repE0EEENS1_30default_config_static_selectorELNS0_4arch9wavefront6targetE0EEEvS12_,comdat
.Lfunc_end1595:
	.size	_ZN7rocprim17ROCPRIM_400000_NS6detail17trampoline_kernelINS0_13select_configILj256ELj13ELNS0_17block_load_methodE3ELS4_3ELS4_3ELNS0_20block_scan_algorithmE0ELj4294967295EEENS1_25partition_config_selectorILNS1_17partition_subalgoE4EjNS0_10empty_typeEbEEZZNS1_14partition_implILS8_4ELb0ES6_15HIP_vector_typeIjLj2EENS0_17counting_iteratorIjlEEPS9_SG_NS0_5tupleIJPjSI_NS0_16reverse_iteratorISI_EEEEENSH_IJSG_SG_SG_EEES9_SI_JZNS1_25segmented_radix_sort_implINS0_14default_configELb0EPKbPbPKlPlN2at6native12_GLOBAL__N_18offset_tEEE10hipError_tPvRmT1_PNSt15iterator_traitsIS12_E10value_typeET2_T3_PNS13_IS18_E10value_typeET4_jRbjT5_S1E_jjP12ihipStream_tbEUljE_ZNSN_ISO_Lb0ESQ_SR_ST_SU_SY_EESZ_S10_S11_S12_S16_S17_S18_S1B_S1C_jS1D_jS1E_S1E_jjS1G_bEUljE0_EEESZ_S10_S11_S18_S1C_S1E_T6_T7_T9_mT8_S1G_bDpT10_ENKUlT_T0_E_clISt17integral_constantIbLb0EES1T_IbLb1EEEEDaS1P_S1Q_EUlS1P_E_NS1_11comp_targetILNS1_3genE0ELNS1_11target_archE4294967295ELNS1_3gpuE0ELNS1_3repE0EEENS1_30default_config_static_selectorELNS0_4arch9wavefront6targetE0EEEvS12_, .Lfunc_end1595-_ZN7rocprim17ROCPRIM_400000_NS6detail17trampoline_kernelINS0_13select_configILj256ELj13ELNS0_17block_load_methodE3ELS4_3ELS4_3ELNS0_20block_scan_algorithmE0ELj4294967295EEENS1_25partition_config_selectorILNS1_17partition_subalgoE4EjNS0_10empty_typeEbEEZZNS1_14partition_implILS8_4ELb0ES6_15HIP_vector_typeIjLj2EENS0_17counting_iteratorIjlEEPS9_SG_NS0_5tupleIJPjSI_NS0_16reverse_iteratorISI_EEEEENSH_IJSG_SG_SG_EEES9_SI_JZNS1_25segmented_radix_sort_implINS0_14default_configELb0EPKbPbPKlPlN2at6native12_GLOBAL__N_18offset_tEEE10hipError_tPvRmT1_PNSt15iterator_traitsIS12_E10value_typeET2_T3_PNS13_IS18_E10value_typeET4_jRbjT5_S1E_jjP12ihipStream_tbEUljE_ZNSN_ISO_Lb0ESQ_SR_ST_SU_SY_EESZ_S10_S11_S12_S16_S17_S18_S1B_S1C_jS1D_jS1E_S1E_jjS1G_bEUljE0_EEESZ_S10_S11_S18_S1C_S1E_T6_T7_T9_mT8_S1G_bDpT10_ENKUlT_T0_E_clISt17integral_constantIbLb0EES1T_IbLb1EEEEDaS1P_S1Q_EUlS1P_E_NS1_11comp_targetILNS1_3genE0ELNS1_11target_archE4294967295ELNS1_3gpuE0ELNS1_3repE0EEENS1_30default_config_static_selectorELNS0_4arch9wavefront6targetE0EEEvS12_
                                        ; -- End function
	.set _ZN7rocprim17ROCPRIM_400000_NS6detail17trampoline_kernelINS0_13select_configILj256ELj13ELNS0_17block_load_methodE3ELS4_3ELS4_3ELNS0_20block_scan_algorithmE0ELj4294967295EEENS1_25partition_config_selectorILNS1_17partition_subalgoE4EjNS0_10empty_typeEbEEZZNS1_14partition_implILS8_4ELb0ES6_15HIP_vector_typeIjLj2EENS0_17counting_iteratorIjlEEPS9_SG_NS0_5tupleIJPjSI_NS0_16reverse_iteratorISI_EEEEENSH_IJSG_SG_SG_EEES9_SI_JZNS1_25segmented_radix_sort_implINS0_14default_configELb0EPKbPbPKlPlN2at6native12_GLOBAL__N_18offset_tEEE10hipError_tPvRmT1_PNSt15iterator_traitsIS12_E10value_typeET2_T3_PNS13_IS18_E10value_typeET4_jRbjT5_S1E_jjP12ihipStream_tbEUljE_ZNSN_ISO_Lb0ESQ_SR_ST_SU_SY_EESZ_S10_S11_S12_S16_S17_S18_S1B_S1C_jS1D_jS1E_S1E_jjS1G_bEUljE0_EEESZ_S10_S11_S18_S1C_S1E_T6_T7_T9_mT8_S1G_bDpT10_ENKUlT_T0_E_clISt17integral_constantIbLb0EES1T_IbLb1EEEEDaS1P_S1Q_EUlS1P_E_NS1_11comp_targetILNS1_3genE0ELNS1_11target_archE4294967295ELNS1_3gpuE0ELNS1_3repE0EEENS1_30default_config_static_selectorELNS0_4arch9wavefront6targetE0EEEvS12_.num_vgpr, 0
	.set _ZN7rocprim17ROCPRIM_400000_NS6detail17trampoline_kernelINS0_13select_configILj256ELj13ELNS0_17block_load_methodE3ELS4_3ELS4_3ELNS0_20block_scan_algorithmE0ELj4294967295EEENS1_25partition_config_selectorILNS1_17partition_subalgoE4EjNS0_10empty_typeEbEEZZNS1_14partition_implILS8_4ELb0ES6_15HIP_vector_typeIjLj2EENS0_17counting_iteratorIjlEEPS9_SG_NS0_5tupleIJPjSI_NS0_16reverse_iteratorISI_EEEEENSH_IJSG_SG_SG_EEES9_SI_JZNS1_25segmented_radix_sort_implINS0_14default_configELb0EPKbPbPKlPlN2at6native12_GLOBAL__N_18offset_tEEE10hipError_tPvRmT1_PNSt15iterator_traitsIS12_E10value_typeET2_T3_PNS13_IS18_E10value_typeET4_jRbjT5_S1E_jjP12ihipStream_tbEUljE_ZNSN_ISO_Lb0ESQ_SR_ST_SU_SY_EESZ_S10_S11_S12_S16_S17_S18_S1B_S1C_jS1D_jS1E_S1E_jjS1G_bEUljE0_EEESZ_S10_S11_S18_S1C_S1E_T6_T7_T9_mT8_S1G_bDpT10_ENKUlT_T0_E_clISt17integral_constantIbLb0EES1T_IbLb1EEEEDaS1P_S1Q_EUlS1P_E_NS1_11comp_targetILNS1_3genE0ELNS1_11target_archE4294967295ELNS1_3gpuE0ELNS1_3repE0EEENS1_30default_config_static_selectorELNS0_4arch9wavefront6targetE0EEEvS12_.num_agpr, 0
	.set _ZN7rocprim17ROCPRIM_400000_NS6detail17trampoline_kernelINS0_13select_configILj256ELj13ELNS0_17block_load_methodE3ELS4_3ELS4_3ELNS0_20block_scan_algorithmE0ELj4294967295EEENS1_25partition_config_selectorILNS1_17partition_subalgoE4EjNS0_10empty_typeEbEEZZNS1_14partition_implILS8_4ELb0ES6_15HIP_vector_typeIjLj2EENS0_17counting_iteratorIjlEEPS9_SG_NS0_5tupleIJPjSI_NS0_16reverse_iteratorISI_EEEEENSH_IJSG_SG_SG_EEES9_SI_JZNS1_25segmented_radix_sort_implINS0_14default_configELb0EPKbPbPKlPlN2at6native12_GLOBAL__N_18offset_tEEE10hipError_tPvRmT1_PNSt15iterator_traitsIS12_E10value_typeET2_T3_PNS13_IS18_E10value_typeET4_jRbjT5_S1E_jjP12ihipStream_tbEUljE_ZNSN_ISO_Lb0ESQ_SR_ST_SU_SY_EESZ_S10_S11_S12_S16_S17_S18_S1B_S1C_jS1D_jS1E_S1E_jjS1G_bEUljE0_EEESZ_S10_S11_S18_S1C_S1E_T6_T7_T9_mT8_S1G_bDpT10_ENKUlT_T0_E_clISt17integral_constantIbLb0EES1T_IbLb1EEEEDaS1P_S1Q_EUlS1P_E_NS1_11comp_targetILNS1_3genE0ELNS1_11target_archE4294967295ELNS1_3gpuE0ELNS1_3repE0EEENS1_30default_config_static_selectorELNS0_4arch9wavefront6targetE0EEEvS12_.numbered_sgpr, 0
	.set _ZN7rocprim17ROCPRIM_400000_NS6detail17trampoline_kernelINS0_13select_configILj256ELj13ELNS0_17block_load_methodE3ELS4_3ELS4_3ELNS0_20block_scan_algorithmE0ELj4294967295EEENS1_25partition_config_selectorILNS1_17partition_subalgoE4EjNS0_10empty_typeEbEEZZNS1_14partition_implILS8_4ELb0ES6_15HIP_vector_typeIjLj2EENS0_17counting_iteratorIjlEEPS9_SG_NS0_5tupleIJPjSI_NS0_16reverse_iteratorISI_EEEEENSH_IJSG_SG_SG_EEES9_SI_JZNS1_25segmented_radix_sort_implINS0_14default_configELb0EPKbPbPKlPlN2at6native12_GLOBAL__N_18offset_tEEE10hipError_tPvRmT1_PNSt15iterator_traitsIS12_E10value_typeET2_T3_PNS13_IS18_E10value_typeET4_jRbjT5_S1E_jjP12ihipStream_tbEUljE_ZNSN_ISO_Lb0ESQ_SR_ST_SU_SY_EESZ_S10_S11_S12_S16_S17_S18_S1B_S1C_jS1D_jS1E_S1E_jjS1G_bEUljE0_EEESZ_S10_S11_S18_S1C_S1E_T6_T7_T9_mT8_S1G_bDpT10_ENKUlT_T0_E_clISt17integral_constantIbLb0EES1T_IbLb1EEEEDaS1P_S1Q_EUlS1P_E_NS1_11comp_targetILNS1_3genE0ELNS1_11target_archE4294967295ELNS1_3gpuE0ELNS1_3repE0EEENS1_30default_config_static_selectorELNS0_4arch9wavefront6targetE0EEEvS12_.num_named_barrier, 0
	.set _ZN7rocprim17ROCPRIM_400000_NS6detail17trampoline_kernelINS0_13select_configILj256ELj13ELNS0_17block_load_methodE3ELS4_3ELS4_3ELNS0_20block_scan_algorithmE0ELj4294967295EEENS1_25partition_config_selectorILNS1_17partition_subalgoE4EjNS0_10empty_typeEbEEZZNS1_14partition_implILS8_4ELb0ES6_15HIP_vector_typeIjLj2EENS0_17counting_iteratorIjlEEPS9_SG_NS0_5tupleIJPjSI_NS0_16reverse_iteratorISI_EEEEENSH_IJSG_SG_SG_EEES9_SI_JZNS1_25segmented_radix_sort_implINS0_14default_configELb0EPKbPbPKlPlN2at6native12_GLOBAL__N_18offset_tEEE10hipError_tPvRmT1_PNSt15iterator_traitsIS12_E10value_typeET2_T3_PNS13_IS18_E10value_typeET4_jRbjT5_S1E_jjP12ihipStream_tbEUljE_ZNSN_ISO_Lb0ESQ_SR_ST_SU_SY_EESZ_S10_S11_S12_S16_S17_S18_S1B_S1C_jS1D_jS1E_S1E_jjS1G_bEUljE0_EEESZ_S10_S11_S18_S1C_S1E_T6_T7_T9_mT8_S1G_bDpT10_ENKUlT_T0_E_clISt17integral_constantIbLb0EES1T_IbLb1EEEEDaS1P_S1Q_EUlS1P_E_NS1_11comp_targetILNS1_3genE0ELNS1_11target_archE4294967295ELNS1_3gpuE0ELNS1_3repE0EEENS1_30default_config_static_selectorELNS0_4arch9wavefront6targetE0EEEvS12_.private_seg_size, 0
	.set _ZN7rocprim17ROCPRIM_400000_NS6detail17trampoline_kernelINS0_13select_configILj256ELj13ELNS0_17block_load_methodE3ELS4_3ELS4_3ELNS0_20block_scan_algorithmE0ELj4294967295EEENS1_25partition_config_selectorILNS1_17partition_subalgoE4EjNS0_10empty_typeEbEEZZNS1_14partition_implILS8_4ELb0ES6_15HIP_vector_typeIjLj2EENS0_17counting_iteratorIjlEEPS9_SG_NS0_5tupleIJPjSI_NS0_16reverse_iteratorISI_EEEEENSH_IJSG_SG_SG_EEES9_SI_JZNS1_25segmented_radix_sort_implINS0_14default_configELb0EPKbPbPKlPlN2at6native12_GLOBAL__N_18offset_tEEE10hipError_tPvRmT1_PNSt15iterator_traitsIS12_E10value_typeET2_T3_PNS13_IS18_E10value_typeET4_jRbjT5_S1E_jjP12ihipStream_tbEUljE_ZNSN_ISO_Lb0ESQ_SR_ST_SU_SY_EESZ_S10_S11_S12_S16_S17_S18_S1B_S1C_jS1D_jS1E_S1E_jjS1G_bEUljE0_EEESZ_S10_S11_S18_S1C_S1E_T6_T7_T9_mT8_S1G_bDpT10_ENKUlT_T0_E_clISt17integral_constantIbLb0EES1T_IbLb1EEEEDaS1P_S1Q_EUlS1P_E_NS1_11comp_targetILNS1_3genE0ELNS1_11target_archE4294967295ELNS1_3gpuE0ELNS1_3repE0EEENS1_30default_config_static_selectorELNS0_4arch9wavefront6targetE0EEEvS12_.uses_vcc, 0
	.set _ZN7rocprim17ROCPRIM_400000_NS6detail17trampoline_kernelINS0_13select_configILj256ELj13ELNS0_17block_load_methodE3ELS4_3ELS4_3ELNS0_20block_scan_algorithmE0ELj4294967295EEENS1_25partition_config_selectorILNS1_17partition_subalgoE4EjNS0_10empty_typeEbEEZZNS1_14partition_implILS8_4ELb0ES6_15HIP_vector_typeIjLj2EENS0_17counting_iteratorIjlEEPS9_SG_NS0_5tupleIJPjSI_NS0_16reverse_iteratorISI_EEEEENSH_IJSG_SG_SG_EEES9_SI_JZNS1_25segmented_radix_sort_implINS0_14default_configELb0EPKbPbPKlPlN2at6native12_GLOBAL__N_18offset_tEEE10hipError_tPvRmT1_PNSt15iterator_traitsIS12_E10value_typeET2_T3_PNS13_IS18_E10value_typeET4_jRbjT5_S1E_jjP12ihipStream_tbEUljE_ZNSN_ISO_Lb0ESQ_SR_ST_SU_SY_EESZ_S10_S11_S12_S16_S17_S18_S1B_S1C_jS1D_jS1E_S1E_jjS1G_bEUljE0_EEESZ_S10_S11_S18_S1C_S1E_T6_T7_T9_mT8_S1G_bDpT10_ENKUlT_T0_E_clISt17integral_constantIbLb0EES1T_IbLb1EEEEDaS1P_S1Q_EUlS1P_E_NS1_11comp_targetILNS1_3genE0ELNS1_11target_archE4294967295ELNS1_3gpuE0ELNS1_3repE0EEENS1_30default_config_static_selectorELNS0_4arch9wavefront6targetE0EEEvS12_.uses_flat_scratch, 0
	.set _ZN7rocprim17ROCPRIM_400000_NS6detail17trampoline_kernelINS0_13select_configILj256ELj13ELNS0_17block_load_methodE3ELS4_3ELS4_3ELNS0_20block_scan_algorithmE0ELj4294967295EEENS1_25partition_config_selectorILNS1_17partition_subalgoE4EjNS0_10empty_typeEbEEZZNS1_14partition_implILS8_4ELb0ES6_15HIP_vector_typeIjLj2EENS0_17counting_iteratorIjlEEPS9_SG_NS0_5tupleIJPjSI_NS0_16reverse_iteratorISI_EEEEENSH_IJSG_SG_SG_EEES9_SI_JZNS1_25segmented_radix_sort_implINS0_14default_configELb0EPKbPbPKlPlN2at6native12_GLOBAL__N_18offset_tEEE10hipError_tPvRmT1_PNSt15iterator_traitsIS12_E10value_typeET2_T3_PNS13_IS18_E10value_typeET4_jRbjT5_S1E_jjP12ihipStream_tbEUljE_ZNSN_ISO_Lb0ESQ_SR_ST_SU_SY_EESZ_S10_S11_S12_S16_S17_S18_S1B_S1C_jS1D_jS1E_S1E_jjS1G_bEUljE0_EEESZ_S10_S11_S18_S1C_S1E_T6_T7_T9_mT8_S1G_bDpT10_ENKUlT_T0_E_clISt17integral_constantIbLb0EES1T_IbLb1EEEEDaS1P_S1Q_EUlS1P_E_NS1_11comp_targetILNS1_3genE0ELNS1_11target_archE4294967295ELNS1_3gpuE0ELNS1_3repE0EEENS1_30default_config_static_selectorELNS0_4arch9wavefront6targetE0EEEvS12_.has_dyn_sized_stack, 0
	.set _ZN7rocprim17ROCPRIM_400000_NS6detail17trampoline_kernelINS0_13select_configILj256ELj13ELNS0_17block_load_methodE3ELS4_3ELS4_3ELNS0_20block_scan_algorithmE0ELj4294967295EEENS1_25partition_config_selectorILNS1_17partition_subalgoE4EjNS0_10empty_typeEbEEZZNS1_14partition_implILS8_4ELb0ES6_15HIP_vector_typeIjLj2EENS0_17counting_iteratorIjlEEPS9_SG_NS0_5tupleIJPjSI_NS0_16reverse_iteratorISI_EEEEENSH_IJSG_SG_SG_EEES9_SI_JZNS1_25segmented_radix_sort_implINS0_14default_configELb0EPKbPbPKlPlN2at6native12_GLOBAL__N_18offset_tEEE10hipError_tPvRmT1_PNSt15iterator_traitsIS12_E10value_typeET2_T3_PNS13_IS18_E10value_typeET4_jRbjT5_S1E_jjP12ihipStream_tbEUljE_ZNSN_ISO_Lb0ESQ_SR_ST_SU_SY_EESZ_S10_S11_S12_S16_S17_S18_S1B_S1C_jS1D_jS1E_S1E_jjS1G_bEUljE0_EEESZ_S10_S11_S18_S1C_S1E_T6_T7_T9_mT8_S1G_bDpT10_ENKUlT_T0_E_clISt17integral_constantIbLb0EES1T_IbLb1EEEEDaS1P_S1Q_EUlS1P_E_NS1_11comp_targetILNS1_3genE0ELNS1_11target_archE4294967295ELNS1_3gpuE0ELNS1_3repE0EEENS1_30default_config_static_selectorELNS0_4arch9wavefront6targetE0EEEvS12_.has_recursion, 0
	.set _ZN7rocprim17ROCPRIM_400000_NS6detail17trampoline_kernelINS0_13select_configILj256ELj13ELNS0_17block_load_methodE3ELS4_3ELS4_3ELNS0_20block_scan_algorithmE0ELj4294967295EEENS1_25partition_config_selectorILNS1_17partition_subalgoE4EjNS0_10empty_typeEbEEZZNS1_14partition_implILS8_4ELb0ES6_15HIP_vector_typeIjLj2EENS0_17counting_iteratorIjlEEPS9_SG_NS0_5tupleIJPjSI_NS0_16reverse_iteratorISI_EEEEENSH_IJSG_SG_SG_EEES9_SI_JZNS1_25segmented_radix_sort_implINS0_14default_configELb0EPKbPbPKlPlN2at6native12_GLOBAL__N_18offset_tEEE10hipError_tPvRmT1_PNSt15iterator_traitsIS12_E10value_typeET2_T3_PNS13_IS18_E10value_typeET4_jRbjT5_S1E_jjP12ihipStream_tbEUljE_ZNSN_ISO_Lb0ESQ_SR_ST_SU_SY_EESZ_S10_S11_S12_S16_S17_S18_S1B_S1C_jS1D_jS1E_S1E_jjS1G_bEUljE0_EEESZ_S10_S11_S18_S1C_S1E_T6_T7_T9_mT8_S1G_bDpT10_ENKUlT_T0_E_clISt17integral_constantIbLb0EES1T_IbLb1EEEEDaS1P_S1Q_EUlS1P_E_NS1_11comp_targetILNS1_3genE0ELNS1_11target_archE4294967295ELNS1_3gpuE0ELNS1_3repE0EEENS1_30default_config_static_selectorELNS0_4arch9wavefront6targetE0EEEvS12_.has_indirect_call, 0
	.section	.AMDGPU.csdata,"",@progbits
; Kernel info:
; codeLenInByte = 0
; TotalNumSgprs: 0
; NumVgprs: 0
; ScratchSize: 0
; MemoryBound: 0
; FloatMode: 240
; IeeeMode: 1
; LDSByteSize: 0 bytes/workgroup (compile time only)
; SGPRBlocks: 0
; VGPRBlocks: 0
; NumSGPRsForWavesPerEU: 1
; NumVGPRsForWavesPerEU: 1
; Occupancy: 16
; WaveLimiterHint : 0
; COMPUTE_PGM_RSRC2:SCRATCH_EN: 0
; COMPUTE_PGM_RSRC2:USER_SGPR: 2
; COMPUTE_PGM_RSRC2:TRAP_HANDLER: 0
; COMPUTE_PGM_RSRC2:TGID_X_EN: 1
; COMPUTE_PGM_RSRC2:TGID_Y_EN: 0
; COMPUTE_PGM_RSRC2:TGID_Z_EN: 0
; COMPUTE_PGM_RSRC2:TIDIG_COMP_CNT: 0
	.section	.text._ZN7rocprim17ROCPRIM_400000_NS6detail17trampoline_kernelINS0_13select_configILj256ELj13ELNS0_17block_load_methodE3ELS4_3ELS4_3ELNS0_20block_scan_algorithmE0ELj4294967295EEENS1_25partition_config_selectorILNS1_17partition_subalgoE4EjNS0_10empty_typeEbEEZZNS1_14partition_implILS8_4ELb0ES6_15HIP_vector_typeIjLj2EENS0_17counting_iteratorIjlEEPS9_SG_NS0_5tupleIJPjSI_NS0_16reverse_iteratorISI_EEEEENSH_IJSG_SG_SG_EEES9_SI_JZNS1_25segmented_radix_sort_implINS0_14default_configELb0EPKbPbPKlPlN2at6native12_GLOBAL__N_18offset_tEEE10hipError_tPvRmT1_PNSt15iterator_traitsIS12_E10value_typeET2_T3_PNS13_IS18_E10value_typeET4_jRbjT5_S1E_jjP12ihipStream_tbEUljE_ZNSN_ISO_Lb0ESQ_SR_ST_SU_SY_EESZ_S10_S11_S12_S16_S17_S18_S1B_S1C_jS1D_jS1E_S1E_jjS1G_bEUljE0_EEESZ_S10_S11_S18_S1C_S1E_T6_T7_T9_mT8_S1G_bDpT10_ENKUlT_T0_E_clISt17integral_constantIbLb0EES1T_IbLb1EEEEDaS1P_S1Q_EUlS1P_E_NS1_11comp_targetILNS1_3genE5ELNS1_11target_archE942ELNS1_3gpuE9ELNS1_3repE0EEENS1_30default_config_static_selectorELNS0_4arch9wavefront6targetE0EEEvS12_,"axG",@progbits,_ZN7rocprim17ROCPRIM_400000_NS6detail17trampoline_kernelINS0_13select_configILj256ELj13ELNS0_17block_load_methodE3ELS4_3ELS4_3ELNS0_20block_scan_algorithmE0ELj4294967295EEENS1_25partition_config_selectorILNS1_17partition_subalgoE4EjNS0_10empty_typeEbEEZZNS1_14partition_implILS8_4ELb0ES6_15HIP_vector_typeIjLj2EENS0_17counting_iteratorIjlEEPS9_SG_NS0_5tupleIJPjSI_NS0_16reverse_iteratorISI_EEEEENSH_IJSG_SG_SG_EEES9_SI_JZNS1_25segmented_radix_sort_implINS0_14default_configELb0EPKbPbPKlPlN2at6native12_GLOBAL__N_18offset_tEEE10hipError_tPvRmT1_PNSt15iterator_traitsIS12_E10value_typeET2_T3_PNS13_IS18_E10value_typeET4_jRbjT5_S1E_jjP12ihipStream_tbEUljE_ZNSN_ISO_Lb0ESQ_SR_ST_SU_SY_EESZ_S10_S11_S12_S16_S17_S18_S1B_S1C_jS1D_jS1E_S1E_jjS1G_bEUljE0_EEESZ_S10_S11_S18_S1C_S1E_T6_T7_T9_mT8_S1G_bDpT10_ENKUlT_T0_E_clISt17integral_constantIbLb0EES1T_IbLb1EEEEDaS1P_S1Q_EUlS1P_E_NS1_11comp_targetILNS1_3genE5ELNS1_11target_archE942ELNS1_3gpuE9ELNS1_3repE0EEENS1_30default_config_static_selectorELNS0_4arch9wavefront6targetE0EEEvS12_,comdat
	.globl	_ZN7rocprim17ROCPRIM_400000_NS6detail17trampoline_kernelINS0_13select_configILj256ELj13ELNS0_17block_load_methodE3ELS4_3ELS4_3ELNS0_20block_scan_algorithmE0ELj4294967295EEENS1_25partition_config_selectorILNS1_17partition_subalgoE4EjNS0_10empty_typeEbEEZZNS1_14partition_implILS8_4ELb0ES6_15HIP_vector_typeIjLj2EENS0_17counting_iteratorIjlEEPS9_SG_NS0_5tupleIJPjSI_NS0_16reverse_iteratorISI_EEEEENSH_IJSG_SG_SG_EEES9_SI_JZNS1_25segmented_radix_sort_implINS0_14default_configELb0EPKbPbPKlPlN2at6native12_GLOBAL__N_18offset_tEEE10hipError_tPvRmT1_PNSt15iterator_traitsIS12_E10value_typeET2_T3_PNS13_IS18_E10value_typeET4_jRbjT5_S1E_jjP12ihipStream_tbEUljE_ZNSN_ISO_Lb0ESQ_SR_ST_SU_SY_EESZ_S10_S11_S12_S16_S17_S18_S1B_S1C_jS1D_jS1E_S1E_jjS1G_bEUljE0_EEESZ_S10_S11_S18_S1C_S1E_T6_T7_T9_mT8_S1G_bDpT10_ENKUlT_T0_E_clISt17integral_constantIbLb0EES1T_IbLb1EEEEDaS1P_S1Q_EUlS1P_E_NS1_11comp_targetILNS1_3genE5ELNS1_11target_archE942ELNS1_3gpuE9ELNS1_3repE0EEENS1_30default_config_static_selectorELNS0_4arch9wavefront6targetE0EEEvS12_ ; -- Begin function _ZN7rocprim17ROCPRIM_400000_NS6detail17trampoline_kernelINS0_13select_configILj256ELj13ELNS0_17block_load_methodE3ELS4_3ELS4_3ELNS0_20block_scan_algorithmE0ELj4294967295EEENS1_25partition_config_selectorILNS1_17partition_subalgoE4EjNS0_10empty_typeEbEEZZNS1_14partition_implILS8_4ELb0ES6_15HIP_vector_typeIjLj2EENS0_17counting_iteratorIjlEEPS9_SG_NS0_5tupleIJPjSI_NS0_16reverse_iteratorISI_EEEEENSH_IJSG_SG_SG_EEES9_SI_JZNS1_25segmented_radix_sort_implINS0_14default_configELb0EPKbPbPKlPlN2at6native12_GLOBAL__N_18offset_tEEE10hipError_tPvRmT1_PNSt15iterator_traitsIS12_E10value_typeET2_T3_PNS13_IS18_E10value_typeET4_jRbjT5_S1E_jjP12ihipStream_tbEUljE_ZNSN_ISO_Lb0ESQ_SR_ST_SU_SY_EESZ_S10_S11_S12_S16_S17_S18_S1B_S1C_jS1D_jS1E_S1E_jjS1G_bEUljE0_EEESZ_S10_S11_S18_S1C_S1E_T6_T7_T9_mT8_S1G_bDpT10_ENKUlT_T0_E_clISt17integral_constantIbLb0EES1T_IbLb1EEEEDaS1P_S1Q_EUlS1P_E_NS1_11comp_targetILNS1_3genE5ELNS1_11target_archE942ELNS1_3gpuE9ELNS1_3repE0EEENS1_30default_config_static_selectorELNS0_4arch9wavefront6targetE0EEEvS12_
	.p2align	8
	.type	_ZN7rocprim17ROCPRIM_400000_NS6detail17trampoline_kernelINS0_13select_configILj256ELj13ELNS0_17block_load_methodE3ELS4_3ELS4_3ELNS0_20block_scan_algorithmE0ELj4294967295EEENS1_25partition_config_selectorILNS1_17partition_subalgoE4EjNS0_10empty_typeEbEEZZNS1_14partition_implILS8_4ELb0ES6_15HIP_vector_typeIjLj2EENS0_17counting_iteratorIjlEEPS9_SG_NS0_5tupleIJPjSI_NS0_16reverse_iteratorISI_EEEEENSH_IJSG_SG_SG_EEES9_SI_JZNS1_25segmented_radix_sort_implINS0_14default_configELb0EPKbPbPKlPlN2at6native12_GLOBAL__N_18offset_tEEE10hipError_tPvRmT1_PNSt15iterator_traitsIS12_E10value_typeET2_T3_PNS13_IS18_E10value_typeET4_jRbjT5_S1E_jjP12ihipStream_tbEUljE_ZNSN_ISO_Lb0ESQ_SR_ST_SU_SY_EESZ_S10_S11_S12_S16_S17_S18_S1B_S1C_jS1D_jS1E_S1E_jjS1G_bEUljE0_EEESZ_S10_S11_S18_S1C_S1E_T6_T7_T9_mT8_S1G_bDpT10_ENKUlT_T0_E_clISt17integral_constantIbLb0EES1T_IbLb1EEEEDaS1P_S1Q_EUlS1P_E_NS1_11comp_targetILNS1_3genE5ELNS1_11target_archE942ELNS1_3gpuE9ELNS1_3repE0EEENS1_30default_config_static_selectorELNS0_4arch9wavefront6targetE0EEEvS12_,@function
_ZN7rocprim17ROCPRIM_400000_NS6detail17trampoline_kernelINS0_13select_configILj256ELj13ELNS0_17block_load_methodE3ELS4_3ELS4_3ELNS0_20block_scan_algorithmE0ELj4294967295EEENS1_25partition_config_selectorILNS1_17partition_subalgoE4EjNS0_10empty_typeEbEEZZNS1_14partition_implILS8_4ELb0ES6_15HIP_vector_typeIjLj2EENS0_17counting_iteratorIjlEEPS9_SG_NS0_5tupleIJPjSI_NS0_16reverse_iteratorISI_EEEEENSH_IJSG_SG_SG_EEES9_SI_JZNS1_25segmented_radix_sort_implINS0_14default_configELb0EPKbPbPKlPlN2at6native12_GLOBAL__N_18offset_tEEE10hipError_tPvRmT1_PNSt15iterator_traitsIS12_E10value_typeET2_T3_PNS13_IS18_E10value_typeET4_jRbjT5_S1E_jjP12ihipStream_tbEUljE_ZNSN_ISO_Lb0ESQ_SR_ST_SU_SY_EESZ_S10_S11_S12_S16_S17_S18_S1B_S1C_jS1D_jS1E_S1E_jjS1G_bEUljE0_EEESZ_S10_S11_S18_S1C_S1E_T6_T7_T9_mT8_S1G_bDpT10_ENKUlT_T0_E_clISt17integral_constantIbLb0EES1T_IbLb1EEEEDaS1P_S1Q_EUlS1P_E_NS1_11comp_targetILNS1_3genE5ELNS1_11target_archE942ELNS1_3gpuE9ELNS1_3repE0EEENS1_30default_config_static_selectorELNS0_4arch9wavefront6targetE0EEEvS12_: ; @_ZN7rocprim17ROCPRIM_400000_NS6detail17trampoline_kernelINS0_13select_configILj256ELj13ELNS0_17block_load_methodE3ELS4_3ELS4_3ELNS0_20block_scan_algorithmE0ELj4294967295EEENS1_25partition_config_selectorILNS1_17partition_subalgoE4EjNS0_10empty_typeEbEEZZNS1_14partition_implILS8_4ELb0ES6_15HIP_vector_typeIjLj2EENS0_17counting_iteratorIjlEEPS9_SG_NS0_5tupleIJPjSI_NS0_16reverse_iteratorISI_EEEEENSH_IJSG_SG_SG_EEES9_SI_JZNS1_25segmented_radix_sort_implINS0_14default_configELb0EPKbPbPKlPlN2at6native12_GLOBAL__N_18offset_tEEE10hipError_tPvRmT1_PNSt15iterator_traitsIS12_E10value_typeET2_T3_PNS13_IS18_E10value_typeET4_jRbjT5_S1E_jjP12ihipStream_tbEUljE_ZNSN_ISO_Lb0ESQ_SR_ST_SU_SY_EESZ_S10_S11_S12_S16_S17_S18_S1B_S1C_jS1D_jS1E_S1E_jjS1G_bEUljE0_EEESZ_S10_S11_S18_S1C_S1E_T6_T7_T9_mT8_S1G_bDpT10_ENKUlT_T0_E_clISt17integral_constantIbLb0EES1T_IbLb1EEEEDaS1P_S1Q_EUlS1P_E_NS1_11comp_targetILNS1_3genE5ELNS1_11target_archE942ELNS1_3gpuE9ELNS1_3repE0EEENS1_30default_config_static_selectorELNS0_4arch9wavefront6targetE0EEEvS12_
; %bb.0:
	.section	.rodata,"a",@progbits
	.p2align	6, 0x0
	.amdhsa_kernel _ZN7rocprim17ROCPRIM_400000_NS6detail17trampoline_kernelINS0_13select_configILj256ELj13ELNS0_17block_load_methodE3ELS4_3ELS4_3ELNS0_20block_scan_algorithmE0ELj4294967295EEENS1_25partition_config_selectorILNS1_17partition_subalgoE4EjNS0_10empty_typeEbEEZZNS1_14partition_implILS8_4ELb0ES6_15HIP_vector_typeIjLj2EENS0_17counting_iteratorIjlEEPS9_SG_NS0_5tupleIJPjSI_NS0_16reverse_iteratorISI_EEEEENSH_IJSG_SG_SG_EEES9_SI_JZNS1_25segmented_radix_sort_implINS0_14default_configELb0EPKbPbPKlPlN2at6native12_GLOBAL__N_18offset_tEEE10hipError_tPvRmT1_PNSt15iterator_traitsIS12_E10value_typeET2_T3_PNS13_IS18_E10value_typeET4_jRbjT5_S1E_jjP12ihipStream_tbEUljE_ZNSN_ISO_Lb0ESQ_SR_ST_SU_SY_EESZ_S10_S11_S12_S16_S17_S18_S1B_S1C_jS1D_jS1E_S1E_jjS1G_bEUljE0_EEESZ_S10_S11_S18_S1C_S1E_T6_T7_T9_mT8_S1G_bDpT10_ENKUlT_T0_E_clISt17integral_constantIbLb0EES1T_IbLb1EEEEDaS1P_S1Q_EUlS1P_E_NS1_11comp_targetILNS1_3genE5ELNS1_11target_archE942ELNS1_3gpuE9ELNS1_3repE0EEENS1_30default_config_static_selectorELNS0_4arch9wavefront6targetE0EEEvS12_
		.amdhsa_group_segment_fixed_size 0
		.amdhsa_private_segment_fixed_size 0
		.amdhsa_kernarg_size 184
		.amdhsa_user_sgpr_count 2
		.amdhsa_user_sgpr_dispatch_ptr 0
		.amdhsa_user_sgpr_queue_ptr 0
		.amdhsa_user_sgpr_kernarg_segment_ptr 1
		.amdhsa_user_sgpr_dispatch_id 0
		.amdhsa_user_sgpr_private_segment_size 0
		.amdhsa_wavefront_size32 1
		.amdhsa_uses_dynamic_stack 0
		.amdhsa_enable_private_segment 0
		.amdhsa_system_sgpr_workgroup_id_x 1
		.amdhsa_system_sgpr_workgroup_id_y 0
		.amdhsa_system_sgpr_workgroup_id_z 0
		.amdhsa_system_sgpr_workgroup_info 0
		.amdhsa_system_vgpr_workitem_id 0
		.amdhsa_next_free_vgpr 1
		.amdhsa_next_free_sgpr 1
		.amdhsa_reserve_vcc 0
		.amdhsa_float_round_mode_32 0
		.amdhsa_float_round_mode_16_64 0
		.amdhsa_float_denorm_mode_32 3
		.amdhsa_float_denorm_mode_16_64 3
		.amdhsa_fp16_overflow 0
		.amdhsa_workgroup_processor_mode 1
		.amdhsa_memory_ordered 1
		.amdhsa_forward_progress 1
		.amdhsa_inst_pref_size 0
		.amdhsa_round_robin_scheduling 0
		.amdhsa_exception_fp_ieee_invalid_op 0
		.amdhsa_exception_fp_denorm_src 0
		.amdhsa_exception_fp_ieee_div_zero 0
		.amdhsa_exception_fp_ieee_overflow 0
		.amdhsa_exception_fp_ieee_underflow 0
		.amdhsa_exception_fp_ieee_inexact 0
		.amdhsa_exception_int_div_zero 0
	.end_amdhsa_kernel
	.section	.text._ZN7rocprim17ROCPRIM_400000_NS6detail17trampoline_kernelINS0_13select_configILj256ELj13ELNS0_17block_load_methodE3ELS4_3ELS4_3ELNS0_20block_scan_algorithmE0ELj4294967295EEENS1_25partition_config_selectorILNS1_17partition_subalgoE4EjNS0_10empty_typeEbEEZZNS1_14partition_implILS8_4ELb0ES6_15HIP_vector_typeIjLj2EENS0_17counting_iteratorIjlEEPS9_SG_NS0_5tupleIJPjSI_NS0_16reverse_iteratorISI_EEEEENSH_IJSG_SG_SG_EEES9_SI_JZNS1_25segmented_radix_sort_implINS0_14default_configELb0EPKbPbPKlPlN2at6native12_GLOBAL__N_18offset_tEEE10hipError_tPvRmT1_PNSt15iterator_traitsIS12_E10value_typeET2_T3_PNS13_IS18_E10value_typeET4_jRbjT5_S1E_jjP12ihipStream_tbEUljE_ZNSN_ISO_Lb0ESQ_SR_ST_SU_SY_EESZ_S10_S11_S12_S16_S17_S18_S1B_S1C_jS1D_jS1E_S1E_jjS1G_bEUljE0_EEESZ_S10_S11_S18_S1C_S1E_T6_T7_T9_mT8_S1G_bDpT10_ENKUlT_T0_E_clISt17integral_constantIbLb0EES1T_IbLb1EEEEDaS1P_S1Q_EUlS1P_E_NS1_11comp_targetILNS1_3genE5ELNS1_11target_archE942ELNS1_3gpuE9ELNS1_3repE0EEENS1_30default_config_static_selectorELNS0_4arch9wavefront6targetE0EEEvS12_,"axG",@progbits,_ZN7rocprim17ROCPRIM_400000_NS6detail17trampoline_kernelINS0_13select_configILj256ELj13ELNS0_17block_load_methodE3ELS4_3ELS4_3ELNS0_20block_scan_algorithmE0ELj4294967295EEENS1_25partition_config_selectorILNS1_17partition_subalgoE4EjNS0_10empty_typeEbEEZZNS1_14partition_implILS8_4ELb0ES6_15HIP_vector_typeIjLj2EENS0_17counting_iteratorIjlEEPS9_SG_NS0_5tupleIJPjSI_NS0_16reverse_iteratorISI_EEEEENSH_IJSG_SG_SG_EEES9_SI_JZNS1_25segmented_radix_sort_implINS0_14default_configELb0EPKbPbPKlPlN2at6native12_GLOBAL__N_18offset_tEEE10hipError_tPvRmT1_PNSt15iterator_traitsIS12_E10value_typeET2_T3_PNS13_IS18_E10value_typeET4_jRbjT5_S1E_jjP12ihipStream_tbEUljE_ZNSN_ISO_Lb0ESQ_SR_ST_SU_SY_EESZ_S10_S11_S12_S16_S17_S18_S1B_S1C_jS1D_jS1E_S1E_jjS1G_bEUljE0_EEESZ_S10_S11_S18_S1C_S1E_T6_T7_T9_mT8_S1G_bDpT10_ENKUlT_T0_E_clISt17integral_constantIbLb0EES1T_IbLb1EEEEDaS1P_S1Q_EUlS1P_E_NS1_11comp_targetILNS1_3genE5ELNS1_11target_archE942ELNS1_3gpuE9ELNS1_3repE0EEENS1_30default_config_static_selectorELNS0_4arch9wavefront6targetE0EEEvS12_,comdat
.Lfunc_end1596:
	.size	_ZN7rocprim17ROCPRIM_400000_NS6detail17trampoline_kernelINS0_13select_configILj256ELj13ELNS0_17block_load_methodE3ELS4_3ELS4_3ELNS0_20block_scan_algorithmE0ELj4294967295EEENS1_25partition_config_selectorILNS1_17partition_subalgoE4EjNS0_10empty_typeEbEEZZNS1_14partition_implILS8_4ELb0ES6_15HIP_vector_typeIjLj2EENS0_17counting_iteratorIjlEEPS9_SG_NS0_5tupleIJPjSI_NS0_16reverse_iteratorISI_EEEEENSH_IJSG_SG_SG_EEES9_SI_JZNS1_25segmented_radix_sort_implINS0_14default_configELb0EPKbPbPKlPlN2at6native12_GLOBAL__N_18offset_tEEE10hipError_tPvRmT1_PNSt15iterator_traitsIS12_E10value_typeET2_T3_PNS13_IS18_E10value_typeET4_jRbjT5_S1E_jjP12ihipStream_tbEUljE_ZNSN_ISO_Lb0ESQ_SR_ST_SU_SY_EESZ_S10_S11_S12_S16_S17_S18_S1B_S1C_jS1D_jS1E_S1E_jjS1G_bEUljE0_EEESZ_S10_S11_S18_S1C_S1E_T6_T7_T9_mT8_S1G_bDpT10_ENKUlT_T0_E_clISt17integral_constantIbLb0EES1T_IbLb1EEEEDaS1P_S1Q_EUlS1P_E_NS1_11comp_targetILNS1_3genE5ELNS1_11target_archE942ELNS1_3gpuE9ELNS1_3repE0EEENS1_30default_config_static_selectorELNS0_4arch9wavefront6targetE0EEEvS12_, .Lfunc_end1596-_ZN7rocprim17ROCPRIM_400000_NS6detail17trampoline_kernelINS0_13select_configILj256ELj13ELNS0_17block_load_methodE3ELS4_3ELS4_3ELNS0_20block_scan_algorithmE0ELj4294967295EEENS1_25partition_config_selectorILNS1_17partition_subalgoE4EjNS0_10empty_typeEbEEZZNS1_14partition_implILS8_4ELb0ES6_15HIP_vector_typeIjLj2EENS0_17counting_iteratorIjlEEPS9_SG_NS0_5tupleIJPjSI_NS0_16reverse_iteratorISI_EEEEENSH_IJSG_SG_SG_EEES9_SI_JZNS1_25segmented_radix_sort_implINS0_14default_configELb0EPKbPbPKlPlN2at6native12_GLOBAL__N_18offset_tEEE10hipError_tPvRmT1_PNSt15iterator_traitsIS12_E10value_typeET2_T3_PNS13_IS18_E10value_typeET4_jRbjT5_S1E_jjP12ihipStream_tbEUljE_ZNSN_ISO_Lb0ESQ_SR_ST_SU_SY_EESZ_S10_S11_S12_S16_S17_S18_S1B_S1C_jS1D_jS1E_S1E_jjS1G_bEUljE0_EEESZ_S10_S11_S18_S1C_S1E_T6_T7_T9_mT8_S1G_bDpT10_ENKUlT_T0_E_clISt17integral_constantIbLb0EES1T_IbLb1EEEEDaS1P_S1Q_EUlS1P_E_NS1_11comp_targetILNS1_3genE5ELNS1_11target_archE942ELNS1_3gpuE9ELNS1_3repE0EEENS1_30default_config_static_selectorELNS0_4arch9wavefront6targetE0EEEvS12_
                                        ; -- End function
	.set _ZN7rocprim17ROCPRIM_400000_NS6detail17trampoline_kernelINS0_13select_configILj256ELj13ELNS0_17block_load_methodE3ELS4_3ELS4_3ELNS0_20block_scan_algorithmE0ELj4294967295EEENS1_25partition_config_selectorILNS1_17partition_subalgoE4EjNS0_10empty_typeEbEEZZNS1_14partition_implILS8_4ELb0ES6_15HIP_vector_typeIjLj2EENS0_17counting_iteratorIjlEEPS9_SG_NS0_5tupleIJPjSI_NS0_16reverse_iteratorISI_EEEEENSH_IJSG_SG_SG_EEES9_SI_JZNS1_25segmented_radix_sort_implINS0_14default_configELb0EPKbPbPKlPlN2at6native12_GLOBAL__N_18offset_tEEE10hipError_tPvRmT1_PNSt15iterator_traitsIS12_E10value_typeET2_T3_PNS13_IS18_E10value_typeET4_jRbjT5_S1E_jjP12ihipStream_tbEUljE_ZNSN_ISO_Lb0ESQ_SR_ST_SU_SY_EESZ_S10_S11_S12_S16_S17_S18_S1B_S1C_jS1D_jS1E_S1E_jjS1G_bEUljE0_EEESZ_S10_S11_S18_S1C_S1E_T6_T7_T9_mT8_S1G_bDpT10_ENKUlT_T0_E_clISt17integral_constantIbLb0EES1T_IbLb1EEEEDaS1P_S1Q_EUlS1P_E_NS1_11comp_targetILNS1_3genE5ELNS1_11target_archE942ELNS1_3gpuE9ELNS1_3repE0EEENS1_30default_config_static_selectorELNS0_4arch9wavefront6targetE0EEEvS12_.num_vgpr, 0
	.set _ZN7rocprim17ROCPRIM_400000_NS6detail17trampoline_kernelINS0_13select_configILj256ELj13ELNS0_17block_load_methodE3ELS4_3ELS4_3ELNS0_20block_scan_algorithmE0ELj4294967295EEENS1_25partition_config_selectorILNS1_17partition_subalgoE4EjNS0_10empty_typeEbEEZZNS1_14partition_implILS8_4ELb0ES6_15HIP_vector_typeIjLj2EENS0_17counting_iteratorIjlEEPS9_SG_NS0_5tupleIJPjSI_NS0_16reverse_iteratorISI_EEEEENSH_IJSG_SG_SG_EEES9_SI_JZNS1_25segmented_radix_sort_implINS0_14default_configELb0EPKbPbPKlPlN2at6native12_GLOBAL__N_18offset_tEEE10hipError_tPvRmT1_PNSt15iterator_traitsIS12_E10value_typeET2_T3_PNS13_IS18_E10value_typeET4_jRbjT5_S1E_jjP12ihipStream_tbEUljE_ZNSN_ISO_Lb0ESQ_SR_ST_SU_SY_EESZ_S10_S11_S12_S16_S17_S18_S1B_S1C_jS1D_jS1E_S1E_jjS1G_bEUljE0_EEESZ_S10_S11_S18_S1C_S1E_T6_T7_T9_mT8_S1G_bDpT10_ENKUlT_T0_E_clISt17integral_constantIbLb0EES1T_IbLb1EEEEDaS1P_S1Q_EUlS1P_E_NS1_11comp_targetILNS1_3genE5ELNS1_11target_archE942ELNS1_3gpuE9ELNS1_3repE0EEENS1_30default_config_static_selectorELNS0_4arch9wavefront6targetE0EEEvS12_.num_agpr, 0
	.set _ZN7rocprim17ROCPRIM_400000_NS6detail17trampoline_kernelINS0_13select_configILj256ELj13ELNS0_17block_load_methodE3ELS4_3ELS4_3ELNS0_20block_scan_algorithmE0ELj4294967295EEENS1_25partition_config_selectorILNS1_17partition_subalgoE4EjNS0_10empty_typeEbEEZZNS1_14partition_implILS8_4ELb0ES6_15HIP_vector_typeIjLj2EENS0_17counting_iteratorIjlEEPS9_SG_NS0_5tupleIJPjSI_NS0_16reverse_iteratorISI_EEEEENSH_IJSG_SG_SG_EEES9_SI_JZNS1_25segmented_radix_sort_implINS0_14default_configELb0EPKbPbPKlPlN2at6native12_GLOBAL__N_18offset_tEEE10hipError_tPvRmT1_PNSt15iterator_traitsIS12_E10value_typeET2_T3_PNS13_IS18_E10value_typeET4_jRbjT5_S1E_jjP12ihipStream_tbEUljE_ZNSN_ISO_Lb0ESQ_SR_ST_SU_SY_EESZ_S10_S11_S12_S16_S17_S18_S1B_S1C_jS1D_jS1E_S1E_jjS1G_bEUljE0_EEESZ_S10_S11_S18_S1C_S1E_T6_T7_T9_mT8_S1G_bDpT10_ENKUlT_T0_E_clISt17integral_constantIbLb0EES1T_IbLb1EEEEDaS1P_S1Q_EUlS1P_E_NS1_11comp_targetILNS1_3genE5ELNS1_11target_archE942ELNS1_3gpuE9ELNS1_3repE0EEENS1_30default_config_static_selectorELNS0_4arch9wavefront6targetE0EEEvS12_.numbered_sgpr, 0
	.set _ZN7rocprim17ROCPRIM_400000_NS6detail17trampoline_kernelINS0_13select_configILj256ELj13ELNS0_17block_load_methodE3ELS4_3ELS4_3ELNS0_20block_scan_algorithmE0ELj4294967295EEENS1_25partition_config_selectorILNS1_17partition_subalgoE4EjNS0_10empty_typeEbEEZZNS1_14partition_implILS8_4ELb0ES6_15HIP_vector_typeIjLj2EENS0_17counting_iteratorIjlEEPS9_SG_NS0_5tupleIJPjSI_NS0_16reverse_iteratorISI_EEEEENSH_IJSG_SG_SG_EEES9_SI_JZNS1_25segmented_radix_sort_implINS0_14default_configELb0EPKbPbPKlPlN2at6native12_GLOBAL__N_18offset_tEEE10hipError_tPvRmT1_PNSt15iterator_traitsIS12_E10value_typeET2_T3_PNS13_IS18_E10value_typeET4_jRbjT5_S1E_jjP12ihipStream_tbEUljE_ZNSN_ISO_Lb0ESQ_SR_ST_SU_SY_EESZ_S10_S11_S12_S16_S17_S18_S1B_S1C_jS1D_jS1E_S1E_jjS1G_bEUljE0_EEESZ_S10_S11_S18_S1C_S1E_T6_T7_T9_mT8_S1G_bDpT10_ENKUlT_T0_E_clISt17integral_constantIbLb0EES1T_IbLb1EEEEDaS1P_S1Q_EUlS1P_E_NS1_11comp_targetILNS1_3genE5ELNS1_11target_archE942ELNS1_3gpuE9ELNS1_3repE0EEENS1_30default_config_static_selectorELNS0_4arch9wavefront6targetE0EEEvS12_.num_named_barrier, 0
	.set _ZN7rocprim17ROCPRIM_400000_NS6detail17trampoline_kernelINS0_13select_configILj256ELj13ELNS0_17block_load_methodE3ELS4_3ELS4_3ELNS0_20block_scan_algorithmE0ELj4294967295EEENS1_25partition_config_selectorILNS1_17partition_subalgoE4EjNS0_10empty_typeEbEEZZNS1_14partition_implILS8_4ELb0ES6_15HIP_vector_typeIjLj2EENS0_17counting_iteratorIjlEEPS9_SG_NS0_5tupleIJPjSI_NS0_16reverse_iteratorISI_EEEEENSH_IJSG_SG_SG_EEES9_SI_JZNS1_25segmented_radix_sort_implINS0_14default_configELb0EPKbPbPKlPlN2at6native12_GLOBAL__N_18offset_tEEE10hipError_tPvRmT1_PNSt15iterator_traitsIS12_E10value_typeET2_T3_PNS13_IS18_E10value_typeET4_jRbjT5_S1E_jjP12ihipStream_tbEUljE_ZNSN_ISO_Lb0ESQ_SR_ST_SU_SY_EESZ_S10_S11_S12_S16_S17_S18_S1B_S1C_jS1D_jS1E_S1E_jjS1G_bEUljE0_EEESZ_S10_S11_S18_S1C_S1E_T6_T7_T9_mT8_S1G_bDpT10_ENKUlT_T0_E_clISt17integral_constantIbLb0EES1T_IbLb1EEEEDaS1P_S1Q_EUlS1P_E_NS1_11comp_targetILNS1_3genE5ELNS1_11target_archE942ELNS1_3gpuE9ELNS1_3repE0EEENS1_30default_config_static_selectorELNS0_4arch9wavefront6targetE0EEEvS12_.private_seg_size, 0
	.set _ZN7rocprim17ROCPRIM_400000_NS6detail17trampoline_kernelINS0_13select_configILj256ELj13ELNS0_17block_load_methodE3ELS4_3ELS4_3ELNS0_20block_scan_algorithmE0ELj4294967295EEENS1_25partition_config_selectorILNS1_17partition_subalgoE4EjNS0_10empty_typeEbEEZZNS1_14partition_implILS8_4ELb0ES6_15HIP_vector_typeIjLj2EENS0_17counting_iteratorIjlEEPS9_SG_NS0_5tupleIJPjSI_NS0_16reverse_iteratorISI_EEEEENSH_IJSG_SG_SG_EEES9_SI_JZNS1_25segmented_radix_sort_implINS0_14default_configELb0EPKbPbPKlPlN2at6native12_GLOBAL__N_18offset_tEEE10hipError_tPvRmT1_PNSt15iterator_traitsIS12_E10value_typeET2_T3_PNS13_IS18_E10value_typeET4_jRbjT5_S1E_jjP12ihipStream_tbEUljE_ZNSN_ISO_Lb0ESQ_SR_ST_SU_SY_EESZ_S10_S11_S12_S16_S17_S18_S1B_S1C_jS1D_jS1E_S1E_jjS1G_bEUljE0_EEESZ_S10_S11_S18_S1C_S1E_T6_T7_T9_mT8_S1G_bDpT10_ENKUlT_T0_E_clISt17integral_constantIbLb0EES1T_IbLb1EEEEDaS1P_S1Q_EUlS1P_E_NS1_11comp_targetILNS1_3genE5ELNS1_11target_archE942ELNS1_3gpuE9ELNS1_3repE0EEENS1_30default_config_static_selectorELNS0_4arch9wavefront6targetE0EEEvS12_.uses_vcc, 0
	.set _ZN7rocprim17ROCPRIM_400000_NS6detail17trampoline_kernelINS0_13select_configILj256ELj13ELNS0_17block_load_methodE3ELS4_3ELS4_3ELNS0_20block_scan_algorithmE0ELj4294967295EEENS1_25partition_config_selectorILNS1_17partition_subalgoE4EjNS0_10empty_typeEbEEZZNS1_14partition_implILS8_4ELb0ES6_15HIP_vector_typeIjLj2EENS0_17counting_iteratorIjlEEPS9_SG_NS0_5tupleIJPjSI_NS0_16reverse_iteratorISI_EEEEENSH_IJSG_SG_SG_EEES9_SI_JZNS1_25segmented_radix_sort_implINS0_14default_configELb0EPKbPbPKlPlN2at6native12_GLOBAL__N_18offset_tEEE10hipError_tPvRmT1_PNSt15iterator_traitsIS12_E10value_typeET2_T3_PNS13_IS18_E10value_typeET4_jRbjT5_S1E_jjP12ihipStream_tbEUljE_ZNSN_ISO_Lb0ESQ_SR_ST_SU_SY_EESZ_S10_S11_S12_S16_S17_S18_S1B_S1C_jS1D_jS1E_S1E_jjS1G_bEUljE0_EEESZ_S10_S11_S18_S1C_S1E_T6_T7_T9_mT8_S1G_bDpT10_ENKUlT_T0_E_clISt17integral_constantIbLb0EES1T_IbLb1EEEEDaS1P_S1Q_EUlS1P_E_NS1_11comp_targetILNS1_3genE5ELNS1_11target_archE942ELNS1_3gpuE9ELNS1_3repE0EEENS1_30default_config_static_selectorELNS0_4arch9wavefront6targetE0EEEvS12_.uses_flat_scratch, 0
	.set _ZN7rocprim17ROCPRIM_400000_NS6detail17trampoline_kernelINS0_13select_configILj256ELj13ELNS0_17block_load_methodE3ELS4_3ELS4_3ELNS0_20block_scan_algorithmE0ELj4294967295EEENS1_25partition_config_selectorILNS1_17partition_subalgoE4EjNS0_10empty_typeEbEEZZNS1_14partition_implILS8_4ELb0ES6_15HIP_vector_typeIjLj2EENS0_17counting_iteratorIjlEEPS9_SG_NS0_5tupleIJPjSI_NS0_16reverse_iteratorISI_EEEEENSH_IJSG_SG_SG_EEES9_SI_JZNS1_25segmented_radix_sort_implINS0_14default_configELb0EPKbPbPKlPlN2at6native12_GLOBAL__N_18offset_tEEE10hipError_tPvRmT1_PNSt15iterator_traitsIS12_E10value_typeET2_T3_PNS13_IS18_E10value_typeET4_jRbjT5_S1E_jjP12ihipStream_tbEUljE_ZNSN_ISO_Lb0ESQ_SR_ST_SU_SY_EESZ_S10_S11_S12_S16_S17_S18_S1B_S1C_jS1D_jS1E_S1E_jjS1G_bEUljE0_EEESZ_S10_S11_S18_S1C_S1E_T6_T7_T9_mT8_S1G_bDpT10_ENKUlT_T0_E_clISt17integral_constantIbLb0EES1T_IbLb1EEEEDaS1P_S1Q_EUlS1P_E_NS1_11comp_targetILNS1_3genE5ELNS1_11target_archE942ELNS1_3gpuE9ELNS1_3repE0EEENS1_30default_config_static_selectorELNS0_4arch9wavefront6targetE0EEEvS12_.has_dyn_sized_stack, 0
	.set _ZN7rocprim17ROCPRIM_400000_NS6detail17trampoline_kernelINS0_13select_configILj256ELj13ELNS0_17block_load_methodE3ELS4_3ELS4_3ELNS0_20block_scan_algorithmE0ELj4294967295EEENS1_25partition_config_selectorILNS1_17partition_subalgoE4EjNS0_10empty_typeEbEEZZNS1_14partition_implILS8_4ELb0ES6_15HIP_vector_typeIjLj2EENS0_17counting_iteratorIjlEEPS9_SG_NS0_5tupleIJPjSI_NS0_16reverse_iteratorISI_EEEEENSH_IJSG_SG_SG_EEES9_SI_JZNS1_25segmented_radix_sort_implINS0_14default_configELb0EPKbPbPKlPlN2at6native12_GLOBAL__N_18offset_tEEE10hipError_tPvRmT1_PNSt15iterator_traitsIS12_E10value_typeET2_T3_PNS13_IS18_E10value_typeET4_jRbjT5_S1E_jjP12ihipStream_tbEUljE_ZNSN_ISO_Lb0ESQ_SR_ST_SU_SY_EESZ_S10_S11_S12_S16_S17_S18_S1B_S1C_jS1D_jS1E_S1E_jjS1G_bEUljE0_EEESZ_S10_S11_S18_S1C_S1E_T6_T7_T9_mT8_S1G_bDpT10_ENKUlT_T0_E_clISt17integral_constantIbLb0EES1T_IbLb1EEEEDaS1P_S1Q_EUlS1P_E_NS1_11comp_targetILNS1_3genE5ELNS1_11target_archE942ELNS1_3gpuE9ELNS1_3repE0EEENS1_30default_config_static_selectorELNS0_4arch9wavefront6targetE0EEEvS12_.has_recursion, 0
	.set _ZN7rocprim17ROCPRIM_400000_NS6detail17trampoline_kernelINS0_13select_configILj256ELj13ELNS0_17block_load_methodE3ELS4_3ELS4_3ELNS0_20block_scan_algorithmE0ELj4294967295EEENS1_25partition_config_selectorILNS1_17partition_subalgoE4EjNS0_10empty_typeEbEEZZNS1_14partition_implILS8_4ELb0ES6_15HIP_vector_typeIjLj2EENS0_17counting_iteratorIjlEEPS9_SG_NS0_5tupleIJPjSI_NS0_16reverse_iteratorISI_EEEEENSH_IJSG_SG_SG_EEES9_SI_JZNS1_25segmented_radix_sort_implINS0_14default_configELb0EPKbPbPKlPlN2at6native12_GLOBAL__N_18offset_tEEE10hipError_tPvRmT1_PNSt15iterator_traitsIS12_E10value_typeET2_T3_PNS13_IS18_E10value_typeET4_jRbjT5_S1E_jjP12ihipStream_tbEUljE_ZNSN_ISO_Lb0ESQ_SR_ST_SU_SY_EESZ_S10_S11_S12_S16_S17_S18_S1B_S1C_jS1D_jS1E_S1E_jjS1G_bEUljE0_EEESZ_S10_S11_S18_S1C_S1E_T6_T7_T9_mT8_S1G_bDpT10_ENKUlT_T0_E_clISt17integral_constantIbLb0EES1T_IbLb1EEEEDaS1P_S1Q_EUlS1P_E_NS1_11comp_targetILNS1_3genE5ELNS1_11target_archE942ELNS1_3gpuE9ELNS1_3repE0EEENS1_30default_config_static_selectorELNS0_4arch9wavefront6targetE0EEEvS12_.has_indirect_call, 0
	.section	.AMDGPU.csdata,"",@progbits
; Kernel info:
; codeLenInByte = 0
; TotalNumSgprs: 0
; NumVgprs: 0
; ScratchSize: 0
; MemoryBound: 0
; FloatMode: 240
; IeeeMode: 1
; LDSByteSize: 0 bytes/workgroup (compile time only)
; SGPRBlocks: 0
; VGPRBlocks: 0
; NumSGPRsForWavesPerEU: 1
; NumVGPRsForWavesPerEU: 1
; Occupancy: 16
; WaveLimiterHint : 0
; COMPUTE_PGM_RSRC2:SCRATCH_EN: 0
; COMPUTE_PGM_RSRC2:USER_SGPR: 2
; COMPUTE_PGM_RSRC2:TRAP_HANDLER: 0
; COMPUTE_PGM_RSRC2:TGID_X_EN: 1
; COMPUTE_PGM_RSRC2:TGID_Y_EN: 0
; COMPUTE_PGM_RSRC2:TGID_Z_EN: 0
; COMPUTE_PGM_RSRC2:TIDIG_COMP_CNT: 0
	.section	.text._ZN7rocprim17ROCPRIM_400000_NS6detail17trampoline_kernelINS0_13select_configILj256ELj13ELNS0_17block_load_methodE3ELS4_3ELS4_3ELNS0_20block_scan_algorithmE0ELj4294967295EEENS1_25partition_config_selectorILNS1_17partition_subalgoE4EjNS0_10empty_typeEbEEZZNS1_14partition_implILS8_4ELb0ES6_15HIP_vector_typeIjLj2EENS0_17counting_iteratorIjlEEPS9_SG_NS0_5tupleIJPjSI_NS0_16reverse_iteratorISI_EEEEENSH_IJSG_SG_SG_EEES9_SI_JZNS1_25segmented_radix_sort_implINS0_14default_configELb0EPKbPbPKlPlN2at6native12_GLOBAL__N_18offset_tEEE10hipError_tPvRmT1_PNSt15iterator_traitsIS12_E10value_typeET2_T3_PNS13_IS18_E10value_typeET4_jRbjT5_S1E_jjP12ihipStream_tbEUljE_ZNSN_ISO_Lb0ESQ_SR_ST_SU_SY_EESZ_S10_S11_S12_S16_S17_S18_S1B_S1C_jS1D_jS1E_S1E_jjS1G_bEUljE0_EEESZ_S10_S11_S18_S1C_S1E_T6_T7_T9_mT8_S1G_bDpT10_ENKUlT_T0_E_clISt17integral_constantIbLb0EES1T_IbLb1EEEEDaS1P_S1Q_EUlS1P_E_NS1_11comp_targetILNS1_3genE4ELNS1_11target_archE910ELNS1_3gpuE8ELNS1_3repE0EEENS1_30default_config_static_selectorELNS0_4arch9wavefront6targetE0EEEvS12_,"axG",@progbits,_ZN7rocprim17ROCPRIM_400000_NS6detail17trampoline_kernelINS0_13select_configILj256ELj13ELNS0_17block_load_methodE3ELS4_3ELS4_3ELNS0_20block_scan_algorithmE0ELj4294967295EEENS1_25partition_config_selectorILNS1_17partition_subalgoE4EjNS0_10empty_typeEbEEZZNS1_14partition_implILS8_4ELb0ES6_15HIP_vector_typeIjLj2EENS0_17counting_iteratorIjlEEPS9_SG_NS0_5tupleIJPjSI_NS0_16reverse_iteratorISI_EEEEENSH_IJSG_SG_SG_EEES9_SI_JZNS1_25segmented_radix_sort_implINS0_14default_configELb0EPKbPbPKlPlN2at6native12_GLOBAL__N_18offset_tEEE10hipError_tPvRmT1_PNSt15iterator_traitsIS12_E10value_typeET2_T3_PNS13_IS18_E10value_typeET4_jRbjT5_S1E_jjP12ihipStream_tbEUljE_ZNSN_ISO_Lb0ESQ_SR_ST_SU_SY_EESZ_S10_S11_S12_S16_S17_S18_S1B_S1C_jS1D_jS1E_S1E_jjS1G_bEUljE0_EEESZ_S10_S11_S18_S1C_S1E_T6_T7_T9_mT8_S1G_bDpT10_ENKUlT_T0_E_clISt17integral_constantIbLb0EES1T_IbLb1EEEEDaS1P_S1Q_EUlS1P_E_NS1_11comp_targetILNS1_3genE4ELNS1_11target_archE910ELNS1_3gpuE8ELNS1_3repE0EEENS1_30default_config_static_selectorELNS0_4arch9wavefront6targetE0EEEvS12_,comdat
	.globl	_ZN7rocprim17ROCPRIM_400000_NS6detail17trampoline_kernelINS0_13select_configILj256ELj13ELNS0_17block_load_methodE3ELS4_3ELS4_3ELNS0_20block_scan_algorithmE0ELj4294967295EEENS1_25partition_config_selectorILNS1_17partition_subalgoE4EjNS0_10empty_typeEbEEZZNS1_14partition_implILS8_4ELb0ES6_15HIP_vector_typeIjLj2EENS0_17counting_iteratorIjlEEPS9_SG_NS0_5tupleIJPjSI_NS0_16reverse_iteratorISI_EEEEENSH_IJSG_SG_SG_EEES9_SI_JZNS1_25segmented_radix_sort_implINS0_14default_configELb0EPKbPbPKlPlN2at6native12_GLOBAL__N_18offset_tEEE10hipError_tPvRmT1_PNSt15iterator_traitsIS12_E10value_typeET2_T3_PNS13_IS18_E10value_typeET4_jRbjT5_S1E_jjP12ihipStream_tbEUljE_ZNSN_ISO_Lb0ESQ_SR_ST_SU_SY_EESZ_S10_S11_S12_S16_S17_S18_S1B_S1C_jS1D_jS1E_S1E_jjS1G_bEUljE0_EEESZ_S10_S11_S18_S1C_S1E_T6_T7_T9_mT8_S1G_bDpT10_ENKUlT_T0_E_clISt17integral_constantIbLb0EES1T_IbLb1EEEEDaS1P_S1Q_EUlS1P_E_NS1_11comp_targetILNS1_3genE4ELNS1_11target_archE910ELNS1_3gpuE8ELNS1_3repE0EEENS1_30default_config_static_selectorELNS0_4arch9wavefront6targetE0EEEvS12_ ; -- Begin function _ZN7rocprim17ROCPRIM_400000_NS6detail17trampoline_kernelINS0_13select_configILj256ELj13ELNS0_17block_load_methodE3ELS4_3ELS4_3ELNS0_20block_scan_algorithmE0ELj4294967295EEENS1_25partition_config_selectorILNS1_17partition_subalgoE4EjNS0_10empty_typeEbEEZZNS1_14partition_implILS8_4ELb0ES6_15HIP_vector_typeIjLj2EENS0_17counting_iteratorIjlEEPS9_SG_NS0_5tupleIJPjSI_NS0_16reverse_iteratorISI_EEEEENSH_IJSG_SG_SG_EEES9_SI_JZNS1_25segmented_radix_sort_implINS0_14default_configELb0EPKbPbPKlPlN2at6native12_GLOBAL__N_18offset_tEEE10hipError_tPvRmT1_PNSt15iterator_traitsIS12_E10value_typeET2_T3_PNS13_IS18_E10value_typeET4_jRbjT5_S1E_jjP12ihipStream_tbEUljE_ZNSN_ISO_Lb0ESQ_SR_ST_SU_SY_EESZ_S10_S11_S12_S16_S17_S18_S1B_S1C_jS1D_jS1E_S1E_jjS1G_bEUljE0_EEESZ_S10_S11_S18_S1C_S1E_T6_T7_T9_mT8_S1G_bDpT10_ENKUlT_T0_E_clISt17integral_constantIbLb0EES1T_IbLb1EEEEDaS1P_S1Q_EUlS1P_E_NS1_11comp_targetILNS1_3genE4ELNS1_11target_archE910ELNS1_3gpuE8ELNS1_3repE0EEENS1_30default_config_static_selectorELNS0_4arch9wavefront6targetE0EEEvS12_
	.p2align	8
	.type	_ZN7rocprim17ROCPRIM_400000_NS6detail17trampoline_kernelINS0_13select_configILj256ELj13ELNS0_17block_load_methodE3ELS4_3ELS4_3ELNS0_20block_scan_algorithmE0ELj4294967295EEENS1_25partition_config_selectorILNS1_17partition_subalgoE4EjNS0_10empty_typeEbEEZZNS1_14partition_implILS8_4ELb0ES6_15HIP_vector_typeIjLj2EENS0_17counting_iteratorIjlEEPS9_SG_NS0_5tupleIJPjSI_NS0_16reverse_iteratorISI_EEEEENSH_IJSG_SG_SG_EEES9_SI_JZNS1_25segmented_radix_sort_implINS0_14default_configELb0EPKbPbPKlPlN2at6native12_GLOBAL__N_18offset_tEEE10hipError_tPvRmT1_PNSt15iterator_traitsIS12_E10value_typeET2_T3_PNS13_IS18_E10value_typeET4_jRbjT5_S1E_jjP12ihipStream_tbEUljE_ZNSN_ISO_Lb0ESQ_SR_ST_SU_SY_EESZ_S10_S11_S12_S16_S17_S18_S1B_S1C_jS1D_jS1E_S1E_jjS1G_bEUljE0_EEESZ_S10_S11_S18_S1C_S1E_T6_T7_T9_mT8_S1G_bDpT10_ENKUlT_T0_E_clISt17integral_constantIbLb0EES1T_IbLb1EEEEDaS1P_S1Q_EUlS1P_E_NS1_11comp_targetILNS1_3genE4ELNS1_11target_archE910ELNS1_3gpuE8ELNS1_3repE0EEENS1_30default_config_static_selectorELNS0_4arch9wavefront6targetE0EEEvS12_,@function
_ZN7rocprim17ROCPRIM_400000_NS6detail17trampoline_kernelINS0_13select_configILj256ELj13ELNS0_17block_load_methodE3ELS4_3ELS4_3ELNS0_20block_scan_algorithmE0ELj4294967295EEENS1_25partition_config_selectorILNS1_17partition_subalgoE4EjNS0_10empty_typeEbEEZZNS1_14partition_implILS8_4ELb0ES6_15HIP_vector_typeIjLj2EENS0_17counting_iteratorIjlEEPS9_SG_NS0_5tupleIJPjSI_NS0_16reverse_iteratorISI_EEEEENSH_IJSG_SG_SG_EEES9_SI_JZNS1_25segmented_radix_sort_implINS0_14default_configELb0EPKbPbPKlPlN2at6native12_GLOBAL__N_18offset_tEEE10hipError_tPvRmT1_PNSt15iterator_traitsIS12_E10value_typeET2_T3_PNS13_IS18_E10value_typeET4_jRbjT5_S1E_jjP12ihipStream_tbEUljE_ZNSN_ISO_Lb0ESQ_SR_ST_SU_SY_EESZ_S10_S11_S12_S16_S17_S18_S1B_S1C_jS1D_jS1E_S1E_jjS1G_bEUljE0_EEESZ_S10_S11_S18_S1C_S1E_T6_T7_T9_mT8_S1G_bDpT10_ENKUlT_T0_E_clISt17integral_constantIbLb0EES1T_IbLb1EEEEDaS1P_S1Q_EUlS1P_E_NS1_11comp_targetILNS1_3genE4ELNS1_11target_archE910ELNS1_3gpuE8ELNS1_3repE0EEENS1_30default_config_static_selectorELNS0_4arch9wavefront6targetE0EEEvS12_: ; @_ZN7rocprim17ROCPRIM_400000_NS6detail17trampoline_kernelINS0_13select_configILj256ELj13ELNS0_17block_load_methodE3ELS4_3ELS4_3ELNS0_20block_scan_algorithmE0ELj4294967295EEENS1_25partition_config_selectorILNS1_17partition_subalgoE4EjNS0_10empty_typeEbEEZZNS1_14partition_implILS8_4ELb0ES6_15HIP_vector_typeIjLj2EENS0_17counting_iteratorIjlEEPS9_SG_NS0_5tupleIJPjSI_NS0_16reverse_iteratorISI_EEEEENSH_IJSG_SG_SG_EEES9_SI_JZNS1_25segmented_radix_sort_implINS0_14default_configELb0EPKbPbPKlPlN2at6native12_GLOBAL__N_18offset_tEEE10hipError_tPvRmT1_PNSt15iterator_traitsIS12_E10value_typeET2_T3_PNS13_IS18_E10value_typeET4_jRbjT5_S1E_jjP12ihipStream_tbEUljE_ZNSN_ISO_Lb0ESQ_SR_ST_SU_SY_EESZ_S10_S11_S12_S16_S17_S18_S1B_S1C_jS1D_jS1E_S1E_jjS1G_bEUljE0_EEESZ_S10_S11_S18_S1C_S1E_T6_T7_T9_mT8_S1G_bDpT10_ENKUlT_T0_E_clISt17integral_constantIbLb0EES1T_IbLb1EEEEDaS1P_S1Q_EUlS1P_E_NS1_11comp_targetILNS1_3genE4ELNS1_11target_archE910ELNS1_3gpuE8ELNS1_3repE0EEENS1_30default_config_static_selectorELNS0_4arch9wavefront6targetE0EEEvS12_
; %bb.0:
	.section	.rodata,"a",@progbits
	.p2align	6, 0x0
	.amdhsa_kernel _ZN7rocprim17ROCPRIM_400000_NS6detail17trampoline_kernelINS0_13select_configILj256ELj13ELNS0_17block_load_methodE3ELS4_3ELS4_3ELNS0_20block_scan_algorithmE0ELj4294967295EEENS1_25partition_config_selectorILNS1_17partition_subalgoE4EjNS0_10empty_typeEbEEZZNS1_14partition_implILS8_4ELb0ES6_15HIP_vector_typeIjLj2EENS0_17counting_iteratorIjlEEPS9_SG_NS0_5tupleIJPjSI_NS0_16reverse_iteratorISI_EEEEENSH_IJSG_SG_SG_EEES9_SI_JZNS1_25segmented_radix_sort_implINS0_14default_configELb0EPKbPbPKlPlN2at6native12_GLOBAL__N_18offset_tEEE10hipError_tPvRmT1_PNSt15iterator_traitsIS12_E10value_typeET2_T3_PNS13_IS18_E10value_typeET4_jRbjT5_S1E_jjP12ihipStream_tbEUljE_ZNSN_ISO_Lb0ESQ_SR_ST_SU_SY_EESZ_S10_S11_S12_S16_S17_S18_S1B_S1C_jS1D_jS1E_S1E_jjS1G_bEUljE0_EEESZ_S10_S11_S18_S1C_S1E_T6_T7_T9_mT8_S1G_bDpT10_ENKUlT_T0_E_clISt17integral_constantIbLb0EES1T_IbLb1EEEEDaS1P_S1Q_EUlS1P_E_NS1_11comp_targetILNS1_3genE4ELNS1_11target_archE910ELNS1_3gpuE8ELNS1_3repE0EEENS1_30default_config_static_selectorELNS0_4arch9wavefront6targetE0EEEvS12_
		.amdhsa_group_segment_fixed_size 0
		.amdhsa_private_segment_fixed_size 0
		.amdhsa_kernarg_size 184
		.amdhsa_user_sgpr_count 2
		.amdhsa_user_sgpr_dispatch_ptr 0
		.amdhsa_user_sgpr_queue_ptr 0
		.amdhsa_user_sgpr_kernarg_segment_ptr 1
		.amdhsa_user_sgpr_dispatch_id 0
		.amdhsa_user_sgpr_private_segment_size 0
		.amdhsa_wavefront_size32 1
		.amdhsa_uses_dynamic_stack 0
		.amdhsa_enable_private_segment 0
		.amdhsa_system_sgpr_workgroup_id_x 1
		.amdhsa_system_sgpr_workgroup_id_y 0
		.amdhsa_system_sgpr_workgroup_id_z 0
		.amdhsa_system_sgpr_workgroup_info 0
		.amdhsa_system_vgpr_workitem_id 0
		.amdhsa_next_free_vgpr 1
		.amdhsa_next_free_sgpr 1
		.amdhsa_reserve_vcc 0
		.amdhsa_float_round_mode_32 0
		.amdhsa_float_round_mode_16_64 0
		.amdhsa_float_denorm_mode_32 3
		.amdhsa_float_denorm_mode_16_64 3
		.amdhsa_fp16_overflow 0
		.amdhsa_workgroup_processor_mode 1
		.amdhsa_memory_ordered 1
		.amdhsa_forward_progress 1
		.amdhsa_inst_pref_size 0
		.amdhsa_round_robin_scheduling 0
		.amdhsa_exception_fp_ieee_invalid_op 0
		.amdhsa_exception_fp_denorm_src 0
		.amdhsa_exception_fp_ieee_div_zero 0
		.amdhsa_exception_fp_ieee_overflow 0
		.amdhsa_exception_fp_ieee_underflow 0
		.amdhsa_exception_fp_ieee_inexact 0
		.amdhsa_exception_int_div_zero 0
	.end_amdhsa_kernel
	.section	.text._ZN7rocprim17ROCPRIM_400000_NS6detail17trampoline_kernelINS0_13select_configILj256ELj13ELNS0_17block_load_methodE3ELS4_3ELS4_3ELNS0_20block_scan_algorithmE0ELj4294967295EEENS1_25partition_config_selectorILNS1_17partition_subalgoE4EjNS0_10empty_typeEbEEZZNS1_14partition_implILS8_4ELb0ES6_15HIP_vector_typeIjLj2EENS0_17counting_iteratorIjlEEPS9_SG_NS0_5tupleIJPjSI_NS0_16reverse_iteratorISI_EEEEENSH_IJSG_SG_SG_EEES9_SI_JZNS1_25segmented_radix_sort_implINS0_14default_configELb0EPKbPbPKlPlN2at6native12_GLOBAL__N_18offset_tEEE10hipError_tPvRmT1_PNSt15iterator_traitsIS12_E10value_typeET2_T3_PNS13_IS18_E10value_typeET4_jRbjT5_S1E_jjP12ihipStream_tbEUljE_ZNSN_ISO_Lb0ESQ_SR_ST_SU_SY_EESZ_S10_S11_S12_S16_S17_S18_S1B_S1C_jS1D_jS1E_S1E_jjS1G_bEUljE0_EEESZ_S10_S11_S18_S1C_S1E_T6_T7_T9_mT8_S1G_bDpT10_ENKUlT_T0_E_clISt17integral_constantIbLb0EES1T_IbLb1EEEEDaS1P_S1Q_EUlS1P_E_NS1_11comp_targetILNS1_3genE4ELNS1_11target_archE910ELNS1_3gpuE8ELNS1_3repE0EEENS1_30default_config_static_selectorELNS0_4arch9wavefront6targetE0EEEvS12_,"axG",@progbits,_ZN7rocprim17ROCPRIM_400000_NS6detail17trampoline_kernelINS0_13select_configILj256ELj13ELNS0_17block_load_methodE3ELS4_3ELS4_3ELNS0_20block_scan_algorithmE0ELj4294967295EEENS1_25partition_config_selectorILNS1_17partition_subalgoE4EjNS0_10empty_typeEbEEZZNS1_14partition_implILS8_4ELb0ES6_15HIP_vector_typeIjLj2EENS0_17counting_iteratorIjlEEPS9_SG_NS0_5tupleIJPjSI_NS0_16reverse_iteratorISI_EEEEENSH_IJSG_SG_SG_EEES9_SI_JZNS1_25segmented_radix_sort_implINS0_14default_configELb0EPKbPbPKlPlN2at6native12_GLOBAL__N_18offset_tEEE10hipError_tPvRmT1_PNSt15iterator_traitsIS12_E10value_typeET2_T3_PNS13_IS18_E10value_typeET4_jRbjT5_S1E_jjP12ihipStream_tbEUljE_ZNSN_ISO_Lb0ESQ_SR_ST_SU_SY_EESZ_S10_S11_S12_S16_S17_S18_S1B_S1C_jS1D_jS1E_S1E_jjS1G_bEUljE0_EEESZ_S10_S11_S18_S1C_S1E_T6_T7_T9_mT8_S1G_bDpT10_ENKUlT_T0_E_clISt17integral_constantIbLb0EES1T_IbLb1EEEEDaS1P_S1Q_EUlS1P_E_NS1_11comp_targetILNS1_3genE4ELNS1_11target_archE910ELNS1_3gpuE8ELNS1_3repE0EEENS1_30default_config_static_selectorELNS0_4arch9wavefront6targetE0EEEvS12_,comdat
.Lfunc_end1597:
	.size	_ZN7rocprim17ROCPRIM_400000_NS6detail17trampoline_kernelINS0_13select_configILj256ELj13ELNS0_17block_load_methodE3ELS4_3ELS4_3ELNS0_20block_scan_algorithmE0ELj4294967295EEENS1_25partition_config_selectorILNS1_17partition_subalgoE4EjNS0_10empty_typeEbEEZZNS1_14partition_implILS8_4ELb0ES6_15HIP_vector_typeIjLj2EENS0_17counting_iteratorIjlEEPS9_SG_NS0_5tupleIJPjSI_NS0_16reverse_iteratorISI_EEEEENSH_IJSG_SG_SG_EEES9_SI_JZNS1_25segmented_radix_sort_implINS0_14default_configELb0EPKbPbPKlPlN2at6native12_GLOBAL__N_18offset_tEEE10hipError_tPvRmT1_PNSt15iterator_traitsIS12_E10value_typeET2_T3_PNS13_IS18_E10value_typeET4_jRbjT5_S1E_jjP12ihipStream_tbEUljE_ZNSN_ISO_Lb0ESQ_SR_ST_SU_SY_EESZ_S10_S11_S12_S16_S17_S18_S1B_S1C_jS1D_jS1E_S1E_jjS1G_bEUljE0_EEESZ_S10_S11_S18_S1C_S1E_T6_T7_T9_mT8_S1G_bDpT10_ENKUlT_T0_E_clISt17integral_constantIbLb0EES1T_IbLb1EEEEDaS1P_S1Q_EUlS1P_E_NS1_11comp_targetILNS1_3genE4ELNS1_11target_archE910ELNS1_3gpuE8ELNS1_3repE0EEENS1_30default_config_static_selectorELNS0_4arch9wavefront6targetE0EEEvS12_, .Lfunc_end1597-_ZN7rocprim17ROCPRIM_400000_NS6detail17trampoline_kernelINS0_13select_configILj256ELj13ELNS0_17block_load_methodE3ELS4_3ELS4_3ELNS0_20block_scan_algorithmE0ELj4294967295EEENS1_25partition_config_selectorILNS1_17partition_subalgoE4EjNS0_10empty_typeEbEEZZNS1_14partition_implILS8_4ELb0ES6_15HIP_vector_typeIjLj2EENS0_17counting_iteratorIjlEEPS9_SG_NS0_5tupleIJPjSI_NS0_16reverse_iteratorISI_EEEEENSH_IJSG_SG_SG_EEES9_SI_JZNS1_25segmented_radix_sort_implINS0_14default_configELb0EPKbPbPKlPlN2at6native12_GLOBAL__N_18offset_tEEE10hipError_tPvRmT1_PNSt15iterator_traitsIS12_E10value_typeET2_T3_PNS13_IS18_E10value_typeET4_jRbjT5_S1E_jjP12ihipStream_tbEUljE_ZNSN_ISO_Lb0ESQ_SR_ST_SU_SY_EESZ_S10_S11_S12_S16_S17_S18_S1B_S1C_jS1D_jS1E_S1E_jjS1G_bEUljE0_EEESZ_S10_S11_S18_S1C_S1E_T6_T7_T9_mT8_S1G_bDpT10_ENKUlT_T0_E_clISt17integral_constantIbLb0EES1T_IbLb1EEEEDaS1P_S1Q_EUlS1P_E_NS1_11comp_targetILNS1_3genE4ELNS1_11target_archE910ELNS1_3gpuE8ELNS1_3repE0EEENS1_30default_config_static_selectorELNS0_4arch9wavefront6targetE0EEEvS12_
                                        ; -- End function
	.set _ZN7rocprim17ROCPRIM_400000_NS6detail17trampoline_kernelINS0_13select_configILj256ELj13ELNS0_17block_load_methodE3ELS4_3ELS4_3ELNS0_20block_scan_algorithmE0ELj4294967295EEENS1_25partition_config_selectorILNS1_17partition_subalgoE4EjNS0_10empty_typeEbEEZZNS1_14partition_implILS8_4ELb0ES6_15HIP_vector_typeIjLj2EENS0_17counting_iteratorIjlEEPS9_SG_NS0_5tupleIJPjSI_NS0_16reverse_iteratorISI_EEEEENSH_IJSG_SG_SG_EEES9_SI_JZNS1_25segmented_radix_sort_implINS0_14default_configELb0EPKbPbPKlPlN2at6native12_GLOBAL__N_18offset_tEEE10hipError_tPvRmT1_PNSt15iterator_traitsIS12_E10value_typeET2_T3_PNS13_IS18_E10value_typeET4_jRbjT5_S1E_jjP12ihipStream_tbEUljE_ZNSN_ISO_Lb0ESQ_SR_ST_SU_SY_EESZ_S10_S11_S12_S16_S17_S18_S1B_S1C_jS1D_jS1E_S1E_jjS1G_bEUljE0_EEESZ_S10_S11_S18_S1C_S1E_T6_T7_T9_mT8_S1G_bDpT10_ENKUlT_T0_E_clISt17integral_constantIbLb0EES1T_IbLb1EEEEDaS1P_S1Q_EUlS1P_E_NS1_11comp_targetILNS1_3genE4ELNS1_11target_archE910ELNS1_3gpuE8ELNS1_3repE0EEENS1_30default_config_static_selectorELNS0_4arch9wavefront6targetE0EEEvS12_.num_vgpr, 0
	.set _ZN7rocprim17ROCPRIM_400000_NS6detail17trampoline_kernelINS0_13select_configILj256ELj13ELNS0_17block_load_methodE3ELS4_3ELS4_3ELNS0_20block_scan_algorithmE0ELj4294967295EEENS1_25partition_config_selectorILNS1_17partition_subalgoE4EjNS0_10empty_typeEbEEZZNS1_14partition_implILS8_4ELb0ES6_15HIP_vector_typeIjLj2EENS0_17counting_iteratorIjlEEPS9_SG_NS0_5tupleIJPjSI_NS0_16reverse_iteratorISI_EEEEENSH_IJSG_SG_SG_EEES9_SI_JZNS1_25segmented_radix_sort_implINS0_14default_configELb0EPKbPbPKlPlN2at6native12_GLOBAL__N_18offset_tEEE10hipError_tPvRmT1_PNSt15iterator_traitsIS12_E10value_typeET2_T3_PNS13_IS18_E10value_typeET4_jRbjT5_S1E_jjP12ihipStream_tbEUljE_ZNSN_ISO_Lb0ESQ_SR_ST_SU_SY_EESZ_S10_S11_S12_S16_S17_S18_S1B_S1C_jS1D_jS1E_S1E_jjS1G_bEUljE0_EEESZ_S10_S11_S18_S1C_S1E_T6_T7_T9_mT8_S1G_bDpT10_ENKUlT_T0_E_clISt17integral_constantIbLb0EES1T_IbLb1EEEEDaS1P_S1Q_EUlS1P_E_NS1_11comp_targetILNS1_3genE4ELNS1_11target_archE910ELNS1_3gpuE8ELNS1_3repE0EEENS1_30default_config_static_selectorELNS0_4arch9wavefront6targetE0EEEvS12_.num_agpr, 0
	.set _ZN7rocprim17ROCPRIM_400000_NS6detail17trampoline_kernelINS0_13select_configILj256ELj13ELNS0_17block_load_methodE3ELS4_3ELS4_3ELNS0_20block_scan_algorithmE0ELj4294967295EEENS1_25partition_config_selectorILNS1_17partition_subalgoE4EjNS0_10empty_typeEbEEZZNS1_14partition_implILS8_4ELb0ES6_15HIP_vector_typeIjLj2EENS0_17counting_iteratorIjlEEPS9_SG_NS0_5tupleIJPjSI_NS0_16reverse_iteratorISI_EEEEENSH_IJSG_SG_SG_EEES9_SI_JZNS1_25segmented_radix_sort_implINS0_14default_configELb0EPKbPbPKlPlN2at6native12_GLOBAL__N_18offset_tEEE10hipError_tPvRmT1_PNSt15iterator_traitsIS12_E10value_typeET2_T3_PNS13_IS18_E10value_typeET4_jRbjT5_S1E_jjP12ihipStream_tbEUljE_ZNSN_ISO_Lb0ESQ_SR_ST_SU_SY_EESZ_S10_S11_S12_S16_S17_S18_S1B_S1C_jS1D_jS1E_S1E_jjS1G_bEUljE0_EEESZ_S10_S11_S18_S1C_S1E_T6_T7_T9_mT8_S1G_bDpT10_ENKUlT_T0_E_clISt17integral_constantIbLb0EES1T_IbLb1EEEEDaS1P_S1Q_EUlS1P_E_NS1_11comp_targetILNS1_3genE4ELNS1_11target_archE910ELNS1_3gpuE8ELNS1_3repE0EEENS1_30default_config_static_selectorELNS0_4arch9wavefront6targetE0EEEvS12_.numbered_sgpr, 0
	.set _ZN7rocprim17ROCPRIM_400000_NS6detail17trampoline_kernelINS0_13select_configILj256ELj13ELNS0_17block_load_methodE3ELS4_3ELS4_3ELNS0_20block_scan_algorithmE0ELj4294967295EEENS1_25partition_config_selectorILNS1_17partition_subalgoE4EjNS0_10empty_typeEbEEZZNS1_14partition_implILS8_4ELb0ES6_15HIP_vector_typeIjLj2EENS0_17counting_iteratorIjlEEPS9_SG_NS0_5tupleIJPjSI_NS0_16reverse_iteratorISI_EEEEENSH_IJSG_SG_SG_EEES9_SI_JZNS1_25segmented_radix_sort_implINS0_14default_configELb0EPKbPbPKlPlN2at6native12_GLOBAL__N_18offset_tEEE10hipError_tPvRmT1_PNSt15iterator_traitsIS12_E10value_typeET2_T3_PNS13_IS18_E10value_typeET4_jRbjT5_S1E_jjP12ihipStream_tbEUljE_ZNSN_ISO_Lb0ESQ_SR_ST_SU_SY_EESZ_S10_S11_S12_S16_S17_S18_S1B_S1C_jS1D_jS1E_S1E_jjS1G_bEUljE0_EEESZ_S10_S11_S18_S1C_S1E_T6_T7_T9_mT8_S1G_bDpT10_ENKUlT_T0_E_clISt17integral_constantIbLb0EES1T_IbLb1EEEEDaS1P_S1Q_EUlS1P_E_NS1_11comp_targetILNS1_3genE4ELNS1_11target_archE910ELNS1_3gpuE8ELNS1_3repE0EEENS1_30default_config_static_selectorELNS0_4arch9wavefront6targetE0EEEvS12_.num_named_barrier, 0
	.set _ZN7rocprim17ROCPRIM_400000_NS6detail17trampoline_kernelINS0_13select_configILj256ELj13ELNS0_17block_load_methodE3ELS4_3ELS4_3ELNS0_20block_scan_algorithmE0ELj4294967295EEENS1_25partition_config_selectorILNS1_17partition_subalgoE4EjNS0_10empty_typeEbEEZZNS1_14partition_implILS8_4ELb0ES6_15HIP_vector_typeIjLj2EENS0_17counting_iteratorIjlEEPS9_SG_NS0_5tupleIJPjSI_NS0_16reverse_iteratorISI_EEEEENSH_IJSG_SG_SG_EEES9_SI_JZNS1_25segmented_radix_sort_implINS0_14default_configELb0EPKbPbPKlPlN2at6native12_GLOBAL__N_18offset_tEEE10hipError_tPvRmT1_PNSt15iterator_traitsIS12_E10value_typeET2_T3_PNS13_IS18_E10value_typeET4_jRbjT5_S1E_jjP12ihipStream_tbEUljE_ZNSN_ISO_Lb0ESQ_SR_ST_SU_SY_EESZ_S10_S11_S12_S16_S17_S18_S1B_S1C_jS1D_jS1E_S1E_jjS1G_bEUljE0_EEESZ_S10_S11_S18_S1C_S1E_T6_T7_T9_mT8_S1G_bDpT10_ENKUlT_T0_E_clISt17integral_constantIbLb0EES1T_IbLb1EEEEDaS1P_S1Q_EUlS1P_E_NS1_11comp_targetILNS1_3genE4ELNS1_11target_archE910ELNS1_3gpuE8ELNS1_3repE0EEENS1_30default_config_static_selectorELNS0_4arch9wavefront6targetE0EEEvS12_.private_seg_size, 0
	.set _ZN7rocprim17ROCPRIM_400000_NS6detail17trampoline_kernelINS0_13select_configILj256ELj13ELNS0_17block_load_methodE3ELS4_3ELS4_3ELNS0_20block_scan_algorithmE0ELj4294967295EEENS1_25partition_config_selectorILNS1_17partition_subalgoE4EjNS0_10empty_typeEbEEZZNS1_14partition_implILS8_4ELb0ES6_15HIP_vector_typeIjLj2EENS0_17counting_iteratorIjlEEPS9_SG_NS0_5tupleIJPjSI_NS0_16reverse_iteratorISI_EEEEENSH_IJSG_SG_SG_EEES9_SI_JZNS1_25segmented_radix_sort_implINS0_14default_configELb0EPKbPbPKlPlN2at6native12_GLOBAL__N_18offset_tEEE10hipError_tPvRmT1_PNSt15iterator_traitsIS12_E10value_typeET2_T3_PNS13_IS18_E10value_typeET4_jRbjT5_S1E_jjP12ihipStream_tbEUljE_ZNSN_ISO_Lb0ESQ_SR_ST_SU_SY_EESZ_S10_S11_S12_S16_S17_S18_S1B_S1C_jS1D_jS1E_S1E_jjS1G_bEUljE0_EEESZ_S10_S11_S18_S1C_S1E_T6_T7_T9_mT8_S1G_bDpT10_ENKUlT_T0_E_clISt17integral_constantIbLb0EES1T_IbLb1EEEEDaS1P_S1Q_EUlS1P_E_NS1_11comp_targetILNS1_3genE4ELNS1_11target_archE910ELNS1_3gpuE8ELNS1_3repE0EEENS1_30default_config_static_selectorELNS0_4arch9wavefront6targetE0EEEvS12_.uses_vcc, 0
	.set _ZN7rocprim17ROCPRIM_400000_NS6detail17trampoline_kernelINS0_13select_configILj256ELj13ELNS0_17block_load_methodE3ELS4_3ELS4_3ELNS0_20block_scan_algorithmE0ELj4294967295EEENS1_25partition_config_selectorILNS1_17partition_subalgoE4EjNS0_10empty_typeEbEEZZNS1_14partition_implILS8_4ELb0ES6_15HIP_vector_typeIjLj2EENS0_17counting_iteratorIjlEEPS9_SG_NS0_5tupleIJPjSI_NS0_16reverse_iteratorISI_EEEEENSH_IJSG_SG_SG_EEES9_SI_JZNS1_25segmented_radix_sort_implINS0_14default_configELb0EPKbPbPKlPlN2at6native12_GLOBAL__N_18offset_tEEE10hipError_tPvRmT1_PNSt15iterator_traitsIS12_E10value_typeET2_T3_PNS13_IS18_E10value_typeET4_jRbjT5_S1E_jjP12ihipStream_tbEUljE_ZNSN_ISO_Lb0ESQ_SR_ST_SU_SY_EESZ_S10_S11_S12_S16_S17_S18_S1B_S1C_jS1D_jS1E_S1E_jjS1G_bEUljE0_EEESZ_S10_S11_S18_S1C_S1E_T6_T7_T9_mT8_S1G_bDpT10_ENKUlT_T0_E_clISt17integral_constantIbLb0EES1T_IbLb1EEEEDaS1P_S1Q_EUlS1P_E_NS1_11comp_targetILNS1_3genE4ELNS1_11target_archE910ELNS1_3gpuE8ELNS1_3repE0EEENS1_30default_config_static_selectorELNS0_4arch9wavefront6targetE0EEEvS12_.uses_flat_scratch, 0
	.set _ZN7rocprim17ROCPRIM_400000_NS6detail17trampoline_kernelINS0_13select_configILj256ELj13ELNS0_17block_load_methodE3ELS4_3ELS4_3ELNS0_20block_scan_algorithmE0ELj4294967295EEENS1_25partition_config_selectorILNS1_17partition_subalgoE4EjNS0_10empty_typeEbEEZZNS1_14partition_implILS8_4ELb0ES6_15HIP_vector_typeIjLj2EENS0_17counting_iteratorIjlEEPS9_SG_NS0_5tupleIJPjSI_NS0_16reverse_iteratorISI_EEEEENSH_IJSG_SG_SG_EEES9_SI_JZNS1_25segmented_radix_sort_implINS0_14default_configELb0EPKbPbPKlPlN2at6native12_GLOBAL__N_18offset_tEEE10hipError_tPvRmT1_PNSt15iterator_traitsIS12_E10value_typeET2_T3_PNS13_IS18_E10value_typeET4_jRbjT5_S1E_jjP12ihipStream_tbEUljE_ZNSN_ISO_Lb0ESQ_SR_ST_SU_SY_EESZ_S10_S11_S12_S16_S17_S18_S1B_S1C_jS1D_jS1E_S1E_jjS1G_bEUljE0_EEESZ_S10_S11_S18_S1C_S1E_T6_T7_T9_mT8_S1G_bDpT10_ENKUlT_T0_E_clISt17integral_constantIbLb0EES1T_IbLb1EEEEDaS1P_S1Q_EUlS1P_E_NS1_11comp_targetILNS1_3genE4ELNS1_11target_archE910ELNS1_3gpuE8ELNS1_3repE0EEENS1_30default_config_static_selectorELNS0_4arch9wavefront6targetE0EEEvS12_.has_dyn_sized_stack, 0
	.set _ZN7rocprim17ROCPRIM_400000_NS6detail17trampoline_kernelINS0_13select_configILj256ELj13ELNS0_17block_load_methodE3ELS4_3ELS4_3ELNS0_20block_scan_algorithmE0ELj4294967295EEENS1_25partition_config_selectorILNS1_17partition_subalgoE4EjNS0_10empty_typeEbEEZZNS1_14partition_implILS8_4ELb0ES6_15HIP_vector_typeIjLj2EENS0_17counting_iteratorIjlEEPS9_SG_NS0_5tupleIJPjSI_NS0_16reverse_iteratorISI_EEEEENSH_IJSG_SG_SG_EEES9_SI_JZNS1_25segmented_radix_sort_implINS0_14default_configELb0EPKbPbPKlPlN2at6native12_GLOBAL__N_18offset_tEEE10hipError_tPvRmT1_PNSt15iterator_traitsIS12_E10value_typeET2_T3_PNS13_IS18_E10value_typeET4_jRbjT5_S1E_jjP12ihipStream_tbEUljE_ZNSN_ISO_Lb0ESQ_SR_ST_SU_SY_EESZ_S10_S11_S12_S16_S17_S18_S1B_S1C_jS1D_jS1E_S1E_jjS1G_bEUljE0_EEESZ_S10_S11_S18_S1C_S1E_T6_T7_T9_mT8_S1G_bDpT10_ENKUlT_T0_E_clISt17integral_constantIbLb0EES1T_IbLb1EEEEDaS1P_S1Q_EUlS1P_E_NS1_11comp_targetILNS1_3genE4ELNS1_11target_archE910ELNS1_3gpuE8ELNS1_3repE0EEENS1_30default_config_static_selectorELNS0_4arch9wavefront6targetE0EEEvS12_.has_recursion, 0
	.set _ZN7rocprim17ROCPRIM_400000_NS6detail17trampoline_kernelINS0_13select_configILj256ELj13ELNS0_17block_load_methodE3ELS4_3ELS4_3ELNS0_20block_scan_algorithmE0ELj4294967295EEENS1_25partition_config_selectorILNS1_17partition_subalgoE4EjNS0_10empty_typeEbEEZZNS1_14partition_implILS8_4ELb0ES6_15HIP_vector_typeIjLj2EENS0_17counting_iteratorIjlEEPS9_SG_NS0_5tupleIJPjSI_NS0_16reverse_iteratorISI_EEEEENSH_IJSG_SG_SG_EEES9_SI_JZNS1_25segmented_radix_sort_implINS0_14default_configELb0EPKbPbPKlPlN2at6native12_GLOBAL__N_18offset_tEEE10hipError_tPvRmT1_PNSt15iterator_traitsIS12_E10value_typeET2_T3_PNS13_IS18_E10value_typeET4_jRbjT5_S1E_jjP12ihipStream_tbEUljE_ZNSN_ISO_Lb0ESQ_SR_ST_SU_SY_EESZ_S10_S11_S12_S16_S17_S18_S1B_S1C_jS1D_jS1E_S1E_jjS1G_bEUljE0_EEESZ_S10_S11_S18_S1C_S1E_T6_T7_T9_mT8_S1G_bDpT10_ENKUlT_T0_E_clISt17integral_constantIbLb0EES1T_IbLb1EEEEDaS1P_S1Q_EUlS1P_E_NS1_11comp_targetILNS1_3genE4ELNS1_11target_archE910ELNS1_3gpuE8ELNS1_3repE0EEENS1_30default_config_static_selectorELNS0_4arch9wavefront6targetE0EEEvS12_.has_indirect_call, 0
	.section	.AMDGPU.csdata,"",@progbits
; Kernel info:
; codeLenInByte = 0
; TotalNumSgprs: 0
; NumVgprs: 0
; ScratchSize: 0
; MemoryBound: 0
; FloatMode: 240
; IeeeMode: 1
; LDSByteSize: 0 bytes/workgroup (compile time only)
; SGPRBlocks: 0
; VGPRBlocks: 0
; NumSGPRsForWavesPerEU: 1
; NumVGPRsForWavesPerEU: 1
; Occupancy: 16
; WaveLimiterHint : 0
; COMPUTE_PGM_RSRC2:SCRATCH_EN: 0
; COMPUTE_PGM_RSRC2:USER_SGPR: 2
; COMPUTE_PGM_RSRC2:TRAP_HANDLER: 0
; COMPUTE_PGM_RSRC2:TGID_X_EN: 1
; COMPUTE_PGM_RSRC2:TGID_Y_EN: 0
; COMPUTE_PGM_RSRC2:TGID_Z_EN: 0
; COMPUTE_PGM_RSRC2:TIDIG_COMP_CNT: 0
	.section	.text._ZN7rocprim17ROCPRIM_400000_NS6detail17trampoline_kernelINS0_13select_configILj256ELj13ELNS0_17block_load_methodE3ELS4_3ELS4_3ELNS0_20block_scan_algorithmE0ELj4294967295EEENS1_25partition_config_selectorILNS1_17partition_subalgoE4EjNS0_10empty_typeEbEEZZNS1_14partition_implILS8_4ELb0ES6_15HIP_vector_typeIjLj2EENS0_17counting_iteratorIjlEEPS9_SG_NS0_5tupleIJPjSI_NS0_16reverse_iteratorISI_EEEEENSH_IJSG_SG_SG_EEES9_SI_JZNS1_25segmented_radix_sort_implINS0_14default_configELb0EPKbPbPKlPlN2at6native12_GLOBAL__N_18offset_tEEE10hipError_tPvRmT1_PNSt15iterator_traitsIS12_E10value_typeET2_T3_PNS13_IS18_E10value_typeET4_jRbjT5_S1E_jjP12ihipStream_tbEUljE_ZNSN_ISO_Lb0ESQ_SR_ST_SU_SY_EESZ_S10_S11_S12_S16_S17_S18_S1B_S1C_jS1D_jS1E_S1E_jjS1G_bEUljE0_EEESZ_S10_S11_S18_S1C_S1E_T6_T7_T9_mT8_S1G_bDpT10_ENKUlT_T0_E_clISt17integral_constantIbLb0EES1T_IbLb1EEEEDaS1P_S1Q_EUlS1P_E_NS1_11comp_targetILNS1_3genE3ELNS1_11target_archE908ELNS1_3gpuE7ELNS1_3repE0EEENS1_30default_config_static_selectorELNS0_4arch9wavefront6targetE0EEEvS12_,"axG",@progbits,_ZN7rocprim17ROCPRIM_400000_NS6detail17trampoline_kernelINS0_13select_configILj256ELj13ELNS0_17block_load_methodE3ELS4_3ELS4_3ELNS0_20block_scan_algorithmE0ELj4294967295EEENS1_25partition_config_selectorILNS1_17partition_subalgoE4EjNS0_10empty_typeEbEEZZNS1_14partition_implILS8_4ELb0ES6_15HIP_vector_typeIjLj2EENS0_17counting_iteratorIjlEEPS9_SG_NS0_5tupleIJPjSI_NS0_16reverse_iteratorISI_EEEEENSH_IJSG_SG_SG_EEES9_SI_JZNS1_25segmented_radix_sort_implINS0_14default_configELb0EPKbPbPKlPlN2at6native12_GLOBAL__N_18offset_tEEE10hipError_tPvRmT1_PNSt15iterator_traitsIS12_E10value_typeET2_T3_PNS13_IS18_E10value_typeET4_jRbjT5_S1E_jjP12ihipStream_tbEUljE_ZNSN_ISO_Lb0ESQ_SR_ST_SU_SY_EESZ_S10_S11_S12_S16_S17_S18_S1B_S1C_jS1D_jS1E_S1E_jjS1G_bEUljE0_EEESZ_S10_S11_S18_S1C_S1E_T6_T7_T9_mT8_S1G_bDpT10_ENKUlT_T0_E_clISt17integral_constantIbLb0EES1T_IbLb1EEEEDaS1P_S1Q_EUlS1P_E_NS1_11comp_targetILNS1_3genE3ELNS1_11target_archE908ELNS1_3gpuE7ELNS1_3repE0EEENS1_30default_config_static_selectorELNS0_4arch9wavefront6targetE0EEEvS12_,comdat
	.globl	_ZN7rocprim17ROCPRIM_400000_NS6detail17trampoline_kernelINS0_13select_configILj256ELj13ELNS0_17block_load_methodE3ELS4_3ELS4_3ELNS0_20block_scan_algorithmE0ELj4294967295EEENS1_25partition_config_selectorILNS1_17partition_subalgoE4EjNS0_10empty_typeEbEEZZNS1_14partition_implILS8_4ELb0ES6_15HIP_vector_typeIjLj2EENS0_17counting_iteratorIjlEEPS9_SG_NS0_5tupleIJPjSI_NS0_16reverse_iteratorISI_EEEEENSH_IJSG_SG_SG_EEES9_SI_JZNS1_25segmented_radix_sort_implINS0_14default_configELb0EPKbPbPKlPlN2at6native12_GLOBAL__N_18offset_tEEE10hipError_tPvRmT1_PNSt15iterator_traitsIS12_E10value_typeET2_T3_PNS13_IS18_E10value_typeET4_jRbjT5_S1E_jjP12ihipStream_tbEUljE_ZNSN_ISO_Lb0ESQ_SR_ST_SU_SY_EESZ_S10_S11_S12_S16_S17_S18_S1B_S1C_jS1D_jS1E_S1E_jjS1G_bEUljE0_EEESZ_S10_S11_S18_S1C_S1E_T6_T7_T9_mT8_S1G_bDpT10_ENKUlT_T0_E_clISt17integral_constantIbLb0EES1T_IbLb1EEEEDaS1P_S1Q_EUlS1P_E_NS1_11comp_targetILNS1_3genE3ELNS1_11target_archE908ELNS1_3gpuE7ELNS1_3repE0EEENS1_30default_config_static_selectorELNS0_4arch9wavefront6targetE0EEEvS12_ ; -- Begin function _ZN7rocprim17ROCPRIM_400000_NS6detail17trampoline_kernelINS0_13select_configILj256ELj13ELNS0_17block_load_methodE3ELS4_3ELS4_3ELNS0_20block_scan_algorithmE0ELj4294967295EEENS1_25partition_config_selectorILNS1_17partition_subalgoE4EjNS0_10empty_typeEbEEZZNS1_14partition_implILS8_4ELb0ES6_15HIP_vector_typeIjLj2EENS0_17counting_iteratorIjlEEPS9_SG_NS0_5tupleIJPjSI_NS0_16reverse_iteratorISI_EEEEENSH_IJSG_SG_SG_EEES9_SI_JZNS1_25segmented_radix_sort_implINS0_14default_configELb0EPKbPbPKlPlN2at6native12_GLOBAL__N_18offset_tEEE10hipError_tPvRmT1_PNSt15iterator_traitsIS12_E10value_typeET2_T3_PNS13_IS18_E10value_typeET4_jRbjT5_S1E_jjP12ihipStream_tbEUljE_ZNSN_ISO_Lb0ESQ_SR_ST_SU_SY_EESZ_S10_S11_S12_S16_S17_S18_S1B_S1C_jS1D_jS1E_S1E_jjS1G_bEUljE0_EEESZ_S10_S11_S18_S1C_S1E_T6_T7_T9_mT8_S1G_bDpT10_ENKUlT_T0_E_clISt17integral_constantIbLb0EES1T_IbLb1EEEEDaS1P_S1Q_EUlS1P_E_NS1_11comp_targetILNS1_3genE3ELNS1_11target_archE908ELNS1_3gpuE7ELNS1_3repE0EEENS1_30default_config_static_selectorELNS0_4arch9wavefront6targetE0EEEvS12_
	.p2align	8
	.type	_ZN7rocprim17ROCPRIM_400000_NS6detail17trampoline_kernelINS0_13select_configILj256ELj13ELNS0_17block_load_methodE3ELS4_3ELS4_3ELNS0_20block_scan_algorithmE0ELj4294967295EEENS1_25partition_config_selectorILNS1_17partition_subalgoE4EjNS0_10empty_typeEbEEZZNS1_14partition_implILS8_4ELb0ES6_15HIP_vector_typeIjLj2EENS0_17counting_iteratorIjlEEPS9_SG_NS0_5tupleIJPjSI_NS0_16reverse_iteratorISI_EEEEENSH_IJSG_SG_SG_EEES9_SI_JZNS1_25segmented_radix_sort_implINS0_14default_configELb0EPKbPbPKlPlN2at6native12_GLOBAL__N_18offset_tEEE10hipError_tPvRmT1_PNSt15iterator_traitsIS12_E10value_typeET2_T3_PNS13_IS18_E10value_typeET4_jRbjT5_S1E_jjP12ihipStream_tbEUljE_ZNSN_ISO_Lb0ESQ_SR_ST_SU_SY_EESZ_S10_S11_S12_S16_S17_S18_S1B_S1C_jS1D_jS1E_S1E_jjS1G_bEUljE0_EEESZ_S10_S11_S18_S1C_S1E_T6_T7_T9_mT8_S1G_bDpT10_ENKUlT_T0_E_clISt17integral_constantIbLb0EES1T_IbLb1EEEEDaS1P_S1Q_EUlS1P_E_NS1_11comp_targetILNS1_3genE3ELNS1_11target_archE908ELNS1_3gpuE7ELNS1_3repE0EEENS1_30default_config_static_selectorELNS0_4arch9wavefront6targetE0EEEvS12_,@function
_ZN7rocprim17ROCPRIM_400000_NS6detail17trampoline_kernelINS0_13select_configILj256ELj13ELNS0_17block_load_methodE3ELS4_3ELS4_3ELNS0_20block_scan_algorithmE0ELj4294967295EEENS1_25partition_config_selectorILNS1_17partition_subalgoE4EjNS0_10empty_typeEbEEZZNS1_14partition_implILS8_4ELb0ES6_15HIP_vector_typeIjLj2EENS0_17counting_iteratorIjlEEPS9_SG_NS0_5tupleIJPjSI_NS0_16reverse_iteratorISI_EEEEENSH_IJSG_SG_SG_EEES9_SI_JZNS1_25segmented_radix_sort_implINS0_14default_configELb0EPKbPbPKlPlN2at6native12_GLOBAL__N_18offset_tEEE10hipError_tPvRmT1_PNSt15iterator_traitsIS12_E10value_typeET2_T3_PNS13_IS18_E10value_typeET4_jRbjT5_S1E_jjP12ihipStream_tbEUljE_ZNSN_ISO_Lb0ESQ_SR_ST_SU_SY_EESZ_S10_S11_S12_S16_S17_S18_S1B_S1C_jS1D_jS1E_S1E_jjS1G_bEUljE0_EEESZ_S10_S11_S18_S1C_S1E_T6_T7_T9_mT8_S1G_bDpT10_ENKUlT_T0_E_clISt17integral_constantIbLb0EES1T_IbLb1EEEEDaS1P_S1Q_EUlS1P_E_NS1_11comp_targetILNS1_3genE3ELNS1_11target_archE908ELNS1_3gpuE7ELNS1_3repE0EEENS1_30default_config_static_selectorELNS0_4arch9wavefront6targetE0EEEvS12_: ; @_ZN7rocprim17ROCPRIM_400000_NS6detail17trampoline_kernelINS0_13select_configILj256ELj13ELNS0_17block_load_methodE3ELS4_3ELS4_3ELNS0_20block_scan_algorithmE0ELj4294967295EEENS1_25partition_config_selectorILNS1_17partition_subalgoE4EjNS0_10empty_typeEbEEZZNS1_14partition_implILS8_4ELb0ES6_15HIP_vector_typeIjLj2EENS0_17counting_iteratorIjlEEPS9_SG_NS0_5tupleIJPjSI_NS0_16reverse_iteratorISI_EEEEENSH_IJSG_SG_SG_EEES9_SI_JZNS1_25segmented_radix_sort_implINS0_14default_configELb0EPKbPbPKlPlN2at6native12_GLOBAL__N_18offset_tEEE10hipError_tPvRmT1_PNSt15iterator_traitsIS12_E10value_typeET2_T3_PNS13_IS18_E10value_typeET4_jRbjT5_S1E_jjP12ihipStream_tbEUljE_ZNSN_ISO_Lb0ESQ_SR_ST_SU_SY_EESZ_S10_S11_S12_S16_S17_S18_S1B_S1C_jS1D_jS1E_S1E_jjS1G_bEUljE0_EEESZ_S10_S11_S18_S1C_S1E_T6_T7_T9_mT8_S1G_bDpT10_ENKUlT_T0_E_clISt17integral_constantIbLb0EES1T_IbLb1EEEEDaS1P_S1Q_EUlS1P_E_NS1_11comp_targetILNS1_3genE3ELNS1_11target_archE908ELNS1_3gpuE7ELNS1_3repE0EEENS1_30default_config_static_selectorELNS0_4arch9wavefront6targetE0EEEvS12_
; %bb.0:
	.section	.rodata,"a",@progbits
	.p2align	6, 0x0
	.amdhsa_kernel _ZN7rocprim17ROCPRIM_400000_NS6detail17trampoline_kernelINS0_13select_configILj256ELj13ELNS0_17block_load_methodE3ELS4_3ELS4_3ELNS0_20block_scan_algorithmE0ELj4294967295EEENS1_25partition_config_selectorILNS1_17partition_subalgoE4EjNS0_10empty_typeEbEEZZNS1_14partition_implILS8_4ELb0ES6_15HIP_vector_typeIjLj2EENS0_17counting_iteratorIjlEEPS9_SG_NS0_5tupleIJPjSI_NS0_16reverse_iteratorISI_EEEEENSH_IJSG_SG_SG_EEES9_SI_JZNS1_25segmented_radix_sort_implINS0_14default_configELb0EPKbPbPKlPlN2at6native12_GLOBAL__N_18offset_tEEE10hipError_tPvRmT1_PNSt15iterator_traitsIS12_E10value_typeET2_T3_PNS13_IS18_E10value_typeET4_jRbjT5_S1E_jjP12ihipStream_tbEUljE_ZNSN_ISO_Lb0ESQ_SR_ST_SU_SY_EESZ_S10_S11_S12_S16_S17_S18_S1B_S1C_jS1D_jS1E_S1E_jjS1G_bEUljE0_EEESZ_S10_S11_S18_S1C_S1E_T6_T7_T9_mT8_S1G_bDpT10_ENKUlT_T0_E_clISt17integral_constantIbLb0EES1T_IbLb1EEEEDaS1P_S1Q_EUlS1P_E_NS1_11comp_targetILNS1_3genE3ELNS1_11target_archE908ELNS1_3gpuE7ELNS1_3repE0EEENS1_30default_config_static_selectorELNS0_4arch9wavefront6targetE0EEEvS12_
		.amdhsa_group_segment_fixed_size 0
		.amdhsa_private_segment_fixed_size 0
		.amdhsa_kernarg_size 184
		.amdhsa_user_sgpr_count 2
		.amdhsa_user_sgpr_dispatch_ptr 0
		.amdhsa_user_sgpr_queue_ptr 0
		.amdhsa_user_sgpr_kernarg_segment_ptr 1
		.amdhsa_user_sgpr_dispatch_id 0
		.amdhsa_user_sgpr_private_segment_size 0
		.amdhsa_wavefront_size32 1
		.amdhsa_uses_dynamic_stack 0
		.amdhsa_enable_private_segment 0
		.amdhsa_system_sgpr_workgroup_id_x 1
		.amdhsa_system_sgpr_workgroup_id_y 0
		.amdhsa_system_sgpr_workgroup_id_z 0
		.amdhsa_system_sgpr_workgroup_info 0
		.amdhsa_system_vgpr_workitem_id 0
		.amdhsa_next_free_vgpr 1
		.amdhsa_next_free_sgpr 1
		.amdhsa_reserve_vcc 0
		.amdhsa_float_round_mode_32 0
		.amdhsa_float_round_mode_16_64 0
		.amdhsa_float_denorm_mode_32 3
		.amdhsa_float_denorm_mode_16_64 3
		.amdhsa_fp16_overflow 0
		.amdhsa_workgroup_processor_mode 1
		.amdhsa_memory_ordered 1
		.amdhsa_forward_progress 1
		.amdhsa_inst_pref_size 0
		.amdhsa_round_robin_scheduling 0
		.amdhsa_exception_fp_ieee_invalid_op 0
		.amdhsa_exception_fp_denorm_src 0
		.amdhsa_exception_fp_ieee_div_zero 0
		.amdhsa_exception_fp_ieee_overflow 0
		.amdhsa_exception_fp_ieee_underflow 0
		.amdhsa_exception_fp_ieee_inexact 0
		.amdhsa_exception_int_div_zero 0
	.end_amdhsa_kernel
	.section	.text._ZN7rocprim17ROCPRIM_400000_NS6detail17trampoline_kernelINS0_13select_configILj256ELj13ELNS0_17block_load_methodE3ELS4_3ELS4_3ELNS0_20block_scan_algorithmE0ELj4294967295EEENS1_25partition_config_selectorILNS1_17partition_subalgoE4EjNS0_10empty_typeEbEEZZNS1_14partition_implILS8_4ELb0ES6_15HIP_vector_typeIjLj2EENS0_17counting_iteratorIjlEEPS9_SG_NS0_5tupleIJPjSI_NS0_16reverse_iteratorISI_EEEEENSH_IJSG_SG_SG_EEES9_SI_JZNS1_25segmented_radix_sort_implINS0_14default_configELb0EPKbPbPKlPlN2at6native12_GLOBAL__N_18offset_tEEE10hipError_tPvRmT1_PNSt15iterator_traitsIS12_E10value_typeET2_T3_PNS13_IS18_E10value_typeET4_jRbjT5_S1E_jjP12ihipStream_tbEUljE_ZNSN_ISO_Lb0ESQ_SR_ST_SU_SY_EESZ_S10_S11_S12_S16_S17_S18_S1B_S1C_jS1D_jS1E_S1E_jjS1G_bEUljE0_EEESZ_S10_S11_S18_S1C_S1E_T6_T7_T9_mT8_S1G_bDpT10_ENKUlT_T0_E_clISt17integral_constantIbLb0EES1T_IbLb1EEEEDaS1P_S1Q_EUlS1P_E_NS1_11comp_targetILNS1_3genE3ELNS1_11target_archE908ELNS1_3gpuE7ELNS1_3repE0EEENS1_30default_config_static_selectorELNS0_4arch9wavefront6targetE0EEEvS12_,"axG",@progbits,_ZN7rocprim17ROCPRIM_400000_NS6detail17trampoline_kernelINS0_13select_configILj256ELj13ELNS0_17block_load_methodE3ELS4_3ELS4_3ELNS0_20block_scan_algorithmE0ELj4294967295EEENS1_25partition_config_selectorILNS1_17partition_subalgoE4EjNS0_10empty_typeEbEEZZNS1_14partition_implILS8_4ELb0ES6_15HIP_vector_typeIjLj2EENS0_17counting_iteratorIjlEEPS9_SG_NS0_5tupleIJPjSI_NS0_16reverse_iteratorISI_EEEEENSH_IJSG_SG_SG_EEES9_SI_JZNS1_25segmented_radix_sort_implINS0_14default_configELb0EPKbPbPKlPlN2at6native12_GLOBAL__N_18offset_tEEE10hipError_tPvRmT1_PNSt15iterator_traitsIS12_E10value_typeET2_T3_PNS13_IS18_E10value_typeET4_jRbjT5_S1E_jjP12ihipStream_tbEUljE_ZNSN_ISO_Lb0ESQ_SR_ST_SU_SY_EESZ_S10_S11_S12_S16_S17_S18_S1B_S1C_jS1D_jS1E_S1E_jjS1G_bEUljE0_EEESZ_S10_S11_S18_S1C_S1E_T6_T7_T9_mT8_S1G_bDpT10_ENKUlT_T0_E_clISt17integral_constantIbLb0EES1T_IbLb1EEEEDaS1P_S1Q_EUlS1P_E_NS1_11comp_targetILNS1_3genE3ELNS1_11target_archE908ELNS1_3gpuE7ELNS1_3repE0EEENS1_30default_config_static_selectorELNS0_4arch9wavefront6targetE0EEEvS12_,comdat
.Lfunc_end1598:
	.size	_ZN7rocprim17ROCPRIM_400000_NS6detail17trampoline_kernelINS0_13select_configILj256ELj13ELNS0_17block_load_methodE3ELS4_3ELS4_3ELNS0_20block_scan_algorithmE0ELj4294967295EEENS1_25partition_config_selectorILNS1_17partition_subalgoE4EjNS0_10empty_typeEbEEZZNS1_14partition_implILS8_4ELb0ES6_15HIP_vector_typeIjLj2EENS0_17counting_iteratorIjlEEPS9_SG_NS0_5tupleIJPjSI_NS0_16reverse_iteratorISI_EEEEENSH_IJSG_SG_SG_EEES9_SI_JZNS1_25segmented_radix_sort_implINS0_14default_configELb0EPKbPbPKlPlN2at6native12_GLOBAL__N_18offset_tEEE10hipError_tPvRmT1_PNSt15iterator_traitsIS12_E10value_typeET2_T3_PNS13_IS18_E10value_typeET4_jRbjT5_S1E_jjP12ihipStream_tbEUljE_ZNSN_ISO_Lb0ESQ_SR_ST_SU_SY_EESZ_S10_S11_S12_S16_S17_S18_S1B_S1C_jS1D_jS1E_S1E_jjS1G_bEUljE0_EEESZ_S10_S11_S18_S1C_S1E_T6_T7_T9_mT8_S1G_bDpT10_ENKUlT_T0_E_clISt17integral_constantIbLb0EES1T_IbLb1EEEEDaS1P_S1Q_EUlS1P_E_NS1_11comp_targetILNS1_3genE3ELNS1_11target_archE908ELNS1_3gpuE7ELNS1_3repE0EEENS1_30default_config_static_selectorELNS0_4arch9wavefront6targetE0EEEvS12_, .Lfunc_end1598-_ZN7rocprim17ROCPRIM_400000_NS6detail17trampoline_kernelINS0_13select_configILj256ELj13ELNS0_17block_load_methodE3ELS4_3ELS4_3ELNS0_20block_scan_algorithmE0ELj4294967295EEENS1_25partition_config_selectorILNS1_17partition_subalgoE4EjNS0_10empty_typeEbEEZZNS1_14partition_implILS8_4ELb0ES6_15HIP_vector_typeIjLj2EENS0_17counting_iteratorIjlEEPS9_SG_NS0_5tupleIJPjSI_NS0_16reverse_iteratorISI_EEEEENSH_IJSG_SG_SG_EEES9_SI_JZNS1_25segmented_radix_sort_implINS0_14default_configELb0EPKbPbPKlPlN2at6native12_GLOBAL__N_18offset_tEEE10hipError_tPvRmT1_PNSt15iterator_traitsIS12_E10value_typeET2_T3_PNS13_IS18_E10value_typeET4_jRbjT5_S1E_jjP12ihipStream_tbEUljE_ZNSN_ISO_Lb0ESQ_SR_ST_SU_SY_EESZ_S10_S11_S12_S16_S17_S18_S1B_S1C_jS1D_jS1E_S1E_jjS1G_bEUljE0_EEESZ_S10_S11_S18_S1C_S1E_T6_T7_T9_mT8_S1G_bDpT10_ENKUlT_T0_E_clISt17integral_constantIbLb0EES1T_IbLb1EEEEDaS1P_S1Q_EUlS1P_E_NS1_11comp_targetILNS1_3genE3ELNS1_11target_archE908ELNS1_3gpuE7ELNS1_3repE0EEENS1_30default_config_static_selectorELNS0_4arch9wavefront6targetE0EEEvS12_
                                        ; -- End function
	.set _ZN7rocprim17ROCPRIM_400000_NS6detail17trampoline_kernelINS0_13select_configILj256ELj13ELNS0_17block_load_methodE3ELS4_3ELS4_3ELNS0_20block_scan_algorithmE0ELj4294967295EEENS1_25partition_config_selectorILNS1_17partition_subalgoE4EjNS0_10empty_typeEbEEZZNS1_14partition_implILS8_4ELb0ES6_15HIP_vector_typeIjLj2EENS0_17counting_iteratorIjlEEPS9_SG_NS0_5tupleIJPjSI_NS0_16reverse_iteratorISI_EEEEENSH_IJSG_SG_SG_EEES9_SI_JZNS1_25segmented_radix_sort_implINS0_14default_configELb0EPKbPbPKlPlN2at6native12_GLOBAL__N_18offset_tEEE10hipError_tPvRmT1_PNSt15iterator_traitsIS12_E10value_typeET2_T3_PNS13_IS18_E10value_typeET4_jRbjT5_S1E_jjP12ihipStream_tbEUljE_ZNSN_ISO_Lb0ESQ_SR_ST_SU_SY_EESZ_S10_S11_S12_S16_S17_S18_S1B_S1C_jS1D_jS1E_S1E_jjS1G_bEUljE0_EEESZ_S10_S11_S18_S1C_S1E_T6_T7_T9_mT8_S1G_bDpT10_ENKUlT_T0_E_clISt17integral_constantIbLb0EES1T_IbLb1EEEEDaS1P_S1Q_EUlS1P_E_NS1_11comp_targetILNS1_3genE3ELNS1_11target_archE908ELNS1_3gpuE7ELNS1_3repE0EEENS1_30default_config_static_selectorELNS0_4arch9wavefront6targetE0EEEvS12_.num_vgpr, 0
	.set _ZN7rocprim17ROCPRIM_400000_NS6detail17trampoline_kernelINS0_13select_configILj256ELj13ELNS0_17block_load_methodE3ELS4_3ELS4_3ELNS0_20block_scan_algorithmE0ELj4294967295EEENS1_25partition_config_selectorILNS1_17partition_subalgoE4EjNS0_10empty_typeEbEEZZNS1_14partition_implILS8_4ELb0ES6_15HIP_vector_typeIjLj2EENS0_17counting_iteratorIjlEEPS9_SG_NS0_5tupleIJPjSI_NS0_16reverse_iteratorISI_EEEEENSH_IJSG_SG_SG_EEES9_SI_JZNS1_25segmented_radix_sort_implINS0_14default_configELb0EPKbPbPKlPlN2at6native12_GLOBAL__N_18offset_tEEE10hipError_tPvRmT1_PNSt15iterator_traitsIS12_E10value_typeET2_T3_PNS13_IS18_E10value_typeET4_jRbjT5_S1E_jjP12ihipStream_tbEUljE_ZNSN_ISO_Lb0ESQ_SR_ST_SU_SY_EESZ_S10_S11_S12_S16_S17_S18_S1B_S1C_jS1D_jS1E_S1E_jjS1G_bEUljE0_EEESZ_S10_S11_S18_S1C_S1E_T6_T7_T9_mT8_S1G_bDpT10_ENKUlT_T0_E_clISt17integral_constantIbLb0EES1T_IbLb1EEEEDaS1P_S1Q_EUlS1P_E_NS1_11comp_targetILNS1_3genE3ELNS1_11target_archE908ELNS1_3gpuE7ELNS1_3repE0EEENS1_30default_config_static_selectorELNS0_4arch9wavefront6targetE0EEEvS12_.num_agpr, 0
	.set _ZN7rocprim17ROCPRIM_400000_NS6detail17trampoline_kernelINS0_13select_configILj256ELj13ELNS0_17block_load_methodE3ELS4_3ELS4_3ELNS0_20block_scan_algorithmE0ELj4294967295EEENS1_25partition_config_selectorILNS1_17partition_subalgoE4EjNS0_10empty_typeEbEEZZNS1_14partition_implILS8_4ELb0ES6_15HIP_vector_typeIjLj2EENS0_17counting_iteratorIjlEEPS9_SG_NS0_5tupleIJPjSI_NS0_16reverse_iteratorISI_EEEEENSH_IJSG_SG_SG_EEES9_SI_JZNS1_25segmented_radix_sort_implINS0_14default_configELb0EPKbPbPKlPlN2at6native12_GLOBAL__N_18offset_tEEE10hipError_tPvRmT1_PNSt15iterator_traitsIS12_E10value_typeET2_T3_PNS13_IS18_E10value_typeET4_jRbjT5_S1E_jjP12ihipStream_tbEUljE_ZNSN_ISO_Lb0ESQ_SR_ST_SU_SY_EESZ_S10_S11_S12_S16_S17_S18_S1B_S1C_jS1D_jS1E_S1E_jjS1G_bEUljE0_EEESZ_S10_S11_S18_S1C_S1E_T6_T7_T9_mT8_S1G_bDpT10_ENKUlT_T0_E_clISt17integral_constantIbLb0EES1T_IbLb1EEEEDaS1P_S1Q_EUlS1P_E_NS1_11comp_targetILNS1_3genE3ELNS1_11target_archE908ELNS1_3gpuE7ELNS1_3repE0EEENS1_30default_config_static_selectorELNS0_4arch9wavefront6targetE0EEEvS12_.numbered_sgpr, 0
	.set _ZN7rocprim17ROCPRIM_400000_NS6detail17trampoline_kernelINS0_13select_configILj256ELj13ELNS0_17block_load_methodE3ELS4_3ELS4_3ELNS0_20block_scan_algorithmE0ELj4294967295EEENS1_25partition_config_selectorILNS1_17partition_subalgoE4EjNS0_10empty_typeEbEEZZNS1_14partition_implILS8_4ELb0ES6_15HIP_vector_typeIjLj2EENS0_17counting_iteratorIjlEEPS9_SG_NS0_5tupleIJPjSI_NS0_16reverse_iteratorISI_EEEEENSH_IJSG_SG_SG_EEES9_SI_JZNS1_25segmented_radix_sort_implINS0_14default_configELb0EPKbPbPKlPlN2at6native12_GLOBAL__N_18offset_tEEE10hipError_tPvRmT1_PNSt15iterator_traitsIS12_E10value_typeET2_T3_PNS13_IS18_E10value_typeET4_jRbjT5_S1E_jjP12ihipStream_tbEUljE_ZNSN_ISO_Lb0ESQ_SR_ST_SU_SY_EESZ_S10_S11_S12_S16_S17_S18_S1B_S1C_jS1D_jS1E_S1E_jjS1G_bEUljE0_EEESZ_S10_S11_S18_S1C_S1E_T6_T7_T9_mT8_S1G_bDpT10_ENKUlT_T0_E_clISt17integral_constantIbLb0EES1T_IbLb1EEEEDaS1P_S1Q_EUlS1P_E_NS1_11comp_targetILNS1_3genE3ELNS1_11target_archE908ELNS1_3gpuE7ELNS1_3repE0EEENS1_30default_config_static_selectorELNS0_4arch9wavefront6targetE0EEEvS12_.num_named_barrier, 0
	.set _ZN7rocprim17ROCPRIM_400000_NS6detail17trampoline_kernelINS0_13select_configILj256ELj13ELNS0_17block_load_methodE3ELS4_3ELS4_3ELNS0_20block_scan_algorithmE0ELj4294967295EEENS1_25partition_config_selectorILNS1_17partition_subalgoE4EjNS0_10empty_typeEbEEZZNS1_14partition_implILS8_4ELb0ES6_15HIP_vector_typeIjLj2EENS0_17counting_iteratorIjlEEPS9_SG_NS0_5tupleIJPjSI_NS0_16reverse_iteratorISI_EEEEENSH_IJSG_SG_SG_EEES9_SI_JZNS1_25segmented_radix_sort_implINS0_14default_configELb0EPKbPbPKlPlN2at6native12_GLOBAL__N_18offset_tEEE10hipError_tPvRmT1_PNSt15iterator_traitsIS12_E10value_typeET2_T3_PNS13_IS18_E10value_typeET4_jRbjT5_S1E_jjP12ihipStream_tbEUljE_ZNSN_ISO_Lb0ESQ_SR_ST_SU_SY_EESZ_S10_S11_S12_S16_S17_S18_S1B_S1C_jS1D_jS1E_S1E_jjS1G_bEUljE0_EEESZ_S10_S11_S18_S1C_S1E_T6_T7_T9_mT8_S1G_bDpT10_ENKUlT_T0_E_clISt17integral_constantIbLb0EES1T_IbLb1EEEEDaS1P_S1Q_EUlS1P_E_NS1_11comp_targetILNS1_3genE3ELNS1_11target_archE908ELNS1_3gpuE7ELNS1_3repE0EEENS1_30default_config_static_selectorELNS0_4arch9wavefront6targetE0EEEvS12_.private_seg_size, 0
	.set _ZN7rocprim17ROCPRIM_400000_NS6detail17trampoline_kernelINS0_13select_configILj256ELj13ELNS0_17block_load_methodE3ELS4_3ELS4_3ELNS0_20block_scan_algorithmE0ELj4294967295EEENS1_25partition_config_selectorILNS1_17partition_subalgoE4EjNS0_10empty_typeEbEEZZNS1_14partition_implILS8_4ELb0ES6_15HIP_vector_typeIjLj2EENS0_17counting_iteratorIjlEEPS9_SG_NS0_5tupleIJPjSI_NS0_16reverse_iteratorISI_EEEEENSH_IJSG_SG_SG_EEES9_SI_JZNS1_25segmented_radix_sort_implINS0_14default_configELb0EPKbPbPKlPlN2at6native12_GLOBAL__N_18offset_tEEE10hipError_tPvRmT1_PNSt15iterator_traitsIS12_E10value_typeET2_T3_PNS13_IS18_E10value_typeET4_jRbjT5_S1E_jjP12ihipStream_tbEUljE_ZNSN_ISO_Lb0ESQ_SR_ST_SU_SY_EESZ_S10_S11_S12_S16_S17_S18_S1B_S1C_jS1D_jS1E_S1E_jjS1G_bEUljE0_EEESZ_S10_S11_S18_S1C_S1E_T6_T7_T9_mT8_S1G_bDpT10_ENKUlT_T0_E_clISt17integral_constantIbLb0EES1T_IbLb1EEEEDaS1P_S1Q_EUlS1P_E_NS1_11comp_targetILNS1_3genE3ELNS1_11target_archE908ELNS1_3gpuE7ELNS1_3repE0EEENS1_30default_config_static_selectorELNS0_4arch9wavefront6targetE0EEEvS12_.uses_vcc, 0
	.set _ZN7rocprim17ROCPRIM_400000_NS6detail17trampoline_kernelINS0_13select_configILj256ELj13ELNS0_17block_load_methodE3ELS4_3ELS4_3ELNS0_20block_scan_algorithmE0ELj4294967295EEENS1_25partition_config_selectorILNS1_17partition_subalgoE4EjNS0_10empty_typeEbEEZZNS1_14partition_implILS8_4ELb0ES6_15HIP_vector_typeIjLj2EENS0_17counting_iteratorIjlEEPS9_SG_NS0_5tupleIJPjSI_NS0_16reverse_iteratorISI_EEEEENSH_IJSG_SG_SG_EEES9_SI_JZNS1_25segmented_radix_sort_implINS0_14default_configELb0EPKbPbPKlPlN2at6native12_GLOBAL__N_18offset_tEEE10hipError_tPvRmT1_PNSt15iterator_traitsIS12_E10value_typeET2_T3_PNS13_IS18_E10value_typeET4_jRbjT5_S1E_jjP12ihipStream_tbEUljE_ZNSN_ISO_Lb0ESQ_SR_ST_SU_SY_EESZ_S10_S11_S12_S16_S17_S18_S1B_S1C_jS1D_jS1E_S1E_jjS1G_bEUljE0_EEESZ_S10_S11_S18_S1C_S1E_T6_T7_T9_mT8_S1G_bDpT10_ENKUlT_T0_E_clISt17integral_constantIbLb0EES1T_IbLb1EEEEDaS1P_S1Q_EUlS1P_E_NS1_11comp_targetILNS1_3genE3ELNS1_11target_archE908ELNS1_3gpuE7ELNS1_3repE0EEENS1_30default_config_static_selectorELNS0_4arch9wavefront6targetE0EEEvS12_.uses_flat_scratch, 0
	.set _ZN7rocprim17ROCPRIM_400000_NS6detail17trampoline_kernelINS0_13select_configILj256ELj13ELNS0_17block_load_methodE3ELS4_3ELS4_3ELNS0_20block_scan_algorithmE0ELj4294967295EEENS1_25partition_config_selectorILNS1_17partition_subalgoE4EjNS0_10empty_typeEbEEZZNS1_14partition_implILS8_4ELb0ES6_15HIP_vector_typeIjLj2EENS0_17counting_iteratorIjlEEPS9_SG_NS0_5tupleIJPjSI_NS0_16reverse_iteratorISI_EEEEENSH_IJSG_SG_SG_EEES9_SI_JZNS1_25segmented_radix_sort_implINS0_14default_configELb0EPKbPbPKlPlN2at6native12_GLOBAL__N_18offset_tEEE10hipError_tPvRmT1_PNSt15iterator_traitsIS12_E10value_typeET2_T3_PNS13_IS18_E10value_typeET4_jRbjT5_S1E_jjP12ihipStream_tbEUljE_ZNSN_ISO_Lb0ESQ_SR_ST_SU_SY_EESZ_S10_S11_S12_S16_S17_S18_S1B_S1C_jS1D_jS1E_S1E_jjS1G_bEUljE0_EEESZ_S10_S11_S18_S1C_S1E_T6_T7_T9_mT8_S1G_bDpT10_ENKUlT_T0_E_clISt17integral_constantIbLb0EES1T_IbLb1EEEEDaS1P_S1Q_EUlS1P_E_NS1_11comp_targetILNS1_3genE3ELNS1_11target_archE908ELNS1_3gpuE7ELNS1_3repE0EEENS1_30default_config_static_selectorELNS0_4arch9wavefront6targetE0EEEvS12_.has_dyn_sized_stack, 0
	.set _ZN7rocprim17ROCPRIM_400000_NS6detail17trampoline_kernelINS0_13select_configILj256ELj13ELNS0_17block_load_methodE3ELS4_3ELS4_3ELNS0_20block_scan_algorithmE0ELj4294967295EEENS1_25partition_config_selectorILNS1_17partition_subalgoE4EjNS0_10empty_typeEbEEZZNS1_14partition_implILS8_4ELb0ES6_15HIP_vector_typeIjLj2EENS0_17counting_iteratorIjlEEPS9_SG_NS0_5tupleIJPjSI_NS0_16reverse_iteratorISI_EEEEENSH_IJSG_SG_SG_EEES9_SI_JZNS1_25segmented_radix_sort_implINS0_14default_configELb0EPKbPbPKlPlN2at6native12_GLOBAL__N_18offset_tEEE10hipError_tPvRmT1_PNSt15iterator_traitsIS12_E10value_typeET2_T3_PNS13_IS18_E10value_typeET4_jRbjT5_S1E_jjP12ihipStream_tbEUljE_ZNSN_ISO_Lb0ESQ_SR_ST_SU_SY_EESZ_S10_S11_S12_S16_S17_S18_S1B_S1C_jS1D_jS1E_S1E_jjS1G_bEUljE0_EEESZ_S10_S11_S18_S1C_S1E_T6_T7_T9_mT8_S1G_bDpT10_ENKUlT_T0_E_clISt17integral_constantIbLb0EES1T_IbLb1EEEEDaS1P_S1Q_EUlS1P_E_NS1_11comp_targetILNS1_3genE3ELNS1_11target_archE908ELNS1_3gpuE7ELNS1_3repE0EEENS1_30default_config_static_selectorELNS0_4arch9wavefront6targetE0EEEvS12_.has_recursion, 0
	.set _ZN7rocprim17ROCPRIM_400000_NS6detail17trampoline_kernelINS0_13select_configILj256ELj13ELNS0_17block_load_methodE3ELS4_3ELS4_3ELNS0_20block_scan_algorithmE0ELj4294967295EEENS1_25partition_config_selectorILNS1_17partition_subalgoE4EjNS0_10empty_typeEbEEZZNS1_14partition_implILS8_4ELb0ES6_15HIP_vector_typeIjLj2EENS0_17counting_iteratorIjlEEPS9_SG_NS0_5tupleIJPjSI_NS0_16reverse_iteratorISI_EEEEENSH_IJSG_SG_SG_EEES9_SI_JZNS1_25segmented_radix_sort_implINS0_14default_configELb0EPKbPbPKlPlN2at6native12_GLOBAL__N_18offset_tEEE10hipError_tPvRmT1_PNSt15iterator_traitsIS12_E10value_typeET2_T3_PNS13_IS18_E10value_typeET4_jRbjT5_S1E_jjP12ihipStream_tbEUljE_ZNSN_ISO_Lb0ESQ_SR_ST_SU_SY_EESZ_S10_S11_S12_S16_S17_S18_S1B_S1C_jS1D_jS1E_S1E_jjS1G_bEUljE0_EEESZ_S10_S11_S18_S1C_S1E_T6_T7_T9_mT8_S1G_bDpT10_ENKUlT_T0_E_clISt17integral_constantIbLb0EES1T_IbLb1EEEEDaS1P_S1Q_EUlS1P_E_NS1_11comp_targetILNS1_3genE3ELNS1_11target_archE908ELNS1_3gpuE7ELNS1_3repE0EEENS1_30default_config_static_selectorELNS0_4arch9wavefront6targetE0EEEvS12_.has_indirect_call, 0
	.section	.AMDGPU.csdata,"",@progbits
; Kernel info:
; codeLenInByte = 0
; TotalNumSgprs: 0
; NumVgprs: 0
; ScratchSize: 0
; MemoryBound: 0
; FloatMode: 240
; IeeeMode: 1
; LDSByteSize: 0 bytes/workgroup (compile time only)
; SGPRBlocks: 0
; VGPRBlocks: 0
; NumSGPRsForWavesPerEU: 1
; NumVGPRsForWavesPerEU: 1
; Occupancy: 16
; WaveLimiterHint : 0
; COMPUTE_PGM_RSRC2:SCRATCH_EN: 0
; COMPUTE_PGM_RSRC2:USER_SGPR: 2
; COMPUTE_PGM_RSRC2:TRAP_HANDLER: 0
; COMPUTE_PGM_RSRC2:TGID_X_EN: 1
; COMPUTE_PGM_RSRC2:TGID_Y_EN: 0
; COMPUTE_PGM_RSRC2:TGID_Z_EN: 0
; COMPUTE_PGM_RSRC2:TIDIG_COMP_CNT: 0
	.section	.text._ZN7rocprim17ROCPRIM_400000_NS6detail17trampoline_kernelINS0_13select_configILj256ELj13ELNS0_17block_load_methodE3ELS4_3ELS4_3ELNS0_20block_scan_algorithmE0ELj4294967295EEENS1_25partition_config_selectorILNS1_17partition_subalgoE4EjNS0_10empty_typeEbEEZZNS1_14partition_implILS8_4ELb0ES6_15HIP_vector_typeIjLj2EENS0_17counting_iteratorIjlEEPS9_SG_NS0_5tupleIJPjSI_NS0_16reverse_iteratorISI_EEEEENSH_IJSG_SG_SG_EEES9_SI_JZNS1_25segmented_radix_sort_implINS0_14default_configELb0EPKbPbPKlPlN2at6native12_GLOBAL__N_18offset_tEEE10hipError_tPvRmT1_PNSt15iterator_traitsIS12_E10value_typeET2_T3_PNS13_IS18_E10value_typeET4_jRbjT5_S1E_jjP12ihipStream_tbEUljE_ZNSN_ISO_Lb0ESQ_SR_ST_SU_SY_EESZ_S10_S11_S12_S16_S17_S18_S1B_S1C_jS1D_jS1E_S1E_jjS1G_bEUljE0_EEESZ_S10_S11_S18_S1C_S1E_T6_T7_T9_mT8_S1G_bDpT10_ENKUlT_T0_E_clISt17integral_constantIbLb0EES1T_IbLb1EEEEDaS1P_S1Q_EUlS1P_E_NS1_11comp_targetILNS1_3genE2ELNS1_11target_archE906ELNS1_3gpuE6ELNS1_3repE0EEENS1_30default_config_static_selectorELNS0_4arch9wavefront6targetE0EEEvS12_,"axG",@progbits,_ZN7rocprim17ROCPRIM_400000_NS6detail17trampoline_kernelINS0_13select_configILj256ELj13ELNS0_17block_load_methodE3ELS4_3ELS4_3ELNS0_20block_scan_algorithmE0ELj4294967295EEENS1_25partition_config_selectorILNS1_17partition_subalgoE4EjNS0_10empty_typeEbEEZZNS1_14partition_implILS8_4ELb0ES6_15HIP_vector_typeIjLj2EENS0_17counting_iteratorIjlEEPS9_SG_NS0_5tupleIJPjSI_NS0_16reverse_iteratorISI_EEEEENSH_IJSG_SG_SG_EEES9_SI_JZNS1_25segmented_radix_sort_implINS0_14default_configELb0EPKbPbPKlPlN2at6native12_GLOBAL__N_18offset_tEEE10hipError_tPvRmT1_PNSt15iterator_traitsIS12_E10value_typeET2_T3_PNS13_IS18_E10value_typeET4_jRbjT5_S1E_jjP12ihipStream_tbEUljE_ZNSN_ISO_Lb0ESQ_SR_ST_SU_SY_EESZ_S10_S11_S12_S16_S17_S18_S1B_S1C_jS1D_jS1E_S1E_jjS1G_bEUljE0_EEESZ_S10_S11_S18_S1C_S1E_T6_T7_T9_mT8_S1G_bDpT10_ENKUlT_T0_E_clISt17integral_constantIbLb0EES1T_IbLb1EEEEDaS1P_S1Q_EUlS1P_E_NS1_11comp_targetILNS1_3genE2ELNS1_11target_archE906ELNS1_3gpuE6ELNS1_3repE0EEENS1_30default_config_static_selectorELNS0_4arch9wavefront6targetE0EEEvS12_,comdat
	.globl	_ZN7rocprim17ROCPRIM_400000_NS6detail17trampoline_kernelINS0_13select_configILj256ELj13ELNS0_17block_load_methodE3ELS4_3ELS4_3ELNS0_20block_scan_algorithmE0ELj4294967295EEENS1_25partition_config_selectorILNS1_17partition_subalgoE4EjNS0_10empty_typeEbEEZZNS1_14partition_implILS8_4ELb0ES6_15HIP_vector_typeIjLj2EENS0_17counting_iteratorIjlEEPS9_SG_NS0_5tupleIJPjSI_NS0_16reverse_iteratorISI_EEEEENSH_IJSG_SG_SG_EEES9_SI_JZNS1_25segmented_radix_sort_implINS0_14default_configELb0EPKbPbPKlPlN2at6native12_GLOBAL__N_18offset_tEEE10hipError_tPvRmT1_PNSt15iterator_traitsIS12_E10value_typeET2_T3_PNS13_IS18_E10value_typeET4_jRbjT5_S1E_jjP12ihipStream_tbEUljE_ZNSN_ISO_Lb0ESQ_SR_ST_SU_SY_EESZ_S10_S11_S12_S16_S17_S18_S1B_S1C_jS1D_jS1E_S1E_jjS1G_bEUljE0_EEESZ_S10_S11_S18_S1C_S1E_T6_T7_T9_mT8_S1G_bDpT10_ENKUlT_T0_E_clISt17integral_constantIbLb0EES1T_IbLb1EEEEDaS1P_S1Q_EUlS1P_E_NS1_11comp_targetILNS1_3genE2ELNS1_11target_archE906ELNS1_3gpuE6ELNS1_3repE0EEENS1_30default_config_static_selectorELNS0_4arch9wavefront6targetE0EEEvS12_ ; -- Begin function _ZN7rocprim17ROCPRIM_400000_NS6detail17trampoline_kernelINS0_13select_configILj256ELj13ELNS0_17block_load_methodE3ELS4_3ELS4_3ELNS0_20block_scan_algorithmE0ELj4294967295EEENS1_25partition_config_selectorILNS1_17partition_subalgoE4EjNS0_10empty_typeEbEEZZNS1_14partition_implILS8_4ELb0ES6_15HIP_vector_typeIjLj2EENS0_17counting_iteratorIjlEEPS9_SG_NS0_5tupleIJPjSI_NS0_16reverse_iteratorISI_EEEEENSH_IJSG_SG_SG_EEES9_SI_JZNS1_25segmented_radix_sort_implINS0_14default_configELb0EPKbPbPKlPlN2at6native12_GLOBAL__N_18offset_tEEE10hipError_tPvRmT1_PNSt15iterator_traitsIS12_E10value_typeET2_T3_PNS13_IS18_E10value_typeET4_jRbjT5_S1E_jjP12ihipStream_tbEUljE_ZNSN_ISO_Lb0ESQ_SR_ST_SU_SY_EESZ_S10_S11_S12_S16_S17_S18_S1B_S1C_jS1D_jS1E_S1E_jjS1G_bEUljE0_EEESZ_S10_S11_S18_S1C_S1E_T6_T7_T9_mT8_S1G_bDpT10_ENKUlT_T0_E_clISt17integral_constantIbLb0EES1T_IbLb1EEEEDaS1P_S1Q_EUlS1P_E_NS1_11comp_targetILNS1_3genE2ELNS1_11target_archE906ELNS1_3gpuE6ELNS1_3repE0EEENS1_30default_config_static_selectorELNS0_4arch9wavefront6targetE0EEEvS12_
	.p2align	8
	.type	_ZN7rocprim17ROCPRIM_400000_NS6detail17trampoline_kernelINS0_13select_configILj256ELj13ELNS0_17block_load_methodE3ELS4_3ELS4_3ELNS0_20block_scan_algorithmE0ELj4294967295EEENS1_25partition_config_selectorILNS1_17partition_subalgoE4EjNS0_10empty_typeEbEEZZNS1_14partition_implILS8_4ELb0ES6_15HIP_vector_typeIjLj2EENS0_17counting_iteratorIjlEEPS9_SG_NS0_5tupleIJPjSI_NS0_16reverse_iteratorISI_EEEEENSH_IJSG_SG_SG_EEES9_SI_JZNS1_25segmented_radix_sort_implINS0_14default_configELb0EPKbPbPKlPlN2at6native12_GLOBAL__N_18offset_tEEE10hipError_tPvRmT1_PNSt15iterator_traitsIS12_E10value_typeET2_T3_PNS13_IS18_E10value_typeET4_jRbjT5_S1E_jjP12ihipStream_tbEUljE_ZNSN_ISO_Lb0ESQ_SR_ST_SU_SY_EESZ_S10_S11_S12_S16_S17_S18_S1B_S1C_jS1D_jS1E_S1E_jjS1G_bEUljE0_EEESZ_S10_S11_S18_S1C_S1E_T6_T7_T9_mT8_S1G_bDpT10_ENKUlT_T0_E_clISt17integral_constantIbLb0EES1T_IbLb1EEEEDaS1P_S1Q_EUlS1P_E_NS1_11comp_targetILNS1_3genE2ELNS1_11target_archE906ELNS1_3gpuE6ELNS1_3repE0EEENS1_30default_config_static_selectorELNS0_4arch9wavefront6targetE0EEEvS12_,@function
_ZN7rocprim17ROCPRIM_400000_NS6detail17trampoline_kernelINS0_13select_configILj256ELj13ELNS0_17block_load_methodE3ELS4_3ELS4_3ELNS0_20block_scan_algorithmE0ELj4294967295EEENS1_25partition_config_selectorILNS1_17partition_subalgoE4EjNS0_10empty_typeEbEEZZNS1_14partition_implILS8_4ELb0ES6_15HIP_vector_typeIjLj2EENS0_17counting_iteratorIjlEEPS9_SG_NS0_5tupleIJPjSI_NS0_16reverse_iteratorISI_EEEEENSH_IJSG_SG_SG_EEES9_SI_JZNS1_25segmented_radix_sort_implINS0_14default_configELb0EPKbPbPKlPlN2at6native12_GLOBAL__N_18offset_tEEE10hipError_tPvRmT1_PNSt15iterator_traitsIS12_E10value_typeET2_T3_PNS13_IS18_E10value_typeET4_jRbjT5_S1E_jjP12ihipStream_tbEUljE_ZNSN_ISO_Lb0ESQ_SR_ST_SU_SY_EESZ_S10_S11_S12_S16_S17_S18_S1B_S1C_jS1D_jS1E_S1E_jjS1G_bEUljE0_EEESZ_S10_S11_S18_S1C_S1E_T6_T7_T9_mT8_S1G_bDpT10_ENKUlT_T0_E_clISt17integral_constantIbLb0EES1T_IbLb1EEEEDaS1P_S1Q_EUlS1P_E_NS1_11comp_targetILNS1_3genE2ELNS1_11target_archE906ELNS1_3gpuE6ELNS1_3repE0EEENS1_30default_config_static_selectorELNS0_4arch9wavefront6targetE0EEEvS12_: ; @_ZN7rocprim17ROCPRIM_400000_NS6detail17trampoline_kernelINS0_13select_configILj256ELj13ELNS0_17block_load_methodE3ELS4_3ELS4_3ELNS0_20block_scan_algorithmE0ELj4294967295EEENS1_25partition_config_selectorILNS1_17partition_subalgoE4EjNS0_10empty_typeEbEEZZNS1_14partition_implILS8_4ELb0ES6_15HIP_vector_typeIjLj2EENS0_17counting_iteratorIjlEEPS9_SG_NS0_5tupleIJPjSI_NS0_16reverse_iteratorISI_EEEEENSH_IJSG_SG_SG_EEES9_SI_JZNS1_25segmented_radix_sort_implINS0_14default_configELb0EPKbPbPKlPlN2at6native12_GLOBAL__N_18offset_tEEE10hipError_tPvRmT1_PNSt15iterator_traitsIS12_E10value_typeET2_T3_PNS13_IS18_E10value_typeET4_jRbjT5_S1E_jjP12ihipStream_tbEUljE_ZNSN_ISO_Lb0ESQ_SR_ST_SU_SY_EESZ_S10_S11_S12_S16_S17_S18_S1B_S1C_jS1D_jS1E_S1E_jjS1G_bEUljE0_EEESZ_S10_S11_S18_S1C_S1E_T6_T7_T9_mT8_S1G_bDpT10_ENKUlT_T0_E_clISt17integral_constantIbLb0EES1T_IbLb1EEEEDaS1P_S1Q_EUlS1P_E_NS1_11comp_targetILNS1_3genE2ELNS1_11target_archE906ELNS1_3gpuE6ELNS1_3repE0EEENS1_30default_config_static_selectorELNS0_4arch9wavefront6targetE0EEEvS12_
; %bb.0:
	.section	.rodata,"a",@progbits
	.p2align	6, 0x0
	.amdhsa_kernel _ZN7rocprim17ROCPRIM_400000_NS6detail17trampoline_kernelINS0_13select_configILj256ELj13ELNS0_17block_load_methodE3ELS4_3ELS4_3ELNS0_20block_scan_algorithmE0ELj4294967295EEENS1_25partition_config_selectorILNS1_17partition_subalgoE4EjNS0_10empty_typeEbEEZZNS1_14partition_implILS8_4ELb0ES6_15HIP_vector_typeIjLj2EENS0_17counting_iteratorIjlEEPS9_SG_NS0_5tupleIJPjSI_NS0_16reverse_iteratorISI_EEEEENSH_IJSG_SG_SG_EEES9_SI_JZNS1_25segmented_radix_sort_implINS0_14default_configELb0EPKbPbPKlPlN2at6native12_GLOBAL__N_18offset_tEEE10hipError_tPvRmT1_PNSt15iterator_traitsIS12_E10value_typeET2_T3_PNS13_IS18_E10value_typeET4_jRbjT5_S1E_jjP12ihipStream_tbEUljE_ZNSN_ISO_Lb0ESQ_SR_ST_SU_SY_EESZ_S10_S11_S12_S16_S17_S18_S1B_S1C_jS1D_jS1E_S1E_jjS1G_bEUljE0_EEESZ_S10_S11_S18_S1C_S1E_T6_T7_T9_mT8_S1G_bDpT10_ENKUlT_T0_E_clISt17integral_constantIbLb0EES1T_IbLb1EEEEDaS1P_S1Q_EUlS1P_E_NS1_11comp_targetILNS1_3genE2ELNS1_11target_archE906ELNS1_3gpuE6ELNS1_3repE0EEENS1_30default_config_static_selectorELNS0_4arch9wavefront6targetE0EEEvS12_
		.amdhsa_group_segment_fixed_size 0
		.amdhsa_private_segment_fixed_size 0
		.amdhsa_kernarg_size 184
		.amdhsa_user_sgpr_count 2
		.amdhsa_user_sgpr_dispatch_ptr 0
		.amdhsa_user_sgpr_queue_ptr 0
		.amdhsa_user_sgpr_kernarg_segment_ptr 1
		.amdhsa_user_sgpr_dispatch_id 0
		.amdhsa_user_sgpr_private_segment_size 0
		.amdhsa_wavefront_size32 1
		.amdhsa_uses_dynamic_stack 0
		.amdhsa_enable_private_segment 0
		.amdhsa_system_sgpr_workgroup_id_x 1
		.amdhsa_system_sgpr_workgroup_id_y 0
		.amdhsa_system_sgpr_workgroup_id_z 0
		.amdhsa_system_sgpr_workgroup_info 0
		.amdhsa_system_vgpr_workitem_id 0
		.amdhsa_next_free_vgpr 1
		.amdhsa_next_free_sgpr 1
		.amdhsa_reserve_vcc 0
		.amdhsa_float_round_mode_32 0
		.amdhsa_float_round_mode_16_64 0
		.amdhsa_float_denorm_mode_32 3
		.amdhsa_float_denorm_mode_16_64 3
		.amdhsa_fp16_overflow 0
		.amdhsa_workgroup_processor_mode 1
		.amdhsa_memory_ordered 1
		.amdhsa_forward_progress 1
		.amdhsa_inst_pref_size 0
		.amdhsa_round_robin_scheduling 0
		.amdhsa_exception_fp_ieee_invalid_op 0
		.amdhsa_exception_fp_denorm_src 0
		.amdhsa_exception_fp_ieee_div_zero 0
		.amdhsa_exception_fp_ieee_overflow 0
		.amdhsa_exception_fp_ieee_underflow 0
		.amdhsa_exception_fp_ieee_inexact 0
		.amdhsa_exception_int_div_zero 0
	.end_amdhsa_kernel
	.section	.text._ZN7rocprim17ROCPRIM_400000_NS6detail17trampoline_kernelINS0_13select_configILj256ELj13ELNS0_17block_load_methodE3ELS4_3ELS4_3ELNS0_20block_scan_algorithmE0ELj4294967295EEENS1_25partition_config_selectorILNS1_17partition_subalgoE4EjNS0_10empty_typeEbEEZZNS1_14partition_implILS8_4ELb0ES6_15HIP_vector_typeIjLj2EENS0_17counting_iteratorIjlEEPS9_SG_NS0_5tupleIJPjSI_NS0_16reverse_iteratorISI_EEEEENSH_IJSG_SG_SG_EEES9_SI_JZNS1_25segmented_radix_sort_implINS0_14default_configELb0EPKbPbPKlPlN2at6native12_GLOBAL__N_18offset_tEEE10hipError_tPvRmT1_PNSt15iterator_traitsIS12_E10value_typeET2_T3_PNS13_IS18_E10value_typeET4_jRbjT5_S1E_jjP12ihipStream_tbEUljE_ZNSN_ISO_Lb0ESQ_SR_ST_SU_SY_EESZ_S10_S11_S12_S16_S17_S18_S1B_S1C_jS1D_jS1E_S1E_jjS1G_bEUljE0_EEESZ_S10_S11_S18_S1C_S1E_T6_T7_T9_mT8_S1G_bDpT10_ENKUlT_T0_E_clISt17integral_constantIbLb0EES1T_IbLb1EEEEDaS1P_S1Q_EUlS1P_E_NS1_11comp_targetILNS1_3genE2ELNS1_11target_archE906ELNS1_3gpuE6ELNS1_3repE0EEENS1_30default_config_static_selectorELNS0_4arch9wavefront6targetE0EEEvS12_,"axG",@progbits,_ZN7rocprim17ROCPRIM_400000_NS6detail17trampoline_kernelINS0_13select_configILj256ELj13ELNS0_17block_load_methodE3ELS4_3ELS4_3ELNS0_20block_scan_algorithmE0ELj4294967295EEENS1_25partition_config_selectorILNS1_17partition_subalgoE4EjNS0_10empty_typeEbEEZZNS1_14partition_implILS8_4ELb0ES6_15HIP_vector_typeIjLj2EENS0_17counting_iteratorIjlEEPS9_SG_NS0_5tupleIJPjSI_NS0_16reverse_iteratorISI_EEEEENSH_IJSG_SG_SG_EEES9_SI_JZNS1_25segmented_radix_sort_implINS0_14default_configELb0EPKbPbPKlPlN2at6native12_GLOBAL__N_18offset_tEEE10hipError_tPvRmT1_PNSt15iterator_traitsIS12_E10value_typeET2_T3_PNS13_IS18_E10value_typeET4_jRbjT5_S1E_jjP12ihipStream_tbEUljE_ZNSN_ISO_Lb0ESQ_SR_ST_SU_SY_EESZ_S10_S11_S12_S16_S17_S18_S1B_S1C_jS1D_jS1E_S1E_jjS1G_bEUljE0_EEESZ_S10_S11_S18_S1C_S1E_T6_T7_T9_mT8_S1G_bDpT10_ENKUlT_T0_E_clISt17integral_constantIbLb0EES1T_IbLb1EEEEDaS1P_S1Q_EUlS1P_E_NS1_11comp_targetILNS1_3genE2ELNS1_11target_archE906ELNS1_3gpuE6ELNS1_3repE0EEENS1_30default_config_static_selectorELNS0_4arch9wavefront6targetE0EEEvS12_,comdat
.Lfunc_end1599:
	.size	_ZN7rocprim17ROCPRIM_400000_NS6detail17trampoline_kernelINS0_13select_configILj256ELj13ELNS0_17block_load_methodE3ELS4_3ELS4_3ELNS0_20block_scan_algorithmE0ELj4294967295EEENS1_25partition_config_selectorILNS1_17partition_subalgoE4EjNS0_10empty_typeEbEEZZNS1_14partition_implILS8_4ELb0ES6_15HIP_vector_typeIjLj2EENS0_17counting_iteratorIjlEEPS9_SG_NS0_5tupleIJPjSI_NS0_16reverse_iteratorISI_EEEEENSH_IJSG_SG_SG_EEES9_SI_JZNS1_25segmented_radix_sort_implINS0_14default_configELb0EPKbPbPKlPlN2at6native12_GLOBAL__N_18offset_tEEE10hipError_tPvRmT1_PNSt15iterator_traitsIS12_E10value_typeET2_T3_PNS13_IS18_E10value_typeET4_jRbjT5_S1E_jjP12ihipStream_tbEUljE_ZNSN_ISO_Lb0ESQ_SR_ST_SU_SY_EESZ_S10_S11_S12_S16_S17_S18_S1B_S1C_jS1D_jS1E_S1E_jjS1G_bEUljE0_EEESZ_S10_S11_S18_S1C_S1E_T6_T7_T9_mT8_S1G_bDpT10_ENKUlT_T0_E_clISt17integral_constantIbLb0EES1T_IbLb1EEEEDaS1P_S1Q_EUlS1P_E_NS1_11comp_targetILNS1_3genE2ELNS1_11target_archE906ELNS1_3gpuE6ELNS1_3repE0EEENS1_30default_config_static_selectorELNS0_4arch9wavefront6targetE0EEEvS12_, .Lfunc_end1599-_ZN7rocprim17ROCPRIM_400000_NS6detail17trampoline_kernelINS0_13select_configILj256ELj13ELNS0_17block_load_methodE3ELS4_3ELS4_3ELNS0_20block_scan_algorithmE0ELj4294967295EEENS1_25partition_config_selectorILNS1_17partition_subalgoE4EjNS0_10empty_typeEbEEZZNS1_14partition_implILS8_4ELb0ES6_15HIP_vector_typeIjLj2EENS0_17counting_iteratorIjlEEPS9_SG_NS0_5tupleIJPjSI_NS0_16reverse_iteratorISI_EEEEENSH_IJSG_SG_SG_EEES9_SI_JZNS1_25segmented_radix_sort_implINS0_14default_configELb0EPKbPbPKlPlN2at6native12_GLOBAL__N_18offset_tEEE10hipError_tPvRmT1_PNSt15iterator_traitsIS12_E10value_typeET2_T3_PNS13_IS18_E10value_typeET4_jRbjT5_S1E_jjP12ihipStream_tbEUljE_ZNSN_ISO_Lb0ESQ_SR_ST_SU_SY_EESZ_S10_S11_S12_S16_S17_S18_S1B_S1C_jS1D_jS1E_S1E_jjS1G_bEUljE0_EEESZ_S10_S11_S18_S1C_S1E_T6_T7_T9_mT8_S1G_bDpT10_ENKUlT_T0_E_clISt17integral_constantIbLb0EES1T_IbLb1EEEEDaS1P_S1Q_EUlS1P_E_NS1_11comp_targetILNS1_3genE2ELNS1_11target_archE906ELNS1_3gpuE6ELNS1_3repE0EEENS1_30default_config_static_selectorELNS0_4arch9wavefront6targetE0EEEvS12_
                                        ; -- End function
	.set _ZN7rocprim17ROCPRIM_400000_NS6detail17trampoline_kernelINS0_13select_configILj256ELj13ELNS0_17block_load_methodE3ELS4_3ELS4_3ELNS0_20block_scan_algorithmE0ELj4294967295EEENS1_25partition_config_selectorILNS1_17partition_subalgoE4EjNS0_10empty_typeEbEEZZNS1_14partition_implILS8_4ELb0ES6_15HIP_vector_typeIjLj2EENS0_17counting_iteratorIjlEEPS9_SG_NS0_5tupleIJPjSI_NS0_16reverse_iteratorISI_EEEEENSH_IJSG_SG_SG_EEES9_SI_JZNS1_25segmented_radix_sort_implINS0_14default_configELb0EPKbPbPKlPlN2at6native12_GLOBAL__N_18offset_tEEE10hipError_tPvRmT1_PNSt15iterator_traitsIS12_E10value_typeET2_T3_PNS13_IS18_E10value_typeET4_jRbjT5_S1E_jjP12ihipStream_tbEUljE_ZNSN_ISO_Lb0ESQ_SR_ST_SU_SY_EESZ_S10_S11_S12_S16_S17_S18_S1B_S1C_jS1D_jS1E_S1E_jjS1G_bEUljE0_EEESZ_S10_S11_S18_S1C_S1E_T6_T7_T9_mT8_S1G_bDpT10_ENKUlT_T0_E_clISt17integral_constantIbLb0EES1T_IbLb1EEEEDaS1P_S1Q_EUlS1P_E_NS1_11comp_targetILNS1_3genE2ELNS1_11target_archE906ELNS1_3gpuE6ELNS1_3repE0EEENS1_30default_config_static_selectorELNS0_4arch9wavefront6targetE0EEEvS12_.num_vgpr, 0
	.set _ZN7rocprim17ROCPRIM_400000_NS6detail17trampoline_kernelINS0_13select_configILj256ELj13ELNS0_17block_load_methodE3ELS4_3ELS4_3ELNS0_20block_scan_algorithmE0ELj4294967295EEENS1_25partition_config_selectorILNS1_17partition_subalgoE4EjNS0_10empty_typeEbEEZZNS1_14partition_implILS8_4ELb0ES6_15HIP_vector_typeIjLj2EENS0_17counting_iteratorIjlEEPS9_SG_NS0_5tupleIJPjSI_NS0_16reverse_iteratorISI_EEEEENSH_IJSG_SG_SG_EEES9_SI_JZNS1_25segmented_radix_sort_implINS0_14default_configELb0EPKbPbPKlPlN2at6native12_GLOBAL__N_18offset_tEEE10hipError_tPvRmT1_PNSt15iterator_traitsIS12_E10value_typeET2_T3_PNS13_IS18_E10value_typeET4_jRbjT5_S1E_jjP12ihipStream_tbEUljE_ZNSN_ISO_Lb0ESQ_SR_ST_SU_SY_EESZ_S10_S11_S12_S16_S17_S18_S1B_S1C_jS1D_jS1E_S1E_jjS1G_bEUljE0_EEESZ_S10_S11_S18_S1C_S1E_T6_T7_T9_mT8_S1G_bDpT10_ENKUlT_T0_E_clISt17integral_constantIbLb0EES1T_IbLb1EEEEDaS1P_S1Q_EUlS1P_E_NS1_11comp_targetILNS1_3genE2ELNS1_11target_archE906ELNS1_3gpuE6ELNS1_3repE0EEENS1_30default_config_static_selectorELNS0_4arch9wavefront6targetE0EEEvS12_.num_agpr, 0
	.set _ZN7rocprim17ROCPRIM_400000_NS6detail17trampoline_kernelINS0_13select_configILj256ELj13ELNS0_17block_load_methodE3ELS4_3ELS4_3ELNS0_20block_scan_algorithmE0ELj4294967295EEENS1_25partition_config_selectorILNS1_17partition_subalgoE4EjNS0_10empty_typeEbEEZZNS1_14partition_implILS8_4ELb0ES6_15HIP_vector_typeIjLj2EENS0_17counting_iteratorIjlEEPS9_SG_NS0_5tupleIJPjSI_NS0_16reverse_iteratorISI_EEEEENSH_IJSG_SG_SG_EEES9_SI_JZNS1_25segmented_radix_sort_implINS0_14default_configELb0EPKbPbPKlPlN2at6native12_GLOBAL__N_18offset_tEEE10hipError_tPvRmT1_PNSt15iterator_traitsIS12_E10value_typeET2_T3_PNS13_IS18_E10value_typeET4_jRbjT5_S1E_jjP12ihipStream_tbEUljE_ZNSN_ISO_Lb0ESQ_SR_ST_SU_SY_EESZ_S10_S11_S12_S16_S17_S18_S1B_S1C_jS1D_jS1E_S1E_jjS1G_bEUljE0_EEESZ_S10_S11_S18_S1C_S1E_T6_T7_T9_mT8_S1G_bDpT10_ENKUlT_T0_E_clISt17integral_constantIbLb0EES1T_IbLb1EEEEDaS1P_S1Q_EUlS1P_E_NS1_11comp_targetILNS1_3genE2ELNS1_11target_archE906ELNS1_3gpuE6ELNS1_3repE0EEENS1_30default_config_static_selectorELNS0_4arch9wavefront6targetE0EEEvS12_.numbered_sgpr, 0
	.set _ZN7rocprim17ROCPRIM_400000_NS6detail17trampoline_kernelINS0_13select_configILj256ELj13ELNS0_17block_load_methodE3ELS4_3ELS4_3ELNS0_20block_scan_algorithmE0ELj4294967295EEENS1_25partition_config_selectorILNS1_17partition_subalgoE4EjNS0_10empty_typeEbEEZZNS1_14partition_implILS8_4ELb0ES6_15HIP_vector_typeIjLj2EENS0_17counting_iteratorIjlEEPS9_SG_NS0_5tupleIJPjSI_NS0_16reverse_iteratorISI_EEEEENSH_IJSG_SG_SG_EEES9_SI_JZNS1_25segmented_radix_sort_implINS0_14default_configELb0EPKbPbPKlPlN2at6native12_GLOBAL__N_18offset_tEEE10hipError_tPvRmT1_PNSt15iterator_traitsIS12_E10value_typeET2_T3_PNS13_IS18_E10value_typeET4_jRbjT5_S1E_jjP12ihipStream_tbEUljE_ZNSN_ISO_Lb0ESQ_SR_ST_SU_SY_EESZ_S10_S11_S12_S16_S17_S18_S1B_S1C_jS1D_jS1E_S1E_jjS1G_bEUljE0_EEESZ_S10_S11_S18_S1C_S1E_T6_T7_T9_mT8_S1G_bDpT10_ENKUlT_T0_E_clISt17integral_constantIbLb0EES1T_IbLb1EEEEDaS1P_S1Q_EUlS1P_E_NS1_11comp_targetILNS1_3genE2ELNS1_11target_archE906ELNS1_3gpuE6ELNS1_3repE0EEENS1_30default_config_static_selectorELNS0_4arch9wavefront6targetE0EEEvS12_.num_named_barrier, 0
	.set _ZN7rocprim17ROCPRIM_400000_NS6detail17trampoline_kernelINS0_13select_configILj256ELj13ELNS0_17block_load_methodE3ELS4_3ELS4_3ELNS0_20block_scan_algorithmE0ELj4294967295EEENS1_25partition_config_selectorILNS1_17partition_subalgoE4EjNS0_10empty_typeEbEEZZNS1_14partition_implILS8_4ELb0ES6_15HIP_vector_typeIjLj2EENS0_17counting_iteratorIjlEEPS9_SG_NS0_5tupleIJPjSI_NS0_16reverse_iteratorISI_EEEEENSH_IJSG_SG_SG_EEES9_SI_JZNS1_25segmented_radix_sort_implINS0_14default_configELb0EPKbPbPKlPlN2at6native12_GLOBAL__N_18offset_tEEE10hipError_tPvRmT1_PNSt15iterator_traitsIS12_E10value_typeET2_T3_PNS13_IS18_E10value_typeET4_jRbjT5_S1E_jjP12ihipStream_tbEUljE_ZNSN_ISO_Lb0ESQ_SR_ST_SU_SY_EESZ_S10_S11_S12_S16_S17_S18_S1B_S1C_jS1D_jS1E_S1E_jjS1G_bEUljE0_EEESZ_S10_S11_S18_S1C_S1E_T6_T7_T9_mT8_S1G_bDpT10_ENKUlT_T0_E_clISt17integral_constantIbLb0EES1T_IbLb1EEEEDaS1P_S1Q_EUlS1P_E_NS1_11comp_targetILNS1_3genE2ELNS1_11target_archE906ELNS1_3gpuE6ELNS1_3repE0EEENS1_30default_config_static_selectorELNS0_4arch9wavefront6targetE0EEEvS12_.private_seg_size, 0
	.set _ZN7rocprim17ROCPRIM_400000_NS6detail17trampoline_kernelINS0_13select_configILj256ELj13ELNS0_17block_load_methodE3ELS4_3ELS4_3ELNS0_20block_scan_algorithmE0ELj4294967295EEENS1_25partition_config_selectorILNS1_17partition_subalgoE4EjNS0_10empty_typeEbEEZZNS1_14partition_implILS8_4ELb0ES6_15HIP_vector_typeIjLj2EENS0_17counting_iteratorIjlEEPS9_SG_NS0_5tupleIJPjSI_NS0_16reverse_iteratorISI_EEEEENSH_IJSG_SG_SG_EEES9_SI_JZNS1_25segmented_radix_sort_implINS0_14default_configELb0EPKbPbPKlPlN2at6native12_GLOBAL__N_18offset_tEEE10hipError_tPvRmT1_PNSt15iterator_traitsIS12_E10value_typeET2_T3_PNS13_IS18_E10value_typeET4_jRbjT5_S1E_jjP12ihipStream_tbEUljE_ZNSN_ISO_Lb0ESQ_SR_ST_SU_SY_EESZ_S10_S11_S12_S16_S17_S18_S1B_S1C_jS1D_jS1E_S1E_jjS1G_bEUljE0_EEESZ_S10_S11_S18_S1C_S1E_T6_T7_T9_mT8_S1G_bDpT10_ENKUlT_T0_E_clISt17integral_constantIbLb0EES1T_IbLb1EEEEDaS1P_S1Q_EUlS1P_E_NS1_11comp_targetILNS1_3genE2ELNS1_11target_archE906ELNS1_3gpuE6ELNS1_3repE0EEENS1_30default_config_static_selectorELNS0_4arch9wavefront6targetE0EEEvS12_.uses_vcc, 0
	.set _ZN7rocprim17ROCPRIM_400000_NS6detail17trampoline_kernelINS0_13select_configILj256ELj13ELNS0_17block_load_methodE3ELS4_3ELS4_3ELNS0_20block_scan_algorithmE0ELj4294967295EEENS1_25partition_config_selectorILNS1_17partition_subalgoE4EjNS0_10empty_typeEbEEZZNS1_14partition_implILS8_4ELb0ES6_15HIP_vector_typeIjLj2EENS0_17counting_iteratorIjlEEPS9_SG_NS0_5tupleIJPjSI_NS0_16reverse_iteratorISI_EEEEENSH_IJSG_SG_SG_EEES9_SI_JZNS1_25segmented_radix_sort_implINS0_14default_configELb0EPKbPbPKlPlN2at6native12_GLOBAL__N_18offset_tEEE10hipError_tPvRmT1_PNSt15iterator_traitsIS12_E10value_typeET2_T3_PNS13_IS18_E10value_typeET4_jRbjT5_S1E_jjP12ihipStream_tbEUljE_ZNSN_ISO_Lb0ESQ_SR_ST_SU_SY_EESZ_S10_S11_S12_S16_S17_S18_S1B_S1C_jS1D_jS1E_S1E_jjS1G_bEUljE0_EEESZ_S10_S11_S18_S1C_S1E_T6_T7_T9_mT8_S1G_bDpT10_ENKUlT_T0_E_clISt17integral_constantIbLb0EES1T_IbLb1EEEEDaS1P_S1Q_EUlS1P_E_NS1_11comp_targetILNS1_3genE2ELNS1_11target_archE906ELNS1_3gpuE6ELNS1_3repE0EEENS1_30default_config_static_selectorELNS0_4arch9wavefront6targetE0EEEvS12_.uses_flat_scratch, 0
	.set _ZN7rocprim17ROCPRIM_400000_NS6detail17trampoline_kernelINS0_13select_configILj256ELj13ELNS0_17block_load_methodE3ELS4_3ELS4_3ELNS0_20block_scan_algorithmE0ELj4294967295EEENS1_25partition_config_selectorILNS1_17partition_subalgoE4EjNS0_10empty_typeEbEEZZNS1_14partition_implILS8_4ELb0ES6_15HIP_vector_typeIjLj2EENS0_17counting_iteratorIjlEEPS9_SG_NS0_5tupleIJPjSI_NS0_16reverse_iteratorISI_EEEEENSH_IJSG_SG_SG_EEES9_SI_JZNS1_25segmented_radix_sort_implINS0_14default_configELb0EPKbPbPKlPlN2at6native12_GLOBAL__N_18offset_tEEE10hipError_tPvRmT1_PNSt15iterator_traitsIS12_E10value_typeET2_T3_PNS13_IS18_E10value_typeET4_jRbjT5_S1E_jjP12ihipStream_tbEUljE_ZNSN_ISO_Lb0ESQ_SR_ST_SU_SY_EESZ_S10_S11_S12_S16_S17_S18_S1B_S1C_jS1D_jS1E_S1E_jjS1G_bEUljE0_EEESZ_S10_S11_S18_S1C_S1E_T6_T7_T9_mT8_S1G_bDpT10_ENKUlT_T0_E_clISt17integral_constantIbLb0EES1T_IbLb1EEEEDaS1P_S1Q_EUlS1P_E_NS1_11comp_targetILNS1_3genE2ELNS1_11target_archE906ELNS1_3gpuE6ELNS1_3repE0EEENS1_30default_config_static_selectorELNS0_4arch9wavefront6targetE0EEEvS12_.has_dyn_sized_stack, 0
	.set _ZN7rocprim17ROCPRIM_400000_NS6detail17trampoline_kernelINS0_13select_configILj256ELj13ELNS0_17block_load_methodE3ELS4_3ELS4_3ELNS0_20block_scan_algorithmE0ELj4294967295EEENS1_25partition_config_selectorILNS1_17partition_subalgoE4EjNS0_10empty_typeEbEEZZNS1_14partition_implILS8_4ELb0ES6_15HIP_vector_typeIjLj2EENS0_17counting_iteratorIjlEEPS9_SG_NS0_5tupleIJPjSI_NS0_16reverse_iteratorISI_EEEEENSH_IJSG_SG_SG_EEES9_SI_JZNS1_25segmented_radix_sort_implINS0_14default_configELb0EPKbPbPKlPlN2at6native12_GLOBAL__N_18offset_tEEE10hipError_tPvRmT1_PNSt15iterator_traitsIS12_E10value_typeET2_T3_PNS13_IS18_E10value_typeET4_jRbjT5_S1E_jjP12ihipStream_tbEUljE_ZNSN_ISO_Lb0ESQ_SR_ST_SU_SY_EESZ_S10_S11_S12_S16_S17_S18_S1B_S1C_jS1D_jS1E_S1E_jjS1G_bEUljE0_EEESZ_S10_S11_S18_S1C_S1E_T6_T7_T9_mT8_S1G_bDpT10_ENKUlT_T0_E_clISt17integral_constantIbLb0EES1T_IbLb1EEEEDaS1P_S1Q_EUlS1P_E_NS1_11comp_targetILNS1_3genE2ELNS1_11target_archE906ELNS1_3gpuE6ELNS1_3repE0EEENS1_30default_config_static_selectorELNS0_4arch9wavefront6targetE0EEEvS12_.has_recursion, 0
	.set _ZN7rocprim17ROCPRIM_400000_NS6detail17trampoline_kernelINS0_13select_configILj256ELj13ELNS0_17block_load_methodE3ELS4_3ELS4_3ELNS0_20block_scan_algorithmE0ELj4294967295EEENS1_25partition_config_selectorILNS1_17partition_subalgoE4EjNS0_10empty_typeEbEEZZNS1_14partition_implILS8_4ELb0ES6_15HIP_vector_typeIjLj2EENS0_17counting_iteratorIjlEEPS9_SG_NS0_5tupleIJPjSI_NS0_16reverse_iteratorISI_EEEEENSH_IJSG_SG_SG_EEES9_SI_JZNS1_25segmented_radix_sort_implINS0_14default_configELb0EPKbPbPKlPlN2at6native12_GLOBAL__N_18offset_tEEE10hipError_tPvRmT1_PNSt15iterator_traitsIS12_E10value_typeET2_T3_PNS13_IS18_E10value_typeET4_jRbjT5_S1E_jjP12ihipStream_tbEUljE_ZNSN_ISO_Lb0ESQ_SR_ST_SU_SY_EESZ_S10_S11_S12_S16_S17_S18_S1B_S1C_jS1D_jS1E_S1E_jjS1G_bEUljE0_EEESZ_S10_S11_S18_S1C_S1E_T6_T7_T9_mT8_S1G_bDpT10_ENKUlT_T0_E_clISt17integral_constantIbLb0EES1T_IbLb1EEEEDaS1P_S1Q_EUlS1P_E_NS1_11comp_targetILNS1_3genE2ELNS1_11target_archE906ELNS1_3gpuE6ELNS1_3repE0EEENS1_30default_config_static_selectorELNS0_4arch9wavefront6targetE0EEEvS12_.has_indirect_call, 0
	.section	.AMDGPU.csdata,"",@progbits
; Kernel info:
; codeLenInByte = 0
; TotalNumSgprs: 0
; NumVgprs: 0
; ScratchSize: 0
; MemoryBound: 0
; FloatMode: 240
; IeeeMode: 1
; LDSByteSize: 0 bytes/workgroup (compile time only)
; SGPRBlocks: 0
; VGPRBlocks: 0
; NumSGPRsForWavesPerEU: 1
; NumVGPRsForWavesPerEU: 1
; Occupancy: 16
; WaveLimiterHint : 0
; COMPUTE_PGM_RSRC2:SCRATCH_EN: 0
; COMPUTE_PGM_RSRC2:USER_SGPR: 2
; COMPUTE_PGM_RSRC2:TRAP_HANDLER: 0
; COMPUTE_PGM_RSRC2:TGID_X_EN: 1
; COMPUTE_PGM_RSRC2:TGID_Y_EN: 0
; COMPUTE_PGM_RSRC2:TGID_Z_EN: 0
; COMPUTE_PGM_RSRC2:TIDIG_COMP_CNT: 0
	.section	.text._ZN7rocprim17ROCPRIM_400000_NS6detail17trampoline_kernelINS0_13select_configILj256ELj13ELNS0_17block_load_methodE3ELS4_3ELS4_3ELNS0_20block_scan_algorithmE0ELj4294967295EEENS1_25partition_config_selectorILNS1_17partition_subalgoE4EjNS0_10empty_typeEbEEZZNS1_14partition_implILS8_4ELb0ES6_15HIP_vector_typeIjLj2EENS0_17counting_iteratorIjlEEPS9_SG_NS0_5tupleIJPjSI_NS0_16reverse_iteratorISI_EEEEENSH_IJSG_SG_SG_EEES9_SI_JZNS1_25segmented_radix_sort_implINS0_14default_configELb0EPKbPbPKlPlN2at6native12_GLOBAL__N_18offset_tEEE10hipError_tPvRmT1_PNSt15iterator_traitsIS12_E10value_typeET2_T3_PNS13_IS18_E10value_typeET4_jRbjT5_S1E_jjP12ihipStream_tbEUljE_ZNSN_ISO_Lb0ESQ_SR_ST_SU_SY_EESZ_S10_S11_S12_S16_S17_S18_S1B_S1C_jS1D_jS1E_S1E_jjS1G_bEUljE0_EEESZ_S10_S11_S18_S1C_S1E_T6_T7_T9_mT8_S1G_bDpT10_ENKUlT_T0_E_clISt17integral_constantIbLb0EES1T_IbLb1EEEEDaS1P_S1Q_EUlS1P_E_NS1_11comp_targetILNS1_3genE10ELNS1_11target_archE1200ELNS1_3gpuE4ELNS1_3repE0EEENS1_30default_config_static_selectorELNS0_4arch9wavefront6targetE0EEEvS12_,"axG",@progbits,_ZN7rocprim17ROCPRIM_400000_NS6detail17trampoline_kernelINS0_13select_configILj256ELj13ELNS0_17block_load_methodE3ELS4_3ELS4_3ELNS0_20block_scan_algorithmE0ELj4294967295EEENS1_25partition_config_selectorILNS1_17partition_subalgoE4EjNS0_10empty_typeEbEEZZNS1_14partition_implILS8_4ELb0ES6_15HIP_vector_typeIjLj2EENS0_17counting_iteratorIjlEEPS9_SG_NS0_5tupleIJPjSI_NS0_16reverse_iteratorISI_EEEEENSH_IJSG_SG_SG_EEES9_SI_JZNS1_25segmented_radix_sort_implINS0_14default_configELb0EPKbPbPKlPlN2at6native12_GLOBAL__N_18offset_tEEE10hipError_tPvRmT1_PNSt15iterator_traitsIS12_E10value_typeET2_T3_PNS13_IS18_E10value_typeET4_jRbjT5_S1E_jjP12ihipStream_tbEUljE_ZNSN_ISO_Lb0ESQ_SR_ST_SU_SY_EESZ_S10_S11_S12_S16_S17_S18_S1B_S1C_jS1D_jS1E_S1E_jjS1G_bEUljE0_EEESZ_S10_S11_S18_S1C_S1E_T6_T7_T9_mT8_S1G_bDpT10_ENKUlT_T0_E_clISt17integral_constantIbLb0EES1T_IbLb1EEEEDaS1P_S1Q_EUlS1P_E_NS1_11comp_targetILNS1_3genE10ELNS1_11target_archE1200ELNS1_3gpuE4ELNS1_3repE0EEENS1_30default_config_static_selectorELNS0_4arch9wavefront6targetE0EEEvS12_,comdat
	.globl	_ZN7rocprim17ROCPRIM_400000_NS6detail17trampoline_kernelINS0_13select_configILj256ELj13ELNS0_17block_load_methodE3ELS4_3ELS4_3ELNS0_20block_scan_algorithmE0ELj4294967295EEENS1_25partition_config_selectorILNS1_17partition_subalgoE4EjNS0_10empty_typeEbEEZZNS1_14partition_implILS8_4ELb0ES6_15HIP_vector_typeIjLj2EENS0_17counting_iteratorIjlEEPS9_SG_NS0_5tupleIJPjSI_NS0_16reverse_iteratorISI_EEEEENSH_IJSG_SG_SG_EEES9_SI_JZNS1_25segmented_radix_sort_implINS0_14default_configELb0EPKbPbPKlPlN2at6native12_GLOBAL__N_18offset_tEEE10hipError_tPvRmT1_PNSt15iterator_traitsIS12_E10value_typeET2_T3_PNS13_IS18_E10value_typeET4_jRbjT5_S1E_jjP12ihipStream_tbEUljE_ZNSN_ISO_Lb0ESQ_SR_ST_SU_SY_EESZ_S10_S11_S12_S16_S17_S18_S1B_S1C_jS1D_jS1E_S1E_jjS1G_bEUljE0_EEESZ_S10_S11_S18_S1C_S1E_T6_T7_T9_mT8_S1G_bDpT10_ENKUlT_T0_E_clISt17integral_constantIbLb0EES1T_IbLb1EEEEDaS1P_S1Q_EUlS1P_E_NS1_11comp_targetILNS1_3genE10ELNS1_11target_archE1200ELNS1_3gpuE4ELNS1_3repE0EEENS1_30default_config_static_selectorELNS0_4arch9wavefront6targetE0EEEvS12_ ; -- Begin function _ZN7rocprim17ROCPRIM_400000_NS6detail17trampoline_kernelINS0_13select_configILj256ELj13ELNS0_17block_load_methodE3ELS4_3ELS4_3ELNS0_20block_scan_algorithmE0ELj4294967295EEENS1_25partition_config_selectorILNS1_17partition_subalgoE4EjNS0_10empty_typeEbEEZZNS1_14partition_implILS8_4ELb0ES6_15HIP_vector_typeIjLj2EENS0_17counting_iteratorIjlEEPS9_SG_NS0_5tupleIJPjSI_NS0_16reverse_iteratorISI_EEEEENSH_IJSG_SG_SG_EEES9_SI_JZNS1_25segmented_radix_sort_implINS0_14default_configELb0EPKbPbPKlPlN2at6native12_GLOBAL__N_18offset_tEEE10hipError_tPvRmT1_PNSt15iterator_traitsIS12_E10value_typeET2_T3_PNS13_IS18_E10value_typeET4_jRbjT5_S1E_jjP12ihipStream_tbEUljE_ZNSN_ISO_Lb0ESQ_SR_ST_SU_SY_EESZ_S10_S11_S12_S16_S17_S18_S1B_S1C_jS1D_jS1E_S1E_jjS1G_bEUljE0_EEESZ_S10_S11_S18_S1C_S1E_T6_T7_T9_mT8_S1G_bDpT10_ENKUlT_T0_E_clISt17integral_constantIbLb0EES1T_IbLb1EEEEDaS1P_S1Q_EUlS1P_E_NS1_11comp_targetILNS1_3genE10ELNS1_11target_archE1200ELNS1_3gpuE4ELNS1_3repE0EEENS1_30default_config_static_selectorELNS0_4arch9wavefront6targetE0EEEvS12_
	.p2align	8
	.type	_ZN7rocprim17ROCPRIM_400000_NS6detail17trampoline_kernelINS0_13select_configILj256ELj13ELNS0_17block_load_methodE3ELS4_3ELS4_3ELNS0_20block_scan_algorithmE0ELj4294967295EEENS1_25partition_config_selectorILNS1_17partition_subalgoE4EjNS0_10empty_typeEbEEZZNS1_14partition_implILS8_4ELb0ES6_15HIP_vector_typeIjLj2EENS0_17counting_iteratorIjlEEPS9_SG_NS0_5tupleIJPjSI_NS0_16reverse_iteratorISI_EEEEENSH_IJSG_SG_SG_EEES9_SI_JZNS1_25segmented_radix_sort_implINS0_14default_configELb0EPKbPbPKlPlN2at6native12_GLOBAL__N_18offset_tEEE10hipError_tPvRmT1_PNSt15iterator_traitsIS12_E10value_typeET2_T3_PNS13_IS18_E10value_typeET4_jRbjT5_S1E_jjP12ihipStream_tbEUljE_ZNSN_ISO_Lb0ESQ_SR_ST_SU_SY_EESZ_S10_S11_S12_S16_S17_S18_S1B_S1C_jS1D_jS1E_S1E_jjS1G_bEUljE0_EEESZ_S10_S11_S18_S1C_S1E_T6_T7_T9_mT8_S1G_bDpT10_ENKUlT_T0_E_clISt17integral_constantIbLb0EES1T_IbLb1EEEEDaS1P_S1Q_EUlS1P_E_NS1_11comp_targetILNS1_3genE10ELNS1_11target_archE1200ELNS1_3gpuE4ELNS1_3repE0EEENS1_30default_config_static_selectorELNS0_4arch9wavefront6targetE0EEEvS12_,@function
_ZN7rocprim17ROCPRIM_400000_NS6detail17trampoline_kernelINS0_13select_configILj256ELj13ELNS0_17block_load_methodE3ELS4_3ELS4_3ELNS0_20block_scan_algorithmE0ELj4294967295EEENS1_25partition_config_selectorILNS1_17partition_subalgoE4EjNS0_10empty_typeEbEEZZNS1_14partition_implILS8_4ELb0ES6_15HIP_vector_typeIjLj2EENS0_17counting_iteratorIjlEEPS9_SG_NS0_5tupleIJPjSI_NS0_16reverse_iteratorISI_EEEEENSH_IJSG_SG_SG_EEES9_SI_JZNS1_25segmented_radix_sort_implINS0_14default_configELb0EPKbPbPKlPlN2at6native12_GLOBAL__N_18offset_tEEE10hipError_tPvRmT1_PNSt15iterator_traitsIS12_E10value_typeET2_T3_PNS13_IS18_E10value_typeET4_jRbjT5_S1E_jjP12ihipStream_tbEUljE_ZNSN_ISO_Lb0ESQ_SR_ST_SU_SY_EESZ_S10_S11_S12_S16_S17_S18_S1B_S1C_jS1D_jS1E_S1E_jjS1G_bEUljE0_EEESZ_S10_S11_S18_S1C_S1E_T6_T7_T9_mT8_S1G_bDpT10_ENKUlT_T0_E_clISt17integral_constantIbLb0EES1T_IbLb1EEEEDaS1P_S1Q_EUlS1P_E_NS1_11comp_targetILNS1_3genE10ELNS1_11target_archE1200ELNS1_3gpuE4ELNS1_3repE0EEENS1_30default_config_static_selectorELNS0_4arch9wavefront6targetE0EEEvS12_: ; @_ZN7rocprim17ROCPRIM_400000_NS6detail17trampoline_kernelINS0_13select_configILj256ELj13ELNS0_17block_load_methodE3ELS4_3ELS4_3ELNS0_20block_scan_algorithmE0ELj4294967295EEENS1_25partition_config_selectorILNS1_17partition_subalgoE4EjNS0_10empty_typeEbEEZZNS1_14partition_implILS8_4ELb0ES6_15HIP_vector_typeIjLj2EENS0_17counting_iteratorIjlEEPS9_SG_NS0_5tupleIJPjSI_NS0_16reverse_iteratorISI_EEEEENSH_IJSG_SG_SG_EEES9_SI_JZNS1_25segmented_radix_sort_implINS0_14default_configELb0EPKbPbPKlPlN2at6native12_GLOBAL__N_18offset_tEEE10hipError_tPvRmT1_PNSt15iterator_traitsIS12_E10value_typeET2_T3_PNS13_IS18_E10value_typeET4_jRbjT5_S1E_jjP12ihipStream_tbEUljE_ZNSN_ISO_Lb0ESQ_SR_ST_SU_SY_EESZ_S10_S11_S12_S16_S17_S18_S1B_S1C_jS1D_jS1E_S1E_jjS1G_bEUljE0_EEESZ_S10_S11_S18_S1C_S1E_T6_T7_T9_mT8_S1G_bDpT10_ENKUlT_T0_E_clISt17integral_constantIbLb0EES1T_IbLb1EEEEDaS1P_S1Q_EUlS1P_E_NS1_11comp_targetILNS1_3genE10ELNS1_11target_archE1200ELNS1_3gpuE4ELNS1_3repE0EEENS1_30default_config_static_selectorELNS0_4arch9wavefront6targetE0EEEvS12_
; %bb.0:
	s_clause 0x7
	s_load_b64 s[34:35], s[0:1], 0x10
	s_load_b128 s[28:31], s[0:1], 0x28
	s_load_b64 s[14:15], s[0:1], 0x38
	s_load_b128 s[24:27], s[0:1], 0x58
	s_load_b64 s[4:5], s[0:1], 0x68
	s_load_b64 s[36:37], s[0:1], 0x78
	;; [unrolled: 1-line block ×3, first 2 shown]
	s_load_b256 s[16:23], s[0:1], 0x90
	v_cmp_eq_u32_e64 s2, 0, v0
	s_and_saveexec_b32 s3, s2
	s_cbranch_execz .LBB1600_4
; %bb.1:
	s_mov_b32 s7, exec_lo
	s_mov_b32 s6, exec_lo
	v_mbcnt_lo_u32_b32 v1, s7, 0
                                        ; implicit-def: $vgpr2
	s_delay_alu instid0(VALU_DEP_1)
	v_cmpx_eq_u32_e32 0, v1
	s_cbranch_execz .LBB1600_3
; %bb.2:
	s_load_b64 s[8:9], s[0:1], 0x88
	s_bcnt1_i32_b32 s7, s7
	s_wait_alu 0xfffe
	v_dual_mov_b32 v2, 0 :: v_dual_mov_b32 v3, s7
	s_wait_kmcnt 0x0
	global_atomic_add_u32 v2, v2, v3, s[8:9] th:TH_ATOMIC_RETURN scope:SCOPE_DEV
.LBB1600_3:
	s_or_b32 exec_lo, exec_lo, s6
	s_wait_loadcnt 0x0
	v_readfirstlane_b32 s6, v2
	s_wait_alu 0xf1ff
	s_delay_alu instid0(VALU_DEP_1)
	v_dual_mov_b32 v2, 0 :: v_dual_add_nc_u32 v1, s6, v1
	ds_store_b32 v2, v1
.LBB1600_4:
	s_or_b32 exec_lo, exec_lo, s3
	v_mov_b32_e32 v1, 0
	s_clause 0x1
	s_load_b32 s3, s[0:1], 0x8
	s_load_b32 s0, s[0:1], 0x80
	s_wait_dscnt 0x0
	s_barrier_signal -1
	s_barrier_wait -1
	global_inv scope:SCOPE_SE
	ds_load_b32 v5, v1
	s_wait_loadcnt_dscnt 0x0
	s_barrier_signal -1
	s_barrier_wait -1
	global_inv scope:SCOPE_SE
	s_wait_kmcnt 0x0
	global_load_b128 v[1:4], v1, s[26:27]
	s_mov_b32 s1, 0
	s_add_co_i32 s3, s3, s34
	s_add_co_i32 s6, s0, -1
	s_mulk_i32 s0, 0xd00
	s_delay_alu instid0(SALU_CYCLE_1)
	s_add_co_i32 s7, s0, s34
	s_add_nc_u64 s[0:1], s[34:35], s[0:1]
	v_readfirstlane_b32 s33, v5
	v_cmp_gt_u64_e64 s0, s[4:5], s[0:1]
	s_wait_alu 0xfffe
	s_sub_co_i32 s27, s4, s7
	v_cmp_ne_u32_e32 vcc_lo, s6, v5
	v_mul_lo_u32 v43, 0xd00, v5
	s_addk_co_i32 s27, 0xd00
	s_cmp_eq_u32 s33, s6
	s_mov_b32 s4, -1
	s_cselect_b32 s26, -1, 0
	s_or_b32 s1, s0, vcc_lo
	s_wait_alu 0xfffe
	s_and_b32 vcc_lo, exec_lo, s1
	s_cbranch_vccz .LBB1600_6
; %bb.5:
	v_add3_u32 v5, v43, s3, v0
	v_lshlrev_b32_e32 v14, 2, v0
	s_mov_b32 s4, 0
	s_delay_alu instid0(VALU_DEP_2)
	v_add_nc_u32_e32 v6, 0x100, v5
	v_add_nc_u32_e32 v7, 0x200, v5
	;; [unrolled: 1-line block ×12, first 2 shown]
	ds_store_2addr_stride64_b32 v14, v5, v6 offset1:4
	ds_store_2addr_stride64_b32 v14, v7, v8 offset0:8 offset1:12
	ds_store_2addr_stride64_b32 v14, v9, v10 offset0:16 offset1:20
	;; [unrolled: 1-line block ×5, first 2 shown]
	ds_store_b32 v14, v18 offset:12288
	s_wait_loadcnt_dscnt 0x0
	s_barrier_signal -1
	s_barrier_wait -1
.LBB1600_6:
	v_cmp_gt_u32_e64 s0, s27, v0
	v_or_b32_e32 v42, 0x100, v0
	v_or_b32_e32 v41, 0x200, v0
	;; [unrolled: 1-line block ×12, first 2 shown]
	s_wait_alu 0xfffe
	s_and_not1_b32 vcc_lo, exec_lo, s4
	s_cbranch_vccnz .LBB1600_8
; %bb.7:
	v_add_nc_u32_e32 v5, s3, v43
	v_cmp_gt_u32_e32 vcc_lo, s27, v42
	s_delay_alu instid0(VALU_DEP_2) | instskip(NEXT) | instid1(VALU_DEP_1)
	v_add_nc_u32_e32 v7, v5, v42
	v_dual_cndmask_b32 v7, 0, v7 :: v_dual_add_nc_u32 v8, v5, v41
	v_cmp_gt_u32_e32 vcc_lo, s27, v41
	s_wait_alu 0xfffd
	s_delay_alu instid0(VALU_DEP_2)
	v_cndmask_b32_e32 v8, 0, v8, vcc_lo
	v_cmp_gt_u32_e32 vcc_lo, s27, v40
	v_add_nc_u32_e32 v17, v5, v32
	v_add_nc_u32_e32 v14, v5, v35
	;; [unrolled: 1-line block ×9, first 2 shown]
	s_wait_alu 0xfffd
	v_cndmask_b32_e32 v9, 0, v9, vcc_lo
	v_cmp_gt_u32_e32 vcc_lo, s27, v39
	v_cndmask_b32_e64 v6, 0, v6, s0
	s_wait_alu 0xfffd
	v_cndmask_b32_e32 v10, 0, v10, vcc_lo
	v_cmp_gt_u32_e32 vcc_lo, s27, v38
	v_add_nc_u32_e32 v12, v5, v37
	v_add_nc_u32_e32 v5, v5, v31
	s_wait_alu 0xfffd
	v_cndmask_b32_e32 v11, 0, v11, vcc_lo
	v_cmp_gt_u32_e32 vcc_lo, s27, v37
	s_wait_alu 0xfffd
	v_cndmask_b32_e32 v12, 0, v12, vcc_lo
	v_cmp_gt_u32_e32 vcc_lo, s27, v36
	;; [unrolled: 3-line block ×7, first 2 shown]
	s_wait_alu 0xfffd
	v_dual_cndmask_b32 v5, 0, v5 :: v_dual_lshlrev_b32 v18, 2, v0
	ds_store_2addr_stride64_b32 v18, v6, v7 offset1:4
	ds_store_2addr_stride64_b32 v18, v8, v9 offset0:8 offset1:12
	ds_store_2addr_stride64_b32 v18, v10, v11 offset0:16 offset1:20
	;; [unrolled: 1-line block ×5, first 2 shown]
	ds_store_b32 v18, v5 offset:12288
	s_wait_loadcnt_dscnt 0x0
	s_barrier_signal -1
	s_barrier_wait -1
.LBB1600_8:
	v_mul_u32_u24_e32 v46, 13, v0
	s_wait_loadcnt 0x0
	global_inv scope:SCOPE_SE
	v_cndmask_b32_e64 v44, 0, 1, s1
	s_and_not1_b32 vcc_lo, exec_lo, s1
	v_lshlrev_b32_e32 v5, 2, v46
	ds_load_2addr_b32 v[23:24], v5 offset1:1
	ds_load_2addr_b32 v[21:22], v5 offset0:2 offset1:3
	ds_load_2addr_b32 v[19:20], v5 offset0:4 offset1:5
	;; [unrolled: 1-line block ×5, first 2 shown]
	ds_load_b32 v45, v5 offset:48
	s_wait_loadcnt_dscnt 0x0
	s_barrier_signal -1
	s_barrier_wait -1
	global_inv scope:SCOPE_SE
	s_wait_alu 0xfffe
	s_cbranch_vccnz .LBB1600_36
; %bb.9:
	v_add_nc_u32_e32 v5, s17, v23
	v_add_nc_u32_e32 v6, s19, v23
	s_mov_b32 s41, 0
	s_mov_b32 s40, 0
	s_mov_b32 s1, exec_lo
	v_mul_lo_u32 v5, v5, s16
	v_mul_lo_u32 v6, v6, s18
	s_delay_alu instid0(VALU_DEP_1) | instskip(NEXT) | instid1(VALU_DEP_1)
	v_sub_nc_u32_e32 v5, v5, v6
	v_cmp_lt_u32_e32 vcc_lo, s20, v5
	v_cmpx_ge_u32_e64 s20, v5
	s_cbranch_execz .LBB1600_11
; %bb.10:
	v_add_nc_u32_e32 v5, s22, v23
	v_add_nc_u32_e32 v6, s38, v23
	s_delay_alu instid0(VALU_DEP_2) | instskip(NEXT) | instid1(VALU_DEP_2)
	v_mul_lo_u32 v5, v5, s21
	v_mul_lo_u32 v6, v6, s23
	s_delay_alu instid0(VALU_DEP_1) | instskip(NEXT) | instid1(VALU_DEP_1)
	v_sub_nc_u32_e32 v5, v5, v6
	v_cmp_lt_u32_e64 s0, s39, v5
	s_and_b32 s40, s0, exec_lo
.LBB1600_11:
	s_wait_alu 0xfffe
	s_or_b32 exec_lo, exec_lo, s1
	v_add_nc_u32_e32 v5, s17, v24
	v_add_nc_u32_e32 v6, s19, v24
	s_mov_b32 s3, exec_lo
	s_delay_alu instid0(VALU_DEP_2) | instskip(NEXT) | instid1(VALU_DEP_2)
	v_mul_lo_u32 v5, v5, s16
	v_mul_lo_u32 v6, v6, s18
	s_delay_alu instid0(VALU_DEP_1) | instskip(NEXT) | instid1(VALU_DEP_1)
	v_sub_nc_u32_e32 v5, v5, v6
	v_cmp_lt_u32_e64 s0, s20, v5
	v_cmpx_ge_u32_e64 s20, v5
	s_cbranch_execz .LBB1600_13
; %bb.12:
	v_add_nc_u32_e32 v5, s22, v24
	v_add_nc_u32_e32 v6, s38, v24
	s_delay_alu instid0(VALU_DEP_2) | instskip(NEXT) | instid1(VALU_DEP_2)
	v_mul_lo_u32 v5, v5, s21
	v_mul_lo_u32 v6, v6, s23
	s_delay_alu instid0(VALU_DEP_1) | instskip(NEXT) | instid1(VALU_DEP_1)
	v_sub_nc_u32_e32 v5, v5, v6
	v_cmp_lt_u32_e64 s1, s39, v5
	s_and_b32 s41, s1, exec_lo
.LBB1600_13:
	s_wait_alu 0xfffe
	s_or_b32 exec_lo, exec_lo, s3
	v_add_nc_u32_e32 v5, s17, v21
	v_add_nc_u32_e32 v6, s19, v21
	s_mov_b32 s43, 0
	s_mov_b32 s42, 0
	s_mov_b32 s4, exec_lo
	v_mul_lo_u32 v5, v5, s16
	v_mul_lo_u32 v6, v6, s18
	s_delay_alu instid0(VALU_DEP_1) | instskip(NEXT) | instid1(VALU_DEP_1)
	v_sub_nc_u32_e32 v5, v5, v6
	v_cmp_lt_u32_e64 s1, s20, v5
	v_cmpx_ge_u32_e64 s20, v5
	s_cbranch_execz .LBB1600_15
; %bb.14:
	v_add_nc_u32_e32 v5, s22, v21
	v_add_nc_u32_e32 v6, s38, v21
	s_delay_alu instid0(VALU_DEP_2) | instskip(NEXT) | instid1(VALU_DEP_2)
	v_mul_lo_u32 v5, v5, s21
	v_mul_lo_u32 v6, v6, s23
	s_delay_alu instid0(VALU_DEP_1) | instskip(NEXT) | instid1(VALU_DEP_1)
	v_sub_nc_u32_e32 v5, v5, v6
	v_cmp_lt_u32_e64 s3, s39, v5
	s_and_b32 s42, s3, exec_lo
.LBB1600_15:
	s_wait_alu 0xfffe
	s_or_b32 exec_lo, exec_lo, s4
	v_add_nc_u32_e32 v5, s17, v22
	v_add_nc_u32_e32 v6, s19, v22
	s_mov_b32 s5, exec_lo
	s_delay_alu instid0(VALU_DEP_2) | instskip(NEXT) | instid1(VALU_DEP_2)
	v_mul_lo_u32 v5, v5, s16
	v_mul_lo_u32 v6, v6, s18
	s_delay_alu instid0(VALU_DEP_1) | instskip(NEXT) | instid1(VALU_DEP_1)
	v_sub_nc_u32_e32 v5, v5, v6
	v_cmp_lt_u32_e64 s3, s20, v5
	v_cmpx_ge_u32_e64 s20, v5
	s_cbranch_execz .LBB1600_17
; %bb.16:
	v_add_nc_u32_e32 v5, s22, v22
	v_add_nc_u32_e32 v6, s38, v22
	s_delay_alu instid0(VALU_DEP_2) | instskip(NEXT) | instid1(VALU_DEP_2)
	v_mul_lo_u32 v5, v5, s21
	v_mul_lo_u32 v6, v6, s23
	s_delay_alu instid0(VALU_DEP_1) | instskip(NEXT) | instid1(VALU_DEP_1)
	v_sub_nc_u32_e32 v5, v5, v6
	v_cmp_lt_u32_e64 s4, s39, v5
	s_and_b32 s43, s4, exec_lo
.LBB1600_17:
	s_wait_alu 0xfffe
	s_or_b32 exec_lo, exec_lo, s5
	v_add_nc_u32_e32 v5, s17, v19
	v_add_nc_u32_e32 v6, s19, v19
	s_mov_b32 s45, 0
	s_mov_b32 s44, 0
	s_mov_b32 s6, exec_lo
	v_mul_lo_u32 v5, v5, s16
	v_mul_lo_u32 v6, v6, s18
	s_delay_alu instid0(VALU_DEP_1) | instskip(NEXT) | instid1(VALU_DEP_1)
	v_sub_nc_u32_e32 v5, v5, v6
	v_cmp_lt_u32_e64 s4, s20, v5
	;; [unrolled: 49-line block ×3, first 2 shown]
	v_cmpx_ge_u32_e64 s20, v5
	s_cbranch_execz .LBB1600_23
; %bb.22:
	v_add_nc_u32_e32 v5, s22, v17
	v_add_nc_u32_e32 v6, s38, v17
	s_delay_alu instid0(VALU_DEP_2) | instskip(NEXT) | instid1(VALU_DEP_2)
	v_mul_lo_u32 v5, v5, s21
	v_mul_lo_u32 v6, v6, s23
	s_delay_alu instid0(VALU_DEP_1) | instskip(NEXT) | instid1(VALU_DEP_1)
	v_sub_nc_u32_e32 v5, v5, v6
	v_cmp_lt_u32_e64 s7, s39, v5
	s_and_b32 s46, s7, exec_lo
.LBB1600_23:
	s_or_b32 exec_lo, exec_lo, s8
	v_add_nc_u32_e32 v5, s17, v18
	v_add_nc_u32_e32 v6, s19, v18
	s_mov_b32 s9, exec_lo
	s_delay_alu instid0(VALU_DEP_2) | instskip(NEXT) | instid1(VALU_DEP_2)
	v_mul_lo_u32 v5, v5, s16
	v_mul_lo_u32 v6, v6, s18
	s_delay_alu instid0(VALU_DEP_1) | instskip(NEXT) | instid1(VALU_DEP_1)
	v_sub_nc_u32_e32 v5, v5, v6
	v_cmp_lt_u32_e64 s7, s20, v5
	v_cmpx_ge_u32_e64 s20, v5
	s_cbranch_execz .LBB1600_25
; %bb.24:
	v_add_nc_u32_e32 v5, s22, v18
	v_add_nc_u32_e32 v6, s38, v18
	s_delay_alu instid0(VALU_DEP_2) | instskip(NEXT) | instid1(VALU_DEP_2)
	v_mul_lo_u32 v5, v5, s21
	v_mul_lo_u32 v6, v6, s23
	s_delay_alu instid0(VALU_DEP_1) | instskip(NEXT) | instid1(VALU_DEP_1)
	v_sub_nc_u32_e32 v5, v5, v6
	v_cmp_lt_u32_e64 s8, s39, v5
	s_and_b32 s47, s8, exec_lo
.LBB1600_25:
	s_or_b32 exec_lo, exec_lo, s9
	v_add_nc_u32_e32 v5, s17, v15
	v_add_nc_u32_e32 v6, s19, v15
	s_mov_b32 s50, 0
	s_mov_b32 s49, 0
	s_mov_b32 s10, exec_lo
	v_mul_lo_u32 v5, v5, s16
	v_mul_lo_u32 v6, v6, s18
	s_delay_alu instid0(VALU_DEP_1) | instskip(NEXT) | instid1(VALU_DEP_1)
	v_sub_nc_u32_e32 v5, v5, v6
	v_cmp_lt_u32_e64 s8, s20, v5
	v_cmpx_ge_u32_e64 s20, v5
	s_cbranch_execz .LBB1600_27
; %bb.26:
	v_add_nc_u32_e32 v5, s22, v15
	v_add_nc_u32_e32 v6, s38, v15
	s_delay_alu instid0(VALU_DEP_2) | instskip(NEXT) | instid1(VALU_DEP_2)
	v_mul_lo_u32 v5, v5, s21
	v_mul_lo_u32 v6, v6, s23
	s_delay_alu instid0(VALU_DEP_1) | instskip(NEXT) | instid1(VALU_DEP_1)
	v_sub_nc_u32_e32 v5, v5, v6
	v_cmp_lt_u32_e64 s9, s39, v5
	s_and_b32 s49, s9, exec_lo
.LBB1600_27:
	s_or_b32 exec_lo, exec_lo, s10
	v_add_nc_u32_e32 v5, s17, v16
	v_add_nc_u32_e32 v6, s19, v16
	s_mov_b32 s11, exec_lo
	s_delay_alu instid0(VALU_DEP_2) | instskip(NEXT) | instid1(VALU_DEP_2)
	v_mul_lo_u32 v5, v5, s16
	v_mul_lo_u32 v6, v6, s18
	s_delay_alu instid0(VALU_DEP_1) | instskip(NEXT) | instid1(VALU_DEP_1)
	v_sub_nc_u32_e32 v5, v5, v6
	v_cmp_lt_u32_e64 s9, s20, v5
	v_cmpx_ge_u32_e64 s20, v5
	s_cbranch_execz .LBB1600_29
; %bb.28:
	v_add_nc_u32_e32 v5, s22, v16
	v_add_nc_u32_e32 v6, s38, v16
	s_delay_alu instid0(VALU_DEP_2) | instskip(NEXT) | instid1(VALU_DEP_2)
	v_mul_lo_u32 v5, v5, s21
	v_mul_lo_u32 v6, v6, s23
	s_delay_alu instid0(VALU_DEP_1) | instskip(NEXT) | instid1(VALU_DEP_1)
	v_sub_nc_u32_e32 v5, v5, v6
	v_cmp_lt_u32_e64 s10, s39, v5
	s_and_b32 s50, s10, exec_lo
.LBB1600_29:
	s_or_b32 exec_lo, exec_lo, s11
	v_add_nc_u32_e32 v5, s17, v13
	v_add_nc_u32_e32 v6, s19, v13
	s_mov_b32 s51, 0
	s_mov_b32 s52, 0
	s_mov_b32 s12, exec_lo
	v_mul_lo_u32 v5, v5, s16
	v_mul_lo_u32 v6, v6, s18
	s_delay_alu instid0(VALU_DEP_1) | instskip(NEXT) | instid1(VALU_DEP_1)
	v_sub_nc_u32_e32 v5, v5, v6
	v_cmp_lt_u32_e64 s10, s20, v5
	;; [unrolled: 47-line block ×3, first 2 shown]
	v_cmpx_ge_u32_e64 s20, v5
	s_cbranch_execz .LBB1600_35
; %bb.34:
	v_add_nc_u32_e32 v5, s22, v45
	v_add_nc_u32_e32 v6, s38, v45
	s_delay_alu instid0(VALU_DEP_2) | instskip(NEXT) | instid1(VALU_DEP_2)
	v_mul_lo_u32 v5, v5, s21
	v_mul_lo_u32 v6, v6, s23
	s_delay_alu instid0(VALU_DEP_1) | instskip(NEXT) | instid1(VALU_DEP_1)
	v_sub_nc_u32_e32 v5, v5, v6
	v_cmp_lt_u32_e64 s13, s39, v5
	s_and_b32 s53, s13, exec_lo
.LBB1600_35:
	s_or_b32 exec_lo, exec_lo, s54
	v_cndmask_b32_e64 v6, 0, 1, s0
	v_cndmask_b32_e64 v8, 0, 1, s3
	s_wait_alu 0xfffd
	v_cndmask_b32_e64 v5, 0, 1, vcc_lo
	v_cndmask_b32_e64 v7, 0, 1, s1
	v_cndmask_b32_e64 v10, 0, 1, s5
	v_lshlrev_b16 v6, 8, v6
	v_lshlrev_b16 v8, 8, v8
	s_wait_alu 0xf1ff
	v_cndmask_b32_e64 v12, 0, 1, s7
	v_cndmask_b32_e64 v26, 0, 1, s9
	;; [unrolled: 1-line block ×3, first 2 shown]
	v_or_b32_e32 v5, v5, v6
	v_or_b32_e32 v6, v7, v8
	v_cndmask_b32_e64 v56, 0, 1, s40
	v_cndmask_b32_e64 v9, 0, 1, s4
	v_cndmask_b32_e64 v11, 0, 1, s6
	v_and_b32_e32 v5, 0xffff, v5
	v_lshlrev_b32_e32 v6, 16, v6
	v_cndmask_b32_e64 v25, 0, 1, s8
	v_cndmask_b32_e64 v27, 0, 1, s10
	;; [unrolled: 1-line block ×8, first 2 shown]
	v_or_b32_e32 v47, v5, v6
	v_lshlrev_b16 v5, 8, v10
	v_lshlrev_b16 v6, 8, v12
	;; [unrolled: 1-line block ×5, first 2 shown]
	v_cndmask_b32_e64 v30, 0, 1, s50
	v_cndmask_b32_e64 v49, 0, 1, s47
	;; [unrolled: 1-line block ×5, first 2 shown]
	v_or_b32_e32 v5, v9, v5
	v_or_b32_e32 v6, v11, v6
	;; [unrolled: 1-line block ×5, first 2 shown]
	v_lshlrev_b16 v8, 8, v8
	v_lshlrev_b16 v12, 8, v54
	;; [unrolled: 1-line block ×5, first 2 shown]
	v_or_b32_e32 v8, v55, v8
	v_or_b32_e32 v7, v7, v12
	;; [unrolled: 1-line block ×5, first 2 shown]
	v_and_b32_e32 v5, 0xffff, v5
	v_lshlrev_b32_e32 v6, 16, v6
	v_and_b32_e32 v9, 0xffff, v9
	v_lshlrev_b32_e32 v10, 16, v10
	;; [unrolled: 2-line block ×5, first 2 shown]
	v_cndmask_b32_e64 v50, 0, 1, s51
	v_cndmask_b32_e64 v53, 0, 1, s53
	v_or_b32_e32 v49, v5, v6
	v_or_b32_e32 v52, v9, v10
	;; [unrolled: 1-line block ×5, first 2 shown]
	s_and_b32 vcc_lo, exec_lo, s48
	s_wait_alu 0xfffe
	s_cbranch_vccnz .LBB1600_37
	s_branch .LBB1600_114
.LBB1600_36:
                                        ; implicit-def: $vgpr53
                                        ; implicit-def: $vgpr50
                                        ; implicit-def: $vgpr51
                                        ; implicit-def: $vgpr48
                                        ; implicit-def: $vgpr54
                                        ; implicit-def: $vgpr52
                                        ; implicit-def: $vgpr49
                                        ; implicit-def: $vgpr47
	s_cbranch_execz .LBB1600_114
.LBB1600_37:
	v_dual_mov_b32 v6, 0 :: v_dual_mov_b32 v5, 0
	s_mov_b32 s1, exec_lo
	v_cmpx_gt_u32_e64 s27, v46
	s_cbranch_execz .LBB1600_41
; %bb.38:
	v_add_nc_u32_e32 v5, s17, v23
	v_add_nc_u32_e32 v6, s19, v23
	s_mov_b32 s4, 0
	s_mov_b32 s3, exec_lo
	s_delay_alu instid0(VALU_DEP_2) | instskip(NEXT) | instid1(VALU_DEP_2)
	v_mul_lo_u32 v5, v5, s16
	v_mul_lo_u32 v6, v6, s18
	s_delay_alu instid0(VALU_DEP_1) | instskip(NEXT) | instid1(VALU_DEP_1)
	v_sub_nc_u32_e32 v5, v5, v6
	v_cmp_lt_u32_e32 vcc_lo, s20, v5
	v_cmpx_ge_u32_e64 s20, v5
	s_cbranch_execz .LBB1600_40
; %bb.39:
	v_add_nc_u32_e32 v5, s22, v23
	v_add_nc_u32_e32 v6, s38, v23
	s_delay_alu instid0(VALU_DEP_2) | instskip(NEXT) | instid1(VALU_DEP_2)
	v_mul_lo_u32 v5, v5, s21
	v_mul_lo_u32 v6, v6, s23
	s_delay_alu instid0(VALU_DEP_1) | instskip(NEXT) | instid1(VALU_DEP_1)
	v_sub_nc_u32_e32 v5, v5, v6
	v_cmp_lt_u32_e64 s0, s39, v5
	s_and_b32 s4, s0, exec_lo
.LBB1600_40:
	s_wait_alu 0xfffe
	s_or_b32 exec_lo, exec_lo, s3
	v_cndmask_b32_e64 v6, 0, 1, s4
	s_wait_alu 0xfffd
	v_cndmask_b32_e64 v5, 0, 1, vcc_lo
.LBB1600_41:
	s_wait_alu 0xfffe
	s_or_b32 exec_lo, exec_lo, s1
	v_lshlrev_b16 v6, 8, v6
	v_add_nc_u32_e32 v7, 1, v46
	v_and_b32_e32 v10, 0xff, v5
	v_lshlrev_b16 v5, 8, 0
                                        ; implicit-def: $vgpr9
                                        ; implicit-def: $vgpr12
                                        ; implicit-def: $vgpr8
	s_delay_alu instid0(VALU_DEP_4) | instskip(NEXT) | instid1(VALU_DEP_4)
	v_and_b32_e32 v6, 0xffff, v6
	v_cmp_le_u32_e32 vcc_lo, s27, v7
                                        ; implicit-def: $vgpr7
	s_delay_alu instid0(VALU_DEP_2)
	v_lshrrev_b32_e32 v25, 8, v6
	v_and_b32_e32 v11, 0xff, v6
                                        ; implicit-def: $vgpr6
	s_and_saveexec_b32 s0, vcc_lo
	s_wait_alu 0xfffe
	s_xor_b32 s0, exec_lo, s0
	s_cbranch_execz .LBB1600_43
; %bb.42:
	v_lshlrev_b16 v6, 8, v25
	v_and_b32_e32 v8, 0xffff, v5
                                        ; implicit-def: $vgpr25
	v_mov_b32_e32 v9, 0
	s_delay_alu instid0(VALU_DEP_3) | instskip(SKIP_1) | instid1(VALU_DEP_2)
	v_or_b32_e32 v7, v11, v6
	v_mov_b32_e32 v6, 0
                                        ; implicit-def: $vgpr11
	v_and_b32_e32 v12, 0xffff, v7
	v_and_b32_e32 v7, 0xffff, v5
                                        ; implicit-def: $vgpr5
.LBB1600_43:
	s_wait_alu 0xfffe
	s_and_not1_saveexec_b32 s1, s0
	s_cbranch_execz .LBB1600_47
; %bb.44:
	v_add_nc_u32_e32 v6, s17, v24
	v_add_nc_u32_e32 v7, s19, v24
	s_mov_b32 s3, 0
	s_mov_b32 s4, exec_lo
	s_delay_alu instid0(VALU_DEP_2) | instskip(NEXT) | instid1(VALU_DEP_2)
	v_mul_lo_u32 v6, v6, s16
	v_mul_lo_u32 v7, v7, s18
	s_delay_alu instid0(VALU_DEP_1) | instskip(NEXT) | instid1(VALU_DEP_1)
	v_sub_nc_u32_e32 v6, v6, v7
	v_cmp_lt_u32_e32 vcc_lo, s20, v6
	v_cmpx_ge_u32_e64 s20, v6
	s_cbranch_execz .LBB1600_46
; %bb.45:
	v_add_nc_u32_e32 v6, s22, v24
	v_add_nc_u32_e32 v7, s38, v24
	s_delay_alu instid0(VALU_DEP_2) | instskip(NEXT) | instid1(VALU_DEP_2)
	v_mul_lo_u32 v6, v6, s21
	v_mul_lo_u32 v7, v7, s23
	s_delay_alu instid0(VALU_DEP_1) | instskip(NEXT) | instid1(VALU_DEP_1)
	v_sub_nc_u32_e32 v6, v6, v7
	v_cmp_lt_u32_e64 s0, s39, v6
	s_and_b32 s3, s0, exec_lo
.LBB1600_46:
	s_wait_alu 0xfffe
	s_or_b32 exec_lo, exec_lo, s4
	s_wait_alu 0xfffd
	v_cndmask_b32_e64 v6, 0, 1, vcc_lo
	v_lshlrev_b16 v7, 8, v25
	v_dual_mov_b32 v9, 0 :: v_dual_and_b32 v8, 0xffff, v5
	s_delay_alu instid0(VALU_DEP_3) | instskip(NEXT) | instid1(VALU_DEP_3)
	v_lshlrev_b16 v6, 8, v6
	v_or_b32_e32 v7, v11, v7
	v_cndmask_b32_e64 v11, 0, 1, s3
	s_delay_alu instid0(VALU_DEP_3) | instskip(NEXT) | instid1(VALU_DEP_3)
	v_or_b32_e32 v10, v10, v6
	v_dual_mov_b32 v6, 0 :: v_dual_and_b32 v7, 0xffff, v7
	s_delay_alu instid0(VALU_DEP_2) | instskip(NEXT) | instid1(VALU_DEP_2)
	v_and_b32_e32 v10, 0xffff, v10
	v_lshl_or_b32 v12, v11, 16, v7
	v_and_b32_e32 v7, 0xffff, v5
.LBB1600_47:
	s_wait_alu 0xfffe
	s_or_b32 exec_lo, exec_lo, s1
	v_add_nc_u32_e32 v5, 2, v46
	v_and_b32_e32 v25, 0xff, v10
	v_lshrrev_b32_e32 v26, 8, v10
                                        ; implicit-def: $vgpr11
	s_delay_alu instid0(VALU_DEP_3)
	v_cmp_le_u32_e32 vcc_lo, s27, v5
                                        ; implicit-def: $vgpr5
	s_and_saveexec_b32 s0, vcc_lo
	s_wait_alu 0xfffe
	s_xor_b32 s0, exec_lo, s0
	s_cbranch_execz .LBB1600_49
; %bb.48:
	v_lshlrev_b16 v5, 8, v26
	v_perm_b32 v8, v8, v8, 0x3060504
                                        ; implicit-def: $vgpr26
	s_delay_alu instid0(VALU_DEP_2) | instskip(SKIP_1) | instid1(VALU_DEP_2)
	v_or_b32_e32 v5, v25, v5
	v_and_b32_e32 v25, 0xff0000, v12
	v_and_b32_e32 v5, 0xffff, v5
	s_delay_alu instid0(VALU_DEP_1) | instskip(NEXT) | instid1(VALU_DEP_3)
	v_and_or_b32 v11, 0xff000000, v10, v5
	v_perm_b32 v5, v12, v25, 0x3020504
                                        ; implicit-def: $vgpr25
                                        ; implicit-def: $vgpr10
                                        ; implicit-def: $vgpr12
.LBB1600_49:
	s_wait_alu 0xfffe
	s_and_not1_saveexec_b32 s1, s0
	s_cbranch_execz .LBB1600_53
; %bb.50:
	v_add_nc_u32_e32 v5, s17, v21
	v_add_nc_u32_e32 v11, s19, v21
	s_mov_b32 s3, 0
	s_mov_b32 s4, exec_lo
	s_delay_alu instid0(VALU_DEP_2) | instskip(NEXT) | instid1(VALU_DEP_2)
	v_mul_lo_u32 v5, v5, s16
	v_mul_lo_u32 v11, v11, s18
	s_delay_alu instid0(VALU_DEP_1) | instskip(NEXT) | instid1(VALU_DEP_1)
	v_sub_nc_u32_e32 v5, v5, v11
	v_cmp_lt_u32_e32 vcc_lo, s20, v5
	v_cmpx_ge_u32_e64 s20, v5
	s_cbranch_execz .LBB1600_52
; %bb.51:
	v_add_nc_u32_e32 v5, s22, v21
	v_add_nc_u32_e32 v11, s38, v21
	s_delay_alu instid0(VALU_DEP_2) | instskip(NEXT) | instid1(VALU_DEP_2)
	v_mul_lo_u32 v5, v5, s21
	v_mul_lo_u32 v11, v11, s23
	s_delay_alu instid0(VALU_DEP_1) | instskip(NEXT) | instid1(VALU_DEP_1)
	v_sub_nc_u32_e32 v5, v5, v11
	v_cmp_lt_u32_e64 s0, s39, v5
	s_and_b32 s3, s0, exec_lo
.LBB1600_52:
	s_wait_alu 0xfffe
	s_or_b32 exec_lo, exec_lo, s4
	v_lshrrev_b32_e32 v10, 24, v10
	v_cndmask_b32_e64 v11, 0, 1, s3
	v_lshrrev_b32_e32 v27, 8, v12
	v_lshrrev_b32_e32 v28, 16, v12
	s_wait_alu 0xfffd
	v_cndmask_b32_e64 v5, 0, 1, vcc_lo
	v_lshlrev_b16 v26, 8, v26
	v_lshlrev_b16 v10, 8, v10
	v_and_b32_e32 v12, 0xff, v12
	v_lshlrev_b16 v27, 8, v27
	v_lshlrev_b16 v11, 8, v11
	v_and_b32_e32 v28, 0xff, v28
	v_or_b32_e32 v25, v25, v26
	v_or_b32_e32 v5, v5, v10
	;; [unrolled: 1-line block ×3, first 2 shown]
	s_delay_alu instid0(VALU_DEP_4) | instskip(NEXT) | instid1(VALU_DEP_4)
	v_or_b32_e32 v11, v28, v11
	v_and_b32_e32 v12, 0xffff, v25
	s_delay_alu instid0(VALU_DEP_4) | instskip(NEXT) | instid1(VALU_DEP_4)
	v_lshlrev_b32_e32 v5, 16, v5
	v_and_b32_e32 v10, 0xffff, v10
	s_delay_alu instid0(VALU_DEP_4) | instskip(NEXT) | instid1(VALU_DEP_3)
	v_lshlrev_b32_e32 v25, 16, v11
	v_or_b32_e32 v11, v12, v5
	s_delay_alu instid0(VALU_DEP_2)
	v_or_b32_e32 v5, v10, v25
.LBB1600_53:
	s_wait_alu 0xfffe
	s_or_b32 exec_lo, exec_lo, s1
	v_add_nc_u32_e32 v10, 3, v46
	v_lshrrev_b32_e32 v12, 24, v9
	v_lshrrev_b32_e32 v25, 16, v9
	;; [unrolled: 1-line block ×3, first 2 shown]
                                        ; implicit-def: $vgpr47
	s_delay_alu instid0(VALU_DEP_4)
	v_cmp_le_u32_e32 vcc_lo, s27, v10
                                        ; implicit-def: $vgpr10
	s_and_saveexec_b32 s0, vcc_lo
	s_wait_alu 0xfffe
	s_xor_b32 s0, exec_lo, s0
	s_cbranch_execz .LBB1600_55
; %bb.54:
	v_lshlrev_b16 v10, 8, v12
	v_and_b32_e32 v12, 0xff, v25
	v_lshlrev_b16 v9, 8, v9
	v_perm_b32 v8, v8, v8, 0x3060504
	v_perm_b32 v7, v7, v7, 0x3060504
                                        ; implicit-def: $vgpr25
	s_delay_alu instid0(VALU_DEP_4) | instskip(SKIP_2) | instid1(VALU_DEP_3)
	v_or_b32_e32 v10, v12, v10
	v_and_b32_e32 v12, 0xff0000, v11
	v_and_b32_e32 v9, 0xffff, v9
	v_lshlrev_b32_e32 v10, 16, v10
	s_delay_alu instid0(VALU_DEP_3) | instskip(NEXT) | instid1(VALU_DEP_2)
	v_perm_b32 v47, v11, v12, 0x3020504
                                        ; implicit-def: $vgpr11
                                        ; implicit-def: $vgpr12
	v_or_b32_e32 v10, v9, v10
                                        ; implicit-def: $vgpr9
.LBB1600_55:
	s_wait_alu 0xfffe
	s_and_not1_saveexec_b32 s1, s0
	s_cbranch_execz .LBB1600_59
; %bb.56:
	v_add_nc_u32_e32 v10, s17, v22
	v_add_nc_u32_e32 v26, s19, v22
	s_mov_b32 s3, 0
	s_mov_b32 s4, exec_lo
	s_delay_alu instid0(VALU_DEP_2) | instskip(NEXT) | instid1(VALU_DEP_2)
	v_mul_lo_u32 v10, v10, s16
	v_mul_lo_u32 v26, v26, s18
	s_delay_alu instid0(VALU_DEP_1) | instskip(NEXT) | instid1(VALU_DEP_1)
	v_sub_nc_u32_e32 v10, v10, v26
	v_cmp_lt_u32_e32 vcc_lo, s20, v10
	v_cmpx_ge_u32_e64 s20, v10
	s_cbranch_execz .LBB1600_58
; %bb.57:
	v_add_nc_u32_e32 v10, s22, v22
	v_add_nc_u32_e32 v26, s38, v22
	s_delay_alu instid0(VALU_DEP_2) | instskip(NEXT) | instid1(VALU_DEP_2)
	v_mul_lo_u32 v10, v10, s21
	v_mul_lo_u32 v26, v26, s23
	s_delay_alu instid0(VALU_DEP_1) | instskip(NEXT) | instid1(VALU_DEP_1)
	v_sub_nc_u32_e32 v10, v10, v26
	v_cmp_lt_u32_e64 s0, s39, v10
	s_and_b32 s3, s0, exec_lo
.LBB1600_58:
	s_wait_alu 0xfffe
	s_or_b32 exec_lo, exec_lo, s4
	v_lshrrev_b32_e32 v10, 8, v11
	s_wait_alu 0xfffd
	v_cndmask_b32_e64 v26, 0, 1, vcc_lo
	v_lshrrev_b32_e32 v27, 16, v11
	v_cndmask_b32_e64 v28, 0, 1, s3
	v_and_b32_e32 v11, 0xff, v11
	v_lshlrev_b16 v10, 8, v10
	v_lshlrev_b16 v26, 8, v26
	v_and_b32_e32 v27, 0xff, v27
	v_lshlrev_b16 v12, 8, v12
	v_and_b32_e32 v25, 0xff, v25
	v_lshlrev_b16 v9, 8, v9
	v_or_b32_e32 v10, v11, v10
	v_or_b32_e32 v11, v27, v26
	s_delay_alu instid0(VALU_DEP_4) | instskip(NEXT) | instid1(VALU_DEP_4)
	v_or_b32_e32 v12, v25, v12
	v_or_b32_e32 v9, v28, v9
	s_delay_alu instid0(VALU_DEP_4) | instskip(NEXT) | instid1(VALU_DEP_4)
	v_and_b32_e32 v10, 0xffff, v10
	v_lshlrev_b32_e32 v11, 16, v11
	s_delay_alu instid0(VALU_DEP_4) | instskip(NEXT) | instid1(VALU_DEP_4)
	v_lshlrev_b32_e32 v12, 16, v12
	v_and_b32_e32 v9, 0xffff, v9
	s_delay_alu instid0(VALU_DEP_3) | instskip(NEXT) | instid1(VALU_DEP_2)
	v_or_b32_e32 v47, v10, v11
	v_or_b32_e32 v10, v9, v12
.LBB1600_59:
	s_wait_alu 0xfffe
	s_or_b32 exec_lo, exec_lo, s1
	v_add_nc_u32_e32 v9, 4, v46
	v_lshrrev_b32_e32 v25, 8, v8
	v_lshrrev_b32_e32 v26, 16, v8
	;; [unrolled: 1-line block ×4, first 2 shown]
	v_cmp_le_u32_e32 vcc_lo, s27, v9
	v_lshrrev_b32_e32 v12, 16, v10
                                        ; implicit-def: $vgpr8
                                        ; implicit-def: $vgpr9
	s_and_saveexec_b32 s0, vcc_lo
	s_wait_alu 0xfffe
	s_xor_b32 s0, exec_lo, s0
	s_cbranch_execz .LBB1600_61
; %bb.60:
	v_lshlrev_b16 v8, 8, v27
	v_and_b32_e32 v9, 0xff, v26
	v_lshlrev_b16 v25, 8, v25
	v_lshlrev_b16 v11, 8, v11
	v_and_b32_e32 v12, 0xff, v12
	v_perm_b32 v7, v7, v7, 0x3060504
	v_or_b32_e32 v8, v9, v8
	v_and_b32_e32 v9, 0xffff, v25
                                        ; implicit-def: $vgpr25
                                        ; implicit-def: $vgpr26
                                        ; implicit-def: $vgpr27
	s_delay_alu instid0(VALU_DEP_4) | instskip(NEXT) | instid1(VALU_DEP_3)
	v_or_b32_e32 v11, v12, v11
	v_lshlrev_b32_e32 v12, 16, v8
	s_delay_alu instid0(VALU_DEP_2) | instskip(NEXT) | instid1(VALU_DEP_2)
	v_perm_b32 v8, v11, v10, 0x5040c00
                                        ; implicit-def: $vgpr10
                                        ; implicit-def: $vgpr11
	v_or_b32_e32 v9, v9, v12
                                        ; implicit-def: $vgpr12
.LBB1600_61:
	s_wait_alu 0xfffe
	s_and_not1_saveexec_b32 s1, s0
	s_cbranch_execz .LBB1600_65
; %bb.62:
	v_add_nc_u32_e32 v8, s17, v19
	v_add_nc_u32_e32 v9, s19, v19
	s_mov_b32 s3, 0
	s_mov_b32 s4, exec_lo
	s_delay_alu instid0(VALU_DEP_2) | instskip(NEXT) | instid1(VALU_DEP_2)
	v_mul_lo_u32 v8, v8, s16
	v_mul_lo_u32 v9, v9, s18
	s_delay_alu instid0(VALU_DEP_1) | instskip(NEXT) | instid1(VALU_DEP_1)
	v_sub_nc_u32_e32 v8, v8, v9
	v_cmp_lt_u32_e32 vcc_lo, s20, v8
	v_cmpx_ge_u32_e64 s20, v8
	s_cbranch_execz .LBB1600_64
; %bb.63:
	v_add_nc_u32_e32 v8, s22, v19
	v_add_nc_u32_e32 v9, s38, v19
	s_delay_alu instid0(VALU_DEP_2) | instskip(NEXT) | instid1(VALU_DEP_2)
	v_mul_lo_u32 v8, v8, s21
	v_mul_lo_u32 v9, v9, s23
	s_delay_alu instid0(VALU_DEP_1) | instskip(NEXT) | instid1(VALU_DEP_1)
	v_sub_nc_u32_e32 v8, v8, v9
	v_cmp_lt_u32_e64 s0, s39, v8
	s_and_b32 s3, s0, exec_lo
.LBB1600_64:
	s_wait_alu 0xfffe
	s_or_b32 exec_lo, exec_lo, s4
	v_cndmask_b32_e64 v8, 0, 1, s3
	s_wait_alu 0xfffd
	v_cndmask_b32_e64 v9, 0, 1, vcc_lo
	v_lshlrev_b16 v27, 8, v27
	v_and_b32_e32 v26, 0xff, v26
	v_lshlrev_b16 v25, 8, v25
	v_lshlrev_b16 v8, 8, v8
	v_and_b32_e32 v10, 0xff, v10
	v_lshlrev_b16 v11, 8, v11
	v_and_b32_e32 v12, 0xff, v12
	v_or_b32_e32 v26, v26, v27
	v_or_b32_e32 v9, v9, v25
	;; [unrolled: 1-line block ×3, first 2 shown]
	s_delay_alu instid0(VALU_DEP_4) | instskip(NEXT) | instid1(VALU_DEP_4)
	v_or_b32_e32 v10, v12, v11
	v_lshlrev_b32_e32 v11, 16, v26
	s_delay_alu instid0(VALU_DEP_4) | instskip(NEXT) | instid1(VALU_DEP_4)
	v_and_b32_e32 v9, 0xffff, v9
	v_and_b32_e32 v8, 0xffff, v8
	s_delay_alu instid0(VALU_DEP_4) | instskip(NEXT) | instid1(VALU_DEP_3)
	v_lshlrev_b32_e32 v10, 16, v10
	v_or_b32_e32 v9, v9, v11
	s_delay_alu instid0(VALU_DEP_2)
	v_or_b32_e32 v8, v8, v10
.LBB1600_65:
	s_wait_alu 0xfffe
	s_or_b32 exec_lo, exec_lo, s1
	v_add_nc_u32_e32 v10, 5, v46
	v_lshrrev_b32_e32 v25, 16, v9
	v_lshrrev_b32_e32 v27, 24, v9
	v_and_b32_e32 v12, 0xff, v8
	v_lshrrev_b32_e32 v26, 8, v8
	v_cmp_le_u32_e32 vcc_lo, s27, v10
                                        ; implicit-def: $vgpr10
                                        ; implicit-def: $vgpr11
	s_and_saveexec_b32 s0, vcc_lo
	s_wait_alu 0xfffe
	s_xor_b32 s0, exec_lo, s0
	s_cbranch_execz .LBB1600_67
; %bb.66:
	v_lshlrev_b16 v10, 8, v26
	v_lshlrev_b16 v11, 8, v27
	v_and_b32_e32 v25, 0xff, v25
	v_perm_b32 v7, v7, v7, 0x3060504
                                        ; implicit-def: $vgpr27
                                        ; implicit-def: $vgpr26
	s_delay_alu instid0(VALU_DEP_4) | instskip(NEXT) | instid1(VALU_DEP_3)
	v_or_b32_e32 v10, v12, v10
                                        ; implicit-def: $vgpr12
	v_or_b32_e32 v11, v25, v11
                                        ; implicit-def: $vgpr25
	s_delay_alu instid0(VALU_DEP_2) | instskip(NEXT) | instid1(VALU_DEP_2)
	v_and_b32_e32 v10, 0xffff, v10
	v_perm_b32 v11, v11, v9, 0x5040c00
                                        ; implicit-def: $vgpr9
	s_delay_alu instid0(VALU_DEP_2)
	v_and_or_b32 v10, 0xff000000, v8, v10
                                        ; implicit-def: $vgpr8
.LBB1600_67:
	s_wait_alu 0xfffe
	s_and_not1_saveexec_b32 s1, s0
	s_cbranch_execz .LBB1600_71
; %bb.68:
	v_add_nc_u32_e32 v10, s17, v20
	v_add_nc_u32_e32 v11, s19, v20
	s_mov_b32 s3, 0
	s_mov_b32 s4, exec_lo
	s_delay_alu instid0(VALU_DEP_2) | instskip(NEXT) | instid1(VALU_DEP_2)
	v_mul_lo_u32 v10, v10, s16
	v_mul_lo_u32 v11, v11, s18
	s_delay_alu instid0(VALU_DEP_1) | instskip(NEXT) | instid1(VALU_DEP_1)
	v_sub_nc_u32_e32 v10, v10, v11
	v_cmp_lt_u32_e32 vcc_lo, s20, v10
	v_cmpx_ge_u32_e64 s20, v10
	s_cbranch_execz .LBB1600_70
; %bb.69:
	v_add_nc_u32_e32 v10, s22, v20
	v_add_nc_u32_e32 v11, s38, v20
	s_delay_alu instid0(VALU_DEP_2) | instskip(NEXT) | instid1(VALU_DEP_2)
	v_mul_lo_u32 v10, v10, s21
	v_mul_lo_u32 v11, v11, s23
	s_delay_alu instid0(VALU_DEP_1) | instskip(NEXT) | instid1(VALU_DEP_1)
	v_sub_nc_u32_e32 v10, v10, v11
	v_cmp_lt_u32_e64 s0, s39, v10
	s_and_b32 s3, s0, exec_lo
.LBB1600_70:
	s_wait_alu 0xfffe
	s_or_b32 exec_lo, exec_lo, s4
	s_wait_alu 0xfffd
	v_cndmask_b32_e64 v10, 0, 1, vcc_lo
	v_lshrrev_b32_e32 v8, 24, v8
	v_cndmask_b32_e64 v11, 0, 1, s3
	v_lshlrev_b16 v27, 8, v27
	v_and_b32_e32 v25, 0xff, v25
	v_lshlrev_b16 v10, 8, v10
	v_lshlrev_b16 v26, 8, v26
	v_and_b32_e32 v9, 0xff, v9
	v_lshlrev_b16 v8, 8, v8
	v_or_b32_e32 v25, v25, v27
	s_delay_alu instid0(VALU_DEP_4) | instskip(NEXT) | instid1(VALU_DEP_4)
	v_or_b32_e32 v12, v12, v26
	v_or_b32_e32 v9, v9, v10
	s_delay_alu instid0(VALU_DEP_4) | instskip(NEXT) | instid1(VALU_DEP_4)
	v_or_b32_e32 v8, v11, v8
	v_lshlrev_b32_e32 v10, 16, v25
	s_delay_alu instid0(VALU_DEP_4) | instskip(NEXT) | instid1(VALU_DEP_4)
	v_and_b32_e32 v12, 0xffff, v12
	v_and_b32_e32 v9, 0xffff, v9
	s_delay_alu instid0(VALU_DEP_4) | instskip(NEXT) | instid1(VALU_DEP_2)
	v_lshlrev_b32_e32 v8, 16, v8
	v_or_b32_e32 v11, v9, v10
	s_delay_alu instid0(VALU_DEP_2)
	v_or_b32_e32 v10, v12, v8
.LBB1600_71:
	s_wait_alu 0xfffe
	s_or_b32 exec_lo, exec_lo, s1
	v_add_nc_u32_e32 v8, 6, v46
	v_lshrrev_b32_e32 v12, 8, v11
                                        ; implicit-def: $vgpr48
                                        ; implicit-def: $vgpr9
	s_delay_alu instid0(VALU_DEP_2)
	v_cmp_le_u32_e32 vcc_lo, s27, v8
	v_and_b32_e32 v8, 0xff, v11
	s_and_saveexec_b32 s0, vcc_lo
	s_wait_alu 0xfffe
	s_xor_b32 s0, exec_lo, s0
	s_cbranch_execz .LBB1600_73
; %bb.72:
	v_lshlrev_b16 v9, 8, v12
	v_perm_b32 v7, v7, v7, 0x3060504
                                        ; implicit-def: $vgpr12
	s_delay_alu instid0(VALU_DEP_2) | instskip(SKIP_1) | instid1(VALU_DEP_2)
	v_or_b32_e32 v8, v8, v9
	v_and_b32_e32 v9, 0xff0000, v10
	v_and_b32_e32 v8, 0xffff, v8
	s_delay_alu instid0(VALU_DEP_2) | instskip(NEXT) | instid1(VALU_DEP_2)
	v_perm_b32 v48, v10, v9, 0x3020504
                                        ; implicit-def: $vgpr10
	v_and_or_b32 v9, 0xff000000, v11, v8
                                        ; implicit-def: $vgpr8
                                        ; implicit-def: $vgpr11
.LBB1600_73:
	s_wait_alu 0xfffe
	s_and_not1_saveexec_b32 s1, s0
	s_cbranch_execz .LBB1600_77
; %bb.74:
	v_add_nc_u32_e32 v9, s17, v17
	v_add_nc_u32_e32 v25, s19, v17
	s_mov_b32 s3, 0
	s_mov_b32 s4, exec_lo
	s_delay_alu instid0(VALU_DEP_2) | instskip(NEXT) | instid1(VALU_DEP_2)
	v_mul_lo_u32 v9, v9, s16
	v_mul_lo_u32 v25, v25, s18
	s_delay_alu instid0(VALU_DEP_1) | instskip(NEXT) | instid1(VALU_DEP_1)
	v_sub_nc_u32_e32 v9, v9, v25
	v_cmp_lt_u32_e32 vcc_lo, s20, v9
	v_cmpx_ge_u32_e64 s20, v9
	s_cbranch_execz .LBB1600_76
; %bb.75:
	v_add_nc_u32_e32 v9, s22, v17
	v_add_nc_u32_e32 v25, s38, v17
	s_delay_alu instid0(VALU_DEP_2) | instskip(NEXT) | instid1(VALU_DEP_2)
	v_mul_lo_u32 v9, v9, s21
	v_mul_lo_u32 v25, v25, s23
	s_delay_alu instid0(VALU_DEP_1) | instskip(NEXT) | instid1(VALU_DEP_1)
	v_sub_nc_u32_e32 v9, v9, v25
	v_cmp_lt_u32_e64 s0, s39, v9
	s_and_b32 s3, s0, exec_lo
.LBB1600_76:
	s_wait_alu 0xfffe
	s_or_b32 exec_lo, exec_lo, s4
	v_lshrrev_b32_e32 v11, 24, v11
	v_cndmask_b32_e64 v25, 0, 1, s3
	v_lshrrev_b32_e32 v26, 8, v10
	v_lshrrev_b32_e32 v27, 16, v10
	s_wait_alu 0xfffd
	v_cndmask_b32_e64 v9, 0, 1, vcc_lo
	v_lshlrev_b16 v12, 8, v12
	v_lshlrev_b16 v11, 8, v11
	v_and_b32_e32 v10, 0xff, v10
	v_lshlrev_b16 v26, 8, v26
	v_lshlrev_b16 v25, 8, v25
	v_and_b32_e32 v27, 0xff, v27
	v_or_b32_e32 v8, v8, v12
	v_or_b32_e32 v9, v9, v11
	;; [unrolled: 1-line block ×3, first 2 shown]
	s_delay_alu instid0(VALU_DEP_4) | instskip(NEXT) | instid1(VALU_DEP_4)
	v_or_b32_e32 v11, v27, v25
	v_and_b32_e32 v8, 0xffff, v8
	s_delay_alu instid0(VALU_DEP_4) | instskip(NEXT) | instid1(VALU_DEP_4)
	v_lshlrev_b32_e32 v9, 16, v9
	v_and_b32_e32 v10, 0xffff, v10
	s_delay_alu instid0(VALU_DEP_4) | instskip(NEXT) | instid1(VALU_DEP_3)
	v_lshlrev_b32_e32 v11, 16, v11
	v_or_b32_e32 v9, v8, v9
	s_delay_alu instid0(VALU_DEP_2)
	v_or_b32_e32 v48, v10, v11
.LBB1600_77:
	s_wait_alu 0xfffe
	s_or_b32 exec_lo, exec_lo, s1
	v_add_nc_u32_e32 v8, 7, v46
	v_lshrrev_b32_e32 v10, 8, v7
	v_lshrrev_b32_e32 v11, 16, v7
	;; [unrolled: 1-line block ×3, first 2 shown]
                                        ; implicit-def: $vgpr49
	s_delay_alu instid0(VALU_DEP_4)
	v_cmp_le_u32_e32 vcc_lo, s27, v8
                                        ; implicit-def: $vgpr8
	s_and_saveexec_b32 s0, vcc_lo
	s_wait_alu 0xfffe
	s_xor_b32 s0, exec_lo, s0
	s_cbranch_execz .LBB1600_79
; %bb.78:
	v_lshlrev_b16 v7, 8, v7
	v_and_b32_e32 v8, 0xff, v11
                                        ; implicit-def: $vgpr11
	s_delay_alu instid0(VALU_DEP_1) | instskip(SKIP_2) | instid1(VALU_DEP_3)
	v_or_b32_e32 v7, v8, v7
	v_lshlrev_b16 v8, 8, v10
	v_and_b32_e32 v10, 0xff0000, v9
	v_lshlrev_b32_e32 v7, 16, v7
	s_delay_alu instid0(VALU_DEP_3) | instskip(NEXT) | instid1(VALU_DEP_3)
	v_and_b32_e32 v8, 0xffff, v8
	v_perm_b32 v49, v9, v10, 0x3020504
                                        ; implicit-def: $vgpr9
                                        ; implicit-def: $vgpr10
	s_delay_alu instid0(VALU_DEP_2)
	v_or_b32_e32 v8, v8, v7
                                        ; implicit-def: $vgpr7
.LBB1600_79:
	s_wait_alu 0xfffe
	s_and_not1_saveexec_b32 s1, s0
	s_cbranch_execz .LBB1600_83
; %bb.80:
	v_add_nc_u32_e32 v8, s17, v18
	v_add_nc_u32_e32 v12, s19, v18
	s_mov_b32 s3, 0
	s_mov_b32 s4, exec_lo
	s_delay_alu instid0(VALU_DEP_2) | instskip(NEXT) | instid1(VALU_DEP_2)
	v_mul_lo_u32 v8, v8, s16
	v_mul_lo_u32 v12, v12, s18
	s_delay_alu instid0(VALU_DEP_1) | instskip(NEXT) | instid1(VALU_DEP_1)
	v_sub_nc_u32_e32 v8, v8, v12
	v_cmp_lt_u32_e32 vcc_lo, s20, v8
	v_cmpx_ge_u32_e64 s20, v8
	s_cbranch_execz .LBB1600_82
; %bb.81:
	v_add_nc_u32_e32 v8, s22, v18
	v_add_nc_u32_e32 v12, s38, v18
	s_delay_alu instid0(VALU_DEP_2) | instskip(NEXT) | instid1(VALU_DEP_2)
	v_mul_lo_u32 v8, v8, s21
	v_mul_lo_u32 v12, v12, s23
	s_delay_alu instid0(VALU_DEP_1) | instskip(NEXT) | instid1(VALU_DEP_1)
	v_sub_nc_u32_e32 v8, v8, v12
	v_cmp_lt_u32_e64 s0, s39, v8
	s_and_b32 s3, s0, exec_lo
.LBB1600_82:
	s_wait_alu 0xfffe
	s_or_b32 exec_lo, exec_lo, s4
	v_lshrrev_b32_e32 v8, 8, v9
	s_wait_alu 0xfffd
	v_cndmask_b32_e64 v12, 0, 1, vcc_lo
	v_lshrrev_b32_e32 v25, 16, v9
	v_cndmask_b32_e64 v26, 0, 1, s3
	v_and_b32_e32 v9, 0xff, v9
	v_lshlrev_b16 v8, 8, v8
	v_lshlrev_b16 v12, 8, v12
	v_and_b32_e32 v25, 0xff, v25
	v_lshlrev_b16 v7, 8, v7
	v_and_b32_e32 v11, 0xff, v11
	v_lshlrev_b16 v10, 8, v10
	v_or_b32_e32 v8, v9, v8
	v_or_b32_e32 v9, v25, v12
	s_delay_alu instid0(VALU_DEP_4) | instskip(NEXT) | instid1(VALU_DEP_4)
	v_or_b32_e32 v7, v11, v7
	v_or_b32_e32 v10, v26, v10
	s_delay_alu instid0(VALU_DEP_4) | instskip(NEXT) | instid1(VALU_DEP_4)
	v_and_b32_e32 v8, 0xffff, v8
	v_lshlrev_b32_e32 v9, 16, v9
	s_delay_alu instid0(VALU_DEP_4) | instskip(NEXT) | instid1(VALU_DEP_4)
	v_lshlrev_b32_e32 v7, 16, v7
	v_and_b32_e32 v10, 0xffff, v10
	s_delay_alu instid0(VALU_DEP_3) | instskip(NEXT) | instid1(VALU_DEP_2)
	v_or_b32_e32 v49, v8, v9
	v_or_b32_e32 v8, v10, v7
.LBB1600_83:
	s_wait_alu 0xfffe
	s_or_b32 exec_lo, exec_lo, s1
	v_add_nc_u32_e32 v7, 8, v46
	s_delay_alu instid0(VALU_DEP_2)
	v_lshrrev_b32_e32 v9, 16, v8
	v_lshrrev_b32_e32 v10, 24, v8
	;; [unrolled: 1-line block ×4, first 2 shown]
	v_cmp_le_u32_e32 vcc_lo, s27, v7
	v_lshrrev_b32_e32 v11, 8, v6
                                        ; implicit-def: $vgpr6
                                        ; implicit-def: $vgpr7
	s_and_saveexec_b32 s0, vcc_lo
	s_wait_alu 0xfffe
	s_xor_b32 s0, exec_lo, s0
	s_cbranch_execz .LBB1600_85
; %bb.84:
	v_lshlrev_b16 v6, 8, v12
	v_and_b32_e32 v7, 0xff, v25
	v_lshlrev_b16 v11, 8, v11
	v_lshlrev_b16 v10, 8, v10
	v_perm_b32 v5, v5, v5, 0x3060504
                                        ; implicit-def: $vgpr12
                                        ; implicit-def: $vgpr25
	s_delay_alu instid0(VALU_DEP_4) | instskip(SKIP_2) | instid1(VALU_DEP_3)
	v_or_b32_e32 v6, v7, v6
	v_and_b32_e32 v7, 0xff, v9
	v_and_b32_e32 v9, 0xffff, v11
                                        ; implicit-def: $vgpr11
	v_lshlrev_b32_e32 v6, 16, v6
	s_delay_alu instid0(VALU_DEP_3) | instskip(NEXT) | instid1(VALU_DEP_2)
	v_or_b32_e32 v10, v7, v10
	v_or_b32_e32 v7, v9, v6
	s_delay_alu instid0(VALU_DEP_2)
	v_perm_b32 v6, v10, v8, 0x5040c00
                                        ; implicit-def: $vgpr8
                                        ; implicit-def: $vgpr9
                                        ; implicit-def: $vgpr10
.LBB1600_85:
	s_wait_alu 0xfffe
	s_and_not1_saveexec_b32 s1, s0
	s_cbranch_execz .LBB1600_89
; %bb.86:
	v_add_nc_u32_e32 v6, s17, v15
	v_add_nc_u32_e32 v7, s19, v15
	s_mov_b32 s3, 0
	s_mov_b32 s4, exec_lo
	s_delay_alu instid0(VALU_DEP_2) | instskip(NEXT) | instid1(VALU_DEP_2)
	v_mul_lo_u32 v6, v6, s16
	v_mul_lo_u32 v7, v7, s18
	s_delay_alu instid0(VALU_DEP_1) | instskip(NEXT) | instid1(VALU_DEP_1)
	v_sub_nc_u32_e32 v6, v6, v7
	v_cmp_lt_u32_e32 vcc_lo, s20, v6
	v_cmpx_ge_u32_e64 s20, v6
	s_cbranch_execz .LBB1600_88
; %bb.87:
	v_add_nc_u32_e32 v6, s22, v15
	v_add_nc_u32_e32 v7, s38, v15
	s_delay_alu instid0(VALU_DEP_2) | instskip(NEXT) | instid1(VALU_DEP_2)
	v_mul_lo_u32 v6, v6, s21
	v_mul_lo_u32 v7, v7, s23
	s_delay_alu instid0(VALU_DEP_1) | instskip(NEXT) | instid1(VALU_DEP_1)
	v_sub_nc_u32_e32 v6, v6, v7
	v_cmp_lt_u32_e64 s0, s39, v6
	s_and_b32 s3, s0, exec_lo
.LBB1600_88:
	s_wait_alu 0xfffe
	s_or_b32 exec_lo, exec_lo, s4
	v_cndmask_b32_e64 v6, 0, 1, s3
	s_wait_alu 0xfffd
	v_cndmask_b32_e64 v7, 0, 1, vcc_lo
	v_lshlrev_b16 v12, 8, v12
	v_and_b32_e32 v25, 0xff, v25
	v_lshlrev_b16 v11, 8, v11
	v_lshlrev_b16 v6, 8, v6
	v_and_b32_e32 v8, 0xff, v8
	v_lshlrev_b16 v10, 8, v10
	v_and_b32_e32 v9, 0xff, v9
	v_or_b32_e32 v12, v25, v12
	v_or_b32_e32 v7, v7, v11
	;; [unrolled: 1-line block ×3, first 2 shown]
	s_delay_alu instid0(VALU_DEP_4) | instskip(NEXT) | instid1(VALU_DEP_4)
	v_or_b32_e32 v8, v9, v10
	v_lshlrev_b32_e32 v9, 16, v12
	s_delay_alu instid0(VALU_DEP_4) | instskip(NEXT) | instid1(VALU_DEP_4)
	v_and_b32_e32 v7, 0xffff, v7
	v_and_b32_e32 v6, 0xffff, v6
	s_delay_alu instid0(VALU_DEP_4) | instskip(NEXT) | instid1(VALU_DEP_3)
	v_lshlrev_b32_e32 v8, 16, v8
	v_or_b32_e32 v7, v7, v9
	s_delay_alu instid0(VALU_DEP_2)
	v_or_b32_e32 v6, v6, v8
.LBB1600_89:
	s_wait_alu 0xfffe
	s_or_b32 exec_lo, exec_lo, s1
	v_add_nc_u32_e32 v8, 9, v46
	s_delay_alu instid0(VALU_DEP_2)
	v_lshrrev_b32_e32 v10, 8, v6
	v_lshrrev_b32_e32 v25, 24, v7
	;; [unrolled: 1-line block ×3, first 2 shown]
	v_and_b32_e32 v11, 0xff, v6
	v_cmp_le_u32_e32 vcc_lo, s27, v8
                                        ; implicit-def: $vgpr8
                                        ; implicit-def: $vgpr9
	s_and_saveexec_b32 s0, vcc_lo
	s_wait_alu 0xfffe
	s_xor_b32 s0, exec_lo, s0
	s_cbranch_execz .LBB1600_91
; %bb.90:
	v_lshlrev_b16 v8, 8, v10
	v_lshlrev_b16 v9, 8, v25
	v_and_b32_e32 v10, 0xff, v12
	v_perm_b32 v5, v5, v5, 0x3060504
                                        ; implicit-def: $vgpr25
                                        ; implicit-def: $vgpr12
	s_delay_alu instid0(VALU_DEP_4) | instskip(NEXT) | instid1(VALU_DEP_3)
	v_or_b32_e32 v8, v11, v8
                                        ; implicit-def: $vgpr11
	v_or_b32_e32 v9, v10, v9
                                        ; implicit-def: $vgpr10
	s_delay_alu instid0(VALU_DEP_2) | instskip(NEXT) | instid1(VALU_DEP_2)
	v_and_b32_e32 v8, 0xffff, v8
	v_perm_b32 v9, v9, v7, 0x5040c00
                                        ; implicit-def: $vgpr7
	s_delay_alu instid0(VALU_DEP_2)
	v_and_or_b32 v8, 0xff000000, v6, v8
                                        ; implicit-def: $vgpr6
.LBB1600_91:
	s_wait_alu 0xfffe
	s_and_not1_saveexec_b32 s1, s0
	s_cbranch_execz .LBB1600_95
; %bb.92:
	v_add_nc_u32_e32 v8, s17, v16
	v_add_nc_u32_e32 v9, s19, v16
	s_mov_b32 s3, 0
	s_mov_b32 s4, exec_lo
	s_delay_alu instid0(VALU_DEP_2) | instskip(NEXT) | instid1(VALU_DEP_2)
	v_mul_lo_u32 v8, v8, s16
	v_mul_lo_u32 v9, v9, s18
	s_delay_alu instid0(VALU_DEP_1) | instskip(NEXT) | instid1(VALU_DEP_1)
	v_sub_nc_u32_e32 v8, v8, v9
	v_cmp_lt_u32_e32 vcc_lo, s20, v8
	v_cmpx_ge_u32_e64 s20, v8
	s_cbranch_execz .LBB1600_94
; %bb.93:
	v_add_nc_u32_e32 v8, s22, v16
	v_add_nc_u32_e32 v9, s38, v16
	s_delay_alu instid0(VALU_DEP_2) | instskip(NEXT) | instid1(VALU_DEP_2)
	v_mul_lo_u32 v8, v8, s21
	v_mul_lo_u32 v9, v9, s23
	s_delay_alu instid0(VALU_DEP_1) | instskip(NEXT) | instid1(VALU_DEP_1)
	v_sub_nc_u32_e32 v8, v8, v9
	v_cmp_lt_u32_e64 s0, s39, v8
	s_and_b32 s3, s0, exec_lo
.LBB1600_94:
	s_wait_alu 0xfffe
	s_or_b32 exec_lo, exec_lo, s4
	s_wait_alu 0xfffd
	v_cndmask_b32_e64 v8, 0, 1, vcc_lo
	v_lshrrev_b32_e32 v6, 24, v6
	v_cndmask_b32_e64 v9, 0, 1, s3
	v_lshlrev_b16 v25, 8, v25
	v_and_b32_e32 v12, 0xff, v12
	v_lshlrev_b16 v8, 8, v8
	v_lshlrev_b16 v10, 8, v10
	v_and_b32_e32 v7, 0xff, v7
	v_lshlrev_b16 v6, 8, v6
	v_or_b32_e32 v12, v12, v25
	s_delay_alu instid0(VALU_DEP_4) | instskip(NEXT) | instid1(VALU_DEP_4)
	v_or_b32_e32 v10, v11, v10
	v_or_b32_e32 v7, v7, v8
	s_delay_alu instid0(VALU_DEP_4) | instskip(NEXT) | instid1(VALU_DEP_4)
	v_or_b32_e32 v6, v9, v6
	v_lshlrev_b32_e32 v8, 16, v12
	s_delay_alu instid0(VALU_DEP_4) | instskip(NEXT) | instid1(VALU_DEP_4)
	v_and_b32_e32 v10, 0xffff, v10
	v_and_b32_e32 v7, 0xffff, v7
	s_delay_alu instid0(VALU_DEP_4) | instskip(NEXT) | instid1(VALU_DEP_2)
	v_lshlrev_b32_e32 v6, 16, v6
	v_or_b32_e32 v9, v7, v8
	s_delay_alu instid0(VALU_DEP_2)
	v_or_b32_e32 v8, v10, v6
.LBB1600_95:
	s_wait_alu 0xfffe
	s_or_b32 exec_lo, exec_lo, s1
	v_add_nc_u32_e32 v6, 10, v46
	v_and_b32_e32 v7, 0xff, v9
	v_lshrrev_b32_e32 v10, 8, v9
                                        ; implicit-def: $vgpr51
	s_delay_alu instid0(VALU_DEP_3)
	v_cmp_le_u32_e32 vcc_lo, s27, v6
                                        ; implicit-def: $vgpr6
	s_and_saveexec_b32 s0, vcc_lo
	s_wait_alu 0xfffe
	s_xor_b32 s0, exec_lo, s0
	s_cbranch_execz .LBB1600_97
; %bb.96:
	v_lshlrev_b16 v6, 8, v10
	v_perm_b32 v5, v5, v5, 0x3060504
                                        ; implicit-def: $vgpr10
	s_delay_alu instid0(VALU_DEP_2) | instskip(SKIP_1) | instid1(VALU_DEP_2)
	v_or_b32_e32 v6, v7, v6
	v_and_b32_e32 v7, 0xff0000, v8
	v_and_b32_e32 v6, 0xffff, v6
	s_delay_alu instid0(VALU_DEP_2) | instskip(NEXT) | instid1(VALU_DEP_2)
	v_perm_b32 v51, v8, v7, 0x3020504
                                        ; implicit-def: $vgpr7
                                        ; implicit-def: $vgpr8
	v_and_or_b32 v6, 0xff000000, v9, v6
                                        ; implicit-def: $vgpr9
.LBB1600_97:
	s_wait_alu 0xfffe
	s_and_not1_saveexec_b32 s1, s0
	s_cbranch_execz .LBB1600_101
; %bb.98:
	v_add_nc_u32_e32 v6, s17, v13
	v_add_nc_u32_e32 v11, s19, v13
	s_mov_b32 s3, 0
	s_mov_b32 s4, exec_lo
	s_delay_alu instid0(VALU_DEP_2) | instskip(NEXT) | instid1(VALU_DEP_2)
	v_mul_lo_u32 v6, v6, s16
	v_mul_lo_u32 v11, v11, s18
	s_delay_alu instid0(VALU_DEP_1) | instskip(NEXT) | instid1(VALU_DEP_1)
	v_sub_nc_u32_e32 v6, v6, v11
	v_cmp_lt_u32_e32 vcc_lo, s20, v6
	v_cmpx_ge_u32_e64 s20, v6
	s_cbranch_execz .LBB1600_100
; %bb.99:
	v_add_nc_u32_e32 v6, s22, v13
	v_add_nc_u32_e32 v11, s38, v13
	s_delay_alu instid0(VALU_DEP_2) | instskip(NEXT) | instid1(VALU_DEP_2)
	v_mul_lo_u32 v6, v6, s21
	v_mul_lo_u32 v11, v11, s23
	s_delay_alu instid0(VALU_DEP_1) | instskip(NEXT) | instid1(VALU_DEP_1)
	v_sub_nc_u32_e32 v6, v6, v11
	v_cmp_lt_u32_e64 s0, s39, v6
	s_and_b32 s3, s0, exec_lo
.LBB1600_100:
	s_wait_alu 0xfffe
	s_or_b32 exec_lo, exec_lo, s4
	v_lshrrev_b32_e32 v9, 24, v9
	v_cndmask_b32_e64 v11, 0, 1, s3
	v_lshrrev_b32_e32 v12, 8, v8
	v_lshrrev_b32_e32 v25, 16, v8
	s_wait_alu 0xfffd
	v_cndmask_b32_e64 v6, 0, 1, vcc_lo
	v_lshlrev_b16 v10, 8, v10
	v_lshlrev_b16 v9, 8, v9
	v_and_b32_e32 v8, 0xff, v8
	v_lshlrev_b16 v12, 8, v12
	v_lshlrev_b16 v11, 8, v11
	v_and_b32_e32 v25, 0xff, v25
	v_or_b32_e32 v7, v7, v10
	v_or_b32_e32 v6, v6, v9
	;; [unrolled: 1-line block ×3, first 2 shown]
	s_delay_alu instid0(VALU_DEP_4) | instskip(NEXT) | instid1(VALU_DEP_4)
	v_or_b32_e32 v9, v25, v11
	v_and_b32_e32 v7, 0xffff, v7
	s_delay_alu instid0(VALU_DEP_4) | instskip(NEXT) | instid1(VALU_DEP_4)
	v_lshlrev_b32_e32 v6, 16, v6
	v_and_b32_e32 v8, 0xffff, v8
	s_delay_alu instid0(VALU_DEP_4) | instskip(NEXT) | instid1(VALU_DEP_3)
	v_lshlrev_b32_e32 v9, 16, v9
	v_or_b32_e32 v6, v7, v6
	s_delay_alu instid0(VALU_DEP_2)
	v_or_b32_e32 v51, v8, v9
.LBB1600_101:
	s_wait_alu 0xfffe
	s_or_b32 exec_lo, exec_lo, s1
	v_dual_mov_b32 v50, 0 :: v_dual_add_nc_u32 v7, 11, v46
	s_mov_b32 s0, exec_lo
                                        ; implicit-def: $vgpr52
	s_delay_alu instid0(VALU_DEP_1)
	v_cmpx_le_u32_e64 s27, v7
	s_wait_alu 0xfffe
	s_xor_b32 s0, exec_lo, s0
; %bb.102:
	v_and_b32_e32 v7, 0xff0000, v6
	v_perm_b32 v5, v5, v5, 0x3060504
	s_delay_alu instid0(VALU_DEP_2)
	v_perm_b32 v52, v6, v7, 0x3020504
                                        ; implicit-def: $vgpr6
; %bb.103:
	s_wait_alu 0xfffe
	s_and_not1_saveexec_b32 s1, s0
	s_cbranch_execz .LBB1600_107
; %bb.104:
	v_add_nc_u32_e32 v7, s17, v14
	v_add_nc_u32_e32 v8, s19, v14
	s_mov_b32 s3, 0
	s_mov_b32 s4, exec_lo
	s_delay_alu instid0(VALU_DEP_2) | instskip(NEXT) | instid1(VALU_DEP_2)
	v_mul_lo_u32 v7, v7, s16
	v_mul_lo_u32 v8, v8, s18
	s_delay_alu instid0(VALU_DEP_1) | instskip(NEXT) | instid1(VALU_DEP_1)
	v_sub_nc_u32_e32 v7, v7, v8
	v_cmp_lt_u32_e32 vcc_lo, s20, v7
	v_cmpx_ge_u32_e64 s20, v7
	s_cbranch_execz .LBB1600_106
; %bb.105:
	v_add_nc_u32_e32 v7, s22, v14
	v_add_nc_u32_e32 v8, s38, v14
	s_delay_alu instid0(VALU_DEP_2) | instskip(NEXT) | instid1(VALU_DEP_2)
	v_mul_lo_u32 v7, v7, s21
	v_mul_lo_u32 v8, v8, s23
	s_delay_alu instid0(VALU_DEP_1) | instskip(NEXT) | instid1(VALU_DEP_1)
	v_sub_nc_u32_e32 v7, v7, v8
	v_cmp_lt_u32_e64 s0, s39, v7
	s_and_b32 s3, s0, exec_lo
.LBB1600_106:
	s_wait_alu 0xfffe
	s_or_b32 exec_lo, exec_lo, s4
	v_lshrrev_b32_e32 v7, 8, v6
	s_wait_alu 0xfffd
	v_cndmask_b32_e64 v8, 0, 1, vcc_lo
	v_lshrrev_b32_e32 v9, 16, v6
	v_and_b32_e32 v6, 0xff, v6
	v_cndmask_b32_e64 v50, 0, 1, s3
	v_lshlrev_b16 v7, 8, v7
	v_lshlrev_b16 v8, 8, v8
	v_and_b32_e32 v9, 0xff, v9
	s_delay_alu instid0(VALU_DEP_3) | instskip(NEXT) | instid1(VALU_DEP_2)
	v_or_b32_e32 v6, v6, v7
	v_or_b32_e32 v7, v9, v8
	s_delay_alu instid0(VALU_DEP_2) | instskip(NEXT) | instid1(VALU_DEP_2)
	v_and_b32_e32 v6, 0xffff, v6
	v_lshlrev_b32_e32 v7, 16, v7
	s_delay_alu instid0(VALU_DEP_1)
	v_or_b32_e32 v52, v6, v7
.LBB1600_107:
	s_wait_alu 0xfffe
	s_or_b32 exec_lo, exec_lo, s1
	v_add_nc_u32_e32 v8, 12, v46
	v_lshrrev_b32_e32 v6, 8, v5
	v_lshrrev_b32_e32 v7, 16, v5
	;; [unrolled: 1-line block ×3, first 2 shown]
	s_mov_b32 s0, exec_lo
                                        ; implicit-def: $vgpr54
	v_cmpx_le_u32_e64 s27, v8
	s_wait_alu 0xfffe
	s_xor_b32 s0, exec_lo, s0
	s_cbranch_execz .LBB1600_109
; %bb.108:
	v_lshlrev_b16 v5, 8, v5
	v_and_b32_e32 v7, 0xff, v7
	v_lshlrev_b16 v6, 8, v6
	s_delay_alu instid0(VALU_DEP_2) | instskip(NEXT) | instid1(VALU_DEP_2)
	v_or_b32_e32 v5, v7, v5
	v_and_b32_e32 v6, 0xffff, v6
                                        ; implicit-def: $vgpr7
	s_delay_alu instid0(VALU_DEP_2) | instskip(NEXT) | instid1(VALU_DEP_1)
	v_lshlrev_b32_e32 v5, 16, v5
	v_or_b32_e32 v54, v6, v5
                                        ; implicit-def: $vgpr5
                                        ; implicit-def: $vgpr6
.LBB1600_109:
	s_wait_alu 0xfffe
	s_or_saveexec_b32 s1, s0
	v_mov_b32_e32 v53, 0
	s_wait_alu 0xfffe
	s_xor_b32 exec_lo, exec_lo, s1
	s_cbranch_execz .LBB1600_113
; %bb.110:
	v_add_nc_u32_e32 v8, s17, v45
	v_add_nc_u32_e32 v9, s19, v45
	s_mov_b32 s3, 0
	s_mov_b32 s4, exec_lo
	s_delay_alu instid0(VALU_DEP_2) | instskip(NEXT) | instid1(VALU_DEP_2)
	v_mul_lo_u32 v8, v8, s16
	v_mul_lo_u32 v9, v9, s18
	s_delay_alu instid0(VALU_DEP_1) | instskip(NEXT) | instid1(VALU_DEP_1)
	v_sub_nc_u32_e32 v8, v8, v9
	v_cmp_lt_u32_e32 vcc_lo, s20, v8
	v_cmpx_ge_u32_e64 s20, v8
	s_cbranch_execz .LBB1600_112
; %bb.111:
	v_add_nc_u32_e32 v8, s22, v45
	v_add_nc_u32_e32 v9, s38, v45
	s_delay_alu instid0(VALU_DEP_2) | instskip(NEXT) | instid1(VALU_DEP_2)
	v_mul_lo_u32 v8, v8, s21
	v_mul_lo_u32 v9, v9, s23
	s_delay_alu instid0(VALU_DEP_1) | instskip(NEXT) | instid1(VALU_DEP_1)
	v_sub_nc_u32_e32 v8, v8, v9
	v_cmp_lt_u32_e64 s0, s39, v8
	s_and_b32 s3, s0, exec_lo
.LBB1600_112:
	s_wait_alu 0xfffe
	s_or_b32 exec_lo, exec_lo, s4
	s_wait_alu 0xfffd
	v_cndmask_b32_e64 v8, 0, 1, vcc_lo
	v_lshlrev_b16 v5, 8, v5
	v_and_b32_e32 v7, 0xff, v7
	v_lshlrev_b16 v6, 8, v6
	v_cndmask_b32_e64 v53, 0, 1, s3
	s_delay_alu instid0(VALU_DEP_3) | instskip(NEXT) | instid1(VALU_DEP_3)
	v_or_b32_e32 v5, v7, v5
	v_or_b32_e32 v6, v8, v6
	s_delay_alu instid0(VALU_DEP_2) | instskip(NEXT) | instid1(VALU_DEP_2)
	v_lshlrev_b32_e32 v5, 16, v5
	v_and_b32_e32 v6, 0xffff, v6
	s_delay_alu instid0(VALU_DEP_1)
	v_or_b32_e32 v54, v6, v5
.LBB1600_113:
	s_or_b32 exec_lo, exec_lo, s1
.LBB1600_114:
	v_and_b32_e32 v77, 0xff, v47
	s_delay_alu instid0(VALU_DEP_2)
	v_bfe_u32 v78, v54, 8, 8
	v_bfe_u32 v74, v47, 8, 8
	;; [unrolled: 1-line block ×4, first 2 shown]
	v_lshrrev_b32_e32 v60, 24, v54
	v_lshrrev_b32_e32 v59, 24, v47
	v_and_b32_e32 v73, 0xff, v48
	v_and_b32_e32 v71, 0xff, v49
	v_bfe_u32 v72, v48, 8, 8
	v_add3_u32 v5, v74, v77, v76
	v_add3_u32 v6, v75, v78, v60
	v_bfe_u32 v69, v49, 8, 8
	v_bfe_u32 v70, v48, 16, 8
	;; [unrolled: 1-line block ×3, first 2 shown]
	v_lshrrev_b32_e32 v58, 24, v48
	v_add3_u32 v5, v5, v59, v71
	v_add3_u32 v6, v6, v73, v72
	v_lshrrev_b32_e32 v57, 24, v49
	v_and_b32_e32 v68, 0xff, v51
	v_and_b32_e32 v66, 0xff, v52
	v_bfe_u32 v67, v51, 8, 8
	v_add3_u32 v5, v5, v69, v65
	v_add3_u32 v6, v6, v70, v58
	v_bfe_u32 v63, v52, 8, 8
	v_bfe_u32 v64, v51, 16, 8
	;; [unrolled: 1-line block ×3, first 2 shown]
	v_lshrrev_b32_e32 v56, 24, v51
	v_add3_u32 v5, v5, v57, v66
	v_add3_u32 v6, v6, v68, v67
	v_mbcnt_lo_u32_b32 v79, -1, 0
	v_lshrrev_b32_e32 v55, 24, v52
	v_and_b32_e32 v61, 0xff, v50
	v_and_b32_e32 v7, 0xff, v54
	;; [unrolled: 1-line block ×3, first 2 shown]
	v_add3_u32 v5, v5, v63, v62
	v_add3_u32 v6, v6, v64, v56
	v_and_b32_e32 v81, 15, v79
	v_and_b32_e32 v83, 16, v79
	v_lshrrev_b32_e32 v80, 5, v0
	v_add3_u32 v84, v5, v55, v7
	v_add3_u32 v85, v6, v61, v8
	v_cmp_eq_u32_e64 s1, 0, v81
	v_cmp_lt_u32_e64 s0, 1, v81
	v_cmp_lt_u32_e64 s3, 3, v81
	v_or_b32_e32 v82, 31, v0
	s_cmp_lg_u32 s33, 0
	s_mov_b32 s4, -1
	v_cmp_lt_u32_e32 vcc_lo, 7, v81
	s_cbranch_scc0 .LBB1600_135
; %bb.115:
	v_mov_b32_dpp v6, v84 row_shr:1 row_mask:0xf bank_mask:0xf
	v_mov_b32_dpp v5, v85 row_shr:1 row_mask:0xf bank_mask:0xf
	s_mov_b32 s4, exec_lo
	s_delay_alu instid0(VALU_DEP_2) | instskip(SKIP_1) | instid1(VALU_DEP_1)
	v_add_nc_u32_e32 v6, v6, v84
	s_wait_alu 0xf1ff
	v_cndmask_b32_e64 v6, v6, v84, s1
	s_delay_alu instid0(VALU_DEP_1) | instskip(NEXT) | instid1(VALU_DEP_1)
	v_mov_b32_dpp v8, v6 row_shr:2 row_mask:0xf bank_mask:0xf
	v_add_nc_u32_e32 v8, v6, v8
	s_delay_alu instid0(VALU_DEP_1) | instskip(NEXT) | instid1(VALU_DEP_1)
	v_cndmask_b32_e64 v6, v6, v8, s0
	v_mov_b32_dpp v8, v6 row_shr:4 row_mask:0xf bank_mask:0xf
	s_delay_alu instid0(VALU_DEP_1) | instskip(NEXT) | instid1(VALU_DEP_1)
	v_add_nc_u32_e32 v8, v6, v8
	v_cndmask_b32_e64 v6, v6, v8, s3
	s_delay_alu instid0(VALU_DEP_1) | instskip(NEXT) | instid1(VALU_DEP_1)
	v_mov_b32_dpp v8, v6 row_shr:8 row_mask:0xf bank_mask:0xf
	v_add_nc_u32_e32 v8, v6, v8
	s_wait_alu 0xfffd
	s_delay_alu instid0(VALU_DEP_1) | instskip(NEXT) | instid1(VALU_DEP_1)
	v_dual_cndmask_b32 v6, v6, v8 :: v_dual_add_nc_u32 v5, v5, v85
	v_cndmask_b32_e64 v5, v5, v85, s1
	ds_swizzle_b32 v8, v6 offset:swizzle(BROADCAST,32,15)
	v_mov_b32_dpp v7, v5 row_shr:2 row_mask:0xf bank_mask:0xf
	s_delay_alu instid0(VALU_DEP_1) | instskip(NEXT) | instid1(VALU_DEP_1)
	v_add_nc_u32_e32 v7, v5, v7
	v_cndmask_b32_e64 v5, v5, v7, s0
	s_delay_alu instid0(VALU_DEP_1) | instskip(SKIP_2) | instid1(VALU_DEP_2)
	v_mov_b32_dpp v7, v5 row_shr:4 row_mask:0xf bank_mask:0xf
	s_wait_dscnt 0x0
	v_add_nc_u32_e32 v8, v6, v8
	v_add_nc_u32_e32 v7, v5, v7
	s_delay_alu instid0(VALU_DEP_1) | instskip(NEXT) | instid1(VALU_DEP_1)
	v_cndmask_b32_e64 v5, v5, v7, s3
	v_mov_b32_dpp v7, v5 row_shr:8 row_mask:0xf bank_mask:0xf
	s_delay_alu instid0(VALU_DEP_1) | instskip(NEXT) | instid1(VALU_DEP_1)
	v_add_nc_u32_e32 v7, v5, v7
	v_cndmask_b32_e32 v5, v5, v7, vcc_lo
	v_cmp_eq_u32_e32 vcc_lo, 0, v83
	ds_swizzle_b32 v7, v5 offset:swizzle(BROADCAST,32,15)
	s_wait_dscnt 0x0
	v_add_nc_u32_e32 v7, v5, v7
	v_cmpx_eq_u32_e64 v0, v82
; %bb.116:
	s_wait_alu 0xfffd
	s_delay_alu instid0(VALU_DEP_2)
	v_dual_cndmask_b32 v10, v7, v5 :: v_dual_lshlrev_b32 v11, 3, v80
	v_cndmask_b32_e32 v9, v8, v6, vcc_lo
	ds_store_b64 v11, v[9:10]
; %bb.117:
	s_wait_alu 0xfffe
	s_or_b32 exec_lo, exec_lo, s4
	s_delay_alu instid0(SALU_CYCLE_1)
	s_mov_b32 s4, exec_lo
	s_wait_loadcnt_dscnt 0x0
	s_barrier_signal -1
	s_barrier_wait -1
	global_inv scope:SCOPE_SE
	v_cmpx_gt_u32_e32 8, v0
	s_cbranch_execz .LBB1600_119
; %bb.118:
	v_lshlrev_b32_e32 v11, 3, v0
	v_and_b32_e32 v26, 7, v79
	ds_load_b64 v[9:10], v11
	v_cmp_eq_u32_e64 s3, 0, v26
	s_wait_dscnt 0x0
	v_mov_b32_dpp v12, v9 row_shr:1 row_mask:0xf bank_mask:0xf
	v_mov_b32_dpp v25, v10 row_shr:1 row_mask:0xf bank_mask:0xf
	s_delay_alu instid0(VALU_DEP_2) | instskip(NEXT) | instid1(VALU_DEP_2)
	v_add_nc_u32_e32 v12, v12, v9
	v_add_nc_u32_e32 v25, v25, v10
	s_wait_alu 0xf1ff
	s_delay_alu instid0(VALU_DEP_2) | instskip(NEXT) | instid1(VALU_DEP_2)
	v_cndmask_b32_e64 v9, v12, v9, s3
	v_cndmask_b32_e64 v10, v25, v10, s3
	v_cmp_lt_u32_e64 s3, 1, v26
	s_delay_alu instid0(VALU_DEP_3) | instskip(NEXT) | instid1(VALU_DEP_3)
	v_mov_b32_dpp v12, v9 row_shr:2 row_mask:0xf bank_mask:0xf
	v_mov_b32_dpp v25, v10 row_shr:2 row_mask:0xf bank_mask:0xf
	s_delay_alu instid0(VALU_DEP_2) | instskip(NEXT) | instid1(VALU_DEP_2)
	v_add_nc_u32_e32 v12, v9, v12
	v_add_nc_u32_e32 v25, v10, v25
	s_wait_alu 0xf1ff
	s_delay_alu instid0(VALU_DEP_2) | instskip(NEXT) | instid1(VALU_DEP_2)
	v_cndmask_b32_e64 v9, v9, v12, s3
	v_cndmask_b32_e64 v10, v10, v25, s3
	v_cmp_lt_u32_e64 s3, 3, v26
	s_delay_alu instid0(VALU_DEP_3) | instskip(NEXT) | instid1(VALU_DEP_3)
	v_mov_b32_dpp v12, v9 row_shr:4 row_mask:0xf bank_mask:0xf
	v_mov_b32_dpp v25, v10 row_shr:4 row_mask:0xf bank_mask:0xf
	s_wait_alu 0xf1ff
	s_delay_alu instid0(VALU_DEP_2) | instskip(NEXT) | instid1(VALU_DEP_2)
	v_cndmask_b32_e64 v12, 0, v12, s3
	v_cndmask_b32_e64 v25, 0, v25, s3
	s_delay_alu instid0(VALU_DEP_2) | instskip(NEXT) | instid1(VALU_DEP_2)
	v_add_nc_u32_e32 v9, v12, v9
	v_add_nc_u32_e32 v10, v25, v10
	ds_store_b64 v11, v[9:10]
.LBB1600_119:
	s_wait_alu 0xfffe
	s_or_b32 exec_lo, exec_lo, s4
	v_dual_cndmask_b32 v5, v7, v5 :: v_dual_cndmask_b32 v6, v8, v6
	s_mov_b32 s4, exec_lo
	v_cmp_gt_u32_e32 vcc_lo, 32, v0
	s_wait_loadcnt_dscnt 0x0
	s_barrier_signal -1
	s_barrier_wait -1
	global_inv scope:SCOPE_SE
                                        ; implicit-def: $vgpr25
	v_cmpx_lt_u32_e32 31, v0
	s_cbranch_execz .LBB1600_121
; %bb.120:
	v_lshl_add_u32 v7, v80, 3, -8
	ds_load_b64 v[25:26], v7
	s_wait_dscnt 0x0
	v_add_nc_u32_e32 v5, v26, v5
	v_add_nc_u32_e32 v6, v25, v6
.LBB1600_121:
	s_wait_alu 0xfffe
	s_or_b32 exec_lo, exec_lo, s4
	v_sub_co_u32 v7, s3, v79, 1
	s_delay_alu instid0(VALU_DEP_1) | instskip(SKIP_1) | instid1(VALU_DEP_1)
	v_cmp_gt_i32_e64 s4, 0, v7
	s_wait_alu 0xf1ff
	v_cndmask_b32_e64 v7, v7, v79, s4
	s_delay_alu instid0(VALU_DEP_1)
	v_lshlrev_b32_e32 v7, 2, v7
	ds_bpermute_b32 v86, v7, v6
	ds_bpermute_b32 v87, v7, v5
	s_and_saveexec_b32 s4, vcc_lo
	s_cbranch_execz .LBB1600_140
; %bb.122:
	v_mov_b32_e32 v8, 0
	ds_load_b64 v[5:6], v8 offset:56
	s_and_saveexec_b32 s5, s3
	s_cbranch_execz .LBB1600_124
; %bb.123:
	s_add_co_i32 s6, s33, 32
	s_mov_b32 s7, 0
	s_wait_alu 0xfffe
	s_lshl_b64 s[6:7], s[6:7], 4
	s_wait_alu 0xfffe
	s_add_nc_u64 s[6:7], s[36:37], s[6:7]
	s_wait_alu 0xfffe
	v_dual_mov_b32 v7, 1 :: v_dual_mov_b32 v10, s7
	v_mov_b32_e32 v9, s6
	s_wait_dscnt 0x0
	;;#ASMSTART
	global_store_b128 v[9:10], v[5:8] off scope:SCOPE_DEV	
s_wait_storecnt 0x0
	;;#ASMEND
.LBB1600_124:
	s_wait_alu 0xfffe
	s_or_b32 exec_lo, exec_lo, s5
	v_xad_u32 v27, v79, -1, s33
	s_mov_b32 s6, 0
	s_mov_b32 s5, exec_lo
	s_delay_alu instid0(VALU_DEP_1) | instskip(NEXT) | instid1(VALU_DEP_1)
	v_add_nc_u32_e32 v7, 32, v27
	v_lshlrev_b64_e32 v[7:8], 4, v[7:8]
	s_delay_alu instid0(VALU_DEP_1) | instskip(SKIP_1) | instid1(VALU_DEP_2)
	v_add_co_u32 v7, vcc_lo, s36, v7
	s_wait_alu 0xfffd
	v_add_co_ci_u32_e64 v8, null, s37, v8, vcc_lo
	;;#ASMSTART
	global_load_b128 v[9:12], v[7:8] off scope:SCOPE_DEV	
s_wait_loadcnt 0x0
	;;#ASMEND
	v_and_b32_e32 v12, 0xff, v11
	s_delay_alu instid0(VALU_DEP_1)
	v_cmpx_eq_u16_e32 0, v12
	s_cbranch_execz .LBB1600_127
.LBB1600_125:                           ; =>This Inner Loop Header: Depth=1
	;;#ASMSTART
	global_load_b128 v[9:12], v[7:8] off scope:SCOPE_DEV	
s_wait_loadcnt 0x0
	;;#ASMEND
	v_and_b32_e32 v12, 0xff, v11
	s_delay_alu instid0(VALU_DEP_1)
	v_cmp_ne_u16_e32 vcc_lo, 0, v12
	s_wait_alu 0xfffe
	s_or_b32 s6, vcc_lo, s6
	s_wait_alu 0xfffe
	s_and_not1_b32 exec_lo, exec_lo, s6
	s_cbranch_execnz .LBB1600_125
; %bb.126:
	s_or_b32 exec_lo, exec_lo, s6
.LBB1600_127:
	s_wait_alu 0xfffe
	s_or_b32 exec_lo, exec_lo, s5
	v_cmp_ne_u32_e32 vcc_lo, 31, v79
	v_lshlrev_b32_e64 v89, v79, -1
	v_add_nc_u32_e32 v91, 2, v79
	v_add_nc_u32_e32 v93, 4, v79
	;; [unrolled: 1-line block ×3, first 2 shown]
	s_wait_alu 0xfffd
	v_add_co_ci_u32_e64 v7, null, 0, v79, vcc_lo
	v_lshl_or_b32 v96, v79, 2, 64
	v_add_nc_u32_e32 v97, 16, v79
	s_delay_alu instid0(VALU_DEP_3) | instskip(SKIP_4) | instid1(VALU_DEP_1)
	v_lshlrev_b32_e32 v88, 2, v7
	ds_bpermute_b32 v8, v88, v10
	s_wait_dscnt 0x0
	v_add_nc_u32_e32 v8, v8, v10
	v_and_b32_e32 v7, 0xff, v11
	v_cmp_eq_u16_e32 vcc_lo, 2, v7
	ds_bpermute_b32 v7, v88, v9
	s_wait_dscnt 0x0
	v_add_nc_u32_e32 v7, v7, v9
	s_wait_alu 0xfffd
	v_and_b32_e32 v12, vcc_lo, v89
	v_cmp_gt_u32_e32 vcc_lo, 30, v79
	s_delay_alu instid0(VALU_DEP_2) | instskip(SKIP_2) | instid1(VALU_DEP_2)
	v_or_b32_e32 v12, 0x80000000, v12
	s_wait_alu 0xfffd
	v_cndmask_b32_e64 v28, 0, 2, vcc_lo
	v_ctz_i32_b32_e32 v12, v12
	s_delay_alu instid0(VALU_DEP_2) | instskip(NEXT) | instid1(VALU_DEP_2)
	v_add_lshl_u32 v90, v28, v79, 2
	v_cmp_lt_u32_e32 vcc_lo, v79, v12
	s_wait_alu 0xfffd
	v_dual_cndmask_b32 v8, v10, v8 :: v_dual_cndmask_b32 v7, v9, v7
	v_cmp_gt_u32_e32 vcc_lo, 28, v79
	ds_bpermute_b32 v9, v90, v8
	ds_bpermute_b32 v10, v90, v7
	s_wait_alu 0xfffd
	v_cndmask_b32_e64 v28, 0, 4, vcc_lo
	v_cmp_gt_u32_e32 vcc_lo, v91, v12
	s_delay_alu instid0(VALU_DEP_2)
	v_add_lshl_u32 v92, v28, v79, 2
	s_wait_dscnt 0x1
	v_add_nc_u32_e32 v9, v8, v9
	s_wait_dscnt 0x0
	v_add_nc_u32_e32 v10, v7, v10
	s_wait_alu 0xfffd
	s_delay_alu instid0(VALU_DEP_1)
	v_dual_cndmask_b32 v8, v9, v8 :: v_dual_cndmask_b32 v7, v10, v7
	v_cmp_gt_u32_e32 vcc_lo, 24, v79
	ds_bpermute_b32 v9, v92, v8
	ds_bpermute_b32 v10, v92, v7
	s_wait_alu 0xfffd
	v_cndmask_b32_e64 v28, 0, 8, vcc_lo
	v_cmp_gt_u32_e32 vcc_lo, v93, v12
	s_delay_alu instid0(VALU_DEP_2)
	v_add_lshl_u32 v94, v28, v79, 2
	s_wait_dscnt 0x1
	v_dual_mov_b32 v28, 0 :: v_dual_add_nc_u32 v9, v8, v9
	s_wait_dscnt 0x0
	v_add_nc_u32_e32 v10, v7, v10
	s_wait_alu 0xfffd
	s_delay_alu instid0(VALU_DEP_1)
	v_dual_cndmask_b32 v8, v9, v8 :: v_dual_cndmask_b32 v7, v10, v7
	v_cmp_gt_u32_e32 vcc_lo, v95, v12
	ds_bpermute_b32 v9, v94, v8
	ds_bpermute_b32 v10, v94, v7
	s_wait_dscnt 0x1
	v_add_nc_u32_e32 v9, v8, v9
	s_wait_dscnt 0x0
	v_add_nc_u32_e32 v10, v7, v10
	s_wait_alu 0xfffd
	s_delay_alu instid0(VALU_DEP_1)
	v_dual_cndmask_b32 v8, v9, v8 :: v_dual_cndmask_b32 v7, v10, v7
	v_cmp_le_u32_e32 vcc_lo, v97, v12
	ds_bpermute_b32 v10, v96, v8
	ds_bpermute_b32 v9, v96, v7
	s_wait_dscnt 0x0
	s_wait_alu 0xfffd
	v_dual_cndmask_b32 v10, 0, v10 :: v_dual_cndmask_b32 v9, 0, v9
	s_delay_alu instid0(VALU_DEP_1) | instskip(NEXT) | instid1(VALU_DEP_2)
	v_add_nc_u32_e32 v10, v10, v8
	v_add_nc_u32_e32 v9, v9, v7
	s_branch .LBB1600_131
.LBB1600_128:                           ;   in Loop: Header=BB1600_131 Depth=1
	s_or_b32 exec_lo, exec_lo, s6
.LBB1600_129:                           ;   in Loop: Header=BB1600_131 Depth=1
	s_wait_alu 0xfffe
	s_or_b32 exec_lo, exec_lo, s5
	ds_bpermute_b32 v12, v88, v9
	ds_bpermute_b32 v29, v88, v10
	v_subrev_nc_u32_e32 v27, 32, v27
	s_mov_b32 s5, 0
	s_wait_dscnt 0x1
	v_add_nc_u32_e32 v12, v12, v9
	v_and_b32_e32 v30, 0xff, v11
	s_wait_dscnt 0x0
	v_add_nc_u32_e32 v29, v29, v10
	s_delay_alu instid0(VALU_DEP_2) | instskip(SKIP_2) | instid1(VALU_DEP_1)
	v_cmp_eq_u16_e32 vcc_lo, 2, v30
	s_wait_alu 0xfffd
	v_and_or_b32 v30, vcc_lo, v89, 0x80000000
	v_ctz_i32_b32_e32 v30, v30
	s_delay_alu instid0(VALU_DEP_1)
	v_cmp_lt_u32_e32 vcc_lo, v79, v30
	s_wait_alu 0xfffd
	v_dual_cndmask_b32 v10, v10, v29 :: v_dual_cndmask_b32 v9, v9, v12
	v_cmp_gt_u32_e32 vcc_lo, v91, v30
	ds_bpermute_b32 v29, v90, v10
	ds_bpermute_b32 v12, v90, v9
	s_wait_dscnt 0x1
	v_add_nc_u32_e32 v29, v10, v29
	s_wait_dscnt 0x0
	v_add_nc_u32_e32 v12, v9, v12
	s_wait_alu 0xfffd
	s_delay_alu instid0(VALU_DEP_1)
	v_dual_cndmask_b32 v10, v29, v10 :: v_dual_cndmask_b32 v9, v12, v9
	v_cmp_gt_u32_e32 vcc_lo, v93, v30
	ds_bpermute_b32 v29, v92, v10
	ds_bpermute_b32 v12, v92, v9
	s_wait_dscnt 0x1
	v_add_nc_u32_e32 v29, v10, v29
	s_wait_dscnt 0x0
	v_add_nc_u32_e32 v12, v9, v12
	s_wait_alu 0xfffd
	s_delay_alu instid0(VALU_DEP_1)
	;; [unrolled: 10-line block ×3, first 2 shown]
	v_dual_cndmask_b32 v10, v29, v10 :: v_dual_cndmask_b32 v9, v12, v9
	v_cmp_le_u32_e32 vcc_lo, v97, v30
	ds_bpermute_b32 v29, v96, v10
	ds_bpermute_b32 v12, v96, v9
	s_wait_dscnt 0x0
	s_wait_alu 0xfffd
	v_dual_cndmask_b32 v29, 0, v29 :: v_dual_cndmask_b32 v12, 0, v12
	s_delay_alu instid0(VALU_DEP_1) | instskip(NEXT) | instid1(VALU_DEP_2)
	v_add3_u32 v10, v10, v8, v29
	v_add3_u32 v9, v9, v7, v12
.LBB1600_130:                           ;   in Loop: Header=BB1600_131 Depth=1
	s_wait_alu 0xfffe
	s_and_b32 vcc_lo, exec_lo, s5
	s_wait_alu 0xfffe
	s_cbranch_vccnz .LBB1600_136
.LBB1600_131:                           ; =>This Loop Header: Depth=1
                                        ;     Child Loop BB1600_134 Depth 2
	v_and_b32_e32 v7, 0xff, v11
	s_mov_b32 s5, -1
                                        ; implicit-def: $vgpr11
	s_delay_alu instid0(VALU_DEP_1)
	v_cmp_ne_u16_e32 vcc_lo, 2, v7
	v_dual_mov_b32 v7, v9 :: v_dual_mov_b32 v8, v10
                                        ; implicit-def: $vgpr9_vgpr10
	s_cmp_lg_u32 vcc_lo, exec_lo
	s_cbranch_scc1 .LBB1600_130
; %bb.132:                              ;   in Loop: Header=BB1600_131 Depth=1
	v_lshlrev_b64_e32 v[9:10], 4, v[27:28]
	s_mov_b32 s5, exec_lo
	s_delay_alu instid0(VALU_DEP_1) | instskip(SKIP_1) | instid1(VALU_DEP_2)
	v_add_co_u32 v29, vcc_lo, s36, v9
	s_wait_alu 0xfffd
	v_add_co_ci_u32_e64 v30, null, s37, v10, vcc_lo
	;;#ASMSTART
	global_load_b128 v[9:12], v[29:30] off scope:SCOPE_DEV	
s_wait_loadcnt 0x0
	;;#ASMEND
	v_and_b32_e32 v12, 0xff, v11
	s_delay_alu instid0(VALU_DEP_1)
	v_cmpx_eq_u16_e32 0, v12
	s_cbranch_execz .LBB1600_129
; %bb.133:                              ;   in Loop: Header=BB1600_131 Depth=1
	s_mov_b32 s6, 0
.LBB1600_134:                           ;   Parent Loop BB1600_131 Depth=1
                                        ; =>  This Inner Loop Header: Depth=2
	;;#ASMSTART
	global_load_b128 v[9:12], v[29:30] off scope:SCOPE_DEV	
s_wait_loadcnt 0x0
	;;#ASMEND
	v_and_b32_e32 v12, 0xff, v11
	s_delay_alu instid0(VALU_DEP_1)
	v_cmp_ne_u16_e32 vcc_lo, 0, v12
	s_wait_alu 0xfffe
	s_or_b32 s6, vcc_lo, s6
	s_wait_alu 0xfffe
	s_and_not1_b32 exec_lo, exec_lo, s6
	s_cbranch_execnz .LBB1600_134
	s_branch .LBB1600_128
.LBB1600_135:
                                        ; implicit-def: $vgpr29
                                        ; implicit-def: $vgpr7
                                        ; implicit-def: $vgpr86
	s_wait_alu 0xfffe
	s_and_b32 vcc_lo, exec_lo, s4
	s_wait_alu 0xfffe
	s_cbranch_vccnz .LBB1600_141
	s_branch .LBB1600_150
.LBB1600_136:
	s_and_saveexec_b32 s5, s3
	s_cbranch_execnz .LBB1600_378
; %bb.137:
	s_wait_alu 0xfffe
	s_or_b32 exec_lo, exec_lo, s5
	s_and_saveexec_b32 s5, s3
	s_cbranch_execnz .LBB1600_379
.LBB1600_138:
	s_wait_alu 0xfffe
	s_or_b32 exec_lo, exec_lo, s5
	s_delay_alu instid0(SALU_CYCLE_1)
	s_and_b32 exec_lo, exec_lo, s2
.LBB1600_139:
	v_mov_b32_e32 v5, 0
	ds_store_b64 v5, v[7:8] offset:56
.LBB1600_140:
	s_wait_alu 0xfffe
	s_or_b32 exec_lo, exec_lo, s4
	s_wait_dscnt 0x1
	v_cndmask_b32_e64 v12, v86, v25, s3
	v_mov_b32_e32 v5, 0
	s_wait_loadcnt_dscnt 0x0
	s_barrier_signal -1
	s_barrier_wait -1
	global_inv scope:SCOPE_SE
	ds_load_b64 v[9:10], v5 offset:56
	s_wait_loadcnt_dscnt 0x0
	s_barrier_signal -1
	s_barrier_wait -1
	global_inv scope:SCOPE_SE
	v_cndmask_b32_e64 v11, v87, v26, s3
	v_add_nc_u32_e32 v12, v9, v12
	ds_load_b128 v[5:8], v5 offset:13312
	v_add_nc_u32_e32 v11, v10, v11
	v_cndmask_b32_e64 v86, v12, v9, s2
	s_delay_alu instid0(VALU_DEP_2)
	v_cndmask_b32_e64 v29, v11, v10, s2
	s_branch .LBB1600_150
.LBB1600_141:
	s_wait_dscnt 0x0
	v_mov_b32_dpp v5, v84 row_shr:1 row_mask:0xf bank_mask:0xf
	v_cmp_lt_u32_e32 vcc_lo, 3, v81
	v_mov_b32_dpp v6, v85 row_shr:1 row_mask:0xf bank_mask:0xf
	s_delay_alu instid0(VALU_DEP_3) | instskip(NEXT) | instid1(VALU_DEP_1)
	v_add_nc_u32_e32 v5, v5, v84
	v_cndmask_b32_e64 v5, v5, v84, s1
	s_delay_alu instid0(VALU_DEP_1) | instskip(NEXT) | instid1(VALU_DEP_1)
	v_mov_b32_dpp v7, v5 row_shr:2 row_mask:0xf bank_mask:0xf
	v_add_nc_u32_e32 v7, v5, v7
	s_delay_alu instid0(VALU_DEP_1) | instskip(NEXT) | instid1(VALU_DEP_1)
	v_cndmask_b32_e64 v5, v5, v7, s0
	v_mov_b32_dpp v7, v5 row_shr:4 row_mask:0xf bank_mask:0xf
	s_delay_alu instid0(VALU_DEP_1) | instskip(SKIP_1) | instid1(VALU_DEP_1)
	v_add_nc_u32_e32 v7, v5, v7
	s_wait_alu 0xfffd
	v_dual_cndmask_b32 v7, v5, v7 :: v_dual_add_nc_u32 v6, v6, v85
	s_delay_alu instid0(VALU_DEP_1) | instskip(SKIP_1) | instid1(VALU_DEP_2)
	v_cndmask_b32_e64 v6, v6, v85, s1
	s_mov_b32 s1, exec_lo
	v_mov_b32_dpp v5, v7 row_shr:8 row_mask:0xf bank_mask:0xf
	s_delay_alu instid0(VALU_DEP_2) | instskip(NEXT) | instid1(VALU_DEP_2)
	v_mov_b32_dpp v8, v6 row_shr:2 row_mask:0xf bank_mask:0xf
	v_add_nc_u32_e32 v9, v7, v5
	s_delay_alu instid0(VALU_DEP_2) | instskip(NEXT) | instid1(VALU_DEP_1)
	v_add_nc_u32_e32 v8, v6, v8
	v_cndmask_b32_e64 v6, v6, v8, s0
	s_delay_alu instid0(VALU_DEP_1) | instskip(NEXT) | instid1(VALU_DEP_1)
	v_mov_b32_dpp v8, v6 row_shr:4 row_mask:0xf bank_mask:0xf
	v_add_nc_u32_e32 v8, v6, v8
	s_delay_alu instid0(VALU_DEP_1) | instskip(SKIP_1) | instid1(VALU_DEP_2)
	v_cndmask_b32_e32 v6, v6, v8, vcc_lo
	v_cmp_lt_u32_e32 vcc_lo, 7, v81
	v_mov_b32_dpp v8, v6 row_shr:8 row_mask:0xf bank_mask:0xf
	s_delay_alu instid0(VALU_DEP_1) | instskip(SKIP_1) | instid1(VALU_DEP_1)
	v_add_nc_u32_e32 v5, v6, v8
	s_wait_alu 0xfffd
	v_cndmask_b32_e32 v5, v6, v5, vcc_lo
	v_cndmask_b32_e32 v6, v7, v9, vcc_lo
	v_cmp_eq_u32_e32 vcc_lo, 0, v83
	ds_swizzle_b32 v7, v5 offset:swizzle(BROADCAST,32,15)
	ds_swizzle_b32 v8, v6 offset:swizzle(BROADCAST,32,15)
	s_wait_dscnt 0x1
	v_add_nc_u32_e32 v7, v5, v7
	s_wait_dscnt 0x0
	v_add_nc_u32_e32 v8, v6, v8
	v_cmpx_eq_u32_e64 v0, v82
; %bb.142:
	s_wait_alu 0xfffd
	s_delay_alu instid0(VALU_DEP_2)
	v_dual_cndmask_b32 v9, v8, v6 :: v_dual_cndmask_b32 v10, v7, v5
	v_lshlrev_b32_e32 v11, 3, v80
	ds_store_b64 v11, v[9:10]
; %bb.143:
	s_wait_alu 0xfffe
	s_or_b32 exec_lo, exec_lo, s1
	s_delay_alu instid0(SALU_CYCLE_1)
	s_mov_b32 s1, exec_lo
	s_wait_loadcnt_dscnt 0x0
	s_barrier_signal -1
	s_barrier_wait -1
	global_inv scope:SCOPE_SE
	v_cmpx_gt_u32_e32 8, v0
	s_cbranch_execz .LBB1600_145
; %bb.144:
	v_lshlrev_b32_e32 v11, 3, v0
	v_and_b32_e32 v26, 7, v79
	ds_load_b64 v[9:10], v11
	v_cmp_eq_u32_e64 s0, 0, v26
	s_wait_dscnt 0x0
	v_mov_b32_dpp v12, v9 row_shr:1 row_mask:0xf bank_mask:0xf
	v_mov_b32_dpp v25, v10 row_shr:1 row_mask:0xf bank_mask:0xf
	s_delay_alu instid0(VALU_DEP_2) | instskip(NEXT) | instid1(VALU_DEP_2)
	v_add_nc_u32_e32 v12, v12, v9
	v_add_nc_u32_e32 v25, v25, v10
	s_wait_alu 0xf1ff
	s_delay_alu instid0(VALU_DEP_2) | instskip(NEXT) | instid1(VALU_DEP_2)
	v_cndmask_b32_e64 v9, v12, v9, s0
	v_cndmask_b32_e64 v10, v25, v10, s0
	v_cmp_lt_u32_e64 s0, 1, v26
	s_delay_alu instid0(VALU_DEP_3) | instskip(NEXT) | instid1(VALU_DEP_3)
	v_mov_b32_dpp v12, v9 row_shr:2 row_mask:0xf bank_mask:0xf
	v_mov_b32_dpp v25, v10 row_shr:2 row_mask:0xf bank_mask:0xf
	s_delay_alu instid0(VALU_DEP_2) | instskip(NEXT) | instid1(VALU_DEP_2)
	v_add_nc_u32_e32 v12, v9, v12
	v_add_nc_u32_e32 v25, v10, v25
	s_wait_alu 0xf1ff
	s_delay_alu instid0(VALU_DEP_2) | instskip(NEXT) | instid1(VALU_DEP_2)
	v_cndmask_b32_e64 v9, v9, v12, s0
	v_cndmask_b32_e64 v10, v10, v25, s0
	v_cmp_lt_u32_e64 s0, 3, v26
	s_delay_alu instid0(VALU_DEP_3) | instskip(NEXT) | instid1(VALU_DEP_3)
	v_mov_b32_dpp v12, v9 row_shr:4 row_mask:0xf bank_mask:0xf
	v_mov_b32_dpp v25, v10 row_shr:4 row_mask:0xf bank_mask:0xf
	s_wait_alu 0xf1ff
	s_delay_alu instid0(VALU_DEP_2) | instskip(NEXT) | instid1(VALU_DEP_2)
	v_cndmask_b32_e64 v12, 0, v12, s0
	v_cndmask_b32_e64 v25, 0, v25, s0
	s_delay_alu instid0(VALU_DEP_2) | instskip(NEXT) | instid1(VALU_DEP_2)
	v_add_nc_u32_e32 v9, v12, v9
	v_add_nc_u32_e32 v10, v25, v10
	ds_store_b64 v11, v[9:10]
.LBB1600_145:
	s_wait_alu 0xfffe
	s_or_b32 exec_lo, exec_lo, s1
	v_dual_mov_b32 v11, 0 :: v_dual_mov_b32 v10, 0
	v_mov_b32_e32 v9, 0
	s_mov_b32 s1, exec_lo
	s_wait_loadcnt_dscnt 0x0
	s_barrier_signal -1
	s_barrier_wait -1
	global_inv scope:SCOPE_SE
	v_cmpx_lt_u32_e32 31, v0
; %bb.146:
	v_lshl_add_u32 v9, v80, 3, -8
	ds_load_b64 v[9:10], v9
; %bb.147:
	s_wait_alu 0xfffe
	s_or_b32 exec_lo, exec_lo, s1
	v_sub_co_u32 v12, s0, v79, 1
	v_dual_cndmask_b32 v6, v8, v6 :: v_dual_cndmask_b32 v5, v7, v5
	s_delay_alu instid0(VALU_DEP_2) | instskip(SKIP_1) | instid1(VALU_DEP_2)
	v_cmp_gt_i32_e64 s1, 0, v12
	s_wait_dscnt 0x0
	v_add_nc_u32_e32 v6, v9, v6
	s_delay_alu instid0(VALU_DEP_3) | instskip(SKIP_2) | instid1(VALU_DEP_1)
	v_add_nc_u32_e32 v5, v10, v5
	s_wait_alu 0xf1ff
	v_cndmask_b32_e64 v8, v12, v79, s1
	v_lshlrev_b32_e32 v7, 2, v8
	ds_bpermute_b32 v12, v7, v6
	ds_bpermute_b32 v25, v7, v5
	ds_load_b64 v[5:6], v11 offset:56
	s_and_saveexec_b32 s1, s2
	s_cbranch_execz .LBB1600_149
; %bb.148:
	s_add_nc_u64 s[4:5], s[36:37], 0x200
	v_dual_mov_b32 v7, 2 :: v_dual_mov_b32 v8, 0
	s_wait_alu 0xfffe
	v_dual_mov_b32 v27, s5 :: v_dual_mov_b32 v26, s4
	s_wait_dscnt 0x0
	;;#ASMSTART
	global_store_b128 v[26:27], v[5:8] off scope:SCOPE_DEV	
s_wait_storecnt 0x0
	;;#ASMEND
.LBB1600_149:
	s_wait_alu 0xfffe
	s_or_b32 exec_lo, exec_lo, s1
	s_wait_dscnt 0x1
	v_cndmask_b32_e64 v7, v25, v10, s0
	v_cndmask_b32_e64 v9, v12, v9, s0
	v_mov_b32_e32 v8, 0
	s_wait_loadcnt_dscnt 0x0
	s_barrier_signal -1
	v_cndmask_b32_e64 v29, v7, 0, s2
	v_cndmask_b32_e64 v86, v9, 0, s2
	v_mov_b32_e32 v7, 0
	s_barrier_wait -1
	global_inv scope:SCOPE_SE
.LBB1600_150:
	v_lshrrev_b32_e32 v81, 8, v54
	s_wait_dscnt 0x0
	v_add_co_u32 v1, vcc_lo, v1, v7
	s_wait_alu 0xfffd
	v_add_co_ci_u32_e64 v2, null, 0, v2, vcc_lo
	v_and_b32_e32 v81, 1, v81
	v_sub_co_u32 v84, vcc_lo, v3, v5
	s_wait_alu 0xfffd
	v_subrev_co_ci_u32_e64 v85, null, 0, v4, vcc_lo
	s_delay_alu instid0(VALU_DEP_3)
	v_cmp_eq_u32_e32 vcc_lo, 1, v81
	v_add_nc_u32_e32 v78, v29, v78
	v_sub_nc_u32_e32 v29, v29, v8
	v_lshlrev_b32_e32 v87, 1, v5
	v_lshrrev_b32_e32 v79, 16, v54
	v_lshrrev_b32_e32 v80, 8, v47
	v_add_nc_u32_e32 v75, v78, v75
	v_sub_nc_u32_e32 v78, v78, v8
	v_add_nc_u32_e32 v29, v29, v5
	v_add3_u32 v90, v87, v6, v46
	v_and_b32_e32 v79, 1, v79
	v_lshrrev_b32_e32 v30, 16, v47
	v_add_nc_u32_e32 v78, v78, v5
	v_add_nc_u32_e32 v77, v86, v77
	v_sub_nc_u32_e32 v86, v86, v7
	v_and_b32_e32 v47, 1, v47
	v_and_b32_e32 v80, 1, v80
	;; [unrolled: 1-line block ×3, first 2 shown]
	v_add_nc_u32_e32 v74, v77, v74
	v_sub_nc_u32_e32 v77, v77, v7
	v_add_nc_u32_e32 v46, v86, v29
	v_lshrrev_b32_e32 v28, 8, v48
	v_lshrrev_b32_e32 v27, 16, v48
	v_and_b32_e32 v48, 1, v48
	v_add_nc_u32_e32 v91, v78, v77
	v_sub_nc_u32_e32 v46, v90, v46
	v_and_b32_e32 v28, 1, v28
	v_lshrrev_b32_e32 v25, 16, v49
	v_lshrrev_b32_e32 v26, 8, v49
	v_sub_nc_u32_e32 v91, v90, v91
	s_wait_alu 0xfffd
	v_cndmask_b32_e32 v29, v46, v29, vcc_lo
	v_cmp_eq_u32_e32 vcc_lo, 1, v79
	v_lshrrev_b32_e32 v12, 8, v51
	v_and_b32_e32 v26, 1, v26
	v_add_nc_u32_e32 v91, 1, v91
	v_lshrrev_b32_e32 v10, 16, v51
	v_lshrrev_b32_e32 v11, 8, v52
	v_and_b32_e32 v12, 1, v12
	v_lshrrev_b32_e32 v9, 16, v52
	s_wait_alu 0xfffd
	v_cndmask_b32_e32 v46, v91, v78, vcc_lo
	v_cmp_eq_u32_e32 vcc_lo, 1, v47
	v_add_nc_u32_e32 v82, v75, v60
	v_sub_nc_u32_e32 v75, v75, v8
	v_and_b32_e32 v60, 1, v60
	v_and_b32_e32 v10, 1, v10
	s_wait_alu 0xfffd
	v_cndmask_b32_e32 v29, v29, v86, vcc_lo
	v_cmp_eq_u32_e32 vcc_lo, 1, v80
	v_add_nc_u32_e32 v75, v75, v5
	v_sub_nc_u32_e32 v80, v82, v8
	v_and_b32_e32 v11, 1, v11
	v_lshlrev_b32_e32 v29, 2, v29
	s_wait_alu 0xfffd
	v_cndmask_b32_e32 v77, v46, v77, vcc_lo
	v_add_nc_u32_e32 v76, v74, v76
	v_sub_nc_u32_e32 v74, v74, v7
	v_add_co_u32 v46, vcc_lo, v84, v8
	s_wait_alu 0xfffd
	v_add_co_ci_u32_e64 v47, null, 0, v85, vcc_lo
	s_delay_alu instid0(VALU_DEP_3)
	v_add_nc_u32_e32 v79, v75, v74
	v_cmp_eq_u32_e32 vcc_lo, 1, v60
	v_add_nc_u32_e32 v83, v76, v59
	v_lshlrev_b32_e32 v77, 2, v77
	ds_store_b32 v29, v23
	ds_store_b32 v77, v24
	v_sub_nc_u32_e32 v79, v90, v79
	v_and_b32_e32 v9, 1, v9
	s_delay_alu instid0(VALU_DEP_2) | instskip(SKIP_1) | instid1(VALU_DEP_1)
	v_add_nc_u32_e32 v79, 2, v79
	s_wait_alu 0xfffd
	v_dual_cndmask_b32 v60, v79, v75 :: v_dual_add_nc_u32 v73, v82, v73
	s_delay_alu instid0(VALU_DEP_1)
	v_add_nc_u32_e32 v72, v73, v72
	v_sub_nc_u32_e32 v75, v76, v7
	v_sub_nc_u32_e32 v73, v73, v8
	v_add_nc_u32_e32 v76, v80, v5
	v_cmp_eq_u32_e32 vcc_lo, 1, v30
	s_wait_alu 0xfffd
	s_delay_alu instid0(VALU_DEP_3)
	v_dual_cndmask_b32 v30, v60, v74 :: v_dual_add_nc_u32 v73, v73, v5
	v_sub_nc_u32_e32 v60, v83, v7
	v_add_nc_u32_e32 v74, v75, v76
	v_cmp_eq_u32_e32 vcc_lo, 1, v48
	v_and_b32_e32 v48, 1, v49
	v_lshlrev_b32_e32 v23, 2, v30
	v_add_nc_u32_e32 v24, v60, v73
	v_sub_nc_u32_e32 v29, v90, v74
	v_and_b32_e32 v30, 1, v59
	v_sub_nc_u32_e32 v59, v72, v8
	ds_store_b32 v23, v21
	v_sub_nc_u32_e32 v24, v90, v24
	v_add_nc_u32_e32 v29, 3, v29
	v_and_b32_e32 v23, 1, v27
	v_add_nc_u32_e32 v59, v59, v5
	s_delay_alu instid0(VALU_DEP_4)
	v_add_nc_u32_e32 v24, 4, v24
	s_wait_alu 0xfffd
	v_cndmask_b32_e32 v29, v29, v76, vcc_lo
	v_cmp_eq_u32_e32 vcc_lo, 1, v28
	s_wait_alu 0xfffd
	v_dual_cndmask_b32 v24, v24, v73 :: v_dual_add_nc_u32 v71, v83, v71
	s_delay_alu instid0(VALU_DEP_1) | instskip(SKIP_2) | instid1(VALU_DEP_3)
	v_add_nc_u32_e32 v69, v71, v69
	v_sub_nc_u32_e32 v71, v71, v7
	v_cmp_eq_u32_e32 vcc_lo, 1, v30
	v_add_nc_u32_e32 v65, v69, v65
	s_delay_alu instid0(VALU_DEP_3)
	v_add_nc_u32_e32 v49, v71, v59
	s_wait_alu 0xfffd
	v_cndmask_b32_e32 v28, v29, v75, vcc_lo
	v_cmp_eq_u32_e32 vcc_lo, 1, v48
	v_add_nc_u32_e32 v89, v65, v57
	v_sub_nc_u32_e32 v29, v90, v49
	s_delay_alu instid0(VALU_DEP_4)
	v_lshlrev_b32_e32 v21, 2, v28
	s_wait_alu 0xfffd
	v_cndmask_b32_e32 v24, v24, v60, vcc_lo
	v_cmp_eq_u32_e32 vcc_lo, 1, v23
	v_sub_nc_u32_e32 v48, v89, v7
	v_add_nc_u32_e32 v27, 5, v29
	v_add_nc_u32_e32 v66, v89, v66
	v_lshlrev_b32_e32 v24, 2, v24
	ds_store_b32 v21, v22
	ds_store_b32 v24, v19
	s_wait_alu 0xfffd
	v_cndmask_b32_e32 v23, v27, v59, vcc_lo
	v_cmp_eq_u32_e32 vcc_lo, 1, v26
	v_sub_nc_u32_e32 v27, v69, v7
	v_sub_nc_u32_e32 v26, v65, v7
	v_and_b32_e32 v24, 1, v58
	v_add_nc_u32_e32 v63, v66, v63
	s_wait_alu 0xfffd
	v_dual_cndmask_b32 v23, v23, v71 :: v_dual_add_nc_u32 v70, v72, v70
	s_delay_alu instid0(VALU_DEP_3) | instskip(SKIP_1) | instid1(VALU_DEP_3)
	v_cmp_eq_u32_e32 vcc_lo, 1, v24
	v_and_b32_e32 v24, 1, v57
	v_lshlrev_b32_e32 v19, 2, v23
	s_delay_alu instid0(VALU_DEP_4) | instskip(SKIP_3) | instid1(VALU_DEP_4)
	v_add_nc_u32_e32 v88, v70, v58
	v_sub_nc_u32_e32 v28, v70, v8
	v_and_b32_e32 v23, 1, v25
	v_add_nc_u32_e32 v62, v63, v62
	v_sub_nc_u32_e32 v29, v88, v8
	s_delay_alu instid0(VALU_DEP_4) | instskip(SKIP_1) | instid1(VALU_DEP_4)
	v_add_nc_u32_e32 v28, v28, v5
	v_add_nc_u32_e32 v68, v88, v68
	;; [unrolled: 1-line block ×3, first 2 shown]
	s_delay_alu instid0(VALU_DEP_4) | instskip(NEXT) | instid1(VALU_DEP_4)
	v_add_nc_u32_e32 v29, v29, v5
	v_add_nc_u32_e32 v30, v27, v28
	s_delay_alu instid0(VALU_DEP_4) | instskip(SKIP_1) | instid1(VALU_DEP_4)
	v_sub_nc_u32_e32 v25, v68, v8
	v_add_nc_u32_e32 v67, v68, v67
	v_add_nc_u32_e32 v21, v26, v29
	s_delay_alu instid0(VALU_DEP_4)
	v_sub_nc_u32_e32 v22, v90, v30
	v_and_b32_e32 v30, 1, v51
	v_add_nc_u32_e32 v25, v25, v5
	v_add_nc_u32_e32 v64, v67, v64
	v_sub_nc_u32_e32 v21, v90, v21
	v_add_nc_u32_e32 v22, 6, v22
	s_delay_alu instid0(VALU_DEP_3) | instskip(SKIP_1) | instid1(VALU_DEP_2)
	v_add_nc_u32_e32 v92, v64, v56
	s_wait_alu 0xfffd
	v_dual_cndmask_b32 v22, v22, v28 :: v_dual_add_nc_u32 v21, 7, v21
	v_cmp_eq_u32_e32 vcc_lo, 1, v30
	v_add_nc_u32_e32 v28, v48, v25
	v_add_nc_u32_e32 v61, v92, v61
	s_wait_alu 0xfffd
	v_cndmask_b32_e32 v21, v21, v29, vcc_lo
	v_cmp_eq_u32_e32 vcc_lo, 1, v23
	v_sub_nc_u32_e32 v23, v90, v28
	s_wait_alu 0xfffd
	v_cndmask_b32_e32 v22, v22, v27, vcc_lo
	v_cmp_eq_u32_e32 vcc_lo, 1, v24
	v_sub_nc_u32_e32 v24, v67, v8
	v_add_nc_u32_e32 v23, 8, v23
	v_sub_nc_u32_e32 v27, v66, v7
	v_lshlrev_b32_e32 v22, 2, v22
	s_wait_alu 0xfffd
	v_dual_cndmask_b32 v21, v21, v26 :: v_dual_add_nc_u32 v24, v24, v5
	v_cmp_eq_u32_e32 vcc_lo, 1, v12
	v_and_b32_e32 v26, 1, v52
	s_delay_alu instid0(VALU_DEP_3)
	v_lshlrev_b32_e32 v21, 2, v21
	ds_store_b32 v19, v20
	ds_store_b32 v22, v17
	;; [unrolled: 1-line block ×3, first 2 shown]
	s_wait_alu 0xfffd
	v_cndmask_b32_e32 v12, v23, v25, vcc_lo
	v_add_nc_u32_e32 v23, v27, v24
	v_cmp_eq_u32_e32 vcc_lo, 1, v26
	v_sub_nc_u32_e32 v18, v64, v8
	v_sub_nc_u32_e32 v19, v63, v7
	v_sub_nc_u32_e32 v20, v92, v8
	v_sub_nc_u32_e32 v17, v90, v23
	s_wait_alu 0xfffd
	v_cndmask_b32_e32 v12, v12, v48, vcc_lo
	v_add_nc_u32_e32 v18, v18, v5
	v_cmp_eq_u32_e32 vcc_lo, 1, v10
	v_add_nc_u32_e32 v20, v20, v5
	v_add_nc_u32_e32 v17, 9, v17
	v_lshlrev_b32_e32 v12, 2, v12
	v_add_nc_u32_e32 v21, v19, v18
	v_and_b32_e32 v22, 1, v50
	s_wait_alu 0xfffd
	v_cndmask_b32_e32 v10, v17, v24, vcc_lo
	v_sub_nc_u32_e32 v17, v62, v7
	ds_store_b32 v12, v15
	v_cmp_eq_u32_e32 vcc_lo, 1, v11
	v_sub_nc_u32_e32 v12, v90, v21
	v_and_b32_e32 v15, 1, v56
	v_add_nc_u32_e32 v11, v17, v20
	v_sub_nc_u32_e32 v21, v61, v8
	s_wait_alu 0xfffd
	v_cndmask_b32_e32 v10, v10, v27, vcc_lo
	v_add_nc_u32_e32 v12, 10, v12
	v_cmp_eq_u32_e32 vcc_lo, 1, v15
	v_sub_nc_u32_e32 v11, v90, v11
	v_sub_nc_u32_e32 v7, v78, v7
	v_add_nc_u32_e32 v21, v21, v5
	s_wait_alu 0xfffd
	v_dual_cndmask_b32 v12, v12, v18 :: v_dual_and_b32 v15, 1, v55
	v_add_nc_u32_e32 v11, 11, v11
	v_cmp_eq_u32_e32 vcc_lo, 1, v22
	v_add_nc_u32_e32 v18, v7, v21
	s_wait_alu 0xfffd
	s_delay_alu instid0(VALU_DEP_3)
	v_dual_cndmask_b32 v11, v11, v20 :: v_dual_lshlrev_b32 v10, 2, v10
	v_cmp_eq_u32_e32 vcc_lo, 1, v9
	s_wait_alu 0xfffd
	v_cndmask_b32_e32 v9, v12, v19, vcc_lo
	v_cmp_eq_u32_e32 vcc_lo, 1, v15
	v_sub_nc_u32_e32 v12, v90, v18
	v_and_b32_e32 v15, 1, v53
	s_delay_alu instid0(VALU_DEP_4) | instskip(SKIP_1) | instid1(VALU_DEP_3)
	v_lshlrev_b32_e32 v9, 2, v9
	s_wait_alu 0xfffd
	v_dual_cndmask_b32 v11, v11, v17 :: v_dual_add_nc_u32 v12, 12, v12
	v_and_b32_e32 v17, 1, v54
	v_cmp_eq_u32_e32 vcc_lo, 1, v15
	s_delay_alu instid0(VALU_DEP_3)
	v_lshlrev_b32_e32 v11, 2, v11
	ds_store_b32 v10, v16
	ds_store_b32 v9, v13
	;; [unrolled: 1-line block ×3, first 2 shown]
	s_wait_alu 0xfffd
	v_cndmask_b32_e32 v12, v12, v21, vcc_lo
	v_cmp_eq_u32_e32 vcc_lo, 1, v17
	v_add_co_u32 v9, s0, v6, v87
	s_wait_alu 0xf1ff
	v_add_co_ci_u32_e64 v10, null, 0, 0, s0
	s_wait_alu 0xfffd
	v_cndmask_b32_e32 v7, v12, v7, vcc_lo
	v_add_co_u32 v9, vcc_lo, v9, v46
	s_wait_alu 0xfffd
	v_add_co_ci_u32_e64 v10, null, v10, v47, vcc_lo
	s_delay_alu instid0(VALU_DEP_3)
	v_lshlrev_b32_e32 v7, 2, v7
	v_add_co_u32 v11, s0, s34, v43
	v_add_co_u32 v9, vcc_lo, v9, v1
	s_wait_alu 0xf1ff
	v_add_co_ci_u32_e64 v12, null, s35, 0, s0
	s_wait_alu 0xfffd
	v_add_co_ci_u32_e64 v10, null, v10, v2, vcc_lo
	ds_store_b32 v7, v45
	v_sub_co_u32 v7, vcc_lo, v11, v9
	s_wait_alu 0xfffd
	v_sub_co_ci_u32_e64 v13, null, v12, v10, vcc_lo
	v_lshlrev_b64_e32 v[9:10], 2, v[46:47]
	v_lshlrev_b64_e32 v[11:12], 2, v[1:2]
	v_add_nc_u32_e32 v14, v5, v6
	s_wait_loadcnt_dscnt 0x0
	s_barrier_signal -1
	s_barrier_wait -1
	v_add_co_u32 v9, vcc_lo, s30, v9
	s_wait_alu 0xfffd
	v_add_co_ci_u32_e64 v10, null, s31, v10, vcc_lo
	v_cmp_ne_u32_e32 vcc_lo, 1, v44
	v_add_co_u32 v11, s0, s28, v11
	s_wait_alu 0xf1ff
	v_add_co_ci_u32_e64 v12, null, s29, v12, s0
	s_mov_b32 s0, -1
	global_inv scope:SCOPE_SE
	s_cbranch_vccz .LBB1600_154
; %bb.151:
	s_wait_alu 0xfffe
	s_and_b32 vcc_lo, exec_lo, s0
	s_wait_alu 0xfffe
	s_cbranch_vccnz .LBB1600_259
.LBB1600_152:
	s_and_b32 s0, s2, s26
	s_wait_alu 0xfffe
	s_and_saveexec_b32 s1, s0
	s_cbranch_execnz .LBB1600_377
.LBB1600_153:
	s_nop 0
	s_sendmsg sendmsg(MSG_DEALLOC_VGPRS)
	s_endpgm
.LBB1600_154:
	s_mov_b32 s0, exec_lo
	v_cmpx_ge_u32_e64 v0, v5
	s_wait_alu 0xfffe
	s_xor_b32 s0, exec_lo, s0
	s_cbranch_execz .LBB1600_160
; %bb.155:
	s_mov_b32 s1, exec_lo
	v_cmpx_ge_u32_e64 v0, v14
	s_wait_alu 0xfffe
	s_xor_b32 s1, exec_lo, s1
	s_cbranch_execz .LBB1600_157
; %bb.156:
	v_lshlrev_b32_e32 v15, 2, v0
	ds_load_b32 v17, v15
	v_add_co_u32 v15, vcc_lo, v7, v0
	s_wait_alu 0xfffd
	v_add_co_ci_u32_e64 v16, null, 0, v13, vcc_lo
	s_delay_alu instid0(VALU_DEP_1) | instskip(NEXT) | instid1(VALU_DEP_1)
	v_lshlrev_b64_e32 v[15:16], 2, v[15:16]
	v_sub_co_u32 v15, vcc_lo, s14, v15
	s_wait_alu 0xfffd
	s_delay_alu instid0(VALU_DEP_2)
	v_sub_co_ci_u32_e64 v16, null, s15, v16, vcc_lo
	s_wait_dscnt 0x0
	global_store_b32 v[15:16], v17, off offset:-4
.LBB1600_157:
	s_wait_alu 0xfffe
	s_and_not1_saveexec_b32 s1, s1
	s_cbranch_execz .LBB1600_159
; %bb.158:
	v_lshlrev_b32_e32 v15, 2, v0
	v_readfirstlane_b32 s4, v9
	v_readfirstlane_b32 s5, v10
	ds_load_b32 v16, v15
	s_wait_dscnt 0x0
	global_store_b32 v15, v16, s[4:5]
.LBB1600_159:
	s_wait_alu 0xfffe
	s_or_b32 exec_lo, exec_lo, s1
.LBB1600_160:
	s_wait_alu 0xfffe
	s_and_not1_saveexec_b32 s0, s0
	s_cbranch_execz .LBB1600_162
; %bb.161:
	v_lshlrev_b32_e32 v15, 2, v0
	v_readfirstlane_b32 s4, v11
	v_readfirstlane_b32 s5, v12
	ds_load_b32 v16, v15
	s_wait_dscnt 0x0
	global_store_b32 v15, v16, s[4:5]
.LBB1600_162:
	s_wait_alu 0xfffe
	s_or_b32 exec_lo, exec_lo, s0
	s_delay_alu instid0(SALU_CYCLE_1)
	s_mov_b32 s0, exec_lo
	v_cmpx_ge_u32_e64 v42, v5
	s_wait_alu 0xfffe
	s_xor_b32 s0, exec_lo, s0
	s_cbranch_execz .LBB1600_168
; %bb.163:
	s_mov_b32 s1, exec_lo
	v_cmpx_ge_u32_e64 v42, v14
	s_wait_alu 0xfffe
	s_xor_b32 s1, exec_lo, s1
	s_cbranch_execz .LBB1600_165
; %bb.164:
	v_lshlrev_b32_e32 v15, 2, v0
	ds_load_b32 v17, v15 offset:1024
	v_add_co_u32 v15, vcc_lo, v7, v0
	s_wait_alu 0xfffd
	v_add_co_ci_u32_e64 v16, null, 0, v13, vcc_lo
	s_delay_alu instid0(VALU_DEP_1) | instskip(NEXT) | instid1(VALU_DEP_1)
	v_lshlrev_b64_e32 v[15:16], 2, v[15:16]
	v_sub_co_u32 v15, vcc_lo, s14, v15
	s_wait_alu 0xfffd
	s_delay_alu instid0(VALU_DEP_2)
	v_sub_co_ci_u32_e64 v16, null, s15, v16, vcc_lo
	s_wait_dscnt 0x0
	global_store_b32 v[15:16], v17, off offset:-1028
.LBB1600_165:
	s_wait_alu 0xfffe
	s_and_not1_saveexec_b32 s1, s1
	s_cbranch_execz .LBB1600_167
; %bb.166:
	v_lshlrev_b32_e32 v15, 2, v0
	v_readfirstlane_b32 s4, v9
	v_readfirstlane_b32 s5, v10
	ds_load_b32 v16, v15 offset:1024
	s_wait_dscnt 0x0
	global_store_b32 v15, v16, s[4:5] offset:1024
.LBB1600_167:
	s_wait_alu 0xfffe
	s_or_b32 exec_lo, exec_lo, s1
.LBB1600_168:
	s_wait_alu 0xfffe
	s_and_not1_saveexec_b32 s0, s0
	s_cbranch_execz .LBB1600_170
; %bb.169:
	v_lshlrev_b32_e32 v15, 2, v0
	v_readfirstlane_b32 s4, v11
	v_readfirstlane_b32 s5, v12
	ds_load_b32 v16, v15 offset:1024
	s_wait_dscnt 0x0
	global_store_b32 v15, v16, s[4:5] offset:1024
.LBB1600_170:
	s_wait_alu 0xfffe
	s_or_b32 exec_lo, exec_lo, s0
	s_delay_alu instid0(SALU_CYCLE_1)
	s_mov_b32 s0, exec_lo
	v_cmpx_ge_u32_e64 v41, v5
	s_wait_alu 0xfffe
	s_xor_b32 s0, exec_lo, s0
	s_cbranch_execz .LBB1600_176
; %bb.171:
	s_mov_b32 s1, exec_lo
	v_cmpx_ge_u32_e64 v41, v14
	s_wait_alu 0xfffe
	s_xor_b32 s1, exec_lo, s1
	s_cbranch_execz .LBB1600_173
; %bb.172:
	v_lshlrev_b32_e32 v15, 2, v0
	ds_load_b32 v17, v15 offset:2048
	v_add_co_u32 v15, vcc_lo, v7, v0
	s_wait_alu 0xfffd
	v_add_co_ci_u32_e64 v16, null, 0, v13, vcc_lo
	s_delay_alu instid0(VALU_DEP_1) | instskip(NEXT) | instid1(VALU_DEP_1)
	v_lshlrev_b64_e32 v[15:16], 2, v[15:16]
	v_sub_co_u32 v15, vcc_lo, s14, v15
	s_wait_alu 0xfffd
	s_delay_alu instid0(VALU_DEP_2)
	v_sub_co_ci_u32_e64 v16, null, s15, v16, vcc_lo
	s_wait_dscnt 0x0
	global_store_b32 v[15:16], v17, off offset:-2052
.LBB1600_173:
	s_wait_alu 0xfffe
	s_and_not1_saveexec_b32 s1, s1
	s_cbranch_execz .LBB1600_175
; %bb.174:
	v_lshlrev_b32_e32 v15, 2, v0
	v_readfirstlane_b32 s4, v9
	v_readfirstlane_b32 s5, v10
	ds_load_b32 v16, v15 offset:2048
	s_wait_dscnt 0x0
	global_store_b32 v15, v16, s[4:5] offset:2048
.LBB1600_175:
	s_wait_alu 0xfffe
	s_or_b32 exec_lo, exec_lo, s1
.LBB1600_176:
	s_wait_alu 0xfffe
	s_and_not1_saveexec_b32 s0, s0
	s_cbranch_execz .LBB1600_178
; %bb.177:
	v_lshlrev_b32_e32 v15, 2, v0
	v_readfirstlane_b32 s4, v11
	v_readfirstlane_b32 s5, v12
	ds_load_b32 v16, v15 offset:2048
	s_wait_dscnt 0x0
	global_store_b32 v15, v16, s[4:5] offset:2048
.LBB1600_178:
	;; [unrolled: 54-line block ×12, first 2 shown]
	s_wait_alu 0xfffe
	s_or_b32 exec_lo, exec_lo, s0
	s_branch .LBB1600_152
.LBB1600_259:
	s_mov_b32 s0, exec_lo
	v_cmpx_gt_u32_e64 s27, v0
	s_cbranch_execz .LBB1600_268
; %bb.260:
	s_mov_b32 s1, exec_lo
	v_cmpx_ge_u32_e64 v0, v5
	s_wait_alu 0xfffe
	s_xor_b32 s1, exec_lo, s1
	s_cbranch_execz .LBB1600_266
; %bb.261:
	s_mov_b32 s3, exec_lo
	v_cmpx_ge_u32_e64 v0, v14
	s_wait_alu 0xfffe
	s_xor_b32 s3, exec_lo, s3
	s_cbranch_execz .LBB1600_263
; %bb.262:
	v_lshlrev_b32_e32 v15, 2, v0
	ds_load_b32 v17, v15
	v_add_co_u32 v15, vcc_lo, v7, v0
	s_wait_alu 0xfffd
	v_add_co_ci_u32_e64 v16, null, 0, v13, vcc_lo
	s_delay_alu instid0(VALU_DEP_1) | instskip(NEXT) | instid1(VALU_DEP_1)
	v_lshlrev_b64_e32 v[15:16], 2, v[15:16]
	v_sub_co_u32 v15, vcc_lo, s14, v15
	s_wait_alu 0xfffd
	s_delay_alu instid0(VALU_DEP_2)
	v_sub_co_ci_u32_e64 v16, null, s15, v16, vcc_lo
	s_wait_dscnt 0x0
	global_store_b32 v[15:16], v17, off offset:-4
.LBB1600_263:
	s_wait_alu 0xfffe
	s_and_not1_saveexec_b32 s3, s3
	s_cbranch_execz .LBB1600_265
; %bb.264:
	v_lshlrev_b32_e32 v15, 2, v0
	v_readfirstlane_b32 s4, v9
	v_readfirstlane_b32 s5, v10
	ds_load_b32 v16, v15
	s_wait_dscnt 0x0
	global_store_b32 v15, v16, s[4:5]
.LBB1600_265:
	s_wait_alu 0xfffe
	s_or_b32 exec_lo, exec_lo, s3
.LBB1600_266:
	s_wait_alu 0xfffe
	s_and_not1_saveexec_b32 s1, s1
	s_cbranch_execz .LBB1600_268
; %bb.267:
	v_lshlrev_b32_e32 v15, 2, v0
	v_readfirstlane_b32 s4, v11
	v_readfirstlane_b32 s5, v12
	ds_load_b32 v16, v15
	s_wait_dscnt 0x0
	global_store_b32 v15, v16, s[4:5]
.LBB1600_268:
	s_wait_alu 0xfffe
	s_or_b32 exec_lo, exec_lo, s0
	s_delay_alu instid0(SALU_CYCLE_1)
	s_mov_b32 s0, exec_lo
	v_cmpx_gt_u32_e64 s27, v42
	s_cbranch_execz .LBB1600_277
; %bb.269:
	s_mov_b32 s1, exec_lo
	v_cmpx_ge_u32_e64 v42, v5
	s_wait_alu 0xfffe
	s_xor_b32 s1, exec_lo, s1
	s_cbranch_execz .LBB1600_275
; %bb.270:
	s_mov_b32 s3, exec_lo
	v_cmpx_ge_u32_e64 v42, v14
	s_wait_alu 0xfffe
	s_xor_b32 s3, exec_lo, s3
	s_cbranch_execz .LBB1600_272
; %bb.271:
	v_lshlrev_b32_e32 v15, 2, v0
	ds_load_b32 v17, v15 offset:1024
	v_add_co_u32 v15, vcc_lo, v7, v0
	s_wait_alu 0xfffd
	v_add_co_ci_u32_e64 v16, null, 0, v13, vcc_lo
	s_delay_alu instid0(VALU_DEP_1) | instskip(NEXT) | instid1(VALU_DEP_1)
	v_lshlrev_b64_e32 v[15:16], 2, v[15:16]
	v_sub_co_u32 v15, vcc_lo, s14, v15
	s_wait_alu 0xfffd
	s_delay_alu instid0(VALU_DEP_2)
	v_sub_co_ci_u32_e64 v16, null, s15, v16, vcc_lo
	s_wait_dscnt 0x0
	global_store_b32 v[15:16], v17, off offset:-1028
.LBB1600_272:
	s_wait_alu 0xfffe
	s_and_not1_saveexec_b32 s3, s3
	s_cbranch_execz .LBB1600_274
; %bb.273:
	v_lshlrev_b32_e32 v15, 2, v0
	v_readfirstlane_b32 s4, v9
	v_readfirstlane_b32 s5, v10
	ds_load_b32 v16, v15 offset:1024
	s_wait_dscnt 0x0
	global_store_b32 v15, v16, s[4:5] offset:1024
.LBB1600_274:
	s_wait_alu 0xfffe
	s_or_b32 exec_lo, exec_lo, s3
.LBB1600_275:
	s_wait_alu 0xfffe
	s_and_not1_saveexec_b32 s1, s1
	s_cbranch_execz .LBB1600_277
; %bb.276:
	v_lshlrev_b32_e32 v15, 2, v0
	v_readfirstlane_b32 s4, v11
	v_readfirstlane_b32 s5, v12
	ds_load_b32 v16, v15 offset:1024
	s_wait_dscnt 0x0
	global_store_b32 v15, v16, s[4:5] offset:1024
.LBB1600_277:
	s_wait_alu 0xfffe
	s_or_b32 exec_lo, exec_lo, s0
	s_delay_alu instid0(SALU_CYCLE_1)
	s_mov_b32 s0, exec_lo
	v_cmpx_gt_u32_e64 s27, v41
	s_cbranch_execz .LBB1600_286
; %bb.278:
	s_mov_b32 s1, exec_lo
	v_cmpx_ge_u32_e64 v41, v5
	s_wait_alu 0xfffe
	s_xor_b32 s1, exec_lo, s1
	s_cbranch_execz .LBB1600_284
; %bb.279:
	s_mov_b32 s3, exec_lo
	v_cmpx_ge_u32_e64 v41, v14
	s_wait_alu 0xfffe
	s_xor_b32 s3, exec_lo, s3
	s_cbranch_execz .LBB1600_281
; %bb.280:
	v_lshlrev_b32_e32 v15, 2, v0
	ds_load_b32 v17, v15 offset:2048
	v_add_co_u32 v15, vcc_lo, v7, v0
	s_wait_alu 0xfffd
	v_add_co_ci_u32_e64 v16, null, 0, v13, vcc_lo
	s_delay_alu instid0(VALU_DEP_1) | instskip(NEXT) | instid1(VALU_DEP_1)
	v_lshlrev_b64_e32 v[15:16], 2, v[15:16]
	v_sub_co_u32 v15, vcc_lo, s14, v15
	s_wait_alu 0xfffd
	s_delay_alu instid0(VALU_DEP_2)
	v_sub_co_ci_u32_e64 v16, null, s15, v16, vcc_lo
	s_wait_dscnt 0x0
	global_store_b32 v[15:16], v17, off offset:-2052
.LBB1600_281:
	s_wait_alu 0xfffe
	s_and_not1_saveexec_b32 s3, s3
	s_cbranch_execz .LBB1600_283
; %bb.282:
	v_lshlrev_b32_e32 v15, 2, v0
	v_readfirstlane_b32 s4, v9
	v_readfirstlane_b32 s5, v10
	ds_load_b32 v16, v15 offset:2048
	s_wait_dscnt 0x0
	global_store_b32 v15, v16, s[4:5] offset:2048
.LBB1600_283:
	s_wait_alu 0xfffe
	s_or_b32 exec_lo, exec_lo, s3
.LBB1600_284:
	s_wait_alu 0xfffe
	s_and_not1_saveexec_b32 s1, s1
	s_cbranch_execz .LBB1600_286
; %bb.285:
	v_lshlrev_b32_e32 v15, 2, v0
	v_readfirstlane_b32 s4, v11
	v_readfirstlane_b32 s5, v12
	ds_load_b32 v16, v15 offset:2048
	s_wait_dscnt 0x0
	global_store_b32 v15, v16, s[4:5] offset:2048
.LBB1600_286:
	;; [unrolled: 58-line block ×11, first 2 shown]
	s_wait_alu 0xfffe
	s_or_b32 exec_lo, exec_lo, s0
	s_delay_alu instid0(SALU_CYCLE_1)
	s_mov_b32 s0, exec_lo
	v_cmpx_gt_u32_e64 s27, v31
	s_cbranch_execz .LBB1600_376
; %bb.368:
	s_mov_b32 s1, exec_lo
	v_cmpx_ge_u32_e64 v31, v5
	s_wait_alu 0xfffe
	s_xor_b32 s1, exec_lo, s1
	s_cbranch_execz .LBB1600_374
; %bb.369:
	s_mov_b32 s3, exec_lo
	v_cmpx_ge_u32_e64 v31, v14
	s_wait_alu 0xfffe
	s_xor_b32 s3, exec_lo, s3
	s_cbranch_execz .LBB1600_371
; %bb.370:
	v_lshlrev_b32_e32 v9, 2, v0
	ds_load_b32 v11, v9 offset:12288
	v_add_co_u32 v9, vcc_lo, v7, v0
	s_wait_alu 0xfffd
	v_add_co_ci_u32_e64 v10, null, 0, v13, vcc_lo
                                        ; implicit-def: $vgpr0
	s_delay_alu instid0(VALU_DEP_1) | instskip(NEXT) | instid1(VALU_DEP_1)
	v_lshlrev_b64_e32 v[9:10], 2, v[9:10]
	v_sub_co_u32 v9, vcc_lo, s14, v9
	s_wait_alu 0xfffd
	s_delay_alu instid0(VALU_DEP_2)
	v_sub_co_ci_u32_e64 v10, null, s15, v10, vcc_lo
	s_wait_dscnt 0x0
	global_store_b32 v[9:10], v11, off offset:-12292
                                        ; implicit-def: $vgpr9_vgpr10
.LBB1600_371:
	s_wait_alu 0xfffe
	s_and_not1_saveexec_b32 s3, s3
	s_cbranch_execz .LBB1600_373
; %bb.372:
	v_lshlrev_b32_e32 v0, 2, v0
	v_readfirstlane_b32 s4, v9
	v_readfirstlane_b32 s5, v10
	ds_load_b32 v7, v0 offset:12288
	s_wait_dscnt 0x0
	global_store_b32 v0, v7, s[4:5] offset:12288
.LBB1600_373:
	s_wait_alu 0xfffe
	s_or_b32 exec_lo, exec_lo, s3
                                        ; implicit-def: $vgpr0
                                        ; implicit-def: $vgpr11_vgpr12
.LBB1600_374:
	s_wait_alu 0xfffe
	s_and_not1_saveexec_b32 s1, s1
	s_cbranch_execz .LBB1600_376
; %bb.375:
	v_lshlrev_b32_e32 v0, 2, v0
	v_readfirstlane_b32 s4, v11
	v_readfirstlane_b32 s5, v12
	ds_load_b32 v7, v0 offset:12288
	s_wait_dscnt 0x0
	global_store_b32 v0, v7, s[4:5] offset:12288
.LBB1600_376:
	s_wait_alu 0xfffe
	s_or_b32 exec_lo, exec_lo, s0
	s_and_b32 s0, s2, s26
	s_wait_alu 0xfffe
	s_and_saveexec_b32 s1, s0
	s_cbranch_execz .LBB1600_153
.LBB1600_377:
	v_add_co_u32 v0, vcc_lo, v3, v6
	s_wait_alu 0xfffd
	v_add_co_ci_u32_e64 v4, null, 0, v4, vcc_lo
	v_mov_b32_e32 v6, 0
	s_delay_alu instid0(VALU_DEP_3) | instskip(SKIP_1) | instid1(VALU_DEP_3)
	v_add_co_u32 v3, vcc_lo, v0, v8
	s_wait_alu 0xfffd
	v_add_co_ci_u32_e64 v4, null, 0, v4, vcc_lo
	v_add_co_u32 v1, vcc_lo, v1, v5
	s_wait_alu 0xfffd
	v_add_co_ci_u32_e64 v2, null, 0, v2, vcc_lo
	global_store_b128 v6, v[1:4], s[24:25]
	s_nop 0
	s_sendmsg sendmsg(MSG_DEALLOC_VGPRS)
	s_endpgm
.LBB1600_378:
	s_add_co_i32 s6, s33, 32
	s_mov_b32 s7, 0
	v_dual_mov_b32 v11, 2 :: v_dual_add_nc_u32 v10, v8, v6
	s_wait_alu 0xfffe
	s_lshl_b64 s[6:7], s[6:7], 4
	v_dual_mov_b32 v12, 0 :: v_dual_add_nc_u32 v9, v7, v5
	s_wait_alu 0xfffe
	s_add_nc_u64 s[6:7], s[36:37], s[6:7]
	s_wait_alu 0xfffe
	v_dual_mov_b32 v28, s7 :: v_dual_mov_b32 v27, s6
	;;#ASMSTART
	global_store_b128 v[27:28], v[9:12] off scope:SCOPE_DEV	
s_wait_storecnt 0x0
	;;#ASMEND
	s_or_b32 exec_lo, exec_lo, s5
	s_and_saveexec_b32 s5, s3
	s_cbranch_execz .LBB1600_138
.LBB1600_379:
	v_mov_b32_e32 v9, 0
	ds_store_b128 v9, v[5:8] offset:13312
	s_wait_alu 0xfffe
	s_or_b32 exec_lo, exec_lo, s5
	s_delay_alu instid0(SALU_CYCLE_1)
	s_and_b32 exec_lo, exec_lo, s2
	s_cbranch_execnz .LBB1600_139
	s_branch .LBB1600_140
	.section	.rodata,"a",@progbits
	.p2align	6, 0x0
	.amdhsa_kernel _ZN7rocprim17ROCPRIM_400000_NS6detail17trampoline_kernelINS0_13select_configILj256ELj13ELNS0_17block_load_methodE3ELS4_3ELS4_3ELNS0_20block_scan_algorithmE0ELj4294967295EEENS1_25partition_config_selectorILNS1_17partition_subalgoE4EjNS0_10empty_typeEbEEZZNS1_14partition_implILS8_4ELb0ES6_15HIP_vector_typeIjLj2EENS0_17counting_iteratorIjlEEPS9_SG_NS0_5tupleIJPjSI_NS0_16reverse_iteratorISI_EEEEENSH_IJSG_SG_SG_EEES9_SI_JZNS1_25segmented_radix_sort_implINS0_14default_configELb0EPKbPbPKlPlN2at6native12_GLOBAL__N_18offset_tEEE10hipError_tPvRmT1_PNSt15iterator_traitsIS12_E10value_typeET2_T3_PNS13_IS18_E10value_typeET4_jRbjT5_S1E_jjP12ihipStream_tbEUljE_ZNSN_ISO_Lb0ESQ_SR_ST_SU_SY_EESZ_S10_S11_S12_S16_S17_S18_S1B_S1C_jS1D_jS1E_S1E_jjS1G_bEUljE0_EEESZ_S10_S11_S18_S1C_S1E_T6_T7_T9_mT8_S1G_bDpT10_ENKUlT_T0_E_clISt17integral_constantIbLb0EES1T_IbLb1EEEEDaS1P_S1Q_EUlS1P_E_NS1_11comp_targetILNS1_3genE10ELNS1_11target_archE1200ELNS1_3gpuE4ELNS1_3repE0EEENS1_30default_config_static_selectorELNS0_4arch9wavefront6targetE0EEEvS12_
		.amdhsa_group_segment_fixed_size 13328
		.amdhsa_private_segment_fixed_size 0
		.amdhsa_kernarg_size 184
		.amdhsa_user_sgpr_count 2
		.amdhsa_user_sgpr_dispatch_ptr 0
		.amdhsa_user_sgpr_queue_ptr 0
		.amdhsa_user_sgpr_kernarg_segment_ptr 1
		.amdhsa_user_sgpr_dispatch_id 0
		.amdhsa_user_sgpr_private_segment_size 0
		.amdhsa_wavefront_size32 1
		.amdhsa_uses_dynamic_stack 0
		.amdhsa_enable_private_segment 0
		.amdhsa_system_sgpr_workgroup_id_x 1
		.amdhsa_system_sgpr_workgroup_id_y 0
		.amdhsa_system_sgpr_workgroup_id_z 0
		.amdhsa_system_sgpr_workgroup_info 0
		.amdhsa_system_vgpr_workitem_id 0
		.amdhsa_next_free_vgpr 98
		.amdhsa_next_free_sgpr 55
		.amdhsa_reserve_vcc 1
		.amdhsa_float_round_mode_32 0
		.amdhsa_float_round_mode_16_64 0
		.amdhsa_float_denorm_mode_32 3
		.amdhsa_float_denorm_mode_16_64 3
		.amdhsa_fp16_overflow 0
		.amdhsa_workgroup_processor_mode 1
		.amdhsa_memory_ordered 1
		.amdhsa_forward_progress 1
		.amdhsa_inst_pref_size 151
		.amdhsa_round_robin_scheduling 0
		.amdhsa_exception_fp_ieee_invalid_op 0
		.amdhsa_exception_fp_denorm_src 0
		.amdhsa_exception_fp_ieee_div_zero 0
		.amdhsa_exception_fp_ieee_overflow 0
		.amdhsa_exception_fp_ieee_underflow 0
		.amdhsa_exception_fp_ieee_inexact 0
		.amdhsa_exception_int_div_zero 0
	.end_amdhsa_kernel
	.section	.text._ZN7rocprim17ROCPRIM_400000_NS6detail17trampoline_kernelINS0_13select_configILj256ELj13ELNS0_17block_load_methodE3ELS4_3ELS4_3ELNS0_20block_scan_algorithmE0ELj4294967295EEENS1_25partition_config_selectorILNS1_17partition_subalgoE4EjNS0_10empty_typeEbEEZZNS1_14partition_implILS8_4ELb0ES6_15HIP_vector_typeIjLj2EENS0_17counting_iteratorIjlEEPS9_SG_NS0_5tupleIJPjSI_NS0_16reverse_iteratorISI_EEEEENSH_IJSG_SG_SG_EEES9_SI_JZNS1_25segmented_radix_sort_implINS0_14default_configELb0EPKbPbPKlPlN2at6native12_GLOBAL__N_18offset_tEEE10hipError_tPvRmT1_PNSt15iterator_traitsIS12_E10value_typeET2_T3_PNS13_IS18_E10value_typeET4_jRbjT5_S1E_jjP12ihipStream_tbEUljE_ZNSN_ISO_Lb0ESQ_SR_ST_SU_SY_EESZ_S10_S11_S12_S16_S17_S18_S1B_S1C_jS1D_jS1E_S1E_jjS1G_bEUljE0_EEESZ_S10_S11_S18_S1C_S1E_T6_T7_T9_mT8_S1G_bDpT10_ENKUlT_T0_E_clISt17integral_constantIbLb0EES1T_IbLb1EEEEDaS1P_S1Q_EUlS1P_E_NS1_11comp_targetILNS1_3genE10ELNS1_11target_archE1200ELNS1_3gpuE4ELNS1_3repE0EEENS1_30default_config_static_selectorELNS0_4arch9wavefront6targetE0EEEvS12_,"axG",@progbits,_ZN7rocprim17ROCPRIM_400000_NS6detail17trampoline_kernelINS0_13select_configILj256ELj13ELNS0_17block_load_methodE3ELS4_3ELS4_3ELNS0_20block_scan_algorithmE0ELj4294967295EEENS1_25partition_config_selectorILNS1_17partition_subalgoE4EjNS0_10empty_typeEbEEZZNS1_14partition_implILS8_4ELb0ES6_15HIP_vector_typeIjLj2EENS0_17counting_iteratorIjlEEPS9_SG_NS0_5tupleIJPjSI_NS0_16reverse_iteratorISI_EEEEENSH_IJSG_SG_SG_EEES9_SI_JZNS1_25segmented_radix_sort_implINS0_14default_configELb0EPKbPbPKlPlN2at6native12_GLOBAL__N_18offset_tEEE10hipError_tPvRmT1_PNSt15iterator_traitsIS12_E10value_typeET2_T3_PNS13_IS18_E10value_typeET4_jRbjT5_S1E_jjP12ihipStream_tbEUljE_ZNSN_ISO_Lb0ESQ_SR_ST_SU_SY_EESZ_S10_S11_S12_S16_S17_S18_S1B_S1C_jS1D_jS1E_S1E_jjS1G_bEUljE0_EEESZ_S10_S11_S18_S1C_S1E_T6_T7_T9_mT8_S1G_bDpT10_ENKUlT_T0_E_clISt17integral_constantIbLb0EES1T_IbLb1EEEEDaS1P_S1Q_EUlS1P_E_NS1_11comp_targetILNS1_3genE10ELNS1_11target_archE1200ELNS1_3gpuE4ELNS1_3repE0EEENS1_30default_config_static_selectorELNS0_4arch9wavefront6targetE0EEEvS12_,comdat
.Lfunc_end1600:
	.size	_ZN7rocprim17ROCPRIM_400000_NS6detail17trampoline_kernelINS0_13select_configILj256ELj13ELNS0_17block_load_methodE3ELS4_3ELS4_3ELNS0_20block_scan_algorithmE0ELj4294967295EEENS1_25partition_config_selectorILNS1_17partition_subalgoE4EjNS0_10empty_typeEbEEZZNS1_14partition_implILS8_4ELb0ES6_15HIP_vector_typeIjLj2EENS0_17counting_iteratorIjlEEPS9_SG_NS0_5tupleIJPjSI_NS0_16reverse_iteratorISI_EEEEENSH_IJSG_SG_SG_EEES9_SI_JZNS1_25segmented_radix_sort_implINS0_14default_configELb0EPKbPbPKlPlN2at6native12_GLOBAL__N_18offset_tEEE10hipError_tPvRmT1_PNSt15iterator_traitsIS12_E10value_typeET2_T3_PNS13_IS18_E10value_typeET4_jRbjT5_S1E_jjP12ihipStream_tbEUljE_ZNSN_ISO_Lb0ESQ_SR_ST_SU_SY_EESZ_S10_S11_S12_S16_S17_S18_S1B_S1C_jS1D_jS1E_S1E_jjS1G_bEUljE0_EEESZ_S10_S11_S18_S1C_S1E_T6_T7_T9_mT8_S1G_bDpT10_ENKUlT_T0_E_clISt17integral_constantIbLb0EES1T_IbLb1EEEEDaS1P_S1Q_EUlS1P_E_NS1_11comp_targetILNS1_3genE10ELNS1_11target_archE1200ELNS1_3gpuE4ELNS1_3repE0EEENS1_30default_config_static_selectorELNS0_4arch9wavefront6targetE0EEEvS12_, .Lfunc_end1600-_ZN7rocprim17ROCPRIM_400000_NS6detail17trampoline_kernelINS0_13select_configILj256ELj13ELNS0_17block_load_methodE3ELS4_3ELS4_3ELNS0_20block_scan_algorithmE0ELj4294967295EEENS1_25partition_config_selectorILNS1_17partition_subalgoE4EjNS0_10empty_typeEbEEZZNS1_14partition_implILS8_4ELb0ES6_15HIP_vector_typeIjLj2EENS0_17counting_iteratorIjlEEPS9_SG_NS0_5tupleIJPjSI_NS0_16reverse_iteratorISI_EEEEENSH_IJSG_SG_SG_EEES9_SI_JZNS1_25segmented_radix_sort_implINS0_14default_configELb0EPKbPbPKlPlN2at6native12_GLOBAL__N_18offset_tEEE10hipError_tPvRmT1_PNSt15iterator_traitsIS12_E10value_typeET2_T3_PNS13_IS18_E10value_typeET4_jRbjT5_S1E_jjP12ihipStream_tbEUljE_ZNSN_ISO_Lb0ESQ_SR_ST_SU_SY_EESZ_S10_S11_S12_S16_S17_S18_S1B_S1C_jS1D_jS1E_S1E_jjS1G_bEUljE0_EEESZ_S10_S11_S18_S1C_S1E_T6_T7_T9_mT8_S1G_bDpT10_ENKUlT_T0_E_clISt17integral_constantIbLb0EES1T_IbLb1EEEEDaS1P_S1Q_EUlS1P_E_NS1_11comp_targetILNS1_3genE10ELNS1_11target_archE1200ELNS1_3gpuE4ELNS1_3repE0EEENS1_30default_config_static_selectorELNS0_4arch9wavefront6targetE0EEEvS12_
                                        ; -- End function
	.set _ZN7rocprim17ROCPRIM_400000_NS6detail17trampoline_kernelINS0_13select_configILj256ELj13ELNS0_17block_load_methodE3ELS4_3ELS4_3ELNS0_20block_scan_algorithmE0ELj4294967295EEENS1_25partition_config_selectorILNS1_17partition_subalgoE4EjNS0_10empty_typeEbEEZZNS1_14partition_implILS8_4ELb0ES6_15HIP_vector_typeIjLj2EENS0_17counting_iteratorIjlEEPS9_SG_NS0_5tupleIJPjSI_NS0_16reverse_iteratorISI_EEEEENSH_IJSG_SG_SG_EEES9_SI_JZNS1_25segmented_radix_sort_implINS0_14default_configELb0EPKbPbPKlPlN2at6native12_GLOBAL__N_18offset_tEEE10hipError_tPvRmT1_PNSt15iterator_traitsIS12_E10value_typeET2_T3_PNS13_IS18_E10value_typeET4_jRbjT5_S1E_jjP12ihipStream_tbEUljE_ZNSN_ISO_Lb0ESQ_SR_ST_SU_SY_EESZ_S10_S11_S12_S16_S17_S18_S1B_S1C_jS1D_jS1E_S1E_jjS1G_bEUljE0_EEESZ_S10_S11_S18_S1C_S1E_T6_T7_T9_mT8_S1G_bDpT10_ENKUlT_T0_E_clISt17integral_constantIbLb0EES1T_IbLb1EEEEDaS1P_S1Q_EUlS1P_E_NS1_11comp_targetILNS1_3genE10ELNS1_11target_archE1200ELNS1_3gpuE4ELNS1_3repE0EEENS1_30default_config_static_selectorELNS0_4arch9wavefront6targetE0EEEvS12_.num_vgpr, 98
	.set _ZN7rocprim17ROCPRIM_400000_NS6detail17trampoline_kernelINS0_13select_configILj256ELj13ELNS0_17block_load_methodE3ELS4_3ELS4_3ELNS0_20block_scan_algorithmE0ELj4294967295EEENS1_25partition_config_selectorILNS1_17partition_subalgoE4EjNS0_10empty_typeEbEEZZNS1_14partition_implILS8_4ELb0ES6_15HIP_vector_typeIjLj2EENS0_17counting_iteratorIjlEEPS9_SG_NS0_5tupleIJPjSI_NS0_16reverse_iteratorISI_EEEEENSH_IJSG_SG_SG_EEES9_SI_JZNS1_25segmented_radix_sort_implINS0_14default_configELb0EPKbPbPKlPlN2at6native12_GLOBAL__N_18offset_tEEE10hipError_tPvRmT1_PNSt15iterator_traitsIS12_E10value_typeET2_T3_PNS13_IS18_E10value_typeET4_jRbjT5_S1E_jjP12ihipStream_tbEUljE_ZNSN_ISO_Lb0ESQ_SR_ST_SU_SY_EESZ_S10_S11_S12_S16_S17_S18_S1B_S1C_jS1D_jS1E_S1E_jjS1G_bEUljE0_EEESZ_S10_S11_S18_S1C_S1E_T6_T7_T9_mT8_S1G_bDpT10_ENKUlT_T0_E_clISt17integral_constantIbLb0EES1T_IbLb1EEEEDaS1P_S1Q_EUlS1P_E_NS1_11comp_targetILNS1_3genE10ELNS1_11target_archE1200ELNS1_3gpuE4ELNS1_3repE0EEENS1_30default_config_static_selectorELNS0_4arch9wavefront6targetE0EEEvS12_.num_agpr, 0
	.set _ZN7rocprim17ROCPRIM_400000_NS6detail17trampoline_kernelINS0_13select_configILj256ELj13ELNS0_17block_load_methodE3ELS4_3ELS4_3ELNS0_20block_scan_algorithmE0ELj4294967295EEENS1_25partition_config_selectorILNS1_17partition_subalgoE4EjNS0_10empty_typeEbEEZZNS1_14partition_implILS8_4ELb0ES6_15HIP_vector_typeIjLj2EENS0_17counting_iteratorIjlEEPS9_SG_NS0_5tupleIJPjSI_NS0_16reverse_iteratorISI_EEEEENSH_IJSG_SG_SG_EEES9_SI_JZNS1_25segmented_radix_sort_implINS0_14default_configELb0EPKbPbPKlPlN2at6native12_GLOBAL__N_18offset_tEEE10hipError_tPvRmT1_PNSt15iterator_traitsIS12_E10value_typeET2_T3_PNS13_IS18_E10value_typeET4_jRbjT5_S1E_jjP12ihipStream_tbEUljE_ZNSN_ISO_Lb0ESQ_SR_ST_SU_SY_EESZ_S10_S11_S12_S16_S17_S18_S1B_S1C_jS1D_jS1E_S1E_jjS1G_bEUljE0_EEESZ_S10_S11_S18_S1C_S1E_T6_T7_T9_mT8_S1G_bDpT10_ENKUlT_T0_E_clISt17integral_constantIbLb0EES1T_IbLb1EEEEDaS1P_S1Q_EUlS1P_E_NS1_11comp_targetILNS1_3genE10ELNS1_11target_archE1200ELNS1_3gpuE4ELNS1_3repE0EEENS1_30default_config_static_selectorELNS0_4arch9wavefront6targetE0EEEvS12_.numbered_sgpr, 55
	.set _ZN7rocprim17ROCPRIM_400000_NS6detail17trampoline_kernelINS0_13select_configILj256ELj13ELNS0_17block_load_methodE3ELS4_3ELS4_3ELNS0_20block_scan_algorithmE0ELj4294967295EEENS1_25partition_config_selectorILNS1_17partition_subalgoE4EjNS0_10empty_typeEbEEZZNS1_14partition_implILS8_4ELb0ES6_15HIP_vector_typeIjLj2EENS0_17counting_iteratorIjlEEPS9_SG_NS0_5tupleIJPjSI_NS0_16reverse_iteratorISI_EEEEENSH_IJSG_SG_SG_EEES9_SI_JZNS1_25segmented_radix_sort_implINS0_14default_configELb0EPKbPbPKlPlN2at6native12_GLOBAL__N_18offset_tEEE10hipError_tPvRmT1_PNSt15iterator_traitsIS12_E10value_typeET2_T3_PNS13_IS18_E10value_typeET4_jRbjT5_S1E_jjP12ihipStream_tbEUljE_ZNSN_ISO_Lb0ESQ_SR_ST_SU_SY_EESZ_S10_S11_S12_S16_S17_S18_S1B_S1C_jS1D_jS1E_S1E_jjS1G_bEUljE0_EEESZ_S10_S11_S18_S1C_S1E_T6_T7_T9_mT8_S1G_bDpT10_ENKUlT_T0_E_clISt17integral_constantIbLb0EES1T_IbLb1EEEEDaS1P_S1Q_EUlS1P_E_NS1_11comp_targetILNS1_3genE10ELNS1_11target_archE1200ELNS1_3gpuE4ELNS1_3repE0EEENS1_30default_config_static_selectorELNS0_4arch9wavefront6targetE0EEEvS12_.num_named_barrier, 0
	.set _ZN7rocprim17ROCPRIM_400000_NS6detail17trampoline_kernelINS0_13select_configILj256ELj13ELNS0_17block_load_methodE3ELS4_3ELS4_3ELNS0_20block_scan_algorithmE0ELj4294967295EEENS1_25partition_config_selectorILNS1_17partition_subalgoE4EjNS0_10empty_typeEbEEZZNS1_14partition_implILS8_4ELb0ES6_15HIP_vector_typeIjLj2EENS0_17counting_iteratorIjlEEPS9_SG_NS0_5tupleIJPjSI_NS0_16reverse_iteratorISI_EEEEENSH_IJSG_SG_SG_EEES9_SI_JZNS1_25segmented_radix_sort_implINS0_14default_configELb0EPKbPbPKlPlN2at6native12_GLOBAL__N_18offset_tEEE10hipError_tPvRmT1_PNSt15iterator_traitsIS12_E10value_typeET2_T3_PNS13_IS18_E10value_typeET4_jRbjT5_S1E_jjP12ihipStream_tbEUljE_ZNSN_ISO_Lb0ESQ_SR_ST_SU_SY_EESZ_S10_S11_S12_S16_S17_S18_S1B_S1C_jS1D_jS1E_S1E_jjS1G_bEUljE0_EEESZ_S10_S11_S18_S1C_S1E_T6_T7_T9_mT8_S1G_bDpT10_ENKUlT_T0_E_clISt17integral_constantIbLb0EES1T_IbLb1EEEEDaS1P_S1Q_EUlS1P_E_NS1_11comp_targetILNS1_3genE10ELNS1_11target_archE1200ELNS1_3gpuE4ELNS1_3repE0EEENS1_30default_config_static_selectorELNS0_4arch9wavefront6targetE0EEEvS12_.private_seg_size, 0
	.set _ZN7rocprim17ROCPRIM_400000_NS6detail17trampoline_kernelINS0_13select_configILj256ELj13ELNS0_17block_load_methodE3ELS4_3ELS4_3ELNS0_20block_scan_algorithmE0ELj4294967295EEENS1_25partition_config_selectorILNS1_17partition_subalgoE4EjNS0_10empty_typeEbEEZZNS1_14partition_implILS8_4ELb0ES6_15HIP_vector_typeIjLj2EENS0_17counting_iteratorIjlEEPS9_SG_NS0_5tupleIJPjSI_NS0_16reverse_iteratorISI_EEEEENSH_IJSG_SG_SG_EEES9_SI_JZNS1_25segmented_radix_sort_implINS0_14default_configELb0EPKbPbPKlPlN2at6native12_GLOBAL__N_18offset_tEEE10hipError_tPvRmT1_PNSt15iterator_traitsIS12_E10value_typeET2_T3_PNS13_IS18_E10value_typeET4_jRbjT5_S1E_jjP12ihipStream_tbEUljE_ZNSN_ISO_Lb0ESQ_SR_ST_SU_SY_EESZ_S10_S11_S12_S16_S17_S18_S1B_S1C_jS1D_jS1E_S1E_jjS1G_bEUljE0_EEESZ_S10_S11_S18_S1C_S1E_T6_T7_T9_mT8_S1G_bDpT10_ENKUlT_T0_E_clISt17integral_constantIbLb0EES1T_IbLb1EEEEDaS1P_S1Q_EUlS1P_E_NS1_11comp_targetILNS1_3genE10ELNS1_11target_archE1200ELNS1_3gpuE4ELNS1_3repE0EEENS1_30default_config_static_selectorELNS0_4arch9wavefront6targetE0EEEvS12_.uses_vcc, 1
	.set _ZN7rocprim17ROCPRIM_400000_NS6detail17trampoline_kernelINS0_13select_configILj256ELj13ELNS0_17block_load_methodE3ELS4_3ELS4_3ELNS0_20block_scan_algorithmE0ELj4294967295EEENS1_25partition_config_selectorILNS1_17partition_subalgoE4EjNS0_10empty_typeEbEEZZNS1_14partition_implILS8_4ELb0ES6_15HIP_vector_typeIjLj2EENS0_17counting_iteratorIjlEEPS9_SG_NS0_5tupleIJPjSI_NS0_16reverse_iteratorISI_EEEEENSH_IJSG_SG_SG_EEES9_SI_JZNS1_25segmented_radix_sort_implINS0_14default_configELb0EPKbPbPKlPlN2at6native12_GLOBAL__N_18offset_tEEE10hipError_tPvRmT1_PNSt15iterator_traitsIS12_E10value_typeET2_T3_PNS13_IS18_E10value_typeET4_jRbjT5_S1E_jjP12ihipStream_tbEUljE_ZNSN_ISO_Lb0ESQ_SR_ST_SU_SY_EESZ_S10_S11_S12_S16_S17_S18_S1B_S1C_jS1D_jS1E_S1E_jjS1G_bEUljE0_EEESZ_S10_S11_S18_S1C_S1E_T6_T7_T9_mT8_S1G_bDpT10_ENKUlT_T0_E_clISt17integral_constantIbLb0EES1T_IbLb1EEEEDaS1P_S1Q_EUlS1P_E_NS1_11comp_targetILNS1_3genE10ELNS1_11target_archE1200ELNS1_3gpuE4ELNS1_3repE0EEENS1_30default_config_static_selectorELNS0_4arch9wavefront6targetE0EEEvS12_.uses_flat_scratch, 0
	.set _ZN7rocprim17ROCPRIM_400000_NS6detail17trampoline_kernelINS0_13select_configILj256ELj13ELNS0_17block_load_methodE3ELS4_3ELS4_3ELNS0_20block_scan_algorithmE0ELj4294967295EEENS1_25partition_config_selectorILNS1_17partition_subalgoE4EjNS0_10empty_typeEbEEZZNS1_14partition_implILS8_4ELb0ES6_15HIP_vector_typeIjLj2EENS0_17counting_iteratorIjlEEPS9_SG_NS0_5tupleIJPjSI_NS0_16reverse_iteratorISI_EEEEENSH_IJSG_SG_SG_EEES9_SI_JZNS1_25segmented_radix_sort_implINS0_14default_configELb0EPKbPbPKlPlN2at6native12_GLOBAL__N_18offset_tEEE10hipError_tPvRmT1_PNSt15iterator_traitsIS12_E10value_typeET2_T3_PNS13_IS18_E10value_typeET4_jRbjT5_S1E_jjP12ihipStream_tbEUljE_ZNSN_ISO_Lb0ESQ_SR_ST_SU_SY_EESZ_S10_S11_S12_S16_S17_S18_S1B_S1C_jS1D_jS1E_S1E_jjS1G_bEUljE0_EEESZ_S10_S11_S18_S1C_S1E_T6_T7_T9_mT8_S1G_bDpT10_ENKUlT_T0_E_clISt17integral_constantIbLb0EES1T_IbLb1EEEEDaS1P_S1Q_EUlS1P_E_NS1_11comp_targetILNS1_3genE10ELNS1_11target_archE1200ELNS1_3gpuE4ELNS1_3repE0EEENS1_30default_config_static_selectorELNS0_4arch9wavefront6targetE0EEEvS12_.has_dyn_sized_stack, 0
	.set _ZN7rocprim17ROCPRIM_400000_NS6detail17trampoline_kernelINS0_13select_configILj256ELj13ELNS0_17block_load_methodE3ELS4_3ELS4_3ELNS0_20block_scan_algorithmE0ELj4294967295EEENS1_25partition_config_selectorILNS1_17partition_subalgoE4EjNS0_10empty_typeEbEEZZNS1_14partition_implILS8_4ELb0ES6_15HIP_vector_typeIjLj2EENS0_17counting_iteratorIjlEEPS9_SG_NS0_5tupleIJPjSI_NS0_16reverse_iteratorISI_EEEEENSH_IJSG_SG_SG_EEES9_SI_JZNS1_25segmented_radix_sort_implINS0_14default_configELb0EPKbPbPKlPlN2at6native12_GLOBAL__N_18offset_tEEE10hipError_tPvRmT1_PNSt15iterator_traitsIS12_E10value_typeET2_T3_PNS13_IS18_E10value_typeET4_jRbjT5_S1E_jjP12ihipStream_tbEUljE_ZNSN_ISO_Lb0ESQ_SR_ST_SU_SY_EESZ_S10_S11_S12_S16_S17_S18_S1B_S1C_jS1D_jS1E_S1E_jjS1G_bEUljE0_EEESZ_S10_S11_S18_S1C_S1E_T6_T7_T9_mT8_S1G_bDpT10_ENKUlT_T0_E_clISt17integral_constantIbLb0EES1T_IbLb1EEEEDaS1P_S1Q_EUlS1P_E_NS1_11comp_targetILNS1_3genE10ELNS1_11target_archE1200ELNS1_3gpuE4ELNS1_3repE0EEENS1_30default_config_static_selectorELNS0_4arch9wavefront6targetE0EEEvS12_.has_recursion, 0
	.set _ZN7rocprim17ROCPRIM_400000_NS6detail17trampoline_kernelINS0_13select_configILj256ELj13ELNS0_17block_load_methodE3ELS4_3ELS4_3ELNS0_20block_scan_algorithmE0ELj4294967295EEENS1_25partition_config_selectorILNS1_17partition_subalgoE4EjNS0_10empty_typeEbEEZZNS1_14partition_implILS8_4ELb0ES6_15HIP_vector_typeIjLj2EENS0_17counting_iteratorIjlEEPS9_SG_NS0_5tupleIJPjSI_NS0_16reverse_iteratorISI_EEEEENSH_IJSG_SG_SG_EEES9_SI_JZNS1_25segmented_radix_sort_implINS0_14default_configELb0EPKbPbPKlPlN2at6native12_GLOBAL__N_18offset_tEEE10hipError_tPvRmT1_PNSt15iterator_traitsIS12_E10value_typeET2_T3_PNS13_IS18_E10value_typeET4_jRbjT5_S1E_jjP12ihipStream_tbEUljE_ZNSN_ISO_Lb0ESQ_SR_ST_SU_SY_EESZ_S10_S11_S12_S16_S17_S18_S1B_S1C_jS1D_jS1E_S1E_jjS1G_bEUljE0_EEESZ_S10_S11_S18_S1C_S1E_T6_T7_T9_mT8_S1G_bDpT10_ENKUlT_T0_E_clISt17integral_constantIbLb0EES1T_IbLb1EEEEDaS1P_S1Q_EUlS1P_E_NS1_11comp_targetILNS1_3genE10ELNS1_11target_archE1200ELNS1_3gpuE4ELNS1_3repE0EEENS1_30default_config_static_selectorELNS0_4arch9wavefront6targetE0EEEvS12_.has_indirect_call, 0
	.section	.AMDGPU.csdata,"",@progbits
; Kernel info:
; codeLenInByte = 19208
; TotalNumSgprs: 57
; NumVgprs: 98
; ScratchSize: 0
; MemoryBound: 0
; FloatMode: 240
; IeeeMode: 1
; LDSByteSize: 13328 bytes/workgroup (compile time only)
; SGPRBlocks: 0
; VGPRBlocks: 12
; NumSGPRsForWavesPerEU: 57
; NumVGPRsForWavesPerEU: 98
; Occupancy: 12
; WaveLimiterHint : 1
; COMPUTE_PGM_RSRC2:SCRATCH_EN: 0
; COMPUTE_PGM_RSRC2:USER_SGPR: 2
; COMPUTE_PGM_RSRC2:TRAP_HANDLER: 0
; COMPUTE_PGM_RSRC2:TGID_X_EN: 1
; COMPUTE_PGM_RSRC2:TGID_Y_EN: 0
; COMPUTE_PGM_RSRC2:TGID_Z_EN: 0
; COMPUTE_PGM_RSRC2:TIDIG_COMP_CNT: 0
	.section	.text._ZN7rocprim17ROCPRIM_400000_NS6detail17trampoline_kernelINS0_13select_configILj256ELj13ELNS0_17block_load_methodE3ELS4_3ELS4_3ELNS0_20block_scan_algorithmE0ELj4294967295EEENS1_25partition_config_selectorILNS1_17partition_subalgoE4EjNS0_10empty_typeEbEEZZNS1_14partition_implILS8_4ELb0ES6_15HIP_vector_typeIjLj2EENS0_17counting_iteratorIjlEEPS9_SG_NS0_5tupleIJPjSI_NS0_16reverse_iteratorISI_EEEEENSH_IJSG_SG_SG_EEES9_SI_JZNS1_25segmented_radix_sort_implINS0_14default_configELb0EPKbPbPKlPlN2at6native12_GLOBAL__N_18offset_tEEE10hipError_tPvRmT1_PNSt15iterator_traitsIS12_E10value_typeET2_T3_PNS13_IS18_E10value_typeET4_jRbjT5_S1E_jjP12ihipStream_tbEUljE_ZNSN_ISO_Lb0ESQ_SR_ST_SU_SY_EESZ_S10_S11_S12_S16_S17_S18_S1B_S1C_jS1D_jS1E_S1E_jjS1G_bEUljE0_EEESZ_S10_S11_S18_S1C_S1E_T6_T7_T9_mT8_S1G_bDpT10_ENKUlT_T0_E_clISt17integral_constantIbLb0EES1T_IbLb1EEEEDaS1P_S1Q_EUlS1P_E_NS1_11comp_targetILNS1_3genE9ELNS1_11target_archE1100ELNS1_3gpuE3ELNS1_3repE0EEENS1_30default_config_static_selectorELNS0_4arch9wavefront6targetE0EEEvS12_,"axG",@progbits,_ZN7rocprim17ROCPRIM_400000_NS6detail17trampoline_kernelINS0_13select_configILj256ELj13ELNS0_17block_load_methodE3ELS4_3ELS4_3ELNS0_20block_scan_algorithmE0ELj4294967295EEENS1_25partition_config_selectorILNS1_17partition_subalgoE4EjNS0_10empty_typeEbEEZZNS1_14partition_implILS8_4ELb0ES6_15HIP_vector_typeIjLj2EENS0_17counting_iteratorIjlEEPS9_SG_NS0_5tupleIJPjSI_NS0_16reverse_iteratorISI_EEEEENSH_IJSG_SG_SG_EEES9_SI_JZNS1_25segmented_radix_sort_implINS0_14default_configELb0EPKbPbPKlPlN2at6native12_GLOBAL__N_18offset_tEEE10hipError_tPvRmT1_PNSt15iterator_traitsIS12_E10value_typeET2_T3_PNS13_IS18_E10value_typeET4_jRbjT5_S1E_jjP12ihipStream_tbEUljE_ZNSN_ISO_Lb0ESQ_SR_ST_SU_SY_EESZ_S10_S11_S12_S16_S17_S18_S1B_S1C_jS1D_jS1E_S1E_jjS1G_bEUljE0_EEESZ_S10_S11_S18_S1C_S1E_T6_T7_T9_mT8_S1G_bDpT10_ENKUlT_T0_E_clISt17integral_constantIbLb0EES1T_IbLb1EEEEDaS1P_S1Q_EUlS1P_E_NS1_11comp_targetILNS1_3genE9ELNS1_11target_archE1100ELNS1_3gpuE3ELNS1_3repE0EEENS1_30default_config_static_selectorELNS0_4arch9wavefront6targetE0EEEvS12_,comdat
	.globl	_ZN7rocprim17ROCPRIM_400000_NS6detail17trampoline_kernelINS0_13select_configILj256ELj13ELNS0_17block_load_methodE3ELS4_3ELS4_3ELNS0_20block_scan_algorithmE0ELj4294967295EEENS1_25partition_config_selectorILNS1_17partition_subalgoE4EjNS0_10empty_typeEbEEZZNS1_14partition_implILS8_4ELb0ES6_15HIP_vector_typeIjLj2EENS0_17counting_iteratorIjlEEPS9_SG_NS0_5tupleIJPjSI_NS0_16reverse_iteratorISI_EEEEENSH_IJSG_SG_SG_EEES9_SI_JZNS1_25segmented_radix_sort_implINS0_14default_configELb0EPKbPbPKlPlN2at6native12_GLOBAL__N_18offset_tEEE10hipError_tPvRmT1_PNSt15iterator_traitsIS12_E10value_typeET2_T3_PNS13_IS18_E10value_typeET4_jRbjT5_S1E_jjP12ihipStream_tbEUljE_ZNSN_ISO_Lb0ESQ_SR_ST_SU_SY_EESZ_S10_S11_S12_S16_S17_S18_S1B_S1C_jS1D_jS1E_S1E_jjS1G_bEUljE0_EEESZ_S10_S11_S18_S1C_S1E_T6_T7_T9_mT8_S1G_bDpT10_ENKUlT_T0_E_clISt17integral_constantIbLb0EES1T_IbLb1EEEEDaS1P_S1Q_EUlS1P_E_NS1_11comp_targetILNS1_3genE9ELNS1_11target_archE1100ELNS1_3gpuE3ELNS1_3repE0EEENS1_30default_config_static_selectorELNS0_4arch9wavefront6targetE0EEEvS12_ ; -- Begin function _ZN7rocprim17ROCPRIM_400000_NS6detail17trampoline_kernelINS0_13select_configILj256ELj13ELNS0_17block_load_methodE3ELS4_3ELS4_3ELNS0_20block_scan_algorithmE0ELj4294967295EEENS1_25partition_config_selectorILNS1_17partition_subalgoE4EjNS0_10empty_typeEbEEZZNS1_14partition_implILS8_4ELb0ES6_15HIP_vector_typeIjLj2EENS0_17counting_iteratorIjlEEPS9_SG_NS0_5tupleIJPjSI_NS0_16reverse_iteratorISI_EEEEENSH_IJSG_SG_SG_EEES9_SI_JZNS1_25segmented_radix_sort_implINS0_14default_configELb0EPKbPbPKlPlN2at6native12_GLOBAL__N_18offset_tEEE10hipError_tPvRmT1_PNSt15iterator_traitsIS12_E10value_typeET2_T3_PNS13_IS18_E10value_typeET4_jRbjT5_S1E_jjP12ihipStream_tbEUljE_ZNSN_ISO_Lb0ESQ_SR_ST_SU_SY_EESZ_S10_S11_S12_S16_S17_S18_S1B_S1C_jS1D_jS1E_S1E_jjS1G_bEUljE0_EEESZ_S10_S11_S18_S1C_S1E_T6_T7_T9_mT8_S1G_bDpT10_ENKUlT_T0_E_clISt17integral_constantIbLb0EES1T_IbLb1EEEEDaS1P_S1Q_EUlS1P_E_NS1_11comp_targetILNS1_3genE9ELNS1_11target_archE1100ELNS1_3gpuE3ELNS1_3repE0EEENS1_30default_config_static_selectorELNS0_4arch9wavefront6targetE0EEEvS12_
	.p2align	8
	.type	_ZN7rocprim17ROCPRIM_400000_NS6detail17trampoline_kernelINS0_13select_configILj256ELj13ELNS0_17block_load_methodE3ELS4_3ELS4_3ELNS0_20block_scan_algorithmE0ELj4294967295EEENS1_25partition_config_selectorILNS1_17partition_subalgoE4EjNS0_10empty_typeEbEEZZNS1_14partition_implILS8_4ELb0ES6_15HIP_vector_typeIjLj2EENS0_17counting_iteratorIjlEEPS9_SG_NS0_5tupleIJPjSI_NS0_16reverse_iteratorISI_EEEEENSH_IJSG_SG_SG_EEES9_SI_JZNS1_25segmented_radix_sort_implINS0_14default_configELb0EPKbPbPKlPlN2at6native12_GLOBAL__N_18offset_tEEE10hipError_tPvRmT1_PNSt15iterator_traitsIS12_E10value_typeET2_T3_PNS13_IS18_E10value_typeET4_jRbjT5_S1E_jjP12ihipStream_tbEUljE_ZNSN_ISO_Lb0ESQ_SR_ST_SU_SY_EESZ_S10_S11_S12_S16_S17_S18_S1B_S1C_jS1D_jS1E_S1E_jjS1G_bEUljE0_EEESZ_S10_S11_S18_S1C_S1E_T6_T7_T9_mT8_S1G_bDpT10_ENKUlT_T0_E_clISt17integral_constantIbLb0EES1T_IbLb1EEEEDaS1P_S1Q_EUlS1P_E_NS1_11comp_targetILNS1_3genE9ELNS1_11target_archE1100ELNS1_3gpuE3ELNS1_3repE0EEENS1_30default_config_static_selectorELNS0_4arch9wavefront6targetE0EEEvS12_,@function
_ZN7rocprim17ROCPRIM_400000_NS6detail17trampoline_kernelINS0_13select_configILj256ELj13ELNS0_17block_load_methodE3ELS4_3ELS4_3ELNS0_20block_scan_algorithmE0ELj4294967295EEENS1_25partition_config_selectorILNS1_17partition_subalgoE4EjNS0_10empty_typeEbEEZZNS1_14partition_implILS8_4ELb0ES6_15HIP_vector_typeIjLj2EENS0_17counting_iteratorIjlEEPS9_SG_NS0_5tupleIJPjSI_NS0_16reverse_iteratorISI_EEEEENSH_IJSG_SG_SG_EEES9_SI_JZNS1_25segmented_radix_sort_implINS0_14default_configELb0EPKbPbPKlPlN2at6native12_GLOBAL__N_18offset_tEEE10hipError_tPvRmT1_PNSt15iterator_traitsIS12_E10value_typeET2_T3_PNS13_IS18_E10value_typeET4_jRbjT5_S1E_jjP12ihipStream_tbEUljE_ZNSN_ISO_Lb0ESQ_SR_ST_SU_SY_EESZ_S10_S11_S12_S16_S17_S18_S1B_S1C_jS1D_jS1E_S1E_jjS1G_bEUljE0_EEESZ_S10_S11_S18_S1C_S1E_T6_T7_T9_mT8_S1G_bDpT10_ENKUlT_T0_E_clISt17integral_constantIbLb0EES1T_IbLb1EEEEDaS1P_S1Q_EUlS1P_E_NS1_11comp_targetILNS1_3genE9ELNS1_11target_archE1100ELNS1_3gpuE3ELNS1_3repE0EEENS1_30default_config_static_selectorELNS0_4arch9wavefront6targetE0EEEvS12_: ; @_ZN7rocprim17ROCPRIM_400000_NS6detail17trampoline_kernelINS0_13select_configILj256ELj13ELNS0_17block_load_methodE3ELS4_3ELS4_3ELNS0_20block_scan_algorithmE0ELj4294967295EEENS1_25partition_config_selectorILNS1_17partition_subalgoE4EjNS0_10empty_typeEbEEZZNS1_14partition_implILS8_4ELb0ES6_15HIP_vector_typeIjLj2EENS0_17counting_iteratorIjlEEPS9_SG_NS0_5tupleIJPjSI_NS0_16reverse_iteratorISI_EEEEENSH_IJSG_SG_SG_EEES9_SI_JZNS1_25segmented_radix_sort_implINS0_14default_configELb0EPKbPbPKlPlN2at6native12_GLOBAL__N_18offset_tEEE10hipError_tPvRmT1_PNSt15iterator_traitsIS12_E10value_typeET2_T3_PNS13_IS18_E10value_typeET4_jRbjT5_S1E_jjP12ihipStream_tbEUljE_ZNSN_ISO_Lb0ESQ_SR_ST_SU_SY_EESZ_S10_S11_S12_S16_S17_S18_S1B_S1C_jS1D_jS1E_S1E_jjS1G_bEUljE0_EEESZ_S10_S11_S18_S1C_S1E_T6_T7_T9_mT8_S1G_bDpT10_ENKUlT_T0_E_clISt17integral_constantIbLb0EES1T_IbLb1EEEEDaS1P_S1Q_EUlS1P_E_NS1_11comp_targetILNS1_3genE9ELNS1_11target_archE1100ELNS1_3gpuE3ELNS1_3repE0EEENS1_30default_config_static_selectorELNS0_4arch9wavefront6targetE0EEEvS12_
; %bb.0:
	.section	.rodata,"a",@progbits
	.p2align	6, 0x0
	.amdhsa_kernel _ZN7rocprim17ROCPRIM_400000_NS6detail17trampoline_kernelINS0_13select_configILj256ELj13ELNS0_17block_load_methodE3ELS4_3ELS4_3ELNS0_20block_scan_algorithmE0ELj4294967295EEENS1_25partition_config_selectorILNS1_17partition_subalgoE4EjNS0_10empty_typeEbEEZZNS1_14partition_implILS8_4ELb0ES6_15HIP_vector_typeIjLj2EENS0_17counting_iteratorIjlEEPS9_SG_NS0_5tupleIJPjSI_NS0_16reverse_iteratorISI_EEEEENSH_IJSG_SG_SG_EEES9_SI_JZNS1_25segmented_radix_sort_implINS0_14default_configELb0EPKbPbPKlPlN2at6native12_GLOBAL__N_18offset_tEEE10hipError_tPvRmT1_PNSt15iterator_traitsIS12_E10value_typeET2_T3_PNS13_IS18_E10value_typeET4_jRbjT5_S1E_jjP12ihipStream_tbEUljE_ZNSN_ISO_Lb0ESQ_SR_ST_SU_SY_EESZ_S10_S11_S12_S16_S17_S18_S1B_S1C_jS1D_jS1E_S1E_jjS1G_bEUljE0_EEESZ_S10_S11_S18_S1C_S1E_T6_T7_T9_mT8_S1G_bDpT10_ENKUlT_T0_E_clISt17integral_constantIbLb0EES1T_IbLb1EEEEDaS1P_S1Q_EUlS1P_E_NS1_11comp_targetILNS1_3genE9ELNS1_11target_archE1100ELNS1_3gpuE3ELNS1_3repE0EEENS1_30default_config_static_selectorELNS0_4arch9wavefront6targetE0EEEvS12_
		.amdhsa_group_segment_fixed_size 0
		.amdhsa_private_segment_fixed_size 0
		.amdhsa_kernarg_size 184
		.amdhsa_user_sgpr_count 2
		.amdhsa_user_sgpr_dispatch_ptr 0
		.amdhsa_user_sgpr_queue_ptr 0
		.amdhsa_user_sgpr_kernarg_segment_ptr 1
		.amdhsa_user_sgpr_dispatch_id 0
		.amdhsa_user_sgpr_private_segment_size 0
		.amdhsa_wavefront_size32 1
		.amdhsa_uses_dynamic_stack 0
		.amdhsa_enable_private_segment 0
		.amdhsa_system_sgpr_workgroup_id_x 1
		.amdhsa_system_sgpr_workgroup_id_y 0
		.amdhsa_system_sgpr_workgroup_id_z 0
		.amdhsa_system_sgpr_workgroup_info 0
		.amdhsa_system_vgpr_workitem_id 0
		.amdhsa_next_free_vgpr 1
		.amdhsa_next_free_sgpr 1
		.amdhsa_reserve_vcc 0
		.amdhsa_float_round_mode_32 0
		.amdhsa_float_round_mode_16_64 0
		.amdhsa_float_denorm_mode_32 3
		.amdhsa_float_denorm_mode_16_64 3
		.amdhsa_fp16_overflow 0
		.amdhsa_workgroup_processor_mode 1
		.amdhsa_memory_ordered 1
		.amdhsa_forward_progress 1
		.amdhsa_inst_pref_size 0
		.amdhsa_round_robin_scheduling 0
		.amdhsa_exception_fp_ieee_invalid_op 0
		.amdhsa_exception_fp_denorm_src 0
		.amdhsa_exception_fp_ieee_div_zero 0
		.amdhsa_exception_fp_ieee_overflow 0
		.amdhsa_exception_fp_ieee_underflow 0
		.amdhsa_exception_fp_ieee_inexact 0
		.amdhsa_exception_int_div_zero 0
	.end_amdhsa_kernel
	.section	.text._ZN7rocprim17ROCPRIM_400000_NS6detail17trampoline_kernelINS0_13select_configILj256ELj13ELNS0_17block_load_methodE3ELS4_3ELS4_3ELNS0_20block_scan_algorithmE0ELj4294967295EEENS1_25partition_config_selectorILNS1_17partition_subalgoE4EjNS0_10empty_typeEbEEZZNS1_14partition_implILS8_4ELb0ES6_15HIP_vector_typeIjLj2EENS0_17counting_iteratorIjlEEPS9_SG_NS0_5tupleIJPjSI_NS0_16reverse_iteratorISI_EEEEENSH_IJSG_SG_SG_EEES9_SI_JZNS1_25segmented_radix_sort_implINS0_14default_configELb0EPKbPbPKlPlN2at6native12_GLOBAL__N_18offset_tEEE10hipError_tPvRmT1_PNSt15iterator_traitsIS12_E10value_typeET2_T3_PNS13_IS18_E10value_typeET4_jRbjT5_S1E_jjP12ihipStream_tbEUljE_ZNSN_ISO_Lb0ESQ_SR_ST_SU_SY_EESZ_S10_S11_S12_S16_S17_S18_S1B_S1C_jS1D_jS1E_S1E_jjS1G_bEUljE0_EEESZ_S10_S11_S18_S1C_S1E_T6_T7_T9_mT8_S1G_bDpT10_ENKUlT_T0_E_clISt17integral_constantIbLb0EES1T_IbLb1EEEEDaS1P_S1Q_EUlS1P_E_NS1_11comp_targetILNS1_3genE9ELNS1_11target_archE1100ELNS1_3gpuE3ELNS1_3repE0EEENS1_30default_config_static_selectorELNS0_4arch9wavefront6targetE0EEEvS12_,"axG",@progbits,_ZN7rocprim17ROCPRIM_400000_NS6detail17trampoline_kernelINS0_13select_configILj256ELj13ELNS0_17block_load_methodE3ELS4_3ELS4_3ELNS0_20block_scan_algorithmE0ELj4294967295EEENS1_25partition_config_selectorILNS1_17partition_subalgoE4EjNS0_10empty_typeEbEEZZNS1_14partition_implILS8_4ELb0ES6_15HIP_vector_typeIjLj2EENS0_17counting_iteratorIjlEEPS9_SG_NS0_5tupleIJPjSI_NS0_16reverse_iteratorISI_EEEEENSH_IJSG_SG_SG_EEES9_SI_JZNS1_25segmented_radix_sort_implINS0_14default_configELb0EPKbPbPKlPlN2at6native12_GLOBAL__N_18offset_tEEE10hipError_tPvRmT1_PNSt15iterator_traitsIS12_E10value_typeET2_T3_PNS13_IS18_E10value_typeET4_jRbjT5_S1E_jjP12ihipStream_tbEUljE_ZNSN_ISO_Lb0ESQ_SR_ST_SU_SY_EESZ_S10_S11_S12_S16_S17_S18_S1B_S1C_jS1D_jS1E_S1E_jjS1G_bEUljE0_EEESZ_S10_S11_S18_S1C_S1E_T6_T7_T9_mT8_S1G_bDpT10_ENKUlT_T0_E_clISt17integral_constantIbLb0EES1T_IbLb1EEEEDaS1P_S1Q_EUlS1P_E_NS1_11comp_targetILNS1_3genE9ELNS1_11target_archE1100ELNS1_3gpuE3ELNS1_3repE0EEENS1_30default_config_static_selectorELNS0_4arch9wavefront6targetE0EEEvS12_,comdat
.Lfunc_end1601:
	.size	_ZN7rocprim17ROCPRIM_400000_NS6detail17trampoline_kernelINS0_13select_configILj256ELj13ELNS0_17block_load_methodE3ELS4_3ELS4_3ELNS0_20block_scan_algorithmE0ELj4294967295EEENS1_25partition_config_selectorILNS1_17partition_subalgoE4EjNS0_10empty_typeEbEEZZNS1_14partition_implILS8_4ELb0ES6_15HIP_vector_typeIjLj2EENS0_17counting_iteratorIjlEEPS9_SG_NS0_5tupleIJPjSI_NS0_16reverse_iteratorISI_EEEEENSH_IJSG_SG_SG_EEES9_SI_JZNS1_25segmented_radix_sort_implINS0_14default_configELb0EPKbPbPKlPlN2at6native12_GLOBAL__N_18offset_tEEE10hipError_tPvRmT1_PNSt15iterator_traitsIS12_E10value_typeET2_T3_PNS13_IS18_E10value_typeET4_jRbjT5_S1E_jjP12ihipStream_tbEUljE_ZNSN_ISO_Lb0ESQ_SR_ST_SU_SY_EESZ_S10_S11_S12_S16_S17_S18_S1B_S1C_jS1D_jS1E_S1E_jjS1G_bEUljE0_EEESZ_S10_S11_S18_S1C_S1E_T6_T7_T9_mT8_S1G_bDpT10_ENKUlT_T0_E_clISt17integral_constantIbLb0EES1T_IbLb1EEEEDaS1P_S1Q_EUlS1P_E_NS1_11comp_targetILNS1_3genE9ELNS1_11target_archE1100ELNS1_3gpuE3ELNS1_3repE0EEENS1_30default_config_static_selectorELNS0_4arch9wavefront6targetE0EEEvS12_, .Lfunc_end1601-_ZN7rocprim17ROCPRIM_400000_NS6detail17trampoline_kernelINS0_13select_configILj256ELj13ELNS0_17block_load_methodE3ELS4_3ELS4_3ELNS0_20block_scan_algorithmE0ELj4294967295EEENS1_25partition_config_selectorILNS1_17partition_subalgoE4EjNS0_10empty_typeEbEEZZNS1_14partition_implILS8_4ELb0ES6_15HIP_vector_typeIjLj2EENS0_17counting_iteratorIjlEEPS9_SG_NS0_5tupleIJPjSI_NS0_16reverse_iteratorISI_EEEEENSH_IJSG_SG_SG_EEES9_SI_JZNS1_25segmented_radix_sort_implINS0_14default_configELb0EPKbPbPKlPlN2at6native12_GLOBAL__N_18offset_tEEE10hipError_tPvRmT1_PNSt15iterator_traitsIS12_E10value_typeET2_T3_PNS13_IS18_E10value_typeET4_jRbjT5_S1E_jjP12ihipStream_tbEUljE_ZNSN_ISO_Lb0ESQ_SR_ST_SU_SY_EESZ_S10_S11_S12_S16_S17_S18_S1B_S1C_jS1D_jS1E_S1E_jjS1G_bEUljE0_EEESZ_S10_S11_S18_S1C_S1E_T6_T7_T9_mT8_S1G_bDpT10_ENKUlT_T0_E_clISt17integral_constantIbLb0EES1T_IbLb1EEEEDaS1P_S1Q_EUlS1P_E_NS1_11comp_targetILNS1_3genE9ELNS1_11target_archE1100ELNS1_3gpuE3ELNS1_3repE0EEENS1_30default_config_static_selectorELNS0_4arch9wavefront6targetE0EEEvS12_
                                        ; -- End function
	.set _ZN7rocprim17ROCPRIM_400000_NS6detail17trampoline_kernelINS0_13select_configILj256ELj13ELNS0_17block_load_methodE3ELS4_3ELS4_3ELNS0_20block_scan_algorithmE0ELj4294967295EEENS1_25partition_config_selectorILNS1_17partition_subalgoE4EjNS0_10empty_typeEbEEZZNS1_14partition_implILS8_4ELb0ES6_15HIP_vector_typeIjLj2EENS0_17counting_iteratorIjlEEPS9_SG_NS0_5tupleIJPjSI_NS0_16reverse_iteratorISI_EEEEENSH_IJSG_SG_SG_EEES9_SI_JZNS1_25segmented_radix_sort_implINS0_14default_configELb0EPKbPbPKlPlN2at6native12_GLOBAL__N_18offset_tEEE10hipError_tPvRmT1_PNSt15iterator_traitsIS12_E10value_typeET2_T3_PNS13_IS18_E10value_typeET4_jRbjT5_S1E_jjP12ihipStream_tbEUljE_ZNSN_ISO_Lb0ESQ_SR_ST_SU_SY_EESZ_S10_S11_S12_S16_S17_S18_S1B_S1C_jS1D_jS1E_S1E_jjS1G_bEUljE0_EEESZ_S10_S11_S18_S1C_S1E_T6_T7_T9_mT8_S1G_bDpT10_ENKUlT_T0_E_clISt17integral_constantIbLb0EES1T_IbLb1EEEEDaS1P_S1Q_EUlS1P_E_NS1_11comp_targetILNS1_3genE9ELNS1_11target_archE1100ELNS1_3gpuE3ELNS1_3repE0EEENS1_30default_config_static_selectorELNS0_4arch9wavefront6targetE0EEEvS12_.num_vgpr, 0
	.set _ZN7rocprim17ROCPRIM_400000_NS6detail17trampoline_kernelINS0_13select_configILj256ELj13ELNS0_17block_load_methodE3ELS4_3ELS4_3ELNS0_20block_scan_algorithmE0ELj4294967295EEENS1_25partition_config_selectorILNS1_17partition_subalgoE4EjNS0_10empty_typeEbEEZZNS1_14partition_implILS8_4ELb0ES6_15HIP_vector_typeIjLj2EENS0_17counting_iteratorIjlEEPS9_SG_NS0_5tupleIJPjSI_NS0_16reverse_iteratorISI_EEEEENSH_IJSG_SG_SG_EEES9_SI_JZNS1_25segmented_radix_sort_implINS0_14default_configELb0EPKbPbPKlPlN2at6native12_GLOBAL__N_18offset_tEEE10hipError_tPvRmT1_PNSt15iterator_traitsIS12_E10value_typeET2_T3_PNS13_IS18_E10value_typeET4_jRbjT5_S1E_jjP12ihipStream_tbEUljE_ZNSN_ISO_Lb0ESQ_SR_ST_SU_SY_EESZ_S10_S11_S12_S16_S17_S18_S1B_S1C_jS1D_jS1E_S1E_jjS1G_bEUljE0_EEESZ_S10_S11_S18_S1C_S1E_T6_T7_T9_mT8_S1G_bDpT10_ENKUlT_T0_E_clISt17integral_constantIbLb0EES1T_IbLb1EEEEDaS1P_S1Q_EUlS1P_E_NS1_11comp_targetILNS1_3genE9ELNS1_11target_archE1100ELNS1_3gpuE3ELNS1_3repE0EEENS1_30default_config_static_selectorELNS0_4arch9wavefront6targetE0EEEvS12_.num_agpr, 0
	.set _ZN7rocprim17ROCPRIM_400000_NS6detail17trampoline_kernelINS0_13select_configILj256ELj13ELNS0_17block_load_methodE3ELS4_3ELS4_3ELNS0_20block_scan_algorithmE0ELj4294967295EEENS1_25partition_config_selectorILNS1_17partition_subalgoE4EjNS0_10empty_typeEbEEZZNS1_14partition_implILS8_4ELb0ES6_15HIP_vector_typeIjLj2EENS0_17counting_iteratorIjlEEPS9_SG_NS0_5tupleIJPjSI_NS0_16reverse_iteratorISI_EEEEENSH_IJSG_SG_SG_EEES9_SI_JZNS1_25segmented_radix_sort_implINS0_14default_configELb0EPKbPbPKlPlN2at6native12_GLOBAL__N_18offset_tEEE10hipError_tPvRmT1_PNSt15iterator_traitsIS12_E10value_typeET2_T3_PNS13_IS18_E10value_typeET4_jRbjT5_S1E_jjP12ihipStream_tbEUljE_ZNSN_ISO_Lb0ESQ_SR_ST_SU_SY_EESZ_S10_S11_S12_S16_S17_S18_S1B_S1C_jS1D_jS1E_S1E_jjS1G_bEUljE0_EEESZ_S10_S11_S18_S1C_S1E_T6_T7_T9_mT8_S1G_bDpT10_ENKUlT_T0_E_clISt17integral_constantIbLb0EES1T_IbLb1EEEEDaS1P_S1Q_EUlS1P_E_NS1_11comp_targetILNS1_3genE9ELNS1_11target_archE1100ELNS1_3gpuE3ELNS1_3repE0EEENS1_30default_config_static_selectorELNS0_4arch9wavefront6targetE0EEEvS12_.numbered_sgpr, 0
	.set _ZN7rocprim17ROCPRIM_400000_NS6detail17trampoline_kernelINS0_13select_configILj256ELj13ELNS0_17block_load_methodE3ELS4_3ELS4_3ELNS0_20block_scan_algorithmE0ELj4294967295EEENS1_25partition_config_selectorILNS1_17partition_subalgoE4EjNS0_10empty_typeEbEEZZNS1_14partition_implILS8_4ELb0ES6_15HIP_vector_typeIjLj2EENS0_17counting_iteratorIjlEEPS9_SG_NS0_5tupleIJPjSI_NS0_16reverse_iteratorISI_EEEEENSH_IJSG_SG_SG_EEES9_SI_JZNS1_25segmented_radix_sort_implINS0_14default_configELb0EPKbPbPKlPlN2at6native12_GLOBAL__N_18offset_tEEE10hipError_tPvRmT1_PNSt15iterator_traitsIS12_E10value_typeET2_T3_PNS13_IS18_E10value_typeET4_jRbjT5_S1E_jjP12ihipStream_tbEUljE_ZNSN_ISO_Lb0ESQ_SR_ST_SU_SY_EESZ_S10_S11_S12_S16_S17_S18_S1B_S1C_jS1D_jS1E_S1E_jjS1G_bEUljE0_EEESZ_S10_S11_S18_S1C_S1E_T6_T7_T9_mT8_S1G_bDpT10_ENKUlT_T0_E_clISt17integral_constantIbLb0EES1T_IbLb1EEEEDaS1P_S1Q_EUlS1P_E_NS1_11comp_targetILNS1_3genE9ELNS1_11target_archE1100ELNS1_3gpuE3ELNS1_3repE0EEENS1_30default_config_static_selectorELNS0_4arch9wavefront6targetE0EEEvS12_.num_named_barrier, 0
	.set _ZN7rocprim17ROCPRIM_400000_NS6detail17trampoline_kernelINS0_13select_configILj256ELj13ELNS0_17block_load_methodE3ELS4_3ELS4_3ELNS0_20block_scan_algorithmE0ELj4294967295EEENS1_25partition_config_selectorILNS1_17partition_subalgoE4EjNS0_10empty_typeEbEEZZNS1_14partition_implILS8_4ELb0ES6_15HIP_vector_typeIjLj2EENS0_17counting_iteratorIjlEEPS9_SG_NS0_5tupleIJPjSI_NS0_16reverse_iteratorISI_EEEEENSH_IJSG_SG_SG_EEES9_SI_JZNS1_25segmented_radix_sort_implINS0_14default_configELb0EPKbPbPKlPlN2at6native12_GLOBAL__N_18offset_tEEE10hipError_tPvRmT1_PNSt15iterator_traitsIS12_E10value_typeET2_T3_PNS13_IS18_E10value_typeET4_jRbjT5_S1E_jjP12ihipStream_tbEUljE_ZNSN_ISO_Lb0ESQ_SR_ST_SU_SY_EESZ_S10_S11_S12_S16_S17_S18_S1B_S1C_jS1D_jS1E_S1E_jjS1G_bEUljE0_EEESZ_S10_S11_S18_S1C_S1E_T6_T7_T9_mT8_S1G_bDpT10_ENKUlT_T0_E_clISt17integral_constantIbLb0EES1T_IbLb1EEEEDaS1P_S1Q_EUlS1P_E_NS1_11comp_targetILNS1_3genE9ELNS1_11target_archE1100ELNS1_3gpuE3ELNS1_3repE0EEENS1_30default_config_static_selectorELNS0_4arch9wavefront6targetE0EEEvS12_.private_seg_size, 0
	.set _ZN7rocprim17ROCPRIM_400000_NS6detail17trampoline_kernelINS0_13select_configILj256ELj13ELNS0_17block_load_methodE3ELS4_3ELS4_3ELNS0_20block_scan_algorithmE0ELj4294967295EEENS1_25partition_config_selectorILNS1_17partition_subalgoE4EjNS0_10empty_typeEbEEZZNS1_14partition_implILS8_4ELb0ES6_15HIP_vector_typeIjLj2EENS0_17counting_iteratorIjlEEPS9_SG_NS0_5tupleIJPjSI_NS0_16reverse_iteratorISI_EEEEENSH_IJSG_SG_SG_EEES9_SI_JZNS1_25segmented_radix_sort_implINS0_14default_configELb0EPKbPbPKlPlN2at6native12_GLOBAL__N_18offset_tEEE10hipError_tPvRmT1_PNSt15iterator_traitsIS12_E10value_typeET2_T3_PNS13_IS18_E10value_typeET4_jRbjT5_S1E_jjP12ihipStream_tbEUljE_ZNSN_ISO_Lb0ESQ_SR_ST_SU_SY_EESZ_S10_S11_S12_S16_S17_S18_S1B_S1C_jS1D_jS1E_S1E_jjS1G_bEUljE0_EEESZ_S10_S11_S18_S1C_S1E_T6_T7_T9_mT8_S1G_bDpT10_ENKUlT_T0_E_clISt17integral_constantIbLb0EES1T_IbLb1EEEEDaS1P_S1Q_EUlS1P_E_NS1_11comp_targetILNS1_3genE9ELNS1_11target_archE1100ELNS1_3gpuE3ELNS1_3repE0EEENS1_30default_config_static_selectorELNS0_4arch9wavefront6targetE0EEEvS12_.uses_vcc, 0
	.set _ZN7rocprim17ROCPRIM_400000_NS6detail17trampoline_kernelINS0_13select_configILj256ELj13ELNS0_17block_load_methodE3ELS4_3ELS4_3ELNS0_20block_scan_algorithmE0ELj4294967295EEENS1_25partition_config_selectorILNS1_17partition_subalgoE4EjNS0_10empty_typeEbEEZZNS1_14partition_implILS8_4ELb0ES6_15HIP_vector_typeIjLj2EENS0_17counting_iteratorIjlEEPS9_SG_NS0_5tupleIJPjSI_NS0_16reverse_iteratorISI_EEEEENSH_IJSG_SG_SG_EEES9_SI_JZNS1_25segmented_radix_sort_implINS0_14default_configELb0EPKbPbPKlPlN2at6native12_GLOBAL__N_18offset_tEEE10hipError_tPvRmT1_PNSt15iterator_traitsIS12_E10value_typeET2_T3_PNS13_IS18_E10value_typeET4_jRbjT5_S1E_jjP12ihipStream_tbEUljE_ZNSN_ISO_Lb0ESQ_SR_ST_SU_SY_EESZ_S10_S11_S12_S16_S17_S18_S1B_S1C_jS1D_jS1E_S1E_jjS1G_bEUljE0_EEESZ_S10_S11_S18_S1C_S1E_T6_T7_T9_mT8_S1G_bDpT10_ENKUlT_T0_E_clISt17integral_constantIbLb0EES1T_IbLb1EEEEDaS1P_S1Q_EUlS1P_E_NS1_11comp_targetILNS1_3genE9ELNS1_11target_archE1100ELNS1_3gpuE3ELNS1_3repE0EEENS1_30default_config_static_selectorELNS0_4arch9wavefront6targetE0EEEvS12_.uses_flat_scratch, 0
	.set _ZN7rocprim17ROCPRIM_400000_NS6detail17trampoline_kernelINS0_13select_configILj256ELj13ELNS0_17block_load_methodE3ELS4_3ELS4_3ELNS0_20block_scan_algorithmE0ELj4294967295EEENS1_25partition_config_selectorILNS1_17partition_subalgoE4EjNS0_10empty_typeEbEEZZNS1_14partition_implILS8_4ELb0ES6_15HIP_vector_typeIjLj2EENS0_17counting_iteratorIjlEEPS9_SG_NS0_5tupleIJPjSI_NS0_16reverse_iteratorISI_EEEEENSH_IJSG_SG_SG_EEES9_SI_JZNS1_25segmented_radix_sort_implINS0_14default_configELb0EPKbPbPKlPlN2at6native12_GLOBAL__N_18offset_tEEE10hipError_tPvRmT1_PNSt15iterator_traitsIS12_E10value_typeET2_T3_PNS13_IS18_E10value_typeET4_jRbjT5_S1E_jjP12ihipStream_tbEUljE_ZNSN_ISO_Lb0ESQ_SR_ST_SU_SY_EESZ_S10_S11_S12_S16_S17_S18_S1B_S1C_jS1D_jS1E_S1E_jjS1G_bEUljE0_EEESZ_S10_S11_S18_S1C_S1E_T6_T7_T9_mT8_S1G_bDpT10_ENKUlT_T0_E_clISt17integral_constantIbLb0EES1T_IbLb1EEEEDaS1P_S1Q_EUlS1P_E_NS1_11comp_targetILNS1_3genE9ELNS1_11target_archE1100ELNS1_3gpuE3ELNS1_3repE0EEENS1_30default_config_static_selectorELNS0_4arch9wavefront6targetE0EEEvS12_.has_dyn_sized_stack, 0
	.set _ZN7rocprim17ROCPRIM_400000_NS6detail17trampoline_kernelINS0_13select_configILj256ELj13ELNS0_17block_load_methodE3ELS4_3ELS4_3ELNS0_20block_scan_algorithmE0ELj4294967295EEENS1_25partition_config_selectorILNS1_17partition_subalgoE4EjNS0_10empty_typeEbEEZZNS1_14partition_implILS8_4ELb0ES6_15HIP_vector_typeIjLj2EENS0_17counting_iteratorIjlEEPS9_SG_NS0_5tupleIJPjSI_NS0_16reverse_iteratorISI_EEEEENSH_IJSG_SG_SG_EEES9_SI_JZNS1_25segmented_radix_sort_implINS0_14default_configELb0EPKbPbPKlPlN2at6native12_GLOBAL__N_18offset_tEEE10hipError_tPvRmT1_PNSt15iterator_traitsIS12_E10value_typeET2_T3_PNS13_IS18_E10value_typeET4_jRbjT5_S1E_jjP12ihipStream_tbEUljE_ZNSN_ISO_Lb0ESQ_SR_ST_SU_SY_EESZ_S10_S11_S12_S16_S17_S18_S1B_S1C_jS1D_jS1E_S1E_jjS1G_bEUljE0_EEESZ_S10_S11_S18_S1C_S1E_T6_T7_T9_mT8_S1G_bDpT10_ENKUlT_T0_E_clISt17integral_constantIbLb0EES1T_IbLb1EEEEDaS1P_S1Q_EUlS1P_E_NS1_11comp_targetILNS1_3genE9ELNS1_11target_archE1100ELNS1_3gpuE3ELNS1_3repE0EEENS1_30default_config_static_selectorELNS0_4arch9wavefront6targetE0EEEvS12_.has_recursion, 0
	.set _ZN7rocprim17ROCPRIM_400000_NS6detail17trampoline_kernelINS0_13select_configILj256ELj13ELNS0_17block_load_methodE3ELS4_3ELS4_3ELNS0_20block_scan_algorithmE0ELj4294967295EEENS1_25partition_config_selectorILNS1_17partition_subalgoE4EjNS0_10empty_typeEbEEZZNS1_14partition_implILS8_4ELb0ES6_15HIP_vector_typeIjLj2EENS0_17counting_iteratorIjlEEPS9_SG_NS0_5tupleIJPjSI_NS0_16reverse_iteratorISI_EEEEENSH_IJSG_SG_SG_EEES9_SI_JZNS1_25segmented_radix_sort_implINS0_14default_configELb0EPKbPbPKlPlN2at6native12_GLOBAL__N_18offset_tEEE10hipError_tPvRmT1_PNSt15iterator_traitsIS12_E10value_typeET2_T3_PNS13_IS18_E10value_typeET4_jRbjT5_S1E_jjP12ihipStream_tbEUljE_ZNSN_ISO_Lb0ESQ_SR_ST_SU_SY_EESZ_S10_S11_S12_S16_S17_S18_S1B_S1C_jS1D_jS1E_S1E_jjS1G_bEUljE0_EEESZ_S10_S11_S18_S1C_S1E_T6_T7_T9_mT8_S1G_bDpT10_ENKUlT_T0_E_clISt17integral_constantIbLb0EES1T_IbLb1EEEEDaS1P_S1Q_EUlS1P_E_NS1_11comp_targetILNS1_3genE9ELNS1_11target_archE1100ELNS1_3gpuE3ELNS1_3repE0EEENS1_30default_config_static_selectorELNS0_4arch9wavefront6targetE0EEEvS12_.has_indirect_call, 0
	.section	.AMDGPU.csdata,"",@progbits
; Kernel info:
; codeLenInByte = 0
; TotalNumSgprs: 0
; NumVgprs: 0
; ScratchSize: 0
; MemoryBound: 0
; FloatMode: 240
; IeeeMode: 1
; LDSByteSize: 0 bytes/workgroup (compile time only)
; SGPRBlocks: 0
; VGPRBlocks: 0
; NumSGPRsForWavesPerEU: 1
; NumVGPRsForWavesPerEU: 1
; Occupancy: 16
; WaveLimiterHint : 0
; COMPUTE_PGM_RSRC2:SCRATCH_EN: 0
; COMPUTE_PGM_RSRC2:USER_SGPR: 2
; COMPUTE_PGM_RSRC2:TRAP_HANDLER: 0
; COMPUTE_PGM_RSRC2:TGID_X_EN: 1
; COMPUTE_PGM_RSRC2:TGID_Y_EN: 0
; COMPUTE_PGM_RSRC2:TGID_Z_EN: 0
; COMPUTE_PGM_RSRC2:TIDIG_COMP_CNT: 0
	.section	.text._ZN7rocprim17ROCPRIM_400000_NS6detail17trampoline_kernelINS0_13select_configILj256ELj13ELNS0_17block_load_methodE3ELS4_3ELS4_3ELNS0_20block_scan_algorithmE0ELj4294967295EEENS1_25partition_config_selectorILNS1_17partition_subalgoE4EjNS0_10empty_typeEbEEZZNS1_14partition_implILS8_4ELb0ES6_15HIP_vector_typeIjLj2EENS0_17counting_iteratorIjlEEPS9_SG_NS0_5tupleIJPjSI_NS0_16reverse_iteratorISI_EEEEENSH_IJSG_SG_SG_EEES9_SI_JZNS1_25segmented_radix_sort_implINS0_14default_configELb0EPKbPbPKlPlN2at6native12_GLOBAL__N_18offset_tEEE10hipError_tPvRmT1_PNSt15iterator_traitsIS12_E10value_typeET2_T3_PNS13_IS18_E10value_typeET4_jRbjT5_S1E_jjP12ihipStream_tbEUljE_ZNSN_ISO_Lb0ESQ_SR_ST_SU_SY_EESZ_S10_S11_S12_S16_S17_S18_S1B_S1C_jS1D_jS1E_S1E_jjS1G_bEUljE0_EEESZ_S10_S11_S18_S1C_S1E_T6_T7_T9_mT8_S1G_bDpT10_ENKUlT_T0_E_clISt17integral_constantIbLb0EES1T_IbLb1EEEEDaS1P_S1Q_EUlS1P_E_NS1_11comp_targetILNS1_3genE8ELNS1_11target_archE1030ELNS1_3gpuE2ELNS1_3repE0EEENS1_30default_config_static_selectorELNS0_4arch9wavefront6targetE0EEEvS12_,"axG",@progbits,_ZN7rocprim17ROCPRIM_400000_NS6detail17trampoline_kernelINS0_13select_configILj256ELj13ELNS0_17block_load_methodE3ELS4_3ELS4_3ELNS0_20block_scan_algorithmE0ELj4294967295EEENS1_25partition_config_selectorILNS1_17partition_subalgoE4EjNS0_10empty_typeEbEEZZNS1_14partition_implILS8_4ELb0ES6_15HIP_vector_typeIjLj2EENS0_17counting_iteratorIjlEEPS9_SG_NS0_5tupleIJPjSI_NS0_16reverse_iteratorISI_EEEEENSH_IJSG_SG_SG_EEES9_SI_JZNS1_25segmented_radix_sort_implINS0_14default_configELb0EPKbPbPKlPlN2at6native12_GLOBAL__N_18offset_tEEE10hipError_tPvRmT1_PNSt15iterator_traitsIS12_E10value_typeET2_T3_PNS13_IS18_E10value_typeET4_jRbjT5_S1E_jjP12ihipStream_tbEUljE_ZNSN_ISO_Lb0ESQ_SR_ST_SU_SY_EESZ_S10_S11_S12_S16_S17_S18_S1B_S1C_jS1D_jS1E_S1E_jjS1G_bEUljE0_EEESZ_S10_S11_S18_S1C_S1E_T6_T7_T9_mT8_S1G_bDpT10_ENKUlT_T0_E_clISt17integral_constantIbLb0EES1T_IbLb1EEEEDaS1P_S1Q_EUlS1P_E_NS1_11comp_targetILNS1_3genE8ELNS1_11target_archE1030ELNS1_3gpuE2ELNS1_3repE0EEENS1_30default_config_static_selectorELNS0_4arch9wavefront6targetE0EEEvS12_,comdat
	.globl	_ZN7rocprim17ROCPRIM_400000_NS6detail17trampoline_kernelINS0_13select_configILj256ELj13ELNS0_17block_load_methodE3ELS4_3ELS4_3ELNS0_20block_scan_algorithmE0ELj4294967295EEENS1_25partition_config_selectorILNS1_17partition_subalgoE4EjNS0_10empty_typeEbEEZZNS1_14partition_implILS8_4ELb0ES6_15HIP_vector_typeIjLj2EENS0_17counting_iteratorIjlEEPS9_SG_NS0_5tupleIJPjSI_NS0_16reverse_iteratorISI_EEEEENSH_IJSG_SG_SG_EEES9_SI_JZNS1_25segmented_radix_sort_implINS0_14default_configELb0EPKbPbPKlPlN2at6native12_GLOBAL__N_18offset_tEEE10hipError_tPvRmT1_PNSt15iterator_traitsIS12_E10value_typeET2_T3_PNS13_IS18_E10value_typeET4_jRbjT5_S1E_jjP12ihipStream_tbEUljE_ZNSN_ISO_Lb0ESQ_SR_ST_SU_SY_EESZ_S10_S11_S12_S16_S17_S18_S1B_S1C_jS1D_jS1E_S1E_jjS1G_bEUljE0_EEESZ_S10_S11_S18_S1C_S1E_T6_T7_T9_mT8_S1G_bDpT10_ENKUlT_T0_E_clISt17integral_constantIbLb0EES1T_IbLb1EEEEDaS1P_S1Q_EUlS1P_E_NS1_11comp_targetILNS1_3genE8ELNS1_11target_archE1030ELNS1_3gpuE2ELNS1_3repE0EEENS1_30default_config_static_selectorELNS0_4arch9wavefront6targetE0EEEvS12_ ; -- Begin function _ZN7rocprim17ROCPRIM_400000_NS6detail17trampoline_kernelINS0_13select_configILj256ELj13ELNS0_17block_load_methodE3ELS4_3ELS4_3ELNS0_20block_scan_algorithmE0ELj4294967295EEENS1_25partition_config_selectorILNS1_17partition_subalgoE4EjNS0_10empty_typeEbEEZZNS1_14partition_implILS8_4ELb0ES6_15HIP_vector_typeIjLj2EENS0_17counting_iteratorIjlEEPS9_SG_NS0_5tupleIJPjSI_NS0_16reverse_iteratorISI_EEEEENSH_IJSG_SG_SG_EEES9_SI_JZNS1_25segmented_radix_sort_implINS0_14default_configELb0EPKbPbPKlPlN2at6native12_GLOBAL__N_18offset_tEEE10hipError_tPvRmT1_PNSt15iterator_traitsIS12_E10value_typeET2_T3_PNS13_IS18_E10value_typeET4_jRbjT5_S1E_jjP12ihipStream_tbEUljE_ZNSN_ISO_Lb0ESQ_SR_ST_SU_SY_EESZ_S10_S11_S12_S16_S17_S18_S1B_S1C_jS1D_jS1E_S1E_jjS1G_bEUljE0_EEESZ_S10_S11_S18_S1C_S1E_T6_T7_T9_mT8_S1G_bDpT10_ENKUlT_T0_E_clISt17integral_constantIbLb0EES1T_IbLb1EEEEDaS1P_S1Q_EUlS1P_E_NS1_11comp_targetILNS1_3genE8ELNS1_11target_archE1030ELNS1_3gpuE2ELNS1_3repE0EEENS1_30default_config_static_selectorELNS0_4arch9wavefront6targetE0EEEvS12_
	.p2align	8
	.type	_ZN7rocprim17ROCPRIM_400000_NS6detail17trampoline_kernelINS0_13select_configILj256ELj13ELNS0_17block_load_methodE3ELS4_3ELS4_3ELNS0_20block_scan_algorithmE0ELj4294967295EEENS1_25partition_config_selectorILNS1_17partition_subalgoE4EjNS0_10empty_typeEbEEZZNS1_14partition_implILS8_4ELb0ES6_15HIP_vector_typeIjLj2EENS0_17counting_iteratorIjlEEPS9_SG_NS0_5tupleIJPjSI_NS0_16reverse_iteratorISI_EEEEENSH_IJSG_SG_SG_EEES9_SI_JZNS1_25segmented_radix_sort_implINS0_14default_configELb0EPKbPbPKlPlN2at6native12_GLOBAL__N_18offset_tEEE10hipError_tPvRmT1_PNSt15iterator_traitsIS12_E10value_typeET2_T3_PNS13_IS18_E10value_typeET4_jRbjT5_S1E_jjP12ihipStream_tbEUljE_ZNSN_ISO_Lb0ESQ_SR_ST_SU_SY_EESZ_S10_S11_S12_S16_S17_S18_S1B_S1C_jS1D_jS1E_S1E_jjS1G_bEUljE0_EEESZ_S10_S11_S18_S1C_S1E_T6_T7_T9_mT8_S1G_bDpT10_ENKUlT_T0_E_clISt17integral_constantIbLb0EES1T_IbLb1EEEEDaS1P_S1Q_EUlS1P_E_NS1_11comp_targetILNS1_3genE8ELNS1_11target_archE1030ELNS1_3gpuE2ELNS1_3repE0EEENS1_30default_config_static_selectorELNS0_4arch9wavefront6targetE0EEEvS12_,@function
_ZN7rocprim17ROCPRIM_400000_NS6detail17trampoline_kernelINS0_13select_configILj256ELj13ELNS0_17block_load_methodE3ELS4_3ELS4_3ELNS0_20block_scan_algorithmE0ELj4294967295EEENS1_25partition_config_selectorILNS1_17partition_subalgoE4EjNS0_10empty_typeEbEEZZNS1_14partition_implILS8_4ELb0ES6_15HIP_vector_typeIjLj2EENS0_17counting_iteratorIjlEEPS9_SG_NS0_5tupleIJPjSI_NS0_16reverse_iteratorISI_EEEEENSH_IJSG_SG_SG_EEES9_SI_JZNS1_25segmented_radix_sort_implINS0_14default_configELb0EPKbPbPKlPlN2at6native12_GLOBAL__N_18offset_tEEE10hipError_tPvRmT1_PNSt15iterator_traitsIS12_E10value_typeET2_T3_PNS13_IS18_E10value_typeET4_jRbjT5_S1E_jjP12ihipStream_tbEUljE_ZNSN_ISO_Lb0ESQ_SR_ST_SU_SY_EESZ_S10_S11_S12_S16_S17_S18_S1B_S1C_jS1D_jS1E_S1E_jjS1G_bEUljE0_EEESZ_S10_S11_S18_S1C_S1E_T6_T7_T9_mT8_S1G_bDpT10_ENKUlT_T0_E_clISt17integral_constantIbLb0EES1T_IbLb1EEEEDaS1P_S1Q_EUlS1P_E_NS1_11comp_targetILNS1_3genE8ELNS1_11target_archE1030ELNS1_3gpuE2ELNS1_3repE0EEENS1_30default_config_static_selectorELNS0_4arch9wavefront6targetE0EEEvS12_: ; @_ZN7rocprim17ROCPRIM_400000_NS6detail17trampoline_kernelINS0_13select_configILj256ELj13ELNS0_17block_load_methodE3ELS4_3ELS4_3ELNS0_20block_scan_algorithmE0ELj4294967295EEENS1_25partition_config_selectorILNS1_17partition_subalgoE4EjNS0_10empty_typeEbEEZZNS1_14partition_implILS8_4ELb0ES6_15HIP_vector_typeIjLj2EENS0_17counting_iteratorIjlEEPS9_SG_NS0_5tupleIJPjSI_NS0_16reverse_iteratorISI_EEEEENSH_IJSG_SG_SG_EEES9_SI_JZNS1_25segmented_radix_sort_implINS0_14default_configELb0EPKbPbPKlPlN2at6native12_GLOBAL__N_18offset_tEEE10hipError_tPvRmT1_PNSt15iterator_traitsIS12_E10value_typeET2_T3_PNS13_IS18_E10value_typeET4_jRbjT5_S1E_jjP12ihipStream_tbEUljE_ZNSN_ISO_Lb0ESQ_SR_ST_SU_SY_EESZ_S10_S11_S12_S16_S17_S18_S1B_S1C_jS1D_jS1E_S1E_jjS1G_bEUljE0_EEESZ_S10_S11_S18_S1C_S1E_T6_T7_T9_mT8_S1G_bDpT10_ENKUlT_T0_E_clISt17integral_constantIbLb0EES1T_IbLb1EEEEDaS1P_S1Q_EUlS1P_E_NS1_11comp_targetILNS1_3genE8ELNS1_11target_archE1030ELNS1_3gpuE2ELNS1_3repE0EEENS1_30default_config_static_selectorELNS0_4arch9wavefront6targetE0EEEvS12_
; %bb.0:
	.section	.rodata,"a",@progbits
	.p2align	6, 0x0
	.amdhsa_kernel _ZN7rocprim17ROCPRIM_400000_NS6detail17trampoline_kernelINS0_13select_configILj256ELj13ELNS0_17block_load_methodE3ELS4_3ELS4_3ELNS0_20block_scan_algorithmE0ELj4294967295EEENS1_25partition_config_selectorILNS1_17partition_subalgoE4EjNS0_10empty_typeEbEEZZNS1_14partition_implILS8_4ELb0ES6_15HIP_vector_typeIjLj2EENS0_17counting_iteratorIjlEEPS9_SG_NS0_5tupleIJPjSI_NS0_16reverse_iteratorISI_EEEEENSH_IJSG_SG_SG_EEES9_SI_JZNS1_25segmented_radix_sort_implINS0_14default_configELb0EPKbPbPKlPlN2at6native12_GLOBAL__N_18offset_tEEE10hipError_tPvRmT1_PNSt15iterator_traitsIS12_E10value_typeET2_T3_PNS13_IS18_E10value_typeET4_jRbjT5_S1E_jjP12ihipStream_tbEUljE_ZNSN_ISO_Lb0ESQ_SR_ST_SU_SY_EESZ_S10_S11_S12_S16_S17_S18_S1B_S1C_jS1D_jS1E_S1E_jjS1G_bEUljE0_EEESZ_S10_S11_S18_S1C_S1E_T6_T7_T9_mT8_S1G_bDpT10_ENKUlT_T0_E_clISt17integral_constantIbLb0EES1T_IbLb1EEEEDaS1P_S1Q_EUlS1P_E_NS1_11comp_targetILNS1_3genE8ELNS1_11target_archE1030ELNS1_3gpuE2ELNS1_3repE0EEENS1_30default_config_static_selectorELNS0_4arch9wavefront6targetE0EEEvS12_
		.amdhsa_group_segment_fixed_size 0
		.amdhsa_private_segment_fixed_size 0
		.amdhsa_kernarg_size 184
		.amdhsa_user_sgpr_count 2
		.amdhsa_user_sgpr_dispatch_ptr 0
		.amdhsa_user_sgpr_queue_ptr 0
		.amdhsa_user_sgpr_kernarg_segment_ptr 1
		.amdhsa_user_sgpr_dispatch_id 0
		.amdhsa_user_sgpr_private_segment_size 0
		.amdhsa_wavefront_size32 1
		.amdhsa_uses_dynamic_stack 0
		.amdhsa_enable_private_segment 0
		.amdhsa_system_sgpr_workgroup_id_x 1
		.amdhsa_system_sgpr_workgroup_id_y 0
		.amdhsa_system_sgpr_workgroup_id_z 0
		.amdhsa_system_sgpr_workgroup_info 0
		.amdhsa_system_vgpr_workitem_id 0
		.amdhsa_next_free_vgpr 1
		.amdhsa_next_free_sgpr 1
		.amdhsa_reserve_vcc 0
		.amdhsa_float_round_mode_32 0
		.amdhsa_float_round_mode_16_64 0
		.amdhsa_float_denorm_mode_32 3
		.amdhsa_float_denorm_mode_16_64 3
		.amdhsa_fp16_overflow 0
		.amdhsa_workgroup_processor_mode 1
		.amdhsa_memory_ordered 1
		.amdhsa_forward_progress 1
		.amdhsa_inst_pref_size 0
		.amdhsa_round_robin_scheduling 0
		.amdhsa_exception_fp_ieee_invalid_op 0
		.amdhsa_exception_fp_denorm_src 0
		.amdhsa_exception_fp_ieee_div_zero 0
		.amdhsa_exception_fp_ieee_overflow 0
		.amdhsa_exception_fp_ieee_underflow 0
		.amdhsa_exception_fp_ieee_inexact 0
		.amdhsa_exception_int_div_zero 0
	.end_amdhsa_kernel
	.section	.text._ZN7rocprim17ROCPRIM_400000_NS6detail17trampoline_kernelINS0_13select_configILj256ELj13ELNS0_17block_load_methodE3ELS4_3ELS4_3ELNS0_20block_scan_algorithmE0ELj4294967295EEENS1_25partition_config_selectorILNS1_17partition_subalgoE4EjNS0_10empty_typeEbEEZZNS1_14partition_implILS8_4ELb0ES6_15HIP_vector_typeIjLj2EENS0_17counting_iteratorIjlEEPS9_SG_NS0_5tupleIJPjSI_NS0_16reverse_iteratorISI_EEEEENSH_IJSG_SG_SG_EEES9_SI_JZNS1_25segmented_radix_sort_implINS0_14default_configELb0EPKbPbPKlPlN2at6native12_GLOBAL__N_18offset_tEEE10hipError_tPvRmT1_PNSt15iterator_traitsIS12_E10value_typeET2_T3_PNS13_IS18_E10value_typeET4_jRbjT5_S1E_jjP12ihipStream_tbEUljE_ZNSN_ISO_Lb0ESQ_SR_ST_SU_SY_EESZ_S10_S11_S12_S16_S17_S18_S1B_S1C_jS1D_jS1E_S1E_jjS1G_bEUljE0_EEESZ_S10_S11_S18_S1C_S1E_T6_T7_T9_mT8_S1G_bDpT10_ENKUlT_T0_E_clISt17integral_constantIbLb0EES1T_IbLb1EEEEDaS1P_S1Q_EUlS1P_E_NS1_11comp_targetILNS1_3genE8ELNS1_11target_archE1030ELNS1_3gpuE2ELNS1_3repE0EEENS1_30default_config_static_selectorELNS0_4arch9wavefront6targetE0EEEvS12_,"axG",@progbits,_ZN7rocprim17ROCPRIM_400000_NS6detail17trampoline_kernelINS0_13select_configILj256ELj13ELNS0_17block_load_methodE3ELS4_3ELS4_3ELNS0_20block_scan_algorithmE0ELj4294967295EEENS1_25partition_config_selectorILNS1_17partition_subalgoE4EjNS0_10empty_typeEbEEZZNS1_14partition_implILS8_4ELb0ES6_15HIP_vector_typeIjLj2EENS0_17counting_iteratorIjlEEPS9_SG_NS0_5tupleIJPjSI_NS0_16reverse_iteratorISI_EEEEENSH_IJSG_SG_SG_EEES9_SI_JZNS1_25segmented_radix_sort_implINS0_14default_configELb0EPKbPbPKlPlN2at6native12_GLOBAL__N_18offset_tEEE10hipError_tPvRmT1_PNSt15iterator_traitsIS12_E10value_typeET2_T3_PNS13_IS18_E10value_typeET4_jRbjT5_S1E_jjP12ihipStream_tbEUljE_ZNSN_ISO_Lb0ESQ_SR_ST_SU_SY_EESZ_S10_S11_S12_S16_S17_S18_S1B_S1C_jS1D_jS1E_S1E_jjS1G_bEUljE0_EEESZ_S10_S11_S18_S1C_S1E_T6_T7_T9_mT8_S1G_bDpT10_ENKUlT_T0_E_clISt17integral_constantIbLb0EES1T_IbLb1EEEEDaS1P_S1Q_EUlS1P_E_NS1_11comp_targetILNS1_3genE8ELNS1_11target_archE1030ELNS1_3gpuE2ELNS1_3repE0EEENS1_30default_config_static_selectorELNS0_4arch9wavefront6targetE0EEEvS12_,comdat
.Lfunc_end1602:
	.size	_ZN7rocprim17ROCPRIM_400000_NS6detail17trampoline_kernelINS0_13select_configILj256ELj13ELNS0_17block_load_methodE3ELS4_3ELS4_3ELNS0_20block_scan_algorithmE0ELj4294967295EEENS1_25partition_config_selectorILNS1_17partition_subalgoE4EjNS0_10empty_typeEbEEZZNS1_14partition_implILS8_4ELb0ES6_15HIP_vector_typeIjLj2EENS0_17counting_iteratorIjlEEPS9_SG_NS0_5tupleIJPjSI_NS0_16reverse_iteratorISI_EEEEENSH_IJSG_SG_SG_EEES9_SI_JZNS1_25segmented_radix_sort_implINS0_14default_configELb0EPKbPbPKlPlN2at6native12_GLOBAL__N_18offset_tEEE10hipError_tPvRmT1_PNSt15iterator_traitsIS12_E10value_typeET2_T3_PNS13_IS18_E10value_typeET4_jRbjT5_S1E_jjP12ihipStream_tbEUljE_ZNSN_ISO_Lb0ESQ_SR_ST_SU_SY_EESZ_S10_S11_S12_S16_S17_S18_S1B_S1C_jS1D_jS1E_S1E_jjS1G_bEUljE0_EEESZ_S10_S11_S18_S1C_S1E_T6_T7_T9_mT8_S1G_bDpT10_ENKUlT_T0_E_clISt17integral_constantIbLb0EES1T_IbLb1EEEEDaS1P_S1Q_EUlS1P_E_NS1_11comp_targetILNS1_3genE8ELNS1_11target_archE1030ELNS1_3gpuE2ELNS1_3repE0EEENS1_30default_config_static_selectorELNS0_4arch9wavefront6targetE0EEEvS12_, .Lfunc_end1602-_ZN7rocprim17ROCPRIM_400000_NS6detail17trampoline_kernelINS0_13select_configILj256ELj13ELNS0_17block_load_methodE3ELS4_3ELS4_3ELNS0_20block_scan_algorithmE0ELj4294967295EEENS1_25partition_config_selectorILNS1_17partition_subalgoE4EjNS0_10empty_typeEbEEZZNS1_14partition_implILS8_4ELb0ES6_15HIP_vector_typeIjLj2EENS0_17counting_iteratorIjlEEPS9_SG_NS0_5tupleIJPjSI_NS0_16reverse_iteratorISI_EEEEENSH_IJSG_SG_SG_EEES9_SI_JZNS1_25segmented_radix_sort_implINS0_14default_configELb0EPKbPbPKlPlN2at6native12_GLOBAL__N_18offset_tEEE10hipError_tPvRmT1_PNSt15iterator_traitsIS12_E10value_typeET2_T3_PNS13_IS18_E10value_typeET4_jRbjT5_S1E_jjP12ihipStream_tbEUljE_ZNSN_ISO_Lb0ESQ_SR_ST_SU_SY_EESZ_S10_S11_S12_S16_S17_S18_S1B_S1C_jS1D_jS1E_S1E_jjS1G_bEUljE0_EEESZ_S10_S11_S18_S1C_S1E_T6_T7_T9_mT8_S1G_bDpT10_ENKUlT_T0_E_clISt17integral_constantIbLb0EES1T_IbLb1EEEEDaS1P_S1Q_EUlS1P_E_NS1_11comp_targetILNS1_3genE8ELNS1_11target_archE1030ELNS1_3gpuE2ELNS1_3repE0EEENS1_30default_config_static_selectorELNS0_4arch9wavefront6targetE0EEEvS12_
                                        ; -- End function
	.set _ZN7rocprim17ROCPRIM_400000_NS6detail17trampoline_kernelINS0_13select_configILj256ELj13ELNS0_17block_load_methodE3ELS4_3ELS4_3ELNS0_20block_scan_algorithmE0ELj4294967295EEENS1_25partition_config_selectorILNS1_17partition_subalgoE4EjNS0_10empty_typeEbEEZZNS1_14partition_implILS8_4ELb0ES6_15HIP_vector_typeIjLj2EENS0_17counting_iteratorIjlEEPS9_SG_NS0_5tupleIJPjSI_NS0_16reverse_iteratorISI_EEEEENSH_IJSG_SG_SG_EEES9_SI_JZNS1_25segmented_radix_sort_implINS0_14default_configELb0EPKbPbPKlPlN2at6native12_GLOBAL__N_18offset_tEEE10hipError_tPvRmT1_PNSt15iterator_traitsIS12_E10value_typeET2_T3_PNS13_IS18_E10value_typeET4_jRbjT5_S1E_jjP12ihipStream_tbEUljE_ZNSN_ISO_Lb0ESQ_SR_ST_SU_SY_EESZ_S10_S11_S12_S16_S17_S18_S1B_S1C_jS1D_jS1E_S1E_jjS1G_bEUljE0_EEESZ_S10_S11_S18_S1C_S1E_T6_T7_T9_mT8_S1G_bDpT10_ENKUlT_T0_E_clISt17integral_constantIbLb0EES1T_IbLb1EEEEDaS1P_S1Q_EUlS1P_E_NS1_11comp_targetILNS1_3genE8ELNS1_11target_archE1030ELNS1_3gpuE2ELNS1_3repE0EEENS1_30default_config_static_selectorELNS0_4arch9wavefront6targetE0EEEvS12_.num_vgpr, 0
	.set _ZN7rocprim17ROCPRIM_400000_NS6detail17trampoline_kernelINS0_13select_configILj256ELj13ELNS0_17block_load_methodE3ELS4_3ELS4_3ELNS0_20block_scan_algorithmE0ELj4294967295EEENS1_25partition_config_selectorILNS1_17partition_subalgoE4EjNS0_10empty_typeEbEEZZNS1_14partition_implILS8_4ELb0ES6_15HIP_vector_typeIjLj2EENS0_17counting_iteratorIjlEEPS9_SG_NS0_5tupleIJPjSI_NS0_16reverse_iteratorISI_EEEEENSH_IJSG_SG_SG_EEES9_SI_JZNS1_25segmented_radix_sort_implINS0_14default_configELb0EPKbPbPKlPlN2at6native12_GLOBAL__N_18offset_tEEE10hipError_tPvRmT1_PNSt15iterator_traitsIS12_E10value_typeET2_T3_PNS13_IS18_E10value_typeET4_jRbjT5_S1E_jjP12ihipStream_tbEUljE_ZNSN_ISO_Lb0ESQ_SR_ST_SU_SY_EESZ_S10_S11_S12_S16_S17_S18_S1B_S1C_jS1D_jS1E_S1E_jjS1G_bEUljE0_EEESZ_S10_S11_S18_S1C_S1E_T6_T7_T9_mT8_S1G_bDpT10_ENKUlT_T0_E_clISt17integral_constantIbLb0EES1T_IbLb1EEEEDaS1P_S1Q_EUlS1P_E_NS1_11comp_targetILNS1_3genE8ELNS1_11target_archE1030ELNS1_3gpuE2ELNS1_3repE0EEENS1_30default_config_static_selectorELNS0_4arch9wavefront6targetE0EEEvS12_.num_agpr, 0
	.set _ZN7rocprim17ROCPRIM_400000_NS6detail17trampoline_kernelINS0_13select_configILj256ELj13ELNS0_17block_load_methodE3ELS4_3ELS4_3ELNS0_20block_scan_algorithmE0ELj4294967295EEENS1_25partition_config_selectorILNS1_17partition_subalgoE4EjNS0_10empty_typeEbEEZZNS1_14partition_implILS8_4ELb0ES6_15HIP_vector_typeIjLj2EENS0_17counting_iteratorIjlEEPS9_SG_NS0_5tupleIJPjSI_NS0_16reverse_iteratorISI_EEEEENSH_IJSG_SG_SG_EEES9_SI_JZNS1_25segmented_radix_sort_implINS0_14default_configELb0EPKbPbPKlPlN2at6native12_GLOBAL__N_18offset_tEEE10hipError_tPvRmT1_PNSt15iterator_traitsIS12_E10value_typeET2_T3_PNS13_IS18_E10value_typeET4_jRbjT5_S1E_jjP12ihipStream_tbEUljE_ZNSN_ISO_Lb0ESQ_SR_ST_SU_SY_EESZ_S10_S11_S12_S16_S17_S18_S1B_S1C_jS1D_jS1E_S1E_jjS1G_bEUljE0_EEESZ_S10_S11_S18_S1C_S1E_T6_T7_T9_mT8_S1G_bDpT10_ENKUlT_T0_E_clISt17integral_constantIbLb0EES1T_IbLb1EEEEDaS1P_S1Q_EUlS1P_E_NS1_11comp_targetILNS1_3genE8ELNS1_11target_archE1030ELNS1_3gpuE2ELNS1_3repE0EEENS1_30default_config_static_selectorELNS0_4arch9wavefront6targetE0EEEvS12_.numbered_sgpr, 0
	.set _ZN7rocprim17ROCPRIM_400000_NS6detail17trampoline_kernelINS0_13select_configILj256ELj13ELNS0_17block_load_methodE3ELS4_3ELS4_3ELNS0_20block_scan_algorithmE0ELj4294967295EEENS1_25partition_config_selectorILNS1_17partition_subalgoE4EjNS0_10empty_typeEbEEZZNS1_14partition_implILS8_4ELb0ES6_15HIP_vector_typeIjLj2EENS0_17counting_iteratorIjlEEPS9_SG_NS0_5tupleIJPjSI_NS0_16reverse_iteratorISI_EEEEENSH_IJSG_SG_SG_EEES9_SI_JZNS1_25segmented_radix_sort_implINS0_14default_configELb0EPKbPbPKlPlN2at6native12_GLOBAL__N_18offset_tEEE10hipError_tPvRmT1_PNSt15iterator_traitsIS12_E10value_typeET2_T3_PNS13_IS18_E10value_typeET4_jRbjT5_S1E_jjP12ihipStream_tbEUljE_ZNSN_ISO_Lb0ESQ_SR_ST_SU_SY_EESZ_S10_S11_S12_S16_S17_S18_S1B_S1C_jS1D_jS1E_S1E_jjS1G_bEUljE0_EEESZ_S10_S11_S18_S1C_S1E_T6_T7_T9_mT8_S1G_bDpT10_ENKUlT_T0_E_clISt17integral_constantIbLb0EES1T_IbLb1EEEEDaS1P_S1Q_EUlS1P_E_NS1_11comp_targetILNS1_3genE8ELNS1_11target_archE1030ELNS1_3gpuE2ELNS1_3repE0EEENS1_30default_config_static_selectorELNS0_4arch9wavefront6targetE0EEEvS12_.num_named_barrier, 0
	.set _ZN7rocprim17ROCPRIM_400000_NS6detail17trampoline_kernelINS0_13select_configILj256ELj13ELNS0_17block_load_methodE3ELS4_3ELS4_3ELNS0_20block_scan_algorithmE0ELj4294967295EEENS1_25partition_config_selectorILNS1_17partition_subalgoE4EjNS0_10empty_typeEbEEZZNS1_14partition_implILS8_4ELb0ES6_15HIP_vector_typeIjLj2EENS0_17counting_iteratorIjlEEPS9_SG_NS0_5tupleIJPjSI_NS0_16reverse_iteratorISI_EEEEENSH_IJSG_SG_SG_EEES9_SI_JZNS1_25segmented_radix_sort_implINS0_14default_configELb0EPKbPbPKlPlN2at6native12_GLOBAL__N_18offset_tEEE10hipError_tPvRmT1_PNSt15iterator_traitsIS12_E10value_typeET2_T3_PNS13_IS18_E10value_typeET4_jRbjT5_S1E_jjP12ihipStream_tbEUljE_ZNSN_ISO_Lb0ESQ_SR_ST_SU_SY_EESZ_S10_S11_S12_S16_S17_S18_S1B_S1C_jS1D_jS1E_S1E_jjS1G_bEUljE0_EEESZ_S10_S11_S18_S1C_S1E_T6_T7_T9_mT8_S1G_bDpT10_ENKUlT_T0_E_clISt17integral_constantIbLb0EES1T_IbLb1EEEEDaS1P_S1Q_EUlS1P_E_NS1_11comp_targetILNS1_3genE8ELNS1_11target_archE1030ELNS1_3gpuE2ELNS1_3repE0EEENS1_30default_config_static_selectorELNS0_4arch9wavefront6targetE0EEEvS12_.private_seg_size, 0
	.set _ZN7rocprim17ROCPRIM_400000_NS6detail17trampoline_kernelINS0_13select_configILj256ELj13ELNS0_17block_load_methodE3ELS4_3ELS4_3ELNS0_20block_scan_algorithmE0ELj4294967295EEENS1_25partition_config_selectorILNS1_17partition_subalgoE4EjNS0_10empty_typeEbEEZZNS1_14partition_implILS8_4ELb0ES6_15HIP_vector_typeIjLj2EENS0_17counting_iteratorIjlEEPS9_SG_NS0_5tupleIJPjSI_NS0_16reverse_iteratorISI_EEEEENSH_IJSG_SG_SG_EEES9_SI_JZNS1_25segmented_radix_sort_implINS0_14default_configELb0EPKbPbPKlPlN2at6native12_GLOBAL__N_18offset_tEEE10hipError_tPvRmT1_PNSt15iterator_traitsIS12_E10value_typeET2_T3_PNS13_IS18_E10value_typeET4_jRbjT5_S1E_jjP12ihipStream_tbEUljE_ZNSN_ISO_Lb0ESQ_SR_ST_SU_SY_EESZ_S10_S11_S12_S16_S17_S18_S1B_S1C_jS1D_jS1E_S1E_jjS1G_bEUljE0_EEESZ_S10_S11_S18_S1C_S1E_T6_T7_T9_mT8_S1G_bDpT10_ENKUlT_T0_E_clISt17integral_constantIbLb0EES1T_IbLb1EEEEDaS1P_S1Q_EUlS1P_E_NS1_11comp_targetILNS1_3genE8ELNS1_11target_archE1030ELNS1_3gpuE2ELNS1_3repE0EEENS1_30default_config_static_selectorELNS0_4arch9wavefront6targetE0EEEvS12_.uses_vcc, 0
	.set _ZN7rocprim17ROCPRIM_400000_NS6detail17trampoline_kernelINS0_13select_configILj256ELj13ELNS0_17block_load_methodE3ELS4_3ELS4_3ELNS0_20block_scan_algorithmE0ELj4294967295EEENS1_25partition_config_selectorILNS1_17partition_subalgoE4EjNS0_10empty_typeEbEEZZNS1_14partition_implILS8_4ELb0ES6_15HIP_vector_typeIjLj2EENS0_17counting_iteratorIjlEEPS9_SG_NS0_5tupleIJPjSI_NS0_16reverse_iteratorISI_EEEEENSH_IJSG_SG_SG_EEES9_SI_JZNS1_25segmented_radix_sort_implINS0_14default_configELb0EPKbPbPKlPlN2at6native12_GLOBAL__N_18offset_tEEE10hipError_tPvRmT1_PNSt15iterator_traitsIS12_E10value_typeET2_T3_PNS13_IS18_E10value_typeET4_jRbjT5_S1E_jjP12ihipStream_tbEUljE_ZNSN_ISO_Lb0ESQ_SR_ST_SU_SY_EESZ_S10_S11_S12_S16_S17_S18_S1B_S1C_jS1D_jS1E_S1E_jjS1G_bEUljE0_EEESZ_S10_S11_S18_S1C_S1E_T6_T7_T9_mT8_S1G_bDpT10_ENKUlT_T0_E_clISt17integral_constantIbLb0EES1T_IbLb1EEEEDaS1P_S1Q_EUlS1P_E_NS1_11comp_targetILNS1_3genE8ELNS1_11target_archE1030ELNS1_3gpuE2ELNS1_3repE0EEENS1_30default_config_static_selectorELNS0_4arch9wavefront6targetE0EEEvS12_.uses_flat_scratch, 0
	.set _ZN7rocprim17ROCPRIM_400000_NS6detail17trampoline_kernelINS0_13select_configILj256ELj13ELNS0_17block_load_methodE3ELS4_3ELS4_3ELNS0_20block_scan_algorithmE0ELj4294967295EEENS1_25partition_config_selectorILNS1_17partition_subalgoE4EjNS0_10empty_typeEbEEZZNS1_14partition_implILS8_4ELb0ES6_15HIP_vector_typeIjLj2EENS0_17counting_iteratorIjlEEPS9_SG_NS0_5tupleIJPjSI_NS0_16reverse_iteratorISI_EEEEENSH_IJSG_SG_SG_EEES9_SI_JZNS1_25segmented_radix_sort_implINS0_14default_configELb0EPKbPbPKlPlN2at6native12_GLOBAL__N_18offset_tEEE10hipError_tPvRmT1_PNSt15iterator_traitsIS12_E10value_typeET2_T3_PNS13_IS18_E10value_typeET4_jRbjT5_S1E_jjP12ihipStream_tbEUljE_ZNSN_ISO_Lb0ESQ_SR_ST_SU_SY_EESZ_S10_S11_S12_S16_S17_S18_S1B_S1C_jS1D_jS1E_S1E_jjS1G_bEUljE0_EEESZ_S10_S11_S18_S1C_S1E_T6_T7_T9_mT8_S1G_bDpT10_ENKUlT_T0_E_clISt17integral_constantIbLb0EES1T_IbLb1EEEEDaS1P_S1Q_EUlS1P_E_NS1_11comp_targetILNS1_3genE8ELNS1_11target_archE1030ELNS1_3gpuE2ELNS1_3repE0EEENS1_30default_config_static_selectorELNS0_4arch9wavefront6targetE0EEEvS12_.has_dyn_sized_stack, 0
	.set _ZN7rocprim17ROCPRIM_400000_NS6detail17trampoline_kernelINS0_13select_configILj256ELj13ELNS0_17block_load_methodE3ELS4_3ELS4_3ELNS0_20block_scan_algorithmE0ELj4294967295EEENS1_25partition_config_selectorILNS1_17partition_subalgoE4EjNS0_10empty_typeEbEEZZNS1_14partition_implILS8_4ELb0ES6_15HIP_vector_typeIjLj2EENS0_17counting_iteratorIjlEEPS9_SG_NS0_5tupleIJPjSI_NS0_16reverse_iteratorISI_EEEEENSH_IJSG_SG_SG_EEES9_SI_JZNS1_25segmented_radix_sort_implINS0_14default_configELb0EPKbPbPKlPlN2at6native12_GLOBAL__N_18offset_tEEE10hipError_tPvRmT1_PNSt15iterator_traitsIS12_E10value_typeET2_T3_PNS13_IS18_E10value_typeET4_jRbjT5_S1E_jjP12ihipStream_tbEUljE_ZNSN_ISO_Lb0ESQ_SR_ST_SU_SY_EESZ_S10_S11_S12_S16_S17_S18_S1B_S1C_jS1D_jS1E_S1E_jjS1G_bEUljE0_EEESZ_S10_S11_S18_S1C_S1E_T6_T7_T9_mT8_S1G_bDpT10_ENKUlT_T0_E_clISt17integral_constantIbLb0EES1T_IbLb1EEEEDaS1P_S1Q_EUlS1P_E_NS1_11comp_targetILNS1_3genE8ELNS1_11target_archE1030ELNS1_3gpuE2ELNS1_3repE0EEENS1_30default_config_static_selectorELNS0_4arch9wavefront6targetE0EEEvS12_.has_recursion, 0
	.set _ZN7rocprim17ROCPRIM_400000_NS6detail17trampoline_kernelINS0_13select_configILj256ELj13ELNS0_17block_load_methodE3ELS4_3ELS4_3ELNS0_20block_scan_algorithmE0ELj4294967295EEENS1_25partition_config_selectorILNS1_17partition_subalgoE4EjNS0_10empty_typeEbEEZZNS1_14partition_implILS8_4ELb0ES6_15HIP_vector_typeIjLj2EENS0_17counting_iteratorIjlEEPS9_SG_NS0_5tupleIJPjSI_NS0_16reverse_iteratorISI_EEEEENSH_IJSG_SG_SG_EEES9_SI_JZNS1_25segmented_radix_sort_implINS0_14default_configELb0EPKbPbPKlPlN2at6native12_GLOBAL__N_18offset_tEEE10hipError_tPvRmT1_PNSt15iterator_traitsIS12_E10value_typeET2_T3_PNS13_IS18_E10value_typeET4_jRbjT5_S1E_jjP12ihipStream_tbEUljE_ZNSN_ISO_Lb0ESQ_SR_ST_SU_SY_EESZ_S10_S11_S12_S16_S17_S18_S1B_S1C_jS1D_jS1E_S1E_jjS1G_bEUljE0_EEESZ_S10_S11_S18_S1C_S1E_T6_T7_T9_mT8_S1G_bDpT10_ENKUlT_T0_E_clISt17integral_constantIbLb0EES1T_IbLb1EEEEDaS1P_S1Q_EUlS1P_E_NS1_11comp_targetILNS1_3genE8ELNS1_11target_archE1030ELNS1_3gpuE2ELNS1_3repE0EEENS1_30default_config_static_selectorELNS0_4arch9wavefront6targetE0EEEvS12_.has_indirect_call, 0
	.section	.AMDGPU.csdata,"",@progbits
; Kernel info:
; codeLenInByte = 0
; TotalNumSgprs: 0
; NumVgprs: 0
; ScratchSize: 0
; MemoryBound: 0
; FloatMode: 240
; IeeeMode: 1
; LDSByteSize: 0 bytes/workgroup (compile time only)
; SGPRBlocks: 0
; VGPRBlocks: 0
; NumSGPRsForWavesPerEU: 1
; NumVGPRsForWavesPerEU: 1
; Occupancy: 16
; WaveLimiterHint : 0
; COMPUTE_PGM_RSRC2:SCRATCH_EN: 0
; COMPUTE_PGM_RSRC2:USER_SGPR: 2
; COMPUTE_PGM_RSRC2:TRAP_HANDLER: 0
; COMPUTE_PGM_RSRC2:TGID_X_EN: 1
; COMPUTE_PGM_RSRC2:TGID_Y_EN: 0
; COMPUTE_PGM_RSRC2:TGID_Z_EN: 0
; COMPUTE_PGM_RSRC2:TIDIG_COMP_CNT: 0
	.section	.text._ZN7rocprim17ROCPRIM_400000_NS6detail17trampoline_kernelINS0_13select_configILj256ELj13ELNS0_17block_load_methodE3ELS4_3ELS4_3ELNS0_20block_scan_algorithmE0ELj4294967295EEENS1_25partition_config_selectorILNS1_17partition_subalgoE3EjNS0_10empty_typeEbEEZZNS1_14partition_implILS8_3ELb0ES6_jNS0_17counting_iteratorIjlEEPS9_SE_NS0_5tupleIJPjSE_EEENSF_IJSE_SE_EEES9_SG_JZNS1_25segmented_radix_sort_implINS0_14default_configELb0EPKbPbPKlPlN2at6native12_GLOBAL__N_18offset_tEEE10hipError_tPvRmT1_PNSt15iterator_traitsISY_E10value_typeET2_T3_PNSZ_IS14_E10value_typeET4_jRbjT5_S1A_jjP12ihipStream_tbEUljE_EEESV_SW_SX_S14_S18_S1A_T6_T7_T9_mT8_S1C_bDpT10_ENKUlT_T0_E_clISt17integral_constantIbLb0EES1P_EEDaS1K_S1L_EUlS1K_E_NS1_11comp_targetILNS1_3genE0ELNS1_11target_archE4294967295ELNS1_3gpuE0ELNS1_3repE0EEENS1_30default_config_static_selectorELNS0_4arch9wavefront6targetE0EEEvSY_,"axG",@progbits,_ZN7rocprim17ROCPRIM_400000_NS6detail17trampoline_kernelINS0_13select_configILj256ELj13ELNS0_17block_load_methodE3ELS4_3ELS4_3ELNS0_20block_scan_algorithmE0ELj4294967295EEENS1_25partition_config_selectorILNS1_17partition_subalgoE3EjNS0_10empty_typeEbEEZZNS1_14partition_implILS8_3ELb0ES6_jNS0_17counting_iteratorIjlEEPS9_SE_NS0_5tupleIJPjSE_EEENSF_IJSE_SE_EEES9_SG_JZNS1_25segmented_radix_sort_implINS0_14default_configELb0EPKbPbPKlPlN2at6native12_GLOBAL__N_18offset_tEEE10hipError_tPvRmT1_PNSt15iterator_traitsISY_E10value_typeET2_T3_PNSZ_IS14_E10value_typeET4_jRbjT5_S1A_jjP12ihipStream_tbEUljE_EEESV_SW_SX_S14_S18_S1A_T6_T7_T9_mT8_S1C_bDpT10_ENKUlT_T0_E_clISt17integral_constantIbLb0EES1P_EEDaS1K_S1L_EUlS1K_E_NS1_11comp_targetILNS1_3genE0ELNS1_11target_archE4294967295ELNS1_3gpuE0ELNS1_3repE0EEENS1_30default_config_static_selectorELNS0_4arch9wavefront6targetE0EEEvSY_,comdat
	.globl	_ZN7rocprim17ROCPRIM_400000_NS6detail17trampoline_kernelINS0_13select_configILj256ELj13ELNS0_17block_load_methodE3ELS4_3ELS4_3ELNS0_20block_scan_algorithmE0ELj4294967295EEENS1_25partition_config_selectorILNS1_17partition_subalgoE3EjNS0_10empty_typeEbEEZZNS1_14partition_implILS8_3ELb0ES6_jNS0_17counting_iteratorIjlEEPS9_SE_NS0_5tupleIJPjSE_EEENSF_IJSE_SE_EEES9_SG_JZNS1_25segmented_radix_sort_implINS0_14default_configELb0EPKbPbPKlPlN2at6native12_GLOBAL__N_18offset_tEEE10hipError_tPvRmT1_PNSt15iterator_traitsISY_E10value_typeET2_T3_PNSZ_IS14_E10value_typeET4_jRbjT5_S1A_jjP12ihipStream_tbEUljE_EEESV_SW_SX_S14_S18_S1A_T6_T7_T9_mT8_S1C_bDpT10_ENKUlT_T0_E_clISt17integral_constantIbLb0EES1P_EEDaS1K_S1L_EUlS1K_E_NS1_11comp_targetILNS1_3genE0ELNS1_11target_archE4294967295ELNS1_3gpuE0ELNS1_3repE0EEENS1_30default_config_static_selectorELNS0_4arch9wavefront6targetE0EEEvSY_ ; -- Begin function _ZN7rocprim17ROCPRIM_400000_NS6detail17trampoline_kernelINS0_13select_configILj256ELj13ELNS0_17block_load_methodE3ELS4_3ELS4_3ELNS0_20block_scan_algorithmE0ELj4294967295EEENS1_25partition_config_selectorILNS1_17partition_subalgoE3EjNS0_10empty_typeEbEEZZNS1_14partition_implILS8_3ELb0ES6_jNS0_17counting_iteratorIjlEEPS9_SE_NS0_5tupleIJPjSE_EEENSF_IJSE_SE_EEES9_SG_JZNS1_25segmented_radix_sort_implINS0_14default_configELb0EPKbPbPKlPlN2at6native12_GLOBAL__N_18offset_tEEE10hipError_tPvRmT1_PNSt15iterator_traitsISY_E10value_typeET2_T3_PNSZ_IS14_E10value_typeET4_jRbjT5_S1A_jjP12ihipStream_tbEUljE_EEESV_SW_SX_S14_S18_S1A_T6_T7_T9_mT8_S1C_bDpT10_ENKUlT_T0_E_clISt17integral_constantIbLb0EES1P_EEDaS1K_S1L_EUlS1K_E_NS1_11comp_targetILNS1_3genE0ELNS1_11target_archE4294967295ELNS1_3gpuE0ELNS1_3repE0EEENS1_30default_config_static_selectorELNS0_4arch9wavefront6targetE0EEEvSY_
	.p2align	8
	.type	_ZN7rocprim17ROCPRIM_400000_NS6detail17trampoline_kernelINS0_13select_configILj256ELj13ELNS0_17block_load_methodE3ELS4_3ELS4_3ELNS0_20block_scan_algorithmE0ELj4294967295EEENS1_25partition_config_selectorILNS1_17partition_subalgoE3EjNS0_10empty_typeEbEEZZNS1_14partition_implILS8_3ELb0ES6_jNS0_17counting_iteratorIjlEEPS9_SE_NS0_5tupleIJPjSE_EEENSF_IJSE_SE_EEES9_SG_JZNS1_25segmented_radix_sort_implINS0_14default_configELb0EPKbPbPKlPlN2at6native12_GLOBAL__N_18offset_tEEE10hipError_tPvRmT1_PNSt15iterator_traitsISY_E10value_typeET2_T3_PNSZ_IS14_E10value_typeET4_jRbjT5_S1A_jjP12ihipStream_tbEUljE_EEESV_SW_SX_S14_S18_S1A_T6_T7_T9_mT8_S1C_bDpT10_ENKUlT_T0_E_clISt17integral_constantIbLb0EES1P_EEDaS1K_S1L_EUlS1K_E_NS1_11comp_targetILNS1_3genE0ELNS1_11target_archE4294967295ELNS1_3gpuE0ELNS1_3repE0EEENS1_30default_config_static_selectorELNS0_4arch9wavefront6targetE0EEEvSY_,@function
_ZN7rocprim17ROCPRIM_400000_NS6detail17trampoline_kernelINS0_13select_configILj256ELj13ELNS0_17block_load_methodE3ELS4_3ELS4_3ELNS0_20block_scan_algorithmE0ELj4294967295EEENS1_25partition_config_selectorILNS1_17partition_subalgoE3EjNS0_10empty_typeEbEEZZNS1_14partition_implILS8_3ELb0ES6_jNS0_17counting_iteratorIjlEEPS9_SE_NS0_5tupleIJPjSE_EEENSF_IJSE_SE_EEES9_SG_JZNS1_25segmented_radix_sort_implINS0_14default_configELb0EPKbPbPKlPlN2at6native12_GLOBAL__N_18offset_tEEE10hipError_tPvRmT1_PNSt15iterator_traitsISY_E10value_typeET2_T3_PNSZ_IS14_E10value_typeET4_jRbjT5_S1A_jjP12ihipStream_tbEUljE_EEESV_SW_SX_S14_S18_S1A_T6_T7_T9_mT8_S1C_bDpT10_ENKUlT_T0_E_clISt17integral_constantIbLb0EES1P_EEDaS1K_S1L_EUlS1K_E_NS1_11comp_targetILNS1_3genE0ELNS1_11target_archE4294967295ELNS1_3gpuE0ELNS1_3repE0EEENS1_30default_config_static_selectorELNS0_4arch9wavefront6targetE0EEEvSY_: ; @_ZN7rocprim17ROCPRIM_400000_NS6detail17trampoline_kernelINS0_13select_configILj256ELj13ELNS0_17block_load_methodE3ELS4_3ELS4_3ELNS0_20block_scan_algorithmE0ELj4294967295EEENS1_25partition_config_selectorILNS1_17partition_subalgoE3EjNS0_10empty_typeEbEEZZNS1_14partition_implILS8_3ELb0ES6_jNS0_17counting_iteratorIjlEEPS9_SE_NS0_5tupleIJPjSE_EEENSF_IJSE_SE_EEES9_SG_JZNS1_25segmented_radix_sort_implINS0_14default_configELb0EPKbPbPKlPlN2at6native12_GLOBAL__N_18offset_tEEE10hipError_tPvRmT1_PNSt15iterator_traitsISY_E10value_typeET2_T3_PNSZ_IS14_E10value_typeET4_jRbjT5_S1A_jjP12ihipStream_tbEUljE_EEESV_SW_SX_S14_S18_S1A_T6_T7_T9_mT8_S1C_bDpT10_ENKUlT_T0_E_clISt17integral_constantIbLb0EES1P_EEDaS1K_S1L_EUlS1K_E_NS1_11comp_targetILNS1_3genE0ELNS1_11target_archE4294967295ELNS1_3gpuE0ELNS1_3repE0EEENS1_30default_config_static_selectorELNS0_4arch9wavefront6targetE0EEEvSY_
; %bb.0:
	.section	.rodata,"a",@progbits
	.p2align	6, 0x0
	.amdhsa_kernel _ZN7rocprim17ROCPRIM_400000_NS6detail17trampoline_kernelINS0_13select_configILj256ELj13ELNS0_17block_load_methodE3ELS4_3ELS4_3ELNS0_20block_scan_algorithmE0ELj4294967295EEENS1_25partition_config_selectorILNS1_17partition_subalgoE3EjNS0_10empty_typeEbEEZZNS1_14partition_implILS8_3ELb0ES6_jNS0_17counting_iteratorIjlEEPS9_SE_NS0_5tupleIJPjSE_EEENSF_IJSE_SE_EEES9_SG_JZNS1_25segmented_radix_sort_implINS0_14default_configELb0EPKbPbPKlPlN2at6native12_GLOBAL__N_18offset_tEEE10hipError_tPvRmT1_PNSt15iterator_traitsISY_E10value_typeET2_T3_PNSZ_IS14_E10value_typeET4_jRbjT5_S1A_jjP12ihipStream_tbEUljE_EEESV_SW_SX_S14_S18_S1A_T6_T7_T9_mT8_S1C_bDpT10_ENKUlT_T0_E_clISt17integral_constantIbLb0EES1P_EEDaS1K_S1L_EUlS1K_E_NS1_11comp_targetILNS1_3genE0ELNS1_11target_archE4294967295ELNS1_3gpuE0ELNS1_3repE0EEENS1_30default_config_static_selectorELNS0_4arch9wavefront6targetE0EEEvSY_
		.amdhsa_group_segment_fixed_size 0
		.amdhsa_private_segment_fixed_size 0
		.amdhsa_kernarg_size 144
		.amdhsa_user_sgpr_count 2
		.amdhsa_user_sgpr_dispatch_ptr 0
		.amdhsa_user_sgpr_queue_ptr 0
		.amdhsa_user_sgpr_kernarg_segment_ptr 1
		.amdhsa_user_sgpr_dispatch_id 0
		.amdhsa_user_sgpr_private_segment_size 0
		.amdhsa_wavefront_size32 1
		.amdhsa_uses_dynamic_stack 0
		.amdhsa_enable_private_segment 0
		.amdhsa_system_sgpr_workgroup_id_x 1
		.amdhsa_system_sgpr_workgroup_id_y 0
		.amdhsa_system_sgpr_workgroup_id_z 0
		.amdhsa_system_sgpr_workgroup_info 0
		.amdhsa_system_vgpr_workitem_id 0
		.amdhsa_next_free_vgpr 1
		.amdhsa_next_free_sgpr 1
		.amdhsa_reserve_vcc 0
		.amdhsa_float_round_mode_32 0
		.amdhsa_float_round_mode_16_64 0
		.amdhsa_float_denorm_mode_32 3
		.amdhsa_float_denorm_mode_16_64 3
		.amdhsa_fp16_overflow 0
		.amdhsa_workgroup_processor_mode 1
		.amdhsa_memory_ordered 1
		.amdhsa_forward_progress 1
		.amdhsa_inst_pref_size 0
		.amdhsa_round_robin_scheduling 0
		.amdhsa_exception_fp_ieee_invalid_op 0
		.amdhsa_exception_fp_denorm_src 0
		.amdhsa_exception_fp_ieee_div_zero 0
		.amdhsa_exception_fp_ieee_overflow 0
		.amdhsa_exception_fp_ieee_underflow 0
		.amdhsa_exception_fp_ieee_inexact 0
		.amdhsa_exception_int_div_zero 0
	.end_amdhsa_kernel
	.section	.text._ZN7rocprim17ROCPRIM_400000_NS6detail17trampoline_kernelINS0_13select_configILj256ELj13ELNS0_17block_load_methodE3ELS4_3ELS4_3ELNS0_20block_scan_algorithmE0ELj4294967295EEENS1_25partition_config_selectorILNS1_17partition_subalgoE3EjNS0_10empty_typeEbEEZZNS1_14partition_implILS8_3ELb0ES6_jNS0_17counting_iteratorIjlEEPS9_SE_NS0_5tupleIJPjSE_EEENSF_IJSE_SE_EEES9_SG_JZNS1_25segmented_radix_sort_implINS0_14default_configELb0EPKbPbPKlPlN2at6native12_GLOBAL__N_18offset_tEEE10hipError_tPvRmT1_PNSt15iterator_traitsISY_E10value_typeET2_T3_PNSZ_IS14_E10value_typeET4_jRbjT5_S1A_jjP12ihipStream_tbEUljE_EEESV_SW_SX_S14_S18_S1A_T6_T7_T9_mT8_S1C_bDpT10_ENKUlT_T0_E_clISt17integral_constantIbLb0EES1P_EEDaS1K_S1L_EUlS1K_E_NS1_11comp_targetILNS1_3genE0ELNS1_11target_archE4294967295ELNS1_3gpuE0ELNS1_3repE0EEENS1_30default_config_static_selectorELNS0_4arch9wavefront6targetE0EEEvSY_,"axG",@progbits,_ZN7rocprim17ROCPRIM_400000_NS6detail17trampoline_kernelINS0_13select_configILj256ELj13ELNS0_17block_load_methodE3ELS4_3ELS4_3ELNS0_20block_scan_algorithmE0ELj4294967295EEENS1_25partition_config_selectorILNS1_17partition_subalgoE3EjNS0_10empty_typeEbEEZZNS1_14partition_implILS8_3ELb0ES6_jNS0_17counting_iteratorIjlEEPS9_SE_NS0_5tupleIJPjSE_EEENSF_IJSE_SE_EEES9_SG_JZNS1_25segmented_radix_sort_implINS0_14default_configELb0EPKbPbPKlPlN2at6native12_GLOBAL__N_18offset_tEEE10hipError_tPvRmT1_PNSt15iterator_traitsISY_E10value_typeET2_T3_PNSZ_IS14_E10value_typeET4_jRbjT5_S1A_jjP12ihipStream_tbEUljE_EEESV_SW_SX_S14_S18_S1A_T6_T7_T9_mT8_S1C_bDpT10_ENKUlT_T0_E_clISt17integral_constantIbLb0EES1P_EEDaS1K_S1L_EUlS1K_E_NS1_11comp_targetILNS1_3genE0ELNS1_11target_archE4294967295ELNS1_3gpuE0ELNS1_3repE0EEENS1_30default_config_static_selectorELNS0_4arch9wavefront6targetE0EEEvSY_,comdat
.Lfunc_end1603:
	.size	_ZN7rocprim17ROCPRIM_400000_NS6detail17trampoline_kernelINS0_13select_configILj256ELj13ELNS0_17block_load_methodE3ELS4_3ELS4_3ELNS0_20block_scan_algorithmE0ELj4294967295EEENS1_25partition_config_selectorILNS1_17partition_subalgoE3EjNS0_10empty_typeEbEEZZNS1_14partition_implILS8_3ELb0ES6_jNS0_17counting_iteratorIjlEEPS9_SE_NS0_5tupleIJPjSE_EEENSF_IJSE_SE_EEES9_SG_JZNS1_25segmented_radix_sort_implINS0_14default_configELb0EPKbPbPKlPlN2at6native12_GLOBAL__N_18offset_tEEE10hipError_tPvRmT1_PNSt15iterator_traitsISY_E10value_typeET2_T3_PNSZ_IS14_E10value_typeET4_jRbjT5_S1A_jjP12ihipStream_tbEUljE_EEESV_SW_SX_S14_S18_S1A_T6_T7_T9_mT8_S1C_bDpT10_ENKUlT_T0_E_clISt17integral_constantIbLb0EES1P_EEDaS1K_S1L_EUlS1K_E_NS1_11comp_targetILNS1_3genE0ELNS1_11target_archE4294967295ELNS1_3gpuE0ELNS1_3repE0EEENS1_30default_config_static_selectorELNS0_4arch9wavefront6targetE0EEEvSY_, .Lfunc_end1603-_ZN7rocprim17ROCPRIM_400000_NS6detail17trampoline_kernelINS0_13select_configILj256ELj13ELNS0_17block_load_methodE3ELS4_3ELS4_3ELNS0_20block_scan_algorithmE0ELj4294967295EEENS1_25partition_config_selectorILNS1_17partition_subalgoE3EjNS0_10empty_typeEbEEZZNS1_14partition_implILS8_3ELb0ES6_jNS0_17counting_iteratorIjlEEPS9_SE_NS0_5tupleIJPjSE_EEENSF_IJSE_SE_EEES9_SG_JZNS1_25segmented_radix_sort_implINS0_14default_configELb0EPKbPbPKlPlN2at6native12_GLOBAL__N_18offset_tEEE10hipError_tPvRmT1_PNSt15iterator_traitsISY_E10value_typeET2_T3_PNSZ_IS14_E10value_typeET4_jRbjT5_S1A_jjP12ihipStream_tbEUljE_EEESV_SW_SX_S14_S18_S1A_T6_T7_T9_mT8_S1C_bDpT10_ENKUlT_T0_E_clISt17integral_constantIbLb0EES1P_EEDaS1K_S1L_EUlS1K_E_NS1_11comp_targetILNS1_3genE0ELNS1_11target_archE4294967295ELNS1_3gpuE0ELNS1_3repE0EEENS1_30default_config_static_selectorELNS0_4arch9wavefront6targetE0EEEvSY_
                                        ; -- End function
	.set _ZN7rocprim17ROCPRIM_400000_NS6detail17trampoline_kernelINS0_13select_configILj256ELj13ELNS0_17block_load_methodE3ELS4_3ELS4_3ELNS0_20block_scan_algorithmE0ELj4294967295EEENS1_25partition_config_selectorILNS1_17partition_subalgoE3EjNS0_10empty_typeEbEEZZNS1_14partition_implILS8_3ELb0ES6_jNS0_17counting_iteratorIjlEEPS9_SE_NS0_5tupleIJPjSE_EEENSF_IJSE_SE_EEES9_SG_JZNS1_25segmented_radix_sort_implINS0_14default_configELb0EPKbPbPKlPlN2at6native12_GLOBAL__N_18offset_tEEE10hipError_tPvRmT1_PNSt15iterator_traitsISY_E10value_typeET2_T3_PNSZ_IS14_E10value_typeET4_jRbjT5_S1A_jjP12ihipStream_tbEUljE_EEESV_SW_SX_S14_S18_S1A_T6_T7_T9_mT8_S1C_bDpT10_ENKUlT_T0_E_clISt17integral_constantIbLb0EES1P_EEDaS1K_S1L_EUlS1K_E_NS1_11comp_targetILNS1_3genE0ELNS1_11target_archE4294967295ELNS1_3gpuE0ELNS1_3repE0EEENS1_30default_config_static_selectorELNS0_4arch9wavefront6targetE0EEEvSY_.num_vgpr, 0
	.set _ZN7rocprim17ROCPRIM_400000_NS6detail17trampoline_kernelINS0_13select_configILj256ELj13ELNS0_17block_load_methodE3ELS4_3ELS4_3ELNS0_20block_scan_algorithmE0ELj4294967295EEENS1_25partition_config_selectorILNS1_17partition_subalgoE3EjNS0_10empty_typeEbEEZZNS1_14partition_implILS8_3ELb0ES6_jNS0_17counting_iteratorIjlEEPS9_SE_NS0_5tupleIJPjSE_EEENSF_IJSE_SE_EEES9_SG_JZNS1_25segmented_radix_sort_implINS0_14default_configELb0EPKbPbPKlPlN2at6native12_GLOBAL__N_18offset_tEEE10hipError_tPvRmT1_PNSt15iterator_traitsISY_E10value_typeET2_T3_PNSZ_IS14_E10value_typeET4_jRbjT5_S1A_jjP12ihipStream_tbEUljE_EEESV_SW_SX_S14_S18_S1A_T6_T7_T9_mT8_S1C_bDpT10_ENKUlT_T0_E_clISt17integral_constantIbLb0EES1P_EEDaS1K_S1L_EUlS1K_E_NS1_11comp_targetILNS1_3genE0ELNS1_11target_archE4294967295ELNS1_3gpuE0ELNS1_3repE0EEENS1_30default_config_static_selectorELNS0_4arch9wavefront6targetE0EEEvSY_.num_agpr, 0
	.set _ZN7rocprim17ROCPRIM_400000_NS6detail17trampoline_kernelINS0_13select_configILj256ELj13ELNS0_17block_load_methodE3ELS4_3ELS4_3ELNS0_20block_scan_algorithmE0ELj4294967295EEENS1_25partition_config_selectorILNS1_17partition_subalgoE3EjNS0_10empty_typeEbEEZZNS1_14partition_implILS8_3ELb0ES6_jNS0_17counting_iteratorIjlEEPS9_SE_NS0_5tupleIJPjSE_EEENSF_IJSE_SE_EEES9_SG_JZNS1_25segmented_radix_sort_implINS0_14default_configELb0EPKbPbPKlPlN2at6native12_GLOBAL__N_18offset_tEEE10hipError_tPvRmT1_PNSt15iterator_traitsISY_E10value_typeET2_T3_PNSZ_IS14_E10value_typeET4_jRbjT5_S1A_jjP12ihipStream_tbEUljE_EEESV_SW_SX_S14_S18_S1A_T6_T7_T9_mT8_S1C_bDpT10_ENKUlT_T0_E_clISt17integral_constantIbLb0EES1P_EEDaS1K_S1L_EUlS1K_E_NS1_11comp_targetILNS1_3genE0ELNS1_11target_archE4294967295ELNS1_3gpuE0ELNS1_3repE0EEENS1_30default_config_static_selectorELNS0_4arch9wavefront6targetE0EEEvSY_.numbered_sgpr, 0
	.set _ZN7rocprim17ROCPRIM_400000_NS6detail17trampoline_kernelINS0_13select_configILj256ELj13ELNS0_17block_load_methodE3ELS4_3ELS4_3ELNS0_20block_scan_algorithmE0ELj4294967295EEENS1_25partition_config_selectorILNS1_17partition_subalgoE3EjNS0_10empty_typeEbEEZZNS1_14partition_implILS8_3ELb0ES6_jNS0_17counting_iteratorIjlEEPS9_SE_NS0_5tupleIJPjSE_EEENSF_IJSE_SE_EEES9_SG_JZNS1_25segmented_radix_sort_implINS0_14default_configELb0EPKbPbPKlPlN2at6native12_GLOBAL__N_18offset_tEEE10hipError_tPvRmT1_PNSt15iterator_traitsISY_E10value_typeET2_T3_PNSZ_IS14_E10value_typeET4_jRbjT5_S1A_jjP12ihipStream_tbEUljE_EEESV_SW_SX_S14_S18_S1A_T6_T7_T9_mT8_S1C_bDpT10_ENKUlT_T0_E_clISt17integral_constantIbLb0EES1P_EEDaS1K_S1L_EUlS1K_E_NS1_11comp_targetILNS1_3genE0ELNS1_11target_archE4294967295ELNS1_3gpuE0ELNS1_3repE0EEENS1_30default_config_static_selectorELNS0_4arch9wavefront6targetE0EEEvSY_.num_named_barrier, 0
	.set _ZN7rocprim17ROCPRIM_400000_NS6detail17trampoline_kernelINS0_13select_configILj256ELj13ELNS0_17block_load_methodE3ELS4_3ELS4_3ELNS0_20block_scan_algorithmE0ELj4294967295EEENS1_25partition_config_selectorILNS1_17partition_subalgoE3EjNS0_10empty_typeEbEEZZNS1_14partition_implILS8_3ELb0ES6_jNS0_17counting_iteratorIjlEEPS9_SE_NS0_5tupleIJPjSE_EEENSF_IJSE_SE_EEES9_SG_JZNS1_25segmented_radix_sort_implINS0_14default_configELb0EPKbPbPKlPlN2at6native12_GLOBAL__N_18offset_tEEE10hipError_tPvRmT1_PNSt15iterator_traitsISY_E10value_typeET2_T3_PNSZ_IS14_E10value_typeET4_jRbjT5_S1A_jjP12ihipStream_tbEUljE_EEESV_SW_SX_S14_S18_S1A_T6_T7_T9_mT8_S1C_bDpT10_ENKUlT_T0_E_clISt17integral_constantIbLb0EES1P_EEDaS1K_S1L_EUlS1K_E_NS1_11comp_targetILNS1_3genE0ELNS1_11target_archE4294967295ELNS1_3gpuE0ELNS1_3repE0EEENS1_30default_config_static_selectorELNS0_4arch9wavefront6targetE0EEEvSY_.private_seg_size, 0
	.set _ZN7rocprim17ROCPRIM_400000_NS6detail17trampoline_kernelINS0_13select_configILj256ELj13ELNS0_17block_load_methodE3ELS4_3ELS4_3ELNS0_20block_scan_algorithmE0ELj4294967295EEENS1_25partition_config_selectorILNS1_17partition_subalgoE3EjNS0_10empty_typeEbEEZZNS1_14partition_implILS8_3ELb0ES6_jNS0_17counting_iteratorIjlEEPS9_SE_NS0_5tupleIJPjSE_EEENSF_IJSE_SE_EEES9_SG_JZNS1_25segmented_radix_sort_implINS0_14default_configELb0EPKbPbPKlPlN2at6native12_GLOBAL__N_18offset_tEEE10hipError_tPvRmT1_PNSt15iterator_traitsISY_E10value_typeET2_T3_PNSZ_IS14_E10value_typeET4_jRbjT5_S1A_jjP12ihipStream_tbEUljE_EEESV_SW_SX_S14_S18_S1A_T6_T7_T9_mT8_S1C_bDpT10_ENKUlT_T0_E_clISt17integral_constantIbLb0EES1P_EEDaS1K_S1L_EUlS1K_E_NS1_11comp_targetILNS1_3genE0ELNS1_11target_archE4294967295ELNS1_3gpuE0ELNS1_3repE0EEENS1_30default_config_static_selectorELNS0_4arch9wavefront6targetE0EEEvSY_.uses_vcc, 0
	.set _ZN7rocprim17ROCPRIM_400000_NS6detail17trampoline_kernelINS0_13select_configILj256ELj13ELNS0_17block_load_methodE3ELS4_3ELS4_3ELNS0_20block_scan_algorithmE0ELj4294967295EEENS1_25partition_config_selectorILNS1_17partition_subalgoE3EjNS0_10empty_typeEbEEZZNS1_14partition_implILS8_3ELb0ES6_jNS0_17counting_iteratorIjlEEPS9_SE_NS0_5tupleIJPjSE_EEENSF_IJSE_SE_EEES9_SG_JZNS1_25segmented_radix_sort_implINS0_14default_configELb0EPKbPbPKlPlN2at6native12_GLOBAL__N_18offset_tEEE10hipError_tPvRmT1_PNSt15iterator_traitsISY_E10value_typeET2_T3_PNSZ_IS14_E10value_typeET4_jRbjT5_S1A_jjP12ihipStream_tbEUljE_EEESV_SW_SX_S14_S18_S1A_T6_T7_T9_mT8_S1C_bDpT10_ENKUlT_T0_E_clISt17integral_constantIbLb0EES1P_EEDaS1K_S1L_EUlS1K_E_NS1_11comp_targetILNS1_3genE0ELNS1_11target_archE4294967295ELNS1_3gpuE0ELNS1_3repE0EEENS1_30default_config_static_selectorELNS0_4arch9wavefront6targetE0EEEvSY_.uses_flat_scratch, 0
	.set _ZN7rocprim17ROCPRIM_400000_NS6detail17trampoline_kernelINS0_13select_configILj256ELj13ELNS0_17block_load_methodE3ELS4_3ELS4_3ELNS0_20block_scan_algorithmE0ELj4294967295EEENS1_25partition_config_selectorILNS1_17partition_subalgoE3EjNS0_10empty_typeEbEEZZNS1_14partition_implILS8_3ELb0ES6_jNS0_17counting_iteratorIjlEEPS9_SE_NS0_5tupleIJPjSE_EEENSF_IJSE_SE_EEES9_SG_JZNS1_25segmented_radix_sort_implINS0_14default_configELb0EPKbPbPKlPlN2at6native12_GLOBAL__N_18offset_tEEE10hipError_tPvRmT1_PNSt15iterator_traitsISY_E10value_typeET2_T3_PNSZ_IS14_E10value_typeET4_jRbjT5_S1A_jjP12ihipStream_tbEUljE_EEESV_SW_SX_S14_S18_S1A_T6_T7_T9_mT8_S1C_bDpT10_ENKUlT_T0_E_clISt17integral_constantIbLb0EES1P_EEDaS1K_S1L_EUlS1K_E_NS1_11comp_targetILNS1_3genE0ELNS1_11target_archE4294967295ELNS1_3gpuE0ELNS1_3repE0EEENS1_30default_config_static_selectorELNS0_4arch9wavefront6targetE0EEEvSY_.has_dyn_sized_stack, 0
	.set _ZN7rocprim17ROCPRIM_400000_NS6detail17trampoline_kernelINS0_13select_configILj256ELj13ELNS0_17block_load_methodE3ELS4_3ELS4_3ELNS0_20block_scan_algorithmE0ELj4294967295EEENS1_25partition_config_selectorILNS1_17partition_subalgoE3EjNS0_10empty_typeEbEEZZNS1_14partition_implILS8_3ELb0ES6_jNS0_17counting_iteratorIjlEEPS9_SE_NS0_5tupleIJPjSE_EEENSF_IJSE_SE_EEES9_SG_JZNS1_25segmented_radix_sort_implINS0_14default_configELb0EPKbPbPKlPlN2at6native12_GLOBAL__N_18offset_tEEE10hipError_tPvRmT1_PNSt15iterator_traitsISY_E10value_typeET2_T3_PNSZ_IS14_E10value_typeET4_jRbjT5_S1A_jjP12ihipStream_tbEUljE_EEESV_SW_SX_S14_S18_S1A_T6_T7_T9_mT8_S1C_bDpT10_ENKUlT_T0_E_clISt17integral_constantIbLb0EES1P_EEDaS1K_S1L_EUlS1K_E_NS1_11comp_targetILNS1_3genE0ELNS1_11target_archE4294967295ELNS1_3gpuE0ELNS1_3repE0EEENS1_30default_config_static_selectorELNS0_4arch9wavefront6targetE0EEEvSY_.has_recursion, 0
	.set _ZN7rocprim17ROCPRIM_400000_NS6detail17trampoline_kernelINS0_13select_configILj256ELj13ELNS0_17block_load_methodE3ELS4_3ELS4_3ELNS0_20block_scan_algorithmE0ELj4294967295EEENS1_25partition_config_selectorILNS1_17partition_subalgoE3EjNS0_10empty_typeEbEEZZNS1_14partition_implILS8_3ELb0ES6_jNS0_17counting_iteratorIjlEEPS9_SE_NS0_5tupleIJPjSE_EEENSF_IJSE_SE_EEES9_SG_JZNS1_25segmented_radix_sort_implINS0_14default_configELb0EPKbPbPKlPlN2at6native12_GLOBAL__N_18offset_tEEE10hipError_tPvRmT1_PNSt15iterator_traitsISY_E10value_typeET2_T3_PNSZ_IS14_E10value_typeET4_jRbjT5_S1A_jjP12ihipStream_tbEUljE_EEESV_SW_SX_S14_S18_S1A_T6_T7_T9_mT8_S1C_bDpT10_ENKUlT_T0_E_clISt17integral_constantIbLb0EES1P_EEDaS1K_S1L_EUlS1K_E_NS1_11comp_targetILNS1_3genE0ELNS1_11target_archE4294967295ELNS1_3gpuE0ELNS1_3repE0EEENS1_30default_config_static_selectorELNS0_4arch9wavefront6targetE0EEEvSY_.has_indirect_call, 0
	.section	.AMDGPU.csdata,"",@progbits
; Kernel info:
; codeLenInByte = 0
; TotalNumSgprs: 0
; NumVgprs: 0
; ScratchSize: 0
; MemoryBound: 0
; FloatMode: 240
; IeeeMode: 1
; LDSByteSize: 0 bytes/workgroup (compile time only)
; SGPRBlocks: 0
; VGPRBlocks: 0
; NumSGPRsForWavesPerEU: 1
; NumVGPRsForWavesPerEU: 1
; Occupancy: 16
; WaveLimiterHint : 0
; COMPUTE_PGM_RSRC2:SCRATCH_EN: 0
; COMPUTE_PGM_RSRC2:USER_SGPR: 2
; COMPUTE_PGM_RSRC2:TRAP_HANDLER: 0
; COMPUTE_PGM_RSRC2:TGID_X_EN: 1
; COMPUTE_PGM_RSRC2:TGID_Y_EN: 0
; COMPUTE_PGM_RSRC2:TGID_Z_EN: 0
; COMPUTE_PGM_RSRC2:TIDIG_COMP_CNT: 0
	.section	.text._ZN7rocprim17ROCPRIM_400000_NS6detail17trampoline_kernelINS0_13select_configILj256ELj13ELNS0_17block_load_methodE3ELS4_3ELS4_3ELNS0_20block_scan_algorithmE0ELj4294967295EEENS1_25partition_config_selectorILNS1_17partition_subalgoE3EjNS0_10empty_typeEbEEZZNS1_14partition_implILS8_3ELb0ES6_jNS0_17counting_iteratorIjlEEPS9_SE_NS0_5tupleIJPjSE_EEENSF_IJSE_SE_EEES9_SG_JZNS1_25segmented_radix_sort_implINS0_14default_configELb0EPKbPbPKlPlN2at6native12_GLOBAL__N_18offset_tEEE10hipError_tPvRmT1_PNSt15iterator_traitsISY_E10value_typeET2_T3_PNSZ_IS14_E10value_typeET4_jRbjT5_S1A_jjP12ihipStream_tbEUljE_EEESV_SW_SX_S14_S18_S1A_T6_T7_T9_mT8_S1C_bDpT10_ENKUlT_T0_E_clISt17integral_constantIbLb0EES1P_EEDaS1K_S1L_EUlS1K_E_NS1_11comp_targetILNS1_3genE5ELNS1_11target_archE942ELNS1_3gpuE9ELNS1_3repE0EEENS1_30default_config_static_selectorELNS0_4arch9wavefront6targetE0EEEvSY_,"axG",@progbits,_ZN7rocprim17ROCPRIM_400000_NS6detail17trampoline_kernelINS0_13select_configILj256ELj13ELNS0_17block_load_methodE3ELS4_3ELS4_3ELNS0_20block_scan_algorithmE0ELj4294967295EEENS1_25partition_config_selectorILNS1_17partition_subalgoE3EjNS0_10empty_typeEbEEZZNS1_14partition_implILS8_3ELb0ES6_jNS0_17counting_iteratorIjlEEPS9_SE_NS0_5tupleIJPjSE_EEENSF_IJSE_SE_EEES9_SG_JZNS1_25segmented_radix_sort_implINS0_14default_configELb0EPKbPbPKlPlN2at6native12_GLOBAL__N_18offset_tEEE10hipError_tPvRmT1_PNSt15iterator_traitsISY_E10value_typeET2_T3_PNSZ_IS14_E10value_typeET4_jRbjT5_S1A_jjP12ihipStream_tbEUljE_EEESV_SW_SX_S14_S18_S1A_T6_T7_T9_mT8_S1C_bDpT10_ENKUlT_T0_E_clISt17integral_constantIbLb0EES1P_EEDaS1K_S1L_EUlS1K_E_NS1_11comp_targetILNS1_3genE5ELNS1_11target_archE942ELNS1_3gpuE9ELNS1_3repE0EEENS1_30default_config_static_selectorELNS0_4arch9wavefront6targetE0EEEvSY_,comdat
	.globl	_ZN7rocprim17ROCPRIM_400000_NS6detail17trampoline_kernelINS0_13select_configILj256ELj13ELNS0_17block_load_methodE3ELS4_3ELS4_3ELNS0_20block_scan_algorithmE0ELj4294967295EEENS1_25partition_config_selectorILNS1_17partition_subalgoE3EjNS0_10empty_typeEbEEZZNS1_14partition_implILS8_3ELb0ES6_jNS0_17counting_iteratorIjlEEPS9_SE_NS0_5tupleIJPjSE_EEENSF_IJSE_SE_EEES9_SG_JZNS1_25segmented_radix_sort_implINS0_14default_configELb0EPKbPbPKlPlN2at6native12_GLOBAL__N_18offset_tEEE10hipError_tPvRmT1_PNSt15iterator_traitsISY_E10value_typeET2_T3_PNSZ_IS14_E10value_typeET4_jRbjT5_S1A_jjP12ihipStream_tbEUljE_EEESV_SW_SX_S14_S18_S1A_T6_T7_T9_mT8_S1C_bDpT10_ENKUlT_T0_E_clISt17integral_constantIbLb0EES1P_EEDaS1K_S1L_EUlS1K_E_NS1_11comp_targetILNS1_3genE5ELNS1_11target_archE942ELNS1_3gpuE9ELNS1_3repE0EEENS1_30default_config_static_selectorELNS0_4arch9wavefront6targetE0EEEvSY_ ; -- Begin function _ZN7rocprim17ROCPRIM_400000_NS6detail17trampoline_kernelINS0_13select_configILj256ELj13ELNS0_17block_load_methodE3ELS4_3ELS4_3ELNS0_20block_scan_algorithmE0ELj4294967295EEENS1_25partition_config_selectorILNS1_17partition_subalgoE3EjNS0_10empty_typeEbEEZZNS1_14partition_implILS8_3ELb0ES6_jNS0_17counting_iteratorIjlEEPS9_SE_NS0_5tupleIJPjSE_EEENSF_IJSE_SE_EEES9_SG_JZNS1_25segmented_radix_sort_implINS0_14default_configELb0EPKbPbPKlPlN2at6native12_GLOBAL__N_18offset_tEEE10hipError_tPvRmT1_PNSt15iterator_traitsISY_E10value_typeET2_T3_PNSZ_IS14_E10value_typeET4_jRbjT5_S1A_jjP12ihipStream_tbEUljE_EEESV_SW_SX_S14_S18_S1A_T6_T7_T9_mT8_S1C_bDpT10_ENKUlT_T0_E_clISt17integral_constantIbLb0EES1P_EEDaS1K_S1L_EUlS1K_E_NS1_11comp_targetILNS1_3genE5ELNS1_11target_archE942ELNS1_3gpuE9ELNS1_3repE0EEENS1_30default_config_static_selectorELNS0_4arch9wavefront6targetE0EEEvSY_
	.p2align	8
	.type	_ZN7rocprim17ROCPRIM_400000_NS6detail17trampoline_kernelINS0_13select_configILj256ELj13ELNS0_17block_load_methodE3ELS4_3ELS4_3ELNS0_20block_scan_algorithmE0ELj4294967295EEENS1_25partition_config_selectorILNS1_17partition_subalgoE3EjNS0_10empty_typeEbEEZZNS1_14partition_implILS8_3ELb0ES6_jNS0_17counting_iteratorIjlEEPS9_SE_NS0_5tupleIJPjSE_EEENSF_IJSE_SE_EEES9_SG_JZNS1_25segmented_radix_sort_implINS0_14default_configELb0EPKbPbPKlPlN2at6native12_GLOBAL__N_18offset_tEEE10hipError_tPvRmT1_PNSt15iterator_traitsISY_E10value_typeET2_T3_PNSZ_IS14_E10value_typeET4_jRbjT5_S1A_jjP12ihipStream_tbEUljE_EEESV_SW_SX_S14_S18_S1A_T6_T7_T9_mT8_S1C_bDpT10_ENKUlT_T0_E_clISt17integral_constantIbLb0EES1P_EEDaS1K_S1L_EUlS1K_E_NS1_11comp_targetILNS1_3genE5ELNS1_11target_archE942ELNS1_3gpuE9ELNS1_3repE0EEENS1_30default_config_static_selectorELNS0_4arch9wavefront6targetE0EEEvSY_,@function
_ZN7rocprim17ROCPRIM_400000_NS6detail17trampoline_kernelINS0_13select_configILj256ELj13ELNS0_17block_load_methodE3ELS4_3ELS4_3ELNS0_20block_scan_algorithmE0ELj4294967295EEENS1_25partition_config_selectorILNS1_17partition_subalgoE3EjNS0_10empty_typeEbEEZZNS1_14partition_implILS8_3ELb0ES6_jNS0_17counting_iteratorIjlEEPS9_SE_NS0_5tupleIJPjSE_EEENSF_IJSE_SE_EEES9_SG_JZNS1_25segmented_radix_sort_implINS0_14default_configELb0EPKbPbPKlPlN2at6native12_GLOBAL__N_18offset_tEEE10hipError_tPvRmT1_PNSt15iterator_traitsISY_E10value_typeET2_T3_PNSZ_IS14_E10value_typeET4_jRbjT5_S1A_jjP12ihipStream_tbEUljE_EEESV_SW_SX_S14_S18_S1A_T6_T7_T9_mT8_S1C_bDpT10_ENKUlT_T0_E_clISt17integral_constantIbLb0EES1P_EEDaS1K_S1L_EUlS1K_E_NS1_11comp_targetILNS1_3genE5ELNS1_11target_archE942ELNS1_3gpuE9ELNS1_3repE0EEENS1_30default_config_static_selectorELNS0_4arch9wavefront6targetE0EEEvSY_: ; @_ZN7rocprim17ROCPRIM_400000_NS6detail17trampoline_kernelINS0_13select_configILj256ELj13ELNS0_17block_load_methodE3ELS4_3ELS4_3ELNS0_20block_scan_algorithmE0ELj4294967295EEENS1_25partition_config_selectorILNS1_17partition_subalgoE3EjNS0_10empty_typeEbEEZZNS1_14partition_implILS8_3ELb0ES6_jNS0_17counting_iteratorIjlEEPS9_SE_NS0_5tupleIJPjSE_EEENSF_IJSE_SE_EEES9_SG_JZNS1_25segmented_radix_sort_implINS0_14default_configELb0EPKbPbPKlPlN2at6native12_GLOBAL__N_18offset_tEEE10hipError_tPvRmT1_PNSt15iterator_traitsISY_E10value_typeET2_T3_PNSZ_IS14_E10value_typeET4_jRbjT5_S1A_jjP12ihipStream_tbEUljE_EEESV_SW_SX_S14_S18_S1A_T6_T7_T9_mT8_S1C_bDpT10_ENKUlT_T0_E_clISt17integral_constantIbLb0EES1P_EEDaS1K_S1L_EUlS1K_E_NS1_11comp_targetILNS1_3genE5ELNS1_11target_archE942ELNS1_3gpuE9ELNS1_3repE0EEENS1_30default_config_static_selectorELNS0_4arch9wavefront6targetE0EEEvSY_
; %bb.0:
	.section	.rodata,"a",@progbits
	.p2align	6, 0x0
	.amdhsa_kernel _ZN7rocprim17ROCPRIM_400000_NS6detail17trampoline_kernelINS0_13select_configILj256ELj13ELNS0_17block_load_methodE3ELS4_3ELS4_3ELNS0_20block_scan_algorithmE0ELj4294967295EEENS1_25partition_config_selectorILNS1_17partition_subalgoE3EjNS0_10empty_typeEbEEZZNS1_14partition_implILS8_3ELb0ES6_jNS0_17counting_iteratorIjlEEPS9_SE_NS0_5tupleIJPjSE_EEENSF_IJSE_SE_EEES9_SG_JZNS1_25segmented_radix_sort_implINS0_14default_configELb0EPKbPbPKlPlN2at6native12_GLOBAL__N_18offset_tEEE10hipError_tPvRmT1_PNSt15iterator_traitsISY_E10value_typeET2_T3_PNSZ_IS14_E10value_typeET4_jRbjT5_S1A_jjP12ihipStream_tbEUljE_EEESV_SW_SX_S14_S18_S1A_T6_T7_T9_mT8_S1C_bDpT10_ENKUlT_T0_E_clISt17integral_constantIbLb0EES1P_EEDaS1K_S1L_EUlS1K_E_NS1_11comp_targetILNS1_3genE5ELNS1_11target_archE942ELNS1_3gpuE9ELNS1_3repE0EEENS1_30default_config_static_selectorELNS0_4arch9wavefront6targetE0EEEvSY_
		.amdhsa_group_segment_fixed_size 0
		.amdhsa_private_segment_fixed_size 0
		.amdhsa_kernarg_size 144
		.amdhsa_user_sgpr_count 2
		.amdhsa_user_sgpr_dispatch_ptr 0
		.amdhsa_user_sgpr_queue_ptr 0
		.amdhsa_user_sgpr_kernarg_segment_ptr 1
		.amdhsa_user_sgpr_dispatch_id 0
		.amdhsa_user_sgpr_private_segment_size 0
		.amdhsa_wavefront_size32 1
		.amdhsa_uses_dynamic_stack 0
		.amdhsa_enable_private_segment 0
		.amdhsa_system_sgpr_workgroup_id_x 1
		.amdhsa_system_sgpr_workgroup_id_y 0
		.amdhsa_system_sgpr_workgroup_id_z 0
		.amdhsa_system_sgpr_workgroup_info 0
		.amdhsa_system_vgpr_workitem_id 0
		.amdhsa_next_free_vgpr 1
		.amdhsa_next_free_sgpr 1
		.amdhsa_reserve_vcc 0
		.amdhsa_float_round_mode_32 0
		.amdhsa_float_round_mode_16_64 0
		.amdhsa_float_denorm_mode_32 3
		.amdhsa_float_denorm_mode_16_64 3
		.amdhsa_fp16_overflow 0
		.amdhsa_workgroup_processor_mode 1
		.amdhsa_memory_ordered 1
		.amdhsa_forward_progress 1
		.amdhsa_inst_pref_size 0
		.amdhsa_round_robin_scheduling 0
		.amdhsa_exception_fp_ieee_invalid_op 0
		.amdhsa_exception_fp_denorm_src 0
		.amdhsa_exception_fp_ieee_div_zero 0
		.amdhsa_exception_fp_ieee_overflow 0
		.amdhsa_exception_fp_ieee_underflow 0
		.amdhsa_exception_fp_ieee_inexact 0
		.amdhsa_exception_int_div_zero 0
	.end_amdhsa_kernel
	.section	.text._ZN7rocprim17ROCPRIM_400000_NS6detail17trampoline_kernelINS0_13select_configILj256ELj13ELNS0_17block_load_methodE3ELS4_3ELS4_3ELNS0_20block_scan_algorithmE0ELj4294967295EEENS1_25partition_config_selectorILNS1_17partition_subalgoE3EjNS0_10empty_typeEbEEZZNS1_14partition_implILS8_3ELb0ES6_jNS0_17counting_iteratorIjlEEPS9_SE_NS0_5tupleIJPjSE_EEENSF_IJSE_SE_EEES9_SG_JZNS1_25segmented_radix_sort_implINS0_14default_configELb0EPKbPbPKlPlN2at6native12_GLOBAL__N_18offset_tEEE10hipError_tPvRmT1_PNSt15iterator_traitsISY_E10value_typeET2_T3_PNSZ_IS14_E10value_typeET4_jRbjT5_S1A_jjP12ihipStream_tbEUljE_EEESV_SW_SX_S14_S18_S1A_T6_T7_T9_mT8_S1C_bDpT10_ENKUlT_T0_E_clISt17integral_constantIbLb0EES1P_EEDaS1K_S1L_EUlS1K_E_NS1_11comp_targetILNS1_3genE5ELNS1_11target_archE942ELNS1_3gpuE9ELNS1_3repE0EEENS1_30default_config_static_selectorELNS0_4arch9wavefront6targetE0EEEvSY_,"axG",@progbits,_ZN7rocprim17ROCPRIM_400000_NS6detail17trampoline_kernelINS0_13select_configILj256ELj13ELNS0_17block_load_methodE3ELS4_3ELS4_3ELNS0_20block_scan_algorithmE0ELj4294967295EEENS1_25partition_config_selectorILNS1_17partition_subalgoE3EjNS0_10empty_typeEbEEZZNS1_14partition_implILS8_3ELb0ES6_jNS0_17counting_iteratorIjlEEPS9_SE_NS0_5tupleIJPjSE_EEENSF_IJSE_SE_EEES9_SG_JZNS1_25segmented_radix_sort_implINS0_14default_configELb0EPKbPbPKlPlN2at6native12_GLOBAL__N_18offset_tEEE10hipError_tPvRmT1_PNSt15iterator_traitsISY_E10value_typeET2_T3_PNSZ_IS14_E10value_typeET4_jRbjT5_S1A_jjP12ihipStream_tbEUljE_EEESV_SW_SX_S14_S18_S1A_T6_T7_T9_mT8_S1C_bDpT10_ENKUlT_T0_E_clISt17integral_constantIbLb0EES1P_EEDaS1K_S1L_EUlS1K_E_NS1_11comp_targetILNS1_3genE5ELNS1_11target_archE942ELNS1_3gpuE9ELNS1_3repE0EEENS1_30default_config_static_selectorELNS0_4arch9wavefront6targetE0EEEvSY_,comdat
.Lfunc_end1604:
	.size	_ZN7rocprim17ROCPRIM_400000_NS6detail17trampoline_kernelINS0_13select_configILj256ELj13ELNS0_17block_load_methodE3ELS4_3ELS4_3ELNS0_20block_scan_algorithmE0ELj4294967295EEENS1_25partition_config_selectorILNS1_17partition_subalgoE3EjNS0_10empty_typeEbEEZZNS1_14partition_implILS8_3ELb0ES6_jNS0_17counting_iteratorIjlEEPS9_SE_NS0_5tupleIJPjSE_EEENSF_IJSE_SE_EEES9_SG_JZNS1_25segmented_radix_sort_implINS0_14default_configELb0EPKbPbPKlPlN2at6native12_GLOBAL__N_18offset_tEEE10hipError_tPvRmT1_PNSt15iterator_traitsISY_E10value_typeET2_T3_PNSZ_IS14_E10value_typeET4_jRbjT5_S1A_jjP12ihipStream_tbEUljE_EEESV_SW_SX_S14_S18_S1A_T6_T7_T9_mT8_S1C_bDpT10_ENKUlT_T0_E_clISt17integral_constantIbLb0EES1P_EEDaS1K_S1L_EUlS1K_E_NS1_11comp_targetILNS1_3genE5ELNS1_11target_archE942ELNS1_3gpuE9ELNS1_3repE0EEENS1_30default_config_static_selectorELNS0_4arch9wavefront6targetE0EEEvSY_, .Lfunc_end1604-_ZN7rocprim17ROCPRIM_400000_NS6detail17trampoline_kernelINS0_13select_configILj256ELj13ELNS0_17block_load_methodE3ELS4_3ELS4_3ELNS0_20block_scan_algorithmE0ELj4294967295EEENS1_25partition_config_selectorILNS1_17partition_subalgoE3EjNS0_10empty_typeEbEEZZNS1_14partition_implILS8_3ELb0ES6_jNS0_17counting_iteratorIjlEEPS9_SE_NS0_5tupleIJPjSE_EEENSF_IJSE_SE_EEES9_SG_JZNS1_25segmented_radix_sort_implINS0_14default_configELb0EPKbPbPKlPlN2at6native12_GLOBAL__N_18offset_tEEE10hipError_tPvRmT1_PNSt15iterator_traitsISY_E10value_typeET2_T3_PNSZ_IS14_E10value_typeET4_jRbjT5_S1A_jjP12ihipStream_tbEUljE_EEESV_SW_SX_S14_S18_S1A_T6_T7_T9_mT8_S1C_bDpT10_ENKUlT_T0_E_clISt17integral_constantIbLb0EES1P_EEDaS1K_S1L_EUlS1K_E_NS1_11comp_targetILNS1_3genE5ELNS1_11target_archE942ELNS1_3gpuE9ELNS1_3repE0EEENS1_30default_config_static_selectorELNS0_4arch9wavefront6targetE0EEEvSY_
                                        ; -- End function
	.set _ZN7rocprim17ROCPRIM_400000_NS6detail17trampoline_kernelINS0_13select_configILj256ELj13ELNS0_17block_load_methodE3ELS4_3ELS4_3ELNS0_20block_scan_algorithmE0ELj4294967295EEENS1_25partition_config_selectorILNS1_17partition_subalgoE3EjNS0_10empty_typeEbEEZZNS1_14partition_implILS8_3ELb0ES6_jNS0_17counting_iteratorIjlEEPS9_SE_NS0_5tupleIJPjSE_EEENSF_IJSE_SE_EEES9_SG_JZNS1_25segmented_radix_sort_implINS0_14default_configELb0EPKbPbPKlPlN2at6native12_GLOBAL__N_18offset_tEEE10hipError_tPvRmT1_PNSt15iterator_traitsISY_E10value_typeET2_T3_PNSZ_IS14_E10value_typeET4_jRbjT5_S1A_jjP12ihipStream_tbEUljE_EEESV_SW_SX_S14_S18_S1A_T6_T7_T9_mT8_S1C_bDpT10_ENKUlT_T0_E_clISt17integral_constantIbLb0EES1P_EEDaS1K_S1L_EUlS1K_E_NS1_11comp_targetILNS1_3genE5ELNS1_11target_archE942ELNS1_3gpuE9ELNS1_3repE0EEENS1_30default_config_static_selectorELNS0_4arch9wavefront6targetE0EEEvSY_.num_vgpr, 0
	.set _ZN7rocprim17ROCPRIM_400000_NS6detail17trampoline_kernelINS0_13select_configILj256ELj13ELNS0_17block_load_methodE3ELS4_3ELS4_3ELNS0_20block_scan_algorithmE0ELj4294967295EEENS1_25partition_config_selectorILNS1_17partition_subalgoE3EjNS0_10empty_typeEbEEZZNS1_14partition_implILS8_3ELb0ES6_jNS0_17counting_iteratorIjlEEPS9_SE_NS0_5tupleIJPjSE_EEENSF_IJSE_SE_EEES9_SG_JZNS1_25segmented_radix_sort_implINS0_14default_configELb0EPKbPbPKlPlN2at6native12_GLOBAL__N_18offset_tEEE10hipError_tPvRmT1_PNSt15iterator_traitsISY_E10value_typeET2_T3_PNSZ_IS14_E10value_typeET4_jRbjT5_S1A_jjP12ihipStream_tbEUljE_EEESV_SW_SX_S14_S18_S1A_T6_T7_T9_mT8_S1C_bDpT10_ENKUlT_T0_E_clISt17integral_constantIbLb0EES1P_EEDaS1K_S1L_EUlS1K_E_NS1_11comp_targetILNS1_3genE5ELNS1_11target_archE942ELNS1_3gpuE9ELNS1_3repE0EEENS1_30default_config_static_selectorELNS0_4arch9wavefront6targetE0EEEvSY_.num_agpr, 0
	.set _ZN7rocprim17ROCPRIM_400000_NS6detail17trampoline_kernelINS0_13select_configILj256ELj13ELNS0_17block_load_methodE3ELS4_3ELS4_3ELNS0_20block_scan_algorithmE0ELj4294967295EEENS1_25partition_config_selectorILNS1_17partition_subalgoE3EjNS0_10empty_typeEbEEZZNS1_14partition_implILS8_3ELb0ES6_jNS0_17counting_iteratorIjlEEPS9_SE_NS0_5tupleIJPjSE_EEENSF_IJSE_SE_EEES9_SG_JZNS1_25segmented_radix_sort_implINS0_14default_configELb0EPKbPbPKlPlN2at6native12_GLOBAL__N_18offset_tEEE10hipError_tPvRmT1_PNSt15iterator_traitsISY_E10value_typeET2_T3_PNSZ_IS14_E10value_typeET4_jRbjT5_S1A_jjP12ihipStream_tbEUljE_EEESV_SW_SX_S14_S18_S1A_T6_T7_T9_mT8_S1C_bDpT10_ENKUlT_T0_E_clISt17integral_constantIbLb0EES1P_EEDaS1K_S1L_EUlS1K_E_NS1_11comp_targetILNS1_3genE5ELNS1_11target_archE942ELNS1_3gpuE9ELNS1_3repE0EEENS1_30default_config_static_selectorELNS0_4arch9wavefront6targetE0EEEvSY_.numbered_sgpr, 0
	.set _ZN7rocprim17ROCPRIM_400000_NS6detail17trampoline_kernelINS0_13select_configILj256ELj13ELNS0_17block_load_methodE3ELS4_3ELS4_3ELNS0_20block_scan_algorithmE0ELj4294967295EEENS1_25partition_config_selectorILNS1_17partition_subalgoE3EjNS0_10empty_typeEbEEZZNS1_14partition_implILS8_3ELb0ES6_jNS0_17counting_iteratorIjlEEPS9_SE_NS0_5tupleIJPjSE_EEENSF_IJSE_SE_EEES9_SG_JZNS1_25segmented_radix_sort_implINS0_14default_configELb0EPKbPbPKlPlN2at6native12_GLOBAL__N_18offset_tEEE10hipError_tPvRmT1_PNSt15iterator_traitsISY_E10value_typeET2_T3_PNSZ_IS14_E10value_typeET4_jRbjT5_S1A_jjP12ihipStream_tbEUljE_EEESV_SW_SX_S14_S18_S1A_T6_T7_T9_mT8_S1C_bDpT10_ENKUlT_T0_E_clISt17integral_constantIbLb0EES1P_EEDaS1K_S1L_EUlS1K_E_NS1_11comp_targetILNS1_3genE5ELNS1_11target_archE942ELNS1_3gpuE9ELNS1_3repE0EEENS1_30default_config_static_selectorELNS0_4arch9wavefront6targetE0EEEvSY_.num_named_barrier, 0
	.set _ZN7rocprim17ROCPRIM_400000_NS6detail17trampoline_kernelINS0_13select_configILj256ELj13ELNS0_17block_load_methodE3ELS4_3ELS4_3ELNS0_20block_scan_algorithmE0ELj4294967295EEENS1_25partition_config_selectorILNS1_17partition_subalgoE3EjNS0_10empty_typeEbEEZZNS1_14partition_implILS8_3ELb0ES6_jNS0_17counting_iteratorIjlEEPS9_SE_NS0_5tupleIJPjSE_EEENSF_IJSE_SE_EEES9_SG_JZNS1_25segmented_radix_sort_implINS0_14default_configELb0EPKbPbPKlPlN2at6native12_GLOBAL__N_18offset_tEEE10hipError_tPvRmT1_PNSt15iterator_traitsISY_E10value_typeET2_T3_PNSZ_IS14_E10value_typeET4_jRbjT5_S1A_jjP12ihipStream_tbEUljE_EEESV_SW_SX_S14_S18_S1A_T6_T7_T9_mT8_S1C_bDpT10_ENKUlT_T0_E_clISt17integral_constantIbLb0EES1P_EEDaS1K_S1L_EUlS1K_E_NS1_11comp_targetILNS1_3genE5ELNS1_11target_archE942ELNS1_3gpuE9ELNS1_3repE0EEENS1_30default_config_static_selectorELNS0_4arch9wavefront6targetE0EEEvSY_.private_seg_size, 0
	.set _ZN7rocprim17ROCPRIM_400000_NS6detail17trampoline_kernelINS0_13select_configILj256ELj13ELNS0_17block_load_methodE3ELS4_3ELS4_3ELNS0_20block_scan_algorithmE0ELj4294967295EEENS1_25partition_config_selectorILNS1_17partition_subalgoE3EjNS0_10empty_typeEbEEZZNS1_14partition_implILS8_3ELb0ES6_jNS0_17counting_iteratorIjlEEPS9_SE_NS0_5tupleIJPjSE_EEENSF_IJSE_SE_EEES9_SG_JZNS1_25segmented_radix_sort_implINS0_14default_configELb0EPKbPbPKlPlN2at6native12_GLOBAL__N_18offset_tEEE10hipError_tPvRmT1_PNSt15iterator_traitsISY_E10value_typeET2_T3_PNSZ_IS14_E10value_typeET4_jRbjT5_S1A_jjP12ihipStream_tbEUljE_EEESV_SW_SX_S14_S18_S1A_T6_T7_T9_mT8_S1C_bDpT10_ENKUlT_T0_E_clISt17integral_constantIbLb0EES1P_EEDaS1K_S1L_EUlS1K_E_NS1_11comp_targetILNS1_3genE5ELNS1_11target_archE942ELNS1_3gpuE9ELNS1_3repE0EEENS1_30default_config_static_selectorELNS0_4arch9wavefront6targetE0EEEvSY_.uses_vcc, 0
	.set _ZN7rocprim17ROCPRIM_400000_NS6detail17trampoline_kernelINS0_13select_configILj256ELj13ELNS0_17block_load_methodE3ELS4_3ELS4_3ELNS0_20block_scan_algorithmE0ELj4294967295EEENS1_25partition_config_selectorILNS1_17partition_subalgoE3EjNS0_10empty_typeEbEEZZNS1_14partition_implILS8_3ELb0ES6_jNS0_17counting_iteratorIjlEEPS9_SE_NS0_5tupleIJPjSE_EEENSF_IJSE_SE_EEES9_SG_JZNS1_25segmented_radix_sort_implINS0_14default_configELb0EPKbPbPKlPlN2at6native12_GLOBAL__N_18offset_tEEE10hipError_tPvRmT1_PNSt15iterator_traitsISY_E10value_typeET2_T3_PNSZ_IS14_E10value_typeET4_jRbjT5_S1A_jjP12ihipStream_tbEUljE_EEESV_SW_SX_S14_S18_S1A_T6_T7_T9_mT8_S1C_bDpT10_ENKUlT_T0_E_clISt17integral_constantIbLb0EES1P_EEDaS1K_S1L_EUlS1K_E_NS1_11comp_targetILNS1_3genE5ELNS1_11target_archE942ELNS1_3gpuE9ELNS1_3repE0EEENS1_30default_config_static_selectorELNS0_4arch9wavefront6targetE0EEEvSY_.uses_flat_scratch, 0
	.set _ZN7rocprim17ROCPRIM_400000_NS6detail17trampoline_kernelINS0_13select_configILj256ELj13ELNS0_17block_load_methodE3ELS4_3ELS4_3ELNS0_20block_scan_algorithmE0ELj4294967295EEENS1_25partition_config_selectorILNS1_17partition_subalgoE3EjNS0_10empty_typeEbEEZZNS1_14partition_implILS8_3ELb0ES6_jNS0_17counting_iteratorIjlEEPS9_SE_NS0_5tupleIJPjSE_EEENSF_IJSE_SE_EEES9_SG_JZNS1_25segmented_radix_sort_implINS0_14default_configELb0EPKbPbPKlPlN2at6native12_GLOBAL__N_18offset_tEEE10hipError_tPvRmT1_PNSt15iterator_traitsISY_E10value_typeET2_T3_PNSZ_IS14_E10value_typeET4_jRbjT5_S1A_jjP12ihipStream_tbEUljE_EEESV_SW_SX_S14_S18_S1A_T6_T7_T9_mT8_S1C_bDpT10_ENKUlT_T0_E_clISt17integral_constantIbLb0EES1P_EEDaS1K_S1L_EUlS1K_E_NS1_11comp_targetILNS1_3genE5ELNS1_11target_archE942ELNS1_3gpuE9ELNS1_3repE0EEENS1_30default_config_static_selectorELNS0_4arch9wavefront6targetE0EEEvSY_.has_dyn_sized_stack, 0
	.set _ZN7rocprim17ROCPRIM_400000_NS6detail17trampoline_kernelINS0_13select_configILj256ELj13ELNS0_17block_load_methodE3ELS4_3ELS4_3ELNS0_20block_scan_algorithmE0ELj4294967295EEENS1_25partition_config_selectorILNS1_17partition_subalgoE3EjNS0_10empty_typeEbEEZZNS1_14partition_implILS8_3ELb0ES6_jNS0_17counting_iteratorIjlEEPS9_SE_NS0_5tupleIJPjSE_EEENSF_IJSE_SE_EEES9_SG_JZNS1_25segmented_radix_sort_implINS0_14default_configELb0EPKbPbPKlPlN2at6native12_GLOBAL__N_18offset_tEEE10hipError_tPvRmT1_PNSt15iterator_traitsISY_E10value_typeET2_T3_PNSZ_IS14_E10value_typeET4_jRbjT5_S1A_jjP12ihipStream_tbEUljE_EEESV_SW_SX_S14_S18_S1A_T6_T7_T9_mT8_S1C_bDpT10_ENKUlT_T0_E_clISt17integral_constantIbLb0EES1P_EEDaS1K_S1L_EUlS1K_E_NS1_11comp_targetILNS1_3genE5ELNS1_11target_archE942ELNS1_3gpuE9ELNS1_3repE0EEENS1_30default_config_static_selectorELNS0_4arch9wavefront6targetE0EEEvSY_.has_recursion, 0
	.set _ZN7rocprim17ROCPRIM_400000_NS6detail17trampoline_kernelINS0_13select_configILj256ELj13ELNS0_17block_load_methodE3ELS4_3ELS4_3ELNS0_20block_scan_algorithmE0ELj4294967295EEENS1_25partition_config_selectorILNS1_17partition_subalgoE3EjNS0_10empty_typeEbEEZZNS1_14partition_implILS8_3ELb0ES6_jNS0_17counting_iteratorIjlEEPS9_SE_NS0_5tupleIJPjSE_EEENSF_IJSE_SE_EEES9_SG_JZNS1_25segmented_radix_sort_implINS0_14default_configELb0EPKbPbPKlPlN2at6native12_GLOBAL__N_18offset_tEEE10hipError_tPvRmT1_PNSt15iterator_traitsISY_E10value_typeET2_T3_PNSZ_IS14_E10value_typeET4_jRbjT5_S1A_jjP12ihipStream_tbEUljE_EEESV_SW_SX_S14_S18_S1A_T6_T7_T9_mT8_S1C_bDpT10_ENKUlT_T0_E_clISt17integral_constantIbLb0EES1P_EEDaS1K_S1L_EUlS1K_E_NS1_11comp_targetILNS1_3genE5ELNS1_11target_archE942ELNS1_3gpuE9ELNS1_3repE0EEENS1_30default_config_static_selectorELNS0_4arch9wavefront6targetE0EEEvSY_.has_indirect_call, 0
	.section	.AMDGPU.csdata,"",@progbits
; Kernel info:
; codeLenInByte = 0
; TotalNumSgprs: 0
; NumVgprs: 0
; ScratchSize: 0
; MemoryBound: 0
; FloatMode: 240
; IeeeMode: 1
; LDSByteSize: 0 bytes/workgroup (compile time only)
; SGPRBlocks: 0
; VGPRBlocks: 0
; NumSGPRsForWavesPerEU: 1
; NumVGPRsForWavesPerEU: 1
; Occupancy: 16
; WaveLimiterHint : 0
; COMPUTE_PGM_RSRC2:SCRATCH_EN: 0
; COMPUTE_PGM_RSRC2:USER_SGPR: 2
; COMPUTE_PGM_RSRC2:TRAP_HANDLER: 0
; COMPUTE_PGM_RSRC2:TGID_X_EN: 1
; COMPUTE_PGM_RSRC2:TGID_Y_EN: 0
; COMPUTE_PGM_RSRC2:TGID_Z_EN: 0
; COMPUTE_PGM_RSRC2:TIDIG_COMP_CNT: 0
	.section	.text._ZN7rocprim17ROCPRIM_400000_NS6detail17trampoline_kernelINS0_13select_configILj256ELj13ELNS0_17block_load_methodE3ELS4_3ELS4_3ELNS0_20block_scan_algorithmE0ELj4294967295EEENS1_25partition_config_selectorILNS1_17partition_subalgoE3EjNS0_10empty_typeEbEEZZNS1_14partition_implILS8_3ELb0ES6_jNS0_17counting_iteratorIjlEEPS9_SE_NS0_5tupleIJPjSE_EEENSF_IJSE_SE_EEES9_SG_JZNS1_25segmented_radix_sort_implINS0_14default_configELb0EPKbPbPKlPlN2at6native12_GLOBAL__N_18offset_tEEE10hipError_tPvRmT1_PNSt15iterator_traitsISY_E10value_typeET2_T3_PNSZ_IS14_E10value_typeET4_jRbjT5_S1A_jjP12ihipStream_tbEUljE_EEESV_SW_SX_S14_S18_S1A_T6_T7_T9_mT8_S1C_bDpT10_ENKUlT_T0_E_clISt17integral_constantIbLb0EES1P_EEDaS1K_S1L_EUlS1K_E_NS1_11comp_targetILNS1_3genE4ELNS1_11target_archE910ELNS1_3gpuE8ELNS1_3repE0EEENS1_30default_config_static_selectorELNS0_4arch9wavefront6targetE0EEEvSY_,"axG",@progbits,_ZN7rocprim17ROCPRIM_400000_NS6detail17trampoline_kernelINS0_13select_configILj256ELj13ELNS0_17block_load_methodE3ELS4_3ELS4_3ELNS0_20block_scan_algorithmE0ELj4294967295EEENS1_25partition_config_selectorILNS1_17partition_subalgoE3EjNS0_10empty_typeEbEEZZNS1_14partition_implILS8_3ELb0ES6_jNS0_17counting_iteratorIjlEEPS9_SE_NS0_5tupleIJPjSE_EEENSF_IJSE_SE_EEES9_SG_JZNS1_25segmented_radix_sort_implINS0_14default_configELb0EPKbPbPKlPlN2at6native12_GLOBAL__N_18offset_tEEE10hipError_tPvRmT1_PNSt15iterator_traitsISY_E10value_typeET2_T3_PNSZ_IS14_E10value_typeET4_jRbjT5_S1A_jjP12ihipStream_tbEUljE_EEESV_SW_SX_S14_S18_S1A_T6_T7_T9_mT8_S1C_bDpT10_ENKUlT_T0_E_clISt17integral_constantIbLb0EES1P_EEDaS1K_S1L_EUlS1K_E_NS1_11comp_targetILNS1_3genE4ELNS1_11target_archE910ELNS1_3gpuE8ELNS1_3repE0EEENS1_30default_config_static_selectorELNS0_4arch9wavefront6targetE0EEEvSY_,comdat
	.globl	_ZN7rocprim17ROCPRIM_400000_NS6detail17trampoline_kernelINS0_13select_configILj256ELj13ELNS0_17block_load_methodE3ELS4_3ELS4_3ELNS0_20block_scan_algorithmE0ELj4294967295EEENS1_25partition_config_selectorILNS1_17partition_subalgoE3EjNS0_10empty_typeEbEEZZNS1_14partition_implILS8_3ELb0ES6_jNS0_17counting_iteratorIjlEEPS9_SE_NS0_5tupleIJPjSE_EEENSF_IJSE_SE_EEES9_SG_JZNS1_25segmented_radix_sort_implINS0_14default_configELb0EPKbPbPKlPlN2at6native12_GLOBAL__N_18offset_tEEE10hipError_tPvRmT1_PNSt15iterator_traitsISY_E10value_typeET2_T3_PNSZ_IS14_E10value_typeET4_jRbjT5_S1A_jjP12ihipStream_tbEUljE_EEESV_SW_SX_S14_S18_S1A_T6_T7_T9_mT8_S1C_bDpT10_ENKUlT_T0_E_clISt17integral_constantIbLb0EES1P_EEDaS1K_S1L_EUlS1K_E_NS1_11comp_targetILNS1_3genE4ELNS1_11target_archE910ELNS1_3gpuE8ELNS1_3repE0EEENS1_30default_config_static_selectorELNS0_4arch9wavefront6targetE0EEEvSY_ ; -- Begin function _ZN7rocprim17ROCPRIM_400000_NS6detail17trampoline_kernelINS0_13select_configILj256ELj13ELNS0_17block_load_methodE3ELS4_3ELS4_3ELNS0_20block_scan_algorithmE0ELj4294967295EEENS1_25partition_config_selectorILNS1_17partition_subalgoE3EjNS0_10empty_typeEbEEZZNS1_14partition_implILS8_3ELb0ES6_jNS0_17counting_iteratorIjlEEPS9_SE_NS0_5tupleIJPjSE_EEENSF_IJSE_SE_EEES9_SG_JZNS1_25segmented_radix_sort_implINS0_14default_configELb0EPKbPbPKlPlN2at6native12_GLOBAL__N_18offset_tEEE10hipError_tPvRmT1_PNSt15iterator_traitsISY_E10value_typeET2_T3_PNSZ_IS14_E10value_typeET4_jRbjT5_S1A_jjP12ihipStream_tbEUljE_EEESV_SW_SX_S14_S18_S1A_T6_T7_T9_mT8_S1C_bDpT10_ENKUlT_T0_E_clISt17integral_constantIbLb0EES1P_EEDaS1K_S1L_EUlS1K_E_NS1_11comp_targetILNS1_3genE4ELNS1_11target_archE910ELNS1_3gpuE8ELNS1_3repE0EEENS1_30default_config_static_selectorELNS0_4arch9wavefront6targetE0EEEvSY_
	.p2align	8
	.type	_ZN7rocprim17ROCPRIM_400000_NS6detail17trampoline_kernelINS0_13select_configILj256ELj13ELNS0_17block_load_methodE3ELS4_3ELS4_3ELNS0_20block_scan_algorithmE0ELj4294967295EEENS1_25partition_config_selectorILNS1_17partition_subalgoE3EjNS0_10empty_typeEbEEZZNS1_14partition_implILS8_3ELb0ES6_jNS0_17counting_iteratorIjlEEPS9_SE_NS0_5tupleIJPjSE_EEENSF_IJSE_SE_EEES9_SG_JZNS1_25segmented_radix_sort_implINS0_14default_configELb0EPKbPbPKlPlN2at6native12_GLOBAL__N_18offset_tEEE10hipError_tPvRmT1_PNSt15iterator_traitsISY_E10value_typeET2_T3_PNSZ_IS14_E10value_typeET4_jRbjT5_S1A_jjP12ihipStream_tbEUljE_EEESV_SW_SX_S14_S18_S1A_T6_T7_T9_mT8_S1C_bDpT10_ENKUlT_T0_E_clISt17integral_constantIbLb0EES1P_EEDaS1K_S1L_EUlS1K_E_NS1_11comp_targetILNS1_3genE4ELNS1_11target_archE910ELNS1_3gpuE8ELNS1_3repE0EEENS1_30default_config_static_selectorELNS0_4arch9wavefront6targetE0EEEvSY_,@function
_ZN7rocprim17ROCPRIM_400000_NS6detail17trampoline_kernelINS0_13select_configILj256ELj13ELNS0_17block_load_methodE3ELS4_3ELS4_3ELNS0_20block_scan_algorithmE0ELj4294967295EEENS1_25partition_config_selectorILNS1_17partition_subalgoE3EjNS0_10empty_typeEbEEZZNS1_14partition_implILS8_3ELb0ES6_jNS0_17counting_iteratorIjlEEPS9_SE_NS0_5tupleIJPjSE_EEENSF_IJSE_SE_EEES9_SG_JZNS1_25segmented_radix_sort_implINS0_14default_configELb0EPKbPbPKlPlN2at6native12_GLOBAL__N_18offset_tEEE10hipError_tPvRmT1_PNSt15iterator_traitsISY_E10value_typeET2_T3_PNSZ_IS14_E10value_typeET4_jRbjT5_S1A_jjP12ihipStream_tbEUljE_EEESV_SW_SX_S14_S18_S1A_T6_T7_T9_mT8_S1C_bDpT10_ENKUlT_T0_E_clISt17integral_constantIbLb0EES1P_EEDaS1K_S1L_EUlS1K_E_NS1_11comp_targetILNS1_3genE4ELNS1_11target_archE910ELNS1_3gpuE8ELNS1_3repE0EEENS1_30default_config_static_selectorELNS0_4arch9wavefront6targetE0EEEvSY_: ; @_ZN7rocprim17ROCPRIM_400000_NS6detail17trampoline_kernelINS0_13select_configILj256ELj13ELNS0_17block_load_methodE3ELS4_3ELS4_3ELNS0_20block_scan_algorithmE0ELj4294967295EEENS1_25partition_config_selectorILNS1_17partition_subalgoE3EjNS0_10empty_typeEbEEZZNS1_14partition_implILS8_3ELb0ES6_jNS0_17counting_iteratorIjlEEPS9_SE_NS0_5tupleIJPjSE_EEENSF_IJSE_SE_EEES9_SG_JZNS1_25segmented_radix_sort_implINS0_14default_configELb0EPKbPbPKlPlN2at6native12_GLOBAL__N_18offset_tEEE10hipError_tPvRmT1_PNSt15iterator_traitsISY_E10value_typeET2_T3_PNSZ_IS14_E10value_typeET4_jRbjT5_S1A_jjP12ihipStream_tbEUljE_EEESV_SW_SX_S14_S18_S1A_T6_T7_T9_mT8_S1C_bDpT10_ENKUlT_T0_E_clISt17integral_constantIbLb0EES1P_EEDaS1K_S1L_EUlS1K_E_NS1_11comp_targetILNS1_3genE4ELNS1_11target_archE910ELNS1_3gpuE8ELNS1_3repE0EEENS1_30default_config_static_selectorELNS0_4arch9wavefront6targetE0EEEvSY_
; %bb.0:
	.section	.rodata,"a",@progbits
	.p2align	6, 0x0
	.amdhsa_kernel _ZN7rocprim17ROCPRIM_400000_NS6detail17trampoline_kernelINS0_13select_configILj256ELj13ELNS0_17block_load_methodE3ELS4_3ELS4_3ELNS0_20block_scan_algorithmE0ELj4294967295EEENS1_25partition_config_selectorILNS1_17partition_subalgoE3EjNS0_10empty_typeEbEEZZNS1_14partition_implILS8_3ELb0ES6_jNS0_17counting_iteratorIjlEEPS9_SE_NS0_5tupleIJPjSE_EEENSF_IJSE_SE_EEES9_SG_JZNS1_25segmented_radix_sort_implINS0_14default_configELb0EPKbPbPKlPlN2at6native12_GLOBAL__N_18offset_tEEE10hipError_tPvRmT1_PNSt15iterator_traitsISY_E10value_typeET2_T3_PNSZ_IS14_E10value_typeET4_jRbjT5_S1A_jjP12ihipStream_tbEUljE_EEESV_SW_SX_S14_S18_S1A_T6_T7_T9_mT8_S1C_bDpT10_ENKUlT_T0_E_clISt17integral_constantIbLb0EES1P_EEDaS1K_S1L_EUlS1K_E_NS1_11comp_targetILNS1_3genE4ELNS1_11target_archE910ELNS1_3gpuE8ELNS1_3repE0EEENS1_30default_config_static_selectorELNS0_4arch9wavefront6targetE0EEEvSY_
		.amdhsa_group_segment_fixed_size 0
		.amdhsa_private_segment_fixed_size 0
		.amdhsa_kernarg_size 144
		.amdhsa_user_sgpr_count 2
		.amdhsa_user_sgpr_dispatch_ptr 0
		.amdhsa_user_sgpr_queue_ptr 0
		.amdhsa_user_sgpr_kernarg_segment_ptr 1
		.amdhsa_user_sgpr_dispatch_id 0
		.amdhsa_user_sgpr_private_segment_size 0
		.amdhsa_wavefront_size32 1
		.amdhsa_uses_dynamic_stack 0
		.amdhsa_enable_private_segment 0
		.amdhsa_system_sgpr_workgroup_id_x 1
		.amdhsa_system_sgpr_workgroup_id_y 0
		.amdhsa_system_sgpr_workgroup_id_z 0
		.amdhsa_system_sgpr_workgroup_info 0
		.amdhsa_system_vgpr_workitem_id 0
		.amdhsa_next_free_vgpr 1
		.amdhsa_next_free_sgpr 1
		.amdhsa_reserve_vcc 0
		.amdhsa_float_round_mode_32 0
		.amdhsa_float_round_mode_16_64 0
		.amdhsa_float_denorm_mode_32 3
		.amdhsa_float_denorm_mode_16_64 3
		.amdhsa_fp16_overflow 0
		.amdhsa_workgroup_processor_mode 1
		.amdhsa_memory_ordered 1
		.amdhsa_forward_progress 1
		.amdhsa_inst_pref_size 0
		.amdhsa_round_robin_scheduling 0
		.amdhsa_exception_fp_ieee_invalid_op 0
		.amdhsa_exception_fp_denorm_src 0
		.amdhsa_exception_fp_ieee_div_zero 0
		.amdhsa_exception_fp_ieee_overflow 0
		.amdhsa_exception_fp_ieee_underflow 0
		.amdhsa_exception_fp_ieee_inexact 0
		.amdhsa_exception_int_div_zero 0
	.end_amdhsa_kernel
	.section	.text._ZN7rocprim17ROCPRIM_400000_NS6detail17trampoline_kernelINS0_13select_configILj256ELj13ELNS0_17block_load_methodE3ELS4_3ELS4_3ELNS0_20block_scan_algorithmE0ELj4294967295EEENS1_25partition_config_selectorILNS1_17partition_subalgoE3EjNS0_10empty_typeEbEEZZNS1_14partition_implILS8_3ELb0ES6_jNS0_17counting_iteratorIjlEEPS9_SE_NS0_5tupleIJPjSE_EEENSF_IJSE_SE_EEES9_SG_JZNS1_25segmented_radix_sort_implINS0_14default_configELb0EPKbPbPKlPlN2at6native12_GLOBAL__N_18offset_tEEE10hipError_tPvRmT1_PNSt15iterator_traitsISY_E10value_typeET2_T3_PNSZ_IS14_E10value_typeET4_jRbjT5_S1A_jjP12ihipStream_tbEUljE_EEESV_SW_SX_S14_S18_S1A_T6_T7_T9_mT8_S1C_bDpT10_ENKUlT_T0_E_clISt17integral_constantIbLb0EES1P_EEDaS1K_S1L_EUlS1K_E_NS1_11comp_targetILNS1_3genE4ELNS1_11target_archE910ELNS1_3gpuE8ELNS1_3repE0EEENS1_30default_config_static_selectorELNS0_4arch9wavefront6targetE0EEEvSY_,"axG",@progbits,_ZN7rocprim17ROCPRIM_400000_NS6detail17trampoline_kernelINS0_13select_configILj256ELj13ELNS0_17block_load_methodE3ELS4_3ELS4_3ELNS0_20block_scan_algorithmE0ELj4294967295EEENS1_25partition_config_selectorILNS1_17partition_subalgoE3EjNS0_10empty_typeEbEEZZNS1_14partition_implILS8_3ELb0ES6_jNS0_17counting_iteratorIjlEEPS9_SE_NS0_5tupleIJPjSE_EEENSF_IJSE_SE_EEES9_SG_JZNS1_25segmented_radix_sort_implINS0_14default_configELb0EPKbPbPKlPlN2at6native12_GLOBAL__N_18offset_tEEE10hipError_tPvRmT1_PNSt15iterator_traitsISY_E10value_typeET2_T3_PNSZ_IS14_E10value_typeET4_jRbjT5_S1A_jjP12ihipStream_tbEUljE_EEESV_SW_SX_S14_S18_S1A_T6_T7_T9_mT8_S1C_bDpT10_ENKUlT_T0_E_clISt17integral_constantIbLb0EES1P_EEDaS1K_S1L_EUlS1K_E_NS1_11comp_targetILNS1_3genE4ELNS1_11target_archE910ELNS1_3gpuE8ELNS1_3repE0EEENS1_30default_config_static_selectorELNS0_4arch9wavefront6targetE0EEEvSY_,comdat
.Lfunc_end1605:
	.size	_ZN7rocprim17ROCPRIM_400000_NS6detail17trampoline_kernelINS0_13select_configILj256ELj13ELNS0_17block_load_methodE3ELS4_3ELS4_3ELNS0_20block_scan_algorithmE0ELj4294967295EEENS1_25partition_config_selectorILNS1_17partition_subalgoE3EjNS0_10empty_typeEbEEZZNS1_14partition_implILS8_3ELb0ES6_jNS0_17counting_iteratorIjlEEPS9_SE_NS0_5tupleIJPjSE_EEENSF_IJSE_SE_EEES9_SG_JZNS1_25segmented_radix_sort_implINS0_14default_configELb0EPKbPbPKlPlN2at6native12_GLOBAL__N_18offset_tEEE10hipError_tPvRmT1_PNSt15iterator_traitsISY_E10value_typeET2_T3_PNSZ_IS14_E10value_typeET4_jRbjT5_S1A_jjP12ihipStream_tbEUljE_EEESV_SW_SX_S14_S18_S1A_T6_T7_T9_mT8_S1C_bDpT10_ENKUlT_T0_E_clISt17integral_constantIbLb0EES1P_EEDaS1K_S1L_EUlS1K_E_NS1_11comp_targetILNS1_3genE4ELNS1_11target_archE910ELNS1_3gpuE8ELNS1_3repE0EEENS1_30default_config_static_selectorELNS0_4arch9wavefront6targetE0EEEvSY_, .Lfunc_end1605-_ZN7rocprim17ROCPRIM_400000_NS6detail17trampoline_kernelINS0_13select_configILj256ELj13ELNS0_17block_load_methodE3ELS4_3ELS4_3ELNS0_20block_scan_algorithmE0ELj4294967295EEENS1_25partition_config_selectorILNS1_17partition_subalgoE3EjNS0_10empty_typeEbEEZZNS1_14partition_implILS8_3ELb0ES6_jNS0_17counting_iteratorIjlEEPS9_SE_NS0_5tupleIJPjSE_EEENSF_IJSE_SE_EEES9_SG_JZNS1_25segmented_radix_sort_implINS0_14default_configELb0EPKbPbPKlPlN2at6native12_GLOBAL__N_18offset_tEEE10hipError_tPvRmT1_PNSt15iterator_traitsISY_E10value_typeET2_T3_PNSZ_IS14_E10value_typeET4_jRbjT5_S1A_jjP12ihipStream_tbEUljE_EEESV_SW_SX_S14_S18_S1A_T6_T7_T9_mT8_S1C_bDpT10_ENKUlT_T0_E_clISt17integral_constantIbLb0EES1P_EEDaS1K_S1L_EUlS1K_E_NS1_11comp_targetILNS1_3genE4ELNS1_11target_archE910ELNS1_3gpuE8ELNS1_3repE0EEENS1_30default_config_static_selectorELNS0_4arch9wavefront6targetE0EEEvSY_
                                        ; -- End function
	.set _ZN7rocprim17ROCPRIM_400000_NS6detail17trampoline_kernelINS0_13select_configILj256ELj13ELNS0_17block_load_methodE3ELS4_3ELS4_3ELNS0_20block_scan_algorithmE0ELj4294967295EEENS1_25partition_config_selectorILNS1_17partition_subalgoE3EjNS0_10empty_typeEbEEZZNS1_14partition_implILS8_3ELb0ES6_jNS0_17counting_iteratorIjlEEPS9_SE_NS0_5tupleIJPjSE_EEENSF_IJSE_SE_EEES9_SG_JZNS1_25segmented_radix_sort_implINS0_14default_configELb0EPKbPbPKlPlN2at6native12_GLOBAL__N_18offset_tEEE10hipError_tPvRmT1_PNSt15iterator_traitsISY_E10value_typeET2_T3_PNSZ_IS14_E10value_typeET4_jRbjT5_S1A_jjP12ihipStream_tbEUljE_EEESV_SW_SX_S14_S18_S1A_T6_T7_T9_mT8_S1C_bDpT10_ENKUlT_T0_E_clISt17integral_constantIbLb0EES1P_EEDaS1K_S1L_EUlS1K_E_NS1_11comp_targetILNS1_3genE4ELNS1_11target_archE910ELNS1_3gpuE8ELNS1_3repE0EEENS1_30default_config_static_selectorELNS0_4arch9wavefront6targetE0EEEvSY_.num_vgpr, 0
	.set _ZN7rocprim17ROCPRIM_400000_NS6detail17trampoline_kernelINS0_13select_configILj256ELj13ELNS0_17block_load_methodE3ELS4_3ELS4_3ELNS0_20block_scan_algorithmE0ELj4294967295EEENS1_25partition_config_selectorILNS1_17partition_subalgoE3EjNS0_10empty_typeEbEEZZNS1_14partition_implILS8_3ELb0ES6_jNS0_17counting_iteratorIjlEEPS9_SE_NS0_5tupleIJPjSE_EEENSF_IJSE_SE_EEES9_SG_JZNS1_25segmented_radix_sort_implINS0_14default_configELb0EPKbPbPKlPlN2at6native12_GLOBAL__N_18offset_tEEE10hipError_tPvRmT1_PNSt15iterator_traitsISY_E10value_typeET2_T3_PNSZ_IS14_E10value_typeET4_jRbjT5_S1A_jjP12ihipStream_tbEUljE_EEESV_SW_SX_S14_S18_S1A_T6_T7_T9_mT8_S1C_bDpT10_ENKUlT_T0_E_clISt17integral_constantIbLb0EES1P_EEDaS1K_S1L_EUlS1K_E_NS1_11comp_targetILNS1_3genE4ELNS1_11target_archE910ELNS1_3gpuE8ELNS1_3repE0EEENS1_30default_config_static_selectorELNS0_4arch9wavefront6targetE0EEEvSY_.num_agpr, 0
	.set _ZN7rocprim17ROCPRIM_400000_NS6detail17trampoline_kernelINS0_13select_configILj256ELj13ELNS0_17block_load_methodE3ELS4_3ELS4_3ELNS0_20block_scan_algorithmE0ELj4294967295EEENS1_25partition_config_selectorILNS1_17partition_subalgoE3EjNS0_10empty_typeEbEEZZNS1_14partition_implILS8_3ELb0ES6_jNS0_17counting_iteratorIjlEEPS9_SE_NS0_5tupleIJPjSE_EEENSF_IJSE_SE_EEES9_SG_JZNS1_25segmented_radix_sort_implINS0_14default_configELb0EPKbPbPKlPlN2at6native12_GLOBAL__N_18offset_tEEE10hipError_tPvRmT1_PNSt15iterator_traitsISY_E10value_typeET2_T3_PNSZ_IS14_E10value_typeET4_jRbjT5_S1A_jjP12ihipStream_tbEUljE_EEESV_SW_SX_S14_S18_S1A_T6_T7_T9_mT8_S1C_bDpT10_ENKUlT_T0_E_clISt17integral_constantIbLb0EES1P_EEDaS1K_S1L_EUlS1K_E_NS1_11comp_targetILNS1_3genE4ELNS1_11target_archE910ELNS1_3gpuE8ELNS1_3repE0EEENS1_30default_config_static_selectorELNS0_4arch9wavefront6targetE0EEEvSY_.numbered_sgpr, 0
	.set _ZN7rocprim17ROCPRIM_400000_NS6detail17trampoline_kernelINS0_13select_configILj256ELj13ELNS0_17block_load_methodE3ELS4_3ELS4_3ELNS0_20block_scan_algorithmE0ELj4294967295EEENS1_25partition_config_selectorILNS1_17partition_subalgoE3EjNS0_10empty_typeEbEEZZNS1_14partition_implILS8_3ELb0ES6_jNS0_17counting_iteratorIjlEEPS9_SE_NS0_5tupleIJPjSE_EEENSF_IJSE_SE_EEES9_SG_JZNS1_25segmented_radix_sort_implINS0_14default_configELb0EPKbPbPKlPlN2at6native12_GLOBAL__N_18offset_tEEE10hipError_tPvRmT1_PNSt15iterator_traitsISY_E10value_typeET2_T3_PNSZ_IS14_E10value_typeET4_jRbjT5_S1A_jjP12ihipStream_tbEUljE_EEESV_SW_SX_S14_S18_S1A_T6_T7_T9_mT8_S1C_bDpT10_ENKUlT_T0_E_clISt17integral_constantIbLb0EES1P_EEDaS1K_S1L_EUlS1K_E_NS1_11comp_targetILNS1_3genE4ELNS1_11target_archE910ELNS1_3gpuE8ELNS1_3repE0EEENS1_30default_config_static_selectorELNS0_4arch9wavefront6targetE0EEEvSY_.num_named_barrier, 0
	.set _ZN7rocprim17ROCPRIM_400000_NS6detail17trampoline_kernelINS0_13select_configILj256ELj13ELNS0_17block_load_methodE3ELS4_3ELS4_3ELNS0_20block_scan_algorithmE0ELj4294967295EEENS1_25partition_config_selectorILNS1_17partition_subalgoE3EjNS0_10empty_typeEbEEZZNS1_14partition_implILS8_3ELb0ES6_jNS0_17counting_iteratorIjlEEPS9_SE_NS0_5tupleIJPjSE_EEENSF_IJSE_SE_EEES9_SG_JZNS1_25segmented_radix_sort_implINS0_14default_configELb0EPKbPbPKlPlN2at6native12_GLOBAL__N_18offset_tEEE10hipError_tPvRmT1_PNSt15iterator_traitsISY_E10value_typeET2_T3_PNSZ_IS14_E10value_typeET4_jRbjT5_S1A_jjP12ihipStream_tbEUljE_EEESV_SW_SX_S14_S18_S1A_T6_T7_T9_mT8_S1C_bDpT10_ENKUlT_T0_E_clISt17integral_constantIbLb0EES1P_EEDaS1K_S1L_EUlS1K_E_NS1_11comp_targetILNS1_3genE4ELNS1_11target_archE910ELNS1_3gpuE8ELNS1_3repE0EEENS1_30default_config_static_selectorELNS0_4arch9wavefront6targetE0EEEvSY_.private_seg_size, 0
	.set _ZN7rocprim17ROCPRIM_400000_NS6detail17trampoline_kernelINS0_13select_configILj256ELj13ELNS0_17block_load_methodE3ELS4_3ELS4_3ELNS0_20block_scan_algorithmE0ELj4294967295EEENS1_25partition_config_selectorILNS1_17partition_subalgoE3EjNS0_10empty_typeEbEEZZNS1_14partition_implILS8_3ELb0ES6_jNS0_17counting_iteratorIjlEEPS9_SE_NS0_5tupleIJPjSE_EEENSF_IJSE_SE_EEES9_SG_JZNS1_25segmented_radix_sort_implINS0_14default_configELb0EPKbPbPKlPlN2at6native12_GLOBAL__N_18offset_tEEE10hipError_tPvRmT1_PNSt15iterator_traitsISY_E10value_typeET2_T3_PNSZ_IS14_E10value_typeET4_jRbjT5_S1A_jjP12ihipStream_tbEUljE_EEESV_SW_SX_S14_S18_S1A_T6_T7_T9_mT8_S1C_bDpT10_ENKUlT_T0_E_clISt17integral_constantIbLb0EES1P_EEDaS1K_S1L_EUlS1K_E_NS1_11comp_targetILNS1_3genE4ELNS1_11target_archE910ELNS1_3gpuE8ELNS1_3repE0EEENS1_30default_config_static_selectorELNS0_4arch9wavefront6targetE0EEEvSY_.uses_vcc, 0
	.set _ZN7rocprim17ROCPRIM_400000_NS6detail17trampoline_kernelINS0_13select_configILj256ELj13ELNS0_17block_load_methodE3ELS4_3ELS4_3ELNS0_20block_scan_algorithmE0ELj4294967295EEENS1_25partition_config_selectorILNS1_17partition_subalgoE3EjNS0_10empty_typeEbEEZZNS1_14partition_implILS8_3ELb0ES6_jNS0_17counting_iteratorIjlEEPS9_SE_NS0_5tupleIJPjSE_EEENSF_IJSE_SE_EEES9_SG_JZNS1_25segmented_radix_sort_implINS0_14default_configELb0EPKbPbPKlPlN2at6native12_GLOBAL__N_18offset_tEEE10hipError_tPvRmT1_PNSt15iterator_traitsISY_E10value_typeET2_T3_PNSZ_IS14_E10value_typeET4_jRbjT5_S1A_jjP12ihipStream_tbEUljE_EEESV_SW_SX_S14_S18_S1A_T6_T7_T9_mT8_S1C_bDpT10_ENKUlT_T0_E_clISt17integral_constantIbLb0EES1P_EEDaS1K_S1L_EUlS1K_E_NS1_11comp_targetILNS1_3genE4ELNS1_11target_archE910ELNS1_3gpuE8ELNS1_3repE0EEENS1_30default_config_static_selectorELNS0_4arch9wavefront6targetE0EEEvSY_.uses_flat_scratch, 0
	.set _ZN7rocprim17ROCPRIM_400000_NS6detail17trampoline_kernelINS0_13select_configILj256ELj13ELNS0_17block_load_methodE3ELS4_3ELS4_3ELNS0_20block_scan_algorithmE0ELj4294967295EEENS1_25partition_config_selectorILNS1_17partition_subalgoE3EjNS0_10empty_typeEbEEZZNS1_14partition_implILS8_3ELb0ES6_jNS0_17counting_iteratorIjlEEPS9_SE_NS0_5tupleIJPjSE_EEENSF_IJSE_SE_EEES9_SG_JZNS1_25segmented_radix_sort_implINS0_14default_configELb0EPKbPbPKlPlN2at6native12_GLOBAL__N_18offset_tEEE10hipError_tPvRmT1_PNSt15iterator_traitsISY_E10value_typeET2_T3_PNSZ_IS14_E10value_typeET4_jRbjT5_S1A_jjP12ihipStream_tbEUljE_EEESV_SW_SX_S14_S18_S1A_T6_T7_T9_mT8_S1C_bDpT10_ENKUlT_T0_E_clISt17integral_constantIbLb0EES1P_EEDaS1K_S1L_EUlS1K_E_NS1_11comp_targetILNS1_3genE4ELNS1_11target_archE910ELNS1_3gpuE8ELNS1_3repE0EEENS1_30default_config_static_selectorELNS0_4arch9wavefront6targetE0EEEvSY_.has_dyn_sized_stack, 0
	.set _ZN7rocprim17ROCPRIM_400000_NS6detail17trampoline_kernelINS0_13select_configILj256ELj13ELNS0_17block_load_methodE3ELS4_3ELS4_3ELNS0_20block_scan_algorithmE0ELj4294967295EEENS1_25partition_config_selectorILNS1_17partition_subalgoE3EjNS0_10empty_typeEbEEZZNS1_14partition_implILS8_3ELb0ES6_jNS0_17counting_iteratorIjlEEPS9_SE_NS0_5tupleIJPjSE_EEENSF_IJSE_SE_EEES9_SG_JZNS1_25segmented_radix_sort_implINS0_14default_configELb0EPKbPbPKlPlN2at6native12_GLOBAL__N_18offset_tEEE10hipError_tPvRmT1_PNSt15iterator_traitsISY_E10value_typeET2_T3_PNSZ_IS14_E10value_typeET4_jRbjT5_S1A_jjP12ihipStream_tbEUljE_EEESV_SW_SX_S14_S18_S1A_T6_T7_T9_mT8_S1C_bDpT10_ENKUlT_T0_E_clISt17integral_constantIbLb0EES1P_EEDaS1K_S1L_EUlS1K_E_NS1_11comp_targetILNS1_3genE4ELNS1_11target_archE910ELNS1_3gpuE8ELNS1_3repE0EEENS1_30default_config_static_selectorELNS0_4arch9wavefront6targetE0EEEvSY_.has_recursion, 0
	.set _ZN7rocprim17ROCPRIM_400000_NS6detail17trampoline_kernelINS0_13select_configILj256ELj13ELNS0_17block_load_methodE3ELS4_3ELS4_3ELNS0_20block_scan_algorithmE0ELj4294967295EEENS1_25partition_config_selectorILNS1_17partition_subalgoE3EjNS0_10empty_typeEbEEZZNS1_14partition_implILS8_3ELb0ES6_jNS0_17counting_iteratorIjlEEPS9_SE_NS0_5tupleIJPjSE_EEENSF_IJSE_SE_EEES9_SG_JZNS1_25segmented_radix_sort_implINS0_14default_configELb0EPKbPbPKlPlN2at6native12_GLOBAL__N_18offset_tEEE10hipError_tPvRmT1_PNSt15iterator_traitsISY_E10value_typeET2_T3_PNSZ_IS14_E10value_typeET4_jRbjT5_S1A_jjP12ihipStream_tbEUljE_EEESV_SW_SX_S14_S18_S1A_T6_T7_T9_mT8_S1C_bDpT10_ENKUlT_T0_E_clISt17integral_constantIbLb0EES1P_EEDaS1K_S1L_EUlS1K_E_NS1_11comp_targetILNS1_3genE4ELNS1_11target_archE910ELNS1_3gpuE8ELNS1_3repE0EEENS1_30default_config_static_selectorELNS0_4arch9wavefront6targetE0EEEvSY_.has_indirect_call, 0
	.section	.AMDGPU.csdata,"",@progbits
; Kernel info:
; codeLenInByte = 0
; TotalNumSgprs: 0
; NumVgprs: 0
; ScratchSize: 0
; MemoryBound: 0
; FloatMode: 240
; IeeeMode: 1
; LDSByteSize: 0 bytes/workgroup (compile time only)
; SGPRBlocks: 0
; VGPRBlocks: 0
; NumSGPRsForWavesPerEU: 1
; NumVGPRsForWavesPerEU: 1
; Occupancy: 16
; WaveLimiterHint : 0
; COMPUTE_PGM_RSRC2:SCRATCH_EN: 0
; COMPUTE_PGM_RSRC2:USER_SGPR: 2
; COMPUTE_PGM_RSRC2:TRAP_HANDLER: 0
; COMPUTE_PGM_RSRC2:TGID_X_EN: 1
; COMPUTE_PGM_RSRC2:TGID_Y_EN: 0
; COMPUTE_PGM_RSRC2:TGID_Z_EN: 0
; COMPUTE_PGM_RSRC2:TIDIG_COMP_CNT: 0
	.section	.text._ZN7rocprim17ROCPRIM_400000_NS6detail17trampoline_kernelINS0_13select_configILj256ELj13ELNS0_17block_load_methodE3ELS4_3ELS4_3ELNS0_20block_scan_algorithmE0ELj4294967295EEENS1_25partition_config_selectorILNS1_17partition_subalgoE3EjNS0_10empty_typeEbEEZZNS1_14partition_implILS8_3ELb0ES6_jNS0_17counting_iteratorIjlEEPS9_SE_NS0_5tupleIJPjSE_EEENSF_IJSE_SE_EEES9_SG_JZNS1_25segmented_radix_sort_implINS0_14default_configELb0EPKbPbPKlPlN2at6native12_GLOBAL__N_18offset_tEEE10hipError_tPvRmT1_PNSt15iterator_traitsISY_E10value_typeET2_T3_PNSZ_IS14_E10value_typeET4_jRbjT5_S1A_jjP12ihipStream_tbEUljE_EEESV_SW_SX_S14_S18_S1A_T6_T7_T9_mT8_S1C_bDpT10_ENKUlT_T0_E_clISt17integral_constantIbLb0EES1P_EEDaS1K_S1L_EUlS1K_E_NS1_11comp_targetILNS1_3genE3ELNS1_11target_archE908ELNS1_3gpuE7ELNS1_3repE0EEENS1_30default_config_static_selectorELNS0_4arch9wavefront6targetE0EEEvSY_,"axG",@progbits,_ZN7rocprim17ROCPRIM_400000_NS6detail17trampoline_kernelINS0_13select_configILj256ELj13ELNS0_17block_load_methodE3ELS4_3ELS4_3ELNS0_20block_scan_algorithmE0ELj4294967295EEENS1_25partition_config_selectorILNS1_17partition_subalgoE3EjNS0_10empty_typeEbEEZZNS1_14partition_implILS8_3ELb0ES6_jNS0_17counting_iteratorIjlEEPS9_SE_NS0_5tupleIJPjSE_EEENSF_IJSE_SE_EEES9_SG_JZNS1_25segmented_radix_sort_implINS0_14default_configELb0EPKbPbPKlPlN2at6native12_GLOBAL__N_18offset_tEEE10hipError_tPvRmT1_PNSt15iterator_traitsISY_E10value_typeET2_T3_PNSZ_IS14_E10value_typeET4_jRbjT5_S1A_jjP12ihipStream_tbEUljE_EEESV_SW_SX_S14_S18_S1A_T6_T7_T9_mT8_S1C_bDpT10_ENKUlT_T0_E_clISt17integral_constantIbLb0EES1P_EEDaS1K_S1L_EUlS1K_E_NS1_11comp_targetILNS1_3genE3ELNS1_11target_archE908ELNS1_3gpuE7ELNS1_3repE0EEENS1_30default_config_static_selectorELNS0_4arch9wavefront6targetE0EEEvSY_,comdat
	.globl	_ZN7rocprim17ROCPRIM_400000_NS6detail17trampoline_kernelINS0_13select_configILj256ELj13ELNS0_17block_load_methodE3ELS4_3ELS4_3ELNS0_20block_scan_algorithmE0ELj4294967295EEENS1_25partition_config_selectorILNS1_17partition_subalgoE3EjNS0_10empty_typeEbEEZZNS1_14partition_implILS8_3ELb0ES6_jNS0_17counting_iteratorIjlEEPS9_SE_NS0_5tupleIJPjSE_EEENSF_IJSE_SE_EEES9_SG_JZNS1_25segmented_radix_sort_implINS0_14default_configELb0EPKbPbPKlPlN2at6native12_GLOBAL__N_18offset_tEEE10hipError_tPvRmT1_PNSt15iterator_traitsISY_E10value_typeET2_T3_PNSZ_IS14_E10value_typeET4_jRbjT5_S1A_jjP12ihipStream_tbEUljE_EEESV_SW_SX_S14_S18_S1A_T6_T7_T9_mT8_S1C_bDpT10_ENKUlT_T0_E_clISt17integral_constantIbLb0EES1P_EEDaS1K_S1L_EUlS1K_E_NS1_11comp_targetILNS1_3genE3ELNS1_11target_archE908ELNS1_3gpuE7ELNS1_3repE0EEENS1_30default_config_static_selectorELNS0_4arch9wavefront6targetE0EEEvSY_ ; -- Begin function _ZN7rocprim17ROCPRIM_400000_NS6detail17trampoline_kernelINS0_13select_configILj256ELj13ELNS0_17block_load_methodE3ELS4_3ELS4_3ELNS0_20block_scan_algorithmE0ELj4294967295EEENS1_25partition_config_selectorILNS1_17partition_subalgoE3EjNS0_10empty_typeEbEEZZNS1_14partition_implILS8_3ELb0ES6_jNS0_17counting_iteratorIjlEEPS9_SE_NS0_5tupleIJPjSE_EEENSF_IJSE_SE_EEES9_SG_JZNS1_25segmented_radix_sort_implINS0_14default_configELb0EPKbPbPKlPlN2at6native12_GLOBAL__N_18offset_tEEE10hipError_tPvRmT1_PNSt15iterator_traitsISY_E10value_typeET2_T3_PNSZ_IS14_E10value_typeET4_jRbjT5_S1A_jjP12ihipStream_tbEUljE_EEESV_SW_SX_S14_S18_S1A_T6_T7_T9_mT8_S1C_bDpT10_ENKUlT_T0_E_clISt17integral_constantIbLb0EES1P_EEDaS1K_S1L_EUlS1K_E_NS1_11comp_targetILNS1_3genE3ELNS1_11target_archE908ELNS1_3gpuE7ELNS1_3repE0EEENS1_30default_config_static_selectorELNS0_4arch9wavefront6targetE0EEEvSY_
	.p2align	8
	.type	_ZN7rocprim17ROCPRIM_400000_NS6detail17trampoline_kernelINS0_13select_configILj256ELj13ELNS0_17block_load_methodE3ELS4_3ELS4_3ELNS0_20block_scan_algorithmE0ELj4294967295EEENS1_25partition_config_selectorILNS1_17partition_subalgoE3EjNS0_10empty_typeEbEEZZNS1_14partition_implILS8_3ELb0ES6_jNS0_17counting_iteratorIjlEEPS9_SE_NS0_5tupleIJPjSE_EEENSF_IJSE_SE_EEES9_SG_JZNS1_25segmented_radix_sort_implINS0_14default_configELb0EPKbPbPKlPlN2at6native12_GLOBAL__N_18offset_tEEE10hipError_tPvRmT1_PNSt15iterator_traitsISY_E10value_typeET2_T3_PNSZ_IS14_E10value_typeET4_jRbjT5_S1A_jjP12ihipStream_tbEUljE_EEESV_SW_SX_S14_S18_S1A_T6_T7_T9_mT8_S1C_bDpT10_ENKUlT_T0_E_clISt17integral_constantIbLb0EES1P_EEDaS1K_S1L_EUlS1K_E_NS1_11comp_targetILNS1_3genE3ELNS1_11target_archE908ELNS1_3gpuE7ELNS1_3repE0EEENS1_30default_config_static_selectorELNS0_4arch9wavefront6targetE0EEEvSY_,@function
_ZN7rocprim17ROCPRIM_400000_NS6detail17trampoline_kernelINS0_13select_configILj256ELj13ELNS0_17block_load_methodE3ELS4_3ELS4_3ELNS0_20block_scan_algorithmE0ELj4294967295EEENS1_25partition_config_selectorILNS1_17partition_subalgoE3EjNS0_10empty_typeEbEEZZNS1_14partition_implILS8_3ELb0ES6_jNS0_17counting_iteratorIjlEEPS9_SE_NS0_5tupleIJPjSE_EEENSF_IJSE_SE_EEES9_SG_JZNS1_25segmented_radix_sort_implINS0_14default_configELb0EPKbPbPKlPlN2at6native12_GLOBAL__N_18offset_tEEE10hipError_tPvRmT1_PNSt15iterator_traitsISY_E10value_typeET2_T3_PNSZ_IS14_E10value_typeET4_jRbjT5_S1A_jjP12ihipStream_tbEUljE_EEESV_SW_SX_S14_S18_S1A_T6_T7_T9_mT8_S1C_bDpT10_ENKUlT_T0_E_clISt17integral_constantIbLb0EES1P_EEDaS1K_S1L_EUlS1K_E_NS1_11comp_targetILNS1_3genE3ELNS1_11target_archE908ELNS1_3gpuE7ELNS1_3repE0EEENS1_30default_config_static_selectorELNS0_4arch9wavefront6targetE0EEEvSY_: ; @_ZN7rocprim17ROCPRIM_400000_NS6detail17trampoline_kernelINS0_13select_configILj256ELj13ELNS0_17block_load_methodE3ELS4_3ELS4_3ELNS0_20block_scan_algorithmE0ELj4294967295EEENS1_25partition_config_selectorILNS1_17partition_subalgoE3EjNS0_10empty_typeEbEEZZNS1_14partition_implILS8_3ELb0ES6_jNS0_17counting_iteratorIjlEEPS9_SE_NS0_5tupleIJPjSE_EEENSF_IJSE_SE_EEES9_SG_JZNS1_25segmented_radix_sort_implINS0_14default_configELb0EPKbPbPKlPlN2at6native12_GLOBAL__N_18offset_tEEE10hipError_tPvRmT1_PNSt15iterator_traitsISY_E10value_typeET2_T3_PNSZ_IS14_E10value_typeET4_jRbjT5_S1A_jjP12ihipStream_tbEUljE_EEESV_SW_SX_S14_S18_S1A_T6_T7_T9_mT8_S1C_bDpT10_ENKUlT_T0_E_clISt17integral_constantIbLb0EES1P_EEDaS1K_S1L_EUlS1K_E_NS1_11comp_targetILNS1_3genE3ELNS1_11target_archE908ELNS1_3gpuE7ELNS1_3repE0EEENS1_30default_config_static_selectorELNS0_4arch9wavefront6targetE0EEEvSY_
; %bb.0:
	.section	.rodata,"a",@progbits
	.p2align	6, 0x0
	.amdhsa_kernel _ZN7rocprim17ROCPRIM_400000_NS6detail17trampoline_kernelINS0_13select_configILj256ELj13ELNS0_17block_load_methodE3ELS4_3ELS4_3ELNS0_20block_scan_algorithmE0ELj4294967295EEENS1_25partition_config_selectorILNS1_17partition_subalgoE3EjNS0_10empty_typeEbEEZZNS1_14partition_implILS8_3ELb0ES6_jNS0_17counting_iteratorIjlEEPS9_SE_NS0_5tupleIJPjSE_EEENSF_IJSE_SE_EEES9_SG_JZNS1_25segmented_radix_sort_implINS0_14default_configELb0EPKbPbPKlPlN2at6native12_GLOBAL__N_18offset_tEEE10hipError_tPvRmT1_PNSt15iterator_traitsISY_E10value_typeET2_T3_PNSZ_IS14_E10value_typeET4_jRbjT5_S1A_jjP12ihipStream_tbEUljE_EEESV_SW_SX_S14_S18_S1A_T6_T7_T9_mT8_S1C_bDpT10_ENKUlT_T0_E_clISt17integral_constantIbLb0EES1P_EEDaS1K_S1L_EUlS1K_E_NS1_11comp_targetILNS1_3genE3ELNS1_11target_archE908ELNS1_3gpuE7ELNS1_3repE0EEENS1_30default_config_static_selectorELNS0_4arch9wavefront6targetE0EEEvSY_
		.amdhsa_group_segment_fixed_size 0
		.amdhsa_private_segment_fixed_size 0
		.amdhsa_kernarg_size 144
		.amdhsa_user_sgpr_count 2
		.amdhsa_user_sgpr_dispatch_ptr 0
		.amdhsa_user_sgpr_queue_ptr 0
		.amdhsa_user_sgpr_kernarg_segment_ptr 1
		.amdhsa_user_sgpr_dispatch_id 0
		.amdhsa_user_sgpr_private_segment_size 0
		.amdhsa_wavefront_size32 1
		.amdhsa_uses_dynamic_stack 0
		.amdhsa_enable_private_segment 0
		.amdhsa_system_sgpr_workgroup_id_x 1
		.amdhsa_system_sgpr_workgroup_id_y 0
		.amdhsa_system_sgpr_workgroup_id_z 0
		.amdhsa_system_sgpr_workgroup_info 0
		.amdhsa_system_vgpr_workitem_id 0
		.amdhsa_next_free_vgpr 1
		.amdhsa_next_free_sgpr 1
		.amdhsa_reserve_vcc 0
		.amdhsa_float_round_mode_32 0
		.amdhsa_float_round_mode_16_64 0
		.amdhsa_float_denorm_mode_32 3
		.amdhsa_float_denorm_mode_16_64 3
		.amdhsa_fp16_overflow 0
		.amdhsa_workgroup_processor_mode 1
		.amdhsa_memory_ordered 1
		.amdhsa_forward_progress 1
		.amdhsa_inst_pref_size 0
		.amdhsa_round_robin_scheduling 0
		.amdhsa_exception_fp_ieee_invalid_op 0
		.amdhsa_exception_fp_denorm_src 0
		.amdhsa_exception_fp_ieee_div_zero 0
		.amdhsa_exception_fp_ieee_overflow 0
		.amdhsa_exception_fp_ieee_underflow 0
		.amdhsa_exception_fp_ieee_inexact 0
		.amdhsa_exception_int_div_zero 0
	.end_amdhsa_kernel
	.section	.text._ZN7rocprim17ROCPRIM_400000_NS6detail17trampoline_kernelINS0_13select_configILj256ELj13ELNS0_17block_load_methodE3ELS4_3ELS4_3ELNS0_20block_scan_algorithmE0ELj4294967295EEENS1_25partition_config_selectorILNS1_17partition_subalgoE3EjNS0_10empty_typeEbEEZZNS1_14partition_implILS8_3ELb0ES6_jNS0_17counting_iteratorIjlEEPS9_SE_NS0_5tupleIJPjSE_EEENSF_IJSE_SE_EEES9_SG_JZNS1_25segmented_radix_sort_implINS0_14default_configELb0EPKbPbPKlPlN2at6native12_GLOBAL__N_18offset_tEEE10hipError_tPvRmT1_PNSt15iterator_traitsISY_E10value_typeET2_T3_PNSZ_IS14_E10value_typeET4_jRbjT5_S1A_jjP12ihipStream_tbEUljE_EEESV_SW_SX_S14_S18_S1A_T6_T7_T9_mT8_S1C_bDpT10_ENKUlT_T0_E_clISt17integral_constantIbLb0EES1P_EEDaS1K_S1L_EUlS1K_E_NS1_11comp_targetILNS1_3genE3ELNS1_11target_archE908ELNS1_3gpuE7ELNS1_3repE0EEENS1_30default_config_static_selectorELNS0_4arch9wavefront6targetE0EEEvSY_,"axG",@progbits,_ZN7rocprim17ROCPRIM_400000_NS6detail17trampoline_kernelINS0_13select_configILj256ELj13ELNS0_17block_load_methodE3ELS4_3ELS4_3ELNS0_20block_scan_algorithmE0ELj4294967295EEENS1_25partition_config_selectorILNS1_17partition_subalgoE3EjNS0_10empty_typeEbEEZZNS1_14partition_implILS8_3ELb0ES6_jNS0_17counting_iteratorIjlEEPS9_SE_NS0_5tupleIJPjSE_EEENSF_IJSE_SE_EEES9_SG_JZNS1_25segmented_radix_sort_implINS0_14default_configELb0EPKbPbPKlPlN2at6native12_GLOBAL__N_18offset_tEEE10hipError_tPvRmT1_PNSt15iterator_traitsISY_E10value_typeET2_T3_PNSZ_IS14_E10value_typeET4_jRbjT5_S1A_jjP12ihipStream_tbEUljE_EEESV_SW_SX_S14_S18_S1A_T6_T7_T9_mT8_S1C_bDpT10_ENKUlT_T0_E_clISt17integral_constantIbLb0EES1P_EEDaS1K_S1L_EUlS1K_E_NS1_11comp_targetILNS1_3genE3ELNS1_11target_archE908ELNS1_3gpuE7ELNS1_3repE0EEENS1_30default_config_static_selectorELNS0_4arch9wavefront6targetE0EEEvSY_,comdat
.Lfunc_end1606:
	.size	_ZN7rocprim17ROCPRIM_400000_NS6detail17trampoline_kernelINS0_13select_configILj256ELj13ELNS0_17block_load_methodE3ELS4_3ELS4_3ELNS0_20block_scan_algorithmE0ELj4294967295EEENS1_25partition_config_selectorILNS1_17partition_subalgoE3EjNS0_10empty_typeEbEEZZNS1_14partition_implILS8_3ELb0ES6_jNS0_17counting_iteratorIjlEEPS9_SE_NS0_5tupleIJPjSE_EEENSF_IJSE_SE_EEES9_SG_JZNS1_25segmented_radix_sort_implINS0_14default_configELb0EPKbPbPKlPlN2at6native12_GLOBAL__N_18offset_tEEE10hipError_tPvRmT1_PNSt15iterator_traitsISY_E10value_typeET2_T3_PNSZ_IS14_E10value_typeET4_jRbjT5_S1A_jjP12ihipStream_tbEUljE_EEESV_SW_SX_S14_S18_S1A_T6_T7_T9_mT8_S1C_bDpT10_ENKUlT_T0_E_clISt17integral_constantIbLb0EES1P_EEDaS1K_S1L_EUlS1K_E_NS1_11comp_targetILNS1_3genE3ELNS1_11target_archE908ELNS1_3gpuE7ELNS1_3repE0EEENS1_30default_config_static_selectorELNS0_4arch9wavefront6targetE0EEEvSY_, .Lfunc_end1606-_ZN7rocprim17ROCPRIM_400000_NS6detail17trampoline_kernelINS0_13select_configILj256ELj13ELNS0_17block_load_methodE3ELS4_3ELS4_3ELNS0_20block_scan_algorithmE0ELj4294967295EEENS1_25partition_config_selectorILNS1_17partition_subalgoE3EjNS0_10empty_typeEbEEZZNS1_14partition_implILS8_3ELb0ES6_jNS0_17counting_iteratorIjlEEPS9_SE_NS0_5tupleIJPjSE_EEENSF_IJSE_SE_EEES9_SG_JZNS1_25segmented_radix_sort_implINS0_14default_configELb0EPKbPbPKlPlN2at6native12_GLOBAL__N_18offset_tEEE10hipError_tPvRmT1_PNSt15iterator_traitsISY_E10value_typeET2_T3_PNSZ_IS14_E10value_typeET4_jRbjT5_S1A_jjP12ihipStream_tbEUljE_EEESV_SW_SX_S14_S18_S1A_T6_T7_T9_mT8_S1C_bDpT10_ENKUlT_T0_E_clISt17integral_constantIbLb0EES1P_EEDaS1K_S1L_EUlS1K_E_NS1_11comp_targetILNS1_3genE3ELNS1_11target_archE908ELNS1_3gpuE7ELNS1_3repE0EEENS1_30default_config_static_selectorELNS0_4arch9wavefront6targetE0EEEvSY_
                                        ; -- End function
	.set _ZN7rocprim17ROCPRIM_400000_NS6detail17trampoline_kernelINS0_13select_configILj256ELj13ELNS0_17block_load_methodE3ELS4_3ELS4_3ELNS0_20block_scan_algorithmE0ELj4294967295EEENS1_25partition_config_selectorILNS1_17partition_subalgoE3EjNS0_10empty_typeEbEEZZNS1_14partition_implILS8_3ELb0ES6_jNS0_17counting_iteratorIjlEEPS9_SE_NS0_5tupleIJPjSE_EEENSF_IJSE_SE_EEES9_SG_JZNS1_25segmented_radix_sort_implINS0_14default_configELb0EPKbPbPKlPlN2at6native12_GLOBAL__N_18offset_tEEE10hipError_tPvRmT1_PNSt15iterator_traitsISY_E10value_typeET2_T3_PNSZ_IS14_E10value_typeET4_jRbjT5_S1A_jjP12ihipStream_tbEUljE_EEESV_SW_SX_S14_S18_S1A_T6_T7_T9_mT8_S1C_bDpT10_ENKUlT_T0_E_clISt17integral_constantIbLb0EES1P_EEDaS1K_S1L_EUlS1K_E_NS1_11comp_targetILNS1_3genE3ELNS1_11target_archE908ELNS1_3gpuE7ELNS1_3repE0EEENS1_30default_config_static_selectorELNS0_4arch9wavefront6targetE0EEEvSY_.num_vgpr, 0
	.set _ZN7rocprim17ROCPRIM_400000_NS6detail17trampoline_kernelINS0_13select_configILj256ELj13ELNS0_17block_load_methodE3ELS4_3ELS4_3ELNS0_20block_scan_algorithmE0ELj4294967295EEENS1_25partition_config_selectorILNS1_17partition_subalgoE3EjNS0_10empty_typeEbEEZZNS1_14partition_implILS8_3ELb0ES6_jNS0_17counting_iteratorIjlEEPS9_SE_NS0_5tupleIJPjSE_EEENSF_IJSE_SE_EEES9_SG_JZNS1_25segmented_radix_sort_implINS0_14default_configELb0EPKbPbPKlPlN2at6native12_GLOBAL__N_18offset_tEEE10hipError_tPvRmT1_PNSt15iterator_traitsISY_E10value_typeET2_T3_PNSZ_IS14_E10value_typeET4_jRbjT5_S1A_jjP12ihipStream_tbEUljE_EEESV_SW_SX_S14_S18_S1A_T6_T7_T9_mT8_S1C_bDpT10_ENKUlT_T0_E_clISt17integral_constantIbLb0EES1P_EEDaS1K_S1L_EUlS1K_E_NS1_11comp_targetILNS1_3genE3ELNS1_11target_archE908ELNS1_3gpuE7ELNS1_3repE0EEENS1_30default_config_static_selectorELNS0_4arch9wavefront6targetE0EEEvSY_.num_agpr, 0
	.set _ZN7rocprim17ROCPRIM_400000_NS6detail17trampoline_kernelINS0_13select_configILj256ELj13ELNS0_17block_load_methodE3ELS4_3ELS4_3ELNS0_20block_scan_algorithmE0ELj4294967295EEENS1_25partition_config_selectorILNS1_17partition_subalgoE3EjNS0_10empty_typeEbEEZZNS1_14partition_implILS8_3ELb0ES6_jNS0_17counting_iteratorIjlEEPS9_SE_NS0_5tupleIJPjSE_EEENSF_IJSE_SE_EEES9_SG_JZNS1_25segmented_radix_sort_implINS0_14default_configELb0EPKbPbPKlPlN2at6native12_GLOBAL__N_18offset_tEEE10hipError_tPvRmT1_PNSt15iterator_traitsISY_E10value_typeET2_T3_PNSZ_IS14_E10value_typeET4_jRbjT5_S1A_jjP12ihipStream_tbEUljE_EEESV_SW_SX_S14_S18_S1A_T6_T7_T9_mT8_S1C_bDpT10_ENKUlT_T0_E_clISt17integral_constantIbLb0EES1P_EEDaS1K_S1L_EUlS1K_E_NS1_11comp_targetILNS1_3genE3ELNS1_11target_archE908ELNS1_3gpuE7ELNS1_3repE0EEENS1_30default_config_static_selectorELNS0_4arch9wavefront6targetE0EEEvSY_.numbered_sgpr, 0
	.set _ZN7rocprim17ROCPRIM_400000_NS6detail17trampoline_kernelINS0_13select_configILj256ELj13ELNS0_17block_load_methodE3ELS4_3ELS4_3ELNS0_20block_scan_algorithmE0ELj4294967295EEENS1_25partition_config_selectorILNS1_17partition_subalgoE3EjNS0_10empty_typeEbEEZZNS1_14partition_implILS8_3ELb0ES6_jNS0_17counting_iteratorIjlEEPS9_SE_NS0_5tupleIJPjSE_EEENSF_IJSE_SE_EEES9_SG_JZNS1_25segmented_radix_sort_implINS0_14default_configELb0EPKbPbPKlPlN2at6native12_GLOBAL__N_18offset_tEEE10hipError_tPvRmT1_PNSt15iterator_traitsISY_E10value_typeET2_T3_PNSZ_IS14_E10value_typeET4_jRbjT5_S1A_jjP12ihipStream_tbEUljE_EEESV_SW_SX_S14_S18_S1A_T6_T7_T9_mT8_S1C_bDpT10_ENKUlT_T0_E_clISt17integral_constantIbLb0EES1P_EEDaS1K_S1L_EUlS1K_E_NS1_11comp_targetILNS1_3genE3ELNS1_11target_archE908ELNS1_3gpuE7ELNS1_3repE0EEENS1_30default_config_static_selectorELNS0_4arch9wavefront6targetE0EEEvSY_.num_named_barrier, 0
	.set _ZN7rocprim17ROCPRIM_400000_NS6detail17trampoline_kernelINS0_13select_configILj256ELj13ELNS0_17block_load_methodE3ELS4_3ELS4_3ELNS0_20block_scan_algorithmE0ELj4294967295EEENS1_25partition_config_selectorILNS1_17partition_subalgoE3EjNS0_10empty_typeEbEEZZNS1_14partition_implILS8_3ELb0ES6_jNS0_17counting_iteratorIjlEEPS9_SE_NS0_5tupleIJPjSE_EEENSF_IJSE_SE_EEES9_SG_JZNS1_25segmented_radix_sort_implINS0_14default_configELb0EPKbPbPKlPlN2at6native12_GLOBAL__N_18offset_tEEE10hipError_tPvRmT1_PNSt15iterator_traitsISY_E10value_typeET2_T3_PNSZ_IS14_E10value_typeET4_jRbjT5_S1A_jjP12ihipStream_tbEUljE_EEESV_SW_SX_S14_S18_S1A_T6_T7_T9_mT8_S1C_bDpT10_ENKUlT_T0_E_clISt17integral_constantIbLb0EES1P_EEDaS1K_S1L_EUlS1K_E_NS1_11comp_targetILNS1_3genE3ELNS1_11target_archE908ELNS1_3gpuE7ELNS1_3repE0EEENS1_30default_config_static_selectorELNS0_4arch9wavefront6targetE0EEEvSY_.private_seg_size, 0
	.set _ZN7rocprim17ROCPRIM_400000_NS6detail17trampoline_kernelINS0_13select_configILj256ELj13ELNS0_17block_load_methodE3ELS4_3ELS4_3ELNS0_20block_scan_algorithmE0ELj4294967295EEENS1_25partition_config_selectorILNS1_17partition_subalgoE3EjNS0_10empty_typeEbEEZZNS1_14partition_implILS8_3ELb0ES6_jNS0_17counting_iteratorIjlEEPS9_SE_NS0_5tupleIJPjSE_EEENSF_IJSE_SE_EEES9_SG_JZNS1_25segmented_radix_sort_implINS0_14default_configELb0EPKbPbPKlPlN2at6native12_GLOBAL__N_18offset_tEEE10hipError_tPvRmT1_PNSt15iterator_traitsISY_E10value_typeET2_T3_PNSZ_IS14_E10value_typeET4_jRbjT5_S1A_jjP12ihipStream_tbEUljE_EEESV_SW_SX_S14_S18_S1A_T6_T7_T9_mT8_S1C_bDpT10_ENKUlT_T0_E_clISt17integral_constantIbLb0EES1P_EEDaS1K_S1L_EUlS1K_E_NS1_11comp_targetILNS1_3genE3ELNS1_11target_archE908ELNS1_3gpuE7ELNS1_3repE0EEENS1_30default_config_static_selectorELNS0_4arch9wavefront6targetE0EEEvSY_.uses_vcc, 0
	.set _ZN7rocprim17ROCPRIM_400000_NS6detail17trampoline_kernelINS0_13select_configILj256ELj13ELNS0_17block_load_methodE3ELS4_3ELS4_3ELNS0_20block_scan_algorithmE0ELj4294967295EEENS1_25partition_config_selectorILNS1_17partition_subalgoE3EjNS0_10empty_typeEbEEZZNS1_14partition_implILS8_3ELb0ES6_jNS0_17counting_iteratorIjlEEPS9_SE_NS0_5tupleIJPjSE_EEENSF_IJSE_SE_EEES9_SG_JZNS1_25segmented_radix_sort_implINS0_14default_configELb0EPKbPbPKlPlN2at6native12_GLOBAL__N_18offset_tEEE10hipError_tPvRmT1_PNSt15iterator_traitsISY_E10value_typeET2_T3_PNSZ_IS14_E10value_typeET4_jRbjT5_S1A_jjP12ihipStream_tbEUljE_EEESV_SW_SX_S14_S18_S1A_T6_T7_T9_mT8_S1C_bDpT10_ENKUlT_T0_E_clISt17integral_constantIbLb0EES1P_EEDaS1K_S1L_EUlS1K_E_NS1_11comp_targetILNS1_3genE3ELNS1_11target_archE908ELNS1_3gpuE7ELNS1_3repE0EEENS1_30default_config_static_selectorELNS0_4arch9wavefront6targetE0EEEvSY_.uses_flat_scratch, 0
	.set _ZN7rocprim17ROCPRIM_400000_NS6detail17trampoline_kernelINS0_13select_configILj256ELj13ELNS0_17block_load_methodE3ELS4_3ELS4_3ELNS0_20block_scan_algorithmE0ELj4294967295EEENS1_25partition_config_selectorILNS1_17partition_subalgoE3EjNS0_10empty_typeEbEEZZNS1_14partition_implILS8_3ELb0ES6_jNS0_17counting_iteratorIjlEEPS9_SE_NS0_5tupleIJPjSE_EEENSF_IJSE_SE_EEES9_SG_JZNS1_25segmented_radix_sort_implINS0_14default_configELb0EPKbPbPKlPlN2at6native12_GLOBAL__N_18offset_tEEE10hipError_tPvRmT1_PNSt15iterator_traitsISY_E10value_typeET2_T3_PNSZ_IS14_E10value_typeET4_jRbjT5_S1A_jjP12ihipStream_tbEUljE_EEESV_SW_SX_S14_S18_S1A_T6_T7_T9_mT8_S1C_bDpT10_ENKUlT_T0_E_clISt17integral_constantIbLb0EES1P_EEDaS1K_S1L_EUlS1K_E_NS1_11comp_targetILNS1_3genE3ELNS1_11target_archE908ELNS1_3gpuE7ELNS1_3repE0EEENS1_30default_config_static_selectorELNS0_4arch9wavefront6targetE0EEEvSY_.has_dyn_sized_stack, 0
	.set _ZN7rocprim17ROCPRIM_400000_NS6detail17trampoline_kernelINS0_13select_configILj256ELj13ELNS0_17block_load_methodE3ELS4_3ELS4_3ELNS0_20block_scan_algorithmE0ELj4294967295EEENS1_25partition_config_selectorILNS1_17partition_subalgoE3EjNS0_10empty_typeEbEEZZNS1_14partition_implILS8_3ELb0ES6_jNS0_17counting_iteratorIjlEEPS9_SE_NS0_5tupleIJPjSE_EEENSF_IJSE_SE_EEES9_SG_JZNS1_25segmented_radix_sort_implINS0_14default_configELb0EPKbPbPKlPlN2at6native12_GLOBAL__N_18offset_tEEE10hipError_tPvRmT1_PNSt15iterator_traitsISY_E10value_typeET2_T3_PNSZ_IS14_E10value_typeET4_jRbjT5_S1A_jjP12ihipStream_tbEUljE_EEESV_SW_SX_S14_S18_S1A_T6_T7_T9_mT8_S1C_bDpT10_ENKUlT_T0_E_clISt17integral_constantIbLb0EES1P_EEDaS1K_S1L_EUlS1K_E_NS1_11comp_targetILNS1_3genE3ELNS1_11target_archE908ELNS1_3gpuE7ELNS1_3repE0EEENS1_30default_config_static_selectorELNS0_4arch9wavefront6targetE0EEEvSY_.has_recursion, 0
	.set _ZN7rocprim17ROCPRIM_400000_NS6detail17trampoline_kernelINS0_13select_configILj256ELj13ELNS0_17block_load_methodE3ELS4_3ELS4_3ELNS0_20block_scan_algorithmE0ELj4294967295EEENS1_25partition_config_selectorILNS1_17partition_subalgoE3EjNS0_10empty_typeEbEEZZNS1_14partition_implILS8_3ELb0ES6_jNS0_17counting_iteratorIjlEEPS9_SE_NS0_5tupleIJPjSE_EEENSF_IJSE_SE_EEES9_SG_JZNS1_25segmented_radix_sort_implINS0_14default_configELb0EPKbPbPKlPlN2at6native12_GLOBAL__N_18offset_tEEE10hipError_tPvRmT1_PNSt15iterator_traitsISY_E10value_typeET2_T3_PNSZ_IS14_E10value_typeET4_jRbjT5_S1A_jjP12ihipStream_tbEUljE_EEESV_SW_SX_S14_S18_S1A_T6_T7_T9_mT8_S1C_bDpT10_ENKUlT_T0_E_clISt17integral_constantIbLb0EES1P_EEDaS1K_S1L_EUlS1K_E_NS1_11comp_targetILNS1_3genE3ELNS1_11target_archE908ELNS1_3gpuE7ELNS1_3repE0EEENS1_30default_config_static_selectorELNS0_4arch9wavefront6targetE0EEEvSY_.has_indirect_call, 0
	.section	.AMDGPU.csdata,"",@progbits
; Kernel info:
; codeLenInByte = 0
; TotalNumSgprs: 0
; NumVgprs: 0
; ScratchSize: 0
; MemoryBound: 0
; FloatMode: 240
; IeeeMode: 1
; LDSByteSize: 0 bytes/workgroup (compile time only)
; SGPRBlocks: 0
; VGPRBlocks: 0
; NumSGPRsForWavesPerEU: 1
; NumVGPRsForWavesPerEU: 1
; Occupancy: 16
; WaveLimiterHint : 0
; COMPUTE_PGM_RSRC2:SCRATCH_EN: 0
; COMPUTE_PGM_RSRC2:USER_SGPR: 2
; COMPUTE_PGM_RSRC2:TRAP_HANDLER: 0
; COMPUTE_PGM_RSRC2:TGID_X_EN: 1
; COMPUTE_PGM_RSRC2:TGID_Y_EN: 0
; COMPUTE_PGM_RSRC2:TGID_Z_EN: 0
; COMPUTE_PGM_RSRC2:TIDIG_COMP_CNT: 0
	.section	.text._ZN7rocprim17ROCPRIM_400000_NS6detail17trampoline_kernelINS0_13select_configILj256ELj13ELNS0_17block_load_methodE3ELS4_3ELS4_3ELNS0_20block_scan_algorithmE0ELj4294967295EEENS1_25partition_config_selectorILNS1_17partition_subalgoE3EjNS0_10empty_typeEbEEZZNS1_14partition_implILS8_3ELb0ES6_jNS0_17counting_iteratorIjlEEPS9_SE_NS0_5tupleIJPjSE_EEENSF_IJSE_SE_EEES9_SG_JZNS1_25segmented_radix_sort_implINS0_14default_configELb0EPKbPbPKlPlN2at6native12_GLOBAL__N_18offset_tEEE10hipError_tPvRmT1_PNSt15iterator_traitsISY_E10value_typeET2_T3_PNSZ_IS14_E10value_typeET4_jRbjT5_S1A_jjP12ihipStream_tbEUljE_EEESV_SW_SX_S14_S18_S1A_T6_T7_T9_mT8_S1C_bDpT10_ENKUlT_T0_E_clISt17integral_constantIbLb0EES1P_EEDaS1K_S1L_EUlS1K_E_NS1_11comp_targetILNS1_3genE2ELNS1_11target_archE906ELNS1_3gpuE6ELNS1_3repE0EEENS1_30default_config_static_selectorELNS0_4arch9wavefront6targetE0EEEvSY_,"axG",@progbits,_ZN7rocprim17ROCPRIM_400000_NS6detail17trampoline_kernelINS0_13select_configILj256ELj13ELNS0_17block_load_methodE3ELS4_3ELS4_3ELNS0_20block_scan_algorithmE0ELj4294967295EEENS1_25partition_config_selectorILNS1_17partition_subalgoE3EjNS0_10empty_typeEbEEZZNS1_14partition_implILS8_3ELb0ES6_jNS0_17counting_iteratorIjlEEPS9_SE_NS0_5tupleIJPjSE_EEENSF_IJSE_SE_EEES9_SG_JZNS1_25segmented_radix_sort_implINS0_14default_configELb0EPKbPbPKlPlN2at6native12_GLOBAL__N_18offset_tEEE10hipError_tPvRmT1_PNSt15iterator_traitsISY_E10value_typeET2_T3_PNSZ_IS14_E10value_typeET4_jRbjT5_S1A_jjP12ihipStream_tbEUljE_EEESV_SW_SX_S14_S18_S1A_T6_T7_T9_mT8_S1C_bDpT10_ENKUlT_T0_E_clISt17integral_constantIbLb0EES1P_EEDaS1K_S1L_EUlS1K_E_NS1_11comp_targetILNS1_3genE2ELNS1_11target_archE906ELNS1_3gpuE6ELNS1_3repE0EEENS1_30default_config_static_selectorELNS0_4arch9wavefront6targetE0EEEvSY_,comdat
	.globl	_ZN7rocprim17ROCPRIM_400000_NS6detail17trampoline_kernelINS0_13select_configILj256ELj13ELNS0_17block_load_methodE3ELS4_3ELS4_3ELNS0_20block_scan_algorithmE0ELj4294967295EEENS1_25partition_config_selectorILNS1_17partition_subalgoE3EjNS0_10empty_typeEbEEZZNS1_14partition_implILS8_3ELb0ES6_jNS0_17counting_iteratorIjlEEPS9_SE_NS0_5tupleIJPjSE_EEENSF_IJSE_SE_EEES9_SG_JZNS1_25segmented_radix_sort_implINS0_14default_configELb0EPKbPbPKlPlN2at6native12_GLOBAL__N_18offset_tEEE10hipError_tPvRmT1_PNSt15iterator_traitsISY_E10value_typeET2_T3_PNSZ_IS14_E10value_typeET4_jRbjT5_S1A_jjP12ihipStream_tbEUljE_EEESV_SW_SX_S14_S18_S1A_T6_T7_T9_mT8_S1C_bDpT10_ENKUlT_T0_E_clISt17integral_constantIbLb0EES1P_EEDaS1K_S1L_EUlS1K_E_NS1_11comp_targetILNS1_3genE2ELNS1_11target_archE906ELNS1_3gpuE6ELNS1_3repE0EEENS1_30default_config_static_selectorELNS0_4arch9wavefront6targetE0EEEvSY_ ; -- Begin function _ZN7rocprim17ROCPRIM_400000_NS6detail17trampoline_kernelINS0_13select_configILj256ELj13ELNS0_17block_load_methodE3ELS4_3ELS4_3ELNS0_20block_scan_algorithmE0ELj4294967295EEENS1_25partition_config_selectorILNS1_17partition_subalgoE3EjNS0_10empty_typeEbEEZZNS1_14partition_implILS8_3ELb0ES6_jNS0_17counting_iteratorIjlEEPS9_SE_NS0_5tupleIJPjSE_EEENSF_IJSE_SE_EEES9_SG_JZNS1_25segmented_radix_sort_implINS0_14default_configELb0EPKbPbPKlPlN2at6native12_GLOBAL__N_18offset_tEEE10hipError_tPvRmT1_PNSt15iterator_traitsISY_E10value_typeET2_T3_PNSZ_IS14_E10value_typeET4_jRbjT5_S1A_jjP12ihipStream_tbEUljE_EEESV_SW_SX_S14_S18_S1A_T6_T7_T9_mT8_S1C_bDpT10_ENKUlT_T0_E_clISt17integral_constantIbLb0EES1P_EEDaS1K_S1L_EUlS1K_E_NS1_11comp_targetILNS1_3genE2ELNS1_11target_archE906ELNS1_3gpuE6ELNS1_3repE0EEENS1_30default_config_static_selectorELNS0_4arch9wavefront6targetE0EEEvSY_
	.p2align	8
	.type	_ZN7rocprim17ROCPRIM_400000_NS6detail17trampoline_kernelINS0_13select_configILj256ELj13ELNS0_17block_load_methodE3ELS4_3ELS4_3ELNS0_20block_scan_algorithmE0ELj4294967295EEENS1_25partition_config_selectorILNS1_17partition_subalgoE3EjNS0_10empty_typeEbEEZZNS1_14partition_implILS8_3ELb0ES6_jNS0_17counting_iteratorIjlEEPS9_SE_NS0_5tupleIJPjSE_EEENSF_IJSE_SE_EEES9_SG_JZNS1_25segmented_radix_sort_implINS0_14default_configELb0EPKbPbPKlPlN2at6native12_GLOBAL__N_18offset_tEEE10hipError_tPvRmT1_PNSt15iterator_traitsISY_E10value_typeET2_T3_PNSZ_IS14_E10value_typeET4_jRbjT5_S1A_jjP12ihipStream_tbEUljE_EEESV_SW_SX_S14_S18_S1A_T6_T7_T9_mT8_S1C_bDpT10_ENKUlT_T0_E_clISt17integral_constantIbLb0EES1P_EEDaS1K_S1L_EUlS1K_E_NS1_11comp_targetILNS1_3genE2ELNS1_11target_archE906ELNS1_3gpuE6ELNS1_3repE0EEENS1_30default_config_static_selectorELNS0_4arch9wavefront6targetE0EEEvSY_,@function
_ZN7rocprim17ROCPRIM_400000_NS6detail17trampoline_kernelINS0_13select_configILj256ELj13ELNS0_17block_load_methodE3ELS4_3ELS4_3ELNS0_20block_scan_algorithmE0ELj4294967295EEENS1_25partition_config_selectorILNS1_17partition_subalgoE3EjNS0_10empty_typeEbEEZZNS1_14partition_implILS8_3ELb0ES6_jNS0_17counting_iteratorIjlEEPS9_SE_NS0_5tupleIJPjSE_EEENSF_IJSE_SE_EEES9_SG_JZNS1_25segmented_radix_sort_implINS0_14default_configELb0EPKbPbPKlPlN2at6native12_GLOBAL__N_18offset_tEEE10hipError_tPvRmT1_PNSt15iterator_traitsISY_E10value_typeET2_T3_PNSZ_IS14_E10value_typeET4_jRbjT5_S1A_jjP12ihipStream_tbEUljE_EEESV_SW_SX_S14_S18_S1A_T6_T7_T9_mT8_S1C_bDpT10_ENKUlT_T0_E_clISt17integral_constantIbLb0EES1P_EEDaS1K_S1L_EUlS1K_E_NS1_11comp_targetILNS1_3genE2ELNS1_11target_archE906ELNS1_3gpuE6ELNS1_3repE0EEENS1_30default_config_static_selectorELNS0_4arch9wavefront6targetE0EEEvSY_: ; @_ZN7rocprim17ROCPRIM_400000_NS6detail17trampoline_kernelINS0_13select_configILj256ELj13ELNS0_17block_load_methodE3ELS4_3ELS4_3ELNS0_20block_scan_algorithmE0ELj4294967295EEENS1_25partition_config_selectorILNS1_17partition_subalgoE3EjNS0_10empty_typeEbEEZZNS1_14partition_implILS8_3ELb0ES6_jNS0_17counting_iteratorIjlEEPS9_SE_NS0_5tupleIJPjSE_EEENSF_IJSE_SE_EEES9_SG_JZNS1_25segmented_radix_sort_implINS0_14default_configELb0EPKbPbPKlPlN2at6native12_GLOBAL__N_18offset_tEEE10hipError_tPvRmT1_PNSt15iterator_traitsISY_E10value_typeET2_T3_PNSZ_IS14_E10value_typeET4_jRbjT5_S1A_jjP12ihipStream_tbEUljE_EEESV_SW_SX_S14_S18_S1A_T6_T7_T9_mT8_S1C_bDpT10_ENKUlT_T0_E_clISt17integral_constantIbLb0EES1P_EEDaS1K_S1L_EUlS1K_E_NS1_11comp_targetILNS1_3genE2ELNS1_11target_archE906ELNS1_3gpuE6ELNS1_3repE0EEENS1_30default_config_static_selectorELNS0_4arch9wavefront6targetE0EEEvSY_
; %bb.0:
	.section	.rodata,"a",@progbits
	.p2align	6, 0x0
	.amdhsa_kernel _ZN7rocprim17ROCPRIM_400000_NS6detail17trampoline_kernelINS0_13select_configILj256ELj13ELNS0_17block_load_methodE3ELS4_3ELS4_3ELNS0_20block_scan_algorithmE0ELj4294967295EEENS1_25partition_config_selectorILNS1_17partition_subalgoE3EjNS0_10empty_typeEbEEZZNS1_14partition_implILS8_3ELb0ES6_jNS0_17counting_iteratorIjlEEPS9_SE_NS0_5tupleIJPjSE_EEENSF_IJSE_SE_EEES9_SG_JZNS1_25segmented_radix_sort_implINS0_14default_configELb0EPKbPbPKlPlN2at6native12_GLOBAL__N_18offset_tEEE10hipError_tPvRmT1_PNSt15iterator_traitsISY_E10value_typeET2_T3_PNSZ_IS14_E10value_typeET4_jRbjT5_S1A_jjP12ihipStream_tbEUljE_EEESV_SW_SX_S14_S18_S1A_T6_T7_T9_mT8_S1C_bDpT10_ENKUlT_T0_E_clISt17integral_constantIbLb0EES1P_EEDaS1K_S1L_EUlS1K_E_NS1_11comp_targetILNS1_3genE2ELNS1_11target_archE906ELNS1_3gpuE6ELNS1_3repE0EEENS1_30default_config_static_selectorELNS0_4arch9wavefront6targetE0EEEvSY_
		.amdhsa_group_segment_fixed_size 0
		.amdhsa_private_segment_fixed_size 0
		.amdhsa_kernarg_size 144
		.amdhsa_user_sgpr_count 2
		.amdhsa_user_sgpr_dispatch_ptr 0
		.amdhsa_user_sgpr_queue_ptr 0
		.amdhsa_user_sgpr_kernarg_segment_ptr 1
		.amdhsa_user_sgpr_dispatch_id 0
		.amdhsa_user_sgpr_private_segment_size 0
		.amdhsa_wavefront_size32 1
		.amdhsa_uses_dynamic_stack 0
		.amdhsa_enable_private_segment 0
		.amdhsa_system_sgpr_workgroup_id_x 1
		.amdhsa_system_sgpr_workgroup_id_y 0
		.amdhsa_system_sgpr_workgroup_id_z 0
		.amdhsa_system_sgpr_workgroup_info 0
		.amdhsa_system_vgpr_workitem_id 0
		.amdhsa_next_free_vgpr 1
		.amdhsa_next_free_sgpr 1
		.amdhsa_reserve_vcc 0
		.amdhsa_float_round_mode_32 0
		.amdhsa_float_round_mode_16_64 0
		.amdhsa_float_denorm_mode_32 3
		.amdhsa_float_denorm_mode_16_64 3
		.amdhsa_fp16_overflow 0
		.amdhsa_workgroup_processor_mode 1
		.amdhsa_memory_ordered 1
		.amdhsa_forward_progress 1
		.amdhsa_inst_pref_size 0
		.amdhsa_round_robin_scheduling 0
		.amdhsa_exception_fp_ieee_invalid_op 0
		.amdhsa_exception_fp_denorm_src 0
		.amdhsa_exception_fp_ieee_div_zero 0
		.amdhsa_exception_fp_ieee_overflow 0
		.amdhsa_exception_fp_ieee_underflow 0
		.amdhsa_exception_fp_ieee_inexact 0
		.amdhsa_exception_int_div_zero 0
	.end_amdhsa_kernel
	.section	.text._ZN7rocprim17ROCPRIM_400000_NS6detail17trampoline_kernelINS0_13select_configILj256ELj13ELNS0_17block_load_methodE3ELS4_3ELS4_3ELNS0_20block_scan_algorithmE0ELj4294967295EEENS1_25partition_config_selectorILNS1_17partition_subalgoE3EjNS0_10empty_typeEbEEZZNS1_14partition_implILS8_3ELb0ES6_jNS0_17counting_iteratorIjlEEPS9_SE_NS0_5tupleIJPjSE_EEENSF_IJSE_SE_EEES9_SG_JZNS1_25segmented_radix_sort_implINS0_14default_configELb0EPKbPbPKlPlN2at6native12_GLOBAL__N_18offset_tEEE10hipError_tPvRmT1_PNSt15iterator_traitsISY_E10value_typeET2_T3_PNSZ_IS14_E10value_typeET4_jRbjT5_S1A_jjP12ihipStream_tbEUljE_EEESV_SW_SX_S14_S18_S1A_T6_T7_T9_mT8_S1C_bDpT10_ENKUlT_T0_E_clISt17integral_constantIbLb0EES1P_EEDaS1K_S1L_EUlS1K_E_NS1_11comp_targetILNS1_3genE2ELNS1_11target_archE906ELNS1_3gpuE6ELNS1_3repE0EEENS1_30default_config_static_selectorELNS0_4arch9wavefront6targetE0EEEvSY_,"axG",@progbits,_ZN7rocprim17ROCPRIM_400000_NS6detail17trampoline_kernelINS0_13select_configILj256ELj13ELNS0_17block_load_methodE3ELS4_3ELS4_3ELNS0_20block_scan_algorithmE0ELj4294967295EEENS1_25partition_config_selectorILNS1_17partition_subalgoE3EjNS0_10empty_typeEbEEZZNS1_14partition_implILS8_3ELb0ES6_jNS0_17counting_iteratorIjlEEPS9_SE_NS0_5tupleIJPjSE_EEENSF_IJSE_SE_EEES9_SG_JZNS1_25segmented_radix_sort_implINS0_14default_configELb0EPKbPbPKlPlN2at6native12_GLOBAL__N_18offset_tEEE10hipError_tPvRmT1_PNSt15iterator_traitsISY_E10value_typeET2_T3_PNSZ_IS14_E10value_typeET4_jRbjT5_S1A_jjP12ihipStream_tbEUljE_EEESV_SW_SX_S14_S18_S1A_T6_T7_T9_mT8_S1C_bDpT10_ENKUlT_T0_E_clISt17integral_constantIbLb0EES1P_EEDaS1K_S1L_EUlS1K_E_NS1_11comp_targetILNS1_3genE2ELNS1_11target_archE906ELNS1_3gpuE6ELNS1_3repE0EEENS1_30default_config_static_selectorELNS0_4arch9wavefront6targetE0EEEvSY_,comdat
.Lfunc_end1607:
	.size	_ZN7rocprim17ROCPRIM_400000_NS6detail17trampoline_kernelINS0_13select_configILj256ELj13ELNS0_17block_load_methodE3ELS4_3ELS4_3ELNS0_20block_scan_algorithmE0ELj4294967295EEENS1_25partition_config_selectorILNS1_17partition_subalgoE3EjNS0_10empty_typeEbEEZZNS1_14partition_implILS8_3ELb0ES6_jNS0_17counting_iteratorIjlEEPS9_SE_NS0_5tupleIJPjSE_EEENSF_IJSE_SE_EEES9_SG_JZNS1_25segmented_radix_sort_implINS0_14default_configELb0EPKbPbPKlPlN2at6native12_GLOBAL__N_18offset_tEEE10hipError_tPvRmT1_PNSt15iterator_traitsISY_E10value_typeET2_T3_PNSZ_IS14_E10value_typeET4_jRbjT5_S1A_jjP12ihipStream_tbEUljE_EEESV_SW_SX_S14_S18_S1A_T6_T7_T9_mT8_S1C_bDpT10_ENKUlT_T0_E_clISt17integral_constantIbLb0EES1P_EEDaS1K_S1L_EUlS1K_E_NS1_11comp_targetILNS1_3genE2ELNS1_11target_archE906ELNS1_3gpuE6ELNS1_3repE0EEENS1_30default_config_static_selectorELNS0_4arch9wavefront6targetE0EEEvSY_, .Lfunc_end1607-_ZN7rocprim17ROCPRIM_400000_NS6detail17trampoline_kernelINS0_13select_configILj256ELj13ELNS0_17block_load_methodE3ELS4_3ELS4_3ELNS0_20block_scan_algorithmE0ELj4294967295EEENS1_25partition_config_selectorILNS1_17partition_subalgoE3EjNS0_10empty_typeEbEEZZNS1_14partition_implILS8_3ELb0ES6_jNS0_17counting_iteratorIjlEEPS9_SE_NS0_5tupleIJPjSE_EEENSF_IJSE_SE_EEES9_SG_JZNS1_25segmented_radix_sort_implINS0_14default_configELb0EPKbPbPKlPlN2at6native12_GLOBAL__N_18offset_tEEE10hipError_tPvRmT1_PNSt15iterator_traitsISY_E10value_typeET2_T3_PNSZ_IS14_E10value_typeET4_jRbjT5_S1A_jjP12ihipStream_tbEUljE_EEESV_SW_SX_S14_S18_S1A_T6_T7_T9_mT8_S1C_bDpT10_ENKUlT_T0_E_clISt17integral_constantIbLb0EES1P_EEDaS1K_S1L_EUlS1K_E_NS1_11comp_targetILNS1_3genE2ELNS1_11target_archE906ELNS1_3gpuE6ELNS1_3repE0EEENS1_30default_config_static_selectorELNS0_4arch9wavefront6targetE0EEEvSY_
                                        ; -- End function
	.set _ZN7rocprim17ROCPRIM_400000_NS6detail17trampoline_kernelINS0_13select_configILj256ELj13ELNS0_17block_load_methodE3ELS4_3ELS4_3ELNS0_20block_scan_algorithmE0ELj4294967295EEENS1_25partition_config_selectorILNS1_17partition_subalgoE3EjNS0_10empty_typeEbEEZZNS1_14partition_implILS8_3ELb0ES6_jNS0_17counting_iteratorIjlEEPS9_SE_NS0_5tupleIJPjSE_EEENSF_IJSE_SE_EEES9_SG_JZNS1_25segmented_radix_sort_implINS0_14default_configELb0EPKbPbPKlPlN2at6native12_GLOBAL__N_18offset_tEEE10hipError_tPvRmT1_PNSt15iterator_traitsISY_E10value_typeET2_T3_PNSZ_IS14_E10value_typeET4_jRbjT5_S1A_jjP12ihipStream_tbEUljE_EEESV_SW_SX_S14_S18_S1A_T6_T7_T9_mT8_S1C_bDpT10_ENKUlT_T0_E_clISt17integral_constantIbLb0EES1P_EEDaS1K_S1L_EUlS1K_E_NS1_11comp_targetILNS1_3genE2ELNS1_11target_archE906ELNS1_3gpuE6ELNS1_3repE0EEENS1_30default_config_static_selectorELNS0_4arch9wavefront6targetE0EEEvSY_.num_vgpr, 0
	.set _ZN7rocprim17ROCPRIM_400000_NS6detail17trampoline_kernelINS0_13select_configILj256ELj13ELNS0_17block_load_methodE3ELS4_3ELS4_3ELNS0_20block_scan_algorithmE0ELj4294967295EEENS1_25partition_config_selectorILNS1_17partition_subalgoE3EjNS0_10empty_typeEbEEZZNS1_14partition_implILS8_3ELb0ES6_jNS0_17counting_iteratorIjlEEPS9_SE_NS0_5tupleIJPjSE_EEENSF_IJSE_SE_EEES9_SG_JZNS1_25segmented_radix_sort_implINS0_14default_configELb0EPKbPbPKlPlN2at6native12_GLOBAL__N_18offset_tEEE10hipError_tPvRmT1_PNSt15iterator_traitsISY_E10value_typeET2_T3_PNSZ_IS14_E10value_typeET4_jRbjT5_S1A_jjP12ihipStream_tbEUljE_EEESV_SW_SX_S14_S18_S1A_T6_T7_T9_mT8_S1C_bDpT10_ENKUlT_T0_E_clISt17integral_constantIbLb0EES1P_EEDaS1K_S1L_EUlS1K_E_NS1_11comp_targetILNS1_3genE2ELNS1_11target_archE906ELNS1_3gpuE6ELNS1_3repE0EEENS1_30default_config_static_selectorELNS0_4arch9wavefront6targetE0EEEvSY_.num_agpr, 0
	.set _ZN7rocprim17ROCPRIM_400000_NS6detail17trampoline_kernelINS0_13select_configILj256ELj13ELNS0_17block_load_methodE3ELS4_3ELS4_3ELNS0_20block_scan_algorithmE0ELj4294967295EEENS1_25partition_config_selectorILNS1_17partition_subalgoE3EjNS0_10empty_typeEbEEZZNS1_14partition_implILS8_3ELb0ES6_jNS0_17counting_iteratorIjlEEPS9_SE_NS0_5tupleIJPjSE_EEENSF_IJSE_SE_EEES9_SG_JZNS1_25segmented_radix_sort_implINS0_14default_configELb0EPKbPbPKlPlN2at6native12_GLOBAL__N_18offset_tEEE10hipError_tPvRmT1_PNSt15iterator_traitsISY_E10value_typeET2_T3_PNSZ_IS14_E10value_typeET4_jRbjT5_S1A_jjP12ihipStream_tbEUljE_EEESV_SW_SX_S14_S18_S1A_T6_T7_T9_mT8_S1C_bDpT10_ENKUlT_T0_E_clISt17integral_constantIbLb0EES1P_EEDaS1K_S1L_EUlS1K_E_NS1_11comp_targetILNS1_3genE2ELNS1_11target_archE906ELNS1_3gpuE6ELNS1_3repE0EEENS1_30default_config_static_selectorELNS0_4arch9wavefront6targetE0EEEvSY_.numbered_sgpr, 0
	.set _ZN7rocprim17ROCPRIM_400000_NS6detail17trampoline_kernelINS0_13select_configILj256ELj13ELNS0_17block_load_methodE3ELS4_3ELS4_3ELNS0_20block_scan_algorithmE0ELj4294967295EEENS1_25partition_config_selectorILNS1_17partition_subalgoE3EjNS0_10empty_typeEbEEZZNS1_14partition_implILS8_3ELb0ES6_jNS0_17counting_iteratorIjlEEPS9_SE_NS0_5tupleIJPjSE_EEENSF_IJSE_SE_EEES9_SG_JZNS1_25segmented_radix_sort_implINS0_14default_configELb0EPKbPbPKlPlN2at6native12_GLOBAL__N_18offset_tEEE10hipError_tPvRmT1_PNSt15iterator_traitsISY_E10value_typeET2_T3_PNSZ_IS14_E10value_typeET4_jRbjT5_S1A_jjP12ihipStream_tbEUljE_EEESV_SW_SX_S14_S18_S1A_T6_T7_T9_mT8_S1C_bDpT10_ENKUlT_T0_E_clISt17integral_constantIbLb0EES1P_EEDaS1K_S1L_EUlS1K_E_NS1_11comp_targetILNS1_3genE2ELNS1_11target_archE906ELNS1_3gpuE6ELNS1_3repE0EEENS1_30default_config_static_selectorELNS0_4arch9wavefront6targetE0EEEvSY_.num_named_barrier, 0
	.set _ZN7rocprim17ROCPRIM_400000_NS6detail17trampoline_kernelINS0_13select_configILj256ELj13ELNS0_17block_load_methodE3ELS4_3ELS4_3ELNS0_20block_scan_algorithmE0ELj4294967295EEENS1_25partition_config_selectorILNS1_17partition_subalgoE3EjNS0_10empty_typeEbEEZZNS1_14partition_implILS8_3ELb0ES6_jNS0_17counting_iteratorIjlEEPS9_SE_NS0_5tupleIJPjSE_EEENSF_IJSE_SE_EEES9_SG_JZNS1_25segmented_radix_sort_implINS0_14default_configELb0EPKbPbPKlPlN2at6native12_GLOBAL__N_18offset_tEEE10hipError_tPvRmT1_PNSt15iterator_traitsISY_E10value_typeET2_T3_PNSZ_IS14_E10value_typeET4_jRbjT5_S1A_jjP12ihipStream_tbEUljE_EEESV_SW_SX_S14_S18_S1A_T6_T7_T9_mT8_S1C_bDpT10_ENKUlT_T0_E_clISt17integral_constantIbLb0EES1P_EEDaS1K_S1L_EUlS1K_E_NS1_11comp_targetILNS1_3genE2ELNS1_11target_archE906ELNS1_3gpuE6ELNS1_3repE0EEENS1_30default_config_static_selectorELNS0_4arch9wavefront6targetE0EEEvSY_.private_seg_size, 0
	.set _ZN7rocprim17ROCPRIM_400000_NS6detail17trampoline_kernelINS0_13select_configILj256ELj13ELNS0_17block_load_methodE3ELS4_3ELS4_3ELNS0_20block_scan_algorithmE0ELj4294967295EEENS1_25partition_config_selectorILNS1_17partition_subalgoE3EjNS0_10empty_typeEbEEZZNS1_14partition_implILS8_3ELb0ES6_jNS0_17counting_iteratorIjlEEPS9_SE_NS0_5tupleIJPjSE_EEENSF_IJSE_SE_EEES9_SG_JZNS1_25segmented_radix_sort_implINS0_14default_configELb0EPKbPbPKlPlN2at6native12_GLOBAL__N_18offset_tEEE10hipError_tPvRmT1_PNSt15iterator_traitsISY_E10value_typeET2_T3_PNSZ_IS14_E10value_typeET4_jRbjT5_S1A_jjP12ihipStream_tbEUljE_EEESV_SW_SX_S14_S18_S1A_T6_T7_T9_mT8_S1C_bDpT10_ENKUlT_T0_E_clISt17integral_constantIbLb0EES1P_EEDaS1K_S1L_EUlS1K_E_NS1_11comp_targetILNS1_3genE2ELNS1_11target_archE906ELNS1_3gpuE6ELNS1_3repE0EEENS1_30default_config_static_selectorELNS0_4arch9wavefront6targetE0EEEvSY_.uses_vcc, 0
	.set _ZN7rocprim17ROCPRIM_400000_NS6detail17trampoline_kernelINS0_13select_configILj256ELj13ELNS0_17block_load_methodE3ELS4_3ELS4_3ELNS0_20block_scan_algorithmE0ELj4294967295EEENS1_25partition_config_selectorILNS1_17partition_subalgoE3EjNS0_10empty_typeEbEEZZNS1_14partition_implILS8_3ELb0ES6_jNS0_17counting_iteratorIjlEEPS9_SE_NS0_5tupleIJPjSE_EEENSF_IJSE_SE_EEES9_SG_JZNS1_25segmented_radix_sort_implINS0_14default_configELb0EPKbPbPKlPlN2at6native12_GLOBAL__N_18offset_tEEE10hipError_tPvRmT1_PNSt15iterator_traitsISY_E10value_typeET2_T3_PNSZ_IS14_E10value_typeET4_jRbjT5_S1A_jjP12ihipStream_tbEUljE_EEESV_SW_SX_S14_S18_S1A_T6_T7_T9_mT8_S1C_bDpT10_ENKUlT_T0_E_clISt17integral_constantIbLb0EES1P_EEDaS1K_S1L_EUlS1K_E_NS1_11comp_targetILNS1_3genE2ELNS1_11target_archE906ELNS1_3gpuE6ELNS1_3repE0EEENS1_30default_config_static_selectorELNS0_4arch9wavefront6targetE0EEEvSY_.uses_flat_scratch, 0
	.set _ZN7rocprim17ROCPRIM_400000_NS6detail17trampoline_kernelINS0_13select_configILj256ELj13ELNS0_17block_load_methodE3ELS4_3ELS4_3ELNS0_20block_scan_algorithmE0ELj4294967295EEENS1_25partition_config_selectorILNS1_17partition_subalgoE3EjNS0_10empty_typeEbEEZZNS1_14partition_implILS8_3ELb0ES6_jNS0_17counting_iteratorIjlEEPS9_SE_NS0_5tupleIJPjSE_EEENSF_IJSE_SE_EEES9_SG_JZNS1_25segmented_radix_sort_implINS0_14default_configELb0EPKbPbPKlPlN2at6native12_GLOBAL__N_18offset_tEEE10hipError_tPvRmT1_PNSt15iterator_traitsISY_E10value_typeET2_T3_PNSZ_IS14_E10value_typeET4_jRbjT5_S1A_jjP12ihipStream_tbEUljE_EEESV_SW_SX_S14_S18_S1A_T6_T7_T9_mT8_S1C_bDpT10_ENKUlT_T0_E_clISt17integral_constantIbLb0EES1P_EEDaS1K_S1L_EUlS1K_E_NS1_11comp_targetILNS1_3genE2ELNS1_11target_archE906ELNS1_3gpuE6ELNS1_3repE0EEENS1_30default_config_static_selectorELNS0_4arch9wavefront6targetE0EEEvSY_.has_dyn_sized_stack, 0
	.set _ZN7rocprim17ROCPRIM_400000_NS6detail17trampoline_kernelINS0_13select_configILj256ELj13ELNS0_17block_load_methodE3ELS4_3ELS4_3ELNS0_20block_scan_algorithmE0ELj4294967295EEENS1_25partition_config_selectorILNS1_17partition_subalgoE3EjNS0_10empty_typeEbEEZZNS1_14partition_implILS8_3ELb0ES6_jNS0_17counting_iteratorIjlEEPS9_SE_NS0_5tupleIJPjSE_EEENSF_IJSE_SE_EEES9_SG_JZNS1_25segmented_radix_sort_implINS0_14default_configELb0EPKbPbPKlPlN2at6native12_GLOBAL__N_18offset_tEEE10hipError_tPvRmT1_PNSt15iterator_traitsISY_E10value_typeET2_T3_PNSZ_IS14_E10value_typeET4_jRbjT5_S1A_jjP12ihipStream_tbEUljE_EEESV_SW_SX_S14_S18_S1A_T6_T7_T9_mT8_S1C_bDpT10_ENKUlT_T0_E_clISt17integral_constantIbLb0EES1P_EEDaS1K_S1L_EUlS1K_E_NS1_11comp_targetILNS1_3genE2ELNS1_11target_archE906ELNS1_3gpuE6ELNS1_3repE0EEENS1_30default_config_static_selectorELNS0_4arch9wavefront6targetE0EEEvSY_.has_recursion, 0
	.set _ZN7rocprim17ROCPRIM_400000_NS6detail17trampoline_kernelINS0_13select_configILj256ELj13ELNS0_17block_load_methodE3ELS4_3ELS4_3ELNS0_20block_scan_algorithmE0ELj4294967295EEENS1_25partition_config_selectorILNS1_17partition_subalgoE3EjNS0_10empty_typeEbEEZZNS1_14partition_implILS8_3ELb0ES6_jNS0_17counting_iteratorIjlEEPS9_SE_NS0_5tupleIJPjSE_EEENSF_IJSE_SE_EEES9_SG_JZNS1_25segmented_radix_sort_implINS0_14default_configELb0EPKbPbPKlPlN2at6native12_GLOBAL__N_18offset_tEEE10hipError_tPvRmT1_PNSt15iterator_traitsISY_E10value_typeET2_T3_PNSZ_IS14_E10value_typeET4_jRbjT5_S1A_jjP12ihipStream_tbEUljE_EEESV_SW_SX_S14_S18_S1A_T6_T7_T9_mT8_S1C_bDpT10_ENKUlT_T0_E_clISt17integral_constantIbLb0EES1P_EEDaS1K_S1L_EUlS1K_E_NS1_11comp_targetILNS1_3genE2ELNS1_11target_archE906ELNS1_3gpuE6ELNS1_3repE0EEENS1_30default_config_static_selectorELNS0_4arch9wavefront6targetE0EEEvSY_.has_indirect_call, 0
	.section	.AMDGPU.csdata,"",@progbits
; Kernel info:
; codeLenInByte = 0
; TotalNumSgprs: 0
; NumVgprs: 0
; ScratchSize: 0
; MemoryBound: 0
; FloatMode: 240
; IeeeMode: 1
; LDSByteSize: 0 bytes/workgroup (compile time only)
; SGPRBlocks: 0
; VGPRBlocks: 0
; NumSGPRsForWavesPerEU: 1
; NumVGPRsForWavesPerEU: 1
; Occupancy: 16
; WaveLimiterHint : 0
; COMPUTE_PGM_RSRC2:SCRATCH_EN: 0
; COMPUTE_PGM_RSRC2:USER_SGPR: 2
; COMPUTE_PGM_RSRC2:TRAP_HANDLER: 0
; COMPUTE_PGM_RSRC2:TGID_X_EN: 1
; COMPUTE_PGM_RSRC2:TGID_Y_EN: 0
; COMPUTE_PGM_RSRC2:TGID_Z_EN: 0
; COMPUTE_PGM_RSRC2:TIDIG_COMP_CNT: 0
	.section	.text._ZN7rocprim17ROCPRIM_400000_NS6detail17trampoline_kernelINS0_13select_configILj256ELj13ELNS0_17block_load_methodE3ELS4_3ELS4_3ELNS0_20block_scan_algorithmE0ELj4294967295EEENS1_25partition_config_selectorILNS1_17partition_subalgoE3EjNS0_10empty_typeEbEEZZNS1_14partition_implILS8_3ELb0ES6_jNS0_17counting_iteratorIjlEEPS9_SE_NS0_5tupleIJPjSE_EEENSF_IJSE_SE_EEES9_SG_JZNS1_25segmented_radix_sort_implINS0_14default_configELb0EPKbPbPKlPlN2at6native12_GLOBAL__N_18offset_tEEE10hipError_tPvRmT1_PNSt15iterator_traitsISY_E10value_typeET2_T3_PNSZ_IS14_E10value_typeET4_jRbjT5_S1A_jjP12ihipStream_tbEUljE_EEESV_SW_SX_S14_S18_S1A_T6_T7_T9_mT8_S1C_bDpT10_ENKUlT_T0_E_clISt17integral_constantIbLb0EES1P_EEDaS1K_S1L_EUlS1K_E_NS1_11comp_targetILNS1_3genE10ELNS1_11target_archE1200ELNS1_3gpuE4ELNS1_3repE0EEENS1_30default_config_static_selectorELNS0_4arch9wavefront6targetE0EEEvSY_,"axG",@progbits,_ZN7rocprim17ROCPRIM_400000_NS6detail17trampoline_kernelINS0_13select_configILj256ELj13ELNS0_17block_load_methodE3ELS4_3ELS4_3ELNS0_20block_scan_algorithmE0ELj4294967295EEENS1_25partition_config_selectorILNS1_17partition_subalgoE3EjNS0_10empty_typeEbEEZZNS1_14partition_implILS8_3ELb0ES6_jNS0_17counting_iteratorIjlEEPS9_SE_NS0_5tupleIJPjSE_EEENSF_IJSE_SE_EEES9_SG_JZNS1_25segmented_radix_sort_implINS0_14default_configELb0EPKbPbPKlPlN2at6native12_GLOBAL__N_18offset_tEEE10hipError_tPvRmT1_PNSt15iterator_traitsISY_E10value_typeET2_T3_PNSZ_IS14_E10value_typeET4_jRbjT5_S1A_jjP12ihipStream_tbEUljE_EEESV_SW_SX_S14_S18_S1A_T6_T7_T9_mT8_S1C_bDpT10_ENKUlT_T0_E_clISt17integral_constantIbLb0EES1P_EEDaS1K_S1L_EUlS1K_E_NS1_11comp_targetILNS1_3genE10ELNS1_11target_archE1200ELNS1_3gpuE4ELNS1_3repE0EEENS1_30default_config_static_selectorELNS0_4arch9wavefront6targetE0EEEvSY_,comdat
	.globl	_ZN7rocprim17ROCPRIM_400000_NS6detail17trampoline_kernelINS0_13select_configILj256ELj13ELNS0_17block_load_methodE3ELS4_3ELS4_3ELNS0_20block_scan_algorithmE0ELj4294967295EEENS1_25partition_config_selectorILNS1_17partition_subalgoE3EjNS0_10empty_typeEbEEZZNS1_14partition_implILS8_3ELb0ES6_jNS0_17counting_iteratorIjlEEPS9_SE_NS0_5tupleIJPjSE_EEENSF_IJSE_SE_EEES9_SG_JZNS1_25segmented_radix_sort_implINS0_14default_configELb0EPKbPbPKlPlN2at6native12_GLOBAL__N_18offset_tEEE10hipError_tPvRmT1_PNSt15iterator_traitsISY_E10value_typeET2_T3_PNSZ_IS14_E10value_typeET4_jRbjT5_S1A_jjP12ihipStream_tbEUljE_EEESV_SW_SX_S14_S18_S1A_T6_T7_T9_mT8_S1C_bDpT10_ENKUlT_T0_E_clISt17integral_constantIbLb0EES1P_EEDaS1K_S1L_EUlS1K_E_NS1_11comp_targetILNS1_3genE10ELNS1_11target_archE1200ELNS1_3gpuE4ELNS1_3repE0EEENS1_30default_config_static_selectorELNS0_4arch9wavefront6targetE0EEEvSY_ ; -- Begin function _ZN7rocprim17ROCPRIM_400000_NS6detail17trampoline_kernelINS0_13select_configILj256ELj13ELNS0_17block_load_methodE3ELS4_3ELS4_3ELNS0_20block_scan_algorithmE0ELj4294967295EEENS1_25partition_config_selectorILNS1_17partition_subalgoE3EjNS0_10empty_typeEbEEZZNS1_14partition_implILS8_3ELb0ES6_jNS0_17counting_iteratorIjlEEPS9_SE_NS0_5tupleIJPjSE_EEENSF_IJSE_SE_EEES9_SG_JZNS1_25segmented_radix_sort_implINS0_14default_configELb0EPKbPbPKlPlN2at6native12_GLOBAL__N_18offset_tEEE10hipError_tPvRmT1_PNSt15iterator_traitsISY_E10value_typeET2_T3_PNSZ_IS14_E10value_typeET4_jRbjT5_S1A_jjP12ihipStream_tbEUljE_EEESV_SW_SX_S14_S18_S1A_T6_T7_T9_mT8_S1C_bDpT10_ENKUlT_T0_E_clISt17integral_constantIbLb0EES1P_EEDaS1K_S1L_EUlS1K_E_NS1_11comp_targetILNS1_3genE10ELNS1_11target_archE1200ELNS1_3gpuE4ELNS1_3repE0EEENS1_30default_config_static_selectorELNS0_4arch9wavefront6targetE0EEEvSY_
	.p2align	8
	.type	_ZN7rocprim17ROCPRIM_400000_NS6detail17trampoline_kernelINS0_13select_configILj256ELj13ELNS0_17block_load_methodE3ELS4_3ELS4_3ELNS0_20block_scan_algorithmE0ELj4294967295EEENS1_25partition_config_selectorILNS1_17partition_subalgoE3EjNS0_10empty_typeEbEEZZNS1_14partition_implILS8_3ELb0ES6_jNS0_17counting_iteratorIjlEEPS9_SE_NS0_5tupleIJPjSE_EEENSF_IJSE_SE_EEES9_SG_JZNS1_25segmented_radix_sort_implINS0_14default_configELb0EPKbPbPKlPlN2at6native12_GLOBAL__N_18offset_tEEE10hipError_tPvRmT1_PNSt15iterator_traitsISY_E10value_typeET2_T3_PNSZ_IS14_E10value_typeET4_jRbjT5_S1A_jjP12ihipStream_tbEUljE_EEESV_SW_SX_S14_S18_S1A_T6_T7_T9_mT8_S1C_bDpT10_ENKUlT_T0_E_clISt17integral_constantIbLb0EES1P_EEDaS1K_S1L_EUlS1K_E_NS1_11comp_targetILNS1_3genE10ELNS1_11target_archE1200ELNS1_3gpuE4ELNS1_3repE0EEENS1_30default_config_static_selectorELNS0_4arch9wavefront6targetE0EEEvSY_,@function
_ZN7rocprim17ROCPRIM_400000_NS6detail17trampoline_kernelINS0_13select_configILj256ELj13ELNS0_17block_load_methodE3ELS4_3ELS4_3ELNS0_20block_scan_algorithmE0ELj4294967295EEENS1_25partition_config_selectorILNS1_17partition_subalgoE3EjNS0_10empty_typeEbEEZZNS1_14partition_implILS8_3ELb0ES6_jNS0_17counting_iteratorIjlEEPS9_SE_NS0_5tupleIJPjSE_EEENSF_IJSE_SE_EEES9_SG_JZNS1_25segmented_radix_sort_implINS0_14default_configELb0EPKbPbPKlPlN2at6native12_GLOBAL__N_18offset_tEEE10hipError_tPvRmT1_PNSt15iterator_traitsISY_E10value_typeET2_T3_PNSZ_IS14_E10value_typeET4_jRbjT5_S1A_jjP12ihipStream_tbEUljE_EEESV_SW_SX_S14_S18_S1A_T6_T7_T9_mT8_S1C_bDpT10_ENKUlT_T0_E_clISt17integral_constantIbLb0EES1P_EEDaS1K_S1L_EUlS1K_E_NS1_11comp_targetILNS1_3genE10ELNS1_11target_archE1200ELNS1_3gpuE4ELNS1_3repE0EEENS1_30default_config_static_selectorELNS0_4arch9wavefront6targetE0EEEvSY_: ; @_ZN7rocprim17ROCPRIM_400000_NS6detail17trampoline_kernelINS0_13select_configILj256ELj13ELNS0_17block_load_methodE3ELS4_3ELS4_3ELNS0_20block_scan_algorithmE0ELj4294967295EEENS1_25partition_config_selectorILNS1_17partition_subalgoE3EjNS0_10empty_typeEbEEZZNS1_14partition_implILS8_3ELb0ES6_jNS0_17counting_iteratorIjlEEPS9_SE_NS0_5tupleIJPjSE_EEENSF_IJSE_SE_EEES9_SG_JZNS1_25segmented_radix_sort_implINS0_14default_configELb0EPKbPbPKlPlN2at6native12_GLOBAL__N_18offset_tEEE10hipError_tPvRmT1_PNSt15iterator_traitsISY_E10value_typeET2_T3_PNSZ_IS14_E10value_typeET4_jRbjT5_S1A_jjP12ihipStream_tbEUljE_EEESV_SW_SX_S14_S18_S1A_T6_T7_T9_mT8_S1C_bDpT10_ENKUlT_T0_E_clISt17integral_constantIbLb0EES1P_EEDaS1K_S1L_EUlS1K_E_NS1_11comp_targetILNS1_3genE10ELNS1_11target_archE1200ELNS1_3gpuE4ELNS1_3repE0EEENS1_30default_config_static_selectorELNS0_4arch9wavefront6targetE0EEEvSY_
; %bb.0:
	s_clause 0x6
	s_load_b32 s2, s[0:1], 0x70
	s_load_b128 s[8:11], s[0:1], 0x48
	s_load_b64 s[12:13], s[0:1], 0x10
	s_load_b64 s[14:15], s[0:1], 0x58
	s_load_b32 s20, s[0:1], 0x8
	s_load_b32 s3, s[0:1], 0x88
	s_load_b128 s[4:7], s[0:1], 0x78
	s_mov_b32 s17, 0
	v_lshlrev_b32_e32 v42, 2, v0
	s_wait_kmcnt 0x0
	s_mul_i32 s16, s2, 0xd00
	s_load_b64 s[18:19], s[10:11], 0x0
	s_add_co_i32 s10, s16, s12
	s_add_co_i32 s2, s2, -1
	s_sub_co_i32 s23, s14, s10
	s_add_nc_u64 s[10:11], s[12:13], s[16:17]
	s_addk_co_i32 s23, 0xd00
	s_cmp_eq_u32 ttmp9, s2
	s_mul_i32 s16, ttmp9, 0xd00
	s_cselect_b32 s22, -1, 0
	s_cmp_lg_u32 ttmp9, s2
	v_cmp_gt_u64_e64 s10, s[14:15], s[10:11]
	s_cselect_b32 s2, -1, 0
	s_add_co_i32 s11, s20, s16
	s_mov_b32 s17, -1
	s_wait_alu 0xfffe
	s_add_co_i32 s11, s11, s12
	s_wait_alu 0xfffe
	v_add_nc_u32_e32 v1, s11, v0
	s_or_b32 s10, s2, s10
	s_wait_alu 0xfffe
	s_and_b32 vcc_lo, exec_lo, s10
	s_cbranch_vccz .LBB1608_2
; %bb.1:
	v_add_nc_u32_e32 v2, 0x100, v1
	v_add_nc_u32_e32 v3, 0x200, v1
	;; [unrolled: 1-line block ×12, first 2 shown]
	ds_store_2addr_stride64_b32 v42, v1, v2 offset1:4
	ds_store_2addr_stride64_b32 v42, v3, v4 offset0:8 offset1:12
	ds_store_2addr_stride64_b32 v42, v5, v6 offset0:16 offset1:20
	;; [unrolled: 1-line block ×5, first 2 shown]
	ds_store_b32 v42, v13 offset:12288
	s_wait_dscnt 0x0
	s_barrier_signal -1
	s_mov_b32 s17, 0
	s_barrier_wait -1
.LBB1608_2:
	v_cmp_gt_u32_e64 s2, s23, v0
	v_or_b32_e32 v41, 0x100, v0
	v_or_b32_e32 v40, 0x200, v0
	;; [unrolled: 1-line block ×12, first 2 shown]
	s_and_not1_b32 vcc_lo, exec_lo, s17
	s_cbranch_vccnz .LBB1608_4
; %bb.3:
	v_cmp_gt_u32_e32 vcc_lo, s23, v41
	v_add_nc_u32_e32 v3, s11, v40
	v_add_nc_u32_e32 v2, s11, v41
	v_cndmask_b32_e64 v1, 0, v1, s2
	s_delay_alu instid0(VALU_DEP_2)
	v_cndmask_b32_e32 v2, 0, v2, vcc_lo
	v_cmp_gt_u32_e32 vcc_lo, s23, v40
	s_wait_alu 0xfffd
	v_cndmask_b32_e32 v3, 0, v3, vcc_lo
	v_cmp_gt_u32_e32 vcc_lo, s23, v39
	v_add_nc_u32_e32 v5, s11, v38
	v_add_nc_u32_e32 v4, s11, v39
	s_wait_alu 0xfffd
	s_delay_alu instid0(VALU_DEP_1)
	v_cndmask_b32_e32 v4, 0, v4, vcc_lo
	v_cmp_gt_u32_e32 vcc_lo, s23, v38
	s_wait_alu 0xfffd
	v_cndmask_b32_e32 v5, 0, v5, vcc_lo
	v_cmp_gt_u32_e32 vcc_lo, s23, v37
	v_add_nc_u32_e32 v7, s11, v36
	v_add_nc_u32_e32 v6, s11, v37
	s_wait_alu 0xfffd
	s_delay_alu instid0(VALU_DEP_1)
	;; [unrolled: 9-line block ×5, first 2 shown]
	v_cndmask_b32_e32 v12, 0, v12, vcc_lo
	v_cmp_gt_u32_e32 vcc_lo, s23, v30
	s_wait_alu 0xfffd
	v_cndmask_b32_e32 v13, 0, v13, vcc_lo
	ds_store_2addr_stride64_b32 v42, v1, v2 offset1:4
	ds_store_2addr_stride64_b32 v42, v3, v4 offset0:8 offset1:12
	ds_store_2addr_stride64_b32 v42, v5, v6 offset0:16 offset1:20
	;; [unrolled: 1-line block ×5, first 2 shown]
	ds_store_b32 v42, v13 offset:12288
	s_wait_dscnt 0x0
	s_barrier_signal -1
	s_barrier_wait -1
.LBB1608_4:
	v_mul_u32_u24_e32 v45, 13, v0
	global_inv scope:SCOPE_SE
	v_cndmask_b32_e64 v43, 0, 1, s10
	s_and_not1_b32 vcc_lo, exec_lo, s10
	v_lshlrev_b32_e32 v1, 2, v45
	ds_load_2addr_b32 v[26:27], v1 offset0:2 offset1:3
	ds_load_2addr_b32 v[22:23], v1 offset0:6 offset1:7
	;; [unrolled: 1-line block ×3, first 2 shown]
	ds_load_2addr_b32 v[28:29], v1 offset1:1
	ds_load_2addr_b32 v[18:19], v1 offset0:10 offset1:11
	ds_load_b32 v44, v1 offset:48
	ds_load_2addr_b32 v[20:21], v1 offset0:8 offset1:9
	s_wait_loadcnt_dscnt 0x0
	s_barrier_signal -1
	s_barrier_wait -1
	global_inv scope:SCOPE_SE
	s_wait_alu 0xfffe
	s_cbranch_vccnz .LBB1608_6
; %bb.5:
	v_add_nc_u32_e32 v1, s5, v27
	v_add_nc_u32_e32 v2, s7, v27
	;; [unrolled: 1-line block ×5, first 2 shown]
	v_mul_lo_u32 v1, v1, s4
	v_mul_lo_u32 v2, v2, s6
	v_add_nc_u32_e32 v8, s7, v26
	v_add_nc_u32_e32 v3, s5, v29
	;; [unrolled: 1-line block ×3, first 2 shown]
	v_mul_lo_u32 v5, v5, s4
	v_mul_lo_u32 v4, v4, s4
	v_add_nc_u32_e32 v9, s5, v24
	v_mul_lo_u32 v3, v3, s4
	v_sub_nc_u32_e32 v1, v1, v2
	v_mul_lo_u32 v2, v7, s6
	v_mul_lo_u32 v7, v8, s6
	;; [unrolled: 1-line block ×3, first 2 shown]
	v_add_nc_u32_e32 v8, s5, v25
	v_add_nc_u32_e32 v10, s7, v24
	v_mul_lo_u32 v9, v9, s4
	v_cmp_lt_u32_e32 vcc_lo, s3, v1
	v_add_nc_u32_e32 v14, s7, v19
	v_sub_nc_u32_e32 v2, v4, v2
	v_sub_nc_u32_e32 v4, v5, v7
	v_add_nc_u32_e32 v5, s7, v25
	v_sub_nc_u32_e32 v3, v3, v6
	v_add_nc_u32_e32 v6, s5, v23
	v_add_nc_u32_e32 v7, s7, v23
	v_mul_lo_u32 v8, v8, s4
	v_mul_lo_u32 v5, v5, s6
	;; [unrolled: 1-line block ×5, first 2 shown]
	s_wait_alu 0xfffd
	v_cndmask_b32_e64 v1, 0, 1, vcc_lo
	v_cmp_lt_u32_e32 vcc_lo, s3, v3
	v_mul_lo_u32 v14, v14, s6
	v_add_nc_u32_e32 v15, s7, v21
	v_sub_nc_u32_e32 v5, v8, v5
	v_add_nc_u32_e32 v8, s7, v22
	s_wait_alu 0xfffd
	v_cndmask_b32_e64 v3, 0, 1, vcc_lo
	v_sub_nc_u32_e32 v6, v6, v7
	v_mul_lo_u32 v15, v15, s6
	v_cmp_lt_u32_e32 vcc_lo, s3, v5
	v_mul_lo_u32 v7, v8, s6
	v_sub_nc_u32_e32 v8, v9, v10
	v_add_nc_u32_e32 v9, s5, v19
	v_add_nc_u32_e32 v10, s5, v21
	s_wait_alu 0xfffd
	v_cndmask_b32_e64 v5, 0, 1, vcc_lo
	v_cmp_lt_u32_e32 vcc_lo, s3, v6
	v_add_nc_u32_e32 v11, s5, v22
	v_mul_lo_u32 v9, v9, s4
	v_mul_lo_u32 v10, v10, s4
	v_add_nc_u32_e32 v12, s5, v20
	s_wait_alu 0xfffd
	v_cndmask_b32_e64 v6, 0, 1, vcc_lo
	v_mul_lo_u32 v11, v11, s4
	v_add_nc_u32_e32 v16, s7, v20
	v_lshlrev_b16 v3, 8, v3
	v_add_nc_u32_e32 v13, s5, v18
	v_sub_nc_u32_e32 v9, v9, v14
	v_sub_nc_u32_e32 v10, v10, v15
	v_add_nc_u32_e32 v17, s7, v18
	v_mul_lo_u32 v12, v12, s4
	v_mul_lo_u32 v16, v16, s6
	v_cmp_lt_u32_e32 vcc_lo, s3, v9
	v_sub_nc_u32_e32 v7, v11, v7
	v_lshrrev_b32_e32 v3, 8, v3
	v_mul_lo_u32 v11, v13, s4
	v_mul_lo_u32 v13, v17, s6
	s_wait_alu 0xfffd
	v_cndmask_b32_e64 v9, 0, 1, vcc_lo
	v_cmp_lt_u32_e32 vcc_lo, s3, v2
	v_sub_nc_u32_e32 v12, v12, v16
	v_lshlrev_b16 v3, 8, v3
	v_lshlrev_b16 v1, 8, v1
	;; [unrolled: 1-line block ×3, first 2 shown]
	s_wait_alu 0xfffd
	v_cndmask_b32_e64 v2, 0, 1, vcc_lo
	v_cmp_lt_u32_e32 vcc_lo, s3, v10
	v_sub_nc_u32_e32 v11, v11, v13
	v_add_nc_u32_e32 v14, s5, v44
	v_add_nc_u32_e32 v15, s7, v44
	v_or_b32_e32 v2, v2, v3
	s_wait_alu 0xfffd
	v_cndmask_b32_e64 v10, 0, 1, vcc_lo
	v_cmp_lt_u32_e32 vcc_lo, s3, v4
	v_lshlrev_b16 v3, 8, v9
	v_lshrrev_b32_e32 v5, 8, v5
	v_lshrrev_b32_e32 v1, 8, v1
	v_lshlrev_b16 v9, 8, v10
	s_wait_alu 0xfffd
	v_cndmask_b32_e64 v4, 0, 1, vcc_lo
	v_cmp_lt_u32_e32 vcc_lo, s3, v8
	v_lshrrev_b32_e32 v3, 8, v3
	v_mul_lo_u32 v14, v14, s4
	v_lshrrev_b32_e32 v9, 8, v9
	v_mul_lo_u32 v15, v15, s6
	s_wait_alu 0xfffd
	v_cndmask_b32_e64 v8, 0, 1, vcc_lo
	v_cmp_lt_u32_e32 vcc_lo, s3, v7
	v_lshlrev_b16 v6, 8, v6
	v_lshlrev_b16 v1, 8, v1
	;; [unrolled: 1-line block ×4, first 2 shown]
	s_wait_alu 0xfffd
	v_cndmask_b32_e64 v7, 0, 1, vcc_lo
	v_cmp_lt_u32_e32 vcc_lo, s3, v12
	v_lshlrev_b16 v3, 8, v3
	v_sub_nc_u32_e32 v10, v14, v15
	v_or_b32_e32 v1, v4, v1
	v_or_b32_e32 v4, v8, v5
	s_wait_alu 0xfffd
	v_cndmask_b32_e64 v12, 0, 1, vcc_lo
	v_cmp_lt_u32_e32 vcc_lo, s3, v11
	v_or_b32_e32 v5, v7, v6
	v_and_b32_e32 v2, 0xffff, v2
	v_lshlrev_b32_e32 v1, 16, v1
	v_or_b32_e32 v6, v12, v9
	s_wait_alu 0xfffd
	v_cndmask_b32_e64 v11, 0, 1, vcc_lo
	v_and_b32_e32 v4, 0xffff, v4
	v_lshlrev_b32_e32 v5, 16, v5
	v_cmp_lt_u32_e32 vcc_lo, s3, v10
	v_and_b32_e32 v6, 0xffff, v6
	v_or_b32_e32 v3, v11, v3
	v_or_b32_e32 v51, v2, v1
	;; [unrolled: 1-line block ×3, first 2 shown]
	s_wait_alu 0xfffd
	v_cndmask_b32_e64 v46, 0, 1, vcc_lo
	v_lshlrev_b32_e32 v3, 16, v3
	s_delay_alu instid0(VALU_DEP_1)
	v_or_b32_e32 v47, v6, v3
	s_clause 0x1
	s_load_b64 s[10:11], s[0:1], 0x28
	s_load_b64 s[20:21], s[0:1], 0x68
	s_cbranch_execz .LBB1608_7
	s_branch .LBB1608_34
.LBB1608_6:
                                        ; implicit-def: $vgpr46
                                        ; implicit-def: $vgpr47
                                        ; implicit-def: $vgpr49
                                        ; implicit-def: $vgpr51
	s_clause 0x1
	s_load_b64 s[10:11], s[0:1], 0x28
	s_load_b64 s[20:21], s[0:1], 0x68
.LBB1608_7:
	v_dual_mov_b32 v2, 0 :: v_dual_mov_b32 v1, 0
	s_mov_b32 s0, exec_lo
	v_cmpx_gt_u32_e64 s23, v45
	s_cbranch_execz .LBB1608_9
; %bb.8:
	v_add_nc_u32_e32 v1, s5, v28
	v_add_nc_u32_e32 v3, s7, v28
	s_delay_alu instid0(VALU_DEP_2) | instskip(NEXT) | instid1(VALU_DEP_2)
	v_mul_lo_u32 v1, v1, s4
	v_mul_lo_u32 v3, v3, s6
	s_delay_alu instid0(VALU_DEP_1) | instskip(NEXT) | instid1(VALU_DEP_1)
	v_sub_nc_u32_e32 v1, v1, v3
	v_cmp_lt_u32_e32 vcc_lo, s3, v1
	s_wait_alu 0xfffd
	v_cndmask_b32_e64 v1, 0, 1, vcc_lo
.LBB1608_9:
	s_or_b32 exec_lo, exec_lo, s0
	v_add_nc_u32_e32 v3, 1, v45
	s_mov_b32 s0, exec_lo
	s_delay_alu instid0(VALU_DEP_1)
	v_cmpx_gt_u32_e64 s23, v3
	s_cbranch_execz .LBB1608_11
; %bb.10:
	v_add_nc_u32_e32 v2, s5, v29
	v_add_nc_u32_e32 v3, s7, v29
	s_delay_alu instid0(VALU_DEP_2) | instskip(NEXT) | instid1(VALU_DEP_2)
	v_mul_lo_u32 v2, v2, s4
	v_mul_lo_u32 v3, v3, s6
	s_delay_alu instid0(VALU_DEP_1) | instskip(NEXT) | instid1(VALU_DEP_1)
	v_sub_nc_u32_e32 v2, v2, v3
	v_cmp_lt_u32_e32 vcc_lo, s3, v2
	s_wait_alu 0xfffd
	v_cndmask_b32_e64 v2, 0, 1, vcc_lo
.LBB1608_11:
	s_or_b32 exec_lo, exec_lo, s0
	v_dual_mov_b32 v4, 0 :: v_dual_add_nc_u32 v3, 2, v45
	s_delay_alu instid0(VALU_DEP_1)
	v_cmp_gt_u32_e32 vcc_lo, s23, v3
	v_mov_b32_e32 v3, 0
	s_and_saveexec_b32 s0, vcc_lo
	s_cbranch_execz .LBB1608_13
; %bb.12:
	v_add_nc_u32_e32 v3, s5, v26
	v_add_nc_u32_e32 v5, s7, v26
	s_delay_alu instid0(VALU_DEP_2) | instskip(NEXT) | instid1(VALU_DEP_2)
	v_mul_lo_u32 v3, v3, s4
	v_mul_lo_u32 v5, v5, s6
	s_delay_alu instid0(VALU_DEP_1) | instskip(NEXT) | instid1(VALU_DEP_1)
	v_sub_nc_u32_e32 v3, v3, v5
	v_cmp_lt_u32_e32 vcc_lo, s3, v3
	s_wait_alu 0xfffd
	v_cndmask_b32_e64 v3, 0, 1, vcc_lo
.LBB1608_13:
	s_or_b32 exec_lo, exec_lo, s0
	v_add_nc_u32_e32 v5, 3, v45
	s_mov_b32 s0, exec_lo
	s_delay_alu instid0(VALU_DEP_1)
	v_cmpx_gt_u32_e64 s23, v5
	s_cbranch_execz .LBB1608_15
; %bb.14:
	v_add_nc_u32_e32 v4, s5, v27
	v_add_nc_u32_e32 v5, s7, v27
	s_delay_alu instid0(VALU_DEP_2) | instskip(NEXT) | instid1(VALU_DEP_2)
	v_mul_lo_u32 v4, v4, s4
	v_mul_lo_u32 v5, v5, s6
	s_delay_alu instid0(VALU_DEP_1) | instskip(NEXT) | instid1(VALU_DEP_1)
	v_sub_nc_u32_e32 v4, v4, v5
	v_cmp_lt_u32_e32 vcc_lo, s3, v4
	s_wait_alu 0xfffd
	v_cndmask_b32_e64 v4, 0, 1, vcc_lo
.LBB1608_15:
	s_or_b32 exec_lo, exec_lo, s0
	v_dual_mov_b32 v6, 0 :: v_dual_add_nc_u32 v5, 4, v45
	s_delay_alu instid0(VALU_DEP_1)
	v_cmp_gt_u32_e32 vcc_lo, s23, v5
	v_mov_b32_e32 v5, 0
	s_and_saveexec_b32 s0, vcc_lo
	;; [unrolled: 37-line block ×5, first 2 shown]
	s_cbranch_execz .LBB1608_29
; %bb.28:
	v_add_nc_u32_e32 v11, s5, v18
	v_add_nc_u32_e32 v13, s7, v18
	s_delay_alu instid0(VALU_DEP_2) | instskip(NEXT) | instid1(VALU_DEP_2)
	v_mul_lo_u32 v11, v11, s4
	v_mul_lo_u32 v13, v13, s6
	s_delay_alu instid0(VALU_DEP_1) | instskip(NEXT) | instid1(VALU_DEP_1)
	v_sub_nc_u32_e32 v11, v11, v13
	v_cmp_lt_u32_e32 vcc_lo, s3, v11
	s_wait_alu 0xfffd
	v_cndmask_b32_e64 v11, 0, 1, vcc_lo
.LBB1608_29:
	s_or_b32 exec_lo, exec_lo, s0
	v_add_nc_u32_e32 v13, 11, v45
	s_mov_b32 s0, exec_lo
	s_delay_alu instid0(VALU_DEP_1)
	v_cmpx_gt_u32_e64 s23, v13
	s_cbranch_execz .LBB1608_31
; %bb.30:
	v_add_nc_u32_e32 v12, s5, v19
	v_add_nc_u32_e32 v13, s7, v19
	s_delay_alu instid0(VALU_DEP_2) | instskip(NEXT) | instid1(VALU_DEP_2)
	v_mul_lo_u32 v12, v12, s4
	v_mul_lo_u32 v13, v13, s6
	s_delay_alu instid0(VALU_DEP_1) | instskip(NEXT) | instid1(VALU_DEP_1)
	v_sub_nc_u32_e32 v12, v12, v13
	v_cmp_lt_u32_e32 vcc_lo, s3, v12
	s_wait_alu 0xfffd
	v_cndmask_b32_e64 v12, 0, 1, vcc_lo
.LBB1608_31:
	s_or_b32 exec_lo, exec_lo, s0
	v_dual_mov_b32 v46, 0 :: v_dual_add_nc_u32 v13, 12, v45
	s_mov_b32 s0, exec_lo
	s_delay_alu instid0(VALU_DEP_1)
	v_cmpx_gt_u32_e64 s23, v13
	s_cbranch_execz .LBB1608_33
; %bb.32:
	v_add_nc_u32_e32 v13, s5, v44
	v_add_nc_u32_e32 v14, s7, v44
	s_delay_alu instid0(VALU_DEP_2) | instskip(NEXT) | instid1(VALU_DEP_2)
	v_mul_lo_u32 v13, v13, s4
	v_mul_lo_u32 v14, v14, s6
	s_delay_alu instid0(VALU_DEP_1) | instskip(NEXT) | instid1(VALU_DEP_1)
	v_sub_nc_u32_e32 v13, v13, v14
	v_cmp_lt_u32_e32 vcc_lo, s3, v13
	s_wait_alu 0xfffd
	v_cndmask_b32_e64 v46, 0, 1, vcc_lo
.LBB1608_33:
	s_or_b32 exec_lo, exec_lo, s0
	v_lshlrev_b16 v2, 8, v2
	v_lshlrev_b16 v4, 8, v4
	;; [unrolled: 1-line block ×5, first 2 shown]
	v_or_b32_e32 v1, v1, v2
	v_lshlrev_b16 v2, 8, v12
	v_or_b32_e32 v3, v3, v4
	v_or_b32_e32 v4, v5, v6
	;; [unrolled: 1-line block ×5, first 2 shown]
	v_and_b32_e32 v1, 0xffff, v1
	v_lshlrev_b32_e32 v3, 16, v3
	v_and_b32_e32 v4, 0xffff, v4
	v_lshlrev_b32_e32 v5, 16, v5
	;; [unrolled: 2-line block ×3, first 2 shown]
	v_or_b32_e32 v51, v1, v3
	s_delay_alu instid0(VALU_DEP_4) | instskip(NEXT) | instid1(VALU_DEP_3)
	v_or_b32_e32 v49, v4, v5
	v_or_b32_e32 v47, v6, v2
.LBB1608_34:
	s_delay_alu instid0(VALU_DEP_3)
	v_and_b32_e32 v53, 0xff, v51
	v_bfe_u32 v54, v51, 8, 8
	v_bfe_u32 v55, v51, 16, 8
	v_lshrrev_b32_e32 v52, 24, v51
	v_and_b32_e32 v56, 0xff, v49
	v_bfe_u32 v57, v49, 8, 8
	v_bfe_u32 v58, v49, 16, 8
	v_add3_u32 v1, v54, v53, v55
	v_lshrrev_b32_e32 v50, 24, v49
	v_and_b32_e32 v59, 0xff, v47
	v_bfe_u32 v60, v47, 8, 8
	v_mbcnt_lo_u32_b32 v62, -1, 0
	v_add3_u32 v1, v1, v52, v56
	v_bfe_u32 v61, v47, 16, 8
	v_lshrrev_b32_e32 v48, 24, v47
	v_and_b32_e32 v2, 0xff, v46
	v_and_b32_e32 v3, 15, v62
	v_add3_u32 v1, v1, v57, v58
	v_or_b32_e32 v4, 31, v0
	v_and_b32_e32 v5, 16, v62
	v_lshrrev_b32_e32 v63, 5, v0
	v_cmp_eq_u32_e64 s5, 0, v3
	v_add3_u32 v1, v1, v50, v59
	v_cmp_lt_u32_e64 s4, 1, v3
	v_cmp_lt_u32_e64 s3, 3, v3
	;; [unrolled: 1-line block ×3, first 2 shown]
	v_cmp_eq_u32_e64 s1, 0, v5
	v_add3_u32 v1, v1, v60, v61
	v_cmp_eq_u32_e64 s0, v0, v4
	s_cmp_lg_u32 ttmp9, 0
	s_mov_b32 s6, -1
	v_add3_u32 v64, v1, v48, v2
	s_cbranch_scc0 .LBB1608_55
; %bb.35:
	s_delay_alu instid0(VALU_DEP_1) | instskip(SKIP_1) | instid1(VALU_DEP_1)
	v_mov_b32_dpp v1, v64 row_shr:1 row_mask:0xf bank_mask:0xf
	s_wait_alu 0xf1ff
	v_cndmask_b32_e64 v1, v1, 0, s5
	s_delay_alu instid0(VALU_DEP_1) | instskip(NEXT) | instid1(VALU_DEP_1)
	v_add_nc_u32_e32 v1, v1, v64
	v_mov_b32_dpp v2, v1 row_shr:2 row_mask:0xf bank_mask:0xf
	s_delay_alu instid0(VALU_DEP_1) | instskip(NEXT) | instid1(VALU_DEP_1)
	v_cndmask_b32_e64 v2, 0, v2, s4
	v_add_nc_u32_e32 v1, v1, v2
	s_delay_alu instid0(VALU_DEP_1) | instskip(NEXT) | instid1(VALU_DEP_1)
	v_mov_b32_dpp v2, v1 row_shr:4 row_mask:0xf bank_mask:0xf
	v_cndmask_b32_e64 v2, 0, v2, s3
	s_delay_alu instid0(VALU_DEP_1) | instskip(NEXT) | instid1(VALU_DEP_1)
	v_add_nc_u32_e32 v1, v1, v2
	v_mov_b32_dpp v2, v1 row_shr:8 row_mask:0xf bank_mask:0xf
	s_delay_alu instid0(VALU_DEP_1) | instskip(NEXT) | instid1(VALU_DEP_1)
	v_cndmask_b32_e64 v2, 0, v2, s2
	v_add_nc_u32_e32 v1, v1, v2
	ds_swizzle_b32 v2, v1 offset:swizzle(BROADCAST,32,15)
	s_wait_dscnt 0x0
	v_cndmask_b32_e64 v2, v2, 0, s1
	s_delay_alu instid0(VALU_DEP_1)
	v_add_nc_u32_e32 v1, v1, v2
	s_and_saveexec_b32 s6, s0
; %bb.36:
	v_lshlrev_b32_e32 v2, 2, v63
	ds_store_b32 v2, v1
; %bb.37:
	s_wait_alu 0xfffe
	s_or_b32 exec_lo, exec_lo, s6
	s_delay_alu instid0(SALU_CYCLE_1)
	s_mov_b32 s6, exec_lo
	s_wait_loadcnt_dscnt 0x0
	s_barrier_signal -1
	s_barrier_wait -1
	global_inv scope:SCOPE_SE
	v_cmpx_gt_u32_e32 8, v0
	s_cbranch_execz .LBB1608_39
; %bb.38:
	ds_load_b32 v2, v42
	s_wait_dscnt 0x0
	v_mov_b32_dpp v4, v2 row_shr:1 row_mask:0xf bank_mask:0xf
	v_and_b32_e32 v3, 7, v62
	s_delay_alu instid0(VALU_DEP_1) | instskip(SKIP_1) | instid1(VALU_DEP_3)
	v_cmp_ne_u32_e32 vcc_lo, 0, v3
	s_wait_alu 0xfffd
	v_cndmask_b32_e32 v4, 0, v4, vcc_lo
	v_cmp_lt_u32_e32 vcc_lo, 1, v3
	s_delay_alu instid0(VALU_DEP_2) | instskip(NEXT) | instid1(VALU_DEP_1)
	v_add_nc_u32_e32 v2, v4, v2
	v_mov_b32_dpp v4, v2 row_shr:2 row_mask:0xf bank_mask:0xf
	s_wait_alu 0xfffd
	s_delay_alu instid0(VALU_DEP_1) | instskip(SKIP_1) | instid1(VALU_DEP_2)
	v_cndmask_b32_e32 v4, 0, v4, vcc_lo
	v_cmp_lt_u32_e32 vcc_lo, 3, v3
	v_add_nc_u32_e32 v2, v2, v4
	s_delay_alu instid0(VALU_DEP_1) | instskip(SKIP_1) | instid1(VALU_DEP_1)
	v_mov_b32_dpp v4, v2 row_shr:4 row_mask:0xf bank_mask:0xf
	s_wait_alu 0xfffd
	v_cndmask_b32_e32 v3, 0, v4, vcc_lo
	s_delay_alu instid0(VALU_DEP_1)
	v_add_nc_u32_e32 v2, v2, v3
	ds_store_b32 v42, v2
.LBB1608_39:
	s_wait_alu 0xfffe
	s_or_b32 exec_lo, exec_lo, s6
	s_delay_alu instid0(SALU_CYCLE_1)
	s_mov_b32 s7, exec_lo
	v_cmp_gt_u32_e32 vcc_lo, 32, v0
	s_wait_loadcnt_dscnt 0x0
	s_barrier_signal -1
	s_barrier_wait -1
	global_inv scope:SCOPE_SE
                                        ; implicit-def: $vgpr9
	v_cmpx_lt_u32_e32 31, v0
	s_cbranch_execz .LBB1608_41
; %bb.40:
	v_lshl_add_u32 v2, v63, 2, -4
	ds_load_b32 v9, v2
	s_wait_dscnt 0x0
	v_add_nc_u32_e32 v1, v9, v1
.LBB1608_41:
	s_wait_alu 0xfffe
	s_or_b32 exec_lo, exec_lo, s7
	v_sub_co_u32 v2, s6, v62, 1
	s_delay_alu instid0(VALU_DEP_1) | instskip(SKIP_1) | instid1(VALU_DEP_1)
	v_cmp_gt_i32_e64 s7, 0, v2
	s_wait_alu 0xf1ff
	v_cndmask_b32_e64 v2, v2, v62, s7
	s_delay_alu instid0(VALU_DEP_1)
	v_lshlrev_b32_e32 v2, 2, v2
	ds_bpermute_b32 v10, v2, v1
	s_and_saveexec_b32 s7, vcc_lo
	s_cbranch_execz .LBB1608_60
; %bb.42:
	v_mov_b32_e32 v5, 0
	ds_load_b32 v1, v5 offset:28
	s_and_saveexec_b32 s17, s6
	s_cbranch_execz .LBB1608_44
; %bb.43:
	s_add_co_i32 s24, ttmp9, 32
	s_mov_b32 s25, 0
	v_mov_b32_e32 v2, 1
	s_lshl_b64 s[24:25], s[24:25], 3
	s_wait_kmcnt 0x0
	s_add_nc_u64 s[24:25], s[20:21], s[24:25]
	s_wait_dscnt 0x0
	global_store_b64 v5, v[1:2], s[24:25] scope:SCOPE_DEV
.LBB1608_44:
	s_or_b32 exec_lo, exec_lo, s17
	v_xad_u32 v3, v62, -1, ttmp9
	s_mov_b32 s24, 0
	s_mov_b32 s17, exec_lo
	s_delay_alu instid0(VALU_DEP_1) | instskip(NEXT) | instid1(VALU_DEP_1)
	v_add_nc_u32_e32 v4, 32, v3
	v_lshlrev_b64_e32 v[4:5], 3, v[4:5]
	s_wait_kmcnt 0x0
	s_delay_alu instid0(VALU_DEP_1) | instskip(SKIP_1) | instid1(VALU_DEP_2)
	v_add_co_u32 v7, vcc_lo, s20, v4
	s_wait_alu 0xfffd
	v_add_co_ci_u32_e64 v8, null, s21, v5, vcc_lo
	global_load_b64 v[5:6], v[7:8], off scope:SCOPE_DEV
	s_wait_loadcnt 0x0
	v_and_b32_e32 v2, 0xff, v6
	s_delay_alu instid0(VALU_DEP_1)
	v_cmpx_eq_u16_e32 0, v2
	s_cbranch_execz .LBB1608_47
.LBB1608_45:                            ; =>This Inner Loop Header: Depth=1
	global_load_b64 v[5:6], v[7:8], off scope:SCOPE_DEV
	s_wait_loadcnt 0x0
	v_and_b32_e32 v2, 0xff, v6
	s_delay_alu instid0(VALU_DEP_1) | instskip(SKIP_1) | instid1(SALU_CYCLE_1)
	v_cmp_ne_u16_e32 vcc_lo, 0, v2
	s_or_b32 s24, vcc_lo, s24
	s_and_not1_b32 exec_lo, exec_lo, s24
	s_cbranch_execnz .LBB1608_45
; %bb.46:
	s_or_b32 exec_lo, exec_lo, s24
.LBB1608_47:
	s_delay_alu instid0(SALU_CYCLE_1)
	s_or_b32 exec_lo, exec_lo, s17
	v_cmp_ne_u32_e32 vcc_lo, 31, v62
	v_lshlrev_b32_e64 v12, v62, -1
	v_add_nc_u32_e32 v14, 2, v62
	v_add_nc_u32_e32 v16, 4, v62
	;; [unrolled: 1-line block ×3, first 2 shown]
	s_wait_alu 0xfffd
	v_add_co_ci_u32_e64 v2, null, 0, v62, vcc_lo
	v_lshl_or_b32 v66, v62, 2, 64
	v_add_nc_u32_e32 v67, 16, v62
	s_delay_alu instid0(VALU_DEP_3)
	v_lshlrev_b32_e32 v11, 2, v2
	v_and_b32_e32 v2, 0xff, v6
	ds_bpermute_b32 v4, v11, v5
	v_cmp_eq_u16_e32 vcc_lo, 2, v2
	s_wait_alu 0xfffd
	v_and_or_b32 v2, vcc_lo, v12, 0x80000000
	v_cmp_gt_u32_e32 vcc_lo, 30, v62
	s_delay_alu instid0(VALU_DEP_2) | instskip(SKIP_2) | instid1(VALU_DEP_2)
	v_ctz_i32_b32_e32 v2, v2
	s_wait_alu 0xfffd
	v_cndmask_b32_e64 v7, 0, 2, vcc_lo
	v_cmp_lt_u32_e32 vcc_lo, v62, v2
	s_delay_alu instid0(VALU_DEP_2) | instskip(SKIP_4) | instid1(VALU_DEP_2)
	v_add_lshl_u32 v13, v7, v62, 2
	s_wait_dscnt 0x0
	s_wait_alu 0xfffd
	v_cndmask_b32_e32 v4, 0, v4, vcc_lo
	v_cmp_gt_u32_e32 vcc_lo, 28, v62
	v_add_nc_u32_e32 v4, v4, v5
	s_wait_alu 0xfffd
	v_cndmask_b32_e64 v7, 0, 4, vcc_lo
	v_cmp_le_u32_e32 vcc_lo, v14, v2
	ds_bpermute_b32 v5, v13, v4
	v_add_lshl_u32 v15, v7, v62, 2
	s_wait_dscnt 0x0
	s_wait_alu 0xfffd
	v_cndmask_b32_e32 v5, 0, v5, vcc_lo
	v_cmp_gt_u32_e32 vcc_lo, 24, v62
	s_delay_alu instid0(VALU_DEP_2)
	v_add_nc_u32_e32 v4, v4, v5
	s_wait_alu 0xfffd
	v_cndmask_b32_e64 v7, 0, 8, vcc_lo
	v_cmp_le_u32_e32 vcc_lo, v16, v2
	ds_bpermute_b32 v5, v15, v4
	v_add_lshl_u32 v17, v7, v62, 2
	s_wait_dscnt 0x0
	s_wait_alu 0xfffd
	v_cndmask_b32_e32 v5, 0, v5, vcc_lo
	v_cmp_le_u32_e32 vcc_lo, v65, v2
	s_delay_alu instid0(VALU_DEP_2)
	v_add_nc_u32_e32 v4, v4, v5
	ds_bpermute_b32 v5, v17, v4
	s_wait_dscnt 0x0
	s_wait_alu 0xfffd
	v_cndmask_b32_e32 v5, 0, v5, vcc_lo
	v_cmp_le_u32_e32 vcc_lo, v67, v2
	s_delay_alu instid0(VALU_DEP_2) | instskip(SKIP_4) | instid1(VALU_DEP_1)
	v_add_nc_u32_e32 v4, v4, v5
	ds_bpermute_b32 v5, v66, v4
	s_wait_dscnt 0x0
	s_wait_alu 0xfffd
	v_cndmask_b32_e32 v2, 0, v5, vcc_lo
	v_dual_mov_b32 v4, 0 :: v_dual_add_nc_u32 v5, v4, v2
	s_branch .LBB1608_51
.LBB1608_48:                            ;   in Loop: Header=BB1608_51 Depth=1
	s_or_b32 exec_lo, exec_lo, s24
.LBB1608_49:                            ;   in Loop: Header=BB1608_51 Depth=1
	s_delay_alu instid0(SALU_CYCLE_1) | instskip(SKIP_4) | instid1(VALU_DEP_2)
	s_or_b32 exec_lo, exec_lo, s17
	ds_bpermute_b32 v8, v11, v5
	v_and_b32_e32 v7, 0xff, v6
	v_subrev_nc_u32_e32 v3, 32, v3
	s_mov_b32 s17, 0
	v_cmp_eq_u16_e32 vcc_lo, 2, v7
	s_wait_alu 0xfffd
	v_and_or_b32 v7, vcc_lo, v12, 0x80000000
	s_delay_alu instid0(VALU_DEP_1) | instskip(NEXT) | instid1(VALU_DEP_1)
	v_ctz_i32_b32_e32 v7, v7
	v_cmp_lt_u32_e32 vcc_lo, v62, v7
	s_wait_dscnt 0x0
	s_wait_alu 0xfffd
	v_cndmask_b32_e32 v8, 0, v8, vcc_lo
	v_cmp_le_u32_e32 vcc_lo, v14, v7
	s_delay_alu instid0(VALU_DEP_2)
	v_add_nc_u32_e32 v5, v8, v5
	ds_bpermute_b32 v8, v13, v5
	s_wait_dscnt 0x0
	s_wait_alu 0xfffd
	v_cndmask_b32_e32 v8, 0, v8, vcc_lo
	v_cmp_le_u32_e32 vcc_lo, v16, v7
	s_delay_alu instid0(VALU_DEP_2)
	v_add_nc_u32_e32 v5, v5, v8
	ds_bpermute_b32 v8, v15, v5
	;; [unrolled: 7-line block ×3, first 2 shown]
	s_wait_dscnt 0x0
	s_wait_alu 0xfffd
	v_cndmask_b32_e32 v8, 0, v8, vcc_lo
	v_cmp_le_u32_e32 vcc_lo, v67, v7
	s_delay_alu instid0(VALU_DEP_2) | instskip(SKIP_4) | instid1(VALU_DEP_1)
	v_add_nc_u32_e32 v5, v5, v8
	ds_bpermute_b32 v8, v66, v5
	s_wait_dscnt 0x0
	s_wait_alu 0xfffd
	v_cndmask_b32_e32 v7, 0, v8, vcc_lo
	v_add3_u32 v5, v7, v2, v5
.LBB1608_50:                            ;   in Loop: Header=BB1608_51 Depth=1
	s_and_b32 vcc_lo, exec_lo, s17
	s_wait_alu 0xfffe
	s_cbranch_vccnz .LBB1608_56
.LBB1608_51:                            ; =>This Loop Header: Depth=1
                                        ;     Child Loop BB1608_54 Depth 2
	v_and_b32_e32 v2, 0xff, v6
	s_mov_b32 s17, -1
                                        ; implicit-def: $vgpr6
	s_delay_alu instid0(VALU_DEP_1)
	v_cmp_ne_u16_e32 vcc_lo, 2, v2
	v_mov_b32_e32 v2, v5
                                        ; implicit-def: $vgpr5
	s_cmp_lg_u32 vcc_lo, exec_lo
	s_cbranch_scc1 .LBB1608_50
; %bb.52:                               ;   in Loop: Header=BB1608_51 Depth=1
	v_lshlrev_b64_e32 v[5:6], 3, v[3:4]
	s_mov_b32 s17, exec_lo
	s_delay_alu instid0(VALU_DEP_1) | instskip(SKIP_1) | instid1(VALU_DEP_2)
	v_add_co_u32 v7, vcc_lo, s20, v5
	s_wait_alu 0xfffd
	v_add_co_ci_u32_e64 v8, null, s21, v6, vcc_lo
	global_load_b64 v[5:6], v[7:8], off scope:SCOPE_DEV
	s_wait_loadcnt 0x0
	v_and_b32_e32 v68, 0xff, v6
	s_delay_alu instid0(VALU_DEP_1)
	v_cmpx_eq_u16_e32 0, v68
	s_cbranch_execz .LBB1608_49
; %bb.53:                               ;   in Loop: Header=BB1608_51 Depth=1
	s_mov_b32 s24, 0
.LBB1608_54:                            ;   Parent Loop BB1608_51 Depth=1
                                        ; =>  This Inner Loop Header: Depth=2
	global_load_b64 v[5:6], v[7:8], off scope:SCOPE_DEV
	s_wait_loadcnt 0x0
	v_and_b32_e32 v68, 0xff, v6
	s_delay_alu instid0(VALU_DEP_1) | instskip(SKIP_1) | instid1(SALU_CYCLE_1)
	v_cmp_ne_u16_e32 vcc_lo, 0, v68
	s_or_b32 s24, vcc_lo, s24
	s_and_not1_b32 exec_lo, exec_lo, s24
	s_cbranch_execnz .LBB1608_54
	s_branch .LBB1608_48
.LBB1608_55:
                                        ; implicit-def: $vgpr17
                                        ; implicit-def: $vgpr1_vgpr2_vgpr3_vgpr4_vgpr5_vgpr6_vgpr7_vgpr8_vgpr9_vgpr10_vgpr11_vgpr12_vgpr13_vgpr14_vgpr15_vgpr16
	s_wait_alu 0xfffe
	s_and_b32 vcc_lo, exec_lo, s6
	s_wait_alu 0xfffe
	s_cbranch_vccnz .LBB1608_61
	s_branch .LBB1608_70
.LBB1608_56:
	s_and_saveexec_b32 s17, s6
	s_cbranch_execz .LBB1608_58
; %bb.57:
	s_add_co_i32 s24, ttmp9, 32
	s_mov_b32 s25, 0
	v_dual_mov_b32 v4, 2 :: v_dual_add_nc_u32 v3, v2, v1
	v_mov_b32_e32 v5, 0
	s_lshl_b64 s[24:25], s[24:25], 3
	s_delay_alu instid0(SALU_CYCLE_1)
	s_add_nc_u64 s[24:25], s[20:21], s[24:25]
	global_store_b64 v5, v[3:4], s[24:25] scope:SCOPE_DEV
	ds_store_b64 v5, v[1:2] offset:13312
.LBB1608_58:
	s_or_b32 exec_lo, exec_lo, s17
	v_cmp_eq_u32_e32 vcc_lo, 0, v0
	s_and_b32 exec_lo, exec_lo, vcc_lo
; %bb.59:
	v_mov_b32_e32 v1, 0
	ds_store_b32 v1, v2 offset:28
.LBB1608_60:
	s_wait_alu 0xfffe
	s_or_b32 exec_lo, exec_lo, s7
	s_wait_dscnt 0x0
	v_cndmask_b32_e64 v2, v10, v9, s6
	v_cmp_ne_u32_e32 vcc_lo, 0, v0
	v_mov_b32_e32 v11, 0
	s_wait_loadcnt 0x0
	s_wait_storecnt 0x0
	s_barrier_signal -1
	s_barrier_wait -1
	global_inv scope:SCOPE_SE
	s_wait_alu 0xfffd
	v_cndmask_b32_e32 v2, 0, v2, vcc_lo
	ds_load_b32 v1, v11 offset:28
	s_wait_loadcnt_dscnt 0x0
	s_barrier_signal -1
	s_barrier_wait -1
	global_inv scope:SCOPE_SE
	ds_load_b64 v[16:17], v11 offset:13312
	v_add_nc_u32_e32 v1, v1, v2
	s_delay_alu instid0(VALU_DEP_1) | instskip(NEXT) | instid1(VALU_DEP_1)
	v_add_nc_u32_e32 v2, v1, v53
	v_add_nc_u32_e32 v3, v2, v54
	s_delay_alu instid0(VALU_DEP_1) | instskip(NEXT) | instid1(VALU_DEP_1)
	v_add_nc_u32_e32 v4, v3, v55
	;; [unrolled: 3-line block ×6, first 2 shown]
	v_add_nc_u32_e32 v13, v12, v48
	s_branch .LBB1608_70
.LBB1608_61:
	v_mov_b32_dpp v1, v64 row_shr:1 row_mask:0xf bank_mask:0xf
	s_delay_alu instid0(VALU_DEP_1) | instskip(NEXT) | instid1(VALU_DEP_1)
	v_cndmask_b32_e64 v1, v1, 0, s5
	v_add_nc_u32_e32 v1, v1, v64
	s_delay_alu instid0(VALU_DEP_1) | instskip(NEXT) | instid1(VALU_DEP_1)
	v_mov_b32_dpp v2, v1 row_shr:2 row_mask:0xf bank_mask:0xf
	v_cndmask_b32_e64 v2, 0, v2, s4
	s_delay_alu instid0(VALU_DEP_1) | instskip(NEXT) | instid1(VALU_DEP_1)
	v_add_nc_u32_e32 v1, v1, v2
	v_mov_b32_dpp v2, v1 row_shr:4 row_mask:0xf bank_mask:0xf
	s_delay_alu instid0(VALU_DEP_1) | instskip(NEXT) | instid1(VALU_DEP_1)
	v_cndmask_b32_e64 v2, 0, v2, s3
	v_add_nc_u32_e32 v1, v1, v2
	s_delay_alu instid0(VALU_DEP_1) | instskip(NEXT) | instid1(VALU_DEP_1)
	v_mov_b32_dpp v2, v1 row_shr:8 row_mask:0xf bank_mask:0xf
	v_cndmask_b32_e64 v2, 0, v2, s2
	s_delay_alu instid0(VALU_DEP_1) | instskip(SKIP_3) | instid1(VALU_DEP_1)
	v_add_nc_u32_e32 v1, v1, v2
	ds_swizzle_b32 v2, v1 offset:swizzle(BROADCAST,32,15)
	s_wait_dscnt 0x0
	v_cndmask_b32_e64 v2, v2, 0, s1
	v_add_nc_u32_e32 v1, v1, v2
	s_and_saveexec_b32 s1, s0
; %bb.62:
	v_lshlrev_b32_e32 v2, 2, v63
	ds_store_b32 v2, v1
; %bb.63:
	s_wait_alu 0xfffe
	s_or_b32 exec_lo, exec_lo, s1
	s_delay_alu instid0(SALU_CYCLE_1)
	s_mov_b32 s0, exec_lo
	s_wait_loadcnt_dscnt 0x0
	s_barrier_signal -1
	s_barrier_wait -1
	global_inv scope:SCOPE_SE
	v_cmpx_gt_u32_e32 8, v0
	s_cbranch_execz .LBB1608_65
; %bb.64:
	ds_load_b32 v2, v42
	s_wait_dscnt 0x0
	v_mov_b32_dpp v4, v2 row_shr:1 row_mask:0xf bank_mask:0xf
	v_and_b32_e32 v3, 7, v62
	s_delay_alu instid0(VALU_DEP_1) | instskip(SKIP_1) | instid1(VALU_DEP_3)
	v_cmp_ne_u32_e32 vcc_lo, 0, v3
	s_wait_alu 0xfffd
	v_cndmask_b32_e32 v4, 0, v4, vcc_lo
	v_cmp_lt_u32_e32 vcc_lo, 1, v3
	s_delay_alu instid0(VALU_DEP_2) | instskip(NEXT) | instid1(VALU_DEP_1)
	v_add_nc_u32_e32 v2, v4, v2
	v_mov_b32_dpp v4, v2 row_shr:2 row_mask:0xf bank_mask:0xf
	s_wait_alu 0xfffd
	s_delay_alu instid0(VALU_DEP_1) | instskip(SKIP_1) | instid1(VALU_DEP_2)
	v_cndmask_b32_e32 v4, 0, v4, vcc_lo
	v_cmp_lt_u32_e32 vcc_lo, 3, v3
	v_add_nc_u32_e32 v2, v2, v4
	s_delay_alu instid0(VALU_DEP_1) | instskip(SKIP_1) | instid1(VALU_DEP_1)
	v_mov_b32_dpp v4, v2 row_shr:4 row_mask:0xf bank_mask:0xf
	s_wait_alu 0xfffd
	v_cndmask_b32_e32 v3, 0, v4, vcc_lo
	s_delay_alu instid0(VALU_DEP_1)
	v_add_nc_u32_e32 v2, v2, v3
	ds_store_b32 v42, v2
.LBB1608_65:
	s_wait_alu 0xfffe
	s_or_b32 exec_lo, exec_lo, s0
	v_dual_mov_b32 v3, 0 :: v_dual_mov_b32 v2, 0
	s_mov_b32 s0, exec_lo
	s_wait_loadcnt_dscnt 0x0
	s_barrier_signal -1
	s_barrier_wait -1
	global_inv scope:SCOPE_SE
	v_cmpx_lt_u32_e32 31, v0
; %bb.66:
	v_lshl_add_u32 v2, v63, 2, -4
	ds_load_b32 v2, v2
; %bb.67:
	s_wait_alu 0xfffe
	s_or_b32 exec_lo, exec_lo, s0
	v_sub_co_u32 v4, vcc_lo, v62, 1
	s_wait_dscnt 0x0
	v_add_nc_u32_e32 v1, v2, v1
	ds_load_b32 v16, v3 offset:28
	v_cmp_gt_i32_e64 s0, 0, v4
	s_wait_alu 0xf1ff
	s_delay_alu instid0(VALU_DEP_1) | instskip(SKIP_1) | instid1(VALU_DEP_2)
	v_cndmask_b32_e64 v4, v4, v62, s0
	v_cmp_eq_u32_e64 s0, 0, v0
	v_lshlrev_b32_e32 v4, 2, v4
	ds_bpermute_b32 v1, v4, v1
	s_and_saveexec_b32 s1, s0
	s_cbranch_execz .LBB1608_69
; %bb.68:
	v_mov_b32_e32 v3, 0
	v_mov_b32_e32 v17, 2
	s_wait_dscnt 0x1
	s_wait_kmcnt 0x0
	global_store_b64 v3, v[16:17], s[20:21] offset:256 scope:SCOPE_DEV
.LBB1608_69:
	s_wait_alu 0xfffe
	s_or_b32 exec_lo, exec_lo, s1
	s_wait_dscnt 0x0
	s_wait_alu 0xfffd
	v_cndmask_b32_e32 v1, v1, v2, vcc_lo
	s_wait_loadcnt 0x0
	s_wait_storecnt 0x0
	s_barrier_signal -1
	s_barrier_wait -1
	global_inv scope:SCOPE_SE
	v_cndmask_b32_e64 v1, v1, 0, s0
	s_delay_alu instid0(VALU_DEP_1) | instskip(NEXT) | instid1(VALU_DEP_1)
	v_dual_mov_b32 v17, 0 :: v_dual_add_nc_u32 v2, v1, v53
	v_add_nc_u32_e32 v3, v2, v54
	s_delay_alu instid0(VALU_DEP_1) | instskip(NEXT) | instid1(VALU_DEP_1)
	v_add_nc_u32_e32 v4, v3, v55
	v_add_nc_u32_e32 v5, v4, v52
	s_delay_alu instid0(VALU_DEP_1) | instskip(NEXT) | instid1(VALU_DEP_1)
	v_add_nc_u32_e32 v6, v5, v56
	;; [unrolled: 3-line block ×5, first 2 shown]
	v_add_nc_u32_e32 v13, v12, v48
.LBB1608_70:
	v_lshrrev_b32_e32 v56, 8, v51
	v_lshrrev_b32_e32 v55, 16, v51
	s_wait_dscnt 0x0
	v_sub_nc_u32_e32 v1, v1, v17
	v_and_b32_e32 v51, 1, v51
	v_sub_nc_u32_e32 v3, v3, v17
	v_add_nc_u32_e32 v45, v16, v45
	v_sub_nc_u32_e32 v2, v2, v17
	v_sub_nc_u32_e32 v4, v4, v17
	v_cmp_eq_u32_e32 vcc_lo, 1, v51
	v_and_b32_e32 v51, 1, v55
	v_sub_nc_u32_e32 v57, v45, v1
	v_and_b32_e32 v56, 1, v56
	v_sub_nc_u32_e32 v55, v45, v2
	v_lshrrev_b32_e32 v54, 8, v49
	v_lshrrev_b32_e32 v53, 16, v49
	s_wait_alu 0xfffd
	v_cndmask_b32_e32 v1, v57, v1, vcc_lo
	v_sub_nc_u32_e32 v57, v45, v3
	v_add_nc_u32_e32 v55, 1, v55
	v_cmp_eq_u32_e32 vcc_lo, 1, v56
	v_and_b32_e32 v52, 1, v52
	v_lshlrev_b32_e32 v1, 2, v1
	v_add_nc_u32_e32 v57, 2, v57
	v_lshrrev_b32_e32 v15, 8, v47
	v_lshrrev_b32_e32 v14, 16, v47
	ds_store_b32 v1, v28
	s_wait_alu 0xfffd
	v_cndmask_b32_e32 v1, v55, v2, vcc_lo
	v_cmp_eq_u32_e32 vcc_lo, 1, v51
	s_wait_alu 0xfffd
	s_delay_alu instid0(VALU_DEP_2)
	v_dual_cndmask_b32 v2, v57, v3 :: v_dual_lshlrev_b32 v1, 2, v1
	v_sub_nc_u32_e32 v58, v45, v4
	v_cmp_eq_u32_e32 vcc_lo, 1, v52
	ds_store_b32 v1, v29
	v_lshlrev_b32_e32 v2, 2, v2
	v_add_nc_u32_e32 v58, 3, v58
	s_wait_alu 0xfffd
	s_delay_alu instid0(VALU_DEP_1) | instskip(SKIP_2) | instid1(VALU_DEP_3)
	v_cndmask_b32_e32 v3, v58, v4, vcc_lo
	v_sub_nc_u32_e32 v4, v5, v17
	v_sub_nc_u32_e32 v5, v6, v17
	v_lshlrev_b32_e32 v3, 2, v3
	s_delay_alu instid0(VALU_DEP_3) | instskip(NEXT) | instid1(VALU_DEP_3)
	v_sub_nc_u32_e32 v1, v45, v4
	v_sub_nc_u32_e32 v6, v45, v5
	ds_store_b32 v2, v26
	ds_store_b32 v3, v27
	v_and_b32_e32 v2, 1, v49
	v_add_nc_u32_e32 v1, 4, v1
	v_add_nc_u32_e32 v3, 5, v6
	v_sub_nc_u32_e32 v6, v7, v17
	v_and_b32_e32 v7, 1, v54
	v_cmp_eq_u32_e32 vcc_lo, 1, v2
	v_sub_nc_u32_e32 v2, v8, v17
	s_wait_alu 0xfffd
	v_dual_cndmask_b32 v1, v1, v4 :: v_dual_and_b32 v8, 1, v50
	v_sub_nc_u32_e32 v4, v45, v6
	v_cmp_eq_u32_e32 vcc_lo, 1, v7
	v_and_b32_e32 v7, 1, v53
	s_delay_alu instid0(VALU_DEP_4)
	v_lshlrev_b32_e32 v1, 2, v1
	s_wait_alu 0xfffd
	v_dual_cndmask_b32 v3, v3, v5 :: v_dual_add_nc_u32 v4, 6, v4
	v_sub_nc_u32_e32 v5, v45, v2
	v_cmp_eq_u32_e32 vcc_lo, 1, v7
	v_sub_nc_u32_e32 v7, v13, v17
	s_delay_alu instid0(VALU_DEP_4)
	v_lshlrev_b32_e32 v3, 2, v3
	s_wait_alu 0xfffd
	v_dual_cndmask_b32 v4, v4, v6 :: v_dual_add_nc_u32 v5, 7, v5
	v_cmp_eq_u32_e32 vcc_lo, 1, v8
	v_sub_nc_u32_e32 v6, v9, v17
	ds_store_b32 v1, v24
	ds_store_b32 v3, v25
	s_wait_alu 0xfffd
	v_dual_cndmask_b32 v2, v5, v2 :: v_dual_lshlrev_b32 v3, 2, v4
	v_and_b32_e32 v5, 1, v47
	v_sub_nc_u32_e32 v1, v45, v6
	v_sub_nc_u32_e32 v4, v10, v17
	v_and_b32_e32 v10, 1, v48
	s_delay_alu instid0(VALU_DEP_4) | instskip(SKIP_2) | instid1(VALU_DEP_2)
	v_cmp_eq_u32_e32 vcc_lo, 1, v5
	v_sub_nc_u32_e32 v5, v12, v17
	v_add_nc_u32_e32 v1, 8, v1
	v_sub_nc_u32_e32 v9, v45, v5
	s_wait_alu 0xfffd
	s_delay_alu instid0(VALU_DEP_2)
	v_dual_cndmask_b32 v1, v1, v6 :: v_dual_and_b32 v6, 1, v15
	s_wait_kmcnt 0x0
	v_add_co_u32 v15, s0, s18, v17
	v_add_nc_u32_e32 v9, 11, v9
	v_lshlrev_b32_e32 v2, 2, v2
	ds_store_b32 v3, v22
	ds_store_b32 v2, v23
	v_sub_nc_u32_e32 v3, v11, v17
	v_sub_nc_u32_e32 v2, v45, v4
	v_cmp_eq_u32_e32 vcc_lo, 1, v6
	v_and_b32_e32 v11, 1, v46
	v_lshlrev_b32_e32 v1, 2, v1
	v_sub_nc_u32_e32 v8, v45, v3
	v_add_nc_u32_e32 v2, 9, v2
	s_wait_alu 0xf1ff
	v_add_co_ci_u32_e64 v17, null, s19, 0, s0
	s_delay_alu instid0(VALU_DEP_3) | instskip(SKIP_4) | instid1(VALU_DEP_3)
	v_add_nc_u32_e32 v6, 10, v8
	v_and_b32_e32 v8, 1, v14
	s_wait_alu 0xfffd
	v_cndmask_b32_e32 v2, v2, v4, vcc_lo
	v_sub_nc_u32_e32 v4, v45, v7
	v_cmp_eq_u32_e32 vcc_lo, 1, v8
	s_delay_alu instid0(VALU_DEP_3) | instskip(SKIP_1) | instid1(VALU_DEP_3)
	v_lshlrev_b32_e32 v2, 2, v2
	s_wait_alu 0xfffd
	v_dual_cndmask_b32 v3, v6, v3 :: v_dual_add_nc_u32 v4, 12, v4
	v_cmp_eq_u32_e32 vcc_lo, 1, v10
	s_delay_alu instid0(VALU_DEP_2) | instskip(SKIP_4) | instid1(VALU_DEP_2)
	v_lshlrev_b32_e32 v3, 2, v3
	s_wait_alu 0xfffd
	v_cndmask_b32_e32 v5, v9, v5, vcc_lo
	v_cmp_eq_u32_e32 vcc_lo, 1, v11
	s_wait_alu 0xfffd
	v_dual_cndmask_b32 v4, v4, v7 :: v_dual_lshlrev_b32 v5, 2, v5
	v_cmp_ne_u32_e32 vcc_lo, 1, v43
	s_delay_alu instid0(VALU_DEP_2)
	v_lshlrev_b32_e32 v4, 2, v4
	ds_store_b32 v1, v20
	ds_store_b32 v2, v21
	;; [unrolled: 1-line block ×5, first 2 shown]
	s_wait_loadcnt_dscnt 0x0
	s_barrier_signal -1
	s_barrier_wait -1
	global_inv scope:SCOPE_SE
	ds_load_2addr_stride64_b32 v[11:12], v42 offset1:4
	ds_load_2addr_stride64_b32 v[9:10], v42 offset0:8 offset1:12
	ds_load_2addr_stride64_b32 v[7:8], v42 offset0:16 offset1:20
	;; [unrolled: 1-line block ×5, first 2 shown]
	ds_load_b32 v18, v42 offset:12288
	s_cbranch_vccnz .LBB1608_124
; %bb.71:
	s_mov_b32 s17, 0
	v_sub_co_u32 v13, vcc_lo, v15, s12
	s_sub_nc_u64 s[0:1], s[14:15], s[16:17]
	s_wait_alu 0xfffd
	v_subrev_co_ci_u32_e64 v14, null, s13, v17, vcc_lo
	s_wait_alu 0xfffe
	v_add_co_u32 v19, s0, s0, v16
	s_wait_alu 0xf1ff
	v_add_co_ci_u32_e64 v20, null, s1, 0, s0
	s_mov_b32 s0, exec_lo
	v_add_co_u32 v19, vcc_lo, v19, v13
	s_wait_alu 0xfffd
	v_add_co_ci_u32_e64 v20, null, v20, v14, vcc_lo
                                        ; implicit-def: $vgpr13_vgpr14
	v_cmpx_ge_u32_e64 v0, v16
	s_wait_alu 0xfffe
	s_xor_b32 s0, exec_lo, s0
; %bb.72:
	v_not_b32_e32 v13, v0
	s_delay_alu instid0(VALU_DEP_1) | instskip(SKIP_2) | instid1(VALU_DEP_2)
	v_ashrrev_i32_e32 v14, 31, v13
	v_add_co_u32 v13, vcc_lo, v19, v13
	s_wait_alu 0xfffd
	v_add_co_ci_u32_e64 v14, null, v20, v14, vcc_lo
; %bb.73:
	s_wait_alu 0xfffe
	s_and_not1_saveexec_b32 s0, s0
; %bb.74:
	v_add_co_u32 v13, vcc_lo, v15, v0
	s_wait_alu 0xfffd
	v_add_co_ci_u32_e64 v14, null, 0, v17, vcc_lo
; %bb.75:
	s_wait_alu 0xfffe
	s_or_b32 exec_lo, exec_lo, s0
	s_delay_alu instid0(VALU_DEP_1) | instskip(SKIP_1) | instid1(VALU_DEP_1)
	v_lshlrev_b64_e32 v[13:14], 2, v[13:14]
	s_mov_b32 s0, exec_lo
	v_add_co_u32 v13, vcc_lo, s10, v13
	s_wait_alu 0xfffd
	s_delay_alu instid0(VALU_DEP_2)
	v_add_co_ci_u32_e64 v14, null, s11, v14, vcc_lo
	s_wait_dscnt 0x6
	global_store_b32 v[13:14], v11, off
                                        ; implicit-def: $vgpr13_vgpr14
	v_cmpx_ge_u32_e64 v41, v16
	s_wait_alu 0xfffe
	s_xor_b32 s0, exec_lo, s0
; %bb.76:
	v_xor_b32_e32 v13, 0xfffffeff, v0
	s_delay_alu instid0(VALU_DEP_1) | instskip(SKIP_2) | instid1(VALU_DEP_2)
	v_ashrrev_i32_e32 v14, 31, v13
	v_add_co_u32 v13, vcc_lo, v19, v13
	s_wait_alu 0xfffd
	v_add_co_ci_u32_e64 v14, null, v20, v14, vcc_lo
; %bb.77:
	s_wait_alu 0xfffe
	s_and_not1_saveexec_b32 s0, s0
; %bb.78:
	v_add_co_u32 v13, vcc_lo, v15, v41
	s_wait_alu 0xfffd
	v_add_co_ci_u32_e64 v14, null, 0, v17, vcc_lo
; %bb.79:
	s_wait_alu 0xfffe
	s_or_b32 exec_lo, exec_lo, s0
	s_delay_alu instid0(VALU_DEP_1) | instskip(SKIP_1) | instid1(VALU_DEP_1)
	v_lshlrev_b64_e32 v[13:14], 2, v[13:14]
	s_mov_b32 s0, exec_lo
	v_add_co_u32 v13, vcc_lo, s10, v13
	s_wait_alu 0xfffd
	s_delay_alu instid0(VALU_DEP_2)
	v_add_co_ci_u32_e64 v14, null, s11, v14, vcc_lo
	global_store_b32 v[13:14], v12, off
                                        ; implicit-def: $vgpr13_vgpr14
	v_cmpx_ge_u32_e64 v40, v16
	s_wait_alu 0xfffe
	s_xor_b32 s0, exec_lo, s0
; %bb.80:
	v_xor_b32_e32 v13, 0xfffffdff, v0
	s_delay_alu instid0(VALU_DEP_1) | instskip(SKIP_2) | instid1(VALU_DEP_2)
	v_ashrrev_i32_e32 v14, 31, v13
	v_add_co_u32 v13, vcc_lo, v19, v13
	s_wait_alu 0xfffd
	v_add_co_ci_u32_e64 v14, null, v20, v14, vcc_lo
; %bb.81:
	s_wait_alu 0xfffe
	s_and_not1_saveexec_b32 s0, s0
; %bb.82:
	v_add_co_u32 v13, vcc_lo, v15, v40
	s_wait_alu 0xfffd
	v_add_co_ci_u32_e64 v14, null, 0, v17, vcc_lo
; %bb.83:
	s_wait_alu 0xfffe
	s_or_b32 exec_lo, exec_lo, s0
	s_delay_alu instid0(VALU_DEP_1) | instskip(SKIP_1) | instid1(VALU_DEP_1)
	v_lshlrev_b64_e32 v[13:14], 2, v[13:14]
	s_mov_b32 s0, exec_lo
	v_add_co_u32 v13, vcc_lo, s10, v13
	s_wait_alu 0xfffd
	s_delay_alu instid0(VALU_DEP_2)
	v_add_co_ci_u32_e64 v14, null, s11, v14, vcc_lo
	s_wait_dscnt 0x5
	global_store_b32 v[13:14], v9, off
                                        ; implicit-def: $vgpr13_vgpr14
	v_cmpx_ge_u32_e64 v39, v16
	s_wait_alu 0xfffe
	s_xor_b32 s0, exec_lo, s0
; %bb.84:
	v_xor_b32_e32 v13, 0xfffffcff, v0
	s_delay_alu instid0(VALU_DEP_1) | instskip(SKIP_2) | instid1(VALU_DEP_2)
	v_ashrrev_i32_e32 v14, 31, v13
	v_add_co_u32 v13, vcc_lo, v19, v13
	s_wait_alu 0xfffd
	v_add_co_ci_u32_e64 v14, null, v20, v14, vcc_lo
; %bb.85:
	s_wait_alu 0xfffe
	s_and_not1_saveexec_b32 s0, s0
; %bb.86:
	v_add_co_u32 v13, vcc_lo, v15, v39
	s_wait_alu 0xfffd
	v_add_co_ci_u32_e64 v14, null, 0, v17, vcc_lo
; %bb.87:
	s_wait_alu 0xfffe
	s_or_b32 exec_lo, exec_lo, s0
	s_delay_alu instid0(VALU_DEP_1) | instskip(SKIP_1) | instid1(VALU_DEP_1)
	v_lshlrev_b64_e32 v[13:14], 2, v[13:14]
	s_mov_b32 s0, exec_lo
	v_add_co_u32 v13, vcc_lo, s10, v13
	s_wait_alu 0xfffd
	s_delay_alu instid0(VALU_DEP_2)
	v_add_co_ci_u32_e64 v14, null, s11, v14, vcc_lo
	global_store_b32 v[13:14], v10, off
                                        ; implicit-def: $vgpr13_vgpr14
	v_cmpx_ge_u32_e64 v38, v16
	s_wait_alu 0xfffe
	s_xor_b32 s0, exec_lo, s0
; %bb.88:
	v_xor_b32_e32 v13, 0xfffffbff, v0
	;; [unrolled: 59-line block ×6, first 2 shown]
	s_delay_alu instid0(VALU_DEP_1) | instskip(SKIP_2) | instid1(VALU_DEP_2)
	v_ashrrev_i32_e32 v14, 31, v13
	v_add_co_u32 v13, vcc_lo, v19, v13
	s_wait_alu 0xfffd
	v_add_co_ci_u32_e64 v14, null, v20, v14, vcc_lo
; %bb.121:
	s_wait_alu 0xfffe
	s_and_not1_saveexec_b32 s0, s0
; %bb.122:
	v_add_co_u32 v13, vcc_lo, v15, v30
	s_wait_alu 0xfffd
	v_add_co_ci_u32_e64 v14, null, 0, v17, vcc_lo
; %bb.123:
	s_wait_alu 0xfffe
	s_or_b32 exec_lo, exec_lo, s0
	s_mov_b32 s0, -1
	s_branch .LBB1608_204
.LBB1608_124:
	s_mov_b32 s0, 0
                                        ; implicit-def: $vgpr13_vgpr14
	s_cbranch_execz .LBB1608_204
; %bb.125:
	s_mov_b32 s17, 0
	s_delay_alu instid0(SALU_CYCLE_1)
	s_add_nc_u64 s[2:3], s[12:13], s[16:17]
	s_wait_alu 0xfffe
	s_sub_nc_u64 s[2:3], s[14:15], s[2:3]
	s_wait_alu 0xfffe
	v_add_co_u32 v13, s1, s2, v16
	s_wait_alu 0xf1ff
	v_add_co_ci_u32_e64 v14, null, s3, 0, s1
	s_mov_b32 s1, exec_lo
	v_add_co_u32 v19, vcc_lo, v13, v15
	s_wait_alu 0xfffd
	v_add_co_ci_u32_e64 v20, null, v14, v17, vcc_lo
	v_cmpx_gt_u32_e64 s23, v0
	s_cbranch_execz .LBB1608_161
; %bb.126:
	s_mov_b32 s2, exec_lo
                                        ; implicit-def: $vgpr13_vgpr14
	v_cmpx_ge_u32_e64 v0, v16
	s_wait_alu 0xfffe
	s_xor_b32 s2, exec_lo, s2
; %bb.127:
	v_not_b32_e32 v13, v0
	s_delay_alu instid0(VALU_DEP_1) | instskip(SKIP_2) | instid1(VALU_DEP_2)
	v_ashrrev_i32_e32 v14, 31, v13
	v_add_co_u32 v13, vcc_lo, v19, v13
	s_wait_alu 0xfffd
	v_add_co_ci_u32_e64 v14, null, v20, v14, vcc_lo
; %bb.128:
	s_wait_alu 0xfffe
	s_and_not1_saveexec_b32 s2, s2
; %bb.129:
	v_add_co_u32 v13, vcc_lo, v15, v0
	s_wait_alu 0xfffd
	v_add_co_ci_u32_e64 v14, null, 0, v17, vcc_lo
; %bb.130:
	s_wait_alu 0xfffe
	s_or_b32 exec_lo, exec_lo, s2
	s_delay_alu instid0(VALU_DEP_1) | instskip(NEXT) | instid1(VALU_DEP_1)
	v_lshlrev_b64_e32 v[13:14], 2, v[13:14]
	v_add_co_u32 v13, vcc_lo, s10, v13
	s_wait_alu 0xfffd
	s_delay_alu instid0(VALU_DEP_2) | instskip(SKIP_3) | instid1(SALU_CYCLE_1)
	v_add_co_ci_u32_e64 v14, null, s11, v14, vcc_lo
	s_wait_dscnt 0x6
	global_store_b32 v[13:14], v11, off
	s_or_b32 exec_lo, exec_lo, s1
	s_mov_b32 s1, exec_lo
	v_cmpx_gt_u32_e64 s23, v41
	s_cbranch_execnz .LBB1608_162
.LBB1608_131:
	s_wait_alu 0xfffe
	s_or_b32 exec_lo, exec_lo, s1
	s_delay_alu instid0(SALU_CYCLE_1)
	s_mov_b32 s1, exec_lo
	v_cmpx_gt_u32_e64 s23, v40
	s_cbranch_execz .LBB1608_167
.LBB1608_132:
	s_mov_b32 s2, exec_lo
                                        ; implicit-def: $vgpr11_vgpr12
	v_cmpx_ge_u32_e64 v40, v16
	s_wait_alu 0xfffe
	s_xor_b32 s2, exec_lo, s2
	s_cbranch_execz .LBB1608_134
; %bb.133:
	s_wait_dscnt 0x6
	v_xor_b32_e32 v11, 0xfffffdff, v0
                                        ; implicit-def: $vgpr40
	s_delay_alu instid0(VALU_DEP_1) | instskip(SKIP_2) | instid1(VALU_DEP_2)
	v_ashrrev_i32_e32 v12, 31, v11
	v_add_co_u32 v11, vcc_lo, v19, v11
	s_wait_alu 0xfffd
	v_add_co_ci_u32_e64 v12, null, v20, v12, vcc_lo
.LBB1608_134:
	s_wait_alu 0xfffe
	s_and_not1_saveexec_b32 s2, s2
	s_cbranch_execz .LBB1608_136
; %bb.135:
	s_wait_dscnt 0x6
	v_add_co_u32 v11, vcc_lo, v15, v40
	s_wait_alu 0xfffd
	v_add_co_ci_u32_e64 v12, null, 0, v17, vcc_lo
.LBB1608_136:
	s_wait_alu 0xfffe
	s_or_b32 exec_lo, exec_lo, s2
	s_wait_dscnt 0x6
	s_delay_alu instid0(VALU_DEP_1) | instskip(NEXT) | instid1(VALU_DEP_1)
	v_lshlrev_b64_e32 v[11:12], 2, v[11:12]
	v_add_co_u32 v11, vcc_lo, s10, v11
	s_wait_alu 0xfffd
	s_delay_alu instid0(VALU_DEP_2) | instskip(SKIP_3) | instid1(SALU_CYCLE_1)
	v_add_co_ci_u32_e64 v12, null, s11, v12, vcc_lo
	s_wait_dscnt 0x5
	global_store_b32 v[11:12], v9, off
	s_or_b32 exec_lo, exec_lo, s1
	s_mov_b32 s1, exec_lo
	v_cmpx_gt_u32_e64 s23, v39
	s_cbranch_execnz .LBB1608_168
.LBB1608_137:
	s_wait_alu 0xfffe
	s_or_b32 exec_lo, exec_lo, s1
	s_delay_alu instid0(SALU_CYCLE_1)
	s_mov_b32 s1, exec_lo
	v_cmpx_gt_u32_e64 s23, v38
	s_cbranch_execz .LBB1608_173
.LBB1608_138:
	s_mov_b32 s2, exec_lo
                                        ; implicit-def: $vgpr9_vgpr10
	v_cmpx_ge_u32_e64 v38, v16
	s_wait_alu 0xfffe
	s_xor_b32 s2, exec_lo, s2
	s_cbranch_execz .LBB1608_140
; %bb.139:
	s_wait_dscnt 0x5
	v_xor_b32_e32 v9, 0xfffffbff, v0
                                        ; implicit-def: $vgpr38
	s_delay_alu instid0(VALU_DEP_1) | instskip(SKIP_2) | instid1(VALU_DEP_2)
	v_ashrrev_i32_e32 v10, 31, v9
	v_add_co_u32 v9, vcc_lo, v19, v9
	s_wait_alu 0xfffd
	v_add_co_ci_u32_e64 v10, null, v20, v10, vcc_lo
.LBB1608_140:
	s_wait_alu 0xfffe
	s_and_not1_saveexec_b32 s2, s2
	s_cbranch_execz .LBB1608_142
; %bb.141:
	s_wait_dscnt 0x5
	v_add_co_u32 v9, vcc_lo, v15, v38
	s_wait_alu 0xfffd
	v_add_co_ci_u32_e64 v10, null, 0, v17, vcc_lo
.LBB1608_142:
	s_wait_alu 0xfffe
	s_or_b32 exec_lo, exec_lo, s2
	s_wait_dscnt 0x5
	s_delay_alu instid0(VALU_DEP_1) | instskip(NEXT) | instid1(VALU_DEP_1)
	v_lshlrev_b64_e32 v[9:10], 2, v[9:10]
	v_add_co_u32 v9, vcc_lo, s10, v9
	s_wait_alu 0xfffd
	s_delay_alu instid0(VALU_DEP_2) | instskip(SKIP_3) | instid1(SALU_CYCLE_1)
	v_add_co_ci_u32_e64 v10, null, s11, v10, vcc_lo
	s_wait_dscnt 0x4
	global_store_b32 v[9:10], v7, off
	s_or_b32 exec_lo, exec_lo, s1
	s_mov_b32 s1, exec_lo
	v_cmpx_gt_u32_e64 s23, v37
	s_cbranch_execnz .LBB1608_174
.LBB1608_143:
	s_wait_alu 0xfffe
	s_or_b32 exec_lo, exec_lo, s1
	s_delay_alu instid0(SALU_CYCLE_1)
	s_mov_b32 s1, exec_lo
	v_cmpx_gt_u32_e64 s23, v36
	s_cbranch_execz .LBB1608_179
.LBB1608_144:
	s_mov_b32 s2, exec_lo
                                        ; implicit-def: $vgpr7_vgpr8
	v_cmpx_ge_u32_e64 v36, v16
	s_wait_alu 0xfffe
	s_xor_b32 s2, exec_lo, s2
	s_cbranch_execz .LBB1608_146
; %bb.145:
	s_wait_dscnt 0x4
	v_xor_b32_e32 v7, 0xfffff9ff, v0
                                        ; implicit-def: $vgpr36
	s_delay_alu instid0(VALU_DEP_1) | instskip(SKIP_2) | instid1(VALU_DEP_2)
	v_ashrrev_i32_e32 v8, 31, v7
	v_add_co_u32 v7, vcc_lo, v19, v7
	s_wait_alu 0xfffd
	v_add_co_ci_u32_e64 v8, null, v20, v8, vcc_lo
.LBB1608_146:
	s_wait_alu 0xfffe
	s_and_not1_saveexec_b32 s2, s2
	s_cbranch_execz .LBB1608_148
; %bb.147:
	s_wait_dscnt 0x4
	v_add_co_u32 v7, vcc_lo, v15, v36
	s_wait_alu 0xfffd
	v_add_co_ci_u32_e64 v8, null, 0, v17, vcc_lo
.LBB1608_148:
	s_wait_alu 0xfffe
	s_or_b32 exec_lo, exec_lo, s2
	s_wait_dscnt 0x4
	s_delay_alu instid0(VALU_DEP_1) | instskip(NEXT) | instid1(VALU_DEP_1)
	v_lshlrev_b64_e32 v[7:8], 2, v[7:8]
	v_add_co_u32 v7, vcc_lo, s10, v7
	s_wait_alu 0xfffd
	s_delay_alu instid0(VALU_DEP_2) | instskip(SKIP_3) | instid1(SALU_CYCLE_1)
	v_add_co_ci_u32_e64 v8, null, s11, v8, vcc_lo
	s_wait_dscnt 0x3
	global_store_b32 v[7:8], v5, off
	s_or_b32 exec_lo, exec_lo, s1
	s_mov_b32 s1, exec_lo
	v_cmpx_gt_u32_e64 s23, v35
	s_cbranch_execnz .LBB1608_180
.LBB1608_149:
	s_wait_alu 0xfffe
	s_or_b32 exec_lo, exec_lo, s1
	s_delay_alu instid0(SALU_CYCLE_1)
	s_mov_b32 s1, exec_lo
	v_cmpx_gt_u32_e64 s23, v34
	s_cbranch_execz .LBB1608_185
.LBB1608_150:
	s_mov_b32 s2, exec_lo
                                        ; implicit-def: $vgpr5_vgpr6
	v_cmpx_ge_u32_e64 v34, v16
	s_wait_alu 0xfffe
	s_xor_b32 s2, exec_lo, s2
	s_cbranch_execz .LBB1608_152
; %bb.151:
	s_wait_dscnt 0x3
	v_xor_b32_e32 v5, 0xfffff7ff, v0
                                        ; implicit-def: $vgpr34
	s_delay_alu instid0(VALU_DEP_1) | instskip(SKIP_2) | instid1(VALU_DEP_2)
	v_ashrrev_i32_e32 v6, 31, v5
	v_add_co_u32 v5, vcc_lo, v19, v5
	s_wait_alu 0xfffd
	v_add_co_ci_u32_e64 v6, null, v20, v6, vcc_lo
.LBB1608_152:
	s_wait_alu 0xfffe
	s_and_not1_saveexec_b32 s2, s2
	s_cbranch_execz .LBB1608_154
; %bb.153:
	s_wait_dscnt 0x3
	v_add_co_u32 v5, vcc_lo, v15, v34
	s_wait_alu 0xfffd
	v_add_co_ci_u32_e64 v6, null, 0, v17, vcc_lo
.LBB1608_154:
	s_wait_alu 0xfffe
	s_or_b32 exec_lo, exec_lo, s2
	s_wait_dscnt 0x3
	s_delay_alu instid0(VALU_DEP_1) | instskip(NEXT) | instid1(VALU_DEP_1)
	v_lshlrev_b64_e32 v[5:6], 2, v[5:6]
	v_add_co_u32 v5, vcc_lo, s10, v5
	s_wait_alu 0xfffd
	s_delay_alu instid0(VALU_DEP_2) | instskip(SKIP_3) | instid1(SALU_CYCLE_1)
	v_add_co_ci_u32_e64 v6, null, s11, v6, vcc_lo
	s_wait_dscnt 0x2
	global_store_b32 v[5:6], v3, off
	s_or_b32 exec_lo, exec_lo, s1
	s_mov_b32 s1, exec_lo
	v_cmpx_gt_u32_e64 s23, v33
	s_cbranch_execnz .LBB1608_186
.LBB1608_155:
	s_wait_alu 0xfffe
	s_or_b32 exec_lo, exec_lo, s1
	s_delay_alu instid0(SALU_CYCLE_1)
	s_mov_b32 s1, exec_lo
	v_cmpx_gt_u32_e64 s23, v32
	s_cbranch_execz .LBB1608_191
.LBB1608_156:
	s_mov_b32 s2, exec_lo
                                        ; implicit-def: $vgpr3_vgpr4
	v_cmpx_ge_u32_e64 v32, v16
	s_wait_alu 0xfffe
	s_xor_b32 s2, exec_lo, s2
	s_cbranch_execz .LBB1608_158
; %bb.157:
	s_wait_dscnt 0x2
	v_xor_b32_e32 v3, 0xfffff5ff, v0
                                        ; implicit-def: $vgpr32
	s_delay_alu instid0(VALU_DEP_1) | instskip(SKIP_2) | instid1(VALU_DEP_2)
	v_ashrrev_i32_e32 v4, 31, v3
	v_add_co_u32 v3, vcc_lo, v19, v3
	s_wait_alu 0xfffd
	v_add_co_ci_u32_e64 v4, null, v20, v4, vcc_lo
.LBB1608_158:
	s_wait_alu 0xfffe
	s_and_not1_saveexec_b32 s2, s2
	s_cbranch_execz .LBB1608_160
; %bb.159:
	s_wait_dscnt 0x2
	v_add_co_u32 v3, vcc_lo, v15, v32
	s_wait_alu 0xfffd
	v_add_co_ci_u32_e64 v4, null, 0, v17, vcc_lo
.LBB1608_160:
	s_wait_alu 0xfffe
	s_or_b32 exec_lo, exec_lo, s2
	s_wait_dscnt 0x2
	s_delay_alu instid0(VALU_DEP_1) | instskip(NEXT) | instid1(VALU_DEP_1)
	v_lshlrev_b64_e32 v[3:4], 2, v[3:4]
	v_add_co_u32 v3, vcc_lo, s10, v3
	s_wait_alu 0xfffd
	s_delay_alu instid0(VALU_DEP_2) | instskip(SKIP_3) | instid1(SALU_CYCLE_1)
	v_add_co_ci_u32_e64 v4, null, s11, v4, vcc_lo
	s_wait_dscnt 0x1
	global_store_b32 v[3:4], v1, off
	s_or_b32 exec_lo, exec_lo, s1
	s_mov_b32 s1, exec_lo
	v_cmpx_gt_u32_e64 s23, v31
	s_cbranch_execz .LBB1608_197
	s_branch .LBB1608_192
.LBB1608_161:
	s_wait_alu 0xfffe
	s_or_b32 exec_lo, exec_lo, s1
	s_delay_alu instid0(SALU_CYCLE_1)
	s_mov_b32 s1, exec_lo
	v_cmpx_gt_u32_e64 s23, v41
	s_cbranch_execz .LBB1608_131
.LBB1608_162:
	s_mov_b32 s2, exec_lo
                                        ; implicit-def: $vgpr13_vgpr14
	v_cmpx_ge_u32_e64 v41, v16
	s_wait_alu 0xfffe
	s_xor_b32 s2, exec_lo, s2
	s_cbranch_execz .LBB1608_164
; %bb.163:
	s_wait_dscnt 0x6
	v_xor_b32_e32 v11, 0xfffffeff, v0
                                        ; implicit-def: $vgpr41
	s_delay_alu instid0(VALU_DEP_1) | instskip(SKIP_2) | instid1(VALU_DEP_2)
	v_ashrrev_i32_e32 v14, 31, v11
	v_add_co_u32 v13, vcc_lo, v19, v11
	s_wait_alu 0xfffd
	v_add_co_ci_u32_e64 v14, null, v20, v14, vcc_lo
.LBB1608_164:
	s_wait_alu 0xfffe
	s_and_not1_saveexec_b32 s2, s2
; %bb.165:
	v_add_co_u32 v13, vcc_lo, v15, v41
	s_wait_alu 0xfffd
	v_add_co_ci_u32_e64 v14, null, 0, v17, vcc_lo
; %bb.166:
	s_wait_alu 0xfffe
	s_or_b32 exec_lo, exec_lo, s2
	s_delay_alu instid0(VALU_DEP_1) | instskip(NEXT) | instid1(VALU_DEP_1)
	v_lshlrev_b64_e32 v[13:14], 2, v[13:14]
	v_add_co_u32 v13, vcc_lo, s10, v13
	s_wait_alu 0xfffd
	s_delay_alu instid0(VALU_DEP_2) | instskip(SKIP_3) | instid1(SALU_CYCLE_1)
	v_add_co_ci_u32_e64 v14, null, s11, v14, vcc_lo
	s_wait_dscnt 0x6
	global_store_b32 v[13:14], v12, off
	s_or_b32 exec_lo, exec_lo, s1
	s_mov_b32 s1, exec_lo
	v_cmpx_gt_u32_e64 s23, v40
	s_cbranch_execnz .LBB1608_132
.LBB1608_167:
	s_wait_alu 0xfffe
	s_or_b32 exec_lo, exec_lo, s1
	s_delay_alu instid0(SALU_CYCLE_1)
	s_mov_b32 s1, exec_lo
	v_cmpx_gt_u32_e64 s23, v39
	s_cbranch_execz .LBB1608_137
.LBB1608_168:
	s_mov_b32 s2, exec_lo
                                        ; implicit-def: $vgpr11_vgpr12
	v_cmpx_ge_u32_e64 v39, v16
	s_wait_alu 0xfffe
	s_xor_b32 s2, exec_lo, s2
	s_cbranch_execz .LBB1608_170
; %bb.169:
	s_wait_dscnt 0x5
	v_xor_b32_e32 v9, 0xfffffcff, v0
                                        ; implicit-def: $vgpr39
	s_delay_alu instid0(VALU_DEP_1) | instskip(SKIP_2) | instid1(VALU_DEP_2)
	v_ashrrev_i32_e32 v12, 31, v9
	v_add_co_u32 v11, vcc_lo, v19, v9
	s_wait_alu 0xfffd
	v_add_co_ci_u32_e64 v12, null, v20, v12, vcc_lo
.LBB1608_170:
	s_wait_alu 0xfffe
	s_and_not1_saveexec_b32 s2, s2
	s_cbranch_execz .LBB1608_172
; %bb.171:
	s_wait_dscnt 0x6
	v_add_co_u32 v11, vcc_lo, v15, v39
	s_wait_alu 0xfffd
	v_add_co_ci_u32_e64 v12, null, 0, v17, vcc_lo
.LBB1608_172:
	s_wait_alu 0xfffe
	s_or_b32 exec_lo, exec_lo, s2
	s_wait_dscnt 0x6
	s_delay_alu instid0(VALU_DEP_1) | instskip(NEXT) | instid1(VALU_DEP_1)
	v_lshlrev_b64_e32 v[11:12], 2, v[11:12]
	v_add_co_u32 v11, vcc_lo, s10, v11
	s_wait_alu 0xfffd
	s_delay_alu instid0(VALU_DEP_2) | instskip(SKIP_3) | instid1(SALU_CYCLE_1)
	v_add_co_ci_u32_e64 v12, null, s11, v12, vcc_lo
	s_wait_dscnt 0x5
	global_store_b32 v[11:12], v10, off
	s_or_b32 exec_lo, exec_lo, s1
	s_mov_b32 s1, exec_lo
	v_cmpx_gt_u32_e64 s23, v38
	s_cbranch_execnz .LBB1608_138
.LBB1608_173:
	s_wait_alu 0xfffe
	s_or_b32 exec_lo, exec_lo, s1
	s_delay_alu instid0(SALU_CYCLE_1)
	s_mov_b32 s1, exec_lo
	v_cmpx_gt_u32_e64 s23, v37
	s_cbranch_execz .LBB1608_143
.LBB1608_174:
	s_mov_b32 s2, exec_lo
                                        ; implicit-def: $vgpr9_vgpr10
	v_cmpx_ge_u32_e64 v37, v16
	s_wait_alu 0xfffe
	s_xor_b32 s2, exec_lo, s2
	s_cbranch_execz .LBB1608_176
; %bb.175:
	s_wait_dscnt 0x4
	v_xor_b32_e32 v7, 0xfffffaff, v0
                                        ; implicit-def: $vgpr37
	s_delay_alu instid0(VALU_DEP_1) | instskip(SKIP_2) | instid1(VALU_DEP_2)
	v_ashrrev_i32_e32 v10, 31, v7
	v_add_co_u32 v9, vcc_lo, v19, v7
	s_wait_alu 0xfffd
	v_add_co_ci_u32_e64 v10, null, v20, v10, vcc_lo
.LBB1608_176:
	s_wait_alu 0xfffe
	s_and_not1_saveexec_b32 s2, s2
	s_cbranch_execz .LBB1608_178
; %bb.177:
	s_wait_dscnt 0x5
	v_add_co_u32 v9, vcc_lo, v15, v37
	s_wait_alu 0xfffd
	v_add_co_ci_u32_e64 v10, null, 0, v17, vcc_lo
.LBB1608_178:
	s_wait_alu 0xfffe
	s_or_b32 exec_lo, exec_lo, s2
	s_wait_dscnt 0x5
	s_delay_alu instid0(VALU_DEP_1) | instskip(NEXT) | instid1(VALU_DEP_1)
	v_lshlrev_b64_e32 v[9:10], 2, v[9:10]
	v_add_co_u32 v9, vcc_lo, s10, v9
	s_wait_alu 0xfffd
	s_delay_alu instid0(VALU_DEP_2) | instskip(SKIP_3) | instid1(SALU_CYCLE_1)
	v_add_co_ci_u32_e64 v10, null, s11, v10, vcc_lo
	s_wait_dscnt 0x4
	global_store_b32 v[9:10], v8, off
	s_or_b32 exec_lo, exec_lo, s1
	s_mov_b32 s1, exec_lo
	v_cmpx_gt_u32_e64 s23, v36
	s_cbranch_execnz .LBB1608_144
.LBB1608_179:
	s_wait_alu 0xfffe
	s_or_b32 exec_lo, exec_lo, s1
	s_delay_alu instid0(SALU_CYCLE_1)
	s_mov_b32 s1, exec_lo
	v_cmpx_gt_u32_e64 s23, v35
	s_cbranch_execz .LBB1608_149
.LBB1608_180:
	s_mov_b32 s2, exec_lo
                                        ; implicit-def: $vgpr7_vgpr8
	v_cmpx_ge_u32_e64 v35, v16
	s_wait_alu 0xfffe
	s_xor_b32 s2, exec_lo, s2
	s_cbranch_execz .LBB1608_182
; %bb.181:
	s_wait_dscnt 0x3
	v_xor_b32_e32 v5, 0xfffff8ff, v0
                                        ; implicit-def: $vgpr35
	s_delay_alu instid0(VALU_DEP_1) | instskip(SKIP_2) | instid1(VALU_DEP_2)
	v_ashrrev_i32_e32 v8, 31, v5
	v_add_co_u32 v7, vcc_lo, v19, v5
	s_wait_alu 0xfffd
	v_add_co_ci_u32_e64 v8, null, v20, v8, vcc_lo
.LBB1608_182:
	s_wait_alu 0xfffe
	s_and_not1_saveexec_b32 s2, s2
	s_cbranch_execz .LBB1608_184
; %bb.183:
	s_wait_dscnt 0x4
	v_add_co_u32 v7, vcc_lo, v15, v35
	s_wait_alu 0xfffd
	v_add_co_ci_u32_e64 v8, null, 0, v17, vcc_lo
.LBB1608_184:
	s_wait_alu 0xfffe
	s_or_b32 exec_lo, exec_lo, s2
	s_wait_dscnt 0x4
	s_delay_alu instid0(VALU_DEP_1) | instskip(NEXT) | instid1(VALU_DEP_1)
	v_lshlrev_b64_e32 v[7:8], 2, v[7:8]
	v_add_co_u32 v7, vcc_lo, s10, v7
	s_wait_alu 0xfffd
	s_delay_alu instid0(VALU_DEP_2) | instskip(SKIP_3) | instid1(SALU_CYCLE_1)
	v_add_co_ci_u32_e64 v8, null, s11, v8, vcc_lo
	s_wait_dscnt 0x3
	global_store_b32 v[7:8], v6, off
	s_or_b32 exec_lo, exec_lo, s1
	s_mov_b32 s1, exec_lo
	v_cmpx_gt_u32_e64 s23, v34
	s_cbranch_execnz .LBB1608_150
.LBB1608_185:
	s_wait_alu 0xfffe
	s_or_b32 exec_lo, exec_lo, s1
	s_delay_alu instid0(SALU_CYCLE_1)
	s_mov_b32 s1, exec_lo
	v_cmpx_gt_u32_e64 s23, v33
	s_cbranch_execz .LBB1608_155
.LBB1608_186:
	s_mov_b32 s2, exec_lo
                                        ; implicit-def: $vgpr5_vgpr6
	v_cmpx_ge_u32_e64 v33, v16
	s_wait_alu 0xfffe
	s_xor_b32 s2, exec_lo, s2
	s_cbranch_execz .LBB1608_188
; %bb.187:
	s_wait_dscnt 0x2
	v_xor_b32_e32 v3, 0xfffff6ff, v0
                                        ; implicit-def: $vgpr33
	s_delay_alu instid0(VALU_DEP_1) | instskip(SKIP_2) | instid1(VALU_DEP_2)
	v_ashrrev_i32_e32 v6, 31, v3
	v_add_co_u32 v5, vcc_lo, v19, v3
	s_wait_alu 0xfffd
	v_add_co_ci_u32_e64 v6, null, v20, v6, vcc_lo
.LBB1608_188:
	s_wait_alu 0xfffe
	s_and_not1_saveexec_b32 s2, s2
	s_cbranch_execz .LBB1608_190
; %bb.189:
	s_wait_dscnt 0x3
	v_add_co_u32 v5, vcc_lo, v15, v33
	s_wait_alu 0xfffd
	v_add_co_ci_u32_e64 v6, null, 0, v17, vcc_lo
.LBB1608_190:
	s_wait_alu 0xfffe
	s_or_b32 exec_lo, exec_lo, s2
	s_wait_dscnt 0x3
	s_delay_alu instid0(VALU_DEP_1) | instskip(NEXT) | instid1(VALU_DEP_1)
	v_lshlrev_b64_e32 v[5:6], 2, v[5:6]
	v_add_co_u32 v5, vcc_lo, s10, v5
	s_wait_alu 0xfffd
	s_delay_alu instid0(VALU_DEP_2) | instskip(SKIP_3) | instid1(SALU_CYCLE_1)
	v_add_co_ci_u32_e64 v6, null, s11, v6, vcc_lo
	s_wait_dscnt 0x2
	global_store_b32 v[5:6], v4, off
	s_or_b32 exec_lo, exec_lo, s1
	s_mov_b32 s1, exec_lo
	v_cmpx_gt_u32_e64 s23, v32
	s_cbranch_execnz .LBB1608_156
.LBB1608_191:
	s_wait_alu 0xfffe
	s_or_b32 exec_lo, exec_lo, s1
	s_delay_alu instid0(SALU_CYCLE_1)
	s_mov_b32 s1, exec_lo
	v_cmpx_gt_u32_e64 s23, v31
	s_cbranch_execz .LBB1608_197
.LBB1608_192:
	s_mov_b32 s2, exec_lo
                                        ; implicit-def: $vgpr3_vgpr4
	v_cmpx_ge_u32_e64 v31, v16
	s_wait_alu 0xfffe
	s_xor_b32 s2, exec_lo, s2
	s_cbranch_execz .LBB1608_194
; %bb.193:
	s_wait_dscnt 0x1
	v_xor_b32_e32 v1, 0xfffff4ff, v0
                                        ; implicit-def: $vgpr31
	s_delay_alu instid0(VALU_DEP_1) | instskip(SKIP_2) | instid1(VALU_DEP_2)
	v_ashrrev_i32_e32 v4, 31, v1
	v_add_co_u32 v3, vcc_lo, v19, v1
	s_wait_alu 0xfffd
	v_add_co_ci_u32_e64 v4, null, v20, v4, vcc_lo
.LBB1608_194:
	s_wait_alu 0xfffe
	s_and_not1_saveexec_b32 s2, s2
	s_cbranch_execz .LBB1608_196
; %bb.195:
	s_wait_dscnt 0x2
	v_add_co_u32 v3, vcc_lo, v15, v31
	s_wait_alu 0xfffd
	v_add_co_ci_u32_e64 v4, null, 0, v17, vcc_lo
.LBB1608_196:
	s_wait_alu 0xfffe
	s_or_b32 exec_lo, exec_lo, s2
	s_wait_dscnt 0x2
	s_delay_alu instid0(VALU_DEP_1) | instskip(NEXT) | instid1(VALU_DEP_1)
	v_lshlrev_b64_e32 v[3:4], 2, v[3:4]
	v_add_co_u32 v3, vcc_lo, s10, v3
	s_wait_alu 0xfffd
	s_delay_alu instid0(VALU_DEP_2)
	v_add_co_ci_u32_e64 v4, null, s11, v4, vcc_lo
	s_wait_dscnt 0x1
	global_store_b32 v[3:4], v2, off
.LBB1608_197:
	s_wait_alu 0xfffe
	s_or_b32 exec_lo, exec_lo, s1
	s_delay_alu instid0(SALU_CYCLE_1)
	s_mov_b32 s1, exec_lo
                                        ; implicit-def: $vgpr13_vgpr14
	v_cmpx_gt_u32_e64 s23, v30
	s_cbranch_execz .LBB1608_203
; %bb.198:
	s_mov_b32 s2, exec_lo
                                        ; implicit-def: $vgpr13_vgpr14
	v_cmpx_ge_u32_e64 v30, v16
	s_wait_alu 0xfffe
	s_xor_b32 s2, exec_lo, s2
	s_cbranch_execz .LBB1608_200
; %bb.199:
	s_wait_dscnt 0x1
	v_xor_b32_e32 v1, 0xfffff3ff, v0
                                        ; implicit-def: $vgpr30
	s_delay_alu instid0(VALU_DEP_1) | instskip(SKIP_2) | instid1(VALU_DEP_2)
	v_ashrrev_i32_e32 v2, 31, v1
	v_add_co_u32 v13, vcc_lo, v19, v1
	s_wait_alu 0xfffd
	v_add_co_ci_u32_e64 v14, null, v20, v2, vcc_lo
.LBB1608_200:
	s_wait_alu 0xfffe
	s_and_not1_saveexec_b32 s2, s2
; %bb.201:
	v_add_co_u32 v13, vcc_lo, v15, v30
	s_wait_alu 0xfffd
	v_add_co_ci_u32_e64 v14, null, 0, v17, vcc_lo
; %bb.202:
	s_wait_alu 0xfffe
	s_or_b32 exec_lo, exec_lo, s2
	s_delay_alu instid0(SALU_CYCLE_1)
	s_or_b32 s0, s0, exec_lo
.LBB1608_203:
	s_wait_alu 0xfffe
	s_or_b32 exec_lo, exec_lo, s1
.LBB1608_204:
	s_wait_alu 0xfffe
	s_and_saveexec_b32 s1, s0
	s_cbranch_execz .LBB1608_206
; %bb.205:
	s_wait_dscnt 0x1
	v_lshlrev_b64_e32 v[1:2], 2, v[13:14]
	s_delay_alu instid0(VALU_DEP_1) | instskip(SKIP_1) | instid1(VALU_DEP_2)
	v_add_co_u32 v1, vcc_lo, s10, v1
	s_wait_alu 0xfffd
	v_add_co_ci_u32_e64 v2, null, s11, v2, vcc_lo
	s_wait_dscnt 0x0
	global_store_b32 v[1:2], v18, off
.LBB1608_206:
	s_wait_alu 0xfffe
	s_or_b32 exec_lo, exec_lo, s1
	v_cmp_eq_u32_e32 vcc_lo, 0, v0
	s_and_b32 s0, vcc_lo, s22
	s_wait_alu 0xfffe
	s_and_saveexec_b32 s1, s0
	s_cbranch_execz .LBB1608_208
; %bb.207:
	v_add_co_u32 v0, vcc_lo, v15, v16
	s_wait_dscnt 0x1
	v_mov_b32_e32 v2, 0
	s_wait_alu 0xfffd
	v_add_co_ci_u32_e64 v1, null, 0, v17, vcc_lo
	global_store_b64 v2, v[0:1], s[8:9]
.LBB1608_208:
	s_endpgm
	.section	.rodata,"a",@progbits
	.p2align	6, 0x0
	.amdhsa_kernel _ZN7rocprim17ROCPRIM_400000_NS6detail17trampoline_kernelINS0_13select_configILj256ELj13ELNS0_17block_load_methodE3ELS4_3ELS4_3ELNS0_20block_scan_algorithmE0ELj4294967295EEENS1_25partition_config_selectorILNS1_17partition_subalgoE3EjNS0_10empty_typeEbEEZZNS1_14partition_implILS8_3ELb0ES6_jNS0_17counting_iteratorIjlEEPS9_SE_NS0_5tupleIJPjSE_EEENSF_IJSE_SE_EEES9_SG_JZNS1_25segmented_radix_sort_implINS0_14default_configELb0EPKbPbPKlPlN2at6native12_GLOBAL__N_18offset_tEEE10hipError_tPvRmT1_PNSt15iterator_traitsISY_E10value_typeET2_T3_PNSZ_IS14_E10value_typeET4_jRbjT5_S1A_jjP12ihipStream_tbEUljE_EEESV_SW_SX_S14_S18_S1A_T6_T7_T9_mT8_S1C_bDpT10_ENKUlT_T0_E_clISt17integral_constantIbLb0EES1P_EEDaS1K_S1L_EUlS1K_E_NS1_11comp_targetILNS1_3genE10ELNS1_11target_archE1200ELNS1_3gpuE4ELNS1_3repE0EEENS1_30default_config_static_selectorELNS0_4arch9wavefront6targetE0EEEvSY_
		.amdhsa_group_segment_fixed_size 13320
		.amdhsa_private_segment_fixed_size 0
		.amdhsa_kernarg_size 144
		.amdhsa_user_sgpr_count 2
		.amdhsa_user_sgpr_dispatch_ptr 0
		.amdhsa_user_sgpr_queue_ptr 0
		.amdhsa_user_sgpr_kernarg_segment_ptr 1
		.amdhsa_user_sgpr_dispatch_id 0
		.amdhsa_user_sgpr_private_segment_size 0
		.amdhsa_wavefront_size32 1
		.amdhsa_uses_dynamic_stack 0
		.amdhsa_enable_private_segment 0
		.amdhsa_system_sgpr_workgroup_id_x 1
		.amdhsa_system_sgpr_workgroup_id_y 0
		.amdhsa_system_sgpr_workgroup_id_z 0
		.amdhsa_system_sgpr_workgroup_info 0
		.amdhsa_system_vgpr_workitem_id 0
		.amdhsa_next_free_vgpr 69
		.amdhsa_next_free_sgpr 26
		.amdhsa_reserve_vcc 1
		.amdhsa_float_round_mode_32 0
		.amdhsa_float_round_mode_16_64 0
		.amdhsa_float_denorm_mode_32 3
		.amdhsa_float_denorm_mode_16_64 3
		.amdhsa_fp16_overflow 0
		.amdhsa_workgroup_processor_mode 1
		.amdhsa_memory_ordered 1
		.amdhsa_forward_progress 1
		.amdhsa_inst_pref_size 84
		.amdhsa_round_robin_scheduling 0
		.amdhsa_exception_fp_ieee_invalid_op 0
		.amdhsa_exception_fp_denorm_src 0
		.amdhsa_exception_fp_ieee_div_zero 0
		.amdhsa_exception_fp_ieee_overflow 0
		.amdhsa_exception_fp_ieee_underflow 0
		.amdhsa_exception_fp_ieee_inexact 0
		.amdhsa_exception_int_div_zero 0
	.end_amdhsa_kernel
	.section	.text._ZN7rocprim17ROCPRIM_400000_NS6detail17trampoline_kernelINS0_13select_configILj256ELj13ELNS0_17block_load_methodE3ELS4_3ELS4_3ELNS0_20block_scan_algorithmE0ELj4294967295EEENS1_25partition_config_selectorILNS1_17partition_subalgoE3EjNS0_10empty_typeEbEEZZNS1_14partition_implILS8_3ELb0ES6_jNS0_17counting_iteratorIjlEEPS9_SE_NS0_5tupleIJPjSE_EEENSF_IJSE_SE_EEES9_SG_JZNS1_25segmented_radix_sort_implINS0_14default_configELb0EPKbPbPKlPlN2at6native12_GLOBAL__N_18offset_tEEE10hipError_tPvRmT1_PNSt15iterator_traitsISY_E10value_typeET2_T3_PNSZ_IS14_E10value_typeET4_jRbjT5_S1A_jjP12ihipStream_tbEUljE_EEESV_SW_SX_S14_S18_S1A_T6_T7_T9_mT8_S1C_bDpT10_ENKUlT_T0_E_clISt17integral_constantIbLb0EES1P_EEDaS1K_S1L_EUlS1K_E_NS1_11comp_targetILNS1_3genE10ELNS1_11target_archE1200ELNS1_3gpuE4ELNS1_3repE0EEENS1_30default_config_static_selectorELNS0_4arch9wavefront6targetE0EEEvSY_,"axG",@progbits,_ZN7rocprim17ROCPRIM_400000_NS6detail17trampoline_kernelINS0_13select_configILj256ELj13ELNS0_17block_load_methodE3ELS4_3ELS4_3ELNS0_20block_scan_algorithmE0ELj4294967295EEENS1_25partition_config_selectorILNS1_17partition_subalgoE3EjNS0_10empty_typeEbEEZZNS1_14partition_implILS8_3ELb0ES6_jNS0_17counting_iteratorIjlEEPS9_SE_NS0_5tupleIJPjSE_EEENSF_IJSE_SE_EEES9_SG_JZNS1_25segmented_radix_sort_implINS0_14default_configELb0EPKbPbPKlPlN2at6native12_GLOBAL__N_18offset_tEEE10hipError_tPvRmT1_PNSt15iterator_traitsISY_E10value_typeET2_T3_PNSZ_IS14_E10value_typeET4_jRbjT5_S1A_jjP12ihipStream_tbEUljE_EEESV_SW_SX_S14_S18_S1A_T6_T7_T9_mT8_S1C_bDpT10_ENKUlT_T0_E_clISt17integral_constantIbLb0EES1P_EEDaS1K_S1L_EUlS1K_E_NS1_11comp_targetILNS1_3genE10ELNS1_11target_archE1200ELNS1_3gpuE4ELNS1_3repE0EEENS1_30default_config_static_selectorELNS0_4arch9wavefront6targetE0EEEvSY_,comdat
.Lfunc_end1608:
	.size	_ZN7rocprim17ROCPRIM_400000_NS6detail17trampoline_kernelINS0_13select_configILj256ELj13ELNS0_17block_load_methodE3ELS4_3ELS4_3ELNS0_20block_scan_algorithmE0ELj4294967295EEENS1_25partition_config_selectorILNS1_17partition_subalgoE3EjNS0_10empty_typeEbEEZZNS1_14partition_implILS8_3ELb0ES6_jNS0_17counting_iteratorIjlEEPS9_SE_NS0_5tupleIJPjSE_EEENSF_IJSE_SE_EEES9_SG_JZNS1_25segmented_radix_sort_implINS0_14default_configELb0EPKbPbPKlPlN2at6native12_GLOBAL__N_18offset_tEEE10hipError_tPvRmT1_PNSt15iterator_traitsISY_E10value_typeET2_T3_PNSZ_IS14_E10value_typeET4_jRbjT5_S1A_jjP12ihipStream_tbEUljE_EEESV_SW_SX_S14_S18_S1A_T6_T7_T9_mT8_S1C_bDpT10_ENKUlT_T0_E_clISt17integral_constantIbLb0EES1P_EEDaS1K_S1L_EUlS1K_E_NS1_11comp_targetILNS1_3genE10ELNS1_11target_archE1200ELNS1_3gpuE4ELNS1_3repE0EEENS1_30default_config_static_selectorELNS0_4arch9wavefront6targetE0EEEvSY_, .Lfunc_end1608-_ZN7rocprim17ROCPRIM_400000_NS6detail17trampoline_kernelINS0_13select_configILj256ELj13ELNS0_17block_load_methodE3ELS4_3ELS4_3ELNS0_20block_scan_algorithmE0ELj4294967295EEENS1_25partition_config_selectorILNS1_17partition_subalgoE3EjNS0_10empty_typeEbEEZZNS1_14partition_implILS8_3ELb0ES6_jNS0_17counting_iteratorIjlEEPS9_SE_NS0_5tupleIJPjSE_EEENSF_IJSE_SE_EEES9_SG_JZNS1_25segmented_radix_sort_implINS0_14default_configELb0EPKbPbPKlPlN2at6native12_GLOBAL__N_18offset_tEEE10hipError_tPvRmT1_PNSt15iterator_traitsISY_E10value_typeET2_T3_PNSZ_IS14_E10value_typeET4_jRbjT5_S1A_jjP12ihipStream_tbEUljE_EEESV_SW_SX_S14_S18_S1A_T6_T7_T9_mT8_S1C_bDpT10_ENKUlT_T0_E_clISt17integral_constantIbLb0EES1P_EEDaS1K_S1L_EUlS1K_E_NS1_11comp_targetILNS1_3genE10ELNS1_11target_archE1200ELNS1_3gpuE4ELNS1_3repE0EEENS1_30default_config_static_selectorELNS0_4arch9wavefront6targetE0EEEvSY_
                                        ; -- End function
	.set _ZN7rocprim17ROCPRIM_400000_NS6detail17trampoline_kernelINS0_13select_configILj256ELj13ELNS0_17block_load_methodE3ELS4_3ELS4_3ELNS0_20block_scan_algorithmE0ELj4294967295EEENS1_25partition_config_selectorILNS1_17partition_subalgoE3EjNS0_10empty_typeEbEEZZNS1_14partition_implILS8_3ELb0ES6_jNS0_17counting_iteratorIjlEEPS9_SE_NS0_5tupleIJPjSE_EEENSF_IJSE_SE_EEES9_SG_JZNS1_25segmented_radix_sort_implINS0_14default_configELb0EPKbPbPKlPlN2at6native12_GLOBAL__N_18offset_tEEE10hipError_tPvRmT1_PNSt15iterator_traitsISY_E10value_typeET2_T3_PNSZ_IS14_E10value_typeET4_jRbjT5_S1A_jjP12ihipStream_tbEUljE_EEESV_SW_SX_S14_S18_S1A_T6_T7_T9_mT8_S1C_bDpT10_ENKUlT_T0_E_clISt17integral_constantIbLb0EES1P_EEDaS1K_S1L_EUlS1K_E_NS1_11comp_targetILNS1_3genE10ELNS1_11target_archE1200ELNS1_3gpuE4ELNS1_3repE0EEENS1_30default_config_static_selectorELNS0_4arch9wavefront6targetE0EEEvSY_.num_vgpr, 69
	.set _ZN7rocprim17ROCPRIM_400000_NS6detail17trampoline_kernelINS0_13select_configILj256ELj13ELNS0_17block_load_methodE3ELS4_3ELS4_3ELNS0_20block_scan_algorithmE0ELj4294967295EEENS1_25partition_config_selectorILNS1_17partition_subalgoE3EjNS0_10empty_typeEbEEZZNS1_14partition_implILS8_3ELb0ES6_jNS0_17counting_iteratorIjlEEPS9_SE_NS0_5tupleIJPjSE_EEENSF_IJSE_SE_EEES9_SG_JZNS1_25segmented_radix_sort_implINS0_14default_configELb0EPKbPbPKlPlN2at6native12_GLOBAL__N_18offset_tEEE10hipError_tPvRmT1_PNSt15iterator_traitsISY_E10value_typeET2_T3_PNSZ_IS14_E10value_typeET4_jRbjT5_S1A_jjP12ihipStream_tbEUljE_EEESV_SW_SX_S14_S18_S1A_T6_T7_T9_mT8_S1C_bDpT10_ENKUlT_T0_E_clISt17integral_constantIbLb0EES1P_EEDaS1K_S1L_EUlS1K_E_NS1_11comp_targetILNS1_3genE10ELNS1_11target_archE1200ELNS1_3gpuE4ELNS1_3repE0EEENS1_30default_config_static_selectorELNS0_4arch9wavefront6targetE0EEEvSY_.num_agpr, 0
	.set _ZN7rocprim17ROCPRIM_400000_NS6detail17trampoline_kernelINS0_13select_configILj256ELj13ELNS0_17block_load_methodE3ELS4_3ELS4_3ELNS0_20block_scan_algorithmE0ELj4294967295EEENS1_25partition_config_selectorILNS1_17partition_subalgoE3EjNS0_10empty_typeEbEEZZNS1_14partition_implILS8_3ELb0ES6_jNS0_17counting_iteratorIjlEEPS9_SE_NS0_5tupleIJPjSE_EEENSF_IJSE_SE_EEES9_SG_JZNS1_25segmented_radix_sort_implINS0_14default_configELb0EPKbPbPKlPlN2at6native12_GLOBAL__N_18offset_tEEE10hipError_tPvRmT1_PNSt15iterator_traitsISY_E10value_typeET2_T3_PNSZ_IS14_E10value_typeET4_jRbjT5_S1A_jjP12ihipStream_tbEUljE_EEESV_SW_SX_S14_S18_S1A_T6_T7_T9_mT8_S1C_bDpT10_ENKUlT_T0_E_clISt17integral_constantIbLb0EES1P_EEDaS1K_S1L_EUlS1K_E_NS1_11comp_targetILNS1_3genE10ELNS1_11target_archE1200ELNS1_3gpuE4ELNS1_3repE0EEENS1_30default_config_static_selectorELNS0_4arch9wavefront6targetE0EEEvSY_.numbered_sgpr, 26
	.set _ZN7rocprim17ROCPRIM_400000_NS6detail17trampoline_kernelINS0_13select_configILj256ELj13ELNS0_17block_load_methodE3ELS4_3ELS4_3ELNS0_20block_scan_algorithmE0ELj4294967295EEENS1_25partition_config_selectorILNS1_17partition_subalgoE3EjNS0_10empty_typeEbEEZZNS1_14partition_implILS8_3ELb0ES6_jNS0_17counting_iteratorIjlEEPS9_SE_NS0_5tupleIJPjSE_EEENSF_IJSE_SE_EEES9_SG_JZNS1_25segmented_radix_sort_implINS0_14default_configELb0EPKbPbPKlPlN2at6native12_GLOBAL__N_18offset_tEEE10hipError_tPvRmT1_PNSt15iterator_traitsISY_E10value_typeET2_T3_PNSZ_IS14_E10value_typeET4_jRbjT5_S1A_jjP12ihipStream_tbEUljE_EEESV_SW_SX_S14_S18_S1A_T6_T7_T9_mT8_S1C_bDpT10_ENKUlT_T0_E_clISt17integral_constantIbLb0EES1P_EEDaS1K_S1L_EUlS1K_E_NS1_11comp_targetILNS1_3genE10ELNS1_11target_archE1200ELNS1_3gpuE4ELNS1_3repE0EEENS1_30default_config_static_selectorELNS0_4arch9wavefront6targetE0EEEvSY_.num_named_barrier, 0
	.set _ZN7rocprim17ROCPRIM_400000_NS6detail17trampoline_kernelINS0_13select_configILj256ELj13ELNS0_17block_load_methodE3ELS4_3ELS4_3ELNS0_20block_scan_algorithmE0ELj4294967295EEENS1_25partition_config_selectorILNS1_17partition_subalgoE3EjNS0_10empty_typeEbEEZZNS1_14partition_implILS8_3ELb0ES6_jNS0_17counting_iteratorIjlEEPS9_SE_NS0_5tupleIJPjSE_EEENSF_IJSE_SE_EEES9_SG_JZNS1_25segmented_radix_sort_implINS0_14default_configELb0EPKbPbPKlPlN2at6native12_GLOBAL__N_18offset_tEEE10hipError_tPvRmT1_PNSt15iterator_traitsISY_E10value_typeET2_T3_PNSZ_IS14_E10value_typeET4_jRbjT5_S1A_jjP12ihipStream_tbEUljE_EEESV_SW_SX_S14_S18_S1A_T6_T7_T9_mT8_S1C_bDpT10_ENKUlT_T0_E_clISt17integral_constantIbLb0EES1P_EEDaS1K_S1L_EUlS1K_E_NS1_11comp_targetILNS1_3genE10ELNS1_11target_archE1200ELNS1_3gpuE4ELNS1_3repE0EEENS1_30default_config_static_selectorELNS0_4arch9wavefront6targetE0EEEvSY_.private_seg_size, 0
	.set _ZN7rocprim17ROCPRIM_400000_NS6detail17trampoline_kernelINS0_13select_configILj256ELj13ELNS0_17block_load_methodE3ELS4_3ELS4_3ELNS0_20block_scan_algorithmE0ELj4294967295EEENS1_25partition_config_selectorILNS1_17partition_subalgoE3EjNS0_10empty_typeEbEEZZNS1_14partition_implILS8_3ELb0ES6_jNS0_17counting_iteratorIjlEEPS9_SE_NS0_5tupleIJPjSE_EEENSF_IJSE_SE_EEES9_SG_JZNS1_25segmented_radix_sort_implINS0_14default_configELb0EPKbPbPKlPlN2at6native12_GLOBAL__N_18offset_tEEE10hipError_tPvRmT1_PNSt15iterator_traitsISY_E10value_typeET2_T3_PNSZ_IS14_E10value_typeET4_jRbjT5_S1A_jjP12ihipStream_tbEUljE_EEESV_SW_SX_S14_S18_S1A_T6_T7_T9_mT8_S1C_bDpT10_ENKUlT_T0_E_clISt17integral_constantIbLb0EES1P_EEDaS1K_S1L_EUlS1K_E_NS1_11comp_targetILNS1_3genE10ELNS1_11target_archE1200ELNS1_3gpuE4ELNS1_3repE0EEENS1_30default_config_static_selectorELNS0_4arch9wavefront6targetE0EEEvSY_.uses_vcc, 1
	.set _ZN7rocprim17ROCPRIM_400000_NS6detail17trampoline_kernelINS0_13select_configILj256ELj13ELNS0_17block_load_methodE3ELS4_3ELS4_3ELNS0_20block_scan_algorithmE0ELj4294967295EEENS1_25partition_config_selectorILNS1_17partition_subalgoE3EjNS0_10empty_typeEbEEZZNS1_14partition_implILS8_3ELb0ES6_jNS0_17counting_iteratorIjlEEPS9_SE_NS0_5tupleIJPjSE_EEENSF_IJSE_SE_EEES9_SG_JZNS1_25segmented_radix_sort_implINS0_14default_configELb0EPKbPbPKlPlN2at6native12_GLOBAL__N_18offset_tEEE10hipError_tPvRmT1_PNSt15iterator_traitsISY_E10value_typeET2_T3_PNSZ_IS14_E10value_typeET4_jRbjT5_S1A_jjP12ihipStream_tbEUljE_EEESV_SW_SX_S14_S18_S1A_T6_T7_T9_mT8_S1C_bDpT10_ENKUlT_T0_E_clISt17integral_constantIbLb0EES1P_EEDaS1K_S1L_EUlS1K_E_NS1_11comp_targetILNS1_3genE10ELNS1_11target_archE1200ELNS1_3gpuE4ELNS1_3repE0EEENS1_30default_config_static_selectorELNS0_4arch9wavefront6targetE0EEEvSY_.uses_flat_scratch, 0
	.set _ZN7rocprim17ROCPRIM_400000_NS6detail17trampoline_kernelINS0_13select_configILj256ELj13ELNS0_17block_load_methodE3ELS4_3ELS4_3ELNS0_20block_scan_algorithmE0ELj4294967295EEENS1_25partition_config_selectorILNS1_17partition_subalgoE3EjNS0_10empty_typeEbEEZZNS1_14partition_implILS8_3ELb0ES6_jNS0_17counting_iteratorIjlEEPS9_SE_NS0_5tupleIJPjSE_EEENSF_IJSE_SE_EEES9_SG_JZNS1_25segmented_radix_sort_implINS0_14default_configELb0EPKbPbPKlPlN2at6native12_GLOBAL__N_18offset_tEEE10hipError_tPvRmT1_PNSt15iterator_traitsISY_E10value_typeET2_T3_PNSZ_IS14_E10value_typeET4_jRbjT5_S1A_jjP12ihipStream_tbEUljE_EEESV_SW_SX_S14_S18_S1A_T6_T7_T9_mT8_S1C_bDpT10_ENKUlT_T0_E_clISt17integral_constantIbLb0EES1P_EEDaS1K_S1L_EUlS1K_E_NS1_11comp_targetILNS1_3genE10ELNS1_11target_archE1200ELNS1_3gpuE4ELNS1_3repE0EEENS1_30default_config_static_selectorELNS0_4arch9wavefront6targetE0EEEvSY_.has_dyn_sized_stack, 0
	.set _ZN7rocprim17ROCPRIM_400000_NS6detail17trampoline_kernelINS0_13select_configILj256ELj13ELNS0_17block_load_methodE3ELS4_3ELS4_3ELNS0_20block_scan_algorithmE0ELj4294967295EEENS1_25partition_config_selectorILNS1_17partition_subalgoE3EjNS0_10empty_typeEbEEZZNS1_14partition_implILS8_3ELb0ES6_jNS0_17counting_iteratorIjlEEPS9_SE_NS0_5tupleIJPjSE_EEENSF_IJSE_SE_EEES9_SG_JZNS1_25segmented_radix_sort_implINS0_14default_configELb0EPKbPbPKlPlN2at6native12_GLOBAL__N_18offset_tEEE10hipError_tPvRmT1_PNSt15iterator_traitsISY_E10value_typeET2_T3_PNSZ_IS14_E10value_typeET4_jRbjT5_S1A_jjP12ihipStream_tbEUljE_EEESV_SW_SX_S14_S18_S1A_T6_T7_T9_mT8_S1C_bDpT10_ENKUlT_T0_E_clISt17integral_constantIbLb0EES1P_EEDaS1K_S1L_EUlS1K_E_NS1_11comp_targetILNS1_3genE10ELNS1_11target_archE1200ELNS1_3gpuE4ELNS1_3repE0EEENS1_30default_config_static_selectorELNS0_4arch9wavefront6targetE0EEEvSY_.has_recursion, 0
	.set _ZN7rocprim17ROCPRIM_400000_NS6detail17trampoline_kernelINS0_13select_configILj256ELj13ELNS0_17block_load_methodE3ELS4_3ELS4_3ELNS0_20block_scan_algorithmE0ELj4294967295EEENS1_25partition_config_selectorILNS1_17partition_subalgoE3EjNS0_10empty_typeEbEEZZNS1_14partition_implILS8_3ELb0ES6_jNS0_17counting_iteratorIjlEEPS9_SE_NS0_5tupleIJPjSE_EEENSF_IJSE_SE_EEES9_SG_JZNS1_25segmented_radix_sort_implINS0_14default_configELb0EPKbPbPKlPlN2at6native12_GLOBAL__N_18offset_tEEE10hipError_tPvRmT1_PNSt15iterator_traitsISY_E10value_typeET2_T3_PNSZ_IS14_E10value_typeET4_jRbjT5_S1A_jjP12ihipStream_tbEUljE_EEESV_SW_SX_S14_S18_S1A_T6_T7_T9_mT8_S1C_bDpT10_ENKUlT_T0_E_clISt17integral_constantIbLb0EES1P_EEDaS1K_S1L_EUlS1K_E_NS1_11comp_targetILNS1_3genE10ELNS1_11target_archE1200ELNS1_3gpuE4ELNS1_3repE0EEENS1_30default_config_static_selectorELNS0_4arch9wavefront6targetE0EEEvSY_.has_indirect_call, 0
	.section	.AMDGPU.csdata,"",@progbits
; Kernel info:
; codeLenInByte = 10676
; TotalNumSgprs: 28
; NumVgprs: 69
; ScratchSize: 0
; MemoryBound: 0
; FloatMode: 240
; IeeeMode: 1
; LDSByteSize: 13320 bytes/workgroup (compile time only)
; SGPRBlocks: 0
; VGPRBlocks: 8
; NumSGPRsForWavesPerEU: 28
; NumVGPRsForWavesPerEU: 69
; Occupancy: 16
; WaveLimiterHint : 0
; COMPUTE_PGM_RSRC2:SCRATCH_EN: 0
; COMPUTE_PGM_RSRC2:USER_SGPR: 2
; COMPUTE_PGM_RSRC2:TRAP_HANDLER: 0
; COMPUTE_PGM_RSRC2:TGID_X_EN: 1
; COMPUTE_PGM_RSRC2:TGID_Y_EN: 0
; COMPUTE_PGM_RSRC2:TGID_Z_EN: 0
; COMPUTE_PGM_RSRC2:TIDIG_COMP_CNT: 0
	.section	.text._ZN7rocprim17ROCPRIM_400000_NS6detail17trampoline_kernelINS0_13select_configILj256ELj13ELNS0_17block_load_methodE3ELS4_3ELS4_3ELNS0_20block_scan_algorithmE0ELj4294967295EEENS1_25partition_config_selectorILNS1_17partition_subalgoE3EjNS0_10empty_typeEbEEZZNS1_14partition_implILS8_3ELb0ES6_jNS0_17counting_iteratorIjlEEPS9_SE_NS0_5tupleIJPjSE_EEENSF_IJSE_SE_EEES9_SG_JZNS1_25segmented_radix_sort_implINS0_14default_configELb0EPKbPbPKlPlN2at6native12_GLOBAL__N_18offset_tEEE10hipError_tPvRmT1_PNSt15iterator_traitsISY_E10value_typeET2_T3_PNSZ_IS14_E10value_typeET4_jRbjT5_S1A_jjP12ihipStream_tbEUljE_EEESV_SW_SX_S14_S18_S1A_T6_T7_T9_mT8_S1C_bDpT10_ENKUlT_T0_E_clISt17integral_constantIbLb0EES1P_EEDaS1K_S1L_EUlS1K_E_NS1_11comp_targetILNS1_3genE9ELNS1_11target_archE1100ELNS1_3gpuE3ELNS1_3repE0EEENS1_30default_config_static_selectorELNS0_4arch9wavefront6targetE0EEEvSY_,"axG",@progbits,_ZN7rocprim17ROCPRIM_400000_NS6detail17trampoline_kernelINS0_13select_configILj256ELj13ELNS0_17block_load_methodE3ELS4_3ELS4_3ELNS0_20block_scan_algorithmE0ELj4294967295EEENS1_25partition_config_selectorILNS1_17partition_subalgoE3EjNS0_10empty_typeEbEEZZNS1_14partition_implILS8_3ELb0ES6_jNS0_17counting_iteratorIjlEEPS9_SE_NS0_5tupleIJPjSE_EEENSF_IJSE_SE_EEES9_SG_JZNS1_25segmented_radix_sort_implINS0_14default_configELb0EPKbPbPKlPlN2at6native12_GLOBAL__N_18offset_tEEE10hipError_tPvRmT1_PNSt15iterator_traitsISY_E10value_typeET2_T3_PNSZ_IS14_E10value_typeET4_jRbjT5_S1A_jjP12ihipStream_tbEUljE_EEESV_SW_SX_S14_S18_S1A_T6_T7_T9_mT8_S1C_bDpT10_ENKUlT_T0_E_clISt17integral_constantIbLb0EES1P_EEDaS1K_S1L_EUlS1K_E_NS1_11comp_targetILNS1_3genE9ELNS1_11target_archE1100ELNS1_3gpuE3ELNS1_3repE0EEENS1_30default_config_static_selectorELNS0_4arch9wavefront6targetE0EEEvSY_,comdat
	.globl	_ZN7rocprim17ROCPRIM_400000_NS6detail17trampoline_kernelINS0_13select_configILj256ELj13ELNS0_17block_load_methodE3ELS4_3ELS4_3ELNS0_20block_scan_algorithmE0ELj4294967295EEENS1_25partition_config_selectorILNS1_17partition_subalgoE3EjNS0_10empty_typeEbEEZZNS1_14partition_implILS8_3ELb0ES6_jNS0_17counting_iteratorIjlEEPS9_SE_NS0_5tupleIJPjSE_EEENSF_IJSE_SE_EEES9_SG_JZNS1_25segmented_radix_sort_implINS0_14default_configELb0EPKbPbPKlPlN2at6native12_GLOBAL__N_18offset_tEEE10hipError_tPvRmT1_PNSt15iterator_traitsISY_E10value_typeET2_T3_PNSZ_IS14_E10value_typeET4_jRbjT5_S1A_jjP12ihipStream_tbEUljE_EEESV_SW_SX_S14_S18_S1A_T6_T7_T9_mT8_S1C_bDpT10_ENKUlT_T0_E_clISt17integral_constantIbLb0EES1P_EEDaS1K_S1L_EUlS1K_E_NS1_11comp_targetILNS1_3genE9ELNS1_11target_archE1100ELNS1_3gpuE3ELNS1_3repE0EEENS1_30default_config_static_selectorELNS0_4arch9wavefront6targetE0EEEvSY_ ; -- Begin function _ZN7rocprim17ROCPRIM_400000_NS6detail17trampoline_kernelINS0_13select_configILj256ELj13ELNS0_17block_load_methodE3ELS4_3ELS4_3ELNS0_20block_scan_algorithmE0ELj4294967295EEENS1_25partition_config_selectorILNS1_17partition_subalgoE3EjNS0_10empty_typeEbEEZZNS1_14partition_implILS8_3ELb0ES6_jNS0_17counting_iteratorIjlEEPS9_SE_NS0_5tupleIJPjSE_EEENSF_IJSE_SE_EEES9_SG_JZNS1_25segmented_radix_sort_implINS0_14default_configELb0EPKbPbPKlPlN2at6native12_GLOBAL__N_18offset_tEEE10hipError_tPvRmT1_PNSt15iterator_traitsISY_E10value_typeET2_T3_PNSZ_IS14_E10value_typeET4_jRbjT5_S1A_jjP12ihipStream_tbEUljE_EEESV_SW_SX_S14_S18_S1A_T6_T7_T9_mT8_S1C_bDpT10_ENKUlT_T0_E_clISt17integral_constantIbLb0EES1P_EEDaS1K_S1L_EUlS1K_E_NS1_11comp_targetILNS1_3genE9ELNS1_11target_archE1100ELNS1_3gpuE3ELNS1_3repE0EEENS1_30default_config_static_selectorELNS0_4arch9wavefront6targetE0EEEvSY_
	.p2align	8
	.type	_ZN7rocprim17ROCPRIM_400000_NS6detail17trampoline_kernelINS0_13select_configILj256ELj13ELNS0_17block_load_methodE3ELS4_3ELS4_3ELNS0_20block_scan_algorithmE0ELj4294967295EEENS1_25partition_config_selectorILNS1_17partition_subalgoE3EjNS0_10empty_typeEbEEZZNS1_14partition_implILS8_3ELb0ES6_jNS0_17counting_iteratorIjlEEPS9_SE_NS0_5tupleIJPjSE_EEENSF_IJSE_SE_EEES9_SG_JZNS1_25segmented_radix_sort_implINS0_14default_configELb0EPKbPbPKlPlN2at6native12_GLOBAL__N_18offset_tEEE10hipError_tPvRmT1_PNSt15iterator_traitsISY_E10value_typeET2_T3_PNSZ_IS14_E10value_typeET4_jRbjT5_S1A_jjP12ihipStream_tbEUljE_EEESV_SW_SX_S14_S18_S1A_T6_T7_T9_mT8_S1C_bDpT10_ENKUlT_T0_E_clISt17integral_constantIbLb0EES1P_EEDaS1K_S1L_EUlS1K_E_NS1_11comp_targetILNS1_3genE9ELNS1_11target_archE1100ELNS1_3gpuE3ELNS1_3repE0EEENS1_30default_config_static_selectorELNS0_4arch9wavefront6targetE0EEEvSY_,@function
_ZN7rocprim17ROCPRIM_400000_NS6detail17trampoline_kernelINS0_13select_configILj256ELj13ELNS0_17block_load_methodE3ELS4_3ELS4_3ELNS0_20block_scan_algorithmE0ELj4294967295EEENS1_25partition_config_selectorILNS1_17partition_subalgoE3EjNS0_10empty_typeEbEEZZNS1_14partition_implILS8_3ELb0ES6_jNS0_17counting_iteratorIjlEEPS9_SE_NS0_5tupleIJPjSE_EEENSF_IJSE_SE_EEES9_SG_JZNS1_25segmented_radix_sort_implINS0_14default_configELb0EPKbPbPKlPlN2at6native12_GLOBAL__N_18offset_tEEE10hipError_tPvRmT1_PNSt15iterator_traitsISY_E10value_typeET2_T3_PNSZ_IS14_E10value_typeET4_jRbjT5_S1A_jjP12ihipStream_tbEUljE_EEESV_SW_SX_S14_S18_S1A_T6_T7_T9_mT8_S1C_bDpT10_ENKUlT_T0_E_clISt17integral_constantIbLb0EES1P_EEDaS1K_S1L_EUlS1K_E_NS1_11comp_targetILNS1_3genE9ELNS1_11target_archE1100ELNS1_3gpuE3ELNS1_3repE0EEENS1_30default_config_static_selectorELNS0_4arch9wavefront6targetE0EEEvSY_: ; @_ZN7rocprim17ROCPRIM_400000_NS6detail17trampoline_kernelINS0_13select_configILj256ELj13ELNS0_17block_load_methodE3ELS4_3ELS4_3ELNS0_20block_scan_algorithmE0ELj4294967295EEENS1_25partition_config_selectorILNS1_17partition_subalgoE3EjNS0_10empty_typeEbEEZZNS1_14partition_implILS8_3ELb0ES6_jNS0_17counting_iteratorIjlEEPS9_SE_NS0_5tupleIJPjSE_EEENSF_IJSE_SE_EEES9_SG_JZNS1_25segmented_radix_sort_implINS0_14default_configELb0EPKbPbPKlPlN2at6native12_GLOBAL__N_18offset_tEEE10hipError_tPvRmT1_PNSt15iterator_traitsISY_E10value_typeET2_T3_PNSZ_IS14_E10value_typeET4_jRbjT5_S1A_jjP12ihipStream_tbEUljE_EEESV_SW_SX_S14_S18_S1A_T6_T7_T9_mT8_S1C_bDpT10_ENKUlT_T0_E_clISt17integral_constantIbLb0EES1P_EEDaS1K_S1L_EUlS1K_E_NS1_11comp_targetILNS1_3genE9ELNS1_11target_archE1100ELNS1_3gpuE3ELNS1_3repE0EEENS1_30default_config_static_selectorELNS0_4arch9wavefront6targetE0EEEvSY_
; %bb.0:
	.section	.rodata,"a",@progbits
	.p2align	6, 0x0
	.amdhsa_kernel _ZN7rocprim17ROCPRIM_400000_NS6detail17trampoline_kernelINS0_13select_configILj256ELj13ELNS0_17block_load_methodE3ELS4_3ELS4_3ELNS0_20block_scan_algorithmE0ELj4294967295EEENS1_25partition_config_selectorILNS1_17partition_subalgoE3EjNS0_10empty_typeEbEEZZNS1_14partition_implILS8_3ELb0ES6_jNS0_17counting_iteratorIjlEEPS9_SE_NS0_5tupleIJPjSE_EEENSF_IJSE_SE_EEES9_SG_JZNS1_25segmented_radix_sort_implINS0_14default_configELb0EPKbPbPKlPlN2at6native12_GLOBAL__N_18offset_tEEE10hipError_tPvRmT1_PNSt15iterator_traitsISY_E10value_typeET2_T3_PNSZ_IS14_E10value_typeET4_jRbjT5_S1A_jjP12ihipStream_tbEUljE_EEESV_SW_SX_S14_S18_S1A_T6_T7_T9_mT8_S1C_bDpT10_ENKUlT_T0_E_clISt17integral_constantIbLb0EES1P_EEDaS1K_S1L_EUlS1K_E_NS1_11comp_targetILNS1_3genE9ELNS1_11target_archE1100ELNS1_3gpuE3ELNS1_3repE0EEENS1_30default_config_static_selectorELNS0_4arch9wavefront6targetE0EEEvSY_
		.amdhsa_group_segment_fixed_size 0
		.amdhsa_private_segment_fixed_size 0
		.amdhsa_kernarg_size 144
		.amdhsa_user_sgpr_count 2
		.amdhsa_user_sgpr_dispatch_ptr 0
		.amdhsa_user_sgpr_queue_ptr 0
		.amdhsa_user_sgpr_kernarg_segment_ptr 1
		.amdhsa_user_sgpr_dispatch_id 0
		.amdhsa_user_sgpr_private_segment_size 0
		.amdhsa_wavefront_size32 1
		.amdhsa_uses_dynamic_stack 0
		.amdhsa_enable_private_segment 0
		.amdhsa_system_sgpr_workgroup_id_x 1
		.amdhsa_system_sgpr_workgroup_id_y 0
		.amdhsa_system_sgpr_workgroup_id_z 0
		.amdhsa_system_sgpr_workgroup_info 0
		.amdhsa_system_vgpr_workitem_id 0
		.amdhsa_next_free_vgpr 1
		.amdhsa_next_free_sgpr 1
		.amdhsa_reserve_vcc 0
		.amdhsa_float_round_mode_32 0
		.amdhsa_float_round_mode_16_64 0
		.amdhsa_float_denorm_mode_32 3
		.amdhsa_float_denorm_mode_16_64 3
		.amdhsa_fp16_overflow 0
		.amdhsa_workgroup_processor_mode 1
		.amdhsa_memory_ordered 1
		.amdhsa_forward_progress 1
		.amdhsa_inst_pref_size 0
		.amdhsa_round_robin_scheduling 0
		.amdhsa_exception_fp_ieee_invalid_op 0
		.amdhsa_exception_fp_denorm_src 0
		.amdhsa_exception_fp_ieee_div_zero 0
		.amdhsa_exception_fp_ieee_overflow 0
		.amdhsa_exception_fp_ieee_underflow 0
		.amdhsa_exception_fp_ieee_inexact 0
		.amdhsa_exception_int_div_zero 0
	.end_amdhsa_kernel
	.section	.text._ZN7rocprim17ROCPRIM_400000_NS6detail17trampoline_kernelINS0_13select_configILj256ELj13ELNS0_17block_load_methodE3ELS4_3ELS4_3ELNS0_20block_scan_algorithmE0ELj4294967295EEENS1_25partition_config_selectorILNS1_17partition_subalgoE3EjNS0_10empty_typeEbEEZZNS1_14partition_implILS8_3ELb0ES6_jNS0_17counting_iteratorIjlEEPS9_SE_NS0_5tupleIJPjSE_EEENSF_IJSE_SE_EEES9_SG_JZNS1_25segmented_radix_sort_implINS0_14default_configELb0EPKbPbPKlPlN2at6native12_GLOBAL__N_18offset_tEEE10hipError_tPvRmT1_PNSt15iterator_traitsISY_E10value_typeET2_T3_PNSZ_IS14_E10value_typeET4_jRbjT5_S1A_jjP12ihipStream_tbEUljE_EEESV_SW_SX_S14_S18_S1A_T6_T7_T9_mT8_S1C_bDpT10_ENKUlT_T0_E_clISt17integral_constantIbLb0EES1P_EEDaS1K_S1L_EUlS1K_E_NS1_11comp_targetILNS1_3genE9ELNS1_11target_archE1100ELNS1_3gpuE3ELNS1_3repE0EEENS1_30default_config_static_selectorELNS0_4arch9wavefront6targetE0EEEvSY_,"axG",@progbits,_ZN7rocprim17ROCPRIM_400000_NS6detail17trampoline_kernelINS0_13select_configILj256ELj13ELNS0_17block_load_methodE3ELS4_3ELS4_3ELNS0_20block_scan_algorithmE0ELj4294967295EEENS1_25partition_config_selectorILNS1_17partition_subalgoE3EjNS0_10empty_typeEbEEZZNS1_14partition_implILS8_3ELb0ES6_jNS0_17counting_iteratorIjlEEPS9_SE_NS0_5tupleIJPjSE_EEENSF_IJSE_SE_EEES9_SG_JZNS1_25segmented_radix_sort_implINS0_14default_configELb0EPKbPbPKlPlN2at6native12_GLOBAL__N_18offset_tEEE10hipError_tPvRmT1_PNSt15iterator_traitsISY_E10value_typeET2_T3_PNSZ_IS14_E10value_typeET4_jRbjT5_S1A_jjP12ihipStream_tbEUljE_EEESV_SW_SX_S14_S18_S1A_T6_T7_T9_mT8_S1C_bDpT10_ENKUlT_T0_E_clISt17integral_constantIbLb0EES1P_EEDaS1K_S1L_EUlS1K_E_NS1_11comp_targetILNS1_3genE9ELNS1_11target_archE1100ELNS1_3gpuE3ELNS1_3repE0EEENS1_30default_config_static_selectorELNS0_4arch9wavefront6targetE0EEEvSY_,comdat
.Lfunc_end1609:
	.size	_ZN7rocprim17ROCPRIM_400000_NS6detail17trampoline_kernelINS0_13select_configILj256ELj13ELNS0_17block_load_methodE3ELS4_3ELS4_3ELNS0_20block_scan_algorithmE0ELj4294967295EEENS1_25partition_config_selectorILNS1_17partition_subalgoE3EjNS0_10empty_typeEbEEZZNS1_14partition_implILS8_3ELb0ES6_jNS0_17counting_iteratorIjlEEPS9_SE_NS0_5tupleIJPjSE_EEENSF_IJSE_SE_EEES9_SG_JZNS1_25segmented_radix_sort_implINS0_14default_configELb0EPKbPbPKlPlN2at6native12_GLOBAL__N_18offset_tEEE10hipError_tPvRmT1_PNSt15iterator_traitsISY_E10value_typeET2_T3_PNSZ_IS14_E10value_typeET4_jRbjT5_S1A_jjP12ihipStream_tbEUljE_EEESV_SW_SX_S14_S18_S1A_T6_T7_T9_mT8_S1C_bDpT10_ENKUlT_T0_E_clISt17integral_constantIbLb0EES1P_EEDaS1K_S1L_EUlS1K_E_NS1_11comp_targetILNS1_3genE9ELNS1_11target_archE1100ELNS1_3gpuE3ELNS1_3repE0EEENS1_30default_config_static_selectorELNS0_4arch9wavefront6targetE0EEEvSY_, .Lfunc_end1609-_ZN7rocprim17ROCPRIM_400000_NS6detail17trampoline_kernelINS0_13select_configILj256ELj13ELNS0_17block_load_methodE3ELS4_3ELS4_3ELNS0_20block_scan_algorithmE0ELj4294967295EEENS1_25partition_config_selectorILNS1_17partition_subalgoE3EjNS0_10empty_typeEbEEZZNS1_14partition_implILS8_3ELb0ES6_jNS0_17counting_iteratorIjlEEPS9_SE_NS0_5tupleIJPjSE_EEENSF_IJSE_SE_EEES9_SG_JZNS1_25segmented_radix_sort_implINS0_14default_configELb0EPKbPbPKlPlN2at6native12_GLOBAL__N_18offset_tEEE10hipError_tPvRmT1_PNSt15iterator_traitsISY_E10value_typeET2_T3_PNSZ_IS14_E10value_typeET4_jRbjT5_S1A_jjP12ihipStream_tbEUljE_EEESV_SW_SX_S14_S18_S1A_T6_T7_T9_mT8_S1C_bDpT10_ENKUlT_T0_E_clISt17integral_constantIbLb0EES1P_EEDaS1K_S1L_EUlS1K_E_NS1_11comp_targetILNS1_3genE9ELNS1_11target_archE1100ELNS1_3gpuE3ELNS1_3repE0EEENS1_30default_config_static_selectorELNS0_4arch9wavefront6targetE0EEEvSY_
                                        ; -- End function
	.set _ZN7rocprim17ROCPRIM_400000_NS6detail17trampoline_kernelINS0_13select_configILj256ELj13ELNS0_17block_load_methodE3ELS4_3ELS4_3ELNS0_20block_scan_algorithmE0ELj4294967295EEENS1_25partition_config_selectorILNS1_17partition_subalgoE3EjNS0_10empty_typeEbEEZZNS1_14partition_implILS8_3ELb0ES6_jNS0_17counting_iteratorIjlEEPS9_SE_NS0_5tupleIJPjSE_EEENSF_IJSE_SE_EEES9_SG_JZNS1_25segmented_radix_sort_implINS0_14default_configELb0EPKbPbPKlPlN2at6native12_GLOBAL__N_18offset_tEEE10hipError_tPvRmT1_PNSt15iterator_traitsISY_E10value_typeET2_T3_PNSZ_IS14_E10value_typeET4_jRbjT5_S1A_jjP12ihipStream_tbEUljE_EEESV_SW_SX_S14_S18_S1A_T6_T7_T9_mT8_S1C_bDpT10_ENKUlT_T0_E_clISt17integral_constantIbLb0EES1P_EEDaS1K_S1L_EUlS1K_E_NS1_11comp_targetILNS1_3genE9ELNS1_11target_archE1100ELNS1_3gpuE3ELNS1_3repE0EEENS1_30default_config_static_selectorELNS0_4arch9wavefront6targetE0EEEvSY_.num_vgpr, 0
	.set _ZN7rocprim17ROCPRIM_400000_NS6detail17trampoline_kernelINS0_13select_configILj256ELj13ELNS0_17block_load_methodE3ELS4_3ELS4_3ELNS0_20block_scan_algorithmE0ELj4294967295EEENS1_25partition_config_selectorILNS1_17partition_subalgoE3EjNS0_10empty_typeEbEEZZNS1_14partition_implILS8_3ELb0ES6_jNS0_17counting_iteratorIjlEEPS9_SE_NS0_5tupleIJPjSE_EEENSF_IJSE_SE_EEES9_SG_JZNS1_25segmented_radix_sort_implINS0_14default_configELb0EPKbPbPKlPlN2at6native12_GLOBAL__N_18offset_tEEE10hipError_tPvRmT1_PNSt15iterator_traitsISY_E10value_typeET2_T3_PNSZ_IS14_E10value_typeET4_jRbjT5_S1A_jjP12ihipStream_tbEUljE_EEESV_SW_SX_S14_S18_S1A_T6_T7_T9_mT8_S1C_bDpT10_ENKUlT_T0_E_clISt17integral_constantIbLb0EES1P_EEDaS1K_S1L_EUlS1K_E_NS1_11comp_targetILNS1_3genE9ELNS1_11target_archE1100ELNS1_3gpuE3ELNS1_3repE0EEENS1_30default_config_static_selectorELNS0_4arch9wavefront6targetE0EEEvSY_.num_agpr, 0
	.set _ZN7rocprim17ROCPRIM_400000_NS6detail17trampoline_kernelINS0_13select_configILj256ELj13ELNS0_17block_load_methodE3ELS4_3ELS4_3ELNS0_20block_scan_algorithmE0ELj4294967295EEENS1_25partition_config_selectorILNS1_17partition_subalgoE3EjNS0_10empty_typeEbEEZZNS1_14partition_implILS8_3ELb0ES6_jNS0_17counting_iteratorIjlEEPS9_SE_NS0_5tupleIJPjSE_EEENSF_IJSE_SE_EEES9_SG_JZNS1_25segmented_radix_sort_implINS0_14default_configELb0EPKbPbPKlPlN2at6native12_GLOBAL__N_18offset_tEEE10hipError_tPvRmT1_PNSt15iterator_traitsISY_E10value_typeET2_T3_PNSZ_IS14_E10value_typeET4_jRbjT5_S1A_jjP12ihipStream_tbEUljE_EEESV_SW_SX_S14_S18_S1A_T6_T7_T9_mT8_S1C_bDpT10_ENKUlT_T0_E_clISt17integral_constantIbLb0EES1P_EEDaS1K_S1L_EUlS1K_E_NS1_11comp_targetILNS1_3genE9ELNS1_11target_archE1100ELNS1_3gpuE3ELNS1_3repE0EEENS1_30default_config_static_selectorELNS0_4arch9wavefront6targetE0EEEvSY_.numbered_sgpr, 0
	.set _ZN7rocprim17ROCPRIM_400000_NS6detail17trampoline_kernelINS0_13select_configILj256ELj13ELNS0_17block_load_methodE3ELS4_3ELS4_3ELNS0_20block_scan_algorithmE0ELj4294967295EEENS1_25partition_config_selectorILNS1_17partition_subalgoE3EjNS0_10empty_typeEbEEZZNS1_14partition_implILS8_3ELb0ES6_jNS0_17counting_iteratorIjlEEPS9_SE_NS0_5tupleIJPjSE_EEENSF_IJSE_SE_EEES9_SG_JZNS1_25segmented_radix_sort_implINS0_14default_configELb0EPKbPbPKlPlN2at6native12_GLOBAL__N_18offset_tEEE10hipError_tPvRmT1_PNSt15iterator_traitsISY_E10value_typeET2_T3_PNSZ_IS14_E10value_typeET4_jRbjT5_S1A_jjP12ihipStream_tbEUljE_EEESV_SW_SX_S14_S18_S1A_T6_T7_T9_mT8_S1C_bDpT10_ENKUlT_T0_E_clISt17integral_constantIbLb0EES1P_EEDaS1K_S1L_EUlS1K_E_NS1_11comp_targetILNS1_3genE9ELNS1_11target_archE1100ELNS1_3gpuE3ELNS1_3repE0EEENS1_30default_config_static_selectorELNS0_4arch9wavefront6targetE0EEEvSY_.num_named_barrier, 0
	.set _ZN7rocprim17ROCPRIM_400000_NS6detail17trampoline_kernelINS0_13select_configILj256ELj13ELNS0_17block_load_methodE3ELS4_3ELS4_3ELNS0_20block_scan_algorithmE0ELj4294967295EEENS1_25partition_config_selectorILNS1_17partition_subalgoE3EjNS0_10empty_typeEbEEZZNS1_14partition_implILS8_3ELb0ES6_jNS0_17counting_iteratorIjlEEPS9_SE_NS0_5tupleIJPjSE_EEENSF_IJSE_SE_EEES9_SG_JZNS1_25segmented_radix_sort_implINS0_14default_configELb0EPKbPbPKlPlN2at6native12_GLOBAL__N_18offset_tEEE10hipError_tPvRmT1_PNSt15iterator_traitsISY_E10value_typeET2_T3_PNSZ_IS14_E10value_typeET4_jRbjT5_S1A_jjP12ihipStream_tbEUljE_EEESV_SW_SX_S14_S18_S1A_T6_T7_T9_mT8_S1C_bDpT10_ENKUlT_T0_E_clISt17integral_constantIbLb0EES1P_EEDaS1K_S1L_EUlS1K_E_NS1_11comp_targetILNS1_3genE9ELNS1_11target_archE1100ELNS1_3gpuE3ELNS1_3repE0EEENS1_30default_config_static_selectorELNS0_4arch9wavefront6targetE0EEEvSY_.private_seg_size, 0
	.set _ZN7rocprim17ROCPRIM_400000_NS6detail17trampoline_kernelINS0_13select_configILj256ELj13ELNS0_17block_load_methodE3ELS4_3ELS4_3ELNS0_20block_scan_algorithmE0ELj4294967295EEENS1_25partition_config_selectorILNS1_17partition_subalgoE3EjNS0_10empty_typeEbEEZZNS1_14partition_implILS8_3ELb0ES6_jNS0_17counting_iteratorIjlEEPS9_SE_NS0_5tupleIJPjSE_EEENSF_IJSE_SE_EEES9_SG_JZNS1_25segmented_radix_sort_implINS0_14default_configELb0EPKbPbPKlPlN2at6native12_GLOBAL__N_18offset_tEEE10hipError_tPvRmT1_PNSt15iterator_traitsISY_E10value_typeET2_T3_PNSZ_IS14_E10value_typeET4_jRbjT5_S1A_jjP12ihipStream_tbEUljE_EEESV_SW_SX_S14_S18_S1A_T6_T7_T9_mT8_S1C_bDpT10_ENKUlT_T0_E_clISt17integral_constantIbLb0EES1P_EEDaS1K_S1L_EUlS1K_E_NS1_11comp_targetILNS1_3genE9ELNS1_11target_archE1100ELNS1_3gpuE3ELNS1_3repE0EEENS1_30default_config_static_selectorELNS0_4arch9wavefront6targetE0EEEvSY_.uses_vcc, 0
	.set _ZN7rocprim17ROCPRIM_400000_NS6detail17trampoline_kernelINS0_13select_configILj256ELj13ELNS0_17block_load_methodE3ELS4_3ELS4_3ELNS0_20block_scan_algorithmE0ELj4294967295EEENS1_25partition_config_selectorILNS1_17partition_subalgoE3EjNS0_10empty_typeEbEEZZNS1_14partition_implILS8_3ELb0ES6_jNS0_17counting_iteratorIjlEEPS9_SE_NS0_5tupleIJPjSE_EEENSF_IJSE_SE_EEES9_SG_JZNS1_25segmented_radix_sort_implINS0_14default_configELb0EPKbPbPKlPlN2at6native12_GLOBAL__N_18offset_tEEE10hipError_tPvRmT1_PNSt15iterator_traitsISY_E10value_typeET2_T3_PNSZ_IS14_E10value_typeET4_jRbjT5_S1A_jjP12ihipStream_tbEUljE_EEESV_SW_SX_S14_S18_S1A_T6_T7_T9_mT8_S1C_bDpT10_ENKUlT_T0_E_clISt17integral_constantIbLb0EES1P_EEDaS1K_S1L_EUlS1K_E_NS1_11comp_targetILNS1_3genE9ELNS1_11target_archE1100ELNS1_3gpuE3ELNS1_3repE0EEENS1_30default_config_static_selectorELNS0_4arch9wavefront6targetE0EEEvSY_.uses_flat_scratch, 0
	.set _ZN7rocprim17ROCPRIM_400000_NS6detail17trampoline_kernelINS0_13select_configILj256ELj13ELNS0_17block_load_methodE3ELS4_3ELS4_3ELNS0_20block_scan_algorithmE0ELj4294967295EEENS1_25partition_config_selectorILNS1_17partition_subalgoE3EjNS0_10empty_typeEbEEZZNS1_14partition_implILS8_3ELb0ES6_jNS0_17counting_iteratorIjlEEPS9_SE_NS0_5tupleIJPjSE_EEENSF_IJSE_SE_EEES9_SG_JZNS1_25segmented_radix_sort_implINS0_14default_configELb0EPKbPbPKlPlN2at6native12_GLOBAL__N_18offset_tEEE10hipError_tPvRmT1_PNSt15iterator_traitsISY_E10value_typeET2_T3_PNSZ_IS14_E10value_typeET4_jRbjT5_S1A_jjP12ihipStream_tbEUljE_EEESV_SW_SX_S14_S18_S1A_T6_T7_T9_mT8_S1C_bDpT10_ENKUlT_T0_E_clISt17integral_constantIbLb0EES1P_EEDaS1K_S1L_EUlS1K_E_NS1_11comp_targetILNS1_3genE9ELNS1_11target_archE1100ELNS1_3gpuE3ELNS1_3repE0EEENS1_30default_config_static_selectorELNS0_4arch9wavefront6targetE0EEEvSY_.has_dyn_sized_stack, 0
	.set _ZN7rocprim17ROCPRIM_400000_NS6detail17trampoline_kernelINS0_13select_configILj256ELj13ELNS0_17block_load_methodE3ELS4_3ELS4_3ELNS0_20block_scan_algorithmE0ELj4294967295EEENS1_25partition_config_selectorILNS1_17partition_subalgoE3EjNS0_10empty_typeEbEEZZNS1_14partition_implILS8_3ELb0ES6_jNS0_17counting_iteratorIjlEEPS9_SE_NS0_5tupleIJPjSE_EEENSF_IJSE_SE_EEES9_SG_JZNS1_25segmented_radix_sort_implINS0_14default_configELb0EPKbPbPKlPlN2at6native12_GLOBAL__N_18offset_tEEE10hipError_tPvRmT1_PNSt15iterator_traitsISY_E10value_typeET2_T3_PNSZ_IS14_E10value_typeET4_jRbjT5_S1A_jjP12ihipStream_tbEUljE_EEESV_SW_SX_S14_S18_S1A_T6_T7_T9_mT8_S1C_bDpT10_ENKUlT_T0_E_clISt17integral_constantIbLb0EES1P_EEDaS1K_S1L_EUlS1K_E_NS1_11comp_targetILNS1_3genE9ELNS1_11target_archE1100ELNS1_3gpuE3ELNS1_3repE0EEENS1_30default_config_static_selectorELNS0_4arch9wavefront6targetE0EEEvSY_.has_recursion, 0
	.set _ZN7rocprim17ROCPRIM_400000_NS6detail17trampoline_kernelINS0_13select_configILj256ELj13ELNS0_17block_load_methodE3ELS4_3ELS4_3ELNS0_20block_scan_algorithmE0ELj4294967295EEENS1_25partition_config_selectorILNS1_17partition_subalgoE3EjNS0_10empty_typeEbEEZZNS1_14partition_implILS8_3ELb0ES6_jNS0_17counting_iteratorIjlEEPS9_SE_NS0_5tupleIJPjSE_EEENSF_IJSE_SE_EEES9_SG_JZNS1_25segmented_radix_sort_implINS0_14default_configELb0EPKbPbPKlPlN2at6native12_GLOBAL__N_18offset_tEEE10hipError_tPvRmT1_PNSt15iterator_traitsISY_E10value_typeET2_T3_PNSZ_IS14_E10value_typeET4_jRbjT5_S1A_jjP12ihipStream_tbEUljE_EEESV_SW_SX_S14_S18_S1A_T6_T7_T9_mT8_S1C_bDpT10_ENKUlT_T0_E_clISt17integral_constantIbLb0EES1P_EEDaS1K_S1L_EUlS1K_E_NS1_11comp_targetILNS1_3genE9ELNS1_11target_archE1100ELNS1_3gpuE3ELNS1_3repE0EEENS1_30default_config_static_selectorELNS0_4arch9wavefront6targetE0EEEvSY_.has_indirect_call, 0
	.section	.AMDGPU.csdata,"",@progbits
; Kernel info:
; codeLenInByte = 0
; TotalNumSgprs: 0
; NumVgprs: 0
; ScratchSize: 0
; MemoryBound: 0
; FloatMode: 240
; IeeeMode: 1
; LDSByteSize: 0 bytes/workgroup (compile time only)
; SGPRBlocks: 0
; VGPRBlocks: 0
; NumSGPRsForWavesPerEU: 1
; NumVGPRsForWavesPerEU: 1
; Occupancy: 16
; WaveLimiterHint : 0
; COMPUTE_PGM_RSRC2:SCRATCH_EN: 0
; COMPUTE_PGM_RSRC2:USER_SGPR: 2
; COMPUTE_PGM_RSRC2:TRAP_HANDLER: 0
; COMPUTE_PGM_RSRC2:TGID_X_EN: 1
; COMPUTE_PGM_RSRC2:TGID_Y_EN: 0
; COMPUTE_PGM_RSRC2:TGID_Z_EN: 0
; COMPUTE_PGM_RSRC2:TIDIG_COMP_CNT: 0
	.section	.text._ZN7rocprim17ROCPRIM_400000_NS6detail17trampoline_kernelINS0_13select_configILj256ELj13ELNS0_17block_load_methodE3ELS4_3ELS4_3ELNS0_20block_scan_algorithmE0ELj4294967295EEENS1_25partition_config_selectorILNS1_17partition_subalgoE3EjNS0_10empty_typeEbEEZZNS1_14partition_implILS8_3ELb0ES6_jNS0_17counting_iteratorIjlEEPS9_SE_NS0_5tupleIJPjSE_EEENSF_IJSE_SE_EEES9_SG_JZNS1_25segmented_radix_sort_implINS0_14default_configELb0EPKbPbPKlPlN2at6native12_GLOBAL__N_18offset_tEEE10hipError_tPvRmT1_PNSt15iterator_traitsISY_E10value_typeET2_T3_PNSZ_IS14_E10value_typeET4_jRbjT5_S1A_jjP12ihipStream_tbEUljE_EEESV_SW_SX_S14_S18_S1A_T6_T7_T9_mT8_S1C_bDpT10_ENKUlT_T0_E_clISt17integral_constantIbLb0EES1P_EEDaS1K_S1L_EUlS1K_E_NS1_11comp_targetILNS1_3genE8ELNS1_11target_archE1030ELNS1_3gpuE2ELNS1_3repE0EEENS1_30default_config_static_selectorELNS0_4arch9wavefront6targetE0EEEvSY_,"axG",@progbits,_ZN7rocprim17ROCPRIM_400000_NS6detail17trampoline_kernelINS0_13select_configILj256ELj13ELNS0_17block_load_methodE3ELS4_3ELS4_3ELNS0_20block_scan_algorithmE0ELj4294967295EEENS1_25partition_config_selectorILNS1_17partition_subalgoE3EjNS0_10empty_typeEbEEZZNS1_14partition_implILS8_3ELb0ES6_jNS0_17counting_iteratorIjlEEPS9_SE_NS0_5tupleIJPjSE_EEENSF_IJSE_SE_EEES9_SG_JZNS1_25segmented_radix_sort_implINS0_14default_configELb0EPKbPbPKlPlN2at6native12_GLOBAL__N_18offset_tEEE10hipError_tPvRmT1_PNSt15iterator_traitsISY_E10value_typeET2_T3_PNSZ_IS14_E10value_typeET4_jRbjT5_S1A_jjP12ihipStream_tbEUljE_EEESV_SW_SX_S14_S18_S1A_T6_T7_T9_mT8_S1C_bDpT10_ENKUlT_T0_E_clISt17integral_constantIbLb0EES1P_EEDaS1K_S1L_EUlS1K_E_NS1_11comp_targetILNS1_3genE8ELNS1_11target_archE1030ELNS1_3gpuE2ELNS1_3repE0EEENS1_30default_config_static_selectorELNS0_4arch9wavefront6targetE0EEEvSY_,comdat
	.globl	_ZN7rocprim17ROCPRIM_400000_NS6detail17trampoline_kernelINS0_13select_configILj256ELj13ELNS0_17block_load_methodE3ELS4_3ELS4_3ELNS0_20block_scan_algorithmE0ELj4294967295EEENS1_25partition_config_selectorILNS1_17partition_subalgoE3EjNS0_10empty_typeEbEEZZNS1_14partition_implILS8_3ELb0ES6_jNS0_17counting_iteratorIjlEEPS9_SE_NS0_5tupleIJPjSE_EEENSF_IJSE_SE_EEES9_SG_JZNS1_25segmented_radix_sort_implINS0_14default_configELb0EPKbPbPKlPlN2at6native12_GLOBAL__N_18offset_tEEE10hipError_tPvRmT1_PNSt15iterator_traitsISY_E10value_typeET2_T3_PNSZ_IS14_E10value_typeET4_jRbjT5_S1A_jjP12ihipStream_tbEUljE_EEESV_SW_SX_S14_S18_S1A_T6_T7_T9_mT8_S1C_bDpT10_ENKUlT_T0_E_clISt17integral_constantIbLb0EES1P_EEDaS1K_S1L_EUlS1K_E_NS1_11comp_targetILNS1_3genE8ELNS1_11target_archE1030ELNS1_3gpuE2ELNS1_3repE0EEENS1_30default_config_static_selectorELNS0_4arch9wavefront6targetE0EEEvSY_ ; -- Begin function _ZN7rocprim17ROCPRIM_400000_NS6detail17trampoline_kernelINS0_13select_configILj256ELj13ELNS0_17block_load_methodE3ELS4_3ELS4_3ELNS0_20block_scan_algorithmE0ELj4294967295EEENS1_25partition_config_selectorILNS1_17partition_subalgoE3EjNS0_10empty_typeEbEEZZNS1_14partition_implILS8_3ELb0ES6_jNS0_17counting_iteratorIjlEEPS9_SE_NS0_5tupleIJPjSE_EEENSF_IJSE_SE_EEES9_SG_JZNS1_25segmented_radix_sort_implINS0_14default_configELb0EPKbPbPKlPlN2at6native12_GLOBAL__N_18offset_tEEE10hipError_tPvRmT1_PNSt15iterator_traitsISY_E10value_typeET2_T3_PNSZ_IS14_E10value_typeET4_jRbjT5_S1A_jjP12ihipStream_tbEUljE_EEESV_SW_SX_S14_S18_S1A_T6_T7_T9_mT8_S1C_bDpT10_ENKUlT_T0_E_clISt17integral_constantIbLb0EES1P_EEDaS1K_S1L_EUlS1K_E_NS1_11comp_targetILNS1_3genE8ELNS1_11target_archE1030ELNS1_3gpuE2ELNS1_3repE0EEENS1_30default_config_static_selectorELNS0_4arch9wavefront6targetE0EEEvSY_
	.p2align	8
	.type	_ZN7rocprim17ROCPRIM_400000_NS6detail17trampoline_kernelINS0_13select_configILj256ELj13ELNS0_17block_load_methodE3ELS4_3ELS4_3ELNS0_20block_scan_algorithmE0ELj4294967295EEENS1_25partition_config_selectorILNS1_17partition_subalgoE3EjNS0_10empty_typeEbEEZZNS1_14partition_implILS8_3ELb0ES6_jNS0_17counting_iteratorIjlEEPS9_SE_NS0_5tupleIJPjSE_EEENSF_IJSE_SE_EEES9_SG_JZNS1_25segmented_radix_sort_implINS0_14default_configELb0EPKbPbPKlPlN2at6native12_GLOBAL__N_18offset_tEEE10hipError_tPvRmT1_PNSt15iterator_traitsISY_E10value_typeET2_T3_PNSZ_IS14_E10value_typeET4_jRbjT5_S1A_jjP12ihipStream_tbEUljE_EEESV_SW_SX_S14_S18_S1A_T6_T7_T9_mT8_S1C_bDpT10_ENKUlT_T0_E_clISt17integral_constantIbLb0EES1P_EEDaS1K_S1L_EUlS1K_E_NS1_11comp_targetILNS1_3genE8ELNS1_11target_archE1030ELNS1_3gpuE2ELNS1_3repE0EEENS1_30default_config_static_selectorELNS0_4arch9wavefront6targetE0EEEvSY_,@function
_ZN7rocprim17ROCPRIM_400000_NS6detail17trampoline_kernelINS0_13select_configILj256ELj13ELNS0_17block_load_methodE3ELS4_3ELS4_3ELNS0_20block_scan_algorithmE0ELj4294967295EEENS1_25partition_config_selectorILNS1_17partition_subalgoE3EjNS0_10empty_typeEbEEZZNS1_14partition_implILS8_3ELb0ES6_jNS0_17counting_iteratorIjlEEPS9_SE_NS0_5tupleIJPjSE_EEENSF_IJSE_SE_EEES9_SG_JZNS1_25segmented_radix_sort_implINS0_14default_configELb0EPKbPbPKlPlN2at6native12_GLOBAL__N_18offset_tEEE10hipError_tPvRmT1_PNSt15iterator_traitsISY_E10value_typeET2_T3_PNSZ_IS14_E10value_typeET4_jRbjT5_S1A_jjP12ihipStream_tbEUljE_EEESV_SW_SX_S14_S18_S1A_T6_T7_T9_mT8_S1C_bDpT10_ENKUlT_T0_E_clISt17integral_constantIbLb0EES1P_EEDaS1K_S1L_EUlS1K_E_NS1_11comp_targetILNS1_3genE8ELNS1_11target_archE1030ELNS1_3gpuE2ELNS1_3repE0EEENS1_30default_config_static_selectorELNS0_4arch9wavefront6targetE0EEEvSY_: ; @_ZN7rocprim17ROCPRIM_400000_NS6detail17trampoline_kernelINS0_13select_configILj256ELj13ELNS0_17block_load_methodE3ELS4_3ELS4_3ELNS0_20block_scan_algorithmE0ELj4294967295EEENS1_25partition_config_selectorILNS1_17partition_subalgoE3EjNS0_10empty_typeEbEEZZNS1_14partition_implILS8_3ELb0ES6_jNS0_17counting_iteratorIjlEEPS9_SE_NS0_5tupleIJPjSE_EEENSF_IJSE_SE_EEES9_SG_JZNS1_25segmented_radix_sort_implINS0_14default_configELb0EPKbPbPKlPlN2at6native12_GLOBAL__N_18offset_tEEE10hipError_tPvRmT1_PNSt15iterator_traitsISY_E10value_typeET2_T3_PNSZ_IS14_E10value_typeET4_jRbjT5_S1A_jjP12ihipStream_tbEUljE_EEESV_SW_SX_S14_S18_S1A_T6_T7_T9_mT8_S1C_bDpT10_ENKUlT_T0_E_clISt17integral_constantIbLb0EES1P_EEDaS1K_S1L_EUlS1K_E_NS1_11comp_targetILNS1_3genE8ELNS1_11target_archE1030ELNS1_3gpuE2ELNS1_3repE0EEENS1_30default_config_static_selectorELNS0_4arch9wavefront6targetE0EEEvSY_
; %bb.0:
	.section	.rodata,"a",@progbits
	.p2align	6, 0x0
	.amdhsa_kernel _ZN7rocprim17ROCPRIM_400000_NS6detail17trampoline_kernelINS0_13select_configILj256ELj13ELNS0_17block_load_methodE3ELS4_3ELS4_3ELNS0_20block_scan_algorithmE0ELj4294967295EEENS1_25partition_config_selectorILNS1_17partition_subalgoE3EjNS0_10empty_typeEbEEZZNS1_14partition_implILS8_3ELb0ES6_jNS0_17counting_iteratorIjlEEPS9_SE_NS0_5tupleIJPjSE_EEENSF_IJSE_SE_EEES9_SG_JZNS1_25segmented_radix_sort_implINS0_14default_configELb0EPKbPbPKlPlN2at6native12_GLOBAL__N_18offset_tEEE10hipError_tPvRmT1_PNSt15iterator_traitsISY_E10value_typeET2_T3_PNSZ_IS14_E10value_typeET4_jRbjT5_S1A_jjP12ihipStream_tbEUljE_EEESV_SW_SX_S14_S18_S1A_T6_T7_T9_mT8_S1C_bDpT10_ENKUlT_T0_E_clISt17integral_constantIbLb0EES1P_EEDaS1K_S1L_EUlS1K_E_NS1_11comp_targetILNS1_3genE8ELNS1_11target_archE1030ELNS1_3gpuE2ELNS1_3repE0EEENS1_30default_config_static_selectorELNS0_4arch9wavefront6targetE0EEEvSY_
		.amdhsa_group_segment_fixed_size 0
		.amdhsa_private_segment_fixed_size 0
		.amdhsa_kernarg_size 144
		.amdhsa_user_sgpr_count 2
		.amdhsa_user_sgpr_dispatch_ptr 0
		.amdhsa_user_sgpr_queue_ptr 0
		.amdhsa_user_sgpr_kernarg_segment_ptr 1
		.amdhsa_user_sgpr_dispatch_id 0
		.amdhsa_user_sgpr_private_segment_size 0
		.amdhsa_wavefront_size32 1
		.amdhsa_uses_dynamic_stack 0
		.amdhsa_enable_private_segment 0
		.amdhsa_system_sgpr_workgroup_id_x 1
		.amdhsa_system_sgpr_workgroup_id_y 0
		.amdhsa_system_sgpr_workgroup_id_z 0
		.amdhsa_system_sgpr_workgroup_info 0
		.amdhsa_system_vgpr_workitem_id 0
		.amdhsa_next_free_vgpr 1
		.amdhsa_next_free_sgpr 1
		.amdhsa_reserve_vcc 0
		.amdhsa_float_round_mode_32 0
		.amdhsa_float_round_mode_16_64 0
		.amdhsa_float_denorm_mode_32 3
		.amdhsa_float_denorm_mode_16_64 3
		.amdhsa_fp16_overflow 0
		.amdhsa_workgroup_processor_mode 1
		.amdhsa_memory_ordered 1
		.amdhsa_forward_progress 1
		.amdhsa_inst_pref_size 0
		.amdhsa_round_robin_scheduling 0
		.amdhsa_exception_fp_ieee_invalid_op 0
		.amdhsa_exception_fp_denorm_src 0
		.amdhsa_exception_fp_ieee_div_zero 0
		.amdhsa_exception_fp_ieee_overflow 0
		.amdhsa_exception_fp_ieee_underflow 0
		.amdhsa_exception_fp_ieee_inexact 0
		.amdhsa_exception_int_div_zero 0
	.end_amdhsa_kernel
	.section	.text._ZN7rocprim17ROCPRIM_400000_NS6detail17trampoline_kernelINS0_13select_configILj256ELj13ELNS0_17block_load_methodE3ELS4_3ELS4_3ELNS0_20block_scan_algorithmE0ELj4294967295EEENS1_25partition_config_selectorILNS1_17partition_subalgoE3EjNS0_10empty_typeEbEEZZNS1_14partition_implILS8_3ELb0ES6_jNS0_17counting_iteratorIjlEEPS9_SE_NS0_5tupleIJPjSE_EEENSF_IJSE_SE_EEES9_SG_JZNS1_25segmented_radix_sort_implINS0_14default_configELb0EPKbPbPKlPlN2at6native12_GLOBAL__N_18offset_tEEE10hipError_tPvRmT1_PNSt15iterator_traitsISY_E10value_typeET2_T3_PNSZ_IS14_E10value_typeET4_jRbjT5_S1A_jjP12ihipStream_tbEUljE_EEESV_SW_SX_S14_S18_S1A_T6_T7_T9_mT8_S1C_bDpT10_ENKUlT_T0_E_clISt17integral_constantIbLb0EES1P_EEDaS1K_S1L_EUlS1K_E_NS1_11comp_targetILNS1_3genE8ELNS1_11target_archE1030ELNS1_3gpuE2ELNS1_3repE0EEENS1_30default_config_static_selectorELNS0_4arch9wavefront6targetE0EEEvSY_,"axG",@progbits,_ZN7rocprim17ROCPRIM_400000_NS6detail17trampoline_kernelINS0_13select_configILj256ELj13ELNS0_17block_load_methodE3ELS4_3ELS4_3ELNS0_20block_scan_algorithmE0ELj4294967295EEENS1_25partition_config_selectorILNS1_17partition_subalgoE3EjNS0_10empty_typeEbEEZZNS1_14partition_implILS8_3ELb0ES6_jNS0_17counting_iteratorIjlEEPS9_SE_NS0_5tupleIJPjSE_EEENSF_IJSE_SE_EEES9_SG_JZNS1_25segmented_radix_sort_implINS0_14default_configELb0EPKbPbPKlPlN2at6native12_GLOBAL__N_18offset_tEEE10hipError_tPvRmT1_PNSt15iterator_traitsISY_E10value_typeET2_T3_PNSZ_IS14_E10value_typeET4_jRbjT5_S1A_jjP12ihipStream_tbEUljE_EEESV_SW_SX_S14_S18_S1A_T6_T7_T9_mT8_S1C_bDpT10_ENKUlT_T0_E_clISt17integral_constantIbLb0EES1P_EEDaS1K_S1L_EUlS1K_E_NS1_11comp_targetILNS1_3genE8ELNS1_11target_archE1030ELNS1_3gpuE2ELNS1_3repE0EEENS1_30default_config_static_selectorELNS0_4arch9wavefront6targetE0EEEvSY_,comdat
.Lfunc_end1610:
	.size	_ZN7rocprim17ROCPRIM_400000_NS6detail17trampoline_kernelINS0_13select_configILj256ELj13ELNS0_17block_load_methodE3ELS4_3ELS4_3ELNS0_20block_scan_algorithmE0ELj4294967295EEENS1_25partition_config_selectorILNS1_17partition_subalgoE3EjNS0_10empty_typeEbEEZZNS1_14partition_implILS8_3ELb0ES6_jNS0_17counting_iteratorIjlEEPS9_SE_NS0_5tupleIJPjSE_EEENSF_IJSE_SE_EEES9_SG_JZNS1_25segmented_radix_sort_implINS0_14default_configELb0EPKbPbPKlPlN2at6native12_GLOBAL__N_18offset_tEEE10hipError_tPvRmT1_PNSt15iterator_traitsISY_E10value_typeET2_T3_PNSZ_IS14_E10value_typeET4_jRbjT5_S1A_jjP12ihipStream_tbEUljE_EEESV_SW_SX_S14_S18_S1A_T6_T7_T9_mT8_S1C_bDpT10_ENKUlT_T0_E_clISt17integral_constantIbLb0EES1P_EEDaS1K_S1L_EUlS1K_E_NS1_11comp_targetILNS1_3genE8ELNS1_11target_archE1030ELNS1_3gpuE2ELNS1_3repE0EEENS1_30default_config_static_selectorELNS0_4arch9wavefront6targetE0EEEvSY_, .Lfunc_end1610-_ZN7rocprim17ROCPRIM_400000_NS6detail17trampoline_kernelINS0_13select_configILj256ELj13ELNS0_17block_load_methodE3ELS4_3ELS4_3ELNS0_20block_scan_algorithmE0ELj4294967295EEENS1_25partition_config_selectorILNS1_17partition_subalgoE3EjNS0_10empty_typeEbEEZZNS1_14partition_implILS8_3ELb0ES6_jNS0_17counting_iteratorIjlEEPS9_SE_NS0_5tupleIJPjSE_EEENSF_IJSE_SE_EEES9_SG_JZNS1_25segmented_radix_sort_implINS0_14default_configELb0EPKbPbPKlPlN2at6native12_GLOBAL__N_18offset_tEEE10hipError_tPvRmT1_PNSt15iterator_traitsISY_E10value_typeET2_T3_PNSZ_IS14_E10value_typeET4_jRbjT5_S1A_jjP12ihipStream_tbEUljE_EEESV_SW_SX_S14_S18_S1A_T6_T7_T9_mT8_S1C_bDpT10_ENKUlT_T0_E_clISt17integral_constantIbLb0EES1P_EEDaS1K_S1L_EUlS1K_E_NS1_11comp_targetILNS1_3genE8ELNS1_11target_archE1030ELNS1_3gpuE2ELNS1_3repE0EEENS1_30default_config_static_selectorELNS0_4arch9wavefront6targetE0EEEvSY_
                                        ; -- End function
	.set _ZN7rocprim17ROCPRIM_400000_NS6detail17trampoline_kernelINS0_13select_configILj256ELj13ELNS0_17block_load_methodE3ELS4_3ELS4_3ELNS0_20block_scan_algorithmE0ELj4294967295EEENS1_25partition_config_selectorILNS1_17partition_subalgoE3EjNS0_10empty_typeEbEEZZNS1_14partition_implILS8_3ELb0ES6_jNS0_17counting_iteratorIjlEEPS9_SE_NS0_5tupleIJPjSE_EEENSF_IJSE_SE_EEES9_SG_JZNS1_25segmented_radix_sort_implINS0_14default_configELb0EPKbPbPKlPlN2at6native12_GLOBAL__N_18offset_tEEE10hipError_tPvRmT1_PNSt15iterator_traitsISY_E10value_typeET2_T3_PNSZ_IS14_E10value_typeET4_jRbjT5_S1A_jjP12ihipStream_tbEUljE_EEESV_SW_SX_S14_S18_S1A_T6_T7_T9_mT8_S1C_bDpT10_ENKUlT_T0_E_clISt17integral_constantIbLb0EES1P_EEDaS1K_S1L_EUlS1K_E_NS1_11comp_targetILNS1_3genE8ELNS1_11target_archE1030ELNS1_3gpuE2ELNS1_3repE0EEENS1_30default_config_static_selectorELNS0_4arch9wavefront6targetE0EEEvSY_.num_vgpr, 0
	.set _ZN7rocprim17ROCPRIM_400000_NS6detail17trampoline_kernelINS0_13select_configILj256ELj13ELNS0_17block_load_methodE3ELS4_3ELS4_3ELNS0_20block_scan_algorithmE0ELj4294967295EEENS1_25partition_config_selectorILNS1_17partition_subalgoE3EjNS0_10empty_typeEbEEZZNS1_14partition_implILS8_3ELb0ES6_jNS0_17counting_iteratorIjlEEPS9_SE_NS0_5tupleIJPjSE_EEENSF_IJSE_SE_EEES9_SG_JZNS1_25segmented_radix_sort_implINS0_14default_configELb0EPKbPbPKlPlN2at6native12_GLOBAL__N_18offset_tEEE10hipError_tPvRmT1_PNSt15iterator_traitsISY_E10value_typeET2_T3_PNSZ_IS14_E10value_typeET4_jRbjT5_S1A_jjP12ihipStream_tbEUljE_EEESV_SW_SX_S14_S18_S1A_T6_T7_T9_mT8_S1C_bDpT10_ENKUlT_T0_E_clISt17integral_constantIbLb0EES1P_EEDaS1K_S1L_EUlS1K_E_NS1_11comp_targetILNS1_3genE8ELNS1_11target_archE1030ELNS1_3gpuE2ELNS1_3repE0EEENS1_30default_config_static_selectorELNS0_4arch9wavefront6targetE0EEEvSY_.num_agpr, 0
	.set _ZN7rocprim17ROCPRIM_400000_NS6detail17trampoline_kernelINS0_13select_configILj256ELj13ELNS0_17block_load_methodE3ELS4_3ELS4_3ELNS0_20block_scan_algorithmE0ELj4294967295EEENS1_25partition_config_selectorILNS1_17partition_subalgoE3EjNS0_10empty_typeEbEEZZNS1_14partition_implILS8_3ELb0ES6_jNS0_17counting_iteratorIjlEEPS9_SE_NS0_5tupleIJPjSE_EEENSF_IJSE_SE_EEES9_SG_JZNS1_25segmented_radix_sort_implINS0_14default_configELb0EPKbPbPKlPlN2at6native12_GLOBAL__N_18offset_tEEE10hipError_tPvRmT1_PNSt15iterator_traitsISY_E10value_typeET2_T3_PNSZ_IS14_E10value_typeET4_jRbjT5_S1A_jjP12ihipStream_tbEUljE_EEESV_SW_SX_S14_S18_S1A_T6_T7_T9_mT8_S1C_bDpT10_ENKUlT_T0_E_clISt17integral_constantIbLb0EES1P_EEDaS1K_S1L_EUlS1K_E_NS1_11comp_targetILNS1_3genE8ELNS1_11target_archE1030ELNS1_3gpuE2ELNS1_3repE0EEENS1_30default_config_static_selectorELNS0_4arch9wavefront6targetE0EEEvSY_.numbered_sgpr, 0
	.set _ZN7rocprim17ROCPRIM_400000_NS6detail17trampoline_kernelINS0_13select_configILj256ELj13ELNS0_17block_load_methodE3ELS4_3ELS4_3ELNS0_20block_scan_algorithmE0ELj4294967295EEENS1_25partition_config_selectorILNS1_17partition_subalgoE3EjNS0_10empty_typeEbEEZZNS1_14partition_implILS8_3ELb0ES6_jNS0_17counting_iteratorIjlEEPS9_SE_NS0_5tupleIJPjSE_EEENSF_IJSE_SE_EEES9_SG_JZNS1_25segmented_radix_sort_implINS0_14default_configELb0EPKbPbPKlPlN2at6native12_GLOBAL__N_18offset_tEEE10hipError_tPvRmT1_PNSt15iterator_traitsISY_E10value_typeET2_T3_PNSZ_IS14_E10value_typeET4_jRbjT5_S1A_jjP12ihipStream_tbEUljE_EEESV_SW_SX_S14_S18_S1A_T6_T7_T9_mT8_S1C_bDpT10_ENKUlT_T0_E_clISt17integral_constantIbLb0EES1P_EEDaS1K_S1L_EUlS1K_E_NS1_11comp_targetILNS1_3genE8ELNS1_11target_archE1030ELNS1_3gpuE2ELNS1_3repE0EEENS1_30default_config_static_selectorELNS0_4arch9wavefront6targetE0EEEvSY_.num_named_barrier, 0
	.set _ZN7rocprim17ROCPRIM_400000_NS6detail17trampoline_kernelINS0_13select_configILj256ELj13ELNS0_17block_load_methodE3ELS4_3ELS4_3ELNS0_20block_scan_algorithmE0ELj4294967295EEENS1_25partition_config_selectorILNS1_17partition_subalgoE3EjNS0_10empty_typeEbEEZZNS1_14partition_implILS8_3ELb0ES6_jNS0_17counting_iteratorIjlEEPS9_SE_NS0_5tupleIJPjSE_EEENSF_IJSE_SE_EEES9_SG_JZNS1_25segmented_radix_sort_implINS0_14default_configELb0EPKbPbPKlPlN2at6native12_GLOBAL__N_18offset_tEEE10hipError_tPvRmT1_PNSt15iterator_traitsISY_E10value_typeET2_T3_PNSZ_IS14_E10value_typeET4_jRbjT5_S1A_jjP12ihipStream_tbEUljE_EEESV_SW_SX_S14_S18_S1A_T6_T7_T9_mT8_S1C_bDpT10_ENKUlT_T0_E_clISt17integral_constantIbLb0EES1P_EEDaS1K_S1L_EUlS1K_E_NS1_11comp_targetILNS1_3genE8ELNS1_11target_archE1030ELNS1_3gpuE2ELNS1_3repE0EEENS1_30default_config_static_selectorELNS0_4arch9wavefront6targetE0EEEvSY_.private_seg_size, 0
	.set _ZN7rocprim17ROCPRIM_400000_NS6detail17trampoline_kernelINS0_13select_configILj256ELj13ELNS0_17block_load_methodE3ELS4_3ELS4_3ELNS0_20block_scan_algorithmE0ELj4294967295EEENS1_25partition_config_selectorILNS1_17partition_subalgoE3EjNS0_10empty_typeEbEEZZNS1_14partition_implILS8_3ELb0ES6_jNS0_17counting_iteratorIjlEEPS9_SE_NS0_5tupleIJPjSE_EEENSF_IJSE_SE_EEES9_SG_JZNS1_25segmented_radix_sort_implINS0_14default_configELb0EPKbPbPKlPlN2at6native12_GLOBAL__N_18offset_tEEE10hipError_tPvRmT1_PNSt15iterator_traitsISY_E10value_typeET2_T3_PNSZ_IS14_E10value_typeET4_jRbjT5_S1A_jjP12ihipStream_tbEUljE_EEESV_SW_SX_S14_S18_S1A_T6_T7_T9_mT8_S1C_bDpT10_ENKUlT_T0_E_clISt17integral_constantIbLb0EES1P_EEDaS1K_S1L_EUlS1K_E_NS1_11comp_targetILNS1_3genE8ELNS1_11target_archE1030ELNS1_3gpuE2ELNS1_3repE0EEENS1_30default_config_static_selectorELNS0_4arch9wavefront6targetE0EEEvSY_.uses_vcc, 0
	.set _ZN7rocprim17ROCPRIM_400000_NS6detail17trampoline_kernelINS0_13select_configILj256ELj13ELNS0_17block_load_methodE3ELS4_3ELS4_3ELNS0_20block_scan_algorithmE0ELj4294967295EEENS1_25partition_config_selectorILNS1_17partition_subalgoE3EjNS0_10empty_typeEbEEZZNS1_14partition_implILS8_3ELb0ES6_jNS0_17counting_iteratorIjlEEPS9_SE_NS0_5tupleIJPjSE_EEENSF_IJSE_SE_EEES9_SG_JZNS1_25segmented_radix_sort_implINS0_14default_configELb0EPKbPbPKlPlN2at6native12_GLOBAL__N_18offset_tEEE10hipError_tPvRmT1_PNSt15iterator_traitsISY_E10value_typeET2_T3_PNSZ_IS14_E10value_typeET4_jRbjT5_S1A_jjP12ihipStream_tbEUljE_EEESV_SW_SX_S14_S18_S1A_T6_T7_T9_mT8_S1C_bDpT10_ENKUlT_T0_E_clISt17integral_constantIbLb0EES1P_EEDaS1K_S1L_EUlS1K_E_NS1_11comp_targetILNS1_3genE8ELNS1_11target_archE1030ELNS1_3gpuE2ELNS1_3repE0EEENS1_30default_config_static_selectorELNS0_4arch9wavefront6targetE0EEEvSY_.uses_flat_scratch, 0
	.set _ZN7rocprim17ROCPRIM_400000_NS6detail17trampoline_kernelINS0_13select_configILj256ELj13ELNS0_17block_load_methodE3ELS4_3ELS4_3ELNS0_20block_scan_algorithmE0ELj4294967295EEENS1_25partition_config_selectorILNS1_17partition_subalgoE3EjNS0_10empty_typeEbEEZZNS1_14partition_implILS8_3ELb0ES6_jNS0_17counting_iteratorIjlEEPS9_SE_NS0_5tupleIJPjSE_EEENSF_IJSE_SE_EEES9_SG_JZNS1_25segmented_radix_sort_implINS0_14default_configELb0EPKbPbPKlPlN2at6native12_GLOBAL__N_18offset_tEEE10hipError_tPvRmT1_PNSt15iterator_traitsISY_E10value_typeET2_T3_PNSZ_IS14_E10value_typeET4_jRbjT5_S1A_jjP12ihipStream_tbEUljE_EEESV_SW_SX_S14_S18_S1A_T6_T7_T9_mT8_S1C_bDpT10_ENKUlT_T0_E_clISt17integral_constantIbLb0EES1P_EEDaS1K_S1L_EUlS1K_E_NS1_11comp_targetILNS1_3genE8ELNS1_11target_archE1030ELNS1_3gpuE2ELNS1_3repE0EEENS1_30default_config_static_selectorELNS0_4arch9wavefront6targetE0EEEvSY_.has_dyn_sized_stack, 0
	.set _ZN7rocprim17ROCPRIM_400000_NS6detail17trampoline_kernelINS0_13select_configILj256ELj13ELNS0_17block_load_methodE3ELS4_3ELS4_3ELNS0_20block_scan_algorithmE0ELj4294967295EEENS1_25partition_config_selectorILNS1_17partition_subalgoE3EjNS0_10empty_typeEbEEZZNS1_14partition_implILS8_3ELb0ES6_jNS0_17counting_iteratorIjlEEPS9_SE_NS0_5tupleIJPjSE_EEENSF_IJSE_SE_EEES9_SG_JZNS1_25segmented_radix_sort_implINS0_14default_configELb0EPKbPbPKlPlN2at6native12_GLOBAL__N_18offset_tEEE10hipError_tPvRmT1_PNSt15iterator_traitsISY_E10value_typeET2_T3_PNSZ_IS14_E10value_typeET4_jRbjT5_S1A_jjP12ihipStream_tbEUljE_EEESV_SW_SX_S14_S18_S1A_T6_T7_T9_mT8_S1C_bDpT10_ENKUlT_T0_E_clISt17integral_constantIbLb0EES1P_EEDaS1K_S1L_EUlS1K_E_NS1_11comp_targetILNS1_3genE8ELNS1_11target_archE1030ELNS1_3gpuE2ELNS1_3repE0EEENS1_30default_config_static_selectorELNS0_4arch9wavefront6targetE0EEEvSY_.has_recursion, 0
	.set _ZN7rocprim17ROCPRIM_400000_NS6detail17trampoline_kernelINS0_13select_configILj256ELj13ELNS0_17block_load_methodE3ELS4_3ELS4_3ELNS0_20block_scan_algorithmE0ELj4294967295EEENS1_25partition_config_selectorILNS1_17partition_subalgoE3EjNS0_10empty_typeEbEEZZNS1_14partition_implILS8_3ELb0ES6_jNS0_17counting_iteratorIjlEEPS9_SE_NS0_5tupleIJPjSE_EEENSF_IJSE_SE_EEES9_SG_JZNS1_25segmented_radix_sort_implINS0_14default_configELb0EPKbPbPKlPlN2at6native12_GLOBAL__N_18offset_tEEE10hipError_tPvRmT1_PNSt15iterator_traitsISY_E10value_typeET2_T3_PNSZ_IS14_E10value_typeET4_jRbjT5_S1A_jjP12ihipStream_tbEUljE_EEESV_SW_SX_S14_S18_S1A_T6_T7_T9_mT8_S1C_bDpT10_ENKUlT_T0_E_clISt17integral_constantIbLb0EES1P_EEDaS1K_S1L_EUlS1K_E_NS1_11comp_targetILNS1_3genE8ELNS1_11target_archE1030ELNS1_3gpuE2ELNS1_3repE0EEENS1_30default_config_static_selectorELNS0_4arch9wavefront6targetE0EEEvSY_.has_indirect_call, 0
	.section	.AMDGPU.csdata,"",@progbits
; Kernel info:
; codeLenInByte = 0
; TotalNumSgprs: 0
; NumVgprs: 0
; ScratchSize: 0
; MemoryBound: 0
; FloatMode: 240
; IeeeMode: 1
; LDSByteSize: 0 bytes/workgroup (compile time only)
; SGPRBlocks: 0
; VGPRBlocks: 0
; NumSGPRsForWavesPerEU: 1
; NumVGPRsForWavesPerEU: 1
; Occupancy: 16
; WaveLimiterHint : 0
; COMPUTE_PGM_RSRC2:SCRATCH_EN: 0
; COMPUTE_PGM_RSRC2:USER_SGPR: 2
; COMPUTE_PGM_RSRC2:TRAP_HANDLER: 0
; COMPUTE_PGM_RSRC2:TGID_X_EN: 1
; COMPUTE_PGM_RSRC2:TGID_Y_EN: 0
; COMPUTE_PGM_RSRC2:TGID_Z_EN: 0
; COMPUTE_PGM_RSRC2:TIDIG_COMP_CNT: 0
	.section	.text._ZN7rocprim17ROCPRIM_400000_NS6detail17trampoline_kernelINS0_13select_configILj256ELj13ELNS0_17block_load_methodE3ELS4_3ELS4_3ELNS0_20block_scan_algorithmE0ELj4294967295EEENS1_25partition_config_selectorILNS1_17partition_subalgoE3EjNS0_10empty_typeEbEEZZNS1_14partition_implILS8_3ELb0ES6_jNS0_17counting_iteratorIjlEEPS9_SE_NS0_5tupleIJPjSE_EEENSF_IJSE_SE_EEES9_SG_JZNS1_25segmented_radix_sort_implINS0_14default_configELb0EPKbPbPKlPlN2at6native12_GLOBAL__N_18offset_tEEE10hipError_tPvRmT1_PNSt15iterator_traitsISY_E10value_typeET2_T3_PNSZ_IS14_E10value_typeET4_jRbjT5_S1A_jjP12ihipStream_tbEUljE_EEESV_SW_SX_S14_S18_S1A_T6_T7_T9_mT8_S1C_bDpT10_ENKUlT_T0_E_clISt17integral_constantIbLb1EES1P_EEDaS1K_S1L_EUlS1K_E_NS1_11comp_targetILNS1_3genE0ELNS1_11target_archE4294967295ELNS1_3gpuE0ELNS1_3repE0EEENS1_30default_config_static_selectorELNS0_4arch9wavefront6targetE0EEEvSY_,"axG",@progbits,_ZN7rocprim17ROCPRIM_400000_NS6detail17trampoline_kernelINS0_13select_configILj256ELj13ELNS0_17block_load_methodE3ELS4_3ELS4_3ELNS0_20block_scan_algorithmE0ELj4294967295EEENS1_25partition_config_selectorILNS1_17partition_subalgoE3EjNS0_10empty_typeEbEEZZNS1_14partition_implILS8_3ELb0ES6_jNS0_17counting_iteratorIjlEEPS9_SE_NS0_5tupleIJPjSE_EEENSF_IJSE_SE_EEES9_SG_JZNS1_25segmented_radix_sort_implINS0_14default_configELb0EPKbPbPKlPlN2at6native12_GLOBAL__N_18offset_tEEE10hipError_tPvRmT1_PNSt15iterator_traitsISY_E10value_typeET2_T3_PNSZ_IS14_E10value_typeET4_jRbjT5_S1A_jjP12ihipStream_tbEUljE_EEESV_SW_SX_S14_S18_S1A_T6_T7_T9_mT8_S1C_bDpT10_ENKUlT_T0_E_clISt17integral_constantIbLb1EES1P_EEDaS1K_S1L_EUlS1K_E_NS1_11comp_targetILNS1_3genE0ELNS1_11target_archE4294967295ELNS1_3gpuE0ELNS1_3repE0EEENS1_30default_config_static_selectorELNS0_4arch9wavefront6targetE0EEEvSY_,comdat
	.globl	_ZN7rocprim17ROCPRIM_400000_NS6detail17trampoline_kernelINS0_13select_configILj256ELj13ELNS0_17block_load_methodE3ELS4_3ELS4_3ELNS0_20block_scan_algorithmE0ELj4294967295EEENS1_25partition_config_selectorILNS1_17partition_subalgoE3EjNS0_10empty_typeEbEEZZNS1_14partition_implILS8_3ELb0ES6_jNS0_17counting_iteratorIjlEEPS9_SE_NS0_5tupleIJPjSE_EEENSF_IJSE_SE_EEES9_SG_JZNS1_25segmented_radix_sort_implINS0_14default_configELb0EPKbPbPKlPlN2at6native12_GLOBAL__N_18offset_tEEE10hipError_tPvRmT1_PNSt15iterator_traitsISY_E10value_typeET2_T3_PNSZ_IS14_E10value_typeET4_jRbjT5_S1A_jjP12ihipStream_tbEUljE_EEESV_SW_SX_S14_S18_S1A_T6_T7_T9_mT8_S1C_bDpT10_ENKUlT_T0_E_clISt17integral_constantIbLb1EES1P_EEDaS1K_S1L_EUlS1K_E_NS1_11comp_targetILNS1_3genE0ELNS1_11target_archE4294967295ELNS1_3gpuE0ELNS1_3repE0EEENS1_30default_config_static_selectorELNS0_4arch9wavefront6targetE0EEEvSY_ ; -- Begin function _ZN7rocprim17ROCPRIM_400000_NS6detail17trampoline_kernelINS0_13select_configILj256ELj13ELNS0_17block_load_methodE3ELS4_3ELS4_3ELNS0_20block_scan_algorithmE0ELj4294967295EEENS1_25partition_config_selectorILNS1_17partition_subalgoE3EjNS0_10empty_typeEbEEZZNS1_14partition_implILS8_3ELb0ES6_jNS0_17counting_iteratorIjlEEPS9_SE_NS0_5tupleIJPjSE_EEENSF_IJSE_SE_EEES9_SG_JZNS1_25segmented_radix_sort_implINS0_14default_configELb0EPKbPbPKlPlN2at6native12_GLOBAL__N_18offset_tEEE10hipError_tPvRmT1_PNSt15iterator_traitsISY_E10value_typeET2_T3_PNSZ_IS14_E10value_typeET4_jRbjT5_S1A_jjP12ihipStream_tbEUljE_EEESV_SW_SX_S14_S18_S1A_T6_T7_T9_mT8_S1C_bDpT10_ENKUlT_T0_E_clISt17integral_constantIbLb1EES1P_EEDaS1K_S1L_EUlS1K_E_NS1_11comp_targetILNS1_3genE0ELNS1_11target_archE4294967295ELNS1_3gpuE0ELNS1_3repE0EEENS1_30default_config_static_selectorELNS0_4arch9wavefront6targetE0EEEvSY_
	.p2align	8
	.type	_ZN7rocprim17ROCPRIM_400000_NS6detail17trampoline_kernelINS0_13select_configILj256ELj13ELNS0_17block_load_methodE3ELS4_3ELS4_3ELNS0_20block_scan_algorithmE0ELj4294967295EEENS1_25partition_config_selectorILNS1_17partition_subalgoE3EjNS0_10empty_typeEbEEZZNS1_14partition_implILS8_3ELb0ES6_jNS0_17counting_iteratorIjlEEPS9_SE_NS0_5tupleIJPjSE_EEENSF_IJSE_SE_EEES9_SG_JZNS1_25segmented_radix_sort_implINS0_14default_configELb0EPKbPbPKlPlN2at6native12_GLOBAL__N_18offset_tEEE10hipError_tPvRmT1_PNSt15iterator_traitsISY_E10value_typeET2_T3_PNSZ_IS14_E10value_typeET4_jRbjT5_S1A_jjP12ihipStream_tbEUljE_EEESV_SW_SX_S14_S18_S1A_T6_T7_T9_mT8_S1C_bDpT10_ENKUlT_T0_E_clISt17integral_constantIbLb1EES1P_EEDaS1K_S1L_EUlS1K_E_NS1_11comp_targetILNS1_3genE0ELNS1_11target_archE4294967295ELNS1_3gpuE0ELNS1_3repE0EEENS1_30default_config_static_selectorELNS0_4arch9wavefront6targetE0EEEvSY_,@function
_ZN7rocprim17ROCPRIM_400000_NS6detail17trampoline_kernelINS0_13select_configILj256ELj13ELNS0_17block_load_methodE3ELS4_3ELS4_3ELNS0_20block_scan_algorithmE0ELj4294967295EEENS1_25partition_config_selectorILNS1_17partition_subalgoE3EjNS0_10empty_typeEbEEZZNS1_14partition_implILS8_3ELb0ES6_jNS0_17counting_iteratorIjlEEPS9_SE_NS0_5tupleIJPjSE_EEENSF_IJSE_SE_EEES9_SG_JZNS1_25segmented_radix_sort_implINS0_14default_configELb0EPKbPbPKlPlN2at6native12_GLOBAL__N_18offset_tEEE10hipError_tPvRmT1_PNSt15iterator_traitsISY_E10value_typeET2_T3_PNSZ_IS14_E10value_typeET4_jRbjT5_S1A_jjP12ihipStream_tbEUljE_EEESV_SW_SX_S14_S18_S1A_T6_T7_T9_mT8_S1C_bDpT10_ENKUlT_T0_E_clISt17integral_constantIbLb1EES1P_EEDaS1K_S1L_EUlS1K_E_NS1_11comp_targetILNS1_3genE0ELNS1_11target_archE4294967295ELNS1_3gpuE0ELNS1_3repE0EEENS1_30default_config_static_selectorELNS0_4arch9wavefront6targetE0EEEvSY_: ; @_ZN7rocprim17ROCPRIM_400000_NS6detail17trampoline_kernelINS0_13select_configILj256ELj13ELNS0_17block_load_methodE3ELS4_3ELS4_3ELNS0_20block_scan_algorithmE0ELj4294967295EEENS1_25partition_config_selectorILNS1_17partition_subalgoE3EjNS0_10empty_typeEbEEZZNS1_14partition_implILS8_3ELb0ES6_jNS0_17counting_iteratorIjlEEPS9_SE_NS0_5tupleIJPjSE_EEENSF_IJSE_SE_EEES9_SG_JZNS1_25segmented_radix_sort_implINS0_14default_configELb0EPKbPbPKlPlN2at6native12_GLOBAL__N_18offset_tEEE10hipError_tPvRmT1_PNSt15iterator_traitsISY_E10value_typeET2_T3_PNSZ_IS14_E10value_typeET4_jRbjT5_S1A_jjP12ihipStream_tbEUljE_EEESV_SW_SX_S14_S18_S1A_T6_T7_T9_mT8_S1C_bDpT10_ENKUlT_T0_E_clISt17integral_constantIbLb1EES1P_EEDaS1K_S1L_EUlS1K_E_NS1_11comp_targetILNS1_3genE0ELNS1_11target_archE4294967295ELNS1_3gpuE0ELNS1_3repE0EEENS1_30default_config_static_selectorELNS0_4arch9wavefront6targetE0EEEvSY_
; %bb.0:
	.section	.rodata,"a",@progbits
	.p2align	6, 0x0
	.amdhsa_kernel _ZN7rocprim17ROCPRIM_400000_NS6detail17trampoline_kernelINS0_13select_configILj256ELj13ELNS0_17block_load_methodE3ELS4_3ELS4_3ELNS0_20block_scan_algorithmE0ELj4294967295EEENS1_25partition_config_selectorILNS1_17partition_subalgoE3EjNS0_10empty_typeEbEEZZNS1_14partition_implILS8_3ELb0ES6_jNS0_17counting_iteratorIjlEEPS9_SE_NS0_5tupleIJPjSE_EEENSF_IJSE_SE_EEES9_SG_JZNS1_25segmented_radix_sort_implINS0_14default_configELb0EPKbPbPKlPlN2at6native12_GLOBAL__N_18offset_tEEE10hipError_tPvRmT1_PNSt15iterator_traitsISY_E10value_typeET2_T3_PNSZ_IS14_E10value_typeET4_jRbjT5_S1A_jjP12ihipStream_tbEUljE_EEESV_SW_SX_S14_S18_S1A_T6_T7_T9_mT8_S1C_bDpT10_ENKUlT_T0_E_clISt17integral_constantIbLb1EES1P_EEDaS1K_S1L_EUlS1K_E_NS1_11comp_targetILNS1_3genE0ELNS1_11target_archE4294967295ELNS1_3gpuE0ELNS1_3repE0EEENS1_30default_config_static_selectorELNS0_4arch9wavefront6targetE0EEEvSY_
		.amdhsa_group_segment_fixed_size 0
		.amdhsa_private_segment_fixed_size 0
		.amdhsa_kernarg_size 152
		.amdhsa_user_sgpr_count 2
		.amdhsa_user_sgpr_dispatch_ptr 0
		.amdhsa_user_sgpr_queue_ptr 0
		.amdhsa_user_sgpr_kernarg_segment_ptr 1
		.amdhsa_user_sgpr_dispatch_id 0
		.amdhsa_user_sgpr_private_segment_size 0
		.amdhsa_wavefront_size32 1
		.amdhsa_uses_dynamic_stack 0
		.amdhsa_enable_private_segment 0
		.amdhsa_system_sgpr_workgroup_id_x 1
		.amdhsa_system_sgpr_workgroup_id_y 0
		.amdhsa_system_sgpr_workgroup_id_z 0
		.amdhsa_system_sgpr_workgroup_info 0
		.amdhsa_system_vgpr_workitem_id 0
		.amdhsa_next_free_vgpr 1
		.amdhsa_next_free_sgpr 1
		.amdhsa_reserve_vcc 0
		.amdhsa_float_round_mode_32 0
		.amdhsa_float_round_mode_16_64 0
		.amdhsa_float_denorm_mode_32 3
		.amdhsa_float_denorm_mode_16_64 3
		.amdhsa_fp16_overflow 0
		.amdhsa_workgroup_processor_mode 1
		.amdhsa_memory_ordered 1
		.amdhsa_forward_progress 1
		.amdhsa_inst_pref_size 0
		.amdhsa_round_robin_scheduling 0
		.amdhsa_exception_fp_ieee_invalid_op 0
		.amdhsa_exception_fp_denorm_src 0
		.amdhsa_exception_fp_ieee_div_zero 0
		.amdhsa_exception_fp_ieee_overflow 0
		.amdhsa_exception_fp_ieee_underflow 0
		.amdhsa_exception_fp_ieee_inexact 0
		.amdhsa_exception_int_div_zero 0
	.end_amdhsa_kernel
	.section	.text._ZN7rocprim17ROCPRIM_400000_NS6detail17trampoline_kernelINS0_13select_configILj256ELj13ELNS0_17block_load_methodE3ELS4_3ELS4_3ELNS0_20block_scan_algorithmE0ELj4294967295EEENS1_25partition_config_selectorILNS1_17partition_subalgoE3EjNS0_10empty_typeEbEEZZNS1_14partition_implILS8_3ELb0ES6_jNS0_17counting_iteratorIjlEEPS9_SE_NS0_5tupleIJPjSE_EEENSF_IJSE_SE_EEES9_SG_JZNS1_25segmented_radix_sort_implINS0_14default_configELb0EPKbPbPKlPlN2at6native12_GLOBAL__N_18offset_tEEE10hipError_tPvRmT1_PNSt15iterator_traitsISY_E10value_typeET2_T3_PNSZ_IS14_E10value_typeET4_jRbjT5_S1A_jjP12ihipStream_tbEUljE_EEESV_SW_SX_S14_S18_S1A_T6_T7_T9_mT8_S1C_bDpT10_ENKUlT_T0_E_clISt17integral_constantIbLb1EES1P_EEDaS1K_S1L_EUlS1K_E_NS1_11comp_targetILNS1_3genE0ELNS1_11target_archE4294967295ELNS1_3gpuE0ELNS1_3repE0EEENS1_30default_config_static_selectorELNS0_4arch9wavefront6targetE0EEEvSY_,"axG",@progbits,_ZN7rocprim17ROCPRIM_400000_NS6detail17trampoline_kernelINS0_13select_configILj256ELj13ELNS0_17block_load_methodE3ELS4_3ELS4_3ELNS0_20block_scan_algorithmE0ELj4294967295EEENS1_25partition_config_selectorILNS1_17partition_subalgoE3EjNS0_10empty_typeEbEEZZNS1_14partition_implILS8_3ELb0ES6_jNS0_17counting_iteratorIjlEEPS9_SE_NS0_5tupleIJPjSE_EEENSF_IJSE_SE_EEES9_SG_JZNS1_25segmented_radix_sort_implINS0_14default_configELb0EPKbPbPKlPlN2at6native12_GLOBAL__N_18offset_tEEE10hipError_tPvRmT1_PNSt15iterator_traitsISY_E10value_typeET2_T3_PNSZ_IS14_E10value_typeET4_jRbjT5_S1A_jjP12ihipStream_tbEUljE_EEESV_SW_SX_S14_S18_S1A_T6_T7_T9_mT8_S1C_bDpT10_ENKUlT_T0_E_clISt17integral_constantIbLb1EES1P_EEDaS1K_S1L_EUlS1K_E_NS1_11comp_targetILNS1_3genE0ELNS1_11target_archE4294967295ELNS1_3gpuE0ELNS1_3repE0EEENS1_30default_config_static_selectorELNS0_4arch9wavefront6targetE0EEEvSY_,comdat
.Lfunc_end1611:
	.size	_ZN7rocprim17ROCPRIM_400000_NS6detail17trampoline_kernelINS0_13select_configILj256ELj13ELNS0_17block_load_methodE3ELS4_3ELS4_3ELNS0_20block_scan_algorithmE0ELj4294967295EEENS1_25partition_config_selectorILNS1_17partition_subalgoE3EjNS0_10empty_typeEbEEZZNS1_14partition_implILS8_3ELb0ES6_jNS0_17counting_iteratorIjlEEPS9_SE_NS0_5tupleIJPjSE_EEENSF_IJSE_SE_EEES9_SG_JZNS1_25segmented_radix_sort_implINS0_14default_configELb0EPKbPbPKlPlN2at6native12_GLOBAL__N_18offset_tEEE10hipError_tPvRmT1_PNSt15iterator_traitsISY_E10value_typeET2_T3_PNSZ_IS14_E10value_typeET4_jRbjT5_S1A_jjP12ihipStream_tbEUljE_EEESV_SW_SX_S14_S18_S1A_T6_T7_T9_mT8_S1C_bDpT10_ENKUlT_T0_E_clISt17integral_constantIbLb1EES1P_EEDaS1K_S1L_EUlS1K_E_NS1_11comp_targetILNS1_3genE0ELNS1_11target_archE4294967295ELNS1_3gpuE0ELNS1_3repE0EEENS1_30default_config_static_selectorELNS0_4arch9wavefront6targetE0EEEvSY_, .Lfunc_end1611-_ZN7rocprim17ROCPRIM_400000_NS6detail17trampoline_kernelINS0_13select_configILj256ELj13ELNS0_17block_load_methodE3ELS4_3ELS4_3ELNS0_20block_scan_algorithmE0ELj4294967295EEENS1_25partition_config_selectorILNS1_17partition_subalgoE3EjNS0_10empty_typeEbEEZZNS1_14partition_implILS8_3ELb0ES6_jNS0_17counting_iteratorIjlEEPS9_SE_NS0_5tupleIJPjSE_EEENSF_IJSE_SE_EEES9_SG_JZNS1_25segmented_radix_sort_implINS0_14default_configELb0EPKbPbPKlPlN2at6native12_GLOBAL__N_18offset_tEEE10hipError_tPvRmT1_PNSt15iterator_traitsISY_E10value_typeET2_T3_PNSZ_IS14_E10value_typeET4_jRbjT5_S1A_jjP12ihipStream_tbEUljE_EEESV_SW_SX_S14_S18_S1A_T6_T7_T9_mT8_S1C_bDpT10_ENKUlT_T0_E_clISt17integral_constantIbLb1EES1P_EEDaS1K_S1L_EUlS1K_E_NS1_11comp_targetILNS1_3genE0ELNS1_11target_archE4294967295ELNS1_3gpuE0ELNS1_3repE0EEENS1_30default_config_static_selectorELNS0_4arch9wavefront6targetE0EEEvSY_
                                        ; -- End function
	.set _ZN7rocprim17ROCPRIM_400000_NS6detail17trampoline_kernelINS0_13select_configILj256ELj13ELNS0_17block_load_methodE3ELS4_3ELS4_3ELNS0_20block_scan_algorithmE0ELj4294967295EEENS1_25partition_config_selectorILNS1_17partition_subalgoE3EjNS0_10empty_typeEbEEZZNS1_14partition_implILS8_3ELb0ES6_jNS0_17counting_iteratorIjlEEPS9_SE_NS0_5tupleIJPjSE_EEENSF_IJSE_SE_EEES9_SG_JZNS1_25segmented_radix_sort_implINS0_14default_configELb0EPKbPbPKlPlN2at6native12_GLOBAL__N_18offset_tEEE10hipError_tPvRmT1_PNSt15iterator_traitsISY_E10value_typeET2_T3_PNSZ_IS14_E10value_typeET4_jRbjT5_S1A_jjP12ihipStream_tbEUljE_EEESV_SW_SX_S14_S18_S1A_T6_T7_T9_mT8_S1C_bDpT10_ENKUlT_T0_E_clISt17integral_constantIbLb1EES1P_EEDaS1K_S1L_EUlS1K_E_NS1_11comp_targetILNS1_3genE0ELNS1_11target_archE4294967295ELNS1_3gpuE0ELNS1_3repE0EEENS1_30default_config_static_selectorELNS0_4arch9wavefront6targetE0EEEvSY_.num_vgpr, 0
	.set _ZN7rocprim17ROCPRIM_400000_NS6detail17trampoline_kernelINS0_13select_configILj256ELj13ELNS0_17block_load_methodE3ELS4_3ELS4_3ELNS0_20block_scan_algorithmE0ELj4294967295EEENS1_25partition_config_selectorILNS1_17partition_subalgoE3EjNS0_10empty_typeEbEEZZNS1_14partition_implILS8_3ELb0ES6_jNS0_17counting_iteratorIjlEEPS9_SE_NS0_5tupleIJPjSE_EEENSF_IJSE_SE_EEES9_SG_JZNS1_25segmented_radix_sort_implINS0_14default_configELb0EPKbPbPKlPlN2at6native12_GLOBAL__N_18offset_tEEE10hipError_tPvRmT1_PNSt15iterator_traitsISY_E10value_typeET2_T3_PNSZ_IS14_E10value_typeET4_jRbjT5_S1A_jjP12ihipStream_tbEUljE_EEESV_SW_SX_S14_S18_S1A_T6_T7_T9_mT8_S1C_bDpT10_ENKUlT_T0_E_clISt17integral_constantIbLb1EES1P_EEDaS1K_S1L_EUlS1K_E_NS1_11comp_targetILNS1_3genE0ELNS1_11target_archE4294967295ELNS1_3gpuE0ELNS1_3repE0EEENS1_30default_config_static_selectorELNS0_4arch9wavefront6targetE0EEEvSY_.num_agpr, 0
	.set _ZN7rocprim17ROCPRIM_400000_NS6detail17trampoline_kernelINS0_13select_configILj256ELj13ELNS0_17block_load_methodE3ELS4_3ELS4_3ELNS0_20block_scan_algorithmE0ELj4294967295EEENS1_25partition_config_selectorILNS1_17partition_subalgoE3EjNS0_10empty_typeEbEEZZNS1_14partition_implILS8_3ELb0ES6_jNS0_17counting_iteratorIjlEEPS9_SE_NS0_5tupleIJPjSE_EEENSF_IJSE_SE_EEES9_SG_JZNS1_25segmented_radix_sort_implINS0_14default_configELb0EPKbPbPKlPlN2at6native12_GLOBAL__N_18offset_tEEE10hipError_tPvRmT1_PNSt15iterator_traitsISY_E10value_typeET2_T3_PNSZ_IS14_E10value_typeET4_jRbjT5_S1A_jjP12ihipStream_tbEUljE_EEESV_SW_SX_S14_S18_S1A_T6_T7_T9_mT8_S1C_bDpT10_ENKUlT_T0_E_clISt17integral_constantIbLb1EES1P_EEDaS1K_S1L_EUlS1K_E_NS1_11comp_targetILNS1_3genE0ELNS1_11target_archE4294967295ELNS1_3gpuE0ELNS1_3repE0EEENS1_30default_config_static_selectorELNS0_4arch9wavefront6targetE0EEEvSY_.numbered_sgpr, 0
	.set _ZN7rocprim17ROCPRIM_400000_NS6detail17trampoline_kernelINS0_13select_configILj256ELj13ELNS0_17block_load_methodE3ELS4_3ELS4_3ELNS0_20block_scan_algorithmE0ELj4294967295EEENS1_25partition_config_selectorILNS1_17partition_subalgoE3EjNS0_10empty_typeEbEEZZNS1_14partition_implILS8_3ELb0ES6_jNS0_17counting_iteratorIjlEEPS9_SE_NS0_5tupleIJPjSE_EEENSF_IJSE_SE_EEES9_SG_JZNS1_25segmented_radix_sort_implINS0_14default_configELb0EPKbPbPKlPlN2at6native12_GLOBAL__N_18offset_tEEE10hipError_tPvRmT1_PNSt15iterator_traitsISY_E10value_typeET2_T3_PNSZ_IS14_E10value_typeET4_jRbjT5_S1A_jjP12ihipStream_tbEUljE_EEESV_SW_SX_S14_S18_S1A_T6_T7_T9_mT8_S1C_bDpT10_ENKUlT_T0_E_clISt17integral_constantIbLb1EES1P_EEDaS1K_S1L_EUlS1K_E_NS1_11comp_targetILNS1_3genE0ELNS1_11target_archE4294967295ELNS1_3gpuE0ELNS1_3repE0EEENS1_30default_config_static_selectorELNS0_4arch9wavefront6targetE0EEEvSY_.num_named_barrier, 0
	.set _ZN7rocprim17ROCPRIM_400000_NS6detail17trampoline_kernelINS0_13select_configILj256ELj13ELNS0_17block_load_methodE3ELS4_3ELS4_3ELNS0_20block_scan_algorithmE0ELj4294967295EEENS1_25partition_config_selectorILNS1_17partition_subalgoE3EjNS0_10empty_typeEbEEZZNS1_14partition_implILS8_3ELb0ES6_jNS0_17counting_iteratorIjlEEPS9_SE_NS0_5tupleIJPjSE_EEENSF_IJSE_SE_EEES9_SG_JZNS1_25segmented_radix_sort_implINS0_14default_configELb0EPKbPbPKlPlN2at6native12_GLOBAL__N_18offset_tEEE10hipError_tPvRmT1_PNSt15iterator_traitsISY_E10value_typeET2_T3_PNSZ_IS14_E10value_typeET4_jRbjT5_S1A_jjP12ihipStream_tbEUljE_EEESV_SW_SX_S14_S18_S1A_T6_T7_T9_mT8_S1C_bDpT10_ENKUlT_T0_E_clISt17integral_constantIbLb1EES1P_EEDaS1K_S1L_EUlS1K_E_NS1_11comp_targetILNS1_3genE0ELNS1_11target_archE4294967295ELNS1_3gpuE0ELNS1_3repE0EEENS1_30default_config_static_selectorELNS0_4arch9wavefront6targetE0EEEvSY_.private_seg_size, 0
	.set _ZN7rocprim17ROCPRIM_400000_NS6detail17trampoline_kernelINS0_13select_configILj256ELj13ELNS0_17block_load_methodE3ELS4_3ELS4_3ELNS0_20block_scan_algorithmE0ELj4294967295EEENS1_25partition_config_selectorILNS1_17partition_subalgoE3EjNS0_10empty_typeEbEEZZNS1_14partition_implILS8_3ELb0ES6_jNS0_17counting_iteratorIjlEEPS9_SE_NS0_5tupleIJPjSE_EEENSF_IJSE_SE_EEES9_SG_JZNS1_25segmented_radix_sort_implINS0_14default_configELb0EPKbPbPKlPlN2at6native12_GLOBAL__N_18offset_tEEE10hipError_tPvRmT1_PNSt15iterator_traitsISY_E10value_typeET2_T3_PNSZ_IS14_E10value_typeET4_jRbjT5_S1A_jjP12ihipStream_tbEUljE_EEESV_SW_SX_S14_S18_S1A_T6_T7_T9_mT8_S1C_bDpT10_ENKUlT_T0_E_clISt17integral_constantIbLb1EES1P_EEDaS1K_S1L_EUlS1K_E_NS1_11comp_targetILNS1_3genE0ELNS1_11target_archE4294967295ELNS1_3gpuE0ELNS1_3repE0EEENS1_30default_config_static_selectorELNS0_4arch9wavefront6targetE0EEEvSY_.uses_vcc, 0
	.set _ZN7rocprim17ROCPRIM_400000_NS6detail17trampoline_kernelINS0_13select_configILj256ELj13ELNS0_17block_load_methodE3ELS4_3ELS4_3ELNS0_20block_scan_algorithmE0ELj4294967295EEENS1_25partition_config_selectorILNS1_17partition_subalgoE3EjNS0_10empty_typeEbEEZZNS1_14partition_implILS8_3ELb0ES6_jNS0_17counting_iteratorIjlEEPS9_SE_NS0_5tupleIJPjSE_EEENSF_IJSE_SE_EEES9_SG_JZNS1_25segmented_radix_sort_implINS0_14default_configELb0EPKbPbPKlPlN2at6native12_GLOBAL__N_18offset_tEEE10hipError_tPvRmT1_PNSt15iterator_traitsISY_E10value_typeET2_T3_PNSZ_IS14_E10value_typeET4_jRbjT5_S1A_jjP12ihipStream_tbEUljE_EEESV_SW_SX_S14_S18_S1A_T6_T7_T9_mT8_S1C_bDpT10_ENKUlT_T0_E_clISt17integral_constantIbLb1EES1P_EEDaS1K_S1L_EUlS1K_E_NS1_11comp_targetILNS1_3genE0ELNS1_11target_archE4294967295ELNS1_3gpuE0ELNS1_3repE0EEENS1_30default_config_static_selectorELNS0_4arch9wavefront6targetE0EEEvSY_.uses_flat_scratch, 0
	.set _ZN7rocprim17ROCPRIM_400000_NS6detail17trampoline_kernelINS0_13select_configILj256ELj13ELNS0_17block_load_methodE3ELS4_3ELS4_3ELNS0_20block_scan_algorithmE0ELj4294967295EEENS1_25partition_config_selectorILNS1_17partition_subalgoE3EjNS0_10empty_typeEbEEZZNS1_14partition_implILS8_3ELb0ES6_jNS0_17counting_iteratorIjlEEPS9_SE_NS0_5tupleIJPjSE_EEENSF_IJSE_SE_EEES9_SG_JZNS1_25segmented_radix_sort_implINS0_14default_configELb0EPKbPbPKlPlN2at6native12_GLOBAL__N_18offset_tEEE10hipError_tPvRmT1_PNSt15iterator_traitsISY_E10value_typeET2_T3_PNSZ_IS14_E10value_typeET4_jRbjT5_S1A_jjP12ihipStream_tbEUljE_EEESV_SW_SX_S14_S18_S1A_T6_T7_T9_mT8_S1C_bDpT10_ENKUlT_T0_E_clISt17integral_constantIbLb1EES1P_EEDaS1K_S1L_EUlS1K_E_NS1_11comp_targetILNS1_3genE0ELNS1_11target_archE4294967295ELNS1_3gpuE0ELNS1_3repE0EEENS1_30default_config_static_selectorELNS0_4arch9wavefront6targetE0EEEvSY_.has_dyn_sized_stack, 0
	.set _ZN7rocprim17ROCPRIM_400000_NS6detail17trampoline_kernelINS0_13select_configILj256ELj13ELNS0_17block_load_methodE3ELS4_3ELS4_3ELNS0_20block_scan_algorithmE0ELj4294967295EEENS1_25partition_config_selectorILNS1_17partition_subalgoE3EjNS0_10empty_typeEbEEZZNS1_14partition_implILS8_3ELb0ES6_jNS0_17counting_iteratorIjlEEPS9_SE_NS0_5tupleIJPjSE_EEENSF_IJSE_SE_EEES9_SG_JZNS1_25segmented_radix_sort_implINS0_14default_configELb0EPKbPbPKlPlN2at6native12_GLOBAL__N_18offset_tEEE10hipError_tPvRmT1_PNSt15iterator_traitsISY_E10value_typeET2_T3_PNSZ_IS14_E10value_typeET4_jRbjT5_S1A_jjP12ihipStream_tbEUljE_EEESV_SW_SX_S14_S18_S1A_T6_T7_T9_mT8_S1C_bDpT10_ENKUlT_T0_E_clISt17integral_constantIbLb1EES1P_EEDaS1K_S1L_EUlS1K_E_NS1_11comp_targetILNS1_3genE0ELNS1_11target_archE4294967295ELNS1_3gpuE0ELNS1_3repE0EEENS1_30default_config_static_selectorELNS0_4arch9wavefront6targetE0EEEvSY_.has_recursion, 0
	.set _ZN7rocprim17ROCPRIM_400000_NS6detail17trampoline_kernelINS0_13select_configILj256ELj13ELNS0_17block_load_methodE3ELS4_3ELS4_3ELNS0_20block_scan_algorithmE0ELj4294967295EEENS1_25partition_config_selectorILNS1_17partition_subalgoE3EjNS0_10empty_typeEbEEZZNS1_14partition_implILS8_3ELb0ES6_jNS0_17counting_iteratorIjlEEPS9_SE_NS0_5tupleIJPjSE_EEENSF_IJSE_SE_EEES9_SG_JZNS1_25segmented_radix_sort_implINS0_14default_configELb0EPKbPbPKlPlN2at6native12_GLOBAL__N_18offset_tEEE10hipError_tPvRmT1_PNSt15iterator_traitsISY_E10value_typeET2_T3_PNSZ_IS14_E10value_typeET4_jRbjT5_S1A_jjP12ihipStream_tbEUljE_EEESV_SW_SX_S14_S18_S1A_T6_T7_T9_mT8_S1C_bDpT10_ENKUlT_T0_E_clISt17integral_constantIbLb1EES1P_EEDaS1K_S1L_EUlS1K_E_NS1_11comp_targetILNS1_3genE0ELNS1_11target_archE4294967295ELNS1_3gpuE0ELNS1_3repE0EEENS1_30default_config_static_selectorELNS0_4arch9wavefront6targetE0EEEvSY_.has_indirect_call, 0
	.section	.AMDGPU.csdata,"",@progbits
; Kernel info:
; codeLenInByte = 0
; TotalNumSgprs: 0
; NumVgprs: 0
; ScratchSize: 0
; MemoryBound: 0
; FloatMode: 240
; IeeeMode: 1
; LDSByteSize: 0 bytes/workgroup (compile time only)
; SGPRBlocks: 0
; VGPRBlocks: 0
; NumSGPRsForWavesPerEU: 1
; NumVGPRsForWavesPerEU: 1
; Occupancy: 16
; WaveLimiterHint : 0
; COMPUTE_PGM_RSRC2:SCRATCH_EN: 0
; COMPUTE_PGM_RSRC2:USER_SGPR: 2
; COMPUTE_PGM_RSRC2:TRAP_HANDLER: 0
; COMPUTE_PGM_RSRC2:TGID_X_EN: 1
; COMPUTE_PGM_RSRC2:TGID_Y_EN: 0
; COMPUTE_PGM_RSRC2:TGID_Z_EN: 0
; COMPUTE_PGM_RSRC2:TIDIG_COMP_CNT: 0
	.section	.text._ZN7rocprim17ROCPRIM_400000_NS6detail17trampoline_kernelINS0_13select_configILj256ELj13ELNS0_17block_load_methodE3ELS4_3ELS4_3ELNS0_20block_scan_algorithmE0ELj4294967295EEENS1_25partition_config_selectorILNS1_17partition_subalgoE3EjNS0_10empty_typeEbEEZZNS1_14partition_implILS8_3ELb0ES6_jNS0_17counting_iteratorIjlEEPS9_SE_NS0_5tupleIJPjSE_EEENSF_IJSE_SE_EEES9_SG_JZNS1_25segmented_radix_sort_implINS0_14default_configELb0EPKbPbPKlPlN2at6native12_GLOBAL__N_18offset_tEEE10hipError_tPvRmT1_PNSt15iterator_traitsISY_E10value_typeET2_T3_PNSZ_IS14_E10value_typeET4_jRbjT5_S1A_jjP12ihipStream_tbEUljE_EEESV_SW_SX_S14_S18_S1A_T6_T7_T9_mT8_S1C_bDpT10_ENKUlT_T0_E_clISt17integral_constantIbLb1EES1P_EEDaS1K_S1L_EUlS1K_E_NS1_11comp_targetILNS1_3genE5ELNS1_11target_archE942ELNS1_3gpuE9ELNS1_3repE0EEENS1_30default_config_static_selectorELNS0_4arch9wavefront6targetE0EEEvSY_,"axG",@progbits,_ZN7rocprim17ROCPRIM_400000_NS6detail17trampoline_kernelINS0_13select_configILj256ELj13ELNS0_17block_load_methodE3ELS4_3ELS4_3ELNS0_20block_scan_algorithmE0ELj4294967295EEENS1_25partition_config_selectorILNS1_17partition_subalgoE3EjNS0_10empty_typeEbEEZZNS1_14partition_implILS8_3ELb0ES6_jNS0_17counting_iteratorIjlEEPS9_SE_NS0_5tupleIJPjSE_EEENSF_IJSE_SE_EEES9_SG_JZNS1_25segmented_radix_sort_implINS0_14default_configELb0EPKbPbPKlPlN2at6native12_GLOBAL__N_18offset_tEEE10hipError_tPvRmT1_PNSt15iterator_traitsISY_E10value_typeET2_T3_PNSZ_IS14_E10value_typeET4_jRbjT5_S1A_jjP12ihipStream_tbEUljE_EEESV_SW_SX_S14_S18_S1A_T6_T7_T9_mT8_S1C_bDpT10_ENKUlT_T0_E_clISt17integral_constantIbLb1EES1P_EEDaS1K_S1L_EUlS1K_E_NS1_11comp_targetILNS1_3genE5ELNS1_11target_archE942ELNS1_3gpuE9ELNS1_3repE0EEENS1_30default_config_static_selectorELNS0_4arch9wavefront6targetE0EEEvSY_,comdat
	.globl	_ZN7rocprim17ROCPRIM_400000_NS6detail17trampoline_kernelINS0_13select_configILj256ELj13ELNS0_17block_load_methodE3ELS4_3ELS4_3ELNS0_20block_scan_algorithmE0ELj4294967295EEENS1_25partition_config_selectorILNS1_17partition_subalgoE3EjNS0_10empty_typeEbEEZZNS1_14partition_implILS8_3ELb0ES6_jNS0_17counting_iteratorIjlEEPS9_SE_NS0_5tupleIJPjSE_EEENSF_IJSE_SE_EEES9_SG_JZNS1_25segmented_radix_sort_implINS0_14default_configELb0EPKbPbPKlPlN2at6native12_GLOBAL__N_18offset_tEEE10hipError_tPvRmT1_PNSt15iterator_traitsISY_E10value_typeET2_T3_PNSZ_IS14_E10value_typeET4_jRbjT5_S1A_jjP12ihipStream_tbEUljE_EEESV_SW_SX_S14_S18_S1A_T6_T7_T9_mT8_S1C_bDpT10_ENKUlT_T0_E_clISt17integral_constantIbLb1EES1P_EEDaS1K_S1L_EUlS1K_E_NS1_11comp_targetILNS1_3genE5ELNS1_11target_archE942ELNS1_3gpuE9ELNS1_3repE0EEENS1_30default_config_static_selectorELNS0_4arch9wavefront6targetE0EEEvSY_ ; -- Begin function _ZN7rocprim17ROCPRIM_400000_NS6detail17trampoline_kernelINS0_13select_configILj256ELj13ELNS0_17block_load_methodE3ELS4_3ELS4_3ELNS0_20block_scan_algorithmE0ELj4294967295EEENS1_25partition_config_selectorILNS1_17partition_subalgoE3EjNS0_10empty_typeEbEEZZNS1_14partition_implILS8_3ELb0ES6_jNS0_17counting_iteratorIjlEEPS9_SE_NS0_5tupleIJPjSE_EEENSF_IJSE_SE_EEES9_SG_JZNS1_25segmented_radix_sort_implINS0_14default_configELb0EPKbPbPKlPlN2at6native12_GLOBAL__N_18offset_tEEE10hipError_tPvRmT1_PNSt15iterator_traitsISY_E10value_typeET2_T3_PNSZ_IS14_E10value_typeET4_jRbjT5_S1A_jjP12ihipStream_tbEUljE_EEESV_SW_SX_S14_S18_S1A_T6_T7_T9_mT8_S1C_bDpT10_ENKUlT_T0_E_clISt17integral_constantIbLb1EES1P_EEDaS1K_S1L_EUlS1K_E_NS1_11comp_targetILNS1_3genE5ELNS1_11target_archE942ELNS1_3gpuE9ELNS1_3repE0EEENS1_30default_config_static_selectorELNS0_4arch9wavefront6targetE0EEEvSY_
	.p2align	8
	.type	_ZN7rocprim17ROCPRIM_400000_NS6detail17trampoline_kernelINS0_13select_configILj256ELj13ELNS0_17block_load_methodE3ELS4_3ELS4_3ELNS0_20block_scan_algorithmE0ELj4294967295EEENS1_25partition_config_selectorILNS1_17partition_subalgoE3EjNS0_10empty_typeEbEEZZNS1_14partition_implILS8_3ELb0ES6_jNS0_17counting_iteratorIjlEEPS9_SE_NS0_5tupleIJPjSE_EEENSF_IJSE_SE_EEES9_SG_JZNS1_25segmented_radix_sort_implINS0_14default_configELb0EPKbPbPKlPlN2at6native12_GLOBAL__N_18offset_tEEE10hipError_tPvRmT1_PNSt15iterator_traitsISY_E10value_typeET2_T3_PNSZ_IS14_E10value_typeET4_jRbjT5_S1A_jjP12ihipStream_tbEUljE_EEESV_SW_SX_S14_S18_S1A_T6_T7_T9_mT8_S1C_bDpT10_ENKUlT_T0_E_clISt17integral_constantIbLb1EES1P_EEDaS1K_S1L_EUlS1K_E_NS1_11comp_targetILNS1_3genE5ELNS1_11target_archE942ELNS1_3gpuE9ELNS1_3repE0EEENS1_30default_config_static_selectorELNS0_4arch9wavefront6targetE0EEEvSY_,@function
_ZN7rocprim17ROCPRIM_400000_NS6detail17trampoline_kernelINS0_13select_configILj256ELj13ELNS0_17block_load_methodE3ELS4_3ELS4_3ELNS0_20block_scan_algorithmE0ELj4294967295EEENS1_25partition_config_selectorILNS1_17partition_subalgoE3EjNS0_10empty_typeEbEEZZNS1_14partition_implILS8_3ELb0ES6_jNS0_17counting_iteratorIjlEEPS9_SE_NS0_5tupleIJPjSE_EEENSF_IJSE_SE_EEES9_SG_JZNS1_25segmented_radix_sort_implINS0_14default_configELb0EPKbPbPKlPlN2at6native12_GLOBAL__N_18offset_tEEE10hipError_tPvRmT1_PNSt15iterator_traitsISY_E10value_typeET2_T3_PNSZ_IS14_E10value_typeET4_jRbjT5_S1A_jjP12ihipStream_tbEUljE_EEESV_SW_SX_S14_S18_S1A_T6_T7_T9_mT8_S1C_bDpT10_ENKUlT_T0_E_clISt17integral_constantIbLb1EES1P_EEDaS1K_S1L_EUlS1K_E_NS1_11comp_targetILNS1_3genE5ELNS1_11target_archE942ELNS1_3gpuE9ELNS1_3repE0EEENS1_30default_config_static_selectorELNS0_4arch9wavefront6targetE0EEEvSY_: ; @_ZN7rocprim17ROCPRIM_400000_NS6detail17trampoline_kernelINS0_13select_configILj256ELj13ELNS0_17block_load_methodE3ELS4_3ELS4_3ELNS0_20block_scan_algorithmE0ELj4294967295EEENS1_25partition_config_selectorILNS1_17partition_subalgoE3EjNS0_10empty_typeEbEEZZNS1_14partition_implILS8_3ELb0ES6_jNS0_17counting_iteratorIjlEEPS9_SE_NS0_5tupleIJPjSE_EEENSF_IJSE_SE_EEES9_SG_JZNS1_25segmented_radix_sort_implINS0_14default_configELb0EPKbPbPKlPlN2at6native12_GLOBAL__N_18offset_tEEE10hipError_tPvRmT1_PNSt15iterator_traitsISY_E10value_typeET2_T3_PNSZ_IS14_E10value_typeET4_jRbjT5_S1A_jjP12ihipStream_tbEUljE_EEESV_SW_SX_S14_S18_S1A_T6_T7_T9_mT8_S1C_bDpT10_ENKUlT_T0_E_clISt17integral_constantIbLb1EES1P_EEDaS1K_S1L_EUlS1K_E_NS1_11comp_targetILNS1_3genE5ELNS1_11target_archE942ELNS1_3gpuE9ELNS1_3repE0EEENS1_30default_config_static_selectorELNS0_4arch9wavefront6targetE0EEEvSY_
; %bb.0:
	.section	.rodata,"a",@progbits
	.p2align	6, 0x0
	.amdhsa_kernel _ZN7rocprim17ROCPRIM_400000_NS6detail17trampoline_kernelINS0_13select_configILj256ELj13ELNS0_17block_load_methodE3ELS4_3ELS4_3ELNS0_20block_scan_algorithmE0ELj4294967295EEENS1_25partition_config_selectorILNS1_17partition_subalgoE3EjNS0_10empty_typeEbEEZZNS1_14partition_implILS8_3ELb0ES6_jNS0_17counting_iteratorIjlEEPS9_SE_NS0_5tupleIJPjSE_EEENSF_IJSE_SE_EEES9_SG_JZNS1_25segmented_radix_sort_implINS0_14default_configELb0EPKbPbPKlPlN2at6native12_GLOBAL__N_18offset_tEEE10hipError_tPvRmT1_PNSt15iterator_traitsISY_E10value_typeET2_T3_PNSZ_IS14_E10value_typeET4_jRbjT5_S1A_jjP12ihipStream_tbEUljE_EEESV_SW_SX_S14_S18_S1A_T6_T7_T9_mT8_S1C_bDpT10_ENKUlT_T0_E_clISt17integral_constantIbLb1EES1P_EEDaS1K_S1L_EUlS1K_E_NS1_11comp_targetILNS1_3genE5ELNS1_11target_archE942ELNS1_3gpuE9ELNS1_3repE0EEENS1_30default_config_static_selectorELNS0_4arch9wavefront6targetE0EEEvSY_
		.amdhsa_group_segment_fixed_size 0
		.amdhsa_private_segment_fixed_size 0
		.amdhsa_kernarg_size 152
		.amdhsa_user_sgpr_count 2
		.amdhsa_user_sgpr_dispatch_ptr 0
		.amdhsa_user_sgpr_queue_ptr 0
		.amdhsa_user_sgpr_kernarg_segment_ptr 1
		.amdhsa_user_sgpr_dispatch_id 0
		.amdhsa_user_sgpr_private_segment_size 0
		.amdhsa_wavefront_size32 1
		.amdhsa_uses_dynamic_stack 0
		.amdhsa_enable_private_segment 0
		.amdhsa_system_sgpr_workgroup_id_x 1
		.amdhsa_system_sgpr_workgroup_id_y 0
		.amdhsa_system_sgpr_workgroup_id_z 0
		.amdhsa_system_sgpr_workgroup_info 0
		.amdhsa_system_vgpr_workitem_id 0
		.amdhsa_next_free_vgpr 1
		.amdhsa_next_free_sgpr 1
		.amdhsa_reserve_vcc 0
		.amdhsa_float_round_mode_32 0
		.amdhsa_float_round_mode_16_64 0
		.amdhsa_float_denorm_mode_32 3
		.amdhsa_float_denorm_mode_16_64 3
		.amdhsa_fp16_overflow 0
		.amdhsa_workgroup_processor_mode 1
		.amdhsa_memory_ordered 1
		.amdhsa_forward_progress 1
		.amdhsa_inst_pref_size 0
		.amdhsa_round_robin_scheduling 0
		.amdhsa_exception_fp_ieee_invalid_op 0
		.amdhsa_exception_fp_denorm_src 0
		.amdhsa_exception_fp_ieee_div_zero 0
		.amdhsa_exception_fp_ieee_overflow 0
		.amdhsa_exception_fp_ieee_underflow 0
		.amdhsa_exception_fp_ieee_inexact 0
		.amdhsa_exception_int_div_zero 0
	.end_amdhsa_kernel
	.section	.text._ZN7rocprim17ROCPRIM_400000_NS6detail17trampoline_kernelINS0_13select_configILj256ELj13ELNS0_17block_load_methodE3ELS4_3ELS4_3ELNS0_20block_scan_algorithmE0ELj4294967295EEENS1_25partition_config_selectorILNS1_17partition_subalgoE3EjNS0_10empty_typeEbEEZZNS1_14partition_implILS8_3ELb0ES6_jNS0_17counting_iteratorIjlEEPS9_SE_NS0_5tupleIJPjSE_EEENSF_IJSE_SE_EEES9_SG_JZNS1_25segmented_radix_sort_implINS0_14default_configELb0EPKbPbPKlPlN2at6native12_GLOBAL__N_18offset_tEEE10hipError_tPvRmT1_PNSt15iterator_traitsISY_E10value_typeET2_T3_PNSZ_IS14_E10value_typeET4_jRbjT5_S1A_jjP12ihipStream_tbEUljE_EEESV_SW_SX_S14_S18_S1A_T6_T7_T9_mT8_S1C_bDpT10_ENKUlT_T0_E_clISt17integral_constantIbLb1EES1P_EEDaS1K_S1L_EUlS1K_E_NS1_11comp_targetILNS1_3genE5ELNS1_11target_archE942ELNS1_3gpuE9ELNS1_3repE0EEENS1_30default_config_static_selectorELNS0_4arch9wavefront6targetE0EEEvSY_,"axG",@progbits,_ZN7rocprim17ROCPRIM_400000_NS6detail17trampoline_kernelINS0_13select_configILj256ELj13ELNS0_17block_load_methodE3ELS4_3ELS4_3ELNS0_20block_scan_algorithmE0ELj4294967295EEENS1_25partition_config_selectorILNS1_17partition_subalgoE3EjNS0_10empty_typeEbEEZZNS1_14partition_implILS8_3ELb0ES6_jNS0_17counting_iteratorIjlEEPS9_SE_NS0_5tupleIJPjSE_EEENSF_IJSE_SE_EEES9_SG_JZNS1_25segmented_radix_sort_implINS0_14default_configELb0EPKbPbPKlPlN2at6native12_GLOBAL__N_18offset_tEEE10hipError_tPvRmT1_PNSt15iterator_traitsISY_E10value_typeET2_T3_PNSZ_IS14_E10value_typeET4_jRbjT5_S1A_jjP12ihipStream_tbEUljE_EEESV_SW_SX_S14_S18_S1A_T6_T7_T9_mT8_S1C_bDpT10_ENKUlT_T0_E_clISt17integral_constantIbLb1EES1P_EEDaS1K_S1L_EUlS1K_E_NS1_11comp_targetILNS1_3genE5ELNS1_11target_archE942ELNS1_3gpuE9ELNS1_3repE0EEENS1_30default_config_static_selectorELNS0_4arch9wavefront6targetE0EEEvSY_,comdat
.Lfunc_end1612:
	.size	_ZN7rocprim17ROCPRIM_400000_NS6detail17trampoline_kernelINS0_13select_configILj256ELj13ELNS0_17block_load_methodE3ELS4_3ELS4_3ELNS0_20block_scan_algorithmE0ELj4294967295EEENS1_25partition_config_selectorILNS1_17partition_subalgoE3EjNS0_10empty_typeEbEEZZNS1_14partition_implILS8_3ELb0ES6_jNS0_17counting_iteratorIjlEEPS9_SE_NS0_5tupleIJPjSE_EEENSF_IJSE_SE_EEES9_SG_JZNS1_25segmented_radix_sort_implINS0_14default_configELb0EPKbPbPKlPlN2at6native12_GLOBAL__N_18offset_tEEE10hipError_tPvRmT1_PNSt15iterator_traitsISY_E10value_typeET2_T3_PNSZ_IS14_E10value_typeET4_jRbjT5_S1A_jjP12ihipStream_tbEUljE_EEESV_SW_SX_S14_S18_S1A_T6_T7_T9_mT8_S1C_bDpT10_ENKUlT_T0_E_clISt17integral_constantIbLb1EES1P_EEDaS1K_S1L_EUlS1K_E_NS1_11comp_targetILNS1_3genE5ELNS1_11target_archE942ELNS1_3gpuE9ELNS1_3repE0EEENS1_30default_config_static_selectorELNS0_4arch9wavefront6targetE0EEEvSY_, .Lfunc_end1612-_ZN7rocprim17ROCPRIM_400000_NS6detail17trampoline_kernelINS0_13select_configILj256ELj13ELNS0_17block_load_methodE3ELS4_3ELS4_3ELNS0_20block_scan_algorithmE0ELj4294967295EEENS1_25partition_config_selectorILNS1_17partition_subalgoE3EjNS0_10empty_typeEbEEZZNS1_14partition_implILS8_3ELb0ES6_jNS0_17counting_iteratorIjlEEPS9_SE_NS0_5tupleIJPjSE_EEENSF_IJSE_SE_EEES9_SG_JZNS1_25segmented_radix_sort_implINS0_14default_configELb0EPKbPbPKlPlN2at6native12_GLOBAL__N_18offset_tEEE10hipError_tPvRmT1_PNSt15iterator_traitsISY_E10value_typeET2_T3_PNSZ_IS14_E10value_typeET4_jRbjT5_S1A_jjP12ihipStream_tbEUljE_EEESV_SW_SX_S14_S18_S1A_T6_T7_T9_mT8_S1C_bDpT10_ENKUlT_T0_E_clISt17integral_constantIbLb1EES1P_EEDaS1K_S1L_EUlS1K_E_NS1_11comp_targetILNS1_3genE5ELNS1_11target_archE942ELNS1_3gpuE9ELNS1_3repE0EEENS1_30default_config_static_selectorELNS0_4arch9wavefront6targetE0EEEvSY_
                                        ; -- End function
	.set _ZN7rocprim17ROCPRIM_400000_NS6detail17trampoline_kernelINS0_13select_configILj256ELj13ELNS0_17block_load_methodE3ELS4_3ELS4_3ELNS0_20block_scan_algorithmE0ELj4294967295EEENS1_25partition_config_selectorILNS1_17partition_subalgoE3EjNS0_10empty_typeEbEEZZNS1_14partition_implILS8_3ELb0ES6_jNS0_17counting_iteratorIjlEEPS9_SE_NS0_5tupleIJPjSE_EEENSF_IJSE_SE_EEES9_SG_JZNS1_25segmented_radix_sort_implINS0_14default_configELb0EPKbPbPKlPlN2at6native12_GLOBAL__N_18offset_tEEE10hipError_tPvRmT1_PNSt15iterator_traitsISY_E10value_typeET2_T3_PNSZ_IS14_E10value_typeET4_jRbjT5_S1A_jjP12ihipStream_tbEUljE_EEESV_SW_SX_S14_S18_S1A_T6_T7_T9_mT8_S1C_bDpT10_ENKUlT_T0_E_clISt17integral_constantIbLb1EES1P_EEDaS1K_S1L_EUlS1K_E_NS1_11comp_targetILNS1_3genE5ELNS1_11target_archE942ELNS1_3gpuE9ELNS1_3repE0EEENS1_30default_config_static_selectorELNS0_4arch9wavefront6targetE0EEEvSY_.num_vgpr, 0
	.set _ZN7rocprim17ROCPRIM_400000_NS6detail17trampoline_kernelINS0_13select_configILj256ELj13ELNS0_17block_load_methodE3ELS4_3ELS4_3ELNS0_20block_scan_algorithmE0ELj4294967295EEENS1_25partition_config_selectorILNS1_17partition_subalgoE3EjNS0_10empty_typeEbEEZZNS1_14partition_implILS8_3ELb0ES6_jNS0_17counting_iteratorIjlEEPS9_SE_NS0_5tupleIJPjSE_EEENSF_IJSE_SE_EEES9_SG_JZNS1_25segmented_radix_sort_implINS0_14default_configELb0EPKbPbPKlPlN2at6native12_GLOBAL__N_18offset_tEEE10hipError_tPvRmT1_PNSt15iterator_traitsISY_E10value_typeET2_T3_PNSZ_IS14_E10value_typeET4_jRbjT5_S1A_jjP12ihipStream_tbEUljE_EEESV_SW_SX_S14_S18_S1A_T6_T7_T9_mT8_S1C_bDpT10_ENKUlT_T0_E_clISt17integral_constantIbLb1EES1P_EEDaS1K_S1L_EUlS1K_E_NS1_11comp_targetILNS1_3genE5ELNS1_11target_archE942ELNS1_3gpuE9ELNS1_3repE0EEENS1_30default_config_static_selectorELNS0_4arch9wavefront6targetE0EEEvSY_.num_agpr, 0
	.set _ZN7rocprim17ROCPRIM_400000_NS6detail17trampoline_kernelINS0_13select_configILj256ELj13ELNS0_17block_load_methodE3ELS4_3ELS4_3ELNS0_20block_scan_algorithmE0ELj4294967295EEENS1_25partition_config_selectorILNS1_17partition_subalgoE3EjNS0_10empty_typeEbEEZZNS1_14partition_implILS8_3ELb0ES6_jNS0_17counting_iteratorIjlEEPS9_SE_NS0_5tupleIJPjSE_EEENSF_IJSE_SE_EEES9_SG_JZNS1_25segmented_radix_sort_implINS0_14default_configELb0EPKbPbPKlPlN2at6native12_GLOBAL__N_18offset_tEEE10hipError_tPvRmT1_PNSt15iterator_traitsISY_E10value_typeET2_T3_PNSZ_IS14_E10value_typeET4_jRbjT5_S1A_jjP12ihipStream_tbEUljE_EEESV_SW_SX_S14_S18_S1A_T6_T7_T9_mT8_S1C_bDpT10_ENKUlT_T0_E_clISt17integral_constantIbLb1EES1P_EEDaS1K_S1L_EUlS1K_E_NS1_11comp_targetILNS1_3genE5ELNS1_11target_archE942ELNS1_3gpuE9ELNS1_3repE0EEENS1_30default_config_static_selectorELNS0_4arch9wavefront6targetE0EEEvSY_.numbered_sgpr, 0
	.set _ZN7rocprim17ROCPRIM_400000_NS6detail17trampoline_kernelINS0_13select_configILj256ELj13ELNS0_17block_load_methodE3ELS4_3ELS4_3ELNS0_20block_scan_algorithmE0ELj4294967295EEENS1_25partition_config_selectorILNS1_17partition_subalgoE3EjNS0_10empty_typeEbEEZZNS1_14partition_implILS8_3ELb0ES6_jNS0_17counting_iteratorIjlEEPS9_SE_NS0_5tupleIJPjSE_EEENSF_IJSE_SE_EEES9_SG_JZNS1_25segmented_radix_sort_implINS0_14default_configELb0EPKbPbPKlPlN2at6native12_GLOBAL__N_18offset_tEEE10hipError_tPvRmT1_PNSt15iterator_traitsISY_E10value_typeET2_T3_PNSZ_IS14_E10value_typeET4_jRbjT5_S1A_jjP12ihipStream_tbEUljE_EEESV_SW_SX_S14_S18_S1A_T6_T7_T9_mT8_S1C_bDpT10_ENKUlT_T0_E_clISt17integral_constantIbLb1EES1P_EEDaS1K_S1L_EUlS1K_E_NS1_11comp_targetILNS1_3genE5ELNS1_11target_archE942ELNS1_3gpuE9ELNS1_3repE0EEENS1_30default_config_static_selectorELNS0_4arch9wavefront6targetE0EEEvSY_.num_named_barrier, 0
	.set _ZN7rocprim17ROCPRIM_400000_NS6detail17trampoline_kernelINS0_13select_configILj256ELj13ELNS0_17block_load_methodE3ELS4_3ELS4_3ELNS0_20block_scan_algorithmE0ELj4294967295EEENS1_25partition_config_selectorILNS1_17partition_subalgoE3EjNS0_10empty_typeEbEEZZNS1_14partition_implILS8_3ELb0ES6_jNS0_17counting_iteratorIjlEEPS9_SE_NS0_5tupleIJPjSE_EEENSF_IJSE_SE_EEES9_SG_JZNS1_25segmented_radix_sort_implINS0_14default_configELb0EPKbPbPKlPlN2at6native12_GLOBAL__N_18offset_tEEE10hipError_tPvRmT1_PNSt15iterator_traitsISY_E10value_typeET2_T3_PNSZ_IS14_E10value_typeET4_jRbjT5_S1A_jjP12ihipStream_tbEUljE_EEESV_SW_SX_S14_S18_S1A_T6_T7_T9_mT8_S1C_bDpT10_ENKUlT_T0_E_clISt17integral_constantIbLb1EES1P_EEDaS1K_S1L_EUlS1K_E_NS1_11comp_targetILNS1_3genE5ELNS1_11target_archE942ELNS1_3gpuE9ELNS1_3repE0EEENS1_30default_config_static_selectorELNS0_4arch9wavefront6targetE0EEEvSY_.private_seg_size, 0
	.set _ZN7rocprim17ROCPRIM_400000_NS6detail17trampoline_kernelINS0_13select_configILj256ELj13ELNS0_17block_load_methodE3ELS4_3ELS4_3ELNS0_20block_scan_algorithmE0ELj4294967295EEENS1_25partition_config_selectorILNS1_17partition_subalgoE3EjNS0_10empty_typeEbEEZZNS1_14partition_implILS8_3ELb0ES6_jNS0_17counting_iteratorIjlEEPS9_SE_NS0_5tupleIJPjSE_EEENSF_IJSE_SE_EEES9_SG_JZNS1_25segmented_radix_sort_implINS0_14default_configELb0EPKbPbPKlPlN2at6native12_GLOBAL__N_18offset_tEEE10hipError_tPvRmT1_PNSt15iterator_traitsISY_E10value_typeET2_T3_PNSZ_IS14_E10value_typeET4_jRbjT5_S1A_jjP12ihipStream_tbEUljE_EEESV_SW_SX_S14_S18_S1A_T6_T7_T9_mT8_S1C_bDpT10_ENKUlT_T0_E_clISt17integral_constantIbLb1EES1P_EEDaS1K_S1L_EUlS1K_E_NS1_11comp_targetILNS1_3genE5ELNS1_11target_archE942ELNS1_3gpuE9ELNS1_3repE0EEENS1_30default_config_static_selectorELNS0_4arch9wavefront6targetE0EEEvSY_.uses_vcc, 0
	.set _ZN7rocprim17ROCPRIM_400000_NS6detail17trampoline_kernelINS0_13select_configILj256ELj13ELNS0_17block_load_methodE3ELS4_3ELS4_3ELNS0_20block_scan_algorithmE0ELj4294967295EEENS1_25partition_config_selectorILNS1_17partition_subalgoE3EjNS0_10empty_typeEbEEZZNS1_14partition_implILS8_3ELb0ES6_jNS0_17counting_iteratorIjlEEPS9_SE_NS0_5tupleIJPjSE_EEENSF_IJSE_SE_EEES9_SG_JZNS1_25segmented_radix_sort_implINS0_14default_configELb0EPKbPbPKlPlN2at6native12_GLOBAL__N_18offset_tEEE10hipError_tPvRmT1_PNSt15iterator_traitsISY_E10value_typeET2_T3_PNSZ_IS14_E10value_typeET4_jRbjT5_S1A_jjP12ihipStream_tbEUljE_EEESV_SW_SX_S14_S18_S1A_T6_T7_T9_mT8_S1C_bDpT10_ENKUlT_T0_E_clISt17integral_constantIbLb1EES1P_EEDaS1K_S1L_EUlS1K_E_NS1_11comp_targetILNS1_3genE5ELNS1_11target_archE942ELNS1_3gpuE9ELNS1_3repE0EEENS1_30default_config_static_selectorELNS0_4arch9wavefront6targetE0EEEvSY_.uses_flat_scratch, 0
	.set _ZN7rocprim17ROCPRIM_400000_NS6detail17trampoline_kernelINS0_13select_configILj256ELj13ELNS0_17block_load_methodE3ELS4_3ELS4_3ELNS0_20block_scan_algorithmE0ELj4294967295EEENS1_25partition_config_selectorILNS1_17partition_subalgoE3EjNS0_10empty_typeEbEEZZNS1_14partition_implILS8_3ELb0ES6_jNS0_17counting_iteratorIjlEEPS9_SE_NS0_5tupleIJPjSE_EEENSF_IJSE_SE_EEES9_SG_JZNS1_25segmented_radix_sort_implINS0_14default_configELb0EPKbPbPKlPlN2at6native12_GLOBAL__N_18offset_tEEE10hipError_tPvRmT1_PNSt15iterator_traitsISY_E10value_typeET2_T3_PNSZ_IS14_E10value_typeET4_jRbjT5_S1A_jjP12ihipStream_tbEUljE_EEESV_SW_SX_S14_S18_S1A_T6_T7_T9_mT8_S1C_bDpT10_ENKUlT_T0_E_clISt17integral_constantIbLb1EES1P_EEDaS1K_S1L_EUlS1K_E_NS1_11comp_targetILNS1_3genE5ELNS1_11target_archE942ELNS1_3gpuE9ELNS1_3repE0EEENS1_30default_config_static_selectorELNS0_4arch9wavefront6targetE0EEEvSY_.has_dyn_sized_stack, 0
	.set _ZN7rocprim17ROCPRIM_400000_NS6detail17trampoline_kernelINS0_13select_configILj256ELj13ELNS0_17block_load_methodE3ELS4_3ELS4_3ELNS0_20block_scan_algorithmE0ELj4294967295EEENS1_25partition_config_selectorILNS1_17partition_subalgoE3EjNS0_10empty_typeEbEEZZNS1_14partition_implILS8_3ELb0ES6_jNS0_17counting_iteratorIjlEEPS9_SE_NS0_5tupleIJPjSE_EEENSF_IJSE_SE_EEES9_SG_JZNS1_25segmented_radix_sort_implINS0_14default_configELb0EPKbPbPKlPlN2at6native12_GLOBAL__N_18offset_tEEE10hipError_tPvRmT1_PNSt15iterator_traitsISY_E10value_typeET2_T3_PNSZ_IS14_E10value_typeET4_jRbjT5_S1A_jjP12ihipStream_tbEUljE_EEESV_SW_SX_S14_S18_S1A_T6_T7_T9_mT8_S1C_bDpT10_ENKUlT_T0_E_clISt17integral_constantIbLb1EES1P_EEDaS1K_S1L_EUlS1K_E_NS1_11comp_targetILNS1_3genE5ELNS1_11target_archE942ELNS1_3gpuE9ELNS1_3repE0EEENS1_30default_config_static_selectorELNS0_4arch9wavefront6targetE0EEEvSY_.has_recursion, 0
	.set _ZN7rocprim17ROCPRIM_400000_NS6detail17trampoline_kernelINS0_13select_configILj256ELj13ELNS0_17block_load_methodE3ELS4_3ELS4_3ELNS0_20block_scan_algorithmE0ELj4294967295EEENS1_25partition_config_selectorILNS1_17partition_subalgoE3EjNS0_10empty_typeEbEEZZNS1_14partition_implILS8_3ELb0ES6_jNS0_17counting_iteratorIjlEEPS9_SE_NS0_5tupleIJPjSE_EEENSF_IJSE_SE_EEES9_SG_JZNS1_25segmented_radix_sort_implINS0_14default_configELb0EPKbPbPKlPlN2at6native12_GLOBAL__N_18offset_tEEE10hipError_tPvRmT1_PNSt15iterator_traitsISY_E10value_typeET2_T3_PNSZ_IS14_E10value_typeET4_jRbjT5_S1A_jjP12ihipStream_tbEUljE_EEESV_SW_SX_S14_S18_S1A_T6_T7_T9_mT8_S1C_bDpT10_ENKUlT_T0_E_clISt17integral_constantIbLb1EES1P_EEDaS1K_S1L_EUlS1K_E_NS1_11comp_targetILNS1_3genE5ELNS1_11target_archE942ELNS1_3gpuE9ELNS1_3repE0EEENS1_30default_config_static_selectorELNS0_4arch9wavefront6targetE0EEEvSY_.has_indirect_call, 0
	.section	.AMDGPU.csdata,"",@progbits
; Kernel info:
; codeLenInByte = 0
; TotalNumSgprs: 0
; NumVgprs: 0
; ScratchSize: 0
; MemoryBound: 0
; FloatMode: 240
; IeeeMode: 1
; LDSByteSize: 0 bytes/workgroup (compile time only)
; SGPRBlocks: 0
; VGPRBlocks: 0
; NumSGPRsForWavesPerEU: 1
; NumVGPRsForWavesPerEU: 1
; Occupancy: 16
; WaveLimiterHint : 0
; COMPUTE_PGM_RSRC2:SCRATCH_EN: 0
; COMPUTE_PGM_RSRC2:USER_SGPR: 2
; COMPUTE_PGM_RSRC2:TRAP_HANDLER: 0
; COMPUTE_PGM_RSRC2:TGID_X_EN: 1
; COMPUTE_PGM_RSRC2:TGID_Y_EN: 0
; COMPUTE_PGM_RSRC2:TGID_Z_EN: 0
; COMPUTE_PGM_RSRC2:TIDIG_COMP_CNT: 0
	.section	.text._ZN7rocprim17ROCPRIM_400000_NS6detail17trampoline_kernelINS0_13select_configILj256ELj13ELNS0_17block_load_methodE3ELS4_3ELS4_3ELNS0_20block_scan_algorithmE0ELj4294967295EEENS1_25partition_config_selectorILNS1_17partition_subalgoE3EjNS0_10empty_typeEbEEZZNS1_14partition_implILS8_3ELb0ES6_jNS0_17counting_iteratorIjlEEPS9_SE_NS0_5tupleIJPjSE_EEENSF_IJSE_SE_EEES9_SG_JZNS1_25segmented_radix_sort_implINS0_14default_configELb0EPKbPbPKlPlN2at6native12_GLOBAL__N_18offset_tEEE10hipError_tPvRmT1_PNSt15iterator_traitsISY_E10value_typeET2_T3_PNSZ_IS14_E10value_typeET4_jRbjT5_S1A_jjP12ihipStream_tbEUljE_EEESV_SW_SX_S14_S18_S1A_T6_T7_T9_mT8_S1C_bDpT10_ENKUlT_T0_E_clISt17integral_constantIbLb1EES1P_EEDaS1K_S1L_EUlS1K_E_NS1_11comp_targetILNS1_3genE4ELNS1_11target_archE910ELNS1_3gpuE8ELNS1_3repE0EEENS1_30default_config_static_selectorELNS0_4arch9wavefront6targetE0EEEvSY_,"axG",@progbits,_ZN7rocprim17ROCPRIM_400000_NS6detail17trampoline_kernelINS0_13select_configILj256ELj13ELNS0_17block_load_methodE3ELS4_3ELS4_3ELNS0_20block_scan_algorithmE0ELj4294967295EEENS1_25partition_config_selectorILNS1_17partition_subalgoE3EjNS0_10empty_typeEbEEZZNS1_14partition_implILS8_3ELb0ES6_jNS0_17counting_iteratorIjlEEPS9_SE_NS0_5tupleIJPjSE_EEENSF_IJSE_SE_EEES9_SG_JZNS1_25segmented_radix_sort_implINS0_14default_configELb0EPKbPbPKlPlN2at6native12_GLOBAL__N_18offset_tEEE10hipError_tPvRmT1_PNSt15iterator_traitsISY_E10value_typeET2_T3_PNSZ_IS14_E10value_typeET4_jRbjT5_S1A_jjP12ihipStream_tbEUljE_EEESV_SW_SX_S14_S18_S1A_T6_T7_T9_mT8_S1C_bDpT10_ENKUlT_T0_E_clISt17integral_constantIbLb1EES1P_EEDaS1K_S1L_EUlS1K_E_NS1_11comp_targetILNS1_3genE4ELNS1_11target_archE910ELNS1_3gpuE8ELNS1_3repE0EEENS1_30default_config_static_selectorELNS0_4arch9wavefront6targetE0EEEvSY_,comdat
	.globl	_ZN7rocprim17ROCPRIM_400000_NS6detail17trampoline_kernelINS0_13select_configILj256ELj13ELNS0_17block_load_methodE3ELS4_3ELS4_3ELNS0_20block_scan_algorithmE0ELj4294967295EEENS1_25partition_config_selectorILNS1_17partition_subalgoE3EjNS0_10empty_typeEbEEZZNS1_14partition_implILS8_3ELb0ES6_jNS0_17counting_iteratorIjlEEPS9_SE_NS0_5tupleIJPjSE_EEENSF_IJSE_SE_EEES9_SG_JZNS1_25segmented_radix_sort_implINS0_14default_configELb0EPKbPbPKlPlN2at6native12_GLOBAL__N_18offset_tEEE10hipError_tPvRmT1_PNSt15iterator_traitsISY_E10value_typeET2_T3_PNSZ_IS14_E10value_typeET4_jRbjT5_S1A_jjP12ihipStream_tbEUljE_EEESV_SW_SX_S14_S18_S1A_T6_T7_T9_mT8_S1C_bDpT10_ENKUlT_T0_E_clISt17integral_constantIbLb1EES1P_EEDaS1K_S1L_EUlS1K_E_NS1_11comp_targetILNS1_3genE4ELNS1_11target_archE910ELNS1_3gpuE8ELNS1_3repE0EEENS1_30default_config_static_selectorELNS0_4arch9wavefront6targetE0EEEvSY_ ; -- Begin function _ZN7rocprim17ROCPRIM_400000_NS6detail17trampoline_kernelINS0_13select_configILj256ELj13ELNS0_17block_load_methodE3ELS4_3ELS4_3ELNS0_20block_scan_algorithmE0ELj4294967295EEENS1_25partition_config_selectorILNS1_17partition_subalgoE3EjNS0_10empty_typeEbEEZZNS1_14partition_implILS8_3ELb0ES6_jNS0_17counting_iteratorIjlEEPS9_SE_NS0_5tupleIJPjSE_EEENSF_IJSE_SE_EEES9_SG_JZNS1_25segmented_radix_sort_implINS0_14default_configELb0EPKbPbPKlPlN2at6native12_GLOBAL__N_18offset_tEEE10hipError_tPvRmT1_PNSt15iterator_traitsISY_E10value_typeET2_T3_PNSZ_IS14_E10value_typeET4_jRbjT5_S1A_jjP12ihipStream_tbEUljE_EEESV_SW_SX_S14_S18_S1A_T6_T7_T9_mT8_S1C_bDpT10_ENKUlT_T0_E_clISt17integral_constantIbLb1EES1P_EEDaS1K_S1L_EUlS1K_E_NS1_11comp_targetILNS1_3genE4ELNS1_11target_archE910ELNS1_3gpuE8ELNS1_3repE0EEENS1_30default_config_static_selectorELNS0_4arch9wavefront6targetE0EEEvSY_
	.p2align	8
	.type	_ZN7rocprim17ROCPRIM_400000_NS6detail17trampoline_kernelINS0_13select_configILj256ELj13ELNS0_17block_load_methodE3ELS4_3ELS4_3ELNS0_20block_scan_algorithmE0ELj4294967295EEENS1_25partition_config_selectorILNS1_17partition_subalgoE3EjNS0_10empty_typeEbEEZZNS1_14partition_implILS8_3ELb0ES6_jNS0_17counting_iteratorIjlEEPS9_SE_NS0_5tupleIJPjSE_EEENSF_IJSE_SE_EEES9_SG_JZNS1_25segmented_radix_sort_implINS0_14default_configELb0EPKbPbPKlPlN2at6native12_GLOBAL__N_18offset_tEEE10hipError_tPvRmT1_PNSt15iterator_traitsISY_E10value_typeET2_T3_PNSZ_IS14_E10value_typeET4_jRbjT5_S1A_jjP12ihipStream_tbEUljE_EEESV_SW_SX_S14_S18_S1A_T6_T7_T9_mT8_S1C_bDpT10_ENKUlT_T0_E_clISt17integral_constantIbLb1EES1P_EEDaS1K_S1L_EUlS1K_E_NS1_11comp_targetILNS1_3genE4ELNS1_11target_archE910ELNS1_3gpuE8ELNS1_3repE0EEENS1_30default_config_static_selectorELNS0_4arch9wavefront6targetE0EEEvSY_,@function
_ZN7rocprim17ROCPRIM_400000_NS6detail17trampoline_kernelINS0_13select_configILj256ELj13ELNS0_17block_load_methodE3ELS4_3ELS4_3ELNS0_20block_scan_algorithmE0ELj4294967295EEENS1_25partition_config_selectorILNS1_17partition_subalgoE3EjNS0_10empty_typeEbEEZZNS1_14partition_implILS8_3ELb0ES6_jNS0_17counting_iteratorIjlEEPS9_SE_NS0_5tupleIJPjSE_EEENSF_IJSE_SE_EEES9_SG_JZNS1_25segmented_radix_sort_implINS0_14default_configELb0EPKbPbPKlPlN2at6native12_GLOBAL__N_18offset_tEEE10hipError_tPvRmT1_PNSt15iterator_traitsISY_E10value_typeET2_T3_PNSZ_IS14_E10value_typeET4_jRbjT5_S1A_jjP12ihipStream_tbEUljE_EEESV_SW_SX_S14_S18_S1A_T6_T7_T9_mT8_S1C_bDpT10_ENKUlT_T0_E_clISt17integral_constantIbLb1EES1P_EEDaS1K_S1L_EUlS1K_E_NS1_11comp_targetILNS1_3genE4ELNS1_11target_archE910ELNS1_3gpuE8ELNS1_3repE0EEENS1_30default_config_static_selectorELNS0_4arch9wavefront6targetE0EEEvSY_: ; @_ZN7rocprim17ROCPRIM_400000_NS6detail17trampoline_kernelINS0_13select_configILj256ELj13ELNS0_17block_load_methodE3ELS4_3ELS4_3ELNS0_20block_scan_algorithmE0ELj4294967295EEENS1_25partition_config_selectorILNS1_17partition_subalgoE3EjNS0_10empty_typeEbEEZZNS1_14partition_implILS8_3ELb0ES6_jNS0_17counting_iteratorIjlEEPS9_SE_NS0_5tupleIJPjSE_EEENSF_IJSE_SE_EEES9_SG_JZNS1_25segmented_radix_sort_implINS0_14default_configELb0EPKbPbPKlPlN2at6native12_GLOBAL__N_18offset_tEEE10hipError_tPvRmT1_PNSt15iterator_traitsISY_E10value_typeET2_T3_PNSZ_IS14_E10value_typeET4_jRbjT5_S1A_jjP12ihipStream_tbEUljE_EEESV_SW_SX_S14_S18_S1A_T6_T7_T9_mT8_S1C_bDpT10_ENKUlT_T0_E_clISt17integral_constantIbLb1EES1P_EEDaS1K_S1L_EUlS1K_E_NS1_11comp_targetILNS1_3genE4ELNS1_11target_archE910ELNS1_3gpuE8ELNS1_3repE0EEENS1_30default_config_static_selectorELNS0_4arch9wavefront6targetE0EEEvSY_
; %bb.0:
	.section	.rodata,"a",@progbits
	.p2align	6, 0x0
	.amdhsa_kernel _ZN7rocprim17ROCPRIM_400000_NS6detail17trampoline_kernelINS0_13select_configILj256ELj13ELNS0_17block_load_methodE3ELS4_3ELS4_3ELNS0_20block_scan_algorithmE0ELj4294967295EEENS1_25partition_config_selectorILNS1_17partition_subalgoE3EjNS0_10empty_typeEbEEZZNS1_14partition_implILS8_3ELb0ES6_jNS0_17counting_iteratorIjlEEPS9_SE_NS0_5tupleIJPjSE_EEENSF_IJSE_SE_EEES9_SG_JZNS1_25segmented_radix_sort_implINS0_14default_configELb0EPKbPbPKlPlN2at6native12_GLOBAL__N_18offset_tEEE10hipError_tPvRmT1_PNSt15iterator_traitsISY_E10value_typeET2_T3_PNSZ_IS14_E10value_typeET4_jRbjT5_S1A_jjP12ihipStream_tbEUljE_EEESV_SW_SX_S14_S18_S1A_T6_T7_T9_mT8_S1C_bDpT10_ENKUlT_T0_E_clISt17integral_constantIbLb1EES1P_EEDaS1K_S1L_EUlS1K_E_NS1_11comp_targetILNS1_3genE4ELNS1_11target_archE910ELNS1_3gpuE8ELNS1_3repE0EEENS1_30default_config_static_selectorELNS0_4arch9wavefront6targetE0EEEvSY_
		.amdhsa_group_segment_fixed_size 0
		.amdhsa_private_segment_fixed_size 0
		.amdhsa_kernarg_size 152
		.amdhsa_user_sgpr_count 2
		.amdhsa_user_sgpr_dispatch_ptr 0
		.amdhsa_user_sgpr_queue_ptr 0
		.amdhsa_user_sgpr_kernarg_segment_ptr 1
		.amdhsa_user_sgpr_dispatch_id 0
		.amdhsa_user_sgpr_private_segment_size 0
		.amdhsa_wavefront_size32 1
		.amdhsa_uses_dynamic_stack 0
		.amdhsa_enable_private_segment 0
		.amdhsa_system_sgpr_workgroup_id_x 1
		.amdhsa_system_sgpr_workgroup_id_y 0
		.amdhsa_system_sgpr_workgroup_id_z 0
		.amdhsa_system_sgpr_workgroup_info 0
		.amdhsa_system_vgpr_workitem_id 0
		.amdhsa_next_free_vgpr 1
		.amdhsa_next_free_sgpr 1
		.amdhsa_reserve_vcc 0
		.amdhsa_float_round_mode_32 0
		.amdhsa_float_round_mode_16_64 0
		.amdhsa_float_denorm_mode_32 3
		.amdhsa_float_denorm_mode_16_64 3
		.amdhsa_fp16_overflow 0
		.amdhsa_workgroup_processor_mode 1
		.amdhsa_memory_ordered 1
		.amdhsa_forward_progress 1
		.amdhsa_inst_pref_size 0
		.amdhsa_round_robin_scheduling 0
		.amdhsa_exception_fp_ieee_invalid_op 0
		.amdhsa_exception_fp_denorm_src 0
		.amdhsa_exception_fp_ieee_div_zero 0
		.amdhsa_exception_fp_ieee_overflow 0
		.amdhsa_exception_fp_ieee_underflow 0
		.amdhsa_exception_fp_ieee_inexact 0
		.amdhsa_exception_int_div_zero 0
	.end_amdhsa_kernel
	.section	.text._ZN7rocprim17ROCPRIM_400000_NS6detail17trampoline_kernelINS0_13select_configILj256ELj13ELNS0_17block_load_methodE3ELS4_3ELS4_3ELNS0_20block_scan_algorithmE0ELj4294967295EEENS1_25partition_config_selectorILNS1_17partition_subalgoE3EjNS0_10empty_typeEbEEZZNS1_14partition_implILS8_3ELb0ES6_jNS0_17counting_iteratorIjlEEPS9_SE_NS0_5tupleIJPjSE_EEENSF_IJSE_SE_EEES9_SG_JZNS1_25segmented_radix_sort_implINS0_14default_configELb0EPKbPbPKlPlN2at6native12_GLOBAL__N_18offset_tEEE10hipError_tPvRmT1_PNSt15iterator_traitsISY_E10value_typeET2_T3_PNSZ_IS14_E10value_typeET4_jRbjT5_S1A_jjP12ihipStream_tbEUljE_EEESV_SW_SX_S14_S18_S1A_T6_T7_T9_mT8_S1C_bDpT10_ENKUlT_T0_E_clISt17integral_constantIbLb1EES1P_EEDaS1K_S1L_EUlS1K_E_NS1_11comp_targetILNS1_3genE4ELNS1_11target_archE910ELNS1_3gpuE8ELNS1_3repE0EEENS1_30default_config_static_selectorELNS0_4arch9wavefront6targetE0EEEvSY_,"axG",@progbits,_ZN7rocprim17ROCPRIM_400000_NS6detail17trampoline_kernelINS0_13select_configILj256ELj13ELNS0_17block_load_methodE3ELS4_3ELS4_3ELNS0_20block_scan_algorithmE0ELj4294967295EEENS1_25partition_config_selectorILNS1_17partition_subalgoE3EjNS0_10empty_typeEbEEZZNS1_14partition_implILS8_3ELb0ES6_jNS0_17counting_iteratorIjlEEPS9_SE_NS0_5tupleIJPjSE_EEENSF_IJSE_SE_EEES9_SG_JZNS1_25segmented_radix_sort_implINS0_14default_configELb0EPKbPbPKlPlN2at6native12_GLOBAL__N_18offset_tEEE10hipError_tPvRmT1_PNSt15iterator_traitsISY_E10value_typeET2_T3_PNSZ_IS14_E10value_typeET4_jRbjT5_S1A_jjP12ihipStream_tbEUljE_EEESV_SW_SX_S14_S18_S1A_T6_T7_T9_mT8_S1C_bDpT10_ENKUlT_T0_E_clISt17integral_constantIbLb1EES1P_EEDaS1K_S1L_EUlS1K_E_NS1_11comp_targetILNS1_3genE4ELNS1_11target_archE910ELNS1_3gpuE8ELNS1_3repE0EEENS1_30default_config_static_selectorELNS0_4arch9wavefront6targetE0EEEvSY_,comdat
.Lfunc_end1613:
	.size	_ZN7rocprim17ROCPRIM_400000_NS6detail17trampoline_kernelINS0_13select_configILj256ELj13ELNS0_17block_load_methodE3ELS4_3ELS4_3ELNS0_20block_scan_algorithmE0ELj4294967295EEENS1_25partition_config_selectorILNS1_17partition_subalgoE3EjNS0_10empty_typeEbEEZZNS1_14partition_implILS8_3ELb0ES6_jNS0_17counting_iteratorIjlEEPS9_SE_NS0_5tupleIJPjSE_EEENSF_IJSE_SE_EEES9_SG_JZNS1_25segmented_radix_sort_implINS0_14default_configELb0EPKbPbPKlPlN2at6native12_GLOBAL__N_18offset_tEEE10hipError_tPvRmT1_PNSt15iterator_traitsISY_E10value_typeET2_T3_PNSZ_IS14_E10value_typeET4_jRbjT5_S1A_jjP12ihipStream_tbEUljE_EEESV_SW_SX_S14_S18_S1A_T6_T7_T9_mT8_S1C_bDpT10_ENKUlT_T0_E_clISt17integral_constantIbLb1EES1P_EEDaS1K_S1L_EUlS1K_E_NS1_11comp_targetILNS1_3genE4ELNS1_11target_archE910ELNS1_3gpuE8ELNS1_3repE0EEENS1_30default_config_static_selectorELNS0_4arch9wavefront6targetE0EEEvSY_, .Lfunc_end1613-_ZN7rocprim17ROCPRIM_400000_NS6detail17trampoline_kernelINS0_13select_configILj256ELj13ELNS0_17block_load_methodE3ELS4_3ELS4_3ELNS0_20block_scan_algorithmE0ELj4294967295EEENS1_25partition_config_selectorILNS1_17partition_subalgoE3EjNS0_10empty_typeEbEEZZNS1_14partition_implILS8_3ELb0ES6_jNS0_17counting_iteratorIjlEEPS9_SE_NS0_5tupleIJPjSE_EEENSF_IJSE_SE_EEES9_SG_JZNS1_25segmented_radix_sort_implINS0_14default_configELb0EPKbPbPKlPlN2at6native12_GLOBAL__N_18offset_tEEE10hipError_tPvRmT1_PNSt15iterator_traitsISY_E10value_typeET2_T3_PNSZ_IS14_E10value_typeET4_jRbjT5_S1A_jjP12ihipStream_tbEUljE_EEESV_SW_SX_S14_S18_S1A_T6_T7_T9_mT8_S1C_bDpT10_ENKUlT_T0_E_clISt17integral_constantIbLb1EES1P_EEDaS1K_S1L_EUlS1K_E_NS1_11comp_targetILNS1_3genE4ELNS1_11target_archE910ELNS1_3gpuE8ELNS1_3repE0EEENS1_30default_config_static_selectorELNS0_4arch9wavefront6targetE0EEEvSY_
                                        ; -- End function
	.set _ZN7rocprim17ROCPRIM_400000_NS6detail17trampoline_kernelINS0_13select_configILj256ELj13ELNS0_17block_load_methodE3ELS4_3ELS4_3ELNS0_20block_scan_algorithmE0ELj4294967295EEENS1_25partition_config_selectorILNS1_17partition_subalgoE3EjNS0_10empty_typeEbEEZZNS1_14partition_implILS8_3ELb0ES6_jNS0_17counting_iteratorIjlEEPS9_SE_NS0_5tupleIJPjSE_EEENSF_IJSE_SE_EEES9_SG_JZNS1_25segmented_radix_sort_implINS0_14default_configELb0EPKbPbPKlPlN2at6native12_GLOBAL__N_18offset_tEEE10hipError_tPvRmT1_PNSt15iterator_traitsISY_E10value_typeET2_T3_PNSZ_IS14_E10value_typeET4_jRbjT5_S1A_jjP12ihipStream_tbEUljE_EEESV_SW_SX_S14_S18_S1A_T6_T7_T9_mT8_S1C_bDpT10_ENKUlT_T0_E_clISt17integral_constantIbLb1EES1P_EEDaS1K_S1L_EUlS1K_E_NS1_11comp_targetILNS1_3genE4ELNS1_11target_archE910ELNS1_3gpuE8ELNS1_3repE0EEENS1_30default_config_static_selectorELNS0_4arch9wavefront6targetE0EEEvSY_.num_vgpr, 0
	.set _ZN7rocprim17ROCPRIM_400000_NS6detail17trampoline_kernelINS0_13select_configILj256ELj13ELNS0_17block_load_methodE3ELS4_3ELS4_3ELNS0_20block_scan_algorithmE0ELj4294967295EEENS1_25partition_config_selectorILNS1_17partition_subalgoE3EjNS0_10empty_typeEbEEZZNS1_14partition_implILS8_3ELb0ES6_jNS0_17counting_iteratorIjlEEPS9_SE_NS0_5tupleIJPjSE_EEENSF_IJSE_SE_EEES9_SG_JZNS1_25segmented_radix_sort_implINS0_14default_configELb0EPKbPbPKlPlN2at6native12_GLOBAL__N_18offset_tEEE10hipError_tPvRmT1_PNSt15iterator_traitsISY_E10value_typeET2_T3_PNSZ_IS14_E10value_typeET4_jRbjT5_S1A_jjP12ihipStream_tbEUljE_EEESV_SW_SX_S14_S18_S1A_T6_T7_T9_mT8_S1C_bDpT10_ENKUlT_T0_E_clISt17integral_constantIbLb1EES1P_EEDaS1K_S1L_EUlS1K_E_NS1_11comp_targetILNS1_3genE4ELNS1_11target_archE910ELNS1_3gpuE8ELNS1_3repE0EEENS1_30default_config_static_selectorELNS0_4arch9wavefront6targetE0EEEvSY_.num_agpr, 0
	.set _ZN7rocprim17ROCPRIM_400000_NS6detail17trampoline_kernelINS0_13select_configILj256ELj13ELNS0_17block_load_methodE3ELS4_3ELS4_3ELNS0_20block_scan_algorithmE0ELj4294967295EEENS1_25partition_config_selectorILNS1_17partition_subalgoE3EjNS0_10empty_typeEbEEZZNS1_14partition_implILS8_3ELb0ES6_jNS0_17counting_iteratorIjlEEPS9_SE_NS0_5tupleIJPjSE_EEENSF_IJSE_SE_EEES9_SG_JZNS1_25segmented_radix_sort_implINS0_14default_configELb0EPKbPbPKlPlN2at6native12_GLOBAL__N_18offset_tEEE10hipError_tPvRmT1_PNSt15iterator_traitsISY_E10value_typeET2_T3_PNSZ_IS14_E10value_typeET4_jRbjT5_S1A_jjP12ihipStream_tbEUljE_EEESV_SW_SX_S14_S18_S1A_T6_T7_T9_mT8_S1C_bDpT10_ENKUlT_T0_E_clISt17integral_constantIbLb1EES1P_EEDaS1K_S1L_EUlS1K_E_NS1_11comp_targetILNS1_3genE4ELNS1_11target_archE910ELNS1_3gpuE8ELNS1_3repE0EEENS1_30default_config_static_selectorELNS0_4arch9wavefront6targetE0EEEvSY_.numbered_sgpr, 0
	.set _ZN7rocprim17ROCPRIM_400000_NS6detail17trampoline_kernelINS0_13select_configILj256ELj13ELNS0_17block_load_methodE3ELS4_3ELS4_3ELNS0_20block_scan_algorithmE0ELj4294967295EEENS1_25partition_config_selectorILNS1_17partition_subalgoE3EjNS0_10empty_typeEbEEZZNS1_14partition_implILS8_3ELb0ES6_jNS0_17counting_iteratorIjlEEPS9_SE_NS0_5tupleIJPjSE_EEENSF_IJSE_SE_EEES9_SG_JZNS1_25segmented_radix_sort_implINS0_14default_configELb0EPKbPbPKlPlN2at6native12_GLOBAL__N_18offset_tEEE10hipError_tPvRmT1_PNSt15iterator_traitsISY_E10value_typeET2_T3_PNSZ_IS14_E10value_typeET4_jRbjT5_S1A_jjP12ihipStream_tbEUljE_EEESV_SW_SX_S14_S18_S1A_T6_T7_T9_mT8_S1C_bDpT10_ENKUlT_T0_E_clISt17integral_constantIbLb1EES1P_EEDaS1K_S1L_EUlS1K_E_NS1_11comp_targetILNS1_3genE4ELNS1_11target_archE910ELNS1_3gpuE8ELNS1_3repE0EEENS1_30default_config_static_selectorELNS0_4arch9wavefront6targetE0EEEvSY_.num_named_barrier, 0
	.set _ZN7rocprim17ROCPRIM_400000_NS6detail17trampoline_kernelINS0_13select_configILj256ELj13ELNS0_17block_load_methodE3ELS4_3ELS4_3ELNS0_20block_scan_algorithmE0ELj4294967295EEENS1_25partition_config_selectorILNS1_17partition_subalgoE3EjNS0_10empty_typeEbEEZZNS1_14partition_implILS8_3ELb0ES6_jNS0_17counting_iteratorIjlEEPS9_SE_NS0_5tupleIJPjSE_EEENSF_IJSE_SE_EEES9_SG_JZNS1_25segmented_radix_sort_implINS0_14default_configELb0EPKbPbPKlPlN2at6native12_GLOBAL__N_18offset_tEEE10hipError_tPvRmT1_PNSt15iterator_traitsISY_E10value_typeET2_T3_PNSZ_IS14_E10value_typeET4_jRbjT5_S1A_jjP12ihipStream_tbEUljE_EEESV_SW_SX_S14_S18_S1A_T6_T7_T9_mT8_S1C_bDpT10_ENKUlT_T0_E_clISt17integral_constantIbLb1EES1P_EEDaS1K_S1L_EUlS1K_E_NS1_11comp_targetILNS1_3genE4ELNS1_11target_archE910ELNS1_3gpuE8ELNS1_3repE0EEENS1_30default_config_static_selectorELNS0_4arch9wavefront6targetE0EEEvSY_.private_seg_size, 0
	.set _ZN7rocprim17ROCPRIM_400000_NS6detail17trampoline_kernelINS0_13select_configILj256ELj13ELNS0_17block_load_methodE3ELS4_3ELS4_3ELNS0_20block_scan_algorithmE0ELj4294967295EEENS1_25partition_config_selectorILNS1_17partition_subalgoE3EjNS0_10empty_typeEbEEZZNS1_14partition_implILS8_3ELb0ES6_jNS0_17counting_iteratorIjlEEPS9_SE_NS0_5tupleIJPjSE_EEENSF_IJSE_SE_EEES9_SG_JZNS1_25segmented_radix_sort_implINS0_14default_configELb0EPKbPbPKlPlN2at6native12_GLOBAL__N_18offset_tEEE10hipError_tPvRmT1_PNSt15iterator_traitsISY_E10value_typeET2_T3_PNSZ_IS14_E10value_typeET4_jRbjT5_S1A_jjP12ihipStream_tbEUljE_EEESV_SW_SX_S14_S18_S1A_T6_T7_T9_mT8_S1C_bDpT10_ENKUlT_T0_E_clISt17integral_constantIbLb1EES1P_EEDaS1K_S1L_EUlS1K_E_NS1_11comp_targetILNS1_3genE4ELNS1_11target_archE910ELNS1_3gpuE8ELNS1_3repE0EEENS1_30default_config_static_selectorELNS0_4arch9wavefront6targetE0EEEvSY_.uses_vcc, 0
	.set _ZN7rocprim17ROCPRIM_400000_NS6detail17trampoline_kernelINS0_13select_configILj256ELj13ELNS0_17block_load_methodE3ELS4_3ELS4_3ELNS0_20block_scan_algorithmE0ELj4294967295EEENS1_25partition_config_selectorILNS1_17partition_subalgoE3EjNS0_10empty_typeEbEEZZNS1_14partition_implILS8_3ELb0ES6_jNS0_17counting_iteratorIjlEEPS9_SE_NS0_5tupleIJPjSE_EEENSF_IJSE_SE_EEES9_SG_JZNS1_25segmented_radix_sort_implINS0_14default_configELb0EPKbPbPKlPlN2at6native12_GLOBAL__N_18offset_tEEE10hipError_tPvRmT1_PNSt15iterator_traitsISY_E10value_typeET2_T3_PNSZ_IS14_E10value_typeET4_jRbjT5_S1A_jjP12ihipStream_tbEUljE_EEESV_SW_SX_S14_S18_S1A_T6_T7_T9_mT8_S1C_bDpT10_ENKUlT_T0_E_clISt17integral_constantIbLb1EES1P_EEDaS1K_S1L_EUlS1K_E_NS1_11comp_targetILNS1_3genE4ELNS1_11target_archE910ELNS1_3gpuE8ELNS1_3repE0EEENS1_30default_config_static_selectorELNS0_4arch9wavefront6targetE0EEEvSY_.uses_flat_scratch, 0
	.set _ZN7rocprim17ROCPRIM_400000_NS6detail17trampoline_kernelINS0_13select_configILj256ELj13ELNS0_17block_load_methodE3ELS4_3ELS4_3ELNS0_20block_scan_algorithmE0ELj4294967295EEENS1_25partition_config_selectorILNS1_17partition_subalgoE3EjNS0_10empty_typeEbEEZZNS1_14partition_implILS8_3ELb0ES6_jNS0_17counting_iteratorIjlEEPS9_SE_NS0_5tupleIJPjSE_EEENSF_IJSE_SE_EEES9_SG_JZNS1_25segmented_radix_sort_implINS0_14default_configELb0EPKbPbPKlPlN2at6native12_GLOBAL__N_18offset_tEEE10hipError_tPvRmT1_PNSt15iterator_traitsISY_E10value_typeET2_T3_PNSZ_IS14_E10value_typeET4_jRbjT5_S1A_jjP12ihipStream_tbEUljE_EEESV_SW_SX_S14_S18_S1A_T6_T7_T9_mT8_S1C_bDpT10_ENKUlT_T0_E_clISt17integral_constantIbLb1EES1P_EEDaS1K_S1L_EUlS1K_E_NS1_11comp_targetILNS1_3genE4ELNS1_11target_archE910ELNS1_3gpuE8ELNS1_3repE0EEENS1_30default_config_static_selectorELNS0_4arch9wavefront6targetE0EEEvSY_.has_dyn_sized_stack, 0
	.set _ZN7rocprim17ROCPRIM_400000_NS6detail17trampoline_kernelINS0_13select_configILj256ELj13ELNS0_17block_load_methodE3ELS4_3ELS4_3ELNS0_20block_scan_algorithmE0ELj4294967295EEENS1_25partition_config_selectorILNS1_17partition_subalgoE3EjNS0_10empty_typeEbEEZZNS1_14partition_implILS8_3ELb0ES6_jNS0_17counting_iteratorIjlEEPS9_SE_NS0_5tupleIJPjSE_EEENSF_IJSE_SE_EEES9_SG_JZNS1_25segmented_radix_sort_implINS0_14default_configELb0EPKbPbPKlPlN2at6native12_GLOBAL__N_18offset_tEEE10hipError_tPvRmT1_PNSt15iterator_traitsISY_E10value_typeET2_T3_PNSZ_IS14_E10value_typeET4_jRbjT5_S1A_jjP12ihipStream_tbEUljE_EEESV_SW_SX_S14_S18_S1A_T6_T7_T9_mT8_S1C_bDpT10_ENKUlT_T0_E_clISt17integral_constantIbLb1EES1P_EEDaS1K_S1L_EUlS1K_E_NS1_11comp_targetILNS1_3genE4ELNS1_11target_archE910ELNS1_3gpuE8ELNS1_3repE0EEENS1_30default_config_static_selectorELNS0_4arch9wavefront6targetE0EEEvSY_.has_recursion, 0
	.set _ZN7rocprim17ROCPRIM_400000_NS6detail17trampoline_kernelINS0_13select_configILj256ELj13ELNS0_17block_load_methodE3ELS4_3ELS4_3ELNS0_20block_scan_algorithmE0ELj4294967295EEENS1_25partition_config_selectorILNS1_17partition_subalgoE3EjNS0_10empty_typeEbEEZZNS1_14partition_implILS8_3ELb0ES6_jNS0_17counting_iteratorIjlEEPS9_SE_NS0_5tupleIJPjSE_EEENSF_IJSE_SE_EEES9_SG_JZNS1_25segmented_radix_sort_implINS0_14default_configELb0EPKbPbPKlPlN2at6native12_GLOBAL__N_18offset_tEEE10hipError_tPvRmT1_PNSt15iterator_traitsISY_E10value_typeET2_T3_PNSZ_IS14_E10value_typeET4_jRbjT5_S1A_jjP12ihipStream_tbEUljE_EEESV_SW_SX_S14_S18_S1A_T6_T7_T9_mT8_S1C_bDpT10_ENKUlT_T0_E_clISt17integral_constantIbLb1EES1P_EEDaS1K_S1L_EUlS1K_E_NS1_11comp_targetILNS1_3genE4ELNS1_11target_archE910ELNS1_3gpuE8ELNS1_3repE0EEENS1_30default_config_static_selectorELNS0_4arch9wavefront6targetE0EEEvSY_.has_indirect_call, 0
	.section	.AMDGPU.csdata,"",@progbits
; Kernel info:
; codeLenInByte = 0
; TotalNumSgprs: 0
; NumVgprs: 0
; ScratchSize: 0
; MemoryBound: 0
; FloatMode: 240
; IeeeMode: 1
; LDSByteSize: 0 bytes/workgroup (compile time only)
; SGPRBlocks: 0
; VGPRBlocks: 0
; NumSGPRsForWavesPerEU: 1
; NumVGPRsForWavesPerEU: 1
; Occupancy: 16
; WaveLimiterHint : 0
; COMPUTE_PGM_RSRC2:SCRATCH_EN: 0
; COMPUTE_PGM_RSRC2:USER_SGPR: 2
; COMPUTE_PGM_RSRC2:TRAP_HANDLER: 0
; COMPUTE_PGM_RSRC2:TGID_X_EN: 1
; COMPUTE_PGM_RSRC2:TGID_Y_EN: 0
; COMPUTE_PGM_RSRC2:TGID_Z_EN: 0
; COMPUTE_PGM_RSRC2:TIDIG_COMP_CNT: 0
	.section	.text._ZN7rocprim17ROCPRIM_400000_NS6detail17trampoline_kernelINS0_13select_configILj256ELj13ELNS0_17block_load_methodE3ELS4_3ELS4_3ELNS0_20block_scan_algorithmE0ELj4294967295EEENS1_25partition_config_selectorILNS1_17partition_subalgoE3EjNS0_10empty_typeEbEEZZNS1_14partition_implILS8_3ELb0ES6_jNS0_17counting_iteratorIjlEEPS9_SE_NS0_5tupleIJPjSE_EEENSF_IJSE_SE_EEES9_SG_JZNS1_25segmented_radix_sort_implINS0_14default_configELb0EPKbPbPKlPlN2at6native12_GLOBAL__N_18offset_tEEE10hipError_tPvRmT1_PNSt15iterator_traitsISY_E10value_typeET2_T3_PNSZ_IS14_E10value_typeET4_jRbjT5_S1A_jjP12ihipStream_tbEUljE_EEESV_SW_SX_S14_S18_S1A_T6_T7_T9_mT8_S1C_bDpT10_ENKUlT_T0_E_clISt17integral_constantIbLb1EES1P_EEDaS1K_S1L_EUlS1K_E_NS1_11comp_targetILNS1_3genE3ELNS1_11target_archE908ELNS1_3gpuE7ELNS1_3repE0EEENS1_30default_config_static_selectorELNS0_4arch9wavefront6targetE0EEEvSY_,"axG",@progbits,_ZN7rocprim17ROCPRIM_400000_NS6detail17trampoline_kernelINS0_13select_configILj256ELj13ELNS0_17block_load_methodE3ELS4_3ELS4_3ELNS0_20block_scan_algorithmE0ELj4294967295EEENS1_25partition_config_selectorILNS1_17partition_subalgoE3EjNS0_10empty_typeEbEEZZNS1_14partition_implILS8_3ELb0ES6_jNS0_17counting_iteratorIjlEEPS9_SE_NS0_5tupleIJPjSE_EEENSF_IJSE_SE_EEES9_SG_JZNS1_25segmented_radix_sort_implINS0_14default_configELb0EPKbPbPKlPlN2at6native12_GLOBAL__N_18offset_tEEE10hipError_tPvRmT1_PNSt15iterator_traitsISY_E10value_typeET2_T3_PNSZ_IS14_E10value_typeET4_jRbjT5_S1A_jjP12ihipStream_tbEUljE_EEESV_SW_SX_S14_S18_S1A_T6_T7_T9_mT8_S1C_bDpT10_ENKUlT_T0_E_clISt17integral_constantIbLb1EES1P_EEDaS1K_S1L_EUlS1K_E_NS1_11comp_targetILNS1_3genE3ELNS1_11target_archE908ELNS1_3gpuE7ELNS1_3repE0EEENS1_30default_config_static_selectorELNS0_4arch9wavefront6targetE0EEEvSY_,comdat
	.globl	_ZN7rocprim17ROCPRIM_400000_NS6detail17trampoline_kernelINS0_13select_configILj256ELj13ELNS0_17block_load_methodE3ELS4_3ELS4_3ELNS0_20block_scan_algorithmE0ELj4294967295EEENS1_25partition_config_selectorILNS1_17partition_subalgoE3EjNS0_10empty_typeEbEEZZNS1_14partition_implILS8_3ELb0ES6_jNS0_17counting_iteratorIjlEEPS9_SE_NS0_5tupleIJPjSE_EEENSF_IJSE_SE_EEES9_SG_JZNS1_25segmented_radix_sort_implINS0_14default_configELb0EPKbPbPKlPlN2at6native12_GLOBAL__N_18offset_tEEE10hipError_tPvRmT1_PNSt15iterator_traitsISY_E10value_typeET2_T3_PNSZ_IS14_E10value_typeET4_jRbjT5_S1A_jjP12ihipStream_tbEUljE_EEESV_SW_SX_S14_S18_S1A_T6_T7_T9_mT8_S1C_bDpT10_ENKUlT_T0_E_clISt17integral_constantIbLb1EES1P_EEDaS1K_S1L_EUlS1K_E_NS1_11comp_targetILNS1_3genE3ELNS1_11target_archE908ELNS1_3gpuE7ELNS1_3repE0EEENS1_30default_config_static_selectorELNS0_4arch9wavefront6targetE0EEEvSY_ ; -- Begin function _ZN7rocprim17ROCPRIM_400000_NS6detail17trampoline_kernelINS0_13select_configILj256ELj13ELNS0_17block_load_methodE3ELS4_3ELS4_3ELNS0_20block_scan_algorithmE0ELj4294967295EEENS1_25partition_config_selectorILNS1_17partition_subalgoE3EjNS0_10empty_typeEbEEZZNS1_14partition_implILS8_3ELb0ES6_jNS0_17counting_iteratorIjlEEPS9_SE_NS0_5tupleIJPjSE_EEENSF_IJSE_SE_EEES9_SG_JZNS1_25segmented_radix_sort_implINS0_14default_configELb0EPKbPbPKlPlN2at6native12_GLOBAL__N_18offset_tEEE10hipError_tPvRmT1_PNSt15iterator_traitsISY_E10value_typeET2_T3_PNSZ_IS14_E10value_typeET4_jRbjT5_S1A_jjP12ihipStream_tbEUljE_EEESV_SW_SX_S14_S18_S1A_T6_T7_T9_mT8_S1C_bDpT10_ENKUlT_T0_E_clISt17integral_constantIbLb1EES1P_EEDaS1K_S1L_EUlS1K_E_NS1_11comp_targetILNS1_3genE3ELNS1_11target_archE908ELNS1_3gpuE7ELNS1_3repE0EEENS1_30default_config_static_selectorELNS0_4arch9wavefront6targetE0EEEvSY_
	.p2align	8
	.type	_ZN7rocprim17ROCPRIM_400000_NS6detail17trampoline_kernelINS0_13select_configILj256ELj13ELNS0_17block_load_methodE3ELS4_3ELS4_3ELNS0_20block_scan_algorithmE0ELj4294967295EEENS1_25partition_config_selectorILNS1_17partition_subalgoE3EjNS0_10empty_typeEbEEZZNS1_14partition_implILS8_3ELb0ES6_jNS0_17counting_iteratorIjlEEPS9_SE_NS0_5tupleIJPjSE_EEENSF_IJSE_SE_EEES9_SG_JZNS1_25segmented_radix_sort_implINS0_14default_configELb0EPKbPbPKlPlN2at6native12_GLOBAL__N_18offset_tEEE10hipError_tPvRmT1_PNSt15iterator_traitsISY_E10value_typeET2_T3_PNSZ_IS14_E10value_typeET4_jRbjT5_S1A_jjP12ihipStream_tbEUljE_EEESV_SW_SX_S14_S18_S1A_T6_T7_T9_mT8_S1C_bDpT10_ENKUlT_T0_E_clISt17integral_constantIbLb1EES1P_EEDaS1K_S1L_EUlS1K_E_NS1_11comp_targetILNS1_3genE3ELNS1_11target_archE908ELNS1_3gpuE7ELNS1_3repE0EEENS1_30default_config_static_selectorELNS0_4arch9wavefront6targetE0EEEvSY_,@function
_ZN7rocprim17ROCPRIM_400000_NS6detail17trampoline_kernelINS0_13select_configILj256ELj13ELNS0_17block_load_methodE3ELS4_3ELS4_3ELNS0_20block_scan_algorithmE0ELj4294967295EEENS1_25partition_config_selectorILNS1_17partition_subalgoE3EjNS0_10empty_typeEbEEZZNS1_14partition_implILS8_3ELb0ES6_jNS0_17counting_iteratorIjlEEPS9_SE_NS0_5tupleIJPjSE_EEENSF_IJSE_SE_EEES9_SG_JZNS1_25segmented_radix_sort_implINS0_14default_configELb0EPKbPbPKlPlN2at6native12_GLOBAL__N_18offset_tEEE10hipError_tPvRmT1_PNSt15iterator_traitsISY_E10value_typeET2_T3_PNSZ_IS14_E10value_typeET4_jRbjT5_S1A_jjP12ihipStream_tbEUljE_EEESV_SW_SX_S14_S18_S1A_T6_T7_T9_mT8_S1C_bDpT10_ENKUlT_T0_E_clISt17integral_constantIbLb1EES1P_EEDaS1K_S1L_EUlS1K_E_NS1_11comp_targetILNS1_3genE3ELNS1_11target_archE908ELNS1_3gpuE7ELNS1_3repE0EEENS1_30default_config_static_selectorELNS0_4arch9wavefront6targetE0EEEvSY_: ; @_ZN7rocprim17ROCPRIM_400000_NS6detail17trampoline_kernelINS0_13select_configILj256ELj13ELNS0_17block_load_methodE3ELS4_3ELS4_3ELNS0_20block_scan_algorithmE0ELj4294967295EEENS1_25partition_config_selectorILNS1_17partition_subalgoE3EjNS0_10empty_typeEbEEZZNS1_14partition_implILS8_3ELb0ES6_jNS0_17counting_iteratorIjlEEPS9_SE_NS0_5tupleIJPjSE_EEENSF_IJSE_SE_EEES9_SG_JZNS1_25segmented_radix_sort_implINS0_14default_configELb0EPKbPbPKlPlN2at6native12_GLOBAL__N_18offset_tEEE10hipError_tPvRmT1_PNSt15iterator_traitsISY_E10value_typeET2_T3_PNSZ_IS14_E10value_typeET4_jRbjT5_S1A_jjP12ihipStream_tbEUljE_EEESV_SW_SX_S14_S18_S1A_T6_T7_T9_mT8_S1C_bDpT10_ENKUlT_T0_E_clISt17integral_constantIbLb1EES1P_EEDaS1K_S1L_EUlS1K_E_NS1_11comp_targetILNS1_3genE3ELNS1_11target_archE908ELNS1_3gpuE7ELNS1_3repE0EEENS1_30default_config_static_selectorELNS0_4arch9wavefront6targetE0EEEvSY_
; %bb.0:
	.section	.rodata,"a",@progbits
	.p2align	6, 0x0
	.amdhsa_kernel _ZN7rocprim17ROCPRIM_400000_NS6detail17trampoline_kernelINS0_13select_configILj256ELj13ELNS0_17block_load_methodE3ELS4_3ELS4_3ELNS0_20block_scan_algorithmE0ELj4294967295EEENS1_25partition_config_selectorILNS1_17partition_subalgoE3EjNS0_10empty_typeEbEEZZNS1_14partition_implILS8_3ELb0ES6_jNS0_17counting_iteratorIjlEEPS9_SE_NS0_5tupleIJPjSE_EEENSF_IJSE_SE_EEES9_SG_JZNS1_25segmented_radix_sort_implINS0_14default_configELb0EPKbPbPKlPlN2at6native12_GLOBAL__N_18offset_tEEE10hipError_tPvRmT1_PNSt15iterator_traitsISY_E10value_typeET2_T3_PNSZ_IS14_E10value_typeET4_jRbjT5_S1A_jjP12ihipStream_tbEUljE_EEESV_SW_SX_S14_S18_S1A_T6_T7_T9_mT8_S1C_bDpT10_ENKUlT_T0_E_clISt17integral_constantIbLb1EES1P_EEDaS1K_S1L_EUlS1K_E_NS1_11comp_targetILNS1_3genE3ELNS1_11target_archE908ELNS1_3gpuE7ELNS1_3repE0EEENS1_30default_config_static_selectorELNS0_4arch9wavefront6targetE0EEEvSY_
		.amdhsa_group_segment_fixed_size 0
		.amdhsa_private_segment_fixed_size 0
		.amdhsa_kernarg_size 152
		.amdhsa_user_sgpr_count 2
		.amdhsa_user_sgpr_dispatch_ptr 0
		.amdhsa_user_sgpr_queue_ptr 0
		.amdhsa_user_sgpr_kernarg_segment_ptr 1
		.amdhsa_user_sgpr_dispatch_id 0
		.amdhsa_user_sgpr_private_segment_size 0
		.amdhsa_wavefront_size32 1
		.amdhsa_uses_dynamic_stack 0
		.amdhsa_enable_private_segment 0
		.amdhsa_system_sgpr_workgroup_id_x 1
		.amdhsa_system_sgpr_workgroup_id_y 0
		.amdhsa_system_sgpr_workgroup_id_z 0
		.amdhsa_system_sgpr_workgroup_info 0
		.amdhsa_system_vgpr_workitem_id 0
		.amdhsa_next_free_vgpr 1
		.amdhsa_next_free_sgpr 1
		.amdhsa_reserve_vcc 0
		.amdhsa_float_round_mode_32 0
		.amdhsa_float_round_mode_16_64 0
		.amdhsa_float_denorm_mode_32 3
		.amdhsa_float_denorm_mode_16_64 3
		.amdhsa_fp16_overflow 0
		.amdhsa_workgroup_processor_mode 1
		.amdhsa_memory_ordered 1
		.amdhsa_forward_progress 1
		.amdhsa_inst_pref_size 0
		.amdhsa_round_robin_scheduling 0
		.amdhsa_exception_fp_ieee_invalid_op 0
		.amdhsa_exception_fp_denorm_src 0
		.amdhsa_exception_fp_ieee_div_zero 0
		.amdhsa_exception_fp_ieee_overflow 0
		.amdhsa_exception_fp_ieee_underflow 0
		.amdhsa_exception_fp_ieee_inexact 0
		.amdhsa_exception_int_div_zero 0
	.end_amdhsa_kernel
	.section	.text._ZN7rocprim17ROCPRIM_400000_NS6detail17trampoline_kernelINS0_13select_configILj256ELj13ELNS0_17block_load_methodE3ELS4_3ELS4_3ELNS0_20block_scan_algorithmE0ELj4294967295EEENS1_25partition_config_selectorILNS1_17partition_subalgoE3EjNS0_10empty_typeEbEEZZNS1_14partition_implILS8_3ELb0ES6_jNS0_17counting_iteratorIjlEEPS9_SE_NS0_5tupleIJPjSE_EEENSF_IJSE_SE_EEES9_SG_JZNS1_25segmented_radix_sort_implINS0_14default_configELb0EPKbPbPKlPlN2at6native12_GLOBAL__N_18offset_tEEE10hipError_tPvRmT1_PNSt15iterator_traitsISY_E10value_typeET2_T3_PNSZ_IS14_E10value_typeET4_jRbjT5_S1A_jjP12ihipStream_tbEUljE_EEESV_SW_SX_S14_S18_S1A_T6_T7_T9_mT8_S1C_bDpT10_ENKUlT_T0_E_clISt17integral_constantIbLb1EES1P_EEDaS1K_S1L_EUlS1K_E_NS1_11comp_targetILNS1_3genE3ELNS1_11target_archE908ELNS1_3gpuE7ELNS1_3repE0EEENS1_30default_config_static_selectorELNS0_4arch9wavefront6targetE0EEEvSY_,"axG",@progbits,_ZN7rocprim17ROCPRIM_400000_NS6detail17trampoline_kernelINS0_13select_configILj256ELj13ELNS0_17block_load_methodE3ELS4_3ELS4_3ELNS0_20block_scan_algorithmE0ELj4294967295EEENS1_25partition_config_selectorILNS1_17partition_subalgoE3EjNS0_10empty_typeEbEEZZNS1_14partition_implILS8_3ELb0ES6_jNS0_17counting_iteratorIjlEEPS9_SE_NS0_5tupleIJPjSE_EEENSF_IJSE_SE_EEES9_SG_JZNS1_25segmented_radix_sort_implINS0_14default_configELb0EPKbPbPKlPlN2at6native12_GLOBAL__N_18offset_tEEE10hipError_tPvRmT1_PNSt15iterator_traitsISY_E10value_typeET2_T3_PNSZ_IS14_E10value_typeET4_jRbjT5_S1A_jjP12ihipStream_tbEUljE_EEESV_SW_SX_S14_S18_S1A_T6_T7_T9_mT8_S1C_bDpT10_ENKUlT_T0_E_clISt17integral_constantIbLb1EES1P_EEDaS1K_S1L_EUlS1K_E_NS1_11comp_targetILNS1_3genE3ELNS1_11target_archE908ELNS1_3gpuE7ELNS1_3repE0EEENS1_30default_config_static_selectorELNS0_4arch9wavefront6targetE0EEEvSY_,comdat
.Lfunc_end1614:
	.size	_ZN7rocprim17ROCPRIM_400000_NS6detail17trampoline_kernelINS0_13select_configILj256ELj13ELNS0_17block_load_methodE3ELS4_3ELS4_3ELNS0_20block_scan_algorithmE0ELj4294967295EEENS1_25partition_config_selectorILNS1_17partition_subalgoE3EjNS0_10empty_typeEbEEZZNS1_14partition_implILS8_3ELb0ES6_jNS0_17counting_iteratorIjlEEPS9_SE_NS0_5tupleIJPjSE_EEENSF_IJSE_SE_EEES9_SG_JZNS1_25segmented_radix_sort_implINS0_14default_configELb0EPKbPbPKlPlN2at6native12_GLOBAL__N_18offset_tEEE10hipError_tPvRmT1_PNSt15iterator_traitsISY_E10value_typeET2_T3_PNSZ_IS14_E10value_typeET4_jRbjT5_S1A_jjP12ihipStream_tbEUljE_EEESV_SW_SX_S14_S18_S1A_T6_T7_T9_mT8_S1C_bDpT10_ENKUlT_T0_E_clISt17integral_constantIbLb1EES1P_EEDaS1K_S1L_EUlS1K_E_NS1_11comp_targetILNS1_3genE3ELNS1_11target_archE908ELNS1_3gpuE7ELNS1_3repE0EEENS1_30default_config_static_selectorELNS0_4arch9wavefront6targetE0EEEvSY_, .Lfunc_end1614-_ZN7rocprim17ROCPRIM_400000_NS6detail17trampoline_kernelINS0_13select_configILj256ELj13ELNS0_17block_load_methodE3ELS4_3ELS4_3ELNS0_20block_scan_algorithmE0ELj4294967295EEENS1_25partition_config_selectorILNS1_17partition_subalgoE3EjNS0_10empty_typeEbEEZZNS1_14partition_implILS8_3ELb0ES6_jNS0_17counting_iteratorIjlEEPS9_SE_NS0_5tupleIJPjSE_EEENSF_IJSE_SE_EEES9_SG_JZNS1_25segmented_radix_sort_implINS0_14default_configELb0EPKbPbPKlPlN2at6native12_GLOBAL__N_18offset_tEEE10hipError_tPvRmT1_PNSt15iterator_traitsISY_E10value_typeET2_T3_PNSZ_IS14_E10value_typeET4_jRbjT5_S1A_jjP12ihipStream_tbEUljE_EEESV_SW_SX_S14_S18_S1A_T6_T7_T9_mT8_S1C_bDpT10_ENKUlT_T0_E_clISt17integral_constantIbLb1EES1P_EEDaS1K_S1L_EUlS1K_E_NS1_11comp_targetILNS1_3genE3ELNS1_11target_archE908ELNS1_3gpuE7ELNS1_3repE0EEENS1_30default_config_static_selectorELNS0_4arch9wavefront6targetE0EEEvSY_
                                        ; -- End function
	.set _ZN7rocprim17ROCPRIM_400000_NS6detail17trampoline_kernelINS0_13select_configILj256ELj13ELNS0_17block_load_methodE3ELS4_3ELS4_3ELNS0_20block_scan_algorithmE0ELj4294967295EEENS1_25partition_config_selectorILNS1_17partition_subalgoE3EjNS0_10empty_typeEbEEZZNS1_14partition_implILS8_3ELb0ES6_jNS0_17counting_iteratorIjlEEPS9_SE_NS0_5tupleIJPjSE_EEENSF_IJSE_SE_EEES9_SG_JZNS1_25segmented_radix_sort_implINS0_14default_configELb0EPKbPbPKlPlN2at6native12_GLOBAL__N_18offset_tEEE10hipError_tPvRmT1_PNSt15iterator_traitsISY_E10value_typeET2_T3_PNSZ_IS14_E10value_typeET4_jRbjT5_S1A_jjP12ihipStream_tbEUljE_EEESV_SW_SX_S14_S18_S1A_T6_T7_T9_mT8_S1C_bDpT10_ENKUlT_T0_E_clISt17integral_constantIbLb1EES1P_EEDaS1K_S1L_EUlS1K_E_NS1_11comp_targetILNS1_3genE3ELNS1_11target_archE908ELNS1_3gpuE7ELNS1_3repE0EEENS1_30default_config_static_selectorELNS0_4arch9wavefront6targetE0EEEvSY_.num_vgpr, 0
	.set _ZN7rocprim17ROCPRIM_400000_NS6detail17trampoline_kernelINS0_13select_configILj256ELj13ELNS0_17block_load_methodE3ELS4_3ELS4_3ELNS0_20block_scan_algorithmE0ELj4294967295EEENS1_25partition_config_selectorILNS1_17partition_subalgoE3EjNS0_10empty_typeEbEEZZNS1_14partition_implILS8_3ELb0ES6_jNS0_17counting_iteratorIjlEEPS9_SE_NS0_5tupleIJPjSE_EEENSF_IJSE_SE_EEES9_SG_JZNS1_25segmented_radix_sort_implINS0_14default_configELb0EPKbPbPKlPlN2at6native12_GLOBAL__N_18offset_tEEE10hipError_tPvRmT1_PNSt15iterator_traitsISY_E10value_typeET2_T3_PNSZ_IS14_E10value_typeET4_jRbjT5_S1A_jjP12ihipStream_tbEUljE_EEESV_SW_SX_S14_S18_S1A_T6_T7_T9_mT8_S1C_bDpT10_ENKUlT_T0_E_clISt17integral_constantIbLb1EES1P_EEDaS1K_S1L_EUlS1K_E_NS1_11comp_targetILNS1_3genE3ELNS1_11target_archE908ELNS1_3gpuE7ELNS1_3repE0EEENS1_30default_config_static_selectorELNS0_4arch9wavefront6targetE0EEEvSY_.num_agpr, 0
	.set _ZN7rocprim17ROCPRIM_400000_NS6detail17trampoline_kernelINS0_13select_configILj256ELj13ELNS0_17block_load_methodE3ELS4_3ELS4_3ELNS0_20block_scan_algorithmE0ELj4294967295EEENS1_25partition_config_selectorILNS1_17partition_subalgoE3EjNS0_10empty_typeEbEEZZNS1_14partition_implILS8_3ELb0ES6_jNS0_17counting_iteratorIjlEEPS9_SE_NS0_5tupleIJPjSE_EEENSF_IJSE_SE_EEES9_SG_JZNS1_25segmented_radix_sort_implINS0_14default_configELb0EPKbPbPKlPlN2at6native12_GLOBAL__N_18offset_tEEE10hipError_tPvRmT1_PNSt15iterator_traitsISY_E10value_typeET2_T3_PNSZ_IS14_E10value_typeET4_jRbjT5_S1A_jjP12ihipStream_tbEUljE_EEESV_SW_SX_S14_S18_S1A_T6_T7_T9_mT8_S1C_bDpT10_ENKUlT_T0_E_clISt17integral_constantIbLb1EES1P_EEDaS1K_S1L_EUlS1K_E_NS1_11comp_targetILNS1_3genE3ELNS1_11target_archE908ELNS1_3gpuE7ELNS1_3repE0EEENS1_30default_config_static_selectorELNS0_4arch9wavefront6targetE0EEEvSY_.numbered_sgpr, 0
	.set _ZN7rocprim17ROCPRIM_400000_NS6detail17trampoline_kernelINS0_13select_configILj256ELj13ELNS0_17block_load_methodE3ELS4_3ELS4_3ELNS0_20block_scan_algorithmE0ELj4294967295EEENS1_25partition_config_selectorILNS1_17partition_subalgoE3EjNS0_10empty_typeEbEEZZNS1_14partition_implILS8_3ELb0ES6_jNS0_17counting_iteratorIjlEEPS9_SE_NS0_5tupleIJPjSE_EEENSF_IJSE_SE_EEES9_SG_JZNS1_25segmented_radix_sort_implINS0_14default_configELb0EPKbPbPKlPlN2at6native12_GLOBAL__N_18offset_tEEE10hipError_tPvRmT1_PNSt15iterator_traitsISY_E10value_typeET2_T3_PNSZ_IS14_E10value_typeET4_jRbjT5_S1A_jjP12ihipStream_tbEUljE_EEESV_SW_SX_S14_S18_S1A_T6_T7_T9_mT8_S1C_bDpT10_ENKUlT_T0_E_clISt17integral_constantIbLb1EES1P_EEDaS1K_S1L_EUlS1K_E_NS1_11comp_targetILNS1_3genE3ELNS1_11target_archE908ELNS1_3gpuE7ELNS1_3repE0EEENS1_30default_config_static_selectorELNS0_4arch9wavefront6targetE0EEEvSY_.num_named_barrier, 0
	.set _ZN7rocprim17ROCPRIM_400000_NS6detail17trampoline_kernelINS0_13select_configILj256ELj13ELNS0_17block_load_methodE3ELS4_3ELS4_3ELNS0_20block_scan_algorithmE0ELj4294967295EEENS1_25partition_config_selectorILNS1_17partition_subalgoE3EjNS0_10empty_typeEbEEZZNS1_14partition_implILS8_3ELb0ES6_jNS0_17counting_iteratorIjlEEPS9_SE_NS0_5tupleIJPjSE_EEENSF_IJSE_SE_EEES9_SG_JZNS1_25segmented_radix_sort_implINS0_14default_configELb0EPKbPbPKlPlN2at6native12_GLOBAL__N_18offset_tEEE10hipError_tPvRmT1_PNSt15iterator_traitsISY_E10value_typeET2_T3_PNSZ_IS14_E10value_typeET4_jRbjT5_S1A_jjP12ihipStream_tbEUljE_EEESV_SW_SX_S14_S18_S1A_T6_T7_T9_mT8_S1C_bDpT10_ENKUlT_T0_E_clISt17integral_constantIbLb1EES1P_EEDaS1K_S1L_EUlS1K_E_NS1_11comp_targetILNS1_3genE3ELNS1_11target_archE908ELNS1_3gpuE7ELNS1_3repE0EEENS1_30default_config_static_selectorELNS0_4arch9wavefront6targetE0EEEvSY_.private_seg_size, 0
	.set _ZN7rocprim17ROCPRIM_400000_NS6detail17trampoline_kernelINS0_13select_configILj256ELj13ELNS0_17block_load_methodE3ELS4_3ELS4_3ELNS0_20block_scan_algorithmE0ELj4294967295EEENS1_25partition_config_selectorILNS1_17partition_subalgoE3EjNS0_10empty_typeEbEEZZNS1_14partition_implILS8_3ELb0ES6_jNS0_17counting_iteratorIjlEEPS9_SE_NS0_5tupleIJPjSE_EEENSF_IJSE_SE_EEES9_SG_JZNS1_25segmented_radix_sort_implINS0_14default_configELb0EPKbPbPKlPlN2at6native12_GLOBAL__N_18offset_tEEE10hipError_tPvRmT1_PNSt15iterator_traitsISY_E10value_typeET2_T3_PNSZ_IS14_E10value_typeET4_jRbjT5_S1A_jjP12ihipStream_tbEUljE_EEESV_SW_SX_S14_S18_S1A_T6_T7_T9_mT8_S1C_bDpT10_ENKUlT_T0_E_clISt17integral_constantIbLb1EES1P_EEDaS1K_S1L_EUlS1K_E_NS1_11comp_targetILNS1_3genE3ELNS1_11target_archE908ELNS1_3gpuE7ELNS1_3repE0EEENS1_30default_config_static_selectorELNS0_4arch9wavefront6targetE0EEEvSY_.uses_vcc, 0
	.set _ZN7rocprim17ROCPRIM_400000_NS6detail17trampoline_kernelINS0_13select_configILj256ELj13ELNS0_17block_load_methodE3ELS4_3ELS4_3ELNS0_20block_scan_algorithmE0ELj4294967295EEENS1_25partition_config_selectorILNS1_17partition_subalgoE3EjNS0_10empty_typeEbEEZZNS1_14partition_implILS8_3ELb0ES6_jNS0_17counting_iteratorIjlEEPS9_SE_NS0_5tupleIJPjSE_EEENSF_IJSE_SE_EEES9_SG_JZNS1_25segmented_radix_sort_implINS0_14default_configELb0EPKbPbPKlPlN2at6native12_GLOBAL__N_18offset_tEEE10hipError_tPvRmT1_PNSt15iterator_traitsISY_E10value_typeET2_T3_PNSZ_IS14_E10value_typeET4_jRbjT5_S1A_jjP12ihipStream_tbEUljE_EEESV_SW_SX_S14_S18_S1A_T6_T7_T9_mT8_S1C_bDpT10_ENKUlT_T0_E_clISt17integral_constantIbLb1EES1P_EEDaS1K_S1L_EUlS1K_E_NS1_11comp_targetILNS1_3genE3ELNS1_11target_archE908ELNS1_3gpuE7ELNS1_3repE0EEENS1_30default_config_static_selectorELNS0_4arch9wavefront6targetE0EEEvSY_.uses_flat_scratch, 0
	.set _ZN7rocprim17ROCPRIM_400000_NS6detail17trampoline_kernelINS0_13select_configILj256ELj13ELNS0_17block_load_methodE3ELS4_3ELS4_3ELNS0_20block_scan_algorithmE0ELj4294967295EEENS1_25partition_config_selectorILNS1_17partition_subalgoE3EjNS0_10empty_typeEbEEZZNS1_14partition_implILS8_3ELb0ES6_jNS0_17counting_iteratorIjlEEPS9_SE_NS0_5tupleIJPjSE_EEENSF_IJSE_SE_EEES9_SG_JZNS1_25segmented_radix_sort_implINS0_14default_configELb0EPKbPbPKlPlN2at6native12_GLOBAL__N_18offset_tEEE10hipError_tPvRmT1_PNSt15iterator_traitsISY_E10value_typeET2_T3_PNSZ_IS14_E10value_typeET4_jRbjT5_S1A_jjP12ihipStream_tbEUljE_EEESV_SW_SX_S14_S18_S1A_T6_T7_T9_mT8_S1C_bDpT10_ENKUlT_T0_E_clISt17integral_constantIbLb1EES1P_EEDaS1K_S1L_EUlS1K_E_NS1_11comp_targetILNS1_3genE3ELNS1_11target_archE908ELNS1_3gpuE7ELNS1_3repE0EEENS1_30default_config_static_selectorELNS0_4arch9wavefront6targetE0EEEvSY_.has_dyn_sized_stack, 0
	.set _ZN7rocprim17ROCPRIM_400000_NS6detail17trampoline_kernelINS0_13select_configILj256ELj13ELNS0_17block_load_methodE3ELS4_3ELS4_3ELNS0_20block_scan_algorithmE0ELj4294967295EEENS1_25partition_config_selectorILNS1_17partition_subalgoE3EjNS0_10empty_typeEbEEZZNS1_14partition_implILS8_3ELb0ES6_jNS0_17counting_iteratorIjlEEPS9_SE_NS0_5tupleIJPjSE_EEENSF_IJSE_SE_EEES9_SG_JZNS1_25segmented_radix_sort_implINS0_14default_configELb0EPKbPbPKlPlN2at6native12_GLOBAL__N_18offset_tEEE10hipError_tPvRmT1_PNSt15iterator_traitsISY_E10value_typeET2_T3_PNSZ_IS14_E10value_typeET4_jRbjT5_S1A_jjP12ihipStream_tbEUljE_EEESV_SW_SX_S14_S18_S1A_T6_T7_T9_mT8_S1C_bDpT10_ENKUlT_T0_E_clISt17integral_constantIbLb1EES1P_EEDaS1K_S1L_EUlS1K_E_NS1_11comp_targetILNS1_3genE3ELNS1_11target_archE908ELNS1_3gpuE7ELNS1_3repE0EEENS1_30default_config_static_selectorELNS0_4arch9wavefront6targetE0EEEvSY_.has_recursion, 0
	.set _ZN7rocprim17ROCPRIM_400000_NS6detail17trampoline_kernelINS0_13select_configILj256ELj13ELNS0_17block_load_methodE3ELS4_3ELS4_3ELNS0_20block_scan_algorithmE0ELj4294967295EEENS1_25partition_config_selectorILNS1_17partition_subalgoE3EjNS0_10empty_typeEbEEZZNS1_14partition_implILS8_3ELb0ES6_jNS0_17counting_iteratorIjlEEPS9_SE_NS0_5tupleIJPjSE_EEENSF_IJSE_SE_EEES9_SG_JZNS1_25segmented_radix_sort_implINS0_14default_configELb0EPKbPbPKlPlN2at6native12_GLOBAL__N_18offset_tEEE10hipError_tPvRmT1_PNSt15iterator_traitsISY_E10value_typeET2_T3_PNSZ_IS14_E10value_typeET4_jRbjT5_S1A_jjP12ihipStream_tbEUljE_EEESV_SW_SX_S14_S18_S1A_T6_T7_T9_mT8_S1C_bDpT10_ENKUlT_T0_E_clISt17integral_constantIbLb1EES1P_EEDaS1K_S1L_EUlS1K_E_NS1_11comp_targetILNS1_3genE3ELNS1_11target_archE908ELNS1_3gpuE7ELNS1_3repE0EEENS1_30default_config_static_selectorELNS0_4arch9wavefront6targetE0EEEvSY_.has_indirect_call, 0
	.section	.AMDGPU.csdata,"",@progbits
; Kernel info:
; codeLenInByte = 0
; TotalNumSgprs: 0
; NumVgprs: 0
; ScratchSize: 0
; MemoryBound: 0
; FloatMode: 240
; IeeeMode: 1
; LDSByteSize: 0 bytes/workgroup (compile time only)
; SGPRBlocks: 0
; VGPRBlocks: 0
; NumSGPRsForWavesPerEU: 1
; NumVGPRsForWavesPerEU: 1
; Occupancy: 16
; WaveLimiterHint : 0
; COMPUTE_PGM_RSRC2:SCRATCH_EN: 0
; COMPUTE_PGM_RSRC2:USER_SGPR: 2
; COMPUTE_PGM_RSRC2:TRAP_HANDLER: 0
; COMPUTE_PGM_RSRC2:TGID_X_EN: 1
; COMPUTE_PGM_RSRC2:TGID_Y_EN: 0
; COMPUTE_PGM_RSRC2:TGID_Z_EN: 0
; COMPUTE_PGM_RSRC2:TIDIG_COMP_CNT: 0
	.section	.text._ZN7rocprim17ROCPRIM_400000_NS6detail17trampoline_kernelINS0_13select_configILj256ELj13ELNS0_17block_load_methodE3ELS4_3ELS4_3ELNS0_20block_scan_algorithmE0ELj4294967295EEENS1_25partition_config_selectorILNS1_17partition_subalgoE3EjNS0_10empty_typeEbEEZZNS1_14partition_implILS8_3ELb0ES6_jNS0_17counting_iteratorIjlEEPS9_SE_NS0_5tupleIJPjSE_EEENSF_IJSE_SE_EEES9_SG_JZNS1_25segmented_radix_sort_implINS0_14default_configELb0EPKbPbPKlPlN2at6native12_GLOBAL__N_18offset_tEEE10hipError_tPvRmT1_PNSt15iterator_traitsISY_E10value_typeET2_T3_PNSZ_IS14_E10value_typeET4_jRbjT5_S1A_jjP12ihipStream_tbEUljE_EEESV_SW_SX_S14_S18_S1A_T6_T7_T9_mT8_S1C_bDpT10_ENKUlT_T0_E_clISt17integral_constantIbLb1EES1P_EEDaS1K_S1L_EUlS1K_E_NS1_11comp_targetILNS1_3genE2ELNS1_11target_archE906ELNS1_3gpuE6ELNS1_3repE0EEENS1_30default_config_static_selectorELNS0_4arch9wavefront6targetE0EEEvSY_,"axG",@progbits,_ZN7rocprim17ROCPRIM_400000_NS6detail17trampoline_kernelINS0_13select_configILj256ELj13ELNS0_17block_load_methodE3ELS4_3ELS4_3ELNS0_20block_scan_algorithmE0ELj4294967295EEENS1_25partition_config_selectorILNS1_17partition_subalgoE3EjNS0_10empty_typeEbEEZZNS1_14partition_implILS8_3ELb0ES6_jNS0_17counting_iteratorIjlEEPS9_SE_NS0_5tupleIJPjSE_EEENSF_IJSE_SE_EEES9_SG_JZNS1_25segmented_radix_sort_implINS0_14default_configELb0EPKbPbPKlPlN2at6native12_GLOBAL__N_18offset_tEEE10hipError_tPvRmT1_PNSt15iterator_traitsISY_E10value_typeET2_T3_PNSZ_IS14_E10value_typeET4_jRbjT5_S1A_jjP12ihipStream_tbEUljE_EEESV_SW_SX_S14_S18_S1A_T6_T7_T9_mT8_S1C_bDpT10_ENKUlT_T0_E_clISt17integral_constantIbLb1EES1P_EEDaS1K_S1L_EUlS1K_E_NS1_11comp_targetILNS1_3genE2ELNS1_11target_archE906ELNS1_3gpuE6ELNS1_3repE0EEENS1_30default_config_static_selectorELNS0_4arch9wavefront6targetE0EEEvSY_,comdat
	.globl	_ZN7rocprim17ROCPRIM_400000_NS6detail17trampoline_kernelINS0_13select_configILj256ELj13ELNS0_17block_load_methodE3ELS4_3ELS4_3ELNS0_20block_scan_algorithmE0ELj4294967295EEENS1_25partition_config_selectorILNS1_17partition_subalgoE3EjNS0_10empty_typeEbEEZZNS1_14partition_implILS8_3ELb0ES6_jNS0_17counting_iteratorIjlEEPS9_SE_NS0_5tupleIJPjSE_EEENSF_IJSE_SE_EEES9_SG_JZNS1_25segmented_radix_sort_implINS0_14default_configELb0EPKbPbPKlPlN2at6native12_GLOBAL__N_18offset_tEEE10hipError_tPvRmT1_PNSt15iterator_traitsISY_E10value_typeET2_T3_PNSZ_IS14_E10value_typeET4_jRbjT5_S1A_jjP12ihipStream_tbEUljE_EEESV_SW_SX_S14_S18_S1A_T6_T7_T9_mT8_S1C_bDpT10_ENKUlT_T0_E_clISt17integral_constantIbLb1EES1P_EEDaS1K_S1L_EUlS1K_E_NS1_11comp_targetILNS1_3genE2ELNS1_11target_archE906ELNS1_3gpuE6ELNS1_3repE0EEENS1_30default_config_static_selectorELNS0_4arch9wavefront6targetE0EEEvSY_ ; -- Begin function _ZN7rocprim17ROCPRIM_400000_NS6detail17trampoline_kernelINS0_13select_configILj256ELj13ELNS0_17block_load_methodE3ELS4_3ELS4_3ELNS0_20block_scan_algorithmE0ELj4294967295EEENS1_25partition_config_selectorILNS1_17partition_subalgoE3EjNS0_10empty_typeEbEEZZNS1_14partition_implILS8_3ELb0ES6_jNS0_17counting_iteratorIjlEEPS9_SE_NS0_5tupleIJPjSE_EEENSF_IJSE_SE_EEES9_SG_JZNS1_25segmented_radix_sort_implINS0_14default_configELb0EPKbPbPKlPlN2at6native12_GLOBAL__N_18offset_tEEE10hipError_tPvRmT1_PNSt15iterator_traitsISY_E10value_typeET2_T3_PNSZ_IS14_E10value_typeET4_jRbjT5_S1A_jjP12ihipStream_tbEUljE_EEESV_SW_SX_S14_S18_S1A_T6_T7_T9_mT8_S1C_bDpT10_ENKUlT_T0_E_clISt17integral_constantIbLb1EES1P_EEDaS1K_S1L_EUlS1K_E_NS1_11comp_targetILNS1_3genE2ELNS1_11target_archE906ELNS1_3gpuE6ELNS1_3repE0EEENS1_30default_config_static_selectorELNS0_4arch9wavefront6targetE0EEEvSY_
	.p2align	8
	.type	_ZN7rocprim17ROCPRIM_400000_NS6detail17trampoline_kernelINS0_13select_configILj256ELj13ELNS0_17block_load_methodE3ELS4_3ELS4_3ELNS0_20block_scan_algorithmE0ELj4294967295EEENS1_25partition_config_selectorILNS1_17partition_subalgoE3EjNS0_10empty_typeEbEEZZNS1_14partition_implILS8_3ELb0ES6_jNS0_17counting_iteratorIjlEEPS9_SE_NS0_5tupleIJPjSE_EEENSF_IJSE_SE_EEES9_SG_JZNS1_25segmented_radix_sort_implINS0_14default_configELb0EPKbPbPKlPlN2at6native12_GLOBAL__N_18offset_tEEE10hipError_tPvRmT1_PNSt15iterator_traitsISY_E10value_typeET2_T3_PNSZ_IS14_E10value_typeET4_jRbjT5_S1A_jjP12ihipStream_tbEUljE_EEESV_SW_SX_S14_S18_S1A_T6_T7_T9_mT8_S1C_bDpT10_ENKUlT_T0_E_clISt17integral_constantIbLb1EES1P_EEDaS1K_S1L_EUlS1K_E_NS1_11comp_targetILNS1_3genE2ELNS1_11target_archE906ELNS1_3gpuE6ELNS1_3repE0EEENS1_30default_config_static_selectorELNS0_4arch9wavefront6targetE0EEEvSY_,@function
_ZN7rocprim17ROCPRIM_400000_NS6detail17trampoline_kernelINS0_13select_configILj256ELj13ELNS0_17block_load_methodE3ELS4_3ELS4_3ELNS0_20block_scan_algorithmE0ELj4294967295EEENS1_25partition_config_selectorILNS1_17partition_subalgoE3EjNS0_10empty_typeEbEEZZNS1_14partition_implILS8_3ELb0ES6_jNS0_17counting_iteratorIjlEEPS9_SE_NS0_5tupleIJPjSE_EEENSF_IJSE_SE_EEES9_SG_JZNS1_25segmented_radix_sort_implINS0_14default_configELb0EPKbPbPKlPlN2at6native12_GLOBAL__N_18offset_tEEE10hipError_tPvRmT1_PNSt15iterator_traitsISY_E10value_typeET2_T3_PNSZ_IS14_E10value_typeET4_jRbjT5_S1A_jjP12ihipStream_tbEUljE_EEESV_SW_SX_S14_S18_S1A_T6_T7_T9_mT8_S1C_bDpT10_ENKUlT_T0_E_clISt17integral_constantIbLb1EES1P_EEDaS1K_S1L_EUlS1K_E_NS1_11comp_targetILNS1_3genE2ELNS1_11target_archE906ELNS1_3gpuE6ELNS1_3repE0EEENS1_30default_config_static_selectorELNS0_4arch9wavefront6targetE0EEEvSY_: ; @_ZN7rocprim17ROCPRIM_400000_NS6detail17trampoline_kernelINS0_13select_configILj256ELj13ELNS0_17block_load_methodE3ELS4_3ELS4_3ELNS0_20block_scan_algorithmE0ELj4294967295EEENS1_25partition_config_selectorILNS1_17partition_subalgoE3EjNS0_10empty_typeEbEEZZNS1_14partition_implILS8_3ELb0ES6_jNS0_17counting_iteratorIjlEEPS9_SE_NS0_5tupleIJPjSE_EEENSF_IJSE_SE_EEES9_SG_JZNS1_25segmented_radix_sort_implINS0_14default_configELb0EPKbPbPKlPlN2at6native12_GLOBAL__N_18offset_tEEE10hipError_tPvRmT1_PNSt15iterator_traitsISY_E10value_typeET2_T3_PNSZ_IS14_E10value_typeET4_jRbjT5_S1A_jjP12ihipStream_tbEUljE_EEESV_SW_SX_S14_S18_S1A_T6_T7_T9_mT8_S1C_bDpT10_ENKUlT_T0_E_clISt17integral_constantIbLb1EES1P_EEDaS1K_S1L_EUlS1K_E_NS1_11comp_targetILNS1_3genE2ELNS1_11target_archE906ELNS1_3gpuE6ELNS1_3repE0EEENS1_30default_config_static_selectorELNS0_4arch9wavefront6targetE0EEEvSY_
; %bb.0:
	.section	.rodata,"a",@progbits
	.p2align	6, 0x0
	.amdhsa_kernel _ZN7rocprim17ROCPRIM_400000_NS6detail17trampoline_kernelINS0_13select_configILj256ELj13ELNS0_17block_load_methodE3ELS4_3ELS4_3ELNS0_20block_scan_algorithmE0ELj4294967295EEENS1_25partition_config_selectorILNS1_17partition_subalgoE3EjNS0_10empty_typeEbEEZZNS1_14partition_implILS8_3ELb0ES6_jNS0_17counting_iteratorIjlEEPS9_SE_NS0_5tupleIJPjSE_EEENSF_IJSE_SE_EEES9_SG_JZNS1_25segmented_radix_sort_implINS0_14default_configELb0EPKbPbPKlPlN2at6native12_GLOBAL__N_18offset_tEEE10hipError_tPvRmT1_PNSt15iterator_traitsISY_E10value_typeET2_T3_PNSZ_IS14_E10value_typeET4_jRbjT5_S1A_jjP12ihipStream_tbEUljE_EEESV_SW_SX_S14_S18_S1A_T6_T7_T9_mT8_S1C_bDpT10_ENKUlT_T0_E_clISt17integral_constantIbLb1EES1P_EEDaS1K_S1L_EUlS1K_E_NS1_11comp_targetILNS1_3genE2ELNS1_11target_archE906ELNS1_3gpuE6ELNS1_3repE0EEENS1_30default_config_static_selectorELNS0_4arch9wavefront6targetE0EEEvSY_
		.amdhsa_group_segment_fixed_size 0
		.amdhsa_private_segment_fixed_size 0
		.amdhsa_kernarg_size 152
		.amdhsa_user_sgpr_count 2
		.amdhsa_user_sgpr_dispatch_ptr 0
		.amdhsa_user_sgpr_queue_ptr 0
		.amdhsa_user_sgpr_kernarg_segment_ptr 1
		.amdhsa_user_sgpr_dispatch_id 0
		.amdhsa_user_sgpr_private_segment_size 0
		.amdhsa_wavefront_size32 1
		.amdhsa_uses_dynamic_stack 0
		.amdhsa_enable_private_segment 0
		.amdhsa_system_sgpr_workgroup_id_x 1
		.amdhsa_system_sgpr_workgroup_id_y 0
		.amdhsa_system_sgpr_workgroup_id_z 0
		.amdhsa_system_sgpr_workgroup_info 0
		.amdhsa_system_vgpr_workitem_id 0
		.amdhsa_next_free_vgpr 1
		.amdhsa_next_free_sgpr 1
		.amdhsa_reserve_vcc 0
		.amdhsa_float_round_mode_32 0
		.amdhsa_float_round_mode_16_64 0
		.amdhsa_float_denorm_mode_32 3
		.amdhsa_float_denorm_mode_16_64 3
		.amdhsa_fp16_overflow 0
		.amdhsa_workgroup_processor_mode 1
		.amdhsa_memory_ordered 1
		.amdhsa_forward_progress 1
		.amdhsa_inst_pref_size 0
		.amdhsa_round_robin_scheduling 0
		.amdhsa_exception_fp_ieee_invalid_op 0
		.amdhsa_exception_fp_denorm_src 0
		.amdhsa_exception_fp_ieee_div_zero 0
		.amdhsa_exception_fp_ieee_overflow 0
		.amdhsa_exception_fp_ieee_underflow 0
		.amdhsa_exception_fp_ieee_inexact 0
		.amdhsa_exception_int_div_zero 0
	.end_amdhsa_kernel
	.section	.text._ZN7rocprim17ROCPRIM_400000_NS6detail17trampoline_kernelINS0_13select_configILj256ELj13ELNS0_17block_load_methodE3ELS4_3ELS4_3ELNS0_20block_scan_algorithmE0ELj4294967295EEENS1_25partition_config_selectorILNS1_17partition_subalgoE3EjNS0_10empty_typeEbEEZZNS1_14partition_implILS8_3ELb0ES6_jNS0_17counting_iteratorIjlEEPS9_SE_NS0_5tupleIJPjSE_EEENSF_IJSE_SE_EEES9_SG_JZNS1_25segmented_radix_sort_implINS0_14default_configELb0EPKbPbPKlPlN2at6native12_GLOBAL__N_18offset_tEEE10hipError_tPvRmT1_PNSt15iterator_traitsISY_E10value_typeET2_T3_PNSZ_IS14_E10value_typeET4_jRbjT5_S1A_jjP12ihipStream_tbEUljE_EEESV_SW_SX_S14_S18_S1A_T6_T7_T9_mT8_S1C_bDpT10_ENKUlT_T0_E_clISt17integral_constantIbLb1EES1P_EEDaS1K_S1L_EUlS1K_E_NS1_11comp_targetILNS1_3genE2ELNS1_11target_archE906ELNS1_3gpuE6ELNS1_3repE0EEENS1_30default_config_static_selectorELNS0_4arch9wavefront6targetE0EEEvSY_,"axG",@progbits,_ZN7rocprim17ROCPRIM_400000_NS6detail17trampoline_kernelINS0_13select_configILj256ELj13ELNS0_17block_load_methodE3ELS4_3ELS4_3ELNS0_20block_scan_algorithmE0ELj4294967295EEENS1_25partition_config_selectorILNS1_17partition_subalgoE3EjNS0_10empty_typeEbEEZZNS1_14partition_implILS8_3ELb0ES6_jNS0_17counting_iteratorIjlEEPS9_SE_NS0_5tupleIJPjSE_EEENSF_IJSE_SE_EEES9_SG_JZNS1_25segmented_radix_sort_implINS0_14default_configELb0EPKbPbPKlPlN2at6native12_GLOBAL__N_18offset_tEEE10hipError_tPvRmT1_PNSt15iterator_traitsISY_E10value_typeET2_T3_PNSZ_IS14_E10value_typeET4_jRbjT5_S1A_jjP12ihipStream_tbEUljE_EEESV_SW_SX_S14_S18_S1A_T6_T7_T9_mT8_S1C_bDpT10_ENKUlT_T0_E_clISt17integral_constantIbLb1EES1P_EEDaS1K_S1L_EUlS1K_E_NS1_11comp_targetILNS1_3genE2ELNS1_11target_archE906ELNS1_3gpuE6ELNS1_3repE0EEENS1_30default_config_static_selectorELNS0_4arch9wavefront6targetE0EEEvSY_,comdat
.Lfunc_end1615:
	.size	_ZN7rocprim17ROCPRIM_400000_NS6detail17trampoline_kernelINS0_13select_configILj256ELj13ELNS0_17block_load_methodE3ELS4_3ELS4_3ELNS0_20block_scan_algorithmE0ELj4294967295EEENS1_25partition_config_selectorILNS1_17partition_subalgoE3EjNS0_10empty_typeEbEEZZNS1_14partition_implILS8_3ELb0ES6_jNS0_17counting_iteratorIjlEEPS9_SE_NS0_5tupleIJPjSE_EEENSF_IJSE_SE_EEES9_SG_JZNS1_25segmented_radix_sort_implINS0_14default_configELb0EPKbPbPKlPlN2at6native12_GLOBAL__N_18offset_tEEE10hipError_tPvRmT1_PNSt15iterator_traitsISY_E10value_typeET2_T3_PNSZ_IS14_E10value_typeET4_jRbjT5_S1A_jjP12ihipStream_tbEUljE_EEESV_SW_SX_S14_S18_S1A_T6_T7_T9_mT8_S1C_bDpT10_ENKUlT_T0_E_clISt17integral_constantIbLb1EES1P_EEDaS1K_S1L_EUlS1K_E_NS1_11comp_targetILNS1_3genE2ELNS1_11target_archE906ELNS1_3gpuE6ELNS1_3repE0EEENS1_30default_config_static_selectorELNS0_4arch9wavefront6targetE0EEEvSY_, .Lfunc_end1615-_ZN7rocprim17ROCPRIM_400000_NS6detail17trampoline_kernelINS0_13select_configILj256ELj13ELNS0_17block_load_methodE3ELS4_3ELS4_3ELNS0_20block_scan_algorithmE0ELj4294967295EEENS1_25partition_config_selectorILNS1_17partition_subalgoE3EjNS0_10empty_typeEbEEZZNS1_14partition_implILS8_3ELb0ES6_jNS0_17counting_iteratorIjlEEPS9_SE_NS0_5tupleIJPjSE_EEENSF_IJSE_SE_EEES9_SG_JZNS1_25segmented_radix_sort_implINS0_14default_configELb0EPKbPbPKlPlN2at6native12_GLOBAL__N_18offset_tEEE10hipError_tPvRmT1_PNSt15iterator_traitsISY_E10value_typeET2_T3_PNSZ_IS14_E10value_typeET4_jRbjT5_S1A_jjP12ihipStream_tbEUljE_EEESV_SW_SX_S14_S18_S1A_T6_T7_T9_mT8_S1C_bDpT10_ENKUlT_T0_E_clISt17integral_constantIbLb1EES1P_EEDaS1K_S1L_EUlS1K_E_NS1_11comp_targetILNS1_3genE2ELNS1_11target_archE906ELNS1_3gpuE6ELNS1_3repE0EEENS1_30default_config_static_selectorELNS0_4arch9wavefront6targetE0EEEvSY_
                                        ; -- End function
	.set _ZN7rocprim17ROCPRIM_400000_NS6detail17trampoline_kernelINS0_13select_configILj256ELj13ELNS0_17block_load_methodE3ELS4_3ELS4_3ELNS0_20block_scan_algorithmE0ELj4294967295EEENS1_25partition_config_selectorILNS1_17partition_subalgoE3EjNS0_10empty_typeEbEEZZNS1_14partition_implILS8_3ELb0ES6_jNS0_17counting_iteratorIjlEEPS9_SE_NS0_5tupleIJPjSE_EEENSF_IJSE_SE_EEES9_SG_JZNS1_25segmented_radix_sort_implINS0_14default_configELb0EPKbPbPKlPlN2at6native12_GLOBAL__N_18offset_tEEE10hipError_tPvRmT1_PNSt15iterator_traitsISY_E10value_typeET2_T3_PNSZ_IS14_E10value_typeET4_jRbjT5_S1A_jjP12ihipStream_tbEUljE_EEESV_SW_SX_S14_S18_S1A_T6_T7_T9_mT8_S1C_bDpT10_ENKUlT_T0_E_clISt17integral_constantIbLb1EES1P_EEDaS1K_S1L_EUlS1K_E_NS1_11comp_targetILNS1_3genE2ELNS1_11target_archE906ELNS1_3gpuE6ELNS1_3repE0EEENS1_30default_config_static_selectorELNS0_4arch9wavefront6targetE0EEEvSY_.num_vgpr, 0
	.set _ZN7rocprim17ROCPRIM_400000_NS6detail17trampoline_kernelINS0_13select_configILj256ELj13ELNS0_17block_load_methodE3ELS4_3ELS4_3ELNS0_20block_scan_algorithmE0ELj4294967295EEENS1_25partition_config_selectorILNS1_17partition_subalgoE3EjNS0_10empty_typeEbEEZZNS1_14partition_implILS8_3ELb0ES6_jNS0_17counting_iteratorIjlEEPS9_SE_NS0_5tupleIJPjSE_EEENSF_IJSE_SE_EEES9_SG_JZNS1_25segmented_radix_sort_implINS0_14default_configELb0EPKbPbPKlPlN2at6native12_GLOBAL__N_18offset_tEEE10hipError_tPvRmT1_PNSt15iterator_traitsISY_E10value_typeET2_T3_PNSZ_IS14_E10value_typeET4_jRbjT5_S1A_jjP12ihipStream_tbEUljE_EEESV_SW_SX_S14_S18_S1A_T6_T7_T9_mT8_S1C_bDpT10_ENKUlT_T0_E_clISt17integral_constantIbLb1EES1P_EEDaS1K_S1L_EUlS1K_E_NS1_11comp_targetILNS1_3genE2ELNS1_11target_archE906ELNS1_3gpuE6ELNS1_3repE0EEENS1_30default_config_static_selectorELNS0_4arch9wavefront6targetE0EEEvSY_.num_agpr, 0
	.set _ZN7rocprim17ROCPRIM_400000_NS6detail17trampoline_kernelINS0_13select_configILj256ELj13ELNS0_17block_load_methodE3ELS4_3ELS4_3ELNS0_20block_scan_algorithmE0ELj4294967295EEENS1_25partition_config_selectorILNS1_17partition_subalgoE3EjNS0_10empty_typeEbEEZZNS1_14partition_implILS8_3ELb0ES6_jNS0_17counting_iteratorIjlEEPS9_SE_NS0_5tupleIJPjSE_EEENSF_IJSE_SE_EEES9_SG_JZNS1_25segmented_radix_sort_implINS0_14default_configELb0EPKbPbPKlPlN2at6native12_GLOBAL__N_18offset_tEEE10hipError_tPvRmT1_PNSt15iterator_traitsISY_E10value_typeET2_T3_PNSZ_IS14_E10value_typeET4_jRbjT5_S1A_jjP12ihipStream_tbEUljE_EEESV_SW_SX_S14_S18_S1A_T6_T7_T9_mT8_S1C_bDpT10_ENKUlT_T0_E_clISt17integral_constantIbLb1EES1P_EEDaS1K_S1L_EUlS1K_E_NS1_11comp_targetILNS1_3genE2ELNS1_11target_archE906ELNS1_3gpuE6ELNS1_3repE0EEENS1_30default_config_static_selectorELNS0_4arch9wavefront6targetE0EEEvSY_.numbered_sgpr, 0
	.set _ZN7rocprim17ROCPRIM_400000_NS6detail17trampoline_kernelINS0_13select_configILj256ELj13ELNS0_17block_load_methodE3ELS4_3ELS4_3ELNS0_20block_scan_algorithmE0ELj4294967295EEENS1_25partition_config_selectorILNS1_17partition_subalgoE3EjNS0_10empty_typeEbEEZZNS1_14partition_implILS8_3ELb0ES6_jNS0_17counting_iteratorIjlEEPS9_SE_NS0_5tupleIJPjSE_EEENSF_IJSE_SE_EEES9_SG_JZNS1_25segmented_radix_sort_implINS0_14default_configELb0EPKbPbPKlPlN2at6native12_GLOBAL__N_18offset_tEEE10hipError_tPvRmT1_PNSt15iterator_traitsISY_E10value_typeET2_T3_PNSZ_IS14_E10value_typeET4_jRbjT5_S1A_jjP12ihipStream_tbEUljE_EEESV_SW_SX_S14_S18_S1A_T6_T7_T9_mT8_S1C_bDpT10_ENKUlT_T0_E_clISt17integral_constantIbLb1EES1P_EEDaS1K_S1L_EUlS1K_E_NS1_11comp_targetILNS1_3genE2ELNS1_11target_archE906ELNS1_3gpuE6ELNS1_3repE0EEENS1_30default_config_static_selectorELNS0_4arch9wavefront6targetE0EEEvSY_.num_named_barrier, 0
	.set _ZN7rocprim17ROCPRIM_400000_NS6detail17trampoline_kernelINS0_13select_configILj256ELj13ELNS0_17block_load_methodE3ELS4_3ELS4_3ELNS0_20block_scan_algorithmE0ELj4294967295EEENS1_25partition_config_selectorILNS1_17partition_subalgoE3EjNS0_10empty_typeEbEEZZNS1_14partition_implILS8_3ELb0ES6_jNS0_17counting_iteratorIjlEEPS9_SE_NS0_5tupleIJPjSE_EEENSF_IJSE_SE_EEES9_SG_JZNS1_25segmented_radix_sort_implINS0_14default_configELb0EPKbPbPKlPlN2at6native12_GLOBAL__N_18offset_tEEE10hipError_tPvRmT1_PNSt15iterator_traitsISY_E10value_typeET2_T3_PNSZ_IS14_E10value_typeET4_jRbjT5_S1A_jjP12ihipStream_tbEUljE_EEESV_SW_SX_S14_S18_S1A_T6_T7_T9_mT8_S1C_bDpT10_ENKUlT_T0_E_clISt17integral_constantIbLb1EES1P_EEDaS1K_S1L_EUlS1K_E_NS1_11comp_targetILNS1_3genE2ELNS1_11target_archE906ELNS1_3gpuE6ELNS1_3repE0EEENS1_30default_config_static_selectorELNS0_4arch9wavefront6targetE0EEEvSY_.private_seg_size, 0
	.set _ZN7rocprim17ROCPRIM_400000_NS6detail17trampoline_kernelINS0_13select_configILj256ELj13ELNS0_17block_load_methodE3ELS4_3ELS4_3ELNS0_20block_scan_algorithmE0ELj4294967295EEENS1_25partition_config_selectorILNS1_17partition_subalgoE3EjNS0_10empty_typeEbEEZZNS1_14partition_implILS8_3ELb0ES6_jNS0_17counting_iteratorIjlEEPS9_SE_NS0_5tupleIJPjSE_EEENSF_IJSE_SE_EEES9_SG_JZNS1_25segmented_radix_sort_implINS0_14default_configELb0EPKbPbPKlPlN2at6native12_GLOBAL__N_18offset_tEEE10hipError_tPvRmT1_PNSt15iterator_traitsISY_E10value_typeET2_T3_PNSZ_IS14_E10value_typeET4_jRbjT5_S1A_jjP12ihipStream_tbEUljE_EEESV_SW_SX_S14_S18_S1A_T6_T7_T9_mT8_S1C_bDpT10_ENKUlT_T0_E_clISt17integral_constantIbLb1EES1P_EEDaS1K_S1L_EUlS1K_E_NS1_11comp_targetILNS1_3genE2ELNS1_11target_archE906ELNS1_3gpuE6ELNS1_3repE0EEENS1_30default_config_static_selectorELNS0_4arch9wavefront6targetE0EEEvSY_.uses_vcc, 0
	.set _ZN7rocprim17ROCPRIM_400000_NS6detail17trampoline_kernelINS0_13select_configILj256ELj13ELNS0_17block_load_methodE3ELS4_3ELS4_3ELNS0_20block_scan_algorithmE0ELj4294967295EEENS1_25partition_config_selectorILNS1_17partition_subalgoE3EjNS0_10empty_typeEbEEZZNS1_14partition_implILS8_3ELb0ES6_jNS0_17counting_iteratorIjlEEPS9_SE_NS0_5tupleIJPjSE_EEENSF_IJSE_SE_EEES9_SG_JZNS1_25segmented_radix_sort_implINS0_14default_configELb0EPKbPbPKlPlN2at6native12_GLOBAL__N_18offset_tEEE10hipError_tPvRmT1_PNSt15iterator_traitsISY_E10value_typeET2_T3_PNSZ_IS14_E10value_typeET4_jRbjT5_S1A_jjP12ihipStream_tbEUljE_EEESV_SW_SX_S14_S18_S1A_T6_T7_T9_mT8_S1C_bDpT10_ENKUlT_T0_E_clISt17integral_constantIbLb1EES1P_EEDaS1K_S1L_EUlS1K_E_NS1_11comp_targetILNS1_3genE2ELNS1_11target_archE906ELNS1_3gpuE6ELNS1_3repE0EEENS1_30default_config_static_selectorELNS0_4arch9wavefront6targetE0EEEvSY_.uses_flat_scratch, 0
	.set _ZN7rocprim17ROCPRIM_400000_NS6detail17trampoline_kernelINS0_13select_configILj256ELj13ELNS0_17block_load_methodE3ELS4_3ELS4_3ELNS0_20block_scan_algorithmE0ELj4294967295EEENS1_25partition_config_selectorILNS1_17partition_subalgoE3EjNS0_10empty_typeEbEEZZNS1_14partition_implILS8_3ELb0ES6_jNS0_17counting_iteratorIjlEEPS9_SE_NS0_5tupleIJPjSE_EEENSF_IJSE_SE_EEES9_SG_JZNS1_25segmented_radix_sort_implINS0_14default_configELb0EPKbPbPKlPlN2at6native12_GLOBAL__N_18offset_tEEE10hipError_tPvRmT1_PNSt15iterator_traitsISY_E10value_typeET2_T3_PNSZ_IS14_E10value_typeET4_jRbjT5_S1A_jjP12ihipStream_tbEUljE_EEESV_SW_SX_S14_S18_S1A_T6_T7_T9_mT8_S1C_bDpT10_ENKUlT_T0_E_clISt17integral_constantIbLb1EES1P_EEDaS1K_S1L_EUlS1K_E_NS1_11comp_targetILNS1_3genE2ELNS1_11target_archE906ELNS1_3gpuE6ELNS1_3repE0EEENS1_30default_config_static_selectorELNS0_4arch9wavefront6targetE0EEEvSY_.has_dyn_sized_stack, 0
	.set _ZN7rocprim17ROCPRIM_400000_NS6detail17trampoline_kernelINS0_13select_configILj256ELj13ELNS0_17block_load_methodE3ELS4_3ELS4_3ELNS0_20block_scan_algorithmE0ELj4294967295EEENS1_25partition_config_selectorILNS1_17partition_subalgoE3EjNS0_10empty_typeEbEEZZNS1_14partition_implILS8_3ELb0ES6_jNS0_17counting_iteratorIjlEEPS9_SE_NS0_5tupleIJPjSE_EEENSF_IJSE_SE_EEES9_SG_JZNS1_25segmented_radix_sort_implINS0_14default_configELb0EPKbPbPKlPlN2at6native12_GLOBAL__N_18offset_tEEE10hipError_tPvRmT1_PNSt15iterator_traitsISY_E10value_typeET2_T3_PNSZ_IS14_E10value_typeET4_jRbjT5_S1A_jjP12ihipStream_tbEUljE_EEESV_SW_SX_S14_S18_S1A_T6_T7_T9_mT8_S1C_bDpT10_ENKUlT_T0_E_clISt17integral_constantIbLb1EES1P_EEDaS1K_S1L_EUlS1K_E_NS1_11comp_targetILNS1_3genE2ELNS1_11target_archE906ELNS1_3gpuE6ELNS1_3repE0EEENS1_30default_config_static_selectorELNS0_4arch9wavefront6targetE0EEEvSY_.has_recursion, 0
	.set _ZN7rocprim17ROCPRIM_400000_NS6detail17trampoline_kernelINS0_13select_configILj256ELj13ELNS0_17block_load_methodE3ELS4_3ELS4_3ELNS0_20block_scan_algorithmE0ELj4294967295EEENS1_25partition_config_selectorILNS1_17partition_subalgoE3EjNS0_10empty_typeEbEEZZNS1_14partition_implILS8_3ELb0ES6_jNS0_17counting_iteratorIjlEEPS9_SE_NS0_5tupleIJPjSE_EEENSF_IJSE_SE_EEES9_SG_JZNS1_25segmented_radix_sort_implINS0_14default_configELb0EPKbPbPKlPlN2at6native12_GLOBAL__N_18offset_tEEE10hipError_tPvRmT1_PNSt15iterator_traitsISY_E10value_typeET2_T3_PNSZ_IS14_E10value_typeET4_jRbjT5_S1A_jjP12ihipStream_tbEUljE_EEESV_SW_SX_S14_S18_S1A_T6_T7_T9_mT8_S1C_bDpT10_ENKUlT_T0_E_clISt17integral_constantIbLb1EES1P_EEDaS1K_S1L_EUlS1K_E_NS1_11comp_targetILNS1_3genE2ELNS1_11target_archE906ELNS1_3gpuE6ELNS1_3repE0EEENS1_30default_config_static_selectorELNS0_4arch9wavefront6targetE0EEEvSY_.has_indirect_call, 0
	.section	.AMDGPU.csdata,"",@progbits
; Kernel info:
; codeLenInByte = 0
; TotalNumSgprs: 0
; NumVgprs: 0
; ScratchSize: 0
; MemoryBound: 0
; FloatMode: 240
; IeeeMode: 1
; LDSByteSize: 0 bytes/workgroup (compile time only)
; SGPRBlocks: 0
; VGPRBlocks: 0
; NumSGPRsForWavesPerEU: 1
; NumVGPRsForWavesPerEU: 1
; Occupancy: 16
; WaveLimiterHint : 0
; COMPUTE_PGM_RSRC2:SCRATCH_EN: 0
; COMPUTE_PGM_RSRC2:USER_SGPR: 2
; COMPUTE_PGM_RSRC2:TRAP_HANDLER: 0
; COMPUTE_PGM_RSRC2:TGID_X_EN: 1
; COMPUTE_PGM_RSRC2:TGID_Y_EN: 0
; COMPUTE_PGM_RSRC2:TGID_Z_EN: 0
; COMPUTE_PGM_RSRC2:TIDIG_COMP_CNT: 0
	.section	.text._ZN7rocprim17ROCPRIM_400000_NS6detail17trampoline_kernelINS0_13select_configILj256ELj13ELNS0_17block_load_methodE3ELS4_3ELS4_3ELNS0_20block_scan_algorithmE0ELj4294967295EEENS1_25partition_config_selectorILNS1_17partition_subalgoE3EjNS0_10empty_typeEbEEZZNS1_14partition_implILS8_3ELb0ES6_jNS0_17counting_iteratorIjlEEPS9_SE_NS0_5tupleIJPjSE_EEENSF_IJSE_SE_EEES9_SG_JZNS1_25segmented_radix_sort_implINS0_14default_configELb0EPKbPbPKlPlN2at6native12_GLOBAL__N_18offset_tEEE10hipError_tPvRmT1_PNSt15iterator_traitsISY_E10value_typeET2_T3_PNSZ_IS14_E10value_typeET4_jRbjT5_S1A_jjP12ihipStream_tbEUljE_EEESV_SW_SX_S14_S18_S1A_T6_T7_T9_mT8_S1C_bDpT10_ENKUlT_T0_E_clISt17integral_constantIbLb1EES1P_EEDaS1K_S1L_EUlS1K_E_NS1_11comp_targetILNS1_3genE10ELNS1_11target_archE1200ELNS1_3gpuE4ELNS1_3repE0EEENS1_30default_config_static_selectorELNS0_4arch9wavefront6targetE0EEEvSY_,"axG",@progbits,_ZN7rocprim17ROCPRIM_400000_NS6detail17trampoline_kernelINS0_13select_configILj256ELj13ELNS0_17block_load_methodE3ELS4_3ELS4_3ELNS0_20block_scan_algorithmE0ELj4294967295EEENS1_25partition_config_selectorILNS1_17partition_subalgoE3EjNS0_10empty_typeEbEEZZNS1_14partition_implILS8_3ELb0ES6_jNS0_17counting_iteratorIjlEEPS9_SE_NS0_5tupleIJPjSE_EEENSF_IJSE_SE_EEES9_SG_JZNS1_25segmented_radix_sort_implINS0_14default_configELb0EPKbPbPKlPlN2at6native12_GLOBAL__N_18offset_tEEE10hipError_tPvRmT1_PNSt15iterator_traitsISY_E10value_typeET2_T3_PNSZ_IS14_E10value_typeET4_jRbjT5_S1A_jjP12ihipStream_tbEUljE_EEESV_SW_SX_S14_S18_S1A_T6_T7_T9_mT8_S1C_bDpT10_ENKUlT_T0_E_clISt17integral_constantIbLb1EES1P_EEDaS1K_S1L_EUlS1K_E_NS1_11comp_targetILNS1_3genE10ELNS1_11target_archE1200ELNS1_3gpuE4ELNS1_3repE0EEENS1_30default_config_static_selectorELNS0_4arch9wavefront6targetE0EEEvSY_,comdat
	.globl	_ZN7rocprim17ROCPRIM_400000_NS6detail17trampoline_kernelINS0_13select_configILj256ELj13ELNS0_17block_load_methodE3ELS4_3ELS4_3ELNS0_20block_scan_algorithmE0ELj4294967295EEENS1_25partition_config_selectorILNS1_17partition_subalgoE3EjNS0_10empty_typeEbEEZZNS1_14partition_implILS8_3ELb0ES6_jNS0_17counting_iteratorIjlEEPS9_SE_NS0_5tupleIJPjSE_EEENSF_IJSE_SE_EEES9_SG_JZNS1_25segmented_radix_sort_implINS0_14default_configELb0EPKbPbPKlPlN2at6native12_GLOBAL__N_18offset_tEEE10hipError_tPvRmT1_PNSt15iterator_traitsISY_E10value_typeET2_T3_PNSZ_IS14_E10value_typeET4_jRbjT5_S1A_jjP12ihipStream_tbEUljE_EEESV_SW_SX_S14_S18_S1A_T6_T7_T9_mT8_S1C_bDpT10_ENKUlT_T0_E_clISt17integral_constantIbLb1EES1P_EEDaS1K_S1L_EUlS1K_E_NS1_11comp_targetILNS1_3genE10ELNS1_11target_archE1200ELNS1_3gpuE4ELNS1_3repE0EEENS1_30default_config_static_selectorELNS0_4arch9wavefront6targetE0EEEvSY_ ; -- Begin function _ZN7rocprim17ROCPRIM_400000_NS6detail17trampoline_kernelINS0_13select_configILj256ELj13ELNS0_17block_load_methodE3ELS4_3ELS4_3ELNS0_20block_scan_algorithmE0ELj4294967295EEENS1_25partition_config_selectorILNS1_17partition_subalgoE3EjNS0_10empty_typeEbEEZZNS1_14partition_implILS8_3ELb0ES6_jNS0_17counting_iteratorIjlEEPS9_SE_NS0_5tupleIJPjSE_EEENSF_IJSE_SE_EEES9_SG_JZNS1_25segmented_radix_sort_implINS0_14default_configELb0EPKbPbPKlPlN2at6native12_GLOBAL__N_18offset_tEEE10hipError_tPvRmT1_PNSt15iterator_traitsISY_E10value_typeET2_T3_PNSZ_IS14_E10value_typeET4_jRbjT5_S1A_jjP12ihipStream_tbEUljE_EEESV_SW_SX_S14_S18_S1A_T6_T7_T9_mT8_S1C_bDpT10_ENKUlT_T0_E_clISt17integral_constantIbLb1EES1P_EEDaS1K_S1L_EUlS1K_E_NS1_11comp_targetILNS1_3genE10ELNS1_11target_archE1200ELNS1_3gpuE4ELNS1_3repE0EEENS1_30default_config_static_selectorELNS0_4arch9wavefront6targetE0EEEvSY_
	.p2align	8
	.type	_ZN7rocprim17ROCPRIM_400000_NS6detail17trampoline_kernelINS0_13select_configILj256ELj13ELNS0_17block_load_methodE3ELS4_3ELS4_3ELNS0_20block_scan_algorithmE0ELj4294967295EEENS1_25partition_config_selectorILNS1_17partition_subalgoE3EjNS0_10empty_typeEbEEZZNS1_14partition_implILS8_3ELb0ES6_jNS0_17counting_iteratorIjlEEPS9_SE_NS0_5tupleIJPjSE_EEENSF_IJSE_SE_EEES9_SG_JZNS1_25segmented_radix_sort_implINS0_14default_configELb0EPKbPbPKlPlN2at6native12_GLOBAL__N_18offset_tEEE10hipError_tPvRmT1_PNSt15iterator_traitsISY_E10value_typeET2_T3_PNSZ_IS14_E10value_typeET4_jRbjT5_S1A_jjP12ihipStream_tbEUljE_EEESV_SW_SX_S14_S18_S1A_T6_T7_T9_mT8_S1C_bDpT10_ENKUlT_T0_E_clISt17integral_constantIbLb1EES1P_EEDaS1K_S1L_EUlS1K_E_NS1_11comp_targetILNS1_3genE10ELNS1_11target_archE1200ELNS1_3gpuE4ELNS1_3repE0EEENS1_30default_config_static_selectorELNS0_4arch9wavefront6targetE0EEEvSY_,@function
_ZN7rocprim17ROCPRIM_400000_NS6detail17trampoline_kernelINS0_13select_configILj256ELj13ELNS0_17block_load_methodE3ELS4_3ELS4_3ELNS0_20block_scan_algorithmE0ELj4294967295EEENS1_25partition_config_selectorILNS1_17partition_subalgoE3EjNS0_10empty_typeEbEEZZNS1_14partition_implILS8_3ELb0ES6_jNS0_17counting_iteratorIjlEEPS9_SE_NS0_5tupleIJPjSE_EEENSF_IJSE_SE_EEES9_SG_JZNS1_25segmented_radix_sort_implINS0_14default_configELb0EPKbPbPKlPlN2at6native12_GLOBAL__N_18offset_tEEE10hipError_tPvRmT1_PNSt15iterator_traitsISY_E10value_typeET2_T3_PNSZ_IS14_E10value_typeET4_jRbjT5_S1A_jjP12ihipStream_tbEUljE_EEESV_SW_SX_S14_S18_S1A_T6_T7_T9_mT8_S1C_bDpT10_ENKUlT_T0_E_clISt17integral_constantIbLb1EES1P_EEDaS1K_S1L_EUlS1K_E_NS1_11comp_targetILNS1_3genE10ELNS1_11target_archE1200ELNS1_3gpuE4ELNS1_3repE0EEENS1_30default_config_static_selectorELNS0_4arch9wavefront6targetE0EEEvSY_: ; @_ZN7rocprim17ROCPRIM_400000_NS6detail17trampoline_kernelINS0_13select_configILj256ELj13ELNS0_17block_load_methodE3ELS4_3ELS4_3ELNS0_20block_scan_algorithmE0ELj4294967295EEENS1_25partition_config_selectorILNS1_17partition_subalgoE3EjNS0_10empty_typeEbEEZZNS1_14partition_implILS8_3ELb0ES6_jNS0_17counting_iteratorIjlEEPS9_SE_NS0_5tupleIJPjSE_EEENSF_IJSE_SE_EEES9_SG_JZNS1_25segmented_radix_sort_implINS0_14default_configELb0EPKbPbPKlPlN2at6native12_GLOBAL__N_18offset_tEEE10hipError_tPvRmT1_PNSt15iterator_traitsISY_E10value_typeET2_T3_PNSZ_IS14_E10value_typeET4_jRbjT5_S1A_jjP12ihipStream_tbEUljE_EEESV_SW_SX_S14_S18_S1A_T6_T7_T9_mT8_S1C_bDpT10_ENKUlT_T0_E_clISt17integral_constantIbLb1EES1P_EEDaS1K_S1L_EUlS1K_E_NS1_11comp_targetILNS1_3genE10ELNS1_11target_archE1200ELNS1_3gpuE4ELNS1_3repE0EEENS1_30default_config_static_selectorELNS0_4arch9wavefront6targetE0EEEvSY_
; %bb.0:
	s_endpgm
	.section	.rodata,"a",@progbits
	.p2align	6, 0x0
	.amdhsa_kernel _ZN7rocprim17ROCPRIM_400000_NS6detail17trampoline_kernelINS0_13select_configILj256ELj13ELNS0_17block_load_methodE3ELS4_3ELS4_3ELNS0_20block_scan_algorithmE0ELj4294967295EEENS1_25partition_config_selectorILNS1_17partition_subalgoE3EjNS0_10empty_typeEbEEZZNS1_14partition_implILS8_3ELb0ES6_jNS0_17counting_iteratorIjlEEPS9_SE_NS0_5tupleIJPjSE_EEENSF_IJSE_SE_EEES9_SG_JZNS1_25segmented_radix_sort_implINS0_14default_configELb0EPKbPbPKlPlN2at6native12_GLOBAL__N_18offset_tEEE10hipError_tPvRmT1_PNSt15iterator_traitsISY_E10value_typeET2_T3_PNSZ_IS14_E10value_typeET4_jRbjT5_S1A_jjP12ihipStream_tbEUljE_EEESV_SW_SX_S14_S18_S1A_T6_T7_T9_mT8_S1C_bDpT10_ENKUlT_T0_E_clISt17integral_constantIbLb1EES1P_EEDaS1K_S1L_EUlS1K_E_NS1_11comp_targetILNS1_3genE10ELNS1_11target_archE1200ELNS1_3gpuE4ELNS1_3repE0EEENS1_30default_config_static_selectorELNS0_4arch9wavefront6targetE0EEEvSY_
		.amdhsa_group_segment_fixed_size 0
		.amdhsa_private_segment_fixed_size 0
		.amdhsa_kernarg_size 152
		.amdhsa_user_sgpr_count 2
		.amdhsa_user_sgpr_dispatch_ptr 0
		.amdhsa_user_sgpr_queue_ptr 0
		.amdhsa_user_sgpr_kernarg_segment_ptr 1
		.amdhsa_user_sgpr_dispatch_id 0
		.amdhsa_user_sgpr_private_segment_size 0
		.amdhsa_wavefront_size32 1
		.amdhsa_uses_dynamic_stack 0
		.amdhsa_enable_private_segment 0
		.amdhsa_system_sgpr_workgroup_id_x 1
		.amdhsa_system_sgpr_workgroup_id_y 0
		.amdhsa_system_sgpr_workgroup_id_z 0
		.amdhsa_system_sgpr_workgroup_info 0
		.amdhsa_system_vgpr_workitem_id 0
		.amdhsa_next_free_vgpr 1
		.amdhsa_next_free_sgpr 1
		.amdhsa_reserve_vcc 0
		.amdhsa_float_round_mode_32 0
		.amdhsa_float_round_mode_16_64 0
		.amdhsa_float_denorm_mode_32 3
		.amdhsa_float_denorm_mode_16_64 3
		.amdhsa_fp16_overflow 0
		.amdhsa_workgroup_processor_mode 1
		.amdhsa_memory_ordered 1
		.amdhsa_forward_progress 1
		.amdhsa_inst_pref_size 1
		.amdhsa_round_robin_scheduling 0
		.amdhsa_exception_fp_ieee_invalid_op 0
		.amdhsa_exception_fp_denorm_src 0
		.amdhsa_exception_fp_ieee_div_zero 0
		.amdhsa_exception_fp_ieee_overflow 0
		.amdhsa_exception_fp_ieee_underflow 0
		.amdhsa_exception_fp_ieee_inexact 0
		.amdhsa_exception_int_div_zero 0
	.end_amdhsa_kernel
	.section	.text._ZN7rocprim17ROCPRIM_400000_NS6detail17trampoline_kernelINS0_13select_configILj256ELj13ELNS0_17block_load_methodE3ELS4_3ELS4_3ELNS0_20block_scan_algorithmE0ELj4294967295EEENS1_25partition_config_selectorILNS1_17partition_subalgoE3EjNS0_10empty_typeEbEEZZNS1_14partition_implILS8_3ELb0ES6_jNS0_17counting_iteratorIjlEEPS9_SE_NS0_5tupleIJPjSE_EEENSF_IJSE_SE_EEES9_SG_JZNS1_25segmented_radix_sort_implINS0_14default_configELb0EPKbPbPKlPlN2at6native12_GLOBAL__N_18offset_tEEE10hipError_tPvRmT1_PNSt15iterator_traitsISY_E10value_typeET2_T3_PNSZ_IS14_E10value_typeET4_jRbjT5_S1A_jjP12ihipStream_tbEUljE_EEESV_SW_SX_S14_S18_S1A_T6_T7_T9_mT8_S1C_bDpT10_ENKUlT_T0_E_clISt17integral_constantIbLb1EES1P_EEDaS1K_S1L_EUlS1K_E_NS1_11comp_targetILNS1_3genE10ELNS1_11target_archE1200ELNS1_3gpuE4ELNS1_3repE0EEENS1_30default_config_static_selectorELNS0_4arch9wavefront6targetE0EEEvSY_,"axG",@progbits,_ZN7rocprim17ROCPRIM_400000_NS6detail17trampoline_kernelINS0_13select_configILj256ELj13ELNS0_17block_load_methodE3ELS4_3ELS4_3ELNS0_20block_scan_algorithmE0ELj4294967295EEENS1_25partition_config_selectorILNS1_17partition_subalgoE3EjNS0_10empty_typeEbEEZZNS1_14partition_implILS8_3ELb0ES6_jNS0_17counting_iteratorIjlEEPS9_SE_NS0_5tupleIJPjSE_EEENSF_IJSE_SE_EEES9_SG_JZNS1_25segmented_radix_sort_implINS0_14default_configELb0EPKbPbPKlPlN2at6native12_GLOBAL__N_18offset_tEEE10hipError_tPvRmT1_PNSt15iterator_traitsISY_E10value_typeET2_T3_PNSZ_IS14_E10value_typeET4_jRbjT5_S1A_jjP12ihipStream_tbEUljE_EEESV_SW_SX_S14_S18_S1A_T6_T7_T9_mT8_S1C_bDpT10_ENKUlT_T0_E_clISt17integral_constantIbLb1EES1P_EEDaS1K_S1L_EUlS1K_E_NS1_11comp_targetILNS1_3genE10ELNS1_11target_archE1200ELNS1_3gpuE4ELNS1_3repE0EEENS1_30default_config_static_selectorELNS0_4arch9wavefront6targetE0EEEvSY_,comdat
.Lfunc_end1616:
	.size	_ZN7rocprim17ROCPRIM_400000_NS6detail17trampoline_kernelINS0_13select_configILj256ELj13ELNS0_17block_load_methodE3ELS4_3ELS4_3ELNS0_20block_scan_algorithmE0ELj4294967295EEENS1_25partition_config_selectorILNS1_17partition_subalgoE3EjNS0_10empty_typeEbEEZZNS1_14partition_implILS8_3ELb0ES6_jNS0_17counting_iteratorIjlEEPS9_SE_NS0_5tupleIJPjSE_EEENSF_IJSE_SE_EEES9_SG_JZNS1_25segmented_radix_sort_implINS0_14default_configELb0EPKbPbPKlPlN2at6native12_GLOBAL__N_18offset_tEEE10hipError_tPvRmT1_PNSt15iterator_traitsISY_E10value_typeET2_T3_PNSZ_IS14_E10value_typeET4_jRbjT5_S1A_jjP12ihipStream_tbEUljE_EEESV_SW_SX_S14_S18_S1A_T6_T7_T9_mT8_S1C_bDpT10_ENKUlT_T0_E_clISt17integral_constantIbLb1EES1P_EEDaS1K_S1L_EUlS1K_E_NS1_11comp_targetILNS1_3genE10ELNS1_11target_archE1200ELNS1_3gpuE4ELNS1_3repE0EEENS1_30default_config_static_selectorELNS0_4arch9wavefront6targetE0EEEvSY_, .Lfunc_end1616-_ZN7rocprim17ROCPRIM_400000_NS6detail17trampoline_kernelINS0_13select_configILj256ELj13ELNS0_17block_load_methodE3ELS4_3ELS4_3ELNS0_20block_scan_algorithmE0ELj4294967295EEENS1_25partition_config_selectorILNS1_17partition_subalgoE3EjNS0_10empty_typeEbEEZZNS1_14partition_implILS8_3ELb0ES6_jNS0_17counting_iteratorIjlEEPS9_SE_NS0_5tupleIJPjSE_EEENSF_IJSE_SE_EEES9_SG_JZNS1_25segmented_radix_sort_implINS0_14default_configELb0EPKbPbPKlPlN2at6native12_GLOBAL__N_18offset_tEEE10hipError_tPvRmT1_PNSt15iterator_traitsISY_E10value_typeET2_T3_PNSZ_IS14_E10value_typeET4_jRbjT5_S1A_jjP12ihipStream_tbEUljE_EEESV_SW_SX_S14_S18_S1A_T6_T7_T9_mT8_S1C_bDpT10_ENKUlT_T0_E_clISt17integral_constantIbLb1EES1P_EEDaS1K_S1L_EUlS1K_E_NS1_11comp_targetILNS1_3genE10ELNS1_11target_archE1200ELNS1_3gpuE4ELNS1_3repE0EEENS1_30default_config_static_selectorELNS0_4arch9wavefront6targetE0EEEvSY_
                                        ; -- End function
	.set _ZN7rocprim17ROCPRIM_400000_NS6detail17trampoline_kernelINS0_13select_configILj256ELj13ELNS0_17block_load_methodE3ELS4_3ELS4_3ELNS0_20block_scan_algorithmE0ELj4294967295EEENS1_25partition_config_selectorILNS1_17partition_subalgoE3EjNS0_10empty_typeEbEEZZNS1_14partition_implILS8_3ELb0ES6_jNS0_17counting_iteratorIjlEEPS9_SE_NS0_5tupleIJPjSE_EEENSF_IJSE_SE_EEES9_SG_JZNS1_25segmented_radix_sort_implINS0_14default_configELb0EPKbPbPKlPlN2at6native12_GLOBAL__N_18offset_tEEE10hipError_tPvRmT1_PNSt15iterator_traitsISY_E10value_typeET2_T3_PNSZ_IS14_E10value_typeET4_jRbjT5_S1A_jjP12ihipStream_tbEUljE_EEESV_SW_SX_S14_S18_S1A_T6_T7_T9_mT8_S1C_bDpT10_ENKUlT_T0_E_clISt17integral_constantIbLb1EES1P_EEDaS1K_S1L_EUlS1K_E_NS1_11comp_targetILNS1_3genE10ELNS1_11target_archE1200ELNS1_3gpuE4ELNS1_3repE0EEENS1_30default_config_static_selectorELNS0_4arch9wavefront6targetE0EEEvSY_.num_vgpr, 0
	.set _ZN7rocprim17ROCPRIM_400000_NS6detail17trampoline_kernelINS0_13select_configILj256ELj13ELNS0_17block_load_methodE3ELS4_3ELS4_3ELNS0_20block_scan_algorithmE0ELj4294967295EEENS1_25partition_config_selectorILNS1_17partition_subalgoE3EjNS0_10empty_typeEbEEZZNS1_14partition_implILS8_3ELb0ES6_jNS0_17counting_iteratorIjlEEPS9_SE_NS0_5tupleIJPjSE_EEENSF_IJSE_SE_EEES9_SG_JZNS1_25segmented_radix_sort_implINS0_14default_configELb0EPKbPbPKlPlN2at6native12_GLOBAL__N_18offset_tEEE10hipError_tPvRmT1_PNSt15iterator_traitsISY_E10value_typeET2_T3_PNSZ_IS14_E10value_typeET4_jRbjT5_S1A_jjP12ihipStream_tbEUljE_EEESV_SW_SX_S14_S18_S1A_T6_T7_T9_mT8_S1C_bDpT10_ENKUlT_T0_E_clISt17integral_constantIbLb1EES1P_EEDaS1K_S1L_EUlS1K_E_NS1_11comp_targetILNS1_3genE10ELNS1_11target_archE1200ELNS1_3gpuE4ELNS1_3repE0EEENS1_30default_config_static_selectorELNS0_4arch9wavefront6targetE0EEEvSY_.num_agpr, 0
	.set _ZN7rocprim17ROCPRIM_400000_NS6detail17trampoline_kernelINS0_13select_configILj256ELj13ELNS0_17block_load_methodE3ELS4_3ELS4_3ELNS0_20block_scan_algorithmE0ELj4294967295EEENS1_25partition_config_selectorILNS1_17partition_subalgoE3EjNS0_10empty_typeEbEEZZNS1_14partition_implILS8_3ELb0ES6_jNS0_17counting_iteratorIjlEEPS9_SE_NS0_5tupleIJPjSE_EEENSF_IJSE_SE_EEES9_SG_JZNS1_25segmented_radix_sort_implINS0_14default_configELb0EPKbPbPKlPlN2at6native12_GLOBAL__N_18offset_tEEE10hipError_tPvRmT1_PNSt15iterator_traitsISY_E10value_typeET2_T3_PNSZ_IS14_E10value_typeET4_jRbjT5_S1A_jjP12ihipStream_tbEUljE_EEESV_SW_SX_S14_S18_S1A_T6_T7_T9_mT8_S1C_bDpT10_ENKUlT_T0_E_clISt17integral_constantIbLb1EES1P_EEDaS1K_S1L_EUlS1K_E_NS1_11comp_targetILNS1_3genE10ELNS1_11target_archE1200ELNS1_3gpuE4ELNS1_3repE0EEENS1_30default_config_static_selectorELNS0_4arch9wavefront6targetE0EEEvSY_.numbered_sgpr, 0
	.set _ZN7rocprim17ROCPRIM_400000_NS6detail17trampoline_kernelINS0_13select_configILj256ELj13ELNS0_17block_load_methodE3ELS4_3ELS4_3ELNS0_20block_scan_algorithmE0ELj4294967295EEENS1_25partition_config_selectorILNS1_17partition_subalgoE3EjNS0_10empty_typeEbEEZZNS1_14partition_implILS8_3ELb0ES6_jNS0_17counting_iteratorIjlEEPS9_SE_NS0_5tupleIJPjSE_EEENSF_IJSE_SE_EEES9_SG_JZNS1_25segmented_radix_sort_implINS0_14default_configELb0EPKbPbPKlPlN2at6native12_GLOBAL__N_18offset_tEEE10hipError_tPvRmT1_PNSt15iterator_traitsISY_E10value_typeET2_T3_PNSZ_IS14_E10value_typeET4_jRbjT5_S1A_jjP12ihipStream_tbEUljE_EEESV_SW_SX_S14_S18_S1A_T6_T7_T9_mT8_S1C_bDpT10_ENKUlT_T0_E_clISt17integral_constantIbLb1EES1P_EEDaS1K_S1L_EUlS1K_E_NS1_11comp_targetILNS1_3genE10ELNS1_11target_archE1200ELNS1_3gpuE4ELNS1_3repE0EEENS1_30default_config_static_selectorELNS0_4arch9wavefront6targetE0EEEvSY_.num_named_barrier, 0
	.set _ZN7rocprim17ROCPRIM_400000_NS6detail17trampoline_kernelINS0_13select_configILj256ELj13ELNS0_17block_load_methodE3ELS4_3ELS4_3ELNS0_20block_scan_algorithmE0ELj4294967295EEENS1_25partition_config_selectorILNS1_17partition_subalgoE3EjNS0_10empty_typeEbEEZZNS1_14partition_implILS8_3ELb0ES6_jNS0_17counting_iteratorIjlEEPS9_SE_NS0_5tupleIJPjSE_EEENSF_IJSE_SE_EEES9_SG_JZNS1_25segmented_radix_sort_implINS0_14default_configELb0EPKbPbPKlPlN2at6native12_GLOBAL__N_18offset_tEEE10hipError_tPvRmT1_PNSt15iterator_traitsISY_E10value_typeET2_T3_PNSZ_IS14_E10value_typeET4_jRbjT5_S1A_jjP12ihipStream_tbEUljE_EEESV_SW_SX_S14_S18_S1A_T6_T7_T9_mT8_S1C_bDpT10_ENKUlT_T0_E_clISt17integral_constantIbLb1EES1P_EEDaS1K_S1L_EUlS1K_E_NS1_11comp_targetILNS1_3genE10ELNS1_11target_archE1200ELNS1_3gpuE4ELNS1_3repE0EEENS1_30default_config_static_selectorELNS0_4arch9wavefront6targetE0EEEvSY_.private_seg_size, 0
	.set _ZN7rocprim17ROCPRIM_400000_NS6detail17trampoline_kernelINS0_13select_configILj256ELj13ELNS0_17block_load_methodE3ELS4_3ELS4_3ELNS0_20block_scan_algorithmE0ELj4294967295EEENS1_25partition_config_selectorILNS1_17partition_subalgoE3EjNS0_10empty_typeEbEEZZNS1_14partition_implILS8_3ELb0ES6_jNS0_17counting_iteratorIjlEEPS9_SE_NS0_5tupleIJPjSE_EEENSF_IJSE_SE_EEES9_SG_JZNS1_25segmented_radix_sort_implINS0_14default_configELb0EPKbPbPKlPlN2at6native12_GLOBAL__N_18offset_tEEE10hipError_tPvRmT1_PNSt15iterator_traitsISY_E10value_typeET2_T3_PNSZ_IS14_E10value_typeET4_jRbjT5_S1A_jjP12ihipStream_tbEUljE_EEESV_SW_SX_S14_S18_S1A_T6_T7_T9_mT8_S1C_bDpT10_ENKUlT_T0_E_clISt17integral_constantIbLb1EES1P_EEDaS1K_S1L_EUlS1K_E_NS1_11comp_targetILNS1_3genE10ELNS1_11target_archE1200ELNS1_3gpuE4ELNS1_3repE0EEENS1_30default_config_static_selectorELNS0_4arch9wavefront6targetE0EEEvSY_.uses_vcc, 0
	.set _ZN7rocprim17ROCPRIM_400000_NS6detail17trampoline_kernelINS0_13select_configILj256ELj13ELNS0_17block_load_methodE3ELS4_3ELS4_3ELNS0_20block_scan_algorithmE0ELj4294967295EEENS1_25partition_config_selectorILNS1_17partition_subalgoE3EjNS0_10empty_typeEbEEZZNS1_14partition_implILS8_3ELb0ES6_jNS0_17counting_iteratorIjlEEPS9_SE_NS0_5tupleIJPjSE_EEENSF_IJSE_SE_EEES9_SG_JZNS1_25segmented_radix_sort_implINS0_14default_configELb0EPKbPbPKlPlN2at6native12_GLOBAL__N_18offset_tEEE10hipError_tPvRmT1_PNSt15iterator_traitsISY_E10value_typeET2_T3_PNSZ_IS14_E10value_typeET4_jRbjT5_S1A_jjP12ihipStream_tbEUljE_EEESV_SW_SX_S14_S18_S1A_T6_T7_T9_mT8_S1C_bDpT10_ENKUlT_T0_E_clISt17integral_constantIbLb1EES1P_EEDaS1K_S1L_EUlS1K_E_NS1_11comp_targetILNS1_3genE10ELNS1_11target_archE1200ELNS1_3gpuE4ELNS1_3repE0EEENS1_30default_config_static_selectorELNS0_4arch9wavefront6targetE0EEEvSY_.uses_flat_scratch, 0
	.set _ZN7rocprim17ROCPRIM_400000_NS6detail17trampoline_kernelINS0_13select_configILj256ELj13ELNS0_17block_load_methodE3ELS4_3ELS4_3ELNS0_20block_scan_algorithmE0ELj4294967295EEENS1_25partition_config_selectorILNS1_17partition_subalgoE3EjNS0_10empty_typeEbEEZZNS1_14partition_implILS8_3ELb0ES6_jNS0_17counting_iteratorIjlEEPS9_SE_NS0_5tupleIJPjSE_EEENSF_IJSE_SE_EEES9_SG_JZNS1_25segmented_radix_sort_implINS0_14default_configELb0EPKbPbPKlPlN2at6native12_GLOBAL__N_18offset_tEEE10hipError_tPvRmT1_PNSt15iterator_traitsISY_E10value_typeET2_T3_PNSZ_IS14_E10value_typeET4_jRbjT5_S1A_jjP12ihipStream_tbEUljE_EEESV_SW_SX_S14_S18_S1A_T6_T7_T9_mT8_S1C_bDpT10_ENKUlT_T0_E_clISt17integral_constantIbLb1EES1P_EEDaS1K_S1L_EUlS1K_E_NS1_11comp_targetILNS1_3genE10ELNS1_11target_archE1200ELNS1_3gpuE4ELNS1_3repE0EEENS1_30default_config_static_selectorELNS0_4arch9wavefront6targetE0EEEvSY_.has_dyn_sized_stack, 0
	.set _ZN7rocprim17ROCPRIM_400000_NS6detail17trampoline_kernelINS0_13select_configILj256ELj13ELNS0_17block_load_methodE3ELS4_3ELS4_3ELNS0_20block_scan_algorithmE0ELj4294967295EEENS1_25partition_config_selectorILNS1_17partition_subalgoE3EjNS0_10empty_typeEbEEZZNS1_14partition_implILS8_3ELb0ES6_jNS0_17counting_iteratorIjlEEPS9_SE_NS0_5tupleIJPjSE_EEENSF_IJSE_SE_EEES9_SG_JZNS1_25segmented_radix_sort_implINS0_14default_configELb0EPKbPbPKlPlN2at6native12_GLOBAL__N_18offset_tEEE10hipError_tPvRmT1_PNSt15iterator_traitsISY_E10value_typeET2_T3_PNSZ_IS14_E10value_typeET4_jRbjT5_S1A_jjP12ihipStream_tbEUljE_EEESV_SW_SX_S14_S18_S1A_T6_T7_T9_mT8_S1C_bDpT10_ENKUlT_T0_E_clISt17integral_constantIbLb1EES1P_EEDaS1K_S1L_EUlS1K_E_NS1_11comp_targetILNS1_3genE10ELNS1_11target_archE1200ELNS1_3gpuE4ELNS1_3repE0EEENS1_30default_config_static_selectorELNS0_4arch9wavefront6targetE0EEEvSY_.has_recursion, 0
	.set _ZN7rocprim17ROCPRIM_400000_NS6detail17trampoline_kernelINS0_13select_configILj256ELj13ELNS0_17block_load_methodE3ELS4_3ELS4_3ELNS0_20block_scan_algorithmE0ELj4294967295EEENS1_25partition_config_selectorILNS1_17partition_subalgoE3EjNS0_10empty_typeEbEEZZNS1_14partition_implILS8_3ELb0ES6_jNS0_17counting_iteratorIjlEEPS9_SE_NS0_5tupleIJPjSE_EEENSF_IJSE_SE_EEES9_SG_JZNS1_25segmented_radix_sort_implINS0_14default_configELb0EPKbPbPKlPlN2at6native12_GLOBAL__N_18offset_tEEE10hipError_tPvRmT1_PNSt15iterator_traitsISY_E10value_typeET2_T3_PNSZ_IS14_E10value_typeET4_jRbjT5_S1A_jjP12ihipStream_tbEUljE_EEESV_SW_SX_S14_S18_S1A_T6_T7_T9_mT8_S1C_bDpT10_ENKUlT_T0_E_clISt17integral_constantIbLb1EES1P_EEDaS1K_S1L_EUlS1K_E_NS1_11comp_targetILNS1_3genE10ELNS1_11target_archE1200ELNS1_3gpuE4ELNS1_3repE0EEENS1_30default_config_static_selectorELNS0_4arch9wavefront6targetE0EEEvSY_.has_indirect_call, 0
	.section	.AMDGPU.csdata,"",@progbits
; Kernel info:
; codeLenInByte = 4
; TotalNumSgprs: 0
; NumVgprs: 0
; ScratchSize: 0
; MemoryBound: 0
; FloatMode: 240
; IeeeMode: 1
; LDSByteSize: 0 bytes/workgroup (compile time only)
; SGPRBlocks: 0
; VGPRBlocks: 0
; NumSGPRsForWavesPerEU: 1
; NumVGPRsForWavesPerEU: 1
; Occupancy: 16
; WaveLimiterHint : 0
; COMPUTE_PGM_RSRC2:SCRATCH_EN: 0
; COMPUTE_PGM_RSRC2:USER_SGPR: 2
; COMPUTE_PGM_RSRC2:TRAP_HANDLER: 0
; COMPUTE_PGM_RSRC2:TGID_X_EN: 1
; COMPUTE_PGM_RSRC2:TGID_Y_EN: 0
; COMPUTE_PGM_RSRC2:TGID_Z_EN: 0
; COMPUTE_PGM_RSRC2:TIDIG_COMP_CNT: 0
	.section	.text._ZN7rocprim17ROCPRIM_400000_NS6detail17trampoline_kernelINS0_13select_configILj256ELj13ELNS0_17block_load_methodE3ELS4_3ELS4_3ELNS0_20block_scan_algorithmE0ELj4294967295EEENS1_25partition_config_selectorILNS1_17partition_subalgoE3EjNS0_10empty_typeEbEEZZNS1_14partition_implILS8_3ELb0ES6_jNS0_17counting_iteratorIjlEEPS9_SE_NS0_5tupleIJPjSE_EEENSF_IJSE_SE_EEES9_SG_JZNS1_25segmented_radix_sort_implINS0_14default_configELb0EPKbPbPKlPlN2at6native12_GLOBAL__N_18offset_tEEE10hipError_tPvRmT1_PNSt15iterator_traitsISY_E10value_typeET2_T3_PNSZ_IS14_E10value_typeET4_jRbjT5_S1A_jjP12ihipStream_tbEUljE_EEESV_SW_SX_S14_S18_S1A_T6_T7_T9_mT8_S1C_bDpT10_ENKUlT_T0_E_clISt17integral_constantIbLb1EES1P_EEDaS1K_S1L_EUlS1K_E_NS1_11comp_targetILNS1_3genE9ELNS1_11target_archE1100ELNS1_3gpuE3ELNS1_3repE0EEENS1_30default_config_static_selectorELNS0_4arch9wavefront6targetE0EEEvSY_,"axG",@progbits,_ZN7rocprim17ROCPRIM_400000_NS6detail17trampoline_kernelINS0_13select_configILj256ELj13ELNS0_17block_load_methodE3ELS4_3ELS4_3ELNS0_20block_scan_algorithmE0ELj4294967295EEENS1_25partition_config_selectorILNS1_17partition_subalgoE3EjNS0_10empty_typeEbEEZZNS1_14partition_implILS8_3ELb0ES6_jNS0_17counting_iteratorIjlEEPS9_SE_NS0_5tupleIJPjSE_EEENSF_IJSE_SE_EEES9_SG_JZNS1_25segmented_radix_sort_implINS0_14default_configELb0EPKbPbPKlPlN2at6native12_GLOBAL__N_18offset_tEEE10hipError_tPvRmT1_PNSt15iterator_traitsISY_E10value_typeET2_T3_PNSZ_IS14_E10value_typeET4_jRbjT5_S1A_jjP12ihipStream_tbEUljE_EEESV_SW_SX_S14_S18_S1A_T6_T7_T9_mT8_S1C_bDpT10_ENKUlT_T0_E_clISt17integral_constantIbLb1EES1P_EEDaS1K_S1L_EUlS1K_E_NS1_11comp_targetILNS1_3genE9ELNS1_11target_archE1100ELNS1_3gpuE3ELNS1_3repE0EEENS1_30default_config_static_selectorELNS0_4arch9wavefront6targetE0EEEvSY_,comdat
	.globl	_ZN7rocprim17ROCPRIM_400000_NS6detail17trampoline_kernelINS0_13select_configILj256ELj13ELNS0_17block_load_methodE3ELS4_3ELS4_3ELNS0_20block_scan_algorithmE0ELj4294967295EEENS1_25partition_config_selectorILNS1_17partition_subalgoE3EjNS0_10empty_typeEbEEZZNS1_14partition_implILS8_3ELb0ES6_jNS0_17counting_iteratorIjlEEPS9_SE_NS0_5tupleIJPjSE_EEENSF_IJSE_SE_EEES9_SG_JZNS1_25segmented_radix_sort_implINS0_14default_configELb0EPKbPbPKlPlN2at6native12_GLOBAL__N_18offset_tEEE10hipError_tPvRmT1_PNSt15iterator_traitsISY_E10value_typeET2_T3_PNSZ_IS14_E10value_typeET4_jRbjT5_S1A_jjP12ihipStream_tbEUljE_EEESV_SW_SX_S14_S18_S1A_T6_T7_T9_mT8_S1C_bDpT10_ENKUlT_T0_E_clISt17integral_constantIbLb1EES1P_EEDaS1K_S1L_EUlS1K_E_NS1_11comp_targetILNS1_3genE9ELNS1_11target_archE1100ELNS1_3gpuE3ELNS1_3repE0EEENS1_30default_config_static_selectorELNS0_4arch9wavefront6targetE0EEEvSY_ ; -- Begin function _ZN7rocprim17ROCPRIM_400000_NS6detail17trampoline_kernelINS0_13select_configILj256ELj13ELNS0_17block_load_methodE3ELS4_3ELS4_3ELNS0_20block_scan_algorithmE0ELj4294967295EEENS1_25partition_config_selectorILNS1_17partition_subalgoE3EjNS0_10empty_typeEbEEZZNS1_14partition_implILS8_3ELb0ES6_jNS0_17counting_iteratorIjlEEPS9_SE_NS0_5tupleIJPjSE_EEENSF_IJSE_SE_EEES9_SG_JZNS1_25segmented_radix_sort_implINS0_14default_configELb0EPKbPbPKlPlN2at6native12_GLOBAL__N_18offset_tEEE10hipError_tPvRmT1_PNSt15iterator_traitsISY_E10value_typeET2_T3_PNSZ_IS14_E10value_typeET4_jRbjT5_S1A_jjP12ihipStream_tbEUljE_EEESV_SW_SX_S14_S18_S1A_T6_T7_T9_mT8_S1C_bDpT10_ENKUlT_T0_E_clISt17integral_constantIbLb1EES1P_EEDaS1K_S1L_EUlS1K_E_NS1_11comp_targetILNS1_3genE9ELNS1_11target_archE1100ELNS1_3gpuE3ELNS1_3repE0EEENS1_30default_config_static_selectorELNS0_4arch9wavefront6targetE0EEEvSY_
	.p2align	8
	.type	_ZN7rocprim17ROCPRIM_400000_NS6detail17trampoline_kernelINS0_13select_configILj256ELj13ELNS0_17block_load_methodE3ELS4_3ELS4_3ELNS0_20block_scan_algorithmE0ELj4294967295EEENS1_25partition_config_selectorILNS1_17partition_subalgoE3EjNS0_10empty_typeEbEEZZNS1_14partition_implILS8_3ELb0ES6_jNS0_17counting_iteratorIjlEEPS9_SE_NS0_5tupleIJPjSE_EEENSF_IJSE_SE_EEES9_SG_JZNS1_25segmented_radix_sort_implINS0_14default_configELb0EPKbPbPKlPlN2at6native12_GLOBAL__N_18offset_tEEE10hipError_tPvRmT1_PNSt15iterator_traitsISY_E10value_typeET2_T3_PNSZ_IS14_E10value_typeET4_jRbjT5_S1A_jjP12ihipStream_tbEUljE_EEESV_SW_SX_S14_S18_S1A_T6_T7_T9_mT8_S1C_bDpT10_ENKUlT_T0_E_clISt17integral_constantIbLb1EES1P_EEDaS1K_S1L_EUlS1K_E_NS1_11comp_targetILNS1_3genE9ELNS1_11target_archE1100ELNS1_3gpuE3ELNS1_3repE0EEENS1_30default_config_static_selectorELNS0_4arch9wavefront6targetE0EEEvSY_,@function
_ZN7rocprim17ROCPRIM_400000_NS6detail17trampoline_kernelINS0_13select_configILj256ELj13ELNS0_17block_load_methodE3ELS4_3ELS4_3ELNS0_20block_scan_algorithmE0ELj4294967295EEENS1_25partition_config_selectorILNS1_17partition_subalgoE3EjNS0_10empty_typeEbEEZZNS1_14partition_implILS8_3ELb0ES6_jNS0_17counting_iteratorIjlEEPS9_SE_NS0_5tupleIJPjSE_EEENSF_IJSE_SE_EEES9_SG_JZNS1_25segmented_radix_sort_implINS0_14default_configELb0EPKbPbPKlPlN2at6native12_GLOBAL__N_18offset_tEEE10hipError_tPvRmT1_PNSt15iterator_traitsISY_E10value_typeET2_T3_PNSZ_IS14_E10value_typeET4_jRbjT5_S1A_jjP12ihipStream_tbEUljE_EEESV_SW_SX_S14_S18_S1A_T6_T7_T9_mT8_S1C_bDpT10_ENKUlT_T0_E_clISt17integral_constantIbLb1EES1P_EEDaS1K_S1L_EUlS1K_E_NS1_11comp_targetILNS1_3genE9ELNS1_11target_archE1100ELNS1_3gpuE3ELNS1_3repE0EEENS1_30default_config_static_selectorELNS0_4arch9wavefront6targetE0EEEvSY_: ; @_ZN7rocprim17ROCPRIM_400000_NS6detail17trampoline_kernelINS0_13select_configILj256ELj13ELNS0_17block_load_methodE3ELS4_3ELS4_3ELNS0_20block_scan_algorithmE0ELj4294967295EEENS1_25partition_config_selectorILNS1_17partition_subalgoE3EjNS0_10empty_typeEbEEZZNS1_14partition_implILS8_3ELb0ES6_jNS0_17counting_iteratorIjlEEPS9_SE_NS0_5tupleIJPjSE_EEENSF_IJSE_SE_EEES9_SG_JZNS1_25segmented_radix_sort_implINS0_14default_configELb0EPKbPbPKlPlN2at6native12_GLOBAL__N_18offset_tEEE10hipError_tPvRmT1_PNSt15iterator_traitsISY_E10value_typeET2_T3_PNSZ_IS14_E10value_typeET4_jRbjT5_S1A_jjP12ihipStream_tbEUljE_EEESV_SW_SX_S14_S18_S1A_T6_T7_T9_mT8_S1C_bDpT10_ENKUlT_T0_E_clISt17integral_constantIbLb1EES1P_EEDaS1K_S1L_EUlS1K_E_NS1_11comp_targetILNS1_3genE9ELNS1_11target_archE1100ELNS1_3gpuE3ELNS1_3repE0EEENS1_30default_config_static_selectorELNS0_4arch9wavefront6targetE0EEEvSY_
; %bb.0:
	.section	.rodata,"a",@progbits
	.p2align	6, 0x0
	.amdhsa_kernel _ZN7rocprim17ROCPRIM_400000_NS6detail17trampoline_kernelINS0_13select_configILj256ELj13ELNS0_17block_load_methodE3ELS4_3ELS4_3ELNS0_20block_scan_algorithmE0ELj4294967295EEENS1_25partition_config_selectorILNS1_17partition_subalgoE3EjNS0_10empty_typeEbEEZZNS1_14partition_implILS8_3ELb0ES6_jNS0_17counting_iteratorIjlEEPS9_SE_NS0_5tupleIJPjSE_EEENSF_IJSE_SE_EEES9_SG_JZNS1_25segmented_radix_sort_implINS0_14default_configELb0EPKbPbPKlPlN2at6native12_GLOBAL__N_18offset_tEEE10hipError_tPvRmT1_PNSt15iterator_traitsISY_E10value_typeET2_T3_PNSZ_IS14_E10value_typeET4_jRbjT5_S1A_jjP12ihipStream_tbEUljE_EEESV_SW_SX_S14_S18_S1A_T6_T7_T9_mT8_S1C_bDpT10_ENKUlT_T0_E_clISt17integral_constantIbLb1EES1P_EEDaS1K_S1L_EUlS1K_E_NS1_11comp_targetILNS1_3genE9ELNS1_11target_archE1100ELNS1_3gpuE3ELNS1_3repE0EEENS1_30default_config_static_selectorELNS0_4arch9wavefront6targetE0EEEvSY_
		.amdhsa_group_segment_fixed_size 0
		.amdhsa_private_segment_fixed_size 0
		.amdhsa_kernarg_size 152
		.amdhsa_user_sgpr_count 2
		.amdhsa_user_sgpr_dispatch_ptr 0
		.amdhsa_user_sgpr_queue_ptr 0
		.amdhsa_user_sgpr_kernarg_segment_ptr 1
		.amdhsa_user_sgpr_dispatch_id 0
		.amdhsa_user_sgpr_private_segment_size 0
		.amdhsa_wavefront_size32 1
		.amdhsa_uses_dynamic_stack 0
		.amdhsa_enable_private_segment 0
		.amdhsa_system_sgpr_workgroup_id_x 1
		.amdhsa_system_sgpr_workgroup_id_y 0
		.amdhsa_system_sgpr_workgroup_id_z 0
		.amdhsa_system_sgpr_workgroup_info 0
		.amdhsa_system_vgpr_workitem_id 0
		.amdhsa_next_free_vgpr 1
		.amdhsa_next_free_sgpr 1
		.amdhsa_reserve_vcc 0
		.amdhsa_float_round_mode_32 0
		.amdhsa_float_round_mode_16_64 0
		.amdhsa_float_denorm_mode_32 3
		.amdhsa_float_denorm_mode_16_64 3
		.amdhsa_fp16_overflow 0
		.amdhsa_workgroup_processor_mode 1
		.amdhsa_memory_ordered 1
		.amdhsa_forward_progress 1
		.amdhsa_inst_pref_size 0
		.amdhsa_round_robin_scheduling 0
		.amdhsa_exception_fp_ieee_invalid_op 0
		.amdhsa_exception_fp_denorm_src 0
		.amdhsa_exception_fp_ieee_div_zero 0
		.amdhsa_exception_fp_ieee_overflow 0
		.amdhsa_exception_fp_ieee_underflow 0
		.amdhsa_exception_fp_ieee_inexact 0
		.amdhsa_exception_int_div_zero 0
	.end_amdhsa_kernel
	.section	.text._ZN7rocprim17ROCPRIM_400000_NS6detail17trampoline_kernelINS0_13select_configILj256ELj13ELNS0_17block_load_methodE3ELS4_3ELS4_3ELNS0_20block_scan_algorithmE0ELj4294967295EEENS1_25partition_config_selectorILNS1_17partition_subalgoE3EjNS0_10empty_typeEbEEZZNS1_14partition_implILS8_3ELb0ES6_jNS0_17counting_iteratorIjlEEPS9_SE_NS0_5tupleIJPjSE_EEENSF_IJSE_SE_EEES9_SG_JZNS1_25segmented_radix_sort_implINS0_14default_configELb0EPKbPbPKlPlN2at6native12_GLOBAL__N_18offset_tEEE10hipError_tPvRmT1_PNSt15iterator_traitsISY_E10value_typeET2_T3_PNSZ_IS14_E10value_typeET4_jRbjT5_S1A_jjP12ihipStream_tbEUljE_EEESV_SW_SX_S14_S18_S1A_T6_T7_T9_mT8_S1C_bDpT10_ENKUlT_T0_E_clISt17integral_constantIbLb1EES1P_EEDaS1K_S1L_EUlS1K_E_NS1_11comp_targetILNS1_3genE9ELNS1_11target_archE1100ELNS1_3gpuE3ELNS1_3repE0EEENS1_30default_config_static_selectorELNS0_4arch9wavefront6targetE0EEEvSY_,"axG",@progbits,_ZN7rocprim17ROCPRIM_400000_NS6detail17trampoline_kernelINS0_13select_configILj256ELj13ELNS0_17block_load_methodE3ELS4_3ELS4_3ELNS0_20block_scan_algorithmE0ELj4294967295EEENS1_25partition_config_selectorILNS1_17partition_subalgoE3EjNS0_10empty_typeEbEEZZNS1_14partition_implILS8_3ELb0ES6_jNS0_17counting_iteratorIjlEEPS9_SE_NS0_5tupleIJPjSE_EEENSF_IJSE_SE_EEES9_SG_JZNS1_25segmented_radix_sort_implINS0_14default_configELb0EPKbPbPKlPlN2at6native12_GLOBAL__N_18offset_tEEE10hipError_tPvRmT1_PNSt15iterator_traitsISY_E10value_typeET2_T3_PNSZ_IS14_E10value_typeET4_jRbjT5_S1A_jjP12ihipStream_tbEUljE_EEESV_SW_SX_S14_S18_S1A_T6_T7_T9_mT8_S1C_bDpT10_ENKUlT_T0_E_clISt17integral_constantIbLb1EES1P_EEDaS1K_S1L_EUlS1K_E_NS1_11comp_targetILNS1_3genE9ELNS1_11target_archE1100ELNS1_3gpuE3ELNS1_3repE0EEENS1_30default_config_static_selectorELNS0_4arch9wavefront6targetE0EEEvSY_,comdat
.Lfunc_end1617:
	.size	_ZN7rocprim17ROCPRIM_400000_NS6detail17trampoline_kernelINS0_13select_configILj256ELj13ELNS0_17block_load_methodE3ELS4_3ELS4_3ELNS0_20block_scan_algorithmE0ELj4294967295EEENS1_25partition_config_selectorILNS1_17partition_subalgoE3EjNS0_10empty_typeEbEEZZNS1_14partition_implILS8_3ELb0ES6_jNS0_17counting_iteratorIjlEEPS9_SE_NS0_5tupleIJPjSE_EEENSF_IJSE_SE_EEES9_SG_JZNS1_25segmented_radix_sort_implINS0_14default_configELb0EPKbPbPKlPlN2at6native12_GLOBAL__N_18offset_tEEE10hipError_tPvRmT1_PNSt15iterator_traitsISY_E10value_typeET2_T3_PNSZ_IS14_E10value_typeET4_jRbjT5_S1A_jjP12ihipStream_tbEUljE_EEESV_SW_SX_S14_S18_S1A_T6_T7_T9_mT8_S1C_bDpT10_ENKUlT_T0_E_clISt17integral_constantIbLb1EES1P_EEDaS1K_S1L_EUlS1K_E_NS1_11comp_targetILNS1_3genE9ELNS1_11target_archE1100ELNS1_3gpuE3ELNS1_3repE0EEENS1_30default_config_static_selectorELNS0_4arch9wavefront6targetE0EEEvSY_, .Lfunc_end1617-_ZN7rocprim17ROCPRIM_400000_NS6detail17trampoline_kernelINS0_13select_configILj256ELj13ELNS0_17block_load_methodE3ELS4_3ELS4_3ELNS0_20block_scan_algorithmE0ELj4294967295EEENS1_25partition_config_selectorILNS1_17partition_subalgoE3EjNS0_10empty_typeEbEEZZNS1_14partition_implILS8_3ELb0ES6_jNS0_17counting_iteratorIjlEEPS9_SE_NS0_5tupleIJPjSE_EEENSF_IJSE_SE_EEES9_SG_JZNS1_25segmented_radix_sort_implINS0_14default_configELb0EPKbPbPKlPlN2at6native12_GLOBAL__N_18offset_tEEE10hipError_tPvRmT1_PNSt15iterator_traitsISY_E10value_typeET2_T3_PNSZ_IS14_E10value_typeET4_jRbjT5_S1A_jjP12ihipStream_tbEUljE_EEESV_SW_SX_S14_S18_S1A_T6_T7_T9_mT8_S1C_bDpT10_ENKUlT_T0_E_clISt17integral_constantIbLb1EES1P_EEDaS1K_S1L_EUlS1K_E_NS1_11comp_targetILNS1_3genE9ELNS1_11target_archE1100ELNS1_3gpuE3ELNS1_3repE0EEENS1_30default_config_static_selectorELNS0_4arch9wavefront6targetE0EEEvSY_
                                        ; -- End function
	.set _ZN7rocprim17ROCPRIM_400000_NS6detail17trampoline_kernelINS0_13select_configILj256ELj13ELNS0_17block_load_methodE3ELS4_3ELS4_3ELNS0_20block_scan_algorithmE0ELj4294967295EEENS1_25partition_config_selectorILNS1_17partition_subalgoE3EjNS0_10empty_typeEbEEZZNS1_14partition_implILS8_3ELb0ES6_jNS0_17counting_iteratorIjlEEPS9_SE_NS0_5tupleIJPjSE_EEENSF_IJSE_SE_EEES9_SG_JZNS1_25segmented_radix_sort_implINS0_14default_configELb0EPKbPbPKlPlN2at6native12_GLOBAL__N_18offset_tEEE10hipError_tPvRmT1_PNSt15iterator_traitsISY_E10value_typeET2_T3_PNSZ_IS14_E10value_typeET4_jRbjT5_S1A_jjP12ihipStream_tbEUljE_EEESV_SW_SX_S14_S18_S1A_T6_T7_T9_mT8_S1C_bDpT10_ENKUlT_T0_E_clISt17integral_constantIbLb1EES1P_EEDaS1K_S1L_EUlS1K_E_NS1_11comp_targetILNS1_3genE9ELNS1_11target_archE1100ELNS1_3gpuE3ELNS1_3repE0EEENS1_30default_config_static_selectorELNS0_4arch9wavefront6targetE0EEEvSY_.num_vgpr, 0
	.set _ZN7rocprim17ROCPRIM_400000_NS6detail17trampoline_kernelINS0_13select_configILj256ELj13ELNS0_17block_load_methodE3ELS4_3ELS4_3ELNS0_20block_scan_algorithmE0ELj4294967295EEENS1_25partition_config_selectorILNS1_17partition_subalgoE3EjNS0_10empty_typeEbEEZZNS1_14partition_implILS8_3ELb0ES6_jNS0_17counting_iteratorIjlEEPS9_SE_NS0_5tupleIJPjSE_EEENSF_IJSE_SE_EEES9_SG_JZNS1_25segmented_radix_sort_implINS0_14default_configELb0EPKbPbPKlPlN2at6native12_GLOBAL__N_18offset_tEEE10hipError_tPvRmT1_PNSt15iterator_traitsISY_E10value_typeET2_T3_PNSZ_IS14_E10value_typeET4_jRbjT5_S1A_jjP12ihipStream_tbEUljE_EEESV_SW_SX_S14_S18_S1A_T6_T7_T9_mT8_S1C_bDpT10_ENKUlT_T0_E_clISt17integral_constantIbLb1EES1P_EEDaS1K_S1L_EUlS1K_E_NS1_11comp_targetILNS1_3genE9ELNS1_11target_archE1100ELNS1_3gpuE3ELNS1_3repE0EEENS1_30default_config_static_selectorELNS0_4arch9wavefront6targetE0EEEvSY_.num_agpr, 0
	.set _ZN7rocprim17ROCPRIM_400000_NS6detail17trampoline_kernelINS0_13select_configILj256ELj13ELNS0_17block_load_methodE3ELS4_3ELS4_3ELNS0_20block_scan_algorithmE0ELj4294967295EEENS1_25partition_config_selectorILNS1_17partition_subalgoE3EjNS0_10empty_typeEbEEZZNS1_14partition_implILS8_3ELb0ES6_jNS0_17counting_iteratorIjlEEPS9_SE_NS0_5tupleIJPjSE_EEENSF_IJSE_SE_EEES9_SG_JZNS1_25segmented_radix_sort_implINS0_14default_configELb0EPKbPbPKlPlN2at6native12_GLOBAL__N_18offset_tEEE10hipError_tPvRmT1_PNSt15iterator_traitsISY_E10value_typeET2_T3_PNSZ_IS14_E10value_typeET4_jRbjT5_S1A_jjP12ihipStream_tbEUljE_EEESV_SW_SX_S14_S18_S1A_T6_T7_T9_mT8_S1C_bDpT10_ENKUlT_T0_E_clISt17integral_constantIbLb1EES1P_EEDaS1K_S1L_EUlS1K_E_NS1_11comp_targetILNS1_3genE9ELNS1_11target_archE1100ELNS1_3gpuE3ELNS1_3repE0EEENS1_30default_config_static_selectorELNS0_4arch9wavefront6targetE0EEEvSY_.numbered_sgpr, 0
	.set _ZN7rocprim17ROCPRIM_400000_NS6detail17trampoline_kernelINS0_13select_configILj256ELj13ELNS0_17block_load_methodE3ELS4_3ELS4_3ELNS0_20block_scan_algorithmE0ELj4294967295EEENS1_25partition_config_selectorILNS1_17partition_subalgoE3EjNS0_10empty_typeEbEEZZNS1_14partition_implILS8_3ELb0ES6_jNS0_17counting_iteratorIjlEEPS9_SE_NS0_5tupleIJPjSE_EEENSF_IJSE_SE_EEES9_SG_JZNS1_25segmented_radix_sort_implINS0_14default_configELb0EPKbPbPKlPlN2at6native12_GLOBAL__N_18offset_tEEE10hipError_tPvRmT1_PNSt15iterator_traitsISY_E10value_typeET2_T3_PNSZ_IS14_E10value_typeET4_jRbjT5_S1A_jjP12ihipStream_tbEUljE_EEESV_SW_SX_S14_S18_S1A_T6_T7_T9_mT8_S1C_bDpT10_ENKUlT_T0_E_clISt17integral_constantIbLb1EES1P_EEDaS1K_S1L_EUlS1K_E_NS1_11comp_targetILNS1_3genE9ELNS1_11target_archE1100ELNS1_3gpuE3ELNS1_3repE0EEENS1_30default_config_static_selectorELNS0_4arch9wavefront6targetE0EEEvSY_.num_named_barrier, 0
	.set _ZN7rocprim17ROCPRIM_400000_NS6detail17trampoline_kernelINS0_13select_configILj256ELj13ELNS0_17block_load_methodE3ELS4_3ELS4_3ELNS0_20block_scan_algorithmE0ELj4294967295EEENS1_25partition_config_selectorILNS1_17partition_subalgoE3EjNS0_10empty_typeEbEEZZNS1_14partition_implILS8_3ELb0ES6_jNS0_17counting_iteratorIjlEEPS9_SE_NS0_5tupleIJPjSE_EEENSF_IJSE_SE_EEES9_SG_JZNS1_25segmented_radix_sort_implINS0_14default_configELb0EPKbPbPKlPlN2at6native12_GLOBAL__N_18offset_tEEE10hipError_tPvRmT1_PNSt15iterator_traitsISY_E10value_typeET2_T3_PNSZ_IS14_E10value_typeET4_jRbjT5_S1A_jjP12ihipStream_tbEUljE_EEESV_SW_SX_S14_S18_S1A_T6_T7_T9_mT8_S1C_bDpT10_ENKUlT_T0_E_clISt17integral_constantIbLb1EES1P_EEDaS1K_S1L_EUlS1K_E_NS1_11comp_targetILNS1_3genE9ELNS1_11target_archE1100ELNS1_3gpuE3ELNS1_3repE0EEENS1_30default_config_static_selectorELNS0_4arch9wavefront6targetE0EEEvSY_.private_seg_size, 0
	.set _ZN7rocprim17ROCPRIM_400000_NS6detail17trampoline_kernelINS0_13select_configILj256ELj13ELNS0_17block_load_methodE3ELS4_3ELS4_3ELNS0_20block_scan_algorithmE0ELj4294967295EEENS1_25partition_config_selectorILNS1_17partition_subalgoE3EjNS0_10empty_typeEbEEZZNS1_14partition_implILS8_3ELb0ES6_jNS0_17counting_iteratorIjlEEPS9_SE_NS0_5tupleIJPjSE_EEENSF_IJSE_SE_EEES9_SG_JZNS1_25segmented_radix_sort_implINS0_14default_configELb0EPKbPbPKlPlN2at6native12_GLOBAL__N_18offset_tEEE10hipError_tPvRmT1_PNSt15iterator_traitsISY_E10value_typeET2_T3_PNSZ_IS14_E10value_typeET4_jRbjT5_S1A_jjP12ihipStream_tbEUljE_EEESV_SW_SX_S14_S18_S1A_T6_T7_T9_mT8_S1C_bDpT10_ENKUlT_T0_E_clISt17integral_constantIbLb1EES1P_EEDaS1K_S1L_EUlS1K_E_NS1_11comp_targetILNS1_3genE9ELNS1_11target_archE1100ELNS1_3gpuE3ELNS1_3repE0EEENS1_30default_config_static_selectorELNS0_4arch9wavefront6targetE0EEEvSY_.uses_vcc, 0
	.set _ZN7rocprim17ROCPRIM_400000_NS6detail17trampoline_kernelINS0_13select_configILj256ELj13ELNS0_17block_load_methodE3ELS4_3ELS4_3ELNS0_20block_scan_algorithmE0ELj4294967295EEENS1_25partition_config_selectorILNS1_17partition_subalgoE3EjNS0_10empty_typeEbEEZZNS1_14partition_implILS8_3ELb0ES6_jNS0_17counting_iteratorIjlEEPS9_SE_NS0_5tupleIJPjSE_EEENSF_IJSE_SE_EEES9_SG_JZNS1_25segmented_radix_sort_implINS0_14default_configELb0EPKbPbPKlPlN2at6native12_GLOBAL__N_18offset_tEEE10hipError_tPvRmT1_PNSt15iterator_traitsISY_E10value_typeET2_T3_PNSZ_IS14_E10value_typeET4_jRbjT5_S1A_jjP12ihipStream_tbEUljE_EEESV_SW_SX_S14_S18_S1A_T6_T7_T9_mT8_S1C_bDpT10_ENKUlT_T0_E_clISt17integral_constantIbLb1EES1P_EEDaS1K_S1L_EUlS1K_E_NS1_11comp_targetILNS1_3genE9ELNS1_11target_archE1100ELNS1_3gpuE3ELNS1_3repE0EEENS1_30default_config_static_selectorELNS0_4arch9wavefront6targetE0EEEvSY_.uses_flat_scratch, 0
	.set _ZN7rocprim17ROCPRIM_400000_NS6detail17trampoline_kernelINS0_13select_configILj256ELj13ELNS0_17block_load_methodE3ELS4_3ELS4_3ELNS0_20block_scan_algorithmE0ELj4294967295EEENS1_25partition_config_selectorILNS1_17partition_subalgoE3EjNS0_10empty_typeEbEEZZNS1_14partition_implILS8_3ELb0ES6_jNS0_17counting_iteratorIjlEEPS9_SE_NS0_5tupleIJPjSE_EEENSF_IJSE_SE_EEES9_SG_JZNS1_25segmented_radix_sort_implINS0_14default_configELb0EPKbPbPKlPlN2at6native12_GLOBAL__N_18offset_tEEE10hipError_tPvRmT1_PNSt15iterator_traitsISY_E10value_typeET2_T3_PNSZ_IS14_E10value_typeET4_jRbjT5_S1A_jjP12ihipStream_tbEUljE_EEESV_SW_SX_S14_S18_S1A_T6_T7_T9_mT8_S1C_bDpT10_ENKUlT_T0_E_clISt17integral_constantIbLb1EES1P_EEDaS1K_S1L_EUlS1K_E_NS1_11comp_targetILNS1_3genE9ELNS1_11target_archE1100ELNS1_3gpuE3ELNS1_3repE0EEENS1_30default_config_static_selectorELNS0_4arch9wavefront6targetE0EEEvSY_.has_dyn_sized_stack, 0
	.set _ZN7rocprim17ROCPRIM_400000_NS6detail17trampoline_kernelINS0_13select_configILj256ELj13ELNS0_17block_load_methodE3ELS4_3ELS4_3ELNS0_20block_scan_algorithmE0ELj4294967295EEENS1_25partition_config_selectorILNS1_17partition_subalgoE3EjNS0_10empty_typeEbEEZZNS1_14partition_implILS8_3ELb0ES6_jNS0_17counting_iteratorIjlEEPS9_SE_NS0_5tupleIJPjSE_EEENSF_IJSE_SE_EEES9_SG_JZNS1_25segmented_radix_sort_implINS0_14default_configELb0EPKbPbPKlPlN2at6native12_GLOBAL__N_18offset_tEEE10hipError_tPvRmT1_PNSt15iterator_traitsISY_E10value_typeET2_T3_PNSZ_IS14_E10value_typeET4_jRbjT5_S1A_jjP12ihipStream_tbEUljE_EEESV_SW_SX_S14_S18_S1A_T6_T7_T9_mT8_S1C_bDpT10_ENKUlT_T0_E_clISt17integral_constantIbLb1EES1P_EEDaS1K_S1L_EUlS1K_E_NS1_11comp_targetILNS1_3genE9ELNS1_11target_archE1100ELNS1_3gpuE3ELNS1_3repE0EEENS1_30default_config_static_selectorELNS0_4arch9wavefront6targetE0EEEvSY_.has_recursion, 0
	.set _ZN7rocprim17ROCPRIM_400000_NS6detail17trampoline_kernelINS0_13select_configILj256ELj13ELNS0_17block_load_methodE3ELS4_3ELS4_3ELNS0_20block_scan_algorithmE0ELj4294967295EEENS1_25partition_config_selectorILNS1_17partition_subalgoE3EjNS0_10empty_typeEbEEZZNS1_14partition_implILS8_3ELb0ES6_jNS0_17counting_iteratorIjlEEPS9_SE_NS0_5tupleIJPjSE_EEENSF_IJSE_SE_EEES9_SG_JZNS1_25segmented_radix_sort_implINS0_14default_configELb0EPKbPbPKlPlN2at6native12_GLOBAL__N_18offset_tEEE10hipError_tPvRmT1_PNSt15iterator_traitsISY_E10value_typeET2_T3_PNSZ_IS14_E10value_typeET4_jRbjT5_S1A_jjP12ihipStream_tbEUljE_EEESV_SW_SX_S14_S18_S1A_T6_T7_T9_mT8_S1C_bDpT10_ENKUlT_T0_E_clISt17integral_constantIbLb1EES1P_EEDaS1K_S1L_EUlS1K_E_NS1_11comp_targetILNS1_3genE9ELNS1_11target_archE1100ELNS1_3gpuE3ELNS1_3repE0EEENS1_30default_config_static_selectorELNS0_4arch9wavefront6targetE0EEEvSY_.has_indirect_call, 0
	.section	.AMDGPU.csdata,"",@progbits
; Kernel info:
; codeLenInByte = 0
; TotalNumSgprs: 0
; NumVgprs: 0
; ScratchSize: 0
; MemoryBound: 0
; FloatMode: 240
; IeeeMode: 1
; LDSByteSize: 0 bytes/workgroup (compile time only)
; SGPRBlocks: 0
; VGPRBlocks: 0
; NumSGPRsForWavesPerEU: 1
; NumVGPRsForWavesPerEU: 1
; Occupancy: 16
; WaveLimiterHint : 0
; COMPUTE_PGM_RSRC2:SCRATCH_EN: 0
; COMPUTE_PGM_RSRC2:USER_SGPR: 2
; COMPUTE_PGM_RSRC2:TRAP_HANDLER: 0
; COMPUTE_PGM_RSRC2:TGID_X_EN: 1
; COMPUTE_PGM_RSRC2:TGID_Y_EN: 0
; COMPUTE_PGM_RSRC2:TGID_Z_EN: 0
; COMPUTE_PGM_RSRC2:TIDIG_COMP_CNT: 0
	.section	.text._ZN7rocprim17ROCPRIM_400000_NS6detail17trampoline_kernelINS0_13select_configILj256ELj13ELNS0_17block_load_methodE3ELS4_3ELS4_3ELNS0_20block_scan_algorithmE0ELj4294967295EEENS1_25partition_config_selectorILNS1_17partition_subalgoE3EjNS0_10empty_typeEbEEZZNS1_14partition_implILS8_3ELb0ES6_jNS0_17counting_iteratorIjlEEPS9_SE_NS0_5tupleIJPjSE_EEENSF_IJSE_SE_EEES9_SG_JZNS1_25segmented_radix_sort_implINS0_14default_configELb0EPKbPbPKlPlN2at6native12_GLOBAL__N_18offset_tEEE10hipError_tPvRmT1_PNSt15iterator_traitsISY_E10value_typeET2_T3_PNSZ_IS14_E10value_typeET4_jRbjT5_S1A_jjP12ihipStream_tbEUljE_EEESV_SW_SX_S14_S18_S1A_T6_T7_T9_mT8_S1C_bDpT10_ENKUlT_T0_E_clISt17integral_constantIbLb1EES1P_EEDaS1K_S1L_EUlS1K_E_NS1_11comp_targetILNS1_3genE8ELNS1_11target_archE1030ELNS1_3gpuE2ELNS1_3repE0EEENS1_30default_config_static_selectorELNS0_4arch9wavefront6targetE0EEEvSY_,"axG",@progbits,_ZN7rocprim17ROCPRIM_400000_NS6detail17trampoline_kernelINS0_13select_configILj256ELj13ELNS0_17block_load_methodE3ELS4_3ELS4_3ELNS0_20block_scan_algorithmE0ELj4294967295EEENS1_25partition_config_selectorILNS1_17partition_subalgoE3EjNS0_10empty_typeEbEEZZNS1_14partition_implILS8_3ELb0ES6_jNS0_17counting_iteratorIjlEEPS9_SE_NS0_5tupleIJPjSE_EEENSF_IJSE_SE_EEES9_SG_JZNS1_25segmented_radix_sort_implINS0_14default_configELb0EPKbPbPKlPlN2at6native12_GLOBAL__N_18offset_tEEE10hipError_tPvRmT1_PNSt15iterator_traitsISY_E10value_typeET2_T3_PNSZ_IS14_E10value_typeET4_jRbjT5_S1A_jjP12ihipStream_tbEUljE_EEESV_SW_SX_S14_S18_S1A_T6_T7_T9_mT8_S1C_bDpT10_ENKUlT_T0_E_clISt17integral_constantIbLb1EES1P_EEDaS1K_S1L_EUlS1K_E_NS1_11comp_targetILNS1_3genE8ELNS1_11target_archE1030ELNS1_3gpuE2ELNS1_3repE0EEENS1_30default_config_static_selectorELNS0_4arch9wavefront6targetE0EEEvSY_,comdat
	.globl	_ZN7rocprim17ROCPRIM_400000_NS6detail17trampoline_kernelINS0_13select_configILj256ELj13ELNS0_17block_load_methodE3ELS4_3ELS4_3ELNS0_20block_scan_algorithmE0ELj4294967295EEENS1_25partition_config_selectorILNS1_17partition_subalgoE3EjNS0_10empty_typeEbEEZZNS1_14partition_implILS8_3ELb0ES6_jNS0_17counting_iteratorIjlEEPS9_SE_NS0_5tupleIJPjSE_EEENSF_IJSE_SE_EEES9_SG_JZNS1_25segmented_radix_sort_implINS0_14default_configELb0EPKbPbPKlPlN2at6native12_GLOBAL__N_18offset_tEEE10hipError_tPvRmT1_PNSt15iterator_traitsISY_E10value_typeET2_T3_PNSZ_IS14_E10value_typeET4_jRbjT5_S1A_jjP12ihipStream_tbEUljE_EEESV_SW_SX_S14_S18_S1A_T6_T7_T9_mT8_S1C_bDpT10_ENKUlT_T0_E_clISt17integral_constantIbLb1EES1P_EEDaS1K_S1L_EUlS1K_E_NS1_11comp_targetILNS1_3genE8ELNS1_11target_archE1030ELNS1_3gpuE2ELNS1_3repE0EEENS1_30default_config_static_selectorELNS0_4arch9wavefront6targetE0EEEvSY_ ; -- Begin function _ZN7rocprim17ROCPRIM_400000_NS6detail17trampoline_kernelINS0_13select_configILj256ELj13ELNS0_17block_load_methodE3ELS4_3ELS4_3ELNS0_20block_scan_algorithmE0ELj4294967295EEENS1_25partition_config_selectorILNS1_17partition_subalgoE3EjNS0_10empty_typeEbEEZZNS1_14partition_implILS8_3ELb0ES6_jNS0_17counting_iteratorIjlEEPS9_SE_NS0_5tupleIJPjSE_EEENSF_IJSE_SE_EEES9_SG_JZNS1_25segmented_radix_sort_implINS0_14default_configELb0EPKbPbPKlPlN2at6native12_GLOBAL__N_18offset_tEEE10hipError_tPvRmT1_PNSt15iterator_traitsISY_E10value_typeET2_T3_PNSZ_IS14_E10value_typeET4_jRbjT5_S1A_jjP12ihipStream_tbEUljE_EEESV_SW_SX_S14_S18_S1A_T6_T7_T9_mT8_S1C_bDpT10_ENKUlT_T0_E_clISt17integral_constantIbLb1EES1P_EEDaS1K_S1L_EUlS1K_E_NS1_11comp_targetILNS1_3genE8ELNS1_11target_archE1030ELNS1_3gpuE2ELNS1_3repE0EEENS1_30default_config_static_selectorELNS0_4arch9wavefront6targetE0EEEvSY_
	.p2align	8
	.type	_ZN7rocprim17ROCPRIM_400000_NS6detail17trampoline_kernelINS0_13select_configILj256ELj13ELNS0_17block_load_methodE3ELS4_3ELS4_3ELNS0_20block_scan_algorithmE0ELj4294967295EEENS1_25partition_config_selectorILNS1_17partition_subalgoE3EjNS0_10empty_typeEbEEZZNS1_14partition_implILS8_3ELb0ES6_jNS0_17counting_iteratorIjlEEPS9_SE_NS0_5tupleIJPjSE_EEENSF_IJSE_SE_EEES9_SG_JZNS1_25segmented_radix_sort_implINS0_14default_configELb0EPKbPbPKlPlN2at6native12_GLOBAL__N_18offset_tEEE10hipError_tPvRmT1_PNSt15iterator_traitsISY_E10value_typeET2_T3_PNSZ_IS14_E10value_typeET4_jRbjT5_S1A_jjP12ihipStream_tbEUljE_EEESV_SW_SX_S14_S18_S1A_T6_T7_T9_mT8_S1C_bDpT10_ENKUlT_T0_E_clISt17integral_constantIbLb1EES1P_EEDaS1K_S1L_EUlS1K_E_NS1_11comp_targetILNS1_3genE8ELNS1_11target_archE1030ELNS1_3gpuE2ELNS1_3repE0EEENS1_30default_config_static_selectorELNS0_4arch9wavefront6targetE0EEEvSY_,@function
_ZN7rocprim17ROCPRIM_400000_NS6detail17trampoline_kernelINS0_13select_configILj256ELj13ELNS0_17block_load_methodE3ELS4_3ELS4_3ELNS0_20block_scan_algorithmE0ELj4294967295EEENS1_25partition_config_selectorILNS1_17partition_subalgoE3EjNS0_10empty_typeEbEEZZNS1_14partition_implILS8_3ELb0ES6_jNS0_17counting_iteratorIjlEEPS9_SE_NS0_5tupleIJPjSE_EEENSF_IJSE_SE_EEES9_SG_JZNS1_25segmented_radix_sort_implINS0_14default_configELb0EPKbPbPKlPlN2at6native12_GLOBAL__N_18offset_tEEE10hipError_tPvRmT1_PNSt15iterator_traitsISY_E10value_typeET2_T3_PNSZ_IS14_E10value_typeET4_jRbjT5_S1A_jjP12ihipStream_tbEUljE_EEESV_SW_SX_S14_S18_S1A_T6_T7_T9_mT8_S1C_bDpT10_ENKUlT_T0_E_clISt17integral_constantIbLb1EES1P_EEDaS1K_S1L_EUlS1K_E_NS1_11comp_targetILNS1_3genE8ELNS1_11target_archE1030ELNS1_3gpuE2ELNS1_3repE0EEENS1_30default_config_static_selectorELNS0_4arch9wavefront6targetE0EEEvSY_: ; @_ZN7rocprim17ROCPRIM_400000_NS6detail17trampoline_kernelINS0_13select_configILj256ELj13ELNS0_17block_load_methodE3ELS4_3ELS4_3ELNS0_20block_scan_algorithmE0ELj4294967295EEENS1_25partition_config_selectorILNS1_17partition_subalgoE3EjNS0_10empty_typeEbEEZZNS1_14partition_implILS8_3ELb0ES6_jNS0_17counting_iteratorIjlEEPS9_SE_NS0_5tupleIJPjSE_EEENSF_IJSE_SE_EEES9_SG_JZNS1_25segmented_radix_sort_implINS0_14default_configELb0EPKbPbPKlPlN2at6native12_GLOBAL__N_18offset_tEEE10hipError_tPvRmT1_PNSt15iterator_traitsISY_E10value_typeET2_T3_PNSZ_IS14_E10value_typeET4_jRbjT5_S1A_jjP12ihipStream_tbEUljE_EEESV_SW_SX_S14_S18_S1A_T6_T7_T9_mT8_S1C_bDpT10_ENKUlT_T0_E_clISt17integral_constantIbLb1EES1P_EEDaS1K_S1L_EUlS1K_E_NS1_11comp_targetILNS1_3genE8ELNS1_11target_archE1030ELNS1_3gpuE2ELNS1_3repE0EEENS1_30default_config_static_selectorELNS0_4arch9wavefront6targetE0EEEvSY_
; %bb.0:
	.section	.rodata,"a",@progbits
	.p2align	6, 0x0
	.amdhsa_kernel _ZN7rocprim17ROCPRIM_400000_NS6detail17trampoline_kernelINS0_13select_configILj256ELj13ELNS0_17block_load_methodE3ELS4_3ELS4_3ELNS0_20block_scan_algorithmE0ELj4294967295EEENS1_25partition_config_selectorILNS1_17partition_subalgoE3EjNS0_10empty_typeEbEEZZNS1_14partition_implILS8_3ELb0ES6_jNS0_17counting_iteratorIjlEEPS9_SE_NS0_5tupleIJPjSE_EEENSF_IJSE_SE_EEES9_SG_JZNS1_25segmented_radix_sort_implINS0_14default_configELb0EPKbPbPKlPlN2at6native12_GLOBAL__N_18offset_tEEE10hipError_tPvRmT1_PNSt15iterator_traitsISY_E10value_typeET2_T3_PNSZ_IS14_E10value_typeET4_jRbjT5_S1A_jjP12ihipStream_tbEUljE_EEESV_SW_SX_S14_S18_S1A_T6_T7_T9_mT8_S1C_bDpT10_ENKUlT_T0_E_clISt17integral_constantIbLb1EES1P_EEDaS1K_S1L_EUlS1K_E_NS1_11comp_targetILNS1_3genE8ELNS1_11target_archE1030ELNS1_3gpuE2ELNS1_3repE0EEENS1_30default_config_static_selectorELNS0_4arch9wavefront6targetE0EEEvSY_
		.amdhsa_group_segment_fixed_size 0
		.amdhsa_private_segment_fixed_size 0
		.amdhsa_kernarg_size 152
		.amdhsa_user_sgpr_count 2
		.amdhsa_user_sgpr_dispatch_ptr 0
		.amdhsa_user_sgpr_queue_ptr 0
		.amdhsa_user_sgpr_kernarg_segment_ptr 1
		.amdhsa_user_sgpr_dispatch_id 0
		.amdhsa_user_sgpr_private_segment_size 0
		.amdhsa_wavefront_size32 1
		.amdhsa_uses_dynamic_stack 0
		.amdhsa_enable_private_segment 0
		.amdhsa_system_sgpr_workgroup_id_x 1
		.amdhsa_system_sgpr_workgroup_id_y 0
		.amdhsa_system_sgpr_workgroup_id_z 0
		.amdhsa_system_sgpr_workgroup_info 0
		.amdhsa_system_vgpr_workitem_id 0
		.amdhsa_next_free_vgpr 1
		.amdhsa_next_free_sgpr 1
		.amdhsa_reserve_vcc 0
		.amdhsa_float_round_mode_32 0
		.amdhsa_float_round_mode_16_64 0
		.amdhsa_float_denorm_mode_32 3
		.amdhsa_float_denorm_mode_16_64 3
		.amdhsa_fp16_overflow 0
		.amdhsa_workgroup_processor_mode 1
		.amdhsa_memory_ordered 1
		.amdhsa_forward_progress 1
		.amdhsa_inst_pref_size 0
		.amdhsa_round_robin_scheduling 0
		.amdhsa_exception_fp_ieee_invalid_op 0
		.amdhsa_exception_fp_denorm_src 0
		.amdhsa_exception_fp_ieee_div_zero 0
		.amdhsa_exception_fp_ieee_overflow 0
		.amdhsa_exception_fp_ieee_underflow 0
		.amdhsa_exception_fp_ieee_inexact 0
		.amdhsa_exception_int_div_zero 0
	.end_amdhsa_kernel
	.section	.text._ZN7rocprim17ROCPRIM_400000_NS6detail17trampoline_kernelINS0_13select_configILj256ELj13ELNS0_17block_load_methodE3ELS4_3ELS4_3ELNS0_20block_scan_algorithmE0ELj4294967295EEENS1_25partition_config_selectorILNS1_17partition_subalgoE3EjNS0_10empty_typeEbEEZZNS1_14partition_implILS8_3ELb0ES6_jNS0_17counting_iteratorIjlEEPS9_SE_NS0_5tupleIJPjSE_EEENSF_IJSE_SE_EEES9_SG_JZNS1_25segmented_radix_sort_implINS0_14default_configELb0EPKbPbPKlPlN2at6native12_GLOBAL__N_18offset_tEEE10hipError_tPvRmT1_PNSt15iterator_traitsISY_E10value_typeET2_T3_PNSZ_IS14_E10value_typeET4_jRbjT5_S1A_jjP12ihipStream_tbEUljE_EEESV_SW_SX_S14_S18_S1A_T6_T7_T9_mT8_S1C_bDpT10_ENKUlT_T0_E_clISt17integral_constantIbLb1EES1P_EEDaS1K_S1L_EUlS1K_E_NS1_11comp_targetILNS1_3genE8ELNS1_11target_archE1030ELNS1_3gpuE2ELNS1_3repE0EEENS1_30default_config_static_selectorELNS0_4arch9wavefront6targetE0EEEvSY_,"axG",@progbits,_ZN7rocprim17ROCPRIM_400000_NS6detail17trampoline_kernelINS0_13select_configILj256ELj13ELNS0_17block_load_methodE3ELS4_3ELS4_3ELNS0_20block_scan_algorithmE0ELj4294967295EEENS1_25partition_config_selectorILNS1_17partition_subalgoE3EjNS0_10empty_typeEbEEZZNS1_14partition_implILS8_3ELb0ES6_jNS0_17counting_iteratorIjlEEPS9_SE_NS0_5tupleIJPjSE_EEENSF_IJSE_SE_EEES9_SG_JZNS1_25segmented_radix_sort_implINS0_14default_configELb0EPKbPbPKlPlN2at6native12_GLOBAL__N_18offset_tEEE10hipError_tPvRmT1_PNSt15iterator_traitsISY_E10value_typeET2_T3_PNSZ_IS14_E10value_typeET4_jRbjT5_S1A_jjP12ihipStream_tbEUljE_EEESV_SW_SX_S14_S18_S1A_T6_T7_T9_mT8_S1C_bDpT10_ENKUlT_T0_E_clISt17integral_constantIbLb1EES1P_EEDaS1K_S1L_EUlS1K_E_NS1_11comp_targetILNS1_3genE8ELNS1_11target_archE1030ELNS1_3gpuE2ELNS1_3repE0EEENS1_30default_config_static_selectorELNS0_4arch9wavefront6targetE0EEEvSY_,comdat
.Lfunc_end1618:
	.size	_ZN7rocprim17ROCPRIM_400000_NS6detail17trampoline_kernelINS0_13select_configILj256ELj13ELNS0_17block_load_methodE3ELS4_3ELS4_3ELNS0_20block_scan_algorithmE0ELj4294967295EEENS1_25partition_config_selectorILNS1_17partition_subalgoE3EjNS0_10empty_typeEbEEZZNS1_14partition_implILS8_3ELb0ES6_jNS0_17counting_iteratorIjlEEPS9_SE_NS0_5tupleIJPjSE_EEENSF_IJSE_SE_EEES9_SG_JZNS1_25segmented_radix_sort_implINS0_14default_configELb0EPKbPbPKlPlN2at6native12_GLOBAL__N_18offset_tEEE10hipError_tPvRmT1_PNSt15iterator_traitsISY_E10value_typeET2_T3_PNSZ_IS14_E10value_typeET4_jRbjT5_S1A_jjP12ihipStream_tbEUljE_EEESV_SW_SX_S14_S18_S1A_T6_T7_T9_mT8_S1C_bDpT10_ENKUlT_T0_E_clISt17integral_constantIbLb1EES1P_EEDaS1K_S1L_EUlS1K_E_NS1_11comp_targetILNS1_3genE8ELNS1_11target_archE1030ELNS1_3gpuE2ELNS1_3repE0EEENS1_30default_config_static_selectorELNS0_4arch9wavefront6targetE0EEEvSY_, .Lfunc_end1618-_ZN7rocprim17ROCPRIM_400000_NS6detail17trampoline_kernelINS0_13select_configILj256ELj13ELNS0_17block_load_methodE3ELS4_3ELS4_3ELNS0_20block_scan_algorithmE0ELj4294967295EEENS1_25partition_config_selectorILNS1_17partition_subalgoE3EjNS0_10empty_typeEbEEZZNS1_14partition_implILS8_3ELb0ES6_jNS0_17counting_iteratorIjlEEPS9_SE_NS0_5tupleIJPjSE_EEENSF_IJSE_SE_EEES9_SG_JZNS1_25segmented_radix_sort_implINS0_14default_configELb0EPKbPbPKlPlN2at6native12_GLOBAL__N_18offset_tEEE10hipError_tPvRmT1_PNSt15iterator_traitsISY_E10value_typeET2_T3_PNSZ_IS14_E10value_typeET4_jRbjT5_S1A_jjP12ihipStream_tbEUljE_EEESV_SW_SX_S14_S18_S1A_T6_T7_T9_mT8_S1C_bDpT10_ENKUlT_T0_E_clISt17integral_constantIbLb1EES1P_EEDaS1K_S1L_EUlS1K_E_NS1_11comp_targetILNS1_3genE8ELNS1_11target_archE1030ELNS1_3gpuE2ELNS1_3repE0EEENS1_30default_config_static_selectorELNS0_4arch9wavefront6targetE0EEEvSY_
                                        ; -- End function
	.set _ZN7rocprim17ROCPRIM_400000_NS6detail17trampoline_kernelINS0_13select_configILj256ELj13ELNS0_17block_load_methodE3ELS4_3ELS4_3ELNS0_20block_scan_algorithmE0ELj4294967295EEENS1_25partition_config_selectorILNS1_17partition_subalgoE3EjNS0_10empty_typeEbEEZZNS1_14partition_implILS8_3ELb0ES6_jNS0_17counting_iteratorIjlEEPS9_SE_NS0_5tupleIJPjSE_EEENSF_IJSE_SE_EEES9_SG_JZNS1_25segmented_radix_sort_implINS0_14default_configELb0EPKbPbPKlPlN2at6native12_GLOBAL__N_18offset_tEEE10hipError_tPvRmT1_PNSt15iterator_traitsISY_E10value_typeET2_T3_PNSZ_IS14_E10value_typeET4_jRbjT5_S1A_jjP12ihipStream_tbEUljE_EEESV_SW_SX_S14_S18_S1A_T6_T7_T9_mT8_S1C_bDpT10_ENKUlT_T0_E_clISt17integral_constantIbLb1EES1P_EEDaS1K_S1L_EUlS1K_E_NS1_11comp_targetILNS1_3genE8ELNS1_11target_archE1030ELNS1_3gpuE2ELNS1_3repE0EEENS1_30default_config_static_selectorELNS0_4arch9wavefront6targetE0EEEvSY_.num_vgpr, 0
	.set _ZN7rocprim17ROCPRIM_400000_NS6detail17trampoline_kernelINS0_13select_configILj256ELj13ELNS0_17block_load_methodE3ELS4_3ELS4_3ELNS0_20block_scan_algorithmE0ELj4294967295EEENS1_25partition_config_selectorILNS1_17partition_subalgoE3EjNS0_10empty_typeEbEEZZNS1_14partition_implILS8_3ELb0ES6_jNS0_17counting_iteratorIjlEEPS9_SE_NS0_5tupleIJPjSE_EEENSF_IJSE_SE_EEES9_SG_JZNS1_25segmented_radix_sort_implINS0_14default_configELb0EPKbPbPKlPlN2at6native12_GLOBAL__N_18offset_tEEE10hipError_tPvRmT1_PNSt15iterator_traitsISY_E10value_typeET2_T3_PNSZ_IS14_E10value_typeET4_jRbjT5_S1A_jjP12ihipStream_tbEUljE_EEESV_SW_SX_S14_S18_S1A_T6_T7_T9_mT8_S1C_bDpT10_ENKUlT_T0_E_clISt17integral_constantIbLb1EES1P_EEDaS1K_S1L_EUlS1K_E_NS1_11comp_targetILNS1_3genE8ELNS1_11target_archE1030ELNS1_3gpuE2ELNS1_3repE0EEENS1_30default_config_static_selectorELNS0_4arch9wavefront6targetE0EEEvSY_.num_agpr, 0
	.set _ZN7rocprim17ROCPRIM_400000_NS6detail17trampoline_kernelINS0_13select_configILj256ELj13ELNS0_17block_load_methodE3ELS4_3ELS4_3ELNS0_20block_scan_algorithmE0ELj4294967295EEENS1_25partition_config_selectorILNS1_17partition_subalgoE3EjNS0_10empty_typeEbEEZZNS1_14partition_implILS8_3ELb0ES6_jNS0_17counting_iteratorIjlEEPS9_SE_NS0_5tupleIJPjSE_EEENSF_IJSE_SE_EEES9_SG_JZNS1_25segmented_radix_sort_implINS0_14default_configELb0EPKbPbPKlPlN2at6native12_GLOBAL__N_18offset_tEEE10hipError_tPvRmT1_PNSt15iterator_traitsISY_E10value_typeET2_T3_PNSZ_IS14_E10value_typeET4_jRbjT5_S1A_jjP12ihipStream_tbEUljE_EEESV_SW_SX_S14_S18_S1A_T6_T7_T9_mT8_S1C_bDpT10_ENKUlT_T0_E_clISt17integral_constantIbLb1EES1P_EEDaS1K_S1L_EUlS1K_E_NS1_11comp_targetILNS1_3genE8ELNS1_11target_archE1030ELNS1_3gpuE2ELNS1_3repE0EEENS1_30default_config_static_selectorELNS0_4arch9wavefront6targetE0EEEvSY_.numbered_sgpr, 0
	.set _ZN7rocprim17ROCPRIM_400000_NS6detail17trampoline_kernelINS0_13select_configILj256ELj13ELNS0_17block_load_methodE3ELS4_3ELS4_3ELNS0_20block_scan_algorithmE0ELj4294967295EEENS1_25partition_config_selectorILNS1_17partition_subalgoE3EjNS0_10empty_typeEbEEZZNS1_14partition_implILS8_3ELb0ES6_jNS0_17counting_iteratorIjlEEPS9_SE_NS0_5tupleIJPjSE_EEENSF_IJSE_SE_EEES9_SG_JZNS1_25segmented_radix_sort_implINS0_14default_configELb0EPKbPbPKlPlN2at6native12_GLOBAL__N_18offset_tEEE10hipError_tPvRmT1_PNSt15iterator_traitsISY_E10value_typeET2_T3_PNSZ_IS14_E10value_typeET4_jRbjT5_S1A_jjP12ihipStream_tbEUljE_EEESV_SW_SX_S14_S18_S1A_T6_T7_T9_mT8_S1C_bDpT10_ENKUlT_T0_E_clISt17integral_constantIbLb1EES1P_EEDaS1K_S1L_EUlS1K_E_NS1_11comp_targetILNS1_3genE8ELNS1_11target_archE1030ELNS1_3gpuE2ELNS1_3repE0EEENS1_30default_config_static_selectorELNS0_4arch9wavefront6targetE0EEEvSY_.num_named_barrier, 0
	.set _ZN7rocprim17ROCPRIM_400000_NS6detail17trampoline_kernelINS0_13select_configILj256ELj13ELNS0_17block_load_methodE3ELS4_3ELS4_3ELNS0_20block_scan_algorithmE0ELj4294967295EEENS1_25partition_config_selectorILNS1_17partition_subalgoE3EjNS0_10empty_typeEbEEZZNS1_14partition_implILS8_3ELb0ES6_jNS0_17counting_iteratorIjlEEPS9_SE_NS0_5tupleIJPjSE_EEENSF_IJSE_SE_EEES9_SG_JZNS1_25segmented_radix_sort_implINS0_14default_configELb0EPKbPbPKlPlN2at6native12_GLOBAL__N_18offset_tEEE10hipError_tPvRmT1_PNSt15iterator_traitsISY_E10value_typeET2_T3_PNSZ_IS14_E10value_typeET4_jRbjT5_S1A_jjP12ihipStream_tbEUljE_EEESV_SW_SX_S14_S18_S1A_T6_T7_T9_mT8_S1C_bDpT10_ENKUlT_T0_E_clISt17integral_constantIbLb1EES1P_EEDaS1K_S1L_EUlS1K_E_NS1_11comp_targetILNS1_3genE8ELNS1_11target_archE1030ELNS1_3gpuE2ELNS1_3repE0EEENS1_30default_config_static_selectorELNS0_4arch9wavefront6targetE0EEEvSY_.private_seg_size, 0
	.set _ZN7rocprim17ROCPRIM_400000_NS6detail17trampoline_kernelINS0_13select_configILj256ELj13ELNS0_17block_load_methodE3ELS4_3ELS4_3ELNS0_20block_scan_algorithmE0ELj4294967295EEENS1_25partition_config_selectorILNS1_17partition_subalgoE3EjNS0_10empty_typeEbEEZZNS1_14partition_implILS8_3ELb0ES6_jNS0_17counting_iteratorIjlEEPS9_SE_NS0_5tupleIJPjSE_EEENSF_IJSE_SE_EEES9_SG_JZNS1_25segmented_radix_sort_implINS0_14default_configELb0EPKbPbPKlPlN2at6native12_GLOBAL__N_18offset_tEEE10hipError_tPvRmT1_PNSt15iterator_traitsISY_E10value_typeET2_T3_PNSZ_IS14_E10value_typeET4_jRbjT5_S1A_jjP12ihipStream_tbEUljE_EEESV_SW_SX_S14_S18_S1A_T6_T7_T9_mT8_S1C_bDpT10_ENKUlT_T0_E_clISt17integral_constantIbLb1EES1P_EEDaS1K_S1L_EUlS1K_E_NS1_11comp_targetILNS1_3genE8ELNS1_11target_archE1030ELNS1_3gpuE2ELNS1_3repE0EEENS1_30default_config_static_selectorELNS0_4arch9wavefront6targetE0EEEvSY_.uses_vcc, 0
	.set _ZN7rocprim17ROCPRIM_400000_NS6detail17trampoline_kernelINS0_13select_configILj256ELj13ELNS0_17block_load_methodE3ELS4_3ELS4_3ELNS0_20block_scan_algorithmE0ELj4294967295EEENS1_25partition_config_selectorILNS1_17partition_subalgoE3EjNS0_10empty_typeEbEEZZNS1_14partition_implILS8_3ELb0ES6_jNS0_17counting_iteratorIjlEEPS9_SE_NS0_5tupleIJPjSE_EEENSF_IJSE_SE_EEES9_SG_JZNS1_25segmented_radix_sort_implINS0_14default_configELb0EPKbPbPKlPlN2at6native12_GLOBAL__N_18offset_tEEE10hipError_tPvRmT1_PNSt15iterator_traitsISY_E10value_typeET2_T3_PNSZ_IS14_E10value_typeET4_jRbjT5_S1A_jjP12ihipStream_tbEUljE_EEESV_SW_SX_S14_S18_S1A_T6_T7_T9_mT8_S1C_bDpT10_ENKUlT_T0_E_clISt17integral_constantIbLb1EES1P_EEDaS1K_S1L_EUlS1K_E_NS1_11comp_targetILNS1_3genE8ELNS1_11target_archE1030ELNS1_3gpuE2ELNS1_3repE0EEENS1_30default_config_static_selectorELNS0_4arch9wavefront6targetE0EEEvSY_.uses_flat_scratch, 0
	.set _ZN7rocprim17ROCPRIM_400000_NS6detail17trampoline_kernelINS0_13select_configILj256ELj13ELNS0_17block_load_methodE3ELS4_3ELS4_3ELNS0_20block_scan_algorithmE0ELj4294967295EEENS1_25partition_config_selectorILNS1_17partition_subalgoE3EjNS0_10empty_typeEbEEZZNS1_14partition_implILS8_3ELb0ES6_jNS0_17counting_iteratorIjlEEPS9_SE_NS0_5tupleIJPjSE_EEENSF_IJSE_SE_EEES9_SG_JZNS1_25segmented_radix_sort_implINS0_14default_configELb0EPKbPbPKlPlN2at6native12_GLOBAL__N_18offset_tEEE10hipError_tPvRmT1_PNSt15iterator_traitsISY_E10value_typeET2_T3_PNSZ_IS14_E10value_typeET4_jRbjT5_S1A_jjP12ihipStream_tbEUljE_EEESV_SW_SX_S14_S18_S1A_T6_T7_T9_mT8_S1C_bDpT10_ENKUlT_T0_E_clISt17integral_constantIbLb1EES1P_EEDaS1K_S1L_EUlS1K_E_NS1_11comp_targetILNS1_3genE8ELNS1_11target_archE1030ELNS1_3gpuE2ELNS1_3repE0EEENS1_30default_config_static_selectorELNS0_4arch9wavefront6targetE0EEEvSY_.has_dyn_sized_stack, 0
	.set _ZN7rocprim17ROCPRIM_400000_NS6detail17trampoline_kernelINS0_13select_configILj256ELj13ELNS0_17block_load_methodE3ELS4_3ELS4_3ELNS0_20block_scan_algorithmE0ELj4294967295EEENS1_25partition_config_selectorILNS1_17partition_subalgoE3EjNS0_10empty_typeEbEEZZNS1_14partition_implILS8_3ELb0ES6_jNS0_17counting_iteratorIjlEEPS9_SE_NS0_5tupleIJPjSE_EEENSF_IJSE_SE_EEES9_SG_JZNS1_25segmented_radix_sort_implINS0_14default_configELb0EPKbPbPKlPlN2at6native12_GLOBAL__N_18offset_tEEE10hipError_tPvRmT1_PNSt15iterator_traitsISY_E10value_typeET2_T3_PNSZ_IS14_E10value_typeET4_jRbjT5_S1A_jjP12ihipStream_tbEUljE_EEESV_SW_SX_S14_S18_S1A_T6_T7_T9_mT8_S1C_bDpT10_ENKUlT_T0_E_clISt17integral_constantIbLb1EES1P_EEDaS1K_S1L_EUlS1K_E_NS1_11comp_targetILNS1_3genE8ELNS1_11target_archE1030ELNS1_3gpuE2ELNS1_3repE0EEENS1_30default_config_static_selectorELNS0_4arch9wavefront6targetE0EEEvSY_.has_recursion, 0
	.set _ZN7rocprim17ROCPRIM_400000_NS6detail17trampoline_kernelINS0_13select_configILj256ELj13ELNS0_17block_load_methodE3ELS4_3ELS4_3ELNS0_20block_scan_algorithmE0ELj4294967295EEENS1_25partition_config_selectorILNS1_17partition_subalgoE3EjNS0_10empty_typeEbEEZZNS1_14partition_implILS8_3ELb0ES6_jNS0_17counting_iteratorIjlEEPS9_SE_NS0_5tupleIJPjSE_EEENSF_IJSE_SE_EEES9_SG_JZNS1_25segmented_radix_sort_implINS0_14default_configELb0EPKbPbPKlPlN2at6native12_GLOBAL__N_18offset_tEEE10hipError_tPvRmT1_PNSt15iterator_traitsISY_E10value_typeET2_T3_PNSZ_IS14_E10value_typeET4_jRbjT5_S1A_jjP12ihipStream_tbEUljE_EEESV_SW_SX_S14_S18_S1A_T6_T7_T9_mT8_S1C_bDpT10_ENKUlT_T0_E_clISt17integral_constantIbLb1EES1P_EEDaS1K_S1L_EUlS1K_E_NS1_11comp_targetILNS1_3genE8ELNS1_11target_archE1030ELNS1_3gpuE2ELNS1_3repE0EEENS1_30default_config_static_selectorELNS0_4arch9wavefront6targetE0EEEvSY_.has_indirect_call, 0
	.section	.AMDGPU.csdata,"",@progbits
; Kernel info:
; codeLenInByte = 0
; TotalNumSgprs: 0
; NumVgprs: 0
; ScratchSize: 0
; MemoryBound: 0
; FloatMode: 240
; IeeeMode: 1
; LDSByteSize: 0 bytes/workgroup (compile time only)
; SGPRBlocks: 0
; VGPRBlocks: 0
; NumSGPRsForWavesPerEU: 1
; NumVGPRsForWavesPerEU: 1
; Occupancy: 16
; WaveLimiterHint : 0
; COMPUTE_PGM_RSRC2:SCRATCH_EN: 0
; COMPUTE_PGM_RSRC2:USER_SGPR: 2
; COMPUTE_PGM_RSRC2:TRAP_HANDLER: 0
; COMPUTE_PGM_RSRC2:TGID_X_EN: 1
; COMPUTE_PGM_RSRC2:TGID_Y_EN: 0
; COMPUTE_PGM_RSRC2:TGID_Z_EN: 0
; COMPUTE_PGM_RSRC2:TIDIG_COMP_CNT: 0
	.section	.text._ZN7rocprim17ROCPRIM_400000_NS6detail17trampoline_kernelINS0_13select_configILj256ELj13ELNS0_17block_load_methodE3ELS4_3ELS4_3ELNS0_20block_scan_algorithmE0ELj4294967295EEENS1_25partition_config_selectorILNS1_17partition_subalgoE3EjNS0_10empty_typeEbEEZZNS1_14partition_implILS8_3ELb0ES6_jNS0_17counting_iteratorIjlEEPS9_SE_NS0_5tupleIJPjSE_EEENSF_IJSE_SE_EEES9_SG_JZNS1_25segmented_radix_sort_implINS0_14default_configELb0EPKbPbPKlPlN2at6native12_GLOBAL__N_18offset_tEEE10hipError_tPvRmT1_PNSt15iterator_traitsISY_E10value_typeET2_T3_PNSZ_IS14_E10value_typeET4_jRbjT5_S1A_jjP12ihipStream_tbEUljE_EEESV_SW_SX_S14_S18_S1A_T6_T7_T9_mT8_S1C_bDpT10_ENKUlT_T0_E_clISt17integral_constantIbLb1EES1O_IbLb0EEEEDaS1K_S1L_EUlS1K_E_NS1_11comp_targetILNS1_3genE0ELNS1_11target_archE4294967295ELNS1_3gpuE0ELNS1_3repE0EEENS1_30default_config_static_selectorELNS0_4arch9wavefront6targetE0EEEvSY_,"axG",@progbits,_ZN7rocprim17ROCPRIM_400000_NS6detail17trampoline_kernelINS0_13select_configILj256ELj13ELNS0_17block_load_methodE3ELS4_3ELS4_3ELNS0_20block_scan_algorithmE0ELj4294967295EEENS1_25partition_config_selectorILNS1_17partition_subalgoE3EjNS0_10empty_typeEbEEZZNS1_14partition_implILS8_3ELb0ES6_jNS0_17counting_iteratorIjlEEPS9_SE_NS0_5tupleIJPjSE_EEENSF_IJSE_SE_EEES9_SG_JZNS1_25segmented_radix_sort_implINS0_14default_configELb0EPKbPbPKlPlN2at6native12_GLOBAL__N_18offset_tEEE10hipError_tPvRmT1_PNSt15iterator_traitsISY_E10value_typeET2_T3_PNSZ_IS14_E10value_typeET4_jRbjT5_S1A_jjP12ihipStream_tbEUljE_EEESV_SW_SX_S14_S18_S1A_T6_T7_T9_mT8_S1C_bDpT10_ENKUlT_T0_E_clISt17integral_constantIbLb1EES1O_IbLb0EEEEDaS1K_S1L_EUlS1K_E_NS1_11comp_targetILNS1_3genE0ELNS1_11target_archE4294967295ELNS1_3gpuE0ELNS1_3repE0EEENS1_30default_config_static_selectorELNS0_4arch9wavefront6targetE0EEEvSY_,comdat
	.globl	_ZN7rocprim17ROCPRIM_400000_NS6detail17trampoline_kernelINS0_13select_configILj256ELj13ELNS0_17block_load_methodE3ELS4_3ELS4_3ELNS0_20block_scan_algorithmE0ELj4294967295EEENS1_25partition_config_selectorILNS1_17partition_subalgoE3EjNS0_10empty_typeEbEEZZNS1_14partition_implILS8_3ELb0ES6_jNS0_17counting_iteratorIjlEEPS9_SE_NS0_5tupleIJPjSE_EEENSF_IJSE_SE_EEES9_SG_JZNS1_25segmented_radix_sort_implINS0_14default_configELb0EPKbPbPKlPlN2at6native12_GLOBAL__N_18offset_tEEE10hipError_tPvRmT1_PNSt15iterator_traitsISY_E10value_typeET2_T3_PNSZ_IS14_E10value_typeET4_jRbjT5_S1A_jjP12ihipStream_tbEUljE_EEESV_SW_SX_S14_S18_S1A_T6_T7_T9_mT8_S1C_bDpT10_ENKUlT_T0_E_clISt17integral_constantIbLb1EES1O_IbLb0EEEEDaS1K_S1L_EUlS1K_E_NS1_11comp_targetILNS1_3genE0ELNS1_11target_archE4294967295ELNS1_3gpuE0ELNS1_3repE0EEENS1_30default_config_static_selectorELNS0_4arch9wavefront6targetE0EEEvSY_ ; -- Begin function _ZN7rocprim17ROCPRIM_400000_NS6detail17trampoline_kernelINS0_13select_configILj256ELj13ELNS0_17block_load_methodE3ELS4_3ELS4_3ELNS0_20block_scan_algorithmE0ELj4294967295EEENS1_25partition_config_selectorILNS1_17partition_subalgoE3EjNS0_10empty_typeEbEEZZNS1_14partition_implILS8_3ELb0ES6_jNS0_17counting_iteratorIjlEEPS9_SE_NS0_5tupleIJPjSE_EEENSF_IJSE_SE_EEES9_SG_JZNS1_25segmented_radix_sort_implINS0_14default_configELb0EPKbPbPKlPlN2at6native12_GLOBAL__N_18offset_tEEE10hipError_tPvRmT1_PNSt15iterator_traitsISY_E10value_typeET2_T3_PNSZ_IS14_E10value_typeET4_jRbjT5_S1A_jjP12ihipStream_tbEUljE_EEESV_SW_SX_S14_S18_S1A_T6_T7_T9_mT8_S1C_bDpT10_ENKUlT_T0_E_clISt17integral_constantIbLb1EES1O_IbLb0EEEEDaS1K_S1L_EUlS1K_E_NS1_11comp_targetILNS1_3genE0ELNS1_11target_archE4294967295ELNS1_3gpuE0ELNS1_3repE0EEENS1_30default_config_static_selectorELNS0_4arch9wavefront6targetE0EEEvSY_
	.p2align	8
	.type	_ZN7rocprim17ROCPRIM_400000_NS6detail17trampoline_kernelINS0_13select_configILj256ELj13ELNS0_17block_load_methodE3ELS4_3ELS4_3ELNS0_20block_scan_algorithmE0ELj4294967295EEENS1_25partition_config_selectorILNS1_17partition_subalgoE3EjNS0_10empty_typeEbEEZZNS1_14partition_implILS8_3ELb0ES6_jNS0_17counting_iteratorIjlEEPS9_SE_NS0_5tupleIJPjSE_EEENSF_IJSE_SE_EEES9_SG_JZNS1_25segmented_radix_sort_implINS0_14default_configELb0EPKbPbPKlPlN2at6native12_GLOBAL__N_18offset_tEEE10hipError_tPvRmT1_PNSt15iterator_traitsISY_E10value_typeET2_T3_PNSZ_IS14_E10value_typeET4_jRbjT5_S1A_jjP12ihipStream_tbEUljE_EEESV_SW_SX_S14_S18_S1A_T6_T7_T9_mT8_S1C_bDpT10_ENKUlT_T0_E_clISt17integral_constantIbLb1EES1O_IbLb0EEEEDaS1K_S1L_EUlS1K_E_NS1_11comp_targetILNS1_3genE0ELNS1_11target_archE4294967295ELNS1_3gpuE0ELNS1_3repE0EEENS1_30default_config_static_selectorELNS0_4arch9wavefront6targetE0EEEvSY_,@function
_ZN7rocprim17ROCPRIM_400000_NS6detail17trampoline_kernelINS0_13select_configILj256ELj13ELNS0_17block_load_methodE3ELS4_3ELS4_3ELNS0_20block_scan_algorithmE0ELj4294967295EEENS1_25partition_config_selectorILNS1_17partition_subalgoE3EjNS0_10empty_typeEbEEZZNS1_14partition_implILS8_3ELb0ES6_jNS0_17counting_iteratorIjlEEPS9_SE_NS0_5tupleIJPjSE_EEENSF_IJSE_SE_EEES9_SG_JZNS1_25segmented_radix_sort_implINS0_14default_configELb0EPKbPbPKlPlN2at6native12_GLOBAL__N_18offset_tEEE10hipError_tPvRmT1_PNSt15iterator_traitsISY_E10value_typeET2_T3_PNSZ_IS14_E10value_typeET4_jRbjT5_S1A_jjP12ihipStream_tbEUljE_EEESV_SW_SX_S14_S18_S1A_T6_T7_T9_mT8_S1C_bDpT10_ENKUlT_T0_E_clISt17integral_constantIbLb1EES1O_IbLb0EEEEDaS1K_S1L_EUlS1K_E_NS1_11comp_targetILNS1_3genE0ELNS1_11target_archE4294967295ELNS1_3gpuE0ELNS1_3repE0EEENS1_30default_config_static_selectorELNS0_4arch9wavefront6targetE0EEEvSY_: ; @_ZN7rocprim17ROCPRIM_400000_NS6detail17trampoline_kernelINS0_13select_configILj256ELj13ELNS0_17block_load_methodE3ELS4_3ELS4_3ELNS0_20block_scan_algorithmE0ELj4294967295EEENS1_25partition_config_selectorILNS1_17partition_subalgoE3EjNS0_10empty_typeEbEEZZNS1_14partition_implILS8_3ELb0ES6_jNS0_17counting_iteratorIjlEEPS9_SE_NS0_5tupleIJPjSE_EEENSF_IJSE_SE_EEES9_SG_JZNS1_25segmented_radix_sort_implINS0_14default_configELb0EPKbPbPKlPlN2at6native12_GLOBAL__N_18offset_tEEE10hipError_tPvRmT1_PNSt15iterator_traitsISY_E10value_typeET2_T3_PNSZ_IS14_E10value_typeET4_jRbjT5_S1A_jjP12ihipStream_tbEUljE_EEESV_SW_SX_S14_S18_S1A_T6_T7_T9_mT8_S1C_bDpT10_ENKUlT_T0_E_clISt17integral_constantIbLb1EES1O_IbLb0EEEEDaS1K_S1L_EUlS1K_E_NS1_11comp_targetILNS1_3genE0ELNS1_11target_archE4294967295ELNS1_3gpuE0ELNS1_3repE0EEENS1_30default_config_static_selectorELNS0_4arch9wavefront6targetE0EEEvSY_
; %bb.0:
	.section	.rodata,"a",@progbits
	.p2align	6, 0x0
	.amdhsa_kernel _ZN7rocprim17ROCPRIM_400000_NS6detail17trampoline_kernelINS0_13select_configILj256ELj13ELNS0_17block_load_methodE3ELS4_3ELS4_3ELNS0_20block_scan_algorithmE0ELj4294967295EEENS1_25partition_config_selectorILNS1_17partition_subalgoE3EjNS0_10empty_typeEbEEZZNS1_14partition_implILS8_3ELb0ES6_jNS0_17counting_iteratorIjlEEPS9_SE_NS0_5tupleIJPjSE_EEENSF_IJSE_SE_EEES9_SG_JZNS1_25segmented_radix_sort_implINS0_14default_configELb0EPKbPbPKlPlN2at6native12_GLOBAL__N_18offset_tEEE10hipError_tPvRmT1_PNSt15iterator_traitsISY_E10value_typeET2_T3_PNSZ_IS14_E10value_typeET4_jRbjT5_S1A_jjP12ihipStream_tbEUljE_EEESV_SW_SX_S14_S18_S1A_T6_T7_T9_mT8_S1C_bDpT10_ENKUlT_T0_E_clISt17integral_constantIbLb1EES1O_IbLb0EEEEDaS1K_S1L_EUlS1K_E_NS1_11comp_targetILNS1_3genE0ELNS1_11target_archE4294967295ELNS1_3gpuE0ELNS1_3repE0EEENS1_30default_config_static_selectorELNS0_4arch9wavefront6targetE0EEEvSY_
		.amdhsa_group_segment_fixed_size 0
		.amdhsa_private_segment_fixed_size 0
		.amdhsa_kernarg_size 144
		.amdhsa_user_sgpr_count 2
		.amdhsa_user_sgpr_dispatch_ptr 0
		.amdhsa_user_sgpr_queue_ptr 0
		.amdhsa_user_sgpr_kernarg_segment_ptr 1
		.amdhsa_user_sgpr_dispatch_id 0
		.amdhsa_user_sgpr_private_segment_size 0
		.amdhsa_wavefront_size32 1
		.amdhsa_uses_dynamic_stack 0
		.amdhsa_enable_private_segment 0
		.amdhsa_system_sgpr_workgroup_id_x 1
		.amdhsa_system_sgpr_workgroup_id_y 0
		.amdhsa_system_sgpr_workgroup_id_z 0
		.amdhsa_system_sgpr_workgroup_info 0
		.amdhsa_system_vgpr_workitem_id 0
		.amdhsa_next_free_vgpr 1
		.amdhsa_next_free_sgpr 1
		.amdhsa_reserve_vcc 0
		.amdhsa_float_round_mode_32 0
		.amdhsa_float_round_mode_16_64 0
		.amdhsa_float_denorm_mode_32 3
		.amdhsa_float_denorm_mode_16_64 3
		.amdhsa_fp16_overflow 0
		.amdhsa_workgroup_processor_mode 1
		.amdhsa_memory_ordered 1
		.amdhsa_forward_progress 1
		.amdhsa_inst_pref_size 0
		.amdhsa_round_robin_scheduling 0
		.amdhsa_exception_fp_ieee_invalid_op 0
		.amdhsa_exception_fp_denorm_src 0
		.amdhsa_exception_fp_ieee_div_zero 0
		.amdhsa_exception_fp_ieee_overflow 0
		.amdhsa_exception_fp_ieee_underflow 0
		.amdhsa_exception_fp_ieee_inexact 0
		.amdhsa_exception_int_div_zero 0
	.end_amdhsa_kernel
	.section	.text._ZN7rocprim17ROCPRIM_400000_NS6detail17trampoline_kernelINS0_13select_configILj256ELj13ELNS0_17block_load_methodE3ELS4_3ELS4_3ELNS0_20block_scan_algorithmE0ELj4294967295EEENS1_25partition_config_selectorILNS1_17partition_subalgoE3EjNS0_10empty_typeEbEEZZNS1_14partition_implILS8_3ELb0ES6_jNS0_17counting_iteratorIjlEEPS9_SE_NS0_5tupleIJPjSE_EEENSF_IJSE_SE_EEES9_SG_JZNS1_25segmented_radix_sort_implINS0_14default_configELb0EPKbPbPKlPlN2at6native12_GLOBAL__N_18offset_tEEE10hipError_tPvRmT1_PNSt15iterator_traitsISY_E10value_typeET2_T3_PNSZ_IS14_E10value_typeET4_jRbjT5_S1A_jjP12ihipStream_tbEUljE_EEESV_SW_SX_S14_S18_S1A_T6_T7_T9_mT8_S1C_bDpT10_ENKUlT_T0_E_clISt17integral_constantIbLb1EES1O_IbLb0EEEEDaS1K_S1L_EUlS1K_E_NS1_11comp_targetILNS1_3genE0ELNS1_11target_archE4294967295ELNS1_3gpuE0ELNS1_3repE0EEENS1_30default_config_static_selectorELNS0_4arch9wavefront6targetE0EEEvSY_,"axG",@progbits,_ZN7rocprim17ROCPRIM_400000_NS6detail17trampoline_kernelINS0_13select_configILj256ELj13ELNS0_17block_load_methodE3ELS4_3ELS4_3ELNS0_20block_scan_algorithmE0ELj4294967295EEENS1_25partition_config_selectorILNS1_17partition_subalgoE3EjNS0_10empty_typeEbEEZZNS1_14partition_implILS8_3ELb0ES6_jNS0_17counting_iteratorIjlEEPS9_SE_NS0_5tupleIJPjSE_EEENSF_IJSE_SE_EEES9_SG_JZNS1_25segmented_radix_sort_implINS0_14default_configELb0EPKbPbPKlPlN2at6native12_GLOBAL__N_18offset_tEEE10hipError_tPvRmT1_PNSt15iterator_traitsISY_E10value_typeET2_T3_PNSZ_IS14_E10value_typeET4_jRbjT5_S1A_jjP12ihipStream_tbEUljE_EEESV_SW_SX_S14_S18_S1A_T6_T7_T9_mT8_S1C_bDpT10_ENKUlT_T0_E_clISt17integral_constantIbLb1EES1O_IbLb0EEEEDaS1K_S1L_EUlS1K_E_NS1_11comp_targetILNS1_3genE0ELNS1_11target_archE4294967295ELNS1_3gpuE0ELNS1_3repE0EEENS1_30default_config_static_selectorELNS0_4arch9wavefront6targetE0EEEvSY_,comdat
.Lfunc_end1619:
	.size	_ZN7rocprim17ROCPRIM_400000_NS6detail17trampoline_kernelINS0_13select_configILj256ELj13ELNS0_17block_load_methodE3ELS4_3ELS4_3ELNS0_20block_scan_algorithmE0ELj4294967295EEENS1_25partition_config_selectorILNS1_17partition_subalgoE3EjNS0_10empty_typeEbEEZZNS1_14partition_implILS8_3ELb0ES6_jNS0_17counting_iteratorIjlEEPS9_SE_NS0_5tupleIJPjSE_EEENSF_IJSE_SE_EEES9_SG_JZNS1_25segmented_radix_sort_implINS0_14default_configELb0EPKbPbPKlPlN2at6native12_GLOBAL__N_18offset_tEEE10hipError_tPvRmT1_PNSt15iterator_traitsISY_E10value_typeET2_T3_PNSZ_IS14_E10value_typeET4_jRbjT5_S1A_jjP12ihipStream_tbEUljE_EEESV_SW_SX_S14_S18_S1A_T6_T7_T9_mT8_S1C_bDpT10_ENKUlT_T0_E_clISt17integral_constantIbLb1EES1O_IbLb0EEEEDaS1K_S1L_EUlS1K_E_NS1_11comp_targetILNS1_3genE0ELNS1_11target_archE4294967295ELNS1_3gpuE0ELNS1_3repE0EEENS1_30default_config_static_selectorELNS0_4arch9wavefront6targetE0EEEvSY_, .Lfunc_end1619-_ZN7rocprim17ROCPRIM_400000_NS6detail17trampoline_kernelINS0_13select_configILj256ELj13ELNS0_17block_load_methodE3ELS4_3ELS4_3ELNS0_20block_scan_algorithmE0ELj4294967295EEENS1_25partition_config_selectorILNS1_17partition_subalgoE3EjNS0_10empty_typeEbEEZZNS1_14partition_implILS8_3ELb0ES6_jNS0_17counting_iteratorIjlEEPS9_SE_NS0_5tupleIJPjSE_EEENSF_IJSE_SE_EEES9_SG_JZNS1_25segmented_radix_sort_implINS0_14default_configELb0EPKbPbPKlPlN2at6native12_GLOBAL__N_18offset_tEEE10hipError_tPvRmT1_PNSt15iterator_traitsISY_E10value_typeET2_T3_PNSZ_IS14_E10value_typeET4_jRbjT5_S1A_jjP12ihipStream_tbEUljE_EEESV_SW_SX_S14_S18_S1A_T6_T7_T9_mT8_S1C_bDpT10_ENKUlT_T0_E_clISt17integral_constantIbLb1EES1O_IbLb0EEEEDaS1K_S1L_EUlS1K_E_NS1_11comp_targetILNS1_3genE0ELNS1_11target_archE4294967295ELNS1_3gpuE0ELNS1_3repE0EEENS1_30default_config_static_selectorELNS0_4arch9wavefront6targetE0EEEvSY_
                                        ; -- End function
	.set _ZN7rocprim17ROCPRIM_400000_NS6detail17trampoline_kernelINS0_13select_configILj256ELj13ELNS0_17block_load_methodE3ELS4_3ELS4_3ELNS0_20block_scan_algorithmE0ELj4294967295EEENS1_25partition_config_selectorILNS1_17partition_subalgoE3EjNS0_10empty_typeEbEEZZNS1_14partition_implILS8_3ELb0ES6_jNS0_17counting_iteratorIjlEEPS9_SE_NS0_5tupleIJPjSE_EEENSF_IJSE_SE_EEES9_SG_JZNS1_25segmented_radix_sort_implINS0_14default_configELb0EPKbPbPKlPlN2at6native12_GLOBAL__N_18offset_tEEE10hipError_tPvRmT1_PNSt15iterator_traitsISY_E10value_typeET2_T3_PNSZ_IS14_E10value_typeET4_jRbjT5_S1A_jjP12ihipStream_tbEUljE_EEESV_SW_SX_S14_S18_S1A_T6_T7_T9_mT8_S1C_bDpT10_ENKUlT_T0_E_clISt17integral_constantIbLb1EES1O_IbLb0EEEEDaS1K_S1L_EUlS1K_E_NS1_11comp_targetILNS1_3genE0ELNS1_11target_archE4294967295ELNS1_3gpuE0ELNS1_3repE0EEENS1_30default_config_static_selectorELNS0_4arch9wavefront6targetE0EEEvSY_.num_vgpr, 0
	.set _ZN7rocprim17ROCPRIM_400000_NS6detail17trampoline_kernelINS0_13select_configILj256ELj13ELNS0_17block_load_methodE3ELS4_3ELS4_3ELNS0_20block_scan_algorithmE0ELj4294967295EEENS1_25partition_config_selectorILNS1_17partition_subalgoE3EjNS0_10empty_typeEbEEZZNS1_14partition_implILS8_3ELb0ES6_jNS0_17counting_iteratorIjlEEPS9_SE_NS0_5tupleIJPjSE_EEENSF_IJSE_SE_EEES9_SG_JZNS1_25segmented_radix_sort_implINS0_14default_configELb0EPKbPbPKlPlN2at6native12_GLOBAL__N_18offset_tEEE10hipError_tPvRmT1_PNSt15iterator_traitsISY_E10value_typeET2_T3_PNSZ_IS14_E10value_typeET4_jRbjT5_S1A_jjP12ihipStream_tbEUljE_EEESV_SW_SX_S14_S18_S1A_T6_T7_T9_mT8_S1C_bDpT10_ENKUlT_T0_E_clISt17integral_constantIbLb1EES1O_IbLb0EEEEDaS1K_S1L_EUlS1K_E_NS1_11comp_targetILNS1_3genE0ELNS1_11target_archE4294967295ELNS1_3gpuE0ELNS1_3repE0EEENS1_30default_config_static_selectorELNS0_4arch9wavefront6targetE0EEEvSY_.num_agpr, 0
	.set _ZN7rocprim17ROCPRIM_400000_NS6detail17trampoline_kernelINS0_13select_configILj256ELj13ELNS0_17block_load_methodE3ELS4_3ELS4_3ELNS0_20block_scan_algorithmE0ELj4294967295EEENS1_25partition_config_selectorILNS1_17partition_subalgoE3EjNS0_10empty_typeEbEEZZNS1_14partition_implILS8_3ELb0ES6_jNS0_17counting_iteratorIjlEEPS9_SE_NS0_5tupleIJPjSE_EEENSF_IJSE_SE_EEES9_SG_JZNS1_25segmented_radix_sort_implINS0_14default_configELb0EPKbPbPKlPlN2at6native12_GLOBAL__N_18offset_tEEE10hipError_tPvRmT1_PNSt15iterator_traitsISY_E10value_typeET2_T3_PNSZ_IS14_E10value_typeET4_jRbjT5_S1A_jjP12ihipStream_tbEUljE_EEESV_SW_SX_S14_S18_S1A_T6_T7_T9_mT8_S1C_bDpT10_ENKUlT_T0_E_clISt17integral_constantIbLb1EES1O_IbLb0EEEEDaS1K_S1L_EUlS1K_E_NS1_11comp_targetILNS1_3genE0ELNS1_11target_archE4294967295ELNS1_3gpuE0ELNS1_3repE0EEENS1_30default_config_static_selectorELNS0_4arch9wavefront6targetE0EEEvSY_.numbered_sgpr, 0
	.set _ZN7rocprim17ROCPRIM_400000_NS6detail17trampoline_kernelINS0_13select_configILj256ELj13ELNS0_17block_load_methodE3ELS4_3ELS4_3ELNS0_20block_scan_algorithmE0ELj4294967295EEENS1_25partition_config_selectorILNS1_17partition_subalgoE3EjNS0_10empty_typeEbEEZZNS1_14partition_implILS8_3ELb0ES6_jNS0_17counting_iteratorIjlEEPS9_SE_NS0_5tupleIJPjSE_EEENSF_IJSE_SE_EEES9_SG_JZNS1_25segmented_radix_sort_implINS0_14default_configELb0EPKbPbPKlPlN2at6native12_GLOBAL__N_18offset_tEEE10hipError_tPvRmT1_PNSt15iterator_traitsISY_E10value_typeET2_T3_PNSZ_IS14_E10value_typeET4_jRbjT5_S1A_jjP12ihipStream_tbEUljE_EEESV_SW_SX_S14_S18_S1A_T6_T7_T9_mT8_S1C_bDpT10_ENKUlT_T0_E_clISt17integral_constantIbLb1EES1O_IbLb0EEEEDaS1K_S1L_EUlS1K_E_NS1_11comp_targetILNS1_3genE0ELNS1_11target_archE4294967295ELNS1_3gpuE0ELNS1_3repE0EEENS1_30default_config_static_selectorELNS0_4arch9wavefront6targetE0EEEvSY_.num_named_barrier, 0
	.set _ZN7rocprim17ROCPRIM_400000_NS6detail17trampoline_kernelINS0_13select_configILj256ELj13ELNS0_17block_load_methodE3ELS4_3ELS4_3ELNS0_20block_scan_algorithmE0ELj4294967295EEENS1_25partition_config_selectorILNS1_17partition_subalgoE3EjNS0_10empty_typeEbEEZZNS1_14partition_implILS8_3ELb0ES6_jNS0_17counting_iteratorIjlEEPS9_SE_NS0_5tupleIJPjSE_EEENSF_IJSE_SE_EEES9_SG_JZNS1_25segmented_radix_sort_implINS0_14default_configELb0EPKbPbPKlPlN2at6native12_GLOBAL__N_18offset_tEEE10hipError_tPvRmT1_PNSt15iterator_traitsISY_E10value_typeET2_T3_PNSZ_IS14_E10value_typeET4_jRbjT5_S1A_jjP12ihipStream_tbEUljE_EEESV_SW_SX_S14_S18_S1A_T6_T7_T9_mT8_S1C_bDpT10_ENKUlT_T0_E_clISt17integral_constantIbLb1EES1O_IbLb0EEEEDaS1K_S1L_EUlS1K_E_NS1_11comp_targetILNS1_3genE0ELNS1_11target_archE4294967295ELNS1_3gpuE0ELNS1_3repE0EEENS1_30default_config_static_selectorELNS0_4arch9wavefront6targetE0EEEvSY_.private_seg_size, 0
	.set _ZN7rocprim17ROCPRIM_400000_NS6detail17trampoline_kernelINS0_13select_configILj256ELj13ELNS0_17block_load_methodE3ELS4_3ELS4_3ELNS0_20block_scan_algorithmE0ELj4294967295EEENS1_25partition_config_selectorILNS1_17partition_subalgoE3EjNS0_10empty_typeEbEEZZNS1_14partition_implILS8_3ELb0ES6_jNS0_17counting_iteratorIjlEEPS9_SE_NS0_5tupleIJPjSE_EEENSF_IJSE_SE_EEES9_SG_JZNS1_25segmented_radix_sort_implINS0_14default_configELb0EPKbPbPKlPlN2at6native12_GLOBAL__N_18offset_tEEE10hipError_tPvRmT1_PNSt15iterator_traitsISY_E10value_typeET2_T3_PNSZ_IS14_E10value_typeET4_jRbjT5_S1A_jjP12ihipStream_tbEUljE_EEESV_SW_SX_S14_S18_S1A_T6_T7_T9_mT8_S1C_bDpT10_ENKUlT_T0_E_clISt17integral_constantIbLb1EES1O_IbLb0EEEEDaS1K_S1L_EUlS1K_E_NS1_11comp_targetILNS1_3genE0ELNS1_11target_archE4294967295ELNS1_3gpuE0ELNS1_3repE0EEENS1_30default_config_static_selectorELNS0_4arch9wavefront6targetE0EEEvSY_.uses_vcc, 0
	.set _ZN7rocprim17ROCPRIM_400000_NS6detail17trampoline_kernelINS0_13select_configILj256ELj13ELNS0_17block_load_methodE3ELS4_3ELS4_3ELNS0_20block_scan_algorithmE0ELj4294967295EEENS1_25partition_config_selectorILNS1_17partition_subalgoE3EjNS0_10empty_typeEbEEZZNS1_14partition_implILS8_3ELb0ES6_jNS0_17counting_iteratorIjlEEPS9_SE_NS0_5tupleIJPjSE_EEENSF_IJSE_SE_EEES9_SG_JZNS1_25segmented_radix_sort_implINS0_14default_configELb0EPKbPbPKlPlN2at6native12_GLOBAL__N_18offset_tEEE10hipError_tPvRmT1_PNSt15iterator_traitsISY_E10value_typeET2_T3_PNSZ_IS14_E10value_typeET4_jRbjT5_S1A_jjP12ihipStream_tbEUljE_EEESV_SW_SX_S14_S18_S1A_T6_T7_T9_mT8_S1C_bDpT10_ENKUlT_T0_E_clISt17integral_constantIbLb1EES1O_IbLb0EEEEDaS1K_S1L_EUlS1K_E_NS1_11comp_targetILNS1_3genE0ELNS1_11target_archE4294967295ELNS1_3gpuE0ELNS1_3repE0EEENS1_30default_config_static_selectorELNS0_4arch9wavefront6targetE0EEEvSY_.uses_flat_scratch, 0
	.set _ZN7rocprim17ROCPRIM_400000_NS6detail17trampoline_kernelINS0_13select_configILj256ELj13ELNS0_17block_load_methodE3ELS4_3ELS4_3ELNS0_20block_scan_algorithmE0ELj4294967295EEENS1_25partition_config_selectorILNS1_17partition_subalgoE3EjNS0_10empty_typeEbEEZZNS1_14partition_implILS8_3ELb0ES6_jNS0_17counting_iteratorIjlEEPS9_SE_NS0_5tupleIJPjSE_EEENSF_IJSE_SE_EEES9_SG_JZNS1_25segmented_radix_sort_implINS0_14default_configELb0EPKbPbPKlPlN2at6native12_GLOBAL__N_18offset_tEEE10hipError_tPvRmT1_PNSt15iterator_traitsISY_E10value_typeET2_T3_PNSZ_IS14_E10value_typeET4_jRbjT5_S1A_jjP12ihipStream_tbEUljE_EEESV_SW_SX_S14_S18_S1A_T6_T7_T9_mT8_S1C_bDpT10_ENKUlT_T0_E_clISt17integral_constantIbLb1EES1O_IbLb0EEEEDaS1K_S1L_EUlS1K_E_NS1_11comp_targetILNS1_3genE0ELNS1_11target_archE4294967295ELNS1_3gpuE0ELNS1_3repE0EEENS1_30default_config_static_selectorELNS0_4arch9wavefront6targetE0EEEvSY_.has_dyn_sized_stack, 0
	.set _ZN7rocprim17ROCPRIM_400000_NS6detail17trampoline_kernelINS0_13select_configILj256ELj13ELNS0_17block_load_methodE3ELS4_3ELS4_3ELNS0_20block_scan_algorithmE0ELj4294967295EEENS1_25partition_config_selectorILNS1_17partition_subalgoE3EjNS0_10empty_typeEbEEZZNS1_14partition_implILS8_3ELb0ES6_jNS0_17counting_iteratorIjlEEPS9_SE_NS0_5tupleIJPjSE_EEENSF_IJSE_SE_EEES9_SG_JZNS1_25segmented_radix_sort_implINS0_14default_configELb0EPKbPbPKlPlN2at6native12_GLOBAL__N_18offset_tEEE10hipError_tPvRmT1_PNSt15iterator_traitsISY_E10value_typeET2_T3_PNSZ_IS14_E10value_typeET4_jRbjT5_S1A_jjP12ihipStream_tbEUljE_EEESV_SW_SX_S14_S18_S1A_T6_T7_T9_mT8_S1C_bDpT10_ENKUlT_T0_E_clISt17integral_constantIbLb1EES1O_IbLb0EEEEDaS1K_S1L_EUlS1K_E_NS1_11comp_targetILNS1_3genE0ELNS1_11target_archE4294967295ELNS1_3gpuE0ELNS1_3repE0EEENS1_30default_config_static_selectorELNS0_4arch9wavefront6targetE0EEEvSY_.has_recursion, 0
	.set _ZN7rocprim17ROCPRIM_400000_NS6detail17trampoline_kernelINS0_13select_configILj256ELj13ELNS0_17block_load_methodE3ELS4_3ELS4_3ELNS0_20block_scan_algorithmE0ELj4294967295EEENS1_25partition_config_selectorILNS1_17partition_subalgoE3EjNS0_10empty_typeEbEEZZNS1_14partition_implILS8_3ELb0ES6_jNS0_17counting_iteratorIjlEEPS9_SE_NS0_5tupleIJPjSE_EEENSF_IJSE_SE_EEES9_SG_JZNS1_25segmented_radix_sort_implINS0_14default_configELb0EPKbPbPKlPlN2at6native12_GLOBAL__N_18offset_tEEE10hipError_tPvRmT1_PNSt15iterator_traitsISY_E10value_typeET2_T3_PNSZ_IS14_E10value_typeET4_jRbjT5_S1A_jjP12ihipStream_tbEUljE_EEESV_SW_SX_S14_S18_S1A_T6_T7_T9_mT8_S1C_bDpT10_ENKUlT_T0_E_clISt17integral_constantIbLb1EES1O_IbLb0EEEEDaS1K_S1L_EUlS1K_E_NS1_11comp_targetILNS1_3genE0ELNS1_11target_archE4294967295ELNS1_3gpuE0ELNS1_3repE0EEENS1_30default_config_static_selectorELNS0_4arch9wavefront6targetE0EEEvSY_.has_indirect_call, 0
	.section	.AMDGPU.csdata,"",@progbits
; Kernel info:
; codeLenInByte = 0
; TotalNumSgprs: 0
; NumVgprs: 0
; ScratchSize: 0
; MemoryBound: 0
; FloatMode: 240
; IeeeMode: 1
; LDSByteSize: 0 bytes/workgroup (compile time only)
; SGPRBlocks: 0
; VGPRBlocks: 0
; NumSGPRsForWavesPerEU: 1
; NumVGPRsForWavesPerEU: 1
; Occupancy: 16
; WaveLimiterHint : 0
; COMPUTE_PGM_RSRC2:SCRATCH_EN: 0
; COMPUTE_PGM_RSRC2:USER_SGPR: 2
; COMPUTE_PGM_RSRC2:TRAP_HANDLER: 0
; COMPUTE_PGM_RSRC2:TGID_X_EN: 1
; COMPUTE_PGM_RSRC2:TGID_Y_EN: 0
; COMPUTE_PGM_RSRC2:TGID_Z_EN: 0
; COMPUTE_PGM_RSRC2:TIDIG_COMP_CNT: 0
	.section	.text._ZN7rocprim17ROCPRIM_400000_NS6detail17trampoline_kernelINS0_13select_configILj256ELj13ELNS0_17block_load_methodE3ELS4_3ELS4_3ELNS0_20block_scan_algorithmE0ELj4294967295EEENS1_25partition_config_selectorILNS1_17partition_subalgoE3EjNS0_10empty_typeEbEEZZNS1_14partition_implILS8_3ELb0ES6_jNS0_17counting_iteratorIjlEEPS9_SE_NS0_5tupleIJPjSE_EEENSF_IJSE_SE_EEES9_SG_JZNS1_25segmented_radix_sort_implINS0_14default_configELb0EPKbPbPKlPlN2at6native12_GLOBAL__N_18offset_tEEE10hipError_tPvRmT1_PNSt15iterator_traitsISY_E10value_typeET2_T3_PNSZ_IS14_E10value_typeET4_jRbjT5_S1A_jjP12ihipStream_tbEUljE_EEESV_SW_SX_S14_S18_S1A_T6_T7_T9_mT8_S1C_bDpT10_ENKUlT_T0_E_clISt17integral_constantIbLb1EES1O_IbLb0EEEEDaS1K_S1L_EUlS1K_E_NS1_11comp_targetILNS1_3genE5ELNS1_11target_archE942ELNS1_3gpuE9ELNS1_3repE0EEENS1_30default_config_static_selectorELNS0_4arch9wavefront6targetE0EEEvSY_,"axG",@progbits,_ZN7rocprim17ROCPRIM_400000_NS6detail17trampoline_kernelINS0_13select_configILj256ELj13ELNS0_17block_load_methodE3ELS4_3ELS4_3ELNS0_20block_scan_algorithmE0ELj4294967295EEENS1_25partition_config_selectorILNS1_17partition_subalgoE3EjNS0_10empty_typeEbEEZZNS1_14partition_implILS8_3ELb0ES6_jNS0_17counting_iteratorIjlEEPS9_SE_NS0_5tupleIJPjSE_EEENSF_IJSE_SE_EEES9_SG_JZNS1_25segmented_radix_sort_implINS0_14default_configELb0EPKbPbPKlPlN2at6native12_GLOBAL__N_18offset_tEEE10hipError_tPvRmT1_PNSt15iterator_traitsISY_E10value_typeET2_T3_PNSZ_IS14_E10value_typeET4_jRbjT5_S1A_jjP12ihipStream_tbEUljE_EEESV_SW_SX_S14_S18_S1A_T6_T7_T9_mT8_S1C_bDpT10_ENKUlT_T0_E_clISt17integral_constantIbLb1EES1O_IbLb0EEEEDaS1K_S1L_EUlS1K_E_NS1_11comp_targetILNS1_3genE5ELNS1_11target_archE942ELNS1_3gpuE9ELNS1_3repE0EEENS1_30default_config_static_selectorELNS0_4arch9wavefront6targetE0EEEvSY_,comdat
	.globl	_ZN7rocprim17ROCPRIM_400000_NS6detail17trampoline_kernelINS0_13select_configILj256ELj13ELNS0_17block_load_methodE3ELS4_3ELS4_3ELNS0_20block_scan_algorithmE0ELj4294967295EEENS1_25partition_config_selectorILNS1_17partition_subalgoE3EjNS0_10empty_typeEbEEZZNS1_14partition_implILS8_3ELb0ES6_jNS0_17counting_iteratorIjlEEPS9_SE_NS0_5tupleIJPjSE_EEENSF_IJSE_SE_EEES9_SG_JZNS1_25segmented_radix_sort_implINS0_14default_configELb0EPKbPbPKlPlN2at6native12_GLOBAL__N_18offset_tEEE10hipError_tPvRmT1_PNSt15iterator_traitsISY_E10value_typeET2_T3_PNSZ_IS14_E10value_typeET4_jRbjT5_S1A_jjP12ihipStream_tbEUljE_EEESV_SW_SX_S14_S18_S1A_T6_T7_T9_mT8_S1C_bDpT10_ENKUlT_T0_E_clISt17integral_constantIbLb1EES1O_IbLb0EEEEDaS1K_S1L_EUlS1K_E_NS1_11comp_targetILNS1_3genE5ELNS1_11target_archE942ELNS1_3gpuE9ELNS1_3repE0EEENS1_30default_config_static_selectorELNS0_4arch9wavefront6targetE0EEEvSY_ ; -- Begin function _ZN7rocprim17ROCPRIM_400000_NS6detail17trampoline_kernelINS0_13select_configILj256ELj13ELNS0_17block_load_methodE3ELS4_3ELS4_3ELNS0_20block_scan_algorithmE0ELj4294967295EEENS1_25partition_config_selectorILNS1_17partition_subalgoE3EjNS0_10empty_typeEbEEZZNS1_14partition_implILS8_3ELb0ES6_jNS0_17counting_iteratorIjlEEPS9_SE_NS0_5tupleIJPjSE_EEENSF_IJSE_SE_EEES9_SG_JZNS1_25segmented_radix_sort_implINS0_14default_configELb0EPKbPbPKlPlN2at6native12_GLOBAL__N_18offset_tEEE10hipError_tPvRmT1_PNSt15iterator_traitsISY_E10value_typeET2_T3_PNSZ_IS14_E10value_typeET4_jRbjT5_S1A_jjP12ihipStream_tbEUljE_EEESV_SW_SX_S14_S18_S1A_T6_T7_T9_mT8_S1C_bDpT10_ENKUlT_T0_E_clISt17integral_constantIbLb1EES1O_IbLb0EEEEDaS1K_S1L_EUlS1K_E_NS1_11comp_targetILNS1_3genE5ELNS1_11target_archE942ELNS1_3gpuE9ELNS1_3repE0EEENS1_30default_config_static_selectorELNS0_4arch9wavefront6targetE0EEEvSY_
	.p2align	8
	.type	_ZN7rocprim17ROCPRIM_400000_NS6detail17trampoline_kernelINS0_13select_configILj256ELj13ELNS0_17block_load_methodE3ELS4_3ELS4_3ELNS0_20block_scan_algorithmE0ELj4294967295EEENS1_25partition_config_selectorILNS1_17partition_subalgoE3EjNS0_10empty_typeEbEEZZNS1_14partition_implILS8_3ELb0ES6_jNS0_17counting_iteratorIjlEEPS9_SE_NS0_5tupleIJPjSE_EEENSF_IJSE_SE_EEES9_SG_JZNS1_25segmented_radix_sort_implINS0_14default_configELb0EPKbPbPKlPlN2at6native12_GLOBAL__N_18offset_tEEE10hipError_tPvRmT1_PNSt15iterator_traitsISY_E10value_typeET2_T3_PNSZ_IS14_E10value_typeET4_jRbjT5_S1A_jjP12ihipStream_tbEUljE_EEESV_SW_SX_S14_S18_S1A_T6_T7_T9_mT8_S1C_bDpT10_ENKUlT_T0_E_clISt17integral_constantIbLb1EES1O_IbLb0EEEEDaS1K_S1L_EUlS1K_E_NS1_11comp_targetILNS1_3genE5ELNS1_11target_archE942ELNS1_3gpuE9ELNS1_3repE0EEENS1_30default_config_static_selectorELNS0_4arch9wavefront6targetE0EEEvSY_,@function
_ZN7rocprim17ROCPRIM_400000_NS6detail17trampoline_kernelINS0_13select_configILj256ELj13ELNS0_17block_load_methodE3ELS4_3ELS4_3ELNS0_20block_scan_algorithmE0ELj4294967295EEENS1_25partition_config_selectorILNS1_17partition_subalgoE3EjNS0_10empty_typeEbEEZZNS1_14partition_implILS8_3ELb0ES6_jNS0_17counting_iteratorIjlEEPS9_SE_NS0_5tupleIJPjSE_EEENSF_IJSE_SE_EEES9_SG_JZNS1_25segmented_radix_sort_implINS0_14default_configELb0EPKbPbPKlPlN2at6native12_GLOBAL__N_18offset_tEEE10hipError_tPvRmT1_PNSt15iterator_traitsISY_E10value_typeET2_T3_PNSZ_IS14_E10value_typeET4_jRbjT5_S1A_jjP12ihipStream_tbEUljE_EEESV_SW_SX_S14_S18_S1A_T6_T7_T9_mT8_S1C_bDpT10_ENKUlT_T0_E_clISt17integral_constantIbLb1EES1O_IbLb0EEEEDaS1K_S1L_EUlS1K_E_NS1_11comp_targetILNS1_3genE5ELNS1_11target_archE942ELNS1_3gpuE9ELNS1_3repE0EEENS1_30default_config_static_selectorELNS0_4arch9wavefront6targetE0EEEvSY_: ; @_ZN7rocprim17ROCPRIM_400000_NS6detail17trampoline_kernelINS0_13select_configILj256ELj13ELNS0_17block_load_methodE3ELS4_3ELS4_3ELNS0_20block_scan_algorithmE0ELj4294967295EEENS1_25partition_config_selectorILNS1_17partition_subalgoE3EjNS0_10empty_typeEbEEZZNS1_14partition_implILS8_3ELb0ES6_jNS0_17counting_iteratorIjlEEPS9_SE_NS0_5tupleIJPjSE_EEENSF_IJSE_SE_EEES9_SG_JZNS1_25segmented_radix_sort_implINS0_14default_configELb0EPKbPbPKlPlN2at6native12_GLOBAL__N_18offset_tEEE10hipError_tPvRmT1_PNSt15iterator_traitsISY_E10value_typeET2_T3_PNSZ_IS14_E10value_typeET4_jRbjT5_S1A_jjP12ihipStream_tbEUljE_EEESV_SW_SX_S14_S18_S1A_T6_T7_T9_mT8_S1C_bDpT10_ENKUlT_T0_E_clISt17integral_constantIbLb1EES1O_IbLb0EEEEDaS1K_S1L_EUlS1K_E_NS1_11comp_targetILNS1_3genE5ELNS1_11target_archE942ELNS1_3gpuE9ELNS1_3repE0EEENS1_30default_config_static_selectorELNS0_4arch9wavefront6targetE0EEEvSY_
; %bb.0:
	.section	.rodata,"a",@progbits
	.p2align	6, 0x0
	.amdhsa_kernel _ZN7rocprim17ROCPRIM_400000_NS6detail17trampoline_kernelINS0_13select_configILj256ELj13ELNS0_17block_load_methodE3ELS4_3ELS4_3ELNS0_20block_scan_algorithmE0ELj4294967295EEENS1_25partition_config_selectorILNS1_17partition_subalgoE3EjNS0_10empty_typeEbEEZZNS1_14partition_implILS8_3ELb0ES6_jNS0_17counting_iteratorIjlEEPS9_SE_NS0_5tupleIJPjSE_EEENSF_IJSE_SE_EEES9_SG_JZNS1_25segmented_radix_sort_implINS0_14default_configELb0EPKbPbPKlPlN2at6native12_GLOBAL__N_18offset_tEEE10hipError_tPvRmT1_PNSt15iterator_traitsISY_E10value_typeET2_T3_PNSZ_IS14_E10value_typeET4_jRbjT5_S1A_jjP12ihipStream_tbEUljE_EEESV_SW_SX_S14_S18_S1A_T6_T7_T9_mT8_S1C_bDpT10_ENKUlT_T0_E_clISt17integral_constantIbLb1EES1O_IbLb0EEEEDaS1K_S1L_EUlS1K_E_NS1_11comp_targetILNS1_3genE5ELNS1_11target_archE942ELNS1_3gpuE9ELNS1_3repE0EEENS1_30default_config_static_selectorELNS0_4arch9wavefront6targetE0EEEvSY_
		.amdhsa_group_segment_fixed_size 0
		.amdhsa_private_segment_fixed_size 0
		.amdhsa_kernarg_size 144
		.amdhsa_user_sgpr_count 2
		.amdhsa_user_sgpr_dispatch_ptr 0
		.amdhsa_user_sgpr_queue_ptr 0
		.amdhsa_user_sgpr_kernarg_segment_ptr 1
		.amdhsa_user_sgpr_dispatch_id 0
		.amdhsa_user_sgpr_private_segment_size 0
		.amdhsa_wavefront_size32 1
		.amdhsa_uses_dynamic_stack 0
		.amdhsa_enable_private_segment 0
		.amdhsa_system_sgpr_workgroup_id_x 1
		.amdhsa_system_sgpr_workgroup_id_y 0
		.amdhsa_system_sgpr_workgroup_id_z 0
		.amdhsa_system_sgpr_workgroup_info 0
		.amdhsa_system_vgpr_workitem_id 0
		.amdhsa_next_free_vgpr 1
		.amdhsa_next_free_sgpr 1
		.amdhsa_reserve_vcc 0
		.amdhsa_float_round_mode_32 0
		.amdhsa_float_round_mode_16_64 0
		.amdhsa_float_denorm_mode_32 3
		.amdhsa_float_denorm_mode_16_64 3
		.amdhsa_fp16_overflow 0
		.amdhsa_workgroup_processor_mode 1
		.amdhsa_memory_ordered 1
		.amdhsa_forward_progress 1
		.amdhsa_inst_pref_size 0
		.amdhsa_round_robin_scheduling 0
		.amdhsa_exception_fp_ieee_invalid_op 0
		.amdhsa_exception_fp_denorm_src 0
		.amdhsa_exception_fp_ieee_div_zero 0
		.amdhsa_exception_fp_ieee_overflow 0
		.amdhsa_exception_fp_ieee_underflow 0
		.amdhsa_exception_fp_ieee_inexact 0
		.amdhsa_exception_int_div_zero 0
	.end_amdhsa_kernel
	.section	.text._ZN7rocprim17ROCPRIM_400000_NS6detail17trampoline_kernelINS0_13select_configILj256ELj13ELNS0_17block_load_methodE3ELS4_3ELS4_3ELNS0_20block_scan_algorithmE0ELj4294967295EEENS1_25partition_config_selectorILNS1_17partition_subalgoE3EjNS0_10empty_typeEbEEZZNS1_14partition_implILS8_3ELb0ES6_jNS0_17counting_iteratorIjlEEPS9_SE_NS0_5tupleIJPjSE_EEENSF_IJSE_SE_EEES9_SG_JZNS1_25segmented_radix_sort_implINS0_14default_configELb0EPKbPbPKlPlN2at6native12_GLOBAL__N_18offset_tEEE10hipError_tPvRmT1_PNSt15iterator_traitsISY_E10value_typeET2_T3_PNSZ_IS14_E10value_typeET4_jRbjT5_S1A_jjP12ihipStream_tbEUljE_EEESV_SW_SX_S14_S18_S1A_T6_T7_T9_mT8_S1C_bDpT10_ENKUlT_T0_E_clISt17integral_constantIbLb1EES1O_IbLb0EEEEDaS1K_S1L_EUlS1K_E_NS1_11comp_targetILNS1_3genE5ELNS1_11target_archE942ELNS1_3gpuE9ELNS1_3repE0EEENS1_30default_config_static_selectorELNS0_4arch9wavefront6targetE0EEEvSY_,"axG",@progbits,_ZN7rocprim17ROCPRIM_400000_NS6detail17trampoline_kernelINS0_13select_configILj256ELj13ELNS0_17block_load_methodE3ELS4_3ELS4_3ELNS0_20block_scan_algorithmE0ELj4294967295EEENS1_25partition_config_selectorILNS1_17partition_subalgoE3EjNS0_10empty_typeEbEEZZNS1_14partition_implILS8_3ELb0ES6_jNS0_17counting_iteratorIjlEEPS9_SE_NS0_5tupleIJPjSE_EEENSF_IJSE_SE_EEES9_SG_JZNS1_25segmented_radix_sort_implINS0_14default_configELb0EPKbPbPKlPlN2at6native12_GLOBAL__N_18offset_tEEE10hipError_tPvRmT1_PNSt15iterator_traitsISY_E10value_typeET2_T3_PNSZ_IS14_E10value_typeET4_jRbjT5_S1A_jjP12ihipStream_tbEUljE_EEESV_SW_SX_S14_S18_S1A_T6_T7_T9_mT8_S1C_bDpT10_ENKUlT_T0_E_clISt17integral_constantIbLb1EES1O_IbLb0EEEEDaS1K_S1L_EUlS1K_E_NS1_11comp_targetILNS1_3genE5ELNS1_11target_archE942ELNS1_3gpuE9ELNS1_3repE0EEENS1_30default_config_static_selectorELNS0_4arch9wavefront6targetE0EEEvSY_,comdat
.Lfunc_end1620:
	.size	_ZN7rocprim17ROCPRIM_400000_NS6detail17trampoline_kernelINS0_13select_configILj256ELj13ELNS0_17block_load_methodE3ELS4_3ELS4_3ELNS0_20block_scan_algorithmE0ELj4294967295EEENS1_25partition_config_selectorILNS1_17partition_subalgoE3EjNS0_10empty_typeEbEEZZNS1_14partition_implILS8_3ELb0ES6_jNS0_17counting_iteratorIjlEEPS9_SE_NS0_5tupleIJPjSE_EEENSF_IJSE_SE_EEES9_SG_JZNS1_25segmented_radix_sort_implINS0_14default_configELb0EPKbPbPKlPlN2at6native12_GLOBAL__N_18offset_tEEE10hipError_tPvRmT1_PNSt15iterator_traitsISY_E10value_typeET2_T3_PNSZ_IS14_E10value_typeET4_jRbjT5_S1A_jjP12ihipStream_tbEUljE_EEESV_SW_SX_S14_S18_S1A_T6_T7_T9_mT8_S1C_bDpT10_ENKUlT_T0_E_clISt17integral_constantIbLb1EES1O_IbLb0EEEEDaS1K_S1L_EUlS1K_E_NS1_11comp_targetILNS1_3genE5ELNS1_11target_archE942ELNS1_3gpuE9ELNS1_3repE0EEENS1_30default_config_static_selectorELNS0_4arch9wavefront6targetE0EEEvSY_, .Lfunc_end1620-_ZN7rocprim17ROCPRIM_400000_NS6detail17trampoline_kernelINS0_13select_configILj256ELj13ELNS0_17block_load_methodE3ELS4_3ELS4_3ELNS0_20block_scan_algorithmE0ELj4294967295EEENS1_25partition_config_selectorILNS1_17partition_subalgoE3EjNS0_10empty_typeEbEEZZNS1_14partition_implILS8_3ELb0ES6_jNS0_17counting_iteratorIjlEEPS9_SE_NS0_5tupleIJPjSE_EEENSF_IJSE_SE_EEES9_SG_JZNS1_25segmented_radix_sort_implINS0_14default_configELb0EPKbPbPKlPlN2at6native12_GLOBAL__N_18offset_tEEE10hipError_tPvRmT1_PNSt15iterator_traitsISY_E10value_typeET2_T3_PNSZ_IS14_E10value_typeET4_jRbjT5_S1A_jjP12ihipStream_tbEUljE_EEESV_SW_SX_S14_S18_S1A_T6_T7_T9_mT8_S1C_bDpT10_ENKUlT_T0_E_clISt17integral_constantIbLb1EES1O_IbLb0EEEEDaS1K_S1L_EUlS1K_E_NS1_11comp_targetILNS1_3genE5ELNS1_11target_archE942ELNS1_3gpuE9ELNS1_3repE0EEENS1_30default_config_static_selectorELNS0_4arch9wavefront6targetE0EEEvSY_
                                        ; -- End function
	.set _ZN7rocprim17ROCPRIM_400000_NS6detail17trampoline_kernelINS0_13select_configILj256ELj13ELNS0_17block_load_methodE3ELS4_3ELS4_3ELNS0_20block_scan_algorithmE0ELj4294967295EEENS1_25partition_config_selectorILNS1_17partition_subalgoE3EjNS0_10empty_typeEbEEZZNS1_14partition_implILS8_3ELb0ES6_jNS0_17counting_iteratorIjlEEPS9_SE_NS0_5tupleIJPjSE_EEENSF_IJSE_SE_EEES9_SG_JZNS1_25segmented_radix_sort_implINS0_14default_configELb0EPKbPbPKlPlN2at6native12_GLOBAL__N_18offset_tEEE10hipError_tPvRmT1_PNSt15iterator_traitsISY_E10value_typeET2_T3_PNSZ_IS14_E10value_typeET4_jRbjT5_S1A_jjP12ihipStream_tbEUljE_EEESV_SW_SX_S14_S18_S1A_T6_T7_T9_mT8_S1C_bDpT10_ENKUlT_T0_E_clISt17integral_constantIbLb1EES1O_IbLb0EEEEDaS1K_S1L_EUlS1K_E_NS1_11comp_targetILNS1_3genE5ELNS1_11target_archE942ELNS1_3gpuE9ELNS1_3repE0EEENS1_30default_config_static_selectorELNS0_4arch9wavefront6targetE0EEEvSY_.num_vgpr, 0
	.set _ZN7rocprim17ROCPRIM_400000_NS6detail17trampoline_kernelINS0_13select_configILj256ELj13ELNS0_17block_load_methodE3ELS4_3ELS4_3ELNS0_20block_scan_algorithmE0ELj4294967295EEENS1_25partition_config_selectorILNS1_17partition_subalgoE3EjNS0_10empty_typeEbEEZZNS1_14partition_implILS8_3ELb0ES6_jNS0_17counting_iteratorIjlEEPS9_SE_NS0_5tupleIJPjSE_EEENSF_IJSE_SE_EEES9_SG_JZNS1_25segmented_radix_sort_implINS0_14default_configELb0EPKbPbPKlPlN2at6native12_GLOBAL__N_18offset_tEEE10hipError_tPvRmT1_PNSt15iterator_traitsISY_E10value_typeET2_T3_PNSZ_IS14_E10value_typeET4_jRbjT5_S1A_jjP12ihipStream_tbEUljE_EEESV_SW_SX_S14_S18_S1A_T6_T7_T9_mT8_S1C_bDpT10_ENKUlT_T0_E_clISt17integral_constantIbLb1EES1O_IbLb0EEEEDaS1K_S1L_EUlS1K_E_NS1_11comp_targetILNS1_3genE5ELNS1_11target_archE942ELNS1_3gpuE9ELNS1_3repE0EEENS1_30default_config_static_selectorELNS0_4arch9wavefront6targetE0EEEvSY_.num_agpr, 0
	.set _ZN7rocprim17ROCPRIM_400000_NS6detail17trampoline_kernelINS0_13select_configILj256ELj13ELNS0_17block_load_methodE3ELS4_3ELS4_3ELNS0_20block_scan_algorithmE0ELj4294967295EEENS1_25partition_config_selectorILNS1_17partition_subalgoE3EjNS0_10empty_typeEbEEZZNS1_14partition_implILS8_3ELb0ES6_jNS0_17counting_iteratorIjlEEPS9_SE_NS0_5tupleIJPjSE_EEENSF_IJSE_SE_EEES9_SG_JZNS1_25segmented_radix_sort_implINS0_14default_configELb0EPKbPbPKlPlN2at6native12_GLOBAL__N_18offset_tEEE10hipError_tPvRmT1_PNSt15iterator_traitsISY_E10value_typeET2_T3_PNSZ_IS14_E10value_typeET4_jRbjT5_S1A_jjP12ihipStream_tbEUljE_EEESV_SW_SX_S14_S18_S1A_T6_T7_T9_mT8_S1C_bDpT10_ENKUlT_T0_E_clISt17integral_constantIbLb1EES1O_IbLb0EEEEDaS1K_S1L_EUlS1K_E_NS1_11comp_targetILNS1_3genE5ELNS1_11target_archE942ELNS1_3gpuE9ELNS1_3repE0EEENS1_30default_config_static_selectorELNS0_4arch9wavefront6targetE0EEEvSY_.numbered_sgpr, 0
	.set _ZN7rocprim17ROCPRIM_400000_NS6detail17trampoline_kernelINS0_13select_configILj256ELj13ELNS0_17block_load_methodE3ELS4_3ELS4_3ELNS0_20block_scan_algorithmE0ELj4294967295EEENS1_25partition_config_selectorILNS1_17partition_subalgoE3EjNS0_10empty_typeEbEEZZNS1_14partition_implILS8_3ELb0ES6_jNS0_17counting_iteratorIjlEEPS9_SE_NS0_5tupleIJPjSE_EEENSF_IJSE_SE_EEES9_SG_JZNS1_25segmented_radix_sort_implINS0_14default_configELb0EPKbPbPKlPlN2at6native12_GLOBAL__N_18offset_tEEE10hipError_tPvRmT1_PNSt15iterator_traitsISY_E10value_typeET2_T3_PNSZ_IS14_E10value_typeET4_jRbjT5_S1A_jjP12ihipStream_tbEUljE_EEESV_SW_SX_S14_S18_S1A_T6_T7_T9_mT8_S1C_bDpT10_ENKUlT_T0_E_clISt17integral_constantIbLb1EES1O_IbLb0EEEEDaS1K_S1L_EUlS1K_E_NS1_11comp_targetILNS1_3genE5ELNS1_11target_archE942ELNS1_3gpuE9ELNS1_3repE0EEENS1_30default_config_static_selectorELNS0_4arch9wavefront6targetE0EEEvSY_.num_named_barrier, 0
	.set _ZN7rocprim17ROCPRIM_400000_NS6detail17trampoline_kernelINS0_13select_configILj256ELj13ELNS0_17block_load_methodE3ELS4_3ELS4_3ELNS0_20block_scan_algorithmE0ELj4294967295EEENS1_25partition_config_selectorILNS1_17partition_subalgoE3EjNS0_10empty_typeEbEEZZNS1_14partition_implILS8_3ELb0ES6_jNS0_17counting_iteratorIjlEEPS9_SE_NS0_5tupleIJPjSE_EEENSF_IJSE_SE_EEES9_SG_JZNS1_25segmented_radix_sort_implINS0_14default_configELb0EPKbPbPKlPlN2at6native12_GLOBAL__N_18offset_tEEE10hipError_tPvRmT1_PNSt15iterator_traitsISY_E10value_typeET2_T3_PNSZ_IS14_E10value_typeET4_jRbjT5_S1A_jjP12ihipStream_tbEUljE_EEESV_SW_SX_S14_S18_S1A_T6_T7_T9_mT8_S1C_bDpT10_ENKUlT_T0_E_clISt17integral_constantIbLb1EES1O_IbLb0EEEEDaS1K_S1L_EUlS1K_E_NS1_11comp_targetILNS1_3genE5ELNS1_11target_archE942ELNS1_3gpuE9ELNS1_3repE0EEENS1_30default_config_static_selectorELNS0_4arch9wavefront6targetE0EEEvSY_.private_seg_size, 0
	.set _ZN7rocprim17ROCPRIM_400000_NS6detail17trampoline_kernelINS0_13select_configILj256ELj13ELNS0_17block_load_methodE3ELS4_3ELS4_3ELNS0_20block_scan_algorithmE0ELj4294967295EEENS1_25partition_config_selectorILNS1_17partition_subalgoE3EjNS0_10empty_typeEbEEZZNS1_14partition_implILS8_3ELb0ES6_jNS0_17counting_iteratorIjlEEPS9_SE_NS0_5tupleIJPjSE_EEENSF_IJSE_SE_EEES9_SG_JZNS1_25segmented_radix_sort_implINS0_14default_configELb0EPKbPbPKlPlN2at6native12_GLOBAL__N_18offset_tEEE10hipError_tPvRmT1_PNSt15iterator_traitsISY_E10value_typeET2_T3_PNSZ_IS14_E10value_typeET4_jRbjT5_S1A_jjP12ihipStream_tbEUljE_EEESV_SW_SX_S14_S18_S1A_T6_T7_T9_mT8_S1C_bDpT10_ENKUlT_T0_E_clISt17integral_constantIbLb1EES1O_IbLb0EEEEDaS1K_S1L_EUlS1K_E_NS1_11comp_targetILNS1_3genE5ELNS1_11target_archE942ELNS1_3gpuE9ELNS1_3repE0EEENS1_30default_config_static_selectorELNS0_4arch9wavefront6targetE0EEEvSY_.uses_vcc, 0
	.set _ZN7rocprim17ROCPRIM_400000_NS6detail17trampoline_kernelINS0_13select_configILj256ELj13ELNS0_17block_load_methodE3ELS4_3ELS4_3ELNS0_20block_scan_algorithmE0ELj4294967295EEENS1_25partition_config_selectorILNS1_17partition_subalgoE3EjNS0_10empty_typeEbEEZZNS1_14partition_implILS8_3ELb0ES6_jNS0_17counting_iteratorIjlEEPS9_SE_NS0_5tupleIJPjSE_EEENSF_IJSE_SE_EEES9_SG_JZNS1_25segmented_radix_sort_implINS0_14default_configELb0EPKbPbPKlPlN2at6native12_GLOBAL__N_18offset_tEEE10hipError_tPvRmT1_PNSt15iterator_traitsISY_E10value_typeET2_T3_PNSZ_IS14_E10value_typeET4_jRbjT5_S1A_jjP12ihipStream_tbEUljE_EEESV_SW_SX_S14_S18_S1A_T6_T7_T9_mT8_S1C_bDpT10_ENKUlT_T0_E_clISt17integral_constantIbLb1EES1O_IbLb0EEEEDaS1K_S1L_EUlS1K_E_NS1_11comp_targetILNS1_3genE5ELNS1_11target_archE942ELNS1_3gpuE9ELNS1_3repE0EEENS1_30default_config_static_selectorELNS0_4arch9wavefront6targetE0EEEvSY_.uses_flat_scratch, 0
	.set _ZN7rocprim17ROCPRIM_400000_NS6detail17trampoline_kernelINS0_13select_configILj256ELj13ELNS0_17block_load_methodE3ELS4_3ELS4_3ELNS0_20block_scan_algorithmE0ELj4294967295EEENS1_25partition_config_selectorILNS1_17partition_subalgoE3EjNS0_10empty_typeEbEEZZNS1_14partition_implILS8_3ELb0ES6_jNS0_17counting_iteratorIjlEEPS9_SE_NS0_5tupleIJPjSE_EEENSF_IJSE_SE_EEES9_SG_JZNS1_25segmented_radix_sort_implINS0_14default_configELb0EPKbPbPKlPlN2at6native12_GLOBAL__N_18offset_tEEE10hipError_tPvRmT1_PNSt15iterator_traitsISY_E10value_typeET2_T3_PNSZ_IS14_E10value_typeET4_jRbjT5_S1A_jjP12ihipStream_tbEUljE_EEESV_SW_SX_S14_S18_S1A_T6_T7_T9_mT8_S1C_bDpT10_ENKUlT_T0_E_clISt17integral_constantIbLb1EES1O_IbLb0EEEEDaS1K_S1L_EUlS1K_E_NS1_11comp_targetILNS1_3genE5ELNS1_11target_archE942ELNS1_3gpuE9ELNS1_3repE0EEENS1_30default_config_static_selectorELNS0_4arch9wavefront6targetE0EEEvSY_.has_dyn_sized_stack, 0
	.set _ZN7rocprim17ROCPRIM_400000_NS6detail17trampoline_kernelINS0_13select_configILj256ELj13ELNS0_17block_load_methodE3ELS4_3ELS4_3ELNS0_20block_scan_algorithmE0ELj4294967295EEENS1_25partition_config_selectorILNS1_17partition_subalgoE3EjNS0_10empty_typeEbEEZZNS1_14partition_implILS8_3ELb0ES6_jNS0_17counting_iteratorIjlEEPS9_SE_NS0_5tupleIJPjSE_EEENSF_IJSE_SE_EEES9_SG_JZNS1_25segmented_radix_sort_implINS0_14default_configELb0EPKbPbPKlPlN2at6native12_GLOBAL__N_18offset_tEEE10hipError_tPvRmT1_PNSt15iterator_traitsISY_E10value_typeET2_T3_PNSZ_IS14_E10value_typeET4_jRbjT5_S1A_jjP12ihipStream_tbEUljE_EEESV_SW_SX_S14_S18_S1A_T6_T7_T9_mT8_S1C_bDpT10_ENKUlT_T0_E_clISt17integral_constantIbLb1EES1O_IbLb0EEEEDaS1K_S1L_EUlS1K_E_NS1_11comp_targetILNS1_3genE5ELNS1_11target_archE942ELNS1_3gpuE9ELNS1_3repE0EEENS1_30default_config_static_selectorELNS0_4arch9wavefront6targetE0EEEvSY_.has_recursion, 0
	.set _ZN7rocprim17ROCPRIM_400000_NS6detail17trampoline_kernelINS0_13select_configILj256ELj13ELNS0_17block_load_methodE3ELS4_3ELS4_3ELNS0_20block_scan_algorithmE0ELj4294967295EEENS1_25partition_config_selectorILNS1_17partition_subalgoE3EjNS0_10empty_typeEbEEZZNS1_14partition_implILS8_3ELb0ES6_jNS0_17counting_iteratorIjlEEPS9_SE_NS0_5tupleIJPjSE_EEENSF_IJSE_SE_EEES9_SG_JZNS1_25segmented_radix_sort_implINS0_14default_configELb0EPKbPbPKlPlN2at6native12_GLOBAL__N_18offset_tEEE10hipError_tPvRmT1_PNSt15iterator_traitsISY_E10value_typeET2_T3_PNSZ_IS14_E10value_typeET4_jRbjT5_S1A_jjP12ihipStream_tbEUljE_EEESV_SW_SX_S14_S18_S1A_T6_T7_T9_mT8_S1C_bDpT10_ENKUlT_T0_E_clISt17integral_constantIbLb1EES1O_IbLb0EEEEDaS1K_S1L_EUlS1K_E_NS1_11comp_targetILNS1_3genE5ELNS1_11target_archE942ELNS1_3gpuE9ELNS1_3repE0EEENS1_30default_config_static_selectorELNS0_4arch9wavefront6targetE0EEEvSY_.has_indirect_call, 0
	.section	.AMDGPU.csdata,"",@progbits
; Kernel info:
; codeLenInByte = 0
; TotalNumSgprs: 0
; NumVgprs: 0
; ScratchSize: 0
; MemoryBound: 0
; FloatMode: 240
; IeeeMode: 1
; LDSByteSize: 0 bytes/workgroup (compile time only)
; SGPRBlocks: 0
; VGPRBlocks: 0
; NumSGPRsForWavesPerEU: 1
; NumVGPRsForWavesPerEU: 1
; Occupancy: 16
; WaveLimiterHint : 0
; COMPUTE_PGM_RSRC2:SCRATCH_EN: 0
; COMPUTE_PGM_RSRC2:USER_SGPR: 2
; COMPUTE_PGM_RSRC2:TRAP_HANDLER: 0
; COMPUTE_PGM_RSRC2:TGID_X_EN: 1
; COMPUTE_PGM_RSRC2:TGID_Y_EN: 0
; COMPUTE_PGM_RSRC2:TGID_Z_EN: 0
; COMPUTE_PGM_RSRC2:TIDIG_COMP_CNT: 0
	.section	.text._ZN7rocprim17ROCPRIM_400000_NS6detail17trampoline_kernelINS0_13select_configILj256ELj13ELNS0_17block_load_methodE3ELS4_3ELS4_3ELNS0_20block_scan_algorithmE0ELj4294967295EEENS1_25partition_config_selectorILNS1_17partition_subalgoE3EjNS0_10empty_typeEbEEZZNS1_14partition_implILS8_3ELb0ES6_jNS0_17counting_iteratorIjlEEPS9_SE_NS0_5tupleIJPjSE_EEENSF_IJSE_SE_EEES9_SG_JZNS1_25segmented_radix_sort_implINS0_14default_configELb0EPKbPbPKlPlN2at6native12_GLOBAL__N_18offset_tEEE10hipError_tPvRmT1_PNSt15iterator_traitsISY_E10value_typeET2_T3_PNSZ_IS14_E10value_typeET4_jRbjT5_S1A_jjP12ihipStream_tbEUljE_EEESV_SW_SX_S14_S18_S1A_T6_T7_T9_mT8_S1C_bDpT10_ENKUlT_T0_E_clISt17integral_constantIbLb1EES1O_IbLb0EEEEDaS1K_S1L_EUlS1K_E_NS1_11comp_targetILNS1_3genE4ELNS1_11target_archE910ELNS1_3gpuE8ELNS1_3repE0EEENS1_30default_config_static_selectorELNS0_4arch9wavefront6targetE0EEEvSY_,"axG",@progbits,_ZN7rocprim17ROCPRIM_400000_NS6detail17trampoline_kernelINS0_13select_configILj256ELj13ELNS0_17block_load_methodE3ELS4_3ELS4_3ELNS0_20block_scan_algorithmE0ELj4294967295EEENS1_25partition_config_selectorILNS1_17partition_subalgoE3EjNS0_10empty_typeEbEEZZNS1_14partition_implILS8_3ELb0ES6_jNS0_17counting_iteratorIjlEEPS9_SE_NS0_5tupleIJPjSE_EEENSF_IJSE_SE_EEES9_SG_JZNS1_25segmented_radix_sort_implINS0_14default_configELb0EPKbPbPKlPlN2at6native12_GLOBAL__N_18offset_tEEE10hipError_tPvRmT1_PNSt15iterator_traitsISY_E10value_typeET2_T3_PNSZ_IS14_E10value_typeET4_jRbjT5_S1A_jjP12ihipStream_tbEUljE_EEESV_SW_SX_S14_S18_S1A_T6_T7_T9_mT8_S1C_bDpT10_ENKUlT_T0_E_clISt17integral_constantIbLb1EES1O_IbLb0EEEEDaS1K_S1L_EUlS1K_E_NS1_11comp_targetILNS1_3genE4ELNS1_11target_archE910ELNS1_3gpuE8ELNS1_3repE0EEENS1_30default_config_static_selectorELNS0_4arch9wavefront6targetE0EEEvSY_,comdat
	.globl	_ZN7rocprim17ROCPRIM_400000_NS6detail17trampoline_kernelINS0_13select_configILj256ELj13ELNS0_17block_load_methodE3ELS4_3ELS4_3ELNS0_20block_scan_algorithmE0ELj4294967295EEENS1_25partition_config_selectorILNS1_17partition_subalgoE3EjNS0_10empty_typeEbEEZZNS1_14partition_implILS8_3ELb0ES6_jNS0_17counting_iteratorIjlEEPS9_SE_NS0_5tupleIJPjSE_EEENSF_IJSE_SE_EEES9_SG_JZNS1_25segmented_radix_sort_implINS0_14default_configELb0EPKbPbPKlPlN2at6native12_GLOBAL__N_18offset_tEEE10hipError_tPvRmT1_PNSt15iterator_traitsISY_E10value_typeET2_T3_PNSZ_IS14_E10value_typeET4_jRbjT5_S1A_jjP12ihipStream_tbEUljE_EEESV_SW_SX_S14_S18_S1A_T6_T7_T9_mT8_S1C_bDpT10_ENKUlT_T0_E_clISt17integral_constantIbLb1EES1O_IbLb0EEEEDaS1K_S1L_EUlS1K_E_NS1_11comp_targetILNS1_3genE4ELNS1_11target_archE910ELNS1_3gpuE8ELNS1_3repE0EEENS1_30default_config_static_selectorELNS0_4arch9wavefront6targetE0EEEvSY_ ; -- Begin function _ZN7rocprim17ROCPRIM_400000_NS6detail17trampoline_kernelINS0_13select_configILj256ELj13ELNS0_17block_load_methodE3ELS4_3ELS4_3ELNS0_20block_scan_algorithmE0ELj4294967295EEENS1_25partition_config_selectorILNS1_17partition_subalgoE3EjNS0_10empty_typeEbEEZZNS1_14partition_implILS8_3ELb0ES6_jNS0_17counting_iteratorIjlEEPS9_SE_NS0_5tupleIJPjSE_EEENSF_IJSE_SE_EEES9_SG_JZNS1_25segmented_radix_sort_implINS0_14default_configELb0EPKbPbPKlPlN2at6native12_GLOBAL__N_18offset_tEEE10hipError_tPvRmT1_PNSt15iterator_traitsISY_E10value_typeET2_T3_PNSZ_IS14_E10value_typeET4_jRbjT5_S1A_jjP12ihipStream_tbEUljE_EEESV_SW_SX_S14_S18_S1A_T6_T7_T9_mT8_S1C_bDpT10_ENKUlT_T0_E_clISt17integral_constantIbLb1EES1O_IbLb0EEEEDaS1K_S1L_EUlS1K_E_NS1_11comp_targetILNS1_3genE4ELNS1_11target_archE910ELNS1_3gpuE8ELNS1_3repE0EEENS1_30default_config_static_selectorELNS0_4arch9wavefront6targetE0EEEvSY_
	.p2align	8
	.type	_ZN7rocprim17ROCPRIM_400000_NS6detail17trampoline_kernelINS0_13select_configILj256ELj13ELNS0_17block_load_methodE3ELS4_3ELS4_3ELNS0_20block_scan_algorithmE0ELj4294967295EEENS1_25partition_config_selectorILNS1_17partition_subalgoE3EjNS0_10empty_typeEbEEZZNS1_14partition_implILS8_3ELb0ES6_jNS0_17counting_iteratorIjlEEPS9_SE_NS0_5tupleIJPjSE_EEENSF_IJSE_SE_EEES9_SG_JZNS1_25segmented_radix_sort_implINS0_14default_configELb0EPKbPbPKlPlN2at6native12_GLOBAL__N_18offset_tEEE10hipError_tPvRmT1_PNSt15iterator_traitsISY_E10value_typeET2_T3_PNSZ_IS14_E10value_typeET4_jRbjT5_S1A_jjP12ihipStream_tbEUljE_EEESV_SW_SX_S14_S18_S1A_T6_T7_T9_mT8_S1C_bDpT10_ENKUlT_T0_E_clISt17integral_constantIbLb1EES1O_IbLb0EEEEDaS1K_S1L_EUlS1K_E_NS1_11comp_targetILNS1_3genE4ELNS1_11target_archE910ELNS1_3gpuE8ELNS1_3repE0EEENS1_30default_config_static_selectorELNS0_4arch9wavefront6targetE0EEEvSY_,@function
_ZN7rocprim17ROCPRIM_400000_NS6detail17trampoline_kernelINS0_13select_configILj256ELj13ELNS0_17block_load_methodE3ELS4_3ELS4_3ELNS0_20block_scan_algorithmE0ELj4294967295EEENS1_25partition_config_selectorILNS1_17partition_subalgoE3EjNS0_10empty_typeEbEEZZNS1_14partition_implILS8_3ELb0ES6_jNS0_17counting_iteratorIjlEEPS9_SE_NS0_5tupleIJPjSE_EEENSF_IJSE_SE_EEES9_SG_JZNS1_25segmented_radix_sort_implINS0_14default_configELb0EPKbPbPKlPlN2at6native12_GLOBAL__N_18offset_tEEE10hipError_tPvRmT1_PNSt15iterator_traitsISY_E10value_typeET2_T3_PNSZ_IS14_E10value_typeET4_jRbjT5_S1A_jjP12ihipStream_tbEUljE_EEESV_SW_SX_S14_S18_S1A_T6_T7_T9_mT8_S1C_bDpT10_ENKUlT_T0_E_clISt17integral_constantIbLb1EES1O_IbLb0EEEEDaS1K_S1L_EUlS1K_E_NS1_11comp_targetILNS1_3genE4ELNS1_11target_archE910ELNS1_3gpuE8ELNS1_3repE0EEENS1_30default_config_static_selectorELNS0_4arch9wavefront6targetE0EEEvSY_: ; @_ZN7rocprim17ROCPRIM_400000_NS6detail17trampoline_kernelINS0_13select_configILj256ELj13ELNS0_17block_load_methodE3ELS4_3ELS4_3ELNS0_20block_scan_algorithmE0ELj4294967295EEENS1_25partition_config_selectorILNS1_17partition_subalgoE3EjNS0_10empty_typeEbEEZZNS1_14partition_implILS8_3ELb0ES6_jNS0_17counting_iteratorIjlEEPS9_SE_NS0_5tupleIJPjSE_EEENSF_IJSE_SE_EEES9_SG_JZNS1_25segmented_radix_sort_implINS0_14default_configELb0EPKbPbPKlPlN2at6native12_GLOBAL__N_18offset_tEEE10hipError_tPvRmT1_PNSt15iterator_traitsISY_E10value_typeET2_T3_PNSZ_IS14_E10value_typeET4_jRbjT5_S1A_jjP12ihipStream_tbEUljE_EEESV_SW_SX_S14_S18_S1A_T6_T7_T9_mT8_S1C_bDpT10_ENKUlT_T0_E_clISt17integral_constantIbLb1EES1O_IbLb0EEEEDaS1K_S1L_EUlS1K_E_NS1_11comp_targetILNS1_3genE4ELNS1_11target_archE910ELNS1_3gpuE8ELNS1_3repE0EEENS1_30default_config_static_selectorELNS0_4arch9wavefront6targetE0EEEvSY_
; %bb.0:
	.section	.rodata,"a",@progbits
	.p2align	6, 0x0
	.amdhsa_kernel _ZN7rocprim17ROCPRIM_400000_NS6detail17trampoline_kernelINS0_13select_configILj256ELj13ELNS0_17block_load_methodE3ELS4_3ELS4_3ELNS0_20block_scan_algorithmE0ELj4294967295EEENS1_25partition_config_selectorILNS1_17partition_subalgoE3EjNS0_10empty_typeEbEEZZNS1_14partition_implILS8_3ELb0ES6_jNS0_17counting_iteratorIjlEEPS9_SE_NS0_5tupleIJPjSE_EEENSF_IJSE_SE_EEES9_SG_JZNS1_25segmented_radix_sort_implINS0_14default_configELb0EPKbPbPKlPlN2at6native12_GLOBAL__N_18offset_tEEE10hipError_tPvRmT1_PNSt15iterator_traitsISY_E10value_typeET2_T3_PNSZ_IS14_E10value_typeET4_jRbjT5_S1A_jjP12ihipStream_tbEUljE_EEESV_SW_SX_S14_S18_S1A_T6_T7_T9_mT8_S1C_bDpT10_ENKUlT_T0_E_clISt17integral_constantIbLb1EES1O_IbLb0EEEEDaS1K_S1L_EUlS1K_E_NS1_11comp_targetILNS1_3genE4ELNS1_11target_archE910ELNS1_3gpuE8ELNS1_3repE0EEENS1_30default_config_static_selectorELNS0_4arch9wavefront6targetE0EEEvSY_
		.amdhsa_group_segment_fixed_size 0
		.amdhsa_private_segment_fixed_size 0
		.amdhsa_kernarg_size 144
		.amdhsa_user_sgpr_count 2
		.amdhsa_user_sgpr_dispatch_ptr 0
		.amdhsa_user_sgpr_queue_ptr 0
		.amdhsa_user_sgpr_kernarg_segment_ptr 1
		.amdhsa_user_sgpr_dispatch_id 0
		.amdhsa_user_sgpr_private_segment_size 0
		.amdhsa_wavefront_size32 1
		.amdhsa_uses_dynamic_stack 0
		.amdhsa_enable_private_segment 0
		.amdhsa_system_sgpr_workgroup_id_x 1
		.amdhsa_system_sgpr_workgroup_id_y 0
		.amdhsa_system_sgpr_workgroup_id_z 0
		.amdhsa_system_sgpr_workgroup_info 0
		.amdhsa_system_vgpr_workitem_id 0
		.amdhsa_next_free_vgpr 1
		.amdhsa_next_free_sgpr 1
		.amdhsa_reserve_vcc 0
		.amdhsa_float_round_mode_32 0
		.amdhsa_float_round_mode_16_64 0
		.amdhsa_float_denorm_mode_32 3
		.amdhsa_float_denorm_mode_16_64 3
		.amdhsa_fp16_overflow 0
		.amdhsa_workgroup_processor_mode 1
		.amdhsa_memory_ordered 1
		.amdhsa_forward_progress 1
		.amdhsa_inst_pref_size 0
		.amdhsa_round_robin_scheduling 0
		.amdhsa_exception_fp_ieee_invalid_op 0
		.amdhsa_exception_fp_denorm_src 0
		.amdhsa_exception_fp_ieee_div_zero 0
		.amdhsa_exception_fp_ieee_overflow 0
		.amdhsa_exception_fp_ieee_underflow 0
		.amdhsa_exception_fp_ieee_inexact 0
		.amdhsa_exception_int_div_zero 0
	.end_amdhsa_kernel
	.section	.text._ZN7rocprim17ROCPRIM_400000_NS6detail17trampoline_kernelINS0_13select_configILj256ELj13ELNS0_17block_load_methodE3ELS4_3ELS4_3ELNS0_20block_scan_algorithmE0ELj4294967295EEENS1_25partition_config_selectorILNS1_17partition_subalgoE3EjNS0_10empty_typeEbEEZZNS1_14partition_implILS8_3ELb0ES6_jNS0_17counting_iteratorIjlEEPS9_SE_NS0_5tupleIJPjSE_EEENSF_IJSE_SE_EEES9_SG_JZNS1_25segmented_radix_sort_implINS0_14default_configELb0EPKbPbPKlPlN2at6native12_GLOBAL__N_18offset_tEEE10hipError_tPvRmT1_PNSt15iterator_traitsISY_E10value_typeET2_T3_PNSZ_IS14_E10value_typeET4_jRbjT5_S1A_jjP12ihipStream_tbEUljE_EEESV_SW_SX_S14_S18_S1A_T6_T7_T9_mT8_S1C_bDpT10_ENKUlT_T0_E_clISt17integral_constantIbLb1EES1O_IbLb0EEEEDaS1K_S1L_EUlS1K_E_NS1_11comp_targetILNS1_3genE4ELNS1_11target_archE910ELNS1_3gpuE8ELNS1_3repE0EEENS1_30default_config_static_selectorELNS0_4arch9wavefront6targetE0EEEvSY_,"axG",@progbits,_ZN7rocprim17ROCPRIM_400000_NS6detail17trampoline_kernelINS0_13select_configILj256ELj13ELNS0_17block_load_methodE3ELS4_3ELS4_3ELNS0_20block_scan_algorithmE0ELj4294967295EEENS1_25partition_config_selectorILNS1_17partition_subalgoE3EjNS0_10empty_typeEbEEZZNS1_14partition_implILS8_3ELb0ES6_jNS0_17counting_iteratorIjlEEPS9_SE_NS0_5tupleIJPjSE_EEENSF_IJSE_SE_EEES9_SG_JZNS1_25segmented_radix_sort_implINS0_14default_configELb0EPKbPbPKlPlN2at6native12_GLOBAL__N_18offset_tEEE10hipError_tPvRmT1_PNSt15iterator_traitsISY_E10value_typeET2_T3_PNSZ_IS14_E10value_typeET4_jRbjT5_S1A_jjP12ihipStream_tbEUljE_EEESV_SW_SX_S14_S18_S1A_T6_T7_T9_mT8_S1C_bDpT10_ENKUlT_T0_E_clISt17integral_constantIbLb1EES1O_IbLb0EEEEDaS1K_S1L_EUlS1K_E_NS1_11comp_targetILNS1_3genE4ELNS1_11target_archE910ELNS1_3gpuE8ELNS1_3repE0EEENS1_30default_config_static_selectorELNS0_4arch9wavefront6targetE0EEEvSY_,comdat
.Lfunc_end1621:
	.size	_ZN7rocprim17ROCPRIM_400000_NS6detail17trampoline_kernelINS0_13select_configILj256ELj13ELNS0_17block_load_methodE3ELS4_3ELS4_3ELNS0_20block_scan_algorithmE0ELj4294967295EEENS1_25partition_config_selectorILNS1_17partition_subalgoE3EjNS0_10empty_typeEbEEZZNS1_14partition_implILS8_3ELb0ES6_jNS0_17counting_iteratorIjlEEPS9_SE_NS0_5tupleIJPjSE_EEENSF_IJSE_SE_EEES9_SG_JZNS1_25segmented_radix_sort_implINS0_14default_configELb0EPKbPbPKlPlN2at6native12_GLOBAL__N_18offset_tEEE10hipError_tPvRmT1_PNSt15iterator_traitsISY_E10value_typeET2_T3_PNSZ_IS14_E10value_typeET4_jRbjT5_S1A_jjP12ihipStream_tbEUljE_EEESV_SW_SX_S14_S18_S1A_T6_T7_T9_mT8_S1C_bDpT10_ENKUlT_T0_E_clISt17integral_constantIbLb1EES1O_IbLb0EEEEDaS1K_S1L_EUlS1K_E_NS1_11comp_targetILNS1_3genE4ELNS1_11target_archE910ELNS1_3gpuE8ELNS1_3repE0EEENS1_30default_config_static_selectorELNS0_4arch9wavefront6targetE0EEEvSY_, .Lfunc_end1621-_ZN7rocprim17ROCPRIM_400000_NS6detail17trampoline_kernelINS0_13select_configILj256ELj13ELNS0_17block_load_methodE3ELS4_3ELS4_3ELNS0_20block_scan_algorithmE0ELj4294967295EEENS1_25partition_config_selectorILNS1_17partition_subalgoE3EjNS0_10empty_typeEbEEZZNS1_14partition_implILS8_3ELb0ES6_jNS0_17counting_iteratorIjlEEPS9_SE_NS0_5tupleIJPjSE_EEENSF_IJSE_SE_EEES9_SG_JZNS1_25segmented_radix_sort_implINS0_14default_configELb0EPKbPbPKlPlN2at6native12_GLOBAL__N_18offset_tEEE10hipError_tPvRmT1_PNSt15iterator_traitsISY_E10value_typeET2_T3_PNSZ_IS14_E10value_typeET4_jRbjT5_S1A_jjP12ihipStream_tbEUljE_EEESV_SW_SX_S14_S18_S1A_T6_T7_T9_mT8_S1C_bDpT10_ENKUlT_T0_E_clISt17integral_constantIbLb1EES1O_IbLb0EEEEDaS1K_S1L_EUlS1K_E_NS1_11comp_targetILNS1_3genE4ELNS1_11target_archE910ELNS1_3gpuE8ELNS1_3repE0EEENS1_30default_config_static_selectorELNS0_4arch9wavefront6targetE0EEEvSY_
                                        ; -- End function
	.set _ZN7rocprim17ROCPRIM_400000_NS6detail17trampoline_kernelINS0_13select_configILj256ELj13ELNS0_17block_load_methodE3ELS4_3ELS4_3ELNS0_20block_scan_algorithmE0ELj4294967295EEENS1_25partition_config_selectorILNS1_17partition_subalgoE3EjNS0_10empty_typeEbEEZZNS1_14partition_implILS8_3ELb0ES6_jNS0_17counting_iteratorIjlEEPS9_SE_NS0_5tupleIJPjSE_EEENSF_IJSE_SE_EEES9_SG_JZNS1_25segmented_radix_sort_implINS0_14default_configELb0EPKbPbPKlPlN2at6native12_GLOBAL__N_18offset_tEEE10hipError_tPvRmT1_PNSt15iterator_traitsISY_E10value_typeET2_T3_PNSZ_IS14_E10value_typeET4_jRbjT5_S1A_jjP12ihipStream_tbEUljE_EEESV_SW_SX_S14_S18_S1A_T6_T7_T9_mT8_S1C_bDpT10_ENKUlT_T0_E_clISt17integral_constantIbLb1EES1O_IbLb0EEEEDaS1K_S1L_EUlS1K_E_NS1_11comp_targetILNS1_3genE4ELNS1_11target_archE910ELNS1_3gpuE8ELNS1_3repE0EEENS1_30default_config_static_selectorELNS0_4arch9wavefront6targetE0EEEvSY_.num_vgpr, 0
	.set _ZN7rocprim17ROCPRIM_400000_NS6detail17trampoline_kernelINS0_13select_configILj256ELj13ELNS0_17block_load_methodE3ELS4_3ELS4_3ELNS0_20block_scan_algorithmE0ELj4294967295EEENS1_25partition_config_selectorILNS1_17partition_subalgoE3EjNS0_10empty_typeEbEEZZNS1_14partition_implILS8_3ELb0ES6_jNS0_17counting_iteratorIjlEEPS9_SE_NS0_5tupleIJPjSE_EEENSF_IJSE_SE_EEES9_SG_JZNS1_25segmented_radix_sort_implINS0_14default_configELb0EPKbPbPKlPlN2at6native12_GLOBAL__N_18offset_tEEE10hipError_tPvRmT1_PNSt15iterator_traitsISY_E10value_typeET2_T3_PNSZ_IS14_E10value_typeET4_jRbjT5_S1A_jjP12ihipStream_tbEUljE_EEESV_SW_SX_S14_S18_S1A_T6_T7_T9_mT8_S1C_bDpT10_ENKUlT_T0_E_clISt17integral_constantIbLb1EES1O_IbLb0EEEEDaS1K_S1L_EUlS1K_E_NS1_11comp_targetILNS1_3genE4ELNS1_11target_archE910ELNS1_3gpuE8ELNS1_3repE0EEENS1_30default_config_static_selectorELNS0_4arch9wavefront6targetE0EEEvSY_.num_agpr, 0
	.set _ZN7rocprim17ROCPRIM_400000_NS6detail17trampoline_kernelINS0_13select_configILj256ELj13ELNS0_17block_load_methodE3ELS4_3ELS4_3ELNS0_20block_scan_algorithmE0ELj4294967295EEENS1_25partition_config_selectorILNS1_17partition_subalgoE3EjNS0_10empty_typeEbEEZZNS1_14partition_implILS8_3ELb0ES6_jNS0_17counting_iteratorIjlEEPS9_SE_NS0_5tupleIJPjSE_EEENSF_IJSE_SE_EEES9_SG_JZNS1_25segmented_radix_sort_implINS0_14default_configELb0EPKbPbPKlPlN2at6native12_GLOBAL__N_18offset_tEEE10hipError_tPvRmT1_PNSt15iterator_traitsISY_E10value_typeET2_T3_PNSZ_IS14_E10value_typeET4_jRbjT5_S1A_jjP12ihipStream_tbEUljE_EEESV_SW_SX_S14_S18_S1A_T6_T7_T9_mT8_S1C_bDpT10_ENKUlT_T0_E_clISt17integral_constantIbLb1EES1O_IbLb0EEEEDaS1K_S1L_EUlS1K_E_NS1_11comp_targetILNS1_3genE4ELNS1_11target_archE910ELNS1_3gpuE8ELNS1_3repE0EEENS1_30default_config_static_selectorELNS0_4arch9wavefront6targetE0EEEvSY_.numbered_sgpr, 0
	.set _ZN7rocprim17ROCPRIM_400000_NS6detail17trampoline_kernelINS0_13select_configILj256ELj13ELNS0_17block_load_methodE3ELS4_3ELS4_3ELNS0_20block_scan_algorithmE0ELj4294967295EEENS1_25partition_config_selectorILNS1_17partition_subalgoE3EjNS0_10empty_typeEbEEZZNS1_14partition_implILS8_3ELb0ES6_jNS0_17counting_iteratorIjlEEPS9_SE_NS0_5tupleIJPjSE_EEENSF_IJSE_SE_EEES9_SG_JZNS1_25segmented_radix_sort_implINS0_14default_configELb0EPKbPbPKlPlN2at6native12_GLOBAL__N_18offset_tEEE10hipError_tPvRmT1_PNSt15iterator_traitsISY_E10value_typeET2_T3_PNSZ_IS14_E10value_typeET4_jRbjT5_S1A_jjP12ihipStream_tbEUljE_EEESV_SW_SX_S14_S18_S1A_T6_T7_T9_mT8_S1C_bDpT10_ENKUlT_T0_E_clISt17integral_constantIbLb1EES1O_IbLb0EEEEDaS1K_S1L_EUlS1K_E_NS1_11comp_targetILNS1_3genE4ELNS1_11target_archE910ELNS1_3gpuE8ELNS1_3repE0EEENS1_30default_config_static_selectorELNS0_4arch9wavefront6targetE0EEEvSY_.num_named_barrier, 0
	.set _ZN7rocprim17ROCPRIM_400000_NS6detail17trampoline_kernelINS0_13select_configILj256ELj13ELNS0_17block_load_methodE3ELS4_3ELS4_3ELNS0_20block_scan_algorithmE0ELj4294967295EEENS1_25partition_config_selectorILNS1_17partition_subalgoE3EjNS0_10empty_typeEbEEZZNS1_14partition_implILS8_3ELb0ES6_jNS0_17counting_iteratorIjlEEPS9_SE_NS0_5tupleIJPjSE_EEENSF_IJSE_SE_EEES9_SG_JZNS1_25segmented_radix_sort_implINS0_14default_configELb0EPKbPbPKlPlN2at6native12_GLOBAL__N_18offset_tEEE10hipError_tPvRmT1_PNSt15iterator_traitsISY_E10value_typeET2_T3_PNSZ_IS14_E10value_typeET4_jRbjT5_S1A_jjP12ihipStream_tbEUljE_EEESV_SW_SX_S14_S18_S1A_T6_T7_T9_mT8_S1C_bDpT10_ENKUlT_T0_E_clISt17integral_constantIbLb1EES1O_IbLb0EEEEDaS1K_S1L_EUlS1K_E_NS1_11comp_targetILNS1_3genE4ELNS1_11target_archE910ELNS1_3gpuE8ELNS1_3repE0EEENS1_30default_config_static_selectorELNS0_4arch9wavefront6targetE0EEEvSY_.private_seg_size, 0
	.set _ZN7rocprim17ROCPRIM_400000_NS6detail17trampoline_kernelINS0_13select_configILj256ELj13ELNS0_17block_load_methodE3ELS4_3ELS4_3ELNS0_20block_scan_algorithmE0ELj4294967295EEENS1_25partition_config_selectorILNS1_17partition_subalgoE3EjNS0_10empty_typeEbEEZZNS1_14partition_implILS8_3ELb0ES6_jNS0_17counting_iteratorIjlEEPS9_SE_NS0_5tupleIJPjSE_EEENSF_IJSE_SE_EEES9_SG_JZNS1_25segmented_radix_sort_implINS0_14default_configELb0EPKbPbPKlPlN2at6native12_GLOBAL__N_18offset_tEEE10hipError_tPvRmT1_PNSt15iterator_traitsISY_E10value_typeET2_T3_PNSZ_IS14_E10value_typeET4_jRbjT5_S1A_jjP12ihipStream_tbEUljE_EEESV_SW_SX_S14_S18_S1A_T6_T7_T9_mT8_S1C_bDpT10_ENKUlT_T0_E_clISt17integral_constantIbLb1EES1O_IbLb0EEEEDaS1K_S1L_EUlS1K_E_NS1_11comp_targetILNS1_3genE4ELNS1_11target_archE910ELNS1_3gpuE8ELNS1_3repE0EEENS1_30default_config_static_selectorELNS0_4arch9wavefront6targetE0EEEvSY_.uses_vcc, 0
	.set _ZN7rocprim17ROCPRIM_400000_NS6detail17trampoline_kernelINS0_13select_configILj256ELj13ELNS0_17block_load_methodE3ELS4_3ELS4_3ELNS0_20block_scan_algorithmE0ELj4294967295EEENS1_25partition_config_selectorILNS1_17partition_subalgoE3EjNS0_10empty_typeEbEEZZNS1_14partition_implILS8_3ELb0ES6_jNS0_17counting_iteratorIjlEEPS9_SE_NS0_5tupleIJPjSE_EEENSF_IJSE_SE_EEES9_SG_JZNS1_25segmented_radix_sort_implINS0_14default_configELb0EPKbPbPKlPlN2at6native12_GLOBAL__N_18offset_tEEE10hipError_tPvRmT1_PNSt15iterator_traitsISY_E10value_typeET2_T3_PNSZ_IS14_E10value_typeET4_jRbjT5_S1A_jjP12ihipStream_tbEUljE_EEESV_SW_SX_S14_S18_S1A_T6_T7_T9_mT8_S1C_bDpT10_ENKUlT_T0_E_clISt17integral_constantIbLb1EES1O_IbLb0EEEEDaS1K_S1L_EUlS1K_E_NS1_11comp_targetILNS1_3genE4ELNS1_11target_archE910ELNS1_3gpuE8ELNS1_3repE0EEENS1_30default_config_static_selectorELNS0_4arch9wavefront6targetE0EEEvSY_.uses_flat_scratch, 0
	.set _ZN7rocprim17ROCPRIM_400000_NS6detail17trampoline_kernelINS0_13select_configILj256ELj13ELNS0_17block_load_methodE3ELS4_3ELS4_3ELNS0_20block_scan_algorithmE0ELj4294967295EEENS1_25partition_config_selectorILNS1_17partition_subalgoE3EjNS0_10empty_typeEbEEZZNS1_14partition_implILS8_3ELb0ES6_jNS0_17counting_iteratorIjlEEPS9_SE_NS0_5tupleIJPjSE_EEENSF_IJSE_SE_EEES9_SG_JZNS1_25segmented_radix_sort_implINS0_14default_configELb0EPKbPbPKlPlN2at6native12_GLOBAL__N_18offset_tEEE10hipError_tPvRmT1_PNSt15iterator_traitsISY_E10value_typeET2_T3_PNSZ_IS14_E10value_typeET4_jRbjT5_S1A_jjP12ihipStream_tbEUljE_EEESV_SW_SX_S14_S18_S1A_T6_T7_T9_mT8_S1C_bDpT10_ENKUlT_T0_E_clISt17integral_constantIbLb1EES1O_IbLb0EEEEDaS1K_S1L_EUlS1K_E_NS1_11comp_targetILNS1_3genE4ELNS1_11target_archE910ELNS1_3gpuE8ELNS1_3repE0EEENS1_30default_config_static_selectorELNS0_4arch9wavefront6targetE0EEEvSY_.has_dyn_sized_stack, 0
	.set _ZN7rocprim17ROCPRIM_400000_NS6detail17trampoline_kernelINS0_13select_configILj256ELj13ELNS0_17block_load_methodE3ELS4_3ELS4_3ELNS0_20block_scan_algorithmE0ELj4294967295EEENS1_25partition_config_selectorILNS1_17partition_subalgoE3EjNS0_10empty_typeEbEEZZNS1_14partition_implILS8_3ELb0ES6_jNS0_17counting_iteratorIjlEEPS9_SE_NS0_5tupleIJPjSE_EEENSF_IJSE_SE_EEES9_SG_JZNS1_25segmented_radix_sort_implINS0_14default_configELb0EPKbPbPKlPlN2at6native12_GLOBAL__N_18offset_tEEE10hipError_tPvRmT1_PNSt15iterator_traitsISY_E10value_typeET2_T3_PNSZ_IS14_E10value_typeET4_jRbjT5_S1A_jjP12ihipStream_tbEUljE_EEESV_SW_SX_S14_S18_S1A_T6_T7_T9_mT8_S1C_bDpT10_ENKUlT_T0_E_clISt17integral_constantIbLb1EES1O_IbLb0EEEEDaS1K_S1L_EUlS1K_E_NS1_11comp_targetILNS1_3genE4ELNS1_11target_archE910ELNS1_3gpuE8ELNS1_3repE0EEENS1_30default_config_static_selectorELNS0_4arch9wavefront6targetE0EEEvSY_.has_recursion, 0
	.set _ZN7rocprim17ROCPRIM_400000_NS6detail17trampoline_kernelINS0_13select_configILj256ELj13ELNS0_17block_load_methodE3ELS4_3ELS4_3ELNS0_20block_scan_algorithmE0ELj4294967295EEENS1_25partition_config_selectorILNS1_17partition_subalgoE3EjNS0_10empty_typeEbEEZZNS1_14partition_implILS8_3ELb0ES6_jNS0_17counting_iteratorIjlEEPS9_SE_NS0_5tupleIJPjSE_EEENSF_IJSE_SE_EEES9_SG_JZNS1_25segmented_radix_sort_implINS0_14default_configELb0EPKbPbPKlPlN2at6native12_GLOBAL__N_18offset_tEEE10hipError_tPvRmT1_PNSt15iterator_traitsISY_E10value_typeET2_T3_PNSZ_IS14_E10value_typeET4_jRbjT5_S1A_jjP12ihipStream_tbEUljE_EEESV_SW_SX_S14_S18_S1A_T6_T7_T9_mT8_S1C_bDpT10_ENKUlT_T0_E_clISt17integral_constantIbLb1EES1O_IbLb0EEEEDaS1K_S1L_EUlS1K_E_NS1_11comp_targetILNS1_3genE4ELNS1_11target_archE910ELNS1_3gpuE8ELNS1_3repE0EEENS1_30default_config_static_selectorELNS0_4arch9wavefront6targetE0EEEvSY_.has_indirect_call, 0
	.section	.AMDGPU.csdata,"",@progbits
; Kernel info:
; codeLenInByte = 0
; TotalNumSgprs: 0
; NumVgprs: 0
; ScratchSize: 0
; MemoryBound: 0
; FloatMode: 240
; IeeeMode: 1
; LDSByteSize: 0 bytes/workgroup (compile time only)
; SGPRBlocks: 0
; VGPRBlocks: 0
; NumSGPRsForWavesPerEU: 1
; NumVGPRsForWavesPerEU: 1
; Occupancy: 16
; WaveLimiterHint : 0
; COMPUTE_PGM_RSRC2:SCRATCH_EN: 0
; COMPUTE_PGM_RSRC2:USER_SGPR: 2
; COMPUTE_PGM_RSRC2:TRAP_HANDLER: 0
; COMPUTE_PGM_RSRC2:TGID_X_EN: 1
; COMPUTE_PGM_RSRC2:TGID_Y_EN: 0
; COMPUTE_PGM_RSRC2:TGID_Z_EN: 0
; COMPUTE_PGM_RSRC2:TIDIG_COMP_CNT: 0
	.section	.text._ZN7rocprim17ROCPRIM_400000_NS6detail17trampoline_kernelINS0_13select_configILj256ELj13ELNS0_17block_load_methodE3ELS4_3ELS4_3ELNS0_20block_scan_algorithmE0ELj4294967295EEENS1_25partition_config_selectorILNS1_17partition_subalgoE3EjNS0_10empty_typeEbEEZZNS1_14partition_implILS8_3ELb0ES6_jNS0_17counting_iteratorIjlEEPS9_SE_NS0_5tupleIJPjSE_EEENSF_IJSE_SE_EEES9_SG_JZNS1_25segmented_radix_sort_implINS0_14default_configELb0EPKbPbPKlPlN2at6native12_GLOBAL__N_18offset_tEEE10hipError_tPvRmT1_PNSt15iterator_traitsISY_E10value_typeET2_T3_PNSZ_IS14_E10value_typeET4_jRbjT5_S1A_jjP12ihipStream_tbEUljE_EEESV_SW_SX_S14_S18_S1A_T6_T7_T9_mT8_S1C_bDpT10_ENKUlT_T0_E_clISt17integral_constantIbLb1EES1O_IbLb0EEEEDaS1K_S1L_EUlS1K_E_NS1_11comp_targetILNS1_3genE3ELNS1_11target_archE908ELNS1_3gpuE7ELNS1_3repE0EEENS1_30default_config_static_selectorELNS0_4arch9wavefront6targetE0EEEvSY_,"axG",@progbits,_ZN7rocprim17ROCPRIM_400000_NS6detail17trampoline_kernelINS0_13select_configILj256ELj13ELNS0_17block_load_methodE3ELS4_3ELS4_3ELNS0_20block_scan_algorithmE0ELj4294967295EEENS1_25partition_config_selectorILNS1_17partition_subalgoE3EjNS0_10empty_typeEbEEZZNS1_14partition_implILS8_3ELb0ES6_jNS0_17counting_iteratorIjlEEPS9_SE_NS0_5tupleIJPjSE_EEENSF_IJSE_SE_EEES9_SG_JZNS1_25segmented_radix_sort_implINS0_14default_configELb0EPKbPbPKlPlN2at6native12_GLOBAL__N_18offset_tEEE10hipError_tPvRmT1_PNSt15iterator_traitsISY_E10value_typeET2_T3_PNSZ_IS14_E10value_typeET4_jRbjT5_S1A_jjP12ihipStream_tbEUljE_EEESV_SW_SX_S14_S18_S1A_T6_T7_T9_mT8_S1C_bDpT10_ENKUlT_T0_E_clISt17integral_constantIbLb1EES1O_IbLb0EEEEDaS1K_S1L_EUlS1K_E_NS1_11comp_targetILNS1_3genE3ELNS1_11target_archE908ELNS1_3gpuE7ELNS1_3repE0EEENS1_30default_config_static_selectorELNS0_4arch9wavefront6targetE0EEEvSY_,comdat
	.globl	_ZN7rocprim17ROCPRIM_400000_NS6detail17trampoline_kernelINS0_13select_configILj256ELj13ELNS0_17block_load_methodE3ELS4_3ELS4_3ELNS0_20block_scan_algorithmE0ELj4294967295EEENS1_25partition_config_selectorILNS1_17partition_subalgoE3EjNS0_10empty_typeEbEEZZNS1_14partition_implILS8_3ELb0ES6_jNS0_17counting_iteratorIjlEEPS9_SE_NS0_5tupleIJPjSE_EEENSF_IJSE_SE_EEES9_SG_JZNS1_25segmented_radix_sort_implINS0_14default_configELb0EPKbPbPKlPlN2at6native12_GLOBAL__N_18offset_tEEE10hipError_tPvRmT1_PNSt15iterator_traitsISY_E10value_typeET2_T3_PNSZ_IS14_E10value_typeET4_jRbjT5_S1A_jjP12ihipStream_tbEUljE_EEESV_SW_SX_S14_S18_S1A_T6_T7_T9_mT8_S1C_bDpT10_ENKUlT_T0_E_clISt17integral_constantIbLb1EES1O_IbLb0EEEEDaS1K_S1L_EUlS1K_E_NS1_11comp_targetILNS1_3genE3ELNS1_11target_archE908ELNS1_3gpuE7ELNS1_3repE0EEENS1_30default_config_static_selectorELNS0_4arch9wavefront6targetE0EEEvSY_ ; -- Begin function _ZN7rocprim17ROCPRIM_400000_NS6detail17trampoline_kernelINS0_13select_configILj256ELj13ELNS0_17block_load_methodE3ELS4_3ELS4_3ELNS0_20block_scan_algorithmE0ELj4294967295EEENS1_25partition_config_selectorILNS1_17partition_subalgoE3EjNS0_10empty_typeEbEEZZNS1_14partition_implILS8_3ELb0ES6_jNS0_17counting_iteratorIjlEEPS9_SE_NS0_5tupleIJPjSE_EEENSF_IJSE_SE_EEES9_SG_JZNS1_25segmented_radix_sort_implINS0_14default_configELb0EPKbPbPKlPlN2at6native12_GLOBAL__N_18offset_tEEE10hipError_tPvRmT1_PNSt15iterator_traitsISY_E10value_typeET2_T3_PNSZ_IS14_E10value_typeET4_jRbjT5_S1A_jjP12ihipStream_tbEUljE_EEESV_SW_SX_S14_S18_S1A_T6_T7_T9_mT8_S1C_bDpT10_ENKUlT_T0_E_clISt17integral_constantIbLb1EES1O_IbLb0EEEEDaS1K_S1L_EUlS1K_E_NS1_11comp_targetILNS1_3genE3ELNS1_11target_archE908ELNS1_3gpuE7ELNS1_3repE0EEENS1_30default_config_static_selectorELNS0_4arch9wavefront6targetE0EEEvSY_
	.p2align	8
	.type	_ZN7rocprim17ROCPRIM_400000_NS6detail17trampoline_kernelINS0_13select_configILj256ELj13ELNS0_17block_load_methodE3ELS4_3ELS4_3ELNS0_20block_scan_algorithmE0ELj4294967295EEENS1_25partition_config_selectorILNS1_17partition_subalgoE3EjNS0_10empty_typeEbEEZZNS1_14partition_implILS8_3ELb0ES6_jNS0_17counting_iteratorIjlEEPS9_SE_NS0_5tupleIJPjSE_EEENSF_IJSE_SE_EEES9_SG_JZNS1_25segmented_radix_sort_implINS0_14default_configELb0EPKbPbPKlPlN2at6native12_GLOBAL__N_18offset_tEEE10hipError_tPvRmT1_PNSt15iterator_traitsISY_E10value_typeET2_T3_PNSZ_IS14_E10value_typeET4_jRbjT5_S1A_jjP12ihipStream_tbEUljE_EEESV_SW_SX_S14_S18_S1A_T6_T7_T9_mT8_S1C_bDpT10_ENKUlT_T0_E_clISt17integral_constantIbLb1EES1O_IbLb0EEEEDaS1K_S1L_EUlS1K_E_NS1_11comp_targetILNS1_3genE3ELNS1_11target_archE908ELNS1_3gpuE7ELNS1_3repE0EEENS1_30default_config_static_selectorELNS0_4arch9wavefront6targetE0EEEvSY_,@function
_ZN7rocprim17ROCPRIM_400000_NS6detail17trampoline_kernelINS0_13select_configILj256ELj13ELNS0_17block_load_methodE3ELS4_3ELS4_3ELNS0_20block_scan_algorithmE0ELj4294967295EEENS1_25partition_config_selectorILNS1_17partition_subalgoE3EjNS0_10empty_typeEbEEZZNS1_14partition_implILS8_3ELb0ES6_jNS0_17counting_iteratorIjlEEPS9_SE_NS0_5tupleIJPjSE_EEENSF_IJSE_SE_EEES9_SG_JZNS1_25segmented_radix_sort_implINS0_14default_configELb0EPKbPbPKlPlN2at6native12_GLOBAL__N_18offset_tEEE10hipError_tPvRmT1_PNSt15iterator_traitsISY_E10value_typeET2_T3_PNSZ_IS14_E10value_typeET4_jRbjT5_S1A_jjP12ihipStream_tbEUljE_EEESV_SW_SX_S14_S18_S1A_T6_T7_T9_mT8_S1C_bDpT10_ENKUlT_T0_E_clISt17integral_constantIbLb1EES1O_IbLb0EEEEDaS1K_S1L_EUlS1K_E_NS1_11comp_targetILNS1_3genE3ELNS1_11target_archE908ELNS1_3gpuE7ELNS1_3repE0EEENS1_30default_config_static_selectorELNS0_4arch9wavefront6targetE0EEEvSY_: ; @_ZN7rocprim17ROCPRIM_400000_NS6detail17trampoline_kernelINS0_13select_configILj256ELj13ELNS0_17block_load_methodE3ELS4_3ELS4_3ELNS0_20block_scan_algorithmE0ELj4294967295EEENS1_25partition_config_selectorILNS1_17partition_subalgoE3EjNS0_10empty_typeEbEEZZNS1_14partition_implILS8_3ELb0ES6_jNS0_17counting_iteratorIjlEEPS9_SE_NS0_5tupleIJPjSE_EEENSF_IJSE_SE_EEES9_SG_JZNS1_25segmented_radix_sort_implINS0_14default_configELb0EPKbPbPKlPlN2at6native12_GLOBAL__N_18offset_tEEE10hipError_tPvRmT1_PNSt15iterator_traitsISY_E10value_typeET2_T3_PNSZ_IS14_E10value_typeET4_jRbjT5_S1A_jjP12ihipStream_tbEUljE_EEESV_SW_SX_S14_S18_S1A_T6_T7_T9_mT8_S1C_bDpT10_ENKUlT_T0_E_clISt17integral_constantIbLb1EES1O_IbLb0EEEEDaS1K_S1L_EUlS1K_E_NS1_11comp_targetILNS1_3genE3ELNS1_11target_archE908ELNS1_3gpuE7ELNS1_3repE0EEENS1_30default_config_static_selectorELNS0_4arch9wavefront6targetE0EEEvSY_
; %bb.0:
	.section	.rodata,"a",@progbits
	.p2align	6, 0x0
	.amdhsa_kernel _ZN7rocprim17ROCPRIM_400000_NS6detail17trampoline_kernelINS0_13select_configILj256ELj13ELNS0_17block_load_methodE3ELS4_3ELS4_3ELNS0_20block_scan_algorithmE0ELj4294967295EEENS1_25partition_config_selectorILNS1_17partition_subalgoE3EjNS0_10empty_typeEbEEZZNS1_14partition_implILS8_3ELb0ES6_jNS0_17counting_iteratorIjlEEPS9_SE_NS0_5tupleIJPjSE_EEENSF_IJSE_SE_EEES9_SG_JZNS1_25segmented_radix_sort_implINS0_14default_configELb0EPKbPbPKlPlN2at6native12_GLOBAL__N_18offset_tEEE10hipError_tPvRmT1_PNSt15iterator_traitsISY_E10value_typeET2_T3_PNSZ_IS14_E10value_typeET4_jRbjT5_S1A_jjP12ihipStream_tbEUljE_EEESV_SW_SX_S14_S18_S1A_T6_T7_T9_mT8_S1C_bDpT10_ENKUlT_T0_E_clISt17integral_constantIbLb1EES1O_IbLb0EEEEDaS1K_S1L_EUlS1K_E_NS1_11comp_targetILNS1_3genE3ELNS1_11target_archE908ELNS1_3gpuE7ELNS1_3repE0EEENS1_30default_config_static_selectorELNS0_4arch9wavefront6targetE0EEEvSY_
		.amdhsa_group_segment_fixed_size 0
		.amdhsa_private_segment_fixed_size 0
		.amdhsa_kernarg_size 144
		.amdhsa_user_sgpr_count 2
		.amdhsa_user_sgpr_dispatch_ptr 0
		.amdhsa_user_sgpr_queue_ptr 0
		.amdhsa_user_sgpr_kernarg_segment_ptr 1
		.amdhsa_user_sgpr_dispatch_id 0
		.amdhsa_user_sgpr_private_segment_size 0
		.amdhsa_wavefront_size32 1
		.amdhsa_uses_dynamic_stack 0
		.amdhsa_enable_private_segment 0
		.amdhsa_system_sgpr_workgroup_id_x 1
		.amdhsa_system_sgpr_workgroup_id_y 0
		.amdhsa_system_sgpr_workgroup_id_z 0
		.amdhsa_system_sgpr_workgroup_info 0
		.amdhsa_system_vgpr_workitem_id 0
		.amdhsa_next_free_vgpr 1
		.amdhsa_next_free_sgpr 1
		.amdhsa_reserve_vcc 0
		.amdhsa_float_round_mode_32 0
		.amdhsa_float_round_mode_16_64 0
		.amdhsa_float_denorm_mode_32 3
		.amdhsa_float_denorm_mode_16_64 3
		.amdhsa_fp16_overflow 0
		.amdhsa_workgroup_processor_mode 1
		.amdhsa_memory_ordered 1
		.amdhsa_forward_progress 1
		.amdhsa_inst_pref_size 0
		.amdhsa_round_robin_scheduling 0
		.amdhsa_exception_fp_ieee_invalid_op 0
		.amdhsa_exception_fp_denorm_src 0
		.amdhsa_exception_fp_ieee_div_zero 0
		.amdhsa_exception_fp_ieee_overflow 0
		.amdhsa_exception_fp_ieee_underflow 0
		.amdhsa_exception_fp_ieee_inexact 0
		.amdhsa_exception_int_div_zero 0
	.end_amdhsa_kernel
	.section	.text._ZN7rocprim17ROCPRIM_400000_NS6detail17trampoline_kernelINS0_13select_configILj256ELj13ELNS0_17block_load_methodE3ELS4_3ELS4_3ELNS0_20block_scan_algorithmE0ELj4294967295EEENS1_25partition_config_selectorILNS1_17partition_subalgoE3EjNS0_10empty_typeEbEEZZNS1_14partition_implILS8_3ELb0ES6_jNS0_17counting_iteratorIjlEEPS9_SE_NS0_5tupleIJPjSE_EEENSF_IJSE_SE_EEES9_SG_JZNS1_25segmented_radix_sort_implINS0_14default_configELb0EPKbPbPKlPlN2at6native12_GLOBAL__N_18offset_tEEE10hipError_tPvRmT1_PNSt15iterator_traitsISY_E10value_typeET2_T3_PNSZ_IS14_E10value_typeET4_jRbjT5_S1A_jjP12ihipStream_tbEUljE_EEESV_SW_SX_S14_S18_S1A_T6_T7_T9_mT8_S1C_bDpT10_ENKUlT_T0_E_clISt17integral_constantIbLb1EES1O_IbLb0EEEEDaS1K_S1L_EUlS1K_E_NS1_11comp_targetILNS1_3genE3ELNS1_11target_archE908ELNS1_3gpuE7ELNS1_3repE0EEENS1_30default_config_static_selectorELNS0_4arch9wavefront6targetE0EEEvSY_,"axG",@progbits,_ZN7rocprim17ROCPRIM_400000_NS6detail17trampoline_kernelINS0_13select_configILj256ELj13ELNS0_17block_load_methodE3ELS4_3ELS4_3ELNS0_20block_scan_algorithmE0ELj4294967295EEENS1_25partition_config_selectorILNS1_17partition_subalgoE3EjNS0_10empty_typeEbEEZZNS1_14partition_implILS8_3ELb0ES6_jNS0_17counting_iteratorIjlEEPS9_SE_NS0_5tupleIJPjSE_EEENSF_IJSE_SE_EEES9_SG_JZNS1_25segmented_radix_sort_implINS0_14default_configELb0EPKbPbPKlPlN2at6native12_GLOBAL__N_18offset_tEEE10hipError_tPvRmT1_PNSt15iterator_traitsISY_E10value_typeET2_T3_PNSZ_IS14_E10value_typeET4_jRbjT5_S1A_jjP12ihipStream_tbEUljE_EEESV_SW_SX_S14_S18_S1A_T6_T7_T9_mT8_S1C_bDpT10_ENKUlT_T0_E_clISt17integral_constantIbLb1EES1O_IbLb0EEEEDaS1K_S1L_EUlS1K_E_NS1_11comp_targetILNS1_3genE3ELNS1_11target_archE908ELNS1_3gpuE7ELNS1_3repE0EEENS1_30default_config_static_selectorELNS0_4arch9wavefront6targetE0EEEvSY_,comdat
.Lfunc_end1622:
	.size	_ZN7rocprim17ROCPRIM_400000_NS6detail17trampoline_kernelINS0_13select_configILj256ELj13ELNS0_17block_load_methodE3ELS4_3ELS4_3ELNS0_20block_scan_algorithmE0ELj4294967295EEENS1_25partition_config_selectorILNS1_17partition_subalgoE3EjNS0_10empty_typeEbEEZZNS1_14partition_implILS8_3ELb0ES6_jNS0_17counting_iteratorIjlEEPS9_SE_NS0_5tupleIJPjSE_EEENSF_IJSE_SE_EEES9_SG_JZNS1_25segmented_radix_sort_implINS0_14default_configELb0EPKbPbPKlPlN2at6native12_GLOBAL__N_18offset_tEEE10hipError_tPvRmT1_PNSt15iterator_traitsISY_E10value_typeET2_T3_PNSZ_IS14_E10value_typeET4_jRbjT5_S1A_jjP12ihipStream_tbEUljE_EEESV_SW_SX_S14_S18_S1A_T6_T7_T9_mT8_S1C_bDpT10_ENKUlT_T0_E_clISt17integral_constantIbLb1EES1O_IbLb0EEEEDaS1K_S1L_EUlS1K_E_NS1_11comp_targetILNS1_3genE3ELNS1_11target_archE908ELNS1_3gpuE7ELNS1_3repE0EEENS1_30default_config_static_selectorELNS0_4arch9wavefront6targetE0EEEvSY_, .Lfunc_end1622-_ZN7rocprim17ROCPRIM_400000_NS6detail17trampoline_kernelINS0_13select_configILj256ELj13ELNS0_17block_load_methodE3ELS4_3ELS4_3ELNS0_20block_scan_algorithmE0ELj4294967295EEENS1_25partition_config_selectorILNS1_17partition_subalgoE3EjNS0_10empty_typeEbEEZZNS1_14partition_implILS8_3ELb0ES6_jNS0_17counting_iteratorIjlEEPS9_SE_NS0_5tupleIJPjSE_EEENSF_IJSE_SE_EEES9_SG_JZNS1_25segmented_radix_sort_implINS0_14default_configELb0EPKbPbPKlPlN2at6native12_GLOBAL__N_18offset_tEEE10hipError_tPvRmT1_PNSt15iterator_traitsISY_E10value_typeET2_T3_PNSZ_IS14_E10value_typeET4_jRbjT5_S1A_jjP12ihipStream_tbEUljE_EEESV_SW_SX_S14_S18_S1A_T6_T7_T9_mT8_S1C_bDpT10_ENKUlT_T0_E_clISt17integral_constantIbLb1EES1O_IbLb0EEEEDaS1K_S1L_EUlS1K_E_NS1_11comp_targetILNS1_3genE3ELNS1_11target_archE908ELNS1_3gpuE7ELNS1_3repE0EEENS1_30default_config_static_selectorELNS0_4arch9wavefront6targetE0EEEvSY_
                                        ; -- End function
	.set _ZN7rocprim17ROCPRIM_400000_NS6detail17trampoline_kernelINS0_13select_configILj256ELj13ELNS0_17block_load_methodE3ELS4_3ELS4_3ELNS0_20block_scan_algorithmE0ELj4294967295EEENS1_25partition_config_selectorILNS1_17partition_subalgoE3EjNS0_10empty_typeEbEEZZNS1_14partition_implILS8_3ELb0ES6_jNS0_17counting_iteratorIjlEEPS9_SE_NS0_5tupleIJPjSE_EEENSF_IJSE_SE_EEES9_SG_JZNS1_25segmented_radix_sort_implINS0_14default_configELb0EPKbPbPKlPlN2at6native12_GLOBAL__N_18offset_tEEE10hipError_tPvRmT1_PNSt15iterator_traitsISY_E10value_typeET2_T3_PNSZ_IS14_E10value_typeET4_jRbjT5_S1A_jjP12ihipStream_tbEUljE_EEESV_SW_SX_S14_S18_S1A_T6_T7_T9_mT8_S1C_bDpT10_ENKUlT_T0_E_clISt17integral_constantIbLb1EES1O_IbLb0EEEEDaS1K_S1L_EUlS1K_E_NS1_11comp_targetILNS1_3genE3ELNS1_11target_archE908ELNS1_3gpuE7ELNS1_3repE0EEENS1_30default_config_static_selectorELNS0_4arch9wavefront6targetE0EEEvSY_.num_vgpr, 0
	.set _ZN7rocprim17ROCPRIM_400000_NS6detail17trampoline_kernelINS0_13select_configILj256ELj13ELNS0_17block_load_methodE3ELS4_3ELS4_3ELNS0_20block_scan_algorithmE0ELj4294967295EEENS1_25partition_config_selectorILNS1_17partition_subalgoE3EjNS0_10empty_typeEbEEZZNS1_14partition_implILS8_3ELb0ES6_jNS0_17counting_iteratorIjlEEPS9_SE_NS0_5tupleIJPjSE_EEENSF_IJSE_SE_EEES9_SG_JZNS1_25segmented_radix_sort_implINS0_14default_configELb0EPKbPbPKlPlN2at6native12_GLOBAL__N_18offset_tEEE10hipError_tPvRmT1_PNSt15iterator_traitsISY_E10value_typeET2_T3_PNSZ_IS14_E10value_typeET4_jRbjT5_S1A_jjP12ihipStream_tbEUljE_EEESV_SW_SX_S14_S18_S1A_T6_T7_T9_mT8_S1C_bDpT10_ENKUlT_T0_E_clISt17integral_constantIbLb1EES1O_IbLb0EEEEDaS1K_S1L_EUlS1K_E_NS1_11comp_targetILNS1_3genE3ELNS1_11target_archE908ELNS1_3gpuE7ELNS1_3repE0EEENS1_30default_config_static_selectorELNS0_4arch9wavefront6targetE0EEEvSY_.num_agpr, 0
	.set _ZN7rocprim17ROCPRIM_400000_NS6detail17trampoline_kernelINS0_13select_configILj256ELj13ELNS0_17block_load_methodE3ELS4_3ELS4_3ELNS0_20block_scan_algorithmE0ELj4294967295EEENS1_25partition_config_selectorILNS1_17partition_subalgoE3EjNS0_10empty_typeEbEEZZNS1_14partition_implILS8_3ELb0ES6_jNS0_17counting_iteratorIjlEEPS9_SE_NS0_5tupleIJPjSE_EEENSF_IJSE_SE_EEES9_SG_JZNS1_25segmented_radix_sort_implINS0_14default_configELb0EPKbPbPKlPlN2at6native12_GLOBAL__N_18offset_tEEE10hipError_tPvRmT1_PNSt15iterator_traitsISY_E10value_typeET2_T3_PNSZ_IS14_E10value_typeET4_jRbjT5_S1A_jjP12ihipStream_tbEUljE_EEESV_SW_SX_S14_S18_S1A_T6_T7_T9_mT8_S1C_bDpT10_ENKUlT_T0_E_clISt17integral_constantIbLb1EES1O_IbLb0EEEEDaS1K_S1L_EUlS1K_E_NS1_11comp_targetILNS1_3genE3ELNS1_11target_archE908ELNS1_3gpuE7ELNS1_3repE0EEENS1_30default_config_static_selectorELNS0_4arch9wavefront6targetE0EEEvSY_.numbered_sgpr, 0
	.set _ZN7rocprim17ROCPRIM_400000_NS6detail17trampoline_kernelINS0_13select_configILj256ELj13ELNS0_17block_load_methodE3ELS4_3ELS4_3ELNS0_20block_scan_algorithmE0ELj4294967295EEENS1_25partition_config_selectorILNS1_17partition_subalgoE3EjNS0_10empty_typeEbEEZZNS1_14partition_implILS8_3ELb0ES6_jNS0_17counting_iteratorIjlEEPS9_SE_NS0_5tupleIJPjSE_EEENSF_IJSE_SE_EEES9_SG_JZNS1_25segmented_radix_sort_implINS0_14default_configELb0EPKbPbPKlPlN2at6native12_GLOBAL__N_18offset_tEEE10hipError_tPvRmT1_PNSt15iterator_traitsISY_E10value_typeET2_T3_PNSZ_IS14_E10value_typeET4_jRbjT5_S1A_jjP12ihipStream_tbEUljE_EEESV_SW_SX_S14_S18_S1A_T6_T7_T9_mT8_S1C_bDpT10_ENKUlT_T0_E_clISt17integral_constantIbLb1EES1O_IbLb0EEEEDaS1K_S1L_EUlS1K_E_NS1_11comp_targetILNS1_3genE3ELNS1_11target_archE908ELNS1_3gpuE7ELNS1_3repE0EEENS1_30default_config_static_selectorELNS0_4arch9wavefront6targetE0EEEvSY_.num_named_barrier, 0
	.set _ZN7rocprim17ROCPRIM_400000_NS6detail17trampoline_kernelINS0_13select_configILj256ELj13ELNS0_17block_load_methodE3ELS4_3ELS4_3ELNS0_20block_scan_algorithmE0ELj4294967295EEENS1_25partition_config_selectorILNS1_17partition_subalgoE3EjNS0_10empty_typeEbEEZZNS1_14partition_implILS8_3ELb0ES6_jNS0_17counting_iteratorIjlEEPS9_SE_NS0_5tupleIJPjSE_EEENSF_IJSE_SE_EEES9_SG_JZNS1_25segmented_radix_sort_implINS0_14default_configELb0EPKbPbPKlPlN2at6native12_GLOBAL__N_18offset_tEEE10hipError_tPvRmT1_PNSt15iterator_traitsISY_E10value_typeET2_T3_PNSZ_IS14_E10value_typeET4_jRbjT5_S1A_jjP12ihipStream_tbEUljE_EEESV_SW_SX_S14_S18_S1A_T6_T7_T9_mT8_S1C_bDpT10_ENKUlT_T0_E_clISt17integral_constantIbLb1EES1O_IbLb0EEEEDaS1K_S1L_EUlS1K_E_NS1_11comp_targetILNS1_3genE3ELNS1_11target_archE908ELNS1_3gpuE7ELNS1_3repE0EEENS1_30default_config_static_selectorELNS0_4arch9wavefront6targetE0EEEvSY_.private_seg_size, 0
	.set _ZN7rocprim17ROCPRIM_400000_NS6detail17trampoline_kernelINS0_13select_configILj256ELj13ELNS0_17block_load_methodE3ELS4_3ELS4_3ELNS0_20block_scan_algorithmE0ELj4294967295EEENS1_25partition_config_selectorILNS1_17partition_subalgoE3EjNS0_10empty_typeEbEEZZNS1_14partition_implILS8_3ELb0ES6_jNS0_17counting_iteratorIjlEEPS9_SE_NS0_5tupleIJPjSE_EEENSF_IJSE_SE_EEES9_SG_JZNS1_25segmented_radix_sort_implINS0_14default_configELb0EPKbPbPKlPlN2at6native12_GLOBAL__N_18offset_tEEE10hipError_tPvRmT1_PNSt15iterator_traitsISY_E10value_typeET2_T3_PNSZ_IS14_E10value_typeET4_jRbjT5_S1A_jjP12ihipStream_tbEUljE_EEESV_SW_SX_S14_S18_S1A_T6_T7_T9_mT8_S1C_bDpT10_ENKUlT_T0_E_clISt17integral_constantIbLb1EES1O_IbLb0EEEEDaS1K_S1L_EUlS1K_E_NS1_11comp_targetILNS1_3genE3ELNS1_11target_archE908ELNS1_3gpuE7ELNS1_3repE0EEENS1_30default_config_static_selectorELNS0_4arch9wavefront6targetE0EEEvSY_.uses_vcc, 0
	.set _ZN7rocprim17ROCPRIM_400000_NS6detail17trampoline_kernelINS0_13select_configILj256ELj13ELNS0_17block_load_methodE3ELS4_3ELS4_3ELNS0_20block_scan_algorithmE0ELj4294967295EEENS1_25partition_config_selectorILNS1_17partition_subalgoE3EjNS0_10empty_typeEbEEZZNS1_14partition_implILS8_3ELb0ES6_jNS0_17counting_iteratorIjlEEPS9_SE_NS0_5tupleIJPjSE_EEENSF_IJSE_SE_EEES9_SG_JZNS1_25segmented_radix_sort_implINS0_14default_configELb0EPKbPbPKlPlN2at6native12_GLOBAL__N_18offset_tEEE10hipError_tPvRmT1_PNSt15iterator_traitsISY_E10value_typeET2_T3_PNSZ_IS14_E10value_typeET4_jRbjT5_S1A_jjP12ihipStream_tbEUljE_EEESV_SW_SX_S14_S18_S1A_T6_T7_T9_mT8_S1C_bDpT10_ENKUlT_T0_E_clISt17integral_constantIbLb1EES1O_IbLb0EEEEDaS1K_S1L_EUlS1K_E_NS1_11comp_targetILNS1_3genE3ELNS1_11target_archE908ELNS1_3gpuE7ELNS1_3repE0EEENS1_30default_config_static_selectorELNS0_4arch9wavefront6targetE0EEEvSY_.uses_flat_scratch, 0
	.set _ZN7rocprim17ROCPRIM_400000_NS6detail17trampoline_kernelINS0_13select_configILj256ELj13ELNS0_17block_load_methodE3ELS4_3ELS4_3ELNS0_20block_scan_algorithmE0ELj4294967295EEENS1_25partition_config_selectorILNS1_17partition_subalgoE3EjNS0_10empty_typeEbEEZZNS1_14partition_implILS8_3ELb0ES6_jNS0_17counting_iteratorIjlEEPS9_SE_NS0_5tupleIJPjSE_EEENSF_IJSE_SE_EEES9_SG_JZNS1_25segmented_radix_sort_implINS0_14default_configELb0EPKbPbPKlPlN2at6native12_GLOBAL__N_18offset_tEEE10hipError_tPvRmT1_PNSt15iterator_traitsISY_E10value_typeET2_T3_PNSZ_IS14_E10value_typeET4_jRbjT5_S1A_jjP12ihipStream_tbEUljE_EEESV_SW_SX_S14_S18_S1A_T6_T7_T9_mT8_S1C_bDpT10_ENKUlT_T0_E_clISt17integral_constantIbLb1EES1O_IbLb0EEEEDaS1K_S1L_EUlS1K_E_NS1_11comp_targetILNS1_3genE3ELNS1_11target_archE908ELNS1_3gpuE7ELNS1_3repE0EEENS1_30default_config_static_selectorELNS0_4arch9wavefront6targetE0EEEvSY_.has_dyn_sized_stack, 0
	.set _ZN7rocprim17ROCPRIM_400000_NS6detail17trampoline_kernelINS0_13select_configILj256ELj13ELNS0_17block_load_methodE3ELS4_3ELS4_3ELNS0_20block_scan_algorithmE0ELj4294967295EEENS1_25partition_config_selectorILNS1_17partition_subalgoE3EjNS0_10empty_typeEbEEZZNS1_14partition_implILS8_3ELb0ES6_jNS0_17counting_iteratorIjlEEPS9_SE_NS0_5tupleIJPjSE_EEENSF_IJSE_SE_EEES9_SG_JZNS1_25segmented_radix_sort_implINS0_14default_configELb0EPKbPbPKlPlN2at6native12_GLOBAL__N_18offset_tEEE10hipError_tPvRmT1_PNSt15iterator_traitsISY_E10value_typeET2_T3_PNSZ_IS14_E10value_typeET4_jRbjT5_S1A_jjP12ihipStream_tbEUljE_EEESV_SW_SX_S14_S18_S1A_T6_T7_T9_mT8_S1C_bDpT10_ENKUlT_T0_E_clISt17integral_constantIbLb1EES1O_IbLb0EEEEDaS1K_S1L_EUlS1K_E_NS1_11comp_targetILNS1_3genE3ELNS1_11target_archE908ELNS1_3gpuE7ELNS1_3repE0EEENS1_30default_config_static_selectorELNS0_4arch9wavefront6targetE0EEEvSY_.has_recursion, 0
	.set _ZN7rocprim17ROCPRIM_400000_NS6detail17trampoline_kernelINS0_13select_configILj256ELj13ELNS0_17block_load_methodE3ELS4_3ELS4_3ELNS0_20block_scan_algorithmE0ELj4294967295EEENS1_25partition_config_selectorILNS1_17partition_subalgoE3EjNS0_10empty_typeEbEEZZNS1_14partition_implILS8_3ELb0ES6_jNS0_17counting_iteratorIjlEEPS9_SE_NS0_5tupleIJPjSE_EEENSF_IJSE_SE_EEES9_SG_JZNS1_25segmented_radix_sort_implINS0_14default_configELb0EPKbPbPKlPlN2at6native12_GLOBAL__N_18offset_tEEE10hipError_tPvRmT1_PNSt15iterator_traitsISY_E10value_typeET2_T3_PNSZ_IS14_E10value_typeET4_jRbjT5_S1A_jjP12ihipStream_tbEUljE_EEESV_SW_SX_S14_S18_S1A_T6_T7_T9_mT8_S1C_bDpT10_ENKUlT_T0_E_clISt17integral_constantIbLb1EES1O_IbLb0EEEEDaS1K_S1L_EUlS1K_E_NS1_11comp_targetILNS1_3genE3ELNS1_11target_archE908ELNS1_3gpuE7ELNS1_3repE0EEENS1_30default_config_static_selectorELNS0_4arch9wavefront6targetE0EEEvSY_.has_indirect_call, 0
	.section	.AMDGPU.csdata,"",@progbits
; Kernel info:
; codeLenInByte = 0
; TotalNumSgprs: 0
; NumVgprs: 0
; ScratchSize: 0
; MemoryBound: 0
; FloatMode: 240
; IeeeMode: 1
; LDSByteSize: 0 bytes/workgroup (compile time only)
; SGPRBlocks: 0
; VGPRBlocks: 0
; NumSGPRsForWavesPerEU: 1
; NumVGPRsForWavesPerEU: 1
; Occupancy: 16
; WaveLimiterHint : 0
; COMPUTE_PGM_RSRC2:SCRATCH_EN: 0
; COMPUTE_PGM_RSRC2:USER_SGPR: 2
; COMPUTE_PGM_RSRC2:TRAP_HANDLER: 0
; COMPUTE_PGM_RSRC2:TGID_X_EN: 1
; COMPUTE_PGM_RSRC2:TGID_Y_EN: 0
; COMPUTE_PGM_RSRC2:TGID_Z_EN: 0
; COMPUTE_PGM_RSRC2:TIDIG_COMP_CNT: 0
	.section	.text._ZN7rocprim17ROCPRIM_400000_NS6detail17trampoline_kernelINS0_13select_configILj256ELj13ELNS0_17block_load_methodE3ELS4_3ELS4_3ELNS0_20block_scan_algorithmE0ELj4294967295EEENS1_25partition_config_selectorILNS1_17partition_subalgoE3EjNS0_10empty_typeEbEEZZNS1_14partition_implILS8_3ELb0ES6_jNS0_17counting_iteratorIjlEEPS9_SE_NS0_5tupleIJPjSE_EEENSF_IJSE_SE_EEES9_SG_JZNS1_25segmented_radix_sort_implINS0_14default_configELb0EPKbPbPKlPlN2at6native12_GLOBAL__N_18offset_tEEE10hipError_tPvRmT1_PNSt15iterator_traitsISY_E10value_typeET2_T3_PNSZ_IS14_E10value_typeET4_jRbjT5_S1A_jjP12ihipStream_tbEUljE_EEESV_SW_SX_S14_S18_S1A_T6_T7_T9_mT8_S1C_bDpT10_ENKUlT_T0_E_clISt17integral_constantIbLb1EES1O_IbLb0EEEEDaS1K_S1L_EUlS1K_E_NS1_11comp_targetILNS1_3genE2ELNS1_11target_archE906ELNS1_3gpuE6ELNS1_3repE0EEENS1_30default_config_static_selectorELNS0_4arch9wavefront6targetE0EEEvSY_,"axG",@progbits,_ZN7rocprim17ROCPRIM_400000_NS6detail17trampoline_kernelINS0_13select_configILj256ELj13ELNS0_17block_load_methodE3ELS4_3ELS4_3ELNS0_20block_scan_algorithmE0ELj4294967295EEENS1_25partition_config_selectorILNS1_17partition_subalgoE3EjNS0_10empty_typeEbEEZZNS1_14partition_implILS8_3ELb0ES6_jNS0_17counting_iteratorIjlEEPS9_SE_NS0_5tupleIJPjSE_EEENSF_IJSE_SE_EEES9_SG_JZNS1_25segmented_radix_sort_implINS0_14default_configELb0EPKbPbPKlPlN2at6native12_GLOBAL__N_18offset_tEEE10hipError_tPvRmT1_PNSt15iterator_traitsISY_E10value_typeET2_T3_PNSZ_IS14_E10value_typeET4_jRbjT5_S1A_jjP12ihipStream_tbEUljE_EEESV_SW_SX_S14_S18_S1A_T6_T7_T9_mT8_S1C_bDpT10_ENKUlT_T0_E_clISt17integral_constantIbLb1EES1O_IbLb0EEEEDaS1K_S1L_EUlS1K_E_NS1_11comp_targetILNS1_3genE2ELNS1_11target_archE906ELNS1_3gpuE6ELNS1_3repE0EEENS1_30default_config_static_selectorELNS0_4arch9wavefront6targetE0EEEvSY_,comdat
	.globl	_ZN7rocprim17ROCPRIM_400000_NS6detail17trampoline_kernelINS0_13select_configILj256ELj13ELNS0_17block_load_methodE3ELS4_3ELS4_3ELNS0_20block_scan_algorithmE0ELj4294967295EEENS1_25partition_config_selectorILNS1_17partition_subalgoE3EjNS0_10empty_typeEbEEZZNS1_14partition_implILS8_3ELb0ES6_jNS0_17counting_iteratorIjlEEPS9_SE_NS0_5tupleIJPjSE_EEENSF_IJSE_SE_EEES9_SG_JZNS1_25segmented_radix_sort_implINS0_14default_configELb0EPKbPbPKlPlN2at6native12_GLOBAL__N_18offset_tEEE10hipError_tPvRmT1_PNSt15iterator_traitsISY_E10value_typeET2_T3_PNSZ_IS14_E10value_typeET4_jRbjT5_S1A_jjP12ihipStream_tbEUljE_EEESV_SW_SX_S14_S18_S1A_T6_T7_T9_mT8_S1C_bDpT10_ENKUlT_T0_E_clISt17integral_constantIbLb1EES1O_IbLb0EEEEDaS1K_S1L_EUlS1K_E_NS1_11comp_targetILNS1_3genE2ELNS1_11target_archE906ELNS1_3gpuE6ELNS1_3repE0EEENS1_30default_config_static_selectorELNS0_4arch9wavefront6targetE0EEEvSY_ ; -- Begin function _ZN7rocprim17ROCPRIM_400000_NS6detail17trampoline_kernelINS0_13select_configILj256ELj13ELNS0_17block_load_methodE3ELS4_3ELS4_3ELNS0_20block_scan_algorithmE0ELj4294967295EEENS1_25partition_config_selectorILNS1_17partition_subalgoE3EjNS0_10empty_typeEbEEZZNS1_14partition_implILS8_3ELb0ES6_jNS0_17counting_iteratorIjlEEPS9_SE_NS0_5tupleIJPjSE_EEENSF_IJSE_SE_EEES9_SG_JZNS1_25segmented_radix_sort_implINS0_14default_configELb0EPKbPbPKlPlN2at6native12_GLOBAL__N_18offset_tEEE10hipError_tPvRmT1_PNSt15iterator_traitsISY_E10value_typeET2_T3_PNSZ_IS14_E10value_typeET4_jRbjT5_S1A_jjP12ihipStream_tbEUljE_EEESV_SW_SX_S14_S18_S1A_T6_T7_T9_mT8_S1C_bDpT10_ENKUlT_T0_E_clISt17integral_constantIbLb1EES1O_IbLb0EEEEDaS1K_S1L_EUlS1K_E_NS1_11comp_targetILNS1_3genE2ELNS1_11target_archE906ELNS1_3gpuE6ELNS1_3repE0EEENS1_30default_config_static_selectorELNS0_4arch9wavefront6targetE0EEEvSY_
	.p2align	8
	.type	_ZN7rocprim17ROCPRIM_400000_NS6detail17trampoline_kernelINS0_13select_configILj256ELj13ELNS0_17block_load_methodE3ELS4_3ELS4_3ELNS0_20block_scan_algorithmE0ELj4294967295EEENS1_25partition_config_selectorILNS1_17partition_subalgoE3EjNS0_10empty_typeEbEEZZNS1_14partition_implILS8_3ELb0ES6_jNS0_17counting_iteratorIjlEEPS9_SE_NS0_5tupleIJPjSE_EEENSF_IJSE_SE_EEES9_SG_JZNS1_25segmented_radix_sort_implINS0_14default_configELb0EPKbPbPKlPlN2at6native12_GLOBAL__N_18offset_tEEE10hipError_tPvRmT1_PNSt15iterator_traitsISY_E10value_typeET2_T3_PNSZ_IS14_E10value_typeET4_jRbjT5_S1A_jjP12ihipStream_tbEUljE_EEESV_SW_SX_S14_S18_S1A_T6_T7_T9_mT8_S1C_bDpT10_ENKUlT_T0_E_clISt17integral_constantIbLb1EES1O_IbLb0EEEEDaS1K_S1L_EUlS1K_E_NS1_11comp_targetILNS1_3genE2ELNS1_11target_archE906ELNS1_3gpuE6ELNS1_3repE0EEENS1_30default_config_static_selectorELNS0_4arch9wavefront6targetE0EEEvSY_,@function
_ZN7rocprim17ROCPRIM_400000_NS6detail17trampoline_kernelINS0_13select_configILj256ELj13ELNS0_17block_load_methodE3ELS4_3ELS4_3ELNS0_20block_scan_algorithmE0ELj4294967295EEENS1_25partition_config_selectorILNS1_17partition_subalgoE3EjNS0_10empty_typeEbEEZZNS1_14partition_implILS8_3ELb0ES6_jNS0_17counting_iteratorIjlEEPS9_SE_NS0_5tupleIJPjSE_EEENSF_IJSE_SE_EEES9_SG_JZNS1_25segmented_radix_sort_implINS0_14default_configELb0EPKbPbPKlPlN2at6native12_GLOBAL__N_18offset_tEEE10hipError_tPvRmT1_PNSt15iterator_traitsISY_E10value_typeET2_T3_PNSZ_IS14_E10value_typeET4_jRbjT5_S1A_jjP12ihipStream_tbEUljE_EEESV_SW_SX_S14_S18_S1A_T6_T7_T9_mT8_S1C_bDpT10_ENKUlT_T0_E_clISt17integral_constantIbLb1EES1O_IbLb0EEEEDaS1K_S1L_EUlS1K_E_NS1_11comp_targetILNS1_3genE2ELNS1_11target_archE906ELNS1_3gpuE6ELNS1_3repE0EEENS1_30default_config_static_selectorELNS0_4arch9wavefront6targetE0EEEvSY_: ; @_ZN7rocprim17ROCPRIM_400000_NS6detail17trampoline_kernelINS0_13select_configILj256ELj13ELNS0_17block_load_methodE3ELS4_3ELS4_3ELNS0_20block_scan_algorithmE0ELj4294967295EEENS1_25partition_config_selectorILNS1_17partition_subalgoE3EjNS0_10empty_typeEbEEZZNS1_14partition_implILS8_3ELb0ES6_jNS0_17counting_iteratorIjlEEPS9_SE_NS0_5tupleIJPjSE_EEENSF_IJSE_SE_EEES9_SG_JZNS1_25segmented_radix_sort_implINS0_14default_configELb0EPKbPbPKlPlN2at6native12_GLOBAL__N_18offset_tEEE10hipError_tPvRmT1_PNSt15iterator_traitsISY_E10value_typeET2_T3_PNSZ_IS14_E10value_typeET4_jRbjT5_S1A_jjP12ihipStream_tbEUljE_EEESV_SW_SX_S14_S18_S1A_T6_T7_T9_mT8_S1C_bDpT10_ENKUlT_T0_E_clISt17integral_constantIbLb1EES1O_IbLb0EEEEDaS1K_S1L_EUlS1K_E_NS1_11comp_targetILNS1_3genE2ELNS1_11target_archE906ELNS1_3gpuE6ELNS1_3repE0EEENS1_30default_config_static_selectorELNS0_4arch9wavefront6targetE0EEEvSY_
; %bb.0:
	.section	.rodata,"a",@progbits
	.p2align	6, 0x0
	.amdhsa_kernel _ZN7rocprim17ROCPRIM_400000_NS6detail17trampoline_kernelINS0_13select_configILj256ELj13ELNS0_17block_load_methodE3ELS4_3ELS4_3ELNS0_20block_scan_algorithmE0ELj4294967295EEENS1_25partition_config_selectorILNS1_17partition_subalgoE3EjNS0_10empty_typeEbEEZZNS1_14partition_implILS8_3ELb0ES6_jNS0_17counting_iteratorIjlEEPS9_SE_NS0_5tupleIJPjSE_EEENSF_IJSE_SE_EEES9_SG_JZNS1_25segmented_radix_sort_implINS0_14default_configELb0EPKbPbPKlPlN2at6native12_GLOBAL__N_18offset_tEEE10hipError_tPvRmT1_PNSt15iterator_traitsISY_E10value_typeET2_T3_PNSZ_IS14_E10value_typeET4_jRbjT5_S1A_jjP12ihipStream_tbEUljE_EEESV_SW_SX_S14_S18_S1A_T6_T7_T9_mT8_S1C_bDpT10_ENKUlT_T0_E_clISt17integral_constantIbLb1EES1O_IbLb0EEEEDaS1K_S1L_EUlS1K_E_NS1_11comp_targetILNS1_3genE2ELNS1_11target_archE906ELNS1_3gpuE6ELNS1_3repE0EEENS1_30default_config_static_selectorELNS0_4arch9wavefront6targetE0EEEvSY_
		.amdhsa_group_segment_fixed_size 0
		.amdhsa_private_segment_fixed_size 0
		.amdhsa_kernarg_size 144
		.amdhsa_user_sgpr_count 2
		.amdhsa_user_sgpr_dispatch_ptr 0
		.amdhsa_user_sgpr_queue_ptr 0
		.amdhsa_user_sgpr_kernarg_segment_ptr 1
		.amdhsa_user_sgpr_dispatch_id 0
		.amdhsa_user_sgpr_private_segment_size 0
		.amdhsa_wavefront_size32 1
		.amdhsa_uses_dynamic_stack 0
		.amdhsa_enable_private_segment 0
		.amdhsa_system_sgpr_workgroup_id_x 1
		.amdhsa_system_sgpr_workgroup_id_y 0
		.amdhsa_system_sgpr_workgroup_id_z 0
		.amdhsa_system_sgpr_workgroup_info 0
		.amdhsa_system_vgpr_workitem_id 0
		.amdhsa_next_free_vgpr 1
		.amdhsa_next_free_sgpr 1
		.amdhsa_reserve_vcc 0
		.amdhsa_float_round_mode_32 0
		.amdhsa_float_round_mode_16_64 0
		.amdhsa_float_denorm_mode_32 3
		.amdhsa_float_denorm_mode_16_64 3
		.amdhsa_fp16_overflow 0
		.amdhsa_workgroup_processor_mode 1
		.amdhsa_memory_ordered 1
		.amdhsa_forward_progress 1
		.amdhsa_inst_pref_size 0
		.amdhsa_round_robin_scheduling 0
		.amdhsa_exception_fp_ieee_invalid_op 0
		.amdhsa_exception_fp_denorm_src 0
		.amdhsa_exception_fp_ieee_div_zero 0
		.amdhsa_exception_fp_ieee_overflow 0
		.amdhsa_exception_fp_ieee_underflow 0
		.amdhsa_exception_fp_ieee_inexact 0
		.amdhsa_exception_int_div_zero 0
	.end_amdhsa_kernel
	.section	.text._ZN7rocprim17ROCPRIM_400000_NS6detail17trampoline_kernelINS0_13select_configILj256ELj13ELNS0_17block_load_methodE3ELS4_3ELS4_3ELNS0_20block_scan_algorithmE0ELj4294967295EEENS1_25partition_config_selectorILNS1_17partition_subalgoE3EjNS0_10empty_typeEbEEZZNS1_14partition_implILS8_3ELb0ES6_jNS0_17counting_iteratorIjlEEPS9_SE_NS0_5tupleIJPjSE_EEENSF_IJSE_SE_EEES9_SG_JZNS1_25segmented_radix_sort_implINS0_14default_configELb0EPKbPbPKlPlN2at6native12_GLOBAL__N_18offset_tEEE10hipError_tPvRmT1_PNSt15iterator_traitsISY_E10value_typeET2_T3_PNSZ_IS14_E10value_typeET4_jRbjT5_S1A_jjP12ihipStream_tbEUljE_EEESV_SW_SX_S14_S18_S1A_T6_T7_T9_mT8_S1C_bDpT10_ENKUlT_T0_E_clISt17integral_constantIbLb1EES1O_IbLb0EEEEDaS1K_S1L_EUlS1K_E_NS1_11comp_targetILNS1_3genE2ELNS1_11target_archE906ELNS1_3gpuE6ELNS1_3repE0EEENS1_30default_config_static_selectorELNS0_4arch9wavefront6targetE0EEEvSY_,"axG",@progbits,_ZN7rocprim17ROCPRIM_400000_NS6detail17trampoline_kernelINS0_13select_configILj256ELj13ELNS0_17block_load_methodE3ELS4_3ELS4_3ELNS0_20block_scan_algorithmE0ELj4294967295EEENS1_25partition_config_selectorILNS1_17partition_subalgoE3EjNS0_10empty_typeEbEEZZNS1_14partition_implILS8_3ELb0ES6_jNS0_17counting_iteratorIjlEEPS9_SE_NS0_5tupleIJPjSE_EEENSF_IJSE_SE_EEES9_SG_JZNS1_25segmented_radix_sort_implINS0_14default_configELb0EPKbPbPKlPlN2at6native12_GLOBAL__N_18offset_tEEE10hipError_tPvRmT1_PNSt15iterator_traitsISY_E10value_typeET2_T3_PNSZ_IS14_E10value_typeET4_jRbjT5_S1A_jjP12ihipStream_tbEUljE_EEESV_SW_SX_S14_S18_S1A_T6_T7_T9_mT8_S1C_bDpT10_ENKUlT_T0_E_clISt17integral_constantIbLb1EES1O_IbLb0EEEEDaS1K_S1L_EUlS1K_E_NS1_11comp_targetILNS1_3genE2ELNS1_11target_archE906ELNS1_3gpuE6ELNS1_3repE0EEENS1_30default_config_static_selectorELNS0_4arch9wavefront6targetE0EEEvSY_,comdat
.Lfunc_end1623:
	.size	_ZN7rocprim17ROCPRIM_400000_NS6detail17trampoline_kernelINS0_13select_configILj256ELj13ELNS0_17block_load_methodE3ELS4_3ELS4_3ELNS0_20block_scan_algorithmE0ELj4294967295EEENS1_25partition_config_selectorILNS1_17partition_subalgoE3EjNS0_10empty_typeEbEEZZNS1_14partition_implILS8_3ELb0ES6_jNS0_17counting_iteratorIjlEEPS9_SE_NS0_5tupleIJPjSE_EEENSF_IJSE_SE_EEES9_SG_JZNS1_25segmented_radix_sort_implINS0_14default_configELb0EPKbPbPKlPlN2at6native12_GLOBAL__N_18offset_tEEE10hipError_tPvRmT1_PNSt15iterator_traitsISY_E10value_typeET2_T3_PNSZ_IS14_E10value_typeET4_jRbjT5_S1A_jjP12ihipStream_tbEUljE_EEESV_SW_SX_S14_S18_S1A_T6_T7_T9_mT8_S1C_bDpT10_ENKUlT_T0_E_clISt17integral_constantIbLb1EES1O_IbLb0EEEEDaS1K_S1L_EUlS1K_E_NS1_11comp_targetILNS1_3genE2ELNS1_11target_archE906ELNS1_3gpuE6ELNS1_3repE0EEENS1_30default_config_static_selectorELNS0_4arch9wavefront6targetE0EEEvSY_, .Lfunc_end1623-_ZN7rocprim17ROCPRIM_400000_NS6detail17trampoline_kernelINS0_13select_configILj256ELj13ELNS0_17block_load_methodE3ELS4_3ELS4_3ELNS0_20block_scan_algorithmE0ELj4294967295EEENS1_25partition_config_selectorILNS1_17partition_subalgoE3EjNS0_10empty_typeEbEEZZNS1_14partition_implILS8_3ELb0ES6_jNS0_17counting_iteratorIjlEEPS9_SE_NS0_5tupleIJPjSE_EEENSF_IJSE_SE_EEES9_SG_JZNS1_25segmented_radix_sort_implINS0_14default_configELb0EPKbPbPKlPlN2at6native12_GLOBAL__N_18offset_tEEE10hipError_tPvRmT1_PNSt15iterator_traitsISY_E10value_typeET2_T3_PNSZ_IS14_E10value_typeET4_jRbjT5_S1A_jjP12ihipStream_tbEUljE_EEESV_SW_SX_S14_S18_S1A_T6_T7_T9_mT8_S1C_bDpT10_ENKUlT_T0_E_clISt17integral_constantIbLb1EES1O_IbLb0EEEEDaS1K_S1L_EUlS1K_E_NS1_11comp_targetILNS1_3genE2ELNS1_11target_archE906ELNS1_3gpuE6ELNS1_3repE0EEENS1_30default_config_static_selectorELNS0_4arch9wavefront6targetE0EEEvSY_
                                        ; -- End function
	.set _ZN7rocprim17ROCPRIM_400000_NS6detail17trampoline_kernelINS0_13select_configILj256ELj13ELNS0_17block_load_methodE3ELS4_3ELS4_3ELNS0_20block_scan_algorithmE0ELj4294967295EEENS1_25partition_config_selectorILNS1_17partition_subalgoE3EjNS0_10empty_typeEbEEZZNS1_14partition_implILS8_3ELb0ES6_jNS0_17counting_iteratorIjlEEPS9_SE_NS0_5tupleIJPjSE_EEENSF_IJSE_SE_EEES9_SG_JZNS1_25segmented_radix_sort_implINS0_14default_configELb0EPKbPbPKlPlN2at6native12_GLOBAL__N_18offset_tEEE10hipError_tPvRmT1_PNSt15iterator_traitsISY_E10value_typeET2_T3_PNSZ_IS14_E10value_typeET4_jRbjT5_S1A_jjP12ihipStream_tbEUljE_EEESV_SW_SX_S14_S18_S1A_T6_T7_T9_mT8_S1C_bDpT10_ENKUlT_T0_E_clISt17integral_constantIbLb1EES1O_IbLb0EEEEDaS1K_S1L_EUlS1K_E_NS1_11comp_targetILNS1_3genE2ELNS1_11target_archE906ELNS1_3gpuE6ELNS1_3repE0EEENS1_30default_config_static_selectorELNS0_4arch9wavefront6targetE0EEEvSY_.num_vgpr, 0
	.set _ZN7rocprim17ROCPRIM_400000_NS6detail17trampoline_kernelINS0_13select_configILj256ELj13ELNS0_17block_load_methodE3ELS4_3ELS4_3ELNS0_20block_scan_algorithmE0ELj4294967295EEENS1_25partition_config_selectorILNS1_17partition_subalgoE3EjNS0_10empty_typeEbEEZZNS1_14partition_implILS8_3ELb0ES6_jNS0_17counting_iteratorIjlEEPS9_SE_NS0_5tupleIJPjSE_EEENSF_IJSE_SE_EEES9_SG_JZNS1_25segmented_radix_sort_implINS0_14default_configELb0EPKbPbPKlPlN2at6native12_GLOBAL__N_18offset_tEEE10hipError_tPvRmT1_PNSt15iterator_traitsISY_E10value_typeET2_T3_PNSZ_IS14_E10value_typeET4_jRbjT5_S1A_jjP12ihipStream_tbEUljE_EEESV_SW_SX_S14_S18_S1A_T6_T7_T9_mT8_S1C_bDpT10_ENKUlT_T0_E_clISt17integral_constantIbLb1EES1O_IbLb0EEEEDaS1K_S1L_EUlS1K_E_NS1_11comp_targetILNS1_3genE2ELNS1_11target_archE906ELNS1_3gpuE6ELNS1_3repE0EEENS1_30default_config_static_selectorELNS0_4arch9wavefront6targetE0EEEvSY_.num_agpr, 0
	.set _ZN7rocprim17ROCPRIM_400000_NS6detail17trampoline_kernelINS0_13select_configILj256ELj13ELNS0_17block_load_methodE3ELS4_3ELS4_3ELNS0_20block_scan_algorithmE0ELj4294967295EEENS1_25partition_config_selectorILNS1_17partition_subalgoE3EjNS0_10empty_typeEbEEZZNS1_14partition_implILS8_3ELb0ES6_jNS0_17counting_iteratorIjlEEPS9_SE_NS0_5tupleIJPjSE_EEENSF_IJSE_SE_EEES9_SG_JZNS1_25segmented_radix_sort_implINS0_14default_configELb0EPKbPbPKlPlN2at6native12_GLOBAL__N_18offset_tEEE10hipError_tPvRmT1_PNSt15iterator_traitsISY_E10value_typeET2_T3_PNSZ_IS14_E10value_typeET4_jRbjT5_S1A_jjP12ihipStream_tbEUljE_EEESV_SW_SX_S14_S18_S1A_T6_T7_T9_mT8_S1C_bDpT10_ENKUlT_T0_E_clISt17integral_constantIbLb1EES1O_IbLb0EEEEDaS1K_S1L_EUlS1K_E_NS1_11comp_targetILNS1_3genE2ELNS1_11target_archE906ELNS1_3gpuE6ELNS1_3repE0EEENS1_30default_config_static_selectorELNS0_4arch9wavefront6targetE0EEEvSY_.numbered_sgpr, 0
	.set _ZN7rocprim17ROCPRIM_400000_NS6detail17trampoline_kernelINS0_13select_configILj256ELj13ELNS0_17block_load_methodE3ELS4_3ELS4_3ELNS0_20block_scan_algorithmE0ELj4294967295EEENS1_25partition_config_selectorILNS1_17partition_subalgoE3EjNS0_10empty_typeEbEEZZNS1_14partition_implILS8_3ELb0ES6_jNS0_17counting_iteratorIjlEEPS9_SE_NS0_5tupleIJPjSE_EEENSF_IJSE_SE_EEES9_SG_JZNS1_25segmented_radix_sort_implINS0_14default_configELb0EPKbPbPKlPlN2at6native12_GLOBAL__N_18offset_tEEE10hipError_tPvRmT1_PNSt15iterator_traitsISY_E10value_typeET2_T3_PNSZ_IS14_E10value_typeET4_jRbjT5_S1A_jjP12ihipStream_tbEUljE_EEESV_SW_SX_S14_S18_S1A_T6_T7_T9_mT8_S1C_bDpT10_ENKUlT_T0_E_clISt17integral_constantIbLb1EES1O_IbLb0EEEEDaS1K_S1L_EUlS1K_E_NS1_11comp_targetILNS1_3genE2ELNS1_11target_archE906ELNS1_3gpuE6ELNS1_3repE0EEENS1_30default_config_static_selectorELNS0_4arch9wavefront6targetE0EEEvSY_.num_named_barrier, 0
	.set _ZN7rocprim17ROCPRIM_400000_NS6detail17trampoline_kernelINS0_13select_configILj256ELj13ELNS0_17block_load_methodE3ELS4_3ELS4_3ELNS0_20block_scan_algorithmE0ELj4294967295EEENS1_25partition_config_selectorILNS1_17partition_subalgoE3EjNS0_10empty_typeEbEEZZNS1_14partition_implILS8_3ELb0ES6_jNS0_17counting_iteratorIjlEEPS9_SE_NS0_5tupleIJPjSE_EEENSF_IJSE_SE_EEES9_SG_JZNS1_25segmented_radix_sort_implINS0_14default_configELb0EPKbPbPKlPlN2at6native12_GLOBAL__N_18offset_tEEE10hipError_tPvRmT1_PNSt15iterator_traitsISY_E10value_typeET2_T3_PNSZ_IS14_E10value_typeET4_jRbjT5_S1A_jjP12ihipStream_tbEUljE_EEESV_SW_SX_S14_S18_S1A_T6_T7_T9_mT8_S1C_bDpT10_ENKUlT_T0_E_clISt17integral_constantIbLb1EES1O_IbLb0EEEEDaS1K_S1L_EUlS1K_E_NS1_11comp_targetILNS1_3genE2ELNS1_11target_archE906ELNS1_3gpuE6ELNS1_3repE0EEENS1_30default_config_static_selectorELNS0_4arch9wavefront6targetE0EEEvSY_.private_seg_size, 0
	.set _ZN7rocprim17ROCPRIM_400000_NS6detail17trampoline_kernelINS0_13select_configILj256ELj13ELNS0_17block_load_methodE3ELS4_3ELS4_3ELNS0_20block_scan_algorithmE0ELj4294967295EEENS1_25partition_config_selectorILNS1_17partition_subalgoE3EjNS0_10empty_typeEbEEZZNS1_14partition_implILS8_3ELb0ES6_jNS0_17counting_iteratorIjlEEPS9_SE_NS0_5tupleIJPjSE_EEENSF_IJSE_SE_EEES9_SG_JZNS1_25segmented_radix_sort_implINS0_14default_configELb0EPKbPbPKlPlN2at6native12_GLOBAL__N_18offset_tEEE10hipError_tPvRmT1_PNSt15iterator_traitsISY_E10value_typeET2_T3_PNSZ_IS14_E10value_typeET4_jRbjT5_S1A_jjP12ihipStream_tbEUljE_EEESV_SW_SX_S14_S18_S1A_T6_T7_T9_mT8_S1C_bDpT10_ENKUlT_T0_E_clISt17integral_constantIbLb1EES1O_IbLb0EEEEDaS1K_S1L_EUlS1K_E_NS1_11comp_targetILNS1_3genE2ELNS1_11target_archE906ELNS1_3gpuE6ELNS1_3repE0EEENS1_30default_config_static_selectorELNS0_4arch9wavefront6targetE0EEEvSY_.uses_vcc, 0
	.set _ZN7rocprim17ROCPRIM_400000_NS6detail17trampoline_kernelINS0_13select_configILj256ELj13ELNS0_17block_load_methodE3ELS4_3ELS4_3ELNS0_20block_scan_algorithmE0ELj4294967295EEENS1_25partition_config_selectorILNS1_17partition_subalgoE3EjNS0_10empty_typeEbEEZZNS1_14partition_implILS8_3ELb0ES6_jNS0_17counting_iteratorIjlEEPS9_SE_NS0_5tupleIJPjSE_EEENSF_IJSE_SE_EEES9_SG_JZNS1_25segmented_radix_sort_implINS0_14default_configELb0EPKbPbPKlPlN2at6native12_GLOBAL__N_18offset_tEEE10hipError_tPvRmT1_PNSt15iterator_traitsISY_E10value_typeET2_T3_PNSZ_IS14_E10value_typeET4_jRbjT5_S1A_jjP12ihipStream_tbEUljE_EEESV_SW_SX_S14_S18_S1A_T6_T7_T9_mT8_S1C_bDpT10_ENKUlT_T0_E_clISt17integral_constantIbLb1EES1O_IbLb0EEEEDaS1K_S1L_EUlS1K_E_NS1_11comp_targetILNS1_3genE2ELNS1_11target_archE906ELNS1_3gpuE6ELNS1_3repE0EEENS1_30default_config_static_selectorELNS0_4arch9wavefront6targetE0EEEvSY_.uses_flat_scratch, 0
	.set _ZN7rocprim17ROCPRIM_400000_NS6detail17trampoline_kernelINS0_13select_configILj256ELj13ELNS0_17block_load_methodE3ELS4_3ELS4_3ELNS0_20block_scan_algorithmE0ELj4294967295EEENS1_25partition_config_selectorILNS1_17partition_subalgoE3EjNS0_10empty_typeEbEEZZNS1_14partition_implILS8_3ELb0ES6_jNS0_17counting_iteratorIjlEEPS9_SE_NS0_5tupleIJPjSE_EEENSF_IJSE_SE_EEES9_SG_JZNS1_25segmented_radix_sort_implINS0_14default_configELb0EPKbPbPKlPlN2at6native12_GLOBAL__N_18offset_tEEE10hipError_tPvRmT1_PNSt15iterator_traitsISY_E10value_typeET2_T3_PNSZ_IS14_E10value_typeET4_jRbjT5_S1A_jjP12ihipStream_tbEUljE_EEESV_SW_SX_S14_S18_S1A_T6_T7_T9_mT8_S1C_bDpT10_ENKUlT_T0_E_clISt17integral_constantIbLb1EES1O_IbLb0EEEEDaS1K_S1L_EUlS1K_E_NS1_11comp_targetILNS1_3genE2ELNS1_11target_archE906ELNS1_3gpuE6ELNS1_3repE0EEENS1_30default_config_static_selectorELNS0_4arch9wavefront6targetE0EEEvSY_.has_dyn_sized_stack, 0
	.set _ZN7rocprim17ROCPRIM_400000_NS6detail17trampoline_kernelINS0_13select_configILj256ELj13ELNS0_17block_load_methodE3ELS4_3ELS4_3ELNS0_20block_scan_algorithmE0ELj4294967295EEENS1_25partition_config_selectorILNS1_17partition_subalgoE3EjNS0_10empty_typeEbEEZZNS1_14partition_implILS8_3ELb0ES6_jNS0_17counting_iteratorIjlEEPS9_SE_NS0_5tupleIJPjSE_EEENSF_IJSE_SE_EEES9_SG_JZNS1_25segmented_radix_sort_implINS0_14default_configELb0EPKbPbPKlPlN2at6native12_GLOBAL__N_18offset_tEEE10hipError_tPvRmT1_PNSt15iterator_traitsISY_E10value_typeET2_T3_PNSZ_IS14_E10value_typeET4_jRbjT5_S1A_jjP12ihipStream_tbEUljE_EEESV_SW_SX_S14_S18_S1A_T6_T7_T9_mT8_S1C_bDpT10_ENKUlT_T0_E_clISt17integral_constantIbLb1EES1O_IbLb0EEEEDaS1K_S1L_EUlS1K_E_NS1_11comp_targetILNS1_3genE2ELNS1_11target_archE906ELNS1_3gpuE6ELNS1_3repE0EEENS1_30default_config_static_selectorELNS0_4arch9wavefront6targetE0EEEvSY_.has_recursion, 0
	.set _ZN7rocprim17ROCPRIM_400000_NS6detail17trampoline_kernelINS0_13select_configILj256ELj13ELNS0_17block_load_methodE3ELS4_3ELS4_3ELNS0_20block_scan_algorithmE0ELj4294967295EEENS1_25partition_config_selectorILNS1_17partition_subalgoE3EjNS0_10empty_typeEbEEZZNS1_14partition_implILS8_3ELb0ES6_jNS0_17counting_iteratorIjlEEPS9_SE_NS0_5tupleIJPjSE_EEENSF_IJSE_SE_EEES9_SG_JZNS1_25segmented_radix_sort_implINS0_14default_configELb0EPKbPbPKlPlN2at6native12_GLOBAL__N_18offset_tEEE10hipError_tPvRmT1_PNSt15iterator_traitsISY_E10value_typeET2_T3_PNSZ_IS14_E10value_typeET4_jRbjT5_S1A_jjP12ihipStream_tbEUljE_EEESV_SW_SX_S14_S18_S1A_T6_T7_T9_mT8_S1C_bDpT10_ENKUlT_T0_E_clISt17integral_constantIbLb1EES1O_IbLb0EEEEDaS1K_S1L_EUlS1K_E_NS1_11comp_targetILNS1_3genE2ELNS1_11target_archE906ELNS1_3gpuE6ELNS1_3repE0EEENS1_30default_config_static_selectorELNS0_4arch9wavefront6targetE0EEEvSY_.has_indirect_call, 0
	.section	.AMDGPU.csdata,"",@progbits
; Kernel info:
; codeLenInByte = 0
; TotalNumSgprs: 0
; NumVgprs: 0
; ScratchSize: 0
; MemoryBound: 0
; FloatMode: 240
; IeeeMode: 1
; LDSByteSize: 0 bytes/workgroup (compile time only)
; SGPRBlocks: 0
; VGPRBlocks: 0
; NumSGPRsForWavesPerEU: 1
; NumVGPRsForWavesPerEU: 1
; Occupancy: 16
; WaveLimiterHint : 0
; COMPUTE_PGM_RSRC2:SCRATCH_EN: 0
; COMPUTE_PGM_RSRC2:USER_SGPR: 2
; COMPUTE_PGM_RSRC2:TRAP_HANDLER: 0
; COMPUTE_PGM_RSRC2:TGID_X_EN: 1
; COMPUTE_PGM_RSRC2:TGID_Y_EN: 0
; COMPUTE_PGM_RSRC2:TGID_Z_EN: 0
; COMPUTE_PGM_RSRC2:TIDIG_COMP_CNT: 0
	.section	.text._ZN7rocprim17ROCPRIM_400000_NS6detail17trampoline_kernelINS0_13select_configILj256ELj13ELNS0_17block_load_methodE3ELS4_3ELS4_3ELNS0_20block_scan_algorithmE0ELj4294967295EEENS1_25partition_config_selectorILNS1_17partition_subalgoE3EjNS0_10empty_typeEbEEZZNS1_14partition_implILS8_3ELb0ES6_jNS0_17counting_iteratorIjlEEPS9_SE_NS0_5tupleIJPjSE_EEENSF_IJSE_SE_EEES9_SG_JZNS1_25segmented_radix_sort_implINS0_14default_configELb0EPKbPbPKlPlN2at6native12_GLOBAL__N_18offset_tEEE10hipError_tPvRmT1_PNSt15iterator_traitsISY_E10value_typeET2_T3_PNSZ_IS14_E10value_typeET4_jRbjT5_S1A_jjP12ihipStream_tbEUljE_EEESV_SW_SX_S14_S18_S1A_T6_T7_T9_mT8_S1C_bDpT10_ENKUlT_T0_E_clISt17integral_constantIbLb1EES1O_IbLb0EEEEDaS1K_S1L_EUlS1K_E_NS1_11comp_targetILNS1_3genE10ELNS1_11target_archE1200ELNS1_3gpuE4ELNS1_3repE0EEENS1_30default_config_static_selectorELNS0_4arch9wavefront6targetE0EEEvSY_,"axG",@progbits,_ZN7rocprim17ROCPRIM_400000_NS6detail17trampoline_kernelINS0_13select_configILj256ELj13ELNS0_17block_load_methodE3ELS4_3ELS4_3ELNS0_20block_scan_algorithmE0ELj4294967295EEENS1_25partition_config_selectorILNS1_17partition_subalgoE3EjNS0_10empty_typeEbEEZZNS1_14partition_implILS8_3ELb0ES6_jNS0_17counting_iteratorIjlEEPS9_SE_NS0_5tupleIJPjSE_EEENSF_IJSE_SE_EEES9_SG_JZNS1_25segmented_radix_sort_implINS0_14default_configELb0EPKbPbPKlPlN2at6native12_GLOBAL__N_18offset_tEEE10hipError_tPvRmT1_PNSt15iterator_traitsISY_E10value_typeET2_T3_PNSZ_IS14_E10value_typeET4_jRbjT5_S1A_jjP12ihipStream_tbEUljE_EEESV_SW_SX_S14_S18_S1A_T6_T7_T9_mT8_S1C_bDpT10_ENKUlT_T0_E_clISt17integral_constantIbLb1EES1O_IbLb0EEEEDaS1K_S1L_EUlS1K_E_NS1_11comp_targetILNS1_3genE10ELNS1_11target_archE1200ELNS1_3gpuE4ELNS1_3repE0EEENS1_30default_config_static_selectorELNS0_4arch9wavefront6targetE0EEEvSY_,comdat
	.globl	_ZN7rocprim17ROCPRIM_400000_NS6detail17trampoline_kernelINS0_13select_configILj256ELj13ELNS0_17block_load_methodE3ELS4_3ELS4_3ELNS0_20block_scan_algorithmE0ELj4294967295EEENS1_25partition_config_selectorILNS1_17partition_subalgoE3EjNS0_10empty_typeEbEEZZNS1_14partition_implILS8_3ELb0ES6_jNS0_17counting_iteratorIjlEEPS9_SE_NS0_5tupleIJPjSE_EEENSF_IJSE_SE_EEES9_SG_JZNS1_25segmented_radix_sort_implINS0_14default_configELb0EPKbPbPKlPlN2at6native12_GLOBAL__N_18offset_tEEE10hipError_tPvRmT1_PNSt15iterator_traitsISY_E10value_typeET2_T3_PNSZ_IS14_E10value_typeET4_jRbjT5_S1A_jjP12ihipStream_tbEUljE_EEESV_SW_SX_S14_S18_S1A_T6_T7_T9_mT8_S1C_bDpT10_ENKUlT_T0_E_clISt17integral_constantIbLb1EES1O_IbLb0EEEEDaS1K_S1L_EUlS1K_E_NS1_11comp_targetILNS1_3genE10ELNS1_11target_archE1200ELNS1_3gpuE4ELNS1_3repE0EEENS1_30default_config_static_selectorELNS0_4arch9wavefront6targetE0EEEvSY_ ; -- Begin function _ZN7rocprim17ROCPRIM_400000_NS6detail17trampoline_kernelINS0_13select_configILj256ELj13ELNS0_17block_load_methodE3ELS4_3ELS4_3ELNS0_20block_scan_algorithmE0ELj4294967295EEENS1_25partition_config_selectorILNS1_17partition_subalgoE3EjNS0_10empty_typeEbEEZZNS1_14partition_implILS8_3ELb0ES6_jNS0_17counting_iteratorIjlEEPS9_SE_NS0_5tupleIJPjSE_EEENSF_IJSE_SE_EEES9_SG_JZNS1_25segmented_radix_sort_implINS0_14default_configELb0EPKbPbPKlPlN2at6native12_GLOBAL__N_18offset_tEEE10hipError_tPvRmT1_PNSt15iterator_traitsISY_E10value_typeET2_T3_PNSZ_IS14_E10value_typeET4_jRbjT5_S1A_jjP12ihipStream_tbEUljE_EEESV_SW_SX_S14_S18_S1A_T6_T7_T9_mT8_S1C_bDpT10_ENKUlT_T0_E_clISt17integral_constantIbLb1EES1O_IbLb0EEEEDaS1K_S1L_EUlS1K_E_NS1_11comp_targetILNS1_3genE10ELNS1_11target_archE1200ELNS1_3gpuE4ELNS1_3repE0EEENS1_30default_config_static_selectorELNS0_4arch9wavefront6targetE0EEEvSY_
	.p2align	8
	.type	_ZN7rocprim17ROCPRIM_400000_NS6detail17trampoline_kernelINS0_13select_configILj256ELj13ELNS0_17block_load_methodE3ELS4_3ELS4_3ELNS0_20block_scan_algorithmE0ELj4294967295EEENS1_25partition_config_selectorILNS1_17partition_subalgoE3EjNS0_10empty_typeEbEEZZNS1_14partition_implILS8_3ELb0ES6_jNS0_17counting_iteratorIjlEEPS9_SE_NS0_5tupleIJPjSE_EEENSF_IJSE_SE_EEES9_SG_JZNS1_25segmented_radix_sort_implINS0_14default_configELb0EPKbPbPKlPlN2at6native12_GLOBAL__N_18offset_tEEE10hipError_tPvRmT1_PNSt15iterator_traitsISY_E10value_typeET2_T3_PNSZ_IS14_E10value_typeET4_jRbjT5_S1A_jjP12ihipStream_tbEUljE_EEESV_SW_SX_S14_S18_S1A_T6_T7_T9_mT8_S1C_bDpT10_ENKUlT_T0_E_clISt17integral_constantIbLb1EES1O_IbLb0EEEEDaS1K_S1L_EUlS1K_E_NS1_11comp_targetILNS1_3genE10ELNS1_11target_archE1200ELNS1_3gpuE4ELNS1_3repE0EEENS1_30default_config_static_selectorELNS0_4arch9wavefront6targetE0EEEvSY_,@function
_ZN7rocprim17ROCPRIM_400000_NS6detail17trampoline_kernelINS0_13select_configILj256ELj13ELNS0_17block_load_methodE3ELS4_3ELS4_3ELNS0_20block_scan_algorithmE0ELj4294967295EEENS1_25partition_config_selectorILNS1_17partition_subalgoE3EjNS0_10empty_typeEbEEZZNS1_14partition_implILS8_3ELb0ES6_jNS0_17counting_iteratorIjlEEPS9_SE_NS0_5tupleIJPjSE_EEENSF_IJSE_SE_EEES9_SG_JZNS1_25segmented_radix_sort_implINS0_14default_configELb0EPKbPbPKlPlN2at6native12_GLOBAL__N_18offset_tEEE10hipError_tPvRmT1_PNSt15iterator_traitsISY_E10value_typeET2_T3_PNSZ_IS14_E10value_typeET4_jRbjT5_S1A_jjP12ihipStream_tbEUljE_EEESV_SW_SX_S14_S18_S1A_T6_T7_T9_mT8_S1C_bDpT10_ENKUlT_T0_E_clISt17integral_constantIbLb1EES1O_IbLb0EEEEDaS1K_S1L_EUlS1K_E_NS1_11comp_targetILNS1_3genE10ELNS1_11target_archE1200ELNS1_3gpuE4ELNS1_3repE0EEENS1_30default_config_static_selectorELNS0_4arch9wavefront6targetE0EEEvSY_: ; @_ZN7rocprim17ROCPRIM_400000_NS6detail17trampoline_kernelINS0_13select_configILj256ELj13ELNS0_17block_load_methodE3ELS4_3ELS4_3ELNS0_20block_scan_algorithmE0ELj4294967295EEENS1_25partition_config_selectorILNS1_17partition_subalgoE3EjNS0_10empty_typeEbEEZZNS1_14partition_implILS8_3ELb0ES6_jNS0_17counting_iteratorIjlEEPS9_SE_NS0_5tupleIJPjSE_EEENSF_IJSE_SE_EEES9_SG_JZNS1_25segmented_radix_sort_implINS0_14default_configELb0EPKbPbPKlPlN2at6native12_GLOBAL__N_18offset_tEEE10hipError_tPvRmT1_PNSt15iterator_traitsISY_E10value_typeET2_T3_PNSZ_IS14_E10value_typeET4_jRbjT5_S1A_jjP12ihipStream_tbEUljE_EEESV_SW_SX_S14_S18_S1A_T6_T7_T9_mT8_S1C_bDpT10_ENKUlT_T0_E_clISt17integral_constantIbLb1EES1O_IbLb0EEEEDaS1K_S1L_EUlS1K_E_NS1_11comp_targetILNS1_3genE10ELNS1_11target_archE1200ELNS1_3gpuE4ELNS1_3repE0EEENS1_30default_config_static_selectorELNS0_4arch9wavefront6targetE0EEEvSY_
; %bb.0:
	s_endpgm
	.section	.rodata,"a",@progbits
	.p2align	6, 0x0
	.amdhsa_kernel _ZN7rocprim17ROCPRIM_400000_NS6detail17trampoline_kernelINS0_13select_configILj256ELj13ELNS0_17block_load_methodE3ELS4_3ELS4_3ELNS0_20block_scan_algorithmE0ELj4294967295EEENS1_25partition_config_selectorILNS1_17partition_subalgoE3EjNS0_10empty_typeEbEEZZNS1_14partition_implILS8_3ELb0ES6_jNS0_17counting_iteratorIjlEEPS9_SE_NS0_5tupleIJPjSE_EEENSF_IJSE_SE_EEES9_SG_JZNS1_25segmented_radix_sort_implINS0_14default_configELb0EPKbPbPKlPlN2at6native12_GLOBAL__N_18offset_tEEE10hipError_tPvRmT1_PNSt15iterator_traitsISY_E10value_typeET2_T3_PNSZ_IS14_E10value_typeET4_jRbjT5_S1A_jjP12ihipStream_tbEUljE_EEESV_SW_SX_S14_S18_S1A_T6_T7_T9_mT8_S1C_bDpT10_ENKUlT_T0_E_clISt17integral_constantIbLb1EES1O_IbLb0EEEEDaS1K_S1L_EUlS1K_E_NS1_11comp_targetILNS1_3genE10ELNS1_11target_archE1200ELNS1_3gpuE4ELNS1_3repE0EEENS1_30default_config_static_selectorELNS0_4arch9wavefront6targetE0EEEvSY_
		.amdhsa_group_segment_fixed_size 0
		.amdhsa_private_segment_fixed_size 0
		.amdhsa_kernarg_size 144
		.amdhsa_user_sgpr_count 2
		.amdhsa_user_sgpr_dispatch_ptr 0
		.amdhsa_user_sgpr_queue_ptr 0
		.amdhsa_user_sgpr_kernarg_segment_ptr 1
		.amdhsa_user_sgpr_dispatch_id 0
		.amdhsa_user_sgpr_private_segment_size 0
		.amdhsa_wavefront_size32 1
		.amdhsa_uses_dynamic_stack 0
		.amdhsa_enable_private_segment 0
		.amdhsa_system_sgpr_workgroup_id_x 1
		.amdhsa_system_sgpr_workgroup_id_y 0
		.amdhsa_system_sgpr_workgroup_id_z 0
		.amdhsa_system_sgpr_workgroup_info 0
		.amdhsa_system_vgpr_workitem_id 0
		.amdhsa_next_free_vgpr 1
		.amdhsa_next_free_sgpr 1
		.amdhsa_reserve_vcc 0
		.amdhsa_float_round_mode_32 0
		.amdhsa_float_round_mode_16_64 0
		.amdhsa_float_denorm_mode_32 3
		.amdhsa_float_denorm_mode_16_64 3
		.amdhsa_fp16_overflow 0
		.amdhsa_workgroup_processor_mode 1
		.amdhsa_memory_ordered 1
		.amdhsa_forward_progress 1
		.amdhsa_inst_pref_size 1
		.amdhsa_round_robin_scheduling 0
		.amdhsa_exception_fp_ieee_invalid_op 0
		.amdhsa_exception_fp_denorm_src 0
		.amdhsa_exception_fp_ieee_div_zero 0
		.amdhsa_exception_fp_ieee_overflow 0
		.amdhsa_exception_fp_ieee_underflow 0
		.amdhsa_exception_fp_ieee_inexact 0
		.amdhsa_exception_int_div_zero 0
	.end_amdhsa_kernel
	.section	.text._ZN7rocprim17ROCPRIM_400000_NS6detail17trampoline_kernelINS0_13select_configILj256ELj13ELNS0_17block_load_methodE3ELS4_3ELS4_3ELNS0_20block_scan_algorithmE0ELj4294967295EEENS1_25partition_config_selectorILNS1_17partition_subalgoE3EjNS0_10empty_typeEbEEZZNS1_14partition_implILS8_3ELb0ES6_jNS0_17counting_iteratorIjlEEPS9_SE_NS0_5tupleIJPjSE_EEENSF_IJSE_SE_EEES9_SG_JZNS1_25segmented_radix_sort_implINS0_14default_configELb0EPKbPbPKlPlN2at6native12_GLOBAL__N_18offset_tEEE10hipError_tPvRmT1_PNSt15iterator_traitsISY_E10value_typeET2_T3_PNSZ_IS14_E10value_typeET4_jRbjT5_S1A_jjP12ihipStream_tbEUljE_EEESV_SW_SX_S14_S18_S1A_T6_T7_T9_mT8_S1C_bDpT10_ENKUlT_T0_E_clISt17integral_constantIbLb1EES1O_IbLb0EEEEDaS1K_S1L_EUlS1K_E_NS1_11comp_targetILNS1_3genE10ELNS1_11target_archE1200ELNS1_3gpuE4ELNS1_3repE0EEENS1_30default_config_static_selectorELNS0_4arch9wavefront6targetE0EEEvSY_,"axG",@progbits,_ZN7rocprim17ROCPRIM_400000_NS6detail17trampoline_kernelINS0_13select_configILj256ELj13ELNS0_17block_load_methodE3ELS4_3ELS4_3ELNS0_20block_scan_algorithmE0ELj4294967295EEENS1_25partition_config_selectorILNS1_17partition_subalgoE3EjNS0_10empty_typeEbEEZZNS1_14partition_implILS8_3ELb0ES6_jNS0_17counting_iteratorIjlEEPS9_SE_NS0_5tupleIJPjSE_EEENSF_IJSE_SE_EEES9_SG_JZNS1_25segmented_radix_sort_implINS0_14default_configELb0EPKbPbPKlPlN2at6native12_GLOBAL__N_18offset_tEEE10hipError_tPvRmT1_PNSt15iterator_traitsISY_E10value_typeET2_T3_PNSZ_IS14_E10value_typeET4_jRbjT5_S1A_jjP12ihipStream_tbEUljE_EEESV_SW_SX_S14_S18_S1A_T6_T7_T9_mT8_S1C_bDpT10_ENKUlT_T0_E_clISt17integral_constantIbLb1EES1O_IbLb0EEEEDaS1K_S1L_EUlS1K_E_NS1_11comp_targetILNS1_3genE10ELNS1_11target_archE1200ELNS1_3gpuE4ELNS1_3repE0EEENS1_30default_config_static_selectorELNS0_4arch9wavefront6targetE0EEEvSY_,comdat
.Lfunc_end1624:
	.size	_ZN7rocprim17ROCPRIM_400000_NS6detail17trampoline_kernelINS0_13select_configILj256ELj13ELNS0_17block_load_methodE3ELS4_3ELS4_3ELNS0_20block_scan_algorithmE0ELj4294967295EEENS1_25partition_config_selectorILNS1_17partition_subalgoE3EjNS0_10empty_typeEbEEZZNS1_14partition_implILS8_3ELb0ES6_jNS0_17counting_iteratorIjlEEPS9_SE_NS0_5tupleIJPjSE_EEENSF_IJSE_SE_EEES9_SG_JZNS1_25segmented_radix_sort_implINS0_14default_configELb0EPKbPbPKlPlN2at6native12_GLOBAL__N_18offset_tEEE10hipError_tPvRmT1_PNSt15iterator_traitsISY_E10value_typeET2_T3_PNSZ_IS14_E10value_typeET4_jRbjT5_S1A_jjP12ihipStream_tbEUljE_EEESV_SW_SX_S14_S18_S1A_T6_T7_T9_mT8_S1C_bDpT10_ENKUlT_T0_E_clISt17integral_constantIbLb1EES1O_IbLb0EEEEDaS1K_S1L_EUlS1K_E_NS1_11comp_targetILNS1_3genE10ELNS1_11target_archE1200ELNS1_3gpuE4ELNS1_3repE0EEENS1_30default_config_static_selectorELNS0_4arch9wavefront6targetE0EEEvSY_, .Lfunc_end1624-_ZN7rocprim17ROCPRIM_400000_NS6detail17trampoline_kernelINS0_13select_configILj256ELj13ELNS0_17block_load_methodE3ELS4_3ELS4_3ELNS0_20block_scan_algorithmE0ELj4294967295EEENS1_25partition_config_selectorILNS1_17partition_subalgoE3EjNS0_10empty_typeEbEEZZNS1_14partition_implILS8_3ELb0ES6_jNS0_17counting_iteratorIjlEEPS9_SE_NS0_5tupleIJPjSE_EEENSF_IJSE_SE_EEES9_SG_JZNS1_25segmented_radix_sort_implINS0_14default_configELb0EPKbPbPKlPlN2at6native12_GLOBAL__N_18offset_tEEE10hipError_tPvRmT1_PNSt15iterator_traitsISY_E10value_typeET2_T3_PNSZ_IS14_E10value_typeET4_jRbjT5_S1A_jjP12ihipStream_tbEUljE_EEESV_SW_SX_S14_S18_S1A_T6_T7_T9_mT8_S1C_bDpT10_ENKUlT_T0_E_clISt17integral_constantIbLb1EES1O_IbLb0EEEEDaS1K_S1L_EUlS1K_E_NS1_11comp_targetILNS1_3genE10ELNS1_11target_archE1200ELNS1_3gpuE4ELNS1_3repE0EEENS1_30default_config_static_selectorELNS0_4arch9wavefront6targetE0EEEvSY_
                                        ; -- End function
	.set _ZN7rocprim17ROCPRIM_400000_NS6detail17trampoline_kernelINS0_13select_configILj256ELj13ELNS0_17block_load_methodE3ELS4_3ELS4_3ELNS0_20block_scan_algorithmE0ELj4294967295EEENS1_25partition_config_selectorILNS1_17partition_subalgoE3EjNS0_10empty_typeEbEEZZNS1_14partition_implILS8_3ELb0ES6_jNS0_17counting_iteratorIjlEEPS9_SE_NS0_5tupleIJPjSE_EEENSF_IJSE_SE_EEES9_SG_JZNS1_25segmented_radix_sort_implINS0_14default_configELb0EPKbPbPKlPlN2at6native12_GLOBAL__N_18offset_tEEE10hipError_tPvRmT1_PNSt15iterator_traitsISY_E10value_typeET2_T3_PNSZ_IS14_E10value_typeET4_jRbjT5_S1A_jjP12ihipStream_tbEUljE_EEESV_SW_SX_S14_S18_S1A_T6_T7_T9_mT8_S1C_bDpT10_ENKUlT_T0_E_clISt17integral_constantIbLb1EES1O_IbLb0EEEEDaS1K_S1L_EUlS1K_E_NS1_11comp_targetILNS1_3genE10ELNS1_11target_archE1200ELNS1_3gpuE4ELNS1_3repE0EEENS1_30default_config_static_selectorELNS0_4arch9wavefront6targetE0EEEvSY_.num_vgpr, 0
	.set _ZN7rocprim17ROCPRIM_400000_NS6detail17trampoline_kernelINS0_13select_configILj256ELj13ELNS0_17block_load_methodE3ELS4_3ELS4_3ELNS0_20block_scan_algorithmE0ELj4294967295EEENS1_25partition_config_selectorILNS1_17partition_subalgoE3EjNS0_10empty_typeEbEEZZNS1_14partition_implILS8_3ELb0ES6_jNS0_17counting_iteratorIjlEEPS9_SE_NS0_5tupleIJPjSE_EEENSF_IJSE_SE_EEES9_SG_JZNS1_25segmented_radix_sort_implINS0_14default_configELb0EPKbPbPKlPlN2at6native12_GLOBAL__N_18offset_tEEE10hipError_tPvRmT1_PNSt15iterator_traitsISY_E10value_typeET2_T3_PNSZ_IS14_E10value_typeET4_jRbjT5_S1A_jjP12ihipStream_tbEUljE_EEESV_SW_SX_S14_S18_S1A_T6_T7_T9_mT8_S1C_bDpT10_ENKUlT_T0_E_clISt17integral_constantIbLb1EES1O_IbLb0EEEEDaS1K_S1L_EUlS1K_E_NS1_11comp_targetILNS1_3genE10ELNS1_11target_archE1200ELNS1_3gpuE4ELNS1_3repE0EEENS1_30default_config_static_selectorELNS0_4arch9wavefront6targetE0EEEvSY_.num_agpr, 0
	.set _ZN7rocprim17ROCPRIM_400000_NS6detail17trampoline_kernelINS0_13select_configILj256ELj13ELNS0_17block_load_methodE3ELS4_3ELS4_3ELNS0_20block_scan_algorithmE0ELj4294967295EEENS1_25partition_config_selectorILNS1_17partition_subalgoE3EjNS0_10empty_typeEbEEZZNS1_14partition_implILS8_3ELb0ES6_jNS0_17counting_iteratorIjlEEPS9_SE_NS0_5tupleIJPjSE_EEENSF_IJSE_SE_EEES9_SG_JZNS1_25segmented_radix_sort_implINS0_14default_configELb0EPKbPbPKlPlN2at6native12_GLOBAL__N_18offset_tEEE10hipError_tPvRmT1_PNSt15iterator_traitsISY_E10value_typeET2_T3_PNSZ_IS14_E10value_typeET4_jRbjT5_S1A_jjP12ihipStream_tbEUljE_EEESV_SW_SX_S14_S18_S1A_T6_T7_T9_mT8_S1C_bDpT10_ENKUlT_T0_E_clISt17integral_constantIbLb1EES1O_IbLb0EEEEDaS1K_S1L_EUlS1K_E_NS1_11comp_targetILNS1_3genE10ELNS1_11target_archE1200ELNS1_3gpuE4ELNS1_3repE0EEENS1_30default_config_static_selectorELNS0_4arch9wavefront6targetE0EEEvSY_.numbered_sgpr, 0
	.set _ZN7rocprim17ROCPRIM_400000_NS6detail17trampoline_kernelINS0_13select_configILj256ELj13ELNS0_17block_load_methodE3ELS4_3ELS4_3ELNS0_20block_scan_algorithmE0ELj4294967295EEENS1_25partition_config_selectorILNS1_17partition_subalgoE3EjNS0_10empty_typeEbEEZZNS1_14partition_implILS8_3ELb0ES6_jNS0_17counting_iteratorIjlEEPS9_SE_NS0_5tupleIJPjSE_EEENSF_IJSE_SE_EEES9_SG_JZNS1_25segmented_radix_sort_implINS0_14default_configELb0EPKbPbPKlPlN2at6native12_GLOBAL__N_18offset_tEEE10hipError_tPvRmT1_PNSt15iterator_traitsISY_E10value_typeET2_T3_PNSZ_IS14_E10value_typeET4_jRbjT5_S1A_jjP12ihipStream_tbEUljE_EEESV_SW_SX_S14_S18_S1A_T6_T7_T9_mT8_S1C_bDpT10_ENKUlT_T0_E_clISt17integral_constantIbLb1EES1O_IbLb0EEEEDaS1K_S1L_EUlS1K_E_NS1_11comp_targetILNS1_3genE10ELNS1_11target_archE1200ELNS1_3gpuE4ELNS1_3repE0EEENS1_30default_config_static_selectorELNS0_4arch9wavefront6targetE0EEEvSY_.num_named_barrier, 0
	.set _ZN7rocprim17ROCPRIM_400000_NS6detail17trampoline_kernelINS0_13select_configILj256ELj13ELNS0_17block_load_methodE3ELS4_3ELS4_3ELNS0_20block_scan_algorithmE0ELj4294967295EEENS1_25partition_config_selectorILNS1_17partition_subalgoE3EjNS0_10empty_typeEbEEZZNS1_14partition_implILS8_3ELb0ES6_jNS0_17counting_iteratorIjlEEPS9_SE_NS0_5tupleIJPjSE_EEENSF_IJSE_SE_EEES9_SG_JZNS1_25segmented_radix_sort_implINS0_14default_configELb0EPKbPbPKlPlN2at6native12_GLOBAL__N_18offset_tEEE10hipError_tPvRmT1_PNSt15iterator_traitsISY_E10value_typeET2_T3_PNSZ_IS14_E10value_typeET4_jRbjT5_S1A_jjP12ihipStream_tbEUljE_EEESV_SW_SX_S14_S18_S1A_T6_T7_T9_mT8_S1C_bDpT10_ENKUlT_T0_E_clISt17integral_constantIbLb1EES1O_IbLb0EEEEDaS1K_S1L_EUlS1K_E_NS1_11comp_targetILNS1_3genE10ELNS1_11target_archE1200ELNS1_3gpuE4ELNS1_3repE0EEENS1_30default_config_static_selectorELNS0_4arch9wavefront6targetE0EEEvSY_.private_seg_size, 0
	.set _ZN7rocprim17ROCPRIM_400000_NS6detail17trampoline_kernelINS0_13select_configILj256ELj13ELNS0_17block_load_methodE3ELS4_3ELS4_3ELNS0_20block_scan_algorithmE0ELj4294967295EEENS1_25partition_config_selectorILNS1_17partition_subalgoE3EjNS0_10empty_typeEbEEZZNS1_14partition_implILS8_3ELb0ES6_jNS0_17counting_iteratorIjlEEPS9_SE_NS0_5tupleIJPjSE_EEENSF_IJSE_SE_EEES9_SG_JZNS1_25segmented_radix_sort_implINS0_14default_configELb0EPKbPbPKlPlN2at6native12_GLOBAL__N_18offset_tEEE10hipError_tPvRmT1_PNSt15iterator_traitsISY_E10value_typeET2_T3_PNSZ_IS14_E10value_typeET4_jRbjT5_S1A_jjP12ihipStream_tbEUljE_EEESV_SW_SX_S14_S18_S1A_T6_T7_T9_mT8_S1C_bDpT10_ENKUlT_T0_E_clISt17integral_constantIbLb1EES1O_IbLb0EEEEDaS1K_S1L_EUlS1K_E_NS1_11comp_targetILNS1_3genE10ELNS1_11target_archE1200ELNS1_3gpuE4ELNS1_3repE0EEENS1_30default_config_static_selectorELNS0_4arch9wavefront6targetE0EEEvSY_.uses_vcc, 0
	.set _ZN7rocprim17ROCPRIM_400000_NS6detail17trampoline_kernelINS0_13select_configILj256ELj13ELNS0_17block_load_methodE3ELS4_3ELS4_3ELNS0_20block_scan_algorithmE0ELj4294967295EEENS1_25partition_config_selectorILNS1_17partition_subalgoE3EjNS0_10empty_typeEbEEZZNS1_14partition_implILS8_3ELb0ES6_jNS0_17counting_iteratorIjlEEPS9_SE_NS0_5tupleIJPjSE_EEENSF_IJSE_SE_EEES9_SG_JZNS1_25segmented_radix_sort_implINS0_14default_configELb0EPKbPbPKlPlN2at6native12_GLOBAL__N_18offset_tEEE10hipError_tPvRmT1_PNSt15iterator_traitsISY_E10value_typeET2_T3_PNSZ_IS14_E10value_typeET4_jRbjT5_S1A_jjP12ihipStream_tbEUljE_EEESV_SW_SX_S14_S18_S1A_T6_T7_T9_mT8_S1C_bDpT10_ENKUlT_T0_E_clISt17integral_constantIbLb1EES1O_IbLb0EEEEDaS1K_S1L_EUlS1K_E_NS1_11comp_targetILNS1_3genE10ELNS1_11target_archE1200ELNS1_3gpuE4ELNS1_3repE0EEENS1_30default_config_static_selectorELNS0_4arch9wavefront6targetE0EEEvSY_.uses_flat_scratch, 0
	.set _ZN7rocprim17ROCPRIM_400000_NS6detail17trampoline_kernelINS0_13select_configILj256ELj13ELNS0_17block_load_methodE3ELS4_3ELS4_3ELNS0_20block_scan_algorithmE0ELj4294967295EEENS1_25partition_config_selectorILNS1_17partition_subalgoE3EjNS0_10empty_typeEbEEZZNS1_14partition_implILS8_3ELb0ES6_jNS0_17counting_iteratorIjlEEPS9_SE_NS0_5tupleIJPjSE_EEENSF_IJSE_SE_EEES9_SG_JZNS1_25segmented_radix_sort_implINS0_14default_configELb0EPKbPbPKlPlN2at6native12_GLOBAL__N_18offset_tEEE10hipError_tPvRmT1_PNSt15iterator_traitsISY_E10value_typeET2_T3_PNSZ_IS14_E10value_typeET4_jRbjT5_S1A_jjP12ihipStream_tbEUljE_EEESV_SW_SX_S14_S18_S1A_T6_T7_T9_mT8_S1C_bDpT10_ENKUlT_T0_E_clISt17integral_constantIbLb1EES1O_IbLb0EEEEDaS1K_S1L_EUlS1K_E_NS1_11comp_targetILNS1_3genE10ELNS1_11target_archE1200ELNS1_3gpuE4ELNS1_3repE0EEENS1_30default_config_static_selectorELNS0_4arch9wavefront6targetE0EEEvSY_.has_dyn_sized_stack, 0
	.set _ZN7rocprim17ROCPRIM_400000_NS6detail17trampoline_kernelINS0_13select_configILj256ELj13ELNS0_17block_load_methodE3ELS4_3ELS4_3ELNS0_20block_scan_algorithmE0ELj4294967295EEENS1_25partition_config_selectorILNS1_17partition_subalgoE3EjNS0_10empty_typeEbEEZZNS1_14partition_implILS8_3ELb0ES6_jNS0_17counting_iteratorIjlEEPS9_SE_NS0_5tupleIJPjSE_EEENSF_IJSE_SE_EEES9_SG_JZNS1_25segmented_radix_sort_implINS0_14default_configELb0EPKbPbPKlPlN2at6native12_GLOBAL__N_18offset_tEEE10hipError_tPvRmT1_PNSt15iterator_traitsISY_E10value_typeET2_T3_PNSZ_IS14_E10value_typeET4_jRbjT5_S1A_jjP12ihipStream_tbEUljE_EEESV_SW_SX_S14_S18_S1A_T6_T7_T9_mT8_S1C_bDpT10_ENKUlT_T0_E_clISt17integral_constantIbLb1EES1O_IbLb0EEEEDaS1K_S1L_EUlS1K_E_NS1_11comp_targetILNS1_3genE10ELNS1_11target_archE1200ELNS1_3gpuE4ELNS1_3repE0EEENS1_30default_config_static_selectorELNS0_4arch9wavefront6targetE0EEEvSY_.has_recursion, 0
	.set _ZN7rocprim17ROCPRIM_400000_NS6detail17trampoline_kernelINS0_13select_configILj256ELj13ELNS0_17block_load_methodE3ELS4_3ELS4_3ELNS0_20block_scan_algorithmE0ELj4294967295EEENS1_25partition_config_selectorILNS1_17partition_subalgoE3EjNS0_10empty_typeEbEEZZNS1_14partition_implILS8_3ELb0ES6_jNS0_17counting_iteratorIjlEEPS9_SE_NS0_5tupleIJPjSE_EEENSF_IJSE_SE_EEES9_SG_JZNS1_25segmented_radix_sort_implINS0_14default_configELb0EPKbPbPKlPlN2at6native12_GLOBAL__N_18offset_tEEE10hipError_tPvRmT1_PNSt15iterator_traitsISY_E10value_typeET2_T3_PNSZ_IS14_E10value_typeET4_jRbjT5_S1A_jjP12ihipStream_tbEUljE_EEESV_SW_SX_S14_S18_S1A_T6_T7_T9_mT8_S1C_bDpT10_ENKUlT_T0_E_clISt17integral_constantIbLb1EES1O_IbLb0EEEEDaS1K_S1L_EUlS1K_E_NS1_11comp_targetILNS1_3genE10ELNS1_11target_archE1200ELNS1_3gpuE4ELNS1_3repE0EEENS1_30default_config_static_selectorELNS0_4arch9wavefront6targetE0EEEvSY_.has_indirect_call, 0
	.section	.AMDGPU.csdata,"",@progbits
; Kernel info:
; codeLenInByte = 4
; TotalNumSgprs: 0
; NumVgprs: 0
; ScratchSize: 0
; MemoryBound: 0
; FloatMode: 240
; IeeeMode: 1
; LDSByteSize: 0 bytes/workgroup (compile time only)
; SGPRBlocks: 0
; VGPRBlocks: 0
; NumSGPRsForWavesPerEU: 1
; NumVGPRsForWavesPerEU: 1
; Occupancy: 16
; WaveLimiterHint : 0
; COMPUTE_PGM_RSRC2:SCRATCH_EN: 0
; COMPUTE_PGM_RSRC2:USER_SGPR: 2
; COMPUTE_PGM_RSRC2:TRAP_HANDLER: 0
; COMPUTE_PGM_RSRC2:TGID_X_EN: 1
; COMPUTE_PGM_RSRC2:TGID_Y_EN: 0
; COMPUTE_PGM_RSRC2:TGID_Z_EN: 0
; COMPUTE_PGM_RSRC2:TIDIG_COMP_CNT: 0
	.section	.text._ZN7rocprim17ROCPRIM_400000_NS6detail17trampoline_kernelINS0_13select_configILj256ELj13ELNS0_17block_load_methodE3ELS4_3ELS4_3ELNS0_20block_scan_algorithmE0ELj4294967295EEENS1_25partition_config_selectorILNS1_17partition_subalgoE3EjNS0_10empty_typeEbEEZZNS1_14partition_implILS8_3ELb0ES6_jNS0_17counting_iteratorIjlEEPS9_SE_NS0_5tupleIJPjSE_EEENSF_IJSE_SE_EEES9_SG_JZNS1_25segmented_radix_sort_implINS0_14default_configELb0EPKbPbPKlPlN2at6native12_GLOBAL__N_18offset_tEEE10hipError_tPvRmT1_PNSt15iterator_traitsISY_E10value_typeET2_T3_PNSZ_IS14_E10value_typeET4_jRbjT5_S1A_jjP12ihipStream_tbEUljE_EEESV_SW_SX_S14_S18_S1A_T6_T7_T9_mT8_S1C_bDpT10_ENKUlT_T0_E_clISt17integral_constantIbLb1EES1O_IbLb0EEEEDaS1K_S1L_EUlS1K_E_NS1_11comp_targetILNS1_3genE9ELNS1_11target_archE1100ELNS1_3gpuE3ELNS1_3repE0EEENS1_30default_config_static_selectorELNS0_4arch9wavefront6targetE0EEEvSY_,"axG",@progbits,_ZN7rocprim17ROCPRIM_400000_NS6detail17trampoline_kernelINS0_13select_configILj256ELj13ELNS0_17block_load_methodE3ELS4_3ELS4_3ELNS0_20block_scan_algorithmE0ELj4294967295EEENS1_25partition_config_selectorILNS1_17partition_subalgoE3EjNS0_10empty_typeEbEEZZNS1_14partition_implILS8_3ELb0ES6_jNS0_17counting_iteratorIjlEEPS9_SE_NS0_5tupleIJPjSE_EEENSF_IJSE_SE_EEES9_SG_JZNS1_25segmented_radix_sort_implINS0_14default_configELb0EPKbPbPKlPlN2at6native12_GLOBAL__N_18offset_tEEE10hipError_tPvRmT1_PNSt15iterator_traitsISY_E10value_typeET2_T3_PNSZ_IS14_E10value_typeET4_jRbjT5_S1A_jjP12ihipStream_tbEUljE_EEESV_SW_SX_S14_S18_S1A_T6_T7_T9_mT8_S1C_bDpT10_ENKUlT_T0_E_clISt17integral_constantIbLb1EES1O_IbLb0EEEEDaS1K_S1L_EUlS1K_E_NS1_11comp_targetILNS1_3genE9ELNS1_11target_archE1100ELNS1_3gpuE3ELNS1_3repE0EEENS1_30default_config_static_selectorELNS0_4arch9wavefront6targetE0EEEvSY_,comdat
	.globl	_ZN7rocprim17ROCPRIM_400000_NS6detail17trampoline_kernelINS0_13select_configILj256ELj13ELNS0_17block_load_methodE3ELS4_3ELS4_3ELNS0_20block_scan_algorithmE0ELj4294967295EEENS1_25partition_config_selectorILNS1_17partition_subalgoE3EjNS0_10empty_typeEbEEZZNS1_14partition_implILS8_3ELb0ES6_jNS0_17counting_iteratorIjlEEPS9_SE_NS0_5tupleIJPjSE_EEENSF_IJSE_SE_EEES9_SG_JZNS1_25segmented_radix_sort_implINS0_14default_configELb0EPKbPbPKlPlN2at6native12_GLOBAL__N_18offset_tEEE10hipError_tPvRmT1_PNSt15iterator_traitsISY_E10value_typeET2_T3_PNSZ_IS14_E10value_typeET4_jRbjT5_S1A_jjP12ihipStream_tbEUljE_EEESV_SW_SX_S14_S18_S1A_T6_T7_T9_mT8_S1C_bDpT10_ENKUlT_T0_E_clISt17integral_constantIbLb1EES1O_IbLb0EEEEDaS1K_S1L_EUlS1K_E_NS1_11comp_targetILNS1_3genE9ELNS1_11target_archE1100ELNS1_3gpuE3ELNS1_3repE0EEENS1_30default_config_static_selectorELNS0_4arch9wavefront6targetE0EEEvSY_ ; -- Begin function _ZN7rocprim17ROCPRIM_400000_NS6detail17trampoline_kernelINS0_13select_configILj256ELj13ELNS0_17block_load_methodE3ELS4_3ELS4_3ELNS0_20block_scan_algorithmE0ELj4294967295EEENS1_25partition_config_selectorILNS1_17partition_subalgoE3EjNS0_10empty_typeEbEEZZNS1_14partition_implILS8_3ELb0ES6_jNS0_17counting_iteratorIjlEEPS9_SE_NS0_5tupleIJPjSE_EEENSF_IJSE_SE_EEES9_SG_JZNS1_25segmented_radix_sort_implINS0_14default_configELb0EPKbPbPKlPlN2at6native12_GLOBAL__N_18offset_tEEE10hipError_tPvRmT1_PNSt15iterator_traitsISY_E10value_typeET2_T3_PNSZ_IS14_E10value_typeET4_jRbjT5_S1A_jjP12ihipStream_tbEUljE_EEESV_SW_SX_S14_S18_S1A_T6_T7_T9_mT8_S1C_bDpT10_ENKUlT_T0_E_clISt17integral_constantIbLb1EES1O_IbLb0EEEEDaS1K_S1L_EUlS1K_E_NS1_11comp_targetILNS1_3genE9ELNS1_11target_archE1100ELNS1_3gpuE3ELNS1_3repE0EEENS1_30default_config_static_selectorELNS0_4arch9wavefront6targetE0EEEvSY_
	.p2align	8
	.type	_ZN7rocprim17ROCPRIM_400000_NS6detail17trampoline_kernelINS0_13select_configILj256ELj13ELNS0_17block_load_methodE3ELS4_3ELS4_3ELNS0_20block_scan_algorithmE0ELj4294967295EEENS1_25partition_config_selectorILNS1_17partition_subalgoE3EjNS0_10empty_typeEbEEZZNS1_14partition_implILS8_3ELb0ES6_jNS0_17counting_iteratorIjlEEPS9_SE_NS0_5tupleIJPjSE_EEENSF_IJSE_SE_EEES9_SG_JZNS1_25segmented_radix_sort_implINS0_14default_configELb0EPKbPbPKlPlN2at6native12_GLOBAL__N_18offset_tEEE10hipError_tPvRmT1_PNSt15iterator_traitsISY_E10value_typeET2_T3_PNSZ_IS14_E10value_typeET4_jRbjT5_S1A_jjP12ihipStream_tbEUljE_EEESV_SW_SX_S14_S18_S1A_T6_T7_T9_mT8_S1C_bDpT10_ENKUlT_T0_E_clISt17integral_constantIbLb1EES1O_IbLb0EEEEDaS1K_S1L_EUlS1K_E_NS1_11comp_targetILNS1_3genE9ELNS1_11target_archE1100ELNS1_3gpuE3ELNS1_3repE0EEENS1_30default_config_static_selectorELNS0_4arch9wavefront6targetE0EEEvSY_,@function
_ZN7rocprim17ROCPRIM_400000_NS6detail17trampoline_kernelINS0_13select_configILj256ELj13ELNS0_17block_load_methodE3ELS4_3ELS4_3ELNS0_20block_scan_algorithmE0ELj4294967295EEENS1_25partition_config_selectorILNS1_17partition_subalgoE3EjNS0_10empty_typeEbEEZZNS1_14partition_implILS8_3ELb0ES6_jNS0_17counting_iteratorIjlEEPS9_SE_NS0_5tupleIJPjSE_EEENSF_IJSE_SE_EEES9_SG_JZNS1_25segmented_radix_sort_implINS0_14default_configELb0EPKbPbPKlPlN2at6native12_GLOBAL__N_18offset_tEEE10hipError_tPvRmT1_PNSt15iterator_traitsISY_E10value_typeET2_T3_PNSZ_IS14_E10value_typeET4_jRbjT5_S1A_jjP12ihipStream_tbEUljE_EEESV_SW_SX_S14_S18_S1A_T6_T7_T9_mT8_S1C_bDpT10_ENKUlT_T0_E_clISt17integral_constantIbLb1EES1O_IbLb0EEEEDaS1K_S1L_EUlS1K_E_NS1_11comp_targetILNS1_3genE9ELNS1_11target_archE1100ELNS1_3gpuE3ELNS1_3repE0EEENS1_30default_config_static_selectorELNS0_4arch9wavefront6targetE0EEEvSY_: ; @_ZN7rocprim17ROCPRIM_400000_NS6detail17trampoline_kernelINS0_13select_configILj256ELj13ELNS0_17block_load_methodE3ELS4_3ELS4_3ELNS0_20block_scan_algorithmE0ELj4294967295EEENS1_25partition_config_selectorILNS1_17partition_subalgoE3EjNS0_10empty_typeEbEEZZNS1_14partition_implILS8_3ELb0ES6_jNS0_17counting_iteratorIjlEEPS9_SE_NS0_5tupleIJPjSE_EEENSF_IJSE_SE_EEES9_SG_JZNS1_25segmented_radix_sort_implINS0_14default_configELb0EPKbPbPKlPlN2at6native12_GLOBAL__N_18offset_tEEE10hipError_tPvRmT1_PNSt15iterator_traitsISY_E10value_typeET2_T3_PNSZ_IS14_E10value_typeET4_jRbjT5_S1A_jjP12ihipStream_tbEUljE_EEESV_SW_SX_S14_S18_S1A_T6_T7_T9_mT8_S1C_bDpT10_ENKUlT_T0_E_clISt17integral_constantIbLb1EES1O_IbLb0EEEEDaS1K_S1L_EUlS1K_E_NS1_11comp_targetILNS1_3genE9ELNS1_11target_archE1100ELNS1_3gpuE3ELNS1_3repE0EEENS1_30default_config_static_selectorELNS0_4arch9wavefront6targetE0EEEvSY_
; %bb.0:
	.section	.rodata,"a",@progbits
	.p2align	6, 0x0
	.amdhsa_kernel _ZN7rocprim17ROCPRIM_400000_NS6detail17trampoline_kernelINS0_13select_configILj256ELj13ELNS0_17block_load_methodE3ELS4_3ELS4_3ELNS0_20block_scan_algorithmE0ELj4294967295EEENS1_25partition_config_selectorILNS1_17partition_subalgoE3EjNS0_10empty_typeEbEEZZNS1_14partition_implILS8_3ELb0ES6_jNS0_17counting_iteratorIjlEEPS9_SE_NS0_5tupleIJPjSE_EEENSF_IJSE_SE_EEES9_SG_JZNS1_25segmented_radix_sort_implINS0_14default_configELb0EPKbPbPKlPlN2at6native12_GLOBAL__N_18offset_tEEE10hipError_tPvRmT1_PNSt15iterator_traitsISY_E10value_typeET2_T3_PNSZ_IS14_E10value_typeET4_jRbjT5_S1A_jjP12ihipStream_tbEUljE_EEESV_SW_SX_S14_S18_S1A_T6_T7_T9_mT8_S1C_bDpT10_ENKUlT_T0_E_clISt17integral_constantIbLb1EES1O_IbLb0EEEEDaS1K_S1L_EUlS1K_E_NS1_11comp_targetILNS1_3genE9ELNS1_11target_archE1100ELNS1_3gpuE3ELNS1_3repE0EEENS1_30default_config_static_selectorELNS0_4arch9wavefront6targetE0EEEvSY_
		.amdhsa_group_segment_fixed_size 0
		.amdhsa_private_segment_fixed_size 0
		.amdhsa_kernarg_size 144
		.amdhsa_user_sgpr_count 2
		.amdhsa_user_sgpr_dispatch_ptr 0
		.amdhsa_user_sgpr_queue_ptr 0
		.amdhsa_user_sgpr_kernarg_segment_ptr 1
		.amdhsa_user_sgpr_dispatch_id 0
		.amdhsa_user_sgpr_private_segment_size 0
		.amdhsa_wavefront_size32 1
		.amdhsa_uses_dynamic_stack 0
		.amdhsa_enable_private_segment 0
		.amdhsa_system_sgpr_workgroup_id_x 1
		.amdhsa_system_sgpr_workgroup_id_y 0
		.amdhsa_system_sgpr_workgroup_id_z 0
		.amdhsa_system_sgpr_workgroup_info 0
		.amdhsa_system_vgpr_workitem_id 0
		.amdhsa_next_free_vgpr 1
		.amdhsa_next_free_sgpr 1
		.amdhsa_reserve_vcc 0
		.amdhsa_float_round_mode_32 0
		.amdhsa_float_round_mode_16_64 0
		.amdhsa_float_denorm_mode_32 3
		.amdhsa_float_denorm_mode_16_64 3
		.amdhsa_fp16_overflow 0
		.amdhsa_workgroup_processor_mode 1
		.amdhsa_memory_ordered 1
		.amdhsa_forward_progress 1
		.amdhsa_inst_pref_size 0
		.amdhsa_round_robin_scheduling 0
		.amdhsa_exception_fp_ieee_invalid_op 0
		.amdhsa_exception_fp_denorm_src 0
		.amdhsa_exception_fp_ieee_div_zero 0
		.amdhsa_exception_fp_ieee_overflow 0
		.amdhsa_exception_fp_ieee_underflow 0
		.amdhsa_exception_fp_ieee_inexact 0
		.amdhsa_exception_int_div_zero 0
	.end_amdhsa_kernel
	.section	.text._ZN7rocprim17ROCPRIM_400000_NS6detail17trampoline_kernelINS0_13select_configILj256ELj13ELNS0_17block_load_methodE3ELS4_3ELS4_3ELNS0_20block_scan_algorithmE0ELj4294967295EEENS1_25partition_config_selectorILNS1_17partition_subalgoE3EjNS0_10empty_typeEbEEZZNS1_14partition_implILS8_3ELb0ES6_jNS0_17counting_iteratorIjlEEPS9_SE_NS0_5tupleIJPjSE_EEENSF_IJSE_SE_EEES9_SG_JZNS1_25segmented_radix_sort_implINS0_14default_configELb0EPKbPbPKlPlN2at6native12_GLOBAL__N_18offset_tEEE10hipError_tPvRmT1_PNSt15iterator_traitsISY_E10value_typeET2_T3_PNSZ_IS14_E10value_typeET4_jRbjT5_S1A_jjP12ihipStream_tbEUljE_EEESV_SW_SX_S14_S18_S1A_T6_T7_T9_mT8_S1C_bDpT10_ENKUlT_T0_E_clISt17integral_constantIbLb1EES1O_IbLb0EEEEDaS1K_S1L_EUlS1K_E_NS1_11comp_targetILNS1_3genE9ELNS1_11target_archE1100ELNS1_3gpuE3ELNS1_3repE0EEENS1_30default_config_static_selectorELNS0_4arch9wavefront6targetE0EEEvSY_,"axG",@progbits,_ZN7rocprim17ROCPRIM_400000_NS6detail17trampoline_kernelINS0_13select_configILj256ELj13ELNS0_17block_load_methodE3ELS4_3ELS4_3ELNS0_20block_scan_algorithmE0ELj4294967295EEENS1_25partition_config_selectorILNS1_17partition_subalgoE3EjNS0_10empty_typeEbEEZZNS1_14partition_implILS8_3ELb0ES6_jNS0_17counting_iteratorIjlEEPS9_SE_NS0_5tupleIJPjSE_EEENSF_IJSE_SE_EEES9_SG_JZNS1_25segmented_radix_sort_implINS0_14default_configELb0EPKbPbPKlPlN2at6native12_GLOBAL__N_18offset_tEEE10hipError_tPvRmT1_PNSt15iterator_traitsISY_E10value_typeET2_T3_PNSZ_IS14_E10value_typeET4_jRbjT5_S1A_jjP12ihipStream_tbEUljE_EEESV_SW_SX_S14_S18_S1A_T6_T7_T9_mT8_S1C_bDpT10_ENKUlT_T0_E_clISt17integral_constantIbLb1EES1O_IbLb0EEEEDaS1K_S1L_EUlS1K_E_NS1_11comp_targetILNS1_3genE9ELNS1_11target_archE1100ELNS1_3gpuE3ELNS1_3repE0EEENS1_30default_config_static_selectorELNS0_4arch9wavefront6targetE0EEEvSY_,comdat
.Lfunc_end1625:
	.size	_ZN7rocprim17ROCPRIM_400000_NS6detail17trampoline_kernelINS0_13select_configILj256ELj13ELNS0_17block_load_methodE3ELS4_3ELS4_3ELNS0_20block_scan_algorithmE0ELj4294967295EEENS1_25partition_config_selectorILNS1_17partition_subalgoE3EjNS0_10empty_typeEbEEZZNS1_14partition_implILS8_3ELb0ES6_jNS0_17counting_iteratorIjlEEPS9_SE_NS0_5tupleIJPjSE_EEENSF_IJSE_SE_EEES9_SG_JZNS1_25segmented_radix_sort_implINS0_14default_configELb0EPKbPbPKlPlN2at6native12_GLOBAL__N_18offset_tEEE10hipError_tPvRmT1_PNSt15iterator_traitsISY_E10value_typeET2_T3_PNSZ_IS14_E10value_typeET4_jRbjT5_S1A_jjP12ihipStream_tbEUljE_EEESV_SW_SX_S14_S18_S1A_T6_T7_T9_mT8_S1C_bDpT10_ENKUlT_T0_E_clISt17integral_constantIbLb1EES1O_IbLb0EEEEDaS1K_S1L_EUlS1K_E_NS1_11comp_targetILNS1_3genE9ELNS1_11target_archE1100ELNS1_3gpuE3ELNS1_3repE0EEENS1_30default_config_static_selectorELNS0_4arch9wavefront6targetE0EEEvSY_, .Lfunc_end1625-_ZN7rocprim17ROCPRIM_400000_NS6detail17trampoline_kernelINS0_13select_configILj256ELj13ELNS0_17block_load_methodE3ELS4_3ELS4_3ELNS0_20block_scan_algorithmE0ELj4294967295EEENS1_25partition_config_selectorILNS1_17partition_subalgoE3EjNS0_10empty_typeEbEEZZNS1_14partition_implILS8_3ELb0ES6_jNS0_17counting_iteratorIjlEEPS9_SE_NS0_5tupleIJPjSE_EEENSF_IJSE_SE_EEES9_SG_JZNS1_25segmented_radix_sort_implINS0_14default_configELb0EPKbPbPKlPlN2at6native12_GLOBAL__N_18offset_tEEE10hipError_tPvRmT1_PNSt15iterator_traitsISY_E10value_typeET2_T3_PNSZ_IS14_E10value_typeET4_jRbjT5_S1A_jjP12ihipStream_tbEUljE_EEESV_SW_SX_S14_S18_S1A_T6_T7_T9_mT8_S1C_bDpT10_ENKUlT_T0_E_clISt17integral_constantIbLb1EES1O_IbLb0EEEEDaS1K_S1L_EUlS1K_E_NS1_11comp_targetILNS1_3genE9ELNS1_11target_archE1100ELNS1_3gpuE3ELNS1_3repE0EEENS1_30default_config_static_selectorELNS0_4arch9wavefront6targetE0EEEvSY_
                                        ; -- End function
	.set _ZN7rocprim17ROCPRIM_400000_NS6detail17trampoline_kernelINS0_13select_configILj256ELj13ELNS0_17block_load_methodE3ELS4_3ELS4_3ELNS0_20block_scan_algorithmE0ELj4294967295EEENS1_25partition_config_selectorILNS1_17partition_subalgoE3EjNS0_10empty_typeEbEEZZNS1_14partition_implILS8_3ELb0ES6_jNS0_17counting_iteratorIjlEEPS9_SE_NS0_5tupleIJPjSE_EEENSF_IJSE_SE_EEES9_SG_JZNS1_25segmented_radix_sort_implINS0_14default_configELb0EPKbPbPKlPlN2at6native12_GLOBAL__N_18offset_tEEE10hipError_tPvRmT1_PNSt15iterator_traitsISY_E10value_typeET2_T3_PNSZ_IS14_E10value_typeET4_jRbjT5_S1A_jjP12ihipStream_tbEUljE_EEESV_SW_SX_S14_S18_S1A_T6_T7_T9_mT8_S1C_bDpT10_ENKUlT_T0_E_clISt17integral_constantIbLb1EES1O_IbLb0EEEEDaS1K_S1L_EUlS1K_E_NS1_11comp_targetILNS1_3genE9ELNS1_11target_archE1100ELNS1_3gpuE3ELNS1_3repE0EEENS1_30default_config_static_selectorELNS0_4arch9wavefront6targetE0EEEvSY_.num_vgpr, 0
	.set _ZN7rocprim17ROCPRIM_400000_NS6detail17trampoline_kernelINS0_13select_configILj256ELj13ELNS0_17block_load_methodE3ELS4_3ELS4_3ELNS0_20block_scan_algorithmE0ELj4294967295EEENS1_25partition_config_selectorILNS1_17partition_subalgoE3EjNS0_10empty_typeEbEEZZNS1_14partition_implILS8_3ELb0ES6_jNS0_17counting_iteratorIjlEEPS9_SE_NS0_5tupleIJPjSE_EEENSF_IJSE_SE_EEES9_SG_JZNS1_25segmented_radix_sort_implINS0_14default_configELb0EPKbPbPKlPlN2at6native12_GLOBAL__N_18offset_tEEE10hipError_tPvRmT1_PNSt15iterator_traitsISY_E10value_typeET2_T3_PNSZ_IS14_E10value_typeET4_jRbjT5_S1A_jjP12ihipStream_tbEUljE_EEESV_SW_SX_S14_S18_S1A_T6_T7_T9_mT8_S1C_bDpT10_ENKUlT_T0_E_clISt17integral_constantIbLb1EES1O_IbLb0EEEEDaS1K_S1L_EUlS1K_E_NS1_11comp_targetILNS1_3genE9ELNS1_11target_archE1100ELNS1_3gpuE3ELNS1_3repE0EEENS1_30default_config_static_selectorELNS0_4arch9wavefront6targetE0EEEvSY_.num_agpr, 0
	.set _ZN7rocprim17ROCPRIM_400000_NS6detail17trampoline_kernelINS0_13select_configILj256ELj13ELNS0_17block_load_methodE3ELS4_3ELS4_3ELNS0_20block_scan_algorithmE0ELj4294967295EEENS1_25partition_config_selectorILNS1_17partition_subalgoE3EjNS0_10empty_typeEbEEZZNS1_14partition_implILS8_3ELb0ES6_jNS0_17counting_iteratorIjlEEPS9_SE_NS0_5tupleIJPjSE_EEENSF_IJSE_SE_EEES9_SG_JZNS1_25segmented_radix_sort_implINS0_14default_configELb0EPKbPbPKlPlN2at6native12_GLOBAL__N_18offset_tEEE10hipError_tPvRmT1_PNSt15iterator_traitsISY_E10value_typeET2_T3_PNSZ_IS14_E10value_typeET4_jRbjT5_S1A_jjP12ihipStream_tbEUljE_EEESV_SW_SX_S14_S18_S1A_T6_T7_T9_mT8_S1C_bDpT10_ENKUlT_T0_E_clISt17integral_constantIbLb1EES1O_IbLb0EEEEDaS1K_S1L_EUlS1K_E_NS1_11comp_targetILNS1_3genE9ELNS1_11target_archE1100ELNS1_3gpuE3ELNS1_3repE0EEENS1_30default_config_static_selectorELNS0_4arch9wavefront6targetE0EEEvSY_.numbered_sgpr, 0
	.set _ZN7rocprim17ROCPRIM_400000_NS6detail17trampoline_kernelINS0_13select_configILj256ELj13ELNS0_17block_load_methodE3ELS4_3ELS4_3ELNS0_20block_scan_algorithmE0ELj4294967295EEENS1_25partition_config_selectorILNS1_17partition_subalgoE3EjNS0_10empty_typeEbEEZZNS1_14partition_implILS8_3ELb0ES6_jNS0_17counting_iteratorIjlEEPS9_SE_NS0_5tupleIJPjSE_EEENSF_IJSE_SE_EEES9_SG_JZNS1_25segmented_radix_sort_implINS0_14default_configELb0EPKbPbPKlPlN2at6native12_GLOBAL__N_18offset_tEEE10hipError_tPvRmT1_PNSt15iterator_traitsISY_E10value_typeET2_T3_PNSZ_IS14_E10value_typeET4_jRbjT5_S1A_jjP12ihipStream_tbEUljE_EEESV_SW_SX_S14_S18_S1A_T6_T7_T9_mT8_S1C_bDpT10_ENKUlT_T0_E_clISt17integral_constantIbLb1EES1O_IbLb0EEEEDaS1K_S1L_EUlS1K_E_NS1_11comp_targetILNS1_3genE9ELNS1_11target_archE1100ELNS1_3gpuE3ELNS1_3repE0EEENS1_30default_config_static_selectorELNS0_4arch9wavefront6targetE0EEEvSY_.num_named_barrier, 0
	.set _ZN7rocprim17ROCPRIM_400000_NS6detail17trampoline_kernelINS0_13select_configILj256ELj13ELNS0_17block_load_methodE3ELS4_3ELS4_3ELNS0_20block_scan_algorithmE0ELj4294967295EEENS1_25partition_config_selectorILNS1_17partition_subalgoE3EjNS0_10empty_typeEbEEZZNS1_14partition_implILS8_3ELb0ES6_jNS0_17counting_iteratorIjlEEPS9_SE_NS0_5tupleIJPjSE_EEENSF_IJSE_SE_EEES9_SG_JZNS1_25segmented_radix_sort_implINS0_14default_configELb0EPKbPbPKlPlN2at6native12_GLOBAL__N_18offset_tEEE10hipError_tPvRmT1_PNSt15iterator_traitsISY_E10value_typeET2_T3_PNSZ_IS14_E10value_typeET4_jRbjT5_S1A_jjP12ihipStream_tbEUljE_EEESV_SW_SX_S14_S18_S1A_T6_T7_T9_mT8_S1C_bDpT10_ENKUlT_T0_E_clISt17integral_constantIbLb1EES1O_IbLb0EEEEDaS1K_S1L_EUlS1K_E_NS1_11comp_targetILNS1_3genE9ELNS1_11target_archE1100ELNS1_3gpuE3ELNS1_3repE0EEENS1_30default_config_static_selectorELNS0_4arch9wavefront6targetE0EEEvSY_.private_seg_size, 0
	.set _ZN7rocprim17ROCPRIM_400000_NS6detail17trampoline_kernelINS0_13select_configILj256ELj13ELNS0_17block_load_methodE3ELS4_3ELS4_3ELNS0_20block_scan_algorithmE0ELj4294967295EEENS1_25partition_config_selectorILNS1_17partition_subalgoE3EjNS0_10empty_typeEbEEZZNS1_14partition_implILS8_3ELb0ES6_jNS0_17counting_iteratorIjlEEPS9_SE_NS0_5tupleIJPjSE_EEENSF_IJSE_SE_EEES9_SG_JZNS1_25segmented_radix_sort_implINS0_14default_configELb0EPKbPbPKlPlN2at6native12_GLOBAL__N_18offset_tEEE10hipError_tPvRmT1_PNSt15iterator_traitsISY_E10value_typeET2_T3_PNSZ_IS14_E10value_typeET4_jRbjT5_S1A_jjP12ihipStream_tbEUljE_EEESV_SW_SX_S14_S18_S1A_T6_T7_T9_mT8_S1C_bDpT10_ENKUlT_T0_E_clISt17integral_constantIbLb1EES1O_IbLb0EEEEDaS1K_S1L_EUlS1K_E_NS1_11comp_targetILNS1_3genE9ELNS1_11target_archE1100ELNS1_3gpuE3ELNS1_3repE0EEENS1_30default_config_static_selectorELNS0_4arch9wavefront6targetE0EEEvSY_.uses_vcc, 0
	.set _ZN7rocprim17ROCPRIM_400000_NS6detail17trampoline_kernelINS0_13select_configILj256ELj13ELNS0_17block_load_methodE3ELS4_3ELS4_3ELNS0_20block_scan_algorithmE0ELj4294967295EEENS1_25partition_config_selectorILNS1_17partition_subalgoE3EjNS0_10empty_typeEbEEZZNS1_14partition_implILS8_3ELb0ES6_jNS0_17counting_iteratorIjlEEPS9_SE_NS0_5tupleIJPjSE_EEENSF_IJSE_SE_EEES9_SG_JZNS1_25segmented_radix_sort_implINS0_14default_configELb0EPKbPbPKlPlN2at6native12_GLOBAL__N_18offset_tEEE10hipError_tPvRmT1_PNSt15iterator_traitsISY_E10value_typeET2_T3_PNSZ_IS14_E10value_typeET4_jRbjT5_S1A_jjP12ihipStream_tbEUljE_EEESV_SW_SX_S14_S18_S1A_T6_T7_T9_mT8_S1C_bDpT10_ENKUlT_T0_E_clISt17integral_constantIbLb1EES1O_IbLb0EEEEDaS1K_S1L_EUlS1K_E_NS1_11comp_targetILNS1_3genE9ELNS1_11target_archE1100ELNS1_3gpuE3ELNS1_3repE0EEENS1_30default_config_static_selectorELNS0_4arch9wavefront6targetE0EEEvSY_.uses_flat_scratch, 0
	.set _ZN7rocprim17ROCPRIM_400000_NS6detail17trampoline_kernelINS0_13select_configILj256ELj13ELNS0_17block_load_methodE3ELS4_3ELS4_3ELNS0_20block_scan_algorithmE0ELj4294967295EEENS1_25partition_config_selectorILNS1_17partition_subalgoE3EjNS0_10empty_typeEbEEZZNS1_14partition_implILS8_3ELb0ES6_jNS0_17counting_iteratorIjlEEPS9_SE_NS0_5tupleIJPjSE_EEENSF_IJSE_SE_EEES9_SG_JZNS1_25segmented_radix_sort_implINS0_14default_configELb0EPKbPbPKlPlN2at6native12_GLOBAL__N_18offset_tEEE10hipError_tPvRmT1_PNSt15iterator_traitsISY_E10value_typeET2_T3_PNSZ_IS14_E10value_typeET4_jRbjT5_S1A_jjP12ihipStream_tbEUljE_EEESV_SW_SX_S14_S18_S1A_T6_T7_T9_mT8_S1C_bDpT10_ENKUlT_T0_E_clISt17integral_constantIbLb1EES1O_IbLb0EEEEDaS1K_S1L_EUlS1K_E_NS1_11comp_targetILNS1_3genE9ELNS1_11target_archE1100ELNS1_3gpuE3ELNS1_3repE0EEENS1_30default_config_static_selectorELNS0_4arch9wavefront6targetE0EEEvSY_.has_dyn_sized_stack, 0
	.set _ZN7rocprim17ROCPRIM_400000_NS6detail17trampoline_kernelINS0_13select_configILj256ELj13ELNS0_17block_load_methodE3ELS4_3ELS4_3ELNS0_20block_scan_algorithmE0ELj4294967295EEENS1_25partition_config_selectorILNS1_17partition_subalgoE3EjNS0_10empty_typeEbEEZZNS1_14partition_implILS8_3ELb0ES6_jNS0_17counting_iteratorIjlEEPS9_SE_NS0_5tupleIJPjSE_EEENSF_IJSE_SE_EEES9_SG_JZNS1_25segmented_radix_sort_implINS0_14default_configELb0EPKbPbPKlPlN2at6native12_GLOBAL__N_18offset_tEEE10hipError_tPvRmT1_PNSt15iterator_traitsISY_E10value_typeET2_T3_PNSZ_IS14_E10value_typeET4_jRbjT5_S1A_jjP12ihipStream_tbEUljE_EEESV_SW_SX_S14_S18_S1A_T6_T7_T9_mT8_S1C_bDpT10_ENKUlT_T0_E_clISt17integral_constantIbLb1EES1O_IbLb0EEEEDaS1K_S1L_EUlS1K_E_NS1_11comp_targetILNS1_3genE9ELNS1_11target_archE1100ELNS1_3gpuE3ELNS1_3repE0EEENS1_30default_config_static_selectorELNS0_4arch9wavefront6targetE0EEEvSY_.has_recursion, 0
	.set _ZN7rocprim17ROCPRIM_400000_NS6detail17trampoline_kernelINS0_13select_configILj256ELj13ELNS0_17block_load_methodE3ELS4_3ELS4_3ELNS0_20block_scan_algorithmE0ELj4294967295EEENS1_25partition_config_selectorILNS1_17partition_subalgoE3EjNS0_10empty_typeEbEEZZNS1_14partition_implILS8_3ELb0ES6_jNS0_17counting_iteratorIjlEEPS9_SE_NS0_5tupleIJPjSE_EEENSF_IJSE_SE_EEES9_SG_JZNS1_25segmented_radix_sort_implINS0_14default_configELb0EPKbPbPKlPlN2at6native12_GLOBAL__N_18offset_tEEE10hipError_tPvRmT1_PNSt15iterator_traitsISY_E10value_typeET2_T3_PNSZ_IS14_E10value_typeET4_jRbjT5_S1A_jjP12ihipStream_tbEUljE_EEESV_SW_SX_S14_S18_S1A_T6_T7_T9_mT8_S1C_bDpT10_ENKUlT_T0_E_clISt17integral_constantIbLb1EES1O_IbLb0EEEEDaS1K_S1L_EUlS1K_E_NS1_11comp_targetILNS1_3genE9ELNS1_11target_archE1100ELNS1_3gpuE3ELNS1_3repE0EEENS1_30default_config_static_selectorELNS0_4arch9wavefront6targetE0EEEvSY_.has_indirect_call, 0
	.section	.AMDGPU.csdata,"",@progbits
; Kernel info:
; codeLenInByte = 0
; TotalNumSgprs: 0
; NumVgprs: 0
; ScratchSize: 0
; MemoryBound: 0
; FloatMode: 240
; IeeeMode: 1
; LDSByteSize: 0 bytes/workgroup (compile time only)
; SGPRBlocks: 0
; VGPRBlocks: 0
; NumSGPRsForWavesPerEU: 1
; NumVGPRsForWavesPerEU: 1
; Occupancy: 16
; WaveLimiterHint : 0
; COMPUTE_PGM_RSRC2:SCRATCH_EN: 0
; COMPUTE_PGM_RSRC2:USER_SGPR: 2
; COMPUTE_PGM_RSRC2:TRAP_HANDLER: 0
; COMPUTE_PGM_RSRC2:TGID_X_EN: 1
; COMPUTE_PGM_RSRC2:TGID_Y_EN: 0
; COMPUTE_PGM_RSRC2:TGID_Z_EN: 0
; COMPUTE_PGM_RSRC2:TIDIG_COMP_CNT: 0
	.section	.text._ZN7rocprim17ROCPRIM_400000_NS6detail17trampoline_kernelINS0_13select_configILj256ELj13ELNS0_17block_load_methodE3ELS4_3ELS4_3ELNS0_20block_scan_algorithmE0ELj4294967295EEENS1_25partition_config_selectorILNS1_17partition_subalgoE3EjNS0_10empty_typeEbEEZZNS1_14partition_implILS8_3ELb0ES6_jNS0_17counting_iteratorIjlEEPS9_SE_NS0_5tupleIJPjSE_EEENSF_IJSE_SE_EEES9_SG_JZNS1_25segmented_radix_sort_implINS0_14default_configELb0EPKbPbPKlPlN2at6native12_GLOBAL__N_18offset_tEEE10hipError_tPvRmT1_PNSt15iterator_traitsISY_E10value_typeET2_T3_PNSZ_IS14_E10value_typeET4_jRbjT5_S1A_jjP12ihipStream_tbEUljE_EEESV_SW_SX_S14_S18_S1A_T6_T7_T9_mT8_S1C_bDpT10_ENKUlT_T0_E_clISt17integral_constantIbLb1EES1O_IbLb0EEEEDaS1K_S1L_EUlS1K_E_NS1_11comp_targetILNS1_3genE8ELNS1_11target_archE1030ELNS1_3gpuE2ELNS1_3repE0EEENS1_30default_config_static_selectorELNS0_4arch9wavefront6targetE0EEEvSY_,"axG",@progbits,_ZN7rocprim17ROCPRIM_400000_NS6detail17trampoline_kernelINS0_13select_configILj256ELj13ELNS0_17block_load_methodE3ELS4_3ELS4_3ELNS0_20block_scan_algorithmE0ELj4294967295EEENS1_25partition_config_selectorILNS1_17partition_subalgoE3EjNS0_10empty_typeEbEEZZNS1_14partition_implILS8_3ELb0ES6_jNS0_17counting_iteratorIjlEEPS9_SE_NS0_5tupleIJPjSE_EEENSF_IJSE_SE_EEES9_SG_JZNS1_25segmented_radix_sort_implINS0_14default_configELb0EPKbPbPKlPlN2at6native12_GLOBAL__N_18offset_tEEE10hipError_tPvRmT1_PNSt15iterator_traitsISY_E10value_typeET2_T3_PNSZ_IS14_E10value_typeET4_jRbjT5_S1A_jjP12ihipStream_tbEUljE_EEESV_SW_SX_S14_S18_S1A_T6_T7_T9_mT8_S1C_bDpT10_ENKUlT_T0_E_clISt17integral_constantIbLb1EES1O_IbLb0EEEEDaS1K_S1L_EUlS1K_E_NS1_11comp_targetILNS1_3genE8ELNS1_11target_archE1030ELNS1_3gpuE2ELNS1_3repE0EEENS1_30default_config_static_selectorELNS0_4arch9wavefront6targetE0EEEvSY_,comdat
	.globl	_ZN7rocprim17ROCPRIM_400000_NS6detail17trampoline_kernelINS0_13select_configILj256ELj13ELNS0_17block_load_methodE3ELS4_3ELS4_3ELNS0_20block_scan_algorithmE0ELj4294967295EEENS1_25partition_config_selectorILNS1_17partition_subalgoE3EjNS0_10empty_typeEbEEZZNS1_14partition_implILS8_3ELb0ES6_jNS0_17counting_iteratorIjlEEPS9_SE_NS0_5tupleIJPjSE_EEENSF_IJSE_SE_EEES9_SG_JZNS1_25segmented_radix_sort_implINS0_14default_configELb0EPKbPbPKlPlN2at6native12_GLOBAL__N_18offset_tEEE10hipError_tPvRmT1_PNSt15iterator_traitsISY_E10value_typeET2_T3_PNSZ_IS14_E10value_typeET4_jRbjT5_S1A_jjP12ihipStream_tbEUljE_EEESV_SW_SX_S14_S18_S1A_T6_T7_T9_mT8_S1C_bDpT10_ENKUlT_T0_E_clISt17integral_constantIbLb1EES1O_IbLb0EEEEDaS1K_S1L_EUlS1K_E_NS1_11comp_targetILNS1_3genE8ELNS1_11target_archE1030ELNS1_3gpuE2ELNS1_3repE0EEENS1_30default_config_static_selectorELNS0_4arch9wavefront6targetE0EEEvSY_ ; -- Begin function _ZN7rocprim17ROCPRIM_400000_NS6detail17trampoline_kernelINS0_13select_configILj256ELj13ELNS0_17block_load_methodE3ELS4_3ELS4_3ELNS0_20block_scan_algorithmE0ELj4294967295EEENS1_25partition_config_selectorILNS1_17partition_subalgoE3EjNS0_10empty_typeEbEEZZNS1_14partition_implILS8_3ELb0ES6_jNS0_17counting_iteratorIjlEEPS9_SE_NS0_5tupleIJPjSE_EEENSF_IJSE_SE_EEES9_SG_JZNS1_25segmented_radix_sort_implINS0_14default_configELb0EPKbPbPKlPlN2at6native12_GLOBAL__N_18offset_tEEE10hipError_tPvRmT1_PNSt15iterator_traitsISY_E10value_typeET2_T3_PNSZ_IS14_E10value_typeET4_jRbjT5_S1A_jjP12ihipStream_tbEUljE_EEESV_SW_SX_S14_S18_S1A_T6_T7_T9_mT8_S1C_bDpT10_ENKUlT_T0_E_clISt17integral_constantIbLb1EES1O_IbLb0EEEEDaS1K_S1L_EUlS1K_E_NS1_11comp_targetILNS1_3genE8ELNS1_11target_archE1030ELNS1_3gpuE2ELNS1_3repE0EEENS1_30default_config_static_selectorELNS0_4arch9wavefront6targetE0EEEvSY_
	.p2align	8
	.type	_ZN7rocprim17ROCPRIM_400000_NS6detail17trampoline_kernelINS0_13select_configILj256ELj13ELNS0_17block_load_methodE3ELS4_3ELS4_3ELNS0_20block_scan_algorithmE0ELj4294967295EEENS1_25partition_config_selectorILNS1_17partition_subalgoE3EjNS0_10empty_typeEbEEZZNS1_14partition_implILS8_3ELb0ES6_jNS0_17counting_iteratorIjlEEPS9_SE_NS0_5tupleIJPjSE_EEENSF_IJSE_SE_EEES9_SG_JZNS1_25segmented_radix_sort_implINS0_14default_configELb0EPKbPbPKlPlN2at6native12_GLOBAL__N_18offset_tEEE10hipError_tPvRmT1_PNSt15iterator_traitsISY_E10value_typeET2_T3_PNSZ_IS14_E10value_typeET4_jRbjT5_S1A_jjP12ihipStream_tbEUljE_EEESV_SW_SX_S14_S18_S1A_T6_T7_T9_mT8_S1C_bDpT10_ENKUlT_T0_E_clISt17integral_constantIbLb1EES1O_IbLb0EEEEDaS1K_S1L_EUlS1K_E_NS1_11comp_targetILNS1_3genE8ELNS1_11target_archE1030ELNS1_3gpuE2ELNS1_3repE0EEENS1_30default_config_static_selectorELNS0_4arch9wavefront6targetE0EEEvSY_,@function
_ZN7rocprim17ROCPRIM_400000_NS6detail17trampoline_kernelINS0_13select_configILj256ELj13ELNS0_17block_load_methodE3ELS4_3ELS4_3ELNS0_20block_scan_algorithmE0ELj4294967295EEENS1_25partition_config_selectorILNS1_17partition_subalgoE3EjNS0_10empty_typeEbEEZZNS1_14partition_implILS8_3ELb0ES6_jNS0_17counting_iteratorIjlEEPS9_SE_NS0_5tupleIJPjSE_EEENSF_IJSE_SE_EEES9_SG_JZNS1_25segmented_radix_sort_implINS0_14default_configELb0EPKbPbPKlPlN2at6native12_GLOBAL__N_18offset_tEEE10hipError_tPvRmT1_PNSt15iterator_traitsISY_E10value_typeET2_T3_PNSZ_IS14_E10value_typeET4_jRbjT5_S1A_jjP12ihipStream_tbEUljE_EEESV_SW_SX_S14_S18_S1A_T6_T7_T9_mT8_S1C_bDpT10_ENKUlT_T0_E_clISt17integral_constantIbLb1EES1O_IbLb0EEEEDaS1K_S1L_EUlS1K_E_NS1_11comp_targetILNS1_3genE8ELNS1_11target_archE1030ELNS1_3gpuE2ELNS1_3repE0EEENS1_30default_config_static_selectorELNS0_4arch9wavefront6targetE0EEEvSY_: ; @_ZN7rocprim17ROCPRIM_400000_NS6detail17trampoline_kernelINS0_13select_configILj256ELj13ELNS0_17block_load_methodE3ELS4_3ELS4_3ELNS0_20block_scan_algorithmE0ELj4294967295EEENS1_25partition_config_selectorILNS1_17partition_subalgoE3EjNS0_10empty_typeEbEEZZNS1_14partition_implILS8_3ELb0ES6_jNS0_17counting_iteratorIjlEEPS9_SE_NS0_5tupleIJPjSE_EEENSF_IJSE_SE_EEES9_SG_JZNS1_25segmented_radix_sort_implINS0_14default_configELb0EPKbPbPKlPlN2at6native12_GLOBAL__N_18offset_tEEE10hipError_tPvRmT1_PNSt15iterator_traitsISY_E10value_typeET2_T3_PNSZ_IS14_E10value_typeET4_jRbjT5_S1A_jjP12ihipStream_tbEUljE_EEESV_SW_SX_S14_S18_S1A_T6_T7_T9_mT8_S1C_bDpT10_ENKUlT_T0_E_clISt17integral_constantIbLb1EES1O_IbLb0EEEEDaS1K_S1L_EUlS1K_E_NS1_11comp_targetILNS1_3genE8ELNS1_11target_archE1030ELNS1_3gpuE2ELNS1_3repE0EEENS1_30default_config_static_selectorELNS0_4arch9wavefront6targetE0EEEvSY_
; %bb.0:
	.section	.rodata,"a",@progbits
	.p2align	6, 0x0
	.amdhsa_kernel _ZN7rocprim17ROCPRIM_400000_NS6detail17trampoline_kernelINS0_13select_configILj256ELj13ELNS0_17block_load_methodE3ELS4_3ELS4_3ELNS0_20block_scan_algorithmE0ELj4294967295EEENS1_25partition_config_selectorILNS1_17partition_subalgoE3EjNS0_10empty_typeEbEEZZNS1_14partition_implILS8_3ELb0ES6_jNS0_17counting_iteratorIjlEEPS9_SE_NS0_5tupleIJPjSE_EEENSF_IJSE_SE_EEES9_SG_JZNS1_25segmented_radix_sort_implINS0_14default_configELb0EPKbPbPKlPlN2at6native12_GLOBAL__N_18offset_tEEE10hipError_tPvRmT1_PNSt15iterator_traitsISY_E10value_typeET2_T3_PNSZ_IS14_E10value_typeET4_jRbjT5_S1A_jjP12ihipStream_tbEUljE_EEESV_SW_SX_S14_S18_S1A_T6_T7_T9_mT8_S1C_bDpT10_ENKUlT_T0_E_clISt17integral_constantIbLb1EES1O_IbLb0EEEEDaS1K_S1L_EUlS1K_E_NS1_11comp_targetILNS1_3genE8ELNS1_11target_archE1030ELNS1_3gpuE2ELNS1_3repE0EEENS1_30default_config_static_selectorELNS0_4arch9wavefront6targetE0EEEvSY_
		.amdhsa_group_segment_fixed_size 0
		.amdhsa_private_segment_fixed_size 0
		.amdhsa_kernarg_size 144
		.amdhsa_user_sgpr_count 2
		.amdhsa_user_sgpr_dispatch_ptr 0
		.amdhsa_user_sgpr_queue_ptr 0
		.amdhsa_user_sgpr_kernarg_segment_ptr 1
		.amdhsa_user_sgpr_dispatch_id 0
		.amdhsa_user_sgpr_private_segment_size 0
		.amdhsa_wavefront_size32 1
		.amdhsa_uses_dynamic_stack 0
		.amdhsa_enable_private_segment 0
		.amdhsa_system_sgpr_workgroup_id_x 1
		.amdhsa_system_sgpr_workgroup_id_y 0
		.amdhsa_system_sgpr_workgroup_id_z 0
		.amdhsa_system_sgpr_workgroup_info 0
		.amdhsa_system_vgpr_workitem_id 0
		.amdhsa_next_free_vgpr 1
		.amdhsa_next_free_sgpr 1
		.amdhsa_reserve_vcc 0
		.amdhsa_float_round_mode_32 0
		.amdhsa_float_round_mode_16_64 0
		.amdhsa_float_denorm_mode_32 3
		.amdhsa_float_denorm_mode_16_64 3
		.amdhsa_fp16_overflow 0
		.amdhsa_workgroup_processor_mode 1
		.amdhsa_memory_ordered 1
		.amdhsa_forward_progress 1
		.amdhsa_inst_pref_size 0
		.amdhsa_round_robin_scheduling 0
		.amdhsa_exception_fp_ieee_invalid_op 0
		.amdhsa_exception_fp_denorm_src 0
		.amdhsa_exception_fp_ieee_div_zero 0
		.amdhsa_exception_fp_ieee_overflow 0
		.amdhsa_exception_fp_ieee_underflow 0
		.amdhsa_exception_fp_ieee_inexact 0
		.amdhsa_exception_int_div_zero 0
	.end_amdhsa_kernel
	.section	.text._ZN7rocprim17ROCPRIM_400000_NS6detail17trampoline_kernelINS0_13select_configILj256ELj13ELNS0_17block_load_methodE3ELS4_3ELS4_3ELNS0_20block_scan_algorithmE0ELj4294967295EEENS1_25partition_config_selectorILNS1_17partition_subalgoE3EjNS0_10empty_typeEbEEZZNS1_14partition_implILS8_3ELb0ES6_jNS0_17counting_iteratorIjlEEPS9_SE_NS0_5tupleIJPjSE_EEENSF_IJSE_SE_EEES9_SG_JZNS1_25segmented_radix_sort_implINS0_14default_configELb0EPKbPbPKlPlN2at6native12_GLOBAL__N_18offset_tEEE10hipError_tPvRmT1_PNSt15iterator_traitsISY_E10value_typeET2_T3_PNSZ_IS14_E10value_typeET4_jRbjT5_S1A_jjP12ihipStream_tbEUljE_EEESV_SW_SX_S14_S18_S1A_T6_T7_T9_mT8_S1C_bDpT10_ENKUlT_T0_E_clISt17integral_constantIbLb1EES1O_IbLb0EEEEDaS1K_S1L_EUlS1K_E_NS1_11comp_targetILNS1_3genE8ELNS1_11target_archE1030ELNS1_3gpuE2ELNS1_3repE0EEENS1_30default_config_static_selectorELNS0_4arch9wavefront6targetE0EEEvSY_,"axG",@progbits,_ZN7rocprim17ROCPRIM_400000_NS6detail17trampoline_kernelINS0_13select_configILj256ELj13ELNS0_17block_load_methodE3ELS4_3ELS4_3ELNS0_20block_scan_algorithmE0ELj4294967295EEENS1_25partition_config_selectorILNS1_17partition_subalgoE3EjNS0_10empty_typeEbEEZZNS1_14partition_implILS8_3ELb0ES6_jNS0_17counting_iteratorIjlEEPS9_SE_NS0_5tupleIJPjSE_EEENSF_IJSE_SE_EEES9_SG_JZNS1_25segmented_radix_sort_implINS0_14default_configELb0EPKbPbPKlPlN2at6native12_GLOBAL__N_18offset_tEEE10hipError_tPvRmT1_PNSt15iterator_traitsISY_E10value_typeET2_T3_PNSZ_IS14_E10value_typeET4_jRbjT5_S1A_jjP12ihipStream_tbEUljE_EEESV_SW_SX_S14_S18_S1A_T6_T7_T9_mT8_S1C_bDpT10_ENKUlT_T0_E_clISt17integral_constantIbLb1EES1O_IbLb0EEEEDaS1K_S1L_EUlS1K_E_NS1_11comp_targetILNS1_3genE8ELNS1_11target_archE1030ELNS1_3gpuE2ELNS1_3repE0EEENS1_30default_config_static_selectorELNS0_4arch9wavefront6targetE0EEEvSY_,comdat
.Lfunc_end1626:
	.size	_ZN7rocprim17ROCPRIM_400000_NS6detail17trampoline_kernelINS0_13select_configILj256ELj13ELNS0_17block_load_methodE3ELS4_3ELS4_3ELNS0_20block_scan_algorithmE0ELj4294967295EEENS1_25partition_config_selectorILNS1_17partition_subalgoE3EjNS0_10empty_typeEbEEZZNS1_14partition_implILS8_3ELb0ES6_jNS0_17counting_iteratorIjlEEPS9_SE_NS0_5tupleIJPjSE_EEENSF_IJSE_SE_EEES9_SG_JZNS1_25segmented_radix_sort_implINS0_14default_configELb0EPKbPbPKlPlN2at6native12_GLOBAL__N_18offset_tEEE10hipError_tPvRmT1_PNSt15iterator_traitsISY_E10value_typeET2_T3_PNSZ_IS14_E10value_typeET4_jRbjT5_S1A_jjP12ihipStream_tbEUljE_EEESV_SW_SX_S14_S18_S1A_T6_T7_T9_mT8_S1C_bDpT10_ENKUlT_T0_E_clISt17integral_constantIbLb1EES1O_IbLb0EEEEDaS1K_S1L_EUlS1K_E_NS1_11comp_targetILNS1_3genE8ELNS1_11target_archE1030ELNS1_3gpuE2ELNS1_3repE0EEENS1_30default_config_static_selectorELNS0_4arch9wavefront6targetE0EEEvSY_, .Lfunc_end1626-_ZN7rocprim17ROCPRIM_400000_NS6detail17trampoline_kernelINS0_13select_configILj256ELj13ELNS0_17block_load_methodE3ELS4_3ELS4_3ELNS0_20block_scan_algorithmE0ELj4294967295EEENS1_25partition_config_selectorILNS1_17partition_subalgoE3EjNS0_10empty_typeEbEEZZNS1_14partition_implILS8_3ELb0ES6_jNS0_17counting_iteratorIjlEEPS9_SE_NS0_5tupleIJPjSE_EEENSF_IJSE_SE_EEES9_SG_JZNS1_25segmented_radix_sort_implINS0_14default_configELb0EPKbPbPKlPlN2at6native12_GLOBAL__N_18offset_tEEE10hipError_tPvRmT1_PNSt15iterator_traitsISY_E10value_typeET2_T3_PNSZ_IS14_E10value_typeET4_jRbjT5_S1A_jjP12ihipStream_tbEUljE_EEESV_SW_SX_S14_S18_S1A_T6_T7_T9_mT8_S1C_bDpT10_ENKUlT_T0_E_clISt17integral_constantIbLb1EES1O_IbLb0EEEEDaS1K_S1L_EUlS1K_E_NS1_11comp_targetILNS1_3genE8ELNS1_11target_archE1030ELNS1_3gpuE2ELNS1_3repE0EEENS1_30default_config_static_selectorELNS0_4arch9wavefront6targetE0EEEvSY_
                                        ; -- End function
	.set _ZN7rocprim17ROCPRIM_400000_NS6detail17trampoline_kernelINS0_13select_configILj256ELj13ELNS0_17block_load_methodE3ELS4_3ELS4_3ELNS0_20block_scan_algorithmE0ELj4294967295EEENS1_25partition_config_selectorILNS1_17partition_subalgoE3EjNS0_10empty_typeEbEEZZNS1_14partition_implILS8_3ELb0ES6_jNS0_17counting_iteratorIjlEEPS9_SE_NS0_5tupleIJPjSE_EEENSF_IJSE_SE_EEES9_SG_JZNS1_25segmented_radix_sort_implINS0_14default_configELb0EPKbPbPKlPlN2at6native12_GLOBAL__N_18offset_tEEE10hipError_tPvRmT1_PNSt15iterator_traitsISY_E10value_typeET2_T3_PNSZ_IS14_E10value_typeET4_jRbjT5_S1A_jjP12ihipStream_tbEUljE_EEESV_SW_SX_S14_S18_S1A_T6_T7_T9_mT8_S1C_bDpT10_ENKUlT_T0_E_clISt17integral_constantIbLb1EES1O_IbLb0EEEEDaS1K_S1L_EUlS1K_E_NS1_11comp_targetILNS1_3genE8ELNS1_11target_archE1030ELNS1_3gpuE2ELNS1_3repE0EEENS1_30default_config_static_selectorELNS0_4arch9wavefront6targetE0EEEvSY_.num_vgpr, 0
	.set _ZN7rocprim17ROCPRIM_400000_NS6detail17trampoline_kernelINS0_13select_configILj256ELj13ELNS0_17block_load_methodE3ELS4_3ELS4_3ELNS0_20block_scan_algorithmE0ELj4294967295EEENS1_25partition_config_selectorILNS1_17partition_subalgoE3EjNS0_10empty_typeEbEEZZNS1_14partition_implILS8_3ELb0ES6_jNS0_17counting_iteratorIjlEEPS9_SE_NS0_5tupleIJPjSE_EEENSF_IJSE_SE_EEES9_SG_JZNS1_25segmented_radix_sort_implINS0_14default_configELb0EPKbPbPKlPlN2at6native12_GLOBAL__N_18offset_tEEE10hipError_tPvRmT1_PNSt15iterator_traitsISY_E10value_typeET2_T3_PNSZ_IS14_E10value_typeET4_jRbjT5_S1A_jjP12ihipStream_tbEUljE_EEESV_SW_SX_S14_S18_S1A_T6_T7_T9_mT8_S1C_bDpT10_ENKUlT_T0_E_clISt17integral_constantIbLb1EES1O_IbLb0EEEEDaS1K_S1L_EUlS1K_E_NS1_11comp_targetILNS1_3genE8ELNS1_11target_archE1030ELNS1_3gpuE2ELNS1_3repE0EEENS1_30default_config_static_selectorELNS0_4arch9wavefront6targetE0EEEvSY_.num_agpr, 0
	.set _ZN7rocprim17ROCPRIM_400000_NS6detail17trampoline_kernelINS0_13select_configILj256ELj13ELNS0_17block_load_methodE3ELS4_3ELS4_3ELNS0_20block_scan_algorithmE0ELj4294967295EEENS1_25partition_config_selectorILNS1_17partition_subalgoE3EjNS0_10empty_typeEbEEZZNS1_14partition_implILS8_3ELb0ES6_jNS0_17counting_iteratorIjlEEPS9_SE_NS0_5tupleIJPjSE_EEENSF_IJSE_SE_EEES9_SG_JZNS1_25segmented_radix_sort_implINS0_14default_configELb0EPKbPbPKlPlN2at6native12_GLOBAL__N_18offset_tEEE10hipError_tPvRmT1_PNSt15iterator_traitsISY_E10value_typeET2_T3_PNSZ_IS14_E10value_typeET4_jRbjT5_S1A_jjP12ihipStream_tbEUljE_EEESV_SW_SX_S14_S18_S1A_T6_T7_T9_mT8_S1C_bDpT10_ENKUlT_T0_E_clISt17integral_constantIbLb1EES1O_IbLb0EEEEDaS1K_S1L_EUlS1K_E_NS1_11comp_targetILNS1_3genE8ELNS1_11target_archE1030ELNS1_3gpuE2ELNS1_3repE0EEENS1_30default_config_static_selectorELNS0_4arch9wavefront6targetE0EEEvSY_.numbered_sgpr, 0
	.set _ZN7rocprim17ROCPRIM_400000_NS6detail17trampoline_kernelINS0_13select_configILj256ELj13ELNS0_17block_load_methodE3ELS4_3ELS4_3ELNS0_20block_scan_algorithmE0ELj4294967295EEENS1_25partition_config_selectorILNS1_17partition_subalgoE3EjNS0_10empty_typeEbEEZZNS1_14partition_implILS8_3ELb0ES6_jNS0_17counting_iteratorIjlEEPS9_SE_NS0_5tupleIJPjSE_EEENSF_IJSE_SE_EEES9_SG_JZNS1_25segmented_radix_sort_implINS0_14default_configELb0EPKbPbPKlPlN2at6native12_GLOBAL__N_18offset_tEEE10hipError_tPvRmT1_PNSt15iterator_traitsISY_E10value_typeET2_T3_PNSZ_IS14_E10value_typeET4_jRbjT5_S1A_jjP12ihipStream_tbEUljE_EEESV_SW_SX_S14_S18_S1A_T6_T7_T9_mT8_S1C_bDpT10_ENKUlT_T0_E_clISt17integral_constantIbLb1EES1O_IbLb0EEEEDaS1K_S1L_EUlS1K_E_NS1_11comp_targetILNS1_3genE8ELNS1_11target_archE1030ELNS1_3gpuE2ELNS1_3repE0EEENS1_30default_config_static_selectorELNS0_4arch9wavefront6targetE0EEEvSY_.num_named_barrier, 0
	.set _ZN7rocprim17ROCPRIM_400000_NS6detail17trampoline_kernelINS0_13select_configILj256ELj13ELNS0_17block_load_methodE3ELS4_3ELS4_3ELNS0_20block_scan_algorithmE0ELj4294967295EEENS1_25partition_config_selectorILNS1_17partition_subalgoE3EjNS0_10empty_typeEbEEZZNS1_14partition_implILS8_3ELb0ES6_jNS0_17counting_iteratorIjlEEPS9_SE_NS0_5tupleIJPjSE_EEENSF_IJSE_SE_EEES9_SG_JZNS1_25segmented_radix_sort_implINS0_14default_configELb0EPKbPbPKlPlN2at6native12_GLOBAL__N_18offset_tEEE10hipError_tPvRmT1_PNSt15iterator_traitsISY_E10value_typeET2_T3_PNSZ_IS14_E10value_typeET4_jRbjT5_S1A_jjP12ihipStream_tbEUljE_EEESV_SW_SX_S14_S18_S1A_T6_T7_T9_mT8_S1C_bDpT10_ENKUlT_T0_E_clISt17integral_constantIbLb1EES1O_IbLb0EEEEDaS1K_S1L_EUlS1K_E_NS1_11comp_targetILNS1_3genE8ELNS1_11target_archE1030ELNS1_3gpuE2ELNS1_3repE0EEENS1_30default_config_static_selectorELNS0_4arch9wavefront6targetE0EEEvSY_.private_seg_size, 0
	.set _ZN7rocprim17ROCPRIM_400000_NS6detail17trampoline_kernelINS0_13select_configILj256ELj13ELNS0_17block_load_methodE3ELS4_3ELS4_3ELNS0_20block_scan_algorithmE0ELj4294967295EEENS1_25partition_config_selectorILNS1_17partition_subalgoE3EjNS0_10empty_typeEbEEZZNS1_14partition_implILS8_3ELb0ES6_jNS0_17counting_iteratorIjlEEPS9_SE_NS0_5tupleIJPjSE_EEENSF_IJSE_SE_EEES9_SG_JZNS1_25segmented_radix_sort_implINS0_14default_configELb0EPKbPbPKlPlN2at6native12_GLOBAL__N_18offset_tEEE10hipError_tPvRmT1_PNSt15iterator_traitsISY_E10value_typeET2_T3_PNSZ_IS14_E10value_typeET4_jRbjT5_S1A_jjP12ihipStream_tbEUljE_EEESV_SW_SX_S14_S18_S1A_T6_T7_T9_mT8_S1C_bDpT10_ENKUlT_T0_E_clISt17integral_constantIbLb1EES1O_IbLb0EEEEDaS1K_S1L_EUlS1K_E_NS1_11comp_targetILNS1_3genE8ELNS1_11target_archE1030ELNS1_3gpuE2ELNS1_3repE0EEENS1_30default_config_static_selectorELNS0_4arch9wavefront6targetE0EEEvSY_.uses_vcc, 0
	.set _ZN7rocprim17ROCPRIM_400000_NS6detail17trampoline_kernelINS0_13select_configILj256ELj13ELNS0_17block_load_methodE3ELS4_3ELS4_3ELNS0_20block_scan_algorithmE0ELj4294967295EEENS1_25partition_config_selectorILNS1_17partition_subalgoE3EjNS0_10empty_typeEbEEZZNS1_14partition_implILS8_3ELb0ES6_jNS0_17counting_iteratorIjlEEPS9_SE_NS0_5tupleIJPjSE_EEENSF_IJSE_SE_EEES9_SG_JZNS1_25segmented_radix_sort_implINS0_14default_configELb0EPKbPbPKlPlN2at6native12_GLOBAL__N_18offset_tEEE10hipError_tPvRmT1_PNSt15iterator_traitsISY_E10value_typeET2_T3_PNSZ_IS14_E10value_typeET4_jRbjT5_S1A_jjP12ihipStream_tbEUljE_EEESV_SW_SX_S14_S18_S1A_T6_T7_T9_mT8_S1C_bDpT10_ENKUlT_T0_E_clISt17integral_constantIbLb1EES1O_IbLb0EEEEDaS1K_S1L_EUlS1K_E_NS1_11comp_targetILNS1_3genE8ELNS1_11target_archE1030ELNS1_3gpuE2ELNS1_3repE0EEENS1_30default_config_static_selectorELNS0_4arch9wavefront6targetE0EEEvSY_.uses_flat_scratch, 0
	.set _ZN7rocprim17ROCPRIM_400000_NS6detail17trampoline_kernelINS0_13select_configILj256ELj13ELNS0_17block_load_methodE3ELS4_3ELS4_3ELNS0_20block_scan_algorithmE0ELj4294967295EEENS1_25partition_config_selectorILNS1_17partition_subalgoE3EjNS0_10empty_typeEbEEZZNS1_14partition_implILS8_3ELb0ES6_jNS0_17counting_iteratorIjlEEPS9_SE_NS0_5tupleIJPjSE_EEENSF_IJSE_SE_EEES9_SG_JZNS1_25segmented_radix_sort_implINS0_14default_configELb0EPKbPbPKlPlN2at6native12_GLOBAL__N_18offset_tEEE10hipError_tPvRmT1_PNSt15iterator_traitsISY_E10value_typeET2_T3_PNSZ_IS14_E10value_typeET4_jRbjT5_S1A_jjP12ihipStream_tbEUljE_EEESV_SW_SX_S14_S18_S1A_T6_T7_T9_mT8_S1C_bDpT10_ENKUlT_T0_E_clISt17integral_constantIbLb1EES1O_IbLb0EEEEDaS1K_S1L_EUlS1K_E_NS1_11comp_targetILNS1_3genE8ELNS1_11target_archE1030ELNS1_3gpuE2ELNS1_3repE0EEENS1_30default_config_static_selectorELNS0_4arch9wavefront6targetE0EEEvSY_.has_dyn_sized_stack, 0
	.set _ZN7rocprim17ROCPRIM_400000_NS6detail17trampoline_kernelINS0_13select_configILj256ELj13ELNS0_17block_load_methodE3ELS4_3ELS4_3ELNS0_20block_scan_algorithmE0ELj4294967295EEENS1_25partition_config_selectorILNS1_17partition_subalgoE3EjNS0_10empty_typeEbEEZZNS1_14partition_implILS8_3ELb0ES6_jNS0_17counting_iteratorIjlEEPS9_SE_NS0_5tupleIJPjSE_EEENSF_IJSE_SE_EEES9_SG_JZNS1_25segmented_radix_sort_implINS0_14default_configELb0EPKbPbPKlPlN2at6native12_GLOBAL__N_18offset_tEEE10hipError_tPvRmT1_PNSt15iterator_traitsISY_E10value_typeET2_T3_PNSZ_IS14_E10value_typeET4_jRbjT5_S1A_jjP12ihipStream_tbEUljE_EEESV_SW_SX_S14_S18_S1A_T6_T7_T9_mT8_S1C_bDpT10_ENKUlT_T0_E_clISt17integral_constantIbLb1EES1O_IbLb0EEEEDaS1K_S1L_EUlS1K_E_NS1_11comp_targetILNS1_3genE8ELNS1_11target_archE1030ELNS1_3gpuE2ELNS1_3repE0EEENS1_30default_config_static_selectorELNS0_4arch9wavefront6targetE0EEEvSY_.has_recursion, 0
	.set _ZN7rocprim17ROCPRIM_400000_NS6detail17trampoline_kernelINS0_13select_configILj256ELj13ELNS0_17block_load_methodE3ELS4_3ELS4_3ELNS0_20block_scan_algorithmE0ELj4294967295EEENS1_25partition_config_selectorILNS1_17partition_subalgoE3EjNS0_10empty_typeEbEEZZNS1_14partition_implILS8_3ELb0ES6_jNS0_17counting_iteratorIjlEEPS9_SE_NS0_5tupleIJPjSE_EEENSF_IJSE_SE_EEES9_SG_JZNS1_25segmented_radix_sort_implINS0_14default_configELb0EPKbPbPKlPlN2at6native12_GLOBAL__N_18offset_tEEE10hipError_tPvRmT1_PNSt15iterator_traitsISY_E10value_typeET2_T3_PNSZ_IS14_E10value_typeET4_jRbjT5_S1A_jjP12ihipStream_tbEUljE_EEESV_SW_SX_S14_S18_S1A_T6_T7_T9_mT8_S1C_bDpT10_ENKUlT_T0_E_clISt17integral_constantIbLb1EES1O_IbLb0EEEEDaS1K_S1L_EUlS1K_E_NS1_11comp_targetILNS1_3genE8ELNS1_11target_archE1030ELNS1_3gpuE2ELNS1_3repE0EEENS1_30default_config_static_selectorELNS0_4arch9wavefront6targetE0EEEvSY_.has_indirect_call, 0
	.section	.AMDGPU.csdata,"",@progbits
; Kernel info:
; codeLenInByte = 0
; TotalNumSgprs: 0
; NumVgprs: 0
; ScratchSize: 0
; MemoryBound: 0
; FloatMode: 240
; IeeeMode: 1
; LDSByteSize: 0 bytes/workgroup (compile time only)
; SGPRBlocks: 0
; VGPRBlocks: 0
; NumSGPRsForWavesPerEU: 1
; NumVGPRsForWavesPerEU: 1
; Occupancy: 16
; WaveLimiterHint : 0
; COMPUTE_PGM_RSRC2:SCRATCH_EN: 0
; COMPUTE_PGM_RSRC2:USER_SGPR: 2
; COMPUTE_PGM_RSRC2:TRAP_HANDLER: 0
; COMPUTE_PGM_RSRC2:TGID_X_EN: 1
; COMPUTE_PGM_RSRC2:TGID_Y_EN: 0
; COMPUTE_PGM_RSRC2:TGID_Z_EN: 0
; COMPUTE_PGM_RSRC2:TIDIG_COMP_CNT: 0
	.section	.text._ZN7rocprim17ROCPRIM_400000_NS6detail17trampoline_kernelINS0_13select_configILj256ELj13ELNS0_17block_load_methodE3ELS4_3ELS4_3ELNS0_20block_scan_algorithmE0ELj4294967295EEENS1_25partition_config_selectorILNS1_17partition_subalgoE3EjNS0_10empty_typeEbEEZZNS1_14partition_implILS8_3ELb0ES6_jNS0_17counting_iteratorIjlEEPS9_SE_NS0_5tupleIJPjSE_EEENSF_IJSE_SE_EEES9_SG_JZNS1_25segmented_radix_sort_implINS0_14default_configELb0EPKbPbPKlPlN2at6native12_GLOBAL__N_18offset_tEEE10hipError_tPvRmT1_PNSt15iterator_traitsISY_E10value_typeET2_T3_PNSZ_IS14_E10value_typeET4_jRbjT5_S1A_jjP12ihipStream_tbEUljE_EEESV_SW_SX_S14_S18_S1A_T6_T7_T9_mT8_S1C_bDpT10_ENKUlT_T0_E_clISt17integral_constantIbLb0EES1O_IbLb1EEEEDaS1K_S1L_EUlS1K_E_NS1_11comp_targetILNS1_3genE0ELNS1_11target_archE4294967295ELNS1_3gpuE0ELNS1_3repE0EEENS1_30default_config_static_selectorELNS0_4arch9wavefront6targetE0EEEvSY_,"axG",@progbits,_ZN7rocprim17ROCPRIM_400000_NS6detail17trampoline_kernelINS0_13select_configILj256ELj13ELNS0_17block_load_methodE3ELS4_3ELS4_3ELNS0_20block_scan_algorithmE0ELj4294967295EEENS1_25partition_config_selectorILNS1_17partition_subalgoE3EjNS0_10empty_typeEbEEZZNS1_14partition_implILS8_3ELb0ES6_jNS0_17counting_iteratorIjlEEPS9_SE_NS0_5tupleIJPjSE_EEENSF_IJSE_SE_EEES9_SG_JZNS1_25segmented_radix_sort_implINS0_14default_configELb0EPKbPbPKlPlN2at6native12_GLOBAL__N_18offset_tEEE10hipError_tPvRmT1_PNSt15iterator_traitsISY_E10value_typeET2_T3_PNSZ_IS14_E10value_typeET4_jRbjT5_S1A_jjP12ihipStream_tbEUljE_EEESV_SW_SX_S14_S18_S1A_T6_T7_T9_mT8_S1C_bDpT10_ENKUlT_T0_E_clISt17integral_constantIbLb0EES1O_IbLb1EEEEDaS1K_S1L_EUlS1K_E_NS1_11comp_targetILNS1_3genE0ELNS1_11target_archE4294967295ELNS1_3gpuE0ELNS1_3repE0EEENS1_30default_config_static_selectorELNS0_4arch9wavefront6targetE0EEEvSY_,comdat
	.globl	_ZN7rocprim17ROCPRIM_400000_NS6detail17trampoline_kernelINS0_13select_configILj256ELj13ELNS0_17block_load_methodE3ELS4_3ELS4_3ELNS0_20block_scan_algorithmE0ELj4294967295EEENS1_25partition_config_selectorILNS1_17partition_subalgoE3EjNS0_10empty_typeEbEEZZNS1_14partition_implILS8_3ELb0ES6_jNS0_17counting_iteratorIjlEEPS9_SE_NS0_5tupleIJPjSE_EEENSF_IJSE_SE_EEES9_SG_JZNS1_25segmented_radix_sort_implINS0_14default_configELb0EPKbPbPKlPlN2at6native12_GLOBAL__N_18offset_tEEE10hipError_tPvRmT1_PNSt15iterator_traitsISY_E10value_typeET2_T3_PNSZ_IS14_E10value_typeET4_jRbjT5_S1A_jjP12ihipStream_tbEUljE_EEESV_SW_SX_S14_S18_S1A_T6_T7_T9_mT8_S1C_bDpT10_ENKUlT_T0_E_clISt17integral_constantIbLb0EES1O_IbLb1EEEEDaS1K_S1L_EUlS1K_E_NS1_11comp_targetILNS1_3genE0ELNS1_11target_archE4294967295ELNS1_3gpuE0ELNS1_3repE0EEENS1_30default_config_static_selectorELNS0_4arch9wavefront6targetE0EEEvSY_ ; -- Begin function _ZN7rocprim17ROCPRIM_400000_NS6detail17trampoline_kernelINS0_13select_configILj256ELj13ELNS0_17block_load_methodE3ELS4_3ELS4_3ELNS0_20block_scan_algorithmE0ELj4294967295EEENS1_25partition_config_selectorILNS1_17partition_subalgoE3EjNS0_10empty_typeEbEEZZNS1_14partition_implILS8_3ELb0ES6_jNS0_17counting_iteratorIjlEEPS9_SE_NS0_5tupleIJPjSE_EEENSF_IJSE_SE_EEES9_SG_JZNS1_25segmented_radix_sort_implINS0_14default_configELb0EPKbPbPKlPlN2at6native12_GLOBAL__N_18offset_tEEE10hipError_tPvRmT1_PNSt15iterator_traitsISY_E10value_typeET2_T3_PNSZ_IS14_E10value_typeET4_jRbjT5_S1A_jjP12ihipStream_tbEUljE_EEESV_SW_SX_S14_S18_S1A_T6_T7_T9_mT8_S1C_bDpT10_ENKUlT_T0_E_clISt17integral_constantIbLb0EES1O_IbLb1EEEEDaS1K_S1L_EUlS1K_E_NS1_11comp_targetILNS1_3genE0ELNS1_11target_archE4294967295ELNS1_3gpuE0ELNS1_3repE0EEENS1_30default_config_static_selectorELNS0_4arch9wavefront6targetE0EEEvSY_
	.p2align	8
	.type	_ZN7rocprim17ROCPRIM_400000_NS6detail17trampoline_kernelINS0_13select_configILj256ELj13ELNS0_17block_load_methodE3ELS4_3ELS4_3ELNS0_20block_scan_algorithmE0ELj4294967295EEENS1_25partition_config_selectorILNS1_17partition_subalgoE3EjNS0_10empty_typeEbEEZZNS1_14partition_implILS8_3ELb0ES6_jNS0_17counting_iteratorIjlEEPS9_SE_NS0_5tupleIJPjSE_EEENSF_IJSE_SE_EEES9_SG_JZNS1_25segmented_radix_sort_implINS0_14default_configELb0EPKbPbPKlPlN2at6native12_GLOBAL__N_18offset_tEEE10hipError_tPvRmT1_PNSt15iterator_traitsISY_E10value_typeET2_T3_PNSZ_IS14_E10value_typeET4_jRbjT5_S1A_jjP12ihipStream_tbEUljE_EEESV_SW_SX_S14_S18_S1A_T6_T7_T9_mT8_S1C_bDpT10_ENKUlT_T0_E_clISt17integral_constantIbLb0EES1O_IbLb1EEEEDaS1K_S1L_EUlS1K_E_NS1_11comp_targetILNS1_3genE0ELNS1_11target_archE4294967295ELNS1_3gpuE0ELNS1_3repE0EEENS1_30default_config_static_selectorELNS0_4arch9wavefront6targetE0EEEvSY_,@function
_ZN7rocprim17ROCPRIM_400000_NS6detail17trampoline_kernelINS0_13select_configILj256ELj13ELNS0_17block_load_methodE3ELS4_3ELS4_3ELNS0_20block_scan_algorithmE0ELj4294967295EEENS1_25partition_config_selectorILNS1_17partition_subalgoE3EjNS0_10empty_typeEbEEZZNS1_14partition_implILS8_3ELb0ES6_jNS0_17counting_iteratorIjlEEPS9_SE_NS0_5tupleIJPjSE_EEENSF_IJSE_SE_EEES9_SG_JZNS1_25segmented_radix_sort_implINS0_14default_configELb0EPKbPbPKlPlN2at6native12_GLOBAL__N_18offset_tEEE10hipError_tPvRmT1_PNSt15iterator_traitsISY_E10value_typeET2_T3_PNSZ_IS14_E10value_typeET4_jRbjT5_S1A_jjP12ihipStream_tbEUljE_EEESV_SW_SX_S14_S18_S1A_T6_T7_T9_mT8_S1C_bDpT10_ENKUlT_T0_E_clISt17integral_constantIbLb0EES1O_IbLb1EEEEDaS1K_S1L_EUlS1K_E_NS1_11comp_targetILNS1_3genE0ELNS1_11target_archE4294967295ELNS1_3gpuE0ELNS1_3repE0EEENS1_30default_config_static_selectorELNS0_4arch9wavefront6targetE0EEEvSY_: ; @_ZN7rocprim17ROCPRIM_400000_NS6detail17trampoline_kernelINS0_13select_configILj256ELj13ELNS0_17block_load_methodE3ELS4_3ELS4_3ELNS0_20block_scan_algorithmE0ELj4294967295EEENS1_25partition_config_selectorILNS1_17partition_subalgoE3EjNS0_10empty_typeEbEEZZNS1_14partition_implILS8_3ELb0ES6_jNS0_17counting_iteratorIjlEEPS9_SE_NS0_5tupleIJPjSE_EEENSF_IJSE_SE_EEES9_SG_JZNS1_25segmented_radix_sort_implINS0_14default_configELb0EPKbPbPKlPlN2at6native12_GLOBAL__N_18offset_tEEE10hipError_tPvRmT1_PNSt15iterator_traitsISY_E10value_typeET2_T3_PNSZ_IS14_E10value_typeET4_jRbjT5_S1A_jjP12ihipStream_tbEUljE_EEESV_SW_SX_S14_S18_S1A_T6_T7_T9_mT8_S1C_bDpT10_ENKUlT_T0_E_clISt17integral_constantIbLb0EES1O_IbLb1EEEEDaS1K_S1L_EUlS1K_E_NS1_11comp_targetILNS1_3genE0ELNS1_11target_archE4294967295ELNS1_3gpuE0ELNS1_3repE0EEENS1_30default_config_static_selectorELNS0_4arch9wavefront6targetE0EEEvSY_
; %bb.0:
	.section	.rodata,"a",@progbits
	.p2align	6, 0x0
	.amdhsa_kernel _ZN7rocprim17ROCPRIM_400000_NS6detail17trampoline_kernelINS0_13select_configILj256ELj13ELNS0_17block_load_methodE3ELS4_3ELS4_3ELNS0_20block_scan_algorithmE0ELj4294967295EEENS1_25partition_config_selectorILNS1_17partition_subalgoE3EjNS0_10empty_typeEbEEZZNS1_14partition_implILS8_3ELb0ES6_jNS0_17counting_iteratorIjlEEPS9_SE_NS0_5tupleIJPjSE_EEENSF_IJSE_SE_EEES9_SG_JZNS1_25segmented_radix_sort_implINS0_14default_configELb0EPKbPbPKlPlN2at6native12_GLOBAL__N_18offset_tEEE10hipError_tPvRmT1_PNSt15iterator_traitsISY_E10value_typeET2_T3_PNSZ_IS14_E10value_typeET4_jRbjT5_S1A_jjP12ihipStream_tbEUljE_EEESV_SW_SX_S14_S18_S1A_T6_T7_T9_mT8_S1C_bDpT10_ENKUlT_T0_E_clISt17integral_constantIbLb0EES1O_IbLb1EEEEDaS1K_S1L_EUlS1K_E_NS1_11comp_targetILNS1_3genE0ELNS1_11target_archE4294967295ELNS1_3gpuE0ELNS1_3repE0EEENS1_30default_config_static_selectorELNS0_4arch9wavefront6targetE0EEEvSY_
		.amdhsa_group_segment_fixed_size 0
		.amdhsa_private_segment_fixed_size 0
		.amdhsa_kernarg_size 152
		.amdhsa_user_sgpr_count 2
		.amdhsa_user_sgpr_dispatch_ptr 0
		.amdhsa_user_sgpr_queue_ptr 0
		.amdhsa_user_sgpr_kernarg_segment_ptr 1
		.amdhsa_user_sgpr_dispatch_id 0
		.amdhsa_user_sgpr_private_segment_size 0
		.amdhsa_wavefront_size32 1
		.amdhsa_uses_dynamic_stack 0
		.amdhsa_enable_private_segment 0
		.amdhsa_system_sgpr_workgroup_id_x 1
		.amdhsa_system_sgpr_workgroup_id_y 0
		.amdhsa_system_sgpr_workgroup_id_z 0
		.amdhsa_system_sgpr_workgroup_info 0
		.amdhsa_system_vgpr_workitem_id 0
		.amdhsa_next_free_vgpr 1
		.amdhsa_next_free_sgpr 1
		.amdhsa_reserve_vcc 0
		.amdhsa_float_round_mode_32 0
		.amdhsa_float_round_mode_16_64 0
		.amdhsa_float_denorm_mode_32 3
		.amdhsa_float_denorm_mode_16_64 3
		.amdhsa_fp16_overflow 0
		.amdhsa_workgroup_processor_mode 1
		.amdhsa_memory_ordered 1
		.amdhsa_forward_progress 1
		.amdhsa_inst_pref_size 0
		.amdhsa_round_robin_scheduling 0
		.amdhsa_exception_fp_ieee_invalid_op 0
		.amdhsa_exception_fp_denorm_src 0
		.amdhsa_exception_fp_ieee_div_zero 0
		.amdhsa_exception_fp_ieee_overflow 0
		.amdhsa_exception_fp_ieee_underflow 0
		.amdhsa_exception_fp_ieee_inexact 0
		.amdhsa_exception_int_div_zero 0
	.end_amdhsa_kernel
	.section	.text._ZN7rocprim17ROCPRIM_400000_NS6detail17trampoline_kernelINS0_13select_configILj256ELj13ELNS0_17block_load_methodE3ELS4_3ELS4_3ELNS0_20block_scan_algorithmE0ELj4294967295EEENS1_25partition_config_selectorILNS1_17partition_subalgoE3EjNS0_10empty_typeEbEEZZNS1_14partition_implILS8_3ELb0ES6_jNS0_17counting_iteratorIjlEEPS9_SE_NS0_5tupleIJPjSE_EEENSF_IJSE_SE_EEES9_SG_JZNS1_25segmented_radix_sort_implINS0_14default_configELb0EPKbPbPKlPlN2at6native12_GLOBAL__N_18offset_tEEE10hipError_tPvRmT1_PNSt15iterator_traitsISY_E10value_typeET2_T3_PNSZ_IS14_E10value_typeET4_jRbjT5_S1A_jjP12ihipStream_tbEUljE_EEESV_SW_SX_S14_S18_S1A_T6_T7_T9_mT8_S1C_bDpT10_ENKUlT_T0_E_clISt17integral_constantIbLb0EES1O_IbLb1EEEEDaS1K_S1L_EUlS1K_E_NS1_11comp_targetILNS1_3genE0ELNS1_11target_archE4294967295ELNS1_3gpuE0ELNS1_3repE0EEENS1_30default_config_static_selectorELNS0_4arch9wavefront6targetE0EEEvSY_,"axG",@progbits,_ZN7rocprim17ROCPRIM_400000_NS6detail17trampoline_kernelINS0_13select_configILj256ELj13ELNS0_17block_load_methodE3ELS4_3ELS4_3ELNS0_20block_scan_algorithmE0ELj4294967295EEENS1_25partition_config_selectorILNS1_17partition_subalgoE3EjNS0_10empty_typeEbEEZZNS1_14partition_implILS8_3ELb0ES6_jNS0_17counting_iteratorIjlEEPS9_SE_NS0_5tupleIJPjSE_EEENSF_IJSE_SE_EEES9_SG_JZNS1_25segmented_radix_sort_implINS0_14default_configELb0EPKbPbPKlPlN2at6native12_GLOBAL__N_18offset_tEEE10hipError_tPvRmT1_PNSt15iterator_traitsISY_E10value_typeET2_T3_PNSZ_IS14_E10value_typeET4_jRbjT5_S1A_jjP12ihipStream_tbEUljE_EEESV_SW_SX_S14_S18_S1A_T6_T7_T9_mT8_S1C_bDpT10_ENKUlT_T0_E_clISt17integral_constantIbLb0EES1O_IbLb1EEEEDaS1K_S1L_EUlS1K_E_NS1_11comp_targetILNS1_3genE0ELNS1_11target_archE4294967295ELNS1_3gpuE0ELNS1_3repE0EEENS1_30default_config_static_selectorELNS0_4arch9wavefront6targetE0EEEvSY_,comdat
.Lfunc_end1627:
	.size	_ZN7rocprim17ROCPRIM_400000_NS6detail17trampoline_kernelINS0_13select_configILj256ELj13ELNS0_17block_load_methodE3ELS4_3ELS4_3ELNS0_20block_scan_algorithmE0ELj4294967295EEENS1_25partition_config_selectorILNS1_17partition_subalgoE3EjNS0_10empty_typeEbEEZZNS1_14partition_implILS8_3ELb0ES6_jNS0_17counting_iteratorIjlEEPS9_SE_NS0_5tupleIJPjSE_EEENSF_IJSE_SE_EEES9_SG_JZNS1_25segmented_radix_sort_implINS0_14default_configELb0EPKbPbPKlPlN2at6native12_GLOBAL__N_18offset_tEEE10hipError_tPvRmT1_PNSt15iterator_traitsISY_E10value_typeET2_T3_PNSZ_IS14_E10value_typeET4_jRbjT5_S1A_jjP12ihipStream_tbEUljE_EEESV_SW_SX_S14_S18_S1A_T6_T7_T9_mT8_S1C_bDpT10_ENKUlT_T0_E_clISt17integral_constantIbLb0EES1O_IbLb1EEEEDaS1K_S1L_EUlS1K_E_NS1_11comp_targetILNS1_3genE0ELNS1_11target_archE4294967295ELNS1_3gpuE0ELNS1_3repE0EEENS1_30default_config_static_selectorELNS0_4arch9wavefront6targetE0EEEvSY_, .Lfunc_end1627-_ZN7rocprim17ROCPRIM_400000_NS6detail17trampoline_kernelINS0_13select_configILj256ELj13ELNS0_17block_load_methodE3ELS4_3ELS4_3ELNS0_20block_scan_algorithmE0ELj4294967295EEENS1_25partition_config_selectorILNS1_17partition_subalgoE3EjNS0_10empty_typeEbEEZZNS1_14partition_implILS8_3ELb0ES6_jNS0_17counting_iteratorIjlEEPS9_SE_NS0_5tupleIJPjSE_EEENSF_IJSE_SE_EEES9_SG_JZNS1_25segmented_radix_sort_implINS0_14default_configELb0EPKbPbPKlPlN2at6native12_GLOBAL__N_18offset_tEEE10hipError_tPvRmT1_PNSt15iterator_traitsISY_E10value_typeET2_T3_PNSZ_IS14_E10value_typeET4_jRbjT5_S1A_jjP12ihipStream_tbEUljE_EEESV_SW_SX_S14_S18_S1A_T6_T7_T9_mT8_S1C_bDpT10_ENKUlT_T0_E_clISt17integral_constantIbLb0EES1O_IbLb1EEEEDaS1K_S1L_EUlS1K_E_NS1_11comp_targetILNS1_3genE0ELNS1_11target_archE4294967295ELNS1_3gpuE0ELNS1_3repE0EEENS1_30default_config_static_selectorELNS0_4arch9wavefront6targetE0EEEvSY_
                                        ; -- End function
	.set _ZN7rocprim17ROCPRIM_400000_NS6detail17trampoline_kernelINS0_13select_configILj256ELj13ELNS0_17block_load_methodE3ELS4_3ELS4_3ELNS0_20block_scan_algorithmE0ELj4294967295EEENS1_25partition_config_selectorILNS1_17partition_subalgoE3EjNS0_10empty_typeEbEEZZNS1_14partition_implILS8_3ELb0ES6_jNS0_17counting_iteratorIjlEEPS9_SE_NS0_5tupleIJPjSE_EEENSF_IJSE_SE_EEES9_SG_JZNS1_25segmented_radix_sort_implINS0_14default_configELb0EPKbPbPKlPlN2at6native12_GLOBAL__N_18offset_tEEE10hipError_tPvRmT1_PNSt15iterator_traitsISY_E10value_typeET2_T3_PNSZ_IS14_E10value_typeET4_jRbjT5_S1A_jjP12ihipStream_tbEUljE_EEESV_SW_SX_S14_S18_S1A_T6_T7_T9_mT8_S1C_bDpT10_ENKUlT_T0_E_clISt17integral_constantIbLb0EES1O_IbLb1EEEEDaS1K_S1L_EUlS1K_E_NS1_11comp_targetILNS1_3genE0ELNS1_11target_archE4294967295ELNS1_3gpuE0ELNS1_3repE0EEENS1_30default_config_static_selectorELNS0_4arch9wavefront6targetE0EEEvSY_.num_vgpr, 0
	.set _ZN7rocprim17ROCPRIM_400000_NS6detail17trampoline_kernelINS0_13select_configILj256ELj13ELNS0_17block_load_methodE3ELS4_3ELS4_3ELNS0_20block_scan_algorithmE0ELj4294967295EEENS1_25partition_config_selectorILNS1_17partition_subalgoE3EjNS0_10empty_typeEbEEZZNS1_14partition_implILS8_3ELb0ES6_jNS0_17counting_iteratorIjlEEPS9_SE_NS0_5tupleIJPjSE_EEENSF_IJSE_SE_EEES9_SG_JZNS1_25segmented_radix_sort_implINS0_14default_configELb0EPKbPbPKlPlN2at6native12_GLOBAL__N_18offset_tEEE10hipError_tPvRmT1_PNSt15iterator_traitsISY_E10value_typeET2_T3_PNSZ_IS14_E10value_typeET4_jRbjT5_S1A_jjP12ihipStream_tbEUljE_EEESV_SW_SX_S14_S18_S1A_T6_T7_T9_mT8_S1C_bDpT10_ENKUlT_T0_E_clISt17integral_constantIbLb0EES1O_IbLb1EEEEDaS1K_S1L_EUlS1K_E_NS1_11comp_targetILNS1_3genE0ELNS1_11target_archE4294967295ELNS1_3gpuE0ELNS1_3repE0EEENS1_30default_config_static_selectorELNS0_4arch9wavefront6targetE0EEEvSY_.num_agpr, 0
	.set _ZN7rocprim17ROCPRIM_400000_NS6detail17trampoline_kernelINS0_13select_configILj256ELj13ELNS0_17block_load_methodE3ELS4_3ELS4_3ELNS0_20block_scan_algorithmE0ELj4294967295EEENS1_25partition_config_selectorILNS1_17partition_subalgoE3EjNS0_10empty_typeEbEEZZNS1_14partition_implILS8_3ELb0ES6_jNS0_17counting_iteratorIjlEEPS9_SE_NS0_5tupleIJPjSE_EEENSF_IJSE_SE_EEES9_SG_JZNS1_25segmented_radix_sort_implINS0_14default_configELb0EPKbPbPKlPlN2at6native12_GLOBAL__N_18offset_tEEE10hipError_tPvRmT1_PNSt15iterator_traitsISY_E10value_typeET2_T3_PNSZ_IS14_E10value_typeET4_jRbjT5_S1A_jjP12ihipStream_tbEUljE_EEESV_SW_SX_S14_S18_S1A_T6_T7_T9_mT8_S1C_bDpT10_ENKUlT_T0_E_clISt17integral_constantIbLb0EES1O_IbLb1EEEEDaS1K_S1L_EUlS1K_E_NS1_11comp_targetILNS1_3genE0ELNS1_11target_archE4294967295ELNS1_3gpuE0ELNS1_3repE0EEENS1_30default_config_static_selectorELNS0_4arch9wavefront6targetE0EEEvSY_.numbered_sgpr, 0
	.set _ZN7rocprim17ROCPRIM_400000_NS6detail17trampoline_kernelINS0_13select_configILj256ELj13ELNS0_17block_load_methodE3ELS4_3ELS4_3ELNS0_20block_scan_algorithmE0ELj4294967295EEENS1_25partition_config_selectorILNS1_17partition_subalgoE3EjNS0_10empty_typeEbEEZZNS1_14partition_implILS8_3ELb0ES6_jNS0_17counting_iteratorIjlEEPS9_SE_NS0_5tupleIJPjSE_EEENSF_IJSE_SE_EEES9_SG_JZNS1_25segmented_radix_sort_implINS0_14default_configELb0EPKbPbPKlPlN2at6native12_GLOBAL__N_18offset_tEEE10hipError_tPvRmT1_PNSt15iterator_traitsISY_E10value_typeET2_T3_PNSZ_IS14_E10value_typeET4_jRbjT5_S1A_jjP12ihipStream_tbEUljE_EEESV_SW_SX_S14_S18_S1A_T6_T7_T9_mT8_S1C_bDpT10_ENKUlT_T0_E_clISt17integral_constantIbLb0EES1O_IbLb1EEEEDaS1K_S1L_EUlS1K_E_NS1_11comp_targetILNS1_3genE0ELNS1_11target_archE4294967295ELNS1_3gpuE0ELNS1_3repE0EEENS1_30default_config_static_selectorELNS0_4arch9wavefront6targetE0EEEvSY_.num_named_barrier, 0
	.set _ZN7rocprim17ROCPRIM_400000_NS6detail17trampoline_kernelINS0_13select_configILj256ELj13ELNS0_17block_load_methodE3ELS4_3ELS4_3ELNS0_20block_scan_algorithmE0ELj4294967295EEENS1_25partition_config_selectorILNS1_17partition_subalgoE3EjNS0_10empty_typeEbEEZZNS1_14partition_implILS8_3ELb0ES6_jNS0_17counting_iteratorIjlEEPS9_SE_NS0_5tupleIJPjSE_EEENSF_IJSE_SE_EEES9_SG_JZNS1_25segmented_radix_sort_implINS0_14default_configELb0EPKbPbPKlPlN2at6native12_GLOBAL__N_18offset_tEEE10hipError_tPvRmT1_PNSt15iterator_traitsISY_E10value_typeET2_T3_PNSZ_IS14_E10value_typeET4_jRbjT5_S1A_jjP12ihipStream_tbEUljE_EEESV_SW_SX_S14_S18_S1A_T6_T7_T9_mT8_S1C_bDpT10_ENKUlT_T0_E_clISt17integral_constantIbLb0EES1O_IbLb1EEEEDaS1K_S1L_EUlS1K_E_NS1_11comp_targetILNS1_3genE0ELNS1_11target_archE4294967295ELNS1_3gpuE0ELNS1_3repE0EEENS1_30default_config_static_selectorELNS0_4arch9wavefront6targetE0EEEvSY_.private_seg_size, 0
	.set _ZN7rocprim17ROCPRIM_400000_NS6detail17trampoline_kernelINS0_13select_configILj256ELj13ELNS0_17block_load_methodE3ELS4_3ELS4_3ELNS0_20block_scan_algorithmE0ELj4294967295EEENS1_25partition_config_selectorILNS1_17partition_subalgoE3EjNS0_10empty_typeEbEEZZNS1_14partition_implILS8_3ELb0ES6_jNS0_17counting_iteratorIjlEEPS9_SE_NS0_5tupleIJPjSE_EEENSF_IJSE_SE_EEES9_SG_JZNS1_25segmented_radix_sort_implINS0_14default_configELb0EPKbPbPKlPlN2at6native12_GLOBAL__N_18offset_tEEE10hipError_tPvRmT1_PNSt15iterator_traitsISY_E10value_typeET2_T3_PNSZ_IS14_E10value_typeET4_jRbjT5_S1A_jjP12ihipStream_tbEUljE_EEESV_SW_SX_S14_S18_S1A_T6_T7_T9_mT8_S1C_bDpT10_ENKUlT_T0_E_clISt17integral_constantIbLb0EES1O_IbLb1EEEEDaS1K_S1L_EUlS1K_E_NS1_11comp_targetILNS1_3genE0ELNS1_11target_archE4294967295ELNS1_3gpuE0ELNS1_3repE0EEENS1_30default_config_static_selectorELNS0_4arch9wavefront6targetE0EEEvSY_.uses_vcc, 0
	.set _ZN7rocprim17ROCPRIM_400000_NS6detail17trampoline_kernelINS0_13select_configILj256ELj13ELNS0_17block_load_methodE3ELS4_3ELS4_3ELNS0_20block_scan_algorithmE0ELj4294967295EEENS1_25partition_config_selectorILNS1_17partition_subalgoE3EjNS0_10empty_typeEbEEZZNS1_14partition_implILS8_3ELb0ES6_jNS0_17counting_iteratorIjlEEPS9_SE_NS0_5tupleIJPjSE_EEENSF_IJSE_SE_EEES9_SG_JZNS1_25segmented_radix_sort_implINS0_14default_configELb0EPKbPbPKlPlN2at6native12_GLOBAL__N_18offset_tEEE10hipError_tPvRmT1_PNSt15iterator_traitsISY_E10value_typeET2_T3_PNSZ_IS14_E10value_typeET4_jRbjT5_S1A_jjP12ihipStream_tbEUljE_EEESV_SW_SX_S14_S18_S1A_T6_T7_T9_mT8_S1C_bDpT10_ENKUlT_T0_E_clISt17integral_constantIbLb0EES1O_IbLb1EEEEDaS1K_S1L_EUlS1K_E_NS1_11comp_targetILNS1_3genE0ELNS1_11target_archE4294967295ELNS1_3gpuE0ELNS1_3repE0EEENS1_30default_config_static_selectorELNS0_4arch9wavefront6targetE0EEEvSY_.uses_flat_scratch, 0
	.set _ZN7rocprim17ROCPRIM_400000_NS6detail17trampoline_kernelINS0_13select_configILj256ELj13ELNS0_17block_load_methodE3ELS4_3ELS4_3ELNS0_20block_scan_algorithmE0ELj4294967295EEENS1_25partition_config_selectorILNS1_17partition_subalgoE3EjNS0_10empty_typeEbEEZZNS1_14partition_implILS8_3ELb0ES6_jNS0_17counting_iteratorIjlEEPS9_SE_NS0_5tupleIJPjSE_EEENSF_IJSE_SE_EEES9_SG_JZNS1_25segmented_radix_sort_implINS0_14default_configELb0EPKbPbPKlPlN2at6native12_GLOBAL__N_18offset_tEEE10hipError_tPvRmT1_PNSt15iterator_traitsISY_E10value_typeET2_T3_PNSZ_IS14_E10value_typeET4_jRbjT5_S1A_jjP12ihipStream_tbEUljE_EEESV_SW_SX_S14_S18_S1A_T6_T7_T9_mT8_S1C_bDpT10_ENKUlT_T0_E_clISt17integral_constantIbLb0EES1O_IbLb1EEEEDaS1K_S1L_EUlS1K_E_NS1_11comp_targetILNS1_3genE0ELNS1_11target_archE4294967295ELNS1_3gpuE0ELNS1_3repE0EEENS1_30default_config_static_selectorELNS0_4arch9wavefront6targetE0EEEvSY_.has_dyn_sized_stack, 0
	.set _ZN7rocprim17ROCPRIM_400000_NS6detail17trampoline_kernelINS0_13select_configILj256ELj13ELNS0_17block_load_methodE3ELS4_3ELS4_3ELNS0_20block_scan_algorithmE0ELj4294967295EEENS1_25partition_config_selectorILNS1_17partition_subalgoE3EjNS0_10empty_typeEbEEZZNS1_14partition_implILS8_3ELb0ES6_jNS0_17counting_iteratorIjlEEPS9_SE_NS0_5tupleIJPjSE_EEENSF_IJSE_SE_EEES9_SG_JZNS1_25segmented_radix_sort_implINS0_14default_configELb0EPKbPbPKlPlN2at6native12_GLOBAL__N_18offset_tEEE10hipError_tPvRmT1_PNSt15iterator_traitsISY_E10value_typeET2_T3_PNSZ_IS14_E10value_typeET4_jRbjT5_S1A_jjP12ihipStream_tbEUljE_EEESV_SW_SX_S14_S18_S1A_T6_T7_T9_mT8_S1C_bDpT10_ENKUlT_T0_E_clISt17integral_constantIbLb0EES1O_IbLb1EEEEDaS1K_S1L_EUlS1K_E_NS1_11comp_targetILNS1_3genE0ELNS1_11target_archE4294967295ELNS1_3gpuE0ELNS1_3repE0EEENS1_30default_config_static_selectorELNS0_4arch9wavefront6targetE0EEEvSY_.has_recursion, 0
	.set _ZN7rocprim17ROCPRIM_400000_NS6detail17trampoline_kernelINS0_13select_configILj256ELj13ELNS0_17block_load_methodE3ELS4_3ELS4_3ELNS0_20block_scan_algorithmE0ELj4294967295EEENS1_25partition_config_selectorILNS1_17partition_subalgoE3EjNS0_10empty_typeEbEEZZNS1_14partition_implILS8_3ELb0ES6_jNS0_17counting_iteratorIjlEEPS9_SE_NS0_5tupleIJPjSE_EEENSF_IJSE_SE_EEES9_SG_JZNS1_25segmented_radix_sort_implINS0_14default_configELb0EPKbPbPKlPlN2at6native12_GLOBAL__N_18offset_tEEE10hipError_tPvRmT1_PNSt15iterator_traitsISY_E10value_typeET2_T3_PNSZ_IS14_E10value_typeET4_jRbjT5_S1A_jjP12ihipStream_tbEUljE_EEESV_SW_SX_S14_S18_S1A_T6_T7_T9_mT8_S1C_bDpT10_ENKUlT_T0_E_clISt17integral_constantIbLb0EES1O_IbLb1EEEEDaS1K_S1L_EUlS1K_E_NS1_11comp_targetILNS1_3genE0ELNS1_11target_archE4294967295ELNS1_3gpuE0ELNS1_3repE0EEENS1_30default_config_static_selectorELNS0_4arch9wavefront6targetE0EEEvSY_.has_indirect_call, 0
	.section	.AMDGPU.csdata,"",@progbits
; Kernel info:
; codeLenInByte = 0
; TotalNumSgprs: 0
; NumVgprs: 0
; ScratchSize: 0
; MemoryBound: 0
; FloatMode: 240
; IeeeMode: 1
; LDSByteSize: 0 bytes/workgroup (compile time only)
; SGPRBlocks: 0
; VGPRBlocks: 0
; NumSGPRsForWavesPerEU: 1
; NumVGPRsForWavesPerEU: 1
; Occupancy: 16
; WaveLimiterHint : 0
; COMPUTE_PGM_RSRC2:SCRATCH_EN: 0
; COMPUTE_PGM_RSRC2:USER_SGPR: 2
; COMPUTE_PGM_RSRC2:TRAP_HANDLER: 0
; COMPUTE_PGM_RSRC2:TGID_X_EN: 1
; COMPUTE_PGM_RSRC2:TGID_Y_EN: 0
; COMPUTE_PGM_RSRC2:TGID_Z_EN: 0
; COMPUTE_PGM_RSRC2:TIDIG_COMP_CNT: 0
	.section	.text._ZN7rocprim17ROCPRIM_400000_NS6detail17trampoline_kernelINS0_13select_configILj256ELj13ELNS0_17block_load_methodE3ELS4_3ELS4_3ELNS0_20block_scan_algorithmE0ELj4294967295EEENS1_25partition_config_selectorILNS1_17partition_subalgoE3EjNS0_10empty_typeEbEEZZNS1_14partition_implILS8_3ELb0ES6_jNS0_17counting_iteratorIjlEEPS9_SE_NS0_5tupleIJPjSE_EEENSF_IJSE_SE_EEES9_SG_JZNS1_25segmented_radix_sort_implINS0_14default_configELb0EPKbPbPKlPlN2at6native12_GLOBAL__N_18offset_tEEE10hipError_tPvRmT1_PNSt15iterator_traitsISY_E10value_typeET2_T3_PNSZ_IS14_E10value_typeET4_jRbjT5_S1A_jjP12ihipStream_tbEUljE_EEESV_SW_SX_S14_S18_S1A_T6_T7_T9_mT8_S1C_bDpT10_ENKUlT_T0_E_clISt17integral_constantIbLb0EES1O_IbLb1EEEEDaS1K_S1L_EUlS1K_E_NS1_11comp_targetILNS1_3genE5ELNS1_11target_archE942ELNS1_3gpuE9ELNS1_3repE0EEENS1_30default_config_static_selectorELNS0_4arch9wavefront6targetE0EEEvSY_,"axG",@progbits,_ZN7rocprim17ROCPRIM_400000_NS6detail17trampoline_kernelINS0_13select_configILj256ELj13ELNS0_17block_load_methodE3ELS4_3ELS4_3ELNS0_20block_scan_algorithmE0ELj4294967295EEENS1_25partition_config_selectorILNS1_17partition_subalgoE3EjNS0_10empty_typeEbEEZZNS1_14partition_implILS8_3ELb0ES6_jNS0_17counting_iteratorIjlEEPS9_SE_NS0_5tupleIJPjSE_EEENSF_IJSE_SE_EEES9_SG_JZNS1_25segmented_radix_sort_implINS0_14default_configELb0EPKbPbPKlPlN2at6native12_GLOBAL__N_18offset_tEEE10hipError_tPvRmT1_PNSt15iterator_traitsISY_E10value_typeET2_T3_PNSZ_IS14_E10value_typeET4_jRbjT5_S1A_jjP12ihipStream_tbEUljE_EEESV_SW_SX_S14_S18_S1A_T6_T7_T9_mT8_S1C_bDpT10_ENKUlT_T0_E_clISt17integral_constantIbLb0EES1O_IbLb1EEEEDaS1K_S1L_EUlS1K_E_NS1_11comp_targetILNS1_3genE5ELNS1_11target_archE942ELNS1_3gpuE9ELNS1_3repE0EEENS1_30default_config_static_selectorELNS0_4arch9wavefront6targetE0EEEvSY_,comdat
	.globl	_ZN7rocprim17ROCPRIM_400000_NS6detail17trampoline_kernelINS0_13select_configILj256ELj13ELNS0_17block_load_methodE3ELS4_3ELS4_3ELNS0_20block_scan_algorithmE0ELj4294967295EEENS1_25partition_config_selectorILNS1_17partition_subalgoE3EjNS0_10empty_typeEbEEZZNS1_14partition_implILS8_3ELb0ES6_jNS0_17counting_iteratorIjlEEPS9_SE_NS0_5tupleIJPjSE_EEENSF_IJSE_SE_EEES9_SG_JZNS1_25segmented_radix_sort_implINS0_14default_configELb0EPKbPbPKlPlN2at6native12_GLOBAL__N_18offset_tEEE10hipError_tPvRmT1_PNSt15iterator_traitsISY_E10value_typeET2_T3_PNSZ_IS14_E10value_typeET4_jRbjT5_S1A_jjP12ihipStream_tbEUljE_EEESV_SW_SX_S14_S18_S1A_T6_T7_T9_mT8_S1C_bDpT10_ENKUlT_T0_E_clISt17integral_constantIbLb0EES1O_IbLb1EEEEDaS1K_S1L_EUlS1K_E_NS1_11comp_targetILNS1_3genE5ELNS1_11target_archE942ELNS1_3gpuE9ELNS1_3repE0EEENS1_30default_config_static_selectorELNS0_4arch9wavefront6targetE0EEEvSY_ ; -- Begin function _ZN7rocprim17ROCPRIM_400000_NS6detail17trampoline_kernelINS0_13select_configILj256ELj13ELNS0_17block_load_methodE3ELS4_3ELS4_3ELNS0_20block_scan_algorithmE0ELj4294967295EEENS1_25partition_config_selectorILNS1_17partition_subalgoE3EjNS0_10empty_typeEbEEZZNS1_14partition_implILS8_3ELb0ES6_jNS0_17counting_iteratorIjlEEPS9_SE_NS0_5tupleIJPjSE_EEENSF_IJSE_SE_EEES9_SG_JZNS1_25segmented_radix_sort_implINS0_14default_configELb0EPKbPbPKlPlN2at6native12_GLOBAL__N_18offset_tEEE10hipError_tPvRmT1_PNSt15iterator_traitsISY_E10value_typeET2_T3_PNSZ_IS14_E10value_typeET4_jRbjT5_S1A_jjP12ihipStream_tbEUljE_EEESV_SW_SX_S14_S18_S1A_T6_T7_T9_mT8_S1C_bDpT10_ENKUlT_T0_E_clISt17integral_constantIbLb0EES1O_IbLb1EEEEDaS1K_S1L_EUlS1K_E_NS1_11comp_targetILNS1_3genE5ELNS1_11target_archE942ELNS1_3gpuE9ELNS1_3repE0EEENS1_30default_config_static_selectorELNS0_4arch9wavefront6targetE0EEEvSY_
	.p2align	8
	.type	_ZN7rocprim17ROCPRIM_400000_NS6detail17trampoline_kernelINS0_13select_configILj256ELj13ELNS0_17block_load_methodE3ELS4_3ELS4_3ELNS0_20block_scan_algorithmE0ELj4294967295EEENS1_25partition_config_selectorILNS1_17partition_subalgoE3EjNS0_10empty_typeEbEEZZNS1_14partition_implILS8_3ELb0ES6_jNS0_17counting_iteratorIjlEEPS9_SE_NS0_5tupleIJPjSE_EEENSF_IJSE_SE_EEES9_SG_JZNS1_25segmented_radix_sort_implINS0_14default_configELb0EPKbPbPKlPlN2at6native12_GLOBAL__N_18offset_tEEE10hipError_tPvRmT1_PNSt15iterator_traitsISY_E10value_typeET2_T3_PNSZ_IS14_E10value_typeET4_jRbjT5_S1A_jjP12ihipStream_tbEUljE_EEESV_SW_SX_S14_S18_S1A_T6_T7_T9_mT8_S1C_bDpT10_ENKUlT_T0_E_clISt17integral_constantIbLb0EES1O_IbLb1EEEEDaS1K_S1L_EUlS1K_E_NS1_11comp_targetILNS1_3genE5ELNS1_11target_archE942ELNS1_3gpuE9ELNS1_3repE0EEENS1_30default_config_static_selectorELNS0_4arch9wavefront6targetE0EEEvSY_,@function
_ZN7rocprim17ROCPRIM_400000_NS6detail17trampoline_kernelINS0_13select_configILj256ELj13ELNS0_17block_load_methodE3ELS4_3ELS4_3ELNS0_20block_scan_algorithmE0ELj4294967295EEENS1_25partition_config_selectorILNS1_17partition_subalgoE3EjNS0_10empty_typeEbEEZZNS1_14partition_implILS8_3ELb0ES6_jNS0_17counting_iteratorIjlEEPS9_SE_NS0_5tupleIJPjSE_EEENSF_IJSE_SE_EEES9_SG_JZNS1_25segmented_radix_sort_implINS0_14default_configELb0EPKbPbPKlPlN2at6native12_GLOBAL__N_18offset_tEEE10hipError_tPvRmT1_PNSt15iterator_traitsISY_E10value_typeET2_T3_PNSZ_IS14_E10value_typeET4_jRbjT5_S1A_jjP12ihipStream_tbEUljE_EEESV_SW_SX_S14_S18_S1A_T6_T7_T9_mT8_S1C_bDpT10_ENKUlT_T0_E_clISt17integral_constantIbLb0EES1O_IbLb1EEEEDaS1K_S1L_EUlS1K_E_NS1_11comp_targetILNS1_3genE5ELNS1_11target_archE942ELNS1_3gpuE9ELNS1_3repE0EEENS1_30default_config_static_selectorELNS0_4arch9wavefront6targetE0EEEvSY_: ; @_ZN7rocprim17ROCPRIM_400000_NS6detail17trampoline_kernelINS0_13select_configILj256ELj13ELNS0_17block_load_methodE3ELS4_3ELS4_3ELNS0_20block_scan_algorithmE0ELj4294967295EEENS1_25partition_config_selectorILNS1_17partition_subalgoE3EjNS0_10empty_typeEbEEZZNS1_14partition_implILS8_3ELb0ES6_jNS0_17counting_iteratorIjlEEPS9_SE_NS0_5tupleIJPjSE_EEENSF_IJSE_SE_EEES9_SG_JZNS1_25segmented_radix_sort_implINS0_14default_configELb0EPKbPbPKlPlN2at6native12_GLOBAL__N_18offset_tEEE10hipError_tPvRmT1_PNSt15iterator_traitsISY_E10value_typeET2_T3_PNSZ_IS14_E10value_typeET4_jRbjT5_S1A_jjP12ihipStream_tbEUljE_EEESV_SW_SX_S14_S18_S1A_T6_T7_T9_mT8_S1C_bDpT10_ENKUlT_T0_E_clISt17integral_constantIbLb0EES1O_IbLb1EEEEDaS1K_S1L_EUlS1K_E_NS1_11comp_targetILNS1_3genE5ELNS1_11target_archE942ELNS1_3gpuE9ELNS1_3repE0EEENS1_30default_config_static_selectorELNS0_4arch9wavefront6targetE0EEEvSY_
; %bb.0:
	.section	.rodata,"a",@progbits
	.p2align	6, 0x0
	.amdhsa_kernel _ZN7rocprim17ROCPRIM_400000_NS6detail17trampoline_kernelINS0_13select_configILj256ELj13ELNS0_17block_load_methodE3ELS4_3ELS4_3ELNS0_20block_scan_algorithmE0ELj4294967295EEENS1_25partition_config_selectorILNS1_17partition_subalgoE3EjNS0_10empty_typeEbEEZZNS1_14partition_implILS8_3ELb0ES6_jNS0_17counting_iteratorIjlEEPS9_SE_NS0_5tupleIJPjSE_EEENSF_IJSE_SE_EEES9_SG_JZNS1_25segmented_radix_sort_implINS0_14default_configELb0EPKbPbPKlPlN2at6native12_GLOBAL__N_18offset_tEEE10hipError_tPvRmT1_PNSt15iterator_traitsISY_E10value_typeET2_T3_PNSZ_IS14_E10value_typeET4_jRbjT5_S1A_jjP12ihipStream_tbEUljE_EEESV_SW_SX_S14_S18_S1A_T6_T7_T9_mT8_S1C_bDpT10_ENKUlT_T0_E_clISt17integral_constantIbLb0EES1O_IbLb1EEEEDaS1K_S1L_EUlS1K_E_NS1_11comp_targetILNS1_3genE5ELNS1_11target_archE942ELNS1_3gpuE9ELNS1_3repE0EEENS1_30default_config_static_selectorELNS0_4arch9wavefront6targetE0EEEvSY_
		.amdhsa_group_segment_fixed_size 0
		.amdhsa_private_segment_fixed_size 0
		.amdhsa_kernarg_size 152
		.amdhsa_user_sgpr_count 2
		.amdhsa_user_sgpr_dispatch_ptr 0
		.amdhsa_user_sgpr_queue_ptr 0
		.amdhsa_user_sgpr_kernarg_segment_ptr 1
		.amdhsa_user_sgpr_dispatch_id 0
		.amdhsa_user_sgpr_private_segment_size 0
		.amdhsa_wavefront_size32 1
		.amdhsa_uses_dynamic_stack 0
		.amdhsa_enable_private_segment 0
		.amdhsa_system_sgpr_workgroup_id_x 1
		.amdhsa_system_sgpr_workgroup_id_y 0
		.amdhsa_system_sgpr_workgroup_id_z 0
		.amdhsa_system_sgpr_workgroup_info 0
		.amdhsa_system_vgpr_workitem_id 0
		.amdhsa_next_free_vgpr 1
		.amdhsa_next_free_sgpr 1
		.amdhsa_reserve_vcc 0
		.amdhsa_float_round_mode_32 0
		.amdhsa_float_round_mode_16_64 0
		.amdhsa_float_denorm_mode_32 3
		.amdhsa_float_denorm_mode_16_64 3
		.amdhsa_fp16_overflow 0
		.amdhsa_workgroup_processor_mode 1
		.amdhsa_memory_ordered 1
		.amdhsa_forward_progress 1
		.amdhsa_inst_pref_size 0
		.amdhsa_round_robin_scheduling 0
		.amdhsa_exception_fp_ieee_invalid_op 0
		.amdhsa_exception_fp_denorm_src 0
		.amdhsa_exception_fp_ieee_div_zero 0
		.amdhsa_exception_fp_ieee_overflow 0
		.amdhsa_exception_fp_ieee_underflow 0
		.amdhsa_exception_fp_ieee_inexact 0
		.amdhsa_exception_int_div_zero 0
	.end_amdhsa_kernel
	.section	.text._ZN7rocprim17ROCPRIM_400000_NS6detail17trampoline_kernelINS0_13select_configILj256ELj13ELNS0_17block_load_methodE3ELS4_3ELS4_3ELNS0_20block_scan_algorithmE0ELj4294967295EEENS1_25partition_config_selectorILNS1_17partition_subalgoE3EjNS0_10empty_typeEbEEZZNS1_14partition_implILS8_3ELb0ES6_jNS0_17counting_iteratorIjlEEPS9_SE_NS0_5tupleIJPjSE_EEENSF_IJSE_SE_EEES9_SG_JZNS1_25segmented_radix_sort_implINS0_14default_configELb0EPKbPbPKlPlN2at6native12_GLOBAL__N_18offset_tEEE10hipError_tPvRmT1_PNSt15iterator_traitsISY_E10value_typeET2_T3_PNSZ_IS14_E10value_typeET4_jRbjT5_S1A_jjP12ihipStream_tbEUljE_EEESV_SW_SX_S14_S18_S1A_T6_T7_T9_mT8_S1C_bDpT10_ENKUlT_T0_E_clISt17integral_constantIbLb0EES1O_IbLb1EEEEDaS1K_S1L_EUlS1K_E_NS1_11comp_targetILNS1_3genE5ELNS1_11target_archE942ELNS1_3gpuE9ELNS1_3repE0EEENS1_30default_config_static_selectorELNS0_4arch9wavefront6targetE0EEEvSY_,"axG",@progbits,_ZN7rocprim17ROCPRIM_400000_NS6detail17trampoline_kernelINS0_13select_configILj256ELj13ELNS0_17block_load_methodE3ELS4_3ELS4_3ELNS0_20block_scan_algorithmE0ELj4294967295EEENS1_25partition_config_selectorILNS1_17partition_subalgoE3EjNS0_10empty_typeEbEEZZNS1_14partition_implILS8_3ELb0ES6_jNS0_17counting_iteratorIjlEEPS9_SE_NS0_5tupleIJPjSE_EEENSF_IJSE_SE_EEES9_SG_JZNS1_25segmented_radix_sort_implINS0_14default_configELb0EPKbPbPKlPlN2at6native12_GLOBAL__N_18offset_tEEE10hipError_tPvRmT1_PNSt15iterator_traitsISY_E10value_typeET2_T3_PNSZ_IS14_E10value_typeET4_jRbjT5_S1A_jjP12ihipStream_tbEUljE_EEESV_SW_SX_S14_S18_S1A_T6_T7_T9_mT8_S1C_bDpT10_ENKUlT_T0_E_clISt17integral_constantIbLb0EES1O_IbLb1EEEEDaS1K_S1L_EUlS1K_E_NS1_11comp_targetILNS1_3genE5ELNS1_11target_archE942ELNS1_3gpuE9ELNS1_3repE0EEENS1_30default_config_static_selectorELNS0_4arch9wavefront6targetE0EEEvSY_,comdat
.Lfunc_end1628:
	.size	_ZN7rocprim17ROCPRIM_400000_NS6detail17trampoline_kernelINS0_13select_configILj256ELj13ELNS0_17block_load_methodE3ELS4_3ELS4_3ELNS0_20block_scan_algorithmE0ELj4294967295EEENS1_25partition_config_selectorILNS1_17partition_subalgoE3EjNS0_10empty_typeEbEEZZNS1_14partition_implILS8_3ELb0ES6_jNS0_17counting_iteratorIjlEEPS9_SE_NS0_5tupleIJPjSE_EEENSF_IJSE_SE_EEES9_SG_JZNS1_25segmented_radix_sort_implINS0_14default_configELb0EPKbPbPKlPlN2at6native12_GLOBAL__N_18offset_tEEE10hipError_tPvRmT1_PNSt15iterator_traitsISY_E10value_typeET2_T3_PNSZ_IS14_E10value_typeET4_jRbjT5_S1A_jjP12ihipStream_tbEUljE_EEESV_SW_SX_S14_S18_S1A_T6_T7_T9_mT8_S1C_bDpT10_ENKUlT_T0_E_clISt17integral_constantIbLb0EES1O_IbLb1EEEEDaS1K_S1L_EUlS1K_E_NS1_11comp_targetILNS1_3genE5ELNS1_11target_archE942ELNS1_3gpuE9ELNS1_3repE0EEENS1_30default_config_static_selectorELNS0_4arch9wavefront6targetE0EEEvSY_, .Lfunc_end1628-_ZN7rocprim17ROCPRIM_400000_NS6detail17trampoline_kernelINS0_13select_configILj256ELj13ELNS0_17block_load_methodE3ELS4_3ELS4_3ELNS0_20block_scan_algorithmE0ELj4294967295EEENS1_25partition_config_selectorILNS1_17partition_subalgoE3EjNS0_10empty_typeEbEEZZNS1_14partition_implILS8_3ELb0ES6_jNS0_17counting_iteratorIjlEEPS9_SE_NS0_5tupleIJPjSE_EEENSF_IJSE_SE_EEES9_SG_JZNS1_25segmented_radix_sort_implINS0_14default_configELb0EPKbPbPKlPlN2at6native12_GLOBAL__N_18offset_tEEE10hipError_tPvRmT1_PNSt15iterator_traitsISY_E10value_typeET2_T3_PNSZ_IS14_E10value_typeET4_jRbjT5_S1A_jjP12ihipStream_tbEUljE_EEESV_SW_SX_S14_S18_S1A_T6_T7_T9_mT8_S1C_bDpT10_ENKUlT_T0_E_clISt17integral_constantIbLb0EES1O_IbLb1EEEEDaS1K_S1L_EUlS1K_E_NS1_11comp_targetILNS1_3genE5ELNS1_11target_archE942ELNS1_3gpuE9ELNS1_3repE0EEENS1_30default_config_static_selectorELNS0_4arch9wavefront6targetE0EEEvSY_
                                        ; -- End function
	.set _ZN7rocprim17ROCPRIM_400000_NS6detail17trampoline_kernelINS0_13select_configILj256ELj13ELNS0_17block_load_methodE3ELS4_3ELS4_3ELNS0_20block_scan_algorithmE0ELj4294967295EEENS1_25partition_config_selectorILNS1_17partition_subalgoE3EjNS0_10empty_typeEbEEZZNS1_14partition_implILS8_3ELb0ES6_jNS0_17counting_iteratorIjlEEPS9_SE_NS0_5tupleIJPjSE_EEENSF_IJSE_SE_EEES9_SG_JZNS1_25segmented_radix_sort_implINS0_14default_configELb0EPKbPbPKlPlN2at6native12_GLOBAL__N_18offset_tEEE10hipError_tPvRmT1_PNSt15iterator_traitsISY_E10value_typeET2_T3_PNSZ_IS14_E10value_typeET4_jRbjT5_S1A_jjP12ihipStream_tbEUljE_EEESV_SW_SX_S14_S18_S1A_T6_T7_T9_mT8_S1C_bDpT10_ENKUlT_T0_E_clISt17integral_constantIbLb0EES1O_IbLb1EEEEDaS1K_S1L_EUlS1K_E_NS1_11comp_targetILNS1_3genE5ELNS1_11target_archE942ELNS1_3gpuE9ELNS1_3repE0EEENS1_30default_config_static_selectorELNS0_4arch9wavefront6targetE0EEEvSY_.num_vgpr, 0
	.set _ZN7rocprim17ROCPRIM_400000_NS6detail17trampoline_kernelINS0_13select_configILj256ELj13ELNS0_17block_load_methodE3ELS4_3ELS4_3ELNS0_20block_scan_algorithmE0ELj4294967295EEENS1_25partition_config_selectorILNS1_17partition_subalgoE3EjNS0_10empty_typeEbEEZZNS1_14partition_implILS8_3ELb0ES6_jNS0_17counting_iteratorIjlEEPS9_SE_NS0_5tupleIJPjSE_EEENSF_IJSE_SE_EEES9_SG_JZNS1_25segmented_radix_sort_implINS0_14default_configELb0EPKbPbPKlPlN2at6native12_GLOBAL__N_18offset_tEEE10hipError_tPvRmT1_PNSt15iterator_traitsISY_E10value_typeET2_T3_PNSZ_IS14_E10value_typeET4_jRbjT5_S1A_jjP12ihipStream_tbEUljE_EEESV_SW_SX_S14_S18_S1A_T6_T7_T9_mT8_S1C_bDpT10_ENKUlT_T0_E_clISt17integral_constantIbLb0EES1O_IbLb1EEEEDaS1K_S1L_EUlS1K_E_NS1_11comp_targetILNS1_3genE5ELNS1_11target_archE942ELNS1_3gpuE9ELNS1_3repE0EEENS1_30default_config_static_selectorELNS0_4arch9wavefront6targetE0EEEvSY_.num_agpr, 0
	.set _ZN7rocprim17ROCPRIM_400000_NS6detail17trampoline_kernelINS0_13select_configILj256ELj13ELNS0_17block_load_methodE3ELS4_3ELS4_3ELNS0_20block_scan_algorithmE0ELj4294967295EEENS1_25partition_config_selectorILNS1_17partition_subalgoE3EjNS0_10empty_typeEbEEZZNS1_14partition_implILS8_3ELb0ES6_jNS0_17counting_iteratorIjlEEPS9_SE_NS0_5tupleIJPjSE_EEENSF_IJSE_SE_EEES9_SG_JZNS1_25segmented_radix_sort_implINS0_14default_configELb0EPKbPbPKlPlN2at6native12_GLOBAL__N_18offset_tEEE10hipError_tPvRmT1_PNSt15iterator_traitsISY_E10value_typeET2_T3_PNSZ_IS14_E10value_typeET4_jRbjT5_S1A_jjP12ihipStream_tbEUljE_EEESV_SW_SX_S14_S18_S1A_T6_T7_T9_mT8_S1C_bDpT10_ENKUlT_T0_E_clISt17integral_constantIbLb0EES1O_IbLb1EEEEDaS1K_S1L_EUlS1K_E_NS1_11comp_targetILNS1_3genE5ELNS1_11target_archE942ELNS1_3gpuE9ELNS1_3repE0EEENS1_30default_config_static_selectorELNS0_4arch9wavefront6targetE0EEEvSY_.numbered_sgpr, 0
	.set _ZN7rocprim17ROCPRIM_400000_NS6detail17trampoline_kernelINS0_13select_configILj256ELj13ELNS0_17block_load_methodE3ELS4_3ELS4_3ELNS0_20block_scan_algorithmE0ELj4294967295EEENS1_25partition_config_selectorILNS1_17partition_subalgoE3EjNS0_10empty_typeEbEEZZNS1_14partition_implILS8_3ELb0ES6_jNS0_17counting_iteratorIjlEEPS9_SE_NS0_5tupleIJPjSE_EEENSF_IJSE_SE_EEES9_SG_JZNS1_25segmented_radix_sort_implINS0_14default_configELb0EPKbPbPKlPlN2at6native12_GLOBAL__N_18offset_tEEE10hipError_tPvRmT1_PNSt15iterator_traitsISY_E10value_typeET2_T3_PNSZ_IS14_E10value_typeET4_jRbjT5_S1A_jjP12ihipStream_tbEUljE_EEESV_SW_SX_S14_S18_S1A_T6_T7_T9_mT8_S1C_bDpT10_ENKUlT_T0_E_clISt17integral_constantIbLb0EES1O_IbLb1EEEEDaS1K_S1L_EUlS1K_E_NS1_11comp_targetILNS1_3genE5ELNS1_11target_archE942ELNS1_3gpuE9ELNS1_3repE0EEENS1_30default_config_static_selectorELNS0_4arch9wavefront6targetE0EEEvSY_.num_named_barrier, 0
	.set _ZN7rocprim17ROCPRIM_400000_NS6detail17trampoline_kernelINS0_13select_configILj256ELj13ELNS0_17block_load_methodE3ELS4_3ELS4_3ELNS0_20block_scan_algorithmE0ELj4294967295EEENS1_25partition_config_selectorILNS1_17partition_subalgoE3EjNS0_10empty_typeEbEEZZNS1_14partition_implILS8_3ELb0ES6_jNS0_17counting_iteratorIjlEEPS9_SE_NS0_5tupleIJPjSE_EEENSF_IJSE_SE_EEES9_SG_JZNS1_25segmented_radix_sort_implINS0_14default_configELb0EPKbPbPKlPlN2at6native12_GLOBAL__N_18offset_tEEE10hipError_tPvRmT1_PNSt15iterator_traitsISY_E10value_typeET2_T3_PNSZ_IS14_E10value_typeET4_jRbjT5_S1A_jjP12ihipStream_tbEUljE_EEESV_SW_SX_S14_S18_S1A_T6_T7_T9_mT8_S1C_bDpT10_ENKUlT_T0_E_clISt17integral_constantIbLb0EES1O_IbLb1EEEEDaS1K_S1L_EUlS1K_E_NS1_11comp_targetILNS1_3genE5ELNS1_11target_archE942ELNS1_3gpuE9ELNS1_3repE0EEENS1_30default_config_static_selectorELNS0_4arch9wavefront6targetE0EEEvSY_.private_seg_size, 0
	.set _ZN7rocprim17ROCPRIM_400000_NS6detail17trampoline_kernelINS0_13select_configILj256ELj13ELNS0_17block_load_methodE3ELS4_3ELS4_3ELNS0_20block_scan_algorithmE0ELj4294967295EEENS1_25partition_config_selectorILNS1_17partition_subalgoE3EjNS0_10empty_typeEbEEZZNS1_14partition_implILS8_3ELb0ES6_jNS0_17counting_iteratorIjlEEPS9_SE_NS0_5tupleIJPjSE_EEENSF_IJSE_SE_EEES9_SG_JZNS1_25segmented_radix_sort_implINS0_14default_configELb0EPKbPbPKlPlN2at6native12_GLOBAL__N_18offset_tEEE10hipError_tPvRmT1_PNSt15iterator_traitsISY_E10value_typeET2_T3_PNSZ_IS14_E10value_typeET4_jRbjT5_S1A_jjP12ihipStream_tbEUljE_EEESV_SW_SX_S14_S18_S1A_T6_T7_T9_mT8_S1C_bDpT10_ENKUlT_T0_E_clISt17integral_constantIbLb0EES1O_IbLb1EEEEDaS1K_S1L_EUlS1K_E_NS1_11comp_targetILNS1_3genE5ELNS1_11target_archE942ELNS1_3gpuE9ELNS1_3repE0EEENS1_30default_config_static_selectorELNS0_4arch9wavefront6targetE0EEEvSY_.uses_vcc, 0
	.set _ZN7rocprim17ROCPRIM_400000_NS6detail17trampoline_kernelINS0_13select_configILj256ELj13ELNS0_17block_load_methodE3ELS4_3ELS4_3ELNS0_20block_scan_algorithmE0ELj4294967295EEENS1_25partition_config_selectorILNS1_17partition_subalgoE3EjNS0_10empty_typeEbEEZZNS1_14partition_implILS8_3ELb0ES6_jNS0_17counting_iteratorIjlEEPS9_SE_NS0_5tupleIJPjSE_EEENSF_IJSE_SE_EEES9_SG_JZNS1_25segmented_radix_sort_implINS0_14default_configELb0EPKbPbPKlPlN2at6native12_GLOBAL__N_18offset_tEEE10hipError_tPvRmT1_PNSt15iterator_traitsISY_E10value_typeET2_T3_PNSZ_IS14_E10value_typeET4_jRbjT5_S1A_jjP12ihipStream_tbEUljE_EEESV_SW_SX_S14_S18_S1A_T6_T7_T9_mT8_S1C_bDpT10_ENKUlT_T0_E_clISt17integral_constantIbLb0EES1O_IbLb1EEEEDaS1K_S1L_EUlS1K_E_NS1_11comp_targetILNS1_3genE5ELNS1_11target_archE942ELNS1_3gpuE9ELNS1_3repE0EEENS1_30default_config_static_selectorELNS0_4arch9wavefront6targetE0EEEvSY_.uses_flat_scratch, 0
	.set _ZN7rocprim17ROCPRIM_400000_NS6detail17trampoline_kernelINS0_13select_configILj256ELj13ELNS0_17block_load_methodE3ELS4_3ELS4_3ELNS0_20block_scan_algorithmE0ELj4294967295EEENS1_25partition_config_selectorILNS1_17partition_subalgoE3EjNS0_10empty_typeEbEEZZNS1_14partition_implILS8_3ELb0ES6_jNS0_17counting_iteratorIjlEEPS9_SE_NS0_5tupleIJPjSE_EEENSF_IJSE_SE_EEES9_SG_JZNS1_25segmented_radix_sort_implINS0_14default_configELb0EPKbPbPKlPlN2at6native12_GLOBAL__N_18offset_tEEE10hipError_tPvRmT1_PNSt15iterator_traitsISY_E10value_typeET2_T3_PNSZ_IS14_E10value_typeET4_jRbjT5_S1A_jjP12ihipStream_tbEUljE_EEESV_SW_SX_S14_S18_S1A_T6_T7_T9_mT8_S1C_bDpT10_ENKUlT_T0_E_clISt17integral_constantIbLb0EES1O_IbLb1EEEEDaS1K_S1L_EUlS1K_E_NS1_11comp_targetILNS1_3genE5ELNS1_11target_archE942ELNS1_3gpuE9ELNS1_3repE0EEENS1_30default_config_static_selectorELNS0_4arch9wavefront6targetE0EEEvSY_.has_dyn_sized_stack, 0
	.set _ZN7rocprim17ROCPRIM_400000_NS6detail17trampoline_kernelINS0_13select_configILj256ELj13ELNS0_17block_load_methodE3ELS4_3ELS4_3ELNS0_20block_scan_algorithmE0ELj4294967295EEENS1_25partition_config_selectorILNS1_17partition_subalgoE3EjNS0_10empty_typeEbEEZZNS1_14partition_implILS8_3ELb0ES6_jNS0_17counting_iteratorIjlEEPS9_SE_NS0_5tupleIJPjSE_EEENSF_IJSE_SE_EEES9_SG_JZNS1_25segmented_radix_sort_implINS0_14default_configELb0EPKbPbPKlPlN2at6native12_GLOBAL__N_18offset_tEEE10hipError_tPvRmT1_PNSt15iterator_traitsISY_E10value_typeET2_T3_PNSZ_IS14_E10value_typeET4_jRbjT5_S1A_jjP12ihipStream_tbEUljE_EEESV_SW_SX_S14_S18_S1A_T6_T7_T9_mT8_S1C_bDpT10_ENKUlT_T0_E_clISt17integral_constantIbLb0EES1O_IbLb1EEEEDaS1K_S1L_EUlS1K_E_NS1_11comp_targetILNS1_3genE5ELNS1_11target_archE942ELNS1_3gpuE9ELNS1_3repE0EEENS1_30default_config_static_selectorELNS0_4arch9wavefront6targetE0EEEvSY_.has_recursion, 0
	.set _ZN7rocprim17ROCPRIM_400000_NS6detail17trampoline_kernelINS0_13select_configILj256ELj13ELNS0_17block_load_methodE3ELS4_3ELS4_3ELNS0_20block_scan_algorithmE0ELj4294967295EEENS1_25partition_config_selectorILNS1_17partition_subalgoE3EjNS0_10empty_typeEbEEZZNS1_14partition_implILS8_3ELb0ES6_jNS0_17counting_iteratorIjlEEPS9_SE_NS0_5tupleIJPjSE_EEENSF_IJSE_SE_EEES9_SG_JZNS1_25segmented_radix_sort_implINS0_14default_configELb0EPKbPbPKlPlN2at6native12_GLOBAL__N_18offset_tEEE10hipError_tPvRmT1_PNSt15iterator_traitsISY_E10value_typeET2_T3_PNSZ_IS14_E10value_typeET4_jRbjT5_S1A_jjP12ihipStream_tbEUljE_EEESV_SW_SX_S14_S18_S1A_T6_T7_T9_mT8_S1C_bDpT10_ENKUlT_T0_E_clISt17integral_constantIbLb0EES1O_IbLb1EEEEDaS1K_S1L_EUlS1K_E_NS1_11comp_targetILNS1_3genE5ELNS1_11target_archE942ELNS1_3gpuE9ELNS1_3repE0EEENS1_30default_config_static_selectorELNS0_4arch9wavefront6targetE0EEEvSY_.has_indirect_call, 0
	.section	.AMDGPU.csdata,"",@progbits
; Kernel info:
; codeLenInByte = 0
; TotalNumSgprs: 0
; NumVgprs: 0
; ScratchSize: 0
; MemoryBound: 0
; FloatMode: 240
; IeeeMode: 1
; LDSByteSize: 0 bytes/workgroup (compile time only)
; SGPRBlocks: 0
; VGPRBlocks: 0
; NumSGPRsForWavesPerEU: 1
; NumVGPRsForWavesPerEU: 1
; Occupancy: 16
; WaveLimiterHint : 0
; COMPUTE_PGM_RSRC2:SCRATCH_EN: 0
; COMPUTE_PGM_RSRC2:USER_SGPR: 2
; COMPUTE_PGM_RSRC2:TRAP_HANDLER: 0
; COMPUTE_PGM_RSRC2:TGID_X_EN: 1
; COMPUTE_PGM_RSRC2:TGID_Y_EN: 0
; COMPUTE_PGM_RSRC2:TGID_Z_EN: 0
; COMPUTE_PGM_RSRC2:TIDIG_COMP_CNT: 0
	.section	.text._ZN7rocprim17ROCPRIM_400000_NS6detail17trampoline_kernelINS0_13select_configILj256ELj13ELNS0_17block_load_methodE3ELS4_3ELS4_3ELNS0_20block_scan_algorithmE0ELj4294967295EEENS1_25partition_config_selectorILNS1_17partition_subalgoE3EjNS0_10empty_typeEbEEZZNS1_14partition_implILS8_3ELb0ES6_jNS0_17counting_iteratorIjlEEPS9_SE_NS0_5tupleIJPjSE_EEENSF_IJSE_SE_EEES9_SG_JZNS1_25segmented_radix_sort_implINS0_14default_configELb0EPKbPbPKlPlN2at6native12_GLOBAL__N_18offset_tEEE10hipError_tPvRmT1_PNSt15iterator_traitsISY_E10value_typeET2_T3_PNSZ_IS14_E10value_typeET4_jRbjT5_S1A_jjP12ihipStream_tbEUljE_EEESV_SW_SX_S14_S18_S1A_T6_T7_T9_mT8_S1C_bDpT10_ENKUlT_T0_E_clISt17integral_constantIbLb0EES1O_IbLb1EEEEDaS1K_S1L_EUlS1K_E_NS1_11comp_targetILNS1_3genE4ELNS1_11target_archE910ELNS1_3gpuE8ELNS1_3repE0EEENS1_30default_config_static_selectorELNS0_4arch9wavefront6targetE0EEEvSY_,"axG",@progbits,_ZN7rocprim17ROCPRIM_400000_NS6detail17trampoline_kernelINS0_13select_configILj256ELj13ELNS0_17block_load_methodE3ELS4_3ELS4_3ELNS0_20block_scan_algorithmE0ELj4294967295EEENS1_25partition_config_selectorILNS1_17partition_subalgoE3EjNS0_10empty_typeEbEEZZNS1_14partition_implILS8_3ELb0ES6_jNS0_17counting_iteratorIjlEEPS9_SE_NS0_5tupleIJPjSE_EEENSF_IJSE_SE_EEES9_SG_JZNS1_25segmented_radix_sort_implINS0_14default_configELb0EPKbPbPKlPlN2at6native12_GLOBAL__N_18offset_tEEE10hipError_tPvRmT1_PNSt15iterator_traitsISY_E10value_typeET2_T3_PNSZ_IS14_E10value_typeET4_jRbjT5_S1A_jjP12ihipStream_tbEUljE_EEESV_SW_SX_S14_S18_S1A_T6_T7_T9_mT8_S1C_bDpT10_ENKUlT_T0_E_clISt17integral_constantIbLb0EES1O_IbLb1EEEEDaS1K_S1L_EUlS1K_E_NS1_11comp_targetILNS1_3genE4ELNS1_11target_archE910ELNS1_3gpuE8ELNS1_3repE0EEENS1_30default_config_static_selectorELNS0_4arch9wavefront6targetE0EEEvSY_,comdat
	.globl	_ZN7rocprim17ROCPRIM_400000_NS6detail17trampoline_kernelINS0_13select_configILj256ELj13ELNS0_17block_load_methodE3ELS4_3ELS4_3ELNS0_20block_scan_algorithmE0ELj4294967295EEENS1_25partition_config_selectorILNS1_17partition_subalgoE3EjNS0_10empty_typeEbEEZZNS1_14partition_implILS8_3ELb0ES6_jNS0_17counting_iteratorIjlEEPS9_SE_NS0_5tupleIJPjSE_EEENSF_IJSE_SE_EEES9_SG_JZNS1_25segmented_radix_sort_implINS0_14default_configELb0EPKbPbPKlPlN2at6native12_GLOBAL__N_18offset_tEEE10hipError_tPvRmT1_PNSt15iterator_traitsISY_E10value_typeET2_T3_PNSZ_IS14_E10value_typeET4_jRbjT5_S1A_jjP12ihipStream_tbEUljE_EEESV_SW_SX_S14_S18_S1A_T6_T7_T9_mT8_S1C_bDpT10_ENKUlT_T0_E_clISt17integral_constantIbLb0EES1O_IbLb1EEEEDaS1K_S1L_EUlS1K_E_NS1_11comp_targetILNS1_3genE4ELNS1_11target_archE910ELNS1_3gpuE8ELNS1_3repE0EEENS1_30default_config_static_selectorELNS0_4arch9wavefront6targetE0EEEvSY_ ; -- Begin function _ZN7rocprim17ROCPRIM_400000_NS6detail17trampoline_kernelINS0_13select_configILj256ELj13ELNS0_17block_load_methodE3ELS4_3ELS4_3ELNS0_20block_scan_algorithmE0ELj4294967295EEENS1_25partition_config_selectorILNS1_17partition_subalgoE3EjNS0_10empty_typeEbEEZZNS1_14partition_implILS8_3ELb0ES6_jNS0_17counting_iteratorIjlEEPS9_SE_NS0_5tupleIJPjSE_EEENSF_IJSE_SE_EEES9_SG_JZNS1_25segmented_radix_sort_implINS0_14default_configELb0EPKbPbPKlPlN2at6native12_GLOBAL__N_18offset_tEEE10hipError_tPvRmT1_PNSt15iterator_traitsISY_E10value_typeET2_T3_PNSZ_IS14_E10value_typeET4_jRbjT5_S1A_jjP12ihipStream_tbEUljE_EEESV_SW_SX_S14_S18_S1A_T6_T7_T9_mT8_S1C_bDpT10_ENKUlT_T0_E_clISt17integral_constantIbLb0EES1O_IbLb1EEEEDaS1K_S1L_EUlS1K_E_NS1_11comp_targetILNS1_3genE4ELNS1_11target_archE910ELNS1_3gpuE8ELNS1_3repE0EEENS1_30default_config_static_selectorELNS0_4arch9wavefront6targetE0EEEvSY_
	.p2align	8
	.type	_ZN7rocprim17ROCPRIM_400000_NS6detail17trampoline_kernelINS0_13select_configILj256ELj13ELNS0_17block_load_methodE3ELS4_3ELS4_3ELNS0_20block_scan_algorithmE0ELj4294967295EEENS1_25partition_config_selectorILNS1_17partition_subalgoE3EjNS0_10empty_typeEbEEZZNS1_14partition_implILS8_3ELb0ES6_jNS0_17counting_iteratorIjlEEPS9_SE_NS0_5tupleIJPjSE_EEENSF_IJSE_SE_EEES9_SG_JZNS1_25segmented_radix_sort_implINS0_14default_configELb0EPKbPbPKlPlN2at6native12_GLOBAL__N_18offset_tEEE10hipError_tPvRmT1_PNSt15iterator_traitsISY_E10value_typeET2_T3_PNSZ_IS14_E10value_typeET4_jRbjT5_S1A_jjP12ihipStream_tbEUljE_EEESV_SW_SX_S14_S18_S1A_T6_T7_T9_mT8_S1C_bDpT10_ENKUlT_T0_E_clISt17integral_constantIbLb0EES1O_IbLb1EEEEDaS1K_S1L_EUlS1K_E_NS1_11comp_targetILNS1_3genE4ELNS1_11target_archE910ELNS1_3gpuE8ELNS1_3repE0EEENS1_30default_config_static_selectorELNS0_4arch9wavefront6targetE0EEEvSY_,@function
_ZN7rocprim17ROCPRIM_400000_NS6detail17trampoline_kernelINS0_13select_configILj256ELj13ELNS0_17block_load_methodE3ELS4_3ELS4_3ELNS0_20block_scan_algorithmE0ELj4294967295EEENS1_25partition_config_selectorILNS1_17partition_subalgoE3EjNS0_10empty_typeEbEEZZNS1_14partition_implILS8_3ELb0ES6_jNS0_17counting_iteratorIjlEEPS9_SE_NS0_5tupleIJPjSE_EEENSF_IJSE_SE_EEES9_SG_JZNS1_25segmented_radix_sort_implINS0_14default_configELb0EPKbPbPKlPlN2at6native12_GLOBAL__N_18offset_tEEE10hipError_tPvRmT1_PNSt15iterator_traitsISY_E10value_typeET2_T3_PNSZ_IS14_E10value_typeET4_jRbjT5_S1A_jjP12ihipStream_tbEUljE_EEESV_SW_SX_S14_S18_S1A_T6_T7_T9_mT8_S1C_bDpT10_ENKUlT_T0_E_clISt17integral_constantIbLb0EES1O_IbLb1EEEEDaS1K_S1L_EUlS1K_E_NS1_11comp_targetILNS1_3genE4ELNS1_11target_archE910ELNS1_3gpuE8ELNS1_3repE0EEENS1_30default_config_static_selectorELNS0_4arch9wavefront6targetE0EEEvSY_: ; @_ZN7rocprim17ROCPRIM_400000_NS6detail17trampoline_kernelINS0_13select_configILj256ELj13ELNS0_17block_load_methodE3ELS4_3ELS4_3ELNS0_20block_scan_algorithmE0ELj4294967295EEENS1_25partition_config_selectorILNS1_17partition_subalgoE3EjNS0_10empty_typeEbEEZZNS1_14partition_implILS8_3ELb0ES6_jNS0_17counting_iteratorIjlEEPS9_SE_NS0_5tupleIJPjSE_EEENSF_IJSE_SE_EEES9_SG_JZNS1_25segmented_radix_sort_implINS0_14default_configELb0EPKbPbPKlPlN2at6native12_GLOBAL__N_18offset_tEEE10hipError_tPvRmT1_PNSt15iterator_traitsISY_E10value_typeET2_T3_PNSZ_IS14_E10value_typeET4_jRbjT5_S1A_jjP12ihipStream_tbEUljE_EEESV_SW_SX_S14_S18_S1A_T6_T7_T9_mT8_S1C_bDpT10_ENKUlT_T0_E_clISt17integral_constantIbLb0EES1O_IbLb1EEEEDaS1K_S1L_EUlS1K_E_NS1_11comp_targetILNS1_3genE4ELNS1_11target_archE910ELNS1_3gpuE8ELNS1_3repE0EEENS1_30default_config_static_selectorELNS0_4arch9wavefront6targetE0EEEvSY_
; %bb.0:
	.section	.rodata,"a",@progbits
	.p2align	6, 0x0
	.amdhsa_kernel _ZN7rocprim17ROCPRIM_400000_NS6detail17trampoline_kernelINS0_13select_configILj256ELj13ELNS0_17block_load_methodE3ELS4_3ELS4_3ELNS0_20block_scan_algorithmE0ELj4294967295EEENS1_25partition_config_selectorILNS1_17partition_subalgoE3EjNS0_10empty_typeEbEEZZNS1_14partition_implILS8_3ELb0ES6_jNS0_17counting_iteratorIjlEEPS9_SE_NS0_5tupleIJPjSE_EEENSF_IJSE_SE_EEES9_SG_JZNS1_25segmented_radix_sort_implINS0_14default_configELb0EPKbPbPKlPlN2at6native12_GLOBAL__N_18offset_tEEE10hipError_tPvRmT1_PNSt15iterator_traitsISY_E10value_typeET2_T3_PNSZ_IS14_E10value_typeET4_jRbjT5_S1A_jjP12ihipStream_tbEUljE_EEESV_SW_SX_S14_S18_S1A_T6_T7_T9_mT8_S1C_bDpT10_ENKUlT_T0_E_clISt17integral_constantIbLb0EES1O_IbLb1EEEEDaS1K_S1L_EUlS1K_E_NS1_11comp_targetILNS1_3genE4ELNS1_11target_archE910ELNS1_3gpuE8ELNS1_3repE0EEENS1_30default_config_static_selectorELNS0_4arch9wavefront6targetE0EEEvSY_
		.amdhsa_group_segment_fixed_size 0
		.amdhsa_private_segment_fixed_size 0
		.amdhsa_kernarg_size 152
		.amdhsa_user_sgpr_count 2
		.amdhsa_user_sgpr_dispatch_ptr 0
		.amdhsa_user_sgpr_queue_ptr 0
		.amdhsa_user_sgpr_kernarg_segment_ptr 1
		.amdhsa_user_sgpr_dispatch_id 0
		.amdhsa_user_sgpr_private_segment_size 0
		.amdhsa_wavefront_size32 1
		.amdhsa_uses_dynamic_stack 0
		.amdhsa_enable_private_segment 0
		.amdhsa_system_sgpr_workgroup_id_x 1
		.amdhsa_system_sgpr_workgroup_id_y 0
		.amdhsa_system_sgpr_workgroup_id_z 0
		.amdhsa_system_sgpr_workgroup_info 0
		.amdhsa_system_vgpr_workitem_id 0
		.amdhsa_next_free_vgpr 1
		.amdhsa_next_free_sgpr 1
		.amdhsa_reserve_vcc 0
		.amdhsa_float_round_mode_32 0
		.amdhsa_float_round_mode_16_64 0
		.amdhsa_float_denorm_mode_32 3
		.amdhsa_float_denorm_mode_16_64 3
		.amdhsa_fp16_overflow 0
		.amdhsa_workgroup_processor_mode 1
		.amdhsa_memory_ordered 1
		.amdhsa_forward_progress 1
		.amdhsa_inst_pref_size 0
		.amdhsa_round_robin_scheduling 0
		.amdhsa_exception_fp_ieee_invalid_op 0
		.amdhsa_exception_fp_denorm_src 0
		.amdhsa_exception_fp_ieee_div_zero 0
		.amdhsa_exception_fp_ieee_overflow 0
		.amdhsa_exception_fp_ieee_underflow 0
		.amdhsa_exception_fp_ieee_inexact 0
		.amdhsa_exception_int_div_zero 0
	.end_amdhsa_kernel
	.section	.text._ZN7rocprim17ROCPRIM_400000_NS6detail17trampoline_kernelINS0_13select_configILj256ELj13ELNS0_17block_load_methodE3ELS4_3ELS4_3ELNS0_20block_scan_algorithmE0ELj4294967295EEENS1_25partition_config_selectorILNS1_17partition_subalgoE3EjNS0_10empty_typeEbEEZZNS1_14partition_implILS8_3ELb0ES6_jNS0_17counting_iteratorIjlEEPS9_SE_NS0_5tupleIJPjSE_EEENSF_IJSE_SE_EEES9_SG_JZNS1_25segmented_radix_sort_implINS0_14default_configELb0EPKbPbPKlPlN2at6native12_GLOBAL__N_18offset_tEEE10hipError_tPvRmT1_PNSt15iterator_traitsISY_E10value_typeET2_T3_PNSZ_IS14_E10value_typeET4_jRbjT5_S1A_jjP12ihipStream_tbEUljE_EEESV_SW_SX_S14_S18_S1A_T6_T7_T9_mT8_S1C_bDpT10_ENKUlT_T0_E_clISt17integral_constantIbLb0EES1O_IbLb1EEEEDaS1K_S1L_EUlS1K_E_NS1_11comp_targetILNS1_3genE4ELNS1_11target_archE910ELNS1_3gpuE8ELNS1_3repE0EEENS1_30default_config_static_selectorELNS0_4arch9wavefront6targetE0EEEvSY_,"axG",@progbits,_ZN7rocprim17ROCPRIM_400000_NS6detail17trampoline_kernelINS0_13select_configILj256ELj13ELNS0_17block_load_methodE3ELS4_3ELS4_3ELNS0_20block_scan_algorithmE0ELj4294967295EEENS1_25partition_config_selectorILNS1_17partition_subalgoE3EjNS0_10empty_typeEbEEZZNS1_14partition_implILS8_3ELb0ES6_jNS0_17counting_iteratorIjlEEPS9_SE_NS0_5tupleIJPjSE_EEENSF_IJSE_SE_EEES9_SG_JZNS1_25segmented_radix_sort_implINS0_14default_configELb0EPKbPbPKlPlN2at6native12_GLOBAL__N_18offset_tEEE10hipError_tPvRmT1_PNSt15iterator_traitsISY_E10value_typeET2_T3_PNSZ_IS14_E10value_typeET4_jRbjT5_S1A_jjP12ihipStream_tbEUljE_EEESV_SW_SX_S14_S18_S1A_T6_T7_T9_mT8_S1C_bDpT10_ENKUlT_T0_E_clISt17integral_constantIbLb0EES1O_IbLb1EEEEDaS1K_S1L_EUlS1K_E_NS1_11comp_targetILNS1_3genE4ELNS1_11target_archE910ELNS1_3gpuE8ELNS1_3repE0EEENS1_30default_config_static_selectorELNS0_4arch9wavefront6targetE0EEEvSY_,comdat
.Lfunc_end1629:
	.size	_ZN7rocprim17ROCPRIM_400000_NS6detail17trampoline_kernelINS0_13select_configILj256ELj13ELNS0_17block_load_methodE3ELS4_3ELS4_3ELNS0_20block_scan_algorithmE0ELj4294967295EEENS1_25partition_config_selectorILNS1_17partition_subalgoE3EjNS0_10empty_typeEbEEZZNS1_14partition_implILS8_3ELb0ES6_jNS0_17counting_iteratorIjlEEPS9_SE_NS0_5tupleIJPjSE_EEENSF_IJSE_SE_EEES9_SG_JZNS1_25segmented_radix_sort_implINS0_14default_configELb0EPKbPbPKlPlN2at6native12_GLOBAL__N_18offset_tEEE10hipError_tPvRmT1_PNSt15iterator_traitsISY_E10value_typeET2_T3_PNSZ_IS14_E10value_typeET4_jRbjT5_S1A_jjP12ihipStream_tbEUljE_EEESV_SW_SX_S14_S18_S1A_T6_T7_T9_mT8_S1C_bDpT10_ENKUlT_T0_E_clISt17integral_constantIbLb0EES1O_IbLb1EEEEDaS1K_S1L_EUlS1K_E_NS1_11comp_targetILNS1_3genE4ELNS1_11target_archE910ELNS1_3gpuE8ELNS1_3repE0EEENS1_30default_config_static_selectorELNS0_4arch9wavefront6targetE0EEEvSY_, .Lfunc_end1629-_ZN7rocprim17ROCPRIM_400000_NS6detail17trampoline_kernelINS0_13select_configILj256ELj13ELNS0_17block_load_methodE3ELS4_3ELS4_3ELNS0_20block_scan_algorithmE0ELj4294967295EEENS1_25partition_config_selectorILNS1_17partition_subalgoE3EjNS0_10empty_typeEbEEZZNS1_14partition_implILS8_3ELb0ES6_jNS0_17counting_iteratorIjlEEPS9_SE_NS0_5tupleIJPjSE_EEENSF_IJSE_SE_EEES9_SG_JZNS1_25segmented_radix_sort_implINS0_14default_configELb0EPKbPbPKlPlN2at6native12_GLOBAL__N_18offset_tEEE10hipError_tPvRmT1_PNSt15iterator_traitsISY_E10value_typeET2_T3_PNSZ_IS14_E10value_typeET4_jRbjT5_S1A_jjP12ihipStream_tbEUljE_EEESV_SW_SX_S14_S18_S1A_T6_T7_T9_mT8_S1C_bDpT10_ENKUlT_T0_E_clISt17integral_constantIbLb0EES1O_IbLb1EEEEDaS1K_S1L_EUlS1K_E_NS1_11comp_targetILNS1_3genE4ELNS1_11target_archE910ELNS1_3gpuE8ELNS1_3repE0EEENS1_30default_config_static_selectorELNS0_4arch9wavefront6targetE0EEEvSY_
                                        ; -- End function
	.set _ZN7rocprim17ROCPRIM_400000_NS6detail17trampoline_kernelINS0_13select_configILj256ELj13ELNS0_17block_load_methodE3ELS4_3ELS4_3ELNS0_20block_scan_algorithmE0ELj4294967295EEENS1_25partition_config_selectorILNS1_17partition_subalgoE3EjNS0_10empty_typeEbEEZZNS1_14partition_implILS8_3ELb0ES6_jNS0_17counting_iteratorIjlEEPS9_SE_NS0_5tupleIJPjSE_EEENSF_IJSE_SE_EEES9_SG_JZNS1_25segmented_radix_sort_implINS0_14default_configELb0EPKbPbPKlPlN2at6native12_GLOBAL__N_18offset_tEEE10hipError_tPvRmT1_PNSt15iterator_traitsISY_E10value_typeET2_T3_PNSZ_IS14_E10value_typeET4_jRbjT5_S1A_jjP12ihipStream_tbEUljE_EEESV_SW_SX_S14_S18_S1A_T6_T7_T9_mT8_S1C_bDpT10_ENKUlT_T0_E_clISt17integral_constantIbLb0EES1O_IbLb1EEEEDaS1K_S1L_EUlS1K_E_NS1_11comp_targetILNS1_3genE4ELNS1_11target_archE910ELNS1_3gpuE8ELNS1_3repE0EEENS1_30default_config_static_selectorELNS0_4arch9wavefront6targetE0EEEvSY_.num_vgpr, 0
	.set _ZN7rocprim17ROCPRIM_400000_NS6detail17trampoline_kernelINS0_13select_configILj256ELj13ELNS0_17block_load_methodE3ELS4_3ELS4_3ELNS0_20block_scan_algorithmE0ELj4294967295EEENS1_25partition_config_selectorILNS1_17partition_subalgoE3EjNS0_10empty_typeEbEEZZNS1_14partition_implILS8_3ELb0ES6_jNS0_17counting_iteratorIjlEEPS9_SE_NS0_5tupleIJPjSE_EEENSF_IJSE_SE_EEES9_SG_JZNS1_25segmented_radix_sort_implINS0_14default_configELb0EPKbPbPKlPlN2at6native12_GLOBAL__N_18offset_tEEE10hipError_tPvRmT1_PNSt15iterator_traitsISY_E10value_typeET2_T3_PNSZ_IS14_E10value_typeET4_jRbjT5_S1A_jjP12ihipStream_tbEUljE_EEESV_SW_SX_S14_S18_S1A_T6_T7_T9_mT8_S1C_bDpT10_ENKUlT_T0_E_clISt17integral_constantIbLb0EES1O_IbLb1EEEEDaS1K_S1L_EUlS1K_E_NS1_11comp_targetILNS1_3genE4ELNS1_11target_archE910ELNS1_3gpuE8ELNS1_3repE0EEENS1_30default_config_static_selectorELNS0_4arch9wavefront6targetE0EEEvSY_.num_agpr, 0
	.set _ZN7rocprim17ROCPRIM_400000_NS6detail17trampoline_kernelINS0_13select_configILj256ELj13ELNS0_17block_load_methodE3ELS4_3ELS4_3ELNS0_20block_scan_algorithmE0ELj4294967295EEENS1_25partition_config_selectorILNS1_17partition_subalgoE3EjNS0_10empty_typeEbEEZZNS1_14partition_implILS8_3ELb0ES6_jNS0_17counting_iteratorIjlEEPS9_SE_NS0_5tupleIJPjSE_EEENSF_IJSE_SE_EEES9_SG_JZNS1_25segmented_radix_sort_implINS0_14default_configELb0EPKbPbPKlPlN2at6native12_GLOBAL__N_18offset_tEEE10hipError_tPvRmT1_PNSt15iterator_traitsISY_E10value_typeET2_T3_PNSZ_IS14_E10value_typeET4_jRbjT5_S1A_jjP12ihipStream_tbEUljE_EEESV_SW_SX_S14_S18_S1A_T6_T7_T9_mT8_S1C_bDpT10_ENKUlT_T0_E_clISt17integral_constantIbLb0EES1O_IbLb1EEEEDaS1K_S1L_EUlS1K_E_NS1_11comp_targetILNS1_3genE4ELNS1_11target_archE910ELNS1_3gpuE8ELNS1_3repE0EEENS1_30default_config_static_selectorELNS0_4arch9wavefront6targetE0EEEvSY_.numbered_sgpr, 0
	.set _ZN7rocprim17ROCPRIM_400000_NS6detail17trampoline_kernelINS0_13select_configILj256ELj13ELNS0_17block_load_methodE3ELS4_3ELS4_3ELNS0_20block_scan_algorithmE0ELj4294967295EEENS1_25partition_config_selectorILNS1_17partition_subalgoE3EjNS0_10empty_typeEbEEZZNS1_14partition_implILS8_3ELb0ES6_jNS0_17counting_iteratorIjlEEPS9_SE_NS0_5tupleIJPjSE_EEENSF_IJSE_SE_EEES9_SG_JZNS1_25segmented_radix_sort_implINS0_14default_configELb0EPKbPbPKlPlN2at6native12_GLOBAL__N_18offset_tEEE10hipError_tPvRmT1_PNSt15iterator_traitsISY_E10value_typeET2_T3_PNSZ_IS14_E10value_typeET4_jRbjT5_S1A_jjP12ihipStream_tbEUljE_EEESV_SW_SX_S14_S18_S1A_T6_T7_T9_mT8_S1C_bDpT10_ENKUlT_T0_E_clISt17integral_constantIbLb0EES1O_IbLb1EEEEDaS1K_S1L_EUlS1K_E_NS1_11comp_targetILNS1_3genE4ELNS1_11target_archE910ELNS1_3gpuE8ELNS1_3repE0EEENS1_30default_config_static_selectorELNS0_4arch9wavefront6targetE0EEEvSY_.num_named_barrier, 0
	.set _ZN7rocprim17ROCPRIM_400000_NS6detail17trampoline_kernelINS0_13select_configILj256ELj13ELNS0_17block_load_methodE3ELS4_3ELS4_3ELNS0_20block_scan_algorithmE0ELj4294967295EEENS1_25partition_config_selectorILNS1_17partition_subalgoE3EjNS0_10empty_typeEbEEZZNS1_14partition_implILS8_3ELb0ES6_jNS0_17counting_iteratorIjlEEPS9_SE_NS0_5tupleIJPjSE_EEENSF_IJSE_SE_EEES9_SG_JZNS1_25segmented_radix_sort_implINS0_14default_configELb0EPKbPbPKlPlN2at6native12_GLOBAL__N_18offset_tEEE10hipError_tPvRmT1_PNSt15iterator_traitsISY_E10value_typeET2_T3_PNSZ_IS14_E10value_typeET4_jRbjT5_S1A_jjP12ihipStream_tbEUljE_EEESV_SW_SX_S14_S18_S1A_T6_T7_T9_mT8_S1C_bDpT10_ENKUlT_T0_E_clISt17integral_constantIbLb0EES1O_IbLb1EEEEDaS1K_S1L_EUlS1K_E_NS1_11comp_targetILNS1_3genE4ELNS1_11target_archE910ELNS1_3gpuE8ELNS1_3repE0EEENS1_30default_config_static_selectorELNS0_4arch9wavefront6targetE0EEEvSY_.private_seg_size, 0
	.set _ZN7rocprim17ROCPRIM_400000_NS6detail17trampoline_kernelINS0_13select_configILj256ELj13ELNS0_17block_load_methodE3ELS4_3ELS4_3ELNS0_20block_scan_algorithmE0ELj4294967295EEENS1_25partition_config_selectorILNS1_17partition_subalgoE3EjNS0_10empty_typeEbEEZZNS1_14partition_implILS8_3ELb0ES6_jNS0_17counting_iteratorIjlEEPS9_SE_NS0_5tupleIJPjSE_EEENSF_IJSE_SE_EEES9_SG_JZNS1_25segmented_radix_sort_implINS0_14default_configELb0EPKbPbPKlPlN2at6native12_GLOBAL__N_18offset_tEEE10hipError_tPvRmT1_PNSt15iterator_traitsISY_E10value_typeET2_T3_PNSZ_IS14_E10value_typeET4_jRbjT5_S1A_jjP12ihipStream_tbEUljE_EEESV_SW_SX_S14_S18_S1A_T6_T7_T9_mT8_S1C_bDpT10_ENKUlT_T0_E_clISt17integral_constantIbLb0EES1O_IbLb1EEEEDaS1K_S1L_EUlS1K_E_NS1_11comp_targetILNS1_3genE4ELNS1_11target_archE910ELNS1_3gpuE8ELNS1_3repE0EEENS1_30default_config_static_selectorELNS0_4arch9wavefront6targetE0EEEvSY_.uses_vcc, 0
	.set _ZN7rocprim17ROCPRIM_400000_NS6detail17trampoline_kernelINS0_13select_configILj256ELj13ELNS0_17block_load_methodE3ELS4_3ELS4_3ELNS0_20block_scan_algorithmE0ELj4294967295EEENS1_25partition_config_selectorILNS1_17partition_subalgoE3EjNS0_10empty_typeEbEEZZNS1_14partition_implILS8_3ELb0ES6_jNS0_17counting_iteratorIjlEEPS9_SE_NS0_5tupleIJPjSE_EEENSF_IJSE_SE_EEES9_SG_JZNS1_25segmented_radix_sort_implINS0_14default_configELb0EPKbPbPKlPlN2at6native12_GLOBAL__N_18offset_tEEE10hipError_tPvRmT1_PNSt15iterator_traitsISY_E10value_typeET2_T3_PNSZ_IS14_E10value_typeET4_jRbjT5_S1A_jjP12ihipStream_tbEUljE_EEESV_SW_SX_S14_S18_S1A_T6_T7_T9_mT8_S1C_bDpT10_ENKUlT_T0_E_clISt17integral_constantIbLb0EES1O_IbLb1EEEEDaS1K_S1L_EUlS1K_E_NS1_11comp_targetILNS1_3genE4ELNS1_11target_archE910ELNS1_3gpuE8ELNS1_3repE0EEENS1_30default_config_static_selectorELNS0_4arch9wavefront6targetE0EEEvSY_.uses_flat_scratch, 0
	.set _ZN7rocprim17ROCPRIM_400000_NS6detail17trampoline_kernelINS0_13select_configILj256ELj13ELNS0_17block_load_methodE3ELS4_3ELS4_3ELNS0_20block_scan_algorithmE0ELj4294967295EEENS1_25partition_config_selectorILNS1_17partition_subalgoE3EjNS0_10empty_typeEbEEZZNS1_14partition_implILS8_3ELb0ES6_jNS0_17counting_iteratorIjlEEPS9_SE_NS0_5tupleIJPjSE_EEENSF_IJSE_SE_EEES9_SG_JZNS1_25segmented_radix_sort_implINS0_14default_configELb0EPKbPbPKlPlN2at6native12_GLOBAL__N_18offset_tEEE10hipError_tPvRmT1_PNSt15iterator_traitsISY_E10value_typeET2_T3_PNSZ_IS14_E10value_typeET4_jRbjT5_S1A_jjP12ihipStream_tbEUljE_EEESV_SW_SX_S14_S18_S1A_T6_T7_T9_mT8_S1C_bDpT10_ENKUlT_T0_E_clISt17integral_constantIbLb0EES1O_IbLb1EEEEDaS1K_S1L_EUlS1K_E_NS1_11comp_targetILNS1_3genE4ELNS1_11target_archE910ELNS1_3gpuE8ELNS1_3repE0EEENS1_30default_config_static_selectorELNS0_4arch9wavefront6targetE0EEEvSY_.has_dyn_sized_stack, 0
	.set _ZN7rocprim17ROCPRIM_400000_NS6detail17trampoline_kernelINS0_13select_configILj256ELj13ELNS0_17block_load_methodE3ELS4_3ELS4_3ELNS0_20block_scan_algorithmE0ELj4294967295EEENS1_25partition_config_selectorILNS1_17partition_subalgoE3EjNS0_10empty_typeEbEEZZNS1_14partition_implILS8_3ELb0ES6_jNS0_17counting_iteratorIjlEEPS9_SE_NS0_5tupleIJPjSE_EEENSF_IJSE_SE_EEES9_SG_JZNS1_25segmented_radix_sort_implINS0_14default_configELb0EPKbPbPKlPlN2at6native12_GLOBAL__N_18offset_tEEE10hipError_tPvRmT1_PNSt15iterator_traitsISY_E10value_typeET2_T3_PNSZ_IS14_E10value_typeET4_jRbjT5_S1A_jjP12ihipStream_tbEUljE_EEESV_SW_SX_S14_S18_S1A_T6_T7_T9_mT8_S1C_bDpT10_ENKUlT_T0_E_clISt17integral_constantIbLb0EES1O_IbLb1EEEEDaS1K_S1L_EUlS1K_E_NS1_11comp_targetILNS1_3genE4ELNS1_11target_archE910ELNS1_3gpuE8ELNS1_3repE0EEENS1_30default_config_static_selectorELNS0_4arch9wavefront6targetE0EEEvSY_.has_recursion, 0
	.set _ZN7rocprim17ROCPRIM_400000_NS6detail17trampoline_kernelINS0_13select_configILj256ELj13ELNS0_17block_load_methodE3ELS4_3ELS4_3ELNS0_20block_scan_algorithmE0ELj4294967295EEENS1_25partition_config_selectorILNS1_17partition_subalgoE3EjNS0_10empty_typeEbEEZZNS1_14partition_implILS8_3ELb0ES6_jNS0_17counting_iteratorIjlEEPS9_SE_NS0_5tupleIJPjSE_EEENSF_IJSE_SE_EEES9_SG_JZNS1_25segmented_radix_sort_implINS0_14default_configELb0EPKbPbPKlPlN2at6native12_GLOBAL__N_18offset_tEEE10hipError_tPvRmT1_PNSt15iterator_traitsISY_E10value_typeET2_T3_PNSZ_IS14_E10value_typeET4_jRbjT5_S1A_jjP12ihipStream_tbEUljE_EEESV_SW_SX_S14_S18_S1A_T6_T7_T9_mT8_S1C_bDpT10_ENKUlT_T0_E_clISt17integral_constantIbLb0EES1O_IbLb1EEEEDaS1K_S1L_EUlS1K_E_NS1_11comp_targetILNS1_3genE4ELNS1_11target_archE910ELNS1_3gpuE8ELNS1_3repE0EEENS1_30default_config_static_selectorELNS0_4arch9wavefront6targetE0EEEvSY_.has_indirect_call, 0
	.section	.AMDGPU.csdata,"",@progbits
; Kernel info:
; codeLenInByte = 0
; TotalNumSgprs: 0
; NumVgprs: 0
; ScratchSize: 0
; MemoryBound: 0
; FloatMode: 240
; IeeeMode: 1
; LDSByteSize: 0 bytes/workgroup (compile time only)
; SGPRBlocks: 0
; VGPRBlocks: 0
; NumSGPRsForWavesPerEU: 1
; NumVGPRsForWavesPerEU: 1
; Occupancy: 16
; WaveLimiterHint : 0
; COMPUTE_PGM_RSRC2:SCRATCH_EN: 0
; COMPUTE_PGM_RSRC2:USER_SGPR: 2
; COMPUTE_PGM_RSRC2:TRAP_HANDLER: 0
; COMPUTE_PGM_RSRC2:TGID_X_EN: 1
; COMPUTE_PGM_RSRC2:TGID_Y_EN: 0
; COMPUTE_PGM_RSRC2:TGID_Z_EN: 0
; COMPUTE_PGM_RSRC2:TIDIG_COMP_CNT: 0
	.section	.text._ZN7rocprim17ROCPRIM_400000_NS6detail17trampoline_kernelINS0_13select_configILj256ELj13ELNS0_17block_load_methodE3ELS4_3ELS4_3ELNS0_20block_scan_algorithmE0ELj4294967295EEENS1_25partition_config_selectorILNS1_17partition_subalgoE3EjNS0_10empty_typeEbEEZZNS1_14partition_implILS8_3ELb0ES6_jNS0_17counting_iteratorIjlEEPS9_SE_NS0_5tupleIJPjSE_EEENSF_IJSE_SE_EEES9_SG_JZNS1_25segmented_radix_sort_implINS0_14default_configELb0EPKbPbPKlPlN2at6native12_GLOBAL__N_18offset_tEEE10hipError_tPvRmT1_PNSt15iterator_traitsISY_E10value_typeET2_T3_PNSZ_IS14_E10value_typeET4_jRbjT5_S1A_jjP12ihipStream_tbEUljE_EEESV_SW_SX_S14_S18_S1A_T6_T7_T9_mT8_S1C_bDpT10_ENKUlT_T0_E_clISt17integral_constantIbLb0EES1O_IbLb1EEEEDaS1K_S1L_EUlS1K_E_NS1_11comp_targetILNS1_3genE3ELNS1_11target_archE908ELNS1_3gpuE7ELNS1_3repE0EEENS1_30default_config_static_selectorELNS0_4arch9wavefront6targetE0EEEvSY_,"axG",@progbits,_ZN7rocprim17ROCPRIM_400000_NS6detail17trampoline_kernelINS0_13select_configILj256ELj13ELNS0_17block_load_methodE3ELS4_3ELS4_3ELNS0_20block_scan_algorithmE0ELj4294967295EEENS1_25partition_config_selectorILNS1_17partition_subalgoE3EjNS0_10empty_typeEbEEZZNS1_14partition_implILS8_3ELb0ES6_jNS0_17counting_iteratorIjlEEPS9_SE_NS0_5tupleIJPjSE_EEENSF_IJSE_SE_EEES9_SG_JZNS1_25segmented_radix_sort_implINS0_14default_configELb0EPKbPbPKlPlN2at6native12_GLOBAL__N_18offset_tEEE10hipError_tPvRmT1_PNSt15iterator_traitsISY_E10value_typeET2_T3_PNSZ_IS14_E10value_typeET4_jRbjT5_S1A_jjP12ihipStream_tbEUljE_EEESV_SW_SX_S14_S18_S1A_T6_T7_T9_mT8_S1C_bDpT10_ENKUlT_T0_E_clISt17integral_constantIbLb0EES1O_IbLb1EEEEDaS1K_S1L_EUlS1K_E_NS1_11comp_targetILNS1_3genE3ELNS1_11target_archE908ELNS1_3gpuE7ELNS1_3repE0EEENS1_30default_config_static_selectorELNS0_4arch9wavefront6targetE0EEEvSY_,comdat
	.globl	_ZN7rocprim17ROCPRIM_400000_NS6detail17trampoline_kernelINS0_13select_configILj256ELj13ELNS0_17block_load_methodE3ELS4_3ELS4_3ELNS0_20block_scan_algorithmE0ELj4294967295EEENS1_25partition_config_selectorILNS1_17partition_subalgoE3EjNS0_10empty_typeEbEEZZNS1_14partition_implILS8_3ELb0ES6_jNS0_17counting_iteratorIjlEEPS9_SE_NS0_5tupleIJPjSE_EEENSF_IJSE_SE_EEES9_SG_JZNS1_25segmented_radix_sort_implINS0_14default_configELb0EPKbPbPKlPlN2at6native12_GLOBAL__N_18offset_tEEE10hipError_tPvRmT1_PNSt15iterator_traitsISY_E10value_typeET2_T3_PNSZ_IS14_E10value_typeET4_jRbjT5_S1A_jjP12ihipStream_tbEUljE_EEESV_SW_SX_S14_S18_S1A_T6_T7_T9_mT8_S1C_bDpT10_ENKUlT_T0_E_clISt17integral_constantIbLb0EES1O_IbLb1EEEEDaS1K_S1L_EUlS1K_E_NS1_11comp_targetILNS1_3genE3ELNS1_11target_archE908ELNS1_3gpuE7ELNS1_3repE0EEENS1_30default_config_static_selectorELNS0_4arch9wavefront6targetE0EEEvSY_ ; -- Begin function _ZN7rocprim17ROCPRIM_400000_NS6detail17trampoline_kernelINS0_13select_configILj256ELj13ELNS0_17block_load_methodE3ELS4_3ELS4_3ELNS0_20block_scan_algorithmE0ELj4294967295EEENS1_25partition_config_selectorILNS1_17partition_subalgoE3EjNS0_10empty_typeEbEEZZNS1_14partition_implILS8_3ELb0ES6_jNS0_17counting_iteratorIjlEEPS9_SE_NS0_5tupleIJPjSE_EEENSF_IJSE_SE_EEES9_SG_JZNS1_25segmented_radix_sort_implINS0_14default_configELb0EPKbPbPKlPlN2at6native12_GLOBAL__N_18offset_tEEE10hipError_tPvRmT1_PNSt15iterator_traitsISY_E10value_typeET2_T3_PNSZ_IS14_E10value_typeET4_jRbjT5_S1A_jjP12ihipStream_tbEUljE_EEESV_SW_SX_S14_S18_S1A_T6_T7_T9_mT8_S1C_bDpT10_ENKUlT_T0_E_clISt17integral_constantIbLb0EES1O_IbLb1EEEEDaS1K_S1L_EUlS1K_E_NS1_11comp_targetILNS1_3genE3ELNS1_11target_archE908ELNS1_3gpuE7ELNS1_3repE0EEENS1_30default_config_static_selectorELNS0_4arch9wavefront6targetE0EEEvSY_
	.p2align	8
	.type	_ZN7rocprim17ROCPRIM_400000_NS6detail17trampoline_kernelINS0_13select_configILj256ELj13ELNS0_17block_load_methodE3ELS4_3ELS4_3ELNS0_20block_scan_algorithmE0ELj4294967295EEENS1_25partition_config_selectorILNS1_17partition_subalgoE3EjNS0_10empty_typeEbEEZZNS1_14partition_implILS8_3ELb0ES6_jNS0_17counting_iteratorIjlEEPS9_SE_NS0_5tupleIJPjSE_EEENSF_IJSE_SE_EEES9_SG_JZNS1_25segmented_radix_sort_implINS0_14default_configELb0EPKbPbPKlPlN2at6native12_GLOBAL__N_18offset_tEEE10hipError_tPvRmT1_PNSt15iterator_traitsISY_E10value_typeET2_T3_PNSZ_IS14_E10value_typeET4_jRbjT5_S1A_jjP12ihipStream_tbEUljE_EEESV_SW_SX_S14_S18_S1A_T6_T7_T9_mT8_S1C_bDpT10_ENKUlT_T0_E_clISt17integral_constantIbLb0EES1O_IbLb1EEEEDaS1K_S1L_EUlS1K_E_NS1_11comp_targetILNS1_3genE3ELNS1_11target_archE908ELNS1_3gpuE7ELNS1_3repE0EEENS1_30default_config_static_selectorELNS0_4arch9wavefront6targetE0EEEvSY_,@function
_ZN7rocprim17ROCPRIM_400000_NS6detail17trampoline_kernelINS0_13select_configILj256ELj13ELNS0_17block_load_methodE3ELS4_3ELS4_3ELNS0_20block_scan_algorithmE0ELj4294967295EEENS1_25partition_config_selectorILNS1_17partition_subalgoE3EjNS0_10empty_typeEbEEZZNS1_14partition_implILS8_3ELb0ES6_jNS0_17counting_iteratorIjlEEPS9_SE_NS0_5tupleIJPjSE_EEENSF_IJSE_SE_EEES9_SG_JZNS1_25segmented_radix_sort_implINS0_14default_configELb0EPKbPbPKlPlN2at6native12_GLOBAL__N_18offset_tEEE10hipError_tPvRmT1_PNSt15iterator_traitsISY_E10value_typeET2_T3_PNSZ_IS14_E10value_typeET4_jRbjT5_S1A_jjP12ihipStream_tbEUljE_EEESV_SW_SX_S14_S18_S1A_T6_T7_T9_mT8_S1C_bDpT10_ENKUlT_T0_E_clISt17integral_constantIbLb0EES1O_IbLb1EEEEDaS1K_S1L_EUlS1K_E_NS1_11comp_targetILNS1_3genE3ELNS1_11target_archE908ELNS1_3gpuE7ELNS1_3repE0EEENS1_30default_config_static_selectorELNS0_4arch9wavefront6targetE0EEEvSY_: ; @_ZN7rocprim17ROCPRIM_400000_NS6detail17trampoline_kernelINS0_13select_configILj256ELj13ELNS0_17block_load_methodE3ELS4_3ELS4_3ELNS0_20block_scan_algorithmE0ELj4294967295EEENS1_25partition_config_selectorILNS1_17partition_subalgoE3EjNS0_10empty_typeEbEEZZNS1_14partition_implILS8_3ELb0ES6_jNS0_17counting_iteratorIjlEEPS9_SE_NS0_5tupleIJPjSE_EEENSF_IJSE_SE_EEES9_SG_JZNS1_25segmented_radix_sort_implINS0_14default_configELb0EPKbPbPKlPlN2at6native12_GLOBAL__N_18offset_tEEE10hipError_tPvRmT1_PNSt15iterator_traitsISY_E10value_typeET2_T3_PNSZ_IS14_E10value_typeET4_jRbjT5_S1A_jjP12ihipStream_tbEUljE_EEESV_SW_SX_S14_S18_S1A_T6_T7_T9_mT8_S1C_bDpT10_ENKUlT_T0_E_clISt17integral_constantIbLb0EES1O_IbLb1EEEEDaS1K_S1L_EUlS1K_E_NS1_11comp_targetILNS1_3genE3ELNS1_11target_archE908ELNS1_3gpuE7ELNS1_3repE0EEENS1_30default_config_static_selectorELNS0_4arch9wavefront6targetE0EEEvSY_
; %bb.0:
	.section	.rodata,"a",@progbits
	.p2align	6, 0x0
	.amdhsa_kernel _ZN7rocprim17ROCPRIM_400000_NS6detail17trampoline_kernelINS0_13select_configILj256ELj13ELNS0_17block_load_methodE3ELS4_3ELS4_3ELNS0_20block_scan_algorithmE0ELj4294967295EEENS1_25partition_config_selectorILNS1_17partition_subalgoE3EjNS0_10empty_typeEbEEZZNS1_14partition_implILS8_3ELb0ES6_jNS0_17counting_iteratorIjlEEPS9_SE_NS0_5tupleIJPjSE_EEENSF_IJSE_SE_EEES9_SG_JZNS1_25segmented_radix_sort_implINS0_14default_configELb0EPKbPbPKlPlN2at6native12_GLOBAL__N_18offset_tEEE10hipError_tPvRmT1_PNSt15iterator_traitsISY_E10value_typeET2_T3_PNSZ_IS14_E10value_typeET4_jRbjT5_S1A_jjP12ihipStream_tbEUljE_EEESV_SW_SX_S14_S18_S1A_T6_T7_T9_mT8_S1C_bDpT10_ENKUlT_T0_E_clISt17integral_constantIbLb0EES1O_IbLb1EEEEDaS1K_S1L_EUlS1K_E_NS1_11comp_targetILNS1_3genE3ELNS1_11target_archE908ELNS1_3gpuE7ELNS1_3repE0EEENS1_30default_config_static_selectorELNS0_4arch9wavefront6targetE0EEEvSY_
		.amdhsa_group_segment_fixed_size 0
		.amdhsa_private_segment_fixed_size 0
		.amdhsa_kernarg_size 152
		.amdhsa_user_sgpr_count 2
		.amdhsa_user_sgpr_dispatch_ptr 0
		.amdhsa_user_sgpr_queue_ptr 0
		.amdhsa_user_sgpr_kernarg_segment_ptr 1
		.amdhsa_user_sgpr_dispatch_id 0
		.amdhsa_user_sgpr_private_segment_size 0
		.amdhsa_wavefront_size32 1
		.amdhsa_uses_dynamic_stack 0
		.amdhsa_enable_private_segment 0
		.amdhsa_system_sgpr_workgroup_id_x 1
		.amdhsa_system_sgpr_workgroup_id_y 0
		.amdhsa_system_sgpr_workgroup_id_z 0
		.amdhsa_system_sgpr_workgroup_info 0
		.amdhsa_system_vgpr_workitem_id 0
		.amdhsa_next_free_vgpr 1
		.amdhsa_next_free_sgpr 1
		.amdhsa_reserve_vcc 0
		.amdhsa_float_round_mode_32 0
		.amdhsa_float_round_mode_16_64 0
		.amdhsa_float_denorm_mode_32 3
		.amdhsa_float_denorm_mode_16_64 3
		.amdhsa_fp16_overflow 0
		.amdhsa_workgroup_processor_mode 1
		.amdhsa_memory_ordered 1
		.amdhsa_forward_progress 1
		.amdhsa_inst_pref_size 0
		.amdhsa_round_robin_scheduling 0
		.amdhsa_exception_fp_ieee_invalid_op 0
		.amdhsa_exception_fp_denorm_src 0
		.amdhsa_exception_fp_ieee_div_zero 0
		.amdhsa_exception_fp_ieee_overflow 0
		.amdhsa_exception_fp_ieee_underflow 0
		.amdhsa_exception_fp_ieee_inexact 0
		.amdhsa_exception_int_div_zero 0
	.end_amdhsa_kernel
	.section	.text._ZN7rocprim17ROCPRIM_400000_NS6detail17trampoline_kernelINS0_13select_configILj256ELj13ELNS0_17block_load_methodE3ELS4_3ELS4_3ELNS0_20block_scan_algorithmE0ELj4294967295EEENS1_25partition_config_selectorILNS1_17partition_subalgoE3EjNS0_10empty_typeEbEEZZNS1_14partition_implILS8_3ELb0ES6_jNS0_17counting_iteratorIjlEEPS9_SE_NS0_5tupleIJPjSE_EEENSF_IJSE_SE_EEES9_SG_JZNS1_25segmented_radix_sort_implINS0_14default_configELb0EPKbPbPKlPlN2at6native12_GLOBAL__N_18offset_tEEE10hipError_tPvRmT1_PNSt15iterator_traitsISY_E10value_typeET2_T3_PNSZ_IS14_E10value_typeET4_jRbjT5_S1A_jjP12ihipStream_tbEUljE_EEESV_SW_SX_S14_S18_S1A_T6_T7_T9_mT8_S1C_bDpT10_ENKUlT_T0_E_clISt17integral_constantIbLb0EES1O_IbLb1EEEEDaS1K_S1L_EUlS1K_E_NS1_11comp_targetILNS1_3genE3ELNS1_11target_archE908ELNS1_3gpuE7ELNS1_3repE0EEENS1_30default_config_static_selectorELNS0_4arch9wavefront6targetE0EEEvSY_,"axG",@progbits,_ZN7rocprim17ROCPRIM_400000_NS6detail17trampoline_kernelINS0_13select_configILj256ELj13ELNS0_17block_load_methodE3ELS4_3ELS4_3ELNS0_20block_scan_algorithmE0ELj4294967295EEENS1_25partition_config_selectorILNS1_17partition_subalgoE3EjNS0_10empty_typeEbEEZZNS1_14partition_implILS8_3ELb0ES6_jNS0_17counting_iteratorIjlEEPS9_SE_NS0_5tupleIJPjSE_EEENSF_IJSE_SE_EEES9_SG_JZNS1_25segmented_radix_sort_implINS0_14default_configELb0EPKbPbPKlPlN2at6native12_GLOBAL__N_18offset_tEEE10hipError_tPvRmT1_PNSt15iterator_traitsISY_E10value_typeET2_T3_PNSZ_IS14_E10value_typeET4_jRbjT5_S1A_jjP12ihipStream_tbEUljE_EEESV_SW_SX_S14_S18_S1A_T6_T7_T9_mT8_S1C_bDpT10_ENKUlT_T0_E_clISt17integral_constantIbLb0EES1O_IbLb1EEEEDaS1K_S1L_EUlS1K_E_NS1_11comp_targetILNS1_3genE3ELNS1_11target_archE908ELNS1_3gpuE7ELNS1_3repE0EEENS1_30default_config_static_selectorELNS0_4arch9wavefront6targetE0EEEvSY_,comdat
.Lfunc_end1630:
	.size	_ZN7rocprim17ROCPRIM_400000_NS6detail17trampoline_kernelINS0_13select_configILj256ELj13ELNS0_17block_load_methodE3ELS4_3ELS4_3ELNS0_20block_scan_algorithmE0ELj4294967295EEENS1_25partition_config_selectorILNS1_17partition_subalgoE3EjNS0_10empty_typeEbEEZZNS1_14partition_implILS8_3ELb0ES6_jNS0_17counting_iteratorIjlEEPS9_SE_NS0_5tupleIJPjSE_EEENSF_IJSE_SE_EEES9_SG_JZNS1_25segmented_radix_sort_implINS0_14default_configELb0EPKbPbPKlPlN2at6native12_GLOBAL__N_18offset_tEEE10hipError_tPvRmT1_PNSt15iterator_traitsISY_E10value_typeET2_T3_PNSZ_IS14_E10value_typeET4_jRbjT5_S1A_jjP12ihipStream_tbEUljE_EEESV_SW_SX_S14_S18_S1A_T6_T7_T9_mT8_S1C_bDpT10_ENKUlT_T0_E_clISt17integral_constantIbLb0EES1O_IbLb1EEEEDaS1K_S1L_EUlS1K_E_NS1_11comp_targetILNS1_3genE3ELNS1_11target_archE908ELNS1_3gpuE7ELNS1_3repE0EEENS1_30default_config_static_selectorELNS0_4arch9wavefront6targetE0EEEvSY_, .Lfunc_end1630-_ZN7rocprim17ROCPRIM_400000_NS6detail17trampoline_kernelINS0_13select_configILj256ELj13ELNS0_17block_load_methodE3ELS4_3ELS4_3ELNS0_20block_scan_algorithmE0ELj4294967295EEENS1_25partition_config_selectorILNS1_17partition_subalgoE3EjNS0_10empty_typeEbEEZZNS1_14partition_implILS8_3ELb0ES6_jNS0_17counting_iteratorIjlEEPS9_SE_NS0_5tupleIJPjSE_EEENSF_IJSE_SE_EEES9_SG_JZNS1_25segmented_radix_sort_implINS0_14default_configELb0EPKbPbPKlPlN2at6native12_GLOBAL__N_18offset_tEEE10hipError_tPvRmT1_PNSt15iterator_traitsISY_E10value_typeET2_T3_PNSZ_IS14_E10value_typeET4_jRbjT5_S1A_jjP12ihipStream_tbEUljE_EEESV_SW_SX_S14_S18_S1A_T6_T7_T9_mT8_S1C_bDpT10_ENKUlT_T0_E_clISt17integral_constantIbLb0EES1O_IbLb1EEEEDaS1K_S1L_EUlS1K_E_NS1_11comp_targetILNS1_3genE3ELNS1_11target_archE908ELNS1_3gpuE7ELNS1_3repE0EEENS1_30default_config_static_selectorELNS0_4arch9wavefront6targetE0EEEvSY_
                                        ; -- End function
	.set _ZN7rocprim17ROCPRIM_400000_NS6detail17trampoline_kernelINS0_13select_configILj256ELj13ELNS0_17block_load_methodE3ELS4_3ELS4_3ELNS0_20block_scan_algorithmE0ELj4294967295EEENS1_25partition_config_selectorILNS1_17partition_subalgoE3EjNS0_10empty_typeEbEEZZNS1_14partition_implILS8_3ELb0ES6_jNS0_17counting_iteratorIjlEEPS9_SE_NS0_5tupleIJPjSE_EEENSF_IJSE_SE_EEES9_SG_JZNS1_25segmented_radix_sort_implINS0_14default_configELb0EPKbPbPKlPlN2at6native12_GLOBAL__N_18offset_tEEE10hipError_tPvRmT1_PNSt15iterator_traitsISY_E10value_typeET2_T3_PNSZ_IS14_E10value_typeET4_jRbjT5_S1A_jjP12ihipStream_tbEUljE_EEESV_SW_SX_S14_S18_S1A_T6_T7_T9_mT8_S1C_bDpT10_ENKUlT_T0_E_clISt17integral_constantIbLb0EES1O_IbLb1EEEEDaS1K_S1L_EUlS1K_E_NS1_11comp_targetILNS1_3genE3ELNS1_11target_archE908ELNS1_3gpuE7ELNS1_3repE0EEENS1_30default_config_static_selectorELNS0_4arch9wavefront6targetE0EEEvSY_.num_vgpr, 0
	.set _ZN7rocprim17ROCPRIM_400000_NS6detail17trampoline_kernelINS0_13select_configILj256ELj13ELNS0_17block_load_methodE3ELS4_3ELS4_3ELNS0_20block_scan_algorithmE0ELj4294967295EEENS1_25partition_config_selectorILNS1_17partition_subalgoE3EjNS0_10empty_typeEbEEZZNS1_14partition_implILS8_3ELb0ES6_jNS0_17counting_iteratorIjlEEPS9_SE_NS0_5tupleIJPjSE_EEENSF_IJSE_SE_EEES9_SG_JZNS1_25segmented_radix_sort_implINS0_14default_configELb0EPKbPbPKlPlN2at6native12_GLOBAL__N_18offset_tEEE10hipError_tPvRmT1_PNSt15iterator_traitsISY_E10value_typeET2_T3_PNSZ_IS14_E10value_typeET4_jRbjT5_S1A_jjP12ihipStream_tbEUljE_EEESV_SW_SX_S14_S18_S1A_T6_T7_T9_mT8_S1C_bDpT10_ENKUlT_T0_E_clISt17integral_constantIbLb0EES1O_IbLb1EEEEDaS1K_S1L_EUlS1K_E_NS1_11comp_targetILNS1_3genE3ELNS1_11target_archE908ELNS1_3gpuE7ELNS1_3repE0EEENS1_30default_config_static_selectorELNS0_4arch9wavefront6targetE0EEEvSY_.num_agpr, 0
	.set _ZN7rocprim17ROCPRIM_400000_NS6detail17trampoline_kernelINS0_13select_configILj256ELj13ELNS0_17block_load_methodE3ELS4_3ELS4_3ELNS0_20block_scan_algorithmE0ELj4294967295EEENS1_25partition_config_selectorILNS1_17partition_subalgoE3EjNS0_10empty_typeEbEEZZNS1_14partition_implILS8_3ELb0ES6_jNS0_17counting_iteratorIjlEEPS9_SE_NS0_5tupleIJPjSE_EEENSF_IJSE_SE_EEES9_SG_JZNS1_25segmented_radix_sort_implINS0_14default_configELb0EPKbPbPKlPlN2at6native12_GLOBAL__N_18offset_tEEE10hipError_tPvRmT1_PNSt15iterator_traitsISY_E10value_typeET2_T3_PNSZ_IS14_E10value_typeET4_jRbjT5_S1A_jjP12ihipStream_tbEUljE_EEESV_SW_SX_S14_S18_S1A_T6_T7_T9_mT8_S1C_bDpT10_ENKUlT_T0_E_clISt17integral_constantIbLb0EES1O_IbLb1EEEEDaS1K_S1L_EUlS1K_E_NS1_11comp_targetILNS1_3genE3ELNS1_11target_archE908ELNS1_3gpuE7ELNS1_3repE0EEENS1_30default_config_static_selectorELNS0_4arch9wavefront6targetE0EEEvSY_.numbered_sgpr, 0
	.set _ZN7rocprim17ROCPRIM_400000_NS6detail17trampoline_kernelINS0_13select_configILj256ELj13ELNS0_17block_load_methodE3ELS4_3ELS4_3ELNS0_20block_scan_algorithmE0ELj4294967295EEENS1_25partition_config_selectorILNS1_17partition_subalgoE3EjNS0_10empty_typeEbEEZZNS1_14partition_implILS8_3ELb0ES6_jNS0_17counting_iteratorIjlEEPS9_SE_NS0_5tupleIJPjSE_EEENSF_IJSE_SE_EEES9_SG_JZNS1_25segmented_radix_sort_implINS0_14default_configELb0EPKbPbPKlPlN2at6native12_GLOBAL__N_18offset_tEEE10hipError_tPvRmT1_PNSt15iterator_traitsISY_E10value_typeET2_T3_PNSZ_IS14_E10value_typeET4_jRbjT5_S1A_jjP12ihipStream_tbEUljE_EEESV_SW_SX_S14_S18_S1A_T6_T7_T9_mT8_S1C_bDpT10_ENKUlT_T0_E_clISt17integral_constantIbLb0EES1O_IbLb1EEEEDaS1K_S1L_EUlS1K_E_NS1_11comp_targetILNS1_3genE3ELNS1_11target_archE908ELNS1_3gpuE7ELNS1_3repE0EEENS1_30default_config_static_selectorELNS0_4arch9wavefront6targetE0EEEvSY_.num_named_barrier, 0
	.set _ZN7rocprim17ROCPRIM_400000_NS6detail17trampoline_kernelINS0_13select_configILj256ELj13ELNS0_17block_load_methodE3ELS4_3ELS4_3ELNS0_20block_scan_algorithmE0ELj4294967295EEENS1_25partition_config_selectorILNS1_17partition_subalgoE3EjNS0_10empty_typeEbEEZZNS1_14partition_implILS8_3ELb0ES6_jNS0_17counting_iteratorIjlEEPS9_SE_NS0_5tupleIJPjSE_EEENSF_IJSE_SE_EEES9_SG_JZNS1_25segmented_radix_sort_implINS0_14default_configELb0EPKbPbPKlPlN2at6native12_GLOBAL__N_18offset_tEEE10hipError_tPvRmT1_PNSt15iterator_traitsISY_E10value_typeET2_T3_PNSZ_IS14_E10value_typeET4_jRbjT5_S1A_jjP12ihipStream_tbEUljE_EEESV_SW_SX_S14_S18_S1A_T6_T7_T9_mT8_S1C_bDpT10_ENKUlT_T0_E_clISt17integral_constantIbLb0EES1O_IbLb1EEEEDaS1K_S1L_EUlS1K_E_NS1_11comp_targetILNS1_3genE3ELNS1_11target_archE908ELNS1_3gpuE7ELNS1_3repE0EEENS1_30default_config_static_selectorELNS0_4arch9wavefront6targetE0EEEvSY_.private_seg_size, 0
	.set _ZN7rocprim17ROCPRIM_400000_NS6detail17trampoline_kernelINS0_13select_configILj256ELj13ELNS0_17block_load_methodE3ELS4_3ELS4_3ELNS0_20block_scan_algorithmE0ELj4294967295EEENS1_25partition_config_selectorILNS1_17partition_subalgoE3EjNS0_10empty_typeEbEEZZNS1_14partition_implILS8_3ELb0ES6_jNS0_17counting_iteratorIjlEEPS9_SE_NS0_5tupleIJPjSE_EEENSF_IJSE_SE_EEES9_SG_JZNS1_25segmented_radix_sort_implINS0_14default_configELb0EPKbPbPKlPlN2at6native12_GLOBAL__N_18offset_tEEE10hipError_tPvRmT1_PNSt15iterator_traitsISY_E10value_typeET2_T3_PNSZ_IS14_E10value_typeET4_jRbjT5_S1A_jjP12ihipStream_tbEUljE_EEESV_SW_SX_S14_S18_S1A_T6_T7_T9_mT8_S1C_bDpT10_ENKUlT_T0_E_clISt17integral_constantIbLb0EES1O_IbLb1EEEEDaS1K_S1L_EUlS1K_E_NS1_11comp_targetILNS1_3genE3ELNS1_11target_archE908ELNS1_3gpuE7ELNS1_3repE0EEENS1_30default_config_static_selectorELNS0_4arch9wavefront6targetE0EEEvSY_.uses_vcc, 0
	.set _ZN7rocprim17ROCPRIM_400000_NS6detail17trampoline_kernelINS0_13select_configILj256ELj13ELNS0_17block_load_methodE3ELS4_3ELS4_3ELNS0_20block_scan_algorithmE0ELj4294967295EEENS1_25partition_config_selectorILNS1_17partition_subalgoE3EjNS0_10empty_typeEbEEZZNS1_14partition_implILS8_3ELb0ES6_jNS0_17counting_iteratorIjlEEPS9_SE_NS0_5tupleIJPjSE_EEENSF_IJSE_SE_EEES9_SG_JZNS1_25segmented_radix_sort_implINS0_14default_configELb0EPKbPbPKlPlN2at6native12_GLOBAL__N_18offset_tEEE10hipError_tPvRmT1_PNSt15iterator_traitsISY_E10value_typeET2_T3_PNSZ_IS14_E10value_typeET4_jRbjT5_S1A_jjP12ihipStream_tbEUljE_EEESV_SW_SX_S14_S18_S1A_T6_T7_T9_mT8_S1C_bDpT10_ENKUlT_T0_E_clISt17integral_constantIbLb0EES1O_IbLb1EEEEDaS1K_S1L_EUlS1K_E_NS1_11comp_targetILNS1_3genE3ELNS1_11target_archE908ELNS1_3gpuE7ELNS1_3repE0EEENS1_30default_config_static_selectorELNS0_4arch9wavefront6targetE0EEEvSY_.uses_flat_scratch, 0
	.set _ZN7rocprim17ROCPRIM_400000_NS6detail17trampoline_kernelINS0_13select_configILj256ELj13ELNS0_17block_load_methodE3ELS4_3ELS4_3ELNS0_20block_scan_algorithmE0ELj4294967295EEENS1_25partition_config_selectorILNS1_17partition_subalgoE3EjNS0_10empty_typeEbEEZZNS1_14partition_implILS8_3ELb0ES6_jNS0_17counting_iteratorIjlEEPS9_SE_NS0_5tupleIJPjSE_EEENSF_IJSE_SE_EEES9_SG_JZNS1_25segmented_radix_sort_implINS0_14default_configELb0EPKbPbPKlPlN2at6native12_GLOBAL__N_18offset_tEEE10hipError_tPvRmT1_PNSt15iterator_traitsISY_E10value_typeET2_T3_PNSZ_IS14_E10value_typeET4_jRbjT5_S1A_jjP12ihipStream_tbEUljE_EEESV_SW_SX_S14_S18_S1A_T6_T7_T9_mT8_S1C_bDpT10_ENKUlT_T0_E_clISt17integral_constantIbLb0EES1O_IbLb1EEEEDaS1K_S1L_EUlS1K_E_NS1_11comp_targetILNS1_3genE3ELNS1_11target_archE908ELNS1_3gpuE7ELNS1_3repE0EEENS1_30default_config_static_selectorELNS0_4arch9wavefront6targetE0EEEvSY_.has_dyn_sized_stack, 0
	.set _ZN7rocprim17ROCPRIM_400000_NS6detail17trampoline_kernelINS0_13select_configILj256ELj13ELNS0_17block_load_methodE3ELS4_3ELS4_3ELNS0_20block_scan_algorithmE0ELj4294967295EEENS1_25partition_config_selectorILNS1_17partition_subalgoE3EjNS0_10empty_typeEbEEZZNS1_14partition_implILS8_3ELb0ES6_jNS0_17counting_iteratorIjlEEPS9_SE_NS0_5tupleIJPjSE_EEENSF_IJSE_SE_EEES9_SG_JZNS1_25segmented_radix_sort_implINS0_14default_configELb0EPKbPbPKlPlN2at6native12_GLOBAL__N_18offset_tEEE10hipError_tPvRmT1_PNSt15iterator_traitsISY_E10value_typeET2_T3_PNSZ_IS14_E10value_typeET4_jRbjT5_S1A_jjP12ihipStream_tbEUljE_EEESV_SW_SX_S14_S18_S1A_T6_T7_T9_mT8_S1C_bDpT10_ENKUlT_T0_E_clISt17integral_constantIbLb0EES1O_IbLb1EEEEDaS1K_S1L_EUlS1K_E_NS1_11comp_targetILNS1_3genE3ELNS1_11target_archE908ELNS1_3gpuE7ELNS1_3repE0EEENS1_30default_config_static_selectorELNS0_4arch9wavefront6targetE0EEEvSY_.has_recursion, 0
	.set _ZN7rocprim17ROCPRIM_400000_NS6detail17trampoline_kernelINS0_13select_configILj256ELj13ELNS0_17block_load_methodE3ELS4_3ELS4_3ELNS0_20block_scan_algorithmE0ELj4294967295EEENS1_25partition_config_selectorILNS1_17partition_subalgoE3EjNS0_10empty_typeEbEEZZNS1_14partition_implILS8_3ELb0ES6_jNS0_17counting_iteratorIjlEEPS9_SE_NS0_5tupleIJPjSE_EEENSF_IJSE_SE_EEES9_SG_JZNS1_25segmented_radix_sort_implINS0_14default_configELb0EPKbPbPKlPlN2at6native12_GLOBAL__N_18offset_tEEE10hipError_tPvRmT1_PNSt15iterator_traitsISY_E10value_typeET2_T3_PNSZ_IS14_E10value_typeET4_jRbjT5_S1A_jjP12ihipStream_tbEUljE_EEESV_SW_SX_S14_S18_S1A_T6_T7_T9_mT8_S1C_bDpT10_ENKUlT_T0_E_clISt17integral_constantIbLb0EES1O_IbLb1EEEEDaS1K_S1L_EUlS1K_E_NS1_11comp_targetILNS1_3genE3ELNS1_11target_archE908ELNS1_3gpuE7ELNS1_3repE0EEENS1_30default_config_static_selectorELNS0_4arch9wavefront6targetE0EEEvSY_.has_indirect_call, 0
	.section	.AMDGPU.csdata,"",@progbits
; Kernel info:
; codeLenInByte = 0
; TotalNumSgprs: 0
; NumVgprs: 0
; ScratchSize: 0
; MemoryBound: 0
; FloatMode: 240
; IeeeMode: 1
; LDSByteSize: 0 bytes/workgroup (compile time only)
; SGPRBlocks: 0
; VGPRBlocks: 0
; NumSGPRsForWavesPerEU: 1
; NumVGPRsForWavesPerEU: 1
; Occupancy: 16
; WaveLimiterHint : 0
; COMPUTE_PGM_RSRC2:SCRATCH_EN: 0
; COMPUTE_PGM_RSRC2:USER_SGPR: 2
; COMPUTE_PGM_RSRC2:TRAP_HANDLER: 0
; COMPUTE_PGM_RSRC2:TGID_X_EN: 1
; COMPUTE_PGM_RSRC2:TGID_Y_EN: 0
; COMPUTE_PGM_RSRC2:TGID_Z_EN: 0
; COMPUTE_PGM_RSRC2:TIDIG_COMP_CNT: 0
	.section	.text._ZN7rocprim17ROCPRIM_400000_NS6detail17trampoline_kernelINS0_13select_configILj256ELj13ELNS0_17block_load_methodE3ELS4_3ELS4_3ELNS0_20block_scan_algorithmE0ELj4294967295EEENS1_25partition_config_selectorILNS1_17partition_subalgoE3EjNS0_10empty_typeEbEEZZNS1_14partition_implILS8_3ELb0ES6_jNS0_17counting_iteratorIjlEEPS9_SE_NS0_5tupleIJPjSE_EEENSF_IJSE_SE_EEES9_SG_JZNS1_25segmented_radix_sort_implINS0_14default_configELb0EPKbPbPKlPlN2at6native12_GLOBAL__N_18offset_tEEE10hipError_tPvRmT1_PNSt15iterator_traitsISY_E10value_typeET2_T3_PNSZ_IS14_E10value_typeET4_jRbjT5_S1A_jjP12ihipStream_tbEUljE_EEESV_SW_SX_S14_S18_S1A_T6_T7_T9_mT8_S1C_bDpT10_ENKUlT_T0_E_clISt17integral_constantIbLb0EES1O_IbLb1EEEEDaS1K_S1L_EUlS1K_E_NS1_11comp_targetILNS1_3genE2ELNS1_11target_archE906ELNS1_3gpuE6ELNS1_3repE0EEENS1_30default_config_static_selectorELNS0_4arch9wavefront6targetE0EEEvSY_,"axG",@progbits,_ZN7rocprim17ROCPRIM_400000_NS6detail17trampoline_kernelINS0_13select_configILj256ELj13ELNS0_17block_load_methodE3ELS4_3ELS4_3ELNS0_20block_scan_algorithmE0ELj4294967295EEENS1_25partition_config_selectorILNS1_17partition_subalgoE3EjNS0_10empty_typeEbEEZZNS1_14partition_implILS8_3ELb0ES6_jNS0_17counting_iteratorIjlEEPS9_SE_NS0_5tupleIJPjSE_EEENSF_IJSE_SE_EEES9_SG_JZNS1_25segmented_radix_sort_implINS0_14default_configELb0EPKbPbPKlPlN2at6native12_GLOBAL__N_18offset_tEEE10hipError_tPvRmT1_PNSt15iterator_traitsISY_E10value_typeET2_T3_PNSZ_IS14_E10value_typeET4_jRbjT5_S1A_jjP12ihipStream_tbEUljE_EEESV_SW_SX_S14_S18_S1A_T6_T7_T9_mT8_S1C_bDpT10_ENKUlT_T0_E_clISt17integral_constantIbLb0EES1O_IbLb1EEEEDaS1K_S1L_EUlS1K_E_NS1_11comp_targetILNS1_3genE2ELNS1_11target_archE906ELNS1_3gpuE6ELNS1_3repE0EEENS1_30default_config_static_selectorELNS0_4arch9wavefront6targetE0EEEvSY_,comdat
	.globl	_ZN7rocprim17ROCPRIM_400000_NS6detail17trampoline_kernelINS0_13select_configILj256ELj13ELNS0_17block_load_methodE3ELS4_3ELS4_3ELNS0_20block_scan_algorithmE0ELj4294967295EEENS1_25partition_config_selectorILNS1_17partition_subalgoE3EjNS0_10empty_typeEbEEZZNS1_14partition_implILS8_3ELb0ES6_jNS0_17counting_iteratorIjlEEPS9_SE_NS0_5tupleIJPjSE_EEENSF_IJSE_SE_EEES9_SG_JZNS1_25segmented_radix_sort_implINS0_14default_configELb0EPKbPbPKlPlN2at6native12_GLOBAL__N_18offset_tEEE10hipError_tPvRmT1_PNSt15iterator_traitsISY_E10value_typeET2_T3_PNSZ_IS14_E10value_typeET4_jRbjT5_S1A_jjP12ihipStream_tbEUljE_EEESV_SW_SX_S14_S18_S1A_T6_T7_T9_mT8_S1C_bDpT10_ENKUlT_T0_E_clISt17integral_constantIbLb0EES1O_IbLb1EEEEDaS1K_S1L_EUlS1K_E_NS1_11comp_targetILNS1_3genE2ELNS1_11target_archE906ELNS1_3gpuE6ELNS1_3repE0EEENS1_30default_config_static_selectorELNS0_4arch9wavefront6targetE0EEEvSY_ ; -- Begin function _ZN7rocprim17ROCPRIM_400000_NS6detail17trampoline_kernelINS0_13select_configILj256ELj13ELNS0_17block_load_methodE3ELS4_3ELS4_3ELNS0_20block_scan_algorithmE0ELj4294967295EEENS1_25partition_config_selectorILNS1_17partition_subalgoE3EjNS0_10empty_typeEbEEZZNS1_14partition_implILS8_3ELb0ES6_jNS0_17counting_iteratorIjlEEPS9_SE_NS0_5tupleIJPjSE_EEENSF_IJSE_SE_EEES9_SG_JZNS1_25segmented_radix_sort_implINS0_14default_configELb0EPKbPbPKlPlN2at6native12_GLOBAL__N_18offset_tEEE10hipError_tPvRmT1_PNSt15iterator_traitsISY_E10value_typeET2_T3_PNSZ_IS14_E10value_typeET4_jRbjT5_S1A_jjP12ihipStream_tbEUljE_EEESV_SW_SX_S14_S18_S1A_T6_T7_T9_mT8_S1C_bDpT10_ENKUlT_T0_E_clISt17integral_constantIbLb0EES1O_IbLb1EEEEDaS1K_S1L_EUlS1K_E_NS1_11comp_targetILNS1_3genE2ELNS1_11target_archE906ELNS1_3gpuE6ELNS1_3repE0EEENS1_30default_config_static_selectorELNS0_4arch9wavefront6targetE0EEEvSY_
	.p2align	8
	.type	_ZN7rocprim17ROCPRIM_400000_NS6detail17trampoline_kernelINS0_13select_configILj256ELj13ELNS0_17block_load_methodE3ELS4_3ELS4_3ELNS0_20block_scan_algorithmE0ELj4294967295EEENS1_25partition_config_selectorILNS1_17partition_subalgoE3EjNS0_10empty_typeEbEEZZNS1_14partition_implILS8_3ELb0ES6_jNS0_17counting_iteratorIjlEEPS9_SE_NS0_5tupleIJPjSE_EEENSF_IJSE_SE_EEES9_SG_JZNS1_25segmented_radix_sort_implINS0_14default_configELb0EPKbPbPKlPlN2at6native12_GLOBAL__N_18offset_tEEE10hipError_tPvRmT1_PNSt15iterator_traitsISY_E10value_typeET2_T3_PNSZ_IS14_E10value_typeET4_jRbjT5_S1A_jjP12ihipStream_tbEUljE_EEESV_SW_SX_S14_S18_S1A_T6_T7_T9_mT8_S1C_bDpT10_ENKUlT_T0_E_clISt17integral_constantIbLb0EES1O_IbLb1EEEEDaS1K_S1L_EUlS1K_E_NS1_11comp_targetILNS1_3genE2ELNS1_11target_archE906ELNS1_3gpuE6ELNS1_3repE0EEENS1_30default_config_static_selectorELNS0_4arch9wavefront6targetE0EEEvSY_,@function
_ZN7rocprim17ROCPRIM_400000_NS6detail17trampoline_kernelINS0_13select_configILj256ELj13ELNS0_17block_load_methodE3ELS4_3ELS4_3ELNS0_20block_scan_algorithmE0ELj4294967295EEENS1_25partition_config_selectorILNS1_17partition_subalgoE3EjNS0_10empty_typeEbEEZZNS1_14partition_implILS8_3ELb0ES6_jNS0_17counting_iteratorIjlEEPS9_SE_NS0_5tupleIJPjSE_EEENSF_IJSE_SE_EEES9_SG_JZNS1_25segmented_radix_sort_implINS0_14default_configELb0EPKbPbPKlPlN2at6native12_GLOBAL__N_18offset_tEEE10hipError_tPvRmT1_PNSt15iterator_traitsISY_E10value_typeET2_T3_PNSZ_IS14_E10value_typeET4_jRbjT5_S1A_jjP12ihipStream_tbEUljE_EEESV_SW_SX_S14_S18_S1A_T6_T7_T9_mT8_S1C_bDpT10_ENKUlT_T0_E_clISt17integral_constantIbLb0EES1O_IbLb1EEEEDaS1K_S1L_EUlS1K_E_NS1_11comp_targetILNS1_3genE2ELNS1_11target_archE906ELNS1_3gpuE6ELNS1_3repE0EEENS1_30default_config_static_selectorELNS0_4arch9wavefront6targetE0EEEvSY_: ; @_ZN7rocprim17ROCPRIM_400000_NS6detail17trampoline_kernelINS0_13select_configILj256ELj13ELNS0_17block_load_methodE3ELS4_3ELS4_3ELNS0_20block_scan_algorithmE0ELj4294967295EEENS1_25partition_config_selectorILNS1_17partition_subalgoE3EjNS0_10empty_typeEbEEZZNS1_14partition_implILS8_3ELb0ES6_jNS0_17counting_iteratorIjlEEPS9_SE_NS0_5tupleIJPjSE_EEENSF_IJSE_SE_EEES9_SG_JZNS1_25segmented_radix_sort_implINS0_14default_configELb0EPKbPbPKlPlN2at6native12_GLOBAL__N_18offset_tEEE10hipError_tPvRmT1_PNSt15iterator_traitsISY_E10value_typeET2_T3_PNSZ_IS14_E10value_typeET4_jRbjT5_S1A_jjP12ihipStream_tbEUljE_EEESV_SW_SX_S14_S18_S1A_T6_T7_T9_mT8_S1C_bDpT10_ENKUlT_T0_E_clISt17integral_constantIbLb0EES1O_IbLb1EEEEDaS1K_S1L_EUlS1K_E_NS1_11comp_targetILNS1_3genE2ELNS1_11target_archE906ELNS1_3gpuE6ELNS1_3repE0EEENS1_30default_config_static_selectorELNS0_4arch9wavefront6targetE0EEEvSY_
; %bb.0:
	.section	.rodata,"a",@progbits
	.p2align	6, 0x0
	.amdhsa_kernel _ZN7rocprim17ROCPRIM_400000_NS6detail17trampoline_kernelINS0_13select_configILj256ELj13ELNS0_17block_load_methodE3ELS4_3ELS4_3ELNS0_20block_scan_algorithmE0ELj4294967295EEENS1_25partition_config_selectorILNS1_17partition_subalgoE3EjNS0_10empty_typeEbEEZZNS1_14partition_implILS8_3ELb0ES6_jNS0_17counting_iteratorIjlEEPS9_SE_NS0_5tupleIJPjSE_EEENSF_IJSE_SE_EEES9_SG_JZNS1_25segmented_radix_sort_implINS0_14default_configELb0EPKbPbPKlPlN2at6native12_GLOBAL__N_18offset_tEEE10hipError_tPvRmT1_PNSt15iterator_traitsISY_E10value_typeET2_T3_PNSZ_IS14_E10value_typeET4_jRbjT5_S1A_jjP12ihipStream_tbEUljE_EEESV_SW_SX_S14_S18_S1A_T6_T7_T9_mT8_S1C_bDpT10_ENKUlT_T0_E_clISt17integral_constantIbLb0EES1O_IbLb1EEEEDaS1K_S1L_EUlS1K_E_NS1_11comp_targetILNS1_3genE2ELNS1_11target_archE906ELNS1_3gpuE6ELNS1_3repE0EEENS1_30default_config_static_selectorELNS0_4arch9wavefront6targetE0EEEvSY_
		.amdhsa_group_segment_fixed_size 0
		.amdhsa_private_segment_fixed_size 0
		.amdhsa_kernarg_size 152
		.amdhsa_user_sgpr_count 2
		.amdhsa_user_sgpr_dispatch_ptr 0
		.amdhsa_user_sgpr_queue_ptr 0
		.amdhsa_user_sgpr_kernarg_segment_ptr 1
		.amdhsa_user_sgpr_dispatch_id 0
		.amdhsa_user_sgpr_private_segment_size 0
		.amdhsa_wavefront_size32 1
		.amdhsa_uses_dynamic_stack 0
		.amdhsa_enable_private_segment 0
		.amdhsa_system_sgpr_workgroup_id_x 1
		.amdhsa_system_sgpr_workgroup_id_y 0
		.amdhsa_system_sgpr_workgroup_id_z 0
		.amdhsa_system_sgpr_workgroup_info 0
		.amdhsa_system_vgpr_workitem_id 0
		.amdhsa_next_free_vgpr 1
		.amdhsa_next_free_sgpr 1
		.amdhsa_reserve_vcc 0
		.amdhsa_float_round_mode_32 0
		.amdhsa_float_round_mode_16_64 0
		.amdhsa_float_denorm_mode_32 3
		.amdhsa_float_denorm_mode_16_64 3
		.amdhsa_fp16_overflow 0
		.amdhsa_workgroup_processor_mode 1
		.amdhsa_memory_ordered 1
		.amdhsa_forward_progress 1
		.amdhsa_inst_pref_size 0
		.amdhsa_round_robin_scheduling 0
		.amdhsa_exception_fp_ieee_invalid_op 0
		.amdhsa_exception_fp_denorm_src 0
		.amdhsa_exception_fp_ieee_div_zero 0
		.amdhsa_exception_fp_ieee_overflow 0
		.amdhsa_exception_fp_ieee_underflow 0
		.amdhsa_exception_fp_ieee_inexact 0
		.amdhsa_exception_int_div_zero 0
	.end_amdhsa_kernel
	.section	.text._ZN7rocprim17ROCPRIM_400000_NS6detail17trampoline_kernelINS0_13select_configILj256ELj13ELNS0_17block_load_methodE3ELS4_3ELS4_3ELNS0_20block_scan_algorithmE0ELj4294967295EEENS1_25partition_config_selectorILNS1_17partition_subalgoE3EjNS0_10empty_typeEbEEZZNS1_14partition_implILS8_3ELb0ES6_jNS0_17counting_iteratorIjlEEPS9_SE_NS0_5tupleIJPjSE_EEENSF_IJSE_SE_EEES9_SG_JZNS1_25segmented_radix_sort_implINS0_14default_configELb0EPKbPbPKlPlN2at6native12_GLOBAL__N_18offset_tEEE10hipError_tPvRmT1_PNSt15iterator_traitsISY_E10value_typeET2_T3_PNSZ_IS14_E10value_typeET4_jRbjT5_S1A_jjP12ihipStream_tbEUljE_EEESV_SW_SX_S14_S18_S1A_T6_T7_T9_mT8_S1C_bDpT10_ENKUlT_T0_E_clISt17integral_constantIbLb0EES1O_IbLb1EEEEDaS1K_S1L_EUlS1K_E_NS1_11comp_targetILNS1_3genE2ELNS1_11target_archE906ELNS1_3gpuE6ELNS1_3repE0EEENS1_30default_config_static_selectorELNS0_4arch9wavefront6targetE0EEEvSY_,"axG",@progbits,_ZN7rocprim17ROCPRIM_400000_NS6detail17trampoline_kernelINS0_13select_configILj256ELj13ELNS0_17block_load_methodE3ELS4_3ELS4_3ELNS0_20block_scan_algorithmE0ELj4294967295EEENS1_25partition_config_selectorILNS1_17partition_subalgoE3EjNS0_10empty_typeEbEEZZNS1_14partition_implILS8_3ELb0ES6_jNS0_17counting_iteratorIjlEEPS9_SE_NS0_5tupleIJPjSE_EEENSF_IJSE_SE_EEES9_SG_JZNS1_25segmented_radix_sort_implINS0_14default_configELb0EPKbPbPKlPlN2at6native12_GLOBAL__N_18offset_tEEE10hipError_tPvRmT1_PNSt15iterator_traitsISY_E10value_typeET2_T3_PNSZ_IS14_E10value_typeET4_jRbjT5_S1A_jjP12ihipStream_tbEUljE_EEESV_SW_SX_S14_S18_S1A_T6_T7_T9_mT8_S1C_bDpT10_ENKUlT_T0_E_clISt17integral_constantIbLb0EES1O_IbLb1EEEEDaS1K_S1L_EUlS1K_E_NS1_11comp_targetILNS1_3genE2ELNS1_11target_archE906ELNS1_3gpuE6ELNS1_3repE0EEENS1_30default_config_static_selectorELNS0_4arch9wavefront6targetE0EEEvSY_,comdat
.Lfunc_end1631:
	.size	_ZN7rocprim17ROCPRIM_400000_NS6detail17trampoline_kernelINS0_13select_configILj256ELj13ELNS0_17block_load_methodE3ELS4_3ELS4_3ELNS0_20block_scan_algorithmE0ELj4294967295EEENS1_25partition_config_selectorILNS1_17partition_subalgoE3EjNS0_10empty_typeEbEEZZNS1_14partition_implILS8_3ELb0ES6_jNS0_17counting_iteratorIjlEEPS9_SE_NS0_5tupleIJPjSE_EEENSF_IJSE_SE_EEES9_SG_JZNS1_25segmented_radix_sort_implINS0_14default_configELb0EPKbPbPKlPlN2at6native12_GLOBAL__N_18offset_tEEE10hipError_tPvRmT1_PNSt15iterator_traitsISY_E10value_typeET2_T3_PNSZ_IS14_E10value_typeET4_jRbjT5_S1A_jjP12ihipStream_tbEUljE_EEESV_SW_SX_S14_S18_S1A_T6_T7_T9_mT8_S1C_bDpT10_ENKUlT_T0_E_clISt17integral_constantIbLb0EES1O_IbLb1EEEEDaS1K_S1L_EUlS1K_E_NS1_11comp_targetILNS1_3genE2ELNS1_11target_archE906ELNS1_3gpuE6ELNS1_3repE0EEENS1_30default_config_static_selectorELNS0_4arch9wavefront6targetE0EEEvSY_, .Lfunc_end1631-_ZN7rocprim17ROCPRIM_400000_NS6detail17trampoline_kernelINS0_13select_configILj256ELj13ELNS0_17block_load_methodE3ELS4_3ELS4_3ELNS0_20block_scan_algorithmE0ELj4294967295EEENS1_25partition_config_selectorILNS1_17partition_subalgoE3EjNS0_10empty_typeEbEEZZNS1_14partition_implILS8_3ELb0ES6_jNS0_17counting_iteratorIjlEEPS9_SE_NS0_5tupleIJPjSE_EEENSF_IJSE_SE_EEES9_SG_JZNS1_25segmented_radix_sort_implINS0_14default_configELb0EPKbPbPKlPlN2at6native12_GLOBAL__N_18offset_tEEE10hipError_tPvRmT1_PNSt15iterator_traitsISY_E10value_typeET2_T3_PNSZ_IS14_E10value_typeET4_jRbjT5_S1A_jjP12ihipStream_tbEUljE_EEESV_SW_SX_S14_S18_S1A_T6_T7_T9_mT8_S1C_bDpT10_ENKUlT_T0_E_clISt17integral_constantIbLb0EES1O_IbLb1EEEEDaS1K_S1L_EUlS1K_E_NS1_11comp_targetILNS1_3genE2ELNS1_11target_archE906ELNS1_3gpuE6ELNS1_3repE0EEENS1_30default_config_static_selectorELNS0_4arch9wavefront6targetE0EEEvSY_
                                        ; -- End function
	.set _ZN7rocprim17ROCPRIM_400000_NS6detail17trampoline_kernelINS0_13select_configILj256ELj13ELNS0_17block_load_methodE3ELS4_3ELS4_3ELNS0_20block_scan_algorithmE0ELj4294967295EEENS1_25partition_config_selectorILNS1_17partition_subalgoE3EjNS0_10empty_typeEbEEZZNS1_14partition_implILS8_3ELb0ES6_jNS0_17counting_iteratorIjlEEPS9_SE_NS0_5tupleIJPjSE_EEENSF_IJSE_SE_EEES9_SG_JZNS1_25segmented_radix_sort_implINS0_14default_configELb0EPKbPbPKlPlN2at6native12_GLOBAL__N_18offset_tEEE10hipError_tPvRmT1_PNSt15iterator_traitsISY_E10value_typeET2_T3_PNSZ_IS14_E10value_typeET4_jRbjT5_S1A_jjP12ihipStream_tbEUljE_EEESV_SW_SX_S14_S18_S1A_T6_T7_T9_mT8_S1C_bDpT10_ENKUlT_T0_E_clISt17integral_constantIbLb0EES1O_IbLb1EEEEDaS1K_S1L_EUlS1K_E_NS1_11comp_targetILNS1_3genE2ELNS1_11target_archE906ELNS1_3gpuE6ELNS1_3repE0EEENS1_30default_config_static_selectorELNS0_4arch9wavefront6targetE0EEEvSY_.num_vgpr, 0
	.set _ZN7rocprim17ROCPRIM_400000_NS6detail17trampoline_kernelINS0_13select_configILj256ELj13ELNS0_17block_load_methodE3ELS4_3ELS4_3ELNS0_20block_scan_algorithmE0ELj4294967295EEENS1_25partition_config_selectorILNS1_17partition_subalgoE3EjNS0_10empty_typeEbEEZZNS1_14partition_implILS8_3ELb0ES6_jNS0_17counting_iteratorIjlEEPS9_SE_NS0_5tupleIJPjSE_EEENSF_IJSE_SE_EEES9_SG_JZNS1_25segmented_radix_sort_implINS0_14default_configELb0EPKbPbPKlPlN2at6native12_GLOBAL__N_18offset_tEEE10hipError_tPvRmT1_PNSt15iterator_traitsISY_E10value_typeET2_T3_PNSZ_IS14_E10value_typeET4_jRbjT5_S1A_jjP12ihipStream_tbEUljE_EEESV_SW_SX_S14_S18_S1A_T6_T7_T9_mT8_S1C_bDpT10_ENKUlT_T0_E_clISt17integral_constantIbLb0EES1O_IbLb1EEEEDaS1K_S1L_EUlS1K_E_NS1_11comp_targetILNS1_3genE2ELNS1_11target_archE906ELNS1_3gpuE6ELNS1_3repE0EEENS1_30default_config_static_selectorELNS0_4arch9wavefront6targetE0EEEvSY_.num_agpr, 0
	.set _ZN7rocprim17ROCPRIM_400000_NS6detail17trampoline_kernelINS0_13select_configILj256ELj13ELNS0_17block_load_methodE3ELS4_3ELS4_3ELNS0_20block_scan_algorithmE0ELj4294967295EEENS1_25partition_config_selectorILNS1_17partition_subalgoE3EjNS0_10empty_typeEbEEZZNS1_14partition_implILS8_3ELb0ES6_jNS0_17counting_iteratorIjlEEPS9_SE_NS0_5tupleIJPjSE_EEENSF_IJSE_SE_EEES9_SG_JZNS1_25segmented_radix_sort_implINS0_14default_configELb0EPKbPbPKlPlN2at6native12_GLOBAL__N_18offset_tEEE10hipError_tPvRmT1_PNSt15iterator_traitsISY_E10value_typeET2_T3_PNSZ_IS14_E10value_typeET4_jRbjT5_S1A_jjP12ihipStream_tbEUljE_EEESV_SW_SX_S14_S18_S1A_T6_T7_T9_mT8_S1C_bDpT10_ENKUlT_T0_E_clISt17integral_constantIbLb0EES1O_IbLb1EEEEDaS1K_S1L_EUlS1K_E_NS1_11comp_targetILNS1_3genE2ELNS1_11target_archE906ELNS1_3gpuE6ELNS1_3repE0EEENS1_30default_config_static_selectorELNS0_4arch9wavefront6targetE0EEEvSY_.numbered_sgpr, 0
	.set _ZN7rocprim17ROCPRIM_400000_NS6detail17trampoline_kernelINS0_13select_configILj256ELj13ELNS0_17block_load_methodE3ELS4_3ELS4_3ELNS0_20block_scan_algorithmE0ELj4294967295EEENS1_25partition_config_selectorILNS1_17partition_subalgoE3EjNS0_10empty_typeEbEEZZNS1_14partition_implILS8_3ELb0ES6_jNS0_17counting_iteratorIjlEEPS9_SE_NS0_5tupleIJPjSE_EEENSF_IJSE_SE_EEES9_SG_JZNS1_25segmented_radix_sort_implINS0_14default_configELb0EPKbPbPKlPlN2at6native12_GLOBAL__N_18offset_tEEE10hipError_tPvRmT1_PNSt15iterator_traitsISY_E10value_typeET2_T3_PNSZ_IS14_E10value_typeET4_jRbjT5_S1A_jjP12ihipStream_tbEUljE_EEESV_SW_SX_S14_S18_S1A_T6_T7_T9_mT8_S1C_bDpT10_ENKUlT_T0_E_clISt17integral_constantIbLb0EES1O_IbLb1EEEEDaS1K_S1L_EUlS1K_E_NS1_11comp_targetILNS1_3genE2ELNS1_11target_archE906ELNS1_3gpuE6ELNS1_3repE0EEENS1_30default_config_static_selectorELNS0_4arch9wavefront6targetE0EEEvSY_.num_named_barrier, 0
	.set _ZN7rocprim17ROCPRIM_400000_NS6detail17trampoline_kernelINS0_13select_configILj256ELj13ELNS0_17block_load_methodE3ELS4_3ELS4_3ELNS0_20block_scan_algorithmE0ELj4294967295EEENS1_25partition_config_selectorILNS1_17partition_subalgoE3EjNS0_10empty_typeEbEEZZNS1_14partition_implILS8_3ELb0ES6_jNS0_17counting_iteratorIjlEEPS9_SE_NS0_5tupleIJPjSE_EEENSF_IJSE_SE_EEES9_SG_JZNS1_25segmented_radix_sort_implINS0_14default_configELb0EPKbPbPKlPlN2at6native12_GLOBAL__N_18offset_tEEE10hipError_tPvRmT1_PNSt15iterator_traitsISY_E10value_typeET2_T3_PNSZ_IS14_E10value_typeET4_jRbjT5_S1A_jjP12ihipStream_tbEUljE_EEESV_SW_SX_S14_S18_S1A_T6_T7_T9_mT8_S1C_bDpT10_ENKUlT_T0_E_clISt17integral_constantIbLb0EES1O_IbLb1EEEEDaS1K_S1L_EUlS1K_E_NS1_11comp_targetILNS1_3genE2ELNS1_11target_archE906ELNS1_3gpuE6ELNS1_3repE0EEENS1_30default_config_static_selectorELNS0_4arch9wavefront6targetE0EEEvSY_.private_seg_size, 0
	.set _ZN7rocprim17ROCPRIM_400000_NS6detail17trampoline_kernelINS0_13select_configILj256ELj13ELNS0_17block_load_methodE3ELS4_3ELS4_3ELNS0_20block_scan_algorithmE0ELj4294967295EEENS1_25partition_config_selectorILNS1_17partition_subalgoE3EjNS0_10empty_typeEbEEZZNS1_14partition_implILS8_3ELb0ES6_jNS0_17counting_iteratorIjlEEPS9_SE_NS0_5tupleIJPjSE_EEENSF_IJSE_SE_EEES9_SG_JZNS1_25segmented_radix_sort_implINS0_14default_configELb0EPKbPbPKlPlN2at6native12_GLOBAL__N_18offset_tEEE10hipError_tPvRmT1_PNSt15iterator_traitsISY_E10value_typeET2_T3_PNSZ_IS14_E10value_typeET4_jRbjT5_S1A_jjP12ihipStream_tbEUljE_EEESV_SW_SX_S14_S18_S1A_T6_T7_T9_mT8_S1C_bDpT10_ENKUlT_T0_E_clISt17integral_constantIbLb0EES1O_IbLb1EEEEDaS1K_S1L_EUlS1K_E_NS1_11comp_targetILNS1_3genE2ELNS1_11target_archE906ELNS1_3gpuE6ELNS1_3repE0EEENS1_30default_config_static_selectorELNS0_4arch9wavefront6targetE0EEEvSY_.uses_vcc, 0
	.set _ZN7rocprim17ROCPRIM_400000_NS6detail17trampoline_kernelINS0_13select_configILj256ELj13ELNS0_17block_load_methodE3ELS4_3ELS4_3ELNS0_20block_scan_algorithmE0ELj4294967295EEENS1_25partition_config_selectorILNS1_17partition_subalgoE3EjNS0_10empty_typeEbEEZZNS1_14partition_implILS8_3ELb0ES6_jNS0_17counting_iteratorIjlEEPS9_SE_NS0_5tupleIJPjSE_EEENSF_IJSE_SE_EEES9_SG_JZNS1_25segmented_radix_sort_implINS0_14default_configELb0EPKbPbPKlPlN2at6native12_GLOBAL__N_18offset_tEEE10hipError_tPvRmT1_PNSt15iterator_traitsISY_E10value_typeET2_T3_PNSZ_IS14_E10value_typeET4_jRbjT5_S1A_jjP12ihipStream_tbEUljE_EEESV_SW_SX_S14_S18_S1A_T6_T7_T9_mT8_S1C_bDpT10_ENKUlT_T0_E_clISt17integral_constantIbLb0EES1O_IbLb1EEEEDaS1K_S1L_EUlS1K_E_NS1_11comp_targetILNS1_3genE2ELNS1_11target_archE906ELNS1_3gpuE6ELNS1_3repE0EEENS1_30default_config_static_selectorELNS0_4arch9wavefront6targetE0EEEvSY_.uses_flat_scratch, 0
	.set _ZN7rocprim17ROCPRIM_400000_NS6detail17trampoline_kernelINS0_13select_configILj256ELj13ELNS0_17block_load_methodE3ELS4_3ELS4_3ELNS0_20block_scan_algorithmE0ELj4294967295EEENS1_25partition_config_selectorILNS1_17partition_subalgoE3EjNS0_10empty_typeEbEEZZNS1_14partition_implILS8_3ELb0ES6_jNS0_17counting_iteratorIjlEEPS9_SE_NS0_5tupleIJPjSE_EEENSF_IJSE_SE_EEES9_SG_JZNS1_25segmented_radix_sort_implINS0_14default_configELb0EPKbPbPKlPlN2at6native12_GLOBAL__N_18offset_tEEE10hipError_tPvRmT1_PNSt15iterator_traitsISY_E10value_typeET2_T3_PNSZ_IS14_E10value_typeET4_jRbjT5_S1A_jjP12ihipStream_tbEUljE_EEESV_SW_SX_S14_S18_S1A_T6_T7_T9_mT8_S1C_bDpT10_ENKUlT_T0_E_clISt17integral_constantIbLb0EES1O_IbLb1EEEEDaS1K_S1L_EUlS1K_E_NS1_11comp_targetILNS1_3genE2ELNS1_11target_archE906ELNS1_3gpuE6ELNS1_3repE0EEENS1_30default_config_static_selectorELNS0_4arch9wavefront6targetE0EEEvSY_.has_dyn_sized_stack, 0
	.set _ZN7rocprim17ROCPRIM_400000_NS6detail17trampoline_kernelINS0_13select_configILj256ELj13ELNS0_17block_load_methodE3ELS4_3ELS4_3ELNS0_20block_scan_algorithmE0ELj4294967295EEENS1_25partition_config_selectorILNS1_17partition_subalgoE3EjNS0_10empty_typeEbEEZZNS1_14partition_implILS8_3ELb0ES6_jNS0_17counting_iteratorIjlEEPS9_SE_NS0_5tupleIJPjSE_EEENSF_IJSE_SE_EEES9_SG_JZNS1_25segmented_radix_sort_implINS0_14default_configELb0EPKbPbPKlPlN2at6native12_GLOBAL__N_18offset_tEEE10hipError_tPvRmT1_PNSt15iterator_traitsISY_E10value_typeET2_T3_PNSZ_IS14_E10value_typeET4_jRbjT5_S1A_jjP12ihipStream_tbEUljE_EEESV_SW_SX_S14_S18_S1A_T6_T7_T9_mT8_S1C_bDpT10_ENKUlT_T0_E_clISt17integral_constantIbLb0EES1O_IbLb1EEEEDaS1K_S1L_EUlS1K_E_NS1_11comp_targetILNS1_3genE2ELNS1_11target_archE906ELNS1_3gpuE6ELNS1_3repE0EEENS1_30default_config_static_selectorELNS0_4arch9wavefront6targetE0EEEvSY_.has_recursion, 0
	.set _ZN7rocprim17ROCPRIM_400000_NS6detail17trampoline_kernelINS0_13select_configILj256ELj13ELNS0_17block_load_methodE3ELS4_3ELS4_3ELNS0_20block_scan_algorithmE0ELj4294967295EEENS1_25partition_config_selectorILNS1_17partition_subalgoE3EjNS0_10empty_typeEbEEZZNS1_14partition_implILS8_3ELb0ES6_jNS0_17counting_iteratorIjlEEPS9_SE_NS0_5tupleIJPjSE_EEENSF_IJSE_SE_EEES9_SG_JZNS1_25segmented_radix_sort_implINS0_14default_configELb0EPKbPbPKlPlN2at6native12_GLOBAL__N_18offset_tEEE10hipError_tPvRmT1_PNSt15iterator_traitsISY_E10value_typeET2_T3_PNSZ_IS14_E10value_typeET4_jRbjT5_S1A_jjP12ihipStream_tbEUljE_EEESV_SW_SX_S14_S18_S1A_T6_T7_T9_mT8_S1C_bDpT10_ENKUlT_T0_E_clISt17integral_constantIbLb0EES1O_IbLb1EEEEDaS1K_S1L_EUlS1K_E_NS1_11comp_targetILNS1_3genE2ELNS1_11target_archE906ELNS1_3gpuE6ELNS1_3repE0EEENS1_30default_config_static_selectorELNS0_4arch9wavefront6targetE0EEEvSY_.has_indirect_call, 0
	.section	.AMDGPU.csdata,"",@progbits
; Kernel info:
; codeLenInByte = 0
; TotalNumSgprs: 0
; NumVgprs: 0
; ScratchSize: 0
; MemoryBound: 0
; FloatMode: 240
; IeeeMode: 1
; LDSByteSize: 0 bytes/workgroup (compile time only)
; SGPRBlocks: 0
; VGPRBlocks: 0
; NumSGPRsForWavesPerEU: 1
; NumVGPRsForWavesPerEU: 1
; Occupancy: 16
; WaveLimiterHint : 0
; COMPUTE_PGM_RSRC2:SCRATCH_EN: 0
; COMPUTE_PGM_RSRC2:USER_SGPR: 2
; COMPUTE_PGM_RSRC2:TRAP_HANDLER: 0
; COMPUTE_PGM_RSRC2:TGID_X_EN: 1
; COMPUTE_PGM_RSRC2:TGID_Y_EN: 0
; COMPUTE_PGM_RSRC2:TGID_Z_EN: 0
; COMPUTE_PGM_RSRC2:TIDIG_COMP_CNT: 0
	.section	.text._ZN7rocprim17ROCPRIM_400000_NS6detail17trampoline_kernelINS0_13select_configILj256ELj13ELNS0_17block_load_methodE3ELS4_3ELS4_3ELNS0_20block_scan_algorithmE0ELj4294967295EEENS1_25partition_config_selectorILNS1_17partition_subalgoE3EjNS0_10empty_typeEbEEZZNS1_14partition_implILS8_3ELb0ES6_jNS0_17counting_iteratorIjlEEPS9_SE_NS0_5tupleIJPjSE_EEENSF_IJSE_SE_EEES9_SG_JZNS1_25segmented_radix_sort_implINS0_14default_configELb0EPKbPbPKlPlN2at6native12_GLOBAL__N_18offset_tEEE10hipError_tPvRmT1_PNSt15iterator_traitsISY_E10value_typeET2_T3_PNSZ_IS14_E10value_typeET4_jRbjT5_S1A_jjP12ihipStream_tbEUljE_EEESV_SW_SX_S14_S18_S1A_T6_T7_T9_mT8_S1C_bDpT10_ENKUlT_T0_E_clISt17integral_constantIbLb0EES1O_IbLb1EEEEDaS1K_S1L_EUlS1K_E_NS1_11comp_targetILNS1_3genE10ELNS1_11target_archE1200ELNS1_3gpuE4ELNS1_3repE0EEENS1_30default_config_static_selectorELNS0_4arch9wavefront6targetE0EEEvSY_,"axG",@progbits,_ZN7rocprim17ROCPRIM_400000_NS6detail17trampoline_kernelINS0_13select_configILj256ELj13ELNS0_17block_load_methodE3ELS4_3ELS4_3ELNS0_20block_scan_algorithmE0ELj4294967295EEENS1_25partition_config_selectorILNS1_17partition_subalgoE3EjNS0_10empty_typeEbEEZZNS1_14partition_implILS8_3ELb0ES6_jNS0_17counting_iteratorIjlEEPS9_SE_NS0_5tupleIJPjSE_EEENSF_IJSE_SE_EEES9_SG_JZNS1_25segmented_radix_sort_implINS0_14default_configELb0EPKbPbPKlPlN2at6native12_GLOBAL__N_18offset_tEEE10hipError_tPvRmT1_PNSt15iterator_traitsISY_E10value_typeET2_T3_PNSZ_IS14_E10value_typeET4_jRbjT5_S1A_jjP12ihipStream_tbEUljE_EEESV_SW_SX_S14_S18_S1A_T6_T7_T9_mT8_S1C_bDpT10_ENKUlT_T0_E_clISt17integral_constantIbLb0EES1O_IbLb1EEEEDaS1K_S1L_EUlS1K_E_NS1_11comp_targetILNS1_3genE10ELNS1_11target_archE1200ELNS1_3gpuE4ELNS1_3repE0EEENS1_30default_config_static_selectorELNS0_4arch9wavefront6targetE0EEEvSY_,comdat
	.globl	_ZN7rocprim17ROCPRIM_400000_NS6detail17trampoline_kernelINS0_13select_configILj256ELj13ELNS0_17block_load_methodE3ELS4_3ELS4_3ELNS0_20block_scan_algorithmE0ELj4294967295EEENS1_25partition_config_selectorILNS1_17partition_subalgoE3EjNS0_10empty_typeEbEEZZNS1_14partition_implILS8_3ELb0ES6_jNS0_17counting_iteratorIjlEEPS9_SE_NS0_5tupleIJPjSE_EEENSF_IJSE_SE_EEES9_SG_JZNS1_25segmented_radix_sort_implINS0_14default_configELb0EPKbPbPKlPlN2at6native12_GLOBAL__N_18offset_tEEE10hipError_tPvRmT1_PNSt15iterator_traitsISY_E10value_typeET2_T3_PNSZ_IS14_E10value_typeET4_jRbjT5_S1A_jjP12ihipStream_tbEUljE_EEESV_SW_SX_S14_S18_S1A_T6_T7_T9_mT8_S1C_bDpT10_ENKUlT_T0_E_clISt17integral_constantIbLb0EES1O_IbLb1EEEEDaS1K_S1L_EUlS1K_E_NS1_11comp_targetILNS1_3genE10ELNS1_11target_archE1200ELNS1_3gpuE4ELNS1_3repE0EEENS1_30default_config_static_selectorELNS0_4arch9wavefront6targetE0EEEvSY_ ; -- Begin function _ZN7rocprim17ROCPRIM_400000_NS6detail17trampoline_kernelINS0_13select_configILj256ELj13ELNS0_17block_load_methodE3ELS4_3ELS4_3ELNS0_20block_scan_algorithmE0ELj4294967295EEENS1_25partition_config_selectorILNS1_17partition_subalgoE3EjNS0_10empty_typeEbEEZZNS1_14partition_implILS8_3ELb0ES6_jNS0_17counting_iteratorIjlEEPS9_SE_NS0_5tupleIJPjSE_EEENSF_IJSE_SE_EEES9_SG_JZNS1_25segmented_radix_sort_implINS0_14default_configELb0EPKbPbPKlPlN2at6native12_GLOBAL__N_18offset_tEEE10hipError_tPvRmT1_PNSt15iterator_traitsISY_E10value_typeET2_T3_PNSZ_IS14_E10value_typeET4_jRbjT5_S1A_jjP12ihipStream_tbEUljE_EEESV_SW_SX_S14_S18_S1A_T6_T7_T9_mT8_S1C_bDpT10_ENKUlT_T0_E_clISt17integral_constantIbLb0EES1O_IbLb1EEEEDaS1K_S1L_EUlS1K_E_NS1_11comp_targetILNS1_3genE10ELNS1_11target_archE1200ELNS1_3gpuE4ELNS1_3repE0EEENS1_30default_config_static_selectorELNS0_4arch9wavefront6targetE0EEEvSY_
	.p2align	8
	.type	_ZN7rocprim17ROCPRIM_400000_NS6detail17trampoline_kernelINS0_13select_configILj256ELj13ELNS0_17block_load_methodE3ELS4_3ELS4_3ELNS0_20block_scan_algorithmE0ELj4294967295EEENS1_25partition_config_selectorILNS1_17partition_subalgoE3EjNS0_10empty_typeEbEEZZNS1_14partition_implILS8_3ELb0ES6_jNS0_17counting_iteratorIjlEEPS9_SE_NS0_5tupleIJPjSE_EEENSF_IJSE_SE_EEES9_SG_JZNS1_25segmented_radix_sort_implINS0_14default_configELb0EPKbPbPKlPlN2at6native12_GLOBAL__N_18offset_tEEE10hipError_tPvRmT1_PNSt15iterator_traitsISY_E10value_typeET2_T3_PNSZ_IS14_E10value_typeET4_jRbjT5_S1A_jjP12ihipStream_tbEUljE_EEESV_SW_SX_S14_S18_S1A_T6_T7_T9_mT8_S1C_bDpT10_ENKUlT_T0_E_clISt17integral_constantIbLb0EES1O_IbLb1EEEEDaS1K_S1L_EUlS1K_E_NS1_11comp_targetILNS1_3genE10ELNS1_11target_archE1200ELNS1_3gpuE4ELNS1_3repE0EEENS1_30default_config_static_selectorELNS0_4arch9wavefront6targetE0EEEvSY_,@function
_ZN7rocprim17ROCPRIM_400000_NS6detail17trampoline_kernelINS0_13select_configILj256ELj13ELNS0_17block_load_methodE3ELS4_3ELS4_3ELNS0_20block_scan_algorithmE0ELj4294967295EEENS1_25partition_config_selectorILNS1_17partition_subalgoE3EjNS0_10empty_typeEbEEZZNS1_14partition_implILS8_3ELb0ES6_jNS0_17counting_iteratorIjlEEPS9_SE_NS0_5tupleIJPjSE_EEENSF_IJSE_SE_EEES9_SG_JZNS1_25segmented_radix_sort_implINS0_14default_configELb0EPKbPbPKlPlN2at6native12_GLOBAL__N_18offset_tEEE10hipError_tPvRmT1_PNSt15iterator_traitsISY_E10value_typeET2_T3_PNSZ_IS14_E10value_typeET4_jRbjT5_S1A_jjP12ihipStream_tbEUljE_EEESV_SW_SX_S14_S18_S1A_T6_T7_T9_mT8_S1C_bDpT10_ENKUlT_T0_E_clISt17integral_constantIbLb0EES1O_IbLb1EEEEDaS1K_S1L_EUlS1K_E_NS1_11comp_targetILNS1_3genE10ELNS1_11target_archE1200ELNS1_3gpuE4ELNS1_3repE0EEENS1_30default_config_static_selectorELNS0_4arch9wavefront6targetE0EEEvSY_: ; @_ZN7rocprim17ROCPRIM_400000_NS6detail17trampoline_kernelINS0_13select_configILj256ELj13ELNS0_17block_load_methodE3ELS4_3ELS4_3ELNS0_20block_scan_algorithmE0ELj4294967295EEENS1_25partition_config_selectorILNS1_17partition_subalgoE3EjNS0_10empty_typeEbEEZZNS1_14partition_implILS8_3ELb0ES6_jNS0_17counting_iteratorIjlEEPS9_SE_NS0_5tupleIJPjSE_EEENSF_IJSE_SE_EEES9_SG_JZNS1_25segmented_radix_sort_implINS0_14default_configELb0EPKbPbPKlPlN2at6native12_GLOBAL__N_18offset_tEEE10hipError_tPvRmT1_PNSt15iterator_traitsISY_E10value_typeET2_T3_PNSZ_IS14_E10value_typeET4_jRbjT5_S1A_jjP12ihipStream_tbEUljE_EEESV_SW_SX_S14_S18_S1A_T6_T7_T9_mT8_S1C_bDpT10_ENKUlT_T0_E_clISt17integral_constantIbLb0EES1O_IbLb1EEEEDaS1K_S1L_EUlS1K_E_NS1_11comp_targetILNS1_3genE10ELNS1_11target_archE1200ELNS1_3gpuE4ELNS1_3repE0EEENS1_30default_config_static_selectorELNS0_4arch9wavefront6targetE0EEEvSY_
; %bb.0:
	s_clause 0x6
	s_load_b64 s[16:17], s[0:1], 0x10
	s_load_b64 s[10:11], s[0:1], 0x28
	;; [unrolled: 1-line block ×3, first 2 shown]
	s_load_b128 s[12:15], s[0:1], 0x48
	s_load_b32 s3, s[0:1], 0x90
	s_load_b64 s[20:21], s[0:1], 0x68
	s_load_b128 s[4:7], s[0:1], 0x80
	v_cmp_eq_u32_e64 s2, 0, v0
	s_and_saveexec_b32 s8, s2
	s_cbranch_execz .LBB1632_4
; %bb.1:
	s_mov_b32 s22, exec_lo
	s_mov_b32 s9, exec_lo
	v_mbcnt_lo_u32_b32 v1, s22, 0
                                        ; implicit-def: $vgpr2
	s_delay_alu instid0(VALU_DEP_1)
	v_cmpx_eq_u32_e32 0, v1
	s_cbranch_execz .LBB1632_3
; %bb.2:
	s_load_b64 s[24:25], s[0:1], 0x78
	s_bcnt1_i32_b32 s22, s22
	s_wait_alu 0xfffe
	v_dual_mov_b32 v2, 0 :: v_dual_mov_b32 v3, s22
	s_wait_kmcnt 0x0
	global_atomic_add_u32 v2, v2, v3, s[24:25] th:TH_ATOMIC_RETURN scope:SCOPE_DEV
.LBB1632_3:
	s_or_b32 exec_lo, exec_lo, s9
	s_wait_loadcnt 0x0
	v_readfirstlane_b32 s9, v2
	s_delay_alu instid0(VALU_DEP_1)
	v_dual_mov_b32 v2, 0 :: v_dual_add_nc_u32 v1, s9, v1
	ds_store_b32 v2, v1
.LBB1632_4:
	s_or_b32 exec_lo, exec_lo, s8
	v_mov_b32_e32 v1, 0
	s_clause 0x1
	s_load_b32 s8, s[0:1], 0x8
	s_load_b32 s0, s[0:1], 0x70
	s_wait_dscnt 0x0
	s_barrier_signal -1
	s_barrier_wait -1
	global_inv scope:SCOPE_SE
	ds_load_b32 v2, v1
	s_wait_loadcnt_dscnt 0x0
	s_barrier_signal -1
	s_barrier_wait -1
	global_inv scope:SCOPE_SE
	s_wait_kmcnt 0x0
	global_load_b64 v[17:18], v1, s[14:15]
	s_mov_b32 s1, 0
	v_lshlrev_b32_e32 v45, 2, v0
	s_mov_b32 s23, -1
	s_add_co_i32 s8, s8, s16
	s_add_co_i32 s9, s0, -1
	s_mulk_i32 s0, 0xd00
	s_delay_alu instid0(SALU_CYCLE_1)
	s_add_co_i32 s14, s0, s16
	s_add_nc_u64 s[0:1], s[16:17], s[0:1]
	v_readfirstlane_b32 s15, v2
	v_cmp_gt_u64_e64 s0, s[18:19], s[0:1]
	s_sub_co_i32 s22, s18, s14
	s_wait_alu 0xfffe
	v_cmp_ne_u32_e32 vcc_lo, s9, v2
	s_addk_co_i32 s22, 0xd00
	s_cmp_eq_u32 s15, s9
	s_mul_i32 s14, s15, 0xd00
	s_cselect_b32 s9, -1, 0
	s_or_b32 s1, s0, vcc_lo
	s_wait_alu 0xfffe
	s_and_b32 vcc_lo, exec_lo, s1
	s_cbranch_vccz .LBB1632_6
; %bb.5:
	v_add3_u32 v1, s14, s8, v0
	s_mov_b32 s23, 0
	s_delay_alu instid0(VALU_DEP_1)
	v_add_nc_u32_e32 v2, 0x100, v1
	v_add_nc_u32_e32 v3, 0x200, v1
	;; [unrolled: 1-line block ×12, first 2 shown]
	ds_store_2addr_stride64_b32 v45, v1, v2 offset1:4
	ds_store_2addr_stride64_b32 v45, v3, v4 offset0:8 offset1:12
	ds_store_2addr_stride64_b32 v45, v5, v6 offset0:16 offset1:20
	;; [unrolled: 1-line block ×5, first 2 shown]
	ds_store_b32 v45, v13 offset:12288
	s_wait_loadcnt_dscnt 0x0
	s_barrier_signal -1
	s_barrier_wait -1
.LBB1632_6:
	v_cmp_gt_u32_e64 s0, s22, v0
	v_or_b32_e32 v44, 0x100, v0
	v_or_b32_e32 v43, 0x200, v0
	;; [unrolled: 1-line block ×12, first 2 shown]
	s_wait_alu 0xfffe
	s_and_not1_b32 vcc_lo, exec_lo, s23
	s_cbranch_vccnz .LBB1632_8
; %bb.7:
	s_add_co_i32 s8, s14, s8
	v_cmp_gt_u32_e32 vcc_lo, s22, v44
	s_wait_alu 0xfffe
	v_add_nc_u32_e32 v13, s8, v33
	v_add_nc_u32_e32 v12, s8, v34
	;; [unrolled: 1-line block ×12, first 2 shown]
	s_delay_alu instid0(VALU_DEP_1) | instskip(SKIP_1) | instid1(VALU_DEP_2)
	v_dual_cndmask_b32 v2, 0, v2 :: v_dual_add_nc_u32 v1, s8, v0
	v_cmp_gt_u32_e32 vcc_lo, s22, v43
	v_cndmask_b32_e64 v1, 0, v1, s0
	s_wait_alu 0xfffd
	v_cndmask_b32_e32 v3, 0, v3, vcc_lo
	v_cmp_gt_u32_e32 vcc_lo, s22, v42
	s_wait_alu 0xfffd
	v_cndmask_b32_e32 v4, 0, v4, vcc_lo
	v_cmp_gt_u32_e32 vcc_lo, s22, v41
	;; [unrolled: 3-line block ×10, first 2 shown]
	s_wait_alu 0xfffd
	v_cndmask_b32_e32 v13, 0, v13, vcc_lo
	ds_store_2addr_stride64_b32 v45, v1, v2 offset1:4
	ds_store_2addr_stride64_b32 v45, v3, v4 offset0:8 offset1:12
	ds_store_2addr_stride64_b32 v45, v5, v6 offset0:16 offset1:20
	;; [unrolled: 1-line block ×5, first 2 shown]
	ds_store_b32 v45, v13 offset:12288
	s_wait_loadcnt_dscnt 0x0
	s_barrier_signal -1
	s_barrier_wait -1
.LBB1632_8:
	v_mul_u32_u24_e32 v48, 13, v0
	s_wait_loadcnt 0x0
	global_inv scope:SCOPE_SE
	v_cndmask_b32_e64 v46, 0, 1, s1
	s_and_not1_b32 vcc_lo, exec_lo, s1
	v_lshlrev_b32_e32 v1, 2, v48
	ds_load_2addr_b32 v[29:30], v1 offset0:2 offset1:3
	ds_load_2addr_b32 v[25:26], v1 offset0:6 offset1:7
	;; [unrolled: 1-line block ×3, first 2 shown]
	ds_load_2addr_b32 v[31:32], v1 offset1:1
	ds_load_2addr_b32 v[21:22], v1 offset0:10 offset1:11
	ds_load_b32 v47, v1 offset:48
	ds_load_2addr_b32 v[23:24], v1 offset0:8 offset1:9
	s_wait_loadcnt_dscnt 0x0
	s_barrier_signal -1
	s_barrier_wait -1
	global_inv scope:SCOPE_SE
	s_wait_alu 0xfffe
	s_cbranch_vccnz .LBB1632_10
; %bb.9:
	v_add_nc_u32_e32 v1, s5, v30
	v_add_nc_u32_e32 v2, s7, v30
	;; [unrolled: 1-line block ×5, first 2 shown]
	v_mul_lo_u32 v1, v1, s4
	v_mul_lo_u32 v2, v2, s6
	v_add_nc_u32_e32 v8, s7, v29
	v_add_nc_u32_e32 v3, s5, v32
	v_add_nc_u32_e32 v6, s7, v32
	v_mul_lo_u32 v5, v5, s4
	v_mul_lo_u32 v4, v4, s4
	v_add_nc_u32_e32 v9, s5, v27
	v_mul_lo_u32 v3, v3, s4
	v_sub_nc_u32_e32 v1, v1, v2
	v_mul_lo_u32 v2, v7, s6
	v_mul_lo_u32 v7, v8, s6
	v_mul_lo_u32 v6, v6, s6
	v_add_nc_u32_e32 v8, s5, v28
	v_add_nc_u32_e32 v10, s7, v27
	v_mul_lo_u32 v9, v9, s4
	v_cmp_lt_u32_e32 vcc_lo, s3, v1
	v_add_nc_u32_e32 v14, s7, v22
	v_sub_nc_u32_e32 v2, v4, v2
	v_sub_nc_u32_e32 v4, v5, v7
	v_add_nc_u32_e32 v5, s7, v28
	v_sub_nc_u32_e32 v3, v3, v6
	v_add_nc_u32_e32 v6, s5, v26
	v_add_nc_u32_e32 v7, s7, v26
	v_mul_lo_u32 v8, v8, s4
	v_mul_lo_u32 v5, v5, s6
	;; [unrolled: 1-line block ×5, first 2 shown]
	s_wait_alu 0xfffd
	v_cndmask_b32_e64 v1, 0, 1, vcc_lo
	v_cmp_lt_u32_e32 vcc_lo, s3, v3
	v_mul_lo_u32 v14, v14, s6
	v_add_nc_u32_e32 v15, s7, v24
	v_sub_nc_u32_e32 v5, v8, v5
	v_add_nc_u32_e32 v8, s7, v25
	s_wait_alu 0xfffd
	v_cndmask_b32_e64 v3, 0, 1, vcc_lo
	v_sub_nc_u32_e32 v6, v6, v7
	v_mul_lo_u32 v15, v15, s6
	v_cmp_lt_u32_e32 vcc_lo, s3, v5
	v_mul_lo_u32 v7, v8, s6
	v_sub_nc_u32_e32 v8, v9, v10
	v_add_nc_u32_e32 v9, s5, v22
	v_add_nc_u32_e32 v10, s5, v24
	s_wait_alu 0xfffd
	v_cndmask_b32_e64 v5, 0, 1, vcc_lo
	v_cmp_lt_u32_e32 vcc_lo, s3, v6
	v_add_nc_u32_e32 v11, s5, v25
	v_mul_lo_u32 v9, v9, s4
	v_mul_lo_u32 v10, v10, s4
	v_add_nc_u32_e32 v12, s5, v23
	s_wait_alu 0xfffd
	v_cndmask_b32_e64 v6, 0, 1, vcc_lo
	v_mul_lo_u32 v11, v11, s4
	v_add_nc_u32_e32 v16, s7, v23
	v_lshlrev_b16 v3, 8, v3
	v_add_nc_u32_e32 v13, s5, v21
	v_sub_nc_u32_e32 v9, v9, v14
	v_sub_nc_u32_e32 v10, v10, v15
	v_add_nc_u32_e32 v19, s7, v21
	v_mul_lo_u32 v12, v12, s4
	v_mul_lo_u32 v16, v16, s6
	v_cmp_lt_u32_e32 vcc_lo, s3, v9
	v_sub_nc_u32_e32 v7, v11, v7
	v_lshrrev_b32_e32 v3, 8, v3
	v_mul_lo_u32 v11, v13, s4
	v_mul_lo_u32 v13, v19, s6
	s_wait_alu 0xfffd
	v_cndmask_b32_e64 v9, 0, 1, vcc_lo
	v_cmp_lt_u32_e32 vcc_lo, s3, v2
	v_sub_nc_u32_e32 v12, v12, v16
	v_lshlrev_b16 v3, 8, v3
	v_lshlrev_b16 v1, 8, v1
	;; [unrolled: 1-line block ×3, first 2 shown]
	s_wait_alu 0xfffd
	v_cndmask_b32_e64 v2, 0, 1, vcc_lo
	v_cmp_lt_u32_e32 vcc_lo, s3, v10
	v_sub_nc_u32_e32 v11, v11, v13
	v_add_nc_u32_e32 v14, s5, v47
	v_add_nc_u32_e32 v15, s7, v47
	v_or_b32_e32 v2, v2, v3
	s_wait_alu 0xfffd
	v_cndmask_b32_e64 v10, 0, 1, vcc_lo
	v_cmp_lt_u32_e32 vcc_lo, s3, v4
	v_lshlrev_b16 v3, 8, v9
	v_lshrrev_b32_e32 v5, 8, v5
	v_lshrrev_b32_e32 v1, 8, v1
	v_lshlrev_b16 v9, 8, v10
	s_wait_alu 0xfffd
	v_cndmask_b32_e64 v4, 0, 1, vcc_lo
	v_cmp_lt_u32_e32 vcc_lo, s3, v8
	v_lshrrev_b32_e32 v3, 8, v3
	v_mul_lo_u32 v14, v14, s4
	v_lshrrev_b32_e32 v9, 8, v9
	v_mul_lo_u32 v15, v15, s6
	s_wait_alu 0xfffd
	v_cndmask_b32_e64 v8, 0, 1, vcc_lo
	v_cmp_lt_u32_e32 vcc_lo, s3, v7
	v_lshlrev_b16 v6, 8, v6
	v_lshlrev_b16 v1, 8, v1
	;; [unrolled: 1-line block ×4, first 2 shown]
	s_wait_alu 0xfffd
	v_cndmask_b32_e64 v7, 0, 1, vcc_lo
	v_cmp_lt_u32_e32 vcc_lo, s3, v12
	v_lshlrev_b16 v3, 8, v3
	v_sub_nc_u32_e32 v10, v14, v15
	v_or_b32_e32 v1, v4, v1
	v_or_b32_e32 v4, v8, v5
	s_wait_alu 0xfffd
	v_cndmask_b32_e64 v12, 0, 1, vcc_lo
	v_cmp_lt_u32_e32 vcc_lo, s3, v11
	v_or_b32_e32 v5, v7, v6
	v_and_b32_e32 v2, 0xffff, v2
	v_lshlrev_b32_e32 v1, 16, v1
	v_or_b32_e32 v6, v12, v9
	s_wait_alu 0xfffd
	v_cndmask_b32_e64 v11, 0, 1, vcc_lo
	v_and_b32_e32 v4, 0xffff, v4
	v_lshlrev_b32_e32 v5, 16, v5
	v_cmp_lt_u32_e32 vcc_lo, s3, v10
	v_and_b32_e32 v6, 0xffff, v6
	v_or_b32_e32 v3, v11, v3
	v_or_b32_e32 v54, v2, v1
	;; [unrolled: 1-line block ×3, first 2 shown]
	s_wait_alu 0xfffd
	v_cndmask_b32_e64 v49, 0, 1, vcc_lo
	v_lshlrev_b32_e32 v3, 16, v3
	s_delay_alu instid0(VALU_DEP_1)
	v_or_b32_e32 v50, v6, v3
	s_cbranch_execz .LBB1632_11
	s_branch .LBB1632_38
.LBB1632_10:
                                        ; implicit-def: $vgpr49
                                        ; implicit-def: $vgpr50
                                        ; implicit-def: $vgpr52
                                        ; implicit-def: $vgpr54
.LBB1632_11:
	v_dual_mov_b32 v2, 0 :: v_dual_mov_b32 v1, 0
	s_mov_b32 s0, exec_lo
	v_cmpx_gt_u32_e64 s22, v48
	s_cbranch_execz .LBB1632_13
; %bb.12:
	v_add_nc_u32_e32 v1, s5, v31
	v_add_nc_u32_e32 v3, s7, v31
	s_delay_alu instid0(VALU_DEP_2) | instskip(NEXT) | instid1(VALU_DEP_2)
	v_mul_lo_u32 v1, v1, s4
	v_mul_lo_u32 v3, v3, s6
	s_delay_alu instid0(VALU_DEP_1) | instskip(NEXT) | instid1(VALU_DEP_1)
	v_sub_nc_u32_e32 v1, v1, v3
	v_cmp_lt_u32_e32 vcc_lo, s3, v1
	s_wait_alu 0xfffd
	v_cndmask_b32_e64 v1, 0, 1, vcc_lo
.LBB1632_13:
	s_wait_alu 0xfffe
	s_or_b32 exec_lo, exec_lo, s0
	v_add_nc_u32_e32 v3, 1, v48
	s_mov_b32 s0, exec_lo
	s_delay_alu instid0(VALU_DEP_1)
	v_cmpx_gt_u32_e64 s22, v3
	s_cbranch_execz .LBB1632_15
; %bb.14:
	v_add_nc_u32_e32 v2, s5, v32
	v_add_nc_u32_e32 v3, s7, v32
	s_delay_alu instid0(VALU_DEP_2) | instskip(NEXT) | instid1(VALU_DEP_2)
	v_mul_lo_u32 v2, v2, s4
	v_mul_lo_u32 v3, v3, s6
	s_delay_alu instid0(VALU_DEP_1) | instskip(NEXT) | instid1(VALU_DEP_1)
	v_sub_nc_u32_e32 v2, v2, v3
	v_cmp_lt_u32_e32 vcc_lo, s3, v2
	s_wait_alu 0xfffd
	v_cndmask_b32_e64 v2, 0, 1, vcc_lo
.LBB1632_15:
	s_wait_alu 0xfffe
	s_or_b32 exec_lo, exec_lo, s0
	v_dual_mov_b32 v4, 0 :: v_dual_add_nc_u32 v3, 2, v48
	s_delay_alu instid0(VALU_DEP_1)
	v_cmp_gt_u32_e32 vcc_lo, s22, v3
	v_mov_b32_e32 v3, 0
	s_and_saveexec_b32 s0, vcc_lo
	s_cbranch_execz .LBB1632_17
; %bb.16:
	v_add_nc_u32_e32 v3, s5, v29
	v_add_nc_u32_e32 v5, s7, v29
	s_delay_alu instid0(VALU_DEP_2) | instskip(NEXT) | instid1(VALU_DEP_2)
	v_mul_lo_u32 v3, v3, s4
	v_mul_lo_u32 v5, v5, s6
	s_delay_alu instid0(VALU_DEP_1) | instskip(NEXT) | instid1(VALU_DEP_1)
	v_sub_nc_u32_e32 v3, v3, v5
	v_cmp_lt_u32_e32 vcc_lo, s3, v3
	s_wait_alu 0xfffd
	v_cndmask_b32_e64 v3, 0, 1, vcc_lo
.LBB1632_17:
	s_wait_alu 0xfffe
	s_or_b32 exec_lo, exec_lo, s0
	v_add_nc_u32_e32 v5, 3, v48
	s_mov_b32 s0, exec_lo
	s_delay_alu instid0(VALU_DEP_1)
	v_cmpx_gt_u32_e64 s22, v5
	s_cbranch_execz .LBB1632_19
; %bb.18:
	v_add_nc_u32_e32 v4, s5, v30
	v_add_nc_u32_e32 v5, s7, v30
	s_delay_alu instid0(VALU_DEP_2) | instskip(NEXT) | instid1(VALU_DEP_2)
	v_mul_lo_u32 v4, v4, s4
	v_mul_lo_u32 v5, v5, s6
	s_delay_alu instid0(VALU_DEP_1) | instskip(NEXT) | instid1(VALU_DEP_1)
	v_sub_nc_u32_e32 v4, v4, v5
	v_cmp_lt_u32_e32 vcc_lo, s3, v4
	s_wait_alu 0xfffd
	v_cndmask_b32_e64 v4, 0, 1, vcc_lo
.LBB1632_19:
	s_wait_alu 0xfffe
	s_or_b32 exec_lo, exec_lo, s0
	v_dual_mov_b32 v6, 0 :: v_dual_add_nc_u32 v5, 4, v48
	s_delay_alu instid0(VALU_DEP_1)
	v_cmp_gt_u32_e32 vcc_lo, s22, v5
	v_mov_b32_e32 v5, 0
	s_and_saveexec_b32 s0, vcc_lo
	;; [unrolled: 39-line block ×5, first 2 shown]
	s_cbranch_execz .LBB1632_33
; %bb.32:
	v_add_nc_u32_e32 v11, s5, v21
	v_add_nc_u32_e32 v13, s7, v21
	s_delay_alu instid0(VALU_DEP_2) | instskip(NEXT) | instid1(VALU_DEP_2)
	v_mul_lo_u32 v11, v11, s4
	v_mul_lo_u32 v13, v13, s6
	s_delay_alu instid0(VALU_DEP_1) | instskip(NEXT) | instid1(VALU_DEP_1)
	v_sub_nc_u32_e32 v11, v11, v13
	v_cmp_lt_u32_e32 vcc_lo, s3, v11
	s_wait_alu 0xfffd
	v_cndmask_b32_e64 v11, 0, 1, vcc_lo
.LBB1632_33:
	s_wait_alu 0xfffe
	s_or_b32 exec_lo, exec_lo, s0
	v_add_nc_u32_e32 v13, 11, v48
	s_mov_b32 s0, exec_lo
	s_delay_alu instid0(VALU_DEP_1)
	v_cmpx_gt_u32_e64 s22, v13
	s_cbranch_execz .LBB1632_35
; %bb.34:
	v_add_nc_u32_e32 v12, s5, v22
	v_add_nc_u32_e32 v13, s7, v22
	s_delay_alu instid0(VALU_DEP_2) | instskip(NEXT) | instid1(VALU_DEP_2)
	v_mul_lo_u32 v12, v12, s4
	v_mul_lo_u32 v13, v13, s6
	s_delay_alu instid0(VALU_DEP_1) | instskip(NEXT) | instid1(VALU_DEP_1)
	v_sub_nc_u32_e32 v12, v12, v13
	v_cmp_lt_u32_e32 vcc_lo, s3, v12
	s_wait_alu 0xfffd
	v_cndmask_b32_e64 v12, 0, 1, vcc_lo
.LBB1632_35:
	s_wait_alu 0xfffe
	s_or_b32 exec_lo, exec_lo, s0
	v_add_nc_u32_e32 v13, 12, v48
	v_mov_b32_e32 v49, 0
	s_mov_b32 s0, exec_lo
	s_delay_alu instid0(VALU_DEP_2)
	v_cmpx_gt_u32_e64 s22, v13
	s_cbranch_execz .LBB1632_37
; %bb.36:
	v_add_nc_u32_e32 v13, s5, v47
	v_add_nc_u32_e32 v14, s7, v47
	s_delay_alu instid0(VALU_DEP_2) | instskip(NEXT) | instid1(VALU_DEP_2)
	v_mul_lo_u32 v13, v13, s4
	v_mul_lo_u32 v14, v14, s6
	s_delay_alu instid0(VALU_DEP_1) | instskip(NEXT) | instid1(VALU_DEP_1)
	v_sub_nc_u32_e32 v13, v13, v14
	v_cmp_lt_u32_e32 vcc_lo, s3, v13
	s_wait_alu 0xfffd
	v_cndmask_b32_e64 v49, 0, 1, vcc_lo
.LBB1632_37:
	s_wait_alu 0xfffe
	s_or_b32 exec_lo, exec_lo, s0
	v_lshlrev_b16 v2, 8, v2
	v_lshlrev_b16 v4, 8, v4
	;; [unrolled: 1-line block ×5, first 2 shown]
	v_or_b32_e32 v1, v1, v2
	v_lshlrev_b16 v2, 8, v12
	v_or_b32_e32 v3, v3, v4
	v_or_b32_e32 v4, v5, v6
	;; [unrolled: 1-line block ×5, first 2 shown]
	v_and_b32_e32 v1, 0xffff, v1
	v_lshlrev_b32_e32 v3, 16, v3
	v_and_b32_e32 v4, 0xffff, v4
	v_lshlrev_b32_e32 v5, 16, v5
	;; [unrolled: 2-line block ×3, first 2 shown]
	v_or_b32_e32 v54, v1, v3
	s_delay_alu instid0(VALU_DEP_4) | instskip(NEXT) | instid1(VALU_DEP_3)
	v_or_b32_e32 v52, v4, v5
	v_or_b32_e32 v50, v6, v2
.LBB1632_38:
	s_delay_alu instid0(VALU_DEP_3)
	v_and_b32_e32 v56, 0xff, v54
	v_bfe_u32 v57, v54, 8, 8
	v_bfe_u32 v58, v54, 16, 8
	v_lshrrev_b32_e32 v55, 24, v54
	v_and_b32_e32 v59, 0xff, v52
	v_bfe_u32 v60, v52, 8, 8
	v_bfe_u32 v61, v52, 16, 8
	v_add3_u32 v1, v57, v56, v58
	v_lshrrev_b32_e32 v53, 24, v52
	v_and_b32_e32 v62, 0xff, v50
	v_bfe_u32 v63, v50, 8, 8
	v_mbcnt_lo_u32_b32 v65, -1, 0
	v_add3_u32 v1, v1, v55, v59
	v_bfe_u32 v64, v50, 16, 8
	v_lshrrev_b32_e32 v51, 24, v50
	v_and_b32_e32 v2, 0xff, v49
	v_and_b32_e32 v3, 15, v65
	v_add3_u32 v1, v1, v60, v61
	v_or_b32_e32 v4, 31, v0
	v_and_b32_e32 v5, 16, v65
	v_lshrrev_b32_e32 v66, 5, v0
	v_cmp_eq_u32_e64 s6, 0, v3
	v_add3_u32 v1, v1, v53, v62
	v_cmp_lt_u32_e64 s5, 1, v3
	v_cmp_lt_u32_e64 s4, 3, v3
	;; [unrolled: 1-line block ×3, first 2 shown]
	v_cmp_eq_u32_e64 s1, 0, v5
	v_add3_u32 v1, v1, v63, v64
	v_cmp_eq_u32_e64 s0, v0, v4
	s_cmp_lg_u32 s15, 0
	s_mov_b32 s7, -1
	v_add3_u32 v67, v1, v51, v2
	s_cbranch_scc0 .LBB1632_59
; %bb.39:
	s_delay_alu instid0(VALU_DEP_1) | instskip(NEXT) | instid1(VALU_DEP_1)
	v_mov_b32_dpp v1, v67 row_shr:1 row_mask:0xf bank_mask:0xf
	v_cndmask_b32_e64 v1, v1, 0, s6
	s_delay_alu instid0(VALU_DEP_1) | instskip(NEXT) | instid1(VALU_DEP_1)
	v_add_nc_u32_e32 v1, v1, v67
	v_mov_b32_dpp v2, v1 row_shr:2 row_mask:0xf bank_mask:0xf
	s_delay_alu instid0(VALU_DEP_1) | instskip(NEXT) | instid1(VALU_DEP_1)
	v_cndmask_b32_e64 v2, 0, v2, s5
	v_add_nc_u32_e32 v1, v1, v2
	s_delay_alu instid0(VALU_DEP_1) | instskip(NEXT) | instid1(VALU_DEP_1)
	v_mov_b32_dpp v2, v1 row_shr:4 row_mask:0xf bank_mask:0xf
	v_cndmask_b32_e64 v2, 0, v2, s4
	s_delay_alu instid0(VALU_DEP_1) | instskip(NEXT) | instid1(VALU_DEP_1)
	v_add_nc_u32_e32 v1, v1, v2
	v_mov_b32_dpp v2, v1 row_shr:8 row_mask:0xf bank_mask:0xf
	s_delay_alu instid0(VALU_DEP_1) | instskip(NEXT) | instid1(VALU_DEP_1)
	v_cndmask_b32_e64 v2, 0, v2, s3
	v_add_nc_u32_e32 v1, v1, v2
	ds_swizzle_b32 v2, v1 offset:swizzle(BROADCAST,32,15)
	s_wait_dscnt 0x0
	v_cndmask_b32_e64 v2, v2, 0, s1
	s_delay_alu instid0(VALU_DEP_1)
	v_add_nc_u32_e32 v1, v1, v2
	s_and_saveexec_b32 s7, s0
; %bb.40:
	v_lshlrev_b32_e32 v2, 2, v66
	ds_store_b32 v2, v1
; %bb.41:
	s_wait_alu 0xfffe
	s_or_b32 exec_lo, exec_lo, s7
	s_delay_alu instid0(SALU_CYCLE_1)
	s_mov_b32 s7, exec_lo
	s_wait_loadcnt_dscnt 0x0
	s_barrier_signal -1
	s_barrier_wait -1
	global_inv scope:SCOPE_SE
	v_cmpx_gt_u32_e32 8, v0
	s_cbranch_execz .LBB1632_43
; %bb.42:
	ds_load_b32 v2, v45
	s_wait_dscnt 0x0
	v_mov_b32_dpp v4, v2 row_shr:1 row_mask:0xf bank_mask:0xf
	v_and_b32_e32 v3, 7, v65
	s_delay_alu instid0(VALU_DEP_1) | instskip(SKIP_1) | instid1(VALU_DEP_3)
	v_cmp_ne_u32_e32 vcc_lo, 0, v3
	s_wait_alu 0xfffd
	v_cndmask_b32_e32 v4, 0, v4, vcc_lo
	v_cmp_lt_u32_e32 vcc_lo, 1, v3
	s_delay_alu instid0(VALU_DEP_2) | instskip(NEXT) | instid1(VALU_DEP_1)
	v_add_nc_u32_e32 v2, v4, v2
	v_mov_b32_dpp v4, v2 row_shr:2 row_mask:0xf bank_mask:0xf
	s_wait_alu 0xfffd
	s_delay_alu instid0(VALU_DEP_1) | instskip(SKIP_1) | instid1(VALU_DEP_2)
	v_cndmask_b32_e32 v4, 0, v4, vcc_lo
	v_cmp_lt_u32_e32 vcc_lo, 3, v3
	v_add_nc_u32_e32 v2, v2, v4
	s_delay_alu instid0(VALU_DEP_1) | instskip(SKIP_1) | instid1(VALU_DEP_1)
	v_mov_b32_dpp v4, v2 row_shr:4 row_mask:0xf bank_mask:0xf
	s_wait_alu 0xfffd
	v_cndmask_b32_e32 v3, 0, v4, vcc_lo
	s_delay_alu instid0(VALU_DEP_1)
	v_add_nc_u32_e32 v2, v2, v3
	ds_store_b32 v45, v2
.LBB1632_43:
	s_wait_alu 0xfffe
	s_or_b32 exec_lo, exec_lo, s7
	s_delay_alu instid0(SALU_CYCLE_1)
	s_mov_b32 s8, exec_lo
	v_cmp_gt_u32_e32 vcc_lo, 32, v0
	s_wait_loadcnt_dscnt 0x0
	s_barrier_signal -1
	s_barrier_wait -1
	global_inv scope:SCOPE_SE
                                        ; implicit-def: $vgpr9
	v_cmpx_lt_u32_e32 31, v0
	s_cbranch_execz .LBB1632_45
; %bb.44:
	v_lshl_add_u32 v2, v66, 2, -4
	ds_load_b32 v9, v2
	s_wait_dscnt 0x0
	v_add_nc_u32_e32 v1, v9, v1
.LBB1632_45:
	s_wait_alu 0xfffe
	s_or_b32 exec_lo, exec_lo, s8
	v_sub_co_u32 v2, s7, v65, 1
	s_delay_alu instid0(VALU_DEP_1) | instskip(SKIP_1) | instid1(VALU_DEP_1)
	v_cmp_gt_i32_e64 s8, 0, v2
	s_wait_alu 0xf1ff
	v_cndmask_b32_e64 v2, v2, v65, s8
	s_delay_alu instid0(VALU_DEP_1)
	v_lshlrev_b32_e32 v2, 2, v2
	ds_bpermute_b32 v10, v2, v1
	s_and_saveexec_b32 s8, vcc_lo
	s_cbranch_execz .LBB1632_64
; %bb.46:
	v_mov_b32_e32 v5, 0
	ds_load_b32 v1, v5 offset:28
	s_and_saveexec_b32 s23, s7
	s_cbranch_execz .LBB1632_48
; %bb.47:
	s_add_co_i32 s24, s15, 32
	s_mov_b32 s25, 0
	v_mov_b32_e32 v2, 1
	s_lshl_b64 s[24:25], s[24:25], 3
	s_delay_alu instid0(SALU_CYCLE_1)
	s_add_nc_u64 s[24:25], s[20:21], s[24:25]
	s_wait_dscnt 0x0
	global_store_b64 v5, v[1:2], s[24:25] scope:SCOPE_DEV
.LBB1632_48:
	s_wait_alu 0xfffe
	s_or_b32 exec_lo, exec_lo, s23
	v_xad_u32 v3, v65, -1, s15
	s_mov_b32 s24, 0
	s_mov_b32 s23, exec_lo
	s_delay_alu instid0(VALU_DEP_1) | instskip(NEXT) | instid1(VALU_DEP_1)
	v_add_nc_u32_e32 v4, 32, v3
	v_lshlrev_b64_e32 v[4:5], 3, v[4:5]
	s_delay_alu instid0(VALU_DEP_1) | instskip(SKIP_1) | instid1(VALU_DEP_2)
	v_add_co_u32 v7, vcc_lo, s20, v4
	s_wait_alu 0xfffd
	v_add_co_ci_u32_e64 v8, null, s21, v5, vcc_lo
	global_load_b64 v[5:6], v[7:8], off scope:SCOPE_DEV
	s_wait_loadcnt 0x0
	v_and_b32_e32 v2, 0xff, v6
	s_delay_alu instid0(VALU_DEP_1)
	v_cmpx_eq_u16_e32 0, v2
	s_cbranch_execz .LBB1632_51
.LBB1632_49:                            ; =>This Inner Loop Header: Depth=1
	global_load_b64 v[5:6], v[7:8], off scope:SCOPE_DEV
	s_wait_loadcnt 0x0
	v_and_b32_e32 v2, 0xff, v6
	s_delay_alu instid0(VALU_DEP_1) | instskip(SKIP_1) | instid1(SALU_CYCLE_1)
	v_cmp_ne_u16_e32 vcc_lo, 0, v2
	s_or_b32 s24, vcc_lo, s24
	s_and_not1_b32 exec_lo, exec_lo, s24
	s_cbranch_execnz .LBB1632_49
; %bb.50:
	s_or_b32 exec_lo, exec_lo, s24
.LBB1632_51:
	s_wait_alu 0xfffe
	s_or_b32 exec_lo, exec_lo, s23
	v_cmp_ne_u32_e32 vcc_lo, 31, v65
	v_lshlrev_b32_e64 v12, v65, -1
	v_add_nc_u32_e32 v14, 2, v65
	v_add_nc_u32_e32 v16, 4, v65
	;; [unrolled: 1-line block ×3, first 2 shown]
	s_wait_alu 0xfffd
	v_add_co_ci_u32_e64 v2, null, 0, v65, vcc_lo
	v_lshl_or_b32 v68, v65, 2, 64
	v_add_nc_u32_e32 v69, 16, v65
	s_delay_alu instid0(VALU_DEP_3)
	v_lshlrev_b32_e32 v11, 2, v2
	v_and_b32_e32 v2, 0xff, v6
	ds_bpermute_b32 v4, v11, v5
	v_cmp_eq_u16_e32 vcc_lo, 2, v2
	s_wait_alu 0xfffd
	v_and_or_b32 v2, vcc_lo, v12, 0x80000000
	v_cmp_gt_u32_e32 vcc_lo, 30, v65
	s_delay_alu instid0(VALU_DEP_2) | instskip(SKIP_2) | instid1(VALU_DEP_2)
	v_ctz_i32_b32_e32 v2, v2
	s_wait_alu 0xfffd
	v_cndmask_b32_e64 v7, 0, 2, vcc_lo
	v_cmp_lt_u32_e32 vcc_lo, v65, v2
	s_delay_alu instid0(VALU_DEP_2) | instskip(SKIP_4) | instid1(VALU_DEP_2)
	v_add_lshl_u32 v13, v7, v65, 2
	s_wait_dscnt 0x0
	s_wait_alu 0xfffd
	v_cndmask_b32_e32 v4, 0, v4, vcc_lo
	v_cmp_gt_u32_e32 vcc_lo, 28, v65
	v_add_nc_u32_e32 v4, v4, v5
	s_wait_alu 0xfffd
	v_cndmask_b32_e64 v7, 0, 4, vcc_lo
	v_cmp_le_u32_e32 vcc_lo, v14, v2
	ds_bpermute_b32 v5, v13, v4
	v_add_lshl_u32 v15, v7, v65, 2
	s_wait_dscnt 0x0
	s_wait_alu 0xfffd
	v_cndmask_b32_e32 v5, 0, v5, vcc_lo
	v_cmp_gt_u32_e32 vcc_lo, 24, v65
	s_delay_alu instid0(VALU_DEP_2)
	v_add_nc_u32_e32 v4, v4, v5
	s_wait_alu 0xfffd
	v_cndmask_b32_e64 v7, 0, 8, vcc_lo
	v_cmp_le_u32_e32 vcc_lo, v16, v2
	ds_bpermute_b32 v5, v15, v4
	v_add_lshl_u32 v19, v7, v65, 2
	s_wait_dscnt 0x0
	s_wait_alu 0xfffd
	v_cndmask_b32_e32 v5, 0, v5, vcc_lo
	v_cmp_le_u32_e32 vcc_lo, v20, v2
	s_delay_alu instid0(VALU_DEP_2)
	v_add_nc_u32_e32 v4, v4, v5
	ds_bpermute_b32 v5, v19, v4
	s_wait_dscnt 0x0
	s_wait_alu 0xfffd
	v_cndmask_b32_e32 v5, 0, v5, vcc_lo
	v_cmp_le_u32_e32 vcc_lo, v69, v2
	s_delay_alu instid0(VALU_DEP_2) | instskip(SKIP_4) | instid1(VALU_DEP_1)
	v_add_nc_u32_e32 v4, v4, v5
	ds_bpermute_b32 v5, v68, v4
	s_wait_dscnt 0x0
	s_wait_alu 0xfffd
	v_cndmask_b32_e32 v2, 0, v5, vcc_lo
	v_dual_mov_b32 v4, 0 :: v_dual_add_nc_u32 v5, v4, v2
	s_branch .LBB1632_55
.LBB1632_52:                            ;   in Loop: Header=BB1632_55 Depth=1
	s_or_b32 exec_lo, exec_lo, s24
.LBB1632_53:                            ;   in Loop: Header=BB1632_55 Depth=1
	s_wait_alu 0xfffe
	s_or_b32 exec_lo, exec_lo, s23
	ds_bpermute_b32 v8, v11, v5
	v_and_b32_e32 v7, 0xff, v6
	v_subrev_nc_u32_e32 v3, 32, v3
	s_mov_b32 s23, 0
	s_delay_alu instid0(VALU_DEP_2) | instskip(SKIP_2) | instid1(VALU_DEP_1)
	v_cmp_eq_u16_e32 vcc_lo, 2, v7
	s_wait_alu 0xfffd
	v_and_or_b32 v7, vcc_lo, v12, 0x80000000
	v_ctz_i32_b32_e32 v7, v7
	s_delay_alu instid0(VALU_DEP_1) | instskip(SKIP_4) | instid1(VALU_DEP_2)
	v_cmp_lt_u32_e32 vcc_lo, v65, v7
	s_wait_dscnt 0x0
	s_wait_alu 0xfffd
	v_cndmask_b32_e32 v8, 0, v8, vcc_lo
	v_cmp_le_u32_e32 vcc_lo, v14, v7
	v_add_nc_u32_e32 v5, v8, v5
	ds_bpermute_b32 v8, v13, v5
	s_wait_dscnt 0x0
	s_wait_alu 0xfffd
	v_cndmask_b32_e32 v8, 0, v8, vcc_lo
	v_cmp_le_u32_e32 vcc_lo, v16, v7
	s_delay_alu instid0(VALU_DEP_2)
	v_add_nc_u32_e32 v5, v5, v8
	ds_bpermute_b32 v8, v15, v5
	s_wait_dscnt 0x0
	s_wait_alu 0xfffd
	v_cndmask_b32_e32 v8, 0, v8, vcc_lo
	v_cmp_le_u32_e32 vcc_lo, v20, v7
	s_delay_alu instid0(VALU_DEP_2)
	v_add_nc_u32_e32 v5, v5, v8
	ds_bpermute_b32 v8, v19, v5
	s_wait_dscnt 0x0
	s_wait_alu 0xfffd
	v_cndmask_b32_e32 v8, 0, v8, vcc_lo
	v_cmp_le_u32_e32 vcc_lo, v69, v7
	s_delay_alu instid0(VALU_DEP_2) | instskip(SKIP_4) | instid1(VALU_DEP_1)
	v_add_nc_u32_e32 v5, v5, v8
	ds_bpermute_b32 v8, v68, v5
	s_wait_dscnt 0x0
	s_wait_alu 0xfffd
	v_cndmask_b32_e32 v7, 0, v8, vcc_lo
	v_add3_u32 v5, v7, v2, v5
.LBB1632_54:                            ;   in Loop: Header=BB1632_55 Depth=1
	s_wait_alu 0xfffe
	s_and_b32 vcc_lo, exec_lo, s23
	s_wait_alu 0xfffe
	s_cbranch_vccnz .LBB1632_60
.LBB1632_55:                            ; =>This Loop Header: Depth=1
                                        ;     Child Loop BB1632_58 Depth 2
	v_and_b32_e32 v2, 0xff, v6
	s_mov_b32 s23, -1
                                        ; implicit-def: $vgpr6
	s_delay_alu instid0(VALU_DEP_1)
	v_cmp_ne_u16_e32 vcc_lo, 2, v2
	v_mov_b32_e32 v2, v5
                                        ; implicit-def: $vgpr5
	s_cmp_lg_u32 vcc_lo, exec_lo
	s_cbranch_scc1 .LBB1632_54
; %bb.56:                               ;   in Loop: Header=BB1632_55 Depth=1
	v_lshlrev_b64_e32 v[5:6], 3, v[3:4]
	s_mov_b32 s23, exec_lo
	s_delay_alu instid0(VALU_DEP_1) | instskip(SKIP_1) | instid1(VALU_DEP_2)
	v_add_co_u32 v7, vcc_lo, s20, v5
	s_wait_alu 0xfffd
	v_add_co_ci_u32_e64 v8, null, s21, v6, vcc_lo
	global_load_b64 v[5:6], v[7:8], off scope:SCOPE_DEV
	s_wait_loadcnt 0x0
	v_and_b32_e32 v70, 0xff, v6
	s_delay_alu instid0(VALU_DEP_1)
	v_cmpx_eq_u16_e32 0, v70
	s_cbranch_execz .LBB1632_53
; %bb.57:                               ;   in Loop: Header=BB1632_55 Depth=1
	s_mov_b32 s24, 0
.LBB1632_58:                            ;   Parent Loop BB1632_55 Depth=1
                                        ; =>  This Inner Loop Header: Depth=2
	global_load_b64 v[5:6], v[7:8], off scope:SCOPE_DEV
	s_wait_loadcnt 0x0
	v_and_b32_e32 v70, 0xff, v6
	s_delay_alu instid0(VALU_DEP_1) | instskip(SKIP_1) | instid1(SALU_CYCLE_1)
	v_cmp_ne_u16_e32 vcc_lo, 0, v70
	s_or_b32 s24, vcc_lo, s24
	s_and_not1_b32 exec_lo, exec_lo, s24
	s_cbranch_execnz .LBB1632_58
	s_branch .LBB1632_52
.LBB1632_59:
                                        ; implicit-def: $vgpr20
                                        ; implicit-def: $vgpr1_vgpr2_vgpr3_vgpr4_vgpr5_vgpr6_vgpr7_vgpr8_vgpr9_vgpr10_vgpr11_vgpr12_vgpr13_vgpr14_vgpr15_vgpr16
	s_wait_alu 0xfffe
	s_and_b32 vcc_lo, exec_lo, s7
	s_wait_alu 0xfffe
	s_cbranch_vccnz .LBB1632_65
	s_branch .LBB1632_74
.LBB1632_60:
	s_and_saveexec_b32 s23, s7
	s_cbranch_execz .LBB1632_62
; %bb.61:
	s_add_co_i32 s24, s15, 32
	s_mov_b32 s25, 0
	v_dual_mov_b32 v4, 2 :: v_dual_add_nc_u32 v3, v2, v1
	v_mov_b32_e32 v5, 0
	s_lshl_b64 s[24:25], s[24:25], 3
	s_delay_alu instid0(SALU_CYCLE_1)
	s_add_nc_u64 s[24:25], s[20:21], s[24:25]
	global_store_b64 v5, v[3:4], s[24:25] scope:SCOPE_DEV
	ds_store_b64 v5, v[1:2] offset:13312
.LBB1632_62:
	s_wait_alu 0xfffe
	s_or_b32 exec_lo, exec_lo, s23
	s_delay_alu instid0(SALU_CYCLE_1)
	s_and_b32 exec_lo, exec_lo, s2
; %bb.63:
	v_mov_b32_e32 v1, 0
	ds_store_b32 v1, v2 offset:28
.LBB1632_64:
	s_wait_alu 0xfffe
	s_or_b32 exec_lo, exec_lo, s8
	v_mov_b32_e32 v11, 0
	s_wait_storecnt 0x0
	s_wait_loadcnt_dscnt 0x0
	s_barrier_signal -1
	s_barrier_wait -1
	global_inv scope:SCOPE_SE
	ds_load_b32 v1, v11 offset:28
	v_cndmask_b32_e64 v2, v10, v9, s7
	s_wait_loadcnt_dscnt 0x0
	s_barrier_signal -1
	s_barrier_wait -1
	global_inv scope:SCOPE_SE
	v_cndmask_b32_e64 v2, v2, 0, s2
	s_delay_alu instid0(VALU_DEP_1) | instskip(NEXT) | instid1(VALU_DEP_1)
	v_add_nc_u32_e32 v1, v1, v2
	v_add_nc_u32_e32 v2, v1, v56
	ds_load_b64 v[19:20], v11 offset:13312
	v_add_nc_u32_e32 v3, v2, v57
	s_delay_alu instid0(VALU_DEP_1) | instskip(NEXT) | instid1(VALU_DEP_1)
	v_add_nc_u32_e32 v4, v3, v58
	v_add_nc_u32_e32 v5, v4, v55
	s_delay_alu instid0(VALU_DEP_1) | instskip(NEXT) | instid1(VALU_DEP_1)
	v_add_nc_u32_e32 v6, v5, v59
	;; [unrolled: 3-line block ×5, first 2 shown]
	v_add_nc_u32_e32 v13, v12, v51
	s_branch .LBB1632_74
.LBB1632_65:
	v_mov_b32_dpp v1, v67 row_shr:1 row_mask:0xf bank_mask:0xf
	s_delay_alu instid0(VALU_DEP_1) | instskip(NEXT) | instid1(VALU_DEP_1)
	v_cndmask_b32_e64 v1, v1, 0, s6
	v_add_nc_u32_e32 v1, v1, v67
	s_delay_alu instid0(VALU_DEP_1) | instskip(NEXT) | instid1(VALU_DEP_1)
	v_mov_b32_dpp v2, v1 row_shr:2 row_mask:0xf bank_mask:0xf
	v_cndmask_b32_e64 v2, 0, v2, s5
	s_delay_alu instid0(VALU_DEP_1) | instskip(NEXT) | instid1(VALU_DEP_1)
	v_add_nc_u32_e32 v1, v1, v2
	v_mov_b32_dpp v2, v1 row_shr:4 row_mask:0xf bank_mask:0xf
	s_delay_alu instid0(VALU_DEP_1) | instskip(NEXT) | instid1(VALU_DEP_1)
	v_cndmask_b32_e64 v2, 0, v2, s4
	v_add_nc_u32_e32 v1, v1, v2
	s_delay_alu instid0(VALU_DEP_1) | instskip(NEXT) | instid1(VALU_DEP_1)
	v_mov_b32_dpp v2, v1 row_shr:8 row_mask:0xf bank_mask:0xf
	v_cndmask_b32_e64 v2, 0, v2, s3
	s_delay_alu instid0(VALU_DEP_1) | instskip(SKIP_3) | instid1(VALU_DEP_1)
	v_add_nc_u32_e32 v1, v1, v2
	ds_swizzle_b32 v2, v1 offset:swizzle(BROADCAST,32,15)
	s_wait_dscnt 0x0
	v_cndmask_b32_e64 v2, v2, 0, s1
	v_add_nc_u32_e32 v1, v1, v2
	s_and_saveexec_b32 s1, s0
; %bb.66:
	v_lshlrev_b32_e32 v2, 2, v66
	ds_store_b32 v2, v1
; %bb.67:
	s_wait_alu 0xfffe
	s_or_b32 exec_lo, exec_lo, s1
	s_delay_alu instid0(SALU_CYCLE_1)
	s_mov_b32 s0, exec_lo
	s_wait_loadcnt_dscnt 0x0
	s_barrier_signal -1
	s_barrier_wait -1
	global_inv scope:SCOPE_SE
	v_cmpx_gt_u32_e32 8, v0
	s_cbranch_execz .LBB1632_69
; %bb.68:
	ds_load_b32 v2, v45
	s_wait_dscnt 0x0
	v_mov_b32_dpp v4, v2 row_shr:1 row_mask:0xf bank_mask:0xf
	v_and_b32_e32 v3, 7, v65
	s_delay_alu instid0(VALU_DEP_1) | instskip(SKIP_1) | instid1(VALU_DEP_3)
	v_cmp_ne_u32_e32 vcc_lo, 0, v3
	s_wait_alu 0xfffd
	v_cndmask_b32_e32 v4, 0, v4, vcc_lo
	v_cmp_lt_u32_e32 vcc_lo, 1, v3
	s_delay_alu instid0(VALU_DEP_2) | instskip(NEXT) | instid1(VALU_DEP_1)
	v_add_nc_u32_e32 v2, v4, v2
	v_mov_b32_dpp v4, v2 row_shr:2 row_mask:0xf bank_mask:0xf
	s_wait_alu 0xfffd
	s_delay_alu instid0(VALU_DEP_1) | instskip(SKIP_1) | instid1(VALU_DEP_2)
	v_cndmask_b32_e32 v4, 0, v4, vcc_lo
	v_cmp_lt_u32_e32 vcc_lo, 3, v3
	v_add_nc_u32_e32 v2, v2, v4
	s_delay_alu instid0(VALU_DEP_1) | instskip(SKIP_1) | instid1(VALU_DEP_1)
	v_mov_b32_dpp v4, v2 row_shr:4 row_mask:0xf bank_mask:0xf
	s_wait_alu 0xfffd
	v_cndmask_b32_e32 v3, 0, v4, vcc_lo
	s_delay_alu instid0(VALU_DEP_1)
	v_add_nc_u32_e32 v2, v2, v3
	ds_store_b32 v45, v2
.LBB1632_69:
	s_wait_alu 0xfffe
	s_or_b32 exec_lo, exec_lo, s0
	v_dual_mov_b32 v3, 0 :: v_dual_mov_b32 v2, 0
	s_mov_b32 s0, exec_lo
	s_wait_loadcnt_dscnt 0x0
	s_barrier_signal -1
	s_barrier_wait -1
	global_inv scope:SCOPE_SE
	v_cmpx_lt_u32_e32 31, v0
; %bb.70:
	v_lshl_add_u32 v2, v66, 2, -4
	ds_load_b32 v2, v2
; %bb.71:
	s_wait_alu 0xfffe
	s_or_b32 exec_lo, exec_lo, s0
	v_sub_co_u32 v4, vcc_lo, v65, 1
	s_wait_dscnt 0x0
	v_add_nc_u32_e32 v1, v2, v1
	ds_load_b32 v19, v3 offset:28
	v_cmp_gt_i32_e64 s0, 0, v4
	s_wait_alu 0xf1ff
	s_delay_alu instid0(VALU_DEP_1) | instskip(NEXT) | instid1(VALU_DEP_1)
	v_cndmask_b32_e64 v4, v4, v65, s0
	v_lshlrev_b32_e32 v4, 2, v4
	ds_bpermute_b32 v1, v4, v1
	s_and_saveexec_b32 s0, s2
	s_cbranch_execz .LBB1632_73
; %bb.72:
	v_dual_mov_b32 v3, 0 :: v_dual_mov_b32 v20, 2
	s_wait_dscnt 0x1
	global_store_b64 v3, v[19:20], s[20:21] offset:256 scope:SCOPE_DEV
.LBB1632_73:
	s_wait_alu 0xfffe
	s_or_b32 exec_lo, exec_lo, s0
	s_wait_dscnt 0x0
	s_wait_alu 0xfffd
	v_cndmask_b32_e32 v1, v1, v2, vcc_lo
	s_wait_loadcnt 0x0
	s_wait_storecnt 0x0
	s_barrier_signal -1
	s_barrier_wait -1
	global_inv scope:SCOPE_SE
	v_cndmask_b32_e64 v1, v1, 0, s2
	v_mov_b32_e32 v20, 0
	s_delay_alu instid0(VALU_DEP_2) | instskip(NEXT) | instid1(VALU_DEP_1)
	v_add_nc_u32_e32 v2, v1, v56
	v_add_nc_u32_e32 v3, v2, v57
	s_delay_alu instid0(VALU_DEP_1) | instskip(NEXT) | instid1(VALU_DEP_1)
	v_add_nc_u32_e32 v4, v3, v58
	v_add_nc_u32_e32 v5, v4, v55
	s_delay_alu instid0(VALU_DEP_1) | instskip(NEXT) | instid1(VALU_DEP_1)
	;; [unrolled: 3-line block ×5, first 2 shown]
	v_add_nc_u32_e32 v12, v11, v64
	v_add_nc_u32_e32 v13, v12, v51
.LBB1632_74:
	s_wait_dscnt 0x0
	v_sub_nc_u32_e32 v1, v1, v20
	v_sub_nc_u32_e32 v2, v2, v20
	v_add_nc_u32_e32 v48, v19, v48
	v_lshrrev_b32_e32 v58, 8, v54
	v_lshrrev_b32_e32 v57, 16, v54
	v_sub_nc_u32_e32 v4, v4, v20
	v_sub_nc_u32_e32 v3, v3, v20
	;; [unrolled: 1-line block ×3, first 2 shown]
	v_and_b32_e32 v54, 1, v54
	v_and_b32_e32 v58, 1, v58
	;; [unrolled: 1-line block ×3, first 2 shown]
	v_lshrrev_b32_e32 v56, 8, v52
	v_lshrrev_b32_e32 v16, 16, v52
	v_cmp_eq_u32_e32 vcc_lo, 1, v54
	v_and_b32_e32 v54, 1, v57
	v_sub_nc_u32_e32 v57, v48, v2
	v_lshrrev_b32_e32 v15, 8, v50
	v_lshrrev_b32_e32 v14, 16, v50
	s_wait_alu 0xfffd
	v_cndmask_b32_e32 v1, v59, v1, vcc_lo
	v_cmp_eq_u32_e32 vcc_lo, 1, v58
	v_add_nc_u32_e32 v57, 1, v57
	s_delay_alu instid0(VALU_DEP_3)
	v_lshlrev_b32_e32 v1, 2, v1
	ds_store_b32 v1, v31
	s_wait_alu 0xfffd
	v_cndmask_b32_e32 v1, v57, v2, vcc_lo
	v_sub_nc_u32_e32 v59, v48, v3
	v_sub_nc_u32_e32 v60, v48, v4
	v_cmp_eq_u32_e32 vcc_lo, 1, v54
	s_delay_alu instid0(VALU_DEP_4) | instskip(NEXT) | instid1(VALU_DEP_4)
	v_lshlrev_b32_e32 v1, 2, v1
	v_add_nc_u32_e32 v59, 2, v59
	s_delay_alu instid0(VALU_DEP_4)
	v_add_nc_u32_e32 v60, 3, v60
	ds_store_b32 v1, v32
	s_wait_alu 0xfffd
	v_cndmask_b32_e32 v2, v59, v3, vcc_lo
	v_cmp_eq_u32_e32 vcc_lo, 1, v55
	s_wait_alu 0xfffd
	s_delay_alu instid0(VALU_DEP_2) | instskip(SKIP_2) | instid1(VALU_DEP_3)
	v_dual_cndmask_b32 v3, v60, v4 :: v_dual_lshlrev_b32 v2, 2, v2
	v_sub_nc_u32_e32 v4, v5, v20
	v_sub_nc_u32_e32 v5, v6, v20
	v_lshlrev_b32_e32 v3, 2, v3
	s_delay_alu instid0(VALU_DEP_3) | instskip(NEXT) | instid1(VALU_DEP_3)
	v_sub_nc_u32_e32 v1, v48, v4
	v_sub_nc_u32_e32 v6, v48, v5
	ds_store_b32 v2, v29
	ds_store_b32 v3, v30
	v_and_b32_e32 v2, 1, v52
	v_add_nc_u32_e32 v1, 4, v1
	v_add_nc_u32_e32 v3, 5, v6
	v_sub_nc_u32_e32 v6, v7, v20
	v_and_b32_e32 v7, 1, v56
	v_cmp_eq_u32_e32 vcc_lo, 1, v2
	v_sub_nc_u32_e32 v2, v8, v20
	s_wait_alu 0xfffd
	v_dual_cndmask_b32 v1, v1, v4 :: v_dual_and_b32 v8, 1, v53
	v_sub_nc_u32_e32 v4, v48, v6
	v_cmp_eq_u32_e32 vcc_lo, 1, v7
	v_and_b32_e32 v7, 1, v16
	s_delay_alu instid0(VALU_DEP_4)
	v_lshlrev_b32_e32 v1, 2, v1
	s_wait_alu 0xfffd
	v_dual_cndmask_b32 v3, v3, v5 :: v_dual_add_nc_u32 v4, 6, v4
	v_sub_nc_u32_e32 v5, v48, v2
	v_cmp_eq_u32_e32 vcc_lo, 1, v7
	v_sub_nc_u32_e32 v7, v13, v20
	s_delay_alu instid0(VALU_DEP_4)
	v_lshlrev_b32_e32 v3, 2, v3
	s_wait_alu 0xfffd
	v_dual_cndmask_b32 v4, v4, v6 :: v_dual_add_nc_u32 v5, 7, v5
	v_cmp_eq_u32_e32 vcc_lo, 1, v8
	v_sub_nc_u32_e32 v6, v9, v20
	ds_store_b32 v1, v27
	ds_store_b32 v3, v28
	s_wait_alu 0xfffd
	v_dual_cndmask_b32 v2, v5, v2 :: v_dual_lshlrev_b32 v3, 2, v4
	v_sub_nc_u32_e32 v1, v48, v6
	v_and_b32_e32 v5, 1, v50
	v_sub_nc_u32_e32 v4, v10, v20
	v_and_b32_e32 v10, 1, v51
	v_lshlrev_b32_e32 v2, 2, v2
	v_add_nc_u32_e32 v1, 8, v1
	ds_store_b32 v3, v25
	ds_store_b32 v2, v26
	v_cmp_eq_u32_e32 vcc_lo, 1, v5
	v_sub_nc_u32_e32 v3, v11, v20
	v_sub_nc_u32_e32 v2, v48, v4
	;; [unrolled: 1-line block ×3, first 2 shown]
	v_and_b32_e32 v11, 1, v49
	s_wait_alu 0xfffd
	v_dual_cndmask_b32 v1, v1, v6 :: v_dual_and_b32 v6, 1, v15
	v_sub_nc_u32_e32 v8, v48, v3
	v_add_nc_u32_e32 v2, 9, v2
	v_sub_nc_u32_e32 v9, v48, v5
	s_delay_alu instid0(VALU_DEP_4)
	v_lshlrev_b32_e32 v1, 2, v1
	v_cmp_eq_u32_e32 vcc_lo, 1, v6
	v_add_nc_u32_e32 v6, 10, v8
	v_and_b32_e32 v8, 1, v14
	v_add_nc_u32_e32 v9, 11, v9
	v_add_co_u32 v15, s0, v17, v20
	s_wait_alu 0xfffd
	v_cndmask_b32_e32 v2, v2, v4, vcc_lo
	v_cmp_eq_u32_e32 vcc_lo, 1, v8
	v_sub_nc_u32_e32 v4, v48, v7
	s_wait_alu 0xf1ff
	v_add_co_ci_u32_e64 v16, null, 0, v18, s0
	s_wait_alu 0xfffd
	v_dual_cndmask_b32 v3, v6, v3 :: v_dual_lshlrev_b32 v2, 2, v2
	v_cmp_eq_u32_e32 vcc_lo, 1, v10
	v_add_nc_u32_e32 v4, 12, v4
	s_delay_alu instid0(VALU_DEP_3) | instskip(SKIP_4) | instid1(VALU_DEP_2)
	v_lshlrev_b32_e32 v3, 2, v3
	s_wait_alu 0xfffd
	v_cndmask_b32_e32 v5, v9, v5, vcc_lo
	v_cmp_eq_u32_e32 vcc_lo, 1, v11
	s_wait_alu 0xfffd
	v_dual_cndmask_b32 v4, v4, v7 :: v_dual_lshlrev_b32 v5, 2, v5
	v_cmp_ne_u32_e32 vcc_lo, 1, v46
	s_delay_alu instid0(VALU_DEP_2)
	v_lshlrev_b32_e32 v4, 2, v4
	ds_store_b32 v1, v23
	ds_store_b32 v2, v24
	;; [unrolled: 1-line block ×5, first 2 shown]
	s_wait_loadcnt_dscnt 0x0
	s_barrier_signal -1
	s_barrier_wait -1
	global_inv scope:SCOPE_SE
	ds_load_2addr_stride64_b32 v[11:12], v45 offset1:4
	ds_load_2addr_stride64_b32 v[9:10], v45 offset0:8 offset1:12
	ds_load_2addr_stride64_b32 v[7:8], v45 offset0:16 offset1:20
	;; [unrolled: 1-line block ×5, first 2 shown]
	ds_load_b32 v21, v45 offset:12288
	s_cbranch_vccnz .LBB1632_131
; %bb.75:
	s_mov_b32 s15, 0
	v_sub_co_u32 v13, vcc_lo, v15, s16
	s_wait_alu 0xfffe
	s_sub_nc_u64 s[0:1], s[18:19], s[14:15]
	s_wait_alu 0xfffd
	v_subrev_co_ci_u32_e64 v14, null, s17, v16, vcc_lo
	s_wait_alu 0xfffe
	v_add_co_u32 v17, s0, s0, v19
	s_wait_alu 0xf1ff
	v_add_co_ci_u32_e64 v18, null, s1, 0, s0
	s_mov_b32 s0, exec_lo
	v_add_co_u32 v17, vcc_lo, v17, v13
	s_wait_alu 0xfffd
	v_add_co_ci_u32_e64 v18, null, v18, v14, vcc_lo
                                        ; implicit-def: $vgpr13_vgpr14
	v_cmpx_ge_u32_e64 v0, v19
	s_wait_alu 0xfffe
	s_xor_b32 s0, exec_lo, s0
; %bb.76:
	v_not_b32_e32 v13, v0
	s_delay_alu instid0(VALU_DEP_1) | instskip(SKIP_2) | instid1(VALU_DEP_2)
	v_ashrrev_i32_e32 v14, 31, v13
	v_add_co_u32 v13, vcc_lo, v17, v13
	s_wait_alu 0xfffd
	v_add_co_ci_u32_e64 v14, null, v18, v14, vcc_lo
; %bb.77:
	s_wait_alu 0xfffe
	s_and_not1_saveexec_b32 s0, s0
; %bb.78:
	v_add_co_u32 v13, vcc_lo, v15, v0
	s_wait_alu 0xfffd
	v_add_co_ci_u32_e64 v14, null, 0, v16, vcc_lo
; %bb.79:
	s_wait_alu 0xfffe
	s_or_b32 exec_lo, exec_lo, s0
	s_delay_alu instid0(VALU_DEP_1) | instskip(SKIP_1) | instid1(VALU_DEP_1)
	v_lshlrev_b64_e32 v[13:14], 2, v[13:14]
	s_mov_b32 s0, exec_lo
	v_add_co_u32 v13, vcc_lo, s10, v13
	s_wait_alu 0xfffd
	s_delay_alu instid0(VALU_DEP_2)
	v_add_co_ci_u32_e64 v14, null, s11, v14, vcc_lo
	s_wait_dscnt 0x6
	global_store_b32 v[13:14], v11, off
                                        ; implicit-def: $vgpr13_vgpr14
	v_cmpx_ge_u32_e64 v44, v19
	s_wait_alu 0xfffe
	s_xor_b32 s0, exec_lo, s0
; %bb.80:
	v_xor_b32_e32 v13, 0xfffffeff, v0
	s_delay_alu instid0(VALU_DEP_1) | instskip(SKIP_2) | instid1(VALU_DEP_2)
	v_ashrrev_i32_e32 v14, 31, v13
	v_add_co_u32 v13, vcc_lo, v17, v13
	s_wait_alu 0xfffd
	v_add_co_ci_u32_e64 v14, null, v18, v14, vcc_lo
; %bb.81:
	s_wait_alu 0xfffe
	s_and_not1_saveexec_b32 s0, s0
; %bb.82:
	v_add_co_u32 v13, vcc_lo, v15, v44
	s_wait_alu 0xfffd
	v_add_co_ci_u32_e64 v14, null, 0, v16, vcc_lo
; %bb.83:
	s_wait_alu 0xfffe
	s_or_b32 exec_lo, exec_lo, s0
	s_delay_alu instid0(VALU_DEP_1) | instskip(SKIP_1) | instid1(VALU_DEP_1)
	v_lshlrev_b64_e32 v[13:14], 2, v[13:14]
	s_mov_b32 s0, exec_lo
	v_add_co_u32 v13, vcc_lo, s10, v13
	s_wait_alu 0xfffd
	s_delay_alu instid0(VALU_DEP_2)
	v_add_co_ci_u32_e64 v14, null, s11, v14, vcc_lo
	global_store_b32 v[13:14], v12, off
                                        ; implicit-def: $vgpr13_vgpr14
	v_cmpx_ge_u32_e64 v43, v19
	s_wait_alu 0xfffe
	s_xor_b32 s0, exec_lo, s0
; %bb.84:
	v_xor_b32_e32 v13, 0xfffffdff, v0
	s_delay_alu instid0(VALU_DEP_1) | instskip(SKIP_2) | instid1(VALU_DEP_2)
	v_ashrrev_i32_e32 v14, 31, v13
	v_add_co_u32 v13, vcc_lo, v17, v13
	s_wait_alu 0xfffd
	v_add_co_ci_u32_e64 v14, null, v18, v14, vcc_lo
; %bb.85:
	s_wait_alu 0xfffe
	s_and_not1_saveexec_b32 s0, s0
; %bb.86:
	v_add_co_u32 v13, vcc_lo, v15, v43
	s_wait_alu 0xfffd
	v_add_co_ci_u32_e64 v14, null, 0, v16, vcc_lo
; %bb.87:
	s_wait_alu 0xfffe
	s_or_b32 exec_lo, exec_lo, s0
	s_delay_alu instid0(VALU_DEP_1) | instskip(SKIP_1) | instid1(VALU_DEP_1)
	v_lshlrev_b64_e32 v[13:14], 2, v[13:14]
	s_mov_b32 s0, exec_lo
	v_add_co_u32 v13, vcc_lo, s10, v13
	s_wait_alu 0xfffd
	s_delay_alu instid0(VALU_DEP_2)
	v_add_co_ci_u32_e64 v14, null, s11, v14, vcc_lo
	s_wait_dscnt 0x5
	global_store_b32 v[13:14], v9, off
                                        ; implicit-def: $vgpr13_vgpr14
	v_cmpx_ge_u32_e64 v42, v19
	s_wait_alu 0xfffe
	s_xor_b32 s0, exec_lo, s0
; %bb.88:
	v_xor_b32_e32 v13, 0xfffffcff, v0
	s_delay_alu instid0(VALU_DEP_1) | instskip(SKIP_2) | instid1(VALU_DEP_2)
	v_ashrrev_i32_e32 v14, 31, v13
	v_add_co_u32 v13, vcc_lo, v17, v13
	s_wait_alu 0xfffd
	v_add_co_ci_u32_e64 v14, null, v18, v14, vcc_lo
; %bb.89:
	s_wait_alu 0xfffe
	s_and_not1_saveexec_b32 s0, s0
; %bb.90:
	v_add_co_u32 v13, vcc_lo, v15, v42
	s_wait_alu 0xfffd
	v_add_co_ci_u32_e64 v14, null, 0, v16, vcc_lo
; %bb.91:
	s_wait_alu 0xfffe
	s_or_b32 exec_lo, exec_lo, s0
	s_delay_alu instid0(VALU_DEP_1) | instskip(SKIP_1) | instid1(VALU_DEP_1)
	v_lshlrev_b64_e32 v[13:14], 2, v[13:14]
	s_mov_b32 s0, exec_lo
	v_add_co_u32 v13, vcc_lo, s10, v13
	s_wait_alu 0xfffd
	s_delay_alu instid0(VALU_DEP_2)
	v_add_co_ci_u32_e64 v14, null, s11, v14, vcc_lo
	global_store_b32 v[13:14], v10, off
                                        ; implicit-def: $vgpr13_vgpr14
	v_cmpx_ge_u32_e64 v41, v19
	s_wait_alu 0xfffe
	s_xor_b32 s0, exec_lo, s0
; %bb.92:
	v_xor_b32_e32 v13, 0xfffffbff, v0
	;; [unrolled: 59-line block ×6, first 2 shown]
	s_delay_alu instid0(VALU_DEP_1) | instskip(SKIP_2) | instid1(VALU_DEP_2)
	v_ashrrev_i32_e32 v14, 31, v13
	v_add_co_u32 v13, vcc_lo, v17, v13
	s_wait_alu 0xfffd
	v_add_co_ci_u32_e64 v14, null, v18, v14, vcc_lo
; %bb.125:
	s_wait_alu 0xfffe
	s_and_not1_saveexec_b32 s0, s0
; %bb.126:
	v_add_co_u32 v13, vcc_lo, v15, v33
	s_wait_alu 0xfffd
	v_add_co_ci_u32_e64 v14, null, 0, v16, vcc_lo
; %bb.127:
	s_wait_alu 0xfffe
	s_or_b32 exec_lo, exec_lo, s0
	s_mov_b32 s0, -1
.LBB1632_128:
	s_wait_alu 0xfffe
	s_and_saveexec_b32 s1, s0
	s_cbranch_execz .LBB1632_211
.LBB1632_129:
	s_wait_dscnt 0x1
	v_lshlrev_b64_e32 v[0:1], 2, v[13:14]
	s_delay_alu instid0(VALU_DEP_1) | instskip(SKIP_1) | instid1(VALU_DEP_2)
	v_add_co_u32 v0, vcc_lo, s10, v0
	s_wait_alu 0xfffd
	v_add_co_ci_u32_e64 v1, null, s11, v1, vcc_lo
	s_wait_dscnt 0x0
	global_store_b32 v[0:1], v21, off
	s_wait_alu 0xfffe
	s_or_b32 exec_lo, exec_lo, s1
	s_and_b32 s0, s2, s9
	s_wait_alu 0xfffe
	s_and_saveexec_b32 s1, s0
	s_cbranch_execnz .LBB1632_212
.LBB1632_130:
	s_endpgm
.LBB1632_131:
	s_mov_b32 s0, 0
                                        ; implicit-def: $vgpr13_vgpr14
	s_cbranch_execz .LBB1632_128
; %bb.132:
	s_mov_b32 s15, 0
	s_wait_alu 0xfffe
	s_add_nc_u64 s[4:5], s[16:17], s[14:15]
	s_wait_alu 0xfffe
	s_sub_nc_u64 s[4:5], s[18:19], s[4:5]
	s_wait_alu 0xfffe
	v_add_co_u32 v13, s1, s4, v19
	s_wait_alu 0xf1ff
	v_add_co_ci_u32_e64 v14, null, s5, 0, s1
	s_mov_b32 s1, exec_lo
	v_add_co_u32 v17, vcc_lo, v13, v15
	s_wait_alu 0xfffd
	v_add_co_ci_u32_e64 v18, null, v14, v16, vcc_lo
	v_cmpx_gt_u32_e64 s22, v0
	s_cbranch_execz .LBB1632_168
; %bb.133:
	s_mov_b32 s3, exec_lo
                                        ; implicit-def: $vgpr13_vgpr14
	v_cmpx_ge_u32_e64 v0, v19
	s_wait_alu 0xfffe
	s_xor_b32 s3, exec_lo, s3
; %bb.134:
	v_not_b32_e32 v13, v0
	s_delay_alu instid0(VALU_DEP_1) | instskip(SKIP_2) | instid1(VALU_DEP_2)
	v_ashrrev_i32_e32 v14, 31, v13
	v_add_co_u32 v13, vcc_lo, v17, v13
	s_wait_alu 0xfffd
	v_add_co_ci_u32_e64 v14, null, v18, v14, vcc_lo
; %bb.135:
	s_wait_alu 0xfffe
	s_and_not1_saveexec_b32 s3, s3
; %bb.136:
	v_add_co_u32 v13, vcc_lo, v15, v0
	s_wait_alu 0xfffd
	v_add_co_ci_u32_e64 v14, null, 0, v16, vcc_lo
; %bb.137:
	s_wait_alu 0xfffe
	s_or_b32 exec_lo, exec_lo, s3
	s_delay_alu instid0(VALU_DEP_1) | instskip(NEXT) | instid1(VALU_DEP_1)
	v_lshlrev_b64_e32 v[13:14], 2, v[13:14]
	v_add_co_u32 v13, vcc_lo, s10, v13
	s_wait_alu 0xfffd
	s_delay_alu instid0(VALU_DEP_2) | instskip(SKIP_3) | instid1(SALU_CYCLE_1)
	v_add_co_ci_u32_e64 v14, null, s11, v14, vcc_lo
	s_wait_dscnt 0x6
	global_store_b32 v[13:14], v11, off
	s_or_b32 exec_lo, exec_lo, s1
	s_mov_b32 s1, exec_lo
	v_cmpx_gt_u32_e64 s22, v44
	s_cbranch_execnz .LBB1632_169
.LBB1632_138:
	s_wait_alu 0xfffe
	s_or_b32 exec_lo, exec_lo, s1
	s_delay_alu instid0(SALU_CYCLE_1)
	s_mov_b32 s1, exec_lo
	v_cmpx_gt_u32_e64 s22, v43
	s_cbranch_execz .LBB1632_174
.LBB1632_139:
	s_mov_b32 s3, exec_lo
                                        ; implicit-def: $vgpr11_vgpr12
	v_cmpx_ge_u32_e64 v43, v19
	s_wait_alu 0xfffe
	s_xor_b32 s3, exec_lo, s3
	s_cbranch_execz .LBB1632_141
; %bb.140:
	s_wait_dscnt 0x6
	v_xor_b32_e32 v11, 0xfffffdff, v0
                                        ; implicit-def: $vgpr43
	s_delay_alu instid0(VALU_DEP_1) | instskip(SKIP_2) | instid1(VALU_DEP_2)
	v_ashrrev_i32_e32 v12, 31, v11
	v_add_co_u32 v11, vcc_lo, v17, v11
	s_wait_alu 0xfffd
	v_add_co_ci_u32_e64 v12, null, v18, v12, vcc_lo
.LBB1632_141:
	s_wait_alu 0xfffe
	s_and_not1_saveexec_b32 s3, s3
	s_cbranch_execz .LBB1632_143
; %bb.142:
	s_wait_dscnt 0x6
	v_add_co_u32 v11, vcc_lo, v15, v43
	s_wait_alu 0xfffd
	v_add_co_ci_u32_e64 v12, null, 0, v16, vcc_lo
.LBB1632_143:
	s_wait_alu 0xfffe
	s_or_b32 exec_lo, exec_lo, s3
	s_wait_dscnt 0x6
	s_delay_alu instid0(VALU_DEP_1) | instskip(NEXT) | instid1(VALU_DEP_1)
	v_lshlrev_b64_e32 v[11:12], 2, v[11:12]
	v_add_co_u32 v11, vcc_lo, s10, v11
	s_wait_alu 0xfffd
	s_delay_alu instid0(VALU_DEP_2) | instskip(SKIP_3) | instid1(SALU_CYCLE_1)
	v_add_co_ci_u32_e64 v12, null, s11, v12, vcc_lo
	s_wait_dscnt 0x5
	global_store_b32 v[11:12], v9, off
	s_or_b32 exec_lo, exec_lo, s1
	s_mov_b32 s1, exec_lo
	v_cmpx_gt_u32_e64 s22, v42
	s_cbranch_execnz .LBB1632_175
.LBB1632_144:
	s_wait_alu 0xfffe
	s_or_b32 exec_lo, exec_lo, s1
	s_delay_alu instid0(SALU_CYCLE_1)
	s_mov_b32 s1, exec_lo
	v_cmpx_gt_u32_e64 s22, v41
	s_cbranch_execz .LBB1632_180
.LBB1632_145:
	s_mov_b32 s3, exec_lo
                                        ; implicit-def: $vgpr9_vgpr10
	v_cmpx_ge_u32_e64 v41, v19
	s_wait_alu 0xfffe
	s_xor_b32 s3, exec_lo, s3
	s_cbranch_execz .LBB1632_147
; %bb.146:
	s_wait_dscnt 0x5
	v_xor_b32_e32 v9, 0xfffffbff, v0
                                        ; implicit-def: $vgpr41
	s_delay_alu instid0(VALU_DEP_1) | instskip(SKIP_2) | instid1(VALU_DEP_2)
	v_ashrrev_i32_e32 v10, 31, v9
	v_add_co_u32 v9, vcc_lo, v17, v9
	s_wait_alu 0xfffd
	v_add_co_ci_u32_e64 v10, null, v18, v10, vcc_lo
.LBB1632_147:
	s_wait_alu 0xfffe
	s_and_not1_saveexec_b32 s3, s3
	s_cbranch_execz .LBB1632_149
; %bb.148:
	s_wait_dscnt 0x5
	v_add_co_u32 v9, vcc_lo, v15, v41
	s_wait_alu 0xfffd
	v_add_co_ci_u32_e64 v10, null, 0, v16, vcc_lo
.LBB1632_149:
	s_wait_alu 0xfffe
	s_or_b32 exec_lo, exec_lo, s3
	s_wait_dscnt 0x5
	s_delay_alu instid0(VALU_DEP_1) | instskip(NEXT) | instid1(VALU_DEP_1)
	v_lshlrev_b64_e32 v[9:10], 2, v[9:10]
	v_add_co_u32 v9, vcc_lo, s10, v9
	s_wait_alu 0xfffd
	s_delay_alu instid0(VALU_DEP_2) | instskip(SKIP_3) | instid1(SALU_CYCLE_1)
	v_add_co_ci_u32_e64 v10, null, s11, v10, vcc_lo
	s_wait_dscnt 0x4
	global_store_b32 v[9:10], v7, off
	s_or_b32 exec_lo, exec_lo, s1
	s_mov_b32 s1, exec_lo
	v_cmpx_gt_u32_e64 s22, v40
	s_cbranch_execnz .LBB1632_181
.LBB1632_150:
	s_wait_alu 0xfffe
	s_or_b32 exec_lo, exec_lo, s1
	s_delay_alu instid0(SALU_CYCLE_1)
	s_mov_b32 s1, exec_lo
	v_cmpx_gt_u32_e64 s22, v39
	s_cbranch_execz .LBB1632_186
.LBB1632_151:
	s_mov_b32 s3, exec_lo
                                        ; implicit-def: $vgpr7_vgpr8
	v_cmpx_ge_u32_e64 v39, v19
	s_wait_alu 0xfffe
	s_xor_b32 s3, exec_lo, s3
	s_cbranch_execz .LBB1632_153
; %bb.152:
	s_wait_dscnt 0x4
	v_xor_b32_e32 v7, 0xfffff9ff, v0
                                        ; implicit-def: $vgpr39
	s_delay_alu instid0(VALU_DEP_1) | instskip(SKIP_2) | instid1(VALU_DEP_2)
	v_ashrrev_i32_e32 v8, 31, v7
	v_add_co_u32 v7, vcc_lo, v17, v7
	s_wait_alu 0xfffd
	v_add_co_ci_u32_e64 v8, null, v18, v8, vcc_lo
.LBB1632_153:
	s_wait_alu 0xfffe
	s_and_not1_saveexec_b32 s3, s3
	s_cbranch_execz .LBB1632_155
; %bb.154:
	s_wait_dscnt 0x4
	v_add_co_u32 v7, vcc_lo, v15, v39
	s_wait_alu 0xfffd
	v_add_co_ci_u32_e64 v8, null, 0, v16, vcc_lo
.LBB1632_155:
	s_wait_alu 0xfffe
	s_or_b32 exec_lo, exec_lo, s3
	s_wait_dscnt 0x4
	s_delay_alu instid0(VALU_DEP_1) | instskip(NEXT) | instid1(VALU_DEP_1)
	v_lshlrev_b64_e32 v[7:8], 2, v[7:8]
	v_add_co_u32 v7, vcc_lo, s10, v7
	s_wait_alu 0xfffd
	s_delay_alu instid0(VALU_DEP_2) | instskip(SKIP_3) | instid1(SALU_CYCLE_1)
	v_add_co_ci_u32_e64 v8, null, s11, v8, vcc_lo
	s_wait_dscnt 0x3
	global_store_b32 v[7:8], v5, off
	s_or_b32 exec_lo, exec_lo, s1
	s_mov_b32 s1, exec_lo
	v_cmpx_gt_u32_e64 s22, v38
	s_cbranch_execnz .LBB1632_187
.LBB1632_156:
	s_wait_alu 0xfffe
	s_or_b32 exec_lo, exec_lo, s1
	s_delay_alu instid0(SALU_CYCLE_1)
	s_mov_b32 s1, exec_lo
	v_cmpx_gt_u32_e64 s22, v37
	s_cbranch_execz .LBB1632_192
.LBB1632_157:
	s_mov_b32 s3, exec_lo
                                        ; implicit-def: $vgpr5_vgpr6
	v_cmpx_ge_u32_e64 v37, v19
	s_wait_alu 0xfffe
	s_xor_b32 s3, exec_lo, s3
	s_cbranch_execz .LBB1632_159
; %bb.158:
	s_wait_dscnt 0x3
	v_xor_b32_e32 v5, 0xfffff7ff, v0
                                        ; implicit-def: $vgpr37
	s_delay_alu instid0(VALU_DEP_1) | instskip(SKIP_2) | instid1(VALU_DEP_2)
	v_ashrrev_i32_e32 v6, 31, v5
	v_add_co_u32 v5, vcc_lo, v17, v5
	s_wait_alu 0xfffd
	v_add_co_ci_u32_e64 v6, null, v18, v6, vcc_lo
.LBB1632_159:
	s_wait_alu 0xfffe
	s_and_not1_saveexec_b32 s3, s3
	s_cbranch_execz .LBB1632_161
; %bb.160:
	s_wait_dscnt 0x3
	v_add_co_u32 v5, vcc_lo, v15, v37
	s_wait_alu 0xfffd
	v_add_co_ci_u32_e64 v6, null, 0, v16, vcc_lo
.LBB1632_161:
	s_wait_alu 0xfffe
	s_or_b32 exec_lo, exec_lo, s3
	s_wait_dscnt 0x3
	s_delay_alu instid0(VALU_DEP_1) | instskip(NEXT) | instid1(VALU_DEP_1)
	v_lshlrev_b64_e32 v[5:6], 2, v[5:6]
	v_add_co_u32 v5, vcc_lo, s10, v5
	s_wait_alu 0xfffd
	s_delay_alu instid0(VALU_DEP_2) | instskip(SKIP_3) | instid1(SALU_CYCLE_1)
	v_add_co_ci_u32_e64 v6, null, s11, v6, vcc_lo
	s_wait_dscnt 0x2
	global_store_b32 v[5:6], v3, off
	s_or_b32 exec_lo, exec_lo, s1
	s_mov_b32 s1, exec_lo
	v_cmpx_gt_u32_e64 s22, v36
	s_cbranch_execnz .LBB1632_193
.LBB1632_162:
	s_wait_alu 0xfffe
	s_or_b32 exec_lo, exec_lo, s1
	s_delay_alu instid0(SALU_CYCLE_1)
	s_mov_b32 s1, exec_lo
	v_cmpx_gt_u32_e64 s22, v35
	s_cbranch_execz .LBB1632_198
.LBB1632_163:
	s_mov_b32 s3, exec_lo
                                        ; implicit-def: $vgpr3_vgpr4
	v_cmpx_ge_u32_e64 v35, v19
	s_wait_alu 0xfffe
	s_xor_b32 s3, exec_lo, s3
	s_cbranch_execz .LBB1632_165
; %bb.164:
	s_wait_dscnt 0x2
	v_xor_b32_e32 v3, 0xfffff5ff, v0
                                        ; implicit-def: $vgpr35
	s_delay_alu instid0(VALU_DEP_1) | instskip(SKIP_2) | instid1(VALU_DEP_2)
	v_ashrrev_i32_e32 v4, 31, v3
	v_add_co_u32 v3, vcc_lo, v17, v3
	s_wait_alu 0xfffd
	v_add_co_ci_u32_e64 v4, null, v18, v4, vcc_lo
.LBB1632_165:
	s_wait_alu 0xfffe
	s_and_not1_saveexec_b32 s3, s3
	s_cbranch_execz .LBB1632_167
; %bb.166:
	s_wait_dscnt 0x2
	v_add_co_u32 v3, vcc_lo, v15, v35
	s_wait_alu 0xfffd
	v_add_co_ci_u32_e64 v4, null, 0, v16, vcc_lo
.LBB1632_167:
	s_wait_alu 0xfffe
	s_or_b32 exec_lo, exec_lo, s3
	s_wait_dscnt 0x2
	s_delay_alu instid0(VALU_DEP_1) | instskip(NEXT) | instid1(VALU_DEP_1)
	v_lshlrev_b64_e32 v[3:4], 2, v[3:4]
	v_add_co_u32 v3, vcc_lo, s10, v3
	s_wait_alu 0xfffd
	s_delay_alu instid0(VALU_DEP_2) | instskip(SKIP_3) | instid1(SALU_CYCLE_1)
	v_add_co_ci_u32_e64 v4, null, s11, v4, vcc_lo
	s_wait_dscnt 0x1
	global_store_b32 v[3:4], v1, off
	s_or_b32 exec_lo, exec_lo, s1
	s_mov_b32 s1, exec_lo
	v_cmpx_gt_u32_e64 s22, v34
	s_cbranch_execz .LBB1632_204
	s_branch .LBB1632_199
.LBB1632_168:
	s_wait_alu 0xfffe
	s_or_b32 exec_lo, exec_lo, s1
	s_delay_alu instid0(SALU_CYCLE_1)
	s_mov_b32 s1, exec_lo
	v_cmpx_gt_u32_e64 s22, v44
	s_cbranch_execz .LBB1632_138
.LBB1632_169:
	s_mov_b32 s3, exec_lo
                                        ; implicit-def: $vgpr13_vgpr14
	v_cmpx_ge_u32_e64 v44, v19
	s_wait_alu 0xfffe
	s_xor_b32 s3, exec_lo, s3
	s_cbranch_execz .LBB1632_171
; %bb.170:
	s_wait_dscnt 0x6
	v_xor_b32_e32 v11, 0xfffffeff, v0
                                        ; implicit-def: $vgpr44
	s_delay_alu instid0(VALU_DEP_1) | instskip(SKIP_2) | instid1(VALU_DEP_2)
	v_ashrrev_i32_e32 v14, 31, v11
	v_add_co_u32 v13, vcc_lo, v17, v11
	s_wait_alu 0xfffd
	v_add_co_ci_u32_e64 v14, null, v18, v14, vcc_lo
.LBB1632_171:
	s_wait_alu 0xfffe
	s_and_not1_saveexec_b32 s3, s3
; %bb.172:
	v_add_co_u32 v13, vcc_lo, v15, v44
	s_wait_alu 0xfffd
	v_add_co_ci_u32_e64 v14, null, 0, v16, vcc_lo
; %bb.173:
	s_wait_alu 0xfffe
	s_or_b32 exec_lo, exec_lo, s3
	s_delay_alu instid0(VALU_DEP_1) | instskip(NEXT) | instid1(VALU_DEP_1)
	v_lshlrev_b64_e32 v[13:14], 2, v[13:14]
	v_add_co_u32 v13, vcc_lo, s10, v13
	s_wait_alu 0xfffd
	s_delay_alu instid0(VALU_DEP_2) | instskip(SKIP_3) | instid1(SALU_CYCLE_1)
	v_add_co_ci_u32_e64 v14, null, s11, v14, vcc_lo
	s_wait_dscnt 0x6
	global_store_b32 v[13:14], v12, off
	s_or_b32 exec_lo, exec_lo, s1
	s_mov_b32 s1, exec_lo
	v_cmpx_gt_u32_e64 s22, v43
	s_cbranch_execnz .LBB1632_139
.LBB1632_174:
	s_wait_alu 0xfffe
	s_or_b32 exec_lo, exec_lo, s1
	s_delay_alu instid0(SALU_CYCLE_1)
	s_mov_b32 s1, exec_lo
	v_cmpx_gt_u32_e64 s22, v42
	s_cbranch_execz .LBB1632_144
.LBB1632_175:
	s_mov_b32 s3, exec_lo
                                        ; implicit-def: $vgpr11_vgpr12
	v_cmpx_ge_u32_e64 v42, v19
	s_wait_alu 0xfffe
	s_xor_b32 s3, exec_lo, s3
	s_cbranch_execz .LBB1632_177
; %bb.176:
	s_wait_dscnt 0x5
	v_xor_b32_e32 v9, 0xfffffcff, v0
                                        ; implicit-def: $vgpr42
	s_delay_alu instid0(VALU_DEP_1) | instskip(SKIP_2) | instid1(VALU_DEP_2)
	v_ashrrev_i32_e32 v12, 31, v9
	v_add_co_u32 v11, vcc_lo, v17, v9
	s_wait_alu 0xfffd
	v_add_co_ci_u32_e64 v12, null, v18, v12, vcc_lo
.LBB1632_177:
	s_wait_alu 0xfffe
	s_and_not1_saveexec_b32 s3, s3
	s_cbranch_execz .LBB1632_179
; %bb.178:
	s_wait_dscnt 0x6
	v_add_co_u32 v11, vcc_lo, v15, v42
	s_wait_alu 0xfffd
	v_add_co_ci_u32_e64 v12, null, 0, v16, vcc_lo
.LBB1632_179:
	s_wait_alu 0xfffe
	s_or_b32 exec_lo, exec_lo, s3
	s_wait_dscnt 0x6
	s_delay_alu instid0(VALU_DEP_1) | instskip(NEXT) | instid1(VALU_DEP_1)
	v_lshlrev_b64_e32 v[11:12], 2, v[11:12]
	v_add_co_u32 v11, vcc_lo, s10, v11
	s_wait_alu 0xfffd
	s_delay_alu instid0(VALU_DEP_2) | instskip(SKIP_3) | instid1(SALU_CYCLE_1)
	v_add_co_ci_u32_e64 v12, null, s11, v12, vcc_lo
	s_wait_dscnt 0x5
	global_store_b32 v[11:12], v10, off
	s_or_b32 exec_lo, exec_lo, s1
	s_mov_b32 s1, exec_lo
	v_cmpx_gt_u32_e64 s22, v41
	s_cbranch_execnz .LBB1632_145
.LBB1632_180:
	s_wait_alu 0xfffe
	s_or_b32 exec_lo, exec_lo, s1
	s_delay_alu instid0(SALU_CYCLE_1)
	s_mov_b32 s1, exec_lo
	v_cmpx_gt_u32_e64 s22, v40
	s_cbranch_execz .LBB1632_150
.LBB1632_181:
	s_mov_b32 s3, exec_lo
                                        ; implicit-def: $vgpr9_vgpr10
	v_cmpx_ge_u32_e64 v40, v19
	s_wait_alu 0xfffe
	s_xor_b32 s3, exec_lo, s3
	s_cbranch_execz .LBB1632_183
; %bb.182:
	s_wait_dscnt 0x4
	v_xor_b32_e32 v7, 0xfffffaff, v0
                                        ; implicit-def: $vgpr40
	s_delay_alu instid0(VALU_DEP_1) | instskip(SKIP_2) | instid1(VALU_DEP_2)
	v_ashrrev_i32_e32 v10, 31, v7
	v_add_co_u32 v9, vcc_lo, v17, v7
	s_wait_alu 0xfffd
	v_add_co_ci_u32_e64 v10, null, v18, v10, vcc_lo
.LBB1632_183:
	s_wait_alu 0xfffe
	s_and_not1_saveexec_b32 s3, s3
	s_cbranch_execz .LBB1632_185
; %bb.184:
	s_wait_dscnt 0x5
	v_add_co_u32 v9, vcc_lo, v15, v40
	s_wait_alu 0xfffd
	v_add_co_ci_u32_e64 v10, null, 0, v16, vcc_lo
.LBB1632_185:
	s_wait_alu 0xfffe
	s_or_b32 exec_lo, exec_lo, s3
	s_wait_dscnt 0x5
	s_delay_alu instid0(VALU_DEP_1) | instskip(NEXT) | instid1(VALU_DEP_1)
	v_lshlrev_b64_e32 v[9:10], 2, v[9:10]
	v_add_co_u32 v9, vcc_lo, s10, v9
	s_wait_alu 0xfffd
	s_delay_alu instid0(VALU_DEP_2) | instskip(SKIP_3) | instid1(SALU_CYCLE_1)
	v_add_co_ci_u32_e64 v10, null, s11, v10, vcc_lo
	s_wait_dscnt 0x4
	global_store_b32 v[9:10], v8, off
	s_or_b32 exec_lo, exec_lo, s1
	s_mov_b32 s1, exec_lo
	v_cmpx_gt_u32_e64 s22, v39
	s_cbranch_execnz .LBB1632_151
.LBB1632_186:
	s_wait_alu 0xfffe
	s_or_b32 exec_lo, exec_lo, s1
	s_delay_alu instid0(SALU_CYCLE_1)
	s_mov_b32 s1, exec_lo
	v_cmpx_gt_u32_e64 s22, v38
	s_cbranch_execz .LBB1632_156
.LBB1632_187:
	s_mov_b32 s3, exec_lo
                                        ; implicit-def: $vgpr7_vgpr8
	v_cmpx_ge_u32_e64 v38, v19
	s_wait_alu 0xfffe
	s_xor_b32 s3, exec_lo, s3
	s_cbranch_execz .LBB1632_189
; %bb.188:
	s_wait_dscnt 0x3
	v_xor_b32_e32 v5, 0xfffff8ff, v0
                                        ; implicit-def: $vgpr38
	s_delay_alu instid0(VALU_DEP_1) | instskip(SKIP_2) | instid1(VALU_DEP_2)
	v_ashrrev_i32_e32 v8, 31, v5
	v_add_co_u32 v7, vcc_lo, v17, v5
	s_wait_alu 0xfffd
	v_add_co_ci_u32_e64 v8, null, v18, v8, vcc_lo
.LBB1632_189:
	s_wait_alu 0xfffe
	s_and_not1_saveexec_b32 s3, s3
	s_cbranch_execz .LBB1632_191
; %bb.190:
	s_wait_dscnt 0x4
	v_add_co_u32 v7, vcc_lo, v15, v38
	s_wait_alu 0xfffd
	v_add_co_ci_u32_e64 v8, null, 0, v16, vcc_lo
.LBB1632_191:
	s_wait_alu 0xfffe
	s_or_b32 exec_lo, exec_lo, s3
	s_wait_dscnt 0x4
	s_delay_alu instid0(VALU_DEP_1) | instskip(NEXT) | instid1(VALU_DEP_1)
	v_lshlrev_b64_e32 v[7:8], 2, v[7:8]
	v_add_co_u32 v7, vcc_lo, s10, v7
	s_wait_alu 0xfffd
	s_delay_alu instid0(VALU_DEP_2) | instskip(SKIP_3) | instid1(SALU_CYCLE_1)
	v_add_co_ci_u32_e64 v8, null, s11, v8, vcc_lo
	s_wait_dscnt 0x3
	global_store_b32 v[7:8], v6, off
	s_or_b32 exec_lo, exec_lo, s1
	s_mov_b32 s1, exec_lo
	v_cmpx_gt_u32_e64 s22, v37
	s_cbranch_execnz .LBB1632_157
.LBB1632_192:
	s_wait_alu 0xfffe
	s_or_b32 exec_lo, exec_lo, s1
	s_delay_alu instid0(SALU_CYCLE_1)
	s_mov_b32 s1, exec_lo
	v_cmpx_gt_u32_e64 s22, v36
	s_cbranch_execz .LBB1632_162
.LBB1632_193:
	s_mov_b32 s3, exec_lo
                                        ; implicit-def: $vgpr5_vgpr6
	v_cmpx_ge_u32_e64 v36, v19
	s_wait_alu 0xfffe
	s_xor_b32 s3, exec_lo, s3
	s_cbranch_execz .LBB1632_195
; %bb.194:
	s_wait_dscnt 0x2
	v_xor_b32_e32 v3, 0xfffff6ff, v0
                                        ; implicit-def: $vgpr36
	s_delay_alu instid0(VALU_DEP_1) | instskip(SKIP_2) | instid1(VALU_DEP_2)
	v_ashrrev_i32_e32 v6, 31, v3
	v_add_co_u32 v5, vcc_lo, v17, v3
	s_wait_alu 0xfffd
	v_add_co_ci_u32_e64 v6, null, v18, v6, vcc_lo
.LBB1632_195:
	s_wait_alu 0xfffe
	s_and_not1_saveexec_b32 s3, s3
	s_cbranch_execz .LBB1632_197
; %bb.196:
	s_wait_dscnt 0x3
	v_add_co_u32 v5, vcc_lo, v15, v36
	s_wait_alu 0xfffd
	v_add_co_ci_u32_e64 v6, null, 0, v16, vcc_lo
.LBB1632_197:
	s_wait_alu 0xfffe
	s_or_b32 exec_lo, exec_lo, s3
	s_wait_dscnt 0x3
	s_delay_alu instid0(VALU_DEP_1) | instskip(NEXT) | instid1(VALU_DEP_1)
	v_lshlrev_b64_e32 v[5:6], 2, v[5:6]
	v_add_co_u32 v5, vcc_lo, s10, v5
	s_wait_alu 0xfffd
	s_delay_alu instid0(VALU_DEP_2) | instskip(SKIP_3) | instid1(SALU_CYCLE_1)
	v_add_co_ci_u32_e64 v6, null, s11, v6, vcc_lo
	s_wait_dscnt 0x2
	global_store_b32 v[5:6], v4, off
	s_or_b32 exec_lo, exec_lo, s1
	s_mov_b32 s1, exec_lo
	v_cmpx_gt_u32_e64 s22, v35
	s_cbranch_execnz .LBB1632_163
.LBB1632_198:
	s_wait_alu 0xfffe
	s_or_b32 exec_lo, exec_lo, s1
	s_delay_alu instid0(SALU_CYCLE_1)
	s_mov_b32 s1, exec_lo
	v_cmpx_gt_u32_e64 s22, v34
	s_cbranch_execz .LBB1632_204
.LBB1632_199:
	s_mov_b32 s3, exec_lo
                                        ; implicit-def: $vgpr3_vgpr4
	v_cmpx_ge_u32_e64 v34, v19
	s_wait_alu 0xfffe
	s_xor_b32 s3, exec_lo, s3
	s_cbranch_execz .LBB1632_201
; %bb.200:
	s_wait_dscnt 0x1
	v_xor_b32_e32 v1, 0xfffff4ff, v0
                                        ; implicit-def: $vgpr34
	s_delay_alu instid0(VALU_DEP_1) | instskip(SKIP_2) | instid1(VALU_DEP_2)
	v_ashrrev_i32_e32 v4, 31, v1
	v_add_co_u32 v3, vcc_lo, v17, v1
	s_wait_alu 0xfffd
	v_add_co_ci_u32_e64 v4, null, v18, v4, vcc_lo
.LBB1632_201:
	s_wait_alu 0xfffe
	s_and_not1_saveexec_b32 s3, s3
	s_cbranch_execz .LBB1632_203
; %bb.202:
	s_wait_dscnt 0x2
	v_add_co_u32 v3, vcc_lo, v15, v34
	s_wait_alu 0xfffd
	v_add_co_ci_u32_e64 v4, null, 0, v16, vcc_lo
.LBB1632_203:
	s_wait_alu 0xfffe
	s_or_b32 exec_lo, exec_lo, s3
	s_wait_dscnt 0x2
	s_delay_alu instid0(VALU_DEP_1) | instskip(NEXT) | instid1(VALU_DEP_1)
	v_lshlrev_b64_e32 v[3:4], 2, v[3:4]
	v_add_co_u32 v3, vcc_lo, s10, v3
	s_wait_alu 0xfffd
	s_delay_alu instid0(VALU_DEP_2)
	v_add_co_ci_u32_e64 v4, null, s11, v4, vcc_lo
	s_wait_dscnt 0x1
	global_store_b32 v[3:4], v2, off
.LBB1632_204:
	s_wait_alu 0xfffe
	s_or_b32 exec_lo, exec_lo, s1
	s_delay_alu instid0(SALU_CYCLE_1)
	s_mov_b32 s1, exec_lo
                                        ; implicit-def: $vgpr13_vgpr14
	v_cmpx_gt_u32_e64 s22, v33
	s_cbranch_execz .LBB1632_210
; %bb.205:
	s_mov_b32 s3, exec_lo
                                        ; implicit-def: $vgpr13_vgpr14
	v_cmpx_ge_u32_e64 v33, v19
	s_wait_alu 0xfffe
	s_xor_b32 s3, exec_lo, s3
	s_cbranch_execz .LBB1632_207
; %bb.206:
	v_xor_b32_e32 v0, 0xfffff3ff, v0
                                        ; implicit-def: $vgpr33
	s_wait_dscnt 0x1
	s_delay_alu instid0(VALU_DEP_1) | instskip(SKIP_2) | instid1(VALU_DEP_2)
	v_ashrrev_i32_e32 v1, 31, v0
	v_add_co_u32 v13, vcc_lo, v17, v0
	s_wait_alu 0xfffd
	v_add_co_ci_u32_e64 v14, null, v18, v1, vcc_lo
.LBB1632_207:
	s_wait_alu 0xfffe
	s_and_not1_saveexec_b32 s3, s3
; %bb.208:
	v_add_co_u32 v13, vcc_lo, v15, v33
	s_wait_alu 0xfffd
	v_add_co_ci_u32_e64 v14, null, 0, v16, vcc_lo
; %bb.209:
	s_wait_alu 0xfffe
	s_or_b32 exec_lo, exec_lo, s3
	s_delay_alu instid0(SALU_CYCLE_1)
	s_or_b32 s0, s0, exec_lo
.LBB1632_210:
	s_wait_alu 0xfffe
	s_or_b32 exec_lo, exec_lo, s1
	s_and_saveexec_b32 s1, s0
	s_cbranch_execnz .LBB1632_129
.LBB1632_211:
	s_wait_alu 0xfffe
	s_or_b32 exec_lo, exec_lo, s1
	s_and_b32 s0, s2, s9
	s_wait_alu 0xfffe
	s_and_saveexec_b32 s1, s0
	s_cbranch_execz .LBB1632_130
.LBB1632_212:
	v_add_co_u32 v0, vcc_lo, v15, v19
	s_wait_dscnt 0x1
	v_mov_b32_e32 v2, 0
	s_wait_alu 0xfffd
	v_add_co_ci_u32_e64 v1, null, 0, v16, vcc_lo
	global_store_b64 v2, v[0:1], s[12:13]
	s_endpgm
	.section	.rodata,"a",@progbits
	.p2align	6, 0x0
	.amdhsa_kernel _ZN7rocprim17ROCPRIM_400000_NS6detail17trampoline_kernelINS0_13select_configILj256ELj13ELNS0_17block_load_methodE3ELS4_3ELS4_3ELNS0_20block_scan_algorithmE0ELj4294967295EEENS1_25partition_config_selectorILNS1_17partition_subalgoE3EjNS0_10empty_typeEbEEZZNS1_14partition_implILS8_3ELb0ES6_jNS0_17counting_iteratorIjlEEPS9_SE_NS0_5tupleIJPjSE_EEENSF_IJSE_SE_EEES9_SG_JZNS1_25segmented_radix_sort_implINS0_14default_configELb0EPKbPbPKlPlN2at6native12_GLOBAL__N_18offset_tEEE10hipError_tPvRmT1_PNSt15iterator_traitsISY_E10value_typeET2_T3_PNSZ_IS14_E10value_typeET4_jRbjT5_S1A_jjP12ihipStream_tbEUljE_EEESV_SW_SX_S14_S18_S1A_T6_T7_T9_mT8_S1C_bDpT10_ENKUlT_T0_E_clISt17integral_constantIbLb0EES1O_IbLb1EEEEDaS1K_S1L_EUlS1K_E_NS1_11comp_targetILNS1_3genE10ELNS1_11target_archE1200ELNS1_3gpuE4ELNS1_3repE0EEENS1_30default_config_static_selectorELNS0_4arch9wavefront6targetE0EEEvSY_
		.amdhsa_group_segment_fixed_size 13320
		.amdhsa_private_segment_fixed_size 0
		.amdhsa_kernarg_size 152
		.amdhsa_user_sgpr_count 2
		.amdhsa_user_sgpr_dispatch_ptr 0
		.amdhsa_user_sgpr_queue_ptr 0
		.amdhsa_user_sgpr_kernarg_segment_ptr 1
		.amdhsa_user_sgpr_dispatch_id 0
		.amdhsa_user_sgpr_private_segment_size 0
		.amdhsa_wavefront_size32 1
		.amdhsa_uses_dynamic_stack 0
		.amdhsa_enable_private_segment 0
		.amdhsa_system_sgpr_workgroup_id_x 1
		.amdhsa_system_sgpr_workgroup_id_y 0
		.amdhsa_system_sgpr_workgroup_id_z 0
		.amdhsa_system_sgpr_workgroup_info 0
		.amdhsa_system_vgpr_workitem_id 0
		.amdhsa_next_free_vgpr 71
		.amdhsa_next_free_sgpr 26
		.amdhsa_reserve_vcc 1
		.amdhsa_float_round_mode_32 0
		.amdhsa_float_round_mode_16_64 0
		.amdhsa_float_denorm_mode_32 3
		.amdhsa_float_denorm_mode_16_64 3
		.amdhsa_fp16_overflow 0
		.amdhsa_workgroup_processor_mode 1
		.amdhsa_memory_ordered 1
		.amdhsa_forward_progress 1
		.amdhsa_inst_pref_size 86
		.amdhsa_round_robin_scheduling 0
		.amdhsa_exception_fp_ieee_invalid_op 0
		.amdhsa_exception_fp_denorm_src 0
		.amdhsa_exception_fp_ieee_div_zero 0
		.amdhsa_exception_fp_ieee_overflow 0
		.amdhsa_exception_fp_ieee_underflow 0
		.amdhsa_exception_fp_ieee_inexact 0
		.amdhsa_exception_int_div_zero 0
	.end_amdhsa_kernel
	.section	.text._ZN7rocprim17ROCPRIM_400000_NS6detail17trampoline_kernelINS0_13select_configILj256ELj13ELNS0_17block_load_methodE3ELS4_3ELS4_3ELNS0_20block_scan_algorithmE0ELj4294967295EEENS1_25partition_config_selectorILNS1_17partition_subalgoE3EjNS0_10empty_typeEbEEZZNS1_14partition_implILS8_3ELb0ES6_jNS0_17counting_iteratorIjlEEPS9_SE_NS0_5tupleIJPjSE_EEENSF_IJSE_SE_EEES9_SG_JZNS1_25segmented_radix_sort_implINS0_14default_configELb0EPKbPbPKlPlN2at6native12_GLOBAL__N_18offset_tEEE10hipError_tPvRmT1_PNSt15iterator_traitsISY_E10value_typeET2_T3_PNSZ_IS14_E10value_typeET4_jRbjT5_S1A_jjP12ihipStream_tbEUljE_EEESV_SW_SX_S14_S18_S1A_T6_T7_T9_mT8_S1C_bDpT10_ENKUlT_T0_E_clISt17integral_constantIbLb0EES1O_IbLb1EEEEDaS1K_S1L_EUlS1K_E_NS1_11comp_targetILNS1_3genE10ELNS1_11target_archE1200ELNS1_3gpuE4ELNS1_3repE0EEENS1_30default_config_static_selectorELNS0_4arch9wavefront6targetE0EEEvSY_,"axG",@progbits,_ZN7rocprim17ROCPRIM_400000_NS6detail17trampoline_kernelINS0_13select_configILj256ELj13ELNS0_17block_load_methodE3ELS4_3ELS4_3ELNS0_20block_scan_algorithmE0ELj4294967295EEENS1_25partition_config_selectorILNS1_17partition_subalgoE3EjNS0_10empty_typeEbEEZZNS1_14partition_implILS8_3ELb0ES6_jNS0_17counting_iteratorIjlEEPS9_SE_NS0_5tupleIJPjSE_EEENSF_IJSE_SE_EEES9_SG_JZNS1_25segmented_radix_sort_implINS0_14default_configELb0EPKbPbPKlPlN2at6native12_GLOBAL__N_18offset_tEEE10hipError_tPvRmT1_PNSt15iterator_traitsISY_E10value_typeET2_T3_PNSZ_IS14_E10value_typeET4_jRbjT5_S1A_jjP12ihipStream_tbEUljE_EEESV_SW_SX_S14_S18_S1A_T6_T7_T9_mT8_S1C_bDpT10_ENKUlT_T0_E_clISt17integral_constantIbLb0EES1O_IbLb1EEEEDaS1K_S1L_EUlS1K_E_NS1_11comp_targetILNS1_3genE10ELNS1_11target_archE1200ELNS1_3gpuE4ELNS1_3repE0EEENS1_30default_config_static_selectorELNS0_4arch9wavefront6targetE0EEEvSY_,comdat
.Lfunc_end1632:
	.size	_ZN7rocprim17ROCPRIM_400000_NS6detail17trampoline_kernelINS0_13select_configILj256ELj13ELNS0_17block_load_methodE3ELS4_3ELS4_3ELNS0_20block_scan_algorithmE0ELj4294967295EEENS1_25partition_config_selectorILNS1_17partition_subalgoE3EjNS0_10empty_typeEbEEZZNS1_14partition_implILS8_3ELb0ES6_jNS0_17counting_iteratorIjlEEPS9_SE_NS0_5tupleIJPjSE_EEENSF_IJSE_SE_EEES9_SG_JZNS1_25segmented_radix_sort_implINS0_14default_configELb0EPKbPbPKlPlN2at6native12_GLOBAL__N_18offset_tEEE10hipError_tPvRmT1_PNSt15iterator_traitsISY_E10value_typeET2_T3_PNSZ_IS14_E10value_typeET4_jRbjT5_S1A_jjP12ihipStream_tbEUljE_EEESV_SW_SX_S14_S18_S1A_T6_T7_T9_mT8_S1C_bDpT10_ENKUlT_T0_E_clISt17integral_constantIbLb0EES1O_IbLb1EEEEDaS1K_S1L_EUlS1K_E_NS1_11comp_targetILNS1_3genE10ELNS1_11target_archE1200ELNS1_3gpuE4ELNS1_3repE0EEENS1_30default_config_static_selectorELNS0_4arch9wavefront6targetE0EEEvSY_, .Lfunc_end1632-_ZN7rocprim17ROCPRIM_400000_NS6detail17trampoline_kernelINS0_13select_configILj256ELj13ELNS0_17block_load_methodE3ELS4_3ELS4_3ELNS0_20block_scan_algorithmE0ELj4294967295EEENS1_25partition_config_selectorILNS1_17partition_subalgoE3EjNS0_10empty_typeEbEEZZNS1_14partition_implILS8_3ELb0ES6_jNS0_17counting_iteratorIjlEEPS9_SE_NS0_5tupleIJPjSE_EEENSF_IJSE_SE_EEES9_SG_JZNS1_25segmented_radix_sort_implINS0_14default_configELb0EPKbPbPKlPlN2at6native12_GLOBAL__N_18offset_tEEE10hipError_tPvRmT1_PNSt15iterator_traitsISY_E10value_typeET2_T3_PNSZ_IS14_E10value_typeET4_jRbjT5_S1A_jjP12ihipStream_tbEUljE_EEESV_SW_SX_S14_S18_S1A_T6_T7_T9_mT8_S1C_bDpT10_ENKUlT_T0_E_clISt17integral_constantIbLb0EES1O_IbLb1EEEEDaS1K_S1L_EUlS1K_E_NS1_11comp_targetILNS1_3genE10ELNS1_11target_archE1200ELNS1_3gpuE4ELNS1_3repE0EEENS1_30default_config_static_selectorELNS0_4arch9wavefront6targetE0EEEvSY_
                                        ; -- End function
	.set _ZN7rocprim17ROCPRIM_400000_NS6detail17trampoline_kernelINS0_13select_configILj256ELj13ELNS0_17block_load_methodE3ELS4_3ELS4_3ELNS0_20block_scan_algorithmE0ELj4294967295EEENS1_25partition_config_selectorILNS1_17partition_subalgoE3EjNS0_10empty_typeEbEEZZNS1_14partition_implILS8_3ELb0ES6_jNS0_17counting_iteratorIjlEEPS9_SE_NS0_5tupleIJPjSE_EEENSF_IJSE_SE_EEES9_SG_JZNS1_25segmented_radix_sort_implINS0_14default_configELb0EPKbPbPKlPlN2at6native12_GLOBAL__N_18offset_tEEE10hipError_tPvRmT1_PNSt15iterator_traitsISY_E10value_typeET2_T3_PNSZ_IS14_E10value_typeET4_jRbjT5_S1A_jjP12ihipStream_tbEUljE_EEESV_SW_SX_S14_S18_S1A_T6_T7_T9_mT8_S1C_bDpT10_ENKUlT_T0_E_clISt17integral_constantIbLb0EES1O_IbLb1EEEEDaS1K_S1L_EUlS1K_E_NS1_11comp_targetILNS1_3genE10ELNS1_11target_archE1200ELNS1_3gpuE4ELNS1_3repE0EEENS1_30default_config_static_selectorELNS0_4arch9wavefront6targetE0EEEvSY_.num_vgpr, 71
	.set _ZN7rocprim17ROCPRIM_400000_NS6detail17trampoline_kernelINS0_13select_configILj256ELj13ELNS0_17block_load_methodE3ELS4_3ELS4_3ELNS0_20block_scan_algorithmE0ELj4294967295EEENS1_25partition_config_selectorILNS1_17partition_subalgoE3EjNS0_10empty_typeEbEEZZNS1_14partition_implILS8_3ELb0ES6_jNS0_17counting_iteratorIjlEEPS9_SE_NS0_5tupleIJPjSE_EEENSF_IJSE_SE_EEES9_SG_JZNS1_25segmented_radix_sort_implINS0_14default_configELb0EPKbPbPKlPlN2at6native12_GLOBAL__N_18offset_tEEE10hipError_tPvRmT1_PNSt15iterator_traitsISY_E10value_typeET2_T3_PNSZ_IS14_E10value_typeET4_jRbjT5_S1A_jjP12ihipStream_tbEUljE_EEESV_SW_SX_S14_S18_S1A_T6_T7_T9_mT8_S1C_bDpT10_ENKUlT_T0_E_clISt17integral_constantIbLb0EES1O_IbLb1EEEEDaS1K_S1L_EUlS1K_E_NS1_11comp_targetILNS1_3genE10ELNS1_11target_archE1200ELNS1_3gpuE4ELNS1_3repE0EEENS1_30default_config_static_selectorELNS0_4arch9wavefront6targetE0EEEvSY_.num_agpr, 0
	.set _ZN7rocprim17ROCPRIM_400000_NS6detail17trampoline_kernelINS0_13select_configILj256ELj13ELNS0_17block_load_methodE3ELS4_3ELS4_3ELNS0_20block_scan_algorithmE0ELj4294967295EEENS1_25partition_config_selectorILNS1_17partition_subalgoE3EjNS0_10empty_typeEbEEZZNS1_14partition_implILS8_3ELb0ES6_jNS0_17counting_iteratorIjlEEPS9_SE_NS0_5tupleIJPjSE_EEENSF_IJSE_SE_EEES9_SG_JZNS1_25segmented_radix_sort_implINS0_14default_configELb0EPKbPbPKlPlN2at6native12_GLOBAL__N_18offset_tEEE10hipError_tPvRmT1_PNSt15iterator_traitsISY_E10value_typeET2_T3_PNSZ_IS14_E10value_typeET4_jRbjT5_S1A_jjP12ihipStream_tbEUljE_EEESV_SW_SX_S14_S18_S1A_T6_T7_T9_mT8_S1C_bDpT10_ENKUlT_T0_E_clISt17integral_constantIbLb0EES1O_IbLb1EEEEDaS1K_S1L_EUlS1K_E_NS1_11comp_targetILNS1_3genE10ELNS1_11target_archE1200ELNS1_3gpuE4ELNS1_3repE0EEENS1_30default_config_static_selectorELNS0_4arch9wavefront6targetE0EEEvSY_.numbered_sgpr, 26
	.set _ZN7rocprim17ROCPRIM_400000_NS6detail17trampoline_kernelINS0_13select_configILj256ELj13ELNS0_17block_load_methodE3ELS4_3ELS4_3ELNS0_20block_scan_algorithmE0ELj4294967295EEENS1_25partition_config_selectorILNS1_17partition_subalgoE3EjNS0_10empty_typeEbEEZZNS1_14partition_implILS8_3ELb0ES6_jNS0_17counting_iteratorIjlEEPS9_SE_NS0_5tupleIJPjSE_EEENSF_IJSE_SE_EEES9_SG_JZNS1_25segmented_radix_sort_implINS0_14default_configELb0EPKbPbPKlPlN2at6native12_GLOBAL__N_18offset_tEEE10hipError_tPvRmT1_PNSt15iterator_traitsISY_E10value_typeET2_T3_PNSZ_IS14_E10value_typeET4_jRbjT5_S1A_jjP12ihipStream_tbEUljE_EEESV_SW_SX_S14_S18_S1A_T6_T7_T9_mT8_S1C_bDpT10_ENKUlT_T0_E_clISt17integral_constantIbLb0EES1O_IbLb1EEEEDaS1K_S1L_EUlS1K_E_NS1_11comp_targetILNS1_3genE10ELNS1_11target_archE1200ELNS1_3gpuE4ELNS1_3repE0EEENS1_30default_config_static_selectorELNS0_4arch9wavefront6targetE0EEEvSY_.num_named_barrier, 0
	.set _ZN7rocprim17ROCPRIM_400000_NS6detail17trampoline_kernelINS0_13select_configILj256ELj13ELNS0_17block_load_methodE3ELS4_3ELS4_3ELNS0_20block_scan_algorithmE0ELj4294967295EEENS1_25partition_config_selectorILNS1_17partition_subalgoE3EjNS0_10empty_typeEbEEZZNS1_14partition_implILS8_3ELb0ES6_jNS0_17counting_iteratorIjlEEPS9_SE_NS0_5tupleIJPjSE_EEENSF_IJSE_SE_EEES9_SG_JZNS1_25segmented_radix_sort_implINS0_14default_configELb0EPKbPbPKlPlN2at6native12_GLOBAL__N_18offset_tEEE10hipError_tPvRmT1_PNSt15iterator_traitsISY_E10value_typeET2_T3_PNSZ_IS14_E10value_typeET4_jRbjT5_S1A_jjP12ihipStream_tbEUljE_EEESV_SW_SX_S14_S18_S1A_T6_T7_T9_mT8_S1C_bDpT10_ENKUlT_T0_E_clISt17integral_constantIbLb0EES1O_IbLb1EEEEDaS1K_S1L_EUlS1K_E_NS1_11comp_targetILNS1_3genE10ELNS1_11target_archE1200ELNS1_3gpuE4ELNS1_3repE0EEENS1_30default_config_static_selectorELNS0_4arch9wavefront6targetE0EEEvSY_.private_seg_size, 0
	.set _ZN7rocprim17ROCPRIM_400000_NS6detail17trampoline_kernelINS0_13select_configILj256ELj13ELNS0_17block_load_methodE3ELS4_3ELS4_3ELNS0_20block_scan_algorithmE0ELj4294967295EEENS1_25partition_config_selectorILNS1_17partition_subalgoE3EjNS0_10empty_typeEbEEZZNS1_14partition_implILS8_3ELb0ES6_jNS0_17counting_iteratorIjlEEPS9_SE_NS0_5tupleIJPjSE_EEENSF_IJSE_SE_EEES9_SG_JZNS1_25segmented_radix_sort_implINS0_14default_configELb0EPKbPbPKlPlN2at6native12_GLOBAL__N_18offset_tEEE10hipError_tPvRmT1_PNSt15iterator_traitsISY_E10value_typeET2_T3_PNSZ_IS14_E10value_typeET4_jRbjT5_S1A_jjP12ihipStream_tbEUljE_EEESV_SW_SX_S14_S18_S1A_T6_T7_T9_mT8_S1C_bDpT10_ENKUlT_T0_E_clISt17integral_constantIbLb0EES1O_IbLb1EEEEDaS1K_S1L_EUlS1K_E_NS1_11comp_targetILNS1_3genE10ELNS1_11target_archE1200ELNS1_3gpuE4ELNS1_3repE0EEENS1_30default_config_static_selectorELNS0_4arch9wavefront6targetE0EEEvSY_.uses_vcc, 1
	.set _ZN7rocprim17ROCPRIM_400000_NS6detail17trampoline_kernelINS0_13select_configILj256ELj13ELNS0_17block_load_methodE3ELS4_3ELS4_3ELNS0_20block_scan_algorithmE0ELj4294967295EEENS1_25partition_config_selectorILNS1_17partition_subalgoE3EjNS0_10empty_typeEbEEZZNS1_14partition_implILS8_3ELb0ES6_jNS0_17counting_iteratorIjlEEPS9_SE_NS0_5tupleIJPjSE_EEENSF_IJSE_SE_EEES9_SG_JZNS1_25segmented_radix_sort_implINS0_14default_configELb0EPKbPbPKlPlN2at6native12_GLOBAL__N_18offset_tEEE10hipError_tPvRmT1_PNSt15iterator_traitsISY_E10value_typeET2_T3_PNSZ_IS14_E10value_typeET4_jRbjT5_S1A_jjP12ihipStream_tbEUljE_EEESV_SW_SX_S14_S18_S1A_T6_T7_T9_mT8_S1C_bDpT10_ENKUlT_T0_E_clISt17integral_constantIbLb0EES1O_IbLb1EEEEDaS1K_S1L_EUlS1K_E_NS1_11comp_targetILNS1_3genE10ELNS1_11target_archE1200ELNS1_3gpuE4ELNS1_3repE0EEENS1_30default_config_static_selectorELNS0_4arch9wavefront6targetE0EEEvSY_.uses_flat_scratch, 0
	.set _ZN7rocprim17ROCPRIM_400000_NS6detail17trampoline_kernelINS0_13select_configILj256ELj13ELNS0_17block_load_methodE3ELS4_3ELS4_3ELNS0_20block_scan_algorithmE0ELj4294967295EEENS1_25partition_config_selectorILNS1_17partition_subalgoE3EjNS0_10empty_typeEbEEZZNS1_14partition_implILS8_3ELb0ES6_jNS0_17counting_iteratorIjlEEPS9_SE_NS0_5tupleIJPjSE_EEENSF_IJSE_SE_EEES9_SG_JZNS1_25segmented_radix_sort_implINS0_14default_configELb0EPKbPbPKlPlN2at6native12_GLOBAL__N_18offset_tEEE10hipError_tPvRmT1_PNSt15iterator_traitsISY_E10value_typeET2_T3_PNSZ_IS14_E10value_typeET4_jRbjT5_S1A_jjP12ihipStream_tbEUljE_EEESV_SW_SX_S14_S18_S1A_T6_T7_T9_mT8_S1C_bDpT10_ENKUlT_T0_E_clISt17integral_constantIbLb0EES1O_IbLb1EEEEDaS1K_S1L_EUlS1K_E_NS1_11comp_targetILNS1_3genE10ELNS1_11target_archE1200ELNS1_3gpuE4ELNS1_3repE0EEENS1_30default_config_static_selectorELNS0_4arch9wavefront6targetE0EEEvSY_.has_dyn_sized_stack, 0
	.set _ZN7rocprim17ROCPRIM_400000_NS6detail17trampoline_kernelINS0_13select_configILj256ELj13ELNS0_17block_load_methodE3ELS4_3ELS4_3ELNS0_20block_scan_algorithmE0ELj4294967295EEENS1_25partition_config_selectorILNS1_17partition_subalgoE3EjNS0_10empty_typeEbEEZZNS1_14partition_implILS8_3ELb0ES6_jNS0_17counting_iteratorIjlEEPS9_SE_NS0_5tupleIJPjSE_EEENSF_IJSE_SE_EEES9_SG_JZNS1_25segmented_radix_sort_implINS0_14default_configELb0EPKbPbPKlPlN2at6native12_GLOBAL__N_18offset_tEEE10hipError_tPvRmT1_PNSt15iterator_traitsISY_E10value_typeET2_T3_PNSZ_IS14_E10value_typeET4_jRbjT5_S1A_jjP12ihipStream_tbEUljE_EEESV_SW_SX_S14_S18_S1A_T6_T7_T9_mT8_S1C_bDpT10_ENKUlT_T0_E_clISt17integral_constantIbLb0EES1O_IbLb1EEEEDaS1K_S1L_EUlS1K_E_NS1_11comp_targetILNS1_3genE10ELNS1_11target_archE1200ELNS1_3gpuE4ELNS1_3repE0EEENS1_30default_config_static_selectorELNS0_4arch9wavefront6targetE0EEEvSY_.has_recursion, 0
	.set _ZN7rocprim17ROCPRIM_400000_NS6detail17trampoline_kernelINS0_13select_configILj256ELj13ELNS0_17block_load_methodE3ELS4_3ELS4_3ELNS0_20block_scan_algorithmE0ELj4294967295EEENS1_25partition_config_selectorILNS1_17partition_subalgoE3EjNS0_10empty_typeEbEEZZNS1_14partition_implILS8_3ELb0ES6_jNS0_17counting_iteratorIjlEEPS9_SE_NS0_5tupleIJPjSE_EEENSF_IJSE_SE_EEES9_SG_JZNS1_25segmented_radix_sort_implINS0_14default_configELb0EPKbPbPKlPlN2at6native12_GLOBAL__N_18offset_tEEE10hipError_tPvRmT1_PNSt15iterator_traitsISY_E10value_typeET2_T3_PNSZ_IS14_E10value_typeET4_jRbjT5_S1A_jjP12ihipStream_tbEUljE_EEESV_SW_SX_S14_S18_S1A_T6_T7_T9_mT8_S1C_bDpT10_ENKUlT_T0_E_clISt17integral_constantIbLb0EES1O_IbLb1EEEEDaS1K_S1L_EUlS1K_E_NS1_11comp_targetILNS1_3genE10ELNS1_11target_archE1200ELNS1_3gpuE4ELNS1_3repE0EEENS1_30default_config_static_selectorELNS0_4arch9wavefront6targetE0EEEvSY_.has_indirect_call, 0
	.section	.AMDGPU.csdata,"",@progbits
; Kernel info:
; codeLenInByte = 10900
; TotalNumSgprs: 28
; NumVgprs: 71
; ScratchSize: 0
; MemoryBound: 0
; FloatMode: 240
; IeeeMode: 1
; LDSByteSize: 13320 bytes/workgroup (compile time only)
; SGPRBlocks: 0
; VGPRBlocks: 8
; NumSGPRsForWavesPerEU: 28
; NumVGPRsForWavesPerEU: 71
; Occupancy: 16
; WaveLimiterHint : 0
; COMPUTE_PGM_RSRC2:SCRATCH_EN: 0
; COMPUTE_PGM_RSRC2:USER_SGPR: 2
; COMPUTE_PGM_RSRC2:TRAP_HANDLER: 0
; COMPUTE_PGM_RSRC2:TGID_X_EN: 1
; COMPUTE_PGM_RSRC2:TGID_Y_EN: 0
; COMPUTE_PGM_RSRC2:TGID_Z_EN: 0
; COMPUTE_PGM_RSRC2:TIDIG_COMP_CNT: 0
	.section	.text._ZN7rocprim17ROCPRIM_400000_NS6detail17trampoline_kernelINS0_13select_configILj256ELj13ELNS0_17block_load_methodE3ELS4_3ELS4_3ELNS0_20block_scan_algorithmE0ELj4294967295EEENS1_25partition_config_selectorILNS1_17partition_subalgoE3EjNS0_10empty_typeEbEEZZNS1_14partition_implILS8_3ELb0ES6_jNS0_17counting_iteratorIjlEEPS9_SE_NS0_5tupleIJPjSE_EEENSF_IJSE_SE_EEES9_SG_JZNS1_25segmented_radix_sort_implINS0_14default_configELb0EPKbPbPKlPlN2at6native12_GLOBAL__N_18offset_tEEE10hipError_tPvRmT1_PNSt15iterator_traitsISY_E10value_typeET2_T3_PNSZ_IS14_E10value_typeET4_jRbjT5_S1A_jjP12ihipStream_tbEUljE_EEESV_SW_SX_S14_S18_S1A_T6_T7_T9_mT8_S1C_bDpT10_ENKUlT_T0_E_clISt17integral_constantIbLb0EES1O_IbLb1EEEEDaS1K_S1L_EUlS1K_E_NS1_11comp_targetILNS1_3genE9ELNS1_11target_archE1100ELNS1_3gpuE3ELNS1_3repE0EEENS1_30default_config_static_selectorELNS0_4arch9wavefront6targetE0EEEvSY_,"axG",@progbits,_ZN7rocprim17ROCPRIM_400000_NS6detail17trampoline_kernelINS0_13select_configILj256ELj13ELNS0_17block_load_methodE3ELS4_3ELS4_3ELNS0_20block_scan_algorithmE0ELj4294967295EEENS1_25partition_config_selectorILNS1_17partition_subalgoE3EjNS0_10empty_typeEbEEZZNS1_14partition_implILS8_3ELb0ES6_jNS0_17counting_iteratorIjlEEPS9_SE_NS0_5tupleIJPjSE_EEENSF_IJSE_SE_EEES9_SG_JZNS1_25segmented_radix_sort_implINS0_14default_configELb0EPKbPbPKlPlN2at6native12_GLOBAL__N_18offset_tEEE10hipError_tPvRmT1_PNSt15iterator_traitsISY_E10value_typeET2_T3_PNSZ_IS14_E10value_typeET4_jRbjT5_S1A_jjP12ihipStream_tbEUljE_EEESV_SW_SX_S14_S18_S1A_T6_T7_T9_mT8_S1C_bDpT10_ENKUlT_T0_E_clISt17integral_constantIbLb0EES1O_IbLb1EEEEDaS1K_S1L_EUlS1K_E_NS1_11comp_targetILNS1_3genE9ELNS1_11target_archE1100ELNS1_3gpuE3ELNS1_3repE0EEENS1_30default_config_static_selectorELNS0_4arch9wavefront6targetE0EEEvSY_,comdat
	.globl	_ZN7rocprim17ROCPRIM_400000_NS6detail17trampoline_kernelINS0_13select_configILj256ELj13ELNS0_17block_load_methodE3ELS4_3ELS4_3ELNS0_20block_scan_algorithmE0ELj4294967295EEENS1_25partition_config_selectorILNS1_17partition_subalgoE3EjNS0_10empty_typeEbEEZZNS1_14partition_implILS8_3ELb0ES6_jNS0_17counting_iteratorIjlEEPS9_SE_NS0_5tupleIJPjSE_EEENSF_IJSE_SE_EEES9_SG_JZNS1_25segmented_radix_sort_implINS0_14default_configELb0EPKbPbPKlPlN2at6native12_GLOBAL__N_18offset_tEEE10hipError_tPvRmT1_PNSt15iterator_traitsISY_E10value_typeET2_T3_PNSZ_IS14_E10value_typeET4_jRbjT5_S1A_jjP12ihipStream_tbEUljE_EEESV_SW_SX_S14_S18_S1A_T6_T7_T9_mT8_S1C_bDpT10_ENKUlT_T0_E_clISt17integral_constantIbLb0EES1O_IbLb1EEEEDaS1K_S1L_EUlS1K_E_NS1_11comp_targetILNS1_3genE9ELNS1_11target_archE1100ELNS1_3gpuE3ELNS1_3repE0EEENS1_30default_config_static_selectorELNS0_4arch9wavefront6targetE0EEEvSY_ ; -- Begin function _ZN7rocprim17ROCPRIM_400000_NS6detail17trampoline_kernelINS0_13select_configILj256ELj13ELNS0_17block_load_methodE3ELS4_3ELS4_3ELNS0_20block_scan_algorithmE0ELj4294967295EEENS1_25partition_config_selectorILNS1_17partition_subalgoE3EjNS0_10empty_typeEbEEZZNS1_14partition_implILS8_3ELb0ES6_jNS0_17counting_iteratorIjlEEPS9_SE_NS0_5tupleIJPjSE_EEENSF_IJSE_SE_EEES9_SG_JZNS1_25segmented_radix_sort_implINS0_14default_configELb0EPKbPbPKlPlN2at6native12_GLOBAL__N_18offset_tEEE10hipError_tPvRmT1_PNSt15iterator_traitsISY_E10value_typeET2_T3_PNSZ_IS14_E10value_typeET4_jRbjT5_S1A_jjP12ihipStream_tbEUljE_EEESV_SW_SX_S14_S18_S1A_T6_T7_T9_mT8_S1C_bDpT10_ENKUlT_T0_E_clISt17integral_constantIbLb0EES1O_IbLb1EEEEDaS1K_S1L_EUlS1K_E_NS1_11comp_targetILNS1_3genE9ELNS1_11target_archE1100ELNS1_3gpuE3ELNS1_3repE0EEENS1_30default_config_static_selectorELNS0_4arch9wavefront6targetE0EEEvSY_
	.p2align	8
	.type	_ZN7rocprim17ROCPRIM_400000_NS6detail17trampoline_kernelINS0_13select_configILj256ELj13ELNS0_17block_load_methodE3ELS4_3ELS4_3ELNS0_20block_scan_algorithmE0ELj4294967295EEENS1_25partition_config_selectorILNS1_17partition_subalgoE3EjNS0_10empty_typeEbEEZZNS1_14partition_implILS8_3ELb0ES6_jNS0_17counting_iteratorIjlEEPS9_SE_NS0_5tupleIJPjSE_EEENSF_IJSE_SE_EEES9_SG_JZNS1_25segmented_radix_sort_implINS0_14default_configELb0EPKbPbPKlPlN2at6native12_GLOBAL__N_18offset_tEEE10hipError_tPvRmT1_PNSt15iterator_traitsISY_E10value_typeET2_T3_PNSZ_IS14_E10value_typeET4_jRbjT5_S1A_jjP12ihipStream_tbEUljE_EEESV_SW_SX_S14_S18_S1A_T6_T7_T9_mT8_S1C_bDpT10_ENKUlT_T0_E_clISt17integral_constantIbLb0EES1O_IbLb1EEEEDaS1K_S1L_EUlS1K_E_NS1_11comp_targetILNS1_3genE9ELNS1_11target_archE1100ELNS1_3gpuE3ELNS1_3repE0EEENS1_30default_config_static_selectorELNS0_4arch9wavefront6targetE0EEEvSY_,@function
_ZN7rocprim17ROCPRIM_400000_NS6detail17trampoline_kernelINS0_13select_configILj256ELj13ELNS0_17block_load_methodE3ELS4_3ELS4_3ELNS0_20block_scan_algorithmE0ELj4294967295EEENS1_25partition_config_selectorILNS1_17partition_subalgoE3EjNS0_10empty_typeEbEEZZNS1_14partition_implILS8_3ELb0ES6_jNS0_17counting_iteratorIjlEEPS9_SE_NS0_5tupleIJPjSE_EEENSF_IJSE_SE_EEES9_SG_JZNS1_25segmented_radix_sort_implINS0_14default_configELb0EPKbPbPKlPlN2at6native12_GLOBAL__N_18offset_tEEE10hipError_tPvRmT1_PNSt15iterator_traitsISY_E10value_typeET2_T3_PNSZ_IS14_E10value_typeET4_jRbjT5_S1A_jjP12ihipStream_tbEUljE_EEESV_SW_SX_S14_S18_S1A_T6_T7_T9_mT8_S1C_bDpT10_ENKUlT_T0_E_clISt17integral_constantIbLb0EES1O_IbLb1EEEEDaS1K_S1L_EUlS1K_E_NS1_11comp_targetILNS1_3genE9ELNS1_11target_archE1100ELNS1_3gpuE3ELNS1_3repE0EEENS1_30default_config_static_selectorELNS0_4arch9wavefront6targetE0EEEvSY_: ; @_ZN7rocprim17ROCPRIM_400000_NS6detail17trampoline_kernelINS0_13select_configILj256ELj13ELNS0_17block_load_methodE3ELS4_3ELS4_3ELNS0_20block_scan_algorithmE0ELj4294967295EEENS1_25partition_config_selectorILNS1_17partition_subalgoE3EjNS0_10empty_typeEbEEZZNS1_14partition_implILS8_3ELb0ES6_jNS0_17counting_iteratorIjlEEPS9_SE_NS0_5tupleIJPjSE_EEENSF_IJSE_SE_EEES9_SG_JZNS1_25segmented_radix_sort_implINS0_14default_configELb0EPKbPbPKlPlN2at6native12_GLOBAL__N_18offset_tEEE10hipError_tPvRmT1_PNSt15iterator_traitsISY_E10value_typeET2_T3_PNSZ_IS14_E10value_typeET4_jRbjT5_S1A_jjP12ihipStream_tbEUljE_EEESV_SW_SX_S14_S18_S1A_T6_T7_T9_mT8_S1C_bDpT10_ENKUlT_T0_E_clISt17integral_constantIbLb0EES1O_IbLb1EEEEDaS1K_S1L_EUlS1K_E_NS1_11comp_targetILNS1_3genE9ELNS1_11target_archE1100ELNS1_3gpuE3ELNS1_3repE0EEENS1_30default_config_static_selectorELNS0_4arch9wavefront6targetE0EEEvSY_
; %bb.0:
	.section	.rodata,"a",@progbits
	.p2align	6, 0x0
	.amdhsa_kernel _ZN7rocprim17ROCPRIM_400000_NS6detail17trampoline_kernelINS0_13select_configILj256ELj13ELNS0_17block_load_methodE3ELS4_3ELS4_3ELNS0_20block_scan_algorithmE0ELj4294967295EEENS1_25partition_config_selectorILNS1_17partition_subalgoE3EjNS0_10empty_typeEbEEZZNS1_14partition_implILS8_3ELb0ES6_jNS0_17counting_iteratorIjlEEPS9_SE_NS0_5tupleIJPjSE_EEENSF_IJSE_SE_EEES9_SG_JZNS1_25segmented_radix_sort_implINS0_14default_configELb0EPKbPbPKlPlN2at6native12_GLOBAL__N_18offset_tEEE10hipError_tPvRmT1_PNSt15iterator_traitsISY_E10value_typeET2_T3_PNSZ_IS14_E10value_typeET4_jRbjT5_S1A_jjP12ihipStream_tbEUljE_EEESV_SW_SX_S14_S18_S1A_T6_T7_T9_mT8_S1C_bDpT10_ENKUlT_T0_E_clISt17integral_constantIbLb0EES1O_IbLb1EEEEDaS1K_S1L_EUlS1K_E_NS1_11comp_targetILNS1_3genE9ELNS1_11target_archE1100ELNS1_3gpuE3ELNS1_3repE0EEENS1_30default_config_static_selectorELNS0_4arch9wavefront6targetE0EEEvSY_
		.amdhsa_group_segment_fixed_size 0
		.amdhsa_private_segment_fixed_size 0
		.amdhsa_kernarg_size 152
		.amdhsa_user_sgpr_count 2
		.amdhsa_user_sgpr_dispatch_ptr 0
		.amdhsa_user_sgpr_queue_ptr 0
		.amdhsa_user_sgpr_kernarg_segment_ptr 1
		.amdhsa_user_sgpr_dispatch_id 0
		.amdhsa_user_sgpr_private_segment_size 0
		.amdhsa_wavefront_size32 1
		.amdhsa_uses_dynamic_stack 0
		.amdhsa_enable_private_segment 0
		.amdhsa_system_sgpr_workgroup_id_x 1
		.amdhsa_system_sgpr_workgroup_id_y 0
		.amdhsa_system_sgpr_workgroup_id_z 0
		.amdhsa_system_sgpr_workgroup_info 0
		.amdhsa_system_vgpr_workitem_id 0
		.amdhsa_next_free_vgpr 1
		.amdhsa_next_free_sgpr 1
		.amdhsa_reserve_vcc 0
		.amdhsa_float_round_mode_32 0
		.amdhsa_float_round_mode_16_64 0
		.amdhsa_float_denorm_mode_32 3
		.amdhsa_float_denorm_mode_16_64 3
		.amdhsa_fp16_overflow 0
		.amdhsa_workgroup_processor_mode 1
		.amdhsa_memory_ordered 1
		.amdhsa_forward_progress 1
		.amdhsa_inst_pref_size 0
		.amdhsa_round_robin_scheduling 0
		.amdhsa_exception_fp_ieee_invalid_op 0
		.amdhsa_exception_fp_denorm_src 0
		.amdhsa_exception_fp_ieee_div_zero 0
		.amdhsa_exception_fp_ieee_overflow 0
		.amdhsa_exception_fp_ieee_underflow 0
		.amdhsa_exception_fp_ieee_inexact 0
		.amdhsa_exception_int_div_zero 0
	.end_amdhsa_kernel
	.section	.text._ZN7rocprim17ROCPRIM_400000_NS6detail17trampoline_kernelINS0_13select_configILj256ELj13ELNS0_17block_load_methodE3ELS4_3ELS4_3ELNS0_20block_scan_algorithmE0ELj4294967295EEENS1_25partition_config_selectorILNS1_17partition_subalgoE3EjNS0_10empty_typeEbEEZZNS1_14partition_implILS8_3ELb0ES6_jNS0_17counting_iteratorIjlEEPS9_SE_NS0_5tupleIJPjSE_EEENSF_IJSE_SE_EEES9_SG_JZNS1_25segmented_radix_sort_implINS0_14default_configELb0EPKbPbPKlPlN2at6native12_GLOBAL__N_18offset_tEEE10hipError_tPvRmT1_PNSt15iterator_traitsISY_E10value_typeET2_T3_PNSZ_IS14_E10value_typeET4_jRbjT5_S1A_jjP12ihipStream_tbEUljE_EEESV_SW_SX_S14_S18_S1A_T6_T7_T9_mT8_S1C_bDpT10_ENKUlT_T0_E_clISt17integral_constantIbLb0EES1O_IbLb1EEEEDaS1K_S1L_EUlS1K_E_NS1_11comp_targetILNS1_3genE9ELNS1_11target_archE1100ELNS1_3gpuE3ELNS1_3repE0EEENS1_30default_config_static_selectorELNS0_4arch9wavefront6targetE0EEEvSY_,"axG",@progbits,_ZN7rocprim17ROCPRIM_400000_NS6detail17trampoline_kernelINS0_13select_configILj256ELj13ELNS0_17block_load_methodE3ELS4_3ELS4_3ELNS0_20block_scan_algorithmE0ELj4294967295EEENS1_25partition_config_selectorILNS1_17partition_subalgoE3EjNS0_10empty_typeEbEEZZNS1_14partition_implILS8_3ELb0ES6_jNS0_17counting_iteratorIjlEEPS9_SE_NS0_5tupleIJPjSE_EEENSF_IJSE_SE_EEES9_SG_JZNS1_25segmented_radix_sort_implINS0_14default_configELb0EPKbPbPKlPlN2at6native12_GLOBAL__N_18offset_tEEE10hipError_tPvRmT1_PNSt15iterator_traitsISY_E10value_typeET2_T3_PNSZ_IS14_E10value_typeET4_jRbjT5_S1A_jjP12ihipStream_tbEUljE_EEESV_SW_SX_S14_S18_S1A_T6_T7_T9_mT8_S1C_bDpT10_ENKUlT_T0_E_clISt17integral_constantIbLb0EES1O_IbLb1EEEEDaS1K_S1L_EUlS1K_E_NS1_11comp_targetILNS1_3genE9ELNS1_11target_archE1100ELNS1_3gpuE3ELNS1_3repE0EEENS1_30default_config_static_selectorELNS0_4arch9wavefront6targetE0EEEvSY_,comdat
.Lfunc_end1633:
	.size	_ZN7rocprim17ROCPRIM_400000_NS6detail17trampoline_kernelINS0_13select_configILj256ELj13ELNS0_17block_load_methodE3ELS4_3ELS4_3ELNS0_20block_scan_algorithmE0ELj4294967295EEENS1_25partition_config_selectorILNS1_17partition_subalgoE3EjNS0_10empty_typeEbEEZZNS1_14partition_implILS8_3ELb0ES6_jNS0_17counting_iteratorIjlEEPS9_SE_NS0_5tupleIJPjSE_EEENSF_IJSE_SE_EEES9_SG_JZNS1_25segmented_radix_sort_implINS0_14default_configELb0EPKbPbPKlPlN2at6native12_GLOBAL__N_18offset_tEEE10hipError_tPvRmT1_PNSt15iterator_traitsISY_E10value_typeET2_T3_PNSZ_IS14_E10value_typeET4_jRbjT5_S1A_jjP12ihipStream_tbEUljE_EEESV_SW_SX_S14_S18_S1A_T6_T7_T9_mT8_S1C_bDpT10_ENKUlT_T0_E_clISt17integral_constantIbLb0EES1O_IbLb1EEEEDaS1K_S1L_EUlS1K_E_NS1_11comp_targetILNS1_3genE9ELNS1_11target_archE1100ELNS1_3gpuE3ELNS1_3repE0EEENS1_30default_config_static_selectorELNS0_4arch9wavefront6targetE0EEEvSY_, .Lfunc_end1633-_ZN7rocprim17ROCPRIM_400000_NS6detail17trampoline_kernelINS0_13select_configILj256ELj13ELNS0_17block_load_methodE3ELS4_3ELS4_3ELNS0_20block_scan_algorithmE0ELj4294967295EEENS1_25partition_config_selectorILNS1_17partition_subalgoE3EjNS0_10empty_typeEbEEZZNS1_14partition_implILS8_3ELb0ES6_jNS0_17counting_iteratorIjlEEPS9_SE_NS0_5tupleIJPjSE_EEENSF_IJSE_SE_EEES9_SG_JZNS1_25segmented_radix_sort_implINS0_14default_configELb0EPKbPbPKlPlN2at6native12_GLOBAL__N_18offset_tEEE10hipError_tPvRmT1_PNSt15iterator_traitsISY_E10value_typeET2_T3_PNSZ_IS14_E10value_typeET4_jRbjT5_S1A_jjP12ihipStream_tbEUljE_EEESV_SW_SX_S14_S18_S1A_T6_T7_T9_mT8_S1C_bDpT10_ENKUlT_T0_E_clISt17integral_constantIbLb0EES1O_IbLb1EEEEDaS1K_S1L_EUlS1K_E_NS1_11comp_targetILNS1_3genE9ELNS1_11target_archE1100ELNS1_3gpuE3ELNS1_3repE0EEENS1_30default_config_static_selectorELNS0_4arch9wavefront6targetE0EEEvSY_
                                        ; -- End function
	.set _ZN7rocprim17ROCPRIM_400000_NS6detail17trampoline_kernelINS0_13select_configILj256ELj13ELNS0_17block_load_methodE3ELS4_3ELS4_3ELNS0_20block_scan_algorithmE0ELj4294967295EEENS1_25partition_config_selectorILNS1_17partition_subalgoE3EjNS0_10empty_typeEbEEZZNS1_14partition_implILS8_3ELb0ES6_jNS0_17counting_iteratorIjlEEPS9_SE_NS0_5tupleIJPjSE_EEENSF_IJSE_SE_EEES9_SG_JZNS1_25segmented_radix_sort_implINS0_14default_configELb0EPKbPbPKlPlN2at6native12_GLOBAL__N_18offset_tEEE10hipError_tPvRmT1_PNSt15iterator_traitsISY_E10value_typeET2_T3_PNSZ_IS14_E10value_typeET4_jRbjT5_S1A_jjP12ihipStream_tbEUljE_EEESV_SW_SX_S14_S18_S1A_T6_T7_T9_mT8_S1C_bDpT10_ENKUlT_T0_E_clISt17integral_constantIbLb0EES1O_IbLb1EEEEDaS1K_S1L_EUlS1K_E_NS1_11comp_targetILNS1_3genE9ELNS1_11target_archE1100ELNS1_3gpuE3ELNS1_3repE0EEENS1_30default_config_static_selectorELNS0_4arch9wavefront6targetE0EEEvSY_.num_vgpr, 0
	.set _ZN7rocprim17ROCPRIM_400000_NS6detail17trampoline_kernelINS0_13select_configILj256ELj13ELNS0_17block_load_methodE3ELS4_3ELS4_3ELNS0_20block_scan_algorithmE0ELj4294967295EEENS1_25partition_config_selectorILNS1_17partition_subalgoE3EjNS0_10empty_typeEbEEZZNS1_14partition_implILS8_3ELb0ES6_jNS0_17counting_iteratorIjlEEPS9_SE_NS0_5tupleIJPjSE_EEENSF_IJSE_SE_EEES9_SG_JZNS1_25segmented_radix_sort_implINS0_14default_configELb0EPKbPbPKlPlN2at6native12_GLOBAL__N_18offset_tEEE10hipError_tPvRmT1_PNSt15iterator_traitsISY_E10value_typeET2_T3_PNSZ_IS14_E10value_typeET4_jRbjT5_S1A_jjP12ihipStream_tbEUljE_EEESV_SW_SX_S14_S18_S1A_T6_T7_T9_mT8_S1C_bDpT10_ENKUlT_T0_E_clISt17integral_constantIbLb0EES1O_IbLb1EEEEDaS1K_S1L_EUlS1K_E_NS1_11comp_targetILNS1_3genE9ELNS1_11target_archE1100ELNS1_3gpuE3ELNS1_3repE0EEENS1_30default_config_static_selectorELNS0_4arch9wavefront6targetE0EEEvSY_.num_agpr, 0
	.set _ZN7rocprim17ROCPRIM_400000_NS6detail17trampoline_kernelINS0_13select_configILj256ELj13ELNS0_17block_load_methodE3ELS4_3ELS4_3ELNS0_20block_scan_algorithmE0ELj4294967295EEENS1_25partition_config_selectorILNS1_17partition_subalgoE3EjNS0_10empty_typeEbEEZZNS1_14partition_implILS8_3ELb0ES6_jNS0_17counting_iteratorIjlEEPS9_SE_NS0_5tupleIJPjSE_EEENSF_IJSE_SE_EEES9_SG_JZNS1_25segmented_radix_sort_implINS0_14default_configELb0EPKbPbPKlPlN2at6native12_GLOBAL__N_18offset_tEEE10hipError_tPvRmT1_PNSt15iterator_traitsISY_E10value_typeET2_T3_PNSZ_IS14_E10value_typeET4_jRbjT5_S1A_jjP12ihipStream_tbEUljE_EEESV_SW_SX_S14_S18_S1A_T6_T7_T9_mT8_S1C_bDpT10_ENKUlT_T0_E_clISt17integral_constantIbLb0EES1O_IbLb1EEEEDaS1K_S1L_EUlS1K_E_NS1_11comp_targetILNS1_3genE9ELNS1_11target_archE1100ELNS1_3gpuE3ELNS1_3repE0EEENS1_30default_config_static_selectorELNS0_4arch9wavefront6targetE0EEEvSY_.numbered_sgpr, 0
	.set _ZN7rocprim17ROCPRIM_400000_NS6detail17trampoline_kernelINS0_13select_configILj256ELj13ELNS0_17block_load_methodE3ELS4_3ELS4_3ELNS0_20block_scan_algorithmE0ELj4294967295EEENS1_25partition_config_selectorILNS1_17partition_subalgoE3EjNS0_10empty_typeEbEEZZNS1_14partition_implILS8_3ELb0ES6_jNS0_17counting_iteratorIjlEEPS9_SE_NS0_5tupleIJPjSE_EEENSF_IJSE_SE_EEES9_SG_JZNS1_25segmented_radix_sort_implINS0_14default_configELb0EPKbPbPKlPlN2at6native12_GLOBAL__N_18offset_tEEE10hipError_tPvRmT1_PNSt15iterator_traitsISY_E10value_typeET2_T3_PNSZ_IS14_E10value_typeET4_jRbjT5_S1A_jjP12ihipStream_tbEUljE_EEESV_SW_SX_S14_S18_S1A_T6_T7_T9_mT8_S1C_bDpT10_ENKUlT_T0_E_clISt17integral_constantIbLb0EES1O_IbLb1EEEEDaS1K_S1L_EUlS1K_E_NS1_11comp_targetILNS1_3genE9ELNS1_11target_archE1100ELNS1_3gpuE3ELNS1_3repE0EEENS1_30default_config_static_selectorELNS0_4arch9wavefront6targetE0EEEvSY_.num_named_barrier, 0
	.set _ZN7rocprim17ROCPRIM_400000_NS6detail17trampoline_kernelINS0_13select_configILj256ELj13ELNS0_17block_load_methodE3ELS4_3ELS4_3ELNS0_20block_scan_algorithmE0ELj4294967295EEENS1_25partition_config_selectorILNS1_17partition_subalgoE3EjNS0_10empty_typeEbEEZZNS1_14partition_implILS8_3ELb0ES6_jNS0_17counting_iteratorIjlEEPS9_SE_NS0_5tupleIJPjSE_EEENSF_IJSE_SE_EEES9_SG_JZNS1_25segmented_radix_sort_implINS0_14default_configELb0EPKbPbPKlPlN2at6native12_GLOBAL__N_18offset_tEEE10hipError_tPvRmT1_PNSt15iterator_traitsISY_E10value_typeET2_T3_PNSZ_IS14_E10value_typeET4_jRbjT5_S1A_jjP12ihipStream_tbEUljE_EEESV_SW_SX_S14_S18_S1A_T6_T7_T9_mT8_S1C_bDpT10_ENKUlT_T0_E_clISt17integral_constantIbLb0EES1O_IbLb1EEEEDaS1K_S1L_EUlS1K_E_NS1_11comp_targetILNS1_3genE9ELNS1_11target_archE1100ELNS1_3gpuE3ELNS1_3repE0EEENS1_30default_config_static_selectorELNS0_4arch9wavefront6targetE0EEEvSY_.private_seg_size, 0
	.set _ZN7rocprim17ROCPRIM_400000_NS6detail17trampoline_kernelINS0_13select_configILj256ELj13ELNS0_17block_load_methodE3ELS4_3ELS4_3ELNS0_20block_scan_algorithmE0ELj4294967295EEENS1_25partition_config_selectorILNS1_17partition_subalgoE3EjNS0_10empty_typeEbEEZZNS1_14partition_implILS8_3ELb0ES6_jNS0_17counting_iteratorIjlEEPS9_SE_NS0_5tupleIJPjSE_EEENSF_IJSE_SE_EEES9_SG_JZNS1_25segmented_radix_sort_implINS0_14default_configELb0EPKbPbPKlPlN2at6native12_GLOBAL__N_18offset_tEEE10hipError_tPvRmT1_PNSt15iterator_traitsISY_E10value_typeET2_T3_PNSZ_IS14_E10value_typeET4_jRbjT5_S1A_jjP12ihipStream_tbEUljE_EEESV_SW_SX_S14_S18_S1A_T6_T7_T9_mT8_S1C_bDpT10_ENKUlT_T0_E_clISt17integral_constantIbLb0EES1O_IbLb1EEEEDaS1K_S1L_EUlS1K_E_NS1_11comp_targetILNS1_3genE9ELNS1_11target_archE1100ELNS1_3gpuE3ELNS1_3repE0EEENS1_30default_config_static_selectorELNS0_4arch9wavefront6targetE0EEEvSY_.uses_vcc, 0
	.set _ZN7rocprim17ROCPRIM_400000_NS6detail17trampoline_kernelINS0_13select_configILj256ELj13ELNS0_17block_load_methodE3ELS4_3ELS4_3ELNS0_20block_scan_algorithmE0ELj4294967295EEENS1_25partition_config_selectorILNS1_17partition_subalgoE3EjNS0_10empty_typeEbEEZZNS1_14partition_implILS8_3ELb0ES6_jNS0_17counting_iteratorIjlEEPS9_SE_NS0_5tupleIJPjSE_EEENSF_IJSE_SE_EEES9_SG_JZNS1_25segmented_radix_sort_implINS0_14default_configELb0EPKbPbPKlPlN2at6native12_GLOBAL__N_18offset_tEEE10hipError_tPvRmT1_PNSt15iterator_traitsISY_E10value_typeET2_T3_PNSZ_IS14_E10value_typeET4_jRbjT5_S1A_jjP12ihipStream_tbEUljE_EEESV_SW_SX_S14_S18_S1A_T6_T7_T9_mT8_S1C_bDpT10_ENKUlT_T0_E_clISt17integral_constantIbLb0EES1O_IbLb1EEEEDaS1K_S1L_EUlS1K_E_NS1_11comp_targetILNS1_3genE9ELNS1_11target_archE1100ELNS1_3gpuE3ELNS1_3repE0EEENS1_30default_config_static_selectorELNS0_4arch9wavefront6targetE0EEEvSY_.uses_flat_scratch, 0
	.set _ZN7rocprim17ROCPRIM_400000_NS6detail17trampoline_kernelINS0_13select_configILj256ELj13ELNS0_17block_load_methodE3ELS4_3ELS4_3ELNS0_20block_scan_algorithmE0ELj4294967295EEENS1_25partition_config_selectorILNS1_17partition_subalgoE3EjNS0_10empty_typeEbEEZZNS1_14partition_implILS8_3ELb0ES6_jNS0_17counting_iteratorIjlEEPS9_SE_NS0_5tupleIJPjSE_EEENSF_IJSE_SE_EEES9_SG_JZNS1_25segmented_radix_sort_implINS0_14default_configELb0EPKbPbPKlPlN2at6native12_GLOBAL__N_18offset_tEEE10hipError_tPvRmT1_PNSt15iterator_traitsISY_E10value_typeET2_T3_PNSZ_IS14_E10value_typeET4_jRbjT5_S1A_jjP12ihipStream_tbEUljE_EEESV_SW_SX_S14_S18_S1A_T6_T7_T9_mT8_S1C_bDpT10_ENKUlT_T0_E_clISt17integral_constantIbLb0EES1O_IbLb1EEEEDaS1K_S1L_EUlS1K_E_NS1_11comp_targetILNS1_3genE9ELNS1_11target_archE1100ELNS1_3gpuE3ELNS1_3repE0EEENS1_30default_config_static_selectorELNS0_4arch9wavefront6targetE0EEEvSY_.has_dyn_sized_stack, 0
	.set _ZN7rocprim17ROCPRIM_400000_NS6detail17trampoline_kernelINS0_13select_configILj256ELj13ELNS0_17block_load_methodE3ELS4_3ELS4_3ELNS0_20block_scan_algorithmE0ELj4294967295EEENS1_25partition_config_selectorILNS1_17partition_subalgoE3EjNS0_10empty_typeEbEEZZNS1_14partition_implILS8_3ELb0ES6_jNS0_17counting_iteratorIjlEEPS9_SE_NS0_5tupleIJPjSE_EEENSF_IJSE_SE_EEES9_SG_JZNS1_25segmented_radix_sort_implINS0_14default_configELb0EPKbPbPKlPlN2at6native12_GLOBAL__N_18offset_tEEE10hipError_tPvRmT1_PNSt15iterator_traitsISY_E10value_typeET2_T3_PNSZ_IS14_E10value_typeET4_jRbjT5_S1A_jjP12ihipStream_tbEUljE_EEESV_SW_SX_S14_S18_S1A_T6_T7_T9_mT8_S1C_bDpT10_ENKUlT_T0_E_clISt17integral_constantIbLb0EES1O_IbLb1EEEEDaS1K_S1L_EUlS1K_E_NS1_11comp_targetILNS1_3genE9ELNS1_11target_archE1100ELNS1_3gpuE3ELNS1_3repE0EEENS1_30default_config_static_selectorELNS0_4arch9wavefront6targetE0EEEvSY_.has_recursion, 0
	.set _ZN7rocprim17ROCPRIM_400000_NS6detail17trampoline_kernelINS0_13select_configILj256ELj13ELNS0_17block_load_methodE3ELS4_3ELS4_3ELNS0_20block_scan_algorithmE0ELj4294967295EEENS1_25partition_config_selectorILNS1_17partition_subalgoE3EjNS0_10empty_typeEbEEZZNS1_14partition_implILS8_3ELb0ES6_jNS0_17counting_iteratorIjlEEPS9_SE_NS0_5tupleIJPjSE_EEENSF_IJSE_SE_EEES9_SG_JZNS1_25segmented_radix_sort_implINS0_14default_configELb0EPKbPbPKlPlN2at6native12_GLOBAL__N_18offset_tEEE10hipError_tPvRmT1_PNSt15iterator_traitsISY_E10value_typeET2_T3_PNSZ_IS14_E10value_typeET4_jRbjT5_S1A_jjP12ihipStream_tbEUljE_EEESV_SW_SX_S14_S18_S1A_T6_T7_T9_mT8_S1C_bDpT10_ENKUlT_T0_E_clISt17integral_constantIbLb0EES1O_IbLb1EEEEDaS1K_S1L_EUlS1K_E_NS1_11comp_targetILNS1_3genE9ELNS1_11target_archE1100ELNS1_3gpuE3ELNS1_3repE0EEENS1_30default_config_static_selectorELNS0_4arch9wavefront6targetE0EEEvSY_.has_indirect_call, 0
	.section	.AMDGPU.csdata,"",@progbits
; Kernel info:
; codeLenInByte = 0
; TotalNumSgprs: 0
; NumVgprs: 0
; ScratchSize: 0
; MemoryBound: 0
; FloatMode: 240
; IeeeMode: 1
; LDSByteSize: 0 bytes/workgroup (compile time only)
; SGPRBlocks: 0
; VGPRBlocks: 0
; NumSGPRsForWavesPerEU: 1
; NumVGPRsForWavesPerEU: 1
; Occupancy: 16
; WaveLimiterHint : 0
; COMPUTE_PGM_RSRC2:SCRATCH_EN: 0
; COMPUTE_PGM_RSRC2:USER_SGPR: 2
; COMPUTE_PGM_RSRC2:TRAP_HANDLER: 0
; COMPUTE_PGM_RSRC2:TGID_X_EN: 1
; COMPUTE_PGM_RSRC2:TGID_Y_EN: 0
; COMPUTE_PGM_RSRC2:TGID_Z_EN: 0
; COMPUTE_PGM_RSRC2:TIDIG_COMP_CNT: 0
	.section	.text._ZN7rocprim17ROCPRIM_400000_NS6detail17trampoline_kernelINS0_13select_configILj256ELj13ELNS0_17block_load_methodE3ELS4_3ELS4_3ELNS0_20block_scan_algorithmE0ELj4294967295EEENS1_25partition_config_selectorILNS1_17partition_subalgoE3EjNS0_10empty_typeEbEEZZNS1_14partition_implILS8_3ELb0ES6_jNS0_17counting_iteratorIjlEEPS9_SE_NS0_5tupleIJPjSE_EEENSF_IJSE_SE_EEES9_SG_JZNS1_25segmented_radix_sort_implINS0_14default_configELb0EPKbPbPKlPlN2at6native12_GLOBAL__N_18offset_tEEE10hipError_tPvRmT1_PNSt15iterator_traitsISY_E10value_typeET2_T3_PNSZ_IS14_E10value_typeET4_jRbjT5_S1A_jjP12ihipStream_tbEUljE_EEESV_SW_SX_S14_S18_S1A_T6_T7_T9_mT8_S1C_bDpT10_ENKUlT_T0_E_clISt17integral_constantIbLb0EES1O_IbLb1EEEEDaS1K_S1L_EUlS1K_E_NS1_11comp_targetILNS1_3genE8ELNS1_11target_archE1030ELNS1_3gpuE2ELNS1_3repE0EEENS1_30default_config_static_selectorELNS0_4arch9wavefront6targetE0EEEvSY_,"axG",@progbits,_ZN7rocprim17ROCPRIM_400000_NS6detail17trampoline_kernelINS0_13select_configILj256ELj13ELNS0_17block_load_methodE3ELS4_3ELS4_3ELNS0_20block_scan_algorithmE0ELj4294967295EEENS1_25partition_config_selectorILNS1_17partition_subalgoE3EjNS0_10empty_typeEbEEZZNS1_14partition_implILS8_3ELb0ES6_jNS0_17counting_iteratorIjlEEPS9_SE_NS0_5tupleIJPjSE_EEENSF_IJSE_SE_EEES9_SG_JZNS1_25segmented_radix_sort_implINS0_14default_configELb0EPKbPbPKlPlN2at6native12_GLOBAL__N_18offset_tEEE10hipError_tPvRmT1_PNSt15iterator_traitsISY_E10value_typeET2_T3_PNSZ_IS14_E10value_typeET4_jRbjT5_S1A_jjP12ihipStream_tbEUljE_EEESV_SW_SX_S14_S18_S1A_T6_T7_T9_mT8_S1C_bDpT10_ENKUlT_T0_E_clISt17integral_constantIbLb0EES1O_IbLb1EEEEDaS1K_S1L_EUlS1K_E_NS1_11comp_targetILNS1_3genE8ELNS1_11target_archE1030ELNS1_3gpuE2ELNS1_3repE0EEENS1_30default_config_static_selectorELNS0_4arch9wavefront6targetE0EEEvSY_,comdat
	.globl	_ZN7rocprim17ROCPRIM_400000_NS6detail17trampoline_kernelINS0_13select_configILj256ELj13ELNS0_17block_load_methodE3ELS4_3ELS4_3ELNS0_20block_scan_algorithmE0ELj4294967295EEENS1_25partition_config_selectorILNS1_17partition_subalgoE3EjNS0_10empty_typeEbEEZZNS1_14partition_implILS8_3ELb0ES6_jNS0_17counting_iteratorIjlEEPS9_SE_NS0_5tupleIJPjSE_EEENSF_IJSE_SE_EEES9_SG_JZNS1_25segmented_radix_sort_implINS0_14default_configELb0EPKbPbPKlPlN2at6native12_GLOBAL__N_18offset_tEEE10hipError_tPvRmT1_PNSt15iterator_traitsISY_E10value_typeET2_T3_PNSZ_IS14_E10value_typeET4_jRbjT5_S1A_jjP12ihipStream_tbEUljE_EEESV_SW_SX_S14_S18_S1A_T6_T7_T9_mT8_S1C_bDpT10_ENKUlT_T0_E_clISt17integral_constantIbLb0EES1O_IbLb1EEEEDaS1K_S1L_EUlS1K_E_NS1_11comp_targetILNS1_3genE8ELNS1_11target_archE1030ELNS1_3gpuE2ELNS1_3repE0EEENS1_30default_config_static_selectorELNS0_4arch9wavefront6targetE0EEEvSY_ ; -- Begin function _ZN7rocprim17ROCPRIM_400000_NS6detail17trampoline_kernelINS0_13select_configILj256ELj13ELNS0_17block_load_methodE3ELS4_3ELS4_3ELNS0_20block_scan_algorithmE0ELj4294967295EEENS1_25partition_config_selectorILNS1_17partition_subalgoE3EjNS0_10empty_typeEbEEZZNS1_14partition_implILS8_3ELb0ES6_jNS0_17counting_iteratorIjlEEPS9_SE_NS0_5tupleIJPjSE_EEENSF_IJSE_SE_EEES9_SG_JZNS1_25segmented_radix_sort_implINS0_14default_configELb0EPKbPbPKlPlN2at6native12_GLOBAL__N_18offset_tEEE10hipError_tPvRmT1_PNSt15iterator_traitsISY_E10value_typeET2_T3_PNSZ_IS14_E10value_typeET4_jRbjT5_S1A_jjP12ihipStream_tbEUljE_EEESV_SW_SX_S14_S18_S1A_T6_T7_T9_mT8_S1C_bDpT10_ENKUlT_T0_E_clISt17integral_constantIbLb0EES1O_IbLb1EEEEDaS1K_S1L_EUlS1K_E_NS1_11comp_targetILNS1_3genE8ELNS1_11target_archE1030ELNS1_3gpuE2ELNS1_3repE0EEENS1_30default_config_static_selectorELNS0_4arch9wavefront6targetE0EEEvSY_
	.p2align	8
	.type	_ZN7rocprim17ROCPRIM_400000_NS6detail17trampoline_kernelINS0_13select_configILj256ELj13ELNS0_17block_load_methodE3ELS4_3ELS4_3ELNS0_20block_scan_algorithmE0ELj4294967295EEENS1_25partition_config_selectorILNS1_17partition_subalgoE3EjNS0_10empty_typeEbEEZZNS1_14partition_implILS8_3ELb0ES6_jNS0_17counting_iteratorIjlEEPS9_SE_NS0_5tupleIJPjSE_EEENSF_IJSE_SE_EEES9_SG_JZNS1_25segmented_radix_sort_implINS0_14default_configELb0EPKbPbPKlPlN2at6native12_GLOBAL__N_18offset_tEEE10hipError_tPvRmT1_PNSt15iterator_traitsISY_E10value_typeET2_T3_PNSZ_IS14_E10value_typeET4_jRbjT5_S1A_jjP12ihipStream_tbEUljE_EEESV_SW_SX_S14_S18_S1A_T6_T7_T9_mT8_S1C_bDpT10_ENKUlT_T0_E_clISt17integral_constantIbLb0EES1O_IbLb1EEEEDaS1K_S1L_EUlS1K_E_NS1_11comp_targetILNS1_3genE8ELNS1_11target_archE1030ELNS1_3gpuE2ELNS1_3repE0EEENS1_30default_config_static_selectorELNS0_4arch9wavefront6targetE0EEEvSY_,@function
_ZN7rocprim17ROCPRIM_400000_NS6detail17trampoline_kernelINS0_13select_configILj256ELj13ELNS0_17block_load_methodE3ELS4_3ELS4_3ELNS0_20block_scan_algorithmE0ELj4294967295EEENS1_25partition_config_selectorILNS1_17partition_subalgoE3EjNS0_10empty_typeEbEEZZNS1_14partition_implILS8_3ELb0ES6_jNS0_17counting_iteratorIjlEEPS9_SE_NS0_5tupleIJPjSE_EEENSF_IJSE_SE_EEES9_SG_JZNS1_25segmented_radix_sort_implINS0_14default_configELb0EPKbPbPKlPlN2at6native12_GLOBAL__N_18offset_tEEE10hipError_tPvRmT1_PNSt15iterator_traitsISY_E10value_typeET2_T3_PNSZ_IS14_E10value_typeET4_jRbjT5_S1A_jjP12ihipStream_tbEUljE_EEESV_SW_SX_S14_S18_S1A_T6_T7_T9_mT8_S1C_bDpT10_ENKUlT_T0_E_clISt17integral_constantIbLb0EES1O_IbLb1EEEEDaS1K_S1L_EUlS1K_E_NS1_11comp_targetILNS1_3genE8ELNS1_11target_archE1030ELNS1_3gpuE2ELNS1_3repE0EEENS1_30default_config_static_selectorELNS0_4arch9wavefront6targetE0EEEvSY_: ; @_ZN7rocprim17ROCPRIM_400000_NS6detail17trampoline_kernelINS0_13select_configILj256ELj13ELNS0_17block_load_methodE3ELS4_3ELS4_3ELNS0_20block_scan_algorithmE0ELj4294967295EEENS1_25partition_config_selectorILNS1_17partition_subalgoE3EjNS0_10empty_typeEbEEZZNS1_14partition_implILS8_3ELb0ES6_jNS0_17counting_iteratorIjlEEPS9_SE_NS0_5tupleIJPjSE_EEENSF_IJSE_SE_EEES9_SG_JZNS1_25segmented_radix_sort_implINS0_14default_configELb0EPKbPbPKlPlN2at6native12_GLOBAL__N_18offset_tEEE10hipError_tPvRmT1_PNSt15iterator_traitsISY_E10value_typeET2_T3_PNSZ_IS14_E10value_typeET4_jRbjT5_S1A_jjP12ihipStream_tbEUljE_EEESV_SW_SX_S14_S18_S1A_T6_T7_T9_mT8_S1C_bDpT10_ENKUlT_T0_E_clISt17integral_constantIbLb0EES1O_IbLb1EEEEDaS1K_S1L_EUlS1K_E_NS1_11comp_targetILNS1_3genE8ELNS1_11target_archE1030ELNS1_3gpuE2ELNS1_3repE0EEENS1_30default_config_static_selectorELNS0_4arch9wavefront6targetE0EEEvSY_
; %bb.0:
	.section	.rodata,"a",@progbits
	.p2align	6, 0x0
	.amdhsa_kernel _ZN7rocprim17ROCPRIM_400000_NS6detail17trampoline_kernelINS0_13select_configILj256ELj13ELNS0_17block_load_methodE3ELS4_3ELS4_3ELNS0_20block_scan_algorithmE0ELj4294967295EEENS1_25partition_config_selectorILNS1_17partition_subalgoE3EjNS0_10empty_typeEbEEZZNS1_14partition_implILS8_3ELb0ES6_jNS0_17counting_iteratorIjlEEPS9_SE_NS0_5tupleIJPjSE_EEENSF_IJSE_SE_EEES9_SG_JZNS1_25segmented_radix_sort_implINS0_14default_configELb0EPKbPbPKlPlN2at6native12_GLOBAL__N_18offset_tEEE10hipError_tPvRmT1_PNSt15iterator_traitsISY_E10value_typeET2_T3_PNSZ_IS14_E10value_typeET4_jRbjT5_S1A_jjP12ihipStream_tbEUljE_EEESV_SW_SX_S14_S18_S1A_T6_T7_T9_mT8_S1C_bDpT10_ENKUlT_T0_E_clISt17integral_constantIbLb0EES1O_IbLb1EEEEDaS1K_S1L_EUlS1K_E_NS1_11comp_targetILNS1_3genE8ELNS1_11target_archE1030ELNS1_3gpuE2ELNS1_3repE0EEENS1_30default_config_static_selectorELNS0_4arch9wavefront6targetE0EEEvSY_
		.amdhsa_group_segment_fixed_size 0
		.amdhsa_private_segment_fixed_size 0
		.amdhsa_kernarg_size 152
		.amdhsa_user_sgpr_count 2
		.amdhsa_user_sgpr_dispatch_ptr 0
		.amdhsa_user_sgpr_queue_ptr 0
		.amdhsa_user_sgpr_kernarg_segment_ptr 1
		.amdhsa_user_sgpr_dispatch_id 0
		.amdhsa_user_sgpr_private_segment_size 0
		.amdhsa_wavefront_size32 1
		.amdhsa_uses_dynamic_stack 0
		.amdhsa_enable_private_segment 0
		.amdhsa_system_sgpr_workgroup_id_x 1
		.amdhsa_system_sgpr_workgroup_id_y 0
		.amdhsa_system_sgpr_workgroup_id_z 0
		.amdhsa_system_sgpr_workgroup_info 0
		.amdhsa_system_vgpr_workitem_id 0
		.amdhsa_next_free_vgpr 1
		.amdhsa_next_free_sgpr 1
		.amdhsa_reserve_vcc 0
		.amdhsa_float_round_mode_32 0
		.amdhsa_float_round_mode_16_64 0
		.amdhsa_float_denorm_mode_32 3
		.amdhsa_float_denorm_mode_16_64 3
		.amdhsa_fp16_overflow 0
		.amdhsa_workgroup_processor_mode 1
		.amdhsa_memory_ordered 1
		.amdhsa_forward_progress 1
		.amdhsa_inst_pref_size 0
		.amdhsa_round_robin_scheduling 0
		.amdhsa_exception_fp_ieee_invalid_op 0
		.amdhsa_exception_fp_denorm_src 0
		.amdhsa_exception_fp_ieee_div_zero 0
		.amdhsa_exception_fp_ieee_overflow 0
		.amdhsa_exception_fp_ieee_underflow 0
		.amdhsa_exception_fp_ieee_inexact 0
		.amdhsa_exception_int_div_zero 0
	.end_amdhsa_kernel
	.section	.text._ZN7rocprim17ROCPRIM_400000_NS6detail17trampoline_kernelINS0_13select_configILj256ELj13ELNS0_17block_load_methodE3ELS4_3ELS4_3ELNS0_20block_scan_algorithmE0ELj4294967295EEENS1_25partition_config_selectorILNS1_17partition_subalgoE3EjNS0_10empty_typeEbEEZZNS1_14partition_implILS8_3ELb0ES6_jNS0_17counting_iteratorIjlEEPS9_SE_NS0_5tupleIJPjSE_EEENSF_IJSE_SE_EEES9_SG_JZNS1_25segmented_radix_sort_implINS0_14default_configELb0EPKbPbPKlPlN2at6native12_GLOBAL__N_18offset_tEEE10hipError_tPvRmT1_PNSt15iterator_traitsISY_E10value_typeET2_T3_PNSZ_IS14_E10value_typeET4_jRbjT5_S1A_jjP12ihipStream_tbEUljE_EEESV_SW_SX_S14_S18_S1A_T6_T7_T9_mT8_S1C_bDpT10_ENKUlT_T0_E_clISt17integral_constantIbLb0EES1O_IbLb1EEEEDaS1K_S1L_EUlS1K_E_NS1_11comp_targetILNS1_3genE8ELNS1_11target_archE1030ELNS1_3gpuE2ELNS1_3repE0EEENS1_30default_config_static_selectorELNS0_4arch9wavefront6targetE0EEEvSY_,"axG",@progbits,_ZN7rocprim17ROCPRIM_400000_NS6detail17trampoline_kernelINS0_13select_configILj256ELj13ELNS0_17block_load_methodE3ELS4_3ELS4_3ELNS0_20block_scan_algorithmE0ELj4294967295EEENS1_25partition_config_selectorILNS1_17partition_subalgoE3EjNS0_10empty_typeEbEEZZNS1_14partition_implILS8_3ELb0ES6_jNS0_17counting_iteratorIjlEEPS9_SE_NS0_5tupleIJPjSE_EEENSF_IJSE_SE_EEES9_SG_JZNS1_25segmented_radix_sort_implINS0_14default_configELb0EPKbPbPKlPlN2at6native12_GLOBAL__N_18offset_tEEE10hipError_tPvRmT1_PNSt15iterator_traitsISY_E10value_typeET2_T3_PNSZ_IS14_E10value_typeET4_jRbjT5_S1A_jjP12ihipStream_tbEUljE_EEESV_SW_SX_S14_S18_S1A_T6_T7_T9_mT8_S1C_bDpT10_ENKUlT_T0_E_clISt17integral_constantIbLb0EES1O_IbLb1EEEEDaS1K_S1L_EUlS1K_E_NS1_11comp_targetILNS1_3genE8ELNS1_11target_archE1030ELNS1_3gpuE2ELNS1_3repE0EEENS1_30default_config_static_selectorELNS0_4arch9wavefront6targetE0EEEvSY_,comdat
.Lfunc_end1634:
	.size	_ZN7rocprim17ROCPRIM_400000_NS6detail17trampoline_kernelINS0_13select_configILj256ELj13ELNS0_17block_load_methodE3ELS4_3ELS4_3ELNS0_20block_scan_algorithmE0ELj4294967295EEENS1_25partition_config_selectorILNS1_17partition_subalgoE3EjNS0_10empty_typeEbEEZZNS1_14partition_implILS8_3ELb0ES6_jNS0_17counting_iteratorIjlEEPS9_SE_NS0_5tupleIJPjSE_EEENSF_IJSE_SE_EEES9_SG_JZNS1_25segmented_radix_sort_implINS0_14default_configELb0EPKbPbPKlPlN2at6native12_GLOBAL__N_18offset_tEEE10hipError_tPvRmT1_PNSt15iterator_traitsISY_E10value_typeET2_T3_PNSZ_IS14_E10value_typeET4_jRbjT5_S1A_jjP12ihipStream_tbEUljE_EEESV_SW_SX_S14_S18_S1A_T6_T7_T9_mT8_S1C_bDpT10_ENKUlT_T0_E_clISt17integral_constantIbLb0EES1O_IbLb1EEEEDaS1K_S1L_EUlS1K_E_NS1_11comp_targetILNS1_3genE8ELNS1_11target_archE1030ELNS1_3gpuE2ELNS1_3repE0EEENS1_30default_config_static_selectorELNS0_4arch9wavefront6targetE0EEEvSY_, .Lfunc_end1634-_ZN7rocprim17ROCPRIM_400000_NS6detail17trampoline_kernelINS0_13select_configILj256ELj13ELNS0_17block_load_methodE3ELS4_3ELS4_3ELNS0_20block_scan_algorithmE0ELj4294967295EEENS1_25partition_config_selectorILNS1_17partition_subalgoE3EjNS0_10empty_typeEbEEZZNS1_14partition_implILS8_3ELb0ES6_jNS0_17counting_iteratorIjlEEPS9_SE_NS0_5tupleIJPjSE_EEENSF_IJSE_SE_EEES9_SG_JZNS1_25segmented_radix_sort_implINS0_14default_configELb0EPKbPbPKlPlN2at6native12_GLOBAL__N_18offset_tEEE10hipError_tPvRmT1_PNSt15iterator_traitsISY_E10value_typeET2_T3_PNSZ_IS14_E10value_typeET4_jRbjT5_S1A_jjP12ihipStream_tbEUljE_EEESV_SW_SX_S14_S18_S1A_T6_T7_T9_mT8_S1C_bDpT10_ENKUlT_T0_E_clISt17integral_constantIbLb0EES1O_IbLb1EEEEDaS1K_S1L_EUlS1K_E_NS1_11comp_targetILNS1_3genE8ELNS1_11target_archE1030ELNS1_3gpuE2ELNS1_3repE0EEENS1_30default_config_static_selectorELNS0_4arch9wavefront6targetE0EEEvSY_
                                        ; -- End function
	.set _ZN7rocprim17ROCPRIM_400000_NS6detail17trampoline_kernelINS0_13select_configILj256ELj13ELNS0_17block_load_methodE3ELS4_3ELS4_3ELNS0_20block_scan_algorithmE0ELj4294967295EEENS1_25partition_config_selectorILNS1_17partition_subalgoE3EjNS0_10empty_typeEbEEZZNS1_14partition_implILS8_3ELb0ES6_jNS0_17counting_iteratorIjlEEPS9_SE_NS0_5tupleIJPjSE_EEENSF_IJSE_SE_EEES9_SG_JZNS1_25segmented_radix_sort_implINS0_14default_configELb0EPKbPbPKlPlN2at6native12_GLOBAL__N_18offset_tEEE10hipError_tPvRmT1_PNSt15iterator_traitsISY_E10value_typeET2_T3_PNSZ_IS14_E10value_typeET4_jRbjT5_S1A_jjP12ihipStream_tbEUljE_EEESV_SW_SX_S14_S18_S1A_T6_T7_T9_mT8_S1C_bDpT10_ENKUlT_T0_E_clISt17integral_constantIbLb0EES1O_IbLb1EEEEDaS1K_S1L_EUlS1K_E_NS1_11comp_targetILNS1_3genE8ELNS1_11target_archE1030ELNS1_3gpuE2ELNS1_3repE0EEENS1_30default_config_static_selectorELNS0_4arch9wavefront6targetE0EEEvSY_.num_vgpr, 0
	.set _ZN7rocprim17ROCPRIM_400000_NS6detail17trampoline_kernelINS0_13select_configILj256ELj13ELNS0_17block_load_methodE3ELS4_3ELS4_3ELNS0_20block_scan_algorithmE0ELj4294967295EEENS1_25partition_config_selectorILNS1_17partition_subalgoE3EjNS0_10empty_typeEbEEZZNS1_14partition_implILS8_3ELb0ES6_jNS0_17counting_iteratorIjlEEPS9_SE_NS0_5tupleIJPjSE_EEENSF_IJSE_SE_EEES9_SG_JZNS1_25segmented_radix_sort_implINS0_14default_configELb0EPKbPbPKlPlN2at6native12_GLOBAL__N_18offset_tEEE10hipError_tPvRmT1_PNSt15iterator_traitsISY_E10value_typeET2_T3_PNSZ_IS14_E10value_typeET4_jRbjT5_S1A_jjP12ihipStream_tbEUljE_EEESV_SW_SX_S14_S18_S1A_T6_T7_T9_mT8_S1C_bDpT10_ENKUlT_T0_E_clISt17integral_constantIbLb0EES1O_IbLb1EEEEDaS1K_S1L_EUlS1K_E_NS1_11comp_targetILNS1_3genE8ELNS1_11target_archE1030ELNS1_3gpuE2ELNS1_3repE0EEENS1_30default_config_static_selectorELNS0_4arch9wavefront6targetE0EEEvSY_.num_agpr, 0
	.set _ZN7rocprim17ROCPRIM_400000_NS6detail17trampoline_kernelINS0_13select_configILj256ELj13ELNS0_17block_load_methodE3ELS4_3ELS4_3ELNS0_20block_scan_algorithmE0ELj4294967295EEENS1_25partition_config_selectorILNS1_17partition_subalgoE3EjNS0_10empty_typeEbEEZZNS1_14partition_implILS8_3ELb0ES6_jNS0_17counting_iteratorIjlEEPS9_SE_NS0_5tupleIJPjSE_EEENSF_IJSE_SE_EEES9_SG_JZNS1_25segmented_radix_sort_implINS0_14default_configELb0EPKbPbPKlPlN2at6native12_GLOBAL__N_18offset_tEEE10hipError_tPvRmT1_PNSt15iterator_traitsISY_E10value_typeET2_T3_PNSZ_IS14_E10value_typeET4_jRbjT5_S1A_jjP12ihipStream_tbEUljE_EEESV_SW_SX_S14_S18_S1A_T6_T7_T9_mT8_S1C_bDpT10_ENKUlT_T0_E_clISt17integral_constantIbLb0EES1O_IbLb1EEEEDaS1K_S1L_EUlS1K_E_NS1_11comp_targetILNS1_3genE8ELNS1_11target_archE1030ELNS1_3gpuE2ELNS1_3repE0EEENS1_30default_config_static_selectorELNS0_4arch9wavefront6targetE0EEEvSY_.numbered_sgpr, 0
	.set _ZN7rocprim17ROCPRIM_400000_NS6detail17trampoline_kernelINS0_13select_configILj256ELj13ELNS0_17block_load_methodE3ELS4_3ELS4_3ELNS0_20block_scan_algorithmE0ELj4294967295EEENS1_25partition_config_selectorILNS1_17partition_subalgoE3EjNS0_10empty_typeEbEEZZNS1_14partition_implILS8_3ELb0ES6_jNS0_17counting_iteratorIjlEEPS9_SE_NS0_5tupleIJPjSE_EEENSF_IJSE_SE_EEES9_SG_JZNS1_25segmented_radix_sort_implINS0_14default_configELb0EPKbPbPKlPlN2at6native12_GLOBAL__N_18offset_tEEE10hipError_tPvRmT1_PNSt15iterator_traitsISY_E10value_typeET2_T3_PNSZ_IS14_E10value_typeET4_jRbjT5_S1A_jjP12ihipStream_tbEUljE_EEESV_SW_SX_S14_S18_S1A_T6_T7_T9_mT8_S1C_bDpT10_ENKUlT_T0_E_clISt17integral_constantIbLb0EES1O_IbLb1EEEEDaS1K_S1L_EUlS1K_E_NS1_11comp_targetILNS1_3genE8ELNS1_11target_archE1030ELNS1_3gpuE2ELNS1_3repE0EEENS1_30default_config_static_selectorELNS0_4arch9wavefront6targetE0EEEvSY_.num_named_barrier, 0
	.set _ZN7rocprim17ROCPRIM_400000_NS6detail17trampoline_kernelINS0_13select_configILj256ELj13ELNS0_17block_load_methodE3ELS4_3ELS4_3ELNS0_20block_scan_algorithmE0ELj4294967295EEENS1_25partition_config_selectorILNS1_17partition_subalgoE3EjNS0_10empty_typeEbEEZZNS1_14partition_implILS8_3ELb0ES6_jNS0_17counting_iteratorIjlEEPS9_SE_NS0_5tupleIJPjSE_EEENSF_IJSE_SE_EEES9_SG_JZNS1_25segmented_radix_sort_implINS0_14default_configELb0EPKbPbPKlPlN2at6native12_GLOBAL__N_18offset_tEEE10hipError_tPvRmT1_PNSt15iterator_traitsISY_E10value_typeET2_T3_PNSZ_IS14_E10value_typeET4_jRbjT5_S1A_jjP12ihipStream_tbEUljE_EEESV_SW_SX_S14_S18_S1A_T6_T7_T9_mT8_S1C_bDpT10_ENKUlT_T0_E_clISt17integral_constantIbLb0EES1O_IbLb1EEEEDaS1K_S1L_EUlS1K_E_NS1_11comp_targetILNS1_3genE8ELNS1_11target_archE1030ELNS1_3gpuE2ELNS1_3repE0EEENS1_30default_config_static_selectorELNS0_4arch9wavefront6targetE0EEEvSY_.private_seg_size, 0
	.set _ZN7rocprim17ROCPRIM_400000_NS6detail17trampoline_kernelINS0_13select_configILj256ELj13ELNS0_17block_load_methodE3ELS4_3ELS4_3ELNS0_20block_scan_algorithmE0ELj4294967295EEENS1_25partition_config_selectorILNS1_17partition_subalgoE3EjNS0_10empty_typeEbEEZZNS1_14partition_implILS8_3ELb0ES6_jNS0_17counting_iteratorIjlEEPS9_SE_NS0_5tupleIJPjSE_EEENSF_IJSE_SE_EEES9_SG_JZNS1_25segmented_radix_sort_implINS0_14default_configELb0EPKbPbPKlPlN2at6native12_GLOBAL__N_18offset_tEEE10hipError_tPvRmT1_PNSt15iterator_traitsISY_E10value_typeET2_T3_PNSZ_IS14_E10value_typeET4_jRbjT5_S1A_jjP12ihipStream_tbEUljE_EEESV_SW_SX_S14_S18_S1A_T6_T7_T9_mT8_S1C_bDpT10_ENKUlT_T0_E_clISt17integral_constantIbLb0EES1O_IbLb1EEEEDaS1K_S1L_EUlS1K_E_NS1_11comp_targetILNS1_3genE8ELNS1_11target_archE1030ELNS1_3gpuE2ELNS1_3repE0EEENS1_30default_config_static_selectorELNS0_4arch9wavefront6targetE0EEEvSY_.uses_vcc, 0
	.set _ZN7rocprim17ROCPRIM_400000_NS6detail17trampoline_kernelINS0_13select_configILj256ELj13ELNS0_17block_load_methodE3ELS4_3ELS4_3ELNS0_20block_scan_algorithmE0ELj4294967295EEENS1_25partition_config_selectorILNS1_17partition_subalgoE3EjNS0_10empty_typeEbEEZZNS1_14partition_implILS8_3ELb0ES6_jNS0_17counting_iteratorIjlEEPS9_SE_NS0_5tupleIJPjSE_EEENSF_IJSE_SE_EEES9_SG_JZNS1_25segmented_radix_sort_implINS0_14default_configELb0EPKbPbPKlPlN2at6native12_GLOBAL__N_18offset_tEEE10hipError_tPvRmT1_PNSt15iterator_traitsISY_E10value_typeET2_T3_PNSZ_IS14_E10value_typeET4_jRbjT5_S1A_jjP12ihipStream_tbEUljE_EEESV_SW_SX_S14_S18_S1A_T6_T7_T9_mT8_S1C_bDpT10_ENKUlT_T0_E_clISt17integral_constantIbLb0EES1O_IbLb1EEEEDaS1K_S1L_EUlS1K_E_NS1_11comp_targetILNS1_3genE8ELNS1_11target_archE1030ELNS1_3gpuE2ELNS1_3repE0EEENS1_30default_config_static_selectorELNS0_4arch9wavefront6targetE0EEEvSY_.uses_flat_scratch, 0
	.set _ZN7rocprim17ROCPRIM_400000_NS6detail17trampoline_kernelINS0_13select_configILj256ELj13ELNS0_17block_load_methodE3ELS4_3ELS4_3ELNS0_20block_scan_algorithmE0ELj4294967295EEENS1_25partition_config_selectorILNS1_17partition_subalgoE3EjNS0_10empty_typeEbEEZZNS1_14partition_implILS8_3ELb0ES6_jNS0_17counting_iteratorIjlEEPS9_SE_NS0_5tupleIJPjSE_EEENSF_IJSE_SE_EEES9_SG_JZNS1_25segmented_radix_sort_implINS0_14default_configELb0EPKbPbPKlPlN2at6native12_GLOBAL__N_18offset_tEEE10hipError_tPvRmT1_PNSt15iterator_traitsISY_E10value_typeET2_T3_PNSZ_IS14_E10value_typeET4_jRbjT5_S1A_jjP12ihipStream_tbEUljE_EEESV_SW_SX_S14_S18_S1A_T6_T7_T9_mT8_S1C_bDpT10_ENKUlT_T0_E_clISt17integral_constantIbLb0EES1O_IbLb1EEEEDaS1K_S1L_EUlS1K_E_NS1_11comp_targetILNS1_3genE8ELNS1_11target_archE1030ELNS1_3gpuE2ELNS1_3repE0EEENS1_30default_config_static_selectorELNS0_4arch9wavefront6targetE0EEEvSY_.has_dyn_sized_stack, 0
	.set _ZN7rocprim17ROCPRIM_400000_NS6detail17trampoline_kernelINS0_13select_configILj256ELj13ELNS0_17block_load_methodE3ELS4_3ELS4_3ELNS0_20block_scan_algorithmE0ELj4294967295EEENS1_25partition_config_selectorILNS1_17partition_subalgoE3EjNS0_10empty_typeEbEEZZNS1_14partition_implILS8_3ELb0ES6_jNS0_17counting_iteratorIjlEEPS9_SE_NS0_5tupleIJPjSE_EEENSF_IJSE_SE_EEES9_SG_JZNS1_25segmented_radix_sort_implINS0_14default_configELb0EPKbPbPKlPlN2at6native12_GLOBAL__N_18offset_tEEE10hipError_tPvRmT1_PNSt15iterator_traitsISY_E10value_typeET2_T3_PNSZ_IS14_E10value_typeET4_jRbjT5_S1A_jjP12ihipStream_tbEUljE_EEESV_SW_SX_S14_S18_S1A_T6_T7_T9_mT8_S1C_bDpT10_ENKUlT_T0_E_clISt17integral_constantIbLb0EES1O_IbLb1EEEEDaS1K_S1L_EUlS1K_E_NS1_11comp_targetILNS1_3genE8ELNS1_11target_archE1030ELNS1_3gpuE2ELNS1_3repE0EEENS1_30default_config_static_selectorELNS0_4arch9wavefront6targetE0EEEvSY_.has_recursion, 0
	.set _ZN7rocprim17ROCPRIM_400000_NS6detail17trampoline_kernelINS0_13select_configILj256ELj13ELNS0_17block_load_methodE3ELS4_3ELS4_3ELNS0_20block_scan_algorithmE0ELj4294967295EEENS1_25partition_config_selectorILNS1_17partition_subalgoE3EjNS0_10empty_typeEbEEZZNS1_14partition_implILS8_3ELb0ES6_jNS0_17counting_iteratorIjlEEPS9_SE_NS0_5tupleIJPjSE_EEENSF_IJSE_SE_EEES9_SG_JZNS1_25segmented_radix_sort_implINS0_14default_configELb0EPKbPbPKlPlN2at6native12_GLOBAL__N_18offset_tEEE10hipError_tPvRmT1_PNSt15iterator_traitsISY_E10value_typeET2_T3_PNSZ_IS14_E10value_typeET4_jRbjT5_S1A_jjP12ihipStream_tbEUljE_EEESV_SW_SX_S14_S18_S1A_T6_T7_T9_mT8_S1C_bDpT10_ENKUlT_T0_E_clISt17integral_constantIbLb0EES1O_IbLb1EEEEDaS1K_S1L_EUlS1K_E_NS1_11comp_targetILNS1_3genE8ELNS1_11target_archE1030ELNS1_3gpuE2ELNS1_3repE0EEENS1_30default_config_static_selectorELNS0_4arch9wavefront6targetE0EEEvSY_.has_indirect_call, 0
	.section	.AMDGPU.csdata,"",@progbits
; Kernel info:
; codeLenInByte = 0
; TotalNumSgprs: 0
; NumVgprs: 0
; ScratchSize: 0
; MemoryBound: 0
; FloatMode: 240
; IeeeMode: 1
; LDSByteSize: 0 bytes/workgroup (compile time only)
; SGPRBlocks: 0
; VGPRBlocks: 0
; NumSGPRsForWavesPerEU: 1
; NumVGPRsForWavesPerEU: 1
; Occupancy: 16
; WaveLimiterHint : 0
; COMPUTE_PGM_RSRC2:SCRATCH_EN: 0
; COMPUTE_PGM_RSRC2:USER_SGPR: 2
; COMPUTE_PGM_RSRC2:TRAP_HANDLER: 0
; COMPUTE_PGM_RSRC2:TGID_X_EN: 1
; COMPUTE_PGM_RSRC2:TGID_Y_EN: 0
; COMPUTE_PGM_RSRC2:TGID_Z_EN: 0
; COMPUTE_PGM_RSRC2:TIDIG_COMP_CNT: 0
	.section	.text._ZN7rocprim17ROCPRIM_400000_NS6detail17trampoline_kernelINS0_14default_configENS1_36segmented_radix_sort_config_selectorIblEEZNS1_25segmented_radix_sort_implIS3_Lb0EPKbPbPKlPlN2at6native12_GLOBAL__N_18offset_tEEE10hipError_tPvRmT1_PNSt15iterator_traitsISK_E10value_typeET2_T3_PNSL_ISQ_E10value_typeET4_jRbjT5_SW_jjP12ihipStream_tbEUlT_E_NS1_11comp_targetILNS1_3genE0ELNS1_11target_archE4294967295ELNS1_3gpuE0ELNS1_3repE0EEENS1_30default_config_static_selectorELNS0_4arch9wavefront6targetE0EEEvSK_,"axG",@progbits,_ZN7rocprim17ROCPRIM_400000_NS6detail17trampoline_kernelINS0_14default_configENS1_36segmented_radix_sort_config_selectorIblEEZNS1_25segmented_radix_sort_implIS3_Lb0EPKbPbPKlPlN2at6native12_GLOBAL__N_18offset_tEEE10hipError_tPvRmT1_PNSt15iterator_traitsISK_E10value_typeET2_T3_PNSL_ISQ_E10value_typeET4_jRbjT5_SW_jjP12ihipStream_tbEUlT_E_NS1_11comp_targetILNS1_3genE0ELNS1_11target_archE4294967295ELNS1_3gpuE0ELNS1_3repE0EEENS1_30default_config_static_selectorELNS0_4arch9wavefront6targetE0EEEvSK_,comdat
	.globl	_ZN7rocprim17ROCPRIM_400000_NS6detail17trampoline_kernelINS0_14default_configENS1_36segmented_radix_sort_config_selectorIblEEZNS1_25segmented_radix_sort_implIS3_Lb0EPKbPbPKlPlN2at6native12_GLOBAL__N_18offset_tEEE10hipError_tPvRmT1_PNSt15iterator_traitsISK_E10value_typeET2_T3_PNSL_ISQ_E10value_typeET4_jRbjT5_SW_jjP12ihipStream_tbEUlT_E_NS1_11comp_targetILNS1_3genE0ELNS1_11target_archE4294967295ELNS1_3gpuE0ELNS1_3repE0EEENS1_30default_config_static_selectorELNS0_4arch9wavefront6targetE0EEEvSK_ ; -- Begin function _ZN7rocprim17ROCPRIM_400000_NS6detail17trampoline_kernelINS0_14default_configENS1_36segmented_radix_sort_config_selectorIblEEZNS1_25segmented_radix_sort_implIS3_Lb0EPKbPbPKlPlN2at6native12_GLOBAL__N_18offset_tEEE10hipError_tPvRmT1_PNSt15iterator_traitsISK_E10value_typeET2_T3_PNSL_ISQ_E10value_typeET4_jRbjT5_SW_jjP12ihipStream_tbEUlT_E_NS1_11comp_targetILNS1_3genE0ELNS1_11target_archE4294967295ELNS1_3gpuE0ELNS1_3repE0EEENS1_30default_config_static_selectorELNS0_4arch9wavefront6targetE0EEEvSK_
	.p2align	8
	.type	_ZN7rocprim17ROCPRIM_400000_NS6detail17trampoline_kernelINS0_14default_configENS1_36segmented_radix_sort_config_selectorIblEEZNS1_25segmented_radix_sort_implIS3_Lb0EPKbPbPKlPlN2at6native12_GLOBAL__N_18offset_tEEE10hipError_tPvRmT1_PNSt15iterator_traitsISK_E10value_typeET2_T3_PNSL_ISQ_E10value_typeET4_jRbjT5_SW_jjP12ihipStream_tbEUlT_E_NS1_11comp_targetILNS1_3genE0ELNS1_11target_archE4294967295ELNS1_3gpuE0ELNS1_3repE0EEENS1_30default_config_static_selectorELNS0_4arch9wavefront6targetE0EEEvSK_,@function
_ZN7rocprim17ROCPRIM_400000_NS6detail17trampoline_kernelINS0_14default_configENS1_36segmented_radix_sort_config_selectorIblEEZNS1_25segmented_radix_sort_implIS3_Lb0EPKbPbPKlPlN2at6native12_GLOBAL__N_18offset_tEEE10hipError_tPvRmT1_PNSt15iterator_traitsISK_E10value_typeET2_T3_PNSL_ISQ_E10value_typeET4_jRbjT5_SW_jjP12ihipStream_tbEUlT_E_NS1_11comp_targetILNS1_3genE0ELNS1_11target_archE4294967295ELNS1_3gpuE0ELNS1_3repE0EEENS1_30default_config_static_selectorELNS0_4arch9wavefront6targetE0EEEvSK_: ; @_ZN7rocprim17ROCPRIM_400000_NS6detail17trampoline_kernelINS0_14default_configENS1_36segmented_radix_sort_config_selectorIblEEZNS1_25segmented_radix_sort_implIS3_Lb0EPKbPbPKlPlN2at6native12_GLOBAL__N_18offset_tEEE10hipError_tPvRmT1_PNSt15iterator_traitsISK_E10value_typeET2_T3_PNSL_ISQ_E10value_typeET4_jRbjT5_SW_jjP12ihipStream_tbEUlT_E_NS1_11comp_targetILNS1_3genE0ELNS1_11target_archE4294967295ELNS1_3gpuE0ELNS1_3repE0EEENS1_30default_config_static_selectorELNS0_4arch9wavefront6targetE0EEEvSK_
; %bb.0:
	.section	.rodata,"a",@progbits
	.p2align	6, 0x0
	.amdhsa_kernel _ZN7rocprim17ROCPRIM_400000_NS6detail17trampoline_kernelINS0_14default_configENS1_36segmented_radix_sort_config_selectorIblEEZNS1_25segmented_radix_sort_implIS3_Lb0EPKbPbPKlPlN2at6native12_GLOBAL__N_18offset_tEEE10hipError_tPvRmT1_PNSt15iterator_traitsISK_E10value_typeET2_T3_PNSL_ISQ_E10value_typeET4_jRbjT5_SW_jjP12ihipStream_tbEUlT_E_NS1_11comp_targetILNS1_3genE0ELNS1_11target_archE4294967295ELNS1_3gpuE0ELNS1_3repE0EEENS1_30default_config_static_selectorELNS0_4arch9wavefront6targetE0EEEvSK_
		.amdhsa_group_segment_fixed_size 0
		.amdhsa_private_segment_fixed_size 0
		.amdhsa_kernarg_size 96
		.amdhsa_user_sgpr_count 2
		.amdhsa_user_sgpr_dispatch_ptr 0
		.amdhsa_user_sgpr_queue_ptr 0
		.amdhsa_user_sgpr_kernarg_segment_ptr 1
		.amdhsa_user_sgpr_dispatch_id 0
		.amdhsa_user_sgpr_private_segment_size 0
		.amdhsa_wavefront_size32 1
		.amdhsa_uses_dynamic_stack 0
		.amdhsa_enable_private_segment 0
		.amdhsa_system_sgpr_workgroup_id_x 1
		.amdhsa_system_sgpr_workgroup_id_y 0
		.amdhsa_system_sgpr_workgroup_id_z 0
		.amdhsa_system_sgpr_workgroup_info 0
		.amdhsa_system_vgpr_workitem_id 0
		.amdhsa_next_free_vgpr 1
		.amdhsa_next_free_sgpr 1
		.amdhsa_reserve_vcc 0
		.amdhsa_float_round_mode_32 0
		.amdhsa_float_round_mode_16_64 0
		.amdhsa_float_denorm_mode_32 3
		.amdhsa_float_denorm_mode_16_64 3
		.amdhsa_fp16_overflow 0
		.amdhsa_workgroup_processor_mode 1
		.amdhsa_memory_ordered 1
		.amdhsa_forward_progress 1
		.amdhsa_inst_pref_size 0
		.amdhsa_round_robin_scheduling 0
		.amdhsa_exception_fp_ieee_invalid_op 0
		.amdhsa_exception_fp_denorm_src 0
		.amdhsa_exception_fp_ieee_div_zero 0
		.amdhsa_exception_fp_ieee_overflow 0
		.amdhsa_exception_fp_ieee_underflow 0
		.amdhsa_exception_fp_ieee_inexact 0
		.amdhsa_exception_int_div_zero 0
	.end_amdhsa_kernel
	.section	.text._ZN7rocprim17ROCPRIM_400000_NS6detail17trampoline_kernelINS0_14default_configENS1_36segmented_radix_sort_config_selectorIblEEZNS1_25segmented_radix_sort_implIS3_Lb0EPKbPbPKlPlN2at6native12_GLOBAL__N_18offset_tEEE10hipError_tPvRmT1_PNSt15iterator_traitsISK_E10value_typeET2_T3_PNSL_ISQ_E10value_typeET4_jRbjT5_SW_jjP12ihipStream_tbEUlT_E_NS1_11comp_targetILNS1_3genE0ELNS1_11target_archE4294967295ELNS1_3gpuE0ELNS1_3repE0EEENS1_30default_config_static_selectorELNS0_4arch9wavefront6targetE0EEEvSK_,"axG",@progbits,_ZN7rocprim17ROCPRIM_400000_NS6detail17trampoline_kernelINS0_14default_configENS1_36segmented_radix_sort_config_selectorIblEEZNS1_25segmented_radix_sort_implIS3_Lb0EPKbPbPKlPlN2at6native12_GLOBAL__N_18offset_tEEE10hipError_tPvRmT1_PNSt15iterator_traitsISK_E10value_typeET2_T3_PNSL_ISQ_E10value_typeET4_jRbjT5_SW_jjP12ihipStream_tbEUlT_E_NS1_11comp_targetILNS1_3genE0ELNS1_11target_archE4294967295ELNS1_3gpuE0ELNS1_3repE0EEENS1_30default_config_static_selectorELNS0_4arch9wavefront6targetE0EEEvSK_,comdat
.Lfunc_end1635:
	.size	_ZN7rocprim17ROCPRIM_400000_NS6detail17trampoline_kernelINS0_14default_configENS1_36segmented_radix_sort_config_selectorIblEEZNS1_25segmented_radix_sort_implIS3_Lb0EPKbPbPKlPlN2at6native12_GLOBAL__N_18offset_tEEE10hipError_tPvRmT1_PNSt15iterator_traitsISK_E10value_typeET2_T3_PNSL_ISQ_E10value_typeET4_jRbjT5_SW_jjP12ihipStream_tbEUlT_E_NS1_11comp_targetILNS1_3genE0ELNS1_11target_archE4294967295ELNS1_3gpuE0ELNS1_3repE0EEENS1_30default_config_static_selectorELNS0_4arch9wavefront6targetE0EEEvSK_, .Lfunc_end1635-_ZN7rocprim17ROCPRIM_400000_NS6detail17trampoline_kernelINS0_14default_configENS1_36segmented_radix_sort_config_selectorIblEEZNS1_25segmented_radix_sort_implIS3_Lb0EPKbPbPKlPlN2at6native12_GLOBAL__N_18offset_tEEE10hipError_tPvRmT1_PNSt15iterator_traitsISK_E10value_typeET2_T3_PNSL_ISQ_E10value_typeET4_jRbjT5_SW_jjP12ihipStream_tbEUlT_E_NS1_11comp_targetILNS1_3genE0ELNS1_11target_archE4294967295ELNS1_3gpuE0ELNS1_3repE0EEENS1_30default_config_static_selectorELNS0_4arch9wavefront6targetE0EEEvSK_
                                        ; -- End function
	.set _ZN7rocprim17ROCPRIM_400000_NS6detail17trampoline_kernelINS0_14default_configENS1_36segmented_radix_sort_config_selectorIblEEZNS1_25segmented_radix_sort_implIS3_Lb0EPKbPbPKlPlN2at6native12_GLOBAL__N_18offset_tEEE10hipError_tPvRmT1_PNSt15iterator_traitsISK_E10value_typeET2_T3_PNSL_ISQ_E10value_typeET4_jRbjT5_SW_jjP12ihipStream_tbEUlT_E_NS1_11comp_targetILNS1_3genE0ELNS1_11target_archE4294967295ELNS1_3gpuE0ELNS1_3repE0EEENS1_30default_config_static_selectorELNS0_4arch9wavefront6targetE0EEEvSK_.num_vgpr, 0
	.set _ZN7rocprim17ROCPRIM_400000_NS6detail17trampoline_kernelINS0_14default_configENS1_36segmented_radix_sort_config_selectorIblEEZNS1_25segmented_radix_sort_implIS3_Lb0EPKbPbPKlPlN2at6native12_GLOBAL__N_18offset_tEEE10hipError_tPvRmT1_PNSt15iterator_traitsISK_E10value_typeET2_T3_PNSL_ISQ_E10value_typeET4_jRbjT5_SW_jjP12ihipStream_tbEUlT_E_NS1_11comp_targetILNS1_3genE0ELNS1_11target_archE4294967295ELNS1_3gpuE0ELNS1_3repE0EEENS1_30default_config_static_selectorELNS0_4arch9wavefront6targetE0EEEvSK_.num_agpr, 0
	.set _ZN7rocprim17ROCPRIM_400000_NS6detail17trampoline_kernelINS0_14default_configENS1_36segmented_radix_sort_config_selectorIblEEZNS1_25segmented_radix_sort_implIS3_Lb0EPKbPbPKlPlN2at6native12_GLOBAL__N_18offset_tEEE10hipError_tPvRmT1_PNSt15iterator_traitsISK_E10value_typeET2_T3_PNSL_ISQ_E10value_typeET4_jRbjT5_SW_jjP12ihipStream_tbEUlT_E_NS1_11comp_targetILNS1_3genE0ELNS1_11target_archE4294967295ELNS1_3gpuE0ELNS1_3repE0EEENS1_30default_config_static_selectorELNS0_4arch9wavefront6targetE0EEEvSK_.numbered_sgpr, 0
	.set _ZN7rocprim17ROCPRIM_400000_NS6detail17trampoline_kernelINS0_14default_configENS1_36segmented_radix_sort_config_selectorIblEEZNS1_25segmented_radix_sort_implIS3_Lb0EPKbPbPKlPlN2at6native12_GLOBAL__N_18offset_tEEE10hipError_tPvRmT1_PNSt15iterator_traitsISK_E10value_typeET2_T3_PNSL_ISQ_E10value_typeET4_jRbjT5_SW_jjP12ihipStream_tbEUlT_E_NS1_11comp_targetILNS1_3genE0ELNS1_11target_archE4294967295ELNS1_3gpuE0ELNS1_3repE0EEENS1_30default_config_static_selectorELNS0_4arch9wavefront6targetE0EEEvSK_.num_named_barrier, 0
	.set _ZN7rocprim17ROCPRIM_400000_NS6detail17trampoline_kernelINS0_14default_configENS1_36segmented_radix_sort_config_selectorIblEEZNS1_25segmented_radix_sort_implIS3_Lb0EPKbPbPKlPlN2at6native12_GLOBAL__N_18offset_tEEE10hipError_tPvRmT1_PNSt15iterator_traitsISK_E10value_typeET2_T3_PNSL_ISQ_E10value_typeET4_jRbjT5_SW_jjP12ihipStream_tbEUlT_E_NS1_11comp_targetILNS1_3genE0ELNS1_11target_archE4294967295ELNS1_3gpuE0ELNS1_3repE0EEENS1_30default_config_static_selectorELNS0_4arch9wavefront6targetE0EEEvSK_.private_seg_size, 0
	.set _ZN7rocprim17ROCPRIM_400000_NS6detail17trampoline_kernelINS0_14default_configENS1_36segmented_radix_sort_config_selectorIblEEZNS1_25segmented_radix_sort_implIS3_Lb0EPKbPbPKlPlN2at6native12_GLOBAL__N_18offset_tEEE10hipError_tPvRmT1_PNSt15iterator_traitsISK_E10value_typeET2_T3_PNSL_ISQ_E10value_typeET4_jRbjT5_SW_jjP12ihipStream_tbEUlT_E_NS1_11comp_targetILNS1_3genE0ELNS1_11target_archE4294967295ELNS1_3gpuE0ELNS1_3repE0EEENS1_30default_config_static_selectorELNS0_4arch9wavefront6targetE0EEEvSK_.uses_vcc, 0
	.set _ZN7rocprim17ROCPRIM_400000_NS6detail17trampoline_kernelINS0_14default_configENS1_36segmented_radix_sort_config_selectorIblEEZNS1_25segmented_radix_sort_implIS3_Lb0EPKbPbPKlPlN2at6native12_GLOBAL__N_18offset_tEEE10hipError_tPvRmT1_PNSt15iterator_traitsISK_E10value_typeET2_T3_PNSL_ISQ_E10value_typeET4_jRbjT5_SW_jjP12ihipStream_tbEUlT_E_NS1_11comp_targetILNS1_3genE0ELNS1_11target_archE4294967295ELNS1_3gpuE0ELNS1_3repE0EEENS1_30default_config_static_selectorELNS0_4arch9wavefront6targetE0EEEvSK_.uses_flat_scratch, 0
	.set _ZN7rocprim17ROCPRIM_400000_NS6detail17trampoline_kernelINS0_14default_configENS1_36segmented_radix_sort_config_selectorIblEEZNS1_25segmented_radix_sort_implIS3_Lb0EPKbPbPKlPlN2at6native12_GLOBAL__N_18offset_tEEE10hipError_tPvRmT1_PNSt15iterator_traitsISK_E10value_typeET2_T3_PNSL_ISQ_E10value_typeET4_jRbjT5_SW_jjP12ihipStream_tbEUlT_E_NS1_11comp_targetILNS1_3genE0ELNS1_11target_archE4294967295ELNS1_3gpuE0ELNS1_3repE0EEENS1_30default_config_static_selectorELNS0_4arch9wavefront6targetE0EEEvSK_.has_dyn_sized_stack, 0
	.set _ZN7rocprim17ROCPRIM_400000_NS6detail17trampoline_kernelINS0_14default_configENS1_36segmented_radix_sort_config_selectorIblEEZNS1_25segmented_radix_sort_implIS3_Lb0EPKbPbPKlPlN2at6native12_GLOBAL__N_18offset_tEEE10hipError_tPvRmT1_PNSt15iterator_traitsISK_E10value_typeET2_T3_PNSL_ISQ_E10value_typeET4_jRbjT5_SW_jjP12ihipStream_tbEUlT_E_NS1_11comp_targetILNS1_3genE0ELNS1_11target_archE4294967295ELNS1_3gpuE0ELNS1_3repE0EEENS1_30default_config_static_selectorELNS0_4arch9wavefront6targetE0EEEvSK_.has_recursion, 0
	.set _ZN7rocprim17ROCPRIM_400000_NS6detail17trampoline_kernelINS0_14default_configENS1_36segmented_radix_sort_config_selectorIblEEZNS1_25segmented_radix_sort_implIS3_Lb0EPKbPbPKlPlN2at6native12_GLOBAL__N_18offset_tEEE10hipError_tPvRmT1_PNSt15iterator_traitsISK_E10value_typeET2_T3_PNSL_ISQ_E10value_typeET4_jRbjT5_SW_jjP12ihipStream_tbEUlT_E_NS1_11comp_targetILNS1_3genE0ELNS1_11target_archE4294967295ELNS1_3gpuE0ELNS1_3repE0EEENS1_30default_config_static_selectorELNS0_4arch9wavefront6targetE0EEEvSK_.has_indirect_call, 0
	.section	.AMDGPU.csdata,"",@progbits
; Kernel info:
; codeLenInByte = 0
; TotalNumSgprs: 0
; NumVgprs: 0
; ScratchSize: 0
; MemoryBound: 0
; FloatMode: 240
; IeeeMode: 1
; LDSByteSize: 0 bytes/workgroup (compile time only)
; SGPRBlocks: 0
; VGPRBlocks: 0
; NumSGPRsForWavesPerEU: 1
; NumVGPRsForWavesPerEU: 1
; Occupancy: 16
; WaveLimiterHint : 0
; COMPUTE_PGM_RSRC2:SCRATCH_EN: 0
; COMPUTE_PGM_RSRC2:USER_SGPR: 2
; COMPUTE_PGM_RSRC2:TRAP_HANDLER: 0
; COMPUTE_PGM_RSRC2:TGID_X_EN: 1
; COMPUTE_PGM_RSRC2:TGID_Y_EN: 0
; COMPUTE_PGM_RSRC2:TGID_Z_EN: 0
; COMPUTE_PGM_RSRC2:TIDIG_COMP_CNT: 0
	.section	.text._ZN7rocprim17ROCPRIM_400000_NS6detail17trampoline_kernelINS0_14default_configENS1_36segmented_radix_sort_config_selectorIblEEZNS1_25segmented_radix_sort_implIS3_Lb0EPKbPbPKlPlN2at6native12_GLOBAL__N_18offset_tEEE10hipError_tPvRmT1_PNSt15iterator_traitsISK_E10value_typeET2_T3_PNSL_ISQ_E10value_typeET4_jRbjT5_SW_jjP12ihipStream_tbEUlT_E_NS1_11comp_targetILNS1_3genE5ELNS1_11target_archE942ELNS1_3gpuE9ELNS1_3repE0EEENS1_30default_config_static_selectorELNS0_4arch9wavefront6targetE0EEEvSK_,"axG",@progbits,_ZN7rocprim17ROCPRIM_400000_NS6detail17trampoline_kernelINS0_14default_configENS1_36segmented_radix_sort_config_selectorIblEEZNS1_25segmented_radix_sort_implIS3_Lb0EPKbPbPKlPlN2at6native12_GLOBAL__N_18offset_tEEE10hipError_tPvRmT1_PNSt15iterator_traitsISK_E10value_typeET2_T3_PNSL_ISQ_E10value_typeET4_jRbjT5_SW_jjP12ihipStream_tbEUlT_E_NS1_11comp_targetILNS1_3genE5ELNS1_11target_archE942ELNS1_3gpuE9ELNS1_3repE0EEENS1_30default_config_static_selectorELNS0_4arch9wavefront6targetE0EEEvSK_,comdat
	.globl	_ZN7rocprim17ROCPRIM_400000_NS6detail17trampoline_kernelINS0_14default_configENS1_36segmented_radix_sort_config_selectorIblEEZNS1_25segmented_radix_sort_implIS3_Lb0EPKbPbPKlPlN2at6native12_GLOBAL__N_18offset_tEEE10hipError_tPvRmT1_PNSt15iterator_traitsISK_E10value_typeET2_T3_PNSL_ISQ_E10value_typeET4_jRbjT5_SW_jjP12ihipStream_tbEUlT_E_NS1_11comp_targetILNS1_3genE5ELNS1_11target_archE942ELNS1_3gpuE9ELNS1_3repE0EEENS1_30default_config_static_selectorELNS0_4arch9wavefront6targetE0EEEvSK_ ; -- Begin function _ZN7rocprim17ROCPRIM_400000_NS6detail17trampoline_kernelINS0_14default_configENS1_36segmented_radix_sort_config_selectorIblEEZNS1_25segmented_radix_sort_implIS3_Lb0EPKbPbPKlPlN2at6native12_GLOBAL__N_18offset_tEEE10hipError_tPvRmT1_PNSt15iterator_traitsISK_E10value_typeET2_T3_PNSL_ISQ_E10value_typeET4_jRbjT5_SW_jjP12ihipStream_tbEUlT_E_NS1_11comp_targetILNS1_3genE5ELNS1_11target_archE942ELNS1_3gpuE9ELNS1_3repE0EEENS1_30default_config_static_selectorELNS0_4arch9wavefront6targetE0EEEvSK_
	.p2align	8
	.type	_ZN7rocprim17ROCPRIM_400000_NS6detail17trampoline_kernelINS0_14default_configENS1_36segmented_radix_sort_config_selectorIblEEZNS1_25segmented_radix_sort_implIS3_Lb0EPKbPbPKlPlN2at6native12_GLOBAL__N_18offset_tEEE10hipError_tPvRmT1_PNSt15iterator_traitsISK_E10value_typeET2_T3_PNSL_ISQ_E10value_typeET4_jRbjT5_SW_jjP12ihipStream_tbEUlT_E_NS1_11comp_targetILNS1_3genE5ELNS1_11target_archE942ELNS1_3gpuE9ELNS1_3repE0EEENS1_30default_config_static_selectorELNS0_4arch9wavefront6targetE0EEEvSK_,@function
_ZN7rocprim17ROCPRIM_400000_NS6detail17trampoline_kernelINS0_14default_configENS1_36segmented_radix_sort_config_selectorIblEEZNS1_25segmented_radix_sort_implIS3_Lb0EPKbPbPKlPlN2at6native12_GLOBAL__N_18offset_tEEE10hipError_tPvRmT1_PNSt15iterator_traitsISK_E10value_typeET2_T3_PNSL_ISQ_E10value_typeET4_jRbjT5_SW_jjP12ihipStream_tbEUlT_E_NS1_11comp_targetILNS1_3genE5ELNS1_11target_archE942ELNS1_3gpuE9ELNS1_3repE0EEENS1_30default_config_static_selectorELNS0_4arch9wavefront6targetE0EEEvSK_: ; @_ZN7rocprim17ROCPRIM_400000_NS6detail17trampoline_kernelINS0_14default_configENS1_36segmented_radix_sort_config_selectorIblEEZNS1_25segmented_radix_sort_implIS3_Lb0EPKbPbPKlPlN2at6native12_GLOBAL__N_18offset_tEEE10hipError_tPvRmT1_PNSt15iterator_traitsISK_E10value_typeET2_T3_PNSL_ISQ_E10value_typeET4_jRbjT5_SW_jjP12ihipStream_tbEUlT_E_NS1_11comp_targetILNS1_3genE5ELNS1_11target_archE942ELNS1_3gpuE9ELNS1_3repE0EEENS1_30default_config_static_selectorELNS0_4arch9wavefront6targetE0EEEvSK_
; %bb.0:
	.section	.rodata,"a",@progbits
	.p2align	6, 0x0
	.amdhsa_kernel _ZN7rocprim17ROCPRIM_400000_NS6detail17trampoline_kernelINS0_14default_configENS1_36segmented_radix_sort_config_selectorIblEEZNS1_25segmented_radix_sort_implIS3_Lb0EPKbPbPKlPlN2at6native12_GLOBAL__N_18offset_tEEE10hipError_tPvRmT1_PNSt15iterator_traitsISK_E10value_typeET2_T3_PNSL_ISQ_E10value_typeET4_jRbjT5_SW_jjP12ihipStream_tbEUlT_E_NS1_11comp_targetILNS1_3genE5ELNS1_11target_archE942ELNS1_3gpuE9ELNS1_3repE0EEENS1_30default_config_static_selectorELNS0_4arch9wavefront6targetE0EEEvSK_
		.amdhsa_group_segment_fixed_size 0
		.amdhsa_private_segment_fixed_size 0
		.amdhsa_kernarg_size 96
		.amdhsa_user_sgpr_count 2
		.amdhsa_user_sgpr_dispatch_ptr 0
		.amdhsa_user_sgpr_queue_ptr 0
		.amdhsa_user_sgpr_kernarg_segment_ptr 1
		.amdhsa_user_sgpr_dispatch_id 0
		.amdhsa_user_sgpr_private_segment_size 0
		.amdhsa_wavefront_size32 1
		.amdhsa_uses_dynamic_stack 0
		.amdhsa_enable_private_segment 0
		.amdhsa_system_sgpr_workgroup_id_x 1
		.amdhsa_system_sgpr_workgroup_id_y 0
		.amdhsa_system_sgpr_workgroup_id_z 0
		.amdhsa_system_sgpr_workgroup_info 0
		.amdhsa_system_vgpr_workitem_id 0
		.amdhsa_next_free_vgpr 1
		.amdhsa_next_free_sgpr 1
		.amdhsa_reserve_vcc 0
		.amdhsa_float_round_mode_32 0
		.amdhsa_float_round_mode_16_64 0
		.amdhsa_float_denorm_mode_32 3
		.amdhsa_float_denorm_mode_16_64 3
		.amdhsa_fp16_overflow 0
		.amdhsa_workgroup_processor_mode 1
		.amdhsa_memory_ordered 1
		.amdhsa_forward_progress 1
		.amdhsa_inst_pref_size 0
		.amdhsa_round_robin_scheduling 0
		.amdhsa_exception_fp_ieee_invalid_op 0
		.amdhsa_exception_fp_denorm_src 0
		.amdhsa_exception_fp_ieee_div_zero 0
		.amdhsa_exception_fp_ieee_overflow 0
		.amdhsa_exception_fp_ieee_underflow 0
		.amdhsa_exception_fp_ieee_inexact 0
		.amdhsa_exception_int_div_zero 0
	.end_amdhsa_kernel
	.section	.text._ZN7rocprim17ROCPRIM_400000_NS6detail17trampoline_kernelINS0_14default_configENS1_36segmented_radix_sort_config_selectorIblEEZNS1_25segmented_radix_sort_implIS3_Lb0EPKbPbPKlPlN2at6native12_GLOBAL__N_18offset_tEEE10hipError_tPvRmT1_PNSt15iterator_traitsISK_E10value_typeET2_T3_PNSL_ISQ_E10value_typeET4_jRbjT5_SW_jjP12ihipStream_tbEUlT_E_NS1_11comp_targetILNS1_3genE5ELNS1_11target_archE942ELNS1_3gpuE9ELNS1_3repE0EEENS1_30default_config_static_selectorELNS0_4arch9wavefront6targetE0EEEvSK_,"axG",@progbits,_ZN7rocprim17ROCPRIM_400000_NS6detail17trampoline_kernelINS0_14default_configENS1_36segmented_radix_sort_config_selectorIblEEZNS1_25segmented_radix_sort_implIS3_Lb0EPKbPbPKlPlN2at6native12_GLOBAL__N_18offset_tEEE10hipError_tPvRmT1_PNSt15iterator_traitsISK_E10value_typeET2_T3_PNSL_ISQ_E10value_typeET4_jRbjT5_SW_jjP12ihipStream_tbEUlT_E_NS1_11comp_targetILNS1_3genE5ELNS1_11target_archE942ELNS1_3gpuE9ELNS1_3repE0EEENS1_30default_config_static_selectorELNS0_4arch9wavefront6targetE0EEEvSK_,comdat
.Lfunc_end1636:
	.size	_ZN7rocprim17ROCPRIM_400000_NS6detail17trampoline_kernelINS0_14default_configENS1_36segmented_radix_sort_config_selectorIblEEZNS1_25segmented_radix_sort_implIS3_Lb0EPKbPbPKlPlN2at6native12_GLOBAL__N_18offset_tEEE10hipError_tPvRmT1_PNSt15iterator_traitsISK_E10value_typeET2_T3_PNSL_ISQ_E10value_typeET4_jRbjT5_SW_jjP12ihipStream_tbEUlT_E_NS1_11comp_targetILNS1_3genE5ELNS1_11target_archE942ELNS1_3gpuE9ELNS1_3repE0EEENS1_30default_config_static_selectorELNS0_4arch9wavefront6targetE0EEEvSK_, .Lfunc_end1636-_ZN7rocprim17ROCPRIM_400000_NS6detail17trampoline_kernelINS0_14default_configENS1_36segmented_radix_sort_config_selectorIblEEZNS1_25segmented_radix_sort_implIS3_Lb0EPKbPbPKlPlN2at6native12_GLOBAL__N_18offset_tEEE10hipError_tPvRmT1_PNSt15iterator_traitsISK_E10value_typeET2_T3_PNSL_ISQ_E10value_typeET4_jRbjT5_SW_jjP12ihipStream_tbEUlT_E_NS1_11comp_targetILNS1_3genE5ELNS1_11target_archE942ELNS1_3gpuE9ELNS1_3repE0EEENS1_30default_config_static_selectorELNS0_4arch9wavefront6targetE0EEEvSK_
                                        ; -- End function
	.set _ZN7rocprim17ROCPRIM_400000_NS6detail17trampoline_kernelINS0_14default_configENS1_36segmented_radix_sort_config_selectorIblEEZNS1_25segmented_radix_sort_implIS3_Lb0EPKbPbPKlPlN2at6native12_GLOBAL__N_18offset_tEEE10hipError_tPvRmT1_PNSt15iterator_traitsISK_E10value_typeET2_T3_PNSL_ISQ_E10value_typeET4_jRbjT5_SW_jjP12ihipStream_tbEUlT_E_NS1_11comp_targetILNS1_3genE5ELNS1_11target_archE942ELNS1_3gpuE9ELNS1_3repE0EEENS1_30default_config_static_selectorELNS0_4arch9wavefront6targetE0EEEvSK_.num_vgpr, 0
	.set _ZN7rocprim17ROCPRIM_400000_NS6detail17trampoline_kernelINS0_14default_configENS1_36segmented_radix_sort_config_selectorIblEEZNS1_25segmented_radix_sort_implIS3_Lb0EPKbPbPKlPlN2at6native12_GLOBAL__N_18offset_tEEE10hipError_tPvRmT1_PNSt15iterator_traitsISK_E10value_typeET2_T3_PNSL_ISQ_E10value_typeET4_jRbjT5_SW_jjP12ihipStream_tbEUlT_E_NS1_11comp_targetILNS1_3genE5ELNS1_11target_archE942ELNS1_3gpuE9ELNS1_3repE0EEENS1_30default_config_static_selectorELNS0_4arch9wavefront6targetE0EEEvSK_.num_agpr, 0
	.set _ZN7rocprim17ROCPRIM_400000_NS6detail17trampoline_kernelINS0_14default_configENS1_36segmented_radix_sort_config_selectorIblEEZNS1_25segmented_radix_sort_implIS3_Lb0EPKbPbPKlPlN2at6native12_GLOBAL__N_18offset_tEEE10hipError_tPvRmT1_PNSt15iterator_traitsISK_E10value_typeET2_T3_PNSL_ISQ_E10value_typeET4_jRbjT5_SW_jjP12ihipStream_tbEUlT_E_NS1_11comp_targetILNS1_3genE5ELNS1_11target_archE942ELNS1_3gpuE9ELNS1_3repE0EEENS1_30default_config_static_selectorELNS0_4arch9wavefront6targetE0EEEvSK_.numbered_sgpr, 0
	.set _ZN7rocprim17ROCPRIM_400000_NS6detail17trampoline_kernelINS0_14default_configENS1_36segmented_radix_sort_config_selectorIblEEZNS1_25segmented_radix_sort_implIS3_Lb0EPKbPbPKlPlN2at6native12_GLOBAL__N_18offset_tEEE10hipError_tPvRmT1_PNSt15iterator_traitsISK_E10value_typeET2_T3_PNSL_ISQ_E10value_typeET4_jRbjT5_SW_jjP12ihipStream_tbEUlT_E_NS1_11comp_targetILNS1_3genE5ELNS1_11target_archE942ELNS1_3gpuE9ELNS1_3repE0EEENS1_30default_config_static_selectorELNS0_4arch9wavefront6targetE0EEEvSK_.num_named_barrier, 0
	.set _ZN7rocprim17ROCPRIM_400000_NS6detail17trampoline_kernelINS0_14default_configENS1_36segmented_radix_sort_config_selectorIblEEZNS1_25segmented_radix_sort_implIS3_Lb0EPKbPbPKlPlN2at6native12_GLOBAL__N_18offset_tEEE10hipError_tPvRmT1_PNSt15iterator_traitsISK_E10value_typeET2_T3_PNSL_ISQ_E10value_typeET4_jRbjT5_SW_jjP12ihipStream_tbEUlT_E_NS1_11comp_targetILNS1_3genE5ELNS1_11target_archE942ELNS1_3gpuE9ELNS1_3repE0EEENS1_30default_config_static_selectorELNS0_4arch9wavefront6targetE0EEEvSK_.private_seg_size, 0
	.set _ZN7rocprim17ROCPRIM_400000_NS6detail17trampoline_kernelINS0_14default_configENS1_36segmented_radix_sort_config_selectorIblEEZNS1_25segmented_radix_sort_implIS3_Lb0EPKbPbPKlPlN2at6native12_GLOBAL__N_18offset_tEEE10hipError_tPvRmT1_PNSt15iterator_traitsISK_E10value_typeET2_T3_PNSL_ISQ_E10value_typeET4_jRbjT5_SW_jjP12ihipStream_tbEUlT_E_NS1_11comp_targetILNS1_3genE5ELNS1_11target_archE942ELNS1_3gpuE9ELNS1_3repE0EEENS1_30default_config_static_selectorELNS0_4arch9wavefront6targetE0EEEvSK_.uses_vcc, 0
	.set _ZN7rocprim17ROCPRIM_400000_NS6detail17trampoline_kernelINS0_14default_configENS1_36segmented_radix_sort_config_selectorIblEEZNS1_25segmented_radix_sort_implIS3_Lb0EPKbPbPKlPlN2at6native12_GLOBAL__N_18offset_tEEE10hipError_tPvRmT1_PNSt15iterator_traitsISK_E10value_typeET2_T3_PNSL_ISQ_E10value_typeET4_jRbjT5_SW_jjP12ihipStream_tbEUlT_E_NS1_11comp_targetILNS1_3genE5ELNS1_11target_archE942ELNS1_3gpuE9ELNS1_3repE0EEENS1_30default_config_static_selectorELNS0_4arch9wavefront6targetE0EEEvSK_.uses_flat_scratch, 0
	.set _ZN7rocprim17ROCPRIM_400000_NS6detail17trampoline_kernelINS0_14default_configENS1_36segmented_radix_sort_config_selectorIblEEZNS1_25segmented_radix_sort_implIS3_Lb0EPKbPbPKlPlN2at6native12_GLOBAL__N_18offset_tEEE10hipError_tPvRmT1_PNSt15iterator_traitsISK_E10value_typeET2_T3_PNSL_ISQ_E10value_typeET4_jRbjT5_SW_jjP12ihipStream_tbEUlT_E_NS1_11comp_targetILNS1_3genE5ELNS1_11target_archE942ELNS1_3gpuE9ELNS1_3repE0EEENS1_30default_config_static_selectorELNS0_4arch9wavefront6targetE0EEEvSK_.has_dyn_sized_stack, 0
	.set _ZN7rocprim17ROCPRIM_400000_NS6detail17trampoline_kernelINS0_14default_configENS1_36segmented_radix_sort_config_selectorIblEEZNS1_25segmented_radix_sort_implIS3_Lb0EPKbPbPKlPlN2at6native12_GLOBAL__N_18offset_tEEE10hipError_tPvRmT1_PNSt15iterator_traitsISK_E10value_typeET2_T3_PNSL_ISQ_E10value_typeET4_jRbjT5_SW_jjP12ihipStream_tbEUlT_E_NS1_11comp_targetILNS1_3genE5ELNS1_11target_archE942ELNS1_3gpuE9ELNS1_3repE0EEENS1_30default_config_static_selectorELNS0_4arch9wavefront6targetE0EEEvSK_.has_recursion, 0
	.set _ZN7rocprim17ROCPRIM_400000_NS6detail17trampoline_kernelINS0_14default_configENS1_36segmented_radix_sort_config_selectorIblEEZNS1_25segmented_radix_sort_implIS3_Lb0EPKbPbPKlPlN2at6native12_GLOBAL__N_18offset_tEEE10hipError_tPvRmT1_PNSt15iterator_traitsISK_E10value_typeET2_T3_PNSL_ISQ_E10value_typeET4_jRbjT5_SW_jjP12ihipStream_tbEUlT_E_NS1_11comp_targetILNS1_3genE5ELNS1_11target_archE942ELNS1_3gpuE9ELNS1_3repE0EEENS1_30default_config_static_selectorELNS0_4arch9wavefront6targetE0EEEvSK_.has_indirect_call, 0
	.section	.AMDGPU.csdata,"",@progbits
; Kernel info:
; codeLenInByte = 0
; TotalNumSgprs: 0
; NumVgprs: 0
; ScratchSize: 0
; MemoryBound: 0
; FloatMode: 240
; IeeeMode: 1
; LDSByteSize: 0 bytes/workgroup (compile time only)
; SGPRBlocks: 0
; VGPRBlocks: 0
; NumSGPRsForWavesPerEU: 1
; NumVGPRsForWavesPerEU: 1
; Occupancy: 16
; WaveLimiterHint : 0
; COMPUTE_PGM_RSRC2:SCRATCH_EN: 0
; COMPUTE_PGM_RSRC2:USER_SGPR: 2
; COMPUTE_PGM_RSRC2:TRAP_HANDLER: 0
; COMPUTE_PGM_RSRC2:TGID_X_EN: 1
; COMPUTE_PGM_RSRC2:TGID_Y_EN: 0
; COMPUTE_PGM_RSRC2:TGID_Z_EN: 0
; COMPUTE_PGM_RSRC2:TIDIG_COMP_CNT: 0
	.section	.text._ZN7rocprim17ROCPRIM_400000_NS6detail17trampoline_kernelINS0_14default_configENS1_36segmented_radix_sort_config_selectorIblEEZNS1_25segmented_radix_sort_implIS3_Lb0EPKbPbPKlPlN2at6native12_GLOBAL__N_18offset_tEEE10hipError_tPvRmT1_PNSt15iterator_traitsISK_E10value_typeET2_T3_PNSL_ISQ_E10value_typeET4_jRbjT5_SW_jjP12ihipStream_tbEUlT_E_NS1_11comp_targetILNS1_3genE4ELNS1_11target_archE910ELNS1_3gpuE8ELNS1_3repE0EEENS1_30default_config_static_selectorELNS0_4arch9wavefront6targetE0EEEvSK_,"axG",@progbits,_ZN7rocprim17ROCPRIM_400000_NS6detail17trampoline_kernelINS0_14default_configENS1_36segmented_radix_sort_config_selectorIblEEZNS1_25segmented_radix_sort_implIS3_Lb0EPKbPbPKlPlN2at6native12_GLOBAL__N_18offset_tEEE10hipError_tPvRmT1_PNSt15iterator_traitsISK_E10value_typeET2_T3_PNSL_ISQ_E10value_typeET4_jRbjT5_SW_jjP12ihipStream_tbEUlT_E_NS1_11comp_targetILNS1_3genE4ELNS1_11target_archE910ELNS1_3gpuE8ELNS1_3repE0EEENS1_30default_config_static_selectorELNS0_4arch9wavefront6targetE0EEEvSK_,comdat
	.globl	_ZN7rocprim17ROCPRIM_400000_NS6detail17trampoline_kernelINS0_14default_configENS1_36segmented_radix_sort_config_selectorIblEEZNS1_25segmented_radix_sort_implIS3_Lb0EPKbPbPKlPlN2at6native12_GLOBAL__N_18offset_tEEE10hipError_tPvRmT1_PNSt15iterator_traitsISK_E10value_typeET2_T3_PNSL_ISQ_E10value_typeET4_jRbjT5_SW_jjP12ihipStream_tbEUlT_E_NS1_11comp_targetILNS1_3genE4ELNS1_11target_archE910ELNS1_3gpuE8ELNS1_3repE0EEENS1_30default_config_static_selectorELNS0_4arch9wavefront6targetE0EEEvSK_ ; -- Begin function _ZN7rocprim17ROCPRIM_400000_NS6detail17trampoline_kernelINS0_14default_configENS1_36segmented_radix_sort_config_selectorIblEEZNS1_25segmented_radix_sort_implIS3_Lb0EPKbPbPKlPlN2at6native12_GLOBAL__N_18offset_tEEE10hipError_tPvRmT1_PNSt15iterator_traitsISK_E10value_typeET2_T3_PNSL_ISQ_E10value_typeET4_jRbjT5_SW_jjP12ihipStream_tbEUlT_E_NS1_11comp_targetILNS1_3genE4ELNS1_11target_archE910ELNS1_3gpuE8ELNS1_3repE0EEENS1_30default_config_static_selectorELNS0_4arch9wavefront6targetE0EEEvSK_
	.p2align	8
	.type	_ZN7rocprim17ROCPRIM_400000_NS6detail17trampoline_kernelINS0_14default_configENS1_36segmented_radix_sort_config_selectorIblEEZNS1_25segmented_radix_sort_implIS3_Lb0EPKbPbPKlPlN2at6native12_GLOBAL__N_18offset_tEEE10hipError_tPvRmT1_PNSt15iterator_traitsISK_E10value_typeET2_T3_PNSL_ISQ_E10value_typeET4_jRbjT5_SW_jjP12ihipStream_tbEUlT_E_NS1_11comp_targetILNS1_3genE4ELNS1_11target_archE910ELNS1_3gpuE8ELNS1_3repE0EEENS1_30default_config_static_selectorELNS0_4arch9wavefront6targetE0EEEvSK_,@function
_ZN7rocprim17ROCPRIM_400000_NS6detail17trampoline_kernelINS0_14default_configENS1_36segmented_radix_sort_config_selectorIblEEZNS1_25segmented_radix_sort_implIS3_Lb0EPKbPbPKlPlN2at6native12_GLOBAL__N_18offset_tEEE10hipError_tPvRmT1_PNSt15iterator_traitsISK_E10value_typeET2_T3_PNSL_ISQ_E10value_typeET4_jRbjT5_SW_jjP12ihipStream_tbEUlT_E_NS1_11comp_targetILNS1_3genE4ELNS1_11target_archE910ELNS1_3gpuE8ELNS1_3repE0EEENS1_30default_config_static_selectorELNS0_4arch9wavefront6targetE0EEEvSK_: ; @_ZN7rocprim17ROCPRIM_400000_NS6detail17trampoline_kernelINS0_14default_configENS1_36segmented_radix_sort_config_selectorIblEEZNS1_25segmented_radix_sort_implIS3_Lb0EPKbPbPKlPlN2at6native12_GLOBAL__N_18offset_tEEE10hipError_tPvRmT1_PNSt15iterator_traitsISK_E10value_typeET2_T3_PNSL_ISQ_E10value_typeET4_jRbjT5_SW_jjP12ihipStream_tbEUlT_E_NS1_11comp_targetILNS1_3genE4ELNS1_11target_archE910ELNS1_3gpuE8ELNS1_3repE0EEENS1_30default_config_static_selectorELNS0_4arch9wavefront6targetE0EEEvSK_
; %bb.0:
	.section	.rodata,"a",@progbits
	.p2align	6, 0x0
	.amdhsa_kernel _ZN7rocprim17ROCPRIM_400000_NS6detail17trampoline_kernelINS0_14default_configENS1_36segmented_radix_sort_config_selectorIblEEZNS1_25segmented_radix_sort_implIS3_Lb0EPKbPbPKlPlN2at6native12_GLOBAL__N_18offset_tEEE10hipError_tPvRmT1_PNSt15iterator_traitsISK_E10value_typeET2_T3_PNSL_ISQ_E10value_typeET4_jRbjT5_SW_jjP12ihipStream_tbEUlT_E_NS1_11comp_targetILNS1_3genE4ELNS1_11target_archE910ELNS1_3gpuE8ELNS1_3repE0EEENS1_30default_config_static_selectorELNS0_4arch9wavefront6targetE0EEEvSK_
		.amdhsa_group_segment_fixed_size 0
		.amdhsa_private_segment_fixed_size 0
		.amdhsa_kernarg_size 96
		.amdhsa_user_sgpr_count 2
		.amdhsa_user_sgpr_dispatch_ptr 0
		.amdhsa_user_sgpr_queue_ptr 0
		.amdhsa_user_sgpr_kernarg_segment_ptr 1
		.amdhsa_user_sgpr_dispatch_id 0
		.amdhsa_user_sgpr_private_segment_size 0
		.amdhsa_wavefront_size32 1
		.amdhsa_uses_dynamic_stack 0
		.amdhsa_enable_private_segment 0
		.amdhsa_system_sgpr_workgroup_id_x 1
		.amdhsa_system_sgpr_workgroup_id_y 0
		.amdhsa_system_sgpr_workgroup_id_z 0
		.amdhsa_system_sgpr_workgroup_info 0
		.amdhsa_system_vgpr_workitem_id 0
		.amdhsa_next_free_vgpr 1
		.amdhsa_next_free_sgpr 1
		.amdhsa_reserve_vcc 0
		.amdhsa_float_round_mode_32 0
		.amdhsa_float_round_mode_16_64 0
		.amdhsa_float_denorm_mode_32 3
		.amdhsa_float_denorm_mode_16_64 3
		.amdhsa_fp16_overflow 0
		.amdhsa_workgroup_processor_mode 1
		.amdhsa_memory_ordered 1
		.amdhsa_forward_progress 1
		.amdhsa_inst_pref_size 0
		.amdhsa_round_robin_scheduling 0
		.amdhsa_exception_fp_ieee_invalid_op 0
		.amdhsa_exception_fp_denorm_src 0
		.amdhsa_exception_fp_ieee_div_zero 0
		.amdhsa_exception_fp_ieee_overflow 0
		.amdhsa_exception_fp_ieee_underflow 0
		.amdhsa_exception_fp_ieee_inexact 0
		.amdhsa_exception_int_div_zero 0
	.end_amdhsa_kernel
	.section	.text._ZN7rocprim17ROCPRIM_400000_NS6detail17trampoline_kernelINS0_14default_configENS1_36segmented_radix_sort_config_selectorIblEEZNS1_25segmented_radix_sort_implIS3_Lb0EPKbPbPKlPlN2at6native12_GLOBAL__N_18offset_tEEE10hipError_tPvRmT1_PNSt15iterator_traitsISK_E10value_typeET2_T3_PNSL_ISQ_E10value_typeET4_jRbjT5_SW_jjP12ihipStream_tbEUlT_E_NS1_11comp_targetILNS1_3genE4ELNS1_11target_archE910ELNS1_3gpuE8ELNS1_3repE0EEENS1_30default_config_static_selectorELNS0_4arch9wavefront6targetE0EEEvSK_,"axG",@progbits,_ZN7rocprim17ROCPRIM_400000_NS6detail17trampoline_kernelINS0_14default_configENS1_36segmented_radix_sort_config_selectorIblEEZNS1_25segmented_radix_sort_implIS3_Lb0EPKbPbPKlPlN2at6native12_GLOBAL__N_18offset_tEEE10hipError_tPvRmT1_PNSt15iterator_traitsISK_E10value_typeET2_T3_PNSL_ISQ_E10value_typeET4_jRbjT5_SW_jjP12ihipStream_tbEUlT_E_NS1_11comp_targetILNS1_3genE4ELNS1_11target_archE910ELNS1_3gpuE8ELNS1_3repE0EEENS1_30default_config_static_selectorELNS0_4arch9wavefront6targetE0EEEvSK_,comdat
.Lfunc_end1637:
	.size	_ZN7rocprim17ROCPRIM_400000_NS6detail17trampoline_kernelINS0_14default_configENS1_36segmented_radix_sort_config_selectorIblEEZNS1_25segmented_radix_sort_implIS3_Lb0EPKbPbPKlPlN2at6native12_GLOBAL__N_18offset_tEEE10hipError_tPvRmT1_PNSt15iterator_traitsISK_E10value_typeET2_T3_PNSL_ISQ_E10value_typeET4_jRbjT5_SW_jjP12ihipStream_tbEUlT_E_NS1_11comp_targetILNS1_3genE4ELNS1_11target_archE910ELNS1_3gpuE8ELNS1_3repE0EEENS1_30default_config_static_selectorELNS0_4arch9wavefront6targetE0EEEvSK_, .Lfunc_end1637-_ZN7rocprim17ROCPRIM_400000_NS6detail17trampoline_kernelINS0_14default_configENS1_36segmented_radix_sort_config_selectorIblEEZNS1_25segmented_radix_sort_implIS3_Lb0EPKbPbPKlPlN2at6native12_GLOBAL__N_18offset_tEEE10hipError_tPvRmT1_PNSt15iterator_traitsISK_E10value_typeET2_T3_PNSL_ISQ_E10value_typeET4_jRbjT5_SW_jjP12ihipStream_tbEUlT_E_NS1_11comp_targetILNS1_3genE4ELNS1_11target_archE910ELNS1_3gpuE8ELNS1_3repE0EEENS1_30default_config_static_selectorELNS0_4arch9wavefront6targetE0EEEvSK_
                                        ; -- End function
	.set _ZN7rocprim17ROCPRIM_400000_NS6detail17trampoline_kernelINS0_14default_configENS1_36segmented_radix_sort_config_selectorIblEEZNS1_25segmented_radix_sort_implIS3_Lb0EPKbPbPKlPlN2at6native12_GLOBAL__N_18offset_tEEE10hipError_tPvRmT1_PNSt15iterator_traitsISK_E10value_typeET2_T3_PNSL_ISQ_E10value_typeET4_jRbjT5_SW_jjP12ihipStream_tbEUlT_E_NS1_11comp_targetILNS1_3genE4ELNS1_11target_archE910ELNS1_3gpuE8ELNS1_3repE0EEENS1_30default_config_static_selectorELNS0_4arch9wavefront6targetE0EEEvSK_.num_vgpr, 0
	.set _ZN7rocprim17ROCPRIM_400000_NS6detail17trampoline_kernelINS0_14default_configENS1_36segmented_radix_sort_config_selectorIblEEZNS1_25segmented_radix_sort_implIS3_Lb0EPKbPbPKlPlN2at6native12_GLOBAL__N_18offset_tEEE10hipError_tPvRmT1_PNSt15iterator_traitsISK_E10value_typeET2_T3_PNSL_ISQ_E10value_typeET4_jRbjT5_SW_jjP12ihipStream_tbEUlT_E_NS1_11comp_targetILNS1_3genE4ELNS1_11target_archE910ELNS1_3gpuE8ELNS1_3repE0EEENS1_30default_config_static_selectorELNS0_4arch9wavefront6targetE0EEEvSK_.num_agpr, 0
	.set _ZN7rocprim17ROCPRIM_400000_NS6detail17trampoline_kernelINS0_14default_configENS1_36segmented_radix_sort_config_selectorIblEEZNS1_25segmented_radix_sort_implIS3_Lb0EPKbPbPKlPlN2at6native12_GLOBAL__N_18offset_tEEE10hipError_tPvRmT1_PNSt15iterator_traitsISK_E10value_typeET2_T3_PNSL_ISQ_E10value_typeET4_jRbjT5_SW_jjP12ihipStream_tbEUlT_E_NS1_11comp_targetILNS1_3genE4ELNS1_11target_archE910ELNS1_3gpuE8ELNS1_3repE0EEENS1_30default_config_static_selectorELNS0_4arch9wavefront6targetE0EEEvSK_.numbered_sgpr, 0
	.set _ZN7rocprim17ROCPRIM_400000_NS6detail17trampoline_kernelINS0_14default_configENS1_36segmented_radix_sort_config_selectorIblEEZNS1_25segmented_radix_sort_implIS3_Lb0EPKbPbPKlPlN2at6native12_GLOBAL__N_18offset_tEEE10hipError_tPvRmT1_PNSt15iterator_traitsISK_E10value_typeET2_T3_PNSL_ISQ_E10value_typeET4_jRbjT5_SW_jjP12ihipStream_tbEUlT_E_NS1_11comp_targetILNS1_3genE4ELNS1_11target_archE910ELNS1_3gpuE8ELNS1_3repE0EEENS1_30default_config_static_selectorELNS0_4arch9wavefront6targetE0EEEvSK_.num_named_barrier, 0
	.set _ZN7rocprim17ROCPRIM_400000_NS6detail17trampoline_kernelINS0_14default_configENS1_36segmented_radix_sort_config_selectorIblEEZNS1_25segmented_radix_sort_implIS3_Lb0EPKbPbPKlPlN2at6native12_GLOBAL__N_18offset_tEEE10hipError_tPvRmT1_PNSt15iterator_traitsISK_E10value_typeET2_T3_PNSL_ISQ_E10value_typeET4_jRbjT5_SW_jjP12ihipStream_tbEUlT_E_NS1_11comp_targetILNS1_3genE4ELNS1_11target_archE910ELNS1_3gpuE8ELNS1_3repE0EEENS1_30default_config_static_selectorELNS0_4arch9wavefront6targetE0EEEvSK_.private_seg_size, 0
	.set _ZN7rocprim17ROCPRIM_400000_NS6detail17trampoline_kernelINS0_14default_configENS1_36segmented_radix_sort_config_selectorIblEEZNS1_25segmented_radix_sort_implIS3_Lb0EPKbPbPKlPlN2at6native12_GLOBAL__N_18offset_tEEE10hipError_tPvRmT1_PNSt15iterator_traitsISK_E10value_typeET2_T3_PNSL_ISQ_E10value_typeET4_jRbjT5_SW_jjP12ihipStream_tbEUlT_E_NS1_11comp_targetILNS1_3genE4ELNS1_11target_archE910ELNS1_3gpuE8ELNS1_3repE0EEENS1_30default_config_static_selectorELNS0_4arch9wavefront6targetE0EEEvSK_.uses_vcc, 0
	.set _ZN7rocprim17ROCPRIM_400000_NS6detail17trampoline_kernelINS0_14default_configENS1_36segmented_radix_sort_config_selectorIblEEZNS1_25segmented_radix_sort_implIS3_Lb0EPKbPbPKlPlN2at6native12_GLOBAL__N_18offset_tEEE10hipError_tPvRmT1_PNSt15iterator_traitsISK_E10value_typeET2_T3_PNSL_ISQ_E10value_typeET4_jRbjT5_SW_jjP12ihipStream_tbEUlT_E_NS1_11comp_targetILNS1_3genE4ELNS1_11target_archE910ELNS1_3gpuE8ELNS1_3repE0EEENS1_30default_config_static_selectorELNS0_4arch9wavefront6targetE0EEEvSK_.uses_flat_scratch, 0
	.set _ZN7rocprim17ROCPRIM_400000_NS6detail17trampoline_kernelINS0_14default_configENS1_36segmented_radix_sort_config_selectorIblEEZNS1_25segmented_radix_sort_implIS3_Lb0EPKbPbPKlPlN2at6native12_GLOBAL__N_18offset_tEEE10hipError_tPvRmT1_PNSt15iterator_traitsISK_E10value_typeET2_T3_PNSL_ISQ_E10value_typeET4_jRbjT5_SW_jjP12ihipStream_tbEUlT_E_NS1_11comp_targetILNS1_3genE4ELNS1_11target_archE910ELNS1_3gpuE8ELNS1_3repE0EEENS1_30default_config_static_selectorELNS0_4arch9wavefront6targetE0EEEvSK_.has_dyn_sized_stack, 0
	.set _ZN7rocprim17ROCPRIM_400000_NS6detail17trampoline_kernelINS0_14default_configENS1_36segmented_radix_sort_config_selectorIblEEZNS1_25segmented_radix_sort_implIS3_Lb0EPKbPbPKlPlN2at6native12_GLOBAL__N_18offset_tEEE10hipError_tPvRmT1_PNSt15iterator_traitsISK_E10value_typeET2_T3_PNSL_ISQ_E10value_typeET4_jRbjT5_SW_jjP12ihipStream_tbEUlT_E_NS1_11comp_targetILNS1_3genE4ELNS1_11target_archE910ELNS1_3gpuE8ELNS1_3repE0EEENS1_30default_config_static_selectorELNS0_4arch9wavefront6targetE0EEEvSK_.has_recursion, 0
	.set _ZN7rocprim17ROCPRIM_400000_NS6detail17trampoline_kernelINS0_14default_configENS1_36segmented_radix_sort_config_selectorIblEEZNS1_25segmented_radix_sort_implIS3_Lb0EPKbPbPKlPlN2at6native12_GLOBAL__N_18offset_tEEE10hipError_tPvRmT1_PNSt15iterator_traitsISK_E10value_typeET2_T3_PNSL_ISQ_E10value_typeET4_jRbjT5_SW_jjP12ihipStream_tbEUlT_E_NS1_11comp_targetILNS1_3genE4ELNS1_11target_archE910ELNS1_3gpuE8ELNS1_3repE0EEENS1_30default_config_static_selectorELNS0_4arch9wavefront6targetE0EEEvSK_.has_indirect_call, 0
	.section	.AMDGPU.csdata,"",@progbits
; Kernel info:
; codeLenInByte = 0
; TotalNumSgprs: 0
; NumVgprs: 0
; ScratchSize: 0
; MemoryBound: 0
; FloatMode: 240
; IeeeMode: 1
; LDSByteSize: 0 bytes/workgroup (compile time only)
; SGPRBlocks: 0
; VGPRBlocks: 0
; NumSGPRsForWavesPerEU: 1
; NumVGPRsForWavesPerEU: 1
; Occupancy: 16
; WaveLimiterHint : 0
; COMPUTE_PGM_RSRC2:SCRATCH_EN: 0
; COMPUTE_PGM_RSRC2:USER_SGPR: 2
; COMPUTE_PGM_RSRC2:TRAP_HANDLER: 0
; COMPUTE_PGM_RSRC2:TGID_X_EN: 1
; COMPUTE_PGM_RSRC2:TGID_Y_EN: 0
; COMPUTE_PGM_RSRC2:TGID_Z_EN: 0
; COMPUTE_PGM_RSRC2:TIDIG_COMP_CNT: 0
	.section	.text._ZN7rocprim17ROCPRIM_400000_NS6detail17trampoline_kernelINS0_14default_configENS1_36segmented_radix_sort_config_selectorIblEEZNS1_25segmented_radix_sort_implIS3_Lb0EPKbPbPKlPlN2at6native12_GLOBAL__N_18offset_tEEE10hipError_tPvRmT1_PNSt15iterator_traitsISK_E10value_typeET2_T3_PNSL_ISQ_E10value_typeET4_jRbjT5_SW_jjP12ihipStream_tbEUlT_E_NS1_11comp_targetILNS1_3genE3ELNS1_11target_archE908ELNS1_3gpuE7ELNS1_3repE0EEENS1_30default_config_static_selectorELNS0_4arch9wavefront6targetE0EEEvSK_,"axG",@progbits,_ZN7rocprim17ROCPRIM_400000_NS6detail17trampoline_kernelINS0_14default_configENS1_36segmented_radix_sort_config_selectorIblEEZNS1_25segmented_radix_sort_implIS3_Lb0EPKbPbPKlPlN2at6native12_GLOBAL__N_18offset_tEEE10hipError_tPvRmT1_PNSt15iterator_traitsISK_E10value_typeET2_T3_PNSL_ISQ_E10value_typeET4_jRbjT5_SW_jjP12ihipStream_tbEUlT_E_NS1_11comp_targetILNS1_3genE3ELNS1_11target_archE908ELNS1_3gpuE7ELNS1_3repE0EEENS1_30default_config_static_selectorELNS0_4arch9wavefront6targetE0EEEvSK_,comdat
	.globl	_ZN7rocprim17ROCPRIM_400000_NS6detail17trampoline_kernelINS0_14default_configENS1_36segmented_radix_sort_config_selectorIblEEZNS1_25segmented_radix_sort_implIS3_Lb0EPKbPbPKlPlN2at6native12_GLOBAL__N_18offset_tEEE10hipError_tPvRmT1_PNSt15iterator_traitsISK_E10value_typeET2_T3_PNSL_ISQ_E10value_typeET4_jRbjT5_SW_jjP12ihipStream_tbEUlT_E_NS1_11comp_targetILNS1_3genE3ELNS1_11target_archE908ELNS1_3gpuE7ELNS1_3repE0EEENS1_30default_config_static_selectorELNS0_4arch9wavefront6targetE0EEEvSK_ ; -- Begin function _ZN7rocprim17ROCPRIM_400000_NS6detail17trampoline_kernelINS0_14default_configENS1_36segmented_radix_sort_config_selectorIblEEZNS1_25segmented_radix_sort_implIS3_Lb0EPKbPbPKlPlN2at6native12_GLOBAL__N_18offset_tEEE10hipError_tPvRmT1_PNSt15iterator_traitsISK_E10value_typeET2_T3_PNSL_ISQ_E10value_typeET4_jRbjT5_SW_jjP12ihipStream_tbEUlT_E_NS1_11comp_targetILNS1_3genE3ELNS1_11target_archE908ELNS1_3gpuE7ELNS1_3repE0EEENS1_30default_config_static_selectorELNS0_4arch9wavefront6targetE0EEEvSK_
	.p2align	8
	.type	_ZN7rocprim17ROCPRIM_400000_NS6detail17trampoline_kernelINS0_14default_configENS1_36segmented_radix_sort_config_selectorIblEEZNS1_25segmented_radix_sort_implIS3_Lb0EPKbPbPKlPlN2at6native12_GLOBAL__N_18offset_tEEE10hipError_tPvRmT1_PNSt15iterator_traitsISK_E10value_typeET2_T3_PNSL_ISQ_E10value_typeET4_jRbjT5_SW_jjP12ihipStream_tbEUlT_E_NS1_11comp_targetILNS1_3genE3ELNS1_11target_archE908ELNS1_3gpuE7ELNS1_3repE0EEENS1_30default_config_static_selectorELNS0_4arch9wavefront6targetE0EEEvSK_,@function
_ZN7rocprim17ROCPRIM_400000_NS6detail17trampoline_kernelINS0_14default_configENS1_36segmented_radix_sort_config_selectorIblEEZNS1_25segmented_radix_sort_implIS3_Lb0EPKbPbPKlPlN2at6native12_GLOBAL__N_18offset_tEEE10hipError_tPvRmT1_PNSt15iterator_traitsISK_E10value_typeET2_T3_PNSL_ISQ_E10value_typeET4_jRbjT5_SW_jjP12ihipStream_tbEUlT_E_NS1_11comp_targetILNS1_3genE3ELNS1_11target_archE908ELNS1_3gpuE7ELNS1_3repE0EEENS1_30default_config_static_selectorELNS0_4arch9wavefront6targetE0EEEvSK_: ; @_ZN7rocprim17ROCPRIM_400000_NS6detail17trampoline_kernelINS0_14default_configENS1_36segmented_radix_sort_config_selectorIblEEZNS1_25segmented_radix_sort_implIS3_Lb0EPKbPbPKlPlN2at6native12_GLOBAL__N_18offset_tEEE10hipError_tPvRmT1_PNSt15iterator_traitsISK_E10value_typeET2_T3_PNSL_ISQ_E10value_typeET4_jRbjT5_SW_jjP12ihipStream_tbEUlT_E_NS1_11comp_targetILNS1_3genE3ELNS1_11target_archE908ELNS1_3gpuE7ELNS1_3repE0EEENS1_30default_config_static_selectorELNS0_4arch9wavefront6targetE0EEEvSK_
; %bb.0:
	.section	.rodata,"a",@progbits
	.p2align	6, 0x0
	.amdhsa_kernel _ZN7rocprim17ROCPRIM_400000_NS6detail17trampoline_kernelINS0_14default_configENS1_36segmented_radix_sort_config_selectorIblEEZNS1_25segmented_radix_sort_implIS3_Lb0EPKbPbPKlPlN2at6native12_GLOBAL__N_18offset_tEEE10hipError_tPvRmT1_PNSt15iterator_traitsISK_E10value_typeET2_T3_PNSL_ISQ_E10value_typeET4_jRbjT5_SW_jjP12ihipStream_tbEUlT_E_NS1_11comp_targetILNS1_3genE3ELNS1_11target_archE908ELNS1_3gpuE7ELNS1_3repE0EEENS1_30default_config_static_selectorELNS0_4arch9wavefront6targetE0EEEvSK_
		.amdhsa_group_segment_fixed_size 0
		.amdhsa_private_segment_fixed_size 0
		.amdhsa_kernarg_size 96
		.amdhsa_user_sgpr_count 2
		.amdhsa_user_sgpr_dispatch_ptr 0
		.amdhsa_user_sgpr_queue_ptr 0
		.amdhsa_user_sgpr_kernarg_segment_ptr 1
		.amdhsa_user_sgpr_dispatch_id 0
		.amdhsa_user_sgpr_private_segment_size 0
		.amdhsa_wavefront_size32 1
		.amdhsa_uses_dynamic_stack 0
		.amdhsa_enable_private_segment 0
		.amdhsa_system_sgpr_workgroup_id_x 1
		.amdhsa_system_sgpr_workgroup_id_y 0
		.amdhsa_system_sgpr_workgroup_id_z 0
		.amdhsa_system_sgpr_workgroup_info 0
		.amdhsa_system_vgpr_workitem_id 0
		.amdhsa_next_free_vgpr 1
		.amdhsa_next_free_sgpr 1
		.amdhsa_reserve_vcc 0
		.amdhsa_float_round_mode_32 0
		.amdhsa_float_round_mode_16_64 0
		.amdhsa_float_denorm_mode_32 3
		.amdhsa_float_denorm_mode_16_64 3
		.amdhsa_fp16_overflow 0
		.amdhsa_workgroup_processor_mode 1
		.amdhsa_memory_ordered 1
		.amdhsa_forward_progress 1
		.amdhsa_inst_pref_size 0
		.amdhsa_round_robin_scheduling 0
		.amdhsa_exception_fp_ieee_invalid_op 0
		.amdhsa_exception_fp_denorm_src 0
		.amdhsa_exception_fp_ieee_div_zero 0
		.amdhsa_exception_fp_ieee_overflow 0
		.amdhsa_exception_fp_ieee_underflow 0
		.amdhsa_exception_fp_ieee_inexact 0
		.amdhsa_exception_int_div_zero 0
	.end_amdhsa_kernel
	.section	.text._ZN7rocprim17ROCPRIM_400000_NS6detail17trampoline_kernelINS0_14default_configENS1_36segmented_radix_sort_config_selectorIblEEZNS1_25segmented_radix_sort_implIS3_Lb0EPKbPbPKlPlN2at6native12_GLOBAL__N_18offset_tEEE10hipError_tPvRmT1_PNSt15iterator_traitsISK_E10value_typeET2_T3_PNSL_ISQ_E10value_typeET4_jRbjT5_SW_jjP12ihipStream_tbEUlT_E_NS1_11comp_targetILNS1_3genE3ELNS1_11target_archE908ELNS1_3gpuE7ELNS1_3repE0EEENS1_30default_config_static_selectorELNS0_4arch9wavefront6targetE0EEEvSK_,"axG",@progbits,_ZN7rocprim17ROCPRIM_400000_NS6detail17trampoline_kernelINS0_14default_configENS1_36segmented_radix_sort_config_selectorIblEEZNS1_25segmented_radix_sort_implIS3_Lb0EPKbPbPKlPlN2at6native12_GLOBAL__N_18offset_tEEE10hipError_tPvRmT1_PNSt15iterator_traitsISK_E10value_typeET2_T3_PNSL_ISQ_E10value_typeET4_jRbjT5_SW_jjP12ihipStream_tbEUlT_E_NS1_11comp_targetILNS1_3genE3ELNS1_11target_archE908ELNS1_3gpuE7ELNS1_3repE0EEENS1_30default_config_static_selectorELNS0_4arch9wavefront6targetE0EEEvSK_,comdat
.Lfunc_end1638:
	.size	_ZN7rocprim17ROCPRIM_400000_NS6detail17trampoline_kernelINS0_14default_configENS1_36segmented_radix_sort_config_selectorIblEEZNS1_25segmented_radix_sort_implIS3_Lb0EPKbPbPKlPlN2at6native12_GLOBAL__N_18offset_tEEE10hipError_tPvRmT1_PNSt15iterator_traitsISK_E10value_typeET2_T3_PNSL_ISQ_E10value_typeET4_jRbjT5_SW_jjP12ihipStream_tbEUlT_E_NS1_11comp_targetILNS1_3genE3ELNS1_11target_archE908ELNS1_3gpuE7ELNS1_3repE0EEENS1_30default_config_static_selectorELNS0_4arch9wavefront6targetE0EEEvSK_, .Lfunc_end1638-_ZN7rocprim17ROCPRIM_400000_NS6detail17trampoline_kernelINS0_14default_configENS1_36segmented_radix_sort_config_selectorIblEEZNS1_25segmented_radix_sort_implIS3_Lb0EPKbPbPKlPlN2at6native12_GLOBAL__N_18offset_tEEE10hipError_tPvRmT1_PNSt15iterator_traitsISK_E10value_typeET2_T3_PNSL_ISQ_E10value_typeET4_jRbjT5_SW_jjP12ihipStream_tbEUlT_E_NS1_11comp_targetILNS1_3genE3ELNS1_11target_archE908ELNS1_3gpuE7ELNS1_3repE0EEENS1_30default_config_static_selectorELNS0_4arch9wavefront6targetE0EEEvSK_
                                        ; -- End function
	.set _ZN7rocprim17ROCPRIM_400000_NS6detail17trampoline_kernelINS0_14default_configENS1_36segmented_radix_sort_config_selectorIblEEZNS1_25segmented_radix_sort_implIS3_Lb0EPKbPbPKlPlN2at6native12_GLOBAL__N_18offset_tEEE10hipError_tPvRmT1_PNSt15iterator_traitsISK_E10value_typeET2_T3_PNSL_ISQ_E10value_typeET4_jRbjT5_SW_jjP12ihipStream_tbEUlT_E_NS1_11comp_targetILNS1_3genE3ELNS1_11target_archE908ELNS1_3gpuE7ELNS1_3repE0EEENS1_30default_config_static_selectorELNS0_4arch9wavefront6targetE0EEEvSK_.num_vgpr, 0
	.set _ZN7rocprim17ROCPRIM_400000_NS6detail17trampoline_kernelINS0_14default_configENS1_36segmented_radix_sort_config_selectorIblEEZNS1_25segmented_radix_sort_implIS3_Lb0EPKbPbPKlPlN2at6native12_GLOBAL__N_18offset_tEEE10hipError_tPvRmT1_PNSt15iterator_traitsISK_E10value_typeET2_T3_PNSL_ISQ_E10value_typeET4_jRbjT5_SW_jjP12ihipStream_tbEUlT_E_NS1_11comp_targetILNS1_3genE3ELNS1_11target_archE908ELNS1_3gpuE7ELNS1_3repE0EEENS1_30default_config_static_selectorELNS0_4arch9wavefront6targetE0EEEvSK_.num_agpr, 0
	.set _ZN7rocprim17ROCPRIM_400000_NS6detail17trampoline_kernelINS0_14default_configENS1_36segmented_radix_sort_config_selectorIblEEZNS1_25segmented_radix_sort_implIS3_Lb0EPKbPbPKlPlN2at6native12_GLOBAL__N_18offset_tEEE10hipError_tPvRmT1_PNSt15iterator_traitsISK_E10value_typeET2_T3_PNSL_ISQ_E10value_typeET4_jRbjT5_SW_jjP12ihipStream_tbEUlT_E_NS1_11comp_targetILNS1_3genE3ELNS1_11target_archE908ELNS1_3gpuE7ELNS1_3repE0EEENS1_30default_config_static_selectorELNS0_4arch9wavefront6targetE0EEEvSK_.numbered_sgpr, 0
	.set _ZN7rocprim17ROCPRIM_400000_NS6detail17trampoline_kernelINS0_14default_configENS1_36segmented_radix_sort_config_selectorIblEEZNS1_25segmented_radix_sort_implIS3_Lb0EPKbPbPKlPlN2at6native12_GLOBAL__N_18offset_tEEE10hipError_tPvRmT1_PNSt15iterator_traitsISK_E10value_typeET2_T3_PNSL_ISQ_E10value_typeET4_jRbjT5_SW_jjP12ihipStream_tbEUlT_E_NS1_11comp_targetILNS1_3genE3ELNS1_11target_archE908ELNS1_3gpuE7ELNS1_3repE0EEENS1_30default_config_static_selectorELNS0_4arch9wavefront6targetE0EEEvSK_.num_named_barrier, 0
	.set _ZN7rocprim17ROCPRIM_400000_NS6detail17trampoline_kernelINS0_14default_configENS1_36segmented_radix_sort_config_selectorIblEEZNS1_25segmented_radix_sort_implIS3_Lb0EPKbPbPKlPlN2at6native12_GLOBAL__N_18offset_tEEE10hipError_tPvRmT1_PNSt15iterator_traitsISK_E10value_typeET2_T3_PNSL_ISQ_E10value_typeET4_jRbjT5_SW_jjP12ihipStream_tbEUlT_E_NS1_11comp_targetILNS1_3genE3ELNS1_11target_archE908ELNS1_3gpuE7ELNS1_3repE0EEENS1_30default_config_static_selectorELNS0_4arch9wavefront6targetE0EEEvSK_.private_seg_size, 0
	.set _ZN7rocprim17ROCPRIM_400000_NS6detail17trampoline_kernelINS0_14default_configENS1_36segmented_radix_sort_config_selectorIblEEZNS1_25segmented_radix_sort_implIS3_Lb0EPKbPbPKlPlN2at6native12_GLOBAL__N_18offset_tEEE10hipError_tPvRmT1_PNSt15iterator_traitsISK_E10value_typeET2_T3_PNSL_ISQ_E10value_typeET4_jRbjT5_SW_jjP12ihipStream_tbEUlT_E_NS1_11comp_targetILNS1_3genE3ELNS1_11target_archE908ELNS1_3gpuE7ELNS1_3repE0EEENS1_30default_config_static_selectorELNS0_4arch9wavefront6targetE0EEEvSK_.uses_vcc, 0
	.set _ZN7rocprim17ROCPRIM_400000_NS6detail17trampoline_kernelINS0_14default_configENS1_36segmented_radix_sort_config_selectorIblEEZNS1_25segmented_radix_sort_implIS3_Lb0EPKbPbPKlPlN2at6native12_GLOBAL__N_18offset_tEEE10hipError_tPvRmT1_PNSt15iterator_traitsISK_E10value_typeET2_T3_PNSL_ISQ_E10value_typeET4_jRbjT5_SW_jjP12ihipStream_tbEUlT_E_NS1_11comp_targetILNS1_3genE3ELNS1_11target_archE908ELNS1_3gpuE7ELNS1_3repE0EEENS1_30default_config_static_selectorELNS0_4arch9wavefront6targetE0EEEvSK_.uses_flat_scratch, 0
	.set _ZN7rocprim17ROCPRIM_400000_NS6detail17trampoline_kernelINS0_14default_configENS1_36segmented_radix_sort_config_selectorIblEEZNS1_25segmented_radix_sort_implIS3_Lb0EPKbPbPKlPlN2at6native12_GLOBAL__N_18offset_tEEE10hipError_tPvRmT1_PNSt15iterator_traitsISK_E10value_typeET2_T3_PNSL_ISQ_E10value_typeET4_jRbjT5_SW_jjP12ihipStream_tbEUlT_E_NS1_11comp_targetILNS1_3genE3ELNS1_11target_archE908ELNS1_3gpuE7ELNS1_3repE0EEENS1_30default_config_static_selectorELNS0_4arch9wavefront6targetE0EEEvSK_.has_dyn_sized_stack, 0
	.set _ZN7rocprim17ROCPRIM_400000_NS6detail17trampoline_kernelINS0_14default_configENS1_36segmented_radix_sort_config_selectorIblEEZNS1_25segmented_radix_sort_implIS3_Lb0EPKbPbPKlPlN2at6native12_GLOBAL__N_18offset_tEEE10hipError_tPvRmT1_PNSt15iterator_traitsISK_E10value_typeET2_T3_PNSL_ISQ_E10value_typeET4_jRbjT5_SW_jjP12ihipStream_tbEUlT_E_NS1_11comp_targetILNS1_3genE3ELNS1_11target_archE908ELNS1_3gpuE7ELNS1_3repE0EEENS1_30default_config_static_selectorELNS0_4arch9wavefront6targetE0EEEvSK_.has_recursion, 0
	.set _ZN7rocprim17ROCPRIM_400000_NS6detail17trampoline_kernelINS0_14default_configENS1_36segmented_radix_sort_config_selectorIblEEZNS1_25segmented_radix_sort_implIS3_Lb0EPKbPbPKlPlN2at6native12_GLOBAL__N_18offset_tEEE10hipError_tPvRmT1_PNSt15iterator_traitsISK_E10value_typeET2_T3_PNSL_ISQ_E10value_typeET4_jRbjT5_SW_jjP12ihipStream_tbEUlT_E_NS1_11comp_targetILNS1_3genE3ELNS1_11target_archE908ELNS1_3gpuE7ELNS1_3repE0EEENS1_30default_config_static_selectorELNS0_4arch9wavefront6targetE0EEEvSK_.has_indirect_call, 0
	.section	.AMDGPU.csdata,"",@progbits
; Kernel info:
; codeLenInByte = 0
; TotalNumSgprs: 0
; NumVgprs: 0
; ScratchSize: 0
; MemoryBound: 0
; FloatMode: 240
; IeeeMode: 1
; LDSByteSize: 0 bytes/workgroup (compile time only)
; SGPRBlocks: 0
; VGPRBlocks: 0
; NumSGPRsForWavesPerEU: 1
; NumVGPRsForWavesPerEU: 1
; Occupancy: 16
; WaveLimiterHint : 0
; COMPUTE_PGM_RSRC2:SCRATCH_EN: 0
; COMPUTE_PGM_RSRC2:USER_SGPR: 2
; COMPUTE_PGM_RSRC2:TRAP_HANDLER: 0
; COMPUTE_PGM_RSRC2:TGID_X_EN: 1
; COMPUTE_PGM_RSRC2:TGID_Y_EN: 0
; COMPUTE_PGM_RSRC2:TGID_Z_EN: 0
; COMPUTE_PGM_RSRC2:TIDIG_COMP_CNT: 0
	.section	.text._ZN7rocprim17ROCPRIM_400000_NS6detail17trampoline_kernelINS0_14default_configENS1_36segmented_radix_sort_config_selectorIblEEZNS1_25segmented_radix_sort_implIS3_Lb0EPKbPbPKlPlN2at6native12_GLOBAL__N_18offset_tEEE10hipError_tPvRmT1_PNSt15iterator_traitsISK_E10value_typeET2_T3_PNSL_ISQ_E10value_typeET4_jRbjT5_SW_jjP12ihipStream_tbEUlT_E_NS1_11comp_targetILNS1_3genE2ELNS1_11target_archE906ELNS1_3gpuE6ELNS1_3repE0EEENS1_30default_config_static_selectorELNS0_4arch9wavefront6targetE0EEEvSK_,"axG",@progbits,_ZN7rocprim17ROCPRIM_400000_NS6detail17trampoline_kernelINS0_14default_configENS1_36segmented_radix_sort_config_selectorIblEEZNS1_25segmented_radix_sort_implIS3_Lb0EPKbPbPKlPlN2at6native12_GLOBAL__N_18offset_tEEE10hipError_tPvRmT1_PNSt15iterator_traitsISK_E10value_typeET2_T3_PNSL_ISQ_E10value_typeET4_jRbjT5_SW_jjP12ihipStream_tbEUlT_E_NS1_11comp_targetILNS1_3genE2ELNS1_11target_archE906ELNS1_3gpuE6ELNS1_3repE0EEENS1_30default_config_static_selectorELNS0_4arch9wavefront6targetE0EEEvSK_,comdat
	.globl	_ZN7rocprim17ROCPRIM_400000_NS6detail17trampoline_kernelINS0_14default_configENS1_36segmented_radix_sort_config_selectorIblEEZNS1_25segmented_radix_sort_implIS3_Lb0EPKbPbPKlPlN2at6native12_GLOBAL__N_18offset_tEEE10hipError_tPvRmT1_PNSt15iterator_traitsISK_E10value_typeET2_T3_PNSL_ISQ_E10value_typeET4_jRbjT5_SW_jjP12ihipStream_tbEUlT_E_NS1_11comp_targetILNS1_3genE2ELNS1_11target_archE906ELNS1_3gpuE6ELNS1_3repE0EEENS1_30default_config_static_selectorELNS0_4arch9wavefront6targetE0EEEvSK_ ; -- Begin function _ZN7rocprim17ROCPRIM_400000_NS6detail17trampoline_kernelINS0_14default_configENS1_36segmented_radix_sort_config_selectorIblEEZNS1_25segmented_radix_sort_implIS3_Lb0EPKbPbPKlPlN2at6native12_GLOBAL__N_18offset_tEEE10hipError_tPvRmT1_PNSt15iterator_traitsISK_E10value_typeET2_T3_PNSL_ISQ_E10value_typeET4_jRbjT5_SW_jjP12ihipStream_tbEUlT_E_NS1_11comp_targetILNS1_3genE2ELNS1_11target_archE906ELNS1_3gpuE6ELNS1_3repE0EEENS1_30default_config_static_selectorELNS0_4arch9wavefront6targetE0EEEvSK_
	.p2align	8
	.type	_ZN7rocprim17ROCPRIM_400000_NS6detail17trampoline_kernelINS0_14default_configENS1_36segmented_radix_sort_config_selectorIblEEZNS1_25segmented_radix_sort_implIS3_Lb0EPKbPbPKlPlN2at6native12_GLOBAL__N_18offset_tEEE10hipError_tPvRmT1_PNSt15iterator_traitsISK_E10value_typeET2_T3_PNSL_ISQ_E10value_typeET4_jRbjT5_SW_jjP12ihipStream_tbEUlT_E_NS1_11comp_targetILNS1_3genE2ELNS1_11target_archE906ELNS1_3gpuE6ELNS1_3repE0EEENS1_30default_config_static_selectorELNS0_4arch9wavefront6targetE0EEEvSK_,@function
_ZN7rocprim17ROCPRIM_400000_NS6detail17trampoline_kernelINS0_14default_configENS1_36segmented_radix_sort_config_selectorIblEEZNS1_25segmented_radix_sort_implIS3_Lb0EPKbPbPKlPlN2at6native12_GLOBAL__N_18offset_tEEE10hipError_tPvRmT1_PNSt15iterator_traitsISK_E10value_typeET2_T3_PNSL_ISQ_E10value_typeET4_jRbjT5_SW_jjP12ihipStream_tbEUlT_E_NS1_11comp_targetILNS1_3genE2ELNS1_11target_archE906ELNS1_3gpuE6ELNS1_3repE0EEENS1_30default_config_static_selectorELNS0_4arch9wavefront6targetE0EEEvSK_: ; @_ZN7rocprim17ROCPRIM_400000_NS6detail17trampoline_kernelINS0_14default_configENS1_36segmented_radix_sort_config_selectorIblEEZNS1_25segmented_radix_sort_implIS3_Lb0EPKbPbPKlPlN2at6native12_GLOBAL__N_18offset_tEEE10hipError_tPvRmT1_PNSt15iterator_traitsISK_E10value_typeET2_T3_PNSL_ISQ_E10value_typeET4_jRbjT5_SW_jjP12ihipStream_tbEUlT_E_NS1_11comp_targetILNS1_3genE2ELNS1_11target_archE906ELNS1_3gpuE6ELNS1_3repE0EEENS1_30default_config_static_selectorELNS0_4arch9wavefront6targetE0EEEvSK_
; %bb.0:
	.section	.rodata,"a",@progbits
	.p2align	6, 0x0
	.amdhsa_kernel _ZN7rocprim17ROCPRIM_400000_NS6detail17trampoline_kernelINS0_14default_configENS1_36segmented_radix_sort_config_selectorIblEEZNS1_25segmented_radix_sort_implIS3_Lb0EPKbPbPKlPlN2at6native12_GLOBAL__N_18offset_tEEE10hipError_tPvRmT1_PNSt15iterator_traitsISK_E10value_typeET2_T3_PNSL_ISQ_E10value_typeET4_jRbjT5_SW_jjP12ihipStream_tbEUlT_E_NS1_11comp_targetILNS1_3genE2ELNS1_11target_archE906ELNS1_3gpuE6ELNS1_3repE0EEENS1_30default_config_static_selectorELNS0_4arch9wavefront6targetE0EEEvSK_
		.amdhsa_group_segment_fixed_size 0
		.amdhsa_private_segment_fixed_size 0
		.amdhsa_kernarg_size 96
		.amdhsa_user_sgpr_count 2
		.amdhsa_user_sgpr_dispatch_ptr 0
		.amdhsa_user_sgpr_queue_ptr 0
		.amdhsa_user_sgpr_kernarg_segment_ptr 1
		.amdhsa_user_sgpr_dispatch_id 0
		.amdhsa_user_sgpr_private_segment_size 0
		.amdhsa_wavefront_size32 1
		.amdhsa_uses_dynamic_stack 0
		.amdhsa_enable_private_segment 0
		.amdhsa_system_sgpr_workgroup_id_x 1
		.amdhsa_system_sgpr_workgroup_id_y 0
		.amdhsa_system_sgpr_workgroup_id_z 0
		.amdhsa_system_sgpr_workgroup_info 0
		.amdhsa_system_vgpr_workitem_id 0
		.amdhsa_next_free_vgpr 1
		.amdhsa_next_free_sgpr 1
		.amdhsa_reserve_vcc 0
		.amdhsa_float_round_mode_32 0
		.amdhsa_float_round_mode_16_64 0
		.amdhsa_float_denorm_mode_32 3
		.amdhsa_float_denorm_mode_16_64 3
		.amdhsa_fp16_overflow 0
		.amdhsa_workgroup_processor_mode 1
		.amdhsa_memory_ordered 1
		.amdhsa_forward_progress 1
		.amdhsa_inst_pref_size 0
		.amdhsa_round_robin_scheduling 0
		.amdhsa_exception_fp_ieee_invalid_op 0
		.amdhsa_exception_fp_denorm_src 0
		.amdhsa_exception_fp_ieee_div_zero 0
		.amdhsa_exception_fp_ieee_overflow 0
		.amdhsa_exception_fp_ieee_underflow 0
		.amdhsa_exception_fp_ieee_inexact 0
		.amdhsa_exception_int_div_zero 0
	.end_amdhsa_kernel
	.section	.text._ZN7rocprim17ROCPRIM_400000_NS6detail17trampoline_kernelINS0_14default_configENS1_36segmented_radix_sort_config_selectorIblEEZNS1_25segmented_radix_sort_implIS3_Lb0EPKbPbPKlPlN2at6native12_GLOBAL__N_18offset_tEEE10hipError_tPvRmT1_PNSt15iterator_traitsISK_E10value_typeET2_T3_PNSL_ISQ_E10value_typeET4_jRbjT5_SW_jjP12ihipStream_tbEUlT_E_NS1_11comp_targetILNS1_3genE2ELNS1_11target_archE906ELNS1_3gpuE6ELNS1_3repE0EEENS1_30default_config_static_selectorELNS0_4arch9wavefront6targetE0EEEvSK_,"axG",@progbits,_ZN7rocprim17ROCPRIM_400000_NS6detail17trampoline_kernelINS0_14default_configENS1_36segmented_radix_sort_config_selectorIblEEZNS1_25segmented_radix_sort_implIS3_Lb0EPKbPbPKlPlN2at6native12_GLOBAL__N_18offset_tEEE10hipError_tPvRmT1_PNSt15iterator_traitsISK_E10value_typeET2_T3_PNSL_ISQ_E10value_typeET4_jRbjT5_SW_jjP12ihipStream_tbEUlT_E_NS1_11comp_targetILNS1_3genE2ELNS1_11target_archE906ELNS1_3gpuE6ELNS1_3repE0EEENS1_30default_config_static_selectorELNS0_4arch9wavefront6targetE0EEEvSK_,comdat
.Lfunc_end1639:
	.size	_ZN7rocprim17ROCPRIM_400000_NS6detail17trampoline_kernelINS0_14default_configENS1_36segmented_radix_sort_config_selectorIblEEZNS1_25segmented_radix_sort_implIS3_Lb0EPKbPbPKlPlN2at6native12_GLOBAL__N_18offset_tEEE10hipError_tPvRmT1_PNSt15iterator_traitsISK_E10value_typeET2_T3_PNSL_ISQ_E10value_typeET4_jRbjT5_SW_jjP12ihipStream_tbEUlT_E_NS1_11comp_targetILNS1_3genE2ELNS1_11target_archE906ELNS1_3gpuE6ELNS1_3repE0EEENS1_30default_config_static_selectorELNS0_4arch9wavefront6targetE0EEEvSK_, .Lfunc_end1639-_ZN7rocprim17ROCPRIM_400000_NS6detail17trampoline_kernelINS0_14default_configENS1_36segmented_radix_sort_config_selectorIblEEZNS1_25segmented_radix_sort_implIS3_Lb0EPKbPbPKlPlN2at6native12_GLOBAL__N_18offset_tEEE10hipError_tPvRmT1_PNSt15iterator_traitsISK_E10value_typeET2_T3_PNSL_ISQ_E10value_typeET4_jRbjT5_SW_jjP12ihipStream_tbEUlT_E_NS1_11comp_targetILNS1_3genE2ELNS1_11target_archE906ELNS1_3gpuE6ELNS1_3repE0EEENS1_30default_config_static_selectorELNS0_4arch9wavefront6targetE0EEEvSK_
                                        ; -- End function
	.set _ZN7rocprim17ROCPRIM_400000_NS6detail17trampoline_kernelINS0_14default_configENS1_36segmented_radix_sort_config_selectorIblEEZNS1_25segmented_radix_sort_implIS3_Lb0EPKbPbPKlPlN2at6native12_GLOBAL__N_18offset_tEEE10hipError_tPvRmT1_PNSt15iterator_traitsISK_E10value_typeET2_T3_PNSL_ISQ_E10value_typeET4_jRbjT5_SW_jjP12ihipStream_tbEUlT_E_NS1_11comp_targetILNS1_3genE2ELNS1_11target_archE906ELNS1_3gpuE6ELNS1_3repE0EEENS1_30default_config_static_selectorELNS0_4arch9wavefront6targetE0EEEvSK_.num_vgpr, 0
	.set _ZN7rocprim17ROCPRIM_400000_NS6detail17trampoline_kernelINS0_14default_configENS1_36segmented_radix_sort_config_selectorIblEEZNS1_25segmented_radix_sort_implIS3_Lb0EPKbPbPKlPlN2at6native12_GLOBAL__N_18offset_tEEE10hipError_tPvRmT1_PNSt15iterator_traitsISK_E10value_typeET2_T3_PNSL_ISQ_E10value_typeET4_jRbjT5_SW_jjP12ihipStream_tbEUlT_E_NS1_11comp_targetILNS1_3genE2ELNS1_11target_archE906ELNS1_3gpuE6ELNS1_3repE0EEENS1_30default_config_static_selectorELNS0_4arch9wavefront6targetE0EEEvSK_.num_agpr, 0
	.set _ZN7rocprim17ROCPRIM_400000_NS6detail17trampoline_kernelINS0_14default_configENS1_36segmented_radix_sort_config_selectorIblEEZNS1_25segmented_radix_sort_implIS3_Lb0EPKbPbPKlPlN2at6native12_GLOBAL__N_18offset_tEEE10hipError_tPvRmT1_PNSt15iterator_traitsISK_E10value_typeET2_T3_PNSL_ISQ_E10value_typeET4_jRbjT5_SW_jjP12ihipStream_tbEUlT_E_NS1_11comp_targetILNS1_3genE2ELNS1_11target_archE906ELNS1_3gpuE6ELNS1_3repE0EEENS1_30default_config_static_selectorELNS0_4arch9wavefront6targetE0EEEvSK_.numbered_sgpr, 0
	.set _ZN7rocprim17ROCPRIM_400000_NS6detail17trampoline_kernelINS0_14default_configENS1_36segmented_radix_sort_config_selectorIblEEZNS1_25segmented_radix_sort_implIS3_Lb0EPKbPbPKlPlN2at6native12_GLOBAL__N_18offset_tEEE10hipError_tPvRmT1_PNSt15iterator_traitsISK_E10value_typeET2_T3_PNSL_ISQ_E10value_typeET4_jRbjT5_SW_jjP12ihipStream_tbEUlT_E_NS1_11comp_targetILNS1_3genE2ELNS1_11target_archE906ELNS1_3gpuE6ELNS1_3repE0EEENS1_30default_config_static_selectorELNS0_4arch9wavefront6targetE0EEEvSK_.num_named_barrier, 0
	.set _ZN7rocprim17ROCPRIM_400000_NS6detail17trampoline_kernelINS0_14default_configENS1_36segmented_radix_sort_config_selectorIblEEZNS1_25segmented_radix_sort_implIS3_Lb0EPKbPbPKlPlN2at6native12_GLOBAL__N_18offset_tEEE10hipError_tPvRmT1_PNSt15iterator_traitsISK_E10value_typeET2_T3_PNSL_ISQ_E10value_typeET4_jRbjT5_SW_jjP12ihipStream_tbEUlT_E_NS1_11comp_targetILNS1_3genE2ELNS1_11target_archE906ELNS1_3gpuE6ELNS1_3repE0EEENS1_30default_config_static_selectorELNS0_4arch9wavefront6targetE0EEEvSK_.private_seg_size, 0
	.set _ZN7rocprim17ROCPRIM_400000_NS6detail17trampoline_kernelINS0_14default_configENS1_36segmented_radix_sort_config_selectorIblEEZNS1_25segmented_radix_sort_implIS3_Lb0EPKbPbPKlPlN2at6native12_GLOBAL__N_18offset_tEEE10hipError_tPvRmT1_PNSt15iterator_traitsISK_E10value_typeET2_T3_PNSL_ISQ_E10value_typeET4_jRbjT5_SW_jjP12ihipStream_tbEUlT_E_NS1_11comp_targetILNS1_3genE2ELNS1_11target_archE906ELNS1_3gpuE6ELNS1_3repE0EEENS1_30default_config_static_selectorELNS0_4arch9wavefront6targetE0EEEvSK_.uses_vcc, 0
	.set _ZN7rocprim17ROCPRIM_400000_NS6detail17trampoline_kernelINS0_14default_configENS1_36segmented_radix_sort_config_selectorIblEEZNS1_25segmented_radix_sort_implIS3_Lb0EPKbPbPKlPlN2at6native12_GLOBAL__N_18offset_tEEE10hipError_tPvRmT1_PNSt15iterator_traitsISK_E10value_typeET2_T3_PNSL_ISQ_E10value_typeET4_jRbjT5_SW_jjP12ihipStream_tbEUlT_E_NS1_11comp_targetILNS1_3genE2ELNS1_11target_archE906ELNS1_3gpuE6ELNS1_3repE0EEENS1_30default_config_static_selectorELNS0_4arch9wavefront6targetE0EEEvSK_.uses_flat_scratch, 0
	.set _ZN7rocprim17ROCPRIM_400000_NS6detail17trampoline_kernelINS0_14default_configENS1_36segmented_radix_sort_config_selectorIblEEZNS1_25segmented_radix_sort_implIS3_Lb0EPKbPbPKlPlN2at6native12_GLOBAL__N_18offset_tEEE10hipError_tPvRmT1_PNSt15iterator_traitsISK_E10value_typeET2_T3_PNSL_ISQ_E10value_typeET4_jRbjT5_SW_jjP12ihipStream_tbEUlT_E_NS1_11comp_targetILNS1_3genE2ELNS1_11target_archE906ELNS1_3gpuE6ELNS1_3repE0EEENS1_30default_config_static_selectorELNS0_4arch9wavefront6targetE0EEEvSK_.has_dyn_sized_stack, 0
	.set _ZN7rocprim17ROCPRIM_400000_NS6detail17trampoline_kernelINS0_14default_configENS1_36segmented_radix_sort_config_selectorIblEEZNS1_25segmented_radix_sort_implIS3_Lb0EPKbPbPKlPlN2at6native12_GLOBAL__N_18offset_tEEE10hipError_tPvRmT1_PNSt15iterator_traitsISK_E10value_typeET2_T3_PNSL_ISQ_E10value_typeET4_jRbjT5_SW_jjP12ihipStream_tbEUlT_E_NS1_11comp_targetILNS1_3genE2ELNS1_11target_archE906ELNS1_3gpuE6ELNS1_3repE0EEENS1_30default_config_static_selectorELNS0_4arch9wavefront6targetE0EEEvSK_.has_recursion, 0
	.set _ZN7rocprim17ROCPRIM_400000_NS6detail17trampoline_kernelINS0_14default_configENS1_36segmented_radix_sort_config_selectorIblEEZNS1_25segmented_radix_sort_implIS3_Lb0EPKbPbPKlPlN2at6native12_GLOBAL__N_18offset_tEEE10hipError_tPvRmT1_PNSt15iterator_traitsISK_E10value_typeET2_T3_PNSL_ISQ_E10value_typeET4_jRbjT5_SW_jjP12ihipStream_tbEUlT_E_NS1_11comp_targetILNS1_3genE2ELNS1_11target_archE906ELNS1_3gpuE6ELNS1_3repE0EEENS1_30default_config_static_selectorELNS0_4arch9wavefront6targetE0EEEvSK_.has_indirect_call, 0
	.section	.AMDGPU.csdata,"",@progbits
; Kernel info:
; codeLenInByte = 0
; TotalNumSgprs: 0
; NumVgprs: 0
; ScratchSize: 0
; MemoryBound: 0
; FloatMode: 240
; IeeeMode: 1
; LDSByteSize: 0 bytes/workgroup (compile time only)
; SGPRBlocks: 0
; VGPRBlocks: 0
; NumSGPRsForWavesPerEU: 1
; NumVGPRsForWavesPerEU: 1
; Occupancy: 16
; WaveLimiterHint : 0
; COMPUTE_PGM_RSRC2:SCRATCH_EN: 0
; COMPUTE_PGM_RSRC2:USER_SGPR: 2
; COMPUTE_PGM_RSRC2:TRAP_HANDLER: 0
; COMPUTE_PGM_RSRC2:TGID_X_EN: 1
; COMPUTE_PGM_RSRC2:TGID_Y_EN: 0
; COMPUTE_PGM_RSRC2:TGID_Z_EN: 0
; COMPUTE_PGM_RSRC2:TIDIG_COMP_CNT: 0
	.text
	.p2align	2                               ; -- Begin function _ZN7rocprim17ROCPRIM_400000_NS6detail40segmented_radix_sort_single_block_helperIblLj256ELj8ELb0EE4sortIPKbPbPKlPlEEbT_T0_T1_T2_jjjjRNS3_12storage_typeE
	.type	_ZN7rocprim17ROCPRIM_400000_NS6detail40segmented_radix_sort_single_block_helperIblLj256ELj8ELb0EE4sortIPKbPbPKlPlEEbT_T0_T1_T2_jjjjRNS3_12storage_typeE,@function
_ZN7rocprim17ROCPRIM_400000_NS6detail40segmented_radix_sort_single_block_helperIblLj256ELj8ELb0EE4sortIPKbPbPKlPlEEbT_T0_T1_T2_jjjjRNS3_12storage_typeE: ; @_ZN7rocprim17ROCPRIM_400000_NS6detail40segmented_radix_sort_single_block_helperIblLj256ELj8ELb0EE4sortIPKbPbPKlPlEEbT_T0_T1_T2_jjjjRNS3_12storage_typeE
; %bb.0:
	s_wait_loadcnt_dscnt 0x0
	s_wait_expcnt 0x0
	s_wait_samplecnt 0x0
	s_wait_bvhcnt 0x0
	s_wait_kmcnt 0x0
	v_sub_nc_u32_e32 v86, v9, v8
	s_mov_b32 s16, exec_lo
	s_delay_alu instid0(VALU_DEP_1)
	v_cmpx_gt_u32_e32 0x801, v86
	s_cbranch_execz .LBB1640_199
; %bb.1:
	v_bfe_u32 v9, v31, 10, 10
	v_bfe_u32 v15, v31, 20, 10
	v_and_b32_e32 v14, 0x3ff, v31
	v_mbcnt_lo_u32_b32 v54, -1, 0
	s_mov_b32 s0, exec_lo
	v_cmpx_lt_u32_e32 0x400, v86
	s_wait_alu 0xfffe
	s_xor_b32 s17, exec_lo, s0
	s_cbranch_execz .LBB1640_79
; %bb.2:
	s_load_b64 s[0:1], s[8:9], 0x0
	s_and_b32 s2, ttmp7, 0xffff
	s_mov_b32 s3, 0
	v_add_co_u32 v0, vcc_lo, v0, v8
	s_wait_alu 0xfffd
	v_add_co_ci_u32_e64 v1, null, 0, v1, vcc_lo
	v_dual_mov_b32 v87, 1 :: v_dual_mov_b32 v100, 1
	s_delay_alu instid0(VALU_DEP_3) | instskip(SKIP_1) | instid1(VALU_DEP_3)
	v_add_co_u32 v0, vcc_lo, v0, v54
	s_wait_alu 0xfffd
	v_add_co_ci_u32_e64 v1, null, 0, v1, vcc_lo
	v_mov_b32_e32 v97, 1
	v_dual_mov_b32 v101, 1 :: v_dual_mov_b32 v96, 1
	v_mov_b32_e32 v98, 1
	s_wait_kmcnt 0x0
	s_wait_alu 0xfffe
	s_cmp_lt_u32 s2, s1
	s_cselect_b32 s2, 14, 20
	s_cmp_lt_u32 ttmp9, s0
	s_wait_alu 0xfffe
	s_add_nc_u64 s[4:5], s[8:9], s[2:3]
	s_cselect_b32 s2, 12, 18
	s_load_u16 s4, s[4:5], 0x0
	s_add_nc_u64 s[0:1], s[8:9], s[2:3]
	s_load_u16 s0, s[0:1], 0x0
	s_wait_kmcnt 0x0
	v_mad_u32_u24 v9, v15, s4, v9
	s_delay_alu instid0(VALU_DEP_1) | instskip(SKIP_1) | instid1(VALU_DEP_1)
	v_mad_co_u64_u32 v[25:26], null, v9, s0, v[14:15]
	v_mov_b32_e32 v9, 0
	v_dual_mov_b32 v99, 1 :: v_dual_mov_b32 v16, v9
	s_delay_alu instid0(VALU_DEP_3) | instskip(NEXT) | instid1(VALU_DEP_1)
	v_lshlrev_b32_e32 v15, 3, v25
	v_and_b32_e32 v15, 0xffffff00, v15
	s_delay_alu instid0(VALU_DEP_1) | instskip(SKIP_3) | instid1(VALU_DEP_3)
	v_or_b32_e32 v17, v15, v54
	v_add_co_u32 v0, vcc_lo, v0, v15
	s_wait_alu 0xfffd
	v_add_co_ci_u32_e64 v1, null, 0, v1, vcc_lo
	v_cmp_lt_u32_e32 vcc_lo, v17, v86
	s_and_saveexec_b32 s0, vcc_lo
	s_cbranch_execz .LBB1640_4
; %bb.3:
	flat_load_u8 v96, v[0:1]
	v_dual_mov_b32 v99, 1 :: v_dual_mov_b32 v100, 1
	v_dual_mov_b32 v97, 1 :: v_dual_mov_b32 v98, 1
	v_mov_b32_e32 v101, 1
.LBB1640_4:
	s_wait_alu 0xfffe
	s_or_b32 exec_lo, exec_lo, s0
	v_or_b32_e32 v18, 32, v17
	v_mov_b32_e32 v102, v87
	s_delay_alu instid0(VALU_DEP_2)
	v_cmp_lt_u32_e64 s0, v18, v86
	s_and_saveexec_b32 s1, s0
	s_cbranch_execz .LBB1640_6
; %bb.5:
	flat_load_u8 v102, v[0:1] offset:32
.LBB1640_6:
	s_wait_alu 0xfffe
	s_or_b32 exec_lo, exec_lo, s1
	v_or_b32_e32 v18, 64, v17
	s_delay_alu instid0(VALU_DEP_1)
	v_cmp_lt_u32_e64 s1, v18, v86
	s_and_saveexec_b32 s2, s1
	s_cbranch_execz .LBB1640_8
; %bb.7:
	flat_load_u8 v87, v[0:1] offset:64
.LBB1640_8:
	s_wait_alu 0xfffe
	s_or_b32 exec_lo, exec_lo, s2
	v_or_b32_e32 v18, 0x60, v17
	s_delay_alu instid0(VALU_DEP_1)
	;; [unrolled: 10-line block ×6, first 2 shown]
	v_cmp_lt_u32_e64 s6, v17, v86
	s_and_saveexec_b32 s7, s6
	s_cbranch_execz .LBB1640_18
; %bb.17:
	flat_load_u8 v101, v[0:1] offset:224
.LBB1640_18:
	s_wait_alu 0xfffe
	s_or_b32 exec_lo, exec_lo, s7
	v_lshlrev_b64_e32 v[0:1], 3, v[8:9]
	v_lshlrev_b32_e32 v9, 3, v54
                                        ; implicit-def: $vgpr30_vgpr31
	s_delay_alu instid0(VALU_DEP_2) | instskip(SKIP_1) | instid1(VALU_DEP_3)
	v_add_co_u32 v17, s7, v4, v0
	s_wait_alu 0xf1ff
	v_add_co_ci_u32_e64 v18, null, v5, v1, s7
	v_lshlrev_b64_e32 v[4:5], 3, v[15:16]
	s_delay_alu instid0(VALU_DEP_3) | instskip(SKIP_1) | instid1(VALU_DEP_3)
	v_add_co_u32 v9, s7, v17, v9
	s_wait_alu 0xf1ff
	v_add_co_ci_u32_e64 v15, null, 0, v18, s7
	s_delay_alu instid0(VALU_DEP_2) | instskip(SKIP_1) | instid1(VALU_DEP_2)
	v_add_co_u32 v4, s7, v9, v4
	s_wait_alu 0xf1ff
	v_add_co_ci_u32_e64 v5, null, v15, v5, s7
	s_and_saveexec_b32 s7, vcc_lo
	s_cbranch_execnz .LBB1640_112
; %bb.19:
	s_wait_alu 0xfffe
	s_or_b32 exec_lo, exec_lo, s7
                                        ; implicit-def: $vgpr32_vgpr33
	s_and_saveexec_b32 s7, s0
	s_cbranch_execnz .LBB1640_113
.LBB1640_20:
	s_wait_alu 0xfffe
	s_or_b32 exec_lo, exec_lo, s7
                                        ; implicit-def: $vgpr34_vgpr35
	s_and_saveexec_b32 s0, s1
	s_cbranch_execnz .LBB1640_114
.LBB1640_21:
	s_wait_alu 0xfffe
	s_or_b32 exec_lo, exec_lo, s0
                                        ; implicit-def: $vgpr36_vgpr37
	s_and_saveexec_b32 s0, s2
	s_cbranch_execnz .LBB1640_115
.LBB1640_22:
	s_wait_alu 0xfffe
	s_or_b32 exec_lo, exec_lo, s0
                                        ; implicit-def: $vgpr38_vgpr39
	s_and_saveexec_b32 s0, s3
	s_cbranch_execnz .LBB1640_116
.LBB1640_23:
	s_wait_alu 0xfffe
	s_or_b32 exec_lo, exec_lo, s0
                                        ; implicit-def: $vgpr48_vgpr49
	s_and_saveexec_b32 s0, s4
	s_cbranch_execnz .LBB1640_117
.LBB1640_24:
	s_wait_alu 0xfffe
	s_or_b32 exec_lo, exec_lo, s0
                                        ; implicit-def: $vgpr50_vgpr51
	s_and_saveexec_b32 s0, s5
	s_cbranch_execnz .LBB1640_118
.LBB1640_25:
	s_wait_alu 0xfffe
	s_or_b32 exec_lo, exec_lo, s0
                                        ; implicit-def: $vgpr52_vgpr53
	s_and_saveexec_b32 s0, s6
	s_cbranch_execz .LBB1640_27
.LBB1640_26:
	flat_load_b64 v[52:53], v[4:5] offset:1792
.LBB1640_27:
	s_wait_alu 0xfffe
	s_or_b32 exec_lo, exec_lo, s0
	v_lshl_add_u32 v4, v14, 5, v12
	v_and_b32_e32 v15, 15, v54
	v_sub_co_u32 v17, s2, v54, 1
	s_getpc_b64 s[0:1]
	s_wait_alu 0xfffe
	s_sext_i32_i16 s1, s1
	s_add_co_u32 s0, s0, _ZN7rocprim17ROCPRIM_400000_NS16block_radix_sortIbLj256ELj8ElLj1ELj1ELj8ELNS0_26block_radix_rank_algorithmE2ELNS0_18block_padding_hintE2ELNS0_4arch9wavefront6targetE0EE19radix_bits_per_passE@rel32@lo+12
	s_wait_alu 0xfffe
	s_add_co_ci_u32 s1, s1, _ZN7rocprim17ROCPRIM_400000_NS16block_radix_sortIbLj256ELj8ElLj1ELj1ELj8ELNS0_26block_radix_rank_algorithmE2ELNS0_18block_padding_hintE2ELNS0_4arch9wavefront6targetE0EE19radix_bits_per_passE@rel32@hi+24
	v_add_nc_u32_e32 v9, 32, v4
	v_add_nc_u32_e32 v103, 36, v4
	v_dual_mov_b32 v129, 0 :: v_dual_add_nc_u32 v112, 40, v4
	v_add_nc_u32_e32 v113, 44, v4
	v_add_nc_u32_e32 v114, 48, v4
	v_add_nc_u32_e32 v115, 52, v4
	v_add_nc_u32_e32 v116, 56, v4
	v_add_nc_u32_e32 v117, 60, v4
	v_and_b32_e32 v4, 0x3e0, v14
	v_lshlrev_b32_e32 v5, 3, v14
	s_load_b32 s18, s[0:1], 0x0
	v_cmp_eq_u32_e32 vcc_lo, 0, v15
	v_cmp_lt_u32_e64 s0, 1, v15
	v_min_u32_e32 v4, 0xe0, v4
	v_cmp_lt_u32_e64 s1, 3, v15
	v_and_b32_e32 v16, 16, v54
	v_cmp_lt_u32_e64 s3, 7, v15
	v_lshrrev_b32_e32 v15, 3, v14
	v_or_b32_e32 v4, 31, v4
	v_cmp_gt_i32_e64 s5, 0, v17
	v_cmp_eq_u32_e64 s4, 0, v16
	v_and_or_b32 v5, 0x1f00, v5, v54
	v_lshrrev_b32_e32 v118, 5, v25
	v_cmp_gt_u32_e64 s6, 8, v14
	s_wait_alu 0xf1ff
	v_cndmask_b32_e64 v16, v17, v54, s5
	v_cmp_eq_u32_e64 s5, v14, v4
	v_and_b32_e32 v4, 0x7c, v15
	v_add_nc_u32_e32 v131, v12, v5
	v_and_b32_e32 v15, 7, v54
	v_cmp_lt_u32_e64 s7, 31, v14
	v_lshlrev_b32_e32 v119, 2, v16
	v_add_nc_u32_e32 v128, v12, v4
	v_mul_u32_u24_e32 v4, 7, v5
	v_cmp_eq_u32_e64 s10, 0, v14
	v_lshl_add_u32 v130, v14, 2, v12
	v_cmp_eq_u32_e64 s11, 0, v15
	v_cmp_lt_u32_e64 s12, 1, v15
	v_add_nc_u32_e32 v144, v131, v4
	v_cmp_lt_u32_e64 s13, 3, v15
	v_add_nc_u32_e32 v132, -4, v128
	v_add_nc_u32_e32 v133, 32, v131
	v_add_nc_u32_e32 v134, 64, v131
	v_add_nc_u32_e32 v135, 0x60, v131
	v_add_nc_u32_e32 v145, 0x80, v131
	v_add_nc_u32_e32 v146, 0xa0, v131
	v_add_nc_u32_e32 v147, 0xc0, v131
	v_add_nc_u32_e32 v148, 0xe0, v131
	v_add_nc_u32_e32 v149, 0x100, v144
	v_add_nc_u32_e32 v150, 0x200, v144
	v_add_nc_u32_e32 v151, 0x300, v144
	v_add_nc_u32_e32 v160, 0x400, v144
	v_add_nc_u32_e32 v161, 0x500, v144
	v_add_nc_u32_e32 v162, 0x600, v144
	v_add_nc_u32_e32 v163, 0x700, v144
	v_sub_nc_u32_e32 v164, v11, v10
	s_mov_b32 s19, 0
	s_wait_storecnt 0x0
	s_wait_loadcnt_dscnt 0x0
	s_barrier_signal -1
	s_barrier_wait -1
	global_inv scope:SCOPE_SE
	s_branch .LBB1640_29
.LBB1640_28:                            ;   in Loop: Header=BB1640_29 Depth=1
	s_wait_alu 0xfffe
	s_or_b32 exec_lo, exec_lo, s15
	s_delay_alu instid0(SALU_CYCLE_1)
	s_and_b32 s14, exec_lo, s20
	s_wait_alu 0xfffe
	s_or_b32 s19, s14, s19
	s_wait_alu 0xfffe
	s_and_not1_b32 exec_lo, exec_lo, s19
	s_cbranch_execz .LBB1640_53
.LBB1640_29:                            ; =>This Inner Loop Header: Depth=1
	s_wait_kmcnt 0x0
	v_min_u32_e32 v4, s18, v164
	v_dual_mov_b32 v28, v30 :: v_dual_and_b32 v5, 0xff, v96
	v_mov_b32_e32 v29, v31
	v_dual_mov_b32 v15, v32 :: v_dual_mov_b32 v26, v36
	s_delay_alu instid0(VALU_DEP_4) | instskip(NEXT) | instid1(VALU_DEP_4)
	v_lshlrev_b32_e64 v4, v4, -1
	v_lshrrev_b32_e32 v5, v10, v5
	v_dual_mov_b32 v16, v33 :: v_dual_mov_b32 v21, v38
	v_mov_b32_e32 v19, v48
	s_delay_alu instid0(VALU_DEP_4)
	v_not_b32_e32 v54, v4
	v_dual_mov_b32 v27, v37 :: v_dual_mov_b32 v20, v49
	ds_store_b32 v9, v129
	ds_store_b32 v103, v129
	ds_store_b32 v112, v129
	ds_store_b32 v113, v129
	ds_store_b32 v114, v129
	v_dual_mov_b32 v4, v34 :: v_dual_and_b32 v55, v5, v54
	v_dual_mov_b32 v5, v35 :: v_dual_mov_b32 v22, v39
	ds_store_b32 v115, v129
	v_add_co_u32 v30, s14, v55, -1
	s_wait_alu 0xf1ff
	v_cndmask_b32_e64 v23, 0, 1, s14
	v_lshlrev_b32_e32 v31, 3, v55
	ds_store_b32 v116, v129
	ds_store_b32 v117, v129
	s_wait_loadcnt_dscnt 0x0
	s_barrier_signal -1
	v_cmp_ne_u32_e64 s14, 0, v23
	v_add_lshl_u32 v31, v31, v118, 2
	v_dual_mov_b32 v23, v52 :: v_dual_mov_b32 v24, v53
	s_barrier_wait -1
	s_wait_alu 0xf1ff
	v_xor_b32_e32 v30, s14, v30
	v_mov_b32_e32 v17, v50
	v_add_co_u32 v31, null, v12, v31
	v_mov_b32_e32 v18, v51
	s_delay_alu instid0(VALU_DEP_4) | instskip(SKIP_4) | instid1(VALU_DEP_2)
	v_and_b32_e32 v32, exec_lo, v30
	global_inv scope:SCOPE_SE
	v_add_co_u32 v31, null, v31, 32
	v_mbcnt_lo_u32_b32 v30, v32, 0
	v_cmp_ne_u32_e64 s15, 0, v32
	; wave barrier
	v_cmp_eq_u32_e64 s14, 0, v30
	s_and_b32 s15, s15, s14
	s_wait_alu 0xfffe
	s_and_saveexec_b32 s14, s15
; %bb.30:                               ;   in Loop: Header=BB1640_29 Depth=1
	v_bcnt_u32_b32 v32, v32, 0
	ds_store_b32 v31, v32
; %bb.31:                               ;   in Loop: Header=BB1640_29 Depth=1
	s_wait_alu 0xfffe
	s_or_b32 exec_lo, exec_lo, s14
	v_and_b32_e32 v32, 0xff, v102
	; wave barrier
	s_delay_alu instid0(VALU_DEP_1) | instskip(NEXT) | instid1(VALU_DEP_1)
	v_lshrrev_b32_e32 v32, v10, v32
	v_and_b32_e32 v32, v32, v54
	s_delay_alu instid0(VALU_DEP_1) | instskip(SKIP_3) | instid1(VALU_DEP_2)
	v_add_co_u32 v33, s14, v32, -1
	s_wait_alu 0xf1ff
	v_cndmask_b32_e64 v34, 0, 1, s14
	v_lshl_add_u32 v32, v32, 3, v118
	v_cmp_ne_u32_e64 s14, 0, v34
	s_delay_alu instid0(VALU_DEP_2) | instskip(SKIP_1) | instid1(VALU_DEP_2)
	v_lshl_add_u32 v34, v32, 2, v12
	s_wait_alu 0xf1ff
	v_xor_b32_e32 v33, s14, v33
	ds_load_b32 v32, v34 offset:32
	v_add_nc_u32_e32 v34, 32, v34
	; wave barrier
	v_and_b32_e32 v35, exec_lo, v33
	s_delay_alu instid0(VALU_DEP_1) | instskip(SKIP_1) | instid1(VALU_DEP_2)
	v_mbcnt_lo_u32_b32 v33, v35, 0
	v_cmp_ne_u32_e64 s15, 0, v35
	v_cmp_eq_u32_e64 s14, 0, v33
	s_and_b32 s15, s15, s14
	s_wait_alu 0xfffe
	s_and_saveexec_b32 s14, s15
	s_cbranch_execz .LBB1640_33
; %bb.32:                               ;   in Loop: Header=BB1640_29 Depth=1
	s_wait_dscnt 0x0
	v_bcnt_u32_b32 v35, v35, v32
	ds_store_b32 v34, v35
.LBB1640_33:                            ;   in Loop: Header=BB1640_29 Depth=1
	s_wait_alu 0xfffe
	s_or_b32 exec_lo, exec_lo, s14
	v_and_b32_e32 v35, 0xff, v87
	; wave barrier
	s_delay_alu instid0(VALU_DEP_1) | instskip(NEXT) | instid1(VALU_DEP_1)
	v_lshrrev_b32_e32 v35, v10, v35
	v_and_b32_e32 v35, v35, v54
	s_delay_alu instid0(VALU_DEP_1) | instskip(SKIP_3) | instid1(VALU_DEP_2)
	v_add_co_u32 v36, s14, v35, -1
	s_wait_alu 0xf1ff
	v_cndmask_b32_e64 v37, 0, 1, s14
	v_lshl_add_u32 v35, v35, 3, v118
	v_cmp_ne_u32_e64 s14, 0, v37
	s_delay_alu instid0(VALU_DEP_2) | instskip(SKIP_1) | instid1(VALU_DEP_2)
	v_lshl_add_u32 v37, v35, 2, v12
	s_wait_alu 0xf1ff
	v_xor_b32_e32 v36, s14, v36
	ds_load_b32 v35, v37 offset:32
	v_add_nc_u32_e32 v37, 32, v37
	; wave barrier
	v_and_b32_e32 v38, exec_lo, v36
	s_delay_alu instid0(VALU_DEP_1) | instskip(SKIP_1) | instid1(VALU_DEP_2)
	v_mbcnt_lo_u32_b32 v36, v38, 0
	v_cmp_ne_u32_e64 s15, 0, v38
	v_cmp_eq_u32_e64 s14, 0, v36
	s_and_b32 s15, s15, s14
	s_wait_alu 0xfffe
	s_and_saveexec_b32 s14, s15
	s_cbranch_execz .LBB1640_35
; %bb.34:                               ;   in Loop: Header=BB1640_29 Depth=1
	s_wait_dscnt 0x0
	v_bcnt_u32_b32 v38, v38, v35
	ds_store_b32 v37, v38
.LBB1640_35:                            ;   in Loop: Header=BB1640_29 Depth=1
	;; [unrolled: 34-line block ×7, first 2 shown]
	s_wait_alu 0xfffe
	s_or_b32 exec_lo, exec_lo, s14
	; wave barrier
	s_wait_loadcnt_dscnt 0x0
	s_barrier_signal -1
	s_barrier_wait -1
	global_inv scope:SCOPE_SE
	ds_load_b32 v70, v9
	ds_load_b32 v71, v103
	;; [unrolled: 1-line block ×8, first 2 shown]
	s_wait_dscnt 0x6
	v_add_nc_u32_e32 v85, v71, v70
	s_wait_dscnt 0x4
	s_delay_alu instid0(VALU_DEP_1) | instskip(SKIP_1) | instid1(VALU_DEP_1)
	v_add3_u32 v85, v85, v80, v81
	s_wait_dscnt 0x2
	v_add3_u32 v85, v85, v82, v83
	s_wait_dscnt 0x0
	s_delay_alu instid0(VALU_DEP_1) | instskip(NEXT) | instid1(VALU_DEP_1)
	v_add3_u32 v84, v85, v69, v84
	v_mov_b32_dpp v85, v84 row_shr:1 row_mask:0xf bank_mask:0xf
	s_wait_alu 0xfffd
	s_delay_alu instid0(VALU_DEP_1) | instskip(NEXT) | instid1(VALU_DEP_1)
	v_cndmask_b32_e64 v85, v85, 0, vcc_lo
	v_add_nc_u32_e32 v84, v85, v84
	s_delay_alu instid0(VALU_DEP_1) | instskip(NEXT) | instid1(VALU_DEP_1)
	v_mov_b32_dpp v85, v84 row_shr:2 row_mask:0xf bank_mask:0xf
	v_cndmask_b32_e64 v85, 0, v85, s0
	s_delay_alu instid0(VALU_DEP_1) | instskip(NEXT) | instid1(VALU_DEP_1)
	v_add_nc_u32_e32 v84, v84, v85
	v_mov_b32_dpp v85, v84 row_shr:4 row_mask:0xf bank_mask:0xf
	s_delay_alu instid0(VALU_DEP_1) | instskip(NEXT) | instid1(VALU_DEP_1)
	v_cndmask_b32_e64 v85, 0, v85, s1
	v_add_nc_u32_e32 v84, v84, v85
	s_delay_alu instid0(VALU_DEP_1) | instskip(NEXT) | instid1(VALU_DEP_1)
	v_mov_b32_dpp v85, v84 row_shr:8 row_mask:0xf bank_mask:0xf
	v_cndmask_b32_e64 v85, 0, v85, s3
	s_delay_alu instid0(VALU_DEP_1) | instskip(SKIP_3) | instid1(VALU_DEP_1)
	v_add_nc_u32_e32 v84, v84, v85
	ds_swizzle_b32 v85, v84 offset:swizzle(BROADCAST,32,15)
	s_wait_dscnt 0x0
	v_cndmask_b32_e64 v85, v85, 0, s4
	v_add_nc_u32_e32 v84, v84, v85
	s_and_saveexec_b32 s14, s5
; %bb.46:                               ;   in Loop: Header=BB1640_29 Depth=1
	ds_store_b32 v128, v84
; %bb.47:                               ;   in Loop: Header=BB1640_29 Depth=1
	s_wait_alu 0xfffe
	s_or_b32 exec_lo, exec_lo, s14
	s_wait_loadcnt_dscnt 0x0
	s_barrier_signal -1
	s_barrier_wait -1
	global_inv scope:SCOPE_SE
	s_and_saveexec_b32 s14, s6
	s_cbranch_execz .LBB1640_49
; %bb.48:                               ;   in Loop: Header=BB1640_29 Depth=1
	ds_load_b32 v85, v130
	s_wait_dscnt 0x0
	v_mov_b32_dpp v165, v85 row_shr:1 row_mask:0xf bank_mask:0xf
	s_delay_alu instid0(VALU_DEP_1) | instskip(NEXT) | instid1(VALU_DEP_1)
	v_cndmask_b32_e64 v165, v165, 0, s11
	v_add_nc_u32_e32 v85, v165, v85
	s_delay_alu instid0(VALU_DEP_1) | instskip(NEXT) | instid1(VALU_DEP_1)
	v_mov_b32_dpp v165, v85 row_shr:2 row_mask:0xf bank_mask:0xf
	v_cndmask_b32_e64 v165, 0, v165, s12
	s_delay_alu instid0(VALU_DEP_1) | instskip(NEXT) | instid1(VALU_DEP_1)
	v_add_nc_u32_e32 v85, v85, v165
	v_mov_b32_dpp v165, v85 row_shr:4 row_mask:0xf bank_mask:0xf
	s_delay_alu instid0(VALU_DEP_1) | instskip(NEXT) | instid1(VALU_DEP_1)
	v_cndmask_b32_e64 v165, 0, v165, s13
	v_add_nc_u32_e32 v85, v85, v165
	ds_store_b32 v130, v85
.LBB1640_49:                            ;   in Loop: Header=BB1640_29 Depth=1
	s_wait_alu 0xfffe
	s_or_b32 exec_lo, exec_lo, s14
	v_mov_b32_e32 v85, 0
	s_wait_loadcnt_dscnt 0x0
	s_barrier_signal -1
	s_barrier_wait -1
	global_inv scope:SCOPE_SE
	s_and_saveexec_b32 s14, s7
; %bb.50:                               ;   in Loop: Header=BB1640_29 Depth=1
	ds_load_b32 v85, v132
; %bb.51:                               ;   in Loop: Header=BB1640_29 Depth=1
	s_wait_alu 0xfffe
	s_or_b32 exec_lo, exec_lo, s14
	s_wait_dscnt 0x0
	v_dual_mov_b32 v181, v96 :: v_dual_add_nc_u32 v84, v85, v84
	v_add_nc_u32_e32 v10, 8, v10
	s_mov_b32 s20, -1
	v_mov_b32_e32 v183, v87
	ds_bpermute_b32 v84, v119, v84
	v_mov_b32_e32 v192, v99
	v_cmp_lt_u32_e64 s14, v10, v11
	v_dual_mov_b32 v193, v100 :: v_dual_mov_b32 v182, v102
	v_dual_mov_b32 v195, v98 :: v_dual_mov_b32 v194, v97
	v_mov_b32_e32 v196, v101
	s_wait_dscnt 0x0
	v_cndmask_b32_e64 v84, v84, v85, s2
	s_delay_alu instid0(VALU_DEP_1) | instskip(NEXT) | instid1(VALU_DEP_1)
	v_cndmask_b32_e64 v84, v84, 0, s10
	v_add_nc_u32_e32 v70, v84, v70
	s_delay_alu instid0(VALU_DEP_1) | instskip(SKIP_4) | instid1(VALU_DEP_1)
	v_add_nc_u32_e32 v71, v70, v71
	ds_store_b32 v9, v84
	ds_store_b32 v103, v70
	;; [unrolled: 1-line block ×3, first 2 shown]
	v_add_nc_u32_e32 v80, v71, v80
	v_add_nc_u32_e32 v81, v80, v81
	s_delay_alu instid0(VALU_DEP_1) | instskip(NEXT) | instid1(VALU_DEP_1)
	v_add_nc_u32_e32 v82, v81, v82
	v_add_nc_u32_e32 v83, v82, v83
	s_delay_alu instid0(VALU_DEP_1)
	v_add_nc_u32_e32 v69, v83, v69
	ds_store_b32 v113, v80
	ds_store_b32 v114, v81
	;; [unrolled: 1-line block ×5, first 2 shown]
	s_wait_loadcnt_dscnt 0x0
	s_barrier_signal -1
	s_barrier_wait -1
	global_inv scope:SCOPE_SE
	ds_load_b32 v31, v31
	ds_load_b32 v34, v34
	;; [unrolled: 1-line block ×8, first 2 shown]
	s_wait_loadcnt_dscnt 0x0
	v_add_nc_u32_e32 v180, v31, v30
	v_add3_u32 v179, v33, v32, v34
	v_add3_u32 v178, v36, v35, v37
	;; [unrolled: 1-line block ×7, first 2 shown]
	v_add_co_u32 v68, s15, v12, v180
	s_wait_alu 0xf1ff
	v_add_co_ci_u32_e64 v69, null, 0, v13, s15
	v_add_co_u32 v54, s15, v12, v179
	s_wait_alu 0xf1ff
	v_add_co_ci_u32_e64 v55, null, 0, v13, s15
	;; [unrolled: 3-line block ×8, first 2 shown]
                                        ; implicit-def: $vgpr30_vgpr31
                                        ; implicit-def: $vgpr32_vgpr33
                                        ; implicit-def: $vgpr34_vgpr35
                                        ; implicit-def: $vgpr36_vgpr37
                                        ; implicit-def: $vgpr38_vgpr39
                                        ; implicit-def: $vgpr48_vgpr49
                                        ; implicit-def: $vgpr50_vgpr51
                                        ; implicit-def: $vgpr52_vgpr53
	s_and_saveexec_b32 s15, s14
	s_cbranch_execz .LBB1640_28
; %bb.52:                               ;   in Loop: Header=BB1640_29 Depth=1
	v_mad_co_u64_u32 v[30:31], null, v180, 7, v[68:69]
	v_mad_co_u64_u32 v[31:32], null, v179, 7, v[54:55]
	;; [unrolled: 1-line block ×8, first 2 shown]
	s_barrier_signal -1
	s_barrier_wait -1
	global_inv scope:SCOPE_SE
	ds_store_b8 v68, v96
	ds_store_b8 v54, v102
	;; [unrolled: 1-line block ×8, first 2 shown]
	s_wait_loadcnt_dscnt 0x0
	s_barrier_signal -1
	s_barrier_wait -1
	global_inv scope:SCOPE_SE
	ds_load_u8 v101, v148
	ds_load_u8 v98, v147
	;; [unrolled: 1-line block ×8, first 2 shown]
	s_wait_loadcnt_dscnt 0x0
	s_barrier_signal -1
	s_barrier_wait -1
	global_inv scope:SCOPE_SE
	ds_store_b64 v30, v[28:29]
	ds_store_b64 v31, v[15:16]
	;; [unrolled: 1-line block ×8, first 2 shown]
	s_wait_loadcnt_dscnt 0x0
	s_barrier_signal -1
	s_barrier_wait -1
	global_inv scope:SCOPE_SE
	ds_load_b64 v[30:31], v144
	ds_load_b64 v[32:33], v149
	;; [unrolled: 1-line block ×8, first 2 shown]
	v_add_nc_u32_e32 v164, -8, v164
	s_xor_b32 s20, exec_lo, -1
	s_wait_loadcnt_dscnt 0x0
	s_barrier_signal -1
	s_barrier_wait -1
	global_inv scope:SCOPE_SE
	s_branch .LBB1640_28
.LBB1640_53:
	s_or_b32 exec_lo, exec_lo, s19
	v_mad_co_u64_u32 v[9:10], null, v180, 7, v[68:69]
	v_add_nc_u32_e32 v50, v12, v14
	s_barrier_signal -1
	s_barrier_wait -1
	s_wait_loadcnt 0x0
	global_inv scope:SCOPE_SE
	ds_store_b8 v68, v181
	ds_store_b8 v54, v182
	;; [unrolled: 1-line block ×8, first 2 shown]
	s_wait_loadcnt_dscnt 0x0
	s_barrier_signal -1
	s_barrier_wait -1
	global_inv scope:SCOPE_SE
	ds_load_u8 v37, v50
	ds_load_u8 v36, v50 offset:256
	ds_load_u8 v35, v50 offset:512
	;; [unrolled: 1-line block ×7, first 2 shown]
	s_wait_loadcnt_dscnt 0x0
	s_barrier_signal -1
	s_barrier_wait -1
	global_inv scope:SCOPE_SE
	ds_store_b64 v9, v[28:29]
	v_mad_co_u64_u32 v[9:10], null, v179, 7, v[54:55]
	v_mad_co_u64_u32 v[10:11], null, v178, 7, v[64:65]
	v_mad_co_u64_u32 v[11:12], null, v177, 7, v[66:67]
	ds_store_b64 v9, v[15:16]
	ds_store_b64 v10, v[4:5]
	ds_store_b64 v11, v[26:27]
	v_mul_u32_u24_e32 v4, 7, v14
	v_mad_co_u64_u32 v[12:13], null, v176, 7, v[70:71]
	v_mad_co_u64_u32 v[28:29], null, v167, 7, v[80:81]
	v_mad_co_u64_u32 v[38:39], null, v166, 7, v[82:83]
	v_mad_co_u64_u32 v[48:49], null, v165, 7, v[84:85]
	v_add_nc_u32_e32 v4, v50, v4
	ds_store_b64 v12, v[21:22]
	ds_store_b64 v28, v[19:20]
	;; [unrolled: 1-line block ×4, first 2 shown]
	s_wait_loadcnt_dscnt 0x0
	s_barrier_signal -1
	s_barrier_wait -1
	global_inv scope:SCOPE_SE
	ds_load_2addr_stride64_b64 v[21:24], v4 offset1:4
	ds_load_2addr_stride64_b64 v[17:20], v4 offset0:8 offset1:12
	ds_load_2addr_stride64_b64 v[13:16], v4 offset0:16 offset1:20
	;; [unrolled: 1-line block ×3, first 2 shown]
	v_add_co_u32 v2, vcc_lo, v2, v8
	s_wait_alu 0xfffd
	v_add_co_ci_u32_e64 v3, null, 0, v3, vcc_lo
	v_mov_b32_e32 v26, 0
	s_delay_alu instid0(VALU_DEP_3) | instskip(SKIP_1) | instid1(VALU_DEP_3)
	v_add_co_u32 v2, vcc_lo, v2, v25
	s_wait_alu 0xfffd
	v_add_co_ci_u32_e64 v3, null, 0, v3, vcc_lo
	v_cmp_lt_u32_e32 vcc_lo, v25, v86
	s_wait_loadcnt_dscnt 0x0
	s_barrier_signal -1
	s_barrier_wait -1
	global_inv scope:SCOPE_SE
	s_and_saveexec_b32 s0, vcc_lo
	s_cbranch_execz .LBB1640_55
; %bb.54:
	flat_store_b8 v[2:3], v37
.LBB1640_55:
	s_wait_alu 0xfffe
	s_or_b32 exec_lo, exec_lo, s0
	v_add_nc_u32_e32 v4, 0x100, v25
	s_delay_alu instid0(VALU_DEP_1)
	v_cmp_lt_u32_e64 s0, v4, v86
	s_and_saveexec_b32 s1, s0
	s_cbranch_execz .LBB1640_57
; %bb.56:
	flat_store_b8 v[2:3], v36 offset:256
.LBB1640_57:
	s_wait_alu 0xfffe
	s_or_b32 exec_lo, exec_lo, s1
	v_add_nc_u32_e32 v4, 0x200, v25
	s_delay_alu instid0(VALU_DEP_1)
	v_cmp_lt_u32_e64 s1, v4, v86
	s_and_saveexec_b32 s2, s1
	s_cbranch_execz .LBB1640_59
; %bb.58:
	flat_store_b8 v[2:3], v35 offset:512
.LBB1640_59:
	;; [unrolled: 10-line block ×7, first 2 shown]
	s_wait_alu 0xfffe
	s_or_b32 exec_lo, exec_lo, s7
	v_lshlrev_b64_e32 v[2:3], 3, v[25:26]
	v_add_co_u32 v0, s7, v6, v0
	s_wait_alu 0xf1ff
	v_add_co_ci_u32_e64 v1, null, v7, v1, s7
	s_delay_alu instid0(VALU_DEP_2) | instskip(SKIP_1) | instid1(VALU_DEP_2)
	v_add_co_u32 v0, s7, v0, v2
	s_wait_alu 0xf1ff
	v_add_co_ci_u32_e64 v1, null, v1, v3, s7
	s_and_saveexec_b32 s7, vcc_lo
	s_cbranch_execnz .LBB1640_119
; %bb.70:
	s_wait_alu 0xfffe
	s_or_b32 exec_lo, exec_lo, s7
	s_and_saveexec_b32 s7, s0
	s_cbranch_execnz .LBB1640_120
.LBB1640_71:
	s_wait_alu 0xfffe
	s_or_b32 exec_lo, exec_lo, s7
	s_and_saveexec_b32 s0, s1
	s_cbranch_execnz .LBB1640_121
.LBB1640_72:
	s_wait_alu 0xfffe
	s_or_b32 exec_lo, exec_lo, s0
	s_and_saveexec_b32 s0, s2
	s_cbranch_execnz .LBB1640_122
.LBB1640_73:
	s_wait_alu 0xfffe
	s_or_b32 exec_lo, exec_lo, s0
	s_and_saveexec_b32 s0, s3
	s_cbranch_execnz .LBB1640_123
.LBB1640_74:
	s_wait_alu 0xfffe
	s_or_b32 exec_lo, exec_lo, s0
	s_and_saveexec_b32 s0, s4
	s_cbranch_execnz .LBB1640_124
.LBB1640_75:
	s_wait_alu 0xfffe
	s_or_b32 exec_lo, exec_lo, s0
	s_and_saveexec_b32 s0, s5
	s_cbranch_execnz .LBB1640_125
.LBB1640_76:
	s_wait_alu 0xfffe
	s_or_b32 exec_lo, exec_lo, s0
	s_and_saveexec_b32 s0, s6
	s_cbranch_execz .LBB1640_78
.LBB1640_77:
	flat_store_b64 v[0:1], v[11:12] offset:14336
.LBB1640_78:
	s_wait_alu 0xfffe
	s_or_b32 exec_lo, exec_lo, s0
                                        ; implicit-def: $vgpr86
                                        ; implicit-def: $vgpr0
                                        ; implicit-def: $vgpr1
                                        ; implicit-def: $vgpr2
                                        ; implicit-def: $vgpr3
                                        ; implicit-def: $vgpr4
                                        ; implicit-def: $vgpr5
                                        ; implicit-def: $vgpr6
                                        ; implicit-def: $vgpr7
                                        ; implicit-def: $vgpr8
                                        ; implicit-def: $vgpr10
                                        ; implicit-def: $vgpr11
                                        ; implicit-def: $vgpr12
                                        ; implicit-def: $vgpr13
                                        ; implicit-def: $vgpr9
                                        ; implicit-def: $vgpr15
                                        ; implicit-def: $vgpr14
                                        ; implicit-def: $vgpr54
.LBB1640_79:
	s_wait_alu 0xfffe
	s_and_not1_saveexec_b32 s0, s17
	s_cbranch_execz .LBB1640_199
; %bb.80:
	s_mov_b32 s0, exec_lo
	v_cmpx_lt_u32_e32 0x200, v86
	s_wait_alu 0xfffe
	s_xor_b32 s17, exec_lo, s0
	s_cbranch_execz .LBB1640_140
; %bb.81:
	s_load_b64 s[0:1], s[8:9], 0x0
	s_and_b32 s2, ttmp7, 0xffff
	s_mov_b32 s3, 0
	v_add_co_u32 v0, vcc_lo, v0, v8
	s_wait_alu 0xfffd
	v_add_co_ci_u32_e64 v1, null, 0, v1, vcc_lo
	v_dual_mov_b32 v49, 1 :: v_dual_mov_b32 v50, 1
	s_delay_alu instid0(VALU_DEP_3) | instskip(SKIP_1) | instid1(VALU_DEP_3)
	v_add_co_u32 v0, vcc_lo, v0, v54
	s_wait_alu 0xfffd
	v_add_co_ci_u32_e64 v1, null, 0, v1, vcc_lo
	v_mov_b32_e32 v48, 1
	s_wait_kmcnt 0x0
	s_wait_alu 0xfffe
	s_cmp_lt_u32 s2, s1
	s_cselect_b32 s2, 14, 20
	s_cmp_lt_u32 ttmp9, s0
	s_wait_alu 0xfffe
	s_add_nc_u64 s[4:5], s[8:9], s[2:3]
	s_cselect_b32 s2, 12, 18
	s_load_u16 s4, s[4:5], 0x0
	s_add_nc_u64 s[0:1], s[8:9], s[2:3]
	s_load_u16 s0, s[0:1], 0x0
	s_wait_kmcnt 0x0
	v_mad_u32_u24 v9, v15, s4, v9
	s_delay_alu instid0(VALU_DEP_1) | instskip(SKIP_1) | instid1(VALU_DEP_1)
	v_mad_co_u64_u32 v[17:18], null, v9, s0, v[14:15]
	v_mov_b32_e32 v9, 0
	v_dual_mov_b32 v16, v9 :: v_dual_lshlrev_b32 v15, 2, v17
	s_delay_alu instid0(VALU_DEP_1) | instskip(NEXT) | instid1(VALU_DEP_1)
	v_and_b32_e32 v15, 0xffffff80, v15
	v_or_b32_e32 v18, v15, v54
	v_add_co_u32 v0, vcc_lo, v0, v15
	s_wait_alu 0xfffd
	v_add_co_ci_u32_e64 v1, null, 0, v1, vcc_lo
	s_delay_alu instid0(VALU_DEP_3)
	v_cmp_lt_u32_e32 vcc_lo, v18, v86
	s_and_saveexec_b32 s0, vcc_lo
	s_cbranch_execz .LBB1640_83
; %bb.82:
	flat_load_u8 v49, v[0:1]
	v_mov_b32_e32 v50, 1
.LBB1640_83:
	s_wait_alu 0xfffe
	s_or_b32 exec_lo, exec_lo, s0
	v_or_b32_e32 v19, 32, v18
	v_mov_b32_e32 v51, v48
	s_delay_alu instid0(VALU_DEP_2)
	v_cmp_lt_u32_e64 s0, v19, v86
	s_and_saveexec_b32 s1, s0
	s_cbranch_execz .LBB1640_85
; %bb.84:
	flat_load_u8 v51, v[0:1] offset:32
.LBB1640_85:
	s_wait_alu 0xfffe
	s_or_b32 exec_lo, exec_lo, s1
	v_or_b32_e32 v19, 64, v18
	s_delay_alu instid0(VALU_DEP_1)
	v_cmp_lt_u32_e64 s1, v19, v86
	s_and_saveexec_b32 s2, s1
	s_cbranch_execz .LBB1640_87
; %bb.86:
	flat_load_u8 v48, v[0:1] offset:64
.LBB1640_87:
	s_wait_alu 0xfffe
	s_or_b32 exec_lo, exec_lo, s2
	v_or_b32_e32 v18, 0x60, v18
	s_delay_alu instid0(VALU_DEP_1)
	v_cmp_lt_u32_e64 s2, v18, v86
	s_and_saveexec_b32 s3, s2
	s_cbranch_execz .LBB1640_89
; %bb.88:
	flat_load_u8 v50, v[0:1] offset:96
.LBB1640_89:
	s_wait_alu 0xfffe
	s_or_b32 exec_lo, exec_lo, s3
	v_lshlrev_b64_e32 v[0:1], 3, v[8:9]
	v_lshlrev_b32_e32 v9, 3, v54
                                        ; implicit-def: $vgpr22_vgpr23
	s_delay_alu instid0(VALU_DEP_2) | instskip(SKIP_1) | instid1(VALU_DEP_3)
	v_add_co_u32 v18, s3, v4, v0
	s_wait_alu 0xf1ff
	v_add_co_ci_u32_e64 v19, null, v5, v1, s3
	v_lshlrev_b64_e32 v[4:5], 3, v[15:16]
	s_delay_alu instid0(VALU_DEP_3) | instskip(SKIP_1) | instid1(VALU_DEP_3)
	v_add_co_u32 v9, s3, v18, v9
	s_wait_alu 0xf1ff
	v_add_co_ci_u32_e64 v15, null, 0, v19, s3
	s_delay_alu instid0(VALU_DEP_2) | instskip(SKIP_1) | instid1(VALU_DEP_2)
	v_add_co_u32 v4, s3, v9, v4
	s_wait_alu 0xf1ff
	v_add_co_ci_u32_e64 v5, null, v15, v5, s3
	s_and_saveexec_b32 s3, vcc_lo
	s_cbranch_execnz .LBB1640_164
; %bb.90:
	s_wait_alu 0xfffe
	s_or_b32 exec_lo, exec_lo, s3
                                        ; implicit-def: $vgpr24_vgpr25
	s_and_saveexec_b32 s3, s0
	s_cbranch_execnz .LBB1640_165
.LBB1640_91:
	s_wait_alu 0xfffe
	s_or_b32 exec_lo, exec_lo, s3
                                        ; implicit-def: $vgpr26_vgpr27
	s_and_saveexec_b32 s0, s1
	s_cbranch_execnz .LBB1640_166
.LBB1640_92:
	s_wait_alu 0xfffe
	s_or_b32 exec_lo, exec_lo, s0
                                        ; implicit-def: $vgpr28_vgpr29
	s_and_saveexec_b32 s0, s2
	s_cbranch_execz .LBB1640_94
.LBB1640_93:
	flat_load_b64 v[28:29], v[4:5] offset:768
.LBB1640_94:
	s_wait_alu 0xfffe
	s_or_b32 exec_lo, exec_lo, s0
	v_lshl_add_u32 v4, v14, 5, v12
	v_and_b32_e32 v5, 0x3e0, v14
	v_sub_co_u32 v16, s2, v54, 1
	v_and_b32_e32 v15, 15, v54
	s_delay_alu instid0(VALU_DEP_4)
	v_add_nc_u32_e32 v9, 32, v4
	v_add_nc_u32_e32 v52, 36, v4
	;; [unrolled: 1-line block ×8, first 2 shown]
	v_min_u32_e32 v4, 0xe0, v5
	v_and_b32_e32 v5, 16, v54
	v_cmp_gt_i32_e64 s6, 0, v16
	s_getpc_b64 s[0:1]
	s_wait_alu 0xfffe
	s_sext_i32_i16 s1, s1
	s_add_co_u32 s0, s0, _ZN7rocprim17ROCPRIM_400000_NS16block_radix_sortIbLj256ELj4ElLj1ELj1ELj8ELNS0_26block_radix_rank_algorithmE2ELNS0_18block_padding_hintE2ELNS0_4arch9wavefront6targetE0EE19radix_bits_per_passE@rel32@lo+12
	s_wait_alu 0xfffe
	s_add_co_ci_u32 s1, s1, _ZN7rocprim17ROCPRIM_400000_NS16block_radix_sortIbLj256ELj4ElLj1ELj1ELj8ELNS0_26block_radix_rank_algorithmE2ELNS0_18block_padding_hintE2ELNS0_4arch9wavefront6targetE0EE19radix_bits_per_passE@rel32@hi+24
	v_cmp_eq_u32_e32 vcc_lo, 0, v15
	s_load_b32 s18, s[0:1], 0x0
	v_cmp_lt_u32_e64 s0, 1, v15
	v_cmp_lt_u32_e64 s1, 3, v15
	v_or_b32_e32 v4, 31, v4
	v_cmp_lt_u32_e64 s3, 7, v15
	v_cmp_eq_u32_e64 s4, 0, v5
	v_cndmask_b32_e64 v5, v16, v54, s6
	v_lshlrev_b32_e32 v15, 2, v14
	v_cmp_eq_u32_e64 s5, v14, v4
	v_lshrrev_b32_e32 v4, 3, v14
	v_lshrrev_b32_e32 v68, 5, v17
	v_lshlrev_b32_e32 v69, 2, v5
	v_and_or_b32 v5, 0xf80, v15, v54
	v_cmp_gt_u32_e64 s6, 8, v14
	v_and_b32_e32 v4, 0x7c, v4
	v_cmp_lt_u32_e64 s7, 31, v14
	v_cmp_eq_u32_e64 s10, 0, v14
	v_add_nc_u32_e32 v71, v12, v5
	v_mul_u32_u24_e32 v5, 7, v5
	v_add_nc_u32_e32 v70, v12, v4
	v_and_b32_e32 v4, 7, v54
	v_mov_b32_e32 v54, 0
	v_add_nc_u32_e32 v80, v12, v15
	v_add_nc_u32_e32 v81, v71, v5
	v_add_nc_u32_e32 v82, -4, v70
	v_cmp_eq_u32_e64 s11, 0, v4
	v_cmp_lt_u32_e64 s12, 1, v4
	v_cmp_lt_u32_e64 s13, 3, v4
	v_add_nc_u32_e32 v83, 32, v71
	v_add_nc_u32_e32 v84, 64, v71
	;; [unrolled: 1-line block ×6, first 2 shown]
	v_sub_nc_u32_e32 v98, v11, v10
	s_mov_b32 s19, 0
	s_wait_storecnt 0x0
	s_wait_loadcnt_dscnt 0x0
	s_barrier_signal -1
	s_barrier_wait -1
	global_inv scope:SCOPE_SE
	s_branch .LBB1640_96
.LBB1640_95:                            ;   in Loop: Header=BB1640_96 Depth=1
	s_wait_alu 0xfffe
	s_or_b32 exec_lo, exec_lo, s15
	s_delay_alu instid0(SALU_CYCLE_1)
	s_and_b32 s14, exec_lo, s20
	s_wait_alu 0xfffe
	s_or_b32 s19, s14, s19
	s_wait_alu 0xfffe
	s_and_not1_b32 exec_lo, exec_lo, s19
	s_cbranch_execz .LBB1640_126
.LBB1640_96:                            ; =>This Inner Loop Header: Depth=1
	s_wait_kmcnt 0x0
	v_min_u32_e32 v4, s18, v98
	v_dual_mov_b32 v18, v22 :: v_dual_and_b32 v5, 0xff, v49
	v_mov_b32_e32 v19, v23
	v_mov_b32_e32 v15, v24
	s_delay_alu instid0(VALU_DEP_4) | instskip(NEXT) | instid1(VALU_DEP_4)
	v_lshlrev_b32_e64 v4, v4, -1
	v_lshrrev_b32_e32 v5, v10, v5
	v_mov_b32_e32 v16, v25
	ds_store_b32 v9, v54
	ds_store_b32 v52, v54
	;; [unrolled: 1-line block ×5, first 2 shown]
	v_not_b32_e32 v30, v4
	ds_store_b32 v65, v54
	ds_store_b32 v66, v54
	;; [unrolled: 1-line block ×3, first 2 shown]
	s_wait_loadcnt_dscnt 0x0
	s_barrier_signal -1
	v_dual_mov_b32 v4, v26 :: v_dual_and_b32 v31, v5, v30
	s_barrier_wait -1
	global_inv scope:SCOPE_SE
	v_add_co_u32 v32, s14, v31, -1
	s_wait_alu 0xf1ff
	v_cndmask_b32_e64 v20, 0, 1, s14
	v_lshlrev_b32_e32 v23, 3, v31
	; wave barrier
	s_delay_alu instid0(VALU_DEP_2) | instskip(NEXT) | instid1(VALU_DEP_2)
	v_cmp_ne_u32_e64 s14, 0, v20
	v_add_lshl_u32 v23, v23, v68, 2
	v_dual_mov_b32 v20, v28 :: v_dual_mov_b32 v21, v29
	s_wait_alu 0xf1ff
	s_delay_alu instid0(VALU_DEP_3) | instskip(SKIP_2) | instid1(VALU_DEP_3)
	v_xor_b32_e32 v22, s14, v32
	v_mov_b32_e32 v5, v27
	v_add_co_u32 v23, null, v12, v23
	v_and_b32_e32 v24, exec_lo, v22
	s_delay_alu instid0(VALU_DEP_2) | instskip(NEXT) | instid1(VALU_DEP_2)
	v_add_co_u32 v23, null, v23, 32
	v_mbcnt_lo_u32_b32 v22, v24, 0
	v_cmp_ne_u32_e64 s15, 0, v24
	s_delay_alu instid0(VALU_DEP_2)
	v_cmp_eq_u32_e64 s14, 0, v22
	s_and_b32 s15, s15, s14
	s_wait_alu 0xfffe
	s_and_saveexec_b32 s14, s15
; %bb.97:                               ;   in Loop: Header=BB1640_96 Depth=1
	v_bcnt_u32_b32 v24, v24, 0
	ds_store_b32 v23, v24
; %bb.98:                               ;   in Loop: Header=BB1640_96 Depth=1
	s_wait_alu 0xfffe
	s_or_b32 exec_lo, exec_lo, s14
	v_and_b32_e32 v24, 0xff, v51
	; wave barrier
	s_delay_alu instid0(VALU_DEP_1) | instskip(NEXT) | instid1(VALU_DEP_1)
	v_lshrrev_b32_e32 v24, v10, v24
	v_and_b32_e32 v24, v24, v30
	s_delay_alu instid0(VALU_DEP_1) | instskip(SKIP_3) | instid1(VALU_DEP_2)
	v_add_co_u32 v25, s14, v24, -1
	s_wait_alu 0xf1ff
	v_cndmask_b32_e64 v26, 0, 1, s14
	v_lshl_add_u32 v24, v24, 3, v68
	v_cmp_ne_u32_e64 s14, 0, v26
	s_delay_alu instid0(VALU_DEP_2) | instskip(SKIP_1) | instid1(VALU_DEP_2)
	v_lshl_add_u32 v26, v24, 2, v12
	s_wait_alu 0xf1ff
	v_xor_b32_e32 v25, s14, v25
	ds_load_b32 v24, v26 offset:32
	v_add_nc_u32_e32 v26, 32, v26
	; wave barrier
	v_and_b32_e32 v27, exec_lo, v25
	s_delay_alu instid0(VALU_DEP_1) | instskip(SKIP_1) | instid1(VALU_DEP_2)
	v_mbcnt_lo_u32_b32 v25, v27, 0
	v_cmp_ne_u32_e64 s15, 0, v27
	v_cmp_eq_u32_e64 s14, 0, v25
	s_and_b32 s15, s15, s14
	s_wait_alu 0xfffe
	s_and_saveexec_b32 s14, s15
	s_cbranch_execz .LBB1640_100
; %bb.99:                               ;   in Loop: Header=BB1640_96 Depth=1
	s_wait_dscnt 0x0
	v_bcnt_u32_b32 v27, v27, v24
	ds_store_b32 v26, v27
.LBB1640_100:                           ;   in Loop: Header=BB1640_96 Depth=1
	s_wait_alu 0xfffe
	s_or_b32 exec_lo, exec_lo, s14
	v_and_b32_e32 v27, 0xff, v48
	; wave barrier
	s_delay_alu instid0(VALU_DEP_1) | instskip(NEXT) | instid1(VALU_DEP_1)
	v_lshrrev_b32_e32 v27, v10, v27
	v_and_b32_e32 v27, v27, v30
	s_delay_alu instid0(VALU_DEP_1) | instskip(SKIP_3) | instid1(VALU_DEP_2)
	v_add_co_u32 v28, s14, v27, -1
	s_wait_alu 0xf1ff
	v_cndmask_b32_e64 v29, 0, 1, s14
	v_lshl_add_u32 v27, v27, 3, v68
	v_cmp_ne_u32_e64 s14, 0, v29
	s_delay_alu instid0(VALU_DEP_2) | instskip(SKIP_1) | instid1(VALU_DEP_2)
	v_lshl_add_u32 v29, v27, 2, v12
	s_wait_alu 0xf1ff
	v_xor_b32_e32 v28, s14, v28
	ds_load_b32 v27, v29 offset:32
	v_add_nc_u32_e32 v29, 32, v29
	; wave barrier
	v_and_b32_e32 v31, exec_lo, v28
	s_delay_alu instid0(VALU_DEP_1) | instskip(SKIP_1) | instid1(VALU_DEP_2)
	v_mbcnt_lo_u32_b32 v28, v31, 0
	v_cmp_ne_u32_e64 s15, 0, v31
	v_cmp_eq_u32_e64 s14, 0, v28
	s_and_b32 s15, s15, s14
	s_wait_alu 0xfffe
	s_and_saveexec_b32 s14, s15
	s_cbranch_execz .LBB1640_102
; %bb.101:                              ;   in Loop: Header=BB1640_96 Depth=1
	s_wait_dscnt 0x0
	v_bcnt_u32_b32 v31, v31, v27
	ds_store_b32 v29, v31
.LBB1640_102:                           ;   in Loop: Header=BB1640_96 Depth=1
	s_wait_alu 0xfffe
	s_or_b32 exec_lo, exec_lo, s14
	v_and_b32_e32 v31, 0xff, v50
	; wave barrier
	s_delay_alu instid0(VALU_DEP_1) | instskip(NEXT) | instid1(VALU_DEP_1)
	v_lshrrev_b32_e32 v31, v10, v31
	v_and_b32_e32 v30, v31, v30
	s_delay_alu instid0(VALU_DEP_1) | instskip(SKIP_3) | instid1(VALU_DEP_2)
	v_add_co_u32 v31, s14, v30, -1
	s_wait_alu 0xf1ff
	v_cndmask_b32_e64 v32, 0, 1, s14
	v_lshl_add_u32 v30, v30, 3, v68
	v_cmp_ne_u32_e64 s14, 0, v32
	s_delay_alu instid0(VALU_DEP_2) | instskip(SKIP_1) | instid1(VALU_DEP_2)
	v_lshl_add_u32 v32, v30, 2, v12
	s_wait_alu 0xf1ff
	v_xor_b32_e32 v31, s14, v31
	ds_load_b32 v30, v32 offset:32
	v_add_nc_u32_e32 v32, 32, v32
	; wave barrier
	v_and_b32_e32 v33, exec_lo, v31
	s_delay_alu instid0(VALU_DEP_1) | instskip(SKIP_1) | instid1(VALU_DEP_2)
	v_mbcnt_lo_u32_b32 v31, v33, 0
	v_cmp_ne_u32_e64 s15, 0, v33
	v_cmp_eq_u32_e64 s14, 0, v31
	s_and_b32 s15, s15, s14
	s_wait_alu 0xfffe
	s_and_saveexec_b32 s14, s15
	s_cbranch_execz .LBB1640_104
; %bb.103:                              ;   in Loop: Header=BB1640_96 Depth=1
	s_wait_dscnt 0x0
	v_bcnt_u32_b32 v33, v33, v30
	ds_store_b32 v32, v33
.LBB1640_104:                           ;   in Loop: Header=BB1640_96 Depth=1
	s_wait_alu 0xfffe
	s_or_b32 exec_lo, exec_lo, s14
	; wave barrier
	s_wait_loadcnt_dscnt 0x0
	s_barrier_signal -1
	s_barrier_wait -1
	global_inv scope:SCOPE_SE
	ds_load_b32 v34, v9
	ds_load_b32 v35, v52
	;; [unrolled: 1-line block ×8, first 2 shown]
	s_wait_dscnt 0x6
	v_add_nc_u32_e32 v100, v35, v34
	s_wait_dscnt 0x4
	s_delay_alu instid0(VALU_DEP_1) | instskip(SKIP_1) | instid1(VALU_DEP_1)
	v_add3_u32 v100, v100, v36, v37
	s_wait_dscnt 0x2
	v_add3_u32 v100, v100, v38, v39
	s_wait_dscnt 0x0
	s_delay_alu instid0(VALU_DEP_1) | instskip(NEXT) | instid1(VALU_DEP_1)
	v_add3_u32 v99, v100, v33, v99
	v_mov_b32_dpp v100, v99 row_shr:1 row_mask:0xf bank_mask:0xf
	s_delay_alu instid0(VALU_DEP_1) | instskip(NEXT) | instid1(VALU_DEP_1)
	v_cndmask_b32_e64 v100, v100, 0, vcc_lo
	v_add_nc_u32_e32 v99, v100, v99
	s_delay_alu instid0(VALU_DEP_1) | instskip(NEXT) | instid1(VALU_DEP_1)
	v_mov_b32_dpp v100, v99 row_shr:2 row_mask:0xf bank_mask:0xf
	v_cndmask_b32_e64 v100, 0, v100, s0
	s_delay_alu instid0(VALU_DEP_1) | instskip(NEXT) | instid1(VALU_DEP_1)
	v_add_nc_u32_e32 v99, v99, v100
	v_mov_b32_dpp v100, v99 row_shr:4 row_mask:0xf bank_mask:0xf
	s_delay_alu instid0(VALU_DEP_1) | instskip(NEXT) | instid1(VALU_DEP_1)
	v_cndmask_b32_e64 v100, 0, v100, s1
	v_add_nc_u32_e32 v99, v99, v100
	s_delay_alu instid0(VALU_DEP_1) | instskip(NEXT) | instid1(VALU_DEP_1)
	v_mov_b32_dpp v100, v99 row_shr:8 row_mask:0xf bank_mask:0xf
	v_cndmask_b32_e64 v100, 0, v100, s3
	s_delay_alu instid0(VALU_DEP_1) | instskip(SKIP_3) | instid1(VALU_DEP_1)
	v_add_nc_u32_e32 v99, v99, v100
	ds_swizzle_b32 v100, v99 offset:swizzle(BROADCAST,32,15)
	s_wait_dscnt 0x0
	v_cndmask_b32_e64 v100, v100, 0, s4
	v_add_nc_u32_e32 v99, v99, v100
	s_and_saveexec_b32 s14, s5
; %bb.105:                              ;   in Loop: Header=BB1640_96 Depth=1
	ds_store_b32 v70, v99
; %bb.106:                              ;   in Loop: Header=BB1640_96 Depth=1
	s_wait_alu 0xfffe
	s_or_b32 exec_lo, exec_lo, s14
	s_wait_loadcnt_dscnt 0x0
	s_barrier_signal -1
	s_barrier_wait -1
	global_inv scope:SCOPE_SE
	s_and_saveexec_b32 s14, s6
	s_cbranch_execz .LBB1640_108
; %bb.107:                              ;   in Loop: Header=BB1640_96 Depth=1
	ds_load_b32 v100, v80
	s_wait_dscnt 0x0
	v_mov_b32_dpp v101, v100 row_shr:1 row_mask:0xf bank_mask:0xf
	s_delay_alu instid0(VALU_DEP_1) | instskip(NEXT) | instid1(VALU_DEP_1)
	v_cndmask_b32_e64 v101, v101, 0, s11
	v_add_nc_u32_e32 v100, v101, v100
	s_delay_alu instid0(VALU_DEP_1) | instskip(NEXT) | instid1(VALU_DEP_1)
	v_mov_b32_dpp v101, v100 row_shr:2 row_mask:0xf bank_mask:0xf
	v_cndmask_b32_e64 v101, 0, v101, s12
	s_delay_alu instid0(VALU_DEP_1) | instskip(NEXT) | instid1(VALU_DEP_1)
	v_add_nc_u32_e32 v100, v100, v101
	v_mov_b32_dpp v101, v100 row_shr:4 row_mask:0xf bank_mask:0xf
	s_delay_alu instid0(VALU_DEP_1) | instskip(NEXT) | instid1(VALU_DEP_1)
	v_cndmask_b32_e64 v101, 0, v101, s13
	v_add_nc_u32_e32 v100, v100, v101
	ds_store_b32 v80, v100
.LBB1640_108:                           ;   in Loop: Header=BB1640_96 Depth=1
	s_wait_alu 0xfffe
	s_or_b32 exec_lo, exec_lo, s14
	v_mov_b32_e32 v100, 0
	s_wait_loadcnt_dscnt 0x0
	s_barrier_signal -1
	s_barrier_wait -1
	global_inv scope:SCOPE_SE
	s_and_saveexec_b32 s14, s7
; %bb.109:                              ;   in Loop: Header=BB1640_96 Depth=1
	ds_load_b32 v100, v82
; %bb.110:                              ;   in Loop: Header=BB1640_96 Depth=1
	s_wait_alu 0xfffe
	s_or_b32 exec_lo, exec_lo, s14
	s_wait_dscnt 0x0
	v_dual_mov_b32 v102, v49 :: v_dual_add_nc_u32 v99, v100, v99
	v_add_nc_u32_e32 v10, 8, v10
	s_mov_b32 s20, -1
	v_mov_b32_e32 v113, v50
	ds_bpermute_b32 v99, v69, v99
	v_dual_mov_b32 v112, v48 :: v_dual_mov_b32 v103, v51
	s_wait_dscnt 0x0
	v_cndmask_b32_e64 v99, v99, v100, s2
	s_delay_alu instid0(VALU_DEP_1) | instskip(NEXT) | instid1(VALU_DEP_1)
	v_cndmask_b32_e64 v99, v99, 0, s10
	v_add_nc_u32_e32 v34, v99, v34
	s_delay_alu instid0(VALU_DEP_1) | instskip(SKIP_4) | instid1(VALU_DEP_1)
	v_add_nc_u32_e32 v35, v34, v35
	ds_store_b32 v9, v99
	ds_store_b32 v52, v34
	;; [unrolled: 1-line block ×3, first 2 shown]
	v_add_nc_u32_e32 v36, v35, v36
	v_add_nc_u32_e32 v37, v36, v37
	s_delay_alu instid0(VALU_DEP_1) | instskip(NEXT) | instid1(VALU_DEP_1)
	v_add_nc_u32_e32 v38, v37, v38
	v_add_nc_u32_e32 v39, v38, v39
	s_delay_alu instid0(VALU_DEP_1)
	v_add_nc_u32_e32 v33, v39, v33
	ds_store_b32 v55, v36
	ds_store_b32 v64, v37
	;; [unrolled: 1-line block ×5, first 2 shown]
	s_wait_loadcnt_dscnt 0x0
	s_barrier_signal -1
	s_barrier_wait -1
	global_inv scope:SCOPE_SE
	ds_load_b32 v23, v23
	ds_load_b32 v26, v26
	;; [unrolled: 1-line block ×4, first 2 shown]
	s_wait_loadcnt_dscnt 0x0
	v_add_nc_u32_e32 v22, v23, v22
	v_add3_u32 v101, v25, v24, v26
	v_add3_u32 v100, v28, v27, v29
	;; [unrolled: 1-line block ×3, first 2 shown]
                                        ; implicit-def: $vgpr24_vgpr25
                                        ; implicit-def: $vgpr26_vgpr27
                                        ; implicit-def: $vgpr28_vgpr29
	s_delay_alu instid0(VALU_DEP_4)
	v_add_co_u32 v38, s15, v12, v22
	s_wait_alu 0xf1ff
	v_add_co_ci_u32_e64 v39, null, 0, v13, s15
	v_add_co_u32 v30, s15, v12, v101
	s_wait_alu 0xf1ff
	v_add_co_ci_u32_e64 v31, null, 0, v13, s15
	v_add_co_u32 v34, s15, v12, v100
	v_mad_co_u64_u32 v[32:33], null, v22, 7, v[38:39]
	s_wait_alu 0xf1ff
	v_add_co_ci_u32_e64 v35, null, 0, v13, s15
	v_add_co_u32 v36, s15, v12, v99
	s_wait_alu 0xf1ff
	v_add_co_ci_u32_e64 v37, null, 0, v13, s15
	s_mov_b32 s15, exec_lo
                                        ; implicit-def: $vgpr22_vgpr23
	v_cmpx_lt_u32_e64 v10, v11
	s_cbranch_execz .LBB1640_95
; %bb.111:                              ;   in Loop: Header=BB1640_96 Depth=1
	v_mad_co_u64_u32 v[22:23], null, v101, 7, v[30:31]
	v_mad_co_u64_u32 v[23:24], null, v100, 7, v[34:35]
	;; [unrolled: 1-line block ×3, first 2 shown]
	s_barrier_signal -1
	s_barrier_wait -1
	global_inv scope:SCOPE_SE
	ds_store_b8 v38, v49
	ds_store_b8 v30, v51
	;; [unrolled: 1-line block ×4, first 2 shown]
	s_wait_loadcnt_dscnt 0x0
	s_barrier_signal -1
	s_barrier_wait -1
	global_inv scope:SCOPE_SE
	ds_load_u8 v50, v85
	ds_load_u8 v48, v84
	;; [unrolled: 1-line block ×4, first 2 shown]
	s_wait_loadcnt_dscnt 0x0
	s_barrier_signal -1
	s_barrier_wait -1
	global_inv scope:SCOPE_SE
	ds_store_b64 v32, v[18:19]
	ds_store_b64 v22, v[15:16]
	;; [unrolled: 1-line block ×4, first 2 shown]
	s_wait_loadcnt_dscnt 0x0
	s_barrier_signal -1
	s_barrier_wait -1
	global_inv scope:SCOPE_SE
	ds_load_b64 v[22:23], v81
	ds_load_b64 v[24:25], v87
	;; [unrolled: 1-line block ×4, first 2 shown]
	v_add_nc_u32_e32 v98, -8, v98
	s_xor_b32 s20, exec_lo, -1
	s_wait_loadcnt_dscnt 0x0
	s_barrier_signal -1
	s_barrier_wait -1
	global_inv scope:SCOPE_SE
	s_branch .LBB1640_95
.LBB1640_112:
	flat_load_b64 v[30:31], v[4:5]
	s_wait_alu 0xfffe
	s_or_b32 exec_lo, exec_lo, s7
                                        ; implicit-def: $vgpr32_vgpr33
	s_and_saveexec_b32 s7, s0
	s_cbranch_execz .LBB1640_20
.LBB1640_113:
	flat_load_b64 v[32:33], v[4:5] offset:256
	s_wait_alu 0xfffe
	s_or_b32 exec_lo, exec_lo, s7
                                        ; implicit-def: $vgpr34_vgpr35
	s_and_saveexec_b32 s0, s1
	s_cbranch_execz .LBB1640_21
.LBB1640_114:
	flat_load_b64 v[34:35], v[4:5] offset:512
	s_wait_alu 0xfffe
	s_or_b32 exec_lo, exec_lo, s0
                                        ; implicit-def: $vgpr36_vgpr37
	s_and_saveexec_b32 s0, s2
	s_cbranch_execz .LBB1640_22
.LBB1640_115:
	flat_load_b64 v[36:37], v[4:5] offset:768
	s_wait_alu 0xfffe
	s_or_b32 exec_lo, exec_lo, s0
                                        ; implicit-def: $vgpr38_vgpr39
	s_and_saveexec_b32 s0, s3
	s_cbranch_execz .LBB1640_23
.LBB1640_116:
	flat_load_b64 v[38:39], v[4:5] offset:1024
	s_wait_alu 0xfffe
	s_or_b32 exec_lo, exec_lo, s0
                                        ; implicit-def: $vgpr48_vgpr49
	s_and_saveexec_b32 s0, s4
	s_cbranch_execz .LBB1640_24
.LBB1640_117:
	flat_load_b64 v[48:49], v[4:5] offset:1280
	s_wait_alu 0xfffe
	s_or_b32 exec_lo, exec_lo, s0
                                        ; implicit-def: $vgpr50_vgpr51
	s_and_saveexec_b32 s0, s5
	s_cbranch_execz .LBB1640_25
.LBB1640_118:
	flat_load_b64 v[50:51], v[4:5] offset:1536
	s_wait_alu 0xfffe
	s_or_b32 exec_lo, exec_lo, s0
                                        ; implicit-def: $vgpr52_vgpr53
	s_and_saveexec_b32 s0, s6
	s_cbranch_execnz .LBB1640_26
	s_branch .LBB1640_27
.LBB1640_119:
	flat_store_b64 v[0:1], v[21:22]
	s_wait_alu 0xfffe
	s_or_b32 exec_lo, exec_lo, s7
	s_and_saveexec_b32 s7, s0
	s_cbranch_execz .LBB1640_71
.LBB1640_120:
	flat_store_b64 v[0:1], v[23:24] offset:2048
	s_wait_alu 0xfffe
	s_or_b32 exec_lo, exec_lo, s7
	s_and_saveexec_b32 s0, s1
	s_cbranch_execz .LBB1640_72
.LBB1640_121:
	flat_store_b64 v[0:1], v[17:18] offset:4096
	s_wait_alu 0xfffe
	s_or_b32 exec_lo, exec_lo, s0
	s_and_saveexec_b32 s0, s2
	s_cbranch_execz .LBB1640_73
.LBB1640_122:
	flat_store_b64 v[0:1], v[19:20] offset:6144
	s_wait_alu 0xfffe
	s_or_b32 exec_lo, exec_lo, s0
	s_and_saveexec_b32 s0, s3
	s_cbranch_execz .LBB1640_74
.LBB1640_123:
	flat_store_b64 v[0:1], v[13:14] offset:8192
	s_wait_alu 0xfffe
	s_or_b32 exec_lo, exec_lo, s0
	s_and_saveexec_b32 s0, s4
	s_cbranch_execz .LBB1640_75
.LBB1640_124:
	flat_store_b64 v[0:1], v[15:16] offset:10240
	s_wait_alu 0xfffe
	s_or_b32 exec_lo, exec_lo, s0
	s_and_saveexec_b32 s0, s5
	s_cbranch_execz .LBB1640_76
.LBB1640_125:
	flat_store_b64 v[0:1], v[9:10] offset:12288
	s_wait_alu 0xfffe
	s_or_b32 exec_lo, exec_lo, s0
	s_and_saveexec_b32 s0, s6
	s_cbranch_execnz .LBB1640_77
	s_branch .LBB1640_78
.LBB1640_126:
	s_or_b32 exec_lo, exec_lo, s19
	v_mad_co_u64_u32 v[9:10], null, v101, 7, v[30:31]
	v_mad_co_u64_u32 v[10:11], null, v100, 7, v[34:35]
	v_add_nc_u32_e32 v13, v12, v14
	v_mad_co_u64_u32 v[11:12], null, v99, 7, v[36:37]
	v_mul_u32_u24_e32 v12, 7, v14
	s_barrier_signal -1
	s_barrier_wait -1
	s_wait_loadcnt 0x0
	global_inv scope:SCOPE_SE
	ds_store_b8 v38, v102
	ds_store_b8 v30, v103
	;; [unrolled: 1-line block ×4, first 2 shown]
	s_wait_loadcnt_dscnt 0x0
	s_barrier_signal -1
	s_barrier_wait -1
	global_inv scope:SCOPE_SE
	ds_load_u8 v25, v13
	ds_load_u8 v24, v13 offset:256
	ds_load_u8 v23, v13 offset:512
	;; [unrolled: 1-line block ×3, first 2 shown]
	s_wait_loadcnt_dscnt 0x0
	s_barrier_signal -1
	s_barrier_wait -1
	global_inv scope:SCOPE_SE
	ds_store_b64 v32, v[18:19]
	ds_store_b64 v9, v[15:16]
	;; [unrolled: 1-line block ×4, first 2 shown]
	v_mov_b32_e32 v18, 0
	v_add_nc_u32_e32 v4, v13, v12
	s_wait_loadcnt_dscnt 0x0
	s_barrier_signal -1
	s_barrier_wait -1
	global_inv scope:SCOPE_SE
	ds_load_2addr_stride64_b64 v[13:16], v4 offset1:4
	ds_load_2addr_stride64_b64 v[9:12], v4 offset0:8 offset1:12
	v_add_co_u32 v2, vcc_lo, v2, v8
	s_wait_alu 0xfffd
	v_add_co_ci_u32_e64 v3, null, 0, v3, vcc_lo
	s_wait_loadcnt_dscnt 0x0
	s_delay_alu instid0(VALU_DEP_2) | instskip(SKIP_1) | instid1(VALU_DEP_2)
	v_add_co_u32 v2, vcc_lo, v2, v17
	s_wait_alu 0xfffd
	v_add_co_ci_u32_e64 v3, null, 0, v3, vcc_lo
	v_cmp_lt_u32_e32 vcc_lo, v17, v86
	s_barrier_signal -1
	s_barrier_wait -1
	global_inv scope:SCOPE_SE
	s_and_saveexec_b32 s0, vcc_lo
	s_cbranch_execz .LBB1640_128
; %bb.127:
	flat_store_b8 v[2:3], v25
.LBB1640_128:
	s_wait_alu 0xfffe
	s_or_b32 exec_lo, exec_lo, s0
	v_add_nc_u32_e32 v4, 0x100, v17
	s_delay_alu instid0(VALU_DEP_1)
	v_cmp_lt_u32_e64 s0, v4, v86
	s_and_saveexec_b32 s1, s0
	s_cbranch_execz .LBB1640_130
; %bb.129:
	flat_store_b8 v[2:3], v24 offset:256
.LBB1640_130:
	s_wait_alu 0xfffe
	s_or_b32 exec_lo, exec_lo, s1
	v_add_nc_u32_e32 v4, 0x200, v17
	s_delay_alu instid0(VALU_DEP_1)
	v_cmp_lt_u32_e64 s1, v4, v86
	s_and_saveexec_b32 s2, s1
	s_cbranch_execz .LBB1640_132
; %bb.131:
	flat_store_b8 v[2:3], v23 offset:512
.LBB1640_132:
	;; [unrolled: 10-line block ×3, first 2 shown]
	s_wait_alu 0xfffe
	s_or_b32 exec_lo, exec_lo, s3
	v_lshlrev_b64_e32 v[2:3], 3, v[17:18]
	v_add_co_u32 v0, s3, v6, v0
	s_wait_alu 0xf1ff
	v_add_co_ci_u32_e64 v1, null, v7, v1, s3
	s_delay_alu instid0(VALU_DEP_2) | instskip(SKIP_1) | instid1(VALU_DEP_2)
	v_add_co_u32 v0, s3, v0, v2
	s_wait_alu 0xf1ff
	v_add_co_ci_u32_e64 v1, null, v1, v3, s3
	s_and_saveexec_b32 s3, vcc_lo
	s_cbranch_execnz .LBB1640_167
; %bb.135:
	s_wait_alu 0xfffe
	s_or_b32 exec_lo, exec_lo, s3
	s_and_saveexec_b32 s3, s0
	s_cbranch_execnz .LBB1640_168
.LBB1640_136:
	s_wait_alu 0xfffe
	s_or_b32 exec_lo, exec_lo, s3
	s_and_saveexec_b32 s0, s1
	s_cbranch_execnz .LBB1640_169
.LBB1640_137:
	s_wait_alu 0xfffe
	s_or_b32 exec_lo, exec_lo, s0
	s_and_saveexec_b32 s0, s2
	s_cbranch_execz .LBB1640_139
.LBB1640_138:
	flat_store_b64 v[0:1], v[11:12] offset:6144
.LBB1640_139:
	s_wait_alu 0xfffe
	s_or_b32 exec_lo, exec_lo, s0
                                        ; implicit-def: $vgpr86
                                        ; implicit-def: $vgpr0
                                        ; implicit-def: $vgpr1
                                        ; implicit-def: $vgpr2
                                        ; implicit-def: $vgpr3
                                        ; implicit-def: $vgpr4
                                        ; implicit-def: $vgpr5
                                        ; implicit-def: $vgpr6
                                        ; implicit-def: $vgpr7
                                        ; implicit-def: $vgpr8
                                        ; implicit-def: $vgpr10
                                        ; implicit-def: $vgpr11
                                        ; implicit-def: $vgpr12
                                        ; implicit-def: $vgpr13
                                        ; implicit-def: $vgpr9
                                        ; implicit-def: $vgpr15
                                        ; implicit-def: $vgpr14
                                        ; implicit-def: $vgpr54
.LBB1640_140:
	s_wait_alu 0xfffe
	s_and_not1_saveexec_b32 s0, s17
	s_cbranch_execz .LBB1640_199
; %bb.141:
	s_load_b64 s[0:1], s[8:9], 0x0
	s_and_b32 s2, ttmp7, 0xffff
	s_mov_b32 s3, 0
	s_wait_kmcnt 0x0
	s_wait_alu 0xfffe
	s_cmp_lt_u32 s2, s1
	s_cselect_b32 s2, 14, 20
	s_cmp_lt_u32 ttmp9, s0
	s_wait_alu 0xfffe
	s_add_nc_u64 s[4:5], s[8:9], s[2:3]
	s_cselect_b32 s2, 12, 18
	s_load_u16 s4, s[4:5], 0x0
	s_add_nc_u64 s[0:1], s[8:9], s[2:3]
	s_load_u16 s0, s[0:1], 0x0
	s_wait_kmcnt 0x0
	v_mad_u32_u24 v9, v15, s4, v9
	s_delay_alu instid0(VALU_DEP_1)
	v_mad_co_u64_u32 v[15:16], null, v9, s0, v[14:15]
	v_mov_b32_e32 v9, 0
	s_mov_b32 s0, exec_lo
	v_cmpx_lt_u32_e32 0x100, v86
	s_wait_alu 0xfffe
	s_xor_b32 s14, exec_lo, s0
	s_cbranch_execz .LBB1640_179
; %bb.142:
	s_delay_alu instid0(VALU_DEP_3) | instskip(SKIP_3) | instid1(VALU_DEP_3)
	v_dual_mov_b32 v17, v9 :: v_dual_lshlrev_b32 v16, 1, v15
	v_add_co_u32 v0, vcc_lo, v0, v8
	s_wait_alu 0xfffd
	v_add_co_ci_u32_e64 v1, null, 0, v1, vcc_lo
	v_dual_mov_b32 v29, 1 :: v_dual_and_b32 v16, 0xffffffc0, v16
	s_delay_alu instid0(VALU_DEP_3) | instskip(SKIP_1) | instid1(VALU_DEP_3)
	v_add_co_u32 v0, vcc_lo, v0, v54
	s_wait_alu 0xfffd
	v_add_co_ci_u32_e64 v1, null, 0, v1, vcc_lo
	s_delay_alu instid0(VALU_DEP_3) | instskip(NEXT) | instid1(VALU_DEP_3)
	v_or_b32_e32 v18, v54, v16
	v_add_co_u32 v0, vcc_lo, v0, v16
	s_wait_alu 0xfffd
	s_delay_alu instid0(VALU_DEP_3) | instskip(NEXT) | instid1(VALU_DEP_3)
	v_add_co_ci_u32_e64 v1, null, 0, v1, vcc_lo
	v_cmp_lt_u32_e32 vcc_lo, v18, v86
	v_mov_b32_e32 v30, 1
	s_and_saveexec_b32 s0, vcc_lo
	s_cbranch_execz .LBB1640_144
; %bb.143:
	flat_load_u8 v30, v[0:1]
.LBB1640_144:
	s_wait_alu 0xfffe
	s_or_b32 exec_lo, exec_lo, s0
	v_or_b32_e32 v18, 32, v18
	s_delay_alu instid0(VALU_DEP_1)
	v_cmp_lt_u32_e64 s0, v18, v86
	s_and_saveexec_b32 s1, s0
	s_cbranch_execz .LBB1640_146
; %bb.145:
	flat_load_u8 v29, v[0:1] offset:32
.LBB1640_146:
	s_wait_alu 0xfffe
	s_or_b32 exec_lo, exec_lo, s1
	v_lshlrev_b64_e32 v[0:1], 3, v[8:9]
	v_dual_mov_b32 v18, 0 :: v_dual_lshlrev_b32 v9, 3, v54
	v_lshlrev_b64_e32 v[16:17], 3, v[16:17]
	v_dual_mov_b32 v19, 0 :: v_dual_mov_b32 v20, 0
	s_delay_alu instid0(VALU_DEP_4) | instskip(SKIP_3) | instid1(VALU_DEP_3)
	v_add_co_u32 v4, s1, v4, v0
	s_wait_alu 0xf1ff
	v_add_co_ci_u32_e64 v5, null, v5, v1, s1
	v_mov_b32_e32 v21, 0
	v_add_co_u32 v4, s1, v4, v9
	s_wait_alu 0xf1ff
	s_delay_alu instid0(VALU_DEP_3) | instskip(NEXT) | instid1(VALU_DEP_2)
	v_add_co_ci_u32_e64 v5, null, 0, v5, s1
	v_add_co_u32 v4, s1, v4, v16
	s_wait_alu 0xf1ff
	s_delay_alu instid0(VALU_DEP_2)
	v_add_co_ci_u32_e64 v5, null, v5, v17, s1
	s_and_saveexec_b32 s1, vcc_lo
	s_cbranch_execz .LBB1640_148
; %bb.147:
	flat_load_b64 v[20:21], v[4:5]
.LBB1640_148:
	s_wait_alu 0xfffe
	s_or_b32 exec_lo, exec_lo, s1
	s_and_saveexec_b32 s1, s0
	s_cbranch_execz .LBB1640_150
; %bb.149:
	flat_load_b64 v[18:19], v[4:5] offset:256
.LBB1640_150:
	s_wait_alu 0xfffe
	s_or_b32 exec_lo, exec_lo, s1
	v_lshl_add_u32 v4, v14, 5, v12
	v_and_b32_e32 v5, 0x3e0, v14
	v_sub_co_u32 v17, s2, v54, 1
	v_and_b32_e32 v16, 15, v54
	s_delay_alu instid0(VALU_DEP_4)
	v_dual_mov_b32 v50, 0 :: v_dual_add_nc_u32 v9, 32, v4
	v_add_nc_u32_e32 v31, 36, v4
	v_add_nc_u32_e32 v32, 40, v4
	;; [unrolled: 1-line block ×7, first 2 shown]
	v_min_u32_e32 v4, 0xe0, v5
	v_and_b32_e32 v5, 16, v54
	v_cmp_gt_i32_e64 s6, 0, v17
	s_getpc_b64 s[0:1]
	s_wait_alu 0xfffe
	s_sext_i32_i16 s1, s1
	s_add_co_u32 s0, s0, _ZN7rocprim17ROCPRIM_400000_NS16block_radix_sortIbLj256ELj2ElLj1ELj1ELj8ELNS0_26block_radix_rank_algorithmE2ELNS0_18block_padding_hintE2ELNS0_4arch9wavefront6targetE0EE19radix_bits_per_passE@rel32@lo+12
	s_wait_alu 0xfffe
	s_add_co_ci_u32 s1, s1, _ZN7rocprim17ROCPRIM_400000_NS16block_radix_sortIbLj256ELj2ElLj1ELj1ELj8ELNS0_26block_radix_rank_algorithmE2ELNS0_18block_padding_hintE2ELNS0_4arch9wavefront6targetE0EE19radix_bits_per_passE@rel32@hi+24
	v_cmp_eq_u32_e32 vcc_lo, 0, v16
	v_or_b32_e32 v4, 31, v4
	s_load_b32 s15, s[0:1], 0x0
	v_cmp_lt_u32_e64 s0, 1, v16
	v_cmp_lt_u32_e64 s1, 3, v16
	;; [unrolled: 1-line block ×3, first 2 shown]
	v_cmp_eq_u32_e64 s5, v14, v4
	v_lshlrev_b32_e32 v4, 1, v14
	v_cmp_eq_u32_e64 s4, 0, v5
	v_cndmask_b32_e64 v5, v17, v54, s6
	v_lshrrev_b32_e32 v16, 3, v14
	v_lshrrev_b32_e32 v38, 5, v15
	v_and_or_b32 v4, 0x7c0, v4, v54
	v_cmp_gt_u32_e64 s6, 8, v14
	v_lshlrev_b32_e32 v39, 2, v5
	v_and_b32_e32 v5, 0x7c, v16
	v_and_b32_e32 v16, 7, v54
	v_add_nc_u32_e32 v48, v12, v4
	v_mul_u32_u24_e32 v4, 7, v4
	v_cmp_lt_u32_e64 s7, 31, v14
	v_add_nc_u32_e32 v49, v12, v5
	v_cmp_eq_u32_e64 s8, 0, v14
	v_lshl_add_u32 v51, v14, 2, v12
	v_add_nc_u32_e32 v52, v48, v4
	v_cmp_eq_u32_e64 s9, 0, v16
	v_cmp_lt_u32_e64 s10, 1, v16
	v_cmp_lt_u32_e64 s11, 3, v16
	v_add_nc_u32_e32 v53, -4, v49
	v_add_nc_u32_e32 v54, 32, v48
	v_add_nc_u32_e32 v55, 0x100, v52
	v_sub_nc_u32_e32 v64, v11, v10
	s_mov_b32 s17, 0
	s_wait_storecnt 0x0
	s_wait_loadcnt_dscnt 0x0
	s_barrier_signal -1
	s_barrier_wait -1
	global_inv scope:SCOPE_SE
	s_branch .LBB1640_152
.LBB1640_151:                           ;   in Loop: Header=BB1640_152 Depth=1
	s_wait_alu 0xfffe
	s_or_b32 exec_lo, exec_lo, s13
	s_delay_alu instid0(SALU_CYCLE_1)
	s_and_b32 s12, exec_lo, s18
	s_wait_alu 0xfffe
	s_or_b32 s17, s12, s17
	s_wait_alu 0xfffe
	s_and_not1_b32 exec_lo, exec_lo, s17
	s_cbranch_execz .LBB1640_170
.LBB1640_152:                           ; =>This Inner Loop Header: Depth=1
	s_wait_kmcnt 0x0
	v_min_u32_e32 v4, s15, v64
	v_and_b32_e32 v5, 0xff, v30
	ds_store_b32 v9, v50
	ds_store_b32 v31, v50
	;; [unrolled: 1-line block ×6, first 2 shown]
	v_lshlrev_b32_e64 v4, v4, -1
	v_lshrrev_b32_e32 v5, v10, v5
	ds_store_b32 v36, v50
	ds_store_b32 v37, v50
	s_wait_loadcnt_dscnt 0x0
	s_barrier_signal -1
	v_not_b32_e32 v22, v4
	s_barrier_wait -1
	global_inv scope:SCOPE_SE
	; wave barrier
	v_dual_mov_b32 v4, v18 :: v_dual_and_b32 v23, v5, v22
	v_mov_b32_e32 v5, v19
	s_delay_alu instid0(VALU_DEP_2) | instskip(SKIP_3) | instid1(VALU_DEP_2)
	v_add_co_u32 v24, s12, v23, -1
	s_wait_alu 0xf1ff
	v_cndmask_b32_e64 v16, 0, 1, s12
	v_lshlrev_b32_e32 v19, 3, v23
	v_cmp_ne_u32_e64 s12, 0, v16
	v_dual_mov_b32 v16, v20 :: v_dual_mov_b32 v17, v21
	s_delay_alu instid0(VALU_DEP_3) | instskip(SKIP_1) | instid1(VALU_DEP_3)
	v_add_lshl_u32 v19, v19, v38, 2
	s_wait_alu 0xf1ff
	v_xor_b32_e32 v18, s12, v24
	s_delay_alu instid0(VALU_DEP_2) | instskip(NEXT) | instid1(VALU_DEP_2)
	v_add_co_u32 v19, null, v12, v19
	v_and_b32_e32 v20, exec_lo, v18
	s_delay_alu instid0(VALU_DEP_2) | instskip(NEXT) | instid1(VALU_DEP_2)
	v_add_co_u32 v19, null, v19, 32
	v_mbcnt_lo_u32_b32 v18, v20, 0
	v_cmp_ne_u32_e64 s13, 0, v20
	s_delay_alu instid0(VALU_DEP_2)
	v_cmp_eq_u32_e64 s12, 0, v18
	s_and_b32 s13, s13, s12
	s_wait_alu 0xfffe
	s_and_saveexec_b32 s12, s13
; %bb.153:                              ;   in Loop: Header=BB1640_152 Depth=1
	v_bcnt_u32_b32 v20, v20, 0
	ds_store_b32 v19, v20
; %bb.154:                              ;   in Loop: Header=BB1640_152 Depth=1
	s_wait_alu 0xfffe
	s_or_b32 exec_lo, exec_lo, s12
	v_and_b32_e32 v20, 0xff, v29
	; wave barrier
	s_delay_alu instid0(VALU_DEP_1) | instskip(NEXT) | instid1(VALU_DEP_1)
	v_lshrrev_b32_e32 v20, v10, v20
	v_and_b32_e32 v20, v20, v22
	s_delay_alu instid0(VALU_DEP_1) | instskip(SKIP_3) | instid1(VALU_DEP_2)
	v_add_co_u32 v21, s12, v20, -1
	s_wait_alu 0xf1ff
	v_cndmask_b32_e64 v22, 0, 1, s12
	v_lshl_add_u32 v20, v20, 3, v38
	v_cmp_ne_u32_e64 s12, 0, v22
	s_delay_alu instid0(VALU_DEP_2) | instskip(SKIP_1) | instid1(VALU_DEP_2)
	v_lshl_add_u32 v22, v20, 2, v12
	s_wait_alu 0xf1ff
	v_xor_b32_e32 v21, s12, v21
	ds_load_b32 v20, v22 offset:32
	v_add_nc_u32_e32 v22, 32, v22
	; wave barrier
	v_and_b32_e32 v23, exec_lo, v21
	s_delay_alu instid0(VALU_DEP_1) | instskip(SKIP_1) | instid1(VALU_DEP_2)
	v_mbcnt_lo_u32_b32 v21, v23, 0
	v_cmp_ne_u32_e64 s13, 0, v23
	v_cmp_eq_u32_e64 s12, 0, v21
	s_and_b32 s13, s13, s12
	s_wait_alu 0xfffe
	s_and_saveexec_b32 s12, s13
	s_cbranch_execz .LBB1640_156
; %bb.155:                              ;   in Loop: Header=BB1640_152 Depth=1
	s_wait_dscnt 0x0
	v_bcnt_u32_b32 v23, v23, v20
	ds_store_b32 v22, v23
.LBB1640_156:                           ;   in Loop: Header=BB1640_152 Depth=1
	s_wait_alu 0xfffe
	s_or_b32 exec_lo, exec_lo, s12
	; wave barrier
	s_wait_loadcnt_dscnt 0x0
	s_barrier_signal -1
	s_barrier_wait -1
	global_inv scope:SCOPE_SE
	ds_load_b32 v24, v9
	ds_load_b32 v25, v31
	;; [unrolled: 1-line block ×8, first 2 shown]
	s_wait_dscnt 0x6
	v_add_nc_u32_e32 v67, v25, v24
	s_wait_dscnt 0x4
	s_delay_alu instid0(VALU_DEP_1) | instskip(SKIP_1) | instid1(VALU_DEP_1)
	v_add3_u32 v67, v67, v26, v27
	s_wait_dscnt 0x2
	v_add3_u32 v67, v67, v28, v65
	s_wait_dscnt 0x0
	s_delay_alu instid0(VALU_DEP_1) | instskip(NEXT) | instid1(VALU_DEP_1)
	v_add3_u32 v66, v67, v23, v66
	v_mov_b32_dpp v67, v66 row_shr:1 row_mask:0xf bank_mask:0xf
	s_delay_alu instid0(VALU_DEP_1) | instskip(NEXT) | instid1(VALU_DEP_1)
	v_cndmask_b32_e64 v67, v67, 0, vcc_lo
	v_add_nc_u32_e32 v66, v67, v66
	s_delay_alu instid0(VALU_DEP_1) | instskip(NEXT) | instid1(VALU_DEP_1)
	v_mov_b32_dpp v67, v66 row_shr:2 row_mask:0xf bank_mask:0xf
	v_cndmask_b32_e64 v67, 0, v67, s0
	s_delay_alu instid0(VALU_DEP_1) | instskip(NEXT) | instid1(VALU_DEP_1)
	v_add_nc_u32_e32 v66, v66, v67
	v_mov_b32_dpp v67, v66 row_shr:4 row_mask:0xf bank_mask:0xf
	s_delay_alu instid0(VALU_DEP_1) | instskip(NEXT) | instid1(VALU_DEP_1)
	v_cndmask_b32_e64 v67, 0, v67, s1
	v_add_nc_u32_e32 v66, v66, v67
	s_delay_alu instid0(VALU_DEP_1) | instskip(NEXT) | instid1(VALU_DEP_1)
	v_mov_b32_dpp v67, v66 row_shr:8 row_mask:0xf bank_mask:0xf
	v_cndmask_b32_e64 v67, 0, v67, s3
	s_delay_alu instid0(VALU_DEP_1) | instskip(SKIP_3) | instid1(VALU_DEP_1)
	v_add_nc_u32_e32 v66, v66, v67
	ds_swizzle_b32 v67, v66 offset:swizzle(BROADCAST,32,15)
	s_wait_dscnt 0x0
	v_cndmask_b32_e64 v67, v67, 0, s4
	v_add_nc_u32_e32 v66, v66, v67
	s_and_saveexec_b32 s12, s5
; %bb.157:                              ;   in Loop: Header=BB1640_152 Depth=1
	ds_store_b32 v49, v66
; %bb.158:                              ;   in Loop: Header=BB1640_152 Depth=1
	s_wait_alu 0xfffe
	s_or_b32 exec_lo, exec_lo, s12
	s_wait_loadcnt_dscnt 0x0
	s_barrier_signal -1
	s_barrier_wait -1
	global_inv scope:SCOPE_SE
	s_and_saveexec_b32 s12, s6
	s_cbranch_execz .LBB1640_160
; %bb.159:                              ;   in Loop: Header=BB1640_152 Depth=1
	ds_load_b32 v67, v51
	s_wait_dscnt 0x0
	v_mov_b32_dpp v68, v67 row_shr:1 row_mask:0xf bank_mask:0xf
	s_delay_alu instid0(VALU_DEP_1) | instskip(NEXT) | instid1(VALU_DEP_1)
	v_cndmask_b32_e64 v68, v68, 0, s9
	v_add_nc_u32_e32 v67, v68, v67
	s_delay_alu instid0(VALU_DEP_1) | instskip(NEXT) | instid1(VALU_DEP_1)
	v_mov_b32_dpp v68, v67 row_shr:2 row_mask:0xf bank_mask:0xf
	v_cndmask_b32_e64 v68, 0, v68, s10
	s_delay_alu instid0(VALU_DEP_1) | instskip(NEXT) | instid1(VALU_DEP_1)
	v_add_nc_u32_e32 v67, v67, v68
	v_mov_b32_dpp v68, v67 row_shr:4 row_mask:0xf bank_mask:0xf
	s_delay_alu instid0(VALU_DEP_1) | instskip(NEXT) | instid1(VALU_DEP_1)
	v_cndmask_b32_e64 v68, 0, v68, s11
	v_add_nc_u32_e32 v67, v67, v68
	ds_store_b32 v51, v67
.LBB1640_160:                           ;   in Loop: Header=BB1640_152 Depth=1
	s_wait_alu 0xfffe
	s_or_b32 exec_lo, exec_lo, s12
	v_mov_b32_e32 v67, 0
	s_wait_loadcnt_dscnt 0x0
	s_barrier_signal -1
	s_barrier_wait -1
	global_inv scope:SCOPE_SE
	s_and_saveexec_b32 s12, s7
; %bb.161:                              ;   in Loop: Header=BB1640_152 Depth=1
	ds_load_b32 v67, v53
; %bb.162:                              ;   in Loop: Header=BB1640_152 Depth=1
	s_wait_alu 0xfffe
	s_or_b32 exec_lo, exec_lo, s12
	s_wait_dscnt 0x0
	v_add_nc_u32_e32 v66, v67, v66
	v_add_nc_u32_e32 v10, 8, v10
	s_mov_b32 s18, -1
	s_mov_b32 s13, exec_lo
	ds_bpermute_b32 v66, v39, v66
	s_wait_dscnt 0x0
	v_cndmask_b32_e64 v66, v66, v67, s2
	s_delay_alu instid0(VALU_DEP_1) | instskip(NEXT) | instid1(VALU_DEP_1)
	v_cndmask_b32_e64 v66, v66, 0, s8
	v_add_nc_u32_e32 v24, v66, v24
	s_delay_alu instid0(VALU_DEP_1) | instskip(SKIP_4) | instid1(VALU_DEP_1)
	v_add_nc_u32_e32 v25, v24, v25
	ds_store_b32 v9, v66
	ds_store_b32 v31, v24
	;; [unrolled: 1-line block ×3, first 2 shown]
	v_add_nc_u32_e32 v26, v25, v26
	v_add_nc_u32_e32 v27, v26, v27
	s_delay_alu instid0(VALU_DEP_1) | instskip(NEXT) | instid1(VALU_DEP_1)
	v_add_nc_u32_e32 v28, v27, v28
	v_add_nc_u32_e32 v65, v28, v65
	s_delay_alu instid0(VALU_DEP_1)
	v_add_nc_u32_e32 v23, v65, v23
	ds_store_b32 v33, v26
	ds_store_b32 v34, v27
	;; [unrolled: 1-line block ×5, first 2 shown]
	s_wait_loadcnt_dscnt 0x0
	s_barrier_signal -1
	s_barrier_wait -1
	global_inv scope:SCOPE_SE
	ds_load_b32 v19, v19
	ds_load_b32 v22, v22
	s_wait_loadcnt_dscnt 0x0
	v_add_nc_u32_e32 v18, v19, v18
	v_add3_u32 v19, v21, v20, v22
                                        ; implicit-def: $vgpr20_vgpr21
	s_delay_alu instid0(VALU_DEP_2) | instskip(SKIP_2) | instid1(VALU_DEP_3)
	v_add_co_u32 v25, s12, v12, v18
	s_wait_alu 0xf1ff
	v_add_co_ci_u32_e64 v26, null, 0, v13, s12
	v_add_co_u32 v27, s12, v12, v19
	s_wait_alu 0xf1ff
	v_add_co_ci_u32_e64 v28, null, 0, v13, s12
	s_delay_alu instid0(VALU_DEP_3) | instskip(SKIP_1) | instid1(VALU_DEP_3)
	v_mad_co_u64_u32 v[22:23], null, v18, 7, v[25:26]
	v_mov_b32_e32 v26, v29
	v_mad_co_u64_u32 v[23:24], null, v19, 7, v[27:28]
	v_mov_b32_e32 v24, v30
                                        ; implicit-def: $vgpr18_vgpr19
	v_cmpx_lt_u32_e64 v10, v11
	s_cbranch_execz .LBB1640_151
; %bb.163:                              ;   in Loop: Header=BB1640_152 Depth=1
	s_barrier_signal -1
	s_barrier_wait -1
	global_inv scope:SCOPE_SE
	ds_store_b8 v25, v30
	ds_store_b8 v27, v29
	s_wait_loadcnt_dscnt 0x0
	s_barrier_signal -1
	s_barrier_wait -1
	global_inv scope:SCOPE_SE
	ds_load_u8 v29, v54
	ds_load_u8 v30, v48
	s_wait_loadcnt_dscnt 0x0
	s_barrier_signal -1
	s_barrier_wait -1
	global_inv scope:SCOPE_SE
	ds_store_b64 v22, v[16:17]
	ds_store_b64 v23, v[4:5]
	s_wait_loadcnt_dscnt 0x0
	s_barrier_signal -1
	s_barrier_wait -1
	global_inv scope:SCOPE_SE
	ds_load_b64 v[20:21], v52
	ds_load_b64 v[18:19], v55
	v_add_nc_u32_e32 v64, -8, v64
	s_xor_b32 s18, exec_lo, -1
	s_wait_loadcnt_dscnt 0x0
	s_barrier_signal -1
	s_barrier_wait -1
	global_inv scope:SCOPE_SE
	s_branch .LBB1640_151
.LBB1640_164:
	flat_load_b64 v[22:23], v[4:5]
	s_wait_alu 0xfffe
	s_or_b32 exec_lo, exec_lo, s3
                                        ; implicit-def: $vgpr24_vgpr25
	s_and_saveexec_b32 s3, s0
	s_cbranch_execz .LBB1640_91
.LBB1640_165:
	flat_load_b64 v[24:25], v[4:5] offset:256
	s_wait_alu 0xfffe
	s_or_b32 exec_lo, exec_lo, s3
                                        ; implicit-def: $vgpr26_vgpr27
	s_and_saveexec_b32 s0, s1
	s_cbranch_execz .LBB1640_92
.LBB1640_166:
	flat_load_b64 v[26:27], v[4:5] offset:512
	s_wait_alu 0xfffe
	s_or_b32 exec_lo, exec_lo, s0
                                        ; implicit-def: $vgpr28_vgpr29
	s_and_saveexec_b32 s0, s2
	s_cbranch_execnz .LBB1640_93
	s_branch .LBB1640_94
.LBB1640_167:
	flat_store_b64 v[0:1], v[13:14]
	s_wait_alu 0xfffe
	s_or_b32 exec_lo, exec_lo, s3
	s_and_saveexec_b32 s3, s0
	s_cbranch_execz .LBB1640_136
.LBB1640_168:
	flat_store_b64 v[0:1], v[15:16] offset:2048
	s_wait_alu 0xfffe
	s_or_b32 exec_lo, exec_lo, s3
	s_and_saveexec_b32 s0, s1
	s_cbranch_execz .LBB1640_137
.LBB1640_169:
	flat_store_b64 v[0:1], v[9:10] offset:4096
	s_wait_alu 0xfffe
	s_or_b32 exec_lo, exec_lo, s0
	s_and_saveexec_b32 s0, s2
	s_cbranch_execnz .LBB1640_138
	s_branch .LBB1640_139
.LBB1640_170:
	s_or_b32 exec_lo, exec_lo, s17
	v_add_nc_u32_e32 v9, v12, v14
	v_mul_u32_u24_e32 v10, 7, v14
	s_barrier_signal -1
	s_barrier_wait -1
	s_wait_loadcnt 0x0
	global_inv scope:SCOPE_SE
	ds_store_b8 v25, v24
	ds_store_b8 v27, v26
	s_wait_loadcnt_dscnt 0x0
	s_barrier_signal -1
	s_barrier_wait -1
	global_inv scope:SCOPE_SE
	ds_load_u8 v18, v9
	ds_load_u8 v13, v9 offset:256
	s_wait_loadcnt_dscnt 0x0
	s_barrier_signal -1
	s_barrier_wait -1
	global_inv scope:SCOPE_SE
	ds_store_b64 v22, v[16:17]
	ds_store_b64 v23, v[4:5]
	v_mov_b32_e32 v16, 0
	v_add_nc_u32_e32 v4, v9, v10
	s_wait_loadcnt_dscnt 0x0
	s_barrier_signal -1
	s_barrier_wait -1
	global_inv scope:SCOPE_SE
	ds_load_2addr_stride64_b64 v[9:12], v4 offset1:4
	v_add_co_u32 v2, vcc_lo, v2, v8
	s_wait_alu 0xfffd
	v_add_co_ci_u32_e64 v3, null, 0, v3, vcc_lo
	s_wait_loadcnt_dscnt 0x0
	s_delay_alu instid0(VALU_DEP_2) | instskip(SKIP_1) | instid1(VALU_DEP_2)
	v_add_co_u32 v2, vcc_lo, v2, v15
	s_wait_alu 0xfffd
	v_add_co_ci_u32_e64 v3, null, 0, v3, vcc_lo
	v_cmp_lt_u32_e32 vcc_lo, v15, v86
	s_barrier_signal -1
	s_barrier_wait -1
	global_inv scope:SCOPE_SE
	s_and_saveexec_b32 s0, vcc_lo
	s_cbranch_execz .LBB1640_172
; %bb.171:
	flat_store_b8 v[2:3], v18
.LBB1640_172:
	s_wait_alu 0xfffe
	s_or_b32 exec_lo, exec_lo, s0
	v_add_nc_u32_e32 v4, 0x100, v15
	s_delay_alu instid0(VALU_DEP_1)
	v_cmp_lt_u32_e64 s0, v4, v86
	s_and_saveexec_b32 s1, s0
	s_cbranch_execz .LBB1640_174
; %bb.173:
	flat_store_b8 v[2:3], v13 offset:256
.LBB1640_174:
	s_wait_alu 0xfffe
	s_or_b32 exec_lo, exec_lo, s1
	v_lshlrev_b64_e32 v[2:3], 3, v[15:16]
	v_add_co_u32 v0, s1, v6, v0
	s_wait_alu 0xf1ff
	v_add_co_ci_u32_e64 v1, null, v7, v1, s1
	s_delay_alu instid0(VALU_DEP_2) | instskip(SKIP_1) | instid1(VALU_DEP_2)
	v_add_co_u32 v0, s1, v0, v2
	s_wait_alu 0xf1ff
	v_add_co_ci_u32_e64 v1, null, v1, v3, s1
	s_and_saveexec_b32 s1, vcc_lo
	s_cbranch_execz .LBB1640_176
; %bb.175:
	flat_store_b64 v[0:1], v[9:10]
.LBB1640_176:
	s_wait_alu 0xfffe
	s_or_b32 exec_lo, exec_lo, s1
	s_and_saveexec_b32 s1, s0
	s_cbranch_execz .LBB1640_178
; %bb.177:
	flat_store_b64 v[0:1], v[11:12] offset:2048
.LBB1640_178:
	s_wait_alu 0xfffe
	s_or_b32 exec_lo, exec_lo, s1
                                        ; implicit-def: $vgpr15_vgpr16
                                        ; implicit-def: $vgpr8_vgpr9
                                        ; implicit-def: $vgpr86
                                        ; implicit-def: $vgpr0
                                        ; implicit-def: $vgpr1
                                        ; implicit-def: $vgpr2
                                        ; implicit-def: $vgpr3
                                        ; implicit-def: $vgpr4
                                        ; implicit-def: $vgpr5
                                        ; implicit-def: $vgpr6
                                        ; implicit-def: $vgpr7
                                        ; implicit-def: $vgpr10
                                        ; implicit-def: $vgpr11
                                        ; implicit-def: $vgpr12
                                        ; implicit-def: $vgpr13
                                        ; implicit-def: $vgpr14
                                        ; implicit-def: $vgpr54
.LBB1640_179:
	s_wait_alu 0xfffe
	s_and_not1_saveexec_b32 s0, s14
	s_cbranch_execz .LBB1640_199
; %bb.180:
	v_dual_mov_b32 v37, 1 :: v_dual_and_b32 v18, 0xffffffe0, v15
	s_delay_alu instid0(VALU_DEP_1) | instskip(NEXT) | instid1(VALU_DEP_1)
	v_or_b32_e32 v16, v54, v18
	v_cmp_lt_u32_e32 vcc_lo, v16, v86
	s_and_saveexec_b32 s1, vcc_lo
	s_cbranch_execz .LBB1640_182
; %bb.181:
	v_add_co_u32 v0, s0, v0, v8
	s_wait_alu 0xf1fe
	v_add_co_ci_u32_e64 v1, null, 0, v1, s0
	s_delay_alu instid0(VALU_DEP_2) | instskip(SKIP_1) | instid1(VALU_DEP_2)
	v_add_co_u32 v0, s0, v0, v54
	s_wait_alu 0xf1ff
	v_add_co_ci_u32_e64 v1, null, 0, v1, s0
	s_delay_alu instid0(VALU_DEP_2) | instskip(SKIP_1) | instid1(VALU_DEP_2)
	v_add_co_u32 v0, s0, v0, v18
	s_wait_alu 0xf1ff
	v_add_co_ci_u32_e64 v1, null, 0, v1, s0
	flat_load_u8 v37, v[0:1]
.LBB1640_182:
	s_wait_alu 0xfffe
	s_or_b32 exec_lo, exec_lo, s1
	v_lshlrev_b64_e32 v[0:1], 3, v[8:9]
                                        ; implicit-def: $vgpr16_vgpr17
	s_and_saveexec_b32 s0, vcc_lo
	s_cbranch_execz .LBB1640_184
; %bb.183:
	v_mov_b32_e32 v19, 0
	v_lshlrev_b32_e32 v9, 3, v54
	s_delay_alu instid0(VALU_DEP_3) | instskip(SKIP_3) | instid1(VALU_DEP_3)
	v_add_co_u32 v16, vcc_lo, v4, v0
	s_wait_alu 0xfffd
	v_add_co_ci_u32_e64 v17, null, v5, v1, vcc_lo
	v_lshlrev_b64_e32 v[4:5], 3, v[18:19]
	v_add_co_u32 v9, vcc_lo, v16, v9
	s_wait_alu 0xfffd
	s_delay_alu instid0(VALU_DEP_3) | instskip(NEXT) | instid1(VALU_DEP_2)
	v_add_co_ci_u32_e64 v16, null, 0, v17, vcc_lo
	v_add_co_u32 v4, vcc_lo, v9, v4
	s_wait_alu 0xfffd
	s_delay_alu instid0(VALU_DEP_2)
	v_add_co_ci_u32_e64 v5, null, v16, v5, vcc_lo
	flat_load_b64 v[16:17], v[4:5]
.LBB1640_184:
	s_wait_alu 0xfffe
	s_or_b32 exec_lo, exec_lo, s0
	v_lshl_add_u32 v4, v14, 5, v12
	v_and_b32_e32 v5, 15, v54
	v_sub_co_u32 v28, s2, v54, 1
	s_getpc_b64 s[0:1]
	s_wait_alu 0xfffe
	s_sext_i32_i16 s1, s1
	s_add_co_u32 s0, s0, _ZN7rocprim17ROCPRIM_400000_NS16block_radix_sortIbLj256ELj1ElLj1ELj1ELj8ELNS0_26block_radix_rank_algorithmE2ELNS0_18block_padding_hintE2ELNS0_4arch9wavefront6targetE0EE19radix_bits_per_passE@rel32@lo+12
	s_wait_alu 0xfffe
	s_add_co_ci_u32 s1, s1, _ZN7rocprim17ROCPRIM_400000_NS16block_radix_sortIbLj256ELj1ElLj1ELj1ELj8ELNS0_26block_radix_rank_algorithmE2ELNS0_18block_padding_hintE2ELNS0_4arch9wavefront6targetE0EE19radix_bits_per_passE@rel32@hi+24
	v_dual_mov_b32 v30, 0 :: v_dual_add_nc_u32 v9, 32, v4
	v_add_nc_u32_e32 v20, 36, v4
	v_add_nc_u32_e32 v21, 40, v4
	;; [unrolled: 1-line block ×7, first 2 shown]
	v_and_b32_e32 v4, 0x3e0, v14
	s_load_b32 s14, s[0:1], 0x0
	v_cmp_eq_u32_e32 vcc_lo, 0, v5
	v_cmp_lt_u32_e64 s0, 1, v5
	v_cmp_lt_u32_e64 s1, 3, v5
	v_min_u32_e32 v18, 0xe0, v4
	v_and_b32_e32 v19, 16, v54
	v_cmp_lt_u32_e64 s3, 7, v5
	v_cmp_gt_i32_e64 s5, 0, v28
	v_or_b32_e32 v4, v54, v4
	v_or_b32_e32 v5, 31, v18
	v_lshrrev_b32_e32 v18, 3, v14
	v_cmp_eq_u32_e64 s4, 0, v19
	s_wait_alu 0xf1ff
	v_cndmask_b32_e64 v19, v28, v54, s5
	v_add_nc_u32_e32 v32, v12, v4
	v_cmp_eq_u32_e64 s5, v14, v5
	v_and_b32_e32 v5, 0x7c, v18
	v_mul_u32_u24_e32 v4, 7, v4
	v_lshrrev_b32_e32 v27, 5, v15
	v_cmp_gt_u32_e64 s6, 8, v14
	v_cmp_lt_u32_e64 s7, 31, v14
	v_add_nc_u32_e32 v29, v12, v5
	v_and_b32_e32 v5, 7, v54
	v_lshlrev_b32_e32 v28, 2, v19
	v_cmp_eq_u32_e64 s8, 0, v14
	v_lshl_add_u32 v31, v14, 2, v12
	v_add_nc_u32_e32 v33, -4, v29
	v_cmp_eq_u32_e64 s9, 0, v5
	v_cmp_lt_u32_e64 s10, 1, v5
	v_cmp_lt_u32_e64 s11, 3, v5
	v_add_nc_u32_e32 v34, v32, v4
	v_sub_nc_u32_e32 v35, v11, v10
	s_mov_b32 s15, 0
	s_wait_storecnt 0x0
	s_wait_loadcnt_dscnt 0x0
	s_barrier_signal -1
	s_barrier_wait -1
	global_inv scope:SCOPE_SE
	s_branch .LBB1640_186
.LBB1640_185:                           ;   in Loop: Header=BB1640_186 Depth=1
	s_wait_alu 0xfffe
	s_or_b32 exec_lo, exec_lo, s13
	s_delay_alu instid0(SALU_CYCLE_1)
	s_and_b32 s12, exec_lo, s17
	s_wait_alu 0xfffe
	s_or_b32 s15, s12, s15
	s_wait_alu 0xfffe
	s_and_not1_b32 exec_lo, exec_lo, s15
	s_cbranch_execz .LBB1640_196
.LBB1640_186:                           ; =>This Inner Loop Header: Depth=1
	v_mov_b32_e32 v36, v37
	s_wait_kmcnt 0x0
	v_min_u32_e32 v5, s14, v35
	ds_store_b32 v9, v30
	ds_store_b32 v20, v30
	;; [unrolled: 1-line block ×6, first 2 shown]
	v_and_b32_e32 v4, 0xff, v36
	ds_store_b32 v25, v30
	ds_store_b32 v26, v30
	s_wait_loadcnt_dscnt 0x0
	s_barrier_signal -1
	s_barrier_wait -1
	v_lshrrev_b32_e32 v4, v10, v4
	global_inv scope:SCOPE_SE
	; wave barrier
	v_bfe_u32 v18, v4, 0, v5
	s_delay_alu instid0(VALU_DEP_1) | instskip(SKIP_2) | instid1(VALU_DEP_1)
	v_add_co_u32 v19, s12, v18, -1
	s_wait_alu 0xf1ff
	v_cndmask_b32_e64 v4, 0, 1, s12
	v_cmp_ne_u32_e64 s12, 0, v4
	v_dual_mov_b32 v4, v16 :: v_dual_mov_b32 v5, v17
	v_lshlrev_b32_e32 v17, 3, v18
	s_wait_alu 0xf1ff
	s_delay_alu instid0(VALU_DEP_3) | instskip(NEXT) | instid1(VALU_DEP_2)
	v_xor_b32_e32 v16, s12, v19
	v_add_lshl_u32 v17, v17, v27, 2
	s_delay_alu instid0(VALU_DEP_2) | instskip(NEXT) | instid1(VALU_DEP_2)
	v_and_b32_e32 v18, exec_lo, v16
	v_add_co_u32 v17, null, v12, v17
	s_delay_alu instid0(VALU_DEP_2) | instskip(SKIP_1) | instid1(VALU_DEP_3)
	v_mbcnt_lo_u32_b32 v16, v18, 0
	v_cmp_ne_u32_e64 s13, 0, v18
	v_add_co_u32 v17, null, v17, 32
	s_delay_alu instid0(VALU_DEP_3)
	v_cmp_eq_u32_e64 s12, 0, v16
	s_and_b32 s13, s13, s12
	s_wait_alu 0xfffe
	s_and_saveexec_b32 s12, s13
; %bb.187:                              ;   in Loop: Header=BB1640_186 Depth=1
	v_bcnt_u32_b32 v18, v18, 0
	ds_store_b32 v17, v18
; %bb.188:                              ;   in Loop: Header=BB1640_186 Depth=1
	s_wait_alu 0xfffe
	s_or_b32 exec_lo, exec_lo, s12
	; wave barrier
	s_wait_loadcnt_dscnt 0x0
	s_barrier_signal -1
	s_barrier_wait -1
	global_inv scope:SCOPE_SE
	ds_load_b32 v19, v9
	ds_load_b32 v37, v20
	;; [unrolled: 1-line block ×8, first 2 shown]
	s_wait_dscnt 0x6
	v_add_nc_u32_e32 v51, v37, v19
	s_wait_dscnt 0x4
	s_delay_alu instid0(VALU_DEP_1) | instskip(SKIP_1) | instid1(VALU_DEP_1)
	v_add3_u32 v51, v51, v38, v39
	s_wait_dscnt 0x2
	v_add3_u32 v51, v51, v48, v49
	s_wait_dscnt 0x0
	s_delay_alu instid0(VALU_DEP_1) | instskip(NEXT) | instid1(VALU_DEP_1)
	v_add3_u32 v50, v51, v18, v50
	v_mov_b32_dpp v51, v50 row_shr:1 row_mask:0xf bank_mask:0xf
	s_wait_alu 0xfffd
	s_delay_alu instid0(VALU_DEP_1) | instskip(NEXT) | instid1(VALU_DEP_1)
	v_cndmask_b32_e64 v51, v51, 0, vcc_lo
	v_add_nc_u32_e32 v50, v51, v50
	s_delay_alu instid0(VALU_DEP_1) | instskip(NEXT) | instid1(VALU_DEP_1)
	v_mov_b32_dpp v51, v50 row_shr:2 row_mask:0xf bank_mask:0xf
	v_cndmask_b32_e64 v51, 0, v51, s0
	s_delay_alu instid0(VALU_DEP_1) | instskip(NEXT) | instid1(VALU_DEP_1)
	v_add_nc_u32_e32 v50, v50, v51
	v_mov_b32_dpp v51, v50 row_shr:4 row_mask:0xf bank_mask:0xf
	s_delay_alu instid0(VALU_DEP_1) | instskip(NEXT) | instid1(VALU_DEP_1)
	v_cndmask_b32_e64 v51, 0, v51, s1
	v_add_nc_u32_e32 v50, v50, v51
	s_delay_alu instid0(VALU_DEP_1) | instskip(NEXT) | instid1(VALU_DEP_1)
	v_mov_b32_dpp v51, v50 row_shr:8 row_mask:0xf bank_mask:0xf
	v_cndmask_b32_e64 v51, 0, v51, s3
	s_delay_alu instid0(VALU_DEP_1) | instskip(SKIP_3) | instid1(VALU_DEP_1)
	v_add_nc_u32_e32 v50, v50, v51
	ds_swizzle_b32 v51, v50 offset:swizzle(BROADCAST,32,15)
	s_wait_dscnt 0x0
	v_cndmask_b32_e64 v51, v51, 0, s4
	v_add_nc_u32_e32 v50, v50, v51
	s_and_saveexec_b32 s12, s5
; %bb.189:                              ;   in Loop: Header=BB1640_186 Depth=1
	ds_store_b32 v29, v50
; %bb.190:                              ;   in Loop: Header=BB1640_186 Depth=1
	s_wait_alu 0xfffe
	s_or_b32 exec_lo, exec_lo, s12
	s_wait_loadcnt_dscnt 0x0
	s_barrier_signal -1
	s_barrier_wait -1
	global_inv scope:SCOPE_SE
	s_and_saveexec_b32 s12, s6
	s_cbranch_execz .LBB1640_192
; %bb.191:                              ;   in Loop: Header=BB1640_186 Depth=1
	ds_load_b32 v51, v31
	s_wait_dscnt 0x0
	v_mov_b32_dpp v52, v51 row_shr:1 row_mask:0xf bank_mask:0xf
	s_delay_alu instid0(VALU_DEP_1) | instskip(NEXT) | instid1(VALU_DEP_1)
	v_cndmask_b32_e64 v52, v52, 0, s9
	v_add_nc_u32_e32 v51, v52, v51
	s_delay_alu instid0(VALU_DEP_1) | instskip(NEXT) | instid1(VALU_DEP_1)
	v_mov_b32_dpp v52, v51 row_shr:2 row_mask:0xf bank_mask:0xf
	v_cndmask_b32_e64 v52, 0, v52, s10
	s_delay_alu instid0(VALU_DEP_1) | instskip(NEXT) | instid1(VALU_DEP_1)
	v_add_nc_u32_e32 v51, v51, v52
	v_mov_b32_dpp v52, v51 row_shr:4 row_mask:0xf bank_mask:0xf
	s_delay_alu instid0(VALU_DEP_1) | instskip(NEXT) | instid1(VALU_DEP_1)
	v_cndmask_b32_e64 v52, 0, v52, s11
	v_add_nc_u32_e32 v51, v51, v52
	ds_store_b32 v31, v51
.LBB1640_192:                           ;   in Loop: Header=BB1640_186 Depth=1
	s_wait_alu 0xfffe
	s_or_b32 exec_lo, exec_lo, s12
	v_mov_b32_e32 v51, 0
	s_wait_loadcnt_dscnt 0x0
	s_barrier_signal -1
	s_barrier_wait -1
	global_inv scope:SCOPE_SE
	s_and_saveexec_b32 s12, s7
; %bb.193:                              ;   in Loop: Header=BB1640_186 Depth=1
	ds_load_b32 v51, v33
; %bb.194:                              ;   in Loop: Header=BB1640_186 Depth=1
	s_wait_alu 0xfffe
	s_or_b32 exec_lo, exec_lo, s12
	s_wait_dscnt 0x0
	v_add_nc_u32_e32 v50, v51, v50
	v_add_nc_u32_e32 v10, 8, v10
	s_mov_b32 s17, -1
	ds_bpermute_b32 v50, v28, v50
	s_wait_dscnt 0x0
	v_cndmask_b32_e64 v50, v50, v51, s2
	s_delay_alu instid0(VALU_DEP_1) | instskip(NEXT) | instid1(VALU_DEP_1)
	v_cndmask_b32_e64 v50, v50, 0, s8
	v_add_nc_u32_e32 v19, v50, v19
	s_delay_alu instid0(VALU_DEP_1) | instskip(SKIP_4) | instid1(VALU_DEP_1)
	v_add_nc_u32_e32 v37, v19, v37
	ds_store_b32 v9, v50
	ds_store_b32 v20, v19
	;; [unrolled: 1-line block ×3, first 2 shown]
	v_add_nc_u32_e32 v38, v37, v38
                                        ; implicit-def: $vgpr37
	v_add_nc_u32_e32 v39, v38, v39
	s_delay_alu instid0(VALU_DEP_1) | instskip(NEXT) | instid1(VALU_DEP_1)
	v_add_nc_u32_e32 v48, v39, v48
	v_add_nc_u32_e32 v49, v48, v49
	s_delay_alu instid0(VALU_DEP_1)
	v_add_nc_u32_e32 v18, v49, v18
	ds_store_b32 v22, v38
	ds_store_b32 v23, v39
	;; [unrolled: 1-line block ×5, first 2 shown]
	s_wait_loadcnt_dscnt 0x0
	s_barrier_signal -1
	s_barrier_wait -1
	global_inv scope:SCOPE_SE
	ds_load_b32 v17, v17
	s_wait_loadcnt_dscnt 0x0
	v_add_nc_u32_e32 v38, v17, v16
                                        ; implicit-def: $vgpr16_vgpr17
	s_delay_alu instid0(VALU_DEP_1)
	v_add_co_u32 v18, s13, v12, v38
	s_wait_alu 0xf1ff
	v_add_co_ci_u32_e64 v19, null, 0, v13, s13
	s_mov_b32 s13, exec_lo
	v_cmpx_lt_u32_e64 v10, v11
	s_cbranch_execz .LBB1640_185
; %bb.195:                              ;   in Loop: Header=BB1640_186 Depth=1
	v_mad_co_u64_u32 v[16:17], null, v38, 7, v[18:19]
	s_barrier_signal -1
	s_barrier_wait -1
	global_inv scope:SCOPE_SE
	ds_store_b8 v18, v36
	s_wait_loadcnt_dscnt 0x0
	s_barrier_signal -1
	s_barrier_wait -1
	global_inv scope:SCOPE_SE
	ds_load_u8 v37, v32
	s_wait_loadcnt_dscnt 0x0
	s_barrier_signal -1
	s_barrier_wait -1
	global_inv scope:SCOPE_SE
	ds_store_b64 v16, v[4:5]
	s_wait_loadcnt_dscnt 0x0
	s_barrier_signal -1
	s_barrier_wait -1
	global_inv scope:SCOPE_SE
	ds_load_b64 v[16:17], v34
	v_add_nc_u32_e32 v35, -8, v35
	s_xor_b32 s17, exec_lo, -1
	s_wait_loadcnt_dscnt 0x0
	s_barrier_signal -1
	s_barrier_wait -1
	global_inv scope:SCOPE_SE
	s_branch .LBB1640_185
.LBB1640_196:
	s_or_b32 exec_lo, exec_lo, s15
	v_mad_co_u64_u32 v[10:11], null, v38, 7, v[18:19]
	v_add_nc_u32_e32 v12, v12, v14
	v_mul_u32_u24_e32 v11, 7, v14
	s_barrier_signal -1
	s_barrier_wait -1
	s_wait_loadcnt 0x0
	global_inv scope:SCOPE_SE
	ds_store_b8 v18, v36
	s_wait_loadcnt_dscnt 0x0
	s_barrier_signal -1
	s_barrier_wait -1
	global_inv scope:SCOPE_SE
	ds_load_u8 v9, v12
	s_wait_loadcnt_dscnt 0x0
	s_barrier_signal -1
	s_barrier_wait -1
	global_inv scope:SCOPE_SE
	ds_store_b64 v10, v[4:5]
	v_add_nc_u32_e32 v4, v12, v11
	s_wait_loadcnt_dscnt 0x0
	s_barrier_signal -1
	s_barrier_wait -1
	global_inv scope:SCOPE_SE
	ds_load_b64 v[4:5], v4
	s_mov_b32 s0, exec_lo
	s_wait_loadcnt_dscnt 0x0
	s_barrier_signal -1
	s_barrier_wait -1
	global_inv scope:SCOPE_SE
	v_cmpx_lt_u32_e64 v15, v86
	s_cbranch_execz .LBB1640_198
; %bb.197:
	v_mov_b32_e32 v16, 0
	v_add_co_u32 v6, vcc_lo, v6, v0
	s_wait_alu 0xfffd
	v_add_co_ci_u32_e64 v7, null, v7, v1, vcc_lo
	v_add_co_u32 v2, vcc_lo, v2, v8
	v_lshlrev_b64_e32 v[0:1], 3, v[15:16]
	s_wait_alu 0xfffd
	v_add_co_ci_u32_e64 v3, null, 0, v3, vcc_lo
	s_delay_alu instid0(VALU_DEP_3) | instskip(SKIP_1) | instid1(VALU_DEP_2)
	v_add_co_u32 v2, vcc_lo, v2, v15
	s_wait_alu 0xfffd
	v_add_co_ci_u32_e64 v3, null, 0, v3, vcc_lo
	v_add_co_u32 v0, vcc_lo, v6, v0
	s_wait_alu 0xfffd
	v_add_co_ci_u32_e64 v1, null, v7, v1, vcc_lo
	flat_store_b8 v[2:3], v9
	flat_store_b64 v[0:1], v[4:5]
.LBB1640_198:
	s_wait_alu 0xfffe
	s_or_b32 exec_lo, exec_lo, s0
.LBB1640_199:
	s_wait_alu 0xfffe
	s_or_b32 exec_lo, exec_lo, s16
	s_wait_loadcnt_dscnt 0x0
	s_setpc_b64 s[30:31]
.Lfunc_end1640:
	.size	_ZN7rocprim17ROCPRIM_400000_NS6detail40segmented_radix_sort_single_block_helperIblLj256ELj8ELb0EE4sortIPKbPbPKlPlEEbT_T0_T1_T2_jjjjRNS3_12storage_typeE, .Lfunc_end1640-_ZN7rocprim17ROCPRIM_400000_NS6detail40segmented_radix_sort_single_block_helperIblLj256ELj8ELb0EE4sortIPKbPbPKlPlEEbT_T0_T1_T2_jjjjRNS3_12storage_typeE
                                        ; -- End function
	.set .L_ZN7rocprim17ROCPRIM_400000_NS6detail40segmented_radix_sort_single_block_helperIblLj256ELj8ELb0EE4sortIPKbPbPKlPlEEbT_T0_T1_T2_jjjjRNS3_12storage_typeE.num_vgpr, 197
	.set .L_ZN7rocprim17ROCPRIM_400000_NS6detail40segmented_radix_sort_single_block_helperIblLj256ELj8ELb0EE4sortIPKbPbPKlPlEEbT_T0_T1_T2_jjjjRNS3_12storage_typeE.num_agpr, 0
	.set .L_ZN7rocprim17ROCPRIM_400000_NS6detail40segmented_radix_sort_single_block_helperIblLj256ELj8ELb0EE4sortIPKbPbPKlPlEEbT_T0_T1_T2_jjjjRNS3_12storage_typeE.numbered_sgpr, 32
	.set .L_ZN7rocprim17ROCPRIM_400000_NS6detail40segmented_radix_sort_single_block_helperIblLj256ELj8ELb0EE4sortIPKbPbPKlPlEEbT_T0_T1_T2_jjjjRNS3_12storage_typeE.num_named_barrier, 0
	.set .L_ZN7rocprim17ROCPRIM_400000_NS6detail40segmented_radix_sort_single_block_helperIblLj256ELj8ELb0EE4sortIPKbPbPKlPlEEbT_T0_T1_T2_jjjjRNS3_12storage_typeE.private_seg_size, 0
	.set .L_ZN7rocprim17ROCPRIM_400000_NS6detail40segmented_radix_sort_single_block_helperIblLj256ELj8ELb0EE4sortIPKbPbPKlPlEEbT_T0_T1_T2_jjjjRNS3_12storage_typeE.uses_vcc, 1
	.set .L_ZN7rocprim17ROCPRIM_400000_NS6detail40segmented_radix_sort_single_block_helperIblLj256ELj8ELb0EE4sortIPKbPbPKlPlEEbT_T0_T1_T2_jjjjRNS3_12storage_typeE.uses_flat_scratch, 0
	.set .L_ZN7rocprim17ROCPRIM_400000_NS6detail40segmented_radix_sort_single_block_helperIblLj256ELj8ELb0EE4sortIPKbPbPKlPlEEbT_T0_T1_T2_jjjjRNS3_12storage_typeE.has_dyn_sized_stack, 0
	.set .L_ZN7rocprim17ROCPRIM_400000_NS6detail40segmented_radix_sort_single_block_helperIblLj256ELj8ELb0EE4sortIPKbPbPKlPlEEbT_T0_T1_T2_jjjjRNS3_12storage_typeE.has_recursion, 0
	.set .L_ZN7rocprim17ROCPRIM_400000_NS6detail40segmented_radix_sort_single_block_helperIblLj256ELj8ELb0EE4sortIPKbPbPKlPlEEbT_T0_T1_T2_jjjjRNS3_12storage_typeE.has_indirect_call, 0
	.section	.AMDGPU.csdata,"",@progbits
; Function info:
; codeLenInByte = 14280
; TotalNumSgprs: 34
; NumVgprs: 197
; ScratchSize: 0
; MemoryBound: 1
	.section	.text._ZN7rocprim17ROCPRIM_400000_NS6detail17trampoline_kernelINS0_14default_configENS1_36segmented_radix_sort_config_selectorIblEEZNS1_25segmented_radix_sort_implIS3_Lb0EPKbPbPKlPlN2at6native12_GLOBAL__N_18offset_tEEE10hipError_tPvRmT1_PNSt15iterator_traitsISK_E10value_typeET2_T3_PNSL_ISQ_E10value_typeET4_jRbjT5_SW_jjP12ihipStream_tbEUlT_E_NS1_11comp_targetILNS1_3genE10ELNS1_11target_archE1201ELNS1_3gpuE5ELNS1_3repE0EEENS1_30default_config_static_selectorELNS0_4arch9wavefront6targetE0EEEvSK_,"axG",@progbits,_ZN7rocprim17ROCPRIM_400000_NS6detail17trampoline_kernelINS0_14default_configENS1_36segmented_radix_sort_config_selectorIblEEZNS1_25segmented_radix_sort_implIS3_Lb0EPKbPbPKlPlN2at6native12_GLOBAL__N_18offset_tEEE10hipError_tPvRmT1_PNSt15iterator_traitsISK_E10value_typeET2_T3_PNSL_ISQ_E10value_typeET4_jRbjT5_SW_jjP12ihipStream_tbEUlT_E_NS1_11comp_targetILNS1_3genE10ELNS1_11target_archE1201ELNS1_3gpuE5ELNS1_3repE0EEENS1_30default_config_static_selectorELNS0_4arch9wavefront6targetE0EEEvSK_,comdat
	.globl	_ZN7rocprim17ROCPRIM_400000_NS6detail17trampoline_kernelINS0_14default_configENS1_36segmented_radix_sort_config_selectorIblEEZNS1_25segmented_radix_sort_implIS3_Lb0EPKbPbPKlPlN2at6native12_GLOBAL__N_18offset_tEEE10hipError_tPvRmT1_PNSt15iterator_traitsISK_E10value_typeET2_T3_PNSL_ISQ_E10value_typeET4_jRbjT5_SW_jjP12ihipStream_tbEUlT_E_NS1_11comp_targetILNS1_3genE10ELNS1_11target_archE1201ELNS1_3gpuE5ELNS1_3repE0EEENS1_30default_config_static_selectorELNS0_4arch9wavefront6targetE0EEEvSK_ ; -- Begin function _ZN7rocprim17ROCPRIM_400000_NS6detail17trampoline_kernelINS0_14default_configENS1_36segmented_radix_sort_config_selectorIblEEZNS1_25segmented_radix_sort_implIS3_Lb0EPKbPbPKlPlN2at6native12_GLOBAL__N_18offset_tEEE10hipError_tPvRmT1_PNSt15iterator_traitsISK_E10value_typeET2_T3_PNSL_ISQ_E10value_typeET4_jRbjT5_SW_jjP12ihipStream_tbEUlT_E_NS1_11comp_targetILNS1_3genE10ELNS1_11target_archE1201ELNS1_3gpuE5ELNS1_3repE0EEENS1_30default_config_static_selectorELNS0_4arch9wavefront6targetE0EEEvSK_
	.p2align	8
	.type	_ZN7rocprim17ROCPRIM_400000_NS6detail17trampoline_kernelINS0_14default_configENS1_36segmented_radix_sort_config_selectorIblEEZNS1_25segmented_radix_sort_implIS3_Lb0EPKbPbPKlPlN2at6native12_GLOBAL__N_18offset_tEEE10hipError_tPvRmT1_PNSt15iterator_traitsISK_E10value_typeET2_T3_PNSL_ISQ_E10value_typeET4_jRbjT5_SW_jjP12ihipStream_tbEUlT_E_NS1_11comp_targetILNS1_3genE10ELNS1_11target_archE1201ELNS1_3gpuE5ELNS1_3repE0EEENS1_30default_config_static_selectorELNS0_4arch9wavefront6targetE0EEEvSK_,@function
_ZN7rocprim17ROCPRIM_400000_NS6detail17trampoline_kernelINS0_14default_configENS1_36segmented_radix_sort_config_selectorIblEEZNS1_25segmented_radix_sort_implIS3_Lb0EPKbPbPKlPlN2at6native12_GLOBAL__N_18offset_tEEE10hipError_tPvRmT1_PNSt15iterator_traitsISK_E10value_typeET2_T3_PNSL_ISQ_E10value_typeET4_jRbjT5_SW_jjP12ihipStream_tbEUlT_E_NS1_11comp_targetILNS1_3genE10ELNS1_11target_archE1201ELNS1_3gpuE5ELNS1_3repE0EEENS1_30default_config_static_selectorELNS0_4arch9wavefront6targetE0EEEvSK_: ; @_ZN7rocprim17ROCPRIM_400000_NS6detail17trampoline_kernelINS0_14default_configENS1_36segmented_radix_sort_config_selectorIblEEZNS1_25segmented_radix_sort_implIS3_Lb0EPKbPbPKlPlN2at6native12_GLOBAL__N_18offset_tEEE10hipError_tPvRmT1_PNSt15iterator_traitsISK_E10value_typeET2_T3_PNSL_ISQ_E10value_typeET4_jRbjT5_SW_jjP12ihipStream_tbEUlT_E_NS1_11comp_targetILNS1_3genE10ELNS1_11target_archE1201ELNS1_3gpuE5ELNS1_3repE0EEENS1_30default_config_static_selectorELNS0_4arch9wavefront6targetE0EEEvSK_
; %bb.0:
	s_clause 0x1
	s_load_b64 s[8:9], s[0:1], 0x38
	s_load_b128 s[4:7], s[0:1], 0x40
	s_mov_b32 s2, ttmp9
	s_mov_b32 s3, 0
	s_mov_b32 s32, 0
	s_lshl_b64 s[2:3], s[2:3], 2
	s_wait_kmcnt 0x0
	s_add_nc_u64 s[2:3], s[8:9], s[2:3]
	s_load_b32 s2, s[2:3], 0x0
	s_wait_kmcnt 0x0
	s_add_co_i32 s33, s2, s5
	s_add_co_i32 s34, s2, s7
	s_mul_i32 s33, s33, s4
	s_mul_i32 s34, s34, s6
	s_delay_alu instid0(SALU_CYCLE_1)
	s_cmp_le_u32 s34, s33
	s_cbranch_scc1 .LBB1641_670
; %bb.1:
	s_clause 0x3
	s_load_b32 s2, s[0:1], 0x30
	s_load_b128 s[24:27], s[0:1], 0x20
	s_load_b96 s[44:46], s[0:1], 0x50
	s_load_b256 s[36:43], s[0:1], 0x0
	s_wait_kmcnt 0x0
	s_bitcmp1_b32 s2, 0
	s_mov_b32 s2, -1
	s_cselect_b32 s35, -1, 0
	s_sub_co_i32 s47, s34, s33
	s_delay_alu instid0(SALU_CYCLE_1)
	s_cmp_lt_u32 s47, 0x801
	s_cbranch_scc0 .LBB1641_7
; %bb.2:
	v_cndmask_b32_e64 v1, 0, 1, s35
	s_and_b32 s2, s44, 1
	s_delay_alu instid0(VALU_DEP_1) | instid1(SALU_CYCLE_1)
	v_cmp_ne_u32_e32 vcc_lo, s2, v1
	s_mov_b32 s2, -1
	s_cbranch_vccnz .LBB1641_4
; %bb.3:
	s_mov_b64 s[2:3], src_shared_base
	v_dual_mov_b32 v31, v0 :: v_dual_mov_b32 v40, v0
	v_dual_mov_b32 v0, s36 :: v_dual_mov_b32 v1, s37
	v_dual_mov_b32 v2, s40 :: v_dual_mov_b32 v3, s41
	v_dual_mov_b32 v4, s42 :: v_dual_mov_b32 v5, s43
	v_dual_mov_b32 v6, s26 :: v_dual_mov_b32 v7, s27
	v_dual_mov_b32 v8, s33 :: v_dual_mov_b32 v9, s34
	v_dual_mov_b32 v10, s45 :: v_dual_mov_b32 v11, s46
	s_wait_alu 0xfffe
	v_dual_mov_b32 v12, 0 :: v_dual_mov_b32 v13, s3
	s_add_nc_u64 s[8:9], s[0:1], 0x60
	s_getpc_b64 s[4:5]
	s_sext_i32_i16 s5, s5
	s_add_co_u32 s4, s4, _ZN7rocprim17ROCPRIM_400000_NS6detail40segmented_radix_sort_single_block_helperIblLj256ELj8ELb0EE4sortIPKbPbPKlPlEEbT_T0_T1_T2_jjjjRNS3_12storage_typeE@rel32@lo+8
	s_add_co_ci_u32 s5, s5, _ZN7rocprim17ROCPRIM_400000_NS6detail40segmented_radix_sort_single_block_helperIblLj256ELj8ELb0EE4sortIPKbPbPKlPlEEbT_T0_T1_T2_jjjjRNS3_12storage_typeE@rel32@hi+16
	s_mov_b64 s[22:23], s[0:1]
	s_swappc_b64 s[30:31], s[4:5]
	v_mov_b32_e32 v0, v40
	s_mov_b64 s[0:1], s[22:23]
	s_mov_b32 s2, 0
.LBB1641_4:
	s_wait_alu 0xfffe
	s_and_not1_b32 vcc_lo, exec_lo, s2
	s_wait_alu 0xfffe
	s_cbranch_vccnz .LBB1641_6
; %bb.5:
	s_mov_b64 s[2:3], src_shared_base
	v_dual_mov_b32 v31, v0 :: v_dual_mov_b32 v40, v0
	v_dual_mov_b32 v0, s36 :: v_dual_mov_b32 v1, s37
	;; [unrolled: 1-line block ×7, first 2 shown]
	s_wait_alu 0xfffe
	v_dual_mov_b32 v12, 0 :: v_dual_mov_b32 v13, s3
	s_add_nc_u64 s[8:9], s[0:1], 0x60
	s_getpc_b64 s[4:5]
	s_wait_alu 0xfffe
	s_sext_i32_i16 s5, s5
	s_add_co_u32 s4, s4, _ZN7rocprim17ROCPRIM_400000_NS6detail40segmented_radix_sort_single_block_helperIblLj256ELj8ELb0EE4sortIPKbPbPKlPlEEbT_T0_T1_T2_jjjjRNS3_12storage_typeE@rel32@lo+12
	s_wait_alu 0xfffe
	s_add_co_ci_u32 s5, s5, _ZN7rocprim17ROCPRIM_400000_NS6detail40segmented_radix_sort_single_block_helperIblLj256ELj8ELb0EE4sortIPKbPbPKlPlEEbT_T0_T1_T2_jjjjRNS3_12storage_typeE@rel32@hi+24
	s_mov_b64 s[22:23], s[0:1]
	s_wait_alu 0xfffe
	s_swappc_b64 s[30:31], s[4:5]
	v_mov_b32_e32 v0, v40
	s_mov_b64 s[0:1], s[22:23]
.LBB1641_6:
	s_mov_b32 s2, 0
.LBB1641_7:
	s_wait_alu 0xfffe
	s_and_not1_b32 vcc_lo, exec_lo, s2
	s_wait_alu 0xfffe
	s_cbranch_vccnz .LBB1641_670
; %bb.8:
	s_cmp_ge_u32 s45, s46
	s_cbranch_scc1 .LBB1641_670
; %bb.9:
	v_and_b32_e32 v1, 0x3ff, v0
	v_dual_mov_b32 v61, 1 :: v_dual_and_b32 v2, 3, v0
	v_lshrrev_b32_e32 v4, 3, v0
	v_mbcnt_lo_u32_b32 v58, -1, 0
	s_delay_alu instid0(VALU_DEP_4) | instskip(NEXT) | instid1(VALU_DEP_4)
	v_or_b32_e32 v5, 31, v1
	v_lshlrev_b32_e32 v39, 2, v2
	v_lshlrev_b32_e32 v2, 3, v1
	v_and_b32_e32 v38, 28, v4
	v_lshlrev_b32_e32 v4, 5, v1
	v_cmp_eq_u32_e64 s3, v1, v5
	v_dual_mov_b32 v3, 0 :: v_dual_lshlrev_b32 v28, 2, v1
	v_and_b32_e32 v2, 0x700, v2
	s_delay_alu instid0(VALU_DEP_4) | instskip(SKIP_2) | instid1(VALU_DEP_4)
	v_sub_nc_u32_e32 v46, 0, v4
	v_lshlrev_b32_e32 v66, 3, v58
	v_add_co_u32 v32, s2, s40, v1
	v_lshlrev_b32_e32 v5, 3, v2
	v_mad_u32_u24 v40, v1, 12, v28
	v_or_b32_e32 v68, v58, v2
	v_or_b32_e32 v29, 0x100, v1
	;; [unrolled: 1-line block ×3, first 2 shown]
	v_add_co_u32 v4, s8, s26, v5
	s_wait_alu 0xf1ff
	v_add_co_ci_u32_e64 v6, null, s27, 0, s8
	v_add_co_u32 v7, s8, s40, v2
	s_wait_alu 0xf1ff
	v_add_co_ci_u32_e64 v8, null, s41, 0, s8
	;; [unrolled: 3-line block ×6, first 2 shown]
	v_add_co_u32 v56, s8, s42, v5
	v_add_co_u32 v69, vcc_lo, v4, v66
	s_wait_alu 0xf1ff
	v_add_co_ci_u32_e64 v57, null, s43, 0, s8
	v_add_co_u32 v59, s8, s36, v2
	s_wait_alu 0xfffd
	v_add_co_ci_u32_e64 v70, null, 0, v6, vcc_lo
	v_add_co_u32 v78, vcc_lo, v7, v58
	v_or_b32_e32 v31, 0x300, v1
	v_add_co_ci_u32_e64 v33, null, s41, 0, s2
	v_or_b32_e32 v34, 0x400, v1
	v_or_b32_e32 v35, 0x500, v1
	;; [unrolled: 1-line block ×4, first 2 shown]
	v_cmp_gt_u32_e64 s2, 0x100, v1
	v_or_b32_e32 v41, 0x4400, v38
	v_cmp_gt_u32_e64 s4, 8, v1
	v_add_nc_u32_e32 v42, 0x4400, v28
	v_cmp_lt_u32_e64 s5, 31, v1
	v_add_nc_u32_e32 v43, 0x43fc, v38
	v_bfe_u32 v44, v0, 20, 10
	v_bfe_u32 v0, v0, 10, 10
	v_mad_u32_u24 v45, v1, 20, v40
	v_cmp_eq_u32_e64 s6, 0, v1
	v_cmp_ne_u32_e64 s7, 0xff, v1
	v_mul_u32_u24_e32 v47, 7, v1
	s_wait_alu 0xf1ff
	v_add_co_ci_u32_e64 v60, null, s37, 0, s8
	v_and_b32_e32 v62, 15, v58
	v_bfe_i32 v63, v58, 4, 1
	v_and_b32_e32 v64, 16, v58
	v_and_b32_e32 v65, 7, v58
	v_sub_co_u32 v67, s8, v58, 1
	v_or_b32_e32 v71, 32, v68
	v_or_b32_e32 v72, 64, v68
	;; [unrolled: 1-line block ×7, first 2 shown]
	s_wait_alu 0xfffd
	v_add_co_ci_u32_e64 v79, null, 0, v8, vcc_lo
	s_add_nc_u64 s[28:29], s[0:1], 0x60
	s_mov_b32 s23, 0
	s_mov_b32 s30, s45
	s_branch .LBB1641_12
.LBB1641_10:                            ;   in Loop: Header=BB1641_12 Depth=1
	s_wait_loadcnt_dscnt 0x0
	s_barrier_signal -1
	s_barrier_wait -1
.LBB1641_11:                            ;   in Loop: Header=BB1641_12 Depth=1
	s_add_co_i32 s30, s30, 8
	global_inv scope:SCOPE_SE
	s_wait_alu 0xfffe
	s_cmp_ge_u32 s30, s46
	s_cbranch_scc1 .LBB1641_670
.LBB1641_12:                            ; =>This Loop Header: Depth=1
                                        ;     Child Loop BB1641_16 Depth 2
                                        ;     Child Loop BB1641_64 Depth 2
	;; [unrolled: 1-line block ×8, first 2 shown]
	s_wait_alu 0xfffe
	s_sub_co_i32 s0, s46, s30
	s_xor_b32 s35, s35, -1
	s_wait_alu 0xfffe
	s_min_u32 s0, s0, 8
	ds_store_2addr_stride64_b32 v28, v3, v3 offset1:4
	s_wait_alu 0xfffe
	s_lshl_b32 s0, -1, s0
	ds_store_2addr_stride64_b32 v28, v3, v3 offset0:8 offset1:12
	s_wait_alu 0xfffe
	s_not_b32 s31, s0
	s_cmp_lg_u32 s30, s45
	s_mov_b32 s0, -1
	s_wait_storecnt_dscnt 0x0
	s_cbranch_scc0 .LBB1641_342
; %bb.13:                               ;   in Loop: Header=BB1641_12 Depth=1
	s_and_b32 vcc_lo, exec_lo, s35
	s_wait_alu 0xfffe
	s_cbranch_vccz .LBB1641_177
; %bb.14:                               ;   in Loop: Header=BB1641_12 Depth=1
	v_dual_mov_b32 v7, 0 :: v_dual_mov_b32 v10, 0
	v_dual_mov_b32 v9, 0 :: v_dual_mov_b32 v8, 0
	;; [unrolled: 1-line block ×3, first 2 shown]
	v_mov_b32_e32 v4, 0
	v_mov_b32_e32 v2, 0
	s_mov_b32 s9, s47
	s_mov_b32 s22, s33
	s_barrier_signal -1
	s_barrier_wait -1
	global_inv scope:SCOPE_SE
	s_branch .LBB1641_16
.LBB1641_15:                            ;   in Loop: Header=BB1641_16 Depth=2
	s_wait_alu 0xfffe
	s_or_b32 exec_lo, exec_lo, s0
	s_addk_co_i32 s9, 0xf800
	s_cmp_ge_u32 s10, s34
	s_mov_b32 s22, s10
	s_cbranch_scc1 .LBB1641_52
.LBB1641_16:                            ;   Parent Loop BB1641_12 Depth=1
                                        ; =>  This Inner Loop Header: Depth=2
	s_wait_alu 0xfffe
	s_add_co_i32 s10, s22, 0x800
	s_mov_b32 s0, -1
	s_wait_alu 0xfffe
	s_cmp_gt_u32 s10, s34
                                        ; implicit-def: $vgpr11
                                        ; implicit-def: $vgpr12
                                        ; implicit-def: $vgpr13
                                        ; implicit-def: $vgpr14
                                        ; implicit-def: $vgpr15
                                        ; implicit-def: $vgpr16
                                        ; implicit-def: $vgpr17
                                        ; implicit-def: $vgpr18
	s_cbranch_scc1 .LBB1641_18
; %bb.17:                               ;   in Loop: Header=BB1641_16 Depth=2
	v_add_co_u32 v19, vcc_lo, v32, s22
	s_wait_alu 0xfffd
	v_add_co_ci_u32_e64 v20, null, 0, v33, vcc_lo
	s_mov_b32 s0, 0
	s_clause 0x7
	global_load_u8 v18, v[19:20], off offset:1792
	global_load_u8 v17, v[19:20], off offset:1536
	;; [unrolled: 1-line block ×7, first 2 shown]
	global_load_u8 v11, v[19:20], off
.LBB1641_18:                            ;   in Loop: Header=BB1641_16 Depth=2
	s_wait_alu 0xfffe
	s_and_not1_b32 vcc_lo, exec_lo, s0
	s_movk_i32 s0, 0x800
	s_wait_alu 0xfffe
	s_cbranch_vccnz .LBB1641_29
; %bb.19:                               ;   in Loop: Header=BB1641_16 Depth=2
	s_add_nc_u64 s[0:1], s[40:41], s[22:23]
	s_mov_b32 s11, exec_lo
	v_cmpx_gt_u32_e64 s9, v1
	s_cbranch_execnz .LBB1641_45
; %bb.20:                               ;   in Loop: Header=BB1641_16 Depth=2
	s_wait_alu 0xfffe
	s_or_b32 exec_lo, exec_lo, s11
	s_delay_alu instid0(SALU_CYCLE_1)
	s_mov_b32 s11, exec_lo
	v_cmpx_gt_u32_e64 s9, v29
	s_cbranch_execnz .LBB1641_46
.LBB1641_21:                            ;   in Loop: Header=BB1641_16 Depth=2
	s_wait_alu 0xfffe
	s_or_b32 exec_lo, exec_lo, s11
	s_delay_alu instid0(SALU_CYCLE_1)
	s_mov_b32 s11, exec_lo
	v_cmpx_gt_u32_e64 s9, v30
	s_cbranch_execnz .LBB1641_47
.LBB1641_22:                            ;   in Loop: Header=BB1641_16 Depth=2
	s_wait_alu 0xfffe
	s_or_b32 exec_lo, exec_lo, s11
	s_delay_alu instid0(SALU_CYCLE_1)
	s_mov_b32 s11, exec_lo
	v_cmpx_gt_u32_e64 s9, v31
	s_cbranch_execnz .LBB1641_48
.LBB1641_23:                            ;   in Loop: Header=BB1641_16 Depth=2
	s_wait_alu 0xfffe
	s_or_b32 exec_lo, exec_lo, s11
	s_delay_alu instid0(SALU_CYCLE_1)
	s_mov_b32 s11, exec_lo
	v_cmpx_gt_u32_e64 s9, v34
	s_cbranch_execnz .LBB1641_49
.LBB1641_24:                            ;   in Loop: Header=BB1641_16 Depth=2
	s_wait_alu 0xfffe
	s_or_b32 exec_lo, exec_lo, s11
	s_delay_alu instid0(SALU_CYCLE_1)
	s_mov_b32 s11, exec_lo
	v_cmpx_gt_u32_e64 s9, v35
	s_cbranch_execnz .LBB1641_50
.LBB1641_25:                            ;   in Loop: Header=BB1641_16 Depth=2
	s_wait_alu 0xfffe
	s_or_b32 exec_lo, exec_lo, s11
	s_delay_alu instid0(SALU_CYCLE_1)
	s_mov_b32 s11, exec_lo
	v_cmpx_gt_u32_e64 s9, v36
	s_cbranch_execnz .LBB1641_51
.LBB1641_26:                            ;   in Loop: Header=BB1641_16 Depth=2
	s_wait_alu 0xfffe
	s_or_b32 exec_lo, exec_lo, s11
	s_delay_alu instid0(SALU_CYCLE_1)
	s_mov_b32 s11, exec_lo
	v_cmpx_gt_u32_e64 s9, v37
	s_cbranch_execz .LBB1641_28
.LBB1641_27:                            ;   in Loop: Header=BB1641_16 Depth=2
	s_wait_loadcnt 0x0
	v_add_co_u32 v11, s0, s0, v1
	s_wait_alu 0xf1ff
	v_add_co_ci_u32_e64 v12, null, s1, 0, s0
	global_load_u8 v2, v[11:12], off offset:1792
.LBB1641_28:                            ;   in Loop: Header=BB1641_16 Depth=2
	s_wait_alu 0xfffe
	s_or_b32 exec_lo, exec_lo, s11
	s_wait_loadcnt 0x0
	v_dual_mov_b32 v11, v7 :: v_dual_mov_b32 v12, v10
	v_dual_mov_b32 v13, v9 :: v_dual_mov_b32 v14, v8
	v_dual_mov_b32 v15, v6 :: v_dual_mov_b32 v16, v5
	v_dual_mov_b32 v17, v4 :: v_dual_mov_b32 v18, v2
	s_mov_b32 s0, s9
.LBB1641_29:                            ;   in Loop: Header=BB1641_16 Depth=2
	s_wait_loadcnt 0x5
	s_delay_alu instid0(VALU_DEP_1)
	v_dual_mov_b32 v2, v18 :: v_dual_mov_b32 v5, v16
	s_wait_loadcnt 0x2
	v_dual_mov_b32 v4, v17 :: v_dual_mov_b32 v9, v13
	s_wait_loadcnt 0x0
	v_dual_mov_b32 v6, v15 :: v_dual_mov_b32 v7, v11
	v_mov_b32_e32 v8, v14
	v_mov_b32_e32 v10, v12
	s_mov_b32 s1, exec_lo
	s_wait_alu 0xfffe
	v_cmpx_gt_u32_e64 s0, v1
	s_cbranch_execnz .LBB1641_37
; %bb.30:                               ;   in Loop: Header=BB1641_16 Depth=2
	s_or_b32 exec_lo, exec_lo, s1
	s_delay_alu instid0(SALU_CYCLE_1)
	s_mov_b32 s1, exec_lo
	v_cmpx_gt_u32_e64 s0, v29
	s_cbranch_execnz .LBB1641_38
.LBB1641_31:                            ;   in Loop: Header=BB1641_16 Depth=2
	s_wait_alu 0xfffe
	s_or_b32 exec_lo, exec_lo, s1
	s_delay_alu instid0(SALU_CYCLE_1)
	s_mov_b32 s1, exec_lo
	v_cmpx_gt_u32_e64 s0, v30
	s_cbranch_execnz .LBB1641_39
.LBB1641_32:                            ;   in Loop: Header=BB1641_16 Depth=2
	s_wait_alu 0xfffe
	s_or_b32 exec_lo, exec_lo, s1
	s_delay_alu instid0(SALU_CYCLE_1)
	s_mov_b32 s1, exec_lo
	v_cmpx_gt_u32_e64 s0, v31
	s_cbranch_execnz .LBB1641_40
.LBB1641_33:                            ;   in Loop: Header=BB1641_16 Depth=2
	s_wait_alu 0xfffe
	s_or_b32 exec_lo, exec_lo, s1
	s_delay_alu instid0(SALU_CYCLE_1)
	s_mov_b32 s1, exec_lo
	v_cmpx_gt_u32_e64 s0, v34
	s_cbranch_execnz .LBB1641_41
.LBB1641_34:                            ;   in Loop: Header=BB1641_16 Depth=2
	s_wait_alu 0xfffe
	s_or_b32 exec_lo, exec_lo, s1
	s_delay_alu instid0(SALU_CYCLE_1)
	s_mov_b32 s1, exec_lo
	v_cmpx_gt_u32_e64 s0, v35
	s_cbranch_execnz .LBB1641_42
.LBB1641_35:                            ;   in Loop: Header=BB1641_16 Depth=2
	s_wait_alu 0xfffe
	s_or_b32 exec_lo, exec_lo, s1
	s_delay_alu instid0(SALU_CYCLE_1)
	s_mov_b32 s1, exec_lo
	v_cmpx_gt_u32_e64 s0, v36
	s_cbranch_execnz .LBB1641_43
.LBB1641_36:                            ;   in Loop: Header=BB1641_16 Depth=2
	s_wait_alu 0xfffe
	s_or_b32 exec_lo, exec_lo, s1
	v_cmp_gt_u32_e32 vcc_lo, s0, v37
	s_and_saveexec_b32 s0, vcc_lo
	s_cbranch_execz .LBB1641_15
	s_branch .LBB1641_44
.LBB1641_37:                            ;   in Loop: Header=BB1641_16 Depth=2
	v_and_b32_e32 v11, 1, v7
	s_delay_alu instid0(VALU_DEP_1) | instskip(NEXT) | instid1(VALU_DEP_1)
	v_lshrrev_b32_e32 v11, s30, v11
	v_and_b32_e32 v11, s31, v11
	s_delay_alu instid0(VALU_DEP_1) | instskip(SKIP_2) | instid1(SALU_CYCLE_1)
	v_lshl_or_b32 v11, v11, 4, v39
	ds_add_u32 v11, v61
	s_or_b32 exec_lo, exec_lo, s1
	s_mov_b32 s1, exec_lo
	v_cmpx_gt_u32_e64 s0, v29
	s_cbranch_execz .LBB1641_31
.LBB1641_38:                            ;   in Loop: Header=BB1641_16 Depth=2
	v_and_b32_e32 v11, 1, v10
	s_delay_alu instid0(VALU_DEP_1) | instskip(NEXT) | instid1(VALU_DEP_1)
	v_lshrrev_b32_e32 v11, s30, v11
	v_and_b32_e32 v11, s31, v11
	s_delay_alu instid0(VALU_DEP_1) | instskip(SKIP_3) | instid1(SALU_CYCLE_1)
	v_lshl_or_b32 v11, v11, 4, v39
	ds_add_u32 v11, v61
	s_wait_alu 0xfffe
	s_or_b32 exec_lo, exec_lo, s1
	s_mov_b32 s1, exec_lo
	v_cmpx_gt_u32_e64 s0, v30
	s_cbranch_execz .LBB1641_32
.LBB1641_39:                            ;   in Loop: Header=BB1641_16 Depth=2
	v_and_b32_e32 v11, 1, v9
	s_delay_alu instid0(VALU_DEP_1) | instskip(NEXT) | instid1(VALU_DEP_1)
	v_lshrrev_b32_e32 v11, s30, v11
	v_and_b32_e32 v11, s31, v11
	s_delay_alu instid0(VALU_DEP_1) | instskip(SKIP_3) | instid1(SALU_CYCLE_1)
	v_lshl_or_b32 v11, v11, 4, v39
	ds_add_u32 v11, v61
	s_wait_alu 0xfffe
	s_or_b32 exec_lo, exec_lo, s1
	s_mov_b32 s1, exec_lo
	v_cmpx_gt_u32_e64 s0, v31
	s_cbranch_execz .LBB1641_33
.LBB1641_40:                            ;   in Loop: Header=BB1641_16 Depth=2
	v_and_b32_e32 v11, 1, v8
	s_delay_alu instid0(VALU_DEP_1) | instskip(NEXT) | instid1(VALU_DEP_1)
	v_lshrrev_b32_e32 v11, s30, v11
	v_and_b32_e32 v11, s31, v11
	s_delay_alu instid0(VALU_DEP_1) | instskip(SKIP_3) | instid1(SALU_CYCLE_1)
	v_lshl_or_b32 v11, v11, 4, v39
	ds_add_u32 v11, v61
	s_wait_alu 0xfffe
	s_or_b32 exec_lo, exec_lo, s1
	s_mov_b32 s1, exec_lo
	v_cmpx_gt_u32_e64 s0, v34
	s_cbranch_execz .LBB1641_34
.LBB1641_41:                            ;   in Loop: Header=BB1641_16 Depth=2
	v_and_b32_e32 v11, 1, v6
	s_delay_alu instid0(VALU_DEP_1) | instskip(NEXT) | instid1(VALU_DEP_1)
	v_lshrrev_b32_e32 v11, s30, v11
	v_and_b32_e32 v11, s31, v11
	s_delay_alu instid0(VALU_DEP_1) | instskip(SKIP_3) | instid1(SALU_CYCLE_1)
	v_lshl_or_b32 v11, v11, 4, v39
	ds_add_u32 v11, v61
	s_wait_alu 0xfffe
	s_or_b32 exec_lo, exec_lo, s1
	s_mov_b32 s1, exec_lo
	v_cmpx_gt_u32_e64 s0, v35
	s_cbranch_execz .LBB1641_35
.LBB1641_42:                            ;   in Loop: Header=BB1641_16 Depth=2
	v_and_b32_e32 v11, 1, v5
	s_delay_alu instid0(VALU_DEP_1) | instskip(NEXT) | instid1(VALU_DEP_1)
	v_lshrrev_b32_e32 v11, s30, v11
	v_and_b32_e32 v11, s31, v11
	s_delay_alu instid0(VALU_DEP_1) | instskip(SKIP_3) | instid1(SALU_CYCLE_1)
	v_lshl_or_b32 v11, v11, 4, v39
	ds_add_u32 v11, v61
	s_wait_alu 0xfffe
	s_or_b32 exec_lo, exec_lo, s1
	s_mov_b32 s1, exec_lo
	v_cmpx_gt_u32_e64 s0, v36
	s_cbranch_execz .LBB1641_36
.LBB1641_43:                            ;   in Loop: Header=BB1641_16 Depth=2
	v_and_b32_e32 v11, 1, v4
	s_delay_alu instid0(VALU_DEP_1) | instskip(NEXT) | instid1(VALU_DEP_1)
	v_lshrrev_b32_e32 v11, s30, v11
	v_and_b32_e32 v11, s31, v11
	s_delay_alu instid0(VALU_DEP_1)
	v_lshl_or_b32 v11, v11, 4, v39
	ds_add_u32 v11, v61
	s_wait_alu 0xfffe
	s_or_b32 exec_lo, exec_lo, s1
	v_cmp_gt_u32_e32 vcc_lo, s0, v37
	s_and_saveexec_b32 s0, vcc_lo
	s_cbranch_execz .LBB1641_15
.LBB1641_44:                            ;   in Loop: Header=BB1641_16 Depth=2
	v_and_b32_e32 v11, 1, v2
	s_delay_alu instid0(VALU_DEP_1) | instskip(NEXT) | instid1(VALU_DEP_1)
	v_lshrrev_b32_e32 v11, s30, v11
	v_and_b32_e32 v11, s31, v11
	s_delay_alu instid0(VALU_DEP_1)
	v_lshl_or_b32 v11, v11, 4, v39
	ds_add_u32 v11, v61
	s_branch .LBB1641_15
.LBB1641_45:                            ;   in Loop: Header=BB1641_16 Depth=2
	s_wait_loadcnt 0x0
	s_wait_alu 0xfffe
	v_add_co_u32 v11, s12, s0, v1
	s_wait_alu 0xf1ff
	v_add_co_ci_u32_e64 v12, null, s1, 0, s12
	global_load_u8 v7, v[11:12], off
	s_or_b32 exec_lo, exec_lo, s11
	s_delay_alu instid0(SALU_CYCLE_1)
	s_mov_b32 s11, exec_lo
	v_cmpx_gt_u32_e64 s9, v29
	s_cbranch_execz .LBB1641_21
.LBB1641_46:                            ;   in Loop: Header=BB1641_16 Depth=2
	v_add_co_u32 v10, s12, s0, v1
	s_wait_loadcnt 0x0
	s_wait_alu 0xf1ff
	v_add_co_ci_u32_e64 v11, null, s1, 0, s12
	global_load_u8 v10, v[10:11], off offset:256
	s_wait_alu 0xfffe
	s_or_b32 exec_lo, exec_lo, s11
	s_delay_alu instid0(SALU_CYCLE_1)
	s_mov_b32 s11, exec_lo
	v_cmpx_gt_u32_e64 s9, v30
	s_cbranch_execz .LBB1641_22
.LBB1641_47:                            ;   in Loop: Header=BB1641_16 Depth=2
	s_wait_loadcnt 0x0
	v_add_co_u32 v11, s12, s0, v1
	s_wait_alu 0xf1ff
	v_add_co_ci_u32_e64 v12, null, s1, 0, s12
	global_load_u8 v9, v[11:12], off offset:512
	s_wait_alu 0xfffe
	s_or_b32 exec_lo, exec_lo, s11
	s_delay_alu instid0(SALU_CYCLE_1)
	s_mov_b32 s11, exec_lo
	v_cmpx_gt_u32_e64 s9, v31
	s_cbranch_execz .LBB1641_23
.LBB1641_48:                            ;   in Loop: Header=BB1641_16 Depth=2
	s_wait_loadcnt 0x0
	v_add_co_u32 v11, s12, s0, v1
	s_wait_alu 0xf1ff
	v_add_co_ci_u32_e64 v12, null, s1, 0, s12
	global_load_u8 v8, v[11:12], off offset:768
	s_wait_alu 0xfffe
	s_or_b32 exec_lo, exec_lo, s11
	s_delay_alu instid0(SALU_CYCLE_1)
	s_mov_b32 s11, exec_lo
	v_cmpx_gt_u32_e64 s9, v34
	s_cbranch_execz .LBB1641_24
.LBB1641_49:                            ;   in Loop: Header=BB1641_16 Depth=2
	s_wait_loadcnt 0x0
	v_add_co_u32 v11, s12, s0, v1
	s_wait_alu 0xf1ff
	v_add_co_ci_u32_e64 v12, null, s1, 0, s12
	global_load_u8 v6, v[11:12], off offset:1024
	s_wait_alu 0xfffe
	s_or_b32 exec_lo, exec_lo, s11
	s_delay_alu instid0(SALU_CYCLE_1)
	s_mov_b32 s11, exec_lo
	v_cmpx_gt_u32_e64 s9, v35
	s_cbranch_execz .LBB1641_25
.LBB1641_50:                            ;   in Loop: Header=BB1641_16 Depth=2
	s_wait_loadcnt 0x0
	v_add_co_u32 v11, s12, s0, v1
	s_wait_alu 0xf1ff
	v_add_co_ci_u32_e64 v12, null, s1, 0, s12
	global_load_u8 v5, v[11:12], off offset:1280
	s_wait_alu 0xfffe
	s_or_b32 exec_lo, exec_lo, s11
	s_delay_alu instid0(SALU_CYCLE_1)
	s_mov_b32 s11, exec_lo
	v_cmpx_gt_u32_e64 s9, v36
	s_cbranch_execz .LBB1641_26
.LBB1641_51:                            ;   in Loop: Header=BB1641_16 Depth=2
	s_wait_loadcnt 0x0
	v_add_co_u32 v11, s12, s0, v1
	s_wait_alu 0xf1ff
	v_add_co_ci_u32_e64 v12, null, s1, 0, s12
	global_load_u8 v4, v[11:12], off offset:1536
	s_wait_alu 0xfffe
	s_or_b32 exec_lo, exec_lo, s11
	s_delay_alu instid0(SALU_CYCLE_1)
	s_mov_b32 s11, exec_lo
	v_cmpx_gt_u32_e64 s9, v37
	s_cbranch_execnz .LBB1641_27
	s_branch .LBB1641_28
.LBB1641_52:                            ;   in Loop: Header=BB1641_12 Depth=1
	v_mov_b32_e32 v2, 0
	s_wait_dscnt 0x0
	s_barrier_signal -1
	s_barrier_wait -1
	global_inv scope:SCOPE_SE
	s_and_saveexec_b32 s0, s2
	s_cbranch_execz .LBB1641_54
; %bb.53:                               ;   in Loop: Header=BB1641_12 Depth=1
	ds_load_2addr_b64 v[4:7], v40 offset1:1
	s_wait_dscnt 0x0
	v_add_nc_u32_e32 v2, v5, v4
	s_delay_alu instid0(VALU_DEP_1)
	v_add3_u32 v2, v2, v6, v7
.LBB1641_54:                            ;   in Loop: Header=BB1641_12 Depth=1
	s_wait_alu 0xfffe
	s_or_b32 exec_lo, exec_lo, s0
	s_delay_alu instid0(VALU_DEP_1)
	v_mov_b32_dpp v4, v2 row_shr:1 row_mask:0xf bank_mask:0xf
	v_cmp_eq_u32_e64 s0, 0, v62
	v_cmp_lt_u32_e64 s1, 1, v62
	v_cmp_lt_u32_e64 s9, 3, v62
	;; [unrolled: 1-line block ×3, first 2 shown]
	v_cmp_eq_u32_e64 s11, 0, v64
	s_wait_alu 0xf1ff
	v_cndmask_b32_e64 v4, v4, 0, s0
	s_delay_alu instid0(VALU_DEP_1) | instskip(NEXT) | instid1(VALU_DEP_1)
	v_add_nc_u32_e32 v2, v4, v2
	v_mov_b32_dpp v4, v2 row_shr:2 row_mask:0xf bank_mask:0xf
	s_delay_alu instid0(VALU_DEP_1) | instskip(NEXT) | instid1(VALU_DEP_1)
	v_cndmask_b32_e64 v4, 0, v4, s1
	v_add_nc_u32_e32 v2, v2, v4
	s_delay_alu instid0(VALU_DEP_1) | instskip(NEXT) | instid1(VALU_DEP_1)
	v_mov_b32_dpp v4, v2 row_shr:4 row_mask:0xf bank_mask:0xf
	v_cndmask_b32_e64 v4, 0, v4, s9
	s_delay_alu instid0(VALU_DEP_1) | instskip(NEXT) | instid1(VALU_DEP_1)
	v_add_nc_u32_e32 v2, v2, v4
	v_mov_b32_dpp v4, v2 row_shr:8 row_mask:0xf bank_mask:0xf
	s_delay_alu instid0(VALU_DEP_1) | instskip(NEXT) | instid1(VALU_DEP_1)
	v_cndmask_b32_e64 v4, 0, v4, s10
	v_add_nc_u32_e32 v2, v2, v4
	ds_swizzle_b32 v4, v2 offset:swizzle(BROADCAST,32,15)
	s_wait_dscnt 0x0
	v_and_b32_e32 v4, v63, v4
	s_delay_alu instid0(VALU_DEP_1)
	v_add_nc_u32_e32 v2, v2, v4
	s_and_saveexec_b32 s12, s3
; %bb.55:                               ;   in Loop: Header=BB1641_12 Depth=1
	ds_store_b32 v41, v2
; %bb.56:                               ;   in Loop: Header=BB1641_12 Depth=1
	s_wait_alu 0xfffe
	s_or_b32 exec_lo, exec_lo, s12
	s_wait_loadcnt_dscnt 0x0
	s_barrier_signal -1
	s_barrier_wait -1
	global_inv scope:SCOPE_SE
	s_and_saveexec_b32 s12, s4
	s_cbranch_execz .LBB1641_58
; %bb.57:                               ;   in Loop: Header=BB1641_12 Depth=1
	ds_load_b32 v4, v42
	v_cmp_ne_u32_e32 vcc_lo, 0, v65
	s_wait_dscnt 0x0
	v_mov_b32_dpp v5, v4 row_shr:1 row_mask:0xf bank_mask:0xf
	s_wait_alu 0xfffd
	s_delay_alu instid0(VALU_DEP_1) | instskip(SKIP_1) | instid1(VALU_DEP_2)
	v_cndmask_b32_e32 v5, 0, v5, vcc_lo
	v_cmp_lt_u32_e32 vcc_lo, 1, v65
	v_add_nc_u32_e32 v4, v5, v4
	s_delay_alu instid0(VALU_DEP_1) | instskip(SKIP_1) | instid1(VALU_DEP_1)
	v_mov_b32_dpp v5, v4 row_shr:2 row_mask:0xf bank_mask:0xf
	s_wait_alu 0xfffd
	v_cndmask_b32_e32 v5, 0, v5, vcc_lo
	v_cmp_lt_u32_e32 vcc_lo, 3, v65
	s_delay_alu instid0(VALU_DEP_2) | instskip(NEXT) | instid1(VALU_DEP_1)
	v_add_nc_u32_e32 v4, v4, v5
	v_mov_b32_dpp v5, v4 row_shr:4 row_mask:0xf bank_mask:0xf
	s_wait_alu 0xfffd
	s_delay_alu instid0(VALU_DEP_1) | instskip(NEXT) | instid1(VALU_DEP_1)
	v_cndmask_b32_e32 v5, 0, v5, vcc_lo
	v_add_nc_u32_e32 v4, v4, v5
	ds_store_b32 v42, v4
.LBB1641_58:                            ;   in Loop: Header=BB1641_12 Depth=1
	s_wait_alu 0xfffe
	s_or_b32 exec_lo, exec_lo, s12
	v_mov_b32_e32 v4, 0
	s_wait_loadcnt_dscnt 0x0
	s_barrier_signal -1
	s_barrier_wait -1
	global_inv scope:SCOPE_SE
	s_and_saveexec_b32 s12, s5
; %bb.59:                               ;   in Loop: Header=BB1641_12 Depth=1
	ds_load_b32 v4, v43
; %bb.60:                               ;   in Loop: Header=BB1641_12 Depth=1
	s_wait_alu 0xfffe
	s_or_b32 exec_lo, exec_lo, s12
	v_cmp_gt_i32_e32 vcc_lo, 0, v67
	s_wait_dscnt 0x0
	v_add_nc_u32_e32 v2, v4, v2
	s_wait_loadcnt 0x0
	s_barrier_signal -1
	s_barrier_wait -1
	s_wait_alu 0xfffd
	v_cndmask_b32_e32 v5, v67, v58, vcc_lo
	global_inv scope:SCOPE_SE
	v_lshlrev_b32_e32 v80, 2, v5
	ds_bpermute_b32 v2, v80, v2
	s_and_saveexec_b32 s12, s2
	s_cbranch_execz .LBB1641_62
; %bb.61:                               ;   in Loop: Header=BB1641_12 Depth=1
	s_wait_dscnt 0x0
	v_cndmask_b32_e64 v2, v2, v4, s8
	s_delay_alu instid0(VALU_DEP_1)
	v_add_nc_u32_e32 v2, s33, v2
	ds_store_b32 v28, v2
.LBB1641_62:                            ;   in Loop: Header=BB1641_12 Depth=1
	s_wait_alu 0xfffe
	s_or_b32 exec_lo, exec_lo, s12
	s_clause 0x1
	s_load_b32 s12, s[28:29], 0x4
	s_load_b32 s14, s[28:29], 0xc
	s_mov_b32 s42, s47
                                        ; implicit-def: $vgpr6_vgpr7
                                        ; implicit-def: $vgpr8_vgpr9
                                        ; implicit-def: $vgpr10_vgpr11
                                        ; implicit-def: $vgpr12_vgpr13
                                        ; implicit-def: $vgpr14_vgpr15
                                        ; implicit-def: $vgpr16_vgpr17
                                        ; implicit-def: $vgpr18_vgpr19
                                        ; implicit-def: $vgpr82
                                        ; implicit-def: $vgpr83
                                        ; implicit-def: $vgpr84
                                        ; implicit-def: $vgpr85
                                        ; implicit-def: $vgpr86
                                        ; implicit-def: $vgpr87
                                        ; implicit-def: $vgpr88
                                        ; implicit-def: $vgpr89
	s_wait_kmcnt 0x0
	s_cmp_lt_u32 ttmp7, s12
	s_cselect_b32 s22, 14, 20
	s_wait_alu 0xfffe
	s_add_nc_u64 s[12:13], s[28:29], s[22:23]
	s_mov_b32 s22, s33
	s_load_u16 s12, s[12:13], 0x0
	v_cmp_lt_u32_e64 s13, 1, v65
	s_wait_dscnt 0x0
	s_wait_kmcnt 0x0
	v_mad_u32_u24 v2, v44, s12, v0
	s_and_b32 s12, s14, 0xffff
	v_cmp_lt_u32_e64 s14, 3, v65
	s_wait_alu 0xfffe
	s_delay_alu instid0(VALU_DEP_2) | instskip(SKIP_1) | instid1(VALU_DEP_2)
	v_mad_co_u64_u32 v[4:5], null, v2, s12, v[1:2]
	v_cmp_eq_u32_e64 s12, 0, v65
	v_lshrrev_b32_e32 v2, 3, v4
                                        ; implicit-def: $vgpr4_vgpr5
	s_delay_alu instid0(VALU_DEP_1)
	v_and_b32_e32 v81, 0x1ffffffc, v2
	s_branch .LBB1641_64
.LBB1641_63:                            ;   in Loop: Header=BB1641_64 Depth=2
	s_wait_alu 0xfffe
	s_or_b32 exec_lo, exec_lo, s15
	s_addk_co_i32 s42, 0xf800
	s_cmp_lt_u32 s43, s34
	s_mov_b32 s22, s43
	s_cbranch_scc0 .LBB1641_176
.LBB1641_64:                            ;   Parent Loop BB1641_12 Depth=1
                                        ; =>  This Inner Loop Header: Depth=2
	s_wait_alu 0xfffe
	s_add_co_i32 s43, s22, 0x800
	s_wait_alu 0xfffe
	s_cmp_gt_u32 s43, s34
	s_cbranch_scc1 .LBB1641_66
; %bb.65:                               ;   in Loop: Header=BB1641_64 Depth=2
	v_add_co_u32 v20, vcc_lo, v78, s22
	s_wait_alu 0xfffd
	v_add_co_ci_u32_e64 v21, null, 0, v79, vcc_lo
	s_mov_b32 s15, -1
	s_clause 0x6
	global_load_u8 v90, v[20:21], off
	global_load_u8 v91, v[20:21], off offset:32
	global_load_u8 v92, v[20:21], off offset:64
	;; [unrolled: 1-line block ×6, first 2 shown]
	s_movk_i32 s16, 0x800
	s_cbranch_execz .LBB1641_67
	s_branch .LBB1641_82
.LBB1641_66:                            ;   in Loop: Header=BB1641_64 Depth=2
	s_mov_b32 s15, 0
                                        ; implicit-def: $vgpr90
                                        ; implicit-def: $vgpr91
                                        ; implicit-def: $vgpr92
                                        ; implicit-def: $vgpr93
                                        ; implicit-def: $vgpr94
                                        ; implicit-def: $vgpr95
                                        ; implicit-def: $vgpr96
	s_movk_i32 s16, 0x800
.LBB1641_67:                            ;   in Loop: Header=BB1641_64 Depth=2
	v_add_co_u32 v20, vcc_lo, v78, s22
	s_wait_alu 0xfffd
	v_add_co_ci_u32_e64 v21, null, 0, v79, vcc_lo
	s_wait_loadcnt 0x5
	v_dual_mov_b32 v91, 1 :: v_dual_mov_b32 v90, 1
	s_mov_b32 s15, exec_lo
	v_cmpx_gt_u32_e64 s42, v68
	s_cbranch_execz .LBB1641_69
; %bb.68:                               ;   in Loop: Header=BB1641_64 Depth=2
	global_load_u8 v90, v[20:21], off
.LBB1641_69:                            ;   in Loop: Header=BB1641_64 Depth=2
	s_wait_alu 0xfffe
	s_or_b32 exec_lo, exec_lo, s15
	s_delay_alu instid0(SALU_CYCLE_1)
	s_mov_b32 s15, exec_lo
	v_cmpx_gt_u32_e64 s42, v71
	s_cbranch_execz .LBB1641_71
; %bb.70:                               ;   in Loop: Header=BB1641_64 Depth=2
	global_load_u8 v91, v[20:21], off offset:32
.LBB1641_71:                            ;   in Loop: Header=BB1641_64 Depth=2
	s_wait_alu 0xfffe
	s_or_b32 exec_lo, exec_lo, s15
	s_wait_loadcnt 0x3
	v_dual_mov_b32 v93, 1 :: v_dual_mov_b32 v92, 1
	s_mov_b32 s15, exec_lo
	v_cmpx_gt_u32_e64 s42, v72
	s_cbranch_execz .LBB1641_73
; %bb.72:                               ;   in Loop: Header=BB1641_64 Depth=2
	global_load_u8 v92, v[20:21], off offset:64
.LBB1641_73:                            ;   in Loop: Header=BB1641_64 Depth=2
	s_wait_alu 0xfffe
	s_or_b32 exec_lo, exec_lo, s15
	s_delay_alu instid0(SALU_CYCLE_1)
	s_mov_b32 s15, exec_lo
	v_cmpx_gt_u32_e64 s42, v73
	s_cbranch_execz .LBB1641_75
; %bb.74:                               ;   in Loop: Header=BB1641_64 Depth=2
	global_load_u8 v93, v[20:21], off offset:96
.LBB1641_75:                            ;   in Loop: Header=BB1641_64 Depth=2
	s_wait_alu 0xfffe
	s_or_b32 exec_lo, exec_lo, s15
	s_wait_loadcnt 0x1
	v_dual_mov_b32 v95, 1 :: v_dual_mov_b32 v94, 1
	s_mov_b32 s15, exec_lo
	v_cmpx_gt_u32_e64 s42, v74
	s_cbranch_execz .LBB1641_77
; %bb.76:                               ;   in Loop: Header=BB1641_64 Depth=2
	global_load_u8 v94, v[20:21], off offset:128
.LBB1641_77:                            ;   in Loop: Header=BB1641_64 Depth=2
	s_wait_alu 0xfffe
	s_or_b32 exec_lo, exec_lo, s15
	s_delay_alu instid0(SALU_CYCLE_1)
	s_mov_b32 s15, exec_lo
	v_cmpx_gt_u32_e64 s42, v75
	s_cbranch_execz .LBB1641_79
; %bb.78:                               ;   in Loop: Header=BB1641_64 Depth=2
	global_load_u8 v95, v[20:21], off offset:160
.LBB1641_79:                            ;   in Loop: Header=BB1641_64 Depth=2
	s_wait_alu 0xfffe
	s_or_b32 exec_lo, exec_lo, s15
	s_wait_loadcnt 0x0
	v_mov_b32_e32 v96, 1
	s_mov_b32 s15, exec_lo
	v_cmpx_gt_u32_e64 s42, v76
	s_cbranch_execz .LBB1641_81
; %bb.80:                               ;   in Loop: Header=BB1641_64 Depth=2
	global_load_u8 v96, v[20:21], off offset:192
.LBB1641_81:                            ;   in Loop: Header=BB1641_64 Depth=2
	s_wait_alu 0xfffe
	s_or_b32 exec_lo, exec_lo, s15
	v_cmp_gt_u32_e64 s15, s42, v77
	s_sub_co_i32 s16, s34, s22
.LBB1641_82:                            ;   in Loop: Header=BB1641_64 Depth=2
	v_dual_mov_b32 v97, 1 :: v_dual_mov_b32 v2, s42
	s_wait_alu 0xfffe
	s_and_saveexec_b32 s17, s15
	s_cbranch_execz .LBB1641_84
; %bb.83:                               ;   in Loop: Header=BB1641_64 Depth=2
	v_add_co_u32 v20, vcc_lo, v78, s22
	s_wait_alu 0xfffd
	v_add_co_ci_u32_e64 v21, null, s23, v79, vcc_lo
	v_mov_b32_e32 v2, s16
	global_load_u8 v97, v[20:21], off offset:224
.LBB1641_84:                            ;   in Loop: Header=BB1641_64 Depth=2
	s_wait_alu 0xfffe
	s_or_b32 exec_lo, exec_lo, s17
	s_wait_loadcnt 0x6
	v_and_b32_e32 v20, 0xff, v90
	v_add_nc_u32_e32 v99, 0x438, v45
	v_add_nc_u32_e32 v100, 0x420, v45
	;; [unrolled: 1-line block ×4, first 2 shown]
	v_lshrrev_b32_e32 v20, s30, v20
	ds_store_2addr_b32 v99, v3, v3 offset1:1
	ds_store_2addr_b32 v100, v3, v3 offset1:1
	;; [unrolled: 1-line block ×4, first 2 shown]
	ds_store_b32 v45, v3 offset:1088
	s_wait_loadcnt_dscnt 0x0
	s_barrier_signal -1
	v_and_b32_e32 v21, s31, v20
	s_barrier_wait -1
	global_inv scope:SCOPE_SE
	; wave barrier
	v_add_co_u32 v20, s15, v21, -1
	s_wait_alu 0xf1ff
	v_cndmask_b32_e64 v22, 0, 1, s15
	v_mul_u32_u24_e32 v21, 36, v21
	s_delay_alu instid0(VALU_DEP_2) | instskip(NEXT) | instid1(VALU_DEP_2)
	v_cmp_ne_u32_e32 vcc_lo, 0, v22
	v_add_nc_u32_e32 v104, v81, v21
	s_wait_alu 0xfffd
	v_xor_b32_e32 v20, vcc_lo, v20
	s_delay_alu instid0(VALU_DEP_1) | instskip(NEXT) | instid1(VALU_DEP_1)
	v_and_b32_e32 v20, exec_lo, v20
	v_mbcnt_lo_u32_b32 v98, v20, 0
	v_cmp_ne_u32_e64 s15, 0, v20
	s_delay_alu instid0(VALU_DEP_2)
	v_cmp_eq_u32_e32 vcc_lo, 0, v98
	s_and_b32 s16, s15, vcc_lo
	s_wait_alu 0xfffe
	s_and_saveexec_b32 s15, s16
; %bb.85:                               ;   in Loop: Header=BB1641_64 Depth=2
	v_bcnt_u32_b32 v20, v20, 0
	ds_store_b32 v104, v20 offset:1056
; %bb.86:                               ;   in Loop: Header=BB1641_64 Depth=2
	s_wait_alu 0xfffe
	s_or_b32 exec_lo, exec_lo, s15
	v_and_b32_e32 v20, 0xff, v91
	; wave barrier
	s_delay_alu instid0(VALU_DEP_1) | instskip(NEXT) | instid1(VALU_DEP_1)
	v_lshrrev_b32_e32 v20, s30, v20
	v_and_b32_e32 v21, s31, v20
	s_delay_alu instid0(VALU_DEP_1) | instskip(SKIP_2) | instid1(VALU_DEP_1)
	v_add_co_u32 v20, s15, v21, -1
	s_wait_alu 0xf1ff
	v_cndmask_b32_e64 v22, 0, 1, s15
	v_cmp_ne_u32_e32 vcc_lo, 0, v22
	v_mad_u32_u24 v22, v21, 36, v81
	v_mul_u32_u24_e32 v21, 36, v21
	s_wait_alu 0xfffd
	v_xor_b32_e32 v20, vcc_lo, v20
	ds_load_b32 v103, v22 offset:1056
	v_add_nc_u32_e32 v108, v81, v21
	; wave barrier
	v_and_b32_e32 v20, exec_lo, v20
	s_delay_alu instid0(VALU_DEP_1) | instskip(SKIP_1) | instid1(VALU_DEP_2)
	v_mbcnt_lo_u32_b32 v105, v20, 0
	v_cmp_ne_u32_e64 s15, 0, v20
	v_cmp_eq_u32_e32 vcc_lo, 0, v105
	s_and_b32 s16, s15, vcc_lo
	s_wait_alu 0xfffe
	s_and_saveexec_b32 s15, s16
	s_cbranch_execz .LBB1641_88
; %bb.87:                               ;   in Loop: Header=BB1641_64 Depth=2
	s_wait_dscnt 0x0
	v_bcnt_u32_b32 v20, v20, v103
	ds_store_b32 v108, v20 offset:1056
.LBB1641_88:                            ;   in Loop: Header=BB1641_64 Depth=2
	s_wait_alu 0xfffe
	s_or_b32 exec_lo, exec_lo, s15
	v_and_b32_e32 v20, 0xff, v92
	; wave barrier
	s_delay_alu instid0(VALU_DEP_1) | instskip(NEXT) | instid1(VALU_DEP_1)
	v_lshrrev_b32_e32 v20, s30, v20
	v_and_b32_e32 v21, s31, v20
	s_delay_alu instid0(VALU_DEP_1) | instskip(SKIP_2) | instid1(VALU_DEP_1)
	v_add_co_u32 v20, s15, v21, -1
	s_wait_alu 0xf1ff
	v_cndmask_b32_e64 v22, 0, 1, s15
	v_cmp_ne_u32_e32 vcc_lo, 0, v22
	v_mad_u32_u24 v22, v21, 36, v81
	v_mul_u32_u24_e32 v21, 36, v21
	s_wait_alu 0xfffd
	v_xor_b32_e32 v20, vcc_lo, v20
	ds_load_b32 v106, v22 offset:1056
	v_add_nc_u32_e32 v111, v81, v21
	; wave barrier
	v_and_b32_e32 v20, exec_lo, v20
	s_delay_alu instid0(VALU_DEP_1) | instskip(SKIP_1) | instid1(VALU_DEP_2)
	v_mbcnt_lo_u32_b32 v107, v20, 0
	v_cmp_ne_u32_e64 s15, 0, v20
	v_cmp_eq_u32_e32 vcc_lo, 0, v107
	s_and_b32 s16, s15, vcc_lo
	s_wait_alu 0xfffe
	s_and_saveexec_b32 s15, s16
	s_cbranch_execz .LBB1641_90
; %bb.89:                               ;   in Loop: Header=BB1641_64 Depth=2
	s_wait_dscnt 0x0
	v_bcnt_u32_b32 v20, v20, v106
	ds_store_b32 v111, v20 offset:1056
.LBB1641_90:                            ;   in Loop: Header=BB1641_64 Depth=2
	;; [unrolled: 33-line block ×6, first 2 shown]
	s_wait_alu 0xfffe
	s_or_b32 exec_lo, exec_lo, s15
	v_and_b32_e32 v20, 0xff, v97
	; wave barrier
	s_delay_alu instid0(VALU_DEP_1) | instskip(NEXT) | instid1(VALU_DEP_1)
	v_lshrrev_b32_e32 v20, s30, v20
	v_and_b32_e32 v21, s31, v20
	s_delay_alu instid0(VALU_DEP_1) | instskip(SKIP_2) | instid1(VALU_DEP_1)
	v_add_co_u32 v20, s15, v21, -1
	s_wait_alu 0xf1ff
	v_cndmask_b32_e64 v22, 0, 1, s15
	v_cmp_ne_u32_e32 vcc_lo, 0, v22
	v_mad_u32_u24 v22, v21, 36, v81
	v_mul_u32_u24_e32 v21, 36, v21
	s_wait_alu 0xfffd
	v_xor_b32_e32 v20, vcc_lo, v20
	ds_load_b32 v121, v22 offset:1056
	v_add_nc_u32_e32 v124, v81, v21
	; wave barrier
	v_and_b32_e32 v20, exec_lo, v20
	s_delay_alu instid0(VALU_DEP_1) | instskip(SKIP_1) | instid1(VALU_DEP_2)
	v_mbcnt_lo_u32_b32 v122, v20, 0
	v_cmp_ne_u32_e64 s15, 0, v20
	v_cmp_eq_u32_e32 vcc_lo, 0, v122
	s_and_b32 s16, s15, vcc_lo
	s_wait_alu 0xfffe
	s_and_saveexec_b32 s15, s16
	s_cbranch_execz .LBB1641_100
; %bb.99:                               ;   in Loop: Header=BB1641_64 Depth=2
	s_wait_dscnt 0x0
	v_bcnt_u32_b32 v20, v20, v121
	ds_store_b32 v124, v20 offset:1056
.LBB1641_100:                           ;   in Loop: Header=BB1641_64 Depth=2
	s_wait_alu 0xfffe
	s_or_b32 exec_lo, exec_lo, s15
	; wave barrier
	s_wait_loadcnt_dscnt 0x0
	s_barrier_signal -1
	s_barrier_wait -1
	global_inv scope:SCOPE_SE
	ds_load_2addr_b32 v[26:27], v100 offset1:1
	ds_load_2addr_b32 v[24:25], v101 offset1:1
	;; [unrolled: 1-line block ×4, first 2 shown]
	ds_load_b32 v125, v45 offset:1088
	s_wait_dscnt 0x3
	v_add3_u32 v126, v27, v26, v24
	s_wait_dscnt 0x2
	s_delay_alu instid0(VALU_DEP_1) | instskip(SKIP_1) | instid1(VALU_DEP_1)
	v_add3_u32 v126, v126, v25, v22
	s_wait_dscnt 0x1
	v_add3_u32 v126, v126, v23, v20
	s_wait_dscnt 0x0
	s_delay_alu instid0(VALU_DEP_1) | instskip(NEXT) | instid1(VALU_DEP_1)
	v_add3_u32 v125, v126, v21, v125
	v_mov_b32_dpp v126, v125 row_shr:1 row_mask:0xf bank_mask:0xf
	s_delay_alu instid0(VALU_DEP_1) | instskip(NEXT) | instid1(VALU_DEP_1)
	v_cndmask_b32_e64 v126, v126, 0, s0
	v_add_nc_u32_e32 v125, v126, v125
	s_delay_alu instid0(VALU_DEP_1) | instskip(NEXT) | instid1(VALU_DEP_1)
	v_mov_b32_dpp v126, v125 row_shr:2 row_mask:0xf bank_mask:0xf
	v_cndmask_b32_e64 v126, 0, v126, s1
	s_delay_alu instid0(VALU_DEP_1) | instskip(NEXT) | instid1(VALU_DEP_1)
	v_add_nc_u32_e32 v125, v125, v126
	v_mov_b32_dpp v126, v125 row_shr:4 row_mask:0xf bank_mask:0xf
	s_delay_alu instid0(VALU_DEP_1) | instskip(NEXT) | instid1(VALU_DEP_1)
	v_cndmask_b32_e64 v126, 0, v126, s9
	v_add_nc_u32_e32 v125, v125, v126
	s_delay_alu instid0(VALU_DEP_1) | instskip(NEXT) | instid1(VALU_DEP_1)
	v_mov_b32_dpp v126, v125 row_shr:8 row_mask:0xf bank_mask:0xf
	v_cndmask_b32_e64 v126, 0, v126, s10
	s_delay_alu instid0(VALU_DEP_1) | instskip(SKIP_3) | instid1(VALU_DEP_1)
	v_add_nc_u32_e32 v125, v125, v126
	ds_swizzle_b32 v126, v125 offset:swizzle(BROADCAST,32,15)
	s_wait_dscnt 0x0
	v_cndmask_b32_e64 v126, v126, 0, s11
	v_add_nc_u32_e32 v125, v125, v126
	s_and_saveexec_b32 s15, s3
; %bb.101:                              ;   in Loop: Header=BB1641_64 Depth=2
	ds_store_b32 v38, v125 offset:1024
; %bb.102:                              ;   in Loop: Header=BB1641_64 Depth=2
	s_wait_alu 0xfffe
	s_or_b32 exec_lo, exec_lo, s15
	s_wait_loadcnt_dscnt 0x0
	s_barrier_signal -1
	s_barrier_wait -1
	global_inv scope:SCOPE_SE
	s_and_saveexec_b32 s15, s4
	s_cbranch_execz .LBB1641_104
; %bb.103:                              ;   in Loop: Header=BB1641_64 Depth=2
	v_add_nc_u32_e32 v126, v45, v46
	ds_load_b32 v127, v126 offset:1024
	s_wait_dscnt 0x0
	v_mov_b32_dpp v128, v127 row_shr:1 row_mask:0xf bank_mask:0xf
	s_delay_alu instid0(VALU_DEP_1) | instskip(NEXT) | instid1(VALU_DEP_1)
	v_cndmask_b32_e64 v128, v128, 0, s12
	v_add_nc_u32_e32 v127, v128, v127
	s_delay_alu instid0(VALU_DEP_1) | instskip(NEXT) | instid1(VALU_DEP_1)
	v_mov_b32_dpp v128, v127 row_shr:2 row_mask:0xf bank_mask:0xf
	v_cndmask_b32_e64 v128, 0, v128, s13
	s_delay_alu instid0(VALU_DEP_1) | instskip(NEXT) | instid1(VALU_DEP_1)
	v_add_nc_u32_e32 v127, v127, v128
	v_mov_b32_dpp v128, v127 row_shr:4 row_mask:0xf bank_mask:0xf
	s_delay_alu instid0(VALU_DEP_1) | instskip(NEXT) | instid1(VALU_DEP_1)
	v_cndmask_b32_e64 v128, 0, v128, s14
	v_add_nc_u32_e32 v127, v127, v128
	ds_store_b32 v126, v127 offset:1024
.LBB1641_104:                           ;   in Loop: Header=BB1641_64 Depth=2
	s_wait_alu 0xfffe
	s_or_b32 exec_lo, exec_lo, s15
	v_mov_b32_e32 v126, 0
	s_wait_loadcnt_dscnt 0x0
	s_barrier_signal -1
	s_barrier_wait -1
	global_inv scope:SCOPE_SE
	s_and_saveexec_b32 s15, s5
; %bb.105:                              ;   in Loop: Header=BB1641_64 Depth=2
	ds_load_b32 v126, v38 offset:1020
; %bb.106:                              ;   in Loop: Header=BB1641_64 Depth=2
	s_wait_alu 0xfffe
	s_or_b32 exec_lo, exec_lo, s15
	s_wait_dscnt 0x0
	v_add_nc_u32_e32 v125, v126, v125
	ds_bpermute_b32 v125, v80, v125
	s_wait_dscnt 0x0
	v_cndmask_b32_e64 v125, v125, v126, s8
	s_delay_alu instid0(VALU_DEP_1) | instskip(NEXT) | instid1(VALU_DEP_1)
	v_cndmask_b32_e64 v125, v125, 0, s6
	v_add_nc_u32_e32 v26, v125, v26
	s_delay_alu instid0(VALU_DEP_1) | instskip(NEXT) | instid1(VALU_DEP_1)
	v_add_nc_u32_e32 v27, v26, v27
	v_add_nc_u32_e32 v24, v27, v24
	s_delay_alu instid0(VALU_DEP_1) | instskip(NEXT) | instid1(VALU_DEP_1)
	v_add_nc_u32_e32 v25, v24, v25
	;; [unrolled: 3-line block ×3, first 2 shown]
	v_add_nc_u32_e32 v20, v23, v20
	s_delay_alu instid0(VALU_DEP_1)
	v_add_nc_u32_e32 v21, v20, v21
	ds_store_2addr_b32 v99, v23, v20 offset1:1
	ds_store_2addr_b32 v100, v125, v26 offset1:1
	;; [unrolled: 1-line block ×4, first 2 shown]
	ds_store_b32 v45, v21 offset:1088
	s_wait_loadcnt_dscnt 0x0
	s_barrier_signal -1
	s_barrier_wait -1
	global_inv scope:SCOPE_SE
	ds_load_b32 v20, v104 offset:1056
	ds_load_b32 v21, v108 offset:1056
	;; [unrolled: 1-line block ×9, first 2 shown]
	v_mov_b32_e32 v22, 0x800
	s_and_saveexec_b32 s15, s7
; %bb.107:                              ;   in Loop: Header=BB1641_64 Depth=2
	ds_load_b32 v22, v45 offset:1092
; %bb.108:                              ;   in Loop: Header=BB1641_64 Depth=2
	s_wait_alu 0xfffe
	s_or_b32 exec_lo, exec_lo, s15
	s_wait_loadcnt_dscnt 0x0
	s_barrier_signal -1
	s_barrier_wait -1
	global_inv scope:SCOPE_SE
	s_and_saveexec_b32 s15, s2
	s_cbranch_execz .LBB1641_110
; %bb.109:                              ;   in Loop: Header=BB1641_64 Depth=2
	ds_load_b32 v27, v28
	s_wait_dscnt 0x0
	v_sub_nc_u32_e32 v26, v27, v26
	ds_store_b32 v28, v26
.LBB1641_110:                           ;   in Loop: Header=BB1641_64 Depth=2
	s_wait_alu 0xfffe
	s_or_b32 exec_lo, exec_lo, s15
	v_add_nc_u32_e32 v100, v20, v98
	v_add3_u32 v99, v105, v103, v21
	v_add3_u32 v98, v107, v106, v23
	;; [unrolled: 1-line block ×7, first 2 shown]
	v_cmp_lt_u32_e64 s21, v1, v2
	ds_store_b8 v100, v90 offset:1024
	ds_store_b8 v99, v91 offset:1024
	;; [unrolled: 1-line block ×8, first 2 shown]
	s_wait_loadcnt_dscnt 0x0
	s_barrier_signal -1
	s_barrier_wait -1
	global_inv scope:SCOPE_SE
	s_and_saveexec_b32 s15, s21
	s_cbranch_execnz .LBB1641_147
; %bb.111:                              ;   in Loop: Header=BB1641_64 Depth=2
	s_wait_alu 0xfffe
	s_or_b32 exec_lo, exec_lo, s15
	v_cmp_lt_u32_e64 s20, v29, v2
	s_and_saveexec_b32 s15, s20
	s_cbranch_execnz .LBB1641_148
.LBB1641_112:                           ;   in Loop: Header=BB1641_64 Depth=2
	s_wait_alu 0xfffe
	s_or_b32 exec_lo, exec_lo, s15
	v_cmp_lt_u32_e64 s19, v30, v2
	s_and_saveexec_b32 s15, s19
	s_cbranch_execnz .LBB1641_149
.LBB1641_113:                           ;   in Loop: Header=BB1641_64 Depth=2
	s_wait_alu 0xfffe
	s_or_b32 exec_lo, exec_lo, s15
	v_cmp_lt_u32_e64 s18, v31, v2
	s_and_saveexec_b32 s15, s18
	s_cbranch_execnz .LBB1641_150
.LBB1641_114:                           ;   in Loop: Header=BB1641_64 Depth=2
	s_wait_alu 0xfffe
	s_or_b32 exec_lo, exec_lo, s15
	v_cmp_lt_u32_e64 s17, v34, v2
	s_and_saveexec_b32 s15, s17
	s_cbranch_execnz .LBB1641_151
.LBB1641_115:                           ;   in Loop: Header=BB1641_64 Depth=2
	s_wait_alu 0xfffe
	s_or_b32 exec_lo, exec_lo, s15
	v_cmp_lt_u32_e64 s16, v35, v2
	s_and_saveexec_b32 s15, s16
	s_cbranch_execnz .LBB1641_152
.LBB1641_116:                           ;   in Loop: Header=BB1641_64 Depth=2
	s_wait_alu 0xfffe
	s_or_b32 exec_lo, exec_lo, s15
	v_cmp_lt_u32_e64 s15, v36, v2
	s_and_saveexec_b32 s44, s15
	s_cbranch_execnz .LBB1641_153
.LBB1641_117:                           ;   in Loop: Header=BB1641_64 Depth=2
	s_wait_alu 0xfffe
	s_or_b32 exec_lo, exec_lo, s44
	v_cmp_lt_u32_e32 vcc_lo, v37, v2
	s_and_saveexec_b32 s44, vcc_lo
	s_cbranch_execz .LBB1641_119
.LBB1641_118:                           ;   in Loop: Header=BB1641_64 Depth=2
	ds_load_u8 v20, v1 offset:2816
	s_wait_dscnt 0x0
	v_and_b32_e32 v21, 1, v20
	s_delay_alu instid0(VALU_DEP_1) | instskip(NEXT) | instid1(VALU_DEP_1)
	v_lshrrev_b32_e32 v21, s30, v21
	v_and_b32_e32 v21, s31, v21
	s_delay_alu instid0(VALU_DEP_1)
	v_lshlrev_b32_e32 v21, 2, v21
	ds_load_b32 v21, v21
	s_wait_dscnt 0x0
	v_add_nc_u32_e32 v21, v21, v37
	global_store_b8 v21, v20, s[38:39]
.LBB1641_119:                           ;   in Loop: Header=BB1641_64 Depth=2
	s_wait_alu 0xfffe
	s_or_b32 exec_lo, exec_lo, s44
	s_lshl_b64 s[48:49], s[22:23], 3
	s_wait_alu 0xfffe
	v_add_co_u32 v20, s22, v69, s48
	s_wait_alu 0xf1ff
	v_add_co_ci_u32_e64 v21, null, s49, v70, s22
	v_cmp_lt_u32_e64 s22, v68, v2
	s_and_saveexec_b32 s44, s22
	s_wait_alu 0xfffe
	s_xor_b32 s22, exec_lo, s44
	s_cbranch_execnz .LBB1641_154
; %bb.120:                              ;   in Loop: Header=BB1641_64 Depth=2
	s_wait_alu 0xfffe
	s_or_b32 exec_lo, exec_lo, s22
	s_delay_alu instid0(SALU_CYCLE_1)
	s_mov_b32 s44, exec_lo
	v_cmpx_lt_u32_e64 v71, v2
	s_cbranch_execnz .LBB1641_155
.LBB1641_121:                           ;   in Loop: Header=BB1641_64 Depth=2
	s_wait_alu 0xfffe
	s_or_b32 exec_lo, exec_lo, s44
	s_delay_alu instid0(SALU_CYCLE_1)
	s_mov_b32 s44, exec_lo
	v_cmpx_lt_u32_e64 v72, v2
	s_cbranch_execnz .LBB1641_156
.LBB1641_122:                           ;   in Loop: Header=BB1641_64 Depth=2
	s_wait_alu 0xfffe
	s_or_b32 exec_lo, exec_lo, s44
	s_delay_alu instid0(SALU_CYCLE_1)
	s_mov_b32 s44, exec_lo
	v_cmpx_lt_u32_e64 v73, v2
	s_cbranch_execnz .LBB1641_157
.LBB1641_123:                           ;   in Loop: Header=BB1641_64 Depth=2
	s_wait_alu 0xfffe
	s_or_b32 exec_lo, exec_lo, s44
	s_delay_alu instid0(SALU_CYCLE_1)
	s_mov_b32 s44, exec_lo
	v_cmpx_lt_u32_e64 v74, v2
	s_cbranch_execnz .LBB1641_158
.LBB1641_124:                           ;   in Loop: Header=BB1641_64 Depth=2
	s_wait_alu 0xfffe
	s_or_b32 exec_lo, exec_lo, s44
	s_delay_alu instid0(SALU_CYCLE_1)
	s_mov_b32 s44, exec_lo
	v_cmpx_lt_u32_e64 v75, v2
	s_cbranch_execnz .LBB1641_159
.LBB1641_125:                           ;   in Loop: Header=BB1641_64 Depth=2
	s_wait_alu 0xfffe
	s_or_b32 exec_lo, exec_lo, s44
	s_delay_alu instid0(SALU_CYCLE_1)
	s_mov_b32 s44, exec_lo
	v_cmpx_lt_u32_e64 v76, v2
	s_cbranch_execnz .LBB1641_160
.LBB1641_126:                           ;   in Loop: Header=BB1641_64 Depth=2
	s_wait_alu 0xfffe
	s_or_b32 exec_lo, exec_lo, s44
	s_delay_alu instid0(SALU_CYCLE_1)
	s_mov_b32 s44, exec_lo
	v_cmpx_lt_u32_e64 v77, v2
	s_cbranch_execnz .LBB1641_161
.LBB1641_127:                           ;   in Loop: Header=BB1641_64 Depth=2
	s_wait_alu 0xfffe
	s_or_b32 exec_lo, exec_lo, s44
	s_and_saveexec_b32 s22, s21
	s_cbranch_execnz .LBB1641_162
.LBB1641_128:                           ;   in Loop: Header=BB1641_64 Depth=2
	s_wait_alu 0xfffe
	s_or_b32 exec_lo, exec_lo, s22
	s_and_saveexec_b32 s22, s20
	s_cbranch_execnz .LBB1641_163
.LBB1641_129:                           ;   in Loop: Header=BB1641_64 Depth=2
	s_wait_alu 0xfffe
	s_or_b32 exec_lo, exec_lo, s22
	s_and_saveexec_b32 s22, s19
	s_cbranch_execnz .LBB1641_164
.LBB1641_130:                           ;   in Loop: Header=BB1641_64 Depth=2
	s_wait_alu 0xfffe
	s_or_b32 exec_lo, exec_lo, s22
	s_and_saveexec_b32 s22, s18
	s_cbranch_execnz .LBB1641_165
.LBB1641_131:                           ;   in Loop: Header=BB1641_64 Depth=2
	s_wait_alu 0xfffe
	s_or_b32 exec_lo, exec_lo, s22
	s_and_saveexec_b32 s22, s17
	s_cbranch_execnz .LBB1641_166
.LBB1641_132:                           ;   in Loop: Header=BB1641_64 Depth=2
	s_wait_alu 0xfffe
	s_or_b32 exec_lo, exec_lo, s22
	s_and_saveexec_b32 s22, s16
	s_cbranch_execnz .LBB1641_167
.LBB1641_133:                           ;   in Loop: Header=BB1641_64 Depth=2
	s_wait_alu 0xfffe
	s_or_b32 exec_lo, exec_lo, s22
	s_and_saveexec_b32 s22, s15
	s_cbranch_execnz .LBB1641_168
.LBB1641_134:                           ;   in Loop: Header=BB1641_64 Depth=2
	s_wait_alu 0xfffe
	s_or_b32 exec_lo, exec_lo, s22
	s_and_saveexec_b32 s22, vcc_lo
	s_cbranch_execz .LBB1641_136
.LBB1641_135:                           ;   in Loop: Header=BB1641_64 Depth=2
	ds_load_u8 v2, v1 offset:2816
	s_wait_dscnt 0x0
	v_lshrrev_b32_e32 v2, s30, v2
	s_delay_alu instid0(VALU_DEP_1)
	v_and_b32_e32 v82, s31, v2
.LBB1641_136:                           ;   in Loop: Header=BB1641_64 Depth=2
	s_wait_alu 0xfffe
	s_or_b32 exec_lo, exec_lo, s22
	v_lshlrev_b32_e32 v2, 3, v100
	v_lshlrev_b32_e32 v20, 3, v99
	;; [unrolled: 1-line block ×3, first 2 shown]
	s_wait_loadcnt 0x0
	s_wait_storecnt 0x0
	s_barrier_signal -1
	s_barrier_wait -1
	global_inv scope:SCOPE_SE
	ds_store_b64 v2, v[18:19] offset:1024
	ds_store_b64 v20, v[16:17] offset:1024
	;; [unrolled: 1-line block ×3, first 2 shown]
	v_lshlrev_b32_e32 v2, 3, v27
	v_lshlrev_b32_e32 v20, 3, v26
	;; [unrolled: 1-line block ×5, first 2 shown]
	ds_store_b64 v2, v[12:13] offset:1024
	ds_store_b64 v20, v[10:11] offset:1024
	ds_store_b64 v21, v[8:9] offset:1024
	ds_store_b64 v24, v[6:7] offset:1024
	ds_store_b64 v23, v[4:5] offset:1024
	s_wait_loadcnt_dscnt 0x0
	s_barrier_signal -1
	s_barrier_wait -1
	global_inv scope:SCOPE_SE
	s_and_saveexec_b32 s22, s21
	s_cbranch_execnz .LBB1641_169
; %bb.137:                              ;   in Loop: Header=BB1641_64 Depth=2
	s_wait_alu 0xfffe
	s_or_b32 exec_lo, exec_lo, s22
	s_and_saveexec_b32 s21, s20
	s_cbranch_execnz .LBB1641_170
.LBB1641_138:                           ;   in Loop: Header=BB1641_64 Depth=2
	s_wait_alu 0xfffe
	s_or_b32 exec_lo, exec_lo, s21
	s_and_saveexec_b32 s20, s19
	s_cbranch_execnz .LBB1641_171
.LBB1641_139:                           ;   in Loop: Header=BB1641_64 Depth=2
	s_wait_alu 0xfffe
	s_or_b32 exec_lo, exec_lo, s20
	s_and_saveexec_b32 s19, s18
	s_cbranch_execnz .LBB1641_172
.LBB1641_140:                           ;   in Loop: Header=BB1641_64 Depth=2
	s_wait_alu 0xfffe
	s_or_b32 exec_lo, exec_lo, s19
	s_and_saveexec_b32 s18, s17
	s_cbranch_execnz .LBB1641_173
.LBB1641_141:                           ;   in Loop: Header=BB1641_64 Depth=2
	s_wait_alu 0xfffe
	s_or_b32 exec_lo, exec_lo, s18
	s_and_saveexec_b32 s17, s16
	s_cbranch_execnz .LBB1641_174
.LBB1641_142:                           ;   in Loop: Header=BB1641_64 Depth=2
	s_wait_alu 0xfffe
	s_or_b32 exec_lo, exec_lo, s17
	s_and_saveexec_b32 s16, s15
	s_cbranch_execnz .LBB1641_175
.LBB1641_143:                           ;   in Loop: Header=BB1641_64 Depth=2
	s_wait_alu 0xfffe
	s_or_b32 exec_lo, exec_lo, s16
	s_and_saveexec_b32 s15, vcc_lo
	s_cbranch_execz .LBB1641_145
.LBB1641_144:                           ;   in Loop: Header=BB1641_64 Depth=2
	v_lshlrev_b32_e32 v2, 2, v82
	v_add_nc_u32_e32 v20, v1, v47
	ds_load_b32 v2, v2
	ds_load_b64 v[20:21], v20 offset:15360
	s_wait_dscnt 0x1
	v_add_nc_u32_e32 v2, v2, v37
	s_delay_alu instid0(VALU_DEP_1) | instskip(NEXT) | instid1(VALU_DEP_1)
	v_lshlrev_b64_e32 v[23:24], 3, v[2:3]
	v_add_co_u32 v23, vcc_lo, s24, v23
	s_wait_alu 0xfffd
	s_delay_alu instid0(VALU_DEP_2)
	v_add_co_ci_u32_e64 v24, null, s25, v24, vcc_lo
	s_wait_dscnt 0x0
	global_store_b64 v[23:24], v[20:21], off
.LBB1641_145:                           ;   in Loop: Header=BB1641_64 Depth=2
	s_wait_alu 0xfffe
	s_or_b32 exec_lo, exec_lo, s15
	s_wait_loadcnt 0x0
	s_wait_storecnt 0x0
	s_barrier_signal -1
	s_barrier_wait -1
	global_inv scope:SCOPE_SE
	s_and_saveexec_b32 s15, s2
	s_cbranch_execz .LBB1641_63
; %bb.146:                              ;   in Loop: Header=BB1641_64 Depth=2
	ds_load_b32 v2, v28
	s_wait_dscnt 0x0
	v_add_nc_u32_e32 v2, v2, v22
	ds_store_b32 v28, v2
	s_branch .LBB1641_63
.LBB1641_147:                           ;   in Loop: Header=BB1641_64 Depth=2
	ds_load_u8 v20, v1 offset:1024
	s_wait_dscnt 0x0
	v_and_b32_e32 v21, 1, v20
	s_delay_alu instid0(VALU_DEP_1) | instskip(NEXT) | instid1(VALU_DEP_1)
	v_lshrrev_b32_e32 v21, s30, v21
	v_and_b32_e32 v21, s31, v21
	s_delay_alu instid0(VALU_DEP_1)
	v_lshlrev_b32_e32 v21, 2, v21
	ds_load_b32 v21, v21
	s_wait_dscnt 0x0
	v_add_nc_u32_e32 v21, v21, v1
	global_store_b8 v21, v20, s[38:39]
	s_wait_alu 0xfffe
	s_or_b32 exec_lo, exec_lo, s15
	v_cmp_lt_u32_e64 s20, v29, v2
	s_and_saveexec_b32 s15, s20
	s_cbranch_execz .LBB1641_112
.LBB1641_148:                           ;   in Loop: Header=BB1641_64 Depth=2
	ds_load_u8 v20, v1 offset:1280
	s_wait_dscnt 0x0
	v_and_b32_e32 v21, 1, v20
	s_delay_alu instid0(VALU_DEP_1) | instskip(NEXT) | instid1(VALU_DEP_1)
	v_lshrrev_b32_e32 v21, s30, v21
	v_and_b32_e32 v21, s31, v21
	s_delay_alu instid0(VALU_DEP_1)
	v_lshlrev_b32_e32 v21, 2, v21
	ds_load_b32 v21, v21
	s_wait_dscnt 0x0
	v_add_nc_u32_e32 v21, v21, v29
	global_store_b8 v21, v20, s[38:39]
	s_wait_alu 0xfffe
	s_or_b32 exec_lo, exec_lo, s15
	v_cmp_lt_u32_e64 s19, v30, v2
	s_and_saveexec_b32 s15, s19
	s_cbranch_execz .LBB1641_113
.LBB1641_149:                           ;   in Loop: Header=BB1641_64 Depth=2
	ds_load_u8 v20, v1 offset:1536
	s_wait_dscnt 0x0
	v_and_b32_e32 v21, 1, v20
	s_delay_alu instid0(VALU_DEP_1) | instskip(NEXT) | instid1(VALU_DEP_1)
	v_lshrrev_b32_e32 v21, s30, v21
	v_and_b32_e32 v21, s31, v21
	s_delay_alu instid0(VALU_DEP_1)
	v_lshlrev_b32_e32 v21, 2, v21
	ds_load_b32 v21, v21
	s_wait_dscnt 0x0
	v_add_nc_u32_e32 v21, v21, v30
	global_store_b8 v21, v20, s[38:39]
	s_wait_alu 0xfffe
	s_or_b32 exec_lo, exec_lo, s15
	v_cmp_lt_u32_e64 s18, v31, v2
	s_and_saveexec_b32 s15, s18
	s_cbranch_execz .LBB1641_114
.LBB1641_150:                           ;   in Loop: Header=BB1641_64 Depth=2
	ds_load_u8 v20, v1 offset:1792
	s_wait_dscnt 0x0
	v_and_b32_e32 v21, 1, v20
	s_delay_alu instid0(VALU_DEP_1) | instskip(NEXT) | instid1(VALU_DEP_1)
	v_lshrrev_b32_e32 v21, s30, v21
	v_and_b32_e32 v21, s31, v21
	s_delay_alu instid0(VALU_DEP_1)
	v_lshlrev_b32_e32 v21, 2, v21
	ds_load_b32 v21, v21
	s_wait_dscnt 0x0
	v_add_nc_u32_e32 v21, v21, v31
	global_store_b8 v21, v20, s[38:39]
	s_wait_alu 0xfffe
	s_or_b32 exec_lo, exec_lo, s15
	v_cmp_lt_u32_e64 s17, v34, v2
	s_and_saveexec_b32 s15, s17
	s_cbranch_execz .LBB1641_115
.LBB1641_151:                           ;   in Loop: Header=BB1641_64 Depth=2
	ds_load_u8 v20, v1 offset:2048
	s_wait_dscnt 0x0
	v_and_b32_e32 v21, 1, v20
	s_delay_alu instid0(VALU_DEP_1) | instskip(NEXT) | instid1(VALU_DEP_1)
	v_lshrrev_b32_e32 v21, s30, v21
	v_and_b32_e32 v21, s31, v21
	s_delay_alu instid0(VALU_DEP_1)
	v_lshlrev_b32_e32 v21, 2, v21
	ds_load_b32 v21, v21
	s_wait_dscnt 0x0
	v_add_nc_u32_e32 v21, v21, v34
	global_store_b8 v21, v20, s[38:39]
	s_wait_alu 0xfffe
	s_or_b32 exec_lo, exec_lo, s15
	v_cmp_lt_u32_e64 s16, v35, v2
	s_and_saveexec_b32 s15, s16
	s_cbranch_execz .LBB1641_116
.LBB1641_152:                           ;   in Loop: Header=BB1641_64 Depth=2
	ds_load_u8 v20, v1 offset:2304
	s_wait_dscnt 0x0
	v_and_b32_e32 v21, 1, v20
	s_delay_alu instid0(VALU_DEP_1) | instskip(NEXT) | instid1(VALU_DEP_1)
	v_lshrrev_b32_e32 v21, s30, v21
	v_and_b32_e32 v21, s31, v21
	s_delay_alu instid0(VALU_DEP_1)
	v_lshlrev_b32_e32 v21, 2, v21
	ds_load_b32 v21, v21
	s_wait_dscnt 0x0
	v_add_nc_u32_e32 v21, v21, v35
	global_store_b8 v21, v20, s[38:39]
	s_wait_alu 0xfffe
	s_or_b32 exec_lo, exec_lo, s15
	v_cmp_lt_u32_e64 s15, v36, v2
	s_and_saveexec_b32 s44, s15
	s_cbranch_execz .LBB1641_117
.LBB1641_153:                           ;   in Loop: Header=BB1641_64 Depth=2
	ds_load_u8 v20, v1 offset:2560
	s_wait_dscnt 0x0
	v_and_b32_e32 v21, 1, v20
	s_delay_alu instid0(VALU_DEP_1) | instskip(NEXT) | instid1(VALU_DEP_1)
	v_lshrrev_b32_e32 v21, s30, v21
	v_and_b32_e32 v21, s31, v21
	s_delay_alu instid0(VALU_DEP_1)
	v_lshlrev_b32_e32 v21, 2, v21
	ds_load_b32 v21, v21
	s_wait_dscnt 0x0
	v_add_nc_u32_e32 v21, v21, v36
	global_store_b8 v21, v20, s[38:39]
	s_wait_alu 0xfffe
	s_or_b32 exec_lo, exec_lo, s44
	v_cmp_lt_u32_e32 vcc_lo, v37, v2
	s_and_saveexec_b32 s44, vcc_lo
	s_cbranch_execnz .LBB1641_118
	s_branch .LBB1641_119
.LBB1641_154:                           ;   in Loop: Header=BB1641_64 Depth=2
	global_load_b64 v[18:19], v[20:21], off
	s_wait_alu 0xfffe
	s_or_b32 exec_lo, exec_lo, s22
	s_delay_alu instid0(SALU_CYCLE_1)
	s_mov_b32 s44, exec_lo
	v_cmpx_lt_u32_e64 v71, v2
	s_cbranch_execz .LBB1641_121
.LBB1641_155:                           ;   in Loop: Header=BB1641_64 Depth=2
	global_load_b64 v[16:17], v[20:21], off offset:256
	s_wait_alu 0xfffe
	s_or_b32 exec_lo, exec_lo, s44
	s_delay_alu instid0(SALU_CYCLE_1)
	s_mov_b32 s44, exec_lo
	v_cmpx_lt_u32_e64 v72, v2
	s_cbranch_execz .LBB1641_122
.LBB1641_156:                           ;   in Loop: Header=BB1641_64 Depth=2
	global_load_b64 v[14:15], v[20:21], off offset:512
	s_wait_alu 0xfffe
	s_or_b32 exec_lo, exec_lo, s44
	s_delay_alu instid0(SALU_CYCLE_1)
	s_mov_b32 s44, exec_lo
	v_cmpx_lt_u32_e64 v73, v2
	s_cbranch_execz .LBB1641_123
.LBB1641_157:                           ;   in Loop: Header=BB1641_64 Depth=2
	global_load_b64 v[12:13], v[20:21], off offset:768
	s_wait_alu 0xfffe
	s_or_b32 exec_lo, exec_lo, s44
	s_delay_alu instid0(SALU_CYCLE_1)
	s_mov_b32 s44, exec_lo
	v_cmpx_lt_u32_e64 v74, v2
	s_cbranch_execz .LBB1641_124
.LBB1641_158:                           ;   in Loop: Header=BB1641_64 Depth=2
	global_load_b64 v[10:11], v[20:21], off offset:1024
	s_wait_alu 0xfffe
	s_or_b32 exec_lo, exec_lo, s44
	s_delay_alu instid0(SALU_CYCLE_1)
	s_mov_b32 s44, exec_lo
	v_cmpx_lt_u32_e64 v75, v2
	s_cbranch_execz .LBB1641_125
.LBB1641_159:                           ;   in Loop: Header=BB1641_64 Depth=2
	global_load_b64 v[8:9], v[20:21], off offset:1280
	s_wait_alu 0xfffe
	s_or_b32 exec_lo, exec_lo, s44
	s_delay_alu instid0(SALU_CYCLE_1)
	s_mov_b32 s44, exec_lo
	v_cmpx_lt_u32_e64 v76, v2
	s_cbranch_execz .LBB1641_126
.LBB1641_160:                           ;   in Loop: Header=BB1641_64 Depth=2
	global_load_b64 v[6:7], v[20:21], off offset:1536
	s_wait_alu 0xfffe
	s_or_b32 exec_lo, exec_lo, s44
	s_delay_alu instid0(SALU_CYCLE_1)
	s_mov_b32 s44, exec_lo
	v_cmpx_lt_u32_e64 v77, v2
	s_cbranch_execz .LBB1641_127
.LBB1641_161:                           ;   in Loop: Header=BB1641_64 Depth=2
	global_load_b64 v[4:5], v[20:21], off offset:1792
	s_wait_alu 0xfffe
	s_or_b32 exec_lo, exec_lo, s44
	s_and_saveexec_b32 s22, s21
	s_cbranch_execz .LBB1641_128
.LBB1641_162:                           ;   in Loop: Header=BB1641_64 Depth=2
	ds_load_u8 v2, v1 offset:1024
	s_wait_dscnt 0x0
	v_lshrrev_b32_e32 v2, s30, v2
	s_delay_alu instid0(VALU_DEP_1)
	v_and_b32_e32 v89, s31, v2
	s_wait_alu 0xfffe
	s_or_b32 exec_lo, exec_lo, s22
	s_and_saveexec_b32 s22, s20
	s_cbranch_execz .LBB1641_129
.LBB1641_163:                           ;   in Loop: Header=BB1641_64 Depth=2
	ds_load_u8 v2, v1 offset:1280
	s_wait_dscnt 0x0
	v_lshrrev_b32_e32 v2, s30, v2
	s_delay_alu instid0(VALU_DEP_1)
	v_and_b32_e32 v88, s31, v2
	s_wait_alu 0xfffe
	s_or_b32 exec_lo, exec_lo, s22
	s_and_saveexec_b32 s22, s19
	s_cbranch_execz .LBB1641_130
.LBB1641_164:                           ;   in Loop: Header=BB1641_64 Depth=2
	ds_load_u8 v2, v1 offset:1536
	s_wait_dscnt 0x0
	v_lshrrev_b32_e32 v2, s30, v2
	s_delay_alu instid0(VALU_DEP_1)
	v_and_b32_e32 v87, s31, v2
	s_wait_alu 0xfffe
	s_or_b32 exec_lo, exec_lo, s22
	s_and_saveexec_b32 s22, s18
	s_cbranch_execz .LBB1641_131
.LBB1641_165:                           ;   in Loop: Header=BB1641_64 Depth=2
	ds_load_u8 v2, v1 offset:1792
	s_wait_dscnt 0x0
	v_lshrrev_b32_e32 v2, s30, v2
	s_delay_alu instid0(VALU_DEP_1)
	v_and_b32_e32 v86, s31, v2
	s_wait_alu 0xfffe
	s_or_b32 exec_lo, exec_lo, s22
	s_and_saveexec_b32 s22, s17
	s_cbranch_execz .LBB1641_132
.LBB1641_166:                           ;   in Loop: Header=BB1641_64 Depth=2
	ds_load_u8 v2, v1 offset:2048
	s_wait_dscnt 0x0
	v_lshrrev_b32_e32 v2, s30, v2
	s_delay_alu instid0(VALU_DEP_1)
	v_and_b32_e32 v85, s31, v2
	s_wait_alu 0xfffe
	s_or_b32 exec_lo, exec_lo, s22
	s_and_saveexec_b32 s22, s16
	s_cbranch_execz .LBB1641_133
.LBB1641_167:                           ;   in Loop: Header=BB1641_64 Depth=2
	ds_load_u8 v2, v1 offset:2304
	s_wait_dscnt 0x0
	v_lshrrev_b32_e32 v2, s30, v2
	s_delay_alu instid0(VALU_DEP_1)
	v_and_b32_e32 v84, s31, v2
	s_wait_alu 0xfffe
	s_or_b32 exec_lo, exec_lo, s22
	s_and_saveexec_b32 s22, s15
	s_cbranch_execz .LBB1641_134
.LBB1641_168:                           ;   in Loop: Header=BB1641_64 Depth=2
	ds_load_u8 v2, v1 offset:2560
	s_wait_dscnt 0x0
	v_lshrrev_b32_e32 v2, s30, v2
	s_delay_alu instid0(VALU_DEP_1)
	v_and_b32_e32 v83, s31, v2
	s_wait_alu 0xfffe
	s_or_b32 exec_lo, exec_lo, s22
	s_and_saveexec_b32 s22, vcc_lo
	s_cbranch_execnz .LBB1641_135
	s_branch .LBB1641_136
.LBB1641_169:                           ;   in Loop: Header=BB1641_64 Depth=2
	v_lshlrev_b32_e32 v2, 2, v89
	v_add_nc_u32_e32 v20, v1, v47
	ds_load_b32 v2, v2
	ds_load_b64 v[20:21], v20 offset:1024
	s_wait_dscnt 0x1
	v_add_nc_u32_e32 v2, v2, v1
	s_delay_alu instid0(VALU_DEP_1) | instskip(NEXT) | instid1(VALU_DEP_1)
	v_lshlrev_b64_e32 v[23:24], 3, v[2:3]
	v_add_co_u32 v23, s21, s24, v23
	s_wait_alu 0xf1ff
	s_delay_alu instid0(VALU_DEP_2)
	v_add_co_ci_u32_e64 v24, null, s25, v24, s21
	s_wait_dscnt 0x0
	global_store_b64 v[23:24], v[20:21], off
	s_wait_alu 0xfffe
	s_or_b32 exec_lo, exec_lo, s22
	s_and_saveexec_b32 s21, s20
	s_cbranch_execz .LBB1641_138
.LBB1641_170:                           ;   in Loop: Header=BB1641_64 Depth=2
	v_lshlrev_b32_e32 v2, 2, v88
	v_add_nc_u32_e32 v20, v1, v47
	ds_load_b32 v2, v2
	ds_load_b64 v[20:21], v20 offset:3072
	s_wait_dscnt 0x1
	v_add_nc_u32_e32 v2, v2, v29
	s_delay_alu instid0(VALU_DEP_1) | instskip(NEXT) | instid1(VALU_DEP_1)
	v_lshlrev_b64_e32 v[23:24], 3, v[2:3]
	v_add_co_u32 v23, s20, s24, v23
	s_wait_alu 0xf1ff
	s_delay_alu instid0(VALU_DEP_2)
	v_add_co_ci_u32_e64 v24, null, s25, v24, s20
	s_wait_dscnt 0x0
	global_store_b64 v[23:24], v[20:21], off
	s_wait_alu 0xfffe
	s_or_b32 exec_lo, exec_lo, s21
	s_and_saveexec_b32 s20, s19
	s_cbranch_execz .LBB1641_139
.LBB1641_171:                           ;   in Loop: Header=BB1641_64 Depth=2
	v_lshlrev_b32_e32 v2, 2, v87
	v_add_nc_u32_e32 v20, v1, v47
	ds_load_b32 v2, v2
	ds_load_b64 v[20:21], v20 offset:5120
	s_wait_dscnt 0x1
	v_add_nc_u32_e32 v2, v2, v30
	s_delay_alu instid0(VALU_DEP_1) | instskip(NEXT) | instid1(VALU_DEP_1)
	v_lshlrev_b64_e32 v[23:24], 3, v[2:3]
	v_add_co_u32 v23, s19, s24, v23
	s_wait_alu 0xf1ff
	s_delay_alu instid0(VALU_DEP_2)
	v_add_co_ci_u32_e64 v24, null, s25, v24, s19
	s_wait_dscnt 0x0
	global_store_b64 v[23:24], v[20:21], off
	s_wait_alu 0xfffe
	s_or_b32 exec_lo, exec_lo, s20
	s_and_saveexec_b32 s19, s18
	s_cbranch_execz .LBB1641_140
.LBB1641_172:                           ;   in Loop: Header=BB1641_64 Depth=2
	v_lshlrev_b32_e32 v2, 2, v86
	v_add_nc_u32_e32 v20, v1, v47
	ds_load_b32 v2, v2
	ds_load_b64 v[20:21], v20 offset:7168
	s_wait_dscnt 0x1
	v_add_nc_u32_e32 v2, v2, v31
	s_delay_alu instid0(VALU_DEP_1) | instskip(NEXT) | instid1(VALU_DEP_1)
	v_lshlrev_b64_e32 v[23:24], 3, v[2:3]
	v_add_co_u32 v23, s18, s24, v23
	s_wait_alu 0xf1ff
	s_delay_alu instid0(VALU_DEP_2)
	v_add_co_ci_u32_e64 v24, null, s25, v24, s18
	s_wait_dscnt 0x0
	global_store_b64 v[23:24], v[20:21], off
	s_wait_alu 0xfffe
	s_or_b32 exec_lo, exec_lo, s19
	s_and_saveexec_b32 s18, s17
	s_cbranch_execz .LBB1641_141
.LBB1641_173:                           ;   in Loop: Header=BB1641_64 Depth=2
	v_lshlrev_b32_e32 v2, 2, v85
	v_add_nc_u32_e32 v20, v1, v47
	ds_load_b32 v2, v2
	ds_load_b64 v[20:21], v20 offset:9216
	s_wait_dscnt 0x1
	v_add_nc_u32_e32 v2, v2, v34
	s_delay_alu instid0(VALU_DEP_1) | instskip(NEXT) | instid1(VALU_DEP_1)
	v_lshlrev_b64_e32 v[23:24], 3, v[2:3]
	v_add_co_u32 v23, s17, s24, v23
	s_wait_alu 0xf1ff
	s_delay_alu instid0(VALU_DEP_2)
	v_add_co_ci_u32_e64 v24, null, s25, v24, s17
	s_wait_dscnt 0x0
	global_store_b64 v[23:24], v[20:21], off
	s_wait_alu 0xfffe
	s_or_b32 exec_lo, exec_lo, s18
	s_and_saveexec_b32 s17, s16
	s_cbranch_execz .LBB1641_142
.LBB1641_174:                           ;   in Loop: Header=BB1641_64 Depth=2
	v_lshlrev_b32_e32 v2, 2, v84
	v_add_nc_u32_e32 v20, v1, v47
	ds_load_b32 v2, v2
	ds_load_b64 v[20:21], v20 offset:11264
	s_wait_dscnt 0x1
	v_add_nc_u32_e32 v2, v2, v35
	s_delay_alu instid0(VALU_DEP_1) | instskip(NEXT) | instid1(VALU_DEP_1)
	v_lshlrev_b64_e32 v[23:24], 3, v[2:3]
	v_add_co_u32 v23, s16, s24, v23
	s_wait_alu 0xf1ff
	s_delay_alu instid0(VALU_DEP_2)
	v_add_co_ci_u32_e64 v24, null, s25, v24, s16
	s_wait_dscnt 0x0
	global_store_b64 v[23:24], v[20:21], off
	s_wait_alu 0xfffe
	s_or_b32 exec_lo, exec_lo, s17
	s_and_saveexec_b32 s16, s15
	s_cbranch_execz .LBB1641_143
.LBB1641_175:                           ;   in Loop: Header=BB1641_64 Depth=2
	v_lshlrev_b32_e32 v2, 2, v83
	v_add_nc_u32_e32 v20, v1, v47
	ds_load_b32 v2, v2
	ds_load_b64 v[20:21], v20 offset:13312
	s_wait_dscnt 0x1
	v_add_nc_u32_e32 v2, v2, v36
	s_delay_alu instid0(VALU_DEP_1) | instskip(NEXT) | instid1(VALU_DEP_1)
	v_lshlrev_b64_e32 v[23:24], 3, v[2:3]
	v_add_co_u32 v23, s15, s24, v23
	s_wait_alu 0xf1ff
	s_delay_alu instid0(VALU_DEP_2)
	v_add_co_ci_u32_e64 v24, null, s25, v24, s15
	s_wait_dscnt 0x0
	global_store_b64 v[23:24], v[20:21], off
	s_wait_alu 0xfffe
	s_or_b32 exec_lo, exec_lo, s16
	s_and_saveexec_b32 s15, vcc_lo
	s_cbranch_execnz .LBB1641_144
	s_branch .LBB1641_145
.LBB1641_176:                           ;   in Loop: Header=BB1641_12 Depth=1
	s_wait_loadcnt_dscnt 0x0
	s_barrier_signal -1
	s_mov_b32 s0, 0
	s_barrier_wait -1
.LBB1641_177:                           ;   in Loop: Header=BB1641_12 Depth=1
	s_wait_alu 0xfffe
	s_and_b32 vcc_lo, exec_lo, s0
	s_wait_alu 0xfffe
	s_cbranch_vccz .LBB1641_341
; %bb.178:                              ;   in Loop: Header=BB1641_12 Depth=1
	v_dual_mov_b32 v7, 0 :: v_dual_mov_b32 v10, 0
	v_dual_mov_b32 v9, 0 :: v_dual_mov_b32 v8, 0
	;; [unrolled: 1-line block ×3, first 2 shown]
	v_mov_b32_e32 v4, 0
	v_mov_b32_e32 v2, 0
	s_mov_b32 s9, s47
	s_mov_b32 s22, s33
	s_barrier_signal -1
	s_barrier_wait -1
	global_inv scope:SCOPE_SE
	s_branch .LBB1641_180
.LBB1641_179:                           ;   in Loop: Header=BB1641_180 Depth=2
	s_wait_alu 0xfffe
	s_or_b32 exec_lo, exec_lo, s0
	s_addk_co_i32 s9, 0xf800
	s_cmp_ge_u32 s10, s34
	s_mov_b32 s22, s10
	s_cbranch_scc1 .LBB1641_216
.LBB1641_180:                           ;   Parent Loop BB1641_12 Depth=1
                                        ; =>  This Inner Loop Header: Depth=2
	s_wait_alu 0xfffe
	s_add_co_i32 s10, s22, 0x800
	s_mov_b32 s0, -1
	s_wait_alu 0xfffe
	s_cmp_gt_u32 s10, s34
                                        ; implicit-def: $vgpr11
                                        ; implicit-def: $vgpr12
                                        ; implicit-def: $vgpr13
                                        ; implicit-def: $vgpr14
                                        ; implicit-def: $vgpr15
                                        ; implicit-def: $vgpr16
                                        ; implicit-def: $vgpr17
                                        ; implicit-def: $vgpr18
	s_cbranch_scc1 .LBB1641_182
; %bb.181:                              ;   in Loop: Header=BB1641_180 Depth=2
	v_add_co_u32 v19, vcc_lo, v48, s22
	s_wait_alu 0xfffd
	v_add_co_ci_u32_e64 v20, null, 0, v49, vcc_lo
	s_mov_b32 s0, 0
	s_clause 0x7
	global_load_u8 v18, v[19:20], off offset:1792
	global_load_u8 v17, v[19:20], off offset:1536
	;; [unrolled: 1-line block ×7, first 2 shown]
	global_load_u8 v11, v[19:20], off
.LBB1641_182:                           ;   in Loop: Header=BB1641_180 Depth=2
	s_wait_alu 0xfffe
	s_and_not1_b32 vcc_lo, exec_lo, s0
	s_movk_i32 s0, 0x800
	s_wait_alu 0xfffe
	s_cbranch_vccnz .LBB1641_193
; %bb.183:                              ;   in Loop: Header=BB1641_180 Depth=2
	s_add_nc_u64 s[0:1], s[38:39], s[22:23]
	s_mov_b32 s11, exec_lo
	v_cmpx_gt_u32_e64 s9, v1
	s_cbranch_execnz .LBB1641_209
; %bb.184:                              ;   in Loop: Header=BB1641_180 Depth=2
	s_wait_alu 0xfffe
	s_or_b32 exec_lo, exec_lo, s11
	s_delay_alu instid0(SALU_CYCLE_1)
	s_mov_b32 s11, exec_lo
	v_cmpx_gt_u32_e64 s9, v29
	s_cbranch_execnz .LBB1641_210
.LBB1641_185:                           ;   in Loop: Header=BB1641_180 Depth=2
	s_wait_alu 0xfffe
	s_or_b32 exec_lo, exec_lo, s11
	s_delay_alu instid0(SALU_CYCLE_1)
	s_mov_b32 s11, exec_lo
	v_cmpx_gt_u32_e64 s9, v30
	s_cbranch_execnz .LBB1641_211
.LBB1641_186:                           ;   in Loop: Header=BB1641_180 Depth=2
	s_wait_alu 0xfffe
	s_or_b32 exec_lo, exec_lo, s11
	s_delay_alu instid0(SALU_CYCLE_1)
	s_mov_b32 s11, exec_lo
	v_cmpx_gt_u32_e64 s9, v31
	s_cbranch_execnz .LBB1641_212
.LBB1641_187:                           ;   in Loop: Header=BB1641_180 Depth=2
	s_wait_alu 0xfffe
	s_or_b32 exec_lo, exec_lo, s11
	s_delay_alu instid0(SALU_CYCLE_1)
	s_mov_b32 s11, exec_lo
	v_cmpx_gt_u32_e64 s9, v34
	s_cbranch_execnz .LBB1641_213
.LBB1641_188:                           ;   in Loop: Header=BB1641_180 Depth=2
	s_wait_alu 0xfffe
	s_or_b32 exec_lo, exec_lo, s11
	s_delay_alu instid0(SALU_CYCLE_1)
	s_mov_b32 s11, exec_lo
	v_cmpx_gt_u32_e64 s9, v35
	s_cbranch_execnz .LBB1641_214
.LBB1641_189:                           ;   in Loop: Header=BB1641_180 Depth=2
	s_wait_alu 0xfffe
	s_or_b32 exec_lo, exec_lo, s11
	s_delay_alu instid0(SALU_CYCLE_1)
	s_mov_b32 s11, exec_lo
	v_cmpx_gt_u32_e64 s9, v36
	s_cbranch_execnz .LBB1641_215
.LBB1641_190:                           ;   in Loop: Header=BB1641_180 Depth=2
	s_wait_alu 0xfffe
	s_or_b32 exec_lo, exec_lo, s11
	s_delay_alu instid0(SALU_CYCLE_1)
	s_mov_b32 s11, exec_lo
	v_cmpx_gt_u32_e64 s9, v37
	s_cbranch_execz .LBB1641_192
.LBB1641_191:                           ;   in Loop: Header=BB1641_180 Depth=2
	s_wait_loadcnt 0x0
	v_add_co_u32 v11, s0, s0, v1
	s_wait_alu 0xf1ff
	v_add_co_ci_u32_e64 v12, null, s1, 0, s0
	global_load_u8 v2, v[11:12], off offset:1792
.LBB1641_192:                           ;   in Loop: Header=BB1641_180 Depth=2
	s_wait_alu 0xfffe
	s_or_b32 exec_lo, exec_lo, s11
	s_wait_loadcnt 0x0
	v_dual_mov_b32 v11, v7 :: v_dual_mov_b32 v12, v10
	v_dual_mov_b32 v13, v9 :: v_dual_mov_b32 v14, v8
	;; [unrolled: 1-line block ×4, first 2 shown]
	s_mov_b32 s0, s9
.LBB1641_193:                           ;   in Loop: Header=BB1641_180 Depth=2
	s_wait_loadcnt 0x5
	s_delay_alu instid0(VALU_DEP_1)
	v_dual_mov_b32 v2, v18 :: v_dual_mov_b32 v5, v16
	s_wait_loadcnt 0x2
	v_dual_mov_b32 v4, v17 :: v_dual_mov_b32 v9, v13
	s_wait_loadcnt 0x0
	v_dual_mov_b32 v6, v15 :: v_dual_mov_b32 v7, v11
	v_mov_b32_e32 v8, v14
	v_mov_b32_e32 v10, v12
	s_mov_b32 s1, exec_lo
	s_wait_alu 0xfffe
	v_cmpx_gt_u32_e64 s0, v1
	s_cbranch_execnz .LBB1641_201
; %bb.194:                              ;   in Loop: Header=BB1641_180 Depth=2
	s_or_b32 exec_lo, exec_lo, s1
	s_delay_alu instid0(SALU_CYCLE_1)
	s_mov_b32 s1, exec_lo
	v_cmpx_gt_u32_e64 s0, v29
	s_cbranch_execnz .LBB1641_202
.LBB1641_195:                           ;   in Loop: Header=BB1641_180 Depth=2
	s_wait_alu 0xfffe
	s_or_b32 exec_lo, exec_lo, s1
	s_delay_alu instid0(SALU_CYCLE_1)
	s_mov_b32 s1, exec_lo
	v_cmpx_gt_u32_e64 s0, v30
	s_cbranch_execnz .LBB1641_203
.LBB1641_196:                           ;   in Loop: Header=BB1641_180 Depth=2
	s_wait_alu 0xfffe
	s_or_b32 exec_lo, exec_lo, s1
	s_delay_alu instid0(SALU_CYCLE_1)
	s_mov_b32 s1, exec_lo
	v_cmpx_gt_u32_e64 s0, v31
	s_cbranch_execnz .LBB1641_204
.LBB1641_197:                           ;   in Loop: Header=BB1641_180 Depth=2
	s_wait_alu 0xfffe
	s_or_b32 exec_lo, exec_lo, s1
	s_delay_alu instid0(SALU_CYCLE_1)
	s_mov_b32 s1, exec_lo
	v_cmpx_gt_u32_e64 s0, v34
	s_cbranch_execnz .LBB1641_205
.LBB1641_198:                           ;   in Loop: Header=BB1641_180 Depth=2
	s_wait_alu 0xfffe
	s_or_b32 exec_lo, exec_lo, s1
	s_delay_alu instid0(SALU_CYCLE_1)
	s_mov_b32 s1, exec_lo
	v_cmpx_gt_u32_e64 s0, v35
	s_cbranch_execnz .LBB1641_206
.LBB1641_199:                           ;   in Loop: Header=BB1641_180 Depth=2
	s_wait_alu 0xfffe
	s_or_b32 exec_lo, exec_lo, s1
	s_delay_alu instid0(SALU_CYCLE_1)
	s_mov_b32 s1, exec_lo
	v_cmpx_gt_u32_e64 s0, v36
	s_cbranch_execnz .LBB1641_207
.LBB1641_200:                           ;   in Loop: Header=BB1641_180 Depth=2
	s_wait_alu 0xfffe
	s_or_b32 exec_lo, exec_lo, s1
	v_cmp_gt_u32_e32 vcc_lo, s0, v37
	s_and_saveexec_b32 s0, vcc_lo
	s_cbranch_execz .LBB1641_179
	s_branch .LBB1641_208
.LBB1641_201:                           ;   in Loop: Header=BB1641_180 Depth=2
	v_and_b32_e32 v11, 1, v7
	s_delay_alu instid0(VALU_DEP_1) | instskip(NEXT) | instid1(VALU_DEP_1)
	v_lshrrev_b32_e32 v11, s30, v11
	v_and_b32_e32 v11, s31, v11
	s_delay_alu instid0(VALU_DEP_1) | instskip(SKIP_2) | instid1(SALU_CYCLE_1)
	v_lshl_or_b32 v11, v11, 4, v39
	ds_add_u32 v11, v61
	s_or_b32 exec_lo, exec_lo, s1
	s_mov_b32 s1, exec_lo
	v_cmpx_gt_u32_e64 s0, v29
	s_cbranch_execz .LBB1641_195
.LBB1641_202:                           ;   in Loop: Header=BB1641_180 Depth=2
	v_and_b32_e32 v11, 1, v10
	s_delay_alu instid0(VALU_DEP_1) | instskip(NEXT) | instid1(VALU_DEP_1)
	v_lshrrev_b32_e32 v11, s30, v11
	v_and_b32_e32 v11, s31, v11
	s_delay_alu instid0(VALU_DEP_1) | instskip(SKIP_3) | instid1(SALU_CYCLE_1)
	v_lshl_or_b32 v11, v11, 4, v39
	ds_add_u32 v11, v61
	s_wait_alu 0xfffe
	s_or_b32 exec_lo, exec_lo, s1
	s_mov_b32 s1, exec_lo
	v_cmpx_gt_u32_e64 s0, v30
	s_cbranch_execz .LBB1641_196
.LBB1641_203:                           ;   in Loop: Header=BB1641_180 Depth=2
	v_and_b32_e32 v11, 1, v9
	s_delay_alu instid0(VALU_DEP_1) | instskip(NEXT) | instid1(VALU_DEP_1)
	v_lshrrev_b32_e32 v11, s30, v11
	v_and_b32_e32 v11, s31, v11
	s_delay_alu instid0(VALU_DEP_1) | instskip(SKIP_3) | instid1(SALU_CYCLE_1)
	v_lshl_or_b32 v11, v11, 4, v39
	ds_add_u32 v11, v61
	s_wait_alu 0xfffe
	s_or_b32 exec_lo, exec_lo, s1
	s_mov_b32 s1, exec_lo
	v_cmpx_gt_u32_e64 s0, v31
	s_cbranch_execz .LBB1641_197
.LBB1641_204:                           ;   in Loop: Header=BB1641_180 Depth=2
	v_and_b32_e32 v11, 1, v8
	s_delay_alu instid0(VALU_DEP_1) | instskip(NEXT) | instid1(VALU_DEP_1)
	v_lshrrev_b32_e32 v11, s30, v11
	v_and_b32_e32 v11, s31, v11
	s_delay_alu instid0(VALU_DEP_1) | instskip(SKIP_3) | instid1(SALU_CYCLE_1)
	v_lshl_or_b32 v11, v11, 4, v39
	ds_add_u32 v11, v61
	s_wait_alu 0xfffe
	s_or_b32 exec_lo, exec_lo, s1
	s_mov_b32 s1, exec_lo
	v_cmpx_gt_u32_e64 s0, v34
	s_cbranch_execz .LBB1641_198
.LBB1641_205:                           ;   in Loop: Header=BB1641_180 Depth=2
	v_and_b32_e32 v11, 1, v6
	s_delay_alu instid0(VALU_DEP_1) | instskip(NEXT) | instid1(VALU_DEP_1)
	v_lshrrev_b32_e32 v11, s30, v11
	v_and_b32_e32 v11, s31, v11
	s_delay_alu instid0(VALU_DEP_1) | instskip(SKIP_3) | instid1(SALU_CYCLE_1)
	v_lshl_or_b32 v11, v11, 4, v39
	ds_add_u32 v11, v61
	s_wait_alu 0xfffe
	s_or_b32 exec_lo, exec_lo, s1
	s_mov_b32 s1, exec_lo
	v_cmpx_gt_u32_e64 s0, v35
	s_cbranch_execz .LBB1641_199
.LBB1641_206:                           ;   in Loop: Header=BB1641_180 Depth=2
	v_and_b32_e32 v11, 1, v5
	s_delay_alu instid0(VALU_DEP_1) | instskip(NEXT) | instid1(VALU_DEP_1)
	v_lshrrev_b32_e32 v11, s30, v11
	v_and_b32_e32 v11, s31, v11
	s_delay_alu instid0(VALU_DEP_1) | instskip(SKIP_3) | instid1(SALU_CYCLE_1)
	v_lshl_or_b32 v11, v11, 4, v39
	ds_add_u32 v11, v61
	s_wait_alu 0xfffe
	s_or_b32 exec_lo, exec_lo, s1
	s_mov_b32 s1, exec_lo
	v_cmpx_gt_u32_e64 s0, v36
	s_cbranch_execz .LBB1641_200
.LBB1641_207:                           ;   in Loop: Header=BB1641_180 Depth=2
	v_and_b32_e32 v11, 1, v4
	s_delay_alu instid0(VALU_DEP_1) | instskip(NEXT) | instid1(VALU_DEP_1)
	v_lshrrev_b32_e32 v11, s30, v11
	v_and_b32_e32 v11, s31, v11
	s_delay_alu instid0(VALU_DEP_1)
	v_lshl_or_b32 v11, v11, 4, v39
	ds_add_u32 v11, v61
	s_wait_alu 0xfffe
	s_or_b32 exec_lo, exec_lo, s1
	v_cmp_gt_u32_e32 vcc_lo, s0, v37
	s_and_saveexec_b32 s0, vcc_lo
	s_cbranch_execz .LBB1641_179
.LBB1641_208:                           ;   in Loop: Header=BB1641_180 Depth=2
	v_and_b32_e32 v11, 1, v2
	s_delay_alu instid0(VALU_DEP_1) | instskip(NEXT) | instid1(VALU_DEP_1)
	v_lshrrev_b32_e32 v11, s30, v11
	v_and_b32_e32 v11, s31, v11
	s_delay_alu instid0(VALU_DEP_1)
	v_lshl_or_b32 v11, v11, 4, v39
	ds_add_u32 v11, v61
	s_branch .LBB1641_179
.LBB1641_209:                           ;   in Loop: Header=BB1641_180 Depth=2
	s_wait_loadcnt 0x0
	s_wait_alu 0xfffe
	v_add_co_u32 v11, s12, s0, v1
	s_wait_alu 0xf1ff
	v_add_co_ci_u32_e64 v12, null, s1, 0, s12
	global_load_u8 v7, v[11:12], off
	s_or_b32 exec_lo, exec_lo, s11
	s_delay_alu instid0(SALU_CYCLE_1)
	s_mov_b32 s11, exec_lo
	v_cmpx_gt_u32_e64 s9, v29
	s_cbranch_execz .LBB1641_185
.LBB1641_210:                           ;   in Loop: Header=BB1641_180 Depth=2
	v_add_co_u32 v10, s12, s0, v1
	s_wait_loadcnt 0x0
	s_wait_alu 0xf1ff
	v_add_co_ci_u32_e64 v11, null, s1, 0, s12
	global_load_u8 v10, v[10:11], off offset:256
	s_wait_alu 0xfffe
	s_or_b32 exec_lo, exec_lo, s11
	s_delay_alu instid0(SALU_CYCLE_1)
	s_mov_b32 s11, exec_lo
	v_cmpx_gt_u32_e64 s9, v30
	s_cbranch_execz .LBB1641_186
.LBB1641_211:                           ;   in Loop: Header=BB1641_180 Depth=2
	s_wait_loadcnt 0x0
	v_add_co_u32 v11, s12, s0, v1
	s_wait_alu 0xf1ff
	v_add_co_ci_u32_e64 v12, null, s1, 0, s12
	global_load_u8 v9, v[11:12], off offset:512
	s_wait_alu 0xfffe
	s_or_b32 exec_lo, exec_lo, s11
	s_delay_alu instid0(SALU_CYCLE_1)
	s_mov_b32 s11, exec_lo
	v_cmpx_gt_u32_e64 s9, v31
	s_cbranch_execz .LBB1641_187
.LBB1641_212:                           ;   in Loop: Header=BB1641_180 Depth=2
	s_wait_loadcnt 0x0
	v_add_co_u32 v11, s12, s0, v1
	s_wait_alu 0xf1ff
	v_add_co_ci_u32_e64 v12, null, s1, 0, s12
	global_load_u8 v8, v[11:12], off offset:768
	s_wait_alu 0xfffe
	s_or_b32 exec_lo, exec_lo, s11
	s_delay_alu instid0(SALU_CYCLE_1)
	s_mov_b32 s11, exec_lo
	v_cmpx_gt_u32_e64 s9, v34
	s_cbranch_execz .LBB1641_188
.LBB1641_213:                           ;   in Loop: Header=BB1641_180 Depth=2
	s_wait_loadcnt 0x0
	v_add_co_u32 v11, s12, s0, v1
	s_wait_alu 0xf1ff
	v_add_co_ci_u32_e64 v12, null, s1, 0, s12
	global_load_u8 v6, v[11:12], off offset:1024
	s_wait_alu 0xfffe
	s_or_b32 exec_lo, exec_lo, s11
	s_delay_alu instid0(SALU_CYCLE_1)
	s_mov_b32 s11, exec_lo
	v_cmpx_gt_u32_e64 s9, v35
	s_cbranch_execz .LBB1641_189
.LBB1641_214:                           ;   in Loop: Header=BB1641_180 Depth=2
	s_wait_loadcnt 0x0
	v_add_co_u32 v11, s12, s0, v1
	s_wait_alu 0xf1ff
	v_add_co_ci_u32_e64 v12, null, s1, 0, s12
	global_load_u8 v5, v[11:12], off offset:1280
	s_wait_alu 0xfffe
	s_or_b32 exec_lo, exec_lo, s11
	s_delay_alu instid0(SALU_CYCLE_1)
	s_mov_b32 s11, exec_lo
	v_cmpx_gt_u32_e64 s9, v36
	s_cbranch_execz .LBB1641_190
.LBB1641_215:                           ;   in Loop: Header=BB1641_180 Depth=2
	s_wait_loadcnt 0x0
	v_add_co_u32 v11, s12, s0, v1
	s_wait_alu 0xf1ff
	v_add_co_ci_u32_e64 v12, null, s1, 0, s12
	global_load_u8 v4, v[11:12], off offset:1536
	s_wait_alu 0xfffe
	s_or_b32 exec_lo, exec_lo, s11
	s_delay_alu instid0(SALU_CYCLE_1)
	s_mov_b32 s11, exec_lo
	v_cmpx_gt_u32_e64 s9, v37
	s_cbranch_execnz .LBB1641_191
	s_branch .LBB1641_192
.LBB1641_216:                           ;   in Loop: Header=BB1641_12 Depth=1
	v_mov_b32_e32 v2, 0
	s_wait_dscnt 0x0
	s_barrier_signal -1
	s_barrier_wait -1
	global_inv scope:SCOPE_SE
	s_and_saveexec_b32 s0, s2
	s_cbranch_execz .LBB1641_218
; %bb.217:                              ;   in Loop: Header=BB1641_12 Depth=1
	ds_load_2addr_b64 v[4:7], v40 offset1:1
	s_wait_dscnt 0x0
	v_add_nc_u32_e32 v2, v5, v4
	s_delay_alu instid0(VALU_DEP_1)
	v_add3_u32 v2, v2, v6, v7
.LBB1641_218:                           ;   in Loop: Header=BB1641_12 Depth=1
	s_wait_alu 0xfffe
	s_or_b32 exec_lo, exec_lo, s0
	s_delay_alu instid0(VALU_DEP_1)
	v_mov_b32_dpp v4, v2 row_shr:1 row_mask:0xf bank_mask:0xf
	v_cmp_eq_u32_e64 s0, 0, v62
	v_cmp_lt_u32_e64 s1, 1, v62
	v_cmp_lt_u32_e64 s9, 3, v62
	;; [unrolled: 1-line block ×3, first 2 shown]
	v_cmp_eq_u32_e64 s11, 0, v64
	s_wait_alu 0xf1ff
	v_cndmask_b32_e64 v4, v4, 0, s0
	s_delay_alu instid0(VALU_DEP_1) | instskip(NEXT) | instid1(VALU_DEP_1)
	v_add_nc_u32_e32 v2, v4, v2
	v_mov_b32_dpp v4, v2 row_shr:2 row_mask:0xf bank_mask:0xf
	s_delay_alu instid0(VALU_DEP_1) | instskip(NEXT) | instid1(VALU_DEP_1)
	v_cndmask_b32_e64 v4, 0, v4, s1
	v_add_nc_u32_e32 v2, v2, v4
	s_delay_alu instid0(VALU_DEP_1) | instskip(NEXT) | instid1(VALU_DEP_1)
	v_mov_b32_dpp v4, v2 row_shr:4 row_mask:0xf bank_mask:0xf
	v_cndmask_b32_e64 v4, 0, v4, s9
	s_delay_alu instid0(VALU_DEP_1) | instskip(NEXT) | instid1(VALU_DEP_1)
	v_add_nc_u32_e32 v2, v2, v4
	v_mov_b32_dpp v4, v2 row_shr:8 row_mask:0xf bank_mask:0xf
	s_delay_alu instid0(VALU_DEP_1) | instskip(NEXT) | instid1(VALU_DEP_1)
	v_cndmask_b32_e64 v4, 0, v4, s10
	v_add_nc_u32_e32 v2, v2, v4
	ds_swizzle_b32 v4, v2 offset:swizzle(BROADCAST,32,15)
	s_wait_dscnt 0x0
	v_and_b32_e32 v4, v63, v4
	s_delay_alu instid0(VALU_DEP_1)
	v_add_nc_u32_e32 v2, v2, v4
	s_and_saveexec_b32 s12, s3
; %bb.219:                              ;   in Loop: Header=BB1641_12 Depth=1
	ds_store_b32 v41, v2
; %bb.220:                              ;   in Loop: Header=BB1641_12 Depth=1
	s_wait_alu 0xfffe
	s_or_b32 exec_lo, exec_lo, s12
	s_wait_loadcnt_dscnt 0x0
	s_barrier_signal -1
	s_barrier_wait -1
	global_inv scope:SCOPE_SE
	s_and_saveexec_b32 s12, s4
	s_cbranch_execz .LBB1641_222
; %bb.221:                              ;   in Loop: Header=BB1641_12 Depth=1
	ds_load_b32 v4, v42
	v_cmp_ne_u32_e32 vcc_lo, 0, v65
	s_wait_dscnt 0x0
	v_mov_b32_dpp v5, v4 row_shr:1 row_mask:0xf bank_mask:0xf
	s_wait_alu 0xfffd
	s_delay_alu instid0(VALU_DEP_1) | instskip(SKIP_1) | instid1(VALU_DEP_2)
	v_cndmask_b32_e32 v5, 0, v5, vcc_lo
	v_cmp_lt_u32_e32 vcc_lo, 1, v65
	v_add_nc_u32_e32 v4, v5, v4
	s_delay_alu instid0(VALU_DEP_1) | instskip(SKIP_1) | instid1(VALU_DEP_1)
	v_mov_b32_dpp v5, v4 row_shr:2 row_mask:0xf bank_mask:0xf
	s_wait_alu 0xfffd
	v_cndmask_b32_e32 v5, 0, v5, vcc_lo
	v_cmp_lt_u32_e32 vcc_lo, 3, v65
	s_delay_alu instid0(VALU_DEP_2) | instskip(NEXT) | instid1(VALU_DEP_1)
	v_add_nc_u32_e32 v4, v4, v5
	v_mov_b32_dpp v5, v4 row_shr:4 row_mask:0xf bank_mask:0xf
	s_wait_alu 0xfffd
	s_delay_alu instid0(VALU_DEP_1) | instskip(NEXT) | instid1(VALU_DEP_1)
	v_cndmask_b32_e32 v5, 0, v5, vcc_lo
	v_add_nc_u32_e32 v4, v4, v5
	ds_store_b32 v42, v4
.LBB1641_222:                           ;   in Loop: Header=BB1641_12 Depth=1
	s_wait_alu 0xfffe
	s_or_b32 exec_lo, exec_lo, s12
	v_mov_b32_e32 v4, 0
	s_wait_loadcnt_dscnt 0x0
	s_barrier_signal -1
	s_barrier_wait -1
	global_inv scope:SCOPE_SE
	s_and_saveexec_b32 s12, s5
; %bb.223:                              ;   in Loop: Header=BB1641_12 Depth=1
	ds_load_b32 v4, v43
; %bb.224:                              ;   in Loop: Header=BB1641_12 Depth=1
	s_wait_alu 0xfffe
	s_or_b32 exec_lo, exec_lo, s12
	v_cmp_gt_i32_e32 vcc_lo, 0, v67
	s_wait_dscnt 0x0
	v_add_nc_u32_e32 v2, v4, v2
	s_wait_loadcnt 0x0
	s_barrier_signal -1
	s_barrier_wait -1
	s_wait_alu 0xfffd
	v_cndmask_b32_e32 v5, v67, v58, vcc_lo
	global_inv scope:SCOPE_SE
	v_lshlrev_b32_e32 v80, 2, v5
	ds_bpermute_b32 v2, v80, v2
	s_and_saveexec_b32 s12, s2
	s_cbranch_execz .LBB1641_226
; %bb.225:                              ;   in Loop: Header=BB1641_12 Depth=1
	s_wait_dscnt 0x0
	v_cndmask_b32_e64 v2, v2, v4, s8
	s_delay_alu instid0(VALU_DEP_1)
	v_add_nc_u32_e32 v2, s33, v2
	ds_store_b32 v28, v2
.LBB1641_226:                           ;   in Loop: Header=BB1641_12 Depth=1
	s_wait_alu 0xfffe
	s_or_b32 exec_lo, exec_lo, s12
	s_load_b64 s[12:13], s[28:29], 0x0
	v_add_co_u32 v81, vcc_lo, v50, v66
	s_wait_alu 0xfffd
	v_add_co_ci_u32_e64 v82, null, 0, v51, vcc_lo
	v_add_co_u32 v83, vcc_lo, v52, v58
	s_wait_alu 0xfffd
	v_add_co_ci_u32_e64 v84, null, 0, v53, vcc_lo
	s_mov_b32 s42, s47
                                        ; implicit-def: $vgpr6_vgpr7
                                        ; implicit-def: $vgpr8_vgpr9
                                        ; implicit-def: $vgpr10_vgpr11
                                        ; implicit-def: $vgpr12_vgpr13
                                        ; implicit-def: $vgpr14_vgpr15
                                        ; implicit-def: $vgpr16_vgpr17
                                        ; implicit-def: $vgpr18_vgpr19
                                        ; implicit-def: $vgpr86
                                        ; implicit-def: $vgpr87
                                        ; implicit-def: $vgpr88
                                        ; implicit-def: $vgpr89
                                        ; implicit-def: $vgpr90
                                        ; implicit-def: $vgpr91
                                        ; implicit-def: $vgpr92
                                        ; implicit-def: $vgpr93
	s_wait_kmcnt 0x0
	s_cmp_lt_u32 ttmp7, s13
	s_cselect_b32 s22, 14, 20
	s_cmp_lt_u32 ttmp9, s12
	s_wait_alu 0xfffe
	s_add_nc_u64 s[14:15], s[28:29], s[22:23]
	s_cselect_b32 s22, 12, 18
	s_load_u16 s14, s[14:15], 0x0
	s_add_nc_u64 s[12:13], s[28:29], s[22:23]
	s_mov_b32 s22, s33
	s_load_u16 s12, s[12:13], 0x0
	v_cmp_lt_u32_e64 s13, 1, v65
	s_wait_dscnt 0x0
	s_wait_kmcnt 0x0
	v_mad_u32_u24 v2, v44, s14, v0
	v_cmp_lt_u32_e64 s14, 3, v65
	s_delay_alu instid0(VALU_DEP_2) | instskip(SKIP_1) | instid1(VALU_DEP_2)
	v_mad_co_u64_u32 v[4:5], null, v2, s12, v[1:2]
	v_cmp_eq_u32_e64 s12, 0, v65
	v_lshrrev_b32_e32 v2, 3, v4
                                        ; implicit-def: $vgpr4_vgpr5
	s_delay_alu instid0(VALU_DEP_1)
	v_and_b32_e32 v85, 0x1ffffffc, v2
	s_branch .LBB1641_228
.LBB1641_227:                           ;   in Loop: Header=BB1641_228 Depth=2
	s_wait_alu 0xfffe
	s_or_b32 exec_lo, exec_lo, s15
	s_addk_co_i32 s42, 0xf800
	s_cmp_lt_u32 s43, s34
	s_mov_b32 s22, s43
	s_cbranch_scc0 .LBB1641_340
.LBB1641_228:                           ;   Parent Loop BB1641_12 Depth=1
                                        ; =>  This Inner Loop Header: Depth=2
	s_wait_alu 0xfffe
	s_add_co_i32 s43, s22, 0x800
	s_wait_alu 0xfffe
	s_cmp_gt_u32 s43, s34
	s_cbranch_scc1 .LBB1641_230
; %bb.229:                              ;   in Loop: Header=BB1641_228 Depth=2
	v_add_co_u32 v20, vcc_lo, v83, s22
	s_wait_alu 0xfffd
	v_add_co_ci_u32_e64 v21, null, 0, v84, vcc_lo
	s_mov_b32 s15, -1
	s_clause 0x6
	global_load_u8 v94, v[20:21], off
	global_load_u8 v95, v[20:21], off offset:32
	global_load_u8 v96, v[20:21], off offset:64
	;; [unrolled: 1-line block ×6, first 2 shown]
	s_movk_i32 s16, 0x800
	s_cbranch_execz .LBB1641_231
	s_branch .LBB1641_246
.LBB1641_230:                           ;   in Loop: Header=BB1641_228 Depth=2
	s_mov_b32 s15, 0
                                        ; implicit-def: $vgpr94
                                        ; implicit-def: $vgpr95
                                        ; implicit-def: $vgpr96
                                        ; implicit-def: $vgpr97
                                        ; implicit-def: $vgpr98
                                        ; implicit-def: $vgpr99
                                        ; implicit-def: $vgpr100
	s_movk_i32 s16, 0x800
.LBB1641_231:                           ;   in Loop: Header=BB1641_228 Depth=2
	v_add_co_u32 v20, vcc_lo, v83, s22
	s_wait_alu 0xfffd
	v_add_co_ci_u32_e64 v21, null, 0, v84, vcc_lo
	s_wait_loadcnt 0x5
	v_dual_mov_b32 v95, 1 :: v_dual_mov_b32 v94, 1
	s_mov_b32 s15, exec_lo
	v_cmpx_gt_u32_e64 s42, v68
	s_cbranch_execz .LBB1641_233
; %bb.232:                              ;   in Loop: Header=BB1641_228 Depth=2
	global_load_u8 v94, v[20:21], off
.LBB1641_233:                           ;   in Loop: Header=BB1641_228 Depth=2
	s_wait_alu 0xfffe
	s_or_b32 exec_lo, exec_lo, s15
	s_delay_alu instid0(SALU_CYCLE_1)
	s_mov_b32 s15, exec_lo
	v_cmpx_gt_u32_e64 s42, v71
	s_cbranch_execz .LBB1641_235
; %bb.234:                              ;   in Loop: Header=BB1641_228 Depth=2
	global_load_u8 v95, v[20:21], off offset:32
.LBB1641_235:                           ;   in Loop: Header=BB1641_228 Depth=2
	s_wait_alu 0xfffe
	s_or_b32 exec_lo, exec_lo, s15
	s_wait_loadcnt 0x3
	v_dual_mov_b32 v97, 1 :: v_dual_mov_b32 v96, 1
	s_mov_b32 s15, exec_lo
	v_cmpx_gt_u32_e64 s42, v72
	s_cbranch_execz .LBB1641_237
; %bb.236:                              ;   in Loop: Header=BB1641_228 Depth=2
	global_load_u8 v96, v[20:21], off offset:64
.LBB1641_237:                           ;   in Loop: Header=BB1641_228 Depth=2
	s_wait_alu 0xfffe
	s_or_b32 exec_lo, exec_lo, s15
	s_delay_alu instid0(SALU_CYCLE_1)
	s_mov_b32 s15, exec_lo
	v_cmpx_gt_u32_e64 s42, v73
	s_cbranch_execz .LBB1641_239
; %bb.238:                              ;   in Loop: Header=BB1641_228 Depth=2
	global_load_u8 v97, v[20:21], off offset:96
.LBB1641_239:                           ;   in Loop: Header=BB1641_228 Depth=2
	s_wait_alu 0xfffe
	s_or_b32 exec_lo, exec_lo, s15
	s_wait_loadcnt 0x1
	v_dual_mov_b32 v99, 1 :: v_dual_mov_b32 v98, 1
	s_mov_b32 s15, exec_lo
	v_cmpx_gt_u32_e64 s42, v74
	s_cbranch_execz .LBB1641_241
; %bb.240:                              ;   in Loop: Header=BB1641_228 Depth=2
	global_load_u8 v98, v[20:21], off offset:128
.LBB1641_241:                           ;   in Loop: Header=BB1641_228 Depth=2
	s_wait_alu 0xfffe
	s_or_b32 exec_lo, exec_lo, s15
	s_delay_alu instid0(SALU_CYCLE_1)
	s_mov_b32 s15, exec_lo
	v_cmpx_gt_u32_e64 s42, v75
	s_cbranch_execz .LBB1641_243
; %bb.242:                              ;   in Loop: Header=BB1641_228 Depth=2
	global_load_u8 v99, v[20:21], off offset:160
.LBB1641_243:                           ;   in Loop: Header=BB1641_228 Depth=2
	s_wait_alu 0xfffe
	s_or_b32 exec_lo, exec_lo, s15
	s_wait_loadcnt 0x0
	v_mov_b32_e32 v100, 1
	s_mov_b32 s15, exec_lo
	v_cmpx_gt_u32_e64 s42, v76
	s_cbranch_execz .LBB1641_245
; %bb.244:                              ;   in Loop: Header=BB1641_228 Depth=2
	global_load_u8 v100, v[20:21], off offset:192
.LBB1641_245:                           ;   in Loop: Header=BB1641_228 Depth=2
	s_wait_alu 0xfffe
	s_or_b32 exec_lo, exec_lo, s15
	v_cmp_gt_u32_e64 s15, s42, v77
	s_sub_co_i32 s16, s34, s22
.LBB1641_246:                           ;   in Loop: Header=BB1641_228 Depth=2
	v_dual_mov_b32 v101, 1 :: v_dual_mov_b32 v2, s42
	s_wait_alu 0xfffe
	s_and_saveexec_b32 s17, s15
	s_cbranch_execz .LBB1641_248
; %bb.247:                              ;   in Loop: Header=BB1641_228 Depth=2
	v_add_co_u32 v20, vcc_lo, v83, s22
	s_wait_alu 0xfffd
	v_add_co_ci_u32_e64 v21, null, s23, v84, vcc_lo
	v_mov_b32_e32 v2, s16
	global_load_u8 v101, v[20:21], off offset:224
.LBB1641_248:                           ;   in Loop: Header=BB1641_228 Depth=2
	s_wait_alu 0xfffe
	s_or_b32 exec_lo, exec_lo, s17
	s_wait_loadcnt 0x6
	v_and_b32_e32 v20, 0xff, v94
	v_add_nc_u32_e32 v103, 0x438, v45
	v_add_nc_u32_e32 v104, 0x420, v45
	;; [unrolled: 1-line block ×4, first 2 shown]
	v_lshrrev_b32_e32 v20, s30, v20
	ds_store_2addr_b32 v103, v3, v3 offset1:1
	ds_store_2addr_b32 v104, v3, v3 offset1:1
	;; [unrolled: 1-line block ×4, first 2 shown]
	ds_store_b32 v45, v3 offset:1088
	s_wait_loadcnt_dscnt 0x0
	s_barrier_signal -1
	v_and_b32_e32 v21, s31, v20
	s_barrier_wait -1
	global_inv scope:SCOPE_SE
	; wave barrier
	v_add_co_u32 v20, s15, v21, -1
	s_wait_alu 0xf1ff
	v_cndmask_b32_e64 v22, 0, 1, s15
	v_mul_u32_u24_e32 v21, 36, v21
	s_delay_alu instid0(VALU_DEP_2) | instskip(NEXT) | instid1(VALU_DEP_2)
	v_cmp_ne_u32_e32 vcc_lo, 0, v22
	v_add_nc_u32_e32 v108, v85, v21
	s_wait_alu 0xfffd
	v_xor_b32_e32 v20, vcc_lo, v20
	s_delay_alu instid0(VALU_DEP_1) | instskip(NEXT) | instid1(VALU_DEP_1)
	v_and_b32_e32 v20, exec_lo, v20
	v_mbcnt_lo_u32_b32 v102, v20, 0
	v_cmp_ne_u32_e64 s15, 0, v20
	s_delay_alu instid0(VALU_DEP_2)
	v_cmp_eq_u32_e32 vcc_lo, 0, v102
	s_and_b32 s16, s15, vcc_lo
	s_wait_alu 0xfffe
	s_and_saveexec_b32 s15, s16
; %bb.249:                              ;   in Loop: Header=BB1641_228 Depth=2
	v_bcnt_u32_b32 v20, v20, 0
	ds_store_b32 v108, v20 offset:1056
; %bb.250:                              ;   in Loop: Header=BB1641_228 Depth=2
	s_wait_alu 0xfffe
	s_or_b32 exec_lo, exec_lo, s15
	v_and_b32_e32 v20, 0xff, v95
	; wave barrier
	s_delay_alu instid0(VALU_DEP_1) | instskip(NEXT) | instid1(VALU_DEP_1)
	v_lshrrev_b32_e32 v20, s30, v20
	v_and_b32_e32 v21, s31, v20
	s_delay_alu instid0(VALU_DEP_1) | instskip(SKIP_2) | instid1(VALU_DEP_1)
	v_add_co_u32 v20, s15, v21, -1
	s_wait_alu 0xf1ff
	v_cndmask_b32_e64 v22, 0, 1, s15
	v_cmp_ne_u32_e32 vcc_lo, 0, v22
	v_mad_u32_u24 v22, v21, 36, v85
	v_mul_u32_u24_e32 v21, 36, v21
	s_wait_alu 0xfffd
	v_xor_b32_e32 v20, vcc_lo, v20
	ds_load_b32 v107, v22 offset:1056
	v_add_nc_u32_e32 v112, v85, v21
	; wave barrier
	v_and_b32_e32 v20, exec_lo, v20
	s_delay_alu instid0(VALU_DEP_1) | instskip(SKIP_1) | instid1(VALU_DEP_2)
	v_mbcnt_lo_u32_b32 v109, v20, 0
	v_cmp_ne_u32_e64 s15, 0, v20
	v_cmp_eq_u32_e32 vcc_lo, 0, v109
	s_and_b32 s16, s15, vcc_lo
	s_wait_alu 0xfffe
	s_and_saveexec_b32 s15, s16
	s_cbranch_execz .LBB1641_252
; %bb.251:                              ;   in Loop: Header=BB1641_228 Depth=2
	s_wait_dscnt 0x0
	v_bcnt_u32_b32 v20, v20, v107
	ds_store_b32 v112, v20 offset:1056
.LBB1641_252:                           ;   in Loop: Header=BB1641_228 Depth=2
	s_wait_alu 0xfffe
	s_or_b32 exec_lo, exec_lo, s15
	v_and_b32_e32 v20, 0xff, v96
	; wave barrier
	s_delay_alu instid0(VALU_DEP_1) | instskip(NEXT) | instid1(VALU_DEP_1)
	v_lshrrev_b32_e32 v20, s30, v20
	v_and_b32_e32 v21, s31, v20
	s_delay_alu instid0(VALU_DEP_1) | instskip(SKIP_2) | instid1(VALU_DEP_1)
	v_add_co_u32 v20, s15, v21, -1
	s_wait_alu 0xf1ff
	v_cndmask_b32_e64 v22, 0, 1, s15
	v_cmp_ne_u32_e32 vcc_lo, 0, v22
	v_mad_u32_u24 v22, v21, 36, v85
	v_mul_u32_u24_e32 v21, 36, v21
	s_wait_alu 0xfffd
	v_xor_b32_e32 v20, vcc_lo, v20
	ds_load_b32 v110, v22 offset:1056
	v_add_nc_u32_e32 v115, v85, v21
	; wave barrier
	v_and_b32_e32 v20, exec_lo, v20
	s_delay_alu instid0(VALU_DEP_1) | instskip(SKIP_1) | instid1(VALU_DEP_2)
	v_mbcnt_lo_u32_b32 v111, v20, 0
	v_cmp_ne_u32_e64 s15, 0, v20
	v_cmp_eq_u32_e32 vcc_lo, 0, v111
	s_and_b32 s16, s15, vcc_lo
	s_wait_alu 0xfffe
	s_and_saveexec_b32 s15, s16
	s_cbranch_execz .LBB1641_254
; %bb.253:                              ;   in Loop: Header=BB1641_228 Depth=2
	s_wait_dscnt 0x0
	v_bcnt_u32_b32 v20, v20, v110
	ds_store_b32 v115, v20 offset:1056
.LBB1641_254:                           ;   in Loop: Header=BB1641_228 Depth=2
	;; [unrolled: 33-line block ×7, first 2 shown]
	s_wait_alu 0xfffe
	s_or_b32 exec_lo, exec_lo, s15
	; wave barrier
	s_wait_loadcnt_dscnt 0x0
	s_barrier_signal -1
	s_barrier_wait -1
	global_inv scope:SCOPE_SE
	ds_load_2addr_b32 v[26:27], v104 offset1:1
	ds_load_2addr_b32 v[24:25], v105 offset1:1
	ds_load_2addr_b32 v[22:23], v106 offset1:1
	ds_load_2addr_b32 v[20:21], v103 offset1:1
	ds_load_b32 v129, v45 offset:1088
	s_wait_dscnt 0x3
	v_add3_u32 v130, v27, v26, v24
	s_wait_dscnt 0x2
	s_delay_alu instid0(VALU_DEP_1) | instskip(SKIP_1) | instid1(VALU_DEP_1)
	v_add3_u32 v130, v130, v25, v22
	s_wait_dscnt 0x1
	v_add3_u32 v130, v130, v23, v20
	s_wait_dscnt 0x0
	s_delay_alu instid0(VALU_DEP_1) | instskip(NEXT) | instid1(VALU_DEP_1)
	v_add3_u32 v129, v130, v21, v129
	v_mov_b32_dpp v130, v129 row_shr:1 row_mask:0xf bank_mask:0xf
	s_delay_alu instid0(VALU_DEP_1) | instskip(NEXT) | instid1(VALU_DEP_1)
	v_cndmask_b32_e64 v130, v130, 0, s0
	v_add_nc_u32_e32 v129, v130, v129
	s_delay_alu instid0(VALU_DEP_1) | instskip(NEXT) | instid1(VALU_DEP_1)
	v_mov_b32_dpp v130, v129 row_shr:2 row_mask:0xf bank_mask:0xf
	v_cndmask_b32_e64 v130, 0, v130, s1
	s_delay_alu instid0(VALU_DEP_1) | instskip(NEXT) | instid1(VALU_DEP_1)
	v_add_nc_u32_e32 v129, v129, v130
	v_mov_b32_dpp v130, v129 row_shr:4 row_mask:0xf bank_mask:0xf
	s_delay_alu instid0(VALU_DEP_1) | instskip(NEXT) | instid1(VALU_DEP_1)
	v_cndmask_b32_e64 v130, 0, v130, s9
	v_add_nc_u32_e32 v129, v129, v130
	s_delay_alu instid0(VALU_DEP_1) | instskip(NEXT) | instid1(VALU_DEP_1)
	v_mov_b32_dpp v130, v129 row_shr:8 row_mask:0xf bank_mask:0xf
	v_cndmask_b32_e64 v130, 0, v130, s10
	s_delay_alu instid0(VALU_DEP_1) | instskip(SKIP_3) | instid1(VALU_DEP_1)
	v_add_nc_u32_e32 v129, v129, v130
	ds_swizzle_b32 v130, v129 offset:swizzle(BROADCAST,32,15)
	s_wait_dscnt 0x0
	v_cndmask_b32_e64 v130, v130, 0, s11
	v_add_nc_u32_e32 v129, v129, v130
	s_and_saveexec_b32 s15, s3
; %bb.265:                              ;   in Loop: Header=BB1641_228 Depth=2
	ds_store_b32 v38, v129 offset:1024
; %bb.266:                              ;   in Loop: Header=BB1641_228 Depth=2
	s_wait_alu 0xfffe
	s_or_b32 exec_lo, exec_lo, s15
	s_wait_loadcnt_dscnt 0x0
	s_barrier_signal -1
	s_barrier_wait -1
	global_inv scope:SCOPE_SE
	s_and_saveexec_b32 s15, s4
	s_cbranch_execz .LBB1641_268
; %bb.267:                              ;   in Loop: Header=BB1641_228 Depth=2
	v_add_nc_u32_e32 v130, v45, v46
	ds_load_b32 v131, v130 offset:1024
	s_wait_dscnt 0x0
	v_mov_b32_dpp v132, v131 row_shr:1 row_mask:0xf bank_mask:0xf
	s_delay_alu instid0(VALU_DEP_1) | instskip(NEXT) | instid1(VALU_DEP_1)
	v_cndmask_b32_e64 v132, v132, 0, s12
	v_add_nc_u32_e32 v131, v132, v131
	s_delay_alu instid0(VALU_DEP_1) | instskip(NEXT) | instid1(VALU_DEP_1)
	v_mov_b32_dpp v132, v131 row_shr:2 row_mask:0xf bank_mask:0xf
	v_cndmask_b32_e64 v132, 0, v132, s13
	s_delay_alu instid0(VALU_DEP_1) | instskip(NEXT) | instid1(VALU_DEP_1)
	v_add_nc_u32_e32 v131, v131, v132
	v_mov_b32_dpp v132, v131 row_shr:4 row_mask:0xf bank_mask:0xf
	s_delay_alu instid0(VALU_DEP_1) | instskip(NEXT) | instid1(VALU_DEP_1)
	v_cndmask_b32_e64 v132, 0, v132, s14
	v_add_nc_u32_e32 v131, v131, v132
	ds_store_b32 v130, v131 offset:1024
.LBB1641_268:                           ;   in Loop: Header=BB1641_228 Depth=2
	s_wait_alu 0xfffe
	s_or_b32 exec_lo, exec_lo, s15
	v_mov_b32_e32 v130, 0
	s_wait_loadcnt_dscnt 0x0
	s_barrier_signal -1
	s_barrier_wait -1
	global_inv scope:SCOPE_SE
	s_and_saveexec_b32 s15, s5
; %bb.269:                              ;   in Loop: Header=BB1641_228 Depth=2
	ds_load_b32 v130, v38 offset:1020
; %bb.270:                              ;   in Loop: Header=BB1641_228 Depth=2
	s_wait_alu 0xfffe
	s_or_b32 exec_lo, exec_lo, s15
	s_wait_dscnt 0x0
	v_add_nc_u32_e32 v129, v130, v129
	ds_bpermute_b32 v129, v80, v129
	s_wait_dscnt 0x0
	v_cndmask_b32_e64 v129, v129, v130, s8
	s_delay_alu instid0(VALU_DEP_1) | instskip(NEXT) | instid1(VALU_DEP_1)
	v_cndmask_b32_e64 v129, v129, 0, s6
	v_add_nc_u32_e32 v26, v129, v26
	s_delay_alu instid0(VALU_DEP_1) | instskip(NEXT) | instid1(VALU_DEP_1)
	v_add_nc_u32_e32 v27, v26, v27
	v_add_nc_u32_e32 v24, v27, v24
	s_delay_alu instid0(VALU_DEP_1) | instskip(NEXT) | instid1(VALU_DEP_1)
	v_add_nc_u32_e32 v25, v24, v25
	;; [unrolled: 3-line block ×3, first 2 shown]
	v_add_nc_u32_e32 v20, v23, v20
	s_delay_alu instid0(VALU_DEP_1)
	v_add_nc_u32_e32 v21, v20, v21
	ds_store_2addr_b32 v103, v23, v20 offset1:1
	ds_store_2addr_b32 v104, v129, v26 offset1:1
	;; [unrolled: 1-line block ×4, first 2 shown]
	ds_store_b32 v45, v21 offset:1088
	s_wait_loadcnt_dscnt 0x0
	s_barrier_signal -1
	s_barrier_wait -1
	global_inv scope:SCOPE_SE
	ds_load_b32 v20, v108 offset:1056
	ds_load_b32 v21, v112 offset:1056
	;; [unrolled: 1-line block ×9, first 2 shown]
	v_mov_b32_e32 v22, 0x800
	s_and_saveexec_b32 s15, s7
; %bb.271:                              ;   in Loop: Header=BB1641_228 Depth=2
	ds_load_b32 v22, v45 offset:1092
; %bb.272:                              ;   in Loop: Header=BB1641_228 Depth=2
	s_wait_alu 0xfffe
	s_or_b32 exec_lo, exec_lo, s15
	s_wait_loadcnt_dscnt 0x0
	s_barrier_signal -1
	s_barrier_wait -1
	global_inv scope:SCOPE_SE
	s_and_saveexec_b32 s15, s2
	s_cbranch_execz .LBB1641_274
; %bb.273:                              ;   in Loop: Header=BB1641_228 Depth=2
	ds_load_b32 v27, v28
	s_wait_dscnt 0x0
	v_sub_nc_u32_e32 v26, v27, v26
	ds_store_b32 v28, v26
.LBB1641_274:                           ;   in Loop: Header=BB1641_228 Depth=2
	s_wait_alu 0xfffe
	s_or_b32 exec_lo, exec_lo, s15
	v_add_nc_u32_e32 v104, v20, v102
	v_add3_u32 v103, v109, v107, v21
	v_add3_u32 v102, v111, v110, v23
	;; [unrolled: 1-line block ×7, first 2 shown]
	v_cmp_lt_u32_e64 s21, v1, v2
	ds_store_b8 v104, v94 offset:1024
	ds_store_b8 v103, v95 offset:1024
	;; [unrolled: 1-line block ×8, first 2 shown]
	s_wait_loadcnt_dscnt 0x0
	s_barrier_signal -1
	s_barrier_wait -1
	global_inv scope:SCOPE_SE
	s_and_saveexec_b32 s15, s21
	s_cbranch_execnz .LBB1641_311
; %bb.275:                              ;   in Loop: Header=BB1641_228 Depth=2
	s_wait_alu 0xfffe
	s_or_b32 exec_lo, exec_lo, s15
	v_cmp_lt_u32_e64 s20, v29, v2
	s_and_saveexec_b32 s15, s20
	s_cbranch_execnz .LBB1641_312
.LBB1641_276:                           ;   in Loop: Header=BB1641_228 Depth=2
	s_wait_alu 0xfffe
	s_or_b32 exec_lo, exec_lo, s15
	v_cmp_lt_u32_e64 s19, v30, v2
	s_and_saveexec_b32 s15, s19
	s_cbranch_execnz .LBB1641_313
.LBB1641_277:                           ;   in Loop: Header=BB1641_228 Depth=2
	s_wait_alu 0xfffe
	s_or_b32 exec_lo, exec_lo, s15
	v_cmp_lt_u32_e64 s18, v31, v2
	s_and_saveexec_b32 s15, s18
	s_cbranch_execnz .LBB1641_314
.LBB1641_278:                           ;   in Loop: Header=BB1641_228 Depth=2
	s_wait_alu 0xfffe
	s_or_b32 exec_lo, exec_lo, s15
	v_cmp_lt_u32_e64 s17, v34, v2
	s_and_saveexec_b32 s15, s17
	s_cbranch_execnz .LBB1641_315
.LBB1641_279:                           ;   in Loop: Header=BB1641_228 Depth=2
	s_wait_alu 0xfffe
	s_or_b32 exec_lo, exec_lo, s15
	v_cmp_lt_u32_e64 s16, v35, v2
	s_and_saveexec_b32 s15, s16
	s_cbranch_execnz .LBB1641_316
.LBB1641_280:                           ;   in Loop: Header=BB1641_228 Depth=2
	s_wait_alu 0xfffe
	s_or_b32 exec_lo, exec_lo, s15
	v_cmp_lt_u32_e64 s15, v36, v2
	s_and_saveexec_b32 s44, s15
	s_cbranch_execnz .LBB1641_317
.LBB1641_281:                           ;   in Loop: Header=BB1641_228 Depth=2
	s_wait_alu 0xfffe
	s_or_b32 exec_lo, exec_lo, s44
	v_cmp_lt_u32_e32 vcc_lo, v37, v2
	s_and_saveexec_b32 s44, vcc_lo
	s_cbranch_execz .LBB1641_283
.LBB1641_282:                           ;   in Loop: Header=BB1641_228 Depth=2
	ds_load_u8 v20, v1 offset:2816
	s_wait_dscnt 0x0
	v_and_b32_e32 v21, 1, v20
	s_delay_alu instid0(VALU_DEP_1) | instskip(NEXT) | instid1(VALU_DEP_1)
	v_lshrrev_b32_e32 v21, s30, v21
	v_and_b32_e32 v21, s31, v21
	s_delay_alu instid0(VALU_DEP_1)
	v_lshlrev_b32_e32 v21, 2, v21
	ds_load_b32 v21, v21
	s_wait_dscnt 0x0
	v_add_nc_u32_e32 v21, v21, v37
	global_store_b8 v21, v20, s[40:41]
.LBB1641_283:                           ;   in Loop: Header=BB1641_228 Depth=2
	s_wait_alu 0xfffe
	s_or_b32 exec_lo, exec_lo, s44
	s_lshl_b64 s[48:49], s[22:23], 3
	s_wait_alu 0xfffe
	v_add_co_u32 v20, s22, v81, s48
	s_wait_alu 0xf1ff
	v_add_co_ci_u32_e64 v21, null, s49, v82, s22
	v_cmp_lt_u32_e64 s22, v68, v2
	s_and_saveexec_b32 s44, s22
	s_wait_alu 0xfffe
	s_xor_b32 s22, exec_lo, s44
	s_cbranch_execnz .LBB1641_318
; %bb.284:                              ;   in Loop: Header=BB1641_228 Depth=2
	s_wait_alu 0xfffe
	s_or_b32 exec_lo, exec_lo, s22
	s_delay_alu instid0(SALU_CYCLE_1)
	s_mov_b32 s44, exec_lo
	v_cmpx_lt_u32_e64 v71, v2
	s_cbranch_execnz .LBB1641_319
.LBB1641_285:                           ;   in Loop: Header=BB1641_228 Depth=2
	s_wait_alu 0xfffe
	s_or_b32 exec_lo, exec_lo, s44
	s_delay_alu instid0(SALU_CYCLE_1)
	s_mov_b32 s44, exec_lo
	v_cmpx_lt_u32_e64 v72, v2
	s_cbranch_execnz .LBB1641_320
.LBB1641_286:                           ;   in Loop: Header=BB1641_228 Depth=2
	s_wait_alu 0xfffe
	s_or_b32 exec_lo, exec_lo, s44
	s_delay_alu instid0(SALU_CYCLE_1)
	s_mov_b32 s44, exec_lo
	v_cmpx_lt_u32_e64 v73, v2
	s_cbranch_execnz .LBB1641_321
.LBB1641_287:                           ;   in Loop: Header=BB1641_228 Depth=2
	s_wait_alu 0xfffe
	s_or_b32 exec_lo, exec_lo, s44
	s_delay_alu instid0(SALU_CYCLE_1)
	s_mov_b32 s44, exec_lo
	v_cmpx_lt_u32_e64 v74, v2
	s_cbranch_execnz .LBB1641_322
.LBB1641_288:                           ;   in Loop: Header=BB1641_228 Depth=2
	s_wait_alu 0xfffe
	s_or_b32 exec_lo, exec_lo, s44
	s_delay_alu instid0(SALU_CYCLE_1)
	s_mov_b32 s44, exec_lo
	v_cmpx_lt_u32_e64 v75, v2
	s_cbranch_execnz .LBB1641_323
.LBB1641_289:                           ;   in Loop: Header=BB1641_228 Depth=2
	s_wait_alu 0xfffe
	s_or_b32 exec_lo, exec_lo, s44
	s_delay_alu instid0(SALU_CYCLE_1)
	s_mov_b32 s44, exec_lo
	v_cmpx_lt_u32_e64 v76, v2
	s_cbranch_execnz .LBB1641_324
.LBB1641_290:                           ;   in Loop: Header=BB1641_228 Depth=2
	s_wait_alu 0xfffe
	s_or_b32 exec_lo, exec_lo, s44
	s_delay_alu instid0(SALU_CYCLE_1)
	s_mov_b32 s44, exec_lo
	v_cmpx_lt_u32_e64 v77, v2
	s_cbranch_execnz .LBB1641_325
.LBB1641_291:                           ;   in Loop: Header=BB1641_228 Depth=2
	s_wait_alu 0xfffe
	s_or_b32 exec_lo, exec_lo, s44
	s_and_saveexec_b32 s22, s21
	s_cbranch_execnz .LBB1641_326
.LBB1641_292:                           ;   in Loop: Header=BB1641_228 Depth=2
	s_wait_alu 0xfffe
	s_or_b32 exec_lo, exec_lo, s22
	s_and_saveexec_b32 s22, s20
	s_cbranch_execnz .LBB1641_327
.LBB1641_293:                           ;   in Loop: Header=BB1641_228 Depth=2
	s_wait_alu 0xfffe
	s_or_b32 exec_lo, exec_lo, s22
	s_and_saveexec_b32 s22, s19
	s_cbranch_execnz .LBB1641_328
.LBB1641_294:                           ;   in Loop: Header=BB1641_228 Depth=2
	s_wait_alu 0xfffe
	s_or_b32 exec_lo, exec_lo, s22
	s_and_saveexec_b32 s22, s18
	s_cbranch_execnz .LBB1641_329
.LBB1641_295:                           ;   in Loop: Header=BB1641_228 Depth=2
	s_wait_alu 0xfffe
	s_or_b32 exec_lo, exec_lo, s22
	s_and_saveexec_b32 s22, s17
	s_cbranch_execnz .LBB1641_330
.LBB1641_296:                           ;   in Loop: Header=BB1641_228 Depth=2
	s_wait_alu 0xfffe
	s_or_b32 exec_lo, exec_lo, s22
	s_and_saveexec_b32 s22, s16
	s_cbranch_execnz .LBB1641_331
.LBB1641_297:                           ;   in Loop: Header=BB1641_228 Depth=2
	s_wait_alu 0xfffe
	s_or_b32 exec_lo, exec_lo, s22
	s_and_saveexec_b32 s22, s15
	s_cbranch_execnz .LBB1641_332
.LBB1641_298:                           ;   in Loop: Header=BB1641_228 Depth=2
	s_wait_alu 0xfffe
	s_or_b32 exec_lo, exec_lo, s22
	s_and_saveexec_b32 s22, vcc_lo
	s_cbranch_execz .LBB1641_300
.LBB1641_299:                           ;   in Loop: Header=BB1641_228 Depth=2
	ds_load_u8 v2, v1 offset:2816
	s_wait_dscnt 0x0
	v_lshrrev_b32_e32 v2, s30, v2
	s_delay_alu instid0(VALU_DEP_1)
	v_and_b32_e32 v86, s31, v2
.LBB1641_300:                           ;   in Loop: Header=BB1641_228 Depth=2
	s_wait_alu 0xfffe
	s_or_b32 exec_lo, exec_lo, s22
	v_lshlrev_b32_e32 v2, 3, v104
	v_lshlrev_b32_e32 v20, 3, v103
	;; [unrolled: 1-line block ×3, first 2 shown]
	s_wait_loadcnt 0x0
	s_wait_storecnt 0x0
	s_barrier_signal -1
	s_barrier_wait -1
	global_inv scope:SCOPE_SE
	ds_store_b64 v2, v[18:19] offset:1024
	ds_store_b64 v20, v[16:17] offset:1024
	;; [unrolled: 1-line block ×3, first 2 shown]
	v_lshlrev_b32_e32 v2, 3, v27
	v_lshlrev_b32_e32 v20, 3, v26
	;; [unrolled: 1-line block ×5, first 2 shown]
	ds_store_b64 v2, v[12:13] offset:1024
	ds_store_b64 v20, v[10:11] offset:1024
	;; [unrolled: 1-line block ×5, first 2 shown]
	s_wait_loadcnt_dscnt 0x0
	s_barrier_signal -1
	s_barrier_wait -1
	global_inv scope:SCOPE_SE
	s_and_saveexec_b32 s22, s21
	s_cbranch_execnz .LBB1641_333
; %bb.301:                              ;   in Loop: Header=BB1641_228 Depth=2
	s_wait_alu 0xfffe
	s_or_b32 exec_lo, exec_lo, s22
	s_and_saveexec_b32 s21, s20
	s_cbranch_execnz .LBB1641_334
.LBB1641_302:                           ;   in Loop: Header=BB1641_228 Depth=2
	s_wait_alu 0xfffe
	s_or_b32 exec_lo, exec_lo, s21
	s_and_saveexec_b32 s20, s19
	s_cbranch_execnz .LBB1641_335
.LBB1641_303:                           ;   in Loop: Header=BB1641_228 Depth=2
	s_wait_alu 0xfffe
	s_or_b32 exec_lo, exec_lo, s20
	s_and_saveexec_b32 s19, s18
	s_cbranch_execnz .LBB1641_336
.LBB1641_304:                           ;   in Loop: Header=BB1641_228 Depth=2
	s_wait_alu 0xfffe
	s_or_b32 exec_lo, exec_lo, s19
	s_and_saveexec_b32 s18, s17
	s_cbranch_execnz .LBB1641_337
.LBB1641_305:                           ;   in Loop: Header=BB1641_228 Depth=2
	s_wait_alu 0xfffe
	s_or_b32 exec_lo, exec_lo, s18
	s_and_saveexec_b32 s17, s16
	s_cbranch_execnz .LBB1641_338
.LBB1641_306:                           ;   in Loop: Header=BB1641_228 Depth=2
	s_wait_alu 0xfffe
	s_or_b32 exec_lo, exec_lo, s17
	s_and_saveexec_b32 s16, s15
	s_cbranch_execnz .LBB1641_339
.LBB1641_307:                           ;   in Loop: Header=BB1641_228 Depth=2
	s_wait_alu 0xfffe
	s_or_b32 exec_lo, exec_lo, s16
	s_and_saveexec_b32 s15, vcc_lo
	s_cbranch_execz .LBB1641_309
.LBB1641_308:                           ;   in Loop: Header=BB1641_228 Depth=2
	v_lshlrev_b32_e32 v2, 2, v86
	v_add_nc_u32_e32 v20, v1, v47
	ds_load_b32 v2, v2
	ds_load_b64 v[20:21], v20 offset:15360
	s_wait_dscnt 0x1
	v_add_nc_u32_e32 v2, v2, v37
	s_delay_alu instid0(VALU_DEP_1) | instskip(NEXT) | instid1(VALU_DEP_1)
	v_lshlrev_b64_e32 v[23:24], 3, v[2:3]
	v_add_co_u32 v23, vcc_lo, s26, v23
	s_wait_alu 0xfffd
	s_delay_alu instid0(VALU_DEP_2)
	v_add_co_ci_u32_e64 v24, null, s27, v24, vcc_lo
	s_wait_dscnt 0x0
	global_store_b64 v[23:24], v[20:21], off
.LBB1641_309:                           ;   in Loop: Header=BB1641_228 Depth=2
	s_wait_alu 0xfffe
	s_or_b32 exec_lo, exec_lo, s15
	s_wait_loadcnt 0x0
	s_wait_storecnt 0x0
	s_barrier_signal -1
	s_barrier_wait -1
	global_inv scope:SCOPE_SE
	s_and_saveexec_b32 s15, s2
	s_cbranch_execz .LBB1641_227
; %bb.310:                              ;   in Loop: Header=BB1641_228 Depth=2
	ds_load_b32 v2, v28
	s_wait_dscnt 0x0
	v_add_nc_u32_e32 v2, v2, v22
	ds_store_b32 v28, v2
	s_branch .LBB1641_227
.LBB1641_311:                           ;   in Loop: Header=BB1641_228 Depth=2
	ds_load_u8 v20, v1 offset:1024
	s_wait_dscnt 0x0
	v_and_b32_e32 v21, 1, v20
	s_delay_alu instid0(VALU_DEP_1) | instskip(NEXT) | instid1(VALU_DEP_1)
	v_lshrrev_b32_e32 v21, s30, v21
	v_and_b32_e32 v21, s31, v21
	s_delay_alu instid0(VALU_DEP_1)
	v_lshlrev_b32_e32 v21, 2, v21
	ds_load_b32 v21, v21
	s_wait_dscnt 0x0
	v_add_nc_u32_e32 v21, v21, v1
	global_store_b8 v21, v20, s[40:41]
	s_wait_alu 0xfffe
	s_or_b32 exec_lo, exec_lo, s15
	v_cmp_lt_u32_e64 s20, v29, v2
	s_and_saveexec_b32 s15, s20
	s_cbranch_execz .LBB1641_276
.LBB1641_312:                           ;   in Loop: Header=BB1641_228 Depth=2
	ds_load_u8 v20, v1 offset:1280
	s_wait_dscnt 0x0
	v_and_b32_e32 v21, 1, v20
	s_delay_alu instid0(VALU_DEP_1) | instskip(NEXT) | instid1(VALU_DEP_1)
	v_lshrrev_b32_e32 v21, s30, v21
	v_and_b32_e32 v21, s31, v21
	s_delay_alu instid0(VALU_DEP_1)
	v_lshlrev_b32_e32 v21, 2, v21
	ds_load_b32 v21, v21
	s_wait_dscnt 0x0
	v_add_nc_u32_e32 v21, v21, v29
	global_store_b8 v21, v20, s[40:41]
	s_wait_alu 0xfffe
	s_or_b32 exec_lo, exec_lo, s15
	v_cmp_lt_u32_e64 s19, v30, v2
	s_and_saveexec_b32 s15, s19
	s_cbranch_execz .LBB1641_277
.LBB1641_313:                           ;   in Loop: Header=BB1641_228 Depth=2
	ds_load_u8 v20, v1 offset:1536
	s_wait_dscnt 0x0
	v_and_b32_e32 v21, 1, v20
	s_delay_alu instid0(VALU_DEP_1) | instskip(NEXT) | instid1(VALU_DEP_1)
	v_lshrrev_b32_e32 v21, s30, v21
	v_and_b32_e32 v21, s31, v21
	s_delay_alu instid0(VALU_DEP_1)
	v_lshlrev_b32_e32 v21, 2, v21
	ds_load_b32 v21, v21
	s_wait_dscnt 0x0
	v_add_nc_u32_e32 v21, v21, v30
	global_store_b8 v21, v20, s[40:41]
	s_wait_alu 0xfffe
	s_or_b32 exec_lo, exec_lo, s15
	v_cmp_lt_u32_e64 s18, v31, v2
	s_and_saveexec_b32 s15, s18
	s_cbranch_execz .LBB1641_278
.LBB1641_314:                           ;   in Loop: Header=BB1641_228 Depth=2
	ds_load_u8 v20, v1 offset:1792
	s_wait_dscnt 0x0
	v_and_b32_e32 v21, 1, v20
	s_delay_alu instid0(VALU_DEP_1) | instskip(NEXT) | instid1(VALU_DEP_1)
	v_lshrrev_b32_e32 v21, s30, v21
	v_and_b32_e32 v21, s31, v21
	s_delay_alu instid0(VALU_DEP_1)
	v_lshlrev_b32_e32 v21, 2, v21
	ds_load_b32 v21, v21
	s_wait_dscnt 0x0
	v_add_nc_u32_e32 v21, v21, v31
	global_store_b8 v21, v20, s[40:41]
	s_wait_alu 0xfffe
	s_or_b32 exec_lo, exec_lo, s15
	v_cmp_lt_u32_e64 s17, v34, v2
	s_and_saveexec_b32 s15, s17
	s_cbranch_execz .LBB1641_279
.LBB1641_315:                           ;   in Loop: Header=BB1641_228 Depth=2
	ds_load_u8 v20, v1 offset:2048
	s_wait_dscnt 0x0
	v_and_b32_e32 v21, 1, v20
	s_delay_alu instid0(VALU_DEP_1) | instskip(NEXT) | instid1(VALU_DEP_1)
	v_lshrrev_b32_e32 v21, s30, v21
	v_and_b32_e32 v21, s31, v21
	s_delay_alu instid0(VALU_DEP_1)
	v_lshlrev_b32_e32 v21, 2, v21
	ds_load_b32 v21, v21
	s_wait_dscnt 0x0
	v_add_nc_u32_e32 v21, v21, v34
	global_store_b8 v21, v20, s[40:41]
	s_wait_alu 0xfffe
	s_or_b32 exec_lo, exec_lo, s15
	v_cmp_lt_u32_e64 s16, v35, v2
	s_and_saveexec_b32 s15, s16
	s_cbranch_execz .LBB1641_280
.LBB1641_316:                           ;   in Loop: Header=BB1641_228 Depth=2
	ds_load_u8 v20, v1 offset:2304
	s_wait_dscnt 0x0
	v_and_b32_e32 v21, 1, v20
	s_delay_alu instid0(VALU_DEP_1) | instskip(NEXT) | instid1(VALU_DEP_1)
	v_lshrrev_b32_e32 v21, s30, v21
	v_and_b32_e32 v21, s31, v21
	s_delay_alu instid0(VALU_DEP_1)
	v_lshlrev_b32_e32 v21, 2, v21
	ds_load_b32 v21, v21
	s_wait_dscnt 0x0
	v_add_nc_u32_e32 v21, v21, v35
	global_store_b8 v21, v20, s[40:41]
	s_wait_alu 0xfffe
	s_or_b32 exec_lo, exec_lo, s15
	v_cmp_lt_u32_e64 s15, v36, v2
	s_and_saveexec_b32 s44, s15
	s_cbranch_execz .LBB1641_281
.LBB1641_317:                           ;   in Loop: Header=BB1641_228 Depth=2
	ds_load_u8 v20, v1 offset:2560
	s_wait_dscnt 0x0
	v_and_b32_e32 v21, 1, v20
	s_delay_alu instid0(VALU_DEP_1) | instskip(NEXT) | instid1(VALU_DEP_1)
	v_lshrrev_b32_e32 v21, s30, v21
	v_and_b32_e32 v21, s31, v21
	s_delay_alu instid0(VALU_DEP_1)
	v_lshlrev_b32_e32 v21, 2, v21
	ds_load_b32 v21, v21
	s_wait_dscnt 0x0
	v_add_nc_u32_e32 v21, v21, v36
	global_store_b8 v21, v20, s[40:41]
	s_wait_alu 0xfffe
	s_or_b32 exec_lo, exec_lo, s44
	v_cmp_lt_u32_e32 vcc_lo, v37, v2
	s_and_saveexec_b32 s44, vcc_lo
	s_cbranch_execnz .LBB1641_282
	s_branch .LBB1641_283
.LBB1641_318:                           ;   in Loop: Header=BB1641_228 Depth=2
	global_load_b64 v[18:19], v[20:21], off
	s_wait_alu 0xfffe
	s_or_b32 exec_lo, exec_lo, s22
	s_delay_alu instid0(SALU_CYCLE_1)
	s_mov_b32 s44, exec_lo
	v_cmpx_lt_u32_e64 v71, v2
	s_cbranch_execz .LBB1641_285
.LBB1641_319:                           ;   in Loop: Header=BB1641_228 Depth=2
	global_load_b64 v[16:17], v[20:21], off offset:256
	s_wait_alu 0xfffe
	s_or_b32 exec_lo, exec_lo, s44
	s_delay_alu instid0(SALU_CYCLE_1)
	s_mov_b32 s44, exec_lo
	v_cmpx_lt_u32_e64 v72, v2
	s_cbranch_execz .LBB1641_286
.LBB1641_320:                           ;   in Loop: Header=BB1641_228 Depth=2
	global_load_b64 v[14:15], v[20:21], off offset:512
	s_wait_alu 0xfffe
	s_or_b32 exec_lo, exec_lo, s44
	s_delay_alu instid0(SALU_CYCLE_1)
	s_mov_b32 s44, exec_lo
	v_cmpx_lt_u32_e64 v73, v2
	s_cbranch_execz .LBB1641_287
.LBB1641_321:                           ;   in Loop: Header=BB1641_228 Depth=2
	global_load_b64 v[12:13], v[20:21], off offset:768
	s_wait_alu 0xfffe
	s_or_b32 exec_lo, exec_lo, s44
	s_delay_alu instid0(SALU_CYCLE_1)
	s_mov_b32 s44, exec_lo
	v_cmpx_lt_u32_e64 v74, v2
	s_cbranch_execz .LBB1641_288
.LBB1641_322:                           ;   in Loop: Header=BB1641_228 Depth=2
	global_load_b64 v[10:11], v[20:21], off offset:1024
	s_wait_alu 0xfffe
	s_or_b32 exec_lo, exec_lo, s44
	s_delay_alu instid0(SALU_CYCLE_1)
	s_mov_b32 s44, exec_lo
	v_cmpx_lt_u32_e64 v75, v2
	s_cbranch_execz .LBB1641_289
.LBB1641_323:                           ;   in Loop: Header=BB1641_228 Depth=2
	global_load_b64 v[8:9], v[20:21], off offset:1280
	s_wait_alu 0xfffe
	s_or_b32 exec_lo, exec_lo, s44
	s_delay_alu instid0(SALU_CYCLE_1)
	s_mov_b32 s44, exec_lo
	v_cmpx_lt_u32_e64 v76, v2
	s_cbranch_execz .LBB1641_290
.LBB1641_324:                           ;   in Loop: Header=BB1641_228 Depth=2
	global_load_b64 v[6:7], v[20:21], off offset:1536
	s_wait_alu 0xfffe
	s_or_b32 exec_lo, exec_lo, s44
	s_delay_alu instid0(SALU_CYCLE_1)
	s_mov_b32 s44, exec_lo
	v_cmpx_lt_u32_e64 v77, v2
	s_cbranch_execz .LBB1641_291
.LBB1641_325:                           ;   in Loop: Header=BB1641_228 Depth=2
	global_load_b64 v[4:5], v[20:21], off offset:1792
	s_wait_alu 0xfffe
	s_or_b32 exec_lo, exec_lo, s44
	s_and_saveexec_b32 s22, s21
	s_cbranch_execz .LBB1641_292
.LBB1641_326:                           ;   in Loop: Header=BB1641_228 Depth=2
	ds_load_u8 v2, v1 offset:1024
	s_wait_dscnt 0x0
	v_lshrrev_b32_e32 v2, s30, v2
	s_delay_alu instid0(VALU_DEP_1)
	v_and_b32_e32 v93, s31, v2
	s_wait_alu 0xfffe
	s_or_b32 exec_lo, exec_lo, s22
	s_and_saveexec_b32 s22, s20
	s_cbranch_execz .LBB1641_293
.LBB1641_327:                           ;   in Loop: Header=BB1641_228 Depth=2
	ds_load_u8 v2, v1 offset:1280
	s_wait_dscnt 0x0
	v_lshrrev_b32_e32 v2, s30, v2
	s_delay_alu instid0(VALU_DEP_1)
	v_and_b32_e32 v92, s31, v2
	s_wait_alu 0xfffe
	s_or_b32 exec_lo, exec_lo, s22
	s_and_saveexec_b32 s22, s19
	s_cbranch_execz .LBB1641_294
.LBB1641_328:                           ;   in Loop: Header=BB1641_228 Depth=2
	ds_load_u8 v2, v1 offset:1536
	s_wait_dscnt 0x0
	v_lshrrev_b32_e32 v2, s30, v2
	s_delay_alu instid0(VALU_DEP_1)
	v_and_b32_e32 v91, s31, v2
	s_wait_alu 0xfffe
	s_or_b32 exec_lo, exec_lo, s22
	s_and_saveexec_b32 s22, s18
	s_cbranch_execz .LBB1641_295
.LBB1641_329:                           ;   in Loop: Header=BB1641_228 Depth=2
	ds_load_u8 v2, v1 offset:1792
	s_wait_dscnt 0x0
	v_lshrrev_b32_e32 v2, s30, v2
	s_delay_alu instid0(VALU_DEP_1)
	v_and_b32_e32 v90, s31, v2
	s_wait_alu 0xfffe
	s_or_b32 exec_lo, exec_lo, s22
	s_and_saveexec_b32 s22, s17
	s_cbranch_execz .LBB1641_296
.LBB1641_330:                           ;   in Loop: Header=BB1641_228 Depth=2
	ds_load_u8 v2, v1 offset:2048
	s_wait_dscnt 0x0
	v_lshrrev_b32_e32 v2, s30, v2
	s_delay_alu instid0(VALU_DEP_1)
	v_and_b32_e32 v89, s31, v2
	s_wait_alu 0xfffe
	s_or_b32 exec_lo, exec_lo, s22
	s_and_saveexec_b32 s22, s16
	s_cbranch_execz .LBB1641_297
.LBB1641_331:                           ;   in Loop: Header=BB1641_228 Depth=2
	ds_load_u8 v2, v1 offset:2304
	s_wait_dscnt 0x0
	v_lshrrev_b32_e32 v2, s30, v2
	s_delay_alu instid0(VALU_DEP_1)
	v_and_b32_e32 v88, s31, v2
	s_wait_alu 0xfffe
	s_or_b32 exec_lo, exec_lo, s22
	s_and_saveexec_b32 s22, s15
	s_cbranch_execz .LBB1641_298
.LBB1641_332:                           ;   in Loop: Header=BB1641_228 Depth=2
	ds_load_u8 v2, v1 offset:2560
	s_wait_dscnt 0x0
	v_lshrrev_b32_e32 v2, s30, v2
	s_delay_alu instid0(VALU_DEP_1)
	v_and_b32_e32 v87, s31, v2
	s_wait_alu 0xfffe
	s_or_b32 exec_lo, exec_lo, s22
	s_and_saveexec_b32 s22, vcc_lo
	s_cbranch_execnz .LBB1641_299
	s_branch .LBB1641_300
.LBB1641_333:                           ;   in Loop: Header=BB1641_228 Depth=2
	v_lshlrev_b32_e32 v2, 2, v93
	v_add_nc_u32_e32 v20, v1, v47
	ds_load_b32 v2, v2
	ds_load_b64 v[20:21], v20 offset:1024
	s_wait_dscnt 0x1
	v_add_nc_u32_e32 v2, v2, v1
	s_delay_alu instid0(VALU_DEP_1) | instskip(NEXT) | instid1(VALU_DEP_1)
	v_lshlrev_b64_e32 v[23:24], 3, v[2:3]
	v_add_co_u32 v23, s21, s26, v23
	s_wait_alu 0xf1ff
	s_delay_alu instid0(VALU_DEP_2)
	v_add_co_ci_u32_e64 v24, null, s27, v24, s21
	s_wait_dscnt 0x0
	global_store_b64 v[23:24], v[20:21], off
	s_wait_alu 0xfffe
	s_or_b32 exec_lo, exec_lo, s22
	s_and_saveexec_b32 s21, s20
	s_cbranch_execz .LBB1641_302
.LBB1641_334:                           ;   in Loop: Header=BB1641_228 Depth=2
	v_lshlrev_b32_e32 v2, 2, v92
	v_add_nc_u32_e32 v20, v1, v47
	ds_load_b32 v2, v2
	ds_load_b64 v[20:21], v20 offset:3072
	s_wait_dscnt 0x1
	v_add_nc_u32_e32 v2, v2, v29
	s_delay_alu instid0(VALU_DEP_1) | instskip(NEXT) | instid1(VALU_DEP_1)
	v_lshlrev_b64_e32 v[23:24], 3, v[2:3]
	v_add_co_u32 v23, s20, s26, v23
	s_wait_alu 0xf1ff
	s_delay_alu instid0(VALU_DEP_2)
	v_add_co_ci_u32_e64 v24, null, s27, v24, s20
	s_wait_dscnt 0x0
	global_store_b64 v[23:24], v[20:21], off
	s_wait_alu 0xfffe
	s_or_b32 exec_lo, exec_lo, s21
	s_and_saveexec_b32 s20, s19
	s_cbranch_execz .LBB1641_303
.LBB1641_335:                           ;   in Loop: Header=BB1641_228 Depth=2
	v_lshlrev_b32_e32 v2, 2, v91
	v_add_nc_u32_e32 v20, v1, v47
	ds_load_b32 v2, v2
	ds_load_b64 v[20:21], v20 offset:5120
	s_wait_dscnt 0x1
	v_add_nc_u32_e32 v2, v2, v30
	s_delay_alu instid0(VALU_DEP_1) | instskip(NEXT) | instid1(VALU_DEP_1)
	v_lshlrev_b64_e32 v[23:24], 3, v[2:3]
	v_add_co_u32 v23, s19, s26, v23
	s_wait_alu 0xf1ff
	s_delay_alu instid0(VALU_DEP_2)
	v_add_co_ci_u32_e64 v24, null, s27, v24, s19
	s_wait_dscnt 0x0
	global_store_b64 v[23:24], v[20:21], off
	s_wait_alu 0xfffe
	s_or_b32 exec_lo, exec_lo, s20
	s_and_saveexec_b32 s19, s18
	s_cbranch_execz .LBB1641_304
.LBB1641_336:                           ;   in Loop: Header=BB1641_228 Depth=2
	v_lshlrev_b32_e32 v2, 2, v90
	v_add_nc_u32_e32 v20, v1, v47
	ds_load_b32 v2, v2
	ds_load_b64 v[20:21], v20 offset:7168
	s_wait_dscnt 0x1
	v_add_nc_u32_e32 v2, v2, v31
	s_delay_alu instid0(VALU_DEP_1) | instskip(NEXT) | instid1(VALU_DEP_1)
	v_lshlrev_b64_e32 v[23:24], 3, v[2:3]
	v_add_co_u32 v23, s18, s26, v23
	s_wait_alu 0xf1ff
	s_delay_alu instid0(VALU_DEP_2)
	v_add_co_ci_u32_e64 v24, null, s27, v24, s18
	s_wait_dscnt 0x0
	global_store_b64 v[23:24], v[20:21], off
	s_wait_alu 0xfffe
	s_or_b32 exec_lo, exec_lo, s19
	s_and_saveexec_b32 s18, s17
	s_cbranch_execz .LBB1641_305
.LBB1641_337:                           ;   in Loop: Header=BB1641_228 Depth=2
	v_lshlrev_b32_e32 v2, 2, v89
	v_add_nc_u32_e32 v20, v1, v47
	ds_load_b32 v2, v2
	ds_load_b64 v[20:21], v20 offset:9216
	s_wait_dscnt 0x1
	v_add_nc_u32_e32 v2, v2, v34
	s_delay_alu instid0(VALU_DEP_1) | instskip(NEXT) | instid1(VALU_DEP_1)
	v_lshlrev_b64_e32 v[23:24], 3, v[2:3]
	v_add_co_u32 v23, s17, s26, v23
	s_wait_alu 0xf1ff
	s_delay_alu instid0(VALU_DEP_2)
	v_add_co_ci_u32_e64 v24, null, s27, v24, s17
	s_wait_dscnt 0x0
	global_store_b64 v[23:24], v[20:21], off
	s_wait_alu 0xfffe
	s_or_b32 exec_lo, exec_lo, s18
	s_and_saveexec_b32 s17, s16
	s_cbranch_execz .LBB1641_306
.LBB1641_338:                           ;   in Loop: Header=BB1641_228 Depth=2
	v_lshlrev_b32_e32 v2, 2, v88
	v_add_nc_u32_e32 v20, v1, v47
	ds_load_b32 v2, v2
	ds_load_b64 v[20:21], v20 offset:11264
	s_wait_dscnt 0x1
	v_add_nc_u32_e32 v2, v2, v35
	s_delay_alu instid0(VALU_DEP_1) | instskip(NEXT) | instid1(VALU_DEP_1)
	v_lshlrev_b64_e32 v[23:24], 3, v[2:3]
	v_add_co_u32 v23, s16, s26, v23
	s_wait_alu 0xf1ff
	s_delay_alu instid0(VALU_DEP_2)
	v_add_co_ci_u32_e64 v24, null, s27, v24, s16
	s_wait_dscnt 0x0
	global_store_b64 v[23:24], v[20:21], off
	s_wait_alu 0xfffe
	s_or_b32 exec_lo, exec_lo, s17
	s_and_saveexec_b32 s16, s15
	s_cbranch_execz .LBB1641_307
.LBB1641_339:                           ;   in Loop: Header=BB1641_228 Depth=2
	v_lshlrev_b32_e32 v2, 2, v87
	v_add_nc_u32_e32 v20, v1, v47
	ds_load_b32 v2, v2
	ds_load_b64 v[20:21], v20 offset:13312
	s_wait_dscnt 0x1
	v_add_nc_u32_e32 v2, v2, v36
	s_delay_alu instid0(VALU_DEP_1) | instskip(NEXT) | instid1(VALU_DEP_1)
	v_lshlrev_b64_e32 v[23:24], 3, v[2:3]
	v_add_co_u32 v23, s15, s26, v23
	s_wait_alu 0xf1ff
	s_delay_alu instid0(VALU_DEP_2)
	v_add_co_ci_u32_e64 v24, null, s27, v24, s15
	s_wait_dscnt 0x0
	global_store_b64 v[23:24], v[20:21], off
	s_wait_alu 0xfffe
	s_or_b32 exec_lo, exec_lo, s16
	s_and_saveexec_b32 s15, vcc_lo
	s_cbranch_execnz .LBB1641_308
	s_branch .LBB1641_309
.LBB1641_340:                           ;   in Loop: Header=BB1641_12 Depth=1
	s_wait_loadcnt_dscnt 0x0
	s_barrier_signal -1
	s_barrier_wait -1
.LBB1641_341:                           ;   in Loop: Header=BB1641_12 Depth=1
	s_mov_b32 s0, 0
.LBB1641_342:                           ;   in Loop: Header=BB1641_12 Depth=1
	s_wait_alu 0xfffe
	s_and_not1_b32 vcc_lo, exec_lo, s0
	s_wait_alu 0xfffe
	s_cbranch_vccnz .LBB1641_11
; %bb.343:                              ;   in Loop: Header=BB1641_12 Depth=1
	s_and_b32 vcc_lo, exec_lo, s35
	s_mov_b32 s0, -1
	s_wait_alu 0xfffe
	s_cbranch_vccz .LBB1641_507
; %bb.344:                              ;   in Loop: Header=BB1641_12 Depth=1
	v_dual_mov_b32 v7, 0 :: v_dual_mov_b32 v10, 0
	v_dual_mov_b32 v9, 0 :: v_dual_mov_b32 v8, 0
	;; [unrolled: 1-line block ×3, first 2 shown]
	v_mov_b32_e32 v4, 0
	v_mov_b32_e32 v2, 0
	s_mov_b32 s9, s47
	s_mov_b32 s22, s33
	s_barrier_signal -1
	s_barrier_wait -1
	global_inv scope:SCOPE_SE
	s_branch .LBB1641_346
.LBB1641_345:                           ;   in Loop: Header=BB1641_346 Depth=2
	s_wait_alu 0xfffe
	s_or_b32 exec_lo, exec_lo, s0
	s_addk_co_i32 s9, 0xf800
	s_cmp_ge_u32 s10, s34
	s_mov_b32 s22, s10
	s_cbranch_scc1 .LBB1641_382
.LBB1641_346:                           ;   Parent Loop BB1641_12 Depth=1
                                        ; =>  This Inner Loop Header: Depth=2
	s_wait_alu 0xfffe
	s_add_co_i32 s10, s22, 0x800
	s_mov_b32 s0, -1
	s_wait_alu 0xfffe
	s_cmp_gt_u32 s10, s34
                                        ; implicit-def: $vgpr11
                                        ; implicit-def: $vgpr12
                                        ; implicit-def: $vgpr13
                                        ; implicit-def: $vgpr14
                                        ; implicit-def: $vgpr15
                                        ; implicit-def: $vgpr16
                                        ; implicit-def: $vgpr17
                                        ; implicit-def: $vgpr18
	s_cbranch_scc1 .LBB1641_348
; %bb.347:                              ;   in Loop: Header=BB1641_346 Depth=2
	v_add_co_u32 v19, vcc_lo, v54, s22
	s_wait_alu 0xfffd
	v_add_co_ci_u32_e64 v20, null, 0, v55, vcc_lo
	s_mov_b32 s0, 0
	s_clause 0x7
	global_load_u8 v18, v[19:20], off offset:1792
	global_load_u8 v17, v[19:20], off offset:1536
	;; [unrolled: 1-line block ×7, first 2 shown]
	global_load_u8 v11, v[19:20], off
.LBB1641_348:                           ;   in Loop: Header=BB1641_346 Depth=2
	s_wait_alu 0xfffe
	s_and_not1_b32 vcc_lo, exec_lo, s0
	s_movk_i32 s0, 0x800
	s_wait_alu 0xfffe
	s_cbranch_vccnz .LBB1641_359
; %bb.349:                              ;   in Loop: Header=BB1641_346 Depth=2
	s_add_nc_u64 s[0:1], s[36:37], s[22:23]
	s_mov_b32 s11, exec_lo
	v_cmpx_gt_u32_e64 s9, v1
	s_cbranch_execnz .LBB1641_375
; %bb.350:                              ;   in Loop: Header=BB1641_346 Depth=2
	s_wait_alu 0xfffe
	s_or_b32 exec_lo, exec_lo, s11
	s_delay_alu instid0(SALU_CYCLE_1)
	s_mov_b32 s11, exec_lo
	v_cmpx_gt_u32_e64 s9, v29
	s_cbranch_execnz .LBB1641_376
.LBB1641_351:                           ;   in Loop: Header=BB1641_346 Depth=2
	s_wait_alu 0xfffe
	s_or_b32 exec_lo, exec_lo, s11
	s_delay_alu instid0(SALU_CYCLE_1)
	s_mov_b32 s11, exec_lo
	v_cmpx_gt_u32_e64 s9, v30
	s_cbranch_execnz .LBB1641_377
.LBB1641_352:                           ;   in Loop: Header=BB1641_346 Depth=2
	s_wait_alu 0xfffe
	s_or_b32 exec_lo, exec_lo, s11
	s_delay_alu instid0(SALU_CYCLE_1)
	s_mov_b32 s11, exec_lo
	v_cmpx_gt_u32_e64 s9, v31
	s_cbranch_execnz .LBB1641_378
.LBB1641_353:                           ;   in Loop: Header=BB1641_346 Depth=2
	s_wait_alu 0xfffe
	s_or_b32 exec_lo, exec_lo, s11
	s_delay_alu instid0(SALU_CYCLE_1)
	s_mov_b32 s11, exec_lo
	v_cmpx_gt_u32_e64 s9, v34
	s_cbranch_execnz .LBB1641_379
.LBB1641_354:                           ;   in Loop: Header=BB1641_346 Depth=2
	s_wait_alu 0xfffe
	s_or_b32 exec_lo, exec_lo, s11
	s_delay_alu instid0(SALU_CYCLE_1)
	s_mov_b32 s11, exec_lo
	v_cmpx_gt_u32_e64 s9, v35
	s_cbranch_execnz .LBB1641_380
.LBB1641_355:                           ;   in Loop: Header=BB1641_346 Depth=2
	s_wait_alu 0xfffe
	s_or_b32 exec_lo, exec_lo, s11
	s_delay_alu instid0(SALU_CYCLE_1)
	s_mov_b32 s11, exec_lo
	v_cmpx_gt_u32_e64 s9, v36
	s_cbranch_execnz .LBB1641_381
.LBB1641_356:                           ;   in Loop: Header=BB1641_346 Depth=2
	s_wait_alu 0xfffe
	s_or_b32 exec_lo, exec_lo, s11
	s_delay_alu instid0(SALU_CYCLE_1)
	s_mov_b32 s11, exec_lo
	v_cmpx_gt_u32_e64 s9, v37
	s_cbranch_execz .LBB1641_358
.LBB1641_357:                           ;   in Loop: Header=BB1641_346 Depth=2
	s_wait_loadcnt 0x0
	v_add_co_u32 v11, s0, s0, v1
	s_wait_alu 0xf1ff
	v_add_co_ci_u32_e64 v12, null, s1, 0, s0
	global_load_u8 v2, v[11:12], off offset:1792
.LBB1641_358:                           ;   in Loop: Header=BB1641_346 Depth=2
	s_wait_alu 0xfffe
	s_or_b32 exec_lo, exec_lo, s11
	s_wait_loadcnt 0x0
	v_dual_mov_b32 v11, v7 :: v_dual_mov_b32 v12, v10
	v_dual_mov_b32 v13, v9 :: v_dual_mov_b32 v14, v8
	;; [unrolled: 1-line block ×4, first 2 shown]
	s_mov_b32 s0, s9
.LBB1641_359:                           ;   in Loop: Header=BB1641_346 Depth=2
	s_wait_loadcnt 0x5
	s_delay_alu instid0(VALU_DEP_1)
	v_dual_mov_b32 v2, v18 :: v_dual_mov_b32 v5, v16
	s_wait_loadcnt 0x2
	v_dual_mov_b32 v4, v17 :: v_dual_mov_b32 v9, v13
	s_wait_loadcnt 0x0
	v_dual_mov_b32 v6, v15 :: v_dual_mov_b32 v7, v11
	v_mov_b32_e32 v8, v14
	v_mov_b32_e32 v10, v12
	s_mov_b32 s1, exec_lo
	s_wait_alu 0xfffe
	v_cmpx_gt_u32_e64 s0, v1
	s_cbranch_execnz .LBB1641_367
; %bb.360:                              ;   in Loop: Header=BB1641_346 Depth=2
	s_or_b32 exec_lo, exec_lo, s1
	s_delay_alu instid0(SALU_CYCLE_1)
	s_mov_b32 s1, exec_lo
	v_cmpx_gt_u32_e64 s0, v29
	s_cbranch_execnz .LBB1641_368
.LBB1641_361:                           ;   in Loop: Header=BB1641_346 Depth=2
	s_wait_alu 0xfffe
	s_or_b32 exec_lo, exec_lo, s1
	s_delay_alu instid0(SALU_CYCLE_1)
	s_mov_b32 s1, exec_lo
	v_cmpx_gt_u32_e64 s0, v30
	s_cbranch_execnz .LBB1641_369
.LBB1641_362:                           ;   in Loop: Header=BB1641_346 Depth=2
	s_wait_alu 0xfffe
	s_or_b32 exec_lo, exec_lo, s1
	s_delay_alu instid0(SALU_CYCLE_1)
	s_mov_b32 s1, exec_lo
	v_cmpx_gt_u32_e64 s0, v31
	s_cbranch_execnz .LBB1641_370
.LBB1641_363:                           ;   in Loop: Header=BB1641_346 Depth=2
	s_wait_alu 0xfffe
	s_or_b32 exec_lo, exec_lo, s1
	s_delay_alu instid0(SALU_CYCLE_1)
	s_mov_b32 s1, exec_lo
	v_cmpx_gt_u32_e64 s0, v34
	s_cbranch_execnz .LBB1641_371
.LBB1641_364:                           ;   in Loop: Header=BB1641_346 Depth=2
	s_wait_alu 0xfffe
	s_or_b32 exec_lo, exec_lo, s1
	s_delay_alu instid0(SALU_CYCLE_1)
	s_mov_b32 s1, exec_lo
	v_cmpx_gt_u32_e64 s0, v35
	s_cbranch_execnz .LBB1641_372
.LBB1641_365:                           ;   in Loop: Header=BB1641_346 Depth=2
	s_wait_alu 0xfffe
	s_or_b32 exec_lo, exec_lo, s1
	s_delay_alu instid0(SALU_CYCLE_1)
	s_mov_b32 s1, exec_lo
	v_cmpx_gt_u32_e64 s0, v36
	s_cbranch_execnz .LBB1641_373
.LBB1641_366:                           ;   in Loop: Header=BB1641_346 Depth=2
	s_wait_alu 0xfffe
	s_or_b32 exec_lo, exec_lo, s1
	v_cmp_gt_u32_e32 vcc_lo, s0, v37
	s_and_saveexec_b32 s0, vcc_lo
	s_cbranch_execz .LBB1641_345
	s_branch .LBB1641_374
.LBB1641_367:                           ;   in Loop: Header=BB1641_346 Depth=2
	v_and_b32_e32 v11, 1, v7
	s_delay_alu instid0(VALU_DEP_1) | instskip(NEXT) | instid1(VALU_DEP_1)
	v_lshrrev_b32_e32 v11, s45, v11
	v_and_b32_e32 v11, s31, v11
	s_delay_alu instid0(VALU_DEP_1) | instskip(SKIP_2) | instid1(SALU_CYCLE_1)
	v_lshl_or_b32 v11, v11, 4, v39
	ds_add_u32 v11, v61
	s_or_b32 exec_lo, exec_lo, s1
	s_mov_b32 s1, exec_lo
	v_cmpx_gt_u32_e64 s0, v29
	s_cbranch_execz .LBB1641_361
.LBB1641_368:                           ;   in Loop: Header=BB1641_346 Depth=2
	v_and_b32_e32 v11, 1, v10
	s_delay_alu instid0(VALU_DEP_1) | instskip(NEXT) | instid1(VALU_DEP_1)
	v_lshrrev_b32_e32 v11, s45, v11
	v_and_b32_e32 v11, s31, v11
	s_delay_alu instid0(VALU_DEP_1) | instskip(SKIP_3) | instid1(SALU_CYCLE_1)
	v_lshl_or_b32 v11, v11, 4, v39
	ds_add_u32 v11, v61
	s_wait_alu 0xfffe
	s_or_b32 exec_lo, exec_lo, s1
	s_mov_b32 s1, exec_lo
	v_cmpx_gt_u32_e64 s0, v30
	s_cbranch_execz .LBB1641_362
.LBB1641_369:                           ;   in Loop: Header=BB1641_346 Depth=2
	v_and_b32_e32 v11, 1, v9
	s_delay_alu instid0(VALU_DEP_1) | instskip(NEXT) | instid1(VALU_DEP_1)
	v_lshrrev_b32_e32 v11, s45, v11
	v_and_b32_e32 v11, s31, v11
	s_delay_alu instid0(VALU_DEP_1) | instskip(SKIP_3) | instid1(SALU_CYCLE_1)
	v_lshl_or_b32 v11, v11, 4, v39
	ds_add_u32 v11, v61
	s_wait_alu 0xfffe
	s_or_b32 exec_lo, exec_lo, s1
	s_mov_b32 s1, exec_lo
	v_cmpx_gt_u32_e64 s0, v31
	s_cbranch_execz .LBB1641_363
.LBB1641_370:                           ;   in Loop: Header=BB1641_346 Depth=2
	v_and_b32_e32 v11, 1, v8
	s_delay_alu instid0(VALU_DEP_1) | instskip(NEXT) | instid1(VALU_DEP_1)
	v_lshrrev_b32_e32 v11, s45, v11
	v_and_b32_e32 v11, s31, v11
	s_delay_alu instid0(VALU_DEP_1) | instskip(SKIP_3) | instid1(SALU_CYCLE_1)
	v_lshl_or_b32 v11, v11, 4, v39
	ds_add_u32 v11, v61
	s_wait_alu 0xfffe
	s_or_b32 exec_lo, exec_lo, s1
	s_mov_b32 s1, exec_lo
	v_cmpx_gt_u32_e64 s0, v34
	s_cbranch_execz .LBB1641_364
.LBB1641_371:                           ;   in Loop: Header=BB1641_346 Depth=2
	v_and_b32_e32 v11, 1, v6
	s_delay_alu instid0(VALU_DEP_1) | instskip(NEXT) | instid1(VALU_DEP_1)
	v_lshrrev_b32_e32 v11, s45, v11
	v_and_b32_e32 v11, s31, v11
	s_delay_alu instid0(VALU_DEP_1) | instskip(SKIP_3) | instid1(SALU_CYCLE_1)
	v_lshl_or_b32 v11, v11, 4, v39
	ds_add_u32 v11, v61
	s_wait_alu 0xfffe
	s_or_b32 exec_lo, exec_lo, s1
	s_mov_b32 s1, exec_lo
	v_cmpx_gt_u32_e64 s0, v35
	s_cbranch_execz .LBB1641_365
.LBB1641_372:                           ;   in Loop: Header=BB1641_346 Depth=2
	v_and_b32_e32 v11, 1, v5
	s_delay_alu instid0(VALU_DEP_1) | instskip(NEXT) | instid1(VALU_DEP_1)
	v_lshrrev_b32_e32 v11, s45, v11
	v_and_b32_e32 v11, s31, v11
	s_delay_alu instid0(VALU_DEP_1) | instskip(SKIP_3) | instid1(SALU_CYCLE_1)
	v_lshl_or_b32 v11, v11, 4, v39
	ds_add_u32 v11, v61
	s_wait_alu 0xfffe
	s_or_b32 exec_lo, exec_lo, s1
	s_mov_b32 s1, exec_lo
	v_cmpx_gt_u32_e64 s0, v36
	s_cbranch_execz .LBB1641_366
.LBB1641_373:                           ;   in Loop: Header=BB1641_346 Depth=2
	v_and_b32_e32 v11, 1, v4
	s_delay_alu instid0(VALU_DEP_1) | instskip(NEXT) | instid1(VALU_DEP_1)
	v_lshrrev_b32_e32 v11, s45, v11
	v_and_b32_e32 v11, s31, v11
	s_delay_alu instid0(VALU_DEP_1)
	v_lshl_or_b32 v11, v11, 4, v39
	ds_add_u32 v11, v61
	s_wait_alu 0xfffe
	s_or_b32 exec_lo, exec_lo, s1
	v_cmp_gt_u32_e32 vcc_lo, s0, v37
	s_and_saveexec_b32 s0, vcc_lo
	s_cbranch_execz .LBB1641_345
.LBB1641_374:                           ;   in Loop: Header=BB1641_346 Depth=2
	v_and_b32_e32 v11, 1, v2
	s_delay_alu instid0(VALU_DEP_1) | instskip(NEXT) | instid1(VALU_DEP_1)
	v_lshrrev_b32_e32 v11, s45, v11
	v_and_b32_e32 v11, s31, v11
	s_delay_alu instid0(VALU_DEP_1)
	v_lshl_or_b32 v11, v11, 4, v39
	ds_add_u32 v11, v61
	s_branch .LBB1641_345
.LBB1641_375:                           ;   in Loop: Header=BB1641_346 Depth=2
	s_wait_loadcnt 0x0
	s_wait_alu 0xfffe
	v_add_co_u32 v11, s12, s0, v1
	s_wait_alu 0xf1ff
	v_add_co_ci_u32_e64 v12, null, s1, 0, s12
	global_load_u8 v7, v[11:12], off
	s_or_b32 exec_lo, exec_lo, s11
	s_delay_alu instid0(SALU_CYCLE_1)
	s_mov_b32 s11, exec_lo
	v_cmpx_gt_u32_e64 s9, v29
	s_cbranch_execz .LBB1641_351
.LBB1641_376:                           ;   in Loop: Header=BB1641_346 Depth=2
	v_add_co_u32 v10, s12, s0, v1
	s_wait_loadcnt 0x0
	s_wait_alu 0xf1ff
	v_add_co_ci_u32_e64 v11, null, s1, 0, s12
	global_load_u8 v10, v[10:11], off offset:256
	s_wait_alu 0xfffe
	s_or_b32 exec_lo, exec_lo, s11
	s_delay_alu instid0(SALU_CYCLE_1)
	s_mov_b32 s11, exec_lo
	v_cmpx_gt_u32_e64 s9, v30
	s_cbranch_execz .LBB1641_352
.LBB1641_377:                           ;   in Loop: Header=BB1641_346 Depth=2
	s_wait_loadcnt 0x0
	v_add_co_u32 v11, s12, s0, v1
	s_wait_alu 0xf1ff
	v_add_co_ci_u32_e64 v12, null, s1, 0, s12
	global_load_u8 v9, v[11:12], off offset:512
	s_wait_alu 0xfffe
	s_or_b32 exec_lo, exec_lo, s11
	s_delay_alu instid0(SALU_CYCLE_1)
	s_mov_b32 s11, exec_lo
	v_cmpx_gt_u32_e64 s9, v31
	s_cbranch_execz .LBB1641_353
.LBB1641_378:                           ;   in Loop: Header=BB1641_346 Depth=2
	s_wait_loadcnt 0x0
	v_add_co_u32 v11, s12, s0, v1
	s_wait_alu 0xf1ff
	v_add_co_ci_u32_e64 v12, null, s1, 0, s12
	global_load_u8 v8, v[11:12], off offset:768
	s_wait_alu 0xfffe
	s_or_b32 exec_lo, exec_lo, s11
	s_delay_alu instid0(SALU_CYCLE_1)
	s_mov_b32 s11, exec_lo
	v_cmpx_gt_u32_e64 s9, v34
	s_cbranch_execz .LBB1641_354
.LBB1641_379:                           ;   in Loop: Header=BB1641_346 Depth=2
	s_wait_loadcnt 0x0
	v_add_co_u32 v11, s12, s0, v1
	s_wait_alu 0xf1ff
	v_add_co_ci_u32_e64 v12, null, s1, 0, s12
	global_load_u8 v6, v[11:12], off offset:1024
	s_wait_alu 0xfffe
	s_or_b32 exec_lo, exec_lo, s11
	s_delay_alu instid0(SALU_CYCLE_1)
	s_mov_b32 s11, exec_lo
	v_cmpx_gt_u32_e64 s9, v35
	s_cbranch_execz .LBB1641_355
.LBB1641_380:                           ;   in Loop: Header=BB1641_346 Depth=2
	s_wait_loadcnt 0x0
	v_add_co_u32 v11, s12, s0, v1
	s_wait_alu 0xf1ff
	v_add_co_ci_u32_e64 v12, null, s1, 0, s12
	global_load_u8 v5, v[11:12], off offset:1280
	s_wait_alu 0xfffe
	s_or_b32 exec_lo, exec_lo, s11
	s_delay_alu instid0(SALU_CYCLE_1)
	s_mov_b32 s11, exec_lo
	v_cmpx_gt_u32_e64 s9, v36
	s_cbranch_execz .LBB1641_356
.LBB1641_381:                           ;   in Loop: Header=BB1641_346 Depth=2
	s_wait_loadcnt 0x0
	v_add_co_u32 v11, s12, s0, v1
	s_wait_alu 0xf1ff
	v_add_co_ci_u32_e64 v12, null, s1, 0, s12
	global_load_u8 v4, v[11:12], off offset:1536
	s_wait_alu 0xfffe
	s_or_b32 exec_lo, exec_lo, s11
	s_delay_alu instid0(SALU_CYCLE_1)
	s_mov_b32 s11, exec_lo
	v_cmpx_gt_u32_e64 s9, v37
	s_cbranch_execnz .LBB1641_357
	s_branch .LBB1641_358
.LBB1641_382:                           ;   in Loop: Header=BB1641_12 Depth=1
	v_mov_b32_e32 v2, 0
	s_wait_dscnt 0x0
	s_barrier_signal -1
	s_barrier_wait -1
	global_inv scope:SCOPE_SE
	s_and_saveexec_b32 s0, s2
	s_cbranch_execz .LBB1641_384
; %bb.383:                              ;   in Loop: Header=BB1641_12 Depth=1
	ds_load_2addr_b64 v[4:7], v40 offset1:1
	s_wait_dscnt 0x0
	v_add_nc_u32_e32 v2, v5, v4
	s_delay_alu instid0(VALU_DEP_1)
	v_add3_u32 v2, v2, v6, v7
.LBB1641_384:                           ;   in Loop: Header=BB1641_12 Depth=1
	s_wait_alu 0xfffe
	s_or_b32 exec_lo, exec_lo, s0
	s_delay_alu instid0(VALU_DEP_1)
	v_mov_b32_dpp v4, v2 row_shr:1 row_mask:0xf bank_mask:0xf
	v_cmp_eq_u32_e64 s0, 0, v62
	v_cmp_lt_u32_e64 s1, 1, v62
	v_cmp_lt_u32_e64 s9, 3, v62
	;; [unrolled: 1-line block ×3, first 2 shown]
	v_cmp_eq_u32_e64 s11, 0, v64
	s_wait_alu 0xf1ff
	v_cndmask_b32_e64 v4, v4, 0, s0
	s_delay_alu instid0(VALU_DEP_1) | instskip(NEXT) | instid1(VALU_DEP_1)
	v_add_nc_u32_e32 v2, v4, v2
	v_mov_b32_dpp v4, v2 row_shr:2 row_mask:0xf bank_mask:0xf
	s_delay_alu instid0(VALU_DEP_1) | instskip(NEXT) | instid1(VALU_DEP_1)
	v_cndmask_b32_e64 v4, 0, v4, s1
	v_add_nc_u32_e32 v2, v2, v4
	s_delay_alu instid0(VALU_DEP_1) | instskip(NEXT) | instid1(VALU_DEP_1)
	v_mov_b32_dpp v4, v2 row_shr:4 row_mask:0xf bank_mask:0xf
	v_cndmask_b32_e64 v4, 0, v4, s9
	s_delay_alu instid0(VALU_DEP_1) | instskip(NEXT) | instid1(VALU_DEP_1)
	v_add_nc_u32_e32 v2, v2, v4
	v_mov_b32_dpp v4, v2 row_shr:8 row_mask:0xf bank_mask:0xf
	s_delay_alu instid0(VALU_DEP_1) | instskip(NEXT) | instid1(VALU_DEP_1)
	v_cndmask_b32_e64 v4, 0, v4, s10
	v_add_nc_u32_e32 v2, v2, v4
	ds_swizzle_b32 v4, v2 offset:swizzle(BROADCAST,32,15)
	s_wait_dscnt 0x0
	v_and_b32_e32 v4, v63, v4
	s_delay_alu instid0(VALU_DEP_1)
	v_add_nc_u32_e32 v2, v2, v4
	s_and_saveexec_b32 s12, s3
; %bb.385:                              ;   in Loop: Header=BB1641_12 Depth=1
	ds_store_b32 v41, v2
; %bb.386:                              ;   in Loop: Header=BB1641_12 Depth=1
	s_wait_alu 0xfffe
	s_or_b32 exec_lo, exec_lo, s12
	s_wait_loadcnt_dscnt 0x0
	s_barrier_signal -1
	s_barrier_wait -1
	global_inv scope:SCOPE_SE
	s_and_saveexec_b32 s12, s4
	s_cbranch_execz .LBB1641_388
; %bb.387:                              ;   in Loop: Header=BB1641_12 Depth=1
	ds_load_b32 v4, v42
	v_cmp_ne_u32_e32 vcc_lo, 0, v65
	s_wait_dscnt 0x0
	v_mov_b32_dpp v5, v4 row_shr:1 row_mask:0xf bank_mask:0xf
	s_wait_alu 0xfffd
	s_delay_alu instid0(VALU_DEP_1) | instskip(SKIP_1) | instid1(VALU_DEP_2)
	v_cndmask_b32_e32 v5, 0, v5, vcc_lo
	v_cmp_lt_u32_e32 vcc_lo, 1, v65
	v_add_nc_u32_e32 v4, v5, v4
	s_delay_alu instid0(VALU_DEP_1) | instskip(SKIP_1) | instid1(VALU_DEP_1)
	v_mov_b32_dpp v5, v4 row_shr:2 row_mask:0xf bank_mask:0xf
	s_wait_alu 0xfffd
	v_cndmask_b32_e32 v5, 0, v5, vcc_lo
	v_cmp_lt_u32_e32 vcc_lo, 3, v65
	s_delay_alu instid0(VALU_DEP_2) | instskip(NEXT) | instid1(VALU_DEP_1)
	v_add_nc_u32_e32 v4, v4, v5
	v_mov_b32_dpp v5, v4 row_shr:4 row_mask:0xf bank_mask:0xf
	s_wait_alu 0xfffd
	s_delay_alu instid0(VALU_DEP_1) | instskip(NEXT) | instid1(VALU_DEP_1)
	v_cndmask_b32_e32 v5, 0, v5, vcc_lo
	v_add_nc_u32_e32 v4, v4, v5
	ds_store_b32 v42, v4
.LBB1641_388:                           ;   in Loop: Header=BB1641_12 Depth=1
	s_wait_alu 0xfffe
	s_or_b32 exec_lo, exec_lo, s12
	v_mov_b32_e32 v4, 0
	s_wait_loadcnt_dscnt 0x0
	s_barrier_signal -1
	s_barrier_wait -1
	global_inv scope:SCOPE_SE
	s_and_saveexec_b32 s12, s5
; %bb.389:                              ;   in Loop: Header=BB1641_12 Depth=1
	ds_load_b32 v4, v43
; %bb.390:                              ;   in Loop: Header=BB1641_12 Depth=1
	s_wait_alu 0xfffe
	s_or_b32 exec_lo, exec_lo, s12
	v_cmp_gt_i32_e32 vcc_lo, 0, v67
	s_wait_dscnt 0x0
	v_add_nc_u32_e32 v2, v4, v2
	s_wait_loadcnt 0x0
	s_barrier_signal -1
	s_barrier_wait -1
	s_wait_alu 0xfffd
	v_cndmask_b32_e32 v5, v67, v58, vcc_lo
	global_inv scope:SCOPE_SE
	v_lshlrev_b32_e32 v80, 2, v5
	ds_bpermute_b32 v2, v80, v2
	s_and_saveexec_b32 s12, s2
	s_cbranch_execz .LBB1641_392
; %bb.391:                              ;   in Loop: Header=BB1641_12 Depth=1
	s_wait_dscnt 0x0
	v_cndmask_b32_e64 v2, v2, v4, s8
	s_delay_alu instid0(VALU_DEP_1)
	v_add_nc_u32_e32 v2, s33, v2
	ds_store_b32 v28, v2
.LBB1641_392:                           ;   in Loop: Header=BB1641_12 Depth=1
	s_wait_alu 0xfffe
	s_or_b32 exec_lo, exec_lo, s12
	s_load_b64 s[12:13], s[28:29], 0x0
	v_add_co_u32 v81, vcc_lo, v56, v66
	s_wait_alu 0xfffd
	v_add_co_ci_u32_e64 v82, null, 0, v57, vcc_lo
	v_add_co_u32 v83, vcc_lo, v59, v58
	s_wait_alu 0xfffd
	v_add_co_ci_u32_e64 v84, null, 0, v60, vcc_lo
	s_mov_b32 s42, s47
                                        ; implicit-def: $vgpr6_vgpr7
                                        ; implicit-def: $vgpr8_vgpr9
                                        ; implicit-def: $vgpr10_vgpr11
                                        ; implicit-def: $vgpr12_vgpr13
                                        ; implicit-def: $vgpr14_vgpr15
                                        ; implicit-def: $vgpr16_vgpr17
                                        ; implicit-def: $vgpr18_vgpr19
                                        ; implicit-def: $vgpr86
                                        ; implicit-def: $vgpr87
                                        ; implicit-def: $vgpr88
                                        ; implicit-def: $vgpr89
                                        ; implicit-def: $vgpr90
                                        ; implicit-def: $vgpr91
                                        ; implicit-def: $vgpr92
                                        ; implicit-def: $vgpr93
	s_wait_kmcnt 0x0
	s_cmp_lt_u32 ttmp7, s13
	s_cselect_b32 s22, 14, 20
	s_cmp_lt_u32 ttmp9, s12
	s_wait_alu 0xfffe
	s_add_nc_u64 s[14:15], s[28:29], s[22:23]
	s_cselect_b32 s22, 12, 18
	s_load_u16 s14, s[14:15], 0x0
	s_add_nc_u64 s[12:13], s[28:29], s[22:23]
	s_mov_b32 s22, s33
	s_load_u16 s12, s[12:13], 0x0
	v_cmp_lt_u32_e64 s13, 1, v65
	s_wait_dscnt 0x0
	s_wait_kmcnt 0x0
	v_mad_u32_u24 v2, v44, s14, v0
	v_cmp_lt_u32_e64 s14, 3, v65
	s_delay_alu instid0(VALU_DEP_2) | instskip(SKIP_1) | instid1(VALU_DEP_2)
	v_mad_co_u64_u32 v[4:5], null, v2, s12, v[1:2]
	v_cmp_eq_u32_e64 s12, 0, v65
	v_lshrrev_b32_e32 v2, 3, v4
                                        ; implicit-def: $vgpr4_vgpr5
	s_delay_alu instid0(VALU_DEP_1)
	v_and_b32_e32 v85, 0x1ffffffc, v2
	s_branch .LBB1641_394
.LBB1641_393:                           ;   in Loop: Header=BB1641_394 Depth=2
	s_wait_alu 0xfffe
	s_or_b32 exec_lo, exec_lo, s15
	s_addk_co_i32 s42, 0xf800
	s_cmp_lt_u32 s43, s34
	s_mov_b32 s22, s43
	s_cbranch_scc0 .LBB1641_506
.LBB1641_394:                           ;   Parent Loop BB1641_12 Depth=1
                                        ; =>  This Inner Loop Header: Depth=2
	s_wait_alu 0xfffe
	s_add_co_i32 s43, s22, 0x800
	s_wait_alu 0xfffe
	s_cmp_gt_u32 s43, s34
	s_cbranch_scc1 .LBB1641_396
; %bb.395:                              ;   in Loop: Header=BB1641_394 Depth=2
	v_add_co_u32 v20, vcc_lo, v83, s22
	s_wait_alu 0xfffd
	v_add_co_ci_u32_e64 v21, null, 0, v84, vcc_lo
	s_mov_b32 s15, -1
	s_clause 0x6
	global_load_u8 v94, v[20:21], off
	global_load_u8 v95, v[20:21], off offset:32
	global_load_u8 v96, v[20:21], off offset:64
	;; [unrolled: 1-line block ×6, first 2 shown]
	s_movk_i32 s16, 0x800
	s_cbranch_execz .LBB1641_397
	s_branch .LBB1641_412
.LBB1641_396:                           ;   in Loop: Header=BB1641_394 Depth=2
	s_mov_b32 s15, 0
                                        ; implicit-def: $vgpr94
                                        ; implicit-def: $vgpr95
                                        ; implicit-def: $vgpr96
                                        ; implicit-def: $vgpr97
                                        ; implicit-def: $vgpr98
                                        ; implicit-def: $vgpr99
                                        ; implicit-def: $vgpr100
	s_movk_i32 s16, 0x800
.LBB1641_397:                           ;   in Loop: Header=BB1641_394 Depth=2
	v_add_co_u32 v20, vcc_lo, v83, s22
	s_wait_alu 0xfffd
	v_add_co_ci_u32_e64 v21, null, 0, v84, vcc_lo
	s_wait_loadcnt 0x5
	v_dual_mov_b32 v95, 1 :: v_dual_mov_b32 v94, 1
	s_mov_b32 s15, exec_lo
	v_cmpx_gt_u32_e64 s42, v68
	s_cbranch_execz .LBB1641_399
; %bb.398:                              ;   in Loop: Header=BB1641_394 Depth=2
	global_load_u8 v94, v[20:21], off
.LBB1641_399:                           ;   in Loop: Header=BB1641_394 Depth=2
	s_wait_alu 0xfffe
	s_or_b32 exec_lo, exec_lo, s15
	s_delay_alu instid0(SALU_CYCLE_1)
	s_mov_b32 s15, exec_lo
	v_cmpx_gt_u32_e64 s42, v71
	s_cbranch_execz .LBB1641_401
; %bb.400:                              ;   in Loop: Header=BB1641_394 Depth=2
	global_load_u8 v95, v[20:21], off offset:32
.LBB1641_401:                           ;   in Loop: Header=BB1641_394 Depth=2
	s_wait_alu 0xfffe
	s_or_b32 exec_lo, exec_lo, s15
	s_wait_loadcnt 0x3
	v_dual_mov_b32 v97, 1 :: v_dual_mov_b32 v96, 1
	s_mov_b32 s15, exec_lo
	v_cmpx_gt_u32_e64 s42, v72
	s_cbranch_execz .LBB1641_403
; %bb.402:                              ;   in Loop: Header=BB1641_394 Depth=2
	global_load_u8 v96, v[20:21], off offset:64
.LBB1641_403:                           ;   in Loop: Header=BB1641_394 Depth=2
	s_wait_alu 0xfffe
	s_or_b32 exec_lo, exec_lo, s15
	s_delay_alu instid0(SALU_CYCLE_1)
	s_mov_b32 s15, exec_lo
	v_cmpx_gt_u32_e64 s42, v73
	s_cbranch_execz .LBB1641_405
; %bb.404:                              ;   in Loop: Header=BB1641_394 Depth=2
	global_load_u8 v97, v[20:21], off offset:96
.LBB1641_405:                           ;   in Loop: Header=BB1641_394 Depth=2
	s_wait_alu 0xfffe
	s_or_b32 exec_lo, exec_lo, s15
	s_wait_loadcnt 0x1
	v_dual_mov_b32 v99, 1 :: v_dual_mov_b32 v98, 1
	s_mov_b32 s15, exec_lo
	v_cmpx_gt_u32_e64 s42, v74
	s_cbranch_execz .LBB1641_407
; %bb.406:                              ;   in Loop: Header=BB1641_394 Depth=2
	global_load_u8 v98, v[20:21], off offset:128
.LBB1641_407:                           ;   in Loop: Header=BB1641_394 Depth=2
	s_wait_alu 0xfffe
	s_or_b32 exec_lo, exec_lo, s15
	s_delay_alu instid0(SALU_CYCLE_1)
	s_mov_b32 s15, exec_lo
	v_cmpx_gt_u32_e64 s42, v75
	s_cbranch_execz .LBB1641_409
; %bb.408:                              ;   in Loop: Header=BB1641_394 Depth=2
	global_load_u8 v99, v[20:21], off offset:160
.LBB1641_409:                           ;   in Loop: Header=BB1641_394 Depth=2
	s_wait_alu 0xfffe
	s_or_b32 exec_lo, exec_lo, s15
	s_wait_loadcnt 0x0
	v_mov_b32_e32 v100, 1
	s_mov_b32 s15, exec_lo
	v_cmpx_gt_u32_e64 s42, v76
	s_cbranch_execz .LBB1641_411
; %bb.410:                              ;   in Loop: Header=BB1641_394 Depth=2
	global_load_u8 v100, v[20:21], off offset:192
.LBB1641_411:                           ;   in Loop: Header=BB1641_394 Depth=2
	s_wait_alu 0xfffe
	s_or_b32 exec_lo, exec_lo, s15
	v_cmp_gt_u32_e64 s15, s42, v77
	s_sub_co_i32 s16, s34, s22
.LBB1641_412:                           ;   in Loop: Header=BB1641_394 Depth=2
	v_dual_mov_b32 v101, 1 :: v_dual_mov_b32 v2, s42
	s_wait_alu 0xfffe
	s_and_saveexec_b32 s17, s15
	s_cbranch_execz .LBB1641_414
; %bb.413:                              ;   in Loop: Header=BB1641_394 Depth=2
	v_add_co_u32 v20, vcc_lo, v83, s22
	s_wait_alu 0xfffd
	v_add_co_ci_u32_e64 v21, null, s23, v84, vcc_lo
	v_mov_b32_e32 v2, s16
	global_load_u8 v101, v[20:21], off offset:224
.LBB1641_414:                           ;   in Loop: Header=BB1641_394 Depth=2
	s_wait_alu 0xfffe
	s_or_b32 exec_lo, exec_lo, s17
	s_wait_loadcnt 0x6
	v_and_b32_e32 v20, 0xff, v94
	v_add_nc_u32_e32 v103, 0x438, v45
	v_add_nc_u32_e32 v104, 0x420, v45
	;; [unrolled: 1-line block ×4, first 2 shown]
	v_lshrrev_b32_e32 v20, s45, v20
	ds_store_2addr_b32 v103, v3, v3 offset1:1
	ds_store_2addr_b32 v104, v3, v3 offset1:1
	;; [unrolled: 1-line block ×4, first 2 shown]
	ds_store_b32 v45, v3 offset:1088
	s_wait_loadcnt_dscnt 0x0
	s_barrier_signal -1
	v_and_b32_e32 v21, s31, v20
	s_barrier_wait -1
	global_inv scope:SCOPE_SE
	; wave barrier
	v_add_co_u32 v20, s15, v21, -1
	s_wait_alu 0xf1ff
	v_cndmask_b32_e64 v22, 0, 1, s15
	v_mul_u32_u24_e32 v21, 36, v21
	s_delay_alu instid0(VALU_DEP_2) | instskip(NEXT) | instid1(VALU_DEP_2)
	v_cmp_ne_u32_e32 vcc_lo, 0, v22
	v_add_nc_u32_e32 v108, v85, v21
	s_wait_alu 0xfffd
	v_xor_b32_e32 v20, vcc_lo, v20
	s_delay_alu instid0(VALU_DEP_1) | instskip(NEXT) | instid1(VALU_DEP_1)
	v_and_b32_e32 v20, exec_lo, v20
	v_mbcnt_lo_u32_b32 v102, v20, 0
	v_cmp_ne_u32_e64 s15, 0, v20
	s_delay_alu instid0(VALU_DEP_2)
	v_cmp_eq_u32_e32 vcc_lo, 0, v102
	s_and_b32 s16, s15, vcc_lo
	s_wait_alu 0xfffe
	s_and_saveexec_b32 s15, s16
; %bb.415:                              ;   in Loop: Header=BB1641_394 Depth=2
	v_bcnt_u32_b32 v20, v20, 0
	ds_store_b32 v108, v20 offset:1056
; %bb.416:                              ;   in Loop: Header=BB1641_394 Depth=2
	s_wait_alu 0xfffe
	s_or_b32 exec_lo, exec_lo, s15
	v_and_b32_e32 v20, 0xff, v95
	; wave barrier
	s_delay_alu instid0(VALU_DEP_1) | instskip(NEXT) | instid1(VALU_DEP_1)
	v_lshrrev_b32_e32 v20, s45, v20
	v_and_b32_e32 v21, s31, v20
	s_delay_alu instid0(VALU_DEP_1) | instskip(SKIP_2) | instid1(VALU_DEP_1)
	v_add_co_u32 v20, s15, v21, -1
	s_wait_alu 0xf1ff
	v_cndmask_b32_e64 v22, 0, 1, s15
	v_cmp_ne_u32_e32 vcc_lo, 0, v22
	v_mad_u32_u24 v22, v21, 36, v85
	v_mul_u32_u24_e32 v21, 36, v21
	s_wait_alu 0xfffd
	v_xor_b32_e32 v20, vcc_lo, v20
	ds_load_b32 v107, v22 offset:1056
	v_add_nc_u32_e32 v112, v85, v21
	; wave barrier
	v_and_b32_e32 v20, exec_lo, v20
	s_delay_alu instid0(VALU_DEP_1) | instskip(SKIP_1) | instid1(VALU_DEP_2)
	v_mbcnt_lo_u32_b32 v109, v20, 0
	v_cmp_ne_u32_e64 s15, 0, v20
	v_cmp_eq_u32_e32 vcc_lo, 0, v109
	s_and_b32 s16, s15, vcc_lo
	s_wait_alu 0xfffe
	s_and_saveexec_b32 s15, s16
	s_cbranch_execz .LBB1641_418
; %bb.417:                              ;   in Loop: Header=BB1641_394 Depth=2
	s_wait_dscnt 0x0
	v_bcnt_u32_b32 v20, v20, v107
	ds_store_b32 v112, v20 offset:1056
.LBB1641_418:                           ;   in Loop: Header=BB1641_394 Depth=2
	s_wait_alu 0xfffe
	s_or_b32 exec_lo, exec_lo, s15
	v_and_b32_e32 v20, 0xff, v96
	; wave barrier
	s_delay_alu instid0(VALU_DEP_1) | instskip(NEXT) | instid1(VALU_DEP_1)
	v_lshrrev_b32_e32 v20, s45, v20
	v_and_b32_e32 v21, s31, v20
	s_delay_alu instid0(VALU_DEP_1) | instskip(SKIP_2) | instid1(VALU_DEP_1)
	v_add_co_u32 v20, s15, v21, -1
	s_wait_alu 0xf1ff
	v_cndmask_b32_e64 v22, 0, 1, s15
	v_cmp_ne_u32_e32 vcc_lo, 0, v22
	v_mad_u32_u24 v22, v21, 36, v85
	v_mul_u32_u24_e32 v21, 36, v21
	s_wait_alu 0xfffd
	v_xor_b32_e32 v20, vcc_lo, v20
	ds_load_b32 v110, v22 offset:1056
	v_add_nc_u32_e32 v115, v85, v21
	; wave barrier
	v_and_b32_e32 v20, exec_lo, v20
	s_delay_alu instid0(VALU_DEP_1) | instskip(SKIP_1) | instid1(VALU_DEP_2)
	v_mbcnt_lo_u32_b32 v111, v20, 0
	v_cmp_ne_u32_e64 s15, 0, v20
	v_cmp_eq_u32_e32 vcc_lo, 0, v111
	s_and_b32 s16, s15, vcc_lo
	s_wait_alu 0xfffe
	s_and_saveexec_b32 s15, s16
	s_cbranch_execz .LBB1641_420
; %bb.419:                              ;   in Loop: Header=BB1641_394 Depth=2
	s_wait_dscnt 0x0
	v_bcnt_u32_b32 v20, v20, v110
	ds_store_b32 v115, v20 offset:1056
.LBB1641_420:                           ;   in Loop: Header=BB1641_394 Depth=2
	;; [unrolled: 33-line block ×7, first 2 shown]
	s_wait_alu 0xfffe
	s_or_b32 exec_lo, exec_lo, s15
	; wave barrier
	s_wait_loadcnt_dscnt 0x0
	s_barrier_signal -1
	s_barrier_wait -1
	global_inv scope:SCOPE_SE
	ds_load_2addr_b32 v[26:27], v104 offset1:1
	ds_load_2addr_b32 v[24:25], v105 offset1:1
	ds_load_2addr_b32 v[22:23], v106 offset1:1
	ds_load_2addr_b32 v[20:21], v103 offset1:1
	ds_load_b32 v129, v45 offset:1088
	s_wait_dscnt 0x3
	v_add3_u32 v130, v27, v26, v24
	s_wait_dscnt 0x2
	s_delay_alu instid0(VALU_DEP_1) | instskip(SKIP_1) | instid1(VALU_DEP_1)
	v_add3_u32 v130, v130, v25, v22
	s_wait_dscnt 0x1
	v_add3_u32 v130, v130, v23, v20
	s_wait_dscnt 0x0
	s_delay_alu instid0(VALU_DEP_1) | instskip(NEXT) | instid1(VALU_DEP_1)
	v_add3_u32 v129, v130, v21, v129
	v_mov_b32_dpp v130, v129 row_shr:1 row_mask:0xf bank_mask:0xf
	s_delay_alu instid0(VALU_DEP_1) | instskip(NEXT) | instid1(VALU_DEP_1)
	v_cndmask_b32_e64 v130, v130, 0, s0
	v_add_nc_u32_e32 v129, v130, v129
	s_delay_alu instid0(VALU_DEP_1) | instskip(NEXT) | instid1(VALU_DEP_1)
	v_mov_b32_dpp v130, v129 row_shr:2 row_mask:0xf bank_mask:0xf
	v_cndmask_b32_e64 v130, 0, v130, s1
	s_delay_alu instid0(VALU_DEP_1) | instskip(NEXT) | instid1(VALU_DEP_1)
	v_add_nc_u32_e32 v129, v129, v130
	v_mov_b32_dpp v130, v129 row_shr:4 row_mask:0xf bank_mask:0xf
	s_delay_alu instid0(VALU_DEP_1) | instskip(NEXT) | instid1(VALU_DEP_1)
	v_cndmask_b32_e64 v130, 0, v130, s9
	v_add_nc_u32_e32 v129, v129, v130
	s_delay_alu instid0(VALU_DEP_1) | instskip(NEXT) | instid1(VALU_DEP_1)
	v_mov_b32_dpp v130, v129 row_shr:8 row_mask:0xf bank_mask:0xf
	v_cndmask_b32_e64 v130, 0, v130, s10
	s_delay_alu instid0(VALU_DEP_1) | instskip(SKIP_3) | instid1(VALU_DEP_1)
	v_add_nc_u32_e32 v129, v129, v130
	ds_swizzle_b32 v130, v129 offset:swizzle(BROADCAST,32,15)
	s_wait_dscnt 0x0
	v_cndmask_b32_e64 v130, v130, 0, s11
	v_add_nc_u32_e32 v129, v129, v130
	s_and_saveexec_b32 s15, s3
; %bb.431:                              ;   in Loop: Header=BB1641_394 Depth=2
	ds_store_b32 v38, v129 offset:1024
; %bb.432:                              ;   in Loop: Header=BB1641_394 Depth=2
	s_wait_alu 0xfffe
	s_or_b32 exec_lo, exec_lo, s15
	s_wait_loadcnt_dscnt 0x0
	s_barrier_signal -1
	s_barrier_wait -1
	global_inv scope:SCOPE_SE
	s_and_saveexec_b32 s15, s4
	s_cbranch_execz .LBB1641_434
; %bb.433:                              ;   in Loop: Header=BB1641_394 Depth=2
	v_add_nc_u32_e32 v130, v45, v46
	ds_load_b32 v131, v130 offset:1024
	s_wait_dscnt 0x0
	v_mov_b32_dpp v132, v131 row_shr:1 row_mask:0xf bank_mask:0xf
	s_delay_alu instid0(VALU_DEP_1) | instskip(NEXT) | instid1(VALU_DEP_1)
	v_cndmask_b32_e64 v132, v132, 0, s12
	v_add_nc_u32_e32 v131, v132, v131
	s_delay_alu instid0(VALU_DEP_1) | instskip(NEXT) | instid1(VALU_DEP_1)
	v_mov_b32_dpp v132, v131 row_shr:2 row_mask:0xf bank_mask:0xf
	v_cndmask_b32_e64 v132, 0, v132, s13
	s_delay_alu instid0(VALU_DEP_1) | instskip(NEXT) | instid1(VALU_DEP_1)
	v_add_nc_u32_e32 v131, v131, v132
	v_mov_b32_dpp v132, v131 row_shr:4 row_mask:0xf bank_mask:0xf
	s_delay_alu instid0(VALU_DEP_1) | instskip(NEXT) | instid1(VALU_DEP_1)
	v_cndmask_b32_e64 v132, 0, v132, s14
	v_add_nc_u32_e32 v131, v131, v132
	ds_store_b32 v130, v131 offset:1024
.LBB1641_434:                           ;   in Loop: Header=BB1641_394 Depth=2
	s_wait_alu 0xfffe
	s_or_b32 exec_lo, exec_lo, s15
	v_mov_b32_e32 v130, 0
	s_wait_loadcnt_dscnt 0x0
	s_barrier_signal -1
	s_barrier_wait -1
	global_inv scope:SCOPE_SE
	s_and_saveexec_b32 s15, s5
; %bb.435:                              ;   in Loop: Header=BB1641_394 Depth=2
	ds_load_b32 v130, v38 offset:1020
; %bb.436:                              ;   in Loop: Header=BB1641_394 Depth=2
	s_wait_alu 0xfffe
	s_or_b32 exec_lo, exec_lo, s15
	s_wait_dscnt 0x0
	v_add_nc_u32_e32 v129, v130, v129
	ds_bpermute_b32 v129, v80, v129
	s_wait_dscnt 0x0
	v_cndmask_b32_e64 v129, v129, v130, s8
	s_delay_alu instid0(VALU_DEP_1) | instskip(NEXT) | instid1(VALU_DEP_1)
	v_cndmask_b32_e64 v129, v129, 0, s6
	v_add_nc_u32_e32 v26, v129, v26
	s_delay_alu instid0(VALU_DEP_1) | instskip(NEXT) | instid1(VALU_DEP_1)
	v_add_nc_u32_e32 v27, v26, v27
	v_add_nc_u32_e32 v24, v27, v24
	s_delay_alu instid0(VALU_DEP_1) | instskip(NEXT) | instid1(VALU_DEP_1)
	v_add_nc_u32_e32 v25, v24, v25
	;; [unrolled: 3-line block ×3, first 2 shown]
	v_add_nc_u32_e32 v20, v23, v20
	s_delay_alu instid0(VALU_DEP_1)
	v_add_nc_u32_e32 v21, v20, v21
	ds_store_2addr_b32 v103, v23, v20 offset1:1
	ds_store_2addr_b32 v104, v129, v26 offset1:1
	;; [unrolled: 1-line block ×4, first 2 shown]
	ds_store_b32 v45, v21 offset:1088
	s_wait_loadcnt_dscnt 0x0
	s_barrier_signal -1
	s_barrier_wait -1
	global_inv scope:SCOPE_SE
	ds_load_b32 v20, v108 offset:1056
	ds_load_b32 v21, v112 offset:1056
	;; [unrolled: 1-line block ×9, first 2 shown]
	v_mov_b32_e32 v22, 0x800
	s_and_saveexec_b32 s15, s7
; %bb.437:                              ;   in Loop: Header=BB1641_394 Depth=2
	ds_load_b32 v22, v45 offset:1092
; %bb.438:                              ;   in Loop: Header=BB1641_394 Depth=2
	s_wait_alu 0xfffe
	s_or_b32 exec_lo, exec_lo, s15
	s_wait_loadcnt_dscnt 0x0
	s_barrier_signal -1
	s_barrier_wait -1
	global_inv scope:SCOPE_SE
	s_and_saveexec_b32 s15, s2
	s_cbranch_execz .LBB1641_440
; %bb.439:                              ;   in Loop: Header=BB1641_394 Depth=2
	ds_load_b32 v27, v28
	s_wait_dscnt 0x0
	v_sub_nc_u32_e32 v26, v27, v26
	ds_store_b32 v28, v26
.LBB1641_440:                           ;   in Loop: Header=BB1641_394 Depth=2
	s_wait_alu 0xfffe
	s_or_b32 exec_lo, exec_lo, s15
	v_add_nc_u32_e32 v104, v20, v102
	v_add3_u32 v103, v109, v107, v21
	v_add3_u32 v102, v111, v110, v23
	;; [unrolled: 1-line block ×7, first 2 shown]
	v_cmp_lt_u32_e64 s21, v1, v2
	ds_store_b8 v104, v94 offset:1024
	ds_store_b8 v103, v95 offset:1024
	;; [unrolled: 1-line block ×8, first 2 shown]
	s_wait_loadcnt_dscnt 0x0
	s_barrier_signal -1
	s_barrier_wait -1
	global_inv scope:SCOPE_SE
	s_and_saveexec_b32 s15, s21
	s_cbranch_execnz .LBB1641_477
; %bb.441:                              ;   in Loop: Header=BB1641_394 Depth=2
	s_wait_alu 0xfffe
	s_or_b32 exec_lo, exec_lo, s15
	v_cmp_lt_u32_e64 s20, v29, v2
	s_and_saveexec_b32 s15, s20
	s_cbranch_execnz .LBB1641_478
.LBB1641_442:                           ;   in Loop: Header=BB1641_394 Depth=2
	s_wait_alu 0xfffe
	s_or_b32 exec_lo, exec_lo, s15
	v_cmp_lt_u32_e64 s19, v30, v2
	s_and_saveexec_b32 s15, s19
	s_cbranch_execnz .LBB1641_479
.LBB1641_443:                           ;   in Loop: Header=BB1641_394 Depth=2
	s_wait_alu 0xfffe
	s_or_b32 exec_lo, exec_lo, s15
	v_cmp_lt_u32_e64 s18, v31, v2
	s_and_saveexec_b32 s15, s18
	s_cbranch_execnz .LBB1641_480
.LBB1641_444:                           ;   in Loop: Header=BB1641_394 Depth=2
	s_wait_alu 0xfffe
	s_or_b32 exec_lo, exec_lo, s15
	v_cmp_lt_u32_e64 s17, v34, v2
	s_and_saveexec_b32 s15, s17
	s_cbranch_execnz .LBB1641_481
.LBB1641_445:                           ;   in Loop: Header=BB1641_394 Depth=2
	s_wait_alu 0xfffe
	s_or_b32 exec_lo, exec_lo, s15
	v_cmp_lt_u32_e64 s16, v35, v2
	s_and_saveexec_b32 s15, s16
	s_cbranch_execnz .LBB1641_482
.LBB1641_446:                           ;   in Loop: Header=BB1641_394 Depth=2
	s_wait_alu 0xfffe
	s_or_b32 exec_lo, exec_lo, s15
	v_cmp_lt_u32_e64 s15, v36, v2
	s_and_saveexec_b32 s44, s15
	s_cbranch_execnz .LBB1641_483
.LBB1641_447:                           ;   in Loop: Header=BB1641_394 Depth=2
	s_wait_alu 0xfffe
	s_or_b32 exec_lo, exec_lo, s44
	v_cmp_lt_u32_e32 vcc_lo, v37, v2
	s_and_saveexec_b32 s44, vcc_lo
	s_cbranch_execz .LBB1641_449
.LBB1641_448:                           ;   in Loop: Header=BB1641_394 Depth=2
	ds_load_u8 v20, v1 offset:2816
	s_wait_dscnt 0x0
	v_and_b32_e32 v21, 1, v20
	s_delay_alu instid0(VALU_DEP_1) | instskip(NEXT) | instid1(VALU_DEP_1)
	v_lshrrev_b32_e32 v21, s45, v21
	v_and_b32_e32 v21, s31, v21
	s_delay_alu instid0(VALU_DEP_1)
	v_lshlrev_b32_e32 v21, 2, v21
	ds_load_b32 v21, v21
	s_wait_dscnt 0x0
	v_add_nc_u32_e32 v21, v21, v37
	global_store_b8 v21, v20, s[38:39]
.LBB1641_449:                           ;   in Loop: Header=BB1641_394 Depth=2
	s_wait_alu 0xfffe
	s_or_b32 exec_lo, exec_lo, s44
	s_lshl_b64 s[48:49], s[22:23], 3
	s_wait_alu 0xfffe
	v_add_co_u32 v20, s22, v81, s48
	s_wait_alu 0xf1ff
	v_add_co_ci_u32_e64 v21, null, s49, v82, s22
	v_cmp_lt_u32_e64 s22, v68, v2
	s_and_saveexec_b32 s44, s22
	s_wait_alu 0xfffe
	s_xor_b32 s22, exec_lo, s44
	s_cbranch_execnz .LBB1641_484
; %bb.450:                              ;   in Loop: Header=BB1641_394 Depth=2
	s_wait_alu 0xfffe
	s_or_b32 exec_lo, exec_lo, s22
	s_delay_alu instid0(SALU_CYCLE_1)
	s_mov_b32 s44, exec_lo
	v_cmpx_lt_u32_e64 v71, v2
	s_cbranch_execnz .LBB1641_485
.LBB1641_451:                           ;   in Loop: Header=BB1641_394 Depth=2
	s_wait_alu 0xfffe
	s_or_b32 exec_lo, exec_lo, s44
	s_delay_alu instid0(SALU_CYCLE_1)
	s_mov_b32 s44, exec_lo
	v_cmpx_lt_u32_e64 v72, v2
	s_cbranch_execnz .LBB1641_486
.LBB1641_452:                           ;   in Loop: Header=BB1641_394 Depth=2
	s_wait_alu 0xfffe
	s_or_b32 exec_lo, exec_lo, s44
	s_delay_alu instid0(SALU_CYCLE_1)
	s_mov_b32 s44, exec_lo
	v_cmpx_lt_u32_e64 v73, v2
	s_cbranch_execnz .LBB1641_487
.LBB1641_453:                           ;   in Loop: Header=BB1641_394 Depth=2
	s_wait_alu 0xfffe
	s_or_b32 exec_lo, exec_lo, s44
	s_delay_alu instid0(SALU_CYCLE_1)
	s_mov_b32 s44, exec_lo
	v_cmpx_lt_u32_e64 v74, v2
	s_cbranch_execnz .LBB1641_488
.LBB1641_454:                           ;   in Loop: Header=BB1641_394 Depth=2
	s_wait_alu 0xfffe
	s_or_b32 exec_lo, exec_lo, s44
	s_delay_alu instid0(SALU_CYCLE_1)
	s_mov_b32 s44, exec_lo
	v_cmpx_lt_u32_e64 v75, v2
	s_cbranch_execnz .LBB1641_489
.LBB1641_455:                           ;   in Loop: Header=BB1641_394 Depth=2
	s_wait_alu 0xfffe
	s_or_b32 exec_lo, exec_lo, s44
	s_delay_alu instid0(SALU_CYCLE_1)
	s_mov_b32 s44, exec_lo
	v_cmpx_lt_u32_e64 v76, v2
	s_cbranch_execnz .LBB1641_490
.LBB1641_456:                           ;   in Loop: Header=BB1641_394 Depth=2
	s_wait_alu 0xfffe
	s_or_b32 exec_lo, exec_lo, s44
	s_delay_alu instid0(SALU_CYCLE_1)
	s_mov_b32 s44, exec_lo
	v_cmpx_lt_u32_e64 v77, v2
	s_cbranch_execnz .LBB1641_491
.LBB1641_457:                           ;   in Loop: Header=BB1641_394 Depth=2
	s_wait_alu 0xfffe
	s_or_b32 exec_lo, exec_lo, s44
	s_and_saveexec_b32 s22, s21
	s_cbranch_execnz .LBB1641_492
.LBB1641_458:                           ;   in Loop: Header=BB1641_394 Depth=2
	s_wait_alu 0xfffe
	s_or_b32 exec_lo, exec_lo, s22
	s_and_saveexec_b32 s22, s20
	s_cbranch_execnz .LBB1641_493
.LBB1641_459:                           ;   in Loop: Header=BB1641_394 Depth=2
	s_wait_alu 0xfffe
	s_or_b32 exec_lo, exec_lo, s22
	s_and_saveexec_b32 s22, s19
	s_cbranch_execnz .LBB1641_494
.LBB1641_460:                           ;   in Loop: Header=BB1641_394 Depth=2
	s_wait_alu 0xfffe
	s_or_b32 exec_lo, exec_lo, s22
	s_and_saveexec_b32 s22, s18
	s_cbranch_execnz .LBB1641_495
.LBB1641_461:                           ;   in Loop: Header=BB1641_394 Depth=2
	s_wait_alu 0xfffe
	s_or_b32 exec_lo, exec_lo, s22
	s_and_saveexec_b32 s22, s17
	s_cbranch_execnz .LBB1641_496
.LBB1641_462:                           ;   in Loop: Header=BB1641_394 Depth=2
	s_wait_alu 0xfffe
	s_or_b32 exec_lo, exec_lo, s22
	s_and_saveexec_b32 s22, s16
	s_cbranch_execnz .LBB1641_497
.LBB1641_463:                           ;   in Loop: Header=BB1641_394 Depth=2
	s_wait_alu 0xfffe
	s_or_b32 exec_lo, exec_lo, s22
	s_and_saveexec_b32 s22, s15
	s_cbranch_execnz .LBB1641_498
.LBB1641_464:                           ;   in Loop: Header=BB1641_394 Depth=2
	s_wait_alu 0xfffe
	s_or_b32 exec_lo, exec_lo, s22
	s_and_saveexec_b32 s22, vcc_lo
	s_cbranch_execz .LBB1641_466
.LBB1641_465:                           ;   in Loop: Header=BB1641_394 Depth=2
	ds_load_u8 v2, v1 offset:2816
	s_wait_dscnt 0x0
	v_lshrrev_b32_e32 v2, s45, v2
	s_delay_alu instid0(VALU_DEP_1)
	v_and_b32_e32 v86, s31, v2
.LBB1641_466:                           ;   in Loop: Header=BB1641_394 Depth=2
	s_wait_alu 0xfffe
	s_or_b32 exec_lo, exec_lo, s22
	v_lshlrev_b32_e32 v2, 3, v104
	v_lshlrev_b32_e32 v20, 3, v103
	;; [unrolled: 1-line block ×3, first 2 shown]
	s_wait_loadcnt 0x0
	s_wait_storecnt 0x0
	s_barrier_signal -1
	s_barrier_wait -1
	global_inv scope:SCOPE_SE
	ds_store_b64 v2, v[18:19] offset:1024
	ds_store_b64 v20, v[16:17] offset:1024
	;; [unrolled: 1-line block ×3, first 2 shown]
	v_lshlrev_b32_e32 v2, 3, v27
	v_lshlrev_b32_e32 v20, 3, v26
	;; [unrolled: 1-line block ×5, first 2 shown]
	ds_store_b64 v2, v[12:13] offset:1024
	ds_store_b64 v20, v[10:11] offset:1024
	;; [unrolled: 1-line block ×5, first 2 shown]
	s_wait_loadcnt_dscnt 0x0
	s_barrier_signal -1
	s_barrier_wait -1
	global_inv scope:SCOPE_SE
	s_and_saveexec_b32 s22, s21
	s_cbranch_execnz .LBB1641_499
; %bb.467:                              ;   in Loop: Header=BB1641_394 Depth=2
	s_wait_alu 0xfffe
	s_or_b32 exec_lo, exec_lo, s22
	s_and_saveexec_b32 s21, s20
	s_cbranch_execnz .LBB1641_500
.LBB1641_468:                           ;   in Loop: Header=BB1641_394 Depth=2
	s_wait_alu 0xfffe
	s_or_b32 exec_lo, exec_lo, s21
	s_and_saveexec_b32 s20, s19
	s_cbranch_execnz .LBB1641_501
.LBB1641_469:                           ;   in Loop: Header=BB1641_394 Depth=2
	s_wait_alu 0xfffe
	s_or_b32 exec_lo, exec_lo, s20
	s_and_saveexec_b32 s19, s18
	s_cbranch_execnz .LBB1641_502
.LBB1641_470:                           ;   in Loop: Header=BB1641_394 Depth=2
	s_wait_alu 0xfffe
	s_or_b32 exec_lo, exec_lo, s19
	s_and_saveexec_b32 s18, s17
	s_cbranch_execnz .LBB1641_503
.LBB1641_471:                           ;   in Loop: Header=BB1641_394 Depth=2
	s_wait_alu 0xfffe
	s_or_b32 exec_lo, exec_lo, s18
	s_and_saveexec_b32 s17, s16
	s_cbranch_execnz .LBB1641_504
.LBB1641_472:                           ;   in Loop: Header=BB1641_394 Depth=2
	s_wait_alu 0xfffe
	s_or_b32 exec_lo, exec_lo, s17
	s_and_saveexec_b32 s16, s15
	s_cbranch_execnz .LBB1641_505
.LBB1641_473:                           ;   in Loop: Header=BB1641_394 Depth=2
	s_wait_alu 0xfffe
	s_or_b32 exec_lo, exec_lo, s16
	s_and_saveexec_b32 s15, vcc_lo
	s_cbranch_execz .LBB1641_475
.LBB1641_474:                           ;   in Loop: Header=BB1641_394 Depth=2
	v_lshlrev_b32_e32 v2, 2, v86
	v_add_nc_u32_e32 v20, v1, v47
	ds_load_b32 v2, v2
	ds_load_b64 v[20:21], v20 offset:15360
	s_wait_dscnt 0x1
	v_add_nc_u32_e32 v2, v2, v37
	s_delay_alu instid0(VALU_DEP_1) | instskip(NEXT) | instid1(VALU_DEP_1)
	v_lshlrev_b64_e32 v[23:24], 3, v[2:3]
	v_add_co_u32 v23, vcc_lo, s24, v23
	s_wait_alu 0xfffd
	s_delay_alu instid0(VALU_DEP_2)
	v_add_co_ci_u32_e64 v24, null, s25, v24, vcc_lo
	s_wait_dscnt 0x0
	global_store_b64 v[23:24], v[20:21], off
.LBB1641_475:                           ;   in Loop: Header=BB1641_394 Depth=2
	s_wait_alu 0xfffe
	s_or_b32 exec_lo, exec_lo, s15
	s_wait_loadcnt 0x0
	s_wait_storecnt 0x0
	s_barrier_signal -1
	s_barrier_wait -1
	global_inv scope:SCOPE_SE
	s_and_saveexec_b32 s15, s2
	s_cbranch_execz .LBB1641_393
; %bb.476:                              ;   in Loop: Header=BB1641_394 Depth=2
	ds_load_b32 v2, v28
	s_wait_dscnt 0x0
	v_add_nc_u32_e32 v2, v2, v22
	ds_store_b32 v28, v2
	s_branch .LBB1641_393
.LBB1641_477:                           ;   in Loop: Header=BB1641_394 Depth=2
	ds_load_u8 v20, v1 offset:1024
	s_wait_dscnt 0x0
	v_and_b32_e32 v21, 1, v20
	s_delay_alu instid0(VALU_DEP_1) | instskip(NEXT) | instid1(VALU_DEP_1)
	v_lshrrev_b32_e32 v21, s45, v21
	v_and_b32_e32 v21, s31, v21
	s_delay_alu instid0(VALU_DEP_1)
	v_lshlrev_b32_e32 v21, 2, v21
	ds_load_b32 v21, v21
	s_wait_dscnt 0x0
	v_add_nc_u32_e32 v21, v21, v1
	global_store_b8 v21, v20, s[38:39]
	s_wait_alu 0xfffe
	s_or_b32 exec_lo, exec_lo, s15
	v_cmp_lt_u32_e64 s20, v29, v2
	s_and_saveexec_b32 s15, s20
	s_cbranch_execz .LBB1641_442
.LBB1641_478:                           ;   in Loop: Header=BB1641_394 Depth=2
	ds_load_u8 v20, v1 offset:1280
	s_wait_dscnt 0x0
	v_and_b32_e32 v21, 1, v20
	s_delay_alu instid0(VALU_DEP_1) | instskip(NEXT) | instid1(VALU_DEP_1)
	v_lshrrev_b32_e32 v21, s45, v21
	v_and_b32_e32 v21, s31, v21
	s_delay_alu instid0(VALU_DEP_1)
	v_lshlrev_b32_e32 v21, 2, v21
	ds_load_b32 v21, v21
	s_wait_dscnt 0x0
	v_add_nc_u32_e32 v21, v21, v29
	global_store_b8 v21, v20, s[38:39]
	s_wait_alu 0xfffe
	s_or_b32 exec_lo, exec_lo, s15
	v_cmp_lt_u32_e64 s19, v30, v2
	s_and_saveexec_b32 s15, s19
	s_cbranch_execz .LBB1641_443
.LBB1641_479:                           ;   in Loop: Header=BB1641_394 Depth=2
	ds_load_u8 v20, v1 offset:1536
	s_wait_dscnt 0x0
	v_and_b32_e32 v21, 1, v20
	s_delay_alu instid0(VALU_DEP_1) | instskip(NEXT) | instid1(VALU_DEP_1)
	v_lshrrev_b32_e32 v21, s45, v21
	v_and_b32_e32 v21, s31, v21
	s_delay_alu instid0(VALU_DEP_1)
	v_lshlrev_b32_e32 v21, 2, v21
	ds_load_b32 v21, v21
	s_wait_dscnt 0x0
	v_add_nc_u32_e32 v21, v21, v30
	global_store_b8 v21, v20, s[38:39]
	s_wait_alu 0xfffe
	s_or_b32 exec_lo, exec_lo, s15
	v_cmp_lt_u32_e64 s18, v31, v2
	s_and_saveexec_b32 s15, s18
	s_cbranch_execz .LBB1641_444
.LBB1641_480:                           ;   in Loop: Header=BB1641_394 Depth=2
	ds_load_u8 v20, v1 offset:1792
	s_wait_dscnt 0x0
	v_and_b32_e32 v21, 1, v20
	s_delay_alu instid0(VALU_DEP_1) | instskip(NEXT) | instid1(VALU_DEP_1)
	v_lshrrev_b32_e32 v21, s45, v21
	v_and_b32_e32 v21, s31, v21
	s_delay_alu instid0(VALU_DEP_1)
	v_lshlrev_b32_e32 v21, 2, v21
	ds_load_b32 v21, v21
	s_wait_dscnt 0x0
	v_add_nc_u32_e32 v21, v21, v31
	global_store_b8 v21, v20, s[38:39]
	s_wait_alu 0xfffe
	s_or_b32 exec_lo, exec_lo, s15
	v_cmp_lt_u32_e64 s17, v34, v2
	s_and_saveexec_b32 s15, s17
	s_cbranch_execz .LBB1641_445
.LBB1641_481:                           ;   in Loop: Header=BB1641_394 Depth=2
	ds_load_u8 v20, v1 offset:2048
	s_wait_dscnt 0x0
	v_and_b32_e32 v21, 1, v20
	s_delay_alu instid0(VALU_DEP_1) | instskip(NEXT) | instid1(VALU_DEP_1)
	v_lshrrev_b32_e32 v21, s45, v21
	v_and_b32_e32 v21, s31, v21
	s_delay_alu instid0(VALU_DEP_1)
	v_lshlrev_b32_e32 v21, 2, v21
	ds_load_b32 v21, v21
	s_wait_dscnt 0x0
	v_add_nc_u32_e32 v21, v21, v34
	global_store_b8 v21, v20, s[38:39]
	s_wait_alu 0xfffe
	s_or_b32 exec_lo, exec_lo, s15
	v_cmp_lt_u32_e64 s16, v35, v2
	s_and_saveexec_b32 s15, s16
	s_cbranch_execz .LBB1641_446
.LBB1641_482:                           ;   in Loop: Header=BB1641_394 Depth=2
	ds_load_u8 v20, v1 offset:2304
	s_wait_dscnt 0x0
	v_and_b32_e32 v21, 1, v20
	s_delay_alu instid0(VALU_DEP_1) | instskip(NEXT) | instid1(VALU_DEP_1)
	v_lshrrev_b32_e32 v21, s45, v21
	v_and_b32_e32 v21, s31, v21
	s_delay_alu instid0(VALU_DEP_1)
	v_lshlrev_b32_e32 v21, 2, v21
	ds_load_b32 v21, v21
	s_wait_dscnt 0x0
	v_add_nc_u32_e32 v21, v21, v35
	global_store_b8 v21, v20, s[38:39]
	s_wait_alu 0xfffe
	s_or_b32 exec_lo, exec_lo, s15
	v_cmp_lt_u32_e64 s15, v36, v2
	s_and_saveexec_b32 s44, s15
	s_cbranch_execz .LBB1641_447
.LBB1641_483:                           ;   in Loop: Header=BB1641_394 Depth=2
	ds_load_u8 v20, v1 offset:2560
	s_wait_dscnt 0x0
	v_and_b32_e32 v21, 1, v20
	s_delay_alu instid0(VALU_DEP_1) | instskip(NEXT) | instid1(VALU_DEP_1)
	v_lshrrev_b32_e32 v21, s45, v21
	v_and_b32_e32 v21, s31, v21
	s_delay_alu instid0(VALU_DEP_1)
	v_lshlrev_b32_e32 v21, 2, v21
	ds_load_b32 v21, v21
	s_wait_dscnt 0x0
	v_add_nc_u32_e32 v21, v21, v36
	global_store_b8 v21, v20, s[38:39]
	s_wait_alu 0xfffe
	s_or_b32 exec_lo, exec_lo, s44
	v_cmp_lt_u32_e32 vcc_lo, v37, v2
	s_and_saveexec_b32 s44, vcc_lo
	s_cbranch_execnz .LBB1641_448
	s_branch .LBB1641_449
.LBB1641_484:                           ;   in Loop: Header=BB1641_394 Depth=2
	global_load_b64 v[18:19], v[20:21], off
	s_wait_alu 0xfffe
	s_or_b32 exec_lo, exec_lo, s22
	s_delay_alu instid0(SALU_CYCLE_1)
	s_mov_b32 s44, exec_lo
	v_cmpx_lt_u32_e64 v71, v2
	s_cbranch_execz .LBB1641_451
.LBB1641_485:                           ;   in Loop: Header=BB1641_394 Depth=2
	global_load_b64 v[16:17], v[20:21], off offset:256
	s_wait_alu 0xfffe
	s_or_b32 exec_lo, exec_lo, s44
	s_delay_alu instid0(SALU_CYCLE_1)
	s_mov_b32 s44, exec_lo
	v_cmpx_lt_u32_e64 v72, v2
	s_cbranch_execz .LBB1641_452
.LBB1641_486:                           ;   in Loop: Header=BB1641_394 Depth=2
	global_load_b64 v[14:15], v[20:21], off offset:512
	s_wait_alu 0xfffe
	s_or_b32 exec_lo, exec_lo, s44
	s_delay_alu instid0(SALU_CYCLE_1)
	s_mov_b32 s44, exec_lo
	v_cmpx_lt_u32_e64 v73, v2
	s_cbranch_execz .LBB1641_453
.LBB1641_487:                           ;   in Loop: Header=BB1641_394 Depth=2
	global_load_b64 v[12:13], v[20:21], off offset:768
	s_wait_alu 0xfffe
	s_or_b32 exec_lo, exec_lo, s44
	s_delay_alu instid0(SALU_CYCLE_1)
	s_mov_b32 s44, exec_lo
	v_cmpx_lt_u32_e64 v74, v2
	s_cbranch_execz .LBB1641_454
.LBB1641_488:                           ;   in Loop: Header=BB1641_394 Depth=2
	global_load_b64 v[10:11], v[20:21], off offset:1024
	s_wait_alu 0xfffe
	s_or_b32 exec_lo, exec_lo, s44
	s_delay_alu instid0(SALU_CYCLE_1)
	s_mov_b32 s44, exec_lo
	v_cmpx_lt_u32_e64 v75, v2
	s_cbranch_execz .LBB1641_455
.LBB1641_489:                           ;   in Loop: Header=BB1641_394 Depth=2
	global_load_b64 v[8:9], v[20:21], off offset:1280
	s_wait_alu 0xfffe
	s_or_b32 exec_lo, exec_lo, s44
	s_delay_alu instid0(SALU_CYCLE_1)
	s_mov_b32 s44, exec_lo
	v_cmpx_lt_u32_e64 v76, v2
	s_cbranch_execz .LBB1641_456
.LBB1641_490:                           ;   in Loop: Header=BB1641_394 Depth=2
	global_load_b64 v[6:7], v[20:21], off offset:1536
	s_wait_alu 0xfffe
	s_or_b32 exec_lo, exec_lo, s44
	s_delay_alu instid0(SALU_CYCLE_1)
	s_mov_b32 s44, exec_lo
	v_cmpx_lt_u32_e64 v77, v2
	s_cbranch_execz .LBB1641_457
.LBB1641_491:                           ;   in Loop: Header=BB1641_394 Depth=2
	global_load_b64 v[4:5], v[20:21], off offset:1792
	s_wait_alu 0xfffe
	s_or_b32 exec_lo, exec_lo, s44
	s_and_saveexec_b32 s22, s21
	s_cbranch_execz .LBB1641_458
.LBB1641_492:                           ;   in Loop: Header=BB1641_394 Depth=2
	ds_load_u8 v2, v1 offset:1024
	s_wait_dscnt 0x0
	v_lshrrev_b32_e32 v2, s45, v2
	s_delay_alu instid0(VALU_DEP_1)
	v_and_b32_e32 v93, s31, v2
	s_wait_alu 0xfffe
	s_or_b32 exec_lo, exec_lo, s22
	s_and_saveexec_b32 s22, s20
	s_cbranch_execz .LBB1641_459
.LBB1641_493:                           ;   in Loop: Header=BB1641_394 Depth=2
	ds_load_u8 v2, v1 offset:1280
	s_wait_dscnt 0x0
	v_lshrrev_b32_e32 v2, s45, v2
	s_delay_alu instid0(VALU_DEP_1)
	v_and_b32_e32 v92, s31, v2
	s_wait_alu 0xfffe
	s_or_b32 exec_lo, exec_lo, s22
	s_and_saveexec_b32 s22, s19
	s_cbranch_execz .LBB1641_460
.LBB1641_494:                           ;   in Loop: Header=BB1641_394 Depth=2
	ds_load_u8 v2, v1 offset:1536
	s_wait_dscnt 0x0
	v_lshrrev_b32_e32 v2, s45, v2
	s_delay_alu instid0(VALU_DEP_1)
	v_and_b32_e32 v91, s31, v2
	s_wait_alu 0xfffe
	s_or_b32 exec_lo, exec_lo, s22
	s_and_saveexec_b32 s22, s18
	s_cbranch_execz .LBB1641_461
.LBB1641_495:                           ;   in Loop: Header=BB1641_394 Depth=2
	ds_load_u8 v2, v1 offset:1792
	s_wait_dscnt 0x0
	v_lshrrev_b32_e32 v2, s45, v2
	s_delay_alu instid0(VALU_DEP_1)
	v_and_b32_e32 v90, s31, v2
	s_wait_alu 0xfffe
	s_or_b32 exec_lo, exec_lo, s22
	s_and_saveexec_b32 s22, s17
	s_cbranch_execz .LBB1641_462
.LBB1641_496:                           ;   in Loop: Header=BB1641_394 Depth=2
	ds_load_u8 v2, v1 offset:2048
	s_wait_dscnt 0x0
	v_lshrrev_b32_e32 v2, s45, v2
	s_delay_alu instid0(VALU_DEP_1)
	v_and_b32_e32 v89, s31, v2
	s_wait_alu 0xfffe
	s_or_b32 exec_lo, exec_lo, s22
	s_and_saveexec_b32 s22, s16
	s_cbranch_execz .LBB1641_463
.LBB1641_497:                           ;   in Loop: Header=BB1641_394 Depth=2
	ds_load_u8 v2, v1 offset:2304
	s_wait_dscnt 0x0
	v_lshrrev_b32_e32 v2, s45, v2
	s_delay_alu instid0(VALU_DEP_1)
	v_and_b32_e32 v88, s31, v2
	s_wait_alu 0xfffe
	s_or_b32 exec_lo, exec_lo, s22
	s_and_saveexec_b32 s22, s15
	s_cbranch_execz .LBB1641_464
.LBB1641_498:                           ;   in Loop: Header=BB1641_394 Depth=2
	ds_load_u8 v2, v1 offset:2560
	s_wait_dscnt 0x0
	v_lshrrev_b32_e32 v2, s45, v2
	s_delay_alu instid0(VALU_DEP_1)
	v_and_b32_e32 v87, s31, v2
	s_wait_alu 0xfffe
	s_or_b32 exec_lo, exec_lo, s22
	s_and_saveexec_b32 s22, vcc_lo
	s_cbranch_execnz .LBB1641_465
	s_branch .LBB1641_466
.LBB1641_499:                           ;   in Loop: Header=BB1641_394 Depth=2
	v_lshlrev_b32_e32 v2, 2, v93
	v_add_nc_u32_e32 v20, v1, v47
	ds_load_b32 v2, v2
	ds_load_b64 v[20:21], v20 offset:1024
	s_wait_dscnt 0x1
	v_add_nc_u32_e32 v2, v2, v1
	s_delay_alu instid0(VALU_DEP_1) | instskip(NEXT) | instid1(VALU_DEP_1)
	v_lshlrev_b64_e32 v[23:24], 3, v[2:3]
	v_add_co_u32 v23, s21, s24, v23
	s_wait_alu 0xf1ff
	s_delay_alu instid0(VALU_DEP_2)
	v_add_co_ci_u32_e64 v24, null, s25, v24, s21
	s_wait_dscnt 0x0
	global_store_b64 v[23:24], v[20:21], off
	s_wait_alu 0xfffe
	s_or_b32 exec_lo, exec_lo, s22
	s_and_saveexec_b32 s21, s20
	s_cbranch_execz .LBB1641_468
.LBB1641_500:                           ;   in Loop: Header=BB1641_394 Depth=2
	v_lshlrev_b32_e32 v2, 2, v92
	v_add_nc_u32_e32 v20, v1, v47
	ds_load_b32 v2, v2
	ds_load_b64 v[20:21], v20 offset:3072
	s_wait_dscnt 0x1
	v_add_nc_u32_e32 v2, v2, v29
	s_delay_alu instid0(VALU_DEP_1) | instskip(NEXT) | instid1(VALU_DEP_1)
	v_lshlrev_b64_e32 v[23:24], 3, v[2:3]
	v_add_co_u32 v23, s20, s24, v23
	s_wait_alu 0xf1ff
	s_delay_alu instid0(VALU_DEP_2)
	v_add_co_ci_u32_e64 v24, null, s25, v24, s20
	s_wait_dscnt 0x0
	global_store_b64 v[23:24], v[20:21], off
	s_wait_alu 0xfffe
	s_or_b32 exec_lo, exec_lo, s21
	s_and_saveexec_b32 s20, s19
	s_cbranch_execz .LBB1641_469
.LBB1641_501:                           ;   in Loop: Header=BB1641_394 Depth=2
	v_lshlrev_b32_e32 v2, 2, v91
	v_add_nc_u32_e32 v20, v1, v47
	ds_load_b32 v2, v2
	ds_load_b64 v[20:21], v20 offset:5120
	s_wait_dscnt 0x1
	v_add_nc_u32_e32 v2, v2, v30
	s_delay_alu instid0(VALU_DEP_1) | instskip(NEXT) | instid1(VALU_DEP_1)
	v_lshlrev_b64_e32 v[23:24], 3, v[2:3]
	v_add_co_u32 v23, s19, s24, v23
	s_wait_alu 0xf1ff
	s_delay_alu instid0(VALU_DEP_2)
	v_add_co_ci_u32_e64 v24, null, s25, v24, s19
	s_wait_dscnt 0x0
	global_store_b64 v[23:24], v[20:21], off
	s_wait_alu 0xfffe
	s_or_b32 exec_lo, exec_lo, s20
	s_and_saveexec_b32 s19, s18
	s_cbranch_execz .LBB1641_470
.LBB1641_502:                           ;   in Loop: Header=BB1641_394 Depth=2
	v_lshlrev_b32_e32 v2, 2, v90
	v_add_nc_u32_e32 v20, v1, v47
	ds_load_b32 v2, v2
	ds_load_b64 v[20:21], v20 offset:7168
	s_wait_dscnt 0x1
	v_add_nc_u32_e32 v2, v2, v31
	s_delay_alu instid0(VALU_DEP_1) | instskip(NEXT) | instid1(VALU_DEP_1)
	v_lshlrev_b64_e32 v[23:24], 3, v[2:3]
	v_add_co_u32 v23, s18, s24, v23
	s_wait_alu 0xf1ff
	s_delay_alu instid0(VALU_DEP_2)
	v_add_co_ci_u32_e64 v24, null, s25, v24, s18
	s_wait_dscnt 0x0
	global_store_b64 v[23:24], v[20:21], off
	s_wait_alu 0xfffe
	s_or_b32 exec_lo, exec_lo, s19
	s_and_saveexec_b32 s18, s17
	s_cbranch_execz .LBB1641_471
.LBB1641_503:                           ;   in Loop: Header=BB1641_394 Depth=2
	v_lshlrev_b32_e32 v2, 2, v89
	v_add_nc_u32_e32 v20, v1, v47
	ds_load_b32 v2, v2
	ds_load_b64 v[20:21], v20 offset:9216
	s_wait_dscnt 0x1
	v_add_nc_u32_e32 v2, v2, v34
	s_delay_alu instid0(VALU_DEP_1) | instskip(NEXT) | instid1(VALU_DEP_1)
	v_lshlrev_b64_e32 v[23:24], 3, v[2:3]
	v_add_co_u32 v23, s17, s24, v23
	s_wait_alu 0xf1ff
	s_delay_alu instid0(VALU_DEP_2)
	v_add_co_ci_u32_e64 v24, null, s25, v24, s17
	s_wait_dscnt 0x0
	global_store_b64 v[23:24], v[20:21], off
	s_wait_alu 0xfffe
	s_or_b32 exec_lo, exec_lo, s18
	s_and_saveexec_b32 s17, s16
	s_cbranch_execz .LBB1641_472
.LBB1641_504:                           ;   in Loop: Header=BB1641_394 Depth=2
	v_lshlrev_b32_e32 v2, 2, v88
	v_add_nc_u32_e32 v20, v1, v47
	ds_load_b32 v2, v2
	ds_load_b64 v[20:21], v20 offset:11264
	s_wait_dscnt 0x1
	v_add_nc_u32_e32 v2, v2, v35
	s_delay_alu instid0(VALU_DEP_1) | instskip(NEXT) | instid1(VALU_DEP_1)
	v_lshlrev_b64_e32 v[23:24], 3, v[2:3]
	v_add_co_u32 v23, s16, s24, v23
	s_wait_alu 0xf1ff
	s_delay_alu instid0(VALU_DEP_2)
	v_add_co_ci_u32_e64 v24, null, s25, v24, s16
	s_wait_dscnt 0x0
	global_store_b64 v[23:24], v[20:21], off
	s_wait_alu 0xfffe
	s_or_b32 exec_lo, exec_lo, s17
	s_and_saveexec_b32 s16, s15
	s_cbranch_execz .LBB1641_473
.LBB1641_505:                           ;   in Loop: Header=BB1641_394 Depth=2
	v_lshlrev_b32_e32 v2, 2, v87
	v_add_nc_u32_e32 v20, v1, v47
	ds_load_b32 v2, v2
	ds_load_b64 v[20:21], v20 offset:13312
	s_wait_dscnt 0x1
	v_add_nc_u32_e32 v2, v2, v36
	s_delay_alu instid0(VALU_DEP_1) | instskip(NEXT) | instid1(VALU_DEP_1)
	v_lshlrev_b64_e32 v[23:24], 3, v[2:3]
	v_add_co_u32 v23, s15, s24, v23
	s_wait_alu 0xf1ff
	s_delay_alu instid0(VALU_DEP_2)
	v_add_co_ci_u32_e64 v24, null, s25, v24, s15
	s_wait_dscnt 0x0
	global_store_b64 v[23:24], v[20:21], off
	s_wait_alu 0xfffe
	s_or_b32 exec_lo, exec_lo, s16
	s_and_saveexec_b32 s15, vcc_lo
	s_cbranch_execnz .LBB1641_474
	s_branch .LBB1641_475
.LBB1641_506:                           ;   in Loop: Header=BB1641_12 Depth=1
	s_wait_loadcnt_dscnt 0x0
	s_barrier_signal -1
	s_mov_b32 s0, 0
	s_barrier_wait -1
.LBB1641_507:                           ;   in Loop: Header=BB1641_12 Depth=1
	s_wait_alu 0xfffe
	s_and_b32 vcc_lo, exec_lo, s0
	s_wait_alu 0xfffe
	s_cbranch_vccz .LBB1641_11
; %bb.508:                              ;   in Loop: Header=BB1641_12 Depth=1
	v_dual_mov_b32 v7, 0 :: v_dual_mov_b32 v10, 0
	v_dual_mov_b32 v9, 0 :: v_dual_mov_b32 v8, 0
	v_dual_mov_b32 v6, 0 :: v_dual_mov_b32 v5, 0
	v_mov_b32_e32 v4, 0
	v_mov_b32_e32 v2, 0
	s_mov_b32 s9, s47
	s_mov_b32 s22, s33
	s_barrier_signal -1
	s_barrier_wait -1
	global_inv scope:SCOPE_SE
	s_branch .LBB1641_510
.LBB1641_509:                           ;   in Loop: Header=BB1641_510 Depth=2
	s_wait_alu 0xfffe
	s_or_b32 exec_lo, exec_lo, s0
	s_addk_co_i32 s9, 0xf800
	s_cmp_ge_u32 s10, s34
	s_mov_b32 s22, s10
	s_cbranch_scc1 .LBB1641_546
.LBB1641_510:                           ;   Parent Loop BB1641_12 Depth=1
                                        ; =>  This Inner Loop Header: Depth=2
	s_wait_alu 0xfffe
	s_add_co_i32 s10, s22, 0x800
	s_mov_b32 s0, -1
	s_wait_alu 0xfffe
	s_cmp_gt_u32 s10, s34
                                        ; implicit-def: $vgpr11
                                        ; implicit-def: $vgpr12
                                        ; implicit-def: $vgpr13
                                        ; implicit-def: $vgpr14
                                        ; implicit-def: $vgpr15
                                        ; implicit-def: $vgpr16
                                        ; implicit-def: $vgpr17
                                        ; implicit-def: $vgpr18
	s_cbranch_scc1 .LBB1641_512
; %bb.511:                              ;   in Loop: Header=BB1641_510 Depth=2
	v_add_co_u32 v19, vcc_lo, v54, s22
	s_wait_alu 0xfffd
	v_add_co_ci_u32_e64 v20, null, 0, v55, vcc_lo
	s_mov_b32 s0, 0
	s_clause 0x7
	global_load_u8 v18, v[19:20], off offset:1792
	global_load_u8 v17, v[19:20], off offset:1536
	;; [unrolled: 1-line block ×7, first 2 shown]
	global_load_u8 v11, v[19:20], off
.LBB1641_512:                           ;   in Loop: Header=BB1641_510 Depth=2
	s_wait_alu 0xfffe
	s_and_not1_b32 vcc_lo, exec_lo, s0
	s_movk_i32 s0, 0x800
	s_wait_alu 0xfffe
	s_cbranch_vccnz .LBB1641_523
; %bb.513:                              ;   in Loop: Header=BB1641_510 Depth=2
	s_add_nc_u64 s[0:1], s[36:37], s[22:23]
	s_mov_b32 s11, exec_lo
	v_cmpx_gt_u32_e64 s9, v1
	s_cbranch_execnz .LBB1641_539
; %bb.514:                              ;   in Loop: Header=BB1641_510 Depth=2
	s_wait_alu 0xfffe
	s_or_b32 exec_lo, exec_lo, s11
	s_delay_alu instid0(SALU_CYCLE_1)
	s_mov_b32 s11, exec_lo
	v_cmpx_gt_u32_e64 s9, v29
	s_cbranch_execnz .LBB1641_540
.LBB1641_515:                           ;   in Loop: Header=BB1641_510 Depth=2
	s_wait_alu 0xfffe
	s_or_b32 exec_lo, exec_lo, s11
	s_delay_alu instid0(SALU_CYCLE_1)
	s_mov_b32 s11, exec_lo
	v_cmpx_gt_u32_e64 s9, v30
	s_cbranch_execnz .LBB1641_541
.LBB1641_516:                           ;   in Loop: Header=BB1641_510 Depth=2
	s_wait_alu 0xfffe
	s_or_b32 exec_lo, exec_lo, s11
	s_delay_alu instid0(SALU_CYCLE_1)
	s_mov_b32 s11, exec_lo
	v_cmpx_gt_u32_e64 s9, v31
	s_cbranch_execnz .LBB1641_542
.LBB1641_517:                           ;   in Loop: Header=BB1641_510 Depth=2
	s_wait_alu 0xfffe
	s_or_b32 exec_lo, exec_lo, s11
	s_delay_alu instid0(SALU_CYCLE_1)
	s_mov_b32 s11, exec_lo
	v_cmpx_gt_u32_e64 s9, v34
	s_cbranch_execnz .LBB1641_543
.LBB1641_518:                           ;   in Loop: Header=BB1641_510 Depth=2
	s_wait_alu 0xfffe
	s_or_b32 exec_lo, exec_lo, s11
	s_delay_alu instid0(SALU_CYCLE_1)
	s_mov_b32 s11, exec_lo
	v_cmpx_gt_u32_e64 s9, v35
	s_cbranch_execnz .LBB1641_544
.LBB1641_519:                           ;   in Loop: Header=BB1641_510 Depth=2
	s_wait_alu 0xfffe
	s_or_b32 exec_lo, exec_lo, s11
	s_delay_alu instid0(SALU_CYCLE_1)
	s_mov_b32 s11, exec_lo
	v_cmpx_gt_u32_e64 s9, v36
	s_cbranch_execnz .LBB1641_545
.LBB1641_520:                           ;   in Loop: Header=BB1641_510 Depth=2
	s_wait_alu 0xfffe
	s_or_b32 exec_lo, exec_lo, s11
	s_delay_alu instid0(SALU_CYCLE_1)
	s_mov_b32 s11, exec_lo
	v_cmpx_gt_u32_e64 s9, v37
	s_cbranch_execz .LBB1641_522
.LBB1641_521:                           ;   in Loop: Header=BB1641_510 Depth=2
	s_wait_loadcnt 0x0
	v_add_co_u32 v11, s0, s0, v1
	s_wait_alu 0xf1ff
	v_add_co_ci_u32_e64 v12, null, s1, 0, s0
	global_load_u8 v2, v[11:12], off offset:1792
.LBB1641_522:                           ;   in Loop: Header=BB1641_510 Depth=2
	s_wait_alu 0xfffe
	s_or_b32 exec_lo, exec_lo, s11
	s_wait_loadcnt 0x0
	v_dual_mov_b32 v11, v7 :: v_dual_mov_b32 v12, v10
	v_dual_mov_b32 v13, v9 :: v_dual_mov_b32 v14, v8
	;; [unrolled: 1-line block ×4, first 2 shown]
	s_mov_b32 s0, s9
.LBB1641_523:                           ;   in Loop: Header=BB1641_510 Depth=2
	s_wait_loadcnt 0x5
	s_delay_alu instid0(VALU_DEP_1)
	v_dual_mov_b32 v2, v18 :: v_dual_mov_b32 v5, v16
	s_wait_loadcnt 0x2
	v_dual_mov_b32 v4, v17 :: v_dual_mov_b32 v9, v13
	s_wait_loadcnt 0x0
	v_dual_mov_b32 v6, v15 :: v_dual_mov_b32 v7, v11
	v_mov_b32_e32 v8, v14
	v_mov_b32_e32 v10, v12
	s_mov_b32 s1, exec_lo
	s_wait_alu 0xfffe
	v_cmpx_gt_u32_e64 s0, v1
	s_cbranch_execnz .LBB1641_531
; %bb.524:                              ;   in Loop: Header=BB1641_510 Depth=2
	s_or_b32 exec_lo, exec_lo, s1
	s_delay_alu instid0(SALU_CYCLE_1)
	s_mov_b32 s1, exec_lo
	v_cmpx_gt_u32_e64 s0, v29
	s_cbranch_execnz .LBB1641_532
.LBB1641_525:                           ;   in Loop: Header=BB1641_510 Depth=2
	s_wait_alu 0xfffe
	s_or_b32 exec_lo, exec_lo, s1
	s_delay_alu instid0(SALU_CYCLE_1)
	s_mov_b32 s1, exec_lo
	v_cmpx_gt_u32_e64 s0, v30
	s_cbranch_execnz .LBB1641_533
.LBB1641_526:                           ;   in Loop: Header=BB1641_510 Depth=2
	s_wait_alu 0xfffe
	s_or_b32 exec_lo, exec_lo, s1
	s_delay_alu instid0(SALU_CYCLE_1)
	s_mov_b32 s1, exec_lo
	v_cmpx_gt_u32_e64 s0, v31
	s_cbranch_execnz .LBB1641_534
.LBB1641_527:                           ;   in Loop: Header=BB1641_510 Depth=2
	s_wait_alu 0xfffe
	s_or_b32 exec_lo, exec_lo, s1
	s_delay_alu instid0(SALU_CYCLE_1)
	s_mov_b32 s1, exec_lo
	v_cmpx_gt_u32_e64 s0, v34
	s_cbranch_execnz .LBB1641_535
.LBB1641_528:                           ;   in Loop: Header=BB1641_510 Depth=2
	s_wait_alu 0xfffe
	s_or_b32 exec_lo, exec_lo, s1
	s_delay_alu instid0(SALU_CYCLE_1)
	s_mov_b32 s1, exec_lo
	v_cmpx_gt_u32_e64 s0, v35
	s_cbranch_execnz .LBB1641_536
.LBB1641_529:                           ;   in Loop: Header=BB1641_510 Depth=2
	s_wait_alu 0xfffe
	s_or_b32 exec_lo, exec_lo, s1
	s_delay_alu instid0(SALU_CYCLE_1)
	s_mov_b32 s1, exec_lo
	v_cmpx_gt_u32_e64 s0, v36
	s_cbranch_execnz .LBB1641_537
.LBB1641_530:                           ;   in Loop: Header=BB1641_510 Depth=2
	s_wait_alu 0xfffe
	s_or_b32 exec_lo, exec_lo, s1
	v_cmp_gt_u32_e32 vcc_lo, s0, v37
	s_and_saveexec_b32 s0, vcc_lo
	s_cbranch_execz .LBB1641_509
	s_branch .LBB1641_538
.LBB1641_531:                           ;   in Loop: Header=BB1641_510 Depth=2
	v_and_b32_e32 v11, 1, v7
	s_delay_alu instid0(VALU_DEP_1) | instskip(NEXT) | instid1(VALU_DEP_1)
	v_lshrrev_b32_e32 v11, s45, v11
	v_and_b32_e32 v11, s31, v11
	s_delay_alu instid0(VALU_DEP_1) | instskip(SKIP_2) | instid1(SALU_CYCLE_1)
	v_lshl_or_b32 v11, v11, 4, v39
	ds_add_u32 v11, v61
	s_or_b32 exec_lo, exec_lo, s1
	s_mov_b32 s1, exec_lo
	v_cmpx_gt_u32_e64 s0, v29
	s_cbranch_execz .LBB1641_525
.LBB1641_532:                           ;   in Loop: Header=BB1641_510 Depth=2
	v_and_b32_e32 v11, 1, v10
	s_delay_alu instid0(VALU_DEP_1) | instskip(NEXT) | instid1(VALU_DEP_1)
	v_lshrrev_b32_e32 v11, s45, v11
	v_and_b32_e32 v11, s31, v11
	s_delay_alu instid0(VALU_DEP_1) | instskip(SKIP_3) | instid1(SALU_CYCLE_1)
	v_lshl_or_b32 v11, v11, 4, v39
	ds_add_u32 v11, v61
	s_wait_alu 0xfffe
	s_or_b32 exec_lo, exec_lo, s1
	s_mov_b32 s1, exec_lo
	v_cmpx_gt_u32_e64 s0, v30
	s_cbranch_execz .LBB1641_526
.LBB1641_533:                           ;   in Loop: Header=BB1641_510 Depth=2
	v_and_b32_e32 v11, 1, v9
	s_delay_alu instid0(VALU_DEP_1) | instskip(NEXT) | instid1(VALU_DEP_1)
	v_lshrrev_b32_e32 v11, s45, v11
	v_and_b32_e32 v11, s31, v11
	s_delay_alu instid0(VALU_DEP_1) | instskip(SKIP_3) | instid1(SALU_CYCLE_1)
	v_lshl_or_b32 v11, v11, 4, v39
	ds_add_u32 v11, v61
	s_wait_alu 0xfffe
	s_or_b32 exec_lo, exec_lo, s1
	s_mov_b32 s1, exec_lo
	v_cmpx_gt_u32_e64 s0, v31
	s_cbranch_execz .LBB1641_527
.LBB1641_534:                           ;   in Loop: Header=BB1641_510 Depth=2
	v_and_b32_e32 v11, 1, v8
	s_delay_alu instid0(VALU_DEP_1) | instskip(NEXT) | instid1(VALU_DEP_1)
	v_lshrrev_b32_e32 v11, s45, v11
	v_and_b32_e32 v11, s31, v11
	s_delay_alu instid0(VALU_DEP_1) | instskip(SKIP_3) | instid1(SALU_CYCLE_1)
	v_lshl_or_b32 v11, v11, 4, v39
	ds_add_u32 v11, v61
	s_wait_alu 0xfffe
	s_or_b32 exec_lo, exec_lo, s1
	s_mov_b32 s1, exec_lo
	v_cmpx_gt_u32_e64 s0, v34
	s_cbranch_execz .LBB1641_528
.LBB1641_535:                           ;   in Loop: Header=BB1641_510 Depth=2
	v_and_b32_e32 v11, 1, v6
	s_delay_alu instid0(VALU_DEP_1) | instskip(NEXT) | instid1(VALU_DEP_1)
	v_lshrrev_b32_e32 v11, s45, v11
	v_and_b32_e32 v11, s31, v11
	s_delay_alu instid0(VALU_DEP_1) | instskip(SKIP_3) | instid1(SALU_CYCLE_1)
	v_lshl_or_b32 v11, v11, 4, v39
	ds_add_u32 v11, v61
	s_wait_alu 0xfffe
	s_or_b32 exec_lo, exec_lo, s1
	s_mov_b32 s1, exec_lo
	v_cmpx_gt_u32_e64 s0, v35
	s_cbranch_execz .LBB1641_529
.LBB1641_536:                           ;   in Loop: Header=BB1641_510 Depth=2
	v_and_b32_e32 v11, 1, v5
	s_delay_alu instid0(VALU_DEP_1) | instskip(NEXT) | instid1(VALU_DEP_1)
	v_lshrrev_b32_e32 v11, s45, v11
	v_and_b32_e32 v11, s31, v11
	s_delay_alu instid0(VALU_DEP_1) | instskip(SKIP_3) | instid1(SALU_CYCLE_1)
	v_lshl_or_b32 v11, v11, 4, v39
	ds_add_u32 v11, v61
	s_wait_alu 0xfffe
	s_or_b32 exec_lo, exec_lo, s1
	s_mov_b32 s1, exec_lo
	v_cmpx_gt_u32_e64 s0, v36
	s_cbranch_execz .LBB1641_530
.LBB1641_537:                           ;   in Loop: Header=BB1641_510 Depth=2
	v_and_b32_e32 v11, 1, v4
	s_delay_alu instid0(VALU_DEP_1) | instskip(NEXT) | instid1(VALU_DEP_1)
	v_lshrrev_b32_e32 v11, s45, v11
	v_and_b32_e32 v11, s31, v11
	s_delay_alu instid0(VALU_DEP_1)
	v_lshl_or_b32 v11, v11, 4, v39
	ds_add_u32 v11, v61
	s_wait_alu 0xfffe
	s_or_b32 exec_lo, exec_lo, s1
	v_cmp_gt_u32_e32 vcc_lo, s0, v37
	s_and_saveexec_b32 s0, vcc_lo
	s_cbranch_execz .LBB1641_509
.LBB1641_538:                           ;   in Loop: Header=BB1641_510 Depth=2
	v_and_b32_e32 v11, 1, v2
	s_delay_alu instid0(VALU_DEP_1) | instskip(NEXT) | instid1(VALU_DEP_1)
	v_lshrrev_b32_e32 v11, s45, v11
	v_and_b32_e32 v11, s31, v11
	s_delay_alu instid0(VALU_DEP_1)
	v_lshl_or_b32 v11, v11, 4, v39
	ds_add_u32 v11, v61
	s_branch .LBB1641_509
.LBB1641_539:                           ;   in Loop: Header=BB1641_510 Depth=2
	s_wait_loadcnt 0x0
	s_wait_alu 0xfffe
	v_add_co_u32 v11, s12, s0, v1
	s_wait_alu 0xf1ff
	v_add_co_ci_u32_e64 v12, null, s1, 0, s12
	global_load_u8 v7, v[11:12], off
	s_or_b32 exec_lo, exec_lo, s11
	s_delay_alu instid0(SALU_CYCLE_1)
	s_mov_b32 s11, exec_lo
	v_cmpx_gt_u32_e64 s9, v29
	s_cbranch_execz .LBB1641_515
.LBB1641_540:                           ;   in Loop: Header=BB1641_510 Depth=2
	v_add_co_u32 v10, s12, s0, v1
	s_wait_loadcnt 0x0
	s_wait_alu 0xf1ff
	v_add_co_ci_u32_e64 v11, null, s1, 0, s12
	global_load_u8 v10, v[10:11], off offset:256
	s_wait_alu 0xfffe
	s_or_b32 exec_lo, exec_lo, s11
	s_delay_alu instid0(SALU_CYCLE_1)
	s_mov_b32 s11, exec_lo
	v_cmpx_gt_u32_e64 s9, v30
	s_cbranch_execz .LBB1641_516
.LBB1641_541:                           ;   in Loop: Header=BB1641_510 Depth=2
	s_wait_loadcnt 0x0
	v_add_co_u32 v11, s12, s0, v1
	s_wait_alu 0xf1ff
	v_add_co_ci_u32_e64 v12, null, s1, 0, s12
	global_load_u8 v9, v[11:12], off offset:512
	s_wait_alu 0xfffe
	s_or_b32 exec_lo, exec_lo, s11
	s_delay_alu instid0(SALU_CYCLE_1)
	s_mov_b32 s11, exec_lo
	v_cmpx_gt_u32_e64 s9, v31
	s_cbranch_execz .LBB1641_517
.LBB1641_542:                           ;   in Loop: Header=BB1641_510 Depth=2
	s_wait_loadcnt 0x0
	v_add_co_u32 v11, s12, s0, v1
	s_wait_alu 0xf1ff
	v_add_co_ci_u32_e64 v12, null, s1, 0, s12
	global_load_u8 v8, v[11:12], off offset:768
	s_wait_alu 0xfffe
	s_or_b32 exec_lo, exec_lo, s11
	s_delay_alu instid0(SALU_CYCLE_1)
	s_mov_b32 s11, exec_lo
	v_cmpx_gt_u32_e64 s9, v34
	s_cbranch_execz .LBB1641_518
.LBB1641_543:                           ;   in Loop: Header=BB1641_510 Depth=2
	s_wait_loadcnt 0x0
	v_add_co_u32 v11, s12, s0, v1
	s_wait_alu 0xf1ff
	v_add_co_ci_u32_e64 v12, null, s1, 0, s12
	global_load_u8 v6, v[11:12], off offset:1024
	s_wait_alu 0xfffe
	s_or_b32 exec_lo, exec_lo, s11
	s_delay_alu instid0(SALU_CYCLE_1)
	s_mov_b32 s11, exec_lo
	v_cmpx_gt_u32_e64 s9, v35
	s_cbranch_execz .LBB1641_519
.LBB1641_544:                           ;   in Loop: Header=BB1641_510 Depth=2
	s_wait_loadcnt 0x0
	v_add_co_u32 v11, s12, s0, v1
	s_wait_alu 0xf1ff
	v_add_co_ci_u32_e64 v12, null, s1, 0, s12
	global_load_u8 v5, v[11:12], off offset:1280
	s_wait_alu 0xfffe
	s_or_b32 exec_lo, exec_lo, s11
	s_delay_alu instid0(SALU_CYCLE_1)
	s_mov_b32 s11, exec_lo
	v_cmpx_gt_u32_e64 s9, v36
	s_cbranch_execz .LBB1641_520
.LBB1641_545:                           ;   in Loop: Header=BB1641_510 Depth=2
	s_wait_loadcnt 0x0
	v_add_co_u32 v11, s12, s0, v1
	s_wait_alu 0xf1ff
	v_add_co_ci_u32_e64 v12, null, s1, 0, s12
	global_load_u8 v4, v[11:12], off offset:1536
	s_wait_alu 0xfffe
	s_or_b32 exec_lo, exec_lo, s11
	s_delay_alu instid0(SALU_CYCLE_1)
	s_mov_b32 s11, exec_lo
	v_cmpx_gt_u32_e64 s9, v37
	s_cbranch_execnz .LBB1641_521
	s_branch .LBB1641_522
.LBB1641_546:                           ;   in Loop: Header=BB1641_12 Depth=1
	v_mov_b32_e32 v2, 0
	s_wait_dscnt 0x0
	s_barrier_signal -1
	s_barrier_wait -1
	global_inv scope:SCOPE_SE
	s_and_saveexec_b32 s0, s2
	s_cbranch_execz .LBB1641_548
; %bb.547:                              ;   in Loop: Header=BB1641_12 Depth=1
	ds_load_2addr_b64 v[4:7], v40 offset1:1
	s_wait_dscnt 0x0
	v_add_nc_u32_e32 v2, v5, v4
	s_delay_alu instid0(VALU_DEP_1)
	v_add3_u32 v2, v2, v6, v7
.LBB1641_548:                           ;   in Loop: Header=BB1641_12 Depth=1
	s_wait_alu 0xfffe
	s_or_b32 exec_lo, exec_lo, s0
	s_delay_alu instid0(VALU_DEP_1)
	v_mov_b32_dpp v4, v2 row_shr:1 row_mask:0xf bank_mask:0xf
	v_cmp_eq_u32_e64 s0, 0, v62
	v_cmp_lt_u32_e64 s1, 1, v62
	v_cmp_lt_u32_e64 s9, 3, v62
	;; [unrolled: 1-line block ×3, first 2 shown]
	v_cmp_eq_u32_e64 s11, 0, v64
	s_wait_alu 0xf1ff
	v_cndmask_b32_e64 v4, v4, 0, s0
	s_delay_alu instid0(VALU_DEP_1) | instskip(NEXT) | instid1(VALU_DEP_1)
	v_add_nc_u32_e32 v2, v4, v2
	v_mov_b32_dpp v4, v2 row_shr:2 row_mask:0xf bank_mask:0xf
	s_delay_alu instid0(VALU_DEP_1) | instskip(NEXT) | instid1(VALU_DEP_1)
	v_cndmask_b32_e64 v4, 0, v4, s1
	v_add_nc_u32_e32 v2, v2, v4
	s_delay_alu instid0(VALU_DEP_1) | instskip(NEXT) | instid1(VALU_DEP_1)
	v_mov_b32_dpp v4, v2 row_shr:4 row_mask:0xf bank_mask:0xf
	v_cndmask_b32_e64 v4, 0, v4, s9
	s_delay_alu instid0(VALU_DEP_1) | instskip(NEXT) | instid1(VALU_DEP_1)
	v_add_nc_u32_e32 v2, v2, v4
	v_mov_b32_dpp v4, v2 row_shr:8 row_mask:0xf bank_mask:0xf
	s_delay_alu instid0(VALU_DEP_1) | instskip(NEXT) | instid1(VALU_DEP_1)
	v_cndmask_b32_e64 v4, 0, v4, s10
	v_add_nc_u32_e32 v2, v2, v4
	ds_swizzle_b32 v4, v2 offset:swizzle(BROADCAST,32,15)
	s_wait_dscnt 0x0
	v_and_b32_e32 v4, v63, v4
	s_delay_alu instid0(VALU_DEP_1)
	v_add_nc_u32_e32 v2, v2, v4
	s_and_saveexec_b32 s12, s3
; %bb.549:                              ;   in Loop: Header=BB1641_12 Depth=1
	ds_store_b32 v41, v2
; %bb.550:                              ;   in Loop: Header=BB1641_12 Depth=1
	s_wait_alu 0xfffe
	s_or_b32 exec_lo, exec_lo, s12
	s_wait_loadcnt_dscnt 0x0
	s_barrier_signal -1
	s_barrier_wait -1
	global_inv scope:SCOPE_SE
	s_and_saveexec_b32 s12, s4
	s_cbranch_execz .LBB1641_552
; %bb.551:                              ;   in Loop: Header=BB1641_12 Depth=1
	ds_load_b32 v4, v42
	v_cmp_ne_u32_e32 vcc_lo, 0, v65
	s_wait_dscnt 0x0
	v_mov_b32_dpp v5, v4 row_shr:1 row_mask:0xf bank_mask:0xf
	s_wait_alu 0xfffd
	s_delay_alu instid0(VALU_DEP_1) | instskip(SKIP_1) | instid1(VALU_DEP_2)
	v_cndmask_b32_e32 v5, 0, v5, vcc_lo
	v_cmp_lt_u32_e32 vcc_lo, 1, v65
	v_add_nc_u32_e32 v4, v5, v4
	s_delay_alu instid0(VALU_DEP_1) | instskip(SKIP_1) | instid1(VALU_DEP_1)
	v_mov_b32_dpp v5, v4 row_shr:2 row_mask:0xf bank_mask:0xf
	s_wait_alu 0xfffd
	v_cndmask_b32_e32 v5, 0, v5, vcc_lo
	v_cmp_lt_u32_e32 vcc_lo, 3, v65
	s_delay_alu instid0(VALU_DEP_2) | instskip(NEXT) | instid1(VALU_DEP_1)
	v_add_nc_u32_e32 v4, v4, v5
	v_mov_b32_dpp v5, v4 row_shr:4 row_mask:0xf bank_mask:0xf
	s_wait_alu 0xfffd
	s_delay_alu instid0(VALU_DEP_1) | instskip(NEXT) | instid1(VALU_DEP_1)
	v_cndmask_b32_e32 v5, 0, v5, vcc_lo
	v_add_nc_u32_e32 v4, v4, v5
	ds_store_b32 v42, v4
.LBB1641_552:                           ;   in Loop: Header=BB1641_12 Depth=1
	s_wait_alu 0xfffe
	s_or_b32 exec_lo, exec_lo, s12
	v_mov_b32_e32 v4, 0
	s_wait_loadcnt_dscnt 0x0
	s_barrier_signal -1
	s_barrier_wait -1
	global_inv scope:SCOPE_SE
	s_and_saveexec_b32 s12, s5
; %bb.553:                              ;   in Loop: Header=BB1641_12 Depth=1
	ds_load_b32 v4, v43
; %bb.554:                              ;   in Loop: Header=BB1641_12 Depth=1
	s_wait_alu 0xfffe
	s_or_b32 exec_lo, exec_lo, s12
	v_cmp_gt_i32_e32 vcc_lo, 0, v67
	s_wait_dscnt 0x0
	v_add_nc_u32_e32 v2, v4, v2
	s_wait_loadcnt 0x0
	s_barrier_signal -1
	s_barrier_wait -1
	s_wait_alu 0xfffd
	v_cndmask_b32_e32 v5, v67, v58, vcc_lo
	global_inv scope:SCOPE_SE
	v_lshlrev_b32_e32 v80, 2, v5
	ds_bpermute_b32 v2, v80, v2
	s_and_saveexec_b32 s12, s2
	s_cbranch_execz .LBB1641_556
; %bb.555:                              ;   in Loop: Header=BB1641_12 Depth=1
	s_wait_dscnt 0x0
	v_cndmask_b32_e64 v2, v2, v4, s8
	s_delay_alu instid0(VALU_DEP_1)
	v_add_nc_u32_e32 v2, s33, v2
	ds_store_b32 v28, v2
.LBB1641_556:                           ;   in Loop: Header=BB1641_12 Depth=1
	s_wait_alu 0xfffe
	s_or_b32 exec_lo, exec_lo, s12
	s_load_b64 s[12:13], s[28:29], 0x0
	v_add_co_u32 v81, vcc_lo, v56, v66
	s_wait_alu 0xfffd
	v_add_co_ci_u32_e64 v82, null, 0, v57, vcc_lo
	v_add_co_u32 v83, vcc_lo, v59, v58
	s_wait_alu 0xfffd
	v_add_co_ci_u32_e64 v84, null, 0, v60, vcc_lo
	s_mov_b32 s42, s47
                                        ; implicit-def: $vgpr6_vgpr7
                                        ; implicit-def: $vgpr8_vgpr9
                                        ; implicit-def: $vgpr10_vgpr11
                                        ; implicit-def: $vgpr12_vgpr13
                                        ; implicit-def: $vgpr14_vgpr15
                                        ; implicit-def: $vgpr16_vgpr17
                                        ; implicit-def: $vgpr18_vgpr19
                                        ; implicit-def: $vgpr86
                                        ; implicit-def: $vgpr87
                                        ; implicit-def: $vgpr88
                                        ; implicit-def: $vgpr89
                                        ; implicit-def: $vgpr90
                                        ; implicit-def: $vgpr91
                                        ; implicit-def: $vgpr92
                                        ; implicit-def: $vgpr93
	s_wait_kmcnt 0x0
	s_cmp_lt_u32 ttmp7, s13
	s_cselect_b32 s22, 14, 20
	s_cmp_lt_u32 ttmp9, s12
	s_wait_alu 0xfffe
	s_add_nc_u64 s[14:15], s[28:29], s[22:23]
	s_cselect_b32 s22, 12, 18
	s_load_u16 s14, s[14:15], 0x0
	s_add_nc_u64 s[12:13], s[28:29], s[22:23]
	s_mov_b32 s22, s33
	s_load_u16 s12, s[12:13], 0x0
	v_cmp_lt_u32_e64 s13, 1, v65
	s_wait_dscnt 0x0
	s_wait_kmcnt 0x0
	v_mad_u32_u24 v2, v44, s14, v0
	v_cmp_lt_u32_e64 s14, 3, v65
	s_delay_alu instid0(VALU_DEP_2) | instskip(SKIP_1) | instid1(VALU_DEP_2)
	v_mad_co_u64_u32 v[4:5], null, v2, s12, v[1:2]
	v_cmp_eq_u32_e64 s12, 0, v65
	v_lshrrev_b32_e32 v2, 3, v4
                                        ; implicit-def: $vgpr4_vgpr5
	s_delay_alu instid0(VALU_DEP_1)
	v_and_b32_e32 v85, 0x1ffffffc, v2
	s_branch .LBB1641_558
.LBB1641_557:                           ;   in Loop: Header=BB1641_558 Depth=2
	s_wait_alu 0xfffe
	s_or_b32 exec_lo, exec_lo, s15
	s_addk_co_i32 s42, 0xf800
	s_cmp_lt_u32 s43, s34
	s_mov_b32 s22, s43
	s_cbranch_scc0 .LBB1641_10
.LBB1641_558:                           ;   Parent Loop BB1641_12 Depth=1
                                        ; =>  This Inner Loop Header: Depth=2
	s_wait_alu 0xfffe
	s_add_co_i32 s43, s22, 0x800
	s_wait_alu 0xfffe
	s_cmp_gt_u32 s43, s34
	s_cbranch_scc1 .LBB1641_560
; %bb.559:                              ;   in Loop: Header=BB1641_558 Depth=2
	v_add_co_u32 v20, vcc_lo, v83, s22
	s_wait_alu 0xfffd
	v_add_co_ci_u32_e64 v21, null, 0, v84, vcc_lo
	s_mov_b32 s15, -1
	s_clause 0x6
	global_load_u8 v94, v[20:21], off
	global_load_u8 v95, v[20:21], off offset:32
	global_load_u8 v96, v[20:21], off offset:64
	;; [unrolled: 1-line block ×6, first 2 shown]
	s_movk_i32 s16, 0x800
	s_cbranch_execz .LBB1641_561
	s_branch .LBB1641_576
.LBB1641_560:                           ;   in Loop: Header=BB1641_558 Depth=2
	s_mov_b32 s15, 0
                                        ; implicit-def: $vgpr94
                                        ; implicit-def: $vgpr95
                                        ; implicit-def: $vgpr96
                                        ; implicit-def: $vgpr97
                                        ; implicit-def: $vgpr98
                                        ; implicit-def: $vgpr99
                                        ; implicit-def: $vgpr100
	s_movk_i32 s16, 0x800
.LBB1641_561:                           ;   in Loop: Header=BB1641_558 Depth=2
	v_add_co_u32 v20, vcc_lo, v83, s22
	s_wait_alu 0xfffd
	v_add_co_ci_u32_e64 v21, null, 0, v84, vcc_lo
	s_wait_loadcnt 0x5
	v_dual_mov_b32 v95, 1 :: v_dual_mov_b32 v94, 1
	s_mov_b32 s15, exec_lo
	v_cmpx_gt_u32_e64 s42, v68
	s_cbranch_execz .LBB1641_563
; %bb.562:                              ;   in Loop: Header=BB1641_558 Depth=2
	global_load_u8 v94, v[20:21], off
.LBB1641_563:                           ;   in Loop: Header=BB1641_558 Depth=2
	s_wait_alu 0xfffe
	s_or_b32 exec_lo, exec_lo, s15
	s_delay_alu instid0(SALU_CYCLE_1)
	s_mov_b32 s15, exec_lo
	v_cmpx_gt_u32_e64 s42, v71
	s_cbranch_execz .LBB1641_565
; %bb.564:                              ;   in Loop: Header=BB1641_558 Depth=2
	global_load_u8 v95, v[20:21], off offset:32
.LBB1641_565:                           ;   in Loop: Header=BB1641_558 Depth=2
	s_wait_alu 0xfffe
	s_or_b32 exec_lo, exec_lo, s15
	s_wait_loadcnt 0x3
	v_dual_mov_b32 v97, 1 :: v_dual_mov_b32 v96, 1
	s_mov_b32 s15, exec_lo
	v_cmpx_gt_u32_e64 s42, v72
	s_cbranch_execz .LBB1641_567
; %bb.566:                              ;   in Loop: Header=BB1641_558 Depth=2
	global_load_u8 v96, v[20:21], off offset:64
.LBB1641_567:                           ;   in Loop: Header=BB1641_558 Depth=2
	s_wait_alu 0xfffe
	s_or_b32 exec_lo, exec_lo, s15
	s_delay_alu instid0(SALU_CYCLE_1)
	s_mov_b32 s15, exec_lo
	v_cmpx_gt_u32_e64 s42, v73
	s_cbranch_execz .LBB1641_569
; %bb.568:                              ;   in Loop: Header=BB1641_558 Depth=2
	global_load_u8 v97, v[20:21], off offset:96
.LBB1641_569:                           ;   in Loop: Header=BB1641_558 Depth=2
	s_wait_alu 0xfffe
	s_or_b32 exec_lo, exec_lo, s15
	s_wait_loadcnt 0x1
	v_dual_mov_b32 v99, 1 :: v_dual_mov_b32 v98, 1
	s_mov_b32 s15, exec_lo
	v_cmpx_gt_u32_e64 s42, v74
	s_cbranch_execz .LBB1641_571
; %bb.570:                              ;   in Loop: Header=BB1641_558 Depth=2
	global_load_u8 v98, v[20:21], off offset:128
.LBB1641_571:                           ;   in Loop: Header=BB1641_558 Depth=2
	s_wait_alu 0xfffe
	s_or_b32 exec_lo, exec_lo, s15
	s_delay_alu instid0(SALU_CYCLE_1)
	s_mov_b32 s15, exec_lo
	v_cmpx_gt_u32_e64 s42, v75
	s_cbranch_execz .LBB1641_573
; %bb.572:                              ;   in Loop: Header=BB1641_558 Depth=2
	global_load_u8 v99, v[20:21], off offset:160
.LBB1641_573:                           ;   in Loop: Header=BB1641_558 Depth=2
	s_wait_alu 0xfffe
	s_or_b32 exec_lo, exec_lo, s15
	s_wait_loadcnt 0x0
	v_mov_b32_e32 v100, 1
	s_mov_b32 s15, exec_lo
	v_cmpx_gt_u32_e64 s42, v76
	s_cbranch_execz .LBB1641_575
; %bb.574:                              ;   in Loop: Header=BB1641_558 Depth=2
	global_load_u8 v100, v[20:21], off offset:192
.LBB1641_575:                           ;   in Loop: Header=BB1641_558 Depth=2
	s_wait_alu 0xfffe
	s_or_b32 exec_lo, exec_lo, s15
	v_cmp_gt_u32_e64 s15, s42, v77
	s_sub_co_i32 s16, s34, s22
.LBB1641_576:                           ;   in Loop: Header=BB1641_558 Depth=2
	v_dual_mov_b32 v101, 1 :: v_dual_mov_b32 v2, s42
	s_wait_alu 0xfffe
	s_and_saveexec_b32 s17, s15
	s_cbranch_execz .LBB1641_578
; %bb.577:                              ;   in Loop: Header=BB1641_558 Depth=2
	v_add_co_u32 v20, vcc_lo, v83, s22
	s_wait_alu 0xfffd
	v_add_co_ci_u32_e64 v21, null, s23, v84, vcc_lo
	v_mov_b32_e32 v2, s16
	global_load_u8 v101, v[20:21], off offset:224
.LBB1641_578:                           ;   in Loop: Header=BB1641_558 Depth=2
	s_wait_alu 0xfffe
	s_or_b32 exec_lo, exec_lo, s17
	s_wait_loadcnt 0x6
	v_and_b32_e32 v20, 0xff, v94
	v_add_nc_u32_e32 v103, 0x438, v45
	v_add_nc_u32_e32 v104, 0x420, v45
	;; [unrolled: 1-line block ×4, first 2 shown]
	v_lshrrev_b32_e32 v20, s45, v20
	ds_store_2addr_b32 v103, v3, v3 offset1:1
	ds_store_2addr_b32 v104, v3, v3 offset1:1
	;; [unrolled: 1-line block ×4, first 2 shown]
	ds_store_b32 v45, v3 offset:1088
	s_wait_loadcnt_dscnt 0x0
	s_barrier_signal -1
	v_and_b32_e32 v21, s31, v20
	s_barrier_wait -1
	global_inv scope:SCOPE_SE
	; wave barrier
	v_add_co_u32 v20, s15, v21, -1
	s_wait_alu 0xf1ff
	v_cndmask_b32_e64 v22, 0, 1, s15
	v_mul_u32_u24_e32 v21, 36, v21
	s_delay_alu instid0(VALU_DEP_2) | instskip(NEXT) | instid1(VALU_DEP_2)
	v_cmp_ne_u32_e32 vcc_lo, 0, v22
	v_add_nc_u32_e32 v108, v85, v21
	s_wait_alu 0xfffd
	v_xor_b32_e32 v20, vcc_lo, v20
	s_delay_alu instid0(VALU_DEP_1) | instskip(NEXT) | instid1(VALU_DEP_1)
	v_and_b32_e32 v20, exec_lo, v20
	v_mbcnt_lo_u32_b32 v102, v20, 0
	v_cmp_ne_u32_e64 s15, 0, v20
	s_delay_alu instid0(VALU_DEP_2)
	v_cmp_eq_u32_e32 vcc_lo, 0, v102
	s_and_b32 s16, s15, vcc_lo
	s_wait_alu 0xfffe
	s_and_saveexec_b32 s15, s16
; %bb.579:                              ;   in Loop: Header=BB1641_558 Depth=2
	v_bcnt_u32_b32 v20, v20, 0
	ds_store_b32 v108, v20 offset:1056
; %bb.580:                              ;   in Loop: Header=BB1641_558 Depth=2
	s_wait_alu 0xfffe
	s_or_b32 exec_lo, exec_lo, s15
	v_and_b32_e32 v20, 0xff, v95
	; wave barrier
	s_delay_alu instid0(VALU_DEP_1) | instskip(NEXT) | instid1(VALU_DEP_1)
	v_lshrrev_b32_e32 v20, s45, v20
	v_and_b32_e32 v21, s31, v20
	s_delay_alu instid0(VALU_DEP_1) | instskip(SKIP_2) | instid1(VALU_DEP_1)
	v_add_co_u32 v20, s15, v21, -1
	s_wait_alu 0xf1ff
	v_cndmask_b32_e64 v22, 0, 1, s15
	v_cmp_ne_u32_e32 vcc_lo, 0, v22
	v_mad_u32_u24 v22, v21, 36, v85
	v_mul_u32_u24_e32 v21, 36, v21
	s_wait_alu 0xfffd
	v_xor_b32_e32 v20, vcc_lo, v20
	ds_load_b32 v107, v22 offset:1056
	v_add_nc_u32_e32 v112, v85, v21
	; wave barrier
	v_and_b32_e32 v20, exec_lo, v20
	s_delay_alu instid0(VALU_DEP_1) | instskip(SKIP_1) | instid1(VALU_DEP_2)
	v_mbcnt_lo_u32_b32 v109, v20, 0
	v_cmp_ne_u32_e64 s15, 0, v20
	v_cmp_eq_u32_e32 vcc_lo, 0, v109
	s_and_b32 s16, s15, vcc_lo
	s_wait_alu 0xfffe
	s_and_saveexec_b32 s15, s16
	s_cbranch_execz .LBB1641_582
; %bb.581:                              ;   in Loop: Header=BB1641_558 Depth=2
	s_wait_dscnt 0x0
	v_bcnt_u32_b32 v20, v20, v107
	ds_store_b32 v112, v20 offset:1056
.LBB1641_582:                           ;   in Loop: Header=BB1641_558 Depth=2
	s_wait_alu 0xfffe
	s_or_b32 exec_lo, exec_lo, s15
	v_and_b32_e32 v20, 0xff, v96
	; wave barrier
	s_delay_alu instid0(VALU_DEP_1) | instskip(NEXT) | instid1(VALU_DEP_1)
	v_lshrrev_b32_e32 v20, s45, v20
	v_and_b32_e32 v21, s31, v20
	s_delay_alu instid0(VALU_DEP_1) | instskip(SKIP_2) | instid1(VALU_DEP_1)
	v_add_co_u32 v20, s15, v21, -1
	s_wait_alu 0xf1ff
	v_cndmask_b32_e64 v22, 0, 1, s15
	v_cmp_ne_u32_e32 vcc_lo, 0, v22
	v_mad_u32_u24 v22, v21, 36, v85
	v_mul_u32_u24_e32 v21, 36, v21
	s_wait_alu 0xfffd
	v_xor_b32_e32 v20, vcc_lo, v20
	ds_load_b32 v110, v22 offset:1056
	v_add_nc_u32_e32 v115, v85, v21
	; wave barrier
	v_and_b32_e32 v20, exec_lo, v20
	s_delay_alu instid0(VALU_DEP_1) | instskip(SKIP_1) | instid1(VALU_DEP_2)
	v_mbcnt_lo_u32_b32 v111, v20, 0
	v_cmp_ne_u32_e64 s15, 0, v20
	v_cmp_eq_u32_e32 vcc_lo, 0, v111
	s_and_b32 s16, s15, vcc_lo
	s_wait_alu 0xfffe
	s_and_saveexec_b32 s15, s16
	s_cbranch_execz .LBB1641_584
; %bb.583:                              ;   in Loop: Header=BB1641_558 Depth=2
	s_wait_dscnt 0x0
	v_bcnt_u32_b32 v20, v20, v110
	ds_store_b32 v115, v20 offset:1056
.LBB1641_584:                           ;   in Loop: Header=BB1641_558 Depth=2
	;; [unrolled: 33-line block ×7, first 2 shown]
	s_wait_alu 0xfffe
	s_or_b32 exec_lo, exec_lo, s15
	; wave barrier
	s_wait_loadcnt_dscnt 0x0
	s_barrier_signal -1
	s_barrier_wait -1
	global_inv scope:SCOPE_SE
	ds_load_2addr_b32 v[26:27], v104 offset1:1
	ds_load_2addr_b32 v[24:25], v105 offset1:1
	ds_load_2addr_b32 v[22:23], v106 offset1:1
	ds_load_2addr_b32 v[20:21], v103 offset1:1
	ds_load_b32 v129, v45 offset:1088
	s_wait_dscnt 0x3
	v_add3_u32 v130, v27, v26, v24
	s_wait_dscnt 0x2
	s_delay_alu instid0(VALU_DEP_1) | instskip(SKIP_1) | instid1(VALU_DEP_1)
	v_add3_u32 v130, v130, v25, v22
	s_wait_dscnt 0x1
	v_add3_u32 v130, v130, v23, v20
	s_wait_dscnt 0x0
	s_delay_alu instid0(VALU_DEP_1) | instskip(NEXT) | instid1(VALU_DEP_1)
	v_add3_u32 v129, v130, v21, v129
	v_mov_b32_dpp v130, v129 row_shr:1 row_mask:0xf bank_mask:0xf
	s_delay_alu instid0(VALU_DEP_1) | instskip(NEXT) | instid1(VALU_DEP_1)
	v_cndmask_b32_e64 v130, v130, 0, s0
	v_add_nc_u32_e32 v129, v130, v129
	s_delay_alu instid0(VALU_DEP_1) | instskip(NEXT) | instid1(VALU_DEP_1)
	v_mov_b32_dpp v130, v129 row_shr:2 row_mask:0xf bank_mask:0xf
	v_cndmask_b32_e64 v130, 0, v130, s1
	s_delay_alu instid0(VALU_DEP_1) | instskip(NEXT) | instid1(VALU_DEP_1)
	v_add_nc_u32_e32 v129, v129, v130
	v_mov_b32_dpp v130, v129 row_shr:4 row_mask:0xf bank_mask:0xf
	s_delay_alu instid0(VALU_DEP_1) | instskip(NEXT) | instid1(VALU_DEP_1)
	v_cndmask_b32_e64 v130, 0, v130, s9
	v_add_nc_u32_e32 v129, v129, v130
	s_delay_alu instid0(VALU_DEP_1) | instskip(NEXT) | instid1(VALU_DEP_1)
	v_mov_b32_dpp v130, v129 row_shr:8 row_mask:0xf bank_mask:0xf
	v_cndmask_b32_e64 v130, 0, v130, s10
	s_delay_alu instid0(VALU_DEP_1) | instskip(SKIP_3) | instid1(VALU_DEP_1)
	v_add_nc_u32_e32 v129, v129, v130
	ds_swizzle_b32 v130, v129 offset:swizzle(BROADCAST,32,15)
	s_wait_dscnt 0x0
	v_cndmask_b32_e64 v130, v130, 0, s11
	v_add_nc_u32_e32 v129, v129, v130
	s_and_saveexec_b32 s15, s3
; %bb.595:                              ;   in Loop: Header=BB1641_558 Depth=2
	ds_store_b32 v38, v129 offset:1024
; %bb.596:                              ;   in Loop: Header=BB1641_558 Depth=2
	s_wait_alu 0xfffe
	s_or_b32 exec_lo, exec_lo, s15
	s_wait_loadcnt_dscnt 0x0
	s_barrier_signal -1
	s_barrier_wait -1
	global_inv scope:SCOPE_SE
	s_and_saveexec_b32 s15, s4
	s_cbranch_execz .LBB1641_598
; %bb.597:                              ;   in Loop: Header=BB1641_558 Depth=2
	v_add_nc_u32_e32 v130, v45, v46
	ds_load_b32 v131, v130 offset:1024
	s_wait_dscnt 0x0
	v_mov_b32_dpp v132, v131 row_shr:1 row_mask:0xf bank_mask:0xf
	s_delay_alu instid0(VALU_DEP_1) | instskip(NEXT) | instid1(VALU_DEP_1)
	v_cndmask_b32_e64 v132, v132, 0, s12
	v_add_nc_u32_e32 v131, v132, v131
	s_delay_alu instid0(VALU_DEP_1) | instskip(NEXT) | instid1(VALU_DEP_1)
	v_mov_b32_dpp v132, v131 row_shr:2 row_mask:0xf bank_mask:0xf
	v_cndmask_b32_e64 v132, 0, v132, s13
	s_delay_alu instid0(VALU_DEP_1) | instskip(NEXT) | instid1(VALU_DEP_1)
	v_add_nc_u32_e32 v131, v131, v132
	v_mov_b32_dpp v132, v131 row_shr:4 row_mask:0xf bank_mask:0xf
	s_delay_alu instid0(VALU_DEP_1) | instskip(NEXT) | instid1(VALU_DEP_1)
	v_cndmask_b32_e64 v132, 0, v132, s14
	v_add_nc_u32_e32 v131, v131, v132
	ds_store_b32 v130, v131 offset:1024
.LBB1641_598:                           ;   in Loop: Header=BB1641_558 Depth=2
	s_wait_alu 0xfffe
	s_or_b32 exec_lo, exec_lo, s15
	v_mov_b32_e32 v130, 0
	s_wait_loadcnt_dscnt 0x0
	s_barrier_signal -1
	s_barrier_wait -1
	global_inv scope:SCOPE_SE
	s_and_saveexec_b32 s15, s5
; %bb.599:                              ;   in Loop: Header=BB1641_558 Depth=2
	ds_load_b32 v130, v38 offset:1020
; %bb.600:                              ;   in Loop: Header=BB1641_558 Depth=2
	s_wait_alu 0xfffe
	s_or_b32 exec_lo, exec_lo, s15
	s_wait_dscnt 0x0
	v_add_nc_u32_e32 v129, v130, v129
	ds_bpermute_b32 v129, v80, v129
	s_wait_dscnt 0x0
	v_cndmask_b32_e64 v129, v129, v130, s8
	s_delay_alu instid0(VALU_DEP_1) | instskip(NEXT) | instid1(VALU_DEP_1)
	v_cndmask_b32_e64 v129, v129, 0, s6
	v_add_nc_u32_e32 v26, v129, v26
	s_delay_alu instid0(VALU_DEP_1) | instskip(NEXT) | instid1(VALU_DEP_1)
	v_add_nc_u32_e32 v27, v26, v27
	v_add_nc_u32_e32 v24, v27, v24
	s_delay_alu instid0(VALU_DEP_1) | instskip(NEXT) | instid1(VALU_DEP_1)
	v_add_nc_u32_e32 v25, v24, v25
	;; [unrolled: 3-line block ×3, first 2 shown]
	v_add_nc_u32_e32 v20, v23, v20
	s_delay_alu instid0(VALU_DEP_1)
	v_add_nc_u32_e32 v21, v20, v21
	ds_store_2addr_b32 v103, v23, v20 offset1:1
	ds_store_2addr_b32 v104, v129, v26 offset1:1
	;; [unrolled: 1-line block ×4, first 2 shown]
	ds_store_b32 v45, v21 offset:1088
	s_wait_loadcnt_dscnt 0x0
	s_barrier_signal -1
	s_barrier_wait -1
	global_inv scope:SCOPE_SE
	ds_load_b32 v20, v108 offset:1056
	ds_load_b32 v21, v112 offset:1056
	;; [unrolled: 1-line block ×9, first 2 shown]
	v_mov_b32_e32 v22, 0x800
	s_and_saveexec_b32 s15, s7
; %bb.601:                              ;   in Loop: Header=BB1641_558 Depth=2
	ds_load_b32 v22, v45 offset:1092
; %bb.602:                              ;   in Loop: Header=BB1641_558 Depth=2
	s_wait_alu 0xfffe
	s_or_b32 exec_lo, exec_lo, s15
	s_wait_loadcnt_dscnt 0x0
	s_barrier_signal -1
	s_barrier_wait -1
	global_inv scope:SCOPE_SE
	s_and_saveexec_b32 s15, s2
	s_cbranch_execz .LBB1641_604
; %bb.603:                              ;   in Loop: Header=BB1641_558 Depth=2
	ds_load_b32 v27, v28
	s_wait_dscnt 0x0
	v_sub_nc_u32_e32 v26, v27, v26
	ds_store_b32 v28, v26
.LBB1641_604:                           ;   in Loop: Header=BB1641_558 Depth=2
	s_wait_alu 0xfffe
	s_or_b32 exec_lo, exec_lo, s15
	v_add_nc_u32_e32 v104, v20, v102
	v_add3_u32 v103, v109, v107, v21
	v_add3_u32 v102, v111, v110, v23
	;; [unrolled: 1-line block ×7, first 2 shown]
	v_cmp_lt_u32_e64 s20, v1, v2
	ds_store_b8 v104, v94 offset:1024
	ds_store_b8 v103, v95 offset:1024
	ds_store_b8 v102, v96 offset:1024
	ds_store_b8 v27, v97 offset:1024
	ds_store_b8 v26, v98 offset:1024
	ds_store_b8 v25, v99 offset:1024
	ds_store_b8 v24, v100 offset:1024
	ds_store_b8 v23, v101 offset:1024
	s_wait_loadcnt_dscnt 0x0
	s_barrier_signal -1
	s_barrier_wait -1
	global_inv scope:SCOPE_SE
	s_and_saveexec_b32 s15, s20
	s_cbranch_execnz .LBB1641_641
; %bb.605:                              ;   in Loop: Header=BB1641_558 Depth=2
	s_wait_alu 0xfffe
	s_or_b32 exec_lo, exec_lo, s15
	v_cmp_lt_u32_e64 s21, v29, v2
	s_and_saveexec_b32 s15, s21
	s_cbranch_execnz .LBB1641_642
.LBB1641_606:                           ;   in Loop: Header=BB1641_558 Depth=2
	s_wait_alu 0xfffe
	s_or_b32 exec_lo, exec_lo, s15
	v_cmp_lt_u32_e64 s19, v30, v2
	s_and_saveexec_b32 s15, s19
	s_cbranch_execnz .LBB1641_643
.LBB1641_607:                           ;   in Loop: Header=BB1641_558 Depth=2
	s_wait_alu 0xfffe
	s_or_b32 exec_lo, exec_lo, s15
	v_cmp_lt_u32_e64 s18, v31, v2
	s_and_saveexec_b32 s15, s18
	s_cbranch_execnz .LBB1641_644
.LBB1641_608:                           ;   in Loop: Header=BB1641_558 Depth=2
	s_wait_alu 0xfffe
	s_or_b32 exec_lo, exec_lo, s15
	v_cmp_lt_u32_e64 s17, v34, v2
	s_and_saveexec_b32 s15, s17
	s_cbranch_execnz .LBB1641_645
.LBB1641_609:                           ;   in Loop: Header=BB1641_558 Depth=2
	s_wait_alu 0xfffe
	s_or_b32 exec_lo, exec_lo, s15
	v_cmp_lt_u32_e64 s16, v35, v2
	s_and_saveexec_b32 s15, s16
	s_cbranch_execnz .LBB1641_646
.LBB1641_610:                           ;   in Loop: Header=BB1641_558 Depth=2
	s_wait_alu 0xfffe
	s_or_b32 exec_lo, exec_lo, s15
	v_cmp_lt_u32_e64 s15, v36, v2
	s_and_saveexec_b32 s44, s15
	s_cbranch_execnz .LBB1641_647
.LBB1641_611:                           ;   in Loop: Header=BB1641_558 Depth=2
	s_wait_alu 0xfffe
	s_or_b32 exec_lo, exec_lo, s44
	v_cmp_lt_u32_e32 vcc_lo, v37, v2
	s_and_saveexec_b32 s44, vcc_lo
	s_cbranch_execz .LBB1641_613
.LBB1641_612:                           ;   in Loop: Header=BB1641_558 Depth=2
	ds_load_u8 v20, v1 offset:2816
	s_wait_dscnt 0x0
	v_and_b32_e32 v21, 1, v20
	s_delay_alu instid0(VALU_DEP_1) | instskip(NEXT) | instid1(VALU_DEP_1)
	v_lshrrev_b32_e32 v21, s45, v21
	v_and_b32_e32 v21, s31, v21
	s_delay_alu instid0(VALU_DEP_1)
	v_lshlrev_b32_e32 v21, 2, v21
	ds_load_b32 v21, v21
	s_wait_dscnt 0x0
	v_add_nc_u32_e32 v21, v21, v37
	global_store_b8 v21, v20, s[40:41]
.LBB1641_613:                           ;   in Loop: Header=BB1641_558 Depth=2
	s_wait_alu 0xfffe
	s_or_b32 exec_lo, exec_lo, s44
	s_lshl_b64 s[48:49], s[22:23], 3
	s_wait_alu 0xfffe
	v_add_co_u32 v20, s22, v81, s48
	s_wait_alu 0xf1ff
	v_add_co_ci_u32_e64 v21, null, s49, v82, s22
	v_cmp_lt_u32_e64 s22, v68, v2
	s_and_saveexec_b32 s44, s22
	s_wait_alu 0xfffe
	s_xor_b32 s22, exec_lo, s44
	s_cbranch_execnz .LBB1641_648
; %bb.614:                              ;   in Loop: Header=BB1641_558 Depth=2
	s_wait_alu 0xfffe
	s_or_b32 exec_lo, exec_lo, s22
	s_delay_alu instid0(SALU_CYCLE_1)
	s_mov_b32 s44, exec_lo
	v_cmpx_lt_u32_e64 v71, v2
	s_cbranch_execnz .LBB1641_649
.LBB1641_615:                           ;   in Loop: Header=BB1641_558 Depth=2
	s_wait_alu 0xfffe
	s_or_b32 exec_lo, exec_lo, s44
	s_delay_alu instid0(SALU_CYCLE_1)
	s_mov_b32 s44, exec_lo
	v_cmpx_lt_u32_e64 v72, v2
	s_cbranch_execnz .LBB1641_650
.LBB1641_616:                           ;   in Loop: Header=BB1641_558 Depth=2
	s_wait_alu 0xfffe
	s_or_b32 exec_lo, exec_lo, s44
	s_delay_alu instid0(SALU_CYCLE_1)
	s_mov_b32 s44, exec_lo
	v_cmpx_lt_u32_e64 v73, v2
	s_cbranch_execnz .LBB1641_651
.LBB1641_617:                           ;   in Loop: Header=BB1641_558 Depth=2
	s_wait_alu 0xfffe
	s_or_b32 exec_lo, exec_lo, s44
	s_delay_alu instid0(SALU_CYCLE_1)
	s_mov_b32 s44, exec_lo
	v_cmpx_lt_u32_e64 v74, v2
	s_cbranch_execnz .LBB1641_652
.LBB1641_618:                           ;   in Loop: Header=BB1641_558 Depth=2
	s_wait_alu 0xfffe
	s_or_b32 exec_lo, exec_lo, s44
	s_delay_alu instid0(SALU_CYCLE_1)
	s_mov_b32 s44, exec_lo
	v_cmpx_lt_u32_e64 v75, v2
	s_cbranch_execnz .LBB1641_653
.LBB1641_619:                           ;   in Loop: Header=BB1641_558 Depth=2
	s_wait_alu 0xfffe
	s_or_b32 exec_lo, exec_lo, s44
	s_delay_alu instid0(SALU_CYCLE_1)
	s_mov_b32 s44, exec_lo
	v_cmpx_lt_u32_e64 v76, v2
	s_cbranch_execnz .LBB1641_654
.LBB1641_620:                           ;   in Loop: Header=BB1641_558 Depth=2
	s_wait_alu 0xfffe
	s_or_b32 exec_lo, exec_lo, s44
	s_delay_alu instid0(SALU_CYCLE_1)
	s_mov_b32 s44, exec_lo
	v_cmpx_lt_u32_e64 v77, v2
	s_cbranch_execnz .LBB1641_655
.LBB1641_621:                           ;   in Loop: Header=BB1641_558 Depth=2
	s_wait_alu 0xfffe
	s_or_b32 exec_lo, exec_lo, s44
	s_and_saveexec_b32 s22, s20
	s_cbranch_execnz .LBB1641_656
.LBB1641_622:                           ;   in Loop: Header=BB1641_558 Depth=2
	s_wait_alu 0xfffe
	s_or_b32 exec_lo, exec_lo, s22
	s_and_saveexec_b32 s22, s21
	s_cbranch_execnz .LBB1641_657
.LBB1641_623:                           ;   in Loop: Header=BB1641_558 Depth=2
	s_wait_alu 0xfffe
	s_or_b32 exec_lo, exec_lo, s22
	s_and_saveexec_b32 s22, s19
	s_cbranch_execnz .LBB1641_658
.LBB1641_624:                           ;   in Loop: Header=BB1641_558 Depth=2
	s_wait_alu 0xfffe
	s_or_b32 exec_lo, exec_lo, s22
	s_and_saveexec_b32 s22, s18
	s_cbranch_execnz .LBB1641_659
.LBB1641_625:                           ;   in Loop: Header=BB1641_558 Depth=2
	s_wait_alu 0xfffe
	s_or_b32 exec_lo, exec_lo, s22
	s_and_saveexec_b32 s22, s17
	s_cbranch_execnz .LBB1641_660
.LBB1641_626:                           ;   in Loop: Header=BB1641_558 Depth=2
	s_wait_alu 0xfffe
	s_or_b32 exec_lo, exec_lo, s22
	s_and_saveexec_b32 s22, s16
	s_cbranch_execnz .LBB1641_661
.LBB1641_627:                           ;   in Loop: Header=BB1641_558 Depth=2
	s_wait_alu 0xfffe
	s_or_b32 exec_lo, exec_lo, s22
	s_and_saveexec_b32 s22, s15
	s_cbranch_execnz .LBB1641_662
.LBB1641_628:                           ;   in Loop: Header=BB1641_558 Depth=2
	s_wait_alu 0xfffe
	s_or_b32 exec_lo, exec_lo, s22
	s_and_saveexec_b32 s22, vcc_lo
	s_cbranch_execz .LBB1641_630
.LBB1641_629:                           ;   in Loop: Header=BB1641_558 Depth=2
	ds_load_u8 v2, v1 offset:2816
	s_wait_dscnt 0x0
	v_lshrrev_b32_e32 v2, s45, v2
	s_delay_alu instid0(VALU_DEP_1)
	v_and_b32_e32 v86, s31, v2
.LBB1641_630:                           ;   in Loop: Header=BB1641_558 Depth=2
	s_wait_alu 0xfffe
	s_or_b32 exec_lo, exec_lo, s22
	v_lshlrev_b32_e32 v2, 3, v104
	v_lshlrev_b32_e32 v20, 3, v103
	;; [unrolled: 1-line block ×3, first 2 shown]
	s_wait_loadcnt 0x0
	s_wait_storecnt 0x0
	s_barrier_signal -1
	s_barrier_wait -1
	global_inv scope:SCOPE_SE
	ds_store_b64 v2, v[18:19] offset:1024
	ds_store_b64 v20, v[16:17] offset:1024
	;; [unrolled: 1-line block ×3, first 2 shown]
	v_lshlrev_b32_e32 v2, 3, v27
	v_lshlrev_b32_e32 v20, 3, v26
	;; [unrolled: 1-line block ×5, first 2 shown]
	ds_store_b64 v2, v[12:13] offset:1024
	ds_store_b64 v20, v[10:11] offset:1024
	;; [unrolled: 1-line block ×5, first 2 shown]
	v_add_nc_u32_e32 v20, v1, v47
	s_wait_loadcnt_dscnt 0x0
	s_barrier_signal -1
	s_barrier_wait -1
	global_inv scope:SCOPE_SE
	s_and_saveexec_b32 s22, s20
	s_cbranch_execnz .LBB1641_663
; %bb.631:                              ;   in Loop: Header=BB1641_558 Depth=2
	s_wait_alu 0xfffe
	s_or_b32 exec_lo, exec_lo, s22
	s_and_saveexec_b32 s22, s21
	s_cbranch_execnz .LBB1641_664
.LBB1641_632:                           ;   in Loop: Header=BB1641_558 Depth=2
	s_wait_alu 0xfffe
	s_or_b32 exec_lo, exec_lo, s22
	s_and_saveexec_b32 s20, s19
	s_cbranch_execnz .LBB1641_665
.LBB1641_633:                           ;   in Loop: Header=BB1641_558 Depth=2
	s_wait_alu 0xfffe
	s_or_b32 exec_lo, exec_lo, s20
	s_and_saveexec_b32 s19, s18
	s_cbranch_execnz .LBB1641_666
.LBB1641_634:                           ;   in Loop: Header=BB1641_558 Depth=2
	s_wait_alu 0xfffe
	s_or_b32 exec_lo, exec_lo, s19
	s_and_saveexec_b32 s18, s17
	s_cbranch_execnz .LBB1641_667
.LBB1641_635:                           ;   in Loop: Header=BB1641_558 Depth=2
	s_wait_alu 0xfffe
	s_or_b32 exec_lo, exec_lo, s18
	s_and_saveexec_b32 s17, s16
	s_cbranch_execnz .LBB1641_668
.LBB1641_636:                           ;   in Loop: Header=BB1641_558 Depth=2
	s_wait_alu 0xfffe
	s_or_b32 exec_lo, exec_lo, s17
	s_and_saveexec_b32 s16, s15
	s_cbranch_execnz .LBB1641_669
.LBB1641_637:                           ;   in Loop: Header=BB1641_558 Depth=2
	s_wait_alu 0xfffe
	s_or_b32 exec_lo, exec_lo, s16
	s_and_saveexec_b32 s15, vcc_lo
	s_cbranch_execz .LBB1641_639
.LBB1641_638:                           ;   in Loop: Header=BB1641_558 Depth=2
	v_lshlrev_b32_e32 v2, 2, v86
	ds_load_b32 v2, v2
	ds_load_b64 v[20:21], v20 offset:15360
	s_wait_dscnt 0x1
	v_add_nc_u32_e32 v2, v2, v37
	s_delay_alu instid0(VALU_DEP_1) | instskip(NEXT) | instid1(VALU_DEP_1)
	v_lshlrev_b64_e32 v[23:24], 3, v[2:3]
	v_add_co_u32 v23, vcc_lo, s26, v23
	s_wait_alu 0xfffd
	s_delay_alu instid0(VALU_DEP_2)
	v_add_co_ci_u32_e64 v24, null, s27, v24, vcc_lo
	s_wait_dscnt 0x0
	global_store_b64 v[23:24], v[20:21], off
.LBB1641_639:                           ;   in Loop: Header=BB1641_558 Depth=2
	s_wait_alu 0xfffe
	s_or_b32 exec_lo, exec_lo, s15
	s_wait_loadcnt 0x0
	s_wait_storecnt 0x0
	s_barrier_signal -1
	s_barrier_wait -1
	global_inv scope:SCOPE_SE
	s_and_saveexec_b32 s15, s2
	s_cbranch_execz .LBB1641_557
; %bb.640:                              ;   in Loop: Header=BB1641_558 Depth=2
	ds_load_b32 v2, v28
	s_wait_dscnt 0x0
	v_add_nc_u32_e32 v2, v2, v22
	ds_store_b32 v28, v2
	s_branch .LBB1641_557
.LBB1641_641:                           ;   in Loop: Header=BB1641_558 Depth=2
	ds_load_u8 v20, v1 offset:1024
	s_wait_dscnt 0x0
	v_and_b32_e32 v21, 1, v20
	s_delay_alu instid0(VALU_DEP_1) | instskip(NEXT) | instid1(VALU_DEP_1)
	v_lshrrev_b32_e32 v21, s45, v21
	v_and_b32_e32 v21, s31, v21
	s_delay_alu instid0(VALU_DEP_1)
	v_lshlrev_b32_e32 v21, 2, v21
	ds_load_b32 v21, v21
	s_wait_dscnt 0x0
	v_add_nc_u32_e32 v21, v21, v1
	global_store_b8 v21, v20, s[40:41]
	s_wait_alu 0xfffe
	s_or_b32 exec_lo, exec_lo, s15
	v_cmp_lt_u32_e64 s21, v29, v2
	s_and_saveexec_b32 s15, s21
	s_cbranch_execz .LBB1641_606
.LBB1641_642:                           ;   in Loop: Header=BB1641_558 Depth=2
	ds_load_u8 v20, v1 offset:1280
	s_wait_dscnt 0x0
	v_and_b32_e32 v21, 1, v20
	s_delay_alu instid0(VALU_DEP_1) | instskip(NEXT) | instid1(VALU_DEP_1)
	v_lshrrev_b32_e32 v21, s45, v21
	v_and_b32_e32 v21, s31, v21
	s_delay_alu instid0(VALU_DEP_1)
	v_lshlrev_b32_e32 v21, 2, v21
	ds_load_b32 v21, v21
	s_wait_dscnt 0x0
	v_add_nc_u32_e32 v21, v21, v29
	global_store_b8 v21, v20, s[40:41]
	s_wait_alu 0xfffe
	s_or_b32 exec_lo, exec_lo, s15
	v_cmp_lt_u32_e64 s19, v30, v2
	s_and_saveexec_b32 s15, s19
	s_cbranch_execz .LBB1641_607
.LBB1641_643:                           ;   in Loop: Header=BB1641_558 Depth=2
	ds_load_u8 v20, v1 offset:1536
	s_wait_dscnt 0x0
	v_and_b32_e32 v21, 1, v20
	s_delay_alu instid0(VALU_DEP_1) | instskip(NEXT) | instid1(VALU_DEP_1)
	v_lshrrev_b32_e32 v21, s45, v21
	v_and_b32_e32 v21, s31, v21
	s_delay_alu instid0(VALU_DEP_1)
	v_lshlrev_b32_e32 v21, 2, v21
	ds_load_b32 v21, v21
	s_wait_dscnt 0x0
	v_add_nc_u32_e32 v21, v21, v30
	global_store_b8 v21, v20, s[40:41]
	s_wait_alu 0xfffe
	s_or_b32 exec_lo, exec_lo, s15
	v_cmp_lt_u32_e64 s18, v31, v2
	s_and_saveexec_b32 s15, s18
	s_cbranch_execz .LBB1641_608
.LBB1641_644:                           ;   in Loop: Header=BB1641_558 Depth=2
	ds_load_u8 v20, v1 offset:1792
	s_wait_dscnt 0x0
	v_and_b32_e32 v21, 1, v20
	s_delay_alu instid0(VALU_DEP_1) | instskip(NEXT) | instid1(VALU_DEP_1)
	v_lshrrev_b32_e32 v21, s45, v21
	v_and_b32_e32 v21, s31, v21
	s_delay_alu instid0(VALU_DEP_1)
	v_lshlrev_b32_e32 v21, 2, v21
	ds_load_b32 v21, v21
	s_wait_dscnt 0x0
	v_add_nc_u32_e32 v21, v21, v31
	global_store_b8 v21, v20, s[40:41]
	s_wait_alu 0xfffe
	s_or_b32 exec_lo, exec_lo, s15
	v_cmp_lt_u32_e64 s17, v34, v2
	s_and_saveexec_b32 s15, s17
	s_cbranch_execz .LBB1641_609
.LBB1641_645:                           ;   in Loop: Header=BB1641_558 Depth=2
	ds_load_u8 v20, v1 offset:2048
	s_wait_dscnt 0x0
	v_and_b32_e32 v21, 1, v20
	s_delay_alu instid0(VALU_DEP_1) | instskip(NEXT) | instid1(VALU_DEP_1)
	v_lshrrev_b32_e32 v21, s45, v21
	v_and_b32_e32 v21, s31, v21
	s_delay_alu instid0(VALU_DEP_1)
	v_lshlrev_b32_e32 v21, 2, v21
	ds_load_b32 v21, v21
	s_wait_dscnt 0x0
	v_add_nc_u32_e32 v21, v21, v34
	global_store_b8 v21, v20, s[40:41]
	s_wait_alu 0xfffe
	s_or_b32 exec_lo, exec_lo, s15
	v_cmp_lt_u32_e64 s16, v35, v2
	s_and_saveexec_b32 s15, s16
	s_cbranch_execz .LBB1641_610
.LBB1641_646:                           ;   in Loop: Header=BB1641_558 Depth=2
	ds_load_u8 v20, v1 offset:2304
	s_wait_dscnt 0x0
	v_and_b32_e32 v21, 1, v20
	s_delay_alu instid0(VALU_DEP_1) | instskip(NEXT) | instid1(VALU_DEP_1)
	v_lshrrev_b32_e32 v21, s45, v21
	v_and_b32_e32 v21, s31, v21
	s_delay_alu instid0(VALU_DEP_1)
	v_lshlrev_b32_e32 v21, 2, v21
	ds_load_b32 v21, v21
	s_wait_dscnt 0x0
	v_add_nc_u32_e32 v21, v21, v35
	global_store_b8 v21, v20, s[40:41]
	s_wait_alu 0xfffe
	s_or_b32 exec_lo, exec_lo, s15
	v_cmp_lt_u32_e64 s15, v36, v2
	s_and_saveexec_b32 s44, s15
	s_cbranch_execz .LBB1641_611
.LBB1641_647:                           ;   in Loop: Header=BB1641_558 Depth=2
	ds_load_u8 v20, v1 offset:2560
	s_wait_dscnt 0x0
	v_and_b32_e32 v21, 1, v20
	s_delay_alu instid0(VALU_DEP_1) | instskip(NEXT) | instid1(VALU_DEP_1)
	v_lshrrev_b32_e32 v21, s45, v21
	v_and_b32_e32 v21, s31, v21
	s_delay_alu instid0(VALU_DEP_1)
	v_lshlrev_b32_e32 v21, 2, v21
	ds_load_b32 v21, v21
	s_wait_dscnt 0x0
	v_add_nc_u32_e32 v21, v21, v36
	global_store_b8 v21, v20, s[40:41]
	s_wait_alu 0xfffe
	s_or_b32 exec_lo, exec_lo, s44
	v_cmp_lt_u32_e32 vcc_lo, v37, v2
	s_and_saveexec_b32 s44, vcc_lo
	s_cbranch_execnz .LBB1641_612
	s_branch .LBB1641_613
.LBB1641_648:                           ;   in Loop: Header=BB1641_558 Depth=2
	global_load_b64 v[18:19], v[20:21], off
	s_wait_alu 0xfffe
	s_or_b32 exec_lo, exec_lo, s22
	s_delay_alu instid0(SALU_CYCLE_1)
	s_mov_b32 s44, exec_lo
	v_cmpx_lt_u32_e64 v71, v2
	s_cbranch_execz .LBB1641_615
.LBB1641_649:                           ;   in Loop: Header=BB1641_558 Depth=2
	global_load_b64 v[16:17], v[20:21], off offset:256
	s_wait_alu 0xfffe
	s_or_b32 exec_lo, exec_lo, s44
	s_delay_alu instid0(SALU_CYCLE_1)
	s_mov_b32 s44, exec_lo
	v_cmpx_lt_u32_e64 v72, v2
	s_cbranch_execz .LBB1641_616
.LBB1641_650:                           ;   in Loop: Header=BB1641_558 Depth=2
	global_load_b64 v[14:15], v[20:21], off offset:512
	s_wait_alu 0xfffe
	s_or_b32 exec_lo, exec_lo, s44
	s_delay_alu instid0(SALU_CYCLE_1)
	s_mov_b32 s44, exec_lo
	v_cmpx_lt_u32_e64 v73, v2
	s_cbranch_execz .LBB1641_617
.LBB1641_651:                           ;   in Loop: Header=BB1641_558 Depth=2
	global_load_b64 v[12:13], v[20:21], off offset:768
	s_wait_alu 0xfffe
	s_or_b32 exec_lo, exec_lo, s44
	s_delay_alu instid0(SALU_CYCLE_1)
	s_mov_b32 s44, exec_lo
	v_cmpx_lt_u32_e64 v74, v2
	s_cbranch_execz .LBB1641_618
.LBB1641_652:                           ;   in Loop: Header=BB1641_558 Depth=2
	global_load_b64 v[10:11], v[20:21], off offset:1024
	s_wait_alu 0xfffe
	s_or_b32 exec_lo, exec_lo, s44
	s_delay_alu instid0(SALU_CYCLE_1)
	s_mov_b32 s44, exec_lo
	v_cmpx_lt_u32_e64 v75, v2
	s_cbranch_execz .LBB1641_619
.LBB1641_653:                           ;   in Loop: Header=BB1641_558 Depth=2
	global_load_b64 v[8:9], v[20:21], off offset:1280
	s_wait_alu 0xfffe
	s_or_b32 exec_lo, exec_lo, s44
	s_delay_alu instid0(SALU_CYCLE_1)
	s_mov_b32 s44, exec_lo
	v_cmpx_lt_u32_e64 v76, v2
	s_cbranch_execz .LBB1641_620
.LBB1641_654:                           ;   in Loop: Header=BB1641_558 Depth=2
	global_load_b64 v[6:7], v[20:21], off offset:1536
	s_wait_alu 0xfffe
	s_or_b32 exec_lo, exec_lo, s44
	s_delay_alu instid0(SALU_CYCLE_1)
	s_mov_b32 s44, exec_lo
	v_cmpx_lt_u32_e64 v77, v2
	s_cbranch_execz .LBB1641_621
.LBB1641_655:                           ;   in Loop: Header=BB1641_558 Depth=2
	global_load_b64 v[4:5], v[20:21], off offset:1792
	s_wait_alu 0xfffe
	s_or_b32 exec_lo, exec_lo, s44
	s_and_saveexec_b32 s22, s20
	s_cbranch_execz .LBB1641_622
.LBB1641_656:                           ;   in Loop: Header=BB1641_558 Depth=2
	ds_load_u8 v2, v1 offset:1024
	s_wait_dscnt 0x0
	v_lshrrev_b32_e32 v2, s45, v2
	s_delay_alu instid0(VALU_DEP_1)
	v_and_b32_e32 v93, s31, v2
	s_wait_alu 0xfffe
	s_or_b32 exec_lo, exec_lo, s22
	s_and_saveexec_b32 s22, s21
	s_cbranch_execz .LBB1641_623
.LBB1641_657:                           ;   in Loop: Header=BB1641_558 Depth=2
	ds_load_u8 v2, v1 offset:1280
	s_wait_dscnt 0x0
	v_lshrrev_b32_e32 v2, s45, v2
	s_delay_alu instid0(VALU_DEP_1)
	v_and_b32_e32 v92, s31, v2
	s_wait_alu 0xfffe
	s_or_b32 exec_lo, exec_lo, s22
	s_and_saveexec_b32 s22, s19
	s_cbranch_execz .LBB1641_624
.LBB1641_658:                           ;   in Loop: Header=BB1641_558 Depth=2
	ds_load_u8 v2, v1 offset:1536
	s_wait_dscnt 0x0
	v_lshrrev_b32_e32 v2, s45, v2
	s_delay_alu instid0(VALU_DEP_1)
	v_and_b32_e32 v91, s31, v2
	s_wait_alu 0xfffe
	s_or_b32 exec_lo, exec_lo, s22
	s_and_saveexec_b32 s22, s18
	s_cbranch_execz .LBB1641_625
.LBB1641_659:                           ;   in Loop: Header=BB1641_558 Depth=2
	ds_load_u8 v2, v1 offset:1792
	s_wait_dscnt 0x0
	v_lshrrev_b32_e32 v2, s45, v2
	s_delay_alu instid0(VALU_DEP_1)
	v_and_b32_e32 v90, s31, v2
	s_wait_alu 0xfffe
	s_or_b32 exec_lo, exec_lo, s22
	s_and_saveexec_b32 s22, s17
	s_cbranch_execz .LBB1641_626
.LBB1641_660:                           ;   in Loop: Header=BB1641_558 Depth=2
	ds_load_u8 v2, v1 offset:2048
	s_wait_dscnt 0x0
	v_lshrrev_b32_e32 v2, s45, v2
	s_delay_alu instid0(VALU_DEP_1)
	v_and_b32_e32 v89, s31, v2
	s_wait_alu 0xfffe
	s_or_b32 exec_lo, exec_lo, s22
	s_and_saveexec_b32 s22, s16
	s_cbranch_execz .LBB1641_627
.LBB1641_661:                           ;   in Loop: Header=BB1641_558 Depth=2
	ds_load_u8 v2, v1 offset:2304
	s_wait_dscnt 0x0
	v_lshrrev_b32_e32 v2, s45, v2
	s_delay_alu instid0(VALU_DEP_1)
	v_and_b32_e32 v88, s31, v2
	s_wait_alu 0xfffe
	s_or_b32 exec_lo, exec_lo, s22
	s_and_saveexec_b32 s22, s15
	s_cbranch_execz .LBB1641_628
.LBB1641_662:                           ;   in Loop: Header=BB1641_558 Depth=2
	ds_load_u8 v2, v1 offset:2560
	s_wait_dscnt 0x0
	v_lshrrev_b32_e32 v2, s45, v2
	s_delay_alu instid0(VALU_DEP_1)
	v_and_b32_e32 v87, s31, v2
	s_wait_alu 0xfffe
	s_or_b32 exec_lo, exec_lo, s22
	s_and_saveexec_b32 s22, vcc_lo
	s_cbranch_execnz .LBB1641_629
	s_branch .LBB1641_630
.LBB1641_663:                           ;   in Loop: Header=BB1641_558 Depth=2
	v_lshlrev_b32_e32 v2, 2, v93
	ds_load_b32 v2, v2
	ds_load_b64 v[23:24], v20 offset:1024
	s_wait_dscnt 0x1
	v_add_nc_u32_e32 v2, v2, v1
	s_delay_alu instid0(VALU_DEP_1) | instskip(NEXT) | instid1(VALU_DEP_1)
	v_lshlrev_b64_e32 v[25:26], 3, v[2:3]
	v_add_co_u32 v25, s20, s26, v25
	s_wait_alu 0xf1ff
	s_delay_alu instid0(VALU_DEP_2)
	v_add_co_ci_u32_e64 v26, null, s27, v26, s20
	s_wait_dscnt 0x0
	global_store_b64 v[25:26], v[23:24], off
	s_wait_alu 0xfffe
	s_or_b32 exec_lo, exec_lo, s22
	s_and_saveexec_b32 s22, s21
	s_cbranch_execz .LBB1641_632
.LBB1641_664:                           ;   in Loop: Header=BB1641_558 Depth=2
	v_lshlrev_b32_e32 v2, 2, v92
	ds_load_b32 v2, v2
	ds_load_b64 v[23:24], v20 offset:3072
	s_wait_dscnt 0x1
	v_add_nc_u32_e32 v2, v2, v29
	s_delay_alu instid0(VALU_DEP_1) | instskip(NEXT) | instid1(VALU_DEP_1)
	v_lshlrev_b64_e32 v[25:26], 3, v[2:3]
	v_add_co_u32 v25, s20, s26, v25
	s_wait_alu 0xf1ff
	s_delay_alu instid0(VALU_DEP_2)
	v_add_co_ci_u32_e64 v26, null, s27, v26, s20
	s_wait_dscnt 0x0
	global_store_b64 v[25:26], v[23:24], off
	s_wait_alu 0xfffe
	s_or_b32 exec_lo, exec_lo, s22
	s_and_saveexec_b32 s20, s19
	s_cbranch_execz .LBB1641_633
.LBB1641_665:                           ;   in Loop: Header=BB1641_558 Depth=2
	v_lshlrev_b32_e32 v2, 2, v91
	ds_load_b32 v2, v2
	ds_load_b64 v[23:24], v20 offset:5120
	s_wait_dscnt 0x1
	v_add_nc_u32_e32 v2, v2, v30
	s_delay_alu instid0(VALU_DEP_1) | instskip(NEXT) | instid1(VALU_DEP_1)
	v_lshlrev_b64_e32 v[25:26], 3, v[2:3]
	v_add_co_u32 v25, s19, s26, v25
	s_wait_alu 0xf1ff
	s_delay_alu instid0(VALU_DEP_2)
	v_add_co_ci_u32_e64 v26, null, s27, v26, s19
	s_wait_dscnt 0x0
	global_store_b64 v[25:26], v[23:24], off
	s_wait_alu 0xfffe
	s_or_b32 exec_lo, exec_lo, s20
	s_and_saveexec_b32 s19, s18
	s_cbranch_execz .LBB1641_634
.LBB1641_666:                           ;   in Loop: Header=BB1641_558 Depth=2
	v_lshlrev_b32_e32 v2, 2, v90
	ds_load_b32 v2, v2
	ds_load_b64 v[23:24], v20 offset:7168
	s_wait_dscnt 0x1
	v_add_nc_u32_e32 v2, v2, v31
	s_delay_alu instid0(VALU_DEP_1) | instskip(NEXT) | instid1(VALU_DEP_1)
	v_lshlrev_b64_e32 v[25:26], 3, v[2:3]
	v_add_co_u32 v25, s18, s26, v25
	s_wait_alu 0xf1ff
	s_delay_alu instid0(VALU_DEP_2)
	v_add_co_ci_u32_e64 v26, null, s27, v26, s18
	s_wait_dscnt 0x0
	global_store_b64 v[25:26], v[23:24], off
	s_wait_alu 0xfffe
	s_or_b32 exec_lo, exec_lo, s19
	s_and_saveexec_b32 s18, s17
	s_cbranch_execz .LBB1641_635
.LBB1641_667:                           ;   in Loop: Header=BB1641_558 Depth=2
	v_lshlrev_b32_e32 v2, 2, v89
	ds_load_b32 v2, v2
	ds_load_b64 v[23:24], v20 offset:9216
	s_wait_dscnt 0x1
	v_add_nc_u32_e32 v2, v2, v34
	s_delay_alu instid0(VALU_DEP_1) | instskip(NEXT) | instid1(VALU_DEP_1)
	v_lshlrev_b64_e32 v[25:26], 3, v[2:3]
	v_add_co_u32 v25, s17, s26, v25
	s_wait_alu 0xf1ff
	s_delay_alu instid0(VALU_DEP_2)
	v_add_co_ci_u32_e64 v26, null, s27, v26, s17
	s_wait_dscnt 0x0
	global_store_b64 v[25:26], v[23:24], off
	s_wait_alu 0xfffe
	s_or_b32 exec_lo, exec_lo, s18
	s_and_saveexec_b32 s17, s16
	s_cbranch_execz .LBB1641_636
.LBB1641_668:                           ;   in Loop: Header=BB1641_558 Depth=2
	v_lshlrev_b32_e32 v2, 2, v88
	ds_load_b32 v2, v2
	ds_load_b64 v[23:24], v20 offset:11264
	s_wait_dscnt 0x1
	v_add_nc_u32_e32 v2, v2, v35
	s_delay_alu instid0(VALU_DEP_1) | instskip(NEXT) | instid1(VALU_DEP_1)
	v_lshlrev_b64_e32 v[25:26], 3, v[2:3]
	v_add_co_u32 v25, s16, s26, v25
	s_wait_alu 0xf1ff
	s_delay_alu instid0(VALU_DEP_2)
	v_add_co_ci_u32_e64 v26, null, s27, v26, s16
	s_wait_dscnt 0x0
	global_store_b64 v[25:26], v[23:24], off
	s_wait_alu 0xfffe
	s_or_b32 exec_lo, exec_lo, s17
	s_and_saveexec_b32 s16, s15
	s_cbranch_execz .LBB1641_637
.LBB1641_669:                           ;   in Loop: Header=BB1641_558 Depth=2
	v_lshlrev_b32_e32 v2, 2, v87
	ds_load_b32 v2, v2
	ds_load_b64 v[23:24], v20 offset:13312
	s_wait_dscnt 0x1
	v_add_nc_u32_e32 v2, v2, v36
	s_delay_alu instid0(VALU_DEP_1) | instskip(NEXT) | instid1(VALU_DEP_1)
	v_lshlrev_b64_e32 v[25:26], 3, v[2:3]
	v_add_co_u32 v25, s15, s26, v25
	s_wait_alu 0xf1ff
	s_delay_alu instid0(VALU_DEP_2)
	v_add_co_ci_u32_e64 v26, null, s27, v26, s15
	s_wait_dscnt 0x0
	global_store_b64 v[25:26], v[23:24], off
	s_wait_alu 0xfffe
	s_or_b32 exec_lo, exec_lo, s16
	s_and_saveexec_b32 s15, vcc_lo
	s_cbranch_execnz .LBB1641_638
	s_branch .LBB1641_639
.LBB1641_670:
	s_endpgm
	.section	.rodata,"a",@progbits
	.p2align	6, 0x0
	.amdhsa_kernel _ZN7rocprim17ROCPRIM_400000_NS6detail17trampoline_kernelINS0_14default_configENS1_36segmented_radix_sort_config_selectorIblEEZNS1_25segmented_radix_sort_implIS3_Lb0EPKbPbPKlPlN2at6native12_GLOBAL__N_18offset_tEEE10hipError_tPvRmT1_PNSt15iterator_traitsISK_E10value_typeET2_T3_PNSL_ISQ_E10value_typeET4_jRbjT5_SW_jjP12ihipStream_tbEUlT_E_NS1_11comp_targetILNS1_3genE10ELNS1_11target_archE1201ELNS1_3gpuE5ELNS1_3repE0EEENS1_30default_config_static_selectorELNS0_4arch9wavefront6targetE0EEEvSK_
		.amdhsa_group_segment_fixed_size 17440
		.amdhsa_private_segment_fixed_size 0
		.amdhsa_kernarg_size 352
		.amdhsa_user_sgpr_count 2
		.amdhsa_user_sgpr_dispatch_ptr 0
		.amdhsa_user_sgpr_queue_ptr 0
		.amdhsa_user_sgpr_kernarg_segment_ptr 1
		.amdhsa_user_sgpr_dispatch_id 0
		.amdhsa_user_sgpr_private_segment_size 0
		.amdhsa_wavefront_size32 1
		.amdhsa_uses_dynamic_stack 0
		.amdhsa_enable_private_segment 0
		.amdhsa_system_sgpr_workgroup_id_x 1
		.amdhsa_system_sgpr_workgroup_id_y 1
		.amdhsa_system_sgpr_workgroup_id_z 0
		.amdhsa_system_sgpr_workgroup_info 0
		.amdhsa_system_vgpr_workitem_id 2
		.amdhsa_next_free_vgpr 197
		.amdhsa_next_free_sgpr 50
		.amdhsa_reserve_vcc 1
		.amdhsa_float_round_mode_32 0
		.amdhsa_float_round_mode_16_64 0
		.amdhsa_float_denorm_mode_32 3
		.amdhsa_float_denorm_mode_16_64 3
		.amdhsa_fp16_overflow 0
		.amdhsa_workgroup_processor_mode 1
		.amdhsa_memory_ordered 1
		.amdhsa_forward_progress 1
		.amdhsa_inst_pref_size 255
		.amdhsa_round_robin_scheduling 0
		.amdhsa_exception_fp_ieee_invalid_op 0
		.amdhsa_exception_fp_denorm_src 0
		.amdhsa_exception_fp_ieee_div_zero 0
		.amdhsa_exception_fp_ieee_overflow 0
		.amdhsa_exception_fp_ieee_underflow 0
		.amdhsa_exception_fp_ieee_inexact 0
		.amdhsa_exception_int_div_zero 0
	.end_amdhsa_kernel
	.section	.text._ZN7rocprim17ROCPRIM_400000_NS6detail17trampoline_kernelINS0_14default_configENS1_36segmented_radix_sort_config_selectorIblEEZNS1_25segmented_radix_sort_implIS3_Lb0EPKbPbPKlPlN2at6native12_GLOBAL__N_18offset_tEEE10hipError_tPvRmT1_PNSt15iterator_traitsISK_E10value_typeET2_T3_PNSL_ISQ_E10value_typeET4_jRbjT5_SW_jjP12ihipStream_tbEUlT_E_NS1_11comp_targetILNS1_3genE10ELNS1_11target_archE1201ELNS1_3gpuE5ELNS1_3repE0EEENS1_30default_config_static_selectorELNS0_4arch9wavefront6targetE0EEEvSK_,"axG",@progbits,_ZN7rocprim17ROCPRIM_400000_NS6detail17trampoline_kernelINS0_14default_configENS1_36segmented_radix_sort_config_selectorIblEEZNS1_25segmented_radix_sort_implIS3_Lb0EPKbPbPKlPlN2at6native12_GLOBAL__N_18offset_tEEE10hipError_tPvRmT1_PNSt15iterator_traitsISK_E10value_typeET2_T3_PNSL_ISQ_E10value_typeET4_jRbjT5_SW_jjP12ihipStream_tbEUlT_E_NS1_11comp_targetILNS1_3genE10ELNS1_11target_archE1201ELNS1_3gpuE5ELNS1_3repE0EEENS1_30default_config_static_selectorELNS0_4arch9wavefront6targetE0EEEvSK_,comdat
.Lfunc_end1641:
	.size	_ZN7rocprim17ROCPRIM_400000_NS6detail17trampoline_kernelINS0_14default_configENS1_36segmented_radix_sort_config_selectorIblEEZNS1_25segmented_radix_sort_implIS3_Lb0EPKbPbPKlPlN2at6native12_GLOBAL__N_18offset_tEEE10hipError_tPvRmT1_PNSt15iterator_traitsISK_E10value_typeET2_T3_PNSL_ISQ_E10value_typeET4_jRbjT5_SW_jjP12ihipStream_tbEUlT_E_NS1_11comp_targetILNS1_3genE10ELNS1_11target_archE1201ELNS1_3gpuE5ELNS1_3repE0EEENS1_30default_config_static_selectorELNS0_4arch9wavefront6targetE0EEEvSK_, .Lfunc_end1641-_ZN7rocprim17ROCPRIM_400000_NS6detail17trampoline_kernelINS0_14default_configENS1_36segmented_radix_sort_config_selectorIblEEZNS1_25segmented_radix_sort_implIS3_Lb0EPKbPbPKlPlN2at6native12_GLOBAL__N_18offset_tEEE10hipError_tPvRmT1_PNSt15iterator_traitsISK_E10value_typeET2_T3_PNSL_ISQ_E10value_typeET4_jRbjT5_SW_jjP12ihipStream_tbEUlT_E_NS1_11comp_targetILNS1_3genE10ELNS1_11target_archE1201ELNS1_3gpuE5ELNS1_3repE0EEENS1_30default_config_static_selectorELNS0_4arch9wavefront6targetE0EEEvSK_
                                        ; -- End function
	.set _ZN7rocprim17ROCPRIM_400000_NS6detail17trampoline_kernelINS0_14default_configENS1_36segmented_radix_sort_config_selectorIblEEZNS1_25segmented_radix_sort_implIS3_Lb0EPKbPbPKlPlN2at6native12_GLOBAL__N_18offset_tEEE10hipError_tPvRmT1_PNSt15iterator_traitsISK_E10value_typeET2_T3_PNSL_ISQ_E10value_typeET4_jRbjT5_SW_jjP12ihipStream_tbEUlT_E_NS1_11comp_targetILNS1_3genE10ELNS1_11target_archE1201ELNS1_3gpuE5ELNS1_3repE0EEENS1_30default_config_static_selectorELNS0_4arch9wavefront6targetE0EEEvSK_.num_vgpr, max(133, .L_ZN7rocprim17ROCPRIM_400000_NS6detail40segmented_radix_sort_single_block_helperIblLj256ELj8ELb0EE4sortIPKbPbPKlPlEEbT_T0_T1_T2_jjjjRNS3_12storage_typeE.num_vgpr)
	.set _ZN7rocprim17ROCPRIM_400000_NS6detail17trampoline_kernelINS0_14default_configENS1_36segmented_radix_sort_config_selectorIblEEZNS1_25segmented_radix_sort_implIS3_Lb0EPKbPbPKlPlN2at6native12_GLOBAL__N_18offset_tEEE10hipError_tPvRmT1_PNSt15iterator_traitsISK_E10value_typeET2_T3_PNSL_ISQ_E10value_typeET4_jRbjT5_SW_jjP12ihipStream_tbEUlT_E_NS1_11comp_targetILNS1_3genE10ELNS1_11target_archE1201ELNS1_3gpuE5ELNS1_3repE0EEENS1_30default_config_static_selectorELNS0_4arch9wavefront6targetE0EEEvSK_.num_agpr, max(0, .L_ZN7rocprim17ROCPRIM_400000_NS6detail40segmented_radix_sort_single_block_helperIblLj256ELj8ELb0EE4sortIPKbPbPKlPlEEbT_T0_T1_T2_jjjjRNS3_12storage_typeE.num_agpr)
	.set _ZN7rocprim17ROCPRIM_400000_NS6detail17trampoline_kernelINS0_14default_configENS1_36segmented_radix_sort_config_selectorIblEEZNS1_25segmented_radix_sort_implIS3_Lb0EPKbPbPKlPlN2at6native12_GLOBAL__N_18offset_tEEE10hipError_tPvRmT1_PNSt15iterator_traitsISK_E10value_typeET2_T3_PNSL_ISQ_E10value_typeET4_jRbjT5_SW_jjP12ihipStream_tbEUlT_E_NS1_11comp_targetILNS1_3genE10ELNS1_11target_archE1201ELNS1_3gpuE5ELNS1_3repE0EEENS1_30default_config_static_selectorELNS0_4arch9wavefront6targetE0EEEvSK_.numbered_sgpr, max(50, .L_ZN7rocprim17ROCPRIM_400000_NS6detail40segmented_radix_sort_single_block_helperIblLj256ELj8ELb0EE4sortIPKbPbPKlPlEEbT_T0_T1_T2_jjjjRNS3_12storage_typeE.numbered_sgpr)
	.set _ZN7rocprim17ROCPRIM_400000_NS6detail17trampoline_kernelINS0_14default_configENS1_36segmented_radix_sort_config_selectorIblEEZNS1_25segmented_radix_sort_implIS3_Lb0EPKbPbPKlPlN2at6native12_GLOBAL__N_18offset_tEEE10hipError_tPvRmT1_PNSt15iterator_traitsISK_E10value_typeET2_T3_PNSL_ISQ_E10value_typeET4_jRbjT5_SW_jjP12ihipStream_tbEUlT_E_NS1_11comp_targetILNS1_3genE10ELNS1_11target_archE1201ELNS1_3gpuE5ELNS1_3repE0EEENS1_30default_config_static_selectorELNS0_4arch9wavefront6targetE0EEEvSK_.num_named_barrier, max(0, .L_ZN7rocprim17ROCPRIM_400000_NS6detail40segmented_radix_sort_single_block_helperIblLj256ELj8ELb0EE4sortIPKbPbPKlPlEEbT_T0_T1_T2_jjjjRNS3_12storage_typeE.num_named_barrier)
	.set _ZN7rocprim17ROCPRIM_400000_NS6detail17trampoline_kernelINS0_14default_configENS1_36segmented_radix_sort_config_selectorIblEEZNS1_25segmented_radix_sort_implIS3_Lb0EPKbPbPKlPlN2at6native12_GLOBAL__N_18offset_tEEE10hipError_tPvRmT1_PNSt15iterator_traitsISK_E10value_typeET2_T3_PNSL_ISQ_E10value_typeET4_jRbjT5_SW_jjP12ihipStream_tbEUlT_E_NS1_11comp_targetILNS1_3genE10ELNS1_11target_archE1201ELNS1_3gpuE5ELNS1_3repE0EEENS1_30default_config_static_selectorELNS0_4arch9wavefront6targetE0EEEvSK_.private_seg_size, 0+max(.L_ZN7rocprim17ROCPRIM_400000_NS6detail40segmented_radix_sort_single_block_helperIblLj256ELj8ELb0EE4sortIPKbPbPKlPlEEbT_T0_T1_T2_jjjjRNS3_12storage_typeE.private_seg_size)
	.set _ZN7rocprim17ROCPRIM_400000_NS6detail17trampoline_kernelINS0_14default_configENS1_36segmented_radix_sort_config_selectorIblEEZNS1_25segmented_radix_sort_implIS3_Lb0EPKbPbPKlPlN2at6native12_GLOBAL__N_18offset_tEEE10hipError_tPvRmT1_PNSt15iterator_traitsISK_E10value_typeET2_T3_PNSL_ISQ_E10value_typeET4_jRbjT5_SW_jjP12ihipStream_tbEUlT_E_NS1_11comp_targetILNS1_3genE10ELNS1_11target_archE1201ELNS1_3gpuE5ELNS1_3repE0EEENS1_30default_config_static_selectorELNS0_4arch9wavefront6targetE0EEEvSK_.uses_vcc, or(1, .L_ZN7rocprim17ROCPRIM_400000_NS6detail40segmented_radix_sort_single_block_helperIblLj256ELj8ELb0EE4sortIPKbPbPKlPlEEbT_T0_T1_T2_jjjjRNS3_12storage_typeE.uses_vcc)
	.set _ZN7rocprim17ROCPRIM_400000_NS6detail17trampoline_kernelINS0_14default_configENS1_36segmented_radix_sort_config_selectorIblEEZNS1_25segmented_radix_sort_implIS3_Lb0EPKbPbPKlPlN2at6native12_GLOBAL__N_18offset_tEEE10hipError_tPvRmT1_PNSt15iterator_traitsISK_E10value_typeET2_T3_PNSL_ISQ_E10value_typeET4_jRbjT5_SW_jjP12ihipStream_tbEUlT_E_NS1_11comp_targetILNS1_3genE10ELNS1_11target_archE1201ELNS1_3gpuE5ELNS1_3repE0EEENS1_30default_config_static_selectorELNS0_4arch9wavefront6targetE0EEEvSK_.uses_flat_scratch, or(0, .L_ZN7rocprim17ROCPRIM_400000_NS6detail40segmented_radix_sort_single_block_helperIblLj256ELj8ELb0EE4sortIPKbPbPKlPlEEbT_T0_T1_T2_jjjjRNS3_12storage_typeE.uses_flat_scratch)
	.set _ZN7rocprim17ROCPRIM_400000_NS6detail17trampoline_kernelINS0_14default_configENS1_36segmented_radix_sort_config_selectorIblEEZNS1_25segmented_radix_sort_implIS3_Lb0EPKbPbPKlPlN2at6native12_GLOBAL__N_18offset_tEEE10hipError_tPvRmT1_PNSt15iterator_traitsISK_E10value_typeET2_T3_PNSL_ISQ_E10value_typeET4_jRbjT5_SW_jjP12ihipStream_tbEUlT_E_NS1_11comp_targetILNS1_3genE10ELNS1_11target_archE1201ELNS1_3gpuE5ELNS1_3repE0EEENS1_30default_config_static_selectorELNS0_4arch9wavefront6targetE0EEEvSK_.has_dyn_sized_stack, or(0, .L_ZN7rocprim17ROCPRIM_400000_NS6detail40segmented_radix_sort_single_block_helperIblLj256ELj8ELb0EE4sortIPKbPbPKlPlEEbT_T0_T1_T2_jjjjRNS3_12storage_typeE.has_dyn_sized_stack)
	.set _ZN7rocprim17ROCPRIM_400000_NS6detail17trampoline_kernelINS0_14default_configENS1_36segmented_radix_sort_config_selectorIblEEZNS1_25segmented_radix_sort_implIS3_Lb0EPKbPbPKlPlN2at6native12_GLOBAL__N_18offset_tEEE10hipError_tPvRmT1_PNSt15iterator_traitsISK_E10value_typeET2_T3_PNSL_ISQ_E10value_typeET4_jRbjT5_SW_jjP12ihipStream_tbEUlT_E_NS1_11comp_targetILNS1_3genE10ELNS1_11target_archE1201ELNS1_3gpuE5ELNS1_3repE0EEENS1_30default_config_static_selectorELNS0_4arch9wavefront6targetE0EEEvSK_.has_recursion, or(0, .L_ZN7rocprim17ROCPRIM_400000_NS6detail40segmented_radix_sort_single_block_helperIblLj256ELj8ELb0EE4sortIPKbPbPKlPlEEbT_T0_T1_T2_jjjjRNS3_12storage_typeE.has_recursion)
	.set _ZN7rocprim17ROCPRIM_400000_NS6detail17trampoline_kernelINS0_14default_configENS1_36segmented_radix_sort_config_selectorIblEEZNS1_25segmented_radix_sort_implIS3_Lb0EPKbPbPKlPlN2at6native12_GLOBAL__N_18offset_tEEE10hipError_tPvRmT1_PNSt15iterator_traitsISK_E10value_typeET2_T3_PNSL_ISQ_E10value_typeET4_jRbjT5_SW_jjP12ihipStream_tbEUlT_E_NS1_11comp_targetILNS1_3genE10ELNS1_11target_archE1201ELNS1_3gpuE5ELNS1_3repE0EEENS1_30default_config_static_selectorELNS0_4arch9wavefront6targetE0EEEvSK_.has_indirect_call, or(0, .L_ZN7rocprim17ROCPRIM_400000_NS6detail40segmented_radix_sort_single_block_helperIblLj256ELj8ELb0EE4sortIPKbPbPKlPlEEbT_T0_T1_T2_jjjjRNS3_12storage_typeE.has_indirect_call)
	.section	.AMDGPU.csdata,"",@progbits
; Kernel info:
; codeLenInByte = 34092
; TotalNumSgprs: 52
; NumVgprs: 197
; ScratchSize: 0
; MemoryBound: 0
; FloatMode: 240
; IeeeMode: 1
; LDSByteSize: 17440 bytes/workgroup (compile time only)
; SGPRBlocks: 0
; VGPRBlocks: 24
; NumSGPRsForWavesPerEU: 52
; NumVGPRsForWavesPerEU: 197
; Occupancy: 7
; WaveLimiterHint : 1
; COMPUTE_PGM_RSRC2:SCRATCH_EN: 0
; COMPUTE_PGM_RSRC2:USER_SGPR: 2
; COMPUTE_PGM_RSRC2:TRAP_HANDLER: 0
; COMPUTE_PGM_RSRC2:TGID_X_EN: 1
; COMPUTE_PGM_RSRC2:TGID_Y_EN: 1
; COMPUTE_PGM_RSRC2:TGID_Z_EN: 0
; COMPUTE_PGM_RSRC2:TIDIG_COMP_CNT: 2
	.section	.text._ZN7rocprim17ROCPRIM_400000_NS6detail17trampoline_kernelINS0_14default_configENS1_36segmented_radix_sort_config_selectorIblEEZNS1_25segmented_radix_sort_implIS3_Lb0EPKbPbPKlPlN2at6native12_GLOBAL__N_18offset_tEEE10hipError_tPvRmT1_PNSt15iterator_traitsISK_E10value_typeET2_T3_PNSL_ISQ_E10value_typeET4_jRbjT5_SW_jjP12ihipStream_tbEUlT_E_NS1_11comp_targetILNS1_3genE10ELNS1_11target_archE1200ELNS1_3gpuE4ELNS1_3repE0EEENS1_30default_config_static_selectorELNS0_4arch9wavefront6targetE0EEEvSK_,"axG",@progbits,_ZN7rocprim17ROCPRIM_400000_NS6detail17trampoline_kernelINS0_14default_configENS1_36segmented_radix_sort_config_selectorIblEEZNS1_25segmented_radix_sort_implIS3_Lb0EPKbPbPKlPlN2at6native12_GLOBAL__N_18offset_tEEE10hipError_tPvRmT1_PNSt15iterator_traitsISK_E10value_typeET2_T3_PNSL_ISQ_E10value_typeET4_jRbjT5_SW_jjP12ihipStream_tbEUlT_E_NS1_11comp_targetILNS1_3genE10ELNS1_11target_archE1200ELNS1_3gpuE4ELNS1_3repE0EEENS1_30default_config_static_selectorELNS0_4arch9wavefront6targetE0EEEvSK_,comdat
	.globl	_ZN7rocprim17ROCPRIM_400000_NS6detail17trampoline_kernelINS0_14default_configENS1_36segmented_radix_sort_config_selectorIblEEZNS1_25segmented_radix_sort_implIS3_Lb0EPKbPbPKlPlN2at6native12_GLOBAL__N_18offset_tEEE10hipError_tPvRmT1_PNSt15iterator_traitsISK_E10value_typeET2_T3_PNSL_ISQ_E10value_typeET4_jRbjT5_SW_jjP12ihipStream_tbEUlT_E_NS1_11comp_targetILNS1_3genE10ELNS1_11target_archE1200ELNS1_3gpuE4ELNS1_3repE0EEENS1_30default_config_static_selectorELNS0_4arch9wavefront6targetE0EEEvSK_ ; -- Begin function _ZN7rocprim17ROCPRIM_400000_NS6detail17trampoline_kernelINS0_14default_configENS1_36segmented_radix_sort_config_selectorIblEEZNS1_25segmented_radix_sort_implIS3_Lb0EPKbPbPKlPlN2at6native12_GLOBAL__N_18offset_tEEE10hipError_tPvRmT1_PNSt15iterator_traitsISK_E10value_typeET2_T3_PNSL_ISQ_E10value_typeET4_jRbjT5_SW_jjP12ihipStream_tbEUlT_E_NS1_11comp_targetILNS1_3genE10ELNS1_11target_archE1200ELNS1_3gpuE4ELNS1_3repE0EEENS1_30default_config_static_selectorELNS0_4arch9wavefront6targetE0EEEvSK_
	.p2align	8
	.type	_ZN7rocprim17ROCPRIM_400000_NS6detail17trampoline_kernelINS0_14default_configENS1_36segmented_radix_sort_config_selectorIblEEZNS1_25segmented_radix_sort_implIS3_Lb0EPKbPbPKlPlN2at6native12_GLOBAL__N_18offset_tEEE10hipError_tPvRmT1_PNSt15iterator_traitsISK_E10value_typeET2_T3_PNSL_ISQ_E10value_typeET4_jRbjT5_SW_jjP12ihipStream_tbEUlT_E_NS1_11comp_targetILNS1_3genE10ELNS1_11target_archE1200ELNS1_3gpuE4ELNS1_3repE0EEENS1_30default_config_static_selectorELNS0_4arch9wavefront6targetE0EEEvSK_,@function
_ZN7rocprim17ROCPRIM_400000_NS6detail17trampoline_kernelINS0_14default_configENS1_36segmented_radix_sort_config_selectorIblEEZNS1_25segmented_radix_sort_implIS3_Lb0EPKbPbPKlPlN2at6native12_GLOBAL__N_18offset_tEEE10hipError_tPvRmT1_PNSt15iterator_traitsISK_E10value_typeET2_T3_PNSL_ISQ_E10value_typeET4_jRbjT5_SW_jjP12ihipStream_tbEUlT_E_NS1_11comp_targetILNS1_3genE10ELNS1_11target_archE1200ELNS1_3gpuE4ELNS1_3repE0EEENS1_30default_config_static_selectorELNS0_4arch9wavefront6targetE0EEEvSK_: ; @_ZN7rocprim17ROCPRIM_400000_NS6detail17trampoline_kernelINS0_14default_configENS1_36segmented_radix_sort_config_selectorIblEEZNS1_25segmented_radix_sort_implIS3_Lb0EPKbPbPKlPlN2at6native12_GLOBAL__N_18offset_tEEE10hipError_tPvRmT1_PNSt15iterator_traitsISK_E10value_typeET2_T3_PNSL_ISQ_E10value_typeET4_jRbjT5_SW_jjP12ihipStream_tbEUlT_E_NS1_11comp_targetILNS1_3genE10ELNS1_11target_archE1200ELNS1_3gpuE4ELNS1_3repE0EEENS1_30default_config_static_selectorELNS0_4arch9wavefront6targetE0EEEvSK_
; %bb.0:
	.section	.rodata,"a",@progbits
	.p2align	6, 0x0
	.amdhsa_kernel _ZN7rocprim17ROCPRIM_400000_NS6detail17trampoline_kernelINS0_14default_configENS1_36segmented_radix_sort_config_selectorIblEEZNS1_25segmented_radix_sort_implIS3_Lb0EPKbPbPKlPlN2at6native12_GLOBAL__N_18offset_tEEE10hipError_tPvRmT1_PNSt15iterator_traitsISK_E10value_typeET2_T3_PNSL_ISQ_E10value_typeET4_jRbjT5_SW_jjP12ihipStream_tbEUlT_E_NS1_11comp_targetILNS1_3genE10ELNS1_11target_archE1200ELNS1_3gpuE4ELNS1_3repE0EEENS1_30default_config_static_selectorELNS0_4arch9wavefront6targetE0EEEvSK_
		.amdhsa_group_segment_fixed_size 0
		.amdhsa_private_segment_fixed_size 0
		.amdhsa_kernarg_size 96
		.amdhsa_user_sgpr_count 2
		.amdhsa_user_sgpr_dispatch_ptr 0
		.amdhsa_user_sgpr_queue_ptr 0
		.amdhsa_user_sgpr_kernarg_segment_ptr 1
		.amdhsa_user_sgpr_dispatch_id 0
		.amdhsa_user_sgpr_private_segment_size 0
		.amdhsa_wavefront_size32 1
		.amdhsa_uses_dynamic_stack 0
		.amdhsa_enable_private_segment 0
		.amdhsa_system_sgpr_workgroup_id_x 1
		.amdhsa_system_sgpr_workgroup_id_y 0
		.amdhsa_system_sgpr_workgroup_id_z 0
		.amdhsa_system_sgpr_workgroup_info 0
		.amdhsa_system_vgpr_workitem_id 0
		.amdhsa_next_free_vgpr 1
		.amdhsa_next_free_sgpr 1
		.amdhsa_reserve_vcc 0
		.amdhsa_float_round_mode_32 0
		.amdhsa_float_round_mode_16_64 0
		.amdhsa_float_denorm_mode_32 3
		.amdhsa_float_denorm_mode_16_64 3
		.amdhsa_fp16_overflow 0
		.amdhsa_workgroup_processor_mode 1
		.amdhsa_memory_ordered 1
		.amdhsa_forward_progress 1
		.amdhsa_inst_pref_size 0
		.amdhsa_round_robin_scheduling 0
		.amdhsa_exception_fp_ieee_invalid_op 0
		.amdhsa_exception_fp_denorm_src 0
		.amdhsa_exception_fp_ieee_div_zero 0
		.amdhsa_exception_fp_ieee_overflow 0
		.amdhsa_exception_fp_ieee_underflow 0
		.amdhsa_exception_fp_ieee_inexact 0
		.amdhsa_exception_int_div_zero 0
	.end_amdhsa_kernel
	.section	.text._ZN7rocprim17ROCPRIM_400000_NS6detail17trampoline_kernelINS0_14default_configENS1_36segmented_radix_sort_config_selectorIblEEZNS1_25segmented_radix_sort_implIS3_Lb0EPKbPbPKlPlN2at6native12_GLOBAL__N_18offset_tEEE10hipError_tPvRmT1_PNSt15iterator_traitsISK_E10value_typeET2_T3_PNSL_ISQ_E10value_typeET4_jRbjT5_SW_jjP12ihipStream_tbEUlT_E_NS1_11comp_targetILNS1_3genE10ELNS1_11target_archE1200ELNS1_3gpuE4ELNS1_3repE0EEENS1_30default_config_static_selectorELNS0_4arch9wavefront6targetE0EEEvSK_,"axG",@progbits,_ZN7rocprim17ROCPRIM_400000_NS6detail17trampoline_kernelINS0_14default_configENS1_36segmented_radix_sort_config_selectorIblEEZNS1_25segmented_radix_sort_implIS3_Lb0EPKbPbPKlPlN2at6native12_GLOBAL__N_18offset_tEEE10hipError_tPvRmT1_PNSt15iterator_traitsISK_E10value_typeET2_T3_PNSL_ISQ_E10value_typeET4_jRbjT5_SW_jjP12ihipStream_tbEUlT_E_NS1_11comp_targetILNS1_3genE10ELNS1_11target_archE1200ELNS1_3gpuE4ELNS1_3repE0EEENS1_30default_config_static_selectorELNS0_4arch9wavefront6targetE0EEEvSK_,comdat
.Lfunc_end1642:
	.size	_ZN7rocprim17ROCPRIM_400000_NS6detail17trampoline_kernelINS0_14default_configENS1_36segmented_radix_sort_config_selectorIblEEZNS1_25segmented_radix_sort_implIS3_Lb0EPKbPbPKlPlN2at6native12_GLOBAL__N_18offset_tEEE10hipError_tPvRmT1_PNSt15iterator_traitsISK_E10value_typeET2_T3_PNSL_ISQ_E10value_typeET4_jRbjT5_SW_jjP12ihipStream_tbEUlT_E_NS1_11comp_targetILNS1_3genE10ELNS1_11target_archE1200ELNS1_3gpuE4ELNS1_3repE0EEENS1_30default_config_static_selectorELNS0_4arch9wavefront6targetE0EEEvSK_, .Lfunc_end1642-_ZN7rocprim17ROCPRIM_400000_NS6detail17trampoline_kernelINS0_14default_configENS1_36segmented_radix_sort_config_selectorIblEEZNS1_25segmented_radix_sort_implIS3_Lb0EPKbPbPKlPlN2at6native12_GLOBAL__N_18offset_tEEE10hipError_tPvRmT1_PNSt15iterator_traitsISK_E10value_typeET2_T3_PNSL_ISQ_E10value_typeET4_jRbjT5_SW_jjP12ihipStream_tbEUlT_E_NS1_11comp_targetILNS1_3genE10ELNS1_11target_archE1200ELNS1_3gpuE4ELNS1_3repE0EEENS1_30default_config_static_selectorELNS0_4arch9wavefront6targetE0EEEvSK_
                                        ; -- End function
	.set _ZN7rocprim17ROCPRIM_400000_NS6detail17trampoline_kernelINS0_14default_configENS1_36segmented_radix_sort_config_selectorIblEEZNS1_25segmented_radix_sort_implIS3_Lb0EPKbPbPKlPlN2at6native12_GLOBAL__N_18offset_tEEE10hipError_tPvRmT1_PNSt15iterator_traitsISK_E10value_typeET2_T3_PNSL_ISQ_E10value_typeET4_jRbjT5_SW_jjP12ihipStream_tbEUlT_E_NS1_11comp_targetILNS1_3genE10ELNS1_11target_archE1200ELNS1_3gpuE4ELNS1_3repE0EEENS1_30default_config_static_selectorELNS0_4arch9wavefront6targetE0EEEvSK_.num_vgpr, 0
	.set _ZN7rocprim17ROCPRIM_400000_NS6detail17trampoline_kernelINS0_14default_configENS1_36segmented_radix_sort_config_selectorIblEEZNS1_25segmented_radix_sort_implIS3_Lb0EPKbPbPKlPlN2at6native12_GLOBAL__N_18offset_tEEE10hipError_tPvRmT1_PNSt15iterator_traitsISK_E10value_typeET2_T3_PNSL_ISQ_E10value_typeET4_jRbjT5_SW_jjP12ihipStream_tbEUlT_E_NS1_11comp_targetILNS1_3genE10ELNS1_11target_archE1200ELNS1_3gpuE4ELNS1_3repE0EEENS1_30default_config_static_selectorELNS0_4arch9wavefront6targetE0EEEvSK_.num_agpr, 0
	.set _ZN7rocprim17ROCPRIM_400000_NS6detail17trampoline_kernelINS0_14default_configENS1_36segmented_radix_sort_config_selectorIblEEZNS1_25segmented_radix_sort_implIS3_Lb0EPKbPbPKlPlN2at6native12_GLOBAL__N_18offset_tEEE10hipError_tPvRmT1_PNSt15iterator_traitsISK_E10value_typeET2_T3_PNSL_ISQ_E10value_typeET4_jRbjT5_SW_jjP12ihipStream_tbEUlT_E_NS1_11comp_targetILNS1_3genE10ELNS1_11target_archE1200ELNS1_3gpuE4ELNS1_3repE0EEENS1_30default_config_static_selectorELNS0_4arch9wavefront6targetE0EEEvSK_.numbered_sgpr, 0
	.set _ZN7rocprim17ROCPRIM_400000_NS6detail17trampoline_kernelINS0_14default_configENS1_36segmented_radix_sort_config_selectorIblEEZNS1_25segmented_radix_sort_implIS3_Lb0EPKbPbPKlPlN2at6native12_GLOBAL__N_18offset_tEEE10hipError_tPvRmT1_PNSt15iterator_traitsISK_E10value_typeET2_T3_PNSL_ISQ_E10value_typeET4_jRbjT5_SW_jjP12ihipStream_tbEUlT_E_NS1_11comp_targetILNS1_3genE10ELNS1_11target_archE1200ELNS1_3gpuE4ELNS1_3repE0EEENS1_30default_config_static_selectorELNS0_4arch9wavefront6targetE0EEEvSK_.num_named_barrier, 0
	.set _ZN7rocprim17ROCPRIM_400000_NS6detail17trampoline_kernelINS0_14default_configENS1_36segmented_radix_sort_config_selectorIblEEZNS1_25segmented_radix_sort_implIS3_Lb0EPKbPbPKlPlN2at6native12_GLOBAL__N_18offset_tEEE10hipError_tPvRmT1_PNSt15iterator_traitsISK_E10value_typeET2_T3_PNSL_ISQ_E10value_typeET4_jRbjT5_SW_jjP12ihipStream_tbEUlT_E_NS1_11comp_targetILNS1_3genE10ELNS1_11target_archE1200ELNS1_3gpuE4ELNS1_3repE0EEENS1_30default_config_static_selectorELNS0_4arch9wavefront6targetE0EEEvSK_.private_seg_size, 0
	.set _ZN7rocprim17ROCPRIM_400000_NS6detail17trampoline_kernelINS0_14default_configENS1_36segmented_radix_sort_config_selectorIblEEZNS1_25segmented_radix_sort_implIS3_Lb0EPKbPbPKlPlN2at6native12_GLOBAL__N_18offset_tEEE10hipError_tPvRmT1_PNSt15iterator_traitsISK_E10value_typeET2_T3_PNSL_ISQ_E10value_typeET4_jRbjT5_SW_jjP12ihipStream_tbEUlT_E_NS1_11comp_targetILNS1_3genE10ELNS1_11target_archE1200ELNS1_3gpuE4ELNS1_3repE0EEENS1_30default_config_static_selectorELNS0_4arch9wavefront6targetE0EEEvSK_.uses_vcc, 0
	.set _ZN7rocprim17ROCPRIM_400000_NS6detail17trampoline_kernelINS0_14default_configENS1_36segmented_radix_sort_config_selectorIblEEZNS1_25segmented_radix_sort_implIS3_Lb0EPKbPbPKlPlN2at6native12_GLOBAL__N_18offset_tEEE10hipError_tPvRmT1_PNSt15iterator_traitsISK_E10value_typeET2_T3_PNSL_ISQ_E10value_typeET4_jRbjT5_SW_jjP12ihipStream_tbEUlT_E_NS1_11comp_targetILNS1_3genE10ELNS1_11target_archE1200ELNS1_3gpuE4ELNS1_3repE0EEENS1_30default_config_static_selectorELNS0_4arch9wavefront6targetE0EEEvSK_.uses_flat_scratch, 0
	.set _ZN7rocprim17ROCPRIM_400000_NS6detail17trampoline_kernelINS0_14default_configENS1_36segmented_radix_sort_config_selectorIblEEZNS1_25segmented_radix_sort_implIS3_Lb0EPKbPbPKlPlN2at6native12_GLOBAL__N_18offset_tEEE10hipError_tPvRmT1_PNSt15iterator_traitsISK_E10value_typeET2_T3_PNSL_ISQ_E10value_typeET4_jRbjT5_SW_jjP12ihipStream_tbEUlT_E_NS1_11comp_targetILNS1_3genE10ELNS1_11target_archE1200ELNS1_3gpuE4ELNS1_3repE0EEENS1_30default_config_static_selectorELNS0_4arch9wavefront6targetE0EEEvSK_.has_dyn_sized_stack, 0
	.set _ZN7rocprim17ROCPRIM_400000_NS6detail17trampoline_kernelINS0_14default_configENS1_36segmented_radix_sort_config_selectorIblEEZNS1_25segmented_radix_sort_implIS3_Lb0EPKbPbPKlPlN2at6native12_GLOBAL__N_18offset_tEEE10hipError_tPvRmT1_PNSt15iterator_traitsISK_E10value_typeET2_T3_PNSL_ISQ_E10value_typeET4_jRbjT5_SW_jjP12ihipStream_tbEUlT_E_NS1_11comp_targetILNS1_3genE10ELNS1_11target_archE1200ELNS1_3gpuE4ELNS1_3repE0EEENS1_30default_config_static_selectorELNS0_4arch9wavefront6targetE0EEEvSK_.has_recursion, 0
	.set _ZN7rocprim17ROCPRIM_400000_NS6detail17trampoline_kernelINS0_14default_configENS1_36segmented_radix_sort_config_selectorIblEEZNS1_25segmented_radix_sort_implIS3_Lb0EPKbPbPKlPlN2at6native12_GLOBAL__N_18offset_tEEE10hipError_tPvRmT1_PNSt15iterator_traitsISK_E10value_typeET2_T3_PNSL_ISQ_E10value_typeET4_jRbjT5_SW_jjP12ihipStream_tbEUlT_E_NS1_11comp_targetILNS1_3genE10ELNS1_11target_archE1200ELNS1_3gpuE4ELNS1_3repE0EEENS1_30default_config_static_selectorELNS0_4arch9wavefront6targetE0EEEvSK_.has_indirect_call, 0
	.section	.AMDGPU.csdata,"",@progbits
; Kernel info:
; codeLenInByte = 0
; TotalNumSgprs: 0
; NumVgprs: 0
; ScratchSize: 0
; MemoryBound: 0
; FloatMode: 240
; IeeeMode: 1
; LDSByteSize: 0 bytes/workgroup (compile time only)
; SGPRBlocks: 0
; VGPRBlocks: 0
; NumSGPRsForWavesPerEU: 1
; NumVGPRsForWavesPerEU: 1
; Occupancy: 16
; WaveLimiterHint : 0
; COMPUTE_PGM_RSRC2:SCRATCH_EN: 0
; COMPUTE_PGM_RSRC2:USER_SGPR: 2
; COMPUTE_PGM_RSRC2:TRAP_HANDLER: 0
; COMPUTE_PGM_RSRC2:TGID_X_EN: 1
; COMPUTE_PGM_RSRC2:TGID_Y_EN: 0
; COMPUTE_PGM_RSRC2:TGID_Z_EN: 0
; COMPUTE_PGM_RSRC2:TIDIG_COMP_CNT: 0
	.section	.text._ZN7rocprim17ROCPRIM_400000_NS6detail17trampoline_kernelINS0_14default_configENS1_36segmented_radix_sort_config_selectorIblEEZNS1_25segmented_radix_sort_implIS3_Lb0EPKbPbPKlPlN2at6native12_GLOBAL__N_18offset_tEEE10hipError_tPvRmT1_PNSt15iterator_traitsISK_E10value_typeET2_T3_PNSL_ISQ_E10value_typeET4_jRbjT5_SW_jjP12ihipStream_tbEUlT_E_NS1_11comp_targetILNS1_3genE9ELNS1_11target_archE1100ELNS1_3gpuE3ELNS1_3repE0EEENS1_30default_config_static_selectorELNS0_4arch9wavefront6targetE0EEEvSK_,"axG",@progbits,_ZN7rocprim17ROCPRIM_400000_NS6detail17trampoline_kernelINS0_14default_configENS1_36segmented_radix_sort_config_selectorIblEEZNS1_25segmented_radix_sort_implIS3_Lb0EPKbPbPKlPlN2at6native12_GLOBAL__N_18offset_tEEE10hipError_tPvRmT1_PNSt15iterator_traitsISK_E10value_typeET2_T3_PNSL_ISQ_E10value_typeET4_jRbjT5_SW_jjP12ihipStream_tbEUlT_E_NS1_11comp_targetILNS1_3genE9ELNS1_11target_archE1100ELNS1_3gpuE3ELNS1_3repE0EEENS1_30default_config_static_selectorELNS0_4arch9wavefront6targetE0EEEvSK_,comdat
	.globl	_ZN7rocprim17ROCPRIM_400000_NS6detail17trampoline_kernelINS0_14default_configENS1_36segmented_radix_sort_config_selectorIblEEZNS1_25segmented_radix_sort_implIS3_Lb0EPKbPbPKlPlN2at6native12_GLOBAL__N_18offset_tEEE10hipError_tPvRmT1_PNSt15iterator_traitsISK_E10value_typeET2_T3_PNSL_ISQ_E10value_typeET4_jRbjT5_SW_jjP12ihipStream_tbEUlT_E_NS1_11comp_targetILNS1_3genE9ELNS1_11target_archE1100ELNS1_3gpuE3ELNS1_3repE0EEENS1_30default_config_static_selectorELNS0_4arch9wavefront6targetE0EEEvSK_ ; -- Begin function _ZN7rocprim17ROCPRIM_400000_NS6detail17trampoline_kernelINS0_14default_configENS1_36segmented_radix_sort_config_selectorIblEEZNS1_25segmented_radix_sort_implIS3_Lb0EPKbPbPKlPlN2at6native12_GLOBAL__N_18offset_tEEE10hipError_tPvRmT1_PNSt15iterator_traitsISK_E10value_typeET2_T3_PNSL_ISQ_E10value_typeET4_jRbjT5_SW_jjP12ihipStream_tbEUlT_E_NS1_11comp_targetILNS1_3genE9ELNS1_11target_archE1100ELNS1_3gpuE3ELNS1_3repE0EEENS1_30default_config_static_selectorELNS0_4arch9wavefront6targetE0EEEvSK_
	.p2align	8
	.type	_ZN7rocprim17ROCPRIM_400000_NS6detail17trampoline_kernelINS0_14default_configENS1_36segmented_radix_sort_config_selectorIblEEZNS1_25segmented_radix_sort_implIS3_Lb0EPKbPbPKlPlN2at6native12_GLOBAL__N_18offset_tEEE10hipError_tPvRmT1_PNSt15iterator_traitsISK_E10value_typeET2_T3_PNSL_ISQ_E10value_typeET4_jRbjT5_SW_jjP12ihipStream_tbEUlT_E_NS1_11comp_targetILNS1_3genE9ELNS1_11target_archE1100ELNS1_3gpuE3ELNS1_3repE0EEENS1_30default_config_static_selectorELNS0_4arch9wavefront6targetE0EEEvSK_,@function
_ZN7rocprim17ROCPRIM_400000_NS6detail17trampoline_kernelINS0_14default_configENS1_36segmented_radix_sort_config_selectorIblEEZNS1_25segmented_radix_sort_implIS3_Lb0EPKbPbPKlPlN2at6native12_GLOBAL__N_18offset_tEEE10hipError_tPvRmT1_PNSt15iterator_traitsISK_E10value_typeET2_T3_PNSL_ISQ_E10value_typeET4_jRbjT5_SW_jjP12ihipStream_tbEUlT_E_NS1_11comp_targetILNS1_3genE9ELNS1_11target_archE1100ELNS1_3gpuE3ELNS1_3repE0EEENS1_30default_config_static_selectorELNS0_4arch9wavefront6targetE0EEEvSK_: ; @_ZN7rocprim17ROCPRIM_400000_NS6detail17trampoline_kernelINS0_14default_configENS1_36segmented_radix_sort_config_selectorIblEEZNS1_25segmented_radix_sort_implIS3_Lb0EPKbPbPKlPlN2at6native12_GLOBAL__N_18offset_tEEE10hipError_tPvRmT1_PNSt15iterator_traitsISK_E10value_typeET2_T3_PNSL_ISQ_E10value_typeET4_jRbjT5_SW_jjP12ihipStream_tbEUlT_E_NS1_11comp_targetILNS1_3genE9ELNS1_11target_archE1100ELNS1_3gpuE3ELNS1_3repE0EEENS1_30default_config_static_selectorELNS0_4arch9wavefront6targetE0EEEvSK_
; %bb.0:
	.section	.rodata,"a",@progbits
	.p2align	6, 0x0
	.amdhsa_kernel _ZN7rocprim17ROCPRIM_400000_NS6detail17trampoline_kernelINS0_14default_configENS1_36segmented_radix_sort_config_selectorIblEEZNS1_25segmented_radix_sort_implIS3_Lb0EPKbPbPKlPlN2at6native12_GLOBAL__N_18offset_tEEE10hipError_tPvRmT1_PNSt15iterator_traitsISK_E10value_typeET2_T3_PNSL_ISQ_E10value_typeET4_jRbjT5_SW_jjP12ihipStream_tbEUlT_E_NS1_11comp_targetILNS1_3genE9ELNS1_11target_archE1100ELNS1_3gpuE3ELNS1_3repE0EEENS1_30default_config_static_selectorELNS0_4arch9wavefront6targetE0EEEvSK_
		.amdhsa_group_segment_fixed_size 0
		.amdhsa_private_segment_fixed_size 0
		.amdhsa_kernarg_size 96
		.amdhsa_user_sgpr_count 2
		.amdhsa_user_sgpr_dispatch_ptr 0
		.amdhsa_user_sgpr_queue_ptr 0
		.amdhsa_user_sgpr_kernarg_segment_ptr 1
		.amdhsa_user_sgpr_dispatch_id 0
		.amdhsa_user_sgpr_private_segment_size 0
		.amdhsa_wavefront_size32 1
		.amdhsa_uses_dynamic_stack 0
		.amdhsa_enable_private_segment 0
		.amdhsa_system_sgpr_workgroup_id_x 1
		.amdhsa_system_sgpr_workgroup_id_y 0
		.amdhsa_system_sgpr_workgroup_id_z 0
		.amdhsa_system_sgpr_workgroup_info 0
		.amdhsa_system_vgpr_workitem_id 0
		.amdhsa_next_free_vgpr 1
		.amdhsa_next_free_sgpr 1
		.amdhsa_reserve_vcc 0
		.amdhsa_float_round_mode_32 0
		.amdhsa_float_round_mode_16_64 0
		.amdhsa_float_denorm_mode_32 3
		.amdhsa_float_denorm_mode_16_64 3
		.amdhsa_fp16_overflow 0
		.amdhsa_workgroup_processor_mode 1
		.amdhsa_memory_ordered 1
		.amdhsa_forward_progress 1
		.amdhsa_inst_pref_size 0
		.amdhsa_round_robin_scheduling 0
		.amdhsa_exception_fp_ieee_invalid_op 0
		.amdhsa_exception_fp_denorm_src 0
		.amdhsa_exception_fp_ieee_div_zero 0
		.amdhsa_exception_fp_ieee_overflow 0
		.amdhsa_exception_fp_ieee_underflow 0
		.amdhsa_exception_fp_ieee_inexact 0
		.amdhsa_exception_int_div_zero 0
	.end_amdhsa_kernel
	.section	.text._ZN7rocprim17ROCPRIM_400000_NS6detail17trampoline_kernelINS0_14default_configENS1_36segmented_radix_sort_config_selectorIblEEZNS1_25segmented_radix_sort_implIS3_Lb0EPKbPbPKlPlN2at6native12_GLOBAL__N_18offset_tEEE10hipError_tPvRmT1_PNSt15iterator_traitsISK_E10value_typeET2_T3_PNSL_ISQ_E10value_typeET4_jRbjT5_SW_jjP12ihipStream_tbEUlT_E_NS1_11comp_targetILNS1_3genE9ELNS1_11target_archE1100ELNS1_3gpuE3ELNS1_3repE0EEENS1_30default_config_static_selectorELNS0_4arch9wavefront6targetE0EEEvSK_,"axG",@progbits,_ZN7rocprim17ROCPRIM_400000_NS6detail17trampoline_kernelINS0_14default_configENS1_36segmented_radix_sort_config_selectorIblEEZNS1_25segmented_radix_sort_implIS3_Lb0EPKbPbPKlPlN2at6native12_GLOBAL__N_18offset_tEEE10hipError_tPvRmT1_PNSt15iterator_traitsISK_E10value_typeET2_T3_PNSL_ISQ_E10value_typeET4_jRbjT5_SW_jjP12ihipStream_tbEUlT_E_NS1_11comp_targetILNS1_3genE9ELNS1_11target_archE1100ELNS1_3gpuE3ELNS1_3repE0EEENS1_30default_config_static_selectorELNS0_4arch9wavefront6targetE0EEEvSK_,comdat
.Lfunc_end1643:
	.size	_ZN7rocprim17ROCPRIM_400000_NS6detail17trampoline_kernelINS0_14default_configENS1_36segmented_radix_sort_config_selectorIblEEZNS1_25segmented_radix_sort_implIS3_Lb0EPKbPbPKlPlN2at6native12_GLOBAL__N_18offset_tEEE10hipError_tPvRmT1_PNSt15iterator_traitsISK_E10value_typeET2_T3_PNSL_ISQ_E10value_typeET4_jRbjT5_SW_jjP12ihipStream_tbEUlT_E_NS1_11comp_targetILNS1_3genE9ELNS1_11target_archE1100ELNS1_3gpuE3ELNS1_3repE0EEENS1_30default_config_static_selectorELNS0_4arch9wavefront6targetE0EEEvSK_, .Lfunc_end1643-_ZN7rocprim17ROCPRIM_400000_NS6detail17trampoline_kernelINS0_14default_configENS1_36segmented_radix_sort_config_selectorIblEEZNS1_25segmented_radix_sort_implIS3_Lb0EPKbPbPKlPlN2at6native12_GLOBAL__N_18offset_tEEE10hipError_tPvRmT1_PNSt15iterator_traitsISK_E10value_typeET2_T3_PNSL_ISQ_E10value_typeET4_jRbjT5_SW_jjP12ihipStream_tbEUlT_E_NS1_11comp_targetILNS1_3genE9ELNS1_11target_archE1100ELNS1_3gpuE3ELNS1_3repE0EEENS1_30default_config_static_selectorELNS0_4arch9wavefront6targetE0EEEvSK_
                                        ; -- End function
	.set _ZN7rocprim17ROCPRIM_400000_NS6detail17trampoline_kernelINS0_14default_configENS1_36segmented_radix_sort_config_selectorIblEEZNS1_25segmented_radix_sort_implIS3_Lb0EPKbPbPKlPlN2at6native12_GLOBAL__N_18offset_tEEE10hipError_tPvRmT1_PNSt15iterator_traitsISK_E10value_typeET2_T3_PNSL_ISQ_E10value_typeET4_jRbjT5_SW_jjP12ihipStream_tbEUlT_E_NS1_11comp_targetILNS1_3genE9ELNS1_11target_archE1100ELNS1_3gpuE3ELNS1_3repE0EEENS1_30default_config_static_selectorELNS0_4arch9wavefront6targetE0EEEvSK_.num_vgpr, 0
	.set _ZN7rocprim17ROCPRIM_400000_NS6detail17trampoline_kernelINS0_14default_configENS1_36segmented_radix_sort_config_selectorIblEEZNS1_25segmented_radix_sort_implIS3_Lb0EPKbPbPKlPlN2at6native12_GLOBAL__N_18offset_tEEE10hipError_tPvRmT1_PNSt15iterator_traitsISK_E10value_typeET2_T3_PNSL_ISQ_E10value_typeET4_jRbjT5_SW_jjP12ihipStream_tbEUlT_E_NS1_11comp_targetILNS1_3genE9ELNS1_11target_archE1100ELNS1_3gpuE3ELNS1_3repE0EEENS1_30default_config_static_selectorELNS0_4arch9wavefront6targetE0EEEvSK_.num_agpr, 0
	.set _ZN7rocprim17ROCPRIM_400000_NS6detail17trampoline_kernelINS0_14default_configENS1_36segmented_radix_sort_config_selectorIblEEZNS1_25segmented_radix_sort_implIS3_Lb0EPKbPbPKlPlN2at6native12_GLOBAL__N_18offset_tEEE10hipError_tPvRmT1_PNSt15iterator_traitsISK_E10value_typeET2_T3_PNSL_ISQ_E10value_typeET4_jRbjT5_SW_jjP12ihipStream_tbEUlT_E_NS1_11comp_targetILNS1_3genE9ELNS1_11target_archE1100ELNS1_3gpuE3ELNS1_3repE0EEENS1_30default_config_static_selectorELNS0_4arch9wavefront6targetE0EEEvSK_.numbered_sgpr, 0
	.set _ZN7rocprim17ROCPRIM_400000_NS6detail17trampoline_kernelINS0_14default_configENS1_36segmented_radix_sort_config_selectorIblEEZNS1_25segmented_radix_sort_implIS3_Lb0EPKbPbPKlPlN2at6native12_GLOBAL__N_18offset_tEEE10hipError_tPvRmT1_PNSt15iterator_traitsISK_E10value_typeET2_T3_PNSL_ISQ_E10value_typeET4_jRbjT5_SW_jjP12ihipStream_tbEUlT_E_NS1_11comp_targetILNS1_3genE9ELNS1_11target_archE1100ELNS1_3gpuE3ELNS1_3repE0EEENS1_30default_config_static_selectorELNS0_4arch9wavefront6targetE0EEEvSK_.num_named_barrier, 0
	.set _ZN7rocprim17ROCPRIM_400000_NS6detail17trampoline_kernelINS0_14default_configENS1_36segmented_radix_sort_config_selectorIblEEZNS1_25segmented_radix_sort_implIS3_Lb0EPKbPbPKlPlN2at6native12_GLOBAL__N_18offset_tEEE10hipError_tPvRmT1_PNSt15iterator_traitsISK_E10value_typeET2_T3_PNSL_ISQ_E10value_typeET4_jRbjT5_SW_jjP12ihipStream_tbEUlT_E_NS1_11comp_targetILNS1_3genE9ELNS1_11target_archE1100ELNS1_3gpuE3ELNS1_3repE0EEENS1_30default_config_static_selectorELNS0_4arch9wavefront6targetE0EEEvSK_.private_seg_size, 0
	.set _ZN7rocprim17ROCPRIM_400000_NS6detail17trampoline_kernelINS0_14default_configENS1_36segmented_radix_sort_config_selectorIblEEZNS1_25segmented_radix_sort_implIS3_Lb0EPKbPbPKlPlN2at6native12_GLOBAL__N_18offset_tEEE10hipError_tPvRmT1_PNSt15iterator_traitsISK_E10value_typeET2_T3_PNSL_ISQ_E10value_typeET4_jRbjT5_SW_jjP12ihipStream_tbEUlT_E_NS1_11comp_targetILNS1_3genE9ELNS1_11target_archE1100ELNS1_3gpuE3ELNS1_3repE0EEENS1_30default_config_static_selectorELNS0_4arch9wavefront6targetE0EEEvSK_.uses_vcc, 0
	.set _ZN7rocprim17ROCPRIM_400000_NS6detail17trampoline_kernelINS0_14default_configENS1_36segmented_radix_sort_config_selectorIblEEZNS1_25segmented_radix_sort_implIS3_Lb0EPKbPbPKlPlN2at6native12_GLOBAL__N_18offset_tEEE10hipError_tPvRmT1_PNSt15iterator_traitsISK_E10value_typeET2_T3_PNSL_ISQ_E10value_typeET4_jRbjT5_SW_jjP12ihipStream_tbEUlT_E_NS1_11comp_targetILNS1_3genE9ELNS1_11target_archE1100ELNS1_3gpuE3ELNS1_3repE0EEENS1_30default_config_static_selectorELNS0_4arch9wavefront6targetE0EEEvSK_.uses_flat_scratch, 0
	.set _ZN7rocprim17ROCPRIM_400000_NS6detail17trampoline_kernelINS0_14default_configENS1_36segmented_radix_sort_config_selectorIblEEZNS1_25segmented_radix_sort_implIS3_Lb0EPKbPbPKlPlN2at6native12_GLOBAL__N_18offset_tEEE10hipError_tPvRmT1_PNSt15iterator_traitsISK_E10value_typeET2_T3_PNSL_ISQ_E10value_typeET4_jRbjT5_SW_jjP12ihipStream_tbEUlT_E_NS1_11comp_targetILNS1_3genE9ELNS1_11target_archE1100ELNS1_3gpuE3ELNS1_3repE0EEENS1_30default_config_static_selectorELNS0_4arch9wavefront6targetE0EEEvSK_.has_dyn_sized_stack, 0
	.set _ZN7rocprim17ROCPRIM_400000_NS6detail17trampoline_kernelINS0_14default_configENS1_36segmented_radix_sort_config_selectorIblEEZNS1_25segmented_radix_sort_implIS3_Lb0EPKbPbPKlPlN2at6native12_GLOBAL__N_18offset_tEEE10hipError_tPvRmT1_PNSt15iterator_traitsISK_E10value_typeET2_T3_PNSL_ISQ_E10value_typeET4_jRbjT5_SW_jjP12ihipStream_tbEUlT_E_NS1_11comp_targetILNS1_3genE9ELNS1_11target_archE1100ELNS1_3gpuE3ELNS1_3repE0EEENS1_30default_config_static_selectorELNS0_4arch9wavefront6targetE0EEEvSK_.has_recursion, 0
	.set _ZN7rocprim17ROCPRIM_400000_NS6detail17trampoline_kernelINS0_14default_configENS1_36segmented_radix_sort_config_selectorIblEEZNS1_25segmented_radix_sort_implIS3_Lb0EPKbPbPKlPlN2at6native12_GLOBAL__N_18offset_tEEE10hipError_tPvRmT1_PNSt15iterator_traitsISK_E10value_typeET2_T3_PNSL_ISQ_E10value_typeET4_jRbjT5_SW_jjP12ihipStream_tbEUlT_E_NS1_11comp_targetILNS1_3genE9ELNS1_11target_archE1100ELNS1_3gpuE3ELNS1_3repE0EEENS1_30default_config_static_selectorELNS0_4arch9wavefront6targetE0EEEvSK_.has_indirect_call, 0
	.section	.AMDGPU.csdata,"",@progbits
; Kernel info:
; codeLenInByte = 0
; TotalNumSgprs: 0
; NumVgprs: 0
; ScratchSize: 0
; MemoryBound: 0
; FloatMode: 240
; IeeeMode: 1
; LDSByteSize: 0 bytes/workgroup (compile time only)
; SGPRBlocks: 0
; VGPRBlocks: 0
; NumSGPRsForWavesPerEU: 1
; NumVGPRsForWavesPerEU: 1
; Occupancy: 16
; WaveLimiterHint : 0
; COMPUTE_PGM_RSRC2:SCRATCH_EN: 0
; COMPUTE_PGM_RSRC2:USER_SGPR: 2
; COMPUTE_PGM_RSRC2:TRAP_HANDLER: 0
; COMPUTE_PGM_RSRC2:TGID_X_EN: 1
; COMPUTE_PGM_RSRC2:TGID_Y_EN: 0
; COMPUTE_PGM_RSRC2:TGID_Z_EN: 0
; COMPUTE_PGM_RSRC2:TIDIG_COMP_CNT: 0
	.section	.text._ZN7rocprim17ROCPRIM_400000_NS6detail17trampoline_kernelINS0_14default_configENS1_36segmented_radix_sort_config_selectorIblEEZNS1_25segmented_radix_sort_implIS3_Lb0EPKbPbPKlPlN2at6native12_GLOBAL__N_18offset_tEEE10hipError_tPvRmT1_PNSt15iterator_traitsISK_E10value_typeET2_T3_PNSL_ISQ_E10value_typeET4_jRbjT5_SW_jjP12ihipStream_tbEUlT_E_NS1_11comp_targetILNS1_3genE8ELNS1_11target_archE1030ELNS1_3gpuE2ELNS1_3repE0EEENS1_30default_config_static_selectorELNS0_4arch9wavefront6targetE0EEEvSK_,"axG",@progbits,_ZN7rocprim17ROCPRIM_400000_NS6detail17trampoline_kernelINS0_14default_configENS1_36segmented_radix_sort_config_selectorIblEEZNS1_25segmented_radix_sort_implIS3_Lb0EPKbPbPKlPlN2at6native12_GLOBAL__N_18offset_tEEE10hipError_tPvRmT1_PNSt15iterator_traitsISK_E10value_typeET2_T3_PNSL_ISQ_E10value_typeET4_jRbjT5_SW_jjP12ihipStream_tbEUlT_E_NS1_11comp_targetILNS1_3genE8ELNS1_11target_archE1030ELNS1_3gpuE2ELNS1_3repE0EEENS1_30default_config_static_selectorELNS0_4arch9wavefront6targetE0EEEvSK_,comdat
	.globl	_ZN7rocprim17ROCPRIM_400000_NS6detail17trampoline_kernelINS0_14default_configENS1_36segmented_radix_sort_config_selectorIblEEZNS1_25segmented_radix_sort_implIS3_Lb0EPKbPbPKlPlN2at6native12_GLOBAL__N_18offset_tEEE10hipError_tPvRmT1_PNSt15iterator_traitsISK_E10value_typeET2_T3_PNSL_ISQ_E10value_typeET4_jRbjT5_SW_jjP12ihipStream_tbEUlT_E_NS1_11comp_targetILNS1_3genE8ELNS1_11target_archE1030ELNS1_3gpuE2ELNS1_3repE0EEENS1_30default_config_static_selectorELNS0_4arch9wavefront6targetE0EEEvSK_ ; -- Begin function _ZN7rocprim17ROCPRIM_400000_NS6detail17trampoline_kernelINS0_14default_configENS1_36segmented_radix_sort_config_selectorIblEEZNS1_25segmented_radix_sort_implIS3_Lb0EPKbPbPKlPlN2at6native12_GLOBAL__N_18offset_tEEE10hipError_tPvRmT1_PNSt15iterator_traitsISK_E10value_typeET2_T3_PNSL_ISQ_E10value_typeET4_jRbjT5_SW_jjP12ihipStream_tbEUlT_E_NS1_11comp_targetILNS1_3genE8ELNS1_11target_archE1030ELNS1_3gpuE2ELNS1_3repE0EEENS1_30default_config_static_selectorELNS0_4arch9wavefront6targetE0EEEvSK_
	.p2align	8
	.type	_ZN7rocprim17ROCPRIM_400000_NS6detail17trampoline_kernelINS0_14default_configENS1_36segmented_radix_sort_config_selectorIblEEZNS1_25segmented_radix_sort_implIS3_Lb0EPKbPbPKlPlN2at6native12_GLOBAL__N_18offset_tEEE10hipError_tPvRmT1_PNSt15iterator_traitsISK_E10value_typeET2_T3_PNSL_ISQ_E10value_typeET4_jRbjT5_SW_jjP12ihipStream_tbEUlT_E_NS1_11comp_targetILNS1_3genE8ELNS1_11target_archE1030ELNS1_3gpuE2ELNS1_3repE0EEENS1_30default_config_static_selectorELNS0_4arch9wavefront6targetE0EEEvSK_,@function
_ZN7rocprim17ROCPRIM_400000_NS6detail17trampoline_kernelINS0_14default_configENS1_36segmented_radix_sort_config_selectorIblEEZNS1_25segmented_radix_sort_implIS3_Lb0EPKbPbPKlPlN2at6native12_GLOBAL__N_18offset_tEEE10hipError_tPvRmT1_PNSt15iterator_traitsISK_E10value_typeET2_T3_PNSL_ISQ_E10value_typeET4_jRbjT5_SW_jjP12ihipStream_tbEUlT_E_NS1_11comp_targetILNS1_3genE8ELNS1_11target_archE1030ELNS1_3gpuE2ELNS1_3repE0EEENS1_30default_config_static_selectorELNS0_4arch9wavefront6targetE0EEEvSK_: ; @_ZN7rocprim17ROCPRIM_400000_NS6detail17trampoline_kernelINS0_14default_configENS1_36segmented_radix_sort_config_selectorIblEEZNS1_25segmented_radix_sort_implIS3_Lb0EPKbPbPKlPlN2at6native12_GLOBAL__N_18offset_tEEE10hipError_tPvRmT1_PNSt15iterator_traitsISK_E10value_typeET2_T3_PNSL_ISQ_E10value_typeET4_jRbjT5_SW_jjP12ihipStream_tbEUlT_E_NS1_11comp_targetILNS1_3genE8ELNS1_11target_archE1030ELNS1_3gpuE2ELNS1_3repE0EEENS1_30default_config_static_selectorELNS0_4arch9wavefront6targetE0EEEvSK_
; %bb.0:
	.section	.rodata,"a",@progbits
	.p2align	6, 0x0
	.amdhsa_kernel _ZN7rocprim17ROCPRIM_400000_NS6detail17trampoline_kernelINS0_14default_configENS1_36segmented_radix_sort_config_selectorIblEEZNS1_25segmented_radix_sort_implIS3_Lb0EPKbPbPKlPlN2at6native12_GLOBAL__N_18offset_tEEE10hipError_tPvRmT1_PNSt15iterator_traitsISK_E10value_typeET2_T3_PNSL_ISQ_E10value_typeET4_jRbjT5_SW_jjP12ihipStream_tbEUlT_E_NS1_11comp_targetILNS1_3genE8ELNS1_11target_archE1030ELNS1_3gpuE2ELNS1_3repE0EEENS1_30default_config_static_selectorELNS0_4arch9wavefront6targetE0EEEvSK_
		.amdhsa_group_segment_fixed_size 0
		.amdhsa_private_segment_fixed_size 0
		.amdhsa_kernarg_size 96
		.amdhsa_user_sgpr_count 2
		.amdhsa_user_sgpr_dispatch_ptr 0
		.amdhsa_user_sgpr_queue_ptr 0
		.amdhsa_user_sgpr_kernarg_segment_ptr 1
		.amdhsa_user_sgpr_dispatch_id 0
		.amdhsa_user_sgpr_private_segment_size 0
		.amdhsa_wavefront_size32 1
		.amdhsa_uses_dynamic_stack 0
		.amdhsa_enable_private_segment 0
		.amdhsa_system_sgpr_workgroup_id_x 1
		.amdhsa_system_sgpr_workgroup_id_y 0
		.amdhsa_system_sgpr_workgroup_id_z 0
		.amdhsa_system_sgpr_workgroup_info 0
		.amdhsa_system_vgpr_workitem_id 0
		.amdhsa_next_free_vgpr 1
		.amdhsa_next_free_sgpr 1
		.amdhsa_reserve_vcc 0
		.amdhsa_float_round_mode_32 0
		.amdhsa_float_round_mode_16_64 0
		.amdhsa_float_denorm_mode_32 3
		.amdhsa_float_denorm_mode_16_64 3
		.amdhsa_fp16_overflow 0
		.amdhsa_workgroup_processor_mode 1
		.amdhsa_memory_ordered 1
		.amdhsa_forward_progress 1
		.amdhsa_inst_pref_size 0
		.amdhsa_round_robin_scheduling 0
		.amdhsa_exception_fp_ieee_invalid_op 0
		.amdhsa_exception_fp_denorm_src 0
		.amdhsa_exception_fp_ieee_div_zero 0
		.amdhsa_exception_fp_ieee_overflow 0
		.amdhsa_exception_fp_ieee_underflow 0
		.amdhsa_exception_fp_ieee_inexact 0
		.amdhsa_exception_int_div_zero 0
	.end_amdhsa_kernel
	.section	.text._ZN7rocprim17ROCPRIM_400000_NS6detail17trampoline_kernelINS0_14default_configENS1_36segmented_radix_sort_config_selectorIblEEZNS1_25segmented_radix_sort_implIS3_Lb0EPKbPbPKlPlN2at6native12_GLOBAL__N_18offset_tEEE10hipError_tPvRmT1_PNSt15iterator_traitsISK_E10value_typeET2_T3_PNSL_ISQ_E10value_typeET4_jRbjT5_SW_jjP12ihipStream_tbEUlT_E_NS1_11comp_targetILNS1_3genE8ELNS1_11target_archE1030ELNS1_3gpuE2ELNS1_3repE0EEENS1_30default_config_static_selectorELNS0_4arch9wavefront6targetE0EEEvSK_,"axG",@progbits,_ZN7rocprim17ROCPRIM_400000_NS6detail17trampoline_kernelINS0_14default_configENS1_36segmented_radix_sort_config_selectorIblEEZNS1_25segmented_radix_sort_implIS3_Lb0EPKbPbPKlPlN2at6native12_GLOBAL__N_18offset_tEEE10hipError_tPvRmT1_PNSt15iterator_traitsISK_E10value_typeET2_T3_PNSL_ISQ_E10value_typeET4_jRbjT5_SW_jjP12ihipStream_tbEUlT_E_NS1_11comp_targetILNS1_3genE8ELNS1_11target_archE1030ELNS1_3gpuE2ELNS1_3repE0EEENS1_30default_config_static_selectorELNS0_4arch9wavefront6targetE0EEEvSK_,comdat
.Lfunc_end1644:
	.size	_ZN7rocprim17ROCPRIM_400000_NS6detail17trampoline_kernelINS0_14default_configENS1_36segmented_radix_sort_config_selectorIblEEZNS1_25segmented_radix_sort_implIS3_Lb0EPKbPbPKlPlN2at6native12_GLOBAL__N_18offset_tEEE10hipError_tPvRmT1_PNSt15iterator_traitsISK_E10value_typeET2_T3_PNSL_ISQ_E10value_typeET4_jRbjT5_SW_jjP12ihipStream_tbEUlT_E_NS1_11comp_targetILNS1_3genE8ELNS1_11target_archE1030ELNS1_3gpuE2ELNS1_3repE0EEENS1_30default_config_static_selectorELNS0_4arch9wavefront6targetE0EEEvSK_, .Lfunc_end1644-_ZN7rocprim17ROCPRIM_400000_NS6detail17trampoline_kernelINS0_14default_configENS1_36segmented_radix_sort_config_selectorIblEEZNS1_25segmented_radix_sort_implIS3_Lb0EPKbPbPKlPlN2at6native12_GLOBAL__N_18offset_tEEE10hipError_tPvRmT1_PNSt15iterator_traitsISK_E10value_typeET2_T3_PNSL_ISQ_E10value_typeET4_jRbjT5_SW_jjP12ihipStream_tbEUlT_E_NS1_11comp_targetILNS1_3genE8ELNS1_11target_archE1030ELNS1_3gpuE2ELNS1_3repE0EEENS1_30default_config_static_selectorELNS0_4arch9wavefront6targetE0EEEvSK_
                                        ; -- End function
	.set _ZN7rocprim17ROCPRIM_400000_NS6detail17trampoline_kernelINS0_14default_configENS1_36segmented_radix_sort_config_selectorIblEEZNS1_25segmented_radix_sort_implIS3_Lb0EPKbPbPKlPlN2at6native12_GLOBAL__N_18offset_tEEE10hipError_tPvRmT1_PNSt15iterator_traitsISK_E10value_typeET2_T3_PNSL_ISQ_E10value_typeET4_jRbjT5_SW_jjP12ihipStream_tbEUlT_E_NS1_11comp_targetILNS1_3genE8ELNS1_11target_archE1030ELNS1_3gpuE2ELNS1_3repE0EEENS1_30default_config_static_selectorELNS0_4arch9wavefront6targetE0EEEvSK_.num_vgpr, 0
	.set _ZN7rocprim17ROCPRIM_400000_NS6detail17trampoline_kernelINS0_14default_configENS1_36segmented_radix_sort_config_selectorIblEEZNS1_25segmented_radix_sort_implIS3_Lb0EPKbPbPKlPlN2at6native12_GLOBAL__N_18offset_tEEE10hipError_tPvRmT1_PNSt15iterator_traitsISK_E10value_typeET2_T3_PNSL_ISQ_E10value_typeET4_jRbjT5_SW_jjP12ihipStream_tbEUlT_E_NS1_11comp_targetILNS1_3genE8ELNS1_11target_archE1030ELNS1_3gpuE2ELNS1_3repE0EEENS1_30default_config_static_selectorELNS0_4arch9wavefront6targetE0EEEvSK_.num_agpr, 0
	.set _ZN7rocprim17ROCPRIM_400000_NS6detail17trampoline_kernelINS0_14default_configENS1_36segmented_radix_sort_config_selectorIblEEZNS1_25segmented_radix_sort_implIS3_Lb0EPKbPbPKlPlN2at6native12_GLOBAL__N_18offset_tEEE10hipError_tPvRmT1_PNSt15iterator_traitsISK_E10value_typeET2_T3_PNSL_ISQ_E10value_typeET4_jRbjT5_SW_jjP12ihipStream_tbEUlT_E_NS1_11comp_targetILNS1_3genE8ELNS1_11target_archE1030ELNS1_3gpuE2ELNS1_3repE0EEENS1_30default_config_static_selectorELNS0_4arch9wavefront6targetE0EEEvSK_.numbered_sgpr, 0
	.set _ZN7rocprim17ROCPRIM_400000_NS6detail17trampoline_kernelINS0_14default_configENS1_36segmented_radix_sort_config_selectorIblEEZNS1_25segmented_radix_sort_implIS3_Lb0EPKbPbPKlPlN2at6native12_GLOBAL__N_18offset_tEEE10hipError_tPvRmT1_PNSt15iterator_traitsISK_E10value_typeET2_T3_PNSL_ISQ_E10value_typeET4_jRbjT5_SW_jjP12ihipStream_tbEUlT_E_NS1_11comp_targetILNS1_3genE8ELNS1_11target_archE1030ELNS1_3gpuE2ELNS1_3repE0EEENS1_30default_config_static_selectorELNS0_4arch9wavefront6targetE0EEEvSK_.num_named_barrier, 0
	.set _ZN7rocprim17ROCPRIM_400000_NS6detail17trampoline_kernelINS0_14default_configENS1_36segmented_radix_sort_config_selectorIblEEZNS1_25segmented_radix_sort_implIS3_Lb0EPKbPbPKlPlN2at6native12_GLOBAL__N_18offset_tEEE10hipError_tPvRmT1_PNSt15iterator_traitsISK_E10value_typeET2_T3_PNSL_ISQ_E10value_typeET4_jRbjT5_SW_jjP12ihipStream_tbEUlT_E_NS1_11comp_targetILNS1_3genE8ELNS1_11target_archE1030ELNS1_3gpuE2ELNS1_3repE0EEENS1_30default_config_static_selectorELNS0_4arch9wavefront6targetE0EEEvSK_.private_seg_size, 0
	.set _ZN7rocprim17ROCPRIM_400000_NS6detail17trampoline_kernelINS0_14default_configENS1_36segmented_radix_sort_config_selectorIblEEZNS1_25segmented_radix_sort_implIS3_Lb0EPKbPbPKlPlN2at6native12_GLOBAL__N_18offset_tEEE10hipError_tPvRmT1_PNSt15iterator_traitsISK_E10value_typeET2_T3_PNSL_ISQ_E10value_typeET4_jRbjT5_SW_jjP12ihipStream_tbEUlT_E_NS1_11comp_targetILNS1_3genE8ELNS1_11target_archE1030ELNS1_3gpuE2ELNS1_3repE0EEENS1_30default_config_static_selectorELNS0_4arch9wavefront6targetE0EEEvSK_.uses_vcc, 0
	.set _ZN7rocprim17ROCPRIM_400000_NS6detail17trampoline_kernelINS0_14default_configENS1_36segmented_radix_sort_config_selectorIblEEZNS1_25segmented_radix_sort_implIS3_Lb0EPKbPbPKlPlN2at6native12_GLOBAL__N_18offset_tEEE10hipError_tPvRmT1_PNSt15iterator_traitsISK_E10value_typeET2_T3_PNSL_ISQ_E10value_typeET4_jRbjT5_SW_jjP12ihipStream_tbEUlT_E_NS1_11comp_targetILNS1_3genE8ELNS1_11target_archE1030ELNS1_3gpuE2ELNS1_3repE0EEENS1_30default_config_static_selectorELNS0_4arch9wavefront6targetE0EEEvSK_.uses_flat_scratch, 0
	.set _ZN7rocprim17ROCPRIM_400000_NS6detail17trampoline_kernelINS0_14default_configENS1_36segmented_radix_sort_config_selectorIblEEZNS1_25segmented_radix_sort_implIS3_Lb0EPKbPbPKlPlN2at6native12_GLOBAL__N_18offset_tEEE10hipError_tPvRmT1_PNSt15iterator_traitsISK_E10value_typeET2_T3_PNSL_ISQ_E10value_typeET4_jRbjT5_SW_jjP12ihipStream_tbEUlT_E_NS1_11comp_targetILNS1_3genE8ELNS1_11target_archE1030ELNS1_3gpuE2ELNS1_3repE0EEENS1_30default_config_static_selectorELNS0_4arch9wavefront6targetE0EEEvSK_.has_dyn_sized_stack, 0
	.set _ZN7rocprim17ROCPRIM_400000_NS6detail17trampoline_kernelINS0_14default_configENS1_36segmented_radix_sort_config_selectorIblEEZNS1_25segmented_radix_sort_implIS3_Lb0EPKbPbPKlPlN2at6native12_GLOBAL__N_18offset_tEEE10hipError_tPvRmT1_PNSt15iterator_traitsISK_E10value_typeET2_T3_PNSL_ISQ_E10value_typeET4_jRbjT5_SW_jjP12ihipStream_tbEUlT_E_NS1_11comp_targetILNS1_3genE8ELNS1_11target_archE1030ELNS1_3gpuE2ELNS1_3repE0EEENS1_30default_config_static_selectorELNS0_4arch9wavefront6targetE0EEEvSK_.has_recursion, 0
	.set _ZN7rocprim17ROCPRIM_400000_NS6detail17trampoline_kernelINS0_14default_configENS1_36segmented_radix_sort_config_selectorIblEEZNS1_25segmented_radix_sort_implIS3_Lb0EPKbPbPKlPlN2at6native12_GLOBAL__N_18offset_tEEE10hipError_tPvRmT1_PNSt15iterator_traitsISK_E10value_typeET2_T3_PNSL_ISQ_E10value_typeET4_jRbjT5_SW_jjP12ihipStream_tbEUlT_E_NS1_11comp_targetILNS1_3genE8ELNS1_11target_archE1030ELNS1_3gpuE2ELNS1_3repE0EEENS1_30default_config_static_selectorELNS0_4arch9wavefront6targetE0EEEvSK_.has_indirect_call, 0
	.section	.AMDGPU.csdata,"",@progbits
; Kernel info:
; codeLenInByte = 0
; TotalNumSgprs: 0
; NumVgprs: 0
; ScratchSize: 0
; MemoryBound: 0
; FloatMode: 240
; IeeeMode: 1
; LDSByteSize: 0 bytes/workgroup (compile time only)
; SGPRBlocks: 0
; VGPRBlocks: 0
; NumSGPRsForWavesPerEU: 1
; NumVGPRsForWavesPerEU: 1
; Occupancy: 16
; WaveLimiterHint : 0
; COMPUTE_PGM_RSRC2:SCRATCH_EN: 0
; COMPUTE_PGM_RSRC2:USER_SGPR: 2
; COMPUTE_PGM_RSRC2:TRAP_HANDLER: 0
; COMPUTE_PGM_RSRC2:TGID_X_EN: 1
; COMPUTE_PGM_RSRC2:TGID_Y_EN: 0
; COMPUTE_PGM_RSRC2:TGID_Z_EN: 0
; COMPUTE_PGM_RSRC2:TIDIG_COMP_CNT: 0
	.section	.text._ZN7rocprim17ROCPRIM_400000_NS6detail17trampoline_kernelINS0_14default_configENS1_36segmented_radix_sort_config_selectorIblEEZNS1_25segmented_radix_sort_implIS3_Lb0EPKbPbPKlPlN2at6native12_GLOBAL__N_18offset_tEEE10hipError_tPvRmT1_PNSt15iterator_traitsISK_E10value_typeET2_T3_PNSL_ISQ_E10value_typeET4_jRbjT5_SW_jjP12ihipStream_tbEUlT_E0_NS1_11comp_targetILNS1_3genE0ELNS1_11target_archE4294967295ELNS1_3gpuE0ELNS1_3repE0EEENS1_60segmented_radix_sort_warp_sort_medium_config_static_selectorELNS0_4arch9wavefront6targetE0EEEvSK_,"axG",@progbits,_ZN7rocprim17ROCPRIM_400000_NS6detail17trampoline_kernelINS0_14default_configENS1_36segmented_radix_sort_config_selectorIblEEZNS1_25segmented_radix_sort_implIS3_Lb0EPKbPbPKlPlN2at6native12_GLOBAL__N_18offset_tEEE10hipError_tPvRmT1_PNSt15iterator_traitsISK_E10value_typeET2_T3_PNSL_ISQ_E10value_typeET4_jRbjT5_SW_jjP12ihipStream_tbEUlT_E0_NS1_11comp_targetILNS1_3genE0ELNS1_11target_archE4294967295ELNS1_3gpuE0ELNS1_3repE0EEENS1_60segmented_radix_sort_warp_sort_medium_config_static_selectorELNS0_4arch9wavefront6targetE0EEEvSK_,comdat
	.globl	_ZN7rocprim17ROCPRIM_400000_NS6detail17trampoline_kernelINS0_14default_configENS1_36segmented_radix_sort_config_selectorIblEEZNS1_25segmented_radix_sort_implIS3_Lb0EPKbPbPKlPlN2at6native12_GLOBAL__N_18offset_tEEE10hipError_tPvRmT1_PNSt15iterator_traitsISK_E10value_typeET2_T3_PNSL_ISQ_E10value_typeET4_jRbjT5_SW_jjP12ihipStream_tbEUlT_E0_NS1_11comp_targetILNS1_3genE0ELNS1_11target_archE4294967295ELNS1_3gpuE0ELNS1_3repE0EEENS1_60segmented_radix_sort_warp_sort_medium_config_static_selectorELNS0_4arch9wavefront6targetE0EEEvSK_ ; -- Begin function _ZN7rocprim17ROCPRIM_400000_NS6detail17trampoline_kernelINS0_14default_configENS1_36segmented_radix_sort_config_selectorIblEEZNS1_25segmented_radix_sort_implIS3_Lb0EPKbPbPKlPlN2at6native12_GLOBAL__N_18offset_tEEE10hipError_tPvRmT1_PNSt15iterator_traitsISK_E10value_typeET2_T3_PNSL_ISQ_E10value_typeET4_jRbjT5_SW_jjP12ihipStream_tbEUlT_E0_NS1_11comp_targetILNS1_3genE0ELNS1_11target_archE4294967295ELNS1_3gpuE0ELNS1_3repE0EEENS1_60segmented_radix_sort_warp_sort_medium_config_static_selectorELNS0_4arch9wavefront6targetE0EEEvSK_
	.p2align	8
	.type	_ZN7rocprim17ROCPRIM_400000_NS6detail17trampoline_kernelINS0_14default_configENS1_36segmented_radix_sort_config_selectorIblEEZNS1_25segmented_radix_sort_implIS3_Lb0EPKbPbPKlPlN2at6native12_GLOBAL__N_18offset_tEEE10hipError_tPvRmT1_PNSt15iterator_traitsISK_E10value_typeET2_T3_PNSL_ISQ_E10value_typeET4_jRbjT5_SW_jjP12ihipStream_tbEUlT_E0_NS1_11comp_targetILNS1_3genE0ELNS1_11target_archE4294967295ELNS1_3gpuE0ELNS1_3repE0EEENS1_60segmented_radix_sort_warp_sort_medium_config_static_selectorELNS0_4arch9wavefront6targetE0EEEvSK_,@function
_ZN7rocprim17ROCPRIM_400000_NS6detail17trampoline_kernelINS0_14default_configENS1_36segmented_radix_sort_config_selectorIblEEZNS1_25segmented_radix_sort_implIS3_Lb0EPKbPbPKlPlN2at6native12_GLOBAL__N_18offset_tEEE10hipError_tPvRmT1_PNSt15iterator_traitsISK_E10value_typeET2_T3_PNSL_ISQ_E10value_typeET4_jRbjT5_SW_jjP12ihipStream_tbEUlT_E0_NS1_11comp_targetILNS1_3genE0ELNS1_11target_archE4294967295ELNS1_3gpuE0ELNS1_3repE0EEENS1_60segmented_radix_sort_warp_sort_medium_config_static_selectorELNS0_4arch9wavefront6targetE0EEEvSK_: ; @_ZN7rocprim17ROCPRIM_400000_NS6detail17trampoline_kernelINS0_14default_configENS1_36segmented_radix_sort_config_selectorIblEEZNS1_25segmented_radix_sort_implIS3_Lb0EPKbPbPKlPlN2at6native12_GLOBAL__N_18offset_tEEE10hipError_tPvRmT1_PNSt15iterator_traitsISK_E10value_typeET2_T3_PNSL_ISQ_E10value_typeET4_jRbjT5_SW_jjP12ihipStream_tbEUlT_E0_NS1_11comp_targetILNS1_3genE0ELNS1_11target_archE4294967295ELNS1_3gpuE0ELNS1_3repE0EEENS1_60segmented_radix_sort_warp_sort_medium_config_static_selectorELNS0_4arch9wavefront6targetE0EEEvSK_
; %bb.0:
	.section	.rodata,"a",@progbits
	.p2align	6, 0x0
	.amdhsa_kernel _ZN7rocprim17ROCPRIM_400000_NS6detail17trampoline_kernelINS0_14default_configENS1_36segmented_radix_sort_config_selectorIblEEZNS1_25segmented_radix_sort_implIS3_Lb0EPKbPbPKlPlN2at6native12_GLOBAL__N_18offset_tEEE10hipError_tPvRmT1_PNSt15iterator_traitsISK_E10value_typeET2_T3_PNSL_ISQ_E10value_typeET4_jRbjT5_SW_jjP12ihipStream_tbEUlT_E0_NS1_11comp_targetILNS1_3genE0ELNS1_11target_archE4294967295ELNS1_3gpuE0ELNS1_3repE0EEENS1_60segmented_radix_sort_warp_sort_medium_config_static_selectorELNS0_4arch9wavefront6targetE0EEEvSK_
		.amdhsa_group_segment_fixed_size 0
		.amdhsa_private_segment_fixed_size 0
		.amdhsa_kernarg_size 88
		.amdhsa_user_sgpr_count 2
		.amdhsa_user_sgpr_dispatch_ptr 0
		.amdhsa_user_sgpr_queue_ptr 0
		.amdhsa_user_sgpr_kernarg_segment_ptr 1
		.amdhsa_user_sgpr_dispatch_id 0
		.amdhsa_user_sgpr_private_segment_size 0
		.amdhsa_wavefront_size32 1
		.amdhsa_uses_dynamic_stack 0
		.amdhsa_enable_private_segment 0
		.amdhsa_system_sgpr_workgroup_id_x 1
		.amdhsa_system_sgpr_workgroup_id_y 0
		.amdhsa_system_sgpr_workgroup_id_z 0
		.amdhsa_system_sgpr_workgroup_info 0
		.amdhsa_system_vgpr_workitem_id 0
		.amdhsa_next_free_vgpr 1
		.amdhsa_next_free_sgpr 1
		.amdhsa_reserve_vcc 0
		.amdhsa_float_round_mode_32 0
		.amdhsa_float_round_mode_16_64 0
		.amdhsa_float_denorm_mode_32 3
		.amdhsa_float_denorm_mode_16_64 3
		.amdhsa_fp16_overflow 0
		.amdhsa_workgroup_processor_mode 1
		.amdhsa_memory_ordered 1
		.amdhsa_forward_progress 1
		.amdhsa_inst_pref_size 0
		.amdhsa_round_robin_scheduling 0
		.amdhsa_exception_fp_ieee_invalid_op 0
		.amdhsa_exception_fp_denorm_src 0
		.amdhsa_exception_fp_ieee_div_zero 0
		.amdhsa_exception_fp_ieee_overflow 0
		.amdhsa_exception_fp_ieee_underflow 0
		.amdhsa_exception_fp_ieee_inexact 0
		.amdhsa_exception_int_div_zero 0
	.end_amdhsa_kernel
	.section	.text._ZN7rocprim17ROCPRIM_400000_NS6detail17trampoline_kernelINS0_14default_configENS1_36segmented_radix_sort_config_selectorIblEEZNS1_25segmented_radix_sort_implIS3_Lb0EPKbPbPKlPlN2at6native12_GLOBAL__N_18offset_tEEE10hipError_tPvRmT1_PNSt15iterator_traitsISK_E10value_typeET2_T3_PNSL_ISQ_E10value_typeET4_jRbjT5_SW_jjP12ihipStream_tbEUlT_E0_NS1_11comp_targetILNS1_3genE0ELNS1_11target_archE4294967295ELNS1_3gpuE0ELNS1_3repE0EEENS1_60segmented_radix_sort_warp_sort_medium_config_static_selectorELNS0_4arch9wavefront6targetE0EEEvSK_,"axG",@progbits,_ZN7rocprim17ROCPRIM_400000_NS6detail17trampoline_kernelINS0_14default_configENS1_36segmented_radix_sort_config_selectorIblEEZNS1_25segmented_radix_sort_implIS3_Lb0EPKbPbPKlPlN2at6native12_GLOBAL__N_18offset_tEEE10hipError_tPvRmT1_PNSt15iterator_traitsISK_E10value_typeET2_T3_PNSL_ISQ_E10value_typeET4_jRbjT5_SW_jjP12ihipStream_tbEUlT_E0_NS1_11comp_targetILNS1_3genE0ELNS1_11target_archE4294967295ELNS1_3gpuE0ELNS1_3repE0EEENS1_60segmented_radix_sort_warp_sort_medium_config_static_selectorELNS0_4arch9wavefront6targetE0EEEvSK_,comdat
.Lfunc_end1645:
	.size	_ZN7rocprim17ROCPRIM_400000_NS6detail17trampoline_kernelINS0_14default_configENS1_36segmented_radix_sort_config_selectorIblEEZNS1_25segmented_radix_sort_implIS3_Lb0EPKbPbPKlPlN2at6native12_GLOBAL__N_18offset_tEEE10hipError_tPvRmT1_PNSt15iterator_traitsISK_E10value_typeET2_T3_PNSL_ISQ_E10value_typeET4_jRbjT5_SW_jjP12ihipStream_tbEUlT_E0_NS1_11comp_targetILNS1_3genE0ELNS1_11target_archE4294967295ELNS1_3gpuE0ELNS1_3repE0EEENS1_60segmented_radix_sort_warp_sort_medium_config_static_selectorELNS0_4arch9wavefront6targetE0EEEvSK_, .Lfunc_end1645-_ZN7rocprim17ROCPRIM_400000_NS6detail17trampoline_kernelINS0_14default_configENS1_36segmented_radix_sort_config_selectorIblEEZNS1_25segmented_radix_sort_implIS3_Lb0EPKbPbPKlPlN2at6native12_GLOBAL__N_18offset_tEEE10hipError_tPvRmT1_PNSt15iterator_traitsISK_E10value_typeET2_T3_PNSL_ISQ_E10value_typeET4_jRbjT5_SW_jjP12ihipStream_tbEUlT_E0_NS1_11comp_targetILNS1_3genE0ELNS1_11target_archE4294967295ELNS1_3gpuE0ELNS1_3repE0EEENS1_60segmented_radix_sort_warp_sort_medium_config_static_selectorELNS0_4arch9wavefront6targetE0EEEvSK_
                                        ; -- End function
	.set _ZN7rocprim17ROCPRIM_400000_NS6detail17trampoline_kernelINS0_14default_configENS1_36segmented_radix_sort_config_selectorIblEEZNS1_25segmented_radix_sort_implIS3_Lb0EPKbPbPKlPlN2at6native12_GLOBAL__N_18offset_tEEE10hipError_tPvRmT1_PNSt15iterator_traitsISK_E10value_typeET2_T3_PNSL_ISQ_E10value_typeET4_jRbjT5_SW_jjP12ihipStream_tbEUlT_E0_NS1_11comp_targetILNS1_3genE0ELNS1_11target_archE4294967295ELNS1_3gpuE0ELNS1_3repE0EEENS1_60segmented_radix_sort_warp_sort_medium_config_static_selectorELNS0_4arch9wavefront6targetE0EEEvSK_.num_vgpr, 0
	.set _ZN7rocprim17ROCPRIM_400000_NS6detail17trampoline_kernelINS0_14default_configENS1_36segmented_radix_sort_config_selectorIblEEZNS1_25segmented_radix_sort_implIS3_Lb0EPKbPbPKlPlN2at6native12_GLOBAL__N_18offset_tEEE10hipError_tPvRmT1_PNSt15iterator_traitsISK_E10value_typeET2_T3_PNSL_ISQ_E10value_typeET4_jRbjT5_SW_jjP12ihipStream_tbEUlT_E0_NS1_11comp_targetILNS1_3genE0ELNS1_11target_archE4294967295ELNS1_3gpuE0ELNS1_3repE0EEENS1_60segmented_radix_sort_warp_sort_medium_config_static_selectorELNS0_4arch9wavefront6targetE0EEEvSK_.num_agpr, 0
	.set _ZN7rocprim17ROCPRIM_400000_NS6detail17trampoline_kernelINS0_14default_configENS1_36segmented_radix_sort_config_selectorIblEEZNS1_25segmented_radix_sort_implIS3_Lb0EPKbPbPKlPlN2at6native12_GLOBAL__N_18offset_tEEE10hipError_tPvRmT1_PNSt15iterator_traitsISK_E10value_typeET2_T3_PNSL_ISQ_E10value_typeET4_jRbjT5_SW_jjP12ihipStream_tbEUlT_E0_NS1_11comp_targetILNS1_3genE0ELNS1_11target_archE4294967295ELNS1_3gpuE0ELNS1_3repE0EEENS1_60segmented_radix_sort_warp_sort_medium_config_static_selectorELNS0_4arch9wavefront6targetE0EEEvSK_.numbered_sgpr, 0
	.set _ZN7rocprim17ROCPRIM_400000_NS6detail17trampoline_kernelINS0_14default_configENS1_36segmented_radix_sort_config_selectorIblEEZNS1_25segmented_radix_sort_implIS3_Lb0EPKbPbPKlPlN2at6native12_GLOBAL__N_18offset_tEEE10hipError_tPvRmT1_PNSt15iterator_traitsISK_E10value_typeET2_T3_PNSL_ISQ_E10value_typeET4_jRbjT5_SW_jjP12ihipStream_tbEUlT_E0_NS1_11comp_targetILNS1_3genE0ELNS1_11target_archE4294967295ELNS1_3gpuE0ELNS1_3repE0EEENS1_60segmented_radix_sort_warp_sort_medium_config_static_selectorELNS0_4arch9wavefront6targetE0EEEvSK_.num_named_barrier, 0
	.set _ZN7rocprim17ROCPRIM_400000_NS6detail17trampoline_kernelINS0_14default_configENS1_36segmented_radix_sort_config_selectorIblEEZNS1_25segmented_radix_sort_implIS3_Lb0EPKbPbPKlPlN2at6native12_GLOBAL__N_18offset_tEEE10hipError_tPvRmT1_PNSt15iterator_traitsISK_E10value_typeET2_T3_PNSL_ISQ_E10value_typeET4_jRbjT5_SW_jjP12ihipStream_tbEUlT_E0_NS1_11comp_targetILNS1_3genE0ELNS1_11target_archE4294967295ELNS1_3gpuE0ELNS1_3repE0EEENS1_60segmented_radix_sort_warp_sort_medium_config_static_selectorELNS0_4arch9wavefront6targetE0EEEvSK_.private_seg_size, 0
	.set _ZN7rocprim17ROCPRIM_400000_NS6detail17trampoline_kernelINS0_14default_configENS1_36segmented_radix_sort_config_selectorIblEEZNS1_25segmented_radix_sort_implIS3_Lb0EPKbPbPKlPlN2at6native12_GLOBAL__N_18offset_tEEE10hipError_tPvRmT1_PNSt15iterator_traitsISK_E10value_typeET2_T3_PNSL_ISQ_E10value_typeET4_jRbjT5_SW_jjP12ihipStream_tbEUlT_E0_NS1_11comp_targetILNS1_3genE0ELNS1_11target_archE4294967295ELNS1_3gpuE0ELNS1_3repE0EEENS1_60segmented_radix_sort_warp_sort_medium_config_static_selectorELNS0_4arch9wavefront6targetE0EEEvSK_.uses_vcc, 0
	.set _ZN7rocprim17ROCPRIM_400000_NS6detail17trampoline_kernelINS0_14default_configENS1_36segmented_radix_sort_config_selectorIblEEZNS1_25segmented_radix_sort_implIS3_Lb0EPKbPbPKlPlN2at6native12_GLOBAL__N_18offset_tEEE10hipError_tPvRmT1_PNSt15iterator_traitsISK_E10value_typeET2_T3_PNSL_ISQ_E10value_typeET4_jRbjT5_SW_jjP12ihipStream_tbEUlT_E0_NS1_11comp_targetILNS1_3genE0ELNS1_11target_archE4294967295ELNS1_3gpuE0ELNS1_3repE0EEENS1_60segmented_radix_sort_warp_sort_medium_config_static_selectorELNS0_4arch9wavefront6targetE0EEEvSK_.uses_flat_scratch, 0
	.set _ZN7rocprim17ROCPRIM_400000_NS6detail17trampoline_kernelINS0_14default_configENS1_36segmented_radix_sort_config_selectorIblEEZNS1_25segmented_radix_sort_implIS3_Lb0EPKbPbPKlPlN2at6native12_GLOBAL__N_18offset_tEEE10hipError_tPvRmT1_PNSt15iterator_traitsISK_E10value_typeET2_T3_PNSL_ISQ_E10value_typeET4_jRbjT5_SW_jjP12ihipStream_tbEUlT_E0_NS1_11comp_targetILNS1_3genE0ELNS1_11target_archE4294967295ELNS1_3gpuE0ELNS1_3repE0EEENS1_60segmented_radix_sort_warp_sort_medium_config_static_selectorELNS0_4arch9wavefront6targetE0EEEvSK_.has_dyn_sized_stack, 0
	.set _ZN7rocprim17ROCPRIM_400000_NS6detail17trampoline_kernelINS0_14default_configENS1_36segmented_radix_sort_config_selectorIblEEZNS1_25segmented_radix_sort_implIS3_Lb0EPKbPbPKlPlN2at6native12_GLOBAL__N_18offset_tEEE10hipError_tPvRmT1_PNSt15iterator_traitsISK_E10value_typeET2_T3_PNSL_ISQ_E10value_typeET4_jRbjT5_SW_jjP12ihipStream_tbEUlT_E0_NS1_11comp_targetILNS1_3genE0ELNS1_11target_archE4294967295ELNS1_3gpuE0ELNS1_3repE0EEENS1_60segmented_radix_sort_warp_sort_medium_config_static_selectorELNS0_4arch9wavefront6targetE0EEEvSK_.has_recursion, 0
	.set _ZN7rocprim17ROCPRIM_400000_NS6detail17trampoline_kernelINS0_14default_configENS1_36segmented_radix_sort_config_selectorIblEEZNS1_25segmented_radix_sort_implIS3_Lb0EPKbPbPKlPlN2at6native12_GLOBAL__N_18offset_tEEE10hipError_tPvRmT1_PNSt15iterator_traitsISK_E10value_typeET2_T3_PNSL_ISQ_E10value_typeET4_jRbjT5_SW_jjP12ihipStream_tbEUlT_E0_NS1_11comp_targetILNS1_3genE0ELNS1_11target_archE4294967295ELNS1_3gpuE0ELNS1_3repE0EEENS1_60segmented_radix_sort_warp_sort_medium_config_static_selectorELNS0_4arch9wavefront6targetE0EEEvSK_.has_indirect_call, 0
	.section	.AMDGPU.csdata,"",@progbits
; Kernel info:
; codeLenInByte = 0
; TotalNumSgprs: 0
; NumVgprs: 0
; ScratchSize: 0
; MemoryBound: 0
; FloatMode: 240
; IeeeMode: 1
; LDSByteSize: 0 bytes/workgroup (compile time only)
; SGPRBlocks: 0
; VGPRBlocks: 0
; NumSGPRsForWavesPerEU: 1
; NumVGPRsForWavesPerEU: 1
; Occupancy: 16
; WaveLimiterHint : 0
; COMPUTE_PGM_RSRC2:SCRATCH_EN: 0
; COMPUTE_PGM_RSRC2:USER_SGPR: 2
; COMPUTE_PGM_RSRC2:TRAP_HANDLER: 0
; COMPUTE_PGM_RSRC2:TGID_X_EN: 1
; COMPUTE_PGM_RSRC2:TGID_Y_EN: 0
; COMPUTE_PGM_RSRC2:TGID_Z_EN: 0
; COMPUTE_PGM_RSRC2:TIDIG_COMP_CNT: 0
	.section	.text._ZN7rocprim17ROCPRIM_400000_NS6detail17trampoline_kernelINS0_14default_configENS1_36segmented_radix_sort_config_selectorIblEEZNS1_25segmented_radix_sort_implIS3_Lb0EPKbPbPKlPlN2at6native12_GLOBAL__N_18offset_tEEE10hipError_tPvRmT1_PNSt15iterator_traitsISK_E10value_typeET2_T3_PNSL_ISQ_E10value_typeET4_jRbjT5_SW_jjP12ihipStream_tbEUlT_E0_NS1_11comp_targetILNS1_3genE5ELNS1_11target_archE942ELNS1_3gpuE9ELNS1_3repE0EEENS1_60segmented_radix_sort_warp_sort_medium_config_static_selectorELNS0_4arch9wavefront6targetE0EEEvSK_,"axG",@progbits,_ZN7rocprim17ROCPRIM_400000_NS6detail17trampoline_kernelINS0_14default_configENS1_36segmented_radix_sort_config_selectorIblEEZNS1_25segmented_radix_sort_implIS3_Lb0EPKbPbPKlPlN2at6native12_GLOBAL__N_18offset_tEEE10hipError_tPvRmT1_PNSt15iterator_traitsISK_E10value_typeET2_T3_PNSL_ISQ_E10value_typeET4_jRbjT5_SW_jjP12ihipStream_tbEUlT_E0_NS1_11comp_targetILNS1_3genE5ELNS1_11target_archE942ELNS1_3gpuE9ELNS1_3repE0EEENS1_60segmented_radix_sort_warp_sort_medium_config_static_selectorELNS0_4arch9wavefront6targetE0EEEvSK_,comdat
	.globl	_ZN7rocprim17ROCPRIM_400000_NS6detail17trampoline_kernelINS0_14default_configENS1_36segmented_radix_sort_config_selectorIblEEZNS1_25segmented_radix_sort_implIS3_Lb0EPKbPbPKlPlN2at6native12_GLOBAL__N_18offset_tEEE10hipError_tPvRmT1_PNSt15iterator_traitsISK_E10value_typeET2_T3_PNSL_ISQ_E10value_typeET4_jRbjT5_SW_jjP12ihipStream_tbEUlT_E0_NS1_11comp_targetILNS1_3genE5ELNS1_11target_archE942ELNS1_3gpuE9ELNS1_3repE0EEENS1_60segmented_radix_sort_warp_sort_medium_config_static_selectorELNS0_4arch9wavefront6targetE0EEEvSK_ ; -- Begin function _ZN7rocprim17ROCPRIM_400000_NS6detail17trampoline_kernelINS0_14default_configENS1_36segmented_radix_sort_config_selectorIblEEZNS1_25segmented_radix_sort_implIS3_Lb0EPKbPbPKlPlN2at6native12_GLOBAL__N_18offset_tEEE10hipError_tPvRmT1_PNSt15iterator_traitsISK_E10value_typeET2_T3_PNSL_ISQ_E10value_typeET4_jRbjT5_SW_jjP12ihipStream_tbEUlT_E0_NS1_11comp_targetILNS1_3genE5ELNS1_11target_archE942ELNS1_3gpuE9ELNS1_3repE0EEENS1_60segmented_radix_sort_warp_sort_medium_config_static_selectorELNS0_4arch9wavefront6targetE0EEEvSK_
	.p2align	8
	.type	_ZN7rocprim17ROCPRIM_400000_NS6detail17trampoline_kernelINS0_14default_configENS1_36segmented_radix_sort_config_selectorIblEEZNS1_25segmented_radix_sort_implIS3_Lb0EPKbPbPKlPlN2at6native12_GLOBAL__N_18offset_tEEE10hipError_tPvRmT1_PNSt15iterator_traitsISK_E10value_typeET2_T3_PNSL_ISQ_E10value_typeET4_jRbjT5_SW_jjP12ihipStream_tbEUlT_E0_NS1_11comp_targetILNS1_3genE5ELNS1_11target_archE942ELNS1_3gpuE9ELNS1_3repE0EEENS1_60segmented_radix_sort_warp_sort_medium_config_static_selectorELNS0_4arch9wavefront6targetE0EEEvSK_,@function
_ZN7rocprim17ROCPRIM_400000_NS6detail17trampoline_kernelINS0_14default_configENS1_36segmented_radix_sort_config_selectorIblEEZNS1_25segmented_radix_sort_implIS3_Lb0EPKbPbPKlPlN2at6native12_GLOBAL__N_18offset_tEEE10hipError_tPvRmT1_PNSt15iterator_traitsISK_E10value_typeET2_T3_PNSL_ISQ_E10value_typeET4_jRbjT5_SW_jjP12ihipStream_tbEUlT_E0_NS1_11comp_targetILNS1_3genE5ELNS1_11target_archE942ELNS1_3gpuE9ELNS1_3repE0EEENS1_60segmented_radix_sort_warp_sort_medium_config_static_selectorELNS0_4arch9wavefront6targetE0EEEvSK_: ; @_ZN7rocprim17ROCPRIM_400000_NS6detail17trampoline_kernelINS0_14default_configENS1_36segmented_radix_sort_config_selectorIblEEZNS1_25segmented_radix_sort_implIS3_Lb0EPKbPbPKlPlN2at6native12_GLOBAL__N_18offset_tEEE10hipError_tPvRmT1_PNSt15iterator_traitsISK_E10value_typeET2_T3_PNSL_ISQ_E10value_typeET4_jRbjT5_SW_jjP12ihipStream_tbEUlT_E0_NS1_11comp_targetILNS1_3genE5ELNS1_11target_archE942ELNS1_3gpuE9ELNS1_3repE0EEENS1_60segmented_radix_sort_warp_sort_medium_config_static_selectorELNS0_4arch9wavefront6targetE0EEEvSK_
; %bb.0:
	.section	.rodata,"a",@progbits
	.p2align	6, 0x0
	.amdhsa_kernel _ZN7rocprim17ROCPRIM_400000_NS6detail17trampoline_kernelINS0_14default_configENS1_36segmented_radix_sort_config_selectorIblEEZNS1_25segmented_radix_sort_implIS3_Lb0EPKbPbPKlPlN2at6native12_GLOBAL__N_18offset_tEEE10hipError_tPvRmT1_PNSt15iterator_traitsISK_E10value_typeET2_T3_PNSL_ISQ_E10value_typeET4_jRbjT5_SW_jjP12ihipStream_tbEUlT_E0_NS1_11comp_targetILNS1_3genE5ELNS1_11target_archE942ELNS1_3gpuE9ELNS1_3repE0EEENS1_60segmented_radix_sort_warp_sort_medium_config_static_selectorELNS0_4arch9wavefront6targetE0EEEvSK_
		.amdhsa_group_segment_fixed_size 0
		.amdhsa_private_segment_fixed_size 0
		.amdhsa_kernarg_size 88
		.amdhsa_user_sgpr_count 2
		.amdhsa_user_sgpr_dispatch_ptr 0
		.amdhsa_user_sgpr_queue_ptr 0
		.amdhsa_user_sgpr_kernarg_segment_ptr 1
		.amdhsa_user_sgpr_dispatch_id 0
		.amdhsa_user_sgpr_private_segment_size 0
		.amdhsa_wavefront_size32 1
		.amdhsa_uses_dynamic_stack 0
		.amdhsa_enable_private_segment 0
		.amdhsa_system_sgpr_workgroup_id_x 1
		.amdhsa_system_sgpr_workgroup_id_y 0
		.amdhsa_system_sgpr_workgroup_id_z 0
		.amdhsa_system_sgpr_workgroup_info 0
		.amdhsa_system_vgpr_workitem_id 0
		.amdhsa_next_free_vgpr 1
		.amdhsa_next_free_sgpr 1
		.amdhsa_reserve_vcc 0
		.amdhsa_float_round_mode_32 0
		.amdhsa_float_round_mode_16_64 0
		.amdhsa_float_denorm_mode_32 3
		.amdhsa_float_denorm_mode_16_64 3
		.amdhsa_fp16_overflow 0
		.amdhsa_workgroup_processor_mode 1
		.amdhsa_memory_ordered 1
		.amdhsa_forward_progress 1
		.amdhsa_inst_pref_size 0
		.amdhsa_round_robin_scheduling 0
		.amdhsa_exception_fp_ieee_invalid_op 0
		.amdhsa_exception_fp_denorm_src 0
		.amdhsa_exception_fp_ieee_div_zero 0
		.amdhsa_exception_fp_ieee_overflow 0
		.amdhsa_exception_fp_ieee_underflow 0
		.amdhsa_exception_fp_ieee_inexact 0
		.amdhsa_exception_int_div_zero 0
	.end_amdhsa_kernel
	.section	.text._ZN7rocprim17ROCPRIM_400000_NS6detail17trampoline_kernelINS0_14default_configENS1_36segmented_radix_sort_config_selectorIblEEZNS1_25segmented_radix_sort_implIS3_Lb0EPKbPbPKlPlN2at6native12_GLOBAL__N_18offset_tEEE10hipError_tPvRmT1_PNSt15iterator_traitsISK_E10value_typeET2_T3_PNSL_ISQ_E10value_typeET4_jRbjT5_SW_jjP12ihipStream_tbEUlT_E0_NS1_11comp_targetILNS1_3genE5ELNS1_11target_archE942ELNS1_3gpuE9ELNS1_3repE0EEENS1_60segmented_radix_sort_warp_sort_medium_config_static_selectorELNS0_4arch9wavefront6targetE0EEEvSK_,"axG",@progbits,_ZN7rocprim17ROCPRIM_400000_NS6detail17trampoline_kernelINS0_14default_configENS1_36segmented_radix_sort_config_selectorIblEEZNS1_25segmented_radix_sort_implIS3_Lb0EPKbPbPKlPlN2at6native12_GLOBAL__N_18offset_tEEE10hipError_tPvRmT1_PNSt15iterator_traitsISK_E10value_typeET2_T3_PNSL_ISQ_E10value_typeET4_jRbjT5_SW_jjP12ihipStream_tbEUlT_E0_NS1_11comp_targetILNS1_3genE5ELNS1_11target_archE942ELNS1_3gpuE9ELNS1_3repE0EEENS1_60segmented_radix_sort_warp_sort_medium_config_static_selectorELNS0_4arch9wavefront6targetE0EEEvSK_,comdat
.Lfunc_end1646:
	.size	_ZN7rocprim17ROCPRIM_400000_NS6detail17trampoline_kernelINS0_14default_configENS1_36segmented_radix_sort_config_selectorIblEEZNS1_25segmented_radix_sort_implIS3_Lb0EPKbPbPKlPlN2at6native12_GLOBAL__N_18offset_tEEE10hipError_tPvRmT1_PNSt15iterator_traitsISK_E10value_typeET2_T3_PNSL_ISQ_E10value_typeET4_jRbjT5_SW_jjP12ihipStream_tbEUlT_E0_NS1_11comp_targetILNS1_3genE5ELNS1_11target_archE942ELNS1_3gpuE9ELNS1_3repE0EEENS1_60segmented_radix_sort_warp_sort_medium_config_static_selectorELNS0_4arch9wavefront6targetE0EEEvSK_, .Lfunc_end1646-_ZN7rocprim17ROCPRIM_400000_NS6detail17trampoline_kernelINS0_14default_configENS1_36segmented_radix_sort_config_selectorIblEEZNS1_25segmented_radix_sort_implIS3_Lb0EPKbPbPKlPlN2at6native12_GLOBAL__N_18offset_tEEE10hipError_tPvRmT1_PNSt15iterator_traitsISK_E10value_typeET2_T3_PNSL_ISQ_E10value_typeET4_jRbjT5_SW_jjP12ihipStream_tbEUlT_E0_NS1_11comp_targetILNS1_3genE5ELNS1_11target_archE942ELNS1_3gpuE9ELNS1_3repE0EEENS1_60segmented_radix_sort_warp_sort_medium_config_static_selectorELNS0_4arch9wavefront6targetE0EEEvSK_
                                        ; -- End function
	.set _ZN7rocprim17ROCPRIM_400000_NS6detail17trampoline_kernelINS0_14default_configENS1_36segmented_radix_sort_config_selectorIblEEZNS1_25segmented_radix_sort_implIS3_Lb0EPKbPbPKlPlN2at6native12_GLOBAL__N_18offset_tEEE10hipError_tPvRmT1_PNSt15iterator_traitsISK_E10value_typeET2_T3_PNSL_ISQ_E10value_typeET4_jRbjT5_SW_jjP12ihipStream_tbEUlT_E0_NS1_11comp_targetILNS1_3genE5ELNS1_11target_archE942ELNS1_3gpuE9ELNS1_3repE0EEENS1_60segmented_radix_sort_warp_sort_medium_config_static_selectorELNS0_4arch9wavefront6targetE0EEEvSK_.num_vgpr, 0
	.set _ZN7rocprim17ROCPRIM_400000_NS6detail17trampoline_kernelINS0_14default_configENS1_36segmented_radix_sort_config_selectorIblEEZNS1_25segmented_radix_sort_implIS3_Lb0EPKbPbPKlPlN2at6native12_GLOBAL__N_18offset_tEEE10hipError_tPvRmT1_PNSt15iterator_traitsISK_E10value_typeET2_T3_PNSL_ISQ_E10value_typeET4_jRbjT5_SW_jjP12ihipStream_tbEUlT_E0_NS1_11comp_targetILNS1_3genE5ELNS1_11target_archE942ELNS1_3gpuE9ELNS1_3repE0EEENS1_60segmented_radix_sort_warp_sort_medium_config_static_selectorELNS0_4arch9wavefront6targetE0EEEvSK_.num_agpr, 0
	.set _ZN7rocprim17ROCPRIM_400000_NS6detail17trampoline_kernelINS0_14default_configENS1_36segmented_radix_sort_config_selectorIblEEZNS1_25segmented_radix_sort_implIS3_Lb0EPKbPbPKlPlN2at6native12_GLOBAL__N_18offset_tEEE10hipError_tPvRmT1_PNSt15iterator_traitsISK_E10value_typeET2_T3_PNSL_ISQ_E10value_typeET4_jRbjT5_SW_jjP12ihipStream_tbEUlT_E0_NS1_11comp_targetILNS1_3genE5ELNS1_11target_archE942ELNS1_3gpuE9ELNS1_3repE0EEENS1_60segmented_radix_sort_warp_sort_medium_config_static_selectorELNS0_4arch9wavefront6targetE0EEEvSK_.numbered_sgpr, 0
	.set _ZN7rocprim17ROCPRIM_400000_NS6detail17trampoline_kernelINS0_14default_configENS1_36segmented_radix_sort_config_selectorIblEEZNS1_25segmented_radix_sort_implIS3_Lb0EPKbPbPKlPlN2at6native12_GLOBAL__N_18offset_tEEE10hipError_tPvRmT1_PNSt15iterator_traitsISK_E10value_typeET2_T3_PNSL_ISQ_E10value_typeET4_jRbjT5_SW_jjP12ihipStream_tbEUlT_E0_NS1_11comp_targetILNS1_3genE5ELNS1_11target_archE942ELNS1_3gpuE9ELNS1_3repE0EEENS1_60segmented_radix_sort_warp_sort_medium_config_static_selectorELNS0_4arch9wavefront6targetE0EEEvSK_.num_named_barrier, 0
	.set _ZN7rocprim17ROCPRIM_400000_NS6detail17trampoline_kernelINS0_14default_configENS1_36segmented_radix_sort_config_selectorIblEEZNS1_25segmented_radix_sort_implIS3_Lb0EPKbPbPKlPlN2at6native12_GLOBAL__N_18offset_tEEE10hipError_tPvRmT1_PNSt15iterator_traitsISK_E10value_typeET2_T3_PNSL_ISQ_E10value_typeET4_jRbjT5_SW_jjP12ihipStream_tbEUlT_E0_NS1_11comp_targetILNS1_3genE5ELNS1_11target_archE942ELNS1_3gpuE9ELNS1_3repE0EEENS1_60segmented_radix_sort_warp_sort_medium_config_static_selectorELNS0_4arch9wavefront6targetE0EEEvSK_.private_seg_size, 0
	.set _ZN7rocprim17ROCPRIM_400000_NS6detail17trampoline_kernelINS0_14default_configENS1_36segmented_radix_sort_config_selectorIblEEZNS1_25segmented_radix_sort_implIS3_Lb0EPKbPbPKlPlN2at6native12_GLOBAL__N_18offset_tEEE10hipError_tPvRmT1_PNSt15iterator_traitsISK_E10value_typeET2_T3_PNSL_ISQ_E10value_typeET4_jRbjT5_SW_jjP12ihipStream_tbEUlT_E0_NS1_11comp_targetILNS1_3genE5ELNS1_11target_archE942ELNS1_3gpuE9ELNS1_3repE0EEENS1_60segmented_radix_sort_warp_sort_medium_config_static_selectorELNS0_4arch9wavefront6targetE0EEEvSK_.uses_vcc, 0
	.set _ZN7rocprim17ROCPRIM_400000_NS6detail17trampoline_kernelINS0_14default_configENS1_36segmented_radix_sort_config_selectorIblEEZNS1_25segmented_radix_sort_implIS3_Lb0EPKbPbPKlPlN2at6native12_GLOBAL__N_18offset_tEEE10hipError_tPvRmT1_PNSt15iterator_traitsISK_E10value_typeET2_T3_PNSL_ISQ_E10value_typeET4_jRbjT5_SW_jjP12ihipStream_tbEUlT_E0_NS1_11comp_targetILNS1_3genE5ELNS1_11target_archE942ELNS1_3gpuE9ELNS1_3repE0EEENS1_60segmented_radix_sort_warp_sort_medium_config_static_selectorELNS0_4arch9wavefront6targetE0EEEvSK_.uses_flat_scratch, 0
	.set _ZN7rocprim17ROCPRIM_400000_NS6detail17trampoline_kernelINS0_14default_configENS1_36segmented_radix_sort_config_selectorIblEEZNS1_25segmented_radix_sort_implIS3_Lb0EPKbPbPKlPlN2at6native12_GLOBAL__N_18offset_tEEE10hipError_tPvRmT1_PNSt15iterator_traitsISK_E10value_typeET2_T3_PNSL_ISQ_E10value_typeET4_jRbjT5_SW_jjP12ihipStream_tbEUlT_E0_NS1_11comp_targetILNS1_3genE5ELNS1_11target_archE942ELNS1_3gpuE9ELNS1_3repE0EEENS1_60segmented_radix_sort_warp_sort_medium_config_static_selectorELNS0_4arch9wavefront6targetE0EEEvSK_.has_dyn_sized_stack, 0
	.set _ZN7rocprim17ROCPRIM_400000_NS6detail17trampoline_kernelINS0_14default_configENS1_36segmented_radix_sort_config_selectorIblEEZNS1_25segmented_radix_sort_implIS3_Lb0EPKbPbPKlPlN2at6native12_GLOBAL__N_18offset_tEEE10hipError_tPvRmT1_PNSt15iterator_traitsISK_E10value_typeET2_T3_PNSL_ISQ_E10value_typeET4_jRbjT5_SW_jjP12ihipStream_tbEUlT_E0_NS1_11comp_targetILNS1_3genE5ELNS1_11target_archE942ELNS1_3gpuE9ELNS1_3repE0EEENS1_60segmented_radix_sort_warp_sort_medium_config_static_selectorELNS0_4arch9wavefront6targetE0EEEvSK_.has_recursion, 0
	.set _ZN7rocprim17ROCPRIM_400000_NS6detail17trampoline_kernelINS0_14default_configENS1_36segmented_radix_sort_config_selectorIblEEZNS1_25segmented_radix_sort_implIS3_Lb0EPKbPbPKlPlN2at6native12_GLOBAL__N_18offset_tEEE10hipError_tPvRmT1_PNSt15iterator_traitsISK_E10value_typeET2_T3_PNSL_ISQ_E10value_typeET4_jRbjT5_SW_jjP12ihipStream_tbEUlT_E0_NS1_11comp_targetILNS1_3genE5ELNS1_11target_archE942ELNS1_3gpuE9ELNS1_3repE0EEENS1_60segmented_radix_sort_warp_sort_medium_config_static_selectorELNS0_4arch9wavefront6targetE0EEEvSK_.has_indirect_call, 0
	.section	.AMDGPU.csdata,"",@progbits
; Kernel info:
; codeLenInByte = 0
; TotalNumSgprs: 0
; NumVgprs: 0
; ScratchSize: 0
; MemoryBound: 0
; FloatMode: 240
; IeeeMode: 1
; LDSByteSize: 0 bytes/workgroup (compile time only)
; SGPRBlocks: 0
; VGPRBlocks: 0
; NumSGPRsForWavesPerEU: 1
; NumVGPRsForWavesPerEU: 1
; Occupancy: 16
; WaveLimiterHint : 0
; COMPUTE_PGM_RSRC2:SCRATCH_EN: 0
; COMPUTE_PGM_RSRC2:USER_SGPR: 2
; COMPUTE_PGM_RSRC2:TRAP_HANDLER: 0
; COMPUTE_PGM_RSRC2:TGID_X_EN: 1
; COMPUTE_PGM_RSRC2:TGID_Y_EN: 0
; COMPUTE_PGM_RSRC2:TGID_Z_EN: 0
; COMPUTE_PGM_RSRC2:TIDIG_COMP_CNT: 0
	.section	.text._ZN7rocprim17ROCPRIM_400000_NS6detail17trampoline_kernelINS0_14default_configENS1_36segmented_radix_sort_config_selectorIblEEZNS1_25segmented_radix_sort_implIS3_Lb0EPKbPbPKlPlN2at6native12_GLOBAL__N_18offset_tEEE10hipError_tPvRmT1_PNSt15iterator_traitsISK_E10value_typeET2_T3_PNSL_ISQ_E10value_typeET4_jRbjT5_SW_jjP12ihipStream_tbEUlT_E0_NS1_11comp_targetILNS1_3genE4ELNS1_11target_archE910ELNS1_3gpuE8ELNS1_3repE0EEENS1_60segmented_radix_sort_warp_sort_medium_config_static_selectorELNS0_4arch9wavefront6targetE0EEEvSK_,"axG",@progbits,_ZN7rocprim17ROCPRIM_400000_NS6detail17trampoline_kernelINS0_14default_configENS1_36segmented_radix_sort_config_selectorIblEEZNS1_25segmented_radix_sort_implIS3_Lb0EPKbPbPKlPlN2at6native12_GLOBAL__N_18offset_tEEE10hipError_tPvRmT1_PNSt15iterator_traitsISK_E10value_typeET2_T3_PNSL_ISQ_E10value_typeET4_jRbjT5_SW_jjP12ihipStream_tbEUlT_E0_NS1_11comp_targetILNS1_3genE4ELNS1_11target_archE910ELNS1_3gpuE8ELNS1_3repE0EEENS1_60segmented_radix_sort_warp_sort_medium_config_static_selectorELNS0_4arch9wavefront6targetE0EEEvSK_,comdat
	.globl	_ZN7rocprim17ROCPRIM_400000_NS6detail17trampoline_kernelINS0_14default_configENS1_36segmented_radix_sort_config_selectorIblEEZNS1_25segmented_radix_sort_implIS3_Lb0EPKbPbPKlPlN2at6native12_GLOBAL__N_18offset_tEEE10hipError_tPvRmT1_PNSt15iterator_traitsISK_E10value_typeET2_T3_PNSL_ISQ_E10value_typeET4_jRbjT5_SW_jjP12ihipStream_tbEUlT_E0_NS1_11comp_targetILNS1_3genE4ELNS1_11target_archE910ELNS1_3gpuE8ELNS1_3repE0EEENS1_60segmented_radix_sort_warp_sort_medium_config_static_selectorELNS0_4arch9wavefront6targetE0EEEvSK_ ; -- Begin function _ZN7rocprim17ROCPRIM_400000_NS6detail17trampoline_kernelINS0_14default_configENS1_36segmented_radix_sort_config_selectorIblEEZNS1_25segmented_radix_sort_implIS3_Lb0EPKbPbPKlPlN2at6native12_GLOBAL__N_18offset_tEEE10hipError_tPvRmT1_PNSt15iterator_traitsISK_E10value_typeET2_T3_PNSL_ISQ_E10value_typeET4_jRbjT5_SW_jjP12ihipStream_tbEUlT_E0_NS1_11comp_targetILNS1_3genE4ELNS1_11target_archE910ELNS1_3gpuE8ELNS1_3repE0EEENS1_60segmented_radix_sort_warp_sort_medium_config_static_selectorELNS0_4arch9wavefront6targetE0EEEvSK_
	.p2align	8
	.type	_ZN7rocprim17ROCPRIM_400000_NS6detail17trampoline_kernelINS0_14default_configENS1_36segmented_radix_sort_config_selectorIblEEZNS1_25segmented_radix_sort_implIS3_Lb0EPKbPbPKlPlN2at6native12_GLOBAL__N_18offset_tEEE10hipError_tPvRmT1_PNSt15iterator_traitsISK_E10value_typeET2_T3_PNSL_ISQ_E10value_typeET4_jRbjT5_SW_jjP12ihipStream_tbEUlT_E0_NS1_11comp_targetILNS1_3genE4ELNS1_11target_archE910ELNS1_3gpuE8ELNS1_3repE0EEENS1_60segmented_radix_sort_warp_sort_medium_config_static_selectorELNS0_4arch9wavefront6targetE0EEEvSK_,@function
_ZN7rocprim17ROCPRIM_400000_NS6detail17trampoline_kernelINS0_14default_configENS1_36segmented_radix_sort_config_selectorIblEEZNS1_25segmented_radix_sort_implIS3_Lb0EPKbPbPKlPlN2at6native12_GLOBAL__N_18offset_tEEE10hipError_tPvRmT1_PNSt15iterator_traitsISK_E10value_typeET2_T3_PNSL_ISQ_E10value_typeET4_jRbjT5_SW_jjP12ihipStream_tbEUlT_E0_NS1_11comp_targetILNS1_3genE4ELNS1_11target_archE910ELNS1_3gpuE8ELNS1_3repE0EEENS1_60segmented_radix_sort_warp_sort_medium_config_static_selectorELNS0_4arch9wavefront6targetE0EEEvSK_: ; @_ZN7rocprim17ROCPRIM_400000_NS6detail17trampoline_kernelINS0_14default_configENS1_36segmented_radix_sort_config_selectorIblEEZNS1_25segmented_radix_sort_implIS3_Lb0EPKbPbPKlPlN2at6native12_GLOBAL__N_18offset_tEEE10hipError_tPvRmT1_PNSt15iterator_traitsISK_E10value_typeET2_T3_PNSL_ISQ_E10value_typeET4_jRbjT5_SW_jjP12ihipStream_tbEUlT_E0_NS1_11comp_targetILNS1_3genE4ELNS1_11target_archE910ELNS1_3gpuE8ELNS1_3repE0EEENS1_60segmented_radix_sort_warp_sort_medium_config_static_selectorELNS0_4arch9wavefront6targetE0EEEvSK_
; %bb.0:
	.section	.rodata,"a",@progbits
	.p2align	6, 0x0
	.amdhsa_kernel _ZN7rocprim17ROCPRIM_400000_NS6detail17trampoline_kernelINS0_14default_configENS1_36segmented_radix_sort_config_selectorIblEEZNS1_25segmented_radix_sort_implIS3_Lb0EPKbPbPKlPlN2at6native12_GLOBAL__N_18offset_tEEE10hipError_tPvRmT1_PNSt15iterator_traitsISK_E10value_typeET2_T3_PNSL_ISQ_E10value_typeET4_jRbjT5_SW_jjP12ihipStream_tbEUlT_E0_NS1_11comp_targetILNS1_3genE4ELNS1_11target_archE910ELNS1_3gpuE8ELNS1_3repE0EEENS1_60segmented_radix_sort_warp_sort_medium_config_static_selectorELNS0_4arch9wavefront6targetE0EEEvSK_
		.amdhsa_group_segment_fixed_size 0
		.amdhsa_private_segment_fixed_size 0
		.amdhsa_kernarg_size 88
		.amdhsa_user_sgpr_count 2
		.amdhsa_user_sgpr_dispatch_ptr 0
		.amdhsa_user_sgpr_queue_ptr 0
		.amdhsa_user_sgpr_kernarg_segment_ptr 1
		.amdhsa_user_sgpr_dispatch_id 0
		.amdhsa_user_sgpr_private_segment_size 0
		.amdhsa_wavefront_size32 1
		.amdhsa_uses_dynamic_stack 0
		.amdhsa_enable_private_segment 0
		.amdhsa_system_sgpr_workgroup_id_x 1
		.amdhsa_system_sgpr_workgroup_id_y 0
		.amdhsa_system_sgpr_workgroup_id_z 0
		.amdhsa_system_sgpr_workgroup_info 0
		.amdhsa_system_vgpr_workitem_id 0
		.amdhsa_next_free_vgpr 1
		.amdhsa_next_free_sgpr 1
		.amdhsa_reserve_vcc 0
		.amdhsa_float_round_mode_32 0
		.amdhsa_float_round_mode_16_64 0
		.amdhsa_float_denorm_mode_32 3
		.amdhsa_float_denorm_mode_16_64 3
		.amdhsa_fp16_overflow 0
		.amdhsa_workgroup_processor_mode 1
		.amdhsa_memory_ordered 1
		.amdhsa_forward_progress 1
		.amdhsa_inst_pref_size 0
		.amdhsa_round_robin_scheduling 0
		.amdhsa_exception_fp_ieee_invalid_op 0
		.amdhsa_exception_fp_denorm_src 0
		.amdhsa_exception_fp_ieee_div_zero 0
		.amdhsa_exception_fp_ieee_overflow 0
		.amdhsa_exception_fp_ieee_underflow 0
		.amdhsa_exception_fp_ieee_inexact 0
		.amdhsa_exception_int_div_zero 0
	.end_amdhsa_kernel
	.section	.text._ZN7rocprim17ROCPRIM_400000_NS6detail17trampoline_kernelINS0_14default_configENS1_36segmented_radix_sort_config_selectorIblEEZNS1_25segmented_radix_sort_implIS3_Lb0EPKbPbPKlPlN2at6native12_GLOBAL__N_18offset_tEEE10hipError_tPvRmT1_PNSt15iterator_traitsISK_E10value_typeET2_T3_PNSL_ISQ_E10value_typeET4_jRbjT5_SW_jjP12ihipStream_tbEUlT_E0_NS1_11comp_targetILNS1_3genE4ELNS1_11target_archE910ELNS1_3gpuE8ELNS1_3repE0EEENS1_60segmented_radix_sort_warp_sort_medium_config_static_selectorELNS0_4arch9wavefront6targetE0EEEvSK_,"axG",@progbits,_ZN7rocprim17ROCPRIM_400000_NS6detail17trampoline_kernelINS0_14default_configENS1_36segmented_radix_sort_config_selectorIblEEZNS1_25segmented_radix_sort_implIS3_Lb0EPKbPbPKlPlN2at6native12_GLOBAL__N_18offset_tEEE10hipError_tPvRmT1_PNSt15iterator_traitsISK_E10value_typeET2_T3_PNSL_ISQ_E10value_typeET4_jRbjT5_SW_jjP12ihipStream_tbEUlT_E0_NS1_11comp_targetILNS1_3genE4ELNS1_11target_archE910ELNS1_3gpuE8ELNS1_3repE0EEENS1_60segmented_radix_sort_warp_sort_medium_config_static_selectorELNS0_4arch9wavefront6targetE0EEEvSK_,comdat
.Lfunc_end1647:
	.size	_ZN7rocprim17ROCPRIM_400000_NS6detail17trampoline_kernelINS0_14default_configENS1_36segmented_radix_sort_config_selectorIblEEZNS1_25segmented_radix_sort_implIS3_Lb0EPKbPbPKlPlN2at6native12_GLOBAL__N_18offset_tEEE10hipError_tPvRmT1_PNSt15iterator_traitsISK_E10value_typeET2_T3_PNSL_ISQ_E10value_typeET4_jRbjT5_SW_jjP12ihipStream_tbEUlT_E0_NS1_11comp_targetILNS1_3genE4ELNS1_11target_archE910ELNS1_3gpuE8ELNS1_3repE0EEENS1_60segmented_radix_sort_warp_sort_medium_config_static_selectorELNS0_4arch9wavefront6targetE0EEEvSK_, .Lfunc_end1647-_ZN7rocprim17ROCPRIM_400000_NS6detail17trampoline_kernelINS0_14default_configENS1_36segmented_radix_sort_config_selectorIblEEZNS1_25segmented_radix_sort_implIS3_Lb0EPKbPbPKlPlN2at6native12_GLOBAL__N_18offset_tEEE10hipError_tPvRmT1_PNSt15iterator_traitsISK_E10value_typeET2_T3_PNSL_ISQ_E10value_typeET4_jRbjT5_SW_jjP12ihipStream_tbEUlT_E0_NS1_11comp_targetILNS1_3genE4ELNS1_11target_archE910ELNS1_3gpuE8ELNS1_3repE0EEENS1_60segmented_radix_sort_warp_sort_medium_config_static_selectorELNS0_4arch9wavefront6targetE0EEEvSK_
                                        ; -- End function
	.set _ZN7rocprim17ROCPRIM_400000_NS6detail17trampoline_kernelINS0_14default_configENS1_36segmented_radix_sort_config_selectorIblEEZNS1_25segmented_radix_sort_implIS3_Lb0EPKbPbPKlPlN2at6native12_GLOBAL__N_18offset_tEEE10hipError_tPvRmT1_PNSt15iterator_traitsISK_E10value_typeET2_T3_PNSL_ISQ_E10value_typeET4_jRbjT5_SW_jjP12ihipStream_tbEUlT_E0_NS1_11comp_targetILNS1_3genE4ELNS1_11target_archE910ELNS1_3gpuE8ELNS1_3repE0EEENS1_60segmented_radix_sort_warp_sort_medium_config_static_selectorELNS0_4arch9wavefront6targetE0EEEvSK_.num_vgpr, 0
	.set _ZN7rocprim17ROCPRIM_400000_NS6detail17trampoline_kernelINS0_14default_configENS1_36segmented_radix_sort_config_selectorIblEEZNS1_25segmented_radix_sort_implIS3_Lb0EPKbPbPKlPlN2at6native12_GLOBAL__N_18offset_tEEE10hipError_tPvRmT1_PNSt15iterator_traitsISK_E10value_typeET2_T3_PNSL_ISQ_E10value_typeET4_jRbjT5_SW_jjP12ihipStream_tbEUlT_E0_NS1_11comp_targetILNS1_3genE4ELNS1_11target_archE910ELNS1_3gpuE8ELNS1_3repE0EEENS1_60segmented_radix_sort_warp_sort_medium_config_static_selectorELNS0_4arch9wavefront6targetE0EEEvSK_.num_agpr, 0
	.set _ZN7rocprim17ROCPRIM_400000_NS6detail17trampoline_kernelINS0_14default_configENS1_36segmented_radix_sort_config_selectorIblEEZNS1_25segmented_radix_sort_implIS3_Lb0EPKbPbPKlPlN2at6native12_GLOBAL__N_18offset_tEEE10hipError_tPvRmT1_PNSt15iterator_traitsISK_E10value_typeET2_T3_PNSL_ISQ_E10value_typeET4_jRbjT5_SW_jjP12ihipStream_tbEUlT_E0_NS1_11comp_targetILNS1_3genE4ELNS1_11target_archE910ELNS1_3gpuE8ELNS1_3repE0EEENS1_60segmented_radix_sort_warp_sort_medium_config_static_selectorELNS0_4arch9wavefront6targetE0EEEvSK_.numbered_sgpr, 0
	.set _ZN7rocprim17ROCPRIM_400000_NS6detail17trampoline_kernelINS0_14default_configENS1_36segmented_radix_sort_config_selectorIblEEZNS1_25segmented_radix_sort_implIS3_Lb0EPKbPbPKlPlN2at6native12_GLOBAL__N_18offset_tEEE10hipError_tPvRmT1_PNSt15iterator_traitsISK_E10value_typeET2_T3_PNSL_ISQ_E10value_typeET4_jRbjT5_SW_jjP12ihipStream_tbEUlT_E0_NS1_11comp_targetILNS1_3genE4ELNS1_11target_archE910ELNS1_3gpuE8ELNS1_3repE0EEENS1_60segmented_radix_sort_warp_sort_medium_config_static_selectorELNS0_4arch9wavefront6targetE0EEEvSK_.num_named_barrier, 0
	.set _ZN7rocprim17ROCPRIM_400000_NS6detail17trampoline_kernelINS0_14default_configENS1_36segmented_radix_sort_config_selectorIblEEZNS1_25segmented_radix_sort_implIS3_Lb0EPKbPbPKlPlN2at6native12_GLOBAL__N_18offset_tEEE10hipError_tPvRmT1_PNSt15iterator_traitsISK_E10value_typeET2_T3_PNSL_ISQ_E10value_typeET4_jRbjT5_SW_jjP12ihipStream_tbEUlT_E0_NS1_11comp_targetILNS1_3genE4ELNS1_11target_archE910ELNS1_3gpuE8ELNS1_3repE0EEENS1_60segmented_radix_sort_warp_sort_medium_config_static_selectorELNS0_4arch9wavefront6targetE0EEEvSK_.private_seg_size, 0
	.set _ZN7rocprim17ROCPRIM_400000_NS6detail17trampoline_kernelINS0_14default_configENS1_36segmented_radix_sort_config_selectorIblEEZNS1_25segmented_radix_sort_implIS3_Lb0EPKbPbPKlPlN2at6native12_GLOBAL__N_18offset_tEEE10hipError_tPvRmT1_PNSt15iterator_traitsISK_E10value_typeET2_T3_PNSL_ISQ_E10value_typeET4_jRbjT5_SW_jjP12ihipStream_tbEUlT_E0_NS1_11comp_targetILNS1_3genE4ELNS1_11target_archE910ELNS1_3gpuE8ELNS1_3repE0EEENS1_60segmented_radix_sort_warp_sort_medium_config_static_selectorELNS0_4arch9wavefront6targetE0EEEvSK_.uses_vcc, 0
	.set _ZN7rocprim17ROCPRIM_400000_NS6detail17trampoline_kernelINS0_14default_configENS1_36segmented_radix_sort_config_selectorIblEEZNS1_25segmented_radix_sort_implIS3_Lb0EPKbPbPKlPlN2at6native12_GLOBAL__N_18offset_tEEE10hipError_tPvRmT1_PNSt15iterator_traitsISK_E10value_typeET2_T3_PNSL_ISQ_E10value_typeET4_jRbjT5_SW_jjP12ihipStream_tbEUlT_E0_NS1_11comp_targetILNS1_3genE4ELNS1_11target_archE910ELNS1_3gpuE8ELNS1_3repE0EEENS1_60segmented_radix_sort_warp_sort_medium_config_static_selectorELNS0_4arch9wavefront6targetE0EEEvSK_.uses_flat_scratch, 0
	.set _ZN7rocprim17ROCPRIM_400000_NS6detail17trampoline_kernelINS0_14default_configENS1_36segmented_radix_sort_config_selectorIblEEZNS1_25segmented_radix_sort_implIS3_Lb0EPKbPbPKlPlN2at6native12_GLOBAL__N_18offset_tEEE10hipError_tPvRmT1_PNSt15iterator_traitsISK_E10value_typeET2_T3_PNSL_ISQ_E10value_typeET4_jRbjT5_SW_jjP12ihipStream_tbEUlT_E0_NS1_11comp_targetILNS1_3genE4ELNS1_11target_archE910ELNS1_3gpuE8ELNS1_3repE0EEENS1_60segmented_radix_sort_warp_sort_medium_config_static_selectorELNS0_4arch9wavefront6targetE0EEEvSK_.has_dyn_sized_stack, 0
	.set _ZN7rocprim17ROCPRIM_400000_NS6detail17trampoline_kernelINS0_14default_configENS1_36segmented_radix_sort_config_selectorIblEEZNS1_25segmented_radix_sort_implIS3_Lb0EPKbPbPKlPlN2at6native12_GLOBAL__N_18offset_tEEE10hipError_tPvRmT1_PNSt15iterator_traitsISK_E10value_typeET2_T3_PNSL_ISQ_E10value_typeET4_jRbjT5_SW_jjP12ihipStream_tbEUlT_E0_NS1_11comp_targetILNS1_3genE4ELNS1_11target_archE910ELNS1_3gpuE8ELNS1_3repE0EEENS1_60segmented_radix_sort_warp_sort_medium_config_static_selectorELNS0_4arch9wavefront6targetE0EEEvSK_.has_recursion, 0
	.set _ZN7rocprim17ROCPRIM_400000_NS6detail17trampoline_kernelINS0_14default_configENS1_36segmented_radix_sort_config_selectorIblEEZNS1_25segmented_radix_sort_implIS3_Lb0EPKbPbPKlPlN2at6native12_GLOBAL__N_18offset_tEEE10hipError_tPvRmT1_PNSt15iterator_traitsISK_E10value_typeET2_T3_PNSL_ISQ_E10value_typeET4_jRbjT5_SW_jjP12ihipStream_tbEUlT_E0_NS1_11comp_targetILNS1_3genE4ELNS1_11target_archE910ELNS1_3gpuE8ELNS1_3repE0EEENS1_60segmented_radix_sort_warp_sort_medium_config_static_selectorELNS0_4arch9wavefront6targetE0EEEvSK_.has_indirect_call, 0
	.section	.AMDGPU.csdata,"",@progbits
; Kernel info:
; codeLenInByte = 0
; TotalNumSgprs: 0
; NumVgprs: 0
; ScratchSize: 0
; MemoryBound: 0
; FloatMode: 240
; IeeeMode: 1
; LDSByteSize: 0 bytes/workgroup (compile time only)
; SGPRBlocks: 0
; VGPRBlocks: 0
; NumSGPRsForWavesPerEU: 1
; NumVGPRsForWavesPerEU: 1
; Occupancy: 16
; WaveLimiterHint : 0
; COMPUTE_PGM_RSRC2:SCRATCH_EN: 0
; COMPUTE_PGM_RSRC2:USER_SGPR: 2
; COMPUTE_PGM_RSRC2:TRAP_HANDLER: 0
; COMPUTE_PGM_RSRC2:TGID_X_EN: 1
; COMPUTE_PGM_RSRC2:TGID_Y_EN: 0
; COMPUTE_PGM_RSRC2:TGID_Z_EN: 0
; COMPUTE_PGM_RSRC2:TIDIG_COMP_CNT: 0
	.section	.text._ZN7rocprim17ROCPRIM_400000_NS6detail17trampoline_kernelINS0_14default_configENS1_36segmented_radix_sort_config_selectorIblEEZNS1_25segmented_radix_sort_implIS3_Lb0EPKbPbPKlPlN2at6native12_GLOBAL__N_18offset_tEEE10hipError_tPvRmT1_PNSt15iterator_traitsISK_E10value_typeET2_T3_PNSL_ISQ_E10value_typeET4_jRbjT5_SW_jjP12ihipStream_tbEUlT_E0_NS1_11comp_targetILNS1_3genE3ELNS1_11target_archE908ELNS1_3gpuE7ELNS1_3repE0EEENS1_60segmented_radix_sort_warp_sort_medium_config_static_selectorELNS0_4arch9wavefront6targetE0EEEvSK_,"axG",@progbits,_ZN7rocprim17ROCPRIM_400000_NS6detail17trampoline_kernelINS0_14default_configENS1_36segmented_radix_sort_config_selectorIblEEZNS1_25segmented_radix_sort_implIS3_Lb0EPKbPbPKlPlN2at6native12_GLOBAL__N_18offset_tEEE10hipError_tPvRmT1_PNSt15iterator_traitsISK_E10value_typeET2_T3_PNSL_ISQ_E10value_typeET4_jRbjT5_SW_jjP12ihipStream_tbEUlT_E0_NS1_11comp_targetILNS1_3genE3ELNS1_11target_archE908ELNS1_3gpuE7ELNS1_3repE0EEENS1_60segmented_radix_sort_warp_sort_medium_config_static_selectorELNS0_4arch9wavefront6targetE0EEEvSK_,comdat
	.globl	_ZN7rocprim17ROCPRIM_400000_NS6detail17trampoline_kernelINS0_14default_configENS1_36segmented_radix_sort_config_selectorIblEEZNS1_25segmented_radix_sort_implIS3_Lb0EPKbPbPKlPlN2at6native12_GLOBAL__N_18offset_tEEE10hipError_tPvRmT1_PNSt15iterator_traitsISK_E10value_typeET2_T3_PNSL_ISQ_E10value_typeET4_jRbjT5_SW_jjP12ihipStream_tbEUlT_E0_NS1_11comp_targetILNS1_3genE3ELNS1_11target_archE908ELNS1_3gpuE7ELNS1_3repE0EEENS1_60segmented_radix_sort_warp_sort_medium_config_static_selectorELNS0_4arch9wavefront6targetE0EEEvSK_ ; -- Begin function _ZN7rocprim17ROCPRIM_400000_NS6detail17trampoline_kernelINS0_14default_configENS1_36segmented_radix_sort_config_selectorIblEEZNS1_25segmented_radix_sort_implIS3_Lb0EPKbPbPKlPlN2at6native12_GLOBAL__N_18offset_tEEE10hipError_tPvRmT1_PNSt15iterator_traitsISK_E10value_typeET2_T3_PNSL_ISQ_E10value_typeET4_jRbjT5_SW_jjP12ihipStream_tbEUlT_E0_NS1_11comp_targetILNS1_3genE3ELNS1_11target_archE908ELNS1_3gpuE7ELNS1_3repE0EEENS1_60segmented_radix_sort_warp_sort_medium_config_static_selectorELNS0_4arch9wavefront6targetE0EEEvSK_
	.p2align	8
	.type	_ZN7rocprim17ROCPRIM_400000_NS6detail17trampoline_kernelINS0_14default_configENS1_36segmented_radix_sort_config_selectorIblEEZNS1_25segmented_radix_sort_implIS3_Lb0EPKbPbPKlPlN2at6native12_GLOBAL__N_18offset_tEEE10hipError_tPvRmT1_PNSt15iterator_traitsISK_E10value_typeET2_T3_PNSL_ISQ_E10value_typeET4_jRbjT5_SW_jjP12ihipStream_tbEUlT_E0_NS1_11comp_targetILNS1_3genE3ELNS1_11target_archE908ELNS1_3gpuE7ELNS1_3repE0EEENS1_60segmented_radix_sort_warp_sort_medium_config_static_selectorELNS0_4arch9wavefront6targetE0EEEvSK_,@function
_ZN7rocprim17ROCPRIM_400000_NS6detail17trampoline_kernelINS0_14default_configENS1_36segmented_radix_sort_config_selectorIblEEZNS1_25segmented_radix_sort_implIS3_Lb0EPKbPbPKlPlN2at6native12_GLOBAL__N_18offset_tEEE10hipError_tPvRmT1_PNSt15iterator_traitsISK_E10value_typeET2_T3_PNSL_ISQ_E10value_typeET4_jRbjT5_SW_jjP12ihipStream_tbEUlT_E0_NS1_11comp_targetILNS1_3genE3ELNS1_11target_archE908ELNS1_3gpuE7ELNS1_3repE0EEENS1_60segmented_radix_sort_warp_sort_medium_config_static_selectorELNS0_4arch9wavefront6targetE0EEEvSK_: ; @_ZN7rocprim17ROCPRIM_400000_NS6detail17trampoline_kernelINS0_14default_configENS1_36segmented_radix_sort_config_selectorIblEEZNS1_25segmented_radix_sort_implIS3_Lb0EPKbPbPKlPlN2at6native12_GLOBAL__N_18offset_tEEE10hipError_tPvRmT1_PNSt15iterator_traitsISK_E10value_typeET2_T3_PNSL_ISQ_E10value_typeET4_jRbjT5_SW_jjP12ihipStream_tbEUlT_E0_NS1_11comp_targetILNS1_3genE3ELNS1_11target_archE908ELNS1_3gpuE7ELNS1_3repE0EEENS1_60segmented_radix_sort_warp_sort_medium_config_static_selectorELNS0_4arch9wavefront6targetE0EEEvSK_
; %bb.0:
	.section	.rodata,"a",@progbits
	.p2align	6, 0x0
	.amdhsa_kernel _ZN7rocprim17ROCPRIM_400000_NS6detail17trampoline_kernelINS0_14default_configENS1_36segmented_radix_sort_config_selectorIblEEZNS1_25segmented_radix_sort_implIS3_Lb0EPKbPbPKlPlN2at6native12_GLOBAL__N_18offset_tEEE10hipError_tPvRmT1_PNSt15iterator_traitsISK_E10value_typeET2_T3_PNSL_ISQ_E10value_typeET4_jRbjT5_SW_jjP12ihipStream_tbEUlT_E0_NS1_11comp_targetILNS1_3genE3ELNS1_11target_archE908ELNS1_3gpuE7ELNS1_3repE0EEENS1_60segmented_radix_sort_warp_sort_medium_config_static_selectorELNS0_4arch9wavefront6targetE0EEEvSK_
		.amdhsa_group_segment_fixed_size 0
		.amdhsa_private_segment_fixed_size 0
		.amdhsa_kernarg_size 88
		.amdhsa_user_sgpr_count 2
		.amdhsa_user_sgpr_dispatch_ptr 0
		.amdhsa_user_sgpr_queue_ptr 0
		.amdhsa_user_sgpr_kernarg_segment_ptr 1
		.amdhsa_user_sgpr_dispatch_id 0
		.amdhsa_user_sgpr_private_segment_size 0
		.amdhsa_wavefront_size32 1
		.amdhsa_uses_dynamic_stack 0
		.amdhsa_enable_private_segment 0
		.amdhsa_system_sgpr_workgroup_id_x 1
		.amdhsa_system_sgpr_workgroup_id_y 0
		.amdhsa_system_sgpr_workgroup_id_z 0
		.amdhsa_system_sgpr_workgroup_info 0
		.amdhsa_system_vgpr_workitem_id 0
		.amdhsa_next_free_vgpr 1
		.amdhsa_next_free_sgpr 1
		.amdhsa_reserve_vcc 0
		.amdhsa_float_round_mode_32 0
		.amdhsa_float_round_mode_16_64 0
		.amdhsa_float_denorm_mode_32 3
		.amdhsa_float_denorm_mode_16_64 3
		.amdhsa_fp16_overflow 0
		.amdhsa_workgroup_processor_mode 1
		.amdhsa_memory_ordered 1
		.amdhsa_forward_progress 1
		.amdhsa_inst_pref_size 0
		.amdhsa_round_robin_scheduling 0
		.amdhsa_exception_fp_ieee_invalid_op 0
		.amdhsa_exception_fp_denorm_src 0
		.amdhsa_exception_fp_ieee_div_zero 0
		.amdhsa_exception_fp_ieee_overflow 0
		.amdhsa_exception_fp_ieee_underflow 0
		.amdhsa_exception_fp_ieee_inexact 0
		.amdhsa_exception_int_div_zero 0
	.end_amdhsa_kernel
	.section	.text._ZN7rocprim17ROCPRIM_400000_NS6detail17trampoline_kernelINS0_14default_configENS1_36segmented_radix_sort_config_selectorIblEEZNS1_25segmented_radix_sort_implIS3_Lb0EPKbPbPKlPlN2at6native12_GLOBAL__N_18offset_tEEE10hipError_tPvRmT1_PNSt15iterator_traitsISK_E10value_typeET2_T3_PNSL_ISQ_E10value_typeET4_jRbjT5_SW_jjP12ihipStream_tbEUlT_E0_NS1_11comp_targetILNS1_3genE3ELNS1_11target_archE908ELNS1_3gpuE7ELNS1_3repE0EEENS1_60segmented_radix_sort_warp_sort_medium_config_static_selectorELNS0_4arch9wavefront6targetE0EEEvSK_,"axG",@progbits,_ZN7rocprim17ROCPRIM_400000_NS6detail17trampoline_kernelINS0_14default_configENS1_36segmented_radix_sort_config_selectorIblEEZNS1_25segmented_radix_sort_implIS3_Lb0EPKbPbPKlPlN2at6native12_GLOBAL__N_18offset_tEEE10hipError_tPvRmT1_PNSt15iterator_traitsISK_E10value_typeET2_T3_PNSL_ISQ_E10value_typeET4_jRbjT5_SW_jjP12ihipStream_tbEUlT_E0_NS1_11comp_targetILNS1_3genE3ELNS1_11target_archE908ELNS1_3gpuE7ELNS1_3repE0EEENS1_60segmented_radix_sort_warp_sort_medium_config_static_selectorELNS0_4arch9wavefront6targetE0EEEvSK_,comdat
.Lfunc_end1648:
	.size	_ZN7rocprim17ROCPRIM_400000_NS6detail17trampoline_kernelINS0_14default_configENS1_36segmented_radix_sort_config_selectorIblEEZNS1_25segmented_radix_sort_implIS3_Lb0EPKbPbPKlPlN2at6native12_GLOBAL__N_18offset_tEEE10hipError_tPvRmT1_PNSt15iterator_traitsISK_E10value_typeET2_T3_PNSL_ISQ_E10value_typeET4_jRbjT5_SW_jjP12ihipStream_tbEUlT_E0_NS1_11comp_targetILNS1_3genE3ELNS1_11target_archE908ELNS1_3gpuE7ELNS1_3repE0EEENS1_60segmented_radix_sort_warp_sort_medium_config_static_selectorELNS0_4arch9wavefront6targetE0EEEvSK_, .Lfunc_end1648-_ZN7rocprim17ROCPRIM_400000_NS6detail17trampoline_kernelINS0_14default_configENS1_36segmented_radix_sort_config_selectorIblEEZNS1_25segmented_radix_sort_implIS3_Lb0EPKbPbPKlPlN2at6native12_GLOBAL__N_18offset_tEEE10hipError_tPvRmT1_PNSt15iterator_traitsISK_E10value_typeET2_T3_PNSL_ISQ_E10value_typeET4_jRbjT5_SW_jjP12ihipStream_tbEUlT_E0_NS1_11comp_targetILNS1_3genE3ELNS1_11target_archE908ELNS1_3gpuE7ELNS1_3repE0EEENS1_60segmented_radix_sort_warp_sort_medium_config_static_selectorELNS0_4arch9wavefront6targetE0EEEvSK_
                                        ; -- End function
	.set _ZN7rocprim17ROCPRIM_400000_NS6detail17trampoline_kernelINS0_14default_configENS1_36segmented_radix_sort_config_selectorIblEEZNS1_25segmented_radix_sort_implIS3_Lb0EPKbPbPKlPlN2at6native12_GLOBAL__N_18offset_tEEE10hipError_tPvRmT1_PNSt15iterator_traitsISK_E10value_typeET2_T3_PNSL_ISQ_E10value_typeET4_jRbjT5_SW_jjP12ihipStream_tbEUlT_E0_NS1_11comp_targetILNS1_3genE3ELNS1_11target_archE908ELNS1_3gpuE7ELNS1_3repE0EEENS1_60segmented_radix_sort_warp_sort_medium_config_static_selectorELNS0_4arch9wavefront6targetE0EEEvSK_.num_vgpr, 0
	.set _ZN7rocprim17ROCPRIM_400000_NS6detail17trampoline_kernelINS0_14default_configENS1_36segmented_radix_sort_config_selectorIblEEZNS1_25segmented_radix_sort_implIS3_Lb0EPKbPbPKlPlN2at6native12_GLOBAL__N_18offset_tEEE10hipError_tPvRmT1_PNSt15iterator_traitsISK_E10value_typeET2_T3_PNSL_ISQ_E10value_typeET4_jRbjT5_SW_jjP12ihipStream_tbEUlT_E0_NS1_11comp_targetILNS1_3genE3ELNS1_11target_archE908ELNS1_3gpuE7ELNS1_3repE0EEENS1_60segmented_radix_sort_warp_sort_medium_config_static_selectorELNS0_4arch9wavefront6targetE0EEEvSK_.num_agpr, 0
	.set _ZN7rocprim17ROCPRIM_400000_NS6detail17trampoline_kernelINS0_14default_configENS1_36segmented_radix_sort_config_selectorIblEEZNS1_25segmented_radix_sort_implIS3_Lb0EPKbPbPKlPlN2at6native12_GLOBAL__N_18offset_tEEE10hipError_tPvRmT1_PNSt15iterator_traitsISK_E10value_typeET2_T3_PNSL_ISQ_E10value_typeET4_jRbjT5_SW_jjP12ihipStream_tbEUlT_E0_NS1_11comp_targetILNS1_3genE3ELNS1_11target_archE908ELNS1_3gpuE7ELNS1_3repE0EEENS1_60segmented_radix_sort_warp_sort_medium_config_static_selectorELNS0_4arch9wavefront6targetE0EEEvSK_.numbered_sgpr, 0
	.set _ZN7rocprim17ROCPRIM_400000_NS6detail17trampoline_kernelINS0_14default_configENS1_36segmented_radix_sort_config_selectorIblEEZNS1_25segmented_radix_sort_implIS3_Lb0EPKbPbPKlPlN2at6native12_GLOBAL__N_18offset_tEEE10hipError_tPvRmT1_PNSt15iterator_traitsISK_E10value_typeET2_T3_PNSL_ISQ_E10value_typeET4_jRbjT5_SW_jjP12ihipStream_tbEUlT_E0_NS1_11comp_targetILNS1_3genE3ELNS1_11target_archE908ELNS1_3gpuE7ELNS1_3repE0EEENS1_60segmented_radix_sort_warp_sort_medium_config_static_selectorELNS0_4arch9wavefront6targetE0EEEvSK_.num_named_barrier, 0
	.set _ZN7rocprim17ROCPRIM_400000_NS6detail17trampoline_kernelINS0_14default_configENS1_36segmented_radix_sort_config_selectorIblEEZNS1_25segmented_radix_sort_implIS3_Lb0EPKbPbPKlPlN2at6native12_GLOBAL__N_18offset_tEEE10hipError_tPvRmT1_PNSt15iterator_traitsISK_E10value_typeET2_T3_PNSL_ISQ_E10value_typeET4_jRbjT5_SW_jjP12ihipStream_tbEUlT_E0_NS1_11comp_targetILNS1_3genE3ELNS1_11target_archE908ELNS1_3gpuE7ELNS1_3repE0EEENS1_60segmented_radix_sort_warp_sort_medium_config_static_selectorELNS0_4arch9wavefront6targetE0EEEvSK_.private_seg_size, 0
	.set _ZN7rocprim17ROCPRIM_400000_NS6detail17trampoline_kernelINS0_14default_configENS1_36segmented_radix_sort_config_selectorIblEEZNS1_25segmented_radix_sort_implIS3_Lb0EPKbPbPKlPlN2at6native12_GLOBAL__N_18offset_tEEE10hipError_tPvRmT1_PNSt15iterator_traitsISK_E10value_typeET2_T3_PNSL_ISQ_E10value_typeET4_jRbjT5_SW_jjP12ihipStream_tbEUlT_E0_NS1_11comp_targetILNS1_3genE3ELNS1_11target_archE908ELNS1_3gpuE7ELNS1_3repE0EEENS1_60segmented_radix_sort_warp_sort_medium_config_static_selectorELNS0_4arch9wavefront6targetE0EEEvSK_.uses_vcc, 0
	.set _ZN7rocprim17ROCPRIM_400000_NS6detail17trampoline_kernelINS0_14default_configENS1_36segmented_radix_sort_config_selectorIblEEZNS1_25segmented_radix_sort_implIS3_Lb0EPKbPbPKlPlN2at6native12_GLOBAL__N_18offset_tEEE10hipError_tPvRmT1_PNSt15iterator_traitsISK_E10value_typeET2_T3_PNSL_ISQ_E10value_typeET4_jRbjT5_SW_jjP12ihipStream_tbEUlT_E0_NS1_11comp_targetILNS1_3genE3ELNS1_11target_archE908ELNS1_3gpuE7ELNS1_3repE0EEENS1_60segmented_radix_sort_warp_sort_medium_config_static_selectorELNS0_4arch9wavefront6targetE0EEEvSK_.uses_flat_scratch, 0
	.set _ZN7rocprim17ROCPRIM_400000_NS6detail17trampoline_kernelINS0_14default_configENS1_36segmented_radix_sort_config_selectorIblEEZNS1_25segmented_radix_sort_implIS3_Lb0EPKbPbPKlPlN2at6native12_GLOBAL__N_18offset_tEEE10hipError_tPvRmT1_PNSt15iterator_traitsISK_E10value_typeET2_T3_PNSL_ISQ_E10value_typeET4_jRbjT5_SW_jjP12ihipStream_tbEUlT_E0_NS1_11comp_targetILNS1_3genE3ELNS1_11target_archE908ELNS1_3gpuE7ELNS1_3repE0EEENS1_60segmented_radix_sort_warp_sort_medium_config_static_selectorELNS0_4arch9wavefront6targetE0EEEvSK_.has_dyn_sized_stack, 0
	.set _ZN7rocprim17ROCPRIM_400000_NS6detail17trampoline_kernelINS0_14default_configENS1_36segmented_radix_sort_config_selectorIblEEZNS1_25segmented_radix_sort_implIS3_Lb0EPKbPbPKlPlN2at6native12_GLOBAL__N_18offset_tEEE10hipError_tPvRmT1_PNSt15iterator_traitsISK_E10value_typeET2_T3_PNSL_ISQ_E10value_typeET4_jRbjT5_SW_jjP12ihipStream_tbEUlT_E0_NS1_11comp_targetILNS1_3genE3ELNS1_11target_archE908ELNS1_3gpuE7ELNS1_3repE0EEENS1_60segmented_radix_sort_warp_sort_medium_config_static_selectorELNS0_4arch9wavefront6targetE0EEEvSK_.has_recursion, 0
	.set _ZN7rocprim17ROCPRIM_400000_NS6detail17trampoline_kernelINS0_14default_configENS1_36segmented_radix_sort_config_selectorIblEEZNS1_25segmented_radix_sort_implIS3_Lb0EPKbPbPKlPlN2at6native12_GLOBAL__N_18offset_tEEE10hipError_tPvRmT1_PNSt15iterator_traitsISK_E10value_typeET2_T3_PNSL_ISQ_E10value_typeET4_jRbjT5_SW_jjP12ihipStream_tbEUlT_E0_NS1_11comp_targetILNS1_3genE3ELNS1_11target_archE908ELNS1_3gpuE7ELNS1_3repE0EEENS1_60segmented_radix_sort_warp_sort_medium_config_static_selectorELNS0_4arch9wavefront6targetE0EEEvSK_.has_indirect_call, 0
	.section	.AMDGPU.csdata,"",@progbits
; Kernel info:
; codeLenInByte = 0
; TotalNumSgprs: 0
; NumVgprs: 0
; ScratchSize: 0
; MemoryBound: 0
; FloatMode: 240
; IeeeMode: 1
; LDSByteSize: 0 bytes/workgroup (compile time only)
; SGPRBlocks: 0
; VGPRBlocks: 0
; NumSGPRsForWavesPerEU: 1
; NumVGPRsForWavesPerEU: 1
; Occupancy: 16
; WaveLimiterHint : 0
; COMPUTE_PGM_RSRC2:SCRATCH_EN: 0
; COMPUTE_PGM_RSRC2:USER_SGPR: 2
; COMPUTE_PGM_RSRC2:TRAP_HANDLER: 0
; COMPUTE_PGM_RSRC2:TGID_X_EN: 1
; COMPUTE_PGM_RSRC2:TGID_Y_EN: 0
; COMPUTE_PGM_RSRC2:TGID_Z_EN: 0
; COMPUTE_PGM_RSRC2:TIDIG_COMP_CNT: 0
	.section	.text._ZN7rocprim17ROCPRIM_400000_NS6detail17trampoline_kernelINS0_14default_configENS1_36segmented_radix_sort_config_selectorIblEEZNS1_25segmented_radix_sort_implIS3_Lb0EPKbPbPKlPlN2at6native12_GLOBAL__N_18offset_tEEE10hipError_tPvRmT1_PNSt15iterator_traitsISK_E10value_typeET2_T3_PNSL_ISQ_E10value_typeET4_jRbjT5_SW_jjP12ihipStream_tbEUlT_E0_NS1_11comp_targetILNS1_3genE2ELNS1_11target_archE906ELNS1_3gpuE6ELNS1_3repE0EEENS1_60segmented_radix_sort_warp_sort_medium_config_static_selectorELNS0_4arch9wavefront6targetE0EEEvSK_,"axG",@progbits,_ZN7rocprim17ROCPRIM_400000_NS6detail17trampoline_kernelINS0_14default_configENS1_36segmented_radix_sort_config_selectorIblEEZNS1_25segmented_radix_sort_implIS3_Lb0EPKbPbPKlPlN2at6native12_GLOBAL__N_18offset_tEEE10hipError_tPvRmT1_PNSt15iterator_traitsISK_E10value_typeET2_T3_PNSL_ISQ_E10value_typeET4_jRbjT5_SW_jjP12ihipStream_tbEUlT_E0_NS1_11comp_targetILNS1_3genE2ELNS1_11target_archE906ELNS1_3gpuE6ELNS1_3repE0EEENS1_60segmented_radix_sort_warp_sort_medium_config_static_selectorELNS0_4arch9wavefront6targetE0EEEvSK_,comdat
	.globl	_ZN7rocprim17ROCPRIM_400000_NS6detail17trampoline_kernelINS0_14default_configENS1_36segmented_radix_sort_config_selectorIblEEZNS1_25segmented_radix_sort_implIS3_Lb0EPKbPbPKlPlN2at6native12_GLOBAL__N_18offset_tEEE10hipError_tPvRmT1_PNSt15iterator_traitsISK_E10value_typeET2_T3_PNSL_ISQ_E10value_typeET4_jRbjT5_SW_jjP12ihipStream_tbEUlT_E0_NS1_11comp_targetILNS1_3genE2ELNS1_11target_archE906ELNS1_3gpuE6ELNS1_3repE0EEENS1_60segmented_radix_sort_warp_sort_medium_config_static_selectorELNS0_4arch9wavefront6targetE0EEEvSK_ ; -- Begin function _ZN7rocprim17ROCPRIM_400000_NS6detail17trampoline_kernelINS0_14default_configENS1_36segmented_radix_sort_config_selectorIblEEZNS1_25segmented_radix_sort_implIS3_Lb0EPKbPbPKlPlN2at6native12_GLOBAL__N_18offset_tEEE10hipError_tPvRmT1_PNSt15iterator_traitsISK_E10value_typeET2_T3_PNSL_ISQ_E10value_typeET4_jRbjT5_SW_jjP12ihipStream_tbEUlT_E0_NS1_11comp_targetILNS1_3genE2ELNS1_11target_archE906ELNS1_3gpuE6ELNS1_3repE0EEENS1_60segmented_radix_sort_warp_sort_medium_config_static_selectorELNS0_4arch9wavefront6targetE0EEEvSK_
	.p2align	8
	.type	_ZN7rocprim17ROCPRIM_400000_NS6detail17trampoline_kernelINS0_14default_configENS1_36segmented_radix_sort_config_selectorIblEEZNS1_25segmented_radix_sort_implIS3_Lb0EPKbPbPKlPlN2at6native12_GLOBAL__N_18offset_tEEE10hipError_tPvRmT1_PNSt15iterator_traitsISK_E10value_typeET2_T3_PNSL_ISQ_E10value_typeET4_jRbjT5_SW_jjP12ihipStream_tbEUlT_E0_NS1_11comp_targetILNS1_3genE2ELNS1_11target_archE906ELNS1_3gpuE6ELNS1_3repE0EEENS1_60segmented_radix_sort_warp_sort_medium_config_static_selectorELNS0_4arch9wavefront6targetE0EEEvSK_,@function
_ZN7rocprim17ROCPRIM_400000_NS6detail17trampoline_kernelINS0_14default_configENS1_36segmented_radix_sort_config_selectorIblEEZNS1_25segmented_radix_sort_implIS3_Lb0EPKbPbPKlPlN2at6native12_GLOBAL__N_18offset_tEEE10hipError_tPvRmT1_PNSt15iterator_traitsISK_E10value_typeET2_T3_PNSL_ISQ_E10value_typeET4_jRbjT5_SW_jjP12ihipStream_tbEUlT_E0_NS1_11comp_targetILNS1_3genE2ELNS1_11target_archE906ELNS1_3gpuE6ELNS1_3repE0EEENS1_60segmented_radix_sort_warp_sort_medium_config_static_selectorELNS0_4arch9wavefront6targetE0EEEvSK_: ; @_ZN7rocprim17ROCPRIM_400000_NS6detail17trampoline_kernelINS0_14default_configENS1_36segmented_radix_sort_config_selectorIblEEZNS1_25segmented_radix_sort_implIS3_Lb0EPKbPbPKlPlN2at6native12_GLOBAL__N_18offset_tEEE10hipError_tPvRmT1_PNSt15iterator_traitsISK_E10value_typeET2_T3_PNSL_ISQ_E10value_typeET4_jRbjT5_SW_jjP12ihipStream_tbEUlT_E0_NS1_11comp_targetILNS1_3genE2ELNS1_11target_archE906ELNS1_3gpuE6ELNS1_3repE0EEENS1_60segmented_radix_sort_warp_sort_medium_config_static_selectorELNS0_4arch9wavefront6targetE0EEEvSK_
; %bb.0:
	.section	.rodata,"a",@progbits
	.p2align	6, 0x0
	.amdhsa_kernel _ZN7rocprim17ROCPRIM_400000_NS6detail17trampoline_kernelINS0_14default_configENS1_36segmented_radix_sort_config_selectorIblEEZNS1_25segmented_radix_sort_implIS3_Lb0EPKbPbPKlPlN2at6native12_GLOBAL__N_18offset_tEEE10hipError_tPvRmT1_PNSt15iterator_traitsISK_E10value_typeET2_T3_PNSL_ISQ_E10value_typeET4_jRbjT5_SW_jjP12ihipStream_tbEUlT_E0_NS1_11comp_targetILNS1_3genE2ELNS1_11target_archE906ELNS1_3gpuE6ELNS1_3repE0EEENS1_60segmented_radix_sort_warp_sort_medium_config_static_selectorELNS0_4arch9wavefront6targetE0EEEvSK_
		.amdhsa_group_segment_fixed_size 0
		.amdhsa_private_segment_fixed_size 0
		.amdhsa_kernarg_size 88
		.amdhsa_user_sgpr_count 2
		.amdhsa_user_sgpr_dispatch_ptr 0
		.amdhsa_user_sgpr_queue_ptr 0
		.amdhsa_user_sgpr_kernarg_segment_ptr 1
		.amdhsa_user_sgpr_dispatch_id 0
		.amdhsa_user_sgpr_private_segment_size 0
		.amdhsa_wavefront_size32 1
		.amdhsa_uses_dynamic_stack 0
		.amdhsa_enable_private_segment 0
		.amdhsa_system_sgpr_workgroup_id_x 1
		.amdhsa_system_sgpr_workgroup_id_y 0
		.amdhsa_system_sgpr_workgroup_id_z 0
		.amdhsa_system_sgpr_workgroup_info 0
		.amdhsa_system_vgpr_workitem_id 0
		.amdhsa_next_free_vgpr 1
		.amdhsa_next_free_sgpr 1
		.amdhsa_reserve_vcc 0
		.amdhsa_float_round_mode_32 0
		.amdhsa_float_round_mode_16_64 0
		.amdhsa_float_denorm_mode_32 3
		.amdhsa_float_denorm_mode_16_64 3
		.amdhsa_fp16_overflow 0
		.amdhsa_workgroup_processor_mode 1
		.amdhsa_memory_ordered 1
		.amdhsa_forward_progress 1
		.amdhsa_inst_pref_size 0
		.amdhsa_round_robin_scheduling 0
		.amdhsa_exception_fp_ieee_invalid_op 0
		.amdhsa_exception_fp_denorm_src 0
		.amdhsa_exception_fp_ieee_div_zero 0
		.amdhsa_exception_fp_ieee_overflow 0
		.amdhsa_exception_fp_ieee_underflow 0
		.amdhsa_exception_fp_ieee_inexact 0
		.amdhsa_exception_int_div_zero 0
	.end_amdhsa_kernel
	.section	.text._ZN7rocprim17ROCPRIM_400000_NS6detail17trampoline_kernelINS0_14default_configENS1_36segmented_radix_sort_config_selectorIblEEZNS1_25segmented_radix_sort_implIS3_Lb0EPKbPbPKlPlN2at6native12_GLOBAL__N_18offset_tEEE10hipError_tPvRmT1_PNSt15iterator_traitsISK_E10value_typeET2_T3_PNSL_ISQ_E10value_typeET4_jRbjT5_SW_jjP12ihipStream_tbEUlT_E0_NS1_11comp_targetILNS1_3genE2ELNS1_11target_archE906ELNS1_3gpuE6ELNS1_3repE0EEENS1_60segmented_radix_sort_warp_sort_medium_config_static_selectorELNS0_4arch9wavefront6targetE0EEEvSK_,"axG",@progbits,_ZN7rocprim17ROCPRIM_400000_NS6detail17trampoline_kernelINS0_14default_configENS1_36segmented_radix_sort_config_selectorIblEEZNS1_25segmented_radix_sort_implIS3_Lb0EPKbPbPKlPlN2at6native12_GLOBAL__N_18offset_tEEE10hipError_tPvRmT1_PNSt15iterator_traitsISK_E10value_typeET2_T3_PNSL_ISQ_E10value_typeET4_jRbjT5_SW_jjP12ihipStream_tbEUlT_E0_NS1_11comp_targetILNS1_3genE2ELNS1_11target_archE906ELNS1_3gpuE6ELNS1_3repE0EEENS1_60segmented_radix_sort_warp_sort_medium_config_static_selectorELNS0_4arch9wavefront6targetE0EEEvSK_,comdat
.Lfunc_end1649:
	.size	_ZN7rocprim17ROCPRIM_400000_NS6detail17trampoline_kernelINS0_14default_configENS1_36segmented_radix_sort_config_selectorIblEEZNS1_25segmented_radix_sort_implIS3_Lb0EPKbPbPKlPlN2at6native12_GLOBAL__N_18offset_tEEE10hipError_tPvRmT1_PNSt15iterator_traitsISK_E10value_typeET2_T3_PNSL_ISQ_E10value_typeET4_jRbjT5_SW_jjP12ihipStream_tbEUlT_E0_NS1_11comp_targetILNS1_3genE2ELNS1_11target_archE906ELNS1_3gpuE6ELNS1_3repE0EEENS1_60segmented_radix_sort_warp_sort_medium_config_static_selectorELNS0_4arch9wavefront6targetE0EEEvSK_, .Lfunc_end1649-_ZN7rocprim17ROCPRIM_400000_NS6detail17trampoline_kernelINS0_14default_configENS1_36segmented_radix_sort_config_selectorIblEEZNS1_25segmented_radix_sort_implIS3_Lb0EPKbPbPKlPlN2at6native12_GLOBAL__N_18offset_tEEE10hipError_tPvRmT1_PNSt15iterator_traitsISK_E10value_typeET2_T3_PNSL_ISQ_E10value_typeET4_jRbjT5_SW_jjP12ihipStream_tbEUlT_E0_NS1_11comp_targetILNS1_3genE2ELNS1_11target_archE906ELNS1_3gpuE6ELNS1_3repE0EEENS1_60segmented_radix_sort_warp_sort_medium_config_static_selectorELNS0_4arch9wavefront6targetE0EEEvSK_
                                        ; -- End function
	.set _ZN7rocprim17ROCPRIM_400000_NS6detail17trampoline_kernelINS0_14default_configENS1_36segmented_radix_sort_config_selectorIblEEZNS1_25segmented_radix_sort_implIS3_Lb0EPKbPbPKlPlN2at6native12_GLOBAL__N_18offset_tEEE10hipError_tPvRmT1_PNSt15iterator_traitsISK_E10value_typeET2_T3_PNSL_ISQ_E10value_typeET4_jRbjT5_SW_jjP12ihipStream_tbEUlT_E0_NS1_11comp_targetILNS1_3genE2ELNS1_11target_archE906ELNS1_3gpuE6ELNS1_3repE0EEENS1_60segmented_radix_sort_warp_sort_medium_config_static_selectorELNS0_4arch9wavefront6targetE0EEEvSK_.num_vgpr, 0
	.set _ZN7rocprim17ROCPRIM_400000_NS6detail17trampoline_kernelINS0_14default_configENS1_36segmented_radix_sort_config_selectorIblEEZNS1_25segmented_radix_sort_implIS3_Lb0EPKbPbPKlPlN2at6native12_GLOBAL__N_18offset_tEEE10hipError_tPvRmT1_PNSt15iterator_traitsISK_E10value_typeET2_T3_PNSL_ISQ_E10value_typeET4_jRbjT5_SW_jjP12ihipStream_tbEUlT_E0_NS1_11comp_targetILNS1_3genE2ELNS1_11target_archE906ELNS1_3gpuE6ELNS1_3repE0EEENS1_60segmented_radix_sort_warp_sort_medium_config_static_selectorELNS0_4arch9wavefront6targetE0EEEvSK_.num_agpr, 0
	.set _ZN7rocprim17ROCPRIM_400000_NS6detail17trampoline_kernelINS0_14default_configENS1_36segmented_radix_sort_config_selectorIblEEZNS1_25segmented_radix_sort_implIS3_Lb0EPKbPbPKlPlN2at6native12_GLOBAL__N_18offset_tEEE10hipError_tPvRmT1_PNSt15iterator_traitsISK_E10value_typeET2_T3_PNSL_ISQ_E10value_typeET4_jRbjT5_SW_jjP12ihipStream_tbEUlT_E0_NS1_11comp_targetILNS1_3genE2ELNS1_11target_archE906ELNS1_3gpuE6ELNS1_3repE0EEENS1_60segmented_radix_sort_warp_sort_medium_config_static_selectorELNS0_4arch9wavefront6targetE0EEEvSK_.numbered_sgpr, 0
	.set _ZN7rocprim17ROCPRIM_400000_NS6detail17trampoline_kernelINS0_14default_configENS1_36segmented_radix_sort_config_selectorIblEEZNS1_25segmented_radix_sort_implIS3_Lb0EPKbPbPKlPlN2at6native12_GLOBAL__N_18offset_tEEE10hipError_tPvRmT1_PNSt15iterator_traitsISK_E10value_typeET2_T3_PNSL_ISQ_E10value_typeET4_jRbjT5_SW_jjP12ihipStream_tbEUlT_E0_NS1_11comp_targetILNS1_3genE2ELNS1_11target_archE906ELNS1_3gpuE6ELNS1_3repE0EEENS1_60segmented_radix_sort_warp_sort_medium_config_static_selectorELNS0_4arch9wavefront6targetE0EEEvSK_.num_named_barrier, 0
	.set _ZN7rocprim17ROCPRIM_400000_NS6detail17trampoline_kernelINS0_14default_configENS1_36segmented_radix_sort_config_selectorIblEEZNS1_25segmented_radix_sort_implIS3_Lb0EPKbPbPKlPlN2at6native12_GLOBAL__N_18offset_tEEE10hipError_tPvRmT1_PNSt15iterator_traitsISK_E10value_typeET2_T3_PNSL_ISQ_E10value_typeET4_jRbjT5_SW_jjP12ihipStream_tbEUlT_E0_NS1_11comp_targetILNS1_3genE2ELNS1_11target_archE906ELNS1_3gpuE6ELNS1_3repE0EEENS1_60segmented_radix_sort_warp_sort_medium_config_static_selectorELNS0_4arch9wavefront6targetE0EEEvSK_.private_seg_size, 0
	.set _ZN7rocprim17ROCPRIM_400000_NS6detail17trampoline_kernelINS0_14default_configENS1_36segmented_radix_sort_config_selectorIblEEZNS1_25segmented_radix_sort_implIS3_Lb0EPKbPbPKlPlN2at6native12_GLOBAL__N_18offset_tEEE10hipError_tPvRmT1_PNSt15iterator_traitsISK_E10value_typeET2_T3_PNSL_ISQ_E10value_typeET4_jRbjT5_SW_jjP12ihipStream_tbEUlT_E0_NS1_11comp_targetILNS1_3genE2ELNS1_11target_archE906ELNS1_3gpuE6ELNS1_3repE0EEENS1_60segmented_radix_sort_warp_sort_medium_config_static_selectorELNS0_4arch9wavefront6targetE0EEEvSK_.uses_vcc, 0
	.set _ZN7rocprim17ROCPRIM_400000_NS6detail17trampoline_kernelINS0_14default_configENS1_36segmented_radix_sort_config_selectorIblEEZNS1_25segmented_radix_sort_implIS3_Lb0EPKbPbPKlPlN2at6native12_GLOBAL__N_18offset_tEEE10hipError_tPvRmT1_PNSt15iterator_traitsISK_E10value_typeET2_T3_PNSL_ISQ_E10value_typeET4_jRbjT5_SW_jjP12ihipStream_tbEUlT_E0_NS1_11comp_targetILNS1_3genE2ELNS1_11target_archE906ELNS1_3gpuE6ELNS1_3repE0EEENS1_60segmented_radix_sort_warp_sort_medium_config_static_selectorELNS0_4arch9wavefront6targetE0EEEvSK_.uses_flat_scratch, 0
	.set _ZN7rocprim17ROCPRIM_400000_NS6detail17trampoline_kernelINS0_14default_configENS1_36segmented_radix_sort_config_selectorIblEEZNS1_25segmented_radix_sort_implIS3_Lb0EPKbPbPKlPlN2at6native12_GLOBAL__N_18offset_tEEE10hipError_tPvRmT1_PNSt15iterator_traitsISK_E10value_typeET2_T3_PNSL_ISQ_E10value_typeET4_jRbjT5_SW_jjP12ihipStream_tbEUlT_E0_NS1_11comp_targetILNS1_3genE2ELNS1_11target_archE906ELNS1_3gpuE6ELNS1_3repE0EEENS1_60segmented_radix_sort_warp_sort_medium_config_static_selectorELNS0_4arch9wavefront6targetE0EEEvSK_.has_dyn_sized_stack, 0
	.set _ZN7rocprim17ROCPRIM_400000_NS6detail17trampoline_kernelINS0_14default_configENS1_36segmented_radix_sort_config_selectorIblEEZNS1_25segmented_radix_sort_implIS3_Lb0EPKbPbPKlPlN2at6native12_GLOBAL__N_18offset_tEEE10hipError_tPvRmT1_PNSt15iterator_traitsISK_E10value_typeET2_T3_PNSL_ISQ_E10value_typeET4_jRbjT5_SW_jjP12ihipStream_tbEUlT_E0_NS1_11comp_targetILNS1_3genE2ELNS1_11target_archE906ELNS1_3gpuE6ELNS1_3repE0EEENS1_60segmented_radix_sort_warp_sort_medium_config_static_selectorELNS0_4arch9wavefront6targetE0EEEvSK_.has_recursion, 0
	.set _ZN7rocprim17ROCPRIM_400000_NS6detail17trampoline_kernelINS0_14default_configENS1_36segmented_radix_sort_config_selectorIblEEZNS1_25segmented_radix_sort_implIS3_Lb0EPKbPbPKlPlN2at6native12_GLOBAL__N_18offset_tEEE10hipError_tPvRmT1_PNSt15iterator_traitsISK_E10value_typeET2_T3_PNSL_ISQ_E10value_typeET4_jRbjT5_SW_jjP12ihipStream_tbEUlT_E0_NS1_11comp_targetILNS1_3genE2ELNS1_11target_archE906ELNS1_3gpuE6ELNS1_3repE0EEENS1_60segmented_radix_sort_warp_sort_medium_config_static_selectorELNS0_4arch9wavefront6targetE0EEEvSK_.has_indirect_call, 0
	.section	.AMDGPU.csdata,"",@progbits
; Kernel info:
; codeLenInByte = 0
; TotalNumSgprs: 0
; NumVgprs: 0
; ScratchSize: 0
; MemoryBound: 0
; FloatMode: 240
; IeeeMode: 1
; LDSByteSize: 0 bytes/workgroup (compile time only)
; SGPRBlocks: 0
; VGPRBlocks: 0
; NumSGPRsForWavesPerEU: 1
; NumVGPRsForWavesPerEU: 1
; Occupancy: 16
; WaveLimiterHint : 0
; COMPUTE_PGM_RSRC2:SCRATCH_EN: 0
; COMPUTE_PGM_RSRC2:USER_SGPR: 2
; COMPUTE_PGM_RSRC2:TRAP_HANDLER: 0
; COMPUTE_PGM_RSRC2:TGID_X_EN: 1
; COMPUTE_PGM_RSRC2:TGID_Y_EN: 0
; COMPUTE_PGM_RSRC2:TGID_Z_EN: 0
; COMPUTE_PGM_RSRC2:TIDIG_COMP_CNT: 0
	.text
	.p2align	2                               ; -- Begin function _ZN7rocprim17ROCPRIM_400000_NS6detail26segmented_warp_sort_helperINS1_20WarpSortHelperConfigILj16ELj8ELj256EEEblLi256ELb0EvE4sortIPKbPbPKlPlEEvT_T0_T1_T2_jjjjRNS5_12storage_typeE
	.type	_ZN7rocprim17ROCPRIM_400000_NS6detail26segmented_warp_sort_helperINS1_20WarpSortHelperConfigILj16ELj8ELj256EEEblLi256ELb0EvE4sortIPKbPbPKlPlEEvT_T0_T1_T2_jjjjRNS5_12storage_typeE,@function
_ZN7rocprim17ROCPRIM_400000_NS6detail26segmented_warp_sort_helperINS1_20WarpSortHelperConfigILj16ELj8ELj256EEEblLi256ELb0EvE4sortIPKbPbPKlPlEEvT_T0_T1_T2_jjjjRNS5_12storage_typeE: ; @_ZN7rocprim17ROCPRIM_400000_NS6detail26segmented_warp_sort_helperINS1_20WarpSortHelperConfigILj16ELj8ELj256EEEblLi256ELb0EvE4sortIPKbPbPKlPlEEvT_T0_T1_T2_jjjjRNS5_12storage_typeE
; %bb.0:
	s_wait_loadcnt_dscnt 0x0
	s_wait_expcnt 0x0
	s_wait_samplecnt 0x0
	s_wait_bvhcnt 0x0
	s_wait_kmcnt 0x0
	v_mbcnt_lo_u32_b32 v12, -1, 0
	v_add_co_u32 v0, vcc_lo, v0, v8
	s_wait_alu 0xfffd
	v_add_co_ci_u32_e64 v1, null, 0, v1, vcc_lo
	s_delay_alu instid0(VALU_DEP_3) | instskip(SKIP_2) | instid1(VALU_DEP_3)
	v_lshlrev_b32_e32 v34, 3, v12
	v_sub_nc_u32_e32 v12, v9, v8
	v_dual_mov_b32 v9, 0 :: v_dual_mov_b32 v48, 1
	v_dual_mov_b32 v35, 1 :: v_dual_and_b32 v32, 0x78, v34
	s_delay_alu instid0(VALU_DEP_1)
	v_add_co_u32 v0, vcc_lo, v0, v32
	s_wait_alu 0xfffd
	v_add_co_ci_u32_e64 v1, null, 0, v1, vcc_lo
	v_cmp_lt_u32_e32 vcc_lo, v32, v12
	s_and_saveexec_b32 s0, vcc_lo
	s_cbranch_execz .LBB1650_2
; %bb.1:
	flat_load_u8 v35, v[0:1]
.LBB1650_2:
	s_wait_alu 0xfffe
	s_or_b32 exec_lo, exec_lo, s0
	v_or_b32_e32 v13, 1, v32
	s_delay_alu instid0(VALU_DEP_1)
	v_cmp_lt_u32_e64 s0, v13, v12
	s_and_saveexec_b32 s1, s0
	s_cbranch_execz .LBB1650_4
; %bb.3:
	flat_load_u8 v48, v[0:1] offset:1
.LBB1650_4:
	s_wait_alu 0xfffe
	s_or_b32 exec_lo, exec_lo, s1
	v_or_b32_e32 v13, 2, v32
	v_dual_mov_b32 v50, 1 :: v_dual_mov_b32 v49, 1
	s_delay_alu instid0(VALU_DEP_2)
	v_cmp_lt_u32_e64 s1, v13, v12
	s_and_saveexec_b32 s2, s1
	s_cbranch_execz .LBB1650_6
; %bb.5:
	flat_load_u8 v49, v[0:1] offset:2
.LBB1650_6:
	s_wait_alu 0xfffe
	s_or_b32 exec_lo, exec_lo, s2
	v_or_b32_e32 v13, 3, v32
	s_delay_alu instid0(VALU_DEP_1)
	v_cmp_lt_u32_e64 s2, v13, v12
	s_and_saveexec_b32 s3, s2
	s_cbranch_execz .LBB1650_8
; %bb.7:
	flat_load_u8 v50, v[0:1] offset:3
.LBB1650_8:
	s_wait_alu 0xfffe
	s_or_b32 exec_lo, exec_lo, s3
	v_or_b32_e32 v13, 4, v32
	v_mov_b32_e32 v36, 1
	v_mov_b32_e32 v38, 1
	s_delay_alu instid0(VALU_DEP_3)
	v_cmp_lt_u32_e64 s3, v13, v12
	s_and_saveexec_b32 s4, s3
	s_cbranch_execz .LBB1650_10
; %bb.9:
	flat_load_u8 v38, v[0:1] offset:4
.LBB1650_10:
	s_wait_alu 0xfffe
	s_or_b32 exec_lo, exec_lo, s4
	v_or_b32_e32 v13, 5, v32
	s_delay_alu instid0(VALU_DEP_1)
	v_cmp_lt_u32_e64 s4, v13, v12
	s_and_saveexec_b32 s5, s4
	s_cbranch_execz .LBB1650_12
; %bb.11:
	flat_load_u8 v36, v[0:1] offset:5
.LBB1650_12:
	s_wait_alu 0xfffe
	s_or_b32 exec_lo, exec_lo, s5
	v_or_b32_e32 v13, 6, v32
	v_mov_b32_e32 v37, 1
	v_mov_b32_e32 v39, 1
	s_delay_alu instid0(VALU_DEP_3)
	v_cmp_lt_u32_e64 s5, v13, v12
	s_and_saveexec_b32 s6, s5
	s_cbranch_execz .LBB1650_14
; %bb.13:
	flat_load_u8 v39, v[0:1] offset:6
.LBB1650_14:
	s_wait_alu 0xfffe
	s_or_b32 exec_lo, exec_lo, s6
	v_or_b32_e32 v13, 7, v32
	s_delay_alu instid0(VALU_DEP_1)
	v_cmp_lt_u32_e64 s6, v13, v12
	s_and_saveexec_b32 s7, s6
	s_cbranch_execz .LBB1650_16
; %bb.15:
	flat_load_u8 v37, v[0:1] offset:7
.LBB1650_16:
	s_wait_alu 0xfffe
	s_or_b32 exec_lo, exec_lo, s7
	v_lshlrev_b64_e32 v[0:1], 3, v[8:9]
	v_lshlrev_b32_e32 v33, 3, v32
	; wave barrier
	s_delay_alu instid0(VALU_DEP_2) | instskip(SKIP_1) | instid1(VALU_DEP_3)
	v_add_co_u32 v4, s7, v4, v0
	s_wait_alu 0xf1ff
	v_add_co_ci_u32_e64 v5, null, v5, v1, s7
	s_delay_alu instid0(VALU_DEP_2) | instskip(SKIP_1) | instid1(VALU_DEP_2)
	v_add_co_u32 v26, s7, v4, v33
	s_wait_alu 0xf1ff
	v_add_co_ci_u32_e64 v27, null, 0, v5, s7
                                        ; implicit-def: $vgpr4_vgpr5
	s_and_saveexec_b32 s7, vcc_lo
	s_cbranch_execnz .LBB1650_243
; %bb.17:
	s_wait_alu 0xfffe
	s_or_b32 exec_lo, exec_lo, s7
	s_and_saveexec_b32 s7, s0
                                        ; implicit-def: $vgpr14_vgpr15
	s_cbranch_execnz .LBB1650_244
.LBB1650_18:
	s_wait_alu 0xfffe
	s_or_b32 exec_lo, exec_lo, s7
                                        ; implicit-def: $vgpr16_vgpr17
	s_and_saveexec_b32 s7, s1
	s_cbranch_execnz .LBB1650_245
.LBB1650_19:
	s_wait_alu 0xfffe
	s_or_b32 exec_lo, exec_lo, s7
	s_and_saveexec_b32 s7, s2
                                        ; implicit-def: $vgpr18_vgpr19
	s_cbranch_execnz .LBB1650_246
.LBB1650_20:
	s_wait_alu 0xfffe
	s_or_b32 exec_lo, exec_lo, s7
                                        ; implicit-def: $vgpr20_vgpr21
	s_and_saveexec_b32 s7, s3
	s_cbranch_execnz .LBB1650_247
.LBB1650_21:
	s_wait_alu 0xfffe
	s_or_b32 exec_lo, exec_lo, s7
	s_and_saveexec_b32 s7, s4
                                        ; implicit-def: $vgpr24_vgpr25
	s_cbranch_execnz .LBB1650_248
.LBB1650_22:
	s_wait_alu 0xfffe
	s_or_b32 exec_lo, exec_lo, s7
                                        ; implicit-def: $vgpr12_vgpr13
	s_and_saveexec_b32 s7, s5
	s_cbranch_execnz .LBB1650_249
.LBB1650_23:
	s_wait_alu 0xfffe
	s_or_b32 exec_lo, exec_lo, s7
	s_and_saveexec_b32 s7, s6
                                        ; implicit-def: $vgpr22_vgpr23
	s_cbranch_execz .LBB1650_25
.LBB1650_24:
	flat_load_b64 v[22:23], v[26:27] offset:56
.LBB1650_25:
	s_wait_alu 0xfffe
	s_or_b32 exec_lo, exec_lo, s7
	v_cmp_ne_u32_e64 s7, 0, v10
	v_cmp_ne_u32_e64 s10, 8, v11
	v_bfe_u32 v26, v31, 10, 10
	v_bfe_u32 v27, v31, 20, 10
	v_and_b32_e32 v9, 0x3ff, v31
	s_mov_b32 s11, 0
	s_or_b32 s7, s7, s10
	; wave barrier
	s_wait_alu 0xfffe
	s_and_saveexec_b32 s10, s7
	s_wait_alu 0xfffe
	s_xor_b32 s19, exec_lo, s10
	s_cbranch_execz .LBB1650_125
; %bb.26:
	v_cmp_ne_u32_e64 s7, 0, v11
	v_cmp_ne_u32_e64 s10, 0, v10
	s_load_b64 s[12:13], s[8:9], 0x0
	s_xor_b32 s7, s10, s7
	s_wait_alu 0xfffe
	v_cndmask_b32_e64 v10, 0, 1, s7
	s_and_b32 s7, ttmp7, 0xffff
	scratch_store_b8 off, v10, s32 offset:6
	scratch_load_u8 v10, off, s32 offset:6
	s_wait_kmcnt 0x0
	s_wait_alu 0xfffe
	s_cmp_lt_u32 s7, s13
	s_cselect_b32 s10, 14, 20
	s_cmp_lt_u32 ttmp9, s12
	s_wait_alu 0xfffe
	s_add_nc_u64 s[14:15], s[8:9], s[10:11]
	s_cselect_b32 s10, 12, 18
	s_load_u16 s7, s[14:15], 0x0
	s_add_nc_u64 s[10:11], s[8:9], s[10:11]
	s_load_u16 s10, s[10:11], 0x0
	s_mov_b32 s11, exec_lo
	s_wait_kmcnt 0x0
	v_mad_u32_u24 v11, v27, s7, v26
	s_delay_alu instid0(VALU_DEP_1) | instskip(NEXT) | instid1(VALU_DEP_1)
	v_mul_lo_u32 v11, v11, s10
	v_add_lshl_u32 v51, v11, v9, 3
	s_wait_loadcnt 0x0
	v_and_b32_e32 v10, 1, v10
	s_delay_alu instid0(VALU_DEP_1)
	v_cmp_eq_u32_e64 s7, 1, v10
	v_and_b32_e32 v9, 1, v10
	s_clause 0x1
	scratch_store_b8 off, v10, s32 offset:5
	scratch_store_b8 off, v9, s32 offset:4
	v_cmpx_gt_u32_e32 0x800, v51
	s_cbranch_execz .LBB1650_84
; %bb.27:
	scratch_load_u8 v52, off, s32 offset:4
	s_mov_b32 s12, exec_lo
	s_wait_dscnt 0x0
	v_dual_mov_b32 v27, v15 :: v_dual_mov_b32 v26, v14
	v_mov_b32_e32 v11, v48
	s_wait_loadcnt 0x0
	v_and_b32_e32 v9, v52, v48
	v_and_b32_e32 v10, v52, v35
	s_delay_alu instid0(VALU_DEP_2) | instskip(NEXT) | instid1(VALU_DEP_2)
	v_and_b32_e32 v9, 1, v9
	v_and_b32_e32 v10, 1, v10
	s_delay_alu instid0(VALU_DEP_1)
	v_cmpx_gt_u16_e64 v10, v9
; %bb.28:
	v_mov_b32_e32 v27, v5
	v_dual_mov_b32 v11, 1 :: v_dual_mov_b32 v26, v4
	v_dual_mov_b32 v35, v48 :: v_dual_mov_b32 v4, v14
	v_mov_b32_e32 v5, v15
; %bb.29:
	s_wait_alu 0xfffe
	s_or_b32 exec_lo, exec_lo, s12
	v_dual_mov_b32 v48, v50 :: v_dual_and_b32 v9, v52, v50
	v_dual_mov_b32 v29, v19 :: v_dual_and_b32 v10, v52, v49
	s_mov_b32 s12, exec_lo
	s_delay_alu instid0(VALU_DEP_2) | instskip(NEXT) | instid1(VALU_DEP_2)
	v_dual_mov_b32 v28, v18 :: v_dual_and_b32 v9, 0xff, v9
	v_and_b32_e32 v10, 0xff, v10
	s_delay_alu instid0(VALU_DEP_1)
	v_cmpx_gt_u16_e64 v10, v9
; %bb.30:
	v_dual_mov_b32 v48, 1 :: v_dual_mov_b32 v49, v50
	v_dual_mov_b32 v29, v17 :: v_dual_mov_b32 v28, v16
	;; [unrolled: 1-line block ×3, first 2 shown]
; %bb.31:
	s_wait_alu 0xfffe
	s_or_b32 exec_lo, exec_lo, s12
	v_and_b32_e32 v9, v52, v36
	v_and_b32_e32 v10, v52, v38
	s_mov_b32 s12, exec_lo
	v_dual_mov_b32 v14, v24 :: v_dual_mov_b32 v15, v25
	s_delay_alu instid0(VALU_DEP_3) | instskip(NEXT) | instid1(VALU_DEP_3)
	v_and_b32_e32 v9, 0xff, v9
	v_and_b32_e32 v10, 0xff, v10
	s_delay_alu instid0(VALU_DEP_1)
	v_cmpx_gt_u16_e64 v10, v9
; %bb.32:
	v_dual_mov_b32 v14, v20 :: v_dual_mov_b32 v15, v21
	v_dual_mov_b32 v20, v24 :: v_dual_mov_b32 v21, v25
	v_mov_b32_e32 v38, v36
	v_mov_b32_e32 v36, 1
; %bb.33:
	s_wait_alu 0xfffe
	s_or_b32 exec_lo, exec_lo, s12
	v_and_b32_e32 v9, v52, v37
	v_and_b32_e32 v10, v52, v39
	s_delay_alu instid0(VALU_DEP_2) | instskip(NEXT) | instid1(VALU_DEP_2)
	v_and_b32_e32 v9, 0xff, v9
	v_and_b32_e32 v10, 0xff, v10
	s_delay_alu instid0(VALU_DEP_1)
	v_cmp_gt_u16_e64 s10, v10, v9
	v_dual_mov_b32 v9, v22 :: v_dual_mov_b32 v10, v23
	s_and_saveexec_b32 s12, s10
; %bb.34:
	v_dual_mov_b32 v9, v12 :: v_dual_mov_b32 v10, v13
	v_dual_mov_b32 v12, v22 :: v_dual_mov_b32 v13, v23
	v_mov_b32_e32 v39, v37
	v_mov_b32_e32 v37, 1
; %bb.35:
	s_wait_alu 0xfffe
	s_or_b32 exec_lo, exec_lo, s12
	v_and_b32_e32 v18, v49, v52
	v_dual_mov_b32 v50, v49 :: v_dual_and_b32 v19, v11, v52
	v_dual_mov_b32 v23, v17 :: v_dual_mov_b32 v22, v16
	s_delay_alu instid0(VALU_DEP_3) | instskip(NEXT) | instid1(VALU_DEP_3)
	v_and_b32_e32 v18, 0xff, v18
	v_and_b32_e32 v19, 0xff, v19
	s_delay_alu instid0(VALU_DEP_1)
	v_cmp_gt_u16_e64 s10, v19, v18
	s_and_saveexec_b32 s12, s10
	s_wait_alu 0xfffe
	s_xor_b32 s10, exec_lo, s12
; %bb.36:
	v_dual_mov_b32 v50, 1 :: v_dual_mov_b32 v11, v49
	v_dual_mov_b32 v22, v26 :: v_dual_mov_b32 v23, v27
	;; [unrolled: 1-line block ×3, first 2 shown]
; %bb.37:
	s_wait_alu 0xfffe
	s_or_b32 exec_lo, exec_lo, s10
	v_dual_mov_b32 v25, v21 :: v_dual_and_b32 v16, v38, v52
	v_and_b32_e32 v17, v48, v52
	s_mov_b32 s12, exec_lo
	v_mov_b32_e32 v24, v20
	s_delay_alu instid0(VALU_DEP_3) | instskip(NEXT) | instid1(VALU_DEP_3)
	v_and_b32_e32 v16, 0xff, v16
	v_and_b32_e32 v17, 0xff, v17
	s_delay_alu instid0(VALU_DEP_1)
	v_cmpx_gt_u16_e64 v17, v16
; %bb.38:
	v_mov_b32_e32 v24, v28
	v_dual_mov_b32 v48, v38 :: v_dual_mov_b32 v25, v29
	v_dual_mov_b32 v29, v21 :: v_dual_mov_b32 v28, v20
	v_mov_b32_e32 v38, 1
; %bb.39:
	s_wait_alu 0xfffe
	s_or_b32 exec_lo, exec_lo, s12
	v_and_b32_e32 v16, v39, v52
	v_and_b32_e32 v17, v36, v52
	s_delay_alu instid0(VALU_DEP_2) | instskip(NEXT) | instid1(VALU_DEP_2)
	v_and_b32_e32 v16, 0xff, v16
	v_and_b32_e32 v17, 0xff, v17
	s_delay_alu instid0(VALU_DEP_1)
	v_cmp_gt_u16_e64 s10, v17, v16
	v_dual_mov_b32 v17, v13 :: v_dual_mov_b32 v16, v12
	s_and_saveexec_b32 s12, s10
; %bb.40:
	v_dual_mov_b32 v17, v15 :: v_dual_mov_b32 v16, v14
	v_dual_mov_b32 v15, v13 :: v_dual_mov_b32 v14, v12
	;; [unrolled: 1-line block ×3, first 2 shown]
; %bb.41:
	s_wait_alu 0xfffe
	s_or_b32 exec_lo, exec_lo, s12
	v_and_b32_e32 v12, v11, v52
	v_and_b32_e32 v13, v35, v52
	v_dual_mov_b32 v31, v27 :: v_dual_mov_b32 v30, v26
	s_mov_b32 s12, exec_lo
	s_delay_alu instid0(VALU_DEP_3) | instskip(NEXT) | instid1(VALU_DEP_3)
	v_dual_mov_b32 v49, v11 :: v_dual_and_b32 v12, 0xff, v12
	v_and_b32_e32 v13, 0xff, v13
	s_delay_alu instid0(VALU_DEP_1)
	v_cmpx_gt_u16_e64 v13, v12
; %bb.42:
	v_mov_b32_e32 v31, v5
	v_dual_mov_b32 v49, 1 :: v_dual_mov_b32 v30, v4
	v_dual_mov_b32 v35, v11 :: v_dual_mov_b32 v4, v26
	v_mov_b32_e32 v5, v27
; %bb.43:
	s_wait_alu 0xfffe
	s_or_b32 exec_lo, exec_lo, s12
	v_and_b32_e32 v11, v48, v52
	v_dual_mov_b32 v13, v48 :: v_dual_and_b32 v12, v50, v52
	s_mov_b32 s12, exec_lo
	s_delay_alu instid0(VALU_DEP_2) | instskip(NEXT) | instid1(VALU_DEP_2)
	v_dual_mov_b32 v26, v28 :: v_dual_and_b32 v11, 0xff, v11
	v_dual_mov_b32 v27, v29 :: v_dual_and_b32 v12, 0xff, v12
	s_delay_alu instid0(VALU_DEP_1)
	v_cmpx_gt_u16_e64 v12, v11
; %bb.44:
	v_dual_mov_b32 v13, 1 :: v_dual_mov_b32 v50, v48
	v_dual_mov_b32 v27, v23 :: v_dual_mov_b32 v26, v22
	v_dual_mov_b32 v22, v28 :: v_dual_mov_b32 v23, v29
; %bb.45:
	s_wait_alu 0xfffe
	s_or_b32 exec_lo, exec_lo, s12
	v_and_b32_e32 v11, v36, v52
	v_dual_mov_b32 v19, v15 :: v_dual_and_b32 v12, v38, v52
	v_mov_b32_e32 v18, v14
	s_mov_b32 s12, exec_lo
	s_delay_alu instid0(VALU_DEP_3) | instskip(NEXT) | instid1(VALU_DEP_3)
	v_and_b32_e32 v11, 0xff, v11
	v_and_b32_e32 v12, 0xff, v12
	s_delay_alu instid0(VALU_DEP_1)
	v_cmpx_gt_u16_e64 v12, v11
; %bb.46:
	v_dual_mov_b32 v18, v24 :: v_dual_mov_b32 v19, v25
	v_dual_mov_b32 v25, v15 :: v_dual_mov_b32 v24, v14
	v_mov_b32_e32 v38, v36
	v_mov_b32_e32 v36, 1
; %bb.47:
	s_wait_alu 0xfffe
	s_or_b32 exec_lo, exec_lo, s12
	v_and_b32_e32 v11, v37, v52
	v_and_b32_e32 v12, v39, v52
	s_delay_alu instid0(VALU_DEP_2) | instskip(NEXT) | instid1(VALU_DEP_2)
	v_and_b32_e32 v11, 0xff, v11
	v_and_b32_e32 v12, 0xff, v12
	s_delay_alu instid0(VALU_DEP_1)
	v_cmp_gt_u16_e64 s10, v12, v11
	v_dual_mov_b32 v12, v10 :: v_dual_mov_b32 v11, v9
	s_and_saveexec_b32 s12, s10
; %bb.48:
	v_dual_mov_b32 v11, v16 :: v_dual_mov_b32 v12, v17
	v_dual_mov_b32 v17, v10 :: v_dual_mov_b32 v16, v9
	v_mov_b32_e32 v39, v37
	v_mov_b32_e32 v37, 1
; %bb.49:
	s_wait_alu 0xfffe
	s_or_b32 exec_lo, exec_lo, s12
	v_and_b32_e32 v9, v50, v52
	v_dual_mov_b32 v29, v23 :: v_dual_and_b32 v10, v49, v52
	v_mov_b32_e32 v28, v22
	s_mov_b32 s12, exec_lo
	s_delay_alu instid0(VALU_DEP_3) | instskip(NEXT) | instid1(VALU_DEP_3)
	v_dual_mov_b32 v48, v50 :: v_dual_and_b32 v9, 0xff, v9
	v_and_b32_e32 v10, 0xff, v10
	s_delay_alu instid0(VALU_DEP_1)
	v_cmpx_gt_u16_e64 v10, v9
; %bb.50:
	v_dual_mov_b32 v48, 1 :: v_dual_mov_b32 v49, v50
	v_dual_mov_b32 v28, v30 :: v_dual_mov_b32 v29, v31
	;; [unrolled: 1-line block ×3, first 2 shown]
; %bb.51:
	s_wait_alu 0xfffe
	s_or_b32 exec_lo, exec_lo, s12
	v_dual_mov_b32 v20, v24 :: v_dual_and_b32 v9, v38, v52
	v_and_b32_e32 v10, v13, v52
	s_mov_b32 s12, exec_lo
	v_mov_b32_e32 v21, v25
	s_delay_alu instid0(VALU_DEP_3) | instskip(NEXT) | instid1(VALU_DEP_3)
	v_and_b32_e32 v9, 0xff, v9
	v_and_b32_e32 v10, 0xff, v10
	s_delay_alu instid0(VALU_DEP_1)
	v_cmpx_gt_u16_e64 v10, v9
; %bb.52:
	v_dual_mov_b32 v13, v38 :: v_dual_mov_b32 v20, v26
	v_mov_b32_e32 v21, v27
	v_dual_mov_b32 v27, v25 :: v_dual_mov_b32 v38, 1
	v_mov_b32_e32 v26, v24
; %bb.53:
	s_wait_alu 0xfffe
	s_or_b32 exec_lo, exec_lo, s12
	v_dual_mov_b32 v14, v16 :: v_dual_and_b32 v9, v39, v52
	v_dual_mov_b32 v15, v17 :: v_dual_and_b32 v10, v36, v52
	s_mov_b32 s12, exec_lo
	s_delay_alu instid0(VALU_DEP_2) | instskip(NEXT) | instid1(VALU_DEP_2)
	v_and_b32_e32 v9, 0xff, v9
	v_and_b32_e32 v10, 0xff, v10
	s_delay_alu instid0(VALU_DEP_1)
	v_cmpx_gt_u16_e64 v10, v9
; %bb.54:
	v_dual_mov_b32 v14, v18 :: v_dual_mov_b32 v15, v19
	v_dual_mov_b32 v19, v17 :: v_dual_mov_b32 v18, v16
	;; [unrolled: 1-line block ×3, first 2 shown]
; %bb.55:
	s_wait_alu 0xfffe
	s_or_b32 exec_lo, exec_lo, s12
	v_dual_mov_b32 v22, v30 :: v_dual_and_b32 v9, v49, v52
	v_and_b32_e32 v10, v35, v52
	s_mov_b32 s12, exec_lo
	s_delay_alu instid0(VALU_DEP_2) | instskip(NEXT) | instid1(VALU_DEP_2)
	v_dual_mov_b32 v50, v49 :: v_dual_and_b32 v9, 0xff, v9
	v_dual_mov_b32 v23, v31 :: v_dual_and_b32 v10, 0xff, v10
	s_delay_alu instid0(VALU_DEP_1)
	v_cmpx_gt_u16_e64 v10, v9
; %bb.56:
	v_dual_mov_b32 v50, 1 :: v_dual_mov_b32 v35, v49
	v_dual_mov_b32 v23, v5 :: v_dual_mov_b32 v22, v4
	;; [unrolled: 1-line block ×3, first 2 shown]
; %bb.57:
	s_wait_alu 0xfffe
	s_or_b32 exec_lo, exec_lo, s12
	v_dual_mov_b32 v49, v13 :: v_dual_and_b32 v10, v48, v52
	v_and_b32_e32 v9, v13, v52
	s_mov_b32 s12, exec_lo
	s_delay_alu instid0(VALU_DEP_2) | instskip(NEXT) | instid1(VALU_DEP_2)
	v_dual_mov_b32 v31, v27 :: v_dual_and_b32 v10, 0xff, v10
	v_dual_mov_b32 v30, v26 :: v_dual_and_b32 v9, 0xff, v9
	s_delay_alu instid0(VALU_DEP_1)
	v_cmpx_gt_u16_e64 v10, v9
; %bb.58:
	v_dual_mov_b32 v49, 1 :: v_dual_mov_b32 v48, v13
	v_dual_mov_b32 v31, v29 :: v_dual_mov_b32 v30, v28
	;; [unrolled: 1-line block ×3, first 2 shown]
; %bb.59:
	s_wait_alu 0xfffe
	s_or_b32 exec_lo, exec_lo, s12
	v_dual_mov_b32 v16, v18 :: v_dual_and_b32 v9, v36, v52
	v_dual_mov_b32 v17, v19 :: v_dual_and_b32 v10, v38, v52
	s_mov_b32 s12, exec_lo
	s_delay_alu instid0(VALU_DEP_2) | instskip(NEXT) | instid1(VALU_DEP_2)
	v_and_b32_e32 v9, 0xff, v9
	v_and_b32_e32 v10, 0xff, v10
	s_delay_alu instid0(VALU_DEP_1)
	v_cmpx_gt_u16_e64 v10, v9
; %bb.60:
	v_dual_mov_b32 v16, v20 :: v_dual_mov_b32 v17, v21
	v_dual_mov_b32 v21, v19 :: v_dual_mov_b32 v20, v18
	v_mov_b32_e32 v38, v36
	v_mov_b32_e32 v36, 1
; %bb.61:
	s_wait_alu 0xfffe
	s_or_b32 exec_lo, exec_lo, s12
	v_and_b32_e32 v9, v37, v52
	v_and_b32_e32 v10, v39, v52
	s_delay_alu instid0(VALU_DEP_2) | instskip(NEXT) | instid1(VALU_DEP_2)
	v_and_b32_e32 v9, 0xff, v9
	v_and_b32_e32 v10, 0xff, v10
	s_delay_alu instid0(VALU_DEP_1)
	v_cmp_gt_u16_e64 s10, v10, v9
	v_dual_mov_b32 v9, v11 :: v_dual_mov_b32 v10, v12
	s_and_saveexec_b32 s12, s10
; %bb.62:
	v_dual_mov_b32 v9, v14 :: v_dual_mov_b32 v10, v15
	v_dual_mov_b32 v15, v12 :: v_dual_mov_b32 v14, v11
	v_mov_b32_e32 v39, v37
	v_mov_b32_e32 v37, 1
; %bb.63:
	s_wait_alu 0xfffe
	s_or_b32 exec_lo, exec_lo, s12
	v_and_b32_e32 v11, v48, v52
	v_and_b32_e32 v12, v50, v52
	s_mov_b32 s12, exec_lo
	v_dual_mov_b32 v26, v28 :: v_dual_mov_b32 v27, v29
	s_delay_alu instid0(VALU_DEP_3) | instskip(NEXT) | instid1(VALU_DEP_3)
	v_and_b32_e32 v13, 0xff, v11
	v_dual_mov_b32 v11, v48 :: v_dual_and_b32 v12, 0xff, v12
	s_delay_alu instid0(VALU_DEP_1)
	v_cmpx_gt_u16_e64 v12, v13
; %bb.64:
	v_dual_mov_b32 v11, 1 :: v_dual_mov_b32 v50, v48
	v_dual_mov_b32 v27, v23 :: v_dual_mov_b32 v26, v22
	;; [unrolled: 1-line block ×3, first 2 shown]
; %bb.65:
	s_wait_alu 0xfffe
	s_or_b32 exec_lo, exec_lo, s12
	v_dual_mov_b32 v25, v21 :: v_dual_and_b32 v12, v38, v52
	v_dual_mov_b32 v24, v20 :: v_dual_and_b32 v13, v49, v52
	s_mov_b32 s12, exec_lo
	s_delay_alu instid0(VALU_DEP_2) | instskip(NEXT) | instid1(VALU_DEP_2)
	v_and_b32_e32 v12, 0xff, v12
	v_and_b32_e32 v13, 0xff, v13
	s_delay_alu instid0(VALU_DEP_1)
	v_cmpx_gt_u16_e64 v13, v12
; %bb.66:
	v_dual_mov_b32 v49, v38 :: v_dual_mov_b32 v24, v30
	v_mov_b32_e32 v25, v31
	v_dual_mov_b32 v31, v21 :: v_dual_mov_b32 v38, 1
	v_mov_b32_e32 v30, v20
; %bb.67:
	s_wait_alu 0xfffe
	s_or_b32 exec_lo, exec_lo, s12
	v_and_b32_e32 v12, v39, v52
	v_and_b32_e32 v13, v36, v52
	s_delay_alu instid0(VALU_DEP_2) | instskip(NEXT) | instid1(VALU_DEP_2)
	v_and_b32_e32 v12, 0xff, v12
	v_and_b32_e32 v13, 0xff, v13
	s_delay_alu instid0(VALU_DEP_1)
	v_cmp_gt_u16_e64 s10, v13, v12
	v_dual_mov_b32 v12, v14 :: v_dual_mov_b32 v13, v15
	s_and_saveexec_b32 s12, s10
; %bb.68:
	v_dual_mov_b32 v12, v16 :: v_dual_mov_b32 v13, v17
	v_dual_mov_b32 v17, v15 :: v_dual_mov_b32 v16, v14
	;; [unrolled: 1-line block ×3, first 2 shown]
; %bb.69:
	s_wait_alu 0xfffe
	s_or_b32 exec_lo, exec_lo, s12
	v_and_b32_e32 v14, v50, v52
	v_dual_mov_b32 v48, v50 :: v_dual_and_b32 v15, v35, v52
	s_delay_alu instid0(VALU_DEP_2) | instskip(NEXT) | instid1(VALU_DEP_2)
	v_and_b32_e32 v14, 0xff, v14
	v_and_b32_e32 v15, 0xff, v15
	s_delay_alu instid0(VALU_DEP_1)
	v_cmp_gt_u16_e64 s10, v15, v14
	v_dual_mov_b32 v14, v22 :: v_dual_mov_b32 v15, v23
	s_and_saveexec_b32 s12, s10
; %bb.70:
	v_dual_mov_b32 v48, 1 :: v_dual_mov_b32 v35, v50
	v_dual_mov_b32 v15, v5 :: v_dual_mov_b32 v14, v4
	;; [unrolled: 1-line block ×3, first 2 shown]
; %bb.71:
	s_wait_alu 0xfffe
	s_or_b32 exec_lo, exec_lo, s12
	v_and_b32_e32 v18, v49, v52
	v_dual_mov_b32 v50, v49 :: v_dual_and_b32 v19, v11, v52
	s_delay_alu instid0(VALU_DEP_2) | instskip(NEXT) | instid1(VALU_DEP_2)
	v_and_b32_e32 v18, 0xff, v18
	v_and_b32_e32 v19, 0xff, v19
	s_delay_alu instid0(VALU_DEP_1)
	v_cmp_gt_u16_e64 s10, v19, v18
	v_dual_mov_b32 v18, v30 :: v_dual_mov_b32 v19, v31
	s_and_saveexec_b32 s12, s10
; %bb.72:
	v_dual_mov_b32 v50, 1 :: v_dual_mov_b32 v11, v49
	v_dual_mov_b32 v18, v26 :: v_dual_mov_b32 v19, v27
	;; [unrolled: 1-line block ×3, first 2 shown]
; %bb.73:
	s_wait_alu 0xfffe
	s_or_b32 exec_lo, exec_lo, s12
	v_dual_mov_b32 v29, v17 :: v_dual_and_b32 v20, v36, v52
	v_dual_mov_b32 v28, v16 :: v_dual_and_b32 v21, v38, v52
	s_mov_b32 s12, exec_lo
	s_delay_alu instid0(VALU_DEP_2) | instskip(NEXT) | instid1(VALU_DEP_2)
	v_and_b32_e32 v20, 0xff, v20
	v_and_b32_e32 v21, 0xff, v21
	s_delay_alu instid0(VALU_DEP_1)
	v_cmpx_gt_u16_e64 v21, v20
; %bb.74:
	v_dual_mov_b32 v29, v25 :: v_dual_mov_b32 v28, v24
	v_dual_mov_b32 v25, v17 :: v_dual_mov_b32 v24, v16
	v_mov_b32_e32 v38, v36
	v_mov_b32_e32 v36, 1
; %bb.75:
	s_wait_alu 0xfffe
	s_or_b32 exec_lo, exec_lo, s12
	v_dual_mov_b32 v23, v10 :: v_dual_and_b32 v16, v37, v52
	v_dual_mov_b32 v22, v9 :: v_dual_and_b32 v17, v39, v52
	s_mov_b32 s12, exec_lo
	s_delay_alu instid0(VALU_DEP_2) | instskip(NEXT) | instid1(VALU_DEP_2)
	v_and_b32_e32 v16, 0xff, v16
	v_and_b32_e32 v17, 0xff, v17
	s_delay_alu instid0(VALU_DEP_1)
	v_cmpx_gt_u16_e64 v17, v16
; %bb.76:
	v_dual_mov_b32 v23, v13 :: v_dual_mov_b32 v22, v12
	v_dual_mov_b32 v13, v10 :: v_dual_mov_b32 v12, v9
	v_mov_b32_e32 v39, v37
	v_mov_b32_e32 v37, 1
; %bb.77:
	s_wait_alu 0xfffe
	s_or_b32 exec_lo, exec_lo, s12
	v_dual_mov_b32 v16, v26 :: v_dual_and_b32 v9, v11, v52
	v_dual_mov_b32 v49, v11 :: v_dual_and_b32 v10, v48, v52
	s_mov_b32 s12, exec_lo
	s_delay_alu instid0(VALU_DEP_2) | instskip(NEXT) | instid1(VALU_DEP_2)
	v_and_b32_e32 v9, 0xff, v9
	v_dual_mov_b32 v17, v27 :: v_dual_and_b32 v10, 0xff, v10
	s_delay_alu instid0(VALU_DEP_1)
	v_cmpx_gt_u16_e64 v10, v9
; %bb.78:
	v_dual_mov_b32 v49, 1 :: v_dual_mov_b32 v48, v11
	v_dual_mov_b32 v17, v15 :: v_dual_mov_b32 v16, v14
	;; [unrolled: 1-line block ×3, first 2 shown]
; %bb.79:
	s_wait_alu 0xfffe
	s_or_b32 exec_lo, exec_lo, s12
	v_dual_mov_b32 v20, v24 :: v_dual_and_b32 v9, v38, v52
	v_dual_mov_b32 v21, v25 :: v_dual_and_b32 v10, v50, v52
	s_mov_b32 s12, exec_lo
	s_delay_alu instid0(VALU_DEP_2) | instskip(NEXT) | instid1(VALU_DEP_2)
	v_and_b32_e32 v9, 0xff, v9
	v_and_b32_e32 v10, 0xff, v10
	s_delay_alu instid0(VALU_DEP_1)
	v_cmpx_gt_u16_e64 v10, v9
; %bb.80:
	v_dual_mov_b32 v50, v38 :: v_dual_mov_b32 v21, v19
	v_mov_b32_e32 v20, v18
	v_dual_mov_b32 v18, v24 :: v_dual_mov_b32 v19, v25
	v_mov_b32_e32 v38, 1
; %bb.81:
	s_wait_alu 0xfffe
	s_or_b32 exec_lo, exec_lo, s12
	v_dual_mov_b32 v24, v28 :: v_dual_and_b32 v9, v39, v52
	v_dual_mov_b32 v25, v29 :: v_dual_and_b32 v10, v36, v52
	s_mov_b32 s12, exec_lo
	s_delay_alu instid0(VALU_DEP_2) | instskip(NEXT) | instid1(VALU_DEP_2)
	v_and_b32_e32 v9, 0xff, v9
	v_and_b32_e32 v10, 0xff, v10
	s_delay_alu instid0(VALU_DEP_1)
	v_cmpx_gt_u16_e64 v10, v9
; %bb.82:
	v_dual_mov_b32 v9, 1 :: v_dual_mov_b32 v36, v39
	v_dual_mov_b32 v25, v13 :: v_dual_mov_b32 v24, v12
	;; [unrolled: 1-line block ×3, first 2 shown]
	s_delay_alu instid0(VALU_DEP_3)
	v_mov_b32_e32 v39, v9
; %bb.83:
	s_wait_alu 0xfffe
	s_or_b32 exec_lo, exec_lo, s12
.LBB1650_84:
	s_wait_alu 0xfffe
	s_or_b32 exec_lo, exec_lo, s11
	v_and_b32_e32 v10, 0xffffff00, v51
	s_wait_dscnt 0x0
	v_perm_b32 v26, v38, v36, 0xc0c0004
	v_perm_b32 v27, v39, v37, 0xc0c0004
	;; [unrolled: 1-line block ×4, first 2 shown]
	v_lshlrev_b32_e32 v9, 3, v10
	v_cndmask_b32_e64 v11, 0, 1, s7
	v_lshl_or_b32 v31, v27, 16, v26
	v_or_b32_e32 v52, v10, v34
	v_lshl_or_b32 v30, v30, 16, v28
	v_lshl_or_b32 v51, v34, 3, v9
	scratch_store_b8 off, v11, s32 offset:3
	v_sub_nc_u32_e64 v28, 0x800, v10 clamp
	s_mov_b32 s11, exec_lo
	v_add_nc_u32_e32 v27, 0x810, v51
	v_add_nc_u32_e32 v26, 0x820, v51
	;; [unrolled: 1-line block ×4, first 2 shown]
	v_and_b32_e32 v51, 0xf0, v34
	ds_store_2addr_b64 v27, v[16:17], v[18:19] offset1:1
	ds_store_2addr_b64 v26, v[20:21], v[24:25] offset1:1
	;; [unrolled: 1-line block ×3, first 2 shown]
	ds_store_b64 v52, v[30:31]
	ds_store_2addr_b64 v11, v[12:13], v[22:23] offset1:1
	; wave barrier
	scratch_load_u8 v53, off, s32 offset:3
	v_or_b32_e32 v30, 8, v34
	v_and_b32_e32 v52, 8, v34
	s_delay_alu instid0(VALU_DEP_2) | instskip(NEXT) | instid1(VALU_DEP_2)
	v_min_u32_e32 v30, v28, v30
	v_min_u32_e32 v52, v28, v52
	s_delay_alu instid0(VALU_DEP_2) | instskip(SKIP_1) | instid1(VALU_DEP_2)
	v_add_nc_u32_e32 v31, 8, v30
	v_sub_nc_u32_e32 v54, v30, v51
	v_min_u32_e32 v31, v28, v31
	s_delay_alu instid0(VALU_DEP_2) | instskip(NEXT) | instid1(VALU_DEP_2)
	v_min_u32_e32 v54, v52, v54
	v_sub_nc_u32_e32 v55, v31, v30
	s_wait_loadcnt 0x0
	v_and_b32_e32 v64, 1, v53
	s_delay_alu instid0(VALU_DEP_2) | instskip(NEXT) | instid1(VALU_DEP_2)
	v_sub_nc_u32_e64 v53, v52, v55 clamp
	v_cmp_eq_u32_e64 s7, 1, v64
	scratch_store_b8 off, v64, s32 offset:2
	v_cmpx_lt_u32_e64 v53, v54
	s_cbranch_execz .LBB1650_88
; %bb.85:
	scratch_load_u8 v55, off, s32 offset:2
	v_add_nc_u32_e32 v64, v10, v51
	v_add3_u32 v65, v10, v30, v52
	s_mov_b32 s12, 0
.LBB1650_86:                            ; =>This Inner Loop Header: Depth=1
	v_add_nc_u32_e32 v66, v54, v53
	s_delay_alu instid0(VALU_DEP_1) | instskip(NEXT) | instid1(VALU_DEP_1)
	v_lshrrev_b32_e32 v66, 1, v66
	v_xad_u32 v67, v66, -1, v65
	v_add_nc_u32_e32 v68, v64, v66
	v_add_nc_u32_e32 v69, 1, v66
	ds_load_u8 v67, v67
	ds_load_u8 v68, v68
	s_wait_loadcnt_dscnt 0x1
	v_and_b32_e32 v67, v67, v55
	s_wait_dscnt 0x0
	v_and_b32_e32 v68, v68, v55
	s_delay_alu instid0(VALU_DEP_2) | instskip(NEXT) | instid1(VALU_DEP_2)
	v_and_b32_e32 v67, 1, v67
	v_and_b32_e32 v68, 1, v68
	s_delay_alu instid0(VALU_DEP_1) | instskip(SKIP_1) | instid1(VALU_DEP_1)
	v_cmp_gt_u16_e64 s10, v68, v67
	s_wait_alu 0xf1ff
	v_cndmask_b32_e64 v54, v54, v66, s10
	v_cndmask_b32_e64 v53, v69, v53, s10
	s_delay_alu instid0(VALU_DEP_1)
	v_cmp_ge_u32_e64 s10, v53, v54
	s_wait_alu 0xfffe
	s_or_b32 s12, s10, s12
	s_wait_alu 0xfffe
	s_and_not1_b32 exec_lo, exec_lo, s12
	s_cbranch_execnz .LBB1650_86
; %bb.87:
	s_or_b32 exec_lo, exec_lo, s12
.LBB1650_88:
	s_wait_alu 0xfffe
	s_or_b32 exec_lo, exec_lo, s11
	v_cndmask_b32_e64 v54, 0, 1, s7
	v_add_nc_u32_e32 v55, v30, v52
	v_add_nc_u32_e32 v52, v53, v51
	scratch_store_b8 off, v54, s32 offset:1
	scratch_load_u8 v54, off, s32 offset:1
	v_sub_nc_u32_e32 v51, v55, v53
	v_cmp_le_u32_e64 s7, v52, v30
	s_delay_alu instid0(VALU_DEP_2)
	v_cmp_le_u32_e64 s10, v51, v31
	s_or_b32 s7, s7, s10
	s_wait_loadcnt 0x0
	v_and_b32_e32 v53, 1, v54
	scratch_store_b8 off, v53, s32
	s_wait_alu 0xfffe
	s_and_saveexec_b32 s20, s7
	s_cbranch_execz .LBB1650_94
; %bb.89:
	v_cmp_ge_u32_e64 s7, v52, v30
	s_mov_b32 s11, exec_lo
                                        ; implicit-def: $vgpr35
	v_cmpx_lt_u32_e64 v52, v30
; %bb.90:
	v_add_nc_u32_e32 v4, v10, v52
	ds_load_u8 v35, v4
; %bb.91:
	s_wait_alu 0xfffe
	s_or_b32 exec_lo, exec_lo, s11
	v_cmp_ge_u32_e64 s10, v51, v31
	s_mov_b32 s12, exec_lo
                                        ; implicit-def: $vgpr36
	v_cmpx_lt_u32_e64 v51, v31
; %bb.92:
	v_add_nc_u32_e32 v4, v10, v51
	ds_load_u8 v36, v4
; %bb.93:
	s_wait_alu 0xfffe
	s_or_b32 exec_lo, exec_lo, s12
	scratch_load_u8 v4, off, s32
	v_cndmask_b32_e64 v13, 0, 1, s10
	s_or_b32 s7, s7, s10
	s_wait_loadcnt_dscnt 0x0
	v_and_b32_e32 v5, v4, v36
	v_and_b32_e32 v12, v4, v35
	s_delay_alu instid0(VALU_DEP_2) | instskip(NEXT) | instid1(VALU_DEP_2)
	v_and_b32_e32 v5, 1, v5
	v_and_b32_e32 v12, 1, v12
	s_delay_alu instid0(VALU_DEP_1) | instskip(SKIP_1) | instid1(VALU_DEP_1)
	v_cmp_le_u16_e64 s11, v12, v5
	s_wait_alu 0xf1ff
	v_cndmask_b32_e64 v5, 0, 1, s11
	s_wait_alu 0xfffe
	s_delay_alu instid0(VALU_DEP_1) | instskip(NEXT) | instid1(VALU_DEP_1)
	v_cndmask_b32_e64 v5, v5, v13, s7
	v_and_b32_e32 v5, 1, v5
	s_delay_alu instid0(VALU_DEP_1) | instskip(SKIP_1) | instid1(VALU_DEP_1)
	v_cmp_eq_u32_e64 s7, 1, v5
	s_wait_alu 0xf1ff
	v_cndmask_b32_e64 v5, v51, v52, s7
	v_cndmask_b32_e64 v12, v31, v30, s7
	s_delay_alu instid0(VALU_DEP_2) | instskip(NEXT) | instid1(VALU_DEP_2)
	v_add_nc_u32_e32 v13, 1, v5
	v_add_nc_u32_e32 v12, -1, v12
	v_lshl_add_u32 v5, v5, 3, v9
	s_delay_alu instid0(VALU_DEP_3) | instskip(NEXT) | instid1(VALU_DEP_3)
	v_cndmask_b32_e64 v15, v52, v13, s7
	v_min_u32_e32 v12, v13, v12
	v_cndmask_b32_e64 v13, v13, v51, s7
	s_delay_alu instid0(VALU_DEP_3) | instskip(NEXT) | instid1(VALU_DEP_3)
	v_cmp_lt_u32_e64 s10, v15, v30
	v_add_nc_u32_e32 v12, v10, v12
	s_delay_alu instid0(VALU_DEP_3)
	v_cmp_ge_u32_e64 s12, v13, v31
	ds_load_u8 v12, v12
	s_wait_dscnt 0x0
	v_cndmask_b32_e64 v37, v12, v36, s7
	v_cndmask_b32_e64 v38, v35, v12, s7
	;; [unrolled: 1-line block ×3, first 2 shown]
	s_delay_alu instid0(VALU_DEP_3) | instskip(NEXT) | instid1(VALU_DEP_3)
	v_and_b32_e32 v12, v37, v4
	v_and_b32_e32 v14, v38, v4
	s_delay_alu instid0(VALU_DEP_2) | instskip(NEXT) | instid1(VALU_DEP_2)
	v_and_b32_e32 v12, 0xff, v12
	v_and_b32_e32 v14, 0xff, v14
	s_delay_alu instid0(VALU_DEP_1)
	v_cmp_le_u16_e64 s11, v14, v12
	s_and_b32 s10, s10, s11
	s_wait_alu 0xfffe
	s_or_b32 s10, s12, s10
	s_wait_alu 0xfffe
	v_cndmask_b32_e64 v12, v13, v15, s10
	v_cndmask_b32_e64 v14, v31, v30, s10
	;; [unrolled: 1-line block ×3, first 2 shown]
	s_delay_alu instid0(VALU_DEP_3) | instskip(NEXT) | instid1(VALU_DEP_3)
	v_add_nc_u32_e32 v16, 1, v12
	v_add_nc_u32_e32 v14, -1, v14
	v_lshl_add_u32 v12, v12, 3, v9
	s_delay_alu instid0(VALU_DEP_3) | instskip(NEXT) | instid1(VALU_DEP_3)
	v_cndmask_b32_e64 v15, v15, v16, s10
	v_min_u32_e32 v14, v16, v14
	v_cndmask_b32_e64 v13, v16, v13, s10
	s_delay_alu instid0(VALU_DEP_3) | instskip(NEXT) | instid1(VALU_DEP_3)
	v_cmp_lt_u32_e64 s11, v15, v30
	v_add_nc_u32_e32 v14, v10, v14
	s_delay_alu instid0(VALU_DEP_3) | instskip(SKIP_4) | instid1(VALU_DEP_2)
	v_cmp_ge_u32_e64 s13, v13, v31
	ds_load_u8 v14, v14
	s_wait_dscnt 0x0
	v_cndmask_b32_e64 v39, v14, v37, s10
	v_cndmask_b32_e64 v49, v38, v14, s10
	v_and_b32_e32 v14, v39, v4
	s_delay_alu instid0(VALU_DEP_2) | instskip(NEXT) | instid1(VALU_DEP_2)
	v_and_b32_e32 v17, v49, v4
	v_and_b32_e32 v14, 0xff, v14
	s_delay_alu instid0(VALU_DEP_2) | instskip(NEXT) | instid1(VALU_DEP_1)
	v_and_b32_e32 v17, 0xff, v17
	v_cmp_le_u16_e64 s12, v17, v14
	s_and_b32 s11, s11, s12
	s_wait_alu 0xfffe
	s_or_b32 s11, s13, s11
	s_wait_alu 0xfffe
	v_cndmask_b32_e64 v14, v13, v15, s11
	v_cndmask_b32_e64 v16, v31, v30, s11
	s_delay_alu instid0(VALU_DEP_2) | instskip(NEXT) | instid1(VALU_DEP_2)
	v_add_nc_u32_e32 v17, 1, v14
	v_add_nc_u32_e32 v16, -1, v16
	s_delay_alu instid0(VALU_DEP_2) | instskip(NEXT) | instid1(VALU_DEP_2)
	v_cndmask_b32_e64 v15, v15, v17, s11
	v_min_u32_e32 v16, v17, v16
	v_cndmask_b32_e64 v13, v17, v13, s11
	s_delay_alu instid0(VALU_DEP_3) | instskip(NEXT) | instid1(VALU_DEP_3)
	v_cmp_lt_u32_e64 s12, v15, v30
	v_add_nc_u32_e32 v16, v10, v16
	s_delay_alu instid0(VALU_DEP_3)
	v_cmp_ge_u32_e64 s14, v13, v31
	ds_load_u8 v16, v16
	s_wait_dscnt 0x0
	v_cndmask_b32_e64 v50, v16, v39, s11
	v_cndmask_b32_e64 v51, v49, v16, s11
	;; [unrolled: 1-line block ×3, first 2 shown]
	s_delay_alu instid0(VALU_DEP_3) | instskip(NEXT) | instid1(VALU_DEP_3)
	v_and_b32_e32 v16, v50, v4
	v_and_b32_e32 v18, v51, v4
	s_delay_alu instid0(VALU_DEP_2) | instskip(NEXT) | instid1(VALU_DEP_2)
	v_and_b32_e32 v16, 0xff, v16
	v_and_b32_e32 v18, 0xff, v18
	s_delay_alu instid0(VALU_DEP_1)
	v_cmp_le_u16_e64 s13, v18, v16
	s_and_b32 s12, s12, s13
	s_wait_alu 0xfffe
	s_or_b32 s12, s14, s12
	s_wait_alu 0xfffe
	v_cndmask_b32_e64 v18, v13, v15, s12
	v_cndmask_b32_e64 v16, v31, v30, s12
	s_delay_alu instid0(VALU_DEP_2) | instskip(NEXT) | instid1(VALU_DEP_2)
	v_add_nc_u32_e32 v17, 1, v18
	v_add_nc_u32_e32 v16, -1, v16
	s_delay_alu instid0(VALU_DEP_2) | instskip(NEXT) | instid1(VALU_DEP_2)
	v_cndmask_b32_e64 v15, v15, v17, s12
	v_min_u32_e32 v16, v17, v16
	v_cndmask_b32_e64 v13, v17, v13, s12
	s_delay_alu instid0(VALU_DEP_3) | instskip(NEXT) | instid1(VALU_DEP_3)
	v_cmp_lt_u32_e64 s13, v15, v30
	v_add_nc_u32_e32 v16, v10, v16
	s_delay_alu instid0(VALU_DEP_3)
	v_cmp_ge_u32_e64 s15, v13, v31
	ds_load_u8 v16, v16
	s_wait_dscnt 0x0
	v_cndmask_b32_e64 v52, v16, v50, s12
	v_cndmask_b32_e64 v53, v51, v16, s12
	;; [unrolled: 1-line block ×3, first 2 shown]
	s_delay_alu instid0(VALU_DEP_3) | instskip(NEXT) | instid1(VALU_DEP_3)
	v_and_b32_e32 v16, v52, v4
	v_and_b32_e32 v19, v53, v4
	s_delay_alu instid0(VALU_DEP_2) | instskip(NEXT) | instid1(VALU_DEP_2)
	v_and_b32_e32 v16, 0xff, v16
	v_and_b32_e32 v19, 0xff, v19
	s_delay_alu instid0(VALU_DEP_1)
	v_cmp_le_u16_e64 s14, v19, v16
	s_and_b32 s13, s13, s14
	s_wait_alu 0xfffe
	s_or_b32 s13, s15, s13
	s_wait_alu 0xfffe
	v_cndmask_b32_e64 v19, v13, v15, s13
	v_cndmask_b32_e64 v16, v31, v30, s13
	;; [unrolled: 1-line block ×3, first 2 shown]
	s_delay_alu instid0(VALU_DEP_3) | instskip(NEXT) | instid1(VALU_DEP_3)
	v_add_nc_u32_e32 v17, 1, v19
	v_add_nc_u32_e32 v16, -1, v16
	s_delay_alu instid0(VALU_DEP_2) | instskip(NEXT) | instid1(VALU_DEP_2)
	v_cndmask_b32_e64 v15, v15, v17, s13
	v_min_u32_e32 v16, v17, v16
	v_cndmask_b32_e64 v13, v17, v13, s13
	s_delay_alu instid0(VALU_DEP_3) | instskip(NEXT) | instid1(VALU_DEP_3)
	v_cmp_lt_u32_e64 s14, v15, v30
	v_add_nc_u32_e32 v16, v10, v16
	s_delay_alu instid0(VALU_DEP_3) | instskip(SKIP_4) | instid1(VALU_DEP_2)
	v_cmp_ge_u32_e64 s16, v13, v31
	ds_load_u8 v16, v16
	s_wait_dscnt 0x0
	v_cndmask_b32_e64 v54, v16, v52, s13
	v_cndmask_b32_e64 v55, v53, v16, s13
	v_and_b32_e32 v16, v54, v4
	s_delay_alu instid0(VALU_DEP_2) | instskip(NEXT) | instid1(VALU_DEP_2)
	v_and_b32_e32 v20, v55, v4
	v_and_b32_e32 v16, 0xff, v16
	s_delay_alu instid0(VALU_DEP_2) | instskip(NEXT) | instid1(VALU_DEP_1)
	v_and_b32_e32 v20, 0xff, v20
	v_cmp_le_u16_e64 s15, v20, v16
	s_and_b32 s14, s14, s15
	s_wait_alu 0xfffe
	s_or_b32 s14, s16, s14
	s_wait_alu 0xfffe
	v_cndmask_b32_e64 v20, v13, v15, s14
	v_cndmask_b32_e64 v16, v31, v30, s14
	;; [unrolled: 1-line block ×3, first 2 shown]
	s_delay_alu instid0(VALU_DEP_3) | instskip(NEXT) | instid1(VALU_DEP_3)
	v_add_nc_u32_e32 v17, 1, v20
	v_add_nc_u32_e32 v16, -1, v16
	v_lshl_add_u32 v23, v20, 3, v9
	s_delay_alu instid0(VALU_DEP_3) | instskip(NEXT) | instid1(VALU_DEP_3)
	v_cndmask_b32_e64 v15, v15, v17, s14
	v_min_u32_e32 v16, v17, v16
	v_cndmask_b32_e64 v13, v17, v13, s14
	s_delay_alu instid0(VALU_DEP_3) | instskip(NEXT) | instid1(VALU_DEP_3)
	v_cmp_lt_u32_e64 s15, v15, v30
	v_add_nc_u32_e32 v16, v10, v16
	s_delay_alu instid0(VALU_DEP_3) | instskip(SKIP_4) | instid1(VALU_DEP_2)
	v_cmp_ge_u32_e64 s17, v13, v31
	ds_load_u8 v16, v16
	s_wait_dscnt 0x0
	v_cndmask_b32_e64 v64, v16, v54, s14
	v_cndmask_b32_e64 v65, v55, v16, s14
	v_and_b32_e32 v16, v64, v4
	s_delay_alu instid0(VALU_DEP_2) | instskip(NEXT) | instid1(VALU_DEP_2)
	v_and_b32_e32 v21, v65, v4
	v_and_b32_e32 v16, 0xff, v16
	s_delay_alu instid0(VALU_DEP_2) | instskip(NEXT) | instid1(VALU_DEP_1)
	v_and_b32_e32 v21, 0xff, v21
	v_cmp_le_u16_e64 s16, v21, v16
	s_and_b32 s15, s15, s16
	s_wait_alu 0xfffe
	s_or_b32 s15, s17, s15
	s_wait_alu 0xfffe
	v_cndmask_b32_e64 v21, v13, v15, s15
	v_cndmask_b32_e64 v16, v31, v30, s15
	;; [unrolled: 1-line block ×3, first 2 shown]
	s_delay_alu instid0(VALU_DEP_3) | instskip(NEXT) | instid1(VALU_DEP_3)
	v_add_nc_u32_e32 v17, 1, v21
	v_add_nc_u32_e32 v16, -1, v16
	s_delay_alu instid0(VALU_DEP_2) | instskip(NEXT) | instid1(VALU_DEP_2)
	v_cndmask_b32_e64 v22, v15, v17, s15
	v_min_u32_e32 v16, v17, v16
	v_cndmask_b32_e64 v13, v17, v13, s15
	s_delay_alu instid0(VALU_DEP_3) | instskip(NEXT) | instid1(VALU_DEP_3)
	v_cmp_lt_u32_e64 s16, v22, v30
	v_add_nc_u32_e32 v16, v10, v16
	s_delay_alu instid0(VALU_DEP_3)
	v_cmp_ge_u32_e64 s18, v13, v31
	v_lshl_add_u32 v30, v21, 3, v9
	ds_load_u8 v16, v16
	s_wait_dscnt 0x0
	v_cndmask_b32_e64 v66, v16, v64, s15
	v_cndmask_b32_e64 v67, v65, v16, s15
	s_delay_alu instid0(VALU_DEP_2) | instskip(NEXT) | instid1(VALU_DEP_2)
	v_and_b32_e32 v16, v66, v4
	v_and_b32_e32 v4, v67, v4
	s_delay_alu instid0(VALU_DEP_2) | instskip(NEXT) | instid1(VALU_DEP_2)
	v_and_b32_e32 v15, 0xff, v16
	v_and_b32_e32 v4, 0xff, v4
	v_lshl_add_u32 v16, v14, 3, v9
	s_delay_alu instid0(VALU_DEP_2)
	v_cmp_le_u16_e64 s17, v4, v15
	ds_load_b64 v[4:5], v5 offset:2048
	ds_load_b64 v[14:15], v12 offset:2048
	;; [unrolled: 1-line block ×3, first 2 shown]
	s_and_b32 s16, s16, s17
	s_wait_alu 0xfffe
	s_or_b32 s16, s18, s16
	s_wait_alu 0xfffe
	v_cndmask_b32_e64 v12, v13, v22, s16
	v_lshl_add_u32 v13, v18, 3, v9
	v_lshl_add_u32 v22, v19, 3, v9
	v_cndmask_b32_e64 v37, v66, v67, s16
	s_delay_alu instid0(VALU_DEP_4)
	v_lshl_add_u32 v31, v12, 3, v9
	ds_load_b64 v[18:19], v13 offset:2048
	ds_load_b64 v[20:21], v22 offset:2048
	;; [unrolled: 1-line block ×5, first 2 shown]
.LBB1650_94:
	s_wait_alu 0xfffe
	s_or_b32 exec_lo, exec_lo, s20
	v_perm_b32 v31, v38, v36, 0xc0c0004
	v_perm_b32 v51, v39, v37, 0xc0c0004
	;; [unrolled: 1-line block ×4, first 2 shown]
	v_add_nc_u32_e32 v30, v10, v34
	s_delay_alu instid0(VALU_DEP_4) | instskip(NEXT) | instid1(VALU_DEP_3)
	v_lshl_or_b32 v52, v51, 16, v31
	; wave barrier
	v_lshl_or_b32 v51, v54, 16, v53
	s_wait_dscnt 0x6
	ds_store_2addr_b64 v29, v[4:5], v[14:15] offset1:1
	s_wait_dscnt 0x5
	ds_store_2addr_b64 v27, v[16:17], v[18:19] offset1:1
	ds_store_b64 v30, v[51:52]
	s_wait_dscnt 0x5
	ds_store_2addr_b64 v26, v[20:21], v[24:25] offset1:1
	s_wait_dscnt 0x4
	ds_store_2addr_b64 v11, v[12:13], v[22:23] offset1:1
	; wave barrier
	scratch_load_u8 v54, off, s32 offset:3
	v_and_b32_e32 v52, 0xe0, v34
	v_and_b32_e32 v53, 24, v34
	s_mov_b32 s11, exec_lo
	s_delay_alu instid0(VALU_DEP_2) | instskip(NEXT) | instid1(VALU_DEP_2)
	v_or_b32_e32 v31, 16, v52
	v_min_u32_e32 v53, v28, v53
	s_delay_alu instid0(VALU_DEP_2) | instskip(NEXT) | instid1(VALU_DEP_1)
	v_min_u32_e32 v31, v28, v31
	v_add_nc_u32_e32 v51, 16, v31
	v_sub_nc_u32_e32 v55, v31, v52
	s_delay_alu instid0(VALU_DEP_2) | instskip(NEXT) | instid1(VALU_DEP_2)
	v_min_u32_e32 v51, v28, v51
	v_min_u32_e32 v55, v53, v55
	s_delay_alu instid0(VALU_DEP_2) | instskip(SKIP_2) | instid1(VALU_DEP_2)
	v_sub_nc_u32_e32 v64, v51, v31
	s_wait_loadcnt 0x0
	v_and_b32_e32 v65, 1, v54
	v_sub_nc_u32_e64 v54, v53, v64 clamp
	s_delay_alu instid0(VALU_DEP_2)
	v_cmp_eq_u32_e64 s7, 1, v65
	scratch_store_b8 off, v65, s32 offset:2
	v_cmpx_lt_u32_e64 v54, v55
	s_cbranch_execz .LBB1650_98
; %bb.95:
	scratch_load_u8 v64, off, s32 offset:2
	v_add_nc_u32_e32 v65, v10, v52
	v_add3_u32 v66, v10, v31, v53
	s_mov_b32 s12, 0
.LBB1650_96:                            ; =>This Inner Loop Header: Depth=1
	v_add_nc_u32_e32 v67, v55, v54
	s_delay_alu instid0(VALU_DEP_1) | instskip(NEXT) | instid1(VALU_DEP_1)
	v_lshrrev_b32_e32 v67, 1, v67
	v_xad_u32 v68, v67, -1, v66
	v_add_nc_u32_e32 v69, v65, v67
	v_add_nc_u32_e32 v70, 1, v67
	ds_load_u8 v68, v68
	ds_load_u8 v69, v69
	s_wait_loadcnt_dscnt 0x1
	v_and_b32_e32 v68, v68, v64
	s_wait_dscnt 0x0
	v_and_b32_e32 v69, v69, v64
	s_delay_alu instid0(VALU_DEP_2) | instskip(NEXT) | instid1(VALU_DEP_2)
	v_and_b32_e32 v68, 1, v68
	v_and_b32_e32 v69, 1, v69
	s_delay_alu instid0(VALU_DEP_1) | instskip(SKIP_1) | instid1(VALU_DEP_1)
	v_cmp_gt_u16_e64 s10, v69, v68
	s_wait_alu 0xf1ff
	v_cndmask_b32_e64 v55, v55, v67, s10
	v_cndmask_b32_e64 v54, v70, v54, s10
	s_delay_alu instid0(VALU_DEP_1)
	v_cmp_ge_u32_e64 s10, v54, v55
	s_wait_alu 0xfffe
	s_or_b32 s12, s10, s12
	s_wait_alu 0xfffe
	s_and_not1_b32 exec_lo, exec_lo, s12
	s_cbranch_execnz .LBB1650_96
; %bb.97:
	s_or_b32 exec_lo, exec_lo, s12
.LBB1650_98:
	s_wait_alu 0xfffe
	s_or_b32 exec_lo, exec_lo, s11
	v_cndmask_b32_e64 v55, 0, 1, s7
	v_add_nc_u32_e32 v64, v31, v53
	v_add_nc_u32_e32 v53, v54, v52
	scratch_store_b8 off, v55, s32 offset:1
	scratch_load_u8 v55, off, s32 offset:1
	v_sub_nc_u32_e32 v52, v64, v54
	v_cmp_le_u32_e64 s7, v53, v31
	s_delay_alu instid0(VALU_DEP_2)
	v_cmp_le_u32_e64 s10, v52, v51
	s_or_b32 s7, s7, s10
	s_wait_loadcnt 0x0
	v_and_b32_e32 v54, 1, v55
	scratch_store_b8 off, v54, s32
	s_wait_alu 0xfffe
	s_and_saveexec_b32 s20, s7
	s_cbranch_execz .LBB1650_104
; %bb.99:
	v_cmp_ge_u32_e64 s7, v53, v31
	s_mov_b32 s11, exec_lo
                                        ; implicit-def: $vgpr35
	v_cmpx_lt_u32_e64 v53, v31
; %bb.100:
	v_add_nc_u32_e32 v4, v10, v53
	ds_load_u8 v35, v4
; %bb.101:
	s_wait_alu 0xfffe
	s_or_b32 exec_lo, exec_lo, s11
	v_cmp_ge_u32_e64 s10, v52, v51
	s_mov_b32 s12, exec_lo
                                        ; implicit-def: $vgpr36
	v_cmpx_lt_u32_e64 v52, v51
; %bb.102:
	v_add_nc_u32_e32 v4, v10, v52
	ds_load_u8 v36, v4
; %bb.103:
	s_wait_alu 0xfffe
	s_or_b32 exec_lo, exec_lo, s12
	scratch_load_u8 v4, off, s32
	v_cndmask_b32_e64 v13, 0, 1, s10
	s_or_b32 s7, s7, s10
	s_wait_loadcnt_dscnt 0x0
	v_and_b32_e32 v5, v4, v36
	v_and_b32_e32 v12, v4, v35
	s_delay_alu instid0(VALU_DEP_2) | instskip(NEXT) | instid1(VALU_DEP_2)
	v_and_b32_e32 v5, 1, v5
	v_and_b32_e32 v12, 1, v12
	s_delay_alu instid0(VALU_DEP_1) | instskip(SKIP_1) | instid1(VALU_DEP_1)
	v_cmp_le_u16_e64 s11, v12, v5
	s_wait_alu 0xf1ff
	v_cndmask_b32_e64 v5, 0, 1, s11
	s_wait_alu 0xfffe
	s_delay_alu instid0(VALU_DEP_1) | instskip(NEXT) | instid1(VALU_DEP_1)
	v_cndmask_b32_e64 v5, v5, v13, s7
	v_and_b32_e32 v5, 1, v5
	s_delay_alu instid0(VALU_DEP_1) | instskip(SKIP_1) | instid1(VALU_DEP_1)
	v_cmp_eq_u32_e64 s7, 1, v5
	s_wait_alu 0xf1ff
	v_cndmask_b32_e64 v5, v52, v53, s7
	v_cndmask_b32_e64 v12, v51, v31, s7
	s_delay_alu instid0(VALU_DEP_2) | instskip(NEXT) | instid1(VALU_DEP_2)
	v_add_nc_u32_e32 v13, 1, v5
	v_add_nc_u32_e32 v12, -1, v12
	v_lshl_add_u32 v5, v5, 3, v9
	s_delay_alu instid0(VALU_DEP_3) | instskip(NEXT) | instid1(VALU_DEP_3)
	v_cndmask_b32_e64 v15, v53, v13, s7
	v_min_u32_e32 v12, v13, v12
	v_cndmask_b32_e64 v13, v13, v52, s7
	s_delay_alu instid0(VALU_DEP_3) | instskip(NEXT) | instid1(VALU_DEP_3)
	v_cmp_lt_u32_e64 s10, v15, v31
	v_add_nc_u32_e32 v12, v10, v12
	s_delay_alu instid0(VALU_DEP_3)
	v_cmp_ge_u32_e64 s12, v13, v51
	ds_load_u8 v12, v12
	s_wait_dscnt 0x0
	v_cndmask_b32_e64 v37, v12, v36, s7
	v_cndmask_b32_e64 v38, v35, v12, s7
	;; [unrolled: 1-line block ×3, first 2 shown]
	s_delay_alu instid0(VALU_DEP_3) | instskip(NEXT) | instid1(VALU_DEP_3)
	v_and_b32_e32 v12, v37, v4
	v_and_b32_e32 v14, v38, v4
	s_delay_alu instid0(VALU_DEP_2) | instskip(NEXT) | instid1(VALU_DEP_2)
	v_and_b32_e32 v12, 0xff, v12
	v_and_b32_e32 v14, 0xff, v14
	s_delay_alu instid0(VALU_DEP_1)
	v_cmp_le_u16_e64 s11, v14, v12
	s_and_b32 s10, s10, s11
	s_wait_alu 0xfffe
	s_or_b32 s10, s12, s10
	s_wait_alu 0xfffe
	v_cndmask_b32_e64 v12, v13, v15, s10
	v_cndmask_b32_e64 v14, v51, v31, s10
	s_delay_alu instid0(VALU_DEP_2) | instskip(NEXT) | instid1(VALU_DEP_2)
	v_add_nc_u32_e32 v16, 1, v12
	v_add_nc_u32_e32 v14, -1, v14
	v_lshl_add_u32 v12, v12, 3, v9
	s_delay_alu instid0(VALU_DEP_3) | instskip(NEXT) | instid1(VALU_DEP_3)
	v_cndmask_b32_e64 v15, v15, v16, s10
	v_min_u32_e32 v14, v16, v14
	v_cndmask_b32_e64 v13, v16, v13, s10
	s_delay_alu instid0(VALU_DEP_3) | instskip(NEXT) | instid1(VALU_DEP_3)
	v_cmp_lt_u32_e64 s11, v15, v31
	v_add_nc_u32_e32 v14, v10, v14
	s_delay_alu instid0(VALU_DEP_3) | instskip(SKIP_4) | instid1(VALU_DEP_2)
	v_cmp_ge_u32_e64 s13, v13, v51
	ds_load_u8 v14, v14
	s_wait_dscnt 0x0
	v_cndmask_b32_e64 v39, v14, v37, s10
	v_cndmask_b32_e64 v49, v38, v14, s10
	v_and_b32_e32 v14, v39, v4
	s_delay_alu instid0(VALU_DEP_2) | instskip(NEXT) | instid1(VALU_DEP_2)
	v_and_b32_e32 v17, v49, v4
	v_and_b32_e32 v14, 0xff, v14
	s_delay_alu instid0(VALU_DEP_2) | instskip(NEXT) | instid1(VALU_DEP_1)
	v_and_b32_e32 v17, 0xff, v17
	v_cmp_le_u16_e64 s12, v17, v14
	s_and_b32 s11, s11, s12
	s_wait_alu 0xfffe
	s_or_b32 s11, s13, s11
	s_wait_alu 0xfffe
	v_cndmask_b32_e64 v14, v13, v15, s11
	v_cndmask_b32_e64 v16, v51, v31, s11
	s_delay_alu instid0(VALU_DEP_2) | instskip(NEXT) | instid1(VALU_DEP_2)
	v_add_nc_u32_e32 v17, 1, v14
	v_add_nc_u32_e32 v16, -1, v16
	s_delay_alu instid0(VALU_DEP_2) | instskip(NEXT) | instid1(VALU_DEP_2)
	v_cndmask_b32_e64 v15, v15, v17, s11
	v_min_u32_e32 v16, v17, v16
	v_cndmask_b32_e64 v13, v17, v13, s11
	s_delay_alu instid0(VALU_DEP_3) | instskip(NEXT) | instid1(VALU_DEP_3)
	v_cmp_lt_u32_e64 s12, v15, v31
	v_add_nc_u32_e32 v16, v10, v16
	s_delay_alu instid0(VALU_DEP_3)
	v_cmp_ge_u32_e64 s14, v13, v51
	ds_load_u8 v16, v16
	s_wait_dscnt 0x0
	v_cndmask_b32_e64 v50, v16, v39, s11
	v_cndmask_b32_e64 v52, v49, v16, s11
	;; [unrolled: 1-line block ×3, first 2 shown]
	s_delay_alu instid0(VALU_DEP_3) | instskip(NEXT) | instid1(VALU_DEP_3)
	v_and_b32_e32 v16, v50, v4
	v_and_b32_e32 v18, v52, v4
	s_delay_alu instid0(VALU_DEP_2) | instskip(NEXT) | instid1(VALU_DEP_2)
	v_and_b32_e32 v16, 0xff, v16
	v_and_b32_e32 v18, 0xff, v18
	s_delay_alu instid0(VALU_DEP_1)
	v_cmp_le_u16_e64 s13, v18, v16
	s_and_b32 s12, s12, s13
	s_wait_alu 0xfffe
	s_or_b32 s12, s14, s12
	s_wait_alu 0xfffe
	v_cndmask_b32_e64 v18, v13, v15, s12
	v_cndmask_b32_e64 v16, v51, v31, s12
	s_delay_alu instid0(VALU_DEP_2) | instskip(NEXT) | instid1(VALU_DEP_2)
	v_add_nc_u32_e32 v17, 1, v18
	v_add_nc_u32_e32 v16, -1, v16
	s_delay_alu instid0(VALU_DEP_2) | instskip(NEXT) | instid1(VALU_DEP_2)
	v_cndmask_b32_e64 v15, v15, v17, s12
	v_min_u32_e32 v16, v17, v16
	v_cndmask_b32_e64 v13, v17, v13, s12
	s_delay_alu instid0(VALU_DEP_3) | instskip(NEXT) | instid1(VALU_DEP_3)
	v_cmp_lt_u32_e64 s13, v15, v31
	v_add_nc_u32_e32 v16, v10, v16
	s_delay_alu instid0(VALU_DEP_3)
	v_cmp_ge_u32_e64 s15, v13, v51
	ds_load_u8 v16, v16
	s_wait_dscnt 0x0
	v_cndmask_b32_e64 v53, v16, v50, s12
	v_cndmask_b32_e64 v54, v52, v16, s12
	;; [unrolled: 1-line block ×3, first 2 shown]
	s_delay_alu instid0(VALU_DEP_3) | instskip(NEXT) | instid1(VALU_DEP_3)
	v_and_b32_e32 v16, v53, v4
	v_and_b32_e32 v19, v54, v4
	s_delay_alu instid0(VALU_DEP_2) | instskip(NEXT) | instid1(VALU_DEP_2)
	v_and_b32_e32 v16, 0xff, v16
	v_and_b32_e32 v19, 0xff, v19
	s_delay_alu instid0(VALU_DEP_1)
	v_cmp_le_u16_e64 s14, v19, v16
	s_and_b32 s13, s13, s14
	s_wait_alu 0xfffe
	s_or_b32 s13, s15, s13
	s_wait_alu 0xfffe
	v_cndmask_b32_e64 v19, v13, v15, s13
	v_cndmask_b32_e64 v16, v51, v31, s13
	s_delay_alu instid0(VALU_DEP_2) | instskip(NEXT) | instid1(VALU_DEP_2)
	v_add_nc_u32_e32 v17, 1, v19
	v_add_nc_u32_e32 v16, -1, v16
	s_delay_alu instid0(VALU_DEP_2) | instskip(NEXT) | instid1(VALU_DEP_2)
	v_cndmask_b32_e64 v15, v15, v17, s13
	v_min_u32_e32 v16, v17, v16
	v_cndmask_b32_e64 v13, v17, v13, s13
	s_delay_alu instid0(VALU_DEP_3) | instskip(NEXT) | instid1(VALU_DEP_3)
	v_cmp_lt_u32_e64 s14, v15, v31
	v_add_nc_u32_e32 v16, v10, v16
	s_delay_alu instid0(VALU_DEP_3) | instskip(SKIP_4) | instid1(VALU_DEP_2)
	v_cmp_ge_u32_e64 s16, v13, v51
	ds_load_u8 v16, v16
	s_wait_dscnt 0x0
	v_cndmask_b32_e64 v55, v16, v53, s13
	v_cndmask_b32_e64 v64, v54, v16, s13
	v_and_b32_e32 v16, v55, v4
	s_delay_alu instid0(VALU_DEP_2) | instskip(NEXT) | instid1(VALU_DEP_2)
	v_and_b32_e32 v20, v64, v4
	v_and_b32_e32 v16, 0xff, v16
	s_delay_alu instid0(VALU_DEP_2) | instskip(NEXT) | instid1(VALU_DEP_1)
	v_and_b32_e32 v20, 0xff, v20
	v_cmp_le_u16_e64 s15, v20, v16
	s_and_b32 s14, s14, s15
	s_wait_alu 0xfffe
	s_or_b32 s14, s16, s14
	s_wait_alu 0xfffe
	v_cndmask_b32_e64 v20, v13, v15, s14
	v_cndmask_b32_e64 v16, v51, v31, s14
	;; [unrolled: 1-line block ×3, first 2 shown]
	s_delay_alu instid0(VALU_DEP_3) | instskip(NEXT) | instid1(VALU_DEP_3)
	v_add_nc_u32_e32 v17, 1, v20
	v_add_nc_u32_e32 v16, -1, v16
	v_lshl_add_u32 v23, v20, 3, v9
	s_delay_alu instid0(VALU_DEP_3) | instskip(NEXT) | instid1(VALU_DEP_3)
	v_cndmask_b32_e64 v15, v15, v17, s14
	v_min_u32_e32 v16, v17, v16
	v_cndmask_b32_e64 v13, v17, v13, s14
	s_delay_alu instid0(VALU_DEP_3) | instskip(NEXT) | instid1(VALU_DEP_3)
	v_cmp_lt_u32_e64 s15, v15, v31
	v_add_nc_u32_e32 v16, v10, v16
	s_delay_alu instid0(VALU_DEP_3) | instskip(SKIP_4) | instid1(VALU_DEP_2)
	v_cmp_ge_u32_e64 s17, v13, v51
	ds_load_u8 v16, v16
	s_wait_dscnt 0x0
	v_cndmask_b32_e64 v65, v16, v55, s14
	v_cndmask_b32_e64 v66, v64, v16, s14
	v_and_b32_e32 v16, v65, v4
	s_delay_alu instid0(VALU_DEP_2) | instskip(NEXT) | instid1(VALU_DEP_2)
	v_and_b32_e32 v21, v66, v4
	v_and_b32_e32 v16, 0xff, v16
	s_delay_alu instid0(VALU_DEP_2) | instskip(NEXT) | instid1(VALU_DEP_1)
	v_and_b32_e32 v21, 0xff, v21
	v_cmp_le_u16_e64 s16, v21, v16
	s_and_b32 s15, s15, s16
	s_wait_alu 0xfffe
	s_or_b32 s15, s17, s15
	s_wait_alu 0xfffe
	v_cndmask_b32_e64 v21, v13, v15, s15
	v_cndmask_b32_e64 v16, v51, v31, s15
	;; [unrolled: 1-line block ×3, first 2 shown]
	s_delay_alu instid0(VALU_DEP_3) | instskip(NEXT) | instid1(VALU_DEP_3)
	v_add_nc_u32_e32 v17, 1, v21
	v_add_nc_u32_e32 v16, -1, v16
	s_delay_alu instid0(VALU_DEP_2) | instskip(NEXT) | instid1(VALU_DEP_2)
	v_cndmask_b32_e64 v22, v15, v17, s15
	v_min_u32_e32 v16, v17, v16
	v_cndmask_b32_e64 v13, v17, v13, s15
	s_delay_alu instid0(VALU_DEP_3) | instskip(NEXT) | instid1(VALU_DEP_3)
	v_cmp_lt_u32_e64 s16, v22, v31
	v_add_nc_u32_e32 v16, v10, v16
	s_delay_alu instid0(VALU_DEP_3)
	v_cmp_ge_u32_e64 s18, v13, v51
	v_lshl_add_u32 v31, v21, 3, v9
	ds_load_u8 v16, v16
	s_wait_dscnt 0x0
	v_cndmask_b32_e64 v67, v16, v65, s15
	v_cndmask_b32_e64 v68, v66, v16, s15
	s_delay_alu instid0(VALU_DEP_2) | instskip(NEXT) | instid1(VALU_DEP_2)
	v_and_b32_e32 v16, v67, v4
	v_and_b32_e32 v4, v68, v4
	s_delay_alu instid0(VALU_DEP_2) | instskip(NEXT) | instid1(VALU_DEP_2)
	v_and_b32_e32 v15, 0xff, v16
	v_and_b32_e32 v4, 0xff, v4
	v_lshl_add_u32 v16, v14, 3, v9
	s_delay_alu instid0(VALU_DEP_2)
	v_cmp_le_u16_e64 s17, v4, v15
	ds_load_b64 v[4:5], v5 offset:2048
	ds_load_b64 v[14:15], v12 offset:2048
	;; [unrolled: 1-line block ×3, first 2 shown]
	s_and_b32 s16, s16, s17
	s_wait_alu 0xfffe
	s_or_b32 s16, s18, s16
	s_wait_alu 0xfffe
	v_cndmask_b32_e64 v12, v13, v22, s16
	v_lshl_add_u32 v13, v18, 3, v9
	v_lshl_add_u32 v22, v19, 3, v9
	s_delay_alu instid0(VALU_DEP_3)
	v_lshl_add_u32 v48, v12, 3, v9
	ds_load_b64 v[18:19], v13 offset:2048
	ds_load_b64 v[20:21], v22 offset:2048
	;; [unrolled: 1-line block ×5, first 2 shown]
	v_cndmask_b32_e64 v48, v37, v38, s10
	v_cndmask_b32_e64 v38, v53, v54, s13
	;; [unrolled: 1-line block ×3, first 2 shown]
.LBB1650_104:
	s_wait_alu 0xfffe
	s_or_b32 exec_lo, exec_lo, s20
	s_delay_alu instid0(VALU_DEP_2) | instskip(NEXT) | instid1(VALU_DEP_2)
	v_perm_b32 v31, v38, v36, 0xc0c0004
	v_perm_b32 v51, v39, v37, 0xc0c0004
	;; [unrolled: 1-line block ×4, first 2 shown]
	; wave barrier
	s_delay_alu instid0(VALU_DEP_3) | instskip(SKIP_1) | instid1(VALU_DEP_2)
	v_lshl_or_b32 v52, v51, 16, v31
	s_mov_b32 s11, exec_lo
	v_lshl_or_b32 v51, v54, 16, v53
	s_wait_dscnt 0x6
	ds_store_2addr_b64 v29, v[4:5], v[14:15] offset1:1
	s_wait_dscnt 0x5
	ds_store_2addr_b64 v27, v[16:17], v[18:19] offset1:1
	ds_store_b64 v30, v[51:52]
	s_wait_dscnt 0x5
	ds_store_2addr_b64 v26, v[20:21], v[24:25] offset1:1
	s_wait_dscnt 0x4
	ds_store_2addr_b64 v11, v[12:13], v[22:23] offset1:1
	; wave barrier
	scratch_load_u8 v54, off, s32 offset:3
	v_and_b32_e32 v52, 0xc0, v34
	v_and_b32_e32 v53, 56, v34
	s_delay_alu instid0(VALU_DEP_2) | instskip(NEXT) | instid1(VALU_DEP_2)
	v_or_b32_e32 v31, 32, v52
	v_min_u32_e32 v53, v28, v53
	s_delay_alu instid0(VALU_DEP_2) | instskip(NEXT) | instid1(VALU_DEP_1)
	v_min_u32_e32 v31, v28, v31
	v_add_nc_u32_e32 v51, 32, v31
	v_sub_nc_u32_e32 v55, v31, v52
	s_delay_alu instid0(VALU_DEP_2) | instskip(NEXT) | instid1(VALU_DEP_2)
	v_min_u32_e32 v51, v28, v51
	v_min_u32_e32 v55, v53, v55
	s_delay_alu instid0(VALU_DEP_2) | instskip(SKIP_2) | instid1(VALU_DEP_2)
	v_sub_nc_u32_e32 v64, v51, v31
	s_wait_loadcnt 0x0
	v_and_b32_e32 v65, 1, v54
	v_sub_nc_u32_e64 v54, v53, v64 clamp
	s_delay_alu instid0(VALU_DEP_2)
	v_cmp_eq_u32_e64 s7, 1, v65
	scratch_store_b8 off, v65, s32 offset:2
	v_cmpx_lt_u32_e64 v54, v55
	s_cbranch_execz .LBB1650_108
; %bb.105:
	scratch_load_u8 v64, off, s32 offset:2
	v_add_nc_u32_e32 v65, v10, v52
	v_add3_u32 v66, v10, v31, v53
	s_mov_b32 s12, 0
.LBB1650_106:                           ; =>This Inner Loop Header: Depth=1
	v_add_nc_u32_e32 v67, v55, v54
	s_delay_alu instid0(VALU_DEP_1) | instskip(NEXT) | instid1(VALU_DEP_1)
	v_lshrrev_b32_e32 v67, 1, v67
	v_xad_u32 v68, v67, -1, v66
	v_add_nc_u32_e32 v69, v65, v67
	v_add_nc_u32_e32 v70, 1, v67
	ds_load_u8 v68, v68
	ds_load_u8 v69, v69
	s_wait_loadcnt_dscnt 0x1
	v_and_b32_e32 v68, v68, v64
	s_wait_dscnt 0x0
	v_and_b32_e32 v69, v69, v64
	s_delay_alu instid0(VALU_DEP_2) | instskip(NEXT) | instid1(VALU_DEP_2)
	v_and_b32_e32 v68, 1, v68
	v_and_b32_e32 v69, 1, v69
	s_delay_alu instid0(VALU_DEP_1) | instskip(SKIP_1) | instid1(VALU_DEP_1)
	v_cmp_gt_u16_e64 s10, v69, v68
	s_wait_alu 0xf1ff
	v_cndmask_b32_e64 v55, v55, v67, s10
	v_cndmask_b32_e64 v54, v70, v54, s10
	s_delay_alu instid0(VALU_DEP_1)
	v_cmp_ge_u32_e64 s10, v54, v55
	s_wait_alu 0xfffe
	s_or_b32 s12, s10, s12
	s_wait_alu 0xfffe
	s_and_not1_b32 exec_lo, exec_lo, s12
	s_cbranch_execnz .LBB1650_106
; %bb.107:
	s_or_b32 exec_lo, exec_lo, s12
.LBB1650_108:
	s_wait_alu 0xfffe
	s_or_b32 exec_lo, exec_lo, s11
	v_cndmask_b32_e64 v55, 0, 1, s7
	v_add_nc_u32_e32 v64, v31, v53
	v_add_nc_u32_e32 v53, v54, v52
	scratch_store_b8 off, v55, s32 offset:1
	scratch_load_u8 v55, off, s32 offset:1
	v_sub_nc_u32_e32 v52, v64, v54
	v_cmp_le_u32_e64 s7, v53, v31
	s_delay_alu instid0(VALU_DEP_2)
	v_cmp_le_u32_e64 s10, v52, v51
	s_or_b32 s7, s7, s10
	s_wait_loadcnt 0x0
	v_and_b32_e32 v54, 1, v55
	scratch_store_b8 off, v54, s32
	s_wait_alu 0xfffe
	s_and_saveexec_b32 s20, s7
	s_cbranch_execz .LBB1650_114
; %bb.109:
	v_cmp_ge_u32_e64 s7, v53, v31
	s_mov_b32 s11, exec_lo
                                        ; implicit-def: $vgpr35
	v_cmpx_lt_u32_e64 v53, v31
; %bb.110:
	v_add_nc_u32_e32 v4, v10, v53
	ds_load_u8 v35, v4
; %bb.111:
	s_wait_alu 0xfffe
	s_or_b32 exec_lo, exec_lo, s11
	v_cmp_ge_u32_e64 s10, v52, v51
	s_mov_b32 s12, exec_lo
                                        ; implicit-def: $vgpr36
	v_cmpx_lt_u32_e64 v52, v51
; %bb.112:
	v_add_nc_u32_e32 v4, v10, v52
	ds_load_u8 v36, v4
; %bb.113:
	s_wait_alu 0xfffe
	s_or_b32 exec_lo, exec_lo, s12
	scratch_load_u8 v4, off, s32
	v_cndmask_b32_e64 v13, 0, 1, s10
	s_or_b32 s7, s7, s10
	s_wait_loadcnt_dscnt 0x0
	v_and_b32_e32 v5, v4, v36
	v_and_b32_e32 v12, v4, v35
	s_delay_alu instid0(VALU_DEP_2) | instskip(NEXT) | instid1(VALU_DEP_2)
	v_and_b32_e32 v5, 1, v5
	v_and_b32_e32 v12, 1, v12
	s_delay_alu instid0(VALU_DEP_1) | instskip(SKIP_1) | instid1(VALU_DEP_1)
	v_cmp_le_u16_e64 s11, v12, v5
	s_wait_alu 0xf1ff
	v_cndmask_b32_e64 v5, 0, 1, s11
	s_wait_alu 0xfffe
	s_delay_alu instid0(VALU_DEP_1) | instskip(NEXT) | instid1(VALU_DEP_1)
	v_cndmask_b32_e64 v5, v5, v13, s7
	v_and_b32_e32 v5, 1, v5
	s_delay_alu instid0(VALU_DEP_1) | instskip(SKIP_1) | instid1(VALU_DEP_1)
	v_cmp_eq_u32_e64 s7, 1, v5
	s_wait_alu 0xf1ff
	v_cndmask_b32_e64 v5, v52, v53, s7
	v_cndmask_b32_e64 v12, v51, v31, s7
	s_delay_alu instid0(VALU_DEP_2) | instskip(NEXT) | instid1(VALU_DEP_2)
	v_add_nc_u32_e32 v13, 1, v5
	v_add_nc_u32_e32 v12, -1, v12
	v_lshl_add_u32 v5, v5, 3, v9
	s_delay_alu instid0(VALU_DEP_3) | instskip(NEXT) | instid1(VALU_DEP_3)
	v_cndmask_b32_e64 v15, v53, v13, s7
	v_min_u32_e32 v12, v13, v12
	v_cndmask_b32_e64 v13, v13, v52, s7
	s_delay_alu instid0(VALU_DEP_3) | instskip(NEXT) | instid1(VALU_DEP_3)
	v_cmp_lt_u32_e64 s10, v15, v31
	v_add_nc_u32_e32 v12, v10, v12
	s_delay_alu instid0(VALU_DEP_3)
	v_cmp_ge_u32_e64 s12, v13, v51
	ds_load_u8 v12, v12
	s_wait_dscnt 0x0
	v_cndmask_b32_e64 v37, v12, v36, s7
	v_cndmask_b32_e64 v38, v35, v12, s7
	;; [unrolled: 1-line block ×3, first 2 shown]
	s_delay_alu instid0(VALU_DEP_3) | instskip(NEXT) | instid1(VALU_DEP_3)
	v_and_b32_e32 v12, v37, v4
	v_and_b32_e32 v14, v38, v4
	s_delay_alu instid0(VALU_DEP_2) | instskip(NEXT) | instid1(VALU_DEP_2)
	v_and_b32_e32 v12, 0xff, v12
	v_and_b32_e32 v14, 0xff, v14
	s_delay_alu instid0(VALU_DEP_1)
	v_cmp_le_u16_e64 s11, v14, v12
	s_and_b32 s10, s10, s11
	s_wait_alu 0xfffe
	s_or_b32 s10, s12, s10
	s_wait_alu 0xfffe
	v_cndmask_b32_e64 v12, v13, v15, s10
	v_cndmask_b32_e64 v14, v51, v31, s10
	s_delay_alu instid0(VALU_DEP_2) | instskip(NEXT) | instid1(VALU_DEP_2)
	v_add_nc_u32_e32 v16, 1, v12
	v_add_nc_u32_e32 v14, -1, v14
	v_lshl_add_u32 v12, v12, 3, v9
	s_delay_alu instid0(VALU_DEP_3) | instskip(NEXT) | instid1(VALU_DEP_3)
	v_cndmask_b32_e64 v15, v15, v16, s10
	v_min_u32_e32 v14, v16, v14
	v_cndmask_b32_e64 v13, v16, v13, s10
	s_delay_alu instid0(VALU_DEP_3) | instskip(NEXT) | instid1(VALU_DEP_3)
	v_cmp_lt_u32_e64 s11, v15, v31
	v_add_nc_u32_e32 v14, v10, v14
	s_delay_alu instid0(VALU_DEP_3) | instskip(SKIP_4) | instid1(VALU_DEP_2)
	v_cmp_ge_u32_e64 s13, v13, v51
	ds_load_u8 v14, v14
	s_wait_dscnt 0x0
	v_cndmask_b32_e64 v39, v14, v37, s10
	v_cndmask_b32_e64 v49, v38, v14, s10
	v_and_b32_e32 v14, v39, v4
	s_delay_alu instid0(VALU_DEP_2) | instskip(NEXT) | instid1(VALU_DEP_2)
	v_and_b32_e32 v17, v49, v4
	v_and_b32_e32 v14, 0xff, v14
	s_delay_alu instid0(VALU_DEP_2) | instskip(NEXT) | instid1(VALU_DEP_1)
	v_and_b32_e32 v17, 0xff, v17
	v_cmp_le_u16_e64 s12, v17, v14
	s_and_b32 s11, s11, s12
	s_wait_alu 0xfffe
	s_or_b32 s11, s13, s11
	s_wait_alu 0xfffe
	v_cndmask_b32_e64 v14, v13, v15, s11
	v_cndmask_b32_e64 v16, v51, v31, s11
	s_delay_alu instid0(VALU_DEP_2) | instskip(NEXT) | instid1(VALU_DEP_2)
	v_add_nc_u32_e32 v17, 1, v14
	v_add_nc_u32_e32 v16, -1, v16
	s_delay_alu instid0(VALU_DEP_2) | instskip(NEXT) | instid1(VALU_DEP_2)
	v_cndmask_b32_e64 v15, v15, v17, s11
	v_min_u32_e32 v16, v17, v16
	v_cndmask_b32_e64 v13, v17, v13, s11
	s_delay_alu instid0(VALU_DEP_3) | instskip(NEXT) | instid1(VALU_DEP_3)
	v_cmp_lt_u32_e64 s12, v15, v31
	v_add_nc_u32_e32 v16, v10, v16
	s_delay_alu instid0(VALU_DEP_3)
	v_cmp_ge_u32_e64 s14, v13, v51
	ds_load_u8 v16, v16
	s_wait_dscnt 0x0
	v_cndmask_b32_e64 v50, v16, v39, s11
	v_cndmask_b32_e64 v52, v49, v16, s11
	;; [unrolled: 1-line block ×3, first 2 shown]
	s_delay_alu instid0(VALU_DEP_3) | instskip(NEXT) | instid1(VALU_DEP_3)
	v_and_b32_e32 v16, v50, v4
	v_and_b32_e32 v18, v52, v4
	s_delay_alu instid0(VALU_DEP_2) | instskip(NEXT) | instid1(VALU_DEP_2)
	v_and_b32_e32 v16, 0xff, v16
	v_and_b32_e32 v18, 0xff, v18
	s_delay_alu instid0(VALU_DEP_1)
	v_cmp_le_u16_e64 s13, v18, v16
	s_and_b32 s12, s12, s13
	s_wait_alu 0xfffe
	s_or_b32 s12, s14, s12
	s_wait_alu 0xfffe
	v_cndmask_b32_e64 v18, v13, v15, s12
	v_cndmask_b32_e64 v16, v51, v31, s12
	s_delay_alu instid0(VALU_DEP_2) | instskip(NEXT) | instid1(VALU_DEP_2)
	v_add_nc_u32_e32 v17, 1, v18
	v_add_nc_u32_e32 v16, -1, v16
	s_delay_alu instid0(VALU_DEP_2) | instskip(NEXT) | instid1(VALU_DEP_2)
	v_cndmask_b32_e64 v15, v15, v17, s12
	v_min_u32_e32 v16, v17, v16
	v_cndmask_b32_e64 v13, v17, v13, s12
	s_delay_alu instid0(VALU_DEP_3) | instskip(NEXT) | instid1(VALU_DEP_3)
	v_cmp_lt_u32_e64 s13, v15, v31
	v_add_nc_u32_e32 v16, v10, v16
	s_delay_alu instid0(VALU_DEP_3)
	v_cmp_ge_u32_e64 s15, v13, v51
	ds_load_u8 v16, v16
	s_wait_dscnt 0x0
	v_cndmask_b32_e64 v53, v16, v50, s12
	v_cndmask_b32_e64 v54, v52, v16, s12
	;; [unrolled: 1-line block ×3, first 2 shown]
	s_delay_alu instid0(VALU_DEP_3) | instskip(NEXT) | instid1(VALU_DEP_3)
	v_and_b32_e32 v16, v53, v4
	v_and_b32_e32 v19, v54, v4
	s_delay_alu instid0(VALU_DEP_2) | instskip(NEXT) | instid1(VALU_DEP_2)
	v_and_b32_e32 v16, 0xff, v16
	v_and_b32_e32 v19, 0xff, v19
	s_delay_alu instid0(VALU_DEP_1)
	v_cmp_le_u16_e64 s14, v19, v16
	s_and_b32 s13, s13, s14
	s_wait_alu 0xfffe
	s_or_b32 s13, s15, s13
	s_wait_alu 0xfffe
	v_cndmask_b32_e64 v19, v13, v15, s13
	v_cndmask_b32_e64 v16, v51, v31, s13
	s_delay_alu instid0(VALU_DEP_2) | instskip(NEXT) | instid1(VALU_DEP_2)
	v_add_nc_u32_e32 v17, 1, v19
	v_add_nc_u32_e32 v16, -1, v16
	s_delay_alu instid0(VALU_DEP_2) | instskip(NEXT) | instid1(VALU_DEP_2)
	v_cndmask_b32_e64 v15, v15, v17, s13
	v_min_u32_e32 v16, v17, v16
	v_cndmask_b32_e64 v13, v17, v13, s13
	s_delay_alu instid0(VALU_DEP_3) | instskip(NEXT) | instid1(VALU_DEP_3)
	v_cmp_lt_u32_e64 s14, v15, v31
	v_add_nc_u32_e32 v16, v10, v16
	s_delay_alu instid0(VALU_DEP_3) | instskip(SKIP_4) | instid1(VALU_DEP_2)
	v_cmp_ge_u32_e64 s16, v13, v51
	ds_load_u8 v16, v16
	s_wait_dscnt 0x0
	v_cndmask_b32_e64 v55, v16, v53, s13
	v_cndmask_b32_e64 v64, v54, v16, s13
	v_and_b32_e32 v16, v55, v4
	s_delay_alu instid0(VALU_DEP_2) | instskip(NEXT) | instid1(VALU_DEP_2)
	v_and_b32_e32 v20, v64, v4
	v_and_b32_e32 v16, 0xff, v16
	s_delay_alu instid0(VALU_DEP_2) | instskip(NEXT) | instid1(VALU_DEP_1)
	v_and_b32_e32 v20, 0xff, v20
	v_cmp_le_u16_e64 s15, v20, v16
	s_and_b32 s14, s14, s15
	s_wait_alu 0xfffe
	s_or_b32 s14, s16, s14
	s_wait_alu 0xfffe
	v_cndmask_b32_e64 v20, v13, v15, s14
	v_cndmask_b32_e64 v16, v51, v31, s14
	;; [unrolled: 1-line block ×3, first 2 shown]
	s_delay_alu instid0(VALU_DEP_3) | instskip(NEXT) | instid1(VALU_DEP_3)
	v_add_nc_u32_e32 v17, 1, v20
	v_add_nc_u32_e32 v16, -1, v16
	v_lshl_add_u32 v23, v20, 3, v9
	s_delay_alu instid0(VALU_DEP_3) | instskip(NEXT) | instid1(VALU_DEP_3)
	v_cndmask_b32_e64 v15, v15, v17, s14
	v_min_u32_e32 v16, v17, v16
	v_cndmask_b32_e64 v13, v17, v13, s14
	s_delay_alu instid0(VALU_DEP_3) | instskip(NEXT) | instid1(VALU_DEP_3)
	v_cmp_lt_u32_e64 s15, v15, v31
	v_add_nc_u32_e32 v16, v10, v16
	s_delay_alu instid0(VALU_DEP_3) | instskip(SKIP_4) | instid1(VALU_DEP_2)
	v_cmp_ge_u32_e64 s17, v13, v51
	ds_load_u8 v16, v16
	s_wait_dscnt 0x0
	v_cndmask_b32_e64 v65, v16, v55, s14
	v_cndmask_b32_e64 v66, v64, v16, s14
	v_and_b32_e32 v16, v65, v4
	s_delay_alu instid0(VALU_DEP_2) | instskip(NEXT) | instid1(VALU_DEP_2)
	v_and_b32_e32 v21, v66, v4
	v_and_b32_e32 v16, 0xff, v16
	s_delay_alu instid0(VALU_DEP_2) | instskip(NEXT) | instid1(VALU_DEP_1)
	v_and_b32_e32 v21, 0xff, v21
	v_cmp_le_u16_e64 s16, v21, v16
	s_and_b32 s15, s15, s16
	s_wait_alu 0xfffe
	s_or_b32 s15, s17, s15
	s_wait_alu 0xfffe
	v_cndmask_b32_e64 v21, v13, v15, s15
	v_cndmask_b32_e64 v16, v51, v31, s15
	;; [unrolled: 1-line block ×3, first 2 shown]
	s_delay_alu instid0(VALU_DEP_3) | instskip(NEXT) | instid1(VALU_DEP_3)
	v_add_nc_u32_e32 v17, 1, v21
	v_add_nc_u32_e32 v16, -1, v16
	s_delay_alu instid0(VALU_DEP_2) | instskip(NEXT) | instid1(VALU_DEP_2)
	v_cndmask_b32_e64 v22, v15, v17, s15
	v_min_u32_e32 v16, v17, v16
	v_cndmask_b32_e64 v13, v17, v13, s15
	s_delay_alu instid0(VALU_DEP_3) | instskip(NEXT) | instid1(VALU_DEP_3)
	v_cmp_lt_u32_e64 s16, v22, v31
	v_add_nc_u32_e32 v16, v10, v16
	s_delay_alu instid0(VALU_DEP_3)
	v_cmp_ge_u32_e64 s18, v13, v51
	v_lshl_add_u32 v31, v21, 3, v9
	ds_load_u8 v16, v16
	s_wait_dscnt 0x0
	v_cndmask_b32_e64 v67, v16, v65, s15
	v_cndmask_b32_e64 v68, v66, v16, s15
	s_delay_alu instid0(VALU_DEP_2) | instskip(NEXT) | instid1(VALU_DEP_2)
	v_and_b32_e32 v16, v67, v4
	v_and_b32_e32 v4, v68, v4
	s_delay_alu instid0(VALU_DEP_2) | instskip(NEXT) | instid1(VALU_DEP_2)
	v_and_b32_e32 v15, 0xff, v16
	v_and_b32_e32 v4, 0xff, v4
	v_lshl_add_u32 v16, v14, 3, v9
	s_delay_alu instid0(VALU_DEP_2)
	v_cmp_le_u16_e64 s17, v4, v15
	ds_load_b64 v[4:5], v5 offset:2048
	ds_load_b64 v[14:15], v12 offset:2048
	;; [unrolled: 1-line block ×3, first 2 shown]
	s_and_b32 s16, s16, s17
	s_wait_alu 0xfffe
	s_or_b32 s16, s18, s16
	s_wait_alu 0xfffe
	v_cndmask_b32_e64 v12, v13, v22, s16
	v_lshl_add_u32 v13, v18, 3, v9
	v_lshl_add_u32 v22, v19, 3, v9
	s_delay_alu instid0(VALU_DEP_3)
	v_lshl_add_u32 v48, v12, 3, v9
	ds_load_b64 v[18:19], v13 offset:2048
	ds_load_b64 v[20:21], v22 offset:2048
	;; [unrolled: 1-line block ×5, first 2 shown]
	v_cndmask_b32_e64 v48, v37, v38, s10
	v_cndmask_b32_e64 v38, v53, v54, s13
	;; [unrolled: 1-line block ×3, first 2 shown]
.LBB1650_114:
	s_wait_alu 0xfffe
	s_or_b32 exec_lo, exec_lo, s20
	s_delay_alu instid0(VALU_DEP_2) | instskip(NEXT) | instid1(VALU_DEP_2)
	v_perm_b32 v31, v38, v36, 0xc0c0004
	v_perm_b32 v51, v39, v37, 0xc0c0004
	;; [unrolled: 1-line block ×4, first 2 shown]
	; wave barrier
	s_delay_alu instid0(VALU_DEP_3) | instskip(SKIP_1) | instid1(VALU_DEP_2)
	v_lshl_or_b32 v52, v51, 16, v31
	s_mov_b32 s11, exec_lo
	v_lshl_or_b32 v51, v54, 16, v53
	s_wait_dscnt 0x6
	ds_store_2addr_b64 v29, v[4:5], v[14:15] offset1:1
	s_wait_dscnt 0x5
	ds_store_2addr_b64 v27, v[16:17], v[18:19] offset1:1
	ds_store_b64 v30, v[51:52]
	s_wait_dscnt 0x5
	ds_store_2addr_b64 v26, v[20:21], v[24:25] offset1:1
	s_wait_dscnt 0x4
	ds_store_2addr_b64 v11, v[12:13], v[22:23] offset1:1
	; wave barrier
	scratch_load_u8 v29, off, s32 offset:3
	v_and_b32_e32 v27, 0x80, v34
	s_delay_alu instid0(VALU_DEP_1) | instskip(NEXT) | instid1(VALU_DEP_1)
	v_or_b32_e32 v11, 64, v27
	v_min_u32_e32 v26, v28, v11
	s_delay_alu instid0(VALU_DEP_1) | instskip(SKIP_1) | instid1(VALU_DEP_2)
	v_add_nc_u32_e32 v11, 64, v26
	v_sub_nc_u32_e32 v30, v26, v27
	v_min_u32_e32 v11, v28, v11
	v_min_u32_e32 v28, v28, v32
	s_delay_alu instid0(VALU_DEP_2) | instskip(NEXT) | instid1(VALU_DEP_2)
	v_sub_nc_u32_e32 v31, v11, v26
	v_min_u32_e32 v30, v28, v30
	s_wait_loadcnt 0x0
	v_and_b32_e32 v34, 1, v29
	s_delay_alu instid0(VALU_DEP_3) | instskip(NEXT) | instid1(VALU_DEP_2)
	v_sub_nc_u32_e64 v29, v28, v31 clamp
	v_cmp_eq_u32_e64 s7, 1, v34
	scratch_store_b8 off, v34, s32 offset:2
	v_cmpx_lt_u32_e64 v29, v30
	s_cbranch_execz .LBB1650_118
; %bb.115:
	scratch_load_u8 v31, off, s32 offset:2
	v_add_nc_u32_e32 v34, v10, v27
	v_add3_u32 v51, v10, v26, v28
	s_mov_b32 s12, 0
.LBB1650_116:                           ; =>This Inner Loop Header: Depth=1
	v_add_nc_u32_e32 v52, v30, v29
	s_delay_alu instid0(VALU_DEP_1) | instskip(NEXT) | instid1(VALU_DEP_1)
	v_lshrrev_b32_e32 v52, 1, v52
	v_xad_u32 v53, v52, -1, v51
	v_add_nc_u32_e32 v54, v34, v52
	v_add_nc_u32_e32 v55, 1, v52
	ds_load_u8 v53, v53
	ds_load_u8 v54, v54
	s_wait_loadcnt_dscnt 0x1
	v_and_b32_e32 v53, v53, v31
	s_wait_dscnt 0x0
	v_and_b32_e32 v54, v54, v31
	s_delay_alu instid0(VALU_DEP_2) | instskip(NEXT) | instid1(VALU_DEP_2)
	v_and_b32_e32 v53, 1, v53
	v_and_b32_e32 v54, 1, v54
	s_delay_alu instid0(VALU_DEP_1) | instskip(SKIP_1) | instid1(VALU_DEP_1)
	v_cmp_gt_u16_e64 s10, v54, v53
	s_wait_alu 0xf1ff
	v_cndmask_b32_e64 v30, v30, v52, s10
	v_cndmask_b32_e64 v29, v55, v29, s10
	s_delay_alu instid0(VALU_DEP_1)
	v_cmp_ge_u32_e64 s10, v29, v30
	s_wait_alu 0xfffe
	s_or_b32 s12, s10, s12
	s_wait_alu 0xfffe
	s_and_not1_b32 exec_lo, exec_lo, s12
	s_cbranch_execnz .LBB1650_116
; %bb.117:
	s_or_b32 exec_lo, exec_lo, s12
.LBB1650_118:
	s_wait_alu 0xfffe
	s_or_b32 exec_lo, exec_lo, s11
	v_cndmask_b32_e64 v30, 0, 1, s7
	v_add_nc_u32_e32 v28, v26, v28
	scratch_store_b8 off, v30, s32 offset:1
	scratch_load_u8 v31, off, s32 offset:1
	v_add_nc_u32_e32 v30, v29, v27
	v_sub_nc_u32_e32 v29, v28, v29
	s_delay_alu instid0(VALU_DEP_2) | instskip(NEXT) | instid1(VALU_DEP_2)
	v_cmp_le_u32_e64 s7, v30, v26
	v_cmp_le_u32_e64 s10, v29, v11
	s_or_b32 s7, s7, s10
	s_wait_loadcnt 0x0
	v_and_b32_e32 v27, 1, v31
	scratch_store_b8 off, v27, s32
	s_wait_alu 0xfffe
	s_and_saveexec_b32 s20, s7
	s_cbranch_execz .LBB1650_124
; %bb.119:
	v_cmp_ge_u32_e64 s7, v30, v26
	s_mov_b32 s11, exec_lo
                                        ; implicit-def: $vgpr27
	v_cmpx_lt_u32_e64 v30, v26
; %bb.120:
	v_add_nc_u32_e32 v4, v10, v30
	ds_load_u8 v27, v4
; %bb.121:
	s_wait_alu 0xfffe
	s_or_b32 exec_lo, exec_lo, s11
	v_cmp_ge_u32_e64 s10, v29, v11
	s_mov_b32 s12, exec_lo
                                        ; implicit-def: $vgpr28
	v_cmpx_lt_u32_e64 v29, v11
; %bb.122:
	v_add_nc_u32_e32 v4, v10, v29
	ds_load_u8 v28, v4
; %bb.123:
	s_wait_alu 0xfffe
	s_or_b32 exec_lo, exec_lo, s12
	scratch_load_u8 v4, off, s32
	v_cndmask_b32_e64 v13, 0, 1, s10
	s_or_b32 s7, s7, s10
	s_wait_loadcnt_dscnt 0x0
	v_and_b32_e32 v5, v4, v28
	v_and_b32_e32 v12, v4, v27
	s_delay_alu instid0(VALU_DEP_2) | instskip(NEXT) | instid1(VALU_DEP_2)
	v_and_b32_e32 v5, 1, v5
	v_and_b32_e32 v12, 1, v12
	s_delay_alu instid0(VALU_DEP_1) | instskip(SKIP_1) | instid1(VALU_DEP_1)
	v_cmp_le_u16_e64 s11, v12, v5
	s_wait_alu 0xf1ff
	v_cndmask_b32_e64 v5, 0, 1, s11
	s_wait_alu 0xfffe
	s_delay_alu instid0(VALU_DEP_1) | instskip(NEXT) | instid1(VALU_DEP_1)
	v_cndmask_b32_e64 v5, v5, v13, s7
	v_and_b32_e32 v5, 1, v5
	s_delay_alu instid0(VALU_DEP_1) | instskip(SKIP_1) | instid1(VALU_DEP_1)
	v_cmp_eq_u32_e64 s7, 1, v5
	s_wait_alu 0xf1ff
	v_cndmask_b32_e64 v5, v29, v30, s7
	v_cndmask_b32_e64 v12, v11, v26, s7
	;; [unrolled: 1-line block ×3, first 2 shown]
	s_delay_alu instid0(VALU_DEP_3) | instskip(NEXT) | instid1(VALU_DEP_3)
	v_add_nc_u32_e32 v13, 1, v5
	v_add_nc_u32_e32 v12, -1, v12
	v_lshl_add_u32 v5, v5, 3, v9
	s_delay_alu instid0(VALU_DEP_3) | instskip(NEXT) | instid1(VALU_DEP_3)
	v_cndmask_b32_e64 v15, v30, v13, s7
	v_min_u32_e32 v12, v13, v12
	v_cndmask_b32_e64 v13, v13, v29, s7
	s_delay_alu instid0(VALU_DEP_3) | instskip(NEXT) | instid1(VALU_DEP_3)
	v_cmp_lt_u32_e64 s10, v15, v26
	v_add_nc_u32_e32 v12, v10, v12
	s_delay_alu instid0(VALU_DEP_3) | instskip(SKIP_4) | instid1(VALU_DEP_2)
	v_cmp_ge_u32_e64 s12, v13, v11
	ds_load_u8 v12, v12
	s_wait_dscnt 0x0
	v_cndmask_b32_e64 v31, v12, v28, s7
	v_cndmask_b32_e64 v34, v27, v12, s7
	v_and_b32_e32 v12, v31, v4
	s_delay_alu instid0(VALU_DEP_2) | instskip(NEXT) | instid1(VALU_DEP_2)
	v_and_b32_e32 v14, v34, v4
	v_and_b32_e32 v12, 0xff, v12
	s_delay_alu instid0(VALU_DEP_2) | instskip(NEXT) | instid1(VALU_DEP_1)
	v_and_b32_e32 v14, 0xff, v14
	v_cmp_le_u16_e64 s11, v14, v12
	s_and_b32 s10, s10, s11
	s_wait_alu 0xfffe
	s_or_b32 s10, s12, s10
	s_wait_alu 0xfffe
	v_cndmask_b32_e64 v12, v13, v15, s10
	v_cndmask_b32_e64 v14, v11, v26, s10
	;; [unrolled: 1-line block ×3, first 2 shown]
	s_delay_alu instid0(VALU_DEP_3) | instskip(NEXT) | instid1(VALU_DEP_3)
	v_add_nc_u32_e32 v16, 1, v12
	v_add_nc_u32_e32 v14, -1, v14
	v_lshl_add_u32 v12, v12, 3, v9
	s_delay_alu instid0(VALU_DEP_3) | instskip(NEXT) | instid1(VALU_DEP_3)
	v_cndmask_b32_e64 v15, v15, v16, s10
	v_min_u32_e32 v14, v16, v14
	v_cndmask_b32_e64 v13, v16, v13, s10
	s_delay_alu instid0(VALU_DEP_3) | instskip(NEXT) | instid1(VALU_DEP_3)
	v_cmp_lt_u32_e64 s11, v15, v26
	v_add_nc_u32_e32 v14, v10, v14
	s_delay_alu instid0(VALU_DEP_3) | instskip(SKIP_4) | instid1(VALU_DEP_2)
	v_cmp_ge_u32_e64 s13, v13, v11
	ds_load_u8 v14, v14
	s_wait_dscnt 0x0
	v_cndmask_b32_e64 v29, v14, v31, s10
	v_cndmask_b32_e64 v30, v34, v14, s10
	v_and_b32_e32 v14, v29, v4
	s_delay_alu instid0(VALU_DEP_2) | instskip(NEXT) | instid1(VALU_DEP_2)
	v_and_b32_e32 v17, v30, v4
	v_and_b32_e32 v14, 0xff, v14
	s_delay_alu instid0(VALU_DEP_2) | instskip(NEXT) | instid1(VALU_DEP_1)
	v_and_b32_e32 v17, 0xff, v17
	v_cmp_le_u16_e64 s12, v17, v14
	s_and_b32 s11, s11, s12
	s_wait_alu 0xfffe
	s_or_b32 s11, s13, s11
	s_wait_alu 0xfffe
	v_cndmask_b32_e64 v14, v13, v15, s11
	v_cndmask_b32_e64 v16, v11, v26, s11
	;; [unrolled: 1-line block ×3, first 2 shown]
	s_delay_alu instid0(VALU_DEP_3) | instskip(NEXT) | instid1(VALU_DEP_3)
	v_add_nc_u32_e32 v17, 1, v14
	v_add_nc_u32_e32 v16, -1, v16
	s_delay_alu instid0(VALU_DEP_2) | instskip(NEXT) | instid1(VALU_DEP_2)
	v_cndmask_b32_e64 v15, v15, v17, s11
	v_min_u32_e32 v16, v17, v16
	v_cndmask_b32_e64 v13, v17, v13, s11
	s_delay_alu instid0(VALU_DEP_3) | instskip(NEXT) | instid1(VALU_DEP_3)
	v_cmp_lt_u32_e64 s12, v15, v26
	v_add_nc_u32_e32 v16, v10, v16
	s_delay_alu instid0(VALU_DEP_3) | instskip(SKIP_4) | instid1(VALU_DEP_2)
	v_cmp_ge_u32_e64 s14, v13, v11
	ds_load_u8 v16, v16
	s_wait_dscnt 0x0
	v_cndmask_b32_e64 v36, v16, v29, s11
	v_cndmask_b32_e64 v37, v30, v16, s11
	v_and_b32_e32 v16, v36, v4
	s_delay_alu instid0(VALU_DEP_2) | instskip(NEXT) | instid1(VALU_DEP_2)
	v_and_b32_e32 v18, v37, v4
	v_and_b32_e32 v16, 0xff, v16
	s_delay_alu instid0(VALU_DEP_2) | instskip(NEXT) | instid1(VALU_DEP_1)
	v_and_b32_e32 v18, 0xff, v18
	v_cmp_le_u16_e64 s13, v18, v16
	s_and_b32 s12, s12, s13
	s_wait_alu 0xfffe
	s_or_b32 s12, s14, s12
	s_wait_alu 0xfffe
	v_cndmask_b32_e64 v18, v13, v15, s12
	v_cndmask_b32_e64 v16, v11, v26, s12
	;; [unrolled: 1-line block ×3, first 2 shown]
	s_delay_alu instid0(VALU_DEP_3) | instskip(NEXT) | instid1(VALU_DEP_3)
	v_add_nc_u32_e32 v17, 1, v18
	v_add_nc_u32_e32 v16, -1, v16
	s_delay_alu instid0(VALU_DEP_2) | instskip(NEXT) | instid1(VALU_DEP_2)
	v_cndmask_b32_e64 v15, v15, v17, s12
	v_min_u32_e32 v16, v17, v16
	v_cndmask_b32_e64 v13, v17, v13, s12
	s_delay_alu instid0(VALU_DEP_3) | instskip(NEXT) | instid1(VALU_DEP_3)
	v_cmp_lt_u32_e64 s13, v15, v26
	v_add_nc_u32_e32 v16, v10, v16
	s_delay_alu instid0(VALU_DEP_3) | instskip(SKIP_4) | instid1(VALU_DEP_2)
	v_cmp_ge_u32_e64 s15, v13, v11
	ds_load_u8 v16, v16
	s_wait_dscnt 0x0
	v_cndmask_b32_e64 v38, v16, v36, s12
	v_cndmask_b32_e64 v39, v37, v16, s12
	v_and_b32_e32 v16, v38, v4
	s_delay_alu instid0(VALU_DEP_2) | instskip(NEXT) | instid1(VALU_DEP_2)
	v_and_b32_e32 v19, v39, v4
	v_and_b32_e32 v16, 0xff, v16
	s_delay_alu instid0(VALU_DEP_2) | instskip(NEXT) | instid1(VALU_DEP_1)
	v_and_b32_e32 v19, 0xff, v19
	v_cmp_le_u16_e64 s14, v19, v16
	s_and_b32 s13, s13, s14
	s_wait_alu 0xfffe
	s_or_b32 s13, s15, s13
	s_wait_alu 0xfffe
	v_cndmask_b32_e64 v19, v13, v15, s13
	v_cndmask_b32_e64 v16, v11, v26, s13
	s_delay_alu instid0(VALU_DEP_2) | instskip(NEXT) | instid1(VALU_DEP_2)
	v_add_nc_u32_e32 v17, 1, v19
	v_add_nc_u32_e32 v16, -1, v16
	s_delay_alu instid0(VALU_DEP_2) | instskip(NEXT) | instid1(VALU_DEP_2)
	v_cndmask_b32_e64 v15, v15, v17, s13
	v_min_u32_e32 v16, v17, v16
	v_cndmask_b32_e64 v13, v17, v13, s13
	s_delay_alu instid0(VALU_DEP_3) | instskip(NEXT) | instid1(VALU_DEP_3)
	v_cmp_lt_u32_e64 s14, v15, v26
	v_add_nc_u32_e32 v16, v10, v16
	s_delay_alu instid0(VALU_DEP_3)
	v_cmp_ge_u32_e64 s16, v13, v11
	ds_load_u8 v16, v16
	s_wait_dscnt 0x0
	v_cndmask_b32_e64 v51, v16, v38, s13
	v_cndmask_b32_e64 v52, v39, v16, s13
	;; [unrolled: 1-line block ×3, first 2 shown]
	s_delay_alu instid0(VALU_DEP_3) | instskip(NEXT) | instid1(VALU_DEP_3)
	v_and_b32_e32 v16, v51, v4
	v_and_b32_e32 v20, v52, v4
	s_delay_alu instid0(VALU_DEP_2) | instskip(NEXT) | instid1(VALU_DEP_2)
	v_and_b32_e32 v16, 0xff, v16
	v_and_b32_e32 v20, 0xff, v20
	s_delay_alu instid0(VALU_DEP_1)
	v_cmp_le_u16_e64 s15, v20, v16
	s_and_b32 s14, s14, s15
	s_wait_alu 0xfffe
	s_or_b32 s14, s16, s14
	s_wait_alu 0xfffe
	v_cndmask_b32_e64 v20, v13, v15, s14
	v_cndmask_b32_e64 v16, v11, v26, s14
	;; [unrolled: 1-line block ×3, first 2 shown]
	s_delay_alu instid0(VALU_DEP_3) | instskip(NEXT) | instid1(VALU_DEP_3)
	v_add_nc_u32_e32 v17, 1, v20
	v_add_nc_u32_e32 v16, -1, v16
	s_delay_alu instid0(VALU_DEP_2) | instskip(NEXT) | instid1(VALU_DEP_2)
	v_cndmask_b32_e64 v15, v15, v17, s14
	v_min_u32_e32 v16, v17, v16
	v_cndmask_b32_e64 v13, v17, v13, s14
	s_delay_alu instid0(VALU_DEP_3) | instskip(NEXT) | instid1(VALU_DEP_3)
	v_cmp_lt_u32_e64 s15, v15, v26
	v_add_nc_u32_e32 v16, v10, v16
	s_delay_alu instid0(VALU_DEP_3) | instskip(SKIP_4) | instid1(VALU_DEP_2)
	v_cmp_ge_u32_e64 s17, v13, v11
	ds_load_u8 v16, v16
	s_wait_dscnt 0x0
	v_cndmask_b32_e64 v53, v16, v51, s14
	v_cndmask_b32_e64 v54, v52, v16, s14
	v_and_b32_e32 v16, v53, v4
	s_delay_alu instid0(VALU_DEP_2) | instskip(NEXT) | instid1(VALU_DEP_2)
	v_and_b32_e32 v21, v54, v4
	v_and_b32_e32 v16, 0xff, v16
	s_delay_alu instid0(VALU_DEP_2) | instskip(NEXT) | instid1(VALU_DEP_1)
	v_and_b32_e32 v21, 0xff, v21
	v_cmp_le_u16_e64 s16, v21, v16
	s_and_b32 s15, s15, s16
	s_wait_alu 0xfffe
	s_or_b32 s15, s17, s15
	s_wait_alu 0xfffe
	v_cndmask_b32_e64 v21, v13, v15, s15
	v_cndmask_b32_e64 v16, v11, v26, s15
	;; [unrolled: 1-line block ×3, first 2 shown]
	s_delay_alu instid0(VALU_DEP_3) | instskip(NEXT) | instid1(VALU_DEP_3)
	v_add_nc_u32_e32 v17, 1, v21
	v_add_nc_u32_e32 v16, -1, v16
	v_lshl_add_u32 v23, v21, 3, v9
	s_delay_alu instid0(VALU_DEP_3) | instskip(NEXT) | instid1(VALU_DEP_3)
	v_cndmask_b32_e64 v22, v15, v17, s15
	v_min_u32_e32 v16, v17, v16
	v_cndmask_b32_e64 v13, v17, v13, s15
	s_delay_alu instid0(VALU_DEP_3) | instskip(NEXT) | instid1(VALU_DEP_3)
	v_cmp_lt_u32_e64 s16, v22, v26
	v_add_nc_u32_e32 v10, v10, v16
	s_delay_alu instid0(VALU_DEP_3) | instskip(SKIP_4) | instid1(VALU_DEP_2)
	v_cmp_ge_u32_e64 s18, v13, v11
	ds_load_u8 v10, v10
	s_wait_dscnt 0x0
	v_cndmask_b32_e64 v55, v10, v53, s15
	v_cndmask_b32_e64 v10, v54, v10, s15
	v_and_b32_e32 v16, v55, v4
	s_delay_alu instid0(VALU_DEP_2) | instskip(NEXT) | instid1(VALU_DEP_2)
	v_and_b32_e32 v4, v10, v4
	v_and_b32_e32 v15, 0xff, v16
	s_delay_alu instid0(VALU_DEP_2) | instskip(SKIP_1) | instid1(VALU_DEP_2)
	v_and_b32_e32 v4, 0xff, v4
	v_lshl_add_u32 v16, v14, 3, v9
	v_cmp_le_u16_e64 s17, v4, v15
	ds_load_b64 v[4:5], v5 offset:2048
	ds_load_b64 v[14:15], v12 offset:2048
	v_lshl_add_u32 v12, v18, 3, v9
	ds_load_b64 v[16:17], v16 offset:2048
	s_and_b32 s16, s16, s17
	s_wait_alu 0xfffe
	s_or_b32 s16, s18, s16
	s_wait_alu 0xfffe
	v_cndmask_b32_e64 v11, v13, v22, s16
	v_lshl_add_u32 v13, v19, 3, v9
	v_lshl_add_u32 v22, v20, 3, v9
	v_cndmask_b32_e64 v37, v55, v10, s16
	s_delay_alu instid0(VALU_DEP_4)
	v_lshl_add_u32 v9, v11, 3, v9
	ds_load_b64 v[18:19], v12 offset:2048
	ds_load_b64 v[20:21], v13 offset:2048
	;; [unrolled: 1-line block ×5, first 2 shown]
.LBB1650_124:
	s_wait_alu 0xfffe
	s_or_b32 exec_lo, exec_lo, s20
	; wave barrier
	s_wait_storecnt_dscnt 0x0
	s_barrier_signal -1
	s_barrier_wait -1
	global_inv scope:SCOPE_SE
                                        ; implicit-def: $vgpr34
                                        ; implicit-def: $vgpr26
                                        ; implicit-def: $vgpr27
                                        ; implicit-def: $vgpr9
.LBB1650_125:
	s_wait_alu 0xfffe
	s_and_not1_saveexec_b32 s17, s19
	s_cbranch_execz .LBB1650_225
; %bb.126:
	s_load_b64 s[10:11], s[8:9], 0x0
	s_and_b32 s7, ttmp7, 0xffff
	s_mov_b32 s13, 0
	s_wait_kmcnt 0x0
	s_wait_alu 0xfffe
	s_cmp_lt_u32 s7, s11
	s_cselect_b32 s12, 14, 20
	s_cmp_lt_u32 ttmp9, s10
	s_wait_alu 0xfffe
	s_add_nc_u64 s[14:15], s[8:9], s[12:13]
	s_cselect_b32 s12, 12, 18
	s_load_u16 s7, s[14:15], 0x0
	s_add_nc_u64 s[8:9], s[8:9], s[12:13]
	s_load_u16 s8, s[8:9], 0x0
	s_wait_kmcnt 0x0
	v_mad_u32_u24 v10, v27, s7, v26
	s_delay_alu instid0(VALU_DEP_1) | instskip(SKIP_1) | instid1(VALU_DEP_1)
	v_mul_lo_u32 v10, v10, s8
	s_mov_b32 s8, exec_lo
	v_add_lshl_u32 v51, v10, v9, 3
	s_delay_alu instid0(VALU_DEP_1)
	v_cmpx_gt_u32_e32 0x800, v51
	s_cbranch_execz .LBB1650_184
; %bb.127:
	s_wait_loadcnt_dscnt 0x0
	v_dual_mov_b32 v27, v15 :: v_dual_and_b32 v10, 0xff, v35
	v_dual_mov_b32 v26, v14 :: v_dual_and_b32 v9, 0xff, v48
	s_mov_b32 s9, exec_lo
	s_delay_alu instid0(VALU_DEP_1)
	v_cmpx_gt_u16_e64 v10, v9
; %bb.128:
	v_dual_mov_b32 v35, 0 :: v_dual_mov_b32 v48, 1
	v_dual_mov_b32 v27, v5 :: v_dual_mov_b32 v26, v4
	;; [unrolled: 1-line block ×3, first 2 shown]
; %bb.129:
	s_wait_alu 0xfffe
	s_or_b32 exec_lo, exec_lo, s9
	v_dual_mov_b32 v29, v19 :: v_dual_and_b32 v10, 0xff, v49
	v_dual_mov_b32 v28, v18 :: v_dual_and_b32 v9, 0xff, v50
	s_mov_b32 s9, exec_lo
	s_delay_alu instid0(VALU_DEP_1)
	v_cmpx_gt_u16_e64 v10, v9
; %bb.130:
	v_dual_mov_b32 v49, 0 :: v_dual_mov_b32 v50, 1
	v_dual_mov_b32 v29, v17 :: v_dual_mov_b32 v28, v16
	;; [unrolled: 1-line block ×3, first 2 shown]
; %bb.131:
	s_wait_alu 0xfffe
	s_or_b32 exec_lo, exec_lo, s9
	v_dual_mov_b32 v14, v24 :: v_dual_and_b32 v9, 0xff, v36
	v_dual_mov_b32 v15, v25 :: v_dual_and_b32 v10, 0xff, v38
	s_mov_b32 s9, exec_lo
	s_delay_alu instid0(VALU_DEP_1)
	v_cmpx_gt_u16_e64 v10, v9
; %bb.132:
	v_mov_b32_e32 v14, v20
	v_dual_mov_b32 v36, 1 :: v_dual_mov_b32 v15, v21
	v_mov_b32_e32 v20, v24
	v_dual_mov_b32 v38, 0 :: v_dual_mov_b32 v21, v25
; %bb.133:
	s_wait_alu 0xfffe
	s_or_b32 exec_lo, exec_lo, s9
	v_and_b32_e32 v9, 0xff, v37
	v_and_b32_e32 v10, 0xff, v39
	s_delay_alu instid0(VALU_DEP_1)
	v_cmp_gt_u16_e64 s7, v10, v9
	v_dual_mov_b32 v9, v22 :: v_dual_mov_b32 v10, v23
	s_and_saveexec_b32 s9, s7
; %bb.134:
	v_mov_b32_e32 v9, v12
	v_dual_mov_b32 v37, 1 :: v_dual_mov_b32 v10, v13
	v_dual_mov_b32 v39, 0 :: v_dual_mov_b32 v12, v22
	v_mov_b32_e32 v13, v23
; %bb.135:
	s_wait_alu 0xfffe
	s_or_b32 exec_lo, exec_lo, s9
	v_and_b32_e32 v11, 0xff, v49
	v_dual_mov_b32 v23, v17 :: v_dual_and_b32 v18, 0xff, v48
	v_mov_b32_e32 v22, v16
	s_delay_alu instid0(VALU_DEP_2)
	v_cmp_gt_u16_e64 s7, v18, v11
	s_and_saveexec_b32 s9, s7
	s_wait_alu 0xfffe
	s_xor_b32 s7, exec_lo, s9
; %bb.136:
	v_dual_mov_b32 v48, 0 :: v_dual_mov_b32 v49, 1
	v_dual_mov_b32 v22, v26 :: v_dual_mov_b32 v23, v27
	;; [unrolled: 1-line block ×3, first 2 shown]
; %bb.137:
	s_wait_alu 0xfffe
	s_or_b32 exec_lo, exec_lo, s7
	v_dual_mov_b32 v25, v21 :: v_dual_and_b32 v16, 0xff, v50
	v_dual_mov_b32 v24, v20 :: v_dual_and_b32 v11, 0xff, v38
	s_mov_b32 s9, exec_lo
	s_delay_alu instid0(VALU_DEP_1)
	v_cmpx_gt_u16_e64 v16, v11
; %bb.138:
	v_mov_b32_e32 v24, v28
	v_dual_mov_b32 v38, 1 :: v_dual_mov_b32 v25, v29
	v_dual_mov_b32 v50, 0 :: v_dual_mov_b32 v29, v21
	v_mov_b32_e32 v28, v20
; %bb.139:
	s_wait_alu 0xfffe
	s_or_b32 exec_lo, exec_lo, s9
	v_and_b32_e32 v11, 0xff, v39
	v_and_b32_e32 v16, 0xff, v36
	s_delay_alu instid0(VALU_DEP_1)
	v_cmp_gt_u16_e64 s7, v16, v11
	v_dual_mov_b32 v17, v13 :: v_dual_mov_b32 v16, v12
	s_and_saveexec_b32 s9, s7
; %bb.140:
	v_dual_mov_b32 v39, 1 :: v_dual_mov_b32 v36, 0
	v_dual_mov_b32 v17, v15 :: v_dual_mov_b32 v16, v14
	v_dual_mov_b32 v15, v13 :: v_dual_mov_b32 v14, v12
; %bb.141:
	s_wait_alu 0xfffe
	s_or_b32 exec_lo, exec_lo, s9
	v_dual_mov_b32 v31, v27 :: v_dual_and_b32 v12, 0xff, v35
	v_dual_mov_b32 v30, v26 :: v_dual_and_b32 v11, 0xff, v48
	s_mov_b32 s9, exec_lo
	s_delay_alu instid0(VALU_DEP_1)
	v_cmpx_gt_u16_e64 v12, v11
; %bb.142:
	v_dual_mov_b32 v35, 0 :: v_dual_mov_b32 v48, 1
	v_dual_mov_b32 v31, v5 :: v_dual_mov_b32 v30, v4
	v_dual_mov_b32 v4, v26 :: v_dual_mov_b32 v5, v27
; %bb.143:
	s_wait_alu 0xfffe
	s_or_b32 exec_lo, exec_lo, s9
	v_dual_mov_b32 v26, v28 :: v_dual_and_b32 v11, 0xff, v50
	v_dual_mov_b32 v27, v29 :: v_dual_and_b32 v12, 0xff, v49
	s_mov_b32 s9, exec_lo
	s_delay_alu instid0(VALU_DEP_1)
	v_cmpx_gt_u16_e64 v12, v11
	;; [unrolled: 12-line block ×3, first 2 shown]
; %bb.146:
	v_mov_b32_e32 v18, v24
	v_dual_mov_b32 v36, 1 :: v_dual_mov_b32 v19, v25
	v_dual_mov_b32 v38, 0 :: v_dual_mov_b32 v25, v15
	v_mov_b32_e32 v24, v14
; %bb.147:
	s_wait_alu 0xfffe
	s_or_b32 exec_lo, exec_lo, s9
	v_and_b32_e32 v11, 0xff, v37
	v_and_b32_e32 v12, 0xff, v39
	s_delay_alu instid0(VALU_DEP_1)
	v_cmp_gt_u16_e64 s7, v12, v11
	v_dual_mov_b32 v12, v10 :: v_dual_mov_b32 v11, v9
	s_and_saveexec_b32 s9, s7
; %bb.148:
	v_mov_b32_e32 v11, v16
	v_dual_mov_b32 v37, 1 :: v_dual_mov_b32 v12, v17
	v_mov_b32_e32 v17, v10
	v_dual_mov_b32 v39, 0 :: v_dual_mov_b32 v16, v9
; %bb.149:
	s_wait_alu 0xfffe
	s_or_b32 exec_lo, exec_lo, s9
	v_dual_mov_b32 v29, v23 :: v_dual_and_b32 v10, 0xff, v48
	v_dual_mov_b32 v28, v22 :: v_dual_and_b32 v9, 0xff, v49
	s_mov_b32 s9, exec_lo
	s_delay_alu instid0(VALU_DEP_1)
	v_cmpx_gt_u16_e64 v10, v9
; %bb.150:
	v_dual_mov_b32 v48, 0 :: v_dual_mov_b32 v49, 1
	v_dual_mov_b32 v28, v30 :: v_dual_mov_b32 v29, v31
	;; [unrolled: 1-line block ×3, first 2 shown]
; %bb.151:
	s_wait_alu 0xfffe
	s_or_b32 exec_lo, exec_lo, s9
	v_dual_mov_b32 v20, v24 :: v_dual_and_b32 v9, 0xff, v38
	v_dual_mov_b32 v21, v25 :: v_dual_and_b32 v10, 0xff, v50
	s_mov_b32 s9, exec_lo
	s_delay_alu instid0(VALU_DEP_1)
	v_cmpx_gt_u16_e64 v10, v9
; %bb.152:
	v_mov_b32_e32 v20, v26
	v_dual_mov_b32 v38, 1 :: v_dual_mov_b32 v21, v27
	v_dual_mov_b32 v50, 0 :: v_dual_mov_b32 v27, v25
	v_mov_b32_e32 v26, v24
; %bb.153:
	s_wait_alu 0xfffe
	s_or_b32 exec_lo, exec_lo, s9
	v_dual_mov_b32 v14, v16 :: v_dual_and_b32 v9, 0xff, v39
	v_dual_mov_b32 v15, v17 :: v_dual_and_b32 v10, 0xff, v36
	s_mov_b32 s9, exec_lo
	s_delay_alu instid0(VALU_DEP_1)
	v_cmpx_gt_u16_e64 v10, v9
; %bb.154:
	v_dual_mov_b32 v39, 1 :: v_dual_mov_b32 v36, 0
	v_dual_mov_b32 v14, v18 :: v_dual_mov_b32 v15, v19
	v_dual_mov_b32 v19, v17 :: v_dual_mov_b32 v18, v16
; %bb.155:
	s_wait_alu 0xfffe
	s_or_b32 exec_lo, exec_lo, s9
	v_dual_mov_b32 v22, v30 :: v_dual_and_b32 v9, 0xff, v48
	v_dual_mov_b32 v23, v31 :: v_dual_and_b32 v10, 0xff, v35
	s_mov_b32 s9, exec_lo
	s_delay_alu instid0(VALU_DEP_1)
	v_cmpx_gt_u16_e64 v10, v9
; %bb.156:
	v_dual_mov_b32 v35, 0 :: v_dual_mov_b32 v48, 1
	v_dual_mov_b32 v23, v5 :: v_dual_mov_b32 v22, v4
	v_dual_mov_b32 v4, v30 :: v_dual_mov_b32 v5, v31
	;; [unrolled: 12-line block ×3, first 2 shown]
; %bb.159:
	s_wait_alu 0xfffe
	s_or_b32 exec_lo, exec_lo, s9
	v_dual_mov_b32 v16, v18 :: v_dual_and_b32 v9, 0xff, v36
	v_dual_mov_b32 v17, v19 :: v_dual_and_b32 v10, 0xff, v38
	s_mov_b32 s9, exec_lo
	s_delay_alu instid0(VALU_DEP_1)
	v_cmpx_gt_u16_e64 v10, v9
; %bb.160:
	v_mov_b32_e32 v16, v20
	v_dual_mov_b32 v36, 1 :: v_dual_mov_b32 v17, v21
	v_dual_mov_b32 v38, 0 :: v_dual_mov_b32 v21, v19
	v_mov_b32_e32 v20, v18
; %bb.161:
	s_wait_alu 0xfffe
	s_or_b32 exec_lo, exec_lo, s9
	v_and_b32_e32 v9, 0xff, v37
	v_and_b32_e32 v10, 0xff, v39
	s_delay_alu instid0(VALU_DEP_1)
	v_cmp_gt_u16_e64 s7, v10, v9
	v_dual_mov_b32 v9, v11 :: v_dual_mov_b32 v10, v12
	s_and_saveexec_b32 s9, s7
; %bb.162:
	v_mov_b32_e32 v9, v14
	v_dual_mov_b32 v37, 1 :: v_dual_mov_b32 v10, v15
	v_mov_b32_e32 v15, v12
	v_dual_mov_b32 v39, 0 :: v_dual_mov_b32 v14, v11
; %bb.163:
	s_wait_alu 0xfffe
	s_or_b32 exec_lo, exec_lo, s9
	v_dual_mov_b32 v26, v28 :: v_dual_and_b32 v11, 0xff, v49
	v_dual_mov_b32 v27, v29 :: v_dual_and_b32 v12, 0xff, v48
	s_mov_b32 s9, exec_lo
	s_delay_alu instid0(VALU_DEP_1)
	v_cmpx_gt_u16_e64 v12, v11
; %bb.164:
	v_dual_mov_b32 v48, 0 :: v_dual_mov_b32 v49, 1
	v_dual_mov_b32 v27, v23 :: v_dual_mov_b32 v26, v22
	v_dual_mov_b32 v22, v28 :: v_dual_mov_b32 v23, v29
; %bb.165:
	s_wait_alu 0xfffe
	s_or_b32 exec_lo, exec_lo, s9
	v_dual_mov_b32 v25, v21 :: v_dual_and_b32 v12, 0xff, v50
	v_dual_mov_b32 v24, v20 :: v_dual_and_b32 v11, 0xff, v38
	s_mov_b32 s9, exec_lo
	s_delay_alu instid0(VALU_DEP_1)
	v_cmpx_gt_u16_e64 v12, v11
; %bb.166:
	v_mov_b32_e32 v24, v30
	v_dual_mov_b32 v38, 1 :: v_dual_mov_b32 v25, v31
	v_dual_mov_b32 v50, 0 :: v_dual_mov_b32 v31, v21
	v_mov_b32_e32 v30, v20
; %bb.167:
	s_wait_alu 0xfffe
	s_or_b32 exec_lo, exec_lo, s9
	v_and_b32_e32 v11, 0xff, v39
	v_and_b32_e32 v12, 0xff, v36
	s_delay_alu instid0(VALU_DEP_1)
	v_cmp_gt_u16_e64 s7, v12, v11
	v_dual_mov_b32 v12, v14 :: v_dual_mov_b32 v13, v15
	s_and_saveexec_b32 s9, s7
; %bb.168:
	v_dual_mov_b32 v39, 1 :: v_dual_mov_b32 v36, 0
	v_dual_mov_b32 v12, v16 :: v_dual_mov_b32 v13, v17
	v_dual_mov_b32 v17, v15 :: v_dual_mov_b32 v16, v14
; %bb.169:
	s_wait_alu 0xfffe
	s_or_b32 exec_lo, exec_lo, s9
	v_and_b32_e32 v11, 0xff, v48
	v_and_b32_e32 v14, 0xff, v35
	s_delay_alu instid0(VALU_DEP_1)
	v_cmp_gt_u16_e64 s7, v14, v11
	v_dual_mov_b32 v14, v22 :: v_dual_mov_b32 v15, v23
	s_and_saveexec_b32 s9, s7
; %bb.170:
	v_dual_mov_b32 v35, 0 :: v_dual_mov_b32 v48, 1
	v_dual_mov_b32 v15, v5 :: v_dual_mov_b32 v14, v4
	v_dual_mov_b32 v4, v22 :: v_dual_mov_b32 v5, v23
	;; [unrolled: 13-line block ×3, first 2 shown]
; %bb.173:
	s_wait_alu 0xfffe
	s_or_b32 exec_lo, exec_lo, s9
	v_dual_mov_b32 v29, v17 :: v_dual_and_b32 v20, 0xff, v38
	v_dual_mov_b32 v28, v16 :: v_dual_and_b32 v11, 0xff, v36
	s_mov_b32 s9, exec_lo
	s_delay_alu instid0(VALU_DEP_1)
	v_cmpx_gt_u16_e64 v20, v11
; %bb.174:
	v_dual_mov_b32 v36, 1 :: v_dual_mov_b32 v29, v25
	v_mov_b32_e32 v38, 0
	v_dual_mov_b32 v28, v24 :: v_dual_mov_b32 v25, v17
	v_mov_b32_e32 v24, v16
; %bb.175:
	s_wait_alu 0xfffe
	s_or_b32 exec_lo, exec_lo, s9
	v_dual_mov_b32 v23, v10 :: v_dual_and_b32 v16, 0xff, v39
	v_dual_mov_b32 v22, v9 :: v_dual_and_b32 v11, 0xff, v37
	s_mov_b32 s9, exec_lo
	s_delay_alu instid0(VALU_DEP_1)
	v_cmpx_gt_u16_e64 v16, v11
; %bb.176:
	v_mov_b32_e32 v23, v13
	v_dual_mov_b32 v37, 1 :: v_dual_mov_b32 v22, v12
	v_mov_b32_e32 v13, v10
	v_dual_mov_b32 v39, 0 :: v_dual_mov_b32 v12, v9
; %bb.177:
	s_wait_alu 0xfffe
	s_or_b32 exec_lo, exec_lo, s9
	v_dual_mov_b32 v16, v26 :: v_dual_and_b32 v9, 0xff, v49
	v_dual_mov_b32 v17, v27 :: v_dual_and_b32 v10, 0xff, v48
	s_mov_b32 s9, exec_lo
	s_delay_alu instid0(VALU_DEP_1)
	v_cmpx_gt_u16_e64 v10, v9
; %bb.178:
	v_dual_mov_b32 v48, 0 :: v_dual_mov_b32 v49, 1
	v_dual_mov_b32 v17, v15 :: v_dual_mov_b32 v16, v14
	;; [unrolled: 1-line block ×3, first 2 shown]
; %bb.179:
	s_wait_alu 0xfffe
	s_or_b32 exec_lo, exec_lo, s9
	v_dual_mov_b32 v20, v24 :: v_dual_and_b32 v9, 0xff, v38
	v_dual_mov_b32 v21, v25 :: v_dual_and_b32 v10, 0xff, v50
	s_mov_b32 s9, exec_lo
	s_delay_alu instid0(VALU_DEP_1)
	v_cmpx_gt_u16_e64 v10, v9
; %bb.180:
	v_dual_mov_b32 v38, 1 :: v_dual_mov_b32 v21, v19
	v_mov_b32_e32 v20, v18
	v_mov_b32_e32 v18, v24
	v_dual_mov_b32 v50, 0 :: v_dual_mov_b32 v19, v25
; %bb.181:
	s_wait_alu 0xfffe
	s_or_b32 exec_lo, exec_lo, s9
	v_dual_mov_b32 v24, v28 :: v_dual_and_b32 v9, 0xff, v39
	v_dual_mov_b32 v25, v29 :: v_dual_and_b32 v10, 0xff, v36
	s_mov_b32 s9, exec_lo
	s_delay_alu instid0(VALU_DEP_1)
	v_cmpx_gt_u16_e64 v10, v9
; %bb.182:
	v_dual_mov_b32 v36, 0 :: v_dual_mov_b32 v39, 1
	v_dual_mov_b32 v25, v13 :: v_dual_mov_b32 v24, v12
	;; [unrolled: 1-line block ×3, first 2 shown]
; %bb.183:
	s_wait_alu 0xfffe
	s_or_b32 exec_lo, exec_lo, s9
.LBB1650_184:
	s_wait_alu 0xfffe
	s_or_b32 exec_lo, exec_lo, s8
	v_and_b32_e32 v9, 0xffffff00, v51
	v_or_b32_e32 v10, 8, v34
	v_and_b32_e32 v51, 0xf0, v34
	v_and_b32_e32 v52, 8, v34
	s_wait_loadcnt_dscnt 0x0
	v_perm_b32 v26, v38, v36, 0xc0c0004
	v_sub_nc_u32_e64 v11, 0x800, v9 clamp
	v_perm_b32 v27, v39, v37, 0xc0c0004
	v_perm_b32 v28, v35, v48, 0xc0c0004
	;; [unrolled: 1-line block ×3, first 2 shown]
	v_or_b32_e32 v55, v9, v34
	v_min_u32_e32 v30, v11, v10
	v_lshlrev_b32_e32 v10, 3, v9
	v_min_u32_e32 v52, v11, v52
	v_lshl_or_b32 v65, v27, 16, v26
	v_lshl_or_b32 v64, v29, 16, v28
	v_add_nc_u32_e32 v31, 8, v30
	v_lshl_or_b32 v66, v34, 3, v10
	v_sub_nc_u32_e32 v53, v30, v51
	s_mov_b32 s8, exec_lo
	s_delay_alu instid0(VALU_DEP_3) | instskip(NEXT) | instid1(VALU_DEP_3)
	v_min_u32_e32 v31, v11, v31
	v_add_nc_u32_e32 v27, 0x810, v66
	v_add_nc_u32_e32 v26, 0x820, v66
	v_min_u32_e32 v54, v52, v53
	v_add_nc_u32_e32 v29, 0x800, v66
	v_sub_nc_u32_e32 v67, v31, v30
	v_add_nc_u32_e32 v28, 0x830, v66
	ds_store_2addr_b64 v27, v[16:17], v[18:19] offset1:1
	ds_store_2addr_b64 v26, v[20:21], v[24:25] offset1:1
	;; [unrolled: 1-line block ×3, first 2 shown]
	ds_store_b64 v55, v[64:65]
	ds_store_2addr_b64 v28, v[12:13], v[22:23] offset1:1
	; wave barrier
	v_sub_nc_u32_e64 v53, v52, v67 clamp
	s_delay_alu instid0(VALU_DEP_1)
	v_cmpx_lt_u32_e64 v53, v54
	s_cbranch_execz .LBB1650_188
; %bb.185:
	v_add_nc_u32_e32 v55, v9, v51
	v_add3_u32 v64, v9, v30, v52
	s_mov_b32 s9, 0
.LBB1650_186:                           ; =>This Inner Loop Header: Depth=1
	v_add_nc_u32_e32 v65, v54, v53
	s_delay_alu instid0(VALU_DEP_1) | instskip(NEXT) | instid1(VALU_DEP_1)
	v_lshrrev_b32_e32 v65, 1, v65
	v_add_nc_u32_e32 v66, v55, v65
	v_xad_u32 v67, v65, -1, v64
	v_add_nc_u32_e32 v68, 1, v65
	ds_load_u8 v66, v66
	ds_load_u8 v67, v67
	s_wait_dscnt 0x0
	v_cmp_gt_u16_e64 s7, v66, v67
	s_wait_alu 0xf1ff
	s_delay_alu instid0(VALU_DEP_1) | instskip(SKIP_1) | instid1(VALU_DEP_1)
	v_cndmask_b32_e64 v54, v54, v65, s7
	v_cndmask_b32_e64 v53, v68, v53, s7
	v_cmp_ge_u32_e64 s7, v53, v54
	s_wait_alu 0xfffe
	s_or_b32 s9, s7, s9
	s_wait_alu 0xfffe
	s_and_not1_b32 exec_lo, exec_lo, s9
	s_cbranch_execnz .LBB1650_186
; %bb.187:
	s_or_b32 exec_lo, exec_lo, s9
.LBB1650_188:
	s_wait_alu 0xfffe
	s_or_b32 exec_lo, exec_lo, s8
	v_add_nc_u32_e32 v54, v30, v52
	v_add_nc_u32_e32 v52, v53, v51
	s_delay_alu instid0(VALU_DEP_2) | instskip(NEXT) | instid1(VALU_DEP_2)
	v_sub_nc_u32_e32 v51, v54, v53
	v_cmp_le_u32_e64 s7, v52, v30
	s_delay_alu instid0(VALU_DEP_2)
	v_cmp_le_u32_e64 s8, v51, v31
	s_or_b32 s7, s7, s8
	s_wait_alu 0xfffe
	s_and_saveexec_b32 s18, s7
	s_cbranch_execz .LBB1650_194
; %bb.189:
	v_cmp_lt_u32_e64 s7, v52, v30
                                        ; implicit-def: $vgpr35
	s_and_saveexec_b32 s8, s7
; %bb.190:
	v_add_nc_u32_e32 v4, v9, v52
	ds_load_u8 v35, v4
; %bb.191:
	s_wait_alu 0xfffe
	s_or_b32 exec_lo, exec_lo, s8
	v_cmp_ge_u32_e64 s8, v51, v31
	s_mov_b32 s10, exec_lo
                                        ; implicit-def: $vgpr36
	v_cmpx_lt_u32_e64 v51, v31
; %bb.192:
	v_add_nc_u32_e32 v4, v9, v51
	ds_load_u8 v36, v4
; %bb.193:
	s_wait_alu 0xfffe
	s_or_b32 exec_lo, exec_lo, s10
	s_wait_dscnt 0x0
	v_and_b32_e32 v4, 0xff, v36
	v_and_b32_e32 v5, 0xff, v35
	s_delay_alu instid0(VALU_DEP_1)
	v_cmp_le_u16_e64 s9, v5, v4
	s_and_b32 s7, s7, s9
	s_wait_alu 0xfffe
	s_or_b32 s7, s8, s7
	s_wait_alu 0xfffe
	v_cndmask_b32_e64 v4, v51, v52, s7
	v_cndmask_b32_e64 v5, v31, v30, s7
	s_delay_alu instid0(VALU_DEP_2) | instskip(NEXT) | instid1(VALU_DEP_2)
	v_add_nc_u32_e32 v12, 1, v4
	v_add_nc_u32_e32 v5, -1, v5
	v_lshl_add_u32 v4, v4, 3, v10
	s_delay_alu instid0(VALU_DEP_2) | instskip(NEXT) | instid1(VALU_DEP_1)
	v_min_u32_e32 v5, v12, v5
	v_add_nc_u32_e32 v5, v9, v5
	ds_load_u8 v5, v5
	s_wait_dscnt 0x0
	v_cndmask_b32_e64 v37, v5, v36, s7
	v_cndmask_b32_e64 v38, v35, v5, s7
	;; [unrolled: 1-line block ×5, first 2 shown]
	v_and_b32_e32 v13, 0xff, v37
	v_and_b32_e32 v14, 0xff, v38
	v_cmp_lt_u32_e64 s8, v5, v30
	v_cmp_ge_u32_e64 s10, v12, v31
	s_delay_alu instid0(VALU_DEP_3)
	v_cmp_le_u16_e64 s9, v14, v13
	s_and_b32 s8, s8, s9
	s_wait_alu 0xfffe
	s_or_b32 s8, s10, s8
	s_wait_alu 0xfffe
	v_cndmask_b32_e64 v13, v12, v5, s8
	v_cndmask_b32_e64 v14, v31, v30, s8
	;; [unrolled: 1-line block ×3, first 2 shown]
	s_delay_alu instid0(VALU_DEP_3) | instskip(NEXT) | instid1(VALU_DEP_3)
	v_add_nc_u32_e32 v15, 1, v13
	v_add_nc_u32_e32 v14, -1, v14
	v_lshl_add_u32 v13, v13, 3, v10
	s_delay_alu instid0(VALU_DEP_3) | instskip(NEXT) | instid1(VALU_DEP_3)
	v_cndmask_b32_e64 v5, v5, v15, s8
	v_min_u32_e32 v14, v15, v14
	v_cndmask_b32_e64 v12, v15, v12, s8
	s_delay_alu instid0(VALU_DEP_3) | instskip(NEXT) | instid1(VALU_DEP_3)
	v_cmp_lt_u32_e64 s9, v5, v30
	v_add_nc_u32_e32 v14, v9, v14
	s_delay_alu instid0(VALU_DEP_3) | instskip(SKIP_4) | instid1(VALU_DEP_2)
	v_cmp_ge_u32_e64 s11, v12, v31
	ds_load_u8 v14, v14
	s_wait_dscnt 0x0
	v_cndmask_b32_e64 v39, v14, v37, s8
	v_cndmask_b32_e64 v49, v38, v14, s8
	v_and_b32_e32 v14, 0xff, v39
	s_delay_alu instid0(VALU_DEP_2) | instskip(NEXT) | instid1(VALU_DEP_1)
	v_and_b32_e32 v16, 0xff, v49
	v_cmp_le_u16_e64 s10, v16, v14
	s_and_b32 s9, s9, s10
	s_wait_alu 0xfffe
	s_or_b32 s9, s11, s9
	s_wait_alu 0xfffe
	v_cndmask_b32_e64 v14, v12, v5, s9
	v_cndmask_b32_e64 v15, v31, v30, s9
	s_delay_alu instid0(VALU_DEP_2) | instskip(NEXT) | instid1(VALU_DEP_2)
	v_add_nc_u32_e32 v16, 1, v14
	v_add_nc_u32_e32 v15, -1, v15
	s_delay_alu instid0(VALU_DEP_2) | instskip(NEXT) | instid1(VALU_DEP_2)
	v_cndmask_b32_e64 v5, v5, v16, s9
	v_min_u32_e32 v15, v16, v15
	v_cndmask_b32_e64 v12, v16, v12, s9
	s_delay_alu instid0(VALU_DEP_3) | instskip(NEXT) | instid1(VALU_DEP_3)
	v_cmp_lt_u32_e64 s10, v5, v30
	v_add_nc_u32_e32 v15, v9, v15
	s_delay_alu instid0(VALU_DEP_3)
	v_cmp_ge_u32_e64 s12, v12, v31
	ds_load_u8 v15, v15
	s_wait_dscnt 0x0
	v_cndmask_b32_e64 v50, v15, v39, s9
	v_cndmask_b32_e64 v51, v49, v15, s9
	;; [unrolled: 1-line block ×3, first 2 shown]
	s_delay_alu instid0(VALU_DEP_3) | instskip(NEXT) | instid1(VALU_DEP_3)
	v_and_b32_e32 v15, 0xff, v50
	v_and_b32_e32 v17, 0xff, v51
	s_delay_alu instid0(VALU_DEP_1)
	v_cmp_le_u16_e64 s11, v17, v15
	s_and_b32 s10, s10, s11
	s_wait_alu 0xfffe
	s_or_b32 s10, s12, s10
	s_wait_alu 0xfffe
	v_cndmask_b32_e64 v18, v12, v5, s10
	v_cndmask_b32_e64 v15, v31, v30, s10
	s_delay_alu instid0(VALU_DEP_2) | instskip(NEXT) | instid1(VALU_DEP_2)
	v_add_nc_u32_e32 v16, 1, v18
	v_add_nc_u32_e32 v15, -1, v15
	s_delay_alu instid0(VALU_DEP_2) | instskip(NEXT) | instid1(VALU_DEP_2)
	v_cndmask_b32_e64 v5, v5, v16, s10
	v_min_u32_e32 v15, v16, v15
	v_cndmask_b32_e64 v12, v16, v12, s10
	s_delay_alu instid0(VALU_DEP_3) | instskip(NEXT) | instid1(VALU_DEP_3)
	v_cmp_lt_u32_e64 s11, v5, v30
	v_add_nc_u32_e32 v15, v9, v15
	s_delay_alu instid0(VALU_DEP_3)
	v_cmp_ge_u32_e64 s13, v12, v31
	ds_load_u8 v15, v15
	s_wait_dscnt 0x0
	v_cndmask_b32_e64 v52, v15, v50, s10
	v_cndmask_b32_e64 v53, v51, v15, s10
	;; [unrolled: 1-line block ×3, first 2 shown]
	s_delay_alu instid0(VALU_DEP_3) | instskip(NEXT) | instid1(VALU_DEP_3)
	v_and_b32_e32 v15, 0xff, v52
	v_and_b32_e32 v17, 0xff, v53
	s_delay_alu instid0(VALU_DEP_1)
	v_cmp_le_u16_e64 s12, v17, v15
	s_and_b32 s11, s11, s12
	s_wait_alu 0xfffe
	s_or_b32 s11, s13, s11
	s_wait_alu 0xfffe
	v_cndmask_b32_e64 v19, v12, v5, s11
	v_cndmask_b32_e64 v15, v31, v30, s11
	;; [unrolled: 1-line block ×3, first 2 shown]
	s_delay_alu instid0(VALU_DEP_3) | instskip(NEXT) | instid1(VALU_DEP_3)
	v_add_nc_u32_e32 v16, 1, v19
	v_add_nc_u32_e32 v15, -1, v15
	s_delay_alu instid0(VALU_DEP_2) | instskip(NEXT) | instid1(VALU_DEP_2)
	v_cndmask_b32_e64 v5, v5, v16, s11
	v_min_u32_e32 v15, v16, v15
	v_cndmask_b32_e64 v12, v16, v12, s11
	s_delay_alu instid0(VALU_DEP_3) | instskip(NEXT) | instid1(VALU_DEP_3)
	v_cmp_lt_u32_e64 s12, v5, v30
	v_add_nc_u32_e32 v15, v9, v15
	s_delay_alu instid0(VALU_DEP_3) | instskip(SKIP_4) | instid1(VALU_DEP_2)
	v_cmp_ge_u32_e64 s14, v12, v31
	ds_load_u8 v15, v15
	s_wait_dscnt 0x0
	v_cndmask_b32_e64 v54, v15, v52, s11
	v_cndmask_b32_e64 v55, v53, v15, s11
	v_and_b32_e32 v15, 0xff, v54
	s_delay_alu instid0(VALU_DEP_2) | instskip(NEXT) | instid1(VALU_DEP_1)
	v_and_b32_e32 v17, 0xff, v55
	v_cmp_le_u16_e64 s13, v17, v15
	s_and_b32 s12, s12, s13
	s_wait_alu 0xfffe
	s_or_b32 s12, s14, s12
	s_wait_alu 0xfffe
	v_cndmask_b32_e64 v20, v12, v5, s12
	v_cndmask_b32_e64 v15, v31, v30, s12
	;; [unrolled: 1-line block ×3, first 2 shown]
	s_delay_alu instid0(VALU_DEP_3) | instskip(NEXT) | instid1(VALU_DEP_3)
	v_add_nc_u32_e32 v16, 1, v20
	v_add_nc_u32_e32 v15, -1, v15
	v_lshl_add_u32 v23, v20, 3, v10
	s_delay_alu instid0(VALU_DEP_3) | instskip(NEXT) | instid1(VALU_DEP_3)
	v_cndmask_b32_e64 v5, v5, v16, s12
	v_min_u32_e32 v15, v16, v15
	v_cndmask_b32_e64 v12, v16, v12, s12
	s_delay_alu instid0(VALU_DEP_3) | instskip(NEXT) | instid1(VALU_DEP_3)
	v_cmp_lt_u32_e64 s13, v5, v30
	v_add_nc_u32_e32 v15, v9, v15
	s_delay_alu instid0(VALU_DEP_3) | instskip(SKIP_4) | instid1(VALU_DEP_2)
	v_cmp_ge_u32_e64 s15, v12, v31
	ds_load_u8 v15, v15
	s_wait_dscnt 0x0
	v_cndmask_b32_e64 v64, v15, v54, s12
	v_cndmask_b32_e64 v65, v55, v15, s12
	v_and_b32_e32 v15, 0xff, v64
	s_delay_alu instid0(VALU_DEP_2) | instskip(NEXT) | instid1(VALU_DEP_1)
	v_and_b32_e32 v17, 0xff, v65
	v_cmp_le_u16_e64 s14, v17, v15
	s_and_b32 s13, s13, s14
	s_wait_alu 0xfffe
	s_or_b32 s13, s15, s13
	s_wait_alu 0xfffe
	v_cndmask_b32_e64 v21, v12, v5, s13
	v_cndmask_b32_e64 v15, v31, v30, s13
	;; [unrolled: 1-line block ×3, first 2 shown]
	s_delay_alu instid0(VALU_DEP_3) | instskip(NEXT) | instid1(VALU_DEP_3)
	v_add_nc_u32_e32 v16, 1, v21
	v_add_nc_u32_e32 v15, -1, v15
	s_delay_alu instid0(VALU_DEP_2) | instskip(NEXT) | instid1(VALU_DEP_2)
	v_cndmask_b32_e64 v22, v5, v16, s13
	v_min_u32_e32 v15, v16, v15
	v_cndmask_b32_e64 v12, v16, v12, s13
	v_lshl_add_u32 v16, v14, 3, v10
	s_delay_alu instid0(VALU_DEP_4) | instskip(NEXT) | instid1(VALU_DEP_4)
	v_cmp_lt_u32_e64 s14, v22, v30
	v_add_nc_u32_e32 v15, v9, v15
	s_delay_alu instid0(VALU_DEP_4)
	v_cmp_ge_u32_e64 s16, v12, v31
	v_lshl_add_u32 v30, v21, 3, v10
	ds_load_u8 v15, v15
	s_wait_dscnt 0x0
	v_cndmask_b32_e64 v66, v15, v64, s13
	v_cndmask_b32_e64 v67, v65, v15, s13
	s_delay_alu instid0(VALU_DEP_2) | instskip(NEXT) | instid1(VALU_DEP_2)
	v_and_b32_e32 v5, 0xff, v66
	v_and_b32_e32 v15, 0xff, v67
	s_delay_alu instid0(VALU_DEP_1)
	v_cmp_le_u16_e64 s15, v15, v5
	ds_load_b64 v[4:5], v4 offset:2048
	ds_load_b64 v[14:15], v13 offset:2048
	v_lshl_add_u32 v13, v18, 3, v10
	ds_load_b64 v[16:17], v16 offset:2048
	s_and_b32 s14, s14, s15
	s_wait_alu 0xfffe
	s_or_b32 s14, s16, s14
	s_wait_alu 0xfffe
	v_cndmask_b32_e64 v12, v12, v22, s14
	v_lshl_add_u32 v22, v19, 3, v10
	v_cndmask_b32_e64 v37, v66, v67, s14
	s_delay_alu instid0(VALU_DEP_3)
	v_lshl_add_u32 v31, v12, 3, v10
	ds_load_b64 v[18:19], v13 offset:2048
	ds_load_b64 v[20:21], v22 offset:2048
	ds_load_b64 v[24:25], v23 offset:2048
	ds_load_b64 v[12:13], v30 offset:2048
	ds_load_b64 v[22:23], v31 offset:2048
.LBB1650_194:
	s_wait_alu 0xfffe
	s_or_b32 exec_lo, exec_lo, s18
	v_and_b32_e32 v52, 0xe0, v34
	v_and_b32_e32 v53, 24, v34
	v_perm_b32 v54, v38, v36, 0xc0c0004
	v_perm_b32 v55, v39, v37, 0xc0c0004
	;; [unrolled: 1-line block ×3, first 2 shown]
	v_or_b32_e32 v30, 16, v52
	v_min_u32_e32 v53, v11, v53
	v_perm_b32 v66, v49, v50, 0xc0c0004
	v_lshl_or_b32 v65, v55, 16, v54
	s_mov_b32 s8, exec_lo
	v_min_u32_e32 v31, v11, v30
	s_delay_alu instid0(VALU_DEP_3) | instskip(NEXT) | instid1(VALU_DEP_2)
	v_lshl_or_b32 v64, v66, 16, v64
	; wave barrier
	v_add_nc_u32_e32 v30, 16, v31
	v_sub_nc_u32_e32 v68, v31, v52
	s_delay_alu instid0(VALU_DEP_2) | instskip(SKIP_1) | instid1(VALU_DEP_3)
	v_min_u32_e32 v51, v11, v30
	v_add_nc_u32_e32 v30, v9, v34
	v_min_u32_e32 v55, v53, v68
	s_wait_dscnt 0x6
	ds_store_2addr_b64 v29, v[4:5], v[14:15] offset1:1
	s_wait_dscnt 0x5
	ds_store_2addr_b64 v27, v[16:17], v[18:19] offset1:1
	ds_store_b64 v30, v[64:65]
	s_wait_dscnt 0x5
	ds_store_2addr_b64 v26, v[20:21], v[24:25] offset1:1
	s_wait_dscnt 0x4
	ds_store_2addr_b64 v28, v[12:13], v[22:23] offset1:1
	v_sub_nc_u32_e32 v67, v51, v31
	; wave barrier
	s_delay_alu instid0(VALU_DEP_1) | instskip(NEXT) | instid1(VALU_DEP_1)
	v_sub_nc_u32_e64 v54, v53, v67 clamp
	v_cmpx_lt_u32_e64 v54, v55
	s_cbranch_execz .LBB1650_198
; %bb.195:
	v_add_nc_u32_e32 v64, v9, v52
	v_add3_u32 v65, v9, v31, v53
	s_mov_b32 s9, 0
.LBB1650_196:                           ; =>This Inner Loop Header: Depth=1
	v_add_nc_u32_e32 v66, v55, v54
	s_delay_alu instid0(VALU_DEP_1) | instskip(NEXT) | instid1(VALU_DEP_1)
	v_lshrrev_b32_e32 v66, 1, v66
	v_add_nc_u32_e32 v67, v64, v66
	v_xad_u32 v68, v66, -1, v65
	v_add_nc_u32_e32 v69, 1, v66
	ds_load_u8 v67, v67
	ds_load_u8 v68, v68
	s_wait_dscnt 0x0
	v_cmp_gt_u16_e64 s7, v67, v68
	s_wait_alu 0xf1ff
	s_delay_alu instid0(VALU_DEP_1) | instskip(SKIP_1) | instid1(VALU_DEP_1)
	v_cndmask_b32_e64 v55, v55, v66, s7
	v_cndmask_b32_e64 v54, v69, v54, s7
	v_cmp_ge_u32_e64 s7, v54, v55
	s_wait_alu 0xfffe
	s_or_b32 s9, s7, s9
	s_wait_alu 0xfffe
	s_and_not1_b32 exec_lo, exec_lo, s9
	s_cbranch_execnz .LBB1650_196
; %bb.197:
	s_or_b32 exec_lo, exec_lo, s9
.LBB1650_198:
	s_wait_alu 0xfffe
	s_or_b32 exec_lo, exec_lo, s8
	v_add_nc_u32_e32 v55, v31, v53
	v_add_nc_u32_e32 v53, v54, v52
	s_delay_alu instid0(VALU_DEP_2) | instskip(NEXT) | instid1(VALU_DEP_2)
	v_sub_nc_u32_e32 v52, v55, v54
	v_cmp_le_u32_e64 s7, v53, v31
	s_delay_alu instid0(VALU_DEP_2)
	v_cmp_le_u32_e64 s8, v52, v51
	s_or_b32 s7, s7, s8
	s_wait_alu 0xfffe
	s_and_saveexec_b32 s18, s7
	s_cbranch_execz .LBB1650_204
; %bb.199:
	v_cmp_lt_u32_e64 s7, v53, v31
                                        ; implicit-def: $vgpr35
	s_and_saveexec_b32 s8, s7
; %bb.200:
	v_add_nc_u32_e32 v4, v9, v53
	ds_load_u8 v35, v4
; %bb.201:
	s_wait_alu 0xfffe
	s_or_b32 exec_lo, exec_lo, s8
	v_cmp_ge_u32_e64 s8, v52, v51
	s_mov_b32 s10, exec_lo
                                        ; implicit-def: $vgpr36
	v_cmpx_lt_u32_e64 v52, v51
; %bb.202:
	v_add_nc_u32_e32 v4, v9, v52
	ds_load_u8 v36, v4
; %bb.203:
	s_wait_alu 0xfffe
	s_or_b32 exec_lo, exec_lo, s10
	s_wait_dscnt 0x0
	v_and_b32_e32 v4, 0xff, v36
	v_and_b32_e32 v5, 0xff, v35
	s_delay_alu instid0(VALU_DEP_1)
	v_cmp_le_u16_e64 s9, v5, v4
	s_and_b32 s7, s7, s9
	s_wait_alu 0xfffe
	s_or_b32 s7, s8, s7
	s_wait_alu 0xfffe
	v_cndmask_b32_e64 v4, v52, v53, s7
	v_cndmask_b32_e64 v5, v51, v31, s7
	s_delay_alu instid0(VALU_DEP_2) | instskip(NEXT) | instid1(VALU_DEP_2)
	v_add_nc_u32_e32 v12, 1, v4
	v_add_nc_u32_e32 v5, -1, v5
	v_lshl_add_u32 v4, v4, 3, v10
	s_delay_alu instid0(VALU_DEP_2) | instskip(NEXT) | instid1(VALU_DEP_1)
	v_min_u32_e32 v5, v12, v5
	v_add_nc_u32_e32 v5, v9, v5
	ds_load_u8 v5, v5
	s_wait_dscnt 0x0
	v_cndmask_b32_e64 v37, v5, v36, s7
	v_cndmask_b32_e64 v38, v35, v5, s7
	;; [unrolled: 1-line block ×5, first 2 shown]
	v_and_b32_e32 v13, 0xff, v37
	v_and_b32_e32 v14, 0xff, v38
	v_cmp_lt_u32_e64 s8, v5, v31
	v_cmp_ge_u32_e64 s10, v12, v51
	s_delay_alu instid0(VALU_DEP_3)
	v_cmp_le_u16_e64 s9, v14, v13
	s_and_b32 s8, s8, s9
	s_wait_alu 0xfffe
	s_or_b32 s8, s10, s8
	s_wait_alu 0xfffe
	v_cndmask_b32_e64 v13, v12, v5, s8
	v_cndmask_b32_e64 v14, v51, v31, s8
	s_delay_alu instid0(VALU_DEP_2) | instskip(NEXT) | instid1(VALU_DEP_2)
	v_add_nc_u32_e32 v15, 1, v13
	v_add_nc_u32_e32 v14, -1, v14
	v_lshl_add_u32 v13, v13, 3, v10
	s_delay_alu instid0(VALU_DEP_3) | instskip(NEXT) | instid1(VALU_DEP_3)
	v_cndmask_b32_e64 v5, v5, v15, s8
	v_min_u32_e32 v14, v15, v14
	v_cndmask_b32_e64 v12, v15, v12, s8
	s_delay_alu instid0(VALU_DEP_3) | instskip(NEXT) | instid1(VALU_DEP_3)
	v_cmp_lt_u32_e64 s9, v5, v31
	v_add_nc_u32_e32 v14, v9, v14
	s_delay_alu instid0(VALU_DEP_3) | instskip(SKIP_4) | instid1(VALU_DEP_2)
	v_cmp_ge_u32_e64 s11, v12, v51
	ds_load_u8 v14, v14
	s_wait_dscnt 0x0
	v_cndmask_b32_e64 v39, v14, v37, s8
	v_cndmask_b32_e64 v49, v38, v14, s8
	v_and_b32_e32 v14, 0xff, v39
	s_delay_alu instid0(VALU_DEP_2) | instskip(NEXT) | instid1(VALU_DEP_1)
	v_and_b32_e32 v16, 0xff, v49
	v_cmp_le_u16_e64 s10, v16, v14
	s_and_b32 s9, s9, s10
	s_wait_alu 0xfffe
	s_or_b32 s9, s11, s9
	s_wait_alu 0xfffe
	v_cndmask_b32_e64 v14, v12, v5, s9
	v_cndmask_b32_e64 v15, v51, v31, s9
	s_delay_alu instid0(VALU_DEP_2) | instskip(NEXT) | instid1(VALU_DEP_2)
	v_add_nc_u32_e32 v16, 1, v14
	v_add_nc_u32_e32 v15, -1, v15
	s_delay_alu instid0(VALU_DEP_2) | instskip(NEXT) | instid1(VALU_DEP_2)
	v_cndmask_b32_e64 v5, v5, v16, s9
	v_min_u32_e32 v15, v16, v15
	v_cndmask_b32_e64 v12, v16, v12, s9
	s_delay_alu instid0(VALU_DEP_3) | instskip(NEXT) | instid1(VALU_DEP_3)
	v_cmp_lt_u32_e64 s10, v5, v31
	v_add_nc_u32_e32 v15, v9, v15
	s_delay_alu instid0(VALU_DEP_3)
	v_cmp_ge_u32_e64 s12, v12, v51
	ds_load_u8 v15, v15
	s_wait_dscnt 0x0
	v_cndmask_b32_e64 v50, v15, v39, s9
	v_cndmask_b32_e64 v52, v49, v15, s9
	;; [unrolled: 1-line block ×3, first 2 shown]
	s_delay_alu instid0(VALU_DEP_3) | instskip(NEXT) | instid1(VALU_DEP_3)
	v_and_b32_e32 v15, 0xff, v50
	v_and_b32_e32 v17, 0xff, v52
	s_delay_alu instid0(VALU_DEP_1)
	v_cmp_le_u16_e64 s11, v17, v15
	s_and_b32 s10, s10, s11
	s_wait_alu 0xfffe
	s_or_b32 s10, s12, s10
	s_wait_alu 0xfffe
	v_cndmask_b32_e64 v18, v12, v5, s10
	v_cndmask_b32_e64 v15, v51, v31, s10
	s_delay_alu instid0(VALU_DEP_2) | instskip(NEXT) | instid1(VALU_DEP_2)
	v_add_nc_u32_e32 v16, 1, v18
	v_add_nc_u32_e32 v15, -1, v15
	s_delay_alu instid0(VALU_DEP_2) | instskip(NEXT) | instid1(VALU_DEP_2)
	v_cndmask_b32_e64 v5, v5, v16, s10
	v_min_u32_e32 v15, v16, v15
	v_cndmask_b32_e64 v12, v16, v12, s10
	s_delay_alu instid0(VALU_DEP_3) | instskip(NEXT) | instid1(VALU_DEP_3)
	v_cmp_lt_u32_e64 s11, v5, v31
	v_add_nc_u32_e32 v15, v9, v15
	s_delay_alu instid0(VALU_DEP_3)
	v_cmp_ge_u32_e64 s13, v12, v51
	ds_load_u8 v15, v15
	s_wait_dscnt 0x0
	v_cndmask_b32_e64 v53, v15, v50, s10
	v_cndmask_b32_e64 v54, v52, v15, s10
	;; [unrolled: 1-line block ×3, first 2 shown]
	s_delay_alu instid0(VALU_DEP_3) | instskip(NEXT) | instid1(VALU_DEP_3)
	v_and_b32_e32 v15, 0xff, v53
	v_and_b32_e32 v17, 0xff, v54
	s_delay_alu instid0(VALU_DEP_1)
	v_cmp_le_u16_e64 s12, v17, v15
	s_and_b32 s11, s11, s12
	s_wait_alu 0xfffe
	s_or_b32 s11, s13, s11
	s_wait_alu 0xfffe
	v_cndmask_b32_e64 v19, v12, v5, s11
	v_cndmask_b32_e64 v15, v51, v31, s11
	s_delay_alu instid0(VALU_DEP_2) | instskip(NEXT) | instid1(VALU_DEP_2)
	v_add_nc_u32_e32 v16, 1, v19
	v_add_nc_u32_e32 v15, -1, v15
	s_delay_alu instid0(VALU_DEP_2) | instskip(NEXT) | instid1(VALU_DEP_2)
	v_cndmask_b32_e64 v5, v5, v16, s11
	v_min_u32_e32 v15, v16, v15
	v_cndmask_b32_e64 v12, v16, v12, s11
	s_delay_alu instid0(VALU_DEP_3) | instskip(NEXT) | instid1(VALU_DEP_3)
	v_cmp_lt_u32_e64 s12, v5, v31
	v_add_nc_u32_e32 v15, v9, v15
	s_delay_alu instid0(VALU_DEP_3) | instskip(SKIP_4) | instid1(VALU_DEP_2)
	v_cmp_ge_u32_e64 s14, v12, v51
	ds_load_u8 v15, v15
	s_wait_dscnt 0x0
	v_cndmask_b32_e64 v55, v15, v53, s11
	v_cndmask_b32_e64 v64, v54, v15, s11
	v_and_b32_e32 v15, 0xff, v55
	s_delay_alu instid0(VALU_DEP_2) | instskip(NEXT) | instid1(VALU_DEP_1)
	v_and_b32_e32 v17, 0xff, v64
	v_cmp_le_u16_e64 s13, v17, v15
	s_and_b32 s12, s12, s13
	s_wait_alu 0xfffe
	s_or_b32 s12, s14, s12
	s_wait_alu 0xfffe
	v_cndmask_b32_e64 v20, v12, v5, s12
	v_cndmask_b32_e64 v15, v51, v31, s12
	;; [unrolled: 1-line block ×3, first 2 shown]
	s_delay_alu instid0(VALU_DEP_3) | instskip(NEXT) | instid1(VALU_DEP_3)
	v_add_nc_u32_e32 v16, 1, v20
	v_add_nc_u32_e32 v15, -1, v15
	v_lshl_add_u32 v23, v20, 3, v10
	s_delay_alu instid0(VALU_DEP_3) | instskip(NEXT) | instid1(VALU_DEP_3)
	v_cndmask_b32_e64 v5, v5, v16, s12
	v_min_u32_e32 v15, v16, v15
	v_cndmask_b32_e64 v12, v16, v12, s12
	s_delay_alu instid0(VALU_DEP_3) | instskip(NEXT) | instid1(VALU_DEP_3)
	v_cmp_lt_u32_e64 s13, v5, v31
	v_add_nc_u32_e32 v15, v9, v15
	s_delay_alu instid0(VALU_DEP_3) | instskip(SKIP_4) | instid1(VALU_DEP_2)
	v_cmp_ge_u32_e64 s15, v12, v51
	ds_load_u8 v15, v15
	s_wait_dscnt 0x0
	v_cndmask_b32_e64 v65, v15, v55, s12
	v_cndmask_b32_e64 v66, v64, v15, s12
	v_and_b32_e32 v15, 0xff, v65
	s_delay_alu instid0(VALU_DEP_2) | instskip(NEXT) | instid1(VALU_DEP_1)
	v_and_b32_e32 v17, 0xff, v66
	v_cmp_le_u16_e64 s14, v17, v15
	s_and_b32 s13, s13, s14
	s_wait_alu 0xfffe
	s_or_b32 s13, s15, s13
	s_wait_alu 0xfffe
	v_cndmask_b32_e64 v21, v12, v5, s13
	v_cndmask_b32_e64 v15, v51, v31, s13
	;; [unrolled: 1-line block ×3, first 2 shown]
	s_delay_alu instid0(VALU_DEP_3) | instskip(NEXT) | instid1(VALU_DEP_3)
	v_add_nc_u32_e32 v16, 1, v21
	v_add_nc_u32_e32 v15, -1, v15
	s_delay_alu instid0(VALU_DEP_2) | instskip(NEXT) | instid1(VALU_DEP_2)
	v_cndmask_b32_e64 v22, v5, v16, s13
	v_min_u32_e32 v15, v16, v15
	v_cndmask_b32_e64 v12, v16, v12, s13
	v_lshl_add_u32 v16, v14, 3, v10
	s_delay_alu instid0(VALU_DEP_4) | instskip(NEXT) | instid1(VALU_DEP_4)
	v_cmp_lt_u32_e64 s14, v22, v31
	v_add_nc_u32_e32 v15, v9, v15
	s_delay_alu instid0(VALU_DEP_4)
	v_cmp_ge_u32_e64 s16, v12, v51
	v_lshl_add_u32 v31, v21, 3, v10
	ds_load_u8 v15, v15
	s_wait_dscnt 0x0
	v_cndmask_b32_e64 v67, v15, v65, s13
	v_cndmask_b32_e64 v68, v66, v15, s13
	s_delay_alu instid0(VALU_DEP_2) | instskip(NEXT) | instid1(VALU_DEP_2)
	v_and_b32_e32 v5, 0xff, v67
	v_and_b32_e32 v15, 0xff, v68
	s_delay_alu instid0(VALU_DEP_1)
	v_cmp_le_u16_e64 s15, v15, v5
	ds_load_b64 v[4:5], v4 offset:2048
	ds_load_b64 v[14:15], v13 offset:2048
	v_lshl_add_u32 v13, v18, 3, v10
	ds_load_b64 v[16:17], v16 offset:2048
	s_and_b32 s14, s14, s15
	s_wait_alu 0xfffe
	s_or_b32 s14, s16, s14
	s_wait_alu 0xfffe
	v_cndmask_b32_e64 v12, v12, v22, s14
	v_lshl_add_u32 v22, v19, 3, v10
	s_delay_alu instid0(VALU_DEP_2)
	v_lshl_add_u32 v48, v12, 3, v10
	ds_load_b64 v[18:19], v13 offset:2048
	ds_load_b64 v[20:21], v22 offset:2048
	;; [unrolled: 1-line block ×5, first 2 shown]
	v_cndmask_b32_e64 v48, v37, v38, s8
	v_cndmask_b32_e64 v38, v53, v54, s11
	;; [unrolled: 1-line block ×3, first 2 shown]
.LBB1650_204:
	s_wait_alu 0xfffe
	s_or_b32 exec_lo, exec_lo, s18
	v_and_b32_e32 v52, 0xc0, v34
	v_and_b32_e32 v53, 56, v34
	v_perm_b32 v54, v38, v36, 0xc0c0004
	v_perm_b32 v55, v39, v37, 0xc0c0004
	;; [unrolled: 1-line block ×3, first 2 shown]
	v_or_b32_e32 v31, 32, v52
	v_min_u32_e32 v53, v11, v53
	v_perm_b32 v66, v49, v50, 0xc0c0004
	v_lshl_or_b32 v65, v55, 16, v54
	s_mov_b32 s8, exec_lo
	v_min_u32_e32 v31, v11, v31
	s_delay_alu instid0(VALU_DEP_3)
	v_lshl_or_b32 v64, v66, 16, v64
	; wave barrier
	s_wait_dscnt 0x6
	ds_store_2addr_b64 v29, v[4:5], v[14:15] offset1:1
	s_wait_dscnt 0x5
	ds_store_2addr_b64 v27, v[16:17], v[18:19] offset1:1
	ds_store_b64 v30, v[64:65]
	s_wait_dscnt 0x5
	ds_store_2addr_b64 v26, v[20:21], v[24:25] offset1:1
	s_wait_dscnt 0x4
	ds_store_2addr_b64 v28, v[12:13], v[22:23] offset1:1
	v_add_nc_u32_e32 v51, 32, v31
	v_sub_nc_u32_e32 v68, v31, v52
	; wave barrier
	s_delay_alu instid0(VALU_DEP_2) | instskip(NEXT) | instid1(VALU_DEP_2)
	v_min_u32_e32 v51, v11, v51
	v_min_u32_e32 v55, v53, v68
	s_delay_alu instid0(VALU_DEP_2) | instskip(NEXT) | instid1(VALU_DEP_1)
	v_sub_nc_u32_e32 v67, v51, v31
	v_sub_nc_u32_e64 v54, v53, v67 clamp
	s_delay_alu instid0(VALU_DEP_1)
	v_cmpx_lt_u32_e64 v54, v55
	s_cbranch_execz .LBB1650_208
; %bb.205:
	v_add_nc_u32_e32 v64, v9, v52
	v_add3_u32 v65, v9, v31, v53
	s_mov_b32 s9, 0
.LBB1650_206:                           ; =>This Inner Loop Header: Depth=1
	v_add_nc_u32_e32 v66, v55, v54
	s_delay_alu instid0(VALU_DEP_1) | instskip(NEXT) | instid1(VALU_DEP_1)
	v_lshrrev_b32_e32 v66, 1, v66
	v_add_nc_u32_e32 v67, v64, v66
	v_xad_u32 v68, v66, -1, v65
	v_add_nc_u32_e32 v69, 1, v66
	ds_load_u8 v67, v67
	ds_load_u8 v68, v68
	s_wait_dscnt 0x0
	v_cmp_gt_u16_e64 s7, v67, v68
	s_wait_alu 0xf1ff
	s_delay_alu instid0(VALU_DEP_1) | instskip(SKIP_1) | instid1(VALU_DEP_1)
	v_cndmask_b32_e64 v55, v55, v66, s7
	v_cndmask_b32_e64 v54, v69, v54, s7
	v_cmp_ge_u32_e64 s7, v54, v55
	s_wait_alu 0xfffe
	s_or_b32 s9, s7, s9
	s_wait_alu 0xfffe
	s_and_not1_b32 exec_lo, exec_lo, s9
	s_cbranch_execnz .LBB1650_206
; %bb.207:
	s_or_b32 exec_lo, exec_lo, s9
.LBB1650_208:
	s_wait_alu 0xfffe
	s_or_b32 exec_lo, exec_lo, s8
	v_add_nc_u32_e32 v55, v31, v53
	v_add_nc_u32_e32 v53, v54, v52
	s_delay_alu instid0(VALU_DEP_2) | instskip(NEXT) | instid1(VALU_DEP_2)
	v_sub_nc_u32_e32 v52, v55, v54
	v_cmp_le_u32_e64 s7, v53, v31
	s_delay_alu instid0(VALU_DEP_2)
	v_cmp_le_u32_e64 s8, v52, v51
	s_or_b32 s7, s7, s8
	s_wait_alu 0xfffe
	s_and_saveexec_b32 s18, s7
	s_cbranch_execz .LBB1650_214
; %bb.209:
	v_cmp_lt_u32_e64 s7, v53, v31
                                        ; implicit-def: $vgpr35
	s_and_saveexec_b32 s8, s7
; %bb.210:
	v_add_nc_u32_e32 v4, v9, v53
	ds_load_u8 v35, v4
; %bb.211:
	s_wait_alu 0xfffe
	s_or_b32 exec_lo, exec_lo, s8
	v_cmp_ge_u32_e64 s8, v52, v51
	s_mov_b32 s10, exec_lo
                                        ; implicit-def: $vgpr36
	v_cmpx_lt_u32_e64 v52, v51
; %bb.212:
	v_add_nc_u32_e32 v4, v9, v52
	ds_load_u8 v36, v4
; %bb.213:
	s_wait_alu 0xfffe
	s_or_b32 exec_lo, exec_lo, s10
	s_wait_dscnt 0x0
	v_and_b32_e32 v4, 0xff, v36
	v_and_b32_e32 v5, 0xff, v35
	s_delay_alu instid0(VALU_DEP_1)
	v_cmp_le_u16_e64 s9, v5, v4
	s_and_b32 s7, s7, s9
	s_wait_alu 0xfffe
	s_or_b32 s7, s8, s7
	s_wait_alu 0xfffe
	v_cndmask_b32_e64 v4, v52, v53, s7
	v_cndmask_b32_e64 v5, v51, v31, s7
	s_delay_alu instid0(VALU_DEP_2) | instskip(NEXT) | instid1(VALU_DEP_2)
	v_add_nc_u32_e32 v12, 1, v4
	v_add_nc_u32_e32 v5, -1, v5
	v_lshl_add_u32 v4, v4, 3, v10
	s_delay_alu instid0(VALU_DEP_2) | instskip(NEXT) | instid1(VALU_DEP_1)
	v_min_u32_e32 v5, v12, v5
	v_add_nc_u32_e32 v5, v9, v5
	ds_load_u8 v5, v5
	s_wait_dscnt 0x0
	v_cndmask_b32_e64 v37, v5, v36, s7
	v_cndmask_b32_e64 v38, v35, v5, s7
	;; [unrolled: 1-line block ×5, first 2 shown]
	v_and_b32_e32 v13, 0xff, v37
	v_and_b32_e32 v14, 0xff, v38
	v_cmp_lt_u32_e64 s8, v5, v31
	v_cmp_ge_u32_e64 s10, v12, v51
	s_delay_alu instid0(VALU_DEP_3)
	v_cmp_le_u16_e64 s9, v14, v13
	s_and_b32 s8, s8, s9
	s_wait_alu 0xfffe
	s_or_b32 s8, s10, s8
	s_wait_alu 0xfffe
	v_cndmask_b32_e64 v13, v12, v5, s8
	v_cndmask_b32_e64 v14, v51, v31, s8
	s_delay_alu instid0(VALU_DEP_2) | instskip(NEXT) | instid1(VALU_DEP_2)
	v_add_nc_u32_e32 v15, 1, v13
	v_add_nc_u32_e32 v14, -1, v14
	v_lshl_add_u32 v13, v13, 3, v10
	s_delay_alu instid0(VALU_DEP_3) | instskip(NEXT) | instid1(VALU_DEP_3)
	v_cndmask_b32_e64 v5, v5, v15, s8
	v_min_u32_e32 v14, v15, v14
	v_cndmask_b32_e64 v12, v15, v12, s8
	s_delay_alu instid0(VALU_DEP_3) | instskip(NEXT) | instid1(VALU_DEP_3)
	v_cmp_lt_u32_e64 s9, v5, v31
	v_add_nc_u32_e32 v14, v9, v14
	s_delay_alu instid0(VALU_DEP_3) | instskip(SKIP_4) | instid1(VALU_DEP_2)
	v_cmp_ge_u32_e64 s11, v12, v51
	ds_load_u8 v14, v14
	s_wait_dscnt 0x0
	v_cndmask_b32_e64 v39, v14, v37, s8
	v_cndmask_b32_e64 v49, v38, v14, s8
	v_and_b32_e32 v14, 0xff, v39
	s_delay_alu instid0(VALU_DEP_2) | instskip(NEXT) | instid1(VALU_DEP_1)
	v_and_b32_e32 v16, 0xff, v49
	v_cmp_le_u16_e64 s10, v16, v14
	s_and_b32 s9, s9, s10
	s_wait_alu 0xfffe
	s_or_b32 s9, s11, s9
	s_wait_alu 0xfffe
	v_cndmask_b32_e64 v14, v12, v5, s9
	v_cndmask_b32_e64 v15, v51, v31, s9
	s_delay_alu instid0(VALU_DEP_2) | instskip(NEXT) | instid1(VALU_DEP_2)
	v_add_nc_u32_e32 v16, 1, v14
	v_add_nc_u32_e32 v15, -1, v15
	s_delay_alu instid0(VALU_DEP_2) | instskip(NEXT) | instid1(VALU_DEP_2)
	v_cndmask_b32_e64 v5, v5, v16, s9
	v_min_u32_e32 v15, v16, v15
	v_cndmask_b32_e64 v12, v16, v12, s9
	s_delay_alu instid0(VALU_DEP_3) | instskip(NEXT) | instid1(VALU_DEP_3)
	v_cmp_lt_u32_e64 s10, v5, v31
	v_add_nc_u32_e32 v15, v9, v15
	s_delay_alu instid0(VALU_DEP_3)
	v_cmp_ge_u32_e64 s12, v12, v51
	ds_load_u8 v15, v15
	s_wait_dscnt 0x0
	v_cndmask_b32_e64 v50, v15, v39, s9
	v_cndmask_b32_e64 v52, v49, v15, s9
	;; [unrolled: 1-line block ×3, first 2 shown]
	s_delay_alu instid0(VALU_DEP_3) | instskip(NEXT) | instid1(VALU_DEP_3)
	v_and_b32_e32 v15, 0xff, v50
	v_and_b32_e32 v17, 0xff, v52
	s_delay_alu instid0(VALU_DEP_1)
	v_cmp_le_u16_e64 s11, v17, v15
	s_and_b32 s10, s10, s11
	s_wait_alu 0xfffe
	s_or_b32 s10, s12, s10
	s_wait_alu 0xfffe
	v_cndmask_b32_e64 v18, v12, v5, s10
	v_cndmask_b32_e64 v15, v51, v31, s10
	s_delay_alu instid0(VALU_DEP_2) | instskip(NEXT) | instid1(VALU_DEP_2)
	v_add_nc_u32_e32 v16, 1, v18
	v_add_nc_u32_e32 v15, -1, v15
	s_delay_alu instid0(VALU_DEP_2) | instskip(NEXT) | instid1(VALU_DEP_2)
	v_cndmask_b32_e64 v5, v5, v16, s10
	v_min_u32_e32 v15, v16, v15
	v_cndmask_b32_e64 v12, v16, v12, s10
	s_delay_alu instid0(VALU_DEP_3) | instskip(NEXT) | instid1(VALU_DEP_3)
	v_cmp_lt_u32_e64 s11, v5, v31
	v_add_nc_u32_e32 v15, v9, v15
	s_delay_alu instid0(VALU_DEP_3)
	v_cmp_ge_u32_e64 s13, v12, v51
	ds_load_u8 v15, v15
	s_wait_dscnt 0x0
	v_cndmask_b32_e64 v53, v15, v50, s10
	v_cndmask_b32_e64 v54, v52, v15, s10
	;; [unrolled: 1-line block ×3, first 2 shown]
	s_delay_alu instid0(VALU_DEP_3) | instskip(NEXT) | instid1(VALU_DEP_3)
	v_and_b32_e32 v15, 0xff, v53
	v_and_b32_e32 v17, 0xff, v54
	s_delay_alu instid0(VALU_DEP_1)
	v_cmp_le_u16_e64 s12, v17, v15
	s_and_b32 s11, s11, s12
	s_wait_alu 0xfffe
	s_or_b32 s11, s13, s11
	s_wait_alu 0xfffe
	v_cndmask_b32_e64 v19, v12, v5, s11
	v_cndmask_b32_e64 v15, v51, v31, s11
	s_delay_alu instid0(VALU_DEP_2) | instskip(NEXT) | instid1(VALU_DEP_2)
	v_add_nc_u32_e32 v16, 1, v19
	v_add_nc_u32_e32 v15, -1, v15
	s_delay_alu instid0(VALU_DEP_2) | instskip(NEXT) | instid1(VALU_DEP_2)
	v_cndmask_b32_e64 v5, v5, v16, s11
	v_min_u32_e32 v15, v16, v15
	v_cndmask_b32_e64 v12, v16, v12, s11
	s_delay_alu instid0(VALU_DEP_3) | instskip(NEXT) | instid1(VALU_DEP_3)
	v_cmp_lt_u32_e64 s12, v5, v31
	v_add_nc_u32_e32 v15, v9, v15
	s_delay_alu instid0(VALU_DEP_3) | instskip(SKIP_4) | instid1(VALU_DEP_2)
	v_cmp_ge_u32_e64 s14, v12, v51
	ds_load_u8 v15, v15
	s_wait_dscnt 0x0
	v_cndmask_b32_e64 v55, v15, v53, s11
	v_cndmask_b32_e64 v64, v54, v15, s11
	v_and_b32_e32 v15, 0xff, v55
	s_delay_alu instid0(VALU_DEP_2) | instskip(NEXT) | instid1(VALU_DEP_1)
	v_and_b32_e32 v17, 0xff, v64
	v_cmp_le_u16_e64 s13, v17, v15
	s_and_b32 s12, s12, s13
	s_wait_alu 0xfffe
	s_or_b32 s12, s14, s12
	s_wait_alu 0xfffe
	v_cndmask_b32_e64 v20, v12, v5, s12
	v_cndmask_b32_e64 v15, v51, v31, s12
	;; [unrolled: 1-line block ×3, first 2 shown]
	s_delay_alu instid0(VALU_DEP_3) | instskip(NEXT) | instid1(VALU_DEP_3)
	v_add_nc_u32_e32 v16, 1, v20
	v_add_nc_u32_e32 v15, -1, v15
	v_lshl_add_u32 v23, v20, 3, v10
	s_delay_alu instid0(VALU_DEP_3) | instskip(NEXT) | instid1(VALU_DEP_3)
	v_cndmask_b32_e64 v5, v5, v16, s12
	v_min_u32_e32 v15, v16, v15
	v_cndmask_b32_e64 v12, v16, v12, s12
	s_delay_alu instid0(VALU_DEP_3) | instskip(NEXT) | instid1(VALU_DEP_3)
	v_cmp_lt_u32_e64 s13, v5, v31
	v_add_nc_u32_e32 v15, v9, v15
	s_delay_alu instid0(VALU_DEP_3) | instskip(SKIP_4) | instid1(VALU_DEP_2)
	v_cmp_ge_u32_e64 s15, v12, v51
	ds_load_u8 v15, v15
	s_wait_dscnt 0x0
	v_cndmask_b32_e64 v65, v15, v55, s12
	v_cndmask_b32_e64 v66, v64, v15, s12
	v_and_b32_e32 v15, 0xff, v65
	s_delay_alu instid0(VALU_DEP_2) | instskip(NEXT) | instid1(VALU_DEP_1)
	v_and_b32_e32 v17, 0xff, v66
	v_cmp_le_u16_e64 s14, v17, v15
	s_and_b32 s13, s13, s14
	s_wait_alu 0xfffe
	s_or_b32 s13, s15, s13
	s_wait_alu 0xfffe
	v_cndmask_b32_e64 v21, v12, v5, s13
	v_cndmask_b32_e64 v15, v51, v31, s13
	;; [unrolled: 1-line block ×3, first 2 shown]
	s_delay_alu instid0(VALU_DEP_3) | instskip(NEXT) | instid1(VALU_DEP_3)
	v_add_nc_u32_e32 v16, 1, v21
	v_add_nc_u32_e32 v15, -1, v15
	s_delay_alu instid0(VALU_DEP_2) | instskip(NEXT) | instid1(VALU_DEP_2)
	v_cndmask_b32_e64 v22, v5, v16, s13
	v_min_u32_e32 v15, v16, v15
	v_cndmask_b32_e64 v12, v16, v12, s13
	v_lshl_add_u32 v16, v14, 3, v10
	s_delay_alu instid0(VALU_DEP_4) | instskip(NEXT) | instid1(VALU_DEP_4)
	v_cmp_lt_u32_e64 s14, v22, v31
	v_add_nc_u32_e32 v15, v9, v15
	s_delay_alu instid0(VALU_DEP_4)
	v_cmp_ge_u32_e64 s16, v12, v51
	v_lshl_add_u32 v31, v21, 3, v10
	ds_load_u8 v15, v15
	s_wait_dscnt 0x0
	v_cndmask_b32_e64 v67, v15, v65, s13
	v_cndmask_b32_e64 v68, v66, v15, s13
	s_delay_alu instid0(VALU_DEP_2) | instskip(NEXT) | instid1(VALU_DEP_2)
	v_and_b32_e32 v5, 0xff, v67
	v_and_b32_e32 v15, 0xff, v68
	s_delay_alu instid0(VALU_DEP_1)
	v_cmp_le_u16_e64 s15, v15, v5
	ds_load_b64 v[4:5], v4 offset:2048
	ds_load_b64 v[14:15], v13 offset:2048
	v_lshl_add_u32 v13, v18, 3, v10
	ds_load_b64 v[16:17], v16 offset:2048
	s_and_b32 s14, s14, s15
	s_wait_alu 0xfffe
	s_or_b32 s14, s16, s14
	s_wait_alu 0xfffe
	v_cndmask_b32_e64 v12, v12, v22, s14
	v_lshl_add_u32 v22, v19, 3, v10
	s_delay_alu instid0(VALU_DEP_2)
	v_lshl_add_u32 v48, v12, 3, v10
	ds_load_b64 v[18:19], v13 offset:2048
	ds_load_b64 v[20:21], v22 offset:2048
	;; [unrolled: 1-line block ×5, first 2 shown]
	v_cndmask_b32_e64 v48, v37, v38, s8
	v_cndmask_b32_e64 v38, v53, v54, s11
	;; [unrolled: 1-line block ×3, first 2 shown]
.LBB1650_214:
	s_wait_alu 0xfffe
	s_or_b32 exec_lo, exec_lo, s18
	v_and_b32_e32 v51, 0x80, v34
	v_perm_b32 v52, v38, v36, 0xc0c0004
	v_perm_b32 v53, v39, v37, 0xc0c0004
	;; [unrolled: 1-line block ×4, first 2 shown]
	v_or_b32_e32 v31, 64, v51
	s_mov_b32 s8, exec_lo
	v_lshl_or_b32 v55, v53, 16, v52
	s_delay_alu instid0(VALU_DEP_3) | instskip(NEXT) | instid1(VALU_DEP_3)
	v_lshl_or_b32 v54, v64, 16, v54
	v_min_u32_e32 v31, v11, v31
	; wave barrier
	s_wait_dscnt 0x6
	ds_store_2addr_b64 v29, v[4:5], v[14:15] offset1:1
	s_wait_dscnt 0x5
	ds_store_2addr_b64 v27, v[16:17], v[18:19] offset1:1
	ds_store_b64 v30, v[54:55]
	s_wait_dscnt 0x5
	ds_store_2addr_b64 v26, v[20:21], v[24:25] offset1:1
	s_wait_dscnt 0x4
	ds_store_2addr_b64 v28, v[12:13], v[22:23] offset1:1
	; wave barrier
	v_add_nc_u32_e32 v34, 64, v31
	v_sub_nc_u32_e32 v66, v31, v51
	s_delay_alu instid0(VALU_DEP_2) | instskip(SKIP_1) | instid1(VALU_DEP_2)
	v_min_u32_e32 v34, v11, v34
	v_min_u32_e32 v11, v11, v32
	v_sub_nc_u32_e32 v65, v34, v31
	s_delay_alu instid0(VALU_DEP_2) | instskip(NEXT) | instid1(VALU_DEP_2)
	v_min_u32_e32 v53, v11, v66
	v_sub_nc_u32_e64 v52, v11, v65 clamp
	s_delay_alu instid0(VALU_DEP_1)
	v_cmpx_lt_u32_e64 v52, v53
	s_cbranch_execz .LBB1650_218
; %bb.215:
	v_add_nc_u32_e32 v26, v9, v51
	v_add3_u32 v27, v9, v31, v11
	s_mov_b32 s9, 0
.LBB1650_216:                           ; =>This Inner Loop Header: Depth=1
	v_add_nc_u32_e32 v28, v53, v52
	s_delay_alu instid0(VALU_DEP_1) | instskip(NEXT) | instid1(VALU_DEP_1)
	v_lshrrev_b32_e32 v28, 1, v28
	v_add_nc_u32_e32 v29, v26, v28
	v_xad_u32 v30, v28, -1, v27
	v_add_nc_u32_e32 v54, 1, v28
	ds_load_u8 v29, v29
	ds_load_u8 v30, v30
	s_wait_dscnt 0x0
	v_cmp_gt_u16_e64 s7, v29, v30
	s_wait_alu 0xf1ff
	s_delay_alu instid0(VALU_DEP_1) | instskip(SKIP_1) | instid1(VALU_DEP_1)
	v_cndmask_b32_e64 v53, v53, v28, s7
	v_cndmask_b32_e64 v52, v54, v52, s7
	v_cmp_ge_u32_e64 s7, v52, v53
	s_wait_alu 0xfffe
	s_or_b32 s9, s7, s9
	s_wait_alu 0xfffe
	s_and_not1_b32 exec_lo, exec_lo, s9
	s_cbranch_execnz .LBB1650_216
; %bb.217:
	s_or_b32 exec_lo, exec_lo, s9
.LBB1650_218:
	s_wait_alu 0xfffe
	s_or_b32 exec_lo, exec_lo, s8
	v_add_nc_u32_e32 v11, v31, v11
	v_add_nc_u32_e32 v28, v52, v51
	s_delay_alu instid0(VALU_DEP_2) | instskip(NEXT) | instid1(VALU_DEP_2)
	v_sub_nc_u32_e32 v27, v11, v52
	v_cmp_le_u32_e64 s7, v28, v31
	s_delay_alu instid0(VALU_DEP_2)
	v_cmp_le_u32_e64 s8, v27, v34
	s_or_b32 s7, s7, s8
	s_wait_alu 0xfffe
	s_and_saveexec_b32 s18, s7
	s_cbranch_execz .LBB1650_224
; %bb.219:
	v_cmp_lt_u32_e64 s7, v28, v31
                                        ; implicit-def: $vgpr11
	s_and_saveexec_b32 s8, s7
; %bb.220:
	v_add_nc_u32_e32 v4, v9, v28
	ds_load_u8 v11, v4
; %bb.221:
	s_wait_alu 0xfffe
	s_or_b32 exec_lo, exec_lo, s8
	v_cmp_ge_u32_e64 s8, v27, v34
	s_mov_b32 s10, exec_lo
                                        ; implicit-def: $vgpr26
	v_cmpx_lt_u32_e64 v27, v34
; %bb.222:
	v_add_nc_u32_e32 v4, v9, v27
	ds_load_u8 v26, v4
; %bb.223:
	s_wait_alu 0xfffe
	s_or_b32 exec_lo, exec_lo, s10
	s_wait_dscnt 0x0
	v_and_b32_e32 v4, 0xff, v26
	v_and_b32_e32 v5, 0xff, v11
	s_delay_alu instid0(VALU_DEP_1)
	v_cmp_le_u16_e64 s9, v5, v4
	s_and_b32 s7, s7, s9
	s_wait_alu 0xfffe
	s_or_b32 s7, s8, s7
	s_wait_alu 0xfffe
	v_cndmask_b32_e64 v4, v27, v28, s7
	v_cndmask_b32_e64 v5, v34, v31, s7
	;; [unrolled: 1-line block ×3, first 2 shown]
	s_delay_alu instid0(VALU_DEP_3) | instskip(NEXT) | instid1(VALU_DEP_3)
	v_add_nc_u32_e32 v12, 1, v4
	v_add_nc_u32_e32 v5, -1, v5
	v_lshl_add_u32 v4, v4, 3, v10
	s_delay_alu instid0(VALU_DEP_2) | instskip(NEXT) | instid1(VALU_DEP_1)
	v_min_u32_e32 v5, v12, v5
	v_add_nc_u32_e32 v5, v9, v5
	ds_load_u8 v5, v5
	s_wait_dscnt 0x0
	v_cndmask_b32_e64 v29, v5, v26, s7
	v_cndmask_b32_e64 v30, v11, v5, s7
	;; [unrolled: 1-line block ×4, first 2 shown]
	s_delay_alu instid0(VALU_DEP_4) | instskip(NEXT) | instid1(VALU_DEP_4)
	v_and_b32_e32 v13, 0xff, v29
	v_and_b32_e32 v14, 0xff, v30
	s_delay_alu instid0(VALU_DEP_4) | instskip(NEXT) | instid1(VALU_DEP_4)
	v_cmp_lt_u32_e64 s8, v5, v31
	v_cmp_ge_u32_e64 s10, v12, v34
	s_delay_alu instid0(VALU_DEP_3)
	v_cmp_le_u16_e64 s9, v14, v13
	s_and_b32 s8, s8, s9
	s_wait_alu 0xfffe
	s_or_b32 s8, s10, s8
	s_wait_alu 0xfffe
	v_cndmask_b32_e64 v13, v12, v5, s8
	v_cndmask_b32_e64 v14, v34, v31, s8
	v_cndmask_b32_e64 v48, v29, v30, s8
	s_delay_alu instid0(VALU_DEP_3) | instskip(NEXT) | instid1(VALU_DEP_3)
	v_add_nc_u32_e32 v15, 1, v13
	v_add_nc_u32_e32 v14, -1, v14
	v_lshl_add_u32 v13, v13, 3, v10
	s_delay_alu instid0(VALU_DEP_3) | instskip(NEXT) | instid1(VALU_DEP_3)
	v_cndmask_b32_e64 v5, v5, v15, s8
	v_min_u32_e32 v14, v15, v14
	v_cndmask_b32_e64 v12, v15, v12, s8
	s_delay_alu instid0(VALU_DEP_3) | instskip(NEXT) | instid1(VALU_DEP_3)
	v_cmp_lt_u32_e64 s9, v5, v31
	v_add_nc_u32_e32 v14, v9, v14
	s_delay_alu instid0(VALU_DEP_3) | instskip(SKIP_4) | instid1(VALU_DEP_2)
	v_cmp_ge_u32_e64 s11, v12, v34
	ds_load_u8 v14, v14
	s_wait_dscnt 0x0
	v_cndmask_b32_e64 v27, v14, v29, s8
	v_cndmask_b32_e64 v28, v30, v14, s8
	v_and_b32_e32 v14, 0xff, v27
	s_delay_alu instid0(VALU_DEP_2) | instskip(NEXT) | instid1(VALU_DEP_1)
	v_and_b32_e32 v16, 0xff, v28
	v_cmp_le_u16_e64 s10, v16, v14
	s_and_b32 s9, s9, s10
	s_wait_alu 0xfffe
	s_or_b32 s9, s11, s9
	s_wait_alu 0xfffe
	v_cndmask_b32_e64 v14, v12, v5, s9
	v_cndmask_b32_e64 v15, v34, v31, s9
	;; [unrolled: 1-line block ×3, first 2 shown]
	s_delay_alu instid0(VALU_DEP_3) | instskip(NEXT) | instid1(VALU_DEP_3)
	v_add_nc_u32_e32 v16, 1, v14
	v_add_nc_u32_e32 v15, -1, v15
	s_delay_alu instid0(VALU_DEP_2) | instskip(NEXT) | instid1(VALU_DEP_2)
	v_cndmask_b32_e64 v5, v5, v16, s9
	v_min_u32_e32 v15, v16, v15
	v_cndmask_b32_e64 v12, v16, v12, s9
	s_delay_alu instid0(VALU_DEP_3) | instskip(NEXT) | instid1(VALU_DEP_3)
	v_cmp_lt_u32_e64 s10, v5, v31
	v_add_nc_u32_e32 v15, v9, v15
	s_delay_alu instid0(VALU_DEP_3) | instskip(SKIP_4) | instid1(VALU_DEP_2)
	v_cmp_ge_u32_e64 s12, v12, v34
	ds_load_u8 v15, v15
	s_wait_dscnt 0x0
	v_cndmask_b32_e64 v36, v15, v27, s9
	v_cndmask_b32_e64 v37, v28, v15, s9
	v_and_b32_e32 v15, 0xff, v36
	s_delay_alu instid0(VALU_DEP_2) | instskip(NEXT) | instid1(VALU_DEP_1)
	v_and_b32_e32 v17, 0xff, v37
	v_cmp_le_u16_e64 s11, v17, v15
	s_and_b32 s10, s10, s11
	s_wait_alu 0xfffe
	s_or_b32 s10, s12, s10
	s_wait_alu 0xfffe
	v_cndmask_b32_e64 v18, v12, v5, s10
	v_cndmask_b32_e64 v15, v34, v31, s10
	;; [unrolled: 1-line block ×3, first 2 shown]
	s_delay_alu instid0(VALU_DEP_3) | instskip(NEXT) | instid1(VALU_DEP_3)
	v_add_nc_u32_e32 v16, 1, v18
	v_add_nc_u32_e32 v15, -1, v15
	s_delay_alu instid0(VALU_DEP_2) | instskip(NEXT) | instid1(VALU_DEP_2)
	v_cndmask_b32_e64 v5, v5, v16, s10
	v_min_u32_e32 v15, v16, v15
	v_cndmask_b32_e64 v12, v16, v12, s10
	s_delay_alu instid0(VALU_DEP_3) | instskip(NEXT) | instid1(VALU_DEP_3)
	v_cmp_lt_u32_e64 s11, v5, v31
	v_add_nc_u32_e32 v15, v9, v15
	s_delay_alu instid0(VALU_DEP_3) | instskip(SKIP_4) | instid1(VALU_DEP_2)
	v_cmp_ge_u32_e64 s13, v12, v34
	ds_load_u8 v15, v15
	s_wait_dscnt 0x0
	v_cndmask_b32_e64 v38, v15, v36, s10
	v_cndmask_b32_e64 v39, v37, v15, s10
	v_and_b32_e32 v15, 0xff, v38
	s_delay_alu instid0(VALU_DEP_2) | instskip(NEXT) | instid1(VALU_DEP_1)
	v_and_b32_e32 v17, 0xff, v39
	v_cmp_le_u16_e64 s12, v17, v15
	s_and_b32 s11, s11, s12
	s_wait_alu 0xfffe
	s_or_b32 s11, s13, s11
	s_wait_alu 0xfffe
	v_cndmask_b32_e64 v19, v12, v5, s11
	v_cndmask_b32_e64 v15, v34, v31, s11
	s_delay_alu instid0(VALU_DEP_2) | instskip(NEXT) | instid1(VALU_DEP_2)
	v_add_nc_u32_e32 v16, 1, v19
	v_add_nc_u32_e32 v15, -1, v15
	s_delay_alu instid0(VALU_DEP_2) | instskip(NEXT) | instid1(VALU_DEP_2)
	v_cndmask_b32_e64 v5, v5, v16, s11
	v_min_u32_e32 v15, v16, v15
	v_cndmask_b32_e64 v12, v16, v12, s11
	s_delay_alu instid0(VALU_DEP_3) | instskip(NEXT) | instid1(VALU_DEP_3)
	v_cmp_lt_u32_e64 s12, v5, v31
	v_add_nc_u32_e32 v15, v9, v15
	s_delay_alu instid0(VALU_DEP_3)
	v_cmp_ge_u32_e64 s14, v12, v34
	ds_load_u8 v15, v15
	s_wait_dscnt 0x0
	v_cndmask_b32_e64 v51, v15, v38, s11
	v_cndmask_b32_e64 v52, v39, v15, s11
	;; [unrolled: 1-line block ×3, first 2 shown]
	s_delay_alu instid0(VALU_DEP_3) | instskip(NEXT) | instid1(VALU_DEP_3)
	v_and_b32_e32 v15, 0xff, v51
	v_and_b32_e32 v17, 0xff, v52
	s_delay_alu instid0(VALU_DEP_1)
	v_cmp_le_u16_e64 s13, v17, v15
	s_and_b32 s12, s12, s13
	s_wait_alu 0xfffe
	s_or_b32 s12, s14, s12
	s_wait_alu 0xfffe
	v_cndmask_b32_e64 v20, v12, v5, s12
	v_cndmask_b32_e64 v15, v34, v31, s12
	;; [unrolled: 1-line block ×3, first 2 shown]
	s_delay_alu instid0(VALU_DEP_3) | instskip(NEXT) | instid1(VALU_DEP_3)
	v_add_nc_u32_e32 v16, 1, v20
	v_add_nc_u32_e32 v15, -1, v15
	v_lshl_add_u32 v23, v20, 3, v10
	s_delay_alu instid0(VALU_DEP_3) | instskip(NEXT) | instid1(VALU_DEP_3)
	v_cndmask_b32_e64 v5, v5, v16, s12
	v_min_u32_e32 v15, v16, v15
	v_cndmask_b32_e64 v12, v16, v12, s12
	s_delay_alu instid0(VALU_DEP_3) | instskip(NEXT) | instid1(VALU_DEP_3)
	v_cmp_lt_u32_e64 s13, v5, v31
	v_add_nc_u32_e32 v15, v9, v15
	s_delay_alu instid0(VALU_DEP_3) | instskip(SKIP_4) | instid1(VALU_DEP_2)
	v_cmp_ge_u32_e64 s15, v12, v34
	ds_load_u8 v15, v15
	s_wait_dscnt 0x0
	v_cndmask_b32_e64 v53, v15, v51, s12
	v_cndmask_b32_e64 v54, v52, v15, s12
	v_and_b32_e32 v15, 0xff, v53
	s_delay_alu instid0(VALU_DEP_2) | instskip(NEXT) | instid1(VALU_DEP_1)
	v_and_b32_e32 v17, 0xff, v54
	v_cmp_le_u16_e64 s14, v17, v15
	s_and_b32 s13, s13, s14
	s_wait_alu 0xfffe
	s_or_b32 s13, s15, s13
	s_wait_alu 0xfffe
	v_cndmask_b32_e64 v21, v12, v5, s13
	v_cndmask_b32_e64 v15, v34, v31, s13
	;; [unrolled: 1-line block ×3, first 2 shown]
	s_delay_alu instid0(VALU_DEP_3) | instskip(NEXT) | instid1(VALU_DEP_3)
	v_add_nc_u32_e32 v16, 1, v21
	v_add_nc_u32_e32 v15, -1, v15
	s_delay_alu instid0(VALU_DEP_2) | instskip(NEXT) | instid1(VALU_DEP_2)
	v_cndmask_b32_e64 v22, v5, v16, s13
	v_min_u32_e32 v15, v16, v15
	v_cndmask_b32_e64 v12, v16, v12, s13
	v_lshl_add_u32 v16, v14, 3, v10
	s_delay_alu instid0(VALU_DEP_4) | instskip(NEXT) | instid1(VALU_DEP_4)
	v_cmp_lt_u32_e64 s14, v22, v31
	v_add_nc_u32_e32 v9, v9, v15
	s_delay_alu instid0(VALU_DEP_4)
	v_cmp_ge_u32_e64 s16, v12, v34
	v_lshl_add_u32 v31, v21, 3, v10
	ds_load_u8 v9, v9
	s_wait_dscnt 0x0
	v_cndmask_b32_e64 v55, v9, v53, s13
	v_cndmask_b32_e64 v9, v54, v9, s13
	s_delay_alu instid0(VALU_DEP_2) | instskip(NEXT) | instid1(VALU_DEP_2)
	v_and_b32_e32 v5, 0xff, v55
	v_and_b32_e32 v15, 0xff, v9
	s_delay_alu instid0(VALU_DEP_1)
	v_cmp_le_u16_e64 s15, v15, v5
	ds_load_b64 v[4:5], v4 offset:2048
	ds_load_b64 v[14:15], v13 offset:2048
	v_lshl_add_u32 v13, v18, 3, v10
	ds_load_b64 v[16:17], v16 offset:2048
	s_and_b32 s14, s14, s15
	s_wait_alu 0xfffe
	s_or_b32 s14, s16, s14
	s_wait_alu 0xfffe
	v_cndmask_b32_e64 v12, v12, v22, s14
	v_lshl_add_u32 v22, v19, 3, v10
	v_cndmask_b32_e64 v37, v55, v9, s14
	s_delay_alu instid0(VALU_DEP_3)
	v_lshl_add_u32 v10, v12, 3, v10
	ds_load_b64 v[18:19], v13 offset:2048
	ds_load_b64 v[20:21], v22 offset:2048
	;; [unrolled: 1-line block ×5, first 2 shown]
.LBB1650_224:
	s_wait_alu 0xfffe
	s_or_b32 exec_lo, exec_lo, s18
	; wave barrier
	s_wait_storecnt_dscnt 0x0
	s_barrier_signal -1
	s_barrier_wait -1
	global_inv scope:SCOPE_SE
.LBB1650_225:
	s_wait_alu 0xfffe
	s_or_b32 exec_lo, exec_lo, s17
	v_add_co_u32 v2, s7, v2, v8
	s_wait_alu 0xf1ff
	v_add_co_ci_u32_e64 v3, null, 0, v3, s7
	s_delay_alu instid0(VALU_DEP_2) | instskip(SKIP_1) | instid1(VALU_DEP_2)
	v_add_co_u32 v2, s7, v2, v32
	s_wait_alu 0xf1ff
	v_add_co_ci_u32_e64 v3, null, 0, v3, s7
	; wave barrier
	s_and_saveexec_b32 s7, vcc_lo
	s_cbranch_execnz .LBB1650_250
; %bb.226:
	s_wait_alu 0xfffe
	s_or_b32 exec_lo, exec_lo, s7
	s_and_saveexec_b32 s7, s0
	s_cbranch_execnz .LBB1650_251
.LBB1650_227:
	s_wait_alu 0xfffe
	s_or_b32 exec_lo, exec_lo, s7
	s_and_saveexec_b32 s7, s1
	s_cbranch_execnz .LBB1650_252
.LBB1650_228:
	s_wait_alu 0xfffe
	s_or_b32 exec_lo, exec_lo, s7
	s_and_saveexec_b32 s7, s2
	s_cbranch_execnz .LBB1650_253
.LBB1650_229:
	s_wait_alu 0xfffe
	s_or_b32 exec_lo, exec_lo, s7
	s_and_saveexec_b32 s7, s3
	s_cbranch_execnz .LBB1650_254
.LBB1650_230:
	s_wait_alu 0xfffe
	s_or_b32 exec_lo, exec_lo, s7
	s_and_saveexec_b32 s7, s4
	s_cbranch_execnz .LBB1650_255
.LBB1650_231:
	s_wait_alu 0xfffe
	s_or_b32 exec_lo, exec_lo, s7
	s_and_saveexec_b32 s7, s5
	s_cbranch_execnz .LBB1650_256
.LBB1650_232:
	s_wait_alu 0xfffe
	s_or_b32 exec_lo, exec_lo, s7
	s_and_saveexec_b32 s7, s6
	s_cbranch_execz .LBB1650_234
.LBB1650_233:
	s_wait_loadcnt_dscnt 0x0
	flat_store_b8 v[2:3], v37 offset:7
.LBB1650_234:
	s_wait_alu 0xfffe
	s_or_b32 exec_lo, exec_lo, s7
	v_add_co_u32 v0, s7, v6, v0
	s_wait_alu 0xf1ff
	v_add_co_ci_u32_e64 v1, null, v7, v1, s7
	s_delay_alu instid0(VALU_DEP_2) | instskip(SKIP_1) | instid1(VALU_DEP_2)
	v_add_co_u32 v0, s7, v0, v33
	s_wait_alu 0xf1ff
	v_add_co_ci_u32_e64 v1, null, 0, v1, s7
	; wave barrier
	s_and_saveexec_b32 s7, vcc_lo
	s_cbranch_execnz .LBB1650_257
; %bb.235:
	s_wait_alu 0xfffe
	s_or_b32 exec_lo, exec_lo, s7
	s_and_saveexec_b32 s7, s0
	s_cbranch_execnz .LBB1650_258
.LBB1650_236:
	s_wait_alu 0xfffe
	s_or_b32 exec_lo, exec_lo, s7
	s_and_saveexec_b32 s0, s1
	s_cbranch_execnz .LBB1650_259
.LBB1650_237:
	s_wait_alu 0xfffe
	s_or_b32 exec_lo, exec_lo, s0
	s_and_saveexec_b32 s0, s2
	s_cbranch_execnz .LBB1650_260
.LBB1650_238:
	s_wait_alu 0xfffe
	s_or_b32 exec_lo, exec_lo, s0
	s_and_saveexec_b32 s0, s3
	s_cbranch_execnz .LBB1650_261
.LBB1650_239:
	s_wait_alu 0xfffe
	s_or_b32 exec_lo, exec_lo, s0
	s_and_saveexec_b32 s0, s4
	s_cbranch_execnz .LBB1650_262
.LBB1650_240:
	s_wait_alu 0xfffe
	s_or_b32 exec_lo, exec_lo, s0
	s_and_saveexec_b32 s0, s5
	s_cbranch_execnz .LBB1650_263
.LBB1650_241:
	s_wait_alu 0xfffe
	s_or_b32 exec_lo, exec_lo, s0
	s_and_saveexec_b32 s0, s6
	s_cbranch_execnz .LBB1650_264
.LBB1650_242:
	s_wait_alu 0xfffe
	s_or_b32 exec_lo, exec_lo, s0
	s_wait_loadcnt_dscnt 0x0
	s_setpc_b64 s[30:31]
.LBB1650_243:
	flat_load_b64 v[4:5], v[26:27]
	s_wait_alu 0xfffe
	s_or_b32 exec_lo, exec_lo, s7
	s_and_saveexec_b32 s7, s0
                                        ; implicit-def: $vgpr14_vgpr15
	s_cbranch_execz .LBB1650_18
.LBB1650_244:
	flat_load_b64 v[14:15], v[26:27] offset:8
	s_wait_alu 0xfffe
	s_or_b32 exec_lo, exec_lo, s7
                                        ; implicit-def: $vgpr16_vgpr17
	s_and_saveexec_b32 s7, s1
	s_cbranch_execz .LBB1650_19
.LBB1650_245:
	flat_load_b64 v[16:17], v[26:27] offset:16
	s_wait_alu 0xfffe
	s_or_b32 exec_lo, exec_lo, s7
	s_and_saveexec_b32 s7, s2
                                        ; implicit-def: $vgpr18_vgpr19
	s_cbranch_execz .LBB1650_20
.LBB1650_246:
	flat_load_b64 v[18:19], v[26:27] offset:24
	s_wait_alu 0xfffe
	s_or_b32 exec_lo, exec_lo, s7
                                        ; implicit-def: $vgpr20_vgpr21
	s_and_saveexec_b32 s7, s3
	s_cbranch_execz .LBB1650_21
.LBB1650_247:
	flat_load_b64 v[20:21], v[26:27] offset:32
	s_wait_alu 0xfffe
	s_or_b32 exec_lo, exec_lo, s7
	s_and_saveexec_b32 s7, s4
                                        ; implicit-def: $vgpr24_vgpr25
	s_cbranch_execz .LBB1650_22
.LBB1650_248:
	flat_load_b64 v[24:25], v[26:27] offset:40
	s_wait_alu 0xfffe
	s_or_b32 exec_lo, exec_lo, s7
                                        ; implicit-def: $vgpr12_vgpr13
	s_and_saveexec_b32 s7, s5
	s_cbranch_execz .LBB1650_23
.LBB1650_249:
	flat_load_b64 v[12:13], v[26:27] offset:48
	s_wait_alu 0xfffe
	s_or_b32 exec_lo, exec_lo, s7
	s_and_saveexec_b32 s7, s6
                                        ; implicit-def: $vgpr22_vgpr23
	s_cbranch_execnz .LBB1650_24
	s_branch .LBB1650_25
.LBB1650_250:
	s_wait_loadcnt_dscnt 0x0
	flat_store_b8 v[2:3], v35
	s_wait_alu 0xfffe
	s_or_b32 exec_lo, exec_lo, s7
	s_and_saveexec_b32 s7, s0
	s_cbranch_execz .LBB1650_227
.LBB1650_251:
	s_wait_loadcnt_dscnt 0x0
	flat_store_b8 v[2:3], v48 offset:1
	s_wait_alu 0xfffe
	s_or_b32 exec_lo, exec_lo, s7
	s_and_saveexec_b32 s7, s1
	s_cbranch_execz .LBB1650_228
.LBB1650_252:
	s_wait_loadcnt_dscnt 0x0
	flat_store_b8 v[2:3], v49 offset:2
	s_wait_alu 0xfffe
	s_or_b32 exec_lo, exec_lo, s7
	s_and_saveexec_b32 s7, s2
	s_cbranch_execz .LBB1650_229
.LBB1650_253:
	s_wait_loadcnt_dscnt 0x0
	flat_store_b8 v[2:3], v50 offset:3
	s_wait_alu 0xfffe
	s_or_b32 exec_lo, exec_lo, s7
	s_and_saveexec_b32 s7, s3
	s_cbranch_execz .LBB1650_230
.LBB1650_254:
	s_wait_loadcnt_dscnt 0x0
	flat_store_b8 v[2:3], v38 offset:4
	s_wait_alu 0xfffe
	s_or_b32 exec_lo, exec_lo, s7
	s_and_saveexec_b32 s7, s4
	s_cbranch_execz .LBB1650_231
.LBB1650_255:
	s_wait_loadcnt_dscnt 0x0
	flat_store_b8 v[2:3], v36 offset:5
	s_wait_alu 0xfffe
	s_or_b32 exec_lo, exec_lo, s7
	s_and_saveexec_b32 s7, s5
	s_cbranch_execz .LBB1650_232
.LBB1650_256:
	s_wait_loadcnt_dscnt 0x0
	flat_store_b8 v[2:3], v39 offset:6
	s_wait_alu 0xfffe
	s_or_b32 exec_lo, exec_lo, s7
	s_and_saveexec_b32 s7, s6
	s_cbranch_execnz .LBB1650_233
	s_branch .LBB1650_234
.LBB1650_257:
	s_wait_loadcnt_dscnt 0x0
	flat_store_b64 v[0:1], v[4:5]
	s_wait_alu 0xfffe
	s_or_b32 exec_lo, exec_lo, s7
	s_and_saveexec_b32 s7, s0
	s_cbranch_execz .LBB1650_236
.LBB1650_258:
	s_wait_loadcnt_dscnt 0x0
	flat_store_b64 v[0:1], v[14:15] offset:8
	s_wait_alu 0xfffe
	s_or_b32 exec_lo, exec_lo, s7
	s_and_saveexec_b32 s0, s1
	s_cbranch_execz .LBB1650_237
.LBB1650_259:
	s_wait_loadcnt_dscnt 0x0
	flat_store_b64 v[0:1], v[16:17] offset:16
	s_wait_alu 0xfffe
	s_or_b32 exec_lo, exec_lo, s0
	s_and_saveexec_b32 s0, s2
	s_cbranch_execz .LBB1650_238
.LBB1650_260:
	s_wait_loadcnt_dscnt 0x0
	flat_store_b64 v[0:1], v[18:19] offset:24
	s_wait_alu 0xfffe
	s_or_b32 exec_lo, exec_lo, s0
	s_and_saveexec_b32 s0, s3
	s_cbranch_execz .LBB1650_239
.LBB1650_261:
	s_wait_loadcnt_dscnt 0x0
	flat_store_b64 v[0:1], v[20:21] offset:32
	s_wait_alu 0xfffe
	s_or_b32 exec_lo, exec_lo, s0
	s_and_saveexec_b32 s0, s4
	s_cbranch_execz .LBB1650_240
.LBB1650_262:
	s_wait_loadcnt_dscnt 0x0
	flat_store_b64 v[0:1], v[24:25] offset:40
	s_wait_alu 0xfffe
	s_or_b32 exec_lo, exec_lo, s0
	s_and_saveexec_b32 s0, s5
	s_cbranch_execz .LBB1650_241
.LBB1650_263:
	s_wait_loadcnt_dscnt 0x0
	flat_store_b64 v[0:1], v[12:13] offset:48
	s_wait_alu 0xfffe
	s_or_b32 exec_lo, exec_lo, s0
	s_and_saveexec_b32 s0, s6
	s_cbranch_execz .LBB1650_242
.LBB1650_264:
	s_wait_loadcnt_dscnt 0x0
	flat_store_b64 v[0:1], v[22:23] offset:56
	s_wait_alu 0xfffe
	s_or_b32 exec_lo, exec_lo, s0
	s_wait_dscnt 0x0
	s_setpc_b64 s[30:31]
.Lfunc_end1650:
	.size	_ZN7rocprim17ROCPRIM_400000_NS6detail26segmented_warp_sort_helperINS1_20WarpSortHelperConfigILj16ELj8ELj256EEEblLi256ELb0EvE4sortIPKbPbPKlPlEEvT_T0_T1_T2_jjjjRNS5_12storage_typeE, .Lfunc_end1650-_ZN7rocprim17ROCPRIM_400000_NS6detail26segmented_warp_sort_helperINS1_20WarpSortHelperConfigILj16ELj8ELj256EEEblLi256ELb0EvE4sortIPKbPbPKlPlEEvT_T0_T1_T2_jjjjRNS5_12storage_typeE
                                        ; -- End function
	.set .L_ZN7rocprim17ROCPRIM_400000_NS6detail26segmented_warp_sort_helperINS1_20WarpSortHelperConfigILj16ELj8ELj256EEEblLi256ELb0EvE4sortIPKbPbPKlPlEEvT_T0_T1_T2_jjjjRNS5_12storage_typeE.num_vgpr, 71
	.set .L_ZN7rocprim17ROCPRIM_400000_NS6detail26segmented_warp_sort_helperINS1_20WarpSortHelperConfigILj16ELj8ELj256EEEblLi256ELb0EvE4sortIPKbPbPKlPlEEvT_T0_T1_T2_jjjjRNS5_12storage_typeE.num_agpr, 0
	.set .L_ZN7rocprim17ROCPRIM_400000_NS6detail26segmented_warp_sort_helperINS1_20WarpSortHelperConfigILj16ELj8ELj256EEEblLi256ELb0EvE4sortIPKbPbPKlPlEEvT_T0_T1_T2_jjjjRNS5_12storage_typeE.numbered_sgpr, 33
	.set .L_ZN7rocprim17ROCPRIM_400000_NS6detail26segmented_warp_sort_helperINS1_20WarpSortHelperConfigILj16ELj8ELj256EEEblLi256ELb0EvE4sortIPKbPbPKlPlEEvT_T0_T1_T2_jjjjRNS5_12storage_typeE.num_named_barrier, 0
	.set .L_ZN7rocprim17ROCPRIM_400000_NS6detail26segmented_warp_sort_helperINS1_20WarpSortHelperConfigILj16ELj8ELj256EEEblLi256ELb0EvE4sortIPKbPbPKlPlEEvT_T0_T1_T2_jjjjRNS5_12storage_typeE.private_seg_size, 12
	.set .L_ZN7rocprim17ROCPRIM_400000_NS6detail26segmented_warp_sort_helperINS1_20WarpSortHelperConfigILj16ELj8ELj256EEEblLi256ELb0EvE4sortIPKbPbPKlPlEEvT_T0_T1_T2_jjjjRNS5_12storage_typeE.uses_vcc, 1
	.set .L_ZN7rocprim17ROCPRIM_400000_NS6detail26segmented_warp_sort_helperINS1_20WarpSortHelperConfigILj16ELj8ELj256EEEblLi256ELb0EvE4sortIPKbPbPKlPlEEvT_T0_T1_T2_jjjjRNS5_12storage_typeE.uses_flat_scratch, 1
	.set .L_ZN7rocprim17ROCPRIM_400000_NS6detail26segmented_warp_sort_helperINS1_20WarpSortHelperConfigILj16ELj8ELj256EEEblLi256ELb0EvE4sortIPKbPbPKlPlEEvT_T0_T1_T2_jjjjRNS5_12storage_typeE.has_dyn_sized_stack, 0
	.set .L_ZN7rocprim17ROCPRIM_400000_NS6detail26segmented_warp_sort_helperINS1_20WarpSortHelperConfigILj16ELj8ELj256EEEblLi256ELb0EvE4sortIPKbPbPKlPlEEvT_T0_T1_T2_jjjjRNS5_12storage_typeE.has_recursion, 0
	.set .L_ZN7rocprim17ROCPRIM_400000_NS6detail26segmented_warp_sort_helperINS1_20WarpSortHelperConfigILj16ELj8ELj256EEEblLi256ELb0EvE4sortIPKbPbPKlPlEEvT_T0_T1_T2_jjjjRNS5_12storage_typeE.has_indirect_call, 0
	.section	.AMDGPU.csdata,"",@progbits
; Function info:
; codeLenInByte = 22316
; TotalNumSgprs: 35
; NumVgprs: 71
; ScratchSize: 12
; MemoryBound: 0
	.section	.text._ZN7rocprim17ROCPRIM_400000_NS6detail17trampoline_kernelINS0_14default_configENS1_36segmented_radix_sort_config_selectorIblEEZNS1_25segmented_radix_sort_implIS3_Lb0EPKbPbPKlPlN2at6native12_GLOBAL__N_18offset_tEEE10hipError_tPvRmT1_PNSt15iterator_traitsISK_E10value_typeET2_T3_PNSL_ISQ_E10value_typeET4_jRbjT5_SW_jjP12ihipStream_tbEUlT_E0_NS1_11comp_targetILNS1_3genE10ELNS1_11target_archE1201ELNS1_3gpuE5ELNS1_3repE0EEENS1_60segmented_radix_sort_warp_sort_medium_config_static_selectorELNS0_4arch9wavefront6targetE0EEEvSK_,"axG",@progbits,_ZN7rocprim17ROCPRIM_400000_NS6detail17trampoline_kernelINS0_14default_configENS1_36segmented_radix_sort_config_selectorIblEEZNS1_25segmented_radix_sort_implIS3_Lb0EPKbPbPKlPlN2at6native12_GLOBAL__N_18offset_tEEE10hipError_tPvRmT1_PNSt15iterator_traitsISK_E10value_typeET2_T3_PNSL_ISQ_E10value_typeET4_jRbjT5_SW_jjP12ihipStream_tbEUlT_E0_NS1_11comp_targetILNS1_3genE10ELNS1_11target_archE1201ELNS1_3gpuE5ELNS1_3repE0EEENS1_60segmented_radix_sort_warp_sort_medium_config_static_selectorELNS0_4arch9wavefront6targetE0EEEvSK_,comdat
	.globl	_ZN7rocprim17ROCPRIM_400000_NS6detail17trampoline_kernelINS0_14default_configENS1_36segmented_radix_sort_config_selectorIblEEZNS1_25segmented_radix_sort_implIS3_Lb0EPKbPbPKlPlN2at6native12_GLOBAL__N_18offset_tEEE10hipError_tPvRmT1_PNSt15iterator_traitsISK_E10value_typeET2_T3_PNSL_ISQ_E10value_typeET4_jRbjT5_SW_jjP12ihipStream_tbEUlT_E0_NS1_11comp_targetILNS1_3genE10ELNS1_11target_archE1201ELNS1_3gpuE5ELNS1_3repE0EEENS1_60segmented_radix_sort_warp_sort_medium_config_static_selectorELNS0_4arch9wavefront6targetE0EEEvSK_ ; -- Begin function _ZN7rocprim17ROCPRIM_400000_NS6detail17trampoline_kernelINS0_14default_configENS1_36segmented_radix_sort_config_selectorIblEEZNS1_25segmented_radix_sort_implIS3_Lb0EPKbPbPKlPlN2at6native12_GLOBAL__N_18offset_tEEE10hipError_tPvRmT1_PNSt15iterator_traitsISK_E10value_typeET2_T3_PNSL_ISQ_E10value_typeET4_jRbjT5_SW_jjP12ihipStream_tbEUlT_E0_NS1_11comp_targetILNS1_3genE10ELNS1_11target_archE1201ELNS1_3gpuE5ELNS1_3repE0EEENS1_60segmented_radix_sort_warp_sort_medium_config_static_selectorELNS0_4arch9wavefront6targetE0EEEvSK_
	.p2align	8
	.type	_ZN7rocprim17ROCPRIM_400000_NS6detail17trampoline_kernelINS0_14default_configENS1_36segmented_radix_sort_config_selectorIblEEZNS1_25segmented_radix_sort_implIS3_Lb0EPKbPbPKlPlN2at6native12_GLOBAL__N_18offset_tEEE10hipError_tPvRmT1_PNSt15iterator_traitsISK_E10value_typeET2_T3_PNSL_ISQ_E10value_typeET4_jRbjT5_SW_jjP12ihipStream_tbEUlT_E0_NS1_11comp_targetILNS1_3genE10ELNS1_11target_archE1201ELNS1_3gpuE5ELNS1_3repE0EEENS1_60segmented_radix_sort_warp_sort_medium_config_static_selectorELNS0_4arch9wavefront6targetE0EEEvSK_,@function
_ZN7rocprim17ROCPRIM_400000_NS6detail17trampoline_kernelINS0_14default_configENS1_36segmented_radix_sort_config_selectorIblEEZNS1_25segmented_radix_sort_implIS3_Lb0EPKbPbPKlPlN2at6native12_GLOBAL__N_18offset_tEEE10hipError_tPvRmT1_PNSt15iterator_traitsISK_E10value_typeET2_T3_PNSL_ISQ_E10value_typeET4_jRbjT5_SW_jjP12ihipStream_tbEUlT_E0_NS1_11comp_targetILNS1_3genE10ELNS1_11target_archE1201ELNS1_3gpuE5ELNS1_3repE0EEENS1_60segmented_radix_sort_warp_sort_medium_config_static_selectorELNS0_4arch9wavefront6targetE0EEEvSK_: ; @_ZN7rocprim17ROCPRIM_400000_NS6detail17trampoline_kernelINS0_14default_configENS1_36segmented_radix_sort_config_selectorIblEEZNS1_25segmented_radix_sort_implIS3_Lb0EPKbPbPKlPlN2at6native12_GLOBAL__N_18offset_tEEE10hipError_tPvRmT1_PNSt15iterator_traitsISK_E10value_typeET2_T3_PNSL_ISQ_E10value_typeET4_jRbjT5_SW_jjP12ihipStream_tbEUlT_E0_NS1_11comp_targetILNS1_3genE10ELNS1_11target_archE1201ELNS1_3gpuE5ELNS1_3repE0EEENS1_60segmented_radix_sort_warp_sort_medium_config_static_selectorELNS0_4arch9wavefront6targetE0EEEvSK_
; %bb.0:
	s_load_b32 s2, s[0:1], 0x64
	v_bfe_u32 v1, v0, 10, 10
	v_bfe_u32 v2, v0, 20, 10
	s_mov_b32 s32, 0
	s_wait_kmcnt 0x0
	s_lshr_b32 s3, s2, 16
	s_and_b32 s2, s2, 0xffff
	v_mad_u32_u24 v2, v2, s3, v1
	v_and_b32_e32 v1, 0x3ff, v0
	s_load_b32 s3, s[0:1], 0x34
	s_delay_alu instid0(VALU_DEP_1) | instskip(SKIP_2) | instid1(VALU_DEP_1)
	v_mad_co_u64_u32 v[1:2], null, v2, s2, v[1:2]
	s_mov_b32 s2, exec_lo
	v_lshrrev_b32_e32 v1, 4, v1
	v_lshl_add_u32 v1, ttmp9, 4, v1
	s_wait_kmcnt 0x0
	s_delay_alu instid0(VALU_DEP_1)
	v_cmpx_gt_u32_e64 s3, v1
	s_cbranch_execz .LBB1651_6
; %bb.1:
	s_clause 0x1
	s_load_b64 s[2:3], s[0:1], 0x38
	s_load_b128 s[4:7], s[0:1], 0x40
	v_mov_b32_e32 v2, 0
	s_delay_alu instid0(VALU_DEP_1) | instskip(SKIP_1) | instid1(VALU_DEP_1)
	v_lshlrev_b64_e32 v[1:2], 2, v[1:2]
	s_wait_kmcnt 0x0
	v_add_co_u32 v1, vcc_lo, s2, v1
	s_delay_alu instid0(VALU_DEP_1) | instskip(SKIP_4) | instid1(VALU_DEP_2)
	v_add_co_ci_u32_e64 v2, null, s3, v2, vcc_lo
	global_load_b32 v1, v[1:2], off
	s_wait_loadcnt 0x0
	v_add_nc_u32_e32 v2, s5, v1
	v_add_nc_u32_e32 v1, s7, v1
	v_mul_lo_u32 v8, v2, s4
	s_delay_alu instid0(VALU_DEP_2) | instskip(NEXT) | instid1(VALU_DEP_1)
	v_mul_lo_u32 v40, v1, s6
	v_cmp_gt_u32_e32 vcc_lo, v40, v8
	s_and_b32 exec_lo, exec_lo, vcc_lo
	s_cbranch_execz .LBB1651_6
; %bb.2:
	s_clause 0x3
	s_load_b32 s2, s[0:1], 0x30
	s_load_b128 s[24:27], s[0:1], 0x20
	s_load_b256 s[36:43], s[0:1], 0x0
	s_load_b64 s[28:29], s[0:1], 0x50
	s_add_nc_u64 s[22:23], s[0:1], 0x58
	s_wait_kmcnt 0x0
	s_bitcmp0_b32 s2, 0
	s_mov_b32 s2, -1
	s_cbranch_scc0 .LBB1651_4
; %bb.3:
	v_mov_b32_e32 v31, v0
	v_dual_mov_b32 v41, v0 :: v_dual_mov_b32 v2, s38
	v_dual_mov_b32 v0, s36 :: v_dual_mov_b32 v1, s37
	;; [unrolled: 1-line block ×5, first 2 shown]
	v_mov_b32_e32 v9, v40
	v_mov_b32_e32 v11, s29
	s_getpc_b64 s[0:1]
	s_wait_alu 0xfffe
	s_sext_i32_i16 s1, s1
	s_add_co_u32 s0, s0, _ZN7rocprim17ROCPRIM_400000_NS6detail26segmented_warp_sort_helperINS1_20WarpSortHelperConfigILj16ELj8ELj256EEEblLi256ELb0EvE4sortIPKbPbPKlPlEEvT_T0_T1_T2_jjjjRNS5_12storage_typeE@rel32@lo+12
	s_wait_alu 0xfffe
	s_add_co_ci_u32 s1, s1, _ZN7rocprim17ROCPRIM_400000_NS6detail26segmented_warp_sort_helperINS1_20WarpSortHelperConfigILj16ELj8ELj256EEEblLi256ELb0EvE4sortIPKbPbPKlPlEEvT_T0_T1_T2_jjjjRNS5_12storage_typeE@rel32@hi+24
	s_mov_b64 s[8:9], s[22:23]
	s_wait_alu 0xfffe
	s_swappc_b64 s[30:31], s[0:1]
	v_mov_b32_e32 v0, v41
	s_mov_b32 s2, 0
.LBB1651_4:
	s_wait_alu 0xfffe
	s_and_not1_b32 vcc_lo, exec_lo, s2
	s_wait_alu 0xfffe
	s_cbranch_vccnz .LBB1651_6
; %bb.5:
	v_dual_mov_b32 v31, v0 :: v_dual_mov_b32 v0, s36
	v_dual_mov_b32 v1, s37 :: v_dual_mov_b32 v2, s40
	;; [unrolled: 1-line block ×5, first 2 shown]
	v_mov_b32_e32 v9, v40
	v_mov_b32_e32 v11, s29
	s_getpc_b64 s[0:1]
	s_wait_alu 0xfffe
	s_sext_i32_i16 s1, s1
	s_add_co_u32 s0, s0, _ZN7rocprim17ROCPRIM_400000_NS6detail26segmented_warp_sort_helperINS1_20WarpSortHelperConfigILj16ELj8ELj256EEEblLi256ELb0EvE4sortIPKbPbPKlPlEEvT_T0_T1_T2_jjjjRNS5_12storage_typeE@rel32@lo+12
	s_wait_alu 0xfffe
	s_add_co_ci_u32 s1, s1, _ZN7rocprim17ROCPRIM_400000_NS6detail26segmented_warp_sort_helperINS1_20WarpSortHelperConfigILj16ELj8ELj256EEEblLi256ELb0EvE4sortIPKbPbPKlPlEEvT_T0_T1_T2_jjjjRNS5_12storage_typeE@rel32@hi+24
	s_mov_b64 s[8:9], s[22:23]
	s_wait_alu 0xfffe
	s_swappc_b64 s[30:31], s[0:1]
.LBB1651_6:
	s_endpgm
	.section	.rodata,"a",@progbits
	.p2align	6, 0x0
	.amdhsa_kernel _ZN7rocprim17ROCPRIM_400000_NS6detail17trampoline_kernelINS0_14default_configENS1_36segmented_radix_sort_config_selectorIblEEZNS1_25segmented_radix_sort_implIS3_Lb0EPKbPbPKlPlN2at6native12_GLOBAL__N_18offset_tEEE10hipError_tPvRmT1_PNSt15iterator_traitsISK_E10value_typeET2_T3_PNSL_ISQ_E10value_typeET4_jRbjT5_SW_jjP12ihipStream_tbEUlT_E0_NS1_11comp_targetILNS1_3genE10ELNS1_11target_archE1201ELNS1_3gpuE5ELNS1_3repE0EEENS1_60segmented_radix_sort_warp_sort_medium_config_static_selectorELNS0_4arch9wavefront6targetE0EEEvSK_
		.amdhsa_group_segment_fixed_size 18432
		.amdhsa_private_segment_fixed_size 12
		.amdhsa_kernarg_size 344
		.amdhsa_user_sgpr_count 2
		.amdhsa_user_sgpr_dispatch_ptr 0
		.amdhsa_user_sgpr_queue_ptr 0
		.amdhsa_user_sgpr_kernarg_segment_ptr 1
		.amdhsa_user_sgpr_dispatch_id 0
		.amdhsa_user_sgpr_private_segment_size 0
		.amdhsa_wavefront_size32 1
		.amdhsa_uses_dynamic_stack 0
		.amdhsa_enable_private_segment 1
		.amdhsa_system_sgpr_workgroup_id_x 1
		.amdhsa_system_sgpr_workgroup_id_y 1
		.amdhsa_system_sgpr_workgroup_id_z 0
		.amdhsa_system_sgpr_workgroup_info 0
		.amdhsa_system_vgpr_workitem_id 2
		.amdhsa_next_free_vgpr 71
		.amdhsa_next_free_sgpr 44
		.amdhsa_reserve_vcc 1
		.amdhsa_float_round_mode_32 0
		.amdhsa_float_round_mode_16_64 0
		.amdhsa_float_denorm_mode_32 3
		.amdhsa_float_denorm_mode_16_64 3
		.amdhsa_fp16_overflow 0
		.amdhsa_workgroup_processor_mode 1
		.amdhsa_memory_ordered 1
		.amdhsa_forward_progress 1
		.amdhsa_inst_pref_size 4
		.amdhsa_round_robin_scheduling 0
		.amdhsa_exception_fp_ieee_invalid_op 0
		.amdhsa_exception_fp_denorm_src 0
		.amdhsa_exception_fp_ieee_div_zero 0
		.amdhsa_exception_fp_ieee_overflow 0
		.amdhsa_exception_fp_ieee_underflow 0
		.amdhsa_exception_fp_ieee_inexact 0
		.amdhsa_exception_int_div_zero 0
	.end_amdhsa_kernel
	.section	.text._ZN7rocprim17ROCPRIM_400000_NS6detail17trampoline_kernelINS0_14default_configENS1_36segmented_radix_sort_config_selectorIblEEZNS1_25segmented_radix_sort_implIS3_Lb0EPKbPbPKlPlN2at6native12_GLOBAL__N_18offset_tEEE10hipError_tPvRmT1_PNSt15iterator_traitsISK_E10value_typeET2_T3_PNSL_ISQ_E10value_typeET4_jRbjT5_SW_jjP12ihipStream_tbEUlT_E0_NS1_11comp_targetILNS1_3genE10ELNS1_11target_archE1201ELNS1_3gpuE5ELNS1_3repE0EEENS1_60segmented_radix_sort_warp_sort_medium_config_static_selectorELNS0_4arch9wavefront6targetE0EEEvSK_,"axG",@progbits,_ZN7rocprim17ROCPRIM_400000_NS6detail17trampoline_kernelINS0_14default_configENS1_36segmented_radix_sort_config_selectorIblEEZNS1_25segmented_radix_sort_implIS3_Lb0EPKbPbPKlPlN2at6native12_GLOBAL__N_18offset_tEEE10hipError_tPvRmT1_PNSt15iterator_traitsISK_E10value_typeET2_T3_PNSL_ISQ_E10value_typeET4_jRbjT5_SW_jjP12ihipStream_tbEUlT_E0_NS1_11comp_targetILNS1_3genE10ELNS1_11target_archE1201ELNS1_3gpuE5ELNS1_3repE0EEENS1_60segmented_radix_sort_warp_sort_medium_config_static_selectorELNS0_4arch9wavefront6targetE0EEEvSK_,comdat
.Lfunc_end1651:
	.size	_ZN7rocprim17ROCPRIM_400000_NS6detail17trampoline_kernelINS0_14default_configENS1_36segmented_radix_sort_config_selectorIblEEZNS1_25segmented_radix_sort_implIS3_Lb0EPKbPbPKlPlN2at6native12_GLOBAL__N_18offset_tEEE10hipError_tPvRmT1_PNSt15iterator_traitsISK_E10value_typeET2_T3_PNSL_ISQ_E10value_typeET4_jRbjT5_SW_jjP12ihipStream_tbEUlT_E0_NS1_11comp_targetILNS1_3genE10ELNS1_11target_archE1201ELNS1_3gpuE5ELNS1_3repE0EEENS1_60segmented_radix_sort_warp_sort_medium_config_static_selectorELNS0_4arch9wavefront6targetE0EEEvSK_, .Lfunc_end1651-_ZN7rocprim17ROCPRIM_400000_NS6detail17trampoline_kernelINS0_14default_configENS1_36segmented_radix_sort_config_selectorIblEEZNS1_25segmented_radix_sort_implIS3_Lb0EPKbPbPKlPlN2at6native12_GLOBAL__N_18offset_tEEE10hipError_tPvRmT1_PNSt15iterator_traitsISK_E10value_typeET2_T3_PNSL_ISQ_E10value_typeET4_jRbjT5_SW_jjP12ihipStream_tbEUlT_E0_NS1_11comp_targetILNS1_3genE10ELNS1_11target_archE1201ELNS1_3gpuE5ELNS1_3repE0EEENS1_60segmented_radix_sort_warp_sort_medium_config_static_selectorELNS0_4arch9wavefront6targetE0EEEvSK_
                                        ; -- End function
	.set _ZN7rocprim17ROCPRIM_400000_NS6detail17trampoline_kernelINS0_14default_configENS1_36segmented_radix_sort_config_selectorIblEEZNS1_25segmented_radix_sort_implIS3_Lb0EPKbPbPKlPlN2at6native12_GLOBAL__N_18offset_tEEE10hipError_tPvRmT1_PNSt15iterator_traitsISK_E10value_typeET2_T3_PNSL_ISQ_E10value_typeET4_jRbjT5_SW_jjP12ihipStream_tbEUlT_E0_NS1_11comp_targetILNS1_3genE10ELNS1_11target_archE1201ELNS1_3gpuE5ELNS1_3repE0EEENS1_60segmented_radix_sort_warp_sort_medium_config_static_selectorELNS0_4arch9wavefront6targetE0EEEvSK_.num_vgpr, max(42, .L_ZN7rocprim17ROCPRIM_400000_NS6detail26segmented_warp_sort_helperINS1_20WarpSortHelperConfigILj16ELj8ELj256EEEblLi256ELb0EvE4sortIPKbPbPKlPlEEvT_T0_T1_T2_jjjjRNS5_12storage_typeE.num_vgpr)
	.set _ZN7rocprim17ROCPRIM_400000_NS6detail17trampoline_kernelINS0_14default_configENS1_36segmented_radix_sort_config_selectorIblEEZNS1_25segmented_radix_sort_implIS3_Lb0EPKbPbPKlPlN2at6native12_GLOBAL__N_18offset_tEEE10hipError_tPvRmT1_PNSt15iterator_traitsISK_E10value_typeET2_T3_PNSL_ISQ_E10value_typeET4_jRbjT5_SW_jjP12ihipStream_tbEUlT_E0_NS1_11comp_targetILNS1_3genE10ELNS1_11target_archE1201ELNS1_3gpuE5ELNS1_3repE0EEENS1_60segmented_radix_sort_warp_sort_medium_config_static_selectorELNS0_4arch9wavefront6targetE0EEEvSK_.num_agpr, max(0, .L_ZN7rocprim17ROCPRIM_400000_NS6detail26segmented_warp_sort_helperINS1_20WarpSortHelperConfigILj16ELj8ELj256EEEblLi256ELb0EvE4sortIPKbPbPKlPlEEvT_T0_T1_T2_jjjjRNS5_12storage_typeE.num_agpr)
	.set _ZN7rocprim17ROCPRIM_400000_NS6detail17trampoline_kernelINS0_14default_configENS1_36segmented_radix_sort_config_selectorIblEEZNS1_25segmented_radix_sort_implIS3_Lb0EPKbPbPKlPlN2at6native12_GLOBAL__N_18offset_tEEE10hipError_tPvRmT1_PNSt15iterator_traitsISK_E10value_typeET2_T3_PNSL_ISQ_E10value_typeET4_jRbjT5_SW_jjP12ihipStream_tbEUlT_E0_NS1_11comp_targetILNS1_3genE10ELNS1_11target_archE1201ELNS1_3gpuE5ELNS1_3repE0EEENS1_60segmented_radix_sort_warp_sort_medium_config_static_selectorELNS0_4arch9wavefront6targetE0EEEvSK_.numbered_sgpr, max(44, .L_ZN7rocprim17ROCPRIM_400000_NS6detail26segmented_warp_sort_helperINS1_20WarpSortHelperConfigILj16ELj8ELj256EEEblLi256ELb0EvE4sortIPKbPbPKlPlEEvT_T0_T1_T2_jjjjRNS5_12storage_typeE.numbered_sgpr)
	.set _ZN7rocprim17ROCPRIM_400000_NS6detail17trampoline_kernelINS0_14default_configENS1_36segmented_radix_sort_config_selectorIblEEZNS1_25segmented_radix_sort_implIS3_Lb0EPKbPbPKlPlN2at6native12_GLOBAL__N_18offset_tEEE10hipError_tPvRmT1_PNSt15iterator_traitsISK_E10value_typeET2_T3_PNSL_ISQ_E10value_typeET4_jRbjT5_SW_jjP12ihipStream_tbEUlT_E0_NS1_11comp_targetILNS1_3genE10ELNS1_11target_archE1201ELNS1_3gpuE5ELNS1_3repE0EEENS1_60segmented_radix_sort_warp_sort_medium_config_static_selectorELNS0_4arch9wavefront6targetE0EEEvSK_.num_named_barrier, max(0, .L_ZN7rocprim17ROCPRIM_400000_NS6detail26segmented_warp_sort_helperINS1_20WarpSortHelperConfigILj16ELj8ELj256EEEblLi256ELb0EvE4sortIPKbPbPKlPlEEvT_T0_T1_T2_jjjjRNS5_12storage_typeE.num_named_barrier)
	.set _ZN7rocprim17ROCPRIM_400000_NS6detail17trampoline_kernelINS0_14default_configENS1_36segmented_radix_sort_config_selectorIblEEZNS1_25segmented_radix_sort_implIS3_Lb0EPKbPbPKlPlN2at6native12_GLOBAL__N_18offset_tEEE10hipError_tPvRmT1_PNSt15iterator_traitsISK_E10value_typeET2_T3_PNSL_ISQ_E10value_typeET4_jRbjT5_SW_jjP12ihipStream_tbEUlT_E0_NS1_11comp_targetILNS1_3genE10ELNS1_11target_archE1201ELNS1_3gpuE5ELNS1_3repE0EEENS1_60segmented_radix_sort_warp_sort_medium_config_static_selectorELNS0_4arch9wavefront6targetE0EEEvSK_.private_seg_size, 0+max(.L_ZN7rocprim17ROCPRIM_400000_NS6detail26segmented_warp_sort_helperINS1_20WarpSortHelperConfigILj16ELj8ELj256EEEblLi256ELb0EvE4sortIPKbPbPKlPlEEvT_T0_T1_T2_jjjjRNS5_12storage_typeE.private_seg_size)
	.set _ZN7rocprim17ROCPRIM_400000_NS6detail17trampoline_kernelINS0_14default_configENS1_36segmented_radix_sort_config_selectorIblEEZNS1_25segmented_radix_sort_implIS3_Lb0EPKbPbPKlPlN2at6native12_GLOBAL__N_18offset_tEEE10hipError_tPvRmT1_PNSt15iterator_traitsISK_E10value_typeET2_T3_PNSL_ISQ_E10value_typeET4_jRbjT5_SW_jjP12ihipStream_tbEUlT_E0_NS1_11comp_targetILNS1_3genE10ELNS1_11target_archE1201ELNS1_3gpuE5ELNS1_3repE0EEENS1_60segmented_radix_sort_warp_sort_medium_config_static_selectorELNS0_4arch9wavefront6targetE0EEEvSK_.uses_vcc, or(1, .L_ZN7rocprim17ROCPRIM_400000_NS6detail26segmented_warp_sort_helperINS1_20WarpSortHelperConfigILj16ELj8ELj256EEEblLi256ELb0EvE4sortIPKbPbPKlPlEEvT_T0_T1_T2_jjjjRNS5_12storage_typeE.uses_vcc)
	.set _ZN7rocprim17ROCPRIM_400000_NS6detail17trampoline_kernelINS0_14default_configENS1_36segmented_radix_sort_config_selectorIblEEZNS1_25segmented_radix_sort_implIS3_Lb0EPKbPbPKlPlN2at6native12_GLOBAL__N_18offset_tEEE10hipError_tPvRmT1_PNSt15iterator_traitsISK_E10value_typeET2_T3_PNSL_ISQ_E10value_typeET4_jRbjT5_SW_jjP12ihipStream_tbEUlT_E0_NS1_11comp_targetILNS1_3genE10ELNS1_11target_archE1201ELNS1_3gpuE5ELNS1_3repE0EEENS1_60segmented_radix_sort_warp_sort_medium_config_static_selectorELNS0_4arch9wavefront6targetE0EEEvSK_.uses_flat_scratch, or(0, .L_ZN7rocprim17ROCPRIM_400000_NS6detail26segmented_warp_sort_helperINS1_20WarpSortHelperConfigILj16ELj8ELj256EEEblLi256ELb0EvE4sortIPKbPbPKlPlEEvT_T0_T1_T2_jjjjRNS5_12storage_typeE.uses_flat_scratch)
	.set _ZN7rocprim17ROCPRIM_400000_NS6detail17trampoline_kernelINS0_14default_configENS1_36segmented_radix_sort_config_selectorIblEEZNS1_25segmented_radix_sort_implIS3_Lb0EPKbPbPKlPlN2at6native12_GLOBAL__N_18offset_tEEE10hipError_tPvRmT1_PNSt15iterator_traitsISK_E10value_typeET2_T3_PNSL_ISQ_E10value_typeET4_jRbjT5_SW_jjP12ihipStream_tbEUlT_E0_NS1_11comp_targetILNS1_3genE10ELNS1_11target_archE1201ELNS1_3gpuE5ELNS1_3repE0EEENS1_60segmented_radix_sort_warp_sort_medium_config_static_selectorELNS0_4arch9wavefront6targetE0EEEvSK_.has_dyn_sized_stack, or(0, .L_ZN7rocprim17ROCPRIM_400000_NS6detail26segmented_warp_sort_helperINS1_20WarpSortHelperConfigILj16ELj8ELj256EEEblLi256ELb0EvE4sortIPKbPbPKlPlEEvT_T0_T1_T2_jjjjRNS5_12storage_typeE.has_dyn_sized_stack)
	.set _ZN7rocprim17ROCPRIM_400000_NS6detail17trampoline_kernelINS0_14default_configENS1_36segmented_radix_sort_config_selectorIblEEZNS1_25segmented_radix_sort_implIS3_Lb0EPKbPbPKlPlN2at6native12_GLOBAL__N_18offset_tEEE10hipError_tPvRmT1_PNSt15iterator_traitsISK_E10value_typeET2_T3_PNSL_ISQ_E10value_typeET4_jRbjT5_SW_jjP12ihipStream_tbEUlT_E0_NS1_11comp_targetILNS1_3genE10ELNS1_11target_archE1201ELNS1_3gpuE5ELNS1_3repE0EEENS1_60segmented_radix_sort_warp_sort_medium_config_static_selectorELNS0_4arch9wavefront6targetE0EEEvSK_.has_recursion, or(0, .L_ZN7rocprim17ROCPRIM_400000_NS6detail26segmented_warp_sort_helperINS1_20WarpSortHelperConfigILj16ELj8ELj256EEEblLi256ELb0EvE4sortIPKbPbPKlPlEEvT_T0_T1_T2_jjjjRNS5_12storage_typeE.has_recursion)
	.set _ZN7rocprim17ROCPRIM_400000_NS6detail17trampoline_kernelINS0_14default_configENS1_36segmented_radix_sort_config_selectorIblEEZNS1_25segmented_radix_sort_implIS3_Lb0EPKbPbPKlPlN2at6native12_GLOBAL__N_18offset_tEEE10hipError_tPvRmT1_PNSt15iterator_traitsISK_E10value_typeET2_T3_PNSL_ISQ_E10value_typeET4_jRbjT5_SW_jjP12ihipStream_tbEUlT_E0_NS1_11comp_targetILNS1_3genE10ELNS1_11target_archE1201ELNS1_3gpuE5ELNS1_3repE0EEENS1_60segmented_radix_sort_warp_sort_medium_config_static_selectorELNS0_4arch9wavefront6targetE0EEEvSK_.has_indirect_call, or(0, .L_ZN7rocprim17ROCPRIM_400000_NS6detail26segmented_warp_sort_helperINS1_20WarpSortHelperConfigILj16ELj8ELj256EEEblLi256ELb0EvE4sortIPKbPbPKlPlEEvT_T0_T1_T2_jjjjRNS5_12storage_typeE.has_indirect_call)
	.section	.AMDGPU.csdata,"",@progbits
; Kernel info:
; codeLenInByte = 504
; TotalNumSgprs: 46
; NumVgprs: 71
; ScratchSize: 12
; MemoryBound: 0
; FloatMode: 240
; IeeeMode: 1
; LDSByteSize: 18432 bytes/workgroup (compile time only)
; SGPRBlocks: 0
; VGPRBlocks: 8
; NumSGPRsForWavesPerEU: 46
; NumVGPRsForWavesPerEU: 71
; Occupancy: 14
; WaveLimiterHint : 0
; COMPUTE_PGM_RSRC2:SCRATCH_EN: 1
; COMPUTE_PGM_RSRC2:USER_SGPR: 2
; COMPUTE_PGM_RSRC2:TRAP_HANDLER: 0
; COMPUTE_PGM_RSRC2:TGID_X_EN: 1
; COMPUTE_PGM_RSRC2:TGID_Y_EN: 1
; COMPUTE_PGM_RSRC2:TGID_Z_EN: 0
; COMPUTE_PGM_RSRC2:TIDIG_COMP_CNT: 2
	.section	.text._ZN7rocprim17ROCPRIM_400000_NS6detail17trampoline_kernelINS0_14default_configENS1_36segmented_radix_sort_config_selectorIblEEZNS1_25segmented_radix_sort_implIS3_Lb0EPKbPbPKlPlN2at6native12_GLOBAL__N_18offset_tEEE10hipError_tPvRmT1_PNSt15iterator_traitsISK_E10value_typeET2_T3_PNSL_ISQ_E10value_typeET4_jRbjT5_SW_jjP12ihipStream_tbEUlT_E0_NS1_11comp_targetILNS1_3genE10ELNS1_11target_archE1200ELNS1_3gpuE4ELNS1_3repE0EEENS1_60segmented_radix_sort_warp_sort_medium_config_static_selectorELNS0_4arch9wavefront6targetE0EEEvSK_,"axG",@progbits,_ZN7rocprim17ROCPRIM_400000_NS6detail17trampoline_kernelINS0_14default_configENS1_36segmented_radix_sort_config_selectorIblEEZNS1_25segmented_radix_sort_implIS3_Lb0EPKbPbPKlPlN2at6native12_GLOBAL__N_18offset_tEEE10hipError_tPvRmT1_PNSt15iterator_traitsISK_E10value_typeET2_T3_PNSL_ISQ_E10value_typeET4_jRbjT5_SW_jjP12ihipStream_tbEUlT_E0_NS1_11comp_targetILNS1_3genE10ELNS1_11target_archE1200ELNS1_3gpuE4ELNS1_3repE0EEENS1_60segmented_radix_sort_warp_sort_medium_config_static_selectorELNS0_4arch9wavefront6targetE0EEEvSK_,comdat
	.globl	_ZN7rocprim17ROCPRIM_400000_NS6detail17trampoline_kernelINS0_14default_configENS1_36segmented_radix_sort_config_selectorIblEEZNS1_25segmented_radix_sort_implIS3_Lb0EPKbPbPKlPlN2at6native12_GLOBAL__N_18offset_tEEE10hipError_tPvRmT1_PNSt15iterator_traitsISK_E10value_typeET2_T3_PNSL_ISQ_E10value_typeET4_jRbjT5_SW_jjP12ihipStream_tbEUlT_E0_NS1_11comp_targetILNS1_3genE10ELNS1_11target_archE1200ELNS1_3gpuE4ELNS1_3repE0EEENS1_60segmented_radix_sort_warp_sort_medium_config_static_selectorELNS0_4arch9wavefront6targetE0EEEvSK_ ; -- Begin function _ZN7rocprim17ROCPRIM_400000_NS6detail17trampoline_kernelINS0_14default_configENS1_36segmented_radix_sort_config_selectorIblEEZNS1_25segmented_radix_sort_implIS3_Lb0EPKbPbPKlPlN2at6native12_GLOBAL__N_18offset_tEEE10hipError_tPvRmT1_PNSt15iterator_traitsISK_E10value_typeET2_T3_PNSL_ISQ_E10value_typeET4_jRbjT5_SW_jjP12ihipStream_tbEUlT_E0_NS1_11comp_targetILNS1_3genE10ELNS1_11target_archE1200ELNS1_3gpuE4ELNS1_3repE0EEENS1_60segmented_radix_sort_warp_sort_medium_config_static_selectorELNS0_4arch9wavefront6targetE0EEEvSK_
	.p2align	8
	.type	_ZN7rocprim17ROCPRIM_400000_NS6detail17trampoline_kernelINS0_14default_configENS1_36segmented_radix_sort_config_selectorIblEEZNS1_25segmented_radix_sort_implIS3_Lb0EPKbPbPKlPlN2at6native12_GLOBAL__N_18offset_tEEE10hipError_tPvRmT1_PNSt15iterator_traitsISK_E10value_typeET2_T3_PNSL_ISQ_E10value_typeET4_jRbjT5_SW_jjP12ihipStream_tbEUlT_E0_NS1_11comp_targetILNS1_3genE10ELNS1_11target_archE1200ELNS1_3gpuE4ELNS1_3repE0EEENS1_60segmented_radix_sort_warp_sort_medium_config_static_selectorELNS0_4arch9wavefront6targetE0EEEvSK_,@function
_ZN7rocprim17ROCPRIM_400000_NS6detail17trampoline_kernelINS0_14default_configENS1_36segmented_radix_sort_config_selectorIblEEZNS1_25segmented_radix_sort_implIS3_Lb0EPKbPbPKlPlN2at6native12_GLOBAL__N_18offset_tEEE10hipError_tPvRmT1_PNSt15iterator_traitsISK_E10value_typeET2_T3_PNSL_ISQ_E10value_typeET4_jRbjT5_SW_jjP12ihipStream_tbEUlT_E0_NS1_11comp_targetILNS1_3genE10ELNS1_11target_archE1200ELNS1_3gpuE4ELNS1_3repE0EEENS1_60segmented_radix_sort_warp_sort_medium_config_static_selectorELNS0_4arch9wavefront6targetE0EEEvSK_: ; @_ZN7rocprim17ROCPRIM_400000_NS6detail17trampoline_kernelINS0_14default_configENS1_36segmented_radix_sort_config_selectorIblEEZNS1_25segmented_radix_sort_implIS3_Lb0EPKbPbPKlPlN2at6native12_GLOBAL__N_18offset_tEEE10hipError_tPvRmT1_PNSt15iterator_traitsISK_E10value_typeET2_T3_PNSL_ISQ_E10value_typeET4_jRbjT5_SW_jjP12ihipStream_tbEUlT_E0_NS1_11comp_targetILNS1_3genE10ELNS1_11target_archE1200ELNS1_3gpuE4ELNS1_3repE0EEENS1_60segmented_radix_sort_warp_sort_medium_config_static_selectorELNS0_4arch9wavefront6targetE0EEEvSK_
; %bb.0:
	.section	.rodata,"a",@progbits
	.p2align	6, 0x0
	.amdhsa_kernel _ZN7rocprim17ROCPRIM_400000_NS6detail17trampoline_kernelINS0_14default_configENS1_36segmented_radix_sort_config_selectorIblEEZNS1_25segmented_radix_sort_implIS3_Lb0EPKbPbPKlPlN2at6native12_GLOBAL__N_18offset_tEEE10hipError_tPvRmT1_PNSt15iterator_traitsISK_E10value_typeET2_T3_PNSL_ISQ_E10value_typeET4_jRbjT5_SW_jjP12ihipStream_tbEUlT_E0_NS1_11comp_targetILNS1_3genE10ELNS1_11target_archE1200ELNS1_3gpuE4ELNS1_3repE0EEENS1_60segmented_radix_sort_warp_sort_medium_config_static_selectorELNS0_4arch9wavefront6targetE0EEEvSK_
		.amdhsa_group_segment_fixed_size 0
		.amdhsa_private_segment_fixed_size 0
		.amdhsa_kernarg_size 88
		.amdhsa_user_sgpr_count 2
		.amdhsa_user_sgpr_dispatch_ptr 0
		.amdhsa_user_sgpr_queue_ptr 0
		.amdhsa_user_sgpr_kernarg_segment_ptr 1
		.amdhsa_user_sgpr_dispatch_id 0
		.amdhsa_user_sgpr_private_segment_size 0
		.amdhsa_wavefront_size32 1
		.amdhsa_uses_dynamic_stack 0
		.amdhsa_enable_private_segment 0
		.amdhsa_system_sgpr_workgroup_id_x 1
		.amdhsa_system_sgpr_workgroup_id_y 0
		.amdhsa_system_sgpr_workgroup_id_z 0
		.amdhsa_system_sgpr_workgroup_info 0
		.amdhsa_system_vgpr_workitem_id 0
		.amdhsa_next_free_vgpr 1
		.amdhsa_next_free_sgpr 1
		.amdhsa_reserve_vcc 0
		.amdhsa_float_round_mode_32 0
		.amdhsa_float_round_mode_16_64 0
		.amdhsa_float_denorm_mode_32 3
		.amdhsa_float_denorm_mode_16_64 3
		.amdhsa_fp16_overflow 0
		.amdhsa_workgroup_processor_mode 1
		.amdhsa_memory_ordered 1
		.amdhsa_forward_progress 1
		.amdhsa_inst_pref_size 0
		.amdhsa_round_robin_scheduling 0
		.amdhsa_exception_fp_ieee_invalid_op 0
		.amdhsa_exception_fp_denorm_src 0
		.amdhsa_exception_fp_ieee_div_zero 0
		.amdhsa_exception_fp_ieee_overflow 0
		.amdhsa_exception_fp_ieee_underflow 0
		.amdhsa_exception_fp_ieee_inexact 0
		.amdhsa_exception_int_div_zero 0
	.end_amdhsa_kernel
	.section	.text._ZN7rocprim17ROCPRIM_400000_NS6detail17trampoline_kernelINS0_14default_configENS1_36segmented_radix_sort_config_selectorIblEEZNS1_25segmented_radix_sort_implIS3_Lb0EPKbPbPKlPlN2at6native12_GLOBAL__N_18offset_tEEE10hipError_tPvRmT1_PNSt15iterator_traitsISK_E10value_typeET2_T3_PNSL_ISQ_E10value_typeET4_jRbjT5_SW_jjP12ihipStream_tbEUlT_E0_NS1_11comp_targetILNS1_3genE10ELNS1_11target_archE1200ELNS1_3gpuE4ELNS1_3repE0EEENS1_60segmented_radix_sort_warp_sort_medium_config_static_selectorELNS0_4arch9wavefront6targetE0EEEvSK_,"axG",@progbits,_ZN7rocprim17ROCPRIM_400000_NS6detail17trampoline_kernelINS0_14default_configENS1_36segmented_radix_sort_config_selectorIblEEZNS1_25segmented_radix_sort_implIS3_Lb0EPKbPbPKlPlN2at6native12_GLOBAL__N_18offset_tEEE10hipError_tPvRmT1_PNSt15iterator_traitsISK_E10value_typeET2_T3_PNSL_ISQ_E10value_typeET4_jRbjT5_SW_jjP12ihipStream_tbEUlT_E0_NS1_11comp_targetILNS1_3genE10ELNS1_11target_archE1200ELNS1_3gpuE4ELNS1_3repE0EEENS1_60segmented_radix_sort_warp_sort_medium_config_static_selectorELNS0_4arch9wavefront6targetE0EEEvSK_,comdat
.Lfunc_end1652:
	.size	_ZN7rocprim17ROCPRIM_400000_NS6detail17trampoline_kernelINS0_14default_configENS1_36segmented_radix_sort_config_selectorIblEEZNS1_25segmented_radix_sort_implIS3_Lb0EPKbPbPKlPlN2at6native12_GLOBAL__N_18offset_tEEE10hipError_tPvRmT1_PNSt15iterator_traitsISK_E10value_typeET2_T3_PNSL_ISQ_E10value_typeET4_jRbjT5_SW_jjP12ihipStream_tbEUlT_E0_NS1_11comp_targetILNS1_3genE10ELNS1_11target_archE1200ELNS1_3gpuE4ELNS1_3repE0EEENS1_60segmented_radix_sort_warp_sort_medium_config_static_selectorELNS0_4arch9wavefront6targetE0EEEvSK_, .Lfunc_end1652-_ZN7rocprim17ROCPRIM_400000_NS6detail17trampoline_kernelINS0_14default_configENS1_36segmented_radix_sort_config_selectorIblEEZNS1_25segmented_radix_sort_implIS3_Lb0EPKbPbPKlPlN2at6native12_GLOBAL__N_18offset_tEEE10hipError_tPvRmT1_PNSt15iterator_traitsISK_E10value_typeET2_T3_PNSL_ISQ_E10value_typeET4_jRbjT5_SW_jjP12ihipStream_tbEUlT_E0_NS1_11comp_targetILNS1_3genE10ELNS1_11target_archE1200ELNS1_3gpuE4ELNS1_3repE0EEENS1_60segmented_radix_sort_warp_sort_medium_config_static_selectorELNS0_4arch9wavefront6targetE0EEEvSK_
                                        ; -- End function
	.set _ZN7rocprim17ROCPRIM_400000_NS6detail17trampoline_kernelINS0_14default_configENS1_36segmented_radix_sort_config_selectorIblEEZNS1_25segmented_radix_sort_implIS3_Lb0EPKbPbPKlPlN2at6native12_GLOBAL__N_18offset_tEEE10hipError_tPvRmT1_PNSt15iterator_traitsISK_E10value_typeET2_T3_PNSL_ISQ_E10value_typeET4_jRbjT5_SW_jjP12ihipStream_tbEUlT_E0_NS1_11comp_targetILNS1_3genE10ELNS1_11target_archE1200ELNS1_3gpuE4ELNS1_3repE0EEENS1_60segmented_radix_sort_warp_sort_medium_config_static_selectorELNS0_4arch9wavefront6targetE0EEEvSK_.num_vgpr, 0
	.set _ZN7rocprim17ROCPRIM_400000_NS6detail17trampoline_kernelINS0_14default_configENS1_36segmented_radix_sort_config_selectorIblEEZNS1_25segmented_radix_sort_implIS3_Lb0EPKbPbPKlPlN2at6native12_GLOBAL__N_18offset_tEEE10hipError_tPvRmT1_PNSt15iterator_traitsISK_E10value_typeET2_T3_PNSL_ISQ_E10value_typeET4_jRbjT5_SW_jjP12ihipStream_tbEUlT_E0_NS1_11comp_targetILNS1_3genE10ELNS1_11target_archE1200ELNS1_3gpuE4ELNS1_3repE0EEENS1_60segmented_radix_sort_warp_sort_medium_config_static_selectorELNS0_4arch9wavefront6targetE0EEEvSK_.num_agpr, 0
	.set _ZN7rocprim17ROCPRIM_400000_NS6detail17trampoline_kernelINS0_14default_configENS1_36segmented_radix_sort_config_selectorIblEEZNS1_25segmented_radix_sort_implIS3_Lb0EPKbPbPKlPlN2at6native12_GLOBAL__N_18offset_tEEE10hipError_tPvRmT1_PNSt15iterator_traitsISK_E10value_typeET2_T3_PNSL_ISQ_E10value_typeET4_jRbjT5_SW_jjP12ihipStream_tbEUlT_E0_NS1_11comp_targetILNS1_3genE10ELNS1_11target_archE1200ELNS1_3gpuE4ELNS1_3repE0EEENS1_60segmented_radix_sort_warp_sort_medium_config_static_selectorELNS0_4arch9wavefront6targetE0EEEvSK_.numbered_sgpr, 0
	.set _ZN7rocprim17ROCPRIM_400000_NS6detail17trampoline_kernelINS0_14default_configENS1_36segmented_radix_sort_config_selectorIblEEZNS1_25segmented_radix_sort_implIS3_Lb0EPKbPbPKlPlN2at6native12_GLOBAL__N_18offset_tEEE10hipError_tPvRmT1_PNSt15iterator_traitsISK_E10value_typeET2_T3_PNSL_ISQ_E10value_typeET4_jRbjT5_SW_jjP12ihipStream_tbEUlT_E0_NS1_11comp_targetILNS1_3genE10ELNS1_11target_archE1200ELNS1_3gpuE4ELNS1_3repE0EEENS1_60segmented_radix_sort_warp_sort_medium_config_static_selectorELNS0_4arch9wavefront6targetE0EEEvSK_.num_named_barrier, 0
	.set _ZN7rocprim17ROCPRIM_400000_NS6detail17trampoline_kernelINS0_14default_configENS1_36segmented_radix_sort_config_selectorIblEEZNS1_25segmented_radix_sort_implIS3_Lb0EPKbPbPKlPlN2at6native12_GLOBAL__N_18offset_tEEE10hipError_tPvRmT1_PNSt15iterator_traitsISK_E10value_typeET2_T3_PNSL_ISQ_E10value_typeET4_jRbjT5_SW_jjP12ihipStream_tbEUlT_E0_NS1_11comp_targetILNS1_3genE10ELNS1_11target_archE1200ELNS1_3gpuE4ELNS1_3repE0EEENS1_60segmented_radix_sort_warp_sort_medium_config_static_selectorELNS0_4arch9wavefront6targetE0EEEvSK_.private_seg_size, 0
	.set _ZN7rocprim17ROCPRIM_400000_NS6detail17trampoline_kernelINS0_14default_configENS1_36segmented_radix_sort_config_selectorIblEEZNS1_25segmented_radix_sort_implIS3_Lb0EPKbPbPKlPlN2at6native12_GLOBAL__N_18offset_tEEE10hipError_tPvRmT1_PNSt15iterator_traitsISK_E10value_typeET2_T3_PNSL_ISQ_E10value_typeET4_jRbjT5_SW_jjP12ihipStream_tbEUlT_E0_NS1_11comp_targetILNS1_3genE10ELNS1_11target_archE1200ELNS1_3gpuE4ELNS1_3repE0EEENS1_60segmented_radix_sort_warp_sort_medium_config_static_selectorELNS0_4arch9wavefront6targetE0EEEvSK_.uses_vcc, 0
	.set _ZN7rocprim17ROCPRIM_400000_NS6detail17trampoline_kernelINS0_14default_configENS1_36segmented_radix_sort_config_selectorIblEEZNS1_25segmented_radix_sort_implIS3_Lb0EPKbPbPKlPlN2at6native12_GLOBAL__N_18offset_tEEE10hipError_tPvRmT1_PNSt15iterator_traitsISK_E10value_typeET2_T3_PNSL_ISQ_E10value_typeET4_jRbjT5_SW_jjP12ihipStream_tbEUlT_E0_NS1_11comp_targetILNS1_3genE10ELNS1_11target_archE1200ELNS1_3gpuE4ELNS1_3repE0EEENS1_60segmented_radix_sort_warp_sort_medium_config_static_selectorELNS0_4arch9wavefront6targetE0EEEvSK_.uses_flat_scratch, 0
	.set _ZN7rocprim17ROCPRIM_400000_NS6detail17trampoline_kernelINS0_14default_configENS1_36segmented_radix_sort_config_selectorIblEEZNS1_25segmented_radix_sort_implIS3_Lb0EPKbPbPKlPlN2at6native12_GLOBAL__N_18offset_tEEE10hipError_tPvRmT1_PNSt15iterator_traitsISK_E10value_typeET2_T3_PNSL_ISQ_E10value_typeET4_jRbjT5_SW_jjP12ihipStream_tbEUlT_E0_NS1_11comp_targetILNS1_3genE10ELNS1_11target_archE1200ELNS1_3gpuE4ELNS1_3repE0EEENS1_60segmented_radix_sort_warp_sort_medium_config_static_selectorELNS0_4arch9wavefront6targetE0EEEvSK_.has_dyn_sized_stack, 0
	.set _ZN7rocprim17ROCPRIM_400000_NS6detail17trampoline_kernelINS0_14default_configENS1_36segmented_radix_sort_config_selectorIblEEZNS1_25segmented_radix_sort_implIS3_Lb0EPKbPbPKlPlN2at6native12_GLOBAL__N_18offset_tEEE10hipError_tPvRmT1_PNSt15iterator_traitsISK_E10value_typeET2_T3_PNSL_ISQ_E10value_typeET4_jRbjT5_SW_jjP12ihipStream_tbEUlT_E0_NS1_11comp_targetILNS1_3genE10ELNS1_11target_archE1200ELNS1_3gpuE4ELNS1_3repE0EEENS1_60segmented_radix_sort_warp_sort_medium_config_static_selectorELNS0_4arch9wavefront6targetE0EEEvSK_.has_recursion, 0
	.set _ZN7rocprim17ROCPRIM_400000_NS6detail17trampoline_kernelINS0_14default_configENS1_36segmented_radix_sort_config_selectorIblEEZNS1_25segmented_radix_sort_implIS3_Lb0EPKbPbPKlPlN2at6native12_GLOBAL__N_18offset_tEEE10hipError_tPvRmT1_PNSt15iterator_traitsISK_E10value_typeET2_T3_PNSL_ISQ_E10value_typeET4_jRbjT5_SW_jjP12ihipStream_tbEUlT_E0_NS1_11comp_targetILNS1_3genE10ELNS1_11target_archE1200ELNS1_3gpuE4ELNS1_3repE0EEENS1_60segmented_radix_sort_warp_sort_medium_config_static_selectorELNS0_4arch9wavefront6targetE0EEEvSK_.has_indirect_call, 0
	.section	.AMDGPU.csdata,"",@progbits
; Kernel info:
; codeLenInByte = 0
; TotalNumSgprs: 0
; NumVgprs: 0
; ScratchSize: 0
; MemoryBound: 0
; FloatMode: 240
; IeeeMode: 1
; LDSByteSize: 0 bytes/workgroup (compile time only)
; SGPRBlocks: 0
; VGPRBlocks: 0
; NumSGPRsForWavesPerEU: 1
; NumVGPRsForWavesPerEU: 1
; Occupancy: 16
; WaveLimiterHint : 0
; COMPUTE_PGM_RSRC2:SCRATCH_EN: 0
; COMPUTE_PGM_RSRC2:USER_SGPR: 2
; COMPUTE_PGM_RSRC2:TRAP_HANDLER: 0
; COMPUTE_PGM_RSRC2:TGID_X_EN: 1
; COMPUTE_PGM_RSRC2:TGID_Y_EN: 0
; COMPUTE_PGM_RSRC2:TGID_Z_EN: 0
; COMPUTE_PGM_RSRC2:TIDIG_COMP_CNT: 0
	.section	.text._ZN7rocprim17ROCPRIM_400000_NS6detail17trampoline_kernelINS0_14default_configENS1_36segmented_radix_sort_config_selectorIblEEZNS1_25segmented_radix_sort_implIS3_Lb0EPKbPbPKlPlN2at6native12_GLOBAL__N_18offset_tEEE10hipError_tPvRmT1_PNSt15iterator_traitsISK_E10value_typeET2_T3_PNSL_ISQ_E10value_typeET4_jRbjT5_SW_jjP12ihipStream_tbEUlT_E0_NS1_11comp_targetILNS1_3genE9ELNS1_11target_archE1100ELNS1_3gpuE3ELNS1_3repE0EEENS1_60segmented_radix_sort_warp_sort_medium_config_static_selectorELNS0_4arch9wavefront6targetE0EEEvSK_,"axG",@progbits,_ZN7rocprim17ROCPRIM_400000_NS6detail17trampoline_kernelINS0_14default_configENS1_36segmented_radix_sort_config_selectorIblEEZNS1_25segmented_radix_sort_implIS3_Lb0EPKbPbPKlPlN2at6native12_GLOBAL__N_18offset_tEEE10hipError_tPvRmT1_PNSt15iterator_traitsISK_E10value_typeET2_T3_PNSL_ISQ_E10value_typeET4_jRbjT5_SW_jjP12ihipStream_tbEUlT_E0_NS1_11comp_targetILNS1_3genE9ELNS1_11target_archE1100ELNS1_3gpuE3ELNS1_3repE0EEENS1_60segmented_radix_sort_warp_sort_medium_config_static_selectorELNS0_4arch9wavefront6targetE0EEEvSK_,comdat
	.globl	_ZN7rocprim17ROCPRIM_400000_NS6detail17trampoline_kernelINS0_14default_configENS1_36segmented_radix_sort_config_selectorIblEEZNS1_25segmented_radix_sort_implIS3_Lb0EPKbPbPKlPlN2at6native12_GLOBAL__N_18offset_tEEE10hipError_tPvRmT1_PNSt15iterator_traitsISK_E10value_typeET2_T3_PNSL_ISQ_E10value_typeET4_jRbjT5_SW_jjP12ihipStream_tbEUlT_E0_NS1_11comp_targetILNS1_3genE9ELNS1_11target_archE1100ELNS1_3gpuE3ELNS1_3repE0EEENS1_60segmented_radix_sort_warp_sort_medium_config_static_selectorELNS0_4arch9wavefront6targetE0EEEvSK_ ; -- Begin function _ZN7rocprim17ROCPRIM_400000_NS6detail17trampoline_kernelINS0_14default_configENS1_36segmented_radix_sort_config_selectorIblEEZNS1_25segmented_radix_sort_implIS3_Lb0EPKbPbPKlPlN2at6native12_GLOBAL__N_18offset_tEEE10hipError_tPvRmT1_PNSt15iterator_traitsISK_E10value_typeET2_T3_PNSL_ISQ_E10value_typeET4_jRbjT5_SW_jjP12ihipStream_tbEUlT_E0_NS1_11comp_targetILNS1_3genE9ELNS1_11target_archE1100ELNS1_3gpuE3ELNS1_3repE0EEENS1_60segmented_radix_sort_warp_sort_medium_config_static_selectorELNS0_4arch9wavefront6targetE0EEEvSK_
	.p2align	8
	.type	_ZN7rocprim17ROCPRIM_400000_NS6detail17trampoline_kernelINS0_14default_configENS1_36segmented_radix_sort_config_selectorIblEEZNS1_25segmented_radix_sort_implIS3_Lb0EPKbPbPKlPlN2at6native12_GLOBAL__N_18offset_tEEE10hipError_tPvRmT1_PNSt15iterator_traitsISK_E10value_typeET2_T3_PNSL_ISQ_E10value_typeET4_jRbjT5_SW_jjP12ihipStream_tbEUlT_E0_NS1_11comp_targetILNS1_3genE9ELNS1_11target_archE1100ELNS1_3gpuE3ELNS1_3repE0EEENS1_60segmented_radix_sort_warp_sort_medium_config_static_selectorELNS0_4arch9wavefront6targetE0EEEvSK_,@function
_ZN7rocprim17ROCPRIM_400000_NS6detail17trampoline_kernelINS0_14default_configENS1_36segmented_radix_sort_config_selectorIblEEZNS1_25segmented_radix_sort_implIS3_Lb0EPKbPbPKlPlN2at6native12_GLOBAL__N_18offset_tEEE10hipError_tPvRmT1_PNSt15iterator_traitsISK_E10value_typeET2_T3_PNSL_ISQ_E10value_typeET4_jRbjT5_SW_jjP12ihipStream_tbEUlT_E0_NS1_11comp_targetILNS1_3genE9ELNS1_11target_archE1100ELNS1_3gpuE3ELNS1_3repE0EEENS1_60segmented_radix_sort_warp_sort_medium_config_static_selectorELNS0_4arch9wavefront6targetE0EEEvSK_: ; @_ZN7rocprim17ROCPRIM_400000_NS6detail17trampoline_kernelINS0_14default_configENS1_36segmented_radix_sort_config_selectorIblEEZNS1_25segmented_radix_sort_implIS3_Lb0EPKbPbPKlPlN2at6native12_GLOBAL__N_18offset_tEEE10hipError_tPvRmT1_PNSt15iterator_traitsISK_E10value_typeET2_T3_PNSL_ISQ_E10value_typeET4_jRbjT5_SW_jjP12ihipStream_tbEUlT_E0_NS1_11comp_targetILNS1_3genE9ELNS1_11target_archE1100ELNS1_3gpuE3ELNS1_3repE0EEENS1_60segmented_radix_sort_warp_sort_medium_config_static_selectorELNS0_4arch9wavefront6targetE0EEEvSK_
; %bb.0:
	.section	.rodata,"a",@progbits
	.p2align	6, 0x0
	.amdhsa_kernel _ZN7rocprim17ROCPRIM_400000_NS6detail17trampoline_kernelINS0_14default_configENS1_36segmented_radix_sort_config_selectorIblEEZNS1_25segmented_radix_sort_implIS3_Lb0EPKbPbPKlPlN2at6native12_GLOBAL__N_18offset_tEEE10hipError_tPvRmT1_PNSt15iterator_traitsISK_E10value_typeET2_T3_PNSL_ISQ_E10value_typeET4_jRbjT5_SW_jjP12ihipStream_tbEUlT_E0_NS1_11comp_targetILNS1_3genE9ELNS1_11target_archE1100ELNS1_3gpuE3ELNS1_3repE0EEENS1_60segmented_radix_sort_warp_sort_medium_config_static_selectorELNS0_4arch9wavefront6targetE0EEEvSK_
		.amdhsa_group_segment_fixed_size 0
		.amdhsa_private_segment_fixed_size 0
		.amdhsa_kernarg_size 88
		.amdhsa_user_sgpr_count 2
		.amdhsa_user_sgpr_dispatch_ptr 0
		.amdhsa_user_sgpr_queue_ptr 0
		.amdhsa_user_sgpr_kernarg_segment_ptr 1
		.amdhsa_user_sgpr_dispatch_id 0
		.amdhsa_user_sgpr_private_segment_size 0
		.amdhsa_wavefront_size32 1
		.amdhsa_uses_dynamic_stack 0
		.amdhsa_enable_private_segment 0
		.amdhsa_system_sgpr_workgroup_id_x 1
		.amdhsa_system_sgpr_workgroup_id_y 0
		.amdhsa_system_sgpr_workgroup_id_z 0
		.amdhsa_system_sgpr_workgroup_info 0
		.amdhsa_system_vgpr_workitem_id 0
		.amdhsa_next_free_vgpr 1
		.amdhsa_next_free_sgpr 1
		.amdhsa_reserve_vcc 0
		.amdhsa_float_round_mode_32 0
		.amdhsa_float_round_mode_16_64 0
		.amdhsa_float_denorm_mode_32 3
		.amdhsa_float_denorm_mode_16_64 3
		.amdhsa_fp16_overflow 0
		.amdhsa_workgroup_processor_mode 1
		.amdhsa_memory_ordered 1
		.amdhsa_forward_progress 1
		.amdhsa_inst_pref_size 0
		.amdhsa_round_robin_scheduling 0
		.amdhsa_exception_fp_ieee_invalid_op 0
		.amdhsa_exception_fp_denorm_src 0
		.amdhsa_exception_fp_ieee_div_zero 0
		.amdhsa_exception_fp_ieee_overflow 0
		.amdhsa_exception_fp_ieee_underflow 0
		.amdhsa_exception_fp_ieee_inexact 0
		.amdhsa_exception_int_div_zero 0
	.end_amdhsa_kernel
	.section	.text._ZN7rocprim17ROCPRIM_400000_NS6detail17trampoline_kernelINS0_14default_configENS1_36segmented_radix_sort_config_selectorIblEEZNS1_25segmented_radix_sort_implIS3_Lb0EPKbPbPKlPlN2at6native12_GLOBAL__N_18offset_tEEE10hipError_tPvRmT1_PNSt15iterator_traitsISK_E10value_typeET2_T3_PNSL_ISQ_E10value_typeET4_jRbjT5_SW_jjP12ihipStream_tbEUlT_E0_NS1_11comp_targetILNS1_3genE9ELNS1_11target_archE1100ELNS1_3gpuE3ELNS1_3repE0EEENS1_60segmented_radix_sort_warp_sort_medium_config_static_selectorELNS0_4arch9wavefront6targetE0EEEvSK_,"axG",@progbits,_ZN7rocprim17ROCPRIM_400000_NS6detail17trampoline_kernelINS0_14default_configENS1_36segmented_radix_sort_config_selectorIblEEZNS1_25segmented_radix_sort_implIS3_Lb0EPKbPbPKlPlN2at6native12_GLOBAL__N_18offset_tEEE10hipError_tPvRmT1_PNSt15iterator_traitsISK_E10value_typeET2_T3_PNSL_ISQ_E10value_typeET4_jRbjT5_SW_jjP12ihipStream_tbEUlT_E0_NS1_11comp_targetILNS1_3genE9ELNS1_11target_archE1100ELNS1_3gpuE3ELNS1_3repE0EEENS1_60segmented_radix_sort_warp_sort_medium_config_static_selectorELNS0_4arch9wavefront6targetE0EEEvSK_,comdat
.Lfunc_end1653:
	.size	_ZN7rocprim17ROCPRIM_400000_NS6detail17trampoline_kernelINS0_14default_configENS1_36segmented_radix_sort_config_selectorIblEEZNS1_25segmented_radix_sort_implIS3_Lb0EPKbPbPKlPlN2at6native12_GLOBAL__N_18offset_tEEE10hipError_tPvRmT1_PNSt15iterator_traitsISK_E10value_typeET2_T3_PNSL_ISQ_E10value_typeET4_jRbjT5_SW_jjP12ihipStream_tbEUlT_E0_NS1_11comp_targetILNS1_3genE9ELNS1_11target_archE1100ELNS1_3gpuE3ELNS1_3repE0EEENS1_60segmented_radix_sort_warp_sort_medium_config_static_selectorELNS0_4arch9wavefront6targetE0EEEvSK_, .Lfunc_end1653-_ZN7rocprim17ROCPRIM_400000_NS6detail17trampoline_kernelINS0_14default_configENS1_36segmented_radix_sort_config_selectorIblEEZNS1_25segmented_radix_sort_implIS3_Lb0EPKbPbPKlPlN2at6native12_GLOBAL__N_18offset_tEEE10hipError_tPvRmT1_PNSt15iterator_traitsISK_E10value_typeET2_T3_PNSL_ISQ_E10value_typeET4_jRbjT5_SW_jjP12ihipStream_tbEUlT_E0_NS1_11comp_targetILNS1_3genE9ELNS1_11target_archE1100ELNS1_3gpuE3ELNS1_3repE0EEENS1_60segmented_radix_sort_warp_sort_medium_config_static_selectorELNS0_4arch9wavefront6targetE0EEEvSK_
                                        ; -- End function
	.set _ZN7rocprim17ROCPRIM_400000_NS6detail17trampoline_kernelINS0_14default_configENS1_36segmented_radix_sort_config_selectorIblEEZNS1_25segmented_radix_sort_implIS3_Lb0EPKbPbPKlPlN2at6native12_GLOBAL__N_18offset_tEEE10hipError_tPvRmT1_PNSt15iterator_traitsISK_E10value_typeET2_T3_PNSL_ISQ_E10value_typeET4_jRbjT5_SW_jjP12ihipStream_tbEUlT_E0_NS1_11comp_targetILNS1_3genE9ELNS1_11target_archE1100ELNS1_3gpuE3ELNS1_3repE0EEENS1_60segmented_radix_sort_warp_sort_medium_config_static_selectorELNS0_4arch9wavefront6targetE0EEEvSK_.num_vgpr, 0
	.set _ZN7rocprim17ROCPRIM_400000_NS6detail17trampoline_kernelINS0_14default_configENS1_36segmented_radix_sort_config_selectorIblEEZNS1_25segmented_radix_sort_implIS3_Lb0EPKbPbPKlPlN2at6native12_GLOBAL__N_18offset_tEEE10hipError_tPvRmT1_PNSt15iterator_traitsISK_E10value_typeET2_T3_PNSL_ISQ_E10value_typeET4_jRbjT5_SW_jjP12ihipStream_tbEUlT_E0_NS1_11comp_targetILNS1_3genE9ELNS1_11target_archE1100ELNS1_3gpuE3ELNS1_3repE0EEENS1_60segmented_radix_sort_warp_sort_medium_config_static_selectorELNS0_4arch9wavefront6targetE0EEEvSK_.num_agpr, 0
	.set _ZN7rocprim17ROCPRIM_400000_NS6detail17trampoline_kernelINS0_14default_configENS1_36segmented_radix_sort_config_selectorIblEEZNS1_25segmented_radix_sort_implIS3_Lb0EPKbPbPKlPlN2at6native12_GLOBAL__N_18offset_tEEE10hipError_tPvRmT1_PNSt15iterator_traitsISK_E10value_typeET2_T3_PNSL_ISQ_E10value_typeET4_jRbjT5_SW_jjP12ihipStream_tbEUlT_E0_NS1_11comp_targetILNS1_3genE9ELNS1_11target_archE1100ELNS1_3gpuE3ELNS1_3repE0EEENS1_60segmented_radix_sort_warp_sort_medium_config_static_selectorELNS0_4arch9wavefront6targetE0EEEvSK_.numbered_sgpr, 0
	.set _ZN7rocprim17ROCPRIM_400000_NS6detail17trampoline_kernelINS0_14default_configENS1_36segmented_radix_sort_config_selectorIblEEZNS1_25segmented_radix_sort_implIS3_Lb0EPKbPbPKlPlN2at6native12_GLOBAL__N_18offset_tEEE10hipError_tPvRmT1_PNSt15iterator_traitsISK_E10value_typeET2_T3_PNSL_ISQ_E10value_typeET4_jRbjT5_SW_jjP12ihipStream_tbEUlT_E0_NS1_11comp_targetILNS1_3genE9ELNS1_11target_archE1100ELNS1_3gpuE3ELNS1_3repE0EEENS1_60segmented_radix_sort_warp_sort_medium_config_static_selectorELNS0_4arch9wavefront6targetE0EEEvSK_.num_named_barrier, 0
	.set _ZN7rocprim17ROCPRIM_400000_NS6detail17trampoline_kernelINS0_14default_configENS1_36segmented_radix_sort_config_selectorIblEEZNS1_25segmented_radix_sort_implIS3_Lb0EPKbPbPKlPlN2at6native12_GLOBAL__N_18offset_tEEE10hipError_tPvRmT1_PNSt15iterator_traitsISK_E10value_typeET2_T3_PNSL_ISQ_E10value_typeET4_jRbjT5_SW_jjP12ihipStream_tbEUlT_E0_NS1_11comp_targetILNS1_3genE9ELNS1_11target_archE1100ELNS1_3gpuE3ELNS1_3repE0EEENS1_60segmented_radix_sort_warp_sort_medium_config_static_selectorELNS0_4arch9wavefront6targetE0EEEvSK_.private_seg_size, 0
	.set _ZN7rocprim17ROCPRIM_400000_NS6detail17trampoline_kernelINS0_14default_configENS1_36segmented_radix_sort_config_selectorIblEEZNS1_25segmented_radix_sort_implIS3_Lb0EPKbPbPKlPlN2at6native12_GLOBAL__N_18offset_tEEE10hipError_tPvRmT1_PNSt15iterator_traitsISK_E10value_typeET2_T3_PNSL_ISQ_E10value_typeET4_jRbjT5_SW_jjP12ihipStream_tbEUlT_E0_NS1_11comp_targetILNS1_3genE9ELNS1_11target_archE1100ELNS1_3gpuE3ELNS1_3repE0EEENS1_60segmented_radix_sort_warp_sort_medium_config_static_selectorELNS0_4arch9wavefront6targetE0EEEvSK_.uses_vcc, 0
	.set _ZN7rocprim17ROCPRIM_400000_NS6detail17trampoline_kernelINS0_14default_configENS1_36segmented_radix_sort_config_selectorIblEEZNS1_25segmented_radix_sort_implIS3_Lb0EPKbPbPKlPlN2at6native12_GLOBAL__N_18offset_tEEE10hipError_tPvRmT1_PNSt15iterator_traitsISK_E10value_typeET2_T3_PNSL_ISQ_E10value_typeET4_jRbjT5_SW_jjP12ihipStream_tbEUlT_E0_NS1_11comp_targetILNS1_3genE9ELNS1_11target_archE1100ELNS1_3gpuE3ELNS1_3repE0EEENS1_60segmented_radix_sort_warp_sort_medium_config_static_selectorELNS0_4arch9wavefront6targetE0EEEvSK_.uses_flat_scratch, 0
	.set _ZN7rocprim17ROCPRIM_400000_NS6detail17trampoline_kernelINS0_14default_configENS1_36segmented_radix_sort_config_selectorIblEEZNS1_25segmented_radix_sort_implIS3_Lb0EPKbPbPKlPlN2at6native12_GLOBAL__N_18offset_tEEE10hipError_tPvRmT1_PNSt15iterator_traitsISK_E10value_typeET2_T3_PNSL_ISQ_E10value_typeET4_jRbjT5_SW_jjP12ihipStream_tbEUlT_E0_NS1_11comp_targetILNS1_3genE9ELNS1_11target_archE1100ELNS1_3gpuE3ELNS1_3repE0EEENS1_60segmented_radix_sort_warp_sort_medium_config_static_selectorELNS0_4arch9wavefront6targetE0EEEvSK_.has_dyn_sized_stack, 0
	.set _ZN7rocprim17ROCPRIM_400000_NS6detail17trampoline_kernelINS0_14default_configENS1_36segmented_radix_sort_config_selectorIblEEZNS1_25segmented_radix_sort_implIS3_Lb0EPKbPbPKlPlN2at6native12_GLOBAL__N_18offset_tEEE10hipError_tPvRmT1_PNSt15iterator_traitsISK_E10value_typeET2_T3_PNSL_ISQ_E10value_typeET4_jRbjT5_SW_jjP12ihipStream_tbEUlT_E0_NS1_11comp_targetILNS1_3genE9ELNS1_11target_archE1100ELNS1_3gpuE3ELNS1_3repE0EEENS1_60segmented_radix_sort_warp_sort_medium_config_static_selectorELNS0_4arch9wavefront6targetE0EEEvSK_.has_recursion, 0
	.set _ZN7rocprim17ROCPRIM_400000_NS6detail17trampoline_kernelINS0_14default_configENS1_36segmented_radix_sort_config_selectorIblEEZNS1_25segmented_radix_sort_implIS3_Lb0EPKbPbPKlPlN2at6native12_GLOBAL__N_18offset_tEEE10hipError_tPvRmT1_PNSt15iterator_traitsISK_E10value_typeET2_T3_PNSL_ISQ_E10value_typeET4_jRbjT5_SW_jjP12ihipStream_tbEUlT_E0_NS1_11comp_targetILNS1_3genE9ELNS1_11target_archE1100ELNS1_3gpuE3ELNS1_3repE0EEENS1_60segmented_radix_sort_warp_sort_medium_config_static_selectorELNS0_4arch9wavefront6targetE0EEEvSK_.has_indirect_call, 0
	.section	.AMDGPU.csdata,"",@progbits
; Kernel info:
; codeLenInByte = 0
; TotalNumSgprs: 0
; NumVgprs: 0
; ScratchSize: 0
; MemoryBound: 0
; FloatMode: 240
; IeeeMode: 1
; LDSByteSize: 0 bytes/workgroup (compile time only)
; SGPRBlocks: 0
; VGPRBlocks: 0
; NumSGPRsForWavesPerEU: 1
; NumVGPRsForWavesPerEU: 1
; Occupancy: 16
; WaveLimiterHint : 0
; COMPUTE_PGM_RSRC2:SCRATCH_EN: 0
; COMPUTE_PGM_RSRC2:USER_SGPR: 2
; COMPUTE_PGM_RSRC2:TRAP_HANDLER: 0
; COMPUTE_PGM_RSRC2:TGID_X_EN: 1
; COMPUTE_PGM_RSRC2:TGID_Y_EN: 0
; COMPUTE_PGM_RSRC2:TGID_Z_EN: 0
; COMPUTE_PGM_RSRC2:TIDIG_COMP_CNT: 0
	.section	.text._ZN7rocprim17ROCPRIM_400000_NS6detail17trampoline_kernelINS0_14default_configENS1_36segmented_radix_sort_config_selectorIblEEZNS1_25segmented_radix_sort_implIS3_Lb0EPKbPbPKlPlN2at6native12_GLOBAL__N_18offset_tEEE10hipError_tPvRmT1_PNSt15iterator_traitsISK_E10value_typeET2_T3_PNSL_ISQ_E10value_typeET4_jRbjT5_SW_jjP12ihipStream_tbEUlT_E0_NS1_11comp_targetILNS1_3genE8ELNS1_11target_archE1030ELNS1_3gpuE2ELNS1_3repE0EEENS1_60segmented_radix_sort_warp_sort_medium_config_static_selectorELNS0_4arch9wavefront6targetE0EEEvSK_,"axG",@progbits,_ZN7rocprim17ROCPRIM_400000_NS6detail17trampoline_kernelINS0_14default_configENS1_36segmented_radix_sort_config_selectorIblEEZNS1_25segmented_radix_sort_implIS3_Lb0EPKbPbPKlPlN2at6native12_GLOBAL__N_18offset_tEEE10hipError_tPvRmT1_PNSt15iterator_traitsISK_E10value_typeET2_T3_PNSL_ISQ_E10value_typeET4_jRbjT5_SW_jjP12ihipStream_tbEUlT_E0_NS1_11comp_targetILNS1_3genE8ELNS1_11target_archE1030ELNS1_3gpuE2ELNS1_3repE0EEENS1_60segmented_radix_sort_warp_sort_medium_config_static_selectorELNS0_4arch9wavefront6targetE0EEEvSK_,comdat
	.globl	_ZN7rocprim17ROCPRIM_400000_NS6detail17trampoline_kernelINS0_14default_configENS1_36segmented_radix_sort_config_selectorIblEEZNS1_25segmented_radix_sort_implIS3_Lb0EPKbPbPKlPlN2at6native12_GLOBAL__N_18offset_tEEE10hipError_tPvRmT1_PNSt15iterator_traitsISK_E10value_typeET2_T3_PNSL_ISQ_E10value_typeET4_jRbjT5_SW_jjP12ihipStream_tbEUlT_E0_NS1_11comp_targetILNS1_3genE8ELNS1_11target_archE1030ELNS1_3gpuE2ELNS1_3repE0EEENS1_60segmented_radix_sort_warp_sort_medium_config_static_selectorELNS0_4arch9wavefront6targetE0EEEvSK_ ; -- Begin function _ZN7rocprim17ROCPRIM_400000_NS6detail17trampoline_kernelINS0_14default_configENS1_36segmented_radix_sort_config_selectorIblEEZNS1_25segmented_radix_sort_implIS3_Lb0EPKbPbPKlPlN2at6native12_GLOBAL__N_18offset_tEEE10hipError_tPvRmT1_PNSt15iterator_traitsISK_E10value_typeET2_T3_PNSL_ISQ_E10value_typeET4_jRbjT5_SW_jjP12ihipStream_tbEUlT_E0_NS1_11comp_targetILNS1_3genE8ELNS1_11target_archE1030ELNS1_3gpuE2ELNS1_3repE0EEENS1_60segmented_radix_sort_warp_sort_medium_config_static_selectorELNS0_4arch9wavefront6targetE0EEEvSK_
	.p2align	8
	.type	_ZN7rocprim17ROCPRIM_400000_NS6detail17trampoline_kernelINS0_14default_configENS1_36segmented_radix_sort_config_selectorIblEEZNS1_25segmented_radix_sort_implIS3_Lb0EPKbPbPKlPlN2at6native12_GLOBAL__N_18offset_tEEE10hipError_tPvRmT1_PNSt15iterator_traitsISK_E10value_typeET2_T3_PNSL_ISQ_E10value_typeET4_jRbjT5_SW_jjP12ihipStream_tbEUlT_E0_NS1_11comp_targetILNS1_3genE8ELNS1_11target_archE1030ELNS1_3gpuE2ELNS1_3repE0EEENS1_60segmented_radix_sort_warp_sort_medium_config_static_selectorELNS0_4arch9wavefront6targetE0EEEvSK_,@function
_ZN7rocprim17ROCPRIM_400000_NS6detail17trampoline_kernelINS0_14default_configENS1_36segmented_radix_sort_config_selectorIblEEZNS1_25segmented_radix_sort_implIS3_Lb0EPKbPbPKlPlN2at6native12_GLOBAL__N_18offset_tEEE10hipError_tPvRmT1_PNSt15iterator_traitsISK_E10value_typeET2_T3_PNSL_ISQ_E10value_typeET4_jRbjT5_SW_jjP12ihipStream_tbEUlT_E0_NS1_11comp_targetILNS1_3genE8ELNS1_11target_archE1030ELNS1_3gpuE2ELNS1_3repE0EEENS1_60segmented_radix_sort_warp_sort_medium_config_static_selectorELNS0_4arch9wavefront6targetE0EEEvSK_: ; @_ZN7rocprim17ROCPRIM_400000_NS6detail17trampoline_kernelINS0_14default_configENS1_36segmented_radix_sort_config_selectorIblEEZNS1_25segmented_radix_sort_implIS3_Lb0EPKbPbPKlPlN2at6native12_GLOBAL__N_18offset_tEEE10hipError_tPvRmT1_PNSt15iterator_traitsISK_E10value_typeET2_T3_PNSL_ISQ_E10value_typeET4_jRbjT5_SW_jjP12ihipStream_tbEUlT_E0_NS1_11comp_targetILNS1_3genE8ELNS1_11target_archE1030ELNS1_3gpuE2ELNS1_3repE0EEENS1_60segmented_radix_sort_warp_sort_medium_config_static_selectorELNS0_4arch9wavefront6targetE0EEEvSK_
; %bb.0:
	.section	.rodata,"a",@progbits
	.p2align	6, 0x0
	.amdhsa_kernel _ZN7rocprim17ROCPRIM_400000_NS6detail17trampoline_kernelINS0_14default_configENS1_36segmented_radix_sort_config_selectorIblEEZNS1_25segmented_radix_sort_implIS3_Lb0EPKbPbPKlPlN2at6native12_GLOBAL__N_18offset_tEEE10hipError_tPvRmT1_PNSt15iterator_traitsISK_E10value_typeET2_T3_PNSL_ISQ_E10value_typeET4_jRbjT5_SW_jjP12ihipStream_tbEUlT_E0_NS1_11comp_targetILNS1_3genE8ELNS1_11target_archE1030ELNS1_3gpuE2ELNS1_3repE0EEENS1_60segmented_radix_sort_warp_sort_medium_config_static_selectorELNS0_4arch9wavefront6targetE0EEEvSK_
		.amdhsa_group_segment_fixed_size 0
		.amdhsa_private_segment_fixed_size 0
		.amdhsa_kernarg_size 88
		.amdhsa_user_sgpr_count 2
		.amdhsa_user_sgpr_dispatch_ptr 0
		.amdhsa_user_sgpr_queue_ptr 0
		.amdhsa_user_sgpr_kernarg_segment_ptr 1
		.amdhsa_user_sgpr_dispatch_id 0
		.amdhsa_user_sgpr_private_segment_size 0
		.amdhsa_wavefront_size32 1
		.amdhsa_uses_dynamic_stack 0
		.amdhsa_enable_private_segment 0
		.amdhsa_system_sgpr_workgroup_id_x 1
		.amdhsa_system_sgpr_workgroup_id_y 0
		.amdhsa_system_sgpr_workgroup_id_z 0
		.amdhsa_system_sgpr_workgroup_info 0
		.amdhsa_system_vgpr_workitem_id 0
		.amdhsa_next_free_vgpr 1
		.amdhsa_next_free_sgpr 1
		.amdhsa_reserve_vcc 0
		.amdhsa_float_round_mode_32 0
		.amdhsa_float_round_mode_16_64 0
		.amdhsa_float_denorm_mode_32 3
		.amdhsa_float_denorm_mode_16_64 3
		.amdhsa_fp16_overflow 0
		.amdhsa_workgroup_processor_mode 1
		.amdhsa_memory_ordered 1
		.amdhsa_forward_progress 1
		.amdhsa_inst_pref_size 0
		.amdhsa_round_robin_scheduling 0
		.amdhsa_exception_fp_ieee_invalid_op 0
		.amdhsa_exception_fp_denorm_src 0
		.amdhsa_exception_fp_ieee_div_zero 0
		.amdhsa_exception_fp_ieee_overflow 0
		.amdhsa_exception_fp_ieee_underflow 0
		.amdhsa_exception_fp_ieee_inexact 0
		.amdhsa_exception_int_div_zero 0
	.end_amdhsa_kernel
	.section	.text._ZN7rocprim17ROCPRIM_400000_NS6detail17trampoline_kernelINS0_14default_configENS1_36segmented_radix_sort_config_selectorIblEEZNS1_25segmented_radix_sort_implIS3_Lb0EPKbPbPKlPlN2at6native12_GLOBAL__N_18offset_tEEE10hipError_tPvRmT1_PNSt15iterator_traitsISK_E10value_typeET2_T3_PNSL_ISQ_E10value_typeET4_jRbjT5_SW_jjP12ihipStream_tbEUlT_E0_NS1_11comp_targetILNS1_3genE8ELNS1_11target_archE1030ELNS1_3gpuE2ELNS1_3repE0EEENS1_60segmented_radix_sort_warp_sort_medium_config_static_selectorELNS0_4arch9wavefront6targetE0EEEvSK_,"axG",@progbits,_ZN7rocprim17ROCPRIM_400000_NS6detail17trampoline_kernelINS0_14default_configENS1_36segmented_radix_sort_config_selectorIblEEZNS1_25segmented_radix_sort_implIS3_Lb0EPKbPbPKlPlN2at6native12_GLOBAL__N_18offset_tEEE10hipError_tPvRmT1_PNSt15iterator_traitsISK_E10value_typeET2_T3_PNSL_ISQ_E10value_typeET4_jRbjT5_SW_jjP12ihipStream_tbEUlT_E0_NS1_11comp_targetILNS1_3genE8ELNS1_11target_archE1030ELNS1_3gpuE2ELNS1_3repE0EEENS1_60segmented_radix_sort_warp_sort_medium_config_static_selectorELNS0_4arch9wavefront6targetE0EEEvSK_,comdat
.Lfunc_end1654:
	.size	_ZN7rocprim17ROCPRIM_400000_NS6detail17trampoline_kernelINS0_14default_configENS1_36segmented_radix_sort_config_selectorIblEEZNS1_25segmented_radix_sort_implIS3_Lb0EPKbPbPKlPlN2at6native12_GLOBAL__N_18offset_tEEE10hipError_tPvRmT1_PNSt15iterator_traitsISK_E10value_typeET2_T3_PNSL_ISQ_E10value_typeET4_jRbjT5_SW_jjP12ihipStream_tbEUlT_E0_NS1_11comp_targetILNS1_3genE8ELNS1_11target_archE1030ELNS1_3gpuE2ELNS1_3repE0EEENS1_60segmented_radix_sort_warp_sort_medium_config_static_selectorELNS0_4arch9wavefront6targetE0EEEvSK_, .Lfunc_end1654-_ZN7rocprim17ROCPRIM_400000_NS6detail17trampoline_kernelINS0_14default_configENS1_36segmented_radix_sort_config_selectorIblEEZNS1_25segmented_radix_sort_implIS3_Lb0EPKbPbPKlPlN2at6native12_GLOBAL__N_18offset_tEEE10hipError_tPvRmT1_PNSt15iterator_traitsISK_E10value_typeET2_T3_PNSL_ISQ_E10value_typeET4_jRbjT5_SW_jjP12ihipStream_tbEUlT_E0_NS1_11comp_targetILNS1_3genE8ELNS1_11target_archE1030ELNS1_3gpuE2ELNS1_3repE0EEENS1_60segmented_radix_sort_warp_sort_medium_config_static_selectorELNS0_4arch9wavefront6targetE0EEEvSK_
                                        ; -- End function
	.set _ZN7rocprim17ROCPRIM_400000_NS6detail17trampoline_kernelINS0_14default_configENS1_36segmented_radix_sort_config_selectorIblEEZNS1_25segmented_radix_sort_implIS3_Lb0EPKbPbPKlPlN2at6native12_GLOBAL__N_18offset_tEEE10hipError_tPvRmT1_PNSt15iterator_traitsISK_E10value_typeET2_T3_PNSL_ISQ_E10value_typeET4_jRbjT5_SW_jjP12ihipStream_tbEUlT_E0_NS1_11comp_targetILNS1_3genE8ELNS1_11target_archE1030ELNS1_3gpuE2ELNS1_3repE0EEENS1_60segmented_radix_sort_warp_sort_medium_config_static_selectorELNS0_4arch9wavefront6targetE0EEEvSK_.num_vgpr, 0
	.set _ZN7rocprim17ROCPRIM_400000_NS6detail17trampoline_kernelINS0_14default_configENS1_36segmented_radix_sort_config_selectorIblEEZNS1_25segmented_radix_sort_implIS3_Lb0EPKbPbPKlPlN2at6native12_GLOBAL__N_18offset_tEEE10hipError_tPvRmT1_PNSt15iterator_traitsISK_E10value_typeET2_T3_PNSL_ISQ_E10value_typeET4_jRbjT5_SW_jjP12ihipStream_tbEUlT_E0_NS1_11comp_targetILNS1_3genE8ELNS1_11target_archE1030ELNS1_3gpuE2ELNS1_3repE0EEENS1_60segmented_radix_sort_warp_sort_medium_config_static_selectorELNS0_4arch9wavefront6targetE0EEEvSK_.num_agpr, 0
	.set _ZN7rocprim17ROCPRIM_400000_NS6detail17trampoline_kernelINS0_14default_configENS1_36segmented_radix_sort_config_selectorIblEEZNS1_25segmented_radix_sort_implIS3_Lb0EPKbPbPKlPlN2at6native12_GLOBAL__N_18offset_tEEE10hipError_tPvRmT1_PNSt15iterator_traitsISK_E10value_typeET2_T3_PNSL_ISQ_E10value_typeET4_jRbjT5_SW_jjP12ihipStream_tbEUlT_E0_NS1_11comp_targetILNS1_3genE8ELNS1_11target_archE1030ELNS1_3gpuE2ELNS1_3repE0EEENS1_60segmented_radix_sort_warp_sort_medium_config_static_selectorELNS0_4arch9wavefront6targetE0EEEvSK_.numbered_sgpr, 0
	.set _ZN7rocprim17ROCPRIM_400000_NS6detail17trampoline_kernelINS0_14default_configENS1_36segmented_radix_sort_config_selectorIblEEZNS1_25segmented_radix_sort_implIS3_Lb0EPKbPbPKlPlN2at6native12_GLOBAL__N_18offset_tEEE10hipError_tPvRmT1_PNSt15iterator_traitsISK_E10value_typeET2_T3_PNSL_ISQ_E10value_typeET4_jRbjT5_SW_jjP12ihipStream_tbEUlT_E0_NS1_11comp_targetILNS1_3genE8ELNS1_11target_archE1030ELNS1_3gpuE2ELNS1_3repE0EEENS1_60segmented_radix_sort_warp_sort_medium_config_static_selectorELNS0_4arch9wavefront6targetE0EEEvSK_.num_named_barrier, 0
	.set _ZN7rocprim17ROCPRIM_400000_NS6detail17trampoline_kernelINS0_14default_configENS1_36segmented_radix_sort_config_selectorIblEEZNS1_25segmented_radix_sort_implIS3_Lb0EPKbPbPKlPlN2at6native12_GLOBAL__N_18offset_tEEE10hipError_tPvRmT1_PNSt15iterator_traitsISK_E10value_typeET2_T3_PNSL_ISQ_E10value_typeET4_jRbjT5_SW_jjP12ihipStream_tbEUlT_E0_NS1_11comp_targetILNS1_3genE8ELNS1_11target_archE1030ELNS1_3gpuE2ELNS1_3repE0EEENS1_60segmented_radix_sort_warp_sort_medium_config_static_selectorELNS0_4arch9wavefront6targetE0EEEvSK_.private_seg_size, 0
	.set _ZN7rocprim17ROCPRIM_400000_NS6detail17trampoline_kernelINS0_14default_configENS1_36segmented_radix_sort_config_selectorIblEEZNS1_25segmented_radix_sort_implIS3_Lb0EPKbPbPKlPlN2at6native12_GLOBAL__N_18offset_tEEE10hipError_tPvRmT1_PNSt15iterator_traitsISK_E10value_typeET2_T3_PNSL_ISQ_E10value_typeET4_jRbjT5_SW_jjP12ihipStream_tbEUlT_E0_NS1_11comp_targetILNS1_3genE8ELNS1_11target_archE1030ELNS1_3gpuE2ELNS1_3repE0EEENS1_60segmented_radix_sort_warp_sort_medium_config_static_selectorELNS0_4arch9wavefront6targetE0EEEvSK_.uses_vcc, 0
	.set _ZN7rocprim17ROCPRIM_400000_NS6detail17trampoline_kernelINS0_14default_configENS1_36segmented_radix_sort_config_selectorIblEEZNS1_25segmented_radix_sort_implIS3_Lb0EPKbPbPKlPlN2at6native12_GLOBAL__N_18offset_tEEE10hipError_tPvRmT1_PNSt15iterator_traitsISK_E10value_typeET2_T3_PNSL_ISQ_E10value_typeET4_jRbjT5_SW_jjP12ihipStream_tbEUlT_E0_NS1_11comp_targetILNS1_3genE8ELNS1_11target_archE1030ELNS1_3gpuE2ELNS1_3repE0EEENS1_60segmented_radix_sort_warp_sort_medium_config_static_selectorELNS0_4arch9wavefront6targetE0EEEvSK_.uses_flat_scratch, 0
	.set _ZN7rocprim17ROCPRIM_400000_NS6detail17trampoline_kernelINS0_14default_configENS1_36segmented_radix_sort_config_selectorIblEEZNS1_25segmented_radix_sort_implIS3_Lb0EPKbPbPKlPlN2at6native12_GLOBAL__N_18offset_tEEE10hipError_tPvRmT1_PNSt15iterator_traitsISK_E10value_typeET2_T3_PNSL_ISQ_E10value_typeET4_jRbjT5_SW_jjP12ihipStream_tbEUlT_E0_NS1_11comp_targetILNS1_3genE8ELNS1_11target_archE1030ELNS1_3gpuE2ELNS1_3repE0EEENS1_60segmented_radix_sort_warp_sort_medium_config_static_selectorELNS0_4arch9wavefront6targetE0EEEvSK_.has_dyn_sized_stack, 0
	.set _ZN7rocprim17ROCPRIM_400000_NS6detail17trampoline_kernelINS0_14default_configENS1_36segmented_radix_sort_config_selectorIblEEZNS1_25segmented_radix_sort_implIS3_Lb0EPKbPbPKlPlN2at6native12_GLOBAL__N_18offset_tEEE10hipError_tPvRmT1_PNSt15iterator_traitsISK_E10value_typeET2_T3_PNSL_ISQ_E10value_typeET4_jRbjT5_SW_jjP12ihipStream_tbEUlT_E0_NS1_11comp_targetILNS1_3genE8ELNS1_11target_archE1030ELNS1_3gpuE2ELNS1_3repE0EEENS1_60segmented_radix_sort_warp_sort_medium_config_static_selectorELNS0_4arch9wavefront6targetE0EEEvSK_.has_recursion, 0
	.set _ZN7rocprim17ROCPRIM_400000_NS6detail17trampoline_kernelINS0_14default_configENS1_36segmented_radix_sort_config_selectorIblEEZNS1_25segmented_radix_sort_implIS3_Lb0EPKbPbPKlPlN2at6native12_GLOBAL__N_18offset_tEEE10hipError_tPvRmT1_PNSt15iterator_traitsISK_E10value_typeET2_T3_PNSL_ISQ_E10value_typeET4_jRbjT5_SW_jjP12ihipStream_tbEUlT_E0_NS1_11comp_targetILNS1_3genE8ELNS1_11target_archE1030ELNS1_3gpuE2ELNS1_3repE0EEENS1_60segmented_radix_sort_warp_sort_medium_config_static_selectorELNS0_4arch9wavefront6targetE0EEEvSK_.has_indirect_call, 0
	.section	.AMDGPU.csdata,"",@progbits
; Kernel info:
; codeLenInByte = 0
; TotalNumSgprs: 0
; NumVgprs: 0
; ScratchSize: 0
; MemoryBound: 0
; FloatMode: 240
; IeeeMode: 1
; LDSByteSize: 0 bytes/workgroup (compile time only)
; SGPRBlocks: 0
; VGPRBlocks: 0
; NumSGPRsForWavesPerEU: 1
; NumVGPRsForWavesPerEU: 1
; Occupancy: 16
; WaveLimiterHint : 0
; COMPUTE_PGM_RSRC2:SCRATCH_EN: 0
; COMPUTE_PGM_RSRC2:USER_SGPR: 2
; COMPUTE_PGM_RSRC2:TRAP_HANDLER: 0
; COMPUTE_PGM_RSRC2:TGID_X_EN: 1
; COMPUTE_PGM_RSRC2:TGID_Y_EN: 0
; COMPUTE_PGM_RSRC2:TGID_Z_EN: 0
; COMPUTE_PGM_RSRC2:TIDIG_COMP_CNT: 0
	.section	.text._ZN7rocprim17ROCPRIM_400000_NS6detail17trampoline_kernelINS0_14default_configENS1_36segmented_radix_sort_config_selectorIblEEZNS1_25segmented_radix_sort_implIS3_Lb0EPKbPbPKlPlN2at6native12_GLOBAL__N_18offset_tEEE10hipError_tPvRmT1_PNSt15iterator_traitsISK_E10value_typeET2_T3_PNSL_ISQ_E10value_typeET4_jRbjT5_SW_jjP12ihipStream_tbEUlT_E1_NS1_11comp_targetILNS1_3genE0ELNS1_11target_archE4294967295ELNS1_3gpuE0ELNS1_3repE0EEENS1_59segmented_radix_sort_warp_sort_small_config_static_selectorELNS0_4arch9wavefront6targetE0EEEvSK_,"axG",@progbits,_ZN7rocprim17ROCPRIM_400000_NS6detail17trampoline_kernelINS0_14default_configENS1_36segmented_radix_sort_config_selectorIblEEZNS1_25segmented_radix_sort_implIS3_Lb0EPKbPbPKlPlN2at6native12_GLOBAL__N_18offset_tEEE10hipError_tPvRmT1_PNSt15iterator_traitsISK_E10value_typeET2_T3_PNSL_ISQ_E10value_typeET4_jRbjT5_SW_jjP12ihipStream_tbEUlT_E1_NS1_11comp_targetILNS1_3genE0ELNS1_11target_archE4294967295ELNS1_3gpuE0ELNS1_3repE0EEENS1_59segmented_radix_sort_warp_sort_small_config_static_selectorELNS0_4arch9wavefront6targetE0EEEvSK_,comdat
	.globl	_ZN7rocprim17ROCPRIM_400000_NS6detail17trampoline_kernelINS0_14default_configENS1_36segmented_radix_sort_config_selectorIblEEZNS1_25segmented_radix_sort_implIS3_Lb0EPKbPbPKlPlN2at6native12_GLOBAL__N_18offset_tEEE10hipError_tPvRmT1_PNSt15iterator_traitsISK_E10value_typeET2_T3_PNSL_ISQ_E10value_typeET4_jRbjT5_SW_jjP12ihipStream_tbEUlT_E1_NS1_11comp_targetILNS1_3genE0ELNS1_11target_archE4294967295ELNS1_3gpuE0ELNS1_3repE0EEENS1_59segmented_radix_sort_warp_sort_small_config_static_selectorELNS0_4arch9wavefront6targetE0EEEvSK_ ; -- Begin function _ZN7rocprim17ROCPRIM_400000_NS6detail17trampoline_kernelINS0_14default_configENS1_36segmented_radix_sort_config_selectorIblEEZNS1_25segmented_radix_sort_implIS3_Lb0EPKbPbPKlPlN2at6native12_GLOBAL__N_18offset_tEEE10hipError_tPvRmT1_PNSt15iterator_traitsISK_E10value_typeET2_T3_PNSL_ISQ_E10value_typeET4_jRbjT5_SW_jjP12ihipStream_tbEUlT_E1_NS1_11comp_targetILNS1_3genE0ELNS1_11target_archE4294967295ELNS1_3gpuE0ELNS1_3repE0EEENS1_59segmented_radix_sort_warp_sort_small_config_static_selectorELNS0_4arch9wavefront6targetE0EEEvSK_
	.p2align	8
	.type	_ZN7rocprim17ROCPRIM_400000_NS6detail17trampoline_kernelINS0_14default_configENS1_36segmented_radix_sort_config_selectorIblEEZNS1_25segmented_radix_sort_implIS3_Lb0EPKbPbPKlPlN2at6native12_GLOBAL__N_18offset_tEEE10hipError_tPvRmT1_PNSt15iterator_traitsISK_E10value_typeET2_T3_PNSL_ISQ_E10value_typeET4_jRbjT5_SW_jjP12ihipStream_tbEUlT_E1_NS1_11comp_targetILNS1_3genE0ELNS1_11target_archE4294967295ELNS1_3gpuE0ELNS1_3repE0EEENS1_59segmented_radix_sort_warp_sort_small_config_static_selectorELNS0_4arch9wavefront6targetE0EEEvSK_,@function
_ZN7rocprim17ROCPRIM_400000_NS6detail17trampoline_kernelINS0_14default_configENS1_36segmented_radix_sort_config_selectorIblEEZNS1_25segmented_radix_sort_implIS3_Lb0EPKbPbPKlPlN2at6native12_GLOBAL__N_18offset_tEEE10hipError_tPvRmT1_PNSt15iterator_traitsISK_E10value_typeET2_T3_PNSL_ISQ_E10value_typeET4_jRbjT5_SW_jjP12ihipStream_tbEUlT_E1_NS1_11comp_targetILNS1_3genE0ELNS1_11target_archE4294967295ELNS1_3gpuE0ELNS1_3repE0EEENS1_59segmented_radix_sort_warp_sort_small_config_static_selectorELNS0_4arch9wavefront6targetE0EEEvSK_: ; @_ZN7rocprim17ROCPRIM_400000_NS6detail17trampoline_kernelINS0_14default_configENS1_36segmented_radix_sort_config_selectorIblEEZNS1_25segmented_radix_sort_implIS3_Lb0EPKbPbPKlPlN2at6native12_GLOBAL__N_18offset_tEEE10hipError_tPvRmT1_PNSt15iterator_traitsISK_E10value_typeET2_T3_PNSL_ISQ_E10value_typeET4_jRbjT5_SW_jjP12ihipStream_tbEUlT_E1_NS1_11comp_targetILNS1_3genE0ELNS1_11target_archE4294967295ELNS1_3gpuE0ELNS1_3repE0EEENS1_59segmented_radix_sort_warp_sort_small_config_static_selectorELNS0_4arch9wavefront6targetE0EEEvSK_
; %bb.0:
	.section	.rodata,"a",@progbits
	.p2align	6, 0x0
	.amdhsa_kernel _ZN7rocprim17ROCPRIM_400000_NS6detail17trampoline_kernelINS0_14default_configENS1_36segmented_radix_sort_config_selectorIblEEZNS1_25segmented_radix_sort_implIS3_Lb0EPKbPbPKlPlN2at6native12_GLOBAL__N_18offset_tEEE10hipError_tPvRmT1_PNSt15iterator_traitsISK_E10value_typeET2_T3_PNSL_ISQ_E10value_typeET4_jRbjT5_SW_jjP12ihipStream_tbEUlT_E1_NS1_11comp_targetILNS1_3genE0ELNS1_11target_archE4294967295ELNS1_3gpuE0ELNS1_3repE0EEENS1_59segmented_radix_sort_warp_sort_small_config_static_selectorELNS0_4arch9wavefront6targetE0EEEvSK_
		.amdhsa_group_segment_fixed_size 0
		.amdhsa_private_segment_fixed_size 0
		.amdhsa_kernarg_size 88
		.amdhsa_user_sgpr_count 2
		.amdhsa_user_sgpr_dispatch_ptr 0
		.amdhsa_user_sgpr_queue_ptr 0
		.amdhsa_user_sgpr_kernarg_segment_ptr 1
		.amdhsa_user_sgpr_dispatch_id 0
		.amdhsa_user_sgpr_private_segment_size 0
		.amdhsa_wavefront_size32 1
		.amdhsa_uses_dynamic_stack 0
		.amdhsa_enable_private_segment 0
		.amdhsa_system_sgpr_workgroup_id_x 1
		.amdhsa_system_sgpr_workgroup_id_y 0
		.amdhsa_system_sgpr_workgroup_id_z 0
		.amdhsa_system_sgpr_workgroup_info 0
		.amdhsa_system_vgpr_workitem_id 0
		.amdhsa_next_free_vgpr 1
		.amdhsa_next_free_sgpr 1
		.amdhsa_reserve_vcc 0
		.amdhsa_float_round_mode_32 0
		.amdhsa_float_round_mode_16_64 0
		.amdhsa_float_denorm_mode_32 3
		.amdhsa_float_denorm_mode_16_64 3
		.amdhsa_fp16_overflow 0
		.amdhsa_workgroup_processor_mode 1
		.amdhsa_memory_ordered 1
		.amdhsa_forward_progress 1
		.amdhsa_inst_pref_size 0
		.amdhsa_round_robin_scheduling 0
		.amdhsa_exception_fp_ieee_invalid_op 0
		.amdhsa_exception_fp_denorm_src 0
		.amdhsa_exception_fp_ieee_div_zero 0
		.amdhsa_exception_fp_ieee_overflow 0
		.amdhsa_exception_fp_ieee_underflow 0
		.amdhsa_exception_fp_ieee_inexact 0
		.amdhsa_exception_int_div_zero 0
	.end_amdhsa_kernel
	.section	.text._ZN7rocprim17ROCPRIM_400000_NS6detail17trampoline_kernelINS0_14default_configENS1_36segmented_radix_sort_config_selectorIblEEZNS1_25segmented_radix_sort_implIS3_Lb0EPKbPbPKlPlN2at6native12_GLOBAL__N_18offset_tEEE10hipError_tPvRmT1_PNSt15iterator_traitsISK_E10value_typeET2_T3_PNSL_ISQ_E10value_typeET4_jRbjT5_SW_jjP12ihipStream_tbEUlT_E1_NS1_11comp_targetILNS1_3genE0ELNS1_11target_archE4294967295ELNS1_3gpuE0ELNS1_3repE0EEENS1_59segmented_radix_sort_warp_sort_small_config_static_selectorELNS0_4arch9wavefront6targetE0EEEvSK_,"axG",@progbits,_ZN7rocprim17ROCPRIM_400000_NS6detail17trampoline_kernelINS0_14default_configENS1_36segmented_radix_sort_config_selectorIblEEZNS1_25segmented_radix_sort_implIS3_Lb0EPKbPbPKlPlN2at6native12_GLOBAL__N_18offset_tEEE10hipError_tPvRmT1_PNSt15iterator_traitsISK_E10value_typeET2_T3_PNSL_ISQ_E10value_typeET4_jRbjT5_SW_jjP12ihipStream_tbEUlT_E1_NS1_11comp_targetILNS1_3genE0ELNS1_11target_archE4294967295ELNS1_3gpuE0ELNS1_3repE0EEENS1_59segmented_radix_sort_warp_sort_small_config_static_selectorELNS0_4arch9wavefront6targetE0EEEvSK_,comdat
.Lfunc_end1655:
	.size	_ZN7rocprim17ROCPRIM_400000_NS6detail17trampoline_kernelINS0_14default_configENS1_36segmented_radix_sort_config_selectorIblEEZNS1_25segmented_radix_sort_implIS3_Lb0EPKbPbPKlPlN2at6native12_GLOBAL__N_18offset_tEEE10hipError_tPvRmT1_PNSt15iterator_traitsISK_E10value_typeET2_T3_PNSL_ISQ_E10value_typeET4_jRbjT5_SW_jjP12ihipStream_tbEUlT_E1_NS1_11comp_targetILNS1_3genE0ELNS1_11target_archE4294967295ELNS1_3gpuE0ELNS1_3repE0EEENS1_59segmented_radix_sort_warp_sort_small_config_static_selectorELNS0_4arch9wavefront6targetE0EEEvSK_, .Lfunc_end1655-_ZN7rocprim17ROCPRIM_400000_NS6detail17trampoline_kernelINS0_14default_configENS1_36segmented_radix_sort_config_selectorIblEEZNS1_25segmented_radix_sort_implIS3_Lb0EPKbPbPKlPlN2at6native12_GLOBAL__N_18offset_tEEE10hipError_tPvRmT1_PNSt15iterator_traitsISK_E10value_typeET2_T3_PNSL_ISQ_E10value_typeET4_jRbjT5_SW_jjP12ihipStream_tbEUlT_E1_NS1_11comp_targetILNS1_3genE0ELNS1_11target_archE4294967295ELNS1_3gpuE0ELNS1_3repE0EEENS1_59segmented_radix_sort_warp_sort_small_config_static_selectorELNS0_4arch9wavefront6targetE0EEEvSK_
                                        ; -- End function
	.set _ZN7rocprim17ROCPRIM_400000_NS6detail17trampoline_kernelINS0_14default_configENS1_36segmented_radix_sort_config_selectorIblEEZNS1_25segmented_radix_sort_implIS3_Lb0EPKbPbPKlPlN2at6native12_GLOBAL__N_18offset_tEEE10hipError_tPvRmT1_PNSt15iterator_traitsISK_E10value_typeET2_T3_PNSL_ISQ_E10value_typeET4_jRbjT5_SW_jjP12ihipStream_tbEUlT_E1_NS1_11comp_targetILNS1_3genE0ELNS1_11target_archE4294967295ELNS1_3gpuE0ELNS1_3repE0EEENS1_59segmented_radix_sort_warp_sort_small_config_static_selectorELNS0_4arch9wavefront6targetE0EEEvSK_.num_vgpr, 0
	.set _ZN7rocprim17ROCPRIM_400000_NS6detail17trampoline_kernelINS0_14default_configENS1_36segmented_radix_sort_config_selectorIblEEZNS1_25segmented_radix_sort_implIS3_Lb0EPKbPbPKlPlN2at6native12_GLOBAL__N_18offset_tEEE10hipError_tPvRmT1_PNSt15iterator_traitsISK_E10value_typeET2_T3_PNSL_ISQ_E10value_typeET4_jRbjT5_SW_jjP12ihipStream_tbEUlT_E1_NS1_11comp_targetILNS1_3genE0ELNS1_11target_archE4294967295ELNS1_3gpuE0ELNS1_3repE0EEENS1_59segmented_radix_sort_warp_sort_small_config_static_selectorELNS0_4arch9wavefront6targetE0EEEvSK_.num_agpr, 0
	.set _ZN7rocprim17ROCPRIM_400000_NS6detail17trampoline_kernelINS0_14default_configENS1_36segmented_radix_sort_config_selectorIblEEZNS1_25segmented_radix_sort_implIS3_Lb0EPKbPbPKlPlN2at6native12_GLOBAL__N_18offset_tEEE10hipError_tPvRmT1_PNSt15iterator_traitsISK_E10value_typeET2_T3_PNSL_ISQ_E10value_typeET4_jRbjT5_SW_jjP12ihipStream_tbEUlT_E1_NS1_11comp_targetILNS1_3genE0ELNS1_11target_archE4294967295ELNS1_3gpuE0ELNS1_3repE0EEENS1_59segmented_radix_sort_warp_sort_small_config_static_selectorELNS0_4arch9wavefront6targetE0EEEvSK_.numbered_sgpr, 0
	.set _ZN7rocprim17ROCPRIM_400000_NS6detail17trampoline_kernelINS0_14default_configENS1_36segmented_radix_sort_config_selectorIblEEZNS1_25segmented_radix_sort_implIS3_Lb0EPKbPbPKlPlN2at6native12_GLOBAL__N_18offset_tEEE10hipError_tPvRmT1_PNSt15iterator_traitsISK_E10value_typeET2_T3_PNSL_ISQ_E10value_typeET4_jRbjT5_SW_jjP12ihipStream_tbEUlT_E1_NS1_11comp_targetILNS1_3genE0ELNS1_11target_archE4294967295ELNS1_3gpuE0ELNS1_3repE0EEENS1_59segmented_radix_sort_warp_sort_small_config_static_selectorELNS0_4arch9wavefront6targetE0EEEvSK_.num_named_barrier, 0
	.set _ZN7rocprim17ROCPRIM_400000_NS6detail17trampoline_kernelINS0_14default_configENS1_36segmented_radix_sort_config_selectorIblEEZNS1_25segmented_radix_sort_implIS3_Lb0EPKbPbPKlPlN2at6native12_GLOBAL__N_18offset_tEEE10hipError_tPvRmT1_PNSt15iterator_traitsISK_E10value_typeET2_T3_PNSL_ISQ_E10value_typeET4_jRbjT5_SW_jjP12ihipStream_tbEUlT_E1_NS1_11comp_targetILNS1_3genE0ELNS1_11target_archE4294967295ELNS1_3gpuE0ELNS1_3repE0EEENS1_59segmented_radix_sort_warp_sort_small_config_static_selectorELNS0_4arch9wavefront6targetE0EEEvSK_.private_seg_size, 0
	.set _ZN7rocprim17ROCPRIM_400000_NS6detail17trampoline_kernelINS0_14default_configENS1_36segmented_radix_sort_config_selectorIblEEZNS1_25segmented_radix_sort_implIS3_Lb0EPKbPbPKlPlN2at6native12_GLOBAL__N_18offset_tEEE10hipError_tPvRmT1_PNSt15iterator_traitsISK_E10value_typeET2_T3_PNSL_ISQ_E10value_typeET4_jRbjT5_SW_jjP12ihipStream_tbEUlT_E1_NS1_11comp_targetILNS1_3genE0ELNS1_11target_archE4294967295ELNS1_3gpuE0ELNS1_3repE0EEENS1_59segmented_radix_sort_warp_sort_small_config_static_selectorELNS0_4arch9wavefront6targetE0EEEvSK_.uses_vcc, 0
	.set _ZN7rocprim17ROCPRIM_400000_NS6detail17trampoline_kernelINS0_14default_configENS1_36segmented_radix_sort_config_selectorIblEEZNS1_25segmented_radix_sort_implIS3_Lb0EPKbPbPKlPlN2at6native12_GLOBAL__N_18offset_tEEE10hipError_tPvRmT1_PNSt15iterator_traitsISK_E10value_typeET2_T3_PNSL_ISQ_E10value_typeET4_jRbjT5_SW_jjP12ihipStream_tbEUlT_E1_NS1_11comp_targetILNS1_3genE0ELNS1_11target_archE4294967295ELNS1_3gpuE0ELNS1_3repE0EEENS1_59segmented_radix_sort_warp_sort_small_config_static_selectorELNS0_4arch9wavefront6targetE0EEEvSK_.uses_flat_scratch, 0
	.set _ZN7rocprim17ROCPRIM_400000_NS6detail17trampoline_kernelINS0_14default_configENS1_36segmented_radix_sort_config_selectorIblEEZNS1_25segmented_radix_sort_implIS3_Lb0EPKbPbPKlPlN2at6native12_GLOBAL__N_18offset_tEEE10hipError_tPvRmT1_PNSt15iterator_traitsISK_E10value_typeET2_T3_PNSL_ISQ_E10value_typeET4_jRbjT5_SW_jjP12ihipStream_tbEUlT_E1_NS1_11comp_targetILNS1_3genE0ELNS1_11target_archE4294967295ELNS1_3gpuE0ELNS1_3repE0EEENS1_59segmented_radix_sort_warp_sort_small_config_static_selectorELNS0_4arch9wavefront6targetE0EEEvSK_.has_dyn_sized_stack, 0
	.set _ZN7rocprim17ROCPRIM_400000_NS6detail17trampoline_kernelINS0_14default_configENS1_36segmented_radix_sort_config_selectorIblEEZNS1_25segmented_radix_sort_implIS3_Lb0EPKbPbPKlPlN2at6native12_GLOBAL__N_18offset_tEEE10hipError_tPvRmT1_PNSt15iterator_traitsISK_E10value_typeET2_T3_PNSL_ISQ_E10value_typeET4_jRbjT5_SW_jjP12ihipStream_tbEUlT_E1_NS1_11comp_targetILNS1_3genE0ELNS1_11target_archE4294967295ELNS1_3gpuE0ELNS1_3repE0EEENS1_59segmented_radix_sort_warp_sort_small_config_static_selectorELNS0_4arch9wavefront6targetE0EEEvSK_.has_recursion, 0
	.set _ZN7rocprim17ROCPRIM_400000_NS6detail17trampoline_kernelINS0_14default_configENS1_36segmented_radix_sort_config_selectorIblEEZNS1_25segmented_radix_sort_implIS3_Lb0EPKbPbPKlPlN2at6native12_GLOBAL__N_18offset_tEEE10hipError_tPvRmT1_PNSt15iterator_traitsISK_E10value_typeET2_T3_PNSL_ISQ_E10value_typeET4_jRbjT5_SW_jjP12ihipStream_tbEUlT_E1_NS1_11comp_targetILNS1_3genE0ELNS1_11target_archE4294967295ELNS1_3gpuE0ELNS1_3repE0EEENS1_59segmented_radix_sort_warp_sort_small_config_static_selectorELNS0_4arch9wavefront6targetE0EEEvSK_.has_indirect_call, 0
	.section	.AMDGPU.csdata,"",@progbits
; Kernel info:
; codeLenInByte = 0
; TotalNumSgprs: 0
; NumVgprs: 0
; ScratchSize: 0
; MemoryBound: 0
; FloatMode: 240
; IeeeMode: 1
; LDSByteSize: 0 bytes/workgroup (compile time only)
; SGPRBlocks: 0
; VGPRBlocks: 0
; NumSGPRsForWavesPerEU: 1
; NumVGPRsForWavesPerEU: 1
; Occupancy: 16
; WaveLimiterHint : 0
; COMPUTE_PGM_RSRC2:SCRATCH_EN: 0
; COMPUTE_PGM_RSRC2:USER_SGPR: 2
; COMPUTE_PGM_RSRC2:TRAP_HANDLER: 0
; COMPUTE_PGM_RSRC2:TGID_X_EN: 1
; COMPUTE_PGM_RSRC2:TGID_Y_EN: 0
; COMPUTE_PGM_RSRC2:TGID_Z_EN: 0
; COMPUTE_PGM_RSRC2:TIDIG_COMP_CNT: 0
	.section	.text._ZN7rocprim17ROCPRIM_400000_NS6detail17trampoline_kernelINS0_14default_configENS1_36segmented_radix_sort_config_selectorIblEEZNS1_25segmented_radix_sort_implIS3_Lb0EPKbPbPKlPlN2at6native12_GLOBAL__N_18offset_tEEE10hipError_tPvRmT1_PNSt15iterator_traitsISK_E10value_typeET2_T3_PNSL_ISQ_E10value_typeET4_jRbjT5_SW_jjP12ihipStream_tbEUlT_E1_NS1_11comp_targetILNS1_3genE5ELNS1_11target_archE942ELNS1_3gpuE9ELNS1_3repE0EEENS1_59segmented_radix_sort_warp_sort_small_config_static_selectorELNS0_4arch9wavefront6targetE0EEEvSK_,"axG",@progbits,_ZN7rocprim17ROCPRIM_400000_NS6detail17trampoline_kernelINS0_14default_configENS1_36segmented_radix_sort_config_selectorIblEEZNS1_25segmented_radix_sort_implIS3_Lb0EPKbPbPKlPlN2at6native12_GLOBAL__N_18offset_tEEE10hipError_tPvRmT1_PNSt15iterator_traitsISK_E10value_typeET2_T3_PNSL_ISQ_E10value_typeET4_jRbjT5_SW_jjP12ihipStream_tbEUlT_E1_NS1_11comp_targetILNS1_3genE5ELNS1_11target_archE942ELNS1_3gpuE9ELNS1_3repE0EEENS1_59segmented_radix_sort_warp_sort_small_config_static_selectorELNS0_4arch9wavefront6targetE0EEEvSK_,comdat
	.globl	_ZN7rocprim17ROCPRIM_400000_NS6detail17trampoline_kernelINS0_14default_configENS1_36segmented_radix_sort_config_selectorIblEEZNS1_25segmented_radix_sort_implIS3_Lb0EPKbPbPKlPlN2at6native12_GLOBAL__N_18offset_tEEE10hipError_tPvRmT1_PNSt15iterator_traitsISK_E10value_typeET2_T3_PNSL_ISQ_E10value_typeET4_jRbjT5_SW_jjP12ihipStream_tbEUlT_E1_NS1_11comp_targetILNS1_3genE5ELNS1_11target_archE942ELNS1_3gpuE9ELNS1_3repE0EEENS1_59segmented_radix_sort_warp_sort_small_config_static_selectorELNS0_4arch9wavefront6targetE0EEEvSK_ ; -- Begin function _ZN7rocprim17ROCPRIM_400000_NS6detail17trampoline_kernelINS0_14default_configENS1_36segmented_radix_sort_config_selectorIblEEZNS1_25segmented_radix_sort_implIS3_Lb0EPKbPbPKlPlN2at6native12_GLOBAL__N_18offset_tEEE10hipError_tPvRmT1_PNSt15iterator_traitsISK_E10value_typeET2_T3_PNSL_ISQ_E10value_typeET4_jRbjT5_SW_jjP12ihipStream_tbEUlT_E1_NS1_11comp_targetILNS1_3genE5ELNS1_11target_archE942ELNS1_3gpuE9ELNS1_3repE0EEENS1_59segmented_radix_sort_warp_sort_small_config_static_selectorELNS0_4arch9wavefront6targetE0EEEvSK_
	.p2align	8
	.type	_ZN7rocprim17ROCPRIM_400000_NS6detail17trampoline_kernelINS0_14default_configENS1_36segmented_radix_sort_config_selectorIblEEZNS1_25segmented_radix_sort_implIS3_Lb0EPKbPbPKlPlN2at6native12_GLOBAL__N_18offset_tEEE10hipError_tPvRmT1_PNSt15iterator_traitsISK_E10value_typeET2_T3_PNSL_ISQ_E10value_typeET4_jRbjT5_SW_jjP12ihipStream_tbEUlT_E1_NS1_11comp_targetILNS1_3genE5ELNS1_11target_archE942ELNS1_3gpuE9ELNS1_3repE0EEENS1_59segmented_radix_sort_warp_sort_small_config_static_selectorELNS0_4arch9wavefront6targetE0EEEvSK_,@function
_ZN7rocprim17ROCPRIM_400000_NS6detail17trampoline_kernelINS0_14default_configENS1_36segmented_radix_sort_config_selectorIblEEZNS1_25segmented_radix_sort_implIS3_Lb0EPKbPbPKlPlN2at6native12_GLOBAL__N_18offset_tEEE10hipError_tPvRmT1_PNSt15iterator_traitsISK_E10value_typeET2_T3_PNSL_ISQ_E10value_typeET4_jRbjT5_SW_jjP12ihipStream_tbEUlT_E1_NS1_11comp_targetILNS1_3genE5ELNS1_11target_archE942ELNS1_3gpuE9ELNS1_3repE0EEENS1_59segmented_radix_sort_warp_sort_small_config_static_selectorELNS0_4arch9wavefront6targetE0EEEvSK_: ; @_ZN7rocprim17ROCPRIM_400000_NS6detail17trampoline_kernelINS0_14default_configENS1_36segmented_radix_sort_config_selectorIblEEZNS1_25segmented_radix_sort_implIS3_Lb0EPKbPbPKlPlN2at6native12_GLOBAL__N_18offset_tEEE10hipError_tPvRmT1_PNSt15iterator_traitsISK_E10value_typeET2_T3_PNSL_ISQ_E10value_typeET4_jRbjT5_SW_jjP12ihipStream_tbEUlT_E1_NS1_11comp_targetILNS1_3genE5ELNS1_11target_archE942ELNS1_3gpuE9ELNS1_3repE0EEENS1_59segmented_radix_sort_warp_sort_small_config_static_selectorELNS0_4arch9wavefront6targetE0EEEvSK_
; %bb.0:
	.section	.rodata,"a",@progbits
	.p2align	6, 0x0
	.amdhsa_kernel _ZN7rocprim17ROCPRIM_400000_NS6detail17trampoline_kernelINS0_14default_configENS1_36segmented_radix_sort_config_selectorIblEEZNS1_25segmented_radix_sort_implIS3_Lb0EPKbPbPKlPlN2at6native12_GLOBAL__N_18offset_tEEE10hipError_tPvRmT1_PNSt15iterator_traitsISK_E10value_typeET2_T3_PNSL_ISQ_E10value_typeET4_jRbjT5_SW_jjP12ihipStream_tbEUlT_E1_NS1_11comp_targetILNS1_3genE5ELNS1_11target_archE942ELNS1_3gpuE9ELNS1_3repE0EEENS1_59segmented_radix_sort_warp_sort_small_config_static_selectorELNS0_4arch9wavefront6targetE0EEEvSK_
		.amdhsa_group_segment_fixed_size 0
		.amdhsa_private_segment_fixed_size 0
		.amdhsa_kernarg_size 88
		.amdhsa_user_sgpr_count 2
		.amdhsa_user_sgpr_dispatch_ptr 0
		.amdhsa_user_sgpr_queue_ptr 0
		.amdhsa_user_sgpr_kernarg_segment_ptr 1
		.amdhsa_user_sgpr_dispatch_id 0
		.amdhsa_user_sgpr_private_segment_size 0
		.amdhsa_wavefront_size32 1
		.amdhsa_uses_dynamic_stack 0
		.amdhsa_enable_private_segment 0
		.amdhsa_system_sgpr_workgroup_id_x 1
		.amdhsa_system_sgpr_workgroup_id_y 0
		.amdhsa_system_sgpr_workgroup_id_z 0
		.amdhsa_system_sgpr_workgroup_info 0
		.amdhsa_system_vgpr_workitem_id 0
		.amdhsa_next_free_vgpr 1
		.amdhsa_next_free_sgpr 1
		.amdhsa_reserve_vcc 0
		.amdhsa_float_round_mode_32 0
		.amdhsa_float_round_mode_16_64 0
		.amdhsa_float_denorm_mode_32 3
		.amdhsa_float_denorm_mode_16_64 3
		.amdhsa_fp16_overflow 0
		.amdhsa_workgroup_processor_mode 1
		.amdhsa_memory_ordered 1
		.amdhsa_forward_progress 1
		.amdhsa_inst_pref_size 0
		.amdhsa_round_robin_scheduling 0
		.amdhsa_exception_fp_ieee_invalid_op 0
		.amdhsa_exception_fp_denorm_src 0
		.amdhsa_exception_fp_ieee_div_zero 0
		.amdhsa_exception_fp_ieee_overflow 0
		.amdhsa_exception_fp_ieee_underflow 0
		.amdhsa_exception_fp_ieee_inexact 0
		.amdhsa_exception_int_div_zero 0
	.end_amdhsa_kernel
	.section	.text._ZN7rocprim17ROCPRIM_400000_NS6detail17trampoline_kernelINS0_14default_configENS1_36segmented_radix_sort_config_selectorIblEEZNS1_25segmented_radix_sort_implIS3_Lb0EPKbPbPKlPlN2at6native12_GLOBAL__N_18offset_tEEE10hipError_tPvRmT1_PNSt15iterator_traitsISK_E10value_typeET2_T3_PNSL_ISQ_E10value_typeET4_jRbjT5_SW_jjP12ihipStream_tbEUlT_E1_NS1_11comp_targetILNS1_3genE5ELNS1_11target_archE942ELNS1_3gpuE9ELNS1_3repE0EEENS1_59segmented_radix_sort_warp_sort_small_config_static_selectorELNS0_4arch9wavefront6targetE0EEEvSK_,"axG",@progbits,_ZN7rocprim17ROCPRIM_400000_NS6detail17trampoline_kernelINS0_14default_configENS1_36segmented_radix_sort_config_selectorIblEEZNS1_25segmented_radix_sort_implIS3_Lb0EPKbPbPKlPlN2at6native12_GLOBAL__N_18offset_tEEE10hipError_tPvRmT1_PNSt15iterator_traitsISK_E10value_typeET2_T3_PNSL_ISQ_E10value_typeET4_jRbjT5_SW_jjP12ihipStream_tbEUlT_E1_NS1_11comp_targetILNS1_3genE5ELNS1_11target_archE942ELNS1_3gpuE9ELNS1_3repE0EEENS1_59segmented_radix_sort_warp_sort_small_config_static_selectorELNS0_4arch9wavefront6targetE0EEEvSK_,comdat
.Lfunc_end1656:
	.size	_ZN7rocprim17ROCPRIM_400000_NS6detail17trampoline_kernelINS0_14default_configENS1_36segmented_radix_sort_config_selectorIblEEZNS1_25segmented_radix_sort_implIS3_Lb0EPKbPbPKlPlN2at6native12_GLOBAL__N_18offset_tEEE10hipError_tPvRmT1_PNSt15iterator_traitsISK_E10value_typeET2_T3_PNSL_ISQ_E10value_typeET4_jRbjT5_SW_jjP12ihipStream_tbEUlT_E1_NS1_11comp_targetILNS1_3genE5ELNS1_11target_archE942ELNS1_3gpuE9ELNS1_3repE0EEENS1_59segmented_radix_sort_warp_sort_small_config_static_selectorELNS0_4arch9wavefront6targetE0EEEvSK_, .Lfunc_end1656-_ZN7rocprim17ROCPRIM_400000_NS6detail17trampoline_kernelINS0_14default_configENS1_36segmented_radix_sort_config_selectorIblEEZNS1_25segmented_radix_sort_implIS3_Lb0EPKbPbPKlPlN2at6native12_GLOBAL__N_18offset_tEEE10hipError_tPvRmT1_PNSt15iterator_traitsISK_E10value_typeET2_T3_PNSL_ISQ_E10value_typeET4_jRbjT5_SW_jjP12ihipStream_tbEUlT_E1_NS1_11comp_targetILNS1_3genE5ELNS1_11target_archE942ELNS1_3gpuE9ELNS1_3repE0EEENS1_59segmented_radix_sort_warp_sort_small_config_static_selectorELNS0_4arch9wavefront6targetE0EEEvSK_
                                        ; -- End function
	.set _ZN7rocprim17ROCPRIM_400000_NS6detail17trampoline_kernelINS0_14default_configENS1_36segmented_radix_sort_config_selectorIblEEZNS1_25segmented_radix_sort_implIS3_Lb0EPKbPbPKlPlN2at6native12_GLOBAL__N_18offset_tEEE10hipError_tPvRmT1_PNSt15iterator_traitsISK_E10value_typeET2_T3_PNSL_ISQ_E10value_typeET4_jRbjT5_SW_jjP12ihipStream_tbEUlT_E1_NS1_11comp_targetILNS1_3genE5ELNS1_11target_archE942ELNS1_3gpuE9ELNS1_3repE0EEENS1_59segmented_radix_sort_warp_sort_small_config_static_selectorELNS0_4arch9wavefront6targetE0EEEvSK_.num_vgpr, 0
	.set _ZN7rocprim17ROCPRIM_400000_NS6detail17trampoline_kernelINS0_14default_configENS1_36segmented_radix_sort_config_selectorIblEEZNS1_25segmented_radix_sort_implIS3_Lb0EPKbPbPKlPlN2at6native12_GLOBAL__N_18offset_tEEE10hipError_tPvRmT1_PNSt15iterator_traitsISK_E10value_typeET2_T3_PNSL_ISQ_E10value_typeET4_jRbjT5_SW_jjP12ihipStream_tbEUlT_E1_NS1_11comp_targetILNS1_3genE5ELNS1_11target_archE942ELNS1_3gpuE9ELNS1_3repE0EEENS1_59segmented_radix_sort_warp_sort_small_config_static_selectorELNS0_4arch9wavefront6targetE0EEEvSK_.num_agpr, 0
	.set _ZN7rocprim17ROCPRIM_400000_NS6detail17trampoline_kernelINS0_14default_configENS1_36segmented_radix_sort_config_selectorIblEEZNS1_25segmented_radix_sort_implIS3_Lb0EPKbPbPKlPlN2at6native12_GLOBAL__N_18offset_tEEE10hipError_tPvRmT1_PNSt15iterator_traitsISK_E10value_typeET2_T3_PNSL_ISQ_E10value_typeET4_jRbjT5_SW_jjP12ihipStream_tbEUlT_E1_NS1_11comp_targetILNS1_3genE5ELNS1_11target_archE942ELNS1_3gpuE9ELNS1_3repE0EEENS1_59segmented_radix_sort_warp_sort_small_config_static_selectorELNS0_4arch9wavefront6targetE0EEEvSK_.numbered_sgpr, 0
	.set _ZN7rocprim17ROCPRIM_400000_NS6detail17trampoline_kernelINS0_14default_configENS1_36segmented_radix_sort_config_selectorIblEEZNS1_25segmented_radix_sort_implIS3_Lb0EPKbPbPKlPlN2at6native12_GLOBAL__N_18offset_tEEE10hipError_tPvRmT1_PNSt15iterator_traitsISK_E10value_typeET2_T3_PNSL_ISQ_E10value_typeET4_jRbjT5_SW_jjP12ihipStream_tbEUlT_E1_NS1_11comp_targetILNS1_3genE5ELNS1_11target_archE942ELNS1_3gpuE9ELNS1_3repE0EEENS1_59segmented_radix_sort_warp_sort_small_config_static_selectorELNS0_4arch9wavefront6targetE0EEEvSK_.num_named_barrier, 0
	.set _ZN7rocprim17ROCPRIM_400000_NS6detail17trampoline_kernelINS0_14default_configENS1_36segmented_radix_sort_config_selectorIblEEZNS1_25segmented_radix_sort_implIS3_Lb0EPKbPbPKlPlN2at6native12_GLOBAL__N_18offset_tEEE10hipError_tPvRmT1_PNSt15iterator_traitsISK_E10value_typeET2_T3_PNSL_ISQ_E10value_typeET4_jRbjT5_SW_jjP12ihipStream_tbEUlT_E1_NS1_11comp_targetILNS1_3genE5ELNS1_11target_archE942ELNS1_3gpuE9ELNS1_3repE0EEENS1_59segmented_radix_sort_warp_sort_small_config_static_selectorELNS0_4arch9wavefront6targetE0EEEvSK_.private_seg_size, 0
	.set _ZN7rocprim17ROCPRIM_400000_NS6detail17trampoline_kernelINS0_14default_configENS1_36segmented_radix_sort_config_selectorIblEEZNS1_25segmented_radix_sort_implIS3_Lb0EPKbPbPKlPlN2at6native12_GLOBAL__N_18offset_tEEE10hipError_tPvRmT1_PNSt15iterator_traitsISK_E10value_typeET2_T3_PNSL_ISQ_E10value_typeET4_jRbjT5_SW_jjP12ihipStream_tbEUlT_E1_NS1_11comp_targetILNS1_3genE5ELNS1_11target_archE942ELNS1_3gpuE9ELNS1_3repE0EEENS1_59segmented_radix_sort_warp_sort_small_config_static_selectorELNS0_4arch9wavefront6targetE0EEEvSK_.uses_vcc, 0
	.set _ZN7rocprim17ROCPRIM_400000_NS6detail17trampoline_kernelINS0_14default_configENS1_36segmented_radix_sort_config_selectorIblEEZNS1_25segmented_radix_sort_implIS3_Lb0EPKbPbPKlPlN2at6native12_GLOBAL__N_18offset_tEEE10hipError_tPvRmT1_PNSt15iterator_traitsISK_E10value_typeET2_T3_PNSL_ISQ_E10value_typeET4_jRbjT5_SW_jjP12ihipStream_tbEUlT_E1_NS1_11comp_targetILNS1_3genE5ELNS1_11target_archE942ELNS1_3gpuE9ELNS1_3repE0EEENS1_59segmented_radix_sort_warp_sort_small_config_static_selectorELNS0_4arch9wavefront6targetE0EEEvSK_.uses_flat_scratch, 0
	.set _ZN7rocprim17ROCPRIM_400000_NS6detail17trampoline_kernelINS0_14default_configENS1_36segmented_radix_sort_config_selectorIblEEZNS1_25segmented_radix_sort_implIS3_Lb0EPKbPbPKlPlN2at6native12_GLOBAL__N_18offset_tEEE10hipError_tPvRmT1_PNSt15iterator_traitsISK_E10value_typeET2_T3_PNSL_ISQ_E10value_typeET4_jRbjT5_SW_jjP12ihipStream_tbEUlT_E1_NS1_11comp_targetILNS1_3genE5ELNS1_11target_archE942ELNS1_3gpuE9ELNS1_3repE0EEENS1_59segmented_radix_sort_warp_sort_small_config_static_selectorELNS0_4arch9wavefront6targetE0EEEvSK_.has_dyn_sized_stack, 0
	.set _ZN7rocprim17ROCPRIM_400000_NS6detail17trampoline_kernelINS0_14default_configENS1_36segmented_radix_sort_config_selectorIblEEZNS1_25segmented_radix_sort_implIS3_Lb0EPKbPbPKlPlN2at6native12_GLOBAL__N_18offset_tEEE10hipError_tPvRmT1_PNSt15iterator_traitsISK_E10value_typeET2_T3_PNSL_ISQ_E10value_typeET4_jRbjT5_SW_jjP12ihipStream_tbEUlT_E1_NS1_11comp_targetILNS1_3genE5ELNS1_11target_archE942ELNS1_3gpuE9ELNS1_3repE0EEENS1_59segmented_radix_sort_warp_sort_small_config_static_selectorELNS0_4arch9wavefront6targetE0EEEvSK_.has_recursion, 0
	.set _ZN7rocprim17ROCPRIM_400000_NS6detail17trampoline_kernelINS0_14default_configENS1_36segmented_radix_sort_config_selectorIblEEZNS1_25segmented_radix_sort_implIS3_Lb0EPKbPbPKlPlN2at6native12_GLOBAL__N_18offset_tEEE10hipError_tPvRmT1_PNSt15iterator_traitsISK_E10value_typeET2_T3_PNSL_ISQ_E10value_typeET4_jRbjT5_SW_jjP12ihipStream_tbEUlT_E1_NS1_11comp_targetILNS1_3genE5ELNS1_11target_archE942ELNS1_3gpuE9ELNS1_3repE0EEENS1_59segmented_radix_sort_warp_sort_small_config_static_selectorELNS0_4arch9wavefront6targetE0EEEvSK_.has_indirect_call, 0
	.section	.AMDGPU.csdata,"",@progbits
; Kernel info:
; codeLenInByte = 0
; TotalNumSgprs: 0
; NumVgprs: 0
; ScratchSize: 0
; MemoryBound: 0
; FloatMode: 240
; IeeeMode: 1
; LDSByteSize: 0 bytes/workgroup (compile time only)
; SGPRBlocks: 0
; VGPRBlocks: 0
; NumSGPRsForWavesPerEU: 1
; NumVGPRsForWavesPerEU: 1
; Occupancy: 16
; WaveLimiterHint : 0
; COMPUTE_PGM_RSRC2:SCRATCH_EN: 0
; COMPUTE_PGM_RSRC2:USER_SGPR: 2
; COMPUTE_PGM_RSRC2:TRAP_HANDLER: 0
; COMPUTE_PGM_RSRC2:TGID_X_EN: 1
; COMPUTE_PGM_RSRC2:TGID_Y_EN: 0
; COMPUTE_PGM_RSRC2:TGID_Z_EN: 0
; COMPUTE_PGM_RSRC2:TIDIG_COMP_CNT: 0
	.section	.text._ZN7rocprim17ROCPRIM_400000_NS6detail17trampoline_kernelINS0_14default_configENS1_36segmented_radix_sort_config_selectorIblEEZNS1_25segmented_radix_sort_implIS3_Lb0EPKbPbPKlPlN2at6native12_GLOBAL__N_18offset_tEEE10hipError_tPvRmT1_PNSt15iterator_traitsISK_E10value_typeET2_T3_PNSL_ISQ_E10value_typeET4_jRbjT5_SW_jjP12ihipStream_tbEUlT_E1_NS1_11comp_targetILNS1_3genE4ELNS1_11target_archE910ELNS1_3gpuE8ELNS1_3repE0EEENS1_59segmented_radix_sort_warp_sort_small_config_static_selectorELNS0_4arch9wavefront6targetE0EEEvSK_,"axG",@progbits,_ZN7rocprim17ROCPRIM_400000_NS6detail17trampoline_kernelINS0_14default_configENS1_36segmented_radix_sort_config_selectorIblEEZNS1_25segmented_radix_sort_implIS3_Lb0EPKbPbPKlPlN2at6native12_GLOBAL__N_18offset_tEEE10hipError_tPvRmT1_PNSt15iterator_traitsISK_E10value_typeET2_T3_PNSL_ISQ_E10value_typeET4_jRbjT5_SW_jjP12ihipStream_tbEUlT_E1_NS1_11comp_targetILNS1_3genE4ELNS1_11target_archE910ELNS1_3gpuE8ELNS1_3repE0EEENS1_59segmented_radix_sort_warp_sort_small_config_static_selectorELNS0_4arch9wavefront6targetE0EEEvSK_,comdat
	.globl	_ZN7rocprim17ROCPRIM_400000_NS6detail17trampoline_kernelINS0_14default_configENS1_36segmented_radix_sort_config_selectorIblEEZNS1_25segmented_radix_sort_implIS3_Lb0EPKbPbPKlPlN2at6native12_GLOBAL__N_18offset_tEEE10hipError_tPvRmT1_PNSt15iterator_traitsISK_E10value_typeET2_T3_PNSL_ISQ_E10value_typeET4_jRbjT5_SW_jjP12ihipStream_tbEUlT_E1_NS1_11comp_targetILNS1_3genE4ELNS1_11target_archE910ELNS1_3gpuE8ELNS1_3repE0EEENS1_59segmented_radix_sort_warp_sort_small_config_static_selectorELNS0_4arch9wavefront6targetE0EEEvSK_ ; -- Begin function _ZN7rocprim17ROCPRIM_400000_NS6detail17trampoline_kernelINS0_14default_configENS1_36segmented_radix_sort_config_selectorIblEEZNS1_25segmented_radix_sort_implIS3_Lb0EPKbPbPKlPlN2at6native12_GLOBAL__N_18offset_tEEE10hipError_tPvRmT1_PNSt15iterator_traitsISK_E10value_typeET2_T3_PNSL_ISQ_E10value_typeET4_jRbjT5_SW_jjP12ihipStream_tbEUlT_E1_NS1_11comp_targetILNS1_3genE4ELNS1_11target_archE910ELNS1_3gpuE8ELNS1_3repE0EEENS1_59segmented_radix_sort_warp_sort_small_config_static_selectorELNS0_4arch9wavefront6targetE0EEEvSK_
	.p2align	8
	.type	_ZN7rocprim17ROCPRIM_400000_NS6detail17trampoline_kernelINS0_14default_configENS1_36segmented_radix_sort_config_selectorIblEEZNS1_25segmented_radix_sort_implIS3_Lb0EPKbPbPKlPlN2at6native12_GLOBAL__N_18offset_tEEE10hipError_tPvRmT1_PNSt15iterator_traitsISK_E10value_typeET2_T3_PNSL_ISQ_E10value_typeET4_jRbjT5_SW_jjP12ihipStream_tbEUlT_E1_NS1_11comp_targetILNS1_3genE4ELNS1_11target_archE910ELNS1_3gpuE8ELNS1_3repE0EEENS1_59segmented_radix_sort_warp_sort_small_config_static_selectorELNS0_4arch9wavefront6targetE0EEEvSK_,@function
_ZN7rocprim17ROCPRIM_400000_NS6detail17trampoline_kernelINS0_14default_configENS1_36segmented_radix_sort_config_selectorIblEEZNS1_25segmented_radix_sort_implIS3_Lb0EPKbPbPKlPlN2at6native12_GLOBAL__N_18offset_tEEE10hipError_tPvRmT1_PNSt15iterator_traitsISK_E10value_typeET2_T3_PNSL_ISQ_E10value_typeET4_jRbjT5_SW_jjP12ihipStream_tbEUlT_E1_NS1_11comp_targetILNS1_3genE4ELNS1_11target_archE910ELNS1_3gpuE8ELNS1_3repE0EEENS1_59segmented_radix_sort_warp_sort_small_config_static_selectorELNS0_4arch9wavefront6targetE0EEEvSK_: ; @_ZN7rocprim17ROCPRIM_400000_NS6detail17trampoline_kernelINS0_14default_configENS1_36segmented_radix_sort_config_selectorIblEEZNS1_25segmented_radix_sort_implIS3_Lb0EPKbPbPKlPlN2at6native12_GLOBAL__N_18offset_tEEE10hipError_tPvRmT1_PNSt15iterator_traitsISK_E10value_typeET2_T3_PNSL_ISQ_E10value_typeET4_jRbjT5_SW_jjP12ihipStream_tbEUlT_E1_NS1_11comp_targetILNS1_3genE4ELNS1_11target_archE910ELNS1_3gpuE8ELNS1_3repE0EEENS1_59segmented_radix_sort_warp_sort_small_config_static_selectorELNS0_4arch9wavefront6targetE0EEEvSK_
; %bb.0:
	.section	.rodata,"a",@progbits
	.p2align	6, 0x0
	.amdhsa_kernel _ZN7rocprim17ROCPRIM_400000_NS6detail17trampoline_kernelINS0_14default_configENS1_36segmented_radix_sort_config_selectorIblEEZNS1_25segmented_radix_sort_implIS3_Lb0EPKbPbPKlPlN2at6native12_GLOBAL__N_18offset_tEEE10hipError_tPvRmT1_PNSt15iterator_traitsISK_E10value_typeET2_T3_PNSL_ISQ_E10value_typeET4_jRbjT5_SW_jjP12ihipStream_tbEUlT_E1_NS1_11comp_targetILNS1_3genE4ELNS1_11target_archE910ELNS1_3gpuE8ELNS1_3repE0EEENS1_59segmented_radix_sort_warp_sort_small_config_static_selectorELNS0_4arch9wavefront6targetE0EEEvSK_
		.amdhsa_group_segment_fixed_size 0
		.amdhsa_private_segment_fixed_size 0
		.amdhsa_kernarg_size 88
		.amdhsa_user_sgpr_count 2
		.amdhsa_user_sgpr_dispatch_ptr 0
		.amdhsa_user_sgpr_queue_ptr 0
		.amdhsa_user_sgpr_kernarg_segment_ptr 1
		.amdhsa_user_sgpr_dispatch_id 0
		.amdhsa_user_sgpr_private_segment_size 0
		.amdhsa_wavefront_size32 1
		.amdhsa_uses_dynamic_stack 0
		.amdhsa_enable_private_segment 0
		.amdhsa_system_sgpr_workgroup_id_x 1
		.amdhsa_system_sgpr_workgroup_id_y 0
		.amdhsa_system_sgpr_workgroup_id_z 0
		.amdhsa_system_sgpr_workgroup_info 0
		.amdhsa_system_vgpr_workitem_id 0
		.amdhsa_next_free_vgpr 1
		.amdhsa_next_free_sgpr 1
		.amdhsa_reserve_vcc 0
		.amdhsa_float_round_mode_32 0
		.amdhsa_float_round_mode_16_64 0
		.amdhsa_float_denorm_mode_32 3
		.amdhsa_float_denorm_mode_16_64 3
		.amdhsa_fp16_overflow 0
		.amdhsa_workgroup_processor_mode 1
		.amdhsa_memory_ordered 1
		.amdhsa_forward_progress 1
		.amdhsa_inst_pref_size 0
		.amdhsa_round_robin_scheduling 0
		.amdhsa_exception_fp_ieee_invalid_op 0
		.amdhsa_exception_fp_denorm_src 0
		.amdhsa_exception_fp_ieee_div_zero 0
		.amdhsa_exception_fp_ieee_overflow 0
		.amdhsa_exception_fp_ieee_underflow 0
		.amdhsa_exception_fp_ieee_inexact 0
		.amdhsa_exception_int_div_zero 0
	.end_amdhsa_kernel
	.section	.text._ZN7rocprim17ROCPRIM_400000_NS6detail17trampoline_kernelINS0_14default_configENS1_36segmented_radix_sort_config_selectorIblEEZNS1_25segmented_radix_sort_implIS3_Lb0EPKbPbPKlPlN2at6native12_GLOBAL__N_18offset_tEEE10hipError_tPvRmT1_PNSt15iterator_traitsISK_E10value_typeET2_T3_PNSL_ISQ_E10value_typeET4_jRbjT5_SW_jjP12ihipStream_tbEUlT_E1_NS1_11comp_targetILNS1_3genE4ELNS1_11target_archE910ELNS1_3gpuE8ELNS1_3repE0EEENS1_59segmented_radix_sort_warp_sort_small_config_static_selectorELNS0_4arch9wavefront6targetE0EEEvSK_,"axG",@progbits,_ZN7rocprim17ROCPRIM_400000_NS6detail17trampoline_kernelINS0_14default_configENS1_36segmented_radix_sort_config_selectorIblEEZNS1_25segmented_radix_sort_implIS3_Lb0EPKbPbPKlPlN2at6native12_GLOBAL__N_18offset_tEEE10hipError_tPvRmT1_PNSt15iterator_traitsISK_E10value_typeET2_T3_PNSL_ISQ_E10value_typeET4_jRbjT5_SW_jjP12ihipStream_tbEUlT_E1_NS1_11comp_targetILNS1_3genE4ELNS1_11target_archE910ELNS1_3gpuE8ELNS1_3repE0EEENS1_59segmented_radix_sort_warp_sort_small_config_static_selectorELNS0_4arch9wavefront6targetE0EEEvSK_,comdat
.Lfunc_end1657:
	.size	_ZN7rocprim17ROCPRIM_400000_NS6detail17trampoline_kernelINS0_14default_configENS1_36segmented_radix_sort_config_selectorIblEEZNS1_25segmented_radix_sort_implIS3_Lb0EPKbPbPKlPlN2at6native12_GLOBAL__N_18offset_tEEE10hipError_tPvRmT1_PNSt15iterator_traitsISK_E10value_typeET2_T3_PNSL_ISQ_E10value_typeET4_jRbjT5_SW_jjP12ihipStream_tbEUlT_E1_NS1_11comp_targetILNS1_3genE4ELNS1_11target_archE910ELNS1_3gpuE8ELNS1_3repE0EEENS1_59segmented_radix_sort_warp_sort_small_config_static_selectorELNS0_4arch9wavefront6targetE0EEEvSK_, .Lfunc_end1657-_ZN7rocprim17ROCPRIM_400000_NS6detail17trampoline_kernelINS0_14default_configENS1_36segmented_radix_sort_config_selectorIblEEZNS1_25segmented_radix_sort_implIS3_Lb0EPKbPbPKlPlN2at6native12_GLOBAL__N_18offset_tEEE10hipError_tPvRmT1_PNSt15iterator_traitsISK_E10value_typeET2_T3_PNSL_ISQ_E10value_typeET4_jRbjT5_SW_jjP12ihipStream_tbEUlT_E1_NS1_11comp_targetILNS1_3genE4ELNS1_11target_archE910ELNS1_3gpuE8ELNS1_3repE0EEENS1_59segmented_radix_sort_warp_sort_small_config_static_selectorELNS0_4arch9wavefront6targetE0EEEvSK_
                                        ; -- End function
	.set _ZN7rocprim17ROCPRIM_400000_NS6detail17trampoline_kernelINS0_14default_configENS1_36segmented_radix_sort_config_selectorIblEEZNS1_25segmented_radix_sort_implIS3_Lb0EPKbPbPKlPlN2at6native12_GLOBAL__N_18offset_tEEE10hipError_tPvRmT1_PNSt15iterator_traitsISK_E10value_typeET2_T3_PNSL_ISQ_E10value_typeET4_jRbjT5_SW_jjP12ihipStream_tbEUlT_E1_NS1_11comp_targetILNS1_3genE4ELNS1_11target_archE910ELNS1_3gpuE8ELNS1_3repE0EEENS1_59segmented_radix_sort_warp_sort_small_config_static_selectorELNS0_4arch9wavefront6targetE0EEEvSK_.num_vgpr, 0
	.set _ZN7rocprim17ROCPRIM_400000_NS6detail17trampoline_kernelINS0_14default_configENS1_36segmented_radix_sort_config_selectorIblEEZNS1_25segmented_radix_sort_implIS3_Lb0EPKbPbPKlPlN2at6native12_GLOBAL__N_18offset_tEEE10hipError_tPvRmT1_PNSt15iterator_traitsISK_E10value_typeET2_T3_PNSL_ISQ_E10value_typeET4_jRbjT5_SW_jjP12ihipStream_tbEUlT_E1_NS1_11comp_targetILNS1_3genE4ELNS1_11target_archE910ELNS1_3gpuE8ELNS1_3repE0EEENS1_59segmented_radix_sort_warp_sort_small_config_static_selectorELNS0_4arch9wavefront6targetE0EEEvSK_.num_agpr, 0
	.set _ZN7rocprim17ROCPRIM_400000_NS6detail17trampoline_kernelINS0_14default_configENS1_36segmented_radix_sort_config_selectorIblEEZNS1_25segmented_radix_sort_implIS3_Lb0EPKbPbPKlPlN2at6native12_GLOBAL__N_18offset_tEEE10hipError_tPvRmT1_PNSt15iterator_traitsISK_E10value_typeET2_T3_PNSL_ISQ_E10value_typeET4_jRbjT5_SW_jjP12ihipStream_tbEUlT_E1_NS1_11comp_targetILNS1_3genE4ELNS1_11target_archE910ELNS1_3gpuE8ELNS1_3repE0EEENS1_59segmented_radix_sort_warp_sort_small_config_static_selectorELNS0_4arch9wavefront6targetE0EEEvSK_.numbered_sgpr, 0
	.set _ZN7rocprim17ROCPRIM_400000_NS6detail17trampoline_kernelINS0_14default_configENS1_36segmented_radix_sort_config_selectorIblEEZNS1_25segmented_radix_sort_implIS3_Lb0EPKbPbPKlPlN2at6native12_GLOBAL__N_18offset_tEEE10hipError_tPvRmT1_PNSt15iterator_traitsISK_E10value_typeET2_T3_PNSL_ISQ_E10value_typeET4_jRbjT5_SW_jjP12ihipStream_tbEUlT_E1_NS1_11comp_targetILNS1_3genE4ELNS1_11target_archE910ELNS1_3gpuE8ELNS1_3repE0EEENS1_59segmented_radix_sort_warp_sort_small_config_static_selectorELNS0_4arch9wavefront6targetE0EEEvSK_.num_named_barrier, 0
	.set _ZN7rocprim17ROCPRIM_400000_NS6detail17trampoline_kernelINS0_14default_configENS1_36segmented_radix_sort_config_selectorIblEEZNS1_25segmented_radix_sort_implIS3_Lb0EPKbPbPKlPlN2at6native12_GLOBAL__N_18offset_tEEE10hipError_tPvRmT1_PNSt15iterator_traitsISK_E10value_typeET2_T3_PNSL_ISQ_E10value_typeET4_jRbjT5_SW_jjP12ihipStream_tbEUlT_E1_NS1_11comp_targetILNS1_3genE4ELNS1_11target_archE910ELNS1_3gpuE8ELNS1_3repE0EEENS1_59segmented_radix_sort_warp_sort_small_config_static_selectorELNS0_4arch9wavefront6targetE0EEEvSK_.private_seg_size, 0
	.set _ZN7rocprim17ROCPRIM_400000_NS6detail17trampoline_kernelINS0_14default_configENS1_36segmented_radix_sort_config_selectorIblEEZNS1_25segmented_radix_sort_implIS3_Lb0EPKbPbPKlPlN2at6native12_GLOBAL__N_18offset_tEEE10hipError_tPvRmT1_PNSt15iterator_traitsISK_E10value_typeET2_T3_PNSL_ISQ_E10value_typeET4_jRbjT5_SW_jjP12ihipStream_tbEUlT_E1_NS1_11comp_targetILNS1_3genE4ELNS1_11target_archE910ELNS1_3gpuE8ELNS1_3repE0EEENS1_59segmented_radix_sort_warp_sort_small_config_static_selectorELNS0_4arch9wavefront6targetE0EEEvSK_.uses_vcc, 0
	.set _ZN7rocprim17ROCPRIM_400000_NS6detail17trampoline_kernelINS0_14default_configENS1_36segmented_radix_sort_config_selectorIblEEZNS1_25segmented_radix_sort_implIS3_Lb0EPKbPbPKlPlN2at6native12_GLOBAL__N_18offset_tEEE10hipError_tPvRmT1_PNSt15iterator_traitsISK_E10value_typeET2_T3_PNSL_ISQ_E10value_typeET4_jRbjT5_SW_jjP12ihipStream_tbEUlT_E1_NS1_11comp_targetILNS1_3genE4ELNS1_11target_archE910ELNS1_3gpuE8ELNS1_3repE0EEENS1_59segmented_radix_sort_warp_sort_small_config_static_selectorELNS0_4arch9wavefront6targetE0EEEvSK_.uses_flat_scratch, 0
	.set _ZN7rocprim17ROCPRIM_400000_NS6detail17trampoline_kernelINS0_14default_configENS1_36segmented_radix_sort_config_selectorIblEEZNS1_25segmented_radix_sort_implIS3_Lb0EPKbPbPKlPlN2at6native12_GLOBAL__N_18offset_tEEE10hipError_tPvRmT1_PNSt15iterator_traitsISK_E10value_typeET2_T3_PNSL_ISQ_E10value_typeET4_jRbjT5_SW_jjP12ihipStream_tbEUlT_E1_NS1_11comp_targetILNS1_3genE4ELNS1_11target_archE910ELNS1_3gpuE8ELNS1_3repE0EEENS1_59segmented_radix_sort_warp_sort_small_config_static_selectorELNS0_4arch9wavefront6targetE0EEEvSK_.has_dyn_sized_stack, 0
	.set _ZN7rocprim17ROCPRIM_400000_NS6detail17trampoline_kernelINS0_14default_configENS1_36segmented_radix_sort_config_selectorIblEEZNS1_25segmented_radix_sort_implIS3_Lb0EPKbPbPKlPlN2at6native12_GLOBAL__N_18offset_tEEE10hipError_tPvRmT1_PNSt15iterator_traitsISK_E10value_typeET2_T3_PNSL_ISQ_E10value_typeET4_jRbjT5_SW_jjP12ihipStream_tbEUlT_E1_NS1_11comp_targetILNS1_3genE4ELNS1_11target_archE910ELNS1_3gpuE8ELNS1_3repE0EEENS1_59segmented_radix_sort_warp_sort_small_config_static_selectorELNS0_4arch9wavefront6targetE0EEEvSK_.has_recursion, 0
	.set _ZN7rocprim17ROCPRIM_400000_NS6detail17trampoline_kernelINS0_14default_configENS1_36segmented_radix_sort_config_selectorIblEEZNS1_25segmented_radix_sort_implIS3_Lb0EPKbPbPKlPlN2at6native12_GLOBAL__N_18offset_tEEE10hipError_tPvRmT1_PNSt15iterator_traitsISK_E10value_typeET2_T3_PNSL_ISQ_E10value_typeET4_jRbjT5_SW_jjP12ihipStream_tbEUlT_E1_NS1_11comp_targetILNS1_3genE4ELNS1_11target_archE910ELNS1_3gpuE8ELNS1_3repE0EEENS1_59segmented_radix_sort_warp_sort_small_config_static_selectorELNS0_4arch9wavefront6targetE0EEEvSK_.has_indirect_call, 0
	.section	.AMDGPU.csdata,"",@progbits
; Kernel info:
; codeLenInByte = 0
; TotalNumSgprs: 0
; NumVgprs: 0
; ScratchSize: 0
; MemoryBound: 0
; FloatMode: 240
; IeeeMode: 1
; LDSByteSize: 0 bytes/workgroup (compile time only)
; SGPRBlocks: 0
; VGPRBlocks: 0
; NumSGPRsForWavesPerEU: 1
; NumVGPRsForWavesPerEU: 1
; Occupancy: 16
; WaveLimiterHint : 0
; COMPUTE_PGM_RSRC2:SCRATCH_EN: 0
; COMPUTE_PGM_RSRC2:USER_SGPR: 2
; COMPUTE_PGM_RSRC2:TRAP_HANDLER: 0
; COMPUTE_PGM_RSRC2:TGID_X_EN: 1
; COMPUTE_PGM_RSRC2:TGID_Y_EN: 0
; COMPUTE_PGM_RSRC2:TGID_Z_EN: 0
; COMPUTE_PGM_RSRC2:TIDIG_COMP_CNT: 0
	.section	.text._ZN7rocprim17ROCPRIM_400000_NS6detail17trampoline_kernelINS0_14default_configENS1_36segmented_radix_sort_config_selectorIblEEZNS1_25segmented_radix_sort_implIS3_Lb0EPKbPbPKlPlN2at6native12_GLOBAL__N_18offset_tEEE10hipError_tPvRmT1_PNSt15iterator_traitsISK_E10value_typeET2_T3_PNSL_ISQ_E10value_typeET4_jRbjT5_SW_jjP12ihipStream_tbEUlT_E1_NS1_11comp_targetILNS1_3genE3ELNS1_11target_archE908ELNS1_3gpuE7ELNS1_3repE0EEENS1_59segmented_radix_sort_warp_sort_small_config_static_selectorELNS0_4arch9wavefront6targetE0EEEvSK_,"axG",@progbits,_ZN7rocprim17ROCPRIM_400000_NS6detail17trampoline_kernelINS0_14default_configENS1_36segmented_radix_sort_config_selectorIblEEZNS1_25segmented_radix_sort_implIS3_Lb0EPKbPbPKlPlN2at6native12_GLOBAL__N_18offset_tEEE10hipError_tPvRmT1_PNSt15iterator_traitsISK_E10value_typeET2_T3_PNSL_ISQ_E10value_typeET4_jRbjT5_SW_jjP12ihipStream_tbEUlT_E1_NS1_11comp_targetILNS1_3genE3ELNS1_11target_archE908ELNS1_3gpuE7ELNS1_3repE0EEENS1_59segmented_radix_sort_warp_sort_small_config_static_selectorELNS0_4arch9wavefront6targetE0EEEvSK_,comdat
	.globl	_ZN7rocprim17ROCPRIM_400000_NS6detail17trampoline_kernelINS0_14default_configENS1_36segmented_radix_sort_config_selectorIblEEZNS1_25segmented_radix_sort_implIS3_Lb0EPKbPbPKlPlN2at6native12_GLOBAL__N_18offset_tEEE10hipError_tPvRmT1_PNSt15iterator_traitsISK_E10value_typeET2_T3_PNSL_ISQ_E10value_typeET4_jRbjT5_SW_jjP12ihipStream_tbEUlT_E1_NS1_11comp_targetILNS1_3genE3ELNS1_11target_archE908ELNS1_3gpuE7ELNS1_3repE0EEENS1_59segmented_radix_sort_warp_sort_small_config_static_selectorELNS0_4arch9wavefront6targetE0EEEvSK_ ; -- Begin function _ZN7rocprim17ROCPRIM_400000_NS6detail17trampoline_kernelINS0_14default_configENS1_36segmented_radix_sort_config_selectorIblEEZNS1_25segmented_radix_sort_implIS3_Lb0EPKbPbPKlPlN2at6native12_GLOBAL__N_18offset_tEEE10hipError_tPvRmT1_PNSt15iterator_traitsISK_E10value_typeET2_T3_PNSL_ISQ_E10value_typeET4_jRbjT5_SW_jjP12ihipStream_tbEUlT_E1_NS1_11comp_targetILNS1_3genE3ELNS1_11target_archE908ELNS1_3gpuE7ELNS1_3repE0EEENS1_59segmented_radix_sort_warp_sort_small_config_static_selectorELNS0_4arch9wavefront6targetE0EEEvSK_
	.p2align	8
	.type	_ZN7rocprim17ROCPRIM_400000_NS6detail17trampoline_kernelINS0_14default_configENS1_36segmented_radix_sort_config_selectorIblEEZNS1_25segmented_radix_sort_implIS3_Lb0EPKbPbPKlPlN2at6native12_GLOBAL__N_18offset_tEEE10hipError_tPvRmT1_PNSt15iterator_traitsISK_E10value_typeET2_T3_PNSL_ISQ_E10value_typeET4_jRbjT5_SW_jjP12ihipStream_tbEUlT_E1_NS1_11comp_targetILNS1_3genE3ELNS1_11target_archE908ELNS1_3gpuE7ELNS1_3repE0EEENS1_59segmented_radix_sort_warp_sort_small_config_static_selectorELNS0_4arch9wavefront6targetE0EEEvSK_,@function
_ZN7rocprim17ROCPRIM_400000_NS6detail17trampoline_kernelINS0_14default_configENS1_36segmented_radix_sort_config_selectorIblEEZNS1_25segmented_radix_sort_implIS3_Lb0EPKbPbPKlPlN2at6native12_GLOBAL__N_18offset_tEEE10hipError_tPvRmT1_PNSt15iterator_traitsISK_E10value_typeET2_T3_PNSL_ISQ_E10value_typeET4_jRbjT5_SW_jjP12ihipStream_tbEUlT_E1_NS1_11comp_targetILNS1_3genE3ELNS1_11target_archE908ELNS1_3gpuE7ELNS1_3repE0EEENS1_59segmented_radix_sort_warp_sort_small_config_static_selectorELNS0_4arch9wavefront6targetE0EEEvSK_: ; @_ZN7rocprim17ROCPRIM_400000_NS6detail17trampoline_kernelINS0_14default_configENS1_36segmented_radix_sort_config_selectorIblEEZNS1_25segmented_radix_sort_implIS3_Lb0EPKbPbPKlPlN2at6native12_GLOBAL__N_18offset_tEEE10hipError_tPvRmT1_PNSt15iterator_traitsISK_E10value_typeET2_T3_PNSL_ISQ_E10value_typeET4_jRbjT5_SW_jjP12ihipStream_tbEUlT_E1_NS1_11comp_targetILNS1_3genE3ELNS1_11target_archE908ELNS1_3gpuE7ELNS1_3repE0EEENS1_59segmented_radix_sort_warp_sort_small_config_static_selectorELNS0_4arch9wavefront6targetE0EEEvSK_
; %bb.0:
	.section	.rodata,"a",@progbits
	.p2align	6, 0x0
	.amdhsa_kernel _ZN7rocprim17ROCPRIM_400000_NS6detail17trampoline_kernelINS0_14default_configENS1_36segmented_radix_sort_config_selectorIblEEZNS1_25segmented_radix_sort_implIS3_Lb0EPKbPbPKlPlN2at6native12_GLOBAL__N_18offset_tEEE10hipError_tPvRmT1_PNSt15iterator_traitsISK_E10value_typeET2_T3_PNSL_ISQ_E10value_typeET4_jRbjT5_SW_jjP12ihipStream_tbEUlT_E1_NS1_11comp_targetILNS1_3genE3ELNS1_11target_archE908ELNS1_3gpuE7ELNS1_3repE0EEENS1_59segmented_radix_sort_warp_sort_small_config_static_selectorELNS0_4arch9wavefront6targetE0EEEvSK_
		.amdhsa_group_segment_fixed_size 0
		.amdhsa_private_segment_fixed_size 0
		.amdhsa_kernarg_size 88
		.amdhsa_user_sgpr_count 2
		.amdhsa_user_sgpr_dispatch_ptr 0
		.amdhsa_user_sgpr_queue_ptr 0
		.amdhsa_user_sgpr_kernarg_segment_ptr 1
		.amdhsa_user_sgpr_dispatch_id 0
		.amdhsa_user_sgpr_private_segment_size 0
		.amdhsa_wavefront_size32 1
		.amdhsa_uses_dynamic_stack 0
		.amdhsa_enable_private_segment 0
		.amdhsa_system_sgpr_workgroup_id_x 1
		.amdhsa_system_sgpr_workgroup_id_y 0
		.amdhsa_system_sgpr_workgroup_id_z 0
		.amdhsa_system_sgpr_workgroup_info 0
		.amdhsa_system_vgpr_workitem_id 0
		.amdhsa_next_free_vgpr 1
		.amdhsa_next_free_sgpr 1
		.amdhsa_reserve_vcc 0
		.amdhsa_float_round_mode_32 0
		.amdhsa_float_round_mode_16_64 0
		.amdhsa_float_denorm_mode_32 3
		.amdhsa_float_denorm_mode_16_64 3
		.amdhsa_fp16_overflow 0
		.amdhsa_workgroup_processor_mode 1
		.amdhsa_memory_ordered 1
		.amdhsa_forward_progress 1
		.amdhsa_inst_pref_size 0
		.amdhsa_round_robin_scheduling 0
		.amdhsa_exception_fp_ieee_invalid_op 0
		.amdhsa_exception_fp_denorm_src 0
		.amdhsa_exception_fp_ieee_div_zero 0
		.amdhsa_exception_fp_ieee_overflow 0
		.amdhsa_exception_fp_ieee_underflow 0
		.amdhsa_exception_fp_ieee_inexact 0
		.amdhsa_exception_int_div_zero 0
	.end_amdhsa_kernel
	.section	.text._ZN7rocprim17ROCPRIM_400000_NS6detail17trampoline_kernelINS0_14default_configENS1_36segmented_radix_sort_config_selectorIblEEZNS1_25segmented_radix_sort_implIS3_Lb0EPKbPbPKlPlN2at6native12_GLOBAL__N_18offset_tEEE10hipError_tPvRmT1_PNSt15iterator_traitsISK_E10value_typeET2_T3_PNSL_ISQ_E10value_typeET4_jRbjT5_SW_jjP12ihipStream_tbEUlT_E1_NS1_11comp_targetILNS1_3genE3ELNS1_11target_archE908ELNS1_3gpuE7ELNS1_3repE0EEENS1_59segmented_radix_sort_warp_sort_small_config_static_selectorELNS0_4arch9wavefront6targetE0EEEvSK_,"axG",@progbits,_ZN7rocprim17ROCPRIM_400000_NS6detail17trampoline_kernelINS0_14default_configENS1_36segmented_radix_sort_config_selectorIblEEZNS1_25segmented_radix_sort_implIS3_Lb0EPKbPbPKlPlN2at6native12_GLOBAL__N_18offset_tEEE10hipError_tPvRmT1_PNSt15iterator_traitsISK_E10value_typeET2_T3_PNSL_ISQ_E10value_typeET4_jRbjT5_SW_jjP12ihipStream_tbEUlT_E1_NS1_11comp_targetILNS1_3genE3ELNS1_11target_archE908ELNS1_3gpuE7ELNS1_3repE0EEENS1_59segmented_radix_sort_warp_sort_small_config_static_selectorELNS0_4arch9wavefront6targetE0EEEvSK_,comdat
.Lfunc_end1658:
	.size	_ZN7rocprim17ROCPRIM_400000_NS6detail17trampoline_kernelINS0_14default_configENS1_36segmented_radix_sort_config_selectorIblEEZNS1_25segmented_radix_sort_implIS3_Lb0EPKbPbPKlPlN2at6native12_GLOBAL__N_18offset_tEEE10hipError_tPvRmT1_PNSt15iterator_traitsISK_E10value_typeET2_T3_PNSL_ISQ_E10value_typeET4_jRbjT5_SW_jjP12ihipStream_tbEUlT_E1_NS1_11comp_targetILNS1_3genE3ELNS1_11target_archE908ELNS1_3gpuE7ELNS1_3repE0EEENS1_59segmented_radix_sort_warp_sort_small_config_static_selectorELNS0_4arch9wavefront6targetE0EEEvSK_, .Lfunc_end1658-_ZN7rocprim17ROCPRIM_400000_NS6detail17trampoline_kernelINS0_14default_configENS1_36segmented_radix_sort_config_selectorIblEEZNS1_25segmented_radix_sort_implIS3_Lb0EPKbPbPKlPlN2at6native12_GLOBAL__N_18offset_tEEE10hipError_tPvRmT1_PNSt15iterator_traitsISK_E10value_typeET2_T3_PNSL_ISQ_E10value_typeET4_jRbjT5_SW_jjP12ihipStream_tbEUlT_E1_NS1_11comp_targetILNS1_3genE3ELNS1_11target_archE908ELNS1_3gpuE7ELNS1_3repE0EEENS1_59segmented_radix_sort_warp_sort_small_config_static_selectorELNS0_4arch9wavefront6targetE0EEEvSK_
                                        ; -- End function
	.set _ZN7rocprim17ROCPRIM_400000_NS6detail17trampoline_kernelINS0_14default_configENS1_36segmented_radix_sort_config_selectorIblEEZNS1_25segmented_radix_sort_implIS3_Lb0EPKbPbPKlPlN2at6native12_GLOBAL__N_18offset_tEEE10hipError_tPvRmT1_PNSt15iterator_traitsISK_E10value_typeET2_T3_PNSL_ISQ_E10value_typeET4_jRbjT5_SW_jjP12ihipStream_tbEUlT_E1_NS1_11comp_targetILNS1_3genE3ELNS1_11target_archE908ELNS1_3gpuE7ELNS1_3repE0EEENS1_59segmented_radix_sort_warp_sort_small_config_static_selectorELNS0_4arch9wavefront6targetE0EEEvSK_.num_vgpr, 0
	.set _ZN7rocprim17ROCPRIM_400000_NS6detail17trampoline_kernelINS0_14default_configENS1_36segmented_radix_sort_config_selectorIblEEZNS1_25segmented_radix_sort_implIS3_Lb0EPKbPbPKlPlN2at6native12_GLOBAL__N_18offset_tEEE10hipError_tPvRmT1_PNSt15iterator_traitsISK_E10value_typeET2_T3_PNSL_ISQ_E10value_typeET4_jRbjT5_SW_jjP12ihipStream_tbEUlT_E1_NS1_11comp_targetILNS1_3genE3ELNS1_11target_archE908ELNS1_3gpuE7ELNS1_3repE0EEENS1_59segmented_radix_sort_warp_sort_small_config_static_selectorELNS0_4arch9wavefront6targetE0EEEvSK_.num_agpr, 0
	.set _ZN7rocprim17ROCPRIM_400000_NS6detail17trampoline_kernelINS0_14default_configENS1_36segmented_radix_sort_config_selectorIblEEZNS1_25segmented_radix_sort_implIS3_Lb0EPKbPbPKlPlN2at6native12_GLOBAL__N_18offset_tEEE10hipError_tPvRmT1_PNSt15iterator_traitsISK_E10value_typeET2_T3_PNSL_ISQ_E10value_typeET4_jRbjT5_SW_jjP12ihipStream_tbEUlT_E1_NS1_11comp_targetILNS1_3genE3ELNS1_11target_archE908ELNS1_3gpuE7ELNS1_3repE0EEENS1_59segmented_radix_sort_warp_sort_small_config_static_selectorELNS0_4arch9wavefront6targetE0EEEvSK_.numbered_sgpr, 0
	.set _ZN7rocprim17ROCPRIM_400000_NS6detail17trampoline_kernelINS0_14default_configENS1_36segmented_radix_sort_config_selectorIblEEZNS1_25segmented_radix_sort_implIS3_Lb0EPKbPbPKlPlN2at6native12_GLOBAL__N_18offset_tEEE10hipError_tPvRmT1_PNSt15iterator_traitsISK_E10value_typeET2_T3_PNSL_ISQ_E10value_typeET4_jRbjT5_SW_jjP12ihipStream_tbEUlT_E1_NS1_11comp_targetILNS1_3genE3ELNS1_11target_archE908ELNS1_3gpuE7ELNS1_3repE0EEENS1_59segmented_radix_sort_warp_sort_small_config_static_selectorELNS0_4arch9wavefront6targetE0EEEvSK_.num_named_barrier, 0
	.set _ZN7rocprim17ROCPRIM_400000_NS6detail17trampoline_kernelINS0_14default_configENS1_36segmented_radix_sort_config_selectorIblEEZNS1_25segmented_radix_sort_implIS3_Lb0EPKbPbPKlPlN2at6native12_GLOBAL__N_18offset_tEEE10hipError_tPvRmT1_PNSt15iterator_traitsISK_E10value_typeET2_T3_PNSL_ISQ_E10value_typeET4_jRbjT5_SW_jjP12ihipStream_tbEUlT_E1_NS1_11comp_targetILNS1_3genE3ELNS1_11target_archE908ELNS1_3gpuE7ELNS1_3repE0EEENS1_59segmented_radix_sort_warp_sort_small_config_static_selectorELNS0_4arch9wavefront6targetE0EEEvSK_.private_seg_size, 0
	.set _ZN7rocprim17ROCPRIM_400000_NS6detail17trampoline_kernelINS0_14default_configENS1_36segmented_radix_sort_config_selectorIblEEZNS1_25segmented_radix_sort_implIS3_Lb0EPKbPbPKlPlN2at6native12_GLOBAL__N_18offset_tEEE10hipError_tPvRmT1_PNSt15iterator_traitsISK_E10value_typeET2_T3_PNSL_ISQ_E10value_typeET4_jRbjT5_SW_jjP12ihipStream_tbEUlT_E1_NS1_11comp_targetILNS1_3genE3ELNS1_11target_archE908ELNS1_3gpuE7ELNS1_3repE0EEENS1_59segmented_radix_sort_warp_sort_small_config_static_selectorELNS0_4arch9wavefront6targetE0EEEvSK_.uses_vcc, 0
	.set _ZN7rocprim17ROCPRIM_400000_NS6detail17trampoline_kernelINS0_14default_configENS1_36segmented_radix_sort_config_selectorIblEEZNS1_25segmented_radix_sort_implIS3_Lb0EPKbPbPKlPlN2at6native12_GLOBAL__N_18offset_tEEE10hipError_tPvRmT1_PNSt15iterator_traitsISK_E10value_typeET2_T3_PNSL_ISQ_E10value_typeET4_jRbjT5_SW_jjP12ihipStream_tbEUlT_E1_NS1_11comp_targetILNS1_3genE3ELNS1_11target_archE908ELNS1_3gpuE7ELNS1_3repE0EEENS1_59segmented_radix_sort_warp_sort_small_config_static_selectorELNS0_4arch9wavefront6targetE0EEEvSK_.uses_flat_scratch, 0
	.set _ZN7rocprim17ROCPRIM_400000_NS6detail17trampoline_kernelINS0_14default_configENS1_36segmented_radix_sort_config_selectorIblEEZNS1_25segmented_radix_sort_implIS3_Lb0EPKbPbPKlPlN2at6native12_GLOBAL__N_18offset_tEEE10hipError_tPvRmT1_PNSt15iterator_traitsISK_E10value_typeET2_T3_PNSL_ISQ_E10value_typeET4_jRbjT5_SW_jjP12ihipStream_tbEUlT_E1_NS1_11comp_targetILNS1_3genE3ELNS1_11target_archE908ELNS1_3gpuE7ELNS1_3repE0EEENS1_59segmented_radix_sort_warp_sort_small_config_static_selectorELNS0_4arch9wavefront6targetE0EEEvSK_.has_dyn_sized_stack, 0
	.set _ZN7rocprim17ROCPRIM_400000_NS6detail17trampoline_kernelINS0_14default_configENS1_36segmented_radix_sort_config_selectorIblEEZNS1_25segmented_radix_sort_implIS3_Lb0EPKbPbPKlPlN2at6native12_GLOBAL__N_18offset_tEEE10hipError_tPvRmT1_PNSt15iterator_traitsISK_E10value_typeET2_T3_PNSL_ISQ_E10value_typeET4_jRbjT5_SW_jjP12ihipStream_tbEUlT_E1_NS1_11comp_targetILNS1_3genE3ELNS1_11target_archE908ELNS1_3gpuE7ELNS1_3repE0EEENS1_59segmented_radix_sort_warp_sort_small_config_static_selectorELNS0_4arch9wavefront6targetE0EEEvSK_.has_recursion, 0
	.set _ZN7rocprim17ROCPRIM_400000_NS6detail17trampoline_kernelINS0_14default_configENS1_36segmented_radix_sort_config_selectorIblEEZNS1_25segmented_radix_sort_implIS3_Lb0EPKbPbPKlPlN2at6native12_GLOBAL__N_18offset_tEEE10hipError_tPvRmT1_PNSt15iterator_traitsISK_E10value_typeET2_T3_PNSL_ISQ_E10value_typeET4_jRbjT5_SW_jjP12ihipStream_tbEUlT_E1_NS1_11comp_targetILNS1_3genE3ELNS1_11target_archE908ELNS1_3gpuE7ELNS1_3repE0EEENS1_59segmented_radix_sort_warp_sort_small_config_static_selectorELNS0_4arch9wavefront6targetE0EEEvSK_.has_indirect_call, 0
	.section	.AMDGPU.csdata,"",@progbits
; Kernel info:
; codeLenInByte = 0
; TotalNumSgprs: 0
; NumVgprs: 0
; ScratchSize: 0
; MemoryBound: 0
; FloatMode: 240
; IeeeMode: 1
; LDSByteSize: 0 bytes/workgroup (compile time only)
; SGPRBlocks: 0
; VGPRBlocks: 0
; NumSGPRsForWavesPerEU: 1
; NumVGPRsForWavesPerEU: 1
; Occupancy: 16
; WaveLimiterHint : 0
; COMPUTE_PGM_RSRC2:SCRATCH_EN: 0
; COMPUTE_PGM_RSRC2:USER_SGPR: 2
; COMPUTE_PGM_RSRC2:TRAP_HANDLER: 0
; COMPUTE_PGM_RSRC2:TGID_X_EN: 1
; COMPUTE_PGM_RSRC2:TGID_Y_EN: 0
; COMPUTE_PGM_RSRC2:TGID_Z_EN: 0
; COMPUTE_PGM_RSRC2:TIDIG_COMP_CNT: 0
	.section	.text._ZN7rocprim17ROCPRIM_400000_NS6detail17trampoline_kernelINS0_14default_configENS1_36segmented_radix_sort_config_selectorIblEEZNS1_25segmented_radix_sort_implIS3_Lb0EPKbPbPKlPlN2at6native12_GLOBAL__N_18offset_tEEE10hipError_tPvRmT1_PNSt15iterator_traitsISK_E10value_typeET2_T3_PNSL_ISQ_E10value_typeET4_jRbjT5_SW_jjP12ihipStream_tbEUlT_E1_NS1_11comp_targetILNS1_3genE2ELNS1_11target_archE906ELNS1_3gpuE6ELNS1_3repE0EEENS1_59segmented_radix_sort_warp_sort_small_config_static_selectorELNS0_4arch9wavefront6targetE0EEEvSK_,"axG",@progbits,_ZN7rocprim17ROCPRIM_400000_NS6detail17trampoline_kernelINS0_14default_configENS1_36segmented_radix_sort_config_selectorIblEEZNS1_25segmented_radix_sort_implIS3_Lb0EPKbPbPKlPlN2at6native12_GLOBAL__N_18offset_tEEE10hipError_tPvRmT1_PNSt15iterator_traitsISK_E10value_typeET2_T3_PNSL_ISQ_E10value_typeET4_jRbjT5_SW_jjP12ihipStream_tbEUlT_E1_NS1_11comp_targetILNS1_3genE2ELNS1_11target_archE906ELNS1_3gpuE6ELNS1_3repE0EEENS1_59segmented_radix_sort_warp_sort_small_config_static_selectorELNS0_4arch9wavefront6targetE0EEEvSK_,comdat
	.globl	_ZN7rocprim17ROCPRIM_400000_NS6detail17trampoline_kernelINS0_14default_configENS1_36segmented_radix_sort_config_selectorIblEEZNS1_25segmented_radix_sort_implIS3_Lb0EPKbPbPKlPlN2at6native12_GLOBAL__N_18offset_tEEE10hipError_tPvRmT1_PNSt15iterator_traitsISK_E10value_typeET2_T3_PNSL_ISQ_E10value_typeET4_jRbjT5_SW_jjP12ihipStream_tbEUlT_E1_NS1_11comp_targetILNS1_3genE2ELNS1_11target_archE906ELNS1_3gpuE6ELNS1_3repE0EEENS1_59segmented_radix_sort_warp_sort_small_config_static_selectorELNS0_4arch9wavefront6targetE0EEEvSK_ ; -- Begin function _ZN7rocprim17ROCPRIM_400000_NS6detail17trampoline_kernelINS0_14default_configENS1_36segmented_radix_sort_config_selectorIblEEZNS1_25segmented_radix_sort_implIS3_Lb0EPKbPbPKlPlN2at6native12_GLOBAL__N_18offset_tEEE10hipError_tPvRmT1_PNSt15iterator_traitsISK_E10value_typeET2_T3_PNSL_ISQ_E10value_typeET4_jRbjT5_SW_jjP12ihipStream_tbEUlT_E1_NS1_11comp_targetILNS1_3genE2ELNS1_11target_archE906ELNS1_3gpuE6ELNS1_3repE0EEENS1_59segmented_radix_sort_warp_sort_small_config_static_selectorELNS0_4arch9wavefront6targetE0EEEvSK_
	.p2align	8
	.type	_ZN7rocprim17ROCPRIM_400000_NS6detail17trampoline_kernelINS0_14default_configENS1_36segmented_radix_sort_config_selectorIblEEZNS1_25segmented_radix_sort_implIS3_Lb0EPKbPbPKlPlN2at6native12_GLOBAL__N_18offset_tEEE10hipError_tPvRmT1_PNSt15iterator_traitsISK_E10value_typeET2_T3_PNSL_ISQ_E10value_typeET4_jRbjT5_SW_jjP12ihipStream_tbEUlT_E1_NS1_11comp_targetILNS1_3genE2ELNS1_11target_archE906ELNS1_3gpuE6ELNS1_3repE0EEENS1_59segmented_radix_sort_warp_sort_small_config_static_selectorELNS0_4arch9wavefront6targetE0EEEvSK_,@function
_ZN7rocprim17ROCPRIM_400000_NS6detail17trampoline_kernelINS0_14default_configENS1_36segmented_radix_sort_config_selectorIblEEZNS1_25segmented_radix_sort_implIS3_Lb0EPKbPbPKlPlN2at6native12_GLOBAL__N_18offset_tEEE10hipError_tPvRmT1_PNSt15iterator_traitsISK_E10value_typeET2_T3_PNSL_ISQ_E10value_typeET4_jRbjT5_SW_jjP12ihipStream_tbEUlT_E1_NS1_11comp_targetILNS1_3genE2ELNS1_11target_archE906ELNS1_3gpuE6ELNS1_3repE0EEENS1_59segmented_radix_sort_warp_sort_small_config_static_selectorELNS0_4arch9wavefront6targetE0EEEvSK_: ; @_ZN7rocprim17ROCPRIM_400000_NS6detail17trampoline_kernelINS0_14default_configENS1_36segmented_radix_sort_config_selectorIblEEZNS1_25segmented_radix_sort_implIS3_Lb0EPKbPbPKlPlN2at6native12_GLOBAL__N_18offset_tEEE10hipError_tPvRmT1_PNSt15iterator_traitsISK_E10value_typeET2_T3_PNSL_ISQ_E10value_typeET4_jRbjT5_SW_jjP12ihipStream_tbEUlT_E1_NS1_11comp_targetILNS1_3genE2ELNS1_11target_archE906ELNS1_3gpuE6ELNS1_3repE0EEENS1_59segmented_radix_sort_warp_sort_small_config_static_selectorELNS0_4arch9wavefront6targetE0EEEvSK_
; %bb.0:
	.section	.rodata,"a",@progbits
	.p2align	6, 0x0
	.amdhsa_kernel _ZN7rocprim17ROCPRIM_400000_NS6detail17trampoline_kernelINS0_14default_configENS1_36segmented_radix_sort_config_selectorIblEEZNS1_25segmented_radix_sort_implIS3_Lb0EPKbPbPKlPlN2at6native12_GLOBAL__N_18offset_tEEE10hipError_tPvRmT1_PNSt15iterator_traitsISK_E10value_typeET2_T3_PNSL_ISQ_E10value_typeET4_jRbjT5_SW_jjP12ihipStream_tbEUlT_E1_NS1_11comp_targetILNS1_3genE2ELNS1_11target_archE906ELNS1_3gpuE6ELNS1_3repE0EEENS1_59segmented_radix_sort_warp_sort_small_config_static_selectorELNS0_4arch9wavefront6targetE0EEEvSK_
		.amdhsa_group_segment_fixed_size 0
		.amdhsa_private_segment_fixed_size 0
		.amdhsa_kernarg_size 88
		.amdhsa_user_sgpr_count 2
		.amdhsa_user_sgpr_dispatch_ptr 0
		.amdhsa_user_sgpr_queue_ptr 0
		.amdhsa_user_sgpr_kernarg_segment_ptr 1
		.amdhsa_user_sgpr_dispatch_id 0
		.amdhsa_user_sgpr_private_segment_size 0
		.amdhsa_wavefront_size32 1
		.amdhsa_uses_dynamic_stack 0
		.amdhsa_enable_private_segment 0
		.amdhsa_system_sgpr_workgroup_id_x 1
		.amdhsa_system_sgpr_workgroup_id_y 0
		.amdhsa_system_sgpr_workgroup_id_z 0
		.amdhsa_system_sgpr_workgroup_info 0
		.amdhsa_system_vgpr_workitem_id 0
		.amdhsa_next_free_vgpr 1
		.amdhsa_next_free_sgpr 1
		.amdhsa_reserve_vcc 0
		.amdhsa_float_round_mode_32 0
		.amdhsa_float_round_mode_16_64 0
		.amdhsa_float_denorm_mode_32 3
		.amdhsa_float_denorm_mode_16_64 3
		.amdhsa_fp16_overflow 0
		.amdhsa_workgroup_processor_mode 1
		.amdhsa_memory_ordered 1
		.amdhsa_forward_progress 1
		.amdhsa_inst_pref_size 0
		.amdhsa_round_robin_scheduling 0
		.amdhsa_exception_fp_ieee_invalid_op 0
		.amdhsa_exception_fp_denorm_src 0
		.amdhsa_exception_fp_ieee_div_zero 0
		.amdhsa_exception_fp_ieee_overflow 0
		.amdhsa_exception_fp_ieee_underflow 0
		.amdhsa_exception_fp_ieee_inexact 0
		.amdhsa_exception_int_div_zero 0
	.end_amdhsa_kernel
	.section	.text._ZN7rocprim17ROCPRIM_400000_NS6detail17trampoline_kernelINS0_14default_configENS1_36segmented_radix_sort_config_selectorIblEEZNS1_25segmented_radix_sort_implIS3_Lb0EPKbPbPKlPlN2at6native12_GLOBAL__N_18offset_tEEE10hipError_tPvRmT1_PNSt15iterator_traitsISK_E10value_typeET2_T3_PNSL_ISQ_E10value_typeET4_jRbjT5_SW_jjP12ihipStream_tbEUlT_E1_NS1_11comp_targetILNS1_3genE2ELNS1_11target_archE906ELNS1_3gpuE6ELNS1_3repE0EEENS1_59segmented_radix_sort_warp_sort_small_config_static_selectorELNS0_4arch9wavefront6targetE0EEEvSK_,"axG",@progbits,_ZN7rocprim17ROCPRIM_400000_NS6detail17trampoline_kernelINS0_14default_configENS1_36segmented_radix_sort_config_selectorIblEEZNS1_25segmented_radix_sort_implIS3_Lb0EPKbPbPKlPlN2at6native12_GLOBAL__N_18offset_tEEE10hipError_tPvRmT1_PNSt15iterator_traitsISK_E10value_typeET2_T3_PNSL_ISQ_E10value_typeET4_jRbjT5_SW_jjP12ihipStream_tbEUlT_E1_NS1_11comp_targetILNS1_3genE2ELNS1_11target_archE906ELNS1_3gpuE6ELNS1_3repE0EEENS1_59segmented_radix_sort_warp_sort_small_config_static_selectorELNS0_4arch9wavefront6targetE0EEEvSK_,comdat
.Lfunc_end1659:
	.size	_ZN7rocprim17ROCPRIM_400000_NS6detail17trampoline_kernelINS0_14default_configENS1_36segmented_radix_sort_config_selectorIblEEZNS1_25segmented_radix_sort_implIS3_Lb0EPKbPbPKlPlN2at6native12_GLOBAL__N_18offset_tEEE10hipError_tPvRmT1_PNSt15iterator_traitsISK_E10value_typeET2_T3_PNSL_ISQ_E10value_typeET4_jRbjT5_SW_jjP12ihipStream_tbEUlT_E1_NS1_11comp_targetILNS1_3genE2ELNS1_11target_archE906ELNS1_3gpuE6ELNS1_3repE0EEENS1_59segmented_radix_sort_warp_sort_small_config_static_selectorELNS0_4arch9wavefront6targetE0EEEvSK_, .Lfunc_end1659-_ZN7rocprim17ROCPRIM_400000_NS6detail17trampoline_kernelINS0_14default_configENS1_36segmented_radix_sort_config_selectorIblEEZNS1_25segmented_radix_sort_implIS3_Lb0EPKbPbPKlPlN2at6native12_GLOBAL__N_18offset_tEEE10hipError_tPvRmT1_PNSt15iterator_traitsISK_E10value_typeET2_T3_PNSL_ISQ_E10value_typeET4_jRbjT5_SW_jjP12ihipStream_tbEUlT_E1_NS1_11comp_targetILNS1_3genE2ELNS1_11target_archE906ELNS1_3gpuE6ELNS1_3repE0EEENS1_59segmented_radix_sort_warp_sort_small_config_static_selectorELNS0_4arch9wavefront6targetE0EEEvSK_
                                        ; -- End function
	.set _ZN7rocprim17ROCPRIM_400000_NS6detail17trampoline_kernelINS0_14default_configENS1_36segmented_radix_sort_config_selectorIblEEZNS1_25segmented_radix_sort_implIS3_Lb0EPKbPbPKlPlN2at6native12_GLOBAL__N_18offset_tEEE10hipError_tPvRmT1_PNSt15iterator_traitsISK_E10value_typeET2_T3_PNSL_ISQ_E10value_typeET4_jRbjT5_SW_jjP12ihipStream_tbEUlT_E1_NS1_11comp_targetILNS1_3genE2ELNS1_11target_archE906ELNS1_3gpuE6ELNS1_3repE0EEENS1_59segmented_radix_sort_warp_sort_small_config_static_selectorELNS0_4arch9wavefront6targetE0EEEvSK_.num_vgpr, 0
	.set _ZN7rocprim17ROCPRIM_400000_NS6detail17trampoline_kernelINS0_14default_configENS1_36segmented_radix_sort_config_selectorIblEEZNS1_25segmented_radix_sort_implIS3_Lb0EPKbPbPKlPlN2at6native12_GLOBAL__N_18offset_tEEE10hipError_tPvRmT1_PNSt15iterator_traitsISK_E10value_typeET2_T3_PNSL_ISQ_E10value_typeET4_jRbjT5_SW_jjP12ihipStream_tbEUlT_E1_NS1_11comp_targetILNS1_3genE2ELNS1_11target_archE906ELNS1_3gpuE6ELNS1_3repE0EEENS1_59segmented_radix_sort_warp_sort_small_config_static_selectorELNS0_4arch9wavefront6targetE0EEEvSK_.num_agpr, 0
	.set _ZN7rocprim17ROCPRIM_400000_NS6detail17trampoline_kernelINS0_14default_configENS1_36segmented_radix_sort_config_selectorIblEEZNS1_25segmented_radix_sort_implIS3_Lb0EPKbPbPKlPlN2at6native12_GLOBAL__N_18offset_tEEE10hipError_tPvRmT1_PNSt15iterator_traitsISK_E10value_typeET2_T3_PNSL_ISQ_E10value_typeET4_jRbjT5_SW_jjP12ihipStream_tbEUlT_E1_NS1_11comp_targetILNS1_3genE2ELNS1_11target_archE906ELNS1_3gpuE6ELNS1_3repE0EEENS1_59segmented_radix_sort_warp_sort_small_config_static_selectorELNS0_4arch9wavefront6targetE0EEEvSK_.numbered_sgpr, 0
	.set _ZN7rocprim17ROCPRIM_400000_NS6detail17trampoline_kernelINS0_14default_configENS1_36segmented_radix_sort_config_selectorIblEEZNS1_25segmented_radix_sort_implIS3_Lb0EPKbPbPKlPlN2at6native12_GLOBAL__N_18offset_tEEE10hipError_tPvRmT1_PNSt15iterator_traitsISK_E10value_typeET2_T3_PNSL_ISQ_E10value_typeET4_jRbjT5_SW_jjP12ihipStream_tbEUlT_E1_NS1_11comp_targetILNS1_3genE2ELNS1_11target_archE906ELNS1_3gpuE6ELNS1_3repE0EEENS1_59segmented_radix_sort_warp_sort_small_config_static_selectorELNS0_4arch9wavefront6targetE0EEEvSK_.num_named_barrier, 0
	.set _ZN7rocprim17ROCPRIM_400000_NS6detail17trampoline_kernelINS0_14default_configENS1_36segmented_radix_sort_config_selectorIblEEZNS1_25segmented_radix_sort_implIS3_Lb0EPKbPbPKlPlN2at6native12_GLOBAL__N_18offset_tEEE10hipError_tPvRmT1_PNSt15iterator_traitsISK_E10value_typeET2_T3_PNSL_ISQ_E10value_typeET4_jRbjT5_SW_jjP12ihipStream_tbEUlT_E1_NS1_11comp_targetILNS1_3genE2ELNS1_11target_archE906ELNS1_3gpuE6ELNS1_3repE0EEENS1_59segmented_radix_sort_warp_sort_small_config_static_selectorELNS0_4arch9wavefront6targetE0EEEvSK_.private_seg_size, 0
	.set _ZN7rocprim17ROCPRIM_400000_NS6detail17trampoline_kernelINS0_14default_configENS1_36segmented_radix_sort_config_selectorIblEEZNS1_25segmented_radix_sort_implIS3_Lb0EPKbPbPKlPlN2at6native12_GLOBAL__N_18offset_tEEE10hipError_tPvRmT1_PNSt15iterator_traitsISK_E10value_typeET2_T3_PNSL_ISQ_E10value_typeET4_jRbjT5_SW_jjP12ihipStream_tbEUlT_E1_NS1_11comp_targetILNS1_3genE2ELNS1_11target_archE906ELNS1_3gpuE6ELNS1_3repE0EEENS1_59segmented_radix_sort_warp_sort_small_config_static_selectorELNS0_4arch9wavefront6targetE0EEEvSK_.uses_vcc, 0
	.set _ZN7rocprim17ROCPRIM_400000_NS6detail17trampoline_kernelINS0_14default_configENS1_36segmented_radix_sort_config_selectorIblEEZNS1_25segmented_radix_sort_implIS3_Lb0EPKbPbPKlPlN2at6native12_GLOBAL__N_18offset_tEEE10hipError_tPvRmT1_PNSt15iterator_traitsISK_E10value_typeET2_T3_PNSL_ISQ_E10value_typeET4_jRbjT5_SW_jjP12ihipStream_tbEUlT_E1_NS1_11comp_targetILNS1_3genE2ELNS1_11target_archE906ELNS1_3gpuE6ELNS1_3repE0EEENS1_59segmented_radix_sort_warp_sort_small_config_static_selectorELNS0_4arch9wavefront6targetE0EEEvSK_.uses_flat_scratch, 0
	.set _ZN7rocprim17ROCPRIM_400000_NS6detail17trampoline_kernelINS0_14default_configENS1_36segmented_radix_sort_config_selectorIblEEZNS1_25segmented_radix_sort_implIS3_Lb0EPKbPbPKlPlN2at6native12_GLOBAL__N_18offset_tEEE10hipError_tPvRmT1_PNSt15iterator_traitsISK_E10value_typeET2_T3_PNSL_ISQ_E10value_typeET4_jRbjT5_SW_jjP12ihipStream_tbEUlT_E1_NS1_11comp_targetILNS1_3genE2ELNS1_11target_archE906ELNS1_3gpuE6ELNS1_3repE0EEENS1_59segmented_radix_sort_warp_sort_small_config_static_selectorELNS0_4arch9wavefront6targetE0EEEvSK_.has_dyn_sized_stack, 0
	.set _ZN7rocprim17ROCPRIM_400000_NS6detail17trampoline_kernelINS0_14default_configENS1_36segmented_radix_sort_config_selectorIblEEZNS1_25segmented_radix_sort_implIS3_Lb0EPKbPbPKlPlN2at6native12_GLOBAL__N_18offset_tEEE10hipError_tPvRmT1_PNSt15iterator_traitsISK_E10value_typeET2_T3_PNSL_ISQ_E10value_typeET4_jRbjT5_SW_jjP12ihipStream_tbEUlT_E1_NS1_11comp_targetILNS1_3genE2ELNS1_11target_archE906ELNS1_3gpuE6ELNS1_3repE0EEENS1_59segmented_radix_sort_warp_sort_small_config_static_selectorELNS0_4arch9wavefront6targetE0EEEvSK_.has_recursion, 0
	.set _ZN7rocprim17ROCPRIM_400000_NS6detail17trampoline_kernelINS0_14default_configENS1_36segmented_radix_sort_config_selectorIblEEZNS1_25segmented_radix_sort_implIS3_Lb0EPKbPbPKlPlN2at6native12_GLOBAL__N_18offset_tEEE10hipError_tPvRmT1_PNSt15iterator_traitsISK_E10value_typeET2_T3_PNSL_ISQ_E10value_typeET4_jRbjT5_SW_jjP12ihipStream_tbEUlT_E1_NS1_11comp_targetILNS1_3genE2ELNS1_11target_archE906ELNS1_3gpuE6ELNS1_3repE0EEENS1_59segmented_radix_sort_warp_sort_small_config_static_selectorELNS0_4arch9wavefront6targetE0EEEvSK_.has_indirect_call, 0
	.section	.AMDGPU.csdata,"",@progbits
; Kernel info:
; codeLenInByte = 0
; TotalNumSgprs: 0
; NumVgprs: 0
; ScratchSize: 0
; MemoryBound: 0
; FloatMode: 240
; IeeeMode: 1
; LDSByteSize: 0 bytes/workgroup (compile time only)
; SGPRBlocks: 0
; VGPRBlocks: 0
; NumSGPRsForWavesPerEU: 1
; NumVGPRsForWavesPerEU: 1
; Occupancy: 16
; WaveLimiterHint : 0
; COMPUTE_PGM_RSRC2:SCRATCH_EN: 0
; COMPUTE_PGM_RSRC2:USER_SGPR: 2
; COMPUTE_PGM_RSRC2:TRAP_HANDLER: 0
; COMPUTE_PGM_RSRC2:TGID_X_EN: 1
; COMPUTE_PGM_RSRC2:TGID_Y_EN: 0
; COMPUTE_PGM_RSRC2:TGID_Z_EN: 0
; COMPUTE_PGM_RSRC2:TIDIG_COMP_CNT: 0
	.text
	.p2align	2                               ; -- Begin function _ZN7rocprim17ROCPRIM_400000_NS6detail26segmented_warp_sort_helperINS1_20WarpSortHelperConfigILj8ELj4ELj256EEEblLi256ELb0EvE4sortIPKbPbPKlPlEEvT_T0_T1_T2_jjjjRNS5_12storage_typeE
	.type	_ZN7rocprim17ROCPRIM_400000_NS6detail26segmented_warp_sort_helperINS1_20WarpSortHelperConfigILj8ELj4ELj256EEEblLi256ELb0EvE4sortIPKbPbPKlPlEEvT_T0_T1_T2_jjjjRNS5_12storage_typeE,@function
_ZN7rocprim17ROCPRIM_400000_NS6detail26segmented_warp_sort_helperINS1_20WarpSortHelperConfigILj8ELj4ELj256EEEblLi256ELb0EvE4sortIPKbPbPKlPlEEvT_T0_T1_T2_jjjjRNS5_12storage_typeE: ; @_ZN7rocprim17ROCPRIM_400000_NS6detail26segmented_warp_sort_helperINS1_20WarpSortHelperConfigILj8ELj4ELj256EEEblLi256ELb0EvE4sortIPKbPbPKlPlEEvT_T0_T1_T2_jjjjRNS5_12storage_typeE
; %bb.0:
	s_wait_loadcnt_dscnt 0x0
	s_wait_expcnt 0x0
	s_wait_samplecnt 0x0
	s_wait_bvhcnt 0x0
	s_wait_kmcnt 0x0
	v_mbcnt_lo_u32_b32 v14, -1, 0
	v_add_co_u32 v0, vcc_lo, v0, v8
	s_wait_alu 0xfffd
	v_add_co_ci_u32_e64 v1, null, 0, v1, vcc_lo
	s_delay_alu instid0(VALU_DEP_3) | instskip(SKIP_3) | instid1(VALU_DEP_4)
	v_lshlrev_b32_e32 v33, 2, v14
	v_sub_nc_u32_e32 v14, v9, v8
	v_mov_b32_e32 v35, 1
	v_mov_b32_e32 v37, 1
	v_dual_mov_b32 v9, 0 :: v_dual_and_b32 v30, 28, v33
	s_delay_alu instid0(VALU_DEP_1)
	v_add_co_u32 v0, vcc_lo, v0, v30
	s_wait_alu 0xfffd
	v_add_co_ci_u32_e64 v1, null, 0, v1, vcc_lo
	v_cmp_lt_u32_e32 vcc_lo, v30, v14
	s_and_saveexec_b32 s0, vcc_lo
	s_cbranch_execz .LBB1660_2
; %bb.1:
	flat_load_u8 v37, v[0:1]
.LBB1660_2:
	s_wait_alu 0xfffe
	s_or_b32 exec_lo, exec_lo, s0
	v_or_b32_e32 v15, 1, v30
	s_delay_alu instid0(VALU_DEP_1)
	v_cmp_lt_u32_e64 s0, v15, v14
	s_and_saveexec_b32 s1, s0
	s_cbranch_execz .LBB1660_4
; %bb.3:
	flat_load_u8 v35, v[0:1] offset:1
.LBB1660_4:
	s_wait_alu 0xfffe
	s_or_b32 exec_lo, exec_lo, s1
	v_or_b32_e32 v15, 2, v30
	v_mov_b32_e32 v34, 1
	v_mov_b32_e32 v36, 1
	s_delay_alu instid0(VALU_DEP_3)
	v_cmp_lt_u32_e64 s1, v15, v14
	s_and_saveexec_b32 s2, s1
	s_cbranch_execz .LBB1660_6
; %bb.5:
	flat_load_u8 v36, v[0:1] offset:2
.LBB1660_6:
	s_wait_alu 0xfffe
	s_or_b32 exec_lo, exec_lo, s2
	v_or_b32_e32 v15, 3, v30
	s_delay_alu instid0(VALU_DEP_1)
	v_cmp_lt_u32_e64 s2, v15, v14
	s_and_saveexec_b32 s3, s2
	s_cbranch_execz .LBB1660_8
; %bb.7:
	flat_load_u8 v34, v[0:1] offset:3
.LBB1660_8:
	s_wait_alu 0xfffe
	s_or_b32 exec_lo, exec_lo, s3
	v_lshlrev_b64_e32 v[0:1], 3, v[8:9]
	v_lshlrev_b32_e32 v32, 3, v30
	v_mov_b32_e32 v22, 0
	v_mov_b32_e32 v23, 0
	; wave barrier
	s_delay_alu instid0(VALU_DEP_4) | instskip(SKIP_3) | instid1(VALU_DEP_3)
	v_add_co_u32 v9, s3, v4, v0
	s_wait_alu 0xf1ff
	v_add_co_ci_u32_e64 v14, null, v5, v1, s3
	v_mov_b32_e32 v4, 0
	v_add_co_u32 v16, s3, v9, v32
	v_mov_b32_e32 v5, 0
	s_wait_alu 0xf1ff
	v_add_co_ci_u32_e64 v17, null, 0, v14, s3
	s_and_saveexec_b32 s3, vcc_lo
	s_cbranch_execz .LBB1660_10
; %bb.9:
	flat_load_b64 v[4:5], v[16:17]
.LBB1660_10:
	s_wait_alu 0xfffe
	s_or_b32 exec_lo, exec_lo, s3
	s_mov_b32 s3, 0
	s_wait_alu 0xfffe
	v_dual_mov_b32 v28, s3 :: v_dual_mov_b32 v29, s3
	v_dual_mov_b32 v24, s3 :: v_dual_mov_b32 v25, s3
	;; [unrolled: 1-line block ×3, first 2 shown]
	s_and_saveexec_b32 s4, s0
	s_cbranch_execz .LBB1660_12
; %bb.11:
	flat_load_b64 v[28:29], v[16:17] offset:8
	v_dual_mov_b32 v24, s3 :: v_dual_mov_b32 v25, s3
	v_dual_mov_b32 v26, s3 :: v_dual_mov_b32 v27, s3
	s_wait_loadcnt_dscnt 0x0
	v_dual_mov_b32 v22, v28 :: v_dual_mov_b32 v23, v29
.LBB1660_12:
	s_wait_alu 0xfffe
	s_or_b32 exec_lo, exec_lo, s4
	v_mov_b32_e32 v20, 0
	v_dual_mov_b32 v21, 0 :: v_dual_mov_b32 v14, 0
	v_mov_b32_e32 v15, 0
	s_and_saveexec_b32 s3, s1
	s_cbranch_execz .LBB1660_14
; %bb.13:
	flat_load_b64 v[24:25], v[16:17] offset:16
	s_mov_b32 s4, 0
	s_wait_alu 0xfffe
	v_dual_mov_b32 v26, s4 :: v_dual_mov_b32 v27, s4
	s_wait_loadcnt_dscnt 0x0
	v_dual_mov_b32 v14, v24 :: v_dual_mov_b32 v15, v25
.LBB1660_14:
	s_wait_alu 0xfffe
	s_or_b32 exec_lo, exec_lo, s3
	s_and_saveexec_b32 s3, s2
	s_cbranch_execz .LBB1660_16
; %bb.15:
	flat_load_b64 v[26:27], v[16:17] offset:24
	s_wait_loadcnt_dscnt 0x0
	v_dual_mov_b32 v20, v26 :: v_dual_mov_b32 v21, v27
.LBB1660_16:
	s_wait_alu 0xfffe
	s_or_b32 exec_lo, exec_lo, s3
	v_cmp_ne_u32_e64 s3, 0, v10
	v_cmp_ne_u32_e64 s4, 8, v11
	v_bfe_u32 v16, v31, 10, 10
	v_bfe_u32 v17, v31, 20, 10
	v_and_b32_e32 v9, 0x3ff, v31
	s_mov_b32 s5, 0
	s_or_b32 s3, s3, s4
	; wave barrier
	s_wait_alu 0xfffe
	s_and_saveexec_b32 s4, s3
	s_wait_alu 0xfffe
	s_xor_b32 s11, exec_lo, s4
	s_cbranch_execz .LBB1660_58
; %bb.17:
	v_cmp_ne_u32_e64 s3, 0, v11
	v_cmp_ne_u32_e64 s4, 0, v10
	s_load_b64 s[6:7], s[8:9], 0x0
	s_xor_b32 s3, s4, s3
	s_wait_alu 0xfffe
	v_cndmask_b32_e64 v10, 0, 1, s3
	s_and_b32 s3, ttmp7, 0xffff
	scratch_store_b8 off, v10, s32 offset:6
	scratch_load_u8 v10, off, s32 offset:6
	s_wait_kmcnt 0x0
	s_wait_alu 0xfffe
	s_cmp_lt_u32 s3, s7
	s_cselect_b32 s4, 14, 20
	s_cmp_lt_u32 ttmp9, s6
	s_wait_alu 0xfffe
	s_add_nc_u64 s[12:13], s[8:9], s[4:5]
	s_cselect_b32 s4, 12, 18
	s_load_u16 s3, s[12:13], 0x0
	s_add_nc_u64 s[4:5], s[8:9], s[4:5]
	s_mov_b32 s6, exec_lo
	s_load_u16 s4, s[4:5], 0x0
	s_wait_kmcnt 0x0
	v_mad_u32_u24 v11, v17, s3, v16
	s_delay_alu instid0(VALU_DEP_1) | instskip(NEXT) | instid1(VALU_DEP_1)
	v_mul_lo_u32 v11, v11, s4
	v_add_lshl_u32 v9, v11, v9, 2
	s_wait_loadcnt 0x0
	v_and_b32_e32 v10, 1, v10
	s_delay_alu instid0(VALU_DEP_1)
	v_cmp_eq_u32_e64 s3, 1, v10
	v_and_b32_e32 v11, 1, v10
	s_clause 0x1
	scratch_store_b8 off, v10, s32 offset:5
	scratch_store_b8 off, v11, s32 offset:4
	v_cmpx_gt_u32_e32 0x400, v9
	s_cbranch_execz .LBB1660_27
; %bb.18:
	scratch_load_u8 v10, off, s32 offset:4
	v_dual_mov_b32 v18, v24 :: v_dual_mov_b32 v19, v25
	v_dual_mov_b32 v20, v26 :: v_dual_mov_b32 v21, v27
	s_wait_loadcnt_dscnt 0x0
	v_and_b32_e32 v22, v10, v36
	v_and_b32_e32 v11, v10, v35
	;; [unrolled: 1-line block ×4, first 2 shown]
	s_delay_alu instid0(VALU_DEP_4) | instskip(NEXT) | instid1(VALU_DEP_4)
	v_and_b32_e32 v16, 1, v22
	v_and_b32_e32 v11, 1, v11
	s_delay_alu instid0(VALU_DEP_4) | instskip(NEXT) | instid1(VALU_DEP_4)
	v_and_b32_e32 v14, 1, v14
	v_and_b32_e32 v15, 1, v15
	s_delay_alu instid0(VALU_DEP_2) | instskip(NEXT) | instid1(VALU_DEP_2)
	v_cmp_gt_u16_e64 s4, v14, v11
	v_cmp_gt_u16_e64 s5, v16, v15
	s_wait_alu 0xf1ff
	s_delay_alu instid0(VALU_DEP_2)
	v_cndmask_b32_e64 v17, v29, v5, s4
	v_cndmask_b32_e64 v16, v28, v4, s4
	;; [unrolled: 1-line block ×4, first 2 shown]
	s_and_saveexec_b32 s7, s5
; %bb.19:
	v_mov_b32_e32 v18, v26
	v_mov_b32_e32 v20, v24
	v_dual_mov_b32 v22, 0 :: v_dual_mov_b32 v19, v27
	v_dual_mov_b32 v36, v34 :: v_dual_mov_b32 v21, v25
	v_mov_b32_e32 v34, 1
; %bb.20:
	s_wait_alu 0xfffe
	s_or_b32 exec_lo, exec_lo, s7
	v_cndmask_b32_e64 v11, v35, 1, s4
	v_and_b32_e32 v22, 0xff, v22
	s_delay_alu instid0(VALU_DEP_2) | instskip(NEXT) | instid1(VALU_DEP_1)
	v_and_b32_e32 v4, v11, v10
	v_and_b32_e32 v5, 0xff, v4
	s_delay_alu instid0(VALU_DEP_1)
	v_cmp_gt_u16_e64 s5, v5, v22
	s_and_saveexec_b32 s7, s5
	s_wait_alu 0xfffe
	s_xor_b32 s5, exec_lo, s7
	s_cbranch_execz .LBB1660_22
; %bb.21:
	v_dual_mov_b32 v29, v21 :: v_dual_mov_b32 v28, v20
	v_dual_mov_b32 v27, v19 :: v_dual_mov_b32 v26, v18
	;; [unrolled: 1-line block ×7, first 2 shown]
	s_delay_alu instid0(VALU_DEP_3) | instskip(SKIP_1) | instid1(VALU_DEP_4)
	v_dual_mov_b32 v14, v22 :: v_dual_mov_b32 v17, v25
	v_dual_mov_b32 v4, 0 :: v_dual_mov_b32 v15, v23
	;; [unrolled: 1-line block ×3, first 2 shown]
	s_delay_alu instid0(VALU_DEP_4)
	v_dual_mov_b32 v18, v26 :: v_dual_mov_b32 v21, v29
	v_dual_mov_b32 v20, v28 :: v_dual_mov_b32 v11, v36
	v_mov_b32_e32 v36, 1
.LBB1660_22:
	s_wait_alu 0xfffe
	s_or_b32 exec_lo, exec_lo, s5
	v_cndmask_b32_e64 v24, v37, v35, s4
	v_and_b32_e32 v4, 0xff, v4
	v_and_b32_e32 v22, v34, v10
	;; [unrolled: 1-line block ×3, first 2 shown]
	s_mov_b32 s7, exec_lo
	v_and_b32_e32 v5, v24, v10
	s_delay_alu instid0(VALU_DEP_3) | instskip(NEXT) | instid1(VALU_DEP_3)
	v_and_b32_e32 v26, 0xff, v22
	v_and_b32_e32 v27, 0xff, v25
	s_delay_alu instid0(VALU_DEP_3) | instskip(NEXT) | instid1(VALU_DEP_1)
	v_and_b32_e32 v5, 0xff, v5
	v_cmp_gt_u16_e64 s4, v5, v4
	s_wait_alu 0xf1ff
	s_delay_alu instid0(VALU_DEP_1)
	v_cndmask_b32_e64 v23, v17, v15, s4
	v_cndmask_b32_e64 v22, v16, v14, s4
	;; [unrolled: 1-line block ×4, first 2 shown]
	v_cmpx_gt_u16_e64 v27, v26
; %bb.23:
	v_dual_mov_b32 v14, v18 :: v_dual_mov_b32 v15, v19
	v_dual_mov_b32 v18, v20 :: v_dual_mov_b32 v25, 0
	v_mov_b32_e32 v36, v34
	v_dual_mov_b32 v34, 1 :: v_dual_mov_b32 v19, v21
	s_delay_alu instid0(VALU_DEP_4)
	v_dual_mov_b32 v21, v15 :: v_dual_mov_b32 v20, v14
; %bb.24:
	s_wait_alu 0xfffe
	s_or_b32 exec_lo, exec_lo, s7
	v_cndmask_b32_e64 v35, v11, 1, s4
	v_and_b32_e32 v14, 0xff, v25
	s_delay_alu instid0(VALU_DEP_2) | instskip(NEXT) | instid1(VALU_DEP_1)
	v_and_b32_e32 v10, v35, v10
	v_and_b32_e32 v10, 0xff, v10
	s_delay_alu instid0(VALU_DEP_1)
	v_cmp_gt_u16_e64 s5, v10, v14
	v_dual_mov_b32 v14, v18 :: v_dual_mov_b32 v15, v19
	s_and_saveexec_b32 s7, s5
; %bb.25:
	v_mov_b32_e32 v10, 1
	v_dual_mov_b32 v14, v22 :: v_dual_mov_b32 v15, v23
	v_dual_mov_b32 v23, v19 :: v_dual_mov_b32 v22, v18
	s_delay_alu instid0(VALU_DEP_3)
	v_dual_mov_b32 v35, v36 :: v_dual_mov_b32 v36, v10
; %bb.26:
	s_wait_alu 0xfffe
	s_or_b32 exec_lo, exec_lo, s7
	v_cndmask_b32_e64 v37, v24, v11, s4
.LBB1660_27:
	s_or_b32 exec_lo, exec_lo, s6
	v_and_b32_e32 v16, 0xffffff80, v9
	v_and_b32_e32 v28, 0x78, v33
	s_mov_b32 s5, exec_lo
	s_delay_alu instid0(VALU_DEP_2) | instskip(SKIP_3) | instid1(VALU_DEP_2)
	v_add_co_u32 v11, s4, v12, v16
	s_wait_alu 0xf1ff
	v_add_co_ci_u32_e64 v12, null, 0, v13, s4
	v_or_b32_e32 v13, 4, v33
	v_mad_co_u64_u32 v[9:10], null, v16, 7, v[11:12]
	v_cndmask_b32_e64 v10, 0, 1, s3
	v_add_nc_u32_e32 v12, v11, v33
	scratch_store_b8 off, v10, s32 offset:3
	v_lshl_add_u32 v25, v33, 3, v9
	s_wait_dscnt 0x0
	ds_store_b8 v12, v37
	ds_store_b8 v12, v35 offset:1
	ds_store_b8 v12, v36 offset:2
	;; [unrolled: 1-line block ×3, first 2 shown]
	ds_store_2addr_b64 v25, v[4:5], v[22:23] offset0:128 offset1:129
	ds_store_2addr_b64 v25, v[14:15], v[20:21] offset0:130 offset1:131
	; wave barrier
	scratch_load_u8 v17, off, s32 offset:3
	v_sub_nc_u32_e64 v10, 0x400, v16 clamp
	v_and_b32_e32 v16, 4, v33
	s_delay_alu instid0(VALU_DEP_2) | instskip(NEXT) | instid1(VALU_DEP_2)
	v_min_u32_e32 v26, v10, v13
	v_min_u32_e32 v29, v10, v16
	s_delay_alu instid0(VALU_DEP_2) | instskip(NEXT) | instid1(VALU_DEP_1)
	v_add_nc_u32_e32 v13, 4, v26
	v_min_u32_e32 v27, v10, v13
	v_sub_nc_u32_e32 v13, v26, v28
	s_delay_alu instid0(VALU_DEP_2) | instskip(NEXT) | instid1(VALU_DEP_2)
	v_sub_nc_u32_e32 v16, v27, v26
	v_min_u32_e32 v13, v29, v13
	s_delay_alu instid0(VALU_DEP_2) | instskip(SKIP_2) | instid1(VALU_DEP_1)
	v_sub_nc_u32_e64 v31, v29, v16 clamp
	s_wait_loadcnt 0x0
	v_and_b32_e32 v17, 1, v17
	v_cmp_eq_u32_e64 s3, 1, v17
	scratch_store_b8 off, v17, s32 offset:2
	v_cmpx_lt_u32_e64 v31, v13
	s_cbranch_execz .LBB1660_31
; %bb.28:
	scratch_load_u8 v16, off, s32 offset:2
	v_add_co_u32 v17, null, v11, v28
	v_add_co_u32 v18, null, v11, v26
	s_mov_b32 s6, 0
.LBB1660_29:                            ; =>This Inner Loop Header: Depth=1
	v_add_nc_u32_e32 v19, v13, v31
	s_delay_alu instid0(VALU_DEP_1) | instskip(NEXT) | instid1(VALU_DEP_1)
	v_lshrrev_b32_e32 v19, 1, v19
	v_not_b32_e32 v24, v19
	v_add_nc_u32_e32 v38, v17, v19
	v_add_nc_u32_e32 v39, 1, v19
	s_delay_alu instid0(VALU_DEP_3)
	v_add3_u32 v24, v29, v24, v18
	ds_load_u8 v38, v38
	ds_load_u8 v24, v24
	s_wait_loadcnt_dscnt 0x1
	v_and_b32_e32 v38, v38, v16
	s_wait_dscnt 0x0
	v_and_b32_e32 v24, v24, v16
	s_delay_alu instid0(VALU_DEP_2) | instskip(NEXT) | instid1(VALU_DEP_2)
	v_and_b32_e32 v38, 1, v38
	v_and_b32_e32 v24, 1, v24
	s_delay_alu instid0(VALU_DEP_1) | instskip(SKIP_1) | instid1(VALU_DEP_1)
	v_cmp_gt_u16_e64 s4, v38, v24
	s_wait_alu 0xf1ff
	v_cndmask_b32_e64 v13, v13, v19, s4
	v_cndmask_b32_e64 v31, v39, v31, s4
	s_delay_alu instid0(VALU_DEP_1)
	v_cmp_ge_u32_e64 s4, v31, v13
	s_wait_alu 0xfffe
	s_or_b32 s6, s4, s6
	s_wait_alu 0xfffe
	s_and_not1_b32 exec_lo, exec_lo, s6
	s_cbranch_execnz .LBB1660_29
; %bb.30:
	s_or_b32 exec_lo, exec_lo, s6
.LBB1660_31:
	s_wait_alu 0xfffe
	s_or_b32 exec_lo, exec_lo, s5
	v_cndmask_b32_e64 v38, 0, 1, s3
	v_add_nc_u32_e32 v29, v26, v29
	v_add_nc_u32_e32 v13, 0x400, v25
	;; [unrolled: 1-line block ×4, first 2 shown]
	scratch_store_b8 off, v38, s32 offset:1
	scratch_load_u8 v39, off, s32 offset:1
	v_add_nc_u32_e32 v38, v31, v28
	v_sub_nc_u32_e32 v31, v29, v31
	v_add_nc_u32_e32 v18, 2, v12
	v_add_nc_u32_e32 v19, 0x410, v25
	;; [unrolled: 1-line block ×3, first 2 shown]
	v_cmp_le_u32_e64 s3, v38, v26
	v_cmp_le_u32_e64 s4, v31, v27
	v_add_nc_u32_e32 v25, 0x418, v25
	s_or_b32 s3, s3, s4
	s_wait_loadcnt 0x0
	v_and_b32_e32 v28, 1, v39
	scratch_store_b8 off, v28, s32
	s_wait_alu 0xfffe
	s_and_saveexec_b32 s12, s3
	s_cbranch_execz .LBB1660_37
; %bb.32:
	v_cmp_ge_u32_e64 s3, v38, v26
	s_mov_b32 s5, exec_lo
                                        ; implicit-def: $vgpr28
	v_cmpx_lt_u32_e64 v38, v26
; %bb.33:
	v_add_nc_u32_e32 v4, v11, v38
	ds_load_u8 v28, v4
; %bb.34:
	s_wait_alu 0xfffe
	s_or_b32 exec_lo, exec_lo, s5
	v_cmp_ge_u32_e64 s4, v31, v27
	s_mov_b32 s6, exec_lo
                                        ; implicit-def: $vgpr29
	v_cmpx_lt_u32_e64 v31, v27
; %bb.35:
	v_add_nc_u32_e32 v4, v11, v31
	ds_load_u8 v29, v4
; %bb.36:
	s_wait_alu 0xfffe
	s_or_b32 exec_lo, exec_lo, s6
	scratch_load_u8 v4, off, s32
	v_cndmask_b32_e64 v15, 0, 1, s4
	s_or_b32 s3, s3, s4
	s_wait_loadcnt_dscnt 0x0
	v_and_b32_e32 v5, v4, v29
	v_and_b32_e32 v14, v4, v28
	s_delay_alu instid0(VALU_DEP_2) | instskip(NEXT) | instid1(VALU_DEP_2)
	v_and_b32_e32 v5, 1, v5
	v_and_b32_e32 v14, 1, v14
	s_delay_alu instid0(VALU_DEP_1) | instskip(SKIP_1) | instid1(VALU_DEP_1)
	v_cmp_le_u16_e64 s5, v14, v5
	s_wait_alu 0xf1ff
	v_cndmask_b32_e64 v5, 0, 1, s5
	s_wait_alu 0xfffe
	s_delay_alu instid0(VALU_DEP_1) | instskip(NEXT) | instid1(VALU_DEP_1)
	v_cndmask_b32_e64 v5, v5, v15, s3
	v_and_b32_e32 v5, 1, v5
	s_delay_alu instid0(VALU_DEP_1) | instskip(SKIP_1) | instid1(VALU_DEP_1)
	v_cmp_eq_u32_e64 s3, 1, v5
	s_wait_alu 0xf1ff
	v_cndmask_b32_e64 v5, v31, v38, s3
	v_cndmask_b32_e64 v14, v27, v26, s3
	;; [unrolled: 1-line block ×3, first 2 shown]
	s_delay_alu instid0(VALU_DEP_3) | instskip(NEXT) | instid1(VALU_DEP_3)
	v_add_nc_u32_e32 v15, 1, v5
	v_add_nc_u32_e32 v14, -1, v14
	v_lshl_add_u32 v5, v5, 3, v9
	s_delay_alu instid0(VALU_DEP_3) | instskip(NEXT) | instid1(VALU_DEP_3)
	v_cndmask_b32_e64 v21, v38, v15, s3
	v_min_u32_e32 v14, v15, v14
	v_cndmask_b32_e64 v15, v15, v31, s3
	s_delay_alu instid0(VALU_DEP_3) | instskip(NEXT) | instid1(VALU_DEP_3)
	v_cmp_lt_u32_e64 s4, v21, v26
	v_add_nc_u32_e32 v14, v11, v14
	s_delay_alu instid0(VALU_DEP_3) | instskip(SKIP_4) | instid1(VALU_DEP_2)
	v_cmp_ge_u32_e64 s6, v15, v27
	ds_load_u8 v14, v14
	s_wait_dscnt 0x0
	v_cndmask_b32_e64 v34, v14, v29, s3
	v_cndmask_b32_e64 v35, v28, v14, s3
	v_and_b32_e32 v14, v34, v4
	s_delay_alu instid0(VALU_DEP_2) | instskip(NEXT) | instid1(VALU_DEP_2)
	v_and_b32_e32 v20, v35, v4
	v_and_b32_e32 v14, 0xff, v14
	s_delay_alu instid0(VALU_DEP_2) | instskip(NEXT) | instid1(VALU_DEP_1)
	v_and_b32_e32 v20, 0xff, v20
	v_cmp_le_u16_e64 s5, v20, v14
	s_and_b32 s4, s4, s5
	s_wait_alu 0xfffe
	s_or_b32 s4, s6, s4
	s_wait_alu 0xfffe
	v_cndmask_b32_e64 v14, v15, v21, s4
	v_cndmask_b32_e64 v20, v27, v26, s4
	s_delay_alu instid0(VALU_DEP_2) | instskip(NEXT) | instid1(VALU_DEP_2)
	v_add_nc_u32_e32 v22, 1, v14
	v_add_nc_u32_e32 v20, -1, v20
	v_lshl_add_u32 v14, v14, 3, v9
	s_delay_alu instid0(VALU_DEP_3) | instskip(NEXT) | instid1(VALU_DEP_3)
	v_cndmask_b32_e64 v21, v21, v22, s4
	v_min_u32_e32 v20, v22, v20
	v_cndmask_b32_e64 v15, v22, v15, s4
	s_delay_alu instid0(VALU_DEP_3) | instskip(NEXT) | instid1(VALU_DEP_3)
	v_cmp_lt_u32_e64 s5, v21, v26
	v_add_nc_u32_e32 v20, v11, v20
	s_delay_alu instid0(VALU_DEP_3)
	v_cmp_ge_u32_e64 s7, v15, v27
	ds_load_u8 v20, v20
	s_wait_dscnt 0x0
	v_cndmask_b32_e64 v31, v20, v34, s4
	v_cndmask_b32_e64 v36, v35, v20, s4
	;; [unrolled: 1-line block ×3, first 2 shown]
	s_delay_alu instid0(VALU_DEP_3) | instskip(NEXT) | instid1(VALU_DEP_3)
	v_and_b32_e32 v20, v31, v4
	v_and_b32_e32 v23, v36, v4
	s_delay_alu instid0(VALU_DEP_2) | instskip(NEXT) | instid1(VALU_DEP_2)
	v_and_b32_e32 v20, 0xff, v20
	v_and_b32_e32 v23, 0xff, v23
	s_delay_alu instid0(VALU_DEP_1)
	v_cmp_le_u16_e64 s6, v23, v20
	s_and_b32 s5, s5, s6
	s_wait_alu 0xfffe
	s_or_b32 s5, s7, s5
	s_wait_alu 0xfffe
	v_cndmask_b32_e64 v20, v15, v21, s5
	v_cndmask_b32_e64 v22, v27, v26, s5
	s_delay_alu instid0(VALU_DEP_2) | instskip(NEXT) | instid1(VALU_DEP_2)
	v_add_nc_u32_e32 v23, 1, v20
	v_add_nc_u32_e32 v22, -1, v22
	s_delay_alu instid0(VALU_DEP_2) | instskip(NEXT) | instid1(VALU_DEP_2)
	v_cndmask_b32_e64 v21, v21, v23, s5
	v_min_u32_e32 v22, v23, v22
	v_cndmask_b32_e64 v15, v23, v15, s5
	s_delay_alu instid0(VALU_DEP_3) | instskip(NEXT) | instid1(VALU_DEP_3)
	v_cmp_lt_u32_e64 s6, v21, v26
	v_add_nc_u32_e32 v22, v11, v22
	s_delay_alu instid0(VALU_DEP_3)
	v_cmp_ge_u32_e64 s10, v15, v27
	ds_load_u8 v22, v22
	s_wait_dscnt 0x0
	v_cndmask_b32_e64 v38, v22, v31, s5
	v_cndmask_b32_e64 v39, v36, v22, s5
	;; [unrolled: 1-line block ×3, first 2 shown]
	s_delay_alu instid0(VALU_DEP_3) | instskip(NEXT) | instid1(VALU_DEP_3)
	v_and_b32_e32 v22, v38, v4
	v_and_b32_e32 v4, v39, v4
	s_delay_alu instid0(VALU_DEP_2) | instskip(NEXT) | instid1(VALU_DEP_2)
	v_and_b32_e32 v22, 0xff, v22
	v_and_b32_e32 v4, 0xff, v4
	s_delay_alu instid0(VALU_DEP_1)
	v_cmp_le_u16_e64 s7, v4, v22
	s_and_b32 s6, s6, s7
	s_wait_alu 0xfffe
	s_or_b32 s6, s10, s6
	s_wait_alu 0xfffe
	v_cndmask_b32_e64 v4, v15, v21, s6
	v_lshl_add_u32 v15, v20, 3, v9
	v_cndmask_b32_e64 v34, v38, v39, s6
	s_delay_alu instid0(VALU_DEP_3)
	v_lshl_add_u32 v20, v4, 3, v9
	ds_load_b64 v[4:5], v5 offset:1024
	ds_load_b64 v[22:23], v14 offset:1024
	;; [unrolled: 1-line block ×4, first 2 shown]
.LBB1660_37:
	s_wait_alu 0xfffe
	s_or_b32 exec_lo, exec_lo, s12
	; wave barrier
	ds_store_b8 v12, v37
	s_wait_dscnt 0x4
	ds_store_b64 v13, v[4:5]
	ds_store_b8 v16, v35
	s_wait_dscnt 0x5
	ds_store_b64 v17, v[22:23]
	;; [unrolled: 3-line block ×4, first 2 shown]
	; wave barrier
	scratch_load_u8 v31, off, s32 offset:3
	v_and_b32_e32 v28, 0x70, v33
	v_and_b32_e32 v29, 12, v33
	s_mov_b32 s5, exec_lo
	s_delay_alu instid0(VALU_DEP_2) | instskip(NEXT) | instid1(VALU_DEP_2)
	v_or_b32_e32 v26, 8, v28
	v_min_u32_e32 v29, v10, v29
	s_delay_alu instid0(VALU_DEP_2) | instskip(NEXT) | instid1(VALU_DEP_1)
	v_min_u32_e32 v26, v10, v26
	v_add_nc_u32_e32 v27, 8, v26
	v_sub_nc_u32_e32 v38, v26, v28
	s_delay_alu instid0(VALU_DEP_2) | instskip(NEXT) | instid1(VALU_DEP_2)
	v_min_u32_e32 v27, v10, v27
	v_min_u32_e32 v38, v29, v38
	s_delay_alu instid0(VALU_DEP_2) | instskip(SKIP_2) | instid1(VALU_DEP_2)
	v_sub_nc_u32_e32 v39, v27, v26
	s_wait_loadcnt 0x0
	v_and_b32_e32 v48, 1, v31
	v_sub_nc_u32_e64 v31, v29, v39 clamp
	s_delay_alu instid0(VALU_DEP_2)
	v_cmp_eq_u32_e64 s3, 1, v48
	scratch_store_b8 off, v48, s32 offset:2
	v_cmpx_lt_u32_e64 v31, v38
	s_cbranch_execz .LBB1660_41
; %bb.38:
	scratch_load_u8 v39, off, s32 offset:2
	v_add_co_u32 v48, null, v11, v28
	v_add_co_u32 v49, null, v11, v26
	s_mov_b32 s6, 0
.LBB1660_39:                            ; =>This Inner Loop Header: Depth=1
	v_add_nc_u32_e32 v50, v38, v31
	s_delay_alu instid0(VALU_DEP_1) | instskip(NEXT) | instid1(VALU_DEP_1)
	v_lshrrev_b32_e32 v50, 1, v50
	v_not_b32_e32 v51, v50
	v_add_nc_u32_e32 v52, v48, v50
	v_add_nc_u32_e32 v53, 1, v50
	s_delay_alu instid0(VALU_DEP_3)
	v_add3_u32 v51, v29, v51, v49
	ds_load_u8 v52, v52
	ds_load_u8 v51, v51
	s_wait_loadcnt_dscnt 0x1
	v_and_b32_e32 v52, v52, v39
	s_wait_dscnt 0x0
	v_and_b32_e32 v51, v51, v39
	s_delay_alu instid0(VALU_DEP_2) | instskip(NEXT) | instid1(VALU_DEP_2)
	v_and_b32_e32 v52, 1, v52
	v_and_b32_e32 v51, 1, v51
	s_delay_alu instid0(VALU_DEP_1) | instskip(SKIP_1) | instid1(VALU_DEP_1)
	v_cmp_gt_u16_e64 s4, v52, v51
	s_wait_alu 0xf1ff
	v_cndmask_b32_e64 v38, v38, v50, s4
	v_cndmask_b32_e64 v31, v53, v31, s4
	s_delay_alu instid0(VALU_DEP_1)
	v_cmp_ge_u32_e64 s4, v31, v38
	s_wait_alu 0xfffe
	s_or_b32 s6, s4, s6
	s_wait_alu 0xfffe
	s_and_not1_b32 exec_lo, exec_lo, s6
	s_cbranch_execnz .LBB1660_39
; %bb.40:
	s_or_b32 exec_lo, exec_lo, s6
.LBB1660_41:
	s_wait_alu 0xfffe
	s_or_b32 exec_lo, exec_lo, s5
	v_cndmask_b32_e64 v38, 0, 1, s3
	v_add_nc_u32_e32 v29, v26, v29
	scratch_store_b8 off, v38, s32 offset:1
	scratch_load_u8 v39, off, s32 offset:1
	v_add_nc_u32_e32 v38, v31, v28
	v_sub_nc_u32_e32 v31, v29, v31
	s_delay_alu instid0(VALU_DEP_2) | instskip(NEXT) | instid1(VALU_DEP_2)
	v_cmp_le_u32_e64 s3, v38, v26
	v_cmp_le_u32_e64 s4, v31, v27
	s_or_b32 s3, s3, s4
	s_wait_loadcnt 0x0
	v_and_b32_e32 v28, 1, v39
	scratch_store_b8 off, v28, s32
	s_wait_alu 0xfffe
	s_and_saveexec_b32 s12, s3
	s_cbranch_execz .LBB1660_47
; %bb.42:
	v_cmp_ge_u32_e64 s3, v38, v26
	s_mov_b32 s5, exec_lo
                                        ; implicit-def: $vgpr28
	v_cmpx_lt_u32_e64 v38, v26
; %bb.43:
	v_add_nc_u32_e32 v4, v11, v38
	ds_load_u8 v28, v4
; %bb.44:
	s_wait_alu 0xfffe
	s_or_b32 exec_lo, exec_lo, s5
	v_cmp_ge_u32_e64 s4, v31, v27
	s_mov_b32 s6, exec_lo
                                        ; implicit-def: $vgpr29
	v_cmpx_lt_u32_e64 v31, v27
; %bb.45:
	v_add_nc_u32_e32 v4, v11, v31
	ds_load_u8 v29, v4
; %bb.46:
	s_wait_alu 0xfffe
	s_or_b32 exec_lo, exec_lo, s6
	scratch_load_u8 v4, off, s32
	v_cndmask_b32_e64 v15, 0, 1, s4
	s_or_b32 s3, s3, s4
	s_wait_loadcnt_dscnt 0x0
	v_and_b32_e32 v5, v4, v29
	v_and_b32_e32 v14, v4, v28
	s_delay_alu instid0(VALU_DEP_2) | instskip(NEXT) | instid1(VALU_DEP_2)
	v_and_b32_e32 v5, 1, v5
	v_and_b32_e32 v14, 1, v14
	s_delay_alu instid0(VALU_DEP_1) | instskip(SKIP_1) | instid1(VALU_DEP_1)
	v_cmp_le_u16_e64 s5, v14, v5
	s_wait_alu 0xf1ff
	v_cndmask_b32_e64 v5, 0, 1, s5
	s_wait_alu 0xfffe
	s_delay_alu instid0(VALU_DEP_1) | instskip(NEXT) | instid1(VALU_DEP_1)
	v_cndmask_b32_e64 v5, v5, v15, s3
	v_and_b32_e32 v5, 1, v5
	s_delay_alu instid0(VALU_DEP_1) | instskip(SKIP_1) | instid1(VALU_DEP_1)
	v_cmp_eq_u32_e64 s3, 1, v5
	s_wait_alu 0xf1ff
	v_cndmask_b32_e64 v5, v31, v38, s3
	v_cndmask_b32_e64 v14, v27, v26, s3
	;; [unrolled: 1-line block ×3, first 2 shown]
	s_delay_alu instid0(VALU_DEP_3) | instskip(NEXT) | instid1(VALU_DEP_3)
	v_add_nc_u32_e32 v15, 1, v5
	v_add_nc_u32_e32 v14, -1, v14
	v_lshl_add_u32 v5, v5, 3, v9
	s_delay_alu instid0(VALU_DEP_3) | instskip(NEXT) | instid1(VALU_DEP_3)
	v_cndmask_b32_e64 v21, v38, v15, s3
	v_min_u32_e32 v14, v15, v14
	v_cndmask_b32_e64 v15, v15, v31, s3
	s_delay_alu instid0(VALU_DEP_3) | instskip(NEXT) | instid1(VALU_DEP_3)
	v_cmp_lt_u32_e64 s4, v21, v26
	v_add_nc_u32_e32 v14, v11, v14
	s_delay_alu instid0(VALU_DEP_3) | instskip(SKIP_4) | instid1(VALU_DEP_2)
	v_cmp_ge_u32_e64 s6, v15, v27
	ds_load_u8 v14, v14
	s_wait_dscnt 0x0
	v_cndmask_b32_e64 v34, v14, v29, s3
	v_cndmask_b32_e64 v35, v28, v14, s3
	v_and_b32_e32 v14, v34, v4
	s_delay_alu instid0(VALU_DEP_2) | instskip(NEXT) | instid1(VALU_DEP_2)
	v_and_b32_e32 v20, v35, v4
	v_and_b32_e32 v14, 0xff, v14
	s_delay_alu instid0(VALU_DEP_2) | instskip(NEXT) | instid1(VALU_DEP_1)
	v_and_b32_e32 v20, 0xff, v20
	v_cmp_le_u16_e64 s5, v20, v14
	s_and_b32 s4, s4, s5
	s_wait_alu 0xfffe
	s_or_b32 s4, s6, s4
	s_wait_alu 0xfffe
	v_cndmask_b32_e64 v14, v15, v21, s4
	v_cndmask_b32_e64 v20, v27, v26, s4
	s_delay_alu instid0(VALU_DEP_2) | instskip(NEXT) | instid1(VALU_DEP_2)
	v_add_nc_u32_e32 v22, 1, v14
	v_add_nc_u32_e32 v20, -1, v20
	v_lshl_add_u32 v14, v14, 3, v9
	s_delay_alu instid0(VALU_DEP_3) | instskip(NEXT) | instid1(VALU_DEP_3)
	v_cndmask_b32_e64 v21, v21, v22, s4
	v_min_u32_e32 v20, v22, v20
	v_cndmask_b32_e64 v15, v22, v15, s4
	s_delay_alu instid0(VALU_DEP_3) | instskip(NEXT) | instid1(VALU_DEP_3)
	v_cmp_lt_u32_e64 s5, v21, v26
	v_add_nc_u32_e32 v20, v11, v20
	s_delay_alu instid0(VALU_DEP_3)
	v_cmp_ge_u32_e64 s7, v15, v27
	ds_load_u8 v20, v20
	s_wait_dscnt 0x0
	v_cndmask_b32_e64 v31, v20, v34, s4
	v_cndmask_b32_e64 v36, v35, v20, s4
	;; [unrolled: 1-line block ×3, first 2 shown]
	s_delay_alu instid0(VALU_DEP_3) | instskip(NEXT) | instid1(VALU_DEP_3)
	v_and_b32_e32 v20, v31, v4
	v_and_b32_e32 v23, v36, v4
	s_delay_alu instid0(VALU_DEP_2) | instskip(NEXT) | instid1(VALU_DEP_2)
	v_and_b32_e32 v20, 0xff, v20
	v_and_b32_e32 v23, 0xff, v23
	s_delay_alu instid0(VALU_DEP_1)
	v_cmp_le_u16_e64 s6, v23, v20
	s_and_b32 s5, s5, s6
	s_wait_alu 0xfffe
	s_or_b32 s5, s7, s5
	s_wait_alu 0xfffe
	v_cndmask_b32_e64 v20, v15, v21, s5
	v_cndmask_b32_e64 v22, v27, v26, s5
	s_delay_alu instid0(VALU_DEP_2) | instskip(NEXT) | instid1(VALU_DEP_2)
	v_add_nc_u32_e32 v23, 1, v20
	v_add_nc_u32_e32 v22, -1, v22
	s_delay_alu instid0(VALU_DEP_2) | instskip(NEXT) | instid1(VALU_DEP_2)
	v_cndmask_b32_e64 v21, v21, v23, s5
	v_min_u32_e32 v22, v23, v22
	v_cndmask_b32_e64 v15, v23, v15, s5
	s_delay_alu instid0(VALU_DEP_3) | instskip(NEXT) | instid1(VALU_DEP_3)
	v_cmp_lt_u32_e64 s6, v21, v26
	v_add_nc_u32_e32 v22, v11, v22
	s_delay_alu instid0(VALU_DEP_3)
	v_cmp_ge_u32_e64 s10, v15, v27
	ds_load_u8 v22, v22
	s_wait_dscnt 0x0
	v_cndmask_b32_e64 v38, v22, v31, s5
	v_cndmask_b32_e64 v39, v36, v22, s5
	;; [unrolled: 1-line block ×3, first 2 shown]
	s_delay_alu instid0(VALU_DEP_3) | instskip(NEXT) | instid1(VALU_DEP_3)
	v_and_b32_e32 v22, v38, v4
	v_and_b32_e32 v4, v39, v4
	s_delay_alu instid0(VALU_DEP_2) | instskip(NEXT) | instid1(VALU_DEP_2)
	v_and_b32_e32 v22, 0xff, v22
	v_and_b32_e32 v4, 0xff, v4
	s_delay_alu instid0(VALU_DEP_1)
	v_cmp_le_u16_e64 s7, v4, v22
	s_and_b32 s6, s6, s7
	s_wait_alu 0xfffe
	s_or_b32 s6, s10, s6
	s_wait_alu 0xfffe
	v_cndmask_b32_e64 v4, v15, v21, s6
	v_lshl_add_u32 v15, v20, 3, v9
	v_cndmask_b32_e64 v34, v38, v39, s6
	s_delay_alu instid0(VALU_DEP_3)
	v_lshl_add_u32 v20, v4, 3, v9
	ds_load_b64 v[4:5], v5 offset:1024
	ds_load_b64 v[22:23], v14 offset:1024
	;; [unrolled: 1-line block ×4, first 2 shown]
.LBB1660_47:
	s_wait_alu 0xfffe
	s_or_b32 exec_lo, exec_lo, s12
	; wave barrier
	ds_store_b8 v12, v37
	s_wait_dscnt 0x4
	ds_store_b64 v13, v[4:5]
	ds_store_b8 v16, v35
	s_wait_dscnt 0x5
	ds_store_b64 v17, v[22:23]
	ds_store_b8 v18, v36
	s_wait_dscnt 0x6
	ds_store_b64 v19, v[14:15]
	ds_store_b8 v24, v34
	s_wait_dscnt 0x7
	ds_store_b64 v25, v[20:21]
	; wave barrier
	scratch_load_u8 v17, off, s32 offset:3
	v_and_b32_e32 v16, 0x60, v33
	s_mov_b32 s5, exec_lo
	s_delay_alu instid0(VALU_DEP_1) | instskip(NEXT) | instid1(VALU_DEP_1)
	v_or_b32_e32 v12, 16, v16
	v_min_u32_e32 v12, v10, v12
	s_delay_alu instid0(VALU_DEP_1) | instskip(SKIP_1) | instid1(VALU_DEP_2)
	v_add_nc_u32_e32 v13, 16, v12
	v_sub_nc_u32_e32 v18, v12, v16
	v_min_u32_e32 v13, v10, v13
	v_min_u32_e32 v10, v10, v30
	s_delay_alu instid0(VALU_DEP_2) | instskip(NEXT) | instid1(VALU_DEP_2)
	v_sub_nc_u32_e32 v19, v13, v12
	v_min_u32_e32 v18, v10, v18
	s_wait_loadcnt 0x0
	v_and_b32_e32 v24, 1, v17
	s_delay_alu instid0(VALU_DEP_3) | instskip(NEXT) | instid1(VALU_DEP_2)
	v_sub_nc_u32_e64 v17, v10, v19 clamp
	v_cmp_eq_u32_e64 s3, 1, v24
	scratch_store_b8 off, v24, s32 offset:2
	v_cmpx_lt_u32_e64 v17, v18
	s_cbranch_execz .LBB1660_51
; %bb.48:
	scratch_load_u8 v19, off, s32 offset:2
	v_add_co_u32 v24, null, v11, v16
	v_add_co_u32 v25, null, v11, v12
	s_mov_b32 s6, 0
.LBB1660_49:                            ; =>This Inner Loop Header: Depth=1
	v_add_nc_u32_e32 v26, v18, v17
	s_delay_alu instid0(VALU_DEP_1) | instskip(NEXT) | instid1(VALU_DEP_1)
	v_lshrrev_b32_e32 v26, 1, v26
	v_not_b32_e32 v27, v26
	v_add_nc_u32_e32 v28, v24, v26
	v_add_nc_u32_e32 v29, 1, v26
	s_delay_alu instid0(VALU_DEP_3)
	v_add3_u32 v27, v10, v27, v25
	ds_load_u8 v28, v28
	ds_load_u8 v27, v27
	s_wait_loadcnt_dscnt 0x1
	v_and_b32_e32 v28, v28, v19
	s_wait_dscnt 0x0
	v_and_b32_e32 v27, v27, v19
	s_delay_alu instid0(VALU_DEP_2) | instskip(NEXT) | instid1(VALU_DEP_2)
	v_and_b32_e32 v28, 1, v28
	v_and_b32_e32 v27, 1, v27
	s_delay_alu instid0(VALU_DEP_1) | instskip(SKIP_1) | instid1(VALU_DEP_1)
	v_cmp_gt_u16_e64 s4, v28, v27
	s_wait_alu 0xf1ff
	v_cndmask_b32_e64 v18, v18, v26, s4
	v_cndmask_b32_e64 v17, v29, v17, s4
	s_delay_alu instid0(VALU_DEP_1)
	v_cmp_ge_u32_e64 s4, v17, v18
	s_wait_alu 0xfffe
	s_or_b32 s6, s4, s6
	s_wait_alu 0xfffe
	s_and_not1_b32 exec_lo, exec_lo, s6
	s_cbranch_execnz .LBB1660_49
; %bb.50:
	s_or_b32 exec_lo, exec_lo, s6
.LBB1660_51:
	s_wait_alu 0xfffe
	s_or_b32 exec_lo, exec_lo, s5
	v_cndmask_b32_e64 v18, 0, 1, s3
	v_add_nc_u32_e32 v10, v12, v10
	scratch_store_b8 off, v18, s32 offset:1
	scratch_load_u8 v19, off, s32 offset:1
	v_add_nc_u32_e32 v18, v17, v16
	v_sub_nc_u32_e32 v17, v10, v17
	s_delay_alu instid0(VALU_DEP_2) | instskip(NEXT) | instid1(VALU_DEP_2)
	v_cmp_le_u32_e64 s3, v18, v12
	v_cmp_le_u32_e64 s4, v17, v13
	s_or_b32 s3, s3, s4
	s_wait_loadcnt 0x0
	v_and_b32_e32 v10, 1, v19
	scratch_store_b8 off, v10, s32
	s_wait_alu 0xfffe
	s_and_saveexec_b32 s12, s3
	s_cbranch_execz .LBB1660_57
; %bb.52:
	v_cmp_ge_u32_e64 s3, v18, v12
	s_mov_b32 s5, exec_lo
                                        ; implicit-def: $vgpr10
	v_cmpx_lt_u32_e64 v18, v12
; %bb.53:
	v_add_nc_u32_e32 v4, v11, v18
	ds_load_u8 v10, v4
; %bb.54:
	s_wait_alu 0xfffe
	s_or_b32 exec_lo, exec_lo, s5
	v_cmp_ge_u32_e64 s4, v17, v13
	s_mov_b32 s6, exec_lo
                                        ; implicit-def: $vgpr16
	v_cmpx_lt_u32_e64 v17, v13
; %bb.55:
	v_add_nc_u32_e32 v4, v11, v17
	ds_load_u8 v16, v4
; %bb.56:
	s_wait_alu 0xfffe
	s_or_b32 exec_lo, exec_lo, s6
	scratch_load_u8 v4, off, s32
	v_cndmask_b32_e64 v15, 0, 1, s4
	s_or_b32 s3, s3, s4
	s_wait_loadcnt_dscnt 0x0
	v_and_b32_e32 v5, v4, v16
	v_and_b32_e32 v14, v4, v10
	s_delay_alu instid0(VALU_DEP_2) | instskip(NEXT) | instid1(VALU_DEP_2)
	v_and_b32_e32 v5, 1, v5
	v_and_b32_e32 v14, 1, v14
	s_delay_alu instid0(VALU_DEP_1) | instskip(SKIP_1) | instid1(VALU_DEP_1)
	v_cmp_le_u16_e64 s5, v14, v5
	s_wait_alu 0xf1ff
	v_cndmask_b32_e64 v5, 0, 1, s5
	s_wait_alu 0xfffe
	s_delay_alu instid0(VALU_DEP_1) | instskip(NEXT) | instid1(VALU_DEP_1)
	v_cndmask_b32_e64 v5, v5, v15, s3
	v_and_b32_e32 v5, 1, v5
	s_delay_alu instid0(VALU_DEP_1) | instskip(SKIP_1) | instid1(VALU_DEP_1)
	v_cmp_eq_u32_e64 s3, 1, v5
	s_wait_alu 0xf1ff
	v_cndmask_b32_e64 v5, v17, v18, s3
	v_cndmask_b32_e64 v14, v13, v12, s3
	;; [unrolled: 1-line block ×3, first 2 shown]
	s_delay_alu instid0(VALU_DEP_3) | instskip(NEXT) | instid1(VALU_DEP_3)
	v_add_nc_u32_e32 v15, 1, v5
	v_add_nc_u32_e32 v14, -1, v14
	v_lshl_add_u32 v5, v5, 3, v9
	s_delay_alu instid0(VALU_DEP_3) | instskip(NEXT) | instid1(VALU_DEP_3)
	v_cndmask_b32_e64 v18, v18, v15, s3
	v_min_u32_e32 v14, v15, v14
	v_cndmask_b32_e64 v15, v15, v17, s3
	s_delay_alu instid0(VALU_DEP_3) | instskip(NEXT) | instid1(VALU_DEP_3)
	v_cmp_lt_u32_e64 s4, v18, v12
	v_add_nc_u32_e32 v14, v11, v14
	s_delay_alu instid0(VALU_DEP_3) | instskip(SKIP_4) | instid1(VALU_DEP_2)
	v_cmp_ge_u32_e64 s6, v15, v13
	ds_load_u8 v14, v14
	s_wait_dscnt 0x0
	v_cndmask_b32_e64 v19, v14, v16, s3
	v_cndmask_b32_e64 v24, v10, v14, s3
	v_and_b32_e32 v14, v19, v4
	s_delay_alu instid0(VALU_DEP_2) | instskip(NEXT) | instid1(VALU_DEP_2)
	v_and_b32_e32 v20, v24, v4
	v_and_b32_e32 v14, 0xff, v14
	s_delay_alu instid0(VALU_DEP_2) | instskip(NEXT) | instid1(VALU_DEP_1)
	v_and_b32_e32 v20, 0xff, v20
	v_cmp_le_u16_e64 s5, v20, v14
	s_and_b32 s4, s4, s5
	s_wait_alu 0xfffe
	s_or_b32 s4, s6, s4
	s_wait_alu 0xfffe
	v_cndmask_b32_e64 v14, v15, v18, s4
	v_cndmask_b32_e64 v17, v13, v12, s4
	;; [unrolled: 1-line block ×3, first 2 shown]
	s_delay_alu instid0(VALU_DEP_3) | instskip(NEXT) | instid1(VALU_DEP_3)
	v_add_nc_u32_e32 v20, 1, v14
	v_add_nc_u32_e32 v17, -1, v17
	s_delay_alu instid0(VALU_DEP_2) | instskip(NEXT) | instid1(VALU_DEP_2)
	v_cndmask_b32_e64 v18, v18, v20, s4
	v_min_u32_e32 v17, v20, v17
	v_cndmask_b32_e64 v15, v20, v15, s4
	s_delay_alu instid0(VALU_DEP_3) | instskip(NEXT) | instid1(VALU_DEP_3)
	v_cmp_lt_u32_e64 s5, v18, v12
	v_add_nc_u32_e32 v17, v11, v17
	s_delay_alu instid0(VALU_DEP_3) | instskip(SKIP_4) | instid1(VALU_DEP_2)
	v_cmp_ge_u32_e64 s7, v15, v13
	ds_load_u8 v17, v17
	s_wait_dscnt 0x0
	v_cndmask_b32_e64 v25, v17, v19, s4
	v_cndmask_b32_e64 v17, v24, v17, s4
	v_and_b32_e32 v21, v25, v4
	s_delay_alu instid0(VALU_DEP_2) | instskip(NEXT) | instid1(VALU_DEP_2)
	v_and_b32_e32 v22, v17, v4
	v_and_b32_e32 v21, 0xff, v21
	s_delay_alu instid0(VALU_DEP_2) | instskip(NEXT) | instid1(VALU_DEP_1)
	v_and_b32_e32 v22, 0xff, v22
	v_cmp_le_u16_e64 s6, v22, v21
	s_and_b32 s5, s5, s6
	s_wait_alu 0xfffe
	s_or_b32 s5, s7, s5
	s_wait_alu 0xfffe
	v_cndmask_b32_e64 v20, v15, v18, s5
	v_cndmask_b32_e64 v21, v13, v12, s5
	;; [unrolled: 1-line block ×3, first 2 shown]
	s_delay_alu instid0(VALU_DEP_3) | instskip(NEXT) | instid1(VALU_DEP_3)
	v_add_nc_u32_e32 v22, 1, v20
	v_add_nc_u32_e32 v21, -1, v21
	s_delay_alu instid0(VALU_DEP_2) | instskip(NEXT) | instid1(VALU_DEP_2)
	v_cndmask_b32_e64 v18, v18, v22, s5
	v_min_u32_e32 v21, v22, v21
	v_cndmask_b32_e64 v15, v22, v15, s5
	s_delay_alu instid0(VALU_DEP_3) | instskip(NEXT) | instid1(VALU_DEP_3)
	v_cmp_lt_u32_e64 s6, v18, v12
	v_add_nc_u32_e32 v11, v11, v21
	s_delay_alu instid0(VALU_DEP_3)
	v_cmp_ge_u32_e64 s10, v15, v13
	v_lshl_add_u32 v12, v14, 3, v9
	v_lshl_add_u32 v13, v20, 3, v9
	ds_load_u8 v11, v11
	s_wait_dscnt 0x0
	v_cndmask_b32_e64 v26, v11, v25, s5
	v_cndmask_b32_e64 v11, v17, v11, s5
	s_delay_alu instid0(VALU_DEP_2) | instskip(NEXT) | instid1(VALU_DEP_2)
	v_and_b32_e32 v21, v26, v4
	v_and_b32_e32 v4, v11, v4
	s_delay_alu instid0(VALU_DEP_2) | instskip(NEXT) | instid1(VALU_DEP_2)
	v_and_b32_e32 v21, 0xff, v21
	v_and_b32_e32 v4, 0xff, v4
	s_delay_alu instid0(VALU_DEP_1)
	v_cmp_le_u16_e64 s7, v4, v21
	s_and_b32 s6, s6, s7
	s_wait_alu 0xfffe
	s_or_b32 s6, s10, s6
	s_wait_alu 0xfffe
	v_cndmask_b32_e64 v4, v15, v18, s6
	v_cndmask_b32_e64 v34, v26, v11, s6
	s_delay_alu instid0(VALU_DEP_2)
	v_lshl_add_u32 v9, v4, 3, v9
	ds_load_b64 v[4:5], v5 offset:1024
	ds_load_b64 v[22:23], v12 offset:1024
	;; [unrolled: 1-line block ×4, first 2 shown]
.LBB1660_57:
	s_wait_alu 0xfffe
	s_or_b32 exec_lo, exec_lo, s12
	; wave barrier
	s_wait_storecnt_dscnt 0x0
	s_barrier_signal -1
	s_barrier_wait -1
	global_inv scope:SCOPE_SE
                                        ; implicit-def: $vgpr33
                                        ; implicit-def: $vgpr12
                                        ; implicit-def: $vgpr13
                                        ; implicit-def: $vgpr16
                                        ; implicit-def: $vgpr17
                                        ; implicit-def: $vgpr9
                                        ; implicit-def: $vgpr26_vgpr27
                                        ; implicit-def: $vgpr24_vgpr25
                                        ; implicit-def: $vgpr28_vgpr29
.LBB1660_58:
	s_wait_alu 0xfffe
	s_and_not1_saveexec_b32 s10, s11
	s_cbranch_execz .LBB1660_94
; %bb.59:
	s_load_b64 s[4:5], s[8:9], 0x0
	s_and_b32 s3, ttmp7, 0xffff
	s_mov_b32 s7, 0
	s_wait_kmcnt 0x0
	s_wait_alu 0xfffe
	s_cmp_lt_u32 s3, s5
	s_cselect_b32 s6, 14, 20
	s_cmp_lt_u32 ttmp9, s4
	s_wait_alu 0xfffe
	s_add_nc_u64 s[12:13], s[8:9], s[6:7]
	s_cselect_b32 s6, 12, 18
	s_load_u16 s3, s[12:13], 0x0
	s_add_nc_u64 s[4:5], s[8:9], s[6:7]
	s_mov_b32 s6, exec_lo
	s_load_u16 s4, s[4:5], 0x0
	s_wait_kmcnt 0x0
	v_mad_u32_u24 v10, v17, s3, v16
	s_delay_alu instid0(VALU_DEP_1) | instskip(NEXT) | instid1(VALU_DEP_1)
	v_mul_lo_u32 v10, v10, s4
	v_add_lshl_u32 v9, v10, v9, 2
	s_delay_alu instid0(VALU_DEP_1)
	v_cmpx_gt_u32_e32 0x400, v9
	s_cbranch_execz .LBB1660_63
; %bb.60:
	s_wait_loadcnt_dscnt 0x0
	v_and_b32_e32 v10, 0xff, v35
	v_and_b32_e32 v11, 0xff, v37
	;; [unrolled: 1-line block ×4, first 2 shown]
	s_mov_b32 s7, exec_lo
	s_delay_alu instid0(VALU_DEP_3) | instskip(NEXT) | instid1(VALU_DEP_2)
	v_cmp_gt_u16_e64 s3, v11, v10
	v_cmp_gt_u16_e64 s4, v15, v14
	s_wait_alu 0xf1ff
	s_delay_alu instid0(VALU_DEP_2) | instskip(SKIP_1) | instid1(VALU_DEP_3)
	v_cndmask_b32_e64 v11, v35, 1, s3
	v_cndmask_b32_e64 v10, v37, 0, s3
	;; [unrolled: 1-line block ×5, first 2 shown]
	v_and_b32_e32 v17, 0xff, v11
	v_and_b32_e32 v15, 0xff, v10
	;; [unrolled: 1-line block ×3, first 2 shown]
	v_cndmask_b32_e64 v5, v29, v5, s3
	v_cndmask_b32_e64 v4, v28, v4, s3
	;; [unrolled: 1-line block ×4, first 2 shown]
	v_cmp_gt_u16_e64 s5, v17, v16
	v_cndmask_b32_e64 v17, v26, v24, s4
	v_cndmask_b32_e64 v22, v25, v27, s4
	s_wait_alu 0xf1ff
	s_delay_alu instid0(VALU_DEP_3)
	v_cndmask_b32_e64 v16, v11, 0, s5
	v_cndmask_b32_e64 v11, v34, 1, s4
	v_cndmask_b32_e64 v14, v14, 1, s5
	v_cndmask_b32_e64 v24, v20, v4, s5
	v_cndmask_b32_e64 v20, v4, v20, s5
	v_and_b32_e32 v21, 0xff, v16
	v_and_b32_e32 v23, 0xff, v11
	s_delay_alu instid0(VALU_DEP_2) | instskip(SKIP_3) | instid1(VALU_DEP_3)
	v_cmp_gt_u16_e64 s3, v15, v21
	v_and_b32_e32 v15, 0xff, v14
	v_cndmask_b32_e64 v21, v5, v22, s5
	s_wait_alu 0xf1ff
	v_cndmask_b32_e64 v35, v16, 1, s3
	s_delay_alu instid0(VALU_DEP_3)
	v_cmp_gt_u16_e64 s4, v15, v23
	v_cndmask_b32_e64 v16, v22, v5, s5
	v_cndmask_b32_e64 v5, v19, v21, s3
	;; [unrolled: 1-line block ×3, first 2 shown]
	v_and_b32_e32 v25, 0xff, v35
	s_wait_alu 0xf1ff
	v_cndmask_b32_e64 v36, v14, 0, s4
	v_cndmask_b32_e64 v23, v21, v19, s3
	;; [unrolled: 1-line block ×5, first 2 shown]
	v_and_b32_e32 v18, 0xff, v36
	v_cndmask_b32_e64 v15, v16, v28, s4
	v_cndmask_b32_e64 v14, v24, v17, s4
	s_delay_alu instid0(VALU_DEP_3)
	v_cmpx_gt_u16_e64 v25, v18
; %bb.61:
	s_delay_alu instid0(VALU_DEP_2) | instskip(SKIP_2) | instid1(VALU_DEP_3)
	v_dual_mov_b32 v17, v15 :: v_dual_mov_b32 v16, v14
	v_dual_mov_b32 v35, 0 :: v_dual_mov_b32 v36, 1
	;; [unrolled: 1-line block ×4, first 2 shown]
; %bb.62:
	s_wait_alu 0xfffe
	s_or_b32 exec_lo, exec_lo, s7
	v_cndmask_b32_e64 v37, v10, 0, s3
	v_cndmask_b32_e64 v34, v11, 1, s4
.LBB1660_63:
	s_or_b32 exec_lo, exec_lo, s6
	v_and_b32_e32 v9, 0xffffff80, v9
	v_or_b32_e32 v10, 4, v33
	v_and_b32_e32 v28, 0x78, v33
	v_and_b32_e32 v17, 4, v33
	s_mov_b32 s4, exec_lo
	v_sub_nc_u32_e64 v16, 0x400, v9 clamp
	v_add_co_u32 v11, s3, v12, v9
	s_wait_alu 0xf1ff
	v_add_co_ci_u32_e64 v12, null, 0, v13, s3
	s_delay_alu instid0(VALU_DEP_3) | instskip(SKIP_1) | instid1(VALU_DEP_3)
	v_min_u32_e32 v26, v16, v10
	v_min_u32_e32 v29, v16, v17
	v_mad_co_u64_u32 v[9:10], null, v9, 7, v[11:12]
	s_delay_alu instid0(VALU_DEP_3) | instskip(SKIP_1) | instid1(VALU_DEP_2)
	v_add_nc_u32_e32 v13, 4, v26
	v_sub_nc_u32_e32 v10, v26, v28
	v_min_u32_e32 v27, v16, v13
	s_delay_alu instid0(VALU_DEP_4) | instskip(NEXT) | instid1(VALU_DEP_3)
	v_lshl_add_u32 v13, v33, 3, v9
	v_min_u32_e32 v12, v29, v10
	v_add_nc_u32_e32 v10, v11, v33
	s_wait_loadcnt_dscnt 0x0
	ds_store_2addr_b64 v13, v[4:5], v[22:23] offset0:128 offset1:129
	ds_store_b8 v10, v37
	ds_store_b8 v10, v35 offset:1
	ds_store_b8 v10, v36 offset:2
	;; [unrolled: 1-line block ×3, first 2 shown]
	ds_store_2addr_b64 v13, v[14:15], v[20:21] offset0:130 offset1:131
	v_sub_nc_u32_e32 v17, v27, v26
	; wave barrier
	s_delay_alu instid0(VALU_DEP_1) | instskip(NEXT) | instid1(VALU_DEP_1)
	v_sub_nc_u32_e64 v31, v29, v17 clamp
	v_cmpx_lt_u32_e64 v31, v12
	s_cbranch_execz .LBB1660_67
; %bb.64:
	v_add_co_u32 v17, null, v11, v28
	v_add_co_u32 v18, null, v11, v26
	s_mov_b32 s5, 0
.LBB1660_65:                            ; =>This Inner Loop Header: Depth=1
	v_add_nc_u32_e32 v19, v12, v31
	s_delay_alu instid0(VALU_DEP_1) | instskip(NEXT) | instid1(VALU_DEP_1)
	v_lshrrev_b32_e32 v19, 1, v19
	v_not_b32_e32 v24, v19
	v_add_nc_u32_e32 v25, v17, v19
	v_add_nc_u32_e32 v38, 1, v19
	s_delay_alu instid0(VALU_DEP_3)
	v_add3_u32 v24, v29, v24, v18
	ds_load_u8 v25, v25
	ds_load_u8 v24, v24
	s_wait_dscnt 0x0
	v_cmp_gt_u16_e64 s3, v25, v24
	s_wait_alu 0xf1ff
	s_delay_alu instid0(VALU_DEP_1) | instskip(SKIP_1) | instid1(VALU_DEP_1)
	v_cndmask_b32_e64 v12, v12, v19, s3
	v_cndmask_b32_e64 v31, v38, v31, s3
	v_cmp_ge_u32_e64 s3, v31, v12
	s_wait_alu 0xfffe
	s_or_b32 s5, s3, s5
	s_wait_alu 0xfffe
	s_and_not1_b32 exec_lo, exec_lo, s5
	s_cbranch_execnz .LBB1660_65
; %bb.66:
	s_or_b32 exec_lo, exec_lo, s5
.LBB1660_67:
	s_wait_alu 0xfffe
	s_or_b32 exec_lo, exec_lo, s4
	v_add_nc_u32_e32 v29, v26, v29
	v_add_nc_u32_e32 v38, v31, v28
	;; [unrolled: 1-line block ×5, first 2 shown]
	v_sub_nc_u32_e32 v31, v29, v31
	v_cmp_le_u32_e64 s3, v38, v26
	v_add_nc_u32_e32 v19, 2, v10
	v_add_nc_u32_e32 v24, 0x410, v13
	;; [unrolled: 1-line block ×3, first 2 shown]
	v_cmp_le_u32_e64 s4, v31, v27
	v_add_nc_u32_e32 v13, 0x418, v13
	s_or_b32 s3, s3, s4
	s_wait_alu 0xfffe
	s_and_saveexec_b32 s9, s3
	s_cbranch_execz .LBB1660_73
; %bb.68:
	v_cmp_lt_u32_e64 s3, v38, v26
                                        ; implicit-def: $vgpr28
	s_and_saveexec_b32 s4, s3
; %bb.69:
	v_add_nc_u32_e32 v4, v11, v38
	ds_load_u8 v28, v4
; %bb.70:
	s_wait_alu 0xfffe
	s_or_b32 exec_lo, exec_lo, s4
	v_cmp_ge_u32_e64 s4, v31, v27
	s_mov_b32 s6, exec_lo
                                        ; implicit-def: $vgpr29
	v_cmpx_lt_u32_e64 v31, v27
; %bb.71:
	v_add_nc_u32_e32 v4, v11, v31
	ds_load_u8 v29, v4
; %bb.72:
	s_wait_alu 0xfffe
	s_or_b32 exec_lo, exec_lo, s6
	s_wait_dscnt 0x0
	v_and_b32_e32 v4, 0xff, v29
	v_and_b32_e32 v5, 0xff, v28
	s_delay_alu instid0(VALU_DEP_1)
	v_cmp_le_u16_e64 s5, v5, v4
	s_and_b32 s3, s3, s5
	s_wait_alu 0xfffe
	s_or_b32 s3, s4, s3
	s_wait_alu 0xfffe
	v_cndmask_b32_e64 v4, v31, v38, s3
	v_cndmask_b32_e64 v5, v27, v26, s3
	;; [unrolled: 1-line block ×3, first 2 shown]
	s_delay_alu instid0(VALU_DEP_3) | instskip(NEXT) | instid1(VALU_DEP_3)
	v_add_nc_u32_e32 v14, 1, v4
	v_add_nc_u32_e32 v5, -1, v5
	v_lshl_add_u32 v4, v4, 3, v9
	s_delay_alu instid0(VALU_DEP_2) | instskip(NEXT) | instid1(VALU_DEP_1)
	v_min_u32_e32 v5, v14, v5
	v_add_nc_u32_e32 v5, v11, v5
	ds_load_u8 v5, v5
	s_wait_dscnt 0x0
	v_cndmask_b32_e64 v34, v5, v29, s3
	v_cndmask_b32_e64 v35, v28, v5, s3
	;; [unrolled: 1-line block ×4, first 2 shown]
	s_delay_alu instid0(VALU_DEP_4) | instskip(NEXT) | instid1(VALU_DEP_4)
	v_and_b32_e32 v15, 0xff, v34
	v_and_b32_e32 v20, 0xff, v35
	s_delay_alu instid0(VALU_DEP_4) | instskip(NEXT) | instid1(VALU_DEP_4)
	v_cmp_lt_u32_e64 s4, v5, v26
	v_cmp_ge_u32_e64 s6, v14, v27
	s_delay_alu instid0(VALU_DEP_3)
	v_cmp_le_u16_e64 s5, v20, v15
	s_and_b32 s4, s4, s5
	s_wait_alu 0xfffe
	s_or_b32 s4, s6, s4
	s_wait_alu 0xfffe
	v_cndmask_b32_e64 v15, v14, v5, s4
	v_cndmask_b32_e64 v20, v27, v26, s4
	s_delay_alu instid0(VALU_DEP_2) | instskip(NEXT) | instid1(VALU_DEP_2)
	v_add_nc_u32_e32 v21, 1, v15
	v_add_nc_u32_e32 v20, -1, v20
	s_delay_alu instid0(VALU_DEP_2) | instskip(NEXT) | instid1(VALU_DEP_2)
	v_cndmask_b32_e64 v5, v5, v21, s4
	v_min_u32_e32 v20, v21, v20
	v_cndmask_b32_e64 v14, v21, v14, s4
	s_delay_alu instid0(VALU_DEP_3) | instskip(NEXT) | instid1(VALU_DEP_3)
	v_cmp_lt_u32_e64 s5, v5, v26
	v_add_nc_u32_e32 v20, v11, v20
	s_delay_alu instid0(VALU_DEP_3)
	v_cmp_ge_u32_e64 s7, v14, v27
	ds_load_u8 v20, v20
	s_wait_dscnt 0x0
	v_cndmask_b32_e64 v31, v20, v34, s4
	v_cndmask_b32_e64 v36, v35, v20, s4
	;; [unrolled: 1-line block ×3, first 2 shown]
	s_delay_alu instid0(VALU_DEP_3) | instskip(NEXT) | instid1(VALU_DEP_3)
	v_and_b32_e32 v20, 0xff, v31
	v_and_b32_e32 v22, 0xff, v36
	s_delay_alu instid0(VALU_DEP_1)
	v_cmp_le_u16_e64 s6, v22, v20
	s_and_b32 s5, s5, s6
	s_wait_alu 0xfffe
	s_or_b32 s5, s7, s5
	s_wait_alu 0xfffe
	v_cndmask_b32_e64 v20, v14, v5, s5
	v_cndmask_b32_e64 v21, v27, v26, s5
	s_delay_alu instid0(VALU_DEP_2) | instskip(NEXT) | instid1(VALU_DEP_2)
	v_add_nc_u32_e32 v22, 1, v20
	v_add_nc_u32_e32 v21, -1, v21
	s_delay_alu instid0(VALU_DEP_2) | instskip(NEXT) | instid1(VALU_DEP_2)
	v_cndmask_b32_e64 v5, v5, v22, s5
	v_min_u32_e32 v21, v22, v21
	v_cndmask_b32_e64 v14, v22, v14, s5
	s_delay_alu instid0(VALU_DEP_3) | instskip(NEXT) | instid1(VALU_DEP_3)
	v_cmp_lt_u32_e64 s6, v5, v26
	v_add_nc_u32_e32 v21, v11, v21
	s_delay_alu instid0(VALU_DEP_3)
	v_cmp_ge_u32_e64 s8, v14, v27
	ds_load_u8 v21, v21
	s_wait_dscnt 0x0
	v_cndmask_b32_e64 v38, v21, v31, s5
	v_cndmask_b32_e64 v39, v36, v21, s5
	;; [unrolled: 1-line block ×3, first 2 shown]
	s_delay_alu instid0(VALU_DEP_3) | instskip(NEXT) | instid1(VALU_DEP_3)
	v_and_b32_e32 v21, 0xff, v38
	v_and_b32_e32 v23, 0xff, v39
	s_delay_alu instid0(VALU_DEP_1)
	v_cmp_le_u16_e64 s7, v23, v21
	s_and_b32 s6, s6, s7
	s_wait_alu 0xfffe
	s_or_b32 s6, s8, s6
	s_wait_alu 0xfffe
	v_cndmask_b32_e64 v5, v14, v5, s6
	v_lshl_add_u32 v14, v15, 3, v9
	v_lshl_add_u32 v15, v20, 3, v9
	v_cndmask_b32_e64 v34, v38, v39, s6
	s_delay_alu instid0(VALU_DEP_4)
	v_lshl_add_u32 v20, v5, 3, v9
	ds_load_b64 v[4:5], v4 offset:1024
	ds_load_b64 v[22:23], v14 offset:1024
	;; [unrolled: 1-line block ×4, first 2 shown]
.LBB1660_73:
	s_wait_alu 0xfffe
	s_or_b32 exec_lo, exec_lo, s9
	v_and_b32_e32 v28, 0x70, v33
	v_and_b32_e32 v29, 12, v33
	s_mov_b32 s4, exec_lo
	; wave barrier
	s_delay_alu instid0(VALU_DEP_2) | instskip(NEXT) | instid1(VALU_DEP_2)
	v_or_b32_e32 v26, 8, v28
	v_min_u32_e32 v29, v16, v29
	ds_store_b8 v10, v37
	s_wait_dscnt 0x4
	ds_store_b64 v25, v[4:5]
	ds_store_b8 v17, v35
	s_wait_dscnt 0x5
	ds_store_b64 v18, v[22:23]
	;; [unrolled: 3-line block ×4, first 2 shown]
	v_min_u32_e32 v26, v16, v26
	; wave barrier
	s_delay_alu instid0(VALU_DEP_1) | instskip(SKIP_1) | instid1(VALU_DEP_2)
	v_add_nc_u32_e32 v27, 8, v26
	v_sub_nc_u32_e32 v38, v26, v28
	v_min_u32_e32 v27, v16, v27
	s_delay_alu instid0(VALU_DEP_2) | instskip(NEXT) | instid1(VALU_DEP_2)
	v_min_u32_e32 v38, v29, v38
	v_sub_nc_u32_e32 v31, v27, v26
	s_delay_alu instid0(VALU_DEP_1) | instskip(NEXT) | instid1(VALU_DEP_1)
	v_sub_nc_u32_e64 v31, v29, v31 clamp
	v_cmpx_lt_u32_e64 v31, v38
	s_cbranch_execz .LBB1660_77
; %bb.74:
	v_add_co_u32 v39, null, v11, v28
	v_add_co_u32 v48, null, v11, v26
	s_mov_b32 s5, 0
.LBB1660_75:                            ; =>This Inner Loop Header: Depth=1
	v_add_nc_u32_e32 v49, v38, v31
	s_delay_alu instid0(VALU_DEP_1) | instskip(NEXT) | instid1(VALU_DEP_1)
	v_lshrrev_b32_e32 v49, 1, v49
	v_not_b32_e32 v50, v49
	v_add_nc_u32_e32 v51, v39, v49
	v_add_nc_u32_e32 v52, 1, v49
	s_delay_alu instid0(VALU_DEP_3)
	v_add3_u32 v50, v29, v50, v48
	ds_load_u8 v51, v51
	ds_load_u8 v50, v50
	s_wait_dscnt 0x0
	v_cmp_gt_u16_e64 s3, v51, v50
	s_wait_alu 0xf1ff
	s_delay_alu instid0(VALU_DEP_1) | instskip(SKIP_1) | instid1(VALU_DEP_1)
	v_cndmask_b32_e64 v38, v38, v49, s3
	v_cndmask_b32_e64 v31, v52, v31, s3
	v_cmp_ge_u32_e64 s3, v31, v38
	s_wait_alu 0xfffe
	s_or_b32 s5, s3, s5
	s_wait_alu 0xfffe
	s_and_not1_b32 exec_lo, exec_lo, s5
	s_cbranch_execnz .LBB1660_75
; %bb.76:
	s_or_b32 exec_lo, exec_lo, s5
.LBB1660_77:
	s_wait_alu 0xfffe
	s_or_b32 exec_lo, exec_lo, s4
	v_add_nc_u32_e32 v29, v26, v29
	v_add_nc_u32_e32 v38, v31, v28
	s_delay_alu instid0(VALU_DEP_2) | instskip(NEXT) | instid1(VALU_DEP_2)
	v_sub_nc_u32_e32 v31, v29, v31
	v_cmp_le_u32_e64 s3, v38, v26
	s_delay_alu instid0(VALU_DEP_2)
	v_cmp_le_u32_e64 s4, v31, v27
	s_or_b32 s3, s3, s4
	s_wait_alu 0xfffe
	s_and_saveexec_b32 s9, s3
	s_cbranch_execz .LBB1660_83
; %bb.78:
	v_cmp_lt_u32_e64 s3, v38, v26
                                        ; implicit-def: $vgpr28
	s_and_saveexec_b32 s4, s3
; %bb.79:
	v_add_nc_u32_e32 v4, v11, v38
	ds_load_u8 v28, v4
; %bb.80:
	s_wait_alu 0xfffe
	s_or_b32 exec_lo, exec_lo, s4
	v_cmp_ge_u32_e64 s4, v31, v27
	s_mov_b32 s6, exec_lo
                                        ; implicit-def: $vgpr29
	v_cmpx_lt_u32_e64 v31, v27
; %bb.81:
	v_add_nc_u32_e32 v4, v11, v31
	ds_load_u8 v29, v4
; %bb.82:
	s_wait_alu 0xfffe
	s_or_b32 exec_lo, exec_lo, s6
	s_wait_dscnt 0x0
	v_and_b32_e32 v4, 0xff, v29
	v_and_b32_e32 v5, 0xff, v28
	s_delay_alu instid0(VALU_DEP_1)
	v_cmp_le_u16_e64 s5, v5, v4
	s_and_b32 s3, s3, s5
	s_wait_alu 0xfffe
	s_or_b32 s3, s4, s3
	s_wait_alu 0xfffe
	v_cndmask_b32_e64 v4, v31, v38, s3
	v_cndmask_b32_e64 v5, v27, v26, s3
	;; [unrolled: 1-line block ×3, first 2 shown]
	s_delay_alu instid0(VALU_DEP_3) | instskip(NEXT) | instid1(VALU_DEP_3)
	v_add_nc_u32_e32 v14, 1, v4
	v_add_nc_u32_e32 v5, -1, v5
	v_lshl_add_u32 v4, v4, 3, v9
	s_delay_alu instid0(VALU_DEP_2) | instskip(NEXT) | instid1(VALU_DEP_1)
	v_min_u32_e32 v5, v14, v5
	v_add_nc_u32_e32 v5, v11, v5
	ds_load_u8 v5, v5
	s_wait_dscnt 0x0
	v_cndmask_b32_e64 v34, v5, v29, s3
	v_cndmask_b32_e64 v35, v28, v5, s3
	;; [unrolled: 1-line block ×4, first 2 shown]
	s_delay_alu instid0(VALU_DEP_4) | instskip(NEXT) | instid1(VALU_DEP_4)
	v_and_b32_e32 v15, 0xff, v34
	v_and_b32_e32 v20, 0xff, v35
	s_delay_alu instid0(VALU_DEP_4) | instskip(NEXT) | instid1(VALU_DEP_4)
	v_cmp_lt_u32_e64 s4, v5, v26
	v_cmp_ge_u32_e64 s6, v14, v27
	s_delay_alu instid0(VALU_DEP_3)
	v_cmp_le_u16_e64 s5, v20, v15
	s_and_b32 s4, s4, s5
	s_wait_alu 0xfffe
	s_or_b32 s4, s6, s4
	s_wait_alu 0xfffe
	v_cndmask_b32_e64 v15, v14, v5, s4
	v_cndmask_b32_e64 v20, v27, v26, s4
	s_delay_alu instid0(VALU_DEP_2) | instskip(NEXT) | instid1(VALU_DEP_2)
	v_add_nc_u32_e32 v21, 1, v15
	v_add_nc_u32_e32 v20, -1, v20
	s_delay_alu instid0(VALU_DEP_2) | instskip(NEXT) | instid1(VALU_DEP_2)
	v_cndmask_b32_e64 v5, v5, v21, s4
	v_min_u32_e32 v20, v21, v20
	v_cndmask_b32_e64 v14, v21, v14, s4
	s_delay_alu instid0(VALU_DEP_3) | instskip(NEXT) | instid1(VALU_DEP_3)
	v_cmp_lt_u32_e64 s5, v5, v26
	v_add_nc_u32_e32 v20, v11, v20
	s_delay_alu instid0(VALU_DEP_3)
	v_cmp_ge_u32_e64 s7, v14, v27
	ds_load_u8 v20, v20
	s_wait_dscnt 0x0
	v_cndmask_b32_e64 v31, v20, v34, s4
	v_cndmask_b32_e64 v36, v35, v20, s4
	;; [unrolled: 1-line block ×3, first 2 shown]
	s_delay_alu instid0(VALU_DEP_3) | instskip(NEXT) | instid1(VALU_DEP_3)
	v_and_b32_e32 v20, 0xff, v31
	v_and_b32_e32 v22, 0xff, v36
	s_delay_alu instid0(VALU_DEP_1)
	v_cmp_le_u16_e64 s6, v22, v20
	s_and_b32 s5, s5, s6
	s_wait_alu 0xfffe
	s_or_b32 s5, s7, s5
	s_wait_alu 0xfffe
	v_cndmask_b32_e64 v20, v14, v5, s5
	v_cndmask_b32_e64 v21, v27, v26, s5
	s_delay_alu instid0(VALU_DEP_2) | instskip(NEXT) | instid1(VALU_DEP_2)
	v_add_nc_u32_e32 v22, 1, v20
	v_add_nc_u32_e32 v21, -1, v21
	s_delay_alu instid0(VALU_DEP_2) | instskip(NEXT) | instid1(VALU_DEP_2)
	v_cndmask_b32_e64 v5, v5, v22, s5
	v_min_u32_e32 v21, v22, v21
	v_cndmask_b32_e64 v14, v22, v14, s5
	s_delay_alu instid0(VALU_DEP_3) | instskip(NEXT) | instid1(VALU_DEP_3)
	v_cmp_lt_u32_e64 s6, v5, v26
	v_add_nc_u32_e32 v21, v11, v21
	s_delay_alu instid0(VALU_DEP_3)
	v_cmp_ge_u32_e64 s8, v14, v27
	ds_load_u8 v21, v21
	s_wait_dscnt 0x0
	v_cndmask_b32_e64 v38, v21, v31, s5
	v_cndmask_b32_e64 v39, v36, v21, s5
	;; [unrolled: 1-line block ×3, first 2 shown]
	s_delay_alu instid0(VALU_DEP_3) | instskip(NEXT) | instid1(VALU_DEP_3)
	v_and_b32_e32 v21, 0xff, v38
	v_and_b32_e32 v23, 0xff, v39
	s_delay_alu instid0(VALU_DEP_1)
	v_cmp_le_u16_e64 s7, v23, v21
	s_and_b32 s6, s6, s7
	s_wait_alu 0xfffe
	s_or_b32 s6, s8, s6
	s_wait_alu 0xfffe
	v_cndmask_b32_e64 v5, v14, v5, s6
	v_lshl_add_u32 v14, v15, 3, v9
	v_lshl_add_u32 v15, v20, 3, v9
	v_cndmask_b32_e64 v34, v38, v39, s6
	s_delay_alu instid0(VALU_DEP_4)
	v_lshl_add_u32 v20, v5, 3, v9
	ds_load_b64 v[4:5], v4 offset:1024
	ds_load_b64 v[22:23], v14 offset:1024
	;; [unrolled: 1-line block ×4, first 2 shown]
.LBB1660_83:
	s_wait_alu 0xfffe
	s_or_b32 exec_lo, exec_lo, s9
	v_and_b32_e32 v28, 0x60, v33
	; wave barrier
	ds_store_b8 v10, v37
	s_wait_dscnt 0x4
	ds_store_b64 v25, v[4:5]
	s_mov_b32 s4, exec_lo
	v_or_b32_e32 v26, 16, v28
	ds_store_b8 v17, v35
	s_wait_dscnt 0x5
	ds_store_b64 v18, v[22:23]
	ds_store_b8 v19, v36
	s_wait_dscnt 0x6
	ds_store_b64 v24, v[14:15]
	;; [unrolled: 3-line block ×3, first 2 shown]
	; wave barrier
	v_min_u32_e32 v26, v16, v26
	s_delay_alu instid0(VALU_DEP_1) | instskip(SKIP_1) | instid1(VALU_DEP_2)
	v_add_nc_u32_e32 v27, 16, v26
	v_sub_nc_u32_e32 v31, v26, v28
	v_min_u32_e32 v27, v16, v27
	v_min_u32_e32 v16, v16, v30
	s_delay_alu instid0(VALU_DEP_2) | instskip(NEXT) | instid1(VALU_DEP_2)
	v_sub_nc_u32_e32 v29, v27, v26
	v_min_u32_e32 v25, v16, v31
	s_delay_alu instid0(VALU_DEP_2) | instskip(NEXT) | instid1(VALU_DEP_1)
	v_sub_nc_u32_e64 v10, v16, v29 clamp
	v_cmpx_lt_u32_e64 v10, v25
	s_cbranch_execz .LBB1660_87
; %bb.84:
	v_add_co_u32 v12, null, v11, v28
	v_add_co_u32 v13, null, v11, v26
	s_mov_b32 s5, 0
.LBB1660_85:                            ; =>This Inner Loop Header: Depth=1
	v_add_nc_u32_e32 v17, v25, v10
	s_delay_alu instid0(VALU_DEP_1) | instskip(NEXT) | instid1(VALU_DEP_1)
	v_lshrrev_b32_e32 v17, 1, v17
	v_not_b32_e32 v18, v17
	v_add_nc_u32_e32 v19, v12, v17
	v_add_nc_u32_e32 v24, 1, v17
	s_delay_alu instid0(VALU_DEP_3)
	v_add3_u32 v18, v16, v18, v13
	ds_load_u8 v19, v19
	ds_load_u8 v18, v18
	s_wait_dscnt 0x0
	v_cmp_gt_u16_e64 s3, v19, v18
	s_wait_alu 0xf1ff
	s_delay_alu instid0(VALU_DEP_1) | instskip(SKIP_1) | instid1(VALU_DEP_1)
	v_cndmask_b32_e64 v25, v25, v17, s3
	v_cndmask_b32_e64 v10, v24, v10, s3
	v_cmp_ge_u32_e64 s3, v10, v25
	s_wait_alu 0xfffe
	s_or_b32 s5, s3, s5
	s_wait_alu 0xfffe
	s_and_not1_b32 exec_lo, exec_lo, s5
	s_cbranch_execnz .LBB1660_85
; %bb.86:
	s_or_b32 exec_lo, exec_lo, s5
.LBB1660_87:
	s_wait_alu 0xfffe
	s_or_b32 exec_lo, exec_lo, s4
	v_add_nc_u32_e32 v12, v26, v16
	v_add_nc_u32_e32 v16, v10, v28
	s_delay_alu instid0(VALU_DEP_2) | instskip(NEXT) | instid1(VALU_DEP_2)
	v_sub_nc_u32_e32 v13, v12, v10
	v_cmp_le_u32_e64 s3, v16, v26
	s_delay_alu instid0(VALU_DEP_2)
	v_cmp_le_u32_e64 s4, v13, v27
	s_or_b32 s3, s3, s4
	s_wait_alu 0xfffe
	s_and_saveexec_b32 s9, s3
	s_cbranch_execz .LBB1660_93
; %bb.88:
	v_cmp_lt_u32_e64 s3, v16, v26
                                        ; implicit-def: $vgpr10
	s_and_saveexec_b32 s4, s3
; %bb.89:
	v_add_nc_u32_e32 v4, v11, v16
	ds_load_u8 v10, v4
; %bb.90:
	s_wait_alu 0xfffe
	s_or_b32 exec_lo, exec_lo, s4
	v_cmp_ge_u32_e64 s4, v13, v27
	s_mov_b32 s6, exec_lo
                                        ; implicit-def: $vgpr12
	v_cmpx_lt_u32_e64 v13, v27
; %bb.91:
	v_add_nc_u32_e32 v4, v11, v13
	ds_load_u8 v12, v4
; %bb.92:
	s_wait_alu 0xfffe
	s_or_b32 exec_lo, exec_lo, s6
	s_wait_dscnt 0x0
	v_and_b32_e32 v4, 0xff, v12
	v_and_b32_e32 v5, 0xff, v10
	s_delay_alu instid0(VALU_DEP_1)
	v_cmp_le_u16_e64 s5, v5, v4
	s_and_b32 s3, s3, s5
	s_wait_alu 0xfffe
	s_or_b32 s3, s4, s3
	s_wait_alu 0xfffe
	v_cndmask_b32_e64 v4, v13, v16, s3
	v_cndmask_b32_e64 v5, v27, v26, s3
	;; [unrolled: 1-line block ×3, first 2 shown]
	s_delay_alu instid0(VALU_DEP_3) | instskip(NEXT) | instid1(VALU_DEP_3)
	v_add_nc_u32_e32 v14, 1, v4
	v_add_nc_u32_e32 v5, -1, v5
	v_lshl_add_u32 v4, v4, 3, v9
	s_delay_alu instid0(VALU_DEP_3) | instskip(NEXT) | instid1(VALU_DEP_3)
	v_cndmask_b32_e64 v13, v14, v13, s3
	v_min_u32_e32 v5, v14, v5
	s_delay_alu instid0(VALU_DEP_2) | instskip(NEXT) | instid1(VALU_DEP_2)
	v_cmp_ge_u32_e64 s6, v13, v27
	v_add_nc_u32_e32 v5, v11, v5
	ds_load_u8 v5, v5
	s_wait_dscnt 0x0
	v_cndmask_b32_e64 v17, v5, v12, s3
	v_cndmask_b32_e64 v18, v10, v5, s3
	;; [unrolled: 1-line block ×3, first 2 shown]
	s_delay_alu instid0(VALU_DEP_3) | instskip(NEXT) | instid1(VALU_DEP_3)
	v_and_b32_e32 v15, 0xff, v17
	v_and_b32_e32 v16, 0xff, v18
	s_delay_alu instid0(VALU_DEP_3) | instskip(NEXT) | instid1(VALU_DEP_2)
	v_cmp_lt_u32_e64 s4, v5, v26
	v_cmp_le_u16_e64 s5, v16, v15
	s_and_b32 s4, s4, s5
	s_wait_alu 0xfffe
	s_or_b32 s4, s6, s4
	s_wait_alu 0xfffe
	v_cndmask_b32_e64 v14, v13, v5, s4
	v_cndmask_b32_e64 v15, v27, v26, s4
	;; [unrolled: 1-line block ×3, first 2 shown]
	s_delay_alu instid0(VALU_DEP_3) | instskip(NEXT) | instid1(VALU_DEP_3)
	v_add_nc_u32_e32 v16, 1, v14
	v_add_nc_u32_e32 v15, -1, v15
	s_delay_alu instid0(VALU_DEP_2) | instskip(NEXT) | instid1(VALU_DEP_2)
	v_cndmask_b32_e64 v5, v5, v16, s4
	v_min_u32_e32 v15, v16, v15
	v_cndmask_b32_e64 v13, v16, v13, s4
	s_delay_alu instid0(VALU_DEP_3) | instskip(NEXT) | instid1(VALU_DEP_3)
	v_cmp_lt_u32_e64 s5, v5, v26
	v_add_nc_u32_e32 v15, v11, v15
	s_delay_alu instid0(VALU_DEP_3) | instskip(SKIP_4) | instid1(VALU_DEP_2)
	v_cmp_ge_u32_e64 s7, v13, v27
	ds_load_u8 v15, v15
	s_wait_dscnt 0x0
	v_cndmask_b32_e64 v19, v15, v17, s4
	v_cndmask_b32_e64 v24, v18, v15, s4
	v_and_b32_e32 v15, 0xff, v19
	s_delay_alu instid0(VALU_DEP_2) | instskip(NEXT) | instid1(VALU_DEP_1)
	v_and_b32_e32 v20, 0xff, v24
	v_cmp_le_u16_e64 s6, v20, v15
	s_and_b32 s5, s5, s6
	s_wait_alu 0xfffe
	s_or_b32 s5, s7, s5
	s_wait_alu 0xfffe
	v_cndmask_b32_e64 v15, v13, v5, s5
	v_cndmask_b32_e64 v16, v27, v26, s5
	;; [unrolled: 1-line block ×3, first 2 shown]
	s_delay_alu instid0(VALU_DEP_3) | instskip(NEXT) | instid1(VALU_DEP_3)
	v_add_nc_u32_e32 v20, 1, v15
	v_add_nc_u32_e32 v16, -1, v16
	s_delay_alu instid0(VALU_DEP_2) | instskip(NEXT) | instid1(VALU_DEP_2)
	v_cndmask_b32_e64 v5, v5, v20, s5
	v_min_u32_e32 v16, v20, v16
	v_cndmask_b32_e64 v13, v20, v13, s5
	s_delay_alu instid0(VALU_DEP_3) | instskip(NEXT) | instid1(VALU_DEP_3)
	v_cmp_lt_u32_e64 s6, v5, v26
	v_add_nc_u32_e32 v11, v11, v16
	s_delay_alu instid0(VALU_DEP_3) | instskip(SKIP_4) | instid1(VALU_DEP_2)
	v_cmp_ge_u32_e64 s8, v13, v27
	ds_load_u8 v11, v11
	s_wait_dscnt 0x0
	v_cndmask_b32_e64 v16, v11, v19, s5
	v_cndmask_b32_e64 v11, v24, v11, s5
	v_and_b32_e32 v21, 0xff, v16
	s_delay_alu instid0(VALU_DEP_2) | instskip(NEXT) | instid1(VALU_DEP_1)
	v_and_b32_e32 v22, 0xff, v11
	v_cmp_le_u16_e64 s7, v22, v21
	s_and_b32 s6, s6, s7
	s_wait_alu 0xfffe
	s_or_b32 s6, s8, s6
	s_wait_alu 0xfffe
	v_cndmask_b32_e64 v5, v13, v5, s6
	v_lshl_add_u32 v13, v14, 3, v9
	v_lshl_add_u32 v14, v15, 3, v9
	v_cndmask_b32_e64 v34, v16, v11, s6
	s_delay_alu instid0(VALU_DEP_4)
	v_lshl_add_u32 v9, v5, 3, v9
	ds_load_b64 v[4:5], v4 offset:1024
	ds_load_b64 v[22:23], v13 offset:1024
	;; [unrolled: 1-line block ×4, first 2 shown]
.LBB1660_93:
	s_wait_alu 0xfffe
	s_or_b32 exec_lo, exec_lo, s9
	; wave barrier
	s_wait_storecnt_dscnt 0x0
	s_barrier_signal -1
	s_barrier_wait -1
	global_inv scope:SCOPE_SE
.LBB1660_94:
	s_wait_alu 0xfffe
	s_or_b32 exec_lo, exec_lo, s10
	v_add_co_u32 v2, s3, v2, v8
	s_wait_alu 0xf1ff
	v_add_co_ci_u32_e64 v3, null, 0, v3, s3
	s_delay_alu instid0(VALU_DEP_2) | instskip(SKIP_1) | instid1(VALU_DEP_2)
	v_add_co_u32 v2, s3, v2, v30
	s_wait_alu 0xf1ff
	v_add_co_ci_u32_e64 v3, null, 0, v3, s3
	; wave barrier
	s_and_saveexec_b32 s3, vcc_lo
	s_cbranch_execnz .LBB1660_104
; %bb.95:
	s_wait_alu 0xfffe
	s_or_b32 exec_lo, exec_lo, s3
	s_and_saveexec_b32 s3, s0
	s_cbranch_execnz .LBB1660_105
.LBB1660_96:
	s_wait_alu 0xfffe
	s_or_b32 exec_lo, exec_lo, s3
	s_and_saveexec_b32 s3, s1
	s_cbranch_execnz .LBB1660_106
.LBB1660_97:
	s_wait_alu 0xfffe
	s_or_b32 exec_lo, exec_lo, s3
	s_and_saveexec_b32 s3, s2
	s_cbranch_execz .LBB1660_99
.LBB1660_98:
	s_wait_loadcnt_dscnt 0x0
	flat_store_b8 v[2:3], v34 offset:3
.LBB1660_99:
	s_wait_alu 0xfffe
	s_or_b32 exec_lo, exec_lo, s3
	v_add_co_u32 v0, s3, v6, v0
	s_wait_alu 0xf1ff
	v_add_co_ci_u32_e64 v1, null, v7, v1, s3
	s_delay_alu instid0(VALU_DEP_2) | instskip(SKIP_1) | instid1(VALU_DEP_2)
	v_add_co_u32 v0, s3, v0, v32
	s_wait_alu 0xf1ff
	v_add_co_ci_u32_e64 v1, null, 0, v1, s3
	; wave barrier
	s_and_saveexec_b32 s3, vcc_lo
	s_cbranch_execnz .LBB1660_107
; %bb.100:
	s_wait_alu 0xfffe
	s_or_b32 exec_lo, exec_lo, s3
	s_and_saveexec_b32 s3, s0
	s_cbranch_execnz .LBB1660_108
.LBB1660_101:
	s_wait_alu 0xfffe
	s_or_b32 exec_lo, exec_lo, s3
	s_and_saveexec_b32 s0, s1
	s_cbranch_execnz .LBB1660_109
.LBB1660_102:
	s_wait_alu 0xfffe
	s_or_b32 exec_lo, exec_lo, s0
	s_and_saveexec_b32 s0, s2
	s_cbranch_execnz .LBB1660_110
.LBB1660_103:
	s_wait_alu 0xfffe
	s_or_b32 exec_lo, exec_lo, s0
	s_wait_loadcnt_dscnt 0x0
	s_setpc_b64 s[30:31]
.LBB1660_104:
	s_wait_loadcnt_dscnt 0x0
	flat_store_b8 v[2:3], v37
	s_wait_alu 0xfffe
	s_or_b32 exec_lo, exec_lo, s3
	s_and_saveexec_b32 s3, s0
	s_cbranch_execz .LBB1660_96
.LBB1660_105:
	s_wait_loadcnt_dscnt 0x0
	flat_store_b8 v[2:3], v35 offset:1
	s_wait_alu 0xfffe
	s_or_b32 exec_lo, exec_lo, s3
	s_and_saveexec_b32 s3, s1
	s_cbranch_execz .LBB1660_97
.LBB1660_106:
	s_wait_loadcnt_dscnt 0x0
	flat_store_b8 v[2:3], v36 offset:2
	s_wait_alu 0xfffe
	s_or_b32 exec_lo, exec_lo, s3
	s_and_saveexec_b32 s3, s2
	s_cbranch_execnz .LBB1660_98
	s_branch .LBB1660_99
.LBB1660_107:
	s_wait_loadcnt_dscnt 0x0
	flat_store_b64 v[0:1], v[4:5]
	s_wait_alu 0xfffe
	s_or_b32 exec_lo, exec_lo, s3
	s_and_saveexec_b32 s3, s0
	s_cbranch_execz .LBB1660_101
.LBB1660_108:
	flat_store_b64 v[0:1], v[22:23] offset:8
	s_wait_alu 0xfffe
	s_or_b32 exec_lo, exec_lo, s3
	s_and_saveexec_b32 s0, s1
	s_cbranch_execz .LBB1660_102
.LBB1660_109:
	flat_store_b64 v[0:1], v[14:15] offset:16
	s_wait_alu 0xfffe
	s_or_b32 exec_lo, exec_lo, s0
	s_and_saveexec_b32 s0, s2
	s_cbranch_execz .LBB1660_103
.LBB1660_110:
	flat_store_b64 v[0:1], v[20:21] offset:24
	s_wait_alu 0xfffe
	s_or_b32 exec_lo, exec_lo, s0
	s_wait_loadcnt_dscnt 0x0
	s_setpc_b64 s[30:31]
.Lfunc_end1660:
	.size	_ZN7rocprim17ROCPRIM_400000_NS6detail26segmented_warp_sort_helperINS1_20WarpSortHelperConfigILj8ELj4ELj256EEEblLi256ELb0EvE4sortIPKbPbPKlPlEEvT_T0_T1_T2_jjjjRNS5_12storage_typeE, .Lfunc_end1660-_ZN7rocprim17ROCPRIM_400000_NS6detail26segmented_warp_sort_helperINS1_20WarpSortHelperConfigILj8ELj4ELj256EEEblLi256ELb0EvE4sortIPKbPbPKlPlEEvT_T0_T1_T2_jjjjRNS5_12storage_typeE
                                        ; -- End function
	.set .L_ZN7rocprim17ROCPRIM_400000_NS6detail26segmented_warp_sort_helperINS1_20WarpSortHelperConfigILj8ELj4ELj256EEEblLi256ELb0EvE4sortIPKbPbPKlPlEEvT_T0_T1_T2_jjjjRNS5_12storage_typeE.num_vgpr, 54
	.set .L_ZN7rocprim17ROCPRIM_400000_NS6detail26segmented_warp_sort_helperINS1_20WarpSortHelperConfigILj8ELj4ELj256EEEblLi256ELb0EvE4sortIPKbPbPKlPlEEvT_T0_T1_T2_jjjjRNS5_12storage_typeE.num_agpr, 0
	.set .L_ZN7rocprim17ROCPRIM_400000_NS6detail26segmented_warp_sort_helperINS1_20WarpSortHelperConfigILj8ELj4ELj256EEEblLi256ELb0EvE4sortIPKbPbPKlPlEEvT_T0_T1_T2_jjjjRNS5_12storage_typeE.numbered_sgpr, 33
	.set .L_ZN7rocprim17ROCPRIM_400000_NS6detail26segmented_warp_sort_helperINS1_20WarpSortHelperConfigILj8ELj4ELj256EEEblLi256ELb0EvE4sortIPKbPbPKlPlEEvT_T0_T1_T2_jjjjRNS5_12storage_typeE.num_named_barrier, 0
	.set .L_ZN7rocprim17ROCPRIM_400000_NS6detail26segmented_warp_sort_helperINS1_20WarpSortHelperConfigILj8ELj4ELj256EEEblLi256ELb0EvE4sortIPKbPbPKlPlEEvT_T0_T1_T2_jjjjRNS5_12storage_typeE.private_seg_size, 12
	.set .L_ZN7rocprim17ROCPRIM_400000_NS6detail26segmented_warp_sort_helperINS1_20WarpSortHelperConfigILj8ELj4ELj256EEEblLi256ELb0EvE4sortIPKbPbPKlPlEEvT_T0_T1_T2_jjjjRNS5_12storage_typeE.uses_vcc, 1
	.set .L_ZN7rocprim17ROCPRIM_400000_NS6detail26segmented_warp_sort_helperINS1_20WarpSortHelperConfigILj8ELj4ELj256EEEblLi256ELb0EvE4sortIPKbPbPKlPlEEvT_T0_T1_T2_jjjjRNS5_12storage_typeE.uses_flat_scratch, 1
	.set .L_ZN7rocprim17ROCPRIM_400000_NS6detail26segmented_warp_sort_helperINS1_20WarpSortHelperConfigILj8ELj4ELj256EEEblLi256ELb0EvE4sortIPKbPbPKlPlEEvT_T0_T1_T2_jjjjRNS5_12storage_typeE.has_dyn_sized_stack, 0
	.set .L_ZN7rocprim17ROCPRIM_400000_NS6detail26segmented_warp_sort_helperINS1_20WarpSortHelperConfigILj8ELj4ELj256EEEblLi256ELb0EvE4sortIPKbPbPKlPlEEvT_T0_T1_T2_jjjjRNS5_12storage_typeE.has_recursion, 0
	.set .L_ZN7rocprim17ROCPRIM_400000_NS6detail26segmented_warp_sort_helperINS1_20WarpSortHelperConfigILj8ELj4ELj256EEEblLi256ELb0EvE4sortIPKbPbPKlPlEEvT_T0_T1_T2_jjjjRNS5_12storage_typeE.has_indirect_call, 0
	.section	.AMDGPU.csdata,"",@progbits
; Function info:
; codeLenInByte = 9836
; TotalNumSgprs: 35
; NumVgprs: 54
; ScratchSize: 12
; MemoryBound: 1
	.section	.text._ZN7rocprim17ROCPRIM_400000_NS6detail17trampoline_kernelINS0_14default_configENS1_36segmented_radix_sort_config_selectorIblEEZNS1_25segmented_radix_sort_implIS3_Lb0EPKbPbPKlPlN2at6native12_GLOBAL__N_18offset_tEEE10hipError_tPvRmT1_PNSt15iterator_traitsISK_E10value_typeET2_T3_PNSL_ISQ_E10value_typeET4_jRbjT5_SW_jjP12ihipStream_tbEUlT_E1_NS1_11comp_targetILNS1_3genE10ELNS1_11target_archE1201ELNS1_3gpuE5ELNS1_3repE0EEENS1_59segmented_radix_sort_warp_sort_small_config_static_selectorELNS0_4arch9wavefront6targetE0EEEvSK_,"axG",@progbits,_ZN7rocprim17ROCPRIM_400000_NS6detail17trampoline_kernelINS0_14default_configENS1_36segmented_radix_sort_config_selectorIblEEZNS1_25segmented_radix_sort_implIS3_Lb0EPKbPbPKlPlN2at6native12_GLOBAL__N_18offset_tEEE10hipError_tPvRmT1_PNSt15iterator_traitsISK_E10value_typeET2_T3_PNSL_ISQ_E10value_typeET4_jRbjT5_SW_jjP12ihipStream_tbEUlT_E1_NS1_11comp_targetILNS1_3genE10ELNS1_11target_archE1201ELNS1_3gpuE5ELNS1_3repE0EEENS1_59segmented_radix_sort_warp_sort_small_config_static_selectorELNS0_4arch9wavefront6targetE0EEEvSK_,comdat
	.globl	_ZN7rocprim17ROCPRIM_400000_NS6detail17trampoline_kernelINS0_14default_configENS1_36segmented_radix_sort_config_selectorIblEEZNS1_25segmented_radix_sort_implIS3_Lb0EPKbPbPKlPlN2at6native12_GLOBAL__N_18offset_tEEE10hipError_tPvRmT1_PNSt15iterator_traitsISK_E10value_typeET2_T3_PNSL_ISQ_E10value_typeET4_jRbjT5_SW_jjP12ihipStream_tbEUlT_E1_NS1_11comp_targetILNS1_3genE10ELNS1_11target_archE1201ELNS1_3gpuE5ELNS1_3repE0EEENS1_59segmented_radix_sort_warp_sort_small_config_static_selectorELNS0_4arch9wavefront6targetE0EEEvSK_ ; -- Begin function _ZN7rocprim17ROCPRIM_400000_NS6detail17trampoline_kernelINS0_14default_configENS1_36segmented_radix_sort_config_selectorIblEEZNS1_25segmented_radix_sort_implIS3_Lb0EPKbPbPKlPlN2at6native12_GLOBAL__N_18offset_tEEE10hipError_tPvRmT1_PNSt15iterator_traitsISK_E10value_typeET2_T3_PNSL_ISQ_E10value_typeET4_jRbjT5_SW_jjP12ihipStream_tbEUlT_E1_NS1_11comp_targetILNS1_3genE10ELNS1_11target_archE1201ELNS1_3gpuE5ELNS1_3repE0EEENS1_59segmented_radix_sort_warp_sort_small_config_static_selectorELNS0_4arch9wavefront6targetE0EEEvSK_
	.p2align	8
	.type	_ZN7rocprim17ROCPRIM_400000_NS6detail17trampoline_kernelINS0_14default_configENS1_36segmented_radix_sort_config_selectorIblEEZNS1_25segmented_radix_sort_implIS3_Lb0EPKbPbPKlPlN2at6native12_GLOBAL__N_18offset_tEEE10hipError_tPvRmT1_PNSt15iterator_traitsISK_E10value_typeET2_T3_PNSL_ISQ_E10value_typeET4_jRbjT5_SW_jjP12ihipStream_tbEUlT_E1_NS1_11comp_targetILNS1_3genE10ELNS1_11target_archE1201ELNS1_3gpuE5ELNS1_3repE0EEENS1_59segmented_radix_sort_warp_sort_small_config_static_selectorELNS0_4arch9wavefront6targetE0EEEvSK_,@function
_ZN7rocprim17ROCPRIM_400000_NS6detail17trampoline_kernelINS0_14default_configENS1_36segmented_radix_sort_config_selectorIblEEZNS1_25segmented_radix_sort_implIS3_Lb0EPKbPbPKlPlN2at6native12_GLOBAL__N_18offset_tEEE10hipError_tPvRmT1_PNSt15iterator_traitsISK_E10value_typeET2_T3_PNSL_ISQ_E10value_typeET4_jRbjT5_SW_jjP12ihipStream_tbEUlT_E1_NS1_11comp_targetILNS1_3genE10ELNS1_11target_archE1201ELNS1_3gpuE5ELNS1_3repE0EEENS1_59segmented_radix_sort_warp_sort_small_config_static_selectorELNS0_4arch9wavefront6targetE0EEEvSK_: ; @_ZN7rocprim17ROCPRIM_400000_NS6detail17trampoline_kernelINS0_14default_configENS1_36segmented_radix_sort_config_selectorIblEEZNS1_25segmented_radix_sort_implIS3_Lb0EPKbPbPKlPlN2at6native12_GLOBAL__N_18offset_tEEE10hipError_tPvRmT1_PNSt15iterator_traitsISK_E10value_typeET2_T3_PNSL_ISQ_E10value_typeET4_jRbjT5_SW_jjP12ihipStream_tbEUlT_E1_NS1_11comp_targetILNS1_3genE10ELNS1_11target_archE1201ELNS1_3gpuE5ELNS1_3repE0EEENS1_59segmented_radix_sort_warp_sort_small_config_static_selectorELNS0_4arch9wavefront6targetE0EEEvSK_
; %bb.0:
	s_load_b32 s2, s[0:1], 0x64
	v_bfe_u32 v1, v0, 10, 10
	v_bfe_u32 v2, v0, 20, 10
	s_mov_b32 s32, 0
	s_wait_kmcnt 0x0
	s_lshr_b32 s3, s2, 16
	s_and_b32 s2, s2, 0xffff
	v_mad_u32_u24 v2, v2, s3, v1
	v_and_b32_e32 v1, 0x3ff, v0
	s_load_b32 s3, s[0:1], 0x34
	s_delay_alu instid0(VALU_DEP_1) | instskip(SKIP_2) | instid1(VALU_DEP_1)
	v_mad_co_u64_u32 v[1:2], null, v2, s2, v[1:2]
	s_mov_b32 s2, exec_lo
	v_lshrrev_b32_e32 v1, 3, v1
	v_lshl_add_u32 v1, ttmp9, 5, v1
	s_wait_kmcnt 0x0
	s_delay_alu instid0(VALU_DEP_1)
	v_cmpx_gt_u32_e64 s3, v1
	s_cbranch_execz .LBB1661_6
; %bb.1:
	s_clause 0x1
	s_load_b64 s[2:3], s[0:1], 0x38
	s_load_b128 s[4:7], s[0:1], 0x40
	v_mov_b32_e32 v2, 0
	s_delay_alu instid0(VALU_DEP_1) | instskip(SKIP_1) | instid1(VALU_DEP_1)
	v_lshlrev_b64_e32 v[1:2], 2, v[1:2]
	s_wait_kmcnt 0x0
	v_sub_co_u32 v1, vcc_lo, s2, v1
	s_delay_alu instid0(VALU_DEP_1) | instskip(SKIP_4) | instid1(VALU_DEP_2)
	v_sub_co_ci_u32_e64 v2, null, s3, v2, vcc_lo
	global_load_b32 v1, v[1:2], off offset:-4
	s_wait_loadcnt 0x0
	v_add_nc_u32_e32 v2, s5, v1
	v_add_nc_u32_e32 v1, s7, v1
	v_mul_lo_u32 v8, v2, s4
	s_delay_alu instid0(VALU_DEP_2) | instskip(NEXT) | instid1(VALU_DEP_1)
	v_mul_lo_u32 v40, v1, s6
	v_cmp_gt_u32_e32 vcc_lo, v40, v8
	s_and_b32 exec_lo, exec_lo, vcc_lo
	s_cbranch_execz .LBB1661_6
; %bb.2:
	s_clause 0x3
	s_load_b32 s2, s[0:1], 0x30
	s_load_b128 s[24:27], s[0:1], 0x20
	s_load_b256 s[16:23], s[0:1], 0x0
	s_load_b64 s[28:29], s[0:1], 0x50
	s_add_nc_u64 s[14:15], s[0:1], 0x58
	s_wait_kmcnt 0x0
	s_bitcmp0_b32 s2, 0
	s_mov_b32 s2, -1
	s_cbranch_scc0 .LBB1661_4
; %bb.3:
	s_mov_b64 s[0:1], src_shared_base
	v_mov_b32_e32 v31, v0
	v_dual_mov_b32 v41, v0 :: v_dual_mov_b32 v2, s18
	v_dual_mov_b32 v0, s16 :: v_dual_mov_b32 v1, s17
	;; [unrolled: 1-line block ×6, first 2 shown]
	v_mov_b32_e32 v11, s29
	s_wait_alu 0xfffe
	v_mov_b32_e32 v13, s1
	s_getpc_b64 s[2:3]
	s_wait_alu 0xfffe
	s_sext_i32_i16 s3, s3
	s_add_co_u32 s2, s2, _ZN7rocprim17ROCPRIM_400000_NS6detail26segmented_warp_sort_helperINS1_20WarpSortHelperConfigILj8ELj4ELj256EEEblLi256ELb0EvE4sortIPKbPbPKlPlEEvT_T0_T1_T2_jjjjRNS5_12storage_typeE@rel32@lo+12
	s_wait_alu 0xfffe
	s_add_co_ci_u32 s3, s3, _ZN7rocprim17ROCPRIM_400000_NS6detail26segmented_warp_sort_helperINS1_20WarpSortHelperConfigILj8ELj4ELj256EEEblLi256ELb0EvE4sortIPKbPbPKlPlEEvT_T0_T1_T2_jjjjRNS5_12storage_typeE@rel32@hi+24
	s_mov_b64 s[8:9], s[14:15]
	s_wait_alu 0xfffe
	s_swappc_b64 s[30:31], s[2:3]
	v_mov_b32_e32 v0, v41
	s_mov_b32 s2, 0
.LBB1661_4:
	s_wait_alu 0xfffe
	s_and_not1_b32 vcc_lo, exec_lo, s2
	s_wait_alu 0xfffe
	s_cbranch_vccnz .LBB1661_6
; %bb.5:
	s_mov_b64 s[0:1], src_shared_base
	v_dual_mov_b32 v31, v0 :: v_dual_mov_b32 v0, s16
	v_dual_mov_b32 v1, s17 :: v_dual_mov_b32 v2, s20
	;; [unrolled: 1-line block ×6, first 2 shown]
	v_mov_b32_e32 v11, s29
	s_wait_alu 0xfffe
	v_mov_b32_e32 v13, s1
	s_getpc_b64 s[2:3]
	s_wait_alu 0xfffe
	s_sext_i32_i16 s3, s3
	s_add_co_u32 s2, s2, _ZN7rocprim17ROCPRIM_400000_NS6detail26segmented_warp_sort_helperINS1_20WarpSortHelperConfigILj8ELj4ELj256EEEblLi256ELb0EvE4sortIPKbPbPKlPlEEvT_T0_T1_T2_jjjjRNS5_12storage_typeE@rel32@lo+12
	s_wait_alu 0xfffe
	s_add_co_ci_u32 s3, s3, _ZN7rocprim17ROCPRIM_400000_NS6detail26segmented_warp_sort_helperINS1_20WarpSortHelperConfigILj8ELj4ELj256EEEblLi256ELb0EvE4sortIPKbPbPKlPlEEvT_T0_T1_T2_jjjjRNS5_12storage_typeE@rel32@hi+24
	s_mov_b64 s[8:9], s[14:15]
	s_wait_alu 0xfffe
	s_swappc_b64 s[30:31], s[2:3]
.LBB1661_6:
	s_endpgm
	.section	.rodata,"a",@progbits
	.p2align	6, 0x0
	.amdhsa_kernel _ZN7rocprim17ROCPRIM_400000_NS6detail17trampoline_kernelINS0_14default_configENS1_36segmented_radix_sort_config_selectorIblEEZNS1_25segmented_radix_sort_implIS3_Lb0EPKbPbPKlPlN2at6native12_GLOBAL__N_18offset_tEEE10hipError_tPvRmT1_PNSt15iterator_traitsISK_E10value_typeET2_T3_PNSL_ISQ_E10value_typeET4_jRbjT5_SW_jjP12ihipStream_tbEUlT_E1_NS1_11comp_targetILNS1_3genE10ELNS1_11target_archE1201ELNS1_3gpuE5ELNS1_3repE0EEENS1_59segmented_radix_sort_warp_sort_small_config_static_selectorELNS0_4arch9wavefront6targetE0EEEvSK_
		.amdhsa_group_segment_fixed_size 9216
		.amdhsa_private_segment_fixed_size 12
		.amdhsa_kernarg_size 344
		.amdhsa_user_sgpr_count 2
		.amdhsa_user_sgpr_dispatch_ptr 0
		.amdhsa_user_sgpr_queue_ptr 0
		.amdhsa_user_sgpr_kernarg_segment_ptr 1
		.amdhsa_user_sgpr_dispatch_id 0
		.amdhsa_user_sgpr_private_segment_size 0
		.amdhsa_wavefront_size32 1
		.amdhsa_uses_dynamic_stack 0
		.amdhsa_enable_private_segment 1
		.amdhsa_system_sgpr_workgroup_id_x 1
		.amdhsa_system_sgpr_workgroup_id_y 1
		.amdhsa_system_sgpr_workgroup_id_z 0
		.amdhsa_system_sgpr_workgroup_info 0
		.amdhsa_system_vgpr_workitem_id 2
		.amdhsa_next_free_vgpr 54
		.amdhsa_next_free_sgpr 33
		.amdhsa_reserve_vcc 1
		.amdhsa_float_round_mode_32 0
		.amdhsa_float_round_mode_16_64 0
		.amdhsa_float_denorm_mode_32 3
		.amdhsa_float_denorm_mode_16_64 3
		.amdhsa_fp16_overflow 0
		.amdhsa_workgroup_processor_mode 1
		.amdhsa_memory_ordered 1
		.amdhsa_forward_progress 1
		.amdhsa_inst_pref_size 5
		.amdhsa_round_robin_scheduling 0
		.amdhsa_exception_fp_ieee_invalid_op 0
		.amdhsa_exception_fp_denorm_src 0
		.amdhsa_exception_fp_ieee_div_zero 0
		.amdhsa_exception_fp_ieee_overflow 0
		.amdhsa_exception_fp_ieee_underflow 0
		.amdhsa_exception_fp_ieee_inexact 0
		.amdhsa_exception_int_div_zero 0
	.end_amdhsa_kernel
	.section	.text._ZN7rocprim17ROCPRIM_400000_NS6detail17trampoline_kernelINS0_14default_configENS1_36segmented_radix_sort_config_selectorIblEEZNS1_25segmented_radix_sort_implIS3_Lb0EPKbPbPKlPlN2at6native12_GLOBAL__N_18offset_tEEE10hipError_tPvRmT1_PNSt15iterator_traitsISK_E10value_typeET2_T3_PNSL_ISQ_E10value_typeET4_jRbjT5_SW_jjP12ihipStream_tbEUlT_E1_NS1_11comp_targetILNS1_3genE10ELNS1_11target_archE1201ELNS1_3gpuE5ELNS1_3repE0EEENS1_59segmented_radix_sort_warp_sort_small_config_static_selectorELNS0_4arch9wavefront6targetE0EEEvSK_,"axG",@progbits,_ZN7rocprim17ROCPRIM_400000_NS6detail17trampoline_kernelINS0_14default_configENS1_36segmented_radix_sort_config_selectorIblEEZNS1_25segmented_radix_sort_implIS3_Lb0EPKbPbPKlPlN2at6native12_GLOBAL__N_18offset_tEEE10hipError_tPvRmT1_PNSt15iterator_traitsISK_E10value_typeET2_T3_PNSL_ISQ_E10value_typeET4_jRbjT5_SW_jjP12ihipStream_tbEUlT_E1_NS1_11comp_targetILNS1_3genE10ELNS1_11target_archE1201ELNS1_3gpuE5ELNS1_3repE0EEENS1_59segmented_radix_sort_warp_sort_small_config_static_selectorELNS0_4arch9wavefront6targetE0EEEvSK_,comdat
.Lfunc_end1661:
	.size	_ZN7rocprim17ROCPRIM_400000_NS6detail17trampoline_kernelINS0_14default_configENS1_36segmented_radix_sort_config_selectorIblEEZNS1_25segmented_radix_sort_implIS3_Lb0EPKbPbPKlPlN2at6native12_GLOBAL__N_18offset_tEEE10hipError_tPvRmT1_PNSt15iterator_traitsISK_E10value_typeET2_T3_PNSL_ISQ_E10value_typeET4_jRbjT5_SW_jjP12ihipStream_tbEUlT_E1_NS1_11comp_targetILNS1_3genE10ELNS1_11target_archE1201ELNS1_3gpuE5ELNS1_3repE0EEENS1_59segmented_radix_sort_warp_sort_small_config_static_selectorELNS0_4arch9wavefront6targetE0EEEvSK_, .Lfunc_end1661-_ZN7rocprim17ROCPRIM_400000_NS6detail17trampoline_kernelINS0_14default_configENS1_36segmented_radix_sort_config_selectorIblEEZNS1_25segmented_radix_sort_implIS3_Lb0EPKbPbPKlPlN2at6native12_GLOBAL__N_18offset_tEEE10hipError_tPvRmT1_PNSt15iterator_traitsISK_E10value_typeET2_T3_PNSL_ISQ_E10value_typeET4_jRbjT5_SW_jjP12ihipStream_tbEUlT_E1_NS1_11comp_targetILNS1_3genE10ELNS1_11target_archE1201ELNS1_3gpuE5ELNS1_3repE0EEENS1_59segmented_radix_sort_warp_sort_small_config_static_selectorELNS0_4arch9wavefront6targetE0EEEvSK_
                                        ; -- End function
	.set _ZN7rocprim17ROCPRIM_400000_NS6detail17trampoline_kernelINS0_14default_configENS1_36segmented_radix_sort_config_selectorIblEEZNS1_25segmented_radix_sort_implIS3_Lb0EPKbPbPKlPlN2at6native12_GLOBAL__N_18offset_tEEE10hipError_tPvRmT1_PNSt15iterator_traitsISK_E10value_typeET2_T3_PNSL_ISQ_E10value_typeET4_jRbjT5_SW_jjP12ihipStream_tbEUlT_E1_NS1_11comp_targetILNS1_3genE10ELNS1_11target_archE1201ELNS1_3gpuE5ELNS1_3repE0EEENS1_59segmented_radix_sort_warp_sort_small_config_static_selectorELNS0_4arch9wavefront6targetE0EEEvSK_.num_vgpr, max(42, .L_ZN7rocprim17ROCPRIM_400000_NS6detail26segmented_warp_sort_helperINS1_20WarpSortHelperConfigILj8ELj4ELj256EEEblLi256ELb0EvE4sortIPKbPbPKlPlEEvT_T0_T1_T2_jjjjRNS5_12storage_typeE.num_vgpr)
	.set _ZN7rocprim17ROCPRIM_400000_NS6detail17trampoline_kernelINS0_14default_configENS1_36segmented_radix_sort_config_selectorIblEEZNS1_25segmented_radix_sort_implIS3_Lb0EPKbPbPKlPlN2at6native12_GLOBAL__N_18offset_tEEE10hipError_tPvRmT1_PNSt15iterator_traitsISK_E10value_typeET2_T3_PNSL_ISQ_E10value_typeET4_jRbjT5_SW_jjP12ihipStream_tbEUlT_E1_NS1_11comp_targetILNS1_3genE10ELNS1_11target_archE1201ELNS1_3gpuE5ELNS1_3repE0EEENS1_59segmented_radix_sort_warp_sort_small_config_static_selectorELNS0_4arch9wavefront6targetE0EEEvSK_.num_agpr, max(0, .L_ZN7rocprim17ROCPRIM_400000_NS6detail26segmented_warp_sort_helperINS1_20WarpSortHelperConfigILj8ELj4ELj256EEEblLi256ELb0EvE4sortIPKbPbPKlPlEEvT_T0_T1_T2_jjjjRNS5_12storage_typeE.num_agpr)
	.set _ZN7rocprim17ROCPRIM_400000_NS6detail17trampoline_kernelINS0_14default_configENS1_36segmented_radix_sort_config_selectorIblEEZNS1_25segmented_radix_sort_implIS3_Lb0EPKbPbPKlPlN2at6native12_GLOBAL__N_18offset_tEEE10hipError_tPvRmT1_PNSt15iterator_traitsISK_E10value_typeET2_T3_PNSL_ISQ_E10value_typeET4_jRbjT5_SW_jjP12ihipStream_tbEUlT_E1_NS1_11comp_targetILNS1_3genE10ELNS1_11target_archE1201ELNS1_3gpuE5ELNS1_3repE0EEENS1_59segmented_radix_sort_warp_sort_small_config_static_selectorELNS0_4arch9wavefront6targetE0EEEvSK_.numbered_sgpr, max(33, .L_ZN7rocprim17ROCPRIM_400000_NS6detail26segmented_warp_sort_helperINS1_20WarpSortHelperConfigILj8ELj4ELj256EEEblLi256ELb0EvE4sortIPKbPbPKlPlEEvT_T0_T1_T2_jjjjRNS5_12storage_typeE.numbered_sgpr)
	.set _ZN7rocprim17ROCPRIM_400000_NS6detail17trampoline_kernelINS0_14default_configENS1_36segmented_radix_sort_config_selectorIblEEZNS1_25segmented_radix_sort_implIS3_Lb0EPKbPbPKlPlN2at6native12_GLOBAL__N_18offset_tEEE10hipError_tPvRmT1_PNSt15iterator_traitsISK_E10value_typeET2_T3_PNSL_ISQ_E10value_typeET4_jRbjT5_SW_jjP12ihipStream_tbEUlT_E1_NS1_11comp_targetILNS1_3genE10ELNS1_11target_archE1201ELNS1_3gpuE5ELNS1_3repE0EEENS1_59segmented_radix_sort_warp_sort_small_config_static_selectorELNS0_4arch9wavefront6targetE0EEEvSK_.num_named_barrier, max(0, .L_ZN7rocprim17ROCPRIM_400000_NS6detail26segmented_warp_sort_helperINS1_20WarpSortHelperConfigILj8ELj4ELj256EEEblLi256ELb0EvE4sortIPKbPbPKlPlEEvT_T0_T1_T2_jjjjRNS5_12storage_typeE.num_named_barrier)
	.set _ZN7rocprim17ROCPRIM_400000_NS6detail17trampoline_kernelINS0_14default_configENS1_36segmented_radix_sort_config_selectorIblEEZNS1_25segmented_radix_sort_implIS3_Lb0EPKbPbPKlPlN2at6native12_GLOBAL__N_18offset_tEEE10hipError_tPvRmT1_PNSt15iterator_traitsISK_E10value_typeET2_T3_PNSL_ISQ_E10value_typeET4_jRbjT5_SW_jjP12ihipStream_tbEUlT_E1_NS1_11comp_targetILNS1_3genE10ELNS1_11target_archE1201ELNS1_3gpuE5ELNS1_3repE0EEENS1_59segmented_radix_sort_warp_sort_small_config_static_selectorELNS0_4arch9wavefront6targetE0EEEvSK_.private_seg_size, 0+max(.L_ZN7rocprim17ROCPRIM_400000_NS6detail26segmented_warp_sort_helperINS1_20WarpSortHelperConfigILj8ELj4ELj256EEEblLi256ELb0EvE4sortIPKbPbPKlPlEEvT_T0_T1_T2_jjjjRNS5_12storage_typeE.private_seg_size)
	.set _ZN7rocprim17ROCPRIM_400000_NS6detail17trampoline_kernelINS0_14default_configENS1_36segmented_radix_sort_config_selectorIblEEZNS1_25segmented_radix_sort_implIS3_Lb0EPKbPbPKlPlN2at6native12_GLOBAL__N_18offset_tEEE10hipError_tPvRmT1_PNSt15iterator_traitsISK_E10value_typeET2_T3_PNSL_ISQ_E10value_typeET4_jRbjT5_SW_jjP12ihipStream_tbEUlT_E1_NS1_11comp_targetILNS1_3genE10ELNS1_11target_archE1201ELNS1_3gpuE5ELNS1_3repE0EEENS1_59segmented_radix_sort_warp_sort_small_config_static_selectorELNS0_4arch9wavefront6targetE0EEEvSK_.uses_vcc, or(1, .L_ZN7rocprim17ROCPRIM_400000_NS6detail26segmented_warp_sort_helperINS1_20WarpSortHelperConfigILj8ELj4ELj256EEEblLi256ELb0EvE4sortIPKbPbPKlPlEEvT_T0_T1_T2_jjjjRNS5_12storage_typeE.uses_vcc)
	.set _ZN7rocprim17ROCPRIM_400000_NS6detail17trampoline_kernelINS0_14default_configENS1_36segmented_radix_sort_config_selectorIblEEZNS1_25segmented_radix_sort_implIS3_Lb0EPKbPbPKlPlN2at6native12_GLOBAL__N_18offset_tEEE10hipError_tPvRmT1_PNSt15iterator_traitsISK_E10value_typeET2_T3_PNSL_ISQ_E10value_typeET4_jRbjT5_SW_jjP12ihipStream_tbEUlT_E1_NS1_11comp_targetILNS1_3genE10ELNS1_11target_archE1201ELNS1_3gpuE5ELNS1_3repE0EEENS1_59segmented_radix_sort_warp_sort_small_config_static_selectorELNS0_4arch9wavefront6targetE0EEEvSK_.uses_flat_scratch, or(0, .L_ZN7rocprim17ROCPRIM_400000_NS6detail26segmented_warp_sort_helperINS1_20WarpSortHelperConfigILj8ELj4ELj256EEEblLi256ELb0EvE4sortIPKbPbPKlPlEEvT_T0_T1_T2_jjjjRNS5_12storage_typeE.uses_flat_scratch)
	.set _ZN7rocprim17ROCPRIM_400000_NS6detail17trampoline_kernelINS0_14default_configENS1_36segmented_radix_sort_config_selectorIblEEZNS1_25segmented_radix_sort_implIS3_Lb0EPKbPbPKlPlN2at6native12_GLOBAL__N_18offset_tEEE10hipError_tPvRmT1_PNSt15iterator_traitsISK_E10value_typeET2_T3_PNSL_ISQ_E10value_typeET4_jRbjT5_SW_jjP12ihipStream_tbEUlT_E1_NS1_11comp_targetILNS1_3genE10ELNS1_11target_archE1201ELNS1_3gpuE5ELNS1_3repE0EEENS1_59segmented_radix_sort_warp_sort_small_config_static_selectorELNS0_4arch9wavefront6targetE0EEEvSK_.has_dyn_sized_stack, or(0, .L_ZN7rocprim17ROCPRIM_400000_NS6detail26segmented_warp_sort_helperINS1_20WarpSortHelperConfigILj8ELj4ELj256EEEblLi256ELb0EvE4sortIPKbPbPKlPlEEvT_T0_T1_T2_jjjjRNS5_12storage_typeE.has_dyn_sized_stack)
	.set _ZN7rocprim17ROCPRIM_400000_NS6detail17trampoline_kernelINS0_14default_configENS1_36segmented_radix_sort_config_selectorIblEEZNS1_25segmented_radix_sort_implIS3_Lb0EPKbPbPKlPlN2at6native12_GLOBAL__N_18offset_tEEE10hipError_tPvRmT1_PNSt15iterator_traitsISK_E10value_typeET2_T3_PNSL_ISQ_E10value_typeET4_jRbjT5_SW_jjP12ihipStream_tbEUlT_E1_NS1_11comp_targetILNS1_3genE10ELNS1_11target_archE1201ELNS1_3gpuE5ELNS1_3repE0EEENS1_59segmented_radix_sort_warp_sort_small_config_static_selectorELNS0_4arch9wavefront6targetE0EEEvSK_.has_recursion, or(0, .L_ZN7rocprim17ROCPRIM_400000_NS6detail26segmented_warp_sort_helperINS1_20WarpSortHelperConfigILj8ELj4ELj256EEEblLi256ELb0EvE4sortIPKbPbPKlPlEEvT_T0_T1_T2_jjjjRNS5_12storage_typeE.has_recursion)
	.set _ZN7rocprim17ROCPRIM_400000_NS6detail17trampoline_kernelINS0_14default_configENS1_36segmented_radix_sort_config_selectorIblEEZNS1_25segmented_radix_sort_implIS3_Lb0EPKbPbPKlPlN2at6native12_GLOBAL__N_18offset_tEEE10hipError_tPvRmT1_PNSt15iterator_traitsISK_E10value_typeET2_T3_PNSL_ISQ_E10value_typeET4_jRbjT5_SW_jjP12ihipStream_tbEUlT_E1_NS1_11comp_targetILNS1_3genE10ELNS1_11target_archE1201ELNS1_3gpuE5ELNS1_3repE0EEENS1_59segmented_radix_sort_warp_sort_small_config_static_selectorELNS0_4arch9wavefront6targetE0EEEvSK_.has_indirect_call, or(0, .L_ZN7rocprim17ROCPRIM_400000_NS6detail26segmented_warp_sort_helperINS1_20WarpSortHelperConfigILj8ELj4ELj256EEEblLi256ELb0EvE4sortIPKbPbPKlPlEEvT_T0_T1_T2_jjjjRNS5_12storage_typeE.has_indirect_call)
	.section	.AMDGPU.csdata,"",@progbits
; Kernel info:
; codeLenInByte = 536
; TotalNumSgprs: 35
; NumVgprs: 54
; ScratchSize: 12
; MemoryBound: 0
; FloatMode: 240
; IeeeMode: 1
; LDSByteSize: 9216 bytes/workgroup (compile time only)
; SGPRBlocks: 0
; VGPRBlocks: 6
; NumSGPRsForWavesPerEU: 35
; NumVGPRsForWavesPerEU: 54
; Occupancy: 16
; WaveLimiterHint : 0
; COMPUTE_PGM_RSRC2:SCRATCH_EN: 1
; COMPUTE_PGM_RSRC2:USER_SGPR: 2
; COMPUTE_PGM_RSRC2:TRAP_HANDLER: 0
; COMPUTE_PGM_RSRC2:TGID_X_EN: 1
; COMPUTE_PGM_RSRC2:TGID_Y_EN: 1
; COMPUTE_PGM_RSRC2:TGID_Z_EN: 0
; COMPUTE_PGM_RSRC2:TIDIG_COMP_CNT: 2
	.section	.text._ZN7rocprim17ROCPRIM_400000_NS6detail17trampoline_kernelINS0_14default_configENS1_36segmented_radix_sort_config_selectorIblEEZNS1_25segmented_radix_sort_implIS3_Lb0EPKbPbPKlPlN2at6native12_GLOBAL__N_18offset_tEEE10hipError_tPvRmT1_PNSt15iterator_traitsISK_E10value_typeET2_T3_PNSL_ISQ_E10value_typeET4_jRbjT5_SW_jjP12ihipStream_tbEUlT_E1_NS1_11comp_targetILNS1_3genE10ELNS1_11target_archE1200ELNS1_3gpuE4ELNS1_3repE0EEENS1_59segmented_radix_sort_warp_sort_small_config_static_selectorELNS0_4arch9wavefront6targetE0EEEvSK_,"axG",@progbits,_ZN7rocprim17ROCPRIM_400000_NS6detail17trampoline_kernelINS0_14default_configENS1_36segmented_radix_sort_config_selectorIblEEZNS1_25segmented_radix_sort_implIS3_Lb0EPKbPbPKlPlN2at6native12_GLOBAL__N_18offset_tEEE10hipError_tPvRmT1_PNSt15iterator_traitsISK_E10value_typeET2_T3_PNSL_ISQ_E10value_typeET4_jRbjT5_SW_jjP12ihipStream_tbEUlT_E1_NS1_11comp_targetILNS1_3genE10ELNS1_11target_archE1200ELNS1_3gpuE4ELNS1_3repE0EEENS1_59segmented_radix_sort_warp_sort_small_config_static_selectorELNS0_4arch9wavefront6targetE0EEEvSK_,comdat
	.globl	_ZN7rocprim17ROCPRIM_400000_NS6detail17trampoline_kernelINS0_14default_configENS1_36segmented_radix_sort_config_selectorIblEEZNS1_25segmented_radix_sort_implIS3_Lb0EPKbPbPKlPlN2at6native12_GLOBAL__N_18offset_tEEE10hipError_tPvRmT1_PNSt15iterator_traitsISK_E10value_typeET2_T3_PNSL_ISQ_E10value_typeET4_jRbjT5_SW_jjP12ihipStream_tbEUlT_E1_NS1_11comp_targetILNS1_3genE10ELNS1_11target_archE1200ELNS1_3gpuE4ELNS1_3repE0EEENS1_59segmented_radix_sort_warp_sort_small_config_static_selectorELNS0_4arch9wavefront6targetE0EEEvSK_ ; -- Begin function _ZN7rocprim17ROCPRIM_400000_NS6detail17trampoline_kernelINS0_14default_configENS1_36segmented_radix_sort_config_selectorIblEEZNS1_25segmented_radix_sort_implIS3_Lb0EPKbPbPKlPlN2at6native12_GLOBAL__N_18offset_tEEE10hipError_tPvRmT1_PNSt15iterator_traitsISK_E10value_typeET2_T3_PNSL_ISQ_E10value_typeET4_jRbjT5_SW_jjP12ihipStream_tbEUlT_E1_NS1_11comp_targetILNS1_3genE10ELNS1_11target_archE1200ELNS1_3gpuE4ELNS1_3repE0EEENS1_59segmented_radix_sort_warp_sort_small_config_static_selectorELNS0_4arch9wavefront6targetE0EEEvSK_
	.p2align	8
	.type	_ZN7rocprim17ROCPRIM_400000_NS6detail17trampoline_kernelINS0_14default_configENS1_36segmented_radix_sort_config_selectorIblEEZNS1_25segmented_radix_sort_implIS3_Lb0EPKbPbPKlPlN2at6native12_GLOBAL__N_18offset_tEEE10hipError_tPvRmT1_PNSt15iterator_traitsISK_E10value_typeET2_T3_PNSL_ISQ_E10value_typeET4_jRbjT5_SW_jjP12ihipStream_tbEUlT_E1_NS1_11comp_targetILNS1_3genE10ELNS1_11target_archE1200ELNS1_3gpuE4ELNS1_3repE0EEENS1_59segmented_radix_sort_warp_sort_small_config_static_selectorELNS0_4arch9wavefront6targetE0EEEvSK_,@function
_ZN7rocprim17ROCPRIM_400000_NS6detail17trampoline_kernelINS0_14default_configENS1_36segmented_radix_sort_config_selectorIblEEZNS1_25segmented_radix_sort_implIS3_Lb0EPKbPbPKlPlN2at6native12_GLOBAL__N_18offset_tEEE10hipError_tPvRmT1_PNSt15iterator_traitsISK_E10value_typeET2_T3_PNSL_ISQ_E10value_typeET4_jRbjT5_SW_jjP12ihipStream_tbEUlT_E1_NS1_11comp_targetILNS1_3genE10ELNS1_11target_archE1200ELNS1_3gpuE4ELNS1_3repE0EEENS1_59segmented_radix_sort_warp_sort_small_config_static_selectorELNS0_4arch9wavefront6targetE0EEEvSK_: ; @_ZN7rocprim17ROCPRIM_400000_NS6detail17trampoline_kernelINS0_14default_configENS1_36segmented_radix_sort_config_selectorIblEEZNS1_25segmented_radix_sort_implIS3_Lb0EPKbPbPKlPlN2at6native12_GLOBAL__N_18offset_tEEE10hipError_tPvRmT1_PNSt15iterator_traitsISK_E10value_typeET2_T3_PNSL_ISQ_E10value_typeET4_jRbjT5_SW_jjP12ihipStream_tbEUlT_E1_NS1_11comp_targetILNS1_3genE10ELNS1_11target_archE1200ELNS1_3gpuE4ELNS1_3repE0EEENS1_59segmented_radix_sort_warp_sort_small_config_static_selectorELNS0_4arch9wavefront6targetE0EEEvSK_
; %bb.0:
	.section	.rodata,"a",@progbits
	.p2align	6, 0x0
	.amdhsa_kernel _ZN7rocprim17ROCPRIM_400000_NS6detail17trampoline_kernelINS0_14default_configENS1_36segmented_radix_sort_config_selectorIblEEZNS1_25segmented_radix_sort_implIS3_Lb0EPKbPbPKlPlN2at6native12_GLOBAL__N_18offset_tEEE10hipError_tPvRmT1_PNSt15iterator_traitsISK_E10value_typeET2_T3_PNSL_ISQ_E10value_typeET4_jRbjT5_SW_jjP12ihipStream_tbEUlT_E1_NS1_11comp_targetILNS1_3genE10ELNS1_11target_archE1200ELNS1_3gpuE4ELNS1_3repE0EEENS1_59segmented_radix_sort_warp_sort_small_config_static_selectorELNS0_4arch9wavefront6targetE0EEEvSK_
		.amdhsa_group_segment_fixed_size 0
		.amdhsa_private_segment_fixed_size 0
		.amdhsa_kernarg_size 88
		.amdhsa_user_sgpr_count 2
		.amdhsa_user_sgpr_dispatch_ptr 0
		.amdhsa_user_sgpr_queue_ptr 0
		.amdhsa_user_sgpr_kernarg_segment_ptr 1
		.amdhsa_user_sgpr_dispatch_id 0
		.amdhsa_user_sgpr_private_segment_size 0
		.amdhsa_wavefront_size32 1
		.amdhsa_uses_dynamic_stack 0
		.amdhsa_enable_private_segment 0
		.amdhsa_system_sgpr_workgroup_id_x 1
		.amdhsa_system_sgpr_workgroup_id_y 0
		.amdhsa_system_sgpr_workgroup_id_z 0
		.amdhsa_system_sgpr_workgroup_info 0
		.amdhsa_system_vgpr_workitem_id 0
		.amdhsa_next_free_vgpr 1
		.amdhsa_next_free_sgpr 1
		.amdhsa_reserve_vcc 0
		.amdhsa_float_round_mode_32 0
		.amdhsa_float_round_mode_16_64 0
		.amdhsa_float_denorm_mode_32 3
		.amdhsa_float_denorm_mode_16_64 3
		.amdhsa_fp16_overflow 0
		.amdhsa_workgroup_processor_mode 1
		.amdhsa_memory_ordered 1
		.amdhsa_forward_progress 1
		.amdhsa_inst_pref_size 0
		.amdhsa_round_robin_scheduling 0
		.amdhsa_exception_fp_ieee_invalid_op 0
		.amdhsa_exception_fp_denorm_src 0
		.amdhsa_exception_fp_ieee_div_zero 0
		.amdhsa_exception_fp_ieee_overflow 0
		.amdhsa_exception_fp_ieee_underflow 0
		.amdhsa_exception_fp_ieee_inexact 0
		.amdhsa_exception_int_div_zero 0
	.end_amdhsa_kernel
	.section	.text._ZN7rocprim17ROCPRIM_400000_NS6detail17trampoline_kernelINS0_14default_configENS1_36segmented_radix_sort_config_selectorIblEEZNS1_25segmented_radix_sort_implIS3_Lb0EPKbPbPKlPlN2at6native12_GLOBAL__N_18offset_tEEE10hipError_tPvRmT1_PNSt15iterator_traitsISK_E10value_typeET2_T3_PNSL_ISQ_E10value_typeET4_jRbjT5_SW_jjP12ihipStream_tbEUlT_E1_NS1_11comp_targetILNS1_3genE10ELNS1_11target_archE1200ELNS1_3gpuE4ELNS1_3repE0EEENS1_59segmented_radix_sort_warp_sort_small_config_static_selectorELNS0_4arch9wavefront6targetE0EEEvSK_,"axG",@progbits,_ZN7rocprim17ROCPRIM_400000_NS6detail17trampoline_kernelINS0_14default_configENS1_36segmented_radix_sort_config_selectorIblEEZNS1_25segmented_radix_sort_implIS3_Lb0EPKbPbPKlPlN2at6native12_GLOBAL__N_18offset_tEEE10hipError_tPvRmT1_PNSt15iterator_traitsISK_E10value_typeET2_T3_PNSL_ISQ_E10value_typeET4_jRbjT5_SW_jjP12ihipStream_tbEUlT_E1_NS1_11comp_targetILNS1_3genE10ELNS1_11target_archE1200ELNS1_3gpuE4ELNS1_3repE0EEENS1_59segmented_radix_sort_warp_sort_small_config_static_selectorELNS0_4arch9wavefront6targetE0EEEvSK_,comdat
.Lfunc_end1662:
	.size	_ZN7rocprim17ROCPRIM_400000_NS6detail17trampoline_kernelINS0_14default_configENS1_36segmented_radix_sort_config_selectorIblEEZNS1_25segmented_radix_sort_implIS3_Lb0EPKbPbPKlPlN2at6native12_GLOBAL__N_18offset_tEEE10hipError_tPvRmT1_PNSt15iterator_traitsISK_E10value_typeET2_T3_PNSL_ISQ_E10value_typeET4_jRbjT5_SW_jjP12ihipStream_tbEUlT_E1_NS1_11comp_targetILNS1_3genE10ELNS1_11target_archE1200ELNS1_3gpuE4ELNS1_3repE0EEENS1_59segmented_radix_sort_warp_sort_small_config_static_selectorELNS0_4arch9wavefront6targetE0EEEvSK_, .Lfunc_end1662-_ZN7rocprim17ROCPRIM_400000_NS6detail17trampoline_kernelINS0_14default_configENS1_36segmented_radix_sort_config_selectorIblEEZNS1_25segmented_radix_sort_implIS3_Lb0EPKbPbPKlPlN2at6native12_GLOBAL__N_18offset_tEEE10hipError_tPvRmT1_PNSt15iterator_traitsISK_E10value_typeET2_T3_PNSL_ISQ_E10value_typeET4_jRbjT5_SW_jjP12ihipStream_tbEUlT_E1_NS1_11comp_targetILNS1_3genE10ELNS1_11target_archE1200ELNS1_3gpuE4ELNS1_3repE0EEENS1_59segmented_radix_sort_warp_sort_small_config_static_selectorELNS0_4arch9wavefront6targetE0EEEvSK_
                                        ; -- End function
	.set _ZN7rocprim17ROCPRIM_400000_NS6detail17trampoline_kernelINS0_14default_configENS1_36segmented_radix_sort_config_selectorIblEEZNS1_25segmented_radix_sort_implIS3_Lb0EPKbPbPKlPlN2at6native12_GLOBAL__N_18offset_tEEE10hipError_tPvRmT1_PNSt15iterator_traitsISK_E10value_typeET2_T3_PNSL_ISQ_E10value_typeET4_jRbjT5_SW_jjP12ihipStream_tbEUlT_E1_NS1_11comp_targetILNS1_3genE10ELNS1_11target_archE1200ELNS1_3gpuE4ELNS1_3repE0EEENS1_59segmented_radix_sort_warp_sort_small_config_static_selectorELNS0_4arch9wavefront6targetE0EEEvSK_.num_vgpr, 0
	.set _ZN7rocprim17ROCPRIM_400000_NS6detail17trampoline_kernelINS0_14default_configENS1_36segmented_radix_sort_config_selectorIblEEZNS1_25segmented_radix_sort_implIS3_Lb0EPKbPbPKlPlN2at6native12_GLOBAL__N_18offset_tEEE10hipError_tPvRmT1_PNSt15iterator_traitsISK_E10value_typeET2_T3_PNSL_ISQ_E10value_typeET4_jRbjT5_SW_jjP12ihipStream_tbEUlT_E1_NS1_11comp_targetILNS1_3genE10ELNS1_11target_archE1200ELNS1_3gpuE4ELNS1_3repE0EEENS1_59segmented_radix_sort_warp_sort_small_config_static_selectorELNS0_4arch9wavefront6targetE0EEEvSK_.num_agpr, 0
	.set _ZN7rocprim17ROCPRIM_400000_NS6detail17trampoline_kernelINS0_14default_configENS1_36segmented_radix_sort_config_selectorIblEEZNS1_25segmented_radix_sort_implIS3_Lb0EPKbPbPKlPlN2at6native12_GLOBAL__N_18offset_tEEE10hipError_tPvRmT1_PNSt15iterator_traitsISK_E10value_typeET2_T3_PNSL_ISQ_E10value_typeET4_jRbjT5_SW_jjP12ihipStream_tbEUlT_E1_NS1_11comp_targetILNS1_3genE10ELNS1_11target_archE1200ELNS1_3gpuE4ELNS1_3repE0EEENS1_59segmented_radix_sort_warp_sort_small_config_static_selectorELNS0_4arch9wavefront6targetE0EEEvSK_.numbered_sgpr, 0
	.set _ZN7rocprim17ROCPRIM_400000_NS6detail17trampoline_kernelINS0_14default_configENS1_36segmented_radix_sort_config_selectorIblEEZNS1_25segmented_radix_sort_implIS3_Lb0EPKbPbPKlPlN2at6native12_GLOBAL__N_18offset_tEEE10hipError_tPvRmT1_PNSt15iterator_traitsISK_E10value_typeET2_T3_PNSL_ISQ_E10value_typeET4_jRbjT5_SW_jjP12ihipStream_tbEUlT_E1_NS1_11comp_targetILNS1_3genE10ELNS1_11target_archE1200ELNS1_3gpuE4ELNS1_3repE0EEENS1_59segmented_radix_sort_warp_sort_small_config_static_selectorELNS0_4arch9wavefront6targetE0EEEvSK_.num_named_barrier, 0
	.set _ZN7rocprim17ROCPRIM_400000_NS6detail17trampoline_kernelINS0_14default_configENS1_36segmented_radix_sort_config_selectorIblEEZNS1_25segmented_radix_sort_implIS3_Lb0EPKbPbPKlPlN2at6native12_GLOBAL__N_18offset_tEEE10hipError_tPvRmT1_PNSt15iterator_traitsISK_E10value_typeET2_T3_PNSL_ISQ_E10value_typeET4_jRbjT5_SW_jjP12ihipStream_tbEUlT_E1_NS1_11comp_targetILNS1_3genE10ELNS1_11target_archE1200ELNS1_3gpuE4ELNS1_3repE0EEENS1_59segmented_radix_sort_warp_sort_small_config_static_selectorELNS0_4arch9wavefront6targetE0EEEvSK_.private_seg_size, 0
	.set _ZN7rocprim17ROCPRIM_400000_NS6detail17trampoline_kernelINS0_14default_configENS1_36segmented_radix_sort_config_selectorIblEEZNS1_25segmented_radix_sort_implIS3_Lb0EPKbPbPKlPlN2at6native12_GLOBAL__N_18offset_tEEE10hipError_tPvRmT1_PNSt15iterator_traitsISK_E10value_typeET2_T3_PNSL_ISQ_E10value_typeET4_jRbjT5_SW_jjP12ihipStream_tbEUlT_E1_NS1_11comp_targetILNS1_3genE10ELNS1_11target_archE1200ELNS1_3gpuE4ELNS1_3repE0EEENS1_59segmented_radix_sort_warp_sort_small_config_static_selectorELNS0_4arch9wavefront6targetE0EEEvSK_.uses_vcc, 0
	.set _ZN7rocprim17ROCPRIM_400000_NS6detail17trampoline_kernelINS0_14default_configENS1_36segmented_radix_sort_config_selectorIblEEZNS1_25segmented_radix_sort_implIS3_Lb0EPKbPbPKlPlN2at6native12_GLOBAL__N_18offset_tEEE10hipError_tPvRmT1_PNSt15iterator_traitsISK_E10value_typeET2_T3_PNSL_ISQ_E10value_typeET4_jRbjT5_SW_jjP12ihipStream_tbEUlT_E1_NS1_11comp_targetILNS1_3genE10ELNS1_11target_archE1200ELNS1_3gpuE4ELNS1_3repE0EEENS1_59segmented_radix_sort_warp_sort_small_config_static_selectorELNS0_4arch9wavefront6targetE0EEEvSK_.uses_flat_scratch, 0
	.set _ZN7rocprim17ROCPRIM_400000_NS6detail17trampoline_kernelINS0_14default_configENS1_36segmented_radix_sort_config_selectorIblEEZNS1_25segmented_radix_sort_implIS3_Lb0EPKbPbPKlPlN2at6native12_GLOBAL__N_18offset_tEEE10hipError_tPvRmT1_PNSt15iterator_traitsISK_E10value_typeET2_T3_PNSL_ISQ_E10value_typeET4_jRbjT5_SW_jjP12ihipStream_tbEUlT_E1_NS1_11comp_targetILNS1_3genE10ELNS1_11target_archE1200ELNS1_3gpuE4ELNS1_3repE0EEENS1_59segmented_radix_sort_warp_sort_small_config_static_selectorELNS0_4arch9wavefront6targetE0EEEvSK_.has_dyn_sized_stack, 0
	.set _ZN7rocprim17ROCPRIM_400000_NS6detail17trampoline_kernelINS0_14default_configENS1_36segmented_radix_sort_config_selectorIblEEZNS1_25segmented_radix_sort_implIS3_Lb0EPKbPbPKlPlN2at6native12_GLOBAL__N_18offset_tEEE10hipError_tPvRmT1_PNSt15iterator_traitsISK_E10value_typeET2_T3_PNSL_ISQ_E10value_typeET4_jRbjT5_SW_jjP12ihipStream_tbEUlT_E1_NS1_11comp_targetILNS1_3genE10ELNS1_11target_archE1200ELNS1_3gpuE4ELNS1_3repE0EEENS1_59segmented_radix_sort_warp_sort_small_config_static_selectorELNS0_4arch9wavefront6targetE0EEEvSK_.has_recursion, 0
	.set _ZN7rocprim17ROCPRIM_400000_NS6detail17trampoline_kernelINS0_14default_configENS1_36segmented_radix_sort_config_selectorIblEEZNS1_25segmented_radix_sort_implIS3_Lb0EPKbPbPKlPlN2at6native12_GLOBAL__N_18offset_tEEE10hipError_tPvRmT1_PNSt15iterator_traitsISK_E10value_typeET2_T3_PNSL_ISQ_E10value_typeET4_jRbjT5_SW_jjP12ihipStream_tbEUlT_E1_NS1_11comp_targetILNS1_3genE10ELNS1_11target_archE1200ELNS1_3gpuE4ELNS1_3repE0EEENS1_59segmented_radix_sort_warp_sort_small_config_static_selectorELNS0_4arch9wavefront6targetE0EEEvSK_.has_indirect_call, 0
	.section	.AMDGPU.csdata,"",@progbits
; Kernel info:
; codeLenInByte = 0
; TotalNumSgprs: 0
; NumVgprs: 0
; ScratchSize: 0
; MemoryBound: 0
; FloatMode: 240
; IeeeMode: 1
; LDSByteSize: 0 bytes/workgroup (compile time only)
; SGPRBlocks: 0
; VGPRBlocks: 0
; NumSGPRsForWavesPerEU: 1
; NumVGPRsForWavesPerEU: 1
; Occupancy: 16
; WaveLimiterHint : 0
; COMPUTE_PGM_RSRC2:SCRATCH_EN: 0
; COMPUTE_PGM_RSRC2:USER_SGPR: 2
; COMPUTE_PGM_RSRC2:TRAP_HANDLER: 0
; COMPUTE_PGM_RSRC2:TGID_X_EN: 1
; COMPUTE_PGM_RSRC2:TGID_Y_EN: 0
; COMPUTE_PGM_RSRC2:TGID_Z_EN: 0
; COMPUTE_PGM_RSRC2:TIDIG_COMP_CNT: 0
	.section	.text._ZN7rocprim17ROCPRIM_400000_NS6detail17trampoline_kernelINS0_14default_configENS1_36segmented_radix_sort_config_selectorIblEEZNS1_25segmented_radix_sort_implIS3_Lb0EPKbPbPKlPlN2at6native12_GLOBAL__N_18offset_tEEE10hipError_tPvRmT1_PNSt15iterator_traitsISK_E10value_typeET2_T3_PNSL_ISQ_E10value_typeET4_jRbjT5_SW_jjP12ihipStream_tbEUlT_E1_NS1_11comp_targetILNS1_3genE9ELNS1_11target_archE1100ELNS1_3gpuE3ELNS1_3repE0EEENS1_59segmented_radix_sort_warp_sort_small_config_static_selectorELNS0_4arch9wavefront6targetE0EEEvSK_,"axG",@progbits,_ZN7rocprim17ROCPRIM_400000_NS6detail17trampoline_kernelINS0_14default_configENS1_36segmented_radix_sort_config_selectorIblEEZNS1_25segmented_radix_sort_implIS3_Lb0EPKbPbPKlPlN2at6native12_GLOBAL__N_18offset_tEEE10hipError_tPvRmT1_PNSt15iterator_traitsISK_E10value_typeET2_T3_PNSL_ISQ_E10value_typeET4_jRbjT5_SW_jjP12ihipStream_tbEUlT_E1_NS1_11comp_targetILNS1_3genE9ELNS1_11target_archE1100ELNS1_3gpuE3ELNS1_3repE0EEENS1_59segmented_radix_sort_warp_sort_small_config_static_selectorELNS0_4arch9wavefront6targetE0EEEvSK_,comdat
	.globl	_ZN7rocprim17ROCPRIM_400000_NS6detail17trampoline_kernelINS0_14default_configENS1_36segmented_radix_sort_config_selectorIblEEZNS1_25segmented_radix_sort_implIS3_Lb0EPKbPbPKlPlN2at6native12_GLOBAL__N_18offset_tEEE10hipError_tPvRmT1_PNSt15iterator_traitsISK_E10value_typeET2_T3_PNSL_ISQ_E10value_typeET4_jRbjT5_SW_jjP12ihipStream_tbEUlT_E1_NS1_11comp_targetILNS1_3genE9ELNS1_11target_archE1100ELNS1_3gpuE3ELNS1_3repE0EEENS1_59segmented_radix_sort_warp_sort_small_config_static_selectorELNS0_4arch9wavefront6targetE0EEEvSK_ ; -- Begin function _ZN7rocprim17ROCPRIM_400000_NS6detail17trampoline_kernelINS0_14default_configENS1_36segmented_radix_sort_config_selectorIblEEZNS1_25segmented_radix_sort_implIS3_Lb0EPKbPbPKlPlN2at6native12_GLOBAL__N_18offset_tEEE10hipError_tPvRmT1_PNSt15iterator_traitsISK_E10value_typeET2_T3_PNSL_ISQ_E10value_typeET4_jRbjT5_SW_jjP12ihipStream_tbEUlT_E1_NS1_11comp_targetILNS1_3genE9ELNS1_11target_archE1100ELNS1_3gpuE3ELNS1_3repE0EEENS1_59segmented_radix_sort_warp_sort_small_config_static_selectorELNS0_4arch9wavefront6targetE0EEEvSK_
	.p2align	8
	.type	_ZN7rocprim17ROCPRIM_400000_NS6detail17trampoline_kernelINS0_14default_configENS1_36segmented_radix_sort_config_selectorIblEEZNS1_25segmented_radix_sort_implIS3_Lb0EPKbPbPKlPlN2at6native12_GLOBAL__N_18offset_tEEE10hipError_tPvRmT1_PNSt15iterator_traitsISK_E10value_typeET2_T3_PNSL_ISQ_E10value_typeET4_jRbjT5_SW_jjP12ihipStream_tbEUlT_E1_NS1_11comp_targetILNS1_3genE9ELNS1_11target_archE1100ELNS1_3gpuE3ELNS1_3repE0EEENS1_59segmented_radix_sort_warp_sort_small_config_static_selectorELNS0_4arch9wavefront6targetE0EEEvSK_,@function
_ZN7rocprim17ROCPRIM_400000_NS6detail17trampoline_kernelINS0_14default_configENS1_36segmented_radix_sort_config_selectorIblEEZNS1_25segmented_radix_sort_implIS3_Lb0EPKbPbPKlPlN2at6native12_GLOBAL__N_18offset_tEEE10hipError_tPvRmT1_PNSt15iterator_traitsISK_E10value_typeET2_T3_PNSL_ISQ_E10value_typeET4_jRbjT5_SW_jjP12ihipStream_tbEUlT_E1_NS1_11comp_targetILNS1_3genE9ELNS1_11target_archE1100ELNS1_3gpuE3ELNS1_3repE0EEENS1_59segmented_radix_sort_warp_sort_small_config_static_selectorELNS0_4arch9wavefront6targetE0EEEvSK_: ; @_ZN7rocprim17ROCPRIM_400000_NS6detail17trampoline_kernelINS0_14default_configENS1_36segmented_radix_sort_config_selectorIblEEZNS1_25segmented_radix_sort_implIS3_Lb0EPKbPbPKlPlN2at6native12_GLOBAL__N_18offset_tEEE10hipError_tPvRmT1_PNSt15iterator_traitsISK_E10value_typeET2_T3_PNSL_ISQ_E10value_typeET4_jRbjT5_SW_jjP12ihipStream_tbEUlT_E1_NS1_11comp_targetILNS1_3genE9ELNS1_11target_archE1100ELNS1_3gpuE3ELNS1_3repE0EEENS1_59segmented_radix_sort_warp_sort_small_config_static_selectorELNS0_4arch9wavefront6targetE0EEEvSK_
; %bb.0:
	.section	.rodata,"a",@progbits
	.p2align	6, 0x0
	.amdhsa_kernel _ZN7rocprim17ROCPRIM_400000_NS6detail17trampoline_kernelINS0_14default_configENS1_36segmented_radix_sort_config_selectorIblEEZNS1_25segmented_radix_sort_implIS3_Lb0EPKbPbPKlPlN2at6native12_GLOBAL__N_18offset_tEEE10hipError_tPvRmT1_PNSt15iterator_traitsISK_E10value_typeET2_T3_PNSL_ISQ_E10value_typeET4_jRbjT5_SW_jjP12ihipStream_tbEUlT_E1_NS1_11comp_targetILNS1_3genE9ELNS1_11target_archE1100ELNS1_3gpuE3ELNS1_3repE0EEENS1_59segmented_radix_sort_warp_sort_small_config_static_selectorELNS0_4arch9wavefront6targetE0EEEvSK_
		.amdhsa_group_segment_fixed_size 0
		.amdhsa_private_segment_fixed_size 0
		.amdhsa_kernarg_size 88
		.amdhsa_user_sgpr_count 2
		.amdhsa_user_sgpr_dispatch_ptr 0
		.amdhsa_user_sgpr_queue_ptr 0
		.amdhsa_user_sgpr_kernarg_segment_ptr 1
		.amdhsa_user_sgpr_dispatch_id 0
		.amdhsa_user_sgpr_private_segment_size 0
		.amdhsa_wavefront_size32 1
		.amdhsa_uses_dynamic_stack 0
		.amdhsa_enable_private_segment 0
		.amdhsa_system_sgpr_workgroup_id_x 1
		.amdhsa_system_sgpr_workgroup_id_y 0
		.amdhsa_system_sgpr_workgroup_id_z 0
		.amdhsa_system_sgpr_workgroup_info 0
		.amdhsa_system_vgpr_workitem_id 0
		.amdhsa_next_free_vgpr 1
		.amdhsa_next_free_sgpr 1
		.amdhsa_reserve_vcc 0
		.amdhsa_float_round_mode_32 0
		.amdhsa_float_round_mode_16_64 0
		.amdhsa_float_denorm_mode_32 3
		.amdhsa_float_denorm_mode_16_64 3
		.amdhsa_fp16_overflow 0
		.amdhsa_workgroup_processor_mode 1
		.amdhsa_memory_ordered 1
		.amdhsa_forward_progress 1
		.amdhsa_inst_pref_size 0
		.amdhsa_round_robin_scheduling 0
		.amdhsa_exception_fp_ieee_invalid_op 0
		.amdhsa_exception_fp_denorm_src 0
		.amdhsa_exception_fp_ieee_div_zero 0
		.amdhsa_exception_fp_ieee_overflow 0
		.amdhsa_exception_fp_ieee_underflow 0
		.amdhsa_exception_fp_ieee_inexact 0
		.amdhsa_exception_int_div_zero 0
	.end_amdhsa_kernel
	.section	.text._ZN7rocprim17ROCPRIM_400000_NS6detail17trampoline_kernelINS0_14default_configENS1_36segmented_radix_sort_config_selectorIblEEZNS1_25segmented_radix_sort_implIS3_Lb0EPKbPbPKlPlN2at6native12_GLOBAL__N_18offset_tEEE10hipError_tPvRmT1_PNSt15iterator_traitsISK_E10value_typeET2_T3_PNSL_ISQ_E10value_typeET4_jRbjT5_SW_jjP12ihipStream_tbEUlT_E1_NS1_11comp_targetILNS1_3genE9ELNS1_11target_archE1100ELNS1_3gpuE3ELNS1_3repE0EEENS1_59segmented_radix_sort_warp_sort_small_config_static_selectorELNS0_4arch9wavefront6targetE0EEEvSK_,"axG",@progbits,_ZN7rocprim17ROCPRIM_400000_NS6detail17trampoline_kernelINS0_14default_configENS1_36segmented_radix_sort_config_selectorIblEEZNS1_25segmented_radix_sort_implIS3_Lb0EPKbPbPKlPlN2at6native12_GLOBAL__N_18offset_tEEE10hipError_tPvRmT1_PNSt15iterator_traitsISK_E10value_typeET2_T3_PNSL_ISQ_E10value_typeET4_jRbjT5_SW_jjP12ihipStream_tbEUlT_E1_NS1_11comp_targetILNS1_3genE9ELNS1_11target_archE1100ELNS1_3gpuE3ELNS1_3repE0EEENS1_59segmented_radix_sort_warp_sort_small_config_static_selectorELNS0_4arch9wavefront6targetE0EEEvSK_,comdat
.Lfunc_end1663:
	.size	_ZN7rocprim17ROCPRIM_400000_NS6detail17trampoline_kernelINS0_14default_configENS1_36segmented_radix_sort_config_selectorIblEEZNS1_25segmented_radix_sort_implIS3_Lb0EPKbPbPKlPlN2at6native12_GLOBAL__N_18offset_tEEE10hipError_tPvRmT1_PNSt15iterator_traitsISK_E10value_typeET2_T3_PNSL_ISQ_E10value_typeET4_jRbjT5_SW_jjP12ihipStream_tbEUlT_E1_NS1_11comp_targetILNS1_3genE9ELNS1_11target_archE1100ELNS1_3gpuE3ELNS1_3repE0EEENS1_59segmented_radix_sort_warp_sort_small_config_static_selectorELNS0_4arch9wavefront6targetE0EEEvSK_, .Lfunc_end1663-_ZN7rocprim17ROCPRIM_400000_NS6detail17trampoline_kernelINS0_14default_configENS1_36segmented_radix_sort_config_selectorIblEEZNS1_25segmented_radix_sort_implIS3_Lb0EPKbPbPKlPlN2at6native12_GLOBAL__N_18offset_tEEE10hipError_tPvRmT1_PNSt15iterator_traitsISK_E10value_typeET2_T3_PNSL_ISQ_E10value_typeET4_jRbjT5_SW_jjP12ihipStream_tbEUlT_E1_NS1_11comp_targetILNS1_3genE9ELNS1_11target_archE1100ELNS1_3gpuE3ELNS1_3repE0EEENS1_59segmented_radix_sort_warp_sort_small_config_static_selectorELNS0_4arch9wavefront6targetE0EEEvSK_
                                        ; -- End function
	.set _ZN7rocprim17ROCPRIM_400000_NS6detail17trampoline_kernelINS0_14default_configENS1_36segmented_radix_sort_config_selectorIblEEZNS1_25segmented_radix_sort_implIS3_Lb0EPKbPbPKlPlN2at6native12_GLOBAL__N_18offset_tEEE10hipError_tPvRmT1_PNSt15iterator_traitsISK_E10value_typeET2_T3_PNSL_ISQ_E10value_typeET4_jRbjT5_SW_jjP12ihipStream_tbEUlT_E1_NS1_11comp_targetILNS1_3genE9ELNS1_11target_archE1100ELNS1_3gpuE3ELNS1_3repE0EEENS1_59segmented_radix_sort_warp_sort_small_config_static_selectorELNS0_4arch9wavefront6targetE0EEEvSK_.num_vgpr, 0
	.set _ZN7rocprim17ROCPRIM_400000_NS6detail17trampoline_kernelINS0_14default_configENS1_36segmented_radix_sort_config_selectorIblEEZNS1_25segmented_radix_sort_implIS3_Lb0EPKbPbPKlPlN2at6native12_GLOBAL__N_18offset_tEEE10hipError_tPvRmT1_PNSt15iterator_traitsISK_E10value_typeET2_T3_PNSL_ISQ_E10value_typeET4_jRbjT5_SW_jjP12ihipStream_tbEUlT_E1_NS1_11comp_targetILNS1_3genE9ELNS1_11target_archE1100ELNS1_3gpuE3ELNS1_3repE0EEENS1_59segmented_radix_sort_warp_sort_small_config_static_selectorELNS0_4arch9wavefront6targetE0EEEvSK_.num_agpr, 0
	.set _ZN7rocprim17ROCPRIM_400000_NS6detail17trampoline_kernelINS0_14default_configENS1_36segmented_radix_sort_config_selectorIblEEZNS1_25segmented_radix_sort_implIS3_Lb0EPKbPbPKlPlN2at6native12_GLOBAL__N_18offset_tEEE10hipError_tPvRmT1_PNSt15iterator_traitsISK_E10value_typeET2_T3_PNSL_ISQ_E10value_typeET4_jRbjT5_SW_jjP12ihipStream_tbEUlT_E1_NS1_11comp_targetILNS1_3genE9ELNS1_11target_archE1100ELNS1_3gpuE3ELNS1_3repE0EEENS1_59segmented_radix_sort_warp_sort_small_config_static_selectorELNS0_4arch9wavefront6targetE0EEEvSK_.numbered_sgpr, 0
	.set _ZN7rocprim17ROCPRIM_400000_NS6detail17trampoline_kernelINS0_14default_configENS1_36segmented_radix_sort_config_selectorIblEEZNS1_25segmented_radix_sort_implIS3_Lb0EPKbPbPKlPlN2at6native12_GLOBAL__N_18offset_tEEE10hipError_tPvRmT1_PNSt15iterator_traitsISK_E10value_typeET2_T3_PNSL_ISQ_E10value_typeET4_jRbjT5_SW_jjP12ihipStream_tbEUlT_E1_NS1_11comp_targetILNS1_3genE9ELNS1_11target_archE1100ELNS1_3gpuE3ELNS1_3repE0EEENS1_59segmented_radix_sort_warp_sort_small_config_static_selectorELNS0_4arch9wavefront6targetE0EEEvSK_.num_named_barrier, 0
	.set _ZN7rocprim17ROCPRIM_400000_NS6detail17trampoline_kernelINS0_14default_configENS1_36segmented_radix_sort_config_selectorIblEEZNS1_25segmented_radix_sort_implIS3_Lb0EPKbPbPKlPlN2at6native12_GLOBAL__N_18offset_tEEE10hipError_tPvRmT1_PNSt15iterator_traitsISK_E10value_typeET2_T3_PNSL_ISQ_E10value_typeET4_jRbjT5_SW_jjP12ihipStream_tbEUlT_E1_NS1_11comp_targetILNS1_3genE9ELNS1_11target_archE1100ELNS1_3gpuE3ELNS1_3repE0EEENS1_59segmented_radix_sort_warp_sort_small_config_static_selectorELNS0_4arch9wavefront6targetE0EEEvSK_.private_seg_size, 0
	.set _ZN7rocprim17ROCPRIM_400000_NS6detail17trampoline_kernelINS0_14default_configENS1_36segmented_radix_sort_config_selectorIblEEZNS1_25segmented_radix_sort_implIS3_Lb0EPKbPbPKlPlN2at6native12_GLOBAL__N_18offset_tEEE10hipError_tPvRmT1_PNSt15iterator_traitsISK_E10value_typeET2_T3_PNSL_ISQ_E10value_typeET4_jRbjT5_SW_jjP12ihipStream_tbEUlT_E1_NS1_11comp_targetILNS1_3genE9ELNS1_11target_archE1100ELNS1_3gpuE3ELNS1_3repE0EEENS1_59segmented_radix_sort_warp_sort_small_config_static_selectorELNS0_4arch9wavefront6targetE0EEEvSK_.uses_vcc, 0
	.set _ZN7rocprim17ROCPRIM_400000_NS6detail17trampoline_kernelINS0_14default_configENS1_36segmented_radix_sort_config_selectorIblEEZNS1_25segmented_radix_sort_implIS3_Lb0EPKbPbPKlPlN2at6native12_GLOBAL__N_18offset_tEEE10hipError_tPvRmT1_PNSt15iterator_traitsISK_E10value_typeET2_T3_PNSL_ISQ_E10value_typeET4_jRbjT5_SW_jjP12ihipStream_tbEUlT_E1_NS1_11comp_targetILNS1_3genE9ELNS1_11target_archE1100ELNS1_3gpuE3ELNS1_3repE0EEENS1_59segmented_radix_sort_warp_sort_small_config_static_selectorELNS0_4arch9wavefront6targetE0EEEvSK_.uses_flat_scratch, 0
	.set _ZN7rocprim17ROCPRIM_400000_NS6detail17trampoline_kernelINS0_14default_configENS1_36segmented_radix_sort_config_selectorIblEEZNS1_25segmented_radix_sort_implIS3_Lb0EPKbPbPKlPlN2at6native12_GLOBAL__N_18offset_tEEE10hipError_tPvRmT1_PNSt15iterator_traitsISK_E10value_typeET2_T3_PNSL_ISQ_E10value_typeET4_jRbjT5_SW_jjP12ihipStream_tbEUlT_E1_NS1_11comp_targetILNS1_3genE9ELNS1_11target_archE1100ELNS1_3gpuE3ELNS1_3repE0EEENS1_59segmented_radix_sort_warp_sort_small_config_static_selectorELNS0_4arch9wavefront6targetE0EEEvSK_.has_dyn_sized_stack, 0
	.set _ZN7rocprim17ROCPRIM_400000_NS6detail17trampoline_kernelINS0_14default_configENS1_36segmented_radix_sort_config_selectorIblEEZNS1_25segmented_radix_sort_implIS3_Lb0EPKbPbPKlPlN2at6native12_GLOBAL__N_18offset_tEEE10hipError_tPvRmT1_PNSt15iterator_traitsISK_E10value_typeET2_T3_PNSL_ISQ_E10value_typeET4_jRbjT5_SW_jjP12ihipStream_tbEUlT_E1_NS1_11comp_targetILNS1_3genE9ELNS1_11target_archE1100ELNS1_3gpuE3ELNS1_3repE0EEENS1_59segmented_radix_sort_warp_sort_small_config_static_selectorELNS0_4arch9wavefront6targetE0EEEvSK_.has_recursion, 0
	.set _ZN7rocprim17ROCPRIM_400000_NS6detail17trampoline_kernelINS0_14default_configENS1_36segmented_radix_sort_config_selectorIblEEZNS1_25segmented_radix_sort_implIS3_Lb0EPKbPbPKlPlN2at6native12_GLOBAL__N_18offset_tEEE10hipError_tPvRmT1_PNSt15iterator_traitsISK_E10value_typeET2_T3_PNSL_ISQ_E10value_typeET4_jRbjT5_SW_jjP12ihipStream_tbEUlT_E1_NS1_11comp_targetILNS1_3genE9ELNS1_11target_archE1100ELNS1_3gpuE3ELNS1_3repE0EEENS1_59segmented_radix_sort_warp_sort_small_config_static_selectorELNS0_4arch9wavefront6targetE0EEEvSK_.has_indirect_call, 0
	.section	.AMDGPU.csdata,"",@progbits
; Kernel info:
; codeLenInByte = 0
; TotalNumSgprs: 0
; NumVgprs: 0
; ScratchSize: 0
; MemoryBound: 0
; FloatMode: 240
; IeeeMode: 1
; LDSByteSize: 0 bytes/workgroup (compile time only)
; SGPRBlocks: 0
; VGPRBlocks: 0
; NumSGPRsForWavesPerEU: 1
; NumVGPRsForWavesPerEU: 1
; Occupancy: 16
; WaveLimiterHint : 0
; COMPUTE_PGM_RSRC2:SCRATCH_EN: 0
; COMPUTE_PGM_RSRC2:USER_SGPR: 2
; COMPUTE_PGM_RSRC2:TRAP_HANDLER: 0
; COMPUTE_PGM_RSRC2:TGID_X_EN: 1
; COMPUTE_PGM_RSRC2:TGID_Y_EN: 0
; COMPUTE_PGM_RSRC2:TGID_Z_EN: 0
; COMPUTE_PGM_RSRC2:TIDIG_COMP_CNT: 0
	.section	.text._ZN7rocprim17ROCPRIM_400000_NS6detail17trampoline_kernelINS0_14default_configENS1_36segmented_radix_sort_config_selectorIblEEZNS1_25segmented_radix_sort_implIS3_Lb0EPKbPbPKlPlN2at6native12_GLOBAL__N_18offset_tEEE10hipError_tPvRmT1_PNSt15iterator_traitsISK_E10value_typeET2_T3_PNSL_ISQ_E10value_typeET4_jRbjT5_SW_jjP12ihipStream_tbEUlT_E1_NS1_11comp_targetILNS1_3genE8ELNS1_11target_archE1030ELNS1_3gpuE2ELNS1_3repE0EEENS1_59segmented_radix_sort_warp_sort_small_config_static_selectorELNS0_4arch9wavefront6targetE0EEEvSK_,"axG",@progbits,_ZN7rocprim17ROCPRIM_400000_NS6detail17trampoline_kernelINS0_14default_configENS1_36segmented_radix_sort_config_selectorIblEEZNS1_25segmented_radix_sort_implIS3_Lb0EPKbPbPKlPlN2at6native12_GLOBAL__N_18offset_tEEE10hipError_tPvRmT1_PNSt15iterator_traitsISK_E10value_typeET2_T3_PNSL_ISQ_E10value_typeET4_jRbjT5_SW_jjP12ihipStream_tbEUlT_E1_NS1_11comp_targetILNS1_3genE8ELNS1_11target_archE1030ELNS1_3gpuE2ELNS1_3repE0EEENS1_59segmented_radix_sort_warp_sort_small_config_static_selectorELNS0_4arch9wavefront6targetE0EEEvSK_,comdat
	.globl	_ZN7rocprim17ROCPRIM_400000_NS6detail17trampoline_kernelINS0_14default_configENS1_36segmented_radix_sort_config_selectorIblEEZNS1_25segmented_radix_sort_implIS3_Lb0EPKbPbPKlPlN2at6native12_GLOBAL__N_18offset_tEEE10hipError_tPvRmT1_PNSt15iterator_traitsISK_E10value_typeET2_T3_PNSL_ISQ_E10value_typeET4_jRbjT5_SW_jjP12ihipStream_tbEUlT_E1_NS1_11comp_targetILNS1_3genE8ELNS1_11target_archE1030ELNS1_3gpuE2ELNS1_3repE0EEENS1_59segmented_radix_sort_warp_sort_small_config_static_selectorELNS0_4arch9wavefront6targetE0EEEvSK_ ; -- Begin function _ZN7rocprim17ROCPRIM_400000_NS6detail17trampoline_kernelINS0_14default_configENS1_36segmented_radix_sort_config_selectorIblEEZNS1_25segmented_radix_sort_implIS3_Lb0EPKbPbPKlPlN2at6native12_GLOBAL__N_18offset_tEEE10hipError_tPvRmT1_PNSt15iterator_traitsISK_E10value_typeET2_T3_PNSL_ISQ_E10value_typeET4_jRbjT5_SW_jjP12ihipStream_tbEUlT_E1_NS1_11comp_targetILNS1_3genE8ELNS1_11target_archE1030ELNS1_3gpuE2ELNS1_3repE0EEENS1_59segmented_radix_sort_warp_sort_small_config_static_selectorELNS0_4arch9wavefront6targetE0EEEvSK_
	.p2align	8
	.type	_ZN7rocprim17ROCPRIM_400000_NS6detail17trampoline_kernelINS0_14default_configENS1_36segmented_radix_sort_config_selectorIblEEZNS1_25segmented_radix_sort_implIS3_Lb0EPKbPbPKlPlN2at6native12_GLOBAL__N_18offset_tEEE10hipError_tPvRmT1_PNSt15iterator_traitsISK_E10value_typeET2_T3_PNSL_ISQ_E10value_typeET4_jRbjT5_SW_jjP12ihipStream_tbEUlT_E1_NS1_11comp_targetILNS1_3genE8ELNS1_11target_archE1030ELNS1_3gpuE2ELNS1_3repE0EEENS1_59segmented_radix_sort_warp_sort_small_config_static_selectorELNS0_4arch9wavefront6targetE0EEEvSK_,@function
_ZN7rocprim17ROCPRIM_400000_NS6detail17trampoline_kernelINS0_14default_configENS1_36segmented_radix_sort_config_selectorIblEEZNS1_25segmented_radix_sort_implIS3_Lb0EPKbPbPKlPlN2at6native12_GLOBAL__N_18offset_tEEE10hipError_tPvRmT1_PNSt15iterator_traitsISK_E10value_typeET2_T3_PNSL_ISQ_E10value_typeET4_jRbjT5_SW_jjP12ihipStream_tbEUlT_E1_NS1_11comp_targetILNS1_3genE8ELNS1_11target_archE1030ELNS1_3gpuE2ELNS1_3repE0EEENS1_59segmented_radix_sort_warp_sort_small_config_static_selectorELNS0_4arch9wavefront6targetE0EEEvSK_: ; @_ZN7rocprim17ROCPRIM_400000_NS6detail17trampoline_kernelINS0_14default_configENS1_36segmented_radix_sort_config_selectorIblEEZNS1_25segmented_radix_sort_implIS3_Lb0EPKbPbPKlPlN2at6native12_GLOBAL__N_18offset_tEEE10hipError_tPvRmT1_PNSt15iterator_traitsISK_E10value_typeET2_T3_PNSL_ISQ_E10value_typeET4_jRbjT5_SW_jjP12ihipStream_tbEUlT_E1_NS1_11comp_targetILNS1_3genE8ELNS1_11target_archE1030ELNS1_3gpuE2ELNS1_3repE0EEENS1_59segmented_radix_sort_warp_sort_small_config_static_selectorELNS0_4arch9wavefront6targetE0EEEvSK_
; %bb.0:
	.section	.rodata,"a",@progbits
	.p2align	6, 0x0
	.amdhsa_kernel _ZN7rocprim17ROCPRIM_400000_NS6detail17trampoline_kernelINS0_14default_configENS1_36segmented_radix_sort_config_selectorIblEEZNS1_25segmented_radix_sort_implIS3_Lb0EPKbPbPKlPlN2at6native12_GLOBAL__N_18offset_tEEE10hipError_tPvRmT1_PNSt15iterator_traitsISK_E10value_typeET2_T3_PNSL_ISQ_E10value_typeET4_jRbjT5_SW_jjP12ihipStream_tbEUlT_E1_NS1_11comp_targetILNS1_3genE8ELNS1_11target_archE1030ELNS1_3gpuE2ELNS1_3repE0EEENS1_59segmented_radix_sort_warp_sort_small_config_static_selectorELNS0_4arch9wavefront6targetE0EEEvSK_
		.amdhsa_group_segment_fixed_size 0
		.amdhsa_private_segment_fixed_size 0
		.amdhsa_kernarg_size 88
		.amdhsa_user_sgpr_count 2
		.amdhsa_user_sgpr_dispatch_ptr 0
		.amdhsa_user_sgpr_queue_ptr 0
		.amdhsa_user_sgpr_kernarg_segment_ptr 1
		.amdhsa_user_sgpr_dispatch_id 0
		.amdhsa_user_sgpr_private_segment_size 0
		.amdhsa_wavefront_size32 1
		.amdhsa_uses_dynamic_stack 0
		.amdhsa_enable_private_segment 0
		.amdhsa_system_sgpr_workgroup_id_x 1
		.amdhsa_system_sgpr_workgroup_id_y 0
		.amdhsa_system_sgpr_workgroup_id_z 0
		.amdhsa_system_sgpr_workgroup_info 0
		.amdhsa_system_vgpr_workitem_id 0
		.amdhsa_next_free_vgpr 1
		.amdhsa_next_free_sgpr 1
		.amdhsa_reserve_vcc 0
		.amdhsa_float_round_mode_32 0
		.amdhsa_float_round_mode_16_64 0
		.amdhsa_float_denorm_mode_32 3
		.amdhsa_float_denorm_mode_16_64 3
		.amdhsa_fp16_overflow 0
		.amdhsa_workgroup_processor_mode 1
		.amdhsa_memory_ordered 1
		.amdhsa_forward_progress 1
		.amdhsa_inst_pref_size 0
		.amdhsa_round_robin_scheduling 0
		.amdhsa_exception_fp_ieee_invalid_op 0
		.amdhsa_exception_fp_denorm_src 0
		.amdhsa_exception_fp_ieee_div_zero 0
		.amdhsa_exception_fp_ieee_overflow 0
		.amdhsa_exception_fp_ieee_underflow 0
		.amdhsa_exception_fp_ieee_inexact 0
		.amdhsa_exception_int_div_zero 0
	.end_amdhsa_kernel
	.section	.text._ZN7rocprim17ROCPRIM_400000_NS6detail17trampoline_kernelINS0_14default_configENS1_36segmented_radix_sort_config_selectorIblEEZNS1_25segmented_radix_sort_implIS3_Lb0EPKbPbPKlPlN2at6native12_GLOBAL__N_18offset_tEEE10hipError_tPvRmT1_PNSt15iterator_traitsISK_E10value_typeET2_T3_PNSL_ISQ_E10value_typeET4_jRbjT5_SW_jjP12ihipStream_tbEUlT_E1_NS1_11comp_targetILNS1_3genE8ELNS1_11target_archE1030ELNS1_3gpuE2ELNS1_3repE0EEENS1_59segmented_radix_sort_warp_sort_small_config_static_selectorELNS0_4arch9wavefront6targetE0EEEvSK_,"axG",@progbits,_ZN7rocprim17ROCPRIM_400000_NS6detail17trampoline_kernelINS0_14default_configENS1_36segmented_radix_sort_config_selectorIblEEZNS1_25segmented_radix_sort_implIS3_Lb0EPKbPbPKlPlN2at6native12_GLOBAL__N_18offset_tEEE10hipError_tPvRmT1_PNSt15iterator_traitsISK_E10value_typeET2_T3_PNSL_ISQ_E10value_typeET4_jRbjT5_SW_jjP12ihipStream_tbEUlT_E1_NS1_11comp_targetILNS1_3genE8ELNS1_11target_archE1030ELNS1_3gpuE2ELNS1_3repE0EEENS1_59segmented_radix_sort_warp_sort_small_config_static_selectorELNS0_4arch9wavefront6targetE0EEEvSK_,comdat
.Lfunc_end1664:
	.size	_ZN7rocprim17ROCPRIM_400000_NS6detail17trampoline_kernelINS0_14default_configENS1_36segmented_radix_sort_config_selectorIblEEZNS1_25segmented_radix_sort_implIS3_Lb0EPKbPbPKlPlN2at6native12_GLOBAL__N_18offset_tEEE10hipError_tPvRmT1_PNSt15iterator_traitsISK_E10value_typeET2_T3_PNSL_ISQ_E10value_typeET4_jRbjT5_SW_jjP12ihipStream_tbEUlT_E1_NS1_11comp_targetILNS1_3genE8ELNS1_11target_archE1030ELNS1_3gpuE2ELNS1_3repE0EEENS1_59segmented_radix_sort_warp_sort_small_config_static_selectorELNS0_4arch9wavefront6targetE0EEEvSK_, .Lfunc_end1664-_ZN7rocprim17ROCPRIM_400000_NS6detail17trampoline_kernelINS0_14default_configENS1_36segmented_radix_sort_config_selectorIblEEZNS1_25segmented_radix_sort_implIS3_Lb0EPKbPbPKlPlN2at6native12_GLOBAL__N_18offset_tEEE10hipError_tPvRmT1_PNSt15iterator_traitsISK_E10value_typeET2_T3_PNSL_ISQ_E10value_typeET4_jRbjT5_SW_jjP12ihipStream_tbEUlT_E1_NS1_11comp_targetILNS1_3genE8ELNS1_11target_archE1030ELNS1_3gpuE2ELNS1_3repE0EEENS1_59segmented_radix_sort_warp_sort_small_config_static_selectorELNS0_4arch9wavefront6targetE0EEEvSK_
                                        ; -- End function
	.set _ZN7rocprim17ROCPRIM_400000_NS6detail17trampoline_kernelINS0_14default_configENS1_36segmented_radix_sort_config_selectorIblEEZNS1_25segmented_radix_sort_implIS3_Lb0EPKbPbPKlPlN2at6native12_GLOBAL__N_18offset_tEEE10hipError_tPvRmT1_PNSt15iterator_traitsISK_E10value_typeET2_T3_PNSL_ISQ_E10value_typeET4_jRbjT5_SW_jjP12ihipStream_tbEUlT_E1_NS1_11comp_targetILNS1_3genE8ELNS1_11target_archE1030ELNS1_3gpuE2ELNS1_3repE0EEENS1_59segmented_radix_sort_warp_sort_small_config_static_selectorELNS0_4arch9wavefront6targetE0EEEvSK_.num_vgpr, 0
	.set _ZN7rocprim17ROCPRIM_400000_NS6detail17trampoline_kernelINS0_14default_configENS1_36segmented_radix_sort_config_selectorIblEEZNS1_25segmented_radix_sort_implIS3_Lb0EPKbPbPKlPlN2at6native12_GLOBAL__N_18offset_tEEE10hipError_tPvRmT1_PNSt15iterator_traitsISK_E10value_typeET2_T3_PNSL_ISQ_E10value_typeET4_jRbjT5_SW_jjP12ihipStream_tbEUlT_E1_NS1_11comp_targetILNS1_3genE8ELNS1_11target_archE1030ELNS1_3gpuE2ELNS1_3repE0EEENS1_59segmented_radix_sort_warp_sort_small_config_static_selectorELNS0_4arch9wavefront6targetE0EEEvSK_.num_agpr, 0
	.set _ZN7rocprim17ROCPRIM_400000_NS6detail17trampoline_kernelINS0_14default_configENS1_36segmented_radix_sort_config_selectorIblEEZNS1_25segmented_radix_sort_implIS3_Lb0EPKbPbPKlPlN2at6native12_GLOBAL__N_18offset_tEEE10hipError_tPvRmT1_PNSt15iterator_traitsISK_E10value_typeET2_T3_PNSL_ISQ_E10value_typeET4_jRbjT5_SW_jjP12ihipStream_tbEUlT_E1_NS1_11comp_targetILNS1_3genE8ELNS1_11target_archE1030ELNS1_3gpuE2ELNS1_3repE0EEENS1_59segmented_radix_sort_warp_sort_small_config_static_selectorELNS0_4arch9wavefront6targetE0EEEvSK_.numbered_sgpr, 0
	.set _ZN7rocprim17ROCPRIM_400000_NS6detail17trampoline_kernelINS0_14default_configENS1_36segmented_radix_sort_config_selectorIblEEZNS1_25segmented_radix_sort_implIS3_Lb0EPKbPbPKlPlN2at6native12_GLOBAL__N_18offset_tEEE10hipError_tPvRmT1_PNSt15iterator_traitsISK_E10value_typeET2_T3_PNSL_ISQ_E10value_typeET4_jRbjT5_SW_jjP12ihipStream_tbEUlT_E1_NS1_11comp_targetILNS1_3genE8ELNS1_11target_archE1030ELNS1_3gpuE2ELNS1_3repE0EEENS1_59segmented_radix_sort_warp_sort_small_config_static_selectorELNS0_4arch9wavefront6targetE0EEEvSK_.num_named_barrier, 0
	.set _ZN7rocprim17ROCPRIM_400000_NS6detail17trampoline_kernelINS0_14default_configENS1_36segmented_radix_sort_config_selectorIblEEZNS1_25segmented_radix_sort_implIS3_Lb0EPKbPbPKlPlN2at6native12_GLOBAL__N_18offset_tEEE10hipError_tPvRmT1_PNSt15iterator_traitsISK_E10value_typeET2_T3_PNSL_ISQ_E10value_typeET4_jRbjT5_SW_jjP12ihipStream_tbEUlT_E1_NS1_11comp_targetILNS1_3genE8ELNS1_11target_archE1030ELNS1_3gpuE2ELNS1_3repE0EEENS1_59segmented_radix_sort_warp_sort_small_config_static_selectorELNS0_4arch9wavefront6targetE0EEEvSK_.private_seg_size, 0
	.set _ZN7rocprim17ROCPRIM_400000_NS6detail17trampoline_kernelINS0_14default_configENS1_36segmented_radix_sort_config_selectorIblEEZNS1_25segmented_radix_sort_implIS3_Lb0EPKbPbPKlPlN2at6native12_GLOBAL__N_18offset_tEEE10hipError_tPvRmT1_PNSt15iterator_traitsISK_E10value_typeET2_T3_PNSL_ISQ_E10value_typeET4_jRbjT5_SW_jjP12ihipStream_tbEUlT_E1_NS1_11comp_targetILNS1_3genE8ELNS1_11target_archE1030ELNS1_3gpuE2ELNS1_3repE0EEENS1_59segmented_radix_sort_warp_sort_small_config_static_selectorELNS0_4arch9wavefront6targetE0EEEvSK_.uses_vcc, 0
	.set _ZN7rocprim17ROCPRIM_400000_NS6detail17trampoline_kernelINS0_14default_configENS1_36segmented_radix_sort_config_selectorIblEEZNS1_25segmented_radix_sort_implIS3_Lb0EPKbPbPKlPlN2at6native12_GLOBAL__N_18offset_tEEE10hipError_tPvRmT1_PNSt15iterator_traitsISK_E10value_typeET2_T3_PNSL_ISQ_E10value_typeET4_jRbjT5_SW_jjP12ihipStream_tbEUlT_E1_NS1_11comp_targetILNS1_3genE8ELNS1_11target_archE1030ELNS1_3gpuE2ELNS1_3repE0EEENS1_59segmented_radix_sort_warp_sort_small_config_static_selectorELNS0_4arch9wavefront6targetE0EEEvSK_.uses_flat_scratch, 0
	.set _ZN7rocprim17ROCPRIM_400000_NS6detail17trampoline_kernelINS0_14default_configENS1_36segmented_radix_sort_config_selectorIblEEZNS1_25segmented_radix_sort_implIS3_Lb0EPKbPbPKlPlN2at6native12_GLOBAL__N_18offset_tEEE10hipError_tPvRmT1_PNSt15iterator_traitsISK_E10value_typeET2_T3_PNSL_ISQ_E10value_typeET4_jRbjT5_SW_jjP12ihipStream_tbEUlT_E1_NS1_11comp_targetILNS1_3genE8ELNS1_11target_archE1030ELNS1_3gpuE2ELNS1_3repE0EEENS1_59segmented_radix_sort_warp_sort_small_config_static_selectorELNS0_4arch9wavefront6targetE0EEEvSK_.has_dyn_sized_stack, 0
	.set _ZN7rocprim17ROCPRIM_400000_NS6detail17trampoline_kernelINS0_14default_configENS1_36segmented_radix_sort_config_selectorIblEEZNS1_25segmented_radix_sort_implIS3_Lb0EPKbPbPKlPlN2at6native12_GLOBAL__N_18offset_tEEE10hipError_tPvRmT1_PNSt15iterator_traitsISK_E10value_typeET2_T3_PNSL_ISQ_E10value_typeET4_jRbjT5_SW_jjP12ihipStream_tbEUlT_E1_NS1_11comp_targetILNS1_3genE8ELNS1_11target_archE1030ELNS1_3gpuE2ELNS1_3repE0EEENS1_59segmented_radix_sort_warp_sort_small_config_static_selectorELNS0_4arch9wavefront6targetE0EEEvSK_.has_recursion, 0
	.set _ZN7rocprim17ROCPRIM_400000_NS6detail17trampoline_kernelINS0_14default_configENS1_36segmented_radix_sort_config_selectorIblEEZNS1_25segmented_radix_sort_implIS3_Lb0EPKbPbPKlPlN2at6native12_GLOBAL__N_18offset_tEEE10hipError_tPvRmT1_PNSt15iterator_traitsISK_E10value_typeET2_T3_PNSL_ISQ_E10value_typeET4_jRbjT5_SW_jjP12ihipStream_tbEUlT_E1_NS1_11comp_targetILNS1_3genE8ELNS1_11target_archE1030ELNS1_3gpuE2ELNS1_3repE0EEENS1_59segmented_radix_sort_warp_sort_small_config_static_selectorELNS0_4arch9wavefront6targetE0EEEvSK_.has_indirect_call, 0
	.section	.AMDGPU.csdata,"",@progbits
; Kernel info:
; codeLenInByte = 0
; TotalNumSgprs: 0
; NumVgprs: 0
; ScratchSize: 0
; MemoryBound: 0
; FloatMode: 240
; IeeeMode: 1
; LDSByteSize: 0 bytes/workgroup (compile time only)
; SGPRBlocks: 0
; VGPRBlocks: 0
; NumSGPRsForWavesPerEU: 1
; NumVGPRsForWavesPerEU: 1
; Occupancy: 16
; WaveLimiterHint : 0
; COMPUTE_PGM_RSRC2:SCRATCH_EN: 0
; COMPUTE_PGM_RSRC2:USER_SGPR: 2
; COMPUTE_PGM_RSRC2:TRAP_HANDLER: 0
; COMPUTE_PGM_RSRC2:TGID_X_EN: 1
; COMPUTE_PGM_RSRC2:TGID_Y_EN: 0
; COMPUTE_PGM_RSRC2:TGID_Z_EN: 0
; COMPUTE_PGM_RSRC2:TIDIG_COMP_CNT: 0
	.section	.text._ZN7rocprim17ROCPRIM_400000_NS6detail17trampoline_kernelINS0_14default_configENS1_36segmented_radix_sort_config_selectorIblEEZNS1_25segmented_radix_sort_implIS3_Lb0EPKbPbPKlPlN2at6native12_GLOBAL__N_18offset_tEEE10hipError_tPvRmT1_PNSt15iterator_traitsISK_E10value_typeET2_T3_PNSL_ISQ_E10value_typeET4_jRbjT5_SW_jjP12ihipStream_tbEUlT_E2_NS1_11comp_targetILNS1_3genE0ELNS1_11target_archE4294967295ELNS1_3gpuE0ELNS1_3repE0EEENS1_30default_config_static_selectorELNS0_4arch9wavefront6targetE0EEEvSK_,"axG",@progbits,_ZN7rocprim17ROCPRIM_400000_NS6detail17trampoline_kernelINS0_14default_configENS1_36segmented_radix_sort_config_selectorIblEEZNS1_25segmented_radix_sort_implIS3_Lb0EPKbPbPKlPlN2at6native12_GLOBAL__N_18offset_tEEE10hipError_tPvRmT1_PNSt15iterator_traitsISK_E10value_typeET2_T3_PNSL_ISQ_E10value_typeET4_jRbjT5_SW_jjP12ihipStream_tbEUlT_E2_NS1_11comp_targetILNS1_3genE0ELNS1_11target_archE4294967295ELNS1_3gpuE0ELNS1_3repE0EEENS1_30default_config_static_selectorELNS0_4arch9wavefront6targetE0EEEvSK_,comdat
	.globl	_ZN7rocprim17ROCPRIM_400000_NS6detail17trampoline_kernelINS0_14default_configENS1_36segmented_radix_sort_config_selectorIblEEZNS1_25segmented_radix_sort_implIS3_Lb0EPKbPbPKlPlN2at6native12_GLOBAL__N_18offset_tEEE10hipError_tPvRmT1_PNSt15iterator_traitsISK_E10value_typeET2_T3_PNSL_ISQ_E10value_typeET4_jRbjT5_SW_jjP12ihipStream_tbEUlT_E2_NS1_11comp_targetILNS1_3genE0ELNS1_11target_archE4294967295ELNS1_3gpuE0ELNS1_3repE0EEENS1_30default_config_static_selectorELNS0_4arch9wavefront6targetE0EEEvSK_ ; -- Begin function _ZN7rocprim17ROCPRIM_400000_NS6detail17trampoline_kernelINS0_14default_configENS1_36segmented_radix_sort_config_selectorIblEEZNS1_25segmented_radix_sort_implIS3_Lb0EPKbPbPKlPlN2at6native12_GLOBAL__N_18offset_tEEE10hipError_tPvRmT1_PNSt15iterator_traitsISK_E10value_typeET2_T3_PNSL_ISQ_E10value_typeET4_jRbjT5_SW_jjP12ihipStream_tbEUlT_E2_NS1_11comp_targetILNS1_3genE0ELNS1_11target_archE4294967295ELNS1_3gpuE0ELNS1_3repE0EEENS1_30default_config_static_selectorELNS0_4arch9wavefront6targetE0EEEvSK_
	.p2align	8
	.type	_ZN7rocprim17ROCPRIM_400000_NS6detail17trampoline_kernelINS0_14default_configENS1_36segmented_radix_sort_config_selectorIblEEZNS1_25segmented_radix_sort_implIS3_Lb0EPKbPbPKlPlN2at6native12_GLOBAL__N_18offset_tEEE10hipError_tPvRmT1_PNSt15iterator_traitsISK_E10value_typeET2_T3_PNSL_ISQ_E10value_typeET4_jRbjT5_SW_jjP12ihipStream_tbEUlT_E2_NS1_11comp_targetILNS1_3genE0ELNS1_11target_archE4294967295ELNS1_3gpuE0ELNS1_3repE0EEENS1_30default_config_static_selectorELNS0_4arch9wavefront6targetE0EEEvSK_,@function
_ZN7rocprim17ROCPRIM_400000_NS6detail17trampoline_kernelINS0_14default_configENS1_36segmented_radix_sort_config_selectorIblEEZNS1_25segmented_radix_sort_implIS3_Lb0EPKbPbPKlPlN2at6native12_GLOBAL__N_18offset_tEEE10hipError_tPvRmT1_PNSt15iterator_traitsISK_E10value_typeET2_T3_PNSL_ISQ_E10value_typeET4_jRbjT5_SW_jjP12ihipStream_tbEUlT_E2_NS1_11comp_targetILNS1_3genE0ELNS1_11target_archE4294967295ELNS1_3gpuE0ELNS1_3repE0EEENS1_30default_config_static_selectorELNS0_4arch9wavefront6targetE0EEEvSK_: ; @_ZN7rocprim17ROCPRIM_400000_NS6detail17trampoline_kernelINS0_14default_configENS1_36segmented_radix_sort_config_selectorIblEEZNS1_25segmented_radix_sort_implIS3_Lb0EPKbPbPKlPlN2at6native12_GLOBAL__N_18offset_tEEE10hipError_tPvRmT1_PNSt15iterator_traitsISK_E10value_typeET2_T3_PNSL_ISQ_E10value_typeET4_jRbjT5_SW_jjP12ihipStream_tbEUlT_E2_NS1_11comp_targetILNS1_3genE0ELNS1_11target_archE4294967295ELNS1_3gpuE0ELNS1_3repE0EEENS1_30default_config_static_selectorELNS0_4arch9wavefront6targetE0EEEvSK_
; %bb.0:
	.section	.rodata,"a",@progbits
	.p2align	6, 0x0
	.amdhsa_kernel _ZN7rocprim17ROCPRIM_400000_NS6detail17trampoline_kernelINS0_14default_configENS1_36segmented_radix_sort_config_selectorIblEEZNS1_25segmented_radix_sort_implIS3_Lb0EPKbPbPKlPlN2at6native12_GLOBAL__N_18offset_tEEE10hipError_tPvRmT1_PNSt15iterator_traitsISK_E10value_typeET2_T3_PNSL_ISQ_E10value_typeET4_jRbjT5_SW_jjP12ihipStream_tbEUlT_E2_NS1_11comp_targetILNS1_3genE0ELNS1_11target_archE4294967295ELNS1_3gpuE0ELNS1_3repE0EEENS1_30default_config_static_selectorELNS0_4arch9wavefront6targetE0EEEvSK_
		.amdhsa_group_segment_fixed_size 0
		.amdhsa_private_segment_fixed_size 0
		.amdhsa_kernarg_size 80
		.amdhsa_user_sgpr_count 2
		.amdhsa_user_sgpr_dispatch_ptr 0
		.amdhsa_user_sgpr_queue_ptr 0
		.amdhsa_user_sgpr_kernarg_segment_ptr 1
		.amdhsa_user_sgpr_dispatch_id 0
		.amdhsa_user_sgpr_private_segment_size 0
		.amdhsa_wavefront_size32 1
		.amdhsa_uses_dynamic_stack 0
		.amdhsa_enable_private_segment 0
		.amdhsa_system_sgpr_workgroup_id_x 1
		.amdhsa_system_sgpr_workgroup_id_y 0
		.amdhsa_system_sgpr_workgroup_id_z 0
		.amdhsa_system_sgpr_workgroup_info 0
		.amdhsa_system_vgpr_workitem_id 0
		.amdhsa_next_free_vgpr 1
		.amdhsa_next_free_sgpr 1
		.amdhsa_reserve_vcc 0
		.amdhsa_float_round_mode_32 0
		.amdhsa_float_round_mode_16_64 0
		.amdhsa_float_denorm_mode_32 3
		.amdhsa_float_denorm_mode_16_64 3
		.amdhsa_fp16_overflow 0
		.amdhsa_workgroup_processor_mode 1
		.amdhsa_memory_ordered 1
		.amdhsa_forward_progress 1
		.amdhsa_inst_pref_size 0
		.amdhsa_round_robin_scheduling 0
		.amdhsa_exception_fp_ieee_invalid_op 0
		.amdhsa_exception_fp_denorm_src 0
		.amdhsa_exception_fp_ieee_div_zero 0
		.amdhsa_exception_fp_ieee_overflow 0
		.amdhsa_exception_fp_ieee_underflow 0
		.amdhsa_exception_fp_ieee_inexact 0
		.amdhsa_exception_int_div_zero 0
	.end_amdhsa_kernel
	.section	.text._ZN7rocprim17ROCPRIM_400000_NS6detail17trampoline_kernelINS0_14default_configENS1_36segmented_radix_sort_config_selectorIblEEZNS1_25segmented_radix_sort_implIS3_Lb0EPKbPbPKlPlN2at6native12_GLOBAL__N_18offset_tEEE10hipError_tPvRmT1_PNSt15iterator_traitsISK_E10value_typeET2_T3_PNSL_ISQ_E10value_typeET4_jRbjT5_SW_jjP12ihipStream_tbEUlT_E2_NS1_11comp_targetILNS1_3genE0ELNS1_11target_archE4294967295ELNS1_3gpuE0ELNS1_3repE0EEENS1_30default_config_static_selectorELNS0_4arch9wavefront6targetE0EEEvSK_,"axG",@progbits,_ZN7rocprim17ROCPRIM_400000_NS6detail17trampoline_kernelINS0_14default_configENS1_36segmented_radix_sort_config_selectorIblEEZNS1_25segmented_radix_sort_implIS3_Lb0EPKbPbPKlPlN2at6native12_GLOBAL__N_18offset_tEEE10hipError_tPvRmT1_PNSt15iterator_traitsISK_E10value_typeET2_T3_PNSL_ISQ_E10value_typeET4_jRbjT5_SW_jjP12ihipStream_tbEUlT_E2_NS1_11comp_targetILNS1_3genE0ELNS1_11target_archE4294967295ELNS1_3gpuE0ELNS1_3repE0EEENS1_30default_config_static_selectorELNS0_4arch9wavefront6targetE0EEEvSK_,comdat
.Lfunc_end1665:
	.size	_ZN7rocprim17ROCPRIM_400000_NS6detail17trampoline_kernelINS0_14default_configENS1_36segmented_radix_sort_config_selectorIblEEZNS1_25segmented_radix_sort_implIS3_Lb0EPKbPbPKlPlN2at6native12_GLOBAL__N_18offset_tEEE10hipError_tPvRmT1_PNSt15iterator_traitsISK_E10value_typeET2_T3_PNSL_ISQ_E10value_typeET4_jRbjT5_SW_jjP12ihipStream_tbEUlT_E2_NS1_11comp_targetILNS1_3genE0ELNS1_11target_archE4294967295ELNS1_3gpuE0ELNS1_3repE0EEENS1_30default_config_static_selectorELNS0_4arch9wavefront6targetE0EEEvSK_, .Lfunc_end1665-_ZN7rocprim17ROCPRIM_400000_NS6detail17trampoline_kernelINS0_14default_configENS1_36segmented_radix_sort_config_selectorIblEEZNS1_25segmented_radix_sort_implIS3_Lb0EPKbPbPKlPlN2at6native12_GLOBAL__N_18offset_tEEE10hipError_tPvRmT1_PNSt15iterator_traitsISK_E10value_typeET2_T3_PNSL_ISQ_E10value_typeET4_jRbjT5_SW_jjP12ihipStream_tbEUlT_E2_NS1_11comp_targetILNS1_3genE0ELNS1_11target_archE4294967295ELNS1_3gpuE0ELNS1_3repE0EEENS1_30default_config_static_selectorELNS0_4arch9wavefront6targetE0EEEvSK_
                                        ; -- End function
	.set _ZN7rocprim17ROCPRIM_400000_NS6detail17trampoline_kernelINS0_14default_configENS1_36segmented_radix_sort_config_selectorIblEEZNS1_25segmented_radix_sort_implIS3_Lb0EPKbPbPKlPlN2at6native12_GLOBAL__N_18offset_tEEE10hipError_tPvRmT1_PNSt15iterator_traitsISK_E10value_typeET2_T3_PNSL_ISQ_E10value_typeET4_jRbjT5_SW_jjP12ihipStream_tbEUlT_E2_NS1_11comp_targetILNS1_3genE0ELNS1_11target_archE4294967295ELNS1_3gpuE0ELNS1_3repE0EEENS1_30default_config_static_selectorELNS0_4arch9wavefront6targetE0EEEvSK_.num_vgpr, 0
	.set _ZN7rocprim17ROCPRIM_400000_NS6detail17trampoline_kernelINS0_14default_configENS1_36segmented_radix_sort_config_selectorIblEEZNS1_25segmented_radix_sort_implIS3_Lb0EPKbPbPKlPlN2at6native12_GLOBAL__N_18offset_tEEE10hipError_tPvRmT1_PNSt15iterator_traitsISK_E10value_typeET2_T3_PNSL_ISQ_E10value_typeET4_jRbjT5_SW_jjP12ihipStream_tbEUlT_E2_NS1_11comp_targetILNS1_3genE0ELNS1_11target_archE4294967295ELNS1_3gpuE0ELNS1_3repE0EEENS1_30default_config_static_selectorELNS0_4arch9wavefront6targetE0EEEvSK_.num_agpr, 0
	.set _ZN7rocprim17ROCPRIM_400000_NS6detail17trampoline_kernelINS0_14default_configENS1_36segmented_radix_sort_config_selectorIblEEZNS1_25segmented_radix_sort_implIS3_Lb0EPKbPbPKlPlN2at6native12_GLOBAL__N_18offset_tEEE10hipError_tPvRmT1_PNSt15iterator_traitsISK_E10value_typeET2_T3_PNSL_ISQ_E10value_typeET4_jRbjT5_SW_jjP12ihipStream_tbEUlT_E2_NS1_11comp_targetILNS1_3genE0ELNS1_11target_archE4294967295ELNS1_3gpuE0ELNS1_3repE0EEENS1_30default_config_static_selectorELNS0_4arch9wavefront6targetE0EEEvSK_.numbered_sgpr, 0
	.set _ZN7rocprim17ROCPRIM_400000_NS6detail17trampoline_kernelINS0_14default_configENS1_36segmented_radix_sort_config_selectorIblEEZNS1_25segmented_radix_sort_implIS3_Lb0EPKbPbPKlPlN2at6native12_GLOBAL__N_18offset_tEEE10hipError_tPvRmT1_PNSt15iterator_traitsISK_E10value_typeET2_T3_PNSL_ISQ_E10value_typeET4_jRbjT5_SW_jjP12ihipStream_tbEUlT_E2_NS1_11comp_targetILNS1_3genE0ELNS1_11target_archE4294967295ELNS1_3gpuE0ELNS1_3repE0EEENS1_30default_config_static_selectorELNS0_4arch9wavefront6targetE0EEEvSK_.num_named_barrier, 0
	.set _ZN7rocprim17ROCPRIM_400000_NS6detail17trampoline_kernelINS0_14default_configENS1_36segmented_radix_sort_config_selectorIblEEZNS1_25segmented_radix_sort_implIS3_Lb0EPKbPbPKlPlN2at6native12_GLOBAL__N_18offset_tEEE10hipError_tPvRmT1_PNSt15iterator_traitsISK_E10value_typeET2_T3_PNSL_ISQ_E10value_typeET4_jRbjT5_SW_jjP12ihipStream_tbEUlT_E2_NS1_11comp_targetILNS1_3genE0ELNS1_11target_archE4294967295ELNS1_3gpuE0ELNS1_3repE0EEENS1_30default_config_static_selectorELNS0_4arch9wavefront6targetE0EEEvSK_.private_seg_size, 0
	.set _ZN7rocprim17ROCPRIM_400000_NS6detail17trampoline_kernelINS0_14default_configENS1_36segmented_radix_sort_config_selectorIblEEZNS1_25segmented_radix_sort_implIS3_Lb0EPKbPbPKlPlN2at6native12_GLOBAL__N_18offset_tEEE10hipError_tPvRmT1_PNSt15iterator_traitsISK_E10value_typeET2_T3_PNSL_ISQ_E10value_typeET4_jRbjT5_SW_jjP12ihipStream_tbEUlT_E2_NS1_11comp_targetILNS1_3genE0ELNS1_11target_archE4294967295ELNS1_3gpuE0ELNS1_3repE0EEENS1_30default_config_static_selectorELNS0_4arch9wavefront6targetE0EEEvSK_.uses_vcc, 0
	.set _ZN7rocprim17ROCPRIM_400000_NS6detail17trampoline_kernelINS0_14default_configENS1_36segmented_radix_sort_config_selectorIblEEZNS1_25segmented_radix_sort_implIS3_Lb0EPKbPbPKlPlN2at6native12_GLOBAL__N_18offset_tEEE10hipError_tPvRmT1_PNSt15iterator_traitsISK_E10value_typeET2_T3_PNSL_ISQ_E10value_typeET4_jRbjT5_SW_jjP12ihipStream_tbEUlT_E2_NS1_11comp_targetILNS1_3genE0ELNS1_11target_archE4294967295ELNS1_3gpuE0ELNS1_3repE0EEENS1_30default_config_static_selectorELNS0_4arch9wavefront6targetE0EEEvSK_.uses_flat_scratch, 0
	.set _ZN7rocprim17ROCPRIM_400000_NS6detail17trampoline_kernelINS0_14default_configENS1_36segmented_radix_sort_config_selectorIblEEZNS1_25segmented_radix_sort_implIS3_Lb0EPKbPbPKlPlN2at6native12_GLOBAL__N_18offset_tEEE10hipError_tPvRmT1_PNSt15iterator_traitsISK_E10value_typeET2_T3_PNSL_ISQ_E10value_typeET4_jRbjT5_SW_jjP12ihipStream_tbEUlT_E2_NS1_11comp_targetILNS1_3genE0ELNS1_11target_archE4294967295ELNS1_3gpuE0ELNS1_3repE0EEENS1_30default_config_static_selectorELNS0_4arch9wavefront6targetE0EEEvSK_.has_dyn_sized_stack, 0
	.set _ZN7rocprim17ROCPRIM_400000_NS6detail17trampoline_kernelINS0_14default_configENS1_36segmented_radix_sort_config_selectorIblEEZNS1_25segmented_radix_sort_implIS3_Lb0EPKbPbPKlPlN2at6native12_GLOBAL__N_18offset_tEEE10hipError_tPvRmT1_PNSt15iterator_traitsISK_E10value_typeET2_T3_PNSL_ISQ_E10value_typeET4_jRbjT5_SW_jjP12ihipStream_tbEUlT_E2_NS1_11comp_targetILNS1_3genE0ELNS1_11target_archE4294967295ELNS1_3gpuE0ELNS1_3repE0EEENS1_30default_config_static_selectorELNS0_4arch9wavefront6targetE0EEEvSK_.has_recursion, 0
	.set _ZN7rocprim17ROCPRIM_400000_NS6detail17trampoline_kernelINS0_14default_configENS1_36segmented_radix_sort_config_selectorIblEEZNS1_25segmented_radix_sort_implIS3_Lb0EPKbPbPKlPlN2at6native12_GLOBAL__N_18offset_tEEE10hipError_tPvRmT1_PNSt15iterator_traitsISK_E10value_typeET2_T3_PNSL_ISQ_E10value_typeET4_jRbjT5_SW_jjP12ihipStream_tbEUlT_E2_NS1_11comp_targetILNS1_3genE0ELNS1_11target_archE4294967295ELNS1_3gpuE0ELNS1_3repE0EEENS1_30default_config_static_selectorELNS0_4arch9wavefront6targetE0EEEvSK_.has_indirect_call, 0
	.section	.AMDGPU.csdata,"",@progbits
; Kernel info:
; codeLenInByte = 0
; TotalNumSgprs: 0
; NumVgprs: 0
; ScratchSize: 0
; MemoryBound: 0
; FloatMode: 240
; IeeeMode: 1
; LDSByteSize: 0 bytes/workgroup (compile time only)
; SGPRBlocks: 0
; VGPRBlocks: 0
; NumSGPRsForWavesPerEU: 1
; NumVGPRsForWavesPerEU: 1
; Occupancy: 16
; WaveLimiterHint : 0
; COMPUTE_PGM_RSRC2:SCRATCH_EN: 0
; COMPUTE_PGM_RSRC2:USER_SGPR: 2
; COMPUTE_PGM_RSRC2:TRAP_HANDLER: 0
; COMPUTE_PGM_RSRC2:TGID_X_EN: 1
; COMPUTE_PGM_RSRC2:TGID_Y_EN: 0
; COMPUTE_PGM_RSRC2:TGID_Z_EN: 0
; COMPUTE_PGM_RSRC2:TIDIG_COMP_CNT: 0
	.section	.text._ZN7rocprim17ROCPRIM_400000_NS6detail17trampoline_kernelINS0_14default_configENS1_36segmented_radix_sort_config_selectorIblEEZNS1_25segmented_radix_sort_implIS3_Lb0EPKbPbPKlPlN2at6native12_GLOBAL__N_18offset_tEEE10hipError_tPvRmT1_PNSt15iterator_traitsISK_E10value_typeET2_T3_PNSL_ISQ_E10value_typeET4_jRbjT5_SW_jjP12ihipStream_tbEUlT_E2_NS1_11comp_targetILNS1_3genE5ELNS1_11target_archE942ELNS1_3gpuE9ELNS1_3repE0EEENS1_30default_config_static_selectorELNS0_4arch9wavefront6targetE0EEEvSK_,"axG",@progbits,_ZN7rocprim17ROCPRIM_400000_NS6detail17trampoline_kernelINS0_14default_configENS1_36segmented_radix_sort_config_selectorIblEEZNS1_25segmented_radix_sort_implIS3_Lb0EPKbPbPKlPlN2at6native12_GLOBAL__N_18offset_tEEE10hipError_tPvRmT1_PNSt15iterator_traitsISK_E10value_typeET2_T3_PNSL_ISQ_E10value_typeET4_jRbjT5_SW_jjP12ihipStream_tbEUlT_E2_NS1_11comp_targetILNS1_3genE5ELNS1_11target_archE942ELNS1_3gpuE9ELNS1_3repE0EEENS1_30default_config_static_selectorELNS0_4arch9wavefront6targetE0EEEvSK_,comdat
	.globl	_ZN7rocprim17ROCPRIM_400000_NS6detail17trampoline_kernelINS0_14default_configENS1_36segmented_radix_sort_config_selectorIblEEZNS1_25segmented_radix_sort_implIS3_Lb0EPKbPbPKlPlN2at6native12_GLOBAL__N_18offset_tEEE10hipError_tPvRmT1_PNSt15iterator_traitsISK_E10value_typeET2_T3_PNSL_ISQ_E10value_typeET4_jRbjT5_SW_jjP12ihipStream_tbEUlT_E2_NS1_11comp_targetILNS1_3genE5ELNS1_11target_archE942ELNS1_3gpuE9ELNS1_3repE0EEENS1_30default_config_static_selectorELNS0_4arch9wavefront6targetE0EEEvSK_ ; -- Begin function _ZN7rocprim17ROCPRIM_400000_NS6detail17trampoline_kernelINS0_14default_configENS1_36segmented_radix_sort_config_selectorIblEEZNS1_25segmented_radix_sort_implIS3_Lb0EPKbPbPKlPlN2at6native12_GLOBAL__N_18offset_tEEE10hipError_tPvRmT1_PNSt15iterator_traitsISK_E10value_typeET2_T3_PNSL_ISQ_E10value_typeET4_jRbjT5_SW_jjP12ihipStream_tbEUlT_E2_NS1_11comp_targetILNS1_3genE5ELNS1_11target_archE942ELNS1_3gpuE9ELNS1_3repE0EEENS1_30default_config_static_selectorELNS0_4arch9wavefront6targetE0EEEvSK_
	.p2align	8
	.type	_ZN7rocprim17ROCPRIM_400000_NS6detail17trampoline_kernelINS0_14default_configENS1_36segmented_radix_sort_config_selectorIblEEZNS1_25segmented_radix_sort_implIS3_Lb0EPKbPbPKlPlN2at6native12_GLOBAL__N_18offset_tEEE10hipError_tPvRmT1_PNSt15iterator_traitsISK_E10value_typeET2_T3_PNSL_ISQ_E10value_typeET4_jRbjT5_SW_jjP12ihipStream_tbEUlT_E2_NS1_11comp_targetILNS1_3genE5ELNS1_11target_archE942ELNS1_3gpuE9ELNS1_3repE0EEENS1_30default_config_static_selectorELNS0_4arch9wavefront6targetE0EEEvSK_,@function
_ZN7rocprim17ROCPRIM_400000_NS6detail17trampoline_kernelINS0_14default_configENS1_36segmented_radix_sort_config_selectorIblEEZNS1_25segmented_radix_sort_implIS3_Lb0EPKbPbPKlPlN2at6native12_GLOBAL__N_18offset_tEEE10hipError_tPvRmT1_PNSt15iterator_traitsISK_E10value_typeET2_T3_PNSL_ISQ_E10value_typeET4_jRbjT5_SW_jjP12ihipStream_tbEUlT_E2_NS1_11comp_targetILNS1_3genE5ELNS1_11target_archE942ELNS1_3gpuE9ELNS1_3repE0EEENS1_30default_config_static_selectorELNS0_4arch9wavefront6targetE0EEEvSK_: ; @_ZN7rocprim17ROCPRIM_400000_NS6detail17trampoline_kernelINS0_14default_configENS1_36segmented_radix_sort_config_selectorIblEEZNS1_25segmented_radix_sort_implIS3_Lb0EPKbPbPKlPlN2at6native12_GLOBAL__N_18offset_tEEE10hipError_tPvRmT1_PNSt15iterator_traitsISK_E10value_typeET2_T3_PNSL_ISQ_E10value_typeET4_jRbjT5_SW_jjP12ihipStream_tbEUlT_E2_NS1_11comp_targetILNS1_3genE5ELNS1_11target_archE942ELNS1_3gpuE9ELNS1_3repE0EEENS1_30default_config_static_selectorELNS0_4arch9wavefront6targetE0EEEvSK_
; %bb.0:
	.section	.rodata,"a",@progbits
	.p2align	6, 0x0
	.amdhsa_kernel _ZN7rocprim17ROCPRIM_400000_NS6detail17trampoline_kernelINS0_14default_configENS1_36segmented_radix_sort_config_selectorIblEEZNS1_25segmented_radix_sort_implIS3_Lb0EPKbPbPKlPlN2at6native12_GLOBAL__N_18offset_tEEE10hipError_tPvRmT1_PNSt15iterator_traitsISK_E10value_typeET2_T3_PNSL_ISQ_E10value_typeET4_jRbjT5_SW_jjP12ihipStream_tbEUlT_E2_NS1_11comp_targetILNS1_3genE5ELNS1_11target_archE942ELNS1_3gpuE9ELNS1_3repE0EEENS1_30default_config_static_selectorELNS0_4arch9wavefront6targetE0EEEvSK_
		.amdhsa_group_segment_fixed_size 0
		.amdhsa_private_segment_fixed_size 0
		.amdhsa_kernarg_size 80
		.amdhsa_user_sgpr_count 2
		.amdhsa_user_sgpr_dispatch_ptr 0
		.amdhsa_user_sgpr_queue_ptr 0
		.amdhsa_user_sgpr_kernarg_segment_ptr 1
		.amdhsa_user_sgpr_dispatch_id 0
		.amdhsa_user_sgpr_private_segment_size 0
		.amdhsa_wavefront_size32 1
		.amdhsa_uses_dynamic_stack 0
		.amdhsa_enable_private_segment 0
		.amdhsa_system_sgpr_workgroup_id_x 1
		.amdhsa_system_sgpr_workgroup_id_y 0
		.amdhsa_system_sgpr_workgroup_id_z 0
		.amdhsa_system_sgpr_workgroup_info 0
		.amdhsa_system_vgpr_workitem_id 0
		.amdhsa_next_free_vgpr 1
		.amdhsa_next_free_sgpr 1
		.amdhsa_reserve_vcc 0
		.amdhsa_float_round_mode_32 0
		.amdhsa_float_round_mode_16_64 0
		.amdhsa_float_denorm_mode_32 3
		.amdhsa_float_denorm_mode_16_64 3
		.amdhsa_fp16_overflow 0
		.amdhsa_workgroup_processor_mode 1
		.amdhsa_memory_ordered 1
		.amdhsa_forward_progress 1
		.amdhsa_inst_pref_size 0
		.amdhsa_round_robin_scheduling 0
		.amdhsa_exception_fp_ieee_invalid_op 0
		.amdhsa_exception_fp_denorm_src 0
		.amdhsa_exception_fp_ieee_div_zero 0
		.amdhsa_exception_fp_ieee_overflow 0
		.amdhsa_exception_fp_ieee_underflow 0
		.amdhsa_exception_fp_ieee_inexact 0
		.amdhsa_exception_int_div_zero 0
	.end_amdhsa_kernel
	.section	.text._ZN7rocprim17ROCPRIM_400000_NS6detail17trampoline_kernelINS0_14default_configENS1_36segmented_radix_sort_config_selectorIblEEZNS1_25segmented_radix_sort_implIS3_Lb0EPKbPbPKlPlN2at6native12_GLOBAL__N_18offset_tEEE10hipError_tPvRmT1_PNSt15iterator_traitsISK_E10value_typeET2_T3_PNSL_ISQ_E10value_typeET4_jRbjT5_SW_jjP12ihipStream_tbEUlT_E2_NS1_11comp_targetILNS1_3genE5ELNS1_11target_archE942ELNS1_3gpuE9ELNS1_3repE0EEENS1_30default_config_static_selectorELNS0_4arch9wavefront6targetE0EEEvSK_,"axG",@progbits,_ZN7rocprim17ROCPRIM_400000_NS6detail17trampoline_kernelINS0_14default_configENS1_36segmented_radix_sort_config_selectorIblEEZNS1_25segmented_radix_sort_implIS3_Lb0EPKbPbPKlPlN2at6native12_GLOBAL__N_18offset_tEEE10hipError_tPvRmT1_PNSt15iterator_traitsISK_E10value_typeET2_T3_PNSL_ISQ_E10value_typeET4_jRbjT5_SW_jjP12ihipStream_tbEUlT_E2_NS1_11comp_targetILNS1_3genE5ELNS1_11target_archE942ELNS1_3gpuE9ELNS1_3repE0EEENS1_30default_config_static_selectorELNS0_4arch9wavefront6targetE0EEEvSK_,comdat
.Lfunc_end1666:
	.size	_ZN7rocprim17ROCPRIM_400000_NS6detail17trampoline_kernelINS0_14default_configENS1_36segmented_radix_sort_config_selectorIblEEZNS1_25segmented_radix_sort_implIS3_Lb0EPKbPbPKlPlN2at6native12_GLOBAL__N_18offset_tEEE10hipError_tPvRmT1_PNSt15iterator_traitsISK_E10value_typeET2_T3_PNSL_ISQ_E10value_typeET4_jRbjT5_SW_jjP12ihipStream_tbEUlT_E2_NS1_11comp_targetILNS1_3genE5ELNS1_11target_archE942ELNS1_3gpuE9ELNS1_3repE0EEENS1_30default_config_static_selectorELNS0_4arch9wavefront6targetE0EEEvSK_, .Lfunc_end1666-_ZN7rocprim17ROCPRIM_400000_NS6detail17trampoline_kernelINS0_14default_configENS1_36segmented_radix_sort_config_selectorIblEEZNS1_25segmented_radix_sort_implIS3_Lb0EPKbPbPKlPlN2at6native12_GLOBAL__N_18offset_tEEE10hipError_tPvRmT1_PNSt15iterator_traitsISK_E10value_typeET2_T3_PNSL_ISQ_E10value_typeET4_jRbjT5_SW_jjP12ihipStream_tbEUlT_E2_NS1_11comp_targetILNS1_3genE5ELNS1_11target_archE942ELNS1_3gpuE9ELNS1_3repE0EEENS1_30default_config_static_selectorELNS0_4arch9wavefront6targetE0EEEvSK_
                                        ; -- End function
	.set _ZN7rocprim17ROCPRIM_400000_NS6detail17trampoline_kernelINS0_14default_configENS1_36segmented_radix_sort_config_selectorIblEEZNS1_25segmented_radix_sort_implIS3_Lb0EPKbPbPKlPlN2at6native12_GLOBAL__N_18offset_tEEE10hipError_tPvRmT1_PNSt15iterator_traitsISK_E10value_typeET2_T3_PNSL_ISQ_E10value_typeET4_jRbjT5_SW_jjP12ihipStream_tbEUlT_E2_NS1_11comp_targetILNS1_3genE5ELNS1_11target_archE942ELNS1_3gpuE9ELNS1_3repE0EEENS1_30default_config_static_selectorELNS0_4arch9wavefront6targetE0EEEvSK_.num_vgpr, 0
	.set _ZN7rocprim17ROCPRIM_400000_NS6detail17trampoline_kernelINS0_14default_configENS1_36segmented_radix_sort_config_selectorIblEEZNS1_25segmented_radix_sort_implIS3_Lb0EPKbPbPKlPlN2at6native12_GLOBAL__N_18offset_tEEE10hipError_tPvRmT1_PNSt15iterator_traitsISK_E10value_typeET2_T3_PNSL_ISQ_E10value_typeET4_jRbjT5_SW_jjP12ihipStream_tbEUlT_E2_NS1_11comp_targetILNS1_3genE5ELNS1_11target_archE942ELNS1_3gpuE9ELNS1_3repE0EEENS1_30default_config_static_selectorELNS0_4arch9wavefront6targetE0EEEvSK_.num_agpr, 0
	.set _ZN7rocprim17ROCPRIM_400000_NS6detail17trampoline_kernelINS0_14default_configENS1_36segmented_radix_sort_config_selectorIblEEZNS1_25segmented_radix_sort_implIS3_Lb0EPKbPbPKlPlN2at6native12_GLOBAL__N_18offset_tEEE10hipError_tPvRmT1_PNSt15iterator_traitsISK_E10value_typeET2_T3_PNSL_ISQ_E10value_typeET4_jRbjT5_SW_jjP12ihipStream_tbEUlT_E2_NS1_11comp_targetILNS1_3genE5ELNS1_11target_archE942ELNS1_3gpuE9ELNS1_3repE0EEENS1_30default_config_static_selectorELNS0_4arch9wavefront6targetE0EEEvSK_.numbered_sgpr, 0
	.set _ZN7rocprim17ROCPRIM_400000_NS6detail17trampoline_kernelINS0_14default_configENS1_36segmented_radix_sort_config_selectorIblEEZNS1_25segmented_radix_sort_implIS3_Lb0EPKbPbPKlPlN2at6native12_GLOBAL__N_18offset_tEEE10hipError_tPvRmT1_PNSt15iterator_traitsISK_E10value_typeET2_T3_PNSL_ISQ_E10value_typeET4_jRbjT5_SW_jjP12ihipStream_tbEUlT_E2_NS1_11comp_targetILNS1_3genE5ELNS1_11target_archE942ELNS1_3gpuE9ELNS1_3repE0EEENS1_30default_config_static_selectorELNS0_4arch9wavefront6targetE0EEEvSK_.num_named_barrier, 0
	.set _ZN7rocprim17ROCPRIM_400000_NS6detail17trampoline_kernelINS0_14default_configENS1_36segmented_radix_sort_config_selectorIblEEZNS1_25segmented_radix_sort_implIS3_Lb0EPKbPbPKlPlN2at6native12_GLOBAL__N_18offset_tEEE10hipError_tPvRmT1_PNSt15iterator_traitsISK_E10value_typeET2_T3_PNSL_ISQ_E10value_typeET4_jRbjT5_SW_jjP12ihipStream_tbEUlT_E2_NS1_11comp_targetILNS1_3genE5ELNS1_11target_archE942ELNS1_3gpuE9ELNS1_3repE0EEENS1_30default_config_static_selectorELNS0_4arch9wavefront6targetE0EEEvSK_.private_seg_size, 0
	.set _ZN7rocprim17ROCPRIM_400000_NS6detail17trampoline_kernelINS0_14default_configENS1_36segmented_radix_sort_config_selectorIblEEZNS1_25segmented_radix_sort_implIS3_Lb0EPKbPbPKlPlN2at6native12_GLOBAL__N_18offset_tEEE10hipError_tPvRmT1_PNSt15iterator_traitsISK_E10value_typeET2_T3_PNSL_ISQ_E10value_typeET4_jRbjT5_SW_jjP12ihipStream_tbEUlT_E2_NS1_11comp_targetILNS1_3genE5ELNS1_11target_archE942ELNS1_3gpuE9ELNS1_3repE0EEENS1_30default_config_static_selectorELNS0_4arch9wavefront6targetE0EEEvSK_.uses_vcc, 0
	.set _ZN7rocprim17ROCPRIM_400000_NS6detail17trampoline_kernelINS0_14default_configENS1_36segmented_radix_sort_config_selectorIblEEZNS1_25segmented_radix_sort_implIS3_Lb0EPKbPbPKlPlN2at6native12_GLOBAL__N_18offset_tEEE10hipError_tPvRmT1_PNSt15iterator_traitsISK_E10value_typeET2_T3_PNSL_ISQ_E10value_typeET4_jRbjT5_SW_jjP12ihipStream_tbEUlT_E2_NS1_11comp_targetILNS1_3genE5ELNS1_11target_archE942ELNS1_3gpuE9ELNS1_3repE0EEENS1_30default_config_static_selectorELNS0_4arch9wavefront6targetE0EEEvSK_.uses_flat_scratch, 0
	.set _ZN7rocprim17ROCPRIM_400000_NS6detail17trampoline_kernelINS0_14default_configENS1_36segmented_radix_sort_config_selectorIblEEZNS1_25segmented_radix_sort_implIS3_Lb0EPKbPbPKlPlN2at6native12_GLOBAL__N_18offset_tEEE10hipError_tPvRmT1_PNSt15iterator_traitsISK_E10value_typeET2_T3_PNSL_ISQ_E10value_typeET4_jRbjT5_SW_jjP12ihipStream_tbEUlT_E2_NS1_11comp_targetILNS1_3genE5ELNS1_11target_archE942ELNS1_3gpuE9ELNS1_3repE0EEENS1_30default_config_static_selectorELNS0_4arch9wavefront6targetE0EEEvSK_.has_dyn_sized_stack, 0
	.set _ZN7rocprim17ROCPRIM_400000_NS6detail17trampoline_kernelINS0_14default_configENS1_36segmented_radix_sort_config_selectorIblEEZNS1_25segmented_radix_sort_implIS3_Lb0EPKbPbPKlPlN2at6native12_GLOBAL__N_18offset_tEEE10hipError_tPvRmT1_PNSt15iterator_traitsISK_E10value_typeET2_T3_PNSL_ISQ_E10value_typeET4_jRbjT5_SW_jjP12ihipStream_tbEUlT_E2_NS1_11comp_targetILNS1_3genE5ELNS1_11target_archE942ELNS1_3gpuE9ELNS1_3repE0EEENS1_30default_config_static_selectorELNS0_4arch9wavefront6targetE0EEEvSK_.has_recursion, 0
	.set _ZN7rocprim17ROCPRIM_400000_NS6detail17trampoline_kernelINS0_14default_configENS1_36segmented_radix_sort_config_selectorIblEEZNS1_25segmented_radix_sort_implIS3_Lb0EPKbPbPKlPlN2at6native12_GLOBAL__N_18offset_tEEE10hipError_tPvRmT1_PNSt15iterator_traitsISK_E10value_typeET2_T3_PNSL_ISQ_E10value_typeET4_jRbjT5_SW_jjP12ihipStream_tbEUlT_E2_NS1_11comp_targetILNS1_3genE5ELNS1_11target_archE942ELNS1_3gpuE9ELNS1_3repE0EEENS1_30default_config_static_selectorELNS0_4arch9wavefront6targetE0EEEvSK_.has_indirect_call, 0
	.section	.AMDGPU.csdata,"",@progbits
; Kernel info:
; codeLenInByte = 0
; TotalNumSgprs: 0
; NumVgprs: 0
; ScratchSize: 0
; MemoryBound: 0
; FloatMode: 240
; IeeeMode: 1
; LDSByteSize: 0 bytes/workgroup (compile time only)
; SGPRBlocks: 0
; VGPRBlocks: 0
; NumSGPRsForWavesPerEU: 1
; NumVGPRsForWavesPerEU: 1
; Occupancy: 16
; WaveLimiterHint : 0
; COMPUTE_PGM_RSRC2:SCRATCH_EN: 0
; COMPUTE_PGM_RSRC2:USER_SGPR: 2
; COMPUTE_PGM_RSRC2:TRAP_HANDLER: 0
; COMPUTE_PGM_RSRC2:TGID_X_EN: 1
; COMPUTE_PGM_RSRC2:TGID_Y_EN: 0
; COMPUTE_PGM_RSRC2:TGID_Z_EN: 0
; COMPUTE_PGM_RSRC2:TIDIG_COMP_CNT: 0
	.section	.text._ZN7rocprim17ROCPRIM_400000_NS6detail17trampoline_kernelINS0_14default_configENS1_36segmented_radix_sort_config_selectorIblEEZNS1_25segmented_radix_sort_implIS3_Lb0EPKbPbPKlPlN2at6native12_GLOBAL__N_18offset_tEEE10hipError_tPvRmT1_PNSt15iterator_traitsISK_E10value_typeET2_T3_PNSL_ISQ_E10value_typeET4_jRbjT5_SW_jjP12ihipStream_tbEUlT_E2_NS1_11comp_targetILNS1_3genE4ELNS1_11target_archE910ELNS1_3gpuE8ELNS1_3repE0EEENS1_30default_config_static_selectorELNS0_4arch9wavefront6targetE0EEEvSK_,"axG",@progbits,_ZN7rocprim17ROCPRIM_400000_NS6detail17trampoline_kernelINS0_14default_configENS1_36segmented_radix_sort_config_selectorIblEEZNS1_25segmented_radix_sort_implIS3_Lb0EPKbPbPKlPlN2at6native12_GLOBAL__N_18offset_tEEE10hipError_tPvRmT1_PNSt15iterator_traitsISK_E10value_typeET2_T3_PNSL_ISQ_E10value_typeET4_jRbjT5_SW_jjP12ihipStream_tbEUlT_E2_NS1_11comp_targetILNS1_3genE4ELNS1_11target_archE910ELNS1_3gpuE8ELNS1_3repE0EEENS1_30default_config_static_selectorELNS0_4arch9wavefront6targetE0EEEvSK_,comdat
	.globl	_ZN7rocprim17ROCPRIM_400000_NS6detail17trampoline_kernelINS0_14default_configENS1_36segmented_radix_sort_config_selectorIblEEZNS1_25segmented_radix_sort_implIS3_Lb0EPKbPbPKlPlN2at6native12_GLOBAL__N_18offset_tEEE10hipError_tPvRmT1_PNSt15iterator_traitsISK_E10value_typeET2_T3_PNSL_ISQ_E10value_typeET4_jRbjT5_SW_jjP12ihipStream_tbEUlT_E2_NS1_11comp_targetILNS1_3genE4ELNS1_11target_archE910ELNS1_3gpuE8ELNS1_3repE0EEENS1_30default_config_static_selectorELNS0_4arch9wavefront6targetE0EEEvSK_ ; -- Begin function _ZN7rocprim17ROCPRIM_400000_NS6detail17trampoline_kernelINS0_14default_configENS1_36segmented_radix_sort_config_selectorIblEEZNS1_25segmented_radix_sort_implIS3_Lb0EPKbPbPKlPlN2at6native12_GLOBAL__N_18offset_tEEE10hipError_tPvRmT1_PNSt15iterator_traitsISK_E10value_typeET2_T3_PNSL_ISQ_E10value_typeET4_jRbjT5_SW_jjP12ihipStream_tbEUlT_E2_NS1_11comp_targetILNS1_3genE4ELNS1_11target_archE910ELNS1_3gpuE8ELNS1_3repE0EEENS1_30default_config_static_selectorELNS0_4arch9wavefront6targetE0EEEvSK_
	.p2align	8
	.type	_ZN7rocprim17ROCPRIM_400000_NS6detail17trampoline_kernelINS0_14default_configENS1_36segmented_radix_sort_config_selectorIblEEZNS1_25segmented_radix_sort_implIS3_Lb0EPKbPbPKlPlN2at6native12_GLOBAL__N_18offset_tEEE10hipError_tPvRmT1_PNSt15iterator_traitsISK_E10value_typeET2_T3_PNSL_ISQ_E10value_typeET4_jRbjT5_SW_jjP12ihipStream_tbEUlT_E2_NS1_11comp_targetILNS1_3genE4ELNS1_11target_archE910ELNS1_3gpuE8ELNS1_3repE0EEENS1_30default_config_static_selectorELNS0_4arch9wavefront6targetE0EEEvSK_,@function
_ZN7rocprim17ROCPRIM_400000_NS6detail17trampoline_kernelINS0_14default_configENS1_36segmented_radix_sort_config_selectorIblEEZNS1_25segmented_radix_sort_implIS3_Lb0EPKbPbPKlPlN2at6native12_GLOBAL__N_18offset_tEEE10hipError_tPvRmT1_PNSt15iterator_traitsISK_E10value_typeET2_T3_PNSL_ISQ_E10value_typeET4_jRbjT5_SW_jjP12ihipStream_tbEUlT_E2_NS1_11comp_targetILNS1_3genE4ELNS1_11target_archE910ELNS1_3gpuE8ELNS1_3repE0EEENS1_30default_config_static_selectorELNS0_4arch9wavefront6targetE0EEEvSK_: ; @_ZN7rocprim17ROCPRIM_400000_NS6detail17trampoline_kernelINS0_14default_configENS1_36segmented_radix_sort_config_selectorIblEEZNS1_25segmented_radix_sort_implIS3_Lb0EPKbPbPKlPlN2at6native12_GLOBAL__N_18offset_tEEE10hipError_tPvRmT1_PNSt15iterator_traitsISK_E10value_typeET2_T3_PNSL_ISQ_E10value_typeET4_jRbjT5_SW_jjP12ihipStream_tbEUlT_E2_NS1_11comp_targetILNS1_3genE4ELNS1_11target_archE910ELNS1_3gpuE8ELNS1_3repE0EEENS1_30default_config_static_selectorELNS0_4arch9wavefront6targetE0EEEvSK_
; %bb.0:
	.section	.rodata,"a",@progbits
	.p2align	6, 0x0
	.amdhsa_kernel _ZN7rocprim17ROCPRIM_400000_NS6detail17trampoline_kernelINS0_14default_configENS1_36segmented_radix_sort_config_selectorIblEEZNS1_25segmented_radix_sort_implIS3_Lb0EPKbPbPKlPlN2at6native12_GLOBAL__N_18offset_tEEE10hipError_tPvRmT1_PNSt15iterator_traitsISK_E10value_typeET2_T3_PNSL_ISQ_E10value_typeET4_jRbjT5_SW_jjP12ihipStream_tbEUlT_E2_NS1_11comp_targetILNS1_3genE4ELNS1_11target_archE910ELNS1_3gpuE8ELNS1_3repE0EEENS1_30default_config_static_selectorELNS0_4arch9wavefront6targetE0EEEvSK_
		.amdhsa_group_segment_fixed_size 0
		.amdhsa_private_segment_fixed_size 0
		.amdhsa_kernarg_size 80
		.amdhsa_user_sgpr_count 2
		.amdhsa_user_sgpr_dispatch_ptr 0
		.amdhsa_user_sgpr_queue_ptr 0
		.amdhsa_user_sgpr_kernarg_segment_ptr 1
		.amdhsa_user_sgpr_dispatch_id 0
		.amdhsa_user_sgpr_private_segment_size 0
		.amdhsa_wavefront_size32 1
		.amdhsa_uses_dynamic_stack 0
		.amdhsa_enable_private_segment 0
		.amdhsa_system_sgpr_workgroup_id_x 1
		.amdhsa_system_sgpr_workgroup_id_y 0
		.amdhsa_system_sgpr_workgroup_id_z 0
		.amdhsa_system_sgpr_workgroup_info 0
		.amdhsa_system_vgpr_workitem_id 0
		.amdhsa_next_free_vgpr 1
		.amdhsa_next_free_sgpr 1
		.amdhsa_reserve_vcc 0
		.amdhsa_float_round_mode_32 0
		.amdhsa_float_round_mode_16_64 0
		.amdhsa_float_denorm_mode_32 3
		.amdhsa_float_denorm_mode_16_64 3
		.amdhsa_fp16_overflow 0
		.amdhsa_workgroup_processor_mode 1
		.amdhsa_memory_ordered 1
		.amdhsa_forward_progress 1
		.amdhsa_inst_pref_size 0
		.amdhsa_round_robin_scheduling 0
		.amdhsa_exception_fp_ieee_invalid_op 0
		.amdhsa_exception_fp_denorm_src 0
		.amdhsa_exception_fp_ieee_div_zero 0
		.amdhsa_exception_fp_ieee_overflow 0
		.amdhsa_exception_fp_ieee_underflow 0
		.amdhsa_exception_fp_ieee_inexact 0
		.amdhsa_exception_int_div_zero 0
	.end_amdhsa_kernel
	.section	.text._ZN7rocprim17ROCPRIM_400000_NS6detail17trampoline_kernelINS0_14default_configENS1_36segmented_radix_sort_config_selectorIblEEZNS1_25segmented_radix_sort_implIS3_Lb0EPKbPbPKlPlN2at6native12_GLOBAL__N_18offset_tEEE10hipError_tPvRmT1_PNSt15iterator_traitsISK_E10value_typeET2_T3_PNSL_ISQ_E10value_typeET4_jRbjT5_SW_jjP12ihipStream_tbEUlT_E2_NS1_11comp_targetILNS1_3genE4ELNS1_11target_archE910ELNS1_3gpuE8ELNS1_3repE0EEENS1_30default_config_static_selectorELNS0_4arch9wavefront6targetE0EEEvSK_,"axG",@progbits,_ZN7rocprim17ROCPRIM_400000_NS6detail17trampoline_kernelINS0_14default_configENS1_36segmented_radix_sort_config_selectorIblEEZNS1_25segmented_radix_sort_implIS3_Lb0EPKbPbPKlPlN2at6native12_GLOBAL__N_18offset_tEEE10hipError_tPvRmT1_PNSt15iterator_traitsISK_E10value_typeET2_T3_PNSL_ISQ_E10value_typeET4_jRbjT5_SW_jjP12ihipStream_tbEUlT_E2_NS1_11comp_targetILNS1_3genE4ELNS1_11target_archE910ELNS1_3gpuE8ELNS1_3repE0EEENS1_30default_config_static_selectorELNS0_4arch9wavefront6targetE0EEEvSK_,comdat
.Lfunc_end1667:
	.size	_ZN7rocprim17ROCPRIM_400000_NS6detail17trampoline_kernelINS0_14default_configENS1_36segmented_radix_sort_config_selectorIblEEZNS1_25segmented_radix_sort_implIS3_Lb0EPKbPbPKlPlN2at6native12_GLOBAL__N_18offset_tEEE10hipError_tPvRmT1_PNSt15iterator_traitsISK_E10value_typeET2_T3_PNSL_ISQ_E10value_typeET4_jRbjT5_SW_jjP12ihipStream_tbEUlT_E2_NS1_11comp_targetILNS1_3genE4ELNS1_11target_archE910ELNS1_3gpuE8ELNS1_3repE0EEENS1_30default_config_static_selectorELNS0_4arch9wavefront6targetE0EEEvSK_, .Lfunc_end1667-_ZN7rocprim17ROCPRIM_400000_NS6detail17trampoline_kernelINS0_14default_configENS1_36segmented_radix_sort_config_selectorIblEEZNS1_25segmented_radix_sort_implIS3_Lb0EPKbPbPKlPlN2at6native12_GLOBAL__N_18offset_tEEE10hipError_tPvRmT1_PNSt15iterator_traitsISK_E10value_typeET2_T3_PNSL_ISQ_E10value_typeET4_jRbjT5_SW_jjP12ihipStream_tbEUlT_E2_NS1_11comp_targetILNS1_3genE4ELNS1_11target_archE910ELNS1_3gpuE8ELNS1_3repE0EEENS1_30default_config_static_selectorELNS0_4arch9wavefront6targetE0EEEvSK_
                                        ; -- End function
	.set _ZN7rocprim17ROCPRIM_400000_NS6detail17trampoline_kernelINS0_14default_configENS1_36segmented_radix_sort_config_selectorIblEEZNS1_25segmented_radix_sort_implIS3_Lb0EPKbPbPKlPlN2at6native12_GLOBAL__N_18offset_tEEE10hipError_tPvRmT1_PNSt15iterator_traitsISK_E10value_typeET2_T3_PNSL_ISQ_E10value_typeET4_jRbjT5_SW_jjP12ihipStream_tbEUlT_E2_NS1_11comp_targetILNS1_3genE4ELNS1_11target_archE910ELNS1_3gpuE8ELNS1_3repE0EEENS1_30default_config_static_selectorELNS0_4arch9wavefront6targetE0EEEvSK_.num_vgpr, 0
	.set _ZN7rocprim17ROCPRIM_400000_NS6detail17trampoline_kernelINS0_14default_configENS1_36segmented_radix_sort_config_selectorIblEEZNS1_25segmented_radix_sort_implIS3_Lb0EPKbPbPKlPlN2at6native12_GLOBAL__N_18offset_tEEE10hipError_tPvRmT1_PNSt15iterator_traitsISK_E10value_typeET2_T3_PNSL_ISQ_E10value_typeET4_jRbjT5_SW_jjP12ihipStream_tbEUlT_E2_NS1_11comp_targetILNS1_3genE4ELNS1_11target_archE910ELNS1_3gpuE8ELNS1_3repE0EEENS1_30default_config_static_selectorELNS0_4arch9wavefront6targetE0EEEvSK_.num_agpr, 0
	.set _ZN7rocprim17ROCPRIM_400000_NS6detail17trampoline_kernelINS0_14default_configENS1_36segmented_radix_sort_config_selectorIblEEZNS1_25segmented_radix_sort_implIS3_Lb0EPKbPbPKlPlN2at6native12_GLOBAL__N_18offset_tEEE10hipError_tPvRmT1_PNSt15iterator_traitsISK_E10value_typeET2_T3_PNSL_ISQ_E10value_typeET4_jRbjT5_SW_jjP12ihipStream_tbEUlT_E2_NS1_11comp_targetILNS1_3genE4ELNS1_11target_archE910ELNS1_3gpuE8ELNS1_3repE0EEENS1_30default_config_static_selectorELNS0_4arch9wavefront6targetE0EEEvSK_.numbered_sgpr, 0
	.set _ZN7rocprim17ROCPRIM_400000_NS6detail17trampoline_kernelINS0_14default_configENS1_36segmented_radix_sort_config_selectorIblEEZNS1_25segmented_radix_sort_implIS3_Lb0EPKbPbPKlPlN2at6native12_GLOBAL__N_18offset_tEEE10hipError_tPvRmT1_PNSt15iterator_traitsISK_E10value_typeET2_T3_PNSL_ISQ_E10value_typeET4_jRbjT5_SW_jjP12ihipStream_tbEUlT_E2_NS1_11comp_targetILNS1_3genE4ELNS1_11target_archE910ELNS1_3gpuE8ELNS1_3repE0EEENS1_30default_config_static_selectorELNS0_4arch9wavefront6targetE0EEEvSK_.num_named_barrier, 0
	.set _ZN7rocprim17ROCPRIM_400000_NS6detail17trampoline_kernelINS0_14default_configENS1_36segmented_radix_sort_config_selectorIblEEZNS1_25segmented_radix_sort_implIS3_Lb0EPKbPbPKlPlN2at6native12_GLOBAL__N_18offset_tEEE10hipError_tPvRmT1_PNSt15iterator_traitsISK_E10value_typeET2_T3_PNSL_ISQ_E10value_typeET4_jRbjT5_SW_jjP12ihipStream_tbEUlT_E2_NS1_11comp_targetILNS1_3genE4ELNS1_11target_archE910ELNS1_3gpuE8ELNS1_3repE0EEENS1_30default_config_static_selectorELNS0_4arch9wavefront6targetE0EEEvSK_.private_seg_size, 0
	.set _ZN7rocprim17ROCPRIM_400000_NS6detail17trampoline_kernelINS0_14default_configENS1_36segmented_radix_sort_config_selectorIblEEZNS1_25segmented_radix_sort_implIS3_Lb0EPKbPbPKlPlN2at6native12_GLOBAL__N_18offset_tEEE10hipError_tPvRmT1_PNSt15iterator_traitsISK_E10value_typeET2_T3_PNSL_ISQ_E10value_typeET4_jRbjT5_SW_jjP12ihipStream_tbEUlT_E2_NS1_11comp_targetILNS1_3genE4ELNS1_11target_archE910ELNS1_3gpuE8ELNS1_3repE0EEENS1_30default_config_static_selectorELNS0_4arch9wavefront6targetE0EEEvSK_.uses_vcc, 0
	.set _ZN7rocprim17ROCPRIM_400000_NS6detail17trampoline_kernelINS0_14default_configENS1_36segmented_radix_sort_config_selectorIblEEZNS1_25segmented_radix_sort_implIS3_Lb0EPKbPbPKlPlN2at6native12_GLOBAL__N_18offset_tEEE10hipError_tPvRmT1_PNSt15iterator_traitsISK_E10value_typeET2_T3_PNSL_ISQ_E10value_typeET4_jRbjT5_SW_jjP12ihipStream_tbEUlT_E2_NS1_11comp_targetILNS1_3genE4ELNS1_11target_archE910ELNS1_3gpuE8ELNS1_3repE0EEENS1_30default_config_static_selectorELNS0_4arch9wavefront6targetE0EEEvSK_.uses_flat_scratch, 0
	.set _ZN7rocprim17ROCPRIM_400000_NS6detail17trampoline_kernelINS0_14default_configENS1_36segmented_radix_sort_config_selectorIblEEZNS1_25segmented_radix_sort_implIS3_Lb0EPKbPbPKlPlN2at6native12_GLOBAL__N_18offset_tEEE10hipError_tPvRmT1_PNSt15iterator_traitsISK_E10value_typeET2_T3_PNSL_ISQ_E10value_typeET4_jRbjT5_SW_jjP12ihipStream_tbEUlT_E2_NS1_11comp_targetILNS1_3genE4ELNS1_11target_archE910ELNS1_3gpuE8ELNS1_3repE0EEENS1_30default_config_static_selectorELNS0_4arch9wavefront6targetE0EEEvSK_.has_dyn_sized_stack, 0
	.set _ZN7rocprim17ROCPRIM_400000_NS6detail17trampoline_kernelINS0_14default_configENS1_36segmented_radix_sort_config_selectorIblEEZNS1_25segmented_radix_sort_implIS3_Lb0EPKbPbPKlPlN2at6native12_GLOBAL__N_18offset_tEEE10hipError_tPvRmT1_PNSt15iterator_traitsISK_E10value_typeET2_T3_PNSL_ISQ_E10value_typeET4_jRbjT5_SW_jjP12ihipStream_tbEUlT_E2_NS1_11comp_targetILNS1_3genE4ELNS1_11target_archE910ELNS1_3gpuE8ELNS1_3repE0EEENS1_30default_config_static_selectorELNS0_4arch9wavefront6targetE0EEEvSK_.has_recursion, 0
	.set _ZN7rocprim17ROCPRIM_400000_NS6detail17trampoline_kernelINS0_14default_configENS1_36segmented_radix_sort_config_selectorIblEEZNS1_25segmented_radix_sort_implIS3_Lb0EPKbPbPKlPlN2at6native12_GLOBAL__N_18offset_tEEE10hipError_tPvRmT1_PNSt15iterator_traitsISK_E10value_typeET2_T3_PNSL_ISQ_E10value_typeET4_jRbjT5_SW_jjP12ihipStream_tbEUlT_E2_NS1_11comp_targetILNS1_3genE4ELNS1_11target_archE910ELNS1_3gpuE8ELNS1_3repE0EEENS1_30default_config_static_selectorELNS0_4arch9wavefront6targetE0EEEvSK_.has_indirect_call, 0
	.section	.AMDGPU.csdata,"",@progbits
; Kernel info:
; codeLenInByte = 0
; TotalNumSgprs: 0
; NumVgprs: 0
; ScratchSize: 0
; MemoryBound: 0
; FloatMode: 240
; IeeeMode: 1
; LDSByteSize: 0 bytes/workgroup (compile time only)
; SGPRBlocks: 0
; VGPRBlocks: 0
; NumSGPRsForWavesPerEU: 1
; NumVGPRsForWavesPerEU: 1
; Occupancy: 16
; WaveLimiterHint : 0
; COMPUTE_PGM_RSRC2:SCRATCH_EN: 0
; COMPUTE_PGM_RSRC2:USER_SGPR: 2
; COMPUTE_PGM_RSRC2:TRAP_HANDLER: 0
; COMPUTE_PGM_RSRC2:TGID_X_EN: 1
; COMPUTE_PGM_RSRC2:TGID_Y_EN: 0
; COMPUTE_PGM_RSRC2:TGID_Z_EN: 0
; COMPUTE_PGM_RSRC2:TIDIG_COMP_CNT: 0
	.section	.text._ZN7rocprim17ROCPRIM_400000_NS6detail17trampoline_kernelINS0_14default_configENS1_36segmented_radix_sort_config_selectorIblEEZNS1_25segmented_radix_sort_implIS3_Lb0EPKbPbPKlPlN2at6native12_GLOBAL__N_18offset_tEEE10hipError_tPvRmT1_PNSt15iterator_traitsISK_E10value_typeET2_T3_PNSL_ISQ_E10value_typeET4_jRbjT5_SW_jjP12ihipStream_tbEUlT_E2_NS1_11comp_targetILNS1_3genE3ELNS1_11target_archE908ELNS1_3gpuE7ELNS1_3repE0EEENS1_30default_config_static_selectorELNS0_4arch9wavefront6targetE0EEEvSK_,"axG",@progbits,_ZN7rocprim17ROCPRIM_400000_NS6detail17trampoline_kernelINS0_14default_configENS1_36segmented_radix_sort_config_selectorIblEEZNS1_25segmented_radix_sort_implIS3_Lb0EPKbPbPKlPlN2at6native12_GLOBAL__N_18offset_tEEE10hipError_tPvRmT1_PNSt15iterator_traitsISK_E10value_typeET2_T3_PNSL_ISQ_E10value_typeET4_jRbjT5_SW_jjP12ihipStream_tbEUlT_E2_NS1_11comp_targetILNS1_3genE3ELNS1_11target_archE908ELNS1_3gpuE7ELNS1_3repE0EEENS1_30default_config_static_selectorELNS0_4arch9wavefront6targetE0EEEvSK_,comdat
	.globl	_ZN7rocprim17ROCPRIM_400000_NS6detail17trampoline_kernelINS0_14default_configENS1_36segmented_radix_sort_config_selectorIblEEZNS1_25segmented_radix_sort_implIS3_Lb0EPKbPbPKlPlN2at6native12_GLOBAL__N_18offset_tEEE10hipError_tPvRmT1_PNSt15iterator_traitsISK_E10value_typeET2_T3_PNSL_ISQ_E10value_typeET4_jRbjT5_SW_jjP12ihipStream_tbEUlT_E2_NS1_11comp_targetILNS1_3genE3ELNS1_11target_archE908ELNS1_3gpuE7ELNS1_3repE0EEENS1_30default_config_static_selectorELNS0_4arch9wavefront6targetE0EEEvSK_ ; -- Begin function _ZN7rocprim17ROCPRIM_400000_NS6detail17trampoline_kernelINS0_14default_configENS1_36segmented_radix_sort_config_selectorIblEEZNS1_25segmented_radix_sort_implIS3_Lb0EPKbPbPKlPlN2at6native12_GLOBAL__N_18offset_tEEE10hipError_tPvRmT1_PNSt15iterator_traitsISK_E10value_typeET2_T3_PNSL_ISQ_E10value_typeET4_jRbjT5_SW_jjP12ihipStream_tbEUlT_E2_NS1_11comp_targetILNS1_3genE3ELNS1_11target_archE908ELNS1_3gpuE7ELNS1_3repE0EEENS1_30default_config_static_selectorELNS0_4arch9wavefront6targetE0EEEvSK_
	.p2align	8
	.type	_ZN7rocprim17ROCPRIM_400000_NS6detail17trampoline_kernelINS0_14default_configENS1_36segmented_radix_sort_config_selectorIblEEZNS1_25segmented_radix_sort_implIS3_Lb0EPKbPbPKlPlN2at6native12_GLOBAL__N_18offset_tEEE10hipError_tPvRmT1_PNSt15iterator_traitsISK_E10value_typeET2_T3_PNSL_ISQ_E10value_typeET4_jRbjT5_SW_jjP12ihipStream_tbEUlT_E2_NS1_11comp_targetILNS1_3genE3ELNS1_11target_archE908ELNS1_3gpuE7ELNS1_3repE0EEENS1_30default_config_static_selectorELNS0_4arch9wavefront6targetE0EEEvSK_,@function
_ZN7rocprim17ROCPRIM_400000_NS6detail17trampoline_kernelINS0_14default_configENS1_36segmented_radix_sort_config_selectorIblEEZNS1_25segmented_radix_sort_implIS3_Lb0EPKbPbPKlPlN2at6native12_GLOBAL__N_18offset_tEEE10hipError_tPvRmT1_PNSt15iterator_traitsISK_E10value_typeET2_T3_PNSL_ISQ_E10value_typeET4_jRbjT5_SW_jjP12ihipStream_tbEUlT_E2_NS1_11comp_targetILNS1_3genE3ELNS1_11target_archE908ELNS1_3gpuE7ELNS1_3repE0EEENS1_30default_config_static_selectorELNS0_4arch9wavefront6targetE0EEEvSK_: ; @_ZN7rocprim17ROCPRIM_400000_NS6detail17trampoline_kernelINS0_14default_configENS1_36segmented_radix_sort_config_selectorIblEEZNS1_25segmented_radix_sort_implIS3_Lb0EPKbPbPKlPlN2at6native12_GLOBAL__N_18offset_tEEE10hipError_tPvRmT1_PNSt15iterator_traitsISK_E10value_typeET2_T3_PNSL_ISQ_E10value_typeET4_jRbjT5_SW_jjP12ihipStream_tbEUlT_E2_NS1_11comp_targetILNS1_3genE3ELNS1_11target_archE908ELNS1_3gpuE7ELNS1_3repE0EEENS1_30default_config_static_selectorELNS0_4arch9wavefront6targetE0EEEvSK_
; %bb.0:
	.section	.rodata,"a",@progbits
	.p2align	6, 0x0
	.amdhsa_kernel _ZN7rocprim17ROCPRIM_400000_NS6detail17trampoline_kernelINS0_14default_configENS1_36segmented_radix_sort_config_selectorIblEEZNS1_25segmented_radix_sort_implIS3_Lb0EPKbPbPKlPlN2at6native12_GLOBAL__N_18offset_tEEE10hipError_tPvRmT1_PNSt15iterator_traitsISK_E10value_typeET2_T3_PNSL_ISQ_E10value_typeET4_jRbjT5_SW_jjP12ihipStream_tbEUlT_E2_NS1_11comp_targetILNS1_3genE3ELNS1_11target_archE908ELNS1_3gpuE7ELNS1_3repE0EEENS1_30default_config_static_selectorELNS0_4arch9wavefront6targetE0EEEvSK_
		.amdhsa_group_segment_fixed_size 0
		.amdhsa_private_segment_fixed_size 0
		.amdhsa_kernarg_size 80
		.amdhsa_user_sgpr_count 2
		.amdhsa_user_sgpr_dispatch_ptr 0
		.amdhsa_user_sgpr_queue_ptr 0
		.amdhsa_user_sgpr_kernarg_segment_ptr 1
		.amdhsa_user_sgpr_dispatch_id 0
		.amdhsa_user_sgpr_private_segment_size 0
		.amdhsa_wavefront_size32 1
		.amdhsa_uses_dynamic_stack 0
		.amdhsa_enable_private_segment 0
		.amdhsa_system_sgpr_workgroup_id_x 1
		.amdhsa_system_sgpr_workgroup_id_y 0
		.amdhsa_system_sgpr_workgroup_id_z 0
		.amdhsa_system_sgpr_workgroup_info 0
		.amdhsa_system_vgpr_workitem_id 0
		.amdhsa_next_free_vgpr 1
		.amdhsa_next_free_sgpr 1
		.amdhsa_reserve_vcc 0
		.amdhsa_float_round_mode_32 0
		.amdhsa_float_round_mode_16_64 0
		.amdhsa_float_denorm_mode_32 3
		.amdhsa_float_denorm_mode_16_64 3
		.amdhsa_fp16_overflow 0
		.amdhsa_workgroup_processor_mode 1
		.amdhsa_memory_ordered 1
		.amdhsa_forward_progress 1
		.amdhsa_inst_pref_size 0
		.amdhsa_round_robin_scheduling 0
		.amdhsa_exception_fp_ieee_invalid_op 0
		.amdhsa_exception_fp_denorm_src 0
		.amdhsa_exception_fp_ieee_div_zero 0
		.amdhsa_exception_fp_ieee_overflow 0
		.amdhsa_exception_fp_ieee_underflow 0
		.amdhsa_exception_fp_ieee_inexact 0
		.amdhsa_exception_int_div_zero 0
	.end_amdhsa_kernel
	.section	.text._ZN7rocprim17ROCPRIM_400000_NS6detail17trampoline_kernelINS0_14default_configENS1_36segmented_radix_sort_config_selectorIblEEZNS1_25segmented_radix_sort_implIS3_Lb0EPKbPbPKlPlN2at6native12_GLOBAL__N_18offset_tEEE10hipError_tPvRmT1_PNSt15iterator_traitsISK_E10value_typeET2_T3_PNSL_ISQ_E10value_typeET4_jRbjT5_SW_jjP12ihipStream_tbEUlT_E2_NS1_11comp_targetILNS1_3genE3ELNS1_11target_archE908ELNS1_3gpuE7ELNS1_3repE0EEENS1_30default_config_static_selectorELNS0_4arch9wavefront6targetE0EEEvSK_,"axG",@progbits,_ZN7rocprim17ROCPRIM_400000_NS6detail17trampoline_kernelINS0_14default_configENS1_36segmented_radix_sort_config_selectorIblEEZNS1_25segmented_radix_sort_implIS3_Lb0EPKbPbPKlPlN2at6native12_GLOBAL__N_18offset_tEEE10hipError_tPvRmT1_PNSt15iterator_traitsISK_E10value_typeET2_T3_PNSL_ISQ_E10value_typeET4_jRbjT5_SW_jjP12ihipStream_tbEUlT_E2_NS1_11comp_targetILNS1_3genE3ELNS1_11target_archE908ELNS1_3gpuE7ELNS1_3repE0EEENS1_30default_config_static_selectorELNS0_4arch9wavefront6targetE0EEEvSK_,comdat
.Lfunc_end1668:
	.size	_ZN7rocprim17ROCPRIM_400000_NS6detail17trampoline_kernelINS0_14default_configENS1_36segmented_radix_sort_config_selectorIblEEZNS1_25segmented_radix_sort_implIS3_Lb0EPKbPbPKlPlN2at6native12_GLOBAL__N_18offset_tEEE10hipError_tPvRmT1_PNSt15iterator_traitsISK_E10value_typeET2_T3_PNSL_ISQ_E10value_typeET4_jRbjT5_SW_jjP12ihipStream_tbEUlT_E2_NS1_11comp_targetILNS1_3genE3ELNS1_11target_archE908ELNS1_3gpuE7ELNS1_3repE0EEENS1_30default_config_static_selectorELNS0_4arch9wavefront6targetE0EEEvSK_, .Lfunc_end1668-_ZN7rocprim17ROCPRIM_400000_NS6detail17trampoline_kernelINS0_14default_configENS1_36segmented_radix_sort_config_selectorIblEEZNS1_25segmented_radix_sort_implIS3_Lb0EPKbPbPKlPlN2at6native12_GLOBAL__N_18offset_tEEE10hipError_tPvRmT1_PNSt15iterator_traitsISK_E10value_typeET2_T3_PNSL_ISQ_E10value_typeET4_jRbjT5_SW_jjP12ihipStream_tbEUlT_E2_NS1_11comp_targetILNS1_3genE3ELNS1_11target_archE908ELNS1_3gpuE7ELNS1_3repE0EEENS1_30default_config_static_selectorELNS0_4arch9wavefront6targetE0EEEvSK_
                                        ; -- End function
	.set _ZN7rocprim17ROCPRIM_400000_NS6detail17trampoline_kernelINS0_14default_configENS1_36segmented_radix_sort_config_selectorIblEEZNS1_25segmented_radix_sort_implIS3_Lb0EPKbPbPKlPlN2at6native12_GLOBAL__N_18offset_tEEE10hipError_tPvRmT1_PNSt15iterator_traitsISK_E10value_typeET2_T3_PNSL_ISQ_E10value_typeET4_jRbjT5_SW_jjP12ihipStream_tbEUlT_E2_NS1_11comp_targetILNS1_3genE3ELNS1_11target_archE908ELNS1_3gpuE7ELNS1_3repE0EEENS1_30default_config_static_selectorELNS0_4arch9wavefront6targetE0EEEvSK_.num_vgpr, 0
	.set _ZN7rocprim17ROCPRIM_400000_NS6detail17trampoline_kernelINS0_14default_configENS1_36segmented_radix_sort_config_selectorIblEEZNS1_25segmented_radix_sort_implIS3_Lb0EPKbPbPKlPlN2at6native12_GLOBAL__N_18offset_tEEE10hipError_tPvRmT1_PNSt15iterator_traitsISK_E10value_typeET2_T3_PNSL_ISQ_E10value_typeET4_jRbjT5_SW_jjP12ihipStream_tbEUlT_E2_NS1_11comp_targetILNS1_3genE3ELNS1_11target_archE908ELNS1_3gpuE7ELNS1_3repE0EEENS1_30default_config_static_selectorELNS0_4arch9wavefront6targetE0EEEvSK_.num_agpr, 0
	.set _ZN7rocprim17ROCPRIM_400000_NS6detail17trampoline_kernelINS0_14default_configENS1_36segmented_radix_sort_config_selectorIblEEZNS1_25segmented_radix_sort_implIS3_Lb0EPKbPbPKlPlN2at6native12_GLOBAL__N_18offset_tEEE10hipError_tPvRmT1_PNSt15iterator_traitsISK_E10value_typeET2_T3_PNSL_ISQ_E10value_typeET4_jRbjT5_SW_jjP12ihipStream_tbEUlT_E2_NS1_11comp_targetILNS1_3genE3ELNS1_11target_archE908ELNS1_3gpuE7ELNS1_3repE0EEENS1_30default_config_static_selectorELNS0_4arch9wavefront6targetE0EEEvSK_.numbered_sgpr, 0
	.set _ZN7rocprim17ROCPRIM_400000_NS6detail17trampoline_kernelINS0_14default_configENS1_36segmented_radix_sort_config_selectorIblEEZNS1_25segmented_radix_sort_implIS3_Lb0EPKbPbPKlPlN2at6native12_GLOBAL__N_18offset_tEEE10hipError_tPvRmT1_PNSt15iterator_traitsISK_E10value_typeET2_T3_PNSL_ISQ_E10value_typeET4_jRbjT5_SW_jjP12ihipStream_tbEUlT_E2_NS1_11comp_targetILNS1_3genE3ELNS1_11target_archE908ELNS1_3gpuE7ELNS1_3repE0EEENS1_30default_config_static_selectorELNS0_4arch9wavefront6targetE0EEEvSK_.num_named_barrier, 0
	.set _ZN7rocprim17ROCPRIM_400000_NS6detail17trampoline_kernelINS0_14default_configENS1_36segmented_radix_sort_config_selectorIblEEZNS1_25segmented_radix_sort_implIS3_Lb0EPKbPbPKlPlN2at6native12_GLOBAL__N_18offset_tEEE10hipError_tPvRmT1_PNSt15iterator_traitsISK_E10value_typeET2_T3_PNSL_ISQ_E10value_typeET4_jRbjT5_SW_jjP12ihipStream_tbEUlT_E2_NS1_11comp_targetILNS1_3genE3ELNS1_11target_archE908ELNS1_3gpuE7ELNS1_3repE0EEENS1_30default_config_static_selectorELNS0_4arch9wavefront6targetE0EEEvSK_.private_seg_size, 0
	.set _ZN7rocprim17ROCPRIM_400000_NS6detail17trampoline_kernelINS0_14default_configENS1_36segmented_radix_sort_config_selectorIblEEZNS1_25segmented_radix_sort_implIS3_Lb0EPKbPbPKlPlN2at6native12_GLOBAL__N_18offset_tEEE10hipError_tPvRmT1_PNSt15iterator_traitsISK_E10value_typeET2_T3_PNSL_ISQ_E10value_typeET4_jRbjT5_SW_jjP12ihipStream_tbEUlT_E2_NS1_11comp_targetILNS1_3genE3ELNS1_11target_archE908ELNS1_3gpuE7ELNS1_3repE0EEENS1_30default_config_static_selectorELNS0_4arch9wavefront6targetE0EEEvSK_.uses_vcc, 0
	.set _ZN7rocprim17ROCPRIM_400000_NS6detail17trampoline_kernelINS0_14default_configENS1_36segmented_radix_sort_config_selectorIblEEZNS1_25segmented_radix_sort_implIS3_Lb0EPKbPbPKlPlN2at6native12_GLOBAL__N_18offset_tEEE10hipError_tPvRmT1_PNSt15iterator_traitsISK_E10value_typeET2_T3_PNSL_ISQ_E10value_typeET4_jRbjT5_SW_jjP12ihipStream_tbEUlT_E2_NS1_11comp_targetILNS1_3genE3ELNS1_11target_archE908ELNS1_3gpuE7ELNS1_3repE0EEENS1_30default_config_static_selectorELNS0_4arch9wavefront6targetE0EEEvSK_.uses_flat_scratch, 0
	.set _ZN7rocprim17ROCPRIM_400000_NS6detail17trampoline_kernelINS0_14default_configENS1_36segmented_radix_sort_config_selectorIblEEZNS1_25segmented_radix_sort_implIS3_Lb0EPKbPbPKlPlN2at6native12_GLOBAL__N_18offset_tEEE10hipError_tPvRmT1_PNSt15iterator_traitsISK_E10value_typeET2_T3_PNSL_ISQ_E10value_typeET4_jRbjT5_SW_jjP12ihipStream_tbEUlT_E2_NS1_11comp_targetILNS1_3genE3ELNS1_11target_archE908ELNS1_3gpuE7ELNS1_3repE0EEENS1_30default_config_static_selectorELNS0_4arch9wavefront6targetE0EEEvSK_.has_dyn_sized_stack, 0
	.set _ZN7rocprim17ROCPRIM_400000_NS6detail17trampoline_kernelINS0_14default_configENS1_36segmented_radix_sort_config_selectorIblEEZNS1_25segmented_radix_sort_implIS3_Lb0EPKbPbPKlPlN2at6native12_GLOBAL__N_18offset_tEEE10hipError_tPvRmT1_PNSt15iterator_traitsISK_E10value_typeET2_T3_PNSL_ISQ_E10value_typeET4_jRbjT5_SW_jjP12ihipStream_tbEUlT_E2_NS1_11comp_targetILNS1_3genE3ELNS1_11target_archE908ELNS1_3gpuE7ELNS1_3repE0EEENS1_30default_config_static_selectorELNS0_4arch9wavefront6targetE0EEEvSK_.has_recursion, 0
	.set _ZN7rocprim17ROCPRIM_400000_NS6detail17trampoline_kernelINS0_14default_configENS1_36segmented_radix_sort_config_selectorIblEEZNS1_25segmented_radix_sort_implIS3_Lb0EPKbPbPKlPlN2at6native12_GLOBAL__N_18offset_tEEE10hipError_tPvRmT1_PNSt15iterator_traitsISK_E10value_typeET2_T3_PNSL_ISQ_E10value_typeET4_jRbjT5_SW_jjP12ihipStream_tbEUlT_E2_NS1_11comp_targetILNS1_3genE3ELNS1_11target_archE908ELNS1_3gpuE7ELNS1_3repE0EEENS1_30default_config_static_selectorELNS0_4arch9wavefront6targetE0EEEvSK_.has_indirect_call, 0
	.section	.AMDGPU.csdata,"",@progbits
; Kernel info:
; codeLenInByte = 0
; TotalNumSgprs: 0
; NumVgprs: 0
; ScratchSize: 0
; MemoryBound: 0
; FloatMode: 240
; IeeeMode: 1
; LDSByteSize: 0 bytes/workgroup (compile time only)
; SGPRBlocks: 0
; VGPRBlocks: 0
; NumSGPRsForWavesPerEU: 1
; NumVGPRsForWavesPerEU: 1
; Occupancy: 16
; WaveLimiterHint : 0
; COMPUTE_PGM_RSRC2:SCRATCH_EN: 0
; COMPUTE_PGM_RSRC2:USER_SGPR: 2
; COMPUTE_PGM_RSRC2:TRAP_HANDLER: 0
; COMPUTE_PGM_RSRC2:TGID_X_EN: 1
; COMPUTE_PGM_RSRC2:TGID_Y_EN: 0
; COMPUTE_PGM_RSRC2:TGID_Z_EN: 0
; COMPUTE_PGM_RSRC2:TIDIG_COMP_CNT: 0
	.section	.text._ZN7rocprim17ROCPRIM_400000_NS6detail17trampoline_kernelINS0_14default_configENS1_36segmented_radix_sort_config_selectorIblEEZNS1_25segmented_radix_sort_implIS3_Lb0EPKbPbPKlPlN2at6native12_GLOBAL__N_18offset_tEEE10hipError_tPvRmT1_PNSt15iterator_traitsISK_E10value_typeET2_T3_PNSL_ISQ_E10value_typeET4_jRbjT5_SW_jjP12ihipStream_tbEUlT_E2_NS1_11comp_targetILNS1_3genE2ELNS1_11target_archE906ELNS1_3gpuE6ELNS1_3repE0EEENS1_30default_config_static_selectorELNS0_4arch9wavefront6targetE0EEEvSK_,"axG",@progbits,_ZN7rocprim17ROCPRIM_400000_NS6detail17trampoline_kernelINS0_14default_configENS1_36segmented_radix_sort_config_selectorIblEEZNS1_25segmented_radix_sort_implIS3_Lb0EPKbPbPKlPlN2at6native12_GLOBAL__N_18offset_tEEE10hipError_tPvRmT1_PNSt15iterator_traitsISK_E10value_typeET2_T3_PNSL_ISQ_E10value_typeET4_jRbjT5_SW_jjP12ihipStream_tbEUlT_E2_NS1_11comp_targetILNS1_3genE2ELNS1_11target_archE906ELNS1_3gpuE6ELNS1_3repE0EEENS1_30default_config_static_selectorELNS0_4arch9wavefront6targetE0EEEvSK_,comdat
	.globl	_ZN7rocprim17ROCPRIM_400000_NS6detail17trampoline_kernelINS0_14default_configENS1_36segmented_radix_sort_config_selectorIblEEZNS1_25segmented_radix_sort_implIS3_Lb0EPKbPbPKlPlN2at6native12_GLOBAL__N_18offset_tEEE10hipError_tPvRmT1_PNSt15iterator_traitsISK_E10value_typeET2_T3_PNSL_ISQ_E10value_typeET4_jRbjT5_SW_jjP12ihipStream_tbEUlT_E2_NS1_11comp_targetILNS1_3genE2ELNS1_11target_archE906ELNS1_3gpuE6ELNS1_3repE0EEENS1_30default_config_static_selectorELNS0_4arch9wavefront6targetE0EEEvSK_ ; -- Begin function _ZN7rocprim17ROCPRIM_400000_NS6detail17trampoline_kernelINS0_14default_configENS1_36segmented_radix_sort_config_selectorIblEEZNS1_25segmented_radix_sort_implIS3_Lb0EPKbPbPKlPlN2at6native12_GLOBAL__N_18offset_tEEE10hipError_tPvRmT1_PNSt15iterator_traitsISK_E10value_typeET2_T3_PNSL_ISQ_E10value_typeET4_jRbjT5_SW_jjP12ihipStream_tbEUlT_E2_NS1_11comp_targetILNS1_3genE2ELNS1_11target_archE906ELNS1_3gpuE6ELNS1_3repE0EEENS1_30default_config_static_selectorELNS0_4arch9wavefront6targetE0EEEvSK_
	.p2align	8
	.type	_ZN7rocprim17ROCPRIM_400000_NS6detail17trampoline_kernelINS0_14default_configENS1_36segmented_radix_sort_config_selectorIblEEZNS1_25segmented_radix_sort_implIS3_Lb0EPKbPbPKlPlN2at6native12_GLOBAL__N_18offset_tEEE10hipError_tPvRmT1_PNSt15iterator_traitsISK_E10value_typeET2_T3_PNSL_ISQ_E10value_typeET4_jRbjT5_SW_jjP12ihipStream_tbEUlT_E2_NS1_11comp_targetILNS1_3genE2ELNS1_11target_archE906ELNS1_3gpuE6ELNS1_3repE0EEENS1_30default_config_static_selectorELNS0_4arch9wavefront6targetE0EEEvSK_,@function
_ZN7rocprim17ROCPRIM_400000_NS6detail17trampoline_kernelINS0_14default_configENS1_36segmented_radix_sort_config_selectorIblEEZNS1_25segmented_radix_sort_implIS3_Lb0EPKbPbPKlPlN2at6native12_GLOBAL__N_18offset_tEEE10hipError_tPvRmT1_PNSt15iterator_traitsISK_E10value_typeET2_T3_PNSL_ISQ_E10value_typeET4_jRbjT5_SW_jjP12ihipStream_tbEUlT_E2_NS1_11comp_targetILNS1_3genE2ELNS1_11target_archE906ELNS1_3gpuE6ELNS1_3repE0EEENS1_30default_config_static_selectorELNS0_4arch9wavefront6targetE0EEEvSK_: ; @_ZN7rocprim17ROCPRIM_400000_NS6detail17trampoline_kernelINS0_14default_configENS1_36segmented_radix_sort_config_selectorIblEEZNS1_25segmented_radix_sort_implIS3_Lb0EPKbPbPKlPlN2at6native12_GLOBAL__N_18offset_tEEE10hipError_tPvRmT1_PNSt15iterator_traitsISK_E10value_typeET2_T3_PNSL_ISQ_E10value_typeET4_jRbjT5_SW_jjP12ihipStream_tbEUlT_E2_NS1_11comp_targetILNS1_3genE2ELNS1_11target_archE906ELNS1_3gpuE6ELNS1_3repE0EEENS1_30default_config_static_selectorELNS0_4arch9wavefront6targetE0EEEvSK_
; %bb.0:
	.section	.rodata,"a",@progbits
	.p2align	6, 0x0
	.amdhsa_kernel _ZN7rocprim17ROCPRIM_400000_NS6detail17trampoline_kernelINS0_14default_configENS1_36segmented_radix_sort_config_selectorIblEEZNS1_25segmented_radix_sort_implIS3_Lb0EPKbPbPKlPlN2at6native12_GLOBAL__N_18offset_tEEE10hipError_tPvRmT1_PNSt15iterator_traitsISK_E10value_typeET2_T3_PNSL_ISQ_E10value_typeET4_jRbjT5_SW_jjP12ihipStream_tbEUlT_E2_NS1_11comp_targetILNS1_3genE2ELNS1_11target_archE906ELNS1_3gpuE6ELNS1_3repE0EEENS1_30default_config_static_selectorELNS0_4arch9wavefront6targetE0EEEvSK_
		.amdhsa_group_segment_fixed_size 0
		.amdhsa_private_segment_fixed_size 0
		.amdhsa_kernarg_size 80
		.amdhsa_user_sgpr_count 2
		.amdhsa_user_sgpr_dispatch_ptr 0
		.amdhsa_user_sgpr_queue_ptr 0
		.amdhsa_user_sgpr_kernarg_segment_ptr 1
		.amdhsa_user_sgpr_dispatch_id 0
		.amdhsa_user_sgpr_private_segment_size 0
		.amdhsa_wavefront_size32 1
		.amdhsa_uses_dynamic_stack 0
		.amdhsa_enable_private_segment 0
		.amdhsa_system_sgpr_workgroup_id_x 1
		.amdhsa_system_sgpr_workgroup_id_y 0
		.amdhsa_system_sgpr_workgroup_id_z 0
		.amdhsa_system_sgpr_workgroup_info 0
		.amdhsa_system_vgpr_workitem_id 0
		.amdhsa_next_free_vgpr 1
		.amdhsa_next_free_sgpr 1
		.amdhsa_reserve_vcc 0
		.amdhsa_float_round_mode_32 0
		.amdhsa_float_round_mode_16_64 0
		.amdhsa_float_denorm_mode_32 3
		.amdhsa_float_denorm_mode_16_64 3
		.amdhsa_fp16_overflow 0
		.amdhsa_workgroup_processor_mode 1
		.amdhsa_memory_ordered 1
		.amdhsa_forward_progress 1
		.amdhsa_inst_pref_size 0
		.amdhsa_round_robin_scheduling 0
		.amdhsa_exception_fp_ieee_invalid_op 0
		.amdhsa_exception_fp_denorm_src 0
		.amdhsa_exception_fp_ieee_div_zero 0
		.amdhsa_exception_fp_ieee_overflow 0
		.amdhsa_exception_fp_ieee_underflow 0
		.amdhsa_exception_fp_ieee_inexact 0
		.amdhsa_exception_int_div_zero 0
	.end_amdhsa_kernel
	.section	.text._ZN7rocprim17ROCPRIM_400000_NS6detail17trampoline_kernelINS0_14default_configENS1_36segmented_radix_sort_config_selectorIblEEZNS1_25segmented_radix_sort_implIS3_Lb0EPKbPbPKlPlN2at6native12_GLOBAL__N_18offset_tEEE10hipError_tPvRmT1_PNSt15iterator_traitsISK_E10value_typeET2_T3_PNSL_ISQ_E10value_typeET4_jRbjT5_SW_jjP12ihipStream_tbEUlT_E2_NS1_11comp_targetILNS1_3genE2ELNS1_11target_archE906ELNS1_3gpuE6ELNS1_3repE0EEENS1_30default_config_static_selectorELNS0_4arch9wavefront6targetE0EEEvSK_,"axG",@progbits,_ZN7rocprim17ROCPRIM_400000_NS6detail17trampoline_kernelINS0_14default_configENS1_36segmented_radix_sort_config_selectorIblEEZNS1_25segmented_radix_sort_implIS3_Lb0EPKbPbPKlPlN2at6native12_GLOBAL__N_18offset_tEEE10hipError_tPvRmT1_PNSt15iterator_traitsISK_E10value_typeET2_T3_PNSL_ISQ_E10value_typeET4_jRbjT5_SW_jjP12ihipStream_tbEUlT_E2_NS1_11comp_targetILNS1_3genE2ELNS1_11target_archE906ELNS1_3gpuE6ELNS1_3repE0EEENS1_30default_config_static_selectorELNS0_4arch9wavefront6targetE0EEEvSK_,comdat
.Lfunc_end1669:
	.size	_ZN7rocprim17ROCPRIM_400000_NS6detail17trampoline_kernelINS0_14default_configENS1_36segmented_radix_sort_config_selectorIblEEZNS1_25segmented_radix_sort_implIS3_Lb0EPKbPbPKlPlN2at6native12_GLOBAL__N_18offset_tEEE10hipError_tPvRmT1_PNSt15iterator_traitsISK_E10value_typeET2_T3_PNSL_ISQ_E10value_typeET4_jRbjT5_SW_jjP12ihipStream_tbEUlT_E2_NS1_11comp_targetILNS1_3genE2ELNS1_11target_archE906ELNS1_3gpuE6ELNS1_3repE0EEENS1_30default_config_static_selectorELNS0_4arch9wavefront6targetE0EEEvSK_, .Lfunc_end1669-_ZN7rocprim17ROCPRIM_400000_NS6detail17trampoline_kernelINS0_14default_configENS1_36segmented_radix_sort_config_selectorIblEEZNS1_25segmented_radix_sort_implIS3_Lb0EPKbPbPKlPlN2at6native12_GLOBAL__N_18offset_tEEE10hipError_tPvRmT1_PNSt15iterator_traitsISK_E10value_typeET2_T3_PNSL_ISQ_E10value_typeET4_jRbjT5_SW_jjP12ihipStream_tbEUlT_E2_NS1_11comp_targetILNS1_3genE2ELNS1_11target_archE906ELNS1_3gpuE6ELNS1_3repE0EEENS1_30default_config_static_selectorELNS0_4arch9wavefront6targetE0EEEvSK_
                                        ; -- End function
	.set _ZN7rocprim17ROCPRIM_400000_NS6detail17trampoline_kernelINS0_14default_configENS1_36segmented_radix_sort_config_selectorIblEEZNS1_25segmented_radix_sort_implIS3_Lb0EPKbPbPKlPlN2at6native12_GLOBAL__N_18offset_tEEE10hipError_tPvRmT1_PNSt15iterator_traitsISK_E10value_typeET2_T3_PNSL_ISQ_E10value_typeET4_jRbjT5_SW_jjP12ihipStream_tbEUlT_E2_NS1_11comp_targetILNS1_3genE2ELNS1_11target_archE906ELNS1_3gpuE6ELNS1_3repE0EEENS1_30default_config_static_selectorELNS0_4arch9wavefront6targetE0EEEvSK_.num_vgpr, 0
	.set _ZN7rocprim17ROCPRIM_400000_NS6detail17trampoline_kernelINS0_14default_configENS1_36segmented_radix_sort_config_selectorIblEEZNS1_25segmented_radix_sort_implIS3_Lb0EPKbPbPKlPlN2at6native12_GLOBAL__N_18offset_tEEE10hipError_tPvRmT1_PNSt15iterator_traitsISK_E10value_typeET2_T3_PNSL_ISQ_E10value_typeET4_jRbjT5_SW_jjP12ihipStream_tbEUlT_E2_NS1_11comp_targetILNS1_3genE2ELNS1_11target_archE906ELNS1_3gpuE6ELNS1_3repE0EEENS1_30default_config_static_selectorELNS0_4arch9wavefront6targetE0EEEvSK_.num_agpr, 0
	.set _ZN7rocprim17ROCPRIM_400000_NS6detail17trampoline_kernelINS0_14default_configENS1_36segmented_radix_sort_config_selectorIblEEZNS1_25segmented_radix_sort_implIS3_Lb0EPKbPbPKlPlN2at6native12_GLOBAL__N_18offset_tEEE10hipError_tPvRmT1_PNSt15iterator_traitsISK_E10value_typeET2_T3_PNSL_ISQ_E10value_typeET4_jRbjT5_SW_jjP12ihipStream_tbEUlT_E2_NS1_11comp_targetILNS1_3genE2ELNS1_11target_archE906ELNS1_3gpuE6ELNS1_3repE0EEENS1_30default_config_static_selectorELNS0_4arch9wavefront6targetE0EEEvSK_.numbered_sgpr, 0
	.set _ZN7rocprim17ROCPRIM_400000_NS6detail17trampoline_kernelINS0_14default_configENS1_36segmented_radix_sort_config_selectorIblEEZNS1_25segmented_radix_sort_implIS3_Lb0EPKbPbPKlPlN2at6native12_GLOBAL__N_18offset_tEEE10hipError_tPvRmT1_PNSt15iterator_traitsISK_E10value_typeET2_T3_PNSL_ISQ_E10value_typeET4_jRbjT5_SW_jjP12ihipStream_tbEUlT_E2_NS1_11comp_targetILNS1_3genE2ELNS1_11target_archE906ELNS1_3gpuE6ELNS1_3repE0EEENS1_30default_config_static_selectorELNS0_4arch9wavefront6targetE0EEEvSK_.num_named_barrier, 0
	.set _ZN7rocprim17ROCPRIM_400000_NS6detail17trampoline_kernelINS0_14default_configENS1_36segmented_radix_sort_config_selectorIblEEZNS1_25segmented_radix_sort_implIS3_Lb0EPKbPbPKlPlN2at6native12_GLOBAL__N_18offset_tEEE10hipError_tPvRmT1_PNSt15iterator_traitsISK_E10value_typeET2_T3_PNSL_ISQ_E10value_typeET4_jRbjT5_SW_jjP12ihipStream_tbEUlT_E2_NS1_11comp_targetILNS1_3genE2ELNS1_11target_archE906ELNS1_3gpuE6ELNS1_3repE0EEENS1_30default_config_static_selectorELNS0_4arch9wavefront6targetE0EEEvSK_.private_seg_size, 0
	.set _ZN7rocprim17ROCPRIM_400000_NS6detail17trampoline_kernelINS0_14default_configENS1_36segmented_radix_sort_config_selectorIblEEZNS1_25segmented_radix_sort_implIS3_Lb0EPKbPbPKlPlN2at6native12_GLOBAL__N_18offset_tEEE10hipError_tPvRmT1_PNSt15iterator_traitsISK_E10value_typeET2_T3_PNSL_ISQ_E10value_typeET4_jRbjT5_SW_jjP12ihipStream_tbEUlT_E2_NS1_11comp_targetILNS1_3genE2ELNS1_11target_archE906ELNS1_3gpuE6ELNS1_3repE0EEENS1_30default_config_static_selectorELNS0_4arch9wavefront6targetE0EEEvSK_.uses_vcc, 0
	.set _ZN7rocprim17ROCPRIM_400000_NS6detail17trampoline_kernelINS0_14default_configENS1_36segmented_radix_sort_config_selectorIblEEZNS1_25segmented_radix_sort_implIS3_Lb0EPKbPbPKlPlN2at6native12_GLOBAL__N_18offset_tEEE10hipError_tPvRmT1_PNSt15iterator_traitsISK_E10value_typeET2_T3_PNSL_ISQ_E10value_typeET4_jRbjT5_SW_jjP12ihipStream_tbEUlT_E2_NS1_11comp_targetILNS1_3genE2ELNS1_11target_archE906ELNS1_3gpuE6ELNS1_3repE0EEENS1_30default_config_static_selectorELNS0_4arch9wavefront6targetE0EEEvSK_.uses_flat_scratch, 0
	.set _ZN7rocprim17ROCPRIM_400000_NS6detail17trampoline_kernelINS0_14default_configENS1_36segmented_radix_sort_config_selectorIblEEZNS1_25segmented_radix_sort_implIS3_Lb0EPKbPbPKlPlN2at6native12_GLOBAL__N_18offset_tEEE10hipError_tPvRmT1_PNSt15iterator_traitsISK_E10value_typeET2_T3_PNSL_ISQ_E10value_typeET4_jRbjT5_SW_jjP12ihipStream_tbEUlT_E2_NS1_11comp_targetILNS1_3genE2ELNS1_11target_archE906ELNS1_3gpuE6ELNS1_3repE0EEENS1_30default_config_static_selectorELNS0_4arch9wavefront6targetE0EEEvSK_.has_dyn_sized_stack, 0
	.set _ZN7rocprim17ROCPRIM_400000_NS6detail17trampoline_kernelINS0_14default_configENS1_36segmented_radix_sort_config_selectorIblEEZNS1_25segmented_radix_sort_implIS3_Lb0EPKbPbPKlPlN2at6native12_GLOBAL__N_18offset_tEEE10hipError_tPvRmT1_PNSt15iterator_traitsISK_E10value_typeET2_T3_PNSL_ISQ_E10value_typeET4_jRbjT5_SW_jjP12ihipStream_tbEUlT_E2_NS1_11comp_targetILNS1_3genE2ELNS1_11target_archE906ELNS1_3gpuE6ELNS1_3repE0EEENS1_30default_config_static_selectorELNS0_4arch9wavefront6targetE0EEEvSK_.has_recursion, 0
	.set _ZN7rocprim17ROCPRIM_400000_NS6detail17trampoline_kernelINS0_14default_configENS1_36segmented_radix_sort_config_selectorIblEEZNS1_25segmented_radix_sort_implIS3_Lb0EPKbPbPKlPlN2at6native12_GLOBAL__N_18offset_tEEE10hipError_tPvRmT1_PNSt15iterator_traitsISK_E10value_typeET2_T3_PNSL_ISQ_E10value_typeET4_jRbjT5_SW_jjP12ihipStream_tbEUlT_E2_NS1_11comp_targetILNS1_3genE2ELNS1_11target_archE906ELNS1_3gpuE6ELNS1_3repE0EEENS1_30default_config_static_selectorELNS0_4arch9wavefront6targetE0EEEvSK_.has_indirect_call, 0
	.section	.AMDGPU.csdata,"",@progbits
; Kernel info:
; codeLenInByte = 0
; TotalNumSgprs: 0
; NumVgprs: 0
; ScratchSize: 0
; MemoryBound: 0
; FloatMode: 240
; IeeeMode: 1
; LDSByteSize: 0 bytes/workgroup (compile time only)
; SGPRBlocks: 0
; VGPRBlocks: 0
; NumSGPRsForWavesPerEU: 1
; NumVGPRsForWavesPerEU: 1
; Occupancy: 16
; WaveLimiterHint : 0
; COMPUTE_PGM_RSRC2:SCRATCH_EN: 0
; COMPUTE_PGM_RSRC2:USER_SGPR: 2
; COMPUTE_PGM_RSRC2:TRAP_HANDLER: 0
; COMPUTE_PGM_RSRC2:TGID_X_EN: 1
; COMPUTE_PGM_RSRC2:TGID_Y_EN: 0
; COMPUTE_PGM_RSRC2:TGID_Z_EN: 0
; COMPUTE_PGM_RSRC2:TIDIG_COMP_CNT: 0
	.section	.text._ZN7rocprim17ROCPRIM_400000_NS6detail17trampoline_kernelINS0_14default_configENS1_36segmented_radix_sort_config_selectorIblEEZNS1_25segmented_radix_sort_implIS3_Lb0EPKbPbPKlPlN2at6native12_GLOBAL__N_18offset_tEEE10hipError_tPvRmT1_PNSt15iterator_traitsISK_E10value_typeET2_T3_PNSL_ISQ_E10value_typeET4_jRbjT5_SW_jjP12ihipStream_tbEUlT_E2_NS1_11comp_targetILNS1_3genE10ELNS1_11target_archE1201ELNS1_3gpuE5ELNS1_3repE0EEENS1_30default_config_static_selectorELNS0_4arch9wavefront6targetE0EEEvSK_,"axG",@progbits,_ZN7rocprim17ROCPRIM_400000_NS6detail17trampoline_kernelINS0_14default_configENS1_36segmented_radix_sort_config_selectorIblEEZNS1_25segmented_radix_sort_implIS3_Lb0EPKbPbPKlPlN2at6native12_GLOBAL__N_18offset_tEEE10hipError_tPvRmT1_PNSt15iterator_traitsISK_E10value_typeET2_T3_PNSL_ISQ_E10value_typeET4_jRbjT5_SW_jjP12ihipStream_tbEUlT_E2_NS1_11comp_targetILNS1_3genE10ELNS1_11target_archE1201ELNS1_3gpuE5ELNS1_3repE0EEENS1_30default_config_static_selectorELNS0_4arch9wavefront6targetE0EEEvSK_,comdat
	.globl	_ZN7rocprim17ROCPRIM_400000_NS6detail17trampoline_kernelINS0_14default_configENS1_36segmented_radix_sort_config_selectorIblEEZNS1_25segmented_radix_sort_implIS3_Lb0EPKbPbPKlPlN2at6native12_GLOBAL__N_18offset_tEEE10hipError_tPvRmT1_PNSt15iterator_traitsISK_E10value_typeET2_T3_PNSL_ISQ_E10value_typeET4_jRbjT5_SW_jjP12ihipStream_tbEUlT_E2_NS1_11comp_targetILNS1_3genE10ELNS1_11target_archE1201ELNS1_3gpuE5ELNS1_3repE0EEENS1_30default_config_static_selectorELNS0_4arch9wavefront6targetE0EEEvSK_ ; -- Begin function _ZN7rocprim17ROCPRIM_400000_NS6detail17trampoline_kernelINS0_14default_configENS1_36segmented_radix_sort_config_selectorIblEEZNS1_25segmented_radix_sort_implIS3_Lb0EPKbPbPKlPlN2at6native12_GLOBAL__N_18offset_tEEE10hipError_tPvRmT1_PNSt15iterator_traitsISK_E10value_typeET2_T3_PNSL_ISQ_E10value_typeET4_jRbjT5_SW_jjP12ihipStream_tbEUlT_E2_NS1_11comp_targetILNS1_3genE10ELNS1_11target_archE1201ELNS1_3gpuE5ELNS1_3repE0EEENS1_30default_config_static_selectorELNS0_4arch9wavefront6targetE0EEEvSK_
	.p2align	8
	.type	_ZN7rocprim17ROCPRIM_400000_NS6detail17trampoline_kernelINS0_14default_configENS1_36segmented_radix_sort_config_selectorIblEEZNS1_25segmented_radix_sort_implIS3_Lb0EPKbPbPKlPlN2at6native12_GLOBAL__N_18offset_tEEE10hipError_tPvRmT1_PNSt15iterator_traitsISK_E10value_typeET2_T3_PNSL_ISQ_E10value_typeET4_jRbjT5_SW_jjP12ihipStream_tbEUlT_E2_NS1_11comp_targetILNS1_3genE10ELNS1_11target_archE1201ELNS1_3gpuE5ELNS1_3repE0EEENS1_30default_config_static_selectorELNS0_4arch9wavefront6targetE0EEEvSK_,@function
_ZN7rocprim17ROCPRIM_400000_NS6detail17trampoline_kernelINS0_14default_configENS1_36segmented_radix_sort_config_selectorIblEEZNS1_25segmented_radix_sort_implIS3_Lb0EPKbPbPKlPlN2at6native12_GLOBAL__N_18offset_tEEE10hipError_tPvRmT1_PNSt15iterator_traitsISK_E10value_typeET2_T3_PNSL_ISQ_E10value_typeET4_jRbjT5_SW_jjP12ihipStream_tbEUlT_E2_NS1_11comp_targetILNS1_3genE10ELNS1_11target_archE1201ELNS1_3gpuE5ELNS1_3repE0EEENS1_30default_config_static_selectorELNS0_4arch9wavefront6targetE0EEEvSK_: ; @_ZN7rocprim17ROCPRIM_400000_NS6detail17trampoline_kernelINS0_14default_configENS1_36segmented_radix_sort_config_selectorIblEEZNS1_25segmented_radix_sort_implIS3_Lb0EPKbPbPKlPlN2at6native12_GLOBAL__N_18offset_tEEE10hipError_tPvRmT1_PNSt15iterator_traitsISK_E10value_typeET2_T3_PNSL_ISQ_E10value_typeET4_jRbjT5_SW_jjP12ihipStream_tbEUlT_E2_NS1_11comp_targetILNS1_3genE10ELNS1_11target_archE1201ELNS1_3gpuE5ELNS1_3repE0EEENS1_30default_config_static_selectorELNS0_4arch9wavefront6targetE0EEEvSK_
; %bb.0:
	s_load_b128 s[4:7], s[0:1], 0x34
	s_mov_b32 s32, 0
	s_wait_kmcnt 0x0
	s_add_co_i32 s33, s5, ttmp9
	s_add_co_i32 s34, s7, ttmp9
	s_mul_i32 s33, s33, s4
	s_mul_i32 s34, s34, s6
	s_delay_alu instid0(SALU_CYCLE_1)
	s_cmp_le_u32 s34, s33
	s_cbranch_scc1 .LBB1670_678
; %bb.1:
	s_clause 0x3
	s_load_b32 s2, s[0:1], 0x30
	s_load_b128 s[24:27], s[0:1], 0x20
	s_load_b96 s[44:46], s[0:1], 0x44
	s_load_b256 s[36:43], s[0:1], 0x0
	s_wait_kmcnt 0x0
	s_bitcmp1_b32 s2, 0
	s_mov_b32 s2, -1
	s_cselect_b32 s35, -1, 0
	s_sub_co_i32 s47, s34, s33
	s_delay_alu instid0(SALU_CYCLE_1)
	s_cmp_lt_u32 s47, 0x801
	s_cbranch_scc0 .LBB1670_15
; %bb.2:
	s_cmp_lt_u32 s47, 33
	s_cbranch_scc0 .LBB1670_9
; %bb.3:
	s_load_b32 s2, s[0:1], 0x5c
	v_bfe_u32 v1, v0, 10, 10
	v_bfe_u32 v2, v0, 20, 10
	s_mov_b32 s16, exec_lo
	s_wait_kmcnt 0x0
	s_lshr_b32 s3, s2, 16
	s_and_b32 s2, s2, 0xffff
	v_mad_u32_u24 v2, v2, s3, v1
	v_and_b32_e32 v1, 0x3ff, v0
	s_delay_alu instid0(VALU_DEP_1) | instskip(NEXT) | instid1(VALU_DEP_1)
	v_mad_co_u64_u32 v[1:2], null, v2, s2, v[1:2]
	v_cmpx_gt_u32_e32 8, v1
	s_cbranch_execz .LBB1670_8
; %bb.4:
	v_cndmask_b32_e64 v1, 0, 1, s35
	s_and_b32 s2, s44, 1
	s_wait_alu 0xfffe
	s_delay_alu instid0(VALU_DEP_1)
	v_cmp_ne_u32_e32 vcc_lo, s2, v1
	s_mov_b32 s2, -1
	s_cbranch_vccnz .LBB1670_6
; %bb.5:
	s_mov_b64 s[2:3], src_shared_base
	v_dual_mov_b32 v31, v0 :: v_dual_mov_b32 v40, v0
	v_dual_mov_b32 v0, s36 :: v_dual_mov_b32 v1, s37
	;; [unrolled: 1-line block ×7, first 2 shown]
	s_wait_alu 0xfffe
	v_dual_mov_b32 v12, 0 :: v_dual_mov_b32 v13, s3
	s_add_nc_u64 s[8:9], s[0:1], 0x50
	s_getpc_b64 s[4:5]
	s_sext_i32_i16 s5, s5
	s_add_co_u32 s4, s4, _ZN7rocprim17ROCPRIM_400000_NS6detail26segmented_warp_sort_helperINS1_20WarpSortHelperConfigILj8ELj4ELj256EEEblLi256ELb0EvE4sortIPKbPbPKlPlEEvT_T0_T1_T2_jjjjRNS5_12storage_typeE@rel32@lo+8
	s_add_co_ci_u32 s5, s5, _ZN7rocprim17ROCPRIM_400000_NS6detail26segmented_warp_sort_helperINS1_20WarpSortHelperConfigILj8ELj4ELj256EEEblLi256ELb0EvE4sortIPKbPbPKlPlEEvT_T0_T1_T2_jjjjRNS5_12storage_typeE@rel32@hi+16
	s_mov_b64 s[14:15], s[0:1]
	s_swappc_b64 s[30:31], s[4:5]
	v_mov_b32_e32 v0, v40
	s_mov_b64 s[0:1], s[14:15]
	s_mov_b32 s2, 0
.LBB1670_6:
	s_wait_alu 0xfffe
	s_and_not1_b32 vcc_lo, exec_lo, s2
	s_wait_alu 0xfffe
	s_cbranch_vccnz .LBB1670_8
; %bb.7:
	s_mov_b64 s[2:3], src_shared_base
	v_dual_mov_b32 v31, v0 :: v_dual_mov_b32 v40, v0
	v_dual_mov_b32 v0, s36 :: v_dual_mov_b32 v1, s37
	;; [unrolled: 1-line block ×7, first 2 shown]
	s_wait_alu 0xfffe
	v_dual_mov_b32 v12, 0 :: v_dual_mov_b32 v13, s3
	s_add_nc_u64 s[8:9], s[0:1], 0x50
	s_getpc_b64 s[4:5]
	s_wait_alu 0xfffe
	s_sext_i32_i16 s5, s5
	s_add_co_u32 s4, s4, _ZN7rocprim17ROCPRIM_400000_NS6detail26segmented_warp_sort_helperINS1_20WarpSortHelperConfigILj8ELj4ELj256EEEblLi256ELb0EvE4sortIPKbPbPKlPlEEvT_T0_T1_T2_jjjjRNS5_12storage_typeE@rel32@lo+12
	s_wait_alu 0xfffe
	s_add_co_ci_u32 s5, s5, _ZN7rocprim17ROCPRIM_400000_NS6detail26segmented_warp_sort_helperINS1_20WarpSortHelperConfigILj8ELj4ELj256EEEblLi256ELb0EvE4sortIPKbPbPKlPlEEvT_T0_T1_T2_jjjjRNS5_12storage_typeE@rel32@hi+24
	s_mov_b64 s[14:15], s[0:1]
	s_wait_alu 0xfffe
	s_swappc_b64 s[30:31], s[4:5]
	v_mov_b32_e32 v0, v40
	s_mov_b64 s[0:1], s[14:15]
.LBB1670_8:
	s_or_b32 exec_lo, exec_lo, s16
	s_mov_b32 s2, 0
.LBB1670_9:
	s_wait_alu 0xfffe
	s_and_not1_b32 vcc_lo, exec_lo, s2
	s_wait_alu 0xfffe
	s_cbranch_vccnz .LBB1670_14
; %bb.10:
	v_cndmask_b32_e64 v1, 0, 1, s35
	s_and_b32 s2, s44, 1
	s_wait_alu 0xfffe
	s_delay_alu instid0(VALU_DEP_1)
	v_cmp_ne_u32_e32 vcc_lo, s2, v1
	s_mov_b32 s2, -1
	s_cbranch_vccnz .LBB1670_12
; %bb.11:
	s_mov_b64 s[2:3], src_shared_base
	v_dual_mov_b32 v31, v0 :: v_dual_mov_b32 v40, v0
	v_dual_mov_b32 v0, s36 :: v_dual_mov_b32 v1, s37
	;; [unrolled: 1-line block ×7, first 2 shown]
	s_wait_alu 0xfffe
	v_dual_mov_b32 v12, 0 :: v_dual_mov_b32 v13, s3
	s_add_nc_u64 s[8:9], s[0:1], 0x50
	s_getpc_b64 s[4:5]
	s_wait_alu 0xfffe
	s_sext_i32_i16 s5, s5
	s_add_co_u32 s4, s4, _ZN7rocprim17ROCPRIM_400000_NS6detail40segmented_radix_sort_single_block_helperIblLj256ELj8ELb0EE4sortIPKbPbPKlPlEEbT_T0_T1_T2_jjjjRNS3_12storage_typeE@rel32@lo+12
	s_wait_alu 0xfffe
	s_add_co_ci_u32 s5, s5, _ZN7rocprim17ROCPRIM_400000_NS6detail40segmented_radix_sort_single_block_helperIblLj256ELj8ELb0EE4sortIPKbPbPKlPlEEbT_T0_T1_T2_jjjjRNS3_12storage_typeE@rel32@hi+24
	s_mov_b64 s[22:23], s[0:1]
	s_wait_alu 0xfffe
	s_swappc_b64 s[30:31], s[4:5]
	v_mov_b32_e32 v0, v40
	s_mov_b64 s[0:1], s[22:23]
	s_mov_b32 s2, 0
.LBB1670_12:
	s_wait_alu 0xfffe
	s_and_not1_b32 vcc_lo, exec_lo, s2
	s_wait_alu 0xfffe
	s_cbranch_vccnz .LBB1670_14
; %bb.13:
	s_mov_b64 s[2:3], src_shared_base
	v_dual_mov_b32 v31, v0 :: v_dual_mov_b32 v40, v0
	v_dual_mov_b32 v0, s36 :: v_dual_mov_b32 v1, s37
	;; [unrolled: 1-line block ×7, first 2 shown]
	s_wait_alu 0xfffe
	v_dual_mov_b32 v12, 0 :: v_dual_mov_b32 v13, s3
	s_add_nc_u64 s[8:9], s[0:1], 0x50
	s_getpc_b64 s[4:5]
	s_wait_alu 0xfffe
	s_sext_i32_i16 s5, s5
	s_add_co_u32 s4, s4, _ZN7rocprim17ROCPRIM_400000_NS6detail40segmented_radix_sort_single_block_helperIblLj256ELj8ELb0EE4sortIPKbPbPKlPlEEbT_T0_T1_T2_jjjjRNS3_12storage_typeE@rel32@lo+12
	s_wait_alu 0xfffe
	s_add_co_ci_u32 s5, s5, _ZN7rocprim17ROCPRIM_400000_NS6detail40segmented_radix_sort_single_block_helperIblLj256ELj8ELb0EE4sortIPKbPbPKlPlEEbT_T0_T1_T2_jjjjRNS3_12storage_typeE@rel32@hi+24
	s_mov_b64 s[22:23], s[0:1]
	s_wait_alu 0xfffe
	s_swappc_b64 s[30:31], s[4:5]
	v_mov_b32_e32 v0, v40
	s_mov_b64 s[0:1], s[22:23]
.LBB1670_14:
	s_mov_b32 s2, 0
.LBB1670_15:
	s_wait_alu 0xfffe
	s_and_not1_b32 vcc_lo, exec_lo, s2
	s_wait_alu 0xfffe
	s_cbranch_vccnz .LBB1670_678
; %bb.16:
	s_cmp_ge_u32 s45, s46
	s_cbranch_scc1 .LBB1670_678
; %bb.17:
	v_and_b32_e32 v1, 0x3ff, v0
	v_dual_mov_b32 v61, 1 :: v_dual_and_b32 v2, 3, v0
	v_lshrrev_b32_e32 v4, 3, v0
	v_mbcnt_lo_u32_b32 v58, -1, 0
	s_delay_alu instid0(VALU_DEP_4) | instskip(NEXT) | instid1(VALU_DEP_4)
	v_or_b32_e32 v5, 31, v1
	v_lshlrev_b32_e32 v39, 2, v2
	v_lshlrev_b32_e32 v2, 3, v1
	v_and_b32_e32 v38, 28, v4
	v_lshlrev_b32_e32 v4, 5, v1
	v_cmp_eq_u32_e64 s3, v1, v5
	v_dual_mov_b32 v3, 0 :: v_dual_lshlrev_b32 v28, 2, v1
	v_and_b32_e32 v2, 0x700, v2
	s_delay_alu instid0(VALU_DEP_4) | instskip(SKIP_2) | instid1(VALU_DEP_4)
	v_sub_nc_u32_e32 v46, 0, v4
	v_lshlrev_b32_e32 v66, 3, v58
	v_add_co_u32 v32, s2, s40, v1
	v_lshlrev_b32_e32 v5, 3, v2
	v_mad_u32_u24 v40, v1, 12, v28
	v_or_b32_e32 v68, v58, v2
	v_or_b32_e32 v29, 0x100, v1
	;; [unrolled: 1-line block ×3, first 2 shown]
	v_add_co_u32 v4, s8, s26, v5
	s_wait_alu 0xf1ff
	v_add_co_ci_u32_e64 v6, null, s27, 0, s8
	v_add_co_u32 v7, s8, s40, v2
	s_wait_alu 0xf1ff
	v_add_co_ci_u32_e64 v8, null, s41, 0, s8
	;; [unrolled: 3-line block ×6, first 2 shown]
	v_add_co_u32 v56, s8, s42, v5
	v_add_co_u32 v69, vcc_lo, v4, v66
	s_wait_alu 0xf1ff
	v_add_co_ci_u32_e64 v57, null, s43, 0, s8
	v_add_co_u32 v59, s8, s36, v2
	s_wait_alu 0xfffd
	v_add_co_ci_u32_e64 v70, null, 0, v6, vcc_lo
	v_add_co_u32 v78, vcc_lo, v7, v58
	v_or_b32_e32 v31, 0x300, v1
	v_add_co_ci_u32_e64 v33, null, s41, 0, s2
	v_or_b32_e32 v34, 0x400, v1
	v_or_b32_e32 v35, 0x500, v1
	;; [unrolled: 1-line block ×4, first 2 shown]
	v_cmp_gt_u32_e64 s2, 0x100, v1
	v_or_b32_e32 v41, 0x4400, v38
	v_cmp_gt_u32_e64 s4, 8, v1
	v_add_nc_u32_e32 v42, 0x4400, v28
	v_cmp_lt_u32_e64 s5, 31, v1
	v_add_nc_u32_e32 v43, 0x43fc, v38
	v_bfe_u32 v44, v0, 20, 10
	v_bfe_u32 v0, v0, 10, 10
	v_mad_u32_u24 v45, v1, 20, v40
	v_cmp_eq_u32_e64 s6, 0, v1
	v_cmp_ne_u32_e64 s7, 0xff, v1
	v_mul_u32_u24_e32 v47, 7, v1
	s_wait_alu 0xf1ff
	v_add_co_ci_u32_e64 v60, null, s37, 0, s8
	v_and_b32_e32 v62, 15, v58
	v_bfe_i32 v63, v58, 4, 1
	v_and_b32_e32 v64, 16, v58
	v_and_b32_e32 v65, 7, v58
	v_sub_co_u32 v67, s8, v58, 1
	v_or_b32_e32 v71, 32, v68
	v_or_b32_e32 v72, 64, v68
	;; [unrolled: 1-line block ×7, first 2 shown]
	s_wait_alu 0xfffd
	v_add_co_ci_u32_e64 v79, null, 0, v8, vcc_lo
	s_add_nc_u64 s[28:29], s[0:1], 0x50
	s_mov_b32 s23, 0
	s_mov_b32 s30, s45
	s_branch .LBB1670_20
.LBB1670_18:                            ;   in Loop: Header=BB1670_20 Depth=1
	s_wait_loadcnt_dscnt 0x0
	s_barrier_signal -1
	s_barrier_wait -1
.LBB1670_19:                            ;   in Loop: Header=BB1670_20 Depth=1
	s_add_co_i32 s30, s30, 8
	global_inv scope:SCOPE_SE
	s_wait_alu 0xfffe
	s_cmp_ge_u32 s30, s46
	s_cbranch_scc1 .LBB1670_678
.LBB1670_20:                            ; =>This Loop Header: Depth=1
                                        ;     Child Loop BB1670_24 Depth 2
                                        ;     Child Loop BB1670_72 Depth 2
	;; [unrolled: 1-line block ×8, first 2 shown]
	s_wait_alu 0xfffe
	s_sub_co_i32 s0, s46, s30
	s_xor_b32 s35, s35, -1
	s_wait_alu 0xfffe
	s_min_u32 s0, s0, 8
	ds_store_2addr_stride64_b32 v28, v3, v3 offset1:4
	s_wait_alu 0xfffe
	s_lshl_b32 s0, -1, s0
	ds_store_2addr_stride64_b32 v28, v3, v3 offset0:8 offset1:12
	s_wait_alu 0xfffe
	s_not_b32 s31, s0
	s_cmp_lg_u32 s30, s45
	s_mov_b32 s0, -1
	s_wait_storecnt_dscnt 0x0
	s_cbranch_scc0 .LBB1670_350
; %bb.21:                               ;   in Loop: Header=BB1670_20 Depth=1
	s_and_b32 vcc_lo, exec_lo, s35
	s_wait_alu 0xfffe
	s_cbranch_vccz .LBB1670_185
; %bb.22:                               ;   in Loop: Header=BB1670_20 Depth=1
	v_dual_mov_b32 v7, 0 :: v_dual_mov_b32 v10, 0
	v_dual_mov_b32 v9, 0 :: v_dual_mov_b32 v8, 0
	;; [unrolled: 1-line block ×3, first 2 shown]
	v_mov_b32_e32 v4, 0
	v_mov_b32_e32 v2, 0
	s_mov_b32 s9, s47
	s_mov_b32 s22, s33
	s_barrier_signal -1
	s_barrier_wait -1
	global_inv scope:SCOPE_SE
	s_branch .LBB1670_24
.LBB1670_23:                            ;   in Loop: Header=BB1670_24 Depth=2
	s_wait_alu 0xfffe
	s_or_b32 exec_lo, exec_lo, s0
	s_addk_co_i32 s9, 0xf800
	s_cmp_ge_u32 s10, s34
	s_mov_b32 s22, s10
	s_cbranch_scc1 .LBB1670_60
.LBB1670_24:                            ;   Parent Loop BB1670_20 Depth=1
                                        ; =>  This Inner Loop Header: Depth=2
	s_wait_alu 0xfffe
	s_add_co_i32 s10, s22, 0x800
	s_mov_b32 s0, -1
	s_wait_alu 0xfffe
	s_cmp_gt_u32 s10, s34
                                        ; implicit-def: $vgpr11
                                        ; implicit-def: $vgpr12
                                        ; implicit-def: $vgpr13
                                        ; implicit-def: $vgpr14
                                        ; implicit-def: $vgpr15
                                        ; implicit-def: $vgpr16
                                        ; implicit-def: $vgpr17
                                        ; implicit-def: $vgpr18
	s_cbranch_scc1 .LBB1670_26
; %bb.25:                               ;   in Loop: Header=BB1670_24 Depth=2
	v_add_co_u32 v19, vcc_lo, v32, s22
	s_wait_alu 0xfffd
	v_add_co_ci_u32_e64 v20, null, 0, v33, vcc_lo
	s_mov_b32 s0, 0
	s_clause 0x7
	global_load_u8 v18, v[19:20], off offset:1792
	global_load_u8 v17, v[19:20], off offset:1536
	;; [unrolled: 1-line block ×7, first 2 shown]
	global_load_u8 v11, v[19:20], off
.LBB1670_26:                            ;   in Loop: Header=BB1670_24 Depth=2
	s_wait_alu 0xfffe
	s_and_not1_b32 vcc_lo, exec_lo, s0
	s_movk_i32 s0, 0x800
	s_wait_alu 0xfffe
	s_cbranch_vccnz .LBB1670_37
; %bb.27:                               ;   in Loop: Header=BB1670_24 Depth=2
	s_add_nc_u64 s[0:1], s[40:41], s[22:23]
	s_mov_b32 s11, exec_lo
	v_cmpx_gt_u32_e64 s9, v1
	s_cbranch_execnz .LBB1670_53
; %bb.28:                               ;   in Loop: Header=BB1670_24 Depth=2
	s_wait_alu 0xfffe
	s_or_b32 exec_lo, exec_lo, s11
	s_delay_alu instid0(SALU_CYCLE_1)
	s_mov_b32 s11, exec_lo
	v_cmpx_gt_u32_e64 s9, v29
	s_cbranch_execnz .LBB1670_54
.LBB1670_29:                            ;   in Loop: Header=BB1670_24 Depth=2
	s_wait_alu 0xfffe
	s_or_b32 exec_lo, exec_lo, s11
	s_delay_alu instid0(SALU_CYCLE_1)
	s_mov_b32 s11, exec_lo
	v_cmpx_gt_u32_e64 s9, v30
	s_cbranch_execnz .LBB1670_55
.LBB1670_30:                            ;   in Loop: Header=BB1670_24 Depth=2
	s_wait_alu 0xfffe
	s_or_b32 exec_lo, exec_lo, s11
	s_delay_alu instid0(SALU_CYCLE_1)
	s_mov_b32 s11, exec_lo
	v_cmpx_gt_u32_e64 s9, v31
	s_cbranch_execnz .LBB1670_56
.LBB1670_31:                            ;   in Loop: Header=BB1670_24 Depth=2
	s_wait_alu 0xfffe
	s_or_b32 exec_lo, exec_lo, s11
	s_delay_alu instid0(SALU_CYCLE_1)
	s_mov_b32 s11, exec_lo
	v_cmpx_gt_u32_e64 s9, v34
	s_cbranch_execnz .LBB1670_57
.LBB1670_32:                            ;   in Loop: Header=BB1670_24 Depth=2
	s_wait_alu 0xfffe
	s_or_b32 exec_lo, exec_lo, s11
	s_delay_alu instid0(SALU_CYCLE_1)
	s_mov_b32 s11, exec_lo
	v_cmpx_gt_u32_e64 s9, v35
	s_cbranch_execnz .LBB1670_58
.LBB1670_33:                            ;   in Loop: Header=BB1670_24 Depth=2
	s_wait_alu 0xfffe
	s_or_b32 exec_lo, exec_lo, s11
	s_delay_alu instid0(SALU_CYCLE_1)
	s_mov_b32 s11, exec_lo
	v_cmpx_gt_u32_e64 s9, v36
	s_cbranch_execnz .LBB1670_59
.LBB1670_34:                            ;   in Loop: Header=BB1670_24 Depth=2
	s_wait_alu 0xfffe
	s_or_b32 exec_lo, exec_lo, s11
	s_delay_alu instid0(SALU_CYCLE_1)
	s_mov_b32 s11, exec_lo
	v_cmpx_gt_u32_e64 s9, v37
	s_cbranch_execz .LBB1670_36
.LBB1670_35:                            ;   in Loop: Header=BB1670_24 Depth=2
	s_wait_loadcnt 0x0
	v_add_co_u32 v11, s0, s0, v1
	s_wait_alu 0xf1ff
	v_add_co_ci_u32_e64 v12, null, s1, 0, s0
	global_load_u8 v2, v[11:12], off offset:1792
.LBB1670_36:                            ;   in Loop: Header=BB1670_24 Depth=2
	s_wait_alu 0xfffe
	s_or_b32 exec_lo, exec_lo, s11
	s_wait_loadcnt 0x0
	v_dual_mov_b32 v11, v7 :: v_dual_mov_b32 v12, v10
	v_dual_mov_b32 v13, v9 :: v_dual_mov_b32 v14, v8
	;; [unrolled: 1-line block ×4, first 2 shown]
	s_mov_b32 s0, s9
.LBB1670_37:                            ;   in Loop: Header=BB1670_24 Depth=2
	s_wait_loadcnt 0x5
	s_delay_alu instid0(VALU_DEP_1)
	v_dual_mov_b32 v2, v18 :: v_dual_mov_b32 v5, v16
	s_wait_loadcnt 0x2
	v_dual_mov_b32 v4, v17 :: v_dual_mov_b32 v9, v13
	s_wait_loadcnt 0x0
	v_dual_mov_b32 v6, v15 :: v_dual_mov_b32 v7, v11
	v_mov_b32_e32 v8, v14
	v_mov_b32_e32 v10, v12
	s_mov_b32 s1, exec_lo
	s_wait_alu 0xfffe
	v_cmpx_gt_u32_e64 s0, v1
	s_cbranch_execnz .LBB1670_45
; %bb.38:                               ;   in Loop: Header=BB1670_24 Depth=2
	s_or_b32 exec_lo, exec_lo, s1
	s_delay_alu instid0(SALU_CYCLE_1)
	s_mov_b32 s1, exec_lo
	v_cmpx_gt_u32_e64 s0, v29
	s_cbranch_execnz .LBB1670_46
.LBB1670_39:                            ;   in Loop: Header=BB1670_24 Depth=2
	s_wait_alu 0xfffe
	s_or_b32 exec_lo, exec_lo, s1
	s_delay_alu instid0(SALU_CYCLE_1)
	s_mov_b32 s1, exec_lo
	v_cmpx_gt_u32_e64 s0, v30
	s_cbranch_execnz .LBB1670_47
.LBB1670_40:                            ;   in Loop: Header=BB1670_24 Depth=2
	s_wait_alu 0xfffe
	s_or_b32 exec_lo, exec_lo, s1
	s_delay_alu instid0(SALU_CYCLE_1)
	s_mov_b32 s1, exec_lo
	v_cmpx_gt_u32_e64 s0, v31
	s_cbranch_execnz .LBB1670_48
.LBB1670_41:                            ;   in Loop: Header=BB1670_24 Depth=2
	s_wait_alu 0xfffe
	s_or_b32 exec_lo, exec_lo, s1
	s_delay_alu instid0(SALU_CYCLE_1)
	s_mov_b32 s1, exec_lo
	v_cmpx_gt_u32_e64 s0, v34
	s_cbranch_execnz .LBB1670_49
.LBB1670_42:                            ;   in Loop: Header=BB1670_24 Depth=2
	s_wait_alu 0xfffe
	s_or_b32 exec_lo, exec_lo, s1
	s_delay_alu instid0(SALU_CYCLE_1)
	s_mov_b32 s1, exec_lo
	v_cmpx_gt_u32_e64 s0, v35
	s_cbranch_execnz .LBB1670_50
.LBB1670_43:                            ;   in Loop: Header=BB1670_24 Depth=2
	s_wait_alu 0xfffe
	s_or_b32 exec_lo, exec_lo, s1
	s_delay_alu instid0(SALU_CYCLE_1)
	s_mov_b32 s1, exec_lo
	v_cmpx_gt_u32_e64 s0, v36
	s_cbranch_execnz .LBB1670_51
.LBB1670_44:                            ;   in Loop: Header=BB1670_24 Depth=2
	s_wait_alu 0xfffe
	s_or_b32 exec_lo, exec_lo, s1
	v_cmp_gt_u32_e32 vcc_lo, s0, v37
	s_and_saveexec_b32 s0, vcc_lo
	s_cbranch_execz .LBB1670_23
	s_branch .LBB1670_52
.LBB1670_45:                            ;   in Loop: Header=BB1670_24 Depth=2
	v_and_b32_e32 v11, 1, v7
	s_delay_alu instid0(VALU_DEP_1) | instskip(NEXT) | instid1(VALU_DEP_1)
	v_lshrrev_b32_e32 v11, s30, v11
	v_and_b32_e32 v11, s31, v11
	s_delay_alu instid0(VALU_DEP_1) | instskip(SKIP_2) | instid1(SALU_CYCLE_1)
	v_lshl_or_b32 v11, v11, 4, v39
	ds_add_u32 v11, v61
	s_or_b32 exec_lo, exec_lo, s1
	s_mov_b32 s1, exec_lo
	v_cmpx_gt_u32_e64 s0, v29
	s_cbranch_execz .LBB1670_39
.LBB1670_46:                            ;   in Loop: Header=BB1670_24 Depth=2
	v_and_b32_e32 v11, 1, v10
	s_delay_alu instid0(VALU_DEP_1) | instskip(NEXT) | instid1(VALU_DEP_1)
	v_lshrrev_b32_e32 v11, s30, v11
	v_and_b32_e32 v11, s31, v11
	s_delay_alu instid0(VALU_DEP_1) | instskip(SKIP_3) | instid1(SALU_CYCLE_1)
	v_lshl_or_b32 v11, v11, 4, v39
	ds_add_u32 v11, v61
	s_wait_alu 0xfffe
	s_or_b32 exec_lo, exec_lo, s1
	s_mov_b32 s1, exec_lo
	v_cmpx_gt_u32_e64 s0, v30
	s_cbranch_execz .LBB1670_40
.LBB1670_47:                            ;   in Loop: Header=BB1670_24 Depth=2
	v_and_b32_e32 v11, 1, v9
	s_delay_alu instid0(VALU_DEP_1) | instskip(NEXT) | instid1(VALU_DEP_1)
	v_lshrrev_b32_e32 v11, s30, v11
	v_and_b32_e32 v11, s31, v11
	s_delay_alu instid0(VALU_DEP_1) | instskip(SKIP_3) | instid1(SALU_CYCLE_1)
	v_lshl_or_b32 v11, v11, 4, v39
	ds_add_u32 v11, v61
	s_wait_alu 0xfffe
	s_or_b32 exec_lo, exec_lo, s1
	s_mov_b32 s1, exec_lo
	v_cmpx_gt_u32_e64 s0, v31
	s_cbranch_execz .LBB1670_41
.LBB1670_48:                            ;   in Loop: Header=BB1670_24 Depth=2
	v_and_b32_e32 v11, 1, v8
	s_delay_alu instid0(VALU_DEP_1) | instskip(NEXT) | instid1(VALU_DEP_1)
	v_lshrrev_b32_e32 v11, s30, v11
	v_and_b32_e32 v11, s31, v11
	s_delay_alu instid0(VALU_DEP_1) | instskip(SKIP_3) | instid1(SALU_CYCLE_1)
	v_lshl_or_b32 v11, v11, 4, v39
	ds_add_u32 v11, v61
	s_wait_alu 0xfffe
	s_or_b32 exec_lo, exec_lo, s1
	s_mov_b32 s1, exec_lo
	v_cmpx_gt_u32_e64 s0, v34
	s_cbranch_execz .LBB1670_42
.LBB1670_49:                            ;   in Loop: Header=BB1670_24 Depth=2
	v_and_b32_e32 v11, 1, v6
	s_delay_alu instid0(VALU_DEP_1) | instskip(NEXT) | instid1(VALU_DEP_1)
	v_lshrrev_b32_e32 v11, s30, v11
	v_and_b32_e32 v11, s31, v11
	s_delay_alu instid0(VALU_DEP_1) | instskip(SKIP_3) | instid1(SALU_CYCLE_1)
	v_lshl_or_b32 v11, v11, 4, v39
	ds_add_u32 v11, v61
	s_wait_alu 0xfffe
	s_or_b32 exec_lo, exec_lo, s1
	s_mov_b32 s1, exec_lo
	v_cmpx_gt_u32_e64 s0, v35
	s_cbranch_execz .LBB1670_43
.LBB1670_50:                            ;   in Loop: Header=BB1670_24 Depth=2
	v_and_b32_e32 v11, 1, v5
	s_delay_alu instid0(VALU_DEP_1) | instskip(NEXT) | instid1(VALU_DEP_1)
	v_lshrrev_b32_e32 v11, s30, v11
	v_and_b32_e32 v11, s31, v11
	s_delay_alu instid0(VALU_DEP_1) | instskip(SKIP_3) | instid1(SALU_CYCLE_1)
	v_lshl_or_b32 v11, v11, 4, v39
	ds_add_u32 v11, v61
	s_wait_alu 0xfffe
	s_or_b32 exec_lo, exec_lo, s1
	s_mov_b32 s1, exec_lo
	v_cmpx_gt_u32_e64 s0, v36
	s_cbranch_execz .LBB1670_44
.LBB1670_51:                            ;   in Loop: Header=BB1670_24 Depth=2
	v_and_b32_e32 v11, 1, v4
	s_delay_alu instid0(VALU_DEP_1) | instskip(NEXT) | instid1(VALU_DEP_1)
	v_lshrrev_b32_e32 v11, s30, v11
	v_and_b32_e32 v11, s31, v11
	s_delay_alu instid0(VALU_DEP_1)
	v_lshl_or_b32 v11, v11, 4, v39
	ds_add_u32 v11, v61
	s_wait_alu 0xfffe
	s_or_b32 exec_lo, exec_lo, s1
	v_cmp_gt_u32_e32 vcc_lo, s0, v37
	s_and_saveexec_b32 s0, vcc_lo
	s_cbranch_execz .LBB1670_23
.LBB1670_52:                            ;   in Loop: Header=BB1670_24 Depth=2
	v_and_b32_e32 v11, 1, v2
	s_delay_alu instid0(VALU_DEP_1) | instskip(NEXT) | instid1(VALU_DEP_1)
	v_lshrrev_b32_e32 v11, s30, v11
	v_and_b32_e32 v11, s31, v11
	s_delay_alu instid0(VALU_DEP_1)
	v_lshl_or_b32 v11, v11, 4, v39
	ds_add_u32 v11, v61
	s_branch .LBB1670_23
.LBB1670_53:                            ;   in Loop: Header=BB1670_24 Depth=2
	s_wait_loadcnt 0x0
	s_wait_alu 0xfffe
	v_add_co_u32 v11, s12, s0, v1
	s_wait_alu 0xf1ff
	v_add_co_ci_u32_e64 v12, null, s1, 0, s12
	global_load_u8 v7, v[11:12], off
	s_or_b32 exec_lo, exec_lo, s11
	s_delay_alu instid0(SALU_CYCLE_1)
	s_mov_b32 s11, exec_lo
	v_cmpx_gt_u32_e64 s9, v29
	s_cbranch_execz .LBB1670_29
.LBB1670_54:                            ;   in Loop: Header=BB1670_24 Depth=2
	v_add_co_u32 v10, s12, s0, v1
	s_wait_loadcnt 0x0
	s_wait_alu 0xf1ff
	v_add_co_ci_u32_e64 v11, null, s1, 0, s12
	global_load_u8 v10, v[10:11], off offset:256
	s_wait_alu 0xfffe
	s_or_b32 exec_lo, exec_lo, s11
	s_delay_alu instid0(SALU_CYCLE_1)
	s_mov_b32 s11, exec_lo
	v_cmpx_gt_u32_e64 s9, v30
	s_cbranch_execz .LBB1670_30
.LBB1670_55:                            ;   in Loop: Header=BB1670_24 Depth=2
	s_wait_loadcnt 0x0
	v_add_co_u32 v11, s12, s0, v1
	s_wait_alu 0xf1ff
	v_add_co_ci_u32_e64 v12, null, s1, 0, s12
	global_load_u8 v9, v[11:12], off offset:512
	s_wait_alu 0xfffe
	s_or_b32 exec_lo, exec_lo, s11
	s_delay_alu instid0(SALU_CYCLE_1)
	s_mov_b32 s11, exec_lo
	v_cmpx_gt_u32_e64 s9, v31
	s_cbranch_execz .LBB1670_31
.LBB1670_56:                            ;   in Loop: Header=BB1670_24 Depth=2
	s_wait_loadcnt 0x0
	v_add_co_u32 v11, s12, s0, v1
	s_wait_alu 0xf1ff
	v_add_co_ci_u32_e64 v12, null, s1, 0, s12
	global_load_u8 v8, v[11:12], off offset:768
	s_wait_alu 0xfffe
	s_or_b32 exec_lo, exec_lo, s11
	s_delay_alu instid0(SALU_CYCLE_1)
	s_mov_b32 s11, exec_lo
	v_cmpx_gt_u32_e64 s9, v34
	s_cbranch_execz .LBB1670_32
.LBB1670_57:                            ;   in Loop: Header=BB1670_24 Depth=2
	s_wait_loadcnt 0x0
	v_add_co_u32 v11, s12, s0, v1
	s_wait_alu 0xf1ff
	v_add_co_ci_u32_e64 v12, null, s1, 0, s12
	global_load_u8 v6, v[11:12], off offset:1024
	s_wait_alu 0xfffe
	s_or_b32 exec_lo, exec_lo, s11
	s_delay_alu instid0(SALU_CYCLE_1)
	s_mov_b32 s11, exec_lo
	v_cmpx_gt_u32_e64 s9, v35
	s_cbranch_execz .LBB1670_33
.LBB1670_58:                            ;   in Loop: Header=BB1670_24 Depth=2
	s_wait_loadcnt 0x0
	v_add_co_u32 v11, s12, s0, v1
	s_wait_alu 0xf1ff
	v_add_co_ci_u32_e64 v12, null, s1, 0, s12
	global_load_u8 v5, v[11:12], off offset:1280
	s_wait_alu 0xfffe
	s_or_b32 exec_lo, exec_lo, s11
	s_delay_alu instid0(SALU_CYCLE_1)
	s_mov_b32 s11, exec_lo
	v_cmpx_gt_u32_e64 s9, v36
	s_cbranch_execz .LBB1670_34
.LBB1670_59:                            ;   in Loop: Header=BB1670_24 Depth=2
	s_wait_loadcnt 0x0
	v_add_co_u32 v11, s12, s0, v1
	s_wait_alu 0xf1ff
	v_add_co_ci_u32_e64 v12, null, s1, 0, s12
	global_load_u8 v4, v[11:12], off offset:1536
	s_wait_alu 0xfffe
	s_or_b32 exec_lo, exec_lo, s11
	s_delay_alu instid0(SALU_CYCLE_1)
	s_mov_b32 s11, exec_lo
	v_cmpx_gt_u32_e64 s9, v37
	s_cbranch_execnz .LBB1670_35
	s_branch .LBB1670_36
.LBB1670_60:                            ;   in Loop: Header=BB1670_20 Depth=1
	v_mov_b32_e32 v2, 0
	s_wait_dscnt 0x0
	s_barrier_signal -1
	s_barrier_wait -1
	global_inv scope:SCOPE_SE
	s_and_saveexec_b32 s0, s2
	s_cbranch_execz .LBB1670_62
; %bb.61:                               ;   in Loop: Header=BB1670_20 Depth=1
	ds_load_2addr_b64 v[4:7], v40 offset1:1
	s_wait_dscnt 0x0
	v_add_nc_u32_e32 v2, v5, v4
	s_delay_alu instid0(VALU_DEP_1)
	v_add3_u32 v2, v2, v6, v7
.LBB1670_62:                            ;   in Loop: Header=BB1670_20 Depth=1
	s_wait_alu 0xfffe
	s_or_b32 exec_lo, exec_lo, s0
	s_delay_alu instid0(VALU_DEP_1)
	v_mov_b32_dpp v4, v2 row_shr:1 row_mask:0xf bank_mask:0xf
	v_cmp_eq_u32_e64 s0, 0, v62
	v_cmp_lt_u32_e64 s1, 1, v62
	v_cmp_lt_u32_e64 s9, 3, v62
	;; [unrolled: 1-line block ×3, first 2 shown]
	v_cmp_eq_u32_e64 s11, 0, v64
	s_wait_alu 0xf1ff
	v_cndmask_b32_e64 v4, v4, 0, s0
	s_delay_alu instid0(VALU_DEP_1) | instskip(NEXT) | instid1(VALU_DEP_1)
	v_add_nc_u32_e32 v2, v4, v2
	v_mov_b32_dpp v4, v2 row_shr:2 row_mask:0xf bank_mask:0xf
	s_delay_alu instid0(VALU_DEP_1) | instskip(NEXT) | instid1(VALU_DEP_1)
	v_cndmask_b32_e64 v4, 0, v4, s1
	v_add_nc_u32_e32 v2, v2, v4
	s_delay_alu instid0(VALU_DEP_1) | instskip(NEXT) | instid1(VALU_DEP_1)
	v_mov_b32_dpp v4, v2 row_shr:4 row_mask:0xf bank_mask:0xf
	v_cndmask_b32_e64 v4, 0, v4, s9
	s_delay_alu instid0(VALU_DEP_1) | instskip(NEXT) | instid1(VALU_DEP_1)
	v_add_nc_u32_e32 v2, v2, v4
	v_mov_b32_dpp v4, v2 row_shr:8 row_mask:0xf bank_mask:0xf
	s_delay_alu instid0(VALU_DEP_1) | instskip(NEXT) | instid1(VALU_DEP_1)
	v_cndmask_b32_e64 v4, 0, v4, s10
	v_add_nc_u32_e32 v2, v2, v4
	ds_swizzle_b32 v4, v2 offset:swizzle(BROADCAST,32,15)
	s_wait_dscnt 0x0
	v_and_b32_e32 v4, v63, v4
	s_delay_alu instid0(VALU_DEP_1)
	v_add_nc_u32_e32 v2, v2, v4
	s_and_saveexec_b32 s12, s3
; %bb.63:                               ;   in Loop: Header=BB1670_20 Depth=1
	ds_store_b32 v41, v2
; %bb.64:                               ;   in Loop: Header=BB1670_20 Depth=1
	s_wait_alu 0xfffe
	s_or_b32 exec_lo, exec_lo, s12
	s_wait_loadcnt_dscnt 0x0
	s_barrier_signal -1
	s_barrier_wait -1
	global_inv scope:SCOPE_SE
	s_and_saveexec_b32 s12, s4
	s_cbranch_execz .LBB1670_66
; %bb.65:                               ;   in Loop: Header=BB1670_20 Depth=1
	ds_load_b32 v4, v42
	v_cmp_ne_u32_e32 vcc_lo, 0, v65
	s_wait_dscnt 0x0
	v_mov_b32_dpp v5, v4 row_shr:1 row_mask:0xf bank_mask:0xf
	s_wait_alu 0xfffd
	s_delay_alu instid0(VALU_DEP_1) | instskip(SKIP_1) | instid1(VALU_DEP_2)
	v_cndmask_b32_e32 v5, 0, v5, vcc_lo
	v_cmp_lt_u32_e32 vcc_lo, 1, v65
	v_add_nc_u32_e32 v4, v5, v4
	s_delay_alu instid0(VALU_DEP_1) | instskip(SKIP_1) | instid1(VALU_DEP_1)
	v_mov_b32_dpp v5, v4 row_shr:2 row_mask:0xf bank_mask:0xf
	s_wait_alu 0xfffd
	v_cndmask_b32_e32 v5, 0, v5, vcc_lo
	v_cmp_lt_u32_e32 vcc_lo, 3, v65
	s_delay_alu instid0(VALU_DEP_2) | instskip(NEXT) | instid1(VALU_DEP_1)
	v_add_nc_u32_e32 v4, v4, v5
	v_mov_b32_dpp v5, v4 row_shr:4 row_mask:0xf bank_mask:0xf
	s_wait_alu 0xfffd
	s_delay_alu instid0(VALU_DEP_1) | instskip(NEXT) | instid1(VALU_DEP_1)
	v_cndmask_b32_e32 v5, 0, v5, vcc_lo
	v_add_nc_u32_e32 v4, v4, v5
	ds_store_b32 v42, v4
.LBB1670_66:                            ;   in Loop: Header=BB1670_20 Depth=1
	s_wait_alu 0xfffe
	s_or_b32 exec_lo, exec_lo, s12
	v_mov_b32_e32 v4, 0
	s_wait_loadcnt_dscnt 0x0
	s_barrier_signal -1
	s_barrier_wait -1
	global_inv scope:SCOPE_SE
	s_and_saveexec_b32 s12, s5
; %bb.67:                               ;   in Loop: Header=BB1670_20 Depth=1
	ds_load_b32 v4, v43
; %bb.68:                               ;   in Loop: Header=BB1670_20 Depth=1
	s_wait_alu 0xfffe
	s_or_b32 exec_lo, exec_lo, s12
	v_cmp_gt_i32_e32 vcc_lo, 0, v67
	s_wait_dscnt 0x0
	v_add_nc_u32_e32 v2, v4, v2
	s_wait_loadcnt 0x0
	s_barrier_signal -1
	s_barrier_wait -1
	s_wait_alu 0xfffd
	v_cndmask_b32_e32 v5, v67, v58, vcc_lo
	global_inv scope:SCOPE_SE
	v_lshlrev_b32_e32 v80, 2, v5
	ds_bpermute_b32 v2, v80, v2
	s_and_saveexec_b32 s12, s2
	s_cbranch_execz .LBB1670_70
; %bb.69:                               ;   in Loop: Header=BB1670_20 Depth=1
	s_wait_dscnt 0x0
	v_cndmask_b32_e64 v2, v2, v4, s8
	s_delay_alu instid0(VALU_DEP_1)
	v_add_nc_u32_e32 v2, s33, v2
	ds_store_b32 v28, v2
.LBB1670_70:                            ;   in Loop: Header=BB1670_20 Depth=1
	s_wait_alu 0xfffe
	s_or_b32 exec_lo, exec_lo, s12
	s_clause 0x1
	s_load_b32 s12, s[28:29], 0x4
	s_load_b32 s14, s[28:29], 0xc
	s_mov_b32 s42, s47
                                        ; implicit-def: $vgpr6_vgpr7
                                        ; implicit-def: $vgpr8_vgpr9
                                        ; implicit-def: $vgpr10_vgpr11
                                        ; implicit-def: $vgpr12_vgpr13
                                        ; implicit-def: $vgpr14_vgpr15
                                        ; implicit-def: $vgpr16_vgpr17
                                        ; implicit-def: $vgpr18_vgpr19
                                        ; implicit-def: $vgpr82
                                        ; implicit-def: $vgpr83
                                        ; implicit-def: $vgpr84
                                        ; implicit-def: $vgpr85
                                        ; implicit-def: $vgpr86
                                        ; implicit-def: $vgpr87
                                        ; implicit-def: $vgpr88
                                        ; implicit-def: $vgpr89
	s_wait_kmcnt 0x0
	s_cmp_lt_u32 ttmp7, s12
	s_cselect_b32 s22, 14, 20
	s_wait_alu 0xfffe
	s_add_nc_u64 s[12:13], s[28:29], s[22:23]
	s_mov_b32 s22, s33
	s_load_u16 s12, s[12:13], 0x0
	v_cmp_lt_u32_e64 s13, 1, v65
	s_wait_dscnt 0x0
	s_wait_kmcnt 0x0
	v_mad_u32_u24 v2, v44, s12, v0
	s_and_b32 s12, s14, 0xffff
	v_cmp_lt_u32_e64 s14, 3, v65
	s_wait_alu 0xfffe
	s_delay_alu instid0(VALU_DEP_2) | instskip(SKIP_1) | instid1(VALU_DEP_2)
	v_mad_co_u64_u32 v[4:5], null, v2, s12, v[1:2]
	v_cmp_eq_u32_e64 s12, 0, v65
	v_lshrrev_b32_e32 v2, 3, v4
                                        ; implicit-def: $vgpr4_vgpr5
	s_delay_alu instid0(VALU_DEP_1)
	v_and_b32_e32 v81, 0x1ffffffc, v2
	s_branch .LBB1670_72
.LBB1670_71:                            ;   in Loop: Header=BB1670_72 Depth=2
	s_wait_alu 0xfffe
	s_or_b32 exec_lo, exec_lo, s15
	s_addk_co_i32 s42, 0xf800
	s_cmp_lt_u32 s43, s34
	s_mov_b32 s22, s43
	s_cbranch_scc0 .LBB1670_184
.LBB1670_72:                            ;   Parent Loop BB1670_20 Depth=1
                                        ; =>  This Inner Loop Header: Depth=2
	s_wait_alu 0xfffe
	s_add_co_i32 s43, s22, 0x800
	s_wait_alu 0xfffe
	s_cmp_gt_u32 s43, s34
	s_cbranch_scc1 .LBB1670_74
; %bb.73:                               ;   in Loop: Header=BB1670_72 Depth=2
	v_add_co_u32 v20, vcc_lo, v78, s22
	s_wait_alu 0xfffd
	v_add_co_ci_u32_e64 v21, null, 0, v79, vcc_lo
	s_mov_b32 s15, -1
	s_clause 0x6
	global_load_u8 v90, v[20:21], off
	global_load_u8 v91, v[20:21], off offset:32
	global_load_u8 v92, v[20:21], off offset:64
	;; [unrolled: 1-line block ×6, first 2 shown]
	s_movk_i32 s16, 0x800
	s_cbranch_execz .LBB1670_75
	s_branch .LBB1670_90
.LBB1670_74:                            ;   in Loop: Header=BB1670_72 Depth=2
	s_mov_b32 s15, 0
                                        ; implicit-def: $vgpr90
                                        ; implicit-def: $vgpr91
                                        ; implicit-def: $vgpr92
                                        ; implicit-def: $vgpr93
                                        ; implicit-def: $vgpr94
                                        ; implicit-def: $vgpr95
                                        ; implicit-def: $vgpr96
	s_movk_i32 s16, 0x800
.LBB1670_75:                            ;   in Loop: Header=BB1670_72 Depth=2
	v_add_co_u32 v20, vcc_lo, v78, s22
	s_wait_alu 0xfffd
	v_add_co_ci_u32_e64 v21, null, 0, v79, vcc_lo
	s_wait_loadcnt 0x5
	v_dual_mov_b32 v91, 1 :: v_dual_mov_b32 v90, 1
	s_mov_b32 s15, exec_lo
	v_cmpx_gt_u32_e64 s42, v68
	s_cbranch_execz .LBB1670_77
; %bb.76:                               ;   in Loop: Header=BB1670_72 Depth=2
	global_load_u8 v90, v[20:21], off
.LBB1670_77:                            ;   in Loop: Header=BB1670_72 Depth=2
	s_wait_alu 0xfffe
	s_or_b32 exec_lo, exec_lo, s15
	s_delay_alu instid0(SALU_CYCLE_1)
	s_mov_b32 s15, exec_lo
	v_cmpx_gt_u32_e64 s42, v71
	s_cbranch_execz .LBB1670_79
; %bb.78:                               ;   in Loop: Header=BB1670_72 Depth=2
	global_load_u8 v91, v[20:21], off offset:32
.LBB1670_79:                            ;   in Loop: Header=BB1670_72 Depth=2
	s_wait_alu 0xfffe
	s_or_b32 exec_lo, exec_lo, s15
	s_wait_loadcnt 0x3
	v_dual_mov_b32 v93, 1 :: v_dual_mov_b32 v92, 1
	s_mov_b32 s15, exec_lo
	v_cmpx_gt_u32_e64 s42, v72
	s_cbranch_execz .LBB1670_81
; %bb.80:                               ;   in Loop: Header=BB1670_72 Depth=2
	global_load_u8 v92, v[20:21], off offset:64
.LBB1670_81:                            ;   in Loop: Header=BB1670_72 Depth=2
	s_wait_alu 0xfffe
	s_or_b32 exec_lo, exec_lo, s15
	s_delay_alu instid0(SALU_CYCLE_1)
	s_mov_b32 s15, exec_lo
	v_cmpx_gt_u32_e64 s42, v73
	s_cbranch_execz .LBB1670_83
; %bb.82:                               ;   in Loop: Header=BB1670_72 Depth=2
	global_load_u8 v93, v[20:21], off offset:96
.LBB1670_83:                            ;   in Loop: Header=BB1670_72 Depth=2
	s_wait_alu 0xfffe
	s_or_b32 exec_lo, exec_lo, s15
	s_wait_loadcnt 0x1
	v_dual_mov_b32 v95, 1 :: v_dual_mov_b32 v94, 1
	s_mov_b32 s15, exec_lo
	v_cmpx_gt_u32_e64 s42, v74
	s_cbranch_execz .LBB1670_85
; %bb.84:                               ;   in Loop: Header=BB1670_72 Depth=2
	global_load_u8 v94, v[20:21], off offset:128
.LBB1670_85:                            ;   in Loop: Header=BB1670_72 Depth=2
	s_wait_alu 0xfffe
	s_or_b32 exec_lo, exec_lo, s15
	s_delay_alu instid0(SALU_CYCLE_1)
	s_mov_b32 s15, exec_lo
	v_cmpx_gt_u32_e64 s42, v75
	s_cbranch_execz .LBB1670_87
; %bb.86:                               ;   in Loop: Header=BB1670_72 Depth=2
	global_load_u8 v95, v[20:21], off offset:160
.LBB1670_87:                            ;   in Loop: Header=BB1670_72 Depth=2
	s_wait_alu 0xfffe
	s_or_b32 exec_lo, exec_lo, s15
	s_wait_loadcnt 0x0
	v_mov_b32_e32 v96, 1
	s_mov_b32 s15, exec_lo
	v_cmpx_gt_u32_e64 s42, v76
	s_cbranch_execz .LBB1670_89
; %bb.88:                               ;   in Loop: Header=BB1670_72 Depth=2
	global_load_u8 v96, v[20:21], off offset:192
.LBB1670_89:                            ;   in Loop: Header=BB1670_72 Depth=2
	s_wait_alu 0xfffe
	s_or_b32 exec_lo, exec_lo, s15
	v_cmp_gt_u32_e64 s15, s42, v77
	s_sub_co_i32 s16, s34, s22
.LBB1670_90:                            ;   in Loop: Header=BB1670_72 Depth=2
	v_dual_mov_b32 v97, 1 :: v_dual_mov_b32 v2, s42
	s_wait_alu 0xfffe
	s_and_saveexec_b32 s17, s15
	s_cbranch_execz .LBB1670_92
; %bb.91:                               ;   in Loop: Header=BB1670_72 Depth=2
	v_add_co_u32 v20, vcc_lo, v78, s22
	s_wait_alu 0xfffd
	v_add_co_ci_u32_e64 v21, null, s23, v79, vcc_lo
	v_mov_b32_e32 v2, s16
	global_load_u8 v97, v[20:21], off offset:224
.LBB1670_92:                            ;   in Loop: Header=BB1670_72 Depth=2
	s_wait_alu 0xfffe
	s_or_b32 exec_lo, exec_lo, s17
	s_wait_loadcnt 0x6
	v_and_b32_e32 v20, 0xff, v90
	v_add_nc_u32_e32 v99, 0x438, v45
	v_add_nc_u32_e32 v100, 0x420, v45
	;; [unrolled: 1-line block ×4, first 2 shown]
	v_lshrrev_b32_e32 v20, s30, v20
	ds_store_2addr_b32 v99, v3, v3 offset1:1
	ds_store_2addr_b32 v100, v3, v3 offset1:1
	;; [unrolled: 1-line block ×4, first 2 shown]
	ds_store_b32 v45, v3 offset:1088
	s_wait_loadcnt_dscnt 0x0
	s_barrier_signal -1
	v_and_b32_e32 v21, s31, v20
	s_barrier_wait -1
	global_inv scope:SCOPE_SE
	; wave barrier
	v_add_co_u32 v20, s15, v21, -1
	s_wait_alu 0xf1ff
	v_cndmask_b32_e64 v22, 0, 1, s15
	v_mul_u32_u24_e32 v21, 36, v21
	s_delay_alu instid0(VALU_DEP_2) | instskip(NEXT) | instid1(VALU_DEP_2)
	v_cmp_ne_u32_e32 vcc_lo, 0, v22
	v_add_nc_u32_e32 v104, v81, v21
	s_wait_alu 0xfffd
	v_xor_b32_e32 v20, vcc_lo, v20
	s_delay_alu instid0(VALU_DEP_1) | instskip(NEXT) | instid1(VALU_DEP_1)
	v_and_b32_e32 v20, exec_lo, v20
	v_mbcnt_lo_u32_b32 v98, v20, 0
	v_cmp_ne_u32_e64 s15, 0, v20
	s_delay_alu instid0(VALU_DEP_2)
	v_cmp_eq_u32_e32 vcc_lo, 0, v98
	s_and_b32 s16, s15, vcc_lo
	s_wait_alu 0xfffe
	s_and_saveexec_b32 s15, s16
; %bb.93:                               ;   in Loop: Header=BB1670_72 Depth=2
	v_bcnt_u32_b32 v20, v20, 0
	ds_store_b32 v104, v20 offset:1056
; %bb.94:                               ;   in Loop: Header=BB1670_72 Depth=2
	s_wait_alu 0xfffe
	s_or_b32 exec_lo, exec_lo, s15
	v_and_b32_e32 v20, 0xff, v91
	; wave barrier
	s_delay_alu instid0(VALU_DEP_1) | instskip(NEXT) | instid1(VALU_DEP_1)
	v_lshrrev_b32_e32 v20, s30, v20
	v_and_b32_e32 v21, s31, v20
	s_delay_alu instid0(VALU_DEP_1) | instskip(SKIP_2) | instid1(VALU_DEP_1)
	v_add_co_u32 v20, s15, v21, -1
	s_wait_alu 0xf1ff
	v_cndmask_b32_e64 v22, 0, 1, s15
	v_cmp_ne_u32_e32 vcc_lo, 0, v22
	v_mad_u32_u24 v22, v21, 36, v81
	v_mul_u32_u24_e32 v21, 36, v21
	s_wait_alu 0xfffd
	v_xor_b32_e32 v20, vcc_lo, v20
	ds_load_b32 v103, v22 offset:1056
	v_add_nc_u32_e32 v108, v81, v21
	; wave barrier
	v_and_b32_e32 v20, exec_lo, v20
	s_delay_alu instid0(VALU_DEP_1) | instskip(SKIP_1) | instid1(VALU_DEP_2)
	v_mbcnt_lo_u32_b32 v105, v20, 0
	v_cmp_ne_u32_e64 s15, 0, v20
	v_cmp_eq_u32_e32 vcc_lo, 0, v105
	s_and_b32 s16, s15, vcc_lo
	s_wait_alu 0xfffe
	s_and_saveexec_b32 s15, s16
	s_cbranch_execz .LBB1670_96
; %bb.95:                               ;   in Loop: Header=BB1670_72 Depth=2
	s_wait_dscnt 0x0
	v_bcnt_u32_b32 v20, v20, v103
	ds_store_b32 v108, v20 offset:1056
.LBB1670_96:                            ;   in Loop: Header=BB1670_72 Depth=2
	s_wait_alu 0xfffe
	s_or_b32 exec_lo, exec_lo, s15
	v_and_b32_e32 v20, 0xff, v92
	; wave barrier
	s_delay_alu instid0(VALU_DEP_1) | instskip(NEXT) | instid1(VALU_DEP_1)
	v_lshrrev_b32_e32 v20, s30, v20
	v_and_b32_e32 v21, s31, v20
	s_delay_alu instid0(VALU_DEP_1) | instskip(SKIP_2) | instid1(VALU_DEP_1)
	v_add_co_u32 v20, s15, v21, -1
	s_wait_alu 0xf1ff
	v_cndmask_b32_e64 v22, 0, 1, s15
	v_cmp_ne_u32_e32 vcc_lo, 0, v22
	v_mad_u32_u24 v22, v21, 36, v81
	v_mul_u32_u24_e32 v21, 36, v21
	s_wait_alu 0xfffd
	v_xor_b32_e32 v20, vcc_lo, v20
	ds_load_b32 v106, v22 offset:1056
	v_add_nc_u32_e32 v111, v81, v21
	; wave barrier
	v_and_b32_e32 v20, exec_lo, v20
	s_delay_alu instid0(VALU_DEP_1) | instskip(SKIP_1) | instid1(VALU_DEP_2)
	v_mbcnt_lo_u32_b32 v107, v20, 0
	v_cmp_ne_u32_e64 s15, 0, v20
	v_cmp_eq_u32_e32 vcc_lo, 0, v107
	s_and_b32 s16, s15, vcc_lo
	s_wait_alu 0xfffe
	s_and_saveexec_b32 s15, s16
	s_cbranch_execz .LBB1670_98
; %bb.97:                               ;   in Loop: Header=BB1670_72 Depth=2
	s_wait_dscnt 0x0
	v_bcnt_u32_b32 v20, v20, v106
	ds_store_b32 v111, v20 offset:1056
.LBB1670_98:                            ;   in Loop: Header=BB1670_72 Depth=2
	s_wait_alu 0xfffe
	s_or_b32 exec_lo, exec_lo, s15
	v_and_b32_e32 v20, 0xff, v93
	; wave barrier
	s_delay_alu instid0(VALU_DEP_1) | instskip(NEXT) | instid1(VALU_DEP_1)
	v_lshrrev_b32_e32 v20, s30, v20
	v_and_b32_e32 v21, s31, v20
	s_delay_alu instid0(VALU_DEP_1) | instskip(SKIP_2) | instid1(VALU_DEP_1)
	v_add_co_u32 v20, s15, v21, -1
	s_wait_alu 0xf1ff
	v_cndmask_b32_e64 v22, 0, 1, s15
	v_cmp_ne_u32_e32 vcc_lo, 0, v22
	v_mad_u32_u24 v22, v21, 36, v81
	v_mul_u32_u24_e32 v21, 36, v21
	s_wait_alu 0xfffd
	v_xor_b32_e32 v20, vcc_lo, v20
	ds_load_b32 v109, v22 offset:1056
	v_add_nc_u32_e32 v114, v81, v21
	; wave barrier
	v_and_b32_e32 v20, exec_lo, v20
	s_delay_alu instid0(VALU_DEP_1) | instskip(SKIP_1) | instid1(VALU_DEP_2)
	v_mbcnt_lo_u32_b32 v110, v20, 0
	v_cmp_ne_u32_e64 s15, 0, v20
	v_cmp_eq_u32_e32 vcc_lo, 0, v110
	s_and_b32 s16, s15, vcc_lo
	s_wait_alu 0xfffe
	s_and_saveexec_b32 s15, s16
	s_cbranch_execz .LBB1670_100
; %bb.99:                               ;   in Loop: Header=BB1670_72 Depth=2
	s_wait_dscnt 0x0
	v_bcnt_u32_b32 v20, v20, v109
	ds_store_b32 v114, v20 offset:1056
.LBB1670_100:                           ;   in Loop: Header=BB1670_72 Depth=2
	s_wait_alu 0xfffe
	s_or_b32 exec_lo, exec_lo, s15
	v_and_b32_e32 v20, 0xff, v94
	; wave barrier
	s_delay_alu instid0(VALU_DEP_1) | instskip(NEXT) | instid1(VALU_DEP_1)
	v_lshrrev_b32_e32 v20, s30, v20
	v_and_b32_e32 v21, s31, v20
	s_delay_alu instid0(VALU_DEP_1) | instskip(SKIP_2) | instid1(VALU_DEP_1)
	v_add_co_u32 v20, s15, v21, -1
	s_wait_alu 0xf1ff
	v_cndmask_b32_e64 v22, 0, 1, s15
	v_cmp_ne_u32_e32 vcc_lo, 0, v22
	v_mad_u32_u24 v22, v21, 36, v81
	v_mul_u32_u24_e32 v21, 36, v21
	s_wait_alu 0xfffd
	v_xor_b32_e32 v20, vcc_lo, v20
	ds_load_b32 v112, v22 offset:1056
	v_add_nc_u32_e32 v117, v81, v21
	; wave barrier
	v_and_b32_e32 v20, exec_lo, v20
	s_delay_alu instid0(VALU_DEP_1) | instskip(SKIP_1) | instid1(VALU_DEP_2)
	v_mbcnt_lo_u32_b32 v113, v20, 0
	v_cmp_ne_u32_e64 s15, 0, v20
	v_cmp_eq_u32_e32 vcc_lo, 0, v113
	s_and_b32 s16, s15, vcc_lo
	s_wait_alu 0xfffe
	s_and_saveexec_b32 s15, s16
	s_cbranch_execz .LBB1670_102
; %bb.101:                              ;   in Loop: Header=BB1670_72 Depth=2
	s_wait_dscnt 0x0
	v_bcnt_u32_b32 v20, v20, v112
	ds_store_b32 v117, v20 offset:1056
.LBB1670_102:                           ;   in Loop: Header=BB1670_72 Depth=2
	s_wait_alu 0xfffe
	s_or_b32 exec_lo, exec_lo, s15
	v_and_b32_e32 v20, 0xff, v95
	; wave barrier
	s_delay_alu instid0(VALU_DEP_1) | instskip(NEXT) | instid1(VALU_DEP_1)
	v_lshrrev_b32_e32 v20, s30, v20
	v_and_b32_e32 v21, s31, v20
	s_delay_alu instid0(VALU_DEP_1) | instskip(SKIP_2) | instid1(VALU_DEP_1)
	v_add_co_u32 v20, s15, v21, -1
	s_wait_alu 0xf1ff
	v_cndmask_b32_e64 v22, 0, 1, s15
	v_cmp_ne_u32_e32 vcc_lo, 0, v22
	v_mad_u32_u24 v22, v21, 36, v81
	v_mul_u32_u24_e32 v21, 36, v21
	s_wait_alu 0xfffd
	v_xor_b32_e32 v20, vcc_lo, v20
	ds_load_b32 v115, v22 offset:1056
	v_add_nc_u32_e32 v120, v81, v21
	; wave barrier
	v_and_b32_e32 v20, exec_lo, v20
	s_delay_alu instid0(VALU_DEP_1) | instskip(SKIP_1) | instid1(VALU_DEP_2)
	v_mbcnt_lo_u32_b32 v116, v20, 0
	v_cmp_ne_u32_e64 s15, 0, v20
	v_cmp_eq_u32_e32 vcc_lo, 0, v116
	s_and_b32 s16, s15, vcc_lo
	s_wait_alu 0xfffe
	s_and_saveexec_b32 s15, s16
	s_cbranch_execz .LBB1670_104
; %bb.103:                              ;   in Loop: Header=BB1670_72 Depth=2
	s_wait_dscnt 0x0
	v_bcnt_u32_b32 v20, v20, v115
	ds_store_b32 v120, v20 offset:1056
.LBB1670_104:                           ;   in Loop: Header=BB1670_72 Depth=2
	s_wait_alu 0xfffe
	s_or_b32 exec_lo, exec_lo, s15
	v_and_b32_e32 v20, 0xff, v96
	; wave barrier
	s_delay_alu instid0(VALU_DEP_1) | instskip(NEXT) | instid1(VALU_DEP_1)
	v_lshrrev_b32_e32 v20, s30, v20
	v_and_b32_e32 v21, s31, v20
	s_delay_alu instid0(VALU_DEP_1) | instskip(SKIP_2) | instid1(VALU_DEP_1)
	v_add_co_u32 v20, s15, v21, -1
	s_wait_alu 0xf1ff
	v_cndmask_b32_e64 v22, 0, 1, s15
	v_cmp_ne_u32_e32 vcc_lo, 0, v22
	v_mad_u32_u24 v22, v21, 36, v81
	v_mul_u32_u24_e32 v21, 36, v21
	s_wait_alu 0xfffd
	v_xor_b32_e32 v20, vcc_lo, v20
	ds_load_b32 v118, v22 offset:1056
	v_add_nc_u32_e32 v123, v81, v21
	; wave barrier
	v_and_b32_e32 v20, exec_lo, v20
	s_delay_alu instid0(VALU_DEP_1) | instskip(SKIP_1) | instid1(VALU_DEP_2)
	v_mbcnt_lo_u32_b32 v119, v20, 0
	v_cmp_ne_u32_e64 s15, 0, v20
	v_cmp_eq_u32_e32 vcc_lo, 0, v119
	s_and_b32 s16, s15, vcc_lo
	s_wait_alu 0xfffe
	s_and_saveexec_b32 s15, s16
	s_cbranch_execz .LBB1670_106
; %bb.105:                              ;   in Loop: Header=BB1670_72 Depth=2
	s_wait_dscnt 0x0
	v_bcnt_u32_b32 v20, v20, v118
	ds_store_b32 v123, v20 offset:1056
.LBB1670_106:                           ;   in Loop: Header=BB1670_72 Depth=2
	s_wait_alu 0xfffe
	s_or_b32 exec_lo, exec_lo, s15
	v_and_b32_e32 v20, 0xff, v97
	; wave barrier
	s_delay_alu instid0(VALU_DEP_1) | instskip(NEXT) | instid1(VALU_DEP_1)
	v_lshrrev_b32_e32 v20, s30, v20
	v_and_b32_e32 v21, s31, v20
	s_delay_alu instid0(VALU_DEP_1) | instskip(SKIP_2) | instid1(VALU_DEP_1)
	v_add_co_u32 v20, s15, v21, -1
	s_wait_alu 0xf1ff
	v_cndmask_b32_e64 v22, 0, 1, s15
	v_cmp_ne_u32_e32 vcc_lo, 0, v22
	v_mad_u32_u24 v22, v21, 36, v81
	v_mul_u32_u24_e32 v21, 36, v21
	s_wait_alu 0xfffd
	v_xor_b32_e32 v20, vcc_lo, v20
	ds_load_b32 v121, v22 offset:1056
	v_add_nc_u32_e32 v124, v81, v21
	; wave barrier
	v_and_b32_e32 v20, exec_lo, v20
	s_delay_alu instid0(VALU_DEP_1) | instskip(SKIP_1) | instid1(VALU_DEP_2)
	v_mbcnt_lo_u32_b32 v122, v20, 0
	v_cmp_ne_u32_e64 s15, 0, v20
	v_cmp_eq_u32_e32 vcc_lo, 0, v122
	s_and_b32 s16, s15, vcc_lo
	s_wait_alu 0xfffe
	s_and_saveexec_b32 s15, s16
	s_cbranch_execz .LBB1670_108
; %bb.107:                              ;   in Loop: Header=BB1670_72 Depth=2
	s_wait_dscnt 0x0
	v_bcnt_u32_b32 v20, v20, v121
	ds_store_b32 v124, v20 offset:1056
.LBB1670_108:                           ;   in Loop: Header=BB1670_72 Depth=2
	s_wait_alu 0xfffe
	s_or_b32 exec_lo, exec_lo, s15
	; wave barrier
	s_wait_loadcnt_dscnt 0x0
	s_barrier_signal -1
	s_barrier_wait -1
	global_inv scope:SCOPE_SE
	ds_load_2addr_b32 v[26:27], v100 offset1:1
	ds_load_2addr_b32 v[24:25], v101 offset1:1
	ds_load_2addr_b32 v[22:23], v102 offset1:1
	ds_load_2addr_b32 v[20:21], v99 offset1:1
	ds_load_b32 v125, v45 offset:1088
	s_wait_dscnt 0x3
	v_add3_u32 v126, v27, v26, v24
	s_wait_dscnt 0x2
	s_delay_alu instid0(VALU_DEP_1) | instskip(SKIP_1) | instid1(VALU_DEP_1)
	v_add3_u32 v126, v126, v25, v22
	s_wait_dscnt 0x1
	v_add3_u32 v126, v126, v23, v20
	s_wait_dscnt 0x0
	s_delay_alu instid0(VALU_DEP_1) | instskip(NEXT) | instid1(VALU_DEP_1)
	v_add3_u32 v125, v126, v21, v125
	v_mov_b32_dpp v126, v125 row_shr:1 row_mask:0xf bank_mask:0xf
	s_delay_alu instid0(VALU_DEP_1) | instskip(NEXT) | instid1(VALU_DEP_1)
	v_cndmask_b32_e64 v126, v126, 0, s0
	v_add_nc_u32_e32 v125, v126, v125
	s_delay_alu instid0(VALU_DEP_1) | instskip(NEXT) | instid1(VALU_DEP_1)
	v_mov_b32_dpp v126, v125 row_shr:2 row_mask:0xf bank_mask:0xf
	v_cndmask_b32_e64 v126, 0, v126, s1
	s_delay_alu instid0(VALU_DEP_1) | instskip(NEXT) | instid1(VALU_DEP_1)
	v_add_nc_u32_e32 v125, v125, v126
	v_mov_b32_dpp v126, v125 row_shr:4 row_mask:0xf bank_mask:0xf
	s_delay_alu instid0(VALU_DEP_1) | instskip(NEXT) | instid1(VALU_DEP_1)
	v_cndmask_b32_e64 v126, 0, v126, s9
	v_add_nc_u32_e32 v125, v125, v126
	s_delay_alu instid0(VALU_DEP_1) | instskip(NEXT) | instid1(VALU_DEP_1)
	v_mov_b32_dpp v126, v125 row_shr:8 row_mask:0xf bank_mask:0xf
	v_cndmask_b32_e64 v126, 0, v126, s10
	s_delay_alu instid0(VALU_DEP_1) | instskip(SKIP_3) | instid1(VALU_DEP_1)
	v_add_nc_u32_e32 v125, v125, v126
	ds_swizzle_b32 v126, v125 offset:swizzle(BROADCAST,32,15)
	s_wait_dscnt 0x0
	v_cndmask_b32_e64 v126, v126, 0, s11
	v_add_nc_u32_e32 v125, v125, v126
	s_and_saveexec_b32 s15, s3
; %bb.109:                              ;   in Loop: Header=BB1670_72 Depth=2
	ds_store_b32 v38, v125 offset:1024
; %bb.110:                              ;   in Loop: Header=BB1670_72 Depth=2
	s_wait_alu 0xfffe
	s_or_b32 exec_lo, exec_lo, s15
	s_wait_loadcnt_dscnt 0x0
	s_barrier_signal -1
	s_barrier_wait -1
	global_inv scope:SCOPE_SE
	s_and_saveexec_b32 s15, s4
	s_cbranch_execz .LBB1670_112
; %bb.111:                              ;   in Loop: Header=BB1670_72 Depth=2
	v_add_nc_u32_e32 v126, v45, v46
	ds_load_b32 v127, v126 offset:1024
	s_wait_dscnt 0x0
	v_mov_b32_dpp v128, v127 row_shr:1 row_mask:0xf bank_mask:0xf
	s_delay_alu instid0(VALU_DEP_1) | instskip(NEXT) | instid1(VALU_DEP_1)
	v_cndmask_b32_e64 v128, v128, 0, s12
	v_add_nc_u32_e32 v127, v128, v127
	s_delay_alu instid0(VALU_DEP_1) | instskip(NEXT) | instid1(VALU_DEP_1)
	v_mov_b32_dpp v128, v127 row_shr:2 row_mask:0xf bank_mask:0xf
	v_cndmask_b32_e64 v128, 0, v128, s13
	s_delay_alu instid0(VALU_DEP_1) | instskip(NEXT) | instid1(VALU_DEP_1)
	v_add_nc_u32_e32 v127, v127, v128
	v_mov_b32_dpp v128, v127 row_shr:4 row_mask:0xf bank_mask:0xf
	s_delay_alu instid0(VALU_DEP_1) | instskip(NEXT) | instid1(VALU_DEP_1)
	v_cndmask_b32_e64 v128, 0, v128, s14
	v_add_nc_u32_e32 v127, v127, v128
	ds_store_b32 v126, v127 offset:1024
.LBB1670_112:                           ;   in Loop: Header=BB1670_72 Depth=2
	s_wait_alu 0xfffe
	s_or_b32 exec_lo, exec_lo, s15
	v_mov_b32_e32 v126, 0
	s_wait_loadcnt_dscnt 0x0
	s_barrier_signal -1
	s_barrier_wait -1
	global_inv scope:SCOPE_SE
	s_and_saveexec_b32 s15, s5
; %bb.113:                              ;   in Loop: Header=BB1670_72 Depth=2
	ds_load_b32 v126, v38 offset:1020
; %bb.114:                              ;   in Loop: Header=BB1670_72 Depth=2
	s_wait_alu 0xfffe
	s_or_b32 exec_lo, exec_lo, s15
	s_wait_dscnt 0x0
	v_add_nc_u32_e32 v125, v126, v125
	ds_bpermute_b32 v125, v80, v125
	s_wait_dscnt 0x0
	v_cndmask_b32_e64 v125, v125, v126, s8
	s_delay_alu instid0(VALU_DEP_1) | instskip(NEXT) | instid1(VALU_DEP_1)
	v_cndmask_b32_e64 v125, v125, 0, s6
	v_add_nc_u32_e32 v26, v125, v26
	s_delay_alu instid0(VALU_DEP_1) | instskip(NEXT) | instid1(VALU_DEP_1)
	v_add_nc_u32_e32 v27, v26, v27
	v_add_nc_u32_e32 v24, v27, v24
	s_delay_alu instid0(VALU_DEP_1) | instskip(NEXT) | instid1(VALU_DEP_1)
	v_add_nc_u32_e32 v25, v24, v25
	;; [unrolled: 3-line block ×3, first 2 shown]
	v_add_nc_u32_e32 v20, v23, v20
	s_delay_alu instid0(VALU_DEP_1)
	v_add_nc_u32_e32 v21, v20, v21
	ds_store_2addr_b32 v99, v23, v20 offset1:1
	ds_store_2addr_b32 v100, v125, v26 offset1:1
	;; [unrolled: 1-line block ×4, first 2 shown]
	ds_store_b32 v45, v21 offset:1088
	s_wait_loadcnt_dscnt 0x0
	s_barrier_signal -1
	s_barrier_wait -1
	global_inv scope:SCOPE_SE
	ds_load_b32 v20, v104 offset:1056
	ds_load_b32 v21, v108 offset:1056
	;; [unrolled: 1-line block ×9, first 2 shown]
	v_mov_b32_e32 v22, 0x800
	s_and_saveexec_b32 s15, s7
; %bb.115:                              ;   in Loop: Header=BB1670_72 Depth=2
	ds_load_b32 v22, v45 offset:1092
; %bb.116:                              ;   in Loop: Header=BB1670_72 Depth=2
	s_wait_alu 0xfffe
	s_or_b32 exec_lo, exec_lo, s15
	s_wait_loadcnt_dscnt 0x0
	s_barrier_signal -1
	s_barrier_wait -1
	global_inv scope:SCOPE_SE
	s_and_saveexec_b32 s15, s2
	s_cbranch_execz .LBB1670_118
; %bb.117:                              ;   in Loop: Header=BB1670_72 Depth=2
	ds_load_b32 v27, v28
	s_wait_dscnt 0x0
	v_sub_nc_u32_e32 v26, v27, v26
	ds_store_b32 v28, v26
.LBB1670_118:                           ;   in Loop: Header=BB1670_72 Depth=2
	s_wait_alu 0xfffe
	s_or_b32 exec_lo, exec_lo, s15
	v_add_nc_u32_e32 v100, v20, v98
	v_add3_u32 v99, v105, v103, v21
	v_add3_u32 v98, v107, v106, v23
	v_add3_u32 v27, v110, v109, v24
	v_add3_u32 v26, v113, v112, v25
	v_add3_u32 v25, v116, v115, v101
	v_add3_u32 v24, v119, v118, v102
	v_add3_u32 v23, v122, v121, v104
	v_cmp_lt_u32_e64 s21, v1, v2
	ds_store_b8 v100, v90 offset:1024
	ds_store_b8 v99, v91 offset:1024
	;; [unrolled: 1-line block ×8, first 2 shown]
	s_wait_loadcnt_dscnt 0x0
	s_barrier_signal -1
	s_barrier_wait -1
	global_inv scope:SCOPE_SE
	s_and_saveexec_b32 s15, s21
	s_cbranch_execnz .LBB1670_155
; %bb.119:                              ;   in Loop: Header=BB1670_72 Depth=2
	s_wait_alu 0xfffe
	s_or_b32 exec_lo, exec_lo, s15
	v_cmp_lt_u32_e64 s20, v29, v2
	s_and_saveexec_b32 s15, s20
	s_cbranch_execnz .LBB1670_156
.LBB1670_120:                           ;   in Loop: Header=BB1670_72 Depth=2
	s_wait_alu 0xfffe
	s_or_b32 exec_lo, exec_lo, s15
	v_cmp_lt_u32_e64 s19, v30, v2
	s_and_saveexec_b32 s15, s19
	s_cbranch_execnz .LBB1670_157
.LBB1670_121:                           ;   in Loop: Header=BB1670_72 Depth=2
	s_wait_alu 0xfffe
	s_or_b32 exec_lo, exec_lo, s15
	v_cmp_lt_u32_e64 s18, v31, v2
	s_and_saveexec_b32 s15, s18
	s_cbranch_execnz .LBB1670_158
.LBB1670_122:                           ;   in Loop: Header=BB1670_72 Depth=2
	s_wait_alu 0xfffe
	s_or_b32 exec_lo, exec_lo, s15
	v_cmp_lt_u32_e64 s17, v34, v2
	s_and_saveexec_b32 s15, s17
	s_cbranch_execnz .LBB1670_159
.LBB1670_123:                           ;   in Loop: Header=BB1670_72 Depth=2
	s_wait_alu 0xfffe
	s_or_b32 exec_lo, exec_lo, s15
	v_cmp_lt_u32_e64 s16, v35, v2
	s_and_saveexec_b32 s15, s16
	s_cbranch_execnz .LBB1670_160
.LBB1670_124:                           ;   in Loop: Header=BB1670_72 Depth=2
	s_wait_alu 0xfffe
	s_or_b32 exec_lo, exec_lo, s15
	v_cmp_lt_u32_e64 s15, v36, v2
	s_and_saveexec_b32 s44, s15
	s_cbranch_execnz .LBB1670_161
.LBB1670_125:                           ;   in Loop: Header=BB1670_72 Depth=2
	s_wait_alu 0xfffe
	s_or_b32 exec_lo, exec_lo, s44
	v_cmp_lt_u32_e32 vcc_lo, v37, v2
	s_and_saveexec_b32 s44, vcc_lo
	s_cbranch_execz .LBB1670_127
.LBB1670_126:                           ;   in Loop: Header=BB1670_72 Depth=2
	ds_load_u8 v20, v1 offset:2816
	s_wait_dscnt 0x0
	v_and_b32_e32 v21, 1, v20
	s_delay_alu instid0(VALU_DEP_1) | instskip(NEXT) | instid1(VALU_DEP_1)
	v_lshrrev_b32_e32 v21, s30, v21
	v_and_b32_e32 v21, s31, v21
	s_delay_alu instid0(VALU_DEP_1)
	v_lshlrev_b32_e32 v21, 2, v21
	ds_load_b32 v21, v21
	s_wait_dscnt 0x0
	v_add_nc_u32_e32 v21, v21, v37
	global_store_b8 v21, v20, s[38:39]
.LBB1670_127:                           ;   in Loop: Header=BB1670_72 Depth=2
	s_wait_alu 0xfffe
	s_or_b32 exec_lo, exec_lo, s44
	s_lshl_b64 s[48:49], s[22:23], 3
	s_wait_alu 0xfffe
	v_add_co_u32 v20, s22, v69, s48
	s_wait_alu 0xf1ff
	v_add_co_ci_u32_e64 v21, null, s49, v70, s22
	v_cmp_lt_u32_e64 s22, v68, v2
	s_and_saveexec_b32 s44, s22
	s_wait_alu 0xfffe
	s_xor_b32 s22, exec_lo, s44
	s_cbranch_execnz .LBB1670_162
; %bb.128:                              ;   in Loop: Header=BB1670_72 Depth=2
	s_wait_alu 0xfffe
	s_or_b32 exec_lo, exec_lo, s22
	s_delay_alu instid0(SALU_CYCLE_1)
	s_mov_b32 s44, exec_lo
	v_cmpx_lt_u32_e64 v71, v2
	s_cbranch_execnz .LBB1670_163
.LBB1670_129:                           ;   in Loop: Header=BB1670_72 Depth=2
	s_wait_alu 0xfffe
	s_or_b32 exec_lo, exec_lo, s44
	s_delay_alu instid0(SALU_CYCLE_1)
	s_mov_b32 s44, exec_lo
	v_cmpx_lt_u32_e64 v72, v2
	s_cbranch_execnz .LBB1670_164
.LBB1670_130:                           ;   in Loop: Header=BB1670_72 Depth=2
	s_wait_alu 0xfffe
	s_or_b32 exec_lo, exec_lo, s44
	s_delay_alu instid0(SALU_CYCLE_1)
	s_mov_b32 s44, exec_lo
	v_cmpx_lt_u32_e64 v73, v2
	s_cbranch_execnz .LBB1670_165
.LBB1670_131:                           ;   in Loop: Header=BB1670_72 Depth=2
	s_wait_alu 0xfffe
	s_or_b32 exec_lo, exec_lo, s44
	s_delay_alu instid0(SALU_CYCLE_1)
	s_mov_b32 s44, exec_lo
	v_cmpx_lt_u32_e64 v74, v2
	s_cbranch_execnz .LBB1670_166
.LBB1670_132:                           ;   in Loop: Header=BB1670_72 Depth=2
	s_wait_alu 0xfffe
	s_or_b32 exec_lo, exec_lo, s44
	s_delay_alu instid0(SALU_CYCLE_1)
	s_mov_b32 s44, exec_lo
	v_cmpx_lt_u32_e64 v75, v2
	s_cbranch_execnz .LBB1670_167
.LBB1670_133:                           ;   in Loop: Header=BB1670_72 Depth=2
	s_wait_alu 0xfffe
	s_or_b32 exec_lo, exec_lo, s44
	s_delay_alu instid0(SALU_CYCLE_1)
	s_mov_b32 s44, exec_lo
	v_cmpx_lt_u32_e64 v76, v2
	s_cbranch_execnz .LBB1670_168
.LBB1670_134:                           ;   in Loop: Header=BB1670_72 Depth=2
	s_wait_alu 0xfffe
	s_or_b32 exec_lo, exec_lo, s44
	s_delay_alu instid0(SALU_CYCLE_1)
	s_mov_b32 s44, exec_lo
	v_cmpx_lt_u32_e64 v77, v2
	s_cbranch_execnz .LBB1670_169
.LBB1670_135:                           ;   in Loop: Header=BB1670_72 Depth=2
	s_wait_alu 0xfffe
	s_or_b32 exec_lo, exec_lo, s44
	s_and_saveexec_b32 s22, s21
	s_cbranch_execnz .LBB1670_170
.LBB1670_136:                           ;   in Loop: Header=BB1670_72 Depth=2
	s_wait_alu 0xfffe
	s_or_b32 exec_lo, exec_lo, s22
	s_and_saveexec_b32 s22, s20
	s_cbranch_execnz .LBB1670_171
.LBB1670_137:                           ;   in Loop: Header=BB1670_72 Depth=2
	s_wait_alu 0xfffe
	s_or_b32 exec_lo, exec_lo, s22
	s_and_saveexec_b32 s22, s19
	s_cbranch_execnz .LBB1670_172
.LBB1670_138:                           ;   in Loop: Header=BB1670_72 Depth=2
	s_wait_alu 0xfffe
	s_or_b32 exec_lo, exec_lo, s22
	s_and_saveexec_b32 s22, s18
	s_cbranch_execnz .LBB1670_173
.LBB1670_139:                           ;   in Loop: Header=BB1670_72 Depth=2
	s_wait_alu 0xfffe
	s_or_b32 exec_lo, exec_lo, s22
	s_and_saveexec_b32 s22, s17
	s_cbranch_execnz .LBB1670_174
.LBB1670_140:                           ;   in Loop: Header=BB1670_72 Depth=2
	s_wait_alu 0xfffe
	s_or_b32 exec_lo, exec_lo, s22
	s_and_saveexec_b32 s22, s16
	s_cbranch_execnz .LBB1670_175
.LBB1670_141:                           ;   in Loop: Header=BB1670_72 Depth=2
	s_wait_alu 0xfffe
	s_or_b32 exec_lo, exec_lo, s22
	s_and_saveexec_b32 s22, s15
	s_cbranch_execnz .LBB1670_176
.LBB1670_142:                           ;   in Loop: Header=BB1670_72 Depth=2
	s_wait_alu 0xfffe
	s_or_b32 exec_lo, exec_lo, s22
	s_and_saveexec_b32 s22, vcc_lo
	s_cbranch_execz .LBB1670_144
.LBB1670_143:                           ;   in Loop: Header=BB1670_72 Depth=2
	ds_load_u8 v2, v1 offset:2816
	s_wait_dscnt 0x0
	v_lshrrev_b32_e32 v2, s30, v2
	s_delay_alu instid0(VALU_DEP_1)
	v_and_b32_e32 v82, s31, v2
.LBB1670_144:                           ;   in Loop: Header=BB1670_72 Depth=2
	s_wait_alu 0xfffe
	s_or_b32 exec_lo, exec_lo, s22
	v_lshlrev_b32_e32 v2, 3, v100
	v_lshlrev_b32_e32 v20, 3, v99
	;; [unrolled: 1-line block ×3, first 2 shown]
	s_wait_loadcnt 0x0
	s_wait_storecnt 0x0
	s_barrier_signal -1
	s_barrier_wait -1
	global_inv scope:SCOPE_SE
	ds_store_b64 v2, v[18:19] offset:1024
	ds_store_b64 v20, v[16:17] offset:1024
	;; [unrolled: 1-line block ×3, first 2 shown]
	v_lshlrev_b32_e32 v2, 3, v27
	v_lshlrev_b32_e32 v20, 3, v26
	;; [unrolled: 1-line block ×5, first 2 shown]
	ds_store_b64 v2, v[12:13] offset:1024
	ds_store_b64 v20, v[10:11] offset:1024
	;; [unrolled: 1-line block ×5, first 2 shown]
	s_wait_loadcnt_dscnt 0x0
	s_barrier_signal -1
	s_barrier_wait -1
	global_inv scope:SCOPE_SE
	s_and_saveexec_b32 s22, s21
	s_cbranch_execnz .LBB1670_177
; %bb.145:                              ;   in Loop: Header=BB1670_72 Depth=2
	s_wait_alu 0xfffe
	s_or_b32 exec_lo, exec_lo, s22
	s_and_saveexec_b32 s21, s20
	s_cbranch_execnz .LBB1670_178
.LBB1670_146:                           ;   in Loop: Header=BB1670_72 Depth=2
	s_wait_alu 0xfffe
	s_or_b32 exec_lo, exec_lo, s21
	s_and_saveexec_b32 s20, s19
	s_cbranch_execnz .LBB1670_179
.LBB1670_147:                           ;   in Loop: Header=BB1670_72 Depth=2
	s_wait_alu 0xfffe
	s_or_b32 exec_lo, exec_lo, s20
	s_and_saveexec_b32 s19, s18
	s_cbranch_execnz .LBB1670_180
.LBB1670_148:                           ;   in Loop: Header=BB1670_72 Depth=2
	s_wait_alu 0xfffe
	s_or_b32 exec_lo, exec_lo, s19
	s_and_saveexec_b32 s18, s17
	s_cbranch_execnz .LBB1670_181
.LBB1670_149:                           ;   in Loop: Header=BB1670_72 Depth=2
	s_wait_alu 0xfffe
	s_or_b32 exec_lo, exec_lo, s18
	s_and_saveexec_b32 s17, s16
	s_cbranch_execnz .LBB1670_182
.LBB1670_150:                           ;   in Loop: Header=BB1670_72 Depth=2
	s_wait_alu 0xfffe
	s_or_b32 exec_lo, exec_lo, s17
	s_and_saveexec_b32 s16, s15
	s_cbranch_execnz .LBB1670_183
.LBB1670_151:                           ;   in Loop: Header=BB1670_72 Depth=2
	s_wait_alu 0xfffe
	s_or_b32 exec_lo, exec_lo, s16
	s_and_saveexec_b32 s15, vcc_lo
	s_cbranch_execz .LBB1670_153
.LBB1670_152:                           ;   in Loop: Header=BB1670_72 Depth=2
	v_lshlrev_b32_e32 v2, 2, v82
	v_add_nc_u32_e32 v20, v1, v47
	ds_load_b32 v2, v2
	ds_load_b64 v[20:21], v20 offset:15360
	s_wait_dscnt 0x1
	v_add_nc_u32_e32 v2, v2, v37
	s_delay_alu instid0(VALU_DEP_1) | instskip(NEXT) | instid1(VALU_DEP_1)
	v_lshlrev_b64_e32 v[23:24], 3, v[2:3]
	v_add_co_u32 v23, vcc_lo, s24, v23
	s_wait_alu 0xfffd
	s_delay_alu instid0(VALU_DEP_2)
	v_add_co_ci_u32_e64 v24, null, s25, v24, vcc_lo
	s_wait_dscnt 0x0
	global_store_b64 v[23:24], v[20:21], off
.LBB1670_153:                           ;   in Loop: Header=BB1670_72 Depth=2
	s_wait_alu 0xfffe
	s_or_b32 exec_lo, exec_lo, s15
	s_wait_loadcnt 0x0
	s_wait_storecnt 0x0
	s_barrier_signal -1
	s_barrier_wait -1
	global_inv scope:SCOPE_SE
	s_and_saveexec_b32 s15, s2
	s_cbranch_execz .LBB1670_71
; %bb.154:                              ;   in Loop: Header=BB1670_72 Depth=2
	ds_load_b32 v2, v28
	s_wait_dscnt 0x0
	v_add_nc_u32_e32 v2, v2, v22
	ds_store_b32 v28, v2
	s_branch .LBB1670_71
.LBB1670_155:                           ;   in Loop: Header=BB1670_72 Depth=2
	ds_load_u8 v20, v1 offset:1024
	s_wait_dscnt 0x0
	v_and_b32_e32 v21, 1, v20
	s_delay_alu instid0(VALU_DEP_1) | instskip(NEXT) | instid1(VALU_DEP_1)
	v_lshrrev_b32_e32 v21, s30, v21
	v_and_b32_e32 v21, s31, v21
	s_delay_alu instid0(VALU_DEP_1)
	v_lshlrev_b32_e32 v21, 2, v21
	ds_load_b32 v21, v21
	s_wait_dscnt 0x0
	v_add_nc_u32_e32 v21, v21, v1
	global_store_b8 v21, v20, s[38:39]
	s_wait_alu 0xfffe
	s_or_b32 exec_lo, exec_lo, s15
	v_cmp_lt_u32_e64 s20, v29, v2
	s_and_saveexec_b32 s15, s20
	s_cbranch_execz .LBB1670_120
.LBB1670_156:                           ;   in Loop: Header=BB1670_72 Depth=2
	ds_load_u8 v20, v1 offset:1280
	s_wait_dscnt 0x0
	v_and_b32_e32 v21, 1, v20
	s_delay_alu instid0(VALU_DEP_1) | instskip(NEXT) | instid1(VALU_DEP_1)
	v_lshrrev_b32_e32 v21, s30, v21
	v_and_b32_e32 v21, s31, v21
	s_delay_alu instid0(VALU_DEP_1)
	v_lshlrev_b32_e32 v21, 2, v21
	ds_load_b32 v21, v21
	s_wait_dscnt 0x0
	v_add_nc_u32_e32 v21, v21, v29
	global_store_b8 v21, v20, s[38:39]
	s_wait_alu 0xfffe
	s_or_b32 exec_lo, exec_lo, s15
	v_cmp_lt_u32_e64 s19, v30, v2
	s_and_saveexec_b32 s15, s19
	s_cbranch_execz .LBB1670_121
.LBB1670_157:                           ;   in Loop: Header=BB1670_72 Depth=2
	ds_load_u8 v20, v1 offset:1536
	s_wait_dscnt 0x0
	v_and_b32_e32 v21, 1, v20
	s_delay_alu instid0(VALU_DEP_1) | instskip(NEXT) | instid1(VALU_DEP_1)
	v_lshrrev_b32_e32 v21, s30, v21
	v_and_b32_e32 v21, s31, v21
	s_delay_alu instid0(VALU_DEP_1)
	v_lshlrev_b32_e32 v21, 2, v21
	ds_load_b32 v21, v21
	s_wait_dscnt 0x0
	v_add_nc_u32_e32 v21, v21, v30
	global_store_b8 v21, v20, s[38:39]
	s_wait_alu 0xfffe
	s_or_b32 exec_lo, exec_lo, s15
	v_cmp_lt_u32_e64 s18, v31, v2
	s_and_saveexec_b32 s15, s18
	s_cbranch_execz .LBB1670_122
.LBB1670_158:                           ;   in Loop: Header=BB1670_72 Depth=2
	ds_load_u8 v20, v1 offset:1792
	s_wait_dscnt 0x0
	v_and_b32_e32 v21, 1, v20
	s_delay_alu instid0(VALU_DEP_1) | instskip(NEXT) | instid1(VALU_DEP_1)
	v_lshrrev_b32_e32 v21, s30, v21
	v_and_b32_e32 v21, s31, v21
	s_delay_alu instid0(VALU_DEP_1)
	v_lshlrev_b32_e32 v21, 2, v21
	ds_load_b32 v21, v21
	s_wait_dscnt 0x0
	v_add_nc_u32_e32 v21, v21, v31
	global_store_b8 v21, v20, s[38:39]
	s_wait_alu 0xfffe
	s_or_b32 exec_lo, exec_lo, s15
	v_cmp_lt_u32_e64 s17, v34, v2
	s_and_saveexec_b32 s15, s17
	s_cbranch_execz .LBB1670_123
.LBB1670_159:                           ;   in Loop: Header=BB1670_72 Depth=2
	ds_load_u8 v20, v1 offset:2048
	s_wait_dscnt 0x0
	v_and_b32_e32 v21, 1, v20
	s_delay_alu instid0(VALU_DEP_1) | instskip(NEXT) | instid1(VALU_DEP_1)
	v_lshrrev_b32_e32 v21, s30, v21
	v_and_b32_e32 v21, s31, v21
	s_delay_alu instid0(VALU_DEP_1)
	v_lshlrev_b32_e32 v21, 2, v21
	ds_load_b32 v21, v21
	s_wait_dscnt 0x0
	v_add_nc_u32_e32 v21, v21, v34
	global_store_b8 v21, v20, s[38:39]
	s_wait_alu 0xfffe
	s_or_b32 exec_lo, exec_lo, s15
	v_cmp_lt_u32_e64 s16, v35, v2
	s_and_saveexec_b32 s15, s16
	s_cbranch_execz .LBB1670_124
.LBB1670_160:                           ;   in Loop: Header=BB1670_72 Depth=2
	ds_load_u8 v20, v1 offset:2304
	s_wait_dscnt 0x0
	v_and_b32_e32 v21, 1, v20
	s_delay_alu instid0(VALU_DEP_1) | instskip(NEXT) | instid1(VALU_DEP_1)
	v_lshrrev_b32_e32 v21, s30, v21
	v_and_b32_e32 v21, s31, v21
	s_delay_alu instid0(VALU_DEP_1)
	v_lshlrev_b32_e32 v21, 2, v21
	ds_load_b32 v21, v21
	s_wait_dscnt 0x0
	v_add_nc_u32_e32 v21, v21, v35
	global_store_b8 v21, v20, s[38:39]
	s_wait_alu 0xfffe
	s_or_b32 exec_lo, exec_lo, s15
	v_cmp_lt_u32_e64 s15, v36, v2
	s_and_saveexec_b32 s44, s15
	s_cbranch_execz .LBB1670_125
.LBB1670_161:                           ;   in Loop: Header=BB1670_72 Depth=2
	ds_load_u8 v20, v1 offset:2560
	s_wait_dscnt 0x0
	v_and_b32_e32 v21, 1, v20
	s_delay_alu instid0(VALU_DEP_1) | instskip(NEXT) | instid1(VALU_DEP_1)
	v_lshrrev_b32_e32 v21, s30, v21
	v_and_b32_e32 v21, s31, v21
	s_delay_alu instid0(VALU_DEP_1)
	v_lshlrev_b32_e32 v21, 2, v21
	ds_load_b32 v21, v21
	s_wait_dscnt 0x0
	v_add_nc_u32_e32 v21, v21, v36
	global_store_b8 v21, v20, s[38:39]
	s_wait_alu 0xfffe
	s_or_b32 exec_lo, exec_lo, s44
	v_cmp_lt_u32_e32 vcc_lo, v37, v2
	s_and_saveexec_b32 s44, vcc_lo
	s_cbranch_execnz .LBB1670_126
	s_branch .LBB1670_127
.LBB1670_162:                           ;   in Loop: Header=BB1670_72 Depth=2
	global_load_b64 v[18:19], v[20:21], off
	s_wait_alu 0xfffe
	s_or_b32 exec_lo, exec_lo, s22
	s_delay_alu instid0(SALU_CYCLE_1)
	s_mov_b32 s44, exec_lo
	v_cmpx_lt_u32_e64 v71, v2
	s_cbranch_execz .LBB1670_129
.LBB1670_163:                           ;   in Loop: Header=BB1670_72 Depth=2
	global_load_b64 v[16:17], v[20:21], off offset:256
	s_wait_alu 0xfffe
	s_or_b32 exec_lo, exec_lo, s44
	s_delay_alu instid0(SALU_CYCLE_1)
	s_mov_b32 s44, exec_lo
	v_cmpx_lt_u32_e64 v72, v2
	s_cbranch_execz .LBB1670_130
.LBB1670_164:                           ;   in Loop: Header=BB1670_72 Depth=2
	global_load_b64 v[14:15], v[20:21], off offset:512
	s_wait_alu 0xfffe
	s_or_b32 exec_lo, exec_lo, s44
	s_delay_alu instid0(SALU_CYCLE_1)
	s_mov_b32 s44, exec_lo
	v_cmpx_lt_u32_e64 v73, v2
	s_cbranch_execz .LBB1670_131
.LBB1670_165:                           ;   in Loop: Header=BB1670_72 Depth=2
	global_load_b64 v[12:13], v[20:21], off offset:768
	s_wait_alu 0xfffe
	s_or_b32 exec_lo, exec_lo, s44
	s_delay_alu instid0(SALU_CYCLE_1)
	s_mov_b32 s44, exec_lo
	v_cmpx_lt_u32_e64 v74, v2
	s_cbranch_execz .LBB1670_132
.LBB1670_166:                           ;   in Loop: Header=BB1670_72 Depth=2
	global_load_b64 v[10:11], v[20:21], off offset:1024
	s_wait_alu 0xfffe
	s_or_b32 exec_lo, exec_lo, s44
	s_delay_alu instid0(SALU_CYCLE_1)
	s_mov_b32 s44, exec_lo
	v_cmpx_lt_u32_e64 v75, v2
	s_cbranch_execz .LBB1670_133
.LBB1670_167:                           ;   in Loop: Header=BB1670_72 Depth=2
	global_load_b64 v[8:9], v[20:21], off offset:1280
	s_wait_alu 0xfffe
	s_or_b32 exec_lo, exec_lo, s44
	s_delay_alu instid0(SALU_CYCLE_1)
	s_mov_b32 s44, exec_lo
	v_cmpx_lt_u32_e64 v76, v2
	s_cbranch_execz .LBB1670_134
.LBB1670_168:                           ;   in Loop: Header=BB1670_72 Depth=2
	global_load_b64 v[6:7], v[20:21], off offset:1536
	s_wait_alu 0xfffe
	s_or_b32 exec_lo, exec_lo, s44
	s_delay_alu instid0(SALU_CYCLE_1)
	s_mov_b32 s44, exec_lo
	v_cmpx_lt_u32_e64 v77, v2
	s_cbranch_execz .LBB1670_135
.LBB1670_169:                           ;   in Loop: Header=BB1670_72 Depth=2
	global_load_b64 v[4:5], v[20:21], off offset:1792
	s_wait_alu 0xfffe
	s_or_b32 exec_lo, exec_lo, s44
	s_and_saveexec_b32 s22, s21
	s_cbranch_execz .LBB1670_136
.LBB1670_170:                           ;   in Loop: Header=BB1670_72 Depth=2
	ds_load_u8 v2, v1 offset:1024
	s_wait_dscnt 0x0
	v_lshrrev_b32_e32 v2, s30, v2
	s_delay_alu instid0(VALU_DEP_1)
	v_and_b32_e32 v89, s31, v2
	s_wait_alu 0xfffe
	s_or_b32 exec_lo, exec_lo, s22
	s_and_saveexec_b32 s22, s20
	s_cbranch_execz .LBB1670_137
.LBB1670_171:                           ;   in Loop: Header=BB1670_72 Depth=2
	ds_load_u8 v2, v1 offset:1280
	s_wait_dscnt 0x0
	v_lshrrev_b32_e32 v2, s30, v2
	s_delay_alu instid0(VALU_DEP_1)
	v_and_b32_e32 v88, s31, v2
	s_wait_alu 0xfffe
	s_or_b32 exec_lo, exec_lo, s22
	s_and_saveexec_b32 s22, s19
	s_cbranch_execz .LBB1670_138
.LBB1670_172:                           ;   in Loop: Header=BB1670_72 Depth=2
	ds_load_u8 v2, v1 offset:1536
	s_wait_dscnt 0x0
	v_lshrrev_b32_e32 v2, s30, v2
	s_delay_alu instid0(VALU_DEP_1)
	v_and_b32_e32 v87, s31, v2
	s_wait_alu 0xfffe
	s_or_b32 exec_lo, exec_lo, s22
	s_and_saveexec_b32 s22, s18
	s_cbranch_execz .LBB1670_139
.LBB1670_173:                           ;   in Loop: Header=BB1670_72 Depth=2
	ds_load_u8 v2, v1 offset:1792
	s_wait_dscnt 0x0
	v_lshrrev_b32_e32 v2, s30, v2
	s_delay_alu instid0(VALU_DEP_1)
	v_and_b32_e32 v86, s31, v2
	s_wait_alu 0xfffe
	s_or_b32 exec_lo, exec_lo, s22
	s_and_saveexec_b32 s22, s17
	s_cbranch_execz .LBB1670_140
.LBB1670_174:                           ;   in Loop: Header=BB1670_72 Depth=2
	ds_load_u8 v2, v1 offset:2048
	s_wait_dscnt 0x0
	v_lshrrev_b32_e32 v2, s30, v2
	s_delay_alu instid0(VALU_DEP_1)
	v_and_b32_e32 v85, s31, v2
	s_wait_alu 0xfffe
	s_or_b32 exec_lo, exec_lo, s22
	s_and_saveexec_b32 s22, s16
	s_cbranch_execz .LBB1670_141
.LBB1670_175:                           ;   in Loop: Header=BB1670_72 Depth=2
	ds_load_u8 v2, v1 offset:2304
	s_wait_dscnt 0x0
	v_lshrrev_b32_e32 v2, s30, v2
	s_delay_alu instid0(VALU_DEP_1)
	v_and_b32_e32 v84, s31, v2
	s_wait_alu 0xfffe
	s_or_b32 exec_lo, exec_lo, s22
	s_and_saveexec_b32 s22, s15
	s_cbranch_execz .LBB1670_142
.LBB1670_176:                           ;   in Loop: Header=BB1670_72 Depth=2
	ds_load_u8 v2, v1 offset:2560
	s_wait_dscnt 0x0
	v_lshrrev_b32_e32 v2, s30, v2
	s_delay_alu instid0(VALU_DEP_1)
	v_and_b32_e32 v83, s31, v2
	s_wait_alu 0xfffe
	s_or_b32 exec_lo, exec_lo, s22
	s_and_saveexec_b32 s22, vcc_lo
	s_cbranch_execnz .LBB1670_143
	s_branch .LBB1670_144
.LBB1670_177:                           ;   in Loop: Header=BB1670_72 Depth=2
	v_lshlrev_b32_e32 v2, 2, v89
	v_add_nc_u32_e32 v20, v1, v47
	ds_load_b32 v2, v2
	ds_load_b64 v[20:21], v20 offset:1024
	s_wait_dscnt 0x1
	v_add_nc_u32_e32 v2, v2, v1
	s_delay_alu instid0(VALU_DEP_1) | instskip(NEXT) | instid1(VALU_DEP_1)
	v_lshlrev_b64_e32 v[23:24], 3, v[2:3]
	v_add_co_u32 v23, s21, s24, v23
	s_wait_alu 0xf1ff
	s_delay_alu instid0(VALU_DEP_2)
	v_add_co_ci_u32_e64 v24, null, s25, v24, s21
	s_wait_dscnt 0x0
	global_store_b64 v[23:24], v[20:21], off
	s_wait_alu 0xfffe
	s_or_b32 exec_lo, exec_lo, s22
	s_and_saveexec_b32 s21, s20
	s_cbranch_execz .LBB1670_146
.LBB1670_178:                           ;   in Loop: Header=BB1670_72 Depth=2
	v_lshlrev_b32_e32 v2, 2, v88
	v_add_nc_u32_e32 v20, v1, v47
	ds_load_b32 v2, v2
	ds_load_b64 v[20:21], v20 offset:3072
	s_wait_dscnt 0x1
	v_add_nc_u32_e32 v2, v2, v29
	s_delay_alu instid0(VALU_DEP_1) | instskip(NEXT) | instid1(VALU_DEP_1)
	v_lshlrev_b64_e32 v[23:24], 3, v[2:3]
	v_add_co_u32 v23, s20, s24, v23
	s_wait_alu 0xf1ff
	s_delay_alu instid0(VALU_DEP_2)
	v_add_co_ci_u32_e64 v24, null, s25, v24, s20
	s_wait_dscnt 0x0
	global_store_b64 v[23:24], v[20:21], off
	s_wait_alu 0xfffe
	s_or_b32 exec_lo, exec_lo, s21
	s_and_saveexec_b32 s20, s19
	s_cbranch_execz .LBB1670_147
.LBB1670_179:                           ;   in Loop: Header=BB1670_72 Depth=2
	v_lshlrev_b32_e32 v2, 2, v87
	v_add_nc_u32_e32 v20, v1, v47
	ds_load_b32 v2, v2
	ds_load_b64 v[20:21], v20 offset:5120
	s_wait_dscnt 0x1
	v_add_nc_u32_e32 v2, v2, v30
	s_delay_alu instid0(VALU_DEP_1) | instskip(NEXT) | instid1(VALU_DEP_1)
	v_lshlrev_b64_e32 v[23:24], 3, v[2:3]
	v_add_co_u32 v23, s19, s24, v23
	s_wait_alu 0xf1ff
	s_delay_alu instid0(VALU_DEP_2)
	v_add_co_ci_u32_e64 v24, null, s25, v24, s19
	s_wait_dscnt 0x0
	global_store_b64 v[23:24], v[20:21], off
	s_wait_alu 0xfffe
	s_or_b32 exec_lo, exec_lo, s20
	s_and_saveexec_b32 s19, s18
	s_cbranch_execz .LBB1670_148
.LBB1670_180:                           ;   in Loop: Header=BB1670_72 Depth=2
	v_lshlrev_b32_e32 v2, 2, v86
	v_add_nc_u32_e32 v20, v1, v47
	ds_load_b32 v2, v2
	ds_load_b64 v[20:21], v20 offset:7168
	s_wait_dscnt 0x1
	v_add_nc_u32_e32 v2, v2, v31
	s_delay_alu instid0(VALU_DEP_1) | instskip(NEXT) | instid1(VALU_DEP_1)
	v_lshlrev_b64_e32 v[23:24], 3, v[2:3]
	v_add_co_u32 v23, s18, s24, v23
	s_wait_alu 0xf1ff
	s_delay_alu instid0(VALU_DEP_2)
	v_add_co_ci_u32_e64 v24, null, s25, v24, s18
	s_wait_dscnt 0x0
	global_store_b64 v[23:24], v[20:21], off
	s_wait_alu 0xfffe
	s_or_b32 exec_lo, exec_lo, s19
	s_and_saveexec_b32 s18, s17
	s_cbranch_execz .LBB1670_149
.LBB1670_181:                           ;   in Loop: Header=BB1670_72 Depth=2
	v_lshlrev_b32_e32 v2, 2, v85
	v_add_nc_u32_e32 v20, v1, v47
	ds_load_b32 v2, v2
	ds_load_b64 v[20:21], v20 offset:9216
	s_wait_dscnt 0x1
	v_add_nc_u32_e32 v2, v2, v34
	s_delay_alu instid0(VALU_DEP_1) | instskip(NEXT) | instid1(VALU_DEP_1)
	v_lshlrev_b64_e32 v[23:24], 3, v[2:3]
	v_add_co_u32 v23, s17, s24, v23
	s_wait_alu 0xf1ff
	s_delay_alu instid0(VALU_DEP_2)
	v_add_co_ci_u32_e64 v24, null, s25, v24, s17
	s_wait_dscnt 0x0
	global_store_b64 v[23:24], v[20:21], off
	s_wait_alu 0xfffe
	s_or_b32 exec_lo, exec_lo, s18
	s_and_saveexec_b32 s17, s16
	s_cbranch_execz .LBB1670_150
.LBB1670_182:                           ;   in Loop: Header=BB1670_72 Depth=2
	v_lshlrev_b32_e32 v2, 2, v84
	v_add_nc_u32_e32 v20, v1, v47
	ds_load_b32 v2, v2
	ds_load_b64 v[20:21], v20 offset:11264
	s_wait_dscnt 0x1
	v_add_nc_u32_e32 v2, v2, v35
	s_delay_alu instid0(VALU_DEP_1) | instskip(NEXT) | instid1(VALU_DEP_1)
	v_lshlrev_b64_e32 v[23:24], 3, v[2:3]
	v_add_co_u32 v23, s16, s24, v23
	s_wait_alu 0xf1ff
	s_delay_alu instid0(VALU_DEP_2)
	v_add_co_ci_u32_e64 v24, null, s25, v24, s16
	s_wait_dscnt 0x0
	global_store_b64 v[23:24], v[20:21], off
	s_wait_alu 0xfffe
	s_or_b32 exec_lo, exec_lo, s17
	s_and_saveexec_b32 s16, s15
	s_cbranch_execz .LBB1670_151
.LBB1670_183:                           ;   in Loop: Header=BB1670_72 Depth=2
	v_lshlrev_b32_e32 v2, 2, v83
	v_add_nc_u32_e32 v20, v1, v47
	ds_load_b32 v2, v2
	ds_load_b64 v[20:21], v20 offset:13312
	s_wait_dscnt 0x1
	v_add_nc_u32_e32 v2, v2, v36
	s_delay_alu instid0(VALU_DEP_1) | instskip(NEXT) | instid1(VALU_DEP_1)
	v_lshlrev_b64_e32 v[23:24], 3, v[2:3]
	v_add_co_u32 v23, s15, s24, v23
	s_wait_alu 0xf1ff
	s_delay_alu instid0(VALU_DEP_2)
	v_add_co_ci_u32_e64 v24, null, s25, v24, s15
	s_wait_dscnt 0x0
	global_store_b64 v[23:24], v[20:21], off
	s_wait_alu 0xfffe
	s_or_b32 exec_lo, exec_lo, s16
	s_and_saveexec_b32 s15, vcc_lo
	s_cbranch_execnz .LBB1670_152
	s_branch .LBB1670_153
.LBB1670_184:                           ;   in Loop: Header=BB1670_20 Depth=1
	s_wait_loadcnt_dscnt 0x0
	s_barrier_signal -1
	s_mov_b32 s0, 0
	s_barrier_wait -1
.LBB1670_185:                           ;   in Loop: Header=BB1670_20 Depth=1
	s_wait_alu 0xfffe
	s_and_b32 vcc_lo, exec_lo, s0
	s_wait_alu 0xfffe
	s_cbranch_vccz .LBB1670_349
; %bb.186:                              ;   in Loop: Header=BB1670_20 Depth=1
	v_dual_mov_b32 v7, 0 :: v_dual_mov_b32 v10, 0
	v_dual_mov_b32 v9, 0 :: v_dual_mov_b32 v8, 0
	;; [unrolled: 1-line block ×3, first 2 shown]
	v_mov_b32_e32 v4, 0
	v_mov_b32_e32 v2, 0
	s_mov_b32 s9, s47
	s_mov_b32 s22, s33
	s_barrier_signal -1
	s_barrier_wait -1
	global_inv scope:SCOPE_SE
	s_branch .LBB1670_188
.LBB1670_187:                           ;   in Loop: Header=BB1670_188 Depth=2
	s_wait_alu 0xfffe
	s_or_b32 exec_lo, exec_lo, s0
	s_addk_co_i32 s9, 0xf800
	s_cmp_ge_u32 s10, s34
	s_mov_b32 s22, s10
	s_cbranch_scc1 .LBB1670_224
.LBB1670_188:                           ;   Parent Loop BB1670_20 Depth=1
                                        ; =>  This Inner Loop Header: Depth=2
	s_wait_alu 0xfffe
	s_add_co_i32 s10, s22, 0x800
	s_mov_b32 s0, -1
	s_wait_alu 0xfffe
	s_cmp_gt_u32 s10, s34
                                        ; implicit-def: $vgpr11
                                        ; implicit-def: $vgpr12
                                        ; implicit-def: $vgpr13
                                        ; implicit-def: $vgpr14
                                        ; implicit-def: $vgpr15
                                        ; implicit-def: $vgpr16
                                        ; implicit-def: $vgpr17
                                        ; implicit-def: $vgpr18
	s_cbranch_scc1 .LBB1670_190
; %bb.189:                              ;   in Loop: Header=BB1670_188 Depth=2
	v_add_co_u32 v19, vcc_lo, v48, s22
	s_wait_alu 0xfffd
	v_add_co_ci_u32_e64 v20, null, 0, v49, vcc_lo
	s_mov_b32 s0, 0
	s_clause 0x7
	global_load_u8 v18, v[19:20], off offset:1792
	global_load_u8 v17, v[19:20], off offset:1536
	;; [unrolled: 1-line block ×7, first 2 shown]
	global_load_u8 v11, v[19:20], off
.LBB1670_190:                           ;   in Loop: Header=BB1670_188 Depth=2
	s_wait_alu 0xfffe
	s_and_not1_b32 vcc_lo, exec_lo, s0
	s_movk_i32 s0, 0x800
	s_wait_alu 0xfffe
	s_cbranch_vccnz .LBB1670_201
; %bb.191:                              ;   in Loop: Header=BB1670_188 Depth=2
	s_add_nc_u64 s[0:1], s[38:39], s[22:23]
	s_mov_b32 s11, exec_lo
	v_cmpx_gt_u32_e64 s9, v1
	s_cbranch_execnz .LBB1670_217
; %bb.192:                              ;   in Loop: Header=BB1670_188 Depth=2
	s_wait_alu 0xfffe
	s_or_b32 exec_lo, exec_lo, s11
	s_delay_alu instid0(SALU_CYCLE_1)
	s_mov_b32 s11, exec_lo
	v_cmpx_gt_u32_e64 s9, v29
	s_cbranch_execnz .LBB1670_218
.LBB1670_193:                           ;   in Loop: Header=BB1670_188 Depth=2
	s_wait_alu 0xfffe
	s_or_b32 exec_lo, exec_lo, s11
	s_delay_alu instid0(SALU_CYCLE_1)
	s_mov_b32 s11, exec_lo
	v_cmpx_gt_u32_e64 s9, v30
	s_cbranch_execnz .LBB1670_219
.LBB1670_194:                           ;   in Loop: Header=BB1670_188 Depth=2
	s_wait_alu 0xfffe
	s_or_b32 exec_lo, exec_lo, s11
	s_delay_alu instid0(SALU_CYCLE_1)
	s_mov_b32 s11, exec_lo
	v_cmpx_gt_u32_e64 s9, v31
	s_cbranch_execnz .LBB1670_220
.LBB1670_195:                           ;   in Loop: Header=BB1670_188 Depth=2
	s_wait_alu 0xfffe
	s_or_b32 exec_lo, exec_lo, s11
	s_delay_alu instid0(SALU_CYCLE_1)
	s_mov_b32 s11, exec_lo
	v_cmpx_gt_u32_e64 s9, v34
	s_cbranch_execnz .LBB1670_221
.LBB1670_196:                           ;   in Loop: Header=BB1670_188 Depth=2
	s_wait_alu 0xfffe
	s_or_b32 exec_lo, exec_lo, s11
	s_delay_alu instid0(SALU_CYCLE_1)
	s_mov_b32 s11, exec_lo
	v_cmpx_gt_u32_e64 s9, v35
	s_cbranch_execnz .LBB1670_222
.LBB1670_197:                           ;   in Loop: Header=BB1670_188 Depth=2
	s_wait_alu 0xfffe
	s_or_b32 exec_lo, exec_lo, s11
	s_delay_alu instid0(SALU_CYCLE_1)
	s_mov_b32 s11, exec_lo
	v_cmpx_gt_u32_e64 s9, v36
	s_cbranch_execnz .LBB1670_223
.LBB1670_198:                           ;   in Loop: Header=BB1670_188 Depth=2
	s_wait_alu 0xfffe
	s_or_b32 exec_lo, exec_lo, s11
	s_delay_alu instid0(SALU_CYCLE_1)
	s_mov_b32 s11, exec_lo
	v_cmpx_gt_u32_e64 s9, v37
	s_cbranch_execz .LBB1670_200
.LBB1670_199:                           ;   in Loop: Header=BB1670_188 Depth=2
	s_wait_loadcnt 0x0
	v_add_co_u32 v11, s0, s0, v1
	s_wait_alu 0xf1ff
	v_add_co_ci_u32_e64 v12, null, s1, 0, s0
	global_load_u8 v2, v[11:12], off offset:1792
.LBB1670_200:                           ;   in Loop: Header=BB1670_188 Depth=2
	s_wait_alu 0xfffe
	s_or_b32 exec_lo, exec_lo, s11
	s_wait_loadcnt 0x0
	v_dual_mov_b32 v11, v7 :: v_dual_mov_b32 v12, v10
	v_dual_mov_b32 v13, v9 :: v_dual_mov_b32 v14, v8
	;; [unrolled: 1-line block ×4, first 2 shown]
	s_mov_b32 s0, s9
.LBB1670_201:                           ;   in Loop: Header=BB1670_188 Depth=2
	s_wait_loadcnt 0x5
	s_delay_alu instid0(VALU_DEP_1)
	v_dual_mov_b32 v2, v18 :: v_dual_mov_b32 v5, v16
	s_wait_loadcnt 0x2
	v_dual_mov_b32 v4, v17 :: v_dual_mov_b32 v9, v13
	s_wait_loadcnt 0x0
	v_dual_mov_b32 v6, v15 :: v_dual_mov_b32 v7, v11
	v_mov_b32_e32 v8, v14
	v_mov_b32_e32 v10, v12
	s_mov_b32 s1, exec_lo
	s_wait_alu 0xfffe
	v_cmpx_gt_u32_e64 s0, v1
	s_cbranch_execnz .LBB1670_209
; %bb.202:                              ;   in Loop: Header=BB1670_188 Depth=2
	s_or_b32 exec_lo, exec_lo, s1
	s_delay_alu instid0(SALU_CYCLE_1)
	s_mov_b32 s1, exec_lo
	v_cmpx_gt_u32_e64 s0, v29
	s_cbranch_execnz .LBB1670_210
.LBB1670_203:                           ;   in Loop: Header=BB1670_188 Depth=2
	s_wait_alu 0xfffe
	s_or_b32 exec_lo, exec_lo, s1
	s_delay_alu instid0(SALU_CYCLE_1)
	s_mov_b32 s1, exec_lo
	v_cmpx_gt_u32_e64 s0, v30
	s_cbranch_execnz .LBB1670_211
.LBB1670_204:                           ;   in Loop: Header=BB1670_188 Depth=2
	s_wait_alu 0xfffe
	s_or_b32 exec_lo, exec_lo, s1
	s_delay_alu instid0(SALU_CYCLE_1)
	s_mov_b32 s1, exec_lo
	v_cmpx_gt_u32_e64 s0, v31
	s_cbranch_execnz .LBB1670_212
.LBB1670_205:                           ;   in Loop: Header=BB1670_188 Depth=2
	s_wait_alu 0xfffe
	s_or_b32 exec_lo, exec_lo, s1
	s_delay_alu instid0(SALU_CYCLE_1)
	s_mov_b32 s1, exec_lo
	v_cmpx_gt_u32_e64 s0, v34
	s_cbranch_execnz .LBB1670_213
.LBB1670_206:                           ;   in Loop: Header=BB1670_188 Depth=2
	s_wait_alu 0xfffe
	s_or_b32 exec_lo, exec_lo, s1
	s_delay_alu instid0(SALU_CYCLE_1)
	s_mov_b32 s1, exec_lo
	v_cmpx_gt_u32_e64 s0, v35
	s_cbranch_execnz .LBB1670_214
.LBB1670_207:                           ;   in Loop: Header=BB1670_188 Depth=2
	s_wait_alu 0xfffe
	s_or_b32 exec_lo, exec_lo, s1
	s_delay_alu instid0(SALU_CYCLE_1)
	s_mov_b32 s1, exec_lo
	v_cmpx_gt_u32_e64 s0, v36
	s_cbranch_execnz .LBB1670_215
.LBB1670_208:                           ;   in Loop: Header=BB1670_188 Depth=2
	s_wait_alu 0xfffe
	s_or_b32 exec_lo, exec_lo, s1
	v_cmp_gt_u32_e32 vcc_lo, s0, v37
	s_and_saveexec_b32 s0, vcc_lo
	s_cbranch_execz .LBB1670_187
	s_branch .LBB1670_216
.LBB1670_209:                           ;   in Loop: Header=BB1670_188 Depth=2
	v_and_b32_e32 v11, 1, v7
	s_delay_alu instid0(VALU_DEP_1) | instskip(NEXT) | instid1(VALU_DEP_1)
	v_lshrrev_b32_e32 v11, s30, v11
	v_and_b32_e32 v11, s31, v11
	s_delay_alu instid0(VALU_DEP_1) | instskip(SKIP_2) | instid1(SALU_CYCLE_1)
	v_lshl_or_b32 v11, v11, 4, v39
	ds_add_u32 v11, v61
	s_or_b32 exec_lo, exec_lo, s1
	s_mov_b32 s1, exec_lo
	v_cmpx_gt_u32_e64 s0, v29
	s_cbranch_execz .LBB1670_203
.LBB1670_210:                           ;   in Loop: Header=BB1670_188 Depth=2
	v_and_b32_e32 v11, 1, v10
	s_delay_alu instid0(VALU_DEP_1) | instskip(NEXT) | instid1(VALU_DEP_1)
	v_lshrrev_b32_e32 v11, s30, v11
	v_and_b32_e32 v11, s31, v11
	s_delay_alu instid0(VALU_DEP_1) | instskip(SKIP_3) | instid1(SALU_CYCLE_1)
	v_lshl_or_b32 v11, v11, 4, v39
	ds_add_u32 v11, v61
	s_wait_alu 0xfffe
	s_or_b32 exec_lo, exec_lo, s1
	s_mov_b32 s1, exec_lo
	v_cmpx_gt_u32_e64 s0, v30
	s_cbranch_execz .LBB1670_204
.LBB1670_211:                           ;   in Loop: Header=BB1670_188 Depth=2
	v_and_b32_e32 v11, 1, v9
	s_delay_alu instid0(VALU_DEP_1) | instskip(NEXT) | instid1(VALU_DEP_1)
	v_lshrrev_b32_e32 v11, s30, v11
	v_and_b32_e32 v11, s31, v11
	s_delay_alu instid0(VALU_DEP_1) | instskip(SKIP_3) | instid1(SALU_CYCLE_1)
	v_lshl_or_b32 v11, v11, 4, v39
	ds_add_u32 v11, v61
	s_wait_alu 0xfffe
	s_or_b32 exec_lo, exec_lo, s1
	s_mov_b32 s1, exec_lo
	v_cmpx_gt_u32_e64 s0, v31
	s_cbranch_execz .LBB1670_205
.LBB1670_212:                           ;   in Loop: Header=BB1670_188 Depth=2
	v_and_b32_e32 v11, 1, v8
	s_delay_alu instid0(VALU_DEP_1) | instskip(NEXT) | instid1(VALU_DEP_1)
	v_lshrrev_b32_e32 v11, s30, v11
	v_and_b32_e32 v11, s31, v11
	s_delay_alu instid0(VALU_DEP_1) | instskip(SKIP_3) | instid1(SALU_CYCLE_1)
	v_lshl_or_b32 v11, v11, 4, v39
	ds_add_u32 v11, v61
	s_wait_alu 0xfffe
	s_or_b32 exec_lo, exec_lo, s1
	s_mov_b32 s1, exec_lo
	v_cmpx_gt_u32_e64 s0, v34
	s_cbranch_execz .LBB1670_206
.LBB1670_213:                           ;   in Loop: Header=BB1670_188 Depth=2
	v_and_b32_e32 v11, 1, v6
	s_delay_alu instid0(VALU_DEP_1) | instskip(NEXT) | instid1(VALU_DEP_1)
	v_lshrrev_b32_e32 v11, s30, v11
	v_and_b32_e32 v11, s31, v11
	s_delay_alu instid0(VALU_DEP_1) | instskip(SKIP_3) | instid1(SALU_CYCLE_1)
	v_lshl_or_b32 v11, v11, 4, v39
	ds_add_u32 v11, v61
	s_wait_alu 0xfffe
	s_or_b32 exec_lo, exec_lo, s1
	s_mov_b32 s1, exec_lo
	v_cmpx_gt_u32_e64 s0, v35
	s_cbranch_execz .LBB1670_207
.LBB1670_214:                           ;   in Loop: Header=BB1670_188 Depth=2
	v_and_b32_e32 v11, 1, v5
	s_delay_alu instid0(VALU_DEP_1) | instskip(NEXT) | instid1(VALU_DEP_1)
	v_lshrrev_b32_e32 v11, s30, v11
	v_and_b32_e32 v11, s31, v11
	s_delay_alu instid0(VALU_DEP_1) | instskip(SKIP_3) | instid1(SALU_CYCLE_1)
	v_lshl_or_b32 v11, v11, 4, v39
	ds_add_u32 v11, v61
	s_wait_alu 0xfffe
	s_or_b32 exec_lo, exec_lo, s1
	s_mov_b32 s1, exec_lo
	v_cmpx_gt_u32_e64 s0, v36
	s_cbranch_execz .LBB1670_208
.LBB1670_215:                           ;   in Loop: Header=BB1670_188 Depth=2
	v_and_b32_e32 v11, 1, v4
	s_delay_alu instid0(VALU_DEP_1) | instskip(NEXT) | instid1(VALU_DEP_1)
	v_lshrrev_b32_e32 v11, s30, v11
	v_and_b32_e32 v11, s31, v11
	s_delay_alu instid0(VALU_DEP_1)
	v_lshl_or_b32 v11, v11, 4, v39
	ds_add_u32 v11, v61
	s_wait_alu 0xfffe
	s_or_b32 exec_lo, exec_lo, s1
	v_cmp_gt_u32_e32 vcc_lo, s0, v37
	s_and_saveexec_b32 s0, vcc_lo
	s_cbranch_execz .LBB1670_187
.LBB1670_216:                           ;   in Loop: Header=BB1670_188 Depth=2
	v_and_b32_e32 v11, 1, v2
	s_delay_alu instid0(VALU_DEP_1) | instskip(NEXT) | instid1(VALU_DEP_1)
	v_lshrrev_b32_e32 v11, s30, v11
	v_and_b32_e32 v11, s31, v11
	s_delay_alu instid0(VALU_DEP_1)
	v_lshl_or_b32 v11, v11, 4, v39
	ds_add_u32 v11, v61
	s_branch .LBB1670_187
.LBB1670_217:                           ;   in Loop: Header=BB1670_188 Depth=2
	s_wait_loadcnt 0x0
	s_wait_alu 0xfffe
	v_add_co_u32 v11, s12, s0, v1
	s_wait_alu 0xf1ff
	v_add_co_ci_u32_e64 v12, null, s1, 0, s12
	global_load_u8 v7, v[11:12], off
	s_or_b32 exec_lo, exec_lo, s11
	s_delay_alu instid0(SALU_CYCLE_1)
	s_mov_b32 s11, exec_lo
	v_cmpx_gt_u32_e64 s9, v29
	s_cbranch_execz .LBB1670_193
.LBB1670_218:                           ;   in Loop: Header=BB1670_188 Depth=2
	v_add_co_u32 v10, s12, s0, v1
	s_wait_loadcnt 0x0
	s_wait_alu 0xf1ff
	v_add_co_ci_u32_e64 v11, null, s1, 0, s12
	global_load_u8 v10, v[10:11], off offset:256
	s_wait_alu 0xfffe
	s_or_b32 exec_lo, exec_lo, s11
	s_delay_alu instid0(SALU_CYCLE_1)
	s_mov_b32 s11, exec_lo
	v_cmpx_gt_u32_e64 s9, v30
	s_cbranch_execz .LBB1670_194
.LBB1670_219:                           ;   in Loop: Header=BB1670_188 Depth=2
	s_wait_loadcnt 0x0
	v_add_co_u32 v11, s12, s0, v1
	s_wait_alu 0xf1ff
	v_add_co_ci_u32_e64 v12, null, s1, 0, s12
	global_load_u8 v9, v[11:12], off offset:512
	s_wait_alu 0xfffe
	s_or_b32 exec_lo, exec_lo, s11
	s_delay_alu instid0(SALU_CYCLE_1)
	s_mov_b32 s11, exec_lo
	v_cmpx_gt_u32_e64 s9, v31
	s_cbranch_execz .LBB1670_195
.LBB1670_220:                           ;   in Loop: Header=BB1670_188 Depth=2
	s_wait_loadcnt 0x0
	v_add_co_u32 v11, s12, s0, v1
	s_wait_alu 0xf1ff
	v_add_co_ci_u32_e64 v12, null, s1, 0, s12
	global_load_u8 v8, v[11:12], off offset:768
	s_wait_alu 0xfffe
	s_or_b32 exec_lo, exec_lo, s11
	s_delay_alu instid0(SALU_CYCLE_1)
	s_mov_b32 s11, exec_lo
	v_cmpx_gt_u32_e64 s9, v34
	s_cbranch_execz .LBB1670_196
.LBB1670_221:                           ;   in Loop: Header=BB1670_188 Depth=2
	s_wait_loadcnt 0x0
	v_add_co_u32 v11, s12, s0, v1
	s_wait_alu 0xf1ff
	v_add_co_ci_u32_e64 v12, null, s1, 0, s12
	global_load_u8 v6, v[11:12], off offset:1024
	s_wait_alu 0xfffe
	s_or_b32 exec_lo, exec_lo, s11
	s_delay_alu instid0(SALU_CYCLE_1)
	s_mov_b32 s11, exec_lo
	v_cmpx_gt_u32_e64 s9, v35
	s_cbranch_execz .LBB1670_197
.LBB1670_222:                           ;   in Loop: Header=BB1670_188 Depth=2
	s_wait_loadcnt 0x0
	v_add_co_u32 v11, s12, s0, v1
	s_wait_alu 0xf1ff
	v_add_co_ci_u32_e64 v12, null, s1, 0, s12
	global_load_u8 v5, v[11:12], off offset:1280
	s_wait_alu 0xfffe
	s_or_b32 exec_lo, exec_lo, s11
	s_delay_alu instid0(SALU_CYCLE_1)
	s_mov_b32 s11, exec_lo
	v_cmpx_gt_u32_e64 s9, v36
	s_cbranch_execz .LBB1670_198
.LBB1670_223:                           ;   in Loop: Header=BB1670_188 Depth=2
	s_wait_loadcnt 0x0
	v_add_co_u32 v11, s12, s0, v1
	s_wait_alu 0xf1ff
	v_add_co_ci_u32_e64 v12, null, s1, 0, s12
	global_load_u8 v4, v[11:12], off offset:1536
	s_wait_alu 0xfffe
	s_or_b32 exec_lo, exec_lo, s11
	s_delay_alu instid0(SALU_CYCLE_1)
	s_mov_b32 s11, exec_lo
	v_cmpx_gt_u32_e64 s9, v37
	s_cbranch_execnz .LBB1670_199
	s_branch .LBB1670_200
.LBB1670_224:                           ;   in Loop: Header=BB1670_20 Depth=1
	v_mov_b32_e32 v2, 0
	s_wait_dscnt 0x0
	s_barrier_signal -1
	s_barrier_wait -1
	global_inv scope:SCOPE_SE
	s_and_saveexec_b32 s0, s2
	s_cbranch_execz .LBB1670_226
; %bb.225:                              ;   in Loop: Header=BB1670_20 Depth=1
	ds_load_2addr_b64 v[4:7], v40 offset1:1
	s_wait_dscnt 0x0
	v_add_nc_u32_e32 v2, v5, v4
	s_delay_alu instid0(VALU_DEP_1)
	v_add3_u32 v2, v2, v6, v7
.LBB1670_226:                           ;   in Loop: Header=BB1670_20 Depth=1
	s_wait_alu 0xfffe
	s_or_b32 exec_lo, exec_lo, s0
	s_delay_alu instid0(VALU_DEP_1)
	v_mov_b32_dpp v4, v2 row_shr:1 row_mask:0xf bank_mask:0xf
	v_cmp_eq_u32_e64 s0, 0, v62
	v_cmp_lt_u32_e64 s1, 1, v62
	v_cmp_lt_u32_e64 s9, 3, v62
	;; [unrolled: 1-line block ×3, first 2 shown]
	v_cmp_eq_u32_e64 s11, 0, v64
	s_wait_alu 0xf1ff
	v_cndmask_b32_e64 v4, v4, 0, s0
	s_delay_alu instid0(VALU_DEP_1) | instskip(NEXT) | instid1(VALU_DEP_1)
	v_add_nc_u32_e32 v2, v4, v2
	v_mov_b32_dpp v4, v2 row_shr:2 row_mask:0xf bank_mask:0xf
	s_delay_alu instid0(VALU_DEP_1) | instskip(NEXT) | instid1(VALU_DEP_1)
	v_cndmask_b32_e64 v4, 0, v4, s1
	v_add_nc_u32_e32 v2, v2, v4
	s_delay_alu instid0(VALU_DEP_1) | instskip(NEXT) | instid1(VALU_DEP_1)
	v_mov_b32_dpp v4, v2 row_shr:4 row_mask:0xf bank_mask:0xf
	v_cndmask_b32_e64 v4, 0, v4, s9
	s_delay_alu instid0(VALU_DEP_1) | instskip(NEXT) | instid1(VALU_DEP_1)
	v_add_nc_u32_e32 v2, v2, v4
	v_mov_b32_dpp v4, v2 row_shr:8 row_mask:0xf bank_mask:0xf
	s_delay_alu instid0(VALU_DEP_1) | instskip(NEXT) | instid1(VALU_DEP_1)
	v_cndmask_b32_e64 v4, 0, v4, s10
	v_add_nc_u32_e32 v2, v2, v4
	ds_swizzle_b32 v4, v2 offset:swizzle(BROADCAST,32,15)
	s_wait_dscnt 0x0
	v_and_b32_e32 v4, v63, v4
	s_delay_alu instid0(VALU_DEP_1)
	v_add_nc_u32_e32 v2, v2, v4
	s_and_saveexec_b32 s12, s3
; %bb.227:                              ;   in Loop: Header=BB1670_20 Depth=1
	ds_store_b32 v41, v2
; %bb.228:                              ;   in Loop: Header=BB1670_20 Depth=1
	s_wait_alu 0xfffe
	s_or_b32 exec_lo, exec_lo, s12
	s_wait_loadcnt_dscnt 0x0
	s_barrier_signal -1
	s_barrier_wait -1
	global_inv scope:SCOPE_SE
	s_and_saveexec_b32 s12, s4
	s_cbranch_execz .LBB1670_230
; %bb.229:                              ;   in Loop: Header=BB1670_20 Depth=1
	ds_load_b32 v4, v42
	v_cmp_ne_u32_e32 vcc_lo, 0, v65
	s_wait_dscnt 0x0
	v_mov_b32_dpp v5, v4 row_shr:1 row_mask:0xf bank_mask:0xf
	s_wait_alu 0xfffd
	s_delay_alu instid0(VALU_DEP_1) | instskip(SKIP_1) | instid1(VALU_DEP_2)
	v_cndmask_b32_e32 v5, 0, v5, vcc_lo
	v_cmp_lt_u32_e32 vcc_lo, 1, v65
	v_add_nc_u32_e32 v4, v5, v4
	s_delay_alu instid0(VALU_DEP_1) | instskip(SKIP_1) | instid1(VALU_DEP_1)
	v_mov_b32_dpp v5, v4 row_shr:2 row_mask:0xf bank_mask:0xf
	s_wait_alu 0xfffd
	v_cndmask_b32_e32 v5, 0, v5, vcc_lo
	v_cmp_lt_u32_e32 vcc_lo, 3, v65
	s_delay_alu instid0(VALU_DEP_2) | instskip(NEXT) | instid1(VALU_DEP_1)
	v_add_nc_u32_e32 v4, v4, v5
	v_mov_b32_dpp v5, v4 row_shr:4 row_mask:0xf bank_mask:0xf
	s_wait_alu 0xfffd
	s_delay_alu instid0(VALU_DEP_1) | instskip(NEXT) | instid1(VALU_DEP_1)
	v_cndmask_b32_e32 v5, 0, v5, vcc_lo
	v_add_nc_u32_e32 v4, v4, v5
	ds_store_b32 v42, v4
.LBB1670_230:                           ;   in Loop: Header=BB1670_20 Depth=1
	s_wait_alu 0xfffe
	s_or_b32 exec_lo, exec_lo, s12
	v_mov_b32_e32 v4, 0
	s_wait_loadcnt_dscnt 0x0
	s_barrier_signal -1
	s_barrier_wait -1
	global_inv scope:SCOPE_SE
	s_and_saveexec_b32 s12, s5
; %bb.231:                              ;   in Loop: Header=BB1670_20 Depth=1
	ds_load_b32 v4, v43
; %bb.232:                              ;   in Loop: Header=BB1670_20 Depth=1
	s_wait_alu 0xfffe
	s_or_b32 exec_lo, exec_lo, s12
	v_cmp_gt_i32_e32 vcc_lo, 0, v67
	s_wait_dscnt 0x0
	v_add_nc_u32_e32 v2, v4, v2
	s_wait_loadcnt 0x0
	s_barrier_signal -1
	s_barrier_wait -1
	s_wait_alu 0xfffd
	v_cndmask_b32_e32 v5, v67, v58, vcc_lo
	global_inv scope:SCOPE_SE
	v_lshlrev_b32_e32 v80, 2, v5
	ds_bpermute_b32 v2, v80, v2
	s_and_saveexec_b32 s12, s2
	s_cbranch_execz .LBB1670_234
; %bb.233:                              ;   in Loop: Header=BB1670_20 Depth=1
	s_wait_dscnt 0x0
	v_cndmask_b32_e64 v2, v2, v4, s8
	s_delay_alu instid0(VALU_DEP_1)
	v_add_nc_u32_e32 v2, s33, v2
	ds_store_b32 v28, v2
.LBB1670_234:                           ;   in Loop: Header=BB1670_20 Depth=1
	s_wait_alu 0xfffe
	s_or_b32 exec_lo, exec_lo, s12
	s_load_b64 s[12:13], s[28:29], 0x0
	v_add_co_u32 v81, vcc_lo, v50, v66
	s_wait_alu 0xfffd
	v_add_co_ci_u32_e64 v82, null, 0, v51, vcc_lo
	v_add_co_u32 v83, vcc_lo, v52, v58
	s_wait_alu 0xfffd
	v_add_co_ci_u32_e64 v84, null, 0, v53, vcc_lo
	s_mov_b32 s42, s47
                                        ; implicit-def: $vgpr6_vgpr7
                                        ; implicit-def: $vgpr8_vgpr9
                                        ; implicit-def: $vgpr10_vgpr11
                                        ; implicit-def: $vgpr12_vgpr13
                                        ; implicit-def: $vgpr14_vgpr15
                                        ; implicit-def: $vgpr16_vgpr17
                                        ; implicit-def: $vgpr18_vgpr19
                                        ; implicit-def: $vgpr86
                                        ; implicit-def: $vgpr87
                                        ; implicit-def: $vgpr88
                                        ; implicit-def: $vgpr89
                                        ; implicit-def: $vgpr90
                                        ; implicit-def: $vgpr91
                                        ; implicit-def: $vgpr92
                                        ; implicit-def: $vgpr93
	s_wait_kmcnt 0x0
	s_cmp_lt_u32 ttmp7, s13
	s_cselect_b32 s22, 14, 20
	s_cmp_lt_u32 ttmp9, s12
	s_wait_alu 0xfffe
	s_add_nc_u64 s[14:15], s[28:29], s[22:23]
	s_cselect_b32 s22, 12, 18
	s_load_u16 s14, s[14:15], 0x0
	s_add_nc_u64 s[12:13], s[28:29], s[22:23]
	s_mov_b32 s22, s33
	s_load_u16 s12, s[12:13], 0x0
	v_cmp_lt_u32_e64 s13, 1, v65
	s_wait_dscnt 0x0
	s_wait_kmcnt 0x0
	v_mad_u32_u24 v2, v44, s14, v0
	v_cmp_lt_u32_e64 s14, 3, v65
	s_delay_alu instid0(VALU_DEP_2) | instskip(SKIP_1) | instid1(VALU_DEP_2)
	v_mad_co_u64_u32 v[4:5], null, v2, s12, v[1:2]
	v_cmp_eq_u32_e64 s12, 0, v65
	v_lshrrev_b32_e32 v2, 3, v4
                                        ; implicit-def: $vgpr4_vgpr5
	s_delay_alu instid0(VALU_DEP_1)
	v_and_b32_e32 v85, 0x1ffffffc, v2
	s_branch .LBB1670_236
.LBB1670_235:                           ;   in Loop: Header=BB1670_236 Depth=2
	s_wait_alu 0xfffe
	s_or_b32 exec_lo, exec_lo, s15
	s_addk_co_i32 s42, 0xf800
	s_cmp_lt_u32 s43, s34
	s_mov_b32 s22, s43
	s_cbranch_scc0 .LBB1670_348
.LBB1670_236:                           ;   Parent Loop BB1670_20 Depth=1
                                        ; =>  This Inner Loop Header: Depth=2
	s_wait_alu 0xfffe
	s_add_co_i32 s43, s22, 0x800
	s_wait_alu 0xfffe
	s_cmp_gt_u32 s43, s34
	s_cbranch_scc1 .LBB1670_238
; %bb.237:                              ;   in Loop: Header=BB1670_236 Depth=2
	v_add_co_u32 v20, vcc_lo, v83, s22
	s_wait_alu 0xfffd
	v_add_co_ci_u32_e64 v21, null, 0, v84, vcc_lo
	s_mov_b32 s15, -1
	s_clause 0x6
	global_load_u8 v94, v[20:21], off
	global_load_u8 v95, v[20:21], off offset:32
	global_load_u8 v96, v[20:21], off offset:64
	;; [unrolled: 1-line block ×6, first 2 shown]
	s_movk_i32 s16, 0x800
	s_cbranch_execz .LBB1670_239
	s_branch .LBB1670_254
.LBB1670_238:                           ;   in Loop: Header=BB1670_236 Depth=2
	s_mov_b32 s15, 0
                                        ; implicit-def: $vgpr94
                                        ; implicit-def: $vgpr95
                                        ; implicit-def: $vgpr96
                                        ; implicit-def: $vgpr97
                                        ; implicit-def: $vgpr98
                                        ; implicit-def: $vgpr99
                                        ; implicit-def: $vgpr100
	s_movk_i32 s16, 0x800
.LBB1670_239:                           ;   in Loop: Header=BB1670_236 Depth=2
	v_add_co_u32 v20, vcc_lo, v83, s22
	s_wait_alu 0xfffd
	v_add_co_ci_u32_e64 v21, null, 0, v84, vcc_lo
	s_wait_loadcnt 0x5
	v_dual_mov_b32 v95, 1 :: v_dual_mov_b32 v94, 1
	s_mov_b32 s15, exec_lo
	v_cmpx_gt_u32_e64 s42, v68
	s_cbranch_execz .LBB1670_241
; %bb.240:                              ;   in Loop: Header=BB1670_236 Depth=2
	global_load_u8 v94, v[20:21], off
.LBB1670_241:                           ;   in Loop: Header=BB1670_236 Depth=2
	s_wait_alu 0xfffe
	s_or_b32 exec_lo, exec_lo, s15
	s_delay_alu instid0(SALU_CYCLE_1)
	s_mov_b32 s15, exec_lo
	v_cmpx_gt_u32_e64 s42, v71
	s_cbranch_execz .LBB1670_243
; %bb.242:                              ;   in Loop: Header=BB1670_236 Depth=2
	global_load_u8 v95, v[20:21], off offset:32
.LBB1670_243:                           ;   in Loop: Header=BB1670_236 Depth=2
	s_wait_alu 0xfffe
	s_or_b32 exec_lo, exec_lo, s15
	s_wait_loadcnt 0x3
	v_dual_mov_b32 v97, 1 :: v_dual_mov_b32 v96, 1
	s_mov_b32 s15, exec_lo
	v_cmpx_gt_u32_e64 s42, v72
	s_cbranch_execz .LBB1670_245
; %bb.244:                              ;   in Loop: Header=BB1670_236 Depth=2
	global_load_u8 v96, v[20:21], off offset:64
.LBB1670_245:                           ;   in Loop: Header=BB1670_236 Depth=2
	s_wait_alu 0xfffe
	s_or_b32 exec_lo, exec_lo, s15
	s_delay_alu instid0(SALU_CYCLE_1)
	s_mov_b32 s15, exec_lo
	v_cmpx_gt_u32_e64 s42, v73
	s_cbranch_execz .LBB1670_247
; %bb.246:                              ;   in Loop: Header=BB1670_236 Depth=2
	global_load_u8 v97, v[20:21], off offset:96
.LBB1670_247:                           ;   in Loop: Header=BB1670_236 Depth=2
	s_wait_alu 0xfffe
	s_or_b32 exec_lo, exec_lo, s15
	s_wait_loadcnt 0x1
	v_dual_mov_b32 v99, 1 :: v_dual_mov_b32 v98, 1
	s_mov_b32 s15, exec_lo
	v_cmpx_gt_u32_e64 s42, v74
	s_cbranch_execz .LBB1670_249
; %bb.248:                              ;   in Loop: Header=BB1670_236 Depth=2
	global_load_u8 v98, v[20:21], off offset:128
.LBB1670_249:                           ;   in Loop: Header=BB1670_236 Depth=2
	s_wait_alu 0xfffe
	s_or_b32 exec_lo, exec_lo, s15
	s_delay_alu instid0(SALU_CYCLE_1)
	s_mov_b32 s15, exec_lo
	v_cmpx_gt_u32_e64 s42, v75
	s_cbranch_execz .LBB1670_251
; %bb.250:                              ;   in Loop: Header=BB1670_236 Depth=2
	global_load_u8 v99, v[20:21], off offset:160
.LBB1670_251:                           ;   in Loop: Header=BB1670_236 Depth=2
	s_wait_alu 0xfffe
	s_or_b32 exec_lo, exec_lo, s15
	s_wait_loadcnt 0x0
	v_mov_b32_e32 v100, 1
	s_mov_b32 s15, exec_lo
	v_cmpx_gt_u32_e64 s42, v76
	s_cbranch_execz .LBB1670_253
; %bb.252:                              ;   in Loop: Header=BB1670_236 Depth=2
	global_load_u8 v100, v[20:21], off offset:192
.LBB1670_253:                           ;   in Loop: Header=BB1670_236 Depth=2
	s_wait_alu 0xfffe
	s_or_b32 exec_lo, exec_lo, s15
	v_cmp_gt_u32_e64 s15, s42, v77
	s_sub_co_i32 s16, s34, s22
.LBB1670_254:                           ;   in Loop: Header=BB1670_236 Depth=2
	v_dual_mov_b32 v101, 1 :: v_dual_mov_b32 v2, s42
	s_wait_alu 0xfffe
	s_and_saveexec_b32 s17, s15
	s_cbranch_execz .LBB1670_256
; %bb.255:                              ;   in Loop: Header=BB1670_236 Depth=2
	v_add_co_u32 v20, vcc_lo, v83, s22
	s_wait_alu 0xfffd
	v_add_co_ci_u32_e64 v21, null, s23, v84, vcc_lo
	v_mov_b32_e32 v2, s16
	global_load_u8 v101, v[20:21], off offset:224
.LBB1670_256:                           ;   in Loop: Header=BB1670_236 Depth=2
	s_wait_alu 0xfffe
	s_or_b32 exec_lo, exec_lo, s17
	s_wait_loadcnt 0x6
	v_and_b32_e32 v20, 0xff, v94
	v_add_nc_u32_e32 v103, 0x438, v45
	v_add_nc_u32_e32 v104, 0x420, v45
	;; [unrolled: 1-line block ×4, first 2 shown]
	v_lshrrev_b32_e32 v20, s30, v20
	ds_store_2addr_b32 v103, v3, v3 offset1:1
	ds_store_2addr_b32 v104, v3, v3 offset1:1
	;; [unrolled: 1-line block ×4, first 2 shown]
	ds_store_b32 v45, v3 offset:1088
	s_wait_loadcnt_dscnt 0x0
	s_barrier_signal -1
	v_and_b32_e32 v21, s31, v20
	s_barrier_wait -1
	global_inv scope:SCOPE_SE
	; wave barrier
	v_add_co_u32 v20, s15, v21, -1
	s_wait_alu 0xf1ff
	v_cndmask_b32_e64 v22, 0, 1, s15
	v_mul_u32_u24_e32 v21, 36, v21
	s_delay_alu instid0(VALU_DEP_2) | instskip(NEXT) | instid1(VALU_DEP_2)
	v_cmp_ne_u32_e32 vcc_lo, 0, v22
	v_add_nc_u32_e32 v108, v85, v21
	s_wait_alu 0xfffd
	v_xor_b32_e32 v20, vcc_lo, v20
	s_delay_alu instid0(VALU_DEP_1) | instskip(NEXT) | instid1(VALU_DEP_1)
	v_and_b32_e32 v20, exec_lo, v20
	v_mbcnt_lo_u32_b32 v102, v20, 0
	v_cmp_ne_u32_e64 s15, 0, v20
	s_delay_alu instid0(VALU_DEP_2)
	v_cmp_eq_u32_e32 vcc_lo, 0, v102
	s_and_b32 s16, s15, vcc_lo
	s_wait_alu 0xfffe
	s_and_saveexec_b32 s15, s16
; %bb.257:                              ;   in Loop: Header=BB1670_236 Depth=2
	v_bcnt_u32_b32 v20, v20, 0
	ds_store_b32 v108, v20 offset:1056
; %bb.258:                              ;   in Loop: Header=BB1670_236 Depth=2
	s_wait_alu 0xfffe
	s_or_b32 exec_lo, exec_lo, s15
	v_and_b32_e32 v20, 0xff, v95
	; wave barrier
	s_delay_alu instid0(VALU_DEP_1) | instskip(NEXT) | instid1(VALU_DEP_1)
	v_lshrrev_b32_e32 v20, s30, v20
	v_and_b32_e32 v21, s31, v20
	s_delay_alu instid0(VALU_DEP_1) | instskip(SKIP_2) | instid1(VALU_DEP_1)
	v_add_co_u32 v20, s15, v21, -1
	s_wait_alu 0xf1ff
	v_cndmask_b32_e64 v22, 0, 1, s15
	v_cmp_ne_u32_e32 vcc_lo, 0, v22
	v_mad_u32_u24 v22, v21, 36, v85
	v_mul_u32_u24_e32 v21, 36, v21
	s_wait_alu 0xfffd
	v_xor_b32_e32 v20, vcc_lo, v20
	ds_load_b32 v107, v22 offset:1056
	v_add_nc_u32_e32 v112, v85, v21
	; wave barrier
	v_and_b32_e32 v20, exec_lo, v20
	s_delay_alu instid0(VALU_DEP_1) | instskip(SKIP_1) | instid1(VALU_DEP_2)
	v_mbcnt_lo_u32_b32 v109, v20, 0
	v_cmp_ne_u32_e64 s15, 0, v20
	v_cmp_eq_u32_e32 vcc_lo, 0, v109
	s_and_b32 s16, s15, vcc_lo
	s_wait_alu 0xfffe
	s_and_saveexec_b32 s15, s16
	s_cbranch_execz .LBB1670_260
; %bb.259:                              ;   in Loop: Header=BB1670_236 Depth=2
	s_wait_dscnt 0x0
	v_bcnt_u32_b32 v20, v20, v107
	ds_store_b32 v112, v20 offset:1056
.LBB1670_260:                           ;   in Loop: Header=BB1670_236 Depth=2
	s_wait_alu 0xfffe
	s_or_b32 exec_lo, exec_lo, s15
	v_and_b32_e32 v20, 0xff, v96
	; wave barrier
	s_delay_alu instid0(VALU_DEP_1) | instskip(NEXT) | instid1(VALU_DEP_1)
	v_lshrrev_b32_e32 v20, s30, v20
	v_and_b32_e32 v21, s31, v20
	s_delay_alu instid0(VALU_DEP_1) | instskip(SKIP_2) | instid1(VALU_DEP_1)
	v_add_co_u32 v20, s15, v21, -1
	s_wait_alu 0xf1ff
	v_cndmask_b32_e64 v22, 0, 1, s15
	v_cmp_ne_u32_e32 vcc_lo, 0, v22
	v_mad_u32_u24 v22, v21, 36, v85
	v_mul_u32_u24_e32 v21, 36, v21
	s_wait_alu 0xfffd
	v_xor_b32_e32 v20, vcc_lo, v20
	ds_load_b32 v110, v22 offset:1056
	v_add_nc_u32_e32 v115, v85, v21
	; wave barrier
	v_and_b32_e32 v20, exec_lo, v20
	s_delay_alu instid0(VALU_DEP_1) | instskip(SKIP_1) | instid1(VALU_DEP_2)
	v_mbcnt_lo_u32_b32 v111, v20, 0
	v_cmp_ne_u32_e64 s15, 0, v20
	v_cmp_eq_u32_e32 vcc_lo, 0, v111
	s_and_b32 s16, s15, vcc_lo
	s_wait_alu 0xfffe
	s_and_saveexec_b32 s15, s16
	s_cbranch_execz .LBB1670_262
; %bb.261:                              ;   in Loop: Header=BB1670_236 Depth=2
	s_wait_dscnt 0x0
	v_bcnt_u32_b32 v20, v20, v110
	ds_store_b32 v115, v20 offset:1056
.LBB1670_262:                           ;   in Loop: Header=BB1670_236 Depth=2
	;; [unrolled: 33-line block ×7, first 2 shown]
	s_wait_alu 0xfffe
	s_or_b32 exec_lo, exec_lo, s15
	; wave barrier
	s_wait_loadcnt_dscnt 0x0
	s_barrier_signal -1
	s_barrier_wait -1
	global_inv scope:SCOPE_SE
	ds_load_2addr_b32 v[26:27], v104 offset1:1
	ds_load_2addr_b32 v[24:25], v105 offset1:1
	;; [unrolled: 1-line block ×4, first 2 shown]
	ds_load_b32 v129, v45 offset:1088
	s_wait_dscnt 0x3
	v_add3_u32 v130, v27, v26, v24
	s_wait_dscnt 0x2
	s_delay_alu instid0(VALU_DEP_1) | instskip(SKIP_1) | instid1(VALU_DEP_1)
	v_add3_u32 v130, v130, v25, v22
	s_wait_dscnt 0x1
	v_add3_u32 v130, v130, v23, v20
	s_wait_dscnt 0x0
	s_delay_alu instid0(VALU_DEP_1) | instskip(NEXT) | instid1(VALU_DEP_1)
	v_add3_u32 v129, v130, v21, v129
	v_mov_b32_dpp v130, v129 row_shr:1 row_mask:0xf bank_mask:0xf
	s_delay_alu instid0(VALU_DEP_1) | instskip(NEXT) | instid1(VALU_DEP_1)
	v_cndmask_b32_e64 v130, v130, 0, s0
	v_add_nc_u32_e32 v129, v130, v129
	s_delay_alu instid0(VALU_DEP_1) | instskip(NEXT) | instid1(VALU_DEP_1)
	v_mov_b32_dpp v130, v129 row_shr:2 row_mask:0xf bank_mask:0xf
	v_cndmask_b32_e64 v130, 0, v130, s1
	s_delay_alu instid0(VALU_DEP_1) | instskip(NEXT) | instid1(VALU_DEP_1)
	v_add_nc_u32_e32 v129, v129, v130
	v_mov_b32_dpp v130, v129 row_shr:4 row_mask:0xf bank_mask:0xf
	s_delay_alu instid0(VALU_DEP_1) | instskip(NEXT) | instid1(VALU_DEP_1)
	v_cndmask_b32_e64 v130, 0, v130, s9
	v_add_nc_u32_e32 v129, v129, v130
	s_delay_alu instid0(VALU_DEP_1) | instskip(NEXT) | instid1(VALU_DEP_1)
	v_mov_b32_dpp v130, v129 row_shr:8 row_mask:0xf bank_mask:0xf
	v_cndmask_b32_e64 v130, 0, v130, s10
	s_delay_alu instid0(VALU_DEP_1) | instskip(SKIP_3) | instid1(VALU_DEP_1)
	v_add_nc_u32_e32 v129, v129, v130
	ds_swizzle_b32 v130, v129 offset:swizzle(BROADCAST,32,15)
	s_wait_dscnt 0x0
	v_cndmask_b32_e64 v130, v130, 0, s11
	v_add_nc_u32_e32 v129, v129, v130
	s_and_saveexec_b32 s15, s3
; %bb.273:                              ;   in Loop: Header=BB1670_236 Depth=2
	ds_store_b32 v38, v129 offset:1024
; %bb.274:                              ;   in Loop: Header=BB1670_236 Depth=2
	s_wait_alu 0xfffe
	s_or_b32 exec_lo, exec_lo, s15
	s_wait_loadcnt_dscnt 0x0
	s_barrier_signal -1
	s_barrier_wait -1
	global_inv scope:SCOPE_SE
	s_and_saveexec_b32 s15, s4
	s_cbranch_execz .LBB1670_276
; %bb.275:                              ;   in Loop: Header=BB1670_236 Depth=2
	v_add_nc_u32_e32 v130, v45, v46
	ds_load_b32 v131, v130 offset:1024
	s_wait_dscnt 0x0
	v_mov_b32_dpp v132, v131 row_shr:1 row_mask:0xf bank_mask:0xf
	s_delay_alu instid0(VALU_DEP_1) | instskip(NEXT) | instid1(VALU_DEP_1)
	v_cndmask_b32_e64 v132, v132, 0, s12
	v_add_nc_u32_e32 v131, v132, v131
	s_delay_alu instid0(VALU_DEP_1) | instskip(NEXT) | instid1(VALU_DEP_1)
	v_mov_b32_dpp v132, v131 row_shr:2 row_mask:0xf bank_mask:0xf
	v_cndmask_b32_e64 v132, 0, v132, s13
	s_delay_alu instid0(VALU_DEP_1) | instskip(NEXT) | instid1(VALU_DEP_1)
	v_add_nc_u32_e32 v131, v131, v132
	v_mov_b32_dpp v132, v131 row_shr:4 row_mask:0xf bank_mask:0xf
	s_delay_alu instid0(VALU_DEP_1) | instskip(NEXT) | instid1(VALU_DEP_1)
	v_cndmask_b32_e64 v132, 0, v132, s14
	v_add_nc_u32_e32 v131, v131, v132
	ds_store_b32 v130, v131 offset:1024
.LBB1670_276:                           ;   in Loop: Header=BB1670_236 Depth=2
	s_wait_alu 0xfffe
	s_or_b32 exec_lo, exec_lo, s15
	v_mov_b32_e32 v130, 0
	s_wait_loadcnt_dscnt 0x0
	s_barrier_signal -1
	s_barrier_wait -1
	global_inv scope:SCOPE_SE
	s_and_saveexec_b32 s15, s5
; %bb.277:                              ;   in Loop: Header=BB1670_236 Depth=2
	ds_load_b32 v130, v38 offset:1020
; %bb.278:                              ;   in Loop: Header=BB1670_236 Depth=2
	s_wait_alu 0xfffe
	s_or_b32 exec_lo, exec_lo, s15
	s_wait_dscnt 0x0
	v_add_nc_u32_e32 v129, v130, v129
	ds_bpermute_b32 v129, v80, v129
	s_wait_dscnt 0x0
	v_cndmask_b32_e64 v129, v129, v130, s8
	s_delay_alu instid0(VALU_DEP_1) | instskip(NEXT) | instid1(VALU_DEP_1)
	v_cndmask_b32_e64 v129, v129, 0, s6
	v_add_nc_u32_e32 v26, v129, v26
	s_delay_alu instid0(VALU_DEP_1) | instskip(NEXT) | instid1(VALU_DEP_1)
	v_add_nc_u32_e32 v27, v26, v27
	v_add_nc_u32_e32 v24, v27, v24
	s_delay_alu instid0(VALU_DEP_1) | instskip(NEXT) | instid1(VALU_DEP_1)
	v_add_nc_u32_e32 v25, v24, v25
	;; [unrolled: 3-line block ×3, first 2 shown]
	v_add_nc_u32_e32 v20, v23, v20
	s_delay_alu instid0(VALU_DEP_1)
	v_add_nc_u32_e32 v21, v20, v21
	ds_store_2addr_b32 v103, v23, v20 offset1:1
	ds_store_2addr_b32 v104, v129, v26 offset1:1
	;; [unrolled: 1-line block ×4, first 2 shown]
	ds_store_b32 v45, v21 offset:1088
	s_wait_loadcnt_dscnt 0x0
	s_barrier_signal -1
	s_barrier_wait -1
	global_inv scope:SCOPE_SE
	ds_load_b32 v20, v108 offset:1056
	ds_load_b32 v21, v112 offset:1056
	;; [unrolled: 1-line block ×9, first 2 shown]
	v_mov_b32_e32 v22, 0x800
	s_and_saveexec_b32 s15, s7
; %bb.279:                              ;   in Loop: Header=BB1670_236 Depth=2
	ds_load_b32 v22, v45 offset:1092
; %bb.280:                              ;   in Loop: Header=BB1670_236 Depth=2
	s_wait_alu 0xfffe
	s_or_b32 exec_lo, exec_lo, s15
	s_wait_loadcnt_dscnt 0x0
	s_barrier_signal -1
	s_barrier_wait -1
	global_inv scope:SCOPE_SE
	s_and_saveexec_b32 s15, s2
	s_cbranch_execz .LBB1670_282
; %bb.281:                              ;   in Loop: Header=BB1670_236 Depth=2
	ds_load_b32 v27, v28
	s_wait_dscnt 0x0
	v_sub_nc_u32_e32 v26, v27, v26
	ds_store_b32 v28, v26
.LBB1670_282:                           ;   in Loop: Header=BB1670_236 Depth=2
	s_wait_alu 0xfffe
	s_or_b32 exec_lo, exec_lo, s15
	v_add_nc_u32_e32 v104, v20, v102
	v_add3_u32 v103, v109, v107, v21
	v_add3_u32 v102, v111, v110, v23
	;; [unrolled: 1-line block ×7, first 2 shown]
	v_cmp_lt_u32_e64 s21, v1, v2
	ds_store_b8 v104, v94 offset:1024
	ds_store_b8 v103, v95 offset:1024
	;; [unrolled: 1-line block ×8, first 2 shown]
	s_wait_loadcnt_dscnt 0x0
	s_barrier_signal -1
	s_barrier_wait -1
	global_inv scope:SCOPE_SE
	s_and_saveexec_b32 s15, s21
	s_cbranch_execnz .LBB1670_319
; %bb.283:                              ;   in Loop: Header=BB1670_236 Depth=2
	s_wait_alu 0xfffe
	s_or_b32 exec_lo, exec_lo, s15
	v_cmp_lt_u32_e64 s20, v29, v2
	s_and_saveexec_b32 s15, s20
	s_cbranch_execnz .LBB1670_320
.LBB1670_284:                           ;   in Loop: Header=BB1670_236 Depth=2
	s_wait_alu 0xfffe
	s_or_b32 exec_lo, exec_lo, s15
	v_cmp_lt_u32_e64 s19, v30, v2
	s_and_saveexec_b32 s15, s19
	s_cbranch_execnz .LBB1670_321
.LBB1670_285:                           ;   in Loop: Header=BB1670_236 Depth=2
	s_wait_alu 0xfffe
	s_or_b32 exec_lo, exec_lo, s15
	v_cmp_lt_u32_e64 s18, v31, v2
	s_and_saveexec_b32 s15, s18
	s_cbranch_execnz .LBB1670_322
.LBB1670_286:                           ;   in Loop: Header=BB1670_236 Depth=2
	s_wait_alu 0xfffe
	s_or_b32 exec_lo, exec_lo, s15
	v_cmp_lt_u32_e64 s17, v34, v2
	s_and_saveexec_b32 s15, s17
	s_cbranch_execnz .LBB1670_323
.LBB1670_287:                           ;   in Loop: Header=BB1670_236 Depth=2
	s_wait_alu 0xfffe
	s_or_b32 exec_lo, exec_lo, s15
	v_cmp_lt_u32_e64 s16, v35, v2
	s_and_saveexec_b32 s15, s16
	s_cbranch_execnz .LBB1670_324
.LBB1670_288:                           ;   in Loop: Header=BB1670_236 Depth=2
	s_wait_alu 0xfffe
	s_or_b32 exec_lo, exec_lo, s15
	v_cmp_lt_u32_e64 s15, v36, v2
	s_and_saveexec_b32 s44, s15
	s_cbranch_execnz .LBB1670_325
.LBB1670_289:                           ;   in Loop: Header=BB1670_236 Depth=2
	s_wait_alu 0xfffe
	s_or_b32 exec_lo, exec_lo, s44
	v_cmp_lt_u32_e32 vcc_lo, v37, v2
	s_and_saveexec_b32 s44, vcc_lo
	s_cbranch_execz .LBB1670_291
.LBB1670_290:                           ;   in Loop: Header=BB1670_236 Depth=2
	ds_load_u8 v20, v1 offset:2816
	s_wait_dscnt 0x0
	v_and_b32_e32 v21, 1, v20
	s_delay_alu instid0(VALU_DEP_1) | instskip(NEXT) | instid1(VALU_DEP_1)
	v_lshrrev_b32_e32 v21, s30, v21
	v_and_b32_e32 v21, s31, v21
	s_delay_alu instid0(VALU_DEP_1)
	v_lshlrev_b32_e32 v21, 2, v21
	ds_load_b32 v21, v21
	s_wait_dscnt 0x0
	v_add_nc_u32_e32 v21, v21, v37
	global_store_b8 v21, v20, s[40:41]
.LBB1670_291:                           ;   in Loop: Header=BB1670_236 Depth=2
	s_wait_alu 0xfffe
	s_or_b32 exec_lo, exec_lo, s44
	s_lshl_b64 s[48:49], s[22:23], 3
	s_wait_alu 0xfffe
	v_add_co_u32 v20, s22, v81, s48
	s_wait_alu 0xf1ff
	v_add_co_ci_u32_e64 v21, null, s49, v82, s22
	v_cmp_lt_u32_e64 s22, v68, v2
	s_and_saveexec_b32 s44, s22
	s_wait_alu 0xfffe
	s_xor_b32 s22, exec_lo, s44
	s_cbranch_execnz .LBB1670_326
; %bb.292:                              ;   in Loop: Header=BB1670_236 Depth=2
	s_wait_alu 0xfffe
	s_or_b32 exec_lo, exec_lo, s22
	s_delay_alu instid0(SALU_CYCLE_1)
	s_mov_b32 s44, exec_lo
	v_cmpx_lt_u32_e64 v71, v2
	s_cbranch_execnz .LBB1670_327
.LBB1670_293:                           ;   in Loop: Header=BB1670_236 Depth=2
	s_wait_alu 0xfffe
	s_or_b32 exec_lo, exec_lo, s44
	s_delay_alu instid0(SALU_CYCLE_1)
	s_mov_b32 s44, exec_lo
	v_cmpx_lt_u32_e64 v72, v2
	s_cbranch_execnz .LBB1670_328
.LBB1670_294:                           ;   in Loop: Header=BB1670_236 Depth=2
	s_wait_alu 0xfffe
	s_or_b32 exec_lo, exec_lo, s44
	s_delay_alu instid0(SALU_CYCLE_1)
	s_mov_b32 s44, exec_lo
	v_cmpx_lt_u32_e64 v73, v2
	s_cbranch_execnz .LBB1670_329
.LBB1670_295:                           ;   in Loop: Header=BB1670_236 Depth=2
	s_wait_alu 0xfffe
	s_or_b32 exec_lo, exec_lo, s44
	s_delay_alu instid0(SALU_CYCLE_1)
	s_mov_b32 s44, exec_lo
	v_cmpx_lt_u32_e64 v74, v2
	s_cbranch_execnz .LBB1670_330
.LBB1670_296:                           ;   in Loop: Header=BB1670_236 Depth=2
	s_wait_alu 0xfffe
	s_or_b32 exec_lo, exec_lo, s44
	s_delay_alu instid0(SALU_CYCLE_1)
	s_mov_b32 s44, exec_lo
	v_cmpx_lt_u32_e64 v75, v2
	s_cbranch_execnz .LBB1670_331
.LBB1670_297:                           ;   in Loop: Header=BB1670_236 Depth=2
	s_wait_alu 0xfffe
	s_or_b32 exec_lo, exec_lo, s44
	s_delay_alu instid0(SALU_CYCLE_1)
	s_mov_b32 s44, exec_lo
	v_cmpx_lt_u32_e64 v76, v2
	s_cbranch_execnz .LBB1670_332
.LBB1670_298:                           ;   in Loop: Header=BB1670_236 Depth=2
	s_wait_alu 0xfffe
	s_or_b32 exec_lo, exec_lo, s44
	s_delay_alu instid0(SALU_CYCLE_1)
	s_mov_b32 s44, exec_lo
	v_cmpx_lt_u32_e64 v77, v2
	s_cbranch_execnz .LBB1670_333
.LBB1670_299:                           ;   in Loop: Header=BB1670_236 Depth=2
	s_wait_alu 0xfffe
	s_or_b32 exec_lo, exec_lo, s44
	s_and_saveexec_b32 s22, s21
	s_cbranch_execnz .LBB1670_334
.LBB1670_300:                           ;   in Loop: Header=BB1670_236 Depth=2
	s_wait_alu 0xfffe
	s_or_b32 exec_lo, exec_lo, s22
	s_and_saveexec_b32 s22, s20
	s_cbranch_execnz .LBB1670_335
.LBB1670_301:                           ;   in Loop: Header=BB1670_236 Depth=2
	s_wait_alu 0xfffe
	s_or_b32 exec_lo, exec_lo, s22
	s_and_saveexec_b32 s22, s19
	s_cbranch_execnz .LBB1670_336
.LBB1670_302:                           ;   in Loop: Header=BB1670_236 Depth=2
	s_wait_alu 0xfffe
	s_or_b32 exec_lo, exec_lo, s22
	s_and_saveexec_b32 s22, s18
	s_cbranch_execnz .LBB1670_337
.LBB1670_303:                           ;   in Loop: Header=BB1670_236 Depth=2
	s_wait_alu 0xfffe
	s_or_b32 exec_lo, exec_lo, s22
	s_and_saveexec_b32 s22, s17
	s_cbranch_execnz .LBB1670_338
.LBB1670_304:                           ;   in Loop: Header=BB1670_236 Depth=2
	s_wait_alu 0xfffe
	s_or_b32 exec_lo, exec_lo, s22
	s_and_saveexec_b32 s22, s16
	s_cbranch_execnz .LBB1670_339
.LBB1670_305:                           ;   in Loop: Header=BB1670_236 Depth=2
	s_wait_alu 0xfffe
	s_or_b32 exec_lo, exec_lo, s22
	s_and_saveexec_b32 s22, s15
	s_cbranch_execnz .LBB1670_340
.LBB1670_306:                           ;   in Loop: Header=BB1670_236 Depth=2
	s_wait_alu 0xfffe
	s_or_b32 exec_lo, exec_lo, s22
	s_and_saveexec_b32 s22, vcc_lo
	s_cbranch_execz .LBB1670_308
.LBB1670_307:                           ;   in Loop: Header=BB1670_236 Depth=2
	ds_load_u8 v2, v1 offset:2816
	s_wait_dscnt 0x0
	v_lshrrev_b32_e32 v2, s30, v2
	s_delay_alu instid0(VALU_DEP_1)
	v_and_b32_e32 v86, s31, v2
.LBB1670_308:                           ;   in Loop: Header=BB1670_236 Depth=2
	s_wait_alu 0xfffe
	s_or_b32 exec_lo, exec_lo, s22
	v_lshlrev_b32_e32 v2, 3, v104
	v_lshlrev_b32_e32 v20, 3, v103
	;; [unrolled: 1-line block ×3, first 2 shown]
	s_wait_loadcnt 0x0
	s_wait_storecnt 0x0
	s_barrier_signal -1
	s_barrier_wait -1
	global_inv scope:SCOPE_SE
	ds_store_b64 v2, v[18:19] offset:1024
	ds_store_b64 v20, v[16:17] offset:1024
	;; [unrolled: 1-line block ×3, first 2 shown]
	v_lshlrev_b32_e32 v2, 3, v27
	v_lshlrev_b32_e32 v20, 3, v26
	;; [unrolled: 1-line block ×5, first 2 shown]
	ds_store_b64 v2, v[12:13] offset:1024
	ds_store_b64 v20, v[10:11] offset:1024
	;; [unrolled: 1-line block ×5, first 2 shown]
	s_wait_loadcnt_dscnt 0x0
	s_barrier_signal -1
	s_barrier_wait -1
	global_inv scope:SCOPE_SE
	s_and_saveexec_b32 s22, s21
	s_cbranch_execnz .LBB1670_341
; %bb.309:                              ;   in Loop: Header=BB1670_236 Depth=2
	s_wait_alu 0xfffe
	s_or_b32 exec_lo, exec_lo, s22
	s_and_saveexec_b32 s21, s20
	s_cbranch_execnz .LBB1670_342
.LBB1670_310:                           ;   in Loop: Header=BB1670_236 Depth=2
	s_wait_alu 0xfffe
	s_or_b32 exec_lo, exec_lo, s21
	s_and_saveexec_b32 s20, s19
	s_cbranch_execnz .LBB1670_343
.LBB1670_311:                           ;   in Loop: Header=BB1670_236 Depth=2
	s_wait_alu 0xfffe
	s_or_b32 exec_lo, exec_lo, s20
	s_and_saveexec_b32 s19, s18
	s_cbranch_execnz .LBB1670_344
.LBB1670_312:                           ;   in Loop: Header=BB1670_236 Depth=2
	s_wait_alu 0xfffe
	s_or_b32 exec_lo, exec_lo, s19
	s_and_saveexec_b32 s18, s17
	s_cbranch_execnz .LBB1670_345
.LBB1670_313:                           ;   in Loop: Header=BB1670_236 Depth=2
	s_wait_alu 0xfffe
	s_or_b32 exec_lo, exec_lo, s18
	s_and_saveexec_b32 s17, s16
	s_cbranch_execnz .LBB1670_346
.LBB1670_314:                           ;   in Loop: Header=BB1670_236 Depth=2
	s_wait_alu 0xfffe
	s_or_b32 exec_lo, exec_lo, s17
	s_and_saveexec_b32 s16, s15
	s_cbranch_execnz .LBB1670_347
.LBB1670_315:                           ;   in Loop: Header=BB1670_236 Depth=2
	s_wait_alu 0xfffe
	s_or_b32 exec_lo, exec_lo, s16
	s_and_saveexec_b32 s15, vcc_lo
	s_cbranch_execz .LBB1670_317
.LBB1670_316:                           ;   in Loop: Header=BB1670_236 Depth=2
	v_lshlrev_b32_e32 v2, 2, v86
	v_add_nc_u32_e32 v20, v1, v47
	ds_load_b32 v2, v2
	ds_load_b64 v[20:21], v20 offset:15360
	s_wait_dscnt 0x1
	v_add_nc_u32_e32 v2, v2, v37
	s_delay_alu instid0(VALU_DEP_1) | instskip(NEXT) | instid1(VALU_DEP_1)
	v_lshlrev_b64_e32 v[23:24], 3, v[2:3]
	v_add_co_u32 v23, vcc_lo, s26, v23
	s_wait_alu 0xfffd
	s_delay_alu instid0(VALU_DEP_2)
	v_add_co_ci_u32_e64 v24, null, s27, v24, vcc_lo
	s_wait_dscnt 0x0
	global_store_b64 v[23:24], v[20:21], off
.LBB1670_317:                           ;   in Loop: Header=BB1670_236 Depth=2
	s_wait_alu 0xfffe
	s_or_b32 exec_lo, exec_lo, s15
	s_wait_loadcnt 0x0
	s_wait_storecnt 0x0
	s_barrier_signal -1
	s_barrier_wait -1
	global_inv scope:SCOPE_SE
	s_and_saveexec_b32 s15, s2
	s_cbranch_execz .LBB1670_235
; %bb.318:                              ;   in Loop: Header=BB1670_236 Depth=2
	ds_load_b32 v2, v28
	s_wait_dscnt 0x0
	v_add_nc_u32_e32 v2, v2, v22
	ds_store_b32 v28, v2
	s_branch .LBB1670_235
.LBB1670_319:                           ;   in Loop: Header=BB1670_236 Depth=2
	ds_load_u8 v20, v1 offset:1024
	s_wait_dscnt 0x0
	v_and_b32_e32 v21, 1, v20
	s_delay_alu instid0(VALU_DEP_1) | instskip(NEXT) | instid1(VALU_DEP_1)
	v_lshrrev_b32_e32 v21, s30, v21
	v_and_b32_e32 v21, s31, v21
	s_delay_alu instid0(VALU_DEP_1)
	v_lshlrev_b32_e32 v21, 2, v21
	ds_load_b32 v21, v21
	s_wait_dscnt 0x0
	v_add_nc_u32_e32 v21, v21, v1
	global_store_b8 v21, v20, s[40:41]
	s_wait_alu 0xfffe
	s_or_b32 exec_lo, exec_lo, s15
	v_cmp_lt_u32_e64 s20, v29, v2
	s_and_saveexec_b32 s15, s20
	s_cbranch_execz .LBB1670_284
.LBB1670_320:                           ;   in Loop: Header=BB1670_236 Depth=2
	ds_load_u8 v20, v1 offset:1280
	s_wait_dscnt 0x0
	v_and_b32_e32 v21, 1, v20
	s_delay_alu instid0(VALU_DEP_1) | instskip(NEXT) | instid1(VALU_DEP_1)
	v_lshrrev_b32_e32 v21, s30, v21
	v_and_b32_e32 v21, s31, v21
	s_delay_alu instid0(VALU_DEP_1)
	v_lshlrev_b32_e32 v21, 2, v21
	ds_load_b32 v21, v21
	s_wait_dscnt 0x0
	v_add_nc_u32_e32 v21, v21, v29
	global_store_b8 v21, v20, s[40:41]
	s_wait_alu 0xfffe
	s_or_b32 exec_lo, exec_lo, s15
	v_cmp_lt_u32_e64 s19, v30, v2
	s_and_saveexec_b32 s15, s19
	s_cbranch_execz .LBB1670_285
.LBB1670_321:                           ;   in Loop: Header=BB1670_236 Depth=2
	ds_load_u8 v20, v1 offset:1536
	s_wait_dscnt 0x0
	v_and_b32_e32 v21, 1, v20
	s_delay_alu instid0(VALU_DEP_1) | instskip(NEXT) | instid1(VALU_DEP_1)
	v_lshrrev_b32_e32 v21, s30, v21
	v_and_b32_e32 v21, s31, v21
	s_delay_alu instid0(VALU_DEP_1)
	v_lshlrev_b32_e32 v21, 2, v21
	ds_load_b32 v21, v21
	s_wait_dscnt 0x0
	v_add_nc_u32_e32 v21, v21, v30
	global_store_b8 v21, v20, s[40:41]
	s_wait_alu 0xfffe
	s_or_b32 exec_lo, exec_lo, s15
	v_cmp_lt_u32_e64 s18, v31, v2
	s_and_saveexec_b32 s15, s18
	s_cbranch_execz .LBB1670_286
.LBB1670_322:                           ;   in Loop: Header=BB1670_236 Depth=2
	ds_load_u8 v20, v1 offset:1792
	s_wait_dscnt 0x0
	v_and_b32_e32 v21, 1, v20
	s_delay_alu instid0(VALU_DEP_1) | instskip(NEXT) | instid1(VALU_DEP_1)
	v_lshrrev_b32_e32 v21, s30, v21
	v_and_b32_e32 v21, s31, v21
	s_delay_alu instid0(VALU_DEP_1)
	v_lshlrev_b32_e32 v21, 2, v21
	ds_load_b32 v21, v21
	s_wait_dscnt 0x0
	v_add_nc_u32_e32 v21, v21, v31
	global_store_b8 v21, v20, s[40:41]
	s_wait_alu 0xfffe
	s_or_b32 exec_lo, exec_lo, s15
	v_cmp_lt_u32_e64 s17, v34, v2
	s_and_saveexec_b32 s15, s17
	s_cbranch_execz .LBB1670_287
.LBB1670_323:                           ;   in Loop: Header=BB1670_236 Depth=2
	ds_load_u8 v20, v1 offset:2048
	s_wait_dscnt 0x0
	v_and_b32_e32 v21, 1, v20
	s_delay_alu instid0(VALU_DEP_1) | instskip(NEXT) | instid1(VALU_DEP_1)
	v_lshrrev_b32_e32 v21, s30, v21
	v_and_b32_e32 v21, s31, v21
	s_delay_alu instid0(VALU_DEP_1)
	v_lshlrev_b32_e32 v21, 2, v21
	ds_load_b32 v21, v21
	s_wait_dscnt 0x0
	v_add_nc_u32_e32 v21, v21, v34
	global_store_b8 v21, v20, s[40:41]
	s_wait_alu 0xfffe
	s_or_b32 exec_lo, exec_lo, s15
	v_cmp_lt_u32_e64 s16, v35, v2
	s_and_saveexec_b32 s15, s16
	s_cbranch_execz .LBB1670_288
.LBB1670_324:                           ;   in Loop: Header=BB1670_236 Depth=2
	ds_load_u8 v20, v1 offset:2304
	s_wait_dscnt 0x0
	v_and_b32_e32 v21, 1, v20
	s_delay_alu instid0(VALU_DEP_1) | instskip(NEXT) | instid1(VALU_DEP_1)
	v_lshrrev_b32_e32 v21, s30, v21
	v_and_b32_e32 v21, s31, v21
	s_delay_alu instid0(VALU_DEP_1)
	v_lshlrev_b32_e32 v21, 2, v21
	ds_load_b32 v21, v21
	s_wait_dscnt 0x0
	v_add_nc_u32_e32 v21, v21, v35
	global_store_b8 v21, v20, s[40:41]
	s_wait_alu 0xfffe
	s_or_b32 exec_lo, exec_lo, s15
	v_cmp_lt_u32_e64 s15, v36, v2
	s_and_saveexec_b32 s44, s15
	s_cbranch_execz .LBB1670_289
.LBB1670_325:                           ;   in Loop: Header=BB1670_236 Depth=2
	ds_load_u8 v20, v1 offset:2560
	s_wait_dscnt 0x0
	v_and_b32_e32 v21, 1, v20
	s_delay_alu instid0(VALU_DEP_1) | instskip(NEXT) | instid1(VALU_DEP_1)
	v_lshrrev_b32_e32 v21, s30, v21
	v_and_b32_e32 v21, s31, v21
	s_delay_alu instid0(VALU_DEP_1)
	v_lshlrev_b32_e32 v21, 2, v21
	ds_load_b32 v21, v21
	s_wait_dscnt 0x0
	v_add_nc_u32_e32 v21, v21, v36
	global_store_b8 v21, v20, s[40:41]
	s_wait_alu 0xfffe
	s_or_b32 exec_lo, exec_lo, s44
	v_cmp_lt_u32_e32 vcc_lo, v37, v2
	s_and_saveexec_b32 s44, vcc_lo
	s_cbranch_execnz .LBB1670_290
	s_branch .LBB1670_291
.LBB1670_326:                           ;   in Loop: Header=BB1670_236 Depth=2
	global_load_b64 v[18:19], v[20:21], off
	s_wait_alu 0xfffe
	s_or_b32 exec_lo, exec_lo, s22
	s_delay_alu instid0(SALU_CYCLE_1)
	s_mov_b32 s44, exec_lo
	v_cmpx_lt_u32_e64 v71, v2
	s_cbranch_execz .LBB1670_293
.LBB1670_327:                           ;   in Loop: Header=BB1670_236 Depth=2
	global_load_b64 v[16:17], v[20:21], off offset:256
	s_wait_alu 0xfffe
	s_or_b32 exec_lo, exec_lo, s44
	s_delay_alu instid0(SALU_CYCLE_1)
	s_mov_b32 s44, exec_lo
	v_cmpx_lt_u32_e64 v72, v2
	s_cbranch_execz .LBB1670_294
.LBB1670_328:                           ;   in Loop: Header=BB1670_236 Depth=2
	global_load_b64 v[14:15], v[20:21], off offset:512
	s_wait_alu 0xfffe
	s_or_b32 exec_lo, exec_lo, s44
	s_delay_alu instid0(SALU_CYCLE_1)
	s_mov_b32 s44, exec_lo
	v_cmpx_lt_u32_e64 v73, v2
	s_cbranch_execz .LBB1670_295
.LBB1670_329:                           ;   in Loop: Header=BB1670_236 Depth=2
	global_load_b64 v[12:13], v[20:21], off offset:768
	s_wait_alu 0xfffe
	s_or_b32 exec_lo, exec_lo, s44
	s_delay_alu instid0(SALU_CYCLE_1)
	s_mov_b32 s44, exec_lo
	v_cmpx_lt_u32_e64 v74, v2
	s_cbranch_execz .LBB1670_296
.LBB1670_330:                           ;   in Loop: Header=BB1670_236 Depth=2
	global_load_b64 v[10:11], v[20:21], off offset:1024
	s_wait_alu 0xfffe
	s_or_b32 exec_lo, exec_lo, s44
	s_delay_alu instid0(SALU_CYCLE_1)
	s_mov_b32 s44, exec_lo
	v_cmpx_lt_u32_e64 v75, v2
	s_cbranch_execz .LBB1670_297
.LBB1670_331:                           ;   in Loop: Header=BB1670_236 Depth=2
	global_load_b64 v[8:9], v[20:21], off offset:1280
	s_wait_alu 0xfffe
	s_or_b32 exec_lo, exec_lo, s44
	s_delay_alu instid0(SALU_CYCLE_1)
	s_mov_b32 s44, exec_lo
	v_cmpx_lt_u32_e64 v76, v2
	s_cbranch_execz .LBB1670_298
.LBB1670_332:                           ;   in Loop: Header=BB1670_236 Depth=2
	global_load_b64 v[6:7], v[20:21], off offset:1536
	s_wait_alu 0xfffe
	s_or_b32 exec_lo, exec_lo, s44
	s_delay_alu instid0(SALU_CYCLE_1)
	s_mov_b32 s44, exec_lo
	v_cmpx_lt_u32_e64 v77, v2
	s_cbranch_execz .LBB1670_299
.LBB1670_333:                           ;   in Loop: Header=BB1670_236 Depth=2
	global_load_b64 v[4:5], v[20:21], off offset:1792
	s_wait_alu 0xfffe
	s_or_b32 exec_lo, exec_lo, s44
	s_and_saveexec_b32 s22, s21
	s_cbranch_execz .LBB1670_300
.LBB1670_334:                           ;   in Loop: Header=BB1670_236 Depth=2
	ds_load_u8 v2, v1 offset:1024
	s_wait_dscnt 0x0
	v_lshrrev_b32_e32 v2, s30, v2
	s_delay_alu instid0(VALU_DEP_1)
	v_and_b32_e32 v93, s31, v2
	s_wait_alu 0xfffe
	s_or_b32 exec_lo, exec_lo, s22
	s_and_saveexec_b32 s22, s20
	s_cbranch_execz .LBB1670_301
.LBB1670_335:                           ;   in Loop: Header=BB1670_236 Depth=2
	ds_load_u8 v2, v1 offset:1280
	s_wait_dscnt 0x0
	v_lshrrev_b32_e32 v2, s30, v2
	s_delay_alu instid0(VALU_DEP_1)
	v_and_b32_e32 v92, s31, v2
	s_wait_alu 0xfffe
	s_or_b32 exec_lo, exec_lo, s22
	s_and_saveexec_b32 s22, s19
	s_cbranch_execz .LBB1670_302
.LBB1670_336:                           ;   in Loop: Header=BB1670_236 Depth=2
	ds_load_u8 v2, v1 offset:1536
	s_wait_dscnt 0x0
	v_lshrrev_b32_e32 v2, s30, v2
	s_delay_alu instid0(VALU_DEP_1)
	v_and_b32_e32 v91, s31, v2
	s_wait_alu 0xfffe
	s_or_b32 exec_lo, exec_lo, s22
	s_and_saveexec_b32 s22, s18
	s_cbranch_execz .LBB1670_303
.LBB1670_337:                           ;   in Loop: Header=BB1670_236 Depth=2
	ds_load_u8 v2, v1 offset:1792
	s_wait_dscnt 0x0
	v_lshrrev_b32_e32 v2, s30, v2
	s_delay_alu instid0(VALU_DEP_1)
	v_and_b32_e32 v90, s31, v2
	s_wait_alu 0xfffe
	s_or_b32 exec_lo, exec_lo, s22
	s_and_saveexec_b32 s22, s17
	s_cbranch_execz .LBB1670_304
.LBB1670_338:                           ;   in Loop: Header=BB1670_236 Depth=2
	ds_load_u8 v2, v1 offset:2048
	s_wait_dscnt 0x0
	v_lshrrev_b32_e32 v2, s30, v2
	s_delay_alu instid0(VALU_DEP_1)
	v_and_b32_e32 v89, s31, v2
	s_wait_alu 0xfffe
	s_or_b32 exec_lo, exec_lo, s22
	s_and_saveexec_b32 s22, s16
	s_cbranch_execz .LBB1670_305
.LBB1670_339:                           ;   in Loop: Header=BB1670_236 Depth=2
	ds_load_u8 v2, v1 offset:2304
	s_wait_dscnt 0x0
	v_lshrrev_b32_e32 v2, s30, v2
	s_delay_alu instid0(VALU_DEP_1)
	v_and_b32_e32 v88, s31, v2
	s_wait_alu 0xfffe
	s_or_b32 exec_lo, exec_lo, s22
	s_and_saveexec_b32 s22, s15
	s_cbranch_execz .LBB1670_306
.LBB1670_340:                           ;   in Loop: Header=BB1670_236 Depth=2
	ds_load_u8 v2, v1 offset:2560
	s_wait_dscnt 0x0
	v_lshrrev_b32_e32 v2, s30, v2
	s_delay_alu instid0(VALU_DEP_1)
	v_and_b32_e32 v87, s31, v2
	s_wait_alu 0xfffe
	s_or_b32 exec_lo, exec_lo, s22
	s_and_saveexec_b32 s22, vcc_lo
	s_cbranch_execnz .LBB1670_307
	s_branch .LBB1670_308
.LBB1670_341:                           ;   in Loop: Header=BB1670_236 Depth=2
	v_lshlrev_b32_e32 v2, 2, v93
	v_add_nc_u32_e32 v20, v1, v47
	ds_load_b32 v2, v2
	ds_load_b64 v[20:21], v20 offset:1024
	s_wait_dscnt 0x1
	v_add_nc_u32_e32 v2, v2, v1
	s_delay_alu instid0(VALU_DEP_1) | instskip(NEXT) | instid1(VALU_DEP_1)
	v_lshlrev_b64_e32 v[23:24], 3, v[2:3]
	v_add_co_u32 v23, s21, s26, v23
	s_wait_alu 0xf1ff
	s_delay_alu instid0(VALU_DEP_2)
	v_add_co_ci_u32_e64 v24, null, s27, v24, s21
	s_wait_dscnt 0x0
	global_store_b64 v[23:24], v[20:21], off
	s_wait_alu 0xfffe
	s_or_b32 exec_lo, exec_lo, s22
	s_and_saveexec_b32 s21, s20
	s_cbranch_execz .LBB1670_310
.LBB1670_342:                           ;   in Loop: Header=BB1670_236 Depth=2
	v_lshlrev_b32_e32 v2, 2, v92
	v_add_nc_u32_e32 v20, v1, v47
	ds_load_b32 v2, v2
	ds_load_b64 v[20:21], v20 offset:3072
	s_wait_dscnt 0x1
	v_add_nc_u32_e32 v2, v2, v29
	s_delay_alu instid0(VALU_DEP_1) | instskip(NEXT) | instid1(VALU_DEP_1)
	v_lshlrev_b64_e32 v[23:24], 3, v[2:3]
	v_add_co_u32 v23, s20, s26, v23
	s_wait_alu 0xf1ff
	s_delay_alu instid0(VALU_DEP_2)
	v_add_co_ci_u32_e64 v24, null, s27, v24, s20
	s_wait_dscnt 0x0
	global_store_b64 v[23:24], v[20:21], off
	s_wait_alu 0xfffe
	s_or_b32 exec_lo, exec_lo, s21
	s_and_saveexec_b32 s20, s19
	s_cbranch_execz .LBB1670_311
.LBB1670_343:                           ;   in Loop: Header=BB1670_236 Depth=2
	v_lshlrev_b32_e32 v2, 2, v91
	v_add_nc_u32_e32 v20, v1, v47
	ds_load_b32 v2, v2
	ds_load_b64 v[20:21], v20 offset:5120
	s_wait_dscnt 0x1
	v_add_nc_u32_e32 v2, v2, v30
	s_delay_alu instid0(VALU_DEP_1) | instskip(NEXT) | instid1(VALU_DEP_1)
	v_lshlrev_b64_e32 v[23:24], 3, v[2:3]
	v_add_co_u32 v23, s19, s26, v23
	s_wait_alu 0xf1ff
	s_delay_alu instid0(VALU_DEP_2)
	v_add_co_ci_u32_e64 v24, null, s27, v24, s19
	s_wait_dscnt 0x0
	global_store_b64 v[23:24], v[20:21], off
	s_wait_alu 0xfffe
	s_or_b32 exec_lo, exec_lo, s20
	s_and_saveexec_b32 s19, s18
	s_cbranch_execz .LBB1670_312
.LBB1670_344:                           ;   in Loop: Header=BB1670_236 Depth=2
	v_lshlrev_b32_e32 v2, 2, v90
	v_add_nc_u32_e32 v20, v1, v47
	ds_load_b32 v2, v2
	ds_load_b64 v[20:21], v20 offset:7168
	s_wait_dscnt 0x1
	v_add_nc_u32_e32 v2, v2, v31
	s_delay_alu instid0(VALU_DEP_1) | instskip(NEXT) | instid1(VALU_DEP_1)
	v_lshlrev_b64_e32 v[23:24], 3, v[2:3]
	v_add_co_u32 v23, s18, s26, v23
	s_wait_alu 0xf1ff
	s_delay_alu instid0(VALU_DEP_2)
	v_add_co_ci_u32_e64 v24, null, s27, v24, s18
	s_wait_dscnt 0x0
	global_store_b64 v[23:24], v[20:21], off
	s_wait_alu 0xfffe
	s_or_b32 exec_lo, exec_lo, s19
	s_and_saveexec_b32 s18, s17
	s_cbranch_execz .LBB1670_313
.LBB1670_345:                           ;   in Loop: Header=BB1670_236 Depth=2
	v_lshlrev_b32_e32 v2, 2, v89
	v_add_nc_u32_e32 v20, v1, v47
	ds_load_b32 v2, v2
	ds_load_b64 v[20:21], v20 offset:9216
	s_wait_dscnt 0x1
	v_add_nc_u32_e32 v2, v2, v34
	s_delay_alu instid0(VALU_DEP_1) | instskip(NEXT) | instid1(VALU_DEP_1)
	v_lshlrev_b64_e32 v[23:24], 3, v[2:3]
	v_add_co_u32 v23, s17, s26, v23
	s_wait_alu 0xf1ff
	s_delay_alu instid0(VALU_DEP_2)
	v_add_co_ci_u32_e64 v24, null, s27, v24, s17
	s_wait_dscnt 0x0
	global_store_b64 v[23:24], v[20:21], off
	s_wait_alu 0xfffe
	s_or_b32 exec_lo, exec_lo, s18
	s_and_saveexec_b32 s17, s16
	s_cbranch_execz .LBB1670_314
.LBB1670_346:                           ;   in Loop: Header=BB1670_236 Depth=2
	v_lshlrev_b32_e32 v2, 2, v88
	v_add_nc_u32_e32 v20, v1, v47
	ds_load_b32 v2, v2
	ds_load_b64 v[20:21], v20 offset:11264
	s_wait_dscnt 0x1
	v_add_nc_u32_e32 v2, v2, v35
	s_delay_alu instid0(VALU_DEP_1) | instskip(NEXT) | instid1(VALU_DEP_1)
	v_lshlrev_b64_e32 v[23:24], 3, v[2:3]
	v_add_co_u32 v23, s16, s26, v23
	s_wait_alu 0xf1ff
	s_delay_alu instid0(VALU_DEP_2)
	v_add_co_ci_u32_e64 v24, null, s27, v24, s16
	s_wait_dscnt 0x0
	global_store_b64 v[23:24], v[20:21], off
	s_wait_alu 0xfffe
	s_or_b32 exec_lo, exec_lo, s17
	s_and_saveexec_b32 s16, s15
	s_cbranch_execz .LBB1670_315
.LBB1670_347:                           ;   in Loop: Header=BB1670_236 Depth=2
	v_lshlrev_b32_e32 v2, 2, v87
	v_add_nc_u32_e32 v20, v1, v47
	ds_load_b32 v2, v2
	ds_load_b64 v[20:21], v20 offset:13312
	s_wait_dscnt 0x1
	v_add_nc_u32_e32 v2, v2, v36
	s_delay_alu instid0(VALU_DEP_1) | instskip(NEXT) | instid1(VALU_DEP_1)
	v_lshlrev_b64_e32 v[23:24], 3, v[2:3]
	v_add_co_u32 v23, s15, s26, v23
	s_wait_alu 0xf1ff
	s_delay_alu instid0(VALU_DEP_2)
	v_add_co_ci_u32_e64 v24, null, s27, v24, s15
	s_wait_dscnt 0x0
	global_store_b64 v[23:24], v[20:21], off
	s_wait_alu 0xfffe
	s_or_b32 exec_lo, exec_lo, s16
	s_and_saveexec_b32 s15, vcc_lo
	s_cbranch_execnz .LBB1670_316
	s_branch .LBB1670_317
.LBB1670_348:                           ;   in Loop: Header=BB1670_20 Depth=1
	s_wait_loadcnt_dscnt 0x0
	s_barrier_signal -1
	s_barrier_wait -1
.LBB1670_349:                           ;   in Loop: Header=BB1670_20 Depth=1
	s_mov_b32 s0, 0
.LBB1670_350:                           ;   in Loop: Header=BB1670_20 Depth=1
	s_wait_alu 0xfffe
	s_and_not1_b32 vcc_lo, exec_lo, s0
	s_wait_alu 0xfffe
	s_cbranch_vccnz .LBB1670_19
; %bb.351:                              ;   in Loop: Header=BB1670_20 Depth=1
	s_and_b32 vcc_lo, exec_lo, s35
	s_mov_b32 s0, -1
	s_wait_alu 0xfffe
	s_cbranch_vccz .LBB1670_515
; %bb.352:                              ;   in Loop: Header=BB1670_20 Depth=1
	v_dual_mov_b32 v7, 0 :: v_dual_mov_b32 v10, 0
	v_dual_mov_b32 v9, 0 :: v_dual_mov_b32 v8, 0
	;; [unrolled: 1-line block ×3, first 2 shown]
	v_mov_b32_e32 v4, 0
	v_mov_b32_e32 v2, 0
	s_mov_b32 s9, s47
	s_mov_b32 s22, s33
	s_barrier_signal -1
	s_barrier_wait -1
	global_inv scope:SCOPE_SE
	s_branch .LBB1670_354
.LBB1670_353:                           ;   in Loop: Header=BB1670_354 Depth=2
	s_wait_alu 0xfffe
	s_or_b32 exec_lo, exec_lo, s0
	s_addk_co_i32 s9, 0xf800
	s_cmp_ge_u32 s10, s34
	s_mov_b32 s22, s10
	s_cbranch_scc1 .LBB1670_390
.LBB1670_354:                           ;   Parent Loop BB1670_20 Depth=1
                                        ; =>  This Inner Loop Header: Depth=2
	s_wait_alu 0xfffe
	s_add_co_i32 s10, s22, 0x800
	s_mov_b32 s0, -1
	s_wait_alu 0xfffe
	s_cmp_gt_u32 s10, s34
                                        ; implicit-def: $vgpr11
                                        ; implicit-def: $vgpr12
                                        ; implicit-def: $vgpr13
                                        ; implicit-def: $vgpr14
                                        ; implicit-def: $vgpr15
                                        ; implicit-def: $vgpr16
                                        ; implicit-def: $vgpr17
                                        ; implicit-def: $vgpr18
	s_cbranch_scc1 .LBB1670_356
; %bb.355:                              ;   in Loop: Header=BB1670_354 Depth=2
	v_add_co_u32 v19, vcc_lo, v54, s22
	s_wait_alu 0xfffd
	v_add_co_ci_u32_e64 v20, null, 0, v55, vcc_lo
	s_mov_b32 s0, 0
	s_clause 0x7
	global_load_u8 v18, v[19:20], off offset:1792
	global_load_u8 v17, v[19:20], off offset:1536
	;; [unrolled: 1-line block ×7, first 2 shown]
	global_load_u8 v11, v[19:20], off
.LBB1670_356:                           ;   in Loop: Header=BB1670_354 Depth=2
	s_wait_alu 0xfffe
	s_and_not1_b32 vcc_lo, exec_lo, s0
	s_movk_i32 s0, 0x800
	s_wait_alu 0xfffe
	s_cbranch_vccnz .LBB1670_367
; %bb.357:                              ;   in Loop: Header=BB1670_354 Depth=2
	s_add_nc_u64 s[0:1], s[36:37], s[22:23]
	s_mov_b32 s11, exec_lo
	v_cmpx_gt_u32_e64 s9, v1
	s_cbranch_execnz .LBB1670_383
; %bb.358:                              ;   in Loop: Header=BB1670_354 Depth=2
	s_wait_alu 0xfffe
	s_or_b32 exec_lo, exec_lo, s11
	s_delay_alu instid0(SALU_CYCLE_1)
	s_mov_b32 s11, exec_lo
	v_cmpx_gt_u32_e64 s9, v29
	s_cbranch_execnz .LBB1670_384
.LBB1670_359:                           ;   in Loop: Header=BB1670_354 Depth=2
	s_wait_alu 0xfffe
	s_or_b32 exec_lo, exec_lo, s11
	s_delay_alu instid0(SALU_CYCLE_1)
	s_mov_b32 s11, exec_lo
	v_cmpx_gt_u32_e64 s9, v30
	s_cbranch_execnz .LBB1670_385
.LBB1670_360:                           ;   in Loop: Header=BB1670_354 Depth=2
	s_wait_alu 0xfffe
	s_or_b32 exec_lo, exec_lo, s11
	s_delay_alu instid0(SALU_CYCLE_1)
	s_mov_b32 s11, exec_lo
	v_cmpx_gt_u32_e64 s9, v31
	s_cbranch_execnz .LBB1670_386
.LBB1670_361:                           ;   in Loop: Header=BB1670_354 Depth=2
	s_wait_alu 0xfffe
	s_or_b32 exec_lo, exec_lo, s11
	s_delay_alu instid0(SALU_CYCLE_1)
	s_mov_b32 s11, exec_lo
	v_cmpx_gt_u32_e64 s9, v34
	s_cbranch_execnz .LBB1670_387
.LBB1670_362:                           ;   in Loop: Header=BB1670_354 Depth=2
	s_wait_alu 0xfffe
	s_or_b32 exec_lo, exec_lo, s11
	s_delay_alu instid0(SALU_CYCLE_1)
	s_mov_b32 s11, exec_lo
	v_cmpx_gt_u32_e64 s9, v35
	s_cbranch_execnz .LBB1670_388
.LBB1670_363:                           ;   in Loop: Header=BB1670_354 Depth=2
	s_wait_alu 0xfffe
	s_or_b32 exec_lo, exec_lo, s11
	s_delay_alu instid0(SALU_CYCLE_1)
	s_mov_b32 s11, exec_lo
	v_cmpx_gt_u32_e64 s9, v36
	s_cbranch_execnz .LBB1670_389
.LBB1670_364:                           ;   in Loop: Header=BB1670_354 Depth=2
	s_wait_alu 0xfffe
	s_or_b32 exec_lo, exec_lo, s11
	s_delay_alu instid0(SALU_CYCLE_1)
	s_mov_b32 s11, exec_lo
	v_cmpx_gt_u32_e64 s9, v37
	s_cbranch_execz .LBB1670_366
.LBB1670_365:                           ;   in Loop: Header=BB1670_354 Depth=2
	s_wait_loadcnt 0x0
	v_add_co_u32 v11, s0, s0, v1
	s_wait_alu 0xf1ff
	v_add_co_ci_u32_e64 v12, null, s1, 0, s0
	global_load_u8 v2, v[11:12], off offset:1792
.LBB1670_366:                           ;   in Loop: Header=BB1670_354 Depth=2
	s_wait_alu 0xfffe
	s_or_b32 exec_lo, exec_lo, s11
	s_wait_loadcnt 0x0
	v_dual_mov_b32 v11, v7 :: v_dual_mov_b32 v12, v10
	v_dual_mov_b32 v13, v9 :: v_dual_mov_b32 v14, v8
	;; [unrolled: 1-line block ×4, first 2 shown]
	s_mov_b32 s0, s9
.LBB1670_367:                           ;   in Loop: Header=BB1670_354 Depth=2
	s_wait_loadcnt 0x5
	s_delay_alu instid0(VALU_DEP_1)
	v_dual_mov_b32 v2, v18 :: v_dual_mov_b32 v5, v16
	s_wait_loadcnt 0x2
	v_dual_mov_b32 v4, v17 :: v_dual_mov_b32 v9, v13
	s_wait_loadcnt 0x0
	v_dual_mov_b32 v6, v15 :: v_dual_mov_b32 v7, v11
	v_mov_b32_e32 v8, v14
	v_mov_b32_e32 v10, v12
	s_mov_b32 s1, exec_lo
	s_wait_alu 0xfffe
	v_cmpx_gt_u32_e64 s0, v1
	s_cbranch_execnz .LBB1670_375
; %bb.368:                              ;   in Loop: Header=BB1670_354 Depth=2
	s_or_b32 exec_lo, exec_lo, s1
	s_delay_alu instid0(SALU_CYCLE_1)
	s_mov_b32 s1, exec_lo
	v_cmpx_gt_u32_e64 s0, v29
	s_cbranch_execnz .LBB1670_376
.LBB1670_369:                           ;   in Loop: Header=BB1670_354 Depth=2
	s_wait_alu 0xfffe
	s_or_b32 exec_lo, exec_lo, s1
	s_delay_alu instid0(SALU_CYCLE_1)
	s_mov_b32 s1, exec_lo
	v_cmpx_gt_u32_e64 s0, v30
	s_cbranch_execnz .LBB1670_377
.LBB1670_370:                           ;   in Loop: Header=BB1670_354 Depth=2
	s_wait_alu 0xfffe
	s_or_b32 exec_lo, exec_lo, s1
	s_delay_alu instid0(SALU_CYCLE_1)
	s_mov_b32 s1, exec_lo
	v_cmpx_gt_u32_e64 s0, v31
	s_cbranch_execnz .LBB1670_378
.LBB1670_371:                           ;   in Loop: Header=BB1670_354 Depth=2
	s_wait_alu 0xfffe
	s_or_b32 exec_lo, exec_lo, s1
	s_delay_alu instid0(SALU_CYCLE_1)
	s_mov_b32 s1, exec_lo
	v_cmpx_gt_u32_e64 s0, v34
	s_cbranch_execnz .LBB1670_379
.LBB1670_372:                           ;   in Loop: Header=BB1670_354 Depth=2
	s_wait_alu 0xfffe
	s_or_b32 exec_lo, exec_lo, s1
	s_delay_alu instid0(SALU_CYCLE_1)
	s_mov_b32 s1, exec_lo
	v_cmpx_gt_u32_e64 s0, v35
	s_cbranch_execnz .LBB1670_380
.LBB1670_373:                           ;   in Loop: Header=BB1670_354 Depth=2
	s_wait_alu 0xfffe
	s_or_b32 exec_lo, exec_lo, s1
	s_delay_alu instid0(SALU_CYCLE_1)
	s_mov_b32 s1, exec_lo
	v_cmpx_gt_u32_e64 s0, v36
	s_cbranch_execnz .LBB1670_381
.LBB1670_374:                           ;   in Loop: Header=BB1670_354 Depth=2
	s_wait_alu 0xfffe
	s_or_b32 exec_lo, exec_lo, s1
	v_cmp_gt_u32_e32 vcc_lo, s0, v37
	s_and_saveexec_b32 s0, vcc_lo
	s_cbranch_execz .LBB1670_353
	s_branch .LBB1670_382
.LBB1670_375:                           ;   in Loop: Header=BB1670_354 Depth=2
	v_and_b32_e32 v11, 1, v7
	s_delay_alu instid0(VALU_DEP_1) | instskip(NEXT) | instid1(VALU_DEP_1)
	v_lshrrev_b32_e32 v11, s45, v11
	v_and_b32_e32 v11, s31, v11
	s_delay_alu instid0(VALU_DEP_1) | instskip(SKIP_2) | instid1(SALU_CYCLE_1)
	v_lshl_or_b32 v11, v11, 4, v39
	ds_add_u32 v11, v61
	s_or_b32 exec_lo, exec_lo, s1
	s_mov_b32 s1, exec_lo
	v_cmpx_gt_u32_e64 s0, v29
	s_cbranch_execz .LBB1670_369
.LBB1670_376:                           ;   in Loop: Header=BB1670_354 Depth=2
	v_and_b32_e32 v11, 1, v10
	s_delay_alu instid0(VALU_DEP_1) | instskip(NEXT) | instid1(VALU_DEP_1)
	v_lshrrev_b32_e32 v11, s45, v11
	v_and_b32_e32 v11, s31, v11
	s_delay_alu instid0(VALU_DEP_1) | instskip(SKIP_3) | instid1(SALU_CYCLE_1)
	v_lshl_or_b32 v11, v11, 4, v39
	ds_add_u32 v11, v61
	s_wait_alu 0xfffe
	s_or_b32 exec_lo, exec_lo, s1
	s_mov_b32 s1, exec_lo
	v_cmpx_gt_u32_e64 s0, v30
	s_cbranch_execz .LBB1670_370
.LBB1670_377:                           ;   in Loop: Header=BB1670_354 Depth=2
	v_and_b32_e32 v11, 1, v9
	s_delay_alu instid0(VALU_DEP_1) | instskip(NEXT) | instid1(VALU_DEP_1)
	v_lshrrev_b32_e32 v11, s45, v11
	v_and_b32_e32 v11, s31, v11
	s_delay_alu instid0(VALU_DEP_1) | instskip(SKIP_3) | instid1(SALU_CYCLE_1)
	v_lshl_or_b32 v11, v11, 4, v39
	ds_add_u32 v11, v61
	s_wait_alu 0xfffe
	s_or_b32 exec_lo, exec_lo, s1
	s_mov_b32 s1, exec_lo
	v_cmpx_gt_u32_e64 s0, v31
	s_cbranch_execz .LBB1670_371
.LBB1670_378:                           ;   in Loop: Header=BB1670_354 Depth=2
	v_and_b32_e32 v11, 1, v8
	s_delay_alu instid0(VALU_DEP_1) | instskip(NEXT) | instid1(VALU_DEP_1)
	v_lshrrev_b32_e32 v11, s45, v11
	v_and_b32_e32 v11, s31, v11
	s_delay_alu instid0(VALU_DEP_1) | instskip(SKIP_3) | instid1(SALU_CYCLE_1)
	v_lshl_or_b32 v11, v11, 4, v39
	ds_add_u32 v11, v61
	s_wait_alu 0xfffe
	s_or_b32 exec_lo, exec_lo, s1
	s_mov_b32 s1, exec_lo
	v_cmpx_gt_u32_e64 s0, v34
	s_cbranch_execz .LBB1670_372
.LBB1670_379:                           ;   in Loop: Header=BB1670_354 Depth=2
	v_and_b32_e32 v11, 1, v6
	s_delay_alu instid0(VALU_DEP_1) | instskip(NEXT) | instid1(VALU_DEP_1)
	v_lshrrev_b32_e32 v11, s45, v11
	v_and_b32_e32 v11, s31, v11
	s_delay_alu instid0(VALU_DEP_1) | instskip(SKIP_3) | instid1(SALU_CYCLE_1)
	v_lshl_or_b32 v11, v11, 4, v39
	ds_add_u32 v11, v61
	s_wait_alu 0xfffe
	s_or_b32 exec_lo, exec_lo, s1
	s_mov_b32 s1, exec_lo
	v_cmpx_gt_u32_e64 s0, v35
	s_cbranch_execz .LBB1670_373
.LBB1670_380:                           ;   in Loop: Header=BB1670_354 Depth=2
	v_and_b32_e32 v11, 1, v5
	s_delay_alu instid0(VALU_DEP_1) | instskip(NEXT) | instid1(VALU_DEP_1)
	v_lshrrev_b32_e32 v11, s45, v11
	v_and_b32_e32 v11, s31, v11
	s_delay_alu instid0(VALU_DEP_1) | instskip(SKIP_3) | instid1(SALU_CYCLE_1)
	v_lshl_or_b32 v11, v11, 4, v39
	ds_add_u32 v11, v61
	s_wait_alu 0xfffe
	s_or_b32 exec_lo, exec_lo, s1
	s_mov_b32 s1, exec_lo
	v_cmpx_gt_u32_e64 s0, v36
	s_cbranch_execz .LBB1670_374
.LBB1670_381:                           ;   in Loop: Header=BB1670_354 Depth=2
	v_and_b32_e32 v11, 1, v4
	s_delay_alu instid0(VALU_DEP_1) | instskip(NEXT) | instid1(VALU_DEP_1)
	v_lshrrev_b32_e32 v11, s45, v11
	v_and_b32_e32 v11, s31, v11
	s_delay_alu instid0(VALU_DEP_1)
	v_lshl_or_b32 v11, v11, 4, v39
	ds_add_u32 v11, v61
	s_wait_alu 0xfffe
	s_or_b32 exec_lo, exec_lo, s1
	v_cmp_gt_u32_e32 vcc_lo, s0, v37
	s_and_saveexec_b32 s0, vcc_lo
	s_cbranch_execz .LBB1670_353
.LBB1670_382:                           ;   in Loop: Header=BB1670_354 Depth=2
	v_and_b32_e32 v11, 1, v2
	s_delay_alu instid0(VALU_DEP_1) | instskip(NEXT) | instid1(VALU_DEP_1)
	v_lshrrev_b32_e32 v11, s45, v11
	v_and_b32_e32 v11, s31, v11
	s_delay_alu instid0(VALU_DEP_1)
	v_lshl_or_b32 v11, v11, 4, v39
	ds_add_u32 v11, v61
	s_branch .LBB1670_353
.LBB1670_383:                           ;   in Loop: Header=BB1670_354 Depth=2
	s_wait_loadcnt 0x0
	s_wait_alu 0xfffe
	v_add_co_u32 v11, s12, s0, v1
	s_wait_alu 0xf1ff
	v_add_co_ci_u32_e64 v12, null, s1, 0, s12
	global_load_u8 v7, v[11:12], off
	s_or_b32 exec_lo, exec_lo, s11
	s_delay_alu instid0(SALU_CYCLE_1)
	s_mov_b32 s11, exec_lo
	v_cmpx_gt_u32_e64 s9, v29
	s_cbranch_execz .LBB1670_359
.LBB1670_384:                           ;   in Loop: Header=BB1670_354 Depth=2
	v_add_co_u32 v10, s12, s0, v1
	s_wait_loadcnt 0x0
	s_wait_alu 0xf1ff
	v_add_co_ci_u32_e64 v11, null, s1, 0, s12
	global_load_u8 v10, v[10:11], off offset:256
	s_wait_alu 0xfffe
	s_or_b32 exec_lo, exec_lo, s11
	s_delay_alu instid0(SALU_CYCLE_1)
	s_mov_b32 s11, exec_lo
	v_cmpx_gt_u32_e64 s9, v30
	s_cbranch_execz .LBB1670_360
.LBB1670_385:                           ;   in Loop: Header=BB1670_354 Depth=2
	s_wait_loadcnt 0x0
	v_add_co_u32 v11, s12, s0, v1
	s_wait_alu 0xf1ff
	v_add_co_ci_u32_e64 v12, null, s1, 0, s12
	global_load_u8 v9, v[11:12], off offset:512
	s_wait_alu 0xfffe
	s_or_b32 exec_lo, exec_lo, s11
	s_delay_alu instid0(SALU_CYCLE_1)
	s_mov_b32 s11, exec_lo
	v_cmpx_gt_u32_e64 s9, v31
	s_cbranch_execz .LBB1670_361
.LBB1670_386:                           ;   in Loop: Header=BB1670_354 Depth=2
	s_wait_loadcnt 0x0
	v_add_co_u32 v11, s12, s0, v1
	s_wait_alu 0xf1ff
	v_add_co_ci_u32_e64 v12, null, s1, 0, s12
	global_load_u8 v8, v[11:12], off offset:768
	s_wait_alu 0xfffe
	s_or_b32 exec_lo, exec_lo, s11
	s_delay_alu instid0(SALU_CYCLE_1)
	s_mov_b32 s11, exec_lo
	v_cmpx_gt_u32_e64 s9, v34
	s_cbranch_execz .LBB1670_362
.LBB1670_387:                           ;   in Loop: Header=BB1670_354 Depth=2
	s_wait_loadcnt 0x0
	v_add_co_u32 v11, s12, s0, v1
	s_wait_alu 0xf1ff
	v_add_co_ci_u32_e64 v12, null, s1, 0, s12
	global_load_u8 v6, v[11:12], off offset:1024
	s_wait_alu 0xfffe
	s_or_b32 exec_lo, exec_lo, s11
	s_delay_alu instid0(SALU_CYCLE_1)
	s_mov_b32 s11, exec_lo
	v_cmpx_gt_u32_e64 s9, v35
	s_cbranch_execz .LBB1670_363
.LBB1670_388:                           ;   in Loop: Header=BB1670_354 Depth=2
	s_wait_loadcnt 0x0
	v_add_co_u32 v11, s12, s0, v1
	s_wait_alu 0xf1ff
	v_add_co_ci_u32_e64 v12, null, s1, 0, s12
	global_load_u8 v5, v[11:12], off offset:1280
	s_wait_alu 0xfffe
	s_or_b32 exec_lo, exec_lo, s11
	s_delay_alu instid0(SALU_CYCLE_1)
	s_mov_b32 s11, exec_lo
	v_cmpx_gt_u32_e64 s9, v36
	s_cbranch_execz .LBB1670_364
.LBB1670_389:                           ;   in Loop: Header=BB1670_354 Depth=2
	s_wait_loadcnt 0x0
	v_add_co_u32 v11, s12, s0, v1
	s_wait_alu 0xf1ff
	v_add_co_ci_u32_e64 v12, null, s1, 0, s12
	global_load_u8 v4, v[11:12], off offset:1536
	s_wait_alu 0xfffe
	s_or_b32 exec_lo, exec_lo, s11
	s_delay_alu instid0(SALU_CYCLE_1)
	s_mov_b32 s11, exec_lo
	v_cmpx_gt_u32_e64 s9, v37
	s_cbranch_execnz .LBB1670_365
	s_branch .LBB1670_366
.LBB1670_390:                           ;   in Loop: Header=BB1670_20 Depth=1
	v_mov_b32_e32 v2, 0
	s_wait_dscnt 0x0
	s_barrier_signal -1
	s_barrier_wait -1
	global_inv scope:SCOPE_SE
	s_and_saveexec_b32 s0, s2
	s_cbranch_execz .LBB1670_392
; %bb.391:                              ;   in Loop: Header=BB1670_20 Depth=1
	ds_load_2addr_b64 v[4:7], v40 offset1:1
	s_wait_dscnt 0x0
	v_add_nc_u32_e32 v2, v5, v4
	s_delay_alu instid0(VALU_DEP_1)
	v_add3_u32 v2, v2, v6, v7
.LBB1670_392:                           ;   in Loop: Header=BB1670_20 Depth=1
	s_wait_alu 0xfffe
	s_or_b32 exec_lo, exec_lo, s0
	s_delay_alu instid0(VALU_DEP_1)
	v_mov_b32_dpp v4, v2 row_shr:1 row_mask:0xf bank_mask:0xf
	v_cmp_eq_u32_e64 s0, 0, v62
	v_cmp_lt_u32_e64 s1, 1, v62
	v_cmp_lt_u32_e64 s9, 3, v62
	;; [unrolled: 1-line block ×3, first 2 shown]
	v_cmp_eq_u32_e64 s11, 0, v64
	s_wait_alu 0xf1ff
	v_cndmask_b32_e64 v4, v4, 0, s0
	s_delay_alu instid0(VALU_DEP_1) | instskip(NEXT) | instid1(VALU_DEP_1)
	v_add_nc_u32_e32 v2, v4, v2
	v_mov_b32_dpp v4, v2 row_shr:2 row_mask:0xf bank_mask:0xf
	s_delay_alu instid0(VALU_DEP_1) | instskip(NEXT) | instid1(VALU_DEP_1)
	v_cndmask_b32_e64 v4, 0, v4, s1
	v_add_nc_u32_e32 v2, v2, v4
	s_delay_alu instid0(VALU_DEP_1) | instskip(NEXT) | instid1(VALU_DEP_1)
	v_mov_b32_dpp v4, v2 row_shr:4 row_mask:0xf bank_mask:0xf
	v_cndmask_b32_e64 v4, 0, v4, s9
	s_delay_alu instid0(VALU_DEP_1) | instskip(NEXT) | instid1(VALU_DEP_1)
	v_add_nc_u32_e32 v2, v2, v4
	v_mov_b32_dpp v4, v2 row_shr:8 row_mask:0xf bank_mask:0xf
	s_delay_alu instid0(VALU_DEP_1) | instskip(NEXT) | instid1(VALU_DEP_1)
	v_cndmask_b32_e64 v4, 0, v4, s10
	v_add_nc_u32_e32 v2, v2, v4
	ds_swizzle_b32 v4, v2 offset:swizzle(BROADCAST,32,15)
	s_wait_dscnt 0x0
	v_and_b32_e32 v4, v63, v4
	s_delay_alu instid0(VALU_DEP_1)
	v_add_nc_u32_e32 v2, v2, v4
	s_and_saveexec_b32 s12, s3
; %bb.393:                              ;   in Loop: Header=BB1670_20 Depth=1
	ds_store_b32 v41, v2
; %bb.394:                              ;   in Loop: Header=BB1670_20 Depth=1
	s_wait_alu 0xfffe
	s_or_b32 exec_lo, exec_lo, s12
	s_wait_loadcnt_dscnt 0x0
	s_barrier_signal -1
	s_barrier_wait -1
	global_inv scope:SCOPE_SE
	s_and_saveexec_b32 s12, s4
	s_cbranch_execz .LBB1670_396
; %bb.395:                              ;   in Loop: Header=BB1670_20 Depth=1
	ds_load_b32 v4, v42
	v_cmp_ne_u32_e32 vcc_lo, 0, v65
	s_wait_dscnt 0x0
	v_mov_b32_dpp v5, v4 row_shr:1 row_mask:0xf bank_mask:0xf
	s_wait_alu 0xfffd
	s_delay_alu instid0(VALU_DEP_1) | instskip(SKIP_1) | instid1(VALU_DEP_2)
	v_cndmask_b32_e32 v5, 0, v5, vcc_lo
	v_cmp_lt_u32_e32 vcc_lo, 1, v65
	v_add_nc_u32_e32 v4, v5, v4
	s_delay_alu instid0(VALU_DEP_1) | instskip(SKIP_1) | instid1(VALU_DEP_1)
	v_mov_b32_dpp v5, v4 row_shr:2 row_mask:0xf bank_mask:0xf
	s_wait_alu 0xfffd
	v_cndmask_b32_e32 v5, 0, v5, vcc_lo
	v_cmp_lt_u32_e32 vcc_lo, 3, v65
	s_delay_alu instid0(VALU_DEP_2) | instskip(NEXT) | instid1(VALU_DEP_1)
	v_add_nc_u32_e32 v4, v4, v5
	v_mov_b32_dpp v5, v4 row_shr:4 row_mask:0xf bank_mask:0xf
	s_wait_alu 0xfffd
	s_delay_alu instid0(VALU_DEP_1) | instskip(NEXT) | instid1(VALU_DEP_1)
	v_cndmask_b32_e32 v5, 0, v5, vcc_lo
	v_add_nc_u32_e32 v4, v4, v5
	ds_store_b32 v42, v4
.LBB1670_396:                           ;   in Loop: Header=BB1670_20 Depth=1
	s_wait_alu 0xfffe
	s_or_b32 exec_lo, exec_lo, s12
	v_mov_b32_e32 v4, 0
	s_wait_loadcnt_dscnt 0x0
	s_barrier_signal -1
	s_barrier_wait -1
	global_inv scope:SCOPE_SE
	s_and_saveexec_b32 s12, s5
; %bb.397:                              ;   in Loop: Header=BB1670_20 Depth=1
	ds_load_b32 v4, v43
; %bb.398:                              ;   in Loop: Header=BB1670_20 Depth=1
	s_wait_alu 0xfffe
	s_or_b32 exec_lo, exec_lo, s12
	v_cmp_gt_i32_e32 vcc_lo, 0, v67
	s_wait_dscnt 0x0
	v_add_nc_u32_e32 v2, v4, v2
	s_wait_loadcnt 0x0
	s_barrier_signal -1
	s_barrier_wait -1
	s_wait_alu 0xfffd
	v_cndmask_b32_e32 v5, v67, v58, vcc_lo
	global_inv scope:SCOPE_SE
	v_lshlrev_b32_e32 v80, 2, v5
	ds_bpermute_b32 v2, v80, v2
	s_and_saveexec_b32 s12, s2
	s_cbranch_execz .LBB1670_400
; %bb.399:                              ;   in Loop: Header=BB1670_20 Depth=1
	s_wait_dscnt 0x0
	v_cndmask_b32_e64 v2, v2, v4, s8
	s_delay_alu instid0(VALU_DEP_1)
	v_add_nc_u32_e32 v2, s33, v2
	ds_store_b32 v28, v2
.LBB1670_400:                           ;   in Loop: Header=BB1670_20 Depth=1
	s_wait_alu 0xfffe
	s_or_b32 exec_lo, exec_lo, s12
	s_load_b64 s[12:13], s[28:29], 0x0
	v_add_co_u32 v81, vcc_lo, v56, v66
	s_wait_alu 0xfffd
	v_add_co_ci_u32_e64 v82, null, 0, v57, vcc_lo
	v_add_co_u32 v83, vcc_lo, v59, v58
	s_wait_alu 0xfffd
	v_add_co_ci_u32_e64 v84, null, 0, v60, vcc_lo
	s_mov_b32 s42, s47
                                        ; implicit-def: $vgpr6_vgpr7
                                        ; implicit-def: $vgpr8_vgpr9
                                        ; implicit-def: $vgpr10_vgpr11
                                        ; implicit-def: $vgpr12_vgpr13
                                        ; implicit-def: $vgpr14_vgpr15
                                        ; implicit-def: $vgpr16_vgpr17
                                        ; implicit-def: $vgpr18_vgpr19
                                        ; implicit-def: $vgpr86
                                        ; implicit-def: $vgpr87
                                        ; implicit-def: $vgpr88
                                        ; implicit-def: $vgpr89
                                        ; implicit-def: $vgpr90
                                        ; implicit-def: $vgpr91
                                        ; implicit-def: $vgpr92
                                        ; implicit-def: $vgpr93
	s_wait_kmcnt 0x0
	s_cmp_lt_u32 ttmp7, s13
	s_cselect_b32 s22, 14, 20
	s_cmp_lt_u32 ttmp9, s12
	s_wait_alu 0xfffe
	s_add_nc_u64 s[14:15], s[28:29], s[22:23]
	s_cselect_b32 s22, 12, 18
	s_load_u16 s14, s[14:15], 0x0
	s_add_nc_u64 s[12:13], s[28:29], s[22:23]
	s_mov_b32 s22, s33
	s_load_u16 s12, s[12:13], 0x0
	v_cmp_lt_u32_e64 s13, 1, v65
	s_wait_dscnt 0x0
	s_wait_kmcnt 0x0
	v_mad_u32_u24 v2, v44, s14, v0
	v_cmp_lt_u32_e64 s14, 3, v65
	s_delay_alu instid0(VALU_DEP_2) | instskip(SKIP_1) | instid1(VALU_DEP_2)
	v_mad_co_u64_u32 v[4:5], null, v2, s12, v[1:2]
	v_cmp_eq_u32_e64 s12, 0, v65
	v_lshrrev_b32_e32 v2, 3, v4
                                        ; implicit-def: $vgpr4_vgpr5
	s_delay_alu instid0(VALU_DEP_1)
	v_and_b32_e32 v85, 0x1ffffffc, v2
	s_branch .LBB1670_402
.LBB1670_401:                           ;   in Loop: Header=BB1670_402 Depth=2
	s_wait_alu 0xfffe
	s_or_b32 exec_lo, exec_lo, s15
	s_addk_co_i32 s42, 0xf800
	s_cmp_lt_u32 s43, s34
	s_mov_b32 s22, s43
	s_cbranch_scc0 .LBB1670_514
.LBB1670_402:                           ;   Parent Loop BB1670_20 Depth=1
                                        ; =>  This Inner Loop Header: Depth=2
	s_wait_alu 0xfffe
	s_add_co_i32 s43, s22, 0x800
	s_wait_alu 0xfffe
	s_cmp_gt_u32 s43, s34
	s_cbranch_scc1 .LBB1670_404
; %bb.403:                              ;   in Loop: Header=BB1670_402 Depth=2
	v_add_co_u32 v20, vcc_lo, v83, s22
	s_wait_alu 0xfffd
	v_add_co_ci_u32_e64 v21, null, 0, v84, vcc_lo
	s_mov_b32 s15, -1
	s_clause 0x6
	global_load_u8 v94, v[20:21], off
	global_load_u8 v95, v[20:21], off offset:32
	global_load_u8 v96, v[20:21], off offset:64
	;; [unrolled: 1-line block ×6, first 2 shown]
	s_movk_i32 s16, 0x800
	s_cbranch_execz .LBB1670_405
	s_branch .LBB1670_420
.LBB1670_404:                           ;   in Loop: Header=BB1670_402 Depth=2
	s_mov_b32 s15, 0
                                        ; implicit-def: $vgpr94
                                        ; implicit-def: $vgpr95
                                        ; implicit-def: $vgpr96
                                        ; implicit-def: $vgpr97
                                        ; implicit-def: $vgpr98
                                        ; implicit-def: $vgpr99
                                        ; implicit-def: $vgpr100
	s_movk_i32 s16, 0x800
.LBB1670_405:                           ;   in Loop: Header=BB1670_402 Depth=2
	v_add_co_u32 v20, vcc_lo, v83, s22
	s_wait_alu 0xfffd
	v_add_co_ci_u32_e64 v21, null, 0, v84, vcc_lo
	s_wait_loadcnt 0x5
	v_dual_mov_b32 v95, 1 :: v_dual_mov_b32 v94, 1
	s_mov_b32 s15, exec_lo
	v_cmpx_gt_u32_e64 s42, v68
	s_cbranch_execz .LBB1670_407
; %bb.406:                              ;   in Loop: Header=BB1670_402 Depth=2
	global_load_u8 v94, v[20:21], off
.LBB1670_407:                           ;   in Loop: Header=BB1670_402 Depth=2
	s_wait_alu 0xfffe
	s_or_b32 exec_lo, exec_lo, s15
	s_delay_alu instid0(SALU_CYCLE_1)
	s_mov_b32 s15, exec_lo
	v_cmpx_gt_u32_e64 s42, v71
	s_cbranch_execz .LBB1670_409
; %bb.408:                              ;   in Loop: Header=BB1670_402 Depth=2
	global_load_u8 v95, v[20:21], off offset:32
.LBB1670_409:                           ;   in Loop: Header=BB1670_402 Depth=2
	s_wait_alu 0xfffe
	s_or_b32 exec_lo, exec_lo, s15
	s_wait_loadcnt 0x3
	v_dual_mov_b32 v97, 1 :: v_dual_mov_b32 v96, 1
	s_mov_b32 s15, exec_lo
	v_cmpx_gt_u32_e64 s42, v72
	s_cbranch_execz .LBB1670_411
; %bb.410:                              ;   in Loop: Header=BB1670_402 Depth=2
	global_load_u8 v96, v[20:21], off offset:64
.LBB1670_411:                           ;   in Loop: Header=BB1670_402 Depth=2
	s_wait_alu 0xfffe
	s_or_b32 exec_lo, exec_lo, s15
	s_delay_alu instid0(SALU_CYCLE_1)
	s_mov_b32 s15, exec_lo
	v_cmpx_gt_u32_e64 s42, v73
	s_cbranch_execz .LBB1670_413
; %bb.412:                              ;   in Loop: Header=BB1670_402 Depth=2
	global_load_u8 v97, v[20:21], off offset:96
.LBB1670_413:                           ;   in Loop: Header=BB1670_402 Depth=2
	s_wait_alu 0xfffe
	s_or_b32 exec_lo, exec_lo, s15
	s_wait_loadcnt 0x1
	v_dual_mov_b32 v99, 1 :: v_dual_mov_b32 v98, 1
	s_mov_b32 s15, exec_lo
	v_cmpx_gt_u32_e64 s42, v74
	s_cbranch_execz .LBB1670_415
; %bb.414:                              ;   in Loop: Header=BB1670_402 Depth=2
	global_load_u8 v98, v[20:21], off offset:128
.LBB1670_415:                           ;   in Loop: Header=BB1670_402 Depth=2
	s_wait_alu 0xfffe
	s_or_b32 exec_lo, exec_lo, s15
	s_delay_alu instid0(SALU_CYCLE_1)
	s_mov_b32 s15, exec_lo
	v_cmpx_gt_u32_e64 s42, v75
	s_cbranch_execz .LBB1670_417
; %bb.416:                              ;   in Loop: Header=BB1670_402 Depth=2
	global_load_u8 v99, v[20:21], off offset:160
.LBB1670_417:                           ;   in Loop: Header=BB1670_402 Depth=2
	s_wait_alu 0xfffe
	s_or_b32 exec_lo, exec_lo, s15
	s_wait_loadcnt 0x0
	v_mov_b32_e32 v100, 1
	s_mov_b32 s15, exec_lo
	v_cmpx_gt_u32_e64 s42, v76
	s_cbranch_execz .LBB1670_419
; %bb.418:                              ;   in Loop: Header=BB1670_402 Depth=2
	global_load_u8 v100, v[20:21], off offset:192
.LBB1670_419:                           ;   in Loop: Header=BB1670_402 Depth=2
	s_wait_alu 0xfffe
	s_or_b32 exec_lo, exec_lo, s15
	v_cmp_gt_u32_e64 s15, s42, v77
	s_sub_co_i32 s16, s34, s22
.LBB1670_420:                           ;   in Loop: Header=BB1670_402 Depth=2
	v_dual_mov_b32 v101, 1 :: v_dual_mov_b32 v2, s42
	s_wait_alu 0xfffe
	s_and_saveexec_b32 s17, s15
	s_cbranch_execz .LBB1670_422
; %bb.421:                              ;   in Loop: Header=BB1670_402 Depth=2
	v_add_co_u32 v20, vcc_lo, v83, s22
	s_wait_alu 0xfffd
	v_add_co_ci_u32_e64 v21, null, s23, v84, vcc_lo
	v_mov_b32_e32 v2, s16
	global_load_u8 v101, v[20:21], off offset:224
.LBB1670_422:                           ;   in Loop: Header=BB1670_402 Depth=2
	s_wait_alu 0xfffe
	s_or_b32 exec_lo, exec_lo, s17
	s_wait_loadcnt 0x6
	v_and_b32_e32 v20, 0xff, v94
	v_add_nc_u32_e32 v103, 0x438, v45
	v_add_nc_u32_e32 v104, 0x420, v45
	;; [unrolled: 1-line block ×4, first 2 shown]
	v_lshrrev_b32_e32 v20, s45, v20
	ds_store_2addr_b32 v103, v3, v3 offset1:1
	ds_store_2addr_b32 v104, v3, v3 offset1:1
	;; [unrolled: 1-line block ×4, first 2 shown]
	ds_store_b32 v45, v3 offset:1088
	s_wait_loadcnt_dscnt 0x0
	s_barrier_signal -1
	v_and_b32_e32 v21, s31, v20
	s_barrier_wait -1
	global_inv scope:SCOPE_SE
	; wave barrier
	v_add_co_u32 v20, s15, v21, -1
	s_wait_alu 0xf1ff
	v_cndmask_b32_e64 v22, 0, 1, s15
	v_mul_u32_u24_e32 v21, 36, v21
	s_delay_alu instid0(VALU_DEP_2) | instskip(NEXT) | instid1(VALU_DEP_2)
	v_cmp_ne_u32_e32 vcc_lo, 0, v22
	v_add_nc_u32_e32 v108, v85, v21
	s_wait_alu 0xfffd
	v_xor_b32_e32 v20, vcc_lo, v20
	s_delay_alu instid0(VALU_DEP_1) | instskip(NEXT) | instid1(VALU_DEP_1)
	v_and_b32_e32 v20, exec_lo, v20
	v_mbcnt_lo_u32_b32 v102, v20, 0
	v_cmp_ne_u32_e64 s15, 0, v20
	s_delay_alu instid0(VALU_DEP_2)
	v_cmp_eq_u32_e32 vcc_lo, 0, v102
	s_and_b32 s16, s15, vcc_lo
	s_wait_alu 0xfffe
	s_and_saveexec_b32 s15, s16
; %bb.423:                              ;   in Loop: Header=BB1670_402 Depth=2
	v_bcnt_u32_b32 v20, v20, 0
	ds_store_b32 v108, v20 offset:1056
; %bb.424:                              ;   in Loop: Header=BB1670_402 Depth=2
	s_wait_alu 0xfffe
	s_or_b32 exec_lo, exec_lo, s15
	v_and_b32_e32 v20, 0xff, v95
	; wave barrier
	s_delay_alu instid0(VALU_DEP_1) | instskip(NEXT) | instid1(VALU_DEP_1)
	v_lshrrev_b32_e32 v20, s45, v20
	v_and_b32_e32 v21, s31, v20
	s_delay_alu instid0(VALU_DEP_1) | instskip(SKIP_2) | instid1(VALU_DEP_1)
	v_add_co_u32 v20, s15, v21, -1
	s_wait_alu 0xf1ff
	v_cndmask_b32_e64 v22, 0, 1, s15
	v_cmp_ne_u32_e32 vcc_lo, 0, v22
	v_mad_u32_u24 v22, v21, 36, v85
	v_mul_u32_u24_e32 v21, 36, v21
	s_wait_alu 0xfffd
	v_xor_b32_e32 v20, vcc_lo, v20
	ds_load_b32 v107, v22 offset:1056
	v_add_nc_u32_e32 v112, v85, v21
	; wave barrier
	v_and_b32_e32 v20, exec_lo, v20
	s_delay_alu instid0(VALU_DEP_1) | instskip(SKIP_1) | instid1(VALU_DEP_2)
	v_mbcnt_lo_u32_b32 v109, v20, 0
	v_cmp_ne_u32_e64 s15, 0, v20
	v_cmp_eq_u32_e32 vcc_lo, 0, v109
	s_and_b32 s16, s15, vcc_lo
	s_wait_alu 0xfffe
	s_and_saveexec_b32 s15, s16
	s_cbranch_execz .LBB1670_426
; %bb.425:                              ;   in Loop: Header=BB1670_402 Depth=2
	s_wait_dscnt 0x0
	v_bcnt_u32_b32 v20, v20, v107
	ds_store_b32 v112, v20 offset:1056
.LBB1670_426:                           ;   in Loop: Header=BB1670_402 Depth=2
	s_wait_alu 0xfffe
	s_or_b32 exec_lo, exec_lo, s15
	v_and_b32_e32 v20, 0xff, v96
	; wave barrier
	s_delay_alu instid0(VALU_DEP_1) | instskip(NEXT) | instid1(VALU_DEP_1)
	v_lshrrev_b32_e32 v20, s45, v20
	v_and_b32_e32 v21, s31, v20
	s_delay_alu instid0(VALU_DEP_1) | instskip(SKIP_2) | instid1(VALU_DEP_1)
	v_add_co_u32 v20, s15, v21, -1
	s_wait_alu 0xf1ff
	v_cndmask_b32_e64 v22, 0, 1, s15
	v_cmp_ne_u32_e32 vcc_lo, 0, v22
	v_mad_u32_u24 v22, v21, 36, v85
	v_mul_u32_u24_e32 v21, 36, v21
	s_wait_alu 0xfffd
	v_xor_b32_e32 v20, vcc_lo, v20
	ds_load_b32 v110, v22 offset:1056
	v_add_nc_u32_e32 v115, v85, v21
	; wave barrier
	v_and_b32_e32 v20, exec_lo, v20
	s_delay_alu instid0(VALU_DEP_1) | instskip(SKIP_1) | instid1(VALU_DEP_2)
	v_mbcnt_lo_u32_b32 v111, v20, 0
	v_cmp_ne_u32_e64 s15, 0, v20
	v_cmp_eq_u32_e32 vcc_lo, 0, v111
	s_and_b32 s16, s15, vcc_lo
	s_wait_alu 0xfffe
	s_and_saveexec_b32 s15, s16
	s_cbranch_execz .LBB1670_428
; %bb.427:                              ;   in Loop: Header=BB1670_402 Depth=2
	s_wait_dscnt 0x0
	v_bcnt_u32_b32 v20, v20, v110
	ds_store_b32 v115, v20 offset:1056
.LBB1670_428:                           ;   in Loop: Header=BB1670_402 Depth=2
	;; [unrolled: 33-line block ×7, first 2 shown]
	s_wait_alu 0xfffe
	s_or_b32 exec_lo, exec_lo, s15
	; wave barrier
	s_wait_loadcnt_dscnt 0x0
	s_barrier_signal -1
	s_barrier_wait -1
	global_inv scope:SCOPE_SE
	ds_load_2addr_b32 v[26:27], v104 offset1:1
	ds_load_2addr_b32 v[24:25], v105 offset1:1
	;; [unrolled: 1-line block ×4, first 2 shown]
	ds_load_b32 v129, v45 offset:1088
	s_wait_dscnt 0x3
	v_add3_u32 v130, v27, v26, v24
	s_wait_dscnt 0x2
	s_delay_alu instid0(VALU_DEP_1) | instskip(SKIP_1) | instid1(VALU_DEP_1)
	v_add3_u32 v130, v130, v25, v22
	s_wait_dscnt 0x1
	v_add3_u32 v130, v130, v23, v20
	s_wait_dscnt 0x0
	s_delay_alu instid0(VALU_DEP_1) | instskip(NEXT) | instid1(VALU_DEP_1)
	v_add3_u32 v129, v130, v21, v129
	v_mov_b32_dpp v130, v129 row_shr:1 row_mask:0xf bank_mask:0xf
	s_delay_alu instid0(VALU_DEP_1) | instskip(NEXT) | instid1(VALU_DEP_1)
	v_cndmask_b32_e64 v130, v130, 0, s0
	v_add_nc_u32_e32 v129, v130, v129
	s_delay_alu instid0(VALU_DEP_1) | instskip(NEXT) | instid1(VALU_DEP_1)
	v_mov_b32_dpp v130, v129 row_shr:2 row_mask:0xf bank_mask:0xf
	v_cndmask_b32_e64 v130, 0, v130, s1
	s_delay_alu instid0(VALU_DEP_1) | instskip(NEXT) | instid1(VALU_DEP_1)
	v_add_nc_u32_e32 v129, v129, v130
	v_mov_b32_dpp v130, v129 row_shr:4 row_mask:0xf bank_mask:0xf
	s_delay_alu instid0(VALU_DEP_1) | instskip(NEXT) | instid1(VALU_DEP_1)
	v_cndmask_b32_e64 v130, 0, v130, s9
	v_add_nc_u32_e32 v129, v129, v130
	s_delay_alu instid0(VALU_DEP_1) | instskip(NEXT) | instid1(VALU_DEP_1)
	v_mov_b32_dpp v130, v129 row_shr:8 row_mask:0xf bank_mask:0xf
	v_cndmask_b32_e64 v130, 0, v130, s10
	s_delay_alu instid0(VALU_DEP_1) | instskip(SKIP_3) | instid1(VALU_DEP_1)
	v_add_nc_u32_e32 v129, v129, v130
	ds_swizzle_b32 v130, v129 offset:swizzle(BROADCAST,32,15)
	s_wait_dscnt 0x0
	v_cndmask_b32_e64 v130, v130, 0, s11
	v_add_nc_u32_e32 v129, v129, v130
	s_and_saveexec_b32 s15, s3
; %bb.439:                              ;   in Loop: Header=BB1670_402 Depth=2
	ds_store_b32 v38, v129 offset:1024
; %bb.440:                              ;   in Loop: Header=BB1670_402 Depth=2
	s_wait_alu 0xfffe
	s_or_b32 exec_lo, exec_lo, s15
	s_wait_loadcnt_dscnt 0x0
	s_barrier_signal -1
	s_barrier_wait -1
	global_inv scope:SCOPE_SE
	s_and_saveexec_b32 s15, s4
	s_cbranch_execz .LBB1670_442
; %bb.441:                              ;   in Loop: Header=BB1670_402 Depth=2
	v_add_nc_u32_e32 v130, v45, v46
	ds_load_b32 v131, v130 offset:1024
	s_wait_dscnt 0x0
	v_mov_b32_dpp v132, v131 row_shr:1 row_mask:0xf bank_mask:0xf
	s_delay_alu instid0(VALU_DEP_1) | instskip(NEXT) | instid1(VALU_DEP_1)
	v_cndmask_b32_e64 v132, v132, 0, s12
	v_add_nc_u32_e32 v131, v132, v131
	s_delay_alu instid0(VALU_DEP_1) | instskip(NEXT) | instid1(VALU_DEP_1)
	v_mov_b32_dpp v132, v131 row_shr:2 row_mask:0xf bank_mask:0xf
	v_cndmask_b32_e64 v132, 0, v132, s13
	s_delay_alu instid0(VALU_DEP_1) | instskip(NEXT) | instid1(VALU_DEP_1)
	v_add_nc_u32_e32 v131, v131, v132
	v_mov_b32_dpp v132, v131 row_shr:4 row_mask:0xf bank_mask:0xf
	s_delay_alu instid0(VALU_DEP_1) | instskip(NEXT) | instid1(VALU_DEP_1)
	v_cndmask_b32_e64 v132, 0, v132, s14
	v_add_nc_u32_e32 v131, v131, v132
	ds_store_b32 v130, v131 offset:1024
.LBB1670_442:                           ;   in Loop: Header=BB1670_402 Depth=2
	s_wait_alu 0xfffe
	s_or_b32 exec_lo, exec_lo, s15
	v_mov_b32_e32 v130, 0
	s_wait_loadcnt_dscnt 0x0
	s_barrier_signal -1
	s_barrier_wait -1
	global_inv scope:SCOPE_SE
	s_and_saveexec_b32 s15, s5
; %bb.443:                              ;   in Loop: Header=BB1670_402 Depth=2
	ds_load_b32 v130, v38 offset:1020
; %bb.444:                              ;   in Loop: Header=BB1670_402 Depth=2
	s_wait_alu 0xfffe
	s_or_b32 exec_lo, exec_lo, s15
	s_wait_dscnt 0x0
	v_add_nc_u32_e32 v129, v130, v129
	ds_bpermute_b32 v129, v80, v129
	s_wait_dscnt 0x0
	v_cndmask_b32_e64 v129, v129, v130, s8
	s_delay_alu instid0(VALU_DEP_1) | instskip(NEXT) | instid1(VALU_DEP_1)
	v_cndmask_b32_e64 v129, v129, 0, s6
	v_add_nc_u32_e32 v26, v129, v26
	s_delay_alu instid0(VALU_DEP_1) | instskip(NEXT) | instid1(VALU_DEP_1)
	v_add_nc_u32_e32 v27, v26, v27
	v_add_nc_u32_e32 v24, v27, v24
	s_delay_alu instid0(VALU_DEP_1) | instskip(NEXT) | instid1(VALU_DEP_1)
	v_add_nc_u32_e32 v25, v24, v25
	;; [unrolled: 3-line block ×3, first 2 shown]
	v_add_nc_u32_e32 v20, v23, v20
	s_delay_alu instid0(VALU_DEP_1)
	v_add_nc_u32_e32 v21, v20, v21
	ds_store_2addr_b32 v103, v23, v20 offset1:1
	ds_store_2addr_b32 v104, v129, v26 offset1:1
	;; [unrolled: 1-line block ×4, first 2 shown]
	ds_store_b32 v45, v21 offset:1088
	s_wait_loadcnt_dscnt 0x0
	s_barrier_signal -1
	s_barrier_wait -1
	global_inv scope:SCOPE_SE
	ds_load_b32 v20, v108 offset:1056
	ds_load_b32 v21, v112 offset:1056
	;; [unrolled: 1-line block ×9, first 2 shown]
	v_mov_b32_e32 v22, 0x800
	s_and_saveexec_b32 s15, s7
; %bb.445:                              ;   in Loop: Header=BB1670_402 Depth=2
	ds_load_b32 v22, v45 offset:1092
; %bb.446:                              ;   in Loop: Header=BB1670_402 Depth=2
	s_wait_alu 0xfffe
	s_or_b32 exec_lo, exec_lo, s15
	s_wait_loadcnt_dscnt 0x0
	s_barrier_signal -1
	s_barrier_wait -1
	global_inv scope:SCOPE_SE
	s_and_saveexec_b32 s15, s2
	s_cbranch_execz .LBB1670_448
; %bb.447:                              ;   in Loop: Header=BB1670_402 Depth=2
	ds_load_b32 v27, v28
	s_wait_dscnt 0x0
	v_sub_nc_u32_e32 v26, v27, v26
	ds_store_b32 v28, v26
.LBB1670_448:                           ;   in Loop: Header=BB1670_402 Depth=2
	s_wait_alu 0xfffe
	s_or_b32 exec_lo, exec_lo, s15
	v_add_nc_u32_e32 v104, v20, v102
	v_add3_u32 v103, v109, v107, v21
	v_add3_u32 v102, v111, v110, v23
	v_add3_u32 v27, v114, v113, v24
	v_add3_u32 v26, v117, v116, v25
	v_add3_u32 v25, v120, v119, v105
	v_add3_u32 v24, v123, v122, v106
	v_add3_u32 v23, v126, v125, v108
	v_cmp_lt_u32_e64 s21, v1, v2
	ds_store_b8 v104, v94 offset:1024
	ds_store_b8 v103, v95 offset:1024
	;; [unrolled: 1-line block ×8, first 2 shown]
	s_wait_loadcnt_dscnt 0x0
	s_barrier_signal -1
	s_barrier_wait -1
	global_inv scope:SCOPE_SE
	s_and_saveexec_b32 s15, s21
	s_cbranch_execnz .LBB1670_485
; %bb.449:                              ;   in Loop: Header=BB1670_402 Depth=2
	s_wait_alu 0xfffe
	s_or_b32 exec_lo, exec_lo, s15
	v_cmp_lt_u32_e64 s20, v29, v2
	s_and_saveexec_b32 s15, s20
	s_cbranch_execnz .LBB1670_486
.LBB1670_450:                           ;   in Loop: Header=BB1670_402 Depth=2
	s_wait_alu 0xfffe
	s_or_b32 exec_lo, exec_lo, s15
	v_cmp_lt_u32_e64 s19, v30, v2
	s_and_saveexec_b32 s15, s19
	s_cbranch_execnz .LBB1670_487
.LBB1670_451:                           ;   in Loop: Header=BB1670_402 Depth=2
	s_wait_alu 0xfffe
	s_or_b32 exec_lo, exec_lo, s15
	v_cmp_lt_u32_e64 s18, v31, v2
	s_and_saveexec_b32 s15, s18
	s_cbranch_execnz .LBB1670_488
.LBB1670_452:                           ;   in Loop: Header=BB1670_402 Depth=2
	s_wait_alu 0xfffe
	s_or_b32 exec_lo, exec_lo, s15
	v_cmp_lt_u32_e64 s17, v34, v2
	s_and_saveexec_b32 s15, s17
	s_cbranch_execnz .LBB1670_489
.LBB1670_453:                           ;   in Loop: Header=BB1670_402 Depth=2
	s_wait_alu 0xfffe
	s_or_b32 exec_lo, exec_lo, s15
	v_cmp_lt_u32_e64 s16, v35, v2
	s_and_saveexec_b32 s15, s16
	s_cbranch_execnz .LBB1670_490
.LBB1670_454:                           ;   in Loop: Header=BB1670_402 Depth=2
	s_wait_alu 0xfffe
	s_or_b32 exec_lo, exec_lo, s15
	v_cmp_lt_u32_e64 s15, v36, v2
	s_and_saveexec_b32 s44, s15
	s_cbranch_execnz .LBB1670_491
.LBB1670_455:                           ;   in Loop: Header=BB1670_402 Depth=2
	s_wait_alu 0xfffe
	s_or_b32 exec_lo, exec_lo, s44
	v_cmp_lt_u32_e32 vcc_lo, v37, v2
	s_and_saveexec_b32 s44, vcc_lo
	s_cbranch_execz .LBB1670_457
.LBB1670_456:                           ;   in Loop: Header=BB1670_402 Depth=2
	ds_load_u8 v20, v1 offset:2816
	s_wait_dscnt 0x0
	v_and_b32_e32 v21, 1, v20
	s_delay_alu instid0(VALU_DEP_1) | instskip(NEXT) | instid1(VALU_DEP_1)
	v_lshrrev_b32_e32 v21, s45, v21
	v_and_b32_e32 v21, s31, v21
	s_delay_alu instid0(VALU_DEP_1)
	v_lshlrev_b32_e32 v21, 2, v21
	ds_load_b32 v21, v21
	s_wait_dscnt 0x0
	v_add_nc_u32_e32 v21, v21, v37
	global_store_b8 v21, v20, s[38:39]
.LBB1670_457:                           ;   in Loop: Header=BB1670_402 Depth=2
	s_wait_alu 0xfffe
	s_or_b32 exec_lo, exec_lo, s44
	s_lshl_b64 s[48:49], s[22:23], 3
	s_wait_alu 0xfffe
	v_add_co_u32 v20, s22, v81, s48
	s_wait_alu 0xf1ff
	v_add_co_ci_u32_e64 v21, null, s49, v82, s22
	v_cmp_lt_u32_e64 s22, v68, v2
	s_and_saveexec_b32 s44, s22
	s_wait_alu 0xfffe
	s_xor_b32 s22, exec_lo, s44
	s_cbranch_execnz .LBB1670_492
; %bb.458:                              ;   in Loop: Header=BB1670_402 Depth=2
	s_wait_alu 0xfffe
	s_or_b32 exec_lo, exec_lo, s22
	s_delay_alu instid0(SALU_CYCLE_1)
	s_mov_b32 s44, exec_lo
	v_cmpx_lt_u32_e64 v71, v2
	s_cbranch_execnz .LBB1670_493
.LBB1670_459:                           ;   in Loop: Header=BB1670_402 Depth=2
	s_wait_alu 0xfffe
	s_or_b32 exec_lo, exec_lo, s44
	s_delay_alu instid0(SALU_CYCLE_1)
	s_mov_b32 s44, exec_lo
	v_cmpx_lt_u32_e64 v72, v2
	s_cbranch_execnz .LBB1670_494
.LBB1670_460:                           ;   in Loop: Header=BB1670_402 Depth=2
	s_wait_alu 0xfffe
	s_or_b32 exec_lo, exec_lo, s44
	s_delay_alu instid0(SALU_CYCLE_1)
	s_mov_b32 s44, exec_lo
	v_cmpx_lt_u32_e64 v73, v2
	s_cbranch_execnz .LBB1670_495
.LBB1670_461:                           ;   in Loop: Header=BB1670_402 Depth=2
	s_wait_alu 0xfffe
	s_or_b32 exec_lo, exec_lo, s44
	s_delay_alu instid0(SALU_CYCLE_1)
	s_mov_b32 s44, exec_lo
	v_cmpx_lt_u32_e64 v74, v2
	s_cbranch_execnz .LBB1670_496
.LBB1670_462:                           ;   in Loop: Header=BB1670_402 Depth=2
	s_wait_alu 0xfffe
	s_or_b32 exec_lo, exec_lo, s44
	s_delay_alu instid0(SALU_CYCLE_1)
	s_mov_b32 s44, exec_lo
	v_cmpx_lt_u32_e64 v75, v2
	s_cbranch_execnz .LBB1670_497
.LBB1670_463:                           ;   in Loop: Header=BB1670_402 Depth=2
	s_wait_alu 0xfffe
	s_or_b32 exec_lo, exec_lo, s44
	s_delay_alu instid0(SALU_CYCLE_1)
	s_mov_b32 s44, exec_lo
	v_cmpx_lt_u32_e64 v76, v2
	s_cbranch_execnz .LBB1670_498
.LBB1670_464:                           ;   in Loop: Header=BB1670_402 Depth=2
	s_wait_alu 0xfffe
	s_or_b32 exec_lo, exec_lo, s44
	s_delay_alu instid0(SALU_CYCLE_1)
	s_mov_b32 s44, exec_lo
	v_cmpx_lt_u32_e64 v77, v2
	s_cbranch_execnz .LBB1670_499
.LBB1670_465:                           ;   in Loop: Header=BB1670_402 Depth=2
	s_wait_alu 0xfffe
	s_or_b32 exec_lo, exec_lo, s44
	s_and_saveexec_b32 s22, s21
	s_cbranch_execnz .LBB1670_500
.LBB1670_466:                           ;   in Loop: Header=BB1670_402 Depth=2
	s_wait_alu 0xfffe
	s_or_b32 exec_lo, exec_lo, s22
	s_and_saveexec_b32 s22, s20
	s_cbranch_execnz .LBB1670_501
.LBB1670_467:                           ;   in Loop: Header=BB1670_402 Depth=2
	s_wait_alu 0xfffe
	s_or_b32 exec_lo, exec_lo, s22
	s_and_saveexec_b32 s22, s19
	s_cbranch_execnz .LBB1670_502
.LBB1670_468:                           ;   in Loop: Header=BB1670_402 Depth=2
	s_wait_alu 0xfffe
	s_or_b32 exec_lo, exec_lo, s22
	s_and_saveexec_b32 s22, s18
	s_cbranch_execnz .LBB1670_503
.LBB1670_469:                           ;   in Loop: Header=BB1670_402 Depth=2
	s_wait_alu 0xfffe
	s_or_b32 exec_lo, exec_lo, s22
	s_and_saveexec_b32 s22, s17
	s_cbranch_execnz .LBB1670_504
.LBB1670_470:                           ;   in Loop: Header=BB1670_402 Depth=2
	s_wait_alu 0xfffe
	s_or_b32 exec_lo, exec_lo, s22
	s_and_saveexec_b32 s22, s16
	s_cbranch_execnz .LBB1670_505
.LBB1670_471:                           ;   in Loop: Header=BB1670_402 Depth=2
	s_wait_alu 0xfffe
	s_or_b32 exec_lo, exec_lo, s22
	s_and_saveexec_b32 s22, s15
	s_cbranch_execnz .LBB1670_506
.LBB1670_472:                           ;   in Loop: Header=BB1670_402 Depth=2
	s_wait_alu 0xfffe
	s_or_b32 exec_lo, exec_lo, s22
	s_and_saveexec_b32 s22, vcc_lo
	s_cbranch_execz .LBB1670_474
.LBB1670_473:                           ;   in Loop: Header=BB1670_402 Depth=2
	ds_load_u8 v2, v1 offset:2816
	s_wait_dscnt 0x0
	v_lshrrev_b32_e32 v2, s45, v2
	s_delay_alu instid0(VALU_DEP_1)
	v_and_b32_e32 v86, s31, v2
.LBB1670_474:                           ;   in Loop: Header=BB1670_402 Depth=2
	s_wait_alu 0xfffe
	s_or_b32 exec_lo, exec_lo, s22
	v_lshlrev_b32_e32 v2, 3, v104
	v_lshlrev_b32_e32 v20, 3, v103
	;; [unrolled: 1-line block ×3, first 2 shown]
	s_wait_loadcnt 0x0
	s_wait_storecnt 0x0
	s_barrier_signal -1
	s_barrier_wait -1
	global_inv scope:SCOPE_SE
	ds_store_b64 v2, v[18:19] offset:1024
	ds_store_b64 v20, v[16:17] offset:1024
	;; [unrolled: 1-line block ×3, first 2 shown]
	v_lshlrev_b32_e32 v2, 3, v27
	v_lshlrev_b32_e32 v20, 3, v26
	;; [unrolled: 1-line block ×5, first 2 shown]
	ds_store_b64 v2, v[12:13] offset:1024
	ds_store_b64 v20, v[10:11] offset:1024
	;; [unrolled: 1-line block ×5, first 2 shown]
	s_wait_loadcnt_dscnt 0x0
	s_barrier_signal -1
	s_barrier_wait -1
	global_inv scope:SCOPE_SE
	s_and_saveexec_b32 s22, s21
	s_cbranch_execnz .LBB1670_507
; %bb.475:                              ;   in Loop: Header=BB1670_402 Depth=2
	s_wait_alu 0xfffe
	s_or_b32 exec_lo, exec_lo, s22
	s_and_saveexec_b32 s21, s20
	s_cbranch_execnz .LBB1670_508
.LBB1670_476:                           ;   in Loop: Header=BB1670_402 Depth=2
	s_wait_alu 0xfffe
	s_or_b32 exec_lo, exec_lo, s21
	s_and_saveexec_b32 s20, s19
	s_cbranch_execnz .LBB1670_509
.LBB1670_477:                           ;   in Loop: Header=BB1670_402 Depth=2
	s_wait_alu 0xfffe
	s_or_b32 exec_lo, exec_lo, s20
	s_and_saveexec_b32 s19, s18
	s_cbranch_execnz .LBB1670_510
.LBB1670_478:                           ;   in Loop: Header=BB1670_402 Depth=2
	s_wait_alu 0xfffe
	s_or_b32 exec_lo, exec_lo, s19
	s_and_saveexec_b32 s18, s17
	s_cbranch_execnz .LBB1670_511
.LBB1670_479:                           ;   in Loop: Header=BB1670_402 Depth=2
	s_wait_alu 0xfffe
	s_or_b32 exec_lo, exec_lo, s18
	s_and_saveexec_b32 s17, s16
	s_cbranch_execnz .LBB1670_512
.LBB1670_480:                           ;   in Loop: Header=BB1670_402 Depth=2
	s_wait_alu 0xfffe
	s_or_b32 exec_lo, exec_lo, s17
	s_and_saveexec_b32 s16, s15
	s_cbranch_execnz .LBB1670_513
.LBB1670_481:                           ;   in Loop: Header=BB1670_402 Depth=2
	s_wait_alu 0xfffe
	s_or_b32 exec_lo, exec_lo, s16
	s_and_saveexec_b32 s15, vcc_lo
	s_cbranch_execz .LBB1670_483
.LBB1670_482:                           ;   in Loop: Header=BB1670_402 Depth=2
	v_lshlrev_b32_e32 v2, 2, v86
	v_add_nc_u32_e32 v20, v1, v47
	ds_load_b32 v2, v2
	ds_load_b64 v[20:21], v20 offset:15360
	s_wait_dscnt 0x1
	v_add_nc_u32_e32 v2, v2, v37
	s_delay_alu instid0(VALU_DEP_1) | instskip(NEXT) | instid1(VALU_DEP_1)
	v_lshlrev_b64_e32 v[23:24], 3, v[2:3]
	v_add_co_u32 v23, vcc_lo, s24, v23
	s_wait_alu 0xfffd
	s_delay_alu instid0(VALU_DEP_2)
	v_add_co_ci_u32_e64 v24, null, s25, v24, vcc_lo
	s_wait_dscnt 0x0
	global_store_b64 v[23:24], v[20:21], off
.LBB1670_483:                           ;   in Loop: Header=BB1670_402 Depth=2
	s_wait_alu 0xfffe
	s_or_b32 exec_lo, exec_lo, s15
	s_wait_loadcnt 0x0
	s_wait_storecnt 0x0
	s_barrier_signal -1
	s_barrier_wait -1
	global_inv scope:SCOPE_SE
	s_and_saveexec_b32 s15, s2
	s_cbranch_execz .LBB1670_401
; %bb.484:                              ;   in Loop: Header=BB1670_402 Depth=2
	ds_load_b32 v2, v28
	s_wait_dscnt 0x0
	v_add_nc_u32_e32 v2, v2, v22
	ds_store_b32 v28, v2
	s_branch .LBB1670_401
.LBB1670_485:                           ;   in Loop: Header=BB1670_402 Depth=2
	ds_load_u8 v20, v1 offset:1024
	s_wait_dscnt 0x0
	v_and_b32_e32 v21, 1, v20
	s_delay_alu instid0(VALU_DEP_1) | instskip(NEXT) | instid1(VALU_DEP_1)
	v_lshrrev_b32_e32 v21, s45, v21
	v_and_b32_e32 v21, s31, v21
	s_delay_alu instid0(VALU_DEP_1)
	v_lshlrev_b32_e32 v21, 2, v21
	ds_load_b32 v21, v21
	s_wait_dscnt 0x0
	v_add_nc_u32_e32 v21, v21, v1
	global_store_b8 v21, v20, s[38:39]
	s_wait_alu 0xfffe
	s_or_b32 exec_lo, exec_lo, s15
	v_cmp_lt_u32_e64 s20, v29, v2
	s_and_saveexec_b32 s15, s20
	s_cbranch_execz .LBB1670_450
.LBB1670_486:                           ;   in Loop: Header=BB1670_402 Depth=2
	ds_load_u8 v20, v1 offset:1280
	s_wait_dscnt 0x0
	v_and_b32_e32 v21, 1, v20
	s_delay_alu instid0(VALU_DEP_1) | instskip(NEXT) | instid1(VALU_DEP_1)
	v_lshrrev_b32_e32 v21, s45, v21
	v_and_b32_e32 v21, s31, v21
	s_delay_alu instid0(VALU_DEP_1)
	v_lshlrev_b32_e32 v21, 2, v21
	ds_load_b32 v21, v21
	s_wait_dscnt 0x0
	v_add_nc_u32_e32 v21, v21, v29
	global_store_b8 v21, v20, s[38:39]
	s_wait_alu 0xfffe
	s_or_b32 exec_lo, exec_lo, s15
	v_cmp_lt_u32_e64 s19, v30, v2
	s_and_saveexec_b32 s15, s19
	s_cbranch_execz .LBB1670_451
.LBB1670_487:                           ;   in Loop: Header=BB1670_402 Depth=2
	ds_load_u8 v20, v1 offset:1536
	s_wait_dscnt 0x0
	v_and_b32_e32 v21, 1, v20
	s_delay_alu instid0(VALU_DEP_1) | instskip(NEXT) | instid1(VALU_DEP_1)
	v_lshrrev_b32_e32 v21, s45, v21
	v_and_b32_e32 v21, s31, v21
	s_delay_alu instid0(VALU_DEP_1)
	v_lshlrev_b32_e32 v21, 2, v21
	ds_load_b32 v21, v21
	s_wait_dscnt 0x0
	v_add_nc_u32_e32 v21, v21, v30
	global_store_b8 v21, v20, s[38:39]
	s_wait_alu 0xfffe
	s_or_b32 exec_lo, exec_lo, s15
	v_cmp_lt_u32_e64 s18, v31, v2
	s_and_saveexec_b32 s15, s18
	s_cbranch_execz .LBB1670_452
.LBB1670_488:                           ;   in Loop: Header=BB1670_402 Depth=2
	ds_load_u8 v20, v1 offset:1792
	s_wait_dscnt 0x0
	v_and_b32_e32 v21, 1, v20
	s_delay_alu instid0(VALU_DEP_1) | instskip(NEXT) | instid1(VALU_DEP_1)
	v_lshrrev_b32_e32 v21, s45, v21
	v_and_b32_e32 v21, s31, v21
	s_delay_alu instid0(VALU_DEP_1)
	v_lshlrev_b32_e32 v21, 2, v21
	ds_load_b32 v21, v21
	s_wait_dscnt 0x0
	v_add_nc_u32_e32 v21, v21, v31
	global_store_b8 v21, v20, s[38:39]
	s_wait_alu 0xfffe
	s_or_b32 exec_lo, exec_lo, s15
	v_cmp_lt_u32_e64 s17, v34, v2
	s_and_saveexec_b32 s15, s17
	s_cbranch_execz .LBB1670_453
.LBB1670_489:                           ;   in Loop: Header=BB1670_402 Depth=2
	ds_load_u8 v20, v1 offset:2048
	s_wait_dscnt 0x0
	v_and_b32_e32 v21, 1, v20
	s_delay_alu instid0(VALU_DEP_1) | instskip(NEXT) | instid1(VALU_DEP_1)
	v_lshrrev_b32_e32 v21, s45, v21
	v_and_b32_e32 v21, s31, v21
	s_delay_alu instid0(VALU_DEP_1)
	v_lshlrev_b32_e32 v21, 2, v21
	ds_load_b32 v21, v21
	s_wait_dscnt 0x0
	v_add_nc_u32_e32 v21, v21, v34
	global_store_b8 v21, v20, s[38:39]
	s_wait_alu 0xfffe
	s_or_b32 exec_lo, exec_lo, s15
	v_cmp_lt_u32_e64 s16, v35, v2
	s_and_saveexec_b32 s15, s16
	s_cbranch_execz .LBB1670_454
.LBB1670_490:                           ;   in Loop: Header=BB1670_402 Depth=2
	ds_load_u8 v20, v1 offset:2304
	s_wait_dscnt 0x0
	v_and_b32_e32 v21, 1, v20
	s_delay_alu instid0(VALU_DEP_1) | instskip(NEXT) | instid1(VALU_DEP_1)
	v_lshrrev_b32_e32 v21, s45, v21
	v_and_b32_e32 v21, s31, v21
	s_delay_alu instid0(VALU_DEP_1)
	v_lshlrev_b32_e32 v21, 2, v21
	ds_load_b32 v21, v21
	s_wait_dscnt 0x0
	v_add_nc_u32_e32 v21, v21, v35
	global_store_b8 v21, v20, s[38:39]
	s_wait_alu 0xfffe
	s_or_b32 exec_lo, exec_lo, s15
	v_cmp_lt_u32_e64 s15, v36, v2
	s_and_saveexec_b32 s44, s15
	s_cbranch_execz .LBB1670_455
.LBB1670_491:                           ;   in Loop: Header=BB1670_402 Depth=2
	ds_load_u8 v20, v1 offset:2560
	s_wait_dscnt 0x0
	v_and_b32_e32 v21, 1, v20
	s_delay_alu instid0(VALU_DEP_1) | instskip(NEXT) | instid1(VALU_DEP_1)
	v_lshrrev_b32_e32 v21, s45, v21
	v_and_b32_e32 v21, s31, v21
	s_delay_alu instid0(VALU_DEP_1)
	v_lshlrev_b32_e32 v21, 2, v21
	ds_load_b32 v21, v21
	s_wait_dscnt 0x0
	v_add_nc_u32_e32 v21, v21, v36
	global_store_b8 v21, v20, s[38:39]
	s_wait_alu 0xfffe
	s_or_b32 exec_lo, exec_lo, s44
	v_cmp_lt_u32_e32 vcc_lo, v37, v2
	s_and_saveexec_b32 s44, vcc_lo
	s_cbranch_execnz .LBB1670_456
	s_branch .LBB1670_457
.LBB1670_492:                           ;   in Loop: Header=BB1670_402 Depth=2
	global_load_b64 v[18:19], v[20:21], off
	s_wait_alu 0xfffe
	s_or_b32 exec_lo, exec_lo, s22
	s_delay_alu instid0(SALU_CYCLE_1)
	s_mov_b32 s44, exec_lo
	v_cmpx_lt_u32_e64 v71, v2
	s_cbranch_execz .LBB1670_459
.LBB1670_493:                           ;   in Loop: Header=BB1670_402 Depth=2
	global_load_b64 v[16:17], v[20:21], off offset:256
	s_wait_alu 0xfffe
	s_or_b32 exec_lo, exec_lo, s44
	s_delay_alu instid0(SALU_CYCLE_1)
	s_mov_b32 s44, exec_lo
	v_cmpx_lt_u32_e64 v72, v2
	s_cbranch_execz .LBB1670_460
.LBB1670_494:                           ;   in Loop: Header=BB1670_402 Depth=2
	global_load_b64 v[14:15], v[20:21], off offset:512
	s_wait_alu 0xfffe
	s_or_b32 exec_lo, exec_lo, s44
	s_delay_alu instid0(SALU_CYCLE_1)
	s_mov_b32 s44, exec_lo
	v_cmpx_lt_u32_e64 v73, v2
	s_cbranch_execz .LBB1670_461
.LBB1670_495:                           ;   in Loop: Header=BB1670_402 Depth=2
	global_load_b64 v[12:13], v[20:21], off offset:768
	s_wait_alu 0xfffe
	s_or_b32 exec_lo, exec_lo, s44
	s_delay_alu instid0(SALU_CYCLE_1)
	s_mov_b32 s44, exec_lo
	v_cmpx_lt_u32_e64 v74, v2
	s_cbranch_execz .LBB1670_462
.LBB1670_496:                           ;   in Loop: Header=BB1670_402 Depth=2
	global_load_b64 v[10:11], v[20:21], off offset:1024
	s_wait_alu 0xfffe
	s_or_b32 exec_lo, exec_lo, s44
	s_delay_alu instid0(SALU_CYCLE_1)
	s_mov_b32 s44, exec_lo
	v_cmpx_lt_u32_e64 v75, v2
	s_cbranch_execz .LBB1670_463
.LBB1670_497:                           ;   in Loop: Header=BB1670_402 Depth=2
	global_load_b64 v[8:9], v[20:21], off offset:1280
	s_wait_alu 0xfffe
	s_or_b32 exec_lo, exec_lo, s44
	s_delay_alu instid0(SALU_CYCLE_1)
	s_mov_b32 s44, exec_lo
	v_cmpx_lt_u32_e64 v76, v2
	s_cbranch_execz .LBB1670_464
.LBB1670_498:                           ;   in Loop: Header=BB1670_402 Depth=2
	global_load_b64 v[6:7], v[20:21], off offset:1536
	s_wait_alu 0xfffe
	s_or_b32 exec_lo, exec_lo, s44
	s_delay_alu instid0(SALU_CYCLE_1)
	s_mov_b32 s44, exec_lo
	v_cmpx_lt_u32_e64 v77, v2
	s_cbranch_execz .LBB1670_465
.LBB1670_499:                           ;   in Loop: Header=BB1670_402 Depth=2
	global_load_b64 v[4:5], v[20:21], off offset:1792
	s_wait_alu 0xfffe
	s_or_b32 exec_lo, exec_lo, s44
	s_and_saveexec_b32 s22, s21
	s_cbranch_execz .LBB1670_466
.LBB1670_500:                           ;   in Loop: Header=BB1670_402 Depth=2
	ds_load_u8 v2, v1 offset:1024
	s_wait_dscnt 0x0
	v_lshrrev_b32_e32 v2, s45, v2
	s_delay_alu instid0(VALU_DEP_1)
	v_and_b32_e32 v93, s31, v2
	s_wait_alu 0xfffe
	s_or_b32 exec_lo, exec_lo, s22
	s_and_saveexec_b32 s22, s20
	s_cbranch_execz .LBB1670_467
.LBB1670_501:                           ;   in Loop: Header=BB1670_402 Depth=2
	ds_load_u8 v2, v1 offset:1280
	s_wait_dscnt 0x0
	v_lshrrev_b32_e32 v2, s45, v2
	s_delay_alu instid0(VALU_DEP_1)
	v_and_b32_e32 v92, s31, v2
	s_wait_alu 0xfffe
	s_or_b32 exec_lo, exec_lo, s22
	s_and_saveexec_b32 s22, s19
	s_cbranch_execz .LBB1670_468
.LBB1670_502:                           ;   in Loop: Header=BB1670_402 Depth=2
	ds_load_u8 v2, v1 offset:1536
	s_wait_dscnt 0x0
	v_lshrrev_b32_e32 v2, s45, v2
	s_delay_alu instid0(VALU_DEP_1)
	v_and_b32_e32 v91, s31, v2
	s_wait_alu 0xfffe
	s_or_b32 exec_lo, exec_lo, s22
	s_and_saveexec_b32 s22, s18
	s_cbranch_execz .LBB1670_469
.LBB1670_503:                           ;   in Loop: Header=BB1670_402 Depth=2
	ds_load_u8 v2, v1 offset:1792
	s_wait_dscnt 0x0
	v_lshrrev_b32_e32 v2, s45, v2
	s_delay_alu instid0(VALU_DEP_1)
	v_and_b32_e32 v90, s31, v2
	s_wait_alu 0xfffe
	s_or_b32 exec_lo, exec_lo, s22
	s_and_saveexec_b32 s22, s17
	s_cbranch_execz .LBB1670_470
.LBB1670_504:                           ;   in Loop: Header=BB1670_402 Depth=2
	ds_load_u8 v2, v1 offset:2048
	s_wait_dscnt 0x0
	v_lshrrev_b32_e32 v2, s45, v2
	s_delay_alu instid0(VALU_DEP_1)
	v_and_b32_e32 v89, s31, v2
	s_wait_alu 0xfffe
	s_or_b32 exec_lo, exec_lo, s22
	s_and_saveexec_b32 s22, s16
	s_cbranch_execz .LBB1670_471
.LBB1670_505:                           ;   in Loop: Header=BB1670_402 Depth=2
	ds_load_u8 v2, v1 offset:2304
	s_wait_dscnt 0x0
	v_lshrrev_b32_e32 v2, s45, v2
	s_delay_alu instid0(VALU_DEP_1)
	v_and_b32_e32 v88, s31, v2
	s_wait_alu 0xfffe
	s_or_b32 exec_lo, exec_lo, s22
	s_and_saveexec_b32 s22, s15
	s_cbranch_execz .LBB1670_472
.LBB1670_506:                           ;   in Loop: Header=BB1670_402 Depth=2
	ds_load_u8 v2, v1 offset:2560
	s_wait_dscnt 0x0
	v_lshrrev_b32_e32 v2, s45, v2
	s_delay_alu instid0(VALU_DEP_1)
	v_and_b32_e32 v87, s31, v2
	s_wait_alu 0xfffe
	s_or_b32 exec_lo, exec_lo, s22
	s_and_saveexec_b32 s22, vcc_lo
	s_cbranch_execnz .LBB1670_473
	s_branch .LBB1670_474
.LBB1670_507:                           ;   in Loop: Header=BB1670_402 Depth=2
	v_lshlrev_b32_e32 v2, 2, v93
	v_add_nc_u32_e32 v20, v1, v47
	ds_load_b32 v2, v2
	ds_load_b64 v[20:21], v20 offset:1024
	s_wait_dscnt 0x1
	v_add_nc_u32_e32 v2, v2, v1
	s_delay_alu instid0(VALU_DEP_1) | instskip(NEXT) | instid1(VALU_DEP_1)
	v_lshlrev_b64_e32 v[23:24], 3, v[2:3]
	v_add_co_u32 v23, s21, s24, v23
	s_wait_alu 0xf1ff
	s_delay_alu instid0(VALU_DEP_2)
	v_add_co_ci_u32_e64 v24, null, s25, v24, s21
	s_wait_dscnt 0x0
	global_store_b64 v[23:24], v[20:21], off
	s_wait_alu 0xfffe
	s_or_b32 exec_lo, exec_lo, s22
	s_and_saveexec_b32 s21, s20
	s_cbranch_execz .LBB1670_476
.LBB1670_508:                           ;   in Loop: Header=BB1670_402 Depth=2
	v_lshlrev_b32_e32 v2, 2, v92
	v_add_nc_u32_e32 v20, v1, v47
	ds_load_b32 v2, v2
	ds_load_b64 v[20:21], v20 offset:3072
	s_wait_dscnt 0x1
	v_add_nc_u32_e32 v2, v2, v29
	s_delay_alu instid0(VALU_DEP_1) | instskip(NEXT) | instid1(VALU_DEP_1)
	v_lshlrev_b64_e32 v[23:24], 3, v[2:3]
	v_add_co_u32 v23, s20, s24, v23
	s_wait_alu 0xf1ff
	s_delay_alu instid0(VALU_DEP_2)
	v_add_co_ci_u32_e64 v24, null, s25, v24, s20
	s_wait_dscnt 0x0
	global_store_b64 v[23:24], v[20:21], off
	s_wait_alu 0xfffe
	s_or_b32 exec_lo, exec_lo, s21
	s_and_saveexec_b32 s20, s19
	s_cbranch_execz .LBB1670_477
.LBB1670_509:                           ;   in Loop: Header=BB1670_402 Depth=2
	v_lshlrev_b32_e32 v2, 2, v91
	v_add_nc_u32_e32 v20, v1, v47
	ds_load_b32 v2, v2
	ds_load_b64 v[20:21], v20 offset:5120
	s_wait_dscnt 0x1
	v_add_nc_u32_e32 v2, v2, v30
	s_delay_alu instid0(VALU_DEP_1) | instskip(NEXT) | instid1(VALU_DEP_1)
	v_lshlrev_b64_e32 v[23:24], 3, v[2:3]
	v_add_co_u32 v23, s19, s24, v23
	s_wait_alu 0xf1ff
	s_delay_alu instid0(VALU_DEP_2)
	v_add_co_ci_u32_e64 v24, null, s25, v24, s19
	s_wait_dscnt 0x0
	global_store_b64 v[23:24], v[20:21], off
	s_wait_alu 0xfffe
	s_or_b32 exec_lo, exec_lo, s20
	s_and_saveexec_b32 s19, s18
	s_cbranch_execz .LBB1670_478
.LBB1670_510:                           ;   in Loop: Header=BB1670_402 Depth=2
	v_lshlrev_b32_e32 v2, 2, v90
	v_add_nc_u32_e32 v20, v1, v47
	ds_load_b32 v2, v2
	ds_load_b64 v[20:21], v20 offset:7168
	s_wait_dscnt 0x1
	v_add_nc_u32_e32 v2, v2, v31
	s_delay_alu instid0(VALU_DEP_1) | instskip(NEXT) | instid1(VALU_DEP_1)
	v_lshlrev_b64_e32 v[23:24], 3, v[2:3]
	v_add_co_u32 v23, s18, s24, v23
	s_wait_alu 0xf1ff
	s_delay_alu instid0(VALU_DEP_2)
	v_add_co_ci_u32_e64 v24, null, s25, v24, s18
	s_wait_dscnt 0x0
	global_store_b64 v[23:24], v[20:21], off
	s_wait_alu 0xfffe
	s_or_b32 exec_lo, exec_lo, s19
	s_and_saveexec_b32 s18, s17
	s_cbranch_execz .LBB1670_479
.LBB1670_511:                           ;   in Loop: Header=BB1670_402 Depth=2
	v_lshlrev_b32_e32 v2, 2, v89
	v_add_nc_u32_e32 v20, v1, v47
	ds_load_b32 v2, v2
	ds_load_b64 v[20:21], v20 offset:9216
	s_wait_dscnt 0x1
	v_add_nc_u32_e32 v2, v2, v34
	s_delay_alu instid0(VALU_DEP_1) | instskip(NEXT) | instid1(VALU_DEP_1)
	v_lshlrev_b64_e32 v[23:24], 3, v[2:3]
	v_add_co_u32 v23, s17, s24, v23
	s_wait_alu 0xf1ff
	s_delay_alu instid0(VALU_DEP_2)
	v_add_co_ci_u32_e64 v24, null, s25, v24, s17
	s_wait_dscnt 0x0
	global_store_b64 v[23:24], v[20:21], off
	s_wait_alu 0xfffe
	s_or_b32 exec_lo, exec_lo, s18
	s_and_saveexec_b32 s17, s16
	s_cbranch_execz .LBB1670_480
.LBB1670_512:                           ;   in Loop: Header=BB1670_402 Depth=2
	v_lshlrev_b32_e32 v2, 2, v88
	v_add_nc_u32_e32 v20, v1, v47
	ds_load_b32 v2, v2
	ds_load_b64 v[20:21], v20 offset:11264
	s_wait_dscnt 0x1
	v_add_nc_u32_e32 v2, v2, v35
	s_delay_alu instid0(VALU_DEP_1) | instskip(NEXT) | instid1(VALU_DEP_1)
	v_lshlrev_b64_e32 v[23:24], 3, v[2:3]
	v_add_co_u32 v23, s16, s24, v23
	s_wait_alu 0xf1ff
	s_delay_alu instid0(VALU_DEP_2)
	v_add_co_ci_u32_e64 v24, null, s25, v24, s16
	s_wait_dscnt 0x0
	global_store_b64 v[23:24], v[20:21], off
	s_wait_alu 0xfffe
	s_or_b32 exec_lo, exec_lo, s17
	s_and_saveexec_b32 s16, s15
	s_cbranch_execz .LBB1670_481
.LBB1670_513:                           ;   in Loop: Header=BB1670_402 Depth=2
	v_lshlrev_b32_e32 v2, 2, v87
	v_add_nc_u32_e32 v20, v1, v47
	ds_load_b32 v2, v2
	ds_load_b64 v[20:21], v20 offset:13312
	s_wait_dscnt 0x1
	v_add_nc_u32_e32 v2, v2, v36
	s_delay_alu instid0(VALU_DEP_1) | instskip(NEXT) | instid1(VALU_DEP_1)
	v_lshlrev_b64_e32 v[23:24], 3, v[2:3]
	v_add_co_u32 v23, s15, s24, v23
	s_wait_alu 0xf1ff
	s_delay_alu instid0(VALU_DEP_2)
	v_add_co_ci_u32_e64 v24, null, s25, v24, s15
	s_wait_dscnt 0x0
	global_store_b64 v[23:24], v[20:21], off
	s_wait_alu 0xfffe
	s_or_b32 exec_lo, exec_lo, s16
	s_and_saveexec_b32 s15, vcc_lo
	s_cbranch_execnz .LBB1670_482
	s_branch .LBB1670_483
.LBB1670_514:                           ;   in Loop: Header=BB1670_20 Depth=1
	s_wait_loadcnt_dscnt 0x0
	s_barrier_signal -1
	s_mov_b32 s0, 0
	s_barrier_wait -1
.LBB1670_515:                           ;   in Loop: Header=BB1670_20 Depth=1
	s_wait_alu 0xfffe
	s_and_b32 vcc_lo, exec_lo, s0
	s_wait_alu 0xfffe
	s_cbranch_vccz .LBB1670_19
; %bb.516:                              ;   in Loop: Header=BB1670_20 Depth=1
	v_dual_mov_b32 v7, 0 :: v_dual_mov_b32 v10, 0
	v_dual_mov_b32 v9, 0 :: v_dual_mov_b32 v8, 0
	;; [unrolled: 1-line block ×3, first 2 shown]
	v_mov_b32_e32 v4, 0
	v_mov_b32_e32 v2, 0
	s_mov_b32 s9, s47
	s_mov_b32 s22, s33
	s_barrier_signal -1
	s_barrier_wait -1
	global_inv scope:SCOPE_SE
	s_branch .LBB1670_518
.LBB1670_517:                           ;   in Loop: Header=BB1670_518 Depth=2
	s_wait_alu 0xfffe
	s_or_b32 exec_lo, exec_lo, s0
	s_addk_co_i32 s9, 0xf800
	s_cmp_ge_u32 s10, s34
	s_mov_b32 s22, s10
	s_cbranch_scc1 .LBB1670_554
.LBB1670_518:                           ;   Parent Loop BB1670_20 Depth=1
                                        ; =>  This Inner Loop Header: Depth=2
	s_wait_alu 0xfffe
	s_add_co_i32 s10, s22, 0x800
	s_mov_b32 s0, -1
	s_wait_alu 0xfffe
	s_cmp_gt_u32 s10, s34
                                        ; implicit-def: $vgpr11
                                        ; implicit-def: $vgpr12
                                        ; implicit-def: $vgpr13
                                        ; implicit-def: $vgpr14
                                        ; implicit-def: $vgpr15
                                        ; implicit-def: $vgpr16
                                        ; implicit-def: $vgpr17
                                        ; implicit-def: $vgpr18
	s_cbranch_scc1 .LBB1670_520
; %bb.519:                              ;   in Loop: Header=BB1670_518 Depth=2
	v_add_co_u32 v19, vcc_lo, v54, s22
	s_wait_alu 0xfffd
	v_add_co_ci_u32_e64 v20, null, 0, v55, vcc_lo
	s_mov_b32 s0, 0
	s_clause 0x7
	global_load_u8 v18, v[19:20], off offset:1792
	global_load_u8 v17, v[19:20], off offset:1536
	;; [unrolled: 1-line block ×7, first 2 shown]
	global_load_u8 v11, v[19:20], off
.LBB1670_520:                           ;   in Loop: Header=BB1670_518 Depth=2
	s_wait_alu 0xfffe
	s_and_not1_b32 vcc_lo, exec_lo, s0
	s_movk_i32 s0, 0x800
	s_wait_alu 0xfffe
	s_cbranch_vccnz .LBB1670_531
; %bb.521:                              ;   in Loop: Header=BB1670_518 Depth=2
	s_add_nc_u64 s[0:1], s[36:37], s[22:23]
	s_mov_b32 s11, exec_lo
	v_cmpx_gt_u32_e64 s9, v1
	s_cbranch_execnz .LBB1670_547
; %bb.522:                              ;   in Loop: Header=BB1670_518 Depth=2
	s_wait_alu 0xfffe
	s_or_b32 exec_lo, exec_lo, s11
	s_delay_alu instid0(SALU_CYCLE_1)
	s_mov_b32 s11, exec_lo
	v_cmpx_gt_u32_e64 s9, v29
	s_cbranch_execnz .LBB1670_548
.LBB1670_523:                           ;   in Loop: Header=BB1670_518 Depth=2
	s_wait_alu 0xfffe
	s_or_b32 exec_lo, exec_lo, s11
	s_delay_alu instid0(SALU_CYCLE_1)
	s_mov_b32 s11, exec_lo
	v_cmpx_gt_u32_e64 s9, v30
	s_cbranch_execnz .LBB1670_549
.LBB1670_524:                           ;   in Loop: Header=BB1670_518 Depth=2
	s_wait_alu 0xfffe
	s_or_b32 exec_lo, exec_lo, s11
	s_delay_alu instid0(SALU_CYCLE_1)
	s_mov_b32 s11, exec_lo
	v_cmpx_gt_u32_e64 s9, v31
	s_cbranch_execnz .LBB1670_550
.LBB1670_525:                           ;   in Loop: Header=BB1670_518 Depth=2
	s_wait_alu 0xfffe
	s_or_b32 exec_lo, exec_lo, s11
	s_delay_alu instid0(SALU_CYCLE_1)
	s_mov_b32 s11, exec_lo
	v_cmpx_gt_u32_e64 s9, v34
	s_cbranch_execnz .LBB1670_551
.LBB1670_526:                           ;   in Loop: Header=BB1670_518 Depth=2
	s_wait_alu 0xfffe
	s_or_b32 exec_lo, exec_lo, s11
	s_delay_alu instid0(SALU_CYCLE_1)
	s_mov_b32 s11, exec_lo
	v_cmpx_gt_u32_e64 s9, v35
	s_cbranch_execnz .LBB1670_552
.LBB1670_527:                           ;   in Loop: Header=BB1670_518 Depth=2
	s_wait_alu 0xfffe
	s_or_b32 exec_lo, exec_lo, s11
	s_delay_alu instid0(SALU_CYCLE_1)
	s_mov_b32 s11, exec_lo
	v_cmpx_gt_u32_e64 s9, v36
	s_cbranch_execnz .LBB1670_553
.LBB1670_528:                           ;   in Loop: Header=BB1670_518 Depth=2
	s_wait_alu 0xfffe
	s_or_b32 exec_lo, exec_lo, s11
	s_delay_alu instid0(SALU_CYCLE_1)
	s_mov_b32 s11, exec_lo
	v_cmpx_gt_u32_e64 s9, v37
	s_cbranch_execz .LBB1670_530
.LBB1670_529:                           ;   in Loop: Header=BB1670_518 Depth=2
	s_wait_loadcnt 0x0
	v_add_co_u32 v11, s0, s0, v1
	s_wait_alu 0xf1ff
	v_add_co_ci_u32_e64 v12, null, s1, 0, s0
	global_load_u8 v2, v[11:12], off offset:1792
.LBB1670_530:                           ;   in Loop: Header=BB1670_518 Depth=2
	s_wait_alu 0xfffe
	s_or_b32 exec_lo, exec_lo, s11
	s_wait_loadcnt 0x0
	v_dual_mov_b32 v11, v7 :: v_dual_mov_b32 v12, v10
	v_dual_mov_b32 v13, v9 :: v_dual_mov_b32 v14, v8
	;; [unrolled: 1-line block ×4, first 2 shown]
	s_mov_b32 s0, s9
.LBB1670_531:                           ;   in Loop: Header=BB1670_518 Depth=2
	s_wait_loadcnt 0x5
	s_delay_alu instid0(VALU_DEP_1)
	v_dual_mov_b32 v2, v18 :: v_dual_mov_b32 v5, v16
	s_wait_loadcnt 0x2
	v_dual_mov_b32 v4, v17 :: v_dual_mov_b32 v9, v13
	s_wait_loadcnt 0x0
	v_dual_mov_b32 v6, v15 :: v_dual_mov_b32 v7, v11
	v_mov_b32_e32 v8, v14
	v_mov_b32_e32 v10, v12
	s_mov_b32 s1, exec_lo
	s_wait_alu 0xfffe
	v_cmpx_gt_u32_e64 s0, v1
	s_cbranch_execnz .LBB1670_539
; %bb.532:                              ;   in Loop: Header=BB1670_518 Depth=2
	s_or_b32 exec_lo, exec_lo, s1
	s_delay_alu instid0(SALU_CYCLE_1)
	s_mov_b32 s1, exec_lo
	v_cmpx_gt_u32_e64 s0, v29
	s_cbranch_execnz .LBB1670_540
.LBB1670_533:                           ;   in Loop: Header=BB1670_518 Depth=2
	s_wait_alu 0xfffe
	s_or_b32 exec_lo, exec_lo, s1
	s_delay_alu instid0(SALU_CYCLE_1)
	s_mov_b32 s1, exec_lo
	v_cmpx_gt_u32_e64 s0, v30
	s_cbranch_execnz .LBB1670_541
.LBB1670_534:                           ;   in Loop: Header=BB1670_518 Depth=2
	s_wait_alu 0xfffe
	s_or_b32 exec_lo, exec_lo, s1
	s_delay_alu instid0(SALU_CYCLE_1)
	s_mov_b32 s1, exec_lo
	v_cmpx_gt_u32_e64 s0, v31
	s_cbranch_execnz .LBB1670_542
.LBB1670_535:                           ;   in Loop: Header=BB1670_518 Depth=2
	s_wait_alu 0xfffe
	s_or_b32 exec_lo, exec_lo, s1
	s_delay_alu instid0(SALU_CYCLE_1)
	s_mov_b32 s1, exec_lo
	v_cmpx_gt_u32_e64 s0, v34
	s_cbranch_execnz .LBB1670_543
.LBB1670_536:                           ;   in Loop: Header=BB1670_518 Depth=2
	s_wait_alu 0xfffe
	s_or_b32 exec_lo, exec_lo, s1
	s_delay_alu instid0(SALU_CYCLE_1)
	s_mov_b32 s1, exec_lo
	v_cmpx_gt_u32_e64 s0, v35
	s_cbranch_execnz .LBB1670_544
.LBB1670_537:                           ;   in Loop: Header=BB1670_518 Depth=2
	s_wait_alu 0xfffe
	s_or_b32 exec_lo, exec_lo, s1
	s_delay_alu instid0(SALU_CYCLE_1)
	s_mov_b32 s1, exec_lo
	v_cmpx_gt_u32_e64 s0, v36
	s_cbranch_execnz .LBB1670_545
.LBB1670_538:                           ;   in Loop: Header=BB1670_518 Depth=2
	s_wait_alu 0xfffe
	s_or_b32 exec_lo, exec_lo, s1
	v_cmp_gt_u32_e32 vcc_lo, s0, v37
	s_and_saveexec_b32 s0, vcc_lo
	s_cbranch_execz .LBB1670_517
	s_branch .LBB1670_546
.LBB1670_539:                           ;   in Loop: Header=BB1670_518 Depth=2
	v_and_b32_e32 v11, 1, v7
	s_delay_alu instid0(VALU_DEP_1) | instskip(NEXT) | instid1(VALU_DEP_1)
	v_lshrrev_b32_e32 v11, s45, v11
	v_and_b32_e32 v11, s31, v11
	s_delay_alu instid0(VALU_DEP_1) | instskip(SKIP_2) | instid1(SALU_CYCLE_1)
	v_lshl_or_b32 v11, v11, 4, v39
	ds_add_u32 v11, v61
	s_or_b32 exec_lo, exec_lo, s1
	s_mov_b32 s1, exec_lo
	v_cmpx_gt_u32_e64 s0, v29
	s_cbranch_execz .LBB1670_533
.LBB1670_540:                           ;   in Loop: Header=BB1670_518 Depth=2
	v_and_b32_e32 v11, 1, v10
	s_delay_alu instid0(VALU_DEP_1) | instskip(NEXT) | instid1(VALU_DEP_1)
	v_lshrrev_b32_e32 v11, s45, v11
	v_and_b32_e32 v11, s31, v11
	s_delay_alu instid0(VALU_DEP_1) | instskip(SKIP_3) | instid1(SALU_CYCLE_1)
	v_lshl_or_b32 v11, v11, 4, v39
	ds_add_u32 v11, v61
	s_wait_alu 0xfffe
	s_or_b32 exec_lo, exec_lo, s1
	s_mov_b32 s1, exec_lo
	v_cmpx_gt_u32_e64 s0, v30
	s_cbranch_execz .LBB1670_534
.LBB1670_541:                           ;   in Loop: Header=BB1670_518 Depth=2
	v_and_b32_e32 v11, 1, v9
	s_delay_alu instid0(VALU_DEP_1) | instskip(NEXT) | instid1(VALU_DEP_1)
	v_lshrrev_b32_e32 v11, s45, v11
	v_and_b32_e32 v11, s31, v11
	s_delay_alu instid0(VALU_DEP_1) | instskip(SKIP_3) | instid1(SALU_CYCLE_1)
	v_lshl_or_b32 v11, v11, 4, v39
	ds_add_u32 v11, v61
	s_wait_alu 0xfffe
	s_or_b32 exec_lo, exec_lo, s1
	s_mov_b32 s1, exec_lo
	v_cmpx_gt_u32_e64 s0, v31
	s_cbranch_execz .LBB1670_535
.LBB1670_542:                           ;   in Loop: Header=BB1670_518 Depth=2
	v_and_b32_e32 v11, 1, v8
	s_delay_alu instid0(VALU_DEP_1) | instskip(NEXT) | instid1(VALU_DEP_1)
	v_lshrrev_b32_e32 v11, s45, v11
	v_and_b32_e32 v11, s31, v11
	s_delay_alu instid0(VALU_DEP_1) | instskip(SKIP_3) | instid1(SALU_CYCLE_1)
	v_lshl_or_b32 v11, v11, 4, v39
	ds_add_u32 v11, v61
	s_wait_alu 0xfffe
	s_or_b32 exec_lo, exec_lo, s1
	s_mov_b32 s1, exec_lo
	v_cmpx_gt_u32_e64 s0, v34
	s_cbranch_execz .LBB1670_536
.LBB1670_543:                           ;   in Loop: Header=BB1670_518 Depth=2
	v_and_b32_e32 v11, 1, v6
	s_delay_alu instid0(VALU_DEP_1) | instskip(NEXT) | instid1(VALU_DEP_1)
	v_lshrrev_b32_e32 v11, s45, v11
	v_and_b32_e32 v11, s31, v11
	s_delay_alu instid0(VALU_DEP_1) | instskip(SKIP_3) | instid1(SALU_CYCLE_1)
	v_lshl_or_b32 v11, v11, 4, v39
	ds_add_u32 v11, v61
	s_wait_alu 0xfffe
	s_or_b32 exec_lo, exec_lo, s1
	s_mov_b32 s1, exec_lo
	v_cmpx_gt_u32_e64 s0, v35
	s_cbranch_execz .LBB1670_537
.LBB1670_544:                           ;   in Loop: Header=BB1670_518 Depth=2
	v_and_b32_e32 v11, 1, v5
	s_delay_alu instid0(VALU_DEP_1) | instskip(NEXT) | instid1(VALU_DEP_1)
	v_lshrrev_b32_e32 v11, s45, v11
	v_and_b32_e32 v11, s31, v11
	s_delay_alu instid0(VALU_DEP_1) | instskip(SKIP_3) | instid1(SALU_CYCLE_1)
	v_lshl_or_b32 v11, v11, 4, v39
	ds_add_u32 v11, v61
	s_wait_alu 0xfffe
	s_or_b32 exec_lo, exec_lo, s1
	s_mov_b32 s1, exec_lo
	v_cmpx_gt_u32_e64 s0, v36
	s_cbranch_execz .LBB1670_538
.LBB1670_545:                           ;   in Loop: Header=BB1670_518 Depth=2
	v_and_b32_e32 v11, 1, v4
	s_delay_alu instid0(VALU_DEP_1) | instskip(NEXT) | instid1(VALU_DEP_1)
	v_lshrrev_b32_e32 v11, s45, v11
	v_and_b32_e32 v11, s31, v11
	s_delay_alu instid0(VALU_DEP_1)
	v_lshl_or_b32 v11, v11, 4, v39
	ds_add_u32 v11, v61
	s_wait_alu 0xfffe
	s_or_b32 exec_lo, exec_lo, s1
	v_cmp_gt_u32_e32 vcc_lo, s0, v37
	s_and_saveexec_b32 s0, vcc_lo
	s_cbranch_execz .LBB1670_517
.LBB1670_546:                           ;   in Loop: Header=BB1670_518 Depth=2
	v_and_b32_e32 v11, 1, v2
	s_delay_alu instid0(VALU_DEP_1) | instskip(NEXT) | instid1(VALU_DEP_1)
	v_lshrrev_b32_e32 v11, s45, v11
	v_and_b32_e32 v11, s31, v11
	s_delay_alu instid0(VALU_DEP_1)
	v_lshl_or_b32 v11, v11, 4, v39
	ds_add_u32 v11, v61
	s_branch .LBB1670_517
.LBB1670_547:                           ;   in Loop: Header=BB1670_518 Depth=2
	s_wait_loadcnt 0x0
	s_wait_alu 0xfffe
	v_add_co_u32 v11, s12, s0, v1
	s_wait_alu 0xf1ff
	v_add_co_ci_u32_e64 v12, null, s1, 0, s12
	global_load_u8 v7, v[11:12], off
	s_or_b32 exec_lo, exec_lo, s11
	s_delay_alu instid0(SALU_CYCLE_1)
	s_mov_b32 s11, exec_lo
	v_cmpx_gt_u32_e64 s9, v29
	s_cbranch_execz .LBB1670_523
.LBB1670_548:                           ;   in Loop: Header=BB1670_518 Depth=2
	v_add_co_u32 v10, s12, s0, v1
	s_wait_loadcnt 0x0
	s_wait_alu 0xf1ff
	v_add_co_ci_u32_e64 v11, null, s1, 0, s12
	global_load_u8 v10, v[10:11], off offset:256
	s_wait_alu 0xfffe
	s_or_b32 exec_lo, exec_lo, s11
	s_delay_alu instid0(SALU_CYCLE_1)
	s_mov_b32 s11, exec_lo
	v_cmpx_gt_u32_e64 s9, v30
	s_cbranch_execz .LBB1670_524
.LBB1670_549:                           ;   in Loop: Header=BB1670_518 Depth=2
	s_wait_loadcnt 0x0
	v_add_co_u32 v11, s12, s0, v1
	s_wait_alu 0xf1ff
	v_add_co_ci_u32_e64 v12, null, s1, 0, s12
	global_load_u8 v9, v[11:12], off offset:512
	s_wait_alu 0xfffe
	s_or_b32 exec_lo, exec_lo, s11
	s_delay_alu instid0(SALU_CYCLE_1)
	s_mov_b32 s11, exec_lo
	v_cmpx_gt_u32_e64 s9, v31
	s_cbranch_execz .LBB1670_525
.LBB1670_550:                           ;   in Loop: Header=BB1670_518 Depth=2
	s_wait_loadcnt 0x0
	v_add_co_u32 v11, s12, s0, v1
	s_wait_alu 0xf1ff
	v_add_co_ci_u32_e64 v12, null, s1, 0, s12
	global_load_u8 v8, v[11:12], off offset:768
	s_wait_alu 0xfffe
	s_or_b32 exec_lo, exec_lo, s11
	s_delay_alu instid0(SALU_CYCLE_1)
	s_mov_b32 s11, exec_lo
	v_cmpx_gt_u32_e64 s9, v34
	s_cbranch_execz .LBB1670_526
.LBB1670_551:                           ;   in Loop: Header=BB1670_518 Depth=2
	s_wait_loadcnt 0x0
	v_add_co_u32 v11, s12, s0, v1
	s_wait_alu 0xf1ff
	v_add_co_ci_u32_e64 v12, null, s1, 0, s12
	global_load_u8 v6, v[11:12], off offset:1024
	s_wait_alu 0xfffe
	s_or_b32 exec_lo, exec_lo, s11
	s_delay_alu instid0(SALU_CYCLE_1)
	s_mov_b32 s11, exec_lo
	v_cmpx_gt_u32_e64 s9, v35
	s_cbranch_execz .LBB1670_527
.LBB1670_552:                           ;   in Loop: Header=BB1670_518 Depth=2
	s_wait_loadcnt 0x0
	v_add_co_u32 v11, s12, s0, v1
	s_wait_alu 0xf1ff
	v_add_co_ci_u32_e64 v12, null, s1, 0, s12
	global_load_u8 v5, v[11:12], off offset:1280
	s_wait_alu 0xfffe
	s_or_b32 exec_lo, exec_lo, s11
	s_delay_alu instid0(SALU_CYCLE_1)
	s_mov_b32 s11, exec_lo
	v_cmpx_gt_u32_e64 s9, v36
	s_cbranch_execz .LBB1670_528
.LBB1670_553:                           ;   in Loop: Header=BB1670_518 Depth=2
	s_wait_loadcnt 0x0
	v_add_co_u32 v11, s12, s0, v1
	s_wait_alu 0xf1ff
	v_add_co_ci_u32_e64 v12, null, s1, 0, s12
	global_load_u8 v4, v[11:12], off offset:1536
	s_wait_alu 0xfffe
	s_or_b32 exec_lo, exec_lo, s11
	s_delay_alu instid0(SALU_CYCLE_1)
	s_mov_b32 s11, exec_lo
	v_cmpx_gt_u32_e64 s9, v37
	s_cbranch_execnz .LBB1670_529
	s_branch .LBB1670_530
.LBB1670_554:                           ;   in Loop: Header=BB1670_20 Depth=1
	v_mov_b32_e32 v2, 0
	s_wait_dscnt 0x0
	s_barrier_signal -1
	s_barrier_wait -1
	global_inv scope:SCOPE_SE
	s_and_saveexec_b32 s0, s2
	s_cbranch_execz .LBB1670_556
; %bb.555:                              ;   in Loop: Header=BB1670_20 Depth=1
	ds_load_2addr_b64 v[4:7], v40 offset1:1
	s_wait_dscnt 0x0
	v_add_nc_u32_e32 v2, v5, v4
	s_delay_alu instid0(VALU_DEP_1)
	v_add3_u32 v2, v2, v6, v7
.LBB1670_556:                           ;   in Loop: Header=BB1670_20 Depth=1
	s_wait_alu 0xfffe
	s_or_b32 exec_lo, exec_lo, s0
	s_delay_alu instid0(VALU_DEP_1)
	v_mov_b32_dpp v4, v2 row_shr:1 row_mask:0xf bank_mask:0xf
	v_cmp_eq_u32_e64 s0, 0, v62
	v_cmp_lt_u32_e64 s1, 1, v62
	v_cmp_lt_u32_e64 s9, 3, v62
	;; [unrolled: 1-line block ×3, first 2 shown]
	v_cmp_eq_u32_e64 s11, 0, v64
	s_wait_alu 0xf1ff
	v_cndmask_b32_e64 v4, v4, 0, s0
	s_delay_alu instid0(VALU_DEP_1) | instskip(NEXT) | instid1(VALU_DEP_1)
	v_add_nc_u32_e32 v2, v4, v2
	v_mov_b32_dpp v4, v2 row_shr:2 row_mask:0xf bank_mask:0xf
	s_delay_alu instid0(VALU_DEP_1) | instskip(NEXT) | instid1(VALU_DEP_1)
	v_cndmask_b32_e64 v4, 0, v4, s1
	v_add_nc_u32_e32 v2, v2, v4
	s_delay_alu instid0(VALU_DEP_1) | instskip(NEXT) | instid1(VALU_DEP_1)
	v_mov_b32_dpp v4, v2 row_shr:4 row_mask:0xf bank_mask:0xf
	v_cndmask_b32_e64 v4, 0, v4, s9
	s_delay_alu instid0(VALU_DEP_1) | instskip(NEXT) | instid1(VALU_DEP_1)
	v_add_nc_u32_e32 v2, v2, v4
	v_mov_b32_dpp v4, v2 row_shr:8 row_mask:0xf bank_mask:0xf
	s_delay_alu instid0(VALU_DEP_1) | instskip(NEXT) | instid1(VALU_DEP_1)
	v_cndmask_b32_e64 v4, 0, v4, s10
	v_add_nc_u32_e32 v2, v2, v4
	ds_swizzle_b32 v4, v2 offset:swizzle(BROADCAST,32,15)
	s_wait_dscnt 0x0
	v_and_b32_e32 v4, v63, v4
	s_delay_alu instid0(VALU_DEP_1)
	v_add_nc_u32_e32 v2, v2, v4
	s_and_saveexec_b32 s12, s3
; %bb.557:                              ;   in Loop: Header=BB1670_20 Depth=1
	ds_store_b32 v41, v2
; %bb.558:                              ;   in Loop: Header=BB1670_20 Depth=1
	s_wait_alu 0xfffe
	s_or_b32 exec_lo, exec_lo, s12
	s_wait_loadcnt_dscnt 0x0
	s_barrier_signal -1
	s_barrier_wait -1
	global_inv scope:SCOPE_SE
	s_and_saveexec_b32 s12, s4
	s_cbranch_execz .LBB1670_560
; %bb.559:                              ;   in Loop: Header=BB1670_20 Depth=1
	ds_load_b32 v4, v42
	v_cmp_ne_u32_e32 vcc_lo, 0, v65
	s_wait_dscnt 0x0
	v_mov_b32_dpp v5, v4 row_shr:1 row_mask:0xf bank_mask:0xf
	s_wait_alu 0xfffd
	s_delay_alu instid0(VALU_DEP_1) | instskip(SKIP_1) | instid1(VALU_DEP_2)
	v_cndmask_b32_e32 v5, 0, v5, vcc_lo
	v_cmp_lt_u32_e32 vcc_lo, 1, v65
	v_add_nc_u32_e32 v4, v5, v4
	s_delay_alu instid0(VALU_DEP_1) | instskip(SKIP_1) | instid1(VALU_DEP_1)
	v_mov_b32_dpp v5, v4 row_shr:2 row_mask:0xf bank_mask:0xf
	s_wait_alu 0xfffd
	v_cndmask_b32_e32 v5, 0, v5, vcc_lo
	v_cmp_lt_u32_e32 vcc_lo, 3, v65
	s_delay_alu instid0(VALU_DEP_2) | instskip(NEXT) | instid1(VALU_DEP_1)
	v_add_nc_u32_e32 v4, v4, v5
	v_mov_b32_dpp v5, v4 row_shr:4 row_mask:0xf bank_mask:0xf
	s_wait_alu 0xfffd
	s_delay_alu instid0(VALU_DEP_1) | instskip(NEXT) | instid1(VALU_DEP_1)
	v_cndmask_b32_e32 v5, 0, v5, vcc_lo
	v_add_nc_u32_e32 v4, v4, v5
	ds_store_b32 v42, v4
.LBB1670_560:                           ;   in Loop: Header=BB1670_20 Depth=1
	s_wait_alu 0xfffe
	s_or_b32 exec_lo, exec_lo, s12
	v_mov_b32_e32 v4, 0
	s_wait_loadcnt_dscnt 0x0
	s_barrier_signal -1
	s_barrier_wait -1
	global_inv scope:SCOPE_SE
	s_and_saveexec_b32 s12, s5
; %bb.561:                              ;   in Loop: Header=BB1670_20 Depth=1
	ds_load_b32 v4, v43
; %bb.562:                              ;   in Loop: Header=BB1670_20 Depth=1
	s_wait_alu 0xfffe
	s_or_b32 exec_lo, exec_lo, s12
	v_cmp_gt_i32_e32 vcc_lo, 0, v67
	s_wait_dscnt 0x0
	v_add_nc_u32_e32 v2, v4, v2
	s_wait_loadcnt 0x0
	s_barrier_signal -1
	s_barrier_wait -1
	s_wait_alu 0xfffd
	v_cndmask_b32_e32 v5, v67, v58, vcc_lo
	global_inv scope:SCOPE_SE
	v_lshlrev_b32_e32 v80, 2, v5
	ds_bpermute_b32 v2, v80, v2
	s_and_saveexec_b32 s12, s2
	s_cbranch_execz .LBB1670_564
; %bb.563:                              ;   in Loop: Header=BB1670_20 Depth=1
	s_wait_dscnt 0x0
	v_cndmask_b32_e64 v2, v2, v4, s8
	s_delay_alu instid0(VALU_DEP_1)
	v_add_nc_u32_e32 v2, s33, v2
	ds_store_b32 v28, v2
.LBB1670_564:                           ;   in Loop: Header=BB1670_20 Depth=1
	s_wait_alu 0xfffe
	s_or_b32 exec_lo, exec_lo, s12
	s_load_b64 s[12:13], s[28:29], 0x0
	v_add_co_u32 v81, vcc_lo, v56, v66
	s_wait_alu 0xfffd
	v_add_co_ci_u32_e64 v82, null, 0, v57, vcc_lo
	v_add_co_u32 v83, vcc_lo, v59, v58
	s_wait_alu 0xfffd
	v_add_co_ci_u32_e64 v84, null, 0, v60, vcc_lo
	s_mov_b32 s42, s47
                                        ; implicit-def: $vgpr6_vgpr7
                                        ; implicit-def: $vgpr8_vgpr9
                                        ; implicit-def: $vgpr10_vgpr11
                                        ; implicit-def: $vgpr12_vgpr13
                                        ; implicit-def: $vgpr14_vgpr15
                                        ; implicit-def: $vgpr16_vgpr17
                                        ; implicit-def: $vgpr18_vgpr19
                                        ; implicit-def: $vgpr86
                                        ; implicit-def: $vgpr87
                                        ; implicit-def: $vgpr88
                                        ; implicit-def: $vgpr89
                                        ; implicit-def: $vgpr90
                                        ; implicit-def: $vgpr91
                                        ; implicit-def: $vgpr92
                                        ; implicit-def: $vgpr93
	s_wait_kmcnt 0x0
	s_cmp_lt_u32 ttmp7, s13
	s_cselect_b32 s22, 14, 20
	s_cmp_lt_u32 ttmp9, s12
	s_wait_alu 0xfffe
	s_add_nc_u64 s[14:15], s[28:29], s[22:23]
	s_cselect_b32 s22, 12, 18
	s_load_u16 s14, s[14:15], 0x0
	s_add_nc_u64 s[12:13], s[28:29], s[22:23]
	s_mov_b32 s22, s33
	s_load_u16 s12, s[12:13], 0x0
	v_cmp_lt_u32_e64 s13, 1, v65
	s_wait_dscnt 0x0
	s_wait_kmcnt 0x0
	v_mad_u32_u24 v2, v44, s14, v0
	v_cmp_lt_u32_e64 s14, 3, v65
	s_delay_alu instid0(VALU_DEP_2) | instskip(SKIP_1) | instid1(VALU_DEP_2)
	v_mad_co_u64_u32 v[4:5], null, v2, s12, v[1:2]
	v_cmp_eq_u32_e64 s12, 0, v65
	v_lshrrev_b32_e32 v2, 3, v4
                                        ; implicit-def: $vgpr4_vgpr5
	s_delay_alu instid0(VALU_DEP_1)
	v_and_b32_e32 v85, 0x1ffffffc, v2
	s_branch .LBB1670_566
.LBB1670_565:                           ;   in Loop: Header=BB1670_566 Depth=2
	s_wait_alu 0xfffe
	s_or_b32 exec_lo, exec_lo, s15
	s_addk_co_i32 s42, 0xf800
	s_cmp_lt_u32 s43, s34
	s_mov_b32 s22, s43
	s_cbranch_scc0 .LBB1670_18
.LBB1670_566:                           ;   Parent Loop BB1670_20 Depth=1
                                        ; =>  This Inner Loop Header: Depth=2
	s_wait_alu 0xfffe
	s_add_co_i32 s43, s22, 0x800
	s_wait_alu 0xfffe
	s_cmp_gt_u32 s43, s34
	s_cbranch_scc1 .LBB1670_568
; %bb.567:                              ;   in Loop: Header=BB1670_566 Depth=2
	v_add_co_u32 v20, vcc_lo, v83, s22
	s_wait_alu 0xfffd
	v_add_co_ci_u32_e64 v21, null, 0, v84, vcc_lo
	s_mov_b32 s15, -1
	s_clause 0x6
	global_load_u8 v94, v[20:21], off
	global_load_u8 v95, v[20:21], off offset:32
	global_load_u8 v96, v[20:21], off offset:64
	;; [unrolled: 1-line block ×6, first 2 shown]
	s_movk_i32 s16, 0x800
	s_cbranch_execz .LBB1670_569
	s_branch .LBB1670_584
.LBB1670_568:                           ;   in Loop: Header=BB1670_566 Depth=2
	s_mov_b32 s15, 0
                                        ; implicit-def: $vgpr94
                                        ; implicit-def: $vgpr95
                                        ; implicit-def: $vgpr96
                                        ; implicit-def: $vgpr97
                                        ; implicit-def: $vgpr98
                                        ; implicit-def: $vgpr99
                                        ; implicit-def: $vgpr100
	s_movk_i32 s16, 0x800
.LBB1670_569:                           ;   in Loop: Header=BB1670_566 Depth=2
	v_add_co_u32 v20, vcc_lo, v83, s22
	s_wait_alu 0xfffd
	v_add_co_ci_u32_e64 v21, null, 0, v84, vcc_lo
	s_wait_loadcnt 0x5
	v_dual_mov_b32 v95, 1 :: v_dual_mov_b32 v94, 1
	s_mov_b32 s15, exec_lo
	v_cmpx_gt_u32_e64 s42, v68
	s_cbranch_execz .LBB1670_571
; %bb.570:                              ;   in Loop: Header=BB1670_566 Depth=2
	global_load_u8 v94, v[20:21], off
.LBB1670_571:                           ;   in Loop: Header=BB1670_566 Depth=2
	s_wait_alu 0xfffe
	s_or_b32 exec_lo, exec_lo, s15
	s_delay_alu instid0(SALU_CYCLE_1)
	s_mov_b32 s15, exec_lo
	v_cmpx_gt_u32_e64 s42, v71
	s_cbranch_execz .LBB1670_573
; %bb.572:                              ;   in Loop: Header=BB1670_566 Depth=2
	global_load_u8 v95, v[20:21], off offset:32
.LBB1670_573:                           ;   in Loop: Header=BB1670_566 Depth=2
	s_wait_alu 0xfffe
	s_or_b32 exec_lo, exec_lo, s15
	s_wait_loadcnt 0x3
	v_dual_mov_b32 v97, 1 :: v_dual_mov_b32 v96, 1
	s_mov_b32 s15, exec_lo
	v_cmpx_gt_u32_e64 s42, v72
	s_cbranch_execz .LBB1670_575
; %bb.574:                              ;   in Loop: Header=BB1670_566 Depth=2
	global_load_u8 v96, v[20:21], off offset:64
.LBB1670_575:                           ;   in Loop: Header=BB1670_566 Depth=2
	s_wait_alu 0xfffe
	s_or_b32 exec_lo, exec_lo, s15
	s_delay_alu instid0(SALU_CYCLE_1)
	s_mov_b32 s15, exec_lo
	v_cmpx_gt_u32_e64 s42, v73
	s_cbranch_execz .LBB1670_577
; %bb.576:                              ;   in Loop: Header=BB1670_566 Depth=2
	global_load_u8 v97, v[20:21], off offset:96
.LBB1670_577:                           ;   in Loop: Header=BB1670_566 Depth=2
	s_wait_alu 0xfffe
	s_or_b32 exec_lo, exec_lo, s15
	s_wait_loadcnt 0x1
	v_dual_mov_b32 v99, 1 :: v_dual_mov_b32 v98, 1
	s_mov_b32 s15, exec_lo
	v_cmpx_gt_u32_e64 s42, v74
	s_cbranch_execz .LBB1670_579
; %bb.578:                              ;   in Loop: Header=BB1670_566 Depth=2
	global_load_u8 v98, v[20:21], off offset:128
.LBB1670_579:                           ;   in Loop: Header=BB1670_566 Depth=2
	s_wait_alu 0xfffe
	s_or_b32 exec_lo, exec_lo, s15
	s_delay_alu instid0(SALU_CYCLE_1)
	s_mov_b32 s15, exec_lo
	v_cmpx_gt_u32_e64 s42, v75
	s_cbranch_execz .LBB1670_581
; %bb.580:                              ;   in Loop: Header=BB1670_566 Depth=2
	global_load_u8 v99, v[20:21], off offset:160
.LBB1670_581:                           ;   in Loop: Header=BB1670_566 Depth=2
	s_wait_alu 0xfffe
	s_or_b32 exec_lo, exec_lo, s15
	s_wait_loadcnt 0x0
	v_mov_b32_e32 v100, 1
	s_mov_b32 s15, exec_lo
	v_cmpx_gt_u32_e64 s42, v76
	s_cbranch_execz .LBB1670_583
; %bb.582:                              ;   in Loop: Header=BB1670_566 Depth=2
	global_load_u8 v100, v[20:21], off offset:192
.LBB1670_583:                           ;   in Loop: Header=BB1670_566 Depth=2
	s_wait_alu 0xfffe
	s_or_b32 exec_lo, exec_lo, s15
	v_cmp_gt_u32_e64 s15, s42, v77
	s_sub_co_i32 s16, s34, s22
.LBB1670_584:                           ;   in Loop: Header=BB1670_566 Depth=2
	v_dual_mov_b32 v101, 1 :: v_dual_mov_b32 v2, s42
	s_wait_alu 0xfffe
	s_and_saveexec_b32 s17, s15
	s_cbranch_execz .LBB1670_586
; %bb.585:                              ;   in Loop: Header=BB1670_566 Depth=2
	v_add_co_u32 v20, vcc_lo, v83, s22
	s_wait_alu 0xfffd
	v_add_co_ci_u32_e64 v21, null, s23, v84, vcc_lo
	v_mov_b32_e32 v2, s16
	global_load_u8 v101, v[20:21], off offset:224
.LBB1670_586:                           ;   in Loop: Header=BB1670_566 Depth=2
	s_wait_alu 0xfffe
	s_or_b32 exec_lo, exec_lo, s17
	s_wait_loadcnt 0x6
	v_and_b32_e32 v20, 0xff, v94
	v_add_nc_u32_e32 v103, 0x438, v45
	v_add_nc_u32_e32 v104, 0x420, v45
	;; [unrolled: 1-line block ×4, first 2 shown]
	v_lshrrev_b32_e32 v20, s45, v20
	ds_store_2addr_b32 v103, v3, v3 offset1:1
	ds_store_2addr_b32 v104, v3, v3 offset1:1
	;; [unrolled: 1-line block ×4, first 2 shown]
	ds_store_b32 v45, v3 offset:1088
	s_wait_loadcnt_dscnt 0x0
	s_barrier_signal -1
	v_and_b32_e32 v21, s31, v20
	s_barrier_wait -1
	global_inv scope:SCOPE_SE
	; wave barrier
	v_add_co_u32 v20, s15, v21, -1
	s_wait_alu 0xf1ff
	v_cndmask_b32_e64 v22, 0, 1, s15
	v_mul_u32_u24_e32 v21, 36, v21
	s_delay_alu instid0(VALU_DEP_2) | instskip(NEXT) | instid1(VALU_DEP_2)
	v_cmp_ne_u32_e32 vcc_lo, 0, v22
	v_add_nc_u32_e32 v108, v85, v21
	s_wait_alu 0xfffd
	v_xor_b32_e32 v20, vcc_lo, v20
	s_delay_alu instid0(VALU_DEP_1) | instskip(NEXT) | instid1(VALU_DEP_1)
	v_and_b32_e32 v20, exec_lo, v20
	v_mbcnt_lo_u32_b32 v102, v20, 0
	v_cmp_ne_u32_e64 s15, 0, v20
	s_delay_alu instid0(VALU_DEP_2)
	v_cmp_eq_u32_e32 vcc_lo, 0, v102
	s_and_b32 s16, s15, vcc_lo
	s_wait_alu 0xfffe
	s_and_saveexec_b32 s15, s16
; %bb.587:                              ;   in Loop: Header=BB1670_566 Depth=2
	v_bcnt_u32_b32 v20, v20, 0
	ds_store_b32 v108, v20 offset:1056
; %bb.588:                              ;   in Loop: Header=BB1670_566 Depth=2
	s_wait_alu 0xfffe
	s_or_b32 exec_lo, exec_lo, s15
	v_and_b32_e32 v20, 0xff, v95
	; wave barrier
	s_delay_alu instid0(VALU_DEP_1) | instskip(NEXT) | instid1(VALU_DEP_1)
	v_lshrrev_b32_e32 v20, s45, v20
	v_and_b32_e32 v21, s31, v20
	s_delay_alu instid0(VALU_DEP_1) | instskip(SKIP_2) | instid1(VALU_DEP_1)
	v_add_co_u32 v20, s15, v21, -1
	s_wait_alu 0xf1ff
	v_cndmask_b32_e64 v22, 0, 1, s15
	v_cmp_ne_u32_e32 vcc_lo, 0, v22
	v_mad_u32_u24 v22, v21, 36, v85
	v_mul_u32_u24_e32 v21, 36, v21
	s_wait_alu 0xfffd
	v_xor_b32_e32 v20, vcc_lo, v20
	ds_load_b32 v107, v22 offset:1056
	v_add_nc_u32_e32 v112, v85, v21
	; wave barrier
	v_and_b32_e32 v20, exec_lo, v20
	s_delay_alu instid0(VALU_DEP_1) | instskip(SKIP_1) | instid1(VALU_DEP_2)
	v_mbcnt_lo_u32_b32 v109, v20, 0
	v_cmp_ne_u32_e64 s15, 0, v20
	v_cmp_eq_u32_e32 vcc_lo, 0, v109
	s_and_b32 s16, s15, vcc_lo
	s_wait_alu 0xfffe
	s_and_saveexec_b32 s15, s16
	s_cbranch_execz .LBB1670_590
; %bb.589:                              ;   in Loop: Header=BB1670_566 Depth=2
	s_wait_dscnt 0x0
	v_bcnt_u32_b32 v20, v20, v107
	ds_store_b32 v112, v20 offset:1056
.LBB1670_590:                           ;   in Loop: Header=BB1670_566 Depth=2
	s_wait_alu 0xfffe
	s_or_b32 exec_lo, exec_lo, s15
	v_and_b32_e32 v20, 0xff, v96
	; wave barrier
	s_delay_alu instid0(VALU_DEP_1) | instskip(NEXT) | instid1(VALU_DEP_1)
	v_lshrrev_b32_e32 v20, s45, v20
	v_and_b32_e32 v21, s31, v20
	s_delay_alu instid0(VALU_DEP_1) | instskip(SKIP_2) | instid1(VALU_DEP_1)
	v_add_co_u32 v20, s15, v21, -1
	s_wait_alu 0xf1ff
	v_cndmask_b32_e64 v22, 0, 1, s15
	v_cmp_ne_u32_e32 vcc_lo, 0, v22
	v_mad_u32_u24 v22, v21, 36, v85
	v_mul_u32_u24_e32 v21, 36, v21
	s_wait_alu 0xfffd
	v_xor_b32_e32 v20, vcc_lo, v20
	ds_load_b32 v110, v22 offset:1056
	v_add_nc_u32_e32 v115, v85, v21
	; wave barrier
	v_and_b32_e32 v20, exec_lo, v20
	s_delay_alu instid0(VALU_DEP_1) | instskip(SKIP_1) | instid1(VALU_DEP_2)
	v_mbcnt_lo_u32_b32 v111, v20, 0
	v_cmp_ne_u32_e64 s15, 0, v20
	v_cmp_eq_u32_e32 vcc_lo, 0, v111
	s_and_b32 s16, s15, vcc_lo
	s_wait_alu 0xfffe
	s_and_saveexec_b32 s15, s16
	s_cbranch_execz .LBB1670_592
; %bb.591:                              ;   in Loop: Header=BB1670_566 Depth=2
	s_wait_dscnt 0x0
	v_bcnt_u32_b32 v20, v20, v110
	ds_store_b32 v115, v20 offset:1056
.LBB1670_592:                           ;   in Loop: Header=BB1670_566 Depth=2
	;; [unrolled: 33-line block ×7, first 2 shown]
	s_wait_alu 0xfffe
	s_or_b32 exec_lo, exec_lo, s15
	; wave barrier
	s_wait_loadcnt_dscnt 0x0
	s_barrier_signal -1
	s_barrier_wait -1
	global_inv scope:SCOPE_SE
	ds_load_2addr_b32 v[26:27], v104 offset1:1
	ds_load_2addr_b32 v[24:25], v105 offset1:1
	;; [unrolled: 1-line block ×4, first 2 shown]
	ds_load_b32 v129, v45 offset:1088
	s_wait_dscnt 0x3
	v_add3_u32 v130, v27, v26, v24
	s_wait_dscnt 0x2
	s_delay_alu instid0(VALU_DEP_1) | instskip(SKIP_1) | instid1(VALU_DEP_1)
	v_add3_u32 v130, v130, v25, v22
	s_wait_dscnt 0x1
	v_add3_u32 v130, v130, v23, v20
	s_wait_dscnt 0x0
	s_delay_alu instid0(VALU_DEP_1) | instskip(NEXT) | instid1(VALU_DEP_1)
	v_add3_u32 v129, v130, v21, v129
	v_mov_b32_dpp v130, v129 row_shr:1 row_mask:0xf bank_mask:0xf
	s_delay_alu instid0(VALU_DEP_1) | instskip(NEXT) | instid1(VALU_DEP_1)
	v_cndmask_b32_e64 v130, v130, 0, s0
	v_add_nc_u32_e32 v129, v130, v129
	s_delay_alu instid0(VALU_DEP_1) | instskip(NEXT) | instid1(VALU_DEP_1)
	v_mov_b32_dpp v130, v129 row_shr:2 row_mask:0xf bank_mask:0xf
	v_cndmask_b32_e64 v130, 0, v130, s1
	s_delay_alu instid0(VALU_DEP_1) | instskip(NEXT) | instid1(VALU_DEP_1)
	v_add_nc_u32_e32 v129, v129, v130
	v_mov_b32_dpp v130, v129 row_shr:4 row_mask:0xf bank_mask:0xf
	s_delay_alu instid0(VALU_DEP_1) | instskip(NEXT) | instid1(VALU_DEP_1)
	v_cndmask_b32_e64 v130, 0, v130, s9
	v_add_nc_u32_e32 v129, v129, v130
	s_delay_alu instid0(VALU_DEP_1) | instskip(NEXT) | instid1(VALU_DEP_1)
	v_mov_b32_dpp v130, v129 row_shr:8 row_mask:0xf bank_mask:0xf
	v_cndmask_b32_e64 v130, 0, v130, s10
	s_delay_alu instid0(VALU_DEP_1) | instskip(SKIP_3) | instid1(VALU_DEP_1)
	v_add_nc_u32_e32 v129, v129, v130
	ds_swizzle_b32 v130, v129 offset:swizzle(BROADCAST,32,15)
	s_wait_dscnt 0x0
	v_cndmask_b32_e64 v130, v130, 0, s11
	v_add_nc_u32_e32 v129, v129, v130
	s_and_saveexec_b32 s15, s3
; %bb.603:                              ;   in Loop: Header=BB1670_566 Depth=2
	ds_store_b32 v38, v129 offset:1024
; %bb.604:                              ;   in Loop: Header=BB1670_566 Depth=2
	s_wait_alu 0xfffe
	s_or_b32 exec_lo, exec_lo, s15
	s_wait_loadcnt_dscnt 0x0
	s_barrier_signal -1
	s_barrier_wait -1
	global_inv scope:SCOPE_SE
	s_and_saveexec_b32 s15, s4
	s_cbranch_execz .LBB1670_606
; %bb.605:                              ;   in Loop: Header=BB1670_566 Depth=2
	v_add_nc_u32_e32 v130, v45, v46
	ds_load_b32 v131, v130 offset:1024
	s_wait_dscnt 0x0
	v_mov_b32_dpp v132, v131 row_shr:1 row_mask:0xf bank_mask:0xf
	s_delay_alu instid0(VALU_DEP_1) | instskip(NEXT) | instid1(VALU_DEP_1)
	v_cndmask_b32_e64 v132, v132, 0, s12
	v_add_nc_u32_e32 v131, v132, v131
	s_delay_alu instid0(VALU_DEP_1) | instskip(NEXT) | instid1(VALU_DEP_1)
	v_mov_b32_dpp v132, v131 row_shr:2 row_mask:0xf bank_mask:0xf
	v_cndmask_b32_e64 v132, 0, v132, s13
	s_delay_alu instid0(VALU_DEP_1) | instskip(NEXT) | instid1(VALU_DEP_1)
	v_add_nc_u32_e32 v131, v131, v132
	v_mov_b32_dpp v132, v131 row_shr:4 row_mask:0xf bank_mask:0xf
	s_delay_alu instid0(VALU_DEP_1) | instskip(NEXT) | instid1(VALU_DEP_1)
	v_cndmask_b32_e64 v132, 0, v132, s14
	v_add_nc_u32_e32 v131, v131, v132
	ds_store_b32 v130, v131 offset:1024
.LBB1670_606:                           ;   in Loop: Header=BB1670_566 Depth=2
	s_wait_alu 0xfffe
	s_or_b32 exec_lo, exec_lo, s15
	v_mov_b32_e32 v130, 0
	s_wait_loadcnt_dscnt 0x0
	s_barrier_signal -1
	s_barrier_wait -1
	global_inv scope:SCOPE_SE
	s_and_saveexec_b32 s15, s5
; %bb.607:                              ;   in Loop: Header=BB1670_566 Depth=2
	ds_load_b32 v130, v38 offset:1020
; %bb.608:                              ;   in Loop: Header=BB1670_566 Depth=2
	s_wait_alu 0xfffe
	s_or_b32 exec_lo, exec_lo, s15
	s_wait_dscnt 0x0
	v_add_nc_u32_e32 v129, v130, v129
	ds_bpermute_b32 v129, v80, v129
	s_wait_dscnt 0x0
	v_cndmask_b32_e64 v129, v129, v130, s8
	s_delay_alu instid0(VALU_DEP_1) | instskip(NEXT) | instid1(VALU_DEP_1)
	v_cndmask_b32_e64 v129, v129, 0, s6
	v_add_nc_u32_e32 v26, v129, v26
	s_delay_alu instid0(VALU_DEP_1) | instskip(NEXT) | instid1(VALU_DEP_1)
	v_add_nc_u32_e32 v27, v26, v27
	v_add_nc_u32_e32 v24, v27, v24
	s_delay_alu instid0(VALU_DEP_1) | instskip(NEXT) | instid1(VALU_DEP_1)
	v_add_nc_u32_e32 v25, v24, v25
	v_add_nc_u32_e32 v22, v25, v22
	s_delay_alu instid0(VALU_DEP_1) | instskip(NEXT) | instid1(VALU_DEP_1)
	v_add_nc_u32_e32 v23, v22, v23
	v_add_nc_u32_e32 v20, v23, v20
	s_delay_alu instid0(VALU_DEP_1)
	v_add_nc_u32_e32 v21, v20, v21
	ds_store_2addr_b32 v103, v23, v20 offset1:1
	ds_store_2addr_b32 v104, v129, v26 offset1:1
	;; [unrolled: 1-line block ×4, first 2 shown]
	ds_store_b32 v45, v21 offset:1088
	s_wait_loadcnt_dscnt 0x0
	s_barrier_signal -1
	s_barrier_wait -1
	global_inv scope:SCOPE_SE
	ds_load_b32 v20, v108 offset:1056
	ds_load_b32 v21, v112 offset:1056
	;; [unrolled: 1-line block ×9, first 2 shown]
	v_mov_b32_e32 v22, 0x800
	s_and_saveexec_b32 s15, s7
; %bb.609:                              ;   in Loop: Header=BB1670_566 Depth=2
	ds_load_b32 v22, v45 offset:1092
; %bb.610:                              ;   in Loop: Header=BB1670_566 Depth=2
	s_wait_alu 0xfffe
	s_or_b32 exec_lo, exec_lo, s15
	s_wait_loadcnt_dscnt 0x0
	s_barrier_signal -1
	s_barrier_wait -1
	global_inv scope:SCOPE_SE
	s_and_saveexec_b32 s15, s2
	s_cbranch_execz .LBB1670_612
; %bb.611:                              ;   in Loop: Header=BB1670_566 Depth=2
	ds_load_b32 v27, v28
	s_wait_dscnt 0x0
	v_sub_nc_u32_e32 v26, v27, v26
	ds_store_b32 v28, v26
.LBB1670_612:                           ;   in Loop: Header=BB1670_566 Depth=2
	s_wait_alu 0xfffe
	s_or_b32 exec_lo, exec_lo, s15
	v_add_nc_u32_e32 v104, v20, v102
	v_add3_u32 v103, v109, v107, v21
	v_add3_u32 v102, v111, v110, v23
	;; [unrolled: 1-line block ×7, first 2 shown]
	v_cmp_lt_u32_e64 s20, v1, v2
	ds_store_b8 v104, v94 offset:1024
	ds_store_b8 v103, v95 offset:1024
	;; [unrolled: 1-line block ×8, first 2 shown]
	s_wait_loadcnt_dscnt 0x0
	s_barrier_signal -1
	s_barrier_wait -1
	global_inv scope:SCOPE_SE
	s_and_saveexec_b32 s15, s20
	s_cbranch_execnz .LBB1670_649
; %bb.613:                              ;   in Loop: Header=BB1670_566 Depth=2
	s_wait_alu 0xfffe
	s_or_b32 exec_lo, exec_lo, s15
	v_cmp_lt_u32_e64 s21, v29, v2
	s_and_saveexec_b32 s15, s21
	s_cbranch_execnz .LBB1670_650
.LBB1670_614:                           ;   in Loop: Header=BB1670_566 Depth=2
	s_wait_alu 0xfffe
	s_or_b32 exec_lo, exec_lo, s15
	v_cmp_lt_u32_e64 s19, v30, v2
	s_and_saveexec_b32 s15, s19
	s_cbranch_execnz .LBB1670_651
.LBB1670_615:                           ;   in Loop: Header=BB1670_566 Depth=2
	s_wait_alu 0xfffe
	s_or_b32 exec_lo, exec_lo, s15
	v_cmp_lt_u32_e64 s18, v31, v2
	s_and_saveexec_b32 s15, s18
	s_cbranch_execnz .LBB1670_652
.LBB1670_616:                           ;   in Loop: Header=BB1670_566 Depth=2
	s_wait_alu 0xfffe
	s_or_b32 exec_lo, exec_lo, s15
	v_cmp_lt_u32_e64 s17, v34, v2
	s_and_saveexec_b32 s15, s17
	s_cbranch_execnz .LBB1670_653
.LBB1670_617:                           ;   in Loop: Header=BB1670_566 Depth=2
	s_wait_alu 0xfffe
	s_or_b32 exec_lo, exec_lo, s15
	v_cmp_lt_u32_e64 s16, v35, v2
	s_and_saveexec_b32 s15, s16
	s_cbranch_execnz .LBB1670_654
.LBB1670_618:                           ;   in Loop: Header=BB1670_566 Depth=2
	s_wait_alu 0xfffe
	s_or_b32 exec_lo, exec_lo, s15
	v_cmp_lt_u32_e64 s15, v36, v2
	s_and_saveexec_b32 s44, s15
	s_cbranch_execnz .LBB1670_655
.LBB1670_619:                           ;   in Loop: Header=BB1670_566 Depth=2
	s_wait_alu 0xfffe
	s_or_b32 exec_lo, exec_lo, s44
	v_cmp_lt_u32_e32 vcc_lo, v37, v2
	s_and_saveexec_b32 s44, vcc_lo
	s_cbranch_execz .LBB1670_621
.LBB1670_620:                           ;   in Loop: Header=BB1670_566 Depth=2
	ds_load_u8 v20, v1 offset:2816
	s_wait_dscnt 0x0
	v_and_b32_e32 v21, 1, v20
	s_delay_alu instid0(VALU_DEP_1) | instskip(NEXT) | instid1(VALU_DEP_1)
	v_lshrrev_b32_e32 v21, s45, v21
	v_and_b32_e32 v21, s31, v21
	s_delay_alu instid0(VALU_DEP_1)
	v_lshlrev_b32_e32 v21, 2, v21
	ds_load_b32 v21, v21
	s_wait_dscnt 0x0
	v_add_nc_u32_e32 v21, v21, v37
	global_store_b8 v21, v20, s[40:41]
.LBB1670_621:                           ;   in Loop: Header=BB1670_566 Depth=2
	s_wait_alu 0xfffe
	s_or_b32 exec_lo, exec_lo, s44
	s_lshl_b64 s[48:49], s[22:23], 3
	s_wait_alu 0xfffe
	v_add_co_u32 v20, s22, v81, s48
	s_wait_alu 0xf1ff
	v_add_co_ci_u32_e64 v21, null, s49, v82, s22
	v_cmp_lt_u32_e64 s22, v68, v2
	s_and_saveexec_b32 s44, s22
	s_wait_alu 0xfffe
	s_xor_b32 s22, exec_lo, s44
	s_cbranch_execnz .LBB1670_656
; %bb.622:                              ;   in Loop: Header=BB1670_566 Depth=2
	s_wait_alu 0xfffe
	s_or_b32 exec_lo, exec_lo, s22
	s_delay_alu instid0(SALU_CYCLE_1)
	s_mov_b32 s44, exec_lo
	v_cmpx_lt_u32_e64 v71, v2
	s_cbranch_execnz .LBB1670_657
.LBB1670_623:                           ;   in Loop: Header=BB1670_566 Depth=2
	s_wait_alu 0xfffe
	s_or_b32 exec_lo, exec_lo, s44
	s_delay_alu instid0(SALU_CYCLE_1)
	s_mov_b32 s44, exec_lo
	v_cmpx_lt_u32_e64 v72, v2
	s_cbranch_execnz .LBB1670_658
.LBB1670_624:                           ;   in Loop: Header=BB1670_566 Depth=2
	s_wait_alu 0xfffe
	s_or_b32 exec_lo, exec_lo, s44
	s_delay_alu instid0(SALU_CYCLE_1)
	s_mov_b32 s44, exec_lo
	v_cmpx_lt_u32_e64 v73, v2
	s_cbranch_execnz .LBB1670_659
.LBB1670_625:                           ;   in Loop: Header=BB1670_566 Depth=2
	s_wait_alu 0xfffe
	s_or_b32 exec_lo, exec_lo, s44
	s_delay_alu instid0(SALU_CYCLE_1)
	s_mov_b32 s44, exec_lo
	v_cmpx_lt_u32_e64 v74, v2
	s_cbranch_execnz .LBB1670_660
.LBB1670_626:                           ;   in Loop: Header=BB1670_566 Depth=2
	s_wait_alu 0xfffe
	s_or_b32 exec_lo, exec_lo, s44
	s_delay_alu instid0(SALU_CYCLE_1)
	s_mov_b32 s44, exec_lo
	v_cmpx_lt_u32_e64 v75, v2
	s_cbranch_execnz .LBB1670_661
.LBB1670_627:                           ;   in Loop: Header=BB1670_566 Depth=2
	s_wait_alu 0xfffe
	s_or_b32 exec_lo, exec_lo, s44
	s_delay_alu instid0(SALU_CYCLE_1)
	s_mov_b32 s44, exec_lo
	v_cmpx_lt_u32_e64 v76, v2
	s_cbranch_execnz .LBB1670_662
.LBB1670_628:                           ;   in Loop: Header=BB1670_566 Depth=2
	s_wait_alu 0xfffe
	s_or_b32 exec_lo, exec_lo, s44
	s_delay_alu instid0(SALU_CYCLE_1)
	s_mov_b32 s44, exec_lo
	v_cmpx_lt_u32_e64 v77, v2
	s_cbranch_execnz .LBB1670_663
.LBB1670_629:                           ;   in Loop: Header=BB1670_566 Depth=2
	s_wait_alu 0xfffe
	s_or_b32 exec_lo, exec_lo, s44
	s_and_saveexec_b32 s22, s20
	s_cbranch_execnz .LBB1670_664
.LBB1670_630:                           ;   in Loop: Header=BB1670_566 Depth=2
	s_wait_alu 0xfffe
	s_or_b32 exec_lo, exec_lo, s22
	s_and_saveexec_b32 s22, s21
	s_cbranch_execnz .LBB1670_665
.LBB1670_631:                           ;   in Loop: Header=BB1670_566 Depth=2
	s_wait_alu 0xfffe
	s_or_b32 exec_lo, exec_lo, s22
	s_and_saveexec_b32 s22, s19
	s_cbranch_execnz .LBB1670_666
.LBB1670_632:                           ;   in Loop: Header=BB1670_566 Depth=2
	s_wait_alu 0xfffe
	s_or_b32 exec_lo, exec_lo, s22
	s_and_saveexec_b32 s22, s18
	s_cbranch_execnz .LBB1670_667
.LBB1670_633:                           ;   in Loop: Header=BB1670_566 Depth=2
	s_wait_alu 0xfffe
	s_or_b32 exec_lo, exec_lo, s22
	s_and_saveexec_b32 s22, s17
	s_cbranch_execnz .LBB1670_668
.LBB1670_634:                           ;   in Loop: Header=BB1670_566 Depth=2
	s_wait_alu 0xfffe
	s_or_b32 exec_lo, exec_lo, s22
	s_and_saveexec_b32 s22, s16
	s_cbranch_execnz .LBB1670_669
.LBB1670_635:                           ;   in Loop: Header=BB1670_566 Depth=2
	s_wait_alu 0xfffe
	s_or_b32 exec_lo, exec_lo, s22
	s_and_saveexec_b32 s22, s15
	s_cbranch_execnz .LBB1670_670
.LBB1670_636:                           ;   in Loop: Header=BB1670_566 Depth=2
	s_wait_alu 0xfffe
	s_or_b32 exec_lo, exec_lo, s22
	s_and_saveexec_b32 s22, vcc_lo
	s_cbranch_execz .LBB1670_638
.LBB1670_637:                           ;   in Loop: Header=BB1670_566 Depth=2
	ds_load_u8 v2, v1 offset:2816
	s_wait_dscnt 0x0
	v_lshrrev_b32_e32 v2, s45, v2
	s_delay_alu instid0(VALU_DEP_1)
	v_and_b32_e32 v86, s31, v2
.LBB1670_638:                           ;   in Loop: Header=BB1670_566 Depth=2
	s_wait_alu 0xfffe
	s_or_b32 exec_lo, exec_lo, s22
	v_lshlrev_b32_e32 v2, 3, v104
	v_lshlrev_b32_e32 v20, 3, v103
	;; [unrolled: 1-line block ×3, first 2 shown]
	s_wait_loadcnt 0x0
	s_wait_storecnt 0x0
	s_barrier_signal -1
	s_barrier_wait -1
	global_inv scope:SCOPE_SE
	ds_store_b64 v2, v[18:19] offset:1024
	ds_store_b64 v20, v[16:17] offset:1024
	;; [unrolled: 1-line block ×3, first 2 shown]
	v_lshlrev_b32_e32 v2, 3, v27
	v_lshlrev_b32_e32 v20, 3, v26
	;; [unrolled: 1-line block ×5, first 2 shown]
	ds_store_b64 v2, v[12:13] offset:1024
	ds_store_b64 v20, v[10:11] offset:1024
	;; [unrolled: 1-line block ×5, first 2 shown]
	v_add_nc_u32_e32 v20, v1, v47
	s_wait_loadcnt_dscnt 0x0
	s_barrier_signal -1
	s_barrier_wait -1
	global_inv scope:SCOPE_SE
	s_and_saveexec_b32 s22, s20
	s_cbranch_execnz .LBB1670_671
; %bb.639:                              ;   in Loop: Header=BB1670_566 Depth=2
	s_wait_alu 0xfffe
	s_or_b32 exec_lo, exec_lo, s22
	s_and_saveexec_b32 s22, s21
	s_cbranch_execnz .LBB1670_672
.LBB1670_640:                           ;   in Loop: Header=BB1670_566 Depth=2
	s_wait_alu 0xfffe
	s_or_b32 exec_lo, exec_lo, s22
	s_and_saveexec_b32 s20, s19
	s_cbranch_execnz .LBB1670_673
.LBB1670_641:                           ;   in Loop: Header=BB1670_566 Depth=2
	s_wait_alu 0xfffe
	s_or_b32 exec_lo, exec_lo, s20
	s_and_saveexec_b32 s19, s18
	s_cbranch_execnz .LBB1670_674
.LBB1670_642:                           ;   in Loop: Header=BB1670_566 Depth=2
	s_wait_alu 0xfffe
	s_or_b32 exec_lo, exec_lo, s19
	s_and_saveexec_b32 s18, s17
	s_cbranch_execnz .LBB1670_675
.LBB1670_643:                           ;   in Loop: Header=BB1670_566 Depth=2
	s_wait_alu 0xfffe
	s_or_b32 exec_lo, exec_lo, s18
	s_and_saveexec_b32 s17, s16
	s_cbranch_execnz .LBB1670_676
.LBB1670_644:                           ;   in Loop: Header=BB1670_566 Depth=2
	s_wait_alu 0xfffe
	s_or_b32 exec_lo, exec_lo, s17
	s_and_saveexec_b32 s16, s15
	s_cbranch_execnz .LBB1670_677
.LBB1670_645:                           ;   in Loop: Header=BB1670_566 Depth=2
	s_wait_alu 0xfffe
	s_or_b32 exec_lo, exec_lo, s16
	s_and_saveexec_b32 s15, vcc_lo
	s_cbranch_execz .LBB1670_647
.LBB1670_646:                           ;   in Loop: Header=BB1670_566 Depth=2
	v_lshlrev_b32_e32 v2, 2, v86
	ds_load_b32 v2, v2
	ds_load_b64 v[20:21], v20 offset:15360
	s_wait_dscnt 0x1
	v_add_nc_u32_e32 v2, v2, v37
	s_delay_alu instid0(VALU_DEP_1) | instskip(NEXT) | instid1(VALU_DEP_1)
	v_lshlrev_b64_e32 v[23:24], 3, v[2:3]
	v_add_co_u32 v23, vcc_lo, s26, v23
	s_wait_alu 0xfffd
	s_delay_alu instid0(VALU_DEP_2)
	v_add_co_ci_u32_e64 v24, null, s27, v24, vcc_lo
	s_wait_dscnt 0x0
	global_store_b64 v[23:24], v[20:21], off
.LBB1670_647:                           ;   in Loop: Header=BB1670_566 Depth=2
	s_wait_alu 0xfffe
	s_or_b32 exec_lo, exec_lo, s15
	s_wait_loadcnt 0x0
	s_wait_storecnt 0x0
	s_barrier_signal -1
	s_barrier_wait -1
	global_inv scope:SCOPE_SE
	s_and_saveexec_b32 s15, s2
	s_cbranch_execz .LBB1670_565
; %bb.648:                              ;   in Loop: Header=BB1670_566 Depth=2
	ds_load_b32 v2, v28
	s_wait_dscnt 0x0
	v_add_nc_u32_e32 v2, v2, v22
	ds_store_b32 v28, v2
	s_branch .LBB1670_565
.LBB1670_649:                           ;   in Loop: Header=BB1670_566 Depth=2
	ds_load_u8 v20, v1 offset:1024
	s_wait_dscnt 0x0
	v_and_b32_e32 v21, 1, v20
	s_delay_alu instid0(VALU_DEP_1) | instskip(NEXT) | instid1(VALU_DEP_1)
	v_lshrrev_b32_e32 v21, s45, v21
	v_and_b32_e32 v21, s31, v21
	s_delay_alu instid0(VALU_DEP_1)
	v_lshlrev_b32_e32 v21, 2, v21
	ds_load_b32 v21, v21
	s_wait_dscnt 0x0
	v_add_nc_u32_e32 v21, v21, v1
	global_store_b8 v21, v20, s[40:41]
	s_wait_alu 0xfffe
	s_or_b32 exec_lo, exec_lo, s15
	v_cmp_lt_u32_e64 s21, v29, v2
	s_and_saveexec_b32 s15, s21
	s_cbranch_execz .LBB1670_614
.LBB1670_650:                           ;   in Loop: Header=BB1670_566 Depth=2
	ds_load_u8 v20, v1 offset:1280
	s_wait_dscnt 0x0
	v_and_b32_e32 v21, 1, v20
	s_delay_alu instid0(VALU_DEP_1) | instskip(NEXT) | instid1(VALU_DEP_1)
	v_lshrrev_b32_e32 v21, s45, v21
	v_and_b32_e32 v21, s31, v21
	s_delay_alu instid0(VALU_DEP_1)
	v_lshlrev_b32_e32 v21, 2, v21
	ds_load_b32 v21, v21
	s_wait_dscnt 0x0
	v_add_nc_u32_e32 v21, v21, v29
	global_store_b8 v21, v20, s[40:41]
	s_wait_alu 0xfffe
	s_or_b32 exec_lo, exec_lo, s15
	v_cmp_lt_u32_e64 s19, v30, v2
	s_and_saveexec_b32 s15, s19
	s_cbranch_execz .LBB1670_615
.LBB1670_651:                           ;   in Loop: Header=BB1670_566 Depth=2
	ds_load_u8 v20, v1 offset:1536
	s_wait_dscnt 0x0
	v_and_b32_e32 v21, 1, v20
	s_delay_alu instid0(VALU_DEP_1) | instskip(NEXT) | instid1(VALU_DEP_1)
	v_lshrrev_b32_e32 v21, s45, v21
	v_and_b32_e32 v21, s31, v21
	s_delay_alu instid0(VALU_DEP_1)
	v_lshlrev_b32_e32 v21, 2, v21
	ds_load_b32 v21, v21
	s_wait_dscnt 0x0
	v_add_nc_u32_e32 v21, v21, v30
	global_store_b8 v21, v20, s[40:41]
	s_wait_alu 0xfffe
	s_or_b32 exec_lo, exec_lo, s15
	v_cmp_lt_u32_e64 s18, v31, v2
	s_and_saveexec_b32 s15, s18
	s_cbranch_execz .LBB1670_616
.LBB1670_652:                           ;   in Loop: Header=BB1670_566 Depth=2
	ds_load_u8 v20, v1 offset:1792
	s_wait_dscnt 0x0
	v_and_b32_e32 v21, 1, v20
	s_delay_alu instid0(VALU_DEP_1) | instskip(NEXT) | instid1(VALU_DEP_1)
	v_lshrrev_b32_e32 v21, s45, v21
	v_and_b32_e32 v21, s31, v21
	s_delay_alu instid0(VALU_DEP_1)
	v_lshlrev_b32_e32 v21, 2, v21
	ds_load_b32 v21, v21
	s_wait_dscnt 0x0
	v_add_nc_u32_e32 v21, v21, v31
	global_store_b8 v21, v20, s[40:41]
	s_wait_alu 0xfffe
	s_or_b32 exec_lo, exec_lo, s15
	v_cmp_lt_u32_e64 s17, v34, v2
	s_and_saveexec_b32 s15, s17
	s_cbranch_execz .LBB1670_617
.LBB1670_653:                           ;   in Loop: Header=BB1670_566 Depth=2
	ds_load_u8 v20, v1 offset:2048
	s_wait_dscnt 0x0
	v_and_b32_e32 v21, 1, v20
	s_delay_alu instid0(VALU_DEP_1) | instskip(NEXT) | instid1(VALU_DEP_1)
	v_lshrrev_b32_e32 v21, s45, v21
	v_and_b32_e32 v21, s31, v21
	s_delay_alu instid0(VALU_DEP_1)
	v_lshlrev_b32_e32 v21, 2, v21
	ds_load_b32 v21, v21
	s_wait_dscnt 0x0
	v_add_nc_u32_e32 v21, v21, v34
	global_store_b8 v21, v20, s[40:41]
	s_wait_alu 0xfffe
	s_or_b32 exec_lo, exec_lo, s15
	v_cmp_lt_u32_e64 s16, v35, v2
	s_and_saveexec_b32 s15, s16
	s_cbranch_execz .LBB1670_618
.LBB1670_654:                           ;   in Loop: Header=BB1670_566 Depth=2
	ds_load_u8 v20, v1 offset:2304
	s_wait_dscnt 0x0
	v_and_b32_e32 v21, 1, v20
	s_delay_alu instid0(VALU_DEP_1) | instskip(NEXT) | instid1(VALU_DEP_1)
	v_lshrrev_b32_e32 v21, s45, v21
	v_and_b32_e32 v21, s31, v21
	s_delay_alu instid0(VALU_DEP_1)
	v_lshlrev_b32_e32 v21, 2, v21
	ds_load_b32 v21, v21
	s_wait_dscnt 0x0
	v_add_nc_u32_e32 v21, v21, v35
	global_store_b8 v21, v20, s[40:41]
	s_wait_alu 0xfffe
	s_or_b32 exec_lo, exec_lo, s15
	v_cmp_lt_u32_e64 s15, v36, v2
	s_and_saveexec_b32 s44, s15
	s_cbranch_execz .LBB1670_619
.LBB1670_655:                           ;   in Loop: Header=BB1670_566 Depth=2
	ds_load_u8 v20, v1 offset:2560
	s_wait_dscnt 0x0
	v_and_b32_e32 v21, 1, v20
	s_delay_alu instid0(VALU_DEP_1) | instskip(NEXT) | instid1(VALU_DEP_1)
	v_lshrrev_b32_e32 v21, s45, v21
	v_and_b32_e32 v21, s31, v21
	s_delay_alu instid0(VALU_DEP_1)
	v_lshlrev_b32_e32 v21, 2, v21
	ds_load_b32 v21, v21
	s_wait_dscnt 0x0
	v_add_nc_u32_e32 v21, v21, v36
	global_store_b8 v21, v20, s[40:41]
	s_wait_alu 0xfffe
	s_or_b32 exec_lo, exec_lo, s44
	v_cmp_lt_u32_e32 vcc_lo, v37, v2
	s_and_saveexec_b32 s44, vcc_lo
	s_cbranch_execnz .LBB1670_620
	s_branch .LBB1670_621
.LBB1670_656:                           ;   in Loop: Header=BB1670_566 Depth=2
	global_load_b64 v[18:19], v[20:21], off
	s_wait_alu 0xfffe
	s_or_b32 exec_lo, exec_lo, s22
	s_delay_alu instid0(SALU_CYCLE_1)
	s_mov_b32 s44, exec_lo
	v_cmpx_lt_u32_e64 v71, v2
	s_cbranch_execz .LBB1670_623
.LBB1670_657:                           ;   in Loop: Header=BB1670_566 Depth=2
	global_load_b64 v[16:17], v[20:21], off offset:256
	s_wait_alu 0xfffe
	s_or_b32 exec_lo, exec_lo, s44
	s_delay_alu instid0(SALU_CYCLE_1)
	s_mov_b32 s44, exec_lo
	v_cmpx_lt_u32_e64 v72, v2
	s_cbranch_execz .LBB1670_624
.LBB1670_658:                           ;   in Loop: Header=BB1670_566 Depth=2
	global_load_b64 v[14:15], v[20:21], off offset:512
	s_wait_alu 0xfffe
	s_or_b32 exec_lo, exec_lo, s44
	s_delay_alu instid0(SALU_CYCLE_1)
	s_mov_b32 s44, exec_lo
	v_cmpx_lt_u32_e64 v73, v2
	s_cbranch_execz .LBB1670_625
.LBB1670_659:                           ;   in Loop: Header=BB1670_566 Depth=2
	global_load_b64 v[12:13], v[20:21], off offset:768
	s_wait_alu 0xfffe
	s_or_b32 exec_lo, exec_lo, s44
	s_delay_alu instid0(SALU_CYCLE_1)
	s_mov_b32 s44, exec_lo
	v_cmpx_lt_u32_e64 v74, v2
	s_cbranch_execz .LBB1670_626
.LBB1670_660:                           ;   in Loop: Header=BB1670_566 Depth=2
	global_load_b64 v[10:11], v[20:21], off offset:1024
	s_wait_alu 0xfffe
	s_or_b32 exec_lo, exec_lo, s44
	s_delay_alu instid0(SALU_CYCLE_1)
	s_mov_b32 s44, exec_lo
	v_cmpx_lt_u32_e64 v75, v2
	s_cbranch_execz .LBB1670_627
.LBB1670_661:                           ;   in Loop: Header=BB1670_566 Depth=2
	global_load_b64 v[8:9], v[20:21], off offset:1280
	s_wait_alu 0xfffe
	s_or_b32 exec_lo, exec_lo, s44
	s_delay_alu instid0(SALU_CYCLE_1)
	s_mov_b32 s44, exec_lo
	v_cmpx_lt_u32_e64 v76, v2
	s_cbranch_execz .LBB1670_628
.LBB1670_662:                           ;   in Loop: Header=BB1670_566 Depth=2
	global_load_b64 v[6:7], v[20:21], off offset:1536
	s_wait_alu 0xfffe
	s_or_b32 exec_lo, exec_lo, s44
	s_delay_alu instid0(SALU_CYCLE_1)
	s_mov_b32 s44, exec_lo
	v_cmpx_lt_u32_e64 v77, v2
	s_cbranch_execz .LBB1670_629
.LBB1670_663:                           ;   in Loop: Header=BB1670_566 Depth=2
	global_load_b64 v[4:5], v[20:21], off offset:1792
	s_wait_alu 0xfffe
	s_or_b32 exec_lo, exec_lo, s44
	s_and_saveexec_b32 s22, s20
	s_cbranch_execz .LBB1670_630
.LBB1670_664:                           ;   in Loop: Header=BB1670_566 Depth=2
	ds_load_u8 v2, v1 offset:1024
	s_wait_dscnt 0x0
	v_lshrrev_b32_e32 v2, s45, v2
	s_delay_alu instid0(VALU_DEP_1)
	v_and_b32_e32 v93, s31, v2
	s_wait_alu 0xfffe
	s_or_b32 exec_lo, exec_lo, s22
	s_and_saveexec_b32 s22, s21
	s_cbranch_execz .LBB1670_631
.LBB1670_665:                           ;   in Loop: Header=BB1670_566 Depth=2
	ds_load_u8 v2, v1 offset:1280
	s_wait_dscnt 0x0
	v_lshrrev_b32_e32 v2, s45, v2
	s_delay_alu instid0(VALU_DEP_1)
	v_and_b32_e32 v92, s31, v2
	s_wait_alu 0xfffe
	s_or_b32 exec_lo, exec_lo, s22
	s_and_saveexec_b32 s22, s19
	s_cbranch_execz .LBB1670_632
.LBB1670_666:                           ;   in Loop: Header=BB1670_566 Depth=2
	ds_load_u8 v2, v1 offset:1536
	s_wait_dscnt 0x0
	v_lshrrev_b32_e32 v2, s45, v2
	s_delay_alu instid0(VALU_DEP_1)
	v_and_b32_e32 v91, s31, v2
	s_wait_alu 0xfffe
	s_or_b32 exec_lo, exec_lo, s22
	s_and_saveexec_b32 s22, s18
	s_cbranch_execz .LBB1670_633
.LBB1670_667:                           ;   in Loop: Header=BB1670_566 Depth=2
	ds_load_u8 v2, v1 offset:1792
	s_wait_dscnt 0x0
	v_lshrrev_b32_e32 v2, s45, v2
	s_delay_alu instid0(VALU_DEP_1)
	v_and_b32_e32 v90, s31, v2
	s_wait_alu 0xfffe
	s_or_b32 exec_lo, exec_lo, s22
	s_and_saveexec_b32 s22, s17
	s_cbranch_execz .LBB1670_634
.LBB1670_668:                           ;   in Loop: Header=BB1670_566 Depth=2
	ds_load_u8 v2, v1 offset:2048
	s_wait_dscnt 0x0
	v_lshrrev_b32_e32 v2, s45, v2
	s_delay_alu instid0(VALU_DEP_1)
	v_and_b32_e32 v89, s31, v2
	s_wait_alu 0xfffe
	s_or_b32 exec_lo, exec_lo, s22
	s_and_saveexec_b32 s22, s16
	s_cbranch_execz .LBB1670_635
.LBB1670_669:                           ;   in Loop: Header=BB1670_566 Depth=2
	ds_load_u8 v2, v1 offset:2304
	s_wait_dscnt 0x0
	v_lshrrev_b32_e32 v2, s45, v2
	s_delay_alu instid0(VALU_DEP_1)
	v_and_b32_e32 v88, s31, v2
	s_wait_alu 0xfffe
	s_or_b32 exec_lo, exec_lo, s22
	s_and_saveexec_b32 s22, s15
	s_cbranch_execz .LBB1670_636
.LBB1670_670:                           ;   in Loop: Header=BB1670_566 Depth=2
	ds_load_u8 v2, v1 offset:2560
	s_wait_dscnt 0x0
	v_lshrrev_b32_e32 v2, s45, v2
	s_delay_alu instid0(VALU_DEP_1)
	v_and_b32_e32 v87, s31, v2
	s_wait_alu 0xfffe
	s_or_b32 exec_lo, exec_lo, s22
	s_and_saveexec_b32 s22, vcc_lo
	s_cbranch_execnz .LBB1670_637
	s_branch .LBB1670_638
.LBB1670_671:                           ;   in Loop: Header=BB1670_566 Depth=2
	v_lshlrev_b32_e32 v2, 2, v93
	ds_load_b32 v2, v2
	ds_load_b64 v[23:24], v20 offset:1024
	s_wait_dscnt 0x1
	v_add_nc_u32_e32 v2, v2, v1
	s_delay_alu instid0(VALU_DEP_1) | instskip(NEXT) | instid1(VALU_DEP_1)
	v_lshlrev_b64_e32 v[25:26], 3, v[2:3]
	v_add_co_u32 v25, s20, s26, v25
	s_wait_alu 0xf1ff
	s_delay_alu instid0(VALU_DEP_2)
	v_add_co_ci_u32_e64 v26, null, s27, v26, s20
	s_wait_dscnt 0x0
	global_store_b64 v[25:26], v[23:24], off
	s_wait_alu 0xfffe
	s_or_b32 exec_lo, exec_lo, s22
	s_and_saveexec_b32 s22, s21
	s_cbranch_execz .LBB1670_640
.LBB1670_672:                           ;   in Loop: Header=BB1670_566 Depth=2
	v_lshlrev_b32_e32 v2, 2, v92
	ds_load_b32 v2, v2
	ds_load_b64 v[23:24], v20 offset:3072
	s_wait_dscnt 0x1
	v_add_nc_u32_e32 v2, v2, v29
	s_delay_alu instid0(VALU_DEP_1) | instskip(NEXT) | instid1(VALU_DEP_1)
	v_lshlrev_b64_e32 v[25:26], 3, v[2:3]
	v_add_co_u32 v25, s20, s26, v25
	s_wait_alu 0xf1ff
	s_delay_alu instid0(VALU_DEP_2)
	v_add_co_ci_u32_e64 v26, null, s27, v26, s20
	s_wait_dscnt 0x0
	global_store_b64 v[25:26], v[23:24], off
	s_wait_alu 0xfffe
	s_or_b32 exec_lo, exec_lo, s22
	s_and_saveexec_b32 s20, s19
	s_cbranch_execz .LBB1670_641
.LBB1670_673:                           ;   in Loop: Header=BB1670_566 Depth=2
	v_lshlrev_b32_e32 v2, 2, v91
	ds_load_b32 v2, v2
	ds_load_b64 v[23:24], v20 offset:5120
	s_wait_dscnt 0x1
	v_add_nc_u32_e32 v2, v2, v30
	s_delay_alu instid0(VALU_DEP_1) | instskip(NEXT) | instid1(VALU_DEP_1)
	v_lshlrev_b64_e32 v[25:26], 3, v[2:3]
	v_add_co_u32 v25, s19, s26, v25
	s_wait_alu 0xf1ff
	s_delay_alu instid0(VALU_DEP_2)
	v_add_co_ci_u32_e64 v26, null, s27, v26, s19
	s_wait_dscnt 0x0
	global_store_b64 v[25:26], v[23:24], off
	s_wait_alu 0xfffe
	s_or_b32 exec_lo, exec_lo, s20
	s_and_saveexec_b32 s19, s18
	s_cbranch_execz .LBB1670_642
.LBB1670_674:                           ;   in Loop: Header=BB1670_566 Depth=2
	v_lshlrev_b32_e32 v2, 2, v90
	ds_load_b32 v2, v2
	ds_load_b64 v[23:24], v20 offset:7168
	s_wait_dscnt 0x1
	v_add_nc_u32_e32 v2, v2, v31
	s_delay_alu instid0(VALU_DEP_1) | instskip(NEXT) | instid1(VALU_DEP_1)
	v_lshlrev_b64_e32 v[25:26], 3, v[2:3]
	v_add_co_u32 v25, s18, s26, v25
	s_wait_alu 0xf1ff
	s_delay_alu instid0(VALU_DEP_2)
	v_add_co_ci_u32_e64 v26, null, s27, v26, s18
	s_wait_dscnt 0x0
	global_store_b64 v[25:26], v[23:24], off
	s_wait_alu 0xfffe
	s_or_b32 exec_lo, exec_lo, s19
	s_and_saveexec_b32 s18, s17
	s_cbranch_execz .LBB1670_643
.LBB1670_675:                           ;   in Loop: Header=BB1670_566 Depth=2
	v_lshlrev_b32_e32 v2, 2, v89
	ds_load_b32 v2, v2
	ds_load_b64 v[23:24], v20 offset:9216
	s_wait_dscnt 0x1
	v_add_nc_u32_e32 v2, v2, v34
	s_delay_alu instid0(VALU_DEP_1) | instskip(NEXT) | instid1(VALU_DEP_1)
	v_lshlrev_b64_e32 v[25:26], 3, v[2:3]
	v_add_co_u32 v25, s17, s26, v25
	s_wait_alu 0xf1ff
	s_delay_alu instid0(VALU_DEP_2)
	v_add_co_ci_u32_e64 v26, null, s27, v26, s17
	s_wait_dscnt 0x0
	global_store_b64 v[25:26], v[23:24], off
	s_wait_alu 0xfffe
	s_or_b32 exec_lo, exec_lo, s18
	s_and_saveexec_b32 s17, s16
	s_cbranch_execz .LBB1670_644
.LBB1670_676:                           ;   in Loop: Header=BB1670_566 Depth=2
	v_lshlrev_b32_e32 v2, 2, v88
	ds_load_b32 v2, v2
	ds_load_b64 v[23:24], v20 offset:11264
	s_wait_dscnt 0x1
	v_add_nc_u32_e32 v2, v2, v35
	s_delay_alu instid0(VALU_DEP_1) | instskip(NEXT) | instid1(VALU_DEP_1)
	v_lshlrev_b64_e32 v[25:26], 3, v[2:3]
	v_add_co_u32 v25, s16, s26, v25
	s_wait_alu 0xf1ff
	s_delay_alu instid0(VALU_DEP_2)
	v_add_co_ci_u32_e64 v26, null, s27, v26, s16
	s_wait_dscnt 0x0
	global_store_b64 v[25:26], v[23:24], off
	s_wait_alu 0xfffe
	s_or_b32 exec_lo, exec_lo, s17
	s_and_saveexec_b32 s16, s15
	s_cbranch_execz .LBB1670_645
.LBB1670_677:                           ;   in Loop: Header=BB1670_566 Depth=2
	v_lshlrev_b32_e32 v2, 2, v87
	ds_load_b32 v2, v2
	ds_load_b64 v[23:24], v20 offset:13312
	s_wait_dscnt 0x1
	v_add_nc_u32_e32 v2, v2, v36
	s_delay_alu instid0(VALU_DEP_1) | instskip(NEXT) | instid1(VALU_DEP_1)
	v_lshlrev_b64_e32 v[25:26], 3, v[2:3]
	v_add_co_u32 v25, s15, s26, v25
	s_wait_alu 0xf1ff
	s_delay_alu instid0(VALU_DEP_2)
	v_add_co_ci_u32_e64 v26, null, s27, v26, s15
	s_wait_dscnt 0x0
	global_store_b64 v[25:26], v[23:24], off
	s_wait_alu 0xfffe
	s_or_b32 exec_lo, exec_lo, s16
	s_and_saveexec_b32 s15, vcc_lo
	s_cbranch_execnz .LBB1670_646
	s_branch .LBB1670_647
.LBB1670_678:
	s_endpgm
	.section	.rodata,"a",@progbits
	.p2align	6, 0x0
	.amdhsa_kernel _ZN7rocprim17ROCPRIM_400000_NS6detail17trampoline_kernelINS0_14default_configENS1_36segmented_radix_sort_config_selectorIblEEZNS1_25segmented_radix_sort_implIS3_Lb0EPKbPbPKlPlN2at6native12_GLOBAL__N_18offset_tEEE10hipError_tPvRmT1_PNSt15iterator_traitsISK_E10value_typeET2_T3_PNSL_ISQ_E10value_typeET4_jRbjT5_SW_jjP12ihipStream_tbEUlT_E2_NS1_11comp_targetILNS1_3genE10ELNS1_11target_archE1201ELNS1_3gpuE5ELNS1_3repE0EEENS1_30default_config_static_selectorELNS0_4arch9wavefront6targetE0EEEvSK_
		.amdhsa_group_segment_fixed_size 17440
		.amdhsa_private_segment_fixed_size 12
		.amdhsa_kernarg_size 336
		.amdhsa_user_sgpr_count 2
		.amdhsa_user_sgpr_dispatch_ptr 0
		.amdhsa_user_sgpr_queue_ptr 0
		.amdhsa_user_sgpr_kernarg_segment_ptr 1
		.amdhsa_user_sgpr_dispatch_id 0
		.amdhsa_user_sgpr_private_segment_size 0
		.amdhsa_wavefront_size32 1
		.amdhsa_uses_dynamic_stack 0
		.amdhsa_enable_private_segment 1
		.amdhsa_system_sgpr_workgroup_id_x 1
		.amdhsa_system_sgpr_workgroup_id_y 1
		.amdhsa_system_sgpr_workgroup_id_z 0
		.amdhsa_system_sgpr_workgroup_info 0
		.amdhsa_system_vgpr_workitem_id 2
		.amdhsa_next_free_vgpr 197
		.amdhsa_next_free_sgpr 50
		.amdhsa_reserve_vcc 1
		.amdhsa_float_round_mode_32 0
		.amdhsa_float_round_mode_16_64 0
		.amdhsa_float_denorm_mode_32 3
		.amdhsa_float_denorm_mode_16_64 3
		.amdhsa_fp16_overflow 0
		.amdhsa_workgroup_processor_mode 1
		.amdhsa_memory_ordered 1
		.amdhsa_forward_progress 1
		.amdhsa_inst_pref_size 255
		.amdhsa_round_robin_scheduling 0
		.amdhsa_exception_fp_ieee_invalid_op 0
		.amdhsa_exception_fp_denorm_src 0
		.amdhsa_exception_fp_ieee_div_zero 0
		.amdhsa_exception_fp_ieee_overflow 0
		.amdhsa_exception_fp_ieee_underflow 0
		.amdhsa_exception_fp_ieee_inexact 0
		.amdhsa_exception_int_div_zero 0
	.end_amdhsa_kernel
	.section	.text._ZN7rocprim17ROCPRIM_400000_NS6detail17trampoline_kernelINS0_14default_configENS1_36segmented_radix_sort_config_selectorIblEEZNS1_25segmented_radix_sort_implIS3_Lb0EPKbPbPKlPlN2at6native12_GLOBAL__N_18offset_tEEE10hipError_tPvRmT1_PNSt15iterator_traitsISK_E10value_typeET2_T3_PNSL_ISQ_E10value_typeET4_jRbjT5_SW_jjP12ihipStream_tbEUlT_E2_NS1_11comp_targetILNS1_3genE10ELNS1_11target_archE1201ELNS1_3gpuE5ELNS1_3repE0EEENS1_30default_config_static_selectorELNS0_4arch9wavefront6targetE0EEEvSK_,"axG",@progbits,_ZN7rocprim17ROCPRIM_400000_NS6detail17trampoline_kernelINS0_14default_configENS1_36segmented_radix_sort_config_selectorIblEEZNS1_25segmented_radix_sort_implIS3_Lb0EPKbPbPKlPlN2at6native12_GLOBAL__N_18offset_tEEE10hipError_tPvRmT1_PNSt15iterator_traitsISK_E10value_typeET2_T3_PNSL_ISQ_E10value_typeET4_jRbjT5_SW_jjP12ihipStream_tbEUlT_E2_NS1_11comp_targetILNS1_3genE10ELNS1_11target_archE1201ELNS1_3gpuE5ELNS1_3repE0EEENS1_30default_config_static_selectorELNS0_4arch9wavefront6targetE0EEEvSK_,comdat
.Lfunc_end1670:
	.size	_ZN7rocprim17ROCPRIM_400000_NS6detail17trampoline_kernelINS0_14default_configENS1_36segmented_radix_sort_config_selectorIblEEZNS1_25segmented_radix_sort_implIS3_Lb0EPKbPbPKlPlN2at6native12_GLOBAL__N_18offset_tEEE10hipError_tPvRmT1_PNSt15iterator_traitsISK_E10value_typeET2_T3_PNSL_ISQ_E10value_typeET4_jRbjT5_SW_jjP12ihipStream_tbEUlT_E2_NS1_11comp_targetILNS1_3genE10ELNS1_11target_archE1201ELNS1_3gpuE5ELNS1_3repE0EEENS1_30default_config_static_selectorELNS0_4arch9wavefront6targetE0EEEvSK_, .Lfunc_end1670-_ZN7rocprim17ROCPRIM_400000_NS6detail17trampoline_kernelINS0_14default_configENS1_36segmented_radix_sort_config_selectorIblEEZNS1_25segmented_radix_sort_implIS3_Lb0EPKbPbPKlPlN2at6native12_GLOBAL__N_18offset_tEEE10hipError_tPvRmT1_PNSt15iterator_traitsISK_E10value_typeET2_T3_PNSL_ISQ_E10value_typeET4_jRbjT5_SW_jjP12ihipStream_tbEUlT_E2_NS1_11comp_targetILNS1_3genE10ELNS1_11target_archE1201ELNS1_3gpuE5ELNS1_3repE0EEENS1_30default_config_static_selectorELNS0_4arch9wavefront6targetE0EEEvSK_
                                        ; -- End function
	.set _ZN7rocprim17ROCPRIM_400000_NS6detail17trampoline_kernelINS0_14default_configENS1_36segmented_radix_sort_config_selectorIblEEZNS1_25segmented_radix_sort_implIS3_Lb0EPKbPbPKlPlN2at6native12_GLOBAL__N_18offset_tEEE10hipError_tPvRmT1_PNSt15iterator_traitsISK_E10value_typeET2_T3_PNSL_ISQ_E10value_typeET4_jRbjT5_SW_jjP12ihipStream_tbEUlT_E2_NS1_11comp_targetILNS1_3genE10ELNS1_11target_archE1201ELNS1_3gpuE5ELNS1_3repE0EEENS1_30default_config_static_selectorELNS0_4arch9wavefront6targetE0EEEvSK_.num_vgpr, max(133, .L_ZN7rocprim17ROCPRIM_400000_NS6detail26segmented_warp_sort_helperINS1_20WarpSortHelperConfigILj8ELj4ELj256EEEblLi256ELb0EvE4sortIPKbPbPKlPlEEvT_T0_T1_T2_jjjjRNS5_12storage_typeE.num_vgpr, .L_ZN7rocprim17ROCPRIM_400000_NS6detail40segmented_radix_sort_single_block_helperIblLj256ELj8ELb0EE4sortIPKbPbPKlPlEEbT_T0_T1_T2_jjjjRNS3_12storage_typeE.num_vgpr)
	.set _ZN7rocprim17ROCPRIM_400000_NS6detail17trampoline_kernelINS0_14default_configENS1_36segmented_radix_sort_config_selectorIblEEZNS1_25segmented_radix_sort_implIS3_Lb0EPKbPbPKlPlN2at6native12_GLOBAL__N_18offset_tEEE10hipError_tPvRmT1_PNSt15iterator_traitsISK_E10value_typeET2_T3_PNSL_ISQ_E10value_typeET4_jRbjT5_SW_jjP12ihipStream_tbEUlT_E2_NS1_11comp_targetILNS1_3genE10ELNS1_11target_archE1201ELNS1_3gpuE5ELNS1_3repE0EEENS1_30default_config_static_selectorELNS0_4arch9wavefront6targetE0EEEvSK_.num_agpr, max(0, .L_ZN7rocprim17ROCPRIM_400000_NS6detail26segmented_warp_sort_helperINS1_20WarpSortHelperConfigILj8ELj4ELj256EEEblLi256ELb0EvE4sortIPKbPbPKlPlEEvT_T0_T1_T2_jjjjRNS5_12storage_typeE.num_agpr, .L_ZN7rocprim17ROCPRIM_400000_NS6detail40segmented_radix_sort_single_block_helperIblLj256ELj8ELb0EE4sortIPKbPbPKlPlEEbT_T0_T1_T2_jjjjRNS3_12storage_typeE.num_agpr)
	.set _ZN7rocprim17ROCPRIM_400000_NS6detail17trampoline_kernelINS0_14default_configENS1_36segmented_radix_sort_config_selectorIblEEZNS1_25segmented_radix_sort_implIS3_Lb0EPKbPbPKlPlN2at6native12_GLOBAL__N_18offset_tEEE10hipError_tPvRmT1_PNSt15iterator_traitsISK_E10value_typeET2_T3_PNSL_ISQ_E10value_typeET4_jRbjT5_SW_jjP12ihipStream_tbEUlT_E2_NS1_11comp_targetILNS1_3genE10ELNS1_11target_archE1201ELNS1_3gpuE5ELNS1_3repE0EEENS1_30default_config_static_selectorELNS0_4arch9wavefront6targetE0EEEvSK_.numbered_sgpr, max(50, .L_ZN7rocprim17ROCPRIM_400000_NS6detail26segmented_warp_sort_helperINS1_20WarpSortHelperConfigILj8ELj4ELj256EEEblLi256ELb0EvE4sortIPKbPbPKlPlEEvT_T0_T1_T2_jjjjRNS5_12storage_typeE.numbered_sgpr, .L_ZN7rocprim17ROCPRIM_400000_NS6detail40segmented_radix_sort_single_block_helperIblLj256ELj8ELb0EE4sortIPKbPbPKlPlEEbT_T0_T1_T2_jjjjRNS3_12storage_typeE.numbered_sgpr)
	.set _ZN7rocprim17ROCPRIM_400000_NS6detail17trampoline_kernelINS0_14default_configENS1_36segmented_radix_sort_config_selectorIblEEZNS1_25segmented_radix_sort_implIS3_Lb0EPKbPbPKlPlN2at6native12_GLOBAL__N_18offset_tEEE10hipError_tPvRmT1_PNSt15iterator_traitsISK_E10value_typeET2_T3_PNSL_ISQ_E10value_typeET4_jRbjT5_SW_jjP12ihipStream_tbEUlT_E2_NS1_11comp_targetILNS1_3genE10ELNS1_11target_archE1201ELNS1_3gpuE5ELNS1_3repE0EEENS1_30default_config_static_selectorELNS0_4arch9wavefront6targetE0EEEvSK_.num_named_barrier, max(0, .L_ZN7rocprim17ROCPRIM_400000_NS6detail26segmented_warp_sort_helperINS1_20WarpSortHelperConfigILj8ELj4ELj256EEEblLi256ELb0EvE4sortIPKbPbPKlPlEEvT_T0_T1_T2_jjjjRNS5_12storage_typeE.num_named_barrier, .L_ZN7rocprim17ROCPRIM_400000_NS6detail40segmented_radix_sort_single_block_helperIblLj256ELj8ELb0EE4sortIPKbPbPKlPlEEbT_T0_T1_T2_jjjjRNS3_12storage_typeE.num_named_barrier)
	.set _ZN7rocprim17ROCPRIM_400000_NS6detail17trampoline_kernelINS0_14default_configENS1_36segmented_radix_sort_config_selectorIblEEZNS1_25segmented_radix_sort_implIS3_Lb0EPKbPbPKlPlN2at6native12_GLOBAL__N_18offset_tEEE10hipError_tPvRmT1_PNSt15iterator_traitsISK_E10value_typeET2_T3_PNSL_ISQ_E10value_typeET4_jRbjT5_SW_jjP12ihipStream_tbEUlT_E2_NS1_11comp_targetILNS1_3genE10ELNS1_11target_archE1201ELNS1_3gpuE5ELNS1_3repE0EEENS1_30default_config_static_selectorELNS0_4arch9wavefront6targetE0EEEvSK_.private_seg_size, 0+max(.L_ZN7rocprim17ROCPRIM_400000_NS6detail26segmented_warp_sort_helperINS1_20WarpSortHelperConfigILj8ELj4ELj256EEEblLi256ELb0EvE4sortIPKbPbPKlPlEEvT_T0_T1_T2_jjjjRNS5_12storage_typeE.private_seg_size, .L_ZN7rocprim17ROCPRIM_400000_NS6detail40segmented_radix_sort_single_block_helperIblLj256ELj8ELb0EE4sortIPKbPbPKlPlEEbT_T0_T1_T2_jjjjRNS3_12storage_typeE.private_seg_size)
	.set _ZN7rocprim17ROCPRIM_400000_NS6detail17trampoline_kernelINS0_14default_configENS1_36segmented_radix_sort_config_selectorIblEEZNS1_25segmented_radix_sort_implIS3_Lb0EPKbPbPKlPlN2at6native12_GLOBAL__N_18offset_tEEE10hipError_tPvRmT1_PNSt15iterator_traitsISK_E10value_typeET2_T3_PNSL_ISQ_E10value_typeET4_jRbjT5_SW_jjP12ihipStream_tbEUlT_E2_NS1_11comp_targetILNS1_3genE10ELNS1_11target_archE1201ELNS1_3gpuE5ELNS1_3repE0EEENS1_30default_config_static_selectorELNS0_4arch9wavefront6targetE0EEEvSK_.uses_vcc, or(1, .L_ZN7rocprim17ROCPRIM_400000_NS6detail26segmented_warp_sort_helperINS1_20WarpSortHelperConfigILj8ELj4ELj256EEEblLi256ELb0EvE4sortIPKbPbPKlPlEEvT_T0_T1_T2_jjjjRNS5_12storage_typeE.uses_vcc, .L_ZN7rocprim17ROCPRIM_400000_NS6detail40segmented_radix_sort_single_block_helperIblLj256ELj8ELb0EE4sortIPKbPbPKlPlEEbT_T0_T1_T2_jjjjRNS3_12storage_typeE.uses_vcc)
	.set _ZN7rocprim17ROCPRIM_400000_NS6detail17trampoline_kernelINS0_14default_configENS1_36segmented_radix_sort_config_selectorIblEEZNS1_25segmented_radix_sort_implIS3_Lb0EPKbPbPKlPlN2at6native12_GLOBAL__N_18offset_tEEE10hipError_tPvRmT1_PNSt15iterator_traitsISK_E10value_typeET2_T3_PNSL_ISQ_E10value_typeET4_jRbjT5_SW_jjP12ihipStream_tbEUlT_E2_NS1_11comp_targetILNS1_3genE10ELNS1_11target_archE1201ELNS1_3gpuE5ELNS1_3repE0EEENS1_30default_config_static_selectorELNS0_4arch9wavefront6targetE0EEEvSK_.uses_flat_scratch, or(0, .L_ZN7rocprim17ROCPRIM_400000_NS6detail26segmented_warp_sort_helperINS1_20WarpSortHelperConfigILj8ELj4ELj256EEEblLi256ELb0EvE4sortIPKbPbPKlPlEEvT_T0_T1_T2_jjjjRNS5_12storage_typeE.uses_flat_scratch, .L_ZN7rocprim17ROCPRIM_400000_NS6detail40segmented_radix_sort_single_block_helperIblLj256ELj8ELb0EE4sortIPKbPbPKlPlEEbT_T0_T1_T2_jjjjRNS3_12storage_typeE.uses_flat_scratch)
	.set _ZN7rocprim17ROCPRIM_400000_NS6detail17trampoline_kernelINS0_14default_configENS1_36segmented_radix_sort_config_selectorIblEEZNS1_25segmented_radix_sort_implIS3_Lb0EPKbPbPKlPlN2at6native12_GLOBAL__N_18offset_tEEE10hipError_tPvRmT1_PNSt15iterator_traitsISK_E10value_typeET2_T3_PNSL_ISQ_E10value_typeET4_jRbjT5_SW_jjP12ihipStream_tbEUlT_E2_NS1_11comp_targetILNS1_3genE10ELNS1_11target_archE1201ELNS1_3gpuE5ELNS1_3repE0EEENS1_30default_config_static_selectorELNS0_4arch9wavefront6targetE0EEEvSK_.has_dyn_sized_stack, or(0, .L_ZN7rocprim17ROCPRIM_400000_NS6detail26segmented_warp_sort_helperINS1_20WarpSortHelperConfigILj8ELj4ELj256EEEblLi256ELb0EvE4sortIPKbPbPKlPlEEvT_T0_T1_T2_jjjjRNS5_12storage_typeE.has_dyn_sized_stack, .L_ZN7rocprim17ROCPRIM_400000_NS6detail40segmented_radix_sort_single_block_helperIblLj256ELj8ELb0EE4sortIPKbPbPKlPlEEbT_T0_T1_T2_jjjjRNS3_12storage_typeE.has_dyn_sized_stack)
	.set _ZN7rocprim17ROCPRIM_400000_NS6detail17trampoline_kernelINS0_14default_configENS1_36segmented_radix_sort_config_selectorIblEEZNS1_25segmented_radix_sort_implIS3_Lb0EPKbPbPKlPlN2at6native12_GLOBAL__N_18offset_tEEE10hipError_tPvRmT1_PNSt15iterator_traitsISK_E10value_typeET2_T3_PNSL_ISQ_E10value_typeET4_jRbjT5_SW_jjP12ihipStream_tbEUlT_E2_NS1_11comp_targetILNS1_3genE10ELNS1_11target_archE1201ELNS1_3gpuE5ELNS1_3repE0EEENS1_30default_config_static_selectorELNS0_4arch9wavefront6targetE0EEEvSK_.has_recursion, or(0, .L_ZN7rocprim17ROCPRIM_400000_NS6detail26segmented_warp_sort_helperINS1_20WarpSortHelperConfigILj8ELj4ELj256EEEblLi256ELb0EvE4sortIPKbPbPKlPlEEvT_T0_T1_T2_jjjjRNS5_12storage_typeE.has_recursion, .L_ZN7rocprim17ROCPRIM_400000_NS6detail40segmented_radix_sort_single_block_helperIblLj256ELj8ELb0EE4sortIPKbPbPKlPlEEbT_T0_T1_T2_jjjjRNS3_12storage_typeE.has_recursion)
	.set _ZN7rocprim17ROCPRIM_400000_NS6detail17trampoline_kernelINS0_14default_configENS1_36segmented_radix_sort_config_selectorIblEEZNS1_25segmented_radix_sort_implIS3_Lb0EPKbPbPKlPlN2at6native12_GLOBAL__N_18offset_tEEE10hipError_tPvRmT1_PNSt15iterator_traitsISK_E10value_typeET2_T3_PNSL_ISQ_E10value_typeET4_jRbjT5_SW_jjP12ihipStream_tbEUlT_E2_NS1_11comp_targetILNS1_3genE10ELNS1_11target_archE1201ELNS1_3gpuE5ELNS1_3repE0EEENS1_30default_config_static_selectorELNS0_4arch9wavefront6targetE0EEEvSK_.has_indirect_call, or(0, .L_ZN7rocprim17ROCPRIM_400000_NS6detail26segmented_warp_sort_helperINS1_20WarpSortHelperConfigILj8ELj4ELj256EEEblLi256ELb0EvE4sortIPKbPbPKlPlEEvT_T0_T1_T2_jjjjRNS5_12storage_typeE.has_indirect_call, .L_ZN7rocprim17ROCPRIM_400000_NS6detail40segmented_radix_sort_single_block_helperIblLj256ELj8ELb0EE4sortIPKbPbPKlPlEEbT_T0_T1_T2_jjjjRNS3_12storage_typeE.has_indirect_call)
	.section	.AMDGPU.csdata,"",@progbits
; Kernel info:
; codeLenInByte = 34484
; TotalNumSgprs: 52
; NumVgprs: 197
; ScratchSize: 12
; MemoryBound: 0
; FloatMode: 240
; IeeeMode: 1
; LDSByteSize: 17440 bytes/workgroup (compile time only)
; SGPRBlocks: 0
; VGPRBlocks: 24
; NumSGPRsForWavesPerEU: 52
; NumVGPRsForWavesPerEU: 197
; Occupancy: 7
; WaveLimiterHint : 1
; COMPUTE_PGM_RSRC2:SCRATCH_EN: 1
; COMPUTE_PGM_RSRC2:USER_SGPR: 2
; COMPUTE_PGM_RSRC2:TRAP_HANDLER: 0
; COMPUTE_PGM_RSRC2:TGID_X_EN: 1
; COMPUTE_PGM_RSRC2:TGID_Y_EN: 1
; COMPUTE_PGM_RSRC2:TGID_Z_EN: 0
; COMPUTE_PGM_RSRC2:TIDIG_COMP_CNT: 2
	.section	.text._ZN7rocprim17ROCPRIM_400000_NS6detail17trampoline_kernelINS0_14default_configENS1_36segmented_radix_sort_config_selectorIblEEZNS1_25segmented_radix_sort_implIS3_Lb0EPKbPbPKlPlN2at6native12_GLOBAL__N_18offset_tEEE10hipError_tPvRmT1_PNSt15iterator_traitsISK_E10value_typeET2_T3_PNSL_ISQ_E10value_typeET4_jRbjT5_SW_jjP12ihipStream_tbEUlT_E2_NS1_11comp_targetILNS1_3genE10ELNS1_11target_archE1200ELNS1_3gpuE4ELNS1_3repE0EEENS1_30default_config_static_selectorELNS0_4arch9wavefront6targetE0EEEvSK_,"axG",@progbits,_ZN7rocprim17ROCPRIM_400000_NS6detail17trampoline_kernelINS0_14default_configENS1_36segmented_radix_sort_config_selectorIblEEZNS1_25segmented_radix_sort_implIS3_Lb0EPKbPbPKlPlN2at6native12_GLOBAL__N_18offset_tEEE10hipError_tPvRmT1_PNSt15iterator_traitsISK_E10value_typeET2_T3_PNSL_ISQ_E10value_typeET4_jRbjT5_SW_jjP12ihipStream_tbEUlT_E2_NS1_11comp_targetILNS1_3genE10ELNS1_11target_archE1200ELNS1_3gpuE4ELNS1_3repE0EEENS1_30default_config_static_selectorELNS0_4arch9wavefront6targetE0EEEvSK_,comdat
	.globl	_ZN7rocprim17ROCPRIM_400000_NS6detail17trampoline_kernelINS0_14default_configENS1_36segmented_radix_sort_config_selectorIblEEZNS1_25segmented_radix_sort_implIS3_Lb0EPKbPbPKlPlN2at6native12_GLOBAL__N_18offset_tEEE10hipError_tPvRmT1_PNSt15iterator_traitsISK_E10value_typeET2_T3_PNSL_ISQ_E10value_typeET4_jRbjT5_SW_jjP12ihipStream_tbEUlT_E2_NS1_11comp_targetILNS1_3genE10ELNS1_11target_archE1200ELNS1_3gpuE4ELNS1_3repE0EEENS1_30default_config_static_selectorELNS0_4arch9wavefront6targetE0EEEvSK_ ; -- Begin function _ZN7rocprim17ROCPRIM_400000_NS6detail17trampoline_kernelINS0_14default_configENS1_36segmented_radix_sort_config_selectorIblEEZNS1_25segmented_radix_sort_implIS3_Lb0EPKbPbPKlPlN2at6native12_GLOBAL__N_18offset_tEEE10hipError_tPvRmT1_PNSt15iterator_traitsISK_E10value_typeET2_T3_PNSL_ISQ_E10value_typeET4_jRbjT5_SW_jjP12ihipStream_tbEUlT_E2_NS1_11comp_targetILNS1_3genE10ELNS1_11target_archE1200ELNS1_3gpuE4ELNS1_3repE0EEENS1_30default_config_static_selectorELNS0_4arch9wavefront6targetE0EEEvSK_
	.p2align	8
	.type	_ZN7rocprim17ROCPRIM_400000_NS6detail17trampoline_kernelINS0_14default_configENS1_36segmented_radix_sort_config_selectorIblEEZNS1_25segmented_radix_sort_implIS3_Lb0EPKbPbPKlPlN2at6native12_GLOBAL__N_18offset_tEEE10hipError_tPvRmT1_PNSt15iterator_traitsISK_E10value_typeET2_T3_PNSL_ISQ_E10value_typeET4_jRbjT5_SW_jjP12ihipStream_tbEUlT_E2_NS1_11comp_targetILNS1_3genE10ELNS1_11target_archE1200ELNS1_3gpuE4ELNS1_3repE0EEENS1_30default_config_static_selectorELNS0_4arch9wavefront6targetE0EEEvSK_,@function
_ZN7rocprim17ROCPRIM_400000_NS6detail17trampoline_kernelINS0_14default_configENS1_36segmented_radix_sort_config_selectorIblEEZNS1_25segmented_radix_sort_implIS3_Lb0EPKbPbPKlPlN2at6native12_GLOBAL__N_18offset_tEEE10hipError_tPvRmT1_PNSt15iterator_traitsISK_E10value_typeET2_T3_PNSL_ISQ_E10value_typeET4_jRbjT5_SW_jjP12ihipStream_tbEUlT_E2_NS1_11comp_targetILNS1_3genE10ELNS1_11target_archE1200ELNS1_3gpuE4ELNS1_3repE0EEENS1_30default_config_static_selectorELNS0_4arch9wavefront6targetE0EEEvSK_: ; @_ZN7rocprim17ROCPRIM_400000_NS6detail17trampoline_kernelINS0_14default_configENS1_36segmented_radix_sort_config_selectorIblEEZNS1_25segmented_radix_sort_implIS3_Lb0EPKbPbPKlPlN2at6native12_GLOBAL__N_18offset_tEEE10hipError_tPvRmT1_PNSt15iterator_traitsISK_E10value_typeET2_T3_PNSL_ISQ_E10value_typeET4_jRbjT5_SW_jjP12ihipStream_tbEUlT_E2_NS1_11comp_targetILNS1_3genE10ELNS1_11target_archE1200ELNS1_3gpuE4ELNS1_3repE0EEENS1_30default_config_static_selectorELNS0_4arch9wavefront6targetE0EEEvSK_
; %bb.0:
	.section	.rodata,"a",@progbits
	.p2align	6, 0x0
	.amdhsa_kernel _ZN7rocprim17ROCPRIM_400000_NS6detail17trampoline_kernelINS0_14default_configENS1_36segmented_radix_sort_config_selectorIblEEZNS1_25segmented_radix_sort_implIS3_Lb0EPKbPbPKlPlN2at6native12_GLOBAL__N_18offset_tEEE10hipError_tPvRmT1_PNSt15iterator_traitsISK_E10value_typeET2_T3_PNSL_ISQ_E10value_typeET4_jRbjT5_SW_jjP12ihipStream_tbEUlT_E2_NS1_11comp_targetILNS1_3genE10ELNS1_11target_archE1200ELNS1_3gpuE4ELNS1_3repE0EEENS1_30default_config_static_selectorELNS0_4arch9wavefront6targetE0EEEvSK_
		.amdhsa_group_segment_fixed_size 0
		.amdhsa_private_segment_fixed_size 0
		.amdhsa_kernarg_size 80
		.amdhsa_user_sgpr_count 2
		.amdhsa_user_sgpr_dispatch_ptr 0
		.amdhsa_user_sgpr_queue_ptr 0
		.amdhsa_user_sgpr_kernarg_segment_ptr 1
		.amdhsa_user_sgpr_dispatch_id 0
		.amdhsa_user_sgpr_private_segment_size 0
		.amdhsa_wavefront_size32 1
		.amdhsa_uses_dynamic_stack 0
		.amdhsa_enable_private_segment 0
		.amdhsa_system_sgpr_workgroup_id_x 1
		.amdhsa_system_sgpr_workgroup_id_y 0
		.amdhsa_system_sgpr_workgroup_id_z 0
		.amdhsa_system_sgpr_workgroup_info 0
		.amdhsa_system_vgpr_workitem_id 0
		.amdhsa_next_free_vgpr 1
		.amdhsa_next_free_sgpr 1
		.amdhsa_reserve_vcc 0
		.amdhsa_float_round_mode_32 0
		.amdhsa_float_round_mode_16_64 0
		.amdhsa_float_denorm_mode_32 3
		.amdhsa_float_denorm_mode_16_64 3
		.amdhsa_fp16_overflow 0
		.amdhsa_workgroup_processor_mode 1
		.amdhsa_memory_ordered 1
		.amdhsa_forward_progress 1
		.amdhsa_inst_pref_size 0
		.amdhsa_round_robin_scheduling 0
		.amdhsa_exception_fp_ieee_invalid_op 0
		.amdhsa_exception_fp_denorm_src 0
		.amdhsa_exception_fp_ieee_div_zero 0
		.amdhsa_exception_fp_ieee_overflow 0
		.amdhsa_exception_fp_ieee_underflow 0
		.amdhsa_exception_fp_ieee_inexact 0
		.amdhsa_exception_int_div_zero 0
	.end_amdhsa_kernel
	.section	.text._ZN7rocprim17ROCPRIM_400000_NS6detail17trampoline_kernelINS0_14default_configENS1_36segmented_radix_sort_config_selectorIblEEZNS1_25segmented_radix_sort_implIS3_Lb0EPKbPbPKlPlN2at6native12_GLOBAL__N_18offset_tEEE10hipError_tPvRmT1_PNSt15iterator_traitsISK_E10value_typeET2_T3_PNSL_ISQ_E10value_typeET4_jRbjT5_SW_jjP12ihipStream_tbEUlT_E2_NS1_11comp_targetILNS1_3genE10ELNS1_11target_archE1200ELNS1_3gpuE4ELNS1_3repE0EEENS1_30default_config_static_selectorELNS0_4arch9wavefront6targetE0EEEvSK_,"axG",@progbits,_ZN7rocprim17ROCPRIM_400000_NS6detail17trampoline_kernelINS0_14default_configENS1_36segmented_radix_sort_config_selectorIblEEZNS1_25segmented_radix_sort_implIS3_Lb0EPKbPbPKlPlN2at6native12_GLOBAL__N_18offset_tEEE10hipError_tPvRmT1_PNSt15iterator_traitsISK_E10value_typeET2_T3_PNSL_ISQ_E10value_typeET4_jRbjT5_SW_jjP12ihipStream_tbEUlT_E2_NS1_11comp_targetILNS1_3genE10ELNS1_11target_archE1200ELNS1_3gpuE4ELNS1_3repE0EEENS1_30default_config_static_selectorELNS0_4arch9wavefront6targetE0EEEvSK_,comdat
.Lfunc_end1671:
	.size	_ZN7rocprim17ROCPRIM_400000_NS6detail17trampoline_kernelINS0_14default_configENS1_36segmented_radix_sort_config_selectorIblEEZNS1_25segmented_radix_sort_implIS3_Lb0EPKbPbPKlPlN2at6native12_GLOBAL__N_18offset_tEEE10hipError_tPvRmT1_PNSt15iterator_traitsISK_E10value_typeET2_T3_PNSL_ISQ_E10value_typeET4_jRbjT5_SW_jjP12ihipStream_tbEUlT_E2_NS1_11comp_targetILNS1_3genE10ELNS1_11target_archE1200ELNS1_3gpuE4ELNS1_3repE0EEENS1_30default_config_static_selectorELNS0_4arch9wavefront6targetE0EEEvSK_, .Lfunc_end1671-_ZN7rocprim17ROCPRIM_400000_NS6detail17trampoline_kernelINS0_14default_configENS1_36segmented_radix_sort_config_selectorIblEEZNS1_25segmented_radix_sort_implIS3_Lb0EPKbPbPKlPlN2at6native12_GLOBAL__N_18offset_tEEE10hipError_tPvRmT1_PNSt15iterator_traitsISK_E10value_typeET2_T3_PNSL_ISQ_E10value_typeET4_jRbjT5_SW_jjP12ihipStream_tbEUlT_E2_NS1_11comp_targetILNS1_3genE10ELNS1_11target_archE1200ELNS1_3gpuE4ELNS1_3repE0EEENS1_30default_config_static_selectorELNS0_4arch9wavefront6targetE0EEEvSK_
                                        ; -- End function
	.set _ZN7rocprim17ROCPRIM_400000_NS6detail17trampoline_kernelINS0_14default_configENS1_36segmented_radix_sort_config_selectorIblEEZNS1_25segmented_radix_sort_implIS3_Lb0EPKbPbPKlPlN2at6native12_GLOBAL__N_18offset_tEEE10hipError_tPvRmT1_PNSt15iterator_traitsISK_E10value_typeET2_T3_PNSL_ISQ_E10value_typeET4_jRbjT5_SW_jjP12ihipStream_tbEUlT_E2_NS1_11comp_targetILNS1_3genE10ELNS1_11target_archE1200ELNS1_3gpuE4ELNS1_3repE0EEENS1_30default_config_static_selectorELNS0_4arch9wavefront6targetE0EEEvSK_.num_vgpr, 0
	.set _ZN7rocprim17ROCPRIM_400000_NS6detail17trampoline_kernelINS0_14default_configENS1_36segmented_radix_sort_config_selectorIblEEZNS1_25segmented_radix_sort_implIS3_Lb0EPKbPbPKlPlN2at6native12_GLOBAL__N_18offset_tEEE10hipError_tPvRmT1_PNSt15iterator_traitsISK_E10value_typeET2_T3_PNSL_ISQ_E10value_typeET4_jRbjT5_SW_jjP12ihipStream_tbEUlT_E2_NS1_11comp_targetILNS1_3genE10ELNS1_11target_archE1200ELNS1_3gpuE4ELNS1_3repE0EEENS1_30default_config_static_selectorELNS0_4arch9wavefront6targetE0EEEvSK_.num_agpr, 0
	.set _ZN7rocprim17ROCPRIM_400000_NS6detail17trampoline_kernelINS0_14default_configENS1_36segmented_radix_sort_config_selectorIblEEZNS1_25segmented_radix_sort_implIS3_Lb0EPKbPbPKlPlN2at6native12_GLOBAL__N_18offset_tEEE10hipError_tPvRmT1_PNSt15iterator_traitsISK_E10value_typeET2_T3_PNSL_ISQ_E10value_typeET4_jRbjT5_SW_jjP12ihipStream_tbEUlT_E2_NS1_11comp_targetILNS1_3genE10ELNS1_11target_archE1200ELNS1_3gpuE4ELNS1_3repE0EEENS1_30default_config_static_selectorELNS0_4arch9wavefront6targetE0EEEvSK_.numbered_sgpr, 0
	.set _ZN7rocprim17ROCPRIM_400000_NS6detail17trampoline_kernelINS0_14default_configENS1_36segmented_radix_sort_config_selectorIblEEZNS1_25segmented_radix_sort_implIS3_Lb0EPKbPbPKlPlN2at6native12_GLOBAL__N_18offset_tEEE10hipError_tPvRmT1_PNSt15iterator_traitsISK_E10value_typeET2_T3_PNSL_ISQ_E10value_typeET4_jRbjT5_SW_jjP12ihipStream_tbEUlT_E2_NS1_11comp_targetILNS1_3genE10ELNS1_11target_archE1200ELNS1_3gpuE4ELNS1_3repE0EEENS1_30default_config_static_selectorELNS0_4arch9wavefront6targetE0EEEvSK_.num_named_barrier, 0
	.set _ZN7rocprim17ROCPRIM_400000_NS6detail17trampoline_kernelINS0_14default_configENS1_36segmented_radix_sort_config_selectorIblEEZNS1_25segmented_radix_sort_implIS3_Lb0EPKbPbPKlPlN2at6native12_GLOBAL__N_18offset_tEEE10hipError_tPvRmT1_PNSt15iterator_traitsISK_E10value_typeET2_T3_PNSL_ISQ_E10value_typeET4_jRbjT5_SW_jjP12ihipStream_tbEUlT_E2_NS1_11comp_targetILNS1_3genE10ELNS1_11target_archE1200ELNS1_3gpuE4ELNS1_3repE0EEENS1_30default_config_static_selectorELNS0_4arch9wavefront6targetE0EEEvSK_.private_seg_size, 0
	.set _ZN7rocprim17ROCPRIM_400000_NS6detail17trampoline_kernelINS0_14default_configENS1_36segmented_radix_sort_config_selectorIblEEZNS1_25segmented_radix_sort_implIS3_Lb0EPKbPbPKlPlN2at6native12_GLOBAL__N_18offset_tEEE10hipError_tPvRmT1_PNSt15iterator_traitsISK_E10value_typeET2_T3_PNSL_ISQ_E10value_typeET4_jRbjT5_SW_jjP12ihipStream_tbEUlT_E2_NS1_11comp_targetILNS1_3genE10ELNS1_11target_archE1200ELNS1_3gpuE4ELNS1_3repE0EEENS1_30default_config_static_selectorELNS0_4arch9wavefront6targetE0EEEvSK_.uses_vcc, 0
	.set _ZN7rocprim17ROCPRIM_400000_NS6detail17trampoline_kernelINS0_14default_configENS1_36segmented_radix_sort_config_selectorIblEEZNS1_25segmented_radix_sort_implIS3_Lb0EPKbPbPKlPlN2at6native12_GLOBAL__N_18offset_tEEE10hipError_tPvRmT1_PNSt15iterator_traitsISK_E10value_typeET2_T3_PNSL_ISQ_E10value_typeET4_jRbjT5_SW_jjP12ihipStream_tbEUlT_E2_NS1_11comp_targetILNS1_3genE10ELNS1_11target_archE1200ELNS1_3gpuE4ELNS1_3repE0EEENS1_30default_config_static_selectorELNS0_4arch9wavefront6targetE0EEEvSK_.uses_flat_scratch, 0
	.set _ZN7rocprim17ROCPRIM_400000_NS6detail17trampoline_kernelINS0_14default_configENS1_36segmented_radix_sort_config_selectorIblEEZNS1_25segmented_radix_sort_implIS3_Lb0EPKbPbPKlPlN2at6native12_GLOBAL__N_18offset_tEEE10hipError_tPvRmT1_PNSt15iterator_traitsISK_E10value_typeET2_T3_PNSL_ISQ_E10value_typeET4_jRbjT5_SW_jjP12ihipStream_tbEUlT_E2_NS1_11comp_targetILNS1_3genE10ELNS1_11target_archE1200ELNS1_3gpuE4ELNS1_3repE0EEENS1_30default_config_static_selectorELNS0_4arch9wavefront6targetE0EEEvSK_.has_dyn_sized_stack, 0
	.set _ZN7rocprim17ROCPRIM_400000_NS6detail17trampoline_kernelINS0_14default_configENS1_36segmented_radix_sort_config_selectorIblEEZNS1_25segmented_radix_sort_implIS3_Lb0EPKbPbPKlPlN2at6native12_GLOBAL__N_18offset_tEEE10hipError_tPvRmT1_PNSt15iterator_traitsISK_E10value_typeET2_T3_PNSL_ISQ_E10value_typeET4_jRbjT5_SW_jjP12ihipStream_tbEUlT_E2_NS1_11comp_targetILNS1_3genE10ELNS1_11target_archE1200ELNS1_3gpuE4ELNS1_3repE0EEENS1_30default_config_static_selectorELNS0_4arch9wavefront6targetE0EEEvSK_.has_recursion, 0
	.set _ZN7rocprim17ROCPRIM_400000_NS6detail17trampoline_kernelINS0_14default_configENS1_36segmented_radix_sort_config_selectorIblEEZNS1_25segmented_radix_sort_implIS3_Lb0EPKbPbPKlPlN2at6native12_GLOBAL__N_18offset_tEEE10hipError_tPvRmT1_PNSt15iterator_traitsISK_E10value_typeET2_T3_PNSL_ISQ_E10value_typeET4_jRbjT5_SW_jjP12ihipStream_tbEUlT_E2_NS1_11comp_targetILNS1_3genE10ELNS1_11target_archE1200ELNS1_3gpuE4ELNS1_3repE0EEENS1_30default_config_static_selectorELNS0_4arch9wavefront6targetE0EEEvSK_.has_indirect_call, 0
	.section	.AMDGPU.csdata,"",@progbits
; Kernel info:
; codeLenInByte = 0
; TotalNumSgprs: 0
; NumVgprs: 0
; ScratchSize: 0
; MemoryBound: 0
; FloatMode: 240
; IeeeMode: 1
; LDSByteSize: 0 bytes/workgroup (compile time only)
; SGPRBlocks: 0
; VGPRBlocks: 0
; NumSGPRsForWavesPerEU: 1
; NumVGPRsForWavesPerEU: 1
; Occupancy: 16
; WaveLimiterHint : 0
; COMPUTE_PGM_RSRC2:SCRATCH_EN: 0
; COMPUTE_PGM_RSRC2:USER_SGPR: 2
; COMPUTE_PGM_RSRC2:TRAP_HANDLER: 0
; COMPUTE_PGM_RSRC2:TGID_X_EN: 1
; COMPUTE_PGM_RSRC2:TGID_Y_EN: 0
; COMPUTE_PGM_RSRC2:TGID_Z_EN: 0
; COMPUTE_PGM_RSRC2:TIDIG_COMP_CNT: 0
	.section	.text._ZN7rocprim17ROCPRIM_400000_NS6detail17trampoline_kernelINS0_14default_configENS1_36segmented_radix_sort_config_selectorIblEEZNS1_25segmented_radix_sort_implIS3_Lb0EPKbPbPKlPlN2at6native12_GLOBAL__N_18offset_tEEE10hipError_tPvRmT1_PNSt15iterator_traitsISK_E10value_typeET2_T3_PNSL_ISQ_E10value_typeET4_jRbjT5_SW_jjP12ihipStream_tbEUlT_E2_NS1_11comp_targetILNS1_3genE9ELNS1_11target_archE1100ELNS1_3gpuE3ELNS1_3repE0EEENS1_30default_config_static_selectorELNS0_4arch9wavefront6targetE0EEEvSK_,"axG",@progbits,_ZN7rocprim17ROCPRIM_400000_NS6detail17trampoline_kernelINS0_14default_configENS1_36segmented_radix_sort_config_selectorIblEEZNS1_25segmented_radix_sort_implIS3_Lb0EPKbPbPKlPlN2at6native12_GLOBAL__N_18offset_tEEE10hipError_tPvRmT1_PNSt15iterator_traitsISK_E10value_typeET2_T3_PNSL_ISQ_E10value_typeET4_jRbjT5_SW_jjP12ihipStream_tbEUlT_E2_NS1_11comp_targetILNS1_3genE9ELNS1_11target_archE1100ELNS1_3gpuE3ELNS1_3repE0EEENS1_30default_config_static_selectorELNS0_4arch9wavefront6targetE0EEEvSK_,comdat
	.globl	_ZN7rocprim17ROCPRIM_400000_NS6detail17trampoline_kernelINS0_14default_configENS1_36segmented_radix_sort_config_selectorIblEEZNS1_25segmented_radix_sort_implIS3_Lb0EPKbPbPKlPlN2at6native12_GLOBAL__N_18offset_tEEE10hipError_tPvRmT1_PNSt15iterator_traitsISK_E10value_typeET2_T3_PNSL_ISQ_E10value_typeET4_jRbjT5_SW_jjP12ihipStream_tbEUlT_E2_NS1_11comp_targetILNS1_3genE9ELNS1_11target_archE1100ELNS1_3gpuE3ELNS1_3repE0EEENS1_30default_config_static_selectorELNS0_4arch9wavefront6targetE0EEEvSK_ ; -- Begin function _ZN7rocprim17ROCPRIM_400000_NS6detail17trampoline_kernelINS0_14default_configENS1_36segmented_radix_sort_config_selectorIblEEZNS1_25segmented_radix_sort_implIS3_Lb0EPKbPbPKlPlN2at6native12_GLOBAL__N_18offset_tEEE10hipError_tPvRmT1_PNSt15iterator_traitsISK_E10value_typeET2_T3_PNSL_ISQ_E10value_typeET4_jRbjT5_SW_jjP12ihipStream_tbEUlT_E2_NS1_11comp_targetILNS1_3genE9ELNS1_11target_archE1100ELNS1_3gpuE3ELNS1_3repE0EEENS1_30default_config_static_selectorELNS0_4arch9wavefront6targetE0EEEvSK_
	.p2align	8
	.type	_ZN7rocprim17ROCPRIM_400000_NS6detail17trampoline_kernelINS0_14default_configENS1_36segmented_radix_sort_config_selectorIblEEZNS1_25segmented_radix_sort_implIS3_Lb0EPKbPbPKlPlN2at6native12_GLOBAL__N_18offset_tEEE10hipError_tPvRmT1_PNSt15iterator_traitsISK_E10value_typeET2_T3_PNSL_ISQ_E10value_typeET4_jRbjT5_SW_jjP12ihipStream_tbEUlT_E2_NS1_11comp_targetILNS1_3genE9ELNS1_11target_archE1100ELNS1_3gpuE3ELNS1_3repE0EEENS1_30default_config_static_selectorELNS0_4arch9wavefront6targetE0EEEvSK_,@function
_ZN7rocprim17ROCPRIM_400000_NS6detail17trampoline_kernelINS0_14default_configENS1_36segmented_radix_sort_config_selectorIblEEZNS1_25segmented_radix_sort_implIS3_Lb0EPKbPbPKlPlN2at6native12_GLOBAL__N_18offset_tEEE10hipError_tPvRmT1_PNSt15iterator_traitsISK_E10value_typeET2_T3_PNSL_ISQ_E10value_typeET4_jRbjT5_SW_jjP12ihipStream_tbEUlT_E2_NS1_11comp_targetILNS1_3genE9ELNS1_11target_archE1100ELNS1_3gpuE3ELNS1_3repE0EEENS1_30default_config_static_selectorELNS0_4arch9wavefront6targetE0EEEvSK_: ; @_ZN7rocprim17ROCPRIM_400000_NS6detail17trampoline_kernelINS0_14default_configENS1_36segmented_radix_sort_config_selectorIblEEZNS1_25segmented_radix_sort_implIS3_Lb0EPKbPbPKlPlN2at6native12_GLOBAL__N_18offset_tEEE10hipError_tPvRmT1_PNSt15iterator_traitsISK_E10value_typeET2_T3_PNSL_ISQ_E10value_typeET4_jRbjT5_SW_jjP12ihipStream_tbEUlT_E2_NS1_11comp_targetILNS1_3genE9ELNS1_11target_archE1100ELNS1_3gpuE3ELNS1_3repE0EEENS1_30default_config_static_selectorELNS0_4arch9wavefront6targetE0EEEvSK_
; %bb.0:
	.section	.rodata,"a",@progbits
	.p2align	6, 0x0
	.amdhsa_kernel _ZN7rocprim17ROCPRIM_400000_NS6detail17trampoline_kernelINS0_14default_configENS1_36segmented_radix_sort_config_selectorIblEEZNS1_25segmented_radix_sort_implIS3_Lb0EPKbPbPKlPlN2at6native12_GLOBAL__N_18offset_tEEE10hipError_tPvRmT1_PNSt15iterator_traitsISK_E10value_typeET2_T3_PNSL_ISQ_E10value_typeET4_jRbjT5_SW_jjP12ihipStream_tbEUlT_E2_NS1_11comp_targetILNS1_3genE9ELNS1_11target_archE1100ELNS1_3gpuE3ELNS1_3repE0EEENS1_30default_config_static_selectorELNS0_4arch9wavefront6targetE0EEEvSK_
		.amdhsa_group_segment_fixed_size 0
		.amdhsa_private_segment_fixed_size 0
		.amdhsa_kernarg_size 80
		.amdhsa_user_sgpr_count 2
		.amdhsa_user_sgpr_dispatch_ptr 0
		.amdhsa_user_sgpr_queue_ptr 0
		.amdhsa_user_sgpr_kernarg_segment_ptr 1
		.amdhsa_user_sgpr_dispatch_id 0
		.amdhsa_user_sgpr_private_segment_size 0
		.amdhsa_wavefront_size32 1
		.amdhsa_uses_dynamic_stack 0
		.amdhsa_enable_private_segment 0
		.amdhsa_system_sgpr_workgroup_id_x 1
		.amdhsa_system_sgpr_workgroup_id_y 0
		.amdhsa_system_sgpr_workgroup_id_z 0
		.amdhsa_system_sgpr_workgroup_info 0
		.amdhsa_system_vgpr_workitem_id 0
		.amdhsa_next_free_vgpr 1
		.amdhsa_next_free_sgpr 1
		.amdhsa_reserve_vcc 0
		.amdhsa_float_round_mode_32 0
		.amdhsa_float_round_mode_16_64 0
		.amdhsa_float_denorm_mode_32 3
		.amdhsa_float_denorm_mode_16_64 3
		.amdhsa_fp16_overflow 0
		.amdhsa_workgroup_processor_mode 1
		.amdhsa_memory_ordered 1
		.amdhsa_forward_progress 1
		.amdhsa_inst_pref_size 0
		.amdhsa_round_robin_scheduling 0
		.amdhsa_exception_fp_ieee_invalid_op 0
		.amdhsa_exception_fp_denorm_src 0
		.amdhsa_exception_fp_ieee_div_zero 0
		.amdhsa_exception_fp_ieee_overflow 0
		.amdhsa_exception_fp_ieee_underflow 0
		.amdhsa_exception_fp_ieee_inexact 0
		.amdhsa_exception_int_div_zero 0
	.end_amdhsa_kernel
	.section	.text._ZN7rocprim17ROCPRIM_400000_NS6detail17trampoline_kernelINS0_14default_configENS1_36segmented_radix_sort_config_selectorIblEEZNS1_25segmented_radix_sort_implIS3_Lb0EPKbPbPKlPlN2at6native12_GLOBAL__N_18offset_tEEE10hipError_tPvRmT1_PNSt15iterator_traitsISK_E10value_typeET2_T3_PNSL_ISQ_E10value_typeET4_jRbjT5_SW_jjP12ihipStream_tbEUlT_E2_NS1_11comp_targetILNS1_3genE9ELNS1_11target_archE1100ELNS1_3gpuE3ELNS1_3repE0EEENS1_30default_config_static_selectorELNS0_4arch9wavefront6targetE0EEEvSK_,"axG",@progbits,_ZN7rocprim17ROCPRIM_400000_NS6detail17trampoline_kernelINS0_14default_configENS1_36segmented_radix_sort_config_selectorIblEEZNS1_25segmented_radix_sort_implIS3_Lb0EPKbPbPKlPlN2at6native12_GLOBAL__N_18offset_tEEE10hipError_tPvRmT1_PNSt15iterator_traitsISK_E10value_typeET2_T3_PNSL_ISQ_E10value_typeET4_jRbjT5_SW_jjP12ihipStream_tbEUlT_E2_NS1_11comp_targetILNS1_3genE9ELNS1_11target_archE1100ELNS1_3gpuE3ELNS1_3repE0EEENS1_30default_config_static_selectorELNS0_4arch9wavefront6targetE0EEEvSK_,comdat
.Lfunc_end1672:
	.size	_ZN7rocprim17ROCPRIM_400000_NS6detail17trampoline_kernelINS0_14default_configENS1_36segmented_radix_sort_config_selectorIblEEZNS1_25segmented_radix_sort_implIS3_Lb0EPKbPbPKlPlN2at6native12_GLOBAL__N_18offset_tEEE10hipError_tPvRmT1_PNSt15iterator_traitsISK_E10value_typeET2_T3_PNSL_ISQ_E10value_typeET4_jRbjT5_SW_jjP12ihipStream_tbEUlT_E2_NS1_11comp_targetILNS1_3genE9ELNS1_11target_archE1100ELNS1_3gpuE3ELNS1_3repE0EEENS1_30default_config_static_selectorELNS0_4arch9wavefront6targetE0EEEvSK_, .Lfunc_end1672-_ZN7rocprim17ROCPRIM_400000_NS6detail17trampoline_kernelINS0_14default_configENS1_36segmented_radix_sort_config_selectorIblEEZNS1_25segmented_radix_sort_implIS3_Lb0EPKbPbPKlPlN2at6native12_GLOBAL__N_18offset_tEEE10hipError_tPvRmT1_PNSt15iterator_traitsISK_E10value_typeET2_T3_PNSL_ISQ_E10value_typeET4_jRbjT5_SW_jjP12ihipStream_tbEUlT_E2_NS1_11comp_targetILNS1_3genE9ELNS1_11target_archE1100ELNS1_3gpuE3ELNS1_3repE0EEENS1_30default_config_static_selectorELNS0_4arch9wavefront6targetE0EEEvSK_
                                        ; -- End function
	.set _ZN7rocprim17ROCPRIM_400000_NS6detail17trampoline_kernelINS0_14default_configENS1_36segmented_radix_sort_config_selectorIblEEZNS1_25segmented_radix_sort_implIS3_Lb0EPKbPbPKlPlN2at6native12_GLOBAL__N_18offset_tEEE10hipError_tPvRmT1_PNSt15iterator_traitsISK_E10value_typeET2_T3_PNSL_ISQ_E10value_typeET4_jRbjT5_SW_jjP12ihipStream_tbEUlT_E2_NS1_11comp_targetILNS1_3genE9ELNS1_11target_archE1100ELNS1_3gpuE3ELNS1_3repE0EEENS1_30default_config_static_selectorELNS0_4arch9wavefront6targetE0EEEvSK_.num_vgpr, 0
	.set _ZN7rocprim17ROCPRIM_400000_NS6detail17trampoline_kernelINS0_14default_configENS1_36segmented_radix_sort_config_selectorIblEEZNS1_25segmented_radix_sort_implIS3_Lb0EPKbPbPKlPlN2at6native12_GLOBAL__N_18offset_tEEE10hipError_tPvRmT1_PNSt15iterator_traitsISK_E10value_typeET2_T3_PNSL_ISQ_E10value_typeET4_jRbjT5_SW_jjP12ihipStream_tbEUlT_E2_NS1_11comp_targetILNS1_3genE9ELNS1_11target_archE1100ELNS1_3gpuE3ELNS1_3repE0EEENS1_30default_config_static_selectorELNS0_4arch9wavefront6targetE0EEEvSK_.num_agpr, 0
	.set _ZN7rocprim17ROCPRIM_400000_NS6detail17trampoline_kernelINS0_14default_configENS1_36segmented_radix_sort_config_selectorIblEEZNS1_25segmented_radix_sort_implIS3_Lb0EPKbPbPKlPlN2at6native12_GLOBAL__N_18offset_tEEE10hipError_tPvRmT1_PNSt15iterator_traitsISK_E10value_typeET2_T3_PNSL_ISQ_E10value_typeET4_jRbjT5_SW_jjP12ihipStream_tbEUlT_E2_NS1_11comp_targetILNS1_3genE9ELNS1_11target_archE1100ELNS1_3gpuE3ELNS1_3repE0EEENS1_30default_config_static_selectorELNS0_4arch9wavefront6targetE0EEEvSK_.numbered_sgpr, 0
	.set _ZN7rocprim17ROCPRIM_400000_NS6detail17trampoline_kernelINS0_14default_configENS1_36segmented_radix_sort_config_selectorIblEEZNS1_25segmented_radix_sort_implIS3_Lb0EPKbPbPKlPlN2at6native12_GLOBAL__N_18offset_tEEE10hipError_tPvRmT1_PNSt15iterator_traitsISK_E10value_typeET2_T3_PNSL_ISQ_E10value_typeET4_jRbjT5_SW_jjP12ihipStream_tbEUlT_E2_NS1_11comp_targetILNS1_3genE9ELNS1_11target_archE1100ELNS1_3gpuE3ELNS1_3repE0EEENS1_30default_config_static_selectorELNS0_4arch9wavefront6targetE0EEEvSK_.num_named_barrier, 0
	.set _ZN7rocprim17ROCPRIM_400000_NS6detail17trampoline_kernelINS0_14default_configENS1_36segmented_radix_sort_config_selectorIblEEZNS1_25segmented_radix_sort_implIS3_Lb0EPKbPbPKlPlN2at6native12_GLOBAL__N_18offset_tEEE10hipError_tPvRmT1_PNSt15iterator_traitsISK_E10value_typeET2_T3_PNSL_ISQ_E10value_typeET4_jRbjT5_SW_jjP12ihipStream_tbEUlT_E2_NS1_11comp_targetILNS1_3genE9ELNS1_11target_archE1100ELNS1_3gpuE3ELNS1_3repE0EEENS1_30default_config_static_selectorELNS0_4arch9wavefront6targetE0EEEvSK_.private_seg_size, 0
	.set _ZN7rocprim17ROCPRIM_400000_NS6detail17trampoline_kernelINS0_14default_configENS1_36segmented_radix_sort_config_selectorIblEEZNS1_25segmented_radix_sort_implIS3_Lb0EPKbPbPKlPlN2at6native12_GLOBAL__N_18offset_tEEE10hipError_tPvRmT1_PNSt15iterator_traitsISK_E10value_typeET2_T3_PNSL_ISQ_E10value_typeET4_jRbjT5_SW_jjP12ihipStream_tbEUlT_E2_NS1_11comp_targetILNS1_3genE9ELNS1_11target_archE1100ELNS1_3gpuE3ELNS1_3repE0EEENS1_30default_config_static_selectorELNS0_4arch9wavefront6targetE0EEEvSK_.uses_vcc, 0
	.set _ZN7rocprim17ROCPRIM_400000_NS6detail17trampoline_kernelINS0_14default_configENS1_36segmented_radix_sort_config_selectorIblEEZNS1_25segmented_radix_sort_implIS3_Lb0EPKbPbPKlPlN2at6native12_GLOBAL__N_18offset_tEEE10hipError_tPvRmT1_PNSt15iterator_traitsISK_E10value_typeET2_T3_PNSL_ISQ_E10value_typeET4_jRbjT5_SW_jjP12ihipStream_tbEUlT_E2_NS1_11comp_targetILNS1_3genE9ELNS1_11target_archE1100ELNS1_3gpuE3ELNS1_3repE0EEENS1_30default_config_static_selectorELNS0_4arch9wavefront6targetE0EEEvSK_.uses_flat_scratch, 0
	.set _ZN7rocprim17ROCPRIM_400000_NS6detail17trampoline_kernelINS0_14default_configENS1_36segmented_radix_sort_config_selectorIblEEZNS1_25segmented_radix_sort_implIS3_Lb0EPKbPbPKlPlN2at6native12_GLOBAL__N_18offset_tEEE10hipError_tPvRmT1_PNSt15iterator_traitsISK_E10value_typeET2_T3_PNSL_ISQ_E10value_typeET4_jRbjT5_SW_jjP12ihipStream_tbEUlT_E2_NS1_11comp_targetILNS1_3genE9ELNS1_11target_archE1100ELNS1_3gpuE3ELNS1_3repE0EEENS1_30default_config_static_selectorELNS0_4arch9wavefront6targetE0EEEvSK_.has_dyn_sized_stack, 0
	.set _ZN7rocprim17ROCPRIM_400000_NS6detail17trampoline_kernelINS0_14default_configENS1_36segmented_radix_sort_config_selectorIblEEZNS1_25segmented_radix_sort_implIS3_Lb0EPKbPbPKlPlN2at6native12_GLOBAL__N_18offset_tEEE10hipError_tPvRmT1_PNSt15iterator_traitsISK_E10value_typeET2_T3_PNSL_ISQ_E10value_typeET4_jRbjT5_SW_jjP12ihipStream_tbEUlT_E2_NS1_11comp_targetILNS1_3genE9ELNS1_11target_archE1100ELNS1_3gpuE3ELNS1_3repE0EEENS1_30default_config_static_selectorELNS0_4arch9wavefront6targetE0EEEvSK_.has_recursion, 0
	.set _ZN7rocprim17ROCPRIM_400000_NS6detail17trampoline_kernelINS0_14default_configENS1_36segmented_radix_sort_config_selectorIblEEZNS1_25segmented_radix_sort_implIS3_Lb0EPKbPbPKlPlN2at6native12_GLOBAL__N_18offset_tEEE10hipError_tPvRmT1_PNSt15iterator_traitsISK_E10value_typeET2_T3_PNSL_ISQ_E10value_typeET4_jRbjT5_SW_jjP12ihipStream_tbEUlT_E2_NS1_11comp_targetILNS1_3genE9ELNS1_11target_archE1100ELNS1_3gpuE3ELNS1_3repE0EEENS1_30default_config_static_selectorELNS0_4arch9wavefront6targetE0EEEvSK_.has_indirect_call, 0
	.section	.AMDGPU.csdata,"",@progbits
; Kernel info:
; codeLenInByte = 0
; TotalNumSgprs: 0
; NumVgprs: 0
; ScratchSize: 0
; MemoryBound: 0
; FloatMode: 240
; IeeeMode: 1
; LDSByteSize: 0 bytes/workgroup (compile time only)
; SGPRBlocks: 0
; VGPRBlocks: 0
; NumSGPRsForWavesPerEU: 1
; NumVGPRsForWavesPerEU: 1
; Occupancy: 16
; WaveLimiterHint : 0
; COMPUTE_PGM_RSRC2:SCRATCH_EN: 0
; COMPUTE_PGM_RSRC2:USER_SGPR: 2
; COMPUTE_PGM_RSRC2:TRAP_HANDLER: 0
; COMPUTE_PGM_RSRC2:TGID_X_EN: 1
; COMPUTE_PGM_RSRC2:TGID_Y_EN: 0
; COMPUTE_PGM_RSRC2:TGID_Z_EN: 0
; COMPUTE_PGM_RSRC2:TIDIG_COMP_CNT: 0
	.section	.text._ZN7rocprim17ROCPRIM_400000_NS6detail17trampoline_kernelINS0_14default_configENS1_36segmented_radix_sort_config_selectorIblEEZNS1_25segmented_radix_sort_implIS3_Lb0EPKbPbPKlPlN2at6native12_GLOBAL__N_18offset_tEEE10hipError_tPvRmT1_PNSt15iterator_traitsISK_E10value_typeET2_T3_PNSL_ISQ_E10value_typeET4_jRbjT5_SW_jjP12ihipStream_tbEUlT_E2_NS1_11comp_targetILNS1_3genE8ELNS1_11target_archE1030ELNS1_3gpuE2ELNS1_3repE0EEENS1_30default_config_static_selectorELNS0_4arch9wavefront6targetE0EEEvSK_,"axG",@progbits,_ZN7rocprim17ROCPRIM_400000_NS6detail17trampoline_kernelINS0_14default_configENS1_36segmented_radix_sort_config_selectorIblEEZNS1_25segmented_radix_sort_implIS3_Lb0EPKbPbPKlPlN2at6native12_GLOBAL__N_18offset_tEEE10hipError_tPvRmT1_PNSt15iterator_traitsISK_E10value_typeET2_T3_PNSL_ISQ_E10value_typeET4_jRbjT5_SW_jjP12ihipStream_tbEUlT_E2_NS1_11comp_targetILNS1_3genE8ELNS1_11target_archE1030ELNS1_3gpuE2ELNS1_3repE0EEENS1_30default_config_static_selectorELNS0_4arch9wavefront6targetE0EEEvSK_,comdat
	.globl	_ZN7rocprim17ROCPRIM_400000_NS6detail17trampoline_kernelINS0_14default_configENS1_36segmented_radix_sort_config_selectorIblEEZNS1_25segmented_radix_sort_implIS3_Lb0EPKbPbPKlPlN2at6native12_GLOBAL__N_18offset_tEEE10hipError_tPvRmT1_PNSt15iterator_traitsISK_E10value_typeET2_T3_PNSL_ISQ_E10value_typeET4_jRbjT5_SW_jjP12ihipStream_tbEUlT_E2_NS1_11comp_targetILNS1_3genE8ELNS1_11target_archE1030ELNS1_3gpuE2ELNS1_3repE0EEENS1_30default_config_static_selectorELNS0_4arch9wavefront6targetE0EEEvSK_ ; -- Begin function _ZN7rocprim17ROCPRIM_400000_NS6detail17trampoline_kernelINS0_14default_configENS1_36segmented_radix_sort_config_selectorIblEEZNS1_25segmented_radix_sort_implIS3_Lb0EPKbPbPKlPlN2at6native12_GLOBAL__N_18offset_tEEE10hipError_tPvRmT1_PNSt15iterator_traitsISK_E10value_typeET2_T3_PNSL_ISQ_E10value_typeET4_jRbjT5_SW_jjP12ihipStream_tbEUlT_E2_NS1_11comp_targetILNS1_3genE8ELNS1_11target_archE1030ELNS1_3gpuE2ELNS1_3repE0EEENS1_30default_config_static_selectorELNS0_4arch9wavefront6targetE0EEEvSK_
	.p2align	8
	.type	_ZN7rocprim17ROCPRIM_400000_NS6detail17trampoline_kernelINS0_14default_configENS1_36segmented_radix_sort_config_selectorIblEEZNS1_25segmented_radix_sort_implIS3_Lb0EPKbPbPKlPlN2at6native12_GLOBAL__N_18offset_tEEE10hipError_tPvRmT1_PNSt15iterator_traitsISK_E10value_typeET2_T3_PNSL_ISQ_E10value_typeET4_jRbjT5_SW_jjP12ihipStream_tbEUlT_E2_NS1_11comp_targetILNS1_3genE8ELNS1_11target_archE1030ELNS1_3gpuE2ELNS1_3repE0EEENS1_30default_config_static_selectorELNS0_4arch9wavefront6targetE0EEEvSK_,@function
_ZN7rocprim17ROCPRIM_400000_NS6detail17trampoline_kernelINS0_14default_configENS1_36segmented_radix_sort_config_selectorIblEEZNS1_25segmented_radix_sort_implIS3_Lb0EPKbPbPKlPlN2at6native12_GLOBAL__N_18offset_tEEE10hipError_tPvRmT1_PNSt15iterator_traitsISK_E10value_typeET2_T3_PNSL_ISQ_E10value_typeET4_jRbjT5_SW_jjP12ihipStream_tbEUlT_E2_NS1_11comp_targetILNS1_3genE8ELNS1_11target_archE1030ELNS1_3gpuE2ELNS1_3repE0EEENS1_30default_config_static_selectorELNS0_4arch9wavefront6targetE0EEEvSK_: ; @_ZN7rocprim17ROCPRIM_400000_NS6detail17trampoline_kernelINS0_14default_configENS1_36segmented_radix_sort_config_selectorIblEEZNS1_25segmented_radix_sort_implIS3_Lb0EPKbPbPKlPlN2at6native12_GLOBAL__N_18offset_tEEE10hipError_tPvRmT1_PNSt15iterator_traitsISK_E10value_typeET2_T3_PNSL_ISQ_E10value_typeET4_jRbjT5_SW_jjP12ihipStream_tbEUlT_E2_NS1_11comp_targetILNS1_3genE8ELNS1_11target_archE1030ELNS1_3gpuE2ELNS1_3repE0EEENS1_30default_config_static_selectorELNS0_4arch9wavefront6targetE0EEEvSK_
; %bb.0:
	.section	.rodata,"a",@progbits
	.p2align	6, 0x0
	.amdhsa_kernel _ZN7rocprim17ROCPRIM_400000_NS6detail17trampoline_kernelINS0_14default_configENS1_36segmented_radix_sort_config_selectorIblEEZNS1_25segmented_radix_sort_implIS3_Lb0EPKbPbPKlPlN2at6native12_GLOBAL__N_18offset_tEEE10hipError_tPvRmT1_PNSt15iterator_traitsISK_E10value_typeET2_T3_PNSL_ISQ_E10value_typeET4_jRbjT5_SW_jjP12ihipStream_tbEUlT_E2_NS1_11comp_targetILNS1_3genE8ELNS1_11target_archE1030ELNS1_3gpuE2ELNS1_3repE0EEENS1_30default_config_static_selectorELNS0_4arch9wavefront6targetE0EEEvSK_
		.amdhsa_group_segment_fixed_size 0
		.amdhsa_private_segment_fixed_size 0
		.amdhsa_kernarg_size 80
		.amdhsa_user_sgpr_count 2
		.amdhsa_user_sgpr_dispatch_ptr 0
		.amdhsa_user_sgpr_queue_ptr 0
		.amdhsa_user_sgpr_kernarg_segment_ptr 1
		.amdhsa_user_sgpr_dispatch_id 0
		.amdhsa_user_sgpr_private_segment_size 0
		.amdhsa_wavefront_size32 1
		.amdhsa_uses_dynamic_stack 0
		.amdhsa_enable_private_segment 0
		.amdhsa_system_sgpr_workgroup_id_x 1
		.amdhsa_system_sgpr_workgroup_id_y 0
		.amdhsa_system_sgpr_workgroup_id_z 0
		.amdhsa_system_sgpr_workgroup_info 0
		.amdhsa_system_vgpr_workitem_id 0
		.amdhsa_next_free_vgpr 1
		.amdhsa_next_free_sgpr 1
		.amdhsa_reserve_vcc 0
		.amdhsa_float_round_mode_32 0
		.amdhsa_float_round_mode_16_64 0
		.amdhsa_float_denorm_mode_32 3
		.amdhsa_float_denorm_mode_16_64 3
		.amdhsa_fp16_overflow 0
		.amdhsa_workgroup_processor_mode 1
		.amdhsa_memory_ordered 1
		.amdhsa_forward_progress 1
		.amdhsa_inst_pref_size 0
		.amdhsa_round_robin_scheduling 0
		.amdhsa_exception_fp_ieee_invalid_op 0
		.amdhsa_exception_fp_denorm_src 0
		.amdhsa_exception_fp_ieee_div_zero 0
		.amdhsa_exception_fp_ieee_overflow 0
		.amdhsa_exception_fp_ieee_underflow 0
		.amdhsa_exception_fp_ieee_inexact 0
		.amdhsa_exception_int_div_zero 0
	.end_amdhsa_kernel
	.section	.text._ZN7rocprim17ROCPRIM_400000_NS6detail17trampoline_kernelINS0_14default_configENS1_36segmented_radix_sort_config_selectorIblEEZNS1_25segmented_radix_sort_implIS3_Lb0EPKbPbPKlPlN2at6native12_GLOBAL__N_18offset_tEEE10hipError_tPvRmT1_PNSt15iterator_traitsISK_E10value_typeET2_T3_PNSL_ISQ_E10value_typeET4_jRbjT5_SW_jjP12ihipStream_tbEUlT_E2_NS1_11comp_targetILNS1_3genE8ELNS1_11target_archE1030ELNS1_3gpuE2ELNS1_3repE0EEENS1_30default_config_static_selectorELNS0_4arch9wavefront6targetE0EEEvSK_,"axG",@progbits,_ZN7rocprim17ROCPRIM_400000_NS6detail17trampoline_kernelINS0_14default_configENS1_36segmented_radix_sort_config_selectorIblEEZNS1_25segmented_radix_sort_implIS3_Lb0EPKbPbPKlPlN2at6native12_GLOBAL__N_18offset_tEEE10hipError_tPvRmT1_PNSt15iterator_traitsISK_E10value_typeET2_T3_PNSL_ISQ_E10value_typeET4_jRbjT5_SW_jjP12ihipStream_tbEUlT_E2_NS1_11comp_targetILNS1_3genE8ELNS1_11target_archE1030ELNS1_3gpuE2ELNS1_3repE0EEENS1_30default_config_static_selectorELNS0_4arch9wavefront6targetE0EEEvSK_,comdat
.Lfunc_end1673:
	.size	_ZN7rocprim17ROCPRIM_400000_NS6detail17trampoline_kernelINS0_14default_configENS1_36segmented_radix_sort_config_selectorIblEEZNS1_25segmented_radix_sort_implIS3_Lb0EPKbPbPKlPlN2at6native12_GLOBAL__N_18offset_tEEE10hipError_tPvRmT1_PNSt15iterator_traitsISK_E10value_typeET2_T3_PNSL_ISQ_E10value_typeET4_jRbjT5_SW_jjP12ihipStream_tbEUlT_E2_NS1_11comp_targetILNS1_3genE8ELNS1_11target_archE1030ELNS1_3gpuE2ELNS1_3repE0EEENS1_30default_config_static_selectorELNS0_4arch9wavefront6targetE0EEEvSK_, .Lfunc_end1673-_ZN7rocprim17ROCPRIM_400000_NS6detail17trampoline_kernelINS0_14default_configENS1_36segmented_radix_sort_config_selectorIblEEZNS1_25segmented_radix_sort_implIS3_Lb0EPKbPbPKlPlN2at6native12_GLOBAL__N_18offset_tEEE10hipError_tPvRmT1_PNSt15iterator_traitsISK_E10value_typeET2_T3_PNSL_ISQ_E10value_typeET4_jRbjT5_SW_jjP12ihipStream_tbEUlT_E2_NS1_11comp_targetILNS1_3genE8ELNS1_11target_archE1030ELNS1_3gpuE2ELNS1_3repE0EEENS1_30default_config_static_selectorELNS0_4arch9wavefront6targetE0EEEvSK_
                                        ; -- End function
	.set _ZN7rocprim17ROCPRIM_400000_NS6detail17trampoline_kernelINS0_14default_configENS1_36segmented_radix_sort_config_selectorIblEEZNS1_25segmented_radix_sort_implIS3_Lb0EPKbPbPKlPlN2at6native12_GLOBAL__N_18offset_tEEE10hipError_tPvRmT1_PNSt15iterator_traitsISK_E10value_typeET2_T3_PNSL_ISQ_E10value_typeET4_jRbjT5_SW_jjP12ihipStream_tbEUlT_E2_NS1_11comp_targetILNS1_3genE8ELNS1_11target_archE1030ELNS1_3gpuE2ELNS1_3repE0EEENS1_30default_config_static_selectorELNS0_4arch9wavefront6targetE0EEEvSK_.num_vgpr, 0
	.set _ZN7rocprim17ROCPRIM_400000_NS6detail17trampoline_kernelINS0_14default_configENS1_36segmented_radix_sort_config_selectorIblEEZNS1_25segmented_radix_sort_implIS3_Lb0EPKbPbPKlPlN2at6native12_GLOBAL__N_18offset_tEEE10hipError_tPvRmT1_PNSt15iterator_traitsISK_E10value_typeET2_T3_PNSL_ISQ_E10value_typeET4_jRbjT5_SW_jjP12ihipStream_tbEUlT_E2_NS1_11comp_targetILNS1_3genE8ELNS1_11target_archE1030ELNS1_3gpuE2ELNS1_3repE0EEENS1_30default_config_static_selectorELNS0_4arch9wavefront6targetE0EEEvSK_.num_agpr, 0
	.set _ZN7rocprim17ROCPRIM_400000_NS6detail17trampoline_kernelINS0_14default_configENS1_36segmented_radix_sort_config_selectorIblEEZNS1_25segmented_radix_sort_implIS3_Lb0EPKbPbPKlPlN2at6native12_GLOBAL__N_18offset_tEEE10hipError_tPvRmT1_PNSt15iterator_traitsISK_E10value_typeET2_T3_PNSL_ISQ_E10value_typeET4_jRbjT5_SW_jjP12ihipStream_tbEUlT_E2_NS1_11comp_targetILNS1_3genE8ELNS1_11target_archE1030ELNS1_3gpuE2ELNS1_3repE0EEENS1_30default_config_static_selectorELNS0_4arch9wavefront6targetE0EEEvSK_.numbered_sgpr, 0
	.set _ZN7rocprim17ROCPRIM_400000_NS6detail17trampoline_kernelINS0_14default_configENS1_36segmented_radix_sort_config_selectorIblEEZNS1_25segmented_radix_sort_implIS3_Lb0EPKbPbPKlPlN2at6native12_GLOBAL__N_18offset_tEEE10hipError_tPvRmT1_PNSt15iterator_traitsISK_E10value_typeET2_T3_PNSL_ISQ_E10value_typeET4_jRbjT5_SW_jjP12ihipStream_tbEUlT_E2_NS1_11comp_targetILNS1_3genE8ELNS1_11target_archE1030ELNS1_3gpuE2ELNS1_3repE0EEENS1_30default_config_static_selectorELNS0_4arch9wavefront6targetE0EEEvSK_.num_named_barrier, 0
	.set _ZN7rocprim17ROCPRIM_400000_NS6detail17trampoline_kernelINS0_14default_configENS1_36segmented_radix_sort_config_selectorIblEEZNS1_25segmented_radix_sort_implIS3_Lb0EPKbPbPKlPlN2at6native12_GLOBAL__N_18offset_tEEE10hipError_tPvRmT1_PNSt15iterator_traitsISK_E10value_typeET2_T3_PNSL_ISQ_E10value_typeET4_jRbjT5_SW_jjP12ihipStream_tbEUlT_E2_NS1_11comp_targetILNS1_3genE8ELNS1_11target_archE1030ELNS1_3gpuE2ELNS1_3repE0EEENS1_30default_config_static_selectorELNS0_4arch9wavefront6targetE0EEEvSK_.private_seg_size, 0
	.set _ZN7rocprim17ROCPRIM_400000_NS6detail17trampoline_kernelINS0_14default_configENS1_36segmented_radix_sort_config_selectorIblEEZNS1_25segmented_radix_sort_implIS3_Lb0EPKbPbPKlPlN2at6native12_GLOBAL__N_18offset_tEEE10hipError_tPvRmT1_PNSt15iterator_traitsISK_E10value_typeET2_T3_PNSL_ISQ_E10value_typeET4_jRbjT5_SW_jjP12ihipStream_tbEUlT_E2_NS1_11comp_targetILNS1_3genE8ELNS1_11target_archE1030ELNS1_3gpuE2ELNS1_3repE0EEENS1_30default_config_static_selectorELNS0_4arch9wavefront6targetE0EEEvSK_.uses_vcc, 0
	.set _ZN7rocprim17ROCPRIM_400000_NS6detail17trampoline_kernelINS0_14default_configENS1_36segmented_radix_sort_config_selectorIblEEZNS1_25segmented_radix_sort_implIS3_Lb0EPKbPbPKlPlN2at6native12_GLOBAL__N_18offset_tEEE10hipError_tPvRmT1_PNSt15iterator_traitsISK_E10value_typeET2_T3_PNSL_ISQ_E10value_typeET4_jRbjT5_SW_jjP12ihipStream_tbEUlT_E2_NS1_11comp_targetILNS1_3genE8ELNS1_11target_archE1030ELNS1_3gpuE2ELNS1_3repE0EEENS1_30default_config_static_selectorELNS0_4arch9wavefront6targetE0EEEvSK_.uses_flat_scratch, 0
	.set _ZN7rocprim17ROCPRIM_400000_NS6detail17trampoline_kernelINS0_14default_configENS1_36segmented_radix_sort_config_selectorIblEEZNS1_25segmented_radix_sort_implIS3_Lb0EPKbPbPKlPlN2at6native12_GLOBAL__N_18offset_tEEE10hipError_tPvRmT1_PNSt15iterator_traitsISK_E10value_typeET2_T3_PNSL_ISQ_E10value_typeET4_jRbjT5_SW_jjP12ihipStream_tbEUlT_E2_NS1_11comp_targetILNS1_3genE8ELNS1_11target_archE1030ELNS1_3gpuE2ELNS1_3repE0EEENS1_30default_config_static_selectorELNS0_4arch9wavefront6targetE0EEEvSK_.has_dyn_sized_stack, 0
	.set _ZN7rocprim17ROCPRIM_400000_NS6detail17trampoline_kernelINS0_14default_configENS1_36segmented_radix_sort_config_selectorIblEEZNS1_25segmented_radix_sort_implIS3_Lb0EPKbPbPKlPlN2at6native12_GLOBAL__N_18offset_tEEE10hipError_tPvRmT1_PNSt15iterator_traitsISK_E10value_typeET2_T3_PNSL_ISQ_E10value_typeET4_jRbjT5_SW_jjP12ihipStream_tbEUlT_E2_NS1_11comp_targetILNS1_3genE8ELNS1_11target_archE1030ELNS1_3gpuE2ELNS1_3repE0EEENS1_30default_config_static_selectorELNS0_4arch9wavefront6targetE0EEEvSK_.has_recursion, 0
	.set _ZN7rocprim17ROCPRIM_400000_NS6detail17trampoline_kernelINS0_14default_configENS1_36segmented_radix_sort_config_selectorIblEEZNS1_25segmented_radix_sort_implIS3_Lb0EPKbPbPKlPlN2at6native12_GLOBAL__N_18offset_tEEE10hipError_tPvRmT1_PNSt15iterator_traitsISK_E10value_typeET2_T3_PNSL_ISQ_E10value_typeET4_jRbjT5_SW_jjP12ihipStream_tbEUlT_E2_NS1_11comp_targetILNS1_3genE8ELNS1_11target_archE1030ELNS1_3gpuE2ELNS1_3repE0EEENS1_30default_config_static_selectorELNS0_4arch9wavefront6targetE0EEEvSK_.has_indirect_call, 0
	.section	.AMDGPU.csdata,"",@progbits
; Kernel info:
; codeLenInByte = 0
; TotalNumSgprs: 0
; NumVgprs: 0
; ScratchSize: 0
; MemoryBound: 0
; FloatMode: 240
; IeeeMode: 1
; LDSByteSize: 0 bytes/workgroup (compile time only)
; SGPRBlocks: 0
; VGPRBlocks: 0
; NumSGPRsForWavesPerEU: 1
; NumVGPRsForWavesPerEU: 1
; Occupancy: 16
; WaveLimiterHint : 0
; COMPUTE_PGM_RSRC2:SCRATCH_EN: 0
; COMPUTE_PGM_RSRC2:USER_SGPR: 2
; COMPUTE_PGM_RSRC2:TRAP_HANDLER: 0
; COMPUTE_PGM_RSRC2:TGID_X_EN: 1
; COMPUTE_PGM_RSRC2:TGID_Y_EN: 0
; COMPUTE_PGM_RSRC2:TGID_Z_EN: 0
; COMPUTE_PGM_RSRC2:TIDIG_COMP_CNT: 0
	.section	.text._ZN2at6native12_GLOBAL__N_123sort_postprocess_kernelIN3c104HalfEEEvPKT_PS5_PlPK15HIP_vector_typeIiLj2EEii,"axG",@progbits,_ZN2at6native12_GLOBAL__N_123sort_postprocess_kernelIN3c104HalfEEEvPKT_PS5_PlPK15HIP_vector_typeIiLj2EEii,comdat
	.globl	_ZN2at6native12_GLOBAL__N_123sort_postprocess_kernelIN3c104HalfEEEvPKT_PS5_PlPK15HIP_vector_typeIiLj2EEii ; -- Begin function _ZN2at6native12_GLOBAL__N_123sort_postprocess_kernelIN3c104HalfEEEvPKT_PS5_PlPK15HIP_vector_typeIiLj2EEii
	.p2align	8
	.type	_ZN2at6native12_GLOBAL__N_123sort_postprocess_kernelIN3c104HalfEEEvPKT_PS5_PlPK15HIP_vector_typeIiLj2EEii,@function
_ZN2at6native12_GLOBAL__N_123sort_postprocess_kernelIN3c104HalfEEEvPKT_PS5_PlPK15HIP_vector_typeIiLj2EEii: ; @_ZN2at6native12_GLOBAL__N_123sort_postprocess_kernelIN3c104HalfEEEvPKT_PS5_PlPK15HIP_vector_typeIiLj2EEii
; %bb.0:
	s_clause 0x1
	s_load_b32 s6, s[0:1], 0x34
	s_load_b64 s[4:5], s[0:1], 0x20
	s_mov_b32 s3, 0
	s_mov_b32 s2, ttmp9
	s_mov_b32 s17, s3
	s_wait_kmcnt 0x0
	s_and_b32 s16, s6, 0xffff
	s_mul_i32 s14, s5, s4
	s_mul_u64 s[12:13], s[16:17], s[2:3]
	s_ashr_i32 s15, s14, 31
	v_add_co_u32 v1, s2, s12, v0
	s_delay_alu instid0(VALU_DEP_1) | instskip(NEXT) | instid1(VALU_DEP_1)
	v_add_co_ci_u32_e64 v2, null, s13, 0, s2
	v_cmp_gt_i64_e32 vcc_lo, s[14:15], v[1:2]
	v_mov_b32_e32 v1, 0
	s_and_saveexec_b32 s2, vcc_lo
	s_cbranch_execz .LBB1674_3
; %bb.1:
	s_abs_i32 s2, s5
	s_wait_alu 0xfffe
	s_cvt_f32_u32 s4, s2
	s_delay_alu instid0(SALU_CYCLE_3) | instskip(SKIP_4) | instid1(TRANS32_DEP_1)
	v_rcp_iflag_f32_e32 v2, s4
	s_add_nc_u64 s[4:5], s[0:1], 40
	s_load_b32 s17, s[4:5], 0x0
	s_load_b256 s[4:11], s[0:1], 0x0
	s_sub_co_i32 s1, 0, s2
	v_readfirstlane_b32 s0, v2
	s_mul_f32 s0, s0, 0x4f7ffffe
	s_delay_alu instid0(SALU_CYCLE_3) | instskip(NEXT) | instid1(SALU_CYCLE_3)
	s_cvt_u32_f32 s0, s0
	s_mul_i32 s1, s1, s0
	s_delay_alu instid0(SALU_CYCLE_1)
	s_mul_hi_u32 s18, s0, s1
	s_wait_kmcnt 0x0
	s_mul_i32 s1, s17, s16
	s_add_co_i32 s17, s0, s18
	s_mul_i32 s16, ttmp9, s16
.LBB1674_2:                             ; =>This Inner Loop Header: Depth=1
	s_delay_alu instid0(SALU_CYCLE_1) | instskip(NEXT) | instid1(VALU_DEP_1)
	v_add_nc_u32_e32 v2, s16, v0
	v_sub_nc_u32_e32 v3, 0, v2
	v_ashrrev_i32_e32 v5, 31, v2
	s_delay_alu instid0(VALU_DEP_2) | instskip(NEXT) | instid1(VALU_DEP_1)
	v_max_i32_e32 v3, v2, v3
	v_mul_hi_u32 v4, v3, s17
	s_delay_alu instid0(VALU_DEP_1) | instskip(NEXT) | instid1(VALU_DEP_1)
	v_mul_lo_u32 v4, v4, s2
	v_sub_nc_u32_e32 v3, v3, v4
	s_delay_alu instid0(VALU_DEP_1) | instskip(SKIP_2) | instid1(VALU_DEP_2)
	v_subrev_nc_u32_e32 v4, s2, v3
	v_cmp_le_u32_e32 vcc_lo, s2, v3
	s_wait_alu 0xfffd
	v_dual_cndmask_b32 v3, v3, v4 :: v_dual_add_nc_u32 v2, v2, v5
	s_delay_alu instid0(VALU_DEP_1) | instskip(SKIP_2) | instid1(VALU_DEP_2)
	v_subrev_nc_u32_e32 v4, s2, v3
	v_cmp_le_u32_e32 vcc_lo, s2, v3
	s_wait_alu 0xfffd
	v_cndmask_b32_e32 v3, v3, v4, vcc_lo
	s_delay_alu instid0(VALU_DEP_1) | instskip(NEXT) | instid1(VALU_DEP_1)
	v_xor_b32_e32 v3, v3, v5
	v_sub_nc_u32_e32 v2, v2, v3
	v_sub_nc_u32_e32 v4, v3, v5
	s_delay_alu instid0(VALU_DEP_2) | instskip(NEXT) | instid1(VALU_DEP_2)
	v_ashrrev_i32_e32 v3, 31, v2
	v_ashrrev_i32_e32 v5, 31, v4
	s_delay_alu instid0(VALU_DEP_2) | instskip(NEXT) | instid1(VALU_DEP_2)
	v_lshlrev_b64_e32 v[6:7], 3, v[2:3]
	v_lshlrev_b64_e32 v[8:9], 3, v[4:5]
	;; [unrolled: 1-line block ×4, first 2 shown]
	s_delay_alu instid0(VALU_DEP_4) | instskip(SKIP_3) | instid1(VALU_DEP_3)
	v_add_co_u32 v10, vcc_lo, s10, v6
	s_wait_alu 0xfffd
	v_add_co_ci_u32_e64 v11, null, s11, v7, vcc_lo
	v_add_co_u32 v6, s0, s8, v6
	v_add_co_u32 v10, vcc_lo, v10, v8
	s_wait_alu 0xfffd
	s_delay_alu instid0(VALU_DEP_3)
	v_add_co_ci_u32_e64 v11, null, v11, v9, vcc_lo
	v_add_co_u32 v14, vcc_lo, s4, v2
	s_wait_alu 0xfffd
	v_add_co_ci_u32_e64 v15, null, s5, v3, vcc_lo
	global_load_b32 v10, v[10:11], off offset:4
	s_wait_alu 0xf1ff
	v_add_co_ci_u32_e64 v7, null, s9, v7, s0
	s_wait_loadcnt 0x0
	v_ashrrev_i32_e32 v11, 31, v10
	s_delay_alu instid0(VALU_DEP_1) | instskip(NEXT) | instid1(VALU_DEP_1)
	v_lshlrev_b64_e32 v[12:13], 1, v[10:11]
	v_add_co_u32 v12, vcc_lo, v14, v12
	s_wait_alu 0xfffd
	s_delay_alu instid0(VALU_DEP_2)
	v_add_co_ci_u32_e64 v13, null, v15, v13, vcc_lo
	v_add_co_u32 v0, vcc_lo, v0, s1
	s_wait_alu 0xfffd
	v_add_co_ci_u32_e64 v1, null, 0, v1, vcc_lo
	global_load_u16 v14, v[12:13], off
	v_add_co_u32 v12, vcc_lo, s12, v0
	s_wait_alu 0xfffd
	v_add_co_ci_u32_e64 v13, null, s13, v1, vcc_lo
	s_delay_alu instid0(VALU_DEP_1)
	v_cmp_le_i64_e32 vcc_lo, s[14:15], v[12:13]
	v_add_co_u32 v12, s0, s6, v2
	s_wait_alu 0xf1ff
	v_add_co_ci_u32_e64 v13, null, s7, v3, s0
	v_add_co_u32 v2, s0, v6, v8
	s_wait_alu 0xf1ff
	v_add_co_ci_u32_e64 v3, null, v7, v9, s0
	;; [unrolled: 3-line block ×3, first 2 shown]
	s_or_b32 s3, vcc_lo, s3
	global_store_b64 v[2:3], v[10:11], off
	s_wait_loadcnt 0x0
	global_store_b16 v[4:5], v14, off
	s_wait_alu 0xfffe
	s_and_not1_b32 exec_lo, exec_lo, s3
	s_cbranch_execnz .LBB1674_2
.LBB1674_3:
	s_endpgm
	.section	.rodata,"a",@progbits
	.p2align	6, 0x0
	.amdhsa_kernel _ZN2at6native12_GLOBAL__N_123sort_postprocess_kernelIN3c104HalfEEEvPKT_PS5_PlPK15HIP_vector_typeIiLj2EEii
		.amdhsa_group_segment_fixed_size 0
		.amdhsa_private_segment_fixed_size 0
		.amdhsa_kernarg_size 296
		.amdhsa_user_sgpr_count 2
		.amdhsa_user_sgpr_dispatch_ptr 0
		.amdhsa_user_sgpr_queue_ptr 0
		.amdhsa_user_sgpr_kernarg_segment_ptr 1
		.amdhsa_user_sgpr_dispatch_id 0
		.amdhsa_user_sgpr_private_segment_size 0
		.amdhsa_wavefront_size32 1
		.amdhsa_uses_dynamic_stack 0
		.amdhsa_enable_private_segment 0
		.amdhsa_system_sgpr_workgroup_id_x 1
		.amdhsa_system_sgpr_workgroup_id_y 0
		.amdhsa_system_sgpr_workgroup_id_z 0
		.amdhsa_system_sgpr_workgroup_info 0
		.amdhsa_system_vgpr_workitem_id 0
		.amdhsa_next_free_vgpr 16
		.amdhsa_next_free_sgpr 19
		.amdhsa_reserve_vcc 1
		.amdhsa_float_round_mode_32 0
		.amdhsa_float_round_mode_16_64 0
		.amdhsa_float_denorm_mode_32 3
		.amdhsa_float_denorm_mode_16_64 3
		.amdhsa_fp16_overflow 0
		.amdhsa_workgroup_processor_mode 1
		.amdhsa_memory_ordered 1
		.amdhsa_forward_progress 1
		.amdhsa_inst_pref_size 5
		.amdhsa_round_robin_scheduling 0
		.amdhsa_exception_fp_ieee_invalid_op 0
		.amdhsa_exception_fp_denorm_src 0
		.amdhsa_exception_fp_ieee_div_zero 0
		.amdhsa_exception_fp_ieee_overflow 0
		.amdhsa_exception_fp_ieee_underflow 0
		.amdhsa_exception_fp_ieee_inexact 0
		.amdhsa_exception_int_div_zero 0
	.end_amdhsa_kernel
	.section	.text._ZN2at6native12_GLOBAL__N_123sort_postprocess_kernelIN3c104HalfEEEvPKT_PS5_PlPK15HIP_vector_typeIiLj2EEii,"axG",@progbits,_ZN2at6native12_GLOBAL__N_123sort_postprocess_kernelIN3c104HalfEEEvPKT_PS5_PlPK15HIP_vector_typeIiLj2EEii,comdat
.Lfunc_end1674:
	.size	_ZN2at6native12_GLOBAL__N_123sort_postprocess_kernelIN3c104HalfEEEvPKT_PS5_PlPK15HIP_vector_typeIiLj2EEii, .Lfunc_end1674-_ZN2at6native12_GLOBAL__N_123sort_postprocess_kernelIN3c104HalfEEEvPKT_PS5_PlPK15HIP_vector_typeIiLj2EEii
                                        ; -- End function
	.set _ZN2at6native12_GLOBAL__N_123sort_postprocess_kernelIN3c104HalfEEEvPKT_PS5_PlPK15HIP_vector_typeIiLj2EEii.num_vgpr, 16
	.set _ZN2at6native12_GLOBAL__N_123sort_postprocess_kernelIN3c104HalfEEEvPKT_PS5_PlPK15HIP_vector_typeIiLj2EEii.num_agpr, 0
	.set _ZN2at6native12_GLOBAL__N_123sort_postprocess_kernelIN3c104HalfEEEvPKT_PS5_PlPK15HIP_vector_typeIiLj2EEii.numbered_sgpr, 19
	.set _ZN2at6native12_GLOBAL__N_123sort_postprocess_kernelIN3c104HalfEEEvPKT_PS5_PlPK15HIP_vector_typeIiLj2EEii.num_named_barrier, 0
	.set _ZN2at6native12_GLOBAL__N_123sort_postprocess_kernelIN3c104HalfEEEvPKT_PS5_PlPK15HIP_vector_typeIiLj2EEii.private_seg_size, 0
	.set _ZN2at6native12_GLOBAL__N_123sort_postprocess_kernelIN3c104HalfEEEvPKT_PS5_PlPK15HIP_vector_typeIiLj2EEii.uses_vcc, 1
	.set _ZN2at6native12_GLOBAL__N_123sort_postprocess_kernelIN3c104HalfEEEvPKT_PS5_PlPK15HIP_vector_typeIiLj2EEii.uses_flat_scratch, 0
	.set _ZN2at6native12_GLOBAL__N_123sort_postprocess_kernelIN3c104HalfEEEvPKT_PS5_PlPK15HIP_vector_typeIiLj2EEii.has_dyn_sized_stack, 0
	.set _ZN2at6native12_GLOBAL__N_123sort_postprocess_kernelIN3c104HalfEEEvPKT_PS5_PlPK15HIP_vector_typeIiLj2EEii.has_recursion, 0
	.set _ZN2at6native12_GLOBAL__N_123sort_postprocess_kernelIN3c104HalfEEEvPKT_PS5_PlPK15HIP_vector_typeIiLj2EEii.has_indirect_call, 0
	.section	.AMDGPU.csdata,"",@progbits
; Kernel info:
; codeLenInByte = 632
; TotalNumSgprs: 21
; NumVgprs: 16
; ScratchSize: 0
; MemoryBound: 0
; FloatMode: 240
; IeeeMode: 1
; LDSByteSize: 0 bytes/workgroup (compile time only)
; SGPRBlocks: 0
; VGPRBlocks: 1
; NumSGPRsForWavesPerEU: 21
; NumVGPRsForWavesPerEU: 16
; Occupancy: 16
; WaveLimiterHint : 1
; COMPUTE_PGM_RSRC2:SCRATCH_EN: 0
; COMPUTE_PGM_RSRC2:USER_SGPR: 2
; COMPUTE_PGM_RSRC2:TRAP_HANDLER: 0
; COMPUTE_PGM_RSRC2:TGID_X_EN: 1
; COMPUTE_PGM_RSRC2:TGID_Y_EN: 0
; COMPUTE_PGM_RSRC2:TGID_Z_EN: 0
; COMPUTE_PGM_RSRC2:TIDIG_COMP_CNT: 0
	.section	.text._ZN7rocprim17ROCPRIM_400000_NS6detail17trampoline_kernelINS0_13select_configILj256ELj13ELNS0_17block_load_methodE3ELS4_3ELS4_3ELNS0_20block_scan_algorithmE0ELj4294967295EEENS1_25partition_config_selectorILNS1_17partition_subalgoE4EjNS0_10empty_typeEbEEZZNS1_14partition_implILS8_4ELb0ES6_15HIP_vector_typeIjLj2EENS0_17counting_iteratorIjlEEPS9_SG_NS0_5tupleIJPjSI_NS0_16reverse_iteratorISI_EEEEENSH_IJSG_SG_SG_EEES9_SI_JZNS1_25segmented_radix_sort_implINS0_14default_configELb1EPK6__halfPSP_PKlPlN2at6native12_GLOBAL__N_18offset_tEEE10hipError_tPvRmT1_PNSt15iterator_traitsIS13_E10value_typeET2_T3_PNS14_IS19_E10value_typeET4_jRbjT5_S1F_jjP12ihipStream_tbEUljE_ZNSN_ISO_Lb1ESR_SS_SU_SV_SZ_EES10_S11_S12_S13_S17_S18_S19_S1C_S1D_jS1E_jS1F_S1F_jjS1H_bEUljE0_EEES10_S11_S12_S19_S1D_S1F_T6_T7_T9_mT8_S1H_bDpT10_ENKUlT_T0_E_clISt17integral_constantIbLb0EES1V_EEDaS1Q_S1R_EUlS1Q_E_NS1_11comp_targetILNS1_3genE0ELNS1_11target_archE4294967295ELNS1_3gpuE0ELNS1_3repE0EEENS1_30default_config_static_selectorELNS0_4arch9wavefront6targetE0EEEvS13_,"axG",@progbits,_ZN7rocprim17ROCPRIM_400000_NS6detail17trampoline_kernelINS0_13select_configILj256ELj13ELNS0_17block_load_methodE3ELS4_3ELS4_3ELNS0_20block_scan_algorithmE0ELj4294967295EEENS1_25partition_config_selectorILNS1_17partition_subalgoE4EjNS0_10empty_typeEbEEZZNS1_14partition_implILS8_4ELb0ES6_15HIP_vector_typeIjLj2EENS0_17counting_iteratorIjlEEPS9_SG_NS0_5tupleIJPjSI_NS0_16reverse_iteratorISI_EEEEENSH_IJSG_SG_SG_EEES9_SI_JZNS1_25segmented_radix_sort_implINS0_14default_configELb1EPK6__halfPSP_PKlPlN2at6native12_GLOBAL__N_18offset_tEEE10hipError_tPvRmT1_PNSt15iterator_traitsIS13_E10value_typeET2_T3_PNS14_IS19_E10value_typeET4_jRbjT5_S1F_jjP12ihipStream_tbEUljE_ZNSN_ISO_Lb1ESR_SS_SU_SV_SZ_EES10_S11_S12_S13_S17_S18_S19_S1C_S1D_jS1E_jS1F_S1F_jjS1H_bEUljE0_EEES10_S11_S12_S19_S1D_S1F_T6_T7_T9_mT8_S1H_bDpT10_ENKUlT_T0_E_clISt17integral_constantIbLb0EES1V_EEDaS1Q_S1R_EUlS1Q_E_NS1_11comp_targetILNS1_3genE0ELNS1_11target_archE4294967295ELNS1_3gpuE0ELNS1_3repE0EEENS1_30default_config_static_selectorELNS0_4arch9wavefront6targetE0EEEvS13_,comdat
	.globl	_ZN7rocprim17ROCPRIM_400000_NS6detail17trampoline_kernelINS0_13select_configILj256ELj13ELNS0_17block_load_methodE3ELS4_3ELS4_3ELNS0_20block_scan_algorithmE0ELj4294967295EEENS1_25partition_config_selectorILNS1_17partition_subalgoE4EjNS0_10empty_typeEbEEZZNS1_14partition_implILS8_4ELb0ES6_15HIP_vector_typeIjLj2EENS0_17counting_iteratorIjlEEPS9_SG_NS0_5tupleIJPjSI_NS0_16reverse_iteratorISI_EEEEENSH_IJSG_SG_SG_EEES9_SI_JZNS1_25segmented_radix_sort_implINS0_14default_configELb1EPK6__halfPSP_PKlPlN2at6native12_GLOBAL__N_18offset_tEEE10hipError_tPvRmT1_PNSt15iterator_traitsIS13_E10value_typeET2_T3_PNS14_IS19_E10value_typeET4_jRbjT5_S1F_jjP12ihipStream_tbEUljE_ZNSN_ISO_Lb1ESR_SS_SU_SV_SZ_EES10_S11_S12_S13_S17_S18_S19_S1C_S1D_jS1E_jS1F_S1F_jjS1H_bEUljE0_EEES10_S11_S12_S19_S1D_S1F_T6_T7_T9_mT8_S1H_bDpT10_ENKUlT_T0_E_clISt17integral_constantIbLb0EES1V_EEDaS1Q_S1R_EUlS1Q_E_NS1_11comp_targetILNS1_3genE0ELNS1_11target_archE4294967295ELNS1_3gpuE0ELNS1_3repE0EEENS1_30default_config_static_selectorELNS0_4arch9wavefront6targetE0EEEvS13_ ; -- Begin function _ZN7rocprim17ROCPRIM_400000_NS6detail17trampoline_kernelINS0_13select_configILj256ELj13ELNS0_17block_load_methodE3ELS4_3ELS4_3ELNS0_20block_scan_algorithmE0ELj4294967295EEENS1_25partition_config_selectorILNS1_17partition_subalgoE4EjNS0_10empty_typeEbEEZZNS1_14partition_implILS8_4ELb0ES6_15HIP_vector_typeIjLj2EENS0_17counting_iteratorIjlEEPS9_SG_NS0_5tupleIJPjSI_NS0_16reverse_iteratorISI_EEEEENSH_IJSG_SG_SG_EEES9_SI_JZNS1_25segmented_radix_sort_implINS0_14default_configELb1EPK6__halfPSP_PKlPlN2at6native12_GLOBAL__N_18offset_tEEE10hipError_tPvRmT1_PNSt15iterator_traitsIS13_E10value_typeET2_T3_PNS14_IS19_E10value_typeET4_jRbjT5_S1F_jjP12ihipStream_tbEUljE_ZNSN_ISO_Lb1ESR_SS_SU_SV_SZ_EES10_S11_S12_S13_S17_S18_S19_S1C_S1D_jS1E_jS1F_S1F_jjS1H_bEUljE0_EEES10_S11_S12_S19_S1D_S1F_T6_T7_T9_mT8_S1H_bDpT10_ENKUlT_T0_E_clISt17integral_constantIbLb0EES1V_EEDaS1Q_S1R_EUlS1Q_E_NS1_11comp_targetILNS1_3genE0ELNS1_11target_archE4294967295ELNS1_3gpuE0ELNS1_3repE0EEENS1_30default_config_static_selectorELNS0_4arch9wavefront6targetE0EEEvS13_
	.p2align	8
	.type	_ZN7rocprim17ROCPRIM_400000_NS6detail17trampoline_kernelINS0_13select_configILj256ELj13ELNS0_17block_load_methodE3ELS4_3ELS4_3ELNS0_20block_scan_algorithmE0ELj4294967295EEENS1_25partition_config_selectorILNS1_17partition_subalgoE4EjNS0_10empty_typeEbEEZZNS1_14partition_implILS8_4ELb0ES6_15HIP_vector_typeIjLj2EENS0_17counting_iteratorIjlEEPS9_SG_NS0_5tupleIJPjSI_NS0_16reverse_iteratorISI_EEEEENSH_IJSG_SG_SG_EEES9_SI_JZNS1_25segmented_radix_sort_implINS0_14default_configELb1EPK6__halfPSP_PKlPlN2at6native12_GLOBAL__N_18offset_tEEE10hipError_tPvRmT1_PNSt15iterator_traitsIS13_E10value_typeET2_T3_PNS14_IS19_E10value_typeET4_jRbjT5_S1F_jjP12ihipStream_tbEUljE_ZNSN_ISO_Lb1ESR_SS_SU_SV_SZ_EES10_S11_S12_S13_S17_S18_S19_S1C_S1D_jS1E_jS1F_S1F_jjS1H_bEUljE0_EEES10_S11_S12_S19_S1D_S1F_T6_T7_T9_mT8_S1H_bDpT10_ENKUlT_T0_E_clISt17integral_constantIbLb0EES1V_EEDaS1Q_S1R_EUlS1Q_E_NS1_11comp_targetILNS1_3genE0ELNS1_11target_archE4294967295ELNS1_3gpuE0ELNS1_3repE0EEENS1_30default_config_static_selectorELNS0_4arch9wavefront6targetE0EEEvS13_,@function
_ZN7rocprim17ROCPRIM_400000_NS6detail17trampoline_kernelINS0_13select_configILj256ELj13ELNS0_17block_load_methodE3ELS4_3ELS4_3ELNS0_20block_scan_algorithmE0ELj4294967295EEENS1_25partition_config_selectorILNS1_17partition_subalgoE4EjNS0_10empty_typeEbEEZZNS1_14partition_implILS8_4ELb0ES6_15HIP_vector_typeIjLj2EENS0_17counting_iteratorIjlEEPS9_SG_NS0_5tupleIJPjSI_NS0_16reverse_iteratorISI_EEEEENSH_IJSG_SG_SG_EEES9_SI_JZNS1_25segmented_radix_sort_implINS0_14default_configELb1EPK6__halfPSP_PKlPlN2at6native12_GLOBAL__N_18offset_tEEE10hipError_tPvRmT1_PNSt15iterator_traitsIS13_E10value_typeET2_T3_PNS14_IS19_E10value_typeET4_jRbjT5_S1F_jjP12ihipStream_tbEUljE_ZNSN_ISO_Lb1ESR_SS_SU_SV_SZ_EES10_S11_S12_S13_S17_S18_S19_S1C_S1D_jS1E_jS1F_S1F_jjS1H_bEUljE0_EEES10_S11_S12_S19_S1D_S1F_T6_T7_T9_mT8_S1H_bDpT10_ENKUlT_T0_E_clISt17integral_constantIbLb0EES1V_EEDaS1Q_S1R_EUlS1Q_E_NS1_11comp_targetILNS1_3genE0ELNS1_11target_archE4294967295ELNS1_3gpuE0ELNS1_3repE0EEENS1_30default_config_static_selectorELNS0_4arch9wavefront6targetE0EEEvS13_: ; @_ZN7rocprim17ROCPRIM_400000_NS6detail17trampoline_kernelINS0_13select_configILj256ELj13ELNS0_17block_load_methodE3ELS4_3ELS4_3ELNS0_20block_scan_algorithmE0ELj4294967295EEENS1_25partition_config_selectorILNS1_17partition_subalgoE4EjNS0_10empty_typeEbEEZZNS1_14partition_implILS8_4ELb0ES6_15HIP_vector_typeIjLj2EENS0_17counting_iteratorIjlEEPS9_SG_NS0_5tupleIJPjSI_NS0_16reverse_iteratorISI_EEEEENSH_IJSG_SG_SG_EEES9_SI_JZNS1_25segmented_radix_sort_implINS0_14default_configELb1EPK6__halfPSP_PKlPlN2at6native12_GLOBAL__N_18offset_tEEE10hipError_tPvRmT1_PNSt15iterator_traitsIS13_E10value_typeET2_T3_PNS14_IS19_E10value_typeET4_jRbjT5_S1F_jjP12ihipStream_tbEUljE_ZNSN_ISO_Lb1ESR_SS_SU_SV_SZ_EES10_S11_S12_S13_S17_S18_S19_S1C_S1D_jS1E_jS1F_S1F_jjS1H_bEUljE0_EEES10_S11_S12_S19_S1D_S1F_T6_T7_T9_mT8_S1H_bDpT10_ENKUlT_T0_E_clISt17integral_constantIbLb0EES1V_EEDaS1Q_S1R_EUlS1Q_E_NS1_11comp_targetILNS1_3genE0ELNS1_11target_archE4294967295ELNS1_3gpuE0ELNS1_3repE0EEENS1_30default_config_static_selectorELNS0_4arch9wavefront6targetE0EEEvS13_
; %bb.0:
	.section	.rodata,"a",@progbits
	.p2align	6, 0x0
	.amdhsa_kernel _ZN7rocprim17ROCPRIM_400000_NS6detail17trampoline_kernelINS0_13select_configILj256ELj13ELNS0_17block_load_methodE3ELS4_3ELS4_3ELNS0_20block_scan_algorithmE0ELj4294967295EEENS1_25partition_config_selectorILNS1_17partition_subalgoE4EjNS0_10empty_typeEbEEZZNS1_14partition_implILS8_4ELb0ES6_15HIP_vector_typeIjLj2EENS0_17counting_iteratorIjlEEPS9_SG_NS0_5tupleIJPjSI_NS0_16reverse_iteratorISI_EEEEENSH_IJSG_SG_SG_EEES9_SI_JZNS1_25segmented_radix_sort_implINS0_14default_configELb1EPK6__halfPSP_PKlPlN2at6native12_GLOBAL__N_18offset_tEEE10hipError_tPvRmT1_PNSt15iterator_traitsIS13_E10value_typeET2_T3_PNS14_IS19_E10value_typeET4_jRbjT5_S1F_jjP12ihipStream_tbEUljE_ZNSN_ISO_Lb1ESR_SS_SU_SV_SZ_EES10_S11_S12_S13_S17_S18_S19_S1C_S1D_jS1E_jS1F_S1F_jjS1H_bEUljE0_EEES10_S11_S12_S19_S1D_S1F_T6_T7_T9_mT8_S1H_bDpT10_ENKUlT_T0_E_clISt17integral_constantIbLb0EES1V_EEDaS1Q_S1R_EUlS1Q_E_NS1_11comp_targetILNS1_3genE0ELNS1_11target_archE4294967295ELNS1_3gpuE0ELNS1_3repE0EEENS1_30default_config_static_selectorELNS0_4arch9wavefront6targetE0EEEvS13_
		.amdhsa_group_segment_fixed_size 0
		.amdhsa_private_segment_fixed_size 0
		.amdhsa_kernarg_size 176
		.amdhsa_user_sgpr_count 2
		.amdhsa_user_sgpr_dispatch_ptr 0
		.amdhsa_user_sgpr_queue_ptr 0
		.amdhsa_user_sgpr_kernarg_segment_ptr 1
		.amdhsa_user_sgpr_dispatch_id 0
		.amdhsa_user_sgpr_private_segment_size 0
		.amdhsa_wavefront_size32 1
		.amdhsa_uses_dynamic_stack 0
		.amdhsa_enable_private_segment 0
		.amdhsa_system_sgpr_workgroup_id_x 1
		.amdhsa_system_sgpr_workgroup_id_y 0
		.amdhsa_system_sgpr_workgroup_id_z 0
		.amdhsa_system_sgpr_workgroup_info 0
		.amdhsa_system_vgpr_workitem_id 0
		.amdhsa_next_free_vgpr 1
		.amdhsa_next_free_sgpr 1
		.amdhsa_reserve_vcc 0
		.amdhsa_float_round_mode_32 0
		.amdhsa_float_round_mode_16_64 0
		.amdhsa_float_denorm_mode_32 3
		.amdhsa_float_denorm_mode_16_64 3
		.amdhsa_fp16_overflow 0
		.amdhsa_workgroup_processor_mode 1
		.amdhsa_memory_ordered 1
		.amdhsa_forward_progress 1
		.amdhsa_inst_pref_size 0
		.amdhsa_round_robin_scheduling 0
		.amdhsa_exception_fp_ieee_invalid_op 0
		.amdhsa_exception_fp_denorm_src 0
		.amdhsa_exception_fp_ieee_div_zero 0
		.amdhsa_exception_fp_ieee_overflow 0
		.amdhsa_exception_fp_ieee_underflow 0
		.amdhsa_exception_fp_ieee_inexact 0
		.amdhsa_exception_int_div_zero 0
	.end_amdhsa_kernel
	.section	.text._ZN7rocprim17ROCPRIM_400000_NS6detail17trampoline_kernelINS0_13select_configILj256ELj13ELNS0_17block_load_methodE3ELS4_3ELS4_3ELNS0_20block_scan_algorithmE0ELj4294967295EEENS1_25partition_config_selectorILNS1_17partition_subalgoE4EjNS0_10empty_typeEbEEZZNS1_14partition_implILS8_4ELb0ES6_15HIP_vector_typeIjLj2EENS0_17counting_iteratorIjlEEPS9_SG_NS0_5tupleIJPjSI_NS0_16reverse_iteratorISI_EEEEENSH_IJSG_SG_SG_EEES9_SI_JZNS1_25segmented_radix_sort_implINS0_14default_configELb1EPK6__halfPSP_PKlPlN2at6native12_GLOBAL__N_18offset_tEEE10hipError_tPvRmT1_PNSt15iterator_traitsIS13_E10value_typeET2_T3_PNS14_IS19_E10value_typeET4_jRbjT5_S1F_jjP12ihipStream_tbEUljE_ZNSN_ISO_Lb1ESR_SS_SU_SV_SZ_EES10_S11_S12_S13_S17_S18_S19_S1C_S1D_jS1E_jS1F_S1F_jjS1H_bEUljE0_EEES10_S11_S12_S19_S1D_S1F_T6_T7_T9_mT8_S1H_bDpT10_ENKUlT_T0_E_clISt17integral_constantIbLb0EES1V_EEDaS1Q_S1R_EUlS1Q_E_NS1_11comp_targetILNS1_3genE0ELNS1_11target_archE4294967295ELNS1_3gpuE0ELNS1_3repE0EEENS1_30default_config_static_selectorELNS0_4arch9wavefront6targetE0EEEvS13_,"axG",@progbits,_ZN7rocprim17ROCPRIM_400000_NS6detail17trampoline_kernelINS0_13select_configILj256ELj13ELNS0_17block_load_methodE3ELS4_3ELS4_3ELNS0_20block_scan_algorithmE0ELj4294967295EEENS1_25partition_config_selectorILNS1_17partition_subalgoE4EjNS0_10empty_typeEbEEZZNS1_14partition_implILS8_4ELb0ES6_15HIP_vector_typeIjLj2EENS0_17counting_iteratorIjlEEPS9_SG_NS0_5tupleIJPjSI_NS0_16reverse_iteratorISI_EEEEENSH_IJSG_SG_SG_EEES9_SI_JZNS1_25segmented_radix_sort_implINS0_14default_configELb1EPK6__halfPSP_PKlPlN2at6native12_GLOBAL__N_18offset_tEEE10hipError_tPvRmT1_PNSt15iterator_traitsIS13_E10value_typeET2_T3_PNS14_IS19_E10value_typeET4_jRbjT5_S1F_jjP12ihipStream_tbEUljE_ZNSN_ISO_Lb1ESR_SS_SU_SV_SZ_EES10_S11_S12_S13_S17_S18_S19_S1C_S1D_jS1E_jS1F_S1F_jjS1H_bEUljE0_EEES10_S11_S12_S19_S1D_S1F_T6_T7_T9_mT8_S1H_bDpT10_ENKUlT_T0_E_clISt17integral_constantIbLb0EES1V_EEDaS1Q_S1R_EUlS1Q_E_NS1_11comp_targetILNS1_3genE0ELNS1_11target_archE4294967295ELNS1_3gpuE0ELNS1_3repE0EEENS1_30default_config_static_selectorELNS0_4arch9wavefront6targetE0EEEvS13_,comdat
.Lfunc_end1675:
	.size	_ZN7rocprim17ROCPRIM_400000_NS6detail17trampoline_kernelINS0_13select_configILj256ELj13ELNS0_17block_load_methodE3ELS4_3ELS4_3ELNS0_20block_scan_algorithmE0ELj4294967295EEENS1_25partition_config_selectorILNS1_17partition_subalgoE4EjNS0_10empty_typeEbEEZZNS1_14partition_implILS8_4ELb0ES6_15HIP_vector_typeIjLj2EENS0_17counting_iteratorIjlEEPS9_SG_NS0_5tupleIJPjSI_NS0_16reverse_iteratorISI_EEEEENSH_IJSG_SG_SG_EEES9_SI_JZNS1_25segmented_radix_sort_implINS0_14default_configELb1EPK6__halfPSP_PKlPlN2at6native12_GLOBAL__N_18offset_tEEE10hipError_tPvRmT1_PNSt15iterator_traitsIS13_E10value_typeET2_T3_PNS14_IS19_E10value_typeET4_jRbjT5_S1F_jjP12ihipStream_tbEUljE_ZNSN_ISO_Lb1ESR_SS_SU_SV_SZ_EES10_S11_S12_S13_S17_S18_S19_S1C_S1D_jS1E_jS1F_S1F_jjS1H_bEUljE0_EEES10_S11_S12_S19_S1D_S1F_T6_T7_T9_mT8_S1H_bDpT10_ENKUlT_T0_E_clISt17integral_constantIbLb0EES1V_EEDaS1Q_S1R_EUlS1Q_E_NS1_11comp_targetILNS1_3genE0ELNS1_11target_archE4294967295ELNS1_3gpuE0ELNS1_3repE0EEENS1_30default_config_static_selectorELNS0_4arch9wavefront6targetE0EEEvS13_, .Lfunc_end1675-_ZN7rocprim17ROCPRIM_400000_NS6detail17trampoline_kernelINS0_13select_configILj256ELj13ELNS0_17block_load_methodE3ELS4_3ELS4_3ELNS0_20block_scan_algorithmE0ELj4294967295EEENS1_25partition_config_selectorILNS1_17partition_subalgoE4EjNS0_10empty_typeEbEEZZNS1_14partition_implILS8_4ELb0ES6_15HIP_vector_typeIjLj2EENS0_17counting_iteratorIjlEEPS9_SG_NS0_5tupleIJPjSI_NS0_16reverse_iteratorISI_EEEEENSH_IJSG_SG_SG_EEES9_SI_JZNS1_25segmented_radix_sort_implINS0_14default_configELb1EPK6__halfPSP_PKlPlN2at6native12_GLOBAL__N_18offset_tEEE10hipError_tPvRmT1_PNSt15iterator_traitsIS13_E10value_typeET2_T3_PNS14_IS19_E10value_typeET4_jRbjT5_S1F_jjP12ihipStream_tbEUljE_ZNSN_ISO_Lb1ESR_SS_SU_SV_SZ_EES10_S11_S12_S13_S17_S18_S19_S1C_S1D_jS1E_jS1F_S1F_jjS1H_bEUljE0_EEES10_S11_S12_S19_S1D_S1F_T6_T7_T9_mT8_S1H_bDpT10_ENKUlT_T0_E_clISt17integral_constantIbLb0EES1V_EEDaS1Q_S1R_EUlS1Q_E_NS1_11comp_targetILNS1_3genE0ELNS1_11target_archE4294967295ELNS1_3gpuE0ELNS1_3repE0EEENS1_30default_config_static_selectorELNS0_4arch9wavefront6targetE0EEEvS13_
                                        ; -- End function
	.set _ZN7rocprim17ROCPRIM_400000_NS6detail17trampoline_kernelINS0_13select_configILj256ELj13ELNS0_17block_load_methodE3ELS4_3ELS4_3ELNS0_20block_scan_algorithmE0ELj4294967295EEENS1_25partition_config_selectorILNS1_17partition_subalgoE4EjNS0_10empty_typeEbEEZZNS1_14partition_implILS8_4ELb0ES6_15HIP_vector_typeIjLj2EENS0_17counting_iteratorIjlEEPS9_SG_NS0_5tupleIJPjSI_NS0_16reverse_iteratorISI_EEEEENSH_IJSG_SG_SG_EEES9_SI_JZNS1_25segmented_radix_sort_implINS0_14default_configELb1EPK6__halfPSP_PKlPlN2at6native12_GLOBAL__N_18offset_tEEE10hipError_tPvRmT1_PNSt15iterator_traitsIS13_E10value_typeET2_T3_PNS14_IS19_E10value_typeET4_jRbjT5_S1F_jjP12ihipStream_tbEUljE_ZNSN_ISO_Lb1ESR_SS_SU_SV_SZ_EES10_S11_S12_S13_S17_S18_S19_S1C_S1D_jS1E_jS1F_S1F_jjS1H_bEUljE0_EEES10_S11_S12_S19_S1D_S1F_T6_T7_T9_mT8_S1H_bDpT10_ENKUlT_T0_E_clISt17integral_constantIbLb0EES1V_EEDaS1Q_S1R_EUlS1Q_E_NS1_11comp_targetILNS1_3genE0ELNS1_11target_archE4294967295ELNS1_3gpuE0ELNS1_3repE0EEENS1_30default_config_static_selectorELNS0_4arch9wavefront6targetE0EEEvS13_.num_vgpr, 0
	.set _ZN7rocprim17ROCPRIM_400000_NS6detail17trampoline_kernelINS0_13select_configILj256ELj13ELNS0_17block_load_methodE3ELS4_3ELS4_3ELNS0_20block_scan_algorithmE0ELj4294967295EEENS1_25partition_config_selectorILNS1_17partition_subalgoE4EjNS0_10empty_typeEbEEZZNS1_14partition_implILS8_4ELb0ES6_15HIP_vector_typeIjLj2EENS0_17counting_iteratorIjlEEPS9_SG_NS0_5tupleIJPjSI_NS0_16reverse_iteratorISI_EEEEENSH_IJSG_SG_SG_EEES9_SI_JZNS1_25segmented_radix_sort_implINS0_14default_configELb1EPK6__halfPSP_PKlPlN2at6native12_GLOBAL__N_18offset_tEEE10hipError_tPvRmT1_PNSt15iterator_traitsIS13_E10value_typeET2_T3_PNS14_IS19_E10value_typeET4_jRbjT5_S1F_jjP12ihipStream_tbEUljE_ZNSN_ISO_Lb1ESR_SS_SU_SV_SZ_EES10_S11_S12_S13_S17_S18_S19_S1C_S1D_jS1E_jS1F_S1F_jjS1H_bEUljE0_EEES10_S11_S12_S19_S1D_S1F_T6_T7_T9_mT8_S1H_bDpT10_ENKUlT_T0_E_clISt17integral_constantIbLb0EES1V_EEDaS1Q_S1R_EUlS1Q_E_NS1_11comp_targetILNS1_3genE0ELNS1_11target_archE4294967295ELNS1_3gpuE0ELNS1_3repE0EEENS1_30default_config_static_selectorELNS0_4arch9wavefront6targetE0EEEvS13_.num_agpr, 0
	.set _ZN7rocprim17ROCPRIM_400000_NS6detail17trampoline_kernelINS0_13select_configILj256ELj13ELNS0_17block_load_methodE3ELS4_3ELS4_3ELNS0_20block_scan_algorithmE0ELj4294967295EEENS1_25partition_config_selectorILNS1_17partition_subalgoE4EjNS0_10empty_typeEbEEZZNS1_14partition_implILS8_4ELb0ES6_15HIP_vector_typeIjLj2EENS0_17counting_iteratorIjlEEPS9_SG_NS0_5tupleIJPjSI_NS0_16reverse_iteratorISI_EEEEENSH_IJSG_SG_SG_EEES9_SI_JZNS1_25segmented_radix_sort_implINS0_14default_configELb1EPK6__halfPSP_PKlPlN2at6native12_GLOBAL__N_18offset_tEEE10hipError_tPvRmT1_PNSt15iterator_traitsIS13_E10value_typeET2_T3_PNS14_IS19_E10value_typeET4_jRbjT5_S1F_jjP12ihipStream_tbEUljE_ZNSN_ISO_Lb1ESR_SS_SU_SV_SZ_EES10_S11_S12_S13_S17_S18_S19_S1C_S1D_jS1E_jS1F_S1F_jjS1H_bEUljE0_EEES10_S11_S12_S19_S1D_S1F_T6_T7_T9_mT8_S1H_bDpT10_ENKUlT_T0_E_clISt17integral_constantIbLb0EES1V_EEDaS1Q_S1R_EUlS1Q_E_NS1_11comp_targetILNS1_3genE0ELNS1_11target_archE4294967295ELNS1_3gpuE0ELNS1_3repE0EEENS1_30default_config_static_selectorELNS0_4arch9wavefront6targetE0EEEvS13_.numbered_sgpr, 0
	.set _ZN7rocprim17ROCPRIM_400000_NS6detail17trampoline_kernelINS0_13select_configILj256ELj13ELNS0_17block_load_methodE3ELS4_3ELS4_3ELNS0_20block_scan_algorithmE0ELj4294967295EEENS1_25partition_config_selectorILNS1_17partition_subalgoE4EjNS0_10empty_typeEbEEZZNS1_14partition_implILS8_4ELb0ES6_15HIP_vector_typeIjLj2EENS0_17counting_iteratorIjlEEPS9_SG_NS0_5tupleIJPjSI_NS0_16reverse_iteratorISI_EEEEENSH_IJSG_SG_SG_EEES9_SI_JZNS1_25segmented_radix_sort_implINS0_14default_configELb1EPK6__halfPSP_PKlPlN2at6native12_GLOBAL__N_18offset_tEEE10hipError_tPvRmT1_PNSt15iterator_traitsIS13_E10value_typeET2_T3_PNS14_IS19_E10value_typeET4_jRbjT5_S1F_jjP12ihipStream_tbEUljE_ZNSN_ISO_Lb1ESR_SS_SU_SV_SZ_EES10_S11_S12_S13_S17_S18_S19_S1C_S1D_jS1E_jS1F_S1F_jjS1H_bEUljE0_EEES10_S11_S12_S19_S1D_S1F_T6_T7_T9_mT8_S1H_bDpT10_ENKUlT_T0_E_clISt17integral_constantIbLb0EES1V_EEDaS1Q_S1R_EUlS1Q_E_NS1_11comp_targetILNS1_3genE0ELNS1_11target_archE4294967295ELNS1_3gpuE0ELNS1_3repE0EEENS1_30default_config_static_selectorELNS0_4arch9wavefront6targetE0EEEvS13_.num_named_barrier, 0
	.set _ZN7rocprim17ROCPRIM_400000_NS6detail17trampoline_kernelINS0_13select_configILj256ELj13ELNS0_17block_load_methodE3ELS4_3ELS4_3ELNS0_20block_scan_algorithmE0ELj4294967295EEENS1_25partition_config_selectorILNS1_17partition_subalgoE4EjNS0_10empty_typeEbEEZZNS1_14partition_implILS8_4ELb0ES6_15HIP_vector_typeIjLj2EENS0_17counting_iteratorIjlEEPS9_SG_NS0_5tupleIJPjSI_NS0_16reverse_iteratorISI_EEEEENSH_IJSG_SG_SG_EEES9_SI_JZNS1_25segmented_radix_sort_implINS0_14default_configELb1EPK6__halfPSP_PKlPlN2at6native12_GLOBAL__N_18offset_tEEE10hipError_tPvRmT1_PNSt15iterator_traitsIS13_E10value_typeET2_T3_PNS14_IS19_E10value_typeET4_jRbjT5_S1F_jjP12ihipStream_tbEUljE_ZNSN_ISO_Lb1ESR_SS_SU_SV_SZ_EES10_S11_S12_S13_S17_S18_S19_S1C_S1D_jS1E_jS1F_S1F_jjS1H_bEUljE0_EEES10_S11_S12_S19_S1D_S1F_T6_T7_T9_mT8_S1H_bDpT10_ENKUlT_T0_E_clISt17integral_constantIbLb0EES1V_EEDaS1Q_S1R_EUlS1Q_E_NS1_11comp_targetILNS1_3genE0ELNS1_11target_archE4294967295ELNS1_3gpuE0ELNS1_3repE0EEENS1_30default_config_static_selectorELNS0_4arch9wavefront6targetE0EEEvS13_.private_seg_size, 0
	.set _ZN7rocprim17ROCPRIM_400000_NS6detail17trampoline_kernelINS0_13select_configILj256ELj13ELNS0_17block_load_methodE3ELS4_3ELS4_3ELNS0_20block_scan_algorithmE0ELj4294967295EEENS1_25partition_config_selectorILNS1_17partition_subalgoE4EjNS0_10empty_typeEbEEZZNS1_14partition_implILS8_4ELb0ES6_15HIP_vector_typeIjLj2EENS0_17counting_iteratorIjlEEPS9_SG_NS0_5tupleIJPjSI_NS0_16reverse_iteratorISI_EEEEENSH_IJSG_SG_SG_EEES9_SI_JZNS1_25segmented_radix_sort_implINS0_14default_configELb1EPK6__halfPSP_PKlPlN2at6native12_GLOBAL__N_18offset_tEEE10hipError_tPvRmT1_PNSt15iterator_traitsIS13_E10value_typeET2_T3_PNS14_IS19_E10value_typeET4_jRbjT5_S1F_jjP12ihipStream_tbEUljE_ZNSN_ISO_Lb1ESR_SS_SU_SV_SZ_EES10_S11_S12_S13_S17_S18_S19_S1C_S1D_jS1E_jS1F_S1F_jjS1H_bEUljE0_EEES10_S11_S12_S19_S1D_S1F_T6_T7_T9_mT8_S1H_bDpT10_ENKUlT_T0_E_clISt17integral_constantIbLb0EES1V_EEDaS1Q_S1R_EUlS1Q_E_NS1_11comp_targetILNS1_3genE0ELNS1_11target_archE4294967295ELNS1_3gpuE0ELNS1_3repE0EEENS1_30default_config_static_selectorELNS0_4arch9wavefront6targetE0EEEvS13_.uses_vcc, 0
	.set _ZN7rocprim17ROCPRIM_400000_NS6detail17trampoline_kernelINS0_13select_configILj256ELj13ELNS0_17block_load_methodE3ELS4_3ELS4_3ELNS0_20block_scan_algorithmE0ELj4294967295EEENS1_25partition_config_selectorILNS1_17partition_subalgoE4EjNS0_10empty_typeEbEEZZNS1_14partition_implILS8_4ELb0ES6_15HIP_vector_typeIjLj2EENS0_17counting_iteratorIjlEEPS9_SG_NS0_5tupleIJPjSI_NS0_16reverse_iteratorISI_EEEEENSH_IJSG_SG_SG_EEES9_SI_JZNS1_25segmented_radix_sort_implINS0_14default_configELb1EPK6__halfPSP_PKlPlN2at6native12_GLOBAL__N_18offset_tEEE10hipError_tPvRmT1_PNSt15iterator_traitsIS13_E10value_typeET2_T3_PNS14_IS19_E10value_typeET4_jRbjT5_S1F_jjP12ihipStream_tbEUljE_ZNSN_ISO_Lb1ESR_SS_SU_SV_SZ_EES10_S11_S12_S13_S17_S18_S19_S1C_S1D_jS1E_jS1F_S1F_jjS1H_bEUljE0_EEES10_S11_S12_S19_S1D_S1F_T6_T7_T9_mT8_S1H_bDpT10_ENKUlT_T0_E_clISt17integral_constantIbLb0EES1V_EEDaS1Q_S1R_EUlS1Q_E_NS1_11comp_targetILNS1_3genE0ELNS1_11target_archE4294967295ELNS1_3gpuE0ELNS1_3repE0EEENS1_30default_config_static_selectorELNS0_4arch9wavefront6targetE0EEEvS13_.uses_flat_scratch, 0
	.set _ZN7rocprim17ROCPRIM_400000_NS6detail17trampoline_kernelINS0_13select_configILj256ELj13ELNS0_17block_load_methodE3ELS4_3ELS4_3ELNS0_20block_scan_algorithmE0ELj4294967295EEENS1_25partition_config_selectorILNS1_17partition_subalgoE4EjNS0_10empty_typeEbEEZZNS1_14partition_implILS8_4ELb0ES6_15HIP_vector_typeIjLj2EENS0_17counting_iteratorIjlEEPS9_SG_NS0_5tupleIJPjSI_NS0_16reverse_iteratorISI_EEEEENSH_IJSG_SG_SG_EEES9_SI_JZNS1_25segmented_radix_sort_implINS0_14default_configELb1EPK6__halfPSP_PKlPlN2at6native12_GLOBAL__N_18offset_tEEE10hipError_tPvRmT1_PNSt15iterator_traitsIS13_E10value_typeET2_T3_PNS14_IS19_E10value_typeET4_jRbjT5_S1F_jjP12ihipStream_tbEUljE_ZNSN_ISO_Lb1ESR_SS_SU_SV_SZ_EES10_S11_S12_S13_S17_S18_S19_S1C_S1D_jS1E_jS1F_S1F_jjS1H_bEUljE0_EEES10_S11_S12_S19_S1D_S1F_T6_T7_T9_mT8_S1H_bDpT10_ENKUlT_T0_E_clISt17integral_constantIbLb0EES1V_EEDaS1Q_S1R_EUlS1Q_E_NS1_11comp_targetILNS1_3genE0ELNS1_11target_archE4294967295ELNS1_3gpuE0ELNS1_3repE0EEENS1_30default_config_static_selectorELNS0_4arch9wavefront6targetE0EEEvS13_.has_dyn_sized_stack, 0
	.set _ZN7rocprim17ROCPRIM_400000_NS6detail17trampoline_kernelINS0_13select_configILj256ELj13ELNS0_17block_load_methodE3ELS4_3ELS4_3ELNS0_20block_scan_algorithmE0ELj4294967295EEENS1_25partition_config_selectorILNS1_17partition_subalgoE4EjNS0_10empty_typeEbEEZZNS1_14partition_implILS8_4ELb0ES6_15HIP_vector_typeIjLj2EENS0_17counting_iteratorIjlEEPS9_SG_NS0_5tupleIJPjSI_NS0_16reverse_iteratorISI_EEEEENSH_IJSG_SG_SG_EEES9_SI_JZNS1_25segmented_radix_sort_implINS0_14default_configELb1EPK6__halfPSP_PKlPlN2at6native12_GLOBAL__N_18offset_tEEE10hipError_tPvRmT1_PNSt15iterator_traitsIS13_E10value_typeET2_T3_PNS14_IS19_E10value_typeET4_jRbjT5_S1F_jjP12ihipStream_tbEUljE_ZNSN_ISO_Lb1ESR_SS_SU_SV_SZ_EES10_S11_S12_S13_S17_S18_S19_S1C_S1D_jS1E_jS1F_S1F_jjS1H_bEUljE0_EEES10_S11_S12_S19_S1D_S1F_T6_T7_T9_mT8_S1H_bDpT10_ENKUlT_T0_E_clISt17integral_constantIbLb0EES1V_EEDaS1Q_S1R_EUlS1Q_E_NS1_11comp_targetILNS1_3genE0ELNS1_11target_archE4294967295ELNS1_3gpuE0ELNS1_3repE0EEENS1_30default_config_static_selectorELNS0_4arch9wavefront6targetE0EEEvS13_.has_recursion, 0
	.set _ZN7rocprim17ROCPRIM_400000_NS6detail17trampoline_kernelINS0_13select_configILj256ELj13ELNS0_17block_load_methodE3ELS4_3ELS4_3ELNS0_20block_scan_algorithmE0ELj4294967295EEENS1_25partition_config_selectorILNS1_17partition_subalgoE4EjNS0_10empty_typeEbEEZZNS1_14partition_implILS8_4ELb0ES6_15HIP_vector_typeIjLj2EENS0_17counting_iteratorIjlEEPS9_SG_NS0_5tupleIJPjSI_NS0_16reverse_iteratorISI_EEEEENSH_IJSG_SG_SG_EEES9_SI_JZNS1_25segmented_radix_sort_implINS0_14default_configELb1EPK6__halfPSP_PKlPlN2at6native12_GLOBAL__N_18offset_tEEE10hipError_tPvRmT1_PNSt15iterator_traitsIS13_E10value_typeET2_T3_PNS14_IS19_E10value_typeET4_jRbjT5_S1F_jjP12ihipStream_tbEUljE_ZNSN_ISO_Lb1ESR_SS_SU_SV_SZ_EES10_S11_S12_S13_S17_S18_S19_S1C_S1D_jS1E_jS1F_S1F_jjS1H_bEUljE0_EEES10_S11_S12_S19_S1D_S1F_T6_T7_T9_mT8_S1H_bDpT10_ENKUlT_T0_E_clISt17integral_constantIbLb0EES1V_EEDaS1Q_S1R_EUlS1Q_E_NS1_11comp_targetILNS1_3genE0ELNS1_11target_archE4294967295ELNS1_3gpuE0ELNS1_3repE0EEENS1_30default_config_static_selectorELNS0_4arch9wavefront6targetE0EEEvS13_.has_indirect_call, 0
	.section	.AMDGPU.csdata,"",@progbits
; Kernel info:
; codeLenInByte = 0
; TotalNumSgprs: 0
; NumVgprs: 0
; ScratchSize: 0
; MemoryBound: 0
; FloatMode: 240
; IeeeMode: 1
; LDSByteSize: 0 bytes/workgroup (compile time only)
; SGPRBlocks: 0
; VGPRBlocks: 0
; NumSGPRsForWavesPerEU: 1
; NumVGPRsForWavesPerEU: 1
; Occupancy: 16
; WaveLimiterHint : 0
; COMPUTE_PGM_RSRC2:SCRATCH_EN: 0
; COMPUTE_PGM_RSRC2:USER_SGPR: 2
; COMPUTE_PGM_RSRC2:TRAP_HANDLER: 0
; COMPUTE_PGM_RSRC2:TGID_X_EN: 1
; COMPUTE_PGM_RSRC2:TGID_Y_EN: 0
; COMPUTE_PGM_RSRC2:TGID_Z_EN: 0
; COMPUTE_PGM_RSRC2:TIDIG_COMP_CNT: 0
	.section	.text._ZN7rocprim17ROCPRIM_400000_NS6detail17trampoline_kernelINS0_13select_configILj256ELj13ELNS0_17block_load_methodE3ELS4_3ELS4_3ELNS0_20block_scan_algorithmE0ELj4294967295EEENS1_25partition_config_selectorILNS1_17partition_subalgoE4EjNS0_10empty_typeEbEEZZNS1_14partition_implILS8_4ELb0ES6_15HIP_vector_typeIjLj2EENS0_17counting_iteratorIjlEEPS9_SG_NS0_5tupleIJPjSI_NS0_16reverse_iteratorISI_EEEEENSH_IJSG_SG_SG_EEES9_SI_JZNS1_25segmented_radix_sort_implINS0_14default_configELb1EPK6__halfPSP_PKlPlN2at6native12_GLOBAL__N_18offset_tEEE10hipError_tPvRmT1_PNSt15iterator_traitsIS13_E10value_typeET2_T3_PNS14_IS19_E10value_typeET4_jRbjT5_S1F_jjP12ihipStream_tbEUljE_ZNSN_ISO_Lb1ESR_SS_SU_SV_SZ_EES10_S11_S12_S13_S17_S18_S19_S1C_S1D_jS1E_jS1F_S1F_jjS1H_bEUljE0_EEES10_S11_S12_S19_S1D_S1F_T6_T7_T9_mT8_S1H_bDpT10_ENKUlT_T0_E_clISt17integral_constantIbLb0EES1V_EEDaS1Q_S1R_EUlS1Q_E_NS1_11comp_targetILNS1_3genE5ELNS1_11target_archE942ELNS1_3gpuE9ELNS1_3repE0EEENS1_30default_config_static_selectorELNS0_4arch9wavefront6targetE0EEEvS13_,"axG",@progbits,_ZN7rocprim17ROCPRIM_400000_NS6detail17trampoline_kernelINS0_13select_configILj256ELj13ELNS0_17block_load_methodE3ELS4_3ELS4_3ELNS0_20block_scan_algorithmE0ELj4294967295EEENS1_25partition_config_selectorILNS1_17partition_subalgoE4EjNS0_10empty_typeEbEEZZNS1_14partition_implILS8_4ELb0ES6_15HIP_vector_typeIjLj2EENS0_17counting_iteratorIjlEEPS9_SG_NS0_5tupleIJPjSI_NS0_16reverse_iteratorISI_EEEEENSH_IJSG_SG_SG_EEES9_SI_JZNS1_25segmented_radix_sort_implINS0_14default_configELb1EPK6__halfPSP_PKlPlN2at6native12_GLOBAL__N_18offset_tEEE10hipError_tPvRmT1_PNSt15iterator_traitsIS13_E10value_typeET2_T3_PNS14_IS19_E10value_typeET4_jRbjT5_S1F_jjP12ihipStream_tbEUljE_ZNSN_ISO_Lb1ESR_SS_SU_SV_SZ_EES10_S11_S12_S13_S17_S18_S19_S1C_S1D_jS1E_jS1F_S1F_jjS1H_bEUljE0_EEES10_S11_S12_S19_S1D_S1F_T6_T7_T9_mT8_S1H_bDpT10_ENKUlT_T0_E_clISt17integral_constantIbLb0EES1V_EEDaS1Q_S1R_EUlS1Q_E_NS1_11comp_targetILNS1_3genE5ELNS1_11target_archE942ELNS1_3gpuE9ELNS1_3repE0EEENS1_30default_config_static_selectorELNS0_4arch9wavefront6targetE0EEEvS13_,comdat
	.globl	_ZN7rocprim17ROCPRIM_400000_NS6detail17trampoline_kernelINS0_13select_configILj256ELj13ELNS0_17block_load_methodE3ELS4_3ELS4_3ELNS0_20block_scan_algorithmE0ELj4294967295EEENS1_25partition_config_selectorILNS1_17partition_subalgoE4EjNS0_10empty_typeEbEEZZNS1_14partition_implILS8_4ELb0ES6_15HIP_vector_typeIjLj2EENS0_17counting_iteratorIjlEEPS9_SG_NS0_5tupleIJPjSI_NS0_16reverse_iteratorISI_EEEEENSH_IJSG_SG_SG_EEES9_SI_JZNS1_25segmented_radix_sort_implINS0_14default_configELb1EPK6__halfPSP_PKlPlN2at6native12_GLOBAL__N_18offset_tEEE10hipError_tPvRmT1_PNSt15iterator_traitsIS13_E10value_typeET2_T3_PNS14_IS19_E10value_typeET4_jRbjT5_S1F_jjP12ihipStream_tbEUljE_ZNSN_ISO_Lb1ESR_SS_SU_SV_SZ_EES10_S11_S12_S13_S17_S18_S19_S1C_S1D_jS1E_jS1F_S1F_jjS1H_bEUljE0_EEES10_S11_S12_S19_S1D_S1F_T6_T7_T9_mT8_S1H_bDpT10_ENKUlT_T0_E_clISt17integral_constantIbLb0EES1V_EEDaS1Q_S1R_EUlS1Q_E_NS1_11comp_targetILNS1_3genE5ELNS1_11target_archE942ELNS1_3gpuE9ELNS1_3repE0EEENS1_30default_config_static_selectorELNS0_4arch9wavefront6targetE0EEEvS13_ ; -- Begin function _ZN7rocprim17ROCPRIM_400000_NS6detail17trampoline_kernelINS0_13select_configILj256ELj13ELNS0_17block_load_methodE3ELS4_3ELS4_3ELNS0_20block_scan_algorithmE0ELj4294967295EEENS1_25partition_config_selectorILNS1_17partition_subalgoE4EjNS0_10empty_typeEbEEZZNS1_14partition_implILS8_4ELb0ES6_15HIP_vector_typeIjLj2EENS0_17counting_iteratorIjlEEPS9_SG_NS0_5tupleIJPjSI_NS0_16reverse_iteratorISI_EEEEENSH_IJSG_SG_SG_EEES9_SI_JZNS1_25segmented_radix_sort_implINS0_14default_configELb1EPK6__halfPSP_PKlPlN2at6native12_GLOBAL__N_18offset_tEEE10hipError_tPvRmT1_PNSt15iterator_traitsIS13_E10value_typeET2_T3_PNS14_IS19_E10value_typeET4_jRbjT5_S1F_jjP12ihipStream_tbEUljE_ZNSN_ISO_Lb1ESR_SS_SU_SV_SZ_EES10_S11_S12_S13_S17_S18_S19_S1C_S1D_jS1E_jS1F_S1F_jjS1H_bEUljE0_EEES10_S11_S12_S19_S1D_S1F_T6_T7_T9_mT8_S1H_bDpT10_ENKUlT_T0_E_clISt17integral_constantIbLb0EES1V_EEDaS1Q_S1R_EUlS1Q_E_NS1_11comp_targetILNS1_3genE5ELNS1_11target_archE942ELNS1_3gpuE9ELNS1_3repE0EEENS1_30default_config_static_selectorELNS0_4arch9wavefront6targetE0EEEvS13_
	.p2align	8
	.type	_ZN7rocprim17ROCPRIM_400000_NS6detail17trampoline_kernelINS0_13select_configILj256ELj13ELNS0_17block_load_methodE3ELS4_3ELS4_3ELNS0_20block_scan_algorithmE0ELj4294967295EEENS1_25partition_config_selectorILNS1_17partition_subalgoE4EjNS0_10empty_typeEbEEZZNS1_14partition_implILS8_4ELb0ES6_15HIP_vector_typeIjLj2EENS0_17counting_iteratorIjlEEPS9_SG_NS0_5tupleIJPjSI_NS0_16reverse_iteratorISI_EEEEENSH_IJSG_SG_SG_EEES9_SI_JZNS1_25segmented_radix_sort_implINS0_14default_configELb1EPK6__halfPSP_PKlPlN2at6native12_GLOBAL__N_18offset_tEEE10hipError_tPvRmT1_PNSt15iterator_traitsIS13_E10value_typeET2_T3_PNS14_IS19_E10value_typeET4_jRbjT5_S1F_jjP12ihipStream_tbEUljE_ZNSN_ISO_Lb1ESR_SS_SU_SV_SZ_EES10_S11_S12_S13_S17_S18_S19_S1C_S1D_jS1E_jS1F_S1F_jjS1H_bEUljE0_EEES10_S11_S12_S19_S1D_S1F_T6_T7_T9_mT8_S1H_bDpT10_ENKUlT_T0_E_clISt17integral_constantIbLb0EES1V_EEDaS1Q_S1R_EUlS1Q_E_NS1_11comp_targetILNS1_3genE5ELNS1_11target_archE942ELNS1_3gpuE9ELNS1_3repE0EEENS1_30default_config_static_selectorELNS0_4arch9wavefront6targetE0EEEvS13_,@function
_ZN7rocprim17ROCPRIM_400000_NS6detail17trampoline_kernelINS0_13select_configILj256ELj13ELNS0_17block_load_methodE3ELS4_3ELS4_3ELNS0_20block_scan_algorithmE0ELj4294967295EEENS1_25partition_config_selectorILNS1_17partition_subalgoE4EjNS0_10empty_typeEbEEZZNS1_14partition_implILS8_4ELb0ES6_15HIP_vector_typeIjLj2EENS0_17counting_iteratorIjlEEPS9_SG_NS0_5tupleIJPjSI_NS0_16reverse_iteratorISI_EEEEENSH_IJSG_SG_SG_EEES9_SI_JZNS1_25segmented_radix_sort_implINS0_14default_configELb1EPK6__halfPSP_PKlPlN2at6native12_GLOBAL__N_18offset_tEEE10hipError_tPvRmT1_PNSt15iterator_traitsIS13_E10value_typeET2_T3_PNS14_IS19_E10value_typeET4_jRbjT5_S1F_jjP12ihipStream_tbEUljE_ZNSN_ISO_Lb1ESR_SS_SU_SV_SZ_EES10_S11_S12_S13_S17_S18_S19_S1C_S1D_jS1E_jS1F_S1F_jjS1H_bEUljE0_EEES10_S11_S12_S19_S1D_S1F_T6_T7_T9_mT8_S1H_bDpT10_ENKUlT_T0_E_clISt17integral_constantIbLb0EES1V_EEDaS1Q_S1R_EUlS1Q_E_NS1_11comp_targetILNS1_3genE5ELNS1_11target_archE942ELNS1_3gpuE9ELNS1_3repE0EEENS1_30default_config_static_selectorELNS0_4arch9wavefront6targetE0EEEvS13_: ; @_ZN7rocprim17ROCPRIM_400000_NS6detail17trampoline_kernelINS0_13select_configILj256ELj13ELNS0_17block_load_methodE3ELS4_3ELS4_3ELNS0_20block_scan_algorithmE0ELj4294967295EEENS1_25partition_config_selectorILNS1_17partition_subalgoE4EjNS0_10empty_typeEbEEZZNS1_14partition_implILS8_4ELb0ES6_15HIP_vector_typeIjLj2EENS0_17counting_iteratorIjlEEPS9_SG_NS0_5tupleIJPjSI_NS0_16reverse_iteratorISI_EEEEENSH_IJSG_SG_SG_EEES9_SI_JZNS1_25segmented_radix_sort_implINS0_14default_configELb1EPK6__halfPSP_PKlPlN2at6native12_GLOBAL__N_18offset_tEEE10hipError_tPvRmT1_PNSt15iterator_traitsIS13_E10value_typeET2_T3_PNS14_IS19_E10value_typeET4_jRbjT5_S1F_jjP12ihipStream_tbEUljE_ZNSN_ISO_Lb1ESR_SS_SU_SV_SZ_EES10_S11_S12_S13_S17_S18_S19_S1C_S1D_jS1E_jS1F_S1F_jjS1H_bEUljE0_EEES10_S11_S12_S19_S1D_S1F_T6_T7_T9_mT8_S1H_bDpT10_ENKUlT_T0_E_clISt17integral_constantIbLb0EES1V_EEDaS1Q_S1R_EUlS1Q_E_NS1_11comp_targetILNS1_3genE5ELNS1_11target_archE942ELNS1_3gpuE9ELNS1_3repE0EEENS1_30default_config_static_selectorELNS0_4arch9wavefront6targetE0EEEvS13_
; %bb.0:
	.section	.rodata,"a",@progbits
	.p2align	6, 0x0
	.amdhsa_kernel _ZN7rocprim17ROCPRIM_400000_NS6detail17trampoline_kernelINS0_13select_configILj256ELj13ELNS0_17block_load_methodE3ELS4_3ELS4_3ELNS0_20block_scan_algorithmE0ELj4294967295EEENS1_25partition_config_selectorILNS1_17partition_subalgoE4EjNS0_10empty_typeEbEEZZNS1_14partition_implILS8_4ELb0ES6_15HIP_vector_typeIjLj2EENS0_17counting_iteratorIjlEEPS9_SG_NS0_5tupleIJPjSI_NS0_16reverse_iteratorISI_EEEEENSH_IJSG_SG_SG_EEES9_SI_JZNS1_25segmented_radix_sort_implINS0_14default_configELb1EPK6__halfPSP_PKlPlN2at6native12_GLOBAL__N_18offset_tEEE10hipError_tPvRmT1_PNSt15iterator_traitsIS13_E10value_typeET2_T3_PNS14_IS19_E10value_typeET4_jRbjT5_S1F_jjP12ihipStream_tbEUljE_ZNSN_ISO_Lb1ESR_SS_SU_SV_SZ_EES10_S11_S12_S13_S17_S18_S19_S1C_S1D_jS1E_jS1F_S1F_jjS1H_bEUljE0_EEES10_S11_S12_S19_S1D_S1F_T6_T7_T9_mT8_S1H_bDpT10_ENKUlT_T0_E_clISt17integral_constantIbLb0EES1V_EEDaS1Q_S1R_EUlS1Q_E_NS1_11comp_targetILNS1_3genE5ELNS1_11target_archE942ELNS1_3gpuE9ELNS1_3repE0EEENS1_30default_config_static_selectorELNS0_4arch9wavefront6targetE0EEEvS13_
		.amdhsa_group_segment_fixed_size 0
		.amdhsa_private_segment_fixed_size 0
		.amdhsa_kernarg_size 176
		.amdhsa_user_sgpr_count 2
		.amdhsa_user_sgpr_dispatch_ptr 0
		.amdhsa_user_sgpr_queue_ptr 0
		.amdhsa_user_sgpr_kernarg_segment_ptr 1
		.amdhsa_user_sgpr_dispatch_id 0
		.amdhsa_user_sgpr_private_segment_size 0
		.amdhsa_wavefront_size32 1
		.amdhsa_uses_dynamic_stack 0
		.amdhsa_enable_private_segment 0
		.amdhsa_system_sgpr_workgroup_id_x 1
		.amdhsa_system_sgpr_workgroup_id_y 0
		.amdhsa_system_sgpr_workgroup_id_z 0
		.amdhsa_system_sgpr_workgroup_info 0
		.amdhsa_system_vgpr_workitem_id 0
		.amdhsa_next_free_vgpr 1
		.amdhsa_next_free_sgpr 1
		.amdhsa_reserve_vcc 0
		.amdhsa_float_round_mode_32 0
		.amdhsa_float_round_mode_16_64 0
		.amdhsa_float_denorm_mode_32 3
		.amdhsa_float_denorm_mode_16_64 3
		.amdhsa_fp16_overflow 0
		.amdhsa_workgroup_processor_mode 1
		.amdhsa_memory_ordered 1
		.amdhsa_forward_progress 1
		.amdhsa_inst_pref_size 0
		.amdhsa_round_robin_scheduling 0
		.amdhsa_exception_fp_ieee_invalid_op 0
		.amdhsa_exception_fp_denorm_src 0
		.amdhsa_exception_fp_ieee_div_zero 0
		.amdhsa_exception_fp_ieee_overflow 0
		.amdhsa_exception_fp_ieee_underflow 0
		.amdhsa_exception_fp_ieee_inexact 0
		.amdhsa_exception_int_div_zero 0
	.end_amdhsa_kernel
	.section	.text._ZN7rocprim17ROCPRIM_400000_NS6detail17trampoline_kernelINS0_13select_configILj256ELj13ELNS0_17block_load_methodE3ELS4_3ELS4_3ELNS0_20block_scan_algorithmE0ELj4294967295EEENS1_25partition_config_selectorILNS1_17partition_subalgoE4EjNS0_10empty_typeEbEEZZNS1_14partition_implILS8_4ELb0ES6_15HIP_vector_typeIjLj2EENS0_17counting_iteratorIjlEEPS9_SG_NS0_5tupleIJPjSI_NS0_16reverse_iteratorISI_EEEEENSH_IJSG_SG_SG_EEES9_SI_JZNS1_25segmented_radix_sort_implINS0_14default_configELb1EPK6__halfPSP_PKlPlN2at6native12_GLOBAL__N_18offset_tEEE10hipError_tPvRmT1_PNSt15iterator_traitsIS13_E10value_typeET2_T3_PNS14_IS19_E10value_typeET4_jRbjT5_S1F_jjP12ihipStream_tbEUljE_ZNSN_ISO_Lb1ESR_SS_SU_SV_SZ_EES10_S11_S12_S13_S17_S18_S19_S1C_S1D_jS1E_jS1F_S1F_jjS1H_bEUljE0_EEES10_S11_S12_S19_S1D_S1F_T6_T7_T9_mT8_S1H_bDpT10_ENKUlT_T0_E_clISt17integral_constantIbLb0EES1V_EEDaS1Q_S1R_EUlS1Q_E_NS1_11comp_targetILNS1_3genE5ELNS1_11target_archE942ELNS1_3gpuE9ELNS1_3repE0EEENS1_30default_config_static_selectorELNS0_4arch9wavefront6targetE0EEEvS13_,"axG",@progbits,_ZN7rocprim17ROCPRIM_400000_NS6detail17trampoline_kernelINS0_13select_configILj256ELj13ELNS0_17block_load_methodE3ELS4_3ELS4_3ELNS0_20block_scan_algorithmE0ELj4294967295EEENS1_25partition_config_selectorILNS1_17partition_subalgoE4EjNS0_10empty_typeEbEEZZNS1_14partition_implILS8_4ELb0ES6_15HIP_vector_typeIjLj2EENS0_17counting_iteratorIjlEEPS9_SG_NS0_5tupleIJPjSI_NS0_16reverse_iteratorISI_EEEEENSH_IJSG_SG_SG_EEES9_SI_JZNS1_25segmented_radix_sort_implINS0_14default_configELb1EPK6__halfPSP_PKlPlN2at6native12_GLOBAL__N_18offset_tEEE10hipError_tPvRmT1_PNSt15iterator_traitsIS13_E10value_typeET2_T3_PNS14_IS19_E10value_typeET4_jRbjT5_S1F_jjP12ihipStream_tbEUljE_ZNSN_ISO_Lb1ESR_SS_SU_SV_SZ_EES10_S11_S12_S13_S17_S18_S19_S1C_S1D_jS1E_jS1F_S1F_jjS1H_bEUljE0_EEES10_S11_S12_S19_S1D_S1F_T6_T7_T9_mT8_S1H_bDpT10_ENKUlT_T0_E_clISt17integral_constantIbLb0EES1V_EEDaS1Q_S1R_EUlS1Q_E_NS1_11comp_targetILNS1_3genE5ELNS1_11target_archE942ELNS1_3gpuE9ELNS1_3repE0EEENS1_30default_config_static_selectorELNS0_4arch9wavefront6targetE0EEEvS13_,comdat
.Lfunc_end1676:
	.size	_ZN7rocprim17ROCPRIM_400000_NS6detail17trampoline_kernelINS0_13select_configILj256ELj13ELNS0_17block_load_methodE3ELS4_3ELS4_3ELNS0_20block_scan_algorithmE0ELj4294967295EEENS1_25partition_config_selectorILNS1_17partition_subalgoE4EjNS0_10empty_typeEbEEZZNS1_14partition_implILS8_4ELb0ES6_15HIP_vector_typeIjLj2EENS0_17counting_iteratorIjlEEPS9_SG_NS0_5tupleIJPjSI_NS0_16reverse_iteratorISI_EEEEENSH_IJSG_SG_SG_EEES9_SI_JZNS1_25segmented_radix_sort_implINS0_14default_configELb1EPK6__halfPSP_PKlPlN2at6native12_GLOBAL__N_18offset_tEEE10hipError_tPvRmT1_PNSt15iterator_traitsIS13_E10value_typeET2_T3_PNS14_IS19_E10value_typeET4_jRbjT5_S1F_jjP12ihipStream_tbEUljE_ZNSN_ISO_Lb1ESR_SS_SU_SV_SZ_EES10_S11_S12_S13_S17_S18_S19_S1C_S1D_jS1E_jS1F_S1F_jjS1H_bEUljE0_EEES10_S11_S12_S19_S1D_S1F_T6_T7_T9_mT8_S1H_bDpT10_ENKUlT_T0_E_clISt17integral_constantIbLb0EES1V_EEDaS1Q_S1R_EUlS1Q_E_NS1_11comp_targetILNS1_3genE5ELNS1_11target_archE942ELNS1_3gpuE9ELNS1_3repE0EEENS1_30default_config_static_selectorELNS0_4arch9wavefront6targetE0EEEvS13_, .Lfunc_end1676-_ZN7rocprim17ROCPRIM_400000_NS6detail17trampoline_kernelINS0_13select_configILj256ELj13ELNS0_17block_load_methodE3ELS4_3ELS4_3ELNS0_20block_scan_algorithmE0ELj4294967295EEENS1_25partition_config_selectorILNS1_17partition_subalgoE4EjNS0_10empty_typeEbEEZZNS1_14partition_implILS8_4ELb0ES6_15HIP_vector_typeIjLj2EENS0_17counting_iteratorIjlEEPS9_SG_NS0_5tupleIJPjSI_NS0_16reverse_iteratorISI_EEEEENSH_IJSG_SG_SG_EEES9_SI_JZNS1_25segmented_radix_sort_implINS0_14default_configELb1EPK6__halfPSP_PKlPlN2at6native12_GLOBAL__N_18offset_tEEE10hipError_tPvRmT1_PNSt15iterator_traitsIS13_E10value_typeET2_T3_PNS14_IS19_E10value_typeET4_jRbjT5_S1F_jjP12ihipStream_tbEUljE_ZNSN_ISO_Lb1ESR_SS_SU_SV_SZ_EES10_S11_S12_S13_S17_S18_S19_S1C_S1D_jS1E_jS1F_S1F_jjS1H_bEUljE0_EEES10_S11_S12_S19_S1D_S1F_T6_T7_T9_mT8_S1H_bDpT10_ENKUlT_T0_E_clISt17integral_constantIbLb0EES1V_EEDaS1Q_S1R_EUlS1Q_E_NS1_11comp_targetILNS1_3genE5ELNS1_11target_archE942ELNS1_3gpuE9ELNS1_3repE0EEENS1_30default_config_static_selectorELNS0_4arch9wavefront6targetE0EEEvS13_
                                        ; -- End function
	.set _ZN7rocprim17ROCPRIM_400000_NS6detail17trampoline_kernelINS0_13select_configILj256ELj13ELNS0_17block_load_methodE3ELS4_3ELS4_3ELNS0_20block_scan_algorithmE0ELj4294967295EEENS1_25partition_config_selectorILNS1_17partition_subalgoE4EjNS0_10empty_typeEbEEZZNS1_14partition_implILS8_4ELb0ES6_15HIP_vector_typeIjLj2EENS0_17counting_iteratorIjlEEPS9_SG_NS0_5tupleIJPjSI_NS0_16reverse_iteratorISI_EEEEENSH_IJSG_SG_SG_EEES9_SI_JZNS1_25segmented_radix_sort_implINS0_14default_configELb1EPK6__halfPSP_PKlPlN2at6native12_GLOBAL__N_18offset_tEEE10hipError_tPvRmT1_PNSt15iterator_traitsIS13_E10value_typeET2_T3_PNS14_IS19_E10value_typeET4_jRbjT5_S1F_jjP12ihipStream_tbEUljE_ZNSN_ISO_Lb1ESR_SS_SU_SV_SZ_EES10_S11_S12_S13_S17_S18_S19_S1C_S1D_jS1E_jS1F_S1F_jjS1H_bEUljE0_EEES10_S11_S12_S19_S1D_S1F_T6_T7_T9_mT8_S1H_bDpT10_ENKUlT_T0_E_clISt17integral_constantIbLb0EES1V_EEDaS1Q_S1R_EUlS1Q_E_NS1_11comp_targetILNS1_3genE5ELNS1_11target_archE942ELNS1_3gpuE9ELNS1_3repE0EEENS1_30default_config_static_selectorELNS0_4arch9wavefront6targetE0EEEvS13_.num_vgpr, 0
	.set _ZN7rocprim17ROCPRIM_400000_NS6detail17trampoline_kernelINS0_13select_configILj256ELj13ELNS0_17block_load_methodE3ELS4_3ELS4_3ELNS0_20block_scan_algorithmE0ELj4294967295EEENS1_25partition_config_selectorILNS1_17partition_subalgoE4EjNS0_10empty_typeEbEEZZNS1_14partition_implILS8_4ELb0ES6_15HIP_vector_typeIjLj2EENS0_17counting_iteratorIjlEEPS9_SG_NS0_5tupleIJPjSI_NS0_16reverse_iteratorISI_EEEEENSH_IJSG_SG_SG_EEES9_SI_JZNS1_25segmented_radix_sort_implINS0_14default_configELb1EPK6__halfPSP_PKlPlN2at6native12_GLOBAL__N_18offset_tEEE10hipError_tPvRmT1_PNSt15iterator_traitsIS13_E10value_typeET2_T3_PNS14_IS19_E10value_typeET4_jRbjT5_S1F_jjP12ihipStream_tbEUljE_ZNSN_ISO_Lb1ESR_SS_SU_SV_SZ_EES10_S11_S12_S13_S17_S18_S19_S1C_S1D_jS1E_jS1F_S1F_jjS1H_bEUljE0_EEES10_S11_S12_S19_S1D_S1F_T6_T7_T9_mT8_S1H_bDpT10_ENKUlT_T0_E_clISt17integral_constantIbLb0EES1V_EEDaS1Q_S1R_EUlS1Q_E_NS1_11comp_targetILNS1_3genE5ELNS1_11target_archE942ELNS1_3gpuE9ELNS1_3repE0EEENS1_30default_config_static_selectorELNS0_4arch9wavefront6targetE0EEEvS13_.num_agpr, 0
	.set _ZN7rocprim17ROCPRIM_400000_NS6detail17trampoline_kernelINS0_13select_configILj256ELj13ELNS0_17block_load_methodE3ELS4_3ELS4_3ELNS0_20block_scan_algorithmE0ELj4294967295EEENS1_25partition_config_selectorILNS1_17partition_subalgoE4EjNS0_10empty_typeEbEEZZNS1_14partition_implILS8_4ELb0ES6_15HIP_vector_typeIjLj2EENS0_17counting_iteratorIjlEEPS9_SG_NS0_5tupleIJPjSI_NS0_16reverse_iteratorISI_EEEEENSH_IJSG_SG_SG_EEES9_SI_JZNS1_25segmented_radix_sort_implINS0_14default_configELb1EPK6__halfPSP_PKlPlN2at6native12_GLOBAL__N_18offset_tEEE10hipError_tPvRmT1_PNSt15iterator_traitsIS13_E10value_typeET2_T3_PNS14_IS19_E10value_typeET4_jRbjT5_S1F_jjP12ihipStream_tbEUljE_ZNSN_ISO_Lb1ESR_SS_SU_SV_SZ_EES10_S11_S12_S13_S17_S18_S19_S1C_S1D_jS1E_jS1F_S1F_jjS1H_bEUljE0_EEES10_S11_S12_S19_S1D_S1F_T6_T7_T9_mT8_S1H_bDpT10_ENKUlT_T0_E_clISt17integral_constantIbLb0EES1V_EEDaS1Q_S1R_EUlS1Q_E_NS1_11comp_targetILNS1_3genE5ELNS1_11target_archE942ELNS1_3gpuE9ELNS1_3repE0EEENS1_30default_config_static_selectorELNS0_4arch9wavefront6targetE0EEEvS13_.numbered_sgpr, 0
	.set _ZN7rocprim17ROCPRIM_400000_NS6detail17trampoline_kernelINS0_13select_configILj256ELj13ELNS0_17block_load_methodE3ELS4_3ELS4_3ELNS0_20block_scan_algorithmE0ELj4294967295EEENS1_25partition_config_selectorILNS1_17partition_subalgoE4EjNS0_10empty_typeEbEEZZNS1_14partition_implILS8_4ELb0ES6_15HIP_vector_typeIjLj2EENS0_17counting_iteratorIjlEEPS9_SG_NS0_5tupleIJPjSI_NS0_16reverse_iteratorISI_EEEEENSH_IJSG_SG_SG_EEES9_SI_JZNS1_25segmented_radix_sort_implINS0_14default_configELb1EPK6__halfPSP_PKlPlN2at6native12_GLOBAL__N_18offset_tEEE10hipError_tPvRmT1_PNSt15iterator_traitsIS13_E10value_typeET2_T3_PNS14_IS19_E10value_typeET4_jRbjT5_S1F_jjP12ihipStream_tbEUljE_ZNSN_ISO_Lb1ESR_SS_SU_SV_SZ_EES10_S11_S12_S13_S17_S18_S19_S1C_S1D_jS1E_jS1F_S1F_jjS1H_bEUljE0_EEES10_S11_S12_S19_S1D_S1F_T6_T7_T9_mT8_S1H_bDpT10_ENKUlT_T0_E_clISt17integral_constantIbLb0EES1V_EEDaS1Q_S1R_EUlS1Q_E_NS1_11comp_targetILNS1_3genE5ELNS1_11target_archE942ELNS1_3gpuE9ELNS1_3repE0EEENS1_30default_config_static_selectorELNS0_4arch9wavefront6targetE0EEEvS13_.num_named_barrier, 0
	.set _ZN7rocprim17ROCPRIM_400000_NS6detail17trampoline_kernelINS0_13select_configILj256ELj13ELNS0_17block_load_methodE3ELS4_3ELS4_3ELNS0_20block_scan_algorithmE0ELj4294967295EEENS1_25partition_config_selectorILNS1_17partition_subalgoE4EjNS0_10empty_typeEbEEZZNS1_14partition_implILS8_4ELb0ES6_15HIP_vector_typeIjLj2EENS0_17counting_iteratorIjlEEPS9_SG_NS0_5tupleIJPjSI_NS0_16reverse_iteratorISI_EEEEENSH_IJSG_SG_SG_EEES9_SI_JZNS1_25segmented_radix_sort_implINS0_14default_configELb1EPK6__halfPSP_PKlPlN2at6native12_GLOBAL__N_18offset_tEEE10hipError_tPvRmT1_PNSt15iterator_traitsIS13_E10value_typeET2_T3_PNS14_IS19_E10value_typeET4_jRbjT5_S1F_jjP12ihipStream_tbEUljE_ZNSN_ISO_Lb1ESR_SS_SU_SV_SZ_EES10_S11_S12_S13_S17_S18_S19_S1C_S1D_jS1E_jS1F_S1F_jjS1H_bEUljE0_EEES10_S11_S12_S19_S1D_S1F_T6_T7_T9_mT8_S1H_bDpT10_ENKUlT_T0_E_clISt17integral_constantIbLb0EES1V_EEDaS1Q_S1R_EUlS1Q_E_NS1_11comp_targetILNS1_3genE5ELNS1_11target_archE942ELNS1_3gpuE9ELNS1_3repE0EEENS1_30default_config_static_selectorELNS0_4arch9wavefront6targetE0EEEvS13_.private_seg_size, 0
	.set _ZN7rocprim17ROCPRIM_400000_NS6detail17trampoline_kernelINS0_13select_configILj256ELj13ELNS0_17block_load_methodE3ELS4_3ELS4_3ELNS0_20block_scan_algorithmE0ELj4294967295EEENS1_25partition_config_selectorILNS1_17partition_subalgoE4EjNS0_10empty_typeEbEEZZNS1_14partition_implILS8_4ELb0ES6_15HIP_vector_typeIjLj2EENS0_17counting_iteratorIjlEEPS9_SG_NS0_5tupleIJPjSI_NS0_16reverse_iteratorISI_EEEEENSH_IJSG_SG_SG_EEES9_SI_JZNS1_25segmented_radix_sort_implINS0_14default_configELb1EPK6__halfPSP_PKlPlN2at6native12_GLOBAL__N_18offset_tEEE10hipError_tPvRmT1_PNSt15iterator_traitsIS13_E10value_typeET2_T3_PNS14_IS19_E10value_typeET4_jRbjT5_S1F_jjP12ihipStream_tbEUljE_ZNSN_ISO_Lb1ESR_SS_SU_SV_SZ_EES10_S11_S12_S13_S17_S18_S19_S1C_S1D_jS1E_jS1F_S1F_jjS1H_bEUljE0_EEES10_S11_S12_S19_S1D_S1F_T6_T7_T9_mT8_S1H_bDpT10_ENKUlT_T0_E_clISt17integral_constantIbLb0EES1V_EEDaS1Q_S1R_EUlS1Q_E_NS1_11comp_targetILNS1_3genE5ELNS1_11target_archE942ELNS1_3gpuE9ELNS1_3repE0EEENS1_30default_config_static_selectorELNS0_4arch9wavefront6targetE0EEEvS13_.uses_vcc, 0
	.set _ZN7rocprim17ROCPRIM_400000_NS6detail17trampoline_kernelINS0_13select_configILj256ELj13ELNS0_17block_load_methodE3ELS4_3ELS4_3ELNS0_20block_scan_algorithmE0ELj4294967295EEENS1_25partition_config_selectorILNS1_17partition_subalgoE4EjNS0_10empty_typeEbEEZZNS1_14partition_implILS8_4ELb0ES6_15HIP_vector_typeIjLj2EENS0_17counting_iteratorIjlEEPS9_SG_NS0_5tupleIJPjSI_NS0_16reverse_iteratorISI_EEEEENSH_IJSG_SG_SG_EEES9_SI_JZNS1_25segmented_radix_sort_implINS0_14default_configELb1EPK6__halfPSP_PKlPlN2at6native12_GLOBAL__N_18offset_tEEE10hipError_tPvRmT1_PNSt15iterator_traitsIS13_E10value_typeET2_T3_PNS14_IS19_E10value_typeET4_jRbjT5_S1F_jjP12ihipStream_tbEUljE_ZNSN_ISO_Lb1ESR_SS_SU_SV_SZ_EES10_S11_S12_S13_S17_S18_S19_S1C_S1D_jS1E_jS1F_S1F_jjS1H_bEUljE0_EEES10_S11_S12_S19_S1D_S1F_T6_T7_T9_mT8_S1H_bDpT10_ENKUlT_T0_E_clISt17integral_constantIbLb0EES1V_EEDaS1Q_S1R_EUlS1Q_E_NS1_11comp_targetILNS1_3genE5ELNS1_11target_archE942ELNS1_3gpuE9ELNS1_3repE0EEENS1_30default_config_static_selectorELNS0_4arch9wavefront6targetE0EEEvS13_.uses_flat_scratch, 0
	.set _ZN7rocprim17ROCPRIM_400000_NS6detail17trampoline_kernelINS0_13select_configILj256ELj13ELNS0_17block_load_methodE3ELS4_3ELS4_3ELNS0_20block_scan_algorithmE0ELj4294967295EEENS1_25partition_config_selectorILNS1_17partition_subalgoE4EjNS0_10empty_typeEbEEZZNS1_14partition_implILS8_4ELb0ES6_15HIP_vector_typeIjLj2EENS0_17counting_iteratorIjlEEPS9_SG_NS0_5tupleIJPjSI_NS0_16reverse_iteratorISI_EEEEENSH_IJSG_SG_SG_EEES9_SI_JZNS1_25segmented_radix_sort_implINS0_14default_configELb1EPK6__halfPSP_PKlPlN2at6native12_GLOBAL__N_18offset_tEEE10hipError_tPvRmT1_PNSt15iterator_traitsIS13_E10value_typeET2_T3_PNS14_IS19_E10value_typeET4_jRbjT5_S1F_jjP12ihipStream_tbEUljE_ZNSN_ISO_Lb1ESR_SS_SU_SV_SZ_EES10_S11_S12_S13_S17_S18_S19_S1C_S1D_jS1E_jS1F_S1F_jjS1H_bEUljE0_EEES10_S11_S12_S19_S1D_S1F_T6_T7_T9_mT8_S1H_bDpT10_ENKUlT_T0_E_clISt17integral_constantIbLb0EES1V_EEDaS1Q_S1R_EUlS1Q_E_NS1_11comp_targetILNS1_3genE5ELNS1_11target_archE942ELNS1_3gpuE9ELNS1_3repE0EEENS1_30default_config_static_selectorELNS0_4arch9wavefront6targetE0EEEvS13_.has_dyn_sized_stack, 0
	.set _ZN7rocprim17ROCPRIM_400000_NS6detail17trampoline_kernelINS0_13select_configILj256ELj13ELNS0_17block_load_methodE3ELS4_3ELS4_3ELNS0_20block_scan_algorithmE0ELj4294967295EEENS1_25partition_config_selectorILNS1_17partition_subalgoE4EjNS0_10empty_typeEbEEZZNS1_14partition_implILS8_4ELb0ES6_15HIP_vector_typeIjLj2EENS0_17counting_iteratorIjlEEPS9_SG_NS0_5tupleIJPjSI_NS0_16reverse_iteratorISI_EEEEENSH_IJSG_SG_SG_EEES9_SI_JZNS1_25segmented_radix_sort_implINS0_14default_configELb1EPK6__halfPSP_PKlPlN2at6native12_GLOBAL__N_18offset_tEEE10hipError_tPvRmT1_PNSt15iterator_traitsIS13_E10value_typeET2_T3_PNS14_IS19_E10value_typeET4_jRbjT5_S1F_jjP12ihipStream_tbEUljE_ZNSN_ISO_Lb1ESR_SS_SU_SV_SZ_EES10_S11_S12_S13_S17_S18_S19_S1C_S1D_jS1E_jS1F_S1F_jjS1H_bEUljE0_EEES10_S11_S12_S19_S1D_S1F_T6_T7_T9_mT8_S1H_bDpT10_ENKUlT_T0_E_clISt17integral_constantIbLb0EES1V_EEDaS1Q_S1R_EUlS1Q_E_NS1_11comp_targetILNS1_3genE5ELNS1_11target_archE942ELNS1_3gpuE9ELNS1_3repE0EEENS1_30default_config_static_selectorELNS0_4arch9wavefront6targetE0EEEvS13_.has_recursion, 0
	.set _ZN7rocprim17ROCPRIM_400000_NS6detail17trampoline_kernelINS0_13select_configILj256ELj13ELNS0_17block_load_methodE3ELS4_3ELS4_3ELNS0_20block_scan_algorithmE0ELj4294967295EEENS1_25partition_config_selectorILNS1_17partition_subalgoE4EjNS0_10empty_typeEbEEZZNS1_14partition_implILS8_4ELb0ES6_15HIP_vector_typeIjLj2EENS0_17counting_iteratorIjlEEPS9_SG_NS0_5tupleIJPjSI_NS0_16reverse_iteratorISI_EEEEENSH_IJSG_SG_SG_EEES9_SI_JZNS1_25segmented_radix_sort_implINS0_14default_configELb1EPK6__halfPSP_PKlPlN2at6native12_GLOBAL__N_18offset_tEEE10hipError_tPvRmT1_PNSt15iterator_traitsIS13_E10value_typeET2_T3_PNS14_IS19_E10value_typeET4_jRbjT5_S1F_jjP12ihipStream_tbEUljE_ZNSN_ISO_Lb1ESR_SS_SU_SV_SZ_EES10_S11_S12_S13_S17_S18_S19_S1C_S1D_jS1E_jS1F_S1F_jjS1H_bEUljE0_EEES10_S11_S12_S19_S1D_S1F_T6_T7_T9_mT8_S1H_bDpT10_ENKUlT_T0_E_clISt17integral_constantIbLb0EES1V_EEDaS1Q_S1R_EUlS1Q_E_NS1_11comp_targetILNS1_3genE5ELNS1_11target_archE942ELNS1_3gpuE9ELNS1_3repE0EEENS1_30default_config_static_selectorELNS0_4arch9wavefront6targetE0EEEvS13_.has_indirect_call, 0
	.section	.AMDGPU.csdata,"",@progbits
; Kernel info:
; codeLenInByte = 0
; TotalNumSgprs: 0
; NumVgprs: 0
; ScratchSize: 0
; MemoryBound: 0
; FloatMode: 240
; IeeeMode: 1
; LDSByteSize: 0 bytes/workgroup (compile time only)
; SGPRBlocks: 0
; VGPRBlocks: 0
; NumSGPRsForWavesPerEU: 1
; NumVGPRsForWavesPerEU: 1
; Occupancy: 16
; WaveLimiterHint : 0
; COMPUTE_PGM_RSRC2:SCRATCH_EN: 0
; COMPUTE_PGM_RSRC2:USER_SGPR: 2
; COMPUTE_PGM_RSRC2:TRAP_HANDLER: 0
; COMPUTE_PGM_RSRC2:TGID_X_EN: 1
; COMPUTE_PGM_RSRC2:TGID_Y_EN: 0
; COMPUTE_PGM_RSRC2:TGID_Z_EN: 0
; COMPUTE_PGM_RSRC2:TIDIG_COMP_CNT: 0
	.section	.text._ZN7rocprim17ROCPRIM_400000_NS6detail17trampoline_kernelINS0_13select_configILj256ELj13ELNS0_17block_load_methodE3ELS4_3ELS4_3ELNS0_20block_scan_algorithmE0ELj4294967295EEENS1_25partition_config_selectorILNS1_17partition_subalgoE4EjNS0_10empty_typeEbEEZZNS1_14partition_implILS8_4ELb0ES6_15HIP_vector_typeIjLj2EENS0_17counting_iteratorIjlEEPS9_SG_NS0_5tupleIJPjSI_NS0_16reverse_iteratorISI_EEEEENSH_IJSG_SG_SG_EEES9_SI_JZNS1_25segmented_radix_sort_implINS0_14default_configELb1EPK6__halfPSP_PKlPlN2at6native12_GLOBAL__N_18offset_tEEE10hipError_tPvRmT1_PNSt15iterator_traitsIS13_E10value_typeET2_T3_PNS14_IS19_E10value_typeET4_jRbjT5_S1F_jjP12ihipStream_tbEUljE_ZNSN_ISO_Lb1ESR_SS_SU_SV_SZ_EES10_S11_S12_S13_S17_S18_S19_S1C_S1D_jS1E_jS1F_S1F_jjS1H_bEUljE0_EEES10_S11_S12_S19_S1D_S1F_T6_T7_T9_mT8_S1H_bDpT10_ENKUlT_T0_E_clISt17integral_constantIbLb0EES1V_EEDaS1Q_S1R_EUlS1Q_E_NS1_11comp_targetILNS1_3genE4ELNS1_11target_archE910ELNS1_3gpuE8ELNS1_3repE0EEENS1_30default_config_static_selectorELNS0_4arch9wavefront6targetE0EEEvS13_,"axG",@progbits,_ZN7rocprim17ROCPRIM_400000_NS6detail17trampoline_kernelINS0_13select_configILj256ELj13ELNS0_17block_load_methodE3ELS4_3ELS4_3ELNS0_20block_scan_algorithmE0ELj4294967295EEENS1_25partition_config_selectorILNS1_17partition_subalgoE4EjNS0_10empty_typeEbEEZZNS1_14partition_implILS8_4ELb0ES6_15HIP_vector_typeIjLj2EENS0_17counting_iteratorIjlEEPS9_SG_NS0_5tupleIJPjSI_NS0_16reverse_iteratorISI_EEEEENSH_IJSG_SG_SG_EEES9_SI_JZNS1_25segmented_radix_sort_implINS0_14default_configELb1EPK6__halfPSP_PKlPlN2at6native12_GLOBAL__N_18offset_tEEE10hipError_tPvRmT1_PNSt15iterator_traitsIS13_E10value_typeET2_T3_PNS14_IS19_E10value_typeET4_jRbjT5_S1F_jjP12ihipStream_tbEUljE_ZNSN_ISO_Lb1ESR_SS_SU_SV_SZ_EES10_S11_S12_S13_S17_S18_S19_S1C_S1D_jS1E_jS1F_S1F_jjS1H_bEUljE0_EEES10_S11_S12_S19_S1D_S1F_T6_T7_T9_mT8_S1H_bDpT10_ENKUlT_T0_E_clISt17integral_constantIbLb0EES1V_EEDaS1Q_S1R_EUlS1Q_E_NS1_11comp_targetILNS1_3genE4ELNS1_11target_archE910ELNS1_3gpuE8ELNS1_3repE0EEENS1_30default_config_static_selectorELNS0_4arch9wavefront6targetE0EEEvS13_,comdat
	.globl	_ZN7rocprim17ROCPRIM_400000_NS6detail17trampoline_kernelINS0_13select_configILj256ELj13ELNS0_17block_load_methodE3ELS4_3ELS4_3ELNS0_20block_scan_algorithmE0ELj4294967295EEENS1_25partition_config_selectorILNS1_17partition_subalgoE4EjNS0_10empty_typeEbEEZZNS1_14partition_implILS8_4ELb0ES6_15HIP_vector_typeIjLj2EENS0_17counting_iteratorIjlEEPS9_SG_NS0_5tupleIJPjSI_NS0_16reverse_iteratorISI_EEEEENSH_IJSG_SG_SG_EEES9_SI_JZNS1_25segmented_radix_sort_implINS0_14default_configELb1EPK6__halfPSP_PKlPlN2at6native12_GLOBAL__N_18offset_tEEE10hipError_tPvRmT1_PNSt15iterator_traitsIS13_E10value_typeET2_T3_PNS14_IS19_E10value_typeET4_jRbjT5_S1F_jjP12ihipStream_tbEUljE_ZNSN_ISO_Lb1ESR_SS_SU_SV_SZ_EES10_S11_S12_S13_S17_S18_S19_S1C_S1D_jS1E_jS1F_S1F_jjS1H_bEUljE0_EEES10_S11_S12_S19_S1D_S1F_T6_T7_T9_mT8_S1H_bDpT10_ENKUlT_T0_E_clISt17integral_constantIbLb0EES1V_EEDaS1Q_S1R_EUlS1Q_E_NS1_11comp_targetILNS1_3genE4ELNS1_11target_archE910ELNS1_3gpuE8ELNS1_3repE0EEENS1_30default_config_static_selectorELNS0_4arch9wavefront6targetE0EEEvS13_ ; -- Begin function _ZN7rocprim17ROCPRIM_400000_NS6detail17trampoline_kernelINS0_13select_configILj256ELj13ELNS0_17block_load_methodE3ELS4_3ELS4_3ELNS0_20block_scan_algorithmE0ELj4294967295EEENS1_25partition_config_selectorILNS1_17partition_subalgoE4EjNS0_10empty_typeEbEEZZNS1_14partition_implILS8_4ELb0ES6_15HIP_vector_typeIjLj2EENS0_17counting_iteratorIjlEEPS9_SG_NS0_5tupleIJPjSI_NS0_16reverse_iteratorISI_EEEEENSH_IJSG_SG_SG_EEES9_SI_JZNS1_25segmented_radix_sort_implINS0_14default_configELb1EPK6__halfPSP_PKlPlN2at6native12_GLOBAL__N_18offset_tEEE10hipError_tPvRmT1_PNSt15iterator_traitsIS13_E10value_typeET2_T3_PNS14_IS19_E10value_typeET4_jRbjT5_S1F_jjP12ihipStream_tbEUljE_ZNSN_ISO_Lb1ESR_SS_SU_SV_SZ_EES10_S11_S12_S13_S17_S18_S19_S1C_S1D_jS1E_jS1F_S1F_jjS1H_bEUljE0_EEES10_S11_S12_S19_S1D_S1F_T6_T7_T9_mT8_S1H_bDpT10_ENKUlT_T0_E_clISt17integral_constantIbLb0EES1V_EEDaS1Q_S1R_EUlS1Q_E_NS1_11comp_targetILNS1_3genE4ELNS1_11target_archE910ELNS1_3gpuE8ELNS1_3repE0EEENS1_30default_config_static_selectorELNS0_4arch9wavefront6targetE0EEEvS13_
	.p2align	8
	.type	_ZN7rocprim17ROCPRIM_400000_NS6detail17trampoline_kernelINS0_13select_configILj256ELj13ELNS0_17block_load_methodE3ELS4_3ELS4_3ELNS0_20block_scan_algorithmE0ELj4294967295EEENS1_25partition_config_selectorILNS1_17partition_subalgoE4EjNS0_10empty_typeEbEEZZNS1_14partition_implILS8_4ELb0ES6_15HIP_vector_typeIjLj2EENS0_17counting_iteratorIjlEEPS9_SG_NS0_5tupleIJPjSI_NS0_16reverse_iteratorISI_EEEEENSH_IJSG_SG_SG_EEES9_SI_JZNS1_25segmented_radix_sort_implINS0_14default_configELb1EPK6__halfPSP_PKlPlN2at6native12_GLOBAL__N_18offset_tEEE10hipError_tPvRmT1_PNSt15iterator_traitsIS13_E10value_typeET2_T3_PNS14_IS19_E10value_typeET4_jRbjT5_S1F_jjP12ihipStream_tbEUljE_ZNSN_ISO_Lb1ESR_SS_SU_SV_SZ_EES10_S11_S12_S13_S17_S18_S19_S1C_S1D_jS1E_jS1F_S1F_jjS1H_bEUljE0_EEES10_S11_S12_S19_S1D_S1F_T6_T7_T9_mT8_S1H_bDpT10_ENKUlT_T0_E_clISt17integral_constantIbLb0EES1V_EEDaS1Q_S1R_EUlS1Q_E_NS1_11comp_targetILNS1_3genE4ELNS1_11target_archE910ELNS1_3gpuE8ELNS1_3repE0EEENS1_30default_config_static_selectorELNS0_4arch9wavefront6targetE0EEEvS13_,@function
_ZN7rocprim17ROCPRIM_400000_NS6detail17trampoline_kernelINS0_13select_configILj256ELj13ELNS0_17block_load_methodE3ELS4_3ELS4_3ELNS0_20block_scan_algorithmE0ELj4294967295EEENS1_25partition_config_selectorILNS1_17partition_subalgoE4EjNS0_10empty_typeEbEEZZNS1_14partition_implILS8_4ELb0ES6_15HIP_vector_typeIjLj2EENS0_17counting_iteratorIjlEEPS9_SG_NS0_5tupleIJPjSI_NS0_16reverse_iteratorISI_EEEEENSH_IJSG_SG_SG_EEES9_SI_JZNS1_25segmented_radix_sort_implINS0_14default_configELb1EPK6__halfPSP_PKlPlN2at6native12_GLOBAL__N_18offset_tEEE10hipError_tPvRmT1_PNSt15iterator_traitsIS13_E10value_typeET2_T3_PNS14_IS19_E10value_typeET4_jRbjT5_S1F_jjP12ihipStream_tbEUljE_ZNSN_ISO_Lb1ESR_SS_SU_SV_SZ_EES10_S11_S12_S13_S17_S18_S19_S1C_S1D_jS1E_jS1F_S1F_jjS1H_bEUljE0_EEES10_S11_S12_S19_S1D_S1F_T6_T7_T9_mT8_S1H_bDpT10_ENKUlT_T0_E_clISt17integral_constantIbLb0EES1V_EEDaS1Q_S1R_EUlS1Q_E_NS1_11comp_targetILNS1_3genE4ELNS1_11target_archE910ELNS1_3gpuE8ELNS1_3repE0EEENS1_30default_config_static_selectorELNS0_4arch9wavefront6targetE0EEEvS13_: ; @_ZN7rocprim17ROCPRIM_400000_NS6detail17trampoline_kernelINS0_13select_configILj256ELj13ELNS0_17block_load_methodE3ELS4_3ELS4_3ELNS0_20block_scan_algorithmE0ELj4294967295EEENS1_25partition_config_selectorILNS1_17partition_subalgoE4EjNS0_10empty_typeEbEEZZNS1_14partition_implILS8_4ELb0ES6_15HIP_vector_typeIjLj2EENS0_17counting_iteratorIjlEEPS9_SG_NS0_5tupleIJPjSI_NS0_16reverse_iteratorISI_EEEEENSH_IJSG_SG_SG_EEES9_SI_JZNS1_25segmented_radix_sort_implINS0_14default_configELb1EPK6__halfPSP_PKlPlN2at6native12_GLOBAL__N_18offset_tEEE10hipError_tPvRmT1_PNSt15iterator_traitsIS13_E10value_typeET2_T3_PNS14_IS19_E10value_typeET4_jRbjT5_S1F_jjP12ihipStream_tbEUljE_ZNSN_ISO_Lb1ESR_SS_SU_SV_SZ_EES10_S11_S12_S13_S17_S18_S19_S1C_S1D_jS1E_jS1F_S1F_jjS1H_bEUljE0_EEES10_S11_S12_S19_S1D_S1F_T6_T7_T9_mT8_S1H_bDpT10_ENKUlT_T0_E_clISt17integral_constantIbLb0EES1V_EEDaS1Q_S1R_EUlS1Q_E_NS1_11comp_targetILNS1_3genE4ELNS1_11target_archE910ELNS1_3gpuE8ELNS1_3repE0EEENS1_30default_config_static_selectorELNS0_4arch9wavefront6targetE0EEEvS13_
; %bb.0:
	.section	.rodata,"a",@progbits
	.p2align	6, 0x0
	.amdhsa_kernel _ZN7rocprim17ROCPRIM_400000_NS6detail17trampoline_kernelINS0_13select_configILj256ELj13ELNS0_17block_load_methodE3ELS4_3ELS4_3ELNS0_20block_scan_algorithmE0ELj4294967295EEENS1_25partition_config_selectorILNS1_17partition_subalgoE4EjNS0_10empty_typeEbEEZZNS1_14partition_implILS8_4ELb0ES6_15HIP_vector_typeIjLj2EENS0_17counting_iteratorIjlEEPS9_SG_NS0_5tupleIJPjSI_NS0_16reverse_iteratorISI_EEEEENSH_IJSG_SG_SG_EEES9_SI_JZNS1_25segmented_radix_sort_implINS0_14default_configELb1EPK6__halfPSP_PKlPlN2at6native12_GLOBAL__N_18offset_tEEE10hipError_tPvRmT1_PNSt15iterator_traitsIS13_E10value_typeET2_T3_PNS14_IS19_E10value_typeET4_jRbjT5_S1F_jjP12ihipStream_tbEUljE_ZNSN_ISO_Lb1ESR_SS_SU_SV_SZ_EES10_S11_S12_S13_S17_S18_S19_S1C_S1D_jS1E_jS1F_S1F_jjS1H_bEUljE0_EEES10_S11_S12_S19_S1D_S1F_T6_T7_T9_mT8_S1H_bDpT10_ENKUlT_T0_E_clISt17integral_constantIbLb0EES1V_EEDaS1Q_S1R_EUlS1Q_E_NS1_11comp_targetILNS1_3genE4ELNS1_11target_archE910ELNS1_3gpuE8ELNS1_3repE0EEENS1_30default_config_static_selectorELNS0_4arch9wavefront6targetE0EEEvS13_
		.amdhsa_group_segment_fixed_size 0
		.amdhsa_private_segment_fixed_size 0
		.amdhsa_kernarg_size 176
		.amdhsa_user_sgpr_count 2
		.amdhsa_user_sgpr_dispatch_ptr 0
		.amdhsa_user_sgpr_queue_ptr 0
		.amdhsa_user_sgpr_kernarg_segment_ptr 1
		.amdhsa_user_sgpr_dispatch_id 0
		.amdhsa_user_sgpr_private_segment_size 0
		.amdhsa_wavefront_size32 1
		.amdhsa_uses_dynamic_stack 0
		.amdhsa_enable_private_segment 0
		.amdhsa_system_sgpr_workgroup_id_x 1
		.amdhsa_system_sgpr_workgroup_id_y 0
		.amdhsa_system_sgpr_workgroup_id_z 0
		.amdhsa_system_sgpr_workgroup_info 0
		.amdhsa_system_vgpr_workitem_id 0
		.amdhsa_next_free_vgpr 1
		.amdhsa_next_free_sgpr 1
		.amdhsa_reserve_vcc 0
		.amdhsa_float_round_mode_32 0
		.amdhsa_float_round_mode_16_64 0
		.amdhsa_float_denorm_mode_32 3
		.amdhsa_float_denorm_mode_16_64 3
		.amdhsa_fp16_overflow 0
		.amdhsa_workgroup_processor_mode 1
		.amdhsa_memory_ordered 1
		.amdhsa_forward_progress 1
		.amdhsa_inst_pref_size 0
		.amdhsa_round_robin_scheduling 0
		.amdhsa_exception_fp_ieee_invalid_op 0
		.amdhsa_exception_fp_denorm_src 0
		.amdhsa_exception_fp_ieee_div_zero 0
		.amdhsa_exception_fp_ieee_overflow 0
		.amdhsa_exception_fp_ieee_underflow 0
		.amdhsa_exception_fp_ieee_inexact 0
		.amdhsa_exception_int_div_zero 0
	.end_amdhsa_kernel
	.section	.text._ZN7rocprim17ROCPRIM_400000_NS6detail17trampoline_kernelINS0_13select_configILj256ELj13ELNS0_17block_load_methodE3ELS4_3ELS4_3ELNS0_20block_scan_algorithmE0ELj4294967295EEENS1_25partition_config_selectorILNS1_17partition_subalgoE4EjNS0_10empty_typeEbEEZZNS1_14partition_implILS8_4ELb0ES6_15HIP_vector_typeIjLj2EENS0_17counting_iteratorIjlEEPS9_SG_NS0_5tupleIJPjSI_NS0_16reverse_iteratorISI_EEEEENSH_IJSG_SG_SG_EEES9_SI_JZNS1_25segmented_radix_sort_implINS0_14default_configELb1EPK6__halfPSP_PKlPlN2at6native12_GLOBAL__N_18offset_tEEE10hipError_tPvRmT1_PNSt15iterator_traitsIS13_E10value_typeET2_T3_PNS14_IS19_E10value_typeET4_jRbjT5_S1F_jjP12ihipStream_tbEUljE_ZNSN_ISO_Lb1ESR_SS_SU_SV_SZ_EES10_S11_S12_S13_S17_S18_S19_S1C_S1D_jS1E_jS1F_S1F_jjS1H_bEUljE0_EEES10_S11_S12_S19_S1D_S1F_T6_T7_T9_mT8_S1H_bDpT10_ENKUlT_T0_E_clISt17integral_constantIbLb0EES1V_EEDaS1Q_S1R_EUlS1Q_E_NS1_11comp_targetILNS1_3genE4ELNS1_11target_archE910ELNS1_3gpuE8ELNS1_3repE0EEENS1_30default_config_static_selectorELNS0_4arch9wavefront6targetE0EEEvS13_,"axG",@progbits,_ZN7rocprim17ROCPRIM_400000_NS6detail17trampoline_kernelINS0_13select_configILj256ELj13ELNS0_17block_load_methodE3ELS4_3ELS4_3ELNS0_20block_scan_algorithmE0ELj4294967295EEENS1_25partition_config_selectorILNS1_17partition_subalgoE4EjNS0_10empty_typeEbEEZZNS1_14partition_implILS8_4ELb0ES6_15HIP_vector_typeIjLj2EENS0_17counting_iteratorIjlEEPS9_SG_NS0_5tupleIJPjSI_NS0_16reverse_iteratorISI_EEEEENSH_IJSG_SG_SG_EEES9_SI_JZNS1_25segmented_radix_sort_implINS0_14default_configELb1EPK6__halfPSP_PKlPlN2at6native12_GLOBAL__N_18offset_tEEE10hipError_tPvRmT1_PNSt15iterator_traitsIS13_E10value_typeET2_T3_PNS14_IS19_E10value_typeET4_jRbjT5_S1F_jjP12ihipStream_tbEUljE_ZNSN_ISO_Lb1ESR_SS_SU_SV_SZ_EES10_S11_S12_S13_S17_S18_S19_S1C_S1D_jS1E_jS1F_S1F_jjS1H_bEUljE0_EEES10_S11_S12_S19_S1D_S1F_T6_T7_T9_mT8_S1H_bDpT10_ENKUlT_T0_E_clISt17integral_constantIbLb0EES1V_EEDaS1Q_S1R_EUlS1Q_E_NS1_11comp_targetILNS1_3genE4ELNS1_11target_archE910ELNS1_3gpuE8ELNS1_3repE0EEENS1_30default_config_static_selectorELNS0_4arch9wavefront6targetE0EEEvS13_,comdat
.Lfunc_end1677:
	.size	_ZN7rocprim17ROCPRIM_400000_NS6detail17trampoline_kernelINS0_13select_configILj256ELj13ELNS0_17block_load_methodE3ELS4_3ELS4_3ELNS0_20block_scan_algorithmE0ELj4294967295EEENS1_25partition_config_selectorILNS1_17partition_subalgoE4EjNS0_10empty_typeEbEEZZNS1_14partition_implILS8_4ELb0ES6_15HIP_vector_typeIjLj2EENS0_17counting_iteratorIjlEEPS9_SG_NS0_5tupleIJPjSI_NS0_16reverse_iteratorISI_EEEEENSH_IJSG_SG_SG_EEES9_SI_JZNS1_25segmented_radix_sort_implINS0_14default_configELb1EPK6__halfPSP_PKlPlN2at6native12_GLOBAL__N_18offset_tEEE10hipError_tPvRmT1_PNSt15iterator_traitsIS13_E10value_typeET2_T3_PNS14_IS19_E10value_typeET4_jRbjT5_S1F_jjP12ihipStream_tbEUljE_ZNSN_ISO_Lb1ESR_SS_SU_SV_SZ_EES10_S11_S12_S13_S17_S18_S19_S1C_S1D_jS1E_jS1F_S1F_jjS1H_bEUljE0_EEES10_S11_S12_S19_S1D_S1F_T6_T7_T9_mT8_S1H_bDpT10_ENKUlT_T0_E_clISt17integral_constantIbLb0EES1V_EEDaS1Q_S1R_EUlS1Q_E_NS1_11comp_targetILNS1_3genE4ELNS1_11target_archE910ELNS1_3gpuE8ELNS1_3repE0EEENS1_30default_config_static_selectorELNS0_4arch9wavefront6targetE0EEEvS13_, .Lfunc_end1677-_ZN7rocprim17ROCPRIM_400000_NS6detail17trampoline_kernelINS0_13select_configILj256ELj13ELNS0_17block_load_methodE3ELS4_3ELS4_3ELNS0_20block_scan_algorithmE0ELj4294967295EEENS1_25partition_config_selectorILNS1_17partition_subalgoE4EjNS0_10empty_typeEbEEZZNS1_14partition_implILS8_4ELb0ES6_15HIP_vector_typeIjLj2EENS0_17counting_iteratorIjlEEPS9_SG_NS0_5tupleIJPjSI_NS0_16reverse_iteratorISI_EEEEENSH_IJSG_SG_SG_EEES9_SI_JZNS1_25segmented_radix_sort_implINS0_14default_configELb1EPK6__halfPSP_PKlPlN2at6native12_GLOBAL__N_18offset_tEEE10hipError_tPvRmT1_PNSt15iterator_traitsIS13_E10value_typeET2_T3_PNS14_IS19_E10value_typeET4_jRbjT5_S1F_jjP12ihipStream_tbEUljE_ZNSN_ISO_Lb1ESR_SS_SU_SV_SZ_EES10_S11_S12_S13_S17_S18_S19_S1C_S1D_jS1E_jS1F_S1F_jjS1H_bEUljE0_EEES10_S11_S12_S19_S1D_S1F_T6_T7_T9_mT8_S1H_bDpT10_ENKUlT_T0_E_clISt17integral_constantIbLb0EES1V_EEDaS1Q_S1R_EUlS1Q_E_NS1_11comp_targetILNS1_3genE4ELNS1_11target_archE910ELNS1_3gpuE8ELNS1_3repE0EEENS1_30default_config_static_selectorELNS0_4arch9wavefront6targetE0EEEvS13_
                                        ; -- End function
	.set _ZN7rocprim17ROCPRIM_400000_NS6detail17trampoline_kernelINS0_13select_configILj256ELj13ELNS0_17block_load_methodE3ELS4_3ELS4_3ELNS0_20block_scan_algorithmE0ELj4294967295EEENS1_25partition_config_selectorILNS1_17partition_subalgoE4EjNS0_10empty_typeEbEEZZNS1_14partition_implILS8_4ELb0ES6_15HIP_vector_typeIjLj2EENS0_17counting_iteratorIjlEEPS9_SG_NS0_5tupleIJPjSI_NS0_16reverse_iteratorISI_EEEEENSH_IJSG_SG_SG_EEES9_SI_JZNS1_25segmented_radix_sort_implINS0_14default_configELb1EPK6__halfPSP_PKlPlN2at6native12_GLOBAL__N_18offset_tEEE10hipError_tPvRmT1_PNSt15iterator_traitsIS13_E10value_typeET2_T3_PNS14_IS19_E10value_typeET4_jRbjT5_S1F_jjP12ihipStream_tbEUljE_ZNSN_ISO_Lb1ESR_SS_SU_SV_SZ_EES10_S11_S12_S13_S17_S18_S19_S1C_S1D_jS1E_jS1F_S1F_jjS1H_bEUljE0_EEES10_S11_S12_S19_S1D_S1F_T6_T7_T9_mT8_S1H_bDpT10_ENKUlT_T0_E_clISt17integral_constantIbLb0EES1V_EEDaS1Q_S1R_EUlS1Q_E_NS1_11comp_targetILNS1_3genE4ELNS1_11target_archE910ELNS1_3gpuE8ELNS1_3repE0EEENS1_30default_config_static_selectorELNS0_4arch9wavefront6targetE0EEEvS13_.num_vgpr, 0
	.set _ZN7rocprim17ROCPRIM_400000_NS6detail17trampoline_kernelINS0_13select_configILj256ELj13ELNS0_17block_load_methodE3ELS4_3ELS4_3ELNS0_20block_scan_algorithmE0ELj4294967295EEENS1_25partition_config_selectorILNS1_17partition_subalgoE4EjNS0_10empty_typeEbEEZZNS1_14partition_implILS8_4ELb0ES6_15HIP_vector_typeIjLj2EENS0_17counting_iteratorIjlEEPS9_SG_NS0_5tupleIJPjSI_NS0_16reverse_iteratorISI_EEEEENSH_IJSG_SG_SG_EEES9_SI_JZNS1_25segmented_radix_sort_implINS0_14default_configELb1EPK6__halfPSP_PKlPlN2at6native12_GLOBAL__N_18offset_tEEE10hipError_tPvRmT1_PNSt15iterator_traitsIS13_E10value_typeET2_T3_PNS14_IS19_E10value_typeET4_jRbjT5_S1F_jjP12ihipStream_tbEUljE_ZNSN_ISO_Lb1ESR_SS_SU_SV_SZ_EES10_S11_S12_S13_S17_S18_S19_S1C_S1D_jS1E_jS1F_S1F_jjS1H_bEUljE0_EEES10_S11_S12_S19_S1D_S1F_T6_T7_T9_mT8_S1H_bDpT10_ENKUlT_T0_E_clISt17integral_constantIbLb0EES1V_EEDaS1Q_S1R_EUlS1Q_E_NS1_11comp_targetILNS1_3genE4ELNS1_11target_archE910ELNS1_3gpuE8ELNS1_3repE0EEENS1_30default_config_static_selectorELNS0_4arch9wavefront6targetE0EEEvS13_.num_agpr, 0
	.set _ZN7rocprim17ROCPRIM_400000_NS6detail17trampoline_kernelINS0_13select_configILj256ELj13ELNS0_17block_load_methodE3ELS4_3ELS4_3ELNS0_20block_scan_algorithmE0ELj4294967295EEENS1_25partition_config_selectorILNS1_17partition_subalgoE4EjNS0_10empty_typeEbEEZZNS1_14partition_implILS8_4ELb0ES6_15HIP_vector_typeIjLj2EENS0_17counting_iteratorIjlEEPS9_SG_NS0_5tupleIJPjSI_NS0_16reverse_iteratorISI_EEEEENSH_IJSG_SG_SG_EEES9_SI_JZNS1_25segmented_radix_sort_implINS0_14default_configELb1EPK6__halfPSP_PKlPlN2at6native12_GLOBAL__N_18offset_tEEE10hipError_tPvRmT1_PNSt15iterator_traitsIS13_E10value_typeET2_T3_PNS14_IS19_E10value_typeET4_jRbjT5_S1F_jjP12ihipStream_tbEUljE_ZNSN_ISO_Lb1ESR_SS_SU_SV_SZ_EES10_S11_S12_S13_S17_S18_S19_S1C_S1D_jS1E_jS1F_S1F_jjS1H_bEUljE0_EEES10_S11_S12_S19_S1D_S1F_T6_T7_T9_mT8_S1H_bDpT10_ENKUlT_T0_E_clISt17integral_constantIbLb0EES1V_EEDaS1Q_S1R_EUlS1Q_E_NS1_11comp_targetILNS1_3genE4ELNS1_11target_archE910ELNS1_3gpuE8ELNS1_3repE0EEENS1_30default_config_static_selectorELNS0_4arch9wavefront6targetE0EEEvS13_.numbered_sgpr, 0
	.set _ZN7rocprim17ROCPRIM_400000_NS6detail17trampoline_kernelINS0_13select_configILj256ELj13ELNS0_17block_load_methodE3ELS4_3ELS4_3ELNS0_20block_scan_algorithmE0ELj4294967295EEENS1_25partition_config_selectorILNS1_17partition_subalgoE4EjNS0_10empty_typeEbEEZZNS1_14partition_implILS8_4ELb0ES6_15HIP_vector_typeIjLj2EENS0_17counting_iteratorIjlEEPS9_SG_NS0_5tupleIJPjSI_NS0_16reverse_iteratorISI_EEEEENSH_IJSG_SG_SG_EEES9_SI_JZNS1_25segmented_radix_sort_implINS0_14default_configELb1EPK6__halfPSP_PKlPlN2at6native12_GLOBAL__N_18offset_tEEE10hipError_tPvRmT1_PNSt15iterator_traitsIS13_E10value_typeET2_T3_PNS14_IS19_E10value_typeET4_jRbjT5_S1F_jjP12ihipStream_tbEUljE_ZNSN_ISO_Lb1ESR_SS_SU_SV_SZ_EES10_S11_S12_S13_S17_S18_S19_S1C_S1D_jS1E_jS1F_S1F_jjS1H_bEUljE0_EEES10_S11_S12_S19_S1D_S1F_T6_T7_T9_mT8_S1H_bDpT10_ENKUlT_T0_E_clISt17integral_constantIbLb0EES1V_EEDaS1Q_S1R_EUlS1Q_E_NS1_11comp_targetILNS1_3genE4ELNS1_11target_archE910ELNS1_3gpuE8ELNS1_3repE0EEENS1_30default_config_static_selectorELNS0_4arch9wavefront6targetE0EEEvS13_.num_named_barrier, 0
	.set _ZN7rocprim17ROCPRIM_400000_NS6detail17trampoline_kernelINS0_13select_configILj256ELj13ELNS0_17block_load_methodE3ELS4_3ELS4_3ELNS0_20block_scan_algorithmE0ELj4294967295EEENS1_25partition_config_selectorILNS1_17partition_subalgoE4EjNS0_10empty_typeEbEEZZNS1_14partition_implILS8_4ELb0ES6_15HIP_vector_typeIjLj2EENS0_17counting_iteratorIjlEEPS9_SG_NS0_5tupleIJPjSI_NS0_16reverse_iteratorISI_EEEEENSH_IJSG_SG_SG_EEES9_SI_JZNS1_25segmented_radix_sort_implINS0_14default_configELb1EPK6__halfPSP_PKlPlN2at6native12_GLOBAL__N_18offset_tEEE10hipError_tPvRmT1_PNSt15iterator_traitsIS13_E10value_typeET2_T3_PNS14_IS19_E10value_typeET4_jRbjT5_S1F_jjP12ihipStream_tbEUljE_ZNSN_ISO_Lb1ESR_SS_SU_SV_SZ_EES10_S11_S12_S13_S17_S18_S19_S1C_S1D_jS1E_jS1F_S1F_jjS1H_bEUljE0_EEES10_S11_S12_S19_S1D_S1F_T6_T7_T9_mT8_S1H_bDpT10_ENKUlT_T0_E_clISt17integral_constantIbLb0EES1V_EEDaS1Q_S1R_EUlS1Q_E_NS1_11comp_targetILNS1_3genE4ELNS1_11target_archE910ELNS1_3gpuE8ELNS1_3repE0EEENS1_30default_config_static_selectorELNS0_4arch9wavefront6targetE0EEEvS13_.private_seg_size, 0
	.set _ZN7rocprim17ROCPRIM_400000_NS6detail17trampoline_kernelINS0_13select_configILj256ELj13ELNS0_17block_load_methodE3ELS4_3ELS4_3ELNS0_20block_scan_algorithmE0ELj4294967295EEENS1_25partition_config_selectorILNS1_17partition_subalgoE4EjNS0_10empty_typeEbEEZZNS1_14partition_implILS8_4ELb0ES6_15HIP_vector_typeIjLj2EENS0_17counting_iteratorIjlEEPS9_SG_NS0_5tupleIJPjSI_NS0_16reverse_iteratorISI_EEEEENSH_IJSG_SG_SG_EEES9_SI_JZNS1_25segmented_radix_sort_implINS0_14default_configELb1EPK6__halfPSP_PKlPlN2at6native12_GLOBAL__N_18offset_tEEE10hipError_tPvRmT1_PNSt15iterator_traitsIS13_E10value_typeET2_T3_PNS14_IS19_E10value_typeET4_jRbjT5_S1F_jjP12ihipStream_tbEUljE_ZNSN_ISO_Lb1ESR_SS_SU_SV_SZ_EES10_S11_S12_S13_S17_S18_S19_S1C_S1D_jS1E_jS1F_S1F_jjS1H_bEUljE0_EEES10_S11_S12_S19_S1D_S1F_T6_T7_T9_mT8_S1H_bDpT10_ENKUlT_T0_E_clISt17integral_constantIbLb0EES1V_EEDaS1Q_S1R_EUlS1Q_E_NS1_11comp_targetILNS1_3genE4ELNS1_11target_archE910ELNS1_3gpuE8ELNS1_3repE0EEENS1_30default_config_static_selectorELNS0_4arch9wavefront6targetE0EEEvS13_.uses_vcc, 0
	.set _ZN7rocprim17ROCPRIM_400000_NS6detail17trampoline_kernelINS0_13select_configILj256ELj13ELNS0_17block_load_methodE3ELS4_3ELS4_3ELNS0_20block_scan_algorithmE0ELj4294967295EEENS1_25partition_config_selectorILNS1_17partition_subalgoE4EjNS0_10empty_typeEbEEZZNS1_14partition_implILS8_4ELb0ES6_15HIP_vector_typeIjLj2EENS0_17counting_iteratorIjlEEPS9_SG_NS0_5tupleIJPjSI_NS0_16reverse_iteratorISI_EEEEENSH_IJSG_SG_SG_EEES9_SI_JZNS1_25segmented_radix_sort_implINS0_14default_configELb1EPK6__halfPSP_PKlPlN2at6native12_GLOBAL__N_18offset_tEEE10hipError_tPvRmT1_PNSt15iterator_traitsIS13_E10value_typeET2_T3_PNS14_IS19_E10value_typeET4_jRbjT5_S1F_jjP12ihipStream_tbEUljE_ZNSN_ISO_Lb1ESR_SS_SU_SV_SZ_EES10_S11_S12_S13_S17_S18_S19_S1C_S1D_jS1E_jS1F_S1F_jjS1H_bEUljE0_EEES10_S11_S12_S19_S1D_S1F_T6_T7_T9_mT8_S1H_bDpT10_ENKUlT_T0_E_clISt17integral_constantIbLb0EES1V_EEDaS1Q_S1R_EUlS1Q_E_NS1_11comp_targetILNS1_3genE4ELNS1_11target_archE910ELNS1_3gpuE8ELNS1_3repE0EEENS1_30default_config_static_selectorELNS0_4arch9wavefront6targetE0EEEvS13_.uses_flat_scratch, 0
	.set _ZN7rocprim17ROCPRIM_400000_NS6detail17trampoline_kernelINS0_13select_configILj256ELj13ELNS0_17block_load_methodE3ELS4_3ELS4_3ELNS0_20block_scan_algorithmE0ELj4294967295EEENS1_25partition_config_selectorILNS1_17partition_subalgoE4EjNS0_10empty_typeEbEEZZNS1_14partition_implILS8_4ELb0ES6_15HIP_vector_typeIjLj2EENS0_17counting_iteratorIjlEEPS9_SG_NS0_5tupleIJPjSI_NS0_16reverse_iteratorISI_EEEEENSH_IJSG_SG_SG_EEES9_SI_JZNS1_25segmented_radix_sort_implINS0_14default_configELb1EPK6__halfPSP_PKlPlN2at6native12_GLOBAL__N_18offset_tEEE10hipError_tPvRmT1_PNSt15iterator_traitsIS13_E10value_typeET2_T3_PNS14_IS19_E10value_typeET4_jRbjT5_S1F_jjP12ihipStream_tbEUljE_ZNSN_ISO_Lb1ESR_SS_SU_SV_SZ_EES10_S11_S12_S13_S17_S18_S19_S1C_S1D_jS1E_jS1F_S1F_jjS1H_bEUljE0_EEES10_S11_S12_S19_S1D_S1F_T6_T7_T9_mT8_S1H_bDpT10_ENKUlT_T0_E_clISt17integral_constantIbLb0EES1V_EEDaS1Q_S1R_EUlS1Q_E_NS1_11comp_targetILNS1_3genE4ELNS1_11target_archE910ELNS1_3gpuE8ELNS1_3repE0EEENS1_30default_config_static_selectorELNS0_4arch9wavefront6targetE0EEEvS13_.has_dyn_sized_stack, 0
	.set _ZN7rocprim17ROCPRIM_400000_NS6detail17trampoline_kernelINS0_13select_configILj256ELj13ELNS0_17block_load_methodE3ELS4_3ELS4_3ELNS0_20block_scan_algorithmE0ELj4294967295EEENS1_25partition_config_selectorILNS1_17partition_subalgoE4EjNS0_10empty_typeEbEEZZNS1_14partition_implILS8_4ELb0ES6_15HIP_vector_typeIjLj2EENS0_17counting_iteratorIjlEEPS9_SG_NS0_5tupleIJPjSI_NS0_16reverse_iteratorISI_EEEEENSH_IJSG_SG_SG_EEES9_SI_JZNS1_25segmented_radix_sort_implINS0_14default_configELb1EPK6__halfPSP_PKlPlN2at6native12_GLOBAL__N_18offset_tEEE10hipError_tPvRmT1_PNSt15iterator_traitsIS13_E10value_typeET2_T3_PNS14_IS19_E10value_typeET4_jRbjT5_S1F_jjP12ihipStream_tbEUljE_ZNSN_ISO_Lb1ESR_SS_SU_SV_SZ_EES10_S11_S12_S13_S17_S18_S19_S1C_S1D_jS1E_jS1F_S1F_jjS1H_bEUljE0_EEES10_S11_S12_S19_S1D_S1F_T6_T7_T9_mT8_S1H_bDpT10_ENKUlT_T0_E_clISt17integral_constantIbLb0EES1V_EEDaS1Q_S1R_EUlS1Q_E_NS1_11comp_targetILNS1_3genE4ELNS1_11target_archE910ELNS1_3gpuE8ELNS1_3repE0EEENS1_30default_config_static_selectorELNS0_4arch9wavefront6targetE0EEEvS13_.has_recursion, 0
	.set _ZN7rocprim17ROCPRIM_400000_NS6detail17trampoline_kernelINS0_13select_configILj256ELj13ELNS0_17block_load_methodE3ELS4_3ELS4_3ELNS0_20block_scan_algorithmE0ELj4294967295EEENS1_25partition_config_selectorILNS1_17partition_subalgoE4EjNS0_10empty_typeEbEEZZNS1_14partition_implILS8_4ELb0ES6_15HIP_vector_typeIjLj2EENS0_17counting_iteratorIjlEEPS9_SG_NS0_5tupleIJPjSI_NS0_16reverse_iteratorISI_EEEEENSH_IJSG_SG_SG_EEES9_SI_JZNS1_25segmented_radix_sort_implINS0_14default_configELb1EPK6__halfPSP_PKlPlN2at6native12_GLOBAL__N_18offset_tEEE10hipError_tPvRmT1_PNSt15iterator_traitsIS13_E10value_typeET2_T3_PNS14_IS19_E10value_typeET4_jRbjT5_S1F_jjP12ihipStream_tbEUljE_ZNSN_ISO_Lb1ESR_SS_SU_SV_SZ_EES10_S11_S12_S13_S17_S18_S19_S1C_S1D_jS1E_jS1F_S1F_jjS1H_bEUljE0_EEES10_S11_S12_S19_S1D_S1F_T6_T7_T9_mT8_S1H_bDpT10_ENKUlT_T0_E_clISt17integral_constantIbLb0EES1V_EEDaS1Q_S1R_EUlS1Q_E_NS1_11comp_targetILNS1_3genE4ELNS1_11target_archE910ELNS1_3gpuE8ELNS1_3repE0EEENS1_30default_config_static_selectorELNS0_4arch9wavefront6targetE0EEEvS13_.has_indirect_call, 0
	.section	.AMDGPU.csdata,"",@progbits
; Kernel info:
; codeLenInByte = 0
; TotalNumSgprs: 0
; NumVgprs: 0
; ScratchSize: 0
; MemoryBound: 0
; FloatMode: 240
; IeeeMode: 1
; LDSByteSize: 0 bytes/workgroup (compile time only)
; SGPRBlocks: 0
; VGPRBlocks: 0
; NumSGPRsForWavesPerEU: 1
; NumVGPRsForWavesPerEU: 1
; Occupancy: 16
; WaveLimiterHint : 0
; COMPUTE_PGM_RSRC2:SCRATCH_EN: 0
; COMPUTE_PGM_RSRC2:USER_SGPR: 2
; COMPUTE_PGM_RSRC2:TRAP_HANDLER: 0
; COMPUTE_PGM_RSRC2:TGID_X_EN: 1
; COMPUTE_PGM_RSRC2:TGID_Y_EN: 0
; COMPUTE_PGM_RSRC2:TGID_Z_EN: 0
; COMPUTE_PGM_RSRC2:TIDIG_COMP_CNT: 0
	.section	.text._ZN7rocprim17ROCPRIM_400000_NS6detail17trampoline_kernelINS0_13select_configILj256ELj13ELNS0_17block_load_methodE3ELS4_3ELS4_3ELNS0_20block_scan_algorithmE0ELj4294967295EEENS1_25partition_config_selectorILNS1_17partition_subalgoE4EjNS0_10empty_typeEbEEZZNS1_14partition_implILS8_4ELb0ES6_15HIP_vector_typeIjLj2EENS0_17counting_iteratorIjlEEPS9_SG_NS0_5tupleIJPjSI_NS0_16reverse_iteratorISI_EEEEENSH_IJSG_SG_SG_EEES9_SI_JZNS1_25segmented_radix_sort_implINS0_14default_configELb1EPK6__halfPSP_PKlPlN2at6native12_GLOBAL__N_18offset_tEEE10hipError_tPvRmT1_PNSt15iterator_traitsIS13_E10value_typeET2_T3_PNS14_IS19_E10value_typeET4_jRbjT5_S1F_jjP12ihipStream_tbEUljE_ZNSN_ISO_Lb1ESR_SS_SU_SV_SZ_EES10_S11_S12_S13_S17_S18_S19_S1C_S1D_jS1E_jS1F_S1F_jjS1H_bEUljE0_EEES10_S11_S12_S19_S1D_S1F_T6_T7_T9_mT8_S1H_bDpT10_ENKUlT_T0_E_clISt17integral_constantIbLb0EES1V_EEDaS1Q_S1R_EUlS1Q_E_NS1_11comp_targetILNS1_3genE3ELNS1_11target_archE908ELNS1_3gpuE7ELNS1_3repE0EEENS1_30default_config_static_selectorELNS0_4arch9wavefront6targetE0EEEvS13_,"axG",@progbits,_ZN7rocprim17ROCPRIM_400000_NS6detail17trampoline_kernelINS0_13select_configILj256ELj13ELNS0_17block_load_methodE3ELS4_3ELS4_3ELNS0_20block_scan_algorithmE0ELj4294967295EEENS1_25partition_config_selectorILNS1_17partition_subalgoE4EjNS0_10empty_typeEbEEZZNS1_14partition_implILS8_4ELb0ES6_15HIP_vector_typeIjLj2EENS0_17counting_iteratorIjlEEPS9_SG_NS0_5tupleIJPjSI_NS0_16reverse_iteratorISI_EEEEENSH_IJSG_SG_SG_EEES9_SI_JZNS1_25segmented_radix_sort_implINS0_14default_configELb1EPK6__halfPSP_PKlPlN2at6native12_GLOBAL__N_18offset_tEEE10hipError_tPvRmT1_PNSt15iterator_traitsIS13_E10value_typeET2_T3_PNS14_IS19_E10value_typeET4_jRbjT5_S1F_jjP12ihipStream_tbEUljE_ZNSN_ISO_Lb1ESR_SS_SU_SV_SZ_EES10_S11_S12_S13_S17_S18_S19_S1C_S1D_jS1E_jS1F_S1F_jjS1H_bEUljE0_EEES10_S11_S12_S19_S1D_S1F_T6_T7_T9_mT8_S1H_bDpT10_ENKUlT_T0_E_clISt17integral_constantIbLb0EES1V_EEDaS1Q_S1R_EUlS1Q_E_NS1_11comp_targetILNS1_3genE3ELNS1_11target_archE908ELNS1_3gpuE7ELNS1_3repE0EEENS1_30default_config_static_selectorELNS0_4arch9wavefront6targetE0EEEvS13_,comdat
	.globl	_ZN7rocprim17ROCPRIM_400000_NS6detail17trampoline_kernelINS0_13select_configILj256ELj13ELNS0_17block_load_methodE3ELS4_3ELS4_3ELNS0_20block_scan_algorithmE0ELj4294967295EEENS1_25partition_config_selectorILNS1_17partition_subalgoE4EjNS0_10empty_typeEbEEZZNS1_14partition_implILS8_4ELb0ES6_15HIP_vector_typeIjLj2EENS0_17counting_iteratorIjlEEPS9_SG_NS0_5tupleIJPjSI_NS0_16reverse_iteratorISI_EEEEENSH_IJSG_SG_SG_EEES9_SI_JZNS1_25segmented_radix_sort_implINS0_14default_configELb1EPK6__halfPSP_PKlPlN2at6native12_GLOBAL__N_18offset_tEEE10hipError_tPvRmT1_PNSt15iterator_traitsIS13_E10value_typeET2_T3_PNS14_IS19_E10value_typeET4_jRbjT5_S1F_jjP12ihipStream_tbEUljE_ZNSN_ISO_Lb1ESR_SS_SU_SV_SZ_EES10_S11_S12_S13_S17_S18_S19_S1C_S1D_jS1E_jS1F_S1F_jjS1H_bEUljE0_EEES10_S11_S12_S19_S1D_S1F_T6_T7_T9_mT8_S1H_bDpT10_ENKUlT_T0_E_clISt17integral_constantIbLb0EES1V_EEDaS1Q_S1R_EUlS1Q_E_NS1_11comp_targetILNS1_3genE3ELNS1_11target_archE908ELNS1_3gpuE7ELNS1_3repE0EEENS1_30default_config_static_selectorELNS0_4arch9wavefront6targetE0EEEvS13_ ; -- Begin function _ZN7rocprim17ROCPRIM_400000_NS6detail17trampoline_kernelINS0_13select_configILj256ELj13ELNS0_17block_load_methodE3ELS4_3ELS4_3ELNS0_20block_scan_algorithmE0ELj4294967295EEENS1_25partition_config_selectorILNS1_17partition_subalgoE4EjNS0_10empty_typeEbEEZZNS1_14partition_implILS8_4ELb0ES6_15HIP_vector_typeIjLj2EENS0_17counting_iteratorIjlEEPS9_SG_NS0_5tupleIJPjSI_NS0_16reverse_iteratorISI_EEEEENSH_IJSG_SG_SG_EEES9_SI_JZNS1_25segmented_radix_sort_implINS0_14default_configELb1EPK6__halfPSP_PKlPlN2at6native12_GLOBAL__N_18offset_tEEE10hipError_tPvRmT1_PNSt15iterator_traitsIS13_E10value_typeET2_T3_PNS14_IS19_E10value_typeET4_jRbjT5_S1F_jjP12ihipStream_tbEUljE_ZNSN_ISO_Lb1ESR_SS_SU_SV_SZ_EES10_S11_S12_S13_S17_S18_S19_S1C_S1D_jS1E_jS1F_S1F_jjS1H_bEUljE0_EEES10_S11_S12_S19_S1D_S1F_T6_T7_T9_mT8_S1H_bDpT10_ENKUlT_T0_E_clISt17integral_constantIbLb0EES1V_EEDaS1Q_S1R_EUlS1Q_E_NS1_11comp_targetILNS1_3genE3ELNS1_11target_archE908ELNS1_3gpuE7ELNS1_3repE0EEENS1_30default_config_static_selectorELNS0_4arch9wavefront6targetE0EEEvS13_
	.p2align	8
	.type	_ZN7rocprim17ROCPRIM_400000_NS6detail17trampoline_kernelINS0_13select_configILj256ELj13ELNS0_17block_load_methodE3ELS4_3ELS4_3ELNS0_20block_scan_algorithmE0ELj4294967295EEENS1_25partition_config_selectorILNS1_17partition_subalgoE4EjNS0_10empty_typeEbEEZZNS1_14partition_implILS8_4ELb0ES6_15HIP_vector_typeIjLj2EENS0_17counting_iteratorIjlEEPS9_SG_NS0_5tupleIJPjSI_NS0_16reverse_iteratorISI_EEEEENSH_IJSG_SG_SG_EEES9_SI_JZNS1_25segmented_radix_sort_implINS0_14default_configELb1EPK6__halfPSP_PKlPlN2at6native12_GLOBAL__N_18offset_tEEE10hipError_tPvRmT1_PNSt15iterator_traitsIS13_E10value_typeET2_T3_PNS14_IS19_E10value_typeET4_jRbjT5_S1F_jjP12ihipStream_tbEUljE_ZNSN_ISO_Lb1ESR_SS_SU_SV_SZ_EES10_S11_S12_S13_S17_S18_S19_S1C_S1D_jS1E_jS1F_S1F_jjS1H_bEUljE0_EEES10_S11_S12_S19_S1D_S1F_T6_T7_T9_mT8_S1H_bDpT10_ENKUlT_T0_E_clISt17integral_constantIbLb0EES1V_EEDaS1Q_S1R_EUlS1Q_E_NS1_11comp_targetILNS1_3genE3ELNS1_11target_archE908ELNS1_3gpuE7ELNS1_3repE0EEENS1_30default_config_static_selectorELNS0_4arch9wavefront6targetE0EEEvS13_,@function
_ZN7rocprim17ROCPRIM_400000_NS6detail17trampoline_kernelINS0_13select_configILj256ELj13ELNS0_17block_load_methodE3ELS4_3ELS4_3ELNS0_20block_scan_algorithmE0ELj4294967295EEENS1_25partition_config_selectorILNS1_17partition_subalgoE4EjNS0_10empty_typeEbEEZZNS1_14partition_implILS8_4ELb0ES6_15HIP_vector_typeIjLj2EENS0_17counting_iteratorIjlEEPS9_SG_NS0_5tupleIJPjSI_NS0_16reverse_iteratorISI_EEEEENSH_IJSG_SG_SG_EEES9_SI_JZNS1_25segmented_radix_sort_implINS0_14default_configELb1EPK6__halfPSP_PKlPlN2at6native12_GLOBAL__N_18offset_tEEE10hipError_tPvRmT1_PNSt15iterator_traitsIS13_E10value_typeET2_T3_PNS14_IS19_E10value_typeET4_jRbjT5_S1F_jjP12ihipStream_tbEUljE_ZNSN_ISO_Lb1ESR_SS_SU_SV_SZ_EES10_S11_S12_S13_S17_S18_S19_S1C_S1D_jS1E_jS1F_S1F_jjS1H_bEUljE0_EEES10_S11_S12_S19_S1D_S1F_T6_T7_T9_mT8_S1H_bDpT10_ENKUlT_T0_E_clISt17integral_constantIbLb0EES1V_EEDaS1Q_S1R_EUlS1Q_E_NS1_11comp_targetILNS1_3genE3ELNS1_11target_archE908ELNS1_3gpuE7ELNS1_3repE0EEENS1_30default_config_static_selectorELNS0_4arch9wavefront6targetE0EEEvS13_: ; @_ZN7rocprim17ROCPRIM_400000_NS6detail17trampoline_kernelINS0_13select_configILj256ELj13ELNS0_17block_load_methodE3ELS4_3ELS4_3ELNS0_20block_scan_algorithmE0ELj4294967295EEENS1_25partition_config_selectorILNS1_17partition_subalgoE4EjNS0_10empty_typeEbEEZZNS1_14partition_implILS8_4ELb0ES6_15HIP_vector_typeIjLj2EENS0_17counting_iteratorIjlEEPS9_SG_NS0_5tupleIJPjSI_NS0_16reverse_iteratorISI_EEEEENSH_IJSG_SG_SG_EEES9_SI_JZNS1_25segmented_radix_sort_implINS0_14default_configELb1EPK6__halfPSP_PKlPlN2at6native12_GLOBAL__N_18offset_tEEE10hipError_tPvRmT1_PNSt15iterator_traitsIS13_E10value_typeET2_T3_PNS14_IS19_E10value_typeET4_jRbjT5_S1F_jjP12ihipStream_tbEUljE_ZNSN_ISO_Lb1ESR_SS_SU_SV_SZ_EES10_S11_S12_S13_S17_S18_S19_S1C_S1D_jS1E_jS1F_S1F_jjS1H_bEUljE0_EEES10_S11_S12_S19_S1D_S1F_T6_T7_T9_mT8_S1H_bDpT10_ENKUlT_T0_E_clISt17integral_constantIbLb0EES1V_EEDaS1Q_S1R_EUlS1Q_E_NS1_11comp_targetILNS1_3genE3ELNS1_11target_archE908ELNS1_3gpuE7ELNS1_3repE0EEENS1_30default_config_static_selectorELNS0_4arch9wavefront6targetE0EEEvS13_
; %bb.0:
	.section	.rodata,"a",@progbits
	.p2align	6, 0x0
	.amdhsa_kernel _ZN7rocprim17ROCPRIM_400000_NS6detail17trampoline_kernelINS0_13select_configILj256ELj13ELNS0_17block_load_methodE3ELS4_3ELS4_3ELNS0_20block_scan_algorithmE0ELj4294967295EEENS1_25partition_config_selectorILNS1_17partition_subalgoE4EjNS0_10empty_typeEbEEZZNS1_14partition_implILS8_4ELb0ES6_15HIP_vector_typeIjLj2EENS0_17counting_iteratorIjlEEPS9_SG_NS0_5tupleIJPjSI_NS0_16reverse_iteratorISI_EEEEENSH_IJSG_SG_SG_EEES9_SI_JZNS1_25segmented_radix_sort_implINS0_14default_configELb1EPK6__halfPSP_PKlPlN2at6native12_GLOBAL__N_18offset_tEEE10hipError_tPvRmT1_PNSt15iterator_traitsIS13_E10value_typeET2_T3_PNS14_IS19_E10value_typeET4_jRbjT5_S1F_jjP12ihipStream_tbEUljE_ZNSN_ISO_Lb1ESR_SS_SU_SV_SZ_EES10_S11_S12_S13_S17_S18_S19_S1C_S1D_jS1E_jS1F_S1F_jjS1H_bEUljE0_EEES10_S11_S12_S19_S1D_S1F_T6_T7_T9_mT8_S1H_bDpT10_ENKUlT_T0_E_clISt17integral_constantIbLb0EES1V_EEDaS1Q_S1R_EUlS1Q_E_NS1_11comp_targetILNS1_3genE3ELNS1_11target_archE908ELNS1_3gpuE7ELNS1_3repE0EEENS1_30default_config_static_selectorELNS0_4arch9wavefront6targetE0EEEvS13_
		.amdhsa_group_segment_fixed_size 0
		.amdhsa_private_segment_fixed_size 0
		.amdhsa_kernarg_size 176
		.amdhsa_user_sgpr_count 2
		.amdhsa_user_sgpr_dispatch_ptr 0
		.amdhsa_user_sgpr_queue_ptr 0
		.amdhsa_user_sgpr_kernarg_segment_ptr 1
		.amdhsa_user_sgpr_dispatch_id 0
		.amdhsa_user_sgpr_private_segment_size 0
		.amdhsa_wavefront_size32 1
		.amdhsa_uses_dynamic_stack 0
		.amdhsa_enable_private_segment 0
		.amdhsa_system_sgpr_workgroup_id_x 1
		.amdhsa_system_sgpr_workgroup_id_y 0
		.amdhsa_system_sgpr_workgroup_id_z 0
		.amdhsa_system_sgpr_workgroup_info 0
		.amdhsa_system_vgpr_workitem_id 0
		.amdhsa_next_free_vgpr 1
		.amdhsa_next_free_sgpr 1
		.amdhsa_reserve_vcc 0
		.amdhsa_float_round_mode_32 0
		.amdhsa_float_round_mode_16_64 0
		.amdhsa_float_denorm_mode_32 3
		.amdhsa_float_denorm_mode_16_64 3
		.amdhsa_fp16_overflow 0
		.amdhsa_workgroup_processor_mode 1
		.amdhsa_memory_ordered 1
		.amdhsa_forward_progress 1
		.amdhsa_inst_pref_size 0
		.amdhsa_round_robin_scheduling 0
		.amdhsa_exception_fp_ieee_invalid_op 0
		.amdhsa_exception_fp_denorm_src 0
		.amdhsa_exception_fp_ieee_div_zero 0
		.amdhsa_exception_fp_ieee_overflow 0
		.amdhsa_exception_fp_ieee_underflow 0
		.amdhsa_exception_fp_ieee_inexact 0
		.amdhsa_exception_int_div_zero 0
	.end_amdhsa_kernel
	.section	.text._ZN7rocprim17ROCPRIM_400000_NS6detail17trampoline_kernelINS0_13select_configILj256ELj13ELNS0_17block_load_methodE3ELS4_3ELS4_3ELNS0_20block_scan_algorithmE0ELj4294967295EEENS1_25partition_config_selectorILNS1_17partition_subalgoE4EjNS0_10empty_typeEbEEZZNS1_14partition_implILS8_4ELb0ES6_15HIP_vector_typeIjLj2EENS0_17counting_iteratorIjlEEPS9_SG_NS0_5tupleIJPjSI_NS0_16reverse_iteratorISI_EEEEENSH_IJSG_SG_SG_EEES9_SI_JZNS1_25segmented_radix_sort_implINS0_14default_configELb1EPK6__halfPSP_PKlPlN2at6native12_GLOBAL__N_18offset_tEEE10hipError_tPvRmT1_PNSt15iterator_traitsIS13_E10value_typeET2_T3_PNS14_IS19_E10value_typeET4_jRbjT5_S1F_jjP12ihipStream_tbEUljE_ZNSN_ISO_Lb1ESR_SS_SU_SV_SZ_EES10_S11_S12_S13_S17_S18_S19_S1C_S1D_jS1E_jS1F_S1F_jjS1H_bEUljE0_EEES10_S11_S12_S19_S1D_S1F_T6_T7_T9_mT8_S1H_bDpT10_ENKUlT_T0_E_clISt17integral_constantIbLb0EES1V_EEDaS1Q_S1R_EUlS1Q_E_NS1_11comp_targetILNS1_3genE3ELNS1_11target_archE908ELNS1_3gpuE7ELNS1_3repE0EEENS1_30default_config_static_selectorELNS0_4arch9wavefront6targetE0EEEvS13_,"axG",@progbits,_ZN7rocprim17ROCPRIM_400000_NS6detail17trampoline_kernelINS0_13select_configILj256ELj13ELNS0_17block_load_methodE3ELS4_3ELS4_3ELNS0_20block_scan_algorithmE0ELj4294967295EEENS1_25partition_config_selectorILNS1_17partition_subalgoE4EjNS0_10empty_typeEbEEZZNS1_14partition_implILS8_4ELb0ES6_15HIP_vector_typeIjLj2EENS0_17counting_iteratorIjlEEPS9_SG_NS0_5tupleIJPjSI_NS0_16reverse_iteratorISI_EEEEENSH_IJSG_SG_SG_EEES9_SI_JZNS1_25segmented_radix_sort_implINS0_14default_configELb1EPK6__halfPSP_PKlPlN2at6native12_GLOBAL__N_18offset_tEEE10hipError_tPvRmT1_PNSt15iterator_traitsIS13_E10value_typeET2_T3_PNS14_IS19_E10value_typeET4_jRbjT5_S1F_jjP12ihipStream_tbEUljE_ZNSN_ISO_Lb1ESR_SS_SU_SV_SZ_EES10_S11_S12_S13_S17_S18_S19_S1C_S1D_jS1E_jS1F_S1F_jjS1H_bEUljE0_EEES10_S11_S12_S19_S1D_S1F_T6_T7_T9_mT8_S1H_bDpT10_ENKUlT_T0_E_clISt17integral_constantIbLb0EES1V_EEDaS1Q_S1R_EUlS1Q_E_NS1_11comp_targetILNS1_3genE3ELNS1_11target_archE908ELNS1_3gpuE7ELNS1_3repE0EEENS1_30default_config_static_selectorELNS0_4arch9wavefront6targetE0EEEvS13_,comdat
.Lfunc_end1678:
	.size	_ZN7rocprim17ROCPRIM_400000_NS6detail17trampoline_kernelINS0_13select_configILj256ELj13ELNS0_17block_load_methodE3ELS4_3ELS4_3ELNS0_20block_scan_algorithmE0ELj4294967295EEENS1_25partition_config_selectorILNS1_17partition_subalgoE4EjNS0_10empty_typeEbEEZZNS1_14partition_implILS8_4ELb0ES6_15HIP_vector_typeIjLj2EENS0_17counting_iteratorIjlEEPS9_SG_NS0_5tupleIJPjSI_NS0_16reverse_iteratorISI_EEEEENSH_IJSG_SG_SG_EEES9_SI_JZNS1_25segmented_radix_sort_implINS0_14default_configELb1EPK6__halfPSP_PKlPlN2at6native12_GLOBAL__N_18offset_tEEE10hipError_tPvRmT1_PNSt15iterator_traitsIS13_E10value_typeET2_T3_PNS14_IS19_E10value_typeET4_jRbjT5_S1F_jjP12ihipStream_tbEUljE_ZNSN_ISO_Lb1ESR_SS_SU_SV_SZ_EES10_S11_S12_S13_S17_S18_S19_S1C_S1D_jS1E_jS1F_S1F_jjS1H_bEUljE0_EEES10_S11_S12_S19_S1D_S1F_T6_T7_T9_mT8_S1H_bDpT10_ENKUlT_T0_E_clISt17integral_constantIbLb0EES1V_EEDaS1Q_S1R_EUlS1Q_E_NS1_11comp_targetILNS1_3genE3ELNS1_11target_archE908ELNS1_3gpuE7ELNS1_3repE0EEENS1_30default_config_static_selectorELNS0_4arch9wavefront6targetE0EEEvS13_, .Lfunc_end1678-_ZN7rocprim17ROCPRIM_400000_NS6detail17trampoline_kernelINS0_13select_configILj256ELj13ELNS0_17block_load_methodE3ELS4_3ELS4_3ELNS0_20block_scan_algorithmE0ELj4294967295EEENS1_25partition_config_selectorILNS1_17partition_subalgoE4EjNS0_10empty_typeEbEEZZNS1_14partition_implILS8_4ELb0ES6_15HIP_vector_typeIjLj2EENS0_17counting_iteratorIjlEEPS9_SG_NS0_5tupleIJPjSI_NS0_16reverse_iteratorISI_EEEEENSH_IJSG_SG_SG_EEES9_SI_JZNS1_25segmented_radix_sort_implINS0_14default_configELb1EPK6__halfPSP_PKlPlN2at6native12_GLOBAL__N_18offset_tEEE10hipError_tPvRmT1_PNSt15iterator_traitsIS13_E10value_typeET2_T3_PNS14_IS19_E10value_typeET4_jRbjT5_S1F_jjP12ihipStream_tbEUljE_ZNSN_ISO_Lb1ESR_SS_SU_SV_SZ_EES10_S11_S12_S13_S17_S18_S19_S1C_S1D_jS1E_jS1F_S1F_jjS1H_bEUljE0_EEES10_S11_S12_S19_S1D_S1F_T6_T7_T9_mT8_S1H_bDpT10_ENKUlT_T0_E_clISt17integral_constantIbLb0EES1V_EEDaS1Q_S1R_EUlS1Q_E_NS1_11comp_targetILNS1_3genE3ELNS1_11target_archE908ELNS1_3gpuE7ELNS1_3repE0EEENS1_30default_config_static_selectorELNS0_4arch9wavefront6targetE0EEEvS13_
                                        ; -- End function
	.set _ZN7rocprim17ROCPRIM_400000_NS6detail17trampoline_kernelINS0_13select_configILj256ELj13ELNS0_17block_load_methodE3ELS4_3ELS4_3ELNS0_20block_scan_algorithmE0ELj4294967295EEENS1_25partition_config_selectorILNS1_17partition_subalgoE4EjNS0_10empty_typeEbEEZZNS1_14partition_implILS8_4ELb0ES6_15HIP_vector_typeIjLj2EENS0_17counting_iteratorIjlEEPS9_SG_NS0_5tupleIJPjSI_NS0_16reverse_iteratorISI_EEEEENSH_IJSG_SG_SG_EEES9_SI_JZNS1_25segmented_radix_sort_implINS0_14default_configELb1EPK6__halfPSP_PKlPlN2at6native12_GLOBAL__N_18offset_tEEE10hipError_tPvRmT1_PNSt15iterator_traitsIS13_E10value_typeET2_T3_PNS14_IS19_E10value_typeET4_jRbjT5_S1F_jjP12ihipStream_tbEUljE_ZNSN_ISO_Lb1ESR_SS_SU_SV_SZ_EES10_S11_S12_S13_S17_S18_S19_S1C_S1D_jS1E_jS1F_S1F_jjS1H_bEUljE0_EEES10_S11_S12_S19_S1D_S1F_T6_T7_T9_mT8_S1H_bDpT10_ENKUlT_T0_E_clISt17integral_constantIbLb0EES1V_EEDaS1Q_S1R_EUlS1Q_E_NS1_11comp_targetILNS1_3genE3ELNS1_11target_archE908ELNS1_3gpuE7ELNS1_3repE0EEENS1_30default_config_static_selectorELNS0_4arch9wavefront6targetE0EEEvS13_.num_vgpr, 0
	.set _ZN7rocprim17ROCPRIM_400000_NS6detail17trampoline_kernelINS0_13select_configILj256ELj13ELNS0_17block_load_methodE3ELS4_3ELS4_3ELNS0_20block_scan_algorithmE0ELj4294967295EEENS1_25partition_config_selectorILNS1_17partition_subalgoE4EjNS0_10empty_typeEbEEZZNS1_14partition_implILS8_4ELb0ES6_15HIP_vector_typeIjLj2EENS0_17counting_iteratorIjlEEPS9_SG_NS0_5tupleIJPjSI_NS0_16reverse_iteratorISI_EEEEENSH_IJSG_SG_SG_EEES9_SI_JZNS1_25segmented_radix_sort_implINS0_14default_configELb1EPK6__halfPSP_PKlPlN2at6native12_GLOBAL__N_18offset_tEEE10hipError_tPvRmT1_PNSt15iterator_traitsIS13_E10value_typeET2_T3_PNS14_IS19_E10value_typeET4_jRbjT5_S1F_jjP12ihipStream_tbEUljE_ZNSN_ISO_Lb1ESR_SS_SU_SV_SZ_EES10_S11_S12_S13_S17_S18_S19_S1C_S1D_jS1E_jS1F_S1F_jjS1H_bEUljE0_EEES10_S11_S12_S19_S1D_S1F_T6_T7_T9_mT8_S1H_bDpT10_ENKUlT_T0_E_clISt17integral_constantIbLb0EES1V_EEDaS1Q_S1R_EUlS1Q_E_NS1_11comp_targetILNS1_3genE3ELNS1_11target_archE908ELNS1_3gpuE7ELNS1_3repE0EEENS1_30default_config_static_selectorELNS0_4arch9wavefront6targetE0EEEvS13_.num_agpr, 0
	.set _ZN7rocprim17ROCPRIM_400000_NS6detail17trampoline_kernelINS0_13select_configILj256ELj13ELNS0_17block_load_methodE3ELS4_3ELS4_3ELNS0_20block_scan_algorithmE0ELj4294967295EEENS1_25partition_config_selectorILNS1_17partition_subalgoE4EjNS0_10empty_typeEbEEZZNS1_14partition_implILS8_4ELb0ES6_15HIP_vector_typeIjLj2EENS0_17counting_iteratorIjlEEPS9_SG_NS0_5tupleIJPjSI_NS0_16reverse_iteratorISI_EEEEENSH_IJSG_SG_SG_EEES9_SI_JZNS1_25segmented_radix_sort_implINS0_14default_configELb1EPK6__halfPSP_PKlPlN2at6native12_GLOBAL__N_18offset_tEEE10hipError_tPvRmT1_PNSt15iterator_traitsIS13_E10value_typeET2_T3_PNS14_IS19_E10value_typeET4_jRbjT5_S1F_jjP12ihipStream_tbEUljE_ZNSN_ISO_Lb1ESR_SS_SU_SV_SZ_EES10_S11_S12_S13_S17_S18_S19_S1C_S1D_jS1E_jS1F_S1F_jjS1H_bEUljE0_EEES10_S11_S12_S19_S1D_S1F_T6_T7_T9_mT8_S1H_bDpT10_ENKUlT_T0_E_clISt17integral_constantIbLb0EES1V_EEDaS1Q_S1R_EUlS1Q_E_NS1_11comp_targetILNS1_3genE3ELNS1_11target_archE908ELNS1_3gpuE7ELNS1_3repE0EEENS1_30default_config_static_selectorELNS0_4arch9wavefront6targetE0EEEvS13_.numbered_sgpr, 0
	.set _ZN7rocprim17ROCPRIM_400000_NS6detail17trampoline_kernelINS0_13select_configILj256ELj13ELNS0_17block_load_methodE3ELS4_3ELS4_3ELNS0_20block_scan_algorithmE0ELj4294967295EEENS1_25partition_config_selectorILNS1_17partition_subalgoE4EjNS0_10empty_typeEbEEZZNS1_14partition_implILS8_4ELb0ES6_15HIP_vector_typeIjLj2EENS0_17counting_iteratorIjlEEPS9_SG_NS0_5tupleIJPjSI_NS0_16reverse_iteratorISI_EEEEENSH_IJSG_SG_SG_EEES9_SI_JZNS1_25segmented_radix_sort_implINS0_14default_configELb1EPK6__halfPSP_PKlPlN2at6native12_GLOBAL__N_18offset_tEEE10hipError_tPvRmT1_PNSt15iterator_traitsIS13_E10value_typeET2_T3_PNS14_IS19_E10value_typeET4_jRbjT5_S1F_jjP12ihipStream_tbEUljE_ZNSN_ISO_Lb1ESR_SS_SU_SV_SZ_EES10_S11_S12_S13_S17_S18_S19_S1C_S1D_jS1E_jS1F_S1F_jjS1H_bEUljE0_EEES10_S11_S12_S19_S1D_S1F_T6_T7_T9_mT8_S1H_bDpT10_ENKUlT_T0_E_clISt17integral_constantIbLb0EES1V_EEDaS1Q_S1R_EUlS1Q_E_NS1_11comp_targetILNS1_3genE3ELNS1_11target_archE908ELNS1_3gpuE7ELNS1_3repE0EEENS1_30default_config_static_selectorELNS0_4arch9wavefront6targetE0EEEvS13_.num_named_barrier, 0
	.set _ZN7rocprim17ROCPRIM_400000_NS6detail17trampoline_kernelINS0_13select_configILj256ELj13ELNS0_17block_load_methodE3ELS4_3ELS4_3ELNS0_20block_scan_algorithmE0ELj4294967295EEENS1_25partition_config_selectorILNS1_17partition_subalgoE4EjNS0_10empty_typeEbEEZZNS1_14partition_implILS8_4ELb0ES6_15HIP_vector_typeIjLj2EENS0_17counting_iteratorIjlEEPS9_SG_NS0_5tupleIJPjSI_NS0_16reverse_iteratorISI_EEEEENSH_IJSG_SG_SG_EEES9_SI_JZNS1_25segmented_radix_sort_implINS0_14default_configELb1EPK6__halfPSP_PKlPlN2at6native12_GLOBAL__N_18offset_tEEE10hipError_tPvRmT1_PNSt15iterator_traitsIS13_E10value_typeET2_T3_PNS14_IS19_E10value_typeET4_jRbjT5_S1F_jjP12ihipStream_tbEUljE_ZNSN_ISO_Lb1ESR_SS_SU_SV_SZ_EES10_S11_S12_S13_S17_S18_S19_S1C_S1D_jS1E_jS1F_S1F_jjS1H_bEUljE0_EEES10_S11_S12_S19_S1D_S1F_T6_T7_T9_mT8_S1H_bDpT10_ENKUlT_T0_E_clISt17integral_constantIbLb0EES1V_EEDaS1Q_S1R_EUlS1Q_E_NS1_11comp_targetILNS1_3genE3ELNS1_11target_archE908ELNS1_3gpuE7ELNS1_3repE0EEENS1_30default_config_static_selectorELNS0_4arch9wavefront6targetE0EEEvS13_.private_seg_size, 0
	.set _ZN7rocprim17ROCPRIM_400000_NS6detail17trampoline_kernelINS0_13select_configILj256ELj13ELNS0_17block_load_methodE3ELS4_3ELS4_3ELNS0_20block_scan_algorithmE0ELj4294967295EEENS1_25partition_config_selectorILNS1_17partition_subalgoE4EjNS0_10empty_typeEbEEZZNS1_14partition_implILS8_4ELb0ES6_15HIP_vector_typeIjLj2EENS0_17counting_iteratorIjlEEPS9_SG_NS0_5tupleIJPjSI_NS0_16reverse_iteratorISI_EEEEENSH_IJSG_SG_SG_EEES9_SI_JZNS1_25segmented_radix_sort_implINS0_14default_configELb1EPK6__halfPSP_PKlPlN2at6native12_GLOBAL__N_18offset_tEEE10hipError_tPvRmT1_PNSt15iterator_traitsIS13_E10value_typeET2_T3_PNS14_IS19_E10value_typeET4_jRbjT5_S1F_jjP12ihipStream_tbEUljE_ZNSN_ISO_Lb1ESR_SS_SU_SV_SZ_EES10_S11_S12_S13_S17_S18_S19_S1C_S1D_jS1E_jS1F_S1F_jjS1H_bEUljE0_EEES10_S11_S12_S19_S1D_S1F_T6_T7_T9_mT8_S1H_bDpT10_ENKUlT_T0_E_clISt17integral_constantIbLb0EES1V_EEDaS1Q_S1R_EUlS1Q_E_NS1_11comp_targetILNS1_3genE3ELNS1_11target_archE908ELNS1_3gpuE7ELNS1_3repE0EEENS1_30default_config_static_selectorELNS0_4arch9wavefront6targetE0EEEvS13_.uses_vcc, 0
	.set _ZN7rocprim17ROCPRIM_400000_NS6detail17trampoline_kernelINS0_13select_configILj256ELj13ELNS0_17block_load_methodE3ELS4_3ELS4_3ELNS0_20block_scan_algorithmE0ELj4294967295EEENS1_25partition_config_selectorILNS1_17partition_subalgoE4EjNS0_10empty_typeEbEEZZNS1_14partition_implILS8_4ELb0ES6_15HIP_vector_typeIjLj2EENS0_17counting_iteratorIjlEEPS9_SG_NS0_5tupleIJPjSI_NS0_16reverse_iteratorISI_EEEEENSH_IJSG_SG_SG_EEES9_SI_JZNS1_25segmented_radix_sort_implINS0_14default_configELb1EPK6__halfPSP_PKlPlN2at6native12_GLOBAL__N_18offset_tEEE10hipError_tPvRmT1_PNSt15iterator_traitsIS13_E10value_typeET2_T3_PNS14_IS19_E10value_typeET4_jRbjT5_S1F_jjP12ihipStream_tbEUljE_ZNSN_ISO_Lb1ESR_SS_SU_SV_SZ_EES10_S11_S12_S13_S17_S18_S19_S1C_S1D_jS1E_jS1F_S1F_jjS1H_bEUljE0_EEES10_S11_S12_S19_S1D_S1F_T6_T7_T9_mT8_S1H_bDpT10_ENKUlT_T0_E_clISt17integral_constantIbLb0EES1V_EEDaS1Q_S1R_EUlS1Q_E_NS1_11comp_targetILNS1_3genE3ELNS1_11target_archE908ELNS1_3gpuE7ELNS1_3repE0EEENS1_30default_config_static_selectorELNS0_4arch9wavefront6targetE0EEEvS13_.uses_flat_scratch, 0
	.set _ZN7rocprim17ROCPRIM_400000_NS6detail17trampoline_kernelINS0_13select_configILj256ELj13ELNS0_17block_load_methodE3ELS4_3ELS4_3ELNS0_20block_scan_algorithmE0ELj4294967295EEENS1_25partition_config_selectorILNS1_17partition_subalgoE4EjNS0_10empty_typeEbEEZZNS1_14partition_implILS8_4ELb0ES6_15HIP_vector_typeIjLj2EENS0_17counting_iteratorIjlEEPS9_SG_NS0_5tupleIJPjSI_NS0_16reverse_iteratorISI_EEEEENSH_IJSG_SG_SG_EEES9_SI_JZNS1_25segmented_radix_sort_implINS0_14default_configELb1EPK6__halfPSP_PKlPlN2at6native12_GLOBAL__N_18offset_tEEE10hipError_tPvRmT1_PNSt15iterator_traitsIS13_E10value_typeET2_T3_PNS14_IS19_E10value_typeET4_jRbjT5_S1F_jjP12ihipStream_tbEUljE_ZNSN_ISO_Lb1ESR_SS_SU_SV_SZ_EES10_S11_S12_S13_S17_S18_S19_S1C_S1D_jS1E_jS1F_S1F_jjS1H_bEUljE0_EEES10_S11_S12_S19_S1D_S1F_T6_T7_T9_mT8_S1H_bDpT10_ENKUlT_T0_E_clISt17integral_constantIbLb0EES1V_EEDaS1Q_S1R_EUlS1Q_E_NS1_11comp_targetILNS1_3genE3ELNS1_11target_archE908ELNS1_3gpuE7ELNS1_3repE0EEENS1_30default_config_static_selectorELNS0_4arch9wavefront6targetE0EEEvS13_.has_dyn_sized_stack, 0
	.set _ZN7rocprim17ROCPRIM_400000_NS6detail17trampoline_kernelINS0_13select_configILj256ELj13ELNS0_17block_load_methodE3ELS4_3ELS4_3ELNS0_20block_scan_algorithmE0ELj4294967295EEENS1_25partition_config_selectorILNS1_17partition_subalgoE4EjNS0_10empty_typeEbEEZZNS1_14partition_implILS8_4ELb0ES6_15HIP_vector_typeIjLj2EENS0_17counting_iteratorIjlEEPS9_SG_NS0_5tupleIJPjSI_NS0_16reverse_iteratorISI_EEEEENSH_IJSG_SG_SG_EEES9_SI_JZNS1_25segmented_radix_sort_implINS0_14default_configELb1EPK6__halfPSP_PKlPlN2at6native12_GLOBAL__N_18offset_tEEE10hipError_tPvRmT1_PNSt15iterator_traitsIS13_E10value_typeET2_T3_PNS14_IS19_E10value_typeET4_jRbjT5_S1F_jjP12ihipStream_tbEUljE_ZNSN_ISO_Lb1ESR_SS_SU_SV_SZ_EES10_S11_S12_S13_S17_S18_S19_S1C_S1D_jS1E_jS1F_S1F_jjS1H_bEUljE0_EEES10_S11_S12_S19_S1D_S1F_T6_T7_T9_mT8_S1H_bDpT10_ENKUlT_T0_E_clISt17integral_constantIbLb0EES1V_EEDaS1Q_S1R_EUlS1Q_E_NS1_11comp_targetILNS1_3genE3ELNS1_11target_archE908ELNS1_3gpuE7ELNS1_3repE0EEENS1_30default_config_static_selectorELNS0_4arch9wavefront6targetE0EEEvS13_.has_recursion, 0
	.set _ZN7rocprim17ROCPRIM_400000_NS6detail17trampoline_kernelINS0_13select_configILj256ELj13ELNS0_17block_load_methodE3ELS4_3ELS4_3ELNS0_20block_scan_algorithmE0ELj4294967295EEENS1_25partition_config_selectorILNS1_17partition_subalgoE4EjNS0_10empty_typeEbEEZZNS1_14partition_implILS8_4ELb0ES6_15HIP_vector_typeIjLj2EENS0_17counting_iteratorIjlEEPS9_SG_NS0_5tupleIJPjSI_NS0_16reverse_iteratorISI_EEEEENSH_IJSG_SG_SG_EEES9_SI_JZNS1_25segmented_radix_sort_implINS0_14default_configELb1EPK6__halfPSP_PKlPlN2at6native12_GLOBAL__N_18offset_tEEE10hipError_tPvRmT1_PNSt15iterator_traitsIS13_E10value_typeET2_T3_PNS14_IS19_E10value_typeET4_jRbjT5_S1F_jjP12ihipStream_tbEUljE_ZNSN_ISO_Lb1ESR_SS_SU_SV_SZ_EES10_S11_S12_S13_S17_S18_S19_S1C_S1D_jS1E_jS1F_S1F_jjS1H_bEUljE0_EEES10_S11_S12_S19_S1D_S1F_T6_T7_T9_mT8_S1H_bDpT10_ENKUlT_T0_E_clISt17integral_constantIbLb0EES1V_EEDaS1Q_S1R_EUlS1Q_E_NS1_11comp_targetILNS1_3genE3ELNS1_11target_archE908ELNS1_3gpuE7ELNS1_3repE0EEENS1_30default_config_static_selectorELNS0_4arch9wavefront6targetE0EEEvS13_.has_indirect_call, 0
	.section	.AMDGPU.csdata,"",@progbits
; Kernel info:
; codeLenInByte = 0
; TotalNumSgprs: 0
; NumVgprs: 0
; ScratchSize: 0
; MemoryBound: 0
; FloatMode: 240
; IeeeMode: 1
; LDSByteSize: 0 bytes/workgroup (compile time only)
; SGPRBlocks: 0
; VGPRBlocks: 0
; NumSGPRsForWavesPerEU: 1
; NumVGPRsForWavesPerEU: 1
; Occupancy: 16
; WaveLimiterHint : 0
; COMPUTE_PGM_RSRC2:SCRATCH_EN: 0
; COMPUTE_PGM_RSRC2:USER_SGPR: 2
; COMPUTE_PGM_RSRC2:TRAP_HANDLER: 0
; COMPUTE_PGM_RSRC2:TGID_X_EN: 1
; COMPUTE_PGM_RSRC2:TGID_Y_EN: 0
; COMPUTE_PGM_RSRC2:TGID_Z_EN: 0
; COMPUTE_PGM_RSRC2:TIDIG_COMP_CNT: 0
	.section	.text._ZN7rocprim17ROCPRIM_400000_NS6detail17trampoline_kernelINS0_13select_configILj256ELj13ELNS0_17block_load_methodE3ELS4_3ELS4_3ELNS0_20block_scan_algorithmE0ELj4294967295EEENS1_25partition_config_selectorILNS1_17partition_subalgoE4EjNS0_10empty_typeEbEEZZNS1_14partition_implILS8_4ELb0ES6_15HIP_vector_typeIjLj2EENS0_17counting_iteratorIjlEEPS9_SG_NS0_5tupleIJPjSI_NS0_16reverse_iteratorISI_EEEEENSH_IJSG_SG_SG_EEES9_SI_JZNS1_25segmented_radix_sort_implINS0_14default_configELb1EPK6__halfPSP_PKlPlN2at6native12_GLOBAL__N_18offset_tEEE10hipError_tPvRmT1_PNSt15iterator_traitsIS13_E10value_typeET2_T3_PNS14_IS19_E10value_typeET4_jRbjT5_S1F_jjP12ihipStream_tbEUljE_ZNSN_ISO_Lb1ESR_SS_SU_SV_SZ_EES10_S11_S12_S13_S17_S18_S19_S1C_S1D_jS1E_jS1F_S1F_jjS1H_bEUljE0_EEES10_S11_S12_S19_S1D_S1F_T6_T7_T9_mT8_S1H_bDpT10_ENKUlT_T0_E_clISt17integral_constantIbLb0EES1V_EEDaS1Q_S1R_EUlS1Q_E_NS1_11comp_targetILNS1_3genE2ELNS1_11target_archE906ELNS1_3gpuE6ELNS1_3repE0EEENS1_30default_config_static_selectorELNS0_4arch9wavefront6targetE0EEEvS13_,"axG",@progbits,_ZN7rocprim17ROCPRIM_400000_NS6detail17trampoline_kernelINS0_13select_configILj256ELj13ELNS0_17block_load_methodE3ELS4_3ELS4_3ELNS0_20block_scan_algorithmE0ELj4294967295EEENS1_25partition_config_selectorILNS1_17partition_subalgoE4EjNS0_10empty_typeEbEEZZNS1_14partition_implILS8_4ELb0ES6_15HIP_vector_typeIjLj2EENS0_17counting_iteratorIjlEEPS9_SG_NS0_5tupleIJPjSI_NS0_16reverse_iteratorISI_EEEEENSH_IJSG_SG_SG_EEES9_SI_JZNS1_25segmented_radix_sort_implINS0_14default_configELb1EPK6__halfPSP_PKlPlN2at6native12_GLOBAL__N_18offset_tEEE10hipError_tPvRmT1_PNSt15iterator_traitsIS13_E10value_typeET2_T3_PNS14_IS19_E10value_typeET4_jRbjT5_S1F_jjP12ihipStream_tbEUljE_ZNSN_ISO_Lb1ESR_SS_SU_SV_SZ_EES10_S11_S12_S13_S17_S18_S19_S1C_S1D_jS1E_jS1F_S1F_jjS1H_bEUljE0_EEES10_S11_S12_S19_S1D_S1F_T6_T7_T9_mT8_S1H_bDpT10_ENKUlT_T0_E_clISt17integral_constantIbLb0EES1V_EEDaS1Q_S1R_EUlS1Q_E_NS1_11comp_targetILNS1_3genE2ELNS1_11target_archE906ELNS1_3gpuE6ELNS1_3repE0EEENS1_30default_config_static_selectorELNS0_4arch9wavefront6targetE0EEEvS13_,comdat
	.globl	_ZN7rocprim17ROCPRIM_400000_NS6detail17trampoline_kernelINS0_13select_configILj256ELj13ELNS0_17block_load_methodE3ELS4_3ELS4_3ELNS0_20block_scan_algorithmE0ELj4294967295EEENS1_25partition_config_selectorILNS1_17partition_subalgoE4EjNS0_10empty_typeEbEEZZNS1_14partition_implILS8_4ELb0ES6_15HIP_vector_typeIjLj2EENS0_17counting_iteratorIjlEEPS9_SG_NS0_5tupleIJPjSI_NS0_16reverse_iteratorISI_EEEEENSH_IJSG_SG_SG_EEES9_SI_JZNS1_25segmented_radix_sort_implINS0_14default_configELb1EPK6__halfPSP_PKlPlN2at6native12_GLOBAL__N_18offset_tEEE10hipError_tPvRmT1_PNSt15iterator_traitsIS13_E10value_typeET2_T3_PNS14_IS19_E10value_typeET4_jRbjT5_S1F_jjP12ihipStream_tbEUljE_ZNSN_ISO_Lb1ESR_SS_SU_SV_SZ_EES10_S11_S12_S13_S17_S18_S19_S1C_S1D_jS1E_jS1F_S1F_jjS1H_bEUljE0_EEES10_S11_S12_S19_S1D_S1F_T6_T7_T9_mT8_S1H_bDpT10_ENKUlT_T0_E_clISt17integral_constantIbLb0EES1V_EEDaS1Q_S1R_EUlS1Q_E_NS1_11comp_targetILNS1_3genE2ELNS1_11target_archE906ELNS1_3gpuE6ELNS1_3repE0EEENS1_30default_config_static_selectorELNS0_4arch9wavefront6targetE0EEEvS13_ ; -- Begin function _ZN7rocprim17ROCPRIM_400000_NS6detail17trampoline_kernelINS0_13select_configILj256ELj13ELNS0_17block_load_methodE3ELS4_3ELS4_3ELNS0_20block_scan_algorithmE0ELj4294967295EEENS1_25partition_config_selectorILNS1_17partition_subalgoE4EjNS0_10empty_typeEbEEZZNS1_14partition_implILS8_4ELb0ES6_15HIP_vector_typeIjLj2EENS0_17counting_iteratorIjlEEPS9_SG_NS0_5tupleIJPjSI_NS0_16reverse_iteratorISI_EEEEENSH_IJSG_SG_SG_EEES9_SI_JZNS1_25segmented_radix_sort_implINS0_14default_configELb1EPK6__halfPSP_PKlPlN2at6native12_GLOBAL__N_18offset_tEEE10hipError_tPvRmT1_PNSt15iterator_traitsIS13_E10value_typeET2_T3_PNS14_IS19_E10value_typeET4_jRbjT5_S1F_jjP12ihipStream_tbEUljE_ZNSN_ISO_Lb1ESR_SS_SU_SV_SZ_EES10_S11_S12_S13_S17_S18_S19_S1C_S1D_jS1E_jS1F_S1F_jjS1H_bEUljE0_EEES10_S11_S12_S19_S1D_S1F_T6_T7_T9_mT8_S1H_bDpT10_ENKUlT_T0_E_clISt17integral_constantIbLb0EES1V_EEDaS1Q_S1R_EUlS1Q_E_NS1_11comp_targetILNS1_3genE2ELNS1_11target_archE906ELNS1_3gpuE6ELNS1_3repE0EEENS1_30default_config_static_selectorELNS0_4arch9wavefront6targetE0EEEvS13_
	.p2align	8
	.type	_ZN7rocprim17ROCPRIM_400000_NS6detail17trampoline_kernelINS0_13select_configILj256ELj13ELNS0_17block_load_methodE3ELS4_3ELS4_3ELNS0_20block_scan_algorithmE0ELj4294967295EEENS1_25partition_config_selectorILNS1_17partition_subalgoE4EjNS0_10empty_typeEbEEZZNS1_14partition_implILS8_4ELb0ES6_15HIP_vector_typeIjLj2EENS0_17counting_iteratorIjlEEPS9_SG_NS0_5tupleIJPjSI_NS0_16reverse_iteratorISI_EEEEENSH_IJSG_SG_SG_EEES9_SI_JZNS1_25segmented_radix_sort_implINS0_14default_configELb1EPK6__halfPSP_PKlPlN2at6native12_GLOBAL__N_18offset_tEEE10hipError_tPvRmT1_PNSt15iterator_traitsIS13_E10value_typeET2_T3_PNS14_IS19_E10value_typeET4_jRbjT5_S1F_jjP12ihipStream_tbEUljE_ZNSN_ISO_Lb1ESR_SS_SU_SV_SZ_EES10_S11_S12_S13_S17_S18_S19_S1C_S1D_jS1E_jS1F_S1F_jjS1H_bEUljE0_EEES10_S11_S12_S19_S1D_S1F_T6_T7_T9_mT8_S1H_bDpT10_ENKUlT_T0_E_clISt17integral_constantIbLb0EES1V_EEDaS1Q_S1R_EUlS1Q_E_NS1_11comp_targetILNS1_3genE2ELNS1_11target_archE906ELNS1_3gpuE6ELNS1_3repE0EEENS1_30default_config_static_selectorELNS0_4arch9wavefront6targetE0EEEvS13_,@function
_ZN7rocprim17ROCPRIM_400000_NS6detail17trampoline_kernelINS0_13select_configILj256ELj13ELNS0_17block_load_methodE3ELS4_3ELS4_3ELNS0_20block_scan_algorithmE0ELj4294967295EEENS1_25partition_config_selectorILNS1_17partition_subalgoE4EjNS0_10empty_typeEbEEZZNS1_14partition_implILS8_4ELb0ES6_15HIP_vector_typeIjLj2EENS0_17counting_iteratorIjlEEPS9_SG_NS0_5tupleIJPjSI_NS0_16reverse_iteratorISI_EEEEENSH_IJSG_SG_SG_EEES9_SI_JZNS1_25segmented_radix_sort_implINS0_14default_configELb1EPK6__halfPSP_PKlPlN2at6native12_GLOBAL__N_18offset_tEEE10hipError_tPvRmT1_PNSt15iterator_traitsIS13_E10value_typeET2_T3_PNS14_IS19_E10value_typeET4_jRbjT5_S1F_jjP12ihipStream_tbEUljE_ZNSN_ISO_Lb1ESR_SS_SU_SV_SZ_EES10_S11_S12_S13_S17_S18_S19_S1C_S1D_jS1E_jS1F_S1F_jjS1H_bEUljE0_EEES10_S11_S12_S19_S1D_S1F_T6_T7_T9_mT8_S1H_bDpT10_ENKUlT_T0_E_clISt17integral_constantIbLb0EES1V_EEDaS1Q_S1R_EUlS1Q_E_NS1_11comp_targetILNS1_3genE2ELNS1_11target_archE906ELNS1_3gpuE6ELNS1_3repE0EEENS1_30default_config_static_selectorELNS0_4arch9wavefront6targetE0EEEvS13_: ; @_ZN7rocprim17ROCPRIM_400000_NS6detail17trampoline_kernelINS0_13select_configILj256ELj13ELNS0_17block_load_methodE3ELS4_3ELS4_3ELNS0_20block_scan_algorithmE0ELj4294967295EEENS1_25partition_config_selectorILNS1_17partition_subalgoE4EjNS0_10empty_typeEbEEZZNS1_14partition_implILS8_4ELb0ES6_15HIP_vector_typeIjLj2EENS0_17counting_iteratorIjlEEPS9_SG_NS0_5tupleIJPjSI_NS0_16reverse_iteratorISI_EEEEENSH_IJSG_SG_SG_EEES9_SI_JZNS1_25segmented_radix_sort_implINS0_14default_configELb1EPK6__halfPSP_PKlPlN2at6native12_GLOBAL__N_18offset_tEEE10hipError_tPvRmT1_PNSt15iterator_traitsIS13_E10value_typeET2_T3_PNS14_IS19_E10value_typeET4_jRbjT5_S1F_jjP12ihipStream_tbEUljE_ZNSN_ISO_Lb1ESR_SS_SU_SV_SZ_EES10_S11_S12_S13_S17_S18_S19_S1C_S1D_jS1E_jS1F_S1F_jjS1H_bEUljE0_EEES10_S11_S12_S19_S1D_S1F_T6_T7_T9_mT8_S1H_bDpT10_ENKUlT_T0_E_clISt17integral_constantIbLb0EES1V_EEDaS1Q_S1R_EUlS1Q_E_NS1_11comp_targetILNS1_3genE2ELNS1_11target_archE906ELNS1_3gpuE6ELNS1_3repE0EEENS1_30default_config_static_selectorELNS0_4arch9wavefront6targetE0EEEvS13_
; %bb.0:
	.section	.rodata,"a",@progbits
	.p2align	6, 0x0
	.amdhsa_kernel _ZN7rocprim17ROCPRIM_400000_NS6detail17trampoline_kernelINS0_13select_configILj256ELj13ELNS0_17block_load_methodE3ELS4_3ELS4_3ELNS0_20block_scan_algorithmE0ELj4294967295EEENS1_25partition_config_selectorILNS1_17partition_subalgoE4EjNS0_10empty_typeEbEEZZNS1_14partition_implILS8_4ELb0ES6_15HIP_vector_typeIjLj2EENS0_17counting_iteratorIjlEEPS9_SG_NS0_5tupleIJPjSI_NS0_16reverse_iteratorISI_EEEEENSH_IJSG_SG_SG_EEES9_SI_JZNS1_25segmented_radix_sort_implINS0_14default_configELb1EPK6__halfPSP_PKlPlN2at6native12_GLOBAL__N_18offset_tEEE10hipError_tPvRmT1_PNSt15iterator_traitsIS13_E10value_typeET2_T3_PNS14_IS19_E10value_typeET4_jRbjT5_S1F_jjP12ihipStream_tbEUljE_ZNSN_ISO_Lb1ESR_SS_SU_SV_SZ_EES10_S11_S12_S13_S17_S18_S19_S1C_S1D_jS1E_jS1F_S1F_jjS1H_bEUljE0_EEES10_S11_S12_S19_S1D_S1F_T6_T7_T9_mT8_S1H_bDpT10_ENKUlT_T0_E_clISt17integral_constantIbLb0EES1V_EEDaS1Q_S1R_EUlS1Q_E_NS1_11comp_targetILNS1_3genE2ELNS1_11target_archE906ELNS1_3gpuE6ELNS1_3repE0EEENS1_30default_config_static_selectorELNS0_4arch9wavefront6targetE0EEEvS13_
		.amdhsa_group_segment_fixed_size 0
		.amdhsa_private_segment_fixed_size 0
		.amdhsa_kernarg_size 176
		.amdhsa_user_sgpr_count 2
		.amdhsa_user_sgpr_dispatch_ptr 0
		.amdhsa_user_sgpr_queue_ptr 0
		.amdhsa_user_sgpr_kernarg_segment_ptr 1
		.amdhsa_user_sgpr_dispatch_id 0
		.amdhsa_user_sgpr_private_segment_size 0
		.amdhsa_wavefront_size32 1
		.amdhsa_uses_dynamic_stack 0
		.amdhsa_enable_private_segment 0
		.amdhsa_system_sgpr_workgroup_id_x 1
		.amdhsa_system_sgpr_workgroup_id_y 0
		.amdhsa_system_sgpr_workgroup_id_z 0
		.amdhsa_system_sgpr_workgroup_info 0
		.amdhsa_system_vgpr_workitem_id 0
		.amdhsa_next_free_vgpr 1
		.amdhsa_next_free_sgpr 1
		.amdhsa_reserve_vcc 0
		.amdhsa_float_round_mode_32 0
		.amdhsa_float_round_mode_16_64 0
		.amdhsa_float_denorm_mode_32 3
		.amdhsa_float_denorm_mode_16_64 3
		.amdhsa_fp16_overflow 0
		.amdhsa_workgroup_processor_mode 1
		.amdhsa_memory_ordered 1
		.amdhsa_forward_progress 1
		.amdhsa_inst_pref_size 0
		.amdhsa_round_robin_scheduling 0
		.amdhsa_exception_fp_ieee_invalid_op 0
		.amdhsa_exception_fp_denorm_src 0
		.amdhsa_exception_fp_ieee_div_zero 0
		.amdhsa_exception_fp_ieee_overflow 0
		.amdhsa_exception_fp_ieee_underflow 0
		.amdhsa_exception_fp_ieee_inexact 0
		.amdhsa_exception_int_div_zero 0
	.end_amdhsa_kernel
	.section	.text._ZN7rocprim17ROCPRIM_400000_NS6detail17trampoline_kernelINS0_13select_configILj256ELj13ELNS0_17block_load_methodE3ELS4_3ELS4_3ELNS0_20block_scan_algorithmE0ELj4294967295EEENS1_25partition_config_selectorILNS1_17partition_subalgoE4EjNS0_10empty_typeEbEEZZNS1_14partition_implILS8_4ELb0ES6_15HIP_vector_typeIjLj2EENS0_17counting_iteratorIjlEEPS9_SG_NS0_5tupleIJPjSI_NS0_16reverse_iteratorISI_EEEEENSH_IJSG_SG_SG_EEES9_SI_JZNS1_25segmented_radix_sort_implINS0_14default_configELb1EPK6__halfPSP_PKlPlN2at6native12_GLOBAL__N_18offset_tEEE10hipError_tPvRmT1_PNSt15iterator_traitsIS13_E10value_typeET2_T3_PNS14_IS19_E10value_typeET4_jRbjT5_S1F_jjP12ihipStream_tbEUljE_ZNSN_ISO_Lb1ESR_SS_SU_SV_SZ_EES10_S11_S12_S13_S17_S18_S19_S1C_S1D_jS1E_jS1F_S1F_jjS1H_bEUljE0_EEES10_S11_S12_S19_S1D_S1F_T6_T7_T9_mT8_S1H_bDpT10_ENKUlT_T0_E_clISt17integral_constantIbLb0EES1V_EEDaS1Q_S1R_EUlS1Q_E_NS1_11comp_targetILNS1_3genE2ELNS1_11target_archE906ELNS1_3gpuE6ELNS1_3repE0EEENS1_30default_config_static_selectorELNS0_4arch9wavefront6targetE0EEEvS13_,"axG",@progbits,_ZN7rocprim17ROCPRIM_400000_NS6detail17trampoline_kernelINS0_13select_configILj256ELj13ELNS0_17block_load_methodE3ELS4_3ELS4_3ELNS0_20block_scan_algorithmE0ELj4294967295EEENS1_25partition_config_selectorILNS1_17partition_subalgoE4EjNS0_10empty_typeEbEEZZNS1_14partition_implILS8_4ELb0ES6_15HIP_vector_typeIjLj2EENS0_17counting_iteratorIjlEEPS9_SG_NS0_5tupleIJPjSI_NS0_16reverse_iteratorISI_EEEEENSH_IJSG_SG_SG_EEES9_SI_JZNS1_25segmented_radix_sort_implINS0_14default_configELb1EPK6__halfPSP_PKlPlN2at6native12_GLOBAL__N_18offset_tEEE10hipError_tPvRmT1_PNSt15iterator_traitsIS13_E10value_typeET2_T3_PNS14_IS19_E10value_typeET4_jRbjT5_S1F_jjP12ihipStream_tbEUljE_ZNSN_ISO_Lb1ESR_SS_SU_SV_SZ_EES10_S11_S12_S13_S17_S18_S19_S1C_S1D_jS1E_jS1F_S1F_jjS1H_bEUljE0_EEES10_S11_S12_S19_S1D_S1F_T6_T7_T9_mT8_S1H_bDpT10_ENKUlT_T0_E_clISt17integral_constantIbLb0EES1V_EEDaS1Q_S1R_EUlS1Q_E_NS1_11comp_targetILNS1_3genE2ELNS1_11target_archE906ELNS1_3gpuE6ELNS1_3repE0EEENS1_30default_config_static_selectorELNS0_4arch9wavefront6targetE0EEEvS13_,comdat
.Lfunc_end1679:
	.size	_ZN7rocprim17ROCPRIM_400000_NS6detail17trampoline_kernelINS0_13select_configILj256ELj13ELNS0_17block_load_methodE3ELS4_3ELS4_3ELNS0_20block_scan_algorithmE0ELj4294967295EEENS1_25partition_config_selectorILNS1_17partition_subalgoE4EjNS0_10empty_typeEbEEZZNS1_14partition_implILS8_4ELb0ES6_15HIP_vector_typeIjLj2EENS0_17counting_iteratorIjlEEPS9_SG_NS0_5tupleIJPjSI_NS0_16reverse_iteratorISI_EEEEENSH_IJSG_SG_SG_EEES9_SI_JZNS1_25segmented_radix_sort_implINS0_14default_configELb1EPK6__halfPSP_PKlPlN2at6native12_GLOBAL__N_18offset_tEEE10hipError_tPvRmT1_PNSt15iterator_traitsIS13_E10value_typeET2_T3_PNS14_IS19_E10value_typeET4_jRbjT5_S1F_jjP12ihipStream_tbEUljE_ZNSN_ISO_Lb1ESR_SS_SU_SV_SZ_EES10_S11_S12_S13_S17_S18_S19_S1C_S1D_jS1E_jS1F_S1F_jjS1H_bEUljE0_EEES10_S11_S12_S19_S1D_S1F_T6_T7_T9_mT8_S1H_bDpT10_ENKUlT_T0_E_clISt17integral_constantIbLb0EES1V_EEDaS1Q_S1R_EUlS1Q_E_NS1_11comp_targetILNS1_3genE2ELNS1_11target_archE906ELNS1_3gpuE6ELNS1_3repE0EEENS1_30default_config_static_selectorELNS0_4arch9wavefront6targetE0EEEvS13_, .Lfunc_end1679-_ZN7rocprim17ROCPRIM_400000_NS6detail17trampoline_kernelINS0_13select_configILj256ELj13ELNS0_17block_load_methodE3ELS4_3ELS4_3ELNS0_20block_scan_algorithmE0ELj4294967295EEENS1_25partition_config_selectorILNS1_17partition_subalgoE4EjNS0_10empty_typeEbEEZZNS1_14partition_implILS8_4ELb0ES6_15HIP_vector_typeIjLj2EENS0_17counting_iteratorIjlEEPS9_SG_NS0_5tupleIJPjSI_NS0_16reverse_iteratorISI_EEEEENSH_IJSG_SG_SG_EEES9_SI_JZNS1_25segmented_radix_sort_implINS0_14default_configELb1EPK6__halfPSP_PKlPlN2at6native12_GLOBAL__N_18offset_tEEE10hipError_tPvRmT1_PNSt15iterator_traitsIS13_E10value_typeET2_T3_PNS14_IS19_E10value_typeET4_jRbjT5_S1F_jjP12ihipStream_tbEUljE_ZNSN_ISO_Lb1ESR_SS_SU_SV_SZ_EES10_S11_S12_S13_S17_S18_S19_S1C_S1D_jS1E_jS1F_S1F_jjS1H_bEUljE0_EEES10_S11_S12_S19_S1D_S1F_T6_T7_T9_mT8_S1H_bDpT10_ENKUlT_T0_E_clISt17integral_constantIbLb0EES1V_EEDaS1Q_S1R_EUlS1Q_E_NS1_11comp_targetILNS1_3genE2ELNS1_11target_archE906ELNS1_3gpuE6ELNS1_3repE0EEENS1_30default_config_static_selectorELNS0_4arch9wavefront6targetE0EEEvS13_
                                        ; -- End function
	.set _ZN7rocprim17ROCPRIM_400000_NS6detail17trampoline_kernelINS0_13select_configILj256ELj13ELNS0_17block_load_methodE3ELS4_3ELS4_3ELNS0_20block_scan_algorithmE0ELj4294967295EEENS1_25partition_config_selectorILNS1_17partition_subalgoE4EjNS0_10empty_typeEbEEZZNS1_14partition_implILS8_4ELb0ES6_15HIP_vector_typeIjLj2EENS0_17counting_iteratorIjlEEPS9_SG_NS0_5tupleIJPjSI_NS0_16reverse_iteratorISI_EEEEENSH_IJSG_SG_SG_EEES9_SI_JZNS1_25segmented_radix_sort_implINS0_14default_configELb1EPK6__halfPSP_PKlPlN2at6native12_GLOBAL__N_18offset_tEEE10hipError_tPvRmT1_PNSt15iterator_traitsIS13_E10value_typeET2_T3_PNS14_IS19_E10value_typeET4_jRbjT5_S1F_jjP12ihipStream_tbEUljE_ZNSN_ISO_Lb1ESR_SS_SU_SV_SZ_EES10_S11_S12_S13_S17_S18_S19_S1C_S1D_jS1E_jS1F_S1F_jjS1H_bEUljE0_EEES10_S11_S12_S19_S1D_S1F_T6_T7_T9_mT8_S1H_bDpT10_ENKUlT_T0_E_clISt17integral_constantIbLb0EES1V_EEDaS1Q_S1R_EUlS1Q_E_NS1_11comp_targetILNS1_3genE2ELNS1_11target_archE906ELNS1_3gpuE6ELNS1_3repE0EEENS1_30default_config_static_selectorELNS0_4arch9wavefront6targetE0EEEvS13_.num_vgpr, 0
	.set _ZN7rocprim17ROCPRIM_400000_NS6detail17trampoline_kernelINS0_13select_configILj256ELj13ELNS0_17block_load_methodE3ELS4_3ELS4_3ELNS0_20block_scan_algorithmE0ELj4294967295EEENS1_25partition_config_selectorILNS1_17partition_subalgoE4EjNS0_10empty_typeEbEEZZNS1_14partition_implILS8_4ELb0ES6_15HIP_vector_typeIjLj2EENS0_17counting_iteratorIjlEEPS9_SG_NS0_5tupleIJPjSI_NS0_16reverse_iteratorISI_EEEEENSH_IJSG_SG_SG_EEES9_SI_JZNS1_25segmented_radix_sort_implINS0_14default_configELb1EPK6__halfPSP_PKlPlN2at6native12_GLOBAL__N_18offset_tEEE10hipError_tPvRmT1_PNSt15iterator_traitsIS13_E10value_typeET2_T3_PNS14_IS19_E10value_typeET4_jRbjT5_S1F_jjP12ihipStream_tbEUljE_ZNSN_ISO_Lb1ESR_SS_SU_SV_SZ_EES10_S11_S12_S13_S17_S18_S19_S1C_S1D_jS1E_jS1F_S1F_jjS1H_bEUljE0_EEES10_S11_S12_S19_S1D_S1F_T6_T7_T9_mT8_S1H_bDpT10_ENKUlT_T0_E_clISt17integral_constantIbLb0EES1V_EEDaS1Q_S1R_EUlS1Q_E_NS1_11comp_targetILNS1_3genE2ELNS1_11target_archE906ELNS1_3gpuE6ELNS1_3repE0EEENS1_30default_config_static_selectorELNS0_4arch9wavefront6targetE0EEEvS13_.num_agpr, 0
	.set _ZN7rocprim17ROCPRIM_400000_NS6detail17trampoline_kernelINS0_13select_configILj256ELj13ELNS0_17block_load_methodE3ELS4_3ELS4_3ELNS0_20block_scan_algorithmE0ELj4294967295EEENS1_25partition_config_selectorILNS1_17partition_subalgoE4EjNS0_10empty_typeEbEEZZNS1_14partition_implILS8_4ELb0ES6_15HIP_vector_typeIjLj2EENS0_17counting_iteratorIjlEEPS9_SG_NS0_5tupleIJPjSI_NS0_16reverse_iteratorISI_EEEEENSH_IJSG_SG_SG_EEES9_SI_JZNS1_25segmented_radix_sort_implINS0_14default_configELb1EPK6__halfPSP_PKlPlN2at6native12_GLOBAL__N_18offset_tEEE10hipError_tPvRmT1_PNSt15iterator_traitsIS13_E10value_typeET2_T3_PNS14_IS19_E10value_typeET4_jRbjT5_S1F_jjP12ihipStream_tbEUljE_ZNSN_ISO_Lb1ESR_SS_SU_SV_SZ_EES10_S11_S12_S13_S17_S18_S19_S1C_S1D_jS1E_jS1F_S1F_jjS1H_bEUljE0_EEES10_S11_S12_S19_S1D_S1F_T6_T7_T9_mT8_S1H_bDpT10_ENKUlT_T0_E_clISt17integral_constantIbLb0EES1V_EEDaS1Q_S1R_EUlS1Q_E_NS1_11comp_targetILNS1_3genE2ELNS1_11target_archE906ELNS1_3gpuE6ELNS1_3repE0EEENS1_30default_config_static_selectorELNS0_4arch9wavefront6targetE0EEEvS13_.numbered_sgpr, 0
	.set _ZN7rocprim17ROCPRIM_400000_NS6detail17trampoline_kernelINS0_13select_configILj256ELj13ELNS0_17block_load_methodE3ELS4_3ELS4_3ELNS0_20block_scan_algorithmE0ELj4294967295EEENS1_25partition_config_selectorILNS1_17partition_subalgoE4EjNS0_10empty_typeEbEEZZNS1_14partition_implILS8_4ELb0ES6_15HIP_vector_typeIjLj2EENS0_17counting_iteratorIjlEEPS9_SG_NS0_5tupleIJPjSI_NS0_16reverse_iteratorISI_EEEEENSH_IJSG_SG_SG_EEES9_SI_JZNS1_25segmented_radix_sort_implINS0_14default_configELb1EPK6__halfPSP_PKlPlN2at6native12_GLOBAL__N_18offset_tEEE10hipError_tPvRmT1_PNSt15iterator_traitsIS13_E10value_typeET2_T3_PNS14_IS19_E10value_typeET4_jRbjT5_S1F_jjP12ihipStream_tbEUljE_ZNSN_ISO_Lb1ESR_SS_SU_SV_SZ_EES10_S11_S12_S13_S17_S18_S19_S1C_S1D_jS1E_jS1F_S1F_jjS1H_bEUljE0_EEES10_S11_S12_S19_S1D_S1F_T6_T7_T9_mT8_S1H_bDpT10_ENKUlT_T0_E_clISt17integral_constantIbLb0EES1V_EEDaS1Q_S1R_EUlS1Q_E_NS1_11comp_targetILNS1_3genE2ELNS1_11target_archE906ELNS1_3gpuE6ELNS1_3repE0EEENS1_30default_config_static_selectorELNS0_4arch9wavefront6targetE0EEEvS13_.num_named_barrier, 0
	.set _ZN7rocprim17ROCPRIM_400000_NS6detail17trampoline_kernelINS0_13select_configILj256ELj13ELNS0_17block_load_methodE3ELS4_3ELS4_3ELNS0_20block_scan_algorithmE0ELj4294967295EEENS1_25partition_config_selectorILNS1_17partition_subalgoE4EjNS0_10empty_typeEbEEZZNS1_14partition_implILS8_4ELb0ES6_15HIP_vector_typeIjLj2EENS0_17counting_iteratorIjlEEPS9_SG_NS0_5tupleIJPjSI_NS0_16reverse_iteratorISI_EEEEENSH_IJSG_SG_SG_EEES9_SI_JZNS1_25segmented_radix_sort_implINS0_14default_configELb1EPK6__halfPSP_PKlPlN2at6native12_GLOBAL__N_18offset_tEEE10hipError_tPvRmT1_PNSt15iterator_traitsIS13_E10value_typeET2_T3_PNS14_IS19_E10value_typeET4_jRbjT5_S1F_jjP12ihipStream_tbEUljE_ZNSN_ISO_Lb1ESR_SS_SU_SV_SZ_EES10_S11_S12_S13_S17_S18_S19_S1C_S1D_jS1E_jS1F_S1F_jjS1H_bEUljE0_EEES10_S11_S12_S19_S1D_S1F_T6_T7_T9_mT8_S1H_bDpT10_ENKUlT_T0_E_clISt17integral_constantIbLb0EES1V_EEDaS1Q_S1R_EUlS1Q_E_NS1_11comp_targetILNS1_3genE2ELNS1_11target_archE906ELNS1_3gpuE6ELNS1_3repE0EEENS1_30default_config_static_selectorELNS0_4arch9wavefront6targetE0EEEvS13_.private_seg_size, 0
	.set _ZN7rocprim17ROCPRIM_400000_NS6detail17trampoline_kernelINS0_13select_configILj256ELj13ELNS0_17block_load_methodE3ELS4_3ELS4_3ELNS0_20block_scan_algorithmE0ELj4294967295EEENS1_25partition_config_selectorILNS1_17partition_subalgoE4EjNS0_10empty_typeEbEEZZNS1_14partition_implILS8_4ELb0ES6_15HIP_vector_typeIjLj2EENS0_17counting_iteratorIjlEEPS9_SG_NS0_5tupleIJPjSI_NS0_16reverse_iteratorISI_EEEEENSH_IJSG_SG_SG_EEES9_SI_JZNS1_25segmented_radix_sort_implINS0_14default_configELb1EPK6__halfPSP_PKlPlN2at6native12_GLOBAL__N_18offset_tEEE10hipError_tPvRmT1_PNSt15iterator_traitsIS13_E10value_typeET2_T3_PNS14_IS19_E10value_typeET4_jRbjT5_S1F_jjP12ihipStream_tbEUljE_ZNSN_ISO_Lb1ESR_SS_SU_SV_SZ_EES10_S11_S12_S13_S17_S18_S19_S1C_S1D_jS1E_jS1F_S1F_jjS1H_bEUljE0_EEES10_S11_S12_S19_S1D_S1F_T6_T7_T9_mT8_S1H_bDpT10_ENKUlT_T0_E_clISt17integral_constantIbLb0EES1V_EEDaS1Q_S1R_EUlS1Q_E_NS1_11comp_targetILNS1_3genE2ELNS1_11target_archE906ELNS1_3gpuE6ELNS1_3repE0EEENS1_30default_config_static_selectorELNS0_4arch9wavefront6targetE0EEEvS13_.uses_vcc, 0
	.set _ZN7rocprim17ROCPRIM_400000_NS6detail17trampoline_kernelINS0_13select_configILj256ELj13ELNS0_17block_load_methodE3ELS4_3ELS4_3ELNS0_20block_scan_algorithmE0ELj4294967295EEENS1_25partition_config_selectorILNS1_17partition_subalgoE4EjNS0_10empty_typeEbEEZZNS1_14partition_implILS8_4ELb0ES6_15HIP_vector_typeIjLj2EENS0_17counting_iteratorIjlEEPS9_SG_NS0_5tupleIJPjSI_NS0_16reverse_iteratorISI_EEEEENSH_IJSG_SG_SG_EEES9_SI_JZNS1_25segmented_radix_sort_implINS0_14default_configELb1EPK6__halfPSP_PKlPlN2at6native12_GLOBAL__N_18offset_tEEE10hipError_tPvRmT1_PNSt15iterator_traitsIS13_E10value_typeET2_T3_PNS14_IS19_E10value_typeET4_jRbjT5_S1F_jjP12ihipStream_tbEUljE_ZNSN_ISO_Lb1ESR_SS_SU_SV_SZ_EES10_S11_S12_S13_S17_S18_S19_S1C_S1D_jS1E_jS1F_S1F_jjS1H_bEUljE0_EEES10_S11_S12_S19_S1D_S1F_T6_T7_T9_mT8_S1H_bDpT10_ENKUlT_T0_E_clISt17integral_constantIbLb0EES1V_EEDaS1Q_S1R_EUlS1Q_E_NS1_11comp_targetILNS1_3genE2ELNS1_11target_archE906ELNS1_3gpuE6ELNS1_3repE0EEENS1_30default_config_static_selectorELNS0_4arch9wavefront6targetE0EEEvS13_.uses_flat_scratch, 0
	.set _ZN7rocprim17ROCPRIM_400000_NS6detail17trampoline_kernelINS0_13select_configILj256ELj13ELNS0_17block_load_methodE3ELS4_3ELS4_3ELNS0_20block_scan_algorithmE0ELj4294967295EEENS1_25partition_config_selectorILNS1_17partition_subalgoE4EjNS0_10empty_typeEbEEZZNS1_14partition_implILS8_4ELb0ES6_15HIP_vector_typeIjLj2EENS0_17counting_iteratorIjlEEPS9_SG_NS0_5tupleIJPjSI_NS0_16reverse_iteratorISI_EEEEENSH_IJSG_SG_SG_EEES9_SI_JZNS1_25segmented_radix_sort_implINS0_14default_configELb1EPK6__halfPSP_PKlPlN2at6native12_GLOBAL__N_18offset_tEEE10hipError_tPvRmT1_PNSt15iterator_traitsIS13_E10value_typeET2_T3_PNS14_IS19_E10value_typeET4_jRbjT5_S1F_jjP12ihipStream_tbEUljE_ZNSN_ISO_Lb1ESR_SS_SU_SV_SZ_EES10_S11_S12_S13_S17_S18_S19_S1C_S1D_jS1E_jS1F_S1F_jjS1H_bEUljE0_EEES10_S11_S12_S19_S1D_S1F_T6_T7_T9_mT8_S1H_bDpT10_ENKUlT_T0_E_clISt17integral_constantIbLb0EES1V_EEDaS1Q_S1R_EUlS1Q_E_NS1_11comp_targetILNS1_3genE2ELNS1_11target_archE906ELNS1_3gpuE6ELNS1_3repE0EEENS1_30default_config_static_selectorELNS0_4arch9wavefront6targetE0EEEvS13_.has_dyn_sized_stack, 0
	.set _ZN7rocprim17ROCPRIM_400000_NS6detail17trampoline_kernelINS0_13select_configILj256ELj13ELNS0_17block_load_methodE3ELS4_3ELS4_3ELNS0_20block_scan_algorithmE0ELj4294967295EEENS1_25partition_config_selectorILNS1_17partition_subalgoE4EjNS0_10empty_typeEbEEZZNS1_14partition_implILS8_4ELb0ES6_15HIP_vector_typeIjLj2EENS0_17counting_iteratorIjlEEPS9_SG_NS0_5tupleIJPjSI_NS0_16reverse_iteratorISI_EEEEENSH_IJSG_SG_SG_EEES9_SI_JZNS1_25segmented_radix_sort_implINS0_14default_configELb1EPK6__halfPSP_PKlPlN2at6native12_GLOBAL__N_18offset_tEEE10hipError_tPvRmT1_PNSt15iterator_traitsIS13_E10value_typeET2_T3_PNS14_IS19_E10value_typeET4_jRbjT5_S1F_jjP12ihipStream_tbEUljE_ZNSN_ISO_Lb1ESR_SS_SU_SV_SZ_EES10_S11_S12_S13_S17_S18_S19_S1C_S1D_jS1E_jS1F_S1F_jjS1H_bEUljE0_EEES10_S11_S12_S19_S1D_S1F_T6_T7_T9_mT8_S1H_bDpT10_ENKUlT_T0_E_clISt17integral_constantIbLb0EES1V_EEDaS1Q_S1R_EUlS1Q_E_NS1_11comp_targetILNS1_3genE2ELNS1_11target_archE906ELNS1_3gpuE6ELNS1_3repE0EEENS1_30default_config_static_selectorELNS0_4arch9wavefront6targetE0EEEvS13_.has_recursion, 0
	.set _ZN7rocprim17ROCPRIM_400000_NS6detail17trampoline_kernelINS0_13select_configILj256ELj13ELNS0_17block_load_methodE3ELS4_3ELS4_3ELNS0_20block_scan_algorithmE0ELj4294967295EEENS1_25partition_config_selectorILNS1_17partition_subalgoE4EjNS0_10empty_typeEbEEZZNS1_14partition_implILS8_4ELb0ES6_15HIP_vector_typeIjLj2EENS0_17counting_iteratorIjlEEPS9_SG_NS0_5tupleIJPjSI_NS0_16reverse_iteratorISI_EEEEENSH_IJSG_SG_SG_EEES9_SI_JZNS1_25segmented_radix_sort_implINS0_14default_configELb1EPK6__halfPSP_PKlPlN2at6native12_GLOBAL__N_18offset_tEEE10hipError_tPvRmT1_PNSt15iterator_traitsIS13_E10value_typeET2_T3_PNS14_IS19_E10value_typeET4_jRbjT5_S1F_jjP12ihipStream_tbEUljE_ZNSN_ISO_Lb1ESR_SS_SU_SV_SZ_EES10_S11_S12_S13_S17_S18_S19_S1C_S1D_jS1E_jS1F_S1F_jjS1H_bEUljE0_EEES10_S11_S12_S19_S1D_S1F_T6_T7_T9_mT8_S1H_bDpT10_ENKUlT_T0_E_clISt17integral_constantIbLb0EES1V_EEDaS1Q_S1R_EUlS1Q_E_NS1_11comp_targetILNS1_3genE2ELNS1_11target_archE906ELNS1_3gpuE6ELNS1_3repE0EEENS1_30default_config_static_selectorELNS0_4arch9wavefront6targetE0EEEvS13_.has_indirect_call, 0
	.section	.AMDGPU.csdata,"",@progbits
; Kernel info:
; codeLenInByte = 0
; TotalNumSgprs: 0
; NumVgprs: 0
; ScratchSize: 0
; MemoryBound: 0
; FloatMode: 240
; IeeeMode: 1
; LDSByteSize: 0 bytes/workgroup (compile time only)
; SGPRBlocks: 0
; VGPRBlocks: 0
; NumSGPRsForWavesPerEU: 1
; NumVGPRsForWavesPerEU: 1
; Occupancy: 16
; WaveLimiterHint : 0
; COMPUTE_PGM_RSRC2:SCRATCH_EN: 0
; COMPUTE_PGM_RSRC2:USER_SGPR: 2
; COMPUTE_PGM_RSRC2:TRAP_HANDLER: 0
; COMPUTE_PGM_RSRC2:TGID_X_EN: 1
; COMPUTE_PGM_RSRC2:TGID_Y_EN: 0
; COMPUTE_PGM_RSRC2:TGID_Z_EN: 0
; COMPUTE_PGM_RSRC2:TIDIG_COMP_CNT: 0
	.section	.text._ZN7rocprim17ROCPRIM_400000_NS6detail17trampoline_kernelINS0_13select_configILj256ELj13ELNS0_17block_load_methodE3ELS4_3ELS4_3ELNS0_20block_scan_algorithmE0ELj4294967295EEENS1_25partition_config_selectorILNS1_17partition_subalgoE4EjNS0_10empty_typeEbEEZZNS1_14partition_implILS8_4ELb0ES6_15HIP_vector_typeIjLj2EENS0_17counting_iteratorIjlEEPS9_SG_NS0_5tupleIJPjSI_NS0_16reverse_iteratorISI_EEEEENSH_IJSG_SG_SG_EEES9_SI_JZNS1_25segmented_radix_sort_implINS0_14default_configELb1EPK6__halfPSP_PKlPlN2at6native12_GLOBAL__N_18offset_tEEE10hipError_tPvRmT1_PNSt15iterator_traitsIS13_E10value_typeET2_T3_PNS14_IS19_E10value_typeET4_jRbjT5_S1F_jjP12ihipStream_tbEUljE_ZNSN_ISO_Lb1ESR_SS_SU_SV_SZ_EES10_S11_S12_S13_S17_S18_S19_S1C_S1D_jS1E_jS1F_S1F_jjS1H_bEUljE0_EEES10_S11_S12_S19_S1D_S1F_T6_T7_T9_mT8_S1H_bDpT10_ENKUlT_T0_E_clISt17integral_constantIbLb0EES1V_EEDaS1Q_S1R_EUlS1Q_E_NS1_11comp_targetILNS1_3genE10ELNS1_11target_archE1200ELNS1_3gpuE4ELNS1_3repE0EEENS1_30default_config_static_selectorELNS0_4arch9wavefront6targetE0EEEvS13_,"axG",@progbits,_ZN7rocprim17ROCPRIM_400000_NS6detail17trampoline_kernelINS0_13select_configILj256ELj13ELNS0_17block_load_methodE3ELS4_3ELS4_3ELNS0_20block_scan_algorithmE0ELj4294967295EEENS1_25partition_config_selectorILNS1_17partition_subalgoE4EjNS0_10empty_typeEbEEZZNS1_14partition_implILS8_4ELb0ES6_15HIP_vector_typeIjLj2EENS0_17counting_iteratorIjlEEPS9_SG_NS0_5tupleIJPjSI_NS0_16reverse_iteratorISI_EEEEENSH_IJSG_SG_SG_EEES9_SI_JZNS1_25segmented_radix_sort_implINS0_14default_configELb1EPK6__halfPSP_PKlPlN2at6native12_GLOBAL__N_18offset_tEEE10hipError_tPvRmT1_PNSt15iterator_traitsIS13_E10value_typeET2_T3_PNS14_IS19_E10value_typeET4_jRbjT5_S1F_jjP12ihipStream_tbEUljE_ZNSN_ISO_Lb1ESR_SS_SU_SV_SZ_EES10_S11_S12_S13_S17_S18_S19_S1C_S1D_jS1E_jS1F_S1F_jjS1H_bEUljE0_EEES10_S11_S12_S19_S1D_S1F_T6_T7_T9_mT8_S1H_bDpT10_ENKUlT_T0_E_clISt17integral_constantIbLb0EES1V_EEDaS1Q_S1R_EUlS1Q_E_NS1_11comp_targetILNS1_3genE10ELNS1_11target_archE1200ELNS1_3gpuE4ELNS1_3repE0EEENS1_30default_config_static_selectorELNS0_4arch9wavefront6targetE0EEEvS13_,comdat
	.globl	_ZN7rocprim17ROCPRIM_400000_NS6detail17trampoline_kernelINS0_13select_configILj256ELj13ELNS0_17block_load_methodE3ELS4_3ELS4_3ELNS0_20block_scan_algorithmE0ELj4294967295EEENS1_25partition_config_selectorILNS1_17partition_subalgoE4EjNS0_10empty_typeEbEEZZNS1_14partition_implILS8_4ELb0ES6_15HIP_vector_typeIjLj2EENS0_17counting_iteratorIjlEEPS9_SG_NS0_5tupleIJPjSI_NS0_16reverse_iteratorISI_EEEEENSH_IJSG_SG_SG_EEES9_SI_JZNS1_25segmented_radix_sort_implINS0_14default_configELb1EPK6__halfPSP_PKlPlN2at6native12_GLOBAL__N_18offset_tEEE10hipError_tPvRmT1_PNSt15iterator_traitsIS13_E10value_typeET2_T3_PNS14_IS19_E10value_typeET4_jRbjT5_S1F_jjP12ihipStream_tbEUljE_ZNSN_ISO_Lb1ESR_SS_SU_SV_SZ_EES10_S11_S12_S13_S17_S18_S19_S1C_S1D_jS1E_jS1F_S1F_jjS1H_bEUljE0_EEES10_S11_S12_S19_S1D_S1F_T6_T7_T9_mT8_S1H_bDpT10_ENKUlT_T0_E_clISt17integral_constantIbLb0EES1V_EEDaS1Q_S1R_EUlS1Q_E_NS1_11comp_targetILNS1_3genE10ELNS1_11target_archE1200ELNS1_3gpuE4ELNS1_3repE0EEENS1_30default_config_static_selectorELNS0_4arch9wavefront6targetE0EEEvS13_ ; -- Begin function _ZN7rocprim17ROCPRIM_400000_NS6detail17trampoline_kernelINS0_13select_configILj256ELj13ELNS0_17block_load_methodE3ELS4_3ELS4_3ELNS0_20block_scan_algorithmE0ELj4294967295EEENS1_25partition_config_selectorILNS1_17partition_subalgoE4EjNS0_10empty_typeEbEEZZNS1_14partition_implILS8_4ELb0ES6_15HIP_vector_typeIjLj2EENS0_17counting_iteratorIjlEEPS9_SG_NS0_5tupleIJPjSI_NS0_16reverse_iteratorISI_EEEEENSH_IJSG_SG_SG_EEES9_SI_JZNS1_25segmented_radix_sort_implINS0_14default_configELb1EPK6__halfPSP_PKlPlN2at6native12_GLOBAL__N_18offset_tEEE10hipError_tPvRmT1_PNSt15iterator_traitsIS13_E10value_typeET2_T3_PNS14_IS19_E10value_typeET4_jRbjT5_S1F_jjP12ihipStream_tbEUljE_ZNSN_ISO_Lb1ESR_SS_SU_SV_SZ_EES10_S11_S12_S13_S17_S18_S19_S1C_S1D_jS1E_jS1F_S1F_jjS1H_bEUljE0_EEES10_S11_S12_S19_S1D_S1F_T6_T7_T9_mT8_S1H_bDpT10_ENKUlT_T0_E_clISt17integral_constantIbLb0EES1V_EEDaS1Q_S1R_EUlS1Q_E_NS1_11comp_targetILNS1_3genE10ELNS1_11target_archE1200ELNS1_3gpuE4ELNS1_3repE0EEENS1_30default_config_static_selectorELNS0_4arch9wavefront6targetE0EEEvS13_
	.p2align	8
	.type	_ZN7rocprim17ROCPRIM_400000_NS6detail17trampoline_kernelINS0_13select_configILj256ELj13ELNS0_17block_load_methodE3ELS4_3ELS4_3ELNS0_20block_scan_algorithmE0ELj4294967295EEENS1_25partition_config_selectorILNS1_17partition_subalgoE4EjNS0_10empty_typeEbEEZZNS1_14partition_implILS8_4ELb0ES6_15HIP_vector_typeIjLj2EENS0_17counting_iteratorIjlEEPS9_SG_NS0_5tupleIJPjSI_NS0_16reverse_iteratorISI_EEEEENSH_IJSG_SG_SG_EEES9_SI_JZNS1_25segmented_radix_sort_implINS0_14default_configELb1EPK6__halfPSP_PKlPlN2at6native12_GLOBAL__N_18offset_tEEE10hipError_tPvRmT1_PNSt15iterator_traitsIS13_E10value_typeET2_T3_PNS14_IS19_E10value_typeET4_jRbjT5_S1F_jjP12ihipStream_tbEUljE_ZNSN_ISO_Lb1ESR_SS_SU_SV_SZ_EES10_S11_S12_S13_S17_S18_S19_S1C_S1D_jS1E_jS1F_S1F_jjS1H_bEUljE0_EEES10_S11_S12_S19_S1D_S1F_T6_T7_T9_mT8_S1H_bDpT10_ENKUlT_T0_E_clISt17integral_constantIbLb0EES1V_EEDaS1Q_S1R_EUlS1Q_E_NS1_11comp_targetILNS1_3genE10ELNS1_11target_archE1200ELNS1_3gpuE4ELNS1_3repE0EEENS1_30default_config_static_selectorELNS0_4arch9wavefront6targetE0EEEvS13_,@function
_ZN7rocprim17ROCPRIM_400000_NS6detail17trampoline_kernelINS0_13select_configILj256ELj13ELNS0_17block_load_methodE3ELS4_3ELS4_3ELNS0_20block_scan_algorithmE0ELj4294967295EEENS1_25partition_config_selectorILNS1_17partition_subalgoE4EjNS0_10empty_typeEbEEZZNS1_14partition_implILS8_4ELb0ES6_15HIP_vector_typeIjLj2EENS0_17counting_iteratorIjlEEPS9_SG_NS0_5tupleIJPjSI_NS0_16reverse_iteratorISI_EEEEENSH_IJSG_SG_SG_EEES9_SI_JZNS1_25segmented_radix_sort_implINS0_14default_configELb1EPK6__halfPSP_PKlPlN2at6native12_GLOBAL__N_18offset_tEEE10hipError_tPvRmT1_PNSt15iterator_traitsIS13_E10value_typeET2_T3_PNS14_IS19_E10value_typeET4_jRbjT5_S1F_jjP12ihipStream_tbEUljE_ZNSN_ISO_Lb1ESR_SS_SU_SV_SZ_EES10_S11_S12_S13_S17_S18_S19_S1C_S1D_jS1E_jS1F_S1F_jjS1H_bEUljE0_EEES10_S11_S12_S19_S1D_S1F_T6_T7_T9_mT8_S1H_bDpT10_ENKUlT_T0_E_clISt17integral_constantIbLb0EES1V_EEDaS1Q_S1R_EUlS1Q_E_NS1_11comp_targetILNS1_3genE10ELNS1_11target_archE1200ELNS1_3gpuE4ELNS1_3repE0EEENS1_30default_config_static_selectorELNS0_4arch9wavefront6targetE0EEEvS13_: ; @_ZN7rocprim17ROCPRIM_400000_NS6detail17trampoline_kernelINS0_13select_configILj256ELj13ELNS0_17block_load_methodE3ELS4_3ELS4_3ELNS0_20block_scan_algorithmE0ELj4294967295EEENS1_25partition_config_selectorILNS1_17partition_subalgoE4EjNS0_10empty_typeEbEEZZNS1_14partition_implILS8_4ELb0ES6_15HIP_vector_typeIjLj2EENS0_17counting_iteratorIjlEEPS9_SG_NS0_5tupleIJPjSI_NS0_16reverse_iteratorISI_EEEEENSH_IJSG_SG_SG_EEES9_SI_JZNS1_25segmented_radix_sort_implINS0_14default_configELb1EPK6__halfPSP_PKlPlN2at6native12_GLOBAL__N_18offset_tEEE10hipError_tPvRmT1_PNSt15iterator_traitsIS13_E10value_typeET2_T3_PNS14_IS19_E10value_typeET4_jRbjT5_S1F_jjP12ihipStream_tbEUljE_ZNSN_ISO_Lb1ESR_SS_SU_SV_SZ_EES10_S11_S12_S13_S17_S18_S19_S1C_S1D_jS1E_jS1F_S1F_jjS1H_bEUljE0_EEES10_S11_S12_S19_S1D_S1F_T6_T7_T9_mT8_S1H_bDpT10_ENKUlT_T0_E_clISt17integral_constantIbLb0EES1V_EEDaS1Q_S1R_EUlS1Q_E_NS1_11comp_targetILNS1_3genE10ELNS1_11target_archE1200ELNS1_3gpuE4ELNS1_3repE0EEENS1_30default_config_static_selectorELNS0_4arch9wavefront6targetE0EEEvS13_
; %bb.0:
	s_clause 0x6
	s_load_b32 s6, s[0:1], 0x80
	s_load_b128 s[24:27], s[0:1], 0x58
	s_load_b64 s[34:35], s[0:1], 0x10
	s_load_b64 s[2:3], s[0:1], 0x68
	s_load_b32 s7, s[0:1], 0x8
	s_load_b64 s[42:43], s[0:1], 0xa8
	s_load_b256 s[16:23], s[0:1], 0x88
	s_mov_b32 s5, 0
	s_mul_i32 s40, ttmp9, 0xd00
	s_wait_kmcnt 0x0
	s_mul_i32 s4, s6, 0xd00
	s_load_b128 s[28:31], s[26:27], 0x0
	s_add_co_i32 s8, s4, s34
	s_add_co_i32 s6, s6, -1
	s_sub_co_i32 s33, s2, s8
	s_add_nc_u64 s[4:5], s[34:35], s[4:5]
	s_addk_co_i32 s33, 0xd00
	s_cmp_eq_u32 ttmp9, s6
	v_cmp_gt_u64_e64 s2, s[2:3], s[4:5]
	s_cselect_b32 s15, -1, 0
	s_cmp_lg_u32 ttmp9, s6
	s_mov_b32 s5, -1
	s_cselect_b32 s3, -1, 0
	s_add_co_i32 s4, s7, s40
	s_wait_alu 0xfffe
	s_or_b32 s3, s3, s2
	s_add_co_i32 s4, s4, s34
	s_wait_alu 0xfffe
	s_and_b32 vcc_lo, exec_lo, s3
	v_add_nc_u32_e32 v1, s4, v0
	s_cbranch_vccz .LBB1680_2
; %bb.1:
	s_delay_alu instid0(VALU_DEP_1)
	v_add_nc_u32_e32 v2, 0x100, v1
	v_lshlrev_b32_e32 v10, 2, v0
	v_add_nc_u32_e32 v3, 0x200, v1
	v_add_nc_u32_e32 v4, 0x300, v1
	v_add_nc_u32_e32 v5, 0x400, v1
	v_add_nc_u32_e32 v6, 0x500, v1
	v_add_nc_u32_e32 v7, 0x600, v1
	v_add_nc_u32_e32 v8, 0x700, v1
	v_add_nc_u32_e32 v9, 0x800, v1
	v_add_nc_u32_e32 v11, 0x900, v1
	v_add_nc_u32_e32 v12, 0xa00, v1
	v_add_nc_u32_e32 v13, 0xb00, v1
	v_add_nc_u32_e32 v14, 0xc00, v1
	ds_store_2addr_stride64_b32 v10, v1, v2 offset1:4
	ds_store_2addr_stride64_b32 v10, v3, v4 offset0:8 offset1:12
	ds_store_2addr_stride64_b32 v10, v5, v6 offset0:16 offset1:20
	;; [unrolled: 1-line block ×5, first 2 shown]
	ds_store_b32 v10, v14 offset:12288
	s_wait_dscnt 0x0
	s_barrier_signal -1
	s_mov_b32 s5, 0
	s_barrier_wait -1
.LBB1680_2:
	v_cmp_gt_u32_e64 s2, s33, v0
	v_or_b32_e32 v38, 0x100, v0
	v_or_b32_e32 v37, 0x200, v0
	;; [unrolled: 1-line block ×12, first 2 shown]
	s_wait_alu 0xfffe
	s_and_not1_b32 vcc_lo, exec_lo, s5
	s_cbranch_vccnz .LBB1680_4
; %bb.3:
	v_cmp_gt_u32_e32 vcc_lo, s33, v38
	v_add_nc_u32_e32 v3, s4, v37
	v_add_nc_u32_e32 v2, s4, v38
	v_cndmask_b32_e64 v1, 0, v1, s2
	v_lshlrev_b32_e32 v14, 2, v0
	s_delay_alu instid0(VALU_DEP_3)
	v_cndmask_b32_e32 v2, 0, v2, vcc_lo
	v_cmp_gt_u32_e32 vcc_lo, s33, v37
	s_wait_alu 0xfffd
	v_cndmask_b32_e32 v3, 0, v3, vcc_lo
	v_cmp_gt_u32_e32 vcc_lo, s33, v36
	v_add_nc_u32_e32 v5, s4, v35
	v_add_nc_u32_e32 v4, s4, v36
	s_wait_alu 0xfffd
	s_delay_alu instid0(VALU_DEP_1)
	v_cndmask_b32_e32 v4, 0, v4, vcc_lo
	v_cmp_gt_u32_e32 vcc_lo, s33, v35
	s_wait_alu 0xfffd
	v_cndmask_b32_e32 v5, 0, v5, vcc_lo
	v_cmp_gt_u32_e32 vcc_lo, s33, v34
	v_add_nc_u32_e32 v7, s4, v33
	v_add_nc_u32_e32 v6, s4, v34
	s_wait_alu 0xfffd
	s_delay_alu instid0(VALU_DEP_1)
	;; [unrolled: 9-line block ×5, first 2 shown]
	v_cndmask_b32_e32 v12, 0, v12, vcc_lo
	v_cmp_gt_u32_e32 vcc_lo, s33, v27
	s_wait_alu 0xfffd
	v_cndmask_b32_e32 v13, 0, v13, vcc_lo
	ds_store_2addr_stride64_b32 v14, v1, v2 offset1:4
	ds_store_2addr_stride64_b32 v14, v3, v4 offset0:8 offset1:12
	ds_store_2addr_stride64_b32 v14, v5, v6 offset0:16 offset1:20
	;; [unrolled: 1-line block ×5, first 2 shown]
	ds_store_b32 v14, v13 offset:12288
	s_wait_dscnt 0x0
	s_barrier_signal -1
	s_barrier_wait -1
.LBB1680_4:
	v_mul_u32_u24_e32 v41, 13, v0
	s_clause 0x1
	s_load_b128 s[36:39], s[0:1], 0x28
	s_load_b64 s[26:27], s[0:1], 0x38
	global_inv scope:SCOPE_SE
	v_cndmask_b32_e64 v39, 0, 1, s3
	s_and_not1_b32 vcc_lo, exec_lo, s3
	v_lshlrev_b32_e32 v1, 2, v41
	ds_load_2addr_b32 v[19:20], v1 offset1:1
	ds_load_2addr_b32 v[17:18], v1 offset0:2 offset1:3
	ds_load_2addr_b32 v[15:16], v1 offset0:4 offset1:5
	;; [unrolled: 1-line block ×5, first 2 shown]
	ds_load_b32 v40, v1 offset:48
	s_wait_loadcnt_dscnt 0x0
	s_barrier_signal -1
	s_barrier_wait -1
	global_inv scope:SCOPE_SE
	s_wait_alu 0xfffe
	s_cbranch_vccnz .LBB1680_32
; %bb.5:
	v_add_nc_u32_e32 v1, s17, v19
	v_add_nc_u32_e32 v2, s19, v19
	s_mov_b32 s44, 0
	s_mov_b32 s41, 0
	s_mov_b32 s3, exec_lo
	v_mul_lo_u32 v1, v1, s16
	v_mul_lo_u32 v2, v2, s18
	s_delay_alu instid0(VALU_DEP_1) | instskip(NEXT) | instid1(VALU_DEP_1)
	v_sub_nc_u32_e32 v1, v1, v2
	v_cmp_lt_u32_e32 vcc_lo, s20, v1
	v_cmpx_ge_u32_e64 s20, v1
	s_cbranch_execz .LBB1680_7
; %bb.6:
	v_add_nc_u32_e32 v1, s22, v19
	v_add_nc_u32_e32 v2, s42, v19
	s_delay_alu instid0(VALU_DEP_2) | instskip(NEXT) | instid1(VALU_DEP_2)
	v_mul_lo_u32 v1, v1, s21
	v_mul_lo_u32 v2, v2, s23
	s_delay_alu instid0(VALU_DEP_1) | instskip(NEXT) | instid1(VALU_DEP_1)
	v_sub_nc_u32_e32 v1, v1, v2
	v_cmp_lt_u32_e64 s2, s43, v1
	s_and_b32 s41, s2, exec_lo
.LBB1680_7:
	s_wait_alu 0xfffe
	s_or_b32 exec_lo, exec_lo, s3
	v_add_nc_u32_e32 v1, s17, v20
	v_add_nc_u32_e32 v2, s19, v20
	s_mov_b32 s4, exec_lo
	s_delay_alu instid0(VALU_DEP_2) | instskip(NEXT) | instid1(VALU_DEP_2)
	v_mul_lo_u32 v1, v1, s16
	v_mul_lo_u32 v2, v2, s18
	s_delay_alu instid0(VALU_DEP_1) | instskip(NEXT) | instid1(VALU_DEP_1)
	v_sub_nc_u32_e32 v1, v1, v2
	v_cmp_lt_u32_e64 s2, s20, v1
	v_cmpx_ge_u32_e64 s20, v1
	s_cbranch_execz .LBB1680_9
; %bb.8:
	v_add_nc_u32_e32 v1, s22, v20
	v_add_nc_u32_e32 v2, s42, v20
	s_delay_alu instid0(VALU_DEP_2) | instskip(NEXT) | instid1(VALU_DEP_2)
	v_mul_lo_u32 v1, v1, s21
	v_mul_lo_u32 v2, v2, s23
	s_delay_alu instid0(VALU_DEP_1) | instskip(NEXT) | instid1(VALU_DEP_1)
	v_sub_nc_u32_e32 v1, v1, v2
	v_cmp_lt_u32_e64 s3, s43, v1
	s_and_b32 s44, s3, exec_lo
.LBB1680_9:
	s_wait_alu 0xfffe
	s_or_b32 exec_lo, exec_lo, s4
	v_add_nc_u32_e32 v1, s17, v17
	v_add_nc_u32_e32 v2, s19, v17
	s_mov_b32 s46, 0
	s_mov_b32 s45, 0
	s_mov_b32 s5, exec_lo
	v_mul_lo_u32 v1, v1, s16
	v_mul_lo_u32 v2, v2, s18
	s_delay_alu instid0(VALU_DEP_1) | instskip(NEXT) | instid1(VALU_DEP_1)
	v_sub_nc_u32_e32 v1, v1, v2
	v_cmp_lt_u32_e64 s3, s20, v1
	v_cmpx_ge_u32_e64 s20, v1
	s_cbranch_execz .LBB1680_11
; %bb.10:
	v_add_nc_u32_e32 v1, s22, v17
	v_add_nc_u32_e32 v2, s42, v17
	s_delay_alu instid0(VALU_DEP_2) | instskip(NEXT) | instid1(VALU_DEP_2)
	v_mul_lo_u32 v1, v1, s21
	v_mul_lo_u32 v2, v2, s23
	s_delay_alu instid0(VALU_DEP_1) | instskip(NEXT) | instid1(VALU_DEP_1)
	v_sub_nc_u32_e32 v1, v1, v2
	v_cmp_lt_u32_e64 s4, s43, v1
	s_and_b32 s45, s4, exec_lo
.LBB1680_11:
	s_wait_alu 0xfffe
	s_or_b32 exec_lo, exec_lo, s5
	v_add_nc_u32_e32 v1, s17, v18
	v_add_nc_u32_e32 v2, s19, v18
	s_mov_b32 s6, exec_lo
	s_delay_alu instid0(VALU_DEP_2) | instskip(NEXT) | instid1(VALU_DEP_2)
	v_mul_lo_u32 v1, v1, s16
	v_mul_lo_u32 v2, v2, s18
	s_delay_alu instid0(VALU_DEP_1) | instskip(NEXT) | instid1(VALU_DEP_1)
	v_sub_nc_u32_e32 v1, v1, v2
	v_cmp_lt_u32_e64 s4, s20, v1
	v_cmpx_ge_u32_e64 s20, v1
	s_cbranch_execz .LBB1680_13
; %bb.12:
	v_add_nc_u32_e32 v1, s22, v18
	v_add_nc_u32_e32 v2, s42, v18
	s_delay_alu instid0(VALU_DEP_2) | instskip(NEXT) | instid1(VALU_DEP_2)
	v_mul_lo_u32 v1, v1, s21
	v_mul_lo_u32 v2, v2, s23
	s_delay_alu instid0(VALU_DEP_1) | instskip(NEXT) | instid1(VALU_DEP_1)
	v_sub_nc_u32_e32 v1, v1, v2
	v_cmp_lt_u32_e64 s5, s43, v1
	s_and_b32 s46, s5, exec_lo
.LBB1680_13:
	s_or_b32 exec_lo, exec_lo, s6
	v_add_nc_u32_e32 v1, s17, v15
	v_add_nc_u32_e32 v2, s19, v15
	s_mov_b32 s48, 0
	s_mov_b32 s47, 0
	s_mov_b32 s7, exec_lo
	v_mul_lo_u32 v1, v1, s16
	v_mul_lo_u32 v2, v2, s18
	s_delay_alu instid0(VALU_DEP_1) | instskip(NEXT) | instid1(VALU_DEP_1)
	v_sub_nc_u32_e32 v1, v1, v2
	v_cmp_lt_u32_e64 s5, s20, v1
	v_cmpx_ge_u32_e64 s20, v1
	s_cbranch_execz .LBB1680_15
; %bb.14:
	v_add_nc_u32_e32 v1, s22, v15
	v_add_nc_u32_e32 v2, s42, v15
	s_delay_alu instid0(VALU_DEP_2) | instskip(NEXT) | instid1(VALU_DEP_2)
	v_mul_lo_u32 v1, v1, s21
	v_mul_lo_u32 v2, v2, s23
	s_delay_alu instid0(VALU_DEP_1) | instskip(NEXT) | instid1(VALU_DEP_1)
	v_sub_nc_u32_e32 v1, v1, v2
	v_cmp_lt_u32_e64 s6, s43, v1
	s_and_b32 s47, s6, exec_lo
.LBB1680_15:
	s_or_b32 exec_lo, exec_lo, s7
	v_add_nc_u32_e32 v1, s17, v16
	v_add_nc_u32_e32 v2, s19, v16
	s_mov_b32 s8, exec_lo
	s_delay_alu instid0(VALU_DEP_2) | instskip(NEXT) | instid1(VALU_DEP_2)
	v_mul_lo_u32 v1, v1, s16
	v_mul_lo_u32 v2, v2, s18
	s_delay_alu instid0(VALU_DEP_1) | instskip(NEXT) | instid1(VALU_DEP_1)
	v_sub_nc_u32_e32 v1, v1, v2
	v_cmp_lt_u32_e64 s6, s20, v1
	v_cmpx_ge_u32_e64 s20, v1
	s_cbranch_execz .LBB1680_17
; %bb.16:
	v_add_nc_u32_e32 v1, s22, v16
	v_add_nc_u32_e32 v2, s42, v16
	s_delay_alu instid0(VALU_DEP_2) | instskip(NEXT) | instid1(VALU_DEP_2)
	v_mul_lo_u32 v1, v1, s21
	v_mul_lo_u32 v2, v2, s23
	s_delay_alu instid0(VALU_DEP_1) | instskip(NEXT) | instid1(VALU_DEP_1)
	v_sub_nc_u32_e32 v1, v1, v2
	v_cmp_lt_u32_e64 s7, s43, v1
	s_and_b32 s48, s7, exec_lo
.LBB1680_17:
	s_or_b32 exec_lo, exec_lo, s8
	v_add_nc_u32_e32 v1, s17, v13
	v_add_nc_u32_e32 v2, s19, v13
	s_mov_b32 s50, 0
	s_mov_b32 s49, 0
	s_mov_b32 s9, exec_lo
	v_mul_lo_u32 v1, v1, s16
	v_mul_lo_u32 v2, v2, s18
	s_delay_alu instid0(VALU_DEP_1) | instskip(NEXT) | instid1(VALU_DEP_1)
	v_sub_nc_u32_e32 v1, v1, v2
	v_cmp_lt_u32_e64 s7, s20, v1
	v_cmpx_ge_u32_e64 s20, v1
	s_cbranch_execz .LBB1680_19
; %bb.18:
	v_add_nc_u32_e32 v1, s22, v13
	v_add_nc_u32_e32 v2, s42, v13
	s_delay_alu instid0(VALU_DEP_2) | instskip(NEXT) | instid1(VALU_DEP_2)
	v_mul_lo_u32 v1, v1, s21
	v_mul_lo_u32 v2, v2, s23
	s_delay_alu instid0(VALU_DEP_1) | instskip(NEXT) | instid1(VALU_DEP_1)
	v_sub_nc_u32_e32 v1, v1, v2
	v_cmp_lt_u32_e64 s8, s43, v1
	s_and_b32 s49, s8, exec_lo
.LBB1680_19:
	;; [unrolled: 47-line block ×5, first 2 shown]
	s_or_b32 exec_lo, exec_lo, s57
	v_cndmask_b32_e64 v2, 0, 1, s2
	s_wait_alu 0xf1ff
	v_cndmask_b32_e64 v4, 0, 1, s4
	s_wait_alu 0xfffd
	v_cndmask_b32_e64 v1, 0, 1, vcc_lo
	v_cndmask_b32_e64 v3, 0, 1, s3
	v_cndmask_b32_e64 v6, 0, 1, s6
	v_lshlrev_b16 v2, 8, v2
	v_lshlrev_b16 v4, 8, v4
	v_cndmask_b32_e64 v8, 0, 1, s8
	v_cndmask_b32_e64 v22, 0, 1, s10
	;; [unrolled: 1-line block ×3, first 2 shown]
	v_or_b32_e32 v1, v1, v2
	v_or_b32_e32 v2, v3, v4
	v_cndmask_b32_e64 v51, 0, 1, s41
	v_cndmask_b32_e64 v5, 0, 1, s5
	;; [unrolled: 1-line block ×3, first 2 shown]
	v_and_b32_e32 v1, 0xffff, v1
	v_lshlrev_b32_e32 v2, 16, v2
	v_cndmask_b32_e64 v21, 0, 1, s9
	v_cndmask_b32_e64 v23, 0, 1, s11
	;; [unrolled: 1-line block ×8, first 2 shown]
	v_or_b32_e32 v42, v1, v2
	v_lshlrev_b16 v1, 8, v6
	v_lshlrev_b16 v2, 8, v8
	;; [unrolled: 1-line block ×5, first 2 shown]
	v_cndmask_b32_e64 v26, 0, 1, s53
	v_cndmask_b32_e64 v44, 0, 1, s50
	;; [unrolled: 1-line block ×5, first 2 shown]
	v_or_b32_e32 v1, v5, v1
	v_or_b32_e32 v2, v7, v2
	;; [unrolled: 1-line block ×5, first 2 shown]
	v_lshlrev_b16 v4, 8, v4
	v_lshlrev_b16 v8, 8, v49
	v_lshlrev_b16 v21, 8, v46
	v_lshlrev_b16 v22, 8, v43
	v_lshlrev_b16 v23, 8, v24
	v_or_b32_e32 v4, v50, v4
	v_or_b32_e32 v3, v3, v8
	v_or_b32_e32 v8, v47, v21
	v_or_b32_e32 v21, v44, v22
	v_or_b32_e32 v22, v26, v23
	v_and_b32_e32 v1, 0xffff, v1
	v_lshlrev_b32_e32 v2, 16, v2
	v_and_b32_e32 v5, 0xffff, v5
	v_lshlrev_b32_e32 v6, 16, v6
	;; [unrolled: 2-line block ×5, first 2 shown]
	v_cndmask_b32_e64 v45, 0, 1, s54
	v_cndmask_b32_e64 v48, 0, 1, s56
	v_or_b32_e32 v44, v1, v2
	v_or_b32_e32 v47, v5, v6
	;; [unrolled: 1-line block ×5, first 2 shown]
	s_load_b64 s[4:5], s[0:1], 0x78
	s_and_b32 vcc_lo, exec_lo, s51
	s_wait_alu 0xfffe
	s_cbranch_vccnz .LBB1680_33
	s_branch .LBB1680_110
.LBB1680_32:
                                        ; implicit-def: $vgpr48
                                        ; implicit-def: $vgpr45
                                        ; implicit-def: $vgpr46
                                        ; implicit-def: $vgpr43
                                        ; implicit-def: $vgpr49
                                        ; implicit-def: $vgpr47
                                        ; implicit-def: $vgpr44
                                        ; implicit-def: $vgpr42
	s_load_b64 s[4:5], s[0:1], 0x78
	s_cbranch_execz .LBB1680_110
.LBB1680_33:
	v_dual_mov_b32 v2, 0 :: v_dual_mov_b32 v1, 0
	s_mov_b32 s1, exec_lo
	v_cmpx_gt_u32_e64 s33, v41
	s_cbranch_execz .LBB1680_37
; %bb.34:
	v_add_nc_u32_e32 v1, s17, v19
	v_add_nc_u32_e32 v2, s19, v19
	s_mov_b32 s3, 0
	s_mov_b32 s2, exec_lo
	s_delay_alu instid0(VALU_DEP_2) | instskip(NEXT) | instid1(VALU_DEP_2)
	v_mul_lo_u32 v1, v1, s16
	v_mul_lo_u32 v2, v2, s18
	s_delay_alu instid0(VALU_DEP_1) | instskip(NEXT) | instid1(VALU_DEP_1)
	v_sub_nc_u32_e32 v1, v1, v2
	v_cmp_lt_u32_e32 vcc_lo, s20, v1
	v_cmpx_ge_u32_e64 s20, v1
	s_cbranch_execz .LBB1680_36
; %bb.35:
	v_add_nc_u32_e32 v1, s22, v19
	v_add_nc_u32_e32 v2, s42, v19
	s_delay_alu instid0(VALU_DEP_2) | instskip(NEXT) | instid1(VALU_DEP_2)
	v_mul_lo_u32 v1, v1, s21
	v_mul_lo_u32 v2, v2, s23
	s_delay_alu instid0(VALU_DEP_1) | instskip(NEXT) | instid1(VALU_DEP_1)
	v_sub_nc_u32_e32 v1, v1, v2
	v_cmp_lt_u32_e64 s0, s43, v1
	s_and_b32 s3, s0, exec_lo
.LBB1680_36:
	s_wait_alu 0xfffe
	s_or_b32 exec_lo, exec_lo, s2
	v_cndmask_b32_e64 v2, 0, 1, s3
	s_wait_alu 0xfffd
	v_cndmask_b32_e64 v1, 0, 1, vcc_lo
.LBB1680_37:
	s_or_b32 exec_lo, exec_lo, s1
	s_delay_alu instid0(VALU_DEP_2) | instskip(SKIP_1) | instid1(VALU_DEP_3)
	v_lshlrev_b16 v2, 8, v2
	v_add_nc_u32_e32 v3, 1, v41
	v_and_b32_e32 v6, 0xff, v1
	v_lshlrev_b16 v1, 8, 0
                                        ; implicit-def: $vgpr5
                                        ; implicit-def: $vgpr8
                                        ; implicit-def: $vgpr4
	s_delay_alu instid0(VALU_DEP_4) | instskip(NEXT) | instid1(VALU_DEP_4)
	v_and_b32_e32 v2, 0xffff, v2
	v_cmp_le_u32_e32 vcc_lo, s33, v3
                                        ; implicit-def: $vgpr3
	s_delay_alu instid0(VALU_DEP_2) | instskip(SKIP_2) | instid1(SALU_CYCLE_1)
	v_lshrrev_b32_e32 v21, 8, v2
	v_and_b32_e32 v7, 0xff, v2
                                        ; implicit-def: $vgpr2
	s_and_saveexec_b32 s0, vcc_lo
	s_xor_b32 s0, exec_lo, s0
	s_cbranch_execz .LBB1680_39
; %bb.38:
	v_lshlrev_b16 v2, 8, v21
	v_and_b32_e32 v4, 0xffff, v1
                                        ; implicit-def: $vgpr21
	v_mov_b32_e32 v5, 0
	s_delay_alu instid0(VALU_DEP_3) | instskip(SKIP_1) | instid1(VALU_DEP_2)
	v_or_b32_e32 v3, v7, v2
	v_mov_b32_e32 v2, 0
                                        ; implicit-def: $vgpr7
	v_and_b32_e32 v8, 0xffff, v3
	v_and_b32_e32 v3, 0xffff, v1
                                        ; implicit-def: $vgpr1
.LBB1680_39:
	s_and_not1_saveexec_b32 s1, s0
	s_cbranch_execz .LBB1680_43
; %bb.40:
	v_add_nc_u32_e32 v2, s17, v20
	v_add_nc_u32_e32 v3, s19, v20
	s_mov_b32 s2, 0
	s_mov_b32 s3, exec_lo
	s_delay_alu instid0(VALU_DEP_2) | instskip(NEXT) | instid1(VALU_DEP_2)
	v_mul_lo_u32 v2, v2, s16
	v_mul_lo_u32 v3, v3, s18
	s_delay_alu instid0(VALU_DEP_1) | instskip(NEXT) | instid1(VALU_DEP_1)
	v_sub_nc_u32_e32 v2, v2, v3
	v_cmp_lt_u32_e32 vcc_lo, s20, v2
	v_cmpx_ge_u32_e64 s20, v2
	s_cbranch_execz .LBB1680_42
; %bb.41:
	v_add_nc_u32_e32 v2, s22, v20
	v_add_nc_u32_e32 v3, s42, v20
	s_delay_alu instid0(VALU_DEP_2) | instskip(NEXT) | instid1(VALU_DEP_2)
	v_mul_lo_u32 v2, v2, s21
	v_mul_lo_u32 v3, v3, s23
	s_delay_alu instid0(VALU_DEP_1) | instskip(NEXT) | instid1(VALU_DEP_1)
	v_sub_nc_u32_e32 v2, v2, v3
	v_cmp_lt_u32_e64 s0, s43, v2
	s_and_b32 s2, s0, exec_lo
.LBB1680_42:
	s_wait_alu 0xfffe
	s_or_b32 exec_lo, exec_lo, s3
	s_wait_alu 0xfffd
	v_cndmask_b32_e64 v2, 0, 1, vcc_lo
	v_lshlrev_b16 v3, 8, v21
	v_dual_mov_b32 v5, 0 :: v_dual_and_b32 v4, 0xffff, v1
	s_delay_alu instid0(VALU_DEP_3) | instskip(NEXT) | instid1(VALU_DEP_3)
	v_lshlrev_b16 v2, 8, v2
	v_or_b32_e32 v3, v7, v3
	v_cndmask_b32_e64 v7, 0, 1, s2
	s_delay_alu instid0(VALU_DEP_3) | instskip(NEXT) | instid1(VALU_DEP_3)
	v_or_b32_e32 v6, v6, v2
	v_dual_mov_b32 v2, 0 :: v_dual_and_b32 v3, 0xffff, v3
	s_delay_alu instid0(VALU_DEP_2) | instskip(NEXT) | instid1(VALU_DEP_2)
	v_and_b32_e32 v6, 0xffff, v6
	v_lshl_or_b32 v8, v7, 16, v3
	v_and_b32_e32 v3, 0xffff, v1
.LBB1680_43:
	s_or_b32 exec_lo, exec_lo, s1
	v_add_nc_u32_e32 v1, 2, v41
	v_and_b32_e32 v21, 0xff, v6
	v_lshrrev_b32_e32 v22, 8, v6
                                        ; implicit-def: $vgpr7
	s_delay_alu instid0(VALU_DEP_3) | instskip(SKIP_1) | instid1(SALU_CYCLE_1)
	v_cmp_le_u32_e32 vcc_lo, s33, v1
                                        ; implicit-def: $vgpr1
	s_and_saveexec_b32 s0, vcc_lo
	s_xor_b32 s0, exec_lo, s0
	s_cbranch_execz .LBB1680_45
; %bb.44:
	v_lshlrev_b16 v1, 8, v22
	v_perm_b32 v4, v4, v4, 0x3060504
                                        ; implicit-def: $vgpr22
	s_delay_alu instid0(VALU_DEP_2) | instskip(SKIP_1) | instid1(VALU_DEP_2)
	v_or_b32_e32 v1, v21, v1
	v_and_b32_e32 v21, 0xff0000, v8
	v_and_b32_e32 v1, 0xffff, v1
	s_delay_alu instid0(VALU_DEP_1) | instskip(NEXT) | instid1(VALU_DEP_3)
	v_and_or_b32 v7, 0xff000000, v6, v1
	v_perm_b32 v1, v8, v21, 0x3020504
                                        ; implicit-def: $vgpr21
                                        ; implicit-def: $vgpr6
                                        ; implicit-def: $vgpr8
.LBB1680_45:
	s_and_not1_saveexec_b32 s1, s0
	s_cbranch_execz .LBB1680_49
; %bb.46:
	v_add_nc_u32_e32 v1, s17, v17
	v_add_nc_u32_e32 v7, s19, v17
	s_mov_b32 s2, 0
	s_mov_b32 s3, exec_lo
	s_delay_alu instid0(VALU_DEP_2) | instskip(NEXT) | instid1(VALU_DEP_2)
	v_mul_lo_u32 v1, v1, s16
	v_mul_lo_u32 v7, v7, s18
	s_delay_alu instid0(VALU_DEP_1) | instskip(NEXT) | instid1(VALU_DEP_1)
	v_sub_nc_u32_e32 v1, v1, v7
	v_cmp_lt_u32_e32 vcc_lo, s20, v1
	v_cmpx_ge_u32_e64 s20, v1
	s_cbranch_execz .LBB1680_48
; %bb.47:
	v_add_nc_u32_e32 v1, s22, v17
	v_add_nc_u32_e32 v7, s42, v17
	s_delay_alu instid0(VALU_DEP_2) | instskip(NEXT) | instid1(VALU_DEP_2)
	v_mul_lo_u32 v1, v1, s21
	v_mul_lo_u32 v7, v7, s23
	s_delay_alu instid0(VALU_DEP_1) | instskip(NEXT) | instid1(VALU_DEP_1)
	v_sub_nc_u32_e32 v1, v1, v7
	v_cmp_lt_u32_e64 s0, s43, v1
	s_and_b32 s2, s0, exec_lo
.LBB1680_48:
	s_wait_alu 0xfffe
	s_or_b32 exec_lo, exec_lo, s3
	v_lshrrev_b32_e32 v6, 24, v6
	v_cndmask_b32_e64 v7, 0, 1, s2
	v_lshrrev_b32_e32 v23, 8, v8
	v_lshrrev_b32_e32 v24, 16, v8
	s_wait_alu 0xfffd
	v_cndmask_b32_e64 v1, 0, 1, vcc_lo
	v_lshlrev_b16 v22, 8, v22
	v_lshlrev_b16 v6, 8, v6
	v_and_b32_e32 v8, 0xff, v8
	v_lshlrev_b16 v23, 8, v23
	v_lshlrev_b16 v7, 8, v7
	v_and_b32_e32 v24, 0xff, v24
	v_or_b32_e32 v21, v21, v22
	v_or_b32_e32 v1, v1, v6
	;; [unrolled: 1-line block ×3, first 2 shown]
	s_delay_alu instid0(VALU_DEP_4) | instskip(NEXT) | instid1(VALU_DEP_4)
	v_or_b32_e32 v7, v24, v7
	v_and_b32_e32 v8, 0xffff, v21
	s_delay_alu instid0(VALU_DEP_4) | instskip(NEXT) | instid1(VALU_DEP_4)
	v_lshlrev_b32_e32 v1, 16, v1
	v_and_b32_e32 v6, 0xffff, v6
	s_delay_alu instid0(VALU_DEP_4) | instskip(NEXT) | instid1(VALU_DEP_3)
	v_lshlrev_b32_e32 v21, 16, v7
	v_or_b32_e32 v7, v8, v1
	s_delay_alu instid0(VALU_DEP_2)
	v_or_b32_e32 v1, v6, v21
.LBB1680_49:
	s_or_b32 exec_lo, exec_lo, s1
	v_add_nc_u32_e32 v6, 3, v41
	v_lshrrev_b32_e32 v8, 24, v5
	v_lshrrev_b32_e32 v21, 16, v5
	v_lshrrev_b32_e32 v5, 8, v5
                                        ; implicit-def: $vgpr42
	s_delay_alu instid0(VALU_DEP_4) | instskip(SKIP_1) | instid1(SALU_CYCLE_1)
	v_cmp_le_u32_e32 vcc_lo, s33, v6
                                        ; implicit-def: $vgpr6
	s_and_saveexec_b32 s0, vcc_lo
	s_xor_b32 s0, exec_lo, s0
	s_cbranch_execz .LBB1680_51
; %bb.50:
	v_lshlrev_b16 v6, 8, v8
	v_and_b32_e32 v8, 0xff, v21
	v_lshlrev_b16 v5, 8, v5
	v_perm_b32 v4, v4, v4, 0x3060504
	v_perm_b32 v3, v3, v3, 0x3060504
                                        ; implicit-def: $vgpr21
	s_delay_alu instid0(VALU_DEP_4) | instskip(SKIP_2) | instid1(VALU_DEP_3)
	v_or_b32_e32 v6, v8, v6
	v_and_b32_e32 v8, 0xff0000, v7
	v_and_b32_e32 v5, 0xffff, v5
	v_lshlrev_b32_e32 v6, 16, v6
	s_delay_alu instid0(VALU_DEP_3) | instskip(NEXT) | instid1(VALU_DEP_2)
	v_perm_b32 v42, v7, v8, 0x3020504
                                        ; implicit-def: $vgpr7
                                        ; implicit-def: $vgpr8
	v_or_b32_e32 v6, v5, v6
                                        ; implicit-def: $vgpr5
.LBB1680_51:
	s_and_not1_saveexec_b32 s1, s0
	s_cbranch_execz .LBB1680_55
; %bb.52:
	v_add_nc_u32_e32 v6, s17, v18
	v_add_nc_u32_e32 v22, s19, v18
	s_mov_b32 s2, 0
	s_mov_b32 s3, exec_lo
	s_delay_alu instid0(VALU_DEP_2) | instskip(NEXT) | instid1(VALU_DEP_2)
	v_mul_lo_u32 v6, v6, s16
	v_mul_lo_u32 v22, v22, s18
	s_delay_alu instid0(VALU_DEP_1) | instskip(NEXT) | instid1(VALU_DEP_1)
	v_sub_nc_u32_e32 v6, v6, v22
	v_cmp_lt_u32_e32 vcc_lo, s20, v6
	v_cmpx_ge_u32_e64 s20, v6
	s_cbranch_execz .LBB1680_54
; %bb.53:
	v_add_nc_u32_e32 v6, s22, v18
	v_add_nc_u32_e32 v22, s42, v18
	s_delay_alu instid0(VALU_DEP_2) | instskip(NEXT) | instid1(VALU_DEP_2)
	v_mul_lo_u32 v6, v6, s21
	v_mul_lo_u32 v22, v22, s23
	s_delay_alu instid0(VALU_DEP_1) | instskip(NEXT) | instid1(VALU_DEP_1)
	v_sub_nc_u32_e32 v6, v6, v22
	v_cmp_lt_u32_e64 s0, s43, v6
	s_and_b32 s2, s0, exec_lo
.LBB1680_54:
	s_wait_alu 0xfffe
	s_or_b32 exec_lo, exec_lo, s3
	v_lshrrev_b32_e32 v6, 8, v7
	s_wait_alu 0xfffd
	v_cndmask_b32_e64 v22, 0, 1, vcc_lo
	v_lshrrev_b32_e32 v23, 16, v7
	v_cndmask_b32_e64 v24, 0, 1, s2
	v_and_b32_e32 v7, 0xff, v7
	v_lshlrev_b16 v6, 8, v6
	v_lshlrev_b16 v22, 8, v22
	v_and_b32_e32 v23, 0xff, v23
	v_lshlrev_b16 v8, 8, v8
	v_and_b32_e32 v21, 0xff, v21
	v_lshlrev_b16 v5, 8, v5
	v_or_b32_e32 v6, v7, v6
	v_or_b32_e32 v7, v23, v22
	s_delay_alu instid0(VALU_DEP_4) | instskip(NEXT) | instid1(VALU_DEP_4)
	v_or_b32_e32 v8, v21, v8
	v_or_b32_e32 v5, v24, v5
	s_delay_alu instid0(VALU_DEP_4) | instskip(NEXT) | instid1(VALU_DEP_4)
	v_and_b32_e32 v6, 0xffff, v6
	v_lshlrev_b32_e32 v7, 16, v7
	s_delay_alu instid0(VALU_DEP_4) | instskip(NEXT) | instid1(VALU_DEP_4)
	v_lshlrev_b32_e32 v8, 16, v8
	v_and_b32_e32 v5, 0xffff, v5
	s_delay_alu instid0(VALU_DEP_3) | instskip(NEXT) | instid1(VALU_DEP_2)
	v_or_b32_e32 v42, v6, v7
	v_or_b32_e32 v6, v5, v8
.LBB1680_55:
	s_or_b32 exec_lo, exec_lo, s1
	v_add_nc_u32_e32 v5, 4, v41
	v_lshrrev_b32_e32 v21, 8, v4
	v_lshrrev_b32_e32 v22, 16, v4
	;; [unrolled: 1-line block ×4, first 2 shown]
	v_cmp_le_u32_e32 vcc_lo, s33, v5
	v_lshrrev_b32_e32 v8, 16, v6
                                        ; implicit-def: $vgpr4
                                        ; implicit-def: $vgpr5
	s_and_saveexec_b32 s0, vcc_lo
	s_delay_alu instid0(SALU_CYCLE_1)
	s_xor_b32 s0, exec_lo, s0
	s_cbranch_execz .LBB1680_57
; %bb.56:
	v_lshlrev_b16 v4, 8, v23
	v_and_b32_e32 v5, 0xff, v22
	v_lshlrev_b16 v21, 8, v21
	v_lshlrev_b16 v7, 8, v7
	v_and_b32_e32 v8, 0xff, v8
	v_perm_b32 v3, v3, v3, 0x3060504
	v_or_b32_e32 v4, v5, v4
	v_and_b32_e32 v5, 0xffff, v21
                                        ; implicit-def: $vgpr21
                                        ; implicit-def: $vgpr22
                                        ; implicit-def: $vgpr23
	s_delay_alu instid0(VALU_DEP_4) | instskip(NEXT) | instid1(VALU_DEP_3)
	v_or_b32_e32 v7, v8, v7
	v_lshlrev_b32_e32 v8, 16, v4
	s_delay_alu instid0(VALU_DEP_2) | instskip(NEXT) | instid1(VALU_DEP_2)
	v_perm_b32 v4, v7, v6, 0x5040c00
                                        ; implicit-def: $vgpr6
                                        ; implicit-def: $vgpr7
	v_or_b32_e32 v5, v5, v8
                                        ; implicit-def: $vgpr8
.LBB1680_57:
	s_and_not1_saveexec_b32 s1, s0
	s_cbranch_execz .LBB1680_61
; %bb.58:
	v_add_nc_u32_e32 v4, s17, v15
	v_add_nc_u32_e32 v5, s19, v15
	s_mov_b32 s2, 0
	s_mov_b32 s3, exec_lo
	s_delay_alu instid0(VALU_DEP_2) | instskip(NEXT) | instid1(VALU_DEP_2)
	v_mul_lo_u32 v4, v4, s16
	v_mul_lo_u32 v5, v5, s18
	s_delay_alu instid0(VALU_DEP_1) | instskip(NEXT) | instid1(VALU_DEP_1)
	v_sub_nc_u32_e32 v4, v4, v5
	v_cmp_lt_u32_e32 vcc_lo, s20, v4
	v_cmpx_ge_u32_e64 s20, v4
	s_cbranch_execz .LBB1680_60
; %bb.59:
	v_add_nc_u32_e32 v4, s22, v15
	v_add_nc_u32_e32 v5, s42, v15
	s_delay_alu instid0(VALU_DEP_2) | instskip(NEXT) | instid1(VALU_DEP_2)
	v_mul_lo_u32 v4, v4, s21
	v_mul_lo_u32 v5, v5, s23
	s_delay_alu instid0(VALU_DEP_1) | instskip(NEXT) | instid1(VALU_DEP_1)
	v_sub_nc_u32_e32 v4, v4, v5
	v_cmp_lt_u32_e64 s0, s43, v4
	s_and_b32 s2, s0, exec_lo
.LBB1680_60:
	s_wait_alu 0xfffe
	s_or_b32 exec_lo, exec_lo, s3
	v_cndmask_b32_e64 v4, 0, 1, s2
	s_wait_alu 0xfffd
	v_cndmask_b32_e64 v5, 0, 1, vcc_lo
	v_lshlrev_b16 v23, 8, v23
	v_and_b32_e32 v22, 0xff, v22
	v_lshlrev_b16 v21, 8, v21
	v_lshlrev_b16 v4, 8, v4
	v_and_b32_e32 v6, 0xff, v6
	v_lshlrev_b16 v7, 8, v7
	v_and_b32_e32 v8, 0xff, v8
	v_or_b32_e32 v22, v22, v23
	v_or_b32_e32 v5, v5, v21
	;; [unrolled: 1-line block ×3, first 2 shown]
	s_delay_alu instid0(VALU_DEP_4) | instskip(NEXT) | instid1(VALU_DEP_4)
	v_or_b32_e32 v6, v8, v7
	v_lshlrev_b32_e32 v7, 16, v22
	s_delay_alu instid0(VALU_DEP_4) | instskip(NEXT) | instid1(VALU_DEP_4)
	v_and_b32_e32 v5, 0xffff, v5
	v_and_b32_e32 v4, 0xffff, v4
	s_delay_alu instid0(VALU_DEP_4) | instskip(NEXT) | instid1(VALU_DEP_3)
	v_lshlrev_b32_e32 v6, 16, v6
	v_or_b32_e32 v5, v5, v7
	s_delay_alu instid0(VALU_DEP_2)
	v_or_b32_e32 v4, v4, v6
.LBB1680_61:
	s_or_b32 exec_lo, exec_lo, s1
	v_add_nc_u32_e32 v6, 5, v41
	s_delay_alu instid0(VALU_DEP_2)
	v_lshrrev_b32_e32 v21, 16, v5
	v_lshrrev_b32_e32 v23, 24, v5
	v_and_b32_e32 v8, 0xff, v4
	v_lshrrev_b32_e32 v22, 8, v4
	v_cmp_le_u32_e32 vcc_lo, s33, v6
                                        ; implicit-def: $vgpr6
                                        ; implicit-def: $vgpr7
	s_and_saveexec_b32 s0, vcc_lo
	s_delay_alu instid0(SALU_CYCLE_1)
	s_xor_b32 s0, exec_lo, s0
	s_cbranch_execz .LBB1680_63
; %bb.62:
	v_lshlrev_b16 v6, 8, v22
	v_lshlrev_b16 v7, 8, v23
	v_and_b32_e32 v21, 0xff, v21
	v_perm_b32 v3, v3, v3, 0x3060504
                                        ; implicit-def: $vgpr23
                                        ; implicit-def: $vgpr22
	s_delay_alu instid0(VALU_DEP_4) | instskip(NEXT) | instid1(VALU_DEP_3)
	v_or_b32_e32 v6, v8, v6
                                        ; implicit-def: $vgpr8
	v_or_b32_e32 v7, v21, v7
                                        ; implicit-def: $vgpr21
	s_delay_alu instid0(VALU_DEP_2) | instskip(NEXT) | instid1(VALU_DEP_2)
	v_and_b32_e32 v6, 0xffff, v6
	v_perm_b32 v7, v7, v5, 0x5040c00
                                        ; implicit-def: $vgpr5
	s_delay_alu instid0(VALU_DEP_2)
	v_and_or_b32 v6, 0xff000000, v4, v6
                                        ; implicit-def: $vgpr4
.LBB1680_63:
	s_and_not1_saveexec_b32 s1, s0
	s_cbranch_execz .LBB1680_67
; %bb.64:
	v_add_nc_u32_e32 v6, s17, v16
	v_add_nc_u32_e32 v7, s19, v16
	s_mov_b32 s2, 0
	s_mov_b32 s3, exec_lo
	s_delay_alu instid0(VALU_DEP_2) | instskip(NEXT) | instid1(VALU_DEP_2)
	v_mul_lo_u32 v6, v6, s16
	v_mul_lo_u32 v7, v7, s18
	s_delay_alu instid0(VALU_DEP_1) | instskip(NEXT) | instid1(VALU_DEP_1)
	v_sub_nc_u32_e32 v6, v6, v7
	v_cmp_lt_u32_e32 vcc_lo, s20, v6
	v_cmpx_ge_u32_e64 s20, v6
	s_cbranch_execz .LBB1680_66
; %bb.65:
	v_add_nc_u32_e32 v6, s22, v16
	v_add_nc_u32_e32 v7, s42, v16
	s_delay_alu instid0(VALU_DEP_2) | instskip(NEXT) | instid1(VALU_DEP_2)
	v_mul_lo_u32 v6, v6, s21
	v_mul_lo_u32 v7, v7, s23
	s_delay_alu instid0(VALU_DEP_1) | instskip(NEXT) | instid1(VALU_DEP_1)
	v_sub_nc_u32_e32 v6, v6, v7
	v_cmp_lt_u32_e64 s0, s43, v6
	s_and_b32 s2, s0, exec_lo
.LBB1680_66:
	s_wait_alu 0xfffe
	s_or_b32 exec_lo, exec_lo, s3
	s_wait_alu 0xfffd
	v_cndmask_b32_e64 v6, 0, 1, vcc_lo
	v_lshrrev_b32_e32 v4, 24, v4
	v_cndmask_b32_e64 v7, 0, 1, s2
	v_lshlrev_b16 v23, 8, v23
	v_and_b32_e32 v21, 0xff, v21
	v_lshlrev_b16 v6, 8, v6
	v_lshlrev_b16 v22, 8, v22
	v_and_b32_e32 v5, 0xff, v5
	v_lshlrev_b16 v4, 8, v4
	v_or_b32_e32 v21, v21, v23
	s_delay_alu instid0(VALU_DEP_4) | instskip(NEXT) | instid1(VALU_DEP_4)
	v_or_b32_e32 v8, v8, v22
	v_or_b32_e32 v5, v5, v6
	s_delay_alu instid0(VALU_DEP_4) | instskip(NEXT) | instid1(VALU_DEP_4)
	v_or_b32_e32 v4, v7, v4
	v_lshlrev_b32_e32 v6, 16, v21
	s_delay_alu instid0(VALU_DEP_4) | instskip(NEXT) | instid1(VALU_DEP_4)
	v_and_b32_e32 v8, 0xffff, v8
	v_and_b32_e32 v5, 0xffff, v5
	s_delay_alu instid0(VALU_DEP_4) | instskip(NEXT) | instid1(VALU_DEP_2)
	v_lshlrev_b32_e32 v4, 16, v4
	v_or_b32_e32 v7, v5, v6
	s_delay_alu instid0(VALU_DEP_2)
	v_or_b32_e32 v6, v8, v4
.LBB1680_67:
	s_or_b32 exec_lo, exec_lo, s1
	v_add_nc_u32_e32 v4, 6, v41
	s_delay_alu instid0(VALU_DEP_3) | instskip(NEXT) | instid1(VALU_DEP_2)
	v_lshrrev_b32_e32 v8, 8, v7
                                        ; implicit-def: $vgpr43
                                        ; implicit-def: $vgpr5
	v_cmp_le_u32_e32 vcc_lo, s33, v4
	v_and_b32_e32 v4, 0xff, v7
	s_and_saveexec_b32 s0, vcc_lo
	s_delay_alu instid0(SALU_CYCLE_1)
	s_xor_b32 s0, exec_lo, s0
	s_cbranch_execz .LBB1680_69
; %bb.68:
	v_lshlrev_b16 v5, 8, v8
	v_perm_b32 v3, v3, v3, 0x3060504
                                        ; implicit-def: $vgpr8
	s_delay_alu instid0(VALU_DEP_2) | instskip(SKIP_1) | instid1(VALU_DEP_2)
	v_or_b32_e32 v4, v4, v5
	v_and_b32_e32 v5, 0xff0000, v6
	v_and_b32_e32 v4, 0xffff, v4
	s_delay_alu instid0(VALU_DEP_2) | instskip(NEXT) | instid1(VALU_DEP_2)
	v_perm_b32 v43, v6, v5, 0x3020504
                                        ; implicit-def: $vgpr6
	v_and_or_b32 v5, 0xff000000, v7, v4
                                        ; implicit-def: $vgpr4
                                        ; implicit-def: $vgpr7
.LBB1680_69:
	s_and_not1_saveexec_b32 s1, s0
	s_cbranch_execz .LBB1680_73
; %bb.70:
	v_add_nc_u32_e32 v5, s17, v13
	v_add_nc_u32_e32 v21, s19, v13
	s_mov_b32 s2, 0
	s_mov_b32 s3, exec_lo
	s_delay_alu instid0(VALU_DEP_2) | instskip(NEXT) | instid1(VALU_DEP_2)
	v_mul_lo_u32 v5, v5, s16
	v_mul_lo_u32 v21, v21, s18
	s_delay_alu instid0(VALU_DEP_1) | instskip(NEXT) | instid1(VALU_DEP_1)
	v_sub_nc_u32_e32 v5, v5, v21
	v_cmp_lt_u32_e32 vcc_lo, s20, v5
	v_cmpx_ge_u32_e64 s20, v5
	s_cbranch_execz .LBB1680_72
; %bb.71:
	v_add_nc_u32_e32 v5, s22, v13
	v_add_nc_u32_e32 v21, s42, v13
	s_delay_alu instid0(VALU_DEP_2) | instskip(NEXT) | instid1(VALU_DEP_2)
	v_mul_lo_u32 v5, v5, s21
	v_mul_lo_u32 v21, v21, s23
	s_delay_alu instid0(VALU_DEP_1) | instskip(NEXT) | instid1(VALU_DEP_1)
	v_sub_nc_u32_e32 v5, v5, v21
	v_cmp_lt_u32_e64 s0, s43, v5
	s_and_b32 s2, s0, exec_lo
.LBB1680_72:
	s_wait_alu 0xfffe
	s_or_b32 exec_lo, exec_lo, s3
	v_lshrrev_b32_e32 v7, 24, v7
	v_cndmask_b32_e64 v21, 0, 1, s2
	v_lshrrev_b32_e32 v22, 8, v6
	v_lshrrev_b32_e32 v23, 16, v6
	s_wait_alu 0xfffd
	v_cndmask_b32_e64 v5, 0, 1, vcc_lo
	v_lshlrev_b16 v8, 8, v8
	v_lshlrev_b16 v7, 8, v7
	v_and_b32_e32 v6, 0xff, v6
	v_lshlrev_b16 v22, 8, v22
	v_lshlrev_b16 v21, 8, v21
	v_and_b32_e32 v23, 0xff, v23
	v_or_b32_e32 v4, v4, v8
	v_or_b32_e32 v5, v5, v7
	;; [unrolled: 1-line block ×3, first 2 shown]
	s_delay_alu instid0(VALU_DEP_4) | instskip(NEXT) | instid1(VALU_DEP_4)
	v_or_b32_e32 v7, v23, v21
	v_and_b32_e32 v4, 0xffff, v4
	s_delay_alu instid0(VALU_DEP_4) | instskip(NEXT) | instid1(VALU_DEP_4)
	v_lshlrev_b32_e32 v5, 16, v5
	v_and_b32_e32 v6, 0xffff, v6
	s_delay_alu instid0(VALU_DEP_4) | instskip(NEXT) | instid1(VALU_DEP_3)
	v_lshlrev_b32_e32 v7, 16, v7
	v_or_b32_e32 v5, v4, v5
	s_delay_alu instid0(VALU_DEP_2)
	v_or_b32_e32 v43, v6, v7
.LBB1680_73:
	s_or_b32 exec_lo, exec_lo, s1
	v_add_nc_u32_e32 v4, 7, v41
	v_lshrrev_b32_e32 v6, 8, v3
	v_lshrrev_b32_e32 v7, 16, v3
	;; [unrolled: 1-line block ×3, first 2 shown]
                                        ; implicit-def: $vgpr44
	s_delay_alu instid0(VALU_DEP_4) | instskip(SKIP_1) | instid1(SALU_CYCLE_1)
	v_cmp_le_u32_e32 vcc_lo, s33, v4
                                        ; implicit-def: $vgpr4
	s_and_saveexec_b32 s0, vcc_lo
	s_xor_b32 s0, exec_lo, s0
	s_cbranch_execz .LBB1680_75
; %bb.74:
	v_lshlrev_b16 v3, 8, v3
	v_and_b32_e32 v4, 0xff, v7
                                        ; implicit-def: $vgpr7
	s_delay_alu instid0(VALU_DEP_1) | instskip(SKIP_2) | instid1(VALU_DEP_3)
	v_or_b32_e32 v3, v4, v3
	v_lshlrev_b16 v4, 8, v6
	v_and_b32_e32 v6, 0xff0000, v5
	v_lshlrev_b32_e32 v3, 16, v3
	s_delay_alu instid0(VALU_DEP_3) | instskip(NEXT) | instid1(VALU_DEP_3)
	v_and_b32_e32 v4, 0xffff, v4
	v_perm_b32 v44, v5, v6, 0x3020504
                                        ; implicit-def: $vgpr5
                                        ; implicit-def: $vgpr6
	s_delay_alu instid0(VALU_DEP_2)
	v_or_b32_e32 v4, v4, v3
                                        ; implicit-def: $vgpr3
.LBB1680_75:
	s_and_not1_saveexec_b32 s1, s0
	s_cbranch_execz .LBB1680_79
; %bb.76:
	v_add_nc_u32_e32 v4, s17, v14
	v_add_nc_u32_e32 v8, s19, v14
	s_mov_b32 s2, 0
	s_mov_b32 s3, exec_lo
	s_delay_alu instid0(VALU_DEP_2) | instskip(NEXT) | instid1(VALU_DEP_2)
	v_mul_lo_u32 v4, v4, s16
	v_mul_lo_u32 v8, v8, s18
	s_delay_alu instid0(VALU_DEP_1) | instskip(NEXT) | instid1(VALU_DEP_1)
	v_sub_nc_u32_e32 v4, v4, v8
	v_cmp_lt_u32_e32 vcc_lo, s20, v4
	v_cmpx_ge_u32_e64 s20, v4
	s_cbranch_execz .LBB1680_78
; %bb.77:
	v_add_nc_u32_e32 v4, s22, v14
	v_add_nc_u32_e32 v8, s42, v14
	s_delay_alu instid0(VALU_DEP_2) | instskip(NEXT) | instid1(VALU_DEP_2)
	v_mul_lo_u32 v4, v4, s21
	v_mul_lo_u32 v8, v8, s23
	s_delay_alu instid0(VALU_DEP_1) | instskip(NEXT) | instid1(VALU_DEP_1)
	v_sub_nc_u32_e32 v4, v4, v8
	v_cmp_lt_u32_e64 s0, s43, v4
	s_and_b32 s2, s0, exec_lo
.LBB1680_78:
	s_wait_alu 0xfffe
	s_or_b32 exec_lo, exec_lo, s3
	v_lshrrev_b32_e32 v4, 8, v5
	s_wait_alu 0xfffd
	v_cndmask_b32_e64 v8, 0, 1, vcc_lo
	v_lshrrev_b32_e32 v21, 16, v5
	v_cndmask_b32_e64 v22, 0, 1, s2
	v_and_b32_e32 v5, 0xff, v5
	v_lshlrev_b16 v4, 8, v4
	v_lshlrev_b16 v8, 8, v8
	v_and_b32_e32 v21, 0xff, v21
	v_lshlrev_b16 v3, 8, v3
	v_and_b32_e32 v7, 0xff, v7
	v_lshlrev_b16 v6, 8, v6
	v_or_b32_e32 v4, v5, v4
	v_or_b32_e32 v5, v21, v8
	s_delay_alu instid0(VALU_DEP_4) | instskip(NEXT) | instid1(VALU_DEP_4)
	v_or_b32_e32 v3, v7, v3
	v_or_b32_e32 v6, v22, v6
	s_delay_alu instid0(VALU_DEP_4) | instskip(NEXT) | instid1(VALU_DEP_4)
	v_and_b32_e32 v4, 0xffff, v4
	v_lshlrev_b32_e32 v5, 16, v5
	s_delay_alu instid0(VALU_DEP_4) | instskip(NEXT) | instid1(VALU_DEP_4)
	v_lshlrev_b32_e32 v3, 16, v3
	v_and_b32_e32 v6, 0xffff, v6
	s_delay_alu instid0(VALU_DEP_3) | instskip(NEXT) | instid1(VALU_DEP_2)
	v_or_b32_e32 v44, v4, v5
	v_or_b32_e32 v4, v6, v3
.LBB1680_79:
	s_or_b32 exec_lo, exec_lo, s1
	v_add_nc_u32_e32 v3, 8, v41
	s_delay_alu instid0(VALU_DEP_2)
	v_lshrrev_b32_e32 v5, 16, v4
	v_lshrrev_b32_e32 v6, 24, v4
	;; [unrolled: 1-line block ×4, first 2 shown]
	v_cmp_le_u32_e32 vcc_lo, s33, v3
	v_lshrrev_b32_e32 v7, 8, v2
                                        ; implicit-def: $vgpr2
                                        ; implicit-def: $vgpr3
	s_and_saveexec_b32 s0, vcc_lo
	s_delay_alu instid0(SALU_CYCLE_1)
	s_xor_b32 s0, exec_lo, s0
	s_cbranch_execz .LBB1680_81
; %bb.80:
	v_lshlrev_b16 v2, 8, v8
	v_and_b32_e32 v3, 0xff, v21
	v_lshlrev_b16 v7, 8, v7
	v_lshlrev_b16 v6, 8, v6
	v_perm_b32 v1, v1, v1, 0x3060504
                                        ; implicit-def: $vgpr8
                                        ; implicit-def: $vgpr21
	s_delay_alu instid0(VALU_DEP_4) | instskip(SKIP_2) | instid1(VALU_DEP_3)
	v_or_b32_e32 v2, v3, v2
	v_and_b32_e32 v3, 0xff, v5
	v_and_b32_e32 v5, 0xffff, v7
                                        ; implicit-def: $vgpr7
	v_lshlrev_b32_e32 v2, 16, v2
	s_delay_alu instid0(VALU_DEP_3) | instskip(NEXT) | instid1(VALU_DEP_2)
	v_or_b32_e32 v6, v3, v6
	v_or_b32_e32 v3, v5, v2
	s_delay_alu instid0(VALU_DEP_2)
	v_perm_b32 v2, v6, v4, 0x5040c00
                                        ; implicit-def: $vgpr4
                                        ; implicit-def: $vgpr5
                                        ; implicit-def: $vgpr6
.LBB1680_81:
	s_and_not1_saveexec_b32 s1, s0
	s_cbranch_execz .LBB1680_85
; %bb.82:
	v_add_nc_u32_e32 v2, s17, v11
	v_add_nc_u32_e32 v3, s19, v11
	s_mov_b32 s2, 0
	s_mov_b32 s3, exec_lo
	s_delay_alu instid0(VALU_DEP_2) | instskip(NEXT) | instid1(VALU_DEP_2)
	v_mul_lo_u32 v2, v2, s16
	v_mul_lo_u32 v3, v3, s18
	s_delay_alu instid0(VALU_DEP_1) | instskip(NEXT) | instid1(VALU_DEP_1)
	v_sub_nc_u32_e32 v2, v2, v3
	v_cmp_lt_u32_e32 vcc_lo, s20, v2
	v_cmpx_ge_u32_e64 s20, v2
	s_cbranch_execz .LBB1680_84
; %bb.83:
	v_add_nc_u32_e32 v2, s22, v11
	v_add_nc_u32_e32 v3, s42, v11
	s_delay_alu instid0(VALU_DEP_2) | instskip(NEXT) | instid1(VALU_DEP_2)
	v_mul_lo_u32 v2, v2, s21
	v_mul_lo_u32 v3, v3, s23
	s_delay_alu instid0(VALU_DEP_1) | instskip(NEXT) | instid1(VALU_DEP_1)
	v_sub_nc_u32_e32 v2, v2, v3
	v_cmp_lt_u32_e64 s0, s43, v2
	s_and_b32 s2, s0, exec_lo
.LBB1680_84:
	s_wait_alu 0xfffe
	s_or_b32 exec_lo, exec_lo, s3
	v_cndmask_b32_e64 v2, 0, 1, s2
	s_wait_alu 0xfffd
	v_cndmask_b32_e64 v3, 0, 1, vcc_lo
	v_lshlrev_b16 v8, 8, v8
	v_and_b32_e32 v21, 0xff, v21
	v_lshlrev_b16 v7, 8, v7
	v_lshlrev_b16 v2, 8, v2
	v_and_b32_e32 v4, 0xff, v4
	v_lshlrev_b16 v6, 8, v6
	v_and_b32_e32 v5, 0xff, v5
	v_or_b32_e32 v8, v21, v8
	v_or_b32_e32 v3, v3, v7
	v_or_b32_e32 v2, v4, v2
	s_delay_alu instid0(VALU_DEP_4) | instskip(NEXT) | instid1(VALU_DEP_4)
	v_or_b32_e32 v4, v5, v6
	v_lshlrev_b32_e32 v5, 16, v8
	s_delay_alu instid0(VALU_DEP_4) | instskip(NEXT) | instid1(VALU_DEP_4)
	v_and_b32_e32 v3, 0xffff, v3
	v_and_b32_e32 v2, 0xffff, v2
	s_delay_alu instid0(VALU_DEP_4) | instskip(NEXT) | instid1(VALU_DEP_3)
	v_lshlrev_b32_e32 v4, 16, v4
	v_or_b32_e32 v3, v3, v5
	s_delay_alu instid0(VALU_DEP_2)
	v_or_b32_e32 v2, v2, v4
.LBB1680_85:
	s_or_b32 exec_lo, exec_lo, s1
	v_add_nc_u32_e32 v4, 9, v41
	s_delay_alu instid0(VALU_DEP_2)
	v_lshrrev_b32_e32 v6, 8, v2
	v_lshrrev_b32_e32 v21, 24, v3
	;; [unrolled: 1-line block ×3, first 2 shown]
	v_and_b32_e32 v7, 0xff, v2
	v_cmp_le_u32_e32 vcc_lo, s33, v4
                                        ; implicit-def: $vgpr4
                                        ; implicit-def: $vgpr5
	s_and_saveexec_b32 s0, vcc_lo
	s_delay_alu instid0(SALU_CYCLE_1)
	s_xor_b32 s0, exec_lo, s0
	s_cbranch_execz .LBB1680_87
; %bb.86:
	v_lshlrev_b16 v4, 8, v6
	v_lshlrev_b16 v5, 8, v21
	v_and_b32_e32 v6, 0xff, v8
	v_perm_b32 v1, v1, v1, 0x3060504
                                        ; implicit-def: $vgpr21
                                        ; implicit-def: $vgpr8
	s_delay_alu instid0(VALU_DEP_4) | instskip(NEXT) | instid1(VALU_DEP_3)
	v_or_b32_e32 v4, v7, v4
                                        ; implicit-def: $vgpr7
	v_or_b32_e32 v5, v6, v5
                                        ; implicit-def: $vgpr6
	s_delay_alu instid0(VALU_DEP_2) | instskip(NEXT) | instid1(VALU_DEP_2)
	v_and_b32_e32 v4, 0xffff, v4
	v_perm_b32 v5, v5, v3, 0x5040c00
                                        ; implicit-def: $vgpr3
	s_delay_alu instid0(VALU_DEP_2)
	v_and_or_b32 v4, 0xff000000, v2, v4
                                        ; implicit-def: $vgpr2
.LBB1680_87:
	s_and_not1_saveexec_b32 s1, s0
	s_cbranch_execz .LBB1680_91
; %bb.88:
	v_add_nc_u32_e32 v4, s17, v12
	v_add_nc_u32_e32 v5, s19, v12
	s_mov_b32 s2, 0
	s_mov_b32 s3, exec_lo
	s_delay_alu instid0(VALU_DEP_2) | instskip(NEXT) | instid1(VALU_DEP_2)
	v_mul_lo_u32 v4, v4, s16
	v_mul_lo_u32 v5, v5, s18
	s_delay_alu instid0(VALU_DEP_1) | instskip(NEXT) | instid1(VALU_DEP_1)
	v_sub_nc_u32_e32 v4, v4, v5
	v_cmp_lt_u32_e32 vcc_lo, s20, v4
	v_cmpx_ge_u32_e64 s20, v4
	s_cbranch_execz .LBB1680_90
; %bb.89:
	v_add_nc_u32_e32 v4, s22, v12
	v_add_nc_u32_e32 v5, s42, v12
	s_delay_alu instid0(VALU_DEP_2) | instskip(NEXT) | instid1(VALU_DEP_2)
	v_mul_lo_u32 v4, v4, s21
	v_mul_lo_u32 v5, v5, s23
	s_delay_alu instid0(VALU_DEP_1) | instskip(NEXT) | instid1(VALU_DEP_1)
	v_sub_nc_u32_e32 v4, v4, v5
	v_cmp_lt_u32_e64 s0, s43, v4
	s_and_b32 s2, s0, exec_lo
.LBB1680_90:
	s_wait_alu 0xfffe
	s_or_b32 exec_lo, exec_lo, s3
	s_wait_alu 0xfffd
	v_cndmask_b32_e64 v4, 0, 1, vcc_lo
	v_lshrrev_b32_e32 v2, 24, v2
	v_cndmask_b32_e64 v5, 0, 1, s2
	v_lshlrev_b16 v21, 8, v21
	v_and_b32_e32 v8, 0xff, v8
	v_lshlrev_b16 v4, 8, v4
	v_lshlrev_b16 v6, 8, v6
	v_and_b32_e32 v3, 0xff, v3
	v_lshlrev_b16 v2, 8, v2
	v_or_b32_e32 v8, v8, v21
	s_delay_alu instid0(VALU_DEP_4) | instskip(NEXT) | instid1(VALU_DEP_4)
	v_or_b32_e32 v6, v7, v6
	v_or_b32_e32 v3, v3, v4
	s_delay_alu instid0(VALU_DEP_4) | instskip(NEXT) | instid1(VALU_DEP_4)
	v_or_b32_e32 v2, v5, v2
	v_lshlrev_b32_e32 v4, 16, v8
	s_delay_alu instid0(VALU_DEP_4) | instskip(NEXT) | instid1(VALU_DEP_4)
	v_and_b32_e32 v6, 0xffff, v6
	v_and_b32_e32 v3, 0xffff, v3
	s_delay_alu instid0(VALU_DEP_4) | instskip(NEXT) | instid1(VALU_DEP_2)
	v_lshlrev_b32_e32 v2, 16, v2
	v_or_b32_e32 v5, v3, v4
	s_delay_alu instid0(VALU_DEP_2)
	v_or_b32_e32 v4, v6, v2
.LBB1680_91:
	s_or_b32 exec_lo, exec_lo, s1
	v_add_nc_u32_e32 v2, 10, v41
	s_delay_alu instid0(VALU_DEP_3) | instskip(SKIP_1) | instid1(VALU_DEP_3)
	v_and_b32_e32 v3, 0xff, v5
	v_lshrrev_b32_e32 v6, 8, v5
                                        ; implicit-def: $vgpr46
	v_cmp_le_u32_e32 vcc_lo, s33, v2
                                        ; implicit-def: $vgpr2
	s_and_saveexec_b32 s0, vcc_lo
	s_delay_alu instid0(SALU_CYCLE_1)
	s_xor_b32 s0, exec_lo, s0
	s_cbranch_execz .LBB1680_93
; %bb.92:
	v_lshlrev_b16 v2, 8, v6
	v_perm_b32 v1, v1, v1, 0x3060504
                                        ; implicit-def: $vgpr6
	s_delay_alu instid0(VALU_DEP_2) | instskip(SKIP_1) | instid1(VALU_DEP_2)
	v_or_b32_e32 v2, v3, v2
	v_and_b32_e32 v3, 0xff0000, v4
	v_and_b32_e32 v2, 0xffff, v2
	s_delay_alu instid0(VALU_DEP_2) | instskip(NEXT) | instid1(VALU_DEP_2)
	v_perm_b32 v46, v4, v3, 0x3020504
                                        ; implicit-def: $vgpr3
                                        ; implicit-def: $vgpr4
	v_and_or_b32 v2, 0xff000000, v5, v2
                                        ; implicit-def: $vgpr5
.LBB1680_93:
	s_and_not1_saveexec_b32 s1, s0
	s_cbranch_execz .LBB1680_97
; %bb.94:
	v_add_nc_u32_e32 v2, s17, v9
	v_add_nc_u32_e32 v7, s19, v9
	s_mov_b32 s2, 0
	s_mov_b32 s3, exec_lo
	s_delay_alu instid0(VALU_DEP_2) | instskip(NEXT) | instid1(VALU_DEP_2)
	v_mul_lo_u32 v2, v2, s16
	v_mul_lo_u32 v7, v7, s18
	s_delay_alu instid0(VALU_DEP_1) | instskip(NEXT) | instid1(VALU_DEP_1)
	v_sub_nc_u32_e32 v2, v2, v7
	v_cmp_lt_u32_e32 vcc_lo, s20, v2
	v_cmpx_ge_u32_e64 s20, v2
	s_cbranch_execz .LBB1680_96
; %bb.95:
	v_add_nc_u32_e32 v2, s22, v9
	v_add_nc_u32_e32 v7, s42, v9
	s_delay_alu instid0(VALU_DEP_2) | instskip(NEXT) | instid1(VALU_DEP_2)
	v_mul_lo_u32 v2, v2, s21
	v_mul_lo_u32 v7, v7, s23
	s_delay_alu instid0(VALU_DEP_1) | instskip(NEXT) | instid1(VALU_DEP_1)
	v_sub_nc_u32_e32 v2, v2, v7
	v_cmp_lt_u32_e64 s0, s43, v2
	s_and_b32 s2, s0, exec_lo
.LBB1680_96:
	s_wait_alu 0xfffe
	s_or_b32 exec_lo, exec_lo, s3
	v_lshrrev_b32_e32 v5, 24, v5
	v_cndmask_b32_e64 v7, 0, 1, s2
	v_lshrrev_b32_e32 v8, 8, v4
	v_lshrrev_b32_e32 v21, 16, v4
	s_wait_alu 0xfffd
	v_cndmask_b32_e64 v2, 0, 1, vcc_lo
	v_lshlrev_b16 v6, 8, v6
	v_lshlrev_b16 v5, 8, v5
	v_and_b32_e32 v4, 0xff, v4
	v_lshlrev_b16 v8, 8, v8
	v_lshlrev_b16 v7, 8, v7
	v_and_b32_e32 v21, 0xff, v21
	v_or_b32_e32 v3, v3, v6
	v_or_b32_e32 v2, v2, v5
	;; [unrolled: 1-line block ×3, first 2 shown]
	s_delay_alu instid0(VALU_DEP_4) | instskip(NEXT) | instid1(VALU_DEP_4)
	v_or_b32_e32 v5, v21, v7
	v_and_b32_e32 v3, 0xffff, v3
	s_delay_alu instid0(VALU_DEP_4) | instskip(NEXT) | instid1(VALU_DEP_4)
	v_lshlrev_b32_e32 v2, 16, v2
	v_and_b32_e32 v4, 0xffff, v4
	s_delay_alu instid0(VALU_DEP_4) | instskip(NEXT) | instid1(VALU_DEP_3)
	v_lshlrev_b32_e32 v5, 16, v5
	v_or_b32_e32 v2, v3, v2
	s_delay_alu instid0(VALU_DEP_2)
	v_or_b32_e32 v46, v4, v5
.LBB1680_97:
	s_or_b32 exec_lo, exec_lo, s1
	v_add_nc_u32_e32 v3, 11, v41
	v_mov_b32_e32 v45, 0
	s_mov_b32 s0, exec_lo
                                        ; implicit-def: $vgpr47
	s_delay_alu instid0(VALU_DEP_2)
	v_cmpx_le_u32_e64 s33, v3
	s_xor_b32 s0, exec_lo, s0
; %bb.98:
	v_and_b32_e32 v3, 0xff0000, v2
	v_perm_b32 v1, v1, v1, 0x3060504
	s_delay_alu instid0(VALU_DEP_2)
	v_perm_b32 v47, v2, v3, 0x3020504
                                        ; implicit-def: $vgpr2
; %bb.99:
	s_and_not1_saveexec_b32 s1, s0
	s_cbranch_execz .LBB1680_103
; %bb.100:
	v_add_nc_u32_e32 v3, s17, v10
	v_add_nc_u32_e32 v4, s19, v10
	s_mov_b32 s2, 0
	s_mov_b32 s3, exec_lo
	s_delay_alu instid0(VALU_DEP_2) | instskip(NEXT) | instid1(VALU_DEP_2)
	v_mul_lo_u32 v3, v3, s16
	v_mul_lo_u32 v4, v4, s18
	s_delay_alu instid0(VALU_DEP_1) | instskip(NEXT) | instid1(VALU_DEP_1)
	v_sub_nc_u32_e32 v3, v3, v4
	v_cmp_lt_u32_e32 vcc_lo, s20, v3
	v_cmpx_ge_u32_e64 s20, v3
	s_cbranch_execz .LBB1680_102
; %bb.101:
	v_add_nc_u32_e32 v3, s22, v10
	v_add_nc_u32_e32 v4, s42, v10
	s_delay_alu instid0(VALU_DEP_2) | instskip(NEXT) | instid1(VALU_DEP_2)
	v_mul_lo_u32 v3, v3, s21
	v_mul_lo_u32 v4, v4, s23
	s_delay_alu instid0(VALU_DEP_1) | instskip(NEXT) | instid1(VALU_DEP_1)
	v_sub_nc_u32_e32 v3, v3, v4
	v_cmp_lt_u32_e64 s0, s43, v3
	s_and_b32 s2, s0, exec_lo
.LBB1680_102:
	s_wait_alu 0xfffe
	s_or_b32 exec_lo, exec_lo, s3
	v_lshrrev_b32_e32 v3, 8, v2
	s_wait_alu 0xfffd
	v_cndmask_b32_e64 v4, 0, 1, vcc_lo
	v_lshrrev_b32_e32 v5, 16, v2
	v_and_b32_e32 v2, 0xff, v2
	v_cndmask_b32_e64 v45, 0, 1, s2
	v_lshlrev_b16 v3, 8, v3
	v_lshlrev_b16 v4, 8, v4
	v_and_b32_e32 v5, 0xff, v5
	s_delay_alu instid0(VALU_DEP_3) | instskip(NEXT) | instid1(VALU_DEP_2)
	v_or_b32_e32 v2, v2, v3
	v_or_b32_e32 v3, v5, v4
	s_delay_alu instid0(VALU_DEP_2) | instskip(NEXT) | instid1(VALU_DEP_2)
	v_and_b32_e32 v2, 0xffff, v2
	v_lshlrev_b32_e32 v3, 16, v3
	s_delay_alu instid0(VALU_DEP_1)
	v_or_b32_e32 v47, v2, v3
.LBB1680_103:
	s_or_b32 exec_lo, exec_lo, s1
	v_add_nc_u32_e32 v4, 12, v41
	v_lshrrev_b32_e32 v2, 8, v1
	v_lshrrev_b32_e32 v3, 16, v1
	;; [unrolled: 1-line block ×3, first 2 shown]
	s_mov_b32 s0, exec_lo
                                        ; implicit-def: $vgpr49
	v_cmpx_le_u32_e64 s33, v4
	s_xor_b32 s0, exec_lo, s0
	s_cbranch_execz .LBB1680_105
; %bb.104:
	v_lshlrev_b16 v1, 8, v1
	v_and_b32_e32 v3, 0xff, v3
	v_lshlrev_b16 v2, 8, v2
	s_delay_alu instid0(VALU_DEP_2) | instskip(NEXT) | instid1(VALU_DEP_2)
	v_or_b32_e32 v1, v3, v1
	v_and_b32_e32 v2, 0xffff, v2
                                        ; implicit-def: $vgpr3
	s_delay_alu instid0(VALU_DEP_2) | instskip(NEXT) | instid1(VALU_DEP_1)
	v_lshlrev_b32_e32 v1, 16, v1
	v_or_b32_e32 v49, v2, v1
                                        ; implicit-def: $vgpr1
                                        ; implicit-def: $vgpr2
.LBB1680_105:
	s_or_saveexec_b32 s1, s0
	v_mov_b32_e32 v48, 0
	s_xor_b32 exec_lo, exec_lo, s1
	s_cbranch_execz .LBB1680_109
; %bb.106:
	v_add_nc_u32_e32 v4, s17, v40
	v_add_nc_u32_e32 v5, s19, v40
	s_mov_b32 s2, 0
	s_mov_b32 s3, exec_lo
	s_delay_alu instid0(VALU_DEP_2) | instskip(NEXT) | instid1(VALU_DEP_2)
	v_mul_lo_u32 v4, v4, s16
	v_mul_lo_u32 v5, v5, s18
	s_delay_alu instid0(VALU_DEP_1) | instskip(NEXT) | instid1(VALU_DEP_1)
	v_sub_nc_u32_e32 v4, v4, v5
	v_cmp_lt_u32_e32 vcc_lo, s20, v4
	v_cmpx_ge_u32_e64 s20, v4
	s_cbranch_execz .LBB1680_108
; %bb.107:
	v_add_nc_u32_e32 v4, s22, v40
	v_add_nc_u32_e32 v5, s42, v40
	s_delay_alu instid0(VALU_DEP_2) | instskip(NEXT) | instid1(VALU_DEP_2)
	v_mul_lo_u32 v4, v4, s21
	v_mul_lo_u32 v5, v5, s23
	s_delay_alu instid0(VALU_DEP_1) | instskip(NEXT) | instid1(VALU_DEP_1)
	v_sub_nc_u32_e32 v4, v4, v5
	v_cmp_lt_u32_e64 s0, s43, v4
	s_and_b32 s2, s0, exec_lo
.LBB1680_108:
	s_wait_alu 0xfffe
	s_or_b32 exec_lo, exec_lo, s3
	s_wait_alu 0xfffd
	v_cndmask_b32_e64 v4, 0, 1, vcc_lo
	v_lshlrev_b16 v1, 8, v1
	v_and_b32_e32 v3, 0xff, v3
	v_lshlrev_b16 v2, 8, v2
	v_cndmask_b32_e64 v48, 0, 1, s2
	s_delay_alu instid0(VALU_DEP_3) | instskip(NEXT) | instid1(VALU_DEP_3)
	v_or_b32_e32 v1, v3, v1
	v_or_b32_e32 v2, v4, v2
	s_delay_alu instid0(VALU_DEP_2) | instskip(NEXT) | instid1(VALU_DEP_2)
	v_lshlrev_b32_e32 v1, 16, v1
	v_and_b32_e32 v2, 0xffff, v2
	s_delay_alu instid0(VALU_DEP_1)
	v_or_b32_e32 v49, v2, v1
.LBB1680_109:
	s_or_b32 exec_lo, exec_lo, s1
.LBB1680_110:
	v_and_b32_e32 v72, 0xff, v42
	s_delay_alu instid0(VALU_DEP_2)
	v_bfe_u32 v73, v49, 8, 8
	v_bfe_u32 v70, v42, 8, 8
	;; [unrolled: 1-line block ×4, first 2 shown]
	v_lshrrev_b32_e32 v55, 24, v49
	v_lshrrev_b32_e32 v54, 24, v42
	v_and_b32_e32 v68, 0xff, v43
	v_and_b32_e32 v66, 0xff, v44
	v_bfe_u32 v67, v43, 8, 8
	v_add3_u32 v1, v70, v72, v69
	v_add3_u32 v2, v71, v73, v55
	v_bfe_u32 v64, v44, 8, 8
	v_bfe_u32 v65, v43, 16, 8
	;; [unrolled: 1-line block ×3, first 2 shown]
	v_lshrrev_b32_e32 v53, 24, v43
	v_add3_u32 v1, v1, v54, v66
	v_add3_u32 v2, v2, v68, v67
	v_lshrrev_b32_e32 v52, 24, v44
	v_and_b32_e32 v63, 0xff, v46
	v_and_b32_e32 v61, 0xff, v47
	v_bfe_u32 v62, v46, 8, 8
	v_add3_u32 v1, v1, v64, v59
	v_add3_u32 v2, v2, v65, v53
	v_bfe_u32 v58, v47, 8, 8
	v_bfe_u32 v60, v46, 16, 8
	;; [unrolled: 1-line block ×3, first 2 shown]
	v_lshrrev_b32_e32 v51, 24, v46
	v_add3_u32 v1, v1, v52, v61
	v_add3_u32 v2, v2, v63, v62
	v_mbcnt_lo_u32_b32 v74, -1, 0
	v_lshrrev_b32_e32 v50, 24, v47
	v_and_b32_e32 v57, 0xff, v45
	v_and_b32_e32 v3, 0xff, v49
	;; [unrolled: 1-line block ×3, first 2 shown]
	v_add3_u32 v1, v1, v58, v56
	v_add3_u32 v2, v2, v60, v51
	v_and_b32_e32 v76, 15, v74
	v_and_b32_e32 v78, 16, v74
	v_lshrrev_b32_e32 v75, 5, v0
	v_add3_u32 v79, v1, v50, v3
	v_add3_u32 v80, v2, v57, v4
	v_cmp_eq_u32_e64 s1, 0, v76
	v_cmp_lt_u32_e64 s0, 1, v76
	v_cmp_lt_u32_e64 s2, 3, v76
	v_or_b32_e32 v77, 31, v0
	s_cmp_lg_u32 ttmp9, 0
	s_mov_b32 s3, -1
	v_cmp_lt_u32_e32 vcc_lo, 7, v76
	s_cbranch_scc0 .LBB1680_131
; %bb.111:
	v_mov_b32_dpp v2, v79 row_shr:1 row_mask:0xf bank_mask:0xf
	v_mov_b32_dpp v1, v80 row_shr:1 row_mask:0xf bank_mask:0xf
	s_mov_b32 s3, exec_lo
	s_delay_alu instid0(VALU_DEP_2) | instskip(NEXT) | instid1(VALU_DEP_2)
	v_add_nc_u32_e32 v2, v2, v79
	v_add_nc_u32_e32 v1, v1, v80
	s_delay_alu instid0(VALU_DEP_2) | instskip(NEXT) | instid1(VALU_DEP_2)
	v_cndmask_b32_e64 v2, v2, v79, s1
	v_cndmask_b32_e64 v1, v1, v80, s1
	s_delay_alu instid0(VALU_DEP_2) | instskip(NEXT) | instid1(VALU_DEP_2)
	v_mov_b32_dpp v4, v2 row_shr:2 row_mask:0xf bank_mask:0xf
	v_mov_b32_dpp v3, v1 row_shr:2 row_mask:0xf bank_mask:0xf
	s_delay_alu instid0(VALU_DEP_2) | instskip(NEXT) | instid1(VALU_DEP_1)
	v_add_nc_u32_e32 v4, v2, v4
	v_cndmask_b32_e64 v2, v2, v4, s0
	s_delay_alu instid0(VALU_DEP_1) | instskip(NEXT) | instid1(VALU_DEP_1)
	v_mov_b32_dpp v4, v2 row_shr:4 row_mask:0xf bank_mask:0xf
	v_add_nc_u32_e32 v4, v2, v4
	s_wait_alu 0xf1ff
	s_delay_alu instid0(VALU_DEP_1) | instskip(NEXT) | instid1(VALU_DEP_1)
	v_cndmask_b32_e64 v2, v2, v4, s2
	v_mov_b32_dpp v4, v2 row_shr:8 row_mask:0xf bank_mask:0xf
	s_delay_alu instid0(VALU_DEP_1) | instskip(SKIP_1) | instid1(VALU_DEP_1)
	v_add_nc_u32_e32 v4, v2, v4
	s_wait_alu 0xfffd
	v_dual_cndmask_b32 v2, v2, v4 :: v_dual_add_nc_u32 v3, v1, v3
	s_delay_alu instid0(VALU_DEP_1) | instskip(SKIP_2) | instid1(VALU_DEP_1)
	v_cndmask_b32_e64 v1, v1, v3, s0
	ds_swizzle_b32 v4, v2 offset:swizzle(BROADCAST,32,15)
	v_mov_b32_dpp v3, v1 row_shr:4 row_mask:0xf bank_mask:0xf
	v_add_nc_u32_e32 v3, v1, v3
	s_delay_alu instid0(VALU_DEP_1) | instskip(NEXT) | instid1(VALU_DEP_1)
	v_cndmask_b32_e64 v1, v1, v3, s2
	v_mov_b32_dpp v3, v1 row_shr:8 row_mask:0xf bank_mask:0xf
	s_wait_dscnt 0x0
	v_add_nc_u32_e32 v4, v2, v4
	s_delay_alu instid0(VALU_DEP_2) | instskip(NEXT) | instid1(VALU_DEP_1)
	v_add_nc_u32_e32 v3, v1, v3
	v_cndmask_b32_e32 v1, v1, v3, vcc_lo
	v_cmp_eq_u32_e32 vcc_lo, 0, v78
	ds_swizzle_b32 v3, v1 offset:swizzle(BROADCAST,32,15)
	s_wait_dscnt 0x0
	v_add_nc_u32_e32 v3, v1, v3
	v_cmpx_eq_u32_e64 v0, v77
; %bb.112:
	s_wait_alu 0xfffd
	s_delay_alu instid0(VALU_DEP_2)
	v_dual_cndmask_b32 v6, v3, v1 :: v_dual_lshlrev_b32 v7, 3, v75
	v_cndmask_b32_e32 v5, v4, v2, vcc_lo
	ds_store_b64 v7, v[5:6]
; %bb.113:
	s_wait_alu 0xfffe
	s_or_b32 exec_lo, exec_lo, s3
	s_delay_alu instid0(SALU_CYCLE_1)
	s_mov_b32 s3, exec_lo
	s_wait_loadcnt_dscnt 0x0
	s_barrier_signal -1
	s_barrier_wait -1
	global_inv scope:SCOPE_SE
	v_cmpx_gt_u32_e32 8, v0
	s_cbranch_execz .LBB1680_115
; %bb.114:
	v_lshlrev_b32_e32 v7, 3, v0
	v_and_b32_e32 v22, 7, v74
	ds_load_b64 v[5:6], v7
	v_cmp_eq_u32_e64 s2, 0, v22
	s_wait_dscnt 0x0
	v_mov_b32_dpp v8, v5 row_shr:1 row_mask:0xf bank_mask:0xf
	v_mov_b32_dpp v21, v6 row_shr:1 row_mask:0xf bank_mask:0xf
	s_delay_alu instid0(VALU_DEP_2) | instskip(NEXT) | instid1(VALU_DEP_2)
	v_add_nc_u32_e32 v8, v8, v5
	v_add_nc_u32_e32 v21, v21, v6
	s_wait_alu 0xf1ff
	s_delay_alu instid0(VALU_DEP_2) | instskip(NEXT) | instid1(VALU_DEP_2)
	v_cndmask_b32_e64 v5, v8, v5, s2
	v_cndmask_b32_e64 v6, v21, v6, s2
	v_cmp_lt_u32_e64 s2, 1, v22
	s_delay_alu instid0(VALU_DEP_3) | instskip(NEXT) | instid1(VALU_DEP_3)
	v_mov_b32_dpp v8, v5 row_shr:2 row_mask:0xf bank_mask:0xf
	v_mov_b32_dpp v21, v6 row_shr:2 row_mask:0xf bank_mask:0xf
	s_delay_alu instid0(VALU_DEP_2) | instskip(NEXT) | instid1(VALU_DEP_2)
	v_add_nc_u32_e32 v8, v5, v8
	v_add_nc_u32_e32 v21, v6, v21
	s_wait_alu 0xf1ff
	s_delay_alu instid0(VALU_DEP_2) | instskip(NEXT) | instid1(VALU_DEP_2)
	v_cndmask_b32_e64 v5, v5, v8, s2
	v_cndmask_b32_e64 v6, v6, v21, s2
	v_cmp_lt_u32_e64 s2, 3, v22
	s_delay_alu instid0(VALU_DEP_3) | instskip(NEXT) | instid1(VALU_DEP_3)
	v_mov_b32_dpp v8, v5 row_shr:4 row_mask:0xf bank_mask:0xf
	v_mov_b32_dpp v21, v6 row_shr:4 row_mask:0xf bank_mask:0xf
	s_wait_alu 0xf1ff
	s_delay_alu instid0(VALU_DEP_2) | instskip(NEXT) | instid1(VALU_DEP_2)
	v_cndmask_b32_e64 v8, 0, v8, s2
	v_cndmask_b32_e64 v21, 0, v21, s2
	s_delay_alu instid0(VALU_DEP_2) | instskip(NEXT) | instid1(VALU_DEP_2)
	v_add_nc_u32_e32 v5, v8, v5
	v_add_nc_u32_e32 v6, v21, v6
	ds_store_b64 v7, v[5:6]
.LBB1680_115:
	s_wait_alu 0xfffe
	s_or_b32 exec_lo, exec_lo, s3
	v_dual_cndmask_b32 v1, v3, v1 :: v_dual_cndmask_b32 v2, v4, v2
	s_mov_b32 s3, exec_lo
	v_cmp_gt_u32_e32 vcc_lo, 32, v0
	s_wait_loadcnt_dscnt 0x0
	s_barrier_signal -1
	s_barrier_wait -1
	global_inv scope:SCOPE_SE
                                        ; implicit-def: $vgpr21
	v_cmpx_lt_u32_e32 31, v0
	s_cbranch_execz .LBB1680_117
; %bb.116:
	v_lshl_add_u32 v3, v75, 3, -8
	ds_load_b64 v[21:22], v3
	s_wait_dscnt 0x0
	v_add_nc_u32_e32 v1, v22, v1
	v_add_nc_u32_e32 v2, v21, v2
.LBB1680_117:
	s_wait_alu 0xfffe
	s_or_b32 exec_lo, exec_lo, s3
	v_sub_co_u32 v3, s2, v74, 1
	s_delay_alu instid0(VALU_DEP_1) | instskip(SKIP_1) | instid1(VALU_DEP_1)
	v_cmp_gt_i32_e64 s3, 0, v3
	s_wait_alu 0xf1ff
	v_cndmask_b32_e64 v3, v3, v74, s3
	s_delay_alu instid0(VALU_DEP_1)
	v_lshlrev_b32_e32 v3, 2, v3
	ds_bpermute_b32 v81, v3, v2
	ds_bpermute_b32 v82, v3, v1
	s_and_saveexec_b32 s3, vcc_lo
	s_cbranch_execz .LBB1680_136
; %bb.118:
	v_mov_b32_e32 v4, 0
	ds_load_b64 v[1:2], v4 offset:56
	s_and_saveexec_b32 s6, s2
	s_cbranch_execz .LBB1680_120
; %bb.119:
	s_add_co_i32 s8, ttmp9, 32
	s_mov_b32 s9, 0
	s_wait_alu 0xfffe
	s_lshl_b64 s[8:9], s[8:9], 4
	s_wait_kmcnt 0x0
	s_wait_alu 0xfffe
	s_add_nc_u64 s[8:9], s[4:5], s[8:9]
	v_mov_b32_e32 v3, 1
	s_wait_alu 0xfffe
	v_dual_mov_b32 v5, s8 :: v_dual_mov_b32 v6, s9
	s_wait_dscnt 0x0
	;;#ASMSTART
	global_store_b128 v[5:6], v[1:4] off scope:SCOPE_DEV	
s_wait_storecnt 0x0
	;;#ASMEND
.LBB1680_120:
	s_wait_alu 0xfffe
	s_or_b32 exec_lo, exec_lo, s6
	v_xad_u32 v23, v74, -1, ttmp9
	s_mov_b32 s7, 0
	s_mov_b32 s6, exec_lo
	s_delay_alu instid0(VALU_DEP_1) | instskip(NEXT) | instid1(VALU_DEP_1)
	v_add_nc_u32_e32 v3, 32, v23
	v_lshlrev_b64_e32 v[3:4], 4, v[3:4]
	s_wait_kmcnt 0x0
	s_delay_alu instid0(VALU_DEP_1) | instskip(SKIP_1) | instid1(VALU_DEP_2)
	v_add_co_u32 v3, vcc_lo, s4, v3
	s_wait_alu 0xfffd
	v_add_co_ci_u32_e64 v4, null, s5, v4, vcc_lo
	;;#ASMSTART
	global_load_b128 v[5:8], v[3:4] off scope:SCOPE_DEV	
s_wait_loadcnt 0x0
	;;#ASMEND
	v_and_b32_e32 v8, 0xff, v7
	s_delay_alu instid0(VALU_DEP_1)
	v_cmpx_eq_u16_e32 0, v8
	s_cbranch_execz .LBB1680_123
.LBB1680_121:                           ; =>This Inner Loop Header: Depth=1
	;;#ASMSTART
	global_load_b128 v[5:8], v[3:4] off scope:SCOPE_DEV	
s_wait_loadcnt 0x0
	;;#ASMEND
	v_and_b32_e32 v8, 0xff, v7
	s_delay_alu instid0(VALU_DEP_1)
	v_cmp_ne_u16_e32 vcc_lo, 0, v8
	s_wait_alu 0xfffe
	s_or_b32 s7, vcc_lo, s7
	s_wait_alu 0xfffe
	s_and_not1_b32 exec_lo, exec_lo, s7
	s_cbranch_execnz .LBB1680_121
; %bb.122:
	s_or_b32 exec_lo, exec_lo, s7
.LBB1680_123:
	s_wait_alu 0xfffe
	s_or_b32 exec_lo, exec_lo, s6
	v_cmp_ne_u32_e32 vcc_lo, 31, v74
	v_lshlrev_b32_e64 v84, v74, -1
	v_add_nc_u32_e32 v86, 2, v74
	v_add_nc_u32_e32 v88, 4, v74
	;; [unrolled: 1-line block ×3, first 2 shown]
	s_wait_alu 0xfffd
	v_add_co_ci_u32_e64 v3, null, 0, v74, vcc_lo
	v_lshl_or_b32 v91, v74, 2, 64
	v_add_nc_u32_e32 v92, 16, v74
	s_delay_alu instid0(VALU_DEP_3)
	v_lshlrev_b32_e32 v83, 2, v3
	v_and_b32_e32 v3, 0xff, v7
	ds_bpermute_b32 v4, v83, v6
	v_cmp_eq_u16_e32 vcc_lo, 2, v3
	s_wait_alu 0xfffd
	v_and_b32_e32 v8, vcc_lo, v84
	v_cmp_gt_u32_e32 vcc_lo, 30, v74
	s_delay_alu instid0(VALU_DEP_2) | instskip(SKIP_2) | instid1(VALU_DEP_2)
	v_or_b32_e32 v8, 0x80000000, v8
	s_wait_alu 0xfffd
	v_cndmask_b32_e64 v24, 0, 2, vcc_lo
	v_ctz_i32_b32_e32 v8, v8
	s_delay_alu instid0(VALU_DEP_2) | instskip(SKIP_2) | instid1(VALU_DEP_3)
	v_add_lshl_u32 v85, v24, v74, 2
	s_wait_dscnt 0x0
	v_add_nc_u32_e32 v4, v4, v6
	v_cmp_lt_u32_e32 vcc_lo, v74, v8
	s_wait_alu 0xfffd
	s_delay_alu instid0(VALU_DEP_2) | instskip(SKIP_3) | instid1(VALU_DEP_1)
	v_cndmask_b32_e32 v4, v6, v4, vcc_lo
	ds_bpermute_b32 v3, v83, v5
	s_wait_dscnt 0x0
	v_add_nc_u32_e32 v3, v3, v5
	v_cndmask_b32_e32 v3, v5, v3, vcc_lo
	ds_bpermute_b32 v5, v85, v4
	v_cmp_gt_u32_e32 vcc_lo, 28, v74
	ds_bpermute_b32 v6, v85, v3
	s_wait_alu 0xfffd
	v_cndmask_b32_e64 v24, 0, 4, vcc_lo
	v_cmp_gt_u32_e32 vcc_lo, v86, v8
	s_delay_alu instid0(VALU_DEP_2)
	v_add_lshl_u32 v87, v24, v74, 2
	s_wait_dscnt 0x1
	v_add_nc_u32_e32 v5, v4, v5
	s_wait_dscnt 0x0
	v_add_nc_u32_e32 v6, v3, v6
	s_wait_alu 0xfffd
	s_delay_alu instid0(VALU_DEP_1)
	v_dual_cndmask_b32 v4, v5, v4 :: v_dual_cndmask_b32 v3, v6, v3
	ds_bpermute_b32 v5, v87, v4
	v_cmp_gt_u32_e32 vcc_lo, 24, v74
	ds_bpermute_b32 v6, v87, v3
	s_wait_alu 0xfffd
	v_cndmask_b32_e64 v24, 0, 8, vcc_lo
	v_cmp_gt_u32_e32 vcc_lo, v88, v8
	s_delay_alu instid0(VALU_DEP_2)
	v_add_lshl_u32 v89, v24, v74, 2
	s_wait_dscnt 0x1
	v_dual_mov_b32 v24, 0 :: v_dual_add_nc_u32 v5, v4, v5
	s_wait_dscnt 0x0
	v_add_nc_u32_e32 v6, v3, v6
	s_wait_alu 0xfffd
	s_delay_alu instid0(VALU_DEP_1)
	v_dual_cndmask_b32 v4, v5, v4 :: v_dual_cndmask_b32 v3, v6, v3
	ds_bpermute_b32 v5, v89, v4
	v_cmp_gt_u32_e32 vcc_lo, v90, v8
	ds_bpermute_b32 v6, v89, v3
	s_wait_dscnt 0x1
	v_add_nc_u32_e32 v5, v4, v5
	s_wait_dscnt 0x0
	v_add_nc_u32_e32 v6, v3, v6
	s_wait_alu 0xfffd
	s_delay_alu instid0(VALU_DEP_1)
	v_dual_cndmask_b32 v4, v5, v4 :: v_dual_cndmask_b32 v3, v6, v3
	ds_bpermute_b32 v6, v91, v4
	v_cmp_le_u32_e32 vcc_lo, v92, v8
	ds_bpermute_b32 v5, v91, v3
	s_wait_dscnt 0x0
	s_wait_alu 0xfffd
	v_dual_cndmask_b32 v6, 0, v6 :: v_dual_cndmask_b32 v5, 0, v5
	s_delay_alu instid0(VALU_DEP_1) | instskip(NEXT) | instid1(VALU_DEP_2)
	v_add_nc_u32_e32 v6, v6, v4
	v_add_nc_u32_e32 v5, v5, v3
	s_branch .LBB1680_127
.LBB1680_124:                           ;   in Loop: Header=BB1680_127 Depth=1
	s_or_b32 exec_lo, exec_lo, s7
.LBB1680_125:                           ;   in Loop: Header=BB1680_127 Depth=1
	s_wait_alu 0xfffe
	s_or_b32 exec_lo, exec_lo, s6
	ds_bpermute_b32 v8, v83, v5
	ds_bpermute_b32 v25, v83, v6
	v_subrev_nc_u32_e32 v23, 32, v23
	s_mov_b32 s6, 0
	s_wait_dscnt 0x1
	v_add_nc_u32_e32 v8, v8, v5
	v_and_b32_e32 v26, 0xff, v7
	s_wait_dscnt 0x0
	v_add_nc_u32_e32 v25, v25, v6
	s_delay_alu instid0(VALU_DEP_2) | instskip(SKIP_2) | instid1(VALU_DEP_1)
	v_cmp_eq_u16_e32 vcc_lo, 2, v26
	s_wait_alu 0xfffd
	v_and_or_b32 v26, vcc_lo, v84, 0x80000000
	v_ctz_i32_b32_e32 v26, v26
	s_delay_alu instid0(VALU_DEP_1)
	v_cmp_lt_u32_e32 vcc_lo, v74, v26
	s_wait_alu 0xfffd
	v_dual_cndmask_b32 v6, v6, v25 :: v_dual_cndmask_b32 v5, v5, v8
	v_cmp_gt_u32_e32 vcc_lo, v86, v26
	ds_bpermute_b32 v25, v85, v6
	ds_bpermute_b32 v8, v85, v5
	s_wait_dscnt 0x1
	v_add_nc_u32_e32 v25, v6, v25
	s_wait_dscnt 0x0
	v_add_nc_u32_e32 v8, v5, v8
	s_wait_alu 0xfffd
	s_delay_alu instid0(VALU_DEP_1)
	v_dual_cndmask_b32 v6, v25, v6 :: v_dual_cndmask_b32 v5, v8, v5
	v_cmp_gt_u32_e32 vcc_lo, v88, v26
	ds_bpermute_b32 v25, v87, v6
	ds_bpermute_b32 v8, v87, v5
	s_wait_dscnt 0x1
	v_add_nc_u32_e32 v25, v6, v25
	s_wait_dscnt 0x0
	v_add_nc_u32_e32 v8, v5, v8
	s_wait_alu 0xfffd
	s_delay_alu instid0(VALU_DEP_1)
	;; [unrolled: 10-line block ×3, first 2 shown]
	v_dual_cndmask_b32 v6, v25, v6 :: v_dual_cndmask_b32 v5, v8, v5
	v_cmp_le_u32_e32 vcc_lo, v92, v26
	ds_bpermute_b32 v25, v91, v6
	ds_bpermute_b32 v8, v91, v5
	s_wait_dscnt 0x0
	s_wait_alu 0xfffd
	v_dual_cndmask_b32 v25, 0, v25 :: v_dual_cndmask_b32 v8, 0, v8
	s_delay_alu instid0(VALU_DEP_1) | instskip(NEXT) | instid1(VALU_DEP_2)
	v_add3_u32 v6, v6, v4, v25
	v_add3_u32 v5, v5, v3, v8
.LBB1680_126:                           ;   in Loop: Header=BB1680_127 Depth=1
	s_wait_alu 0xfffe
	s_and_b32 vcc_lo, exec_lo, s6
	s_wait_alu 0xfffe
	s_cbranch_vccnz .LBB1680_132
.LBB1680_127:                           ; =>This Loop Header: Depth=1
                                        ;     Child Loop BB1680_130 Depth 2
	v_and_b32_e32 v3, 0xff, v7
	s_mov_b32 s6, -1
                                        ; implicit-def: $vgpr7
	s_delay_alu instid0(VALU_DEP_1)
	v_cmp_ne_u16_e32 vcc_lo, 2, v3
	v_dual_mov_b32 v3, v5 :: v_dual_mov_b32 v4, v6
                                        ; implicit-def: $vgpr5_vgpr6
	s_cmp_lg_u32 vcc_lo, exec_lo
	s_cbranch_scc1 .LBB1680_126
; %bb.128:                              ;   in Loop: Header=BB1680_127 Depth=1
	v_lshlrev_b64_e32 v[5:6], 4, v[23:24]
	s_mov_b32 s6, exec_lo
	s_delay_alu instid0(VALU_DEP_1) | instskip(SKIP_1) | instid1(VALU_DEP_2)
	v_add_co_u32 v25, vcc_lo, s4, v5
	s_wait_alu 0xfffd
	v_add_co_ci_u32_e64 v26, null, s5, v6, vcc_lo
	;;#ASMSTART
	global_load_b128 v[5:8], v[25:26] off scope:SCOPE_DEV	
s_wait_loadcnt 0x0
	;;#ASMEND
	v_and_b32_e32 v8, 0xff, v7
	s_delay_alu instid0(VALU_DEP_1)
	v_cmpx_eq_u16_e32 0, v8
	s_cbranch_execz .LBB1680_125
; %bb.129:                              ;   in Loop: Header=BB1680_127 Depth=1
	s_mov_b32 s7, 0
.LBB1680_130:                           ;   Parent Loop BB1680_127 Depth=1
                                        ; =>  This Inner Loop Header: Depth=2
	;;#ASMSTART
	global_load_b128 v[5:8], v[25:26] off scope:SCOPE_DEV	
s_wait_loadcnt 0x0
	;;#ASMEND
	v_and_b32_e32 v8, 0xff, v7
	s_delay_alu instid0(VALU_DEP_1)
	v_cmp_ne_u16_e32 vcc_lo, 0, v8
	s_wait_alu 0xfffe
	s_or_b32 s7, vcc_lo, s7
	s_wait_alu 0xfffe
	s_and_not1_b32 exec_lo, exec_lo, s7
	s_cbranch_execnz .LBB1680_130
	s_branch .LBB1680_124
.LBB1680_131:
                                        ; implicit-def: $vgpr81
                                        ; implicit-def: $vgpr3
                                        ; implicit-def: $vgpr82
	s_wait_alu 0xfffe
	s_and_b32 vcc_lo, exec_lo, s3
	s_wait_alu 0xfffe
	s_cbranch_vccnz .LBB1680_137
	s_branch .LBB1680_146
.LBB1680_132:
	s_and_saveexec_b32 s6, s2
	s_cbranch_execnz .LBB1680_374
; %bb.133:
	s_wait_alu 0xfffe
	s_or_b32 exec_lo, exec_lo, s6
	s_and_saveexec_b32 s6, s2
	s_cbranch_execnz .LBB1680_375
.LBB1680_134:
	s_wait_alu 0xfffe
	s_or_b32 exec_lo, exec_lo, s6
	v_cmp_eq_u32_e32 vcc_lo, 0, v0
	s_and_b32 exec_lo, exec_lo, vcc_lo
.LBB1680_135:
	v_mov_b32_e32 v1, 0
	ds_store_b64 v1, v[3:4] offset:56
.LBB1680_136:
	s_wait_alu 0xfffe
	s_or_b32 exec_lo, exec_lo, s3
	s_wait_dscnt 0x0
	v_cndmask_b32_e64 v8, v82, v22, s2
	v_mov_b32_e32 v1, 0
	s_wait_loadcnt 0x0
	s_barrier_signal -1
	s_barrier_wait -1
	global_inv scope:SCOPE_SE
	ds_load_b64 v[5:6], v1 offset:56
	s_wait_loadcnt_dscnt 0x0
	s_barrier_signal -1
	s_barrier_wait -1
	global_inv scope:SCOPE_SE
	v_cndmask_b32_e64 v7, v81, v21, s2
	v_cmp_eq_u32_e32 vcc_lo, 0, v0
	v_add_nc_u32_e32 v8, v6, v8
	ds_load_b128 v[1:4], v1 offset:13312
	v_add_nc_u32_e32 v7, v5, v7
	s_wait_alu 0xfffd
	s_delay_alu instid0(VALU_DEP_1)
	v_dual_cndmask_b32 v81, v8, v6 :: v_dual_cndmask_b32 v82, v7, v5
	s_branch .LBB1680_146
.LBB1680_137:
	s_wait_dscnt 0x0
	v_mov_b32_dpp v2, v80 row_shr:1 row_mask:0xf bank_mask:0xf
	v_cmp_lt_u32_e32 vcc_lo, 3, v76
	v_mov_b32_dpp v1, v79 row_shr:1 row_mask:0xf bank_mask:0xf
	s_delay_alu instid0(VALU_DEP_3) | instskip(NEXT) | instid1(VALU_DEP_1)
	v_add_nc_u32_e32 v2, v2, v80
	v_cndmask_b32_e64 v2, v2, v80, s1
	s_delay_alu instid0(VALU_DEP_1) | instskip(NEXT) | instid1(VALU_DEP_1)
	v_mov_b32_dpp v4, v2 row_shr:2 row_mask:0xf bank_mask:0xf
	v_add_nc_u32_e32 v4, v2, v4
	s_delay_alu instid0(VALU_DEP_1) | instskip(NEXT) | instid1(VALU_DEP_1)
	v_cndmask_b32_e64 v2, v2, v4, s0
	v_mov_b32_dpp v4, v2 row_shr:4 row_mask:0xf bank_mask:0xf
	s_delay_alu instid0(VALU_DEP_1) | instskip(SKIP_1) | instid1(VALU_DEP_1)
	v_add_nc_u32_e32 v4, v2, v4
	s_wait_alu 0xfffd
	v_dual_cndmask_b32 v2, v2, v4 :: v_dual_add_nc_u32 v1, v1, v79
	s_delay_alu instid0(VALU_DEP_1) | instskip(SKIP_1) | instid1(VALU_DEP_2)
	v_cndmask_b32_e64 v1, v1, v79, s1
	s_mov_b32 s1, exec_lo
	v_mov_b32_dpp v4, v2 row_shr:8 row_mask:0xf bank_mask:0xf
	s_delay_alu instid0(VALU_DEP_2) | instskip(NEXT) | instid1(VALU_DEP_1)
	v_mov_b32_dpp v3, v1 row_shr:2 row_mask:0xf bank_mask:0xf
	v_add_nc_u32_e32 v3, v1, v3
	s_delay_alu instid0(VALU_DEP_1) | instskip(NEXT) | instid1(VALU_DEP_1)
	v_cndmask_b32_e64 v1, v1, v3, s0
	v_mov_b32_dpp v3, v1 row_shr:4 row_mask:0xf bank_mask:0xf
	s_delay_alu instid0(VALU_DEP_1) | instskip(NEXT) | instid1(VALU_DEP_1)
	v_add_nc_u32_e32 v3, v1, v3
	v_cndmask_b32_e32 v3, v1, v3, vcc_lo
	v_cmp_lt_u32_e32 vcc_lo, 7, v76
	s_delay_alu instid0(VALU_DEP_2) | instskip(NEXT) | instid1(VALU_DEP_1)
	v_mov_b32_dpp v1, v3 row_shr:8 row_mask:0xf bank_mask:0xf
	v_add_nc_u32_e32 v5, v3, v1
	v_add_nc_u32_e32 v1, v2, v4
	s_wait_alu 0xfffd
	s_delay_alu instid0(VALU_DEP_1) | instskip(NEXT) | instid1(VALU_DEP_3)
	v_cndmask_b32_e32 v1, v2, v1, vcc_lo
	v_cndmask_b32_e32 v2, v3, v5, vcc_lo
	v_cmp_eq_u32_e32 vcc_lo, 0, v78
	ds_swizzle_b32 v3, v1 offset:swizzle(BROADCAST,32,15)
	ds_swizzle_b32 v4, v2 offset:swizzle(BROADCAST,32,15)
	s_wait_dscnt 0x1
	v_add_nc_u32_e32 v3, v1, v3
	s_wait_dscnt 0x0
	v_add_nc_u32_e32 v4, v2, v4
	v_cmpx_eq_u32_e64 v0, v77
; %bb.138:
	s_wait_alu 0xfffd
	s_delay_alu instid0(VALU_DEP_2)
	v_dual_cndmask_b32 v5, v4, v2 :: v_dual_cndmask_b32 v6, v3, v1
	v_lshlrev_b32_e32 v7, 3, v75
	ds_store_b64 v7, v[5:6]
; %bb.139:
	s_wait_alu 0xfffe
	s_or_b32 exec_lo, exec_lo, s1
	s_delay_alu instid0(SALU_CYCLE_1)
	s_mov_b32 s1, exec_lo
	s_wait_loadcnt_dscnt 0x0
	s_barrier_signal -1
	s_barrier_wait -1
	global_inv scope:SCOPE_SE
	v_cmpx_gt_u32_e32 8, v0
	s_cbranch_execz .LBB1680_141
; %bb.140:
	v_lshlrev_b32_e32 v7, 3, v0
	v_and_b32_e32 v22, 7, v74
	ds_load_b64 v[5:6], v7
	v_cmp_eq_u32_e64 s0, 0, v22
	s_wait_dscnt 0x0
	v_mov_b32_dpp v8, v5 row_shr:1 row_mask:0xf bank_mask:0xf
	v_mov_b32_dpp v21, v6 row_shr:1 row_mask:0xf bank_mask:0xf
	s_delay_alu instid0(VALU_DEP_2) | instskip(NEXT) | instid1(VALU_DEP_2)
	v_add_nc_u32_e32 v8, v8, v5
	v_add_nc_u32_e32 v21, v21, v6
	s_wait_alu 0xf1ff
	s_delay_alu instid0(VALU_DEP_2) | instskip(NEXT) | instid1(VALU_DEP_2)
	v_cndmask_b32_e64 v5, v8, v5, s0
	v_cndmask_b32_e64 v6, v21, v6, s0
	v_cmp_lt_u32_e64 s0, 1, v22
	s_delay_alu instid0(VALU_DEP_3) | instskip(NEXT) | instid1(VALU_DEP_3)
	v_mov_b32_dpp v8, v5 row_shr:2 row_mask:0xf bank_mask:0xf
	v_mov_b32_dpp v21, v6 row_shr:2 row_mask:0xf bank_mask:0xf
	s_delay_alu instid0(VALU_DEP_2) | instskip(NEXT) | instid1(VALU_DEP_2)
	v_add_nc_u32_e32 v8, v5, v8
	v_add_nc_u32_e32 v21, v6, v21
	s_wait_alu 0xf1ff
	s_delay_alu instid0(VALU_DEP_2) | instskip(NEXT) | instid1(VALU_DEP_2)
	v_cndmask_b32_e64 v5, v5, v8, s0
	v_cndmask_b32_e64 v6, v6, v21, s0
	v_cmp_lt_u32_e64 s0, 3, v22
	s_delay_alu instid0(VALU_DEP_3) | instskip(NEXT) | instid1(VALU_DEP_3)
	v_mov_b32_dpp v8, v5 row_shr:4 row_mask:0xf bank_mask:0xf
	v_mov_b32_dpp v21, v6 row_shr:4 row_mask:0xf bank_mask:0xf
	s_wait_alu 0xf1ff
	s_delay_alu instid0(VALU_DEP_2) | instskip(NEXT) | instid1(VALU_DEP_2)
	v_cndmask_b32_e64 v8, 0, v8, s0
	v_cndmask_b32_e64 v21, 0, v21, s0
	s_delay_alu instid0(VALU_DEP_2) | instskip(NEXT) | instid1(VALU_DEP_2)
	v_add_nc_u32_e32 v5, v8, v5
	v_add_nc_u32_e32 v6, v21, v6
	ds_store_b64 v7, v[5:6]
.LBB1680_141:
	s_wait_alu 0xfffe
	s_or_b32 exec_lo, exec_lo, s1
	v_dual_mov_b32 v7, 0 :: v_dual_mov_b32 v6, 0
	v_mov_b32_e32 v5, 0
	s_mov_b32 s1, exec_lo
	s_wait_loadcnt_dscnt 0x0
	s_barrier_signal -1
	s_barrier_wait -1
	global_inv scope:SCOPE_SE
	v_cmpx_lt_u32_e32 31, v0
; %bb.142:
	v_lshl_add_u32 v5, v75, 3, -8
	ds_load_b64 v[5:6], v5
; %bb.143:
	s_wait_alu 0xfffe
	s_or_b32 exec_lo, exec_lo, s1
	v_sub_co_u32 v8, s0, v74, 1
	v_dual_cndmask_b32 v2, v4, v2 :: v_dual_cndmask_b32 v1, v3, v1
	v_cmp_eq_u32_e32 vcc_lo, 0, v0
	s_delay_alu instid0(VALU_DEP_3) | instskip(SKIP_1) | instid1(VALU_DEP_3)
	v_cmp_gt_i32_e64 s1, 0, v8
	s_wait_dscnt 0x0
	v_add_nc_u32_e32 v2, v5, v2
	v_add_nc_u32_e32 v1, v6, v1
	s_wait_alu 0xf1ff
	v_cndmask_b32_e64 v4, v8, v74, s1
	s_delay_alu instid0(VALU_DEP_1)
	v_lshlrev_b32_e32 v3, 2, v4
	ds_bpermute_b32 v8, v3, v2
	ds_bpermute_b32 v21, v3, v1
	ds_load_b64 v[1:2], v7 offset:56
	s_and_saveexec_b32 s1, vcc_lo
	s_cbranch_execz .LBB1680_145
; %bb.144:
	s_wait_kmcnt 0x0
	s_add_nc_u64 s[2:3], s[4:5], 0x200
	v_dual_mov_b32 v3, 2 :: v_dual_mov_b32 v4, 0
	s_wait_alu 0xfffe
	v_dual_mov_b32 v23, s3 :: v_dual_mov_b32 v22, s2
	s_wait_dscnt 0x0
	;;#ASMSTART
	global_store_b128 v[22:23], v[1:4] off scope:SCOPE_DEV	
s_wait_storecnt 0x0
	;;#ASMEND
.LBB1680_145:
	s_wait_alu 0xfffe
	s_or_b32 exec_lo, exec_lo, s1
	s_wait_dscnt 0x1
	v_cndmask_b32_e64 v3, v21, v6, s0
	v_cndmask_b32_e64 v5, v8, v5, s0
	v_mov_b32_e32 v4, 0
	s_wait_loadcnt_dscnt 0x0
	s_barrier_signal -1
	v_cndmask_b32_e64 v81, v3, 0, vcc_lo
	v_cndmask_b32_e64 v82, v5, 0, vcc_lo
	v_mov_b32_e32 v3, 0
	s_barrier_wait -1
	global_inv scope:SCOPE_SE
.LBB1680_146:
	v_lshrrev_b32_e32 v77, 8, v49
	s_delay_alu instid0(VALU_DEP_2)
	v_add_nc_u32_e32 v73, v81, v73
	s_wait_dscnt 0x0
	v_sub_nc_u32_e32 v81, v81, v4
	v_lshlrev_b32_e32 v84, 1, v1
	v_lshrrev_b32_e32 v75, 16, v49
	v_and_b32_e32 v77, 1, v77
	v_add_nc_u32_e32 v71, v73, v71
	v_add_nc_u32_e32 v81, v81, v1
	v_add3_u32 v87, v84, v2, v41
	v_and_b32_e32 v75, 1, v75
	v_cmp_eq_u32_e32 vcc_lo, 1, v77
	v_add_nc_u32_e32 v72, v82, v72
	v_sub_nc_u32_e32 v82, v82, v3
	v_sub_nc_u32_e32 v73, v73, v4
	v_lshrrev_b32_e32 v76, 8, v42
	v_lshrrev_b32_e32 v74, 16, v42
	v_and_b32_e32 v42, 1, v42
	v_add_nc_u32_e32 v41, v82, v81
	v_add_nc_u32_e32 v73, v73, v1
	v_and_b32_e32 v76, 1, v76
	s_wait_kmcnt 0x0
	v_add_co_u32 v5, s0, s28, v3
	v_sub_nc_u32_e32 v41, v87, v41
	s_wait_alu 0xf1ff
	v_add_co_ci_u32_e64 v6, null, s29, 0, s0
	v_sub_co_u32 v80, s0, s30, v1
	s_wait_alu 0xfffd
	v_cndmask_b32_e32 v41, v41, v81, vcc_lo
	v_cmp_eq_u32_e32 vcc_lo, 1, v75
	v_add_nc_u32_e32 v78, v71, v55
	v_sub_nc_u32_e32 v71, v71, v4
	s_wait_alu 0xf1ff
	v_sub_co_ci_u32_e64 v83, null, s31, 0, s0
	v_and_b32_e32 v55, 1, v55
	v_and_b32_e32 v74, 1, v74
	v_add_nc_u32_e32 v71, v71, v1
	v_add_nc_u32_e32 v70, v72, v70
	v_sub_nc_u32_e32 v72, v72, v3
	v_lshrrev_b32_e32 v26, 8, v43
	v_lshrrev_b32_e32 v25, 16, v43
	v_and_b32_e32 v43, 1, v43
	v_lshrrev_b32_e32 v23, 16, v44
	v_add_nc_u32_e32 v88, v73, v72
	v_and_b32_e32 v26, 1, v26
	v_lshrrev_b32_e32 v24, 8, v44
	v_and_b32_e32 v44, 1, v44
	v_lshrrev_b32_e32 v8, 16, v46
	v_sub_nc_u32_e32 v88, v87, v88
	v_lshrrev_b32_e32 v22, 8, v46
	v_and_b32_e32 v24, 1, v24
	v_lshrrev_b32_e32 v21, 8, v47
	v_and_b32_e32 v8, 1, v8
	v_add_nc_u32_e32 v88, 1, v88
	v_and_b32_e32 v22, 1, v22
	v_lshrrev_b32_e32 v7, 16, v47
	s_mov_b32 s41, 0
	s_wait_alu 0xfffd
	v_cndmask_b32_e32 v73, v88, v73, vcc_lo
	v_cmp_eq_u32_e32 vcc_lo, 1, v42
	v_add_nc_u32_e32 v68, v78, v68
	v_and_b32_e32 v7, 1, v7
	s_wait_alu 0xfffd
	v_cndmask_b32_e32 v81, v41, v82, vcc_lo
	v_cmp_eq_u32_e32 vcc_lo, 1, v76
	v_add_nc_u32_e32 v69, v70, v69
	v_sub_nc_u32_e32 v70, v70, v3
	v_sub_nc_u32_e32 v76, v78, v4
	s_wait_alu 0xfffd
	v_dual_cndmask_b32 v72, v73, v72 :: v_dual_add_nc_u32 v67, v68, v67
	v_add_co_u32 v41, vcc_lo, v80, v4
	v_add_nc_u32_e32 v75, v71, v70
	s_wait_alu 0xfffd
	v_add_co_ci_u32_e64 v42, null, 0, v83, vcc_lo
	v_cmp_eq_u32_e32 vcc_lo, 1, v55
	v_add_nc_u32_e32 v79, v69, v54
	v_sub_nc_u32_e32 v73, v87, v75
	v_sub_nc_u32_e32 v69, v69, v3
	;; [unrolled: 1-line block ×3, first 2 shown]
	v_lshlrev_b32_e32 v75, 2, v81
	v_lshlrev_b32_e32 v72, 2, v72
	v_add_nc_u32_e32 v73, 2, v73
	ds_store_b32 v75, v19
	ds_store_b32 v72, v20
	s_wait_alu 0xfffd
	v_dual_cndmask_b32 v55, v73, v71 :: v_dual_add_nc_u32 v68, v68, v1
	v_add_nc_u32_e32 v71, v76, v1
	v_cmp_eq_u32_e32 vcc_lo, 1, v74
	v_and_b32_e32 v54, 1, v54
	s_delay_alu instid0(VALU_DEP_3) | instskip(SKIP_4) | instid1(VALU_DEP_3)
	v_add_nc_u32_e32 v73, v69, v71
	s_wait_alu 0xfffd
	v_cndmask_b32_e32 v55, v55, v70, vcc_lo
	v_sub_nc_u32_e32 v70, v79, v3
	v_cmp_eq_u32_e32 vcc_lo, 1, v43
	v_lshlrev_b32_e32 v19, 2, v55
	s_delay_alu instid0(VALU_DEP_3)
	v_add_nc_u32_e32 v20, v70, v68
	v_sub_nc_u32_e32 v55, v87, v73
	ds_store_b32 v19, v17
	v_sub_nc_u32_e32 v20, v87, v20
	v_add_nc_u32_e32 v55, 3, v55
	v_and_b32_e32 v19, 1, v25
	s_wait_alu 0xfffd
	s_delay_alu instid0(VALU_DEP_2) | instskip(SKIP_2) | instid1(VALU_DEP_2)
	v_dual_cndmask_b32 v43, v55, v71 :: v_dual_add_nc_u32 v20, 4, v20
	v_cmp_eq_u32_e32 vcc_lo, 1, v26
	s_wait_alu 0xfffd
	v_cndmask_b32_e32 v20, v20, v68, vcc_lo
	v_cmp_eq_u32_e32 vcc_lo, 1, v54
	s_wait_alu 0xfffd
	v_cndmask_b32_e32 v26, v43, v69, vcc_lo
	v_cmp_eq_u32_e32 vcc_lo, 1, v44
	v_add_nc_u32_e32 v65, v67, v65
	v_sub_nc_u32_e32 v67, v67, v4
	s_delay_alu instid0(VALU_DEP_4)
	v_lshlrev_b32_e32 v17, 2, v26
	s_wait_alu 0xfffd
	v_cndmask_b32_e32 v20, v20, v70, vcc_lo
	v_cmp_eq_u32_e32 vcc_lo, 1, v19
	v_add_nc_u32_e32 v67, v67, v1
	v_add_nc_u32_e32 v66, v79, v66
	;; [unrolled: 1-line block ×3, first 2 shown]
	v_sub_nc_u32_e32 v26, v65, v4
	v_lshlrev_b32_e32 v20, 2, v20
	ds_store_b32 v17, v18
	ds_store_b32 v20, v15
	v_add_nc_u32_e32 v64, v66, v64
	v_sub_nc_u32_e32 v66, v66, v3
	v_add_nc_u32_e32 v26, v26, v1
	v_add_nc_u32_e32 v63, v85, v63
	v_and_b32_e32 v20, 1, v53
	s_delay_alu instid0(VALU_DEP_4) | instskip(NEXT) | instid1(VALU_DEP_1)
	v_add_nc_u32_e32 v55, v66, v67
	v_sub_nc_u32_e32 v43, v87, v55
	s_delay_alu instid0(VALU_DEP_1) | instskip(SKIP_2) | instid1(VALU_DEP_2)
	v_add_nc_u32_e32 v25, 5, v43
	v_sub_nc_u32_e32 v43, v85, v4
	s_wait_alu 0xfffd
	v_cndmask_b32_e32 v19, v25, v67, vcc_lo
	v_cmp_eq_u32_e32 vcc_lo, 1, v24
	s_delay_alu instid0(VALU_DEP_3) | instskip(SKIP_1) | instid1(VALU_DEP_3)
	v_add_nc_u32_e32 v43, v43, v1
	s_wait_alu 0xfffd
	v_cndmask_b32_e32 v19, v19, v66, vcc_lo
	v_add_nc_u32_e32 v59, v64, v59
	v_sub_nc_u32_e32 v25, v64, v3
	v_cmp_eq_u32_e32 vcc_lo, 1, v20
	v_and_b32_e32 v20, 1, v52
	v_lshlrev_b32_e32 v15, 2, v19
	v_sub_nc_u32_e32 v24, v59, v3
	v_add_nc_u32_e32 v44, v25, v26
	v_add_nc_u32_e32 v86, v59, v52
	v_and_b32_e32 v19, 1, v23
	v_sub_nc_u32_e32 v23, v63, v4
	v_add_nc_u32_e32 v17, v24, v43
	v_sub_nc_u32_e32 v18, v87, v44
	v_and_b32_e32 v44, 1, v46
	v_sub_nc_u32_e32 v46, v86, v3
	v_add_nc_u32_e32 v23, v23, v1
	v_sub_nc_u32_e32 v17, v87, v17
	v_add_nc_u32_e32 v18, 6, v18
	v_add_nc_u32_e32 v61, v86, v61
	s_wait_alu 0xfffd
	s_delay_alu instid0(VALU_DEP_2)
	v_dual_cndmask_b32 v18, v18, v26 :: v_dual_add_nc_u32 v17, 7, v17
	v_cmp_eq_u32_e32 vcc_lo, 1, v44
	v_add_nc_u32_e32 v26, v46, v23
	v_add_nc_u32_e32 v58, v61, v58
	s_wait_alu 0xfffd
	v_cndmask_b32_e32 v17, v17, v43, vcc_lo
	v_cmp_eq_u32_e32 vcc_lo, 1, v19
	v_sub_nc_u32_e32 v19, v87, v26
	s_wait_alu 0xfffd
	v_cndmask_b32_e32 v18, v18, v25, vcc_lo
	v_cmp_eq_u32_e32 vcc_lo, 1, v20
	v_add_nc_u32_e32 v62, v63, v62
	v_add_nc_u32_e32 v19, 8, v19
	v_sub_nc_u32_e32 v25, v61, v3
	s_wait_alu 0xfffd
	v_dual_cndmask_b32 v17, v17, v24 :: v_dual_lshlrev_b32 v18, 2, v18
	v_sub_nc_u32_e32 v20, v62, v4
	v_and_b32_e32 v24, 1, v47
	v_cmp_eq_u32_e32 vcc_lo, 1, v22
	s_delay_alu instid0(VALU_DEP_4) | instskip(NEXT) | instid1(VALU_DEP_4)
	v_lshlrev_b32_e32 v17, 2, v17
	v_add_nc_u32_e32 v20, v20, v1
	ds_store_b32 v15, v16
	ds_store_b32 v18, v13
	;; [unrolled: 1-line block ×3, first 2 shown]
	s_wait_alu 0xfffd
	v_cndmask_b32_e32 v19, v19, v23, vcc_lo
	v_cmp_eq_u32_e32 vcc_lo, 1, v24
	v_add_nc_u32_e32 v60, v62, v60
	v_add_nc_u32_e32 v22, v25, v20
	v_sub_nc_u32_e32 v17, v58, v3
	v_and_b32_e32 v15, 1, v21
	s_wait_alu 0xfffd
	v_cndmask_b32_e32 v19, v19, v46, vcc_lo
	v_sub_nc_u32_e32 v16, v60, v4
	v_sub_nc_u32_e32 v13, v87, v22
	v_cmp_eq_u32_e32 vcc_lo, 1, v8
	v_add_nc_u32_e32 v89, v60, v51
	v_lshlrev_b32_e32 v14, 2, v19
	v_add_nc_u32_e32 v16, v16, v1
	v_add_nc_u32_e32 v13, 9, v13
	s_delay_alu instid0(VALU_DEP_4)
	v_sub_nc_u32_e32 v18, v89, v4
	ds_store_b32 v14, v11
	v_add_nc_u32_e32 v19, v17, v16
	s_wait_alu 0xfffd
	v_cndmask_b32_e32 v8, v13, v20, vcc_lo
	v_cmp_eq_u32_e32 vcc_lo, 1, v15
	v_and_b32_e32 v15, 1, v51
	v_and_b32_e32 v20, 1, v45
	v_sub_nc_u32_e32 v14, v87, v19
	v_add_nc_u32_e32 v18, v18, v1
	s_wait_alu 0xfffd
	v_cndmask_b32_e32 v8, v8, v25, vcc_lo
	v_cmp_eq_u32_e32 vcc_lo, 1, v15
	v_add_nc_u32_e32 v57, v89, v57
	v_add_nc_u32_e32 v14, 10, v14
	v_and_b32_e32 v15, 1, v50
	v_lshlrev_b32_e32 v8, 2, v8
	s_delay_alu instid0(VALU_DEP_4)
	v_sub_nc_u32_e32 v19, v57, v4
	s_wait_alu 0xfffd
	v_cndmask_b32_e32 v14, v14, v16, vcc_lo
	v_cmp_eq_u32_e32 vcc_lo, 1, v20
	v_add_nc_u32_e32 v56, v58, v56
	v_add_nc_u32_e32 v19, v19, v1
	s_delay_alu instid0(VALU_DEP_2) | instskip(NEXT) | instid1(VALU_DEP_1)
	v_sub_nc_u32_e32 v13, v56, v3
	v_add_nc_u32_e32 v11, v13, v18
	s_delay_alu instid0(VALU_DEP_1) | instskip(NEXT) | instid1(VALU_DEP_1)
	v_sub_nc_u32_e32 v11, v87, v11
	v_add_nc_u32_e32 v11, 11, v11
	s_wait_alu 0xfffd
	s_delay_alu instid0(VALU_DEP_1) | instskip(SKIP_2) | instid1(VALU_DEP_2)
	v_cndmask_b32_e32 v11, v11, v18, vcc_lo
	v_add_nc_u32_e32 v77, v56, v50
	v_cmp_eq_u32_e32 vcc_lo, 1, v7
	v_sub_nc_u32_e32 v3, v77, v3
	s_wait_alu 0xfffd
	v_cndmask_b32_e32 v7, v14, v17, vcc_lo
	v_cmp_eq_u32_e32 vcc_lo, 1, v15
	v_and_b32_e32 v15, 1, v49
	v_add_nc_u32_e32 v16, v3, v19
	s_delay_alu instid0(VALU_DEP_4) | instskip(SKIP_4) | instid1(VALU_DEP_3)
	v_lshlrev_b32_e32 v7, 2, v7
	s_wait_alu 0xfffd
	v_cndmask_b32_e32 v11, v11, v13, vcc_lo
	v_and_b32_e32 v13, 1, v48
	v_sub_nc_u32_e32 v14, v87, v16
	v_lshlrev_b32_e32 v11, 2, v11
	s_delay_alu instid0(VALU_DEP_3)
	v_cmp_eq_u32_e32 vcc_lo, 1, v13
	ds_store_b32 v8, v12
	ds_store_b32 v7, v9
	;; [unrolled: 1-line block ×3, first 2 shown]
	v_add_nc_u32_e32 v14, 12, v14
	v_add_co_u32 v7, s0, v2, v84
	s_wait_alu 0xf1ff
	v_add_co_ci_u32_e64 v8, null, 0, 0, s0
	s_wait_alu 0xfffd
	v_cndmask_b32_e32 v13, v14, v19, vcc_lo
	v_cmp_eq_u32_e32 vcc_lo, 1, v15
	s_wait_alu 0xfffe
	s_add_nc_u64 s[0:1], s[34:35], s[40:41]
	v_lshlrev_b64_e32 v[9:10], 2, v[5:6]
	v_add_nc_u32_e32 v12, v1, v2
	s_wait_alu 0xfffd
	v_cndmask_b32_e32 v3, v13, v3, vcc_lo
	v_add_co_u32 v7, vcc_lo, v7, v41
	s_wait_alu 0xfffd
	v_add_co_ci_u32_e64 v8, null, v8, v42, vcc_lo
	s_delay_alu instid0(VALU_DEP_3)
	v_lshlrev_b32_e32 v3, 2, v3
	ds_store_b32 v3, v40
	v_add_co_u32 v3, vcc_lo, v7, v5
	s_wait_alu 0xfffd
	v_add_co_ci_u32_e64 v7, null, v8, v6, vcc_lo
	s_wait_loadcnt_dscnt 0x0
	s_wait_alu 0xfffe
	v_sub_co_u32 v3, vcc_lo, s0, v3
	s_wait_alu 0xfffd
	v_sub_co_ci_u32_e64 v11, null, s1, v7, vcc_lo
	v_lshlrev_b64_e32 v[7:8], 2, v[41:42]
	v_add_co_u32 v9, s0, s36, v9
	s_wait_alu 0xf1ff
	v_add_co_ci_u32_e64 v10, null, s37, v10, s0
	s_mov_b32 s0, -1
	v_add_co_u32 v7, vcc_lo, s38, v7
	s_wait_alu 0xfffd
	v_add_co_ci_u32_e64 v8, null, s39, v8, vcc_lo
	v_cmp_ne_u32_e32 vcc_lo, 1, v39
	s_barrier_signal -1
	s_barrier_wait -1
	global_inv scope:SCOPE_SE
	s_cbranch_vccz .LBB1680_150
; %bb.147:
	s_wait_alu 0xfffe
	s_and_b32 vcc_lo, exec_lo, s0
	s_wait_alu 0xfffe
	s_cbranch_vccnz .LBB1680_255
.LBB1680_148:
	v_cmp_eq_u32_e32 vcc_lo, 0, v0
	s_and_b32 s0, vcc_lo, s15
	s_wait_alu 0xfffe
	s_and_saveexec_b32 s1, s0
	s_cbranch_execnz .LBB1680_373
.LBB1680_149:
	s_endpgm
.LBB1680_150:
	s_mov_b32 s0, exec_lo
	v_cmpx_ge_u32_e64 v0, v1
	s_wait_alu 0xfffe
	s_xor_b32 s0, exec_lo, s0
	s_cbranch_execz .LBB1680_156
; %bb.151:
	s_mov_b32 s1, exec_lo
	v_cmpx_ge_u32_e64 v0, v12
	s_wait_alu 0xfffe
	s_xor_b32 s1, exec_lo, s1
	s_cbranch_execz .LBB1680_153
; %bb.152:
	v_lshlrev_b32_e32 v13, 2, v0
	ds_load_b32 v15, v13
	v_add_co_u32 v13, vcc_lo, v3, v0
	s_wait_alu 0xfffd
	v_add_co_ci_u32_e64 v14, null, 0, v11, vcc_lo
	s_delay_alu instid0(VALU_DEP_1) | instskip(NEXT) | instid1(VALU_DEP_1)
	v_lshlrev_b64_e32 v[13:14], 2, v[13:14]
	v_sub_co_u32 v13, vcc_lo, s26, v13
	s_wait_alu 0xfffd
	s_delay_alu instid0(VALU_DEP_2)
	v_sub_co_ci_u32_e64 v14, null, s27, v14, vcc_lo
	s_wait_dscnt 0x0
	global_store_b32 v[13:14], v15, off offset:-4
.LBB1680_153:
	s_wait_alu 0xfffe
	s_and_not1_saveexec_b32 s1, s1
	s_cbranch_execz .LBB1680_155
; %bb.154:
	v_lshlrev_b32_e32 v13, 2, v0
	v_readfirstlane_b32 s2, v7
	v_readfirstlane_b32 s3, v8
	ds_load_b32 v14, v13
	s_wait_dscnt 0x0
	global_store_b32 v13, v14, s[2:3]
.LBB1680_155:
	s_wait_alu 0xfffe
	s_or_b32 exec_lo, exec_lo, s1
.LBB1680_156:
	s_wait_alu 0xfffe
	s_and_not1_saveexec_b32 s0, s0
	s_cbranch_execz .LBB1680_158
; %bb.157:
	v_lshlrev_b32_e32 v13, 2, v0
	v_readfirstlane_b32 s2, v9
	v_readfirstlane_b32 s3, v10
	ds_load_b32 v14, v13
	s_wait_dscnt 0x0
	global_store_b32 v13, v14, s[2:3]
.LBB1680_158:
	s_wait_alu 0xfffe
	s_or_b32 exec_lo, exec_lo, s0
	s_delay_alu instid0(SALU_CYCLE_1)
	s_mov_b32 s0, exec_lo
	v_cmpx_ge_u32_e64 v38, v1
	s_wait_alu 0xfffe
	s_xor_b32 s0, exec_lo, s0
	s_cbranch_execz .LBB1680_164
; %bb.159:
	s_mov_b32 s1, exec_lo
	v_cmpx_ge_u32_e64 v38, v12
	s_wait_alu 0xfffe
	s_xor_b32 s1, exec_lo, s1
	s_cbranch_execz .LBB1680_161
; %bb.160:
	v_lshlrev_b32_e32 v13, 2, v0
	ds_load_b32 v15, v13 offset:1024
	v_add_co_u32 v13, vcc_lo, v3, v0
	s_wait_alu 0xfffd
	v_add_co_ci_u32_e64 v14, null, 0, v11, vcc_lo
	s_delay_alu instid0(VALU_DEP_1) | instskip(NEXT) | instid1(VALU_DEP_1)
	v_lshlrev_b64_e32 v[13:14], 2, v[13:14]
	v_sub_co_u32 v13, vcc_lo, s26, v13
	s_wait_alu 0xfffd
	s_delay_alu instid0(VALU_DEP_2)
	v_sub_co_ci_u32_e64 v14, null, s27, v14, vcc_lo
	s_wait_dscnt 0x0
	global_store_b32 v[13:14], v15, off offset:-1028
.LBB1680_161:
	s_wait_alu 0xfffe
	s_and_not1_saveexec_b32 s1, s1
	s_cbranch_execz .LBB1680_163
; %bb.162:
	v_lshlrev_b32_e32 v13, 2, v0
	v_readfirstlane_b32 s2, v7
	v_readfirstlane_b32 s3, v8
	ds_load_b32 v14, v13 offset:1024
	s_wait_dscnt 0x0
	global_store_b32 v13, v14, s[2:3] offset:1024
.LBB1680_163:
	s_wait_alu 0xfffe
	s_or_b32 exec_lo, exec_lo, s1
.LBB1680_164:
	s_wait_alu 0xfffe
	s_and_not1_saveexec_b32 s0, s0
	s_cbranch_execz .LBB1680_166
; %bb.165:
	v_lshlrev_b32_e32 v13, 2, v0
	v_readfirstlane_b32 s2, v9
	v_readfirstlane_b32 s3, v10
	ds_load_b32 v14, v13 offset:1024
	s_wait_dscnt 0x0
	global_store_b32 v13, v14, s[2:3] offset:1024
.LBB1680_166:
	s_wait_alu 0xfffe
	s_or_b32 exec_lo, exec_lo, s0
	s_delay_alu instid0(SALU_CYCLE_1)
	s_mov_b32 s0, exec_lo
	v_cmpx_ge_u32_e64 v37, v1
	s_wait_alu 0xfffe
	s_xor_b32 s0, exec_lo, s0
	s_cbranch_execz .LBB1680_172
; %bb.167:
	s_mov_b32 s1, exec_lo
	v_cmpx_ge_u32_e64 v37, v12
	s_wait_alu 0xfffe
	s_xor_b32 s1, exec_lo, s1
	s_cbranch_execz .LBB1680_169
; %bb.168:
	v_lshlrev_b32_e32 v13, 2, v0
	ds_load_b32 v15, v13 offset:2048
	v_add_co_u32 v13, vcc_lo, v3, v0
	s_wait_alu 0xfffd
	v_add_co_ci_u32_e64 v14, null, 0, v11, vcc_lo
	s_delay_alu instid0(VALU_DEP_1) | instskip(NEXT) | instid1(VALU_DEP_1)
	v_lshlrev_b64_e32 v[13:14], 2, v[13:14]
	v_sub_co_u32 v13, vcc_lo, s26, v13
	s_wait_alu 0xfffd
	s_delay_alu instid0(VALU_DEP_2)
	v_sub_co_ci_u32_e64 v14, null, s27, v14, vcc_lo
	s_wait_dscnt 0x0
	global_store_b32 v[13:14], v15, off offset:-2052
.LBB1680_169:
	s_wait_alu 0xfffe
	s_and_not1_saveexec_b32 s1, s1
	s_cbranch_execz .LBB1680_171
; %bb.170:
	v_lshlrev_b32_e32 v13, 2, v0
	v_readfirstlane_b32 s2, v7
	v_readfirstlane_b32 s3, v8
	ds_load_b32 v14, v13 offset:2048
	s_wait_dscnt 0x0
	global_store_b32 v13, v14, s[2:3] offset:2048
.LBB1680_171:
	s_wait_alu 0xfffe
	s_or_b32 exec_lo, exec_lo, s1
.LBB1680_172:
	s_wait_alu 0xfffe
	s_and_not1_saveexec_b32 s0, s0
	s_cbranch_execz .LBB1680_174
; %bb.173:
	v_lshlrev_b32_e32 v13, 2, v0
	v_readfirstlane_b32 s2, v9
	v_readfirstlane_b32 s3, v10
	ds_load_b32 v14, v13 offset:2048
	s_wait_dscnt 0x0
	global_store_b32 v13, v14, s[2:3] offset:2048
.LBB1680_174:
	;; [unrolled: 54-line block ×12, first 2 shown]
	s_wait_alu 0xfffe
	s_or_b32 exec_lo, exec_lo, s0
	s_branch .LBB1680_148
.LBB1680_255:
	s_mov_b32 s0, exec_lo
	v_cmpx_gt_u32_e64 s33, v0
	s_cbranch_execz .LBB1680_264
; %bb.256:
	s_mov_b32 s1, exec_lo
	v_cmpx_ge_u32_e64 v0, v1
	s_wait_alu 0xfffe
	s_xor_b32 s1, exec_lo, s1
	s_cbranch_execz .LBB1680_262
; %bb.257:
	s_mov_b32 s2, exec_lo
	v_cmpx_ge_u32_e64 v0, v12
	s_wait_alu 0xfffe
	s_xor_b32 s2, exec_lo, s2
	s_cbranch_execz .LBB1680_259
; %bb.258:
	v_lshlrev_b32_e32 v13, 2, v0
	ds_load_b32 v15, v13
	v_add_co_u32 v13, vcc_lo, v3, v0
	s_wait_alu 0xfffd
	v_add_co_ci_u32_e64 v14, null, 0, v11, vcc_lo
	s_delay_alu instid0(VALU_DEP_1) | instskip(NEXT) | instid1(VALU_DEP_1)
	v_lshlrev_b64_e32 v[13:14], 2, v[13:14]
	v_sub_co_u32 v13, vcc_lo, s26, v13
	s_wait_alu 0xfffd
	s_delay_alu instid0(VALU_DEP_2)
	v_sub_co_ci_u32_e64 v14, null, s27, v14, vcc_lo
	s_wait_dscnt 0x0
	global_store_b32 v[13:14], v15, off offset:-4
.LBB1680_259:
	s_wait_alu 0xfffe
	s_and_not1_saveexec_b32 s2, s2
	s_cbranch_execz .LBB1680_261
; %bb.260:
	v_lshlrev_b32_e32 v13, 2, v0
	v_readfirstlane_b32 s4, v7
	v_readfirstlane_b32 s5, v8
	ds_load_b32 v14, v13
	s_wait_dscnt 0x0
	global_store_b32 v13, v14, s[4:5]
.LBB1680_261:
	s_wait_alu 0xfffe
	s_or_b32 exec_lo, exec_lo, s2
.LBB1680_262:
	s_wait_alu 0xfffe
	s_and_not1_saveexec_b32 s1, s1
	s_cbranch_execz .LBB1680_264
; %bb.263:
	v_lshlrev_b32_e32 v13, 2, v0
	v_readfirstlane_b32 s2, v9
	v_readfirstlane_b32 s3, v10
	ds_load_b32 v14, v13
	s_wait_dscnt 0x0
	global_store_b32 v13, v14, s[2:3]
.LBB1680_264:
	s_wait_alu 0xfffe
	s_or_b32 exec_lo, exec_lo, s0
	s_delay_alu instid0(SALU_CYCLE_1)
	s_mov_b32 s0, exec_lo
	v_cmpx_gt_u32_e64 s33, v38
	s_cbranch_execz .LBB1680_273
; %bb.265:
	s_mov_b32 s1, exec_lo
	v_cmpx_ge_u32_e64 v38, v1
	s_wait_alu 0xfffe
	s_xor_b32 s1, exec_lo, s1
	s_cbranch_execz .LBB1680_271
; %bb.266:
	s_mov_b32 s2, exec_lo
	v_cmpx_ge_u32_e64 v38, v12
	s_wait_alu 0xfffe
	s_xor_b32 s2, exec_lo, s2
	s_cbranch_execz .LBB1680_268
; %bb.267:
	v_lshlrev_b32_e32 v13, 2, v0
	ds_load_b32 v15, v13 offset:1024
	v_add_co_u32 v13, vcc_lo, v3, v0
	s_wait_alu 0xfffd
	v_add_co_ci_u32_e64 v14, null, 0, v11, vcc_lo
	s_delay_alu instid0(VALU_DEP_1) | instskip(NEXT) | instid1(VALU_DEP_1)
	v_lshlrev_b64_e32 v[13:14], 2, v[13:14]
	v_sub_co_u32 v13, vcc_lo, s26, v13
	s_wait_alu 0xfffd
	s_delay_alu instid0(VALU_DEP_2)
	v_sub_co_ci_u32_e64 v14, null, s27, v14, vcc_lo
	s_wait_dscnt 0x0
	global_store_b32 v[13:14], v15, off offset:-1028
.LBB1680_268:
	s_wait_alu 0xfffe
	s_and_not1_saveexec_b32 s2, s2
	s_cbranch_execz .LBB1680_270
; %bb.269:
	v_lshlrev_b32_e32 v13, 2, v0
	v_readfirstlane_b32 s4, v7
	v_readfirstlane_b32 s5, v8
	ds_load_b32 v14, v13 offset:1024
	s_wait_dscnt 0x0
	global_store_b32 v13, v14, s[4:5] offset:1024
.LBB1680_270:
	s_wait_alu 0xfffe
	s_or_b32 exec_lo, exec_lo, s2
.LBB1680_271:
	s_wait_alu 0xfffe
	s_and_not1_saveexec_b32 s1, s1
	s_cbranch_execz .LBB1680_273
; %bb.272:
	v_lshlrev_b32_e32 v13, 2, v0
	v_readfirstlane_b32 s2, v9
	v_readfirstlane_b32 s3, v10
	ds_load_b32 v14, v13 offset:1024
	s_wait_dscnt 0x0
	global_store_b32 v13, v14, s[2:3] offset:1024
.LBB1680_273:
	s_wait_alu 0xfffe
	s_or_b32 exec_lo, exec_lo, s0
	s_delay_alu instid0(SALU_CYCLE_1)
	s_mov_b32 s0, exec_lo
	v_cmpx_gt_u32_e64 s33, v37
	s_cbranch_execz .LBB1680_282
; %bb.274:
	s_mov_b32 s1, exec_lo
	v_cmpx_ge_u32_e64 v37, v1
	s_wait_alu 0xfffe
	s_xor_b32 s1, exec_lo, s1
	s_cbranch_execz .LBB1680_280
; %bb.275:
	s_mov_b32 s2, exec_lo
	v_cmpx_ge_u32_e64 v37, v12
	s_wait_alu 0xfffe
	s_xor_b32 s2, exec_lo, s2
	s_cbranch_execz .LBB1680_277
; %bb.276:
	v_lshlrev_b32_e32 v13, 2, v0
	ds_load_b32 v15, v13 offset:2048
	v_add_co_u32 v13, vcc_lo, v3, v0
	s_wait_alu 0xfffd
	v_add_co_ci_u32_e64 v14, null, 0, v11, vcc_lo
	s_delay_alu instid0(VALU_DEP_1) | instskip(NEXT) | instid1(VALU_DEP_1)
	v_lshlrev_b64_e32 v[13:14], 2, v[13:14]
	v_sub_co_u32 v13, vcc_lo, s26, v13
	s_wait_alu 0xfffd
	s_delay_alu instid0(VALU_DEP_2)
	v_sub_co_ci_u32_e64 v14, null, s27, v14, vcc_lo
	s_wait_dscnt 0x0
	global_store_b32 v[13:14], v15, off offset:-2052
.LBB1680_277:
	s_wait_alu 0xfffe
	s_and_not1_saveexec_b32 s2, s2
	s_cbranch_execz .LBB1680_279
; %bb.278:
	v_lshlrev_b32_e32 v13, 2, v0
	v_readfirstlane_b32 s4, v7
	v_readfirstlane_b32 s5, v8
	ds_load_b32 v14, v13 offset:2048
	s_wait_dscnt 0x0
	global_store_b32 v13, v14, s[4:5] offset:2048
.LBB1680_279:
	s_wait_alu 0xfffe
	s_or_b32 exec_lo, exec_lo, s2
.LBB1680_280:
	s_wait_alu 0xfffe
	s_and_not1_saveexec_b32 s1, s1
	s_cbranch_execz .LBB1680_282
; %bb.281:
	v_lshlrev_b32_e32 v13, 2, v0
	v_readfirstlane_b32 s2, v9
	v_readfirstlane_b32 s3, v10
	ds_load_b32 v14, v13 offset:2048
	s_wait_dscnt 0x0
	global_store_b32 v13, v14, s[2:3] offset:2048
.LBB1680_282:
	;; [unrolled: 58-line block ×11, first 2 shown]
	s_wait_alu 0xfffe
	s_or_b32 exec_lo, exec_lo, s0
	s_delay_alu instid0(SALU_CYCLE_1)
	s_mov_b32 s0, exec_lo
	v_cmpx_gt_u32_e64 s33, v27
	s_cbranch_execz .LBB1680_372
; %bb.364:
	s_mov_b32 s1, exec_lo
	v_cmpx_ge_u32_e64 v27, v1
	s_wait_alu 0xfffe
	s_xor_b32 s1, exec_lo, s1
	s_cbranch_execz .LBB1680_370
; %bb.365:
	s_mov_b32 s2, exec_lo
	v_cmpx_ge_u32_e64 v27, v12
	s_wait_alu 0xfffe
	s_xor_b32 s2, exec_lo, s2
	s_cbranch_execz .LBB1680_367
; %bb.366:
	v_lshlrev_b32_e32 v7, 2, v0
	ds_load_b32 v9, v7 offset:12288
	v_add_co_u32 v7, vcc_lo, v3, v0
	s_wait_alu 0xfffd
	v_add_co_ci_u32_e64 v8, null, 0, v11, vcc_lo
	s_delay_alu instid0(VALU_DEP_1) | instskip(NEXT) | instid1(VALU_DEP_1)
	v_lshlrev_b64_e32 v[7:8], 2, v[7:8]
	v_sub_co_u32 v7, vcc_lo, s26, v7
	s_wait_alu 0xfffd
	s_delay_alu instid0(VALU_DEP_2)
	v_sub_co_ci_u32_e64 v8, null, s27, v8, vcc_lo
	s_wait_dscnt 0x0
	global_store_b32 v[7:8], v9, off offset:-12292
                                        ; implicit-def: $vgpr7_vgpr8
.LBB1680_367:
	s_wait_alu 0xfffe
	s_and_not1_saveexec_b32 s2, s2
	s_cbranch_execz .LBB1680_369
; %bb.368:
	v_lshlrev_b32_e32 v3, 2, v0
	v_readfirstlane_b32 s4, v7
	v_readfirstlane_b32 s5, v8
	ds_load_b32 v9, v3 offset:12288
	s_wait_dscnt 0x0
	global_store_b32 v3, v9, s[4:5] offset:12288
.LBB1680_369:
	s_wait_alu 0xfffe
	s_or_b32 exec_lo, exec_lo, s2
                                        ; implicit-def: $vgpr9_vgpr10
.LBB1680_370:
	s_wait_alu 0xfffe
	s_and_not1_saveexec_b32 s1, s1
	s_cbranch_execz .LBB1680_372
; %bb.371:
	v_lshlrev_b32_e32 v3, 2, v0
	v_readfirstlane_b32 s2, v9
	v_readfirstlane_b32 s3, v10
	ds_load_b32 v7, v3 offset:12288
	s_wait_dscnt 0x0
	global_store_b32 v3, v7, s[2:3] offset:12288
.LBB1680_372:
	s_wait_alu 0xfffe
	s_or_b32 exec_lo, exec_lo, s0
	v_cmp_eq_u32_e32 vcc_lo, 0, v0
	s_and_b32 s0, vcc_lo, s15
	s_wait_alu 0xfffe
	s_and_saveexec_b32 s1, s0
	s_cbranch_execz .LBB1680_149
.LBB1680_373:
	v_add_co_u32 v0, s0, s30, v2
	s_wait_alu 0xf1ff
	v_add_co_ci_u32_e64 v3, null, s31, 0, s0
	v_mov_b32_e32 v7, 0
	s_delay_alu instid0(VALU_DEP_3) | instskip(SKIP_1) | instid1(VALU_DEP_3)
	v_add_co_u32 v2, vcc_lo, v0, v4
	s_wait_alu 0xfffd
	v_add_co_ci_u32_e64 v3, null, 0, v3, vcc_lo
	v_add_co_u32 v0, vcc_lo, v5, v1
	s_wait_alu 0xfffd
	v_add_co_ci_u32_e64 v1, null, 0, v6, vcc_lo
	global_store_b128 v7, v[0:3], s[24:25]
	s_endpgm
.LBB1680_374:
	s_add_co_i32 s8, ttmp9, 32
	s_mov_b32 s9, 0
	v_dual_mov_b32 v7, 2 :: v_dual_add_nc_u32 v6, v4, v2
	s_wait_alu 0xfffe
	s_lshl_b64 s[8:9], s[8:9], 4
	v_dual_mov_b32 v8, 0 :: v_dual_add_nc_u32 v5, v3, v1
	s_wait_alu 0xfffe
	s_add_nc_u64 s[8:9], s[4:5], s[8:9]
	s_wait_alu 0xfffe
	v_dual_mov_b32 v24, s9 :: v_dual_mov_b32 v23, s8
	;;#ASMSTART
	global_store_b128 v[23:24], v[5:8] off scope:SCOPE_DEV	
s_wait_storecnt 0x0
	;;#ASMEND
	s_or_b32 exec_lo, exec_lo, s6
	s_and_saveexec_b32 s6, s2
	s_cbranch_execz .LBB1680_134
.LBB1680_375:
	v_mov_b32_e32 v5, 0
	ds_store_b128 v5, v[1:4] offset:13312
	s_wait_alu 0xfffe
	s_or_b32 exec_lo, exec_lo, s6
	v_cmp_eq_u32_e32 vcc_lo, 0, v0
	s_and_b32 exec_lo, exec_lo, vcc_lo
	s_cbranch_execnz .LBB1680_135
	s_branch .LBB1680_136
	.section	.rodata,"a",@progbits
	.p2align	6, 0x0
	.amdhsa_kernel _ZN7rocprim17ROCPRIM_400000_NS6detail17trampoline_kernelINS0_13select_configILj256ELj13ELNS0_17block_load_methodE3ELS4_3ELS4_3ELNS0_20block_scan_algorithmE0ELj4294967295EEENS1_25partition_config_selectorILNS1_17partition_subalgoE4EjNS0_10empty_typeEbEEZZNS1_14partition_implILS8_4ELb0ES6_15HIP_vector_typeIjLj2EENS0_17counting_iteratorIjlEEPS9_SG_NS0_5tupleIJPjSI_NS0_16reverse_iteratorISI_EEEEENSH_IJSG_SG_SG_EEES9_SI_JZNS1_25segmented_radix_sort_implINS0_14default_configELb1EPK6__halfPSP_PKlPlN2at6native12_GLOBAL__N_18offset_tEEE10hipError_tPvRmT1_PNSt15iterator_traitsIS13_E10value_typeET2_T3_PNS14_IS19_E10value_typeET4_jRbjT5_S1F_jjP12ihipStream_tbEUljE_ZNSN_ISO_Lb1ESR_SS_SU_SV_SZ_EES10_S11_S12_S13_S17_S18_S19_S1C_S1D_jS1E_jS1F_S1F_jjS1H_bEUljE0_EEES10_S11_S12_S19_S1D_S1F_T6_T7_T9_mT8_S1H_bDpT10_ENKUlT_T0_E_clISt17integral_constantIbLb0EES1V_EEDaS1Q_S1R_EUlS1Q_E_NS1_11comp_targetILNS1_3genE10ELNS1_11target_archE1200ELNS1_3gpuE4ELNS1_3repE0EEENS1_30default_config_static_selectorELNS0_4arch9wavefront6targetE0EEEvS13_
		.amdhsa_group_segment_fixed_size 13328
		.amdhsa_private_segment_fixed_size 0
		.amdhsa_kernarg_size 176
		.amdhsa_user_sgpr_count 2
		.amdhsa_user_sgpr_dispatch_ptr 0
		.amdhsa_user_sgpr_queue_ptr 0
		.amdhsa_user_sgpr_kernarg_segment_ptr 1
		.amdhsa_user_sgpr_dispatch_id 0
		.amdhsa_user_sgpr_private_segment_size 0
		.amdhsa_wavefront_size32 1
		.amdhsa_uses_dynamic_stack 0
		.amdhsa_enable_private_segment 0
		.amdhsa_system_sgpr_workgroup_id_x 1
		.amdhsa_system_sgpr_workgroup_id_y 0
		.amdhsa_system_sgpr_workgroup_id_z 0
		.amdhsa_system_sgpr_workgroup_info 0
		.amdhsa_system_vgpr_workitem_id 0
		.amdhsa_next_free_vgpr 93
		.amdhsa_next_free_sgpr 58
		.amdhsa_reserve_vcc 1
		.amdhsa_float_round_mode_32 0
		.amdhsa_float_round_mode_16_64 0
		.amdhsa_float_denorm_mode_32 3
		.amdhsa_float_denorm_mode_16_64 3
		.amdhsa_fp16_overflow 0
		.amdhsa_workgroup_processor_mode 1
		.amdhsa_memory_ordered 1
		.amdhsa_forward_progress 1
		.amdhsa_inst_pref_size 148
		.amdhsa_round_robin_scheduling 0
		.amdhsa_exception_fp_ieee_invalid_op 0
		.amdhsa_exception_fp_denorm_src 0
		.amdhsa_exception_fp_ieee_div_zero 0
		.amdhsa_exception_fp_ieee_overflow 0
		.amdhsa_exception_fp_ieee_underflow 0
		.amdhsa_exception_fp_ieee_inexact 0
		.amdhsa_exception_int_div_zero 0
	.end_amdhsa_kernel
	.section	.text._ZN7rocprim17ROCPRIM_400000_NS6detail17trampoline_kernelINS0_13select_configILj256ELj13ELNS0_17block_load_methodE3ELS4_3ELS4_3ELNS0_20block_scan_algorithmE0ELj4294967295EEENS1_25partition_config_selectorILNS1_17partition_subalgoE4EjNS0_10empty_typeEbEEZZNS1_14partition_implILS8_4ELb0ES6_15HIP_vector_typeIjLj2EENS0_17counting_iteratorIjlEEPS9_SG_NS0_5tupleIJPjSI_NS0_16reverse_iteratorISI_EEEEENSH_IJSG_SG_SG_EEES9_SI_JZNS1_25segmented_radix_sort_implINS0_14default_configELb1EPK6__halfPSP_PKlPlN2at6native12_GLOBAL__N_18offset_tEEE10hipError_tPvRmT1_PNSt15iterator_traitsIS13_E10value_typeET2_T3_PNS14_IS19_E10value_typeET4_jRbjT5_S1F_jjP12ihipStream_tbEUljE_ZNSN_ISO_Lb1ESR_SS_SU_SV_SZ_EES10_S11_S12_S13_S17_S18_S19_S1C_S1D_jS1E_jS1F_S1F_jjS1H_bEUljE0_EEES10_S11_S12_S19_S1D_S1F_T6_T7_T9_mT8_S1H_bDpT10_ENKUlT_T0_E_clISt17integral_constantIbLb0EES1V_EEDaS1Q_S1R_EUlS1Q_E_NS1_11comp_targetILNS1_3genE10ELNS1_11target_archE1200ELNS1_3gpuE4ELNS1_3repE0EEENS1_30default_config_static_selectorELNS0_4arch9wavefront6targetE0EEEvS13_,"axG",@progbits,_ZN7rocprim17ROCPRIM_400000_NS6detail17trampoline_kernelINS0_13select_configILj256ELj13ELNS0_17block_load_methodE3ELS4_3ELS4_3ELNS0_20block_scan_algorithmE0ELj4294967295EEENS1_25partition_config_selectorILNS1_17partition_subalgoE4EjNS0_10empty_typeEbEEZZNS1_14partition_implILS8_4ELb0ES6_15HIP_vector_typeIjLj2EENS0_17counting_iteratorIjlEEPS9_SG_NS0_5tupleIJPjSI_NS0_16reverse_iteratorISI_EEEEENSH_IJSG_SG_SG_EEES9_SI_JZNS1_25segmented_radix_sort_implINS0_14default_configELb1EPK6__halfPSP_PKlPlN2at6native12_GLOBAL__N_18offset_tEEE10hipError_tPvRmT1_PNSt15iterator_traitsIS13_E10value_typeET2_T3_PNS14_IS19_E10value_typeET4_jRbjT5_S1F_jjP12ihipStream_tbEUljE_ZNSN_ISO_Lb1ESR_SS_SU_SV_SZ_EES10_S11_S12_S13_S17_S18_S19_S1C_S1D_jS1E_jS1F_S1F_jjS1H_bEUljE0_EEES10_S11_S12_S19_S1D_S1F_T6_T7_T9_mT8_S1H_bDpT10_ENKUlT_T0_E_clISt17integral_constantIbLb0EES1V_EEDaS1Q_S1R_EUlS1Q_E_NS1_11comp_targetILNS1_3genE10ELNS1_11target_archE1200ELNS1_3gpuE4ELNS1_3repE0EEENS1_30default_config_static_selectorELNS0_4arch9wavefront6targetE0EEEvS13_,comdat
.Lfunc_end1680:
	.size	_ZN7rocprim17ROCPRIM_400000_NS6detail17trampoline_kernelINS0_13select_configILj256ELj13ELNS0_17block_load_methodE3ELS4_3ELS4_3ELNS0_20block_scan_algorithmE0ELj4294967295EEENS1_25partition_config_selectorILNS1_17partition_subalgoE4EjNS0_10empty_typeEbEEZZNS1_14partition_implILS8_4ELb0ES6_15HIP_vector_typeIjLj2EENS0_17counting_iteratorIjlEEPS9_SG_NS0_5tupleIJPjSI_NS0_16reverse_iteratorISI_EEEEENSH_IJSG_SG_SG_EEES9_SI_JZNS1_25segmented_radix_sort_implINS0_14default_configELb1EPK6__halfPSP_PKlPlN2at6native12_GLOBAL__N_18offset_tEEE10hipError_tPvRmT1_PNSt15iterator_traitsIS13_E10value_typeET2_T3_PNS14_IS19_E10value_typeET4_jRbjT5_S1F_jjP12ihipStream_tbEUljE_ZNSN_ISO_Lb1ESR_SS_SU_SV_SZ_EES10_S11_S12_S13_S17_S18_S19_S1C_S1D_jS1E_jS1F_S1F_jjS1H_bEUljE0_EEES10_S11_S12_S19_S1D_S1F_T6_T7_T9_mT8_S1H_bDpT10_ENKUlT_T0_E_clISt17integral_constantIbLb0EES1V_EEDaS1Q_S1R_EUlS1Q_E_NS1_11comp_targetILNS1_3genE10ELNS1_11target_archE1200ELNS1_3gpuE4ELNS1_3repE0EEENS1_30default_config_static_selectorELNS0_4arch9wavefront6targetE0EEEvS13_, .Lfunc_end1680-_ZN7rocprim17ROCPRIM_400000_NS6detail17trampoline_kernelINS0_13select_configILj256ELj13ELNS0_17block_load_methodE3ELS4_3ELS4_3ELNS0_20block_scan_algorithmE0ELj4294967295EEENS1_25partition_config_selectorILNS1_17partition_subalgoE4EjNS0_10empty_typeEbEEZZNS1_14partition_implILS8_4ELb0ES6_15HIP_vector_typeIjLj2EENS0_17counting_iteratorIjlEEPS9_SG_NS0_5tupleIJPjSI_NS0_16reverse_iteratorISI_EEEEENSH_IJSG_SG_SG_EEES9_SI_JZNS1_25segmented_radix_sort_implINS0_14default_configELb1EPK6__halfPSP_PKlPlN2at6native12_GLOBAL__N_18offset_tEEE10hipError_tPvRmT1_PNSt15iterator_traitsIS13_E10value_typeET2_T3_PNS14_IS19_E10value_typeET4_jRbjT5_S1F_jjP12ihipStream_tbEUljE_ZNSN_ISO_Lb1ESR_SS_SU_SV_SZ_EES10_S11_S12_S13_S17_S18_S19_S1C_S1D_jS1E_jS1F_S1F_jjS1H_bEUljE0_EEES10_S11_S12_S19_S1D_S1F_T6_T7_T9_mT8_S1H_bDpT10_ENKUlT_T0_E_clISt17integral_constantIbLb0EES1V_EEDaS1Q_S1R_EUlS1Q_E_NS1_11comp_targetILNS1_3genE10ELNS1_11target_archE1200ELNS1_3gpuE4ELNS1_3repE0EEENS1_30default_config_static_selectorELNS0_4arch9wavefront6targetE0EEEvS13_
                                        ; -- End function
	.set _ZN7rocprim17ROCPRIM_400000_NS6detail17trampoline_kernelINS0_13select_configILj256ELj13ELNS0_17block_load_methodE3ELS4_3ELS4_3ELNS0_20block_scan_algorithmE0ELj4294967295EEENS1_25partition_config_selectorILNS1_17partition_subalgoE4EjNS0_10empty_typeEbEEZZNS1_14partition_implILS8_4ELb0ES6_15HIP_vector_typeIjLj2EENS0_17counting_iteratorIjlEEPS9_SG_NS0_5tupleIJPjSI_NS0_16reverse_iteratorISI_EEEEENSH_IJSG_SG_SG_EEES9_SI_JZNS1_25segmented_radix_sort_implINS0_14default_configELb1EPK6__halfPSP_PKlPlN2at6native12_GLOBAL__N_18offset_tEEE10hipError_tPvRmT1_PNSt15iterator_traitsIS13_E10value_typeET2_T3_PNS14_IS19_E10value_typeET4_jRbjT5_S1F_jjP12ihipStream_tbEUljE_ZNSN_ISO_Lb1ESR_SS_SU_SV_SZ_EES10_S11_S12_S13_S17_S18_S19_S1C_S1D_jS1E_jS1F_S1F_jjS1H_bEUljE0_EEES10_S11_S12_S19_S1D_S1F_T6_T7_T9_mT8_S1H_bDpT10_ENKUlT_T0_E_clISt17integral_constantIbLb0EES1V_EEDaS1Q_S1R_EUlS1Q_E_NS1_11comp_targetILNS1_3genE10ELNS1_11target_archE1200ELNS1_3gpuE4ELNS1_3repE0EEENS1_30default_config_static_selectorELNS0_4arch9wavefront6targetE0EEEvS13_.num_vgpr, 93
	.set _ZN7rocprim17ROCPRIM_400000_NS6detail17trampoline_kernelINS0_13select_configILj256ELj13ELNS0_17block_load_methodE3ELS4_3ELS4_3ELNS0_20block_scan_algorithmE0ELj4294967295EEENS1_25partition_config_selectorILNS1_17partition_subalgoE4EjNS0_10empty_typeEbEEZZNS1_14partition_implILS8_4ELb0ES6_15HIP_vector_typeIjLj2EENS0_17counting_iteratorIjlEEPS9_SG_NS0_5tupleIJPjSI_NS0_16reverse_iteratorISI_EEEEENSH_IJSG_SG_SG_EEES9_SI_JZNS1_25segmented_radix_sort_implINS0_14default_configELb1EPK6__halfPSP_PKlPlN2at6native12_GLOBAL__N_18offset_tEEE10hipError_tPvRmT1_PNSt15iterator_traitsIS13_E10value_typeET2_T3_PNS14_IS19_E10value_typeET4_jRbjT5_S1F_jjP12ihipStream_tbEUljE_ZNSN_ISO_Lb1ESR_SS_SU_SV_SZ_EES10_S11_S12_S13_S17_S18_S19_S1C_S1D_jS1E_jS1F_S1F_jjS1H_bEUljE0_EEES10_S11_S12_S19_S1D_S1F_T6_T7_T9_mT8_S1H_bDpT10_ENKUlT_T0_E_clISt17integral_constantIbLb0EES1V_EEDaS1Q_S1R_EUlS1Q_E_NS1_11comp_targetILNS1_3genE10ELNS1_11target_archE1200ELNS1_3gpuE4ELNS1_3repE0EEENS1_30default_config_static_selectorELNS0_4arch9wavefront6targetE0EEEvS13_.num_agpr, 0
	.set _ZN7rocprim17ROCPRIM_400000_NS6detail17trampoline_kernelINS0_13select_configILj256ELj13ELNS0_17block_load_methodE3ELS4_3ELS4_3ELNS0_20block_scan_algorithmE0ELj4294967295EEENS1_25partition_config_selectorILNS1_17partition_subalgoE4EjNS0_10empty_typeEbEEZZNS1_14partition_implILS8_4ELb0ES6_15HIP_vector_typeIjLj2EENS0_17counting_iteratorIjlEEPS9_SG_NS0_5tupleIJPjSI_NS0_16reverse_iteratorISI_EEEEENSH_IJSG_SG_SG_EEES9_SI_JZNS1_25segmented_radix_sort_implINS0_14default_configELb1EPK6__halfPSP_PKlPlN2at6native12_GLOBAL__N_18offset_tEEE10hipError_tPvRmT1_PNSt15iterator_traitsIS13_E10value_typeET2_T3_PNS14_IS19_E10value_typeET4_jRbjT5_S1F_jjP12ihipStream_tbEUljE_ZNSN_ISO_Lb1ESR_SS_SU_SV_SZ_EES10_S11_S12_S13_S17_S18_S19_S1C_S1D_jS1E_jS1F_S1F_jjS1H_bEUljE0_EEES10_S11_S12_S19_S1D_S1F_T6_T7_T9_mT8_S1H_bDpT10_ENKUlT_T0_E_clISt17integral_constantIbLb0EES1V_EEDaS1Q_S1R_EUlS1Q_E_NS1_11comp_targetILNS1_3genE10ELNS1_11target_archE1200ELNS1_3gpuE4ELNS1_3repE0EEENS1_30default_config_static_selectorELNS0_4arch9wavefront6targetE0EEEvS13_.numbered_sgpr, 58
	.set _ZN7rocprim17ROCPRIM_400000_NS6detail17trampoline_kernelINS0_13select_configILj256ELj13ELNS0_17block_load_methodE3ELS4_3ELS4_3ELNS0_20block_scan_algorithmE0ELj4294967295EEENS1_25partition_config_selectorILNS1_17partition_subalgoE4EjNS0_10empty_typeEbEEZZNS1_14partition_implILS8_4ELb0ES6_15HIP_vector_typeIjLj2EENS0_17counting_iteratorIjlEEPS9_SG_NS0_5tupleIJPjSI_NS0_16reverse_iteratorISI_EEEEENSH_IJSG_SG_SG_EEES9_SI_JZNS1_25segmented_radix_sort_implINS0_14default_configELb1EPK6__halfPSP_PKlPlN2at6native12_GLOBAL__N_18offset_tEEE10hipError_tPvRmT1_PNSt15iterator_traitsIS13_E10value_typeET2_T3_PNS14_IS19_E10value_typeET4_jRbjT5_S1F_jjP12ihipStream_tbEUljE_ZNSN_ISO_Lb1ESR_SS_SU_SV_SZ_EES10_S11_S12_S13_S17_S18_S19_S1C_S1D_jS1E_jS1F_S1F_jjS1H_bEUljE0_EEES10_S11_S12_S19_S1D_S1F_T6_T7_T9_mT8_S1H_bDpT10_ENKUlT_T0_E_clISt17integral_constantIbLb0EES1V_EEDaS1Q_S1R_EUlS1Q_E_NS1_11comp_targetILNS1_3genE10ELNS1_11target_archE1200ELNS1_3gpuE4ELNS1_3repE0EEENS1_30default_config_static_selectorELNS0_4arch9wavefront6targetE0EEEvS13_.num_named_barrier, 0
	.set _ZN7rocprim17ROCPRIM_400000_NS6detail17trampoline_kernelINS0_13select_configILj256ELj13ELNS0_17block_load_methodE3ELS4_3ELS4_3ELNS0_20block_scan_algorithmE0ELj4294967295EEENS1_25partition_config_selectorILNS1_17partition_subalgoE4EjNS0_10empty_typeEbEEZZNS1_14partition_implILS8_4ELb0ES6_15HIP_vector_typeIjLj2EENS0_17counting_iteratorIjlEEPS9_SG_NS0_5tupleIJPjSI_NS0_16reverse_iteratorISI_EEEEENSH_IJSG_SG_SG_EEES9_SI_JZNS1_25segmented_radix_sort_implINS0_14default_configELb1EPK6__halfPSP_PKlPlN2at6native12_GLOBAL__N_18offset_tEEE10hipError_tPvRmT1_PNSt15iterator_traitsIS13_E10value_typeET2_T3_PNS14_IS19_E10value_typeET4_jRbjT5_S1F_jjP12ihipStream_tbEUljE_ZNSN_ISO_Lb1ESR_SS_SU_SV_SZ_EES10_S11_S12_S13_S17_S18_S19_S1C_S1D_jS1E_jS1F_S1F_jjS1H_bEUljE0_EEES10_S11_S12_S19_S1D_S1F_T6_T7_T9_mT8_S1H_bDpT10_ENKUlT_T0_E_clISt17integral_constantIbLb0EES1V_EEDaS1Q_S1R_EUlS1Q_E_NS1_11comp_targetILNS1_3genE10ELNS1_11target_archE1200ELNS1_3gpuE4ELNS1_3repE0EEENS1_30default_config_static_selectorELNS0_4arch9wavefront6targetE0EEEvS13_.private_seg_size, 0
	.set _ZN7rocprim17ROCPRIM_400000_NS6detail17trampoline_kernelINS0_13select_configILj256ELj13ELNS0_17block_load_methodE3ELS4_3ELS4_3ELNS0_20block_scan_algorithmE0ELj4294967295EEENS1_25partition_config_selectorILNS1_17partition_subalgoE4EjNS0_10empty_typeEbEEZZNS1_14partition_implILS8_4ELb0ES6_15HIP_vector_typeIjLj2EENS0_17counting_iteratorIjlEEPS9_SG_NS0_5tupleIJPjSI_NS0_16reverse_iteratorISI_EEEEENSH_IJSG_SG_SG_EEES9_SI_JZNS1_25segmented_radix_sort_implINS0_14default_configELb1EPK6__halfPSP_PKlPlN2at6native12_GLOBAL__N_18offset_tEEE10hipError_tPvRmT1_PNSt15iterator_traitsIS13_E10value_typeET2_T3_PNS14_IS19_E10value_typeET4_jRbjT5_S1F_jjP12ihipStream_tbEUljE_ZNSN_ISO_Lb1ESR_SS_SU_SV_SZ_EES10_S11_S12_S13_S17_S18_S19_S1C_S1D_jS1E_jS1F_S1F_jjS1H_bEUljE0_EEES10_S11_S12_S19_S1D_S1F_T6_T7_T9_mT8_S1H_bDpT10_ENKUlT_T0_E_clISt17integral_constantIbLb0EES1V_EEDaS1Q_S1R_EUlS1Q_E_NS1_11comp_targetILNS1_3genE10ELNS1_11target_archE1200ELNS1_3gpuE4ELNS1_3repE0EEENS1_30default_config_static_selectorELNS0_4arch9wavefront6targetE0EEEvS13_.uses_vcc, 1
	.set _ZN7rocprim17ROCPRIM_400000_NS6detail17trampoline_kernelINS0_13select_configILj256ELj13ELNS0_17block_load_methodE3ELS4_3ELS4_3ELNS0_20block_scan_algorithmE0ELj4294967295EEENS1_25partition_config_selectorILNS1_17partition_subalgoE4EjNS0_10empty_typeEbEEZZNS1_14partition_implILS8_4ELb0ES6_15HIP_vector_typeIjLj2EENS0_17counting_iteratorIjlEEPS9_SG_NS0_5tupleIJPjSI_NS0_16reverse_iteratorISI_EEEEENSH_IJSG_SG_SG_EEES9_SI_JZNS1_25segmented_radix_sort_implINS0_14default_configELb1EPK6__halfPSP_PKlPlN2at6native12_GLOBAL__N_18offset_tEEE10hipError_tPvRmT1_PNSt15iterator_traitsIS13_E10value_typeET2_T3_PNS14_IS19_E10value_typeET4_jRbjT5_S1F_jjP12ihipStream_tbEUljE_ZNSN_ISO_Lb1ESR_SS_SU_SV_SZ_EES10_S11_S12_S13_S17_S18_S19_S1C_S1D_jS1E_jS1F_S1F_jjS1H_bEUljE0_EEES10_S11_S12_S19_S1D_S1F_T6_T7_T9_mT8_S1H_bDpT10_ENKUlT_T0_E_clISt17integral_constantIbLb0EES1V_EEDaS1Q_S1R_EUlS1Q_E_NS1_11comp_targetILNS1_3genE10ELNS1_11target_archE1200ELNS1_3gpuE4ELNS1_3repE0EEENS1_30default_config_static_selectorELNS0_4arch9wavefront6targetE0EEEvS13_.uses_flat_scratch, 0
	.set _ZN7rocprim17ROCPRIM_400000_NS6detail17trampoline_kernelINS0_13select_configILj256ELj13ELNS0_17block_load_methodE3ELS4_3ELS4_3ELNS0_20block_scan_algorithmE0ELj4294967295EEENS1_25partition_config_selectorILNS1_17partition_subalgoE4EjNS0_10empty_typeEbEEZZNS1_14partition_implILS8_4ELb0ES6_15HIP_vector_typeIjLj2EENS0_17counting_iteratorIjlEEPS9_SG_NS0_5tupleIJPjSI_NS0_16reverse_iteratorISI_EEEEENSH_IJSG_SG_SG_EEES9_SI_JZNS1_25segmented_radix_sort_implINS0_14default_configELb1EPK6__halfPSP_PKlPlN2at6native12_GLOBAL__N_18offset_tEEE10hipError_tPvRmT1_PNSt15iterator_traitsIS13_E10value_typeET2_T3_PNS14_IS19_E10value_typeET4_jRbjT5_S1F_jjP12ihipStream_tbEUljE_ZNSN_ISO_Lb1ESR_SS_SU_SV_SZ_EES10_S11_S12_S13_S17_S18_S19_S1C_S1D_jS1E_jS1F_S1F_jjS1H_bEUljE0_EEES10_S11_S12_S19_S1D_S1F_T6_T7_T9_mT8_S1H_bDpT10_ENKUlT_T0_E_clISt17integral_constantIbLb0EES1V_EEDaS1Q_S1R_EUlS1Q_E_NS1_11comp_targetILNS1_3genE10ELNS1_11target_archE1200ELNS1_3gpuE4ELNS1_3repE0EEENS1_30default_config_static_selectorELNS0_4arch9wavefront6targetE0EEEvS13_.has_dyn_sized_stack, 0
	.set _ZN7rocprim17ROCPRIM_400000_NS6detail17trampoline_kernelINS0_13select_configILj256ELj13ELNS0_17block_load_methodE3ELS4_3ELS4_3ELNS0_20block_scan_algorithmE0ELj4294967295EEENS1_25partition_config_selectorILNS1_17partition_subalgoE4EjNS0_10empty_typeEbEEZZNS1_14partition_implILS8_4ELb0ES6_15HIP_vector_typeIjLj2EENS0_17counting_iteratorIjlEEPS9_SG_NS0_5tupleIJPjSI_NS0_16reverse_iteratorISI_EEEEENSH_IJSG_SG_SG_EEES9_SI_JZNS1_25segmented_radix_sort_implINS0_14default_configELb1EPK6__halfPSP_PKlPlN2at6native12_GLOBAL__N_18offset_tEEE10hipError_tPvRmT1_PNSt15iterator_traitsIS13_E10value_typeET2_T3_PNS14_IS19_E10value_typeET4_jRbjT5_S1F_jjP12ihipStream_tbEUljE_ZNSN_ISO_Lb1ESR_SS_SU_SV_SZ_EES10_S11_S12_S13_S17_S18_S19_S1C_S1D_jS1E_jS1F_S1F_jjS1H_bEUljE0_EEES10_S11_S12_S19_S1D_S1F_T6_T7_T9_mT8_S1H_bDpT10_ENKUlT_T0_E_clISt17integral_constantIbLb0EES1V_EEDaS1Q_S1R_EUlS1Q_E_NS1_11comp_targetILNS1_3genE10ELNS1_11target_archE1200ELNS1_3gpuE4ELNS1_3repE0EEENS1_30default_config_static_selectorELNS0_4arch9wavefront6targetE0EEEvS13_.has_recursion, 0
	.set _ZN7rocprim17ROCPRIM_400000_NS6detail17trampoline_kernelINS0_13select_configILj256ELj13ELNS0_17block_load_methodE3ELS4_3ELS4_3ELNS0_20block_scan_algorithmE0ELj4294967295EEENS1_25partition_config_selectorILNS1_17partition_subalgoE4EjNS0_10empty_typeEbEEZZNS1_14partition_implILS8_4ELb0ES6_15HIP_vector_typeIjLj2EENS0_17counting_iteratorIjlEEPS9_SG_NS0_5tupleIJPjSI_NS0_16reverse_iteratorISI_EEEEENSH_IJSG_SG_SG_EEES9_SI_JZNS1_25segmented_radix_sort_implINS0_14default_configELb1EPK6__halfPSP_PKlPlN2at6native12_GLOBAL__N_18offset_tEEE10hipError_tPvRmT1_PNSt15iterator_traitsIS13_E10value_typeET2_T3_PNS14_IS19_E10value_typeET4_jRbjT5_S1F_jjP12ihipStream_tbEUljE_ZNSN_ISO_Lb1ESR_SS_SU_SV_SZ_EES10_S11_S12_S13_S17_S18_S19_S1C_S1D_jS1E_jS1F_S1F_jjS1H_bEUljE0_EEES10_S11_S12_S19_S1D_S1F_T6_T7_T9_mT8_S1H_bDpT10_ENKUlT_T0_E_clISt17integral_constantIbLb0EES1V_EEDaS1Q_S1R_EUlS1Q_E_NS1_11comp_targetILNS1_3genE10ELNS1_11target_archE1200ELNS1_3gpuE4ELNS1_3repE0EEENS1_30default_config_static_selectorELNS0_4arch9wavefront6targetE0EEEvS13_.has_indirect_call, 0
	.section	.AMDGPU.csdata,"",@progbits
; Kernel info:
; codeLenInByte = 18900
; TotalNumSgprs: 60
; NumVgprs: 93
; ScratchSize: 0
; MemoryBound: 0
; FloatMode: 240
; IeeeMode: 1
; LDSByteSize: 13328 bytes/workgroup (compile time only)
; SGPRBlocks: 0
; VGPRBlocks: 11
; NumSGPRsForWavesPerEU: 60
; NumVGPRsForWavesPerEU: 93
; Occupancy: 16
; WaveLimiterHint : 1
; COMPUTE_PGM_RSRC2:SCRATCH_EN: 0
; COMPUTE_PGM_RSRC2:USER_SGPR: 2
; COMPUTE_PGM_RSRC2:TRAP_HANDLER: 0
; COMPUTE_PGM_RSRC2:TGID_X_EN: 1
; COMPUTE_PGM_RSRC2:TGID_Y_EN: 0
; COMPUTE_PGM_RSRC2:TGID_Z_EN: 0
; COMPUTE_PGM_RSRC2:TIDIG_COMP_CNT: 0
	.section	.text._ZN7rocprim17ROCPRIM_400000_NS6detail17trampoline_kernelINS0_13select_configILj256ELj13ELNS0_17block_load_methodE3ELS4_3ELS4_3ELNS0_20block_scan_algorithmE0ELj4294967295EEENS1_25partition_config_selectorILNS1_17partition_subalgoE4EjNS0_10empty_typeEbEEZZNS1_14partition_implILS8_4ELb0ES6_15HIP_vector_typeIjLj2EENS0_17counting_iteratorIjlEEPS9_SG_NS0_5tupleIJPjSI_NS0_16reverse_iteratorISI_EEEEENSH_IJSG_SG_SG_EEES9_SI_JZNS1_25segmented_radix_sort_implINS0_14default_configELb1EPK6__halfPSP_PKlPlN2at6native12_GLOBAL__N_18offset_tEEE10hipError_tPvRmT1_PNSt15iterator_traitsIS13_E10value_typeET2_T3_PNS14_IS19_E10value_typeET4_jRbjT5_S1F_jjP12ihipStream_tbEUljE_ZNSN_ISO_Lb1ESR_SS_SU_SV_SZ_EES10_S11_S12_S13_S17_S18_S19_S1C_S1D_jS1E_jS1F_S1F_jjS1H_bEUljE0_EEES10_S11_S12_S19_S1D_S1F_T6_T7_T9_mT8_S1H_bDpT10_ENKUlT_T0_E_clISt17integral_constantIbLb0EES1V_EEDaS1Q_S1R_EUlS1Q_E_NS1_11comp_targetILNS1_3genE9ELNS1_11target_archE1100ELNS1_3gpuE3ELNS1_3repE0EEENS1_30default_config_static_selectorELNS0_4arch9wavefront6targetE0EEEvS13_,"axG",@progbits,_ZN7rocprim17ROCPRIM_400000_NS6detail17trampoline_kernelINS0_13select_configILj256ELj13ELNS0_17block_load_methodE3ELS4_3ELS4_3ELNS0_20block_scan_algorithmE0ELj4294967295EEENS1_25partition_config_selectorILNS1_17partition_subalgoE4EjNS0_10empty_typeEbEEZZNS1_14partition_implILS8_4ELb0ES6_15HIP_vector_typeIjLj2EENS0_17counting_iteratorIjlEEPS9_SG_NS0_5tupleIJPjSI_NS0_16reverse_iteratorISI_EEEEENSH_IJSG_SG_SG_EEES9_SI_JZNS1_25segmented_radix_sort_implINS0_14default_configELb1EPK6__halfPSP_PKlPlN2at6native12_GLOBAL__N_18offset_tEEE10hipError_tPvRmT1_PNSt15iterator_traitsIS13_E10value_typeET2_T3_PNS14_IS19_E10value_typeET4_jRbjT5_S1F_jjP12ihipStream_tbEUljE_ZNSN_ISO_Lb1ESR_SS_SU_SV_SZ_EES10_S11_S12_S13_S17_S18_S19_S1C_S1D_jS1E_jS1F_S1F_jjS1H_bEUljE0_EEES10_S11_S12_S19_S1D_S1F_T6_T7_T9_mT8_S1H_bDpT10_ENKUlT_T0_E_clISt17integral_constantIbLb0EES1V_EEDaS1Q_S1R_EUlS1Q_E_NS1_11comp_targetILNS1_3genE9ELNS1_11target_archE1100ELNS1_3gpuE3ELNS1_3repE0EEENS1_30default_config_static_selectorELNS0_4arch9wavefront6targetE0EEEvS13_,comdat
	.globl	_ZN7rocprim17ROCPRIM_400000_NS6detail17trampoline_kernelINS0_13select_configILj256ELj13ELNS0_17block_load_methodE3ELS4_3ELS4_3ELNS0_20block_scan_algorithmE0ELj4294967295EEENS1_25partition_config_selectorILNS1_17partition_subalgoE4EjNS0_10empty_typeEbEEZZNS1_14partition_implILS8_4ELb0ES6_15HIP_vector_typeIjLj2EENS0_17counting_iteratorIjlEEPS9_SG_NS0_5tupleIJPjSI_NS0_16reverse_iteratorISI_EEEEENSH_IJSG_SG_SG_EEES9_SI_JZNS1_25segmented_radix_sort_implINS0_14default_configELb1EPK6__halfPSP_PKlPlN2at6native12_GLOBAL__N_18offset_tEEE10hipError_tPvRmT1_PNSt15iterator_traitsIS13_E10value_typeET2_T3_PNS14_IS19_E10value_typeET4_jRbjT5_S1F_jjP12ihipStream_tbEUljE_ZNSN_ISO_Lb1ESR_SS_SU_SV_SZ_EES10_S11_S12_S13_S17_S18_S19_S1C_S1D_jS1E_jS1F_S1F_jjS1H_bEUljE0_EEES10_S11_S12_S19_S1D_S1F_T6_T7_T9_mT8_S1H_bDpT10_ENKUlT_T0_E_clISt17integral_constantIbLb0EES1V_EEDaS1Q_S1R_EUlS1Q_E_NS1_11comp_targetILNS1_3genE9ELNS1_11target_archE1100ELNS1_3gpuE3ELNS1_3repE0EEENS1_30default_config_static_selectorELNS0_4arch9wavefront6targetE0EEEvS13_ ; -- Begin function _ZN7rocprim17ROCPRIM_400000_NS6detail17trampoline_kernelINS0_13select_configILj256ELj13ELNS0_17block_load_methodE3ELS4_3ELS4_3ELNS0_20block_scan_algorithmE0ELj4294967295EEENS1_25partition_config_selectorILNS1_17partition_subalgoE4EjNS0_10empty_typeEbEEZZNS1_14partition_implILS8_4ELb0ES6_15HIP_vector_typeIjLj2EENS0_17counting_iteratorIjlEEPS9_SG_NS0_5tupleIJPjSI_NS0_16reverse_iteratorISI_EEEEENSH_IJSG_SG_SG_EEES9_SI_JZNS1_25segmented_radix_sort_implINS0_14default_configELb1EPK6__halfPSP_PKlPlN2at6native12_GLOBAL__N_18offset_tEEE10hipError_tPvRmT1_PNSt15iterator_traitsIS13_E10value_typeET2_T3_PNS14_IS19_E10value_typeET4_jRbjT5_S1F_jjP12ihipStream_tbEUljE_ZNSN_ISO_Lb1ESR_SS_SU_SV_SZ_EES10_S11_S12_S13_S17_S18_S19_S1C_S1D_jS1E_jS1F_S1F_jjS1H_bEUljE0_EEES10_S11_S12_S19_S1D_S1F_T6_T7_T9_mT8_S1H_bDpT10_ENKUlT_T0_E_clISt17integral_constantIbLb0EES1V_EEDaS1Q_S1R_EUlS1Q_E_NS1_11comp_targetILNS1_3genE9ELNS1_11target_archE1100ELNS1_3gpuE3ELNS1_3repE0EEENS1_30default_config_static_selectorELNS0_4arch9wavefront6targetE0EEEvS13_
	.p2align	8
	.type	_ZN7rocprim17ROCPRIM_400000_NS6detail17trampoline_kernelINS0_13select_configILj256ELj13ELNS0_17block_load_methodE3ELS4_3ELS4_3ELNS0_20block_scan_algorithmE0ELj4294967295EEENS1_25partition_config_selectorILNS1_17partition_subalgoE4EjNS0_10empty_typeEbEEZZNS1_14partition_implILS8_4ELb0ES6_15HIP_vector_typeIjLj2EENS0_17counting_iteratorIjlEEPS9_SG_NS0_5tupleIJPjSI_NS0_16reverse_iteratorISI_EEEEENSH_IJSG_SG_SG_EEES9_SI_JZNS1_25segmented_radix_sort_implINS0_14default_configELb1EPK6__halfPSP_PKlPlN2at6native12_GLOBAL__N_18offset_tEEE10hipError_tPvRmT1_PNSt15iterator_traitsIS13_E10value_typeET2_T3_PNS14_IS19_E10value_typeET4_jRbjT5_S1F_jjP12ihipStream_tbEUljE_ZNSN_ISO_Lb1ESR_SS_SU_SV_SZ_EES10_S11_S12_S13_S17_S18_S19_S1C_S1D_jS1E_jS1F_S1F_jjS1H_bEUljE0_EEES10_S11_S12_S19_S1D_S1F_T6_T7_T9_mT8_S1H_bDpT10_ENKUlT_T0_E_clISt17integral_constantIbLb0EES1V_EEDaS1Q_S1R_EUlS1Q_E_NS1_11comp_targetILNS1_3genE9ELNS1_11target_archE1100ELNS1_3gpuE3ELNS1_3repE0EEENS1_30default_config_static_selectorELNS0_4arch9wavefront6targetE0EEEvS13_,@function
_ZN7rocprim17ROCPRIM_400000_NS6detail17trampoline_kernelINS0_13select_configILj256ELj13ELNS0_17block_load_methodE3ELS4_3ELS4_3ELNS0_20block_scan_algorithmE0ELj4294967295EEENS1_25partition_config_selectorILNS1_17partition_subalgoE4EjNS0_10empty_typeEbEEZZNS1_14partition_implILS8_4ELb0ES6_15HIP_vector_typeIjLj2EENS0_17counting_iteratorIjlEEPS9_SG_NS0_5tupleIJPjSI_NS0_16reverse_iteratorISI_EEEEENSH_IJSG_SG_SG_EEES9_SI_JZNS1_25segmented_radix_sort_implINS0_14default_configELb1EPK6__halfPSP_PKlPlN2at6native12_GLOBAL__N_18offset_tEEE10hipError_tPvRmT1_PNSt15iterator_traitsIS13_E10value_typeET2_T3_PNS14_IS19_E10value_typeET4_jRbjT5_S1F_jjP12ihipStream_tbEUljE_ZNSN_ISO_Lb1ESR_SS_SU_SV_SZ_EES10_S11_S12_S13_S17_S18_S19_S1C_S1D_jS1E_jS1F_S1F_jjS1H_bEUljE0_EEES10_S11_S12_S19_S1D_S1F_T6_T7_T9_mT8_S1H_bDpT10_ENKUlT_T0_E_clISt17integral_constantIbLb0EES1V_EEDaS1Q_S1R_EUlS1Q_E_NS1_11comp_targetILNS1_3genE9ELNS1_11target_archE1100ELNS1_3gpuE3ELNS1_3repE0EEENS1_30default_config_static_selectorELNS0_4arch9wavefront6targetE0EEEvS13_: ; @_ZN7rocprim17ROCPRIM_400000_NS6detail17trampoline_kernelINS0_13select_configILj256ELj13ELNS0_17block_load_methodE3ELS4_3ELS4_3ELNS0_20block_scan_algorithmE0ELj4294967295EEENS1_25partition_config_selectorILNS1_17partition_subalgoE4EjNS0_10empty_typeEbEEZZNS1_14partition_implILS8_4ELb0ES6_15HIP_vector_typeIjLj2EENS0_17counting_iteratorIjlEEPS9_SG_NS0_5tupleIJPjSI_NS0_16reverse_iteratorISI_EEEEENSH_IJSG_SG_SG_EEES9_SI_JZNS1_25segmented_radix_sort_implINS0_14default_configELb1EPK6__halfPSP_PKlPlN2at6native12_GLOBAL__N_18offset_tEEE10hipError_tPvRmT1_PNSt15iterator_traitsIS13_E10value_typeET2_T3_PNS14_IS19_E10value_typeET4_jRbjT5_S1F_jjP12ihipStream_tbEUljE_ZNSN_ISO_Lb1ESR_SS_SU_SV_SZ_EES10_S11_S12_S13_S17_S18_S19_S1C_S1D_jS1E_jS1F_S1F_jjS1H_bEUljE0_EEES10_S11_S12_S19_S1D_S1F_T6_T7_T9_mT8_S1H_bDpT10_ENKUlT_T0_E_clISt17integral_constantIbLb0EES1V_EEDaS1Q_S1R_EUlS1Q_E_NS1_11comp_targetILNS1_3genE9ELNS1_11target_archE1100ELNS1_3gpuE3ELNS1_3repE0EEENS1_30default_config_static_selectorELNS0_4arch9wavefront6targetE0EEEvS13_
; %bb.0:
	.section	.rodata,"a",@progbits
	.p2align	6, 0x0
	.amdhsa_kernel _ZN7rocprim17ROCPRIM_400000_NS6detail17trampoline_kernelINS0_13select_configILj256ELj13ELNS0_17block_load_methodE3ELS4_3ELS4_3ELNS0_20block_scan_algorithmE0ELj4294967295EEENS1_25partition_config_selectorILNS1_17partition_subalgoE4EjNS0_10empty_typeEbEEZZNS1_14partition_implILS8_4ELb0ES6_15HIP_vector_typeIjLj2EENS0_17counting_iteratorIjlEEPS9_SG_NS0_5tupleIJPjSI_NS0_16reverse_iteratorISI_EEEEENSH_IJSG_SG_SG_EEES9_SI_JZNS1_25segmented_radix_sort_implINS0_14default_configELb1EPK6__halfPSP_PKlPlN2at6native12_GLOBAL__N_18offset_tEEE10hipError_tPvRmT1_PNSt15iterator_traitsIS13_E10value_typeET2_T3_PNS14_IS19_E10value_typeET4_jRbjT5_S1F_jjP12ihipStream_tbEUljE_ZNSN_ISO_Lb1ESR_SS_SU_SV_SZ_EES10_S11_S12_S13_S17_S18_S19_S1C_S1D_jS1E_jS1F_S1F_jjS1H_bEUljE0_EEES10_S11_S12_S19_S1D_S1F_T6_T7_T9_mT8_S1H_bDpT10_ENKUlT_T0_E_clISt17integral_constantIbLb0EES1V_EEDaS1Q_S1R_EUlS1Q_E_NS1_11comp_targetILNS1_3genE9ELNS1_11target_archE1100ELNS1_3gpuE3ELNS1_3repE0EEENS1_30default_config_static_selectorELNS0_4arch9wavefront6targetE0EEEvS13_
		.amdhsa_group_segment_fixed_size 0
		.amdhsa_private_segment_fixed_size 0
		.amdhsa_kernarg_size 176
		.amdhsa_user_sgpr_count 2
		.amdhsa_user_sgpr_dispatch_ptr 0
		.amdhsa_user_sgpr_queue_ptr 0
		.amdhsa_user_sgpr_kernarg_segment_ptr 1
		.amdhsa_user_sgpr_dispatch_id 0
		.amdhsa_user_sgpr_private_segment_size 0
		.amdhsa_wavefront_size32 1
		.amdhsa_uses_dynamic_stack 0
		.amdhsa_enable_private_segment 0
		.amdhsa_system_sgpr_workgroup_id_x 1
		.amdhsa_system_sgpr_workgroup_id_y 0
		.amdhsa_system_sgpr_workgroup_id_z 0
		.amdhsa_system_sgpr_workgroup_info 0
		.amdhsa_system_vgpr_workitem_id 0
		.amdhsa_next_free_vgpr 1
		.amdhsa_next_free_sgpr 1
		.amdhsa_reserve_vcc 0
		.amdhsa_float_round_mode_32 0
		.amdhsa_float_round_mode_16_64 0
		.amdhsa_float_denorm_mode_32 3
		.amdhsa_float_denorm_mode_16_64 3
		.amdhsa_fp16_overflow 0
		.amdhsa_workgroup_processor_mode 1
		.amdhsa_memory_ordered 1
		.amdhsa_forward_progress 1
		.amdhsa_inst_pref_size 0
		.amdhsa_round_robin_scheduling 0
		.amdhsa_exception_fp_ieee_invalid_op 0
		.amdhsa_exception_fp_denorm_src 0
		.amdhsa_exception_fp_ieee_div_zero 0
		.amdhsa_exception_fp_ieee_overflow 0
		.amdhsa_exception_fp_ieee_underflow 0
		.amdhsa_exception_fp_ieee_inexact 0
		.amdhsa_exception_int_div_zero 0
	.end_amdhsa_kernel
	.section	.text._ZN7rocprim17ROCPRIM_400000_NS6detail17trampoline_kernelINS0_13select_configILj256ELj13ELNS0_17block_load_methodE3ELS4_3ELS4_3ELNS0_20block_scan_algorithmE0ELj4294967295EEENS1_25partition_config_selectorILNS1_17partition_subalgoE4EjNS0_10empty_typeEbEEZZNS1_14partition_implILS8_4ELb0ES6_15HIP_vector_typeIjLj2EENS0_17counting_iteratorIjlEEPS9_SG_NS0_5tupleIJPjSI_NS0_16reverse_iteratorISI_EEEEENSH_IJSG_SG_SG_EEES9_SI_JZNS1_25segmented_radix_sort_implINS0_14default_configELb1EPK6__halfPSP_PKlPlN2at6native12_GLOBAL__N_18offset_tEEE10hipError_tPvRmT1_PNSt15iterator_traitsIS13_E10value_typeET2_T3_PNS14_IS19_E10value_typeET4_jRbjT5_S1F_jjP12ihipStream_tbEUljE_ZNSN_ISO_Lb1ESR_SS_SU_SV_SZ_EES10_S11_S12_S13_S17_S18_S19_S1C_S1D_jS1E_jS1F_S1F_jjS1H_bEUljE0_EEES10_S11_S12_S19_S1D_S1F_T6_T7_T9_mT8_S1H_bDpT10_ENKUlT_T0_E_clISt17integral_constantIbLb0EES1V_EEDaS1Q_S1R_EUlS1Q_E_NS1_11comp_targetILNS1_3genE9ELNS1_11target_archE1100ELNS1_3gpuE3ELNS1_3repE0EEENS1_30default_config_static_selectorELNS0_4arch9wavefront6targetE0EEEvS13_,"axG",@progbits,_ZN7rocprim17ROCPRIM_400000_NS6detail17trampoline_kernelINS0_13select_configILj256ELj13ELNS0_17block_load_methodE3ELS4_3ELS4_3ELNS0_20block_scan_algorithmE0ELj4294967295EEENS1_25partition_config_selectorILNS1_17partition_subalgoE4EjNS0_10empty_typeEbEEZZNS1_14partition_implILS8_4ELb0ES6_15HIP_vector_typeIjLj2EENS0_17counting_iteratorIjlEEPS9_SG_NS0_5tupleIJPjSI_NS0_16reverse_iteratorISI_EEEEENSH_IJSG_SG_SG_EEES9_SI_JZNS1_25segmented_radix_sort_implINS0_14default_configELb1EPK6__halfPSP_PKlPlN2at6native12_GLOBAL__N_18offset_tEEE10hipError_tPvRmT1_PNSt15iterator_traitsIS13_E10value_typeET2_T3_PNS14_IS19_E10value_typeET4_jRbjT5_S1F_jjP12ihipStream_tbEUljE_ZNSN_ISO_Lb1ESR_SS_SU_SV_SZ_EES10_S11_S12_S13_S17_S18_S19_S1C_S1D_jS1E_jS1F_S1F_jjS1H_bEUljE0_EEES10_S11_S12_S19_S1D_S1F_T6_T7_T9_mT8_S1H_bDpT10_ENKUlT_T0_E_clISt17integral_constantIbLb0EES1V_EEDaS1Q_S1R_EUlS1Q_E_NS1_11comp_targetILNS1_3genE9ELNS1_11target_archE1100ELNS1_3gpuE3ELNS1_3repE0EEENS1_30default_config_static_selectorELNS0_4arch9wavefront6targetE0EEEvS13_,comdat
.Lfunc_end1681:
	.size	_ZN7rocprim17ROCPRIM_400000_NS6detail17trampoline_kernelINS0_13select_configILj256ELj13ELNS0_17block_load_methodE3ELS4_3ELS4_3ELNS0_20block_scan_algorithmE0ELj4294967295EEENS1_25partition_config_selectorILNS1_17partition_subalgoE4EjNS0_10empty_typeEbEEZZNS1_14partition_implILS8_4ELb0ES6_15HIP_vector_typeIjLj2EENS0_17counting_iteratorIjlEEPS9_SG_NS0_5tupleIJPjSI_NS0_16reverse_iteratorISI_EEEEENSH_IJSG_SG_SG_EEES9_SI_JZNS1_25segmented_radix_sort_implINS0_14default_configELb1EPK6__halfPSP_PKlPlN2at6native12_GLOBAL__N_18offset_tEEE10hipError_tPvRmT1_PNSt15iterator_traitsIS13_E10value_typeET2_T3_PNS14_IS19_E10value_typeET4_jRbjT5_S1F_jjP12ihipStream_tbEUljE_ZNSN_ISO_Lb1ESR_SS_SU_SV_SZ_EES10_S11_S12_S13_S17_S18_S19_S1C_S1D_jS1E_jS1F_S1F_jjS1H_bEUljE0_EEES10_S11_S12_S19_S1D_S1F_T6_T7_T9_mT8_S1H_bDpT10_ENKUlT_T0_E_clISt17integral_constantIbLb0EES1V_EEDaS1Q_S1R_EUlS1Q_E_NS1_11comp_targetILNS1_3genE9ELNS1_11target_archE1100ELNS1_3gpuE3ELNS1_3repE0EEENS1_30default_config_static_selectorELNS0_4arch9wavefront6targetE0EEEvS13_, .Lfunc_end1681-_ZN7rocprim17ROCPRIM_400000_NS6detail17trampoline_kernelINS0_13select_configILj256ELj13ELNS0_17block_load_methodE3ELS4_3ELS4_3ELNS0_20block_scan_algorithmE0ELj4294967295EEENS1_25partition_config_selectorILNS1_17partition_subalgoE4EjNS0_10empty_typeEbEEZZNS1_14partition_implILS8_4ELb0ES6_15HIP_vector_typeIjLj2EENS0_17counting_iteratorIjlEEPS9_SG_NS0_5tupleIJPjSI_NS0_16reverse_iteratorISI_EEEEENSH_IJSG_SG_SG_EEES9_SI_JZNS1_25segmented_radix_sort_implINS0_14default_configELb1EPK6__halfPSP_PKlPlN2at6native12_GLOBAL__N_18offset_tEEE10hipError_tPvRmT1_PNSt15iterator_traitsIS13_E10value_typeET2_T3_PNS14_IS19_E10value_typeET4_jRbjT5_S1F_jjP12ihipStream_tbEUljE_ZNSN_ISO_Lb1ESR_SS_SU_SV_SZ_EES10_S11_S12_S13_S17_S18_S19_S1C_S1D_jS1E_jS1F_S1F_jjS1H_bEUljE0_EEES10_S11_S12_S19_S1D_S1F_T6_T7_T9_mT8_S1H_bDpT10_ENKUlT_T0_E_clISt17integral_constantIbLb0EES1V_EEDaS1Q_S1R_EUlS1Q_E_NS1_11comp_targetILNS1_3genE9ELNS1_11target_archE1100ELNS1_3gpuE3ELNS1_3repE0EEENS1_30default_config_static_selectorELNS0_4arch9wavefront6targetE0EEEvS13_
                                        ; -- End function
	.set _ZN7rocprim17ROCPRIM_400000_NS6detail17trampoline_kernelINS0_13select_configILj256ELj13ELNS0_17block_load_methodE3ELS4_3ELS4_3ELNS0_20block_scan_algorithmE0ELj4294967295EEENS1_25partition_config_selectorILNS1_17partition_subalgoE4EjNS0_10empty_typeEbEEZZNS1_14partition_implILS8_4ELb0ES6_15HIP_vector_typeIjLj2EENS0_17counting_iteratorIjlEEPS9_SG_NS0_5tupleIJPjSI_NS0_16reverse_iteratorISI_EEEEENSH_IJSG_SG_SG_EEES9_SI_JZNS1_25segmented_radix_sort_implINS0_14default_configELb1EPK6__halfPSP_PKlPlN2at6native12_GLOBAL__N_18offset_tEEE10hipError_tPvRmT1_PNSt15iterator_traitsIS13_E10value_typeET2_T3_PNS14_IS19_E10value_typeET4_jRbjT5_S1F_jjP12ihipStream_tbEUljE_ZNSN_ISO_Lb1ESR_SS_SU_SV_SZ_EES10_S11_S12_S13_S17_S18_S19_S1C_S1D_jS1E_jS1F_S1F_jjS1H_bEUljE0_EEES10_S11_S12_S19_S1D_S1F_T6_T7_T9_mT8_S1H_bDpT10_ENKUlT_T0_E_clISt17integral_constantIbLb0EES1V_EEDaS1Q_S1R_EUlS1Q_E_NS1_11comp_targetILNS1_3genE9ELNS1_11target_archE1100ELNS1_3gpuE3ELNS1_3repE0EEENS1_30default_config_static_selectorELNS0_4arch9wavefront6targetE0EEEvS13_.num_vgpr, 0
	.set _ZN7rocprim17ROCPRIM_400000_NS6detail17trampoline_kernelINS0_13select_configILj256ELj13ELNS0_17block_load_methodE3ELS4_3ELS4_3ELNS0_20block_scan_algorithmE0ELj4294967295EEENS1_25partition_config_selectorILNS1_17partition_subalgoE4EjNS0_10empty_typeEbEEZZNS1_14partition_implILS8_4ELb0ES6_15HIP_vector_typeIjLj2EENS0_17counting_iteratorIjlEEPS9_SG_NS0_5tupleIJPjSI_NS0_16reverse_iteratorISI_EEEEENSH_IJSG_SG_SG_EEES9_SI_JZNS1_25segmented_radix_sort_implINS0_14default_configELb1EPK6__halfPSP_PKlPlN2at6native12_GLOBAL__N_18offset_tEEE10hipError_tPvRmT1_PNSt15iterator_traitsIS13_E10value_typeET2_T3_PNS14_IS19_E10value_typeET4_jRbjT5_S1F_jjP12ihipStream_tbEUljE_ZNSN_ISO_Lb1ESR_SS_SU_SV_SZ_EES10_S11_S12_S13_S17_S18_S19_S1C_S1D_jS1E_jS1F_S1F_jjS1H_bEUljE0_EEES10_S11_S12_S19_S1D_S1F_T6_T7_T9_mT8_S1H_bDpT10_ENKUlT_T0_E_clISt17integral_constantIbLb0EES1V_EEDaS1Q_S1R_EUlS1Q_E_NS1_11comp_targetILNS1_3genE9ELNS1_11target_archE1100ELNS1_3gpuE3ELNS1_3repE0EEENS1_30default_config_static_selectorELNS0_4arch9wavefront6targetE0EEEvS13_.num_agpr, 0
	.set _ZN7rocprim17ROCPRIM_400000_NS6detail17trampoline_kernelINS0_13select_configILj256ELj13ELNS0_17block_load_methodE3ELS4_3ELS4_3ELNS0_20block_scan_algorithmE0ELj4294967295EEENS1_25partition_config_selectorILNS1_17partition_subalgoE4EjNS0_10empty_typeEbEEZZNS1_14partition_implILS8_4ELb0ES6_15HIP_vector_typeIjLj2EENS0_17counting_iteratorIjlEEPS9_SG_NS0_5tupleIJPjSI_NS0_16reverse_iteratorISI_EEEEENSH_IJSG_SG_SG_EEES9_SI_JZNS1_25segmented_radix_sort_implINS0_14default_configELb1EPK6__halfPSP_PKlPlN2at6native12_GLOBAL__N_18offset_tEEE10hipError_tPvRmT1_PNSt15iterator_traitsIS13_E10value_typeET2_T3_PNS14_IS19_E10value_typeET4_jRbjT5_S1F_jjP12ihipStream_tbEUljE_ZNSN_ISO_Lb1ESR_SS_SU_SV_SZ_EES10_S11_S12_S13_S17_S18_S19_S1C_S1D_jS1E_jS1F_S1F_jjS1H_bEUljE0_EEES10_S11_S12_S19_S1D_S1F_T6_T7_T9_mT8_S1H_bDpT10_ENKUlT_T0_E_clISt17integral_constantIbLb0EES1V_EEDaS1Q_S1R_EUlS1Q_E_NS1_11comp_targetILNS1_3genE9ELNS1_11target_archE1100ELNS1_3gpuE3ELNS1_3repE0EEENS1_30default_config_static_selectorELNS0_4arch9wavefront6targetE0EEEvS13_.numbered_sgpr, 0
	.set _ZN7rocprim17ROCPRIM_400000_NS6detail17trampoline_kernelINS0_13select_configILj256ELj13ELNS0_17block_load_methodE3ELS4_3ELS4_3ELNS0_20block_scan_algorithmE0ELj4294967295EEENS1_25partition_config_selectorILNS1_17partition_subalgoE4EjNS0_10empty_typeEbEEZZNS1_14partition_implILS8_4ELb0ES6_15HIP_vector_typeIjLj2EENS0_17counting_iteratorIjlEEPS9_SG_NS0_5tupleIJPjSI_NS0_16reverse_iteratorISI_EEEEENSH_IJSG_SG_SG_EEES9_SI_JZNS1_25segmented_radix_sort_implINS0_14default_configELb1EPK6__halfPSP_PKlPlN2at6native12_GLOBAL__N_18offset_tEEE10hipError_tPvRmT1_PNSt15iterator_traitsIS13_E10value_typeET2_T3_PNS14_IS19_E10value_typeET4_jRbjT5_S1F_jjP12ihipStream_tbEUljE_ZNSN_ISO_Lb1ESR_SS_SU_SV_SZ_EES10_S11_S12_S13_S17_S18_S19_S1C_S1D_jS1E_jS1F_S1F_jjS1H_bEUljE0_EEES10_S11_S12_S19_S1D_S1F_T6_T7_T9_mT8_S1H_bDpT10_ENKUlT_T0_E_clISt17integral_constantIbLb0EES1V_EEDaS1Q_S1R_EUlS1Q_E_NS1_11comp_targetILNS1_3genE9ELNS1_11target_archE1100ELNS1_3gpuE3ELNS1_3repE0EEENS1_30default_config_static_selectorELNS0_4arch9wavefront6targetE0EEEvS13_.num_named_barrier, 0
	.set _ZN7rocprim17ROCPRIM_400000_NS6detail17trampoline_kernelINS0_13select_configILj256ELj13ELNS0_17block_load_methodE3ELS4_3ELS4_3ELNS0_20block_scan_algorithmE0ELj4294967295EEENS1_25partition_config_selectorILNS1_17partition_subalgoE4EjNS0_10empty_typeEbEEZZNS1_14partition_implILS8_4ELb0ES6_15HIP_vector_typeIjLj2EENS0_17counting_iteratorIjlEEPS9_SG_NS0_5tupleIJPjSI_NS0_16reverse_iteratorISI_EEEEENSH_IJSG_SG_SG_EEES9_SI_JZNS1_25segmented_radix_sort_implINS0_14default_configELb1EPK6__halfPSP_PKlPlN2at6native12_GLOBAL__N_18offset_tEEE10hipError_tPvRmT1_PNSt15iterator_traitsIS13_E10value_typeET2_T3_PNS14_IS19_E10value_typeET4_jRbjT5_S1F_jjP12ihipStream_tbEUljE_ZNSN_ISO_Lb1ESR_SS_SU_SV_SZ_EES10_S11_S12_S13_S17_S18_S19_S1C_S1D_jS1E_jS1F_S1F_jjS1H_bEUljE0_EEES10_S11_S12_S19_S1D_S1F_T6_T7_T9_mT8_S1H_bDpT10_ENKUlT_T0_E_clISt17integral_constantIbLb0EES1V_EEDaS1Q_S1R_EUlS1Q_E_NS1_11comp_targetILNS1_3genE9ELNS1_11target_archE1100ELNS1_3gpuE3ELNS1_3repE0EEENS1_30default_config_static_selectorELNS0_4arch9wavefront6targetE0EEEvS13_.private_seg_size, 0
	.set _ZN7rocprim17ROCPRIM_400000_NS6detail17trampoline_kernelINS0_13select_configILj256ELj13ELNS0_17block_load_methodE3ELS4_3ELS4_3ELNS0_20block_scan_algorithmE0ELj4294967295EEENS1_25partition_config_selectorILNS1_17partition_subalgoE4EjNS0_10empty_typeEbEEZZNS1_14partition_implILS8_4ELb0ES6_15HIP_vector_typeIjLj2EENS0_17counting_iteratorIjlEEPS9_SG_NS0_5tupleIJPjSI_NS0_16reverse_iteratorISI_EEEEENSH_IJSG_SG_SG_EEES9_SI_JZNS1_25segmented_radix_sort_implINS0_14default_configELb1EPK6__halfPSP_PKlPlN2at6native12_GLOBAL__N_18offset_tEEE10hipError_tPvRmT1_PNSt15iterator_traitsIS13_E10value_typeET2_T3_PNS14_IS19_E10value_typeET4_jRbjT5_S1F_jjP12ihipStream_tbEUljE_ZNSN_ISO_Lb1ESR_SS_SU_SV_SZ_EES10_S11_S12_S13_S17_S18_S19_S1C_S1D_jS1E_jS1F_S1F_jjS1H_bEUljE0_EEES10_S11_S12_S19_S1D_S1F_T6_T7_T9_mT8_S1H_bDpT10_ENKUlT_T0_E_clISt17integral_constantIbLb0EES1V_EEDaS1Q_S1R_EUlS1Q_E_NS1_11comp_targetILNS1_3genE9ELNS1_11target_archE1100ELNS1_3gpuE3ELNS1_3repE0EEENS1_30default_config_static_selectorELNS0_4arch9wavefront6targetE0EEEvS13_.uses_vcc, 0
	.set _ZN7rocprim17ROCPRIM_400000_NS6detail17trampoline_kernelINS0_13select_configILj256ELj13ELNS0_17block_load_methodE3ELS4_3ELS4_3ELNS0_20block_scan_algorithmE0ELj4294967295EEENS1_25partition_config_selectorILNS1_17partition_subalgoE4EjNS0_10empty_typeEbEEZZNS1_14partition_implILS8_4ELb0ES6_15HIP_vector_typeIjLj2EENS0_17counting_iteratorIjlEEPS9_SG_NS0_5tupleIJPjSI_NS0_16reverse_iteratorISI_EEEEENSH_IJSG_SG_SG_EEES9_SI_JZNS1_25segmented_radix_sort_implINS0_14default_configELb1EPK6__halfPSP_PKlPlN2at6native12_GLOBAL__N_18offset_tEEE10hipError_tPvRmT1_PNSt15iterator_traitsIS13_E10value_typeET2_T3_PNS14_IS19_E10value_typeET4_jRbjT5_S1F_jjP12ihipStream_tbEUljE_ZNSN_ISO_Lb1ESR_SS_SU_SV_SZ_EES10_S11_S12_S13_S17_S18_S19_S1C_S1D_jS1E_jS1F_S1F_jjS1H_bEUljE0_EEES10_S11_S12_S19_S1D_S1F_T6_T7_T9_mT8_S1H_bDpT10_ENKUlT_T0_E_clISt17integral_constantIbLb0EES1V_EEDaS1Q_S1R_EUlS1Q_E_NS1_11comp_targetILNS1_3genE9ELNS1_11target_archE1100ELNS1_3gpuE3ELNS1_3repE0EEENS1_30default_config_static_selectorELNS0_4arch9wavefront6targetE0EEEvS13_.uses_flat_scratch, 0
	.set _ZN7rocprim17ROCPRIM_400000_NS6detail17trampoline_kernelINS0_13select_configILj256ELj13ELNS0_17block_load_methodE3ELS4_3ELS4_3ELNS0_20block_scan_algorithmE0ELj4294967295EEENS1_25partition_config_selectorILNS1_17partition_subalgoE4EjNS0_10empty_typeEbEEZZNS1_14partition_implILS8_4ELb0ES6_15HIP_vector_typeIjLj2EENS0_17counting_iteratorIjlEEPS9_SG_NS0_5tupleIJPjSI_NS0_16reverse_iteratorISI_EEEEENSH_IJSG_SG_SG_EEES9_SI_JZNS1_25segmented_radix_sort_implINS0_14default_configELb1EPK6__halfPSP_PKlPlN2at6native12_GLOBAL__N_18offset_tEEE10hipError_tPvRmT1_PNSt15iterator_traitsIS13_E10value_typeET2_T3_PNS14_IS19_E10value_typeET4_jRbjT5_S1F_jjP12ihipStream_tbEUljE_ZNSN_ISO_Lb1ESR_SS_SU_SV_SZ_EES10_S11_S12_S13_S17_S18_S19_S1C_S1D_jS1E_jS1F_S1F_jjS1H_bEUljE0_EEES10_S11_S12_S19_S1D_S1F_T6_T7_T9_mT8_S1H_bDpT10_ENKUlT_T0_E_clISt17integral_constantIbLb0EES1V_EEDaS1Q_S1R_EUlS1Q_E_NS1_11comp_targetILNS1_3genE9ELNS1_11target_archE1100ELNS1_3gpuE3ELNS1_3repE0EEENS1_30default_config_static_selectorELNS0_4arch9wavefront6targetE0EEEvS13_.has_dyn_sized_stack, 0
	.set _ZN7rocprim17ROCPRIM_400000_NS6detail17trampoline_kernelINS0_13select_configILj256ELj13ELNS0_17block_load_methodE3ELS4_3ELS4_3ELNS0_20block_scan_algorithmE0ELj4294967295EEENS1_25partition_config_selectorILNS1_17partition_subalgoE4EjNS0_10empty_typeEbEEZZNS1_14partition_implILS8_4ELb0ES6_15HIP_vector_typeIjLj2EENS0_17counting_iteratorIjlEEPS9_SG_NS0_5tupleIJPjSI_NS0_16reverse_iteratorISI_EEEEENSH_IJSG_SG_SG_EEES9_SI_JZNS1_25segmented_radix_sort_implINS0_14default_configELb1EPK6__halfPSP_PKlPlN2at6native12_GLOBAL__N_18offset_tEEE10hipError_tPvRmT1_PNSt15iterator_traitsIS13_E10value_typeET2_T3_PNS14_IS19_E10value_typeET4_jRbjT5_S1F_jjP12ihipStream_tbEUljE_ZNSN_ISO_Lb1ESR_SS_SU_SV_SZ_EES10_S11_S12_S13_S17_S18_S19_S1C_S1D_jS1E_jS1F_S1F_jjS1H_bEUljE0_EEES10_S11_S12_S19_S1D_S1F_T6_T7_T9_mT8_S1H_bDpT10_ENKUlT_T0_E_clISt17integral_constantIbLb0EES1V_EEDaS1Q_S1R_EUlS1Q_E_NS1_11comp_targetILNS1_3genE9ELNS1_11target_archE1100ELNS1_3gpuE3ELNS1_3repE0EEENS1_30default_config_static_selectorELNS0_4arch9wavefront6targetE0EEEvS13_.has_recursion, 0
	.set _ZN7rocprim17ROCPRIM_400000_NS6detail17trampoline_kernelINS0_13select_configILj256ELj13ELNS0_17block_load_methodE3ELS4_3ELS4_3ELNS0_20block_scan_algorithmE0ELj4294967295EEENS1_25partition_config_selectorILNS1_17partition_subalgoE4EjNS0_10empty_typeEbEEZZNS1_14partition_implILS8_4ELb0ES6_15HIP_vector_typeIjLj2EENS0_17counting_iteratorIjlEEPS9_SG_NS0_5tupleIJPjSI_NS0_16reverse_iteratorISI_EEEEENSH_IJSG_SG_SG_EEES9_SI_JZNS1_25segmented_radix_sort_implINS0_14default_configELb1EPK6__halfPSP_PKlPlN2at6native12_GLOBAL__N_18offset_tEEE10hipError_tPvRmT1_PNSt15iterator_traitsIS13_E10value_typeET2_T3_PNS14_IS19_E10value_typeET4_jRbjT5_S1F_jjP12ihipStream_tbEUljE_ZNSN_ISO_Lb1ESR_SS_SU_SV_SZ_EES10_S11_S12_S13_S17_S18_S19_S1C_S1D_jS1E_jS1F_S1F_jjS1H_bEUljE0_EEES10_S11_S12_S19_S1D_S1F_T6_T7_T9_mT8_S1H_bDpT10_ENKUlT_T0_E_clISt17integral_constantIbLb0EES1V_EEDaS1Q_S1R_EUlS1Q_E_NS1_11comp_targetILNS1_3genE9ELNS1_11target_archE1100ELNS1_3gpuE3ELNS1_3repE0EEENS1_30default_config_static_selectorELNS0_4arch9wavefront6targetE0EEEvS13_.has_indirect_call, 0
	.section	.AMDGPU.csdata,"",@progbits
; Kernel info:
; codeLenInByte = 0
; TotalNumSgprs: 0
; NumVgprs: 0
; ScratchSize: 0
; MemoryBound: 0
; FloatMode: 240
; IeeeMode: 1
; LDSByteSize: 0 bytes/workgroup (compile time only)
; SGPRBlocks: 0
; VGPRBlocks: 0
; NumSGPRsForWavesPerEU: 1
; NumVGPRsForWavesPerEU: 1
; Occupancy: 16
; WaveLimiterHint : 0
; COMPUTE_PGM_RSRC2:SCRATCH_EN: 0
; COMPUTE_PGM_RSRC2:USER_SGPR: 2
; COMPUTE_PGM_RSRC2:TRAP_HANDLER: 0
; COMPUTE_PGM_RSRC2:TGID_X_EN: 1
; COMPUTE_PGM_RSRC2:TGID_Y_EN: 0
; COMPUTE_PGM_RSRC2:TGID_Z_EN: 0
; COMPUTE_PGM_RSRC2:TIDIG_COMP_CNT: 0
	.section	.text._ZN7rocprim17ROCPRIM_400000_NS6detail17trampoline_kernelINS0_13select_configILj256ELj13ELNS0_17block_load_methodE3ELS4_3ELS4_3ELNS0_20block_scan_algorithmE0ELj4294967295EEENS1_25partition_config_selectorILNS1_17partition_subalgoE4EjNS0_10empty_typeEbEEZZNS1_14partition_implILS8_4ELb0ES6_15HIP_vector_typeIjLj2EENS0_17counting_iteratorIjlEEPS9_SG_NS0_5tupleIJPjSI_NS0_16reverse_iteratorISI_EEEEENSH_IJSG_SG_SG_EEES9_SI_JZNS1_25segmented_radix_sort_implINS0_14default_configELb1EPK6__halfPSP_PKlPlN2at6native12_GLOBAL__N_18offset_tEEE10hipError_tPvRmT1_PNSt15iterator_traitsIS13_E10value_typeET2_T3_PNS14_IS19_E10value_typeET4_jRbjT5_S1F_jjP12ihipStream_tbEUljE_ZNSN_ISO_Lb1ESR_SS_SU_SV_SZ_EES10_S11_S12_S13_S17_S18_S19_S1C_S1D_jS1E_jS1F_S1F_jjS1H_bEUljE0_EEES10_S11_S12_S19_S1D_S1F_T6_T7_T9_mT8_S1H_bDpT10_ENKUlT_T0_E_clISt17integral_constantIbLb0EES1V_EEDaS1Q_S1R_EUlS1Q_E_NS1_11comp_targetILNS1_3genE8ELNS1_11target_archE1030ELNS1_3gpuE2ELNS1_3repE0EEENS1_30default_config_static_selectorELNS0_4arch9wavefront6targetE0EEEvS13_,"axG",@progbits,_ZN7rocprim17ROCPRIM_400000_NS6detail17trampoline_kernelINS0_13select_configILj256ELj13ELNS0_17block_load_methodE3ELS4_3ELS4_3ELNS0_20block_scan_algorithmE0ELj4294967295EEENS1_25partition_config_selectorILNS1_17partition_subalgoE4EjNS0_10empty_typeEbEEZZNS1_14partition_implILS8_4ELb0ES6_15HIP_vector_typeIjLj2EENS0_17counting_iteratorIjlEEPS9_SG_NS0_5tupleIJPjSI_NS0_16reverse_iteratorISI_EEEEENSH_IJSG_SG_SG_EEES9_SI_JZNS1_25segmented_radix_sort_implINS0_14default_configELb1EPK6__halfPSP_PKlPlN2at6native12_GLOBAL__N_18offset_tEEE10hipError_tPvRmT1_PNSt15iterator_traitsIS13_E10value_typeET2_T3_PNS14_IS19_E10value_typeET4_jRbjT5_S1F_jjP12ihipStream_tbEUljE_ZNSN_ISO_Lb1ESR_SS_SU_SV_SZ_EES10_S11_S12_S13_S17_S18_S19_S1C_S1D_jS1E_jS1F_S1F_jjS1H_bEUljE0_EEES10_S11_S12_S19_S1D_S1F_T6_T7_T9_mT8_S1H_bDpT10_ENKUlT_T0_E_clISt17integral_constantIbLb0EES1V_EEDaS1Q_S1R_EUlS1Q_E_NS1_11comp_targetILNS1_3genE8ELNS1_11target_archE1030ELNS1_3gpuE2ELNS1_3repE0EEENS1_30default_config_static_selectorELNS0_4arch9wavefront6targetE0EEEvS13_,comdat
	.globl	_ZN7rocprim17ROCPRIM_400000_NS6detail17trampoline_kernelINS0_13select_configILj256ELj13ELNS0_17block_load_methodE3ELS4_3ELS4_3ELNS0_20block_scan_algorithmE0ELj4294967295EEENS1_25partition_config_selectorILNS1_17partition_subalgoE4EjNS0_10empty_typeEbEEZZNS1_14partition_implILS8_4ELb0ES6_15HIP_vector_typeIjLj2EENS0_17counting_iteratorIjlEEPS9_SG_NS0_5tupleIJPjSI_NS0_16reverse_iteratorISI_EEEEENSH_IJSG_SG_SG_EEES9_SI_JZNS1_25segmented_radix_sort_implINS0_14default_configELb1EPK6__halfPSP_PKlPlN2at6native12_GLOBAL__N_18offset_tEEE10hipError_tPvRmT1_PNSt15iterator_traitsIS13_E10value_typeET2_T3_PNS14_IS19_E10value_typeET4_jRbjT5_S1F_jjP12ihipStream_tbEUljE_ZNSN_ISO_Lb1ESR_SS_SU_SV_SZ_EES10_S11_S12_S13_S17_S18_S19_S1C_S1D_jS1E_jS1F_S1F_jjS1H_bEUljE0_EEES10_S11_S12_S19_S1D_S1F_T6_T7_T9_mT8_S1H_bDpT10_ENKUlT_T0_E_clISt17integral_constantIbLb0EES1V_EEDaS1Q_S1R_EUlS1Q_E_NS1_11comp_targetILNS1_3genE8ELNS1_11target_archE1030ELNS1_3gpuE2ELNS1_3repE0EEENS1_30default_config_static_selectorELNS0_4arch9wavefront6targetE0EEEvS13_ ; -- Begin function _ZN7rocprim17ROCPRIM_400000_NS6detail17trampoline_kernelINS0_13select_configILj256ELj13ELNS0_17block_load_methodE3ELS4_3ELS4_3ELNS0_20block_scan_algorithmE0ELj4294967295EEENS1_25partition_config_selectorILNS1_17partition_subalgoE4EjNS0_10empty_typeEbEEZZNS1_14partition_implILS8_4ELb0ES6_15HIP_vector_typeIjLj2EENS0_17counting_iteratorIjlEEPS9_SG_NS0_5tupleIJPjSI_NS0_16reverse_iteratorISI_EEEEENSH_IJSG_SG_SG_EEES9_SI_JZNS1_25segmented_radix_sort_implINS0_14default_configELb1EPK6__halfPSP_PKlPlN2at6native12_GLOBAL__N_18offset_tEEE10hipError_tPvRmT1_PNSt15iterator_traitsIS13_E10value_typeET2_T3_PNS14_IS19_E10value_typeET4_jRbjT5_S1F_jjP12ihipStream_tbEUljE_ZNSN_ISO_Lb1ESR_SS_SU_SV_SZ_EES10_S11_S12_S13_S17_S18_S19_S1C_S1D_jS1E_jS1F_S1F_jjS1H_bEUljE0_EEES10_S11_S12_S19_S1D_S1F_T6_T7_T9_mT8_S1H_bDpT10_ENKUlT_T0_E_clISt17integral_constantIbLb0EES1V_EEDaS1Q_S1R_EUlS1Q_E_NS1_11comp_targetILNS1_3genE8ELNS1_11target_archE1030ELNS1_3gpuE2ELNS1_3repE0EEENS1_30default_config_static_selectorELNS0_4arch9wavefront6targetE0EEEvS13_
	.p2align	8
	.type	_ZN7rocprim17ROCPRIM_400000_NS6detail17trampoline_kernelINS0_13select_configILj256ELj13ELNS0_17block_load_methodE3ELS4_3ELS4_3ELNS0_20block_scan_algorithmE0ELj4294967295EEENS1_25partition_config_selectorILNS1_17partition_subalgoE4EjNS0_10empty_typeEbEEZZNS1_14partition_implILS8_4ELb0ES6_15HIP_vector_typeIjLj2EENS0_17counting_iteratorIjlEEPS9_SG_NS0_5tupleIJPjSI_NS0_16reverse_iteratorISI_EEEEENSH_IJSG_SG_SG_EEES9_SI_JZNS1_25segmented_radix_sort_implINS0_14default_configELb1EPK6__halfPSP_PKlPlN2at6native12_GLOBAL__N_18offset_tEEE10hipError_tPvRmT1_PNSt15iterator_traitsIS13_E10value_typeET2_T3_PNS14_IS19_E10value_typeET4_jRbjT5_S1F_jjP12ihipStream_tbEUljE_ZNSN_ISO_Lb1ESR_SS_SU_SV_SZ_EES10_S11_S12_S13_S17_S18_S19_S1C_S1D_jS1E_jS1F_S1F_jjS1H_bEUljE0_EEES10_S11_S12_S19_S1D_S1F_T6_T7_T9_mT8_S1H_bDpT10_ENKUlT_T0_E_clISt17integral_constantIbLb0EES1V_EEDaS1Q_S1R_EUlS1Q_E_NS1_11comp_targetILNS1_3genE8ELNS1_11target_archE1030ELNS1_3gpuE2ELNS1_3repE0EEENS1_30default_config_static_selectorELNS0_4arch9wavefront6targetE0EEEvS13_,@function
_ZN7rocprim17ROCPRIM_400000_NS6detail17trampoline_kernelINS0_13select_configILj256ELj13ELNS0_17block_load_methodE3ELS4_3ELS4_3ELNS0_20block_scan_algorithmE0ELj4294967295EEENS1_25partition_config_selectorILNS1_17partition_subalgoE4EjNS0_10empty_typeEbEEZZNS1_14partition_implILS8_4ELb0ES6_15HIP_vector_typeIjLj2EENS0_17counting_iteratorIjlEEPS9_SG_NS0_5tupleIJPjSI_NS0_16reverse_iteratorISI_EEEEENSH_IJSG_SG_SG_EEES9_SI_JZNS1_25segmented_radix_sort_implINS0_14default_configELb1EPK6__halfPSP_PKlPlN2at6native12_GLOBAL__N_18offset_tEEE10hipError_tPvRmT1_PNSt15iterator_traitsIS13_E10value_typeET2_T3_PNS14_IS19_E10value_typeET4_jRbjT5_S1F_jjP12ihipStream_tbEUljE_ZNSN_ISO_Lb1ESR_SS_SU_SV_SZ_EES10_S11_S12_S13_S17_S18_S19_S1C_S1D_jS1E_jS1F_S1F_jjS1H_bEUljE0_EEES10_S11_S12_S19_S1D_S1F_T6_T7_T9_mT8_S1H_bDpT10_ENKUlT_T0_E_clISt17integral_constantIbLb0EES1V_EEDaS1Q_S1R_EUlS1Q_E_NS1_11comp_targetILNS1_3genE8ELNS1_11target_archE1030ELNS1_3gpuE2ELNS1_3repE0EEENS1_30default_config_static_selectorELNS0_4arch9wavefront6targetE0EEEvS13_: ; @_ZN7rocprim17ROCPRIM_400000_NS6detail17trampoline_kernelINS0_13select_configILj256ELj13ELNS0_17block_load_methodE3ELS4_3ELS4_3ELNS0_20block_scan_algorithmE0ELj4294967295EEENS1_25partition_config_selectorILNS1_17partition_subalgoE4EjNS0_10empty_typeEbEEZZNS1_14partition_implILS8_4ELb0ES6_15HIP_vector_typeIjLj2EENS0_17counting_iteratorIjlEEPS9_SG_NS0_5tupleIJPjSI_NS0_16reverse_iteratorISI_EEEEENSH_IJSG_SG_SG_EEES9_SI_JZNS1_25segmented_radix_sort_implINS0_14default_configELb1EPK6__halfPSP_PKlPlN2at6native12_GLOBAL__N_18offset_tEEE10hipError_tPvRmT1_PNSt15iterator_traitsIS13_E10value_typeET2_T3_PNS14_IS19_E10value_typeET4_jRbjT5_S1F_jjP12ihipStream_tbEUljE_ZNSN_ISO_Lb1ESR_SS_SU_SV_SZ_EES10_S11_S12_S13_S17_S18_S19_S1C_S1D_jS1E_jS1F_S1F_jjS1H_bEUljE0_EEES10_S11_S12_S19_S1D_S1F_T6_T7_T9_mT8_S1H_bDpT10_ENKUlT_T0_E_clISt17integral_constantIbLb0EES1V_EEDaS1Q_S1R_EUlS1Q_E_NS1_11comp_targetILNS1_3genE8ELNS1_11target_archE1030ELNS1_3gpuE2ELNS1_3repE0EEENS1_30default_config_static_selectorELNS0_4arch9wavefront6targetE0EEEvS13_
; %bb.0:
	.section	.rodata,"a",@progbits
	.p2align	6, 0x0
	.amdhsa_kernel _ZN7rocprim17ROCPRIM_400000_NS6detail17trampoline_kernelINS0_13select_configILj256ELj13ELNS0_17block_load_methodE3ELS4_3ELS4_3ELNS0_20block_scan_algorithmE0ELj4294967295EEENS1_25partition_config_selectorILNS1_17partition_subalgoE4EjNS0_10empty_typeEbEEZZNS1_14partition_implILS8_4ELb0ES6_15HIP_vector_typeIjLj2EENS0_17counting_iteratorIjlEEPS9_SG_NS0_5tupleIJPjSI_NS0_16reverse_iteratorISI_EEEEENSH_IJSG_SG_SG_EEES9_SI_JZNS1_25segmented_radix_sort_implINS0_14default_configELb1EPK6__halfPSP_PKlPlN2at6native12_GLOBAL__N_18offset_tEEE10hipError_tPvRmT1_PNSt15iterator_traitsIS13_E10value_typeET2_T3_PNS14_IS19_E10value_typeET4_jRbjT5_S1F_jjP12ihipStream_tbEUljE_ZNSN_ISO_Lb1ESR_SS_SU_SV_SZ_EES10_S11_S12_S13_S17_S18_S19_S1C_S1D_jS1E_jS1F_S1F_jjS1H_bEUljE0_EEES10_S11_S12_S19_S1D_S1F_T6_T7_T9_mT8_S1H_bDpT10_ENKUlT_T0_E_clISt17integral_constantIbLb0EES1V_EEDaS1Q_S1R_EUlS1Q_E_NS1_11comp_targetILNS1_3genE8ELNS1_11target_archE1030ELNS1_3gpuE2ELNS1_3repE0EEENS1_30default_config_static_selectorELNS0_4arch9wavefront6targetE0EEEvS13_
		.amdhsa_group_segment_fixed_size 0
		.amdhsa_private_segment_fixed_size 0
		.amdhsa_kernarg_size 176
		.amdhsa_user_sgpr_count 2
		.amdhsa_user_sgpr_dispatch_ptr 0
		.amdhsa_user_sgpr_queue_ptr 0
		.amdhsa_user_sgpr_kernarg_segment_ptr 1
		.amdhsa_user_sgpr_dispatch_id 0
		.amdhsa_user_sgpr_private_segment_size 0
		.amdhsa_wavefront_size32 1
		.amdhsa_uses_dynamic_stack 0
		.amdhsa_enable_private_segment 0
		.amdhsa_system_sgpr_workgroup_id_x 1
		.amdhsa_system_sgpr_workgroup_id_y 0
		.amdhsa_system_sgpr_workgroup_id_z 0
		.amdhsa_system_sgpr_workgroup_info 0
		.amdhsa_system_vgpr_workitem_id 0
		.amdhsa_next_free_vgpr 1
		.amdhsa_next_free_sgpr 1
		.amdhsa_reserve_vcc 0
		.amdhsa_float_round_mode_32 0
		.amdhsa_float_round_mode_16_64 0
		.amdhsa_float_denorm_mode_32 3
		.amdhsa_float_denorm_mode_16_64 3
		.amdhsa_fp16_overflow 0
		.amdhsa_workgroup_processor_mode 1
		.amdhsa_memory_ordered 1
		.amdhsa_forward_progress 1
		.amdhsa_inst_pref_size 0
		.amdhsa_round_robin_scheduling 0
		.amdhsa_exception_fp_ieee_invalid_op 0
		.amdhsa_exception_fp_denorm_src 0
		.amdhsa_exception_fp_ieee_div_zero 0
		.amdhsa_exception_fp_ieee_overflow 0
		.amdhsa_exception_fp_ieee_underflow 0
		.amdhsa_exception_fp_ieee_inexact 0
		.amdhsa_exception_int_div_zero 0
	.end_amdhsa_kernel
	.section	.text._ZN7rocprim17ROCPRIM_400000_NS6detail17trampoline_kernelINS0_13select_configILj256ELj13ELNS0_17block_load_methodE3ELS4_3ELS4_3ELNS0_20block_scan_algorithmE0ELj4294967295EEENS1_25partition_config_selectorILNS1_17partition_subalgoE4EjNS0_10empty_typeEbEEZZNS1_14partition_implILS8_4ELb0ES6_15HIP_vector_typeIjLj2EENS0_17counting_iteratorIjlEEPS9_SG_NS0_5tupleIJPjSI_NS0_16reverse_iteratorISI_EEEEENSH_IJSG_SG_SG_EEES9_SI_JZNS1_25segmented_radix_sort_implINS0_14default_configELb1EPK6__halfPSP_PKlPlN2at6native12_GLOBAL__N_18offset_tEEE10hipError_tPvRmT1_PNSt15iterator_traitsIS13_E10value_typeET2_T3_PNS14_IS19_E10value_typeET4_jRbjT5_S1F_jjP12ihipStream_tbEUljE_ZNSN_ISO_Lb1ESR_SS_SU_SV_SZ_EES10_S11_S12_S13_S17_S18_S19_S1C_S1D_jS1E_jS1F_S1F_jjS1H_bEUljE0_EEES10_S11_S12_S19_S1D_S1F_T6_T7_T9_mT8_S1H_bDpT10_ENKUlT_T0_E_clISt17integral_constantIbLb0EES1V_EEDaS1Q_S1R_EUlS1Q_E_NS1_11comp_targetILNS1_3genE8ELNS1_11target_archE1030ELNS1_3gpuE2ELNS1_3repE0EEENS1_30default_config_static_selectorELNS0_4arch9wavefront6targetE0EEEvS13_,"axG",@progbits,_ZN7rocprim17ROCPRIM_400000_NS6detail17trampoline_kernelINS0_13select_configILj256ELj13ELNS0_17block_load_methodE3ELS4_3ELS4_3ELNS0_20block_scan_algorithmE0ELj4294967295EEENS1_25partition_config_selectorILNS1_17partition_subalgoE4EjNS0_10empty_typeEbEEZZNS1_14partition_implILS8_4ELb0ES6_15HIP_vector_typeIjLj2EENS0_17counting_iteratorIjlEEPS9_SG_NS0_5tupleIJPjSI_NS0_16reverse_iteratorISI_EEEEENSH_IJSG_SG_SG_EEES9_SI_JZNS1_25segmented_radix_sort_implINS0_14default_configELb1EPK6__halfPSP_PKlPlN2at6native12_GLOBAL__N_18offset_tEEE10hipError_tPvRmT1_PNSt15iterator_traitsIS13_E10value_typeET2_T3_PNS14_IS19_E10value_typeET4_jRbjT5_S1F_jjP12ihipStream_tbEUljE_ZNSN_ISO_Lb1ESR_SS_SU_SV_SZ_EES10_S11_S12_S13_S17_S18_S19_S1C_S1D_jS1E_jS1F_S1F_jjS1H_bEUljE0_EEES10_S11_S12_S19_S1D_S1F_T6_T7_T9_mT8_S1H_bDpT10_ENKUlT_T0_E_clISt17integral_constantIbLb0EES1V_EEDaS1Q_S1R_EUlS1Q_E_NS1_11comp_targetILNS1_3genE8ELNS1_11target_archE1030ELNS1_3gpuE2ELNS1_3repE0EEENS1_30default_config_static_selectorELNS0_4arch9wavefront6targetE0EEEvS13_,comdat
.Lfunc_end1682:
	.size	_ZN7rocprim17ROCPRIM_400000_NS6detail17trampoline_kernelINS0_13select_configILj256ELj13ELNS0_17block_load_methodE3ELS4_3ELS4_3ELNS0_20block_scan_algorithmE0ELj4294967295EEENS1_25partition_config_selectorILNS1_17partition_subalgoE4EjNS0_10empty_typeEbEEZZNS1_14partition_implILS8_4ELb0ES6_15HIP_vector_typeIjLj2EENS0_17counting_iteratorIjlEEPS9_SG_NS0_5tupleIJPjSI_NS0_16reverse_iteratorISI_EEEEENSH_IJSG_SG_SG_EEES9_SI_JZNS1_25segmented_radix_sort_implINS0_14default_configELb1EPK6__halfPSP_PKlPlN2at6native12_GLOBAL__N_18offset_tEEE10hipError_tPvRmT1_PNSt15iterator_traitsIS13_E10value_typeET2_T3_PNS14_IS19_E10value_typeET4_jRbjT5_S1F_jjP12ihipStream_tbEUljE_ZNSN_ISO_Lb1ESR_SS_SU_SV_SZ_EES10_S11_S12_S13_S17_S18_S19_S1C_S1D_jS1E_jS1F_S1F_jjS1H_bEUljE0_EEES10_S11_S12_S19_S1D_S1F_T6_T7_T9_mT8_S1H_bDpT10_ENKUlT_T0_E_clISt17integral_constantIbLb0EES1V_EEDaS1Q_S1R_EUlS1Q_E_NS1_11comp_targetILNS1_3genE8ELNS1_11target_archE1030ELNS1_3gpuE2ELNS1_3repE0EEENS1_30default_config_static_selectorELNS0_4arch9wavefront6targetE0EEEvS13_, .Lfunc_end1682-_ZN7rocprim17ROCPRIM_400000_NS6detail17trampoline_kernelINS0_13select_configILj256ELj13ELNS0_17block_load_methodE3ELS4_3ELS4_3ELNS0_20block_scan_algorithmE0ELj4294967295EEENS1_25partition_config_selectorILNS1_17partition_subalgoE4EjNS0_10empty_typeEbEEZZNS1_14partition_implILS8_4ELb0ES6_15HIP_vector_typeIjLj2EENS0_17counting_iteratorIjlEEPS9_SG_NS0_5tupleIJPjSI_NS0_16reverse_iteratorISI_EEEEENSH_IJSG_SG_SG_EEES9_SI_JZNS1_25segmented_radix_sort_implINS0_14default_configELb1EPK6__halfPSP_PKlPlN2at6native12_GLOBAL__N_18offset_tEEE10hipError_tPvRmT1_PNSt15iterator_traitsIS13_E10value_typeET2_T3_PNS14_IS19_E10value_typeET4_jRbjT5_S1F_jjP12ihipStream_tbEUljE_ZNSN_ISO_Lb1ESR_SS_SU_SV_SZ_EES10_S11_S12_S13_S17_S18_S19_S1C_S1D_jS1E_jS1F_S1F_jjS1H_bEUljE0_EEES10_S11_S12_S19_S1D_S1F_T6_T7_T9_mT8_S1H_bDpT10_ENKUlT_T0_E_clISt17integral_constantIbLb0EES1V_EEDaS1Q_S1R_EUlS1Q_E_NS1_11comp_targetILNS1_3genE8ELNS1_11target_archE1030ELNS1_3gpuE2ELNS1_3repE0EEENS1_30default_config_static_selectorELNS0_4arch9wavefront6targetE0EEEvS13_
                                        ; -- End function
	.set _ZN7rocprim17ROCPRIM_400000_NS6detail17trampoline_kernelINS0_13select_configILj256ELj13ELNS0_17block_load_methodE3ELS4_3ELS4_3ELNS0_20block_scan_algorithmE0ELj4294967295EEENS1_25partition_config_selectorILNS1_17partition_subalgoE4EjNS0_10empty_typeEbEEZZNS1_14partition_implILS8_4ELb0ES6_15HIP_vector_typeIjLj2EENS0_17counting_iteratorIjlEEPS9_SG_NS0_5tupleIJPjSI_NS0_16reverse_iteratorISI_EEEEENSH_IJSG_SG_SG_EEES9_SI_JZNS1_25segmented_radix_sort_implINS0_14default_configELb1EPK6__halfPSP_PKlPlN2at6native12_GLOBAL__N_18offset_tEEE10hipError_tPvRmT1_PNSt15iterator_traitsIS13_E10value_typeET2_T3_PNS14_IS19_E10value_typeET4_jRbjT5_S1F_jjP12ihipStream_tbEUljE_ZNSN_ISO_Lb1ESR_SS_SU_SV_SZ_EES10_S11_S12_S13_S17_S18_S19_S1C_S1D_jS1E_jS1F_S1F_jjS1H_bEUljE0_EEES10_S11_S12_S19_S1D_S1F_T6_T7_T9_mT8_S1H_bDpT10_ENKUlT_T0_E_clISt17integral_constantIbLb0EES1V_EEDaS1Q_S1R_EUlS1Q_E_NS1_11comp_targetILNS1_3genE8ELNS1_11target_archE1030ELNS1_3gpuE2ELNS1_3repE0EEENS1_30default_config_static_selectorELNS0_4arch9wavefront6targetE0EEEvS13_.num_vgpr, 0
	.set _ZN7rocprim17ROCPRIM_400000_NS6detail17trampoline_kernelINS0_13select_configILj256ELj13ELNS0_17block_load_methodE3ELS4_3ELS4_3ELNS0_20block_scan_algorithmE0ELj4294967295EEENS1_25partition_config_selectorILNS1_17partition_subalgoE4EjNS0_10empty_typeEbEEZZNS1_14partition_implILS8_4ELb0ES6_15HIP_vector_typeIjLj2EENS0_17counting_iteratorIjlEEPS9_SG_NS0_5tupleIJPjSI_NS0_16reverse_iteratorISI_EEEEENSH_IJSG_SG_SG_EEES9_SI_JZNS1_25segmented_radix_sort_implINS0_14default_configELb1EPK6__halfPSP_PKlPlN2at6native12_GLOBAL__N_18offset_tEEE10hipError_tPvRmT1_PNSt15iterator_traitsIS13_E10value_typeET2_T3_PNS14_IS19_E10value_typeET4_jRbjT5_S1F_jjP12ihipStream_tbEUljE_ZNSN_ISO_Lb1ESR_SS_SU_SV_SZ_EES10_S11_S12_S13_S17_S18_S19_S1C_S1D_jS1E_jS1F_S1F_jjS1H_bEUljE0_EEES10_S11_S12_S19_S1D_S1F_T6_T7_T9_mT8_S1H_bDpT10_ENKUlT_T0_E_clISt17integral_constantIbLb0EES1V_EEDaS1Q_S1R_EUlS1Q_E_NS1_11comp_targetILNS1_3genE8ELNS1_11target_archE1030ELNS1_3gpuE2ELNS1_3repE0EEENS1_30default_config_static_selectorELNS0_4arch9wavefront6targetE0EEEvS13_.num_agpr, 0
	.set _ZN7rocprim17ROCPRIM_400000_NS6detail17trampoline_kernelINS0_13select_configILj256ELj13ELNS0_17block_load_methodE3ELS4_3ELS4_3ELNS0_20block_scan_algorithmE0ELj4294967295EEENS1_25partition_config_selectorILNS1_17partition_subalgoE4EjNS0_10empty_typeEbEEZZNS1_14partition_implILS8_4ELb0ES6_15HIP_vector_typeIjLj2EENS0_17counting_iteratorIjlEEPS9_SG_NS0_5tupleIJPjSI_NS0_16reverse_iteratorISI_EEEEENSH_IJSG_SG_SG_EEES9_SI_JZNS1_25segmented_radix_sort_implINS0_14default_configELb1EPK6__halfPSP_PKlPlN2at6native12_GLOBAL__N_18offset_tEEE10hipError_tPvRmT1_PNSt15iterator_traitsIS13_E10value_typeET2_T3_PNS14_IS19_E10value_typeET4_jRbjT5_S1F_jjP12ihipStream_tbEUljE_ZNSN_ISO_Lb1ESR_SS_SU_SV_SZ_EES10_S11_S12_S13_S17_S18_S19_S1C_S1D_jS1E_jS1F_S1F_jjS1H_bEUljE0_EEES10_S11_S12_S19_S1D_S1F_T6_T7_T9_mT8_S1H_bDpT10_ENKUlT_T0_E_clISt17integral_constantIbLb0EES1V_EEDaS1Q_S1R_EUlS1Q_E_NS1_11comp_targetILNS1_3genE8ELNS1_11target_archE1030ELNS1_3gpuE2ELNS1_3repE0EEENS1_30default_config_static_selectorELNS0_4arch9wavefront6targetE0EEEvS13_.numbered_sgpr, 0
	.set _ZN7rocprim17ROCPRIM_400000_NS6detail17trampoline_kernelINS0_13select_configILj256ELj13ELNS0_17block_load_methodE3ELS4_3ELS4_3ELNS0_20block_scan_algorithmE0ELj4294967295EEENS1_25partition_config_selectorILNS1_17partition_subalgoE4EjNS0_10empty_typeEbEEZZNS1_14partition_implILS8_4ELb0ES6_15HIP_vector_typeIjLj2EENS0_17counting_iteratorIjlEEPS9_SG_NS0_5tupleIJPjSI_NS0_16reverse_iteratorISI_EEEEENSH_IJSG_SG_SG_EEES9_SI_JZNS1_25segmented_radix_sort_implINS0_14default_configELb1EPK6__halfPSP_PKlPlN2at6native12_GLOBAL__N_18offset_tEEE10hipError_tPvRmT1_PNSt15iterator_traitsIS13_E10value_typeET2_T3_PNS14_IS19_E10value_typeET4_jRbjT5_S1F_jjP12ihipStream_tbEUljE_ZNSN_ISO_Lb1ESR_SS_SU_SV_SZ_EES10_S11_S12_S13_S17_S18_S19_S1C_S1D_jS1E_jS1F_S1F_jjS1H_bEUljE0_EEES10_S11_S12_S19_S1D_S1F_T6_T7_T9_mT8_S1H_bDpT10_ENKUlT_T0_E_clISt17integral_constantIbLb0EES1V_EEDaS1Q_S1R_EUlS1Q_E_NS1_11comp_targetILNS1_3genE8ELNS1_11target_archE1030ELNS1_3gpuE2ELNS1_3repE0EEENS1_30default_config_static_selectorELNS0_4arch9wavefront6targetE0EEEvS13_.num_named_barrier, 0
	.set _ZN7rocprim17ROCPRIM_400000_NS6detail17trampoline_kernelINS0_13select_configILj256ELj13ELNS0_17block_load_methodE3ELS4_3ELS4_3ELNS0_20block_scan_algorithmE0ELj4294967295EEENS1_25partition_config_selectorILNS1_17partition_subalgoE4EjNS0_10empty_typeEbEEZZNS1_14partition_implILS8_4ELb0ES6_15HIP_vector_typeIjLj2EENS0_17counting_iteratorIjlEEPS9_SG_NS0_5tupleIJPjSI_NS0_16reverse_iteratorISI_EEEEENSH_IJSG_SG_SG_EEES9_SI_JZNS1_25segmented_radix_sort_implINS0_14default_configELb1EPK6__halfPSP_PKlPlN2at6native12_GLOBAL__N_18offset_tEEE10hipError_tPvRmT1_PNSt15iterator_traitsIS13_E10value_typeET2_T3_PNS14_IS19_E10value_typeET4_jRbjT5_S1F_jjP12ihipStream_tbEUljE_ZNSN_ISO_Lb1ESR_SS_SU_SV_SZ_EES10_S11_S12_S13_S17_S18_S19_S1C_S1D_jS1E_jS1F_S1F_jjS1H_bEUljE0_EEES10_S11_S12_S19_S1D_S1F_T6_T7_T9_mT8_S1H_bDpT10_ENKUlT_T0_E_clISt17integral_constantIbLb0EES1V_EEDaS1Q_S1R_EUlS1Q_E_NS1_11comp_targetILNS1_3genE8ELNS1_11target_archE1030ELNS1_3gpuE2ELNS1_3repE0EEENS1_30default_config_static_selectorELNS0_4arch9wavefront6targetE0EEEvS13_.private_seg_size, 0
	.set _ZN7rocprim17ROCPRIM_400000_NS6detail17trampoline_kernelINS0_13select_configILj256ELj13ELNS0_17block_load_methodE3ELS4_3ELS4_3ELNS0_20block_scan_algorithmE0ELj4294967295EEENS1_25partition_config_selectorILNS1_17partition_subalgoE4EjNS0_10empty_typeEbEEZZNS1_14partition_implILS8_4ELb0ES6_15HIP_vector_typeIjLj2EENS0_17counting_iteratorIjlEEPS9_SG_NS0_5tupleIJPjSI_NS0_16reverse_iteratorISI_EEEEENSH_IJSG_SG_SG_EEES9_SI_JZNS1_25segmented_radix_sort_implINS0_14default_configELb1EPK6__halfPSP_PKlPlN2at6native12_GLOBAL__N_18offset_tEEE10hipError_tPvRmT1_PNSt15iterator_traitsIS13_E10value_typeET2_T3_PNS14_IS19_E10value_typeET4_jRbjT5_S1F_jjP12ihipStream_tbEUljE_ZNSN_ISO_Lb1ESR_SS_SU_SV_SZ_EES10_S11_S12_S13_S17_S18_S19_S1C_S1D_jS1E_jS1F_S1F_jjS1H_bEUljE0_EEES10_S11_S12_S19_S1D_S1F_T6_T7_T9_mT8_S1H_bDpT10_ENKUlT_T0_E_clISt17integral_constantIbLb0EES1V_EEDaS1Q_S1R_EUlS1Q_E_NS1_11comp_targetILNS1_3genE8ELNS1_11target_archE1030ELNS1_3gpuE2ELNS1_3repE0EEENS1_30default_config_static_selectorELNS0_4arch9wavefront6targetE0EEEvS13_.uses_vcc, 0
	.set _ZN7rocprim17ROCPRIM_400000_NS6detail17trampoline_kernelINS0_13select_configILj256ELj13ELNS0_17block_load_methodE3ELS4_3ELS4_3ELNS0_20block_scan_algorithmE0ELj4294967295EEENS1_25partition_config_selectorILNS1_17partition_subalgoE4EjNS0_10empty_typeEbEEZZNS1_14partition_implILS8_4ELb0ES6_15HIP_vector_typeIjLj2EENS0_17counting_iteratorIjlEEPS9_SG_NS0_5tupleIJPjSI_NS0_16reverse_iteratorISI_EEEEENSH_IJSG_SG_SG_EEES9_SI_JZNS1_25segmented_radix_sort_implINS0_14default_configELb1EPK6__halfPSP_PKlPlN2at6native12_GLOBAL__N_18offset_tEEE10hipError_tPvRmT1_PNSt15iterator_traitsIS13_E10value_typeET2_T3_PNS14_IS19_E10value_typeET4_jRbjT5_S1F_jjP12ihipStream_tbEUljE_ZNSN_ISO_Lb1ESR_SS_SU_SV_SZ_EES10_S11_S12_S13_S17_S18_S19_S1C_S1D_jS1E_jS1F_S1F_jjS1H_bEUljE0_EEES10_S11_S12_S19_S1D_S1F_T6_T7_T9_mT8_S1H_bDpT10_ENKUlT_T0_E_clISt17integral_constantIbLb0EES1V_EEDaS1Q_S1R_EUlS1Q_E_NS1_11comp_targetILNS1_3genE8ELNS1_11target_archE1030ELNS1_3gpuE2ELNS1_3repE0EEENS1_30default_config_static_selectorELNS0_4arch9wavefront6targetE0EEEvS13_.uses_flat_scratch, 0
	.set _ZN7rocprim17ROCPRIM_400000_NS6detail17trampoline_kernelINS0_13select_configILj256ELj13ELNS0_17block_load_methodE3ELS4_3ELS4_3ELNS0_20block_scan_algorithmE0ELj4294967295EEENS1_25partition_config_selectorILNS1_17partition_subalgoE4EjNS0_10empty_typeEbEEZZNS1_14partition_implILS8_4ELb0ES6_15HIP_vector_typeIjLj2EENS0_17counting_iteratorIjlEEPS9_SG_NS0_5tupleIJPjSI_NS0_16reverse_iteratorISI_EEEEENSH_IJSG_SG_SG_EEES9_SI_JZNS1_25segmented_radix_sort_implINS0_14default_configELb1EPK6__halfPSP_PKlPlN2at6native12_GLOBAL__N_18offset_tEEE10hipError_tPvRmT1_PNSt15iterator_traitsIS13_E10value_typeET2_T3_PNS14_IS19_E10value_typeET4_jRbjT5_S1F_jjP12ihipStream_tbEUljE_ZNSN_ISO_Lb1ESR_SS_SU_SV_SZ_EES10_S11_S12_S13_S17_S18_S19_S1C_S1D_jS1E_jS1F_S1F_jjS1H_bEUljE0_EEES10_S11_S12_S19_S1D_S1F_T6_T7_T9_mT8_S1H_bDpT10_ENKUlT_T0_E_clISt17integral_constantIbLb0EES1V_EEDaS1Q_S1R_EUlS1Q_E_NS1_11comp_targetILNS1_3genE8ELNS1_11target_archE1030ELNS1_3gpuE2ELNS1_3repE0EEENS1_30default_config_static_selectorELNS0_4arch9wavefront6targetE0EEEvS13_.has_dyn_sized_stack, 0
	.set _ZN7rocprim17ROCPRIM_400000_NS6detail17trampoline_kernelINS0_13select_configILj256ELj13ELNS0_17block_load_methodE3ELS4_3ELS4_3ELNS0_20block_scan_algorithmE0ELj4294967295EEENS1_25partition_config_selectorILNS1_17partition_subalgoE4EjNS0_10empty_typeEbEEZZNS1_14partition_implILS8_4ELb0ES6_15HIP_vector_typeIjLj2EENS0_17counting_iteratorIjlEEPS9_SG_NS0_5tupleIJPjSI_NS0_16reverse_iteratorISI_EEEEENSH_IJSG_SG_SG_EEES9_SI_JZNS1_25segmented_radix_sort_implINS0_14default_configELb1EPK6__halfPSP_PKlPlN2at6native12_GLOBAL__N_18offset_tEEE10hipError_tPvRmT1_PNSt15iterator_traitsIS13_E10value_typeET2_T3_PNS14_IS19_E10value_typeET4_jRbjT5_S1F_jjP12ihipStream_tbEUljE_ZNSN_ISO_Lb1ESR_SS_SU_SV_SZ_EES10_S11_S12_S13_S17_S18_S19_S1C_S1D_jS1E_jS1F_S1F_jjS1H_bEUljE0_EEES10_S11_S12_S19_S1D_S1F_T6_T7_T9_mT8_S1H_bDpT10_ENKUlT_T0_E_clISt17integral_constantIbLb0EES1V_EEDaS1Q_S1R_EUlS1Q_E_NS1_11comp_targetILNS1_3genE8ELNS1_11target_archE1030ELNS1_3gpuE2ELNS1_3repE0EEENS1_30default_config_static_selectorELNS0_4arch9wavefront6targetE0EEEvS13_.has_recursion, 0
	.set _ZN7rocprim17ROCPRIM_400000_NS6detail17trampoline_kernelINS0_13select_configILj256ELj13ELNS0_17block_load_methodE3ELS4_3ELS4_3ELNS0_20block_scan_algorithmE0ELj4294967295EEENS1_25partition_config_selectorILNS1_17partition_subalgoE4EjNS0_10empty_typeEbEEZZNS1_14partition_implILS8_4ELb0ES6_15HIP_vector_typeIjLj2EENS0_17counting_iteratorIjlEEPS9_SG_NS0_5tupleIJPjSI_NS0_16reverse_iteratorISI_EEEEENSH_IJSG_SG_SG_EEES9_SI_JZNS1_25segmented_radix_sort_implINS0_14default_configELb1EPK6__halfPSP_PKlPlN2at6native12_GLOBAL__N_18offset_tEEE10hipError_tPvRmT1_PNSt15iterator_traitsIS13_E10value_typeET2_T3_PNS14_IS19_E10value_typeET4_jRbjT5_S1F_jjP12ihipStream_tbEUljE_ZNSN_ISO_Lb1ESR_SS_SU_SV_SZ_EES10_S11_S12_S13_S17_S18_S19_S1C_S1D_jS1E_jS1F_S1F_jjS1H_bEUljE0_EEES10_S11_S12_S19_S1D_S1F_T6_T7_T9_mT8_S1H_bDpT10_ENKUlT_T0_E_clISt17integral_constantIbLb0EES1V_EEDaS1Q_S1R_EUlS1Q_E_NS1_11comp_targetILNS1_3genE8ELNS1_11target_archE1030ELNS1_3gpuE2ELNS1_3repE0EEENS1_30default_config_static_selectorELNS0_4arch9wavefront6targetE0EEEvS13_.has_indirect_call, 0
	.section	.AMDGPU.csdata,"",@progbits
; Kernel info:
; codeLenInByte = 0
; TotalNumSgprs: 0
; NumVgprs: 0
; ScratchSize: 0
; MemoryBound: 0
; FloatMode: 240
; IeeeMode: 1
; LDSByteSize: 0 bytes/workgroup (compile time only)
; SGPRBlocks: 0
; VGPRBlocks: 0
; NumSGPRsForWavesPerEU: 1
; NumVGPRsForWavesPerEU: 1
; Occupancy: 16
; WaveLimiterHint : 0
; COMPUTE_PGM_RSRC2:SCRATCH_EN: 0
; COMPUTE_PGM_RSRC2:USER_SGPR: 2
; COMPUTE_PGM_RSRC2:TRAP_HANDLER: 0
; COMPUTE_PGM_RSRC2:TGID_X_EN: 1
; COMPUTE_PGM_RSRC2:TGID_Y_EN: 0
; COMPUTE_PGM_RSRC2:TGID_Z_EN: 0
; COMPUTE_PGM_RSRC2:TIDIG_COMP_CNT: 0
	.section	.text._ZN7rocprim17ROCPRIM_400000_NS6detail17trampoline_kernelINS0_13select_configILj256ELj13ELNS0_17block_load_methodE3ELS4_3ELS4_3ELNS0_20block_scan_algorithmE0ELj4294967295EEENS1_25partition_config_selectorILNS1_17partition_subalgoE4EjNS0_10empty_typeEbEEZZNS1_14partition_implILS8_4ELb0ES6_15HIP_vector_typeIjLj2EENS0_17counting_iteratorIjlEEPS9_SG_NS0_5tupleIJPjSI_NS0_16reverse_iteratorISI_EEEEENSH_IJSG_SG_SG_EEES9_SI_JZNS1_25segmented_radix_sort_implINS0_14default_configELb1EPK6__halfPSP_PKlPlN2at6native12_GLOBAL__N_18offset_tEEE10hipError_tPvRmT1_PNSt15iterator_traitsIS13_E10value_typeET2_T3_PNS14_IS19_E10value_typeET4_jRbjT5_S1F_jjP12ihipStream_tbEUljE_ZNSN_ISO_Lb1ESR_SS_SU_SV_SZ_EES10_S11_S12_S13_S17_S18_S19_S1C_S1D_jS1E_jS1F_S1F_jjS1H_bEUljE0_EEES10_S11_S12_S19_S1D_S1F_T6_T7_T9_mT8_S1H_bDpT10_ENKUlT_T0_E_clISt17integral_constantIbLb1EES1V_EEDaS1Q_S1R_EUlS1Q_E_NS1_11comp_targetILNS1_3genE0ELNS1_11target_archE4294967295ELNS1_3gpuE0ELNS1_3repE0EEENS1_30default_config_static_selectorELNS0_4arch9wavefront6targetE0EEEvS13_,"axG",@progbits,_ZN7rocprim17ROCPRIM_400000_NS6detail17trampoline_kernelINS0_13select_configILj256ELj13ELNS0_17block_load_methodE3ELS4_3ELS4_3ELNS0_20block_scan_algorithmE0ELj4294967295EEENS1_25partition_config_selectorILNS1_17partition_subalgoE4EjNS0_10empty_typeEbEEZZNS1_14partition_implILS8_4ELb0ES6_15HIP_vector_typeIjLj2EENS0_17counting_iteratorIjlEEPS9_SG_NS0_5tupleIJPjSI_NS0_16reverse_iteratorISI_EEEEENSH_IJSG_SG_SG_EEES9_SI_JZNS1_25segmented_radix_sort_implINS0_14default_configELb1EPK6__halfPSP_PKlPlN2at6native12_GLOBAL__N_18offset_tEEE10hipError_tPvRmT1_PNSt15iterator_traitsIS13_E10value_typeET2_T3_PNS14_IS19_E10value_typeET4_jRbjT5_S1F_jjP12ihipStream_tbEUljE_ZNSN_ISO_Lb1ESR_SS_SU_SV_SZ_EES10_S11_S12_S13_S17_S18_S19_S1C_S1D_jS1E_jS1F_S1F_jjS1H_bEUljE0_EEES10_S11_S12_S19_S1D_S1F_T6_T7_T9_mT8_S1H_bDpT10_ENKUlT_T0_E_clISt17integral_constantIbLb1EES1V_EEDaS1Q_S1R_EUlS1Q_E_NS1_11comp_targetILNS1_3genE0ELNS1_11target_archE4294967295ELNS1_3gpuE0ELNS1_3repE0EEENS1_30default_config_static_selectorELNS0_4arch9wavefront6targetE0EEEvS13_,comdat
	.globl	_ZN7rocprim17ROCPRIM_400000_NS6detail17trampoline_kernelINS0_13select_configILj256ELj13ELNS0_17block_load_methodE3ELS4_3ELS4_3ELNS0_20block_scan_algorithmE0ELj4294967295EEENS1_25partition_config_selectorILNS1_17partition_subalgoE4EjNS0_10empty_typeEbEEZZNS1_14partition_implILS8_4ELb0ES6_15HIP_vector_typeIjLj2EENS0_17counting_iteratorIjlEEPS9_SG_NS0_5tupleIJPjSI_NS0_16reverse_iteratorISI_EEEEENSH_IJSG_SG_SG_EEES9_SI_JZNS1_25segmented_radix_sort_implINS0_14default_configELb1EPK6__halfPSP_PKlPlN2at6native12_GLOBAL__N_18offset_tEEE10hipError_tPvRmT1_PNSt15iterator_traitsIS13_E10value_typeET2_T3_PNS14_IS19_E10value_typeET4_jRbjT5_S1F_jjP12ihipStream_tbEUljE_ZNSN_ISO_Lb1ESR_SS_SU_SV_SZ_EES10_S11_S12_S13_S17_S18_S19_S1C_S1D_jS1E_jS1F_S1F_jjS1H_bEUljE0_EEES10_S11_S12_S19_S1D_S1F_T6_T7_T9_mT8_S1H_bDpT10_ENKUlT_T0_E_clISt17integral_constantIbLb1EES1V_EEDaS1Q_S1R_EUlS1Q_E_NS1_11comp_targetILNS1_3genE0ELNS1_11target_archE4294967295ELNS1_3gpuE0ELNS1_3repE0EEENS1_30default_config_static_selectorELNS0_4arch9wavefront6targetE0EEEvS13_ ; -- Begin function _ZN7rocprim17ROCPRIM_400000_NS6detail17trampoline_kernelINS0_13select_configILj256ELj13ELNS0_17block_load_methodE3ELS4_3ELS4_3ELNS0_20block_scan_algorithmE0ELj4294967295EEENS1_25partition_config_selectorILNS1_17partition_subalgoE4EjNS0_10empty_typeEbEEZZNS1_14partition_implILS8_4ELb0ES6_15HIP_vector_typeIjLj2EENS0_17counting_iteratorIjlEEPS9_SG_NS0_5tupleIJPjSI_NS0_16reverse_iteratorISI_EEEEENSH_IJSG_SG_SG_EEES9_SI_JZNS1_25segmented_radix_sort_implINS0_14default_configELb1EPK6__halfPSP_PKlPlN2at6native12_GLOBAL__N_18offset_tEEE10hipError_tPvRmT1_PNSt15iterator_traitsIS13_E10value_typeET2_T3_PNS14_IS19_E10value_typeET4_jRbjT5_S1F_jjP12ihipStream_tbEUljE_ZNSN_ISO_Lb1ESR_SS_SU_SV_SZ_EES10_S11_S12_S13_S17_S18_S19_S1C_S1D_jS1E_jS1F_S1F_jjS1H_bEUljE0_EEES10_S11_S12_S19_S1D_S1F_T6_T7_T9_mT8_S1H_bDpT10_ENKUlT_T0_E_clISt17integral_constantIbLb1EES1V_EEDaS1Q_S1R_EUlS1Q_E_NS1_11comp_targetILNS1_3genE0ELNS1_11target_archE4294967295ELNS1_3gpuE0ELNS1_3repE0EEENS1_30default_config_static_selectorELNS0_4arch9wavefront6targetE0EEEvS13_
	.p2align	8
	.type	_ZN7rocprim17ROCPRIM_400000_NS6detail17trampoline_kernelINS0_13select_configILj256ELj13ELNS0_17block_load_methodE3ELS4_3ELS4_3ELNS0_20block_scan_algorithmE0ELj4294967295EEENS1_25partition_config_selectorILNS1_17partition_subalgoE4EjNS0_10empty_typeEbEEZZNS1_14partition_implILS8_4ELb0ES6_15HIP_vector_typeIjLj2EENS0_17counting_iteratorIjlEEPS9_SG_NS0_5tupleIJPjSI_NS0_16reverse_iteratorISI_EEEEENSH_IJSG_SG_SG_EEES9_SI_JZNS1_25segmented_radix_sort_implINS0_14default_configELb1EPK6__halfPSP_PKlPlN2at6native12_GLOBAL__N_18offset_tEEE10hipError_tPvRmT1_PNSt15iterator_traitsIS13_E10value_typeET2_T3_PNS14_IS19_E10value_typeET4_jRbjT5_S1F_jjP12ihipStream_tbEUljE_ZNSN_ISO_Lb1ESR_SS_SU_SV_SZ_EES10_S11_S12_S13_S17_S18_S19_S1C_S1D_jS1E_jS1F_S1F_jjS1H_bEUljE0_EEES10_S11_S12_S19_S1D_S1F_T6_T7_T9_mT8_S1H_bDpT10_ENKUlT_T0_E_clISt17integral_constantIbLb1EES1V_EEDaS1Q_S1R_EUlS1Q_E_NS1_11comp_targetILNS1_3genE0ELNS1_11target_archE4294967295ELNS1_3gpuE0ELNS1_3repE0EEENS1_30default_config_static_selectorELNS0_4arch9wavefront6targetE0EEEvS13_,@function
_ZN7rocprim17ROCPRIM_400000_NS6detail17trampoline_kernelINS0_13select_configILj256ELj13ELNS0_17block_load_methodE3ELS4_3ELS4_3ELNS0_20block_scan_algorithmE0ELj4294967295EEENS1_25partition_config_selectorILNS1_17partition_subalgoE4EjNS0_10empty_typeEbEEZZNS1_14partition_implILS8_4ELb0ES6_15HIP_vector_typeIjLj2EENS0_17counting_iteratorIjlEEPS9_SG_NS0_5tupleIJPjSI_NS0_16reverse_iteratorISI_EEEEENSH_IJSG_SG_SG_EEES9_SI_JZNS1_25segmented_radix_sort_implINS0_14default_configELb1EPK6__halfPSP_PKlPlN2at6native12_GLOBAL__N_18offset_tEEE10hipError_tPvRmT1_PNSt15iterator_traitsIS13_E10value_typeET2_T3_PNS14_IS19_E10value_typeET4_jRbjT5_S1F_jjP12ihipStream_tbEUljE_ZNSN_ISO_Lb1ESR_SS_SU_SV_SZ_EES10_S11_S12_S13_S17_S18_S19_S1C_S1D_jS1E_jS1F_S1F_jjS1H_bEUljE0_EEES10_S11_S12_S19_S1D_S1F_T6_T7_T9_mT8_S1H_bDpT10_ENKUlT_T0_E_clISt17integral_constantIbLb1EES1V_EEDaS1Q_S1R_EUlS1Q_E_NS1_11comp_targetILNS1_3genE0ELNS1_11target_archE4294967295ELNS1_3gpuE0ELNS1_3repE0EEENS1_30default_config_static_selectorELNS0_4arch9wavefront6targetE0EEEvS13_: ; @_ZN7rocprim17ROCPRIM_400000_NS6detail17trampoline_kernelINS0_13select_configILj256ELj13ELNS0_17block_load_methodE3ELS4_3ELS4_3ELNS0_20block_scan_algorithmE0ELj4294967295EEENS1_25partition_config_selectorILNS1_17partition_subalgoE4EjNS0_10empty_typeEbEEZZNS1_14partition_implILS8_4ELb0ES6_15HIP_vector_typeIjLj2EENS0_17counting_iteratorIjlEEPS9_SG_NS0_5tupleIJPjSI_NS0_16reverse_iteratorISI_EEEEENSH_IJSG_SG_SG_EEES9_SI_JZNS1_25segmented_radix_sort_implINS0_14default_configELb1EPK6__halfPSP_PKlPlN2at6native12_GLOBAL__N_18offset_tEEE10hipError_tPvRmT1_PNSt15iterator_traitsIS13_E10value_typeET2_T3_PNS14_IS19_E10value_typeET4_jRbjT5_S1F_jjP12ihipStream_tbEUljE_ZNSN_ISO_Lb1ESR_SS_SU_SV_SZ_EES10_S11_S12_S13_S17_S18_S19_S1C_S1D_jS1E_jS1F_S1F_jjS1H_bEUljE0_EEES10_S11_S12_S19_S1D_S1F_T6_T7_T9_mT8_S1H_bDpT10_ENKUlT_T0_E_clISt17integral_constantIbLb1EES1V_EEDaS1Q_S1R_EUlS1Q_E_NS1_11comp_targetILNS1_3genE0ELNS1_11target_archE4294967295ELNS1_3gpuE0ELNS1_3repE0EEENS1_30default_config_static_selectorELNS0_4arch9wavefront6targetE0EEEvS13_
; %bb.0:
	.section	.rodata,"a",@progbits
	.p2align	6, 0x0
	.amdhsa_kernel _ZN7rocprim17ROCPRIM_400000_NS6detail17trampoline_kernelINS0_13select_configILj256ELj13ELNS0_17block_load_methodE3ELS4_3ELS4_3ELNS0_20block_scan_algorithmE0ELj4294967295EEENS1_25partition_config_selectorILNS1_17partition_subalgoE4EjNS0_10empty_typeEbEEZZNS1_14partition_implILS8_4ELb0ES6_15HIP_vector_typeIjLj2EENS0_17counting_iteratorIjlEEPS9_SG_NS0_5tupleIJPjSI_NS0_16reverse_iteratorISI_EEEEENSH_IJSG_SG_SG_EEES9_SI_JZNS1_25segmented_radix_sort_implINS0_14default_configELb1EPK6__halfPSP_PKlPlN2at6native12_GLOBAL__N_18offset_tEEE10hipError_tPvRmT1_PNSt15iterator_traitsIS13_E10value_typeET2_T3_PNS14_IS19_E10value_typeET4_jRbjT5_S1F_jjP12ihipStream_tbEUljE_ZNSN_ISO_Lb1ESR_SS_SU_SV_SZ_EES10_S11_S12_S13_S17_S18_S19_S1C_S1D_jS1E_jS1F_S1F_jjS1H_bEUljE0_EEES10_S11_S12_S19_S1D_S1F_T6_T7_T9_mT8_S1H_bDpT10_ENKUlT_T0_E_clISt17integral_constantIbLb1EES1V_EEDaS1Q_S1R_EUlS1Q_E_NS1_11comp_targetILNS1_3genE0ELNS1_11target_archE4294967295ELNS1_3gpuE0ELNS1_3repE0EEENS1_30default_config_static_selectorELNS0_4arch9wavefront6targetE0EEEvS13_
		.amdhsa_group_segment_fixed_size 0
		.amdhsa_private_segment_fixed_size 0
		.amdhsa_kernarg_size 184
		.amdhsa_user_sgpr_count 2
		.amdhsa_user_sgpr_dispatch_ptr 0
		.amdhsa_user_sgpr_queue_ptr 0
		.amdhsa_user_sgpr_kernarg_segment_ptr 1
		.amdhsa_user_sgpr_dispatch_id 0
		.amdhsa_user_sgpr_private_segment_size 0
		.amdhsa_wavefront_size32 1
		.amdhsa_uses_dynamic_stack 0
		.amdhsa_enable_private_segment 0
		.amdhsa_system_sgpr_workgroup_id_x 1
		.amdhsa_system_sgpr_workgroup_id_y 0
		.amdhsa_system_sgpr_workgroup_id_z 0
		.amdhsa_system_sgpr_workgroup_info 0
		.amdhsa_system_vgpr_workitem_id 0
		.amdhsa_next_free_vgpr 1
		.amdhsa_next_free_sgpr 1
		.amdhsa_reserve_vcc 0
		.amdhsa_float_round_mode_32 0
		.amdhsa_float_round_mode_16_64 0
		.amdhsa_float_denorm_mode_32 3
		.amdhsa_float_denorm_mode_16_64 3
		.amdhsa_fp16_overflow 0
		.amdhsa_workgroup_processor_mode 1
		.amdhsa_memory_ordered 1
		.amdhsa_forward_progress 1
		.amdhsa_inst_pref_size 0
		.amdhsa_round_robin_scheduling 0
		.amdhsa_exception_fp_ieee_invalid_op 0
		.amdhsa_exception_fp_denorm_src 0
		.amdhsa_exception_fp_ieee_div_zero 0
		.amdhsa_exception_fp_ieee_overflow 0
		.amdhsa_exception_fp_ieee_underflow 0
		.amdhsa_exception_fp_ieee_inexact 0
		.amdhsa_exception_int_div_zero 0
	.end_amdhsa_kernel
	.section	.text._ZN7rocprim17ROCPRIM_400000_NS6detail17trampoline_kernelINS0_13select_configILj256ELj13ELNS0_17block_load_methodE3ELS4_3ELS4_3ELNS0_20block_scan_algorithmE0ELj4294967295EEENS1_25partition_config_selectorILNS1_17partition_subalgoE4EjNS0_10empty_typeEbEEZZNS1_14partition_implILS8_4ELb0ES6_15HIP_vector_typeIjLj2EENS0_17counting_iteratorIjlEEPS9_SG_NS0_5tupleIJPjSI_NS0_16reverse_iteratorISI_EEEEENSH_IJSG_SG_SG_EEES9_SI_JZNS1_25segmented_radix_sort_implINS0_14default_configELb1EPK6__halfPSP_PKlPlN2at6native12_GLOBAL__N_18offset_tEEE10hipError_tPvRmT1_PNSt15iterator_traitsIS13_E10value_typeET2_T3_PNS14_IS19_E10value_typeET4_jRbjT5_S1F_jjP12ihipStream_tbEUljE_ZNSN_ISO_Lb1ESR_SS_SU_SV_SZ_EES10_S11_S12_S13_S17_S18_S19_S1C_S1D_jS1E_jS1F_S1F_jjS1H_bEUljE0_EEES10_S11_S12_S19_S1D_S1F_T6_T7_T9_mT8_S1H_bDpT10_ENKUlT_T0_E_clISt17integral_constantIbLb1EES1V_EEDaS1Q_S1R_EUlS1Q_E_NS1_11comp_targetILNS1_3genE0ELNS1_11target_archE4294967295ELNS1_3gpuE0ELNS1_3repE0EEENS1_30default_config_static_selectorELNS0_4arch9wavefront6targetE0EEEvS13_,"axG",@progbits,_ZN7rocprim17ROCPRIM_400000_NS6detail17trampoline_kernelINS0_13select_configILj256ELj13ELNS0_17block_load_methodE3ELS4_3ELS4_3ELNS0_20block_scan_algorithmE0ELj4294967295EEENS1_25partition_config_selectorILNS1_17partition_subalgoE4EjNS0_10empty_typeEbEEZZNS1_14partition_implILS8_4ELb0ES6_15HIP_vector_typeIjLj2EENS0_17counting_iteratorIjlEEPS9_SG_NS0_5tupleIJPjSI_NS0_16reverse_iteratorISI_EEEEENSH_IJSG_SG_SG_EEES9_SI_JZNS1_25segmented_radix_sort_implINS0_14default_configELb1EPK6__halfPSP_PKlPlN2at6native12_GLOBAL__N_18offset_tEEE10hipError_tPvRmT1_PNSt15iterator_traitsIS13_E10value_typeET2_T3_PNS14_IS19_E10value_typeET4_jRbjT5_S1F_jjP12ihipStream_tbEUljE_ZNSN_ISO_Lb1ESR_SS_SU_SV_SZ_EES10_S11_S12_S13_S17_S18_S19_S1C_S1D_jS1E_jS1F_S1F_jjS1H_bEUljE0_EEES10_S11_S12_S19_S1D_S1F_T6_T7_T9_mT8_S1H_bDpT10_ENKUlT_T0_E_clISt17integral_constantIbLb1EES1V_EEDaS1Q_S1R_EUlS1Q_E_NS1_11comp_targetILNS1_3genE0ELNS1_11target_archE4294967295ELNS1_3gpuE0ELNS1_3repE0EEENS1_30default_config_static_selectorELNS0_4arch9wavefront6targetE0EEEvS13_,comdat
.Lfunc_end1683:
	.size	_ZN7rocprim17ROCPRIM_400000_NS6detail17trampoline_kernelINS0_13select_configILj256ELj13ELNS0_17block_load_methodE3ELS4_3ELS4_3ELNS0_20block_scan_algorithmE0ELj4294967295EEENS1_25partition_config_selectorILNS1_17partition_subalgoE4EjNS0_10empty_typeEbEEZZNS1_14partition_implILS8_4ELb0ES6_15HIP_vector_typeIjLj2EENS0_17counting_iteratorIjlEEPS9_SG_NS0_5tupleIJPjSI_NS0_16reverse_iteratorISI_EEEEENSH_IJSG_SG_SG_EEES9_SI_JZNS1_25segmented_radix_sort_implINS0_14default_configELb1EPK6__halfPSP_PKlPlN2at6native12_GLOBAL__N_18offset_tEEE10hipError_tPvRmT1_PNSt15iterator_traitsIS13_E10value_typeET2_T3_PNS14_IS19_E10value_typeET4_jRbjT5_S1F_jjP12ihipStream_tbEUljE_ZNSN_ISO_Lb1ESR_SS_SU_SV_SZ_EES10_S11_S12_S13_S17_S18_S19_S1C_S1D_jS1E_jS1F_S1F_jjS1H_bEUljE0_EEES10_S11_S12_S19_S1D_S1F_T6_T7_T9_mT8_S1H_bDpT10_ENKUlT_T0_E_clISt17integral_constantIbLb1EES1V_EEDaS1Q_S1R_EUlS1Q_E_NS1_11comp_targetILNS1_3genE0ELNS1_11target_archE4294967295ELNS1_3gpuE0ELNS1_3repE0EEENS1_30default_config_static_selectorELNS0_4arch9wavefront6targetE0EEEvS13_, .Lfunc_end1683-_ZN7rocprim17ROCPRIM_400000_NS6detail17trampoline_kernelINS0_13select_configILj256ELj13ELNS0_17block_load_methodE3ELS4_3ELS4_3ELNS0_20block_scan_algorithmE0ELj4294967295EEENS1_25partition_config_selectorILNS1_17partition_subalgoE4EjNS0_10empty_typeEbEEZZNS1_14partition_implILS8_4ELb0ES6_15HIP_vector_typeIjLj2EENS0_17counting_iteratorIjlEEPS9_SG_NS0_5tupleIJPjSI_NS0_16reverse_iteratorISI_EEEEENSH_IJSG_SG_SG_EEES9_SI_JZNS1_25segmented_radix_sort_implINS0_14default_configELb1EPK6__halfPSP_PKlPlN2at6native12_GLOBAL__N_18offset_tEEE10hipError_tPvRmT1_PNSt15iterator_traitsIS13_E10value_typeET2_T3_PNS14_IS19_E10value_typeET4_jRbjT5_S1F_jjP12ihipStream_tbEUljE_ZNSN_ISO_Lb1ESR_SS_SU_SV_SZ_EES10_S11_S12_S13_S17_S18_S19_S1C_S1D_jS1E_jS1F_S1F_jjS1H_bEUljE0_EEES10_S11_S12_S19_S1D_S1F_T6_T7_T9_mT8_S1H_bDpT10_ENKUlT_T0_E_clISt17integral_constantIbLb1EES1V_EEDaS1Q_S1R_EUlS1Q_E_NS1_11comp_targetILNS1_3genE0ELNS1_11target_archE4294967295ELNS1_3gpuE0ELNS1_3repE0EEENS1_30default_config_static_selectorELNS0_4arch9wavefront6targetE0EEEvS13_
                                        ; -- End function
	.set _ZN7rocprim17ROCPRIM_400000_NS6detail17trampoline_kernelINS0_13select_configILj256ELj13ELNS0_17block_load_methodE3ELS4_3ELS4_3ELNS0_20block_scan_algorithmE0ELj4294967295EEENS1_25partition_config_selectorILNS1_17partition_subalgoE4EjNS0_10empty_typeEbEEZZNS1_14partition_implILS8_4ELb0ES6_15HIP_vector_typeIjLj2EENS0_17counting_iteratorIjlEEPS9_SG_NS0_5tupleIJPjSI_NS0_16reverse_iteratorISI_EEEEENSH_IJSG_SG_SG_EEES9_SI_JZNS1_25segmented_radix_sort_implINS0_14default_configELb1EPK6__halfPSP_PKlPlN2at6native12_GLOBAL__N_18offset_tEEE10hipError_tPvRmT1_PNSt15iterator_traitsIS13_E10value_typeET2_T3_PNS14_IS19_E10value_typeET4_jRbjT5_S1F_jjP12ihipStream_tbEUljE_ZNSN_ISO_Lb1ESR_SS_SU_SV_SZ_EES10_S11_S12_S13_S17_S18_S19_S1C_S1D_jS1E_jS1F_S1F_jjS1H_bEUljE0_EEES10_S11_S12_S19_S1D_S1F_T6_T7_T9_mT8_S1H_bDpT10_ENKUlT_T0_E_clISt17integral_constantIbLb1EES1V_EEDaS1Q_S1R_EUlS1Q_E_NS1_11comp_targetILNS1_3genE0ELNS1_11target_archE4294967295ELNS1_3gpuE0ELNS1_3repE0EEENS1_30default_config_static_selectorELNS0_4arch9wavefront6targetE0EEEvS13_.num_vgpr, 0
	.set _ZN7rocprim17ROCPRIM_400000_NS6detail17trampoline_kernelINS0_13select_configILj256ELj13ELNS0_17block_load_methodE3ELS4_3ELS4_3ELNS0_20block_scan_algorithmE0ELj4294967295EEENS1_25partition_config_selectorILNS1_17partition_subalgoE4EjNS0_10empty_typeEbEEZZNS1_14partition_implILS8_4ELb0ES6_15HIP_vector_typeIjLj2EENS0_17counting_iteratorIjlEEPS9_SG_NS0_5tupleIJPjSI_NS0_16reverse_iteratorISI_EEEEENSH_IJSG_SG_SG_EEES9_SI_JZNS1_25segmented_radix_sort_implINS0_14default_configELb1EPK6__halfPSP_PKlPlN2at6native12_GLOBAL__N_18offset_tEEE10hipError_tPvRmT1_PNSt15iterator_traitsIS13_E10value_typeET2_T3_PNS14_IS19_E10value_typeET4_jRbjT5_S1F_jjP12ihipStream_tbEUljE_ZNSN_ISO_Lb1ESR_SS_SU_SV_SZ_EES10_S11_S12_S13_S17_S18_S19_S1C_S1D_jS1E_jS1F_S1F_jjS1H_bEUljE0_EEES10_S11_S12_S19_S1D_S1F_T6_T7_T9_mT8_S1H_bDpT10_ENKUlT_T0_E_clISt17integral_constantIbLb1EES1V_EEDaS1Q_S1R_EUlS1Q_E_NS1_11comp_targetILNS1_3genE0ELNS1_11target_archE4294967295ELNS1_3gpuE0ELNS1_3repE0EEENS1_30default_config_static_selectorELNS0_4arch9wavefront6targetE0EEEvS13_.num_agpr, 0
	.set _ZN7rocprim17ROCPRIM_400000_NS6detail17trampoline_kernelINS0_13select_configILj256ELj13ELNS0_17block_load_methodE3ELS4_3ELS4_3ELNS0_20block_scan_algorithmE0ELj4294967295EEENS1_25partition_config_selectorILNS1_17partition_subalgoE4EjNS0_10empty_typeEbEEZZNS1_14partition_implILS8_4ELb0ES6_15HIP_vector_typeIjLj2EENS0_17counting_iteratorIjlEEPS9_SG_NS0_5tupleIJPjSI_NS0_16reverse_iteratorISI_EEEEENSH_IJSG_SG_SG_EEES9_SI_JZNS1_25segmented_radix_sort_implINS0_14default_configELb1EPK6__halfPSP_PKlPlN2at6native12_GLOBAL__N_18offset_tEEE10hipError_tPvRmT1_PNSt15iterator_traitsIS13_E10value_typeET2_T3_PNS14_IS19_E10value_typeET4_jRbjT5_S1F_jjP12ihipStream_tbEUljE_ZNSN_ISO_Lb1ESR_SS_SU_SV_SZ_EES10_S11_S12_S13_S17_S18_S19_S1C_S1D_jS1E_jS1F_S1F_jjS1H_bEUljE0_EEES10_S11_S12_S19_S1D_S1F_T6_T7_T9_mT8_S1H_bDpT10_ENKUlT_T0_E_clISt17integral_constantIbLb1EES1V_EEDaS1Q_S1R_EUlS1Q_E_NS1_11comp_targetILNS1_3genE0ELNS1_11target_archE4294967295ELNS1_3gpuE0ELNS1_3repE0EEENS1_30default_config_static_selectorELNS0_4arch9wavefront6targetE0EEEvS13_.numbered_sgpr, 0
	.set _ZN7rocprim17ROCPRIM_400000_NS6detail17trampoline_kernelINS0_13select_configILj256ELj13ELNS0_17block_load_methodE3ELS4_3ELS4_3ELNS0_20block_scan_algorithmE0ELj4294967295EEENS1_25partition_config_selectorILNS1_17partition_subalgoE4EjNS0_10empty_typeEbEEZZNS1_14partition_implILS8_4ELb0ES6_15HIP_vector_typeIjLj2EENS0_17counting_iteratorIjlEEPS9_SG_NS0_5tupleIJPjSI_NS0_16reverse_iteratorISI_EEEEENSH_IJSG_SG_SG_EEES9_SI_JZNS1_25segmented_radix_sort_implINS0_14default_configELb1EPK6__halfPSP_PKlPlN2at6native12_GLOBAL__N_18offset_tEEE10hipError_tPvRmT1_PNSt15iterator_traitsIS13_E10value_typeET2_T3_PNS14_IS19_E10value_typeET4_jRbjT5_S1F_jjP12ihipStream_tbEUljE_ZNSN_ISO_Lb1ESR_SS_SU_SV_SZ_EES10_S11_S12_S13_S17_S18_S19_S1C_S1D_jS1E_jS1F_S1F_jjS1H_bEUljE0_EEES10_S11_S12_S19_S1D_S1F_T6_T7_T9_mT8_S1H_bDpT10_ENKUlT_T0_E_clISt17integral_constantIbLb1EES1V_EEDaS1Q_S1R_EUlS1Q_E_NS1_11comp_targetILNS1_3genE0ELNS1_11target_archE4294967295ELNS1_3gpuE0ELNS1_3repE0EEENS1_30default_config_static_selectorELNS0_4arch9wavefront6targetE0EEEvS13_.num_named_barrier, 0
	.set _ZN7rocprim17ROCPRIM_400000_NS6detail17trampoline_kernelINS0_13select_configILj256ELj13ELNS0_17block_load_methodE3ELS4_3ELS4_3ELNS0_20block_scan_algorithmE0ELj4294967295EEENS1_25partition_config_selectorILNS1_17partition_subalgoE4EjNS0_10empty_typeEbEEZZNS1_14partition_implILS8_4ELb0ES6_15HIP_vector_typeIjLj2EENS0_17counting_iteratorIjlEEPS9_SG_NS0_5tupleIJPjSI_NS0_16reverse_iteratorISI_EEEEENSH_IJSG_SG_SG_EEES9_SI_JZNS1_25segmented_radix_sort_implINS0_14default_configELb1EPK6__halfPSP_PKlPlN2at6native12_GLOBAL__N_18offset_tEEE10hipError_tPvRmT1_PNSt15iterator_traitsIS13_E10value_typeET2_T3_PNS14_IS19_E10value_typeET4_jRbjT5_S1F_jjP12ihipStream_tbEUljE_ZNSN_ISO_Lb1ESR_SS_SU_SV_SZ_EES10_S11_S12_S13_S17_S18_S19_S1C_S1D_jS1E_jS1F_S1F_jjS1H_bEUljE0_EEES10_S11_S12_S19_S1D_S1F_T6_T7_T9_mT8_S1H_bDpT10_ENKUlT_T0_E_clISt17integral_constantIbLb1EES1V_EEDaS1Q_S1R_EUlS1Q_E_NS1_11comp_targetILNS1_3genE0ELNS1_11target_archE4294967295ELNS1_3gpuE0ELNS1_3repE0EEENS1_30default_config_static_selectorELNS0_4arch9wavefront6targetE0EEEvS13_.private_seg_size, 0
	.set _ZN7rocprim17ROCPRIM_400000_NS6detail17trampoline_kernelINS0_13select_configILj256ELj13ELNS0_17block_load_methodE3ELS4_3ELS4_3ELNS0_20block_scan_algorithmE0ELj4294967295EEENS1_25partition_config_selectorILNS1_17partition_subalgoE4EjNS0_10empty_typeEbEEZZNS1_14partition_implILS8_4ELb0ES6_15HIP_vector_typeIjLj2EENS0_17counting_iteratorIjlEEPS9_SG_NS0_5tupleIJPjSI_NS0_16reverse_iteratorISI_EEEEENSH_IJSG_SG_SG_EEES9_SI_JZNS1_25segmented_radix_sort_implINS0_14default_configELb1EPK6__halfPSP_PKlPlN2at6native12_GLOBAL__N_18offset_tEEE10hipError_tPvRmT1_PNSt15iterator_traitsIS13_E10value_typeET2_T3_PNS14_IS19_E10value_typeET4_jRbjT5_S1F_jjP12ihipStream_tbEUljE_ZNSN_ISO_Lb1ESR_SS_SU_SV_SZ_EES10_S11_S12_S13_S17_S18_S19_S1C_S1D_jS1E_jS1F_S1F_jjS1H_bEUljE0_EEES10_S11_S12_S19_S1D_S1F_T6_T7_T9_mT8_S1H_bDpT10_ENKUlT_T0_E_clISt17integral_constantIbLb1EES1V_EEDaS1Q_S1R_EUlS1Q_E_NS1_11comp_targetILNS1_3genE0ELNS1_11target_archE4294967295ELNS1_3gpuE0ELNS1_3repE0EEENS1_30default_config_static_selectorELNS0_4arch9wavefront6targetE0EEEvS13_.uses_vcc, 0
	.set _ZN7rocprim17ROCPRIM_400000_NS6detail17trampoline_kernelINS0_13select_configILj256ELj13ELNS0_17block_load_methodE3ELS4_3ELS4_3ELNS0_20block_scan_algorithmE0ELj4294967295EEENS1_25partition_config_selectorILNS1_17partition_subalgoE4EjNS0_10empty_typeEbEEZZNS1_14partition_implILS8_4ELb0ES6_15HIP_vector_typeIjLj2EENS0_17counting_iteratorIjlEEPS9_SG_NS0_5tupleIJPjSI_NS0_16reverse_iteratorISI_EEEEENSH_IJSG_SG_SG_EEES9_SI_JZNS1_25segmented_radix_sort_implINS0_14default_configELb1EPK6__halfPSP_PKlPlN2at6native12_GLOBAL__N_18offset_tEEE10hipError_tPvRmT1_PNSt15iterator_traitsIS13_E10value_typeET2_T3_PNS14_IS19_E10value_typeET4_jRbjT5_S1F_jjP12ihipStream_tbEUljE_ZNSN_ISO_Lb1ESR_SS_SU_SV_SZ_EES10_S11_S12_S13_S17_S18_S19_S1C_S1D_jS1E_jS1F_S1F_jjS1H_bEUljE0_EEES10_S11_S12_S19_S1D_S1F_T6_T7_T9_mT8_S1H_bDpT10_ENKUlT_T0_E_clISt17integral_constantIbLb1EES1V_EEDaS1Q_S1R_EUlS1Q_E_NS1_11comp_targetILNS1_3genE0ELNS1_11target_archE4294967295ELNS1_3gpuE0ELNS1_3repE0EEENS1_30default_config_static_selectorELNS0_4arch9wavefront6targetE0EEEvS13_.uses_flat_scratch, 0
	.set _ZN7rocprim17ROCPRIM_400000_NS6detail17trampoline_kernelINS0_13select_configILj256ELj13ELNS0_17block_load_methodE3ELS4_3ELS4_3ELNS0_20block_scan_algorithmE0ELj4294967295EEENS1_25partition_config_selectorILNS1_17partition_subalgoE4EjNS0_10empty_typeEbEEZZNS1_14partition_implILS8_4ELb0ES6_15HIP_vector_typeIjLj2EENS0_17counting_iteratorIjlEEPS9_SG_NS0_5tupleIJPjSI_NS0_16reverse_iteratorISI_EEEEENSH_IJSG_SG_SG_EEES9_SI_JZNS1_25segmented_radix_sort_implINS0_14default_configELb1EPK6__halfPSP_PKlPlN2at6native12_GLOBAL__N_18offset_tEEE10hipError_tPvRmT1_PNSt15iterator_traitsIS13_E10value_typeET2_T3_PNS14_IS19_E10value_typeET4_jRbjT5_S1F_jjP12ihipStream_tbEUljE_ZNSN_ISO_Lb1ESR_SS_SU_SV_SZ_EES10_S11_S12_S13_S17_S18_S19_S1C_S1D_jS1E_jS1F_S1F_jjS1H_bEUljE0_EEES10_S11_S12_S19_S1D_S1F_T6_T7_T9_mT8_S1H_bDpT10_ENKUlT_T0_E_clISt17integral_constantIbLb1EES1V_EEDaS1Q_S1R_EUlS1Q_E_NS1_11comp_targetILNS1_3genE0ELNS1_11target_archE4294967295ELNS1_3gpuE0ELNS1_3repE0EEENS1_30default_config_static_selectorELNS0_4arch9wavefront6targetE0EEEvS13_.has_dyn_sized_stack, 0
	.set _ZN7rocprim17ROCPRIM_400000_NS6detail17trampoline_kernelINS0_13select_configILj256ELj13ELNS0_17block_load_methodE3ELS4_3ELS4_3ELNS0_20block_scan_algorithmE0ELj4294967295EEENS1_25partition_config_selectorILNS1_17partition_subalgoE4EjNS0_10empty_typeEbEEZZNS1_14partition_implILS8_4ELb0ES6_15HIP_vector_typeIjLj2EENS0_17counting_iteratorIjlEEPS9_SG_NS0_5tupleIJPjSI_NS0_16reverse_iteratorISI_EEEEENSH_IJSG_SG_SG_EEES9_SI_JZNS1_25segmented_radix_sort_implINS0_14default_configELb1EPK6__halfPSP_PKlPlN2at6native12_GLOBAL__N_18offset_tEEE10hipError_tPvRmT1_PNSt15iterator_traitsIS13_E10value_typeET2_T3_PNS14_IS19_E10value_typeET4_jRbjT5_S1F_jjP12ihipStream_tbEUljE_ZNSN_ISO_Lb1ESR_SS_SU_SV_SZ_EES10_S11_S12_S13_S17_S18_S19_S1C_S1D_jS1E_jS1F_S1F_jjS1H_bEUljE0_EEES10_S11_S12_S19_S1D_S1F_T6_T7_T9_mT8_S1H_bDpT10_ENKUlT_T0_E_clISt17integral_constantIbLb1EES1V_EEDaS1Q_S1R_EUlS1Q_E_NS1_11comp_targetILNS1_3genE0ELNS1_11target_archE4294967295ELNS1_3gpuE0ELNS1_3repE0EEENS1_30default_config_static_selectorELNS0_4arch9wavefront6targetE0EEEvS13_.has_recursion, 0
	.set _ZN7rocprim17ROCPRIM_400000_NS6detail17trampoline_kernelINS0_13select_configILj256ELj13ELNS0_17block_load_methodE3ELS4_3ELS4_3ELNS0_20block_scan_algorithmE0ELj4294967295EEENS1_25partition_config_selectorILNS1_17partition_subalgoE4EjNS0_10empty_typeEbEEZZNS1_14partition_implILS8_4ELb0ES6_15HIP_vector_typeIjLj2EENS0_17counting_iteratorIjlEEPS9_SG_NS0_5tupleIJPjSI_NS0_16reverse_iteratorISI_EEEEENSH_IJSG_SG_SG_EEES9_SI_JZNS1_25segmented_radix_sort_implINS0_14default_configELb1EPK6__halfPSP_PKlPlN2at6native12_GLOBAL__N_18offset_tEEE10hipError_tPvRmT1_PNSt15iterator_traitsIS13_E10value_typeET2_T3_PNS14_IS19_E10value_typeET4_jRbjT5_S1F_jjP12ihipStream_tbEUljE_ZNSN_ISO_Lb1ESR_SS_SU_SV_SZ_EES10_S11_S12_S13_S17_S18_S19_S1C_S1D_jS1E_jS1F_S1F_jjS1H_bEUljE0_EEES10_S11_S12_S19_S1D_S1F_T6_T7_T9_mT8_S1H_bDpT10_ENKUlT_T0_E_clISt17integral_constantIbLb1EES1V_EEDaS1Q_S1R_EUlS1Q_E_NS1_11comp_targetILNS1_3genE0ELNS1_11target_archE4294967295ELNS1_3gpuE0ELNS1_3repE0EEENS1_30default_config_static_selectorELNS0_4arch9wavefront6targetE0EEEvS13_.has_indirect_call, 0
	.section	.AMDGPU.csdata,"",@progbits
; Kernel info:
; codeLenInByte = 0
; TotalNumSgprs: 0
; NumVgprs: 0
; ScratchSize: 0
; MemoryBound: 0
; FloatMode: 240
; IeeeMode: 1
; LDSByteSize: 0 bytes/workgroup (compile time only)
; SGPRBlocks: 0
; VGPRBlocks: 0
; NumSGPRsForWavesPerEU: 1
; NumVGPRsForWavesPerEU: 1
; Occupancy: 16
; WaveLimiterHint : 0
; COMPUTE_PGM_RSRC2:SCRATCH_EN: 0
; COMPUTE_PGM_RSRC2:USER_SGPR: 2
; COMPUTE_PGM_RSRC2:TRAP_HANDLER: 0
; COMPUTE_PGM_RSRC2:TGID_X_EN: 1
; COMPUTE_PGM_RSRC2:TGID_Y_EN: 0
; COMPUTE_PGM_RSRC2:TGID_Z_EN: 0
; COMPUTE_PGM_RSRC2:TIDIG_COMP_CNT: 0
	.section	.text._ZN7rocprim17ROCPRIM_400000_NS6detail17trampoline_kernelINS0_13select_configILj256ELj13ELNS0_17block_load_methodE3ELS4_3ELS4_3ELNS0_20block_scan_algorithmE0ELj4294967295EEENS1_25partition_config_selectorILNS1_17partition_subalgoE4EjNS0_10empty_typeEbEEZZNS1_14partition_implILS8_4ELb0ES6_15HIP_vector_typeIjLj2EENS0_17counting_iteratorIjlEEPS9_SG_NS0_5tupleIJPjSI_NS0_16reverse_iteratorISI_EEEEENSH_IJSG_SG_SG_EEES9_SI_JZNS1_25segmented_radix_sort_implINS0_14default_configELb1EPK6__halfPSP_PKlPlN2at6native12_GLOBAL__N_18offset_tEEE10hipError_tPvRmT1_PNSt15iterator_traitsIS13_E10value_typeET2_T3_PNS14_IS19_E10value_typeET4_jRbjT5_S1F_jjP12ihipStream_tbEUljE_ZNSN_ISO_Lb1ESR_SS_SU_SV_SZ_EES10_S11_S12_S13_S17_S18_S19_S1C_S1D_jS1E_jS1F_S1F_jjS1H_bEUljE0_EEES10_S11_S12_S19_S1D_S1F_T6_T7_T9_mT8_S1H_bDpT10_ENKUlT_T0_E_clISt17integral_constantIbLb1EES1V_EEDaS1Q_S1R_EUlS1Q_E_NS1_11comp_targetILNS1_3genE5ELNS1_11target_archE942ELNS1_3gpuE9ELNS1_3repE0EEENS1_30default_config_static_selectorELNS0_4arch9wavefront6targetE0EEEvS13_,"axG",@progbits,_ZN7rocprim17ROCPRIM_400000_NS6detail17trampoline_kernelINS0_13select_configILj256ELj13ELNS0_17block_load_methodE3ELS4_3ELS4_3ELNS0_20block_scan_algorithmE0ELj4294967295EEENS1_25partition_config_selectorILNS1_17partition_subalgoE4EjNS0_10empty_typeEbEEZZNS1_14partition_implILS8_4ELb0ES6_15HIP_vector_typeIjLj2EENS0_17counting_iteratorIjlEEPS9_SG_NS0_5tupleIJPjSI_NS0_16reverse_iteratorISI_EEEEENSH_IJSG_SG_SG_EEES9_SI_JZNS1_25segmented_radix_sort_implINS0_14default_configELb1EPK6__halfPSP_PKlPlN2at6native12_GLOBAL__N_18offset_tEEE10hipError_tPvRmT1_PNSt15iterator_traitsIS13_E10value_typeET2_T3_PNS14_IS19_E10value_typeET4_jRbjT5_S1F_jjP12ihipStream_tbEUljE_ZNSN_ISO_Lb1ESR_SS_SU_SV_SZ_EES10_S11_S12_S13_S17_S18_S19_S1C_S1D_jS1E_jS1F_S1F_jjS1H_bEUljE0_EEES10_S11_S12_S19_S1D_S1F_T6_T7_T9_mT8_S1H_bDpT10_ENKUlT_T0_E_clISt17integral_constantIbLb1EES1V_EEDaS1Q_S1R_EUlS1Q_E_NS1_11comp_targetILNS1_3genE5ELNS1_11target_archE942ELNS1_3gpuE9ELNS1_3repE0EEENS1_30default_config_static_selectorELNS0_4arch9wavefront6targetE0EEEvS13_,comdat
	.globl	_ZN7rocprim17ROCPRIM_400000_NS6detail17trampoline_kernelINS0_13select_configILj256ELj13ELNS0_17block_load_methodE3ELS4_3ELS4_3ELNS0_20block_scan_algorithmE0ELj4294967295EEENS1_25partition_config_selectorILNS1_17partition_subalgoE4EjNS0_10empty_typeEbEEZZNS1_14partition_implILS8_4ELb0ES6_15HIP_vector_typeIjLj2EENS0_17counting_iteratorIjlEEPS9_SG_NS0_5tupleIJPjSI_NS0_16reverse_iteratorISI_EEEEENSH_IJSG_SG_SG_EEES9_SI_JZNS1_25segmented_radix_sort_implINS0_14default_configELb1EPK6__halfPSP_PKlPlN2at6native12_GLOBAL__N_18offset_tEEE10hipError_tPvRmT1_PNSt15iterator_traitsIS13_E10value_typeET2_T3_PNS14_IS19_E10value_typeET4_jRbjT5_S1F_jjP12ihipStream_tbEUljE_ZNSN_ISO_Lb1ESR_SS_SU_SV_SZ_EES10_S11_S12_S13_S17_S18_S19_S1C_S1D_jS1E_jS1F_S1F_jjS1H_bEUljE0_EEES10_S11_S12_S19_S1D_S1F_T6_T7_T9_mT8_S1H_bDpT10_ENKUlT_T0_E_clISt17integral_constantIbLb1EES1V_EEDaS1Q_S1R_EUlS1Q_E_NS1_11comp_targetILNS1_3genE5ELNS1_11target_archE942ELNS1_3gpuE9ELNS1_3repE0EEENS1_30default_config_static_selectorELNS0_4arch9wavefront6targetE0EEEvS13_ ; -- Begin function _ZN7rocprim17ROCPRIM_400000_NS6detail17trampoline_kernelINS0_13select_configILj256ELj13ELNS0_17block_load_methodE3ELS4_3ELS4_3ELNS0_20block_scan_algorithmE0ELj4294967295EEENS1_25partition_config_selectorILNS1_17partition_subalgoE4EjNS0_10empty_typeEbEEZZNS1_14partition_implILS8_4ELb0ES6_15HIP_vector_typeIjLj2EENS0_17counting_iteratorIjlEEPS9_SG_NS0_5tupleIJPjSI_NS0_16reverse_iteratorISI_EEEEENSH_IJSG_SG_SG_EEES9_SI_JZNS1_25segmented_radix_sort_implINS0_14default_configELb1EPK6__halfPSP_PKlPlN2at6native12_GLOBAL__N_18offset_tEEE10hipError_tPvRmT1_PNSt15iterator_traitsIS13_E10value_typeET2_T3_PNS14_IS19_E10value_typeET4_jRbjT5_S1F_jjP12ihipStream_tbEUljE_ZNSN_ISO_Lb1ESR_SS_SU_SV_SZ_EES10_S11_S12_S13_S17_S18_S19_S1C_S1D_jS1E_jS1F_S1F_jjS1H_bEUljE0_EEES10_S11_S12_S19_S1D_S1F_T6_T7_T9_mT8_S1H_bDpT10_ENKUlT_T0_E_clISt17integral_constantIbLb1EES1V_EEDaS1Q_S1R_EUlS1Q_E_NS1_11comp_targetILNS1_3genE5ELNS1_11target_archE942ELNS1_3gpuE9ELNS1_3repE0EEENS1_30default_config_static_selectorELNS0_4arch9wavefront6targetE0EEEvS13_
	.p2align	8
	.type	_ZN7rocprim17ROCPRIM_400000_NS6detail17trampoline_kernelINS0_13select_configILj256ELj13ELNS0_17block_load_methodE3ELS4_3ELS4_3ELNS0_20block_scan_algorithmE0ELj4294967295EEENS1_25partition_config_selectorILNS1_17partition_subalgoE4EjNS0_10empty_typeEbEEZZNS1_14partition_implILS8_4ELb0ES6_15HIP_vector_typeIjLj2EENS0_17counting_iteratorIjlEEPS9_SG_NS0_5tupleIJPjSI_NS0_16reverse_iteratorISI_EEEEENSH_IJSG_SG_SG_EEES9_SI_JZNS1_25segmented_radix_sort_implINS0_14default_configELb1EPK6__halfPSP_PKlPlN2at6native12_GLOBAL__N_18offset_tEEE10hipError_tPvRmT1_PNSt15iterator_traitsIS13_E10value_typeET2_T3_PNS14_IS19_E10value_typeET4_jRbjT5_S1F_jjP12ihipStream_tbEUljE_ZNSN_ISO_Lb1ESR_SS_SU_SV_SZ_EES10_S11_S12_S13_S17_S18_S19_S1C_S1D_jS1E_jS1F_S1F_jjS1H_bEUljE0_EEES10_S11_S12_S19_S1D_S1F_T6_T7_T9_mT8_S1H_bDpT10_ENKUlT_T0_E_clISt17integral_constantIbLb1EES1V_EEDaS1Q_S1R_EUlS1Q_E_NS1_11comp_targetILNS1_3genE5ELNS1_11target_archE942ELNS1_3gpuE9ELNS1_3repE0EEENS1_30default_config_static_selectorELNS0_4arch9wavefront6targetE0EEEvS13_,@function
_ZN7rocprim17ROCPRIM_400000_NS6detail17trampoline_kernelINS0_13select_configILj256ELj13ELNS0_17block_load_methodE3ELS4_3ELS4_3ELNS0_20block_scan_algorithmE0ELj4294967295EEENS1_25partition_config_selectorILNS1_17partition_subalgoE4EjNS0_10empty_typeEbEEZZNS1_14partition_implILS8_4ELb0ES6_15HIP_vector_typeIjLj2EENS0_17counting_iteratorIjlEEPS9_SG_NS0_5tupleIJPjSI_NS0_16reverse_iteratorISI_EEEEENSH_IJSG_SG_SG_EEES9_SI_JZNS1_25segmented_radix_sort_implINS0_14default_configELb1EPK6__halfPSP_PKlPlN2at6native12_GLOBAL__N_18offset_tEEE10hipError_tPvRmT1_PNSt15iterator_traitsIS13_E10value_typeET2_T3_PNS14_IS19_E10value_typeET4_jRbjT5_S1F_jjP12ihipStream_tbEUljE_ZNSN_ISO_Lb1ESR_SS_SU_SV_SZ_EES10_S11_S12_S13_S17_S18_S19_S1C_S1D_jS1E_jS1F_S1F_jjS1H_bEUljE0_EEES10_S11_S12_S19_S1D_S1F_T6_T7_T9_mT8_S1H_bDpT10_ENKUlT_T0_E_clISt17integral_constantIbLb1EES1V_EEDaS1Q_S1R_EUlS1Q_E_NS1_11comp_targetILNS1_3genE5ELNS1_11target_archE942ELNS1_3gpuE9ELNS1_3repE0EEENS1_30default_config_static_selectorELNS0_4arch9wavefront6targetE0EEEvS13_: ; @_ZN7rocprim17ROCPRIM_400000_NS6detail17trampoline_kernelINS0_13select_configILj256ELj13ELNS0_17block_load_methodE3ELS4_3ELS4_3ELNS0_20block_scan_algorithmE0ELj4294967295EEENS1_25partition_config_selectorILNS1_17partition_subalgoE4EjNS0_10empty_typeEbEEZZNS1_14partition_implILS8_4ELb0ES6_15HIP_vector_typeIjLj2EENS0_17counting_iteratorIjlEEPS9_SG_NS0_5tupleIJPjSI_NS0_16reverse_iteratorISI_EEEEENSH_IJSG_SG_SG_EEES9_SI_JZNS1_25segmented_radix_sort_implINS0_14default_configELb1EPK6__halfPSP_PKlPlN2at6native12_GLOBAL__N_18offset_tEEE10hipError_tPvRmT1_PNSt15iterator_traitsIS13_E10value_typeET2_T3_PNS14_IS19_E10value_typeET4_jRbjT5_S1F_jjP12ihipStream_tbEUljE_ZNSN_ISO_Lb1ESR_SS_SU_SV_SZ_EES10_S11_S12_S13_S17_S18_S19_S1C_S1D_jS1E_jS1F_S1F_jjS1H_bEUljE0_EEES10_S11_S12_S19_S1D_S1F_T6_T7_T9_mT8_S1H_bDpT10_ENKUlT_T0_E_clISt17integral_constantIbLb1EES1V_EEDaS1Q_S1R_EUlS1Q_E_NS1_11comp_targetILNS1_3genE5ELNS1_11target_archE942ELNS1_3gpuE9ELNS1_3repE0EEENS1_30default_config_static_selectorELNS0_4arch9wavefront6targetE0EEEvS13_
; %bb.0:
	.section	.rodata,"a",@progbits
	.p2align	6, 0x0
	.amdhsa_kernel _ZN7rocprim17ROCPRIM_400000_NS6detail17trampoline_kernelINS0_13select_configILj256ELj13ELNS0_17block_load_methodE3ELS4_3ELS4_3ELNS0_20block_scan_algorithmE0ELj4294967295EEENS1_25partition_config_selectorILNS1_17partition_subalgoE4EjNS0_10empty_typeEbEEZZNS1_14partition_implILS8_4ELb0ES6_15HIP_vector_typeIjLj2EENS0_17counting_iteratorIjlEEPS9_SG_NS0_5tupleIJPjSI_NS0_16reverse_iteratorISI_EEEEENSH_IJSG_SG_SG_EEES9_SI_JZNS1_25segmented_radix_sort_implINS0_14default_configELb1EPK6__halfPSP_PKlPlN2at6native12_GLOBAL__N_18offset_tEEE10hipError_tPvRmT1_PNSt15iterator_traitsIS13_E10value_typeET2_T3_PNS14_IS19_E10value_typeET4_jRbjT5_S1F_jjP12ihipStream_tbEUljE_ZNSN_ISO_Lb1ESR_SS_SU_SV_SZ_EES10_S11_S12_S13_S17_S18_S19_S1C_S1D_jS1E_jS1F_S1F_jjS1H_bEUljE0_EEES10_S11_S12_S19_S1D_S1F_T6_T7_T9_mT8_S1H_bDpT10_ENKUlT_T0_E_clISt17integral_constantIbLb1EES1V_EEDaS1Q_S1R_EUlS1Q_E_NS1_11comp_targetILNS1_3genE5ELNS1_11target_archE942ELNS1_3gpuE9ELNS1_3repE0EEENS1_30default_config_static_selectorELNS0_4arch9wavefront6targetE0EEEvS13_
		.amdhsa_group_segment_fixed_size 0
		.amdhsa_private_segment_fixed_size 0
		.amdhsa_kernarg_size 184
		.amdhsa_user_sgpr_count 2
		.amdhsa_user_sgpr_dispatch_ptr 0
		.amdhsa_user_sgpr_queue_ptr 0
		.amdhsa_user_sgpr_kernarg_segment_ptr 1
		.amdhsa_user_sgpr_dispatch_id 0
		.amdhsa_user_sgpr_private_segment_size 0
		.amdhsa_wavefront_size32 1
		.amdhsa_uses_dynamic_stack 0
		.amdhsa_enable_private_segment 0
		.amdhsa_system_sgpr_workgroup_id_x 1
		.amdhsa_system_sgpr_workgroup_id_y 0
		.amdhsa_system_sgpr_workgroup_id_z 0
		.amdhsa_system_sgpr_workgroup_info 0
		.amdhsa_system_vgpr_workitem_id 0
		.amdhsa_next_free_vgpr 1
		.amdhsa_next_free_sgpr 1
		.amdhsa_reserve_vcc 0
		.amdhsa_float_round_mode_32 0
		.amdhsa_float_round_mode_16_64 0
		.amdhsa_float_denorm_mode_32 3
		.amdhsa_float_denorm_mode_16_64 3
		.amdhsa_fp16_overflow 0
		.amdhsa_workgroup_processor_mode 1
		.amdhsa_memory_ordered 1
		.amdhsa_forward_progress 1
		.amdhsa_inst_pref_size 0
		.amdhsa_round_robin_scheduling 0
		.amdhsa_exception_fp_ieee_invalid_op 0
		.amdhsa_exception_fp_denorm_src 0
		.amdhsa_exception_fp_ieee_div_zero 0
		.amdhsa_exception_fp_ieee_overflow 0
		.amdhsa_exception_fp_ieee_underflow 0
		.amdhsa_exception_fp_ieee_inexact 0
		.amdhsa_exception_int_div_zero 0
	.end_amdhsa_kernel
	.section	.text._ZN7rocprim17ROCPRIM_400000_NS6detail17trampoline_kernelINS0_13select_configILj256ELj13ELNS0_17block_load_methodE3ELS4_3ELS4_3ELNS0_20block_scan_algorithmE0ELj4294967295EEENS1_25partition_config_selectorILNS1_17partition_subalgoE4EjNS0_10empty_typeEbEEZZNS1_14partition_implILS8_4ELb0ES6_15HIP_vector_typeIjLj2EENS0_17counting_iteratorIjlEEPS9_SG_NS0_5tupleIJPjSI_NS0_16reverse_iteratorISI_EEEEENSH_IJSG_SG_SG_EEES9_SI_JZNS1_25segmented_radix_sort_implINS0_14default_configELb1EPK6__halfPSP_PKlPlN2at6native12_GLOBAL__N_18offset_tEEE10hipError_tPvRmT1_PNSt15iterator_traitsIS13_E10value_typeET2_T3_PNS14_IS19_E10value_typeET4_jRbjT5_S1F_jjP12ihipStream_tbEUljE_ZNSN_ISO_Lb1ESR_SS_SU_SV_SZ_EES10_S11_S12_S13_S17_S18_S19_S1C_S1D_jS1E_jS1F_S1F_jjS1H_bEUljE0_EEES10_S11_S12_S19_S1D_S1F_T6_T7_T9_mT8_S1H_bDpT10_ENKUlT_T0_E_clISt17integral_constantIbLb1EES1V_EEDaS1Q_S1R_EUlS1Q_E_NS1_11comp_targetILNS1_3genE5ELNS1_11target_archE942ELNS1_3gpuE9ELNS1_3repE0EEENS1_30default_config_static_selectorELNS0_4arch9wavefront6targetE0EEEvS13_,"axG",@progbits,_ZN7rocprim17ROCPRIM_400000_NS6detail17trampoline_kernelINS0_13select_configILj256ELj13ELNS0_17block_load_methodE3ELS4_3ELS4_3ELNS0_20block_scan_algorithmE0ELj4294967295EEENS1_25partition_config_selectorILNS1_17partition_subalgoE4EjNS0_10empty_typeEbEEZZNS1_14partition_implILS8_4ELb0ES6_15HIP_vector_typeIjLj2EENS0_17counting_iteratorIjlEEPS9_SG_NS0_5tupleIJPjSI_NS0_16reverse_iteratorISI_EEEEENSH_IJSG_SG_SG_EEES9_SI_JZNS1_25segmented_radix_sort_implINS0_14default_configELb1EPK6__halfPSP_PKlPlN2at6native12_GLOBAL__N_18offset_tEEE10hipError_tPvRmT1_PNSt15iterator_traitsIS13_E10value_typeET2_T3_PNS14_IS19_E10value_typeET4_jRbjT5_S1F_jjP12ihipStream_tbEUljE_ZNSN_ISO_Lb1ESR_SS_SU_SV_SZ_EES10_S11_S12_S13_S17_S18_S19_S1C_S1D_jS1E_jS1F_S1F_jjS1H_bEUljE0_EEES10_S11_S12_S19_S1D_S1F_T6_T7_T9_mT8_S1H_bDpT10_ENKUlT_T0_E_clISt17integral_constantIbLb1EES1V_EEDaS1Q_S1R_EUlS1Q_E_NS1_11comp_targetILNS1_3genE5ELNS1_11target_archE942ELNS1_3gpuE9ELNS1_3repE0EEENS1_30default_config_static_selectorELNS0_4arch9wavefront6targetE0EEEvS13_,comdat
.Lfunc_end1684:
	.size	_ZN7rocprim17ROCPRIM_400000_NS6detail17trampoline_kernelINS0_13select_configILj256ELj13ELNS0_17block_load_methodE3ELS4_3ELS4_3ELNS0_20block_scan_algorithmE0ELj4294967295EEENS1_25partition_config_selectorILNS1_17partition_subalgoE4EjNS0_10empty_typeEbEEZZNS1_14partition_implILS8_4ELb0ES6_15HIP_vector_typeIjLj2EENS0_17counting_iteratorIjlEEPS9_SG_NS0_5tupleIJPjSI_NS0_16reverse_iteratorISI_EEEEENSH_IJSG_SG_SG_EEES9_SI_JZNS1_25segmented_radix_sort_implINS0_14default_configELb1EPK6__halfPSP_PKlPlN2at6native12_GLOBAL__N_18offset_tEEE10hipError_tPvRmT1_PNSt15iterator_traitsIS13_E10value_typeET2_T3_PNS14_IS19_E10value_typeET4_jRbjT5_S1F_jjP12ihipStream_tbEUljE_ZNSN_ISO_Lb1ESR_SS_SU_SV_SZ_EES10_S11_S12_S13_S17_S18_S19_S1C_S1D_jS1E_jS1F_S1F_jjS1H_bEUljE0_EEES10_S11_S12_S19_S1D_S1F_T6_T7_T9_mT8_S1H_bDpT10_ENKUlT_T0_E_clISt17integral_constantIbLb1EES1V_EEDaS1Q_S1R_EUlS1Q_E_NS1_11comp_targetILNS1_3genE5ELNS1_11target_archE942ELNS1_3gpuE9ELNS1_3repE0EEENS1_30default_config_static_selectorELNS0_4arch9wavefront6targetE0EEEvS13_, .Lfunc_end1684-_ZN7rocprim17ROCPRIM_400000_NS6detail17trampoline_kernelINS0_13select_configILj256ELj13ELNS0_17block_load_methodE3ELS4_3ELS4_3ELNS0_20block_scan_algorithmE0ELj4294967295EEENS1_25partition_config_selectorILNS1_17partition_subalgoE4EjNS0_10empty_typeEbEEZZNS1_14partition_implILS8_4ELb0ES6_15HIP_vector_typeIjLj2EENS0_17counting_iteratorIjlEEPS9_SG_NS0_5tupleIJPjSI_NS0_16reverse_iteratorISI_EEEEENSH_IJSG_SG_SG_EEES9_SI_JZNS1_25segmented_radix_sort_implINS0_14default_configELb1EPK6__halfPSP_PKlPlN2at6native12_GLOBAL__N_18offset_tEEE10hipError_tPvRmT1_PNSt15iterator_traitsIS13_E10value_typeET2_T3_PNS14_IS19_E10value_typeET4_jRbjT5_S1F_jjP12ihipStream_tbEUljE_ZNSN_ISO_Lb1ESR_SS_SU_SV_SZ_EES10_S11_S12_S13_S17_S18_S19_S1C_S1D_jS1E_jS1F_S1F_jjS1H_bEUljE0_EEES10_S11_S12_S19_S1D_S1F_T6_T7_T9_mT8_S1H_bDpT10_ENKUlT_T0_E_clISt17integral_constantIbLb1EES1V_EEDaS1Q_S1R_EUlS1Q_E_NS1_11comp_targetILNS1_3genE5ELNS1_11target_archE942ELNS1_3gpuE9ELNS1_3repE0EEENS1_30default_config_static_selectorELNS0_4arch9wavefront6targetE0EEEvS13_
                                        ; -- End function
	.set _ZN7rocprim17ROCPRIM_400000_NS6detail17trampoline_kernelINS0_13select_configILj256ELj13ELNS0_17block_load_methodE3ELS4_3ELS4_3ELNS0_20block_scan_algorithmE0ELj4294967295EEENS1_25partition_config_selectorILNS1_17partition_subalgoE4EjNS0_10empty_typeEbEEZZNS1_14partition_implILS8_4ELb0ES6_15HIP_vector_typeIjLj2EENS0_17counting_iteratorIjlEEPS9_SG_NS0_5tupleIJPjSI_NS0_16reverse_iteratorISI_EEEEENSH_IJSG_SG_SG_EEES9_SI_JZNS1_25segmented_radix_sort_implINS0_14default_configELb1EPK6__halfPSP_PKlPlN2at6native12_GLOBAL__N_18offset_tEEE10hipError_tPvRmT1_PNSt15iterator_traitsIS13_E10value_typeET2_T3_PNS14_IS19_E10value_typeET4_jRbjT5_S1F_jjP12ihipStream_tbEUljE_ZNSN_ISO_Lb1ESR_SS_SU_SV_SZ_EES10_S11_S12_S13_S17_S18_S19_S1C_S1D_jS1E_jS1F_S1F_jjS1H_bEUljE0_EEES10_S11_S12_S19_S1D_S1F_T6_T7_T9_mT8_S1H_bDpT10_ENKUlT_T0_E_clISt17integral_constantIbLb1EES1V_EEDaS1Q_S1R_EUlS1Q_E_NS1_11comp_targetILNS1_3genE5ELNS1_11target_archE942ELNS1_3gpuE9ELNS1_3repE0EEENS1_30default_config_static_selectorELNS0_4arch9wavefront6targetE0EEEvS13_.num_vgpr, 0
	.set _ZN7rocprim17ROCPRIM_400000_NS6detail17trampoline_kernelINS0_13select_configILj256ELj13ELNS0_17block_load_methodE3ELS4_3ELS4_3ELNS0_20block_scan_algorithmE0ELj4294967295EEENS1_25partition_config_selectorILNS1_17partition_subalgoE4EjNS0_10empty_typeEbEEZZNS1_14partition_implILS8_4ELb0ES6_15HIP_vector_typeIjLj2EENS0_17counting_iteratorIjlEEPS9_SG_NS0_5tupleIJPjSI_NS0_16reverse_iteratorISI_EEEEENSH_IJSG_SG_SG_EEES9_SI_JZNS1_25segmented_radix_sort_implINS0_14default_configELb1EPK6__halfPSP_PKlPlN2at6native12_GLOBAL__N_18offset_tEEE10hipError_tPvRmT1_PNSt15iterator_traitsIS13_E10value_typeET2_T3_PNS14_IS19_E10value_typeET4_jRbjT5_S1F_jjP12ihipStream_tbEUljE_ZNSN_ISO_Lb1ESR_SS_SU_SV_SZ_EES10_S11_S12_S13_S17_S18_S19_S1C_S1D_jS1E_jS1F_S1F_jjS1H_bEUljE0_EEES10_S11_S12_S19_S1D_S1F_T6_T7_T9_mT8_S1H_bDpT10_ENKUlT_T0_E_clISt17integral_constantIbLb1EES1V_EEDaS1Q_S1R_EUlS1Q_E_NS1_11comp_targetILNS1_3genE5ELNS1_11target_archE942ELNS1_3gpuE9ELNS1_3repE0EEENS1_30default_config_static_selectorELNS0_4arch9wavefront6targetE0EEEvS13_.num_agpr, 0
	.set _ZN7rocprim17ROCPRIM_400000_NS6detail17trampoline_kernelINS0_13select_configILj256ELj13ELNS0_17block_load_methodE3ELS4_3ELS4_3ELNS0_20block_scan_algorithmE0ELj4294967295EEENS1_25partition_config_selectorILNS1_17partition_subalgoE4EjNS0_10empty_typeEbEEZZNS1_14partition_implILS8_4ELb0ES6_15HIP_vector_typeIjLj2EENS0_17counting_iteratorIjlEEPS9_SG_NS0_5tupleIJPjSI_NS0_16reverse_iteratorISI_EEEEENSH_IJSG_SG_SG_EEES9_SI_JZNS1_25segmented_radix_sort_implINS0_14default_configELb1EPK6__halfPSP_PKlPlN2at6native12_GLOBAL__N_18offset_tEEE10hipError_tPvRmT1_PNSt15iterator_traitsIS13_E10value_typeET2_T3_PNS14_IS19_E10value_typeET4_jRbjT5_S1F_jjP12ihipStream_tbEUljE_ZNSN_ISO_Lb1ESR_SS_SU_SV_SZ_EES10_S11_S12_S13_S17_S18_S19_S1C_S1D_jS1E_jS1F_S1F_jjS1H_bEUljE0_EEES10_S11_S12_S19_S1D_S1F_T6_T7_T9_mT8_S1H_bDpT10_ENKUlT_T0_E_clISt17integral_constantIbLb1EES1V_EEDaS1Q_S1R_EUlS1Q_E_NS1_11comp_targetILNS1_3genE5ELNS1_11target_archE942ELNS1_3gpuE9ELNS1_3repE0EEENS1_30default_config_static_selectorELNS0_4arch9wavefront6targetE0EEEvS13_.numbered_sgpr, 0
	.set _ZN7rocprim17ROCPRIM_400000_NS6detail17trampoline_kernelINS0_13select_configILj256ELj13ELNS0_17block_load_methodE3ELS4_3ELS4_3ELNS0_20block_scan_algorithmE0ELj4294967295EEENS1_25partition_config_selectorILNS1_17partition_subalgoE4EjNS0_10empty_typeEbEEZZNS1_14partition_implILS8_4ELb0ES6_15HIP_vector_typeIjLj2EENS0_17counting_iteratorIjlEEPS9_SG_NS0_5tupleIJPjSI_NS0_16reverse_iteratorISI_EEEEENSH_IJSG_SG_SG_EEES9_SI_JZNS1_25segmented_radix_sort_implINS0_14default_configELb1EPK6__halfPSP_PKlPlN2at6native12_GLOBAL__N_18offset_tEEE10hipError_tPvRmT1_PNSt15iterator_traitsIS13_E10value_typeET2_T3_PNS14_IS19_E10value_typeET4_jRbjT5_S1F_jjP12ihipStream_tbEUljE_ZNSN_ISO_Lb1ESR_SS_SU_SV_SZ_EES10_S11_S12_S13_S17_S18_S19_S1C_S1D_jS1E_jS1F_S1F_jjS1H_bEUljE0_EEES10_S11_S12_S19_S1D_S1F_T6_T7_T9_mT8_S1H_bDpT10_ENKUlT_T0_E_clISt17integral_constantIbLb1EES1V_EEDaS1Q_S1R_EUlS1Q_E_NS1_11comp_targetILNS1_3genE5ELNS1_11target_archE942ELNS1_3gpuE9ELNS1_3repE0EEENS1_30default_config_static_selectorELNS0_4arch9wavefront6targetE0EEEvS13_.num_named_barrier, 0
	.set _ZN7rocprim17ROCPRIM_400000_NS6detail17trampoline_kernelINS0_13select_configILj256ELj13ELNS0_17block_load_methodE3ELS4_3ELS4_3ELNS0_20block_scan_algorithmE0ELj4294967295EEENS1_25partition_config_selectorILNS1_17partition_subalgoE4EjNS0_10empty_typeEbEEZZNS1_14partition_implILS8_4ELb0ES6_15HIP_vector_typeIjLj2EENS0_17counting_iteratorIjlEEPS9_SG_NS0_5tupleIJPjSI_NS0_16reverse_iteratorISI_EEEEENSH_IJSG_SG_SG_EEES9_SI_JZNS1_25segmented_radix_sort_implINS0_14default_configELb1EPK6__halfPSP_PKlPlN2at6native12_GLOBAL__N_18offset_tEEE10hipError_tPvRmT1_PNSt15iterator_traitsIS13_E10value_typeET2_T3_PNS14_IS19_E10value_typeET4_jRbjT5_S1F_jjP12ihipStream_tbEUljE_ZNSN_ISO_Lb1ESR_SS_SU_SV_SZ_EES10_S11_S12_S13_S17_S18_S19_S1C_S1D_jS1E_jS1F_S1F_jjS1H_bEUljE0_EEES10_S11_S12_S19_S1D_S1F_T6_T7_T9_mT8_S1H_bDpT10_ENKUlT_T0_E_clISt17integral_constantIbLb1EES1V_EEDaS1Q_S1R_EUlS1Q_E_NS1_11comp_targetILNS1_3genE5ELNS1_11target_archE942ELNS1_3gpuE9ELNS1_3repE0EEENS1_30default_config_static_selectorELNS0_4arch9wavefront6targetE0EEEvS13_.private_seg_size, 0
	.set _ZN7rocprim17ROCPRIM_400000_NS6detail17trampoline_kernelINS0_13select_configILj256ELj13ELNS0_17block_load_methodE3ELS4_3ELS4_3ELNS0_20block_scan_algorithmE0ELj4294967295EEENS1_25partition_config_selectorILNS1_17partition_subalgoE4EjNS0_10empty_typeEbEEZZNS1_14partition_implILS8_4ELb0ES6_15HIP_vector_typeIjLj2EENS0_17counting_iteratorIjlEEPS9_SG_NS0_5tupleIJPjSI_NS0_16reverse_iteratorISI_EEEEENSH_IJSG_SG_SG_EEES9_SI_JZNS1_25segmented_radix_sort_implINS0_14default_configELb1EPK6__halfPSP_PKlPlN2at6native12_GLOBAL__N_18offset_tEEE10hipError_tPvRmT1_PNSt15iterator_traitsIS13_E10value_typeET2_T3_PNS14_IS19_E10value_typeET4_jRbjT5_S1F_jjP12ihipStream_tbEUljE_ZNSN_ISO_Lb1ESR_SS_SU_SV_SZ_EES10_S11_S12_S13_S17_S18_S19_S1C_S1D_jS1E_jS1F_S1F_jjS1H_bEUljE0_EEES10_S11_S12_S19_S1D_S1F_T6_T7_T9_mT8_S1H_bDpT10_ENKUlT_T0_E_clISt17integral_constantIbLb1EES1V_EEDaS1Q_S1R_EUlS1Q_E_NS1_11comp_targetILNS1_3genE5ELNS1_11target_archE942ELNS1_3gpuE9ELNS1_3repE0EEENS1_30default_config_static_selectorELNS0_4arch9wavefront6targetE0EEEvS13_.uses_vcc, 0
	.set _ZN7rocprim17ROCPRIM_400000_NS6detail17trampoline_kernelINS0_13select_configILj256ELj13ELNS0_17block_load_methodE3ELS4_3ELS4_3ELNS0_20block_scan_algorithmE0ELj4294967295EEENS1_25partition_config_selectorILNS1_17partition_subalgoE4EjNS0_10empty_typeEbEEZZNS1_14partition_implILS8_4ELb0ES6_15HIP_vector_typeIjLj2EENS0_17counting_iteratorIjlEEPS9_SG_NS0_5tupleIJPjSI_NS0_16reverse_iteratorISI_EEEEENSH_IJSG_SG_SG_EEES9_SI_JZNS1_25segmented_radix_sort_implINS0_14default_configELb1EPK6__halfPSP_PKlPlN2at6native12_GLOBAL__N_18offset_tEEE10hipError_tPvRmT1_PNSt15iterator_traitsIS13_E10value_typeET2_T3_PNS14_IS19_E10value_typeET4_jRbjT5_S1F_jjP12ihipStream_tbEUljE_ZNSN_ISO_Lb1ESR_SS_SU_SV_SZ_EES10_S11_S12_S13_S17_S18_S19_S1C_S1D_jS1E_jS1F_S1F_jjS1H_bEUljE0_EEES10_S11_S12_S19_S1D_S1F_T6_T7_T9_mT8_S1H_bDpT10_ENKUlT_T0_E_clISt17integral_constantIbLb1EES1V_EEDaS1Q_S1R_EUlS1Q_E_NS1_11comp_targetILNS1_3genE5ELNS1_11target_archE942ELNS1_3gpuE9ELNS1_3repE0EEENS1_30default_config_static_selectorELNS0_4arch9wavefront6targetE0EEEvS13_.uses_flat_scratch, 0
	.set _ZN7rocprim17ROCPRIM_400000_NS6detail17trampoline_kernelINS0_13select_configILj256ELj13ELNS0_17block_load_methodE3ELS4_3ELS4_3ELNS0_20block_scan_algorithmE0ELj4294967295EEENS1_25partition_config_selectorILNS1_17partition_subalgoE4EjNS0_10empty_typeEbEEZZNS1_14partition_implILS8_4ELb0ES6_15HIP_vector_typeIjLj2EENS0_17counting_iteratorIjlEEPS9_SG_NS0_5tupleIJPjSI_NS0_16reverse_iteratorISI_EEEEENSH_IJSG_SG_SG_EEES9_SI_JZNS1_25segmented_radix_sort_implINS0_14default_configELb1EPK6__halfPSP_PKlPlN2at6native12_GLOBAL__N_18offset_tEEE10hipError_tPvRmT1_PNSt15iterator_traitsIS13_E10value_typeET2_T3_PNS14_IS19_E10value_typeET4_jRbjT5_S1F_jjP12ihipStream_tbEUljE_ZNSN_ISO_Lb1ESR_SS_SU_SV_SZ_EES10_S11_S12_S13_S17_S18_S19_S1C_S1D_jS1E_jS1F_S1F_jjS1H_bEUljE0_EEES10_S11_S12_S19_S1D_S1F_T6_T7_T9_mT8_S1H_bDpT10_ENKUlT_T0_E_clISt17integral_constantIbLb1EES1V_EEDaS1Q_S1R_EUlS1Q_E_NS1_11comp_targetILNS1_3genE5ELNS1_11target_archE942ELNS1_3gpuE9ELNS1_3repE0EEENS1_30default_config_static_selectorELNS0_4arch9wavefront6targetE0EEEvS13_.has_dyn_sized_stack, 0
	.set _ZN7rocprim17ROCPRIM_400000_NS6detail17trampoline_kernelINS0_13select_configILj256ELj13ELNS0_17block_load_methodE3ELS4_3ELS4_3ELNS0_20block_scan_algorithmE0ELj4294967295EEENS1_25partition_config_selectorILNS1_17partition_subalgoE4EjNS0_10empty_typeEbEEZZNS1_14partition_implILS8_4ELb0ES6_15HIP_vector_typeIjLj2EENS0_17counting_iteratorIjlEEPS9_SG_NS0_5tupleIJPjSI_NS0_16reverse_iteratorISI_EEEEENSH_IJSG_SG_SG_EEES9_SI_JZNS1_25segmented_radix_sort_implINS0_14default_configELb1EPK6__halfPSP_PKlPlN2at6native12_GLOBAL__N_18offset_tEEE10hipError_tPvRmT1_PNSt15iterator_traitsIS13_E10value_typeET2_T3_PNS14_IS19_E10value_typeET4_jRbjT5_S1F_jjP12ihipStream_tbEUljE_ZNSN_ISO_Lb1ESR_SS_SU_SV_SZ_EES10_S11_S12_S13_S17_S18_S19_S1C_S1D_jS1E_jS1F_S1F_jjS1H_bEUljE0_EEES10_S11_S12_S19_S1D_S1F_T6_T7_T9_mT8_S1H_bDpT10_ENKUlT_T0_E_clISt17integral_constantIbLb1EES1V_EEDaS1Q_S1R_EUlS1Q_E_NS1_11comp_targetILNS1_3genE5ELNS1_11target_archE942ELNS1_3gpuE9ELNS1_3repE0EEENS1_30default_config_static_selectorELNS0_4arch9wavefront6targetE0EEEvS13_.has_recursion, 0
	.set _ZN7rocprim17ROCPRIM_400000_NS6detail17trampoline_kernelINS0_13select_configILj256ELj13ELNS0_17block_load_methodE3ELS4_3ELS4_3ELNS0_20block_scan_algorithmE0ELj4294967295EEENS1_25partition_config_selectorILNS1_17partition_subalgoE4EjNS0_10empty_typeEbEEZZNS1_14partition_implILS8_4ELb0ES6_15HIP_vector_typeIjLj2EENS0_17counting_iteratorIjlEEPS9_SG_NS0_5tupleIJPjSI_NS0_16reverse_iteratorISI_EEEEENSH_IJSG_SG_SG_EEES9_SI_JZNS1_25segmented_radix_sort_implINS0_14default_configELb1EPK6__halfPSP_PKlPlN2at6native12_GLOBAL__N_18offset_tEEE10hipError_tPvRmT1_PNSt15iterator_traitsIS13_E10value_typeET2_T3_PNS14_IS19_E10value_typeET4_jRbjT5_S1F_jjP12ihipStream_tbEUljE_ZNSN_ISO_Lb1ESR_SS_SU_SV_SZ_EES10_S11_S12_S13_S17_S18_S19_S1C_S1D_jS1E_jS1F_S1F_jjS1H_bEUljE0_EEES10_S11_S12_S19_S1D_S1F_T6_T7_T9_mT8_S1H_bDpT10_ENKUlT_T0_E_clISt17integral_constantIbLb1EES1V_EEDaS1Q_S1R_EUlS1Q_E_NS1_11comp_targetILNS1_3genE5ELNS1_11target_archE942ELNS1_3gpuE9ELNS1_3repE0EEENS1_30default_config_static_selectorELNS0_4arch9wavefront6targetE0EEEvS13_.has_indirect_call, 0
	.section	.AMDGPU.csdata,"",@progbits
; Kernel info:
; codeLenInByte = 0
; TotalNumSgprs: 0
; NumVgprs: 0
; ScratchSize: 0
; MemoryBound: 0
; FloatMode: 240
; IeeeMode: 1
; LDSByteSize: 0 bytes/workgroup (compile time only)
; SGPRBlocks: 0
; VGPRBlocks: 0
; NumSGPRsForWavesPerEU: 1
; NumVGPRsForWavesPerEU: 1
; Occupancy: 16
; WaveLimiterHint : 0
; COMPUTE_PGM_RSRC2:SCRATCH_EN: 0
; COMPUTE_PGM_RSRC2:USER_SGPR: 2
; COMPUTE_PGM_RSRC2:TRAP_HANDLER: 0
; COMPUTE_PGM_RSRC2:TGID_X_EN: 1
; COMPUTE_PGM_RSRC2:TGID_Y_EN: 0
; COMPUTE_PGM_RSRC2:TGID_Z_EN: 0
; COMPUTE_PGM_RSRC2:TIDIG_COMP_CNT: 0
	.section	.text._ZN7rocprim17ROCPRIM_400000_NS6detail17trampoline_kernelINS0_13select_configILj256ELj13ELNS0_17block_load_methodE3ELS4_3ELS4_3ELNS0_20block_scan_algorithmE0ELj4294967295EEENS1_25partition_config_selectorILNS1_17partition_subalgoE4EjNS0_10empty_typeEbEEZZNS1_14partition_implILS8_4ELb0ES6_15HIP_vector_typeIjLj2EENS0_17counting_iteratorIjlEEPS9_SG_NS0_5tupleIJPjSI_NS0_16reverse_iteratorISI_EEEEENSH_IJSG_SG_SG_EEES9_SI_JZNS1_25segmented_radix_sort_implINS0_14default_configELb1EPK6__halfPSP_PKlPlN2at6native12_GLOBAL__N_18offset_tEEE10hipError_tPvRmT1_PNSt15iterator_traitsIS13_E10value_typeET2_T3_PNS14_IS19_E10value_typeET4_jRbjT5_S1F_jjP12ihipStream_tbEUljE_ZNSN_ISO_Lb1ESR_SS_SU_SV_SZ_EES10_S11_S12_S13_S17_S18_S19_S1C_S1D_jS1E_jS1F_S1F_jjS1H_bEUljE0_EEES10_S11_S12_S19_S1D_S1F_T6_T7_T9_mT8_S1H_bDpT10_ENKUlT_T0_E_clISt17integral_constantIbLb1EES1V_EEDaS1Q_S1R_EUlS1Q_E_NS1_11comp_targetILNS1_3genE4ELNS1_11target_archE910ELNS1_3gpuE8ELNS1_3repE0EEENS1_30default_config_static_selectorELNS0_4arch9wavefront6targetE0EEEvS13_,"axG",@progbits,_ZN7rocprim17ROCPRIM_400000_NS6detail17trampoline_kernelINS0_13select_configILj256ELj13ELNS0_17block_load_methodE3ELS4_3ELS4_3ELNS0_20block_scan_algorithmE0ELj4294967295EEENS1_25partition_config_selectorILNS1_17partition_subalgoE4EjNS0_10empty_typeEbEEZZNS1_14partition_implILS8_4ELb0ES6_15HIP_vector_typeIjLj2EENS0_17counting_iteratorIjlEEPS9_SG_NS0_5tupleIJPjSI_NS0_16reverse_iteratorISI_EEEEENSH_IJSG_SG_SG_EEES9_SI_JZNS1_25segmented_radix_sort_implINS0_14default_configELb1EPK6__halfPSP_PKlPlN2at6native12_GLOBAL__N_18offset_tEEE10hipError_tPvRmT1_PNSt15iterator_traitsIS13_E10value_typeET2_T3_PNS14_IS19_E10value_typeET4_jRbjT5_S1F_jjP12ihipStream_tbEUljE_ZNSN_ISO_Lb1ESR_SS_SU_SV_SZ_EES10_S11_S12_S13_S17_S18_S19_S1C_S1D_jS1E_jS1F_S1F_jjS1H_bEUljE0_EEES10_S11_S12_S19_S1D_S1F_T6_T7_T9_mT8_S1H_bDpT10_ENKUlT_T0_E_clISt17integral_constantIbLb1EES1V_EEDaS1Q_S1R_EUlS1Q_E_NS1_11comp_targetILNS1_3genE4ELNS1_11target_archE910ELNS1_3gpuE8ELNS1_3repE0EEENS1_30default_config_static_selectorELNS0_4arch9wavefront6targetE0EEEvS13_,comdat
	.globl	_ZN7rocprim17ROCPRIM_400000_NS6detail17trampoline_kernelINS0_13select_configILj256ELj13ELNS0_17block_load_methodE3ELS4_3ELS4_3ELNS0_20block_scan_algorithmE0ELj4294967295EEENS1_25partition_config_selectorILNS1_17partition_subalgoE4EjNS0_10empty_typeEbEEZZNS1_14partition_implILS8_4ELb0ES6_15HIP_vector_typeIjLj2EENS0_17counting_iteratorIjlEEPS9_SG_NS0_5tupleIJPjSI_NS0_16reverse_iteratorISI_EEEEENSH_IJSG_SG_SG_EEES9_SI_JZNS1_25segmented_radix_sort_implINS0_14default_configELb1EPK6__halfPSP_PKlPlN2at6native12_GLOBAL__N_18offset_tEEE10hipError_tPvRmT1_PNSt15iterator_traitsIS13_E10value_typeET2_T3_PNS14_IS19_E10value_typeET4_jRbjT5_S1F_jjP12ihipStream_tbEUljE_ZNSN_ISO_Lb1ESR_SS_SU_SV_SZ_EES10_S11_S12_S13_S17_S18_S19_S1C_S1D_jS1E_jS1F_S1F_jjS1H_bEUljE0_EEES10_S11_S12_S19_S1D_S1F_T6_T7_T9_mT8_S1H_bDpT10_ENKUlT_T0_E_clISt17integral_constantIbLb1EES1V_EEDaS1Q_S1R_EUlS1Q_E_NS1_11comp_targetILNS1_3genE4ELNS1_11target_archE910ELNS1_3gpuE8ELNS1_3repE0EEENS1_30default_config_static_selectorELNS0_4arch9wavefront6targetE0EEEvS13_ ; -- Begin function _ZN7rocprim17ROCPRIM_400000_NS6detail17trampoline_kernelINS0_13select_configILj256ELj13ELNS0_17block_load_methodE3ELS4_3ELS4_3ELNS0_20block_scan_algorithmE0ELj4294967295EEENS1_25partition_config_selectorILNS1_17partition_subalgoE4EjNS0_10empty_typeEbEEZZNS1_14partition_implILS8_4ELb0ES6_15HIP_vector_typeIjLj2EENS0_17counting_iteratorIjlEEPS9_SG_NS0_5tupleIJPjSI_NS0_16reverse_iteratorISI_EEEEENSH_IJSG_SG_SG_EEES9_SI_JZNS1_25segmented_radix_sort_implINS0_14default_configELb1EPK6__halfPSP_PKlPlN2at6native12_GLOBAL__N_18offset_tEEE10hipError_tPvRmT1_PNSt15iterator_traitsIS13_E10value_typeET2_T3_PNS14_IS19_E10value_typeET4_jRbjT5_S1F_jjP12ihipStream_tbEUljE_ZNSN_ISO_Lb1ESR_SS_SU_SV_SZ_EES10_S11_S12_S13_S17_S18_S19_S1C_S1D_jS1E_jS1F_S1F_jjS1H_bEUljE0_EEES10_S11_S12_S19_S1D_S1F_T6_T7_T9_mT8_S1H_bDpT10_ENKUlT_T0_E_clISt17integral_constantIbLb1EES1V_EEDaS1Q_S1R_EUlS1Q_E_NS1_11comp_targetILNS1_3genE4ELNS1_11target_archE910ELNS1_3gpuE8ELNS1_3repE0EEENS1_30default_config_static_selectorELNS0_4arch9wavefront6targetE0EEEvS13_
	.p2align	8
	.type	_ZN7rocprim17ROCPRIM_400000_NS6detail17trampoline_kernelINS0_13select_configILj256ELj13ELNS0_17block_load_methodE3ELS4_3ELS4_3ELNS0_20block_scan_algorithmE0ELj4294967295EEENS1_25partition_config_selectorILNS1_17partition_subalgoE4EjNS0_10empty_typeEbEEZZNS1_14partition_implILS8_4ELb0ES6_15HIP_vector_typeIjLj2EENS0_17counting_iteratorIjlEEPS9_SG_NS0_5tupleIJPjSI_NS0_16reverse_iteratorISI_EEEEENSH_IJSG_SG_SG_EEES9_SI_JZNS1_25segmented_radix_sort_implINS0_14default_configELb1EPK6__halfPSP_PKlPlN2at6native12_GLOBAL__N_18offset_tEEE10hipError_tPvRmT1_PNSt15iterator_traitsIS13_E10value_typeET2_T3_PNS14_IS19_E10value_typeET4_jRbjT5_S1F_jjP12ihipStream_tbEUljE_ZNSN_ISO_Lb1ESR_SS_SU_SV_SZ_EES10_S11_S12_S13_S17_S18_S19_S1C_S1D_jS1E_jS1F_S1F_jjS1H_bEUljE0_EEES10_S11_S12_S19_S1D_S1F_T6_T7_T9_mT8_S1H_bDpT10_ENKUlT_T0_E_clISt17integral_constantIbLb1EES1V_EEDaS1Q_S1R_EUlS1Q_E_NS1_11comp_targetILNS1_3genE4ELNS1_11target_archE910ELNS1_3gpuE8ELNS1_3repE0EEENS1_30default_config_static_selectorELNS0_4arch9wavefront6targetE0EEEvS13_,@function
_ZN7rocprim17ROCPRIM_400000_NS6detail17trampoline_kernelINS0_13select_configILj256ELj13ELNS0_17block_load_methodE3ELS4_3ELS4_3ELNS0_20block_scan_algorithmE0ELj4294967295EEENS1_25partition_config_selectorILNS1_17partition_subalgoE4EjNS0_10empty_typeEbEEZZNS1_14partition_implILS8_4ELb0ES6_15HIP_vector_typeIjLj2EENS0_17counting_iteratorIjlEEPS9_SG_NS0_5tupleIJPjSI_NS0_16reverse_iteratorISI_EEEEENSH_IJSG_SG_SG_EEES9_SI_JZNS1_25segmented_radix_sort_implINS0_14default_configELb1EPK6__halfPSP_PKlPlN2at6native12_GLOBAL__N_18offset_tEEE10hipError_tPvRmT1_PNSt15iterator_traitsIS13_E10value_typeET2_T3_PNS14_IS19_E10value_typeET4_jRbjT5_S1F_jjP12ihipStream_tbEUljE_ZNSN_ISO_Lb1ESR_SS_SU_SV_SZ_EES10_S11_S12_S13_S17_S18_S19_S1C_S1D_jS1E_jS1F_S1F_jjS1H_bEUljE0_EEES10_S11_S12_S19_S1D_S1F_T6_T7_T9_mT8_S1H_bDpT10_ENKUlT_T0_E_clISt17integral_constantIbLb1EES1V_EEDaS1Q_S1R_EUlS1Q_E_NS1_11comp_targetILNS1_3genE4ELNS1_11target_archE910ELNS1_3gpuE8ELNS1_3repE0EEENS1_30default_config_static_selectorELNS0_4arch9wavefront6targetE0EEEvS13_: ; @_ZN7rocprim17ROCPRIM_400000_NS6detail17trampoline_kernelINS0_13select_configILj256ELj13ELNS0_17block_load_methodE3ELS4_3ELS4_3ELNS0_20block_scan_algorithmE0ELj4294967295EEENS1_25partition_config_selectorILNS1_17partition_subalgoE4EjNS0_10empty_typeEbEEZZNS1_14partition_implILS8_4ELb0ES6_15HIP_vector_typeIjLj2EENS0_17counting_iteratorIjlEEPS9_SG_NS0_5tupleIJPjSI_NS0_16reverse_iteratorISI_EEEEENSH_IJSG_SG_SG_EEES9_SI_JZNS1_25segmented_radix_sort_implINS0_14default_configELb1EPK6__halfPSP_PKlPlN2at6native12_GLOBAL__N_18offset_tEEE10hipError_tPvRmT1_PNSt15iterator_traitsIS13_E10value_typeET2_T3_PNS14_IS19_E10value_typeET4_jRbjT5_S1F_jjP12ihipStream_tbEUljE_ZNSN_ISO_Lb1ESR_SS_SU_SV_SZ_EES10_S11_S12_S13_S17_S18_S19_S1C_S1D_jS1E_jS1F_S1F_jjS1H_bEUljE0_EEES10_S11_S12_S19_S1D_S1F_T6_T7_T9_mT8_S1H_bDpT10_ENKUlT_T0_E_clISt17integral_constantIbLb1EES1V_EEDaS1Q_S1R_EUlS1Q_E_NS1_11comp_targetILNS1_3genE4ELNS1_11target_archE910ELNS1_3gpuE8ELNS1_3repE0EEENS1_30default_config_static_selectorELNS0_4arch9wavefront6targetE0EEEvS13_
; %bb.0:
	.section	.rodata,"a",@progbits
	.p2align	6, 0x0
	.amdhsa_kernel _ZN7rocprim17ROCPRIM_400000_NS6detail17trampoline_kernelINS0_13select_configILj256ELj13ELNS0_17block_load_methodE3ELS4_3ELS4_3ELNS0_20block_scan_algorithmE0ELj4294967295EEENS1_25partition_config_selectorILNS1_17partition_subalgoE4EjNS0_10empty_typeEbEEZZNS1_14partition_implILS8_4ELb0ES6_15HIP_vector_typeIjLj2EENS0_17counting_iteratorIjlEEPS9_SG_NS0_5tupleIJPjSI_NS0_16reverse_iteratorISI_EEEEENSH_IJSG_SG_SG_EEES9_SI_JZNS1_25segmented_radix_sort_implINS0_14default_configELb1EPK6__halfPSP_PKlPlN2at6native12_GLOBAL__N_18offset_tEEE10hipError_tPvRmT1_PNSt15iterator_traitsIS13_E10value_typeET2_T3_PNS14_IS19_E10value_typeET4_jRbjT5_S1F_jjP12ihipStream_tbEUljE_ZNSN_ISO_Lb1ESR_SS_SU_SV_SZ_EES10_S11_S12_S13_S17_S18_S19_S1C_S1D_jS1E_jS1F_S1F_jjS1H_bEUljE0_EEES10_S11_S12_S19_S1D_S1F_T6_T7_T9_mT8_S1H_bDpT10_ENKUlT_T0_E_clISt17integral_constantIbLb1EES1V_EEDaS1Q_S1R_EUlS1Q_E_NS1_11comp_targetILNS1_3genE4ELNS1_11target_archE910ELNS1_3gpuE8ELNS1_3repE0EEENS1_30default_config_static_selectorELNS0_4arch9wavefront6targetE0EEEvS13_
		.amdhsa_group_segment_fixed_size 0
		.amdhsa_private_segment_fixed_size 0
		.amdhsa_kernarg_size 184
		.amdhsa_user_sgpr_count 2
		.amdhsa_user_sgpr_dispatch_ptr 0
		.amdhsa_user_sgpr_queue_ptr 0
		.amdhsa_user_sgpr_kernarg_segment_ptr 1
		.amdhsa_user_sgpr_dispatch_id 0
		.amdhsa_user_sgpr_private_segment_size 0
		.amdhsa_wavefront_size32 1
		.amdhsa_uses_dynamic_stack 0
		.amdhsa_enable_private_segment 0
		.amdhsa_system_sgpr_workgroup_id_x 1
		.amdhsa_system_sgpr_workgroup_id_y 0
		.amdhsa_system_sgpr_workgroup_id_z 0
		.amdhsa_system_sgpr_workgroup_info 0
		.amdhsa_system_vgpr_workitem_id 0
		.amdhsa_next_free_vgpr 1
		.amdhsa_next_free_sgpr 1
		.amdhsa_reserve_vcc 0
		.amdhsa_float_round_mode_32 0
		.amdhsa_float_round_mode_16_64 0
		.amdhsa_float_denorm_mode_32 3
		.amdhsa_float_denorm_mode_16_64 3
		.amdhsa_fp16_overflow 0
		.amdhsa_workgroup_processor_mode 1
		.amdhsa_memory_ordered 1
		.amdhsa_forward_progress 1
		.amdhsa_inst_pref_size 0
		.amdhsa_round_robin_scheduling 0
		.amdhsa_exception_fp_ieee_invalid_op 0
		.amdhsa_exception_fp_denorm_src 0
		.amdhsa_exception_fp_ieee_div_zero 0
		.amdhsa_exception_fp_ieee_overflow 0
		.amdhsa_exception_fp_ieee_underflow 0
		.amdhsa_exception_fp_ieee_inexact 0
		.amdhsa_exception_int_div_zero 0
	.end_amdhsa_kernel
	.section	.text._ZN7rocprim17ROCPRIM_400000_NS6detail17trampoline_kernelINS0_13select_configILj256ELj13ELNS0_17block_load_methodE3ELS4_3ELS4_3ELNS0_20block_scan_algorithmE0ELj4294967295EEENS1_25partition_config_selectorILNS1_17partition_subalgoE4EjNS0_10empty_typeEbEEZZNS1_14partition_implILS8_4ELb0ES6_15HIP_vector_typeIjLj2EENS0_17counting_iteratorIjlEEPS9_SG_NS0_5tupleIJPjSI_NS0_16reverse_iteratorISI_EEEEENSH_IJSG_SG_SG_EEES9_SI_JZNS1_25segmented_radix_sort_implINS0_14default_configELb1EPK6__halfPSP_PKlPlN2at6native12_GLOBAL__N_18offset_tEEE10hipError_tPvRmT1_PNSt15iterator_traitsIS13_E10value_typeET2_T3_PNS14_IS19_E10value_typeET4_jRbjT5_S1F_jjP12ihipStream_tbEUljE_ZNSN_ISO_Lb1ESR_SS_SU_SV_SZ_EES10_S11_S12_S13_S17_S18_S19_S1C_S1D_jS1E_jS1F_S1F_jjS1H_bEUljE0_EEES10_S11_S12_S19_S1D_S1F_T6_T7_T9_mT8_S1H_bDpT10_ENKUlT_T0_E_clISt17integral_constantIbLb1EES1V_EEDaS1Q_S1R_EUlS1Q_E_NS1_11comp_targetILNS1_3genE4ELNS1_11target_archE910ELNS1_3gpuE8ELNS1_3repE0EEENS1_30default_config_static_selectorELNS0_4arch9wavefront6targetE0EEEvS13_,"axG",@progbits,_ZN7rocprim17ROCPRIM_400000_NS6detail17trampoline_kernelINS0_13select_configILj256ELj13ELNS0_17block_load_methodE3ELS4_3ELS4_3ELNS0_20block_scan_algorithmE0ELj4294967295EEENS1_25partition_config_selectorILNS1_17partition_subalgoE4EjNS0_10empty_typeEbEEZZNS1_14partition_implILS8_4ELb0ES6_15HIP_vector_typeIjLj2EENS0_17counting_iteratorIjlEEPS9_SG_NS0_5tupleIJPjSI_NS0_16reverse_iteratorISI_EEEEENSH_IJSG_SG_SG_EEES9_SI_JZNS1_25segmented_radix_sort_implINS0_14default_configELb1EPK6__halfPSP_PKlPlN2at6native12_GLOBAL__N_18offset_tEEE10hipError_tPvRmT1_PNSt15iterator_traitsIS13_E10value_typeET2_T3_PNS14_IS19_E10value_typeET4_jRbjT5_S1F_jjP12ihipStream_tbEUljE_ZNSN_ISO_Lb1ESR_SS_SU_SV_SZ_EES10_S11_S12_S13_S17_S18_S19_S1C_S1D_jS1E_jS1F_S1F_jjS1H_bEUljE0_EEES10_S11_S12_S19_S1D_S1F_T6_T7_T9_mT8_S1H_bDpT10_ENKUlT_T0_E_clISt17integral_constantIbLb1EES1V_EEDaS1Q_S1R_EUlS1Q_E_NS1_11comp_targetILNS1_3genE4ELNS1_11target_archE910ELNS1_3gpuE8ELNS1_3repE0EEENS1_30default_config_static_selectorELNS0_4arch9wavefront6targetE0EEEvS13_,comdat
.Lfunc_end1685:
	.size	_ZN7rocprim17ROCPRIM_400000_NS6detail17trampoline_kernelINS0_13select_configILj256ELj13ELNS0_17block_load_methodE3ELS4_3ELS4_3ELNS0_20block_scan_algorithmE0ELj4294967295EEENS1_25partition_config_selectorILNS1_17partition_subalgoE4EjNS0_10empty_typeEbEEZZNS1_14partition_implILS8_4ELb0ES6_15HIP_vector_typeIjLj2EENS0_17counting_iteratorIjlEEPS9_SG_NS0_5tupleIJPjSI_NS0_16reverse_iteratorISI_EEEEENSH_IJSG_SG_SG_EEES9_SI_JZNS1_25segmented_radix_sort_implINS0_14default_configELb1EPK6__halfPSP_PKlPlN2at6native12_GLOBAL__N_18offset_tEEE10hipError_tPvRmT1_PNSt15iterator_traitsIS13_E10value_typeET2_T3_PNS14_IS19_E10value_typeET4_jRbjT5_S1F_jjP12ihipStream_tbEUljE_ZNSN_ISO_Lb1ESR_SS_SU_SV_SZ_EES10_S11_S12_S13_S17_S18_S19_S1C_S1D_jS1E_jS1F_S1F_jjS1H_bEUljE0_EEES10_S11_S12_S19_S1D_S1F_T6_T7_T9_mT8_S1H_bDpT10_ENKUlT_T0_E_clISt17integral_constantIbLb1EES1V_EEDaS1Q_S1R_EUlS1Q_E_NS1_11comp_targetILNS1_3genE4ELNS1_11target_archE910ELNS1_3gpuE8ELNS1_3repE0EEENS1_30default_config_static_selectorELNS0_4arch9wavefront6targetE0EEEvS13_, .Lfunc_end1685-_ZN7rocprim17ROCPRIM_400000_NS6detail17trampoline_kernelINS0_13select_configILj256ELj13ELNS0_17block_load_methodE3ELS4_3ELS4_3ELNS0_20block_scan_algorithmE0ELj4294967295EEENS1_25partition_config_selectorILNS1_17partition_subalgoE4EjNS0_10empty_typeEbEEZZNS1_14partition_implILS8_4ELb0ES6_15HIP_vector_typeIjLj2EENS0_17counting_iteratorIjlEEPS9_SG_NS0_5tupleIJPjSI_NS0_16reverse_iteratorISI_EEEEENSH_IJSG_SG_SG_EEES9_SI_JZNS1_25segmented_radix_sort_implINS0_14default_configELb1EPK6__halfPSP_PKlPlN2at6native12_GLOBAL__N_18offset_tEEE10hipError_tPvRmT1_PNSt15iterator_traitsIS13_E10value_typeET2_T3_PNS14_IS19_E10value_typeET4_jRbjT5_S1F_jjP12ihipStream_tbEUljE_ZNSN_ISO_Lb1ESR_SS_SU_SV_SZ_EES10_S11_S12_S13_S17_S18_S19_S1C_S1D_jS1E_jS1F_S1F_jjS1H_bEUljE0_EEES10_S11_S12_S19_S1D_S1F_T6_T7_T9_mT8_S1H_bDpT10_ENKUlT_T0_E_clISt17integral_constantIbLb1EES1V_EEDaS1Q_S1R_EUlS1Q_E_NS1_11comp_targetILNS1_3genE4ELNS1_11target_archE910ELNS1_3gpuE8ELNS1_3repE0EEENS1_30default_config_static_selectorELNS0_4arch9wavefront6targetE0EEEvS13_
                                        ; -- End function
	.set _ZN7rocprim17ROCPRIM_400000_NS6detail17trampoline_kernelINS0_13select_configILj256ELj13ELNS0_17block_load_methodE3ELS4_3ELS4_3ELNS0_20block_scan_algorithmE0ELj4294967295EEENS1_25partition_config_selectorILNS1_17partition_subalgoE4EjNS0_10empty_typeEbEEZZNS1_14partition_implILS8_4ELb0ES6_15HIP_vector_typeIjLj2EENS0_17counting_iteratorIjlEEPS9_SG_NS0_5tupleIJPjSI_NS0_16reverse_iteratorISI_EEEEENSH_IJSG_SG_SG_EEES9_SI_JZNS1_25segmented_radix_sort_implINS0_14default_configELb1EPK6__halfPSP_PKlPlN2at6native12_GLOBAL__N_18offset_tEEE10hipError_tPvRmT1_PNSt15iterator_traitsIS13_E10value_typeET2_T3_PNS14_IS19_E10value_typeET4_jRbjT5_S1F_jjP12ihipStream_tbEUljE_ZNSN_ISO_Lb1ESR_SS_SU_SV_SZ_EES10_S11_S12_S13_S17_S18_S19_S1C_S1D_jS1E_jS1F_S1F_jjS1H_bEUljE0_EEES10_S11_S12_S19_S1D_S1F_T6_T7_T9_mT8_S1H_bDpT10_ENKUlT_T0_E_clISt17integral_constantIbLb1EES1V_EEDaS1Q_S1R_EUlS1Q_E_NS1_11comp_targetILNS1_3genE4ELNS1_11target_archE910ELNS1_3gpuE8ELNS1_3repE0EEENS1_30default_config_static_selectorELNS0_4arch9wavefront6targetE0EEEvS13_.num_vgpr, 0
	.set _ZN7rocprim17ROCPRIM_400000_NS6detail17trampoline_kernelINS0_13select_configILj256ELj13ELNS0_17block_load_methodE3ELS4_3ELS4_3ELNS0_20block_scan_algorithmE0ELj4294967295EEENS1_25partition_config_selectorILNS1_17partition_subalgoE4EjNS0_10empty_typeEbEEZZNS1_14partition_implILS8_4ELb0ES6_15HIP_vector_typeIjLj2EENS0_17counting_iteratorIjlEEPS9_SG_NS0_5tupleIJPjSI_NS0_16reverse_iteratorISI_EEEEENSH_IJSG_SG_SG_EEES9_SI_JZNS1_25segmented_radix_sort_implINS0_14default_configELb1EPK6__halfPSP_PKlPlN2at6native12_GLOBAL__N_18offset_tEEE10hipError_tPvRmT1_PNSt15iterator_traitsIS13_E10value_typeET2_T3_PNS14_IS19_E10value_typeET4_jRbjT5_S1F_jjP12ihipStream_tbEUljE_ZNSN_ISO_Lb1ESR_SS_SU_SV_SZ_EES10_S11_S12_S13_S17_S18_S19_S1C_S1D_jS1E_jS1F_S1F_jjS1H_bEUljE0_EEES10_S11_S12_S19_S1D_S1F_T6_T7_T9_mT8_S1H_bDpT10_ENKUlT_T0_E_clISt17integral_constantIbLb1EES1V_EEDaS1Q_S1R_EUlS1Q_E_NS1_11comp_targetILNS1_3genE4ELNS1_11target_archE910ELNS1_3gpuE8ELNS1_3repE0EEENS1_30default_config_static_selectorELNS0_4arch9wavefront6targetE0EEEvS13_.num_agpr, 0
	.set _ZN7rocprim17ROCPRIM_400000_NS6detail17trampoline_kernelINS0_13select_configILj256ELj13ELNS0_17block_load_methodE3ELS4_3ELS4_3ELNS0_20block_scan_algorithmE0ELj4294967295EEENS1_25partition_config_selectorILNS1_17partition_subalgoE4EjNS0_10empty_typeEbEEZZNS1_14partition_implILS8_4ELb0ES6_15HIP_vector_typeIjLj2EENS0_17counting_iteratorIjlEEPS9_SG_NS0_5tupleIJPjSI_NS0_16reverse_iteratorISI_EEEEENSH_IJSG_SG_SG_EEES9_SI_JZNS1_25segmented_radix_sort_implINS0_14default_configELb1EPK6__halfPSP_PKlPlN2at6native12_GLOBAL__N_18offset_tEEE10hipError_tPvRmT1_PNSt15iterator_traitsIS13_E10value_typeET2_T3_PNS14_IS19_E10value_typeET4_jRbjT5_S1F_jjP12ihipStream_tbEUljE_ZNSN_ISO_Lb1ESR_SS_SU_SV_SZ_EES10_S11_S12_S13_S17_S18_S19_S1C_S1D_jS1E_jS1F_S1F_jjS1H_bEUljE0_EEES10_S11_S12_S19_S1D_S1F_T6_T7_T9_mT8_S1H_bDpT10_ENKUlT_T0_E_clISt17integral_constantIbLb1EES1V_EEDaS1Q_S1R_EUlS1Q_E_NS1_11comp_targetILNS1_3genE4ELNS1_11target_archE910ELNS1_3gpuE8ELNS1_3repE0EEENS1_30default_config_static_selectorELNS0_4arch9wavefront6targetE0EEEvS13_.numbered_sgpr, 0
	.set _ZN7rocprim17ROCPRIM_400000_NS6detail17trampoline_kernelINS0_13select_configILj256ELj13ELNS0_17block_load_methodE3ELS4_3ELS4_3ELNS0_20block_scan_algorithmE0ELj4294967295EEENS1_25partition_config_selectorILNS1_17partition_subalgoE4EjNS0_10empty_typeEbEEZZNS1_14partition_implILS8_4ELb0ES6_15HIP_vector_typeIjLj2EENS0_17counting_iteratorIjlEEPS9_SG_NS0_5tupleIJPjSI_NS0_16reverse_iteratorISI_EEEEENSH_IJSG_SG_SG_EEES9_SI_JZNS1_25segmented_radix_sort_implINS0_14default_configELb1EPK6__halfPSP_PKlPlN2at6native12_GLOBAL__N_18offset_tEEE10hipError_tPvRmT1_PNSt15iterator_traitsIS13_E10value_typeET2_T3_PNS14_IS19_E10value_typeET4_jRbjT5_S1F_jjP12ihipStream_tbEUljE_ZNSN_ISO_Lb1ESR_SS_SU_SV_SZ_EES10_S11_S12_S13_S17_S18_S19_S1C_S1D_jS1E_jS1F_S1F_jjS1H_bEUljE0_EEES10_S11_S12_S19_S1D_S1F_T6_T7_T9_mT8_S1H_bDpT10_ENKUlT_T0_E_clISt17integral_constantIbLb1EES1V_EEDaS1Q_S1R_EUlS1Q_E_NS1_11comp_targetILNS1_3genE4ELNS1_11target_archE910ELNS1_3gpuE8ELNS1_3repE0EEENS1_30default_config_static_selectorELNS0_4arch9wavefront6targetE0EEEvS13_.num_named_barrier, 0
	.set _ZN7rocprim17ROCPRIM_400000_NS6detail17trampoline_kernelINS0_13select_configILj256ELj13ELNS0_17block_load_methodE3ELS4_3ELS4_3ELNS0_20block_scan_algorithmE0ELj4294967295EEENS1_25partition_config_selectorILNS1_17partition_subalgoE4EjNS0_10empty_typeEbEEZZNS1_14partition_implILS8_4ELb0ES6_15HIP_vector_typeIjLj2EENS0_17counting_iteratorIjlEEPS9_SG_NS0_5tupleIJPjSI_NS0_16reverse_iteratorISI_EEEEENSH_IJSG_SG_SG_EEES9_SI_JZNS1_25segmented_radix_sort_implINS0_14default_configELb1EPK6__halfPSP_PKlPlN2at6native12_GLOBAL__N_18offset_tEEE10hipError_tPvRmT1_PNSt15iterator_traitsIS13_E10value_typeET2_T3_PNS14_IS19_E10value_typeET4_jRbjT5_S1F_jjP12ihipStream_tbEUljE_ZNSN_ISO_Lb1ESR_SS_SU_SV_SZ_EES10_S11_S12_S13_S17_S18_S19_S1C_S1D_jS1E_jS1F_S1F_jjS1H_bEUljE0_EEES10_S11_S12_S19_S1D_S1F_T6_T7_T9_mT8_S1H_bDpT10_ENKUlT_T0_E_clISt17integral_constantIbLb1EES1V_EEDaS1Q_S1R_EUlS1Q_E_NS1_11comp_targetILNS1_3genE4ELNS1_11target_archE910ELNS1_3gpuE8ELNS1_3repE0EEENS1_30default_config_static_selectorELNS0_4arch9wavefront6targetE0EEEvS13_.private_seg_size, 0
	.set _ZN7rocprim17ROCPRIM_400000_NS6detail17trampoline_kernelINS0_13select_configILj256ELj13ELNS0_17block_load_methodE3ELS4_3ELS4_3ELNS0_20block_scan_algorithmE0ELj4294967295EEENS1_25partition_config_selectorILNS1_17partition_subalgoE4EjNS0_10empty_typeEbEEZZNS1_14partition_implILS8_4ELb0ES6_15HIP_vector_typeIjLj2EENS0_17counting_iteratorIjlEEPS9_SG_NS0_5tupleIJPjSI_NS0_16reverse_iteratorISI_EEEEENSH_IJSG_SG_SG_EEES9_SI_JZNS1_25segmented_radix_sort_implINS0_14default_configELb1EPK6__halfPSP_PKlPlN2at6native12_GLOBAL__N_18offset_tEEE10hipError_tPvRmT1_PNSt15iterator_traitsIS13_E10value_typeET2_T3_PNS14_IS19_E10value_typeET4_jRbjT5_S1F_jjP12ihipStream_tbEUljE_ZNSN_ISO_Lb1ESR_SS_SU_SV_SZ_EES10_S11_S12_S13_S17_S18_S19_S1C_S1D_jS1E_jS1F_S1F_jjS1H_bEUljE0_EEES10_S11_S12_S19_S1D_S1F_T6_T7_T9_mT8_S1H_bDpT10_ENKUlT_T0_E_clISt17integral_constantIbLb1EES1V_EEDaS1Q_S1R_EUlS1Q_E_NS1_11comp_targetILNS1_3genE4ELNS1_11target_archE910ELNS1_3gpuE8ELNS1_3repE0EEENS1_30default_config_static_selectorELNS0_4arch9wavefront6targetE0EEEvS13_.uses_vcc, 0
	.set _ZN7rocprim17ROCPRIM_400000_NS6detail17trampoline_kernelINS0_13select_configILj256ELj13ELNS0_17block_load_methodE3ELS4_3ELS4_3ELNS0_20block_scan_algorithmE0ELj4294967295EEENS1_25partition_config_selectorILNS1_17partition_subalgoE4EjNS0_10empty_typeEbEEZZNS1_14partition_implILS8_4ELb0ES6_15HIP_vector_typeIjLj2EENS0_17counting_iteratorIjlEEPS9_SG_NS0_5tupleIJPjSI_NS0_16reverse_iteratorISI_EEEEENSH_IJSG_SG_SG_EEES9_SI_JZNS1_25segmented_radix_sort_implINS0_14default_configELb1EPK6__halfPSP_PKlPlN2at6native12_GLOBAL__N_18offset_tEEE10hipError_tPvRmT1_PNSt15iterator_traitsIS13_E10value_typeET2_T3_PNS14_IS19_E10value_typeET4_jRbjT5_S1F_jjP12ihipStream_tbEUljE_ZNSN_ISO_Lb1ESR_SS_SU_SV_SZ_EES10_S11_S12_S13_S17_S18_S19_S1C_S1D_jS1E_jS1F_S1F_jjS1H_bEUljE0_EEES10_S11_S12_S19_S1D_S1F_T6_T7_T9_mT8_S1H_bDpT10_ENKUlT_T0_E_clISt17integral_constantIbLb1EES1V_EEDaS1Q_S1R_EUlS1Q_E_NS1_11comp_targetILNS1_3genE4ELNS1_11target_archE910ELNS1_3gpuE8ELNS1_3repE0EEENS1_30default_config_static_selectorELNS0_4arch9wavefront6targetE0EEEvS13_.uses_flat_scratch, 0
	.set _ZN7rocprim17ROCPRIM_400000_NS6detail17trampoline_kernelINS0_13select_configILj256ELj13ELNS0_17block_load_methodE3ELS4_3ELS4_3ELNS0_20block_scan_algorithmE0ELj4294967295EEENS1_25partition_config_selectorILNS1_17partition_subalgoE4EjNS0_10empty_typeEbEEZZNS1_14partition_implILS8_4ELb0ES6_15HIP_vector_typeIjLj2EENS0_17counting_iteratorIjlEEPS9_SG_NS0_5tupleIJPjSI_NS0_16reverse_iteratorISI_EEEEENSH_IJSG_SG_SG_EEES9_SI_JZNS1_25segmented_radix_sort_implINS0_14default_configELb1EPK6__halfPSP_PKlPlN2at6native12_GLOBAL__N_18offset_tEEE10hipError_tPvRmT1_PNSt15iterator_traitsIS13_E10value_typeET2_T3_PNS14_IS19_E10value_typeET4_jRbjT5_S1F_jjP12ihipStream_tbEUljE_ZNSN_ISO_Lb1ESR_SS_SU_SV_SZ_EES10_S11_S12_S13_S17_S18_S19_S1C_S1D_jS1E_jS1F_S1F_jjS1H_bEUljE0_EEES10_S11_S12_S19_S1D_S1F_T6_T7_T9_mT8_S1H_bDpT10_ENKUlT_T0_E_clISt17integral_constantIbLb1EES1V_EEDaS1Q_S1R_EUlS1Q_E_NS1_11comp_targetILNS1_3genE4ELNS1_11target_archE910ELNS1_3gpuE8ELNS1_3repE0EEENS1_30default_config_static_selectorELNS0_4arch9wavefront6targetE0EEEvS13_.has_dyn_sized_stack, 0
	.set _ZN7rocprim17ROCPRIM_400000_NS6detail17trampoline_kernelINS0_13select_configILj256ELj13ELNS0_17block_load_methodE3ELS4_3ELS4_3ELNS0_20block_scan_algorithmE0ELj4294967295EEENS1_25partition_config_selectorILNS1_17partition_subalgoE4EjNS0_10empty_typeEbEEZZNS1_14partition_implILS8_4ELb0ES6_15HIP_vector_typeIjLj2EENS0_17counting_iteratorIjlEEPS9_SG_NS0_5tupleIJPjSI_NS0_16reverse_iteratorISI_EEEEENSH_IJSG_SG_SG_EEES9_SI_JZNS1_25segmented_radix_sort_implINS0_14default_configELb1EPK6__halfPSP_PKlPlN2at6native12_GLOBAL__N_18offset_tEEE10hipError_tPvRmT1_PNSt15iterator_traitsIS13_E10value_typeET2_T3_PNS14_IS19_E10value_typeET4_jRbjT5_S1F_jjP12ihipStream_tbEUljE_ZNSN_ISO_Lb1ESR_SS_SU_SV_SZ_EES10_S11_S12_S13_S17_S18_S19_S1C_S1D_jS1E_jS1F_S1F_jjS1H_bEUljE0_EEES10_S11_S12_S19_S1D_S1F_T6_T7_T9_mT8_S1H_bDpT10_ENKUlT_T0_E_clISt17integral_constantIbLb1EES1V_EEDaS1Q_S1R_EUlS1Q_E_NS1_11comp_targetILNS1_3genE4ELNS1_11target_archE910ELNS1_3gpuE8ELNS1_3repE0EEENS1_30default_config_static_selectorELNS0_4arch9wavefront6targetE0EEEvS13_.has_recursion, 0
	.set _ZN7rocprim17ROCPRIM_400000_NS6detail17trampoline_kernelINS0_13select_configILj256ELj13ELNS0_17block_load_methodE3ELS4_3ELS4_3ELNS0_20block_scan_algorithmE0ELj4294967295EEENS1_25partition_config_selectorILNS1_17partition_subalgoE4EjNS0_10empty_typeEbEEZZNS1_14partition_implILS8_4ELb0ES6_15HIP_vector_typeIjLj2EENS0_17counting_iteratorIjlEEPS9_SG_NS0_5tupleIJPjSI_NS0_16reverse_iteratorISI_EEEEENSH_IJSG_SG_SG_EEES9_SI_JZNS1_25segmented_radix_sort_implINS0_14default_configELb1EPK6__halfPSP_PKlPlN2at6native12_GLOBAL__N_18offset_tEEE10hipError_tPvRmT1_PNSt15iterator_traitsIS13_E10value_typeET2_T3_PNS14_IS19_E10value_typeET4_jRbjT5_S1F_jjP12ihipStream_tbEUljE_ZNSN_ISO_Lb1ESR_SS_SU_SV_SZ_EES10_S11_S12_S13_S17_S18_S19_S1C_S1D_jS1E_jS1F_S1F_jjS1H_bEUljE0_EEES10_S11_S12_S19_S1D_S1F_T6_T7_T9_mT8_S1H_bDpT10_ENKUlT_T0_E_clISt17integral_constantIbLb1EES1V_EEDaS1Q_S1R_EUlS1Q_E_NS1_11comp_targetILNS1_3genE4ELNS1_11target_archE910ELNS1_3gpuE8ELNS1_3repE0EEENS1_30default_config_static_selectorELNS0_4arch9wavefront6targetE0EEEvS13_.has_indirect_call, 0
	.section	.AMDGPU.csdata,"",@progbits
; Kernel info:
; codeLenInByte = 0
; TotalNumSgprs: 0
; NumVgprs: 0
; ScratchSize: 0
; MemoryBound: 0
; FloatMode: 240
; IeeeMode: 1
; LDSByteSize: 0 bytes/workgroup (compile time only)
; SGPRBlocks: 0
; VGPRBlocks: 0
; NumSGPRsForWavesPerEU: 1
; NumVGPRsForWavesPerEU: 1
; Occupancy: 16
; WaveLimiterHint : 0
; COMPUTE_PGM_RSRC2:SCRATCH_EN: 0
; COMPUTE_PGM_RSRC2:USER_SGPR: 2
; COMPUTE_PGM_RSRC2:TRAP_HANDLER: 0
; COMPUTE_PGM_RSRC2:TGID_X_EN: 1
; COMPUTE_PGM_RSRC2:TGID_Y_EN: 0
; COMPUTE_PGM_RSRC2:TGID_Z_EN: 0
; COMPUTE_PGM_RSRC2:TIDIG_COMP_CNT: 0
	.section	.text._ZN7rocprim17ROCPRIM_400000_NS6detail17trampoline_kernelINS0_13select_configILj256ELj13ELNS0_17block_load_methodE3ELS4_3ELS4_3ELNS0_20block_scan_algorithmE0ELj4294967295EEENS1_25partition_config_selectorILNS1_17partition_subalgoE4EjNS0_10empty_typeEbEEZZNS1_14partition_implILS8_4ELb0ES6_15HIP_vector_typeIjLj2EENS0_17counting_iteratorIjlEEPS9_SG_NS0_5tupleIJPjSI_NS0_16reverse_iteratorISI_EEEEENSH_IJSG_SG_SG_EEES9_SI_JZNS1_25segmented_radix_sort_implINS0_14default_configELb1EPK6__halfPSP_PKlPlN2at6native12_GLOBAL__N_18offset_tEEE10hipError_tPvRmT1_PNSt15iterator_traitsIS13_E10value_typeET2_T3_PNS14_IS19_E10value_typeET4_jRbjT5_S1F_jjP12ihipStream_tbEUljE_ZNSN_ISO_Lb1ESR_SS_SU_SV_SZ_EES10_S11_S12_S13_S17_S18_S19_S1C_S1D_jS1E_jS1F_S1F_jjS1H_bEUljE0_EEES10_S11_S12_S19_S1D_S1F_T6_T7_T9_mT8_S1H_bDpT10_ENKUlT_T0_E_clISt17integral_constantIbLb1EES1V_EEDaS1Q_S1R_EUlS1Q_E_NS1_11comp_targetILNS1_3genE3ELNS1_11target_archE908ELNS1_3gpuE7ELNS1_3repE0EEENS1_30default_config_static_selectorELNS0_4arch9wavefront6targetE0EEEvS13_,"axG",@progbits,_ZN7rocprim17ROCPRIM_400000_NS6detail17trampoline_kernelINS0_13select_configILj256ELj13ELNS0_17block_load_methodE3ELS4_3ELS4_3ELNS0_20block_scan_algorithmE0ELj4294967295EEENS1_25partition_config_selectorILNS1_17partition_subalgoE4EjNS0_10empty_typeEbEEZZNS1_14partition_implILS8_4ELb0ES6_15HIP_vector_typeIjLj2EENS0_17counting_iteratorIjlEEPS9_SG_NS0_5tupleIJPjSI_NS0_16reverse_iteratorISI_EEEEENSH_IJSG_SG_SG_EEES9_SI_JZNS1_25segmented_radix_sort_implINS0_14default_configELb1EPK6__halfPSP_PKlPlN2at6native12_GLOBAL__N_18offset_tEEE10hipError_tPvRmT1_PNSt15iterator_traitsIS13_E10value_typeET2_T3_PNS14_IS19_E10value_typeET4_jRbjT5_S1F_jjP12ihipStream_tbEUljE_ZNSN_ISO_Lb1ESR_SS_SU_SV_SZ_EES10_S11_S12_S13_S17_S18_S19_S1C_S1D_jS1E_jS1F_S1F_jjS1H_bEUljE0_EEES10_S11_S12_S19_S1D_S1F_T6_T7_T9_mT8_S1H_bDpT10_ENKUlT_T0_E_clISt17integral_constantIbLb1EES1V_EEDaS1Q_S1R_EUlS1Q_E_NS1_11comp_targetILNS1_3genE3ELNS1_11target_archE908ELNS1_3gpuE7ELNS1_3repE0EEENS1_30default_config_static_selectorELNS0_4arch9wavefront6targetE0EEEvS13_,comdat
	.globl	_ZN7rocprim17ROCPRIM_400000_NS6detail17trampoline_kernelINS0_13select_configILj256ELj13ELNS0_17block_load_methodE3ELS4_3ELS4_3ELNS0_20block_scan_algorithmE0ELj4294967295EEENS1_25partition_config_selectorILNS1_17partition_subalgoE4EjNS0_10empty_typeEbEEZZNS1_14partition_implILS8_4ELb0ES6_15HIP_vector_typeIjLj2EENS0_17counting_iteratorIjlEEPS9_SG_NS0_5tupleIJPjSI_NS0_16reverse_iteratorISI_EEEEENSH_IJSG_SG_SG_EEES9_SI_JZNS1_25segmented_radix_sort_implINS0_14default_configELb1EPK6__halfPSP_PKlPlN2at6native12_GLOBAL__N_18offset_tEEE10hipError_tPvRmT1_PNSt15iterator_traitsIS13_E10value_typeET2_T3_PNS14_IS19_E10value_typeET4_jRbjT5_S1F_jjP12ihipStream_tbEUljE_ZNSN_ISO_Lb1ESR_SS_SU_SV_SZ_EES10_S11_S12_S13_S17_S18_S19_S1C_S1D_jS1E_jS1F_S1F_jjS1H_bEUljE0_EEES10_S11_S12_S19_S1D_S1F_T6_T7_T9_mT8_S1H_bDpT10_ENKUlT_T0_E_clISt17integral_constantIbLb1EES1V_EEDaS1Q_S1R_EUlS1Q_E_NS1_11comp_targetILNS1_3genE3ELNS1_11target_archE908ELNS1_3gpuE7ELNS1_3repE0EEENS1_30default_config_static_selectorELNS0_4arch9wavefront6targetE0EEEvS13_ ; -- Begin function _ZN7rocprim17ROCPRIM_400000_NS6detail17trampoline_kernelINS0_13select_configILj256ELj13ELNS0_17block_load_methodE3ELS4_3ELS4_3ELNS0_20block_scan_algorithmE0ELj4294967295EEENS1_25partition_config_selectorILNS1_17partition_subalgoE4EjNS0_10empty_typeEbEEZZNS1_14partition_implILS8_4ELb0ES6_15HIP_vector_typeIjLj2EENS0_17counting_iteratorIjlEEPS9_SG_NS0_5tupleIJPjSI_NS0_16reverse_iteratorISI_EEEEENSH_IJSG_SG_SG_EEES9_SI_JZNS1_25segmented_radix_sort_implINS0_14default_configELb1EPK6__halfPSP_PKlPlN2at6native12_GLOBAL__N_18offset_tEEE10hipError_tPvRmT1_PNSt15iterator_traitsIS13_E10value_typeET2_T3_PNS14_IS19_E10value_typeET4_jRbjT5_S1F_jjP12ihipStream_tbEUljE_ZNSN_ISO_Lb1ESR_SS_SU_SV_SZ_EES10_S11_S12_S13_S17_S18_S19_S1C_S1D_jS1E_jS1F_S1F_jjS1H_bEUljE0_EEES10_S11_S12_S19_S1D_S1F_T6_T7_T9_mT8_S1H_bDpT10_ENKUlT_T0_E_clISt17integral_constantIbLb1EES1V_EEDaS1Q_S1R_EUlS1Q_E_NS1_11comp_targetILNS1_3genE3ELNS1_11target_archE908ELNS1_3gpuE7ELNS1_3repE0EEENS1_30default_config_static_selectorELNS0_4arch9wavefront6targetE0EEEvS13_
	.p2align	8
	.type	_ZN7rocprim17ROCPRIM_400000_NS6detail17trampoline_kernelINS0_13select_configILj256ELj13ELNS0_17block_load_methodE3ELS4_3ELS4_3ELNS0_20block_scan_algorithmE0ELj4294967295EEENS1_25partition_config_selectorILNS1_17partition_subalgoE4EjNS0_10empty_typeEbEEZZNS1_14partition_implILS8_4ELb0ES6_15HIP_vector_typeIjLj2EENS0_17counting_iteratorIjlEEPS9_SG_NS0_5tupleIJPjSI_NS0_16reverse_iteratorISI_EEEEENSH_IJSG_SG_SG_EEES9_SI_JZNS1_25segmented_radix_sort_implINS0_14default_configELb1EPK6__halfPSP_PKlPlN2at6native12_GLOBAL__N_18offset_tEEE10hipError_tPvRmT1_PNSt15iterator_traitsIS13_E10value_typeET2_T3_PNS14_IS19_E10value_typeET4_jRbjT5_S1F_jjP12ihipStream_tbEUljE_ZNSN_ISO_Lb1ESR_SS_SU_SV_SZ_EES10_S11_S12_S13_S17_S18_S19_S1C_S1D_jS1E_jS1F_S1F_jjS1H_bEUljE0_EEES10_S11_S12_S19_S1D_S1F_T6_T7_T9_mT8_S1H_bDpT10_ENKUlT_T0_E_clISt17integral_constantIbLb1EES1V_EEDaS1Q_S1R_EUlS1Q_E_NS1_11comp_targetILNS1_3genE3ELNS1_11target_archE908ELNS1_3gpuE7ELNS1_3repE0EEENS1_30default_config_static_selectorELNS0_4arch9wavefront6targetE0EEEvS13_,@function
_ZN7rocprim17ROCPRIM_400000_NS6detail17trampoline_kernelINS0_13select_configILj256ELj13ELNS0_17block_load_methodE3ELS4_3ELS4_3ELNS0_20block_scan_algorithmE0ELj4294967295EEENS1_25partition_config_selectorILNS1_17partition_subalgoE4EjNS0_10empty_typeEbEEZZNS1_14partition_implILS8_4ELb0ES6_15HIP_vector_typeIjLj2EENS0_17counting_iteratorIjlEEPS9_SG_NS0_5tupleIJPjSI_NS0_16reverse_iteratorISI_EEEEENSH_IJSG_SG_SG_EEES9_SI_JZNS1_25segmented_radix_sort_implINS0_14default_configELb1EPK6__halfPSP_PKlPlN2at6native12_GLOBAL__N_18offset_tEEE10hipError_tPvRmT1_PNSt15iterator_traitsIS13_E10value_typeET2_T3_PNS14_IS19_E10value_typeET4_jRbjT5_S1F_jjP12ihipStream_tbEUljE_ZNSN_ISO_Lb1ESR_SS_SU_SV_SZ_EES10_S11_S12_S13_S17_S18_S19_S1C_S1D_jS1E_jS1F_S1F_jjS1H_bEUljE0_EEES10_S11_S12_S19_S1D_S1F_T6_T7_T9_mT8_S1H_bDpT10_ENKUlT_T0_E_clISt17integral_constantIbLb1EES1V_EEDaS1Q_S1R_EUlS1Q_E_NS1_11comp_targetILNS1_3genE3ELNS1_11target_archE908ELNS1_3gpuE7ELNS1_3repE0EEENS1_30default_config_static_selectorELNS0_4arch9wavefront6targetE0EEEvS13_: ; @_ZN7rocprim17ROCPRIM_400000_NS6detail17trampoline_kernelINS0_13select_configILj256ELj13ELNS0_17block_load_methodE3ELS4_3ELS4_3ELNS0_20block_scan_algorithmE0ELj4294967295EEENS1_25partition_config_selectorILNS1_17partition_subalgoE4EjNS0_10empty_typeEbEEZZNS1_14partition_implILS8_4ELb0ES6_15HIP_vector_typeIjLj2EENS0_17counting_iteratorIjlEEPS9_SG_NS0_5tupleIJPjSI_NS0_16reverse_iteratorISI_EEEEENSH_IJSG_SG_SG_EEES9_SI_JZNS1_25segmented_radix_sort_implINS0_14default_configELb1EPK6__halfPSP_PKlPlN2at6native12_GLOBAL__N_18offset_tEEE10hipError_tPvRmT1_PNSt15iterator_traitsIS13_E10value_typeET2_T3_PNS14_IS19_E10value_typeET4_jRbjT5_S1F_jjP12ihipStream_tbEUljE_ZNSN_ISO_Lb1ESR_SS_SU_SV_SZ_EES10_S11_S12_S13_S17_S18_S19_S1C_S1D_jS1E_jS1F_S1F_jjS1H_bEUljE0_EEES10_S11_S12_S19_S1D_S1F_T6_T7_T9_mT8_S1H_bDpT10_ENKUlT_T0_E_clISt17integral_constantIbLb1EES1V_EEDaS1Q_S1R_EUlS1Q_E_NS1_11comp_targetILNS1_3genE3ELNS1_11target_archE908ELNS1_3gpuE7ELNS1_3repE0EEENS1_30default_config_static_selectorELNS0_4arch9wavefront6targetE0EEEvS13_
; %bb.0:
	.section	.rodata,"a",@progbits
	.p2align	6, 0x0
	.amdhsa_kernel _ZN7rocprim17ROCPRIM_400000_NS6detail17trampoline_kernelINS0_13select_configILj256ELj13ELNS0_17block_load_methodE3ELS4_3ELS4_3ELNS0_20block_scan_algorithmE0ELj4294967295EEENS1_25partition_config_selectorILNS1_17partition_subalgoE4EjNS0_10empty_typeEbEEZZNS1_14partition_implILS8_4ELb0ES6_15HIP_vector_typeIjLj2EENS0_17counting_iteratorIjlEEPS9_SG_NS0_5tupleIJPjSI_NS0_16reverse_iteratorISI_EEEEENSH_IJSG_SG_SG_EEES9_SI_JZNS1_25segmented_radix_sort_implINS0_14default_configELb1EPK6__halfPSP_PKlPlN2at6native12_GLOBAL__N_18offset_tEEE10hipError_tPvRmT1_PNSt15iterator_traitsIS13_E10value_typeET2_T3_PNS14_IS19_E10value_typeET4_jRbjT5_S1F_jjP12ihipStream_tbEUljE_ZNSN_ISO_Lb1ESR_SS_SU_SV_SZ_EES10_S11_S12_S13_S17_S18_S19_S1C_S1D_jS1E_jS1F_S1F_jjS1H_bEUljE0_EEES10_S11_S12_S19_S1D_S1F_T6_T7_T9_mT8_S1H_bDpT10_ENKUlT_T0_E_clISt17integral_constantIbLb1EES1V_EEDaS1Q_S1R_EUlS1Q_E_NS1_11comp_targetILNS1_3genE3ELNS1_11target_archE908ELNS1_3gpuE7ELNS1_3repE0EEENS1_30default_config_static_selectorELNS0_4arch9wavefront6targetE0EEEvS13_
		.amdhsa_group_segment_fixed_size 0
		.amdhsa_private_segment_fixed_size 0
		.amdhsa_kernarg_size 184
		.amdhsa_user_sgpr_count 2
		.amdhsa_user_sgpr_dispatch_ptr 0
		.amdhsa_user_sgpr_queue_ptr 0
		.amdhsa_user_sgpr_kernarg_segment_ptr 1
		.amdhsa_user_sgpr_dispatch_id 0
		.amdhsa_user_sgpr_private_segment_size 0
		.amdhsa_wavefront_size32 1
		.amdhsa_uses_dynamic_stack 0
		.amdhsa_enable_private_segment 0
		.amdhsa_system_sgpr_workgroup_id_x 1
		.amdhsa_system_sgpr_workgroup_id_y 0
		.amdhsa_system_sgpr_workgroup_id_z 0
		.amdhsa_system_sgpr_workgroup_info 0
		.amdhsa_system_vgpr_workitem_id 0
		.amdhsa_next_free_vgpr 1
		.amdhsa_next_free_sgpr 1
		.amdhsa_reserve_vcc 0
		.amdhsa_float_round_mode_32 0
		.amdhsa_float_round_mode_16_64 0
		.amdhsa_float_denorm_mode_32 3
		.amdhsa_float_denorm_mode_16_64 3
		.amdhsa_fp16_overflow 0
		.amdhsa_workgroup_processor_mode 1
		.amdhsa_memory_ordered 1
		.amdhsa_forward_progress 1
		.amdhsa_inst_pref_size 0
		.amdhsa_round_robin_scheduling 0
		.amdhsa_exception_fp_ieee_invalid_op 0
		.amdhsa_exception_fp_denorm_src 0
		.amdhsa_exception_fp_ieee_div_zero 0
		.amdhsa_exception_fp_ieee_overflow 0
		.amdhsa_exception_fp_ieee_underflow 0
		.amdhsa_exception_fp_ieee_inexact 0
		.amdhsa_exception_int_div_zero 0
	.end_amdhsa_kernel
	.section	.text._ZN7rocprim17ROCPRIM_400000_NS6detail17trampoline_kernelINS0_13select_configILj256ELj13ELNS0_17block_load_methodE3ELS4_3ELS4_3ELNS0_20block_scan_algorithmE0ELj4294967295EEENS1_25partition_config_selectorILNS1_17partition_subalgoE4EjNS0_10empty_typeEbEEZZNS1_14partition_implILS8_4ELb0ES6_15HIP_vector_typeIjLj2EENS0_17counting_iteratorIjlEEPS9_SG_NS0_5tupleIJPjSI_NS0_16reverse_iteratorISI_EEEEENSH_IJSG_SG_SG_EEES9_SI_JZNS1_25segmented_radix_sort_implINS0_14default_configELb1EPK6__halfPSP_PKlPlN2at6native12_GLOBAL__N_18offset_tEEE10hipError_tPvRmT1_PNSt15iterator_traitsIS13_E10value_typeET2_T3_PNS14_IS19_E10value_typeET4_jRbjT5_S1F_jjP12ihipStream_tbEUljE_ZNSN_ISO_Lb1ESR_SS_SU_SV_SZ_EES10_S11_S12_S13_S17_S18_S19_S1C_S1D_jS1E_jS1F_S1F_jjS1H_bEUljE0_EEES10_S11_S12_S19_S1D_S1F_T6_T7_T9_mT8_S1H_bDpT10_ENKUlT_T0_E_clISt17integral_constantIbLb1EES1V_EEDaS1Q_S1R_EUlS1Q_E_NS1_11comp_targetILNS1_3genE3ELNS1_11target_archE908ELNS1_3gpuE7ELNS1_3repE0EEENS1_30default_config_static_selectorELNS0_4arch9wavefront6targetE0EEEvS13_,"axG",@progbits,_ZN7rocprim17ROCPRIM_400000_NS6detail17trampoline_kernelINS0_13select_configILj256ELj13ELNS0_17block_load_methodE3ELS4_3ELS4_3ELNS0_20block_scan_algorithmE0ELj4294967295EEENS1_25partition_config_selectorILNS1_17partition_subalgoE4EjNS0_10empty_typeEbEEZZNS1_14partition_implILS8_4ELb0ES6_15HIP_vector_typeIjLj2EENS0_17counting_iteratorIjlEEPS9_SG_NS0_5tupleIJPjSI_NS0_16reverse_iteratorISI_EEEEENSH_IJSG_SG_SG_EEES9_SI_JZNS1_25segmented_radix_sort_implINS0_14default_configELb1EPK6__halfPSP_PKlPlN2at6native12_GLOBAL__N_18offset_tEEE10hipError_tPvRmT1_PNSt15iterator_traitsIS13_E10value_typeET2_T3_PNS14_IS19_E10value_typeET4_jRbjT5_S1F_jjP12ihipStream_tbEUljE_ZNSN_ISO_Lb1ESR_SS_SU_SV_SZ_EES10_S11_S12_S13_S17_S18_S19_S1C_S1D_jS1E_jS1F_S1F_jjS1H_bEUljE0_EEES10_S11_S12_S19_S1D_S1F_T6_T7_T9_mT8_S1H_bDpT10_ENKUlT_T0_E_clISt17integral_constantIbLb1EES1V_EEDaS1Q_S1R_EUlS1Q_E_NS1_11comp_targetILNS1_3genE3ELNS1_11target_archE908ELNS1_3gpuE7ELNS1_3repE0EEENS1_30default_config_static_selectorELNS0_4arch9wavefront6targetE0EEEvS13_,comdat
.Lfunc_end1686:
	.size	_ZN7rocprim17ROCPRIM_400000_NS6detail17trampoline_kernelINS0_13select_configILj256ELj13ELNS0_17block_load_methodE3ELS4_3ELS4_3ELNS0_20block_scan_algorithmE0ELj4294967295EEENS1_25partition_config_selectorILNS1_17partition_subalgoE4EjNS0_10empty_typeEbEEZZNS1_14partition_implILS8_4ELb0ES6_15HIP_vector_typeIjLj2EENS0_17counting_iteratorIjlEEPS9_SG_NS0_5tupleIJPjSI_NS0_16reverse_iteratorISI_EEEEENSH_IJSG_SG_SG_EEES9_SI_JZNS1_25segmented_radix_sort_implINS0_14default_configELb1EPK6__halfPSP_PKlPlN2at6native12_GLOBAL__N_18offset_tEEE10hipError_tPvRmT1_PNSt15iterator_traitsIS13_E10value_typeET2_T3_PNS14_IS19_E10value_typeET4_jRbjT5_S1F_jjP12ihipStream_tbEUljE_ZNSN_ISO_Lb1ESR_SS_SU_SV_SZ_EES10_S11_S12_S13_S17_S18_S19_S1C_S1D_jS1E_jS1F_S1F_jjS1H_bEUljE0_EEES10_S11_S12_S19_S1D_S1F_T6_T7_T9_mT8_S1H_bDpT10_ENKUlT_T0_E_clISt17integral_constantIbLb1EES1V_EEDaS1Q_S1R_EUlS1Q_E_NS1_11comp_targetILNS1_3genE3ELNS1_11target_archE908ELNS1_3gpuE7ELNS1_3repE0EEENS1_30default_config_static_selectorELNS0_4arch9wavefront6targetE0EEEvS13_, .Lfunc_end1686-_ZN7rocprim17ROCPRIM_400000_NS6detail17trampoline_kernelINS0_13select_configILj256ELj13ELNS0_17block_load_methodE3ELS4_3ELS4_3ELNS0_20block_scan_algorithmE0ELj4294967295EEENS1_25partition_config_selectorILNS1_17partition_subalgoE4EjNS0_10empty_typeEbEEZZNS1_14partition_implILS8_4ELb0ES6_15HIP_vector_typeIjLj2EENS0_17counting_iteratorIjlEEPS9_SG_NS0_5tupleIJPjSI_NS0_16reverse_iteratorISI_EEEEENSH_IJSG_SG_SG_EEES9_SI_JZNS1_25segmented_radix_sort_implINS0_14default_configELb1EPK6__halfPSP_PKlPlN2at6native12_GLOBAL__N_18offset_tEEE10hipError_tPvRmT1_PNSt15iterator_traitsIS13_E10value_typeET2_T3_PNS14_IS19_E10value_typeET4_jRbjT5_S1F_jjP12ihipStream_tbEUljE_ZNSN_ISO_Lb1ESR_SS_SU_SV_SZ_EES10_S11_S12_S13_S17_S18_S19_S1C_S1D_jS1E_jS1F_S1F_jjS1H_bEUljE0_EEES10_S11_S12_S19_S1D_S1F_T6_T7_T9_mT8_S1H_bDpT10_ENKUlT_T0_E_clISt17integral_constantIbLb1EES1V_EEDaS1Q_S1R_EUlS1Q_E_NS1_11comp_targetILNS1_3genE3ELNS1_11target_archE908ELNS1_3gpuE7ELNS1_3repE0EEENS1_30default_config_static_selectorELNS0_4arch9wavefront6targetE0EEEvS13_
                                        ; -- End function
	.set _ZN7rocprim17ROCPRIM_400000_NS6detail17trampoline_kernelINS0_13select_configILj256ELj13ELNS0_17block_load_methodE3ELS4_3ELS4_3ELNS0_20block_scan_algorithmE0ELj4294967295EEENS1_25partition_config_selectorILNS1_17partition_subalgoE4EjNS0_10empty_typeEbEEZZNS1_14partition_implILS8_4ELb0ES6_15HIP_vector_typeIjLj2EENS0_17counting_iteratorIjlEEPS9_SG_NS0_5tupleIJPjSI_NS0_16reverse_iteratorISI_EEEEENSH_IJSG_SG_SG_EEES9_SI_JZNS1_25segmented_radix_sort_implINS0_14default_configELb1EPK6__halfPSP_PKlPlN2at6native12_GLOBAL__N_18offset_tEEE10hipError_tPvRmT1_PNSt15iterator_traitsIS13_E10value_typeET2_T3_PNS14_IS19_E10value_typeET4_jRbjT5_S1F_jjP12ihipStream_tbEUljE_ZNSN_ISO_Lb1ESR_SS_SU_SV_SZ_EES10_S11_S12_S13_S17_S18_S19_S1C_S1D_jS1E_jS1F_S1F_jjS1H_bEUljE0_EEES10_S11_S12_S19_S1D_S1F_T6_T7_T9_mT8_S1H_bDpT10_ENKUlT_T0_E_clISt17integral_constantIbLb1EES1V_EEDaS1Q_S1R_EUlS1Q_E_NS1_11comp_targetILNS1_3genE3ELNS1_11target_archE908ELNS1_3gpuE7ELNS1_3repE0EEENS1_30default_config_static_selectorELNS0_4arch9wavefront6targetE0EEEvS13_.num_vgpr, 0
	.set _ZN7rocprim17ROCPRIM_400000_NS6detail17trampoline_kernelINS0_13select_configILj256ELj13ELNS0_17block_load_methodE3ELS4_3ELS4_3ELNS0_20block_scan_algorithmE0ELj4294967295EEENS1_25partition_config_selectorILNS1_17partition_subalgoE4EjNS0_10empty_typeEbEEZZNS1_14partition_implILS8_4ELb0ES6_15HIP_vector_typeIjLj2EENS0_17counting_iteratorIjlEEPS9_SG_NS0_5tupleIJPjSI_NS0_16reverse_iteratorISI_EEEEENSH_IJSG_SG_SG_EEES9_SI_JZNS1_25segmented_radix_sort_implINS0_14default_configELb1EPK6__halfPSP_PKlPlN2at6native12_GLOBAL__N_18offset_tEEE10hipError_tPvRmT1_PNSt15iterator_traitsIS13_E10value_typeET2_T3_PNS14_IS19_E10value_typeET4_jRbjT5_S1F_jjP12ihipStream_tbEUljE_ZNSN_ISO_Lb1ESR_SS_SU_SV_SZ_EES10_S11_S12_S13_S17_S18_S19_S1C_S1D_jS1E_jS1F_S1F_jjS1H_bEUljE0_EEES10_S11_S12_S19_S1D_S1F_T6_T7_T9_mT8_S1H_bDpT10_ENKUlT_T0_E_clISt17integral_constantIbLb1EES1V_EEDaS1Q_S1R_EUlS1Q_E_NS1_11comp_targetILNS1_3genE3ELNS1_11target_archE908ELNS1_3gpuE7ELNS1_3repE0EEENS1_30default_config_static_selectorELNS0_4arch9wavefront6targetE0EEEvS13_.num_agpr, 0
	.set _ZN7rocprim17ROCPRIM_400000_NS6detail17trampoline_kernelINS0_13select_configILj256ELj13ELNS0_17block_load_methodE3ELS4_3ELS4_3ELNS0_20block_scan_algorithmE0ELj4294967295EEENS1_25partition_config_selectorILNS1_17partition_subalgoE4EjNS0_10empty_typeEbEEZZNS1_14partition_implILS8_4ELb0ES6_15HIP_vector_typeIjLj2EENS0_17counting_iteratorIjlEEPS9_SG_NS0_5tupleIJPjSI_NS0_16reverse_iteratorISI_EEEEENSH_IJSG_SG_SG_EEES9_SI_JZNS1_25segmented_radix_sort_implINS0_14default_configELb1EPK6__halfPSP_PKlPlN2at6native12_GLOBAL__N_18offset_tEEE10hipError_tPvRmT1_PNSt15iterator_traitsIS13_E10value_typeET2_T3_PNS14_IS19_E10value_typeET4_jRbjT5_S1F_jjP12ihipStream_tbEUljE_ZNSN_ISO_Lb1ESR_SS_SU_SV_SZ_EES10_S11_S12_S13_S17_S18_S19_S1C_S1D_jS1E_jS1F_S1F_jjS1H_bEUljE0_EEES10_S11_S12_S19_S1D_S1F_T6_T7_T9_mT8_S1H_bDpT10_ENKUlT_T0_E_clISt17integral_constantIbLb1EES1V_EEDaS1Q_S1R_EUlS1Q_E_NS1_11comp_targetILNS1_3genE3ELNS1_11target_archE908ELNS1_3gpuE7ELNS1_3repE0EEENS1_30default_config_static_selectorELNS0_4arch9wavefront6targetE0EEEvS13_.numbered_sgpr, 0
	.set _ZN7rocprim17ROCPRIM_400000_NS6detail17trampoline_kernelINS0_13select_configILj256ELj13ELNS0_17block_load_methodE3ELS4_3ELS4_3ELNS0_20block_scan_algorithmE0ELj4294967295EEENS1_25partition_config_selectorILNS1_17partition_subalgoE4EjNS0_10empty_typeEbEEZZNS1_14partition_implILS8_4ELb0ES6_15HIP_vector_typeIjLj2EENS0_17counting_iteratorIjlEEPS9_SG_NS0_5tupleIJPjSI_NS0_16reverse_iteratorISI_EEEEENSH_IJSG_SG_SG_EEES9_SI_JZNS1_25segmented_radix_sort_implINS0_14default_configELb1EPK6__halfPSP_PKlPlN2at6native12_GLOBAL__N_18offset_tEEE10hipError_tPvRmT1_PNSt15iterator_traitsIS13_E10value_typeET2_T3_PNS14_IS19_E10value_typeET4_jRbjT5_S1F_jjP12ihipStream_tbEUljE_ZNSN_ISO_Lb1ESR_SS_SU_SV_SZ_EES10_S11_S12_S13_S17_S18_S19_S1C_S1D_jS1E_jS1F_S1F_jjS1H_bEUljE0_EEES10_S11_S12_S19_S1D_S1F_T6_T7_T9_mT8_S1H_bDpT10_ENKUlT_T0_E_clISt17integral_constantIbLb1EES1V_EEDaS1Q_S1R_EUlS1Q_E_NS1_11comp_targetILNS1_3genE3ELNS1_11target_archE908ELNS1_3gpuE7ELNS1_3repE0EEENS1_30default_config_static_selectorELNS0_4arch9wavefront6targetE0EEEvS13_.num_named_barrier, 0
	.set _ZN7rocprim17ROCPRIM_400000_NS6detail17trampoline_kernelINS0_13select_configILj256ELj13ELNS0_17block_load_methodE3ELS4_3ELS4_3ELNS0_20block_scan_algorithmE0ELj4294967295EEENS1_25partition_config_selectorILNS1_17partition_subalgoE4EjNS0_10empty_typeEbEEZZNS1_14partition_implILS8_4ELb0ES6_15HIP_vector_typeIjLj2EENS0_17counting_iteratorIjlEEPS9_SG_NS0_5tupleIJPjSI_NS0_16reverse_iteratorISI_EEEEENSH_IJSG_SG_SG_EEES9_SI_JZNS1_25segmented_radix_sort_implINS0_14default_configELb1EPK6__halfPSP_PKlPlN2at6native12_GLOBAL__N_18offset_tEEE10hipError_tPvRmT1_PNSt15iterator_traitsIS13_E10value_typeET2_T3_PNS14_IS19_E10value_typeET4_jRbjT5_S1F_jjP12ihipStream_tbEUljE_ZNSN_ISO_Lb1ESR_SS_SU_SV_SZ_EES10_S11_S12_S13_S17_S18_S19_S1C_S1D_jS1E_jS1F_S1F_jjS1H_bEUljE0_EEES10_S11_S12_S19_S1D_S1F_T6_T7_T9_mT8_S1H_bDpT10_ENKUlT_T0_E_clISt17integral_constantIbLb1EES1V_EEDaS1Q_S1R_EUlS1Q_E_NS1_11comp_targetILNS1_3genE3ELNS1_11target_archE908ELNS1_3gpuE7ELNS1_3repE0EEENS1_30default_config_static_selectorELNS0_4arch9wavefront6targetE0EEEvS13_.private_seg_size, 0
	.set _ZN7rocprim17ROCPRIM_400000_NS6detail17trampoline_kernelINS0_13select_configILj256ELj13ELNS0_17block_load_methodE3ELS4_3ELS4_3ELNS0_20block_scan_algorithmE0ELj4294967295EEENS1_25partition_config_selectorILNS1_17partition_subalgoE4EjNS0_10empty_typeEbEEZZNS1_14partition_implILS8_4ELb0ES6_15HIP_vector_typeIjLj2EENS0_17counting_iteratorIjlEEPS9_SG_NS0_5tupleIJPjSI_NS0_16reverse_iteratorISI_EEEEENSH_IJSG_SG_SG_EEES9_SI_JZNS1_25segmented_radix_sort_implINS0_14default_configELb1EPK6__halfPSP_PKlPlN2at6native12_GLOBAL__N_18offset_tEEE10hipError_tPvRmT1_PNSt15iterator_traitsIS13_E10value_typeET2_T3_PNS14_IS19_E10value_typeET4_jRbjT5_S1F_jjP12ihipStream_tbEUljE_ZNSN_ISO_Lb1ESR_SS_SU_SV_SZ_EES10_S11_S12_S13_S17_S18_S19_S1C_S1D_jS1E_jS1F_S1F_jjS1H_bEUljE0_EEES10_S11_S12_S19_S1D_S1F_T6_T7_T9_mT8_S1H_bDpT10_ENKUlT_T0_E_clISt17integral_constantIbLb1EES1V_EEDaS1Q_S1R_EUlS1Q_E_NS1_11comp_targetILNS1_3genE3ELNS1_11target_archE908ELNS1_3gpuE7ELNS1_3repE0EEENS1_30default_config_static_selectorELNS0_4arch9wavefront6targetE0EEEvS13_.uses_vcc, 0
	.set _ZN7rocprim17ROCPRIM_400000_NS6detail17trampoline_kernelINS0_13select_configILj256ELj13ELNS0_17block_load_methodE3ELS4_3ELS4_3ELNS0_20block_scan_algorithmE0ELj4294967295EEENS1_25partition_config_selectorILNS1_17partition_subalgoE4EjNS0_10empty_typeEbEEZZNS1_14partition_implILS8_4ELb0ES6_15HIP_vector_typeIjLj2EENS0_17counting_iteratorIjlEEPS9_SG_NS0_5tupleIJPjSI_NS0_16reverse_iteratorISI_EEEEENSH_IJSG_SG_SG_EEES9_SI_JZNS1_25segmented_radix_sort_implINS0_14default_configELb1EPK6__halfPSP_PKlPlN2at6native12_GLOBAL__N_18offset_tEEE10hipError_tPvRmT1_PNSt15iterator_traitsIS13_E10value_typeET2_T3_PNS14_IS19_E10value_typeET4_jRbjT5_S1F_jjP12ihipStream_tbEUljE_ZNSN_ISO_Lb1ESR_SS_SU_SV_SZ_EES10_S11_S12_S13_S17_S18_S19_S1C_S1D_jS1E_jS1F_S1F_jjS1H_bEUljE0_EEES10_S11_S12_S19_S1D_S1F_T6_T7_T9_mT8_S1H_bDpT10_ENKUlT_T0_E_clISt17integral_constantIbLb1EES1V_EEDaS1Q_S1R_EUlS1Q_E_NS1_11comp_targetILNS1_3genE3ELNS1_11target_archE908ELNS1_3gpuE7ELNS1_3repE0EEENS1_30default_config_static_selectorELNS0_4arch9wavefront6targetE0EEEvS13_.uses_flat_scratch, 0
	.set _ZN7rocprim17ROCPRIM_400000_NS6detail17trampoline_kernelINS0_13select_configILj256ELj13ELNS0_17block_load_methodE3ELS4_3ELS4_3ELNS0_20block_scan_algorithmE0ELj4294967295EEENS1_25partition_config_selectorILNS1_17partition_subalgoE4EjNS0_10empty_typeEbEEZZNS1_14partition_implILS8_4ELb0ES6_15HIP_vector_typeIjLj2EENS0_17counting_iteratorIjlEEPS9_SG_NS0_5tupleIJPjSI_NS0_16reverse_iteratorISI_EEEEENSH_IJSG_SG_SG_EEES9_SI_JZNS1_25segmented_radix_sort_implINS0_14default_configELb1EPK6__halfPSP_PKlPlN2at6native12_GLOBAL__N_18offset_tEEE10hipError_tPvRmT1_PNSt15iterator_traitsIS13_E10value_typeET2_T3_PNS14_IS19_E10value_typeET4_jRbjT5_S1F_jjP12ihipStream_tbEUljE_ZNSN_ISO_Lb1ESR_SS_SU_SV_SZ_EES10_S11_S12_S13_S17_S18_S19_S1C_S1D_jS1E_jS1F_S1F_jjS1H_bEUljE0_EEES10_S11_S12_S19_S1D_S1F_T6_T7_T9_mT8_S1H_bDpT10_ENKUlT_T0_E_clISt17integral_constantIbLb1EES1V_EEDaS1Q_S1R_EUlS1Q_E_NS1_11comp_targetILNS1_3genE3ELNS1_11target_archE908ELNS1_3gpuE7ELNS1_3repE0EEENS1_30default_config_static_selectorELNS0_4arch9wavefront6targetE0EEEvS13_.has_dyn_sized_stack, 0
	.set _ZN7rocprim17ROCPRIM_400000_NS6detail17trampoline_kernelINS0_13select_configILj256ELj13ELNS0_17block_load_methodE3ELS4_3ELS4_3ELNS0_20block_scan_algorithmE0ELj4294967295EEENS1_25partition_config_selectorILNS1_17partition_subalgoE4EjNS0_10empty_typeEbEEZZNS1_14partition_implILS8_4ELb0ES6_15HIP_vector_typeIjLj2EENS0_17counting_iteratorIjlEEPS9_SG_NS0_5tupleIJPjSI_NS0_16reverse_iteratorISI_EEEEENSH_IJSG_SG_SG_EEES9_SI_JZNS1_25segmented_radix_sort_implINS0_14default_configELb1EPK6__halfPSP_PKlPlN2at6native12_GLOBAL__N_18offset_tEEE10hipError_tPvRmT1_PNSt15iterator_traitsIS13_E10value_typeET2_T3_PNS14_IS19_E10value_typeET4_jRbjT5_S1F_jjP12ihipStream_tbEUljE_ZNSN_ISO_Lb1ESR_SS_SU_SV_SZ_EES10_S11_S12_S13_S17_S18_S19_S1C_S1D_jS1E_jS1F_S1F_jjS1H_bEUljE0_EEES10_S11_S12_S19_S1D_S1F_T6_T7_T9_mT8_S1H_bDpT10_ENKUlT_T0_E_clISt17integral_constantIbLb1EES1V_EEDaS1Q_S1R_EUlS1Q_E_NS1_11comp_targetILNS1_3genE3ELNS1_11target_archE908ELNS1_3gpuE7ELNS1_3repE0EEENS1_30default_config_static_selectorELNS0_4arch9wavefront6targetE0EEEvS13_.has_recursion, 0
	.set _ZN7rocprim17ROCPRIM_400000_NS6detail17trampoline_kernelINS0_13select_configILj256ELj13ELNS0_17block_load_methodE3ELS4_3ELS4_3ELNS0_20block_scan_algorithmE0ELj4294967295EEENS1_25partition_config_selectorILNS1_17partition_subalgoE4EjNS0_10empty_typeEbEEZZNS1_14partition_implILS8_4ELb0ES6_15HIP_vector_typeIjLj2EENS0_17counting_iteratorIjlEEPS9_SG_NS0_5tupleIJPjSI_NS0_16reverse_iteratorISI_EEEEENSH_IJSG_SG_SG_EEES9_SI_JZNS1_25segmented_radix_sort_implINS0_14default_configELb1EPK6__halfPSP_PKlPlN2at6native12_GLOBAL__N_18offset_tEEE10hipError_tPvRmT1_PNSt15iterator_traitsIS13_E10value_typeET2_T3_PNS14_IS19_E10value_typeET4_jRbjT5_S1F_jjP12ihipStream_tbEUljE_ZNSN_ISO_Lb1ESR_SS_SU_SV_SZ_EES10_S11_S12_S13_S17_S18_S19_S1C_S1D_jS1E_jS1F_S1F_jjS1H_bEUljE0_EEES10_S11_S12_S19_S1D_S1F_T6_T7_T9_mT8_S1H_bDpT10_ENKUlT_T0_E_clISt17integral_constantIbLb1EES1V_EEDaS1Q_S1R_EUlS1Q_E_NS1_11comp_targetILNS1_3genE3ELNS1_11target_archE908ELNS1_3gpuE7ELNS1_3repE0EEENS1_30default_config_static_selectorELNS0_4arch9wavefront6targetE0EEEvS13_.has_indirect_call, 0
	.section	.AMDGPU.csdata,"",@progbits
; Kernel info:
; codeLenInByte = 0
; TotalNumSgprs: 0
; NumVgprs: 0
; ScratchSize: 0
; MemoryBound: 0
; FloatMode: 240
; IeeeMode: 1
; LDSByteSize: 0 bytes/workgroup (compile time only)
; SGPRBlocks: 0
; VGPRBlocks: 0
; NumSGPRsForWavesPerEU: 1
; NumVGPRsForWavesPerEU: 1
; Occupancy: 16
; WaveLimiterHint : 0
; COMPUTE_PGM_RSRC2:SCRATCH_EN: 0
; COMPUTE_PGM_RSRC2:USER_SGPR: 2
; COMPUTE_PGM_RSRC2:TRAP_HANDLER: 0
; COMPUTE_PGM_RSRC2:TGID_X_EN: 1
; COMPUTE_PGM_RSRC2:TGID_Y_EN: 0
; COMPUTE_PGM_RSRC2:TGID_Z_EN: 0
; COMPUTE_PGM_RSRC2:TIDIG_COMP_CNT: 0
	.section	.text._ZN7rocprim17ROCPRIM_400000_NS6detail17trampoline_kernelINS0_13select_configILj256ELj13ELNS0_17block_load_methodE3ELS4_3ELS4_3ELNS0_20block_scan_algorithmE0ELj4294967295EEENS1_25partition_config_selectorILNS1_17partition_subalgoE4EjNS0_10empty_typeEbEEZZNS1_14partition_implILS8_4ELb0ES6_15HIP_vector_typeIjLj2EENS0_17counting_iteratorIjlEEPS9_SG_NS0_5tupleIJPjSI_NS0_16reverse_iteratorISI_EEEEENSH_IJSG_SG_SG_EEES9_SI_JZNS1_25segmented_radix_sort_implINS0_14default_configELb1EPK6__halfPSP_PKlPlN2at6native12_GLOBAL__N_18offset_tEEE10hipError_tPvRmT1_PNSt15iterator_traitsIS13_E10value_typeET2_T3_PNS14_IS19_E10value_typeET4_jRbjT5_S1F_jjP12ihipStream_tbEUljE_ZNSN_ISO_Lb1ESR_SS_SU_SV_SZ_EES10_S11_S12_S13_S17_S18_S19_S1C_S1D_jS1E_jS1F_S1F_jjS1H_bEUljE0_EEES10_S11_S12_S19_S1D_S1F_T6_T7_T9_mT8_S1H_bDpT10_ENKUlT_T0_E_clISt17integral_constantIbLb1EES1V_EEDaS1Q_S1R_EUlS1Q_E_NS1_11comp_targetILNS1_3genE2ELNS1_11target_archE906ELNS1_3gpuE6ELNS1_3repE0EEENS1_30default_config_static_selectorELNS0_4arch9wavefront6targetE0EEEvS13_,"axG",@progbits,_ZN7rocprim17ROCPRIM_400000_NS6detail17trampoline_kernelINS0_13select_configILj256ELj13ELNS0_17block_load_methodE3ELS4_3ELS4_3ELNS0_20block_scan_algorithmE0ELj4294967295EEENS1_25partition_config_selectorILNS1_17partition_subalgoE4EjNS0_10empty_typeEbEEZZNS1_14partition_implILS8_4ELb0ES6_15HIP_vector_typeIjLj2EENS0_17counting_iteratorIjlEEPS9_SG_NS0_5tupleIJPjSI_NS0_16reverse_iteratorISI_EEEEENSH_IJSG_SG_SG_EEES9_SI_JZNS1_25segmented_radix_sort_implINS0_14default_configELb1EPK6__halfPSP_PKlPlN2at6native12_GLOBAL__N_18offset_tEEE10hipError_tPvRmT1_PNSt15iterator_traitsIS13_E10value_typeET2_T3_PNS14_IS19_E10value_typeET4_jRbjT5_S1F_jjP12ihipStream_tbEUljE_ZNSN_ISO_Lb1ESR_SS_SU_SV_SZ_EES10_S11_S12_S13_S17_S18_S19_S1C_S1D_jS1E_jS1F_S1F_jjS1H_bEUljE0_EEES10_S11_S12_S19_S1D_S1F_T6_T7_T9_mT8_S1H_bDpT10_ENKUlT_T0_E_clISt17integral_constantIbLb1EES1V_EEDaS1Q_S1R_EUlS1Q_E_NS1_11comp_targetILNS1_3genE2ELNS1_11target_archE906ELNS1_3gpuE6ELNS1_3repE0EEENS1_30default_config_static_selectorELNS0_4arch9wavefront6targetE0EEEvS13_,comdat
	.globl	_ZN7rocprim17ROCPRIM_400000_NS6detail17trampoline_kernelINS0_13select_configILj256ELj13ELNS0_17block_load_methodE3ELS4_3ELS4_3ELNS0_20block_scan_algorithmE0ELj4294967295EEENS1_25partition_config_selectorILNS1_17partition_subalgoE4EjNS0_10empty_typeEbEEZZNS1_14partition_implILS8_4ELb0ES6_15HIP_vector_typeIjLj2EENS0_17counting_iteratorIjlEEPS9_SG_NS0_5tupleIJPjSI_NS0_16reverse_iteratorISI_EEEEENSH_IJSG_SG_SG_EEES9_SI_JZNS1_25segmented_radix_sort_implINS0_14default_configELb1EPK6__halfPSP_PKlPlN2at6native12_GLOBAL__N_18offset_tEEE10hipError_tPvRmT1_PNSt15iterator_traitsIS13_E10value_typeET2_T3_PNS14_IS19_E10value_typeET4_jRbjT5_S1F_jjP12ihipStream_tbEUljE_ZNSN_ISO_Lb1ESR_SS_SU_SV_SZ_EES10_S11_S12_S13_S17_S18_S19_S1C_S1D_jS1E_jS1F_S1F_jjS1H_bEUljE0_EEES10_S11_S12_S19_S1D_S1F_T6_T7_T9_mT8_S1H_bDpT10_ENKUlT_T0_E_clISt17integral_constantIbLb1EES1V_EEDaS1Q_S1R_EUlS1Q_E_NS1_11comp_targetILNS1_3genE2ELNS1_11target_archE906ELNS1_3gpuE6ELNS1_3repE0EEENS1_30default_config_static_selectorELNS0_4arch9wavefront6targetE0EEEvS13_ ; -- Begin function _ZN7rocprim17ROCPRIM_400000_NS6detail17trampoline_kernelINS0_13select_configILj256ELj13ELNS0_17block_load_methodE3ELS4_3ELS4_3ELNS0_20block_scan_algorithmE0ELj4294967295EEENS1_25partition_config_selectorILNS1_17partition_subalgoE4EjNS0_10empty_typeEbEEZZNS1_14partition_implILS8_4ELb0ES6_15HIP_vector_typeIjLj2EENS0_17counting_iteratorIjlEEPS9_SG_NS0_5tupleIJPjSI_NS0_16reverse_iteratorISI_EEEEENSH_IJSG_SG_SG_EEES9_SI_JZNS1_25segmented_radix_sort_implINS0_14default_configELb1EPK6__halfPSP_PKlPlN2at6native12_GLOBAL__N_18offset_tEEE10hipError_tPvRmT1_PNSt15iterator_traitsIS13_E10value_typeET2_T3_PNS14_IS19_E10value_typeET4_jRbjT5_S1F_jjP12ihipStream_tbEUljE_ZNSN_ISO_Lb1ESR_SS_SU_SV_SZ_EES10_S11_S12_S13_S17_S18_S19_S1C_S1D_jS1E_jS1F_S1F_jjS1H_bEUljE0_EEES10_S11_S12_S19_S1D_S1F_T6_T7_T9_mT8_S1H_bDpT10_ENKUlT_T0_E_clISt17integral_constantIbLb1EES1V_EEDaS1Q_S1R_EUlS1Q_E_NS1_11comp_targetILNS1_3genE2ELNS1_11target_archE906ELNS1_3gpuE6ELNS1_3repE0EEENS1_30default_config_static_selectorELNS0_4arch9wavefront6targetE0EEEvS13_
	.p2align	8
	.type	_ZN7rocprim17ROCPRIM_400000_NS6detail17trampoline_kernelINS0_13select_configILj256ELj13ELNS0_17block_load_methodE3ELS4_3ELS4_3ELNS0_20block_scan_algorithmE0ELj4294967295EEENS1_25partition_config_selectorILNS1_17partition_subalgoE4EjNS0_10empty_typeEbEEZZNS1_14partition_implILS8_4ELb0ES6_15HIP_vector_typeIjLj2EENS0_17counting_iteratorIjlEEPS9_SG_NS0_5tupleIJPjSI_NS0_16reverse_iteratorISI_EEEEENSH_IJSG_SG_SG_EEES9_SI_JZNS1_25segmented_radix_sort_implINS0_14default_configELb1EPK6__halfPSP_PKlPlN2at6native12_GLOBAL__N_18offset_tEEE10hipError_tPvRmT1_PNSt15iterator_traitsIS13_E10value_typeET2_T3_PNS14_IS19_E10value_typeET4_jRbjT5_S1F_jjP12ihipStream_tbEUljE_ZNSN_ISO_Lb1ESR_SS_SU_SV_SZ_EES10_S11_S12_S13_S17_S18_S19_S1C_S1D_jS1E_jS1F_S1F_jjS1H_bEUljE0_EEES10_S11_S12_S19_S1D_S1F_T6_T7_T9_mT8_S1H_bDpT10_ENKUlT_T0_E_clISt17integral_constantIbLb1EES1V_EEDaS1Q_S1R_EUlS1Q_E_NS1_11comp_targetILNS1_3genE2ELNS1_11target_archE906ELNS1_3gpuE6ELNS1_3repE0EEENS1_30default_config_static_selectorELNS0_4arch9wavefront6targetE0EEEvS13_,@function
_ZN7rocprim17ROCPRIM_400000_NS6detail17trampoline_kernelINS0_13select_configILj256ELj13ELNS0_17block_load_methodE3ELS4_3ELS4_3ELNS0_20block_scan_algorithmE0ELj4294967295EEENS1_25partition_config_selectorILNS1_17partition_subalgoE4EjNS0_10empty_typeEbEEZZNS1_14partition_implILS8_4ELb0ES6_15HIP_vector_typeIjLj2EENS0_17counting_iteratorIjlEEPS9_SG_NS0_5tupleIJPjSI_NS0_16reverse_iteratorISI_EEEEENSH_IJSG_SG_SG_EEES9_SI_JZNS1_25segmented_radix_sort_implINS0_14default_configELb1EPK6__halfPSP_PKlPlN2at6native12_GLOBAL__N_18offset_tEEE10hipError_tPvRmT1_PNSt15iterator_traitsIS13_E10value_typeET2_T3_PNS14_IS19_E10value_typeET4_jRbjT5_S1F_jjP12ihipStream_tbEUljE_ZNSN_ISO_Lb1ESR_SS_SU_SV_SZ_EES10_S11_S12_S13_S17_S18_S19_S1C_S1D_jS1E_jS1F_S1F_jjS1H_bEUljE0_EEES10_S11_S12_S19_S1D_S1F_T6_T7_T9_mT8_S1H_bDpT10_ENKUlT_T0_E_clISt17integral_constantIbLb1EES1V_EEDaS1Q_S1R_EUlS1Q_E_NS1_11comp_targetILNS1_3genE2ELNS1_11target_archE906ELNS1_3gpuE6ELNS1_3repE0EEENS1_30default_config_static_selectorELNS0_4arch9wavefront6targetE0EEEvS13_: ; @_ZN7rocprim17ROCPRIM_400000_NS6detail17trampoline_kernelINS0_13select_configILj256ELj13ELNS0_17block_load_methodE3ELS4_3ELS4_3ELNS0_20block_scan_algorithmE0ELj4294967295EEENS1_25partition_config_selectorILNS1_17partition_subalgoE4EjNS0_10empty_typeEbEEZZNS1_14partition_implILS8_4ELb0ES6_15HIP_vector_typeIjLj2EENS0_17counting_iteratorIjlEEPS9_SG_NS0_5tupleIJPjSI_NS0_16reverse_iteratorISI_EEEEENSH_IJSG_SG_SG_EEES9_SI_JZNS1_25segmented_radix_sort_implINS0_14default_configELb1EPK6__halfPSP_PKlPlN2at6native12_GLOBAL__N_18offset_tEEE10hipError_tPvRmT1_PNSt15iterator_traitsIS13_E10value_typeET2_T3_PNS14_IS19_E10value_typeET4_jRbjT5_S1F_jjP12ihipStream_tbEUljE_ZNSN_ISO_Lb1ESR_SS_SU_SV_SZ_EES10_S11_S12_S13_S17_S18_S19_S1C_S1D_jS1E_jS1F_S1F_jjS1H_bEUljE0_EEES10_S11_S12_S19_S1D_S1F_T6_T7_T9_mT8_S1H_bDpT10_ENKUlT_T0_E_clISt17integral_constantIbLb1EES1V_EEDaS1Q_S1R_EUlS1Q_E_NS1_11comp_targetILNS1_3genE2ELNS1_11target_archE906ELNS1_3gpuE6ELNS1_3repE0EEENS1_30default_config_static_selectorELNS0_4arch9wavefront6targetE0EEEvS13_
; %bb.0:
	.section	.rodata,"a",@progbits
	.p2align	6, 0x0
	.amdhsa_kernel _ZN7rocprim17ROCPRIM_400000_NS6detail17trampoline_kernelINS0_13select_configILj256ELj13ELNS0_17block_load_methodE3ELS4_3ELS4_3ELNS0_20block_scan_algorithmE0ELj4294967295EEENS1_25partition_config_selectorILNS1_17partition_subalgoE4EjNS0_10empty_typeEbEEZZNS1_14partition_implILS8_4ELb0ES6_15HIP_vector_typeIjLj2EENS0_17counting_iteratorIjlEEPS9_SG_NS0_5tupleIJPjSI_NS0_16reverse_iteratorISI_EEEEENSH_IJSG_SG_SG_EEES9_SI_JZNS1_25segmented_radix_sort_implINS0_14default_configELb1EPK6__halfPSP_PKlPlN2at6native12_GLOBAL__N_18offset_tEEE10hipError_tPvRmT1_PNSt15iterator_traitsIS13_E10value_typeET2_T3_PNS14_IS19_E10value_typeET4_jRbjT5_S1F_jjP12ihipStream_tbEUljE_ZNSN_ISO_Lb1ESR_SS_SU_SV_SZ_EES10_S11_S12_S13_S17_S18_S19_S1C_S1D_jS1E_jS1F_S1F_jjS1H_bEUljE0_EEES10_S11_S12_S19_S1D_S1F_T6_T7_T9_mT8_S1H_bDpT10_ENKUlT_T0_E_clISt17integral_constantIbLb1EES1V_EEDaS1Q_S1R_EUlS1Q_E_NS1_11comp_targetILNS1_3genE2ELNS1_11target_archE906ELNS1_3gpuE6ELNS1_3repE0EEENS1_30default_config_static_selectorELNS0_4arch9wavefront6targetE0EEEvS13_
		.amdhsa_group_segment_fixed_size 0
		.amdhsa_private_segment_fixed_size 0
		.amdhsa_kernarg_size 184
		.amdhsa_user_sgpr_count 2
		.amdhsa_user_sgpr_dispatch_ptr 0
		.amdhsa_user_sgpr_queue_ptr 0
		.amdhsa_user_sgpr_kernarg_segment_ptr 1
		.amdhsa_user_sgpr_dispatch_id 0
		.amdhsa_user_sgpr_private_segment_size 0
		.amdhsa_wavefront_size32 1
		.amdhsa_uses_dynamic_stack 0
		.amdhsa_enable_private_segment 0
		.amdhsa_system_sgpr_workgroup_id_x 1
		.amdhsa_system_sgpr_workgroup_id_y 0
		.amdhsa_system_sgpr_workgroup_id_z 0
		.amdhsa_system_sgpr_workgroup_info 0
		.amdhsa_system_vgpr_workitem_id 0
		.amdhsa_next_free_vgpr 1
		.amdhsa_next_free_sgpr 1
		.amdhsa_reserve_vcc 0
		.amdhsa_float_round_mode_32 0
		.amdhsa_float_round_mode_16_64 0
		.amdhsa_float_denorm_mode_32 3
		.amdhsa_float_denorm_mode_16_64 3
		.amdhsa_fp16_overflow 0
		.amdhsa_workgroup_processor_mode 1
		.amdhsa_memory_ordered 1
		.amdhsa_forward_progress 1
		.amdhsa_inst_pref_size 0
		.amdhsa_round_robin_scheduling 0
		.amdhsa_exception_fp_ieee_invalid_op 0
		.amdhsa_exception_fp_denorm_src 0
		.amdhsa_exception_fp_ieee_div_zero 0
		.amdhsa_exception_fp_ieee_overflow 0
		.amdhsa_exception_fp_ieee_underflow 0
		.amdhsa_exception_fp_ieee_inexact 0
		.amdhsa_exception_int_div_zero 0
	.end_amdhsa_kernel
	.section	.text._ZN7rocprim17ROCPRIM_400000_NS6detail17trampoline_kernelINS0_13select_configILj256ELj13ELNS0_17block_load_methodE3ELS4_3ELS4_3ELNS0_20block_scan_algorithmE0ELj4294967295EEENS1_25partition_config_selectorILNS1_17partition_subalgoE4EjNS0_10empty_typeEbEEZZNS1_14partition_implILS8_4ELb0ES6_15HIP_vector_typeIjLj2EENS0_17counting_iteratorIjlEEPS9_SG_NS0_5tupleIJPjSI_NS0_16reverse_iteratorISI_EEEEENSH_IJSG_SG_SG_EEES9_SI_JZNS1_25segmented_radix_sort_implINS0_14default_configELb1EPK6__halfPSP_PKlPlN2at6native12_GLOBAL__N_18offset_tEEE10hipError_tPvRmT1_PNSt15iterator_traitsIS13_E10value_typeET2_T3_PNS14_IS19_E10value_typeET4_jRbjT5_S1F_jjP12ihipStream_tbEUljE_ZNSN_ISO_Lb1ESR_SS_SU_SV_SZ_EES10_S11_S12_S13_S17_S18_S19_S1C_S1D_jS1E_jS1F_S1F_jjS1H_bEUljE0_EEES10_S11_S12_S19_S1D_S1F_T6_T7_T9_mT8_S1H_bDpT10_ENKUlT_T0_E_clISt17integral_constantIbLb1EES1V_EEDaS1Q_S1R_EUlS1Q_E_NS1_11comp_targetILNS1_3genE2ELNS1_11target_archE906ELNS1_3gpuE6ELNS1_3repE0EEENS1_30default_config_static_selectorELNS0_4arch9wavefront6targetE0EEEvS13_,"axG",@progbits,_ZN7rocprim17ROCPRIM_400000_NS6detail17trampoline_kernelINS0_13select_configILj256ELj13ELNS0_17block_load_methodE3ELS4_3ELS4_3ELNS0_20block_scan_algorithmE0ELj4294967295EEENS1_25partition_config_selectorILNS1_17partition_subalgoE4EjNS0_10empty_typeEbEEZZNS1_14partition_implILS8_4ELb0ES6_15HIP_vector_typeIjLj2EENS0_17counting_iteratorIjlEEPS9_SG_NS0_5tupleIJPjSI_NS0_16reverse_iteratorISI_EEEEENSH_IJSG_SG_SG_EEES9_SI_JZNS1_25segmented_radix_sort_implINS0_14default_configELb1EPK6__halfPSP_PKlPlN2at6native12_GLOBAL__N_18offset_tEEE10hipError_tPvRmT1_PNSt15iterator_traitsIS13_E10value_typeET2_T3_PNS14_IS19_E10value_typeET4_jRbjT5_S1F_jjP12ihipStream_tbEUljE_ZNSN_ISO_Lb1ESR_SS_SU_SV_SZ_EES10_S11_S12_S13_S17_S18_S19_S1C_S1D_jS1E_jS1F_S1F_jjS1H_bEUljE0_EEES10_S11_S12_S19_S1D_S1F_T6_T7_T9_mT8_S1H_bDpT10_ENKUlT_T0_E_clISt17integral_constantIbLb1EES1V_EEDaS1Q_S1R_EUlS1Q_E_NS1_11comp_targetILNS1_3genE2ELNS1_11target_archE906ELNS1_3gpuE6ELNS1_3repE0EEENS1_30default_config_static_selectorELNS0_4arch9wavefront6targetE0EEEvS13_,comdat
.Lfunc_end1687:
	.size	_ZN7rocprim17ROCPRIM_400000_NS6detail17trampoline_kernelINS0_13select_configILj256ELj13ELNS0_17block_load_methodE3ELS4_3ELS4_3ELNS0_20block_scan_algorithmE0ELj4294967295EEENS1_25partition_config_selectorILNS1_17partition_subalgoE4EjNS0_10empty_typeEbEEZZNS1_14partition_implILS8_4ELb0ES6_15HIP_vector_typeIjLj2EENS0_17counting_iteratorIjlEEPS9_SG_NS0_5tupleIJPjSI_NS0_16reverse_iteratorISI_EEEEENSH_IJSG_SG_SG_EEES9_SI_JZNS1_25segmented_radix_sort_implINS0_14default_configELb1EPK6__halfPSP_PKlPlN2at6native12_GLOBAL__N_18offset_tEEE10hipError_tPvRmT1_PNSt15iterator_traitsIS13_E10value_typeET2_T3_PNS14_IS19_E10value_typeET4_jRbjT5_S1F_jjP12ihipStream_tbEUljE_ZNSN_ISO_Lb1ESR_SS_SU_SV_SZ_EES10_S11_S12_S13_S17_S18_S19_S1C_S1D_jS1E_jS1F_S1F_jjS1H_bEUljE0_EEES10_S11_S12_S19_S1D_S1F_T6_T7_T9_mT8_S1H_bDpT10_ENKUlT_T0_E_clISt17integral_constantIbLb1EES1V_EEDaS1Q_S1R_EUlS1Q_E_NS1_11comp_targetILNS1_3genE2ELNS1_11target_archE906ELNS1_3gpuE6ELNS1_3repE0EEENS1_30default_config_static_selectorELNS0_4arch9wavefront6targetE0EEEvS13_, .Lfunc_end1687-_ZN7rocprim17ROCPRIM_400000_NS6detail17trampoline_kernelINS0_13select_configILj256ELj13ELNS0_17block_load_methodE3ELS4_3ELS4_3ELNS0_20block_scan_algorithmE0ELj4294967295EEENS1_25partition_config_selectorILNS1_17partition_subalgoE4EjNS0_10empty_typeEbEEZZNS1_14partition_implILS8_4ELb0ES6_15HIP_vector_typeIjLj2EENS0_17counting_iteratorIjlEEPS9_SG_NS0_5tupleIJPjSI_NS0_16reverse_iteratorISI_EEEEENSH_IJSG_SG_SG_EEES9_SI_JZNS1_25segmented_radix_sort_implINS0_14default_configELb1EPK6__halfPSP_PKlPlN2at6native12_GLOBAL__N_18offset_tEEE10hipError_tPvRmT1_PNSt15iterator_traitsIS13_E10value_typeET2_T3_PNS14_IS19_E10value_typeET4_jRbjT5_S1F_jjP12ihipStream_tbEUljE_ZNSN_ISO_Lb1ESR_SS_SU_SV_SZ_EES10_S11_S12_S13_S17_S18_S19_S1C_S1D_jS1E_jS1F_S1F_jjS1H_bEUljE0_EEES10_S11_S12_S19_S1D_S1F_T6_T7_T9_mT8_S1H_bDpT10_ENKUlT_T0_E_clISt17integral_constantIbLb1EES1V_EEDaS1Q_S1R_EUlS1Q_E_NS1_11comp_targetILNS1_3genE2ELNS1_11target_archE906ELNS1_3gpuE6ELNS1_3repE0EEENS1_30default_config_static_selectorELNS0_4arch9wavefront6targetE0EEEvS13_
                                        ; -- End function
	.set _ZN7rocprim17ROCPRIM_400000_NS6detail17trampoline_kernelINS0_13select_configILj256ELj13ELNS0_17block_load_methodE3ELS4_3ELS4_3ELNS0_20block_scan_algorithmE0ELj4294967295EEENS1_25partition_config_selectorILNS1_17partition_subalgoE4EjNS0_10empty_typeEbEEZZNS1_14partition_implILS8_4ELb0ES6_15HIP_vector_typeIjLj2EENS0_17counting_iteratorIjlEEPS9_SG_NS0_5tupleIJPjSI_NS0_16reverse_iteratorISI_EEEEENSH_IJSG_SG_SG_EEES9_SI_JZNS1_25segmented_radix_sort_implINS0_14default_configELb1EPK6__halfPSP_PKlPlN2at6native12_GLOBAL__N_18offset_tEEE10hipError_tPvRmT1_PNSt15iterator_traitsIS13_E10value_typeET2_T3_PNS14_IS19_E10value_typeET4_jRbjT5_S1F_jjP12ihipStream_tbEUljE_ZNSN_ISO_Lb1ESR_SS_SU_SV_SZ_EES10_S11_S12_S13_S17_S18_S19_S1C_S1D_jS1E_jS1F_S1F_jjS1H_bEUljE0_EEES10_S11_S12_S19_S1D_S1F_T6_T7_T9_mT8_S1H_bDpT10_ENKUlT_T0_E_clISt17integral_constantIbLb1EES1V_EEDaS1Q_S1R_EUlS1Q_E_NS1_11comp_targetILNS1_3genE2ELNS1_11target_archE906ELNS1_3gpuE6ELNS1_3repE0EEENS1_30default_config_static_selectorELNS0_4arch9wavefront6targetE0EEEvS13_.num_vgpr, 0
	.set _ZN7rocprim17ROCPRIM_400000_NS6detail17trampoline_kernelINS0_13select_configILj256ELj13ELNS0_17block_load_methodE3ELS4_3ELS4_3ELNS0_20block_scan_algorithmE0ELj4294967295EEENS1_25partition_config_selectorILNS1_17partition_subalgoE4EjNS0_10empty_typeEbEEZZNS1_14partition_implILS8_4ELb0ES6_15HIP_vector_typeIjLj2EENS0_17counting_iteratorIjlEEPS9_SG_NS0_5tupleIJPjSI_NS0_16reverse_iteratorISI_EEEEENSH_IJSG_SG_SG_EEES9_SI_JZNS1_25segmented_radix_sort_implINS0_14default_configELb1EPK6__halfPSP_PKlPlN2at6native12_GLOBAL__N_18offset_tEEE10hipError_tPvRmT1_PNSt15iterator_traitsIS13_E10value_typeET2_T3_PNS14_IS19_E10value_typeET4_jRbjT5_S1F_jjP12ihipStream_tbEUljE_ZNSN_ISO_Lb1ESR_SS_SU_SV_SZ_EES10_S11_S12_S13_S17_S18_S19_S1C_S1D_jS1E_jS1F_S1F_jjS1H_bEUljE0_EEES10_S11_S12_S19_S1D_S1F_T6_T7_T9_mT8_S1H_bDpT10_ENKUlT_T0_E_clISt17integral_constantIbLb1EES1V_EEDaS1Q_S1R_EUlS1Q_E_NS1_11comp_targetILNS1_3genE2ELNS1_11target_archE906ELNS1_3gpuE6ELNS1_3repE0EEENS1_30default_config_static_selectorELNS0_4arch9wavefront6targetE0EEEvS13_.num_agpr, 0
	.set _ZN7rocprim17ROCPRIM_400000_NS6detail17trampoline_kernelINS0_13select_configILj256ELj13ELNS0_17block_load_methodE3ELS4_3ELS4_3ELNS0_20block_scan_algorithmE0ELj4294967295EEENS1_25partition_config_selectorILNS1_17partition_subalgoE4EjNS0_10empty_typeEbEEZZNS1_14partition_implILS8_4ELb0ES6_15HIP_vector_typeIjLj2EENS0_17counting_iteratorIjlEEPS9_SG_NS0_5tupleIJPjSI_NS0_16reverse_iteratorISI_EEEEENSH_IJSG_SG_SG_EEES9_SI_JZNS1_25segmented_radix_sort_implINS0_14default_configELb1EPK6__halfPSP_PKlPlN2at6native12_GLOBAL__N_18offset_tEEE10hipError_tPvRmT1_PNSt15iterator_traitsIS13_E10value_typeET2_T3_PNS14_IS19_E10value_typeET4_jRbjT5_S1F_jjP12ihipStream_tbEUljE_ZNSN_ISO_Lb1ESR_SS_SU_SV_SZ_EES10_S11_S12_S13_S17_S18_S19_S1C_S1D_jS1E_jS1F_S1F_jjS1H_bEUljE0_EEES10_S11_S12_S19_S1D_S1F_T6_T7_T9_mT8_S1H_bDpT10_ENKUlT_T0_E_clISt17integral_constantIbLb1EES1V_EEDaS1Q_S1R_EUlS1Q_E_NS1_11comp_targetILNS1_3genE2ELNS1_11target_archE906ELNS1_3gpuE6ELNS1_3repE0EEENS1_30default_config_static_selectorELNS0_4arch9wavefront6targetE0EEEvS13_.numbered_sgpr, 0
	.set _ZN7rocprim17ROCPRIM_400000_NS6detail17trampoline_kernelINS0_13select_configILj256ELj13ELNS0_17block_load_methodE3ELS4_3ELS4_3ELNS0_20block_scan_algorithmE0ELj4294967295EEENS1_25partition_config_selectorILNS1_17partition_subalgoE4EjNS0_10empty_typeEbEEZZNS1_14partition_implILS8_4ELb0ES6_15HIP_vector_typeIjLj2EENS0_17counting_iteratorIjlEEPS9_SG_NS0_5tupleIJPjSI_NS0_16reverse_iteratorISI_EEEEENSH_IJSG_SG_SG_EEES9_SI_JZNS1_25segmented_radix_sort_implINS0_14default_configELb1EPK6__halfPSP_PKlPlN2at6native12_GLOBAL__N_18offset_tEEE10hipError_tPvRmT1_PNSt15iterator_traitsIS13_E10value_typeET2_T3_PNS14_IS19_E10value_typeET4_jRbjT5_S1F_jjP12ihipStream_tbEUljE_ZNSN_ISO_Lb1ESR_SS_SU_SV_SZ_EES10_S11_S12_S13_S17_S18_S19_S1C_S1D_jS1E_jS1F_S1F_jjS1H_bEUljE0_EEES10_S11_S12_S19_S1D_S1F_T6_T7_T9_mT8_S1H_bDpT10_ENKUlT_T0_E_clISt17integral_constantIbLb1EES1V_EEDaS1Q_S1R_EUlS1Q_E_NS1_11comp_targetILNS1_3genE2ELNS1_11target_archE906ELNS1_3gpuE6ELNS1_3repE0EEENS1_30default_config_static_selectorELNS0_4arch9wavefront6targetE0EEEvS13_.num_named_barrier, 0
	.set _ZN7rocprim17ROCPRIM_400000_NS6detail17trampoline_kernelINS0_13select_configILj256ELj13ELNS0_17block_load_methodE3ELS4_3ELS4_3ELNS0_20block_scan_algorithmE0ELj4294967295EEENS1_25partition_config_selectorILNS1_17partition_subalgoE4EjNS0_10empty_typeEbEEZZNS1_14partition_implILS8_4ELb0ES6_15HIP_vector_typeIjLj2EENS0_17counting_iteratorIjlEEPS9_SG_NS0_5tupleIJPjSI_NS0_16reverse_iteratorISI_EEEEENSH_IJSG_SG_SG_EEES9_SI_JZNS1_25segmented_radix_sort_implINS0_14default_configELb1EPK6__halfPSP_PKlPlN2at6native12_GLOBAL__N_18offset_tEEE10hipError_tPvRmT1_PNSt15iterator_traitsIS13_E10value_typeET2_T3_PNS14_IS19_E10value_typeET4_jRbjT5_S1F_jjP12ihipStream_tbEUljE_ZNSN_ISO_Lb1ESR_SS_SU_SV_SZ_EES10_S11_S12_S13_S17_S18_S19_S1C_S1D_jS1E_jS1F_S1F_jjS1H_bEUljE0_EEES10_S11_S12_S19_S1D_S1F_T6_T7_T9_mT8_S1H_bDpT10_ENKUlT_T0_E_clISt17integral_constantIbLb1EES1V_EEDaS1Q_S1R_EUlS1Q_E_NS1_11comp_targetILNS1_3genE2ELNS1_11target_archE906ELNS1_3gpuE6ELNS1_3repE0EEENS1_30default_config_static_selectorELNS0_4arch9wavefront6targetE0EEEvS13_.private_seg_size, 0
	.set _ZN7rocprim17ROCPRIM_400000_NS6detail17trampoline_kernelINS0_13select_configILj256ELj13ELNS0_17block_load_methodE3ELS4_3ELS4_3ELNS0_20block_scan_algorithmE0ELj4294967295EEENS1_25partition_config_selectorILNS1_17partition_subalgoE4EjNS0_10empty_typeEbEEZZNS1_14partition_implILS8_4ELb0ES6_15HIP_vector_typeIjLj2EENS0_17counting_iteratorIjlEEPS9_SG_NS0_5tupleIJPjSI_NS0_16reverse_iteratorISI_EEEEENSH_IJSG_SG_SG_EEES9_SI_JZNS1_25segmented_radix_sort_implINS0_14default_configELb1EPK6__halfPSP_PKlPlN2at6native12_GLOBAL__N_18offset_tEEE10hipError_tPvRmT1_PNSt15iterator_traitsIS13_E10value_typeET2_T3_PNS14_IS19_E10value_typeET4_jRbjT5_S1F_jjP12ihipStream_tbEUljE_ZNSN_ISO_Lb1ESR_SS_SU_SV_SZ_EES10_S11_S12_S13_S17_S18_S19_S1C_S1D_jS1E_jS1F_S1F_jjS1H_bEUljE0_EEES10_S11_S12_S19_S1D_S1F_T6_T7_T9_mT8_S1H_bDpT10_ENKUlT_T0_E_clISt17integral_constantIbLb1EES1V_EEDaS1Q_S1R_EUlS1Q_E_NS1_11comp_targetILNS1_3genE2ELNS1_11target_archE906ELNS1_3gpuE6ELNS1_3repE0EEENS1_30default_config_static_selectorELNS0_4arch9wavefront6targetE0EEEvS13_.uses_vcc, 0
	.set _ZN7rocprim17ROCPRIM_400000_NS6detail17trampoline_kernelINS0_13select_configILj256ELj13ELNS0_17block_load_methodE3ELS4_3ELS4_3ELNS0_20block_scan_algorithmE0ELj4294967295EEENS1_25partition_config_selectorILNS1_17partition_subalgoE4EjNS0_10empty_typeEbEEZZNS1_14partition_implILS8_4ELb0ES6_15HIP_vector_typeIjLj2EENS0_17counting_iteratorIjlEEPS9_SG_NS0_5tupleIJPjSI_NS0_16reverse_iteratorISI_EEEEENSH_IJSG_SG_SG_EEES9_SI_JZNS1_25segmented_radix_sort_implINS0_14default_configELb1EPK6__halfPSP_PKlPlN2at6native12_GLOBAL__N_18offset_tEEE10hipError_tPvRmT1_PNSt15iterator_traitsIS13_E10value_typeET2_T3_PNS14_IS19_E10value_typeET4_jRbjT5_S1F_jjP12ihipStream_tbEUljE_ZNSN_ISO_Lb1ESR_SS_SU_SV_SZ_EES10_S11_S12_S13_S17_S18_S19_S1C_S1D_jS1E_jS1F_S1F_jjS1H_bEUljE0_EEES10_S11_S12_S19_S1D_S1F_T6_T7_T9_mT8_S1H_bDpT10_ENKUlT_T0_E_clISt17integral_constantIbLb1EES1V_EEDaS1Q_S1R_EUlS1Q_E_NS1_11comp_targetILNS1_3genE2ELNS1_11target_archE906ELNS1_3gpuE6ELNS1_3repE0EEENS1_30default_config_static_selectorELNS0_4arch9wavefront6targetE0EEEvS13_.uses_flat_scratch, 0
	.set _ZN7rocprim17ROCPRIM_400000_NS6detail17trampoline_kernelINS0_13select_configILj256ELj13ELNS0_17block_load_methodE3ELS4_3ELS4_3ELNS0_20block_scan_algorithmE0ELj4294967295EEENS1_25partition_config_selectorILNS1_17partition_subalgoE4EjNS0_10empty_typeEbEEZZNS1_14partition_implILS8_4ELb0ES6_15HIP_vector_typeIjLj2EENS0_17counting_iteratorIjlEEPS9_SG_NS0_5tupleIJPjSI_NS0_16reverse_iteratorISI_EEEEENSH_IJSG_SG_SG_EEES9_SI_JZNS1_25segmented_radix_sort_implINS0_14default_configELb1EPK6__halfPSP_PKlPlN2at6native12_GLOBAL__N_18offset_tEEE10hipError_tPvRmT1_PNSt15iterator_traitsIS13_E10value_typeET2_T3_PNS14_IS19_E10value_typeET4_jRbjT5_S1F_jjP12ihipStream_tbEUljE_ZNSN_ISO_Lb1ESR_SS_SU_SV_SZ_EES10_S11_S12_S13_S17_S18_S19_S1C_S1D_jS1E_jS1F_S1F_jjS1H_bEUljE0_EEES10_S11_S12_S19_S1D_S1F_T6_T7_T9_mT8_S1H_bDpT10_ENKUlT_T0_E_clISt17integral_constantIbLb1EES1V_EEDaS1Q_S1R_EUlS1Q_E_NS1_11comp_targetILNS1_3genE2ELNS1_11target_archE906ELNS1_3gpuE6ELNS1_3repE0EEENS1_30default_config_static_selectorELNS0_4arch9wavefront6targetE0EEEvS13_.has_dyn_sized_stack, 0
	.set _ZN7rocprim17ROCPRIM_400000_NS6detail17trampoline_kernelINS0_13select_configILj256ELj13ELNS0_17block_load_methodE3ELS4_3ELS4_3ELNS0_20block_scan_algorithmE0ELj4294967295EEENS1_25partition_config_selectorILNS1_17partition_subalgoE4EjNS0_10empty_typeEbEEZZNS1_14partition_implILS8_4ELb0ES6_15HIP_vector_typeIjLj2EENS0_17counting_iteratorIjlEEPS9_SG_NS0_5tupleIJPjSI_NS0_16reverse_iteratorISI_EEEEENSH_IJSG_SG_SG_EEES9_SI_JZNS1_25segmented_radix_sort_implINS0_14default_configELb1EPK6__halfPSP_PKlPlN2at6native12_GLOBAL__N_18offset_tEEE10hipError_tPvRmT1_PNSt15iterator_traitsIS13_E10value_typeET2_T3_PNS14_IS19_E10value_typeET4_jRbjT5_S1F_jjP12ihipStream_tbEUljE_ZNSN_ISO_Lb1ESR_SS_SU_SV_SZ_EES10_S11_S12_S13_S17_S18_S19_S1C_S1D_jS1E_jS1F_S1F_jjS1H_bEUljE0_EEES10_S11_S12_S19_S1D_S1F_T6_T7_T9_mT8_S1H_bDpT10_ENKUlT_T0_E_clISt17integral_constantIbLb1EES1V_EEDaS1Q_S1R_EUlS1Q_E_NS1_11comp_targetILNS1_3genE2ELNS1_11target_archE906ELNS1_3gpuE6ELNS1_3repE0EEENS1_30default_config_static_selectorELNS0_4arch9wavefront6targetE0EEEvS13_.has_recursion, 0
	.set _ZN7rocprim17ROCPRIM_400000_NS6detail17trampoline_kernelINS0_13select_configILj256ELj13ELNS0_17block_load_methodE3ELS4_3ELS4_3ELNS0_20block_scan_algorithmE0ELj4294967295EEENS1_25partition_config_selectorILNS1_17partition_subalgoE4EjNS0_10empty_typeEbEEZZNS1_14partition_implILS8_4ELb0ES6_15HIP_vector_typeIjLj2EENS0_17counting_iteratorIjlEEPS9_SG_NS0_5tupleIJPjSI_NS0_16reverse_iteratorISI_EEEEENSH_IJSG_SG_SG_EEES9_SI_JZNS1_25segmented_radix_sort_implINS0_14default_configELb1EPK6__halfPSP_PKlPlN2at6native12_GLOBAL__N_18offset_tEEE10hipError_tPvRmT1_PNSt15iterator_traitsIS13_E10value_typeET2_T3_PNS14_IS19_E10value_typeET4_jRbjT5_S1F_jjP12ihipStream_tbEUljE_ZNSN_ISO_Lb1ESR_SS_SU_SV_SZ_EES10_S11_S12_S13_S17_S18_S19_S1C_S1D_jS1E_jS1F_S1F_jjS1H_bEUljE0_EEES10_S11_S12_S19_S1D_S1F_T6_T7_T9_mT8_S1H_bDpT10_ENKUlT_T0_E_clISt17integral_constantIbLb1EES1V_EEDaS1Q_S1R_EUlS1Q_E_NS1_11comp_targetILNS1_3genE2ELNS1_11target_archE906ELNS1_3gpuE6ELNS1_3repE0EEENS1_30default_config_static_selectorELNS0_4arch9wavefront6targetE0EEEvS13_.has_indirect_call, 0
	.section	.AMDGPU.csdata,"",@progbits
; Kernel info:
; codeLenInByte = 0
; TotalNumSgprs: 0
; NumVgprs: 0
; ScratchSize: 0
; MemoryBound: 0
; FloatMode: 240
; IeeeMode: 1
; LDSByteSize: 0 bytes/workgroup (compile time only)
; SGPRBlocks: 0
; VGPRBlocks: 0
; NumSGPRsForWavesPerEU: 1
; NumVGPRsForWavesPerEU: 1
; Occupancy: 16
; WaveLimiterHint : 0
; COMPUTE_PGM_RSRC2:SCRATCH_EN: 0
; COMPUTE_PGM_RSRC2:USER_SGPR: 2
; COMPUTE_PGM_RSRC2:TRAP_HANDLER: 0
; COMPUTE_PGM_RSRC2:TGID_X_EN: 1
; COMPUTE_PGM_RSRC2:TGID_Y_EN: 0
; COMPUTE_PGM_RSRC2:TGID_Z_EN: 0
; COMPUTE_PGM_RSRC2:TIDIG_COMP_CNT: 0
	.section	.text._ZN7rocprim17ROCPRIM_400000_NS6detail17trampoline_kernelINS0_13select_configILj256ELj13ELNS0_17block_load_methodE3ELS4_3ELS4_3ELNS0_20block_scan_algorithmE0ELj4294967295EEENS1_25partition_config_selectorILNS1_17partition_subalgoE4EjNS0_10empty_typeEbEEZZNS1_14partition_implILS8_4ELb0ES6_15HIP_vector_typeIjLj2EENS0_17counting_iteratorIjlEEPS9_SG_NS0_5tupleIJPjSI_NS0_16reverse_iteratorISI_EEEEENSH_IJSG_SG_SG_EEES9_SI_JZNS1_25segmented_radix_sort_implINS0_14default_configELb1EPK6__halfPSP_PKlPlN2at6native12_GLOBAL__N_18offset_tEEE10hipError_tPvRmT1_PNSt15iterator_traitsIS13_E10value_typeET2_T3_PNS14_IS19_E10value_typeET4_jRbjT5_S1F_jjP12ihipStream_tbEUljE_ZNSN_ISO_Lb1ESR_SS_SU_SV_SZ_EES10_S11_S12_S13_S17_S18_S19_S1C_S1D_jS1E_jS1F_S1F_jjS1H_bEUljE0_EEES10_S11_S12_S19_S1D_S1F_T6_T7_T9_mT8_S1H_bDpT10_ENKUlT_T0_E_clISt17integral_constantIbLb1EES1V_EEDaS1Q_S1R_EUlS1Q_E_NS1_11comp_targetILNS1_3genE10ELNS1_11target_archE1200ELNS1_3gpuE4ELNS1_3repE0EEENS1_30default_config_static_selectorELNS0_4arch9wavefront6targetE0EEEvS13_,"axG",@progbits,_ZN7rocprim17ROCPRIM_400000_NS6detail17trampoline_kernelINS0_13select_configILj256ELj13ELNS0_17block_load_methodE3ELS4_3ELS4_3ELNS0_20block_scan_algorithmE0ELj4294967295EEENS1_25partition_config_selectorILNS1_17partition_subalgoE4EjNS0_10empty_typeEbEEZZNS1_14partition_implILS8_4ELb0ES6_15HIP_vector_typeIjLj2EENS0_17counting_iteratorIjlEEPS9_SG_NS0_5tupleIJPjSI_NS0_16reverse_iteratorISI_EEEEENSH_IJSG_SG_SG_EEES9_SI_JZNS1_25segmented_radix_sort_implINS0_14default_configELb1EPK6__halfPSP_PKlPlN2at6native12_GLOBAL__N_18offset_tEEE10hipError_tPvRmT1_PNSt15iterator_traitsIS13_E10value_typeET2_T3_PNS14_IS19_E10value_typeET4_jRbjT5_S1F_jjP12ihipStream_tbEUljE_ZNSN_ISO_Lb1ESR_SS_SU_SV_SZ_EES10_S11_S12_S13_S17_S18_S19_S1C_S1D_jS1E_jS1F_S1F_jjS1H_bEUljE0_EEES10_S11_S12_S19_S1D_S1F_T6_T7_T9_mT8_S1H_bDpT10_ENKUlT_T0_E_clISt17integral_constantIbLb1EES1V_EEDaS1Q_S1R_EUlS1Q_E_NS1_11comp_targetILNS1_3genE10ELNS1_11target_archE1200ELNS1_3gpuE4ELNS1_3repE0EEENS1_30default_config_static_selectorELNS0_4arch9wavefront6targetE0EEEvS13_,comdat
	.globl	_ZN7rocprim17ROCPRIM_400000_NS6detail17trampoline_kernelINS0_13select_configILj256ELj13ELNS0_17block_load_methodE3ELS4_3ELS4_3ELNS0_20block_scan_algorithmE0ELj4294967295EEENS1_25partition_config_selectorILNS1_17partition_subalgoE4EjNS0_10empty_typeEbEEZZNS1_14partition_implILS8_4ELb0ES6_15HIP_vector_typeIjLj2EENS0_17counting_iteratorIjlEEPS9_SG_NS0_5tupleIJPjSI_NS0_16reverse_iteratorISI_EEEEENSH_IJSG_SG_SG_EEES9_SI_JZNS1_25segmented_radix_sort_implINS0_14default_configELb1EPK6__halfPSP_PKlPlN2at6native12_GLOBAL__N_18offset_tEEE10hipError_tPvRmT1_PNSt15iterator_traitsIS13_E10value_typeET2_T3_PNS14_IS19_E10value_typeET4_jRbjT5_S1F_jjP12ihipStream_tbEUljE_ZNSN_ISO_Lb1ESR_SS_SU_SV_SZ_EES10_S11_S12_S13_S17_S18_S19_S1C_S1D_jS1E_jS1F_S1F_jjS1H_bEUljE0_EEES10_S11_S12_S19_S1D_S1F_T6_T7_T9_mT8_S1H_bDpT10_ENKUlT_T0_E_clISt17integral_constantIbLb1EES1V_EEDaS1Q_S1R_EUlS1Q_E_NS1_11comp_targetILNS1_3genE10ELNS1_11target_archE1200ELNS1_3gpuE4ELNS1_3repE0EEENS1_30default_config_static_selectorELNS0_4arch9wavefront6targetE0EEEvS13_ ; -- Begin function _ZN7rocprim17ROCPRIM_400000_NS6detail17trampoline_kernelINS0_13select_configILj256ELj13ELNS0_17block_load_methodE3ELS4_3ELS4_3ELNS0_20block_scan_algorithmE0ELj4294967295EEENS1_25partition_config_selectorILNS1_17partition_subalgoE4EjNS0_10empty_typeEbEEZZNS1_14partition_implILS8_4ELb0ES6_15HIP_vector_typeIjLj2EENS0_17counting_iteratorIjlEEPS9_SG_NS0_5tupleIJPjSI_NS0_16reverse_iteratorISI_EEEEENSH_IJSG_SG_SG_EEES9_SI_JZNS1_25segmented_radix_sort_implINS0_14default_configELb1EPK6__halfPSP_PKlPlN2at6native12_GLOBAL__N_18offset_tEEE10hipError_tPvRmT1_PNSt15iterator_traitsIS13_E10value_typeET2_T3_PNS14_IS19_E10value_typeET4_jRbjT5_S1F_jjP12ihipStream_tbEUljE_ZNSN_ISO_Lb1ESR_SS_SU_SV_SZ_EES10_S11_S12_S13_S17_S18_S19_S1C_S1D_jS1E_jS1F_S1F_jjS1H_bEUljE0_EEES10_S11_S12_S19_S1D_S1F_T6_T7_T9_mT8_S1H_bDpT10_ENKUlT_T0_E_clISt17integral_constantIbLb1EES1V_EEDaS1Q_S1R_EUlS1Q_E_NS1_11comp_targetILNS1_3genE10ELNS1_11target_archE1200ELNS1_3gpuE4ELNS1_3repE0EEENS1_30default_config_static_selectorELNS0_4arch9wavefront6targetE0EEEvS13_
	.p2align	8
	.type	_ZN7rocprim17ROCPRIM_400000_NS6detail17trampoline_kernelINS0_13select_configILj256ELj13ELNS0_17block_load_methodE3ELS4_3ELS4_3ELNS0_20block_scan_algorithmE0ELj4294967295EEENS1_25partition_config_selectorILNS1_17partition_subalgoE4EjNS0_10empty_typeEbEEZZNS1_14partition_implILS8_4ELb0ES6_15HIP_vector_typeIjLj2EENS0_17counting_iteratorIjlEEPS9_SG_NS0_5tupleIJPjSI_NS0_16reverse_iteratorISI_EEEEENSH_IJSG_SG_SG_EEES9_SI_JZNS1_25segmented_radix_sort_implINS0_14default_configELb1EPK6__halfPSP_PKlPlN2at6native12_GLOBAL__N_18offset_tEEE10hipError_tPvRmT1_PNSt15iterator_traitsIS13_E10value_typeET2_T3_PNS14_IS19_E10value_typeET4_jRbjT5_S1F_jjP12ihipStream_tbEUljE_ZNSN_ISO_Lb1ESR_SS_SU_SV_SZ_EES10_S11_S12_S13_S17_S18_S19_S1C_S1D_jS1E_jS1F_S1F_jjS1H_bEUljE0_EEES10_S11_S12_S19_S1D_S1F_T6_T7_T9_mT8_S1H_bDpT10_ENKUlT_T0_E_clISt17integral_constantIbLb1EES1V_EEDaS1Q_S1R_EUlS1Q_E_NS1_11comp_targetILNS1_3genE10ELNS1_11target_archE1200ELNS1_3gpuE4ELNS1_3repE0EEENS1_30default_config_static_selectorELNS0_4arch9wavefront6targetE0EEEvS13_,@function
_ZN7rocprim17ROCPRIM_400000_NS6detail17trampoline_kernelINS0_13select_configILj256ELj13ELNS0_17block_load_methodE3ELS4_3ELS4_3ELNS0_20block_scan_algorithmE0ELj4294967295EEENS1_25partition_config_selectorILNS1_17partition_subalgoE4EjNS0_10empty_typeEbEEZZNS1_14partition_implILS8_4ELb0ES6_15HIP_vector_typeIjLj2EENS0_17counting_iteratorIjlEEPS9_SG_NS0_5tupleIJPjSI_NS0_16reverse_iteratorISI_EEEEENSH_IJSG_SG_SG_EEES9_SI_JZNS1_25segmented_radix_sort_implINS0_14default_configELb1EPK6__halfPSP_PKlPlN2at6native12_GLOBAL__N_18offset_tEEE10hipError_tPvRmT1_PNSt15iterator_traitsIS13_E10value_typeET2_T3_PNS14_IS19_E10value_typeET4_jRbjT5_S1F_jjP12ihipStream_tbEUljE_ZNSN_ISO_Lb1ESR_SS_SU_SV_SZ_EES10_S11_S12_S13_S17_S18_S19_S1C_S1D_jS1E_jS1F_S1F_jjS1H_bEUljE0_EEES10_S11_S12_S19_S1D_S1F_T6_T7_T9_mT8_S1H_bDpT10_ENKUlT_T0_E_clISt17integral_constantIbLb1EES1V_EEDaS1Q_S1R_EUlS1Q_E_NS1_11comp_targetILNS1_3genE10ELNS1_11target_archE1200ELNS1_3gpuE4ELNS1_3repE0EEENS1_30default_config_static_selectorELNS0_4arch9wavefront6targetE0EEEvS13_: ; @_ZN7rocprim17ROCPRIM_400000_NS6detail17trampoline_kernelINS0_13select_configILj256ELj13ELNS0_17block_load_methodE3ELS4_3ELS4_3ELNS0_20block_scan_algorithmE0ELj4294967295EEENS1_25partition_config_selectorILNS1_17partition_subalgoE4EjNS0_10empty_typeEbEEZZNS1_14partition_implILS8_4ELb0ES6_15HIP_vector_typeIjLj2EENS0_17counting_iteratorIjlEEPS9_SG_NS0_5tupleIJPjSI_NS0_16reverse_iteratorISI_EEEEENSH_IJSG_SG_SG_EEES9_SI_JZNS1_25segmented_radix_sort_implINS0_14default_configELb1EPK6__halfPSP_PKlPlN2at6native12_GLOBAL__N_18offset_tEEE10hipError_tPvRmT1_PNSt15iterator_traitsIS13_E10value_typeET2_T3_PNS14_IS19_E10value_typeET4_jRbjT5_S1F_jjP12ihipStream_tbEUljE_ZNSN_ISO_Lb1ESR_SS_SU_SV_SZ_EES10_S11_S12_S13_S17_S18_S19_S1C_S1D_jS1E_jS1F_S1F_jjS1H_bEUljE0_EEES10_S11_S12_S19_S1D_S1F_T6_T7_T9_mT8_S1H_bDpT10_ENKUlT_T0_E_clISt17integral_constantIbLb1EES1V_EEDaS1Q_S1R_EUlS1Q_E_NS1_11comp_targetILNS1_3genE10ELNS1_11target_archE1200ELNS1_3gpuE4ELNS1_3repE0EEENS1_30default_config_static_selectorELNS0_4arch9wavefront6targetE0EEEvS13_
; %bb.0:
	s_endpgm
	.section	.rodata,"a",@progbits
	.p2align	6, 0x0
	.amdhsa_kernel _ZN7rocprim17ROCPRIM_400000_NS6detail17trampoline_kernelINS0_13select_configILj256ELj13ELNS0_17block_load_methodE3ELS4_3ELS4_3ELNS0_20block_scan_algorithmE0ELj4294967295EEENS1_25partition_config_selectorILNS1_17partition_subalgoE4EjNS0_10empty_typeEbEEZZNS1_14partition_implILS8_4ELb0ES6_15HIP_vector_typeIjLj2EENS0_17counting_iteratorIjlEEPS9_SG_NS0_5tupleIJPjSI_NS0_16reverse_iteratorISI_EEEEENSH_IJSG_SG_SG_EEES9_SI_JZNS1_25segmented_radix_sort_implINS0_14default_configELb1EPK6__halfPSP_PKlPlN2at6native12_GLOBAL__N_18offset_tEEE10hipError_tPvRmT1_PNSt15iterator_traitsIS13_E10value_typeET2_T3_PNS14_IS19_E10value_typeET4_jRbjT5_S1F_jjP12ihipStream_tbEUljE_ZNSN_ISO_Lb1ESR_SS_SU_SV_SZ_EES10_S11_S12_S13_S17_S18_S19_S1C_S1D_jS1E_jS1F_S1F_jjS1H_bEUljE0_EEES10_S11_S12_S19_S1D_S1F_T6_T7_T9_mT8_S1H_bDpT10_ENKUlT_T0_E_clISt17integral_constantIbLb1EES1V_EEDaS1Q_S1R_EUlS1Q_E_NS1_11comp_targetILNS1_3genE10ELNS1_11target_archE1200ELNS1_3gpuE4ELNS1_3repE0EEENS1_30default_config_static_selectorELNS0_4arch9wavefront6targetE0EEEvS13_
		.amdhsa_group_segment_fixed_size 0
		.amdhsa_private_segment_fixed_size 0
		.amdhsa_kernarg_size 184
		.amdhsa_user_sgpr_count 2
		.amdhsa_user_sgpr_dispatch_ptr 0
		.amdhsa_user_sgpr_queue_ptr 0
		.amdhsa_user_sgpr_kernarg_segment_ptr 1
		.amdhsa_user_sgpr_dispatch_id 0
		.amdhsa_user_sgpr_private_segment_size 0
		.amdhsa_wavefront_size32 1
		.amdhsa_uses_dynamic_stack 0
		.amdhsa_enable_private_segment 0
		.amdhsa_system_sgpr_workgroup_id_x 1
		.amdhsa_system_sgpr_workgroup_id_y 0
		.amdhsa_system_sgpr_workgroup_id_z 0
		.amdhsa_system_sgpr_workgroup_info 0
		.amdhsa_system_vgpr_workitem_id 0
		.amdhsa_next_free_vgpr 1
		.amdhsa_next_free_sgpr 1
		.amdhsa_reserve_vcc 0
		.amdhsa_float_round_mode_32 0
		.amdhsa_float_round_mode_16_64 0
		.amdhsa_float_denorm_mode_32 3
		.amdhsa_float_denorm_mode_16_64 3
		.amdhsa_fp16_overflow 0
		.amdhsa_workgroup_processor_mode 1
		.amdhsa_memory_ordered 1
		.amdhsa_forward_progress 1
		.amdhsa_inst_pref_size 1
		.amdhsa_round_robin_scheduling 0
		.amdhsa_exception_fp_ieee_invalid_op 0
		.amdhsa_exception_fp_denorm_src 0
		.amdhsa_exception_fp_ieee_div_zero 0
		.amdhsa_exception_fp_ieee_overflow 0
		.amdhsa_exception_fp_ieee_underflow 0
		.amdhsa_exception_fp_ieee_inexact 0
		.amdhsa_exception_int_div_zero 0
	.end_amdhsa_kernel
	.section	.text._ZN7rocprim17ROCPRIM_400000_NS6detail17trampoline_kernelINS0_13select_configILj256ELj13ELNS0_17block_load_methodE3ELS4_3ELS4_3ELNS0_20block_scan_algorithmE0ELj4294967295EEENS1_25partition_config_selectorILNS1_17partition_subalgoE4EjNS0_10empty_typeEbEEZZNS1_14partition_implILS8_4ELb0ES6_15HIP_vector_typeIjLj2EENS0_17counting_iteratorIjlEEPS9_SG_NS0_5tupleIJPjSI_NS0_16reverse_iteratorISI_EEEEENSH_IJSG_SG_SG_EEES9_SI_JZNS1_25segmented_radix_sort_implINS0_14default_configELb1EPK6__halfPSP_PKlPlN2at6native12_GLOBAL__N_18offset_tEEE10hipError_tPvRmT1_PNSt15iterator_traitsIS13_E10value_typeET2_T3_PNS14_IS19_E10value_typeET4_jRbjT5_S1F_jjP12ihipStream_tbEUljE_ZNSN_ISO_Lb1ESR_SS_SU_SV_SZ_EES10_S11_S12_S13_S17_S18_S19_S1C_S1D_jS1E_jS1F_S1F_jjS1H_bEUljE0_EEES10_S11_S12_S19_S1D_S1F_T6_T7_T9_mT8_S1H_bDpT10_ENKUlT_T0_E_clISt17integral_constantIbLb1EES1V_EEDaS1Q_S1R_EUlS1Q_E_NS1_11comp_targetILNS1_3genE10ELNS1_11target_archE1200ELNS1_3gpuE4ELNS1_3repE0EEENS1_30default_config_static_selectorELNS0_4arch9wavefront6targetE0EEEvS13_,"axG",@progbits,_ZN7rocprim17ROCPRIM_400000_NS6detail17trampoline_kernelINS0_13select_configILj256ELj13ELNS0_17block_load_methodE3ELS4_3ELS4_3ELNS0_20block_scan_algorithmE0ELj4294967295EEENS1_25partition_config_selectorILNS1_17partition_subalgoE4EjNS0_10empty_typeEbEEZZNS1_14partition_implILS8_4ELb0ES6_15HIP_vector_typeIjLj2EENS0_17counting_iteratorIjlEEPS9_SG_NS0_5tupleIJPjSI_NS0_16reverse_iteratorISI_EEEEENSH_IJSG_SG_SG_EEES9_SI_JZNS1_25segmented_radix_sort_implINS0_14default_configELb1EPK6__halfPSP_PKlPlN2at6native12_GLOBAL__N_18offset_tEEE10hipError_tPvRmT1_PNSt15iterator_traitsIS13_E10value_typeET2_T3_PNS14_IS19_E10value_typeET4_jRbjT5_S1F_jjP12ihipStream_tbEUljE_ZNSN_ISO_Lb1ESR_SS_SU_SV_SZ_EES10_S11_S12_S13_S17_S18_S19_S1C_S1D_jS1E_jS1F_S1F_jjS1H_bEUljE0_EEES10_S11_S12_S19_S1D_S1F_T6_T7_T9_mT8_S1H_bDpT10_ENKUlT_T0_E_clISt17integral_constantIbLb1EES1V_EEDaS1Q_S1R_EUlS1Q_E_NS1_11comp_targetILNS1_3genE10ELNS1_11target_archE1200ELNS1_3gpuE4ELNS1_3repE0EEENS1_30default_config_static_selectorELNS0_4arch9wavefront6targetE0EEEvS13_,comdat
.Lfunc_end1688:
	.size	_ZN7rocprim17ROCPRIM_400000_NS6detail17trampoline_kernelINS0_13select_configILj256ELj13ELNS0_17block_load_methodE3ELS4_3ELS4_3ELNS0_20block_scan_algorithmE0ELj4294967295EEENS1_25partition_config_selectorILNS1_17partition_subalgoE4EjNS0_10empty_typeEbEEZZNS1_14partition_implILS8_4ELb0ES6_15HIP_vector_typeIjLj2EENS0_17counting_iteratorIjlEEPS9_SG_NS0_5tupleIJPjSI_NS0_16reverse_iteratorISI_EEEEENSH_IJSG_SG_SG_EEES9_SI_JZNS1_25segmented_radix_sort_implINS0_14default_configELb1EPK6__halfPSP_PKlPlN2at6native12_GLOBAL__N_18offset_tEEE10hipError_tPvRmT1_PNSt15iterator_traitsIS13_E10value_typeET2_T3_PNS14_IS19_E10value_typeET4_jRbjT5_S1F_jjP12ihipStream_tbEUljE_ZNSN_ISO_Lb1ESR_SS_SU_SV_SZ_EES10_S11_S12_S13_S17_S18_S19_S1C_S1D_jS1E_jS1F_S1F_jjS1H_bEUljE0_EEES10_S11_S12_S19_S1D_S1F_T6_T7_T9_mT8_S1H_bDpT10_ENKUlT_T0_E_clISt17integral_constantIbLb1EES1V_EEDaS1Q_S1R_EUlS1Q_E_NS1_11comp_targetILNS1_3genE10ELNS1_11target_archE1200ELNS1_3gpuE4ELNS1_3repE0EEENS1_30default_config_static_selectorELNS0_4arch9wavefront6targetE0EEEvS13_, .Lfunc_end1688-_ZN7rocprim17ROCPRIM_400000_NS6detail17trampoline_kernelINS0_13select_configILj256ELj13ELNS0_17block_load_methodE3ELS4_3ELS4_3ELNS0_20block_scan_algorithmE0ELj4294967295EEENS1_25partition_config_selectorILNS1_17partition_subalgoE4EjNS0_10empty_typeEbEEZZNS1_14partition_implILS8_4ELb0ES6_15HIP_vector_typeIjLj2EENS0_17counting_iteratorIjlEEPS9_SG_NS0_5tupleIJPjSI_NS0_16reverse_iteratorISI_EEEEENSH_IJSG_SG_SG_EEES9_SI_JZNS1_25segmented_radix_sort_implINS0_14default_configELb1EPK6__halfPSP_PKlPlN2at6native12_GLOBAL__N_18offset_tEEE10hipError_tPvRmT1_PNSt15iterator_traitsIS13_E10value_typeET2_T3_PNS14_IS19_E10value_typeET4_jRbjT5_S1F_jjP12ihipStream_tbEUljE_ZNSN_ISO_Lb1ESR_SS_SU_SV_SZ_EES10_S11_S12_S13_S17_S18_S19_S1C_S1D_jS1E_jS1F_S1F_jjS1H_bEUljE0_EEES10_S11_S12_S19_S1D_S1F_T6_T7_T9_mT8_S1H_bDpT10_ENKUlT_T0_E_clISt17integral_constantIbLb1EES1V_EEDaS1Q_S1R_EUlS1Q_E_NS1_11comp_targetILNS1_3genE10ELNS1_11target_archE1200ELNS1_3gpuE4ELNS1_3repE0EEENS1_30default_config_static_selectorELNS0_4arch9wavefront6targetE0EEEvS13_
                                        ; -- End function
	.set _ZN7rocprim17ROCPRIM_400000_NS6detail17trampoline_kernelINS0_13select_configILj256ELj13ELNS0_17block_load_methodE3ELS4_3ELS4_3ELNS0_20block_scan_algorithmE0ELj4294967295EEENS1_25partition_config_selectorILNS1_17partition_subalgoE4EjNS0_10empty_typeEbEEZZNS1_14partition_implILS8_4ELb0ES6_15HIP_vector_typeIjLj2EENS0_17counting_iteratorIjlEEPS9_SG_NS0_5tupleIJPjSI_NS0_16reverse_iteratorISI_EEEEENSH_IJSG_SG_SG_EEES9_SI_JZNS1_25segmented_radix_sort_implINS0_14default_configELb1EPK6__halfPSP_PKlPlN2at6native12_GLOBAL__N_18offset_tEEE10hipError_tPvRmT1_PNSt15iterator_traitsIS13_E10value_typeET2_T3_PNS14_IS19_E10value_typeET4_jRbjT5_S1F_jjP12ihipStream_tbEUljE_ZNSN_ISO_Lb1ESR_SS_SU_SV_SZ_EES10_S11_S12_S13_S17_S18_S19_S1C_S1D_jS1E_jS1F_S1F_jjS1H_bEUljE0_EEES10_S11_S12_S19_S1D_S1F_T6_T7_T9_mT8_S1H_bDpT10_ENKUlT_T0_E_clISt17integral_constantIbLb1EES1V_EEDaS1Q_S1R_EUlS1Q_E_NS1_11comp_targetILNS1_3genE10ELNS1_11target_archE1200ELNS1_3gpuE4ELNS1_3repE0EEENS1_30default_config_static_selectorELNS0_4arch9wavefront6targetE0EEEvS13_.num_vgpr, 0
	.set _ZN7rocprim17ROCPRIM_400000_NS6detail17trampoline_kernelINS0_13select_configILj256ELj13ELNS0_17block_load_methodE3ELS4_3ELS4_3ELNS0_20block_scan_algorithmE0ELj4294967295EEENS1_25partition_config_selectorILNS1_17partition_subalgoE4EjNS0_10empty_typeEbEEZZNS1_14partition_implILS8_4ELb0ES6_15HIP_vector_typeIjLj2EENS0_17counting_iteratorIjlEEPS9_SG_NS0_5tupleIJPjSI_NS0_16reverse_iteratorISI_EEEEENSH_IJSG_SG_SG_EEES9_SI_JZNS1_25segmented_radix_sort_implINS0_14default_configELb1EPK6__halfPSP_PKlPlN2at6native12_GLOBAL__N_18offset_tEEE10hipError_tPvRmT1_PNSt15iterator_traitsIS13_E10value_typeET2_T3_PNS14_IS19_E10value_typeET4_jRbjT5_S1F_jjP12ihipStream_tbEUljE_ZNSN_ISO_Lb1ESR_SS_SU_SV_SZ_EES10_S11_S12_S13_S17_S18_S19_S1C_S1D_jS1E_jS1F_S1F_jjS1H_bEUljE0_EEES10_S11_S12_S19_S1D_S1F_T6_T7_T9_mT8_S1H_bDpT10_ENKUlT_T0_E_clISt17integral_constantIbLb1EES1V_EEDaS1Q_S1R_EUlS1Q_E_NS1_11comp_targetILNS1_3genE10ELNS1_11target_archE1200ELNS1_3gpuE4ELNS1_3repE0EEENS1_30default_config_static_selectorELNS0_4arch9wavefront6targetE0EEEvS13_.num_agpr, 0
	.set _ZN7rocprim17ROCPRIM_400000_NS6detail17trampoline_kernelINS0_13select_configILj256ELj13ELNS0_17block_load_methodE3ELS4_3ELS4_3ELNS0_20block_scan_algorithmE0ELj4294967295EEENS1_25partition_config_selectorILNS1_17partition_subalgoE4EjNS0_10empty_typeEbEEZZNS1_14partition_implILS8_4ELb0ES6_15HIP_vector_typeIjLj2EENS0_17counting_iteratorIjlEEPS9_SG_NS0_5tupleIJPjSI_NS0_16reverse_iteratorISI_EEEEENSH_IJSG_SG_SG_EEES9_SI_JZNS1_25segmented_radix_sort_implINS0_14default_configELb1EPK6__halfPSP_PKlPlN2at6native12_GLOBAL__N_18offset_tEEE10hipError_tPvRmT1_PNSt15iterator_traitsIS13_E10value_typeET2_T3_PNS14_IS19_E10value_typeET4_jRbjT5_S1F_jjP12ihipStream_tbEUljE_ZNSN_ISO_Lb1ESR_SS_SU_SV_SZ_EES10_S11_S12_S13_S17_S18_S19_S1C_S1D_jS1E_jS1F_S1F_jjS1H_bEUljE0_EEES10_S11_S12_S19_S1D_S1F_T6_T7_T9_mT8_S1H_bDpT10_ENKUlT_T0_E_clISt17integral_constantIbLb1EES1V_EEDaS1Q_S1R_EUlS1Q_E_NS1_11comp_targetILNS1_3genE10ELNS1_11target_archE1200ELNS1_3gpuE4ELNS1_3repE0EEENS1_30default_config_static_selectorELNS0_4arch9wavefront6targetE0EEEvS13_.numbered_sgpr, 0
	.set _ZN7rocprim17ROCPRIM_400000_NS6detail17trampoline_kernelINS0_13select_configILj256ELj13ELNS0_17block_load_methodE3ELS4_3ELS4_3ELNS0_20block_scan_algorithmE0ELj4294967295EEENS1_25partition_config_selectorILNS1_17partition_subalgoE4EjNS0_10empty_typeEbEEZZNS1_14partition_implILS8_4ELb0ES6_15HIP_vector_typeIjLj2EENS0_17counting_iteratorIjlEEPS9_SG_NS0_5tupleIJPjSI_NS0_16reverse_iteratorISI_EEEEENSH_IJSG_SG_SG_EEES9_SI_JZNS1_25segmented_radix_sort_implINS0_14default_configELb1EPK6__halfPSP_PKlPlN2at6native12_GLOBAL__N_18offset_tEEE10hipError_tPvRmT1_PNSt15iterator_traitsIS13_E10value_typeET2_T3_PNS14_IS19_E10value_typeET4_jRbjT5_S1F_jjP12ihipStream_tbEUljE_ZNSN_ISO_Lb1ESR_SS_SU_SV_SZ_EES10_S11_S12_S13_S17_S18_S19_S1C_S1D_jS1E_jS1F_S1F_jjS1H_bEUljE0_EEES10_S11_S12_S19_S1D_S1F_T6_T7_T9_mT8_S1H_bDpT10_ENKUlT_T0_E_clISt17integral_constantIbLb1EES1V_EEDaS1Q_S1R_EUlS1Q_E_NS1_11comp_targetILNS1_3genE10ELNS1_11target_archE1200ELNS1_3gpuE4ELNS1_3repE0EEENS1_30default_config_static_selectorELNS0_4arch9wavefront6targetE0EEEvS13_.num_named_barrier, 0
	.set _ZN7rocprim17ROCPRIM_400000_NS6detail17trampoline_kernelINS0_13select_configILj256ELj13ELNS0_17block_load_methodE3ELS4_3ELS4_3ELNS0_20block_scan_algorithmE0ELj4294967295EEENS1_25partition_config_selectorILNS1_17partition_subalgoE4EjNS0_10empty_typeEbEEZZNS1_14partition_implILS8_4ELb0ES6_15HIP_vector_typeIjLj2EENS0_17counting_iteratorIjlEEPS9_SG_NS0_5tupleIJPjSI_NS0_16reverse_iteratorISI_EEEEENSH_IJSG_SG_SG_EEES9_SI_JZNS1_25segmented_radix_sort_implINS0_14default_configELb1EPK6__halfPSP_PKlPlN2at6native12_GLOBAL__N_18offset_tEEE10hipError_tPvRmT1_PNSt15iterator_traitsIS13_E10value_typeET2_T3_PNS14_IS19_E10value_typeET4_jRbjT5_S1F_jjP12ihipStream_tbEUljE_ZNSN_ISO_Lb1ESR_SS_SU_SV_SZ_EES10_S11_S12_S13_S17_S18_S19_S1C_S1D_jS1E_jS1F_S1F_jjS1H_bEUljE0_EEES10_S11_S12_S19_S1D_S1F_T6_T7_T9_mT8_S1H_bDpT10_ENKUlT_T0_E_clISt17integral_constantIbLb1EES1V_EEDaS1Q_S1R_EUlS1Q_E_NS1_11comp_targetILNS1_3genE10ELNS1_11target_archE1200ELNS1_3gpuE4ELNS1_3repE0EEENS1_30default_config_static_selectorELNS0_4arch9wavefront6targetE0EEEvS13_.private_seg_size, 0
	.set _ZN7rocprim17ROCPRIM_400000_NS6detail17trampoline_kernelINS0_13select_configILj256ELj13ELNS0_17block_load_methodE3ELS4_3ELS4_3ELNS0_20block_scan_algorithmE0ELj4294967295EEENS1_25partition_config_selectorILNS1_17partition_subalgoE4EjNS0_10empty_typeEbEEZZNS1_14partition_implILS8_4ELb0ES6_15HIP_vector_typeIjLj2EENS0_17counting_iteratorIjlEEPS9_SG_NS0_5tupleIJPjSI_NS0_16reverse_iteratorISI_EEEEENSH_IJSG_SG_SG_EEES9_SI_JZNS1_25segmented_radix_sort_implINS0_14default_configELb1EPK6__halfPSP_PKlPlN2at6native12_GLOBAL__N_18offset_tEEE10hipError_tPvRmT1_PNSt15iterator_traitsIS13_E10value_typeET2_T3_PNS14_IS19_E10value_typeET4_jRbjT5_S1F_jjP12ihipStream_tbEUljE_ZNSN_ISO_Lb1ESR_SS_SU_SV_SZ_EES10_S11_S12_S13_S17_S18_S19_S1C_S1D_jS1E_jS1F_S1F_jjS1H_bEUljE0_EEES10_S11_S12_S19_S1D_S1F_T6_T7_T9_mT8_S1H_bDpT10_ENKUlT_T0_E_clISt17integral_constantIbLb1EES1V_EEDaS1Q_S1R_EUlS1Q_E_NS1_11comp_targetILNS1_3genE10ELNS1_11target_archE1200ELNS1_3gpuE4ELNS1_3repE0EEENS1_30default_config_static_selectorELNS0_4arch9wavefront6targetE0EEEvS13_.uses_vcc, 0
	.set _ZN7rocprim17ROCPRIM_400000_NS6detail17trampoline_kernelINS0_13select_configILj256ELj13ELNS0_17block_load_methodE3ELS4_3ELS4_3ELNS0_20block_scan_algorithmE0ELj4294967295EEENS1_25partition_config_selectorILNS1_17partition_subalgoE4EjNS0_10empty_typeEbEEZZNS1_14partition_implILS8_4ELb0ES6_15HIP_vector_typeIjLj2EENS0_17counting_iteratorIjlEEPS9_SG_NS0_5tupleIJPjSI_NS0_16reverse_iteratorISI_EEEEENSH_IJSG_SG_SG_EEES9_SI_JZNS1_25segmented_radix_sort_implINS0_14default_configELb1EPK6__halfPSP_PKlPlN2at6native12_GLOBAL__N_18offset_tEEE10hipError_tPvRmT1_PNSt15iterator_traitsIS13_E10value_typeET2_T3_PNS14_IS19_E10value_typeET4_jRbjT5_S1F_jjP12ihipStream_tbEUljE_ZNSN_ISO_Lb1ESR_SS_SU_SV_SZ_EES10_S11_S12_S13_S17_S18_S19_S1C_S1D_jS1E_jS1F_S1F_jjS1H_bEUljE0_EEES10_S11_S12_S19_S1D_S1F_T6_T7_T9_mT8_S1H_bDpT10_ENKUlT_T0_E_clISt17integral_constantIbLb1EES1V_EEDaS1Q_S1R_EUlS1Q_E_NS1_11comp_targetILNS1_3genE10ELNS1_11target_archE1200ELNS1_3gpuE4ELNS1_3repE0EEENS1_30default_config_static_selectorELNS0_4arch9wavefront6targetE0EEEvS13_.uses_flat_scratch, 0
	.set _ZN7rocprim17ROCPRIM_400000_NS6detail17trampoline_kernelINS0_13select_configILj256ELj13ELNS0_17block_load_methodE3ELS4_3ELS4_3ELNS0_20block_scan_algorithmE0ELj4294967295EEENS1_25partition_config_selectorILNS1_17partition_subalgoE4EjNS0_10empty_typeEbEEZZNS1_14partition_implILS8_4ELb0ES6_15HIP_vector_typeIjLj2EENS0_17counting_iteratorIjlEEPS9_SG_NS0_5tupleIJPjSI_NS0_16reverse_iteratorISI_EEEEENSH_IJSG_SG_SG_EEES9_SI_JZNS1_25segmented_radix_sort_implINS0_14default_configELb1EPK6__halfPSP_PKlPlN2at6native12_GLOBAL__N_18offset_tEEE10hipError_tPvRmT1_PNSt15iterator_traitsIS13_E10value_typeET2_T3_PNS14_IS19_E10value_typeET4_jRbjT5_S1F_jjP12ihipStream_tbEUljE_ZNSN_ISO_Lb1ESR_SS_SU_SV_SZ_EES10_S11_S12_S13_S17_S18_S19_S1C_S1D_jS1E_jS1F_S1F_jjS1H_bEUljE0_EEES10_S11_S12_S19_S1D_S1F_T6_T7_T9_mT8_S1H_bDpT10_ENKUlT_T0_E_clISt17integral_constantIbLb1EES1V_EEDaS1Q_S1R_EUlS1Q_E_NS1_11comp_targetILNS1_3genE10ELNS1_11target_archE1200ELNS1_3gpuE4ELNS1_3repE0EEENS1_30default_config_static_selectorELNS0_4arch9wavefront6targetE0EEEvS13_.has_dyn_sized_stack, 0
	.set _ZN7rocprim17ROCPRIM_400000_NS6detail17trampoline_kernelINS0_13select_configILj256ELj13ELNS0_17block_load_methodE3ELS4_3ELS4_3ELNS0_20block_scan_algorithmE0ELj4294967295EEENS1_25partition_config_selectorILNS1_17partition_subalgoE4EjNS0_10empty_typeEbEEZZNS1_14partition_implILS8_4ELb0ES6_15HIP_vector_typeIjLj2EENS0_17counting_iteratorIjlEEPS9_SG_NS0_5tupleIJPjSI_NS0_16reverse_iteratorISI_EEEEENSH_IJSG_SG_SG_EEES9_SI_JZNS1_25segmented_radix_sort_implINS0_14default_configELb1EPK6__halfPSP_PKlPlN2at6native12_GLOBAL__N_18offset_tEEE10hipError_tPvRmT1_PNSt15iterator_traitsIS13_E10value_typeET2_T3_PNS14_IS19_E10value_typeET4_jRbjT5_S1F_jjP12ihipStream_tbEUljE_ZNSN_ISO_Lb1ESR_SS_SU_SV_SZ_EES10_S11_S12_S13_S17_S18_S19_S1C_S1D_jS1E_jS1F_S1F_jjS1H_bEUljE0_EEES10_S11_S12_S19_S1D_S1F_T6_T7_T9_mT8_S1H_bDpT10_ENKUlT_T0_E_clISt17integral_constantIbLb1EES1V_EEDaS1Q_S1R_EUlS1Q_E_NS1_11comp_targetILNS1_3genE10ELNS1_11target_archE1200ELNS1_3gpuE4ELNS1_3repE0EEENS1_30default_config_static_selectorELNS0_4arch9wavefront6targetE0EEEvS13_.has_recursion, 0
	.set _ZN7rocprim17ROCPRIM_400000_NS6detail17trampoline_kernelINS0_13select_configILj256ELj13ELNS0_17block_load_methodE3ELS4_3ELS4_3ELNS0_20block_scan_algorithmE0ELj4294967295EEENS1_25partition_config_selectorILNS1_17partition_subalgoE4EjNS0_10empty_typeEbEEZZNS1_14partition_implILS8_4ELb0ES6_15HIP_vector_typeIjLj2EENS0_17counting_iteratorIjlEEPS9_SG_NS0_5tupleIJPjSI_NS0_16reverse_iteratorISI_EEEEENSH_IJSG_SG_SG_EEES9_SI_JZNS1_25segmented_radix_sort_implINS0_14default_configELb1EPK6__halfPSP_PKlPlN2at6native12_GLOBAL__N_18offset_tEEE10hipError_tPvRmT1_PNSt15iterator_traitsIS13_E10value_typeET2_T3_PNS14_IS19_E10value_typeET4_jRbjT5_S1F_jjP12ihipStream_tbEUljE_ZNSN_ISO_Lb1ESR_SS_SU_SV_SZ_EES10_S11_S12_S13_S17_S18_S19_S1C_S1D_jS1E_jS1F_S1F_jjS1H_bEUljE0_EEES10_S11_S12_S19_S1D_S1F_T6_T7_T9_mT8_S1H_bDpT10_ENKUlT_T0_E_clISt17integral_constantIbLb1EES1V_EEDaS1Q_S1R_EUlS1Q_E_NS1_11comp_targetILNS1_3genE10ELNS1_11target_archE1200ELNS1_3gpuE4ELNS1_3repE0EEENS1_30default_config_static_selectorELNS0_4arch9wavefront6targetE0EEEvS13_.has_indirect_call, 0
	.section	.AMDGPU.csdata,"",@progbits
; Kernel info:
; codeLenInByte = 4
; TotalNumSgprs: 0
; NumVgprs: 0
; ScratchSize: 0
; MemoryBound: 0
; FloatMode: 240
; IeeeMode: 1
; LDSByteSize: 0 bytes/workgroup (compile time only)
; SGPRBlocks: 0
; VGPRBlocks: 0
; NumSGPRsForWavesPerEU: 1
; NumVGPRsForWavesPerEU: 1
; Occupancy: 16
; WaveLimiterHint : 0
; COMPUTE_PGM_RSRC2:SCRATCH_EN: 0
; COMPUTE_PGM_RSRC2:USER_SGPR: 2
; COMPUTE_PGM_RSRC2:TRAP_HANDLER: 0
; COMPUTE_PGM_RSRC2:TGID_X_EN: 1
; COMPUTE_PGM_RSRC2:TGID_Y_EN: 0
; COMPUTE_PGM_RSRC2:TGID_Z_EN: 0
; COMPUTE_PGM_RSRC2:TIDIG_COMP_CNT: 0
	.section	.text._ZN7rocprim17ROCPRIM_400000_NS6detail17trampoline_kernelINS0_13select_configILj256ELj13ELNS0_17block_load_methodE3ELS4_3ELS4_3ELNS0_20block_scan_algorithmE0ELj4294967295EEENS1_25partition_config_selectorILNS1_17partition_subalgoE4EjNS0_10empty_typeEbEEZZNS1_14partition_implILS8_4ELb0ES6_15HIP_vector_typeIjLj2EENS0_17counting_iteratorIjlEEPS9_SG_NS0_5tupleIJPjSI_NS0_16reverse_iteratorISI_EEEEENSH_IJSG_SG_SG_EEES9_SI_JZNS1_25segmented_radix_sort_implINS0_14default_configELb1EPK6__halfPSP_PKlPlN2at6native12_GLOBAL__N_18offset_tEEE10hipError_tPvRmT1_PNSt15iterator_traitsIS13_E10value_typeET2_T3_PNS14_IS19_E10value_typeET4_jRbjT5_S1F_jjP12ihipStream_tbEUljE_ZNSN_ISO_Lb1ESR_SS_SU_SV_SZ_EES10_S11_S12_S13_S17_S18_S19_S1C_S1D_jS1E_jS1F_S1F_jjS1H_bEUljE0_EEES10_S11_S12_S19_S1D_S1F_T6_T7_T9_mT8_S1H_bDpT10_ENKUlT_T0_E_clISt17integral_constantIbLb1EES1V_EEDaS1Q_S1R_EUlS1Q_E_NS1_11comp_targetILNS1_3genE9ELNS1_11target_archE1100ELNS1_3gpuE3ELNS1_3repE0EEENS1_30default_config_static_selectorELNS0_4arch9wavefront6targetE0EEEvS13_,"axG",@progbits,_ZN7rocprim17ROCPRIM_400000_NS6detail17trampoline_kernelINS0_13select_configILj256ELj13ELNS0_17block_load_methodE3ELS4_3ELS4_3ELNS0_20block_scan_algorithmE0ELj4294967295EEENS1_25partition_config_selectorILNS1_17partition_subalgoE4EjNS0_10empty_typeEbEEZZNS1_14partition_implILS8_4ELb0ES6_15HIP_vector_typeIjLj2EENS0_17counting_iteratorIjlEEPS9_SG_NS0_5tupleIJPjSI_NS0_16reverse_iteratorISI_EEEEENSH_IJSG_SG_SG_EEES9_SI_JZNS1_25segmented_radix_sort_implINS0_14default_configELb1EPK6__halfPSP_PKlPlN2at6native12_GLOBAL__N_18offset_tEEE10hipError_tPvRmT1_PNSt15iterator_traitsIS13_E10value_typeET2_T3_PNS14_IS19_E10value_typeET4_jRbjT5_S1F_jjP12ihipStream_tbEUljE_ZNSN_ISO_Lb1ESR_SS_SU_SV_SZ_EES10_S11_S12_S13_S17_S18_S19_S1C_S1D_jS1E_jS1F_S1F_jjS1H_bEUljE0_EEES10_S11_S12_S19_S1D_S1F_T6_T7_T9_mT8_S1H_bDpT10_ENKUlT_T0_E_clISt17integral_constantIbLb1EES1V_EEDaS1Q_S1R_EUlS1Q_E_NS1_11comp_targetILNS1_3genE9ELNS1_11target_archE1100ELNS1_3gpuE3ELNS1_3repE0EEENS1_30default_config_static_selectorELNS0_4arch9wavefront6targetE0EEEvS13_,comdat
	.globl	_ZN7rocprim17ROCPRIM_400000_NS6detail17trampoline_kernelINS0_13select_configILj256ELj13ELNS0_17block_load_methodE3ELS4_3ELS4_3ELNS0_20block_scan_algorithmE0ELj4294967295EEENS1_25partition_config_selectorILNS1_17partition_subalgoE4EjNS0_10empty_typeEbEEZZNS1_14partition_implILS8_4ELb0ES6_15HIP_vector_typeIjLj2EENS0_17counting_iteratorIjlEEPS9_SG_NS0_5tupleIJPjSI_NS0_16reverse_iteratorISI_EEEEENSH_IJSG_SG_SG_EEES9_SI_JZNS1_25segmented_radix_sort_implINS0_14default_configELb1EPK6__halfPSP_PKlPlN2at6native12_GLOBAL__N_18offset_tEEE10hipError_tPvRmT1_PNSt15iterator_traitsIS13_E10value_typeET2_T3_PNS14_IS19_E10value_typeET4_jRbjT5_S1F_jjP12ihipStream_tbEUljE_ZNSN_ISO_Lb1ESR_SS_SU_SV_SZ_EES10_S11_S12_S13_S17_S18_S19_S1C_S1D_jS1E_jS1F_S1F_jjS1H_bEUljE0_EEES10_S11_S12_S19_S1D_S1F_T6_T7_T9_mT8_S1H_bDpT10_ENKUlT_T0_E_clISt17integral_constantIbLb1EES1V_EEDaS1Q_S1R_EUlS1Q_E_NS1_11comp_targetILNS1_3genE9ELNS1_11target_archE1100ELNS1_3gpuE3ELNS1_3repE0EEENS1_30default_config_static_selectorELNS0_4arch9wavefront6targetE0EEEvS13_ ; -- Begin function _ZN7rocprim17ROCPRIM_400000_NS6detail17trampoline_kernelINS0_13select_configILj256ELj13ELNS0_17block_load_methodE3ELS4_3ELS4_3ELNS0_20block_scan_algorithmE0ELj4294967295EEENS1_25partition_config_selectorILNS1_17partition_subalgoE4EjNS0_10empty_typeEbEEZZNS1_14partition_implILS8_4ELb0ES6_15HIP_vector_typeIjLj2EENS0_17counting_iteratorIjlEEPS9_SG_NS0_5tupleIJPjSI_NS0_16reverse_iteratorISI_EEEEENSH_IJSG_SG_SG_EEES9_SI_JZNS1_25segmented_radix_sort_implINS0_14default_configELb1EPK6__halfPSP_PKlPlN2at6native12_GLOBAL__N_18offset_tEEE10hipError_tPvRmT1_PNSt15iterator_traitsIS13_E10value_typeET2_T3_PNS14_IS19_E10value_typeET4_jRbjT5_S1F_jjP12ihipStream_tbEUljE_ZNSN_ISO_Lb1ESR_SS_SU_SV_SZ_EES10_S11_S12_S13_S17_S18_S19_S1C_S1D_jS1E_jS1F_S1F_jjS1H_bEUljE0_EEES10_S11_S12_S19_S1D_S1F_T6_T7_T9_mT8_S1H_bDpT10_ENKUlT_T0_E_clISt17integral_constantIbLb1EES1V_EEDaS1Q_S1R_EUlS1Q_E_NS1_11comp_targetILNS1_3genE9ELNS1_11target_archE1100ELNS1_3gpuE3ELNS1_3repE0EEENS1_30default_config_static_selectorELNS0_4arch9wavefront6targetE0EEEvS13_
	.p2align	8
	.type	_ZN7rocprim17ROCPRIM_400000_NS6detail17trampoline_kernelINS0_13select_configILj256ELj13ELNS0_17block_load_methodE3ELS4_3ELS4_3ELNS0_20block_scan_algorithmE0ELj4294967295EEENS1_25partition_config_selectorILNS1_17partition_subalgoE4EjNS0_10empty_typeEbEEZZNS1_14partition_implILS8_4ELb0ES6_15HIP_vector_typeIjLj2EENS0_17counting_iteratorIjlEEPS9_SG_NS0_5tupleIJPjSI_NS0_16reverse_iteratorISI_EEEEENSH_IJSG_SG_SG_EEES9_SI_JZNS1_25segmented_radix_sort_implINS0_14default_configELb1EPK6__halfPSP_PKlPlN2at6native12_GLOBAL__N_18offset_tEEE10hipError_tPvRmT1_PNSt15iterator_traitsIS13_E10value_typeET2_T3_PNS14_IS19_E10value_typeET4_jRbjT5_S1F_jjP12ihipStream_tbEUljE_ZNSN_ISO_Lb1ESR_SS_SU_SV_SZ_EES10_S11_S12_S13_S17_S18_S19_S1C_S1D_jS1E_jS1F_S1F_jjS1H_bEUljE0_EEES10_S11_S12_S19_S1D_S1F_T6_T7_T9_mT8_S1H_bDpT10_ENKUlT_T0_E_clISt17integral_constantIbLb1EES1V_EEDaS1Q_S1R_EUlS1Q_E_NS1_11comp_targetILNS1_3genE9ELNS1_11target_archE1100ELNS1_3gpuE3ELNS1_3repE0EEENS1_30default_config_static_selectorELNS0_4arch9wavefront6targetE0EEEvS13_,@function
_ZN7rocprim17ROCPRIM_400000_NS6detail17trampoline_kernelINS0_13select_configILj256ELj13ELNS0_17block_load_methodE3ELS4_3ELS4_3ELNS0_20block_scan_algorithmE0ELj4294967295EEENS1_25partition_config_selectorILNS1_17partition_subalgoE4EjNS0_10empty_typeEbEEZZNS1_14partition_implILS8_4ELb0ES6_15HIP_vector_typeIjLj2EENS0_17counting_iteratorIjlEEPS9_SG_NS0_5tupleIJPjSI_NS0_16reverse_iteratorISI_EEEEENSH_IJSG_SG_SG_EEES9_SI_JZNS1_25segmented_radix_sort_implINS0_14default_configELb1EPK6__halfPSP_PKlPlN2at6native12_GLOBAL__N_18offset_tEEE10hipError_tPvRmT1_PNSt15iterator_traitsIS13_E10value_typeET2_T3_PNS14_IS19_E10value_typeET4_jRbjT5_S1F_jjP12ihipStream_tbEUljE_ZNSN_ISO_Lb1ESR_SS_SU_SV_SZ_EES10_S11_S12_S13_S17_S18_S19_S1C_S1D_jS1E_jS1F_S1F_jjS1H_bEUljE0_EEES10_S11_S12_S19_S1D_S1F_T6_T7_T9_mT8_S1H_bDpT10_ENKUlT_T0_E_clISt17integral_constantIbLb1EES1V_EEDaS1Q_S1R_EUlS1Q_E_NS1_11comp_targetILNS1_3genE9ELNS1_11target_archE1100ELNS1_3gpuE3ELNS1_3repE0EEENS1_30default_config_static_selectorELNS0_4arch9wavefront6targetE0EEEvS13_: ; @_ZN7rocprim17ROCPRIM_400000_NS6detail17trampoline_kernelINS0_13select_configILj256ELj13ELNS0_17block_load_methodE3ELS4_3ELS4_3ELNS0_20block_scan_algorithmE0ELj4294967295EEENS1_25partition_config_selectorILNS1_17partition_subalgoE4EjNS0_10empty_typeEbEEZZNS1_14partition_implILS8_4ELb0ES6_15HIP_vector_typeIjLj2EENS0_17counting_iteratorIjlEEPS9_SG_NS0_5tupleIJPjSI_NS0_16reverse_iteratorISI_EEEEENSH_IJSG_SG_SG_EEES9_SI_JZNS1_25segmented_radix_sort_implINS0_14default_configELb1EPK6__halfPSP_PKlPlN2at6native12_GLOBAL__N_18offset_tEEE10hipError_tPvRmT1_PNSt15iterator_traitsIS13_E10value_typeET2_T3_PNS14_IS19_E10value_typeET4_jRbjT5_S1F_jjP12ihipStream_tbEUljE_ZNSN_ISO_Lb1ESR_SS_SU_SV_SZ_EES10_S11_S12_S13_S17_S18_S19_S1C_S1D_jS1E_jS1F_S1F_jjS1H_bEUljE0_EEES10_S11_S12_S19_S1D_S1F_T6_T7_T9_mT8_S1H_bDpT10_ENKUlT_T0_E_clISt17integral_constantIbLb1EES1V_EEDaS1Q_S1R_EUlS1Q_E_NS1_11comp_targetILNS1_3genE9ELNS1_11target_archE1100ELNS1_3gpuE3ELNS1_3repE0EEENS1_30default_config_static_selectorELNS0_4arch9wavefront6targetE0EEEvS13_
; %bb.0:
	.section	.rodata,"a",@progbits
	.p2align	6, 0x0
	.amdhsa_kernel _ZN7rocprim17ROCPRIM_400000_NS6detail17trampoline_kernelINS0_13select_configILj256ELj13ELNS0_17block_load_methodE3ELS4_3ELS4_3ELNS0_20block_scan_algorithmE0ELj4294967295EEENS1_25partition_config_selectorILNS1_17partition_subalgoE4EjNS0_10empty_typeEbEEZZNS1_14partition_implILS8_4ELb0ES6_15HIP_vector_typeIjLj2EENS0_17counting_iteratorIjlEEPS9_SG_NS0_5tupleIJPjSI_NS0_16reverse_iteratorISI_EEEEENSH_IJSG_SG_SG_EEES9_SI_JZNS1_25segmented_radix_sort_implINS0_14default_configELb1EPK6__halfPSP_PKlPlN2at6native12_GLOBAL__N_18offset_tEEE10hipError_tPvRmT1_PNSt15iterator_traitsIS13_E10value_typeET2_T3_PNS14_IS19_E10value_typeET4_jRbjT5_S1F_jjP12ihipStream_tbEUljE_ZNSN_ISO_Lb1ESR_SS_SU_SV_SZ_EES10_S11_S12_S13_S17_S18_S19_S1C_S1D_jS1E_jS1F_S1F_jjS1H_bEUljE0_EEES10_S11_S12_S19_S1D_S1F_T6_T7_T9_mT8_S1H_bDpT10_ENKUlT_T0_E_clISt17integral_constantIbLb1EES1V_EEDaS1Q_S1R_EUlS1Q_E_NS1_11comp_targetILNS1_3genE9ELNS1_11target_archE1100ELNS1_3gpuE3ELNS1_3repE0EEENS1_30default_config_static_selectorELNS0_4arch9wavefront6targetE0EEEvS13_
		.amdhsa_group_segment_fixed_size 0
		.amdhsa_private_segment_fixed_size 0
		.amdhsa_kernarg_size 184
		.amdhsa_user_sgpr_count 2
		.amdhsa_user_sgpr_dispatch_ptr 0
		.amdhsa_user_sgpr_queue_ptr 0
		.amdhsa_user_sgpr_kernarg_segment_ptr 1
		.amdhsa_user_sgpr_dispatch_id 0
		.amdhsa_user_sgpr_private_segment_size 0
		.amdhsa_wavefront_size32 1
		.amdhsa_uses_dynamic_stack 0
		.amdhsa_enable_private_segment 0
		.amdhsa_system_sgpr_workgroup_id_x 1
		.amdhsa_system_sgpr_workgroup_id_y 0
		.amdhsa_system_sgpr_workgroup_id_z 0
		.amdhsa_system_sgpr_workgroup_info 0
		.amdhsa_system_vgpr_workitem_id 0
		.amdhsa_next_free_vgpr 1
		.amdhsa_next_free_sgpr 1
		.amdhsa_reserve_vcc 0
		.amdhsa_float_round_mode_32 0
		.amdhsa_float_round_mode_16_64 0
		.amdhsa_float_denorm_mode_32 3
		.amdhsa_float_denorm_mode_16_64 3
		.amdhsa_fp16_overflow 0
		.amdhsa_workgroup_processor_mode 1
		.amdhsa_memory_ordered 1
		.amdhsa_forward_progress 1
		.amdhsa_inst_pref_size 0
		.amdhsa_round_robin_scheduling 0
		.amdhsa_exception_fp_ieee_invalid_op 0
		.amdhsa_exception_fp_denorm_src 0
		.amdhsa_exception_fp_ieee_div_zero 0
		.amdhsa_exception_fp_ieee_overflow 0
		.amdhsa_exception_fp_ieee_underflow 0
		.amdhsa_exception_fp_ieee_inexact 0
		.amdhsa_exception_int_div_zero 0
	.end_amdhsa_kernel
	.section	.text._ZN7rocprim17ROCPRIM_400000_NS6detail17trampoline_kernelINS0_13select_configILj256ELj13ELNS0_17block_load_methodE3ELS4_3ELS4_3ELNS0_20block_scan_algorithmE0ELj4294967295EEENS1_25partition_config_selectorILNS1_17partition_subalgoE4EjNS0_10empty_typeEbEEZZNS1_14partition_implILS8_4ELb0ES6_15HIP_vector_typeIjLj2EENS0_17counting_iteratorIjlEEPS9_SG_NS0_5tupleIJPjSI_NS0_16reverse_iteratorISI_EEEEENSH_IJSG_SG_SG_EEES9_SI_JZNS1_25segmented_radix_sort_implINS0_14default_configELb1EPK6__halfPSP_PKlPlN2at6native12_GLOBAL__N_18offset_tEEE10hipError_tPvRmT1_PNSt15iterator_traitsIS13_E10value_typeET2_T3_PNS14_IS19_E10value_typeET4_jRbjT5_S1F_jjP12ihipStream_tbEUljE_ZNSN_ISO_Lb1ESR_SS_SU_SV_SZ_EES10_S11_S12_S13_S17_S18_S19_S1C_S1D_jS1E_jS1F_S1F_jjS1H_bEUljE0_EEES10_S11_S12_S19_S1D_S1F_T6_T7_T9_mT8_S1H_bDpT10_ENKUlT_T0_E_clISt17integral_constantIbLb1EES1V_EEDaS1Q_S1R_EUlS1Q_E_NS1_11comp_targetILNS1_3genE9ELNS1_11target_archE1100ELNS1_3gpuE3ELNS1_3repE0EEENS1_30default_config_static_selectorELNS0_4arch9wavefront6targetE0EEEvS13_,"axG",@progbits,_ZN7rocprim17ROCPRIM_400000_NS6detail17trampoline_kernelINS0_13select_configILj256ELj13ELNS0_17block_load_methodE3ELS4_3ELS4_3ELNS0_20block_scan_algorithmE0ELj4294967295EEENS1_25partition_config_selectorILNS1_17partition_subalgoE4EjNS0_10empty_typeEbEEZZNS1_14partition_implILS8_4ELb0ES6_15HIP_vector_typeIjLj2EENS0_17counting_iteratorIjlEEPS9_SG_NS0_5tupleIJPjSI_NS0_16reverse_iteratorISI_EEEEENSH_IJSG_SG_SG_EEES9_SI_JZNS1_25segmented_radix_sort_implINS0_14default_configELb1EPK6__halfPSP_PKlPlN2at6native12_GLOBAL__N_18offset_tEEE10hipError_tPvRmT1_PNSt15iterator_traitsIS13_E10value_typeET2_T3_PNS14_IS19_E10value_typeET4_jRbjT5_S1F_jjP12ihipStream_tbEUljE_ZNSN_ISO_Lb1ESR_SS_SU_SV_SZ_EES10_S11_S12_S13_S17_S18_S19_S1C_S1D_jS1E_jS1F_S1F_jjS1H_bEUljE0_EEES10_S11_S12_S19_S1D_S1F_T6_T7_T9_mT8_S1H_bDpT10_ENKUlT_T0_E_clISt17integral_constantIbLb1EES1V_EEDaS1Q_S1R_EUlS1Q_E_NS1_11comp_targetILNS1_3genE9ELNS1_11target_archE1100ELNS1_3gpuE3ELNS1_3repE0EEENS1_30default_config_static_selectorELNS0_4arch9wavefront6targetE0EEEvS13_,comdat
.Lfunc_end1689:
	.size	_ZN7rocprim17ROCPRIM_400000_NS6detail17trampoline_kernelINS0_13select_configILj256ELj13ELNS0_17block_load_methodE3ELS4_3ELS4_3ELNS0_20block_scan_algorithmE0ELj4294967295EEENS1_25partition_config_selectorILNS1_17partition_subalgoE4EjNS0_10empty_typeEbEEZZNS1_14partition_implILS8_4ELb0ES6_15HIP_vector_typeIjLj2EENS0_17counting_iteratorIjlEEPS9_SG_NS0_5tupleIJPjSI_NS0_16reverse_iteratorISI_EEEEENSH_IJSG_SG_SG_EEES9_SI_JZNS1_25segmented_radix_sort_implINS0_14default_configELb1EPK6__halfPSP_PKlPlN2at6native12_GLOBAL__N_18offset_tEEE10hipError_tPvRmT1_PNSt15iterator_traitsIS13_E10value_typeET2_T3_PNS14_IS19_E10value_typeET4_jRbjT5_S1F_jjP12ihipStream_tbEUljE_ZNSN_ISO_Lb1ESR_SS_SU_SV_SZ_EES10_S11_S12_S13_S17_S18_S19_S1C_S1D_jS1E_jS1F_S1F_jjS1H_bEUljE0_EEES10_S11_S12_S19_S1D_S1F_T6_T7_T9_mT8_S1H_bDpT10_ENKUlT_T0_E_clISt17integral_constantIbLb1EES1V_EEDaS1Q_S1R_EUlS1Q_E_NS1_11comp_targetILNS1_3genE9ELNS1_11target_archE1100ELNS1_3gpuE3ELNS1_3repE0EEENS1_30default_config_static_selectorELNS0_4arch9wavefront6targetE0EEEvS13_, .Lfunc_end1689-_ZN7rocprim17ROCPRIM_400000_NS6detail17trampoline_kernelINS0_13select_configILj256ELj13ELNS0_17block_load_methodE3ELS4_3ELS4_3ELNS0_20block_scan_algorithmE0ELj4294967295EEENS1_25partition_config_selectorILNS1_17partition_subalgoE4EjNS0_10empty_typeEbEEZZNS1_14partition_implILS8_4ELb0ES6_15HIP_vector_typeIjLj2EENS0_17counting_iteratorIjlEEPS9_SG_NS0_5tupleIJPjSI_NS0_16reverse_iteratorISI_EEEEENSH_IJSG_SG_SG_EEES9_SI_JZNS1_25segmented_radix_sort_implINS0_14default_configELb1EPK6__halfPSP_PKlPlN2at6native12_GLOBAL__N_18offset_tEEE10hipError_tPvRmT1_PNSt15iterator_traitsIS13_E10value_typeET2_T3_PNS14_IS19_E10value_typeET4_jRbjT5_S1F_jjP12ihipStream_tbEUljE_ZNSN_ISO_Lb1ESR_SS_SU_SV_SZ_EES10_S11_S12_S13_S17_S18_S19_S1C_S1D_jS1E_jS1F_S1F_jjS1H_bEUljE0_EEES10_S11_S12_S19_S1D_S1F_T6_T7_T9_mT8_S1H_bDpT10_ENKUlT_T0_E_clISt17integral_constantIbLb1EES1V_EEDaS1Q_S1R_EUlS1Q_E_NS1_11comp_targetILNS1_3genE9ELNS1_11target_archE1100ELNS1_3gpuE3ELNS1_3repE0EEENS1_30default_config_static_selectorELNS0_4arch9wavefront6targetE0EEEvS13_
                                        ; -- End function
	.set _ZN7rocprim17ROCPRIM_400000_NS6detail17trampoline_kernelINS0_13select_configILj256ELj13ELNS0_17block_load_methodE3ELS4_3ELS4_3ELNS0_20block_scan_algorithmE0ELj4294967295EEENS1_25partition_config_selectorILNS1_17partition_subalgoE4EjNS0_10empty_typeEbEEZZNS1_14partition_implILS8_4ELb0ES6_15HIP_vector_typeIjLj2EENS0_17counting_iteratorIjlEEPS9_SG_NS0_5tupleIJPjSI_NS0_16reverse_iteratorISI_EEEEENSH_IJSG_SG_SG_EEES9_SI_JZNS1_25segmented_radix_sort_implINS0_14default_configELb1EPK6__halfPSP_PKlPlN2at6native12_GLOBAL__N_18offset_tEEE10hipError_tPvRmT1_PNSt15iterator_traitsIS13_E10value_typeET2_T3_PNS14_IS19_E10value_typeET4_jRbjT5_S1F_jjP12ihipStream_tbEUljE_ZNSN_ISO_Lb1ESR_SS_SU_SV_SZ_EES10_S11_S12_S13_S17_S18_S19_S1C_S1D_jS1E_jS1F_S1F_jjS1H_bEUljE0_EEES10_S11_S12_S19_S1D_S1F_T6_T7_T9_mT8_S1H_bDpT10_ENKUlT_T0_E_clISt17integral_constantIbLb1EES1V_EEDaS1Q_S1R_EUlS1Q_E_NS1_11comp_targetILNS1_3genE9ELNS1_11target_archE1100ELNS1_3gpuE3ELNS1_3repE0EEENS1_30default_config_static_selectorELNS0_4arch9wavefront6targetE0EEEvS13_.num_vgpr, 0
	.set _ZN7rocprim17ROCPRIM_400000_NS6detail17trampoline_kernelINS0_13select_configILj256ELj13ELNS0_17block_load_methodE3ELS4_3ELS4_3ELNS0_20block_scan_algorithmE0ELj4294967295EEENS1_25partition_config_selectorILNS1_17partition_subalgoE4EjNS0_10empty_typeEbEEZZNS1_14partition_implILS8_4ELb0ES6_15HIP_vector_typeIjLj2EENS0_17counting_iteratorIjlEEPS9_SG_NS0_5tupleIJPjSI_NS0_16reverse_iteratorISI_EEEEENSH_IJSG_SG_SG_EEES9_SI_JZNS1_25segmented_radix_sort_implINS0_14default_configELb1EPK6__halfPSP_PKlPlN2at6native12_GLOBAL__N_18offset_tEEE10hipError_tPvRmT1_PNSt15iterator_traitsIS13_E10value_typeET2_T3_PNS14_IS19_E10value_typeET4_jRbjT5_S1F_jjP12ihipStream_tbEUljE_ZNSN_ISO_Lb1ESR_SS_SU_SV_SZ_EES10_S11_S12_S13_S17_S18_S19_S1C_S1D_jS1E_jS1F_S1F_jjS1H_bEUljE0_EEES10_S11_S12_S19_S1D_S1F_T6_T7_T9_mT8_S1H_bDpT10_ENKUlT_T0_E_clISt17integral_constantIbLb1EES1V_EEDaS1Q_S1R_EUlS1Q_E_NS1_11comp_targetILNS1_3genE9ELNS1_11target_archE1100ELNS1_3gpuE3ELNS1_3repE0EEENS1_30default_config_static_selectorELNS0_4arch9wavefront6targetE0EEEvS13_.num_agpr, 0
	.set _ZN7rocprim17ROCPRIM_400000_NS6detail17trampoline_kernelINS0_13select_configILj256ELj13ELNS0_17block_load_methodE3ELS4_3ELS4_3ELNS0_20block_scan_algorithmE0ELj4294967295EEENS1_25partition_config_selectorILNS1_17partition_subalgoE4EjNS0_10empty_typeEbEEZZNS1_14partition_implILS8_4ELb0ES6_15HIP_vector_typeIjLj2EENS0_17counting_iteratorIjlEEPS9_SG_NS0_5tupleIJPjSI_NS0_16reverse_iteratorISI_EEEEENSH_IJSG_SG_SG_EEES9_SI_JZNS1_25segmented_radix_sort_implINS0_14default_configELb1EPK6__halfPSP_PKlPlN2at6native12_GLOBAL__N_18offset_tEEE10hipError_tPvRmT1_PNSt15iterator_traitsIS13_E10value_typeET2_T3_PNS14_IS19_E10value_typeET4_jRbjT5_S1F_jjP12ihipStream_tbEUljE_ZNSN_ISO_Lb1ESR_SS_SU_SV_SZ_EES10_S11_S12_S13_S17_S18_S19_S1C_S1D_jS1E_jS1F_S1F_jjS1H_bEUljE0_EEES10_S11_S12_S19_S1D_S1F_T6_T7_T9_mT8_S1H_bDpT10_ENKUlT_T0_E_clISt17integral_constantIbLb1EES1V_EEDaS1Q_S1R_EUlS1Q_E_NS1_11comp_targetILNS1_3genE9ELNS1_11target_archE1100ELNS1_3gpuE3ELNS1_3repE0EEENS1_30default_config_static_selectorELNS0_4arch9wavefront6targetE0EEEvS13_.numbered_sgpr, 0
	.set _ZN7rocprim17ROCPRIM_400000_NS6detail17trampoline_kernelINS0_13select_configILj256ELj13ELNS0_17block_load_methodE3ELS4_3ELS4_3ELNS0_20block_scan_algorithmE0ELj4294967295EEENS1_25partition_config_selectorILNS1_17partition_subalgoE4EjNS0_10empty_typeEbEEZZNS1_14partition_implILS8_4ELb0ES6_15HIP_vector_typeIjLj2EENS0_17counting_iteratorIjlEEPS9_SG_NS0_5tupleIJPjSI_NS0_16reverse_iteratorISI_EEEEENSH_IJSG_SG_SG_EEES9_SI_JZNS1_25segmented_radix_sort_implINS0_14default_configELb1EPK6__halfPSP_PKlPlN2at6native12_GLOBAL__N_18offset_tEEE10hipError_tPvRmT1_PNSt15iterator_traitsIS13_E10value_typeET2_T3_PNS14_IS19_E10value_typeET4_jRbjT5_S1F_jjP12ihipStream_tbEUljE_ZNSN_ISO_Lb1ESR_SS_SU_SV_SZ_EES10_S11_S12_S13_S17_S18_S19_S1C_S1D_jS1E_jS1F_S1F_jjS1H_bEUljE0_EEES10_S11_S12_S19_S1D_S1F_T6_T7_T9_mT8_S1H_bDpT10_ENKUlT_T0_E_clISt17integral_constantIbLb1EES1V_EEDaS1Q_S1R_EUlS1Q_E_NS1_11comp_targetILNS1_3genE9ELNS1_11target_archE1100ELNS1_3gpuE3ELNS1_3repE0EEENS1_30default_config_static_selectorELNS0_4arch9wavefront6targetE0EEEvS13_.num_named_barrier, 0
	.set _ZN7rocprim17ROCPRIM_400000_NS6detail17trampoline_kernelINS0_13select_configILj256ELj13ELNS0_17block_load_methodE3ELS4_3ELS4_3ELNS0_20block_scan_algorithmE0ELj4294967295EEENS1_25partition_config_selectorILNS1_17partition_subalgoE4EjNS0_10empty_typeEbEEZZNS1_14partition_implILS8_4ELb0ES6_15HIP_vector_typeIjLj2EENS0_17counting_iteratorIjlEEPS9_SG_NS0_5tupleIJPjSI_NS0_16reverse_iteratorISI_EEEEENSH_IJSG_SG_SG_EEES9_SI_JZNS1_25segmented_radix_sort_implINS0_14default_configELb1EPK6__halfPSP_PKlPlN2at6native12_GLOBAL__N_18offset_tEEE10hipError_tPvRmT1_PNSt15iterator_traitsIS13_E10value_typeET2_T3_PNS14_IS19_E10value_typeET4_jRbjT5_S1F_jjP12ihipStream_tbEUljE_ZNSN_ISO_Lb1ESR_SS_SU_SV_SZ_EES10_S11_S12_S13_S17_S18_S19_S1C_S1D_jS1E_jS1F_S1F_jjS1H_bEUljE0_EEES10_S11_S12_S19_S1D_S1F_T6_T7_T9_mT8_S1H_bDpT10_ENKUlT_T0_E_clISt17integral_constantIbLb1EES1V_EEDaS1Q_S1R_EUlS1Q_E_NS1_11comp_targetILNS1_3genE9ELNS1_11target_archE1100ELNS1_3gpuE3ELNS1_3repE0EEENS1_30default_config_static_selectorELNS0_4arch9wavefront6targetE0EEEvS13_.private_seg_size, 0
	.set _ZN7rocprim17ROCPRIM_400000_NS6detail17trampoline_kernelINS0_13select_configILj256ELj13ELNS0_17block_load_methodE3ELS4_3ELS4_3ELNS0_20block_scan_algorithmE0ELj4294967295EEENS1_25partition_config_selectorILNS1_17partition_subalgoE4EjNS0_10empty_typeEbEEZZNS1_14partition_implILS8_4ELb0ES6_15HIP_vector_typeIjLj2EENS0_17counting_iteratorIjlEEPS9_SG_NS0_5tupleIJPjSI_NS0_16reverse_iteratorISI_EEEEENSH_IJSG_SG_SG_EEES9_SI_JZNS1_25segmented_radix_sort_implINS0_14default_configELb1EPK6__halfPSP_PKlPlN2at6native12_GLOBAL__N_18offset_tEEE10hipError_tPvRmT1_PNSt15iterator_traitsIS13_E10value_typeET2_T3_PNS14_IS19_E10value_typeET4_jRbjT5_S1F_jjP12ihipStream_tbEUljE_ZNSN_ISO_Lb1ESR_SS_SU_SV_SZ_EES10_S11_S12_S13_S17_S18_S19_S1C_S1D_jS1E_jS1F_S1F_jjS1H_bEUljE0_EEES10_S11_S12_S19_S1D_S1F_T6_T7_T9_mT8_S1H_bDpT10_ENKUlT_T0_E_clISt17integral_constantIbLb1EES1V_EEDaS1Q_S1R_EUlS1Q_E_NS1_11comp_targetILNS1_3genE9ELNS1_11target_archE1100ELNS1_3gpuE3ELNS1_3repE0EEENS1_30default_config_static_selectorELNS0_4arch9wavefront6targetE0EEEvS13_.uses_vcc, 0
	.set _ZN7rocprim17ROCPRIM_400000_NS6detail17trampoline_kernelINS0_13select_configILj256ELj13ELNS0_17block_load_methodE3ELS4_3ELS4_3ELNS0_20block_scan_algorithmE0ELj4294967295EEENS1_25partition_config_selectorILNS1_17partition_subalgoE4EjNS0_10empty_typeEbEEZZNS1_14partition_implILS8_4ELb0ES6_15HIP_vector_typeIjLj2EENS0_17counting_iteratorIjlEEPS9_SG_NS0_5tupleIJPjSI_NS0_16reverse_iteratorISI_EEEEENSH_IJSG_SG_SG_EEES9_SI_JZNS1_25segmented_radix_sort_implINS0_14default_configELb1EPK6__halfPSP_PKlPlN2at6native12_GLOBAL__N_18offset_tEEE10hipError_tPvRmT1_PNSt15iterator_traitsIS13_E10value_typeET2_T3_PNS14_IS19_E10value_typeET4_jRbjT5_S1F_jjP12ihipStream_tbEUljE_ZNSN_ISO_Lb1ESR_SS_SU_SV_SZ_EES10_S11_S12_S13_S17_S18_S19_S1C_S1D_jS1E_jS1F_S1F_jjS1H_bEUljE0_EEES10_S11_S12_S19_S1D_S1F_T6_T7_T9_mT8_S1H_bDpT10_ENKUlT_T0_E_clISt17integral_constantIbLb1EES1V_EEDaS1Q_S1R_EUlS1Q_E_NS1_11comp_targetILNS1_3genE9ELNS1_11target_archE1100ELNS1_3gpuE3ELNS1_3repE0EEENS1_30default_config_static_selectorELNS0_4arch9wavefront6targetE0EEEvS13_.uses_flat_scratch, 0
	.set _ZN7rocprim17ROCPRIM_400000_NS6detail17trampoline_kernelINS0_13select_configILj256ELj13ELNS0_17block_load_methodE3ELS4_3ELS4_3ELNS0_20block_scan_algorithmE0ELj4294967295EEENS1_25partition_config_selectorILNS1_17partition_subalgoE4EjNS0_10empty_typeEbEEZZNS1_14partition_implILS8_4ELb0ES6_15HIP_vector_typeIjLj2EENS0_17counting_iteratorIjlEEPS9_SG_NS0_5tupleIJPjSI_NS0_16reverse_iteratorISI_EEEEENSH_IJSG_SG_SG_EEES9_SI_JZNS1_25segmented_radix_sort_implINS0_14default_configELb1EPK6__halfPSP_PKlPlN2at6native12_GLOBAL__N_18offset_tEEE10hipError_tPvRmT1_PNSt15iterator_traitsIS13_E10value_typeET2_T3_PNS14_IS19_E10value_typeET4_jRbjT5_S1F_jjP12ihipStream_tbEUljE_ZNSN_ISO_Lb1ESR_SS_SU_SV_SZ_EES10_S11_S12_S13_S17_S18_S19_S1C_S1D_jS1E_jS1F_S1F_jjS1H_bEUljE0_EEES10_S11_S12_S19_S1D_S1F_T6_T7_T9_mT8_S1H_bDpT10_ENKUlT_T0_E_clISt17integral_constantIbLb1EES1V_EEDaS1Q_S1R_EUlS1Q_E_NS1_11comp_targetILNS1_3genE9ELNS1_11target_archE1100ELNS1_3gpuE3ELNS1_3repE0EEENS1_30default_config_static_selectorELNS0_4arch9wavefront6targetE0EEEvS13_.has_dyn_sized_stack, 0
	.set _ZN7rocprim17ROCPRIM_400000_NS6detail17trampoline_kernelINS0_13select_configILj256ELj13ELNS0_17block_load_methodE3ELS4_3ELS4_3ELNS0_20block_scan_algorithmE0ELj4294967295EEENS1_25partition_config_selectorILNS1_17partition_subalgoE4EjNS0_10empty_typeEbEEZZNS1_14partition_implILS8_4ELb0ES6_15HIP_vector_typeIjLj2EENS0_17counting_iteratorIjlEEPS9_SG_NS0_5tupleIJPjSI_NS0_16reverse_iteratorISI_EEEEENSH_IJSG_SG_SG_EEES9_SI_JZNS1_25segmented_radix_sort_implINS0_14default_configELb1EPK6__halfPSP_PKlPlN2at6native12_GLOBAL__N_18offset_tEEE10hipError_tPvRmT1_PNSt15iterator_traitsIS13_E10value_typeET2_T3_PNS14_IS19_E10value_typeET4_jRbjT5_S1F_jjP12ihipStream_tbEUljE_ZNSN_ISO_Lb1ESR_SS_SU_SV_SZ_EES10_S11_S12_S13_S17_S18_S19_S1C_S1D_jS1E_jS1F_S1F_jjS1H_bEUljE0_EEES10_S11_S12_S19_S1D_S1F_T6_T7_T9_mT8_S1H_bDpT10_ENKUlT_T0_E_clISt17integral_constantIbLb1EES1V_EEDaS1Q_S1R_EUlS1Q_E_NS1_11comp_targetILNS1_3genE9ELNS1_11target_archE1100ELNS1_3gpuE3ELNS1_3repE0EEENS1_30default_config_static_selectorELNS0_4arch9wavefront6targetE0EEEvS13_.has_recursion, 0
	.set _ZN7rocprim17ROCPRIM_400000_NS6detail17trampoline_kernelINS0_13select_configILj256ELj13ELNS0_17block_load_methodE3ELS4_3ELS4_3ELNS0_20block_scan_algorithmE0ELj4294967295EEENS1_25partition_config_selectorILNS1_17partition_subalgoE4EjNS0_10empty_typeEbEEZZNS1_14partition_implILS8_4ELb0ES6_15HIP_vector_typeIjLj2EENS0_17counting_iteratorIjlEEPS9_SG_NS0_5tupleIJPjSI_NS0_16reverse_iteratorISI_EEEEENSH_IJSG_SG_SG_EEES9_SI_JZNS1_25segmented_radix_sort_implINS0_14default_configELb1EPK6__halfPSP_PKlPlN2at6native12_GLOBAL__N_18offset_tEEE10hipError_tPvRmT1_PNSt15iterator_traitsIS13_E10value_typeET2_T3_PNS14_IS19_E10value_typeET4_jRbjT5_S1F_jjP12ihipStream_tbEUljE_ZNSN_ISO_Lb1ESR_SS_SU_SV_SZ_EES10_S11_S12_S13_S17_S18_S19_S1C_S1D_jS1E_jS1F_S1F_jjS1H_bEUljE0_EEES10_S11_S12_S19_S1D_S1F_T6_T7_T9_mT8_S1H_bDpT10_ENKUlT_T0_E_clISt17integral_constantIbLb1EES1V_EEDaS1Q_S1R_EUlS1Q_E_NS1_11comp_targetILNS1_3genE9ELNS1_11target_archE1100ELNS1_3gpuE3ELNS1_3repE0EEENS1_30default_config_static_selectorELNS0_4arch9wavefront6targetE0EEEvS13_.has_indirect_call, 0
	.section	.AMDGPU.csdata,"",@progbits
; Kernel info:
; codeLenInByte = 0
; TotalNumSgprs: 0
; NumVgprs: 0
; ScratchSize: 0
; MemoryBound: 0
; FloatMode: 240
; IeeeMode: 1
; LDSByteSize: 0 bytes/workgroup (compile time only)
; SGPRBlocks: 0
; VGPRBlocks: 0
; NumSGPRsForWavesPerEU: 1
; NumVGPRsForWavesPerEU: 1
; Occupancy: 16
; WaveLimiterHint : 0
; COMPUTE_PGM_RSRC2:SCRATCH_EN: 0
; COMPUTE_PGM_RSRC2:USER_SGPR: 2
; COMPUTE_PGM_RSRC2:TRAP_HANDLER: 0
; COMPUTE_PGM_RSRC2:TGID_X_EN: 1
; COMPUTE_PGM_RSRC2:TGID_Y_EN: 0
; COMPUTE_PGM_RSRC2:TGID_Z_EN: 0
; COMPUTE_PGM_RSRC2:TIDIG_COMP_CNT: 0
	.section	.text._ZN7rocprim17ROCPRIM_400000_NS6detail17trampoline_kernelINS0_13select_configILj256ELj13ELNS0_17block_load_methodE3ELS4_3ELS4_3ELNS0_20block_scan_algorithmE0ELj4294967295EEENS1_25partition_config_selectorILNS1_17partition_subalgoE4EjNS0_10empty_typeEbEEZZNS1_14partition_implILS8_4ELb0ES6_15HIP_vector_typeIjLj2EENS0_17counting_iteratorIjlEEPS9_SG_NS0_5tupleIJPjSI_NS0_16reverse_iteratorISI_EEEEENSH_IJSG_SG_SG_EEES9_SI_JZNS1_25segmented_radix_sort_implINS0_14default_configELb1EPK6__halfPSP_PKlPlN2at6native12_GLOBAL__N_18offset_tEEE10hipError_tPvRmT1_PNSt15iterator_traitsIS13_E10value_typeET2_T3_PNS14_IS19_E10value_typeET4_jRbjT5_S1F_jjP12ihipStream_tbEUljE_ZNSN_ISO_Lb1ESR_SS_SU_SV_SZ_EES10_S11_S12_S13_S17_S18_S19_S1C_S1D_jS1E_jS1F_S1F_jjS1H_bEUljE0_EEES10_S11_S12_S19_S1D_S1F_T6_T7_T9_mT8_S1H_bDpT10_ENKUlT_T0_E_clISt17integral_constantIbLb1EES1V_EEDaS1Q_S1R_EUlS1Q_E_NS1_11comp_targetILNS1_3genE8ELNS1_11target_archE1030ELNS1_3gpuE2ELNS1_3repE0EEENS1_30default_config_static_selectorELNS0_4arch9wavefront6targetE0EEEvS13_,"axG",@progbits,_ZN7rocprim17ROCPRIM_400000_NS6detail17trampoline_kernelINS0_13select_configILj256ELj13ELNS0_17block_load_methodE3ELS4_3ELS4_3ELNS0_20block_scan_algorithmE0ELj4294967295EEENS1_25partition_config_selectorILNS1_17partition_subalgoE4EjNS0_10empty_typeEbEEZZNS1_14partition_implILS8_4ELb0ES6_15HIP_vector_typeIjLj2EENS0_17counting_iteratorIjlEEPS9_SG_NS0_5tupleIJPjSI_NS0_16reverse_iteratorISI_EEEEENSH_IJSG_SG_SG_EEES9_SI_JZNS1_25segmented_radix_sort_implINS0_14default_configELb1EPK6__halfPSP_PKlPlN2at6native12_GLOBAL__N_18offset_tEEE10hipError_tPvRmT1_PNSt15iterator_traitsIS13_E10value_typeET2_T3_PNS14_IS19_E10value_typeET4_jRbjT5_S1F_jjP12ihipStream_tbEUljE_ZNSN_ISO_Lb1ESR_SS_SU_SV_SZ_EES10_S11_S12_S13_S17_S18_S19_S1C_S1D_jS1E_jS1F_S1F_jjS1H_bEUljE0_EEES10_S11_S12_S19_S1D_S1F_T6_T7_T9_mT8_S1H_bDpT10_ENKUlT_T0_E_clISt17integral_constantIbLb1EES1V_EEDaS1Q_S1R_EUlS1Q_E_NS1_11comp_targetILNS1_3genE8ELNS1_11target_archE1030ELNS1_3gpuE2ELNS1_3repE0EEENS1_30default_config_static_selectorELNS0_4arch9wavefront6targetE0EEEvS13_,comdat
	.globl	_ZN7rocprim17ROCPRIM_400000_NS6detail17trampoline_kernelINS0_13select_configILj256ELj13ELNS0_17block_load_methodE3ELS4_3ELS4_3ELNS0_20block_scan_algorithmE0ELj4294967295EEENS1_25partition_config_selectorILNS1_17partition_subalgoE4EjNS0_10empty_typeEbEEZZNS1_14partition_implILS8_4ELb0ES6_15HIP_vector_typeIjLj2EENS0_17counting_iteratorIjlEEPS9_SG_NS0_5tupleIJPjSI_NS0_16reverse_iteratorISI_EEEEENSH_IJSG_SG_SG_EEES9_SI_JZNS1_25segmented_radix_sort_implINS0_14default_configELb1EPK6__halfPSP_PKlPlN2at6native12_GLOBAL__N_18offset_tEEE10hipError_tPvRmT1_PNSt15iterator_traitsIS13_E10value_typeET2_T3_PNS14_IS19_E10value_typeET4_jRbjT5_S1F_jjP12ihipStream_tbEUljE_ZNSN_ISO_Lb1ESR_SS_SU_SV_SZ_EES10_S11_S12_S13_S17_S18_S19_S1C_S1D_jS1E_jS1F_S1F_jjS1H_bEUljE0_EEES10_S11_S12_S19_S1D_S1F_T6_T7_T9_mT8_S1H_bDpT10_ENKUlT_T0_E_clISt17integral_constantIbLb1EES1V_EEDaS1Q_S1R_EUlS1Q_E_NS1_11comp_targetILNS1_3genE8ELNS1_11target_archE1030ELNS1_3gpuE2ELNS1_3repE0EEENS1_30default_config_static_selectorELNS0_4arch9wavefront6targetE0EEEvS13_ ; -- Begin function _ZN7rocprim17ROCPRIM_400000_NS6detail17trampoline_kernelINS0_13select_configILj256ELj13ELNS0_17block_load_methodE3ELS4_3ELS4_3ELNS0_20block_scan_algorithmE0ELj4294967295EEENS1_25partition_config_selectorILNS1_17partition_subalgoE4EjNS0_10empty_typeEbEEZZNS1_14partition_implILS8_4ELb0ES6_15HIP_vector_typeIjLj2EENS0_17counting_iteratorIjlEEPS9_SG_NS0_5tupleIJPjSI_NS0_16reverse_iteratorISI_EEEEENSH_IJSG_SG_SG_EEES9_SI_JZNS1_25segmented_radix_sort_implINS0_14default_configELb1EPK6__halfPSP_PKlPlN2at6native12_GLOBAL__N_18offset_tEEE10hipError_tPvRmT1_PNSt15iterator_traitsIS13_E10value_typeET2_T3_PNS14_IS19_E10value_typeET4_jRbjT5_S1F_jjP12ihipStream_tbEUljE_ZNSN_ISO_Lb1ESR_SS_SU_SV_SZ_EES10_S11_S12_S13_S17_S18_S19_S1C_S1D_jS1E_jS1F_S1F_jjS1H_bEUljE0_EEES10_S11_S12_S19_S1D_S1F_T6_T7_T9_mT8_S1H_bDpT10_ENKUlT_T0_E_clISt17integral_constantIbLb1EES1V_EEDaS1Q_S1R_EUlS1Q_E_NS1_11comp_targetILNS1_3genE8ELNS1_11target_archE1030ELNS1_3gpuE2ELNS1_3repE0EEENS1_30default_config_static_selectorELNS0_4arch9wavefront6targetE0EEEvS13_
	.p2align	8
	.type	_ZN7rocprim17ROCPRIM_400000_NS6detail17trampoline_kernelINS0_13select_configILj256ELj13ELNS0_17block_load_methodE3ELS4_3ELS4_3ELNS0_20block_scan_algorithmE0ELj4294967295EEENS1_25partition_config_selectorILNS1_17partition_subalgoE4EjNS0_10empty_typeEbEEZZNS1_14partition_implILS8_4ELb0ES6_15HIP_vector_typeIjLj2EENS0_17counting_iteratorIjlEEPS9_SG_NS0_5tupleIJPjSI_NS0_16reverse_iteratorISI_EEEEENSH_IJSG_SG_SG_EEES9_SI_JZNS1_25segmented_radix_sort_implINS0_14default_configELb1EPK6__halfPSP_PKlPlN2at6native12_GLOBAL__N_18offset_tEEE10hipError_tPvRmT1_PNSt15iterator_traitsIS13_E10value_typeET2_T3_PNS14_IS19_E10value_typeET4_jRbjT5_S1F_jjP12ihipStream_tbEUljE_ZNSN_ISO_Lb1ESR_SS_SU_SV_SZ_EES10_S11_S12_S13_S17_S18_S19_S1C_S1D_jS1E_jS1F_S1F_jjS1H_bEUljE0_EEES10_S11_S12_S19_S1D_S1F_T6_T7_T9_mT8_S1H_bDpT10_ENKUlT_T0_E_clISt17integral_constantIbLb1EES1V_EEDaS1Q_S1R_EUlS1Q_E_NS1_11comp_targetILNS1_3genE8ELNS1_11target_archE1030ELNS1_3gpuE2ELNS1_3repE0EEENS1_30default_config_static_selectorELNS0_4arch9wavefront6targetE0EEEvS13_,@function
_ZN7rocprim17ROCPRIM_400000_NS6detail17trampoline_kernelINS0_13select_configILj256ELj13ELNS0_17block_load_methodE3ELS4_3ELS4_3ELNS0_20block_scan_algorithmE0ELj4294967295EEENS1_25partition_config_selectorILNS1_17partition_subalgoE4EjNS0_10empty_typeEbEEZZNS1_14partition_implILS8_4ELb0ES6_15HIP_vector_typeIjLj2EENS0_17counting_iteratorIjlEEPS9_SG_NS0_5tupleIJPjSI_NS0_16reverse_iteratorISI_EEEEENSH_IJSG_SG_SG_EEES9_SI_JZNS1_25segmented_radix_sort_implINS0_14default_configELb1EPK6__halfPSP_PKlPlN2at6native12_GLOBAL__N_18offset_tEEE10hipError_tPvRmT1_PNSt15iterator_traitsIS13_E10value_typeET2_T3_PNS14_IS19_E10value_typeET4_jRbjT5_S1F_jjP12ihipStream_tbEUljE_ZNSN_ISO_Lb1ESR_SS_SU_SV_SZ_EES10_S11_S12_S13_S17_S18_S19_S1C_S1D_jS1E_jS1F_S1F_jjS1H_bEUljE0_EEES10_S11_S12_S19_S1D_S1F_T6_T7_T9_mT8_S1H_bDpT10_ENKUlT_T0_E_clISt17integral_constantIbLb1EES1V_EEDaS1Q_S1R_EUlS1Q_E_NS1_11comp_targetILNS1_3genE8ELNS1_11target_archE1030ELNS1_3gpuE2ELNS1_3repE0EEENS1_30default_config_static_selectorELNS0_4arch9wavefront6targetE0EEEvS13_: ; @_ZN7rocprim17ROCPRIM_400000_NS6detail17trampoline_kernelINS0_13select_configILj256ELj13ELNS0_17block_load_methodE3ELS4_3ELS4_3ELNS0_20block_scan_algorithmE0ELj4294967295EEENS1_25partition_config_selectorILNS1_17partition_subalgoE4EjNS0_10empty_typeEbEEZZNS1_14partition_implILS8_4ELb0ES6_15HIP_vector_typeIjLj2EENS0_17counting_iteratorIjlEEPS9_SG_NS0_5tupleIJPjSI_NS0_16reverse_iteratorISI_EEEEENSH_IJSG_SG_SG_EEES9_SI_JZNS1_25segmented_radix_sort_implINS0_14default_configELb1EPK6__halfPSP_PKlPlN2at6native12_GLOBAL__N_18offset_tEEE10hipError_tPvRmT1_PNSt15iterator_traitsIS13_E10value_typeET2_T3_PNS14_IS19_E10value_typeET4_jRbjT5_S1F_jjP12ihipStream_tbEUljE_ZNSN_ISO_Lb1ESR_SS_SU_SV_SZ_EES10_S11_S12_S13_S17_S18_S19_S1C_S1D_jS1E_jS1F_S1F_jjS1H_bEUljE0_EEES10_S11_S12_S19_S1D_S1F_T6_T7_T9_mT8_S1H_bDpT10_ENKUlT_T0_E_clISt17integral_constantIbLb1EES1V_EEDaS1Q_S1R_EUlS1Q_E_NS1_11comp_targetILNS1_3genE8ELNS1_11target_archE1030ELNS1_3gpuE2ELNS1_3repE0EEENS1_30default_config_static_selectorELNS0_4arch9wavefront6targetE0EEEvS13_
; %bb.0:
	.section	.rodata,"a",@progbits
	.p2align	6, 0x0
	.amdhsa_kernel _ZN7rocprim17ROCPRIM_400000_NS6detail17trampoline_kernelINS0_13select_configILj256ELj13ELNS0_17block_load_methodE3ELS4_3ELS4_3ELNS0_20block_scan_algorithmE0ELj4294967295EEENS1_25partition_config_selectorILNS1_17partition_subalgoE4EjNS0_10empty_typeEbEEZZNS1_14partition_implILS8_4ELb0ES6_15HIP_vector_typeIjLj2EENS0_17counting_iteratorIjlEEPS9_SG_NS0_5tupleIJPjSI_NS0_16reverse_iteratorISI_EEEEENSH_IJSG_SG_SG_EEES9_SI_JZNS1_25segmented_radix_sort_implINS0_14default_configELb1EPK6__halfPSP_PKlPlN2at6native12_GLOBAL__N_18offset_tEEE10hipError_tPvRmT1_PNSt15iterator_traitsIS13_E10value_typeET2_T3_PNS14_IS19_E10value_typeET4_jRbjT5_S1F_jjP12ihipStream_tbEUljE_ZNSN_ISO_Lb1ESR_SS_SU_SV_SZ_EES10_S11_S12_S13_S17_S18_S19_S1C_S1D_jS1E_jS1F_S1F_jjS1H_bEUljE0_EEES10_S11_S12_S19_S1D_S1F_T6_T7_T9_mT8_S1H_bDpT10_ENKUlT_T0_E_clISt17integral_constantIbLb1EES1V_EEDaS1Q_S1R_EUlS1Q_E_NS1_11comp_targetILNS1_3genE8ELNS1_11target_archE1030ELNS1_3gpuE2ELNS1_3repE0EEENS1_30default_config_static_selectorELNS0_4arch9wavefront6targetE0EEEvS13_
		.amdhsa_group_segment_fixed_size 0
		.amdhsa_private_segment_fixed_size 0
		.amdhsa_kernarg_size 184
		.amdhsa_user_sgpr_count 2
		.amdhsa_user_sgpr_dispatch_ptr 0
		.amdhsa_user_sgpr_queue_ptr 0
		.amdhsa_user_sgpr_kernarg_segment_ptr 1
		.amdhsa_user_sgpr_dispatch_id 0
		.amdhsa_user_sgpr_private_segment_size 0
		.amdhsa_wavefront_size32 1
		.amdhsa_uses_dynamic_stack 0
		.amdhsa_enable_private_segment 0
		.amdhsa_system_sgpr_workgroup_id_x 1
		.amdhsa_system_sgpr_workgroup_id_y 0
		.amdhsa_system_sgpr_workgroup_id_z 0
		.amdhsa_system_sgpr_workgroup_info 0
		.amdhsa_system_vgpr_workitem_id 0
		.amdhsa_next_free_vgpr 1
		.amdhsa_next_free_sgpr 1
		.amdhsa_reserve_vcc 0
		.amdhsa_float_round_mode_32 0
		.amdhsa_float_round_mode_16_64 0
		.amdhsa_float_denorm_mode_32 3
		.amdhsa_float_denorm_mode_16_64 3
		.amdhsa_fp16_overflow 0
		.amdhsa_workgroup_processor_mode 1
		.amdhsa_memory_ordered 1
		.amdhsa_forward_progress 1
		.amdhsa_inst_pref_size 0
		.amdhsa_round_robin_scheduling 0
		.amdhsa_exception_fp_ieee_invalid_op 0
		.amdhsa_exception_fp_denorm_src 0
		.amdhsa_exception_fp_ieee_div_zero 0
		.amdhsa_exception_fp_ieee_overflow 0
		.amdhsa_exception_fp_ieee_underflow 0
		.amdhsa_exception_fp_ieee_inexact 0
		.amdhsa_exception_int_div_zero 0
	.end_amdhsa_kernel
	.section	.text._ZN7rocprim17ROCPRIM_400000_NS6detail17trampoline_kernelINS0_13select_configILj256ELj13ELNS0_17block_load_methodE3ELS4_3ELS4_3ELNS0_20block_scan_algorithmE0ELj4294967295EEENS1_25partition_config_selectorILNS1_17partition_subalgoE4EjNS0_10empty_typeEbEEZZNS1_14partition_implILS8_4ELb0ES6_15HIP_vector_typeIjLj2EENS0_17counting_iteratorIjlEEPS9_SG_NS0_5tupleIJPjSI_NS0_16reverse_iteratorISI_EEEEENSH_IJSG_SG_SG_EEES9_SI_JZNS1_25segmented_radix_sort_implINS0_14default_configELb1EPK6__halfPSP_PKlPlN2at6native12_GLOBAL__N_18offset_tEEE10hipError_tPvRmT1_PNSt15iterator_traitsIS13_E10value_typeET2_T3_PNS14_IS19_E10value_typeET4_jRbjT5_S1F_jjP12ihipStream_tbEUljE_ZNSN_ISO_Lb1ESR_SS_SU_SV_SZ_EES10_S11_S12_S13_S17_S18_S19_S1C_S1D_jS1E_jS1F_S1F_jjS1H_bEUljE0_EEES10_S11_S12_S19_S1D_S1F_T6_T7_T9_mT8_S1H_bDpT10_ENKUlT_T0_E_clISt17integral_constantIbLb1EES1V_EEDaS1Q_S1R_EUlS1Q_E_NS1_11comp_targetILNS1_3genE8ELNS1_11target_archE1030ELNS1_3gpuE2ELNS1_3repE0EEENS1_30default_config_static_selectorELNS0_4arch9wavefront6targetE0EEEvS13_,"axG",@progbits,_ZN7rocprim17ROCPRIM_400000_NS6detail17trampoline_kernelINS0_13select_configILj256ELj13ELNS0_17block_load_methodE3ELS4_3ELS4_3ELNS0_20block_scan_algorithmE0ELj4294967295EEENS1_25partition_config_selectorILNS1_17partition_subalgoE4EjNS0_10empty_typeEbEEZZNS1_14partition_implILS8_4ELb0ES6_15HIP_vector_typeIjLj2EENS0_17counting_iteratorIjlEEPS9_SG_NS0_5tupleIJPjSI_NS0_16reverse_iteratorISI_EEEEENSH_IJSG_SG_SG_EEES9_SI_JZNS1_25segmented_radix_sort_implINS0_14default_configELb1EPK6__halfPSP_PKlPlN2at6native12_GLOBAL__N_18offset_tEEE10hipError_tPvRmT1_PNSt15iterator_traitsIS13_E10value_typeET2_T3_PNS14_IS19_E10value_typeET4_jRbjT5_S1F_jjP12ihipStream_tbEUljE_ZNSN_ISO_Lb1ESR_SS_SU_SV_SZ_EES10_S11_S12_S13_S17_S18_S19_S1C_S1D_jS1E_jS1F_S1F_jjS1H_bEUljE0_EEES10_S11_S12_S19_S1D_S1F_T6_T7_T9_mT8_S1H_bDpT10_ENKUlT_T0_E_clISt17integral_constantIbLb1EES1V_EEDaS1Q_S1R_EUlS1Q_E_NS1_11comp_targetILNS1_3genE8ELNS1_11target_archE1030ELNS1_3gpuE2ELNS1_3repE0EEENS1_30default_config_static_selectorELNS0_4arch9wavefront6targetE0EEEvS13_,comdat
.Lfunc_end1690:
	.size	_ZN7rocprim17ROCPRIM_400000_NS6detail17trampoline_kernelINS0_13select_configILj256ELj13ELNS0_17block_load_methodE3ELS4_3ELS4_3ELNS0_20block_scan_algorithmE0ELj4294967295EEENS1_25partition_config_selectorILNS1_17partition_subalgoE4EjNS0_10empty_typeEbEEZZNS1_14partition_implILS8_4ELb0ES6_15HIP_vector_typeIjLj2EENS0_17counting_iteratorIjlEEPS9_SG_NS0_5tupleIJPjSI_NS0_16reverse_iteratorISI_EEEEENSH_IJSG_SG_SG_EEES9_SI_JZNS1_25segmented_radix_sort_implINS0_14default_configELb1EPK6__halfPSP_PKlPlN2at6native12_GLOBAL__N_18offset_tEEE10hipError_tPvRmT1_PNSt15iterator_traitsIS13_E10value_typeET2_T3_PNS14_IS19_E10value_typeET4_jRbjT5_S1F_jjP12ihipStream_tbEUljE_ZNSN_ISO_Lb1ESR_SS_SU_SV_SZ_EES10_S11_S12_S13_S17_S18_S19_S1C_S1D_jS1E_jS1F_S1F_jjS1H_bEUljE0_EEES10_S11_S12_S19_S1D_S1F_T6_T7_T9_mT8_S1H_bDpT10_ENKUlT_T0_E_clISt17integral_constantIbLb1EES1V_EEDaS1Q_S1R_EUlS1Q_E_NS1_11comp_targetILNS1_3genE8ELNS1_11target_archE1030ELNS1_3gpuE2ELNS1_3repE0EEENS1_30default_config_static_selectorELNS0_4arch9wavefront6targetE0EEEvS13_, .Lfunc_end1690-_ZN7rocprim17ROCPRIM_400000_NS6detail17trampoline_kernelINS0_13select_configILj256ELj13ELNS0_17block_load_methodE3ELS4_3ELS4_3ELNS0_20block_scan_algorithmE0ELj4294967295EEENS1_25partition_config_selectorILNS1_17partition_subalgoE4EjNS0_10empty_typeEbEEZZNS1_14partition_implILS8_4ELb0ES6_15HIP_vector_typeIjLj2EENS0_17counting_iteratorIjlEEPS9_SG_NS0_5tupleIJPjSI_NS0_16reverse_iteratorISI_EEEEENSH_IJSG_SG_SG_EEES9_SI_JZNS1_25segmented_radix_sort_implINS0_14default_configELb1EPK6__halfPSP_PKlPlN2at6native12_GLOBAL__N_18offset_tEEE10hipError_tPvRmT1_PNSt15iterator_traitsIS13_E10value_typeET2_T3_PNS14_IS19_E10value_typeET4_jRbjT5_S1F_jjP12ihipStream_tbEUljE_ZNSN_ISO_Lb1ESR_SS_SU_SV_SZ_EES10_S11_S12_S13_S17_S18_S19_S1C_S1D_jS1E_jS1F_S1F_jjS1H_bEUljE0_EEES10_S11_S12_S19_S1D_S1F_T6_T7_T9_mT8_S1H_bDpT10_ENKUlT_T0_E_clISt17integral_constantIbLb1EES1V_EEDaS1Q_S1R_EUlS1Q_E_NS1_11comp_targetILNS1_3genE8ELNS1_11target_archE1030ELNS1_3gpuE2ELNS1_3repE0EEENS1_30default_config_static_selectorELNS0_4arch9wavefront6targetE0EEEvS13_
                                        ; -- End function
	.set _ZN7rocprim17ROCPRIM_400000_NS6detail17trampoline_kernelINS0_13select_configILj256ELj13ELNS0_17block_load_methodE3ELS4_3ELS4_3ELNS0_20block_scan_algorithmE0ELj4294967295EEENS1_25partition_config_selectorILNS1_17partition_subalgoE4EjNS0_10empty_typeEbEEZZNS1_14partition_implILS8_4ELb0ES6_15HIP_vector_typeIjLj2EENS0_17counting_iteratorIjlEEPS9_SG_NS0_5tupleIJPjSI_NS0_16reverse_iteratorISI_EEEEENSH_IJSG_SG_SG_EEES9_SI_JZNS1_25segmented_radix_sort_implINS0_14default_configELb1EPK6__halfPSP_PKlPlN2at6native12_GLOBAL__N_18offset_tEEE10hipError_tPvRmT1_PNSt15iterator_traitsIS13_E10value_typeET2_T3_PNS14_IS19_E10value_typeET4_jRbjT5_S1F_jjP12ihipStream_tbEUljE_ZNSN_ISO_Lb1ESR_SS_SU_SV_SZ_EES10_S11_S12_S13_S17_S18_S19_S1C_S1D_jS1E_jS1F_S1F_jjS1H_bEUljE0_EEES10_S11_S12_S19_S1D_S1F_T6_T7_T9_mT8_S1H_bDpT10_ENKUlT_T0_E_clISt17integral_constantIbLb1EES1V_EEDaS1Q_S1R_EUlS1Q_E_NS1_11comp_targetILNS1_3genE8ELNS1_11target_archE1030ELNS1_3gpuE2ELNS1_3repE0EEENS1_30default_config_static_selectorELNS0_4arch9wavefront6targetE0EEEvS13_.num_vgpr, 0
	.set _ZN7rocprim17ROCPRIM_400000_NS6detail17trampoline_kernelINS0_13select_configILj256ELj13ELNS0_17block_load_methodE3ELS4_3ELS4_3ELNS0_20block_scan_algorithmE0ELj4294967295EEENS1_25partition_config_selectorILNS1_17partition_subalgoE4EjNS0_10empty_typeEbEEZZNS1_14partition_implILS8_4ELb0ES6_15HIP_vector_typeIjLj2EENS0_17counting_iteratorIjlEEPS9_SG_NS0_5tupleIJPjSI_NS0_16reverse_iteratorISI_EEEEENSH_IJSG_SG_SG_EEES9_SI_JZNS1_25segmented_radix_sort_implINS0_14default_configELb1EPK6__halfPSP_PKlPlN2at6native12_GLOBAL__N_18offset_tEEE10hipError_tPvRmT1_PNSt15iterator_traitsIS13_E10value_typeET2_T3_PNS14_IS19_E10value_typeET4_jRbjT5_S1F_jjP12ihipStream_tbEUljE_ZNSN_ISO_Lb1ESR_SS_SU_SV_SZ_EES10_S11_S12_S13_S17_S18_S19_S1C_S1D_jS1E_jS1F_S1F_jjS1H_bEUljE0_EEES10_S11_S12_S19_S1D_S1F_T6_T7_T9_mT8_S1H_bDpT10_ENKUlT_T0_E_clISt17integral_constantIbLb1EES1V_EEDaS1Q_S1R_EUlS1Q_E_NS1_11comp_targetILNS1_3genE8ELNS1_11target_archE1030ELNS1_3gpuE2ELNS1_3repE0EEENS1_30default_config_static_selectorELNS0_4arch9wavefront6targetE0EEEvS13_.num_agpr, 0
	.set _ZN7rocprim17ROCPRIM_400000_NS6detail17trampoline_kernelINS0_13select_configILj256ELj13ELNS0_17block_load_methodE3ELS4_3ELS4_3ELNS0_20block_scan_algorithmE0ELj4294967295EEENS1_25partition_config_selectorILNS1_17partition_subalgoE4EjNS0_10empty_typeEbEEZZNS1_14partition_implILS8_4ELb0ES6_15HIP_vector_typeIjLj2EENS0_17counting_iteratorIjlEEPS9_SG_NS0_5tupleIJPjSI_NS0_16reverse_iteratorISI_EEEEENSH_IJSG_SG_SG_EEES9_SI_JZNS1_25segmented_radix_sort_implINS0_14default_configELb1EPK6__halfPSP_PKlPlN2at6native12_GLOBAL__N_18offset_tEEE10hipError_tPvRmT1_PNSt15iterator_traitsIS13_E10value_typeET2_T3_PNS14_IS19_E10value_typeET4_jRbjT5_S1F_jjP12ihipStream_tbEUljE_ZNSN_ISO_Lb1ESR_SS_SU_SV_SZ_EES10_S11_S12_S13_S17_S18_S19_S1C_S1D_jS1E_jS1F_S1F_jjS1H_bEUljE0_EEES10_S11_S12_S19_S1D_S1F_T6_T7_T9_mT8_S1H_bDpT10_ENKUlT_T0_E_clISt17integral_constantIbLb1EES1V_EEDaS1Q_S1R_EUlS1Q_E_NS1_11comp_targetILNS1_3genE8ELNS1_11target_archE1030ELNS1_3gpuE2ELNS1_3repE0EEENS1_30default_config_static_selectorELNS0_4arch9wavefront6targetE0EEEvS13_.numbered_sgpr, 0
	.set _ZN7rocprim17ROCPRIM_400000_NS6detail17trampoline_kernelINS0_13select_configILj256ELj13ELNS0_17block_load_methodE3ELS4_3ELS4_3ELNS0_20block_scan_algorithmE0ELj4294967295EEENS1_25partition_config_selectorILNS1_17partition_subalgoE4EjNS0_10empty_typeEbEEZZNS1_14partition_implILS8_4ELb0ES6_15HIP_vector_typeIjLj2EENS0_17counting_iteratorIjlEEPS9_SG_NS0_5tupleIJPjSI_NS0_16reverse_iteratorISI_EEEEENSH_IJSG_SG_SG_EEES9_SI_JZNS1_25segmented_radix_sort_implINS0_14default_configELb1EPK6__halfPSP_PKlPlN2at6native12_GLOBAL__N_18offset_tEEE10hipError_tPvRmT1_PNSt15iterator_traitsIS13_E10value_typeET2_T3_PNS14_IS19_E10value_typeET4_jRbjT5_S1F_jjP12ihipStream_tbEUljE_ZNSN_ISO_Lb1ESR_SS_SU_SV_SZ_EES10_S11_S12_S13_S17_S18_S19_S1C_S1D_jS1E_jS1F_S1F_jjS1H_bEUljE0_EEES10_S11_S12_S19_S1D_S1F_T6_T7_T9_mT8_S1H_bDpT10_ENKUlT_T0_E_clISt17integral_constantIbLb1EES1V_EEDaS1Q_S1R_EUlS1Q_E_NS1_11comp_targetILNS1_3genE8ELNS1_11target_archE1030ELNS1_3gpuE2ELNS1_3repE0EEENS1_30default_config_static_selectorELNS0_4arch9wavefront6targetE0EEEvS13_.num_named_barrier, 0
	.set _ZN7rocprim17ROCPRIM_400000_NS6detail17trampoline_kernelINS0_13select_configILj256ELj13ELNS0_17block_load_methodE3ELS4_3ELS4_3ELNS0_20block_scan_algorithmE0ELj4294967295EEENS1_25partition_config_selectorILNS1_17partition_subalgoE4EjNS0_10empty_typeEbEEZZNS1_14partition_implILS8_4ELb0ES6_15HIP_vector_typeIjLj2EENS0_17counting_iteratorIjlEEPS9_SG_NS0_5tupleIJPjSI_NS0_16reverse_iteratorISI_EEEEENSH_IJSG_SG_SG_EEES9_SI_JZNS1_25segmented_radix_sort_implINS0_14default_configELb1EPK6__halfPSP_PKlPlN2at6native12_GLOBAL__N_18offset_tEEE10hipError_tPvRmT1_PNSt15iterator_traitsIS13_E10value_typeET2_T3_PNS14_IS19_E10value_typeET4_jRbjT5_S1F_jjP12ihipStream_tbEUljE_ZNSN_ISO_Lb1ESR_SS_SU_SV_SZ_EES10_S11_S12_S13_S17_S18_S19_S1C_S1D_jS1E_jS1F_S1F_jjS1H_bEUljE0_EEES10_S11_S12_S19_S1D_S1F_T6_T7_T9_mT8_S1H_bDpT10_ENKUlT_T0_E_clISt17integral_constantIbLb1EES1V_EEDaS1Q_S1R_EUlS1Q_E_NS1_11comp_targetILNS1_3genE8ELNS1_11target_archE1030ELNS1_3gpuE2ELNS1_3repE0EEENS1_30default_config_static_selectorELNS0_4arch9wavefront6targetE0EEEvS13_.private_seg_size, 0
	.set _ZN7rocprim17ROCPRIM_400000_NS6detail17trampoline_kernelINS0_13select_configILj256ELj13ELNS0_17block_load_methodE3ELS4_3ELS4_3ELNS0_20block_scan_algorithmE0ELj4294967295EEENS1_25partition_config_selectorILNS1_17partition_subalgoE4EjNS0_10empty_typeEbEEZZNS1_14partition_implILS8_4ELb0ES6_15HIP_vector_typeIjLj2EENS0_17counting_iteratorIjlEEPS9_SG_NS0_5tupleIJPjSI_NS0_16reverse_iteratorISI_EEEEENSH_IJSG_SG_SG_EEES9_SI_JZNS1_25segmented_radix_sort_implINS0_14default_configELb1EPK6__halfPSP_PKlPlN2at6native12_GLOBAL__N_18offset_tEEE10hipError_tPvRmT1_PNSt15iterator_traitsIS13_E10value_typeET2_T3_PNS14_IS19_E10value_typeET4_jRbjT5_S1F_jjP12ihipStream_tbEUljE_ZNSN_ISO_Lb1ESR_SS_SU_SV_SZ_EES10_S11_S12_S13_S17_S18_S19_S1C_S1D_jS1E_jS1F_S1F_jjS1H_bEUljE0_EEES10_S11_S12_S19_S1D_S1F_T6_T7_T9_mT8_S1H_bDpT10_ENKUlT_T0_E_clISt17integral_constantIbLb1EES1V_EEDaS1Q_S1R_EUlS1Q_E_NS1_11comp_targetILNS1_3genE8ELNS1_11target_archE1030ELNS1_3gpuE2ELNS1_3repE0EEENS1_30default_config_static_selectorELNS0_4arch9wavefront6targetE0EEEvS13_.uses_vcc, 0
	.set _ZN7rocprim17ROCPRIM_400000_NS6detail17trampoline_kernelINS0_13select_configILj256ELj13ELNS0_17block_load_methodE3ELS4_3ELS4_3ELNS0_20block_scan_algorithmE0ELj4294967295EEENS1_25partition_config_selectorILNS1_17partition_subalgoE4EjNS0_10empty_typeEbEEZZNS1_14partition_implILS8_4ELb0ES6_15HIP_vector_typeIjLj2EENS0_17counting_iteratorIjlEEPS9_SG_NS0_5tupleIJPjSI_NS0_16reverse_iteratorISI_EEEEENSH_IJSG_SG_SG_EEES9_SI_JZNS1_25segmented_radix_sort_implINS0_14default_configELb1EPK6__halfPSP_PKlPlN2at6native12_GLOBAL__N_18offset_tEEE10hipError_tPvRmT1_PNSt15iterator_traitsIS13_E10value_typeET2_T3_PNS14_IS19_E10value_typeET4_jRbjT5_S1F_jjP12ihipStream_tbEUljE_ZNSN_ISO_Lb1ESR_SS_SU_SV_SZ_EES10_S11_S12_S13_S17_S18_S19_S1C_S1D_jS1E_jS1F_S1F_jjS1H_bEUljE0_EEES10_S11_S12_S19_S1D_S1F_T6_T7_T9_mT8_S1H_bDpT10_ENKUlT_T0_E_clISt17integral_constantIbLb1EES1V_EEDaS1Q_S1R_EUlS1Q_E_NS1_11comp_targetILNS1_3genE8ELNS1_11target_archE1030ELNS1_3gpuE2ELNS1_3repE0EEENS1_30default_config_static_selectorELNS0_4arch9wavefront6targetE0EEEvS13_.uses_flat_scratch, 0
	.set _ZN7rocprim17ROCPRIM_400000_NS6detail17trampoline_kernelINS0_13select_configILj256ELj13ELNS0_17block_load_methodE3ELS4_3ELS4_3ELNS0_20block_scan_algorithmE0ELj4294967295EEENS1_25partition_config_selectorILNS1_17partition_subalgoE4EjNS0_10empty_typeEbEEZZNS1_14partition_implILS8_4ELb0ES6_15HIP_vector_typeIjLj2EENS0_17counting_iteratorIjlEEPS9_SG_NS0_5tupleIJPjSI_NS0_16reverse_iteratorISI_EEEEENSH_IJSG_SG_SG_EEES9_SI_JZNS1_25segmented_radix_sort_implINS0_14default_configELb1EPK6__halfPSP_PKlPlN2at6native12_GLOBAL__N_18offset_tEEE10hipError_tPvRmT1_PNSt15iterator_traitsIS13_E10value_typeET2_T3_PNS14_IS19_E10value_typeET4_jRbjT5_S1F_jjP12ihipStream_tbEUljE_ZNSN_ISO_Lb1ESR_SS_SU_SV_SZ_EES10_S11_S12_S13_S17_S18_S19_S1C_S1D_jS1E_jS1F_S1F_jjS1H_bEUljE0_EEES10_S11_S12_S19_S1D_S1F_T6_T7_T9_mT8_S1H_bDpT10_ENKUlT_T0_E_clISt17integral_constantIbLb1EES1V_EEDaS1Q_S1R_EUlS1Q_E_NS1_11comp_targetILNS1_3genE8ELNS1_11target_archE1030ELNS1_3gpuE2ELNS1_3repE0EEENS1_30default_config_static_selectorELNS0_4arch9wavefront6targetE0EEEvS13_.has_dyn_sized_stack, 0
	.set _ZN7rocprim17ROCPRIM_400000_NS6detail17trampoline_kernelINS0_13select_configILj256ELj13ELNS0_17block_load_methodE3ELS4_3ELS4_3ELNS0_20block_scan_algorithmE0ELj4294967295EEENS1_25partition_config_selectorILNS1_17partition_subalgoE4EjNS0_10empty_typeEbEEZZNS1_14partition_implILS8_4ELb0ES6_15HIP_vector_typeIjLj2EENS0_17counting_iteratorIjlEEPS9_SG_NS0_5tupleIJPjSI_NS0_16reverse_iteratorISI_EEEEENSH_IJSG_SG_SG_EEES9_SI_JZNS1_25segmented_radix_sort_implINS0_14default_configELb1EPK6__halfPSP_PKlPlN2at6native12_GLOBAL__N_18offset_tEEE10hipError_tPvRmT1_PNSt15iterator_traitsIS13_E10value_typeET2_T3_PNS14_IS19_E10value_typeET4_jRbjT5_S1F_jjP12ihipStream_tbEUljE_ZNSN_ISO_Lb1ESR_SS_SU_SV_SZ_EES10_S11_S12_S13_S17_S18_S19_S1C_S1D_jS1E_jS1F_S1F_jjS1H_bEUljE0_EEES10_S11_S12_S19_S1D_S1F_T6_T7_T9_mT8_S1H_bDpT10_ENKUlT_T0_E_clISt17integral_constantIbLb1EES1V_EEDaS1Q_S1R_EUlS1Q_E_NS1_11comp_targetILNS1_3genE8ELNS1_11target_archE1030ELNS1_3gpuE2ELNS1_3repE0EEENS1_30default_config_static_selectorELNS0_4arch9wavefront6targetE0EEEvS13_.has_recursion, 0
	.set _ZN7rocprim17ROCPRIM_400000_NS6detail17trampoline_kernelINS0_13select_configILj256ELj13ELNS0_17block_load_methodE3ELS4_3ELS4_3ELNS0_20block_scan_algorithmE0ELj4294967295EEENS1_25partition_config_selectorILNS1_17partition_subalgoE4EjNS0_10empty_typeEbEEZZNS1_14partition_implILS8_4ELb0ES6_15HIP_vector_typeIjLj2EENS0_17counting_iteratorIjlEEPS9_SG_NS0_5tupleIJPjSI_NS0_16reverse_iteratorISI_EEEEENSH_IJSG_SG_SG_EEES9_SI_JZNS1_25segmented_radix_sort_implINS0_14default_configELb1EPK6__halfPSP_PKlPlN2at6native12_GLOBAL__N_18offset_tEEE10hipError_tPvRmT1_PNSt15iterator_traitsIS13_E10value_typeET2_T3_PNS14_IS19_E10value_typeET4_jRbjT5_S1F_jjP12ihipStream_tbEUljE_ZNSN_ISO_Lb1ESR_SS_SU_SV_SZ_EES10_S11_S12_S13_S17_S18_S19_S1C_S1D_jS1E_jS1F_S1F_jjS1H_bEUljE0_EEES10_S11_S12_S19_S1D_S1F_T6_T7_T9_mT8_S1H_bDpT10_ENKUlT_T0_E_clISt17integral_constantIbLb1EES1V_EEDaS1Q_S1R_EUlS1Q_E_NS1_11comp_targetILNS1_3genE8ELNS1_11target_archE1030ELNS1_3gpuE2ELNS1_3repE0EEENS1_30default_config_static_selectorELNS0_4arch9wavefront6targetE0EEEvS13_.has_indirect_call, 0
	.section	.AMDGPU.csdata,"",@progbits
; Kernel info:
; codeLenInByte = 0
; TotalNumSgprs: 0
; NumVgprs: 0
; ScratchSize: 0
; MemoryBound: 0
; FloatMode: 240
; IeeeMode: 1
; LDSByteSize: 0 bytes/workgroup (compile time only)
; SGPRBlocks: 0
; VGPRBlocks: 0
; NumSGPRsForWavesPerEU: 1
; NumVGPRsForWavesPerEU: 1
; Occupancy: 16
; WaveLimiterHint : 0
; COMPUTE_PGM_RSRC2:SCRATCH_EN: 0
; COMPUTE_PGM_RSRC2:USER_SGPR: 2
; COMPUTE_PGM_RSRC2:TRAP_HANDLER: 0
; COMPUTE_PGM_RSRC2:TGID_X_EN: 1
; COMPUTE_PGM_RSRC2:TGID_Y_EN: 0
; COMPUTE_PGM_RSRC2:TGID_Z_EN: 0
; COMPUTE_PGM_RSRC2:TIDIG_COMP_CNT: 0
	.section	.text._ZN7rocprim17ROCPRIM_400000_NS6detail17trampoline_kernelINS0_13select_configILj256ELj13ELNS0_17block_load_methodE3ELS4_3ELS4_3ELNS0_20block_scan_algorithmE0ELj4294967295EEENS1_25partition_config_selectorILNS1_17partition_subalgoE4EjNS0_10empty_typeEbEEZZNS1_14partition_implILS8_4ELb0ES6_15HIP_vector_typeIjLj2EENS0_17counting_iteratorIjlEEPS9_SG_NS0_5tupleIJPjSI_NS0_16reverse_iteratorISI_EEEEENSH_IJSG_SG_SG_EEES9_SI_JZNS1_25segmented_radix_sort_implINS0_14default_configELb1EPK6__halfPSP_PKlPlN2at6native12_GLOBAL__N_18offset_tEEE10hipError_tPvRmT1_PNSt15iterator_traitsIS13_E10value_typeET2_T3_PNS14_IS19_E10value_typeET4_jRbjT5_S1F_jjP12ihipStream_tbEUljE_ZNSN_ISO_Lb1ESR_SS_SU_SV_SZ_EES10_S11_S12_S13_S17_S18_S19_S1C_S1D_jS1E_jS1F_S1F_jjS1H_bEUljE0_EEES10_S11_S12_S19_S1D_S1F_T6_T7_T9_mT8_S1H_bDpT10_ENKUlT_T0_E_clISt17integral_constantIbLb1EES1U_IbLb0EEEEDaS1Q_S1R_EUlS1Q_E_NS1_11comp_targetILNS1_3genE0ELNS1_11target_archE4294967295ELNS1_3gpuE0ELNS1_3repE0EEENS1_30default_config_static_selectorELNS0_4arch9wavefront6targetE0EEEvS13_,"axG",@progbits,_ZN7rocprim17ROCPRIM_400000_NS6detail17trampoline_kernelINS0_13select_configILj256ELj13ELNS0_17block_load_methodE3ELS4_3ELS4_3ELNS0_20block_scan_algorithmE0ELj4294967295EEENS1_25partition_config_selectorILNS1_17partition_subalgoE4EjNS0_10empty_typeEbEEZZNS1_14partition_implILS8_4ELb0ES6_15HIP_vector_typeIjLj2EENS0_17counting_iteratorIjlEEPS9_SG_NS0_5tupleIJPjSI_NS0_16reverse_iteratorISI_EEEEENSH_IJSG_SG_SG_EEES9_SI_JZNS1_25segmented_radix_sort_implINS0_14default_configELb1EPK6__halfPSP_PKlPlN2at6native12_GLOBAL__N_18offset_tEEE10hipError_tPvRmT1_PNSt15iterator_traitsIS13_E10value_typeET2_T3_PNS14_IS19_E10value_typeET4_jRbjT5_S1F_jjP12ihipStream_tbEUljE_ZNSN_ISO_Lb1ESR_SS_SU_SV_SZ_EES10_S11_S12_S13_S17_S18_S19_S1C_S1D_jS1E_jS1F_S1F_jjS1H_bEUljE0_EEES10_S11_S12_S19_S1D_S1F_T6_T7_T9_mT8_S1H_bDpT10_ENKUlT_T0_E_clISt17integral_constantIbLb1EES1U_IbLb0EEEEDaS1Q_S1R_EUlS1Q_E_NS1_11comp_targetILNS1_3genE0ELNS1_11target_archE4294967295ELNS1_3gpuE0ELNS1_3repE0EEENS1_30default_config_static_selectorELNS0_4arch9wavefront6targetE0EEEvS13_,comdat
	.globl	_ZN7rocprim17ROCPRIM_400000_NS6detail17trampoline_kernelINS0_13select_configILj256ELj13ELNS0_17block_load_methodE3ELS4_3ELS4_3ELNS0_20block_scan_algorithmE0ELj4294967295EEENS1_25partition_config_selectorILNS1_17partition_subalgoE4EjNS0_10empty_typeEbEEZZNS1_14partition_implILS8_4ELb0ES6_15HIP_vector_typeIjLj2EENS0_17counting_iteratorIjlEEPS9_SG_NS0_5tupleIJPjSI_NS0_16reverse_iteratorISI_EEEEENSH_IJSG_SG_SG_EEES9_SI_JZNS1_25segmented_radix_sort_implINS0_14default_configELb1EPK6__halfPSP_PKlPlN2at6native12_GLOBAL__N_18offset_tEEE10hipError_tPvRmT1_PNSt15iterator_traitsIS13_E10value_typeET2_T3_PNS14_IS19_E10value_typeET4_jRbjT5_S1F_jjP12ihipStream_tbEUljE_ZNSN_ISO_Lb1ESR_SS_SU_SV_SZ_EES10_S11_S12_S13_S17_S18_S19_S1C_S1D_jS1E_jS1F_S1F_jjS1H_bEUljE0_EEES10_S11_S12_S19_S1D_S1F_T6_T7_T9_mT8_S1H_bDpT10_ENKUlT_T0_E_clISt17integral_constantIbLb1EES1U_IbLb0EEEEDaS1Q_S1R_EUlS1Q_E_NS1_11comp_targetILNS1_3genE0ELNS1_11target_archE4294967295ELNS1_3gpuE0ELNS1_3repE0EEENS1_30default_config_static_selectorELNS0_4arch9wavefront6targetE0EEEvS13_ ; -- Begin function _ZN7rocprim17ROCPRIM_400000_NS6detail17trampoline_kernelINS0_13select_configILj256ELj13ELNS0_17block_load_methodE3ELS4_3ELS4_3ELNS0_20block_scan_algorithmE0ELj4294967295EEENS1_25partition_config_selectorILNS1_17partition_subalgoE4EjNS0_10empty_typeEbEEZZNS1_14partition_implILS8_4ELb0ES6_15HIP_vector_typeIjLj2EENS0_17counting_iteratorIjlEEPS9_SG_NS0_5tupleIJPjSI_NS0_16reverse_iteratorISI_EEEEENSH_IJSG_SG_SG_EEES9_SI_JZNS1_25segmented_radix_sort_implINS0_14default_configELb1EPK6__halfPSP_PKlPlN2at6native12_GLOBAL__N_18offset_tEEE10hipError_tPvRmT1_PNSt15iterator_traitsIS13_E10value_typeET2_T3_PNS14_IS19_E10value_typeET4_jRbjT5_S1F_jjP12ihipStream_tbEUljE_ZNSN_ISO_Lb1ESR_SS_SU_SV_SZ_EES10_S11_S12_S13_S17_S18_S19_S1C_S1D_jS1E_jS1F_S1F_jjS1H_bEUljE0_EEES10_S11_S12_S19_S1D_S1F_T6_T7_T9_mT8_S1H_bDpT10_ENKUlT_T0_E_clISt17integral_constantIbLb1EES1U_IbLb0EEEEDaS1Q_S1R_EUlS1Q_E_NS1_11comp_targetILNS1_3genE0ELNS1_11target_archE4294967295ELNS1_3gpuE0ELNS1_3repE0EEENS1_30default_config_static_selectorELNS0_4arch9wavefront6targetE0EEEvS13_
	.p2align	8
	.type	_ZN7rocprim17ROCPRIM_400000_NS6detail17trampoline_kernelINS0_13select_configILj256ELj13ELNS0_17block_load_methodE3ELS4_3ELS4_3ELNS0_20block_scan_algorithmE0ELj4294967295EEENS1_25partition_config_selectorILNS1_17partition_subalgoE4EjNS0_10empty_typeEbEEZZNS1_14partition_implILS8_4ELb0ES6_15HIP_vector_typeIjLj2EENS0_17counting_iteratorIjlEEPS9_SG_NS0_5tupleIJPjSI_NS0_16reverse_iteratorISI_EEEEENSH_IJSG_SG_SG_EEES9_SI_JZNS1_25segmented_radix_sort_implINS0_14default_configELb1EPK6__halfPSP_PKlPlN2at6native12_GLOBAL__N_18offset_tEEE10hipError_tPvRmT1_PNSt15iterator_traitsIS13_E10value_typeET2_T3_PNS14_IS19_E10value_typeET4_jRbjT5_S1F_jjP12ihipStream_tbEUljE_ZNSN_ISO_Lb1ESR_SS_SU_SV_SZ_EES10_S11_S12_S13_S17_S18_S19_S1C_S1D_jS1E_jS1F_S1F_jjS1H_bEUljE0_EEES10_S11_S12_S19_S1D_S1F_T6_T7_T9_mT8_S1H_bDpT10_ENKUlT_T0_E_clISt17integral_constantIbLb1EES1U_IbLb0EEEEDaS1Q_S1R_EUlS1Q_E_NS1_11comp_targetILNS1_3genE0ELNS1_11target_archE4294967295ELNS1_3gpuE0ELNS1_3repE0EEENS1_30default_config_static_selectorELNS0_4arch9wavefront6targetE0EEEvS13_,@function
_ZN7rocprim17ROCPRIM_400000_NS6detail17trampoline_kernelINS0_13select_configILj256ELj13ELNS0_17block_load_methodE3ELS4_3ELS4_3ELNS0_20block_scan_algorithmE0ELj4294967295EEENS1_25partition_config_selectorILNS1_17partition_subalgoE4EjNS0_10empty_typeEbEEZZNS1_14partition_implILS8_4ELb0ES6_15HIP_vector_typeIjLj2EENS0_17counting_iteratorIjlEEPS9_SG_NS0_5tupleIJPjSI_NS0_16reverse_iteratorISI_EEEEENSH_IJSG_SG_SG_EEES9_SI_JZNS1_25segmented_radix_sort_implINS0_14default_configELb1EPK6__halfPSP_PKlPlN2at6native12_GLOBAL__N_18offset_tEEE10hipError_tPvRmT1_PNSt15iterator_traitsIS13_E10value_typeET2_T3_PNS14_IS19_E10value_typeET4_jRbjT5_S1F_jjP12ihipStream_tbEUljE_ZNSN_ISO_Lb1ESR_SS_SU_SV_SZ_EES10_S11_S12_S13_S17_S18_S19_S1C_S1D_jS1E_jS1F_S1F_jjS1H_bEUljE0_EEES10_S11_S12_S19_S1D_S1F_T6_T7_T9_mT8_S1H_bDpT10_ENKUlT_T0_E_clISt17integral_constantIbLb1EES1U_IbLb0EEEEDaS1Q_S1R_EUlS1Q_E_NS1_11comp_targetILNS1_3genE0ELNS1_11target_archE4294967295ELNS1_3gpuE0ELNS1_3repE0EEENS1_30default_config_static_selectorELNS0_4arch9wavefront6targetE0EEEvS13_: ; @_ZN7rocprim17ROCPRIM_400000_NS6detail17trampoline_kernelINS0_13select_configILj256ELj13ELNS0_17block_load_methodE3ELS4_3ELS4_3ELNS0_20block_scan_algorithmE0ELj4294967295EEENS1_25partition_config_selectorILNS1_17partition_subalgoE4EjNS0_10empty_typeEbEEZZNS1_14partition_implILS8_4ELb0ES6_15HIP_vector_typeIjLj2EENS0_17counting_iteratorIjlEEPS9_SG_NS0_5tupleIJPjSI_NS0_16reverse_iteratorISI_EEEEENSH_IJSG_SG_SG_EEES9_SI_JZNS1_25segmented_radix_sort_implINS0_14default_configELb1EPK6__halfPSP_PKlPlN2at6native12_GLOBAL__N_18offset_tEEE10hipError_tPvRmT1_PNSt15iterator_traitsIS13_E10value_typeET2_T3_PNS14_IS19_E10value_typeET4_jRbjT5_S1F_jjP12ihipStream_tbEUljE_ZNSN_ISO_Lb1ESR_SS_SU_SV_SZ_EES10_S11_S12_S13_S17_S18_S19_S1C_S1D_jS1E_jS1F_S1F_jjS1H_bEUljE0_EEES10_S11_S12_S19_S1D_S1F_T6_T7_T9_mT8_S1H_bDpT10_ENKUlT_T0_E_clISt17integral_constantIbLb1EES1U_IbLb0EEEEDaS1Q_S1R_EUlS1Q_E_NS1_11comp_targetILNS1_3genE0ELNS1_11target_archE4294967295ELNS1_3gpuE0ELNS1_3repE0EEENS1_30default_config_static_selectorELNS0_4arch9wavefront6targetE0EEEvS13_
; %bb.0:
	.section	.rodata,"a",@progbits
	.p2align	6, 0x0
	.amdhsa_kernel _ZN7rocprim17ROCPRIM_400000_NS6detail17trampoline_kernelINS0_13select_configILj256ELj13ELNS0_17block_load_methodE3ELS4_3ELS4_3ELNS0_20block_scan_algorithmE0ELj4294967295EEENS1_25partition_config_selectorILNS1_17partition_subalgoE4EjNS0_10empty_typeEbEEZZNS1_14partition_implILS8_4ELb0ES6_15HIP_vector_typeIjLj2EENS0_17counting_iteratorIjlEEPS9_SG_NS0_5tupleIJPjSI_NS0_16reverse_iteratorISI_EEEEENSH_IJSG_SG_SG_EEES9_SI_JZNS1_25segmented_radix_sort_implINS0_14default_configELb1EPK6__halfPSP_PKlPlN2at6native12_GLOBAL__N_18offset_tEEE10hipError_tPvRmT1_PNSt15iterator_traitsIS13_E10value_typeET2_T3_PNS14_IS19_E10value_typeET4_jRbjT5_S1F_jjP12ihipStream_tbEUljE_ZNSN_ISO_Lb1ESR_SS_SU_SV_SZ_EES10_S11_S12_S13_S17_S18_S19_S1C_S1D_jS1E_jS1F_S1F_jjS1H_bEUljE0_EEES10_S11_S12_S19_S1D_S1F_T6_T7_T9_mT8_S1H_bDpT10_ENKUlT_T0_E_clISt17integral_constantIbLb1EES1U_IbLb0EEEEDaS1Q_S1R_EUlS1Q_E_NS1_11comp_targetILNS1_3genE0ELNS1_11target_archE4294967295ELNS1_3gpuE0ELNS1_3repE0EEENS1_30default_config_static_selectorELNS0_4arch9wavefront6targetE0EEEvS13_
		.amdhsa_group_segment_fixed_size 0
		.amdhsa_private_segment_fixed_size 0
		.amdhsa_kernarg_size 176
		.amdhsa_user_sgpr_count 2
		.amdhsa_user_sgpr_dispatch_ptr 0
		.amdhsa_user_sgpr_queue_ptr 0
		.amdhsa_user_sgpr_kernarg_segment_ptr 1
		.amdhsa_user_sgpr_dispatch_id 0
		.amdhsa_user_sgpr_private_segment_size 0
		.amdhsa_wavefront_size32 1
		.amdhsa_uses_dynamic_stack 0
		.amdhsa_enable_private_segment 0
		.amdhsa_system_sgpr_workgroup_id_x 1
		.amdhsa_system_sgpr_workgroup_id_y 0
		.amdhsa_system_sgpr_workgroup_id_z 0
		.amdhsa_system_sgpr_workgroup_info 0
		.amdhsa_system_vgpr_workitem_id 0
		.amdhsa_next_free_vgpr 1
		.amdhsa_next_free_sgpr 1
		.amdhsa_reserve_vcc 0
		.amdhsa_float_round_mode_32 0
		.amdhsa_float_round_mode_16_64 0
		.amdhsa_float_denorm_mode_32 3
		.amdhsa_float_denorm_mode_16_64 3
		.amdhsa_fp16_overflow 0
		.amdhsa_workgroup_processor_mode 1
		.amdhsa_memory_ordered 1
		.amdhsa_forward_progress 1
		.amdhsa_inst_pref_size 0
		.amdhsa_round_robin_scheduling 0
		.amdhsa_exception_fp_ieee_invalid_op 0
		.amdhsa_exception_fp_denorm_src 0
		.amdhsa_exception_fp_ieee_div_zero 0
		.amdhsa_exception_fp_ieee_overflow 0
		.amdhsa_exception_fp_ieee_underflow 0
		.amdhsa_exception_fp_ieee_inexact 0
		.amdhsa_exception_int_div_zero 0
	.end_amdhsa_kernel
	.section	.text._ZN7rocprim17ROCPRIM_400000_NS6detail17trampoline_kernelINS0_13select_configILj256ELj13ELNS0_17block_load_methodE3ELS4_3ELS4_3ELNS0_20block_scan_algorithmE0ELj4294967295EEENS1_25partition_config_selectorILNS1_17partition_subalgoE4EjNS0_10empty_typeEbEEZZNS1_14partition_implILS8_4ELb0ES6_15HIP_vector_typeIjLj2EENS0_17counting_iteratorIjlEEPS9_SG_NS0_5tupleIJPjSI_NS0_16reverse_iteratorISI_EEEEENSH_IJSG_SG_SG_EEES9_SI_JZNS1_25segmented_radix_sort_implINS0_14default_configELb1EPK6__halfPSP_PKlPlN2at6native12_GLOBAL__N_18offset_tEEE10hipError_tPvRmT1_PNSt15iterator_traitsIS13_E10value_typeET2_T3_PNS14_IS19_E10value_typeET4_jRbjT5_S1F_jjP12ihipStream_tbEUljE_ZNSN_ISO_Lb1ESR_SS_SU_SV_SZ_EES10_S11_S12_S13_S17_S18_S19_S1C_S1D_jS1E_jS1F_S1F_jjS1H_bEUljE0_EEES10_S11_S12_S19_S1D_S1F_T6_T7_T9_mT8_S1H_bDpT10_ENKUlT_T0_E_clISt17integral_constantIbLb1EES1U_IbLb0EEEEDaS1Q_S1R_EUlS1Q_E_NS1_11comp_targetILNS1_3genE0ELNS1_11target_archE4294967295ELNS1_3gpuE0ELNS1_3repE0EEENS1_30default_config_static_selectorELNS0_4arch9wavefront6targetE0EEEvS13_,"axG",@progbits,_ZN7rocprim17ROCPRIM_400000_NS6detail17trampoline_kernelINS0_13select_configILj256ELj13ELNS0_17block_load_methodE3ELS4_3ELS4_3ELNS0_20block_scan_algorithmE0ELj4294967295EEENS1_25partition_config_selectorILNS1_17partition_subalgoE4EjNS0_10empty_typeEbEEZZNS1_14partition_implILS8_4ELb0ES6_15HIP_vector_typeIjLj2EENS0_17counting_iteratorIjlEEPS9_SG_NS0_5tupleIJPjSI_NS0_16reverse_iteratorISI_EEEEENSH_IJSG_SG_SG_EEES9_SI_JZNS1_25segmented_radix_sort_implINS0_14default_configELb1EPK6__halfPSP_PKlPlN2at6native12_GLOBAL__N_18offset_tEEE10hipError_tPvRmT1_PNSt15iterator_traitsIS13_E10value_typeET2_T3_PNS14_IS19_E10value_typeET4_jRbjT5_S1F_jjP12ihipStream_tbEUljE_ZNSN_ISO_Lb1ESR_SS_SU_SV_SZ_EES10_S11_S12_S13_S17_S18_S19_S1C_S1D_jS1E_jS1F_S1F_jjS1H_bEUljE0_EEES10_S11_S12_S19_S1D_S1F_T6_T7_T9_mT8_S1H_bDpT10_ENKUlT_T0_E_clISt17integral_constantIbLb1EES1U_IbLb0EEEEDaS1Q_S1R_EUlS1Q_E_NS1_11comp_targetILNS1_3genE0ELNS1_11target_archE4294967295ELNS1_3gpuE0ELNS1_3repE0EEENS1_30default_config_static_selectorELNS0_4arch9wavefront6targetE0EEEvS13_,comdat
.Lfunc_end1691:
	.size	_ZN7rocprim17ROCPRIM_400000_NS6detail17trampoline_kernelINS0_13select_configILj256ELj13ELNS0_17block_load_methodE3ELS4_3ELS4_3ELNS0_20block_scan_algorithmE0ELj4294967295EEENS1_25partition_config_selectorILNS1_17partition_subalgoE4EjNS0_10empty_typeEbEEZZNS1_14partition_implILS8_4ELb0ES6_15HIP_vector_typeIjLj2EENS0_17counting_iteratorIjlEEPS9_SG_NS0_5tupleIJPjSI_NS0_16reverse_iteratorISI_EEEEENSH_IJSG_SG_SG_EEES9_SI_JZNS1_25segmented_radix_sort_implINS0_14default_configELb1EPK6__halfPSP_PKlPlN2at6native12_GLOBAL__N_18offset_tEEE10hipError_tPvRmT1_PNSt15iterator_traitsIS13_E10value_typeET2_T3_PNS14_IS19_E10value_typeET4_jRbjT5_S1F_jjP12ihipStream_tbEUljE_ZNSN_ISO_Lb1ESR_SS_SU_SV_SZ_EES10_S11_S12_S13_S17_S18_S19_S1C_S1D_jS1E_jS1F_S1F_jjS1H_bEUljE0_EEES10_S11_S12_S19_S1D_S1F_T6_T7_T9_mT8_S1H_bDpT10_ENKUlT_T0_E_clISt17integral_constantIbLb1EES1U_IbLb0EEEEDaS1Q_S1R_EUlS1Q_E_NS1_11comp_targetILNS1_3genE0ELNS1_11target_archE4294967295ELNS1_3gpuE0ELNS1_3repE0EEENS1_30default_config_static_selectorELNS0_4arch9wavefront6targetE0EEEvS13_, .Lfunc_end1691-_ZN7rocprim17ROCPRIM_400000_NS6detail17trampoline_kernelINS0_13select_configILj256ELj13ELNS0_17block_load_methodE3ELS4_3ELS4_3ELNS0_20block_scan_algorithmE0ELj4294967295EEENS1_25partition_config_selectorILNS1_17partition_subalgoE4EjNS0_10empty_typeEbEEZZNS1_14partition_implILS8_4ELb0ES6_15HIP_vector_typeIjLj2EENS0_17counting_iteratorIjlEEPS9_SG_NS0_5tupleIJPjSI_NS0_16reverse_iteratorISI_EEEEENSH_IJSG_SG_SG_EEES9_SI_JZNS1_25segmented_radix_sort_implINS0_14default_configELb1EPK6__halfPSP_PKlPlN2at6native12_GLOBAL__N_18offset_tEEE10hipError_tPvRmT1_PNSt15iterator_traitsIS13_E10value_typeET2_T3_PNS14_IS19_E10value_typeET4_jRbjT5_S1F_jjP12ihipStream_tbEUljE_ZNSN_ISO_Lb1ESR_SS_SU_SV_SZ_EES10_S11_S12_S13_S17_S18_S19_S1C_S1D_jS1E_jS1F_S1F_jjS1H_bEUljE0_EEES10_S11_S12_S19_S1D_S1F_T6_T7_T9_mT8_S1H_bDpT10_ENKUlT_T0_E_clISt17integral_constantIbLb1EES1U_IbLb0EEEEDaS1Q_S1R_EUlS1Q_E_NS1_11comp_targetILNS1_3genE0ELNS1_11target_archE4294967295ELNS1_3gpuE0ELNS1_3repE0EEENS1_30default_config_static_selectorELNS0_4arch9wavefront6targetE0EEEvS13_
                                        ; -- End function
	.set _ZN7rocprim17ROCPRIM_400000_NS6detail17trampoline_kernelINS0_13select_configILj256ELj13ELNS0_17block_load_methodE3ELS4_3ELS4_3ELNS0_20block_scan_algorithmE0ELj4294967295EEENS1_25partition_config_selectorILNS1_17partition_subalgoE4EjNS0_10empty_typeEbEEZZNS1_14partition_implILS8_4ELb0ES6_15HIP_vector_typeIjLj2EENS0_17counting_iteratorIjlEEPS9_SG_NS0_5tupleIJPjSI_NS0_16reverse_iteratorISI_EEEEENSH_IJSG_SG_SG_EEES9_SI_JZNS1_25segmented_radix_sort_implINS0_14default_configELb1EPK6__halfPSP_PKlPlN2at6native12_GLOBAL__N_18offset_tEEE10hipError_tPvRmT1_PNSt15iterator_traitsIS13_E10value_typeET2_T3_PNS14_IS19_E10value_typeET4_jRbjT5_S1F_jjP12ihipStream_tbEUljE_ZNSN_ISO_Lb1ESR_SS_SU_SV_SZ_EES10_S11_S12_S13_S17_S18_S19_S1C_S1D_jS1E_jS1F_S1F_jjS1H_bEUljE0_EEES10_S11_S12_S19_S1D_S1F_T6_T7_T9_mT8_S1H_bDpT10_ENKUlT_T0_E_clISt17integral_constantIbLb1EES1U_IbLb0EEEEDaS1Q_S1R_EUlS1Q_E_NS1_11comp_targetILNS1_3genE0ELNS1_11target_archE4294967295ELNS1_3gpuE0ELNS1_3repE0EEENS1_30default_config_static_selectorELNS0_4arch9wavefront6targetE0EEEvS13_.num_vgpr, 0
	.set _ZN7rocprim17ROCPRIM_400000_NS6detail17trampoline_kernelINS0_13select_configILj256ELj13ELNS0_17block_load_methodE3ELS4_3ELS4_3ELNS0_20block_scan_algorithmE0ELj4294967295EEENS1_25partition_config_selectorILNS1_17partition_subalgoE4EjNS0_10empty_typeEbEEZZNS1_14partition_implILS8_4ELb0ES6_15HIP_vector_typeIjLj2EENS0_17counting_iteratorIjlEEPS9_SG_NS0_5tupleIJPjSI_NS0_16reverse_iteratorISI_EEEEENSH_IJSG_SG_SG_EEES9_SI_JZNS1_25segmented_radix_sort_implINS0_14default_configELb1EPK6__halfPSP_PKlPlN2at6native12_GLOBAL__N_18offset_tEEE10hipError_tPvRmT1_PNSt15iterator_traitsIS13_E10value_typeET2_T3_PNS14_IS19_E10value_typeET4_jRbjT5_S1F_jjP12ihipStream_tbEUljE_ZNSN_ISO_Lb1ESR_SS_SU_SV_SZ_EES10_S11_S12_S13_S17_S18_S19_S1C_S1D_jS1E_jS1F_S1F_jjS1H_bEUljE0_EEES10_S11_S12_S19_S1D_S1F_T6_T7_T9_mT8_S1H_bDpT10_ENKUlT_T0_E_clISt17integral_constantIbLb1EES1U_IbLb0EEEEDaS1Q_S1R_EUlS1Q_E_NS1_11comp_targetILNS1_3genE0ELNS1_11target_archE4294967295ELNS1_3gpuE0ELNS1_3repE0EEENS1_30default_config_static_selectorELNS0_4arch9wavefront6targetE0EEEvS13_.num_agpr, 0
	.set _ZN7rocprim17ROCPRIM_400000_NS6detail17trampoline_kernelINS0_13select_configILj256ELj13ELNS0_17block_load_methodE3ELS4_3ELS4_3ELNS0_20block_scan_algorithmE0ELj4294967295EEENS1_25partition_config_selectorILNS1_17partition_subalgoE4EjNS0_10empty_typeEbEEZZNS1_14partition_implILS8_4ELb0ES6_15HIP_vector_typeIjLj2EENS0_17counting_iteratorIjlEEPS9_SG_NS0_5tupleIJPjSI_NS0_16reverse_iteratorISI_EEEEENSH_IJSG_SG_SG_EEES9_SI_JZNS1_25segmented_radix_sort_implINS0_14default_configELb1EPK6__halfPSP_PKlPlN2at6native12_GLOBAL__N_18offset_tEEE10hipError_tPvRmT1_PNSt15iterator_traitsIS13_E10value_typeET2_T3_PNS14_IS19_E10value_typeET4_jRbjT5_S1F_jjP12ihipStream_tbEUljE_ZNSN_ISO_Lb1ESR_SS_SU_SV_SZ_EES10_S11_S12_S13_S17_S18_S19_S1C_S1D_jS1E_jS1F_S1F_jjS1H_bEUljE0_EEES10_S11_S12_S19_S1D_S1F_T6_T7_T9_mT8_S1H_bDpT10_ENKUlT_T0_E_clISt17integral_constantIbLb1EES1U_IbLb0EEEEDaS1Q_S1R_EUlS1Q_E_NS1_11comp_targetILNS1_3genE0ELNS1_11target_archE4294967295ELNS1_3gpuE0ELNS1_3repE0EEENS1_30default_config_static_selectorELNS0_4arch9wavefront6targetE0EEEvS13_.numbered_sgpr, 0
	.set _ZN7rocprim17ROCPRIM_400000_NS6detail17trampoline_kernelINS0_13select_configILj256ELj13ELNS0_17block_load_methodE3ELS4_3ELS4_3ELNS0_20block_scan_algorithmE0ELj4294967295EEENS1_25partition_config_selectorILNS1_17partition_subalgoE4EjNS0_10empty_typeEbEEZZNS1_14partition_implILS8_4ELb0ES6_15HIP_vector_typeIjLj2EENS0_17counting_iteratorIjlEEPS9_SG_NS0_5tupleIJPjSI_NS0_16reverse_iteratorISI_EEEEENSH_IJSG_SG_SG_EEES9_SI_JZNS1_25segmented_radix_sort_implINS0_14default_configELb1EPK6__halfPSP_PKlPlN2at6native12_GLOBAL__N_18offset_tEEE10hipError_tPvRmT1_PNSt15iterator_traitsIS13_E10value_typeET2_T3_PNS14_IS19_E10value_typeET4_jRbjT5_S1F_jjP12ihipStream_tbEUljE_ZNSN_ISO_Lb1ESR_SS_SU_SV_SZ_EES10_S11_S12_S13_S17_S18_S19_S1C_S1D_jS1E_jS1F_S1F_jjS1H_bEUljE0_EEES10_S11_S12_S19_S1D_S1F_T6_T7_T9_mT8_S1H_bDpT10_ENKUlT_T0_E_clISt17integral_constantIbLb1EES1U_IbLb0EEEEDaS1Q_S1R_EUlS1Q_E_NS1_11comp_targetILNS1_3genE0ELNS1_11target_archE4294967295ELNS1_3gpuE0ELNS1_3repE0EEENS1_30default_config_static_selectorELNS0_4arch9wavefront6targetE0EEEvS13_.num_named_barrier, 0
	.set _ZN7rocprim17ROCPRIM_400000_NS6detail17trampoline_kernelINS0_13select_configILj256ELj13ELNS0_17block_load_methodE3ELS4_3ELS4_3ELNS0_20block_scan_algorithmE0ELj4294967295EEENS1_25partition_config_selectorILNS1_17partition_subalgoE4EjNS0_10empty_typeEbEEZZNS1_14partition_implILS8_4ELb0ES6_15HIP_vector_typeIjLj2EENS0_17counting_iteratorIjlEEPS9_SG_NS0_5tupleIJPjSI_NS0_16reverse_iteratorISI_EEEEENSH_IJSG_SG_SG_EEES9_SI_JZNS1_25segmented_radix_sort_implINS0_14default_configELb1EPK6__halfPSP_PKlPlN2at6native12_GLOBAL__N_18offset_tEEE10hipError_tPvRmT1_PNSt15iterator_traitsIS13_E10value_typeET2_T3_PNS14_IS19_E10value_typeET4_jRbjT5_S1F_jjP12ihipStream_tbEUljE_ZNSN_ISO_Lb1ESR_SS_SU_SV_SZ_EES10_S11_S12_S13_S17_S18_S19_S1C_S1D_jS1E_jS1F_S1F_jjS1H_bEUljE0_EEES10_S11_S12_S19_S1D_S1F_T6_T7_T9_mT8_S1H_bDpT10_ENKUlT_T0_E_clISt17integral_constantIbLb1EES1U_IbLb0EEEEDaS1Q_S1R_EUlS1Q_E_NS1_11comp_targetILNS1_3genE0ELNS1_11target_archE4294967295ELNS1_3gpuE0ELNS1_3repE0EEENS1_30default_config_static_selectorELNS0_4arch9wavefront6targetE0EEEvS13_.private_seg_size, 0
	.set _ZN7rocprim17ROCPRIM_400000_NS6detail17trampoline_kernelINS0_13select_configILj256ELj13ELNS0_17block_load_methodE3ELS4_3ELS4_3ELNS0_20block_scan_algorithmE0ELj4294967295EEENS1_25partition_config_selectorILNS1_17partition_subalgoE4EjNS0_10empty_typeEbEEZZNS1_14partition_implILS8_4ELb0ES6_15HIP_vector_typeIjLj2EENS0_17counting_iteratorIjlEEPS9_SG_NS0_5tupleIJPjSI_NS0_16reverse_iteratorISI_EEEEENSH_IJSG_SG_SG_EEES9_SI_JZNS1_25segmented_radix_sort_implINS0_14default_configELb1EPK6__halfPSP_PKlPlN2at6native12_GLOBAL__N_18offset_tEEE10hipError_tPvRmT1_PNSt15iterator_traitsIS13_E10value_typeET2_T3_PNS14_IS19_E10value_typeET4_jRbjT5_S1F_jjP12ihipStream_tbEUljE_ZNSN_ISO_Lb1ESR_SS_SU_SV_SZ_EES10_S11_S12_S13_S17_S18_S19_S1C_S1D_jS1E_jS1F_S1F_jjS1H_bEUljE0_EEES10_S11_S12_S19_S1D_S1F_T6_T7_T9_mT8_S1H_bDpT10_ENKUlT_T0_E_clISt17integral_constantIbLb1EES1U_IbLb0EEEEDaS1Q_S1R_EUlS1Q_E_NS1_11comp_targetILNS1_3genE0ELNS1_11target_archE4294967295ELNS1_3gpuE0ELNS1_3repE0EEENS1_30default_config_static_selectorELNS0_4arch9wavefront6targetE0EEEvS13_.uses_vcc, 0
	.set _ZN7rocprim17ROCPRIM_400000_NS6detail17trampoline_kernelINS0_13select_configILj256ELj13ELNS0_17block_load_methodE3ELS4_3ELS4_3ELNS0_20block_scan_algorithmE0ELj4294967295EEENS1_25partition_config_selectorILNS1_17partition_subalgoE4EjNS0_10empty_typeEbEEZZNS1_14partition_implILS8_4ELb0ES6_15HIP_vector_typeIjLj2EENS0_17counting_iteratorIjlEEPS9_SG_NS0_5tupleIJPjSI_NS0_16reverse_iteratorISI_EEEEENSH_IJSG_SG_SG_EEES9_SI_JZNS1_25segmented_radix_sort_implINS0_14default_configELb1EPK6__halfPSP_PKlPlN2at6native12_GLOBAL__N_18offset_tEEE10hipError_tPvRmT1_PNSt15iterator_traitsIS13_E10value_typeET2_T3_PNS14_IS19_E10value_typeET4_jRbjT5_S1F_jjP12ihipStream_tbEUljE_ZNSN_ISO_Lb1ESR_SS_SU_SV_SZ_EES10_S11_S12_S13_S17_S18_S19_S1C_S1D_jS1E_jS1F_S1F_jjS1H_bEUljE0_EEES10_S11_S12_S19_S1D_S1F_T6_T7_T9_mT8_S1H_bDpT10_ENKUlT_T0_E_clISt17integral_constantIbLb1EES1U_IbLb0EEEEDaS1Q_S1R_EUlS1Q_E_NS1_11comp_targetILNS1_3genE0ELNS1_11target_archE4294967295ELNS1_3gpuE0ELNS1_3repE0EEENS1_30default_config_static_selectorELNS0_4arch9wavefront6targetE0EEEvS13_.uses_flat_scratch, 0
	.set _ZN7rocprim17ROCPRIM_400000_NS6detail17trampoline_kernelINS0_13select_configILj256ELj13ELNS0_17block_load_methodE3ELS4_3ELS4_3ELNS0_20block_scan_algorithmE0ELj4294967295EEENS1_25partition_config_selectorILNS1_17partition_subalgoE4EjNS0_10empty_typeEbEEZZNS1_14partition_implILS8_4ELb0ES6_15HIP_vector_typeIjLj2EENS0_17counting_iteratorIjlEEPS9_SG_NS0_5tupleIJPjSI_NS0_16reverse_iteratorISI_EEEEENSH_IJSG_SG_SG_EEES9_SI_JZNS1_25segmented_radix_sort_implINS0_14default_configELb1EPK6__halfPSP_PKlPlN2at6native12_GLOBAL__N_18offset_tEEE10hipError_tPvRmT1_PNSt15iterator_traitsIS13_E10value_typeET2_T3_PNS14_IS19_E10value_typeET4_jRbjT5_S1F_jjP12ihipStream_tbEUljE_ZNSN_ISO_Lb1ESR_SS_SU_SV_SZ_EES10_S11_S12_S13_S17_S18_S19_S1C_S1D_jS1E_jS1F_S1F_jjS1H_bEUljE0_EEES10_S11_S12_S19_S1D_S1F_T6_T7_T9_mT8_S1H_bDpT10_ENKUlT_T0_E_clISt17integral_constantIbLb1EES1U_IbLb0EEEEDaS1Q_S1R_EUlS1Q_E_NS1_11comp_targetILNS1_3genE0ELNS1_11target_archE4294967295ELNS1_3gpuE0ELNS1_3repE0EEENS1_30default_config_static_selectorELNS0_4arch9wavefront6targetE0EEEvS13_.has_dyn_sized_stack, 0
	.set _ZN7rocprim17ROCPRIM_400000_NS6detail17trampoline_kernelINS0_13select_configILj256ELj13ELNS0_17block_load_methodE3ELS4_3ELS4_3ELNS0_20block_scan_algorithmE0ELj4294967295EEENS1_25partition_config_selectorILNS1_17partition_subalgoE4EjNS0_10empty_typeEbEEZZNS1_14partition_implILS8_4ELb0ES6_15HIP_vector_typeIjLj2EENS0_17counting_iteratorIjlEEPS9_SG_NS0_5tupleIJPjSI_NS0_16reverse_iteratorISI_EEEEENSH_IJSG_SG_SG_EEES9_SI_JZNS1_25segmented_radix_sort_implINS0_14default_configELb1EPK6__halfPSP_PKlPlN2at6native12_GLOBAL__N_18offset_tEEE10hipError_tPvRmT1_PNSt15iterator_traitsIS13_E10value_typeET2_T3_PNS14_IS19_E10value_typeET4_jRbjT5_S1F_jjP12ihipStream_tbEUljE_ZNSN_ISO_Lb1ESR_SS_SU_SV_SZ_EES10_S11_S12_S13_S17_S18_S19_S1C_S1D_jS1E_jS1F_S1F_jjS1H_bEUljE0_EEES10_S11_S12_S19_S1D_S1F_T6_T7_T9_mT8_S1H_bDpT10_ENKUlT_T0_E_clISt17integral_constantIbLb1EES1U_IbLb0EEEEDaS1Q_S1R_EUlS1Q_E_NS1_11comp_targetILNS1_3genE0ELNS1_11target_archE4294967295ELNS1_3gpuE0ELNS1_3repE0EEENS1_30default_config_static_selectorELNS0_4arch9wavefront6targetE0EEEvS13_.has_recursion, 0
	.set _ZN7rocprim17ROCPRIM_400000_NS6detail17trampoline_kernelINS0_13select_configILj256ELj13ELNS0_17block_load_methodE3ELS4_3ELS4_3ELNS0_20block_scan_algorithmE0ELj4294967295EEENS1_25partition_config_selectorILNS1_17partition_subalgoE4EjNS0_10empty_typeEbEEZZNS1_14partition_implILS8_4ELb0ES6_15HIP_vector_typeIjLj2EENS0_17counting_iteratorIjlEEPS9_SG_NS0_5tupleIJPjSI_NS0_16reverse_iteratorISI_EEEEENSH_IJSG_SG_SG_EEES9_SI_JZNS1_25segmented_radix_sort_implINS0_14default_configELb1EPK6__halfPSP_PKlPlN2at6native12_GLOBAL__N_18offset_tEEE10hipError_tPvRmT1_PNSt15iterator_traitsIS13_E10value_typeET2_T3_PNS14_IS19_E10value_typeET4_jRbjT5_S1F_jjP12ihipStream_tbEUljE_ZNSN_ISO_Lb1ESR_SS_SU_SV_SZ_EES10_S11_S12_S13_S17_S18_S19_S1C_S1D_jS1E_jS1F_S1F_jjS1H_bEUljE0_EEES10_S11_S12_S19_S1D_S1F_T6_T7_T9_mT8_S1H_bDpT10_ENKUlT_T0_E_clISt17integral_constantIbLb1EES1U_IbLb0EEEEDaS1Q_S1R_EUlS1Q_E_NS1_11comp_targetILNS1_3genE0ELNS1_11target_archE4294967295ELNS1_3gpuE0ELNS1_3repE0EEENS1_30default_config_static_selectorELNS0_4arch9wavefront6targetE0EEEvS13_.has_indirect_call, 0
	.section	.AMDGPU.csdata,"",@progbits
; Kernel info:
; codeLenInByte = 0
; TotalNumSgprs: 0
; NumVgprs: 0
; ScratchSize: 0
; MemoryBound: 0
; FloatMode: 240
; IeeeMode: 1
; LDSByteSize: 0 bytes/workgroup (compile time only)
; SGPRBlocks: 0
; VGPRBlocks: 0
; NumSGPRsForWavesPerEU: 1
; NumVGPRsForWavesPerEU: 1
; Occupancy: 16
; WaveLimiterHint : 0
; COMPUTE_PGM_RSRC2:SCRATCH_EN: 0
; COMPUTE_PGM_RSRC2:USER_SGPR: 2
; COMPUTE_PGM_RSRC2:TRAP_HANDLER: 0
; COMPUTE_PGM_RSRC2:TGID_X_EN: 1
; COMPUTE_PGM_RSRC2:TGID_Y_EN: 0
; COMPUTE_PGM_RSRC2:TGID_Z_EN: 0
; COMPUTE_PGM_RSRC2:TIDIG_COMP_CNT: 0
	.section	.text._ZN7rocprim17ROCPRIM_400000_NS6detail17trampoline_kernelINS0_13select_configILj256ELj13ELNS0_17block_load_methodE3ELS4_3ELS4_3ELNS0_20block_scan_algorithmE0ELj4294967295EEENS1_25partition_config_selectorILNS1_17partition_subalgoE4EjNS0_10empty_typeEbEEZZNS1_14partition_implILS8_4ELb0ES6_15HIP_vector_typeIjLj2EENS0_17counting_iteratorIjlEEPS9_SG_NS0_5tupleIJPjSI_NS0_16reverse_iteratorISI_EEEEENSH_IJSG_SG_SG_EEES9_SI_JZNS1_25segmented_radix_sort_implINS0_14default_configELb1EPK6__halfPSP_PKlPlN2at6native12_GLOBAL__N_18offset_tEEE10hipError_tPvRmT1_PNSt15iterator_traitsIS13_E10value_typeET2_T3_PNS14_IS19_E10value_typeET4_jRbjT5_S1F_jjP12ihipStream_tbEUljE_ZNSN_ISO_Lb1ESR_SS_SU_SV_SZ_EES10_S11_S12_S13_S17_S18_S19_S1C_S1D_jS1E_jS1F_S1F_jjS1H_bEUljE0_EEES10_S11_S12_S19_S1D_S1F_T6_T7_T9_mT8_S1H_bDpT10_ENKUlT_T0_E_clISt17integral_constantIbLb1EES1U_IbLb0EEEEDaS1Q_S1R_EUlS1Q_E_NS1_11comp_targetILNS1_3genE5ELNS1_11target_archE942ELNS1_3gpuE9ELNS1_3repE0EEENS1_30default_config_static_selectorELNS0_4arch9wavefront6targetE0EEEvS13_,"axG",@progbits,_ZN7rocprim17ROCPRIM_400000_NS6detail17trampoline_kernelINS0_13select_configILj256ELj13ELNS0_17block_load_methodE3ELS4_3ELS4_3ELNS0_20block_scan_algorithmE0ELj4294967295EEENS1_25partition_config_selectorILNS1_17partition_subalgoE4EjNS0_10empty_typeEbEEZZNS1_14partition_implILS8_4ELb0ES6_15HIP_vector_typeIjLj2EENS0_17counting_iteratorIjlEEPS9_SG_NS0_5tupleIJPjSI_NS0_16reverse_iteratorISI_EEEEENSH_IJSG_SG_SG_EEES9_SI_JZNS1_25segmented_radix_sort_implINS0_14default_configELb1EPK6__halfPSP_PKlPlN2at6native12_GLOBAL__N_18offset_tEEE10hipError_tPvRmT1_PNSt15iterator_traitsIS13_E10value_typeET2_T3_PNS14_IS19_E10value_typeET4_jRbjT5_S1F_jjP12ihipStream_tbEUljE_ZNSN_ISO_Lb1ESR_SS_SU_SV_SZ_EES10_S11_S12_S13_S17_S18_S19_S1C_S1D_jS1E_jS1F_S1F_jjS1H_bEUljE0_EEES10_S11_S12_S19_S1D_S1F_T6_T7_T9_mT8_S1H_bDpT10_ENKUlT_T0_E_clISt17integral_constantIbLb1EES1U_IbLb0EEEEDaS1Q_S1R_EUlS1Q_E_NS1_11comp_targetILNS1_3genE5ELNS1_11target_archE942ELNS1_3gpuE9ELNS1_3repE0EEENS1_30default_config_static_selectorELNS0_4arch9wavefront6targetE0EEEvS13_,comdat
	.globl	_ZN7rocprim17ROCPRIM_400000_NS6detail17trampoline_kernelINS0_13select_configILj256ELj13ELNS0_17block_load_methodE3ELS4_3ELS4_3ELNS0_20block_scan_algorithmE0ELj4294967295EEENS1_25partition_config_selectorILNS1_17partition_subalgoE4EjNS0_10empty_typeEbEEZZNS1_14partition_implILS8_4ELb0ES6_15HIP_vector_typeIjLj2EENS0_17counting_iteratorIjlEEPS9_SG_NS0_5tupleIJPjSI_NS0_16reverse_iteratorISI_EEEEENSH_IJSG_SG_SG_EEES9_SI_JZNS1_25segmented_radix_sort_implINS0_14default_configELb1EPK6__halfPSP_PKlPlN2at6native12_GLOBAL__N_18offset_tEEE10hipError_tPvRmT1_PNSt15iterator_traitsIS13_E10value_typeET2_T3_PNS14_IS19_E10value_typeET4_jRbjT5_S1F_jjP12ihipStream_tbEUljE_ZNSN_ISO_Lb1ESR_SS_SU_SV_SZ_EES10_S11_S12_S13_S17_S18_S19_S1C_S1D_jS1E_jS1F_S1F_jjS1H_bEUljE0_EEES10_S11_S12_S19_S1D_S1F_T6_T7_T9_mT8_S1H_bDpT10_ENKUlT_T0_E_clISt17integral_constantIbLb1EES1U_IbLb0EEEEDaS1Q_S1R_EUlS1Q_E_NS1_11comp_targetILNS1_3genE5ELNS1_11target_archE942ELNS1_3gpuE9ELNS1_3repE0EEENS1_30default_config_static_selectorELNS0_4arch9wavefront6targetE0EEEvS13_ ; -- Begin function _ZN7rocprim17ROCPRIM_400000_NS6detail17trampoline_kernelINS0_13select_configILj256ELj13ELNS0_17block_load_methodE3ELS4_3ELS4_3ELNS0_20block_scan_algorithmE0ELj4294967295EEENS1_25partition_config_selectorILNS1_17partition_subalgoE4EjNS0_10empty_typeEbEEZZNS1_14partition_implILS8_4ELb0ES6_15HIP_vector_typeIjLj2EENS0_17counting_iteratorIjlEEPS9_SG_NS0_5tupleIJPjSI_NS0_16reverse_iteratorISI_EEEEENSH_IJSG_SG_SG_EEES9_SI_JZNS1_25segmented_radix_sort_implINS0_14default_configELb1EPK6__halfPSP_PKlPlN2at6native12_GLOBAL__N_18offset_tEEE10hipError_tPvRmT1_PNSt15iterator_traitsIS13_E10value_typeET2_T3_PNS14_IS19_E10value_typeET4_jRbjT5_S1F_jjP12ihipStream_tbEUljE_ZNSN_ISO_Lb1ESR_SS_SU_SV_SZ_EES10_S11_S12_S13_S17_S18_S19_S1C_S1D_jS1E_jS1F_S1F_jjS1H_bEUljE0_EEES10_S11_S12_S19_S1D_S1F_T6_T7_T9_mT8_S1H_bDpT10_ENKUlT_T0_E_clISt17integral_constantIbLb1EES1U_IbLb0EEEEDaS1Q_S1R_EUlS1Q_E_NS1_11comp_targetILNS1_3genE5ELNS1_11target_archE942ELNS1_3gpuE9ELNS1_3repE0EEENS1_30default_config_static_selectorELNS0_4arch9wavefront6targetE0EEEvS13_
	.p2align	8
	.type	_ZN7rocprim17ROCPRIM_400000_NS6detail17trampoline_kernelINS0_13select_configILj256ELj13ELNS0_17block_load_methodE3ELS4_3ELS4_3ELNS0_20block_scan_algorithmE0ELj4294967295EEENS1_25partition_config_selectorILNS1_17partition_subalgoE4EjNS0_10empty_typeEbEEZZNS1_14partition_implILS8_4ELb0ES6_15HIP_vector_typeIjLj2EENS0_17counting_iteratorIjlEEPS9_SG_NS0_5tupleIJPjSI_NS0_16reverse_iteratorISI_EEEEENSH_IJSG_SG_SG_EEES9_SI_JZNS1_25segmented_radix_sort_implINS0_14default_configELb1EPK6__halfPSP_PKlPlN2at6native12_GLOBAL__N_18offset_tEEE10hipError_tPvRmT1_PNSt15iterator_traitsIS13_E10value_typeET2_T3_PNS14_IS19_E10value_typeET4_jRbjT5_S1F_jjP12ihipStream_tbEUljE_ZNSN_ISO_Lb1ESR_SS_SU_SV_SZ_EES10_S11_S12_S13_S17_S18_S19_S1C_S1D_jS1E_jS1F_S1F_jjS1H_bEUljE0_EEES10_S11_S12_S19_S1D_S1F_T6_T7_T9_mT8_S1H_bDpT10_ENKUlT_T0_E_clISt17integral_constantIbLb1EES1U_IbLb0EEEEDaS1Q_S1R_EUlS1Q_E_NS1_11comp_targetILNS1_3genE5ELNS1_11target_archE942ELNS1_3gpuE9ELNS1_3repE0EEENS1_30default_config_static_selectorELNS0_4arch9wavefront6targetE0EEEvS13_,@function
_ZN7rocprim17ROCPRIM_400000_NS6detail17trampoline_kernelINS0_13select_configILj256ELj13ELNS0_17block_load_methodE3ELS4_3ELS4_3ELNS0_20block_scan_algorithmE0ELj4294967295EEENS1_25partition_config_selectorILNS1_17partition_subalgoE4EjNS0_10empty_typeEbEEZZNS1_14partition_implILS8_4ELb0ES6_15HIP_vector_typeIjLj2EENS0_17counting_iteratorIjlEEPS9_SG_NS0_5tupleIJPjSI_NS0_16reverse_iteratorISI_EEEEENSH_IJSG_SG_SG_EEES9_SI_JZNS1_25segmented_radix_sort_implINS0_14default_configELb1EPK6__halfPSP_PKlPlN2at6native12_GLOBAL__N_18offset_tEEE10hipError_tPvRmT1_PNSt15iterator_traitsIS13_E10value_typeET2_T3_PNS14_IS19_E10value_typeET4_jRbjT5_S1F_jjP12ihipStream_tbEUljE_ZNSN_ISO_Lb1ESR_SS_SU_SV_SZ_EES10_S11_S12_S13_S17_S18_S19_S1C_S1D_jS1E_jS1F_S1F_jjS1H_bEUljE0_EEES10_S11_S12_S19_S1D_S1F_T6_T7_T9_mT8_S1H_bDpT10_ENKUlT_T0_E_clISt17integral_constantIbLb1EES1U_IbLb0EEEEDaS1Q_S1R_EUlS1Q_E_NS1_11comp_targetILNS1_3genE5ELNS1_11target_archE942ELNS1_3gpuE9ELNS1_3repE0EEENS1_30default_config_static_selectorELNS0_4arch9wavefront6targetE0EEEvS13_: ; @_ZN7rocprim17ROCPRIM_400000_NS6detail17trampoline_kernelINS0_13select_configILj256ELj13ELNS0_17block_load_methodE3ELS4_3ELS4_3ELNS0_20block_scan_algorithmE0ELj4294967295EEENS1_25partition_config_selectorILNS1_17partition_subalgoE4EjNS0_10empty_typeEbEEZZNS1_14partition_implILS8_4ELb0ES6_15HIP_vector_typeIjLj2EENS0_17counting_iteratorIjlEEPS9_SG_NS0_5tupleIJPjSI_NS0_16reverse_iteratorISI_EEEEENSH_IJSG_SG_SG_EEES9_SI_JZNS1_25segmented_radix_sort_implINS0_14default_configELb1EPK6__halfPSP_PKlPlN2at6native12_GLOBAL__N_18offset_tEEE10hipError_tPvRmT1_PNSt15iterator_traitsIS13_E10value_typeET2_T3_PNS14_IS19_E10value_typeET4_jRbjT5_S1F_jjP12ihipStream_tbEUljE_ZNSN_ISO_Lb1ESR_SS_SU_SV_SZ_EES10_S11_S12_S13_S17_S18_S19_S1C_S1D_jS1E_jS1F_S1F_jjS1H_bEUljE0_EEES10_S11_S12_S19_S1D_S1F_T6_T7_T9_mT8_S1H_bDpT10_ENKUlT_T0_E_clISt17integral_constantIbLb1EES1U_IbLb0EEEEDaS1Q_S1R_EUlS1Q_E_NS1_11comp_targetILNS1_3genE5ELNS1_11target_archE942ELNS1_3gpuE9ELNS1_3repE0EEENS1_30default_config_static_selectorELNS0_4arch9wavefront6targetE0EEEvS13_
; %bb.0:
	.section	.rodata,"a",@progbits
	.p2align	6, 0x0
	.amdhsa_kernel _ZN7rocprim17ROCPRIM_400000_NS6detail17trampoline_kernelINS0_13select_configILj256ELj13ELNS0_17block_load_methodE3ELS4_3ELS4_3ELNS0_20block_scan_algorithmE0ELj4294967295EEENS1_25partition_config_selectorILNS1_17partition_subalgoE4EjNS0_10empty_typeEbEEZZNS1_14partition_implILS8_4ELb0ES6_15HIP_vector_typeIjLj2EENS0_17counting_iteratorIjlEEPS9_SG_NS0_5tupleIJPjSI_NS0_16reverse_iteratorISI_EEEEENSH_IJSG_SG_SG_EEES9_SI_JZNS1_25segmented_radix_sort_implINS0_14default_configELb1EPK6__halfPSP_PKlPlN2at6native12_GLOBAL__N_18offset_tEEE10hipError_tPvRmT1_PNSt15iterator_traitsIS13_E10value_typeET2_T3_PNS14_IS19_E10value_typeET4_jRbjT5_S1F_jjP12ihipStream_tbEUljE_ZNSN_ISO_Lb1ESR_SS_SU_SV_SZ_EES10_S11_S12_S13_S17_S18_S19_S1C_S1D_jS1E_jS1F_S1F_jjS1H_bEUljE0_EEES10_S11_S12_S19_S1D_S1F_T6_T7_T9_mT8_S1H_bDpT10_ENKUlT_T0_E_clISt17integral_constantIbLb1EES1U_IbLb0EEEEDaS1Q_S1R_EUlS1Q_E_NS1_11comp_targetILNS1_3genE5ELNS1_11target_archE942ELNS1_3gpuE9ELNS1_3repE0EEENS1_30default_config_static_selectorELNS0_4arch9wavefront6targetE0EEEvS13_
		.amdhsa_group_segment_fixed_size 0
		.amdhsa_private_segment_fixed_size 0
		.amdhsa_kernarg_size 176
		.amdhsa_user_sgpr_count 2
		.amdhsa_user_sgpr_dispatch_ptr 0
		.amdhsa_user_sgpr_queue_ptr 0
		.amdhsa_user_sgpr_kernarg_segment_ptr 1
		.amdhsa_user_sgpr_dispatch_id 0
		.amdhsa_user_sgpr_private_segment_size 0
		.amdhsa_wavefront_size32 1
		.amdhsa_uses_dynamic_stack 0
		.amdhsa_enable_private_segment 0
		.amdhsa_system_sgpr_workgroup_id_x 1
		.amdhsa_system_sgpr_workgroup_id_y 0
		.amdhsa_system_sgpr_workgroup_id_z 0
		.amdhsa_system_sgpr_workgroup_info 0
		.amdhsa_system_vgpr_workitem_id 0
		.amdhsa_next_free_vgpr 1
		.amdhsa_next_free_sgpr 1
		.amdhsa_reserve_vcc 0
		.amdhsa_float_round_mode_32 0
		.amdhsa_float_round_mode_16_64 0
		.amdhsa_float_denorm_mode_32 3
		.amdhsa_float_denorm_mode_16_64 3
		.amdhsa_fp16_overflow 0
		.amdhsa_workgroup_processor_mode 1
		.amdhsa_memory_ordered 1
		.amdhsa_forward_progress 1
		.amdhsa_inst_pref_size 0
		.amdhsa_round_robin_scheduling 0
		.amdhsa_exception_fp_ieee_invalid_op 0
		.amdhsa_exception_fp_denorm_src 0
		.amdhsa_exception_fp_ieee_div_zero 0
		.amdhsa_exception_fp_ieee_overflow 0
		.amdhsa_exception_fp_ieee_underflow 0
		.amdhsa_exception_fp_ieee_inexact 0
		.amdhsa_exception_int_div_zero 0
	.end_amdhsa_kernel
	.section	.text._ZN7rocprim17ROCPRIM_400000_NS6detail17trampoline_kernelINS0_13select_configILj256ELj13ELNS0_17block_load_methodE3ELS4_3ELS4_3ELNS0_20block_scan_algorithmE0ELj4294967295EEENS1_25partition_config_selectorILNS1_17partition_subalgoE4EjNS0_10empty_typeEbEEZZNS1_14partition_implILS8_4ELb0ES6_15HIP_vector_typeIjLj2EENS0_17counting_iteratorIjlEEPS9_SG_NS0_5tupleIJPjSI_NS0_16reverse_iteratorISI_EEEEENSH_IJSG_SG_SG_EEES9_SI_JZNS1_25segmented_radix_sort_implINS0_14default_configELb1EPK6__halfPSP_PKlPlN2at6native12_GLOBAL__N_18offset_tEEE10hipError_tPvRmT1_PNSt15iterator_traitsIS13_E10value_typeET2_T3_PNS14_IS19_E10value_typeET4_jRbjT5_S1F_jjP12ihipStream_tbEUljE_ZNSN_ISO_Lb1ESR_SS_SU_SV_SZ_EES10_S11_S12_S13_S17_S18_S19_S1C_S1D_jS1E_jS1F_S1F_jjS1H_bEUljE0_EEES10_S11_S12_S19_S1D_S1F_T6_T7_T9_mT8_S1H_bDpT10_ENKUlT_T0_E_clISt17integral_constantIbLb1EES1U_IbLb0EEEEDaS1Q_S1R_EUlS1Q_E_NS1_11comp_targetILNS1_3genE5ELNS1_11target_archE942ELNS1_3gpuE9ELNS1_3repE0EEENS1_30default_config_static_selectorELNS0_4arch9wavefront6targetE0EEEvS13_,"axG",@progbits,_ZN7rocprim17ROCPRIM_400000_NS6detail17trampoline_kernelINS0_13select_configILj256ELj13ELNS0_17block_load_methodE3ELS4_3ELS4_3ELNS0_20block_scan_algorithmE0ELj4294967295EEENS1_25partition_config_selectorILNS1_17partition_subalgoE4EjNS0_10empty_typeEbEEZZNS1_14partition_implILS8_4ELb0ES6_15HIP_vector_typeIjLj2EENS0_17counting_iteratorIjlEEPS9_SG_NS0_5tupleIJPjSI_NS0_16reverse_iteratorISI_EEEEENSH_IJSG_SG_SG_EEES9_SI_JZNS1_25segmented_radix_sort_implINS0_14default_configELb1EPK6__halfPSP_PKlPlN2at6native12_GLOBAL__N_18offset_tEEE10hipError_tPvRmT1_PNSt15iterator_traitsIS13_E10value_typeET2_T3_PNS14_IS19_E10value_typeET4_jRbjT5_S1F_jjP12ihipStream_tbEUljE_ZNSN_ISO_Lb1ESR_SS_SU_SV_SZ_EES10_S11_S12_S13_S17_S18_S19_S1C_S1D_jS1E_jS1F_S1F_jjS1H_bEUljE0_EEES10_S11_S12_S19_S1D_S1F_T6_T7_T9_mT8_S1H_bDpT10_ENKUlT_T0_E_clISt17integral_constantIbLb1EES1U_IbLb0EEEEDaS1Q_S1R_EUlS1Q_E_NS1_11comp_targetILNS1_3genE5ELNS1_11target_archE942ELNS1_3gpuE9ELNS1_3repE0EEENS1_30default_config_static_selectorELNS0_4arch9wavefront6targetE0EEEvS13_,comdat
.Lfunc_end1692:
	.size	_ZN7rocprim17ROCPRIM_400000_NS6detail17trampoline_kernelINS0_13select_configILj256ELj13ELNS0_17block_load_methodE3ELS4_3ELS4_3ELNS0_20block_scan_algorithmE0ELj4294967295EEENS1_25partition_config_selectorILNS1_17partition_subalgoE4EjNS0_10empty_typeEbEEZZNS1_14partition_implILS8_4ELb0ES6_15HIP_vector_typeIjLj2EENS0_17counting_iteratorIjlEEPS9_SG_NS0_5tupleIJPjSI_NS0_16reverse_iteratorISI_EEEEENSH_IJSG_SG_SG_EEES9_SI_JZNS1_25segmented_radix_sort_implINS0_14default_configELb1EPK6__halfPSP_PKlPlN2at6native12_GLOBAL__N_18offset_tEEE10hipError_tPvRmT1_PNSt15iterator_traitsIS13_E10value_typeET2_T3_PNS14_IS19_E10value_typeET4_jRbjT5_S1F_jjP12ihipStream_tbEUljE_ZNSN_ISO_Lb1ESR_SS_SU_SV_SZ_EES10_S11_S12_S13_S17_S18_S19_S1C_S1D_jS1E_jS1F_S1F_jjS1H_bEUljE0_EEES10_S11_S12_S19_S1D_S1F_T6_T7_T9_mT8_S1H_bDpT10_ENKUlT_T0_E_clISt17integral_constantIbLb1EES1U_IbLb0EEEEDaS1Q_S1R_EUlS1Q_E_NS1_11comp_targetILNS1_3genE5ELNS1_11target_archE942ELNS1_3gpuE9ELNS1_3repE0EEENS1_30default_config_static_selectorELNS0_4arch9wavefront6targetE0EEEvS13_, .Lfunc_end1692-_ZN7rocprim17ROCPRIM_400000_NS6detail17trampoline_kernelINS0_13select_configILj256ELj13ELNS0_17block_load_methodE3ELS4_3ELS4_3ELNS0_20block_scan_algorithmE0ELj4294967295EEENS1_25partition_config_selectorILNS1_17partition_subalgoE4EjNS0_10empty_typeEbEEZZNS1_14partition_implILS8_4ELb0ES6_15HIP_vector_typeIjLj2EENS0_17counting_iteratorIjlEEPS9_SG_NS0_5tupleIJPjSI_NS0_16reverse_iteratorISI_EEEEENSH_IJSG_SG_SG_EEES9_SI_JZNS1_25segmented_radix_sort_implINS0_14default_configELb1EPK6__halfPSP_PKlPlN2at6native12_GLOBAL__N_18offset_tEEE10hipError_tPvRmT1_PNSt15iterator_traitsIS13_E10value_typeET2_T3_PNS14_IS19_E10value_typeET4_jRbjT5_S1F_jjP12ihipStream_tbEUljE_ZNSN_ISO_Lb1ESR_SS_SU_SV_SZ_EES10_S11_S12_S13_S17_S18_S19_S1C_S1D_jS1E_jS1F_S1F_jjS1H_bEUljE0_EEES10_S11_S12_S19_S1D_S1F_T6_T7_T9_mT8_S1H_bDpT10_ENKUlT_T0_E_clISt17integral_constantIbLb1EES1U_IbLb0EEEEDaS1Q_S1R_EUlS1Q_E_NS1_11comp_targetILNS1_3genE5ELNS1_11target_archE942ELNS1_3gpuE9ELNS1_3repE0EEENS1_30default_config_static_selectorELNS0_4arch9wavefront6targetE0EEEvS13_
                                        ; -- End function
	.set _ZN7rocprim17ROCPRIM_400000_NS6detail17trampoline_kernelINS0_13select_configILj256ELj13ELNS0_17block_load_methodE3ELS4_3ELS4_3ELNS0_20block_scan_algorithmE0ELj4294967295EEENS1_25partition_config_selectorILNS1_17partition_subalgoE4EjNS0_10empty_typeEbEEZZNS1_14partition_implILS8_4ELb0ES6_15HIP_vector_typeIjLj2EENS0_17counting_iteratorIjlEEPS9_SG_NS0_5tupleIJPjSI_NS0_16reverse_iteratorISI_EEEEENSH_IJSG_SG_SG_EEES9_SI_JZNS1_25segmented_radix_sort_implINS0_14default_configELb1EPK6__halfPSP_PKlPlN2at6native12_GLOBAL__N_18offset_tEEE10hipError_tPvRmT1_PNSt15iterator_traitsIS13_E10value_typeET2_T3_PNS14_IS19_E10value_typeET4_jRbjT5_S1F_jjP12ihipStream_tbEUljE_ZNSN_ISO_Lb1ESR_SS_SU_SV_SZ_EES10_S11_S12_S13_S17_S18_S19_S1C_S1D_jS1E_jS1F_S1F_jjS1H_bEUljE0_EEES10_S11_S12_S19_S1D_S1F_T6_T7_T9_mT8_S1H_bDpT10_ENKUlT_T0_E_clISt17integral_constantIbLb1EES1U_IbLb0EEEEDaS1Q_S1R_EUlS1Q_E_NS1_11comp_targetILNS1_3genE5ELNS1_11target_archE942ELNS1_3gpuE9ELNS1_3repE0EEENS1_30default_config_static_selectorELNS0_4arch9wavefront6targetE0EEEvS13_.num_vgpr, 0
	.set _ZN7rocprim17ROCPRIM_400000_NS6detail17trampoline_kernelINS0_13select_configILj256ELj13ELNS0_17block_load_methodE3ELS4_3ELS4_3ELNS0_20block_scan_algorithmE0ELj4294967295EEENS1_25partition_config_selectorILNS1_17partition_subalgoE4EjNS0_10empty_typeEbEEZZNS1_14partition_implILS8_4ELb0ES6_15HIP_vector_typeIjLj2EENS0_17counting_iteratorIjlEEPS9_SG_NS0_5tupleIJPjSI_NS0_16reverse_iteratorISI_EEEEENSH_IJSG_SG_SG_EEES9_SI_JZNS1_25segmented_radix_sort_implINS0_14default_configELb1EPK6__halfPSP_PKlPlN2at6native12_GLOBAL__N_18offset_tEEE10hipError_tPvRmT1_PNSt15iterator_traitsIS13_E10value_typeET2_T3_PNS14_IS19_E10value_typeET4_jRbjT5_S1F_jjP12ihipStream_tbEUljE_ZNSN_ISO_Lb1ESR_SS_SU_SV_SZ_EES10_S11_S12_S13_S17_S18_S19_S1C_S1D_jS1E_jS1F_S1F_jjS1H_bEUljE0_EEES10_S11_S12_S19_S1D_S1F_T6_T7_T9_mT8_S1H_bDpT10_ENKUlT_T0_E_clISt17integral_constantIbLb1EES1U_IbLb0EEEEDaS1Q_S1R_EUlS1Q_E_NS1_11comp_targetILNS1_3genE5ELNS1_11target_archE942ELNS1_3gpuE9ELNS1_3repE0EEENS1_30default_config_static_selectorELNS0_4arch9wavefront6targetE0EEEvS13_.num_agpr, 0
	.set _ZN7rocprim17ROCPRIM_400000_NS6detail17trampoline_kernelINS0_13select_configILj256ELj13ELNS0_17block_load_methodE3ELS4_3ELS4_3ELNS0_20block_scan_algorithmE0ELj4294967295EEENS1_25partition_config_selectorILNS1_17partition_subalgoE4EjNS0_10empty_typeEbEEZZNS1_14partition_implILS8_4ELb0ES6_15HIP_vector_typeIjLj2EENS0_17counting_iteratorIjlEEPS9_SG_NS0_5tupleIJPjSI_NS0_16reverse_iteratorISI_EEEEENSH_IJSG_SG_SG_EEES9_SI_JZNS1_25segmented_radix_sort_implINS0_14default_configELb1EPK6__halfPSP_PKlPlN2at6native12_GLOBAL__N_18offset_tEEE10hipError_tPvRmT1_PNSt15iterator_traitsIS13_E10value_typeET2_T3_PNS14_IS19_E10value_typeET4_jRbjT5_S1F_jjP12ihipStream_tbEUljE_ZNSN_ISO_Lb1ESR_SS_SU_SV_SZ_EES10_S11_S12_S13_S17_S18_S19_S1C_S1D_jS1E_jS1F_S1F_jjS1H_bEUljE0_EEES10_S11_S12_S19_S1D_S1F_T6_T7_T9_mT8_S1H_bDpT10_ENKUlT_T0_E_clISt17integral_constantIbLb1EES1U_IbLb0EEEEDaS1Q_S1R_EUlS1Q_E_NS1_11comp_targetILNS1_3genE5ELNS1_11target_archE942ELNS1_3gpuE9ELNS1_3repE0EEENS1_30default_config_static_selectorELNS0_4arch9wavefront6targetE0EEEvS13_.numbered_sgpr, 0
	.set _ZN7rocprim17ROCPRIM_400000_NS6detail17trampoline_kernelINS0_13select_configILj256ELj13ELNS0_17block_load_methodE3ELS4_3ELS4_3ELNS0_20block_scan_algorithmE0ELj4294967295EEENS1_25partition_config_selectorILNS1_17partition_subalgoE4EjNS0_10empty_typeEbEEZZNS1_14partition_implILS8_4ELb0ES6_15HIP_vector_typeIjLj2EENS0_17counting_iteratorIjlEEPS9_SG_NS0_5tupleIJPjSI_NS0_16reverse_iteratorISI_EEEEENSH_IJSG_SG_SG_EEES9_SI_JZNS1_25segmented_radix_sort_implINS0_14default_configELb1EPK6__halfPSP_PKlPlN2at6native12_GLOBAL__N_18offset_tEEE10hipError_tPvRmT1_PNSt15iterator_traitsIS13_E10value_typeET2_T3_PNS14_IS19_E10value_typeET4_jRbjT5_S1F_jjP12ihipStream_tbEUljE_ZNSN_ISO_Lb1ESR_SS_SU_SV_SZ_EES10_S11_S12_S13_S17_S18_S19_S1C_S1D_jS1E_jS1F_S1F_jjS1H_bEUljE0_EEES10_S11_S12_S19_S1D_S1F_T6_T7_T9_mT8_S1H_bDpT10_ENKUlT_T0_E_clISt17integral_constantIbLb1EES1U_IbLb0EEEEDaS1Q_S1R_EUlS1Q_E_NS1_11comp_targetILNS1_3genE5ELNS1_11target_archE942ELNS1_3gpuE9ELNS1_3repE0EEENS1_30default_config_static_selectorELNS0_4arch9wavefront6targetE0EEEvS13_.num_named_barrier, 0
	.set _ZN7rocprim17ROCPRIM_400000_NS6detail17trampoline_kernelINS0_13select_configILj256ELj13ELNS0_17block_load_methodE3ELS4_3ELS4_3ELNS0_20block_scan_algorithmE0ELj4294967295EEENS1_25partition_config_selectorILNS1_17partition_subalgoE4EjNS0_10empty_typeEbEEZZNS1_14partition_implILS8_4ELb0ES6_15HIP_vector_typeIjLj2EENS0_17counting_iteratorIjlEEPS9_SG_NS0_5tupleIJPjSI_NS0_16reverse_iteratorISI_EEEEENSH_IJSG_SG_SG_EEES9_SI_JZNS1_25segmented_radix_sort_implINS0_14default_configELb1EPK6__halfPSP_PKlPlN2at6native12_GLOBAL__N_18offset_tEEE10hipError_tPvRmT1_PNSt15iterator_traitsIS13_E10value_typeET2_T3_PNS14_IS19_E10value_typeET4_jRbjT5_S1F_jjP12ihipStream_tbEUljE_ZNSN_ISO_Lb1ESR_SS_SU_SV_SZ_EES10_S11_S12_S13_S17_S18_S19_S1C_S1D_jS1E_jS1F_S1F_jjS1H_bEUljE0_EEES10_S11_S12_S19_S1D_S1F_T6_T7_T9_mT8_S1H_bDpT10_ENKUlT_T0_E_clISt17integral_constantIbLb1EES1U_IbLb0EEEEDaS1Q_S1R_EUlS1Q_E_NS1_11comp_targetILNS1_3genE5ELNS1_11target_archE942ELNS1_3gpuE9ELNS1_3repE0EEENS1_30default_config_static_selectorELNS0_4arch9wavefront6targetE0EEEvS13_.private_seg_size, 0
	.set _ZN7rocprim17ROCPRIM_400000_NS6detail17trampoline_kernelINS0_13select_configILj256ELj13ELNS0_17block_load_methodE3ELS4_3ELS4_3ELNS0_20block_scan_algorithmE0ELj4294967295EEENS1_25partition_config_selectorILNS1_17partition_subalgoE4EjNS0_10empty_typeEbEEZZNS1_14partition_implILS8_4ELb0ES6_15HIP_vector_typeIjLj2EENS0_17counting_iteratorIjlEEPS9_SG_NS0_5tupleIJPjSI_NS0_16reverse_iteratorISI_EEEEENSH_IJSG_SG_SG_EEES9_SI_JZNS1_25segmented_radix_sort_implINS0_14default_configELb1EPK6__halfPSP_PKlPlN2at6native12_GLOBAL__N_18offset_tEEE10hipError_tPvRmT1_PNSt15iterator_traitsIS13_E10value_typeET2_T3_PNS14_IS19_E10value_typeET4_jRbjT5_S1F_jjP12ihipStream_tbEUljE_ZNSN_ISO_Lb1ESR_SS_SU_SV_SZ_EES10_S11_S12_S13_S17_S18_S19_S1C_S1D_jS1E_jS1F_S1F_jjS1H_bEUljE0_EEES10_S11_S12_S19_S1D_S1F_T6_T7_T9_mT8_S1H_bDpT10_ENKUlT_T0_E_clISt17integral_constantIbLb1EES1U_IbLb0EEEEDaS1Q_S1R_EUlS1Q_E_NS1_11comp_targetILNS1_3genE5ELNS1_11target_archE942ELNS1_3gpuE9ELNS1_3repE0EEENS1_30default_config_static_selectorELNS0_4arch9wavefront6targetE0EEEvS13_.uses_vcc, 0
	.set _ZN7rocprim17ROCPRIM_400000_NS6detail17trampoline_kernelINS0_13select_configILj256ELj13ELNS0_17block_load_methodE3ELS4_3ELS4_3ELNS0_20block_scan_algorithmE0ELj4294967295EEENS1_25partition_config_selectorILNS1_17partition_subalgoE4EjNS0_10empty_typeEbEEZZNS1_14partition_implILS8_4ELb0ES6_15HIP_vector_typeIjLj2EENS0_17counting_iteratorIjlEEPS9_SG_NS0_5tupleIJPjSI_NS0_16reverse_iteratorISI_EEEEENSH_IJSG_SG_SG_EEES9_SI_JZNS1_25segmented_radix_sort_implINS0_14default_configELb1EPK6__halfPSP_PKlPlN2at6native12_GLOBAL__N_18offset_tEEE10hipError_tPvRmT1_PNSt15iterator_traitsIS13_E10value_typeET2_T3_PNS14_IS19_E10value_typeET4_jRbjT5_S1F_jjP12ihipStream_tbEUljE_ZNSN_ISO_Lb1ESR_SS_SU_SV_SZ_EES10_S11_S12_S13_S17_S18_S19_S1C_S1D_jS1E_jS1F_S1F_jjS1H_bEUljE0_EEES10_S11_S12_S19_S1D_S1F_T6_T7_T9_mT8_S1H_bDpT10_ENKUlT_T0_E_clISt17integral_constantIbLb1EES1U_IbLb0EEEEDaS1Q_S1R_EUlS1Q_E_NS1_11comp_targetILNS1_3genE5ELNS1_11target_archE942ELNS1_3gpuE9ELNS1_3repE0EEENS1_30default_config_static_selectorELNS0_4arch9wavefront6targetE0EEEvS13_.uses_flat_scratch, 0
	.set _ZN7rocprim17ROCPRIM_400000_NS6detail17trampoline_kernelINS0_13select_configILj256ELj13ELNS0_17block_load_methodE3ELS4_3ELS4_3ELNS0_20block_scan_algorithmE0ELj4294967295EEENS1_25partition_config_selectorILNS1_17partition_subalgoE4EjNS0_10empty_typeEbEEZZNS1_14partition_implILS8_4ELb0ES6_15HIP_vector_typeIjLj2EENS0_17counting_iteratorIjlEEPS9_SG_NS0_5tupleIJPjSI_NS0_16reverse_iteratorISI_EEEEENSH_IJSG_SG_SG_EEES9_SI_JZNS1_25segmented_radix_sort_implINS0_14default_configELb1EPK6__halfPSP_PKlPlN2at6native12_GLOBAL__N_18offset_tEEE10hipError_tPvRmT1_PNSt15iterator_traitsIS13_E10value_typeET2_T3_PNS14_IS19_E10value_typeET4_jRbjT5_S1F_jjP12ihipStream_tbEUljE_ZNSN_ISO_Lb1ESR_SS_SU_SV_SZ_EES10_S11_S12_S13_S17_S18_S19_S1C_S1D_jS1E_jS1F_S1F_jjS1H_bEUljE0_EEES10_S11_S12_S19_S1D_S1F_T6_T7_T9_mT8_S1H_bDpT10_ENKUlT_T0_E_clISt17integral_constantIbLb1EES1U_IbLb0EEEEDaS1Q_S1R_EUlS1Q_E_NS1_11comp_targetILNS1_3genE5ELNS1_11target_archE942ELNS1_3gpuE9ELNS1_3repE0EEENS1_30default_config_static_selectorELNS0_4arch9wavefront6targetE0EEEvS13_.has_dyn_sized_stack, 0
	.set _ZN7rocprim17ROCPRIM_400000_NS6detail17trampoline_kernelINS0_13select_configILj256ELj13ELNS0_17block_load_methodE3ELS4_3ELS4_3ELNS0_20block_scan_algorithmE0ELj4294967295EEENS1_25partition_config_selectorILNS1_17partition_subalgoE4EjNS0_10empty_typeEbEEZZNS1_14partition_implILS8_4ELb0ES6_15HIP_vector_typeIjLj2EENS0_17counting_iteratorIjlEEPS9_SG_NS0_5tupleIJPjSI_NS0_16reverse_iteratorISI_EEEEENSH_IJSG_SG_SG_EEES9_SI_JZNS1_25segmented_radix_sort_implINS0_14default_configELb1EPK6__halfPSP_PKlPlN2at6native12_GLOBAL__N_18offset_tEEE10hipError_tPvRmT1_PNSt15iterator_traitsIS13_E10value_typeET2_T3_PNS14_IS19_E10value_typeET4_jRbjT5_S1F_jjP12ihipStream_tbEUljE_ZNSN_ISO_Lb1ESR_SS_SU_SV_SZ_EES10_S11_S12_S13_S17_S18_S19_S1C_S1D_jS1E_jS1F_S1F_jjS1H_bEUljE0_EEES10_S11_S12_S19_S1D_S1F_T6_T7_T9_mT8_S1H_bDpT10_ENKUlT_T0_E_clISt17integral_constantIbLb1EES1U_IbLb0EEEEDaS1Q_S1R_EUlS1Q_E_NS1_11comp_targetILNS1_3genE5ELNS1_11target_archE942ELNS1_3gpuE9ELNS1_3repE0EEENS1_30default_config_static_selectorELNS0_4arch9wavefront6targetE0EEEvS13_.has_recursion, 0
	.set _ZN7rocprim17ROCPRIM_400000_NS6detail17trampoline_kernelINS0_13select_configILj256ELj13ELNS0_17block_load_methodE3ELS4_3ELS4_3ELNS0_20block_scan_algorithmE0ELj4294967295EEENS1_25partition_config_selectorILNS1_17partition_subalgoE4EjNS0_10empty_typeEbEEZZNS1_14partition_implILS8_4ELb0ES6_15HIP_vector_typeIjLj2EENS0_17counting_iteratorIjlEEPS9_SG_NS0_5tupleIJPjSI_NS0_16reverse_iteratorISI_EEEEENSH_IJSG_SG_SG_EEES9_SI_JZNS1_25segmented_radix_sort_implINS0_14default_configELb1EPK6__halfPSP_PKlPlN2at6native12_GLOBAL__N_18offset_tEEE10hipError_tPvRmT1_PNSt15iterator_traitsIS13_E10value_typeET2_T3_PNS14_IS19_E10value_typeET4_jRbjT5_S1F_jjP12ihipStream_tbEUljE_ZNSN_ISO_Lb1ESR_SS_SU_SV_SZ_EES10_S11_S12_S13_S17_S18_S19_S1C_S1D_jS1E_jS1F_S1F_jjS1H_bEUljE0_EEES10_S11_S12_S19_S1D_S1F_T6_T7_T9_mT8_S1H_bDpT10_ENKUlT_T0_E_clISt17integral_constantIbLb1EES1U_IbLb0EEEEDaS1Q_S1R_EUlS1Q_E_NS1_11comp_targetILNS1_3genE5ELNS1_11target_archE942ELNS1_3gpuE9ELNS1_3repE0EEENS1_30default_config_static_selectorELNS0_4arch9wavefront6targetE0EEEvS13_.has_indirect_call, 0
	.section	.AMDGPU.csdata,"",@progbits
; Kernel info:
; codeLenInByte = 0
; TotalNumSgprs: 0
; NumVgprs: 0
; ScratchSize: 0
; MemoryBound: 0
; FloatMode: 240
; IeeeMode: 1
; LDSByteSize: 0 bytes/workgroup (compile time only)
; SGPRBlocks: 0
; VGPRBlocks: 0
; NumSGPRsForWavesPerEU: 1
; NumVGPRsForWavesPerEU: 1
; Occupancy: 16
; WaveLimiterHint : 0
; COMPUTE_PGM_RSRC2:SCRATCH_EN: 0
; COMPUTE_PGM_RSRC2:USER_SGPR: 2
; COMPUTE_PGM_RSRC2:TRAP_HANDLER: 0
; COMPUTE_PGM_RSRC2:TGID_X_EN: 1
; COMPUTE_PGM_RSRC2:TGID_Y_EN: 0
; COMPUTE_PGM_RSRC2:TGID_Z_EN: 0
; COMPUTE_PGM_RSRC2:TIDIG_COMP_CNT: 0
	.section	.text._ZN7rocprim17ROCPRIM_400000_NS6detail17trampoline_kernelINS0_13select_configILj256ELj13ELNS0_17block_load_methodE3ELS4_3ELS4_3ELNS0_20block_scan_algorithmE0ELj4294967295EEENS1_25partition_config_selectorILNS1_17partition_subalgoE4EjNS0_10empty_typeEbEEZZNS1_14partition_implILS8_4ELb0ES6_15HIP_vector_typeIjLj2EENS0_17counting_iteratorIjlEEPS9_SG_NS0_5tupleIJPjSI_NS0_16reverse_iteratorISI_EEEEENSH_IJSG_SG_SG_EEES9_SI_JZNS1_25segmented_radix_sort_implINS0_14default_configELb1EPK6__halfPSP_PKlPlN2at6native12_GLOBAL__N_18offset_tEEE10hipError_tPvRmT1_PNSt15iterator_traitsIS13_E10value_typeET2_T3_PNS14_IS19_E10value_typeET4_jRbjT5_S1F_jjP12ihipStream_tbEUljE_ZNSN_ISO_Lb1ESR_SS_SU_SV_SZ_EES10_S11_S12_S13_S17_S18_S19_S1C_S1D_jS1E_jS1F_S1F_jjS1H_bEUljE0_EEES10_S11_S12_S19_S1D_S1F_T6_T7_T9_mT8_S1H_bDpT10_ENKUlT_T0_E_clISt17integral_constantIbLb1EES1U_IbLb0EEEEDaS1Q_S1R_EUlS1Q_E_NS1_11comp_targetILNS1_3genE4ELNS1_11target_archE910ELNS1_3gpuE8ELNS1_3repE0EEENS1_30default_config_static_selectorELNS0_4arch9wavefront6targetE0EEEvS13_,"axG",@progbits,_ZN7rocprim17ROCPRIM_400000_NS6detail17trampoline_kernelINS0_13select_configILj256ELj13ELNS0_17block_load_methodE3ELS4_3ELS4_3ELNS0_20block_scan_algorithmE0ELj4294967295EEENS1_25partition_config_selectorILNS1_17partition_subalgoE4EjNS0_10empty_typeEbEEZZNS1_14partition_implILS8_4ELb0ES6_15HIP_vector_typeIjLj2EENS0_17counting_iteratorIjlEEPS9_SG_NS0_5tupleIJPjSI_NS0_16reverse_iteratorISI_EEEEENSH_IJSG_SG_SG_EEES9_SI_JZNS1_25segmented_radix_sort_implINS0_14default_configELb1EPK6__halfPSP_PKlPlN2at6native12_GLOBAL__N_18offset_tEEE10hipError_tPvRmT1_PNSt15iterator_traitsIS13_E10value_typeET2_T3_PNS14_IS19_E10value_typeET4_jRbjT5_S1F_jjP12ihipStream_tbEUljE_ZNSN_ISO_Lb1ESR_SS_SU_SV_SZ_EES10_S11_S12_S13_S17_S18_S19_S1C_S1D_jS1E_jS1F_S1F_jjS1H_bEUljE0_EEES10_S11_S12_S19_S1D_S1F_T6_T7_T9_mT8_S1H_bDpT10_ENKUlT_T0_E_clISt17integral_constantIbLb1EES1U_IbLb0EEEEDaS1Q_S1R_EUlS1Q_E_NS1_11comp_targetILNS1_3genE4ELNS1_11target_archE910ELNS1_3gpuE8ELNS1_3repE0EEENS1_30default_config_static_selectorELNS0_4arch9wavefront6targetE0EEEvS13_,comdat
	.globl	_ZN7rocprim17ROCPRIM_400000_NS6detail17trampoline_kernelINS0_13select_configILj256ELj13ELNS0_17block_load_methodE3ELS4_3ELS4_3ELNS0_20block_scan_algorithmE0ELj4294967295EEENS1_25partition_config_selectorILNS1_17partition_subalgoE4EjNS0_10empty_typeEbEEZZNS1_14partition_implILS8_4ELb0ES6_15HIP_vector_typeIjLj2EENS0_17counting_iteratorIjlEEPS9_SG_NS0_5tupleIJPjSI_NS0_16reverse_iteratorISI_EEEEENSH_IJSG_SG_SG_EEES9_SI_JZNS1_25segmented_radix_sort_implINS0_14default_configELb1EPK6__halfPSP_PKlPlN2at6native12_GLOBAL__N_18offset_tEEE10hipError_tPvRmT1_PNSt15iterator_traitsIS13_E10value_typeET2_T3_PNS14_IS19_E10value_typeET4_jRbjT5_S1F_jjP12ihipStream_tbEUljE_ZNSN_ISO_Lb1ESR_SS_SU_SV_SZ_EES10_S11_S12_S13_S17_S18_S19_S1C_S1D_jS1E_jS1F_S1F_jjS1H_bEUljE0_EEES10_S11_S12_S19_S1D_S1F_T6_T7_T9_mT8_S1H_bDpT10_ENKUlT_T0_E_clISt17integral_constantIbLb1EES1U_IbLb0EEEEDaS1Q_S1R_EUlS1Q_E_NS1_11comp_targetILNS1_3genE4ELNS1_11target_archE910ELNS1_3gpuE8ELNS1_3repE0EEENS1_30default_config_static_selectorELNS0_4arch9wavefront6targetE0EEEvS13_ ; -- Begin function _ZN7rocprim17ROCPRIM_400000_NS6detail17trampoline_kernelINS0_13select_configILj256ELj13ELNS0_17block_load_methodE3ELS4_3ELS4_3ELNS0_20block_scan_algorithmE0ELj4294967295EEENS1_25partition_config_selectorILNS1_17partition_subalgoE4EjNS0_10empty_typeEbEEZZNS1_14partition_implILS8_4ELb0ES6_15HIP_vector_typeIjLj2EENS0_17counting_iteratorIjlEEPS9_SG_NS0_5tupleIJPjSI_NS0_16reverse_iteratorISI_EEEEENSH_IJSG_SG_SG_EEES9_SI_JZNS1_25segmented_radix_sort_implINS0_14default_configELb1EPK6__halfPSP_PKlPlN2at6native12_GLOBAL__N_18offset_tEEE10hipError_tPvRmT1_PNSt15iterator_traitsIS13_E10value_typeET2_T3_PNS14_IS19_E10value_typeET4_jRbjT5_S1F_jjP12ihipStream_tbEUljE_ZNSN_ISO_Lb1ESR_SS_SU_SV_SZ_EES10_S11_S12_S13_S17_S18_S19_S1C_S1D_jS1E_jS1F_S1F_jjS1H_bEUljE0_EEES10_S11_S12_S19_S1D_S1F_T6_T7_T9_mT8_S1H_bDpT10_ENKUlT_T0_E_clISt17integral_constantIbLb1EES1U_IbLb0EEEEDaS1Q_S1R_EUlS1Q_E_NS1_11comp_targetILNS1_3genE4ELNS1_11target_archE910ELNS1_3gpuE8ELNS1_3repE0EEENS1_30default_config_static_selectorELNS0_4arch9wavefront6targetE0EEEvS13_
	.p2align	8
	.type	_ZN7rocprim17ROCPRIM_400000_NS6detail17trampoline_kernelINS0_13select_configILj256ELj13ELNS0_17block_load_methodE3ELS4_3ELS4_3ELNS0_20block_scan_algorithmE0ELj4294967295EEENS1_25partition_config_selectorILNS1_17partition_subalgoE4EjNS0_10empty_typeEbEEZZNS1_14partition_implILS8_4ELb0ES6_15HIP_vector_typeIjLj2EENS0_17counting_iteratorIjlEEPS9_SG_NS0_5tupleIJPjSI_NS0_16reverse_iteratorISI_EEEEENSH_IJSG_SG_SG_EEES9_SI_JZNS1_25segmented_radix_sort_implINS0_14default_configELb1EPK6__halfPSP_PKlPlN2at6native12_GLOBAL__N_18offset_tEEE10hipError_tPvRmT1_PNSt15iterator_traitsIS13_E10value_typeET2_T3_PNS14_IS19_E10value_typeET4_jRbjT5_S1F_jjP12ihipStream_tbEUljE_ZNSN_ISO_Lb1ESR_SS_SU_SV_SZ_EES10_S11_S12_S13_S17_S18_S19_S1C_S1D_jS1E_jS1F_S1F_jjS1H_bEUljE0_EEES10_S11_S12_S19_S1D_S1F_T6_T7_T9_mT8_S1H_bDpT10_ENKUlT_T0_E_clISt17integral_constantIbLb1EES1U_IbLb0EEEEDaS1Q_S1R_EUlS1Q_E_NS1_11comp_targetILNS1_3genE4ELNS1_11target_archE910ELNS1_3gpuE8ELNS1_3repE0EEENS1_30default_config_static_selectorELNS0_4arch9wavefront6targetE0EEEvS13_,@function
_ZN7rocprim17ROCPRIM_400000_NS6detail17trampoline_kernelINS0_13select_configILj256ELj13ELNS0_17block_load_methodE3ELS4_3ELS4_3ELNS0_20block_scan_algorithmE0ELj4294967295EEENS1_25partition_config_selectorILNS1_17partition_subalgoE4EjNS0_10empty_typeEbEEZZNS1_14partition_implILS8_4ELb0ES6_15HIP_vector_typeIjLj2EENS0_17counting_iteratorIjlEEPS9_SG_NS0_5tupleIJPjSI_NS0_16reverse_iteratorISI_EEEEENSH_IJSG_SG_SG_EEES9_SI_JZNS1_25segmented_radix_sort_implINS0_14default_configELb1EPK6__halfPSP_PKlPlN2at6native12_GLOBAL__N_18offset_tEEE10hipError_tPvRmT1_PNSt15iterator_traitsIS13_E10value_typeET2_T3_PNS14_IS19_E10value_typeET4_jRbjT5_S1F_jjP12ihipStream_tbEUljE_ZNSN_ISO_Lb1ESR_SS_SU_SV_SZ_EES10_S11_S12_S13_S17_S18_S19_S1C_S1D_jS1E_jS1F_S1F_jjS1H_bEUljE0_EEES10_S11_S12_S19_S1D_S1F_T6_T7_T9_mT8_S1H_bDpT10_ENKUlT_T0_E_clISt17integral_constantIbLb1EES1U_IbLb0EEEEDaS1Q_S1R_EUlS1Q_E_NS1_11comp_targetILNS1_3genE4ELNS1_11target_archE910ELNS1_3gpuE8ELNS1_3repE0EEENS1_30default_config_static_selectorELNS0_4arch9wavefront6targetE0EEEvS13_: ; @_ZN7rocprim17ROCPRIM_400000_NS6detail17trampoline_kernelINS0_13select_configILj256ELj13ELNS0_17block_load_methodE3ELS4_3ELS4_3ELNS0_20block_scan_algorithmE0ELj4294967295EEENS1_25partition_config_selectorILNS1_17partition_subalgoE4EjNS0_10empty_typeEbEEZZNS1_14partition_implILS8_4ELb0ES6_15HIP_vector_typeIjLj2EENS0_17counting_iteratorIjlEEPS9_SG_NS0_5tupleIJPjSI_NS0_16reverse_iteratorISI_EEEEENSH_IJSG_SG_SG_EEES9_SI_JZNS1_25segmented_radix_sort_implINS0_14default_configELb1EPK6__halfPSP_PKlPlN2at6native12_GLOBAL__N_18offset_tEEE10hipError_tPvRmT1_PNSt15iterator_traitsIS13_E10value_typeET2_T3_PNS14_IS19_E10value_typeET4_jRbjT5_S1F_jjP12ihipStream_tbEUljE_ZNSN_ISO_Lb1ESR_SS_SU_SV_SZ_EES10_S11_S12_S13_S17_S18_S19_S1C_S1D_jS1E_jS1F_S1F_jjS1H_bEUljE0_EEES10_S11_S12_S19_S1D_S1F_T6_T7_T9_mT8_S1H_bDpT10_ENKUlT_T0_E_clISt17integral_constantIbLb1EES1U_IbLb0EEEEDaS1Q_S1R_EUlS1Q_E_NS1_11comp_targetILNS1_3genE4ELNS1_11target_archE910ELNS1_3gpuE8ELNS1_3repE0EEENS1_30default_config_static_selectorELNS0_4arch9wavefront6targetE0EEEvS13_
; %bb.0:
	.section	.rodata,"a",@progbits
	.p2align	6, 0x0
	.amdhsa_kernel _ZN7rocprim17ROCPRIM_400000_NS6detail17trampoline_kernelINS0_13select_configILj256ELj13ELNS0_17block_load_methodE3ELS4_3ELS4_3ELNS0_20block_scan_algorithmE0ELj4294967295EEENS1_25partition_config_selectorILNS1_17partition_subalgoE4EjNS0_10empty_typeEbEEZZNS1_14partition_implILS8_4ELb0ES6_15HIP_vector_typeIjLj2EENS0_17counting_iteratorIjlEEPS9_SG_NS0_5tupleIJPjSI_NS0_16reverse_iteratorISI_EEEEENSH_IJSG_SG_SG_EEES9_SI_JZNS1_25segmented_radix_sort_implINS0_14default_configELb1EPK6__halfPSP_PKlPlN2at6native12_GLOBAL__N_18offset_tEEE10hipError_tPvRmT1_PNSt15iterator_traitsIS13_E10value_typeET2_T3_PNS14_IS19_E10value_typeET4_jRbjT5_S1F_jjP12ihipStream_tbEUljE_ZNSN_ISO_Lb1ESR_SS_SU_SV_SZ_EES10_S11_S12_S13_S17_S18_S19_S1C_S1D_jS1E_jS1F_S1F_jjS1H_bEUljE0_EEES10_S11_S12_S19_S1D_S1F_T6_T7_T9_mT8_S1H_bDpT10_ENKUlT_T0_E_clISt17integral_constantIbLb1EES1U_IbLb0EEEEDaS1Q_S1R_EUlS1Q_E_NS1_11comp_targetILNS1_3genE4ELNS1_11target_archE910ELNS1_3gpuE8ELNS1_3repE0EEENS1_30default_config_static_selectorELNS0_4arch9wavefront6targetE0EEEvS13_
		.amdhsa_group_segment_fixed_size 0
		.amdhsa_private_segment_fixed_size 0
		.amdhsa_kernarg_size 176
		.amdhsa_user_sgpr_count 2
		.amdhsa_user_sgpr_dispatch_ptr 0
		.amdhsa_user_sgpr_queue_ptr 0
		.amdhsa_user_sgpr_kernarg_segment_ptr 1
		.amdhsa_user_sgpr_dispatch_id 0
		.amdhsa_user_sgpr_private_segment_size 0
		.amdhsa_wavefront_size32 1
		.amdhsa_uses_dynamic_stack 0
		.amdhsa_enable_private_segment 0
		.amdhsa_system_sgpr_workgroup_id_x 1
		.amdhsa_system_sgpr_workgroup_id_y 0
		.amdhsa_system_sgpr_workgroup_id_z 0
		.amdhsa_system_sgpr_workgroup_info 0
		.amdhsa_system_vgpr_workitem_id 0
		.amdhsa_next_free_vgpr 1
		.amdhsa_next_free_sgpr 1
		.amdhsa_reserve_vcc 0
		.amdhsa_float_round_mode_32 0
		.amdhsa_float_round_mode_16_64 0
		.amdhsa_float_denorm_mode_32 3
		.amdhsa_float_denorm_mode_16_64 3
		.amdhsa_fp16_overflow 0
		.amdhsa_workgroup_processor_mode 1
		.amdhsa_memory_ordered 1
		.amdhsa_forward_progress 1
		.amdhsa_inst_pref_size 0
		.amdhsa_round_robin_scheduling 0
		.amdhsa_exception_fp_ieee_invalid_op 0
		.amdhsa_exception_fp_denorm_src 0
		.amdhsa_exception_fp_ieee_div_zero 0
		.amdhsa_exception_fp_ieee_overflow 0
		.amdhsa_exception_fp_ieee_underflow 0
		.amdhsa_exception_fp_ieee_inexact 0
		.amdhsa_exception_int_div_zero 0
	.end_amdhsa_kernel
	.section	.text._ZN7rocprim17ROCPRIM_400000_NS6detail17trampoline_kernelINS0_13select_configILj256ELj13ELNS0_17block_load_methodE3ELS4_3ELS4_3ELNS0_20block_scan_algorithmE0ELj4294967295EEENS1_25partition_config_selectorILNS1_17partition_subalgoE4EjNS0_10empty_typeEbEEZZNS1_14partition_implILS8_4ELb0ES6_15HIP_vector_typeIjLj2EENS0_17counting_iteratorIjlEEPS9_SG_NS0_5tupleIJPjSI_NS0_16reverse_iteratorISI_EEEEENSH_IJSG_SG_SG_EEES9_SI_JZNS1_25segmented_radix_sort_implINS0_14default_configELb1EPK6__halfPSP_PKlPlN2at6native12_GLOBAL__N_18offset_tEEE10hipError_tPvRmT1_PNSt15iterator_traitsIS13_E10value_typeET2_T3_PNS14_IS19_E10value_typeET4_jRbjT5_S1F_jjP12ihipStream_tbEUljE_ZNSN_ISO_Lb1ESR_SS_SU_SV_SZ_EES10_S11_S12_S13_S17_S18_S19_S1C_S1D_jS1E_jS1F_S1F_jjS1H_bEUljE0_EEES10_S11_S12_S19_S1D_S1F_T6_T7_T9_mT8_S1H_bDpT10_ENKUlT_T0_E_clISt17integral_constantIbLb1EES1U_IbLb0EEEEDaS1Q_S1R_EUlS1Q_E_NS1_11comp_targetILNS1_3genE4ELNS1_11target_archE910ELNS1_3gpuE8ELNS1_3repE0EEENS1_30default_config_static_selectorELNS0_4arch9wavefront6targetE0EEEvS13_,"axG",@progbits,_ZN7rocprim17ROCPRIM_400000_NS6detail17trampoline_kernelINS0_13select_configILj256ELj13ELNS0_17block_load_methodE3ELS4_3ELS4_3ELNS0_20block_scan_algorithmE0ELj4294967295EEENS1_25partition_config_selectorILNS1_17partition_subalgoE4EjNS0_10empty_typeEbEEZZNS1_14partition_implILS8_4ELb0ES6_15HIP_vector_typeIjLj2EENS0_17counting_iteratorIjlEEPS9_SG_NS0_5tupleIJPjSI_NS0_16reverse_iteratorISI_EEEEENSH_IJSG_SG_SG_EEES9_SI_JZNS1_25segmented_radix_sort_implINS0_14default_configELb1EPK6__halfPSP_PKlPlN2at6native12_GLOBAL__N_18offset_tEEE10hipError_tPvRmT1_PNSt15iterator_traitsIS13_E10value_typeET2_T3_PNS14_IS19_E10value_typeET4_jRbjT5_S1F_jjP12ihipStream_tbEUljE_ZNSN_ISO_Lb1ESR_SS_SU_SV_SZ_EES10_S11_S12_S13_S17_S18_S19_S1C_S1D_jS1E_jS1F_S1F_jjS1H_bEUljE0_EEES10_S11_S12_S19_S1D_S1F_T6_T7_T9_mT8_S1H_bDpT10_ENKUlT_T0_E_clISt17integral_constantIbLb1EES1U_IbLb0EEEEDaS1Q_S1R_EUlS1Q_E_NS1_11comp_targetILNS1_3genE4ELNS1_11target_archE910ELNS1_3gpuE8ELNS1_3repE0EEENS1_30default_config_static_selectorELNS0_4arch9wavefront6targetE0EEEvS13_,comdat
.Lfunc_end1693:
	.size	_ZN7rocprim17ROCPRIM_400000_NS6detail17trampoline_kernelINS0_13select_configILj256ELj13ELNS0_17block_load_methodE3ELS4_3ELS4_3ELNS0_20block_scan_algorithmE0ELj4294967295EEENS1_25partition_config_selectorILNS1_17partition_subalgoE4EjNS0_10empty_typeEbEEZZNS1_14partition_implILS8_4ELb0ES6_15HIP_vector_typeIjLj2EENS0_17counting_iteratorIjlEEPS9_SG_NS0_5tupleIJPjSI_NS0_16reverse_iteratorISI_EEEEENSH_IJSG_SG_SG_EEES9_SI_JZNS1_25segmented_radix_sort_implINS0_14default_configELb1EPK6__halfPSP_PKlPlN2at6native12_GLOBAL__N_18offset_tEEE10hipError_tPvRmT1_PNSt15iterator_traitsIS13_E10value_typeET2_T3_PNS14_IS19_E10value_typeET4_jRbjT5_S1F_jjP12ihipStream_tbEUljE_ZNSN_ISO_Lb1ESR_SS_SU_SV_SZ_EES10_S11_S12_S13_S17_S18_S19_S1C_S1D_jS1E_jS1F_S1F_jjS1H_bEUljE0_EEES10_S11_S12_S19_S1D_S1F_T6_T7_T9_mT8_S1H_bDpT10_ENKUlT_T0_E_clISt17integral_constantIbLb1EES1U_IbLb0EEEEDaS1Q_S1R_EUlS1Q_E_NS1_11comp_targetILNS1_3genE4ELNS1_11target_archE910ELNS1_3gpuE8ELNS1_3repE0EEENS1_30default_config_static_selectorELNS0_4arch9wavefront6targetE0EEEvS13_, .Lfunc_end1693-_ZN7rocprim17ROCPRIM_400000_NS6detail17trampoline_kernelINS0_13select_configILj256ELj13ELNS0_17block_load_methodE3ELS4_3ELS4_3ELNS0_20block_scan_algorithmE0ELj4294967295EEENS1_25partition_config_selectorILNS1_17partition_subalgoE4EjNS0_10empty_typeEbEEZZNS1_14partition_implILS8_4ELb0ES6_15HIP_vector_typeIjLj2EENS0_17counting_iteratorIjlEEPS9_SG_NS0_5tupleIJPjSI_NS0_16reverse_iteratorISI_EEEEENSH_IJSG_SG_SG_EEES9_SI_JZNS1_25segmented_radix_sort_implINS0_14default_configELb1EPK6__halfPSP_PKlPlN2at6native12_GLOBAL__N_18offset_tEEE10hipError_tPvRmT1_PNSt15iterator_traitsIS13_E10value_typeET2_T3_PNS14_IS19_E10value_typeET4_jRbjT5_S1F_jjP12ihipStream_tbEUljE_ZNSN_ISO_Lb1ESR_SS_SU_SV_SZ_EES10_S11_S12_S13_S17_S18_S19_S1C_S1D_jS1E_jS1F_S1F_jjS1H_bEUljE0_EEES10_S11_S12_S19_S1D_S1F_T6_T7_T9_mT8_S1H_bDpT10_ENKUlT_T0_E_clISt17integral_constantIbLb1EES1U_IbLb0EEEEDaS1Q_S1R_EUlS1Q_E_NS1_11comp_targetILNS1_3genE4ELNS1_11target_archE910ELNS1_3gpuE8ELNS1_3repE0EEENS1_30default_config_static_selectorELNS0_4arch9wavefront6targetE0EEEvS13_
                                        ; -- End function
	.set _ZN7rocprim17ROCPRIM_400000_NS6detail17trampoline_kernelINS0_13select_configILj256ELj13ELNS0_17block_load_methodE3ELS4_3ELS4_3ELNS0_20block_scan_algorithmE0ELj4294967295EEENS1_25partition_config_selectorILNS1_17partition_subalgoE4EjNS0_10empty_typeEbEEZZNS1_14partition_implILS8_4ELb0ES6_15HIP_vector_typeIjLj2EENS0_17counting_iteratorIjlEEPS9_SG_NS0_5tupleIJPjSI_NS0_16reverse_iteratorISI_EEEEENSH_IJSG_SG_SG_EEES9_SI_JZNS1_25segmented_radix_sort_implINS0_14default_configELb1EPK6__halfPSP_PKlPlN2at6native12_GLOBAL__N_18offset_tEEE10hipError_tPvRmT1_PNSt15iterator_traitsIS13_E10value_typeET2_T3_PNS14_IS19_E10value_typeET4_jRbjT5_S1F_jjP12ihipStream_tbEUljE_ZNSN_ISO_Lb1ESR_SS_SU_SV_SZ_EES10_S11_S12_S13_S17_S18_S19_S1C_S1D_jS1E_jS1F_S1F_jjS1H_bEUljE0_EEES10_S11_S12_S19_S1D_S1F_T6_T7_T9_mT8_S1H_bDpT10_ENKUlT_T0_E_clISt17integral_constantIbLb1EES1U_IbLb0EEEEDaS1Q_S1R_EUlS1Q_E_NS1_11comp_targetILNS1_3genE4ELNS1_11target_archE910ELNS1_3gpuE8ELNS1_3repE0EEENS1_30default_config_static_selectorELNS0_4arch9wavefront6targetE0EEEvS13_.num_vgpr, 0
	.set _ZN7rocprim17ROCPRIM_400000_NS6detail17trampoline_kernelINS0_13select_configILj256ELj13ELNS0_17block_load_methodE3ELS4_3ELS4_3ELNS0_20block_scan_algorithmE0ELj4294967295EEENS1_25partition_config_selectorILNS1_17partition_subalgoE4EjNS0_10empty_typeEbEEZZNS1_14partition_implILS8_4ELb0ES6_15HIP_vector_typeIjLj2EENS0_17counting_iteratorIjlEEPS9_SG_NS0_5tupleIJPjSI_NS0_16reverse_iteratorISI_EEEEENSH_IJSG_SG_SG_EEES9_SI_JZNS1_25segmented_radix_sort_implINS0_14default_configELb1EPK6__halfPSP_PKlPlN2at6native12_GLOBAL__N_18offset_tEEE10hipError_tPvRmT1_PNSt15iterator_traitsIS13_E10value_typeET2_T3_PNS14_IS19_E10value_typeET4_jRbjT5_S1F_jjP12ihipStream_tbEUljE_ZNSN_ISO_Lb1ESR_SS_SU_SV_SZ_EES10_S11_S12_S13_S17_S18_S19_S1C_S1D_jS1E_jS1F_S1F_jjS1H_bEUljE0_EEES10_S11_S12_S19_S1D_S1F_T6_T7_T9_mT8_S1H_bDpT10_ENKUlT_T0_E_clISt17integral_constantIbLb1EES1U_IbLb0EEEEDaS1Q_S1R_EUlS1Q_E_NS1_11comp_targetILNS1_3genE4ELNS1_11target_archE910ELNS1_3gpuE8ELNS1_3repE0EEENS1_30default_config_static_selectorELNS0_4arch9wavefront6targetE0EEEvS13_.num_agpr, 0
	.set _ZN7rocprim17ROCPRIM_400000_NS6detail17trampoline_kernelINS0_13select_configILj256ELj13ELNS0_17block_load_methodE3ELS4_3ELS4_3ELNS0_20block_scan_algorithmE0ELj4294967295EEENS1_25partition_config_selectorILNS1_17partition_subalgoE4EjNS0_10empty_typeEbEEZZNS1_14partition_implILS8_4ELb0ES6_15HIP_vector_typeIjLj2EENS0_17counting_iteratorIjlEEPS9_SG_NS0_5tupleIJPjSI_NS0_16reverse_iteratorISI_EEEEENSH_IJSG_SG_SG_EEES9_SI_JZNS1_25segmented_radix_sort_implINS0_14default_configELb1EPK6__halfPSP_PKlPlN2at6native12_GLOBAL__N_18offset_tEEE10hipError_tPvRmT1_PNSt15iterator_traitsIS13_E10value_typeET2_T3_PNS14_IS19_E10value_typeET4_jRbjT5_S1F_jjP12ihipStream_tbEUljE_ZNSN_ISO_Lb1ESR_SS_SU_SV_SZ_EES10_S11_S12_S13_S17_S18_S19_S1C_S1D_jS1E_jS1F_S1F_jjS1H_bEUljE0_EEES10_S11_S12_S19_S1D_S1F_T6_T7_T9_mT8_S1H_bDpT10_ENKUlT_T0_E_clISt17integral_constantIbLb1EES1U_IbLb0EEEEDaS1Q_S1R_EUlS1Q_E_NS1_11comp_targetILNS1_3genE4ELNS1_11target_archE910ELNS1_3gpuE8ELNS1_3repE0EEENS1_30default_config_static_selectorELNS0_4arch9wavefront6targetE0EEEvS13_.numbered_sgpr, 0
	.set _ZN7rocprim17ROCPRIM_400000_NS6detail17trampoline_kernelINS0_13select_configILj256ELj13ELNS0_17block_load_methodE3ELS4_3ELS4_3ELNS0_20block_scan_algorithmE0ELj4294967295EEENS1_25partition_config_selectorILNS1_17partition_subalgoE4EjNS0_10empty_typeEbEEZZNS1_14partition_implILS8_4ELb0ES6_15HIP_vector_typeIjLj2EENS0_17counting_iteratorIjlEEPS9_SG_NS0_5tupleIJPjSI_NS0_16reverse_iteratorISI_EEEEENSH_IJSG_SG_SG_EEES9_SI_JZNS1_25segmented_radix_sort_implINS0_14default_configELb1EPK6__halfPSP_PKlPlN2at6native12_GLOBAL__N_18offset_tEEE10hipError_tPvRmT1_PNSt15iterator_traitsIS13_E10value_typeET2_T3_PNS14_IS19_E10value_typeET4_jRbjT5_S1F_jjP12ihipStream_tbEUljE_ZNSN_ISO_Lb1ESR_SS_SU_SV_SZ_EES10_S11_S12_S13_S17_S18_S19_S1C_S1D_jS1E_jS1F_S1F_jjS1H_bEUljE0_EEES10_S11_S12_S19_S1D_S1F_T6_T7_T9_mT8_S1H_bDpT10_ENKUlT_T0_E_clISt17integral_constantIbLb1EES1U_IbLb0EEEEDaS1Q_S1R_EUlS1Q_E_NS1_11comp_targetILNS1_3genE4ELNS1_11target_archE910ELNS1_3gpuE8ELNS1_3repE0EEENS1_30default_config_static_selectorELNS0_4arch9wavefront6targetE0EEEvS13_.num_named_barrier, 0
	.set _ZN7rocprim17ROCPRIM_400000_NS6detail17trampoline_kernelINS0_13select_configILj256ELj13ELNS0_17block_load_methodE3ELS4_3ELS4_3ELNS0_20block_scan_algorithmE0ELj4294967295EEENS1_25partition_config_selectorILNS1_17partition_subalgoE4EjNS0_10empty_typeEbEEZZNS1_14partition_implILS8_4ELb0ES6_15HIP_vector_typeIjLj2EENS0_17counting_iteratorIjlEEPS9_SG_NS0_5tupleIJPjSI_NS0_16reverse_iteratorISI_EEEEENSH_IJSG_SG_SG_EEES9_SI_JZNS1_25segmented_radix_sort_implINS0_14default_configELb1EPK6__halfPSP_PKlPlN2at6native12_GLOBAL__N_18offset_tEEE10hipError_tPvRmT1_PNSt15iterator_traitsIS13_E10value_typeET2_T3_PNS14_IS19_E10value_typeET4_jRbjT5_S1F_jjP12ihipStream_tbEUljE_ZNSN_ISO_Lb1ESR_SS_SU_SV_SZ_EES10_S11_S12_S13_S17_S18_S19_S1C_S1D_jS1E_jS1F_S1F_jjS1H_bEUljE0_EEES10_S11_S12_S19_S1D_S1F_T6_T7_T9_mT8_S1H_bDpT10_ENKUlT_T0_E_clISt17integral_constantIbLb1EES1U_IbLb0EEEEDaS1Q_S1R_EUlS1Q_E_NS1_11comp_targetILNS1_3genE4ELNS1_11target_archE910ELNS1_3gpuE8ELNS1_3repE0EEENS1_30default_config_static_selectorELNS0_4arch9wavefront6targetE0EEEvS13_.private_seg_size, 0
	.set _ZN7rocprim17ROCPRIM_400000_NS6detail17trampoline_kernelINS0_13select_configILj256ELj13ELNS0_17block_load_methodE3ELS4_3ELS4_3ELNS0_20block_scan_algorithmE0ELj4294967295EEENS1_25partition_config_selectorILNS1_17partition_subalgoE4EjNS0_10empty_typeEbEEZZNS1_14partition_implILS8_4ELb0ES6_15HIP_vector_typeIjLj2EENS0_17counting_iteratorIjlEEPS9_SG_NS0_5tupleIJPjSI_NS0_16reverse_iteratorISI_EEEEENSH_IJSG_SG_SG_EEES9_SI_JZNS1_25segmented_radix_sort_implINS0_14default_configELb1EPK6__halfPSP_PKlPlN2at6native12_GLOBAL__N_18offset_tEEE10hipError_tPvRmT1_PNSt15iterator_traitsIS13_E10value_typeET2_T3_PNS14_IS19_E10value_typeET4_jRbjT5_S1F_jjP12ihipStream_tbEUljE_ZNSN_ISO_Lb1ESR_SS_SU_SV_SZ_EES10_S11_S12_S13_S17_S18_S19_S1C_S1D_jS1E_jS1F_S1F_jjS1H_bEUljE0_EEES10_S11_S12_S19_S1D_S1F_T6_T7_T9_mT8_S1H_bDpT10_ENKUlT_T0_E_clISt17integral_constantIbLb1EES1U_IbLb0EEEEDaS1Q_S1R_EUlS1Q_E_NS1_11comp_targetILNS1_3genE4ELNS1_11target_archE910ELNS1_3gpuE8ELNS1_3repE0EEENS1_30default_config_static_selectorELNS0_4arch9wavefront6targetE0EEEvS13_.uses_vcc, 0
	.set _ZN7rocprim17ROCPRIM_400000_NS6detail17trampoline_kernelINS0_13select_configILj256ELj13ELNS0_17block_load_methodE3ELS4_3ELS4_3ELNS0_20block_scan_algorithmE0ELj4294967295EEENS1_25partition_config_selectorILNS1_17partition_subalgoE4EjNS0_10empty_typeEbEEZZNS1_14partition_implILS8_4ELb0ES6_15HIP_vector_typeIjLj2EENS0_17counting_iteratorIjlEEPS9_SG_NS0_5tupleIJPjSI_NS0_16reverse_iteratorISI_EEEEENSH_IJSG_SG_SG_EEES9_SI_JZNS1_25segmented_radix_sort_implINS0_14default_configELb1EPK6__halfPSP_PKlPlN2at6native12_GLOBAL__N_18offset_tEEE10hipError_tPvRmT1_PNSt15iterator_traitsIS13_E10value_typeET2_T3_PNS14_IS19_E10value_typeET4_jRbjT5_S1F_jjP12ihipStream_tbEUljE_ZNSN_ISO_Lb1ESR_SS_SU_SV_SZ_EES10_S11_S12_S13_S17_S18_S19_S1C_S1D_jS1E_jS1F_S1F_jjS1H_bEUljE0_EEES10_S11_S12_S19_S1D_S1F_T6_T7_T9_mT8_S1H_bDpT10_ENKUlT_T0_E_clISt17integral_constantIbLb1EES1U_IbLb0EEEEDaS1Q_S1R_EUlS1Q_E_NS1_11comp_targetILNS1_3genE4ELNS1_11target_archE910ELNS1_3gpuE8ELNS1_3repE0EEENS1_30default_config_static_selectorELNS0_4arch9wavefront6targetE0EEEvS13_.uses_flat_scratch, 0
	.set _ZN7rocprim17ROCPRIM_400000_NS6detail17trampoline_kernelINS0_13select_configILj256ELj13ELNS0_17block_load_methodE3ELS4_3ELS4_3ELNS0_20block_scan_algorithmE0ELj4294967295EEENS1_25partition_config_selectorILNS1_17partition_subalgoE4EjNS0_10empty_typeEbEEZZNS1_14partition_implILS8_4ELb0ES6_15HIP_vector_typeIjLj2EENS0_17counting_iteratorIjlEEPS9_SG_NS0_5tupleIJPjSI_NS0_16reverse_iteratorISI_EEEEENSH_IJSG_SG_SG_EEES9_SI_JZNS1_25segmented_radix_sort_implINS0_14default_configELb1EPK6__halfPSP_PKlPlN2at6native12_GLOBAL__N_18offset_tEEE10hipError_tPvRmT1_PNSt15iterator_traitsIS13_E10value_typeET2_T3_PNS14_IS19_E10value_typeET4_jRbjT5_S1F_jjP12ihipStream_tbEUljE_ZNSN_ISO_Lb1ESR_SS_SU_SV_SZ_EES10_S11_S12_S13_S17_S18_S19_S1C_S1D_jS1E_jS1F_S1F_jjS1H_bEUljE0_EEES10_S11_S12_S19_S1D_S1F_T6_T7_T9_mT8_S1H_bDpT10_ENKUlT_T0_E_clISt17integral_constantIbLb1EES1U_IbLb0EEEEDaS1Q_S1R_EUlS1Q_E_NS1_11comp_targetILNS1_3genE4ELNS1_11target_archE910ELNS1_3gpuE8ELNS1_3repE0EEENS1_30default_config_static_selectorELNS0_4arch9wavefront6targetE0EEEvS13_.has_dyn_sized_stack, 0
	.set _ZN7rocprim17ROCPRIM_400000_NS6detail17trampoline_kernelINS0_13select_configILj256ELj13ELNS0_17block_load_methodE3ELS4_3ELS4_3ELNS0_20block_scan_algorithmE0ELj4294967295EEENS1_25partition_config_selectorILNS1_17partition_subalgoE4EjNS0_10empty_typeEbEEZZNS1_14partition_implILS8_4ELb0ES6_15HIP_vector_typeIjLj2EENS0_17counting_iteratorIjlEEPS9_SG_NS0_5tupleIJPjSI_NS0_16reverse_iteratorISI_EEEEENSH_IJSG_SG_SG_EEES9_SI_JZNS1_25segmented_radix_sort_implINS0_14default_configELb1EPK6__halfPSP_PKlPlN2at6native12_GLOBAL__N_18offset_tEEE10hipError_tPvRmT1_PNSt15iterator_traitsIS13_E10value_typeET2_T3_PNS14_IS19_E10value_typeET4_jRbjT5_S1F_jjP12ihipStream_tbEUljE_ZNSN_ISO_Lb1ESR_SS_SU_SV_SZ_EES10_S11_S12_S13_S17_S18_S19_S1C_S1D_jS1E_jS1F_S1F_jjS1H_bEUljE0_EEES10_S11_S12_S19_S1D_S1F_T6_T7_T9_mT8_S1H_bDpT10_ENKUlT_T0_E_clISt17integral_constantIbLb1EES1U_IbLb0EEEEDaS1Q_S1R_EUlS1Q_E_NS1_11comp_targetILNS1_3genE4ELNS1_11target_archE910ELNS1_3gpuE8ELNS1_3repE0EEENS1_30default_config_static_selectorELNS0_4arch9wavefront6targetE0EEEvS13_.has_recursion, 0
	.set _ZN7rocprim17ROCPRIM_400000_NS6detail17trampoline_kernelINS0_13select_configILj256ELj13ELNS0_17block_load_methodE3ELS4_3ELS4_3ELNS0_20block_scan_algorithmE0ELj4294967295EEENS1_25partition_config_selectorILNS1_17partition_subalgoE4EjNS0_10empty_typeEbEEZZNS1_14partition_implILS8_4ELb0ES6_15HIP_vector_typeIjLj2EENS0_17counting_iteratorIjlEEPS9_SG_NS0_5tupleIJPjSI_NS0_16reverse_iteratorISI_EEEEENSH_IJSG_SG_SG_EEES9_SI_JZNS1_25segmented_radix_sort_implINS0_14default_configELb1EPK6__halfPSP_PKlPlN2at6native12_GLOBAL__N_18offset_tEEE10hipError_tPvRmT1_PNSt15iterator_traitsIS13_E10value_typeET2_T3_PNS14_IS19_E10value_typeET4_jRbjT5_S1F_jjP12ihipStream_tbEUljE_ZNSN_ISO_Lb1ESR_SS_SU_SV_SZ_EES10_S11_S12_S13_S17_S18_S19_S1C_S1D_jS1E_jS1F_S1F_jjS1H_bEUljE0_EEES10_S11_S12_S19_S1D_S1F_T6_T7_T9_mT8_S1H_bDpT10_ENKUlT_T0_E_clISt17integral_constantIbLb1EES1U_IbLb0EEEEDaS1Q_S1R_EUlS1Q_E_NS1_11comp_targetILNS1_3genE4ELNS1_11target_archE910ELNS1_3gpuE8ELNS1_3repE0EEENS1_30default_config_static_selectorELNS0_4arch9wavefront6targetE0EEEvS13_.has_indirect_call, 0
	.section	.AMDGPU.csdata,"",@progbits
; Kernel info:
; codeLenInByte = 0
; TotalNumSgprs: 0
; NumVgprs: 0
; ScratchSize: 0
; MemoryBound: 0
; FloatMode: 240
; IeeeMode: 1
; LDSByteSize: 0 bytes/workgroup (compile time only)
; SGPRBlocks: 0
; VGPRBlocks: 0
; NumSGPRsForWavesPerEU: 1
; NumVGPRsForWavesPerEU: 1
; Occupancy: 16
; WaveLimiterHint : 0
; COMPUTE_PGM_RSRC2:SCRATCH_EN: 0
; COMPUTE_PGM_RSRC2:USER_SGPR: 2
; COMPUTE_PGM_RSRC2:TRAP_HANDLER: 0
; COMPUTE_PGM_RSRC2:TGID_X_EN: 1
; COMPUTE_PGM_RSRC2:TGID_Y_EN: 0
; COMPUTE_PGM_RSRC2:TGID_Z_EN: 0
; COMPUTE_PGM_RSRC2:TIDIG_COMP_CNT: 0
	.section	.text._ZN7rocprim17ROCPRIM_400000_NS6detail17trampoline_kernelINS0_13select_configILj256ELj13ELNS0_17block_load_methodE3ELS4_3ELS4_3ELNS0_20block_scan_algorithmE0ELj4294967295EEENS1_25partition_config_selectorILNS1_17partition_subalgoE4EjNS0_10empty_typeEbEEZZNS1_14partition_implILS8_4ELb0ES6_15HIP_vector_typeIjLj2EENS0_17counting_iteratorIjlEEPS9_SG_NS0_5tupleIJPjSI_NS0_16reverse_iteratorISI_EEEEENSH_IJSG_SG_SG_EEES9_SI_JZNS1_25segmented_radix_sort_implINS0_14default_configELb1EPK6__halfPSP_PKlPlN2at6native12_GLOBAL__N_18offset_tEEE10hipError_tPvRmT1_PNSt15iterator_traitsIS13_E10value_typeET2_T3_PNS14_IS19_E10value_typeET4_jRbjT5_S1F_jjP12ihipStream_tbEUljE_ZNSN_ISO_Lb1ESR_SS_SU_SV_SZ_EES10_S11_S12_S13_S17_S18_S19_S1C_S1D_jS1E_jS1F_S1F_jjS1H_bEUljE0_EEES10_S11_S12_S19_S1D_S1F_T6_T7_T9_mT8_S1H_bDpT10_ENKUlT_T0_E_clISt17integral_constantIbLb1EES1U_IbLb0EEEEDaS1Q_S1R_EUlS1Q_E_NS1_11comp_targetILNS1_3genE3ELNS1_11target_archE908ELNS1_3gpuE7ELNS1_3repE0EEENS1_30default_config_static_selectorELNS0_4arch9wavefront6targetE0EEEvS13_,"axG",@progbits,_ZN7rocprim17ROCPRIM_400000_NS6detail17trampoline_kernelINS0_13select_configILj256ELj13ELNS0_17block_load_methodE3ELS4_3ELS4_3ELNS0_20block_scan_algorithmE0ELj4294967295EEENS1_25partition_config_selectorILNS1_17partition_subalgoE4EjNS0_10empty_typeEbEEZZNS1_14partition_implILS8_4ELb0ES6_15HIP_vector_typeIjLj2EENS0_17counting_iteratorIjlEEPS9_SG_NS0_5tupleIJPjSI_NS0_16reverse_iteratorISI_EEEEENSH_IJSG_SG_SG_EEES9_SI_JZNS1_25segmented_radix_sort_implINS0_14default_configELb1EPK6__halfPSP_PKlPlN2at6native12_GLOBAL__N_18offset_tEEE10hipError_tPvRmT1_PNSt15iterator_traitsIS13_E10value_typeET2_T3_PNS14_IS19_E10value_typeET4_jRbjT5_S1F_jjP12ihipStream_tbEUljE_ZNSN_ISO_Lb1ESR_SS_SU_SV_SZ_EES10_S11_S12_S13_S17_S18_S19_S1C_S1D_jS1E_jS1F_S1F_jjS1H_bEUljE0_EEES10_S11_S12_S19_S1D_S1F_T6_T7_T9_mT8_S1H_bDpT10_ENKUlT_T0_E_clISt17integral_constantIbLb1EES1U_IbLb0EEEEDaS1Q_S1R_EUlS1Q_E_NS1_11comp_targetILNS1_3genE3ELNS1_11target_archE908ELNS1_3gpuE7ELNS1_3repE0EEENS1_30default_config_static_selectorELNS0_4arch9wavefront6targetE0EEEvS13_,comdat
	.globl	_ZN7rocprim17ROCPRIM_400000_NS6detail17trampoline_kernelINS0_13select_configILj256ELj13ELNS0_17block_load_methodE3ELS4_3ELS4_3ELNS0_20block_scan_algorithmE0ELj4294967295EEENS1_25partition_config_selectorILNS1_17partition_subalgoE4EjNS0_10empty_typeEbEEZZNS1_14partition_implILS8_4ELb0ES6_15HIP_vector_typeIjLj2EENS0_17counting_iteratorIjlEEPS9_SG_NS0_5tupleIJPjSI_NS0_16reverse_iteratorISI_EEEEENSH_IJSG_SG_SG_EEES9_SI_JZNS1_25segmented_radix_sort_implINS0_14default_configELb1EPK6__halfPSP_PKlPlN2at6native12_GLOBAL__N_18offset_tEEE10hipError_tPvRmT1_PNSt15iterator_traitsIS13_E10value_typeET2_T3_PNS14_IS19_E10value_typeET4_jRbjT5_S1F_jjP12ihipStream_tbEUljE_ZNSN_ISO_Lb1ESR_SS_SU_SV_SZ_EES10_S11_S12_S13_S17_S18_S19_S1C_S1D_jS1E_jS1F_S1F_jjS1H_bEUljE0_EEES10_S11_S12_S19_S1D_S1F_T6_T7_T9_mT8_S1H_bDpT10_ENKUlT_T0_E_clISt17integral_constantIbLb1EES1U_IbLb0EEEEDaS1Q_S1R_EUlS1Q_E_NS1_11comp_targetILNS1_3genE3ELNS1_11target_archE908ELNS1_3gpuE7ELNS1_3repE0EEENS1_30default_config_static_selectorELNS0_4arch9wavefront6targetE0EEEvS13_ ; -- Begin function _ZN7rocprim17ROCPRIM_400000_NS6detail17trampoline_kernelINS0_13select_configILj256ELj13ELNS0_17block_load_methodE3ELS4_3ELS4_3ELNS0_20block_scan_algorithmE0ELj4294967295EEENS1_25partition_config_selectorILNS1_17partition_subalgoE4EjNS0_10empty_typeEbEEZZNS1_14partition_implILS8_4ELb0ES6_15HIP_vector_typeIjLj2EENS0_17counting_iteratorIjlEEPS9_SG_NS0_5tupleIJPjSI_NS0_16reverse_iteratorISI_EEEEENSH_IJSG_SG_SG_EEES9_SI_JZNS1_25segmented_radix_sort_implINS0_14default_configELb1EPK6__halfPSP_PKlPlN2at6native12_GLOBAL__N_18offset_tEEE10hipError_tPvRmT1_PNSt15iterator_traitsIS13_E10value_typeET2_T3_PNS14_IS19_E10value_typeET4_jRbjT5_S1F_jjP12ihipStream_tbEUljE_ZNSN_ISO_Lb1ESR_SS_SU_SV_SZ_EES10_S11_S12_S13_S17_S18_S19_S1C_S1D_jS1E_jS1F_S1F_jjS1H_bEUljE0_EEES10_S11_S12_S19_S1D_S1F_T6_T7_T9_mT8_S1H_bDpT10_ENKUlT_T0_E_clISt17integral_constantIbLb1EES1U_IbLb0EEEEDaS1Q_S1R_EUlS1Q_E_NS1_11comp_targetILNS1_3genE3ELNS1_11target_archE908ELNS1_3gpuE7ELNS1_3repE0EEENS1_30default_config_static_selectorELNS0_4arch9wavefront6targetE0EEEvS13_
	.p2align	8
	.type	_ZN7rocprim17ROCPRIM_400000_NS6detail17trampoline_kernelINS0_13select_configILj256ELj13ELNS0_17block_load_methodE3ELS4_3ELS4_3ELNS0_20block_scan_algorithmE0ELj4294967295EEENS1_25partition_config_selectorILNS1_17partition_subalgoE4EjNS0_10empty_typeEbEEZZNS1_14partition_implILS8_4ELb0ES6_15HIP_vector_typeIjLj2EENS0_17counting_iteratorIjlEEPS9_SG_NS0_5tupleIJPjSI_NS0_16reverse_iteratorISI_EEEEENSH_IJSG_SG_SG_EEES9_SI_JZNS1_25segmented_radix_sort_implINS0_14default_configELb1EPK6__halfPSP_PKlPlN2at6native12_GLOBAL__N_18offset_tEEE10hipError_tPvRmT1_PNSt15iterator_traitsIS13_E10value_typeET2_T3_PNS14_IS19_E10value_typeET4_jRbjT5_S1F_jjP12ihipStream_tbEUljE_ZNSN_ISO_Lb1ESR_SS_SU_SV_SZ_EES10_S11_S12_S13_S17_S18_S19_S1C_S1D_jS1E_jS1F_S1F_jjS1H_bEUljE0_EEES10_S11_S12_S19_S1D_S1F_T6_T7_T9_mT8_S1H_bDpT10_ENKUlT_T0_E_clISt17integral_constantIbLb1EES1U_IbLb0EEEEDaS1Q_S1R_EUlS1Q_E_NS1_11comp_targetILNS1_3genE3ELNS1_11target_archE908ELNS1_3gpuE7ELNS1_3repE0EEENS1_30default_config_static_selectorELNS0_4arch9wavefront6targetE0EEEvS13_,@function
_ZN7rocprim17ROCPRIM_400000_NS6detail17trampoline_kernelINS0_13select_configILj256ELj13ELNS0_17block_load_methodE3ELS4_3ELS4_3ELNS0_20block_scan_algorithmE0ELj4294967295EEENS1_25partition_config_selectorILNS1_17partition_subalgoE4EjNS0_10empty_typeEbEEZZNS1_14partition_implILS8_4ELb0ES6_15HIP_vector_typeIjLj2EENS0_17counting_iteratorIjlEEPS9_SG_NS0_5tupleIJPjSI_NS0_16reverse_iteratorISI_EEEEENSH_IJSG_SG_SG_EEES9_SI_JZNS1_25segmented_radix_sort_implINS0_14default_configELb1EPK6__halfPSP_PKlPlN2at6native12_GLOBAL__N_18offset_tEEE10hipError_tPvRmT1_PNSt15iterator_traitsIS13_E10value_typeET2_T3_PNS14_IS19_E10value_typeET4_jRbjT5_S1F_jjP12ihipStream_tbEUljE_ZNSN_ISO_Lb1ESR_SS_SU_SV_SZ_EES10_S11_S12_S13_S17_S18_S19_S1C_S1D_jS1E_jS1F_S1F_jjS1H_bEUljE0_EEES10_S11_S12_S19_S1D_S1F_T6_T7_T9_mT8_S1H_bDpT10_ENKUlT_T0_E_clISt17integral_constantIbLb1EES1U_IbLb0EEEEDaS1Q_S1R_EUlS1Q_E_NS1_11comp_targetILNS1_3genE3ELNS1_11target_archE908ELNS1_3gpuE7ELNS1_3repE0EEENS1_30default_config_static_selectorELNS0_4arch9wavefront6targetE0EEEvS13_: ; @_ZN7rocprim17ROCPRIM_400000_NS6detail17trampoline_kernelINS0_13select_configILj256ELj13ELNS0_17block_load_methodE3ELS4_3ELS4_3ELNS0_20block_scan_algorithmE0ELj4294967295EEENS1_25partition_config_selectorILNS1_17partition_subalgoE4EjNS0_10empty_typeEbEEZZNS1_14partition_implILS8_4ELb0ES6_15HIP_vector_typeIjLj2EENS0_17counting_iteratorIjlEEPS9_SG_NS0_5tupleIJPjSI_NS0_16reverse_iteratorISI_EEEEENSH_IJSG_SG_SG_EEES9_SI_JZNS1_25segmented_radix_sort_implINS0_14default_configELb1EPK6__halfPSP_PKlPlN2at6native12_GLOBAL__N_18offset_tEEE10hipError_tPvRmT1_PNSt15iterator_traitsIS13_E10value_typeET2_T3_PNS14_IS19_E10value_typeET4_jRbjT5_S1F_jjP12ihipStream_tbEUljE_ZNSN_ISO_Lb1ESR_SS_SU_SV_SZ_EES10_S11_S12_S13_S17_S18_S19_S1C_S1D_jS1E_jS1F_S1F_jjS1H_bEUljE0_EEES10_S11_S12_S19_S1D_S1F_T6_T7_T9_mT8_S1H_bDpT10_ENKUlT_T0_E_clISt17integral_constantIbLb1EES1U_IbLb0EEEEDaS1Q_S1R_EUlS1Q_E_NS1_11comp_targetILNS1_3genE3ELNS1_11target_archE908ELNS1_3gpuE7ELNS1_3repE0EEENS1_30default_config_static_selectorELNS0_4arch9wavefront6targetE0EEEvS13_
; %bb.0:
	.section	.rodata,"a",@progbits
	.p2align	6, 0x0
	.amdhsa_kernel _ZN7rocprim17ROCPRIM_400000_NS6detail17trampoline_kernelINS0_13select_configILj256ELj13ELNS0_17block_load_methodE3ELS4_3ELS4_3ELNS0_20block_scan_algorithmE0ELj4294967295EEENS1_25partition_config_selectorILNS1_17partition_subalgoE4EjNS0_10empty_typeEbEEZZNS1_14partition_implILS8_4ELb0ES6_15HIP_vector_typeIjLj2EENS0_17counting_iteratorIjlEEPS9_SG_NS0_5tupleIJPjSI_NS0_16reverse_iteratorISI_EEEEENSH_IJSG_SG_SG_EEES9_SI_JZNS1_25segmented_radix_sort_implINS0_14default_configELb1EPK6__halfPSP_PKlPlN2at6native12_GLOBAL__N_18offset_tEEE10hipError_tPvRmT1_PNSt15iterator_traitsIS13_E10value_typeET2_T3_PNS14_IS19_E10value_typeET4_jRbjT5_S1F_jjP12ihipStream_tbEUljE_ZNSN_ISO_Lb1ESR_SS_SU_SV_SZ_EES10_S11_S12_S13_S17_S18_S19_S1C_S1D_jS1E_jS1F_S1F_jjS1H_bEUljE0_EEES10_S11_S12_S19_S1D_S1F_T6_T7_T9_mT8_S1H_bDpT10_ENKUlT_T0_E_clISt17integral_constantIbLb1EES1U_IbLb0EEEEDaS1Q_S1R_EUlS1Q_E_NS1_11comp_targetILNS1_3genE3ELNS1_11target_archE908ELNS1_3gpuE7ELNS1_3repE0EEENS1_30default_config_static_selectorELNS0_4arch9wavefront6targetE0EEEvS13_
		.amdhsa_group_segment_fixed_size 0
		.amdhsa_private_segment_fixed_size 0
		.amdhsa_kernarg_size 176
		.amdhsa_user_sgpr_count 2
		.amdhsa_user_sgpr_dispatch_ptr 0
		.amdhsa_user_sgpr_queue_ptr 0
		.amdhsa_user_sgpr_kernarg_segment_ptr 1
		.amdhsa_user_sgpr_dispatch_id 0
		.amdhsa_user_sgpr_private_segment_size 0
		.amdhsa_wavefront_size32 1
		.amdhsa_uses_dynamic_stack 0
		.amdhsa_enable_private_segment 0
		.amdhsa_system_sgpr_workgroup_id_x 1
		.amdhsa_system_sgpr_workgroup_id_y 0
		.amdhsa_system_sgpr_workgroup_id_z 0
		.amdhsa_system_sgpr_workgroup_info 0
		.amdhsa_system_vgpr_workitem_id 0
		.amdhsa_next_free_vgpr 1
		.amdhsa_next_free_sgpr 1
		.amdhsa_reserve_vcc 0
		.amdhsa_float_round_mode_32 0
		.amdhsa_float_round_mode_16_64 0
		.amdhsa_float_denorm_mode_32 3
		.amdhsa_float_denorm_mode_16_64 3
		.amdhsa_fp16_overflow 0
		.amdhsa_workgroup_processor_mode 1
		.amdhsa_memory_ordered 1
		.amdhsa_forward_progress 1
		.amdhsa_inst_pref_size 0
		.amdhsa_round_robin_scheduling 0
		.amdhsa_exception_fp_ieee_invalid_op 0
		.amdhsa_exception_fp_denorm_src 0
		.amdhsa_exception_fp_ieee_div_zero 0
		.amdhsa_exception_fp_ieee_overflow 0
		.amdhsa_exception_fp_ieee_underflow 0
		.amdhsa_exception_fp_ieee_inexact 0
		.amdhsa_exception_int_div_zero 0
	.end_amdhsa_kernel
	.section	.text._ZN7rocprim17ROCPRIM_400000_NS6detail17trampoline_kernelINS0_13select_configILj256ELj13ELNS0_17block_load_methodE3ELS4_3ELS4_3ELNS0_20block_scan_algorithmE0ELj4294967295EEENS1_25partition_config_selectorILNS1_17partition_subalgoE4EjNS0_10empty_typeEbEEZZNS1_14partition_implILS8_4ELb0ES6_15HIP_vector_typeIjLj2EENS0_17counting_iteratorIjlEEPS9_SG_NS0_5tupleIJPjSI_NS0_16reverse_iteratorISI_EEEEENSH_IJSG_SG_SG_EEES9_SI_JZNS1_25segmented_radix_sort_implINS0_14default_configELb1EPK6__halfPSP_PKlPlN2at6native12_GLOBAL__N_18offset_tEEE10hipError_tPvRmT1_PNSt15iterator_traitsIS13_E10value_typeET2_T3_PNS14_IS19_E10value_typeET4_jRbjT5_S1F_jjP12ihipStream_tbEUljE_ZNSN_ISO_Lb1ESR_SS_SU_SV_SZ_EES10_S11_S12_S13_S17_S18_S19_S1C_S1D_jS1E_jS1F_S1F_jjS1H_bEUljE0_EEES10_S11_S12_S19_S1D_S1F_T6_T7_T9_mT8_S1H_bDpT10_ENKUlT_T0_E_clISt17integral_constantIbLb1EES1U_IbLb0EEEEDaS1Q_S1R_EUlS1Q_E_NS1_11comp_targetILNS1_3genE3ELNS1_11target_archE908ELNS1_3gpuE7ELNS1_3repE0EEENS1_30default_config_static_selectorELNS0_4arch9wavefront6targetE0EEEvS13_,"axG",@progbits,_ZN7rocprim17ROCPRIM_400000_NS6detail17trampoline_kernelINS0_13select_configILj256ELj13ELNS0_17block_load_methodE3ELS4_3ELS4_3ELNS0_20block_scan_algorithmE0ELj4294967295EEENS1_25partition_config_selectorILNS1_17partition_subalgoE4EjNS0_10empty_typeEbEEZZNS1_14partition_implILS8_4ELb0ES6_15HIP_vector_typeIjLj2EENS0_17counting_iteratorIjlEEPS9_SG_NS0_5tupleIJPjSI_NS0_16reverse_iteratorISI_EEEEENSH_IJSG_SG_SG_EEES9_SI_JZNS1_25segmented_radix_sort_implINS0_14default_configELb1EPK6__halfPSP_PKlPlN2at6native12_GLOBAL__N_18offset_tEEE10hipError_tPvRmT1_PNSt15iterator_traitsIS13_E10value_typeET2_T3_PNS14_IS19_E10value_typeET4_jRbjT5_S1F_jjP12ihipStream_tbEUljE_ZNSN_ISO_Lb1ESR_SS_SU_SV_SZ_EES10_S11_S12_S13_S17_S18_S19_S1C_S1D_jS1E_jS1F_S1F_jjS1H_bEUljE0_EEES10_S11_S12_S19_S1D_S1F_T6_T7_T9_mT8_S1H_bDpT10_ENKUlT_T0_E_clISt17integral_constantIbLb1EES1U_IbLb0EEEEDaS1Q_S1R_EUlS1Q_E_NS1_11comp_targetILNS1_3genE3ELNS1_11target_archE908ELNS1_3gpuE7ELNS1_3repE0EEENS1_30default_config_static_selectorELNS0_4arch9wavefront6targetE0EEEvS13_,comdat
.Lfunc_end1694:
	.size	_ZN7rocprim17ROCPRIM_400000_NS6detail17trampoline_kernelINS0_13select_configILj256ELj13ELNS0_17block_load_methodE3ELS4_3ELS4_3ELNS0_20block_scan_algorithmE0ELj4294967295EEENS1_25partition_config_selectorILNS1_17partition_subalgoE4EjNS0_10empty_typeEbEEZZNS1_14partition_implILS8_4ELb0ES6_15HIP_vector_typeIjLj2EENS0_17counting_iteratorIjlEEPS9_SG_NS0_5tupleIJPjSI_NS0_16reverse_iteratorISI_EEEEENSH_IJSG_SG_SG_EEES9_SI_JZNS1_25segmented_radix_sort_implINS0_14default_configELb1EPK6__halfPSP_PKlPlN2at6native12_GLOBAL__N_18offset_tEEE10hipError_tPvRmT1_PNSt15iterator_traitsIS13_E10value_typeET2_T3_PNS14_IS19_E10value_typeET4_jRbjT5_S1F_jjP12ihipStream_tbEUljE_ZNSN_ISO_Lb1ESR_SS_SU_SV_SZ_EES10_S11_S12_S13_S17_S18_S19_S1C_S1D_jS1E_jS1F_S1F_jjS1H_bEUljE0_EEES10_S11_S12_S19_S1D_S1F_T6_T7_T9_mT8_S1H_bDpT10_ENKUlT_T0_E_clISt17integral_constantIbLb1EES1U_IbLb0EEEEDaS1Q_S1R_EUlS1Q_E_NS1_11comp_targetILNS1_3genE3ELNS1_11target_archE908ELNS1_3gpuE7ELNS1_3repE0EEENS1_30default_config_static_selectorELNS0_4arch9wavefront6targetE0EEEvS13_, .Lfunc_end1694-_ZN7rocprim17ROCPRIM_400000_NS6detail17trampoline_kernelINS0_13select_configILj256ELj13ELNS0_17block_load_methodE3ELS4_3ELS4_3ELNS0_20block_scan_algorithmE0ELj4294967295EEENS1_25partition_config_selectorILNS1_17partition_subalgoE4EjNS0_10empty_typeEbEEZZNS1_14partition_implILS8_4ELb0ES6_15HIP_vector_typeIjLj2EENS0_17counting_iteratorIjlEEPS9_SG_NS0_5tupleIJPjSI_NS0_16reverse_iteratorISI_EEEEENSH_IJSG_SG_SG_EEES9_SI_JZNS1_25segmented_radix_sort_implINS0_14default_configELb1EPK6__halfPSP_PKlPlN2at6native12_GLOBAL__N_18offset_tEEE10hipError_tPvRmT1_PNSt15iterator_traitsIS13_E10value_typeET2_T3_PNS14_IS19_E10value_typeET4_jRbjT5_S1F_jjP12ihipStream_tbEUljE_ZNSN_ISO_Lb1ESR_SS_SU_SV_SZ_EES10_S11_S12_S13_S17_S18_S19_S1C_S1D_jS1E_jS1F_S1F_jjS1H_bEUljE0_EEES10_S11_S12_S19_S1D_S1F_T6_T7_T9_mT8_S1H_bDpT10_ENKUlT_T0_E_clISt17integral_constantIbLb1EES1U_IbLb0EEEEDaS1Q_S1R_EUlS1Q_E_NS1_11comp_targetILNS1_3genE3ELNS1_11target_archE908ELNS1_3gpuE7ELNS1_3repE0EEENS1_30default_config_static_selectorELNS0_4arch9wavefront6targetE0EEEvS13_
                                        ; -- End function
	.set _ZN7rocprim17ROCPRIM_400000_NS6detail17trampoline_kernelINS0_13select_configILj256ELj13ELNS0_17block_load_methodE3ELS4_3ELS4_3ELNS0_20block_scan_algorithmE0ELj4294967295EEENS1_25partition_config_selectorILNS1_17partition_subalgoE4EjNS0_10empty_typeEbEEZZNS1_14partition_implILS8_4ELb0ES6_15HIP_vector_typeIjLj2EENS0_17counting_iteratorIjlEEPS9_SG_NS0_5tupleIJPjSI_NS0_16reverse_iteratorISI_EEEEENSH_IJSG_SG_SG_EEES9_SI_JZNS1_25segmented_radix_sort_implINS0_14default_configELb1EPK6__halfPSP_PKlPlN2at6native12_GLOBAL__N_18offset_tEEE10hipError_tPvRmT1_PNSt15iterator_traitsIS13_E10value_typeET2_T3_PNS14_IS19_E10value_typeET4_jRbjT5_S1F_jjP12ihipStream_tbEUljE_ZNSN_ISO_Lb1ESR_SS_SU_SV_SZ_EES10_S11_S12_S13_S17_S18_S19_S1C_S1D_jS1E_jS1F_S1F_jjS1H_bEUljE0_EEES10_S11_S12_S19_S1D_S1F_T6_T7_T9_mT8_S1H_bDpT10_ENKUlT_T0_E_clISt17integral_constantIbLb1EES1U_IbLb0EEEEDaS1Q_S1R_EUlS1Q_E_NS1_11comp_targetILNS1_3genE3ELNS1_11target_archE908ELNS1_3gpuE7ELNS1_3repE0EEENS1_30default_config_static_selectorELNS0_4arch9wavefront6targetE0EEEvS13_.num_vgpr, 0
	.set _ZN7rocprim17ROCPRIM_400000_NS6detail17trampoline_kernelINS0_13select_configILj256ELj13ELNS0_17block_load_methodE3ELS4_3ELS4_3ELNS0_20block_scan_algorithmE0ELj4294967295EEENS1_25partition_config_selectorILNS1_17partition_subalgoE4EjNS0_10empty_typeEbEEZZNS1_14partition_implILS8_4ELb0ES6_15HIP_vector_typeIjLj2EENS0_17counting_iteratorIjlEEPS9_SG_NS0_5tupleIJPjSI_NS0_16reverse_iteratorISI_EEEEENSH_IJSG_SG_SG_EEES9_SI_JZNS1_25segmented_radix_sort_implINS0_14default_configELb1EPK6__halfPSP_PKlPlN2at6native12_GLOBAL__N_18offset_tEEE10hipError_tPvRmT1_PNSt15iterator_traitsIS13_E10value_typeET2_T3_PNS14_IS19_E10value_typeET4_jRbjT5_S1F_jjP12ihipStream_tbEUljE_ZNSN_ISO_Lb1ESR_SS_SU_SV_SZ_EES10_S11_S12_S13_S17_S18_S19_S1C_S1D_jS1E_jS1F_S1F_jjS1H_bEUljE0_EEES10_S11_S12_S19_S1D_S1F_T6_T7_T9_mT8_S1H_bDpT10_ENKUlT_T0_E_clISt17integral_constantIbLb1EES1U_IbLb0EEEEDaS1Q_S1R_EUlS1Q_E_NS1_11comp_targetILNS1_3genE3ELNS1_11target_archE908ELNS1_3gpuE7ELNS1_3repE0EEENS1_30default_config_static_selectorELNS0_4arch9wavefront6targetE0EEEvS13_.num_agpr, 0
	.set _ZN7rocprim17ROCPRIM_400000_NS6detail17trampoline_kernelINS0_13select_configILj256ELj13ELNS0_17block_load_methodE3ELS4_3ELS4_3ELNS0_20block_scan_algorithmE0ELj4294967295EEENS1_25partition_config_selectorILNS1_17partition_subalgoE4EjNS0_10empty_typeEbEEZZNS1_14partition_implILS8_4ELb0ES6_15HIP_vector_typeIjLj2EENS0_17counting_iteratorIjlEEPS9_SG_NS0_5tupleIJPjSI_NS0_16reverse_iteratorISI_EEEEENSH_IJSG_SG_SG_EEES9_SI_JZNS1_25segmented_radix_sort_implINS0_14default_configELb1EPK6__halfPSP_PKlPlN2at6native12_GLOBAL__N_18offset_tEEE10hipError_tPvRmT1_PNSt15iterator_traitsIS13_E10value_typeET2_T3_PNS14_IS19_E10value_typeET4_jRbjT5_S1F_jjP12ihipStream_tbEUljE_ZNSN_ISO_Lb1ESR_SS_SU_SV_SZ_EES10_S11_S12_S13_S17_S18_S19_S1C_S1D_jS1E_jS1F_S1F_jjS1H_bEUljE0_EEES10_S11_S12_S19_S1D_S1F_T6_T7_T9_mT8_S1H_bDpT10_ENKUlT_T0_E_clISt17integral_constantIbLb1EES1U_IbLb0EEEEDaS1Q_S1R_EUlS1Q_E_NS1_11comp_targetILNS1_3genE3ELNS1_11target_archE908ELNS1_3gpuE7ELNS1_3repE0EEENS1_30default_config_static_selectorELNS0_4arch9wavefront6targetE0EEEvS13_.numbered_sgpr, 0
	.set _ZN7rocprim17ROCPRIM_400000_NS6detail17trampoline_kernelINS0_13select_configILj256ELj13ELNS0_17block_load_methodE3ELS4_3ELS4_3ELNS0_20block_scan_algorithmE0ELj4294967295EEENS1_25partition_config_selectorILNS1_17partition_subalgoE4EjNS0_10empty_typeEbEEZZNS1_14partition_implILS8_4ELb0ES6_15HIP_vector_typeIjLj2EENS0_17counting_iteratorIjlEEPS9_SG_NS0_5tupleIJPjSI_NS0_16reverse_iteratorISI_EEEEENSH_IJSG_SG_SG_EEES9_SI_JZNS1_25segmented_radix_sort_implINS0_14default_configELb1EPK6__halfPSP_PKlPlN2at6native12_GLOBAL__N_18offset_tEEE10hipError_tPvRmT1_PNSt15iterator_traitsIS13_E10value_typeET2_T3_PNS14_IS19_E10value_typeET4_jRbjT5_S1F_jjP12ihipStream_tbEUljE_ZNSN_ISO_Lb1ESR_SS_SU_SV_SZ_EES10_S11_S12_S13_S17_S18_S19_S1C_S1D_jS1E_jS1F_S1F_jjS1H_bEUljE0_EEES10_S11_S12_S19_S1D_S1F_T6_T7_T9_mT8_S1H_bDpT10_ENKUlT_T0_E_clISt17integral_constantIbLb1EES1U_IbLb0EEEEDaS1Q_S1R_EUlS1Q_E_NS1_11comp_targetILNS1_3genE3ELNS1_11target_archE908ELNS1_3gpuE7ELNS1_3repE0EEENS1_30default_config_static_selectorELNS0_4arch9wavefront6targetE0EEEvS13_.num_named_barrier, 0
	.set _ZN7rocprim17ROCPRIM_400000_NS6detail17trampoline_kernelINS0_13select_configILj256ELj13ELNS0_17block_load_methodE3ELS4_3ELS4_3ELNS0_20block_scan_algorithmE0ELj4294967295EEENS1_25partition_config_selectorILNS1_17partition_subalgoE4EjNS0_10empty_typeEbEEZZNS1_14partition_implILS8_4ELb0ES6_15HIP_vector_typeIjLj2EENS0_17counting_iteratorIjlEEPS9_SG_NS0_5tupleIJPjSI_NS0_16reverse_iteratorISI_EEEEENSH_IJSG_SG_SG_EEES9_SI_JZNS1_25segmented_radix_sort_implINS0_14default_configELb1EPK6__halfPSP_PKlPlN2at6native12_GLOBAL__N_18offset_tEEE10hipError_tPvRmT1_PNSt15iterator_traitsIS13_E10value_typeET2_T3_PNS14_IS19_E10value_typeET4_jRbjT5_S1F_jjP12ihipStream_tbEUljE_ZNSN_ISO_Lb1ESR_SS_SU_SV_SZ_EES10_S11_S12_S13_S17_S18_S19_S1C_S1D_jS1E_jS1F_S1F_jjS1H_bEUljE0_EEES10_S11_S12_S19_S1D_S1F_T6_T7_T9_mT8_S1H_bDpT10_ENKUlT_T0_E_clISt17integral_constantIbLb1EES1U_IbLb0EEEEDaS1Q_S1R_EUlS1Q_E_NS1_11comp_targetILNS1_3genE3ELNS1_11target_archE908ELNS1_3gpuE7ELNS1_3repE0EEENS1_30default_config_static_selectorELNS0_4arch9wavefront6targetE0EEEvS13_.private_seg_size, 0
	.set _ZN7rocprim17ROCPRIM_400000_NS6detail17trampoline_kernelINS0_13select_configILj256ELj13ELNS0_17block_load_methodE3ELS4_3ELS4_3ELNS0_20block_scan_algorithmE0ELj4294967295EEENS1_25partition_config_selectorILNS1_17partition_subalgoE4EjNS0_10empty_typeEbEEZZNS1_14partition_implILS8_4ELb0ES6_15HIP_vector_typeIjLj2EENS0_17counting_iteratorIjlEEPS9_SG_NS0_5tupleIJPjSI_NS0_16reverse_iteratorISI_EEEEENSH_IJSG_SG_SG_EEES9_SI_JZNS1_25segmented_radix_sort_implINS0_14default_configELb1EPK6__halfPSP_PKlPlN2at6native12_GLOBAL__N_18offset_tEEE10hipError_tPvRmT1_PNSt15iterator_traitsIS13_E10value_typeET2_T3_PNS14_IS19_E10value_typeET4_jRbjT5_S1F_jjP12ihipStream_tbEUljE_ZNSN_ISO_Lb1ESR_SS_SU_SV_SZ_EES10_S11_S12_S13_S17_S18_S19_S1C_S1D_jS1E_jS1F_S1F_jjS1H_bEUljE0_EEES10_S11_S12_S19_S1D_S1F_T6_T7_T9_mT8_S1H_bDpT10_ENKUlT_T0_E_clISt17integral_constantIbLb1EES1U_IbLb0EEEEDaS1Q_S1R_EUlS1Q_E_NS1_11comp_targetILNS1_3genE3ELNS1_11target_archE908ELNS1_3gpuE7ELNS1_3repE0EEENS1_30default_config_static_selectorELNS0_4arch9wavefront6targetE0EEEvS13_.uses_vcc, 0
	.set _ZN7rocprim17ROCPRIM_400000_NS6detail17trampoline_kernelINS0_13select_configILj256ELj13ELNS0_17block_load_methodE3ELS4_3ELS4_3ELNS0_20block_scan_algorithmE0ELj4294967295EEENS1_25partition_config_selectorILNS1_17partition_subalgoE4EjNS0_10empty_typeEbEEZZNS1_14partition_implILS8_4ELb0ES6_15HIP_vector_typeIjLj2EENS0_17counting_iteratorIjlEEPS9_SG_NS0_5tupleIJPjSI_NS0_16reverse_iteratorISI_EEEEENSH_IJSG_SG_SG_EEES9_SI_JZNS1_25segmented_radix_sort_implINS0_14default_configELb1EPK6__halfPSP_PKlPlN2at6native12_GLOBAL__N_18offset_tEEE10hipError_tPvRmT1_PNSt15iterator_traitsIS13_E10value_typeET2_T3_PNS14_IS19_E10value_typeET4_jRbjT5_S1F_jjP12ihipStream_tbEUljE_ZNSN_ISO_Lb1ESR_SS_SU_SV_SZ_EES10_S11_S12_S13_S17_S18_S19_S1C_S1D_jS1E_jS1F_S1F_jjS1H_bEUljE0_EEES10_S11_S12_S19_S1D_S1F_T6_T7_T9_mT8_S1H_bDpT10_ENKUlT_T0_E_clISt17integral_constantIbLb1EES1U_IbLb0EEEEDaS1Q_S1R_EUlS1Q_E_NS1_11comp_targetILNS1_3genE3ELNS1_11target_archE908ELNS1_3gpuE7ELNS1_3repE0EEENS1_30default_config_static_selectorELNS0_4arch9wavefront6targetE0EEEvS13_.uses_flat_scratch, 0
	.set _ZN7rocprim17ROCPRIM_400000_NS6detail17trampoline_kernelINS0_13select_configILj256ELj13ELNS0_17block_load_methodE3ELS4_3ELS4_3ELNS0_20block_scan_algorithmE0ELj4294967295EEENS1_25partition_config_selectorILNS1_17partition_subalgoE4EjNS0_10empty_typeEbEEZZNS1_14partition_implILS8_4ELb0ES6_15HIP_vector_typeIjLj2EENS0_17counting_iteratorIjlEEPS9_SG_NS0_5tupleIJPjSI_NS0_16reverse_iteratorISI_EEEEENSH_IJSG_SG_SG_EEES9_SI_JZNS1_25segmented_radix_sort_implINS0_14default_configELb1EPK6__halfPSP_PKlPlN2at6native12_GLOBAL__N_18offset_tEEE10hipError_tPvRmT1_PNSt15iterator_traitsIS13_E10value_typeET2_T3_PNS14_IS19_E10value_typeET4_jRbjT5_S1F_jjP12ihipStream_tbEUljE_ZNSN_ISO_Lb1ESR_SS_SU_SV_SZ_EES10_S11_S12_S13_S17_S18_S19_S1C_S1D_jS1E_jS1F_S1F_jjS1H_bEUljE0_EEES10_S11_S12_S19_S1D_S1F_T6_T7_T9_mT8_S1H_bDpT10_ENKUlT_T0_E_clISt17integral_constantIbLb1EES1U_IbLb0EEEEDaS1Q_S1R_EUlS1Q_E_NS1_11comp_targetILNS1_3genE3ELNS1_11target_archE908ELNS1_3gpuE7ELNS1_3repE0EEENS1_30default_config_static_selectorELNS0_4arch9wavefront6targetE0EEEvS13_.has_dyn_sized_stack, 0
	.set _ZN7rocprim17ROCPRIM_400000_NS6detail17trampoline_kernelINS0_13select_configILj256ELj13ELNS0_17block_load_methodE3ELS4_3ELS4_3ELNS0_20block_scan_algorithmE0ELj4294967295EEENS1_25partition_config_selectorILNS1_17partition_subalgoE4EjNS0_10empty_typeEbEEZZNS1_14partition_implILS8_4ELb0ES6_15HIP_vector_typeIjLj2EENS0_17counting_iteratorIjlEEPS9_SG_NS0_5tupleIJPjSI_NS0_16reverse_iteratorISI_EEEEENSH_IJSG_SG_SG_EEES9_SI_JZNS1_25segmented_radix_sort_implINS0_14default_configELb1EPK6__halfPSP_PKlPlN2at6native12_GLOBAL__N_18offset_tEEE10hipError_tPvRmT1_PNSt15iterator_traitsIS13_E10value_typeET2_T3_PNS14_IS19_E10value_typeET4_jRbjT5_S1F_jjP12ihipStream_tbEUljE_ZNSN_ISO_Lb1ESR_SS_SU_SV_SZ_EES10_S11_S12_S13_S17_S18_S19_S1C_S1D_jS1E_jS1F_S1F_jjS1H_bEUljE0_EEES10_S11_S12_S19_S1D_S1F_T6_T7_T9_mT8_S1H_bDpT10_ENKUlT_T0_E_clISt17integral_constantIbLb1EES1U_IbLb0EEEEDaS1Q_S1R_EUlS1Q_E_NS1_11comp_targetILNS1_3genE3ELNS1_11target_archE908ELNS1_3gpuE7ELNS1_3repE0EEENS1_30default_config_static_selectorELNS0_4arch9wavefront6targetE0EEEvS13_.has_recursion, 0
	.set _ZN7rocprim17ROCPRIM_400000_NS6detail17trampoline_kernelINS0_13select_configILj256ELj13ELNS0_17block_load_methodE3ELS4_3ELS4_3ELNS0_20block_scan_algorithmE0ELj4294967295EEENS1_25partition_config_selectorILNS1_17partition_subalgoE4EjNS0_10empty_typeEbEEZZNS1_14partition_implILS8_4ELb0ES6_15HIP_vector_typeIjLj2EENS0_17counting_iteratorIjlEEPS9_SG_NS0_5tupleIJPjSI_NS0_16reverse_iteratorISI_EEEEENSH_IJSG_SG_SG_EEES9_SI_JZNS1_25segmented_radix_sort_implINS0_14default_configELb1EPK6__halfPSP_PKlPlN2at6native12_GLOBAL__N_18offset_tEEE10hipError_tPvRmT1_PNSt15iterator_traitsIS13_E10value_typeET2_T3_PNS14_IS19_E10value_typeET4_jRbjT5_S1F_jjP12ihipStream_tbEUljE_ZNSN_ISO_Lb1ESR_SS_SU_SV_SZ_EES10_S11_S12_S13_S17_S18_S19_S1C_S1D_jS1E_jS1F_S1F_jjS1H_bEUljE0_EEES10_S11_S12_S19_S1D_S1F_T6_T7_T9_mT8_S1H_bDpT10_ENKUlT_T0_E_clISt17integral_constantIbLb1EES1U_IbLb0EEEEDaS1Q_S1R_EUlS1Q_E_NS1_11comp_targetILNS1_3genE3ELNS1_11target_archE908ELNS1_3gpuE7ELNS1_3repE0EEENS1_30default_config_static_selectorELNS0_4arch9wavefront6targetE0EEEvS13_.has_indirect_call, 0
	.section	.AMDGPU.csdata,"",@progbits
; Kernel info:
; codeLenInByte = 0
; TotalNumSgprs: 0
; NumVgprs: 0
; ScratchSize: 0
; MemoryBound: 0
; FloatMode: 240
; IeeeMode: 1
; LDSByteSize: 0 bytes/workgroup (compile time only)
; SGPRBlocks: 0
; VGPRBlocks: 0
; NumSGPRsForWavesPerEU: 1
; NumVGPRsForWavesPerEU: 1
; Occupancy: 16
; WaveLimiterHint : 0
; COMPUTE_PGM_RSRC2:SCRATCH_EN: 0
; COMPUTE_PGM_RSRC2:USER_SGPR: 2
; COMPUTE_PGM_RSRC2:TRAP_HANDLER: 0
; COMPUTE_PGM_RSRC2:TGID_X_EN: 1
; COMPUTE_PGM_RSRC2:TGID_Y_EN: 0
; COMPUTE_PGM_RSRC2:TGID_Z_EN: 0
; COMPUTE_PGM_RSRC2:TIDIG_COMP_CNT: 0
	.section	.text._ZN7rocprim17ROCPRIM_400000_NS6detail17trampoline_kernelINS0_13select_configILj256ELj13ELNS0_17block_load_methodE3ELS4_3ELS4_3ELNS0_20block_scan_algorithmE0ELj4294967295EEENS1_25partition_config_selectorILNS1_17partition_subalgoE4EjNS0_10empty_typeEbEEZZNS1_14partition_implILS8_4ELb0ES6_15HIP_vector_typeIjLj2EENS0_17counting_iteratorIjlEEPS9_SG_NS0_5tupleIJPjSI_NS0_16reverse_iteratorISI_EEEEENSH_IJSG_SG_SG_EEES9_SI_JZNS1_25segmented_radix_sort_implINS0_14default_configELb1EPK6__halfPSP_PKlPlN2at6native12_GLOBAL__N_18offset_tEEE10hipError_tPvRmT1_PNSt15iterator_traitsIS13_E10value_typeET2_T3_PNS14_IS19_E10value_typeET4_jRbjT5_S1F_jjP12ihipStream_tbEUljE_ZNSN_ISO_Lb1ESR_SS_SU_SV_SZ_EES10_S11_S12_S13_S17_S18_S19_S1C_S1D_jS1E_jS1F_S1F_jjS1H_bEUljE0_EEES10_S11_S12_S19_S1D_S1F_T6_T7_T9_mT8_S1H_bDpT10_ENKUlT_T0_E_clISt17integral_constantIbLb1EES1U_IbLb0EEEEDaS1Q_S1R_EUlS1Q_E_NS1_11comp_targetILNS1_3genE2ELNS1_11target_archE906ELNS1_3gpuE6ELNS1_3repE0EEENS1_30default_config_static_selectorELNS0_4arch9wavefront6targetE0EEEvS13_,"axG",@progbits,_ZN7rocprim17ROCPRIM_400000_NS6detail17trampoline_kernelINS0_13select_configILj256ELj13ELNS0_17block_load_methodE3ELS4_3ELS4_3ELNS0_20block_scan_algorithmE0ELj4294967295EEENS1_25partition_config_selectorILNS1_17partition_subalgoE4EjNS0_10empty_typeEbEEZZNS1_14partition_implILS8_4ELb0ES6_15HIP_vector_typeIjLj2EENS0_17counting_iteratorIjlEEPS9_SG_NS0_5tupleIJPjSI_NS0_16reverse_iteratorISI_EEEEENSH_IJSG_SG_SG_EEES9_SI_JZNS1_25segmented_radix_sort_implINS0_14default_configELb1EPK6__halfPSP_PKlPlN2at6native12_GLOBAL__N_18offset_tEEE10hipError_tPvRmT1_PNSt15iterator_traitsIS13_E10value_typeET2_T3_PNS14_IS19_E10value_typeET4_jRbjT5_S1F_jjP12ihipStream_tbEUljE_ZNSN_ISO_Lb1ESR_SS_SU_SV_SZ_EES10_S11_S12_S13_S17_S18_S19_S1C_S1D_jS1E_jS1F_S1F_jjS1H_bEUljE0_EEES10_S11_S12_S19_S1D_S1F_T6_T7_T9_mT8_S1H_bDpT10_ENKUlT_T0_E_clISt17integral_constantIbLb1EES1U_IbLb0EEEEDaS1Q_S1R_EUlS1Q_E_NS1_11comp_targetILNS1_3genE2ELNS1_11target_archE906ELNS1_3gpuE6ELNS1_3repE0EEENS1_30default_config_static_selectorELNS0_4arch9wavefront6targetE0EEEvS13_,comdat
	.globl	_ZN7rocprim17ROCPRIM_400000_NS6detail17trampoline_kernelINS0_13select_configILj256ELj13ELNS0_17block_load_methodE3ELS4_3ELS4_3ELNS0_20block_scan_algorithmE0ELj4294967295EEENS1_25partition_config_selectorILNS1_17partition_subalgoE4EjNS0_10empty_typeEbEEZZNS1_14partition_implILS8_4ELb0ES6_15HIP_vector_typeIjLj2EENS0_17counting_iteratorIjlEEPS9_SG_NS0_5tupleIJPjSI_NS0_16reverse_iteratorISI_EEEEENSH_IJSG_SG_SG_EEES9_SI_JZNS1_25segmented_radix_sort_implINS0_14default_configELb1EPK6__halfPSP_PKlPlN2at6native12_GLOBAL__N_18offset_tEEE10hipError_tPvRmT1_PNSt15iterator_traitsIS13_E10value_typeET2_T3_PNS14_IS19_E10value_typeET4_jRbjT5_S1F_jjP12ihipStream_tbEUljE_ZNSN_ISO_Lb1ESR_SS_SU_SV_SZ_EES10_S11_S12_S13_S17_S18_S19_S1C_S1D_jS1E_jS1F_S1F_jjS1H_bEUljE0_EEES10_S11_S12_S19_S1D_S1F_T6_T7_T9_mT8_S1H_bDpT10_ENKUlT_T0_E_clISt17integral_constantIbLb1EES1U_IbLb0EEEEDaS1Q_S1R_EUlS1Q_E_NS1_11comp_targetILNS1_3genE2ELNS1_11target_archE906ELNS1_3gpuE6ELNS1_3repE0EEENS1_30default_config_static_selectorELNS0_4arch9wavefront6targetE0EEEvS13_ ; -- Begin function _ZN7rocprim17ROCPRIM_400000_NS6detail17trampoline_kernelINS0_13select_configILj256ELj13ELNS0_17block_load_methodE3ELS4_3ELS4_3ELNS0_20block_scan_algorithmE0ELj4294967295EEENS1_25partition_config_selectorILNS1_17partition_subalgoE4EjNS0_10empty_typeEbEEZZNS1_14partition_implILS8_4ELb0ES6_15HIP_vector_typeIjLj2EENS0_17counting_iteratorIjlEEPS9_SG_NS0_5tupleIJPjSI_NS0_16reverse_iteratorISI_EEEEENSH_IJSG_SG_SG_EEES9_SI_JZNS1_25segmented_radix_sort_implINS0_14default_configELb1EPK6__halfPSP_PKlPlN2at6native12_GLOBAL__N_18offset_tEEE10hipError_tPvRmT1_PNSt15iterator_traitsIS13_E10value_typeET2_T3_PNS14_IS19_E10value_typeET4_jRbjT5_S1F_jjP12ihipStream_tbEUljE_ZNSN_ISO_Lb1ESR_SS_SU_SV_SZ_EES10_S11_S12_S13_S17_S18_S19_S1C_S1D_jS1E_jS1F_S1F_jjS1H_bEUljE0_EEES10_S11_S12_S19_S1D_S1F_T6_T7_T9_mT8_S1H_bDpT10_ENKUlT_T0_E_clISt17integral_constantIbLb1EES1U_IbLb0EEEEDaS1Q_S1R_EUlS1Q_E_NS1_11comp_targetILNS1_3genE2ELNS1_11target_archE906ELNS1_3gpuE6ELNS1_3repE0EEENS1_30default_config_static_selectorELNS0_4arch9wavefront6targetE0EEEvS13_
	.p2align	8
	.type	_ZN7rocprim17ROCPRIM_400000_NS6detail17trampoline_kernelINS0_13select_configILj256ELj13ELNS0_17block_load_methodE3ELS4_3ELS4_3ELNS0_20block_scan_algorithmE0ELj4294967295EEENS1_25partition_config_selectorILNS1_17partition_subalgoE4EjNS0_10empty_typeEbEEZZNS1_14partition_implILS8_4ELb0ES6_15HIP_vector_typeIjLj2EENS0_17counting_iteratorIjlEEPS9_SG_NS0_5tupleIJPjSI_NS0_16reverse_iteratorISI_EEEEENSH_IJSG_SG_SG_EEES9_SI_JZNS1_25segmented_radix_sort_implINS0_14default_configELb1EPK6__halfPSP_PKlPlN2at6native12_GLOBAL__N_18offset_tEEE10hipError_tPvRmT1_PNSt15iterator_traitsIS13_E10value_typeET2_T3_PNS14_IS19_E10value_typeET4_jRbjT5_S1F_jjP12ihipStream_tbEUljE_ZNSN_ISO_Lb1ESR_SS_SU_SV_SZ_EES10_S11_S12_S13_S17_S18_S19_S1C_S1D_jS1E_jS1F_S1F_jjS1H_bEUljE0_EEES10_S11_S12_S19_S1D_S1F_T6_T7_T9_mT8_S1H_bDpT10_ENKUlT_T0_E_clISt17integral_constantIbLb1EES1U_IbLb0EEEEDaS1Q_S1R_EUlS1Q_E_NS1_11comp_targetILNS1_3genE2ELNS1_11target_archE906ELNS1_3gpuE6ELNS1_3repE0EEENS1_30default_config_static_selectorELNS0_4arch9wavefront6targetE0EEEvS13_,@function
_ZN7rocprim17ROCPRIM_400000_NS6detail17trampoline_kernelINS0_13select_configILj256ELj13ELNS0_17block_load_methodE3ELS4_3ELS4_3ELNS0_20block_scan_algorithmE0ELj4294967295EEENS1_25partition_config_selectorILNS1_17partition_subalgoE4EjNS0_10empty_typeEbEEZZNS1_14partition_implILS8_4ELb0ES6_15HIP_vector_typeIjLj2EENS0_17counting_iteratorIjlEEPS9_SG_NS0_5tupleIJPjSI_NS0_16reverse_iteratorISI_EEEEENSH_IJSG_SG_SG_EEES9_SI_JZNS1_25segmented_radix_sort_implINS0_14default_configELb1EPK6__halfPSP_PKlPlN2at6native12_GLOBAL__N_18offset_tEEE10hipError_tPvRmT1_PNSt15iterator_traitsIS13_E10value_typeET2_T3_PNS14_IS19_E10value_typeET4_jRbjT5_S1F_jjP12ihipStream_tbEUljE_ZNSN_ISO_Lb1ESR_SS_SU_SV_SZ_EES10_S11_S12_S13_S17_S18_S19_S1C_S1D_jS1E_jS1F_S1F_jjS1H_bEUljE0_EEES10_S11_S12_S19_S1D_S1F_T6_T7_T9_mT8_S1H_bDpT10_ENKUlT_T0_E_clISt17integral_constantIbLb1EES1U_IbLb0EEEEDaS1Q_S1R_EUlS1Q_E_NS1_11comp_targetILNS1_3genE2ELNS1_11target_archE906ELNS1_3gpuE6ELNS1_3repE0EEENS1_30default_config_static_selectorELNS0_4arch9wavefront6targetE0EEEvS13_: ; @_ZN7rocprim17ROCPRIM_400000_NS6detail17trampoline_kernelINS0_13select_configILj256ELj13ELNS0_17block_load_methodE3ELS4_3ELS4_3ELNS0_20block_scan_algorithmE0ELj4294967295EEENS1_25partition_config_selectorILNS1_17partition_subalgoE4EjNS0_10empty_typeEbEEZZNS1_14partition_implILS8_4ELb0ES6_15HIP_vector_typeIjLj2EENS0_17counting_iteratorIjlEEPS9_SG_NS0_5tupleIJPjSI_NS0_16reverse_iteratorISI_EEEEENSH_IJSG_SG_SG_EEES9_SI_JZNS1_25segmented_radix_sort_implINS0_14default_configELb1EPK6__halfPSP_PKlPlN2at6native12_GLOBAL__N_18offset_tEEE10hipError_tPvRmT1_PNSt15iterator_traitsIS13_E10value_typeET2_T3_PNS14_IS19_E10value_typeET4_jRbjT5_S1F_jjP12ihipStream_tbEUljE_ZNSN_ISO_Lb1ESR_SS_SU_SV_SZ_EES10_S11_S12_S13_S17_S18_S19_S1C_S1D_jS1E_jS1F_S1F_jjS1H_bEUljE0_EEES10_S11_S12_S19_S1D_S1F_T6_T7_T9_mT8_S1H_bDpT10_ENKUlT_T0_E_clISt17integral_constantIbLb1EES1U_IbLb0EEEEDaS1Q_S1R_EUlS1Q_E_NS1_11comp_targetILNS1_3genE2ELNS1_11target_archE906ELNS1_3gpuE6ELNS1_3repE0EEENS1_30default_config_static_selectorELNS0_4arch9wavefront6targetE0EEEvS13_
; %bb.0:
	.section	.rodata,"a",@progbits
	.p2align	6, 0x0
	.amdhsa_kernel _ZN7rocprim17ROCPRIM_400000_NS6detail17trampoline_kernelINS0_13select_configILj256ELj13ELNS0_17block_load_methodE3ELS4_3ELS4_3ELNS0_20block_scan_algorithmE0ELj4294967295EEENS1_25partition_config_selectorILNS1_17partition_subalgoE4EjNS0_10empty_typeEbEEZZNS1_14partition_implILS8_4ELb0ES6_15HIP_vector_typeIjLj2EENS0_17counting_iteratorIjlEEPS9_SG_NS0_5tupleIJPjSI_NS0_16reverse_iteratorISI_EEEEENSH_IJSG_SG_SG_EEES9_SI_JZNS1_25segmented_radix_sort_implINS0_14default_configELb1EPK6__halfPSP_PKlPlN2at6native12_GLOBAL__N_18offset_tEEE10hipError_tPvRmT1_PNSt15iterator_traitsIS13_E10value_typeET2_T3_PNS14_IS19_E10value_typeET4_jRbjT5_S1F_jjP12ihipStream_tbEUljE_ZNSN_ISO_Lb1ESR_SS_SU_SV_SZ_EES10_S11_S12_S13_S17_S18_S19_S1C_S1D_jS1E_jS1F_S1F_jjS1H_bEUljE0_EEES10_S11_S12_S19_S1D_S1F_T6_T7_T9_mT8_S1H_bDpT10_ENKUlT_T0_E_clISt17integral_constantIbLb1EES1U_IbLb0EEEEDaS1Q_S1R_EUlS1Q_E_NS1_11comp_targetILNS1_3genE2ELNS1_11target_archE906ELNS1_3gpuE6ELNS1_3repE0EEENS1_30default_config_static_selectorELNS0_4arch9wavefront6targetE0EEEvS13_
		.amdhsa_group_segment_fixed_size 0
		.amdhsa_private_segment_fixed_size 0
		.amdhsa_kernarg_size 176
		.amdhsa_user_sgpr_count 2
		.amdhsa_user_sgpr_dispatch_ptr 0
		.amdhsa_user_sgpr_queue_ptr 0
		.amdhsa_user_sgpr_kernarg_segment_ptr 1
		.amdhsa_user_sgpr_dispatch_id 0
		.amdhsa_user_sgpr_private_segment_size 0
		.amdhsa_wavefront_size32 1
		.amdhsa_uses_dynamic_stack 0
		.amdhsa_enable_private_segment 0
		.amdhsa_system_sgpr_workgroup_id_x 1
		.amdhsa_system_sgpr_workgroup_id_y 0
		.amdhsa_system_sgpr_workgroup_id_z 0
		.amdhsa_system_sgpr_workgroup_info 0
		.amdhsa_system_vgpr_workitem_id 0
		.amdhsa_next_free_vgpr 1
		.amdhsa_next_free_sgpr 1
		.amdhsa_reserve_vcc 0
		.amdhsa_float_round_mode_32 0
		.amdhsa_float_round_mode_16_64 0
		.amdhsa_float_denorm_mode_32 3
		.amdhsa_float_denorm_mode_16_64 3
		.amdhsa_fp16_overflow 0
		.amdhsa_workgroup_processor_mode 1
		.amdhsa_memory_ordered 1
		.amdhsa_forward_progress 1
		.amdhsa_inst_pref_size 0
		.amdhsa_round_robin_scheduling 0
		.amdhsa_exception_fp_ieee_invalid_op 0
		.amdhsa_exception_fp_denorm_src 0
		.amdhsa_exception_fp_ieee_div_zero 0
		.amdhsa_exception_fp_ieee_overflow 0
		.amdhsa_exception_fp_ieee_underflow 0
		.amdhsa_exception_fp_ieee_inexact 0
		.amdhsa_exception_int_div_zero 0
	.end_amdhsa_kernel
	.section	.text._ZN7rocprim17ROCPRIM_400000_NS6detail17trampoline_kernelINS0_13select_configILj256ELj13ELNS0_17block_load_methodE3ELS4_3ELS4_3ELNS0_20block_scan_algorithmE0ELj4294967295EEENS1_25partition_config_selectorILNS1_17partition_subalgoE4EjNS0_10empty_typeEbEEZZNS1_14partition_implILS8_4ELb0ES6_15HIP_vector_typeIjLj2EENS0_17counting_iteratorIjlEEPS9_SG_NS0_5tupleIJPjSI_NS0_16reverse_iteratorISI_EEEEENSH_IJSG_SG_SG_EEES9_SI_JZNS1_25segmented_radix_sort_implINS0_14default_configELb1EPK6__halfPSP_PKlPlN2at6native12_GLOBAL__N_18offset_tEEE10hipError_tPvRmT1_PNSt15iterator_traitsIS13_E10value_typeET2_T3_PNS14_IS19_E10value_typeET4_jRbjT5_S1F_jjP12ihipStream_tbEUljE_ZNSN_ISO_Lb1ESR_SS_SU_SV_SZ_EES10_S11_S12_S13_S17_S18_S19_S1C_S1D_jS1E_jS1F_S1F_jjS1H_bEUljE0_EEES10_S11_S12_S19_S1D_S1F_T6_T7_T9_mT8_S1H_bDpT10_ENKUlT_T0_E_clISt17integral_constantIbLb1EES1U_IbLb0EEEEDaS1Q_S1R_EUlS1Q_E_NS1_11comp_targetILNS1_3genE2ELNS1_11target_archE906ELNS1_3gpuE6ELNS1_3repE0EEENS1_30default_config_static_selectorELNS0_4arch9wavefront6targetE0EEEvS13_,"axG",@progbits,_ZN7rocprim17ROCPRIM_400000_NS6detail17trampoline_kernelINS0_13select_configILj256ELj13ELNS0_17block_load_methodE3ELS4_3ELS4_3ELNS0_20block_scan_algorithmE0ELj4294967295EEENS1_25partition_config_selectorILNS1_17partition_subalgoE4EjNS0_10empty_typeEbEEZZNS1_14partition_implILS8_4ELb0ES6_15HIP_vector_typeIjLj2EENS0_17counting_iteratorIjlEEPS9_SG_NS0_5tupleIJPjSI_NS0_16reverse_iteratorISI_EEEEENSH_IJSG_SG_SG_EEES9_SI_JZNS1_25segmented_radix_sort_implINS0_14default_configELb1EPK6__halfPSP_PKlPlN2at6native12_GLOBAL__N_18offset_tEEE10hipError_tPvRmT1_PNSt15iterator_traitsIS13_E10value_typeET2_T3_PNS14_IS19_E10value_typeET4_jRbjT5_S1F_jjP12ihipStream_tbEUljE_ZNSN_ISO_Lb1ESR_SS_SU_SV_SZ_EES10_S11_S12_S13_S17_S18_S19_S1C_S1D_jS1E_jS1F_S1F_jjS1H_bEUljE0_EEES10_S11_S12_S19_S1D_S1F_T6_T7_T9_mT8_S1H_bDpT10_ENKUlT_T0_E_clISt17integral_constantIbLb1EES1U_IbLb0EEEEDaS1Q_S1R_EUlS1Q_E_NS1_11comp_targetILNS1_3genE2ELNS1_11target_archE906ELNS1_3gpuE6ELNS1_3repE0EEENS1_30default_config_static_selectorELNS0_4arch9wavefront6targetE0EEEvS13_,comdat
.Lfunc_end1695:
	.size	_ZN7rocprim17ROCPRIM_400000_NS6detail17trampoline_kernelINS0_13select_configILj256ELj13ELNS0_17block_load_methodE3ELS4_3ELS4_3ELNS0_20block_scan_algorithmE0ELj4294967295EEENS1_25partition_config_selectorILNS1_17partition_subalgoE4EjNS0_10empty_typeEbEEZZNS1_14partition_implILS8_4ELb0ES6_15HIP_vector_typeIjLj2EENS0_17counting_iteratorIjlEEPS9_SG_NS0_5tupleIJPjSI_NS0_16reverse_iteratorISI_EEEEENSH_IJSG_SG_SG_EEES9_SI_JZNS1_25segmented_radix_sort_implINS0_14default_configELb1EPK6__halfPSP_PKlPlN2at6native12_GLOBAL__N_18offset_tEEE10hipError_tPvRmT1_PNSt15iterator_traitsIS13_E10value_typeET2_T3_PNS14_IS19_E10value_typeET4_jRbjT5_S1F_jjP12ihipStream_tbEUljE_ZNSN_ISO_Lb1ESR_SS_SU_SV_SZ_EES10_S11_S12_S13_S17_S18_S19_S1C_S1D_jS1E_jS1F_S1F_jjS1H_bEUljE0_EEES10_S11_S12_S19_S1D_S1F_T6_T7_T9_mT8_S1H_bDpT10_ENKUlT_T0_E_clISt17integral_constantIbLb1EES1U_IbLb0EEEEDaS1Q_S1R_EUlS1Q_E_NS1_11comp_targetILNS1_3genE2ELNS1_11target_archE906ELNS1_3gpuE6ELNS1_3repE0EEENS1_30default_config_static_selectorELNS0_4arch9wavefront6targetE0EEEvS13_, .Lfunc_end1695-_ZN7rocprim17ROCPRIM_400000_NS6detail17trampoline_kernelINS0_13select_configILj256ELj13ELNS0_17block_load_methodE3ELS4_3ELS4_3ELNS0_20block_scan_algorithmE0ELj4294967295EEENS1_25partition_config_selectorILNS1_17partition_subalgoE4EjNS0_10empty_typeEbEEZZNS1_14partition_implILS8_4ELb0ES6_15HIP_vector_typeIjLj2EENS0_17counting_iteratorIjlEEPS9_SG_NS0_5tupleIJPjSI_NS0_16reverse_iteratorISI_EEEEENSH_IJSG_SG_SG_EEES9_SI_JZNS1_25segmented_radix_sort_implINS0_14default_configELb1EPK6__halfPSP_PKlPlN2at6native12_GLOBAL__N_18offset_tEEE10hipError_tPvRmT1_PNSt15iterator_traitsIS13_E10value_typeET2_T3_PNS14_IS19_E10value_typeET4_jRbjT5_S1F_jjP12ihipStream_tbEUljE_ZNSN_ISO_Lb1ESR_SS_SU_SV_SZ_EES10_S11_S12_S13_S17_S18_S19_S1C_S1D_jS1E_jS1F_S1F_jjS1H_bEUljE0_EEES10_S11_S12_S19_S1D_S1F_T6_T7_T9_mT8_S1H_bDpT10_ENKUlT_T0_E_clISt17integral_constantIbLb1EES1U_IbLb0EEEEDaS1Q_S1R_EUlS1Q_E_NS1_11comp_targetILNS1_3genE2ELNS1_11target_archE906ELNS1_3gpuE6ELNS1_3repE0EEENS1_30default_config_static_selectorELNS0_4arch9wavefront6targetE0EEEvS13_
                                        ; -- End function
	.set _ZN7rocprim17ROCPRIM_400000_NS6detail17trampoline_kernelINS0_13select_configILj256ELj13ELNS0_17block_load_methodE3ELS4_3ELS4_3ELNS0_20block_scan_algorithmE0ELj4294967295EEENS1_25partition_config_selectorILNS1_17partition_subalgoE4EjNS0_10empty_typeEbEEZZNS1_14partition_implILS8_4ELb0ES6_15HIP_vector_typeIjLj2EENS0_17counting_iteratorIjlEEPS9_SG_NS0_5tupleIJPjSI_NS0_16reverse_iteratorISI_EEEEENSH_IJSG_SG_SG_EEES9_SI_JZNS1_25segmented_radix_sort_implINS0_14default_configELb1EPK6__halfPSP_PKlPlN2at6native12_GLOBAL__N_18offset_tEEE10hipError_tPvRmT1_PNSt15iterator_traitsIS13_E10value_typeET2_T3_PNS14_IS19_E10value_typeET4_jRbjT5_S1F_jjP12ihipStream_tbEUljE_ZNSN_ISO_Lb1ESR_SS_SU_SV_SZ_EES10_S11_S12_S13_S17_S18_S19_S1C_S1D_jS1E_jS1F_S1F_jjS1H_bEUljE0_EEES10_S11_S12_S19_S1D_S1F_T6_T7_T9_mT8_S1H_bDpT10_ENKUlT_T0_E_clISt17integral_constantIbLb1EES1U_IbLb0EEEEDaS1Q_S1R_EUlS1Q_E_NS1_11comp_targetILNS1_3genE2ELNS1_11target_archE906ELNS1_3gpuE6ELNS1_3repE0EEENS1_30default_config_static_selectorELNS0_4arch9wavefront6targetE0EEEvS13_.num_vgpr, 0
	.set _ZN7rocprim17ROCPRIM_400000_NS6detail17trampoline_kernelINS0_13select_configILj256ELj13ELNS0_17block_load_methodE3ELS4_3ELS4_3ELNS0_20block_scan_algorithmE0ELj4294967295EEENS1_25partition_config_selectorILNS1_17partition_subalgoE4EjNS0_10empty_typeEbEEZZNS1_14partition_implILS8_4ELb0ES6_15HIP_vector_typeIjLj2EENS0_17counting_iteratorIjlEEPS9_SG_NS0_5tupleIJPjSI_NS0_16reverse_iteratorISI_EEEEENSH_IJSG_SG_SG_EEES9_SI_JZNS1_25segmented_radix_sort_implINS0_14default_configELb1EPK6__halfPSP_PKlPlN2at6native12_GLOBAL__N_18offset_tEEE10hipError_tPvRmT1_PNSt15iterator_traitsIS13_E10value_typeET2_T3_PNS14_IS19_E10value_typeET4_jRbjT5_S1F_jjP12ihipStream_tbEUljE_ZNSN_ISO_Lb1ESR_SS_SU_SV_SZ_EES10_S11_S12_S13_S17_S18_S19_S1C_S1D_jS1E_jS1F_S1F_jjS1H_bEUljE0_EEES10_S11_S12_S19_S1D_S1F_T6_T7_T9_mT8_S1H_bDpT10_ENKUlT_T0_E_clISt17integral_constantIbLb1EES1U_IbLb0EEEEDaS1Q_S1R_EUlS1Q_E_NS1_11comp_targetILNS1_3genE2ELNS1_11target_archE906ELNS1_3gpuE6ELNS1_3repE0EEENS1_30default_config_static_selectorELNS0_4arch9wavefront6targetE0EEEvS13_.num_agpr, 0
	.set _ZN7rocprim17ROCPRIM_400000_NS6detail17trampoline_kernelINS0_13select_configILj256ELj13ELNS0_17block_load_methodE3ELS4_3ELS4_3ELNS0_20block_scan_algorithmE0ELj4294967295EEENS1_25partition_config_selectorILNS1_17partition_subalgoE4EjNS0_10empty_typeEbEEZZNS1_14partition_implILS8_4ELb0ES6_15HIP_vector_typeIjLj2EENS0_17counting_iteratorIjlEEPS9_SG_NS0_5tupleIJPjSI_NS0_16reverse_iteratorISI_EEEEENSH_IJSG_SG_SG_EEES9_SI_JZNS1_25segmented_radix_sort_implINS0_14default_configELb1EPK6__halfPSP_PKlPlN2at6native12_GLOBAL__N_18offset_tEEE10hipError_tPvRmT1_PNSt15iterator_traitsIS13_E10value_typeET2_T3_PNS14_IS19_E10value_typeET4_jRbjT5_S1F_jjP12ihipStream_tbEUljE_ZNSN_ISO_Lb1ESR_SS_SU_SV_SZ_EES10_S11_S12_S13_S17_S18_S19_S1C_S1D_jS1E_jS1F_S1F_jjS1H_bEUljE0_EEES10_S11_S12_S19_S1D_S1F_T6_T7_T9_mT8_S1H_bDpT10_ENKUlT_T0_E_clISt17integral_constantIbLb1EES1U_IbLb0EEEEDaS1Q_S1R_EUlS1Q_E_NS1_11comp_targetILNS1_3genE2ELNS1_11target_archE906ELNS1_3gpuE6ELNS1_3repE0EEENS1_30default_config_static_selectorELNS0_4arch9wavefront6targetE0EEEvS13_.numbered_sgpr, 0
	.set _ZN7rocprim17ROCPRIM_400000_NS6detail17trampoline_kernelINS0_13select_configILj256ELj13ELNS0_17block_load_methodE3ELS4_3ELS4_3ELNS0_20block_scan_algorithmE0ELj4294967295EEENS1_25partition_config_selectorILNS1_17partition_subalgoE4EjNS0_10empty_typeEbEEZZNS1_14partition_implILS8_4ELb0ES6_15HIP_vector_typeIjLj2EENS0_17counting_iteratorIjlEEPS9_SG_NS0_5tupleIJPjSI_NS0_16reverse_iteratorISI_EEEEENSH_IJSG_SG_SG_EEES9_SI_JZNS1_25segmented_radix_sort_implINS0_14default_configELb1EPK6__halfPSP_PKlPlN2at6native12_GLOBAL__N_18offset_tEEE10hipError_tPvRmT1_PNSt15iterator_traitsIS13_E10value_typeET2_T3_PNS14_IS19_E10value_typeET4_jRbjT5_S1F_jjP12ihipStream_tbEUljE_ZNSN_ISO_Lb1ESR_SS_SU_SV_SZ_EES10_S11_S12_S13_S17_S18_S19_S1C_S1D_jS1E_jS1F_S1F_jjS1H_bEUljE0_EEES10_S11_S12_S19_S1D_S1F_T6_T7_T9_mT8_S1H_bDpT10_ENKUlT_T0_E_clISt17integral_constantIbLb1EES1U_IbLb0EEEEDaS1Q_S1R_EUlS1Q_E_NS1_11comp_targetILNS1_3genE2ELNS1_11target_archE906ELNS1_3gpuE6ELNS1_3repE0EEENS1_30default_config_static_selectorELNS0_4arch9wavefront6targetE0EEEvS13_.num_named_barrier, 0
	.set _ZN7rocprim17ROCPRIM_400000_NS6detail17trampoline_kernelINS0_13select_configILj256ELj13ELNS0_17block_load_methodE3ELS4_3ELS4_3ELNS0_20block_scan_algorithmE0ELj4294967295EEENS1_25partition_config_selectorILNS1_17partition_subalgoE4EjNS0_10empty_typeEbEEZZNS1_14partition_implILS8_4ELb0ES6_15HIP_vector_typeIjLj2EENS0_17counting_iteratorIjlEEPS9_SG_NS0_5tupleIJPjSI_NS0_16reverse_iteratorISI_EEEEENSH_IJSG_SG_SG_EEES9_SI_JZNS1_25segmented_radix_sort_implINS0_14default_configELb1EPK6__halfPSP_PKlPlN2at6native12_GLOBAL__N_18offset_tEEE10hipError_tPvRmT1_PNSt15iterator_traitsIS13_E10value_typeET2_T3_PNS14_IS19_E10value_typeET4_jRbjT5_S1F_jjP12ihipStream_tbEUljE_ZNSN_ISO_Lb1ESR_SS_SU_SV_SZ_EES10_S11_S12_S13_S17_S18_S19_S1C_S1D_jS1E_jS1F_S1F_jjS1H_bEUljE0_EEES10_S11_S12_S19_S1D_S1F_T6_T7_T9_mT8_S1H_bDpT10_ENKUlT_T0_E_clISt17integral_constantIbLb1EES1U_IbLb0EEEEDaS1Q_S1R_EUlS1Q_E_NS1_11comp_targetILNS1_3genE2ELNS1_11target_archE906ELNS1_3gpuE6ELNS1_3repE0EEENS1_30default_config_static_selectorELNS0_4arch9wavefront6targetE0EEEvS13_.private_seg_size, 0
	.set _ZN7rocprim17ROCPRIM_400000_NS6detail17trampoline_kernelINS0_13select_configILj256ELj13ELNS0_17block_load_methodE3ELS4_3ELS4_3ELNS0_20block_scan_algorithmE0ELj4294967295EEENS1_25partition_config_selectorILNS1_17partition_subalgoE4EjNS0_10empty_typeEbEEZZNS1_14partition_implILS8_4ELb0ES6_15HIP_vector_typeIjLj2EENS0_17counting_iteratorIjlEEPS9_SG_NS0_5tupleIJPjSI_NS0_16reverse_iteratorISI_EEEEENSH_IJSG_SG_SG_EEES9_SI_JZNS1_25segmented_radix_sort_implINS0_14default_configELb1EPK6__halfPSP_PKlPlN2at6native12_GLOBAL__N_18offset_tEEE10hipError_tPvRmT1_PNSt15iterator_traitsIS13_E10value_typeET2_T3_PNS14_IS19_E10value_typeET4_jRbjT5_S1F_jjP12ihipStream_tbEUljE_ZNSN_ISO_Lb1ESR_SS_SU_SV_SZ_EES10_S11_S12_S13_S17_S18_S19_S1C_S1D_jS1E_jS1F_S1F_jjS1H_bEUljE0_EEES10_S11_S12_S19_S1D_S1F_T6_T7_T9_mT8_S1H_bDpT10_ENKUlT_T0_E_clISt17integral_constantIbLb1EES1U_IbLb0EEEEDaS1Q_S1R_EUlS1Q_E_NS1_11comp_targetILNS1_3genE2ELNS1_11target_archE906ELNS1_3gpuE6ELNS1_3repE0EEENS1_30default_config_static_selectorELNS0_4arch9wavefront6targetE0EEEvS13_.uses_vcc, 0
	.set _ZN7rocprim17ROCPRIM_400000_NS6detail17trampoline_kernelINS0_13select_configILj256ELj13ELNS0_17block_load_methodE3ELS4_3ELS4_3ELNS0_20block_scan_algorithmE0ELj4294967295EEENS1_25partition_config_selectorILNS1_17partition_subalgoE4EjNS0_10empty_typeEbEEZZNS1_14partition_implILS8_4ELb0ES6_15HIP_vector_typeIjLj2EENS0_17counting_iteratorIjlEEPS9_SG_NS0_5tupleIJPjSI_NS0_16reverse_iteratorISI_EEEEENSH_IJSG_SG_SG_EEES9_SI_JZNS1_25segmented_radix_sort_implINS0_14default_configELb1EPK6__halfPSP_PKlPlN2at6native12_GLOBAL__N_18offset_tEEE10hipError_tPvRmT1_PNSt15iterator_traitsIS13_E10value_typeET2_T3_PNS14_IS19_E10value_typeET4_jRbjT5_S1F_jjP12ihipStream_tbEUljE_ZNSN_ISO_Lb1ESR_SS_SU_SV_SZ_EES10_S11_S12_S13_S17_S18_S19_S1C_S1D_jS1E_jS1F_S1F_jjS1H_bEUljE0_EEES10_S11_S12_S19_S1D_S1F_T6_T7_T9_mT8_S1H_bDpT10_ENKUlT_T0_E_clISt17integral_constantIbLb1EES1U_IbLb0EEEEDaS1Q_S1R_EUlS1Q_E_NS1_11comp_targetILNS1_3genE2ELNS1_11target_archE906ELNS1_3gpuE6ELNS1_3repE0EEENS1_30default_config_static_selectorELNS0_4arch9wavefront6targetE0EEEvS13_.uses_flat_scratch, 0
	.set _ZN7rocprim17ROCPRIM_400000_NS6detail17trampoline_kernelINS0_13select_configILj256ELj13ELNS0_17block_load_methodE3ELS4_3ELS4_3ELNS0_20block_scan_algorithmE0ELj4294967295EEENS1_25partition_config_selectorILNS1_17partition_subalgoE4EjNS0_10empty_typeEbEEZZNS1_14partition_implILS8_4ELb0ES6_15HIP_vector_typeIjLj2EENS0_17counting_iteratorIjlEEPS9_SG_NS0_5tupleIJPjSI_NS0_16reverse_iteratorISI_EEEEENSH_IJSG_SG_SG_EEES9_SI_JZNS1_25segmented_radix_sort_implINS0_14default_configELb1EPK6__halfPSP_PKlPlN2at6native12_GLOBAL__N_18offset_tEEE10hipError_tPvRmT1_PNSt15iterator_traitsIS13_E10value_typeET2_T3_PNS14_IS19_E10value_typeET4_jRbjT5_S1F_jjP12ihipStream_tbEUljE_ZNSN_ISO_Lb1ESR_SS_SU_SV_SZ_EES10_S11_S12_S13_S17_S18_S19_S1C_S1D_jS1E_jS1F_S1F_jjS1H_bEUljE0_EEES10_S11_S12_S19_S1D_S1F_T6_T7_T9_mT8_S1H_bDpT10_ENKUlT_T0_E_clISt17integral_constantIbLb1EES1U_IbLb0EEEEDaS1Q_S1R_EUlS1Q_E_NS1_11comp_targetILNS1_3genE2ELNS1_11target_archE906ELNS1_3gpuE6ELNS1_3repE0EEENS1_30default_config_static_selectorELNS0_4arch9wavefront6targetE0EEEvS13_.has_dyn_sized_stack, 0
	.set _ZN7rocprim17ROCPRIM_400000_NS6detail17trampoline_kernelINS0_13select_configILj256ELj13ELNS0_17block_load_methodE3ELS4_3ELS4_3ELNS0_20block_scan_algorithmE0ELj4294967295EEENS1_25partition_config_selectorILNS1_17partition_subalgoE4EjNS0_10empty_typeEbEEZZNS1_14partition_implILS8_4ELb0ES6_15HIP_vector_typeIjLj2EENS0_17counting_iteratorIjlEEPS9_SG_NS0_5tupleIJPjSI_NS0_16reverse_iteratorISI_EEEEENSH_IJSG_SG_SG_EEES9_SI_JZNS1_25segmented_radix_sort_implINS0_14default_configELb1EPK6__halfPSP_PKlPlN2at6native12_GLOBAL__N_18offset_tEEE10hipError_tPvRmT1_PNSt15iterator_traitsIS13_E10value_typeET2_T3_PNS14_IS19_E10value_typeET4_jRbjT5_S1F_jjP12ihipStream_tbEUljE_ZNSN_ISO_Lb1ESR_SS_SU_SV_SZ_EES10_S11_S12_S13_S17_S18_S19_S1C_S1D_jS1E_jS1F_S1F_jjS1H_bEUljE0_EEES10_S11_S12_S19_S1D_S1F_T6_T7_T9_mT8_S1H_bDpT10_ENKUlT_T0_E_clISt17integral_constantIbLb1EES1U_IbLb0EEEEDaS1Q_S1R_EUlS1Q_E_NS1_11comp_targetILNS1_3genE2ELNS1_11target_archE906ELNS1_3gpuE6ELNS1_3repE0EEENS1_30default_config_static_selectorELNS0_4arch9wavefront6targetE0EEEvS13_.has_recursion, 0
	.set _ZN7rocprim17ROCPRIM_400000_NS6detail17trampoline_kernelINS0_13select_configILj256ELj13ELNS0_17block_load_methodE3ELS4_3ELS4_3ELNS0_20block_scan_algorithmE0ELj4294967295EEENS1_25partition_config_selectorILNS1_17partition_subalgoE4EjNS0_10empty_typeEbEEZZNS1_14partition_implILS8_4ELb0ES6_15HIP_vector_typeIjLj2EENS0_17counting_iteratorIjlEEPS9_SG_NS0_5tupleIJPjSI_NS0_16reverse_iteratorISI_EEEEENSH_IJSG_SG_SG_EEES9_SI_JZNS1_25segmented_radix_sort_implINS0_14default_configELb1EPK6__halfPSP_PKlPlN2at6native12_GLOBAL__N_18offset_tEEE10hipError_tPvRmT1_PNSt15iterator_traitsIS13_E10value_typeET2_T3_PNS14_IS19_E10value_typeET4_jRbjT5_S1F_jjP12ihipStream_tbEUljE_ZNSN_ISO_Lb1ESR_SS_SU_SV_SZ_EES10_S11_S12_S13_S17_S18_S19_S1C_S1D_jS1E_jS1F_S1F_jjS1H_bEUljE0_EEES10_S11_S12_S19_S1D_S1F_T6_T7_T9_mT8_S1H_bDpT10_ENKUlT_T0_E_clISt17integral_constantIbLb1EES1U_IbLb0EEEEDaS1Q_S1R_EUlS1Q_E_NS1_11comp_targetILNS1_3genE2ELNS1_11target_archE906ELNS1_3gpuE6ELNS1_3repE0EEENS1_30default_config_static_selectorELNS0_4arch9wavefront6targetE0EEEvS13_.has_indirect_call, 0
	.section	.AMDGPU.csdata,"",@progbits
; Kernel info:
; codeLenInByte = 0
; TotalNumSgprs: 0
; NumVgprs: 0
; ScratchSize: 0
; MemoryBound: 0
; FloatMode: 240
; IeeeMode: 1
; LDSByteSize: 0 bytes/workgroup (compile time only)
; SGPRBlocks: 0
; VGPRBlocks: 0
; NumSGPRsForWavesPerEU: 1
; NumVGPRsForWavesPerEU: 1
; Occupancy: 16
; WaveLimiterHint : 0
; COMPUTE_PGM_RSRC2:SCRATCH_EN: 0
; COMPUTE_PGM_RSRC2:USER_SGPR: 2
; COMPUTE_PGM_RSRC2:TRAP_HANDLER: 0
; COMPUTE_PGM_RSRC2:TGID_X_EN: 1
; COMPUTE_PGM_RSRC2:TGID_Y_EN: 0
; COMPUTE_PGM_RSRC2:TGID_Z_EN: 0
; COMPUTE_PGM_RSRC2:TIDIG_COMP_CNT: 0
	.section	.text._ZN7rocprim17ROCPRIM_400000_NS6detail17trampoline_kernelINS0_13select_configILj256ELj13ELNS0_17block_load_methodE3ELS4_3ELS4_3ELNS0_20block_scan_algorithmE0ELj4294967295EEENS1_25partition_config_selectorILNS1_17partition_subalgoE4EjNS0_10empty_typeEbEEZZNS1_14partition_implILS8_4ELb0ES6_15HIP_vector_typeIjLj2EENS0_17counting_iteratorIjlEEPS9_SG_NS0_5tupleIJPjSI_NS0_16reverse_iteratorISI_EEEEENSH_IJSG_SG_SG_EEES9_SI_JZNS1_25segmented_radix_sort_implINS0_14default_configELb1EPK6__halfPSP_PKlPlN2at6native12_GLOBAL__N_18offset_tEEE10hipError_tPvRmT1_PNSt15iterator_traitsIS13_E10value_typeET2_T3_PNS14_IS19_E10value_typeET4_jRbjT5_S1F_jjP12ihipStream_tbEUljE_ZNSN_ISO_Lb1ESR_SS_SU_SV_SZ_EES10_S11_S12_S13_S17_S18_S19_S1C_S1D_jS1E_jS1F_S1F_jjS1H_bEUljE0_EEES10_S11_S12_S19_S1D_S1F_T6_T7_T9_mT8_S1H_bDpT10_ENKUlT_T0_E_clISt17integral_constantIbLb1EES1U_IbLb0EEEEDaS1Q_S1R_EUlS1Q_E_NS1_11comp_targetILNS1_3genE10ELNS1_11target_archE1200ELNS1_3gpuE4ELNS1_3repE0EEENS1_30default_config_static_selectorELNS0_4arch9wavefront6targetE0EEEvS13_,"axG",@progbits,_ZN7rocprim17ROCPRIM_400000_NS6detail17trampoline_kernelINS0_13select_configILj256ELj13ELNS0_17block_load_methodE3ELS4_3ELS4_3ELNS0_20block_scan_algorithmE0ELj4294967295EEENS1_25partition_config_selectorILNS1_17partition_subalgoE4EjNS0_10empty_typeEbEEZZNS1_14partition_implILS8_4ELb0ES6_15HIP_vector_typeIjLj2EENS0_17counting_iteratorIjlEEPS9_SG_NS0_5tupleIJPjSI_NS0_16reverse_iteratorISI_EEEEENSH_IJSG_SG_SG_EEES9_SI_JZNS1_25segmented_radix_sort_implINS0_14default_configELb1EPK6__halfPSP_PKlPlN2at6native12_GLOBAL__N_18offset_tEEE10hipError_tPvRmT1_PNSt15iterator_traitsIS13_E10value_typeET2_T3_PNS14_IS19_E10value_typeET4_jRbjT5_S1F_jjP12ihipStream_tbEUljE_ZNSN_ISO_Lb1ESR_SS_SU_SV_SZ_EES10_S11_S12_S13_S17_S18_S19_S1C_S1D_jS1E_jS1F_S1F_jjS1H_bEUljE0_EEES10_S11_S12_S19_S1D_S1F_T6_T7_T9_mT8_S1H_bDpT10_ENKUlT_T0_E_clISt17integral_constantIbLb1EES1U_IbLb0EEEEDaS1Q_S1R_EUlS1Q_E_NS1_11comp_targetILNS1_3genE10ELNS1_11target_archE1200ELNS1_3gpuE4ELNS1_3repE0EEENS1_30default_config_static_selectorELNS0_4arch9wavefront6targetE0EEEvS13_,comdat
	.globl	_ZN7rocprim17ROCPRIM_400000_NS6detail17trampoline_kernelINS0_13select_configILj256ELj13ELNS0_17block_load_methodE3ELS4_3ELS4_3ELNS0_20block_scan_algorithmE0ELj4294967295EEENS1_25partition_config_selectorILNS1_17partition_subalgoE4EjNS0_10empty_typeEbEEZZNS1_14partition_implILS8_4ELb0ES6_15HIP_vector_typeIjLj2EENS0_17counting_iteratorIjlEEPS9_SG_NS0_5tupleIJPjSI_NS0_16reverse_iteratorISI_EEEEENSH_IJSG_SG_SG_EEES9_SI_JZNS1_25segmented_radix_sort_implINS0_14default_configELb1EPK6__halfPSP_PKlPlN2at6native12_GLOBAL__N_18offset_tEEE10hipError_tPvRmT1_PNSt15iterator_traitsIS13_E10value_typeET2_T3_PNS14_IS19_E10value_typeET4_jRbjT5_S1F_jjP12ihipStream_tbEUljE_ZNSN_ISO_Lb1ESR_SS_SU_SV_SZ_EES10_S11_S12_S13_S17_S18_S19_S1C_S1D_jS1E_jS1F_S1F_jjS1H_bEUljE0_EEES10_S11_S12_S19_S1D_S1F_T6_T7_T9_mT8_S1H_bDpT10_ENKUlT_T0_E_clISt17integral_constantIbLb1EES1U_IbLb0EEEEDaS1Q_S1R_EUlS1Q_E_NS1_11comp_targetILNS1_3genE10ELNS1_11target_archE1200ELNS1_3gpuE4ELNS1_3repE0EEENS1_30default_config_static_selectorELNS0_4arch9wavefront6targetE0EEEvS13_ ; -- Begin function _ZN7rocprim17ROCPRIM_400000_NS6detail17trampoline_kernelINS0_13select_configILj256ELj13ELNS0_17block_load_methodE3ELS4_3ELS4_3ELNS0_20block_scan_algorithmE0ELj4294967295EEENS1_25partition_config_selectorILNS1_17partition_subalgoE4EjNS0_10empty_typeEbEEZZNS1_14partition_implILS8_4ELb0ES6_15HIP_vector_typeIjLj2EENS0_17counting_iteratorIjlEEPS9_SG_NS0_5tupleIJPjSI_NS0_16reverse_iteratorISI_EEEEENSH_IJSG_SG_SG_EEES9_SI_JZNS1_25segmented_radix_sort_implINS0_14default_configELb1EPK6__halfPSP_PKlPlN2at6native12_GLOBAL__N_18offset_tEEE10hipError_tPvRmT1_PNSt15iterator_traitsIS13_E10value_typeET2_T3_PNS14_IS19_E10value_typeET4_jRbjT5_S1F_jjP12ihipStream_tbEUljE_ZNSN_ISO_Lb1ESR_SS_SU_SV_SZ_EES10_S11_S12_S13_S17_S18_S19_S1C_S1D_jS1E_jS1F_S1F_jjS1H_bEUljE0_EEES10_S11_S12_S19_S1D_S1F_T6_T7_T9_mT8_S1H_bDpT10_ENKUlT_T0_E_clISt17integral_constantIbLb1EES1U_IbLb0EEEEDaS1Q_S1R_EUlS1Q_E_NS1_11comp_targetILNS1_3genE10ELNS1_11target_archE1200ELNS1_3gpuE4ELNS1_3repE0EEENS1_30default_config_static_selectorELNS0_4arch9wavefront6targetE0EEEvS13_
	.p2align	8
	.type	_ZN7rocprim17ROCPRIM_400000_NS6detail17trampoline_kernelINS0_13select_configILj256ELj13ELNS0_17block_load_methodE3ELS4_3ELS4_3ELNS0_20block_scan_algorithmE0ELj4294967295EEENS1_25partition_config_selectorILNS1_17partition_subalgoE4EjNS0_10empty_typeEbEEZZNS1_14partition_implILS8_4ELb0ES6_15HIP_vector_typeIjLj2EENS0_17counting_iteratorIjlEEPS9_SG_NS0_5tupleIJPjSI_NS0_16reverse_iteratorISI_EEEEENSH_IJSG_SG_SG_EEES9_SI_JZNS1_25segmented_radix_sort_implINS0_14default_configELb1EPK6__halfPSP_PKlPlN2at6native12_GLOBAL__N_18offset_tEEE10hipError_tPvRmT1_PNSt15iterator_traitsIS13_E10value_typeET2_T3_PNS14_IS19_E10value_typeET4_jRbjT5_S1F_jjP12ihipStream_tbEUljE_ZNSN_ISO_Lb1ESR_SS_SU_SV_SZ_EES10_S11_S12_S13_S17_S18_S19_S1C_S1D_jS1E_jS1F_S1F_jjS1H_bEUljE0_EEES10_S11_S12_S19_S1D_S1F_T6_T7_T9_mT8_S1H_bDpT10_ENKUlT_T0_E_clISt17integral_constantIbLb1EES1U_IbLb0EEEEDaS1Q_S1R_EUlS1Q_E_NS1_11comp_targetILNS1_3genE10ELNS1_11target_archE1200ELNS1_3gpuE4ELNS1_3repE0EEENS1_30default_config_static_selectorELNS0_4arch9wavefront6targetE0EEEvS13_,@function
_ZN7rocprim17ROCPRIM_400000_NS6detail17trampoline_kernelINS0_13select_configILj256ELj13ELNS0_17block_load_methodE3ELS4_3ELS4_3ELNS0_20block_scan_algorithmE0ELj4294967295EEENS1_25partition_config_selectorILNS1_17partition_subalgoE4EjNS0_10empty_typeEbEEZZNS1_14partition_implILS8_4ELb0ES6_15HIP_vector_typeIjLj2EENS0_17counting_iteratorIjlEEPS9_SG_NS0_5tupleIJPjSI_NS0_16reverse_iteratorISI_EEEEENSH_IJSG_SG_SG_EEES9_SI_JZNS1_25segmented_radix_sort_implINS0_14default_configELb1EPK6__halfPSP_PKlPlN2at6native12_GLOBAL__N_18offset_tEEE10hipError_tPvRmT1_PNSt15iterator_traitsIS13_E10value_typeET2_T3_PNS14_IS19_E10value_typeET4_jRbjT5_S1F_jjP12ihipStream_tbEUljE_ZNSN_ISO_Lb1ESR_SS_SU_SV_SZ_EES10_S11_S12_S13_S17_S18_S19_S1C_S1D_jS1E_jS1F_S1F_jjS1H_bEUljE0_EEES10_S11_S12_S19_S1D_S1F_T6_T7_T9_mT8_S1H_bDpT10_ENKUlT_T0_E_clISt17integral_constantIbLb1EES1U_IbLb0EEEEDaS1Q_S1R_EUlS1Q_E_NS1_11comp_targetILNS1_3genE10ELNS1_11target_archE1200ELNS1_3gpuE4ELNS1_3repE0EEENS1_30default_config_static_selectorELNS0_4arch9wavefront6targetE0EEEvS13_: ; @_ZN7rocprim17ROCPRIM_400000_NS6detail17trampoline_kernelINS0_13select_configILj256ELj13ELNS0_17block_load_methodE3ELS4_3ELS4_3ELNS0_20block_scan_algorithmE0ELj4294967295EEENS1_25partition_config_selectorILNS1_17partition_subalgoE4EjNS0_10empty_typeEbEEZZNS1_14partition_implILS8_4ELb0ES6_15HIP_vector_typeIjLj2EENS0_17counting_iteratorIjlEEPS9_SG_NS0_5tupleIJPjSI_NS0_16reverse_iteratorISI_EEEEENSH_IJSG_SG_SG_EEES9_SI_JZNS1_25segmented_radix_sort_implINS0_14default_configELb1EPK6__halfPSP_PKlPlN2at6native12_GLOBAL__N_18offset_tEEE10hipError_tPvRmT1_PNSt15iterator_traitsIS13_E10value_typeET2_T3_PNS14_IS19_E10value_typeET4_jRbjT5_S1F_jjP12ihipStream_tbEUljE_ZNSN_ISO_Lb1ESR_SS_SU_SV_SZ_EES10_S11_S12_S13_S17_S18_S19_S1C_S1D_jS1E_jS1F_S1F_jjS1H_bEUljE0_EEES10_S11_S12_S19_S1D_S1F_T6_T7_T9_mT8_S1H_bDpT10_ENKUlT_T0_E_clISt17integral_constantIbLb1EES1U_IbLb0EEEEDaS1Q_S1R_EUlS1Q_E_NS1_11comp_targetILNS1_3genE10ELNS1_11target_archE1200ELNS1_3gpuE4ELNS1_3repE0EEENS1_30default_config_static_selectorELNS0_4arch9wavefront6targetE0EEEvS13_
; %bb.0:
	s_endpgm
	.section	.rodata,"a",@progbits
	.p2align	6, 0x0
	.amdhsa_kernel _ZN7rocprim17ROCPRIM_400000_NS6detail17trampoline_kernelINS0_13select_configILj256ELj13ELNS0_17block_load_methodE3ELS4_3ELS4_3ELNS0_20block_scan_algorithmE0ELj4294967295EEENS1_25partition_config_selectorILNS1_17partition_subalgoE4EjNS0_10empty_typeEbEEZZNS1_14partition_implILS8_4ELb0ES6_15HIP_vector_typeIjLj2EENS0_17counting_iteratorIjlEEPS9_SG_NS0_5tupleIJPjSI_NS0_16reverse_iteratorISI_EEEEENSH_IJSG_SG_SG_EEES9_SI_JZNS1_25segmented_radix_sort_implINS0_14default_configELb1EPK6__halfPSP_PKlPlN2at6native12_GLOBAL__N_18offset_tEEE10hipError_tPvRmT1_PNSt15iterator_traitsIS13_E10value_typeET2_T3_PNS14_IS19_E10value_typeET4_jRbjT5_S1F_jjP12ihipStream_tbEUljE_ZNSN_ISO_Lb1ESR_SS_SU_SV_SZ_EES10_S11_S12_S13_S17_S18_S19_S1C_S1D_jS1E_jS1F_S1F_jjS1H_bEUljE0_EEES10_S11_S12_S19_S1D_S1F_T6_T7_T9_mT8_S1H_bDpT10_ENKUlT_T0_E_clISt17integral_constantIbLb1EES1U_IbLb0EEEEDaS1Q_S1R_EUlS1Q_E_NS1_11comp_targetILNS1_3genE10ELNS1_11target_archE1200ELNS1_3gpuE4ELNS1_3repE0EEENS1_30default_config_static_selectorELNS0_4arch9wavefront6targetE0EEEvS13_
		.amdhsa_group_segment_fixed_size 0
		.amdhsa_private_segment_fixed_size 0
		.amdhsa_kernarg_size 176
		.amdhsa_user_sgpr_count 2
		.amdhsa_user_sgpr_dispatch_ptr 0
		.amdhsa_user_sgpr_queue_ptr 0
		.amdhsa_user_sgpr_kernarg_segment_ptr 1
		.amdhsa_user_sgpr_dispatch_id 0
		.amdhsa_user_sgpr_private_segment_size 0
		.amdhsa_wavefront_size32 1
		.amdhsa_uses_dynamic_stack 0
		.amdhsa_enable_private_segment 0
		.amdhsa_system_sgpr_workgroup_id_x 1
		.amdhsa_system_sgpr_workgroup_id_y 0
		.amdhsa_system_sgpr_workgroup_id_z 0
		.amdhsa_system_sgpr_workgroup_info 0
		.amdhsa_system_vgpr_workitem_id 0
		.amdhsa_next_free_vgpr 1
		.amdhsa_next_free_sgpr 1
		.amdhsa_reserve_vcc 0
		.amdhsa_float_round_mode_32 0
		.amdhsa_float_round_mode_16_64 0
		.amdhsa_float_denorm_mode_32 3
		.amdhsa_float_denorm_mode_16_64 3
		.amdhsa_fp16_overflow 0
		.amdhsa_workgroup_processor_mode 1
		.amdhsa_memory_ordered 1
		.amdhsa_forward_progress 1
		.amdhsa_inst_pref_size 1
		.amdhsa_round_robin_scheduling 0
		.amdhsa_exception_fp_ieee_invalid_op 0
		.amdhsa_exception_fp_denorm_src 0
		.amdhsa_exception_fp_ieee_div_zero 0
		.amdhsa_exception_fp_ieee_overflow 0
		.amdhsa_exception_fp_ieee_underflow 0
		.amdhsa_exception_fp_ieee_inexact 0
		.amdhsa_exception_int_div_zero 0
	.end_amdhsa_kernel
	.section	.text._ZN7rocprim17ROCPRIM_400000_NS6detail17trampoline_kernelINS0_13select_configILj256ELj13ELNS0_17block_load_methodE3ELS4_3ELS4_3ELNS0_20block_scan_algorithmE0ELj4294967295EEENS1_25partition_config_selectorILNS1_17partition_subalgoE4EjNS0_10empty_typeEbEEZZNS1_14partition_implILS8_4ELb0ES6_15HIP_vector_typeIjLj2EENS0_17counting_iteratorIjlEEPS9_SG_NS0_5tupleIJPjSI_NS0_16reverse_iteratorISI_EEEEENSH_IJSG_SG_SG_EEES9_SI_JZNS1_25segmented_radix_sort_implINS0_14default_configELb1EPK6__halfPSP_PKlPlN2at6native12_GLOBAL__N_18offset_tEEE10hipError_tPvRmT1_PNSt15iterator_traitsIS13_E10value_typeET2_T3_PNS14_IS19_E10value_typeET4_jRbjT5_S1F_jjP12ihipStream_tbEUljE_ZNSN_ISO_Lb1ESR_SS_SU_SV_SZ_EES10_S11_S12_S13_S17_S18_S19_S1C_S1D_jS1E_jS1F_S1F_jjS1H_bEUljE0_EEES10_S11_S12_S19_S1D_S1F_T6_T7_T9_mT8_S1H_bDpT10_ENKUlT_T0_E_clISt17integral_constantIbLb1EES1U_IbLb0EEEEDaS1Q_S1R_EUlS1Q_E_NS1_11comp_targetILNS1_3genE10ELNS1_11target_archE1200ELNS1_3gpuE4ELNS1_3repE0EEENS1_30default_config_static_selectorELNS0_4arch9wavefront6targetE0EEEvS13_,"axG",@progbits,_ZN7rocprim17ROCPRIM_400000_NS6detail17trampoline_kernelINS0_13select_configILj256ELj13ELNS0_17block_load_methodE3ELS4_3ELS4_3ELNS0_20block_scan_algorithmE0ELj4294967295EEENS1_25partition_config_selectorILNS1_17partition_subalgoE4EjNS0_10empty_typeEbEEZZNS1_14partition_implILS8_4ELb0ES6_15HIP_vector_typeIjLj2EENS0_17counting_iteratorIjlEEPS9_SG_NS0_5tupleIJPjSI_NS0_16reverse_iteratorISI_EEEEENSH_IJSG_SG_SG_EEES9_SI_JZNS1_25segmented_radix_sort_implINS0_14default_configELb1EPK6__halfPSP_PKlPlN2at6native12_GLOBAL__N_18offset_tEEE10hipError_tPvRmT1_PNSt15iterator_traitsIS13_E10value_typeET2_T3_PNS14_IS19_E10value_typeET4_jRbjT5_S1F_jjP12ihipStream_tbEUljE_ZNSN_ISO_Lb1ESR_SS_SU_SV_SZ_EES10_S11_S12_S13_S17_S18_S19_S1C_S1D_jS1E_jS1F_S1F_jjS1H_bEUljE0_EEES10_S11_S12_S19_S1D_S1F_T6_T7_T9_mT8_S1H_bDpT10_ENKUlT_T0_E_clISt17integral_constantIbLb1EES1U_IbLb0EEEEDaS1Q_S1R_EUlS1Q_E_NS1_11comp_targetILNS1_3genE10ELNS1_11target_archE1200ELNS1_3gpuE4ELNS1_3repE0EEENS1_30default_config_static_selectorELNS0_4arch9wavefront6targetE0EEEvS13_,comdat
.Lfunc_end1696:
	.size	_ZN7rocprim17ROCPRIM_400000_NS6detail17trampoline_kernelINS0_13select_configILj256ELj13ELNS0_17block_load_methodE3ELS4_3ELS4_3ELNS0_20block_scan_algorithmE0ELj4294967295EEENS1_25partition_config_selectorILNS1_17partition_subalgoE4EjNS0_10empty_typeEbEEZZNS1_14partition_implILS8_4ELb0ES6_15HIP_vector_typeIjLj2EENS0_17counting_iteratorIjlEEPS9_SG_NS0_5tupleIJPjSI_NS0_16reverse_iteratorISI_EEEEENSH_IJSG_SG_SG_EEES9_SI_JZNS1_25segmented_radix_sort_implINS0_14default_configELb1EPK6__halfPSP_PKlPlN2at6native12_GLOBAL__N_18offset_tEEE10hipError_tPvRmT1_PNSt15iterator_traitsIS13_E10value_typeET2_T3_PNS14_IS19_E10value_typeET4_jRbjT5_S1F_jjP12ihipStream_tbEUljE_ZNSN_ISO_Lb1ESR_SS_SU_SV_SZ_EES10_S11_S12_S13_S17_S18_S19_S1C_S1D_jS1E_jS1F_S1F_jjS1H_bEUljE0_EEES10_S11_S12_S19_S1D_S1F_T6_T7_T9_mT8_S1H_bDpT10_ENKUlT_T0_E_clISt17integral_constantIbLb1EES1U_IbLb0EEEEDaS1Q_S1R_EUlS1Q_E_NS1_11comp_targetILNS1_3genE10ELNS1_11target_archE1200ELNS1_3gpuE4ELNS1_3repE0EEENS1_30default_config_static_selectorELNS0_4arch9wavefront6targetE0EEEvS13_, .Lfunc_end1696-_ZN7rocprim17ROCPRIM_400000_NS6detail17trampoline_kernelINS0_13select_configILj256ELj13ELNS0_17block_load_methodE3ELS4_3ELS4_3ELNS0_20block_scan_algorithmE0ELj4294967295EEENS1_25partition_config_selectorILNS1_17partition_subalgoE4EjNS0_10empty_typeEbEEZZNS1_14partition_implILS8_4ELb0ES6_15HIP_vector_typeIjLj2EENS0_17counting_iteratorIjlEEPS9_SG_NS0_5tupleIJPjSI_NS0_16reverse_iteratorISI_EEEEENSH_IJSG_SG_SG_EEES9_SI_JZNS1_25segmented_radix_sort_implINS0_14default_configELb1EPK6__halfPSP_PKlPlN2at6native12_GLOBAL__N_18offset_tEEE10hipError_tPvRmT1_PNSt15iterator_traitsIS13_E10value_typeET2_T3_PNS14_IS19_E10value_typeET4_jRbjT5_S1F_jjP12ihipStream_tbEUljE_ZNSN_ISO_Lb1ESR_SS_SU_SV_SZ_EES10_S11_S12_S13_S17_S18_S19_S1C_S1D_jS1E_jS1F_S1F_jjS1H_bEUljE0_EEES10_S11_S12_S19_S1D_S1F_T6_T7_T9_mT8_S1H_bDpT10_ENKUlT_T0_E_clISt17integral_constantIbLb1EES1U_IbLb0EEEEDaS1Q_S1R_EUlS1Q_E_NS1_11comp_targetILNS1_3genE10ELNS1_11target_archE1200ELNS1_3gpuE4ELNS1_3repE0EEENS1_30default_config_static_selectorELNS0_4arch9wavefront6targetE0EEEvS13_
                                        ; -- End function
	.set _ZN7rocprim17ROCPRIM_400000_NS6detail17trampoline_kernelINS0_13select_configILj256ELj13ELNS0_17block_load_methodE3ELS4_3ELS4_3ELNS0_20block_scan_algorithmE0ELj4294967295EEENS1_25partition_config_selectorILNS1_17partition_subalgoE4EjNS0_10empty_typeEbEEZZNS1_14partition_implILS8_4ELb0ES6_15HIP_vector_typeIjLj2EENS0_17counting_iteratorIjlEEPS9_SG_NS0_5tupleIJPjSI_NS0_16reverse_iteratorISI_EEEEENSH_IJSG_SG_SG_EEES9_SI_JZNS1_25segmented_radix_sort_implINS0_14default_configELb1EPK6__halfPSP_PKlPlN2at6native12_GLOBAL__N_18offset_tEEE10hipError_tPvRmT1_PNSt15iterator_traitsIS13_E10value_typeET2_T3_PNS14_IS19_E10value_typeET4_jRbjT5_S1F_jjP12ihipStream_tbEUljE_ZNSN_ISO_Lb1ESR_SS_SU_SV_SZ_EES10_S11_S12_S13_S17_S18_S19_S1C_S1D_jS1E_jS1F_S1F_jjS1H_bEUljE0_EEES10_S11_S12_S19_S1D_S1F_T6_T7_T9_mT8_S1H_bDpT10_ENKUlT_T0_E_clISt17integral_constantIbLb1EES1U_IbLb0EEEEDaS1Q_S1R_EUlS1Q_E_NS1_11comp_targetILNS1_3genE10ELNS1_11target_archE1200ELNS1_3gpuE4ELNS1_3repE0EEENS1_30default_config_static_selectorELNS0_4arch9wavefront6targetE0EEEvS13_.num_vgpr, 0
	.set _ZN7rocprim17ROCPRIM_400000_NS6detail17trampoline_kernelINS0_13select_configILj256ELj13ELNS0_17block_load_methodE3ELS4_3ELS4_3ELNS0_20block_scan_algorithmE0ELj4294967295EEENS1_25partition_config_selectorILNS1_17partition_subalgoE4EjNS0_10empty_typeEbEEZZNS1_14partition_implILS8_4ELb0ES6_15HIP_vector_typeIjLj2EENS0_17counting_iteratorIjlEEPS9_SG_NS0_5tupleIJPjSI_NS0_16reverse_iteratorISI_EEEEENSH_IJSG_SG_SG_EEES9_SI_JZNS1_25segmented_radix_sort_implINS0_14default_configELb1EPK6__halfPSP_PKlPlN2at6native12_GLOBAL__N_18offset_tEEE10hipError_tPvRmT1_PNSt15iterator_traitsIS13_E10value_typeET2_T3_PNS14_IS19_E10value_typeET4_jRbjT5_S1F_jjP12ihipStream_tbEUljE_ZNSN_ISO_Lb1ESR_SS_SU_SV_SZ_EES10_S11_S12_S13_S17_S18_S19_S1C_S1D_jS1E_jS1F_S1F_jjS1H_bEUljE0_EEES10_S11_S12_S19_S1D_S1F_T6_T7_T9_mT8_S1H_bDpT10_ENKUlT_T0_E_clISt17integral_constantIbLb1EES1U_IbLb0EEEEDaS1Q_S1R_EUlS1Q_E_NS1_11comp_targetILNS1_3genE10ELNS1_11target_archE1200ELNS1_3gpuE4ELNS1_3repE0EEENS1_30default_config_static_selectorELNS0_4arch9wavefront6targetE0EEEvS13_.num_agpr, 0
	.set _ZN7rocprim17ROCPRIM_400000_NS6detail17trampoline_kernelINS0_13select_configILj256ELj13ELNS0_17block_load_methodE3ELS4_3ELS4_3ELNS0_20block_scan_algorithmE0ELj4294967295EEENS1_25partition_config_selectorILNS1_17partition_subalgoE4EjNS0_10empty_typeEbEEZZNS1_14partition_implILS8_4ELb0ES6_15HIP_vector_typeIjLj2EENS0_17counting_iteratorIjlEEPS9_SG_NS0_5tupleIJPjSI_NS0_16reverse_iteratorISI_EEEEENSH_IJSG_SG_SG_EEES9_SI_JZNS1_25segmented_radix_sort_implINS0_14default_configELb1EPK6__halfPSP_PKlPlN2at6native12_GLOBAL__N_18offset_tEEE10hipError_tPvRmT1_PNSt15iterator_traitsIS13_E10value_typeET2_T3_PNS14_IS19_E10value_typeET4_jRbjT5_S1F_jjP12ihipStream_tbEUljE_ZNSN_ISO_Lb1ESR_SS_SU_SV_SZ_EES10_S11_S12_S13_S17_S18_S19_S1C_S1D_jS1E_jS1F_S1F_jjS1H_bEUljE0_EEES10_S11_S12_S19_S1D_S1F_T6_T7_T9_mT8_S1H_bDpT10_ENKUlT_T0_E_clISt17integral_constantIbLb1EES1U_IbLb0EEEEDaS1Q_S1R_EUlS1Q_E_NS1_11comp_targetILNS1_3genE10ELNS1_11target_archE1200ELNS1_3gpuE4ELNS1_3repE0EEENS1_30default_config_static_selectorELNS0_4arch9wavefront6targetE0EEEvS13_.numbered_sgpr, 0
	.set _ZN7rocprim17ROCPRIM_400000_NS6detail17trampoline_kernelINS0_13select_configILj256ELj13ELNS0_17block_load_methodE3ELS4_3ELS4_3ELNS0_20block_scan_algorithmE0ELj4294967295EEENS1_25partition_config_selectorILNS1_17partition_subalgoE4EjNS0_10empty_typeEbEEZZNS1_14partition_implILS8_4ELb0ES6_15HIP_vector_typeIjLj2EENS0_17counting_iteratorIjlEEPS9_SG_NS0_5tupleIJPjSI_NS0_16reverse_iteratorISI_EEEEENSH_IJSG_SG_SG_EEES9_SI_JZNS1_25segmented_radix_sort_implINS0_14default_configELb1EPK6__halfPSP_PKlPlN2at6native12_GLOBAL__N_18offset_tEEE10hipError_tPvRmT1_PNSt15iterator_traitsIS13_E10value_typeET2_T3_PNS14_IS19_E10value_typeET4_jRbjT5_S1F_jjP12ihipStream_tbEUljE_ZNSN_ISO_Lb1ESR_SS_SU_SV_SZ_EES10_S11_S12_S13_S17_S18_S19_S1C_S1D_jS1E_jS1F_S1F_jjS1H_bEUljE0_EEES10_S11_S12_S19_S1D_S1F_T6_T7_T9_mT8_S1H_bDpT10_ENKUlT_T0_E_clISt17integral_constantIbLb1EES1U_IbLb0EEEEDaS1Q_S1R_EUlS1Q_E_NS1_11comp_targetILNS1_3genE10ELNS1_11target_archE1200ELNS1_3gpuE4ELNS1_3repE0EEENS1_30default_config_static_selectorELNS0_4arch9wavefront6targetE0EEEvS13_.num_named_barrier, 0
	.set _ZN7rocprim17ROCPRIM_400000_NS6detail17trampoline_kernelINS0_13select_configILj256ELj13ELNS0_17block_load_methodE3ELS4_3ELS4_3ELNS0_20block_scan_algorithmE0ELj4294967295EEENS1_25partition_config_selectorILNS1_17partition_subalgoE4EjNS0_10empty_typeEbEEZZNS1_14partition_implILS8_4ELb0ES6_15HIP_vector_typeIjLj2EENS0_17counting_iteratorIjlEEPS9_SG_NS0_5tupleIJPjSI_NS0_16reverse_iteratorISI_EEEEENSH_IJSG_SG_SG_EEES9_SI_JZNS1_25segmented_radix_sort_implINS0_14default_configELb1EPK6__halfPSP_PKlPlN2at6native12_GLOBAL__N_18offset_tEEE10hipError_tPvRmT1_PNSt15iterator_traitsIS13_E10value_typeET2_T3_PNS14_IS19_E10value_typeET4_jRbjT5_S1F_jjP12ihipStream_tbEUljE_ZNSN_ISO_Lb1ESR_SS_SU_SV_SZ_EES10_S11_S12_S13_S17_S18_S19_S1C_S1D_jS1E_jS1F_S1F_jjS1H_bEUljE0_EEES10_S11_S12_S19_S1D_S1F_T6_T7_T9_mT8_S1H_bDpT10_ENKUlT_T0_E_clISt17integral_constantIbLb1EES1U_IbLb0EEEEDaS1Q_S1R_EUlS1Q_E_NS1_11comp_targetILNS1_3genE10ELNS1_11target_archE1200ELNS1_3gpuE4ELNS1_3repE0EEENS1_30default_config_static_selectorELNS0_4arch9wavefront6targetE0EEEvS13_.private_seg_size, 0
	.set _ZN7rocprim17ROCPRIM_400000_NS6detail17trampoline_kernelINS0_13select_configILj256ELj13ELNS0_17block_load_methodE3ELS4_3ELS4_3ELNS0_20block_scan_algorithmE0ELj4294967295EEENS1_25partition_config_selectorILNS1_17partition_subalgoE4EjNS0_10empty_typeEbEEZZNS1_14partition_implILS8_4ELb0ES6_15HIP_vector_typeIjLj2EENS0_17counting_iteratorIjlEEPS9_SG_NS0_5tupleIJPjSI_NS0_16reverse_iteratorISI_EEEEENSH_IJSG_SG_SG_EEES9_SI_JZNS1_25segmented_radix_sort_implINS0_14default_configELb1EPK6__halfPSP_PKlPlN2at6native12_GLOBAL__N_18offset_tEEE10hipError_tPvRmT1_PNSt15iterator_traitsIS13_E10value_typeET2_T3_PNS14_IS19_E10value_typeET4_jRbjT5_S1F_jjP12ihipStream_tbEUljE_ZNSN_ISO_Lb1ESR_SS_SU_SV_SZ_EES10_S11_S12_S13_S17_S18_S19_S1C_S1D_jS1E_jS1F_S1F_jjS1H_bEUljE0_EEES10_S11_S12_S19_S1D_S1F_T6_T7_T9_mT8_S1H_bDpT10_ENKUlT_T0_E_clISt17integral_constantIbLb1EES1U_IbLb0EEEEDaS1Q_S1R_EUlS1Q_E_NS1_11comp_targetILNS1_3genE10ELNS1_11target_archE1200ELNS1_3gpuE4ELNS1_3repE0EEENS1_30default_config_static_selectorELNS0_4arch9wavefront6targetE0EEEvS13_.uses_vcc, 0
	.set _ZN7rocprim17ROCPRIM_400000_NS6detail17trampoline_kernelINS0_13select_configILj256ELj13ELNS0_17block_load_methodE3ELS4_3ELS4_3ELNS0_20block_scan_algorithmE0ELj4294967295EEENS1_25partition_config_selectorILNS1_17partition_subalgoE4EjNS0_10empty_typeEbEEZZNS1_14partition_implILS8_4ELb0ES6_15HIP_vector_typeIjLj2EENS0_17counting_iteratorIjlEEPS9_SG_NS0_5tupleIJPjSI_NS0_16reverse_iteratorISI_EEEEENSH_IJSG_SG_SG_EEES9_SI_JZNS1_25segmented_radix_sort_implINS0_14default_configELb1EPK6__halfPSP_PKlPlN2at6native12_GLOBAL__N_18offset_tEEE10hipError_tPvRmT1_PNSt15iterator_traitsIS13_E10value_typeET2_T3_PNS14_IS19_E10value_typeET4_jRbjT5_S1F_jjP12ihipStream_tbEUljE_ZNSN_ISO_Lb1ESR_SS_SU_SV_SZ_EES10_S11_S12_S13_S17_S18_S19_S1C_S1D_jS1E_jS1F_S1F_jjS1H_bEUljE0_EEES10_S11_S12_S19_S1D_S1F_T6_T7_T9_mT8_S1H_bDpT10_ENKUlT_T0_E_clISt17integral_constantIbLb1EES1U_IbLb0EEEEDaS1Q_S1R_EUlS1Q_E_NS1_11comp_targetILNS1_3genE10ELNS1_11target_archE1200ELNS1_3gpuE4ELNS1_3repE0EEENS1_30default_config_static_selectorELNS0_4arch9wavefront6targetE0EEEvS13_.uses_flat_scratch, 0
	.set _ZN7rocprim17ROCPRIM_400000_NS6detail17trampoline_kernelINS0_13select_configILj256ELj13ELNS0_17block_load_methodE3ELS4_3ELS4_3ELNS0_20block_scan_algorithmE0ELj4294967295EEENS1_25partition_config_selectorILNS1_17partition_subalgoE4EjNS0_10empty_typeEbEEZZNS1_14partition_implILS8_4ELb0ES6_15HIP_vector_typeIjLj2EENS0_17counting_iteratorIjlEEPS9_SG_NS0_5tupleIJPjSI_NS0_16reverse_iteratorISI_EEEEENSH_IJSG_SG_SG_EEES9_SI_JZNS1_25segmented_radix_sort_implINS0_14default_configELb1EPK6__halfPSP_PKlPlN2at6native12_GLOBAL__N_18offset_tEEE10hipError_tPvRmT1_PNSt15iterator_traitsIS13_E10value_typeET2_T3_PNS14_IS19_E10value_typeET4_jRbjT5_S1F_jjP12ihipStream_tbEUljE_ZNSN_ISO_Lb1ESR_SS_SU_SV_SZ_EES10_S11_S12_S13_S17_S18_S19_S1C_S1D_jS1E_jS1F_S1F_jjS1H_bEUljE0_EEES10_S11_S12_S19_S1D_S1F_T6_T7_T9_mT8_S1H_bDpT10_ENKUlT_T0_E_clISt17integral_constantIbLb1EES1U_IbLb0EEEEDaS1Q_S1R_EUlS1Q_E_NS1_11comp_targetILNS1_3genE10ELNS1_11target_archE1200ELNS1_3gpuE4ELNS1_3repE0EEENS1_30default_config_static_selectorELNS0_4arch9wavefront6targetE0EEEvS13_.has_dyn_sized_stack, 0
	.set _ZN7rocprim17ROCPRIM_400000_NS6detail17trampoline_kernelINS0_13select_configILj256ELj13ELNS0_17block_load_methodE3ELS4_3ELS4_3ELNS0_20block_scan_algorithmE0ELj4294967295EEENS1_25partition_config_selectorILNS1_17partition_subalgoE4EjNS0_10empty_typeEbEEZZNS1_14partition_implILS8_4ELb0ES6_15HIP_vector_typeIjLj2EENS0_17counting_iteratorIjlEEPS9_SG_NS0_5tupleIJPjSI_NS0_16reverse_iteratorISI_EEEEENSH_IJSG_SG_SG_EEES9_SI_JZNS1_25segmented_radix_sort_implINS0_14default_configELb1EPK6__halfPSP_PKlPlN2at6native12_GLOBAL__N_18offset_tEEE10hipError_tPvRmT1_PNSt15iterator_traitsIS13_E10value_typeET2_T3_PNS14_IS19_E10value_typeET4_jRbjT5_S1F_jjP12ihipStream_tbEUljE_ZNSN_ISO_Lb1ESR_SS_SU_SV_SZ_EES10_S11_S12_S13_S17_S18_S19_S1C_S1D_jS1E_jS1F_S1F_jjS1H_bEUljE0_EEES10_S11_S12_S19_S1D_S1F_T6_T7_T9_mT8_S1H_bDpT10_ENKUlT_T0_E_clISt17integral_constantIbLb1EES1U_IbLb0EEEEDaS1Q_S1R_EUlS1Q_E_NS1_11comp_targetILNS1_3genE10ELNS1_11target_archE1200ELNS1_3gpuE4ELNS1_3repE0EEENS1_30default_config_static_selectorELNS0_4arch9wavefront6targetE0EEEvS13_.has_recursion, 0
	.set _ZN7rocprim17ROCPRIM_400000_NS6detail17trampoline_kernelINS0_13select_configILj256ELj13ELNS0_17block_load_methodE3ELS4_3ELS4_3ELNS0_20block_scan_algorithmE0ELj4294967295EEENS1_25partition_config_selectorILNS1_17partition_subalgoE4EjNS0_10empty_typeEbEEZZNS1_14partition_implILS8_4ELb0ES6_15HIP_vector_typeIjLj2EENS0_17counting_iteratorIjlEEPS9_SG_NS0_5tupleIJPjSI_NS0_16reverse_iteratorISI_EEEEENSH_IJSG_SG_SG_EEES9_SI_JZNS1_25segmented_radix_sort_implINS0_14default_configELb1EPK6__halfPSP_PKlPlN2at6native12_GLOBAL__N_18offset_tEEE10hipError_tPvRmT1_PNSt15iterator_traitsIS13_E10value_typeET2_T3_PNS14_IS19_E10value_typeET4_jRbjT5_S1F_jjP12ihipStream_tbEUljE_ZNSN_ISO_Lb1ESR_SS_SU_SV_SZ_EES10_S11_S12_S13_S17_S18_S19_S1C_S1D_jS1E_jS1F_S1F_jjS1H_bEUljE0_EEES10_S11_S12_S19_S1D_S1F_T6_T7_T9_mT8_S1H_bDpT10_ENKUlT_T0_E_clISt17integral_constantIbLb1EES1U_IbLb0EEEEDaS1Q_S1R_EUlS1Q_E_NS1_11comp_targetILNS1_3genE10ELNS1_11target_archE1200ELNS1_3gpuE4ELNS1_3repE0EEENS1_30default_config_static_selectorELNS0_4arch9wavefront6targetE0EEEvS13_.has_indirect_call, 0
	.section	.AMDGPU.csdata,"",@progbits
; Kernel info:
; codeLenInByte = 4
; TotalNumSgprs: 0
; NumVgprs: 0
; ScratchSize: 0
; MemoryBound: 0
; FloatMode: 240
; IeeeMode: 1
; LDSByteSize: 0 bytes/workgroup (compile time only)
; SGPRBlocks: 0
; VGPRBlocks: 0
; NumSGPRsForWavesPerEU: 1
; NumVGPRsForWavesPerEU: 1
; Occupancy: 16
; WaveLimiterHint : 0
; COMPUTE_PGM_RSRC2:SCRATCH_EN: 0
; COMPUTE_PGM_RSRC2:USER_SGPR: 2
; COMPUTE_PGM_RSRC2:TRAP_HANDLER: 0
; COMPUTE_PGM_RSRC2:TGID_X_EN: 1
; COMPUTE_PGM_RSRC2:TGID_Y_EN: 0
; COMPUTE_PGM_RSRC2:TGID_Z_EN: 0
; COMPUTE_PGM_RSRC2:TIDIG_COMP_CNT: 0
	.section	.text._ZN7rocprim17ROCPRIM_400000_NS6detail17trampoline_kernelINS0_13select_configILj256ELj13ELNS0_17block_load_methodE3ELS4_3ELS4_3ELNS0_20block_scan_algorithmE0ELj4294967295EEENS1_25partition_config_selectorILNS1_17partition_subalgoE4EjNS0_10empty_typeEbEEZZNS1_14partition_implILS8_4ELb0ES6_15HIP_vector_typeIjLj2EENS0_17counting_iteratorIjlEEPS9_SG_NS0_5tupleIJPjSI_NS0_16reverse_iteratorISI_EEEEENSH_IJSG_SG_SG_EEES9_SI_JZNS1_25segmented_radix_sort_implINS0_14default_configELb1EPK6__halfPSP_PKlPlN2at6native12_GLOBAL__N_18offset_tEEE10hipError_tPvRmT1_PNSt15iterator_traitsIS13_E10value_typeET2_T3_PNS14_IS19_E10value_typeET4_jRbjT5_S1F_jjP12ihipStream_tbEUljE_ZNSN_ISO_Lb1ESR_SS_SU_SV_SZ_EES10_S11_S12_S13_S17_S18_S19_S1C_S1D_jS1E_jS1F_S1F_jjS1H_bEUljE0_EEES10_S11_S12_S19_S1D_S1F_T6_T7_T9_mT8_S1H_bDpT10_ENKUlT_T0_E_clISt17integral_constantIbLb1EES1U_IbLb0EEEEDaS1Q_S1R_EUlS1Q_E_NS1_11comp_targetILNS1_3genE9ELNS1_11target_archE1100ELNS1_3gpuE3ELNS1_3repE0EEENS1_30default_config_static_selectorELNS0_4arch9wavefront6targetE0EEEvS13_,"axG",@progbits,_ZN7rocprim17ROCPRIM_400000_NS6detail17trampoline_kernelINS0_13select_configILj256ELj13ELNS0_17block_load_methodE3ELS4_3ELS4_3ELNS0_20block_scan_algorithmE0ELj4294967295EEENS1_25partition_config_selectorILNS1_17partition_subalgoE4EjNS0_10empty_typeEbEEZZNS1_14partition_implILS8_4ELb0ES6_15HIP_vector_typeIjLj2EENS0_17counting_iteratorIjlEEPS9_SG_NS0_5tupleIJPjSI_NS0_16reverse_iteratorISI_EEEEENSH_IJSG_SG_SG_EEES9_SI_JZNS1_25segmented_radix_sort_implINS0_14default_configELb1EPK6__halfPSP_PKlPlN2at6native12_GLOBAL__N_18offset_tEEE10hipError_tPvRmT1_PNSt15iterator_traitsIS13_E10value_typeET2_T3_PNS14_IS19_E10value_typeET4_jRbjT5_S1F_jjP12ihipStream_tbEUljE_ZNSN_ISO_Lb1ESR_SS_SU_SV_SZ_EES10_S11_S12_S13_S17_S18_S19_S1C_S1D_jS1E_jS1F_S1F_jjS1H_bEUljE0_EEES10_S11_S12_S19_S1D_S1F_T6_T7_T9_mT8_S1H_bDpT10_ENKUlT_T0_E_clISt17integral_constantIbLb1EES1U_IbLb0EEEEDaS1Q_S1R_EUlS1Q_E_NS1_11comp_targetILNS1_3genE9ELNS1_11target_archE1100ELNS1_3gpuE3ELNS1_3repE0EEENS1_30default_config_static_selectorELNS0_4arch9wavefront6targetE0EEEvS13_,comdat
	.globl	_ZN7rocprim17ROCPRIM_400000_NS6detail17trampoline_kernelINS0_13select_configILj256ELj13ELNS0_17block_load_methodE3ELS4_3ELS4_3ELNS0_20block_scan_algorithmE0ELj4294967295EEENS1_25partition_config_selectorILNS1_17partition_subalgoE4EjNS0_10empty_typeEbEEZZNS1_14partition_implILS8_4ELb0ES6_15HIP_vector_typeIjLj2EENS0_17counting_iteratorIjlEEPS9_SG_NS0_5tupleIJPjSI_NS0_16reverse_iteratorISI_EEEEENSH_IJSG_SG_SG_EEES9_SI_JZNS1_25segmented_radix_sort_implINS0_14default_configELb1EPK6__halfPSP_PKlPlN2at6native12_GLOBAL__N_18offset_tEEE10hipError_tPvRmT1_PNSt15iterator_traitsIS13_E10value_typeET2_T3_PNS14_IS19_E10value_typeET4_jRbjT5_S1F_jjP12ihipStream_tbEUljE_ZNSN_ISO_Lb1ESR_SS_SU_SV_SZ_EES10_S11_S12_S13_S17_S18_S19_S1C_S1D_jS1E_jS1F_S1F_jjS1H_bEUljE0_EEES10_S11_S12_S19_S1D_S1F_T6_T7_T9_mT8_S1H_bDpT10_ENKUlT_T0_E_clISt17integral_constantIbLb1EES1U_IbLb0EEEEDaS1Q_S1R_EUlS1Q_E_NS1_11comp_targetILNS1_3genE9ELNS1_11target_archE1100ELNS1_3gpuE3ELNS1_3repE0EEENS1_30default_config_static_selectorELNS0_4arch9wavefront6targetE0EEEvS13_ ; -- Begin function _ZN7rocprim17ROCPRIM_400000_NS6detail17trampoline_kernelINS0_13select_configILj256ELj13ELNS0_17block_load_methodE3ELS4_3ELS4_3ELNS0_20block_scan_algorithmE0ELj4294967295EEENS1_25partition_config_selectorILNS1_17partition_subalgoE4EjNS0_10empty_typeEbEEZZNS1_14partition_implILS8_4ELb0ES6_15HIP_vector_typeIjLj2EENS0_17counting_iteratorIjlEEPS9_SG_NS0_5tupleIJPjSI_NS0_16reverse_iteratorISI_EEEEENSH_IJSG_SG_SG_EEES9_SI_JZNS1_25segmented_radix_sort_implINS0_14default_configELb1EPK6__halfPSP_PKlPlN2at6native12_GLOBAL__N_18offset_tEEE10hipError_tPvRmT1_PNSt15iterator_traitsIS13_E10value_typeET2_T3_PNS14_IS19_E10value_typeET4_jRbjT5_S1F_jjP12ihipStream_tbEUljE_ZNSN_ISO_Lb1ESR_SS_SU_SV_SZ_EES10_S11_S12_S13_S17_S18_S19_S1C_S1D_jS1E_jS1F_S1F_jjS1H_bEUljE0_EEES10_S11_S12_S19_S1D_S1F_T6_T7_T9_mT8_S1H_bDpT10_ENKUlT_T0_E_clISt17integral_constantIbLb1EES1U_IbLb0EEEEDaS1Q_S1R_EUlS1Q_E_NS1_11comp_targetILNS1_3genE9ELNS1_11target_archE1100ELNS1_3gpuE3ELNS1_3repE0EEENS1_30default_config_static_selectorELNS0_4arch9wavefront6targetE0EEEvS13_
	.p2align	8
	.type	_ZN7rocprim17ROCPRIM_400000_NS6detail17trampoline_kernelINS0_13select_configILj256ELj13ELNS0_17block_load_methodE3ELS4_3ELS4_3ELNS0_20block_scan_algorithmE0ELj4294967295EEENS1_25partition_config_selectorILNS1_17partition_subalgoE4EjNS0_10empty_typeEbEEZZNS1_14partition_implILS8_4ELb0ES6_15HIP_vector_typeIjLj2EENS0_17counting_iteratorIjlEEPS9_SG_NS0_5tupleIJPjSI_NS0_16reverse_iteratorISI_EEEEENSH_IJSG_SG_SG_EEES9_SI_JZNS1_25segmented_radix_sort_implINS0_14default_configELb1EPK6__halfPSP_PKlPlN2at6native12_GLOBAL__N_18offset_tEEE10hipError_tPvRmT1_PNSt15iterator_traitsIS13_E10value_typeET2_T3_PNS14_IS19_E10value_typeET4_jRbjT5_S1F_jjP12ihipStream_tbEUljE_ZNSN_ISO_Lb1ESR_SS_SU_SV_SZ_EES10_S11_S12_S13_S17_S18_S19_S1C_S1D_jS1E_jS1F_S1F_jjS1H_bEUljE0_EEES10_S11_S12_S19_S1D_S1F_T6_T7_T9_mT8_S1H_bDpT10_ENKUlT_T0_E_clISt17integral_constantIbLb1EES1U_IbLb0EEEEDaS1Q_S1R_EUlS1Q_E_NS1_11comp_targetILNS1_3genE9ELNS1_11target_archE1100ELNS1_3gpuE3ELNS1_3repE0EEENS1_30default_config_static_selectorELNS0_4arch9wavefront6targetE0EEEvS13_,@function
_ZN7rocprim17ROCPRIM_400000_NS6detail17trampoline_kernelINS0_13select_configILj256ELj13ELNS0_17block_load_methodE3ELS4_3ELS4_3ELNS0_20block_scan_algorithmE0ELj4294967295EEENS1_25partition_config_selectorILNS1_17partition_subalgoE4EjNS0_10empty_typeEbEEZZNS1_14partition_implILS8_4ELb0ES6_15HIP_vector_typeIjLj2EENS0_17counting_iteratorIjlEEPS9_SG_NS0_5tupleIJPjSI_NS0_16reverse_iteratorISI_EEEEENSH_IJSG_SG_SG_EEES9_SI_JZNS1_25segmented_radix_sort_implINS0_14default_configELb1EPK6__halfPSP_PKlPlN2at6native12_GLOBAL__N_18offset_tEEE10hipError_tPvRmT1_PNSt15iterator_traitsIS13_E10value_typeET2_T3_PNS14_IS19_E10value_typeET4_jRbjT5_S1F_jjP12ihipStream_tbEUljE_ZNSN_ISO_Lb1ESR_SS_SU_SV_SZ_EES10_S11_S12_S13_S17_S18_S19_S1C_S1D_jS1E_jS1F_S1F_jjS1H_bEUljE0_EEES10_S11_S12_S19_S1D_S1F_T6_T7_T9_mT8_S1H_bDpT10_ENKUlT_T0_E_clISt17integral_constantIbLb1EES1U_IbLb0EEEEDaS1Q_S1R_EUlS1Q_E_NS1_11comp_targetILNS1_3genE9ELNS1_11target_archE1100ELNS1_3gpuE3ELNS1_3repE0EEENS1_30default_config_static_selectorELNS0_4arch9wavefront6targetE0EEEvS13_: ; @_ZN7rocprim17ROCPRIM_400000_NS6detail17trampoline_kernelINS0_13select_configILj256ELj13ELNS0_17block_load_methodE3ELS4_3ELS4_3ELNS0_20block_scan_algorithmE0ELj4294967295EEENS1_25partition_config_selectorILNS1_17partition_subalgoE4EjNS0_10empty_typeEbEEZZNS1_14partition_implILS8_4ELb0ES6_15HIP_vector_typeIjLj2EENS0_17counting_iteratorIjlEEPS9_SG_NS0_5tupleIJPjSI_NS0_16reverse_iteratorISI_EEEEENSH_IJSG_SG_SG_EEES9_SI_JZNS1_25segmented_radix_sort_implINS0_14default_configELb1EPK6__halfPSP_PKlPlN2at6native12_GLOBAL__N_18offset_tEEE10hipError_tPvRmT1_PNSt15iterator_traitsIS13_E10value_typeET2_T3_PNS14_IS19_E10value_typeET4_jRbjT5_S1F_jjP12ihipStream_tbEUljE_ZNSN_ISO_Lb1ESR_SS_SU_SV_SZ_EES10_S11_S12_S13_S17_S18_S19_S1C_S1D_jS1E_jS1F_S1F_jjS1H_bEUljE0_EEES10_S11_S12_S19_S1D_S1F_T6_T7_T9_mT8_S1H_bDpT10_ENKUlT_T0_E_clISt17integral_constantIbLb1EES1U_IbLb0EEEEDaS1Q_S1R_EUlS1Q_E_NS1_11comp_targetILNS1_3genE9ELNS1_11target_archE1100ELNS1_3gpuE3ELNS1_3repE0EEENS1_30default_config_static_selectorELNS0_4arch9wavefront6targetE0EEEvS13_
; %bb.0:
	.section	.rodata,"a",@progbits
	.p2align	6, 0x0
	.amdhsa_kernel _ZN7rocprim17ROCPRIM_400000_NS6detail17trampoline_kernelINS0_13select_configILj256ELj13ELNS0_17block_load_methodE3ELS4_3ELS4_3ELNS0_20block_scan_algorithmE0ELj4294967295EEENS1_25partition_config_selectorILNS1_17partition_subalgoE4EjNS0_10empty_typeEbEEZZNS1_14partition_implILS8_4ELb0ES6_15HIP_vector_typeIjLj2EENS0_17counting_iteratorIjlEEPS9_SG_NS0_5tupleIJPjSI_NS0_16reverse_iteratorISI_EEEEENSH_IJSG_SG_SG_EEES9_SI_JZNS1_25segmented_radix_sort_implINS0_14default_configELb1EPK6__halfPSP_PKlPlN2at6native12_GLOBAL__N_18offset_tEEE10hipError_tPvRmT1_PNSt15iterator_traitsIS13_E10value_typeET2_T3_PNS14_IS19_E10value_typeET4_jRbjT5_S1F_jjP12ihipStream_tbEUljE_ZNSN_ISO_Lb1ESR_SS_SU_SV_SZ_EES10_S11_S12_S13_S17_S18_S19_S1C_S1D_jS1E_jS1F_S1F_jjS1H_bEUljE0_EEES10_S11_S12_S19_S1D_S1F_T6_T7_T9_mT8_S1H_bDpT10_ENKUlT_T0_E_clISt17integral_constantIbLb1EES1U_IbLb0EEEEDaS1Q_S1R_EUlS1Q_E_NS1_11comp_targetILNS1_3genE9ELNS1_11target_archE1100ELNS1_3gpuE3ELNS1_3repE0EEENS1_30default_config_static_selectorELNS0_4arch9wavefront6targetE0EEEvS13_
		.amdhsa_group_segment_fixed_size 0
		.amdhsa_private_segment_fixed_size 0
		.amdhsa_kernarg_size 176
		.amdhsa_user_sgpr_count 2
		.amdhsa_user_sgpr_dispatch_ptr 0
		.amdhsa_user_sgpr_queue_ptr 0
		.amdhsa_user_sgpr_kernarg_segment_ptr 1
		.amdhsa_user_sgpr_dispatch_id 0
		.amdhsa_user_sgpr_private_segment_size 0
		.amdhsa_wavefront_size32 1
		.amdhsa_uses_dynamic_stack 0
		.amdhsa_enable_private_segment 0
		.amdhsa_system_sgpr_workgroup_id_x 1
		.amdhsa_system_sgpr_workgroup_id_y 0
		.amdhsa_system_sgpr_workgroup_id_z 0
		.amdhsa_system_sgpr_workgroup_info 0
		.amdhsa_system_vgpr_workitem_id 0
		.amdhsa_next_free_vgpr 1
		.amdhsa_next_free_sgpr 1
		.amdhsa_reserve_vcc 0
		.amdhsa_float_round_mode_32 0
		.amdhsa_float_round_mode_16_64 0
		.amdhsa_float_denorm_mode_32 3
		.amdhsa_float_denorm_mode_16_64 3
		.amdhsa_fp16_overflow 0
		.amdhsa_workgroup_processor_mode 1
		.amdhsa_memory_ordered 1
		.amdhsa_forward_progress 1
		.amdhsa_inst_pref_size 0
		.amdhsa_round_robin_scheduling 0
		.amdhsa_exception_fp_ieee_invalid_op 0
		.amdhsa_exception_fp_denorm_src 0
		.amdhsa_exception_fp_ieee_div_zero 0
		.amdhsa_exception_fp_ieee_overflow 0
		.amdhsa_exception_fp_ieee_underflow 0
		.amdhsa_exception_fp_ieee_inexact 0
		.amdhsa_exception_int_div_zero 0
	.end_amdhsa_kernel
	.section	.text._ZN7rocprim17ROCPRIM_400000_NS6detail17trampoline_kernelINS0_13select_configILj256ELj13ELNS0_17block_load_methodE3ELS4_3ELS4_3ELNS0_20block_scan_algorithmE0ELj4294967295EEENS1_25partition_config_selectorILNS1_17partition_subalgoE4EjNS0_10empty_typeEbEEZZNS1_14partition_implILS8_4ELb0ES6_15HIP_vector_typeIjLj2EENS0_17counting_iteratorIjlEEPS9_SG_NS0_5tupleIJPjSI_NS0_16reverse_iteratorISI_EEEEENSH_IJSG_SG_SG_EEES9_SI_JZNS1_25segmented_radix_sort_implINS0_14default_configELb1EPK6__halfPSP_PKlPlN2at6native12_GLOBAL__N_18offset_tEEE10hipError_tPvRmT1_PNSt15iterator_traitsIS13_E10value_typeET2_T3_PNS14_IS19_E10value_typeET4_jRbjT5_S1F_jjP12ihipStream_tbEUljE_ZNSN_ISO_Lb1ESR_SS_SU_SV_SZ_EES10_S11_S12_S13_S17_S18_S19_S1C_S1D_jS1E_jS1F_S1F_jjS1H_bEUljE0_EEES10_S11_S12_S19_S1D_S1F_T6_T7_T9_mT8_S1H_bDpT10_ENKUlT_T0_E_clISt17integral_constantIbLb1EES1U_IbLb0EEEEDaS1Q_S1R_EUlS1Q_E_NS1_11comp_targetILNS1_3genE9ELNS1_11target_archE1100ELNS1_3gpuE3ELNS1_3repE0EEENS1_30default_config_static_selectorELNS0_4arch9wavefront6targetE0EEEvS13_,"axG",@progbits,_ZN7rocprim17ROCPRIM_400000_NS6detail17trampoline_kernelINS0_13select_configILj256ELj13ELNS0_17block_load_methodE3ELS4_3ELS4_3ELNS0_20block_scan_algorithmE0ELj4294967295EEENS1_25partition_config_selectorILNS1_17partition_subalgoE4EjNS0_10empty_typeEbEEZZNS1_14partition_implILS8_4ELb0ES6_15HIP_vector_typeIjLj2EENS0_17counting_iteratorIjlEEPS9_SG_NS0_5tupleIJPjSI_NS0_16reverse_iteratorISI_EEEEENSH_IJSG_SG_SG_EEES9_SI_JZNS1_25segmented_radix_sort_implINS0_14default_configELb1EPK6__halfPSP_PKlPlN2at6native12_GLOBAL__N_18offset_tEEE10hipError_tPvRmT1_PNSt15iterator_traitsIS13_E10value_typeET2_T3_PNS14_IS19_E10value_typeET4_jRbjT5_S1F_jjP12ihipStream_tbEUljE_ZNSN_ISO_Lb1ESR_SS_SU_SV_SZ_EES10_S11_S12_S13_S17_S18_S19_S1C_S1D_jS1E_jS1F_S1F_jjS1H_bEUljE0_EEES10_S11_S12_S19_S1D_S1F_T6_T7_T9_mT8_S1H_bDpT10_ENKUlT_T0_E_clISt17integral_constantIbLb1EES1U_IbLb0EEEEDaS1Q_S1R_EUlS1Q_E_NS1_11comp_targetILNS1_3genE9ELNS1_11target_archE1100ELNS1_3gpuE3ELNS1_3repE0EEENS1_30default_config_static_selectorELNS0_4arch9wavefront6targetE0EEEvS13_,comdat
.Lfunc_end1697:
	.size	_ZN7rocprim17ROCPRIM_400000_NS6detail17trampoline_kernelINS0_13select_configILj256ELj13ELNS0_17block_load_methodE3ELS4_3ELS4_3ELNS0_20block_scan_algorithmE0ELj4294967295EEENS1_25partition_config_selectorILNS1_17partition_subalgoE4EjNS0_10empty_typeEbEEZZNS1_14partition_implILS8_4ELb0ES6_15HIP_vector_typeIjLj2EENS0_17counting_iteratorIjlEEPS9_SG_NS0_5tupleIJPjSI_NS0_16reverse_iteratorISI_EEEEENSH_IJSG_SG_SG_EEES9_SI_JZNS1_25segmented_radix_sort_implINS0_14default_configELb1EPK6__halfPSP_PKlPlN2at6native12_GLOBAL__N_18offset_tEEE10hipError_tPvRmT1_PNSt15iterator_traitsIS13_E10value_typeET2_T3_PNS14_IS19_E10value_typeET4_jRbjT5_S1F_jjP12ihipStream_tbEUljE_ZNSN_ISO_Lb1ESR_SS_SU_SV_SZ_EES10_S11_S12_S13_S17_S18_S19_S1C_S1D_jS1E_jS1F_S1F_jjS1H_bEUljE0_EEES10_S11_S12_S19_S1D_S1F_T6_T7_T9_mT8_S1H_bDpT10_ENKUlT_T0_E_clISt17integral_constantIbLb1EES1U_IbLb0EEEEDaS1Q_S1R_EUlS1Q_E_NS1_11comp_targetILNS1_3genE9ELNS1_11target_archE1100ELNS1_3gpuE3ELNS1_3repE0EEENS1_30default_config_static_selectorELNS0_4arch9wavefront6targetE0EEEvS13_, .Lfunc_end1697-_ZN7rocprim17ROCPRIM_400000_NS6detail17trampoline_kernelINS0_13select_configILj256ELj13ELNS0_17block_load_methodE3ELS4_3ELS4_3ELNS0_20block_scan_algorithmE0ELj4294967295EEENS1_25partition_config_selectorILNS1_17partition_subalgoE4EjNS0_10empty_typeEbEEZZNS1_14partition_implILS8_4ELb0ES6_15HIP_vector_typeIjLj2EENS0_17counting_iteratorIjlEEPS9_SG_NS0_5tupleIJPjSI_NS0_16reverse_iteratorISI_EEEEENSH_IJSG_SG_SG_EEES9_SI_JZNS1_25segmented_radix_sort_implINS0_14default_configELb1EPK6__halfPSP_PKlPlN2at6native12_GLOBAL__N_18offset_tEEE10hipError_tPvRmT1_PNSt15iterator_traitsIS13_E10value_typeET2_T3_PNS14_IS19_E10value_typeET4_jRbjT5_S1F_jjP12ihipStream_tbEUljE_ZNSN_ISO_Lb1ESR_SS_SU_SV_SZ_EES10_S11_S12_S13_S17_S18_S19_S1C_S1D_jS1E_jS1F_S1F_jjS1H_bEUljE0_EEES10_S11_S12_S19_S1D_S1F_T6_T7_T9_mT8_S1H_bDpT10_ENKUlT_T0_E_clISt17integral_constantIbLb1EES1U_IbLb0EEEEDaS1Q_S1R_EUlS1Q_E_NS1_11comp_targetILNS1_3genE9ELNS1_11target_archE1100ELNS1_3gpuE3ELNS1_3repE0EEENS1_30default_config_static_selectorELNS0_4arch9wavefront6targetE0EEEvS13_
                                        ; -- End function
	.set _ZN7rocprim17ROCPRIM_400000_NS6detail17trampoline_kernelINS0_13select_configILj256ELj13ELNS0_17block_load_methodE3ELS4_3ELS4_3ELNS0_20block_scan_algorithmE0ELj4294967295EEENS1_25partition_config_selectorILNS1_17partition_subalgoE4EjNS0_10empty_typeEbEEZZNS1_14partition_implILS8_4ELb0ES6_15HIP_vector_typeIjLj2EENS0_17counting_iteratorIjlEEPS9_SG_NS0_5tupleIJPjSI_NS0_16reverse_iteratorISI_EEEEENSH_IJSG_SG_SG_EEES9_SI_JZNS1_25segmented_radix_sort_implINS0_14default_configELb1EPK6__halfPSP_PKlPlN2at6native12_GLOBAL__N_18offset_tEEE10hipError_tPvRmT1_PNSt15iterator_traitsIS13_E10value_typeET2_T3_PNS14_IS19_E10value_typeET4_jRbjT5_S1F_jjP12ihipStream_tbEUljE_ZNSN_ISO_Lb1ESR_SS_SU_SV_SZ_EES10_S11_S12_S13_S17_S18_S19_S1C_S1D_jS1E_jS1F_S1F_jjS1H_bEUljE0_EEES10_S11_S12_S19_S1D_S1F_T6_T7_T9_mT8_S1H_bDpT10_ENKUlT_T0_E_clISt17integral_constantIbLb1EES1U_IbLb0EEEEDaS1Q_S1R_EUlS1Q_E_NS1_11comp_targetILNS1_3genE9ELNS1_11target_archE1100ELNS1_3gpuE3ELNS1_3repE0EEENS1_30default_config_static_selectorELNS0_4arch9wavefront6targetE0EEEvS13_.num_vgpr, 0
	.set _ZN7rocprim17ROCPRIM_400000_NS6detail17trampoline_kernelINS0_13select_configILj256ELj13ELNS0_17block_load_methodE3ELS4_3ELS4_3ELNS0_20block_scan_algorithmE0ELj4294967295EEENS1_25partition_config_selectorILNS1_17partition_subalgoE4EjNS0_10empty_typeEbEEZZNS1_14partition_implILS8_4ELb0ES6_15HIP_vector_typeIjLj2EENS0_17counting_iteratorIjlEEPS9_SG_NS0_5tupleIJPjSI_NS0_16reverse_iteratorISI_EEEEENSH_IJSG_SG_SG_EEES9_SI_JZNS1_25segmented_radix_sort_implINS0_14default_configELb1EPK6__halfPSP_PKlPlN2at6native12_GLOBAL__N_18offset_tEEE10hipError_tPvRmT1_PNSt15iterator_traitsIS13_E10value_typeET2_T3_PNS14_IS19_E10value_typeET4_jRbjT5_S1F_jjP12ihipStream_tbEUljE_ZNSN_ISO_Lb1ESR_SS_SU_SV_SZ_EES10_S11_S12_S13_S17_S18_S19_S1C_S1D_jS1E_jS1F_S1F_jjS1H_bEUljE0_EEES10_S11_S12_S19_S1D_S1F_T6_T7_T9_mT8_S1H_bDpT10_ENKUlT_T0_E_clISt17integral_constantIbLb1EES1U_IbLb0EEEEDaS1Q_S1R_EUlS1Q_E_NS1_11comp_targetILNS1_3genE9ELNS1_11target_archE1100ELNS1_3gpuE3ELNS1_3repE0EEENS1_30default_config_static_selectorELNS0_4arch9wavefront6targetE0EEEvS13_.num_agpr, 0
	.set _ZN7rocprim17ROCPRIM_400000_NS6detail17trampoline_kernelINS0_13select_configILj256ELj13ELNS0_17block_load_methodE3ELS4_3ELS4_3ELNS0_20block_scan_algorithmE0ELj4294967295EEENS1_25partition_config_selectorILNS1_17partition_subalgoE4EjNS0_10empty_typeEbEEZZNS1_14partition_implILS8_4ELb0ES6_15HIP_vector_typeIjLj2EENS0_17counting_iteratorIjlEEPS9_SG_NS0_5tupleIJPjSI_NS0_16reverse_iteratorISI_EEEEENSH_IJSG_SG_SG_EEES9_SI_JZNS1_25segmented_radix_sort_implINS0_14default_configELb1EPK6__halfPSP_PKlPlN2at6native12_GLOBAL__N_18offset_tEEE10hipError_tPvRmT1_PNSt15iterator_traitsIS13_E10value_typeET2_T3_PNS14_IS19_E10value_typeET4_jRbjT5_S1F_jjP12ihipStream_tbEUljE_ZNSN_ISO_Lb1ESR_SS_SU_SV_SZ_EES10_S11_S12_S13_S17_S18_S19_S1C_S1D_jS1E_jS1F_S1F_jjS1H_bEUljE0_EEES10_S11_S12_S19_S1D_S1F_T6_T7_T9_mT8_S1H_bDpT10_ENKUlT_T0_E_clISt17integral_constantIbLb1EES1U_IbLb0EEEEDaS1Q_S1R_EUlS1Q_E_NS1_11comp_targetILNS1_3genE9ELNS1_11target_archE1100ELNS1_3gpuE3ELNS1_3repE0EEENS1_30default_config_static_selectorELNS0_4arch9wavefront6targetE0EEEvS13_.numbered_sgpr, 0
	.set _ZN7rocprim17ROCPRIM_400000_NS6detail17trampoline_kernelINS0_13select_configILj256ELj13ELNS0_17block_load_methodE3ELS4_3ELS4_3ELNS0_20block_scan_algorithmE0ELj4294967295EEENS1_25partition_config_selectorILNS1_17partition_subalgoE4EjNS0_10empty_typeEbEEZZNS1_14partition_implILS8_4ELb0ES6_15HIP_vector_typeIjLj2EENS0_17counting_iteratorIjlEEPS9_SG_NS0_5tupleIJPjSI_NS0_16reverse_iteratorISI_EEEEENSH_IJSG_SG_SG_EEES9_SI_JZNS1_25segmented_radix_sort_implINS0_14default_configELb1EPK6__halfPSP_PKlPlN2at6native12_GLOBAL__N_18offset_tEEE10hipError_tPvRmT1_PNSt15iterator_traitsIS13_E10value_typeET2_T3_PNS14_IS19_E10value_typeET4_jRbjT5_S1F_jjP12ihipStream_tbEUljE_ZNSN_ISO_Lb1ESR_SS_SU_SV_SZ_EES10_S11_S12_S13_S17_S18_S19_S1C_S1D_jS1E_jS1F_S1F_jjS1H_bEUljE0_EEES10_S11_S12_S19_S1D_S1F_T6_T7_T9_mT8_S1H_bDpT10_ENKUlT_T0_E_clISt17integral_constantIbLb1EES1U_IbLb0EEEEDaS1Q_S1R_EUlS1Q_E_NS1_11comp_targetILNS1_3genE9ELNS1_11target_archE1100ELNS1_3gpuE3ELNS1_3repE0EEENS1_30default_config_static_selectorELNS0_4arch9wavefront6targetE0EEEvS13_.num_named_barrier, 0
	.set _ZN7rocprim17ROCPRIM_400000_NS6detail17trampoline_kernelINS0_13select_configILj256ELj13ELNS0_17block_load_methodE3ELS4_3ELS4_3ELNS0_20block_scan_algorithmE0ELj4294967295EEENS1_25partition_config_selectorILNS1_17partition_subalgoE4EjNS0_10empty_typeEbEEZZNS1_14partition_implILS8_4ELb0ES6_15HIP_vector_typeIjLj2EENS0_17counting_iteratorIjlEEPS9_SG_NS0_5tupleIJPjSI_NS0_16reverse_iteratorISI_EEEEENSH_IJSG_SG_SG_EEES9_SI_JZNS1_25segmented_radix_sort_implINS0_14default_configELb1EPK6__halfPSP_PKlPlN2at6native12_GLOBAL__N_18offset_tEEE10hipError_tPvRmT1_PNSt15iterator_traitsIS13_E10value_typeET2_T3_PNS14_IS19_E10value_typeET4_jRbjT5_S1F_jjP12ihipStream_tbEUljE_ZNSN_ISO_Lb1ESR_SS_SU_SV_SZ_EES10_S11_S12_S13_S17_S18_S19_S1C_S1D_jS1E_jS1F_S1F_jjS1H_bEUljE0_EEES10_S11_S12_S19_S1D_S1F_T6_T7_T9_mT8_S1H_bDpT10_ENKUlT_T0_E_clISt17integral_constantIbLb1EES1U_IbLb0EEEEDaS1Q_S1R_EUlS1Q_E_NS1_11comp_targetILNS1_3genE9ELNS1_11target_archE1100ELNS1_3gpuE3ELNS1_3repE0EEENS1_30default_config_static_selectorELNS0_4arch9wavefront6targetE0EEEvS13_.private_seg_size, 0
	.set _ZN7rocprim17ROCPRIM_400000_NS6detail17trampoline_kernelINS0_13select_configILj256ELj13ELNS0_17block_load_methodE3ELS4_3ELS4_3ELNS0_20block_scan_algorithmE0ELj4294967295EEENS1_25partition_config_selectorILNS1_17partition_subalgoE4EjNS0_10empty_typeEbEEZZNS1_14partition_implILS8_4ELb0ES6_15HIP_vector_typeIjLj2EENS0_17counting_iteratorIjlEEPS9_SG_NS0_5tupleIJPjSI_NS0_16reverse_iteratorISI_EEEEENSH_IJSG_SG_SG_EEES9_SI_JZNS1_25segmented_radix_sort_implINS0_14default_configELb1EPK6__halfPSP_PKlPlN2at6native12_GLOBAL__N_18offset_tEEE10hipError_tPvRmT1_PNSt15iterator_traitsIS13_E10value_typeET2_T3_PNS14_IS19_E10value_typeET4_jRbjT5_S1F_jjP12ihipStream_tbEUljE_ZNSN_ISO_Lb1ESR_SS_SU_SV_SZ_EES10_S11_S12_S13_S17_S18_S19_S1C_S1D_jS1E_jS1F_S1F_jjS1H_bEUljE0_EEES10_S11_S12_S19_S1D_S1F_T6_T7_T9_mT8_S1H_bDpT10_ENKUlT_T0_E_clISt17integral_constantIbLb1EES1U_IbLb0EEEEDaS1Q_S1R_EUlS1Q_E_NS1_11comp_targetILNS1_3genE9ELNS1_11target_archE1100ELNS1_3gpuE3ELNS1_3repE0EEENS1_30default_config_static_selectorELNS0_4arch9wavefront6targetE0EEEvS13_.uses_vcc, 0
	.set _ZN7rocprim17ROCPRIM_400000_NS6detail17trampoline_kernelINS0_13select_configILj256ELj13ELNS0_17block_load_methodE3ELS4_3ELS4_3ELNS0_20block_scan_algorithmE0ELj4294967295EEENS1_25partition_config_selectorILNS1_17partition_subalgoE4EjNS0_10empty_typeEbEEZZNS1_14partition_implILS8_4ELb0ES6_15HIP_vector_typeIjLj2EENS0_17counting_iteratorIjlEEPS9_SG_NS0_5tupleIJPjSI_NS0_16reverse_iteratorISI_EEEEENSH_IJSG_SG_SG_EEES9_SI_JZNS1_25segmented_radix_sort_implINS0_14default_configELb1EPK6__halfPSP_PKlPlN2at6native12_GLOBAL__N_18offset_tEEE10hipError_tPvRmT1_PNSt15iterator_traitsIS13_E10value_typeET2_T3_PNS14_IS19_E10value_typeET4_jRbjT5_S1F_jjP12ihipStream_tbEUljE_ZNSN_ISO_Lb1ESR_SS_SU_SV_SZ_EES10_S11_S12_S13_S17_S18_S19_S1C_S1D_jS1E_jS1F_S1F_jjS1H_bEUljE0_EEES10_S11_S12_S19_S1D_S1F_T6_T7_T9_mT8_S1H_bDpT10_ENKUlT_T0_E_clISt17integral_constantIbLb1EES1U_IbLb0EEEEDaS1Q_S1R_EUlS1Q_E_NS1_11comp_targetILNS1_3genE9ELNS1_11target_archE1100ELNS1_3gpuE3ELNS1_3repE0EEENS1_30default_config_static_selectorELNS0_4arch9wavefront6targetE0EEEvS13_.uses_flat_scratch, 0
	.set _ZN7rocprim17ROCPRIM_400000_NS6detail17trampoline_kernelINS0_13select_configILj256ELj13ELNS0_17block_load_methodE3ELS4_3ELS4_3ELNS0_20block_scan_algorithmE0ELj4294967295EEENS1_25partition_config_selectorILNS1_17partition_subalgoE4EjNS0_10empty_typeEbEEZZNS1_14partition_implILS8_4ELb0ES6_15HIP_vector_typeIjLj2EENS0_17counting_iteratorIjlEEPS9_SG_NS0_5tupleIJPjSI_NS0_16reverse_iteratorISI_EEEEENSH_IJSG_SG_SG_EEES9_SI_JZNS1_25segmented_radix_sort_implINS0_14default_configELb1EPK6__halfPSP_PKlPlN2at6native12_GLOBAL__N_18offset_tEEE10hipError_tPvRmT1_PNSt15iterator_traitsIS13_E10value_typeET2_T3_PNS14_IS19_E10value_typeET4_jRbjT5_S1F_jjP12ihipStream_tbEUljE_ZNSN_ISO_Lb1ESR_SS_SU_SV_SZ_EES10_S11_S12_S13_S17_S18_S19_S1C_S1D_jS1E_jS1F_S1F_jjS1H_bEUljE0_EEES10_S11_S12_S19_S1D_S1F_T6_T7_T9_mT8_S1H_bDpT10_ENKUlT_T0_E_clISt17integral_constantIbLb1EES1U_IbLb0EEEEDaS1Q_S1R_EUlS1Q_E_NS1_11comp_targetILNS1_3genE9ELNS1_11target_archE1100ELNS1_3gpuE3ELNS1_3repE0EEENS1_30default_config_static_selectorELNS0_4arch9wavefront6targetE0EEEvS13_.has_dyn_sized_stack, 0
	.set _ZN7rocprim17ROCPRIM_400000_NS6detail17trampoline_kernelINS0_13select_configILj256ELj13ELNS0_17block_load_methodE3ELS4_3ELS4_3ELNS0_20block_scan_algorithmE0ELj4294967295EEENS1_25partition_config_selectorILNS1_17partition_subalgoE4EjNS0_10empty_typeEbEEZZNS1_14partition_implILS8_4ELb0ES6_15HIP_vector_typeIjLj2EENS0_17counting_iteratorIjlEEPS9_SG_NS0_5tupleIJPjSI_NS0_16reverse_iteratorISI_EEEEENSH_IJSG_SG_SG_EEES9_SI_JZNS1_25segmented_radix_sort_implINS0_14default_configELb1EPK6__halfPSP_PKlPlN2at6native12_GLOBAL__N_18offset_tEEE10hipError_tPvRmT1_PNSt15iterator_traitsIS13_E10value_typeET2_T3_PNS14_IS19_E10value_typeET4_jRbjT5_S1F_jjP12ihipStream_tbEUljE_ZNSN_ISO_Lb1ESR_SS_SU_SV_SZ_EES10_S11_S12_S13_S17_S18_S19_S1C_S1D_jS1E_jS1F_S1F_jjS1H_bEUljE0_EEES10_S11_S12_S19_S1D_S1F_T6_T7_T9_mT8_S1H_bDpT10_ENKUlT_T0_E_clISt17integral_constantIbLb1EES1U_IbLb0EEEEDaS1Q_S1R_EUlS1Q_E_NS1_11comp_targetILNS1_3genE9ELNS1_11target_archE1100ELNS1_3gpuE3ELNS1_3repE0EEENS1_30default_config_static_selectorELNS0_4arch9wavefront6targetE0EEEvS13_.has_recursion, 0
	.set _ZN7rocprim17ROCPRIM_400000_NS6detail17trampoline_kernelINS0_13select_configILj256ELj13ELNS0_17block_load_methodE3ELS4_3ELS4_3ELNS0_20block_scan_algorithmE0ELj4294967295EEENS1_25partition_config_selectorILNS1_17partition_subalgoE4EjNS0_10empty_typeEbEEZZNS1_14partition_implILS8_4ELb0ES6_15HIP_vector_typeIjLj2EENS0_17counting_iteratorIjlEEPS9_SG_NS0_5tupleIJPjSI_NS0_16reverse_iteratorISI_EEEEENSH_IJSG_SG_SG_EEES9_SI_JZNS1_25segmented_radix_sort_implINS0_14default_configELb1EPK6__halfPSP_PKlPlN2at6native12_GLOBAL__N_18offset_tEEE10hipError_tPvRmT1_PNSt15iterator_traitsIS13_E10value_typeET2_T3_PNS14_IS19_E10value_typeET4_jRbjT5_S1F_jjP12ihipStream_tbEUljE_ZNSN_ISO_Lb1ESR_SS_SU_SV_SZ_EES10_S11_S12_S13_S17_S18_S19_S1C_S1D_jS1E_jS1F_S1F_jjS1H_bEUljE0_EEES10_S11_S12_S19_S1D_S1F_T6_T7_T9_mT8_S1H_bDpT10_ENKUlT_T0_E_clISt17integral_constantIbLb1EES1U_IbLb0EEEEDaS1Q_S1R_EUlS1Q_E_NS1_11comp_targetILNS1_3genE9ELNS1_11target_archE1100ELNS1_3gpuE3ELNS1_3repE0EEENS1_30default_config_static_selectorELNS0_4arch9wavefront6targetE0EEEvS13_.has_indirect_call, 0
	.section	.AMDGPU.csdata,"",@progbits
; Kernel info:
; codeLenInByte = 0
; TotalNumSgprs: 0
; NumVgprs: 0
; ScratchSize: 0
; MemoryBound: 0
; FloatMode: 240
; IeeeMode: 1
; LDSByteSize: 0 bytes/workgroup (compile time only)
; SGPRBlocks: 0
; VGPRBlocks: 0
; NumSGPRsForWavesPerEU: 1
; NumVGPRsForWavesPerEU: 1
; Occupancy: 16
; WaveLimiterHint : 0
; COMPUTE_PGM_RSRC2:SCRATCH_EN: 0
; COMPUTE_PGM_RSRC2:USER_SGPR: 2
; COMPUTE_PGM_RSRC2:TRAP_HANDLER: 0
; COMPUTE_PGM_RSRC2:TGID_X_EN: 1
; COMPUTE_PGM_RSRC2:TGID_Y_EN: 0
; COMPUTE_PGM_RSRC2:TGID_Z_EN: 0
; COMPUTE_PGM_RSRC2:TIDIG_COMP_CNT: 0
	.section	.text._ZN7rocprim17ROCPRIM_400000_NS6detail17trampoline_kernelINS0_13select_configILj256ELj13ELNS0_17block_load_methodE3ELS4_3ELS4_3ELNS0_20block_scan_algorithmE0ELj4294967295EEENS1_25partition_config_selectorILNS1_17partition_subalgoE4EjNS0_10empty_typeEbEEZZNS1_14partition_implILS8_4ELb0ES6_15HIP_vector_typeIjLj2EENS0_17counting_iteratorIjlEEPS9_SG_NS0_5tupleIJPjSI_NS0_16reverse_iteratorISI_EEEEENSH_IJSG_SG_SG_EEES9_SI_JZNS1_25segmented_radix_sort_implINS0_14default_configELb1EPK6__halfPSP_PKlPlN2at6native12_GLOBAL__N_18offset_tEEE10hipError_tPvRmT1_PNSt15iterator_traitsIS13_E10value_typeET2_T3_PNS14_IS19_E10value_typeET4_jRbjT5_S1F_jjP12ihipStream_tbEUljE_ZNSN_ISO_Lb1ESR_SS_SU_SV_SZ_EES10_S11_S12_S13_S17_S18_S19_S1C_S1D_jS1E_jS1F_S1F_jjS1H_bEUljE0_EEES10_S11_S12_S19_S1D_S1F_T6_T7_T9_mT8_S1H_bDpT10_ENKUlT_T0_E_clISt17integral_constantIbLb1EES1U_IbLb0EEEEDaS1Q_S1R_EUlS1Q_E_NS1_11comp_targetILNS1_3genE8ELNS1_11target_archE1030ELNS1_3gpuE2ELNS1_3repE0EEENS1_30default_config_static_selectorELNS0_4arch9wavefront6targetE0EEEvS13_,"axG",@progbits,_ZN7rocprim17ROCPRIM_400000_NS6detail17trampoline_kernelINS0_13select_configILj256ELj13ELNS0_17block_load_methodE3ELS4_3ELS4_3ELNS0_20block_scan_algorithmE0ELj4294967295EEENS1_25partition_config_selectorILNS1_17partition_subalgoE4EjNS0_10empty_typeEbEEZZNS1_14partition_implILS8_4ELb0ES6_15HIP_vector_typeIjLj2EENS0_17counting_iteratorIjlEEPS9_SG_NS0_5tupleIJPjSI_NS0_16reverse_iteratorISI_EEEEENSH_IJSG_SG_SG_EEES9_SI_JZNS1_25segmented_radix_sort_implINS0_14default_configELb1EPK6__halfPSP_PKlPlN2at6native12_GLOBAL__N_18offset_tEEE10hipError_tPvRmT1_PNSt15iterator_traitsIS13_E10value_typeET2_T3_PNS14_IS19_E10value_typeET4_jRbjT5_S1F_jjP12ihipStream_tbEUljE_ZNSN_ISO_Lb1ESR_SS_SU_SV_SZ_EES10_S11_S12_S13_S17_S18_S19_S1C_S1D_jS1E_jS1F_S1F_jjS1H_bEUljE0_EEES10_S11_S12_S19_S1D_S1F_T6_T7_T9_mT8_S1H_bDpT10_ENKUlT_T0_E_clISt17integral_constantIbLb1EES1U_IbLb0EEEEDaS1Q_S1R_EUlS1Q_E_NS1_11comp_targetILNS1_3genE8ELNS1_11target_archE1030ELNS1_3gpuE2ELNS1_3repE0EEENS1_30default_config_static_selectorELNS0_4arch9wavefront6targetE0EEEvS13_,comdat
	.globl	_ZN7rocprim17ROCPRIM_400000_NS6detail17trampoline_kernelINS0_13select_configILj256ELj13ELNS0_17block_load_methodE3ELS4_3ELS4_3ELNS0_20block_scan_algorithmE0ELj4294967295EEENS1_25partition_config_selectorILNS1_17partition_subalgoE4EjNS0_10empty_typeEbEEZZNS1_14partition_implILS8_4ELb0ES6_15HIP_vector_typeIjLj2EENS0_17counting_iteratorIjlEEPS9_SG_NS0_5tupleIJPjSI_NS0_16reverse_iteratorISI_EEEEENSH_IJSG_SG_SG_EEES9_SI_JZNS1_25segmented_radix_sort_implINS0_14default_configELb1EPK6__halfPSP_PKlPlN2at6native12_GLOBAL__N_18offset_tEEE10hipError_tPvRmT1_PNSt15iterator_traitsIS13_E10value_typeET2_T3_PNS14_IS19_E10value_typeET4_jRbjT5_S1F_jjP12ihipStream_tbEUljE_ZNSN_ISO_Lb1ESR_SS_SU_SV_SZ_EES10_S11_S12_S13_S17_S18_S19_S1C_S1D_jS1E_jS1F_S1F_jjS1H_bEUljE0_EEES10_S11_S12_S19_S1D_S1F_T6_T7_T9_mT8_S1H_bDpT10_ENKUlT_T0_E_clISt17integral_constantIbLb1EES1U_IbLb0EEEEDaS1Q_S1R_EUlS1Q_E_NS1_11comp_targetILNS1_3genE8ELNS1_11target_archE1030ELNS1_3gpuE2ELNS1_3repE0EEENS1_30default_config_static_selectorELNS0_4arch9wavefront6targetE0EEEvS13_ ; -- Begin function _ZN7rocprim17ROCPRIM_400000_NS6detail17trampoline_kernelINS0_13select_configILj256ELj13ELNS0_17block_load_methodE3ELS4_3ELS4_3ELNS0_20block_scan_algorithmE0ELj4294967295EEENS1_25partition_config_selectorILNS1_17partition_subalgoE4EjNS0_10empty_typeEbEEZZNS1_14partition_implILS8_4ELb0ES6_15HIP_vector_typeIjLj2EENS0_17counting_iteratorIjlEEPS9_SG_NS0_5tupleIJPjSI_NS0_16reverse_iteratorISI_EEEEENSH_IJSG_SG_SG_EEES9_SI_JZNS1_25segmented_radix_sort_implINS0_14default_configELb1EPK6__halfPSP_PKlPlN2at6native12_GLOBAL__N_18offset_tEEE10hipError_tPvRmT1_PNSt15iterator_traitsIS13_E10value_typeET2_T3_PNS14_IS19_E10value_typeET4_jRbjT5_S1F_jjP12ihipStream_tbEUljE_ZNSN_ISO_Lb1ESR_SS_SU_SV_SZ_EES10_S11_S12_S13_S17_S18_S19_S1C_S1D_jS1E_jS1F_S1F_jjS1H_bEUljE0_EEES10_S11_S12_S19_S1D_S1F_T6_T7_T9_mT8_S1H_bDpT10_ENKUlT_T0_E_clISt17integral_constantIbLb1EES1U_IbLb0EEEEDaS1Q_S1R_EUlS1Q_E_NS1_11comp_targetILNS1_3genE8ELNS1_11target_archE1030ELNS1_3gpuE2ELNS1_3repE0EEENS1_30default_config_static_selectorELNS0_4arch9wavefront6targetE0EEEvS13_
	.p2align	8
	.type	_ZN7rocprim17ROCPRIM_400000_NS6detail17trampoline_kernelINS0_13select_configILj256ELj13ELNS0_17block_load_methodE3ELS4_3ELS4_3ELNS0_20block_scan_algorithmE0ELj4294967295EEENS1_25partition_config_selectorILNS1_17partition_subalgoE4EjNS0_10empty_typeEbEEZZNS1_14partition_implILS8_4ELb0ES6_15HIP_vector_typeIjLj2EENS0_17counting_iteratorIjlEEPS9_SG_NS0_5tupleIJPjSI_NS0_16reverse_iteratorISI_EEEEENSH_IJSG_SG_SG_EEES9_SI_JZNS1_25segmented_radix_sort_implINS0_14default_configELb1EPK6__halfPSP_PKlPlN2at6native12_GLOBAL__N_18offset_tEEE10hipError_tPvRmT1_PNSt15iterator_traitsIS13_E10value_typeET2_T3_PNS14_IS19_E10value_typeET4_jRbjT5_S1F_jjP12ihipStream_tbEUljE_ZNSN_ISO_Lb1ESR_SS_SU_SV_SZ_EES10_S11_S12_S13_S17_S18_S19_S1C_S1D_jS1E_jS1F_S1F_jjS1H_bEUljE0_EEES10_S11_S12_S19_S1D_S1F_T6_T7_T9_mT8_S1H_bDpT10_ENKUlT_T0_E_clISt17integral_constantIbLb1EES1U_IbLb0EEEEDaS1Q_S1R_EUlS1Q_E_NS1_11comp_targetILNS1_3genE8ELNS1_11target_archE1030ELNS1_3gpuE2ELNS1_3repE0EEENS1_30default_config_static_selectorELNS0_4arch9wavefront6targetE0EEEvS13_,@function
_ZN7rocprim17ROCPRIM_400000_NS6detail17trampoline_kernelINS0_13select_configILj256ELj13ELNS0_17block_load_methodE3ELS4_3ELS4_3ELNS0_20block_scan_algorithmE0ELj4294967295EEENS1_25partition_config_selectorILNS1_17partition_subalgoE4EjNS0_10empty_typeEbEEZZNS1_14partition_implILS8_4ELb0ES6_15HIP_vector_typeIjLj2EENS0_17counting_iteratorIjlEEPS9_SG_NS0_5tupleIJPjSI_NS0_16reverse_iteratorISI_EEEEENSH_IJSG_SG_SG_EEES9_SI_JZNS1_25segmented_radix_sort_implINS0_14default_configELb1EPK6__halfPSP_PKlPlN2at6native12_GLOBAL__N_18offset_tEEE10hipError_tPvRmT1_PNSt15iterator_traitsIS13_E10value_typeET2_T3_PNS14_IS19_E10value_typeET4_jRbjT5_S1F_jjP12ihipStream_tbEUljE_ZNSN_ISO_Lb1ESR_SS_SU_SV_SZ_EES10_S11_S12_S13_S17_S18_S19_S1C_S1D_jS1E_jS1F_S1F_jjS1H_bEUljE0_EEES10_S11_S12_S19_S1D_S1F_T6_T7_T9_mT8_S1H_bDpT10_ENKUlT_T0_E_clISt17integral_constantIbLb1EES1U_IbLb0EEEEDaS1Q_S1R_EUlS1Q_E_NS1_11comp_targetILNS1_3genE8ELNS1_11target_archE1030ELNS1_3gpuE2ELNS1_3repE0EEENS1_30default_config_static_selectorELNS0_4arch9wavefront6targetE0EEEvS13_: ; @_ZN7rocprim17ROCPRIM_400000_NS6detail17trampoline_kernelINS0_13select_configILj256ELj13ELNS0_17block_load_methodE3ELS4_3ELS4_3ELNS0_20block_scan_algorithmE0ELj4294967295EEENS1_25partition_config_selectorILNS1_17partition_subalgoE4EjNS0_10empty_typeEbEEZZNS1_14partition_implILS8_4ELb0ES6_15HIP_vector_typeIjLj2EENS0_17counting_iteratorIjlEEPS9_SG_NS0_5tupleIJPjSI_NS0_16reverse_iteratorISI_EEEEENSH_IJSG_SG_SG_EEES9_SI_JZNS1_25segmented_radix_sort_implINS0_14default_configELb1EPK6__halfPSP_PKlPlN2at6native12_GLOBAL__N_18offset_tEEE10hipError_tPvRmT1_PNSt15iterator_traitsIS13_E10value_typeET2_T3_PNS14_IS19_E10value_typeET4_jRbjT5_S1F_jjP12ihipStream_tbEUljE_ZNSN_ISO_Lb1ESR_SS_SU_SV_SZ_EES10_S11_S12_S13_S17_S18_S19_S1C_S1D_jS1E_jS1F_S1F_jjS1H_bEUljE0_EEES10_S11_S12_S19_S1D_S1F_T6_T7_T9_mT8_S1H_bDpT10_ENKUlT_T0_E_clISt17integral_constantIbLb1EES1U_IbLb0EEEEDaS1Q_S1R_EUlS1Q_E_NS1_11comp_targetILNS1_3genE8ELNS1_11target_archE1030ELNS1_3gpuE2ELNS1_3repE0EEENS1_30default_config_static_selectorELNS0_4arch9wavefront6targetE0EEEvS13_
; %bb.0:
	.section	.rodata,"a",@progbits
	.p2align	6, 0x0
	.amdhsa_kernel _ZN7rocprim17ROCPRIM_400000_NS6detail17trampoline_kernelINS0_13select_configILj256ELj13ELNS0_17block_load_methodE3ELS4_3ELS4_3ELNS0_20block_scan_algorithmE0ELj4294967295EEENS1_25partition_config_selectorILNS1_17partition_subalgoE4EjNS0_10empty_typeEbEEZZNS1_14partition_implILS8_4ELb0ES6_15HIP_vector_typeIjLj2EENS0_17counting_iteratorIjlEEPS9_SG_NS0_5tupleIJPjSI_NS0_16reverse_iteratorISI_EEEEENSH_IJSG_SG_SG_EEES9_SI_JZNS1_25segmented_radix_sort_implINS0_14default_configELb1EPK6__halfPSP_PKlPlN2at6native12_GLOBAL__N_18offset_tEEE10hipError_tPvRmT1_PNSt15iterator_traitsIS13_E10value_typeET2_T3_PNS14_IS19_E10value_typeET4_jRbjT5_S1F_jjP12ihipStream_tbEUljE_ZNSN_ISO_Lb1ESR_SS_SU_SV_SZ_EES10_S11_S12_S13_S17_S18_S19_S1C_S1D_jS1E_jS1F_S1F_jjS1H_bEUljE0_EEES10_S11_S12_S19_S1D_S1F_T6_T7_T9_mT8_S1H_bDpT10_ENKUlT_T0_E_clISt17integral_constantIbLb1EES1U_IbLb0EEEEDaS1Q_S1R_EUlS1Q_E_NS1_11comp_targetILNS1_3genE8ELNS1_11target_archE1030ELNS1_3gpuE2ELNS1_3repE0EEENS1_30default_config_static_selectorELNS0_4arch9wavefront6targetE0EEEvS13_
		.amdhsa_group_segment_fixed_size 0
		.amdhsa_private_segment_fixed_size 0
		.amdhsa_kernarg_size 176
		.amdhsa_user_sgpr_count 2
		.amdhsa_user_sgpr_dispatch_ptr 0
		.amdhsa_user_sgpr_queue_ptr 0
		.amdhsa_user_sgpr_kernarg_segment_ptr 1
		.amdhsa_user_sgpr_dispatch_id 0
		.amdhsa_user_sgpr_private_segment_size 0
		.amdhsa_wavefront_size32 1
		.amdhsa_uses_dynamic_stack 0
		.amdhsa_enable_private_segment 0
		.amdhsa_system_sgpr_workgroup_id_x 1
		.amdhsa_system_sgpr_workgroup_id_y 0
		.amdhsa_system_sgpr_workgroup_id_z 0
		.amdhsa_system_sgpr_workgroup_info 0
		.amdhsa_system_vgpr_workitem_id 0
		.amdhsa_next_free_vgpr 1
		.amdhsa_next_free_sgpr 1
		.amdhsa_reserve_vcc 0
		.amdhsa_float_round_mode_32 0
		.amdhsa_float_round_mode_16_64 0
		.amdhsa_float_denorm_mode_32 3
		.amdhsa_float_denorm_mode_16_64 3
		.amdhsa_fp16_overflow 0
		.amdhsa_workgroup_processor_mode 1
		.amdhsa_memory_ordered 1
		.amdhsa_forward_progress 1
		.amdhsa_inst_pref_size 0
		.amdhsa_round_robin_scheduling 0
		.amdhsa_exception_fp_ieee_invalid_op 0
		.amdhsa_exception_fp_denorm_src 0
		.amdhsa_exception_fp_ieee_div_zero 0
		.amdhsa_exception_fp_ieee_overflow 0
		.amdhsa_exception_fp_ieee_underflow 0
		.amdhsa_exception_fp_ieee_inexact 0
		.amdhsa_exception_int_div_zero 0
	.end_amdhsa_kernel
	.section	.text._ZN7rocprim17ROCPRIM_400000_NS6detail17trampoline_kernelINS0_13select_configILj256ELj13ELNS0_17block_load_methodE3ELS4_3ELS4_3ELNS0_20block_scan_algorithmE0ELj4294967295EEENS1_25partition_config_selectorILNS1_17partition_subalgoE4EjNS0_10empty_typeEbEEZZNS1_14partition_implILS8_4ELb0ES6_15HIP_vector_typeIjLj2EENS0_17counting_iteratorIjlEEPS9_SG_NS0_5tupleIJPjSI_NS0_16reverse_iteratorISI_EEEEENSH_IJSG_SG_SG_EEES9_SI_JZNS1_25segmented_radix_sort_implINS0_14default_configELb1EPK6__halfPSP_PKlPlN2at6native12_GLOBAL__N_18offset_tEEE10hipError_tPvRmT1_PNSt15iterator_traitsIS13_E10value_typeET2_T3_PNS14_IS19_E10value_typeET4_jRbjT5_S1F_jjP12ihipStream_tbEUljE_ZNSN_ISO_Lb1ESR_SS_SU_SV_SZ_EES10_S11_S12_S13_S17_S18_S19_S1C_S1D_jS1E_jS1F_S1F_jjS1H_bEUljE0_EEES10_S11_S12_S19_S1D_S1F_T6_T7_T9_mT8_S1H_bDpT10_ENKUlT_T0_E_clISt17integral_constantIbLb1EES1U_IbLb0EEEEDaS1Q_S1R_EUlS1Q_E_NS1_11comp_targetILNS1_3genE8ELNS1_11target_archE1030ELNS1_3gpuE2ELNS1_3repE0EEENS1_30default_config_static_selectorELNS0_4arch9wavefront6targetE0EEEvS13_,"axG",@progbits,_ZN7rocprim17ROCPRIM_400000_NS6detail17trampoline_kernelINS0_13select_configILj256ELj13ELNS0_17block_load_methodE3ELS4_3ELS4_3ELNS0_20block_scan_algorithmE0ELj4294967295EEENS1_25partition_config_selectorILNS1_17partition_subalgoE4EjNS0_10empty_typeEbEEZZNS1_14partition_implILS8_4ELb0ES6_15HIP_vector_typeIjLj2EENS0_17counting_iteratorIjlEEPS9_SG_NS0_5tupleIJPjSI_NS0_16reverse_iteratorISI_EEEEENSH_IJSG_SG_SG_EEES9_SI_JZNS1_25segmented_radix_sort_implINS0_14default_configELb1EPK6__halfPSP_PKlPlN2at6native12_GLOBAL__N_18offset_tEEE10hipError_tPvRmT1_PNSt15iterator_traitsIS13_E10value_typeET2_T3_PNS14_IS19_E10value_typeET4_jRbjT5_S1F_jjP12ihipStream_tbEUljE_ZNSN_ISO_Lb1ESR_SS_SU_SV_SZ_EES10_S11_S12_S13_S17_S18_S19_S1C_S1D_jS1E_jS1F_S1F_jjS1H_bEUljE0_EEES10_S11_S12_S19_S1D_S1F_T6_T7_T9_mT8_S1H_bDpT10_ENKUlT_T0_E_clISt17integral_constantIbLb1EES1U_IbLb0EEEEDaS1Q_S1R_EUlS1Q_E_NS1_11comp_targetILNS1_3genE8ELNS1_11target_archE1030ELNS1_3gpuE2ELNS1_3repE0EEENS1_30default_config_static_selectorELNS0_4arch9wavefront6targetE0EEEvS13_,comdat
.Lfunc_end1698:
	.size	_ZN7rocprim17ROCPRIM_400000_NS6detail17trampoline_kernelINS0_13select_configILj256ELj13ELNS0_17block_load_methodE3ELS4_3ELS4_3ELNS0_20block_scan_algorithmE0ELj4294967295EEENS1_25partition_config_selectorILNS1_17partition_subalgoE4EjNS0_10empty_typeEbEEZZNS1_14partition_implILS8_4ELb0ES6_15HIP_vector_typeIjLj2EENS0_17counting_iteratorIjlEEPS9_SG_NS0_5tupleIJPjSI_NS0_16reverse_iteratorISI_EEEEENSH_IJSG_SG_SG_EEES9_SI_JZNS1_25segmented_radix_sort_implINS0_14default_configELb1EPK6__halfPSP_PKlPlN2at6native12_GLOBAL__N_18offset_tEEE10hipError_tPvRmT1_PNSt15iterator_traitsIS13_E10value_typeET2_T3_PNS14_IS19_E10value_typeET4_jRbjT5_S1F_jjP12ihipStream_tbEUljE_ZNSN_ISO_Lb1ESR_SS_SU_SV_SZ_EES10_S11_S12_S13_S17_S18_S19_S1C_S1D_jS1E_jS1F_S1F_jjS1H_bEUljE0_EEES10_S11_S12_S19_S1D_S1F_T6_T7_T9_mT8_S1H_bDpT10_ENKUlT_T0_E_clISt17integral_constantIbLb1EES1U_IbLb0EEEEDaS1Q_S1R_EUlS1Q_E_NS1_11comp_targetILNS1_3genE8ELNS1_11target_archE1030ELNS1_3gpuE2ELNS1_3repE0EEENS1_30default_config_static_selectorELNS0_4arch9wavefront6targetE0EEEvS13_, .Lfunc_end1698-_ZN7rocprim17ROCPRIM_400000_NS6detail17trampoline_kernelINS0_13select_configILj256ELj13ELNS0_17block_load_methodE3ELS4_3ELS4_3ELNS0_20block_scan_algorithmE0ELj4294967295EEENS1_25partition_config_selectorILNS1_17partition_subalgoE4EjNS0_10empty_typeEbEEZZNS1_14partition_implILS8_4ELb0ES6_15HIP_vector_typeIjLj2EENS0_17counting_iteratorIjlEEPS9_SG_NS0_5tupleIJPjSI_NS0_16reverse_iteratorISI_EEEEENSH_IJSG_SG_SG_EEES9_SI_JZNS1_25segmented_radix_sort_implINS0_14default_configELb1EPK6__halfPSP_PKlPlN2at6native12_GLOBAL__N_18offset_tEEE10hipError_tPvRmT1_PNSt15iterator_traitsIS13_E10value_typeET2_T3_PNS14_IS19_E10value_typeET4_jRbjT5_S1F_jjP12ihipStream_tbEUljE_ZNSN_ISO_Lb1ESR_SS_SU_SV_SZ_EES10_S11_S12_S13_S17_S18_S19_S1C_S1D_jS1E_jS1F_S1F_jjS1H_bEUljE0_EEES10_S11_S12_S19_S1D_S1F_T6_T7_T9_mT8_S1H_bDpT10_ENKUlT_T0_E_clISt17integral_constantIbLb1EES1U_IbLb0EEEEDaS1Q_S1R_EUlS1Q_E_NS1_11comp_targetILNS1_3genE8ELNS1_11target_archE1030ELNS1_3gpuE2ELNS1_3repE0EEENS1_30default_config_static_selectorELNS0_4arch9wavefront6targetE0EEEvS13_
                                        ; -- End function
	.set _ZN7rocprim17ROCPRIM_400000_NS6detail17trampoline_kernelINS0_13select_configILj256ELj13ELNS0_17block_load_methodE3ELS4_3ELS4_3ELNS0_20block_scan_algorithmE0ELj4294967295EEENS1_25partition_config_selectorILNS1_17partition_subalgoE4EjNS0_10empty_typeEbEEZZNS1_14partition_implILS8_4ELb0ES6_15HIP_vector_typeIjLj2EENS0_17counting_iteratorIjlEEPS9_SG_NS0_5tupleIJPjSI_NS0_16reverse_iteratorISI_EEEEENSH_IJSG_SG_SG_EEES9_SI_JZNS1_25segmented_radix_sort_implINS0_14default_configELb1EPK6__halfPSP_PKlPlN2at6native12_GLOBAL__N_18offset_tEEE10hipError_tPvRmT1_PNSt15iterator_traitsIS13_E10value_typeET2_T3_PNS14_IS19_E10value_typeET4_jRbjT5_S1F_jjP12ihipStream_tbEUljE_ZNSN_ISO_Lb1ESR_SS_SU_SV_SZ_EES10_S11_S12_S13_S17_S18_S19_S1C_S1D_jS1E_jS1F_S1F_jjS1H_bEUljE0_EEES10_S11_S12_S19_S1D_S1F_T6_T7_T9_mT8_S1H_bDpT10_ENKUlT_T0_E_clISt17integral_constantIbLb1EES1U_IbLb0EEEEDaS1Q_S1R_EUlS1Q_E_NS1_11comp_targetILNS1_3genE8ELNS1_11target_archE1030ELNS1_3gpuE2ELNS1_3repE0EEENS1_30default_config_static_selectorELNS0_4arch9wavefront6targetE0EEEvS13_.num_vgpr, 0
	.set _ZN7rocprim17ROCPRIM_400000_NS6detail17trampoline_kernelINS0_13select_configILj256ELj13ELNS0_17block_load_methodE3ELS4_3ELS4_3ELNS0_20block_scan_algorithmE0ELj4294967295EEENS1_25partition_config_selectorILNS1_17partition_subalgoE4EjNS0_10empty_typeEbEEZZNS1_14partition_implILS8_4ELb0ES6_15HIP_vector_typeIjLj2EENS0_17counting_iteratorIjlEEPS9_SG_NS0_5tupleIJPjSI_NS0_16reverse_iteratorISI_EEEEENSH_IJSG_SG_SG_EEES9_SI_JZNS1_25segmented_radix_sort_implINS0_14default_configELb1EPK6__halfPSP_PKlPlN2at6native12_GLOBAL__N_18offset_tEEE10hipError_tPvRmT1_PNSt15iterator_traitsIS13_E10value_typeET2_T3_PNS14_IS19_E10value_typeET4_jRbjT5_S1F_jjP12ihipStream_tbEUljE_ZNSN_ISO_Lb1ESR_SS_SU_SV_SZ_EES10_S11_S12_S13_S17_S18_S19_S1C_S1D_jS1E_jS1F_S1F_jjS1H_bEUljE0_EEES10_S11_S12_S19_S1D_S1F_T6_T7_T9_mT8_S1H_bDpT10_ENKUlT_T0_E_clISt17integral_constantIbLb1EES1U_IbLb0EEEEDaS1Q_S1R_EUlS1Q_E_NS1_11comp_targetILNS1_3genE8ELNS1_11target_archE1030ELNS1_3gpuE2ELNS1_3repE0EEENS1_30default_config_static_selectorELNS0_4arch9wavefront6targetE0EEEvS13_.num_agpr, 0
	.set _ZN7rocprim17ROCPRIM_400000_NS6detail17trampoline_kernelINS0_13select_configILj256ELj13ELNS0_17block_load_methodE3ELS4_3ELS4_3ELNS0_20block_scan_algorithmE0ELj4294967295EEENS1_25partition_config_selectorILNS1_17partition_subalgoE4EjNS0_10empty_typeEbEEZZNS1_14partition_implILS8_4ELb0ES6_15HIP_vector_typeIjLj2EENS0_17counting_iteratorIjlEEPS9_SG_NS0_5tupleIJPjSI_NS0_16reverse_iteratorISI_EEEEENSH_IJSG_SG_SG_EEES9_SI_JZNS1_25segmented_radix_sort_implINS0_14default_configELb1EPK6__halfPSP_PKlPlN2at6native12_GLOBAL__N_18offset_tEEE10hipError_tPvRmT1_PNSt15iterator_traitsIS13_E10value_typeET2_T3_PNS14_IS19_E10value_typeET4_jRbjT5_S1F_jjP12ihipStream_tbEUljE_ZNSN_ISO_Lb1ESR_SS_SU_SV_SZ_EES10_S11_S12_S13_S17_S18_S19_S1C_S1D_jS1E_jS1F_S1F_jjS1H_bEUljE0_EEES10_S11_S12_S19_S1D_S1F_T6_T7_T9_mT8_S1H_bDpT10_ENKUlT_T0_E_clISt17integral_constantIbLb1EES1U_IbLb0EEEEDaS1Q_S1R_EUlS1Q_E_NS1_11comp_targetILNS1_3genE8ELNS1_11target_archE1030ELNS1_3gpuE2ELNS1_3repE0EEENS1_30default_config_static_selectorELNS0_4arch9wavefront6targetE0EEEvS13_.numbered_sgpr, 0
	.set _ZN7rocprim17ROCPRIM_400000_NS6detail17trampoline_kernelINS0_13select_configILj256ELj13ELNS0_17block_load_methodE3ELS4_3ELS4_3ELNS0_20block_scan_algorithmE0ELj4294967295EEENS1_25partition_config_selectorILNS1_17partition_subalgoE4EjNS0_10empty_typeEbEEZZNS1_14partition_implILS8_4ELb0ES6_15HIP_vector_typeIjLj2EENS0_17counting_iteratorIjlEEPS9_SG_NS0_5tupleIJPjSI_NS0_16reverse_iteratorISI_EEEEENSH_IJSG_SG_SG_EEES9_SI_JZNS1_25segmented_radix_sort_implINS0_14default_configELb1EPK6__halfPSP_PKlPlN2at6native12_GLOBAL__N_18offset_tEEE10hipError_tPvRmT1_PNSt15iterator_traitsIS13_E10value_typeET2_T3_PNS14_IS19_E10value_typeET4_jRbjT5_S1F_jjP12ihipStream_tbEUljE_ZNSN_ISO_Lb1ESR_SS_SU_SV_SZ_EES10_S11_S12_S13_S17_S18_S19_S1C_S1D_jS1E_jS1F_S1F_jjS1H_bEUljE0_EEES10_S11_S12_S19_S1D_S1F_T6_T7_T9_mT8_S1H_bDpT10_ENKUlT_T0_E_clISt17integral_constantIbLb1EES1U_IbLb0EEEEDaS1Q_S1R_EUlS1Q_E_NS1_11comp_targetILNS1_3genE8ELNS1_11target_archE1030ELNS1_3gpuE2ELNS1_3repE0EEENS1_30default_config_static_selectorELNS0_4arch9wavefront6targetE0EEEvS13_.num_named_barrier, 0
	.set _ZN7rocprim17ROCPRIM_400000_NS6detail17trampoline_kernelINS0_13select_configILj256ELj13ELNS0_17block_load_methodE3ELS4_3ELS4_3ELNS0_20block_scan_algorithmE0ELj4294967295EEENS1_25partition_config_selectorILNS1_17partition_subalgoE4EjNS0_10empty_typeEbEEZZNS1_14partition_implILS8_4ELb0ES6_15HIP_vector_typeIjLj2EENS0_17counting_iteratorIjlEEPS9_SG_NS0_5tupleIJPjSI_NS0_16reverse_iteratorISI_EEEEENSH_IJSG_SG_SG_EEES9_SI_JZNS1_25segmented_radix_sort_implINS0_14default_configELb1EPK6__halfPSP_PKlPlN2at6native12_GLOBAL__N_18offset_tEEE10hipError_tPvRmT1_PNSt15iterator_traitsIS13_E10value_typeET2_T3_PNS14_IS19_E10value_typeET4_jRbjT5_S1F_jjP12ihipStream_tbEUljE_ZNSN_ISO_Lb1ESR_SS_SU_SV_SZ_EES10_S11_S12_S13_S17_S18_S19_S1C_S1D_jS1E_jS1F_S1F_jjS1H_bEUljE0_EEES10_S11_S12_S19_S1D_S1F_T6_T7_T9_mT8_S1H_bDpT10_ENKUlT_T0_E_clISt17integral_constantIbLb1EES1U_IbLb0EEEEDaS1Q_S1R_EUlS1Q_E_NS1_11comp_targetILNS1_3genE8ELNS1_11target_archE1030ELNS1_3gpuE2ELNS1_3repE0EEENS1_30default_config_static_selectorELNS0_4arch9wavefront6targetE0EEEvS13_.private_seg_size, 0
	.set _ZN7rocprim17ROCPRIM_400000_NS6detail17trampoline_kernelINS0_13select_configILj256ELj13ELNS0_17block_load_methodE3ELS4_3ELS4_3ELNS0_20block_scan_algorithmE0ELj4294967295EEENS1_25partition_config_selectorILNS1_17partition_subalgoE4EjNS0_10empty_typeEbEEZZNS1_14partition_implILS8_4ELb0ES6_15HIP_vector_typeIjLj2EENS0_17counting_iteratorIjlEEPS9_SG_NS0_5tupleIJPjSI_NS0_16reverse_iteratorISI_EEEEENSH_IJSG_SG_SG_EEES9_SI_JZNS1_25segmented_radix_sort_implINS0_14default_configELb1EPK6__halfPSP_PKlPlN2at6native12_GLOBAL__N_18offset_tEEE10hipError_tPvRmT1_PNSt15iterator_traitsIS13_E10value_typeET2_T3_PNS14_IS19_E10value_typeET4_jRbjT5_S1F_jjP12ihipStream_tbEUljE_ZNSN_ISO_Lb1ESR_SS_SU_SV_SZ_EES10_S11_S12_S13_S17_S18_S19_S1C_S1D_jS1E_jS1F_S1F_jjS1H_bEUljE0_EEES10_S11_S12_S19_S1D_S1F_T6_T7_T9_mT8_S1H_bDpT10_ENKUlT_T0_E_clISt17integral_constantIbLb1EES1U_IbLb0EEEEDaS1Q_S1R_EUlS1Q_E_NS1_11comp_targetILNS1_3genE8ELNS1_11target_archE1030ELNS1_3gpuE2ELNS1_3repE0EEENS1_30default_config_static_selectorELNS0_4arch9wavefront6targetE0EEEvS13_.uses_vcc, 0
	.set _ZN7rocprim17ROCPRIM_400000_NS6detail17trampoline_kernelINS0_13select_configILj256ELj13ELNS0_17block_load_methodE3ELS4_3ELS4_3ELNS0_20block_scan_algorithmE0ELj4294967295EEENS1_25partition_config_selectorILNS1_17partition_subalgoE4EjNS0_10empty_typeEbEEZZNS1_14partition_implILS8_4ELb0ES6_15HIP_vector_typeIjLj2EENS0_17counting_iteratorIjlEEPS9_SG_NS0_5tupleIJPjSI_NS0_16reverse_iteratorISI_EEEEENSH_IJSG_SG_SG_EEES9_SI_JZNS1_25segmented_radix_sort_implINS0_14default_configELb1EPK6__halfPSP_PKlPlN2at6native12_GLOBAL__N_18offset_tEEE10hipError_tPvRmT1_PNSt15iterator_traitsIS13_E10value_typeET2_T3_PNS14_IS19_E10value_typeET4_jRbjT5_S1F_jjP12ihipStream_tbEUljE_ZNSN_ISO_Lb1ESR_SS_SU_SV_SZ_EES10_S11_S12_S13_S17_S18_S19_S1C_S1D_jS1E_jS1F_S1F_jjS1H_bEUljE0_EEES10_S11_S12_S19_S1D_S1F_T6_T7_T9_mT8_S1H_bDpT10_ENKUlT_T0_E_clISt17integral_constantIbLb1EES1U_IbLb0EEEEDaS1Q_S1R_EUlS1Q_E_NS1_11comp_targetILNS1_3genE8ELNS1_11target_archE1030ELNS1_3gpuE2ELNS1_3repE0EEENS1_30default_config_static_selectorELNS0_4arch9wavefront6targetE0EEEvS13_.uses_flat_scratch, 0
	.set _ZN7rocprim17ROCPRIM_400000_NS6detail17trampoline_kernelINS0_13select_configILj256ELj13ELNS0_17block_load_methodE3ELS4_3ELS4_3ELNS0_20block_scan_algorithmE0ELj4294967295EEENS1_25partition_config_selectorILNS1_17partition_subalgoE4EjNS0_10empty_typeEbEEZZNS1_14partition_implILS8_4ELb0ES6_15HIP_vector_typeIjLj2EENS0_17counting_iteratorIjlEEPS9_SG_NS0_5tupleIJPjSI_NS0_16reverse_iteratorISI_EEEEENSH_IJSG_SG_SG_EEES9_SI_JZNS1_25segmented_radix_sort_implINS0_14default_configELb1EPK6__halfPSP_PKlPlN2at6native12_GLOBAL__N_18offset_tEEE10hipError_tPvRmT1_PNSt15iterator_traitsIS13_E10value_typeET2_T3_PNS14_IS19_E10value_typeET4_jRbjT5_S1F_jjP12ihipStream_tbEUljE_ZNSN_ISO_Lb1ESR_SS_SU_SV_SZ_EES10_S11_S12_S13_S17_S18_S19_S1C_S1D_jS1E_jS1F_S1F_jjS1H_bEUljE0_EEES10_S11_S12_S19_S1D_S1F_T6_T7_T9_mT8_S1H_bDpT10_ENKUlT_T0_E_clISt17integral_constantIbLb1EES1U_IbLb0EEEEDaS1Q_S1R_EUlS1Q_E_NS1_11comp_targetILNS1_3genE8ELNS1_11target_archE1030ELNS1_3gpuE2ELNS1_3repE0EEENS1_30default_config_static_selectorELNS0_4arch9wavefront6targetE0EEEvS13_.has_dyn_sized_stack, 0
	.set _ZN7rocprim17ROCPRIM_400000_NS6detail17trampoline_kernelINS0_13select_configILj256ELj13ELNS0_17block_load_methodE3ELS4_3ELS4_3ELNS0_20block_scan_algorithmE0ELj4294967295EEENS1_25partition_config_selectorILNS1_17partition_subalgoE4EjNS0_10empty_typeEbEEZZNS1_14partition_implILS8_4ELb0ES6_15HIP_vector_typeIjLj2EENS0_17counting_iteratorIjlEEPS9_SG_NS0_5tupleIJPjSI_NS0_16reverse_iteratorISI_EEEEENSH_IJSG_SG_SG_EEES9_SI_JZNS1_25segmented_radix_sort_implINS0_14default_configELb1EPK6__halfPSP_PKlPlN2at6native12_GLOBAL__N_18offset_tEEE10hipError_tPvRmT1_PNSt15iterator_traitsIS13_E10value_typeET2_T3_PNS14_IS19_E10value_typeET4_jRbjT5_S1F_jjP12ihipStream_tbEUljE_ZNSN_ISO_Lb1ESR_SS_SU_SV_SZ_EES10_S11_S12_S13_S17_S18_S19_S1C_S1D_jS1E_jS1F_S1F_jjS1H_bEUljE0_EEES10_S11_S12_S19_S1D_S1F_T6_T7_T9_mT8_S1H_bDpT10_ENKUlT_T0_E_clISt17integral_constantIbLb1EES1U_IbLb0EEEEDaS1Q_S1R_EUlS1Q_E_NS1_11comp_targetILNS1_3genE8ELNS1_11target_archE1030ELNS1_3gpuE2ELNS1_3repE0EEENS1_30default_config_static_selectorELNS0_4arch9wavefront6targetE0EEEvS13_.has_recursion, 0
	.set _ZN7rocprim17ROCPRIM_400000_NS6detail17trampoline_kernelINS0_13select_configILj256ELj13ELNS0_17block_load_methodE3ELS4_3ELS4_3ELNS0_20block_scan_algorithmE0ELj4294967295EEENS1_25partition_config_selectorILNS1_17partition_subalgoE4EjNS0_10empty_typeEbEEZZNS1_14partition_implILS8_4ELb0ES6_15HIP_vector_typeIjLj2EENS0_17counting_iteratorIjlEEPS9_SG_NS0_5tupleIJPjSI_NS0_16reverse_iteratorISI_EEEEENSH_IJSG_SG_SG_EEES9_SI_JZNS1_25segmented_radix_sort_implINS0_14default_configELb1EPK6__halfPSP_PKlPlN2at6native12_GLOBAL__N_18offset_tEEE10hipError_tPvRmT1_PNSt15iterator_traitsIS13_E10value_typeET2_T3_PNS14_IS19_E10value_typeET4_jRbjT5_S1F_jjP12ihipStream_tbEUljE_ZNSN_ISO_Lb1ESR_SS_SU_SV_SZ_EES10_S11_S12_S13_S17_S18_S19_S1C_S1D_jS1E_jS1F_S1F_jjS1H_bEUljE0_EEES10_S11_S12_S19_S1D_S1F_T6_T7_T9_mT8_S1H_bDpT10_ENKUlT_T0_E_clISt17integral_constantIbLb1EES1U_IbLb0EEEEDaS1Q_S1R_EUlS1Q_E_NS1_11comp_targetILNS1_3genE8ELNS1_11target_archE1030ELNS1_3gpuE2ELNS1_3repE0EEENS1_30default_config_static_selectorELNS0_4arch9wavefront6targetE0EEEvS13_.has_indirect_call, 0
	.section	.AMDGPU.csdata,"",@progbits
; Kernel info:
; codeLenInByte = 0
; TotalNumSgprs: 0
; NumVgprs: 0
; ScratchSize: 0
; MemoryBound: 0
; FloatMode: 240
; IeeeMode: 1
; LDSByteSize: 0 bytes/workgroup (compile time only)
; SGPRBlocks: 0
; VGPRBlocks: 0
; NumSGPRsForWavesPerEU: 1
; NumVGPRsForWavesPerEU: 1
; Occupancy: 16
; WaveLimiterHint : 0
; COMPUTE_PGM_RSRC2:SCRATCH_EN: 0
; COMPUTE_PGM_RSRC2:USER_SGPR: 2
; COMPUTE_PGM_RSRC2:TRAP_HANDLER: 0
; COMPUTE_PGM_RSRC2:TGID_X_EN: 1
; COMPUTE_PGM_RSRC2:TGID_Y_EN: 0
; COMPUTE_PGM_RSRC2:TGID_Z_EN: 0
; COMPUTE_PGM_RSRC2:TIDIG_COMP_CNT: 0
	.section	.text._ZN7rocprim17ROCPRIM_400000_NS6detail17trampoline_kernelINS0_13select_configILj256ELj13ELNS0_17block_load_methodE3ELS4_3ELS4_3ELNS0_20block_scan_algorithmE0ELj4294967295EEENS1_25partition_config_selectorILNS1_17partition_subalgoE4EjNS0_10empty_typeEbEEZZNS1_14partition_implILS8_4ELb0ES6_15HIP_vector_typeIjLj2EENS0_17counting_iteratorIjlEEPS9_SG_NS0_5tupleIJPjSI_NS0_16reverse_iteratorISI_EEEEENSH_IJSG_SG_SG_EEES9_SI_JZNS1_25segmented_radix_sort_implINS0_14default_configELb1EPK6__halfPSP_PKlPlN2at6native12_GLOBAL__N_18offset_tEEE10hipError_tPvRmT1_PNSt15iterator_traitsIS13_E10value_typeET2_T3_PNS14_IS19_E10value_typeET4_jRbjT5_S1F_jjP12ihipStream_tbEUljE_ZNSN_ISO_Lb1ESR_SS_SU_SV_SZ_EES10_S11_S12_S13_S17_S18_S19_S1C_S1D_jS1E_jS1F_S1F_jjS1H_bEUljE0_EEES10_S11_S12_S19_S1D_S1F_T6_T7_T9_mT8_S1H_bDpT10_ENKUlT_T0_E_clISt17integral_constantIbLb0EES1U_IbLb1EEEEDaS1Q_S1R_EUlS1Q_E_NS1_11comp_targetILNS1_3genE0ELNS1_11target_archE4294967295ELNS1_3gpuE0ELNS1_3repE0EEENS1_30default_config_static_selectorELNS0_4arch9wavefront6targetE0EEEvS13_,"axG",@progbits,_ZN7rocprim17ROCPRIM_400000_NS6detail17trampoline_kernelINS0_13select_configILj256ELj13ELNS0_17block_load_methodE3ELS4_3ELS4_3ELNS0_20block_scan_algorithmE0ELj4294967295EEENS1_25partition_config_selectorILNS1_17partition_subalgoE4EjNS0_10empty_typeEbEEZZNS1_14partition_implILS8_4ELb0ES6_15HIP_vector_typeIjLj2EENS0_17counting_iteratorIjlEEPS9_SG_NS0_5tupleIJPjSI_NS0_16reverse_iteratorISI_EEEEENSH_IJSG_SG_SG_EEES9_SI_JZNS1_25segmented_radix_sort_implINS0_14default_configELb1EPK6__halfPSP_PKlPlN2at6native12_GLOBAL__N_18offset_tEEE10hipError_tPvRmT1_PNSt15iterator_traitsIS13_E10value_typeET2_T3_PNS14_IS19_E10value_typeET4_jRbjT5_S1F_jjP12ihipStream_tbEUljE_ZNSN_ISO_Lb1ESR_SS_SU_SV_SZ_EES10_S11_S12_S13_S17_S18_S19_S1C_S1D_jS1E_jS1F_S1F_jjS1H_bEUljE0_EEES10_S11_S12_S19_S1D_S1F_T6_T7_T9_mT8_S1H_bDpT10_ENKUlT_T0_E_clISt17integral_constantIbLb0EES1U_IbLb1EEEEDaS1Q_S1R_EUlS1Q_E_NS1_11comp_targetILNS1_3genE0ELNS1_11target_archE4294967295ELNS1_3gpuE0ELNS1_3repE0EEENS1_30default_config_static_selectorELNS0_4arch9wavefront6targetE0EEEvS13_,comdat
	.globl	_ZN7rocprim17ROCPRIM_400000_NS6detail17trampoline_kernelINS0_13select_configILj256ELj13ELNS0_17block_load_methodE3ELS4_3ELS4_3ELNS0_20block_scan_algorithmE0ELj4294967295EEENS1_25partition_config_selectorILNS1_17partition_subalgoE4EjNS0_10empty_typeEbEEZZNS1_14partition_implILS8_4ELb0ES6_15HIP_vector_typeIjLj2EENS0_17counting_iteratorIjlEEPS9_SG_NS0_5tupleIJPjSI_NS0_16reverse_iteratorISI_EEEEENSH_IJSG_SG_SG_EEES9_SI_JZNS1_25segmented_radix_sort_implINS0_14default_configELb1EPK6__halfPSP_PKlPlN2at6native12_GLOBAL__N_18offset_tEEE10hipError_tPvRmT1_PNSt15iterator_traitsIS13_E10value_typeET2_T3_PNS14_IS19_E10value_typeET4_jRbjT5_S1F_jjP12ihipStream_tbEUljE_ZNSN_ISO_Lb1ESR_SS_SU_SV_SZ_EES10_S11_S12_S13_S17_S18_S19_S1C_S1D_jS1E_jS1F_S1F_jjS1H_bEUljE0_EEES10_S11_S12_S19_S1D_S1F_T6_T7_T9_mT8_S1H_bDpT10_ENKUlT_T0_E_clISt17integral_constantIbLb0EES1U_IbLb1EEEEDaS1Q_S1R_EUlS1Q_E_NS1_11comp_targetILNS1_3genE0ELNS1_11target_archE4294967295ELNS1_3gpuE0ELNS1_3repE0EEENS1_30default_config_static_selectorELNS0_4arch9wavefront6targetE0EEEvS13_ ; -- Begin function _ZN7rocprim17ROCPRIM_400000_NS6detail17trampoline_kernelINS0_13select_configILj256ELj13ELNS0_17block_load_methodE3ELS4_3ELS4_3ELNS0_20block_scan_algorithmE0ELj4294967295EEENS1_25partition_config_selectorILNS1_17partition_subalgoE4EjNS0_10empty_typeEbEEZZNS1_14partition_implILS8_4ELb0ES6_15HIP_vector_typeIjLj2EENS0_17counting_iteratorIjlEEPS9_SG_NS0_5tupleIJPjSI_NS0_16reverse_iteratorISI_EEEEENSH_IJSG_SG_SG_EEES9_SI_JZNS1_25segmented_radix_sort_implINS0_14default_configELb1EPK6__halfPSP_PKlPlN2at6native12_GLOBAL__N_18offset_tEEE10hipError_tPvRmT1_PNSt15iterator_traitsIS13_E10value_typeET2_T3_PNS14_IS19_E10value_typeET4_jRbjT5_S1F_jjP12ihipStream_tbEUljE_ZNSN_ISO_Lb1ESR_SS_SU_SV_SZ_EES10_S11_S12_S13_S17_S18_S19_S1C_S1D_jS1E_jS1F_S1F_jjS1H_bEUljE0_EEES10_S11_S12_S19_S1D_S1F_T6_T7_T9_mT8_S1H_bDpT10_ENKUlT_T0_E_clISt17integral_constantIbLb0EES1U_IbLb1EEEEDaS1Q_S1R_EUlS1Q_E_NS1_11comp_targetILNS1_3genE0ELNS1_11target_archE4294967295ELNS1_3gpuE0ELNS1_3repE0EEENS1_30default_config_static_selectorELNS0_4arch9wavefront6targetE0EEEvS13_
	.p2align	8
	.type	_ZN7rocprim17ROCPRIM_400000_NS6detail17trampoline_kernelINS0_13select_configILj256ELj13ELNS0_17block_load_methodE3ELS4_3ELS4_3ELNS0_20block_scan_algorithmE0ELj4294967295EEENS1_25partition_config_selectorILNS1_17partition_subalgoE4EjNS0_10empty_typeEbEEZZNS1_14partition_implILS8_4ELb0ES6_15HIP_vector_typeIjLj2EENS0_17counting_iteratorIjlEEPS9_SG_NS0_5tupleIJPjSI_NS0_16reverse_iteratorISI_EEEEENSH_IJSG_SG_SG_EEES9_SI_JZNS1_25segmented_radix_sort_implINS0_14default_configELb1EPK6__halfPSP_PKlPlN2at6native12_GLOBAL__N_18offset_tEEE10hipError_tPvRmT1_PNSt15iterator_traitsIS13_E10value_typeET2_T3_PNS14_IS19_E10value_typeET4_jRbjT5_S1F_jjP12ihipStream_tbEUljE_ZNSN_ISO_Lb1ESR_SS_SU_SV_SZ_EES10_S11_S12_S13_S17_S18_S19_S1C_S1D_jS1E_jS1F_S1F_jjS1H_bEUljE0_EEES10_S11_S12_S19_S1D_S1F_T6_T7_T9_mT8_S1H_bDpT10_ENKUlT_T0_E_clISt17integral_constantIbLb0EES1U_IbLb1EEEEDaS1Q_S1R_EUlS1Q_E_NS1_11comp_targetILNS1_3genE0ELNS1_11target_archE4294967295ELNS1_3gpuE0ELNS1_3repE0EEENS1_30default_config_static_selectorELNS0_4arch9wavefront6targetE0EEEvS13_,@function
_ZN7rocprim17ROCPRIM_400000_NS6detail17trampoline_kernelINS0_13select_configILj256ELj13ELNS0_17block_load_methodE3ELS4_3ELS4_3ELNS0_20block_scan_algorithmE0ELj4294967295EEENS1_25partition_config_selectorILNS1_17partition_subalgoE4EjNS0_10empty_typeEbEEZZNS1_14partition_implILS8_4ELb0ES6_15HIP_vector_typeIjLj2EENS0_17counting_iteratorIjlEEPS9_SG_NS0_5tupleIJPjSI_NS0_16reverse_iteratorISI_EEEEENSH_IJSG_SG_SG_EEES9_SI_JZNS1_25segmented_radix_sort_implINS0_14default_configELb1EPK6__halfPSP_PKlPlN2at6native12_GLOBAL__N_18offset_tEEE10hipError_tPvRmT1_PNSt15iterator_traitsIS13_E10value_typeET2_T3_PNS14_IS19_E10value_typeET4_jRbjT5_S1F_jjP12ihipStream_tbEUljE_ZNSN_ISO_Lb1ESR_SS_SU_SV_SZ_EES10_S11_S12_S13_S17_S18_S19_S1C_S1D_jS1E_jS1F_S1F_jjS1H_bEUljE0_EEES10_S11_S12_S19_S1D_S1F_T6_T7_T9_mT8_S1H_bDpT10_ENKUlT_T0_E_clISt17integral_constantIbLb0EES1U_IbLb1EEEEDaS1Q_S1R_EUlS1Q_E_NS1_11comp_targetILNS1_3genE0ELNS1_11target_archE4294967295ELNS1_3gpuE0ELNS1_3repE0EEENS1_30default_config_static_selectorELNS0_4arch9wavefront6targetE0EEEvS13_: ; @_ZN7rocprim17ROCPRIM_400000_NS6detail17trampoline_kernelINS0_13select_configILj256ELj13ELNS0_17block_load_methodE3ELS4_3ELS4_3ELNS0_20block_scan_algorithmE0ELj4294967295EEENS1_25partition_config_selectorILNS1_17partition_subalgoE4EjNS0_10empty_typeEbEEZZNS1_14partition_implILS8_4ELb0ES6_15HIP_vector_typeIjLj2EENS0_17counting_iteratorIjlEEPS9_SG_NS0_5tupleIJPjSI_NS0_16reverse_iteratorISI_EEEEENSH_IJSG_SG_SG_EEES9_SI_JZNS1_25segmented_radix_sort_implINS0_14default_configELb1EPK6__halfPSP_PKlPlN2at6native12_GLOBAL__N_18offset_tEEE10hipError_tPvRmT1_PNSt15iterator_traitsIS13_E10value_typeET2_T3_PNS14_IS19_E10value_typeET4_jRbjT5_S1F_jjP12ihipStream_tbEUljE_ZNSN_ISO_Lb1ESR_SS_SU_SV_SZ_EES10_S11_S12_S13_S17_S18_S19_S1C_S1D_jS1E_jS1F_S1F_jjS1H_bEUljE0_EEES10_S11_S12_S19_S1D_S1F_T6_T7_T9_mT8_S1H_bDpT10_ENKUlT_T0_E_clISt17integral_constantIbLb0EES1U_IbLb1EEEEDaS1Q_S1R_EUlS1Q_E_NS1_11comp_targetILNS1_3genE0ELNS1_11target_archE4294967295ELNS1_3gpuE0ELNS1_3repE0EEENS1_30default_config_static_selectorELNS0_4arch9wavefront6targetE0EEEvS13_
; %bb.0:
	.section	.rodata,"a",@progbits
	.p2align	6, 0x0
	.amdhsa_kernel _ZN7rocprim17ROCPRIM_400000_NS6detail17trampoline_kernelINS0_13select_configILj256ELj13ELNS0_17block_load_methodE3ELS4_3ELS4_3ELNS0_20block_scan_algorithmE0ELj4294967295EEENS1_25partition_config_selectorILNS1_17partition_subalgoE4EjNS0_10empty_typeEbEEZZNS1_14partition_implILS8_4ELb0ES6_15HIP_vector_typeIjLj2EENS0_17counting_iteratorIjlEEPS9_SG_NS0_5tupleIJPjSI_NS0_16reverse_iteratorISI_EEEEENSH_IJSG_SG_SG_EEES9_SI_JZNS1_25segmented_radix_sort_implINS0_14default_configELb1EPK6__halfPSP_PKlPlN2at6native12_GLOBAL__N_18offset_tEEE10hipError_tPvRmT1_PNSt15iterator_traitsIS13_E10value_typeET2_T3_PNS14_IS19_E10value_typeET4_jRbjT5_S1F_jjP12ihipStream_tbEUljE_ZNSN_ISO_Lb1ESR_SS_SU_SV_SZ_EES10_S11_S12_S13_S17_S18_S19_S1C_S1D_jS1E_jS1F_S1F_jjS1H_bEUljE0_EEES10_S11_S12_S19_S1D_S1F_T6_T7_T9_mT8_S1H_bDpT10_ENKUlT_T0_E_clISt17integral_constantIbLb0EES1U_IbLb1EEEEDaS1Q_S1R_EUlS1Q_E_NS1_11comp_targetILNS1_3genE0ELNS1_11target_archE4294967295ELNS1_3gpuE0ELNS1_3repE0EEENS1_30default_config_static_selectorELNS0_4arch9wavefront6targetE0EEEvS13_
		.amdhsa_group_segment_fixed_size 0
		.amdhsa_private_segment_fixed_size 0
		.amdhsa_kernarg_size 184
		.amdhsa_user_sgpr_count 2
		.amdhsa_user_sgpr_dispatch_ptr 0
		.amdhsa_user_sgpr_queue_ptr 0
		.amdhsa_user_sgpr_kernarg_segment_ptr 1
		.amdhsa_user_sgpr_dispatch_id 0
		.amdhsa_user_sgpr_private_segment_size 0
		.amdhsa_wavefront_size32 1
		.amdhsa_uses_dynamic_stack 0
		.amdhsa_enable_private_segment 0
		.amdhsa_system_sgpr_workgroup_id_x 1
		.amdhsa_system_sgpr_workgroup_id_y 0
		.amdhsa_system_sgpr_workgroup_id_z 0
		.amdhsa_system_sgpr_workgroup_info 0
		.amdhsa_system_vgpr_workitem_id 0
		.amdhsa_next_free_vgpr 1
		.amdhsa_next_free_sgpr 1
		.amdhsa_reserve_vcc 0
		.amdhsa_float_round_mode_32 0
		.amdhsa_float_round_mode_16_64 0
		.amdhsa_float_denorm_mode_32 3
		.amdhsa_float_denorm_mode_16_64 3
		.amdhsa_fp16_overflow 0
		.amdhsa_workgroup_processor_mode 1
		.amdhsa_memory_ordered 1
		.amdhsa_forward_progress 1
		.amdhsa_inst_pref_size 0
		.amdhsa_round_robin_scheduling 0
		.amdhsa_exception_fp_ieee_invalid_op 0
		.amdhsa_exception_fp_denorm_src 0
		.amdhsa_exception_fp_ieee_div_zero 0
		.amdhsa_exception_fp_ieee_overflow 0
		.amdhsa_exception_fp_ieee_underflow 0
		.amdhsa_exception_fp_ieee_inexact 0
		.amdhsa_exception_int_div_zero 0
	.end_amdhsa_kernel
	.section	.text._ZN7rocprim17ROCPRIM_400000_NS6detail17trampoline_kernelINS0_13select_configILj256ELj13ELNS0_17block_load_methodE3ELS4_3ELS4_3ELNS0_20block_scan_algorithmE0ELj4294967295EEENS1_25partition_config_selectorILNS1_17partition_subalgoE4EjNS0_10empty_typeEbEEZZNS1_14partition_implILS8_4ELb0ES6_15HIP_vector_typeIjLj2EENS0_17counting_iteratorIjlEEPS9_SG_NS0_5tupleIJPjSI_NS0_16reverse_iteratorISI_EEEEENSH_IJSG_SG_SG_EEES9_SI_JZNS1_25segmented_radix_sort_implINS0_14default_configELb1EPK6__halfPSP_PKlPlN2at6native12_GLOBAL__N_18offset_tEEE10hipError_tPvRmT1_PNSt15iterator_traitsIS13_E10value_typeET2_T3_PNS14_IS19_E10value_typeET4_jRbjT5_S1F_jjP12ihipStream_tbEUljE_ZNSN_ISO_Lb1ESR_SS_SU_SV_SZ_EES10_S11_S12_S13_S17_S18_S19_S1C_S1D_jS1E_jS1F_S1F_jjS1H_bEUljE0_EEES10_S11_S12_S19_S1D_S1F_T6_T7_T9_mT8_S1H_bDpT10_ENKUlT_T0_E_clISt17integral_constantIbLb0EES1U_IbLb1EEEEDaS1Q_S1R_EUlS1Q_E_NS1_11comp_targetILNS1_3genE0ELNS1_11target_archE4294967295ELNS1_3gpuE0ELNS1_3repE0EEENS1_30default_config_static_selectorELNS0_4arch9wavefront6targetE0EEEvS13_,"axG",@progbits,_ZN7rocprim17ROCPRIM_400000_NS6detail17trampoline_kernelINS0_13select_configILj256ELj13ELNS0_17block_load_methodE3ELS4_3ELS4_3ELNS0_20block_scan_algorithmE0ELj4294967295EEENS1_25partition_config_selectorILNS1_17partition_subalgoE4EjNS0_10empty_typeEbEEZZNS1_14partition_implILS8_4ELb0ES6_15HIP_vector_typeIjLj2EENS0_17counting_iteratorIjlEEPS9_SG_NS0_5tupleIJPjSI_NS0_16reverse_iteratorISI_EEEEENSH_IJSG_SG_SG_EEES9_SI_JZNS1_25segmented_radix_sort_implINS0_14default_configELb1EPK6__halfPSP_PKlPlN2at6native12_GLOBAL__N_18offset_tEEE10hipError_tPvRmT1_PNSt15iterator_traitsIS13_E10value_typeET2_T3_PNS14_IS19_E10value_typeET4_jRbjT5_S1F_jjP12ihipStream_tbEUljE_ZNSN_ISO_Lb1ESR_SS_SU_SV_SZ_EES10_S11_S12_S13_S17_S18_S19_S1C_S1D_jS1E_jS1F_S1F_jjS1H_bEUljE0_EEES10_S11_S12_S19_S1D_S1F_T6_T7_T9_mT8_S1H_bDpT10_ENKUlT_T0_E_clISt17integral_constantIbLb0EES1U_IbLb1EEEEDaS1Q_S1R_EUlS1Q_E_NS1_11comp_targetILNS1_3genE0ELNS1_11target_archE4294967295ELNS1_3gpuE0ELNS1_3repE0EEENS1_30default_config_static_selectorELNS0_4arch9wavefront6targetE0EEEvS13_,comdat
.Lfunc_end1699:
	.size	_ZN7rocprim17ROCPRIM_400000_NS6detail17trampoline_kernelINS0_13select_configILj256ELj13ELNS0_17block_load_methodE3ELS4_3ELS4_3ELNS0_20block_scan_algorithmE0ELj4294967295EEENS1_25partition_config_selectorILNS1_17partition_subalgoE4EjNS0_10empty_typeEbEEZZNS1_14partition_implILS8_4ELb0ES6_15HIP_vector_typeIjLj2EENS0_17counting_iteratorIjlEEPS9_SG_NS0_5tupleIJPjSI_NS0_16reverse_iteratorISI_EEEEENSH_IJSG_SG_SG_EEES9_SI_JZNS1_25segmented_radix_sort_implINS0_14default_configELb1EPK6__halfPSP_PKlPlN2at6native12_GLOBAL__N_18offset_tEEE10hipError_tPvRmT1_PNSt15iterator_traitsIS13_E10value_typeET2_T3_PNS14_IS19_E10value_typeET4_jRbjT5_S1F_jjP12ihipStream_tbEUljE_ZNSN_ISO_Lb1ESR_SS_SU_SV_SZ_EES10_S11_S12_S13_S17_S18_S19_S1C_S1D_jS1E_jS1F_S1F_jjS1H_bEUljE0_EEES10_S11_S12_S19_S1D_S1F_T6_T7_T9_mT8_S1H_bDpT10_ENKUlT_T0_E_clISt17integral_constantIbLb0EES1U_IbLb1EEEEDaS1Q_S1R_EUlS1Q_E_NS1_11comp_targetILNS1_3genE0ELNS1_11target_archE4294967295ELNS1_3gpuE0ELNS1_3repE0EEENS1_30default_config_static_selectorELNS0_4arch9wavefront6targetE0EEEvS13_, .Lfunc_end1699-_ZN7rocprim17ROCPRIM_400000_NS6detail17trampoline_kernelINS0_13select_configILj256ELj13ELNS0_17block_load_methodE3ELS4_3ELS4_3ELNS0_20block_scan_algorithmE0ELj4294967295EEENS1_25partition_config_selectorILNS1_17partition_subalgoE4EjNS0_10empty_typeEbEEZZNS1_14partition_implILS8_4ELb0ES6_15HIP_vector_typeIjLj2EENS0_17counting_iteratorIjlEEPS9_SG_NS0_5tupleIJPjSI_NS0_16reverse_iteratorISI_EEEEENSH_IJSG_SG_SG_EEES9_SI_JZNS1_25segmented_radix_sort_implINS0_14default_configELb1EPK6__halfPSP_PKlPlN2at6native12_GLOBAL__N_18offset_tEEE10hipError_tPvRmT1_PNSt15iterator_traitsIS13_E10value_typeET2_T3_PNS14_IS19_E10value_typeET4_jRbjT5_S1F_jjP12ihipStream_tbEUljE_ZNSN_ISO_Lb1ESR_SS_SU_SV_SZ_EES10_S11_S12_S13_S17_S18_S19_S1C_S1D_jS1E_jS1F_S1F_jjS1H_bEUljE0_EEES10_S11_S12_S19_S1D_S1F_T6_T7_T9_mT8_S1H_bDpT10_ENKUlT_T0_E_clISt17integral_constantIbLb0EES1U_IbLb1EEEEDaS1Q_S1R_EUlS1Q_E_NS1_11comp_targetILNS1_3genE0ELNS1_11target_archE4294967295ELNS1_3gpuE0ELNS1_3repE0EEENS1_30default_config_static_selectorELNS0_4arch9wavefront6targetE0EEEvS13_
                                        ; -- End function
	.set _ZN7rocprim17ROCPRIM_400000_NS6detail17trampoline_kernelINS0_13select_configILj256ELj13ELNS0_17block_load_methodE3ELS4_3ELS4_3ELNS0_20block_scan_algorithmE0ELj4294967295EEENS1_25partition_config_selectorILNS1_17partition_subalgoE4EjNS0_10empty_typeEbEEZZNS1_14partition_implILS8_4ELb0ES6_15HIP_vector_typeIjLj2EENS0_17counting_iteratorIjlEEPS9_SG_NS0_5tupleIJPjSI_NS0_16reverse_iteratorISI_EEEEENSH_IJSG_SG_SG_EEES9_SI_JZNS1_25segmented_radix_sort_implINS0_14default_configELb1EPK6__halfPSP_PKlPlN2at6native12_GLOBAL__N_18offset_tEEE10hipError_tPvRmT1_PNSt15iterator_traitsIS13_E10value_typeET2_T3_PNS14_IS19_E10value_typeET4_jRbjT5_S1F_jjP12ihipStream_tbEUljE_ZNSN_ISO_Lb1ESR_SS_SU_SV_SZ_EES10_S11_S12_S13_S17_S18_S19_S1C_S1D_jS1E_jS1F_S1F_jjS1H_bEUljE0_EEES10_S11_S12_S19_S1D_S1F_T6_T7_T9_mT8_S1H_bDpT10_ENKUlT_T0_E_clISt17integral_constantIbLb0EES1U_IbLb1EEEEDaS1Q_S1R_EUlS1Q_E_NS1_11comp_targetILNS1_3genE0ELNS1_11target_archE4294967295ELNS1_3gpuE0ELNS1_3repE0EEENS1_30default_config_static_selectorELNS0_4arch9wavefront6targetE0EEEvS13_.num_vgpr, 0
	.set _ZN7rocprim17ROCPRIM_400000_NS6detail17trampoline_kernelINS0_13select_configILj256ELj13ELNS0_17block_load_methodE3ELS4_3ELS4_3ELNS0_20block_scan_algorithmE0ELj4294967295EEENS1_25partition_config_selectorILNS1_17partition_subalgoE4EjNS0_10empty_typeEbEEZZNS1_14partition_implILS8_4ELb0ES6_15HIP_vector_typeIjLj2EENS0_17counting_iteratorIjlEEPS9_SG_NS0_5tupleIJPjSI_NS0_16reverse_iteratorISI_EEEEENSH_IJSG_SG_SG_EEES9_SI_JZNS1_25segmented_radix_sort_implINS0_14default_configELb1EPK6__halfPSP_PKlPlN2at6native12_GLOBAL__N_18offset_tEEE10hipError_tPvRmT1_PNSt15iterator_traitsIS13_E10value_typeET2_T3_PNS14_IS19_E10value_typeET4_jRbjT5_S1F_jjP12ihipStream_tbEUljE_ZNSN_ISO_Lb1ESR_SS_SU_SV_SZ_EES10_S11_S12_S13_S17_S18_S19_S1C_S1D_jS1E_jS1F_S1F_jjS1H_bEUljE0_EEES10_S11_S12_S19_S1D_S1F_T6_T7_T9_mT8_S1H_bDpT10_ENKUlT_T0_E_clISt17integral_constantIbLb0EES1U_IbLb1EEEEDaS1Q_S1R_EUlS1Q_E_NS1_11comp_targetILNS1_3genE0ELNS1_11target_archE4294967295ELNS1_3gpuE0ELNS1_3repE0EEENS1_30default_config_static_selectorELNS0_4arch9wavefront6targetE0EEEvS13_.num_agpr, 0
	.set _ZN7rocprim17ROCPRIM_400000_NS6detail17trampoline_kernelINS0_13select_configILj256ELj13ELNS0_17block_load_methodE3ELS4_3ELS4_3ELNS0_20block_scan_algorithmE0ELj4294967295EEENS1_25partition_config_selectorILNS1_17partition_subalgoE4EjNS0_10empty_typeEbEEZZNS1_14partition_implILS8_4ELb0ES6_15HIP_vector_typeIjLj2EENS0_17counting_iteratorIjlEEPS9_SG_NS0_5tupleIJPjSI_NS0_16reverse_iteratorISI_EEEEENSH_IJSG_SG_SG_EEES9_SI_JZNS1_25segmented_radix_sort_implINS0_14default_configELb1EPK6__halfPSP_PKlPlN2at6native12_GLOBAL__N_18offset_tEEE10hipError_tPvRmT1_PNSt15iterator_traitsIS13_E10value_typeET2_T3_PNS14_IS19_E10value_typeET4_jRbjT5_S1F_jjP12ihipStream_tbEUljE_ZNSN_ISO_Lb1ESR_SS_SU_SV_SZ_EES10_S11_S12_S13_S17_S18_S19_S1C_S1D_jS1E_jS1F_S1F_jjS1H_bEUljE0_EEES10_S11_S12_S19_S1D_S1F_T6_T7_T9_mT8_S1H_bDpT10_ENKUlT_T0_E_clISt17integral_constantIbLb0EES1U_IbLb1EEEEDaS1Q_S1R_EUlS1Q_E_NS1_11comp_targetILNS1_3genE0ELNS1_11target_archE4294967295ELNS1_3gpuE0ELNS1_3repE0EEENS1_30default_config_static_selectorELNS0_4arch9wavefront6targetE0EEEvS13_.numbered_sgpr, 0
	.set _ZN7rocprim17ROCPRIM_400000_NS6detail17trampoline_kernelINS0_13select_configILj256ELj13ELNS0_17block_load_methodE3ELS4_3ELS4_3ELNS0_20block_scan_algorithmE0ELj4294967295EEENS1_25partition_config_selectorILNS1_17partition_subalgoE4EjNS0_10empty_typeEbEEZZNS1_14partition_implILS8_4ELb0ES6_15HIP_vector_typeIjLj2EENS0_17counting_iteratorIjlEEPS9_SG_NS0_5tupleIJPjSI_NS0_16reverse_iteratorISI_EEEEENSH_IJSG_SG_SG_EEES9_SI_JZNS1_25segmented_radix_sort_implINS0_14default_configELb1EPK6__halfPSP_PKlPlN2at6native12_GLOBAL__N_18offset_tEEE10hipError_tPvRmT1_PNSt15iterator_traitsIS13_E10value_typeET2_T3_PNS14_IS19_E10value_typeET4_jRbjT5_S1F_jjP12ihipStream_tbEUljE_ZNSN_ISO_Lb1ESR_SS_SU_SV_SZ_EES10_S11_S12_S13_S17_S18_S19_S1C_S1D_jS1E_jS1F_S1F_jjS1H_bEUljE0_EEES10_S11_S12_S19_S1D_S1F_T6_T7_T9_mT8_S1H_bDpT10_ENKUlT_T0_E_clISt17integral_constantIbLb0EES1U_IbLb1EEEEDaS1Q_S1R_EUlS1Q_E_NS1_11comp_targetILNS1_3genE0ELNS1_11target_archE4294967295ELNS1_3gpuE0ELNS1_3repE0EEENS1_30default_config_static_selectorELNS0_4arch9wavefront6targetE0EEEvS13_.num_named_barrier, 0
	.set _ZN7rocprim17ROCPRIM_400000_NS6detail17trampoline_kernelINS0_13select_configILj256ELj13ELNS0_17block_load_methodE3ELS4_3ELS4_3ELNS0_20block_scan_algorithmE0ELj4294967295EEENS1_25partition_config_selectorILNS1_17partition_subalgoE4EjNS0_10empty_typeEbEEZZNS1_14partition_implILS8_4ELb0ES6_15HIP_vector_typeIjLj2EENS0_17counting_iteratorIjlEEPS9_SG_NS0_5tupleIJPjSI_NS0_16reverse_iteratorISI_EEEEENSH_IJSG_SG_SG_EEES9_SI_JZNS1_25segmented_radix_sort_implINS0_14default_configELb1EPK6__halfPSP_PKlPlN2at6native12_GLOBAL__N_18offset_tEEE10hipError_tPvRmT1_PNSt15iterator_traitsIS13_E10value_typeET2_T3_PNS14_IS19_E10value_typeET4_jRbjT5_S1F_jjP12ihipStream_tbEUljE_ZNSN_ISO_Lb1ESR_SS_SU_SV_SZ_EES10_S11_S12_S13_S17_S18_S19_S1C_S1D_jS1E_jS1F_S1F_jjS1H_bEUljE0_EEES10_S11_S12_S19_S1D_S1F_T6_T7_T9_mT8_S1H_bDpT10_ENKUlT_T0_E_clISt17integral_constantIbLb0EES1U_IbLb1EEEEDaS1Q_S1R_EUlS1Q_E_NS1_11comp_targetILNS1_3genE0ELNS1_11target_archE4294967295ELNS1_3gpuE0ELNS1_3repE0EEENS1_30default_config_static_selectorELNS0_4arch9wavefront6targetE0EEEvS13_.private_seg_size, 0
	.set _ZN7rocprim17ROCPRIM_400000_NS6detail17trampoline_kernelINS0_13select_configILj256ELj13ELNS0_17block_load_methodE3ELS4_3ELS4_3ELNS0_20block_scan_algorithmE0ELj4294967295EEENS1_25partition_config_selectorILNS1_17partition_subalgoE4EjNS0_10empty_typeEbEEZZNS1_14partition_implILS8_4ELb0ES6_15HIP_vector_typeIjLj2EENS0_17counting_iteratorIjlEEPS9_SG_NS0_5tupleIJPjSI_NS0_16reverse_iteratorISI_EEEEENSH_IJSG_SG_SG_EEES9_SI_JZNS1_25segmented_radix_sort_implINS0_14default_configELb1EPK6__halfPSP_PKlPlN2at6native12_GLOBAL__N_18offset_tEEE10hipError_tPvRmT1_PNSt15iterator_traitsIS13_E10value_typeET2_T3_PNS14_IS19_E10value_typeET4_jRbjT5_S1F_jjP12ihipStream_tbEUljE_ZNSN_ISO_Lb1ESR_SS_SU_SV_SZ_EES10_S11_S12_S13_S17_S18_S19_S1C_S1D_jS1E_jS1F_S1F_jjS1H_bEUljE0_EEES10_S11_S12_S19_S1D_S1F_T6_T7_T9_mT8_S1H_bDpT10_ENKUlT_T0_E_clISt17integral_constantIbLb0EES1U_IbLb1EEEEDaS1Q_S1R_EUlS1Q_E_NS1_11comp_targetILNS1_3genE0ELNS1_11target_archE4294967295ELNS1_3gpuE0ELNS1_3repE0EEENS1_30default_config_static_selectorELNS0_4arch9wavefront6targetE0EEEvS13_.uses_vcc, 0
	.set _ZN7rocprim17ROCPRIM_400000_NS6detail17trampoline_kernelINS0_13select_configILj256ELj13ELNS0_17block_load_methodE3ELS4_3ELS4_3ELNS0_20block_scan_algorithmE0ELj4294967295EEENS1_25partition_config_selectorILNS1_17partition_subalgoE4EjNS0_10empty_typeEbEEZZNS1_14partition_implILS8_4ELb0ES6_15HIP_vector_typeIjLj2EENS0_17counting_iteratorIjlEEPS9_SG_NS0_5tupleIJPjSI_NS0_16reverse_iteratorISI_EEEEENSH_IJSG_SG_SG_EEES9_SI_JZNS1_25segmented_radix_sort_implINS0_14default_configELb1EPK6__halfPSP_PKlPlN2at6native12_GLOBAL__N_18offset_tEEE10hipError_tPvRmT1_PNSt15iterator_traitsIS13_E10value_typeET2_T3_PNS14_IS19_E10value_typeET4_jRbjT5_S1F_jjP12ihipStream_tbEUljE_ZNSN_ISO_Lb1ESR_SS_SU_SV_SZ_EES10_S11_S12_S13_S17_S18_S19_S1C_S1D_jS1E_jS1F_S1F_jjS1H_bEUljE0_EEES10_S11_S12_S19_S1D_S1F_T6_T7_T9_mT8_S1H_bDpT10_ENKUlT_T0_E_clISt17integral_constantIbLb0EES1U_IbLb1EEEEDaS1Q_S1R_EUlS1Q_E_NS1_11comp_targetILNS1_3genE0ELNS1_11target_archE4294967295ELNS1_3gpuE0ELNS1_3repE0EEENS1_30default_config_static_selectorELNS0_4arch9wavefront6targetE0EEEvS13_.uses_flat_scratch, 0
	.set _ZN7rocprim17ROCPRIM_400000_NS6detail17trampoline_kernelINS0_13select_configILj256ELj13ELNS0_17block_load_methodE3ELS4_3ELS4_3ELNS0_20block_scan_algorithmE0ELj4294967295EEENS1_25partition_config_selectorILNS1_17partition_subalgoE4EjNS0_10empty_typeEbEEZZNS1_14partition_implILS8_4ELb0ES6_15HIP_vector_typeIjLj2EENS0_17counting_iteratorIjlEEPS9_SG_NS0_5tupleIJPjSI_NS0_16reverse_iteratorISI_EEEEENSH_IJSG_SG_SG_EEES9_SI_JZNS1_25segmented_radix_sort_implINS0_14default_configELb1EPK6__halfPSP_PKlPlN2at6native12_GLOBAL__N_18offset_tEEE10hipError_tPvRmT1_PNSt15iterator_traitsIS13_E10value_typeET2_T3_PNS14_IS19_E10value_typeET4_jRbjT5_S1F_jjP12ihipStream_tbEUljE_ZNSN_ISO_Lb1ESR_SS_SU_SV_SZ_EES10_S11_S12_S13_S17_S18_S19_S1C_S1D_jS1E_jS1F_S1F_jjS1H_bEUljE0_EEES10_S11_S12_S19_S1D_S1F_T6_T7_T9_mT8_S1H_bDpT10_ENKUlT_T0_E_clISt17integral_constantIbLb0EES1U_IbLb1EEEEDaS1Q_S1R_EUlS1Q_E_NS1_11comp_targetILNS1_3genE0ELNS1_11target_archE4294967295ELNS1_3gpuE0ELNS1_3repE0EEENS1_30default_config_static_selectorELNS0_4arch9wavefront6targetE0EEEvS13_.has_dyn_sized_stack, 0
	.set _ZN7rocprim17ROCPRIM_400000_NS6detail17trampoline_kernelINS0_13select_configILj256ELj13ELNS0_17block_load_methodE3ELS4_3ELS4_3ELNS0_20block_scan_algorithmE0ELj4294967295EEENS1_25partition_config_selectorILNS1_17partition_subalgoE4EjNS0_10empty_typeEbEEZZNS1_14partition_implILS8_4ELb0ES6_15HIP_vector_typeIjLj2EENS0_17counting_iteratorIjlEEPS9_SG_NS0_5tupleIJPjSI_NS0_16reverse_iteratorISI_EEEEENSH_IJSG_SG_SG_EEES9_SI_JZNS1_25segmented_radix_sort_implINS0_14default_configELb1EPK6__halfPSP_PKlPlN2at6native12_GLOBAL__N_18offset_tEEE10hipError_tPvRmT1_PNSt15iterator_traitsIS13_E10value_typeET2_T3_PNS14_IS19_E10value_typeET4_jRbjT5_S1F_jjP12ihipStream_tbEUljE_ZNSN_ISO_Lb1ESR_SS_SU_SV_SZ_EES10_S11_S12_S13_S17_S18_S19_S1C_S1D_jS1E_jS1F_S1F_jjS1H_bEUljE0_EEES10_S11_S12_S19_S1D_S1F_T6_T7_T9_mT8_S1H_bDpT10_ENKUlT_T0_E_clISt17integral_constantIbLb0EES1U_IbLb1EEEEDaS1Q_S1R_EUlS1Q_E_NS1_11comp_targetILNS1_3genE0ELNS1_11target_archE4294967295ELNS1_3gpuE0ELNS1_3repE0EEENS1_30default_config_static_selectorELNS0_4arch9wavefront6targetE0EEEvS13_.has_recursion, 0
	.set _ZN7rocprim17ROCPRIM_400000_NS6detail17trampoline_kernelINS0_13select_configILj256ELj13ELNS0_17block_load_methodE3ELS4_3ELS4_3ELNS0_20block_scan_algorithmE0ELj4294967295EEENS1_25partition_config_selectorILNS1_17partition_subalgoE4EjNS0_10empty_typeEbEEZZNS1_14partition_implILS8_4ELb0ES6_15HIP_vector_typeIjLj2EENS0_17counting_iteratorIjlEEPS9_SG_NS0_5tupleIJPjSI_NS0_16reverse_iteratorISI_EEEEENSH_IJSG_SG_SG_EEES9_SI_JZNS1_25segmented_radix_sort_implINS0_14default_configELb1EPK6__halfPSP_PKlPlN2at6native12_GLOBAL__N_18offset_tEEE10hipError_tPvRmT1_PNSt15iterator_traitsIS13_E10value_typeET2_T3_PNS14_IS19_E10value_typeET4_jRbjT5_S1F_jjP12ihipStream_tbEUljE_ZNSN_ISO_Lb1ESR_SS_SU_SV_SZ_EES10_S11_S12_S13_S17_S18_S19_S1C_S1D_jS1E_jS1F_S1F_jjS1H_bEUljE0_EEES10_S11_S12_S19_S1D_S1F_T6_T7_T9_mT8_S1H_bDpT10_ENKUlT_T0_E_clISt17integral_constantIbLb0EES1U_IbLb1EEEEDaS1Q_S1R_EUlS1Q_E_NS1_11comp_targetILNS1_3genE0ELNS1_11target_archE4294967295ELNS1_3gpuE0ELNS1_3repE0EEENS1_30default_config_static_selectorELNS0_4arch9wavefront6targetE0EEEvS13_.has_indirect_call, 0
	.section	.AMDGPU.csdata,"",@progbits
; Kernel info:
; codeLenInByte = 0
; TotalNumSgprs: 0
; NumVgprs: 0
; ScratchSize: 0
; MemoryBound: 0
; FloatMode: 240
; IeeeMode: 1
; LDSByteSize: 0 bytes/workgroup (compile time only)
; SGPRBlocks: 0
; VGPRBlocks: 0
; NumSGPRsForWavesPerEU: 1
; NumVGPRsForWavesPerEU: 1
; Occupancy: 16
; WaveLimiterHint : 0
; COMPUTE_PGM_RSRC2:SCRATCH_EN: 0
; COMPUTE_PGM_RSRC2:USER_SGPR: 2
; COMPUTE_PGM_RSRC2:TRAP_HANDLER: 0
; COMPUTE_PGM_RSRC2:TGID_X_EN: 1
; COMPUTE_PGM_RSRC2:TGID_Y_EN: 0
; COMPUTE_PGM_RSRC2:TGID_Z_EN: 0
; COMPUTE_PGM_RSRC2:TIDIG_COMP_CNT: 0
	.section	.text._ZN7rocprim17ROCPRIM_400000_NS6detail17trampoline_kernelINS0_13select_configILj256ELj13ELNS0_17block_load_methodE3ELS4_3ELS4_3ELNS0_20block_scan_algorithmE0ELj4294967295EEENS1_25partition_config_selectorILNS1_17partition_subalgoE4EjNS0_10empty_typeEbEEZZNS1_14partition_implILS8_4ELb0ES6_15HIP_vector_typeIjLj2EENS0_17counting_iteratorIjlEEPS9_SG_NS0_5tupleIJPjSI_NS0_16reverse_iteratorISI_EEEEENSH_IJSG_SG_SG_EEES9_SI_JZNS1_25segmented_radix_sort_implINS0_14default_configELb1EPK6__halfPSP_PKlPlN2at6native12_GLOBAL__N_18offset_tEEE10hipError_tPvRmT1_PNSt15iterator_traitsIS13_E10value_typeET2_T3_PNS14_IS19_E10value_typeET4_jRbjT5_S1F_jjP12ihipStream_tbEUljE_ZNSN_ISO_Lb1ESR_SS_SU_SV_SZ_EES10_S11_S12_S13_S17_S18_S19_S1C_S1D_jS1E_jS1F_S1F_jjS1H_bEUljE0_EEES10_S11_S12_S19_S1D_S1F_T6_T7_T9_mT8_S1H_bDpT10_ENKUlT_T0_E_clISt17integral_constantIbLb0EES1U_IbLb1EEEEDaS1Q_S1R_EUlS1Q_E_NS1_11comp_targetILNS1_3genE5ELNS1_11target_archE942ELNS1_3gpuE9ELNS1_3repE0EEENS1_30default_config_static_selectorELNS0_4arch9wavefront6targetE0EEEvS13_,"axG",@progbits,_ZN7rocprim17ROCPRIM_400000_NS6detail17trampoline_kernelINS0_13select_configILj256ELj13ELNS0_17block_load_methodE3ELS4_3ELS4_3ELNS0_20block_scan_algorithmE0ELj4294967295EEENS1_25partition_config_selectorILNS1_17partition_subalgoE4EjNS0_10empty_typeEbEEZZNS1_14partition_implILS8_4ELb0ES6_15HIP_vector_typeIjLj2EENS0_17counting_iteratorIjlEEPS9_SG_NS0_5tupleIJPjSI_NS0_16reverse_iteratorISI_EEEEENSH_IJSG_SG_SG_EEES9_SI_JZNS1_25segmented_radix_sort_implINS0_14default_configELb1EPK6__halfPSP_PKlPlN2at6native12_GLOBAL__N_18offset_tEEE10hipError_tPvRmT1_PNSt15iterator_traitsIS13_E10value_typeET2_T3_PNS14_IS19_E10value_typeET4_jRbjT5_S1F_jjP12ihipStream_tbEUljE_ZNSN_ISO_Lb1ESR_SS_SU_SV_SZ_EES10_S11_S12_S13_S17_S18_S19_S1C_S1D_jS1E_jS1F_S1F_jjS1H_bEUljE0_EEES10_S11_S12_S19_S1D_S1F_T6_T7_T9_mT8_S1H_bDpT10_ENKUlT_T0_E_clISt17integral_constantIbLb0EES1U_IbLb1EEEEDaS1Q_S1R_EUlS1Q_E_NS1_11comp_targetILNS1_3genE5ELNS1_11target_archE942ELNS1_3gpuE9ELNS1_3repE0EEENS1_30default_config_static_selectorELNS0_4arch9wavefront6targetE0EEEvS13_,comdat
	.globl	_ZN7rocprim17ROCPRIM_400000_NS6detail17trampoline_kernelINS0_13select_configILj256ELj13ELNS0_17block_load_methodE3ELS4_3ELS4_3ELNS0_20block_scan_algorithmE0ELj4294967295EEENS1_25partition_config_selectorILNS1_17partition_subalgoE4EjNS0_10empty_typeEbEEZZNS1_14partition_implILS8_4ELb0ES6_15HIP_vector_typeIjLj2EENS0_17counting_iteratorIjlEEPS9_SG_NS0_5tupleIJPjSI_NS0_16reverse_iteratorISI_EEEEENSH_IJSG_SG_SG_EEES9_SI_JZNS1_25segmented_radix_sort_implINS0_14default_configELb1EPK6__halfPSP_PKlPlN2at6native12_GLOBAL__N_18offset_tEEE10hipError_tPvRmT1_PNSt15iterator_traitsIS13_E10value_typeET2_T3_PNS14_IS19_E10value_typeET4_jRbjT5_S1F_jjP12ihipStream_tbEUljE_ZNSN_ISO_Lb1ESR_SS_SU_SV_SZ_EES10_S11_S12_S13_S17_S18_S19_S1C_S1D_jS1E_jS1F_S1F_jjS1H_bEUljE0_EEES10_S11_S12_S19_S1D_S1F_T6_T7_T9_mT8_S1H_bDpT10_ENKUlT_T0_E_clISt17integral_constantIbLb0EES1U_IbLb1EEEEDaS1Q_S1R_EUlS1Q_E_NS1_11comp_targetILNS1_3genE5ELNS1_11target_archE942ELNS1_3gpuE9ELNS1_3repE0EEENS1_30default_config_static_selectorELNS0_4arch9wavefront6targetE0EEEvS13_ ; -- Begin function _ZN7rocprim17ROCPRIM_400000_NS6detail17trampoline_kernelINS0_13select_configILj256ELj13ELNS0_17block_load_methodE3ELS4_3ELS4_3ELNS0_20block_scan_algorithmE0ELj4294967295EEENS1_25partition_config_selectorILNS1_17partition_subalgoE4EjNS0_10empty_typeEbEEZZNS1_14partition_implILS8_4ELb0ES6_15HIP_vector_typeIjLj2EENS0_17counting_iteratorIjlEEPS9_SG_NS0_5tupleIJPjSI_NS0_16reverse_iteratorISI_EEEEENSH_IJSG_SG_SG_EEES9_SI_JZNS1_25segmented_radix_sort_implINS0_14default_configELb1EPK6__halfPSP_PKlPlN2at6native12_GLOBAL__N_18offset_tEEE10hipError_tPvRmT1_PNSt15iterator_traitsIS13_E10value_typeET2_T3_PNS14_IS19_E10value_typeET4_jRbjT5_S1F_jjP12ihipStream_tbEUljE_ZNSN_ISO_Lb1ESR_SS_SU_SV_SZ_EES10_S11_S12_S13_S17_S18_S19_S1C_S1D_jS1E_jS1F_S1F_jjS1H_bEUljE0_EEES10_S11_S12_S19_S1D_S1F_T6_T7_T9_mT8_S1H_bDpT10_ENKUlT_T0_E_clISt17integral_constantIbLb0EES1U_IbLb1EEEEDaS1Q_S1R_EUlS1Q_E_NS1_11comp_targetILNS1_3genE5ELNS1_11target_archE942ELNS1_3gpuE9ELNS1_3repE0EEENS1_30default_config_static_selectorELNS0_4arch9wavefront6targetE0EEEvS13_
	.p2align	8
	.type	_ZN7rocprim17ROCPRIM_400000_NS6detail17trampoline_kernelINS0_13select_configILj256ELj13ELNS0_17block_load_methodE3ELS4_3ELS4_3ELNS0_20block_scan_algorithmE0ELj4294967295EEENS1_25partition_config_selectorILNS1_17partition_subalgoE4EjNS0_10empty_typeEbEEZZNS1_14partition_implILS8_4ELb0ES6_15HIP_vector_typeIjLj2EENS0_17counting_iteratorIjlEEPS9_SG_NS0_5tupleIJPjSI_NS0_16reverse_iteratorISI_EEEEENSH_IJSG_SG_SG_EEES9_SI_JZNS1_25segmented_radix_sort_implINS0_14default_configELb1EPK6__halfPSP_PKlPlN2at6native12_GLOBAL__N_18offset_tEEE10hipError_tPvRmT1_PNSt15iterator_traitsIS13_E10value_typeET2_T3_PNS14_IS19_E10value_typeET4_jRbjT5_S1F_jjP12ihipStream_tbEUljE_ZNSN_ISO_Lb1ESR_SS_SU_SV_SZ_EES10_S11_S12_S13_S17_S18_S19_S1C_S1D_jS1E_jS1F_S1F_jjS1H_bEUljE0_EEES10_S11_S12_S19_S1D_S1F_T6_T7_T9_mT8_S1H_bDpT10_ENKUlT_T0_E_clISt17integral_constantIbLb0EES1U_IbLb1EEEEDaS1Q_S1R_EUlS1Q_E_NS1_11comp_targetILNS1_3genE5ELNS1_11target_archE942ELNS1_3gpuE9ELNS1_3repE0EEENS1_30default_config_static_selectorELNS0_4arch9wavefront6targetE0EEEvS13_,@function
_ZN7rocprim17ROCPRIM_400000_NS6detail17trampoline_kernelINS0_13select_configILj256ELj13ELNS0_17block_load_methodE3ELS4_3ELS4_3ELNS0_20block_scan_algorithmE0ELj4294967295EEENS1_25partition_config_selectorILNS1_17partition_subalgoE4EjNS0_10empty_typeEbEEZZNS1_14partition_implILS8_4ELb0ES6_15HIP_vector_typeIjLj2EENS0_17counting_iteratorIjlEEPS9_SG_NS0_5tupleIJPjSI_NS0_16reverse_iteratorISI_EEEEENSH_IJSG_SG_SG_EEES9_SI_JZNS1_25segmented_radix_sort_implINS0_14default_configELb1EPK6__halfPSP_PKlPlN2at6native12_GLOBAL__N_18offset_tEEE10hipError_tPvRmT1_PNSt15iterator_traitsIS13_E10value_typeET2_T3_PNS14_IS19_E10value_typeET4_jRbjT5_S1F_jjP12ihipStream_tbEUljE_ZNSN_ISO_Lb1ESR_SS_SU_SV_SZ_EES10_S11_S12_S13_S17_S18_S19_S1C_S1D_jS1E_jS1F_S1F_jjS1H_bEUljE0_EEES10_S11_S12_S19_S1D_S1F_T6_T7_T9_mT8_S1H_bDpT10_ENKUlT_T0_E_clISt17integral_constantIbLb0EES1U_IbLb1EEEEDaS1Q_S1R_EUlS1Q_E_NS1_11comp_targetILNS1_3genE5ELNS1_11target_archE942ELNS1_3gpuE9ELNS1_3repE0EEENS1_30default_config_static_selectorELNS0_4arch9wavefront6targetE0EEEvS13_: ; @_ZN7rocprim17ROCPRIM_400000_NS6detail17trampoline_kernelINS0_13select_configILj256ELj13ELNS0_17block_load_methodE3ELS4_3ELS4_3ELNS0_20block_scan_algorithmE0ELj4294967295EEENS1_25partition_config_selectorILNS1_17partition_subalgoE4EjNS0_10empty_typeEbEEZZNS1_14partition_implILS8_4ELb0ES6_15HIP_vector_typeIjLj2EENS0_17counting_iteratorIjlEEPS9_SG_NS0_5tupleIJPjSI_NS0_16reverse_iteratorISI_EEEEENSH_IJSG_SG_SG_EEES9_SI_JZNS1_25segmented_radix_sort_implINS0_14default_configELb1EPK6__halfPSP_PKlPlN2at6native12_GLOBAL__N_18offset_tEEE10hipError_tPvRmT1_PNSt15iterator_traitsIS13_E10value_typeET2_T3_PNS14_IS19_E10value_typeET4_jRbjT5_S1F_jjP12ihipStream_tbEUljE_ZNSN_ISO_Lb1ESR_SS_SU_SV_SZ_EES10_S11_S12_S13_S17_S18_S19_S1C_S1D_jS1E_jS1F_S1F_jjS1H_bEUljE0_EEES10_S11_S12_S19_S1D_S1F_T6_T7_T9_mT8_S1H_bDpT10_ENKUlT_T0_E_clISt17integral_constantIbLb0EES1U_IbLb1EEEEDaS1Q_S1R_EUlS1Q_E_NS1_11comp_targetILNS1_3genE5ELNS1_11target_archE942ELNS1_3gpuE9ELNS1_3repE0EEENS1_30default_config_static_selectorELNS0_4arch9wavefront6targetE0EEEvS13_
; %bb.0:
	.section	.rodata,"a",@progbits
	.p2align	6, 0x0
	.amdhsa_kernel _ZN7rocprim17ROCPRIM_400000_NS6detail17trampoline_kernelINS0_13select_configILj256ELj13ELNS0_17block_load_methodE3ELS4_3ELS4_3ELNS0_20block_scan_algorithmE0ELj4294967295EEENS1_25partition_config_selectorILNS1_17partition_subalgoE4EjNS0_10empty_typeEbEEZZNS1_14partition_implILS8_4ELb0ES6_15HIP_vector_typeIjLj2EENS0_17counting_iteratorIjlEEPS9_SG_NS0_5tupleIJPjSI_NS0_16reverse_iteratorISI_EEEEENSH_IJSG_SG_SG_EEES9_SI_JZNS1_25segmented_radix_sort_implINS0_14default_configELb1EPK6__halfPSP_PKlPlN2at6native12_GLOBAL__N_18offset_tEEE10hipError_tPvRmT1_PNSt15iterator_traitsIS13_E10value_typeET2_T3_PNS14_IS19_E10value_typeET4_jRbjT5_S1F_jjP12ihipStream_tbEUljE_ZNSN_ISO_Lb1ESR_SS_SU_SV_SZ_EES10_S11_S12_S13_S17_S18_S19_S1C_S1D_jS1E_jS1F_S1F_jjS1H_bEUljE0_EEES10_S11_S12_S19_S1D_S1F_T6_T7_T9_mT8_S1H_bDpT10_ENKUlT_T0_E_clISt17integral_constantIbLb0EES1U_IbLb1EEEEDaS1Q_S1R_EUlS1Q_E_NS1_11comp_targetILNS1_3genE5ELNS1_11target_archE942ELNS1_3gpuE9ELNS1_3repE0EEENS1_30default_config_static_selectorELNS0_4arch9wavefront6targetE0EEEvS13_
		.amdhsa_group_segment_fixed_size 0
		.amdhsa_private_segment_fixed_size 0
		.amdhsa_kernarg_size 184
		.amdhsa_user_sgpr_count 2
		.amdhsa_user_sgpr_dispatch_ptr 0
		.amdhsa_user_sgpr_queue_ptr 0
		.amdhsa_user_sgpr_kernarg_segment_ptr 1
		.amdhsa_user_sgpr_dispatch_id 0
		.amdhsa_user_sgpr_private_segment_size 0
		.amdhsa_wavefront_size32 1
		.amdhsa_uses_dynamic_stack 0
		.amdhsa_enable_private_segment 0
		.amdhsa_system_sgpr_workgroup_id_x 1
		.amdhsa_system_sgpr_workgroup_id_y 0
		.amdhsa_system_sgpr_workgroup_id_z 0
		.amdhsa_system_sgpr_workgroup_info 0
		.amdhsa_system_vgpr_workitem_id 0
		.amdhsa_next_free_vgpr 1
		.amdhsa_next_free_sgpr 1
		.amdhsa_reserve_vcc 0
		.amdhsa_float_round_mode_32 0
		.amdhsa_float_round_mode_16_64 0
		.amdhsa_float_denorm_mode_32 3
		.amdhsa_float_denorm_mode_16_64 3
		.amdhsa_fp16_overflow 0
		.amdhsa_workgroup_processor_mode 1
		.amdhsa_memory_ordered 1
		.amdhsa_forward_progress 1
		.amdhsa_inst_pref_size 0
		.amdhsa_round_robin_scheduling 0
		.amdhsa_exception_fp_ieee_invalid_op 0
		.amdhsa_exception_fp_denorm_src 0
		.amdhsa_exception_fp_ieee_div_zero 0
		.amdhsa_exception_fp_ieee_overflow 0
		.amdhsa_exception_fp_ieee_underflow 0
		.amdhsa_exception_fp_ieee_inexact 0
		.amdhsa_exception_int_div_zero 0
	.end_amdhsa_kernel
	.section	.text._ZN7rocprim17ROCPRIM_400000_NS6detail17trampoline_kernelINS0_13select_configILj256ELj13ELNS0_17block_load_methodE3ELS4_3ELS4_3ELNS0_20block_scan_algorithmE0ELj4294967295EEENS1_25partition_config_selectorILNS1_17partition_subalgoE4EjNS0_10empty_typeEbEEZZNS1_14partition_implILS8_4ELb0ES6_15HIP_vector_typeIjLj2EENS0_17counting_iteratorIjlEEPS9_SG_NS0_5tupleIJPjSI_NS0_16reverse_iteratorISI_EEEEENSH_IJSG_SG_SG_EEES9_SI_JZNS1_25segmented_radix_sort_implINS0_14default_configELb1EPK6__halfPSP_PKlPlN2at6native12_GLOBAL__N_18offset_tEEE10hipError_tPvRmT1_PNSt15iterator_traitsIS13_E10value_typeET2_T3_PNS14_IS19_E10value_typeET4_jRbjT5_S1F_jjP12ihipStream_tbEUljE_ZNSN_ISO_Lb1ESR_SS_SU_SV_SZ_EES10_S11_S12_S13_S17_S18_S19_S1C_S1D_jS1E_jS1F_S1F_jjS1H_bEUljE0_EEES10_S11_S12_S19_S1D_S1F_T6_T7_T9_mT8_S1H_bDpT10_ENKUlT_T0_E_clISt17integral_constantIbLb0EES1U_IbLb1EEEEDaS1Q_S1R_EUlS1Q_E_NS1_11comp_targetILNS1_3genE5ELNS1_11target_archE942ELNS1_3gpuE9ELNS1_3repE0EEENS1_30default_config_static_selectorELNS0_4arch9wavefront6targetE0EEEvS13_,"axG",@progbits,_ZN7rocprim17ROCPRIM_400000_NS6detail17trampoline_kernelINS0_13select_configILj256ELj13ELNS0_17block_load_methodE3ELS4_3ELS4_3ELNS0_20block_scan_algorithmE0ELj4294967295EEENS1_25partition_config_selectorILNS1_17partition_subalgoE4EjNS0_10empty_typeEbEEZZNS1_14partition_implILS8_4ELb0ES6_15HIP_vector_typeIjLj2EENS0_17counting_iteratorIjlEEPS9_SG_NS0_5tupleIJPjSI_NS0_16reverse_iteratorISI_EEEEENSH_IJSG_SG_SG_EEES9_SI_JZNS1_25segmented_radix_sort_implINS0_14default_configELb1EPK6__halfPSP_PKlPlN2at6native12_GLOBAL__N_18offset_tEEE10hipError_tPvRmT1_PNSt15iterator_traitsIS13_E10value_typeET2_T3_PNS14_IS19_E10value_typeET4_jRbjT5_S1F_jjP12ihipStream_tbEUljE_ZNSN_ISO_Lb1ESR_SS_SU_SV_SZ_EES10_S11_S12_S13_S17_S18_S19_S1C_S1D_jS1E_jS1F_S1F_jjS1H_bEUljE0_EEES10_S11_S12_S19_S1D_S1F_T6_T7_T9_mT8_S1H_bDpT10_ENKUlT_T0_E_clISt17integral_constantIbLb0EES1U_IbLb1EEEEDaS1Q_S1R_EUlS1Q_E_NS1_11comp_targetILNS1_3genE5ELNS1_11target_archE942ELNS1_3gpuE9ELNS1_3repE0EEENS1_30default_config_static_selectorELNS0_4arch9wavefront6targetE0EEEvS13_,comdat
.Lfunc_end1700:
	.size	_ZN7rocprim17ROCPRIM_400000_NS6detail17trampoline_kernelINS0_13select_configILj256ELj13ELNS0_17block_load_methodE3ELS4_3ELS4_3ELNS0_20block_scan_algorithmE0ELj4294967295EEENS1_25partition_config_selectorILNS1_17partition_subalgoE4EjNS0_10empty_typeEbEEZZNS1_14partition_implILS8_4ELb0ES6_15HIP_vector_typeIjLj2EENS0_17counting_iteratorIjlEEPS9_SG_NS0_5tupleIJPjSI_NS0_16reverse_iteratorISI_EEEEENSH_IJSG_SG_SG_EEES9_SI_JZNS1_25segmented_radix_sort_implINS0_14default_configELb1EPK6__halfPSP_PKlPlN2at6native12_GLOBAL__N_18offset_tEEE10hipError_tPvRmT1_PNSt15iterator_traitsIS13_E10value_typeET2_T3_PNS14_IS19_E10value_typeET4_jRbjT5_S1F_jjP12ihipStream_tbEUljE_ZNSN_ISO_Lb1ESR_SS_SU_SV_SZ_EES10_S11_S12_S13_S17_S18_S19_S1C_S1D_jS1E_jS1F_S1F_jjS1H_bEUljE0_EEES10_S11_S12_S19_S1D_S1F_T6_T7_T9_mT8_S1H_bDpT10_ENKUlT_T0_E_clISt17integral_constantIbLb0EES1U_IbLb1EEEEDaS1Q_S1R_EUlS1Q_E_NS1_11comp_targetILNS1_3genE5ELNS1_11target_archE942ELNS1_3gpuE9ELNS1_3repE0EEENS1_30default_config_static_selectorELNS0_4arch9wavefront6targetE0EEEvS13_, .Lfunc_end1700-_ZN7rocprim17ROCPRIM_400000_NS6detail17trampoline_kernelINS0_13select_configILj256ELj13ELNS0_17block_load_methodE3ELS4_3ELS4_3ELNS0_20block_scan_algorithmE0ELj4294967295EEENS1_25partition_config_selectorILNS1_17partition_subalgoE4EjNS0_10empty_typeEbEEZZNS1_14partition_implILS8_4ELb0ES6_15HIP_vector_typeIjLj2EENS0_17counting_iteratorIjlEEPS9_SG_NS0_5tupleIJPjSI_NS0_16reverse_iteratorISI_EEEEENSH_IJSG_SG_SG_EEES9_SI_JZNS1_25segmented_radix_sort_implINS0_14default_configELb1EPK6__halfPSP_PKlPlN2at6native12_GLOBAL__N_18offset_tEEE10hipError_tPvRmT1_PNSt15iterator_traitsIS13_E10value_typeET2_T3_PNS14_IS19_E10value_typeET4_jRbjT5_S1F_jjP12ihipStream_tbEUljE_ZNSN_ISO_Lb1ESR_SS_SU_SV_SZ_EES10_S11_S12_S13_S17_S18_S19_S1C_S1D_jS1E_jS1F_S1F_jjS1H_bEUljE0_EEES10_S11_S12_S19_S1D_S1F_T6_T7_T9_mT8_S1H_bDpT10_ENKUlT_T0_E_clISt17integral_constantIbLb0EES1U_IbLb1EEEEDaS1Q_S1R_EUlS1Q_E_NS1_11comp_targetILNS1_3genE5ELNS1_11target_archE942ELNS1_3gpuE9ELNS1_3repE0EEENS1_30default_config_static_selectorELNS0_4arch9wavefront6targetE0EEEvS13_
                                        ; -- End function
	.set _ZN7rocprim17ROCPRIM_400000_NS6detail17trampoline_kernelINS0_13select_configILj256ELj13ELNS0_17block_load_methodE3ELS4_3ELS4_3ELNS0_20block_scan_algorithmE0ELj4294967295EEENS1_25partition_config_selectorILNS1_17partition_subalgoE4EjNS0_10empty_typeEbEEZZNS1_14partition_implILS8_4ELb0ES6_15HIP_vector_typeIjLj2EENS0_17counting_iteratorIjlEEPS9_SG_NS0_5tupleIJPjSI_NS0_16reverse_iteratorISI_EEEEENSH_IJSG_SG_SG_EEES9_SI_JZNS1_25segmented_radix_sort_implINS0_14default_configELb1EPK6__halfPSP_PKlPlN2at6native12_GLOBAL__N_18offset_tEEE10hipError_tPvRmT1_PNSt15iterator_traitsIS13_E10value_typeET2_T3_PNS14_IS19_E10value_typeET4_jRbjT5_S1F_jjP12ihipStream_tbEUljE_ZNSN_ISO_Lb1ESR_SS_SU_SV_SZ_EES10_S11_S12_S13_S17_S18_S19_S1C_S1D_jS1E_jS1F_S1F_jjS1H_bEUljE0_EEES10_S11_S12_S19_S1D_S1F_T6_T7_T9_mT8_S1H_bDpT10_ENKUlT_T0_E_clISt17integral_constantIbLb0EES1U_IbLb1EEEEDaS1Q_S1R_EUlS1Q_E_NS1_11comp_targetILNS1_3genE5ELNS1_11target_archE942ELNS1_3gpuE9ELNS1_3repE0EEENS1_30default_config_static_selectorELNS0_4arch9wavefront6targetE0EEEvS13_.num_vgpr, 0
	.set _ZN7rocprim17ROCPRIM_400000_NS6detail17trampoline_kernelINS0_13select_configILj256ELj13ELNS0_17block_load_methodE3ELS4_3ELS4_3ELNS0_20block_scan_algorithmE0ELj4294967295EEENS1_25partition_config_selectorILNS1_17partition_subalgoE4EjNS0_10empty_typeEbEEZZNS1_14partition_implILS8_4ELb0ES6_15HIP_vector_typeIjLj2EENS0_17counting_iteratorIjlEEPS9_SG_NS0_5tupleIJPjSI_NS0_16reverse_iteratorISI_EEEEENSH_IJSG_SG_SG_EEES9_SI_JZNS1_25segmented_radix_sort_implINS0_14default_configELb1EPK6__halfPSP_PKlPlN2at6native12_GLOBAL__N_18offset_tEEE10hipError_tPvRmT1_PNSt15iterator_traitsIS13_E10value_typeET2_T3_PNS14_IS19_E10value_typeET4_jRbjT5_S1F_jjP12ihipStream_tbEUljE_ZNSN_ISO_Lb1ESR_SS_SU_SV_SZ_EES10_S11_S12_S13_S17_S18_S19_S1C_S1D_jS1E_jS1F_S1F_jjS1H_bEUljE0_EEES10_S11_S12_S19_S1D_S1F_T6_T7_T9_mT8_S1H_bDpT10_ENKUlT_T0_E_clISt17integral_constantIbLb0EES1U_IbLb1EEEEDaS1Q_S1R_EUlS1Q_E_NS1_11comp_targetILNS1_3genE5ELNS1_11target_archE942ELNS1_3gpuE9ELNS1_3repE0EEENS1_30default_config_static_selectorELNS0_4arch9wavefront6targetE0EEEvS13_.num_agpr, 0
	.set _ZN7rocprim17ROCPRIM_400000_NS6detail17trampoline_kernelINS0_13select_configILj256ELj13ELNS0_17block_load_methodE3ELS4_3ELS4_3ELNS0_20block_scan_algorithmE0ELj4294967295EEENS1_25partition_config_selectorILNS1_17partition_subalgoE4EjNS0_10empty_typeEbEEZZNS1_14partition_implILS8_4ELb0ES6_15HIP_vector_typeIjLj2EENS0_17counting_iteratorIjlEEPS9_SG_NS0_5tupleIJPjSI_NS0_16reverse_iteratorISI_EEEEENSH_IJSG_SG_SG_EEES9_SI_JZNS1_25segmented_radix_sort_implINS0_14default_configELb1EPK6__halfPSP_PKlPlN2at6native12_GLOBAL__N_18offset_tEEE10hipError_tPvRmT1_PNSt15iterator_traitsIS13_E10value_typeET2_T3_PNS14_IS19_E10value_typeET4_jRbjT5_S1F_jjP12ihipStream_tbEUljE_ZNSN_ISO_Lb1ESR_SS_SU_SV_SZ_EES10_S11_S12_S13_S17_S18_S19_S1C_S1D_jS1E_jS1F_S1F_jjS1H_bEUljE0_EEES10_S11_S12_S19_S1D_S1F_T6_T7_T9_mT8_S1H_bDpT10_ENKUlT_T0_E_clISt17integral_constantIbLb0EES1U_IbLb1EEEEDaS1Q_S1R_EUlS1Q_E_NS1_11comp_targetILNS1_3genE5ELNS1_11target_archE942ELNS1_3gpuE9ELNS1_3repE0EEENS1_30default_config_static_selectorELNS0_4arch9wavefront6targetE0EEEvS13_.numbered_sgpr, 0
	.set _ZN7rocprim17ROCPRIM_400000_NS6detail17trampoline_kernelINS0_13select_configILj256ELj13ELNS0_17block_load_methodE3ELS4_3ELS4_3ELNS0_20block_scan_algorithmE0ELj4294967295EEENS1_25partition_config_selectorILNS1_17partition_subalgoE4EjNS0_10empty_typeEbEEZZNS1_14partition_implILS8_4ELb0ES6_15HIP_vector_typeIjLj2EENS0_17counting_iteratorIjlEEPS9_SG_NS0_5tupleIJPjSI_NS0_16reverse_iteratorISI_EEEEENSH_IJSG_SG_SG_EEES9_SI_JZNS1_25segmented_radix_sort_implINS0_14default_configELb1EPK6__halfPSP_PKlPlN2at6native12_GLOBAL__N_18offset_tEEE10hipError_tPvRmT1_PNSt15iterator_traitsIS13_E10value_typeET2_T3_PNS14_IS19_E10value_typeET4_jRbjT5_S1F_jjP12ihipStream_tbEUljE_ZNSN_ISO_Lb1ESR_SS_SU_SV_SZ_EES10_S11_S12_S13_S17_S18_S19_S1C_S1D_jS1E_jS1F_S1F_jjS1H_bEUljE0_EEES10_S11_S12_S19_S1D_S1F_T6_T7_T9_mT8_S1H_bDpT10_ENKUlT_T0_E_clISt17integral_constantIbLb0EES1U_IbLb1EEEEDaS1Q_S1R_EUlS1Q_E_NS1_11comp_targetILNS1_3genE5ELNS1_11target_archE942ELNS1_3gpuE9ELNS1_3repE0EEENS1_30default_config_static_selectorELNS0_4arch9wavefront6targetE0EEEvS13_.num_named_barrier, 0
	.set _ZN7rocprim17ROCPRIM_400000_NS6detail17trampoline_kernelINS0_13select_configILj256ELj13ELNS0_17block_load_methodE3ELS4_3ELS4_3ELNS0_20block_scan_algorithmE0ELj4294967295EEENS1_25partition_config_selectorILNS1_17partition_subalgoE4EjNS0_10empty_typeEbEEZZNS1_14partition_implILS8_4ELb0ES6_15HIP_vector_typeIjLj2EENS0_17counting_iteratorIjlEEPS9_SG_NS0_5tupleIJPjSI_NS0_16reverse_iteratorISI_EEEEENSH_IJSG_SG_SG_EEES9_SI_JZNS1_25segmented_radix_sort_implINS0_14default_configELb1EPK6__halfPSP_PKlPlN2at6native12_GLOBAL__N_18offset_tEEE10hipError_tPvRmT1_PNSt15iterator_traitsIS13_E10value_typeET2_T3_PNS14_IS19_E10value_typeET4_jRbjT5_S1F_jjP12ihipStream_tbEUljE_ZNSN_ISO_Lb1ESR_SS_SU_SV_SZ_EES10_S11_S12_S13_S17_S18_S19_S1C_S1D_jS1E_jS1F_S1F_jjS1H_bEUljE0_EEES10_S11_S12_S19_S1D_S1F_T6_T7_T9_mT8_S1H_bDpT10_ENKUlT_T0_E_clISt17integral_constantIbLb0EES1U_IbLb1EEEEDaS1Q_S1R_EUlS1Q_E_NS1_11comp_targetILNS1_3genE5ELNS1_11target_archE942ELNS1_3gpuE9ELNS1_3repE0EEENS1_30default_config_static_selectorELNS0_4arch9wavefront6targetE0EEEvS13_.private_seg_size, 0
	.set _ZN7rocprim17ROCPRIM_400000_NS6detail17trampoline_kernelINS0_13select_configILj256ELj13ELNS0_17block_load_methodE3ELS4_3ELS4_3ELNS0_20block_scan_algorithmE0ELj4294967295EEENS1_25partition_config_selectorILNS1_17partition_subalgoE4EjNS0_10empty_typeEbEEZZNS1_14partition_implILS8_4ELb0ES6_15HIP_vector_typeIjLj2EENS0_17counting_iteratorIjlEEPS9_SG_NS0_5tupleIJPjSI_NS0_16reverse_iteratorISI_EEEEENSH_IJSG_SG_SG_EEES9_SI_JZNS1_25segmented_radix_sort_implINS0_14default_configELb1EPK6__halfPSP_PKlPlN2at6native12_GLOBAL__N_18offset_tEEE10hipError_tPvRmT1_PNSt15iterator_traitsIS13_E10value_typeET2_T3_PNS14_IS19_E10value_typeET4_jRbjT5_S1F_jjP12ihipStream_tbEUljE_ZNSN_ISO_Lb1ESR_SS_SU_SV_SZ_EES10_S11_S12_S13_S17_S18_S19_S1C_S1D_jS1E_jS1F_S1F_jjS1H_bEUljE0_EEES10_S11_S12_S19_S1D_S1F_T6_T7_T9_mT8_S1H_bDpT10_ENKUlT_T0_E_clISt17integral_constantIbLb0EES1U_IbLb1EEEEDaS1Q_S1R_EUlS1Q_E_NS1_11comp_targetILNS1_3genE5ELNS1_11target_archE942ELNS1_3gpuE9ELNS1_3repE0EEENS1_30default_config_static_selectorELNS0_4arch9wavefront6targetE0EEEvS13_.uses_vcc, 0
	.set _ZN7rocprim17ROCPRIM_400000_NS6detail17trampoline_kernelINS0_13select_configILj256ELj13ELNS0_17block_load_methodE3ELS4_3ELS4_3ELNS0_20block_scan_algorithmE0ELj4294967295EEENS1_25partition_config_selectorILNS1_17partition_subalgoE4EjNS0_10empty_typeEbEEZZNS1_14partition_implILS8_4ELb0ES6_15HIP_vector_typeIjLj2EENS0_17counting_iteratorIjlEEPS9_SG_NS0_5tupleIJPjSI_NS0_16reverse_iteratorISI_EEEEENSH_IJSG_SG_SG_EEES9_SI_JZNS1_25segmented_radix_sort_implINS0_14default_configELb1EPK6__halfPSP_PKlPlN2at6native12_GLOBAL__N_18offset_tEEE10hipError_tPvRmT1_PNSt15iterator_traitsIS13_E10value_typeET2_T3_PNS14_IS19_E10value_typeET4_jRbjT5_S1F_jjP12ihipStream_tbEUljE_ZNSN_ISO_Lb1ESR_SS_SU_SV_SZ_EES10_S11_S12_S13_S17_S18_S19_S1C_S1D_jS1E_jS1F_S1F_jjS1H_bEUljE0_EEES10_S11_S12_S19_S1D_S1F_T6_T7_T9_mT8_S1H_bDpT10_ENKUlT_T0_E_clISt17integral_constantIbLb0EES1U_IbLb1EEEEDaS1Q_S1R_EUlS1Q_E_NS1_11comp_targetILNS1_3genE5ELNS1_11target_archE942ELNS1_3gpuE9ELNS1_3repE0EEENS1_30default_config_static_selectorELNS0_4arch9wavefront6targetE0EEEvS13_.uses_flat_scratch, 0
	.set _ZN7rocprim17ROCPRIM_400000_NS6detail17trampoline_kernelINS0_13select_configILj256ELj13ELNS0_17block_load_methodE3ELS4_3ELS4_3ELNS0_20block_scan_algorithmE0ELj4294967295EEENS1_25partition_config_selectorILNS1_17partition_subalgoE4EjNS0_10empty_typeEbEEZZNS1_14partition_implILS8_4ELb0ES6_15HIP_vector_typeIjLj2EENS0_17counting_iteratorIjlEEPS9_SG_NS0_5tupleIJPjSI_NS0_16reverse_iteratorISI_EEEEENSH_IJSG_SG_SG_EEES9_SI_JZNS1_25segmented_radix_sort_implINS0_14default_configELb1EPK6__halfPSP_PKlPlN2at6native12_GLOBAL__N_18offset_tEEE10hipError_tPvRmT1_PNSt15iterator_traitsIS13_E10value_typeET2_T3_PNS14_IS19_E10value_typeET4_jRbjT5_S1F_jjP12ihipStream_tbEUljE_ZNSN_ISO_Lb1ESR_SS_SU_SV_SZ_EES10_S11_S12_S13_S17_S18_S19_S1C_S1D_jS1E_jS1F_S1F_jjS1H_bEUljE0_EEES10_S11_S12_S19_S1D_S1F_T6_T7_T9_mT8_S1H_bDpT10_ENKUlT_T0_E_clISt17integral_constantIbLb0EES1U_IbLb1EEEEDaS1Q_S1R_EUlS1Q_E_NS1_11comp_targetILNS1_3genE5ELNS1_11target_archE942ELNS1_3gpuE9ELNS1_3repE0EEENS1_30default_config_static_selectorELNS0_4arch9wavefront6targetE0EEEvS13_.has_dyn_sized_stack, 0
	.set _ZN7rocprim17ROCPRIM_400000_NS6detail17trampoline_kernelINS0_13select_configILj256ELj13ELNS0_17block_load_methodE3ELS4_3ELS4_3ELNS0_20block_scan_algorithmE0ELj4294967295EEENS1_25partition_config_selectorILNS1_17partition_subalgoE4EjNS0_10empty_typeEbEEZZNS1_14partition_implILS8_4ELb0ES6_15HIP_vector_typeIjLj2EENS0_17counting_iteratorIjlEEPS9_SG_NS0_5tupleIJPjSI_NS0_16reverse_iteratorISI_EEEEENSH_IJSG_SG_SG_EEES9_SI_JZNS1_25segmented_radix_sort_implINS0_14default_configELb1EPK6__halfPSP_PKlPlN2at6native12_GLOBAL__N_18offset_tEEE10hipError_tPvRmT1_PNSt15iterator_traitsIS13_E10value_typeET2_T3_PNS14_IS19_E10value_typeET4_jRbjT5_S1F_jjP12ihipStream_tbEUljE_ZNSN_ISO_Lb1ESR_SS_SU_SV_SZ_EES10_S11_S12_S13_S17_S18_S19_S1C_S1D_jS1E_jS1F_S1F_jjS1H_bEUljE0_EEES10_S11_S12_S19_S1D_S1F_T6_T7_T9_mT8_S1H_bDpT10_ENKUlT_T0_E_clISt17integral_constantIbLb0EES1U_IbLb1EEEEDaS1Q_S1R_EUlS1Q_E_NS1_11comp_targetILNS1_3genE5ELNS1_11target_archE942ELNS1_3gpuE9ELNS1_3repE0EEENS1_30default_config_static_selectorELNS0_4arch9wavefront6targetE0EEEvS13_.has_recursion, 0
	.set _ZN7rocprim17ROCPRIM_400000_NS6detail17trampoline_kernelINS0_13select_configILj256ELj13ELNS0_17block_load_methodE3ELS4_3ELS4_3ELNS0_20block_scan_algorithmE0ELj4294967295EEENS1_25partition_config_selectorILNS1_17partition_subalgoE4EjNS0_10empty_typeEbEEZZNS1_14partition_implILS8_4ELb0ES6_15HIP_vector_typeIjLj2EENS0_17counting_iteratorIjlEEPS9_SG_NS0_5tupleIJPjSI_NS0_16reverse_iteratorISI_EEEEENSH_IJSG_SG_SG_EEES9_SI_JZNS1_25segmented_radix_sort_implINS0_14default_configELb1EPK6__halfPSP_PKlPlN2at6native12_GLOBAL__N_18offset_tEEE10hipError_tPvRmT1_PNSt15iterator_traitsIS13_E10value_typeET2_T3_PNS14_IS19_E10value_typeET4_jRbjT5_S1F_jjP12ihipStream_tbEUljE_ZNSN_ISO_Lb1ESR_SS_SU_SV_SZ_EES10_S11_S12_S13_S17_S18_S19_S1C_S1D_jS1E_jS1F_S1F_jjS1H_bEUljE0_EEES10_S11_S12_S19_S1D_S1F_T6_T7_T9_mT8_S1H_bDpT10_ENKUlT_T0_E_clISt17integral_constantIbLb0EES1U_IbLb1EEEEDaS1Q_S1R_EUlS1Q_E_NS1_11comp_targetILNS1_3genE5ELNS1_11target_archE942ELNS1_3gpuE9ELNS1_3repE0EEENS1_30default_config_static_selectorELNS0_4arch9wavefront6targetE0EEEvS13_.has_indirect_call, 0
	.section	.AMDGPU.csdata,"",@progbits
; Kernel info:
; codeLenInByte = 0
; TotalNumSgprs: 0
; NumVgprs: 0
; ScratchSize: 0
; MemoryBound: 0
; FloatMode: 240
; IeeeMode: 1
; LDSByteSize: 0 bytes/workgroup (compile time only)
; SGPRBlocks: 0
; VGPRBlocks: 0
; NumSGPRsForWavesPerEU: 1
; NumVGPRsForWavesPerEU: 1
; Occupancy: 16
; WaveLimiterHint : 0
; COMPUTE_PGM_RSRC2:SCRATCH_EN: 0
; COMPUTE_PGM_RSRC2:USER_SGPR: 2
; COMPUTE_PGM_RSRC2:TRAP_HANDLER: 0
; COMPUTE_PGM_RSRC2:TGID_X_EN: 1
; COMPUTE_PGM_RSRC2:TGID_Y_EN: 0
; COMPUTE_PGM_RSRC2:TGID_Z_EN: 0
; COMPUTE_PGM_RSRC2:TIDIG_COMP_CNT: 0
	.section	.text._ZN7rocprim17ROCPRIM_400000_NS6detail17trampoline_kernelINS0_13select_configILj256ELj13ELNS0_17block_load_methodE3ELS4_3ELS4_3ELNS0_20block_scan_algorithmE0ELj4294967295EEENS1_25partition_config_selectorILNS1_17partition_subalgoE4EjNS0_10empty_typeEbEEZZNS1_14partition_implILS8_4ELb0ES6_15HIP_vector_typeIjLj2EENS0_17counting_iteratorIjlEEPS9_SG_NS0_5tupleIJPjSI_NS0_16reverse_iteratorISI_EEEEENSH_IJSG_SG_SG_EEES9_SI_JZNS1_25segmented_radix_sort_implINS0_14default_configELb1EPK6__halfPSP_PKlPlN2at6native12_GLOBAL__N_18offset_tEEE10hipError_tPvRmT1_PNSt15iterator_traitsIS13_E10value_typeET2_T3_PNS14_IS19_E10value_typeET4_jRbjT5_S1F_jjP12ihipStream_tbEUljE_ZNSN_ISO_Lb1ESR_SS_SU_SV_SZ_EES10_S11_S12_S13_S17_S18_S19_S1C_S1D_jS1E_jS1F_S1F_jjS1H_bEUljE0_EEES10_S11_S12_S19_S1D_S1F_T6_T7_T9_mT8_S1H_bDpT10_ENKUlT_T0_E_clISt17integral_constantIbLb0EES1U_IbLb1EEEEDaS1Q_S1R_EUlS1Q_E_NS1_11comp_targetILNS1_3genE4ELNS1_11target_archE910ELNS1_3gpuE8ELNS1_3repE0EEENS1_30default_config_static_selectorELNS0_4arch9wavefront6targetE0EEEvS13_,"axG",@progbits,_ZN7rocprim17ROCPRIM_400000_NS6detail17trampoline_kernelINS0_13select_configILj256ELj13ELNS0_17block_load_methodE3ELS4_3ELS4_3ELNS0_20block_scan_algorithmE0ELj4294967295EEENS1_25partition_config_selectorILNS1_17partition_subalgoE4EjNS0_10empty_typeEbEEZZNS1_14partition_implILS8_4ELb0ES6_15HIP_vector_typeIjLj2EENS0_17counting_iteratorIjlEEPS9_SG_NS0_5tupleIJPjSI_NS0_16reverse_iteratorISI_EEEEENSH_IJSG_SG_SG_EEES9_SI_JZNS1_25segmented_radix_sort_implINS0_14default_configELb1EPK6__halfPSP_PKlPlN2at6native12_GLOBAL__N_18offset_tEEE10hipError_tPvRmT1_PNSt15iterator_traitsIS13_E10value_typeET2_T3_PNS14_IS19_E10value_typeET4_jRbjT5_S1F_jjP12ihipStream_tbEUljE_ZNSN_ISO_Lb1ESR_SS_SU_SV_SZ_EES10_S11_S12_S13_S17_S18_S19_S1C_S1D_jS1E_jS1F_S1F_jjS1H_bEUljE0_EEES10_S11_S12_S19_S1D_S1F_T6_T7_T9_mT8_S1H_bDpT10_ENKUlT_T0_E_clISt17integral_constantIbLb0EES1U_IbLb1EEEEDaS1Q_S1R_EUlS1Q_E_NS1_11comp_targetILNS1_3genE4ELNS1_11target_archE910ELNS1_3gpuE8ELNS1_3repE0EEENS1_30default_config_static_selectorELNS0_4arch9wavefront6targetE0EEEvS13_,comdat
	.globl	_ZN7rocprim17ROCPRIM_400000_NS6detail17trampoline_kernelINS0_13select_configILj256ELj13ELNS0_17block_load_methodE3ELS4_3ELS4_3ELNS0_20block_scan_algorithmE0ELj4294967295EEENS1_25partition_config_selectorILNS1_17partition_subalgoE4EjNS0_10empty_typeEbEEZZNS1_14partition_implILS8_4ELb0ES6_15HIP_vector_typeIjLj2EENS0_17counting_iteratorIjlEEPS9_SG_NS0_5tupleIJPjSI_NS0_16reverse_iteratorISI_EEEEENSH_IJSG_SG_SG_EEES9_SI_JZNS1_25segmented_radix_sort_implINS0_14default_configELb1EPK6__halfPSP_PKlPlN2at6native12_GLOBAL__N_18offset_tEEE10hipError_tPvRmT1_PNSt15iterator_traitsIS13_E10value_typeET2_T3_PNS14_IS19_E10value_typeET4_jRbjT5_S1F_jjP12ihipStream_tbEUljE_ZNSN_ISO_Lb1ESR_SS_SU_SV_SZ_EES10_S11_S12_S13_S17_S18_S19_S1C_S1D_jS1E_jS1F_S1F_jjS1H_bEUljE0_EEES10_S11_S12_S19_S1D_S1F_T6_T7_T9_mT8_S1H_bDpT10_ENKUlT_T0_E_clISt17integral_constantIbLb0EES1U_IbLb1EEEEDaS1Q_S1R_EUlS1Q_E_NS1_11comp_targetILNS1_3genE4ELNS1_11target_archE910ELNS1_3gpuE8ELNS1_3repE0EEENS1_30default_config_static_selectorELNS0_4arch9wavefront6targetE0EEEvS13_ ; -- Begin function _ZN7rocprim17ROCPRIM_400000_NS6detail17trampoline_kernelINS0_13select_configILj256ELj13ELNS0_17block_load_methodE3ELS4_3ELS4_3ELNS0_20block_scan_algorithmE0ELj4294967295EEENS1_25partition_config_selectorILNS1_17partition_subalgoE4EjNS0_10empty_typeEbEEZZNS1_14partition_implILS8_4ELb0ES6_15HIP_vector_typeIjLj2EENS0_17counting_iteratorIjlEEPS9_SG_NS0_5tupleIJPjSI_NS0_16reverse_iteratorISI_EEEEENSH_IJSG_SG_SG_EEES9_SI_JZNS1_25segmented_radix_sort_implINS0_14default_configELb1EPK6__halfPSP_PKlPlN2at6native12_GLOBAL__N_18offset_tEEE10hipError_tPvRmT1_PNSt15iterator_traitsIS13_E10value_typeET2_T3_PNS14_IS19_E10value_typeET4_jRbjT5_S1F_jjP12ihipStream_tbEUljE_ZNSN_ISO_Lb1ESR_SS_SU_SV_SZ_EES10_S11_S12_S13_S17_S18_S19_S1C_S1D_jS1E_jS1F_S1F_jjS1H_bEUljE0_EEES10_S11_S12_S19_S1D_S1F_T6_T7_T9_mT8_S1H_bDpT10_ENKUlT_T0_E_clISt17integral_constantIbLb0EES1U_IbLb1EEEEDaS1Q_S1R_EUlS1Q_E_NS1_11comp_targetILNS1_3genE4ELNS1_11target_archE910ELNS1_3gpuE8ELNS1_3repE0EEENS1_30default_config_static_selectorELNS0_4arch9wavefront6targetE0EEEvS13_
	.p2align	8
	.type	_ZN7rocprim17ROCPRIM_400000_NS6detail17trampoline_kernelINS0_13select_configILj256ELj13ELNS0_17block_load_methodE3ELS4_3ELS4_3ELNS0_20block_scan_algorithmE0ELj4294967295EEENS1_25partition_config_selectorILNS1_17partition_subalgoE4EjNS0_10empty_typeEbEEZZNS1_14partition_implILS8_4ELb0ES6_15HIP_vector_typeIjLj2EENS0_17counting_iteratorIjlEEPS9_SG_NS0_5tupleIJPjSI_NS0_16reverse_iteratorISI_EEEEENSH_IJSG_SG_SG_EEES9_SI_JZNS1_25segmented_radix_sort_implINS0_14default_configELb1EPK6__halfPSP_PKlPlN2at6native12_GLOBAL__N_18offset_tEEE10hipError_tPvRmT1_PNSt15iterator_traitsIS13_E10value_typeET2_T3_PNS14_IS19_E10value_typeET4_jRbjT5_S1F_jjP12ihipStream_tbEUljE_ZNSN_ISO_Lb1ESR_SS_SU_SV_SZ_EES10_S11_S12_S13_S17_S18_S19_S1C_S1D_jS1E_jS1F_S1F_jjS1H_bEUljE0_EEES10_S11_S12_S19_S1D_S1F_T6_T7_T9_mT8_S1H_bDpT10_ENKUlT_T0_E_clISt17integral_constantIbLb0EES1U_IbLb1EEEEDaS1Q_S1R_EUlS1Q_E_NS1_11comp_targetILNS1_3genE4ELNS1_11target_archE910ELNS1_3gpuE8ELNS1_3repE0EEENS1_30default_config_static_selectorELNS0_4arch9wavefront6targetE0EEEvS13_,@function
_ZN7rocprim17ROCPRIM_400000_NS6detail17trampoline_kernelINS0_13select_configILj256ELj13ELNS0_17block_load_methodE3ELS4_3ELS4_3ELNS0_20block_scan_algorithmE0ELj4294967295EEENS1_25partition_config_selectorILNS1_17partition_subalgoE4EjNS0_10empty_typeEbEEZZNS1_14partition_implILS8_4ELb0ES6_15HIP_vector_typeIjLj2EENS0_17counting_iteratorIjlEEPS9_SG_NS0_5tupleIJPjSI_NS0_16reverse_iteratorISI_EEEEENSH_IJSG_SG_SG_EEES9_SI_JZNS1_25segmented_radix_sort_implINS0_14default_configELb1EPK6__halfPSP_PKlPlN2at6native12_GLOBAL__N_18offset_tEEE10hipError_tPvRmT1_PNSt15iterator_traitsIS13_E10value_typeET2_T3_PNS14_IS19_E10value_typeET4_jRbjT5_S1F_jjP12ihipStream_tbEUljE_ZNSN_ISO_Lb1ESR_SS_SU_SV_SZ_EES10_S11_S12_S13_S17_S18_S19_S1C_S1D_jS1E_jS1F_S1F_jjS1H_bEUljE0_EEES10_S11_S12_S19_S1D_S1F_T6_T7_T9_mT8_S1H_bDpT10_ENKUlT_T0_E_clISt17integral_constantIbLb0EES1U_IbLb1EEEEDaS1Q_S1R_EUlS1Q_E_NS1_11comp_targetILNS1_3genE4ELNS1_11target_archE910ELNS1_3gpuE8ELNS1_3repE0EEENS1_30default_config_static_selectorELNS0_4arch9wavefront6targetE0EEEvS13_: ; @_ZN7rocprim17ROCPRIM_400000_NS6detail17trampoline_kernelINS0_13select_configILj256ELj13ELNS0_17block_load_methodE3ELS4_3ELS4_3ELNS0_20block_scan_algorithmE0ELj4294967295EEENS1_25partition_config_selectorILNS1_17partition_subalgoE4EjNS0_10empty_typeEbEEZZNS1_14partition_implILS8_4ELb0ES6_15HIP_vector_typeIjLj2EENS0_17counting_iteratorIjlEEPS9_SG_NS0_5tupleIJPjSI_NS0_16reverse_iteratorISI_EEEEENSH_IJSG_SG_SG_EEES9_SI_JZNS1_25segmented_radix_sort_implINS0_14default_configELb1EPK6__halfPSP_PKlPlN2at6native12_GLOBAL__N_18offset_tEEE10hipError_tPvRmT1_PNSt15iterator_traitsIS13_E10value_typeET2_T3_PNS14_IS19_E10value_typeET4_jRbjT5_S1F_jjP12ihipStream_tbEUljE_ZNSN_ISO_Lb1ESR_SS_SU_SV_SZ_EES10_S11_S12_S13_S17_S18_S19_S1C_S1D_jS1E_jS1F_S1F_jjS1H_bEUljE0_EEES10_S11_S12_S19_S1D_S1F_T6_T7_T9_mT8_S1H_bDpT10_ENKUlT_T0_E_clISt17integral_constantIbLb0EES1U_IbLb1EEEEDaS1Q_S1R_EUlS1Q_E_NS1_11comp_targetILNS1_3genE4ELNS1_11target_archE910ELNS1_3gpuE8ELNS1_3repE0EEENS1_30default_config_static_selectorELNS0_4arch9wavefront6targetE0EEEvS13_
; %bb.0:
	.section	.rodata,"a",@progbits
	.p2align	6, 0x0
	.amdhsa_kernel _ZN7rocprim17ROCPRIM_400000_NS6detail17trampoline_kernelINS0_13select_configILj256ELj13ELNS0_17block_load_methodE3ELS4_3ELS4_3ELNS0_20block_scan_algorithmE0ELj4294967295EEENS1_25partition_config_selectorILNS1_17partition_subalgoE4EjNS0_10empty_typeEbEEZZNS1_14partition_implILS8_4ELb0ES6_15HIP_vector_typeIjLj2EENS0_17counting_iteratorIjlEEPS9_SG_NS0_5tupleIJPjSI_NS0_16reverse_iteratorISI_EEEEENSH_IJSG_SG_SG_EEES9_SI_JZNS1_25segmented_radix_sort_implINS0_14default_configELb1EPK6__halfPSP_PKlPlN2at6native12_GLOBAL__N_18offset_tEEE10hipError_tPvRmT1_PNSt15iterator_traitsIS13_E10value_typeET2_T3_PNS14_IS19_E10value_typeET4_jRbjT5_S1F_jjP12ihipStream_tbEUljE_ZNSN_ISO_Lb1ESR_SS_SU_SV_SZ_EES10_S11_S12_S13_S17_S18_S19_S1C_S1D_jS1E_jS1F_S1F_jjS1H_bEUljE0_EEES10_S11_S12_S19_S1D_S1F_T6_T7_T9_mT8_S1H_bDpT10_ENKUlT_T0_E_clISt17integral_constantIbLb0EES1U_IbLb1EEEEDaS1Q_S1R_EUlS1Q_E_NS1_11comp_targetILNS1_3genE4ELNS1_11target_archE910ELNS1_3gpuE8ELNS1_3repE0EEENS1_30default_config_static_selectorELNS0_4arch9wavefront6targetE0EEEvS13_
		.amdhsa_group_segment_fixed_size 0
		.amdhsa_private_segment_fixed_size 0
		.amdhsa_kernarg_size 184
		.amdhsa_user_sgpr_count 2
		.amdhsa_user_sgpr_dispatch_ptr 0
		.amdhsa_user_sgpr_queue_ptr 0
		.amdhsa_user_sgpr_kernarg_segment_ptr 1
		.amdhsa_user_sgpr_dispatch_id 0
		.amdhsa_user_sgpr_private_segment_size 0
		.amdhsa_wavefront_size32 1
		.amdhsa_uses_dynamic_stack 0
		.amdhsa_enable_private_segment 0
		.amdhsa_system_sgpr_workgroup_id_x 1
		.amdhsa_system_sgpr_workgroup_id_y 0
		.amdhsa_system_sgpr_workgroup_id_z 0
		.amdhsa_system_sgpr_workgroup_info 0
		.amdhsa_system_vgpr_workitem_id 0
		.amdhsa_next_free_vgpr 1
		.amdhsa_next_free_sgpr 1
		.amdhsa_reserve_vcc 0
		.amdhsa_float_round_mode_32 0
		.amdhsa_float_round_mode_16_64 0
		.amdhsa_float_denorm_mode_32 3
		.amdhsa_float_denorm_mode_16_64 3
		.amdhsa_fp16_overflow 0
		.amdhsa_workgroup_processor_mode 1
		.amdhsa_memory_ordered 1
		.amdhsa_forward_progress 1
		.amdhsa_inst_pref_size 0
		.amdhsa_round_robin_scheduling 0
		.amdhsa_exception_fp_ieee_invalid_op 0
		.amdhsa_exception_fp_denorm_src 0
		.amdhsa_exception_fp_ieee_div_zero 0
		.amdhsa_exception_fp_ieee_overflow 0
		.amdhsa_exception_fp_ieee_underflow 0
		.amdhsa_exception_fp_ieee_inexact 0
		.amdhsa_exception_int_div_zero 0
	.end_amdhsa_kernel
	.section	.text._ZN7rocprim17ROCPRIM_400000_NS6detail17trampoline_kernelINS0_13select_configILj256ELj13ELNS0_17block_load_methodE3ELS4_3ELS4_3ELNS0_20block_scan_algorithmE0ELj4294967295EEENS1_25partition_config_selectorILNS1_17partition_subalgoE4EjNS0_10empty_typeEbEEZZNS1_14partition_implILS8_4ELb0ES6_15HIP_vector_typeIjLj2EENS0_17counting_iteratorIjlEEPS9_SG_NS0_5tupleIJPjSI_NS0_16reverse_iteratorISI_EEEEENSH_IJSG_SG_SG_EEES9_SI_JZNS1_25segmented_radix_sort_implINS0_14default_configELb1EPK6__halfPSP_PKlPlN2at6native12_GLOBAL__N_18offset_tEEE10hipError_tPvRmT1_PNSt15iterator_traitsIS13_E10value_typeET2_T3_PNS14_IS19_E10value_typeET4_jRbjT5_S1F_jjP12ihipStream_tbEUljE_ZNSN_ISO_Lb1ESR_SS_SU_SV_SZ_EES10_S11_S12_S13_S17_S18_S19_S1C_S1D_jS1E_jS1F_S1F_jjS1H_bEUljE0_EEES10_S11_S12_S19_S1D_S1F_T6_T7_T9_mT8_S1H_bDpT10_ENKUlT_T0_E_clISt17integral_constantIbLb0EES1U_IbLb1EEEEDaS1Q_S1R_EUlS1Q_E_NS1_11comp_targetILNS1_3genE4ELNS1_11target_archE910ELNS1_3gpuE8ELNS1_3repE0EEENS1_30default_config_static_selectorELNS0_4arch9wavefront6targetE0EEEvS13_,"axG",@progbits,_ZN7rocprim17ROCPRIM_400000_NS6detail17trampoline_kernelINS0_13select_configILj256ELj13ELNS0_17block_load_methodE3ELS4_3ELS4_3ELNS0_20block_scan_algorithmE0ELj4294967295EEENS1_25partition_config_selectorILNS1_17partition_subalgoE4EjNS0_10empty_typeEbEEZZNS1_14partition_implILS8_4ELb0ES6_15HIP_vector_typeIjLj2EENS0_17counting_iteratorIjlEEPS9_SG_NS0_5tupleIJPjSI_NS0_16reverse_iteratorISI_EEEEENSH_IJSG_SG_SG_EEES9_SI_JZNS1_25segmented_radix_sort_implINS0_14default_configELb1EPK6__halfPSP_PKlPlN2at6native12_GLOBAL__N_18offset_tEEE10hipError_tPvRmT1_PNSt15iterator_traitsIS13_E10value_typeET2_T3_PNS14_IS19_E10value_typeET4_jRbjT5_S1F_jjP12ihipStream_tbEUljE_ZNSN_ISO_Lb1ESR_SS_SU_SV_SZ_EES10_S11_S12_S13_S17_S18_S19_S1C_S1D_jS1E_jS1F_S1F_jjS1H_bEUljE0_EEES10_S11_S12_S19_S1D_S1F_T6_T7_T9_mT8_S1H_bDpT10_ENKUlT_T0_E_clISt17integral_constantIbLb0EES1U_IbLb1EEEEDaS1Q_S1R_EUlS1Q_E_NS1_11comp_targetILNS1_3genE4ELNS1_11target_archE910ELNS1_3gpuE8ELNS1_3repE0EEENS1_30default_config_static_selectorELNS0_4arch9wavefront6targetE0EEEvS13_,comdat
.Lfunc_end1701:
	.size	_ZN7rocprim17ROCPRIM_400000_NS6detail17trampoline_kernelINS0_13select_configILj256ELj13ELNS0_17block_load_methodE3ELS4_3ELS4_3ELNS0_20block_scan_algorithmE0ELj4294967295EEENS1_25partition_config_selectorILNS1_17partition_subalgoE4EjNS0_10empty_typeEbEEZZNS1_14partition_implILS8_4ELb0ES6_15HIP_vector_typeIjLj2EENS0_17counting_iteratorIjlEEPS9_SG_NS0_5tupleIJPjSI_NS0_16reverse_iteratorISI_EEEEENSH_IJSG_SG_SG_EEES9_SI_JZNS1_25segmented_radix_sort_implINS0_14default_configELb1EPK6__halfPSP_PKlPlN2at6native12_GLOBAL__N_18offset_tEEE10hipError_tPvRmT1_PNSt15iterator_traitsIS13_E10value_typeET2_T3_PNS14_IS19_E10value_typeET4_jRbjT5_S1F_jjP12ihipStream_tbEUljE_ZNSN_ISO_Lb1ESR_SS_SU_SV_SZ_EES10_S11_S12_S13_S17_S18_S19_S1C_S1D_jS1E_jS1F_S1F_jjS1H_bEUljE0_EEES10_S11_S12_S19_S1D_S1F_T6_T7_T9_mT8_S1H_bDpT10_ENKUlT_T0_E_clISt17integral_constantIbLb0EES1U_IbLb1EEEEDaS1Q_S1R_EUlS1Q_E_NS1_11comp_targetILNS1_3genE4ELNS1_11target_archE910ELNS1_3gpuE8ELNS1_3repE0EEENS1_30default_config_static_selectorELNS0_4arch9wavefront6targetE0EEEvS13_, .Lfunc_end1701-_ZN7rocprim17ROCPRIM_400000_NS6detail17trampoline_kernelINS0_13select_configILj256ELj13ELNS0_17block_load_methodE3ELS4_3ELS4_3ELNS0_20block_scan_algorithmE0ELj4294967295EEENS1_25partition_config_selectorILNS1_17partition_subalgoE4EjNS0_10empty_typeEbEEZZNS1_14partition_implILS8_4ELb0ES6_15HIP_vector_typeIjLj2EENS0_17counting_iteratorIjlEEPS9_SG_NS0_5tupleIJPjSI_NS0_16reverse_iteratorISI_EEEEENSH_IJSG_SG_SG_EEES9_SI_JZNS1_25segmented_radix_sort_implINS0_14default_configELb1EPK6__halfPSP_PKlPlN2at6native12_GLOBAL__N_18offset_tEEE10hipError_tPvRmT1_PNSt15iterator_traitsIS13_E10value_typeET2_T3_PNS14_IS19_E10value_typeET4_jRbjT5_S1F_jjP12ihipStream_tbEUljE_ZNSN_ISO_Lb1ESR_SS_SU_SV_SZ_EES10_S11_S12_S13_S17_S18_S19_S1C_S1D_jS1E_jS1F_S1F_jjS1H_bEUljE0_EEES10_S11_S12_S19_S1D_S1F_T6_T7_T9_mT8_S1H_bDpT10_ENKUlT_T0_E_clISt17integral_constantIbLb0EES1U_IbLb1EEEEDaS1Q_S1R_EUlS1Q_E_NS1_11comp_targetILNS1_3genE4ELNS1_11target_archE910ELNS1_3gpuE8ELNS1_3repE0EEENS1_30default_config_static_selectorELNS0_4arch9wavefront6targetE0EEEvS13_
                                        ; -- End function
	.set _ZN7rocprim17ROCPRIM_400000_NS6detail17trampoline_kernelINS0_13select_configILj256ELj13ELNS0_17block_load_methodE3ELS4_3ELS4_3ELNS0_20block_scan_algorithmE0ELj4294967295EEENS1_25partition_config_selectorILNS1_17partition_subalgoE4EjNS0_10empty_typeEbEEZZNS1_14partition_implILS8_4ELb0ES6_15HIP_vector_typeIjLj2EENS0_17counting_iteratorIjlEEPS9_SG_NS0_5tupleIJPjSI_NS0_16reverse_iteratorISI_EEEEENSH_IJSG_SG_SG_EEES9_SI_JZNS1_25segmented_radix_sort_implINS0_14default_configELb1EPK6__halfPSP_PKlPlN2at6native12_GLOBAL__N_18offset_tEEE10hipError_tPvRmT1_PNSt15iterator_traitsIS13_E10value_typeET2_T3_PNS14_IS19_E10value_typeET4_jRbjT5_S1F_jjP12ihipStream_tbEUljE_ZNSN_ISO_Lb1ESR_SS_SU_SV_SZ_EES10_S11_S12_S13_S17_S18_S19_S1C_S1D_jS1E_jS1F_S1F_jjS1H_bEUljE0_EEES10_S11_S12_S19_S1D_S1F_T6_T7_T9_mT8_S1H_bDpT10_ENKUlT_T0_E_clISt17integral_constantIbLb0EES1U_IbLb1EEEEDaS1Q_S1R_EUlS1Q_E_NS1_11comp_targetILNS1_3genE4ELNS1_11target_archE910ELNS1_3gpuE8ELNS1_3repE0EEENS1_30default_config_static_selectorELNS0_4arch9wavefront6targetE0EEEvS13_.num_vgpr, 0
	.set _ZN7rocprim17ROCPRIM_400000_NS6detail17trampoline_kernelINS0_13select_configILj256ELj13ELNS0_17block_load_methodE3ELS4_3ELS4_3ELNS0_20block_scan_algorithmE0ELj4294967295EEENS1_25partition_config_selectorILNS1_17partition_subalgoE4EjNS0_10empty_typeEbEEZZNS1_14partition_implILS8_4ELb0ES6_15HIP_vector_typeIjLj2EENS0_17counting_iteratorIjlEEPS9_SG_NS0_5tupleIJPjSI_NS0_16reverse_iteratorISI_EEEEENSH_IJSG_SG_SG_EEES9_SI_JZNS1_25segmented_radix_sort_implINS0_14default_configELb1EPK6__halfPSP_PKlPlN2at6native12_GLOBAL__N_18offset_tEEE10hipError_tPvRmT1_PNSt15iterator_traitsIS13_E10value_typeET2_T3_PNS14_IS19_E10value_typeET4_jRbjT5_S1F_jjP12ihipStream_tbEUljE_ZNSN_ISO_Lb1ESR_SS_SU_SV_SZ_EES10_S11_S12_S13_S17_S18_S19_S1C_S1D_jS1E_jS1F_S1F_jjS1H_bEUljE0_EEES10_S11_S12_S19_S1D_S1F_T6_T7_T9_mT8_S1H_bDpT10_ENKUlT_T0_E_clISt17integral_constantIbLb0EES1U_IbLb1EEEEDaS1Q_S1R_EUlS1Q_E_NS1_11comp_targetILNS1_3genE4ELNS1_11target_archE910ELNS1_3gpuE8ELNS1_3repE0EEENS1_30default_config_static_selectorELNS0_4arch9wavefront6targetE0EEEvS13_.num_agpr, 0
	.set _ZN7rocprim17ROCPRIM_400000_NS6detail17trampoline_kernelINS0_13select_configILj256ELj13ELNS0_17block_load_methodE3ELS4_3ELS4_3ELNS0_20block_scan_algorithmE0ELj4294967295EEENS1_25partition_config_selectorILNS1_17partition_subalgoE4EjNS0_10empty_typeEbEEZZNS1_14partition_implILS8_4ELb0ES6_15HIP_vector_typeIjLj2EENS0_17counting_iteratorIjlEEPS9_SG_NS0_5tupleIJPjSI_NS0_16reverse_iteratorISI_EEEEENSH_IJSG_SG_SG_EEES9_SI_JZNS1_25segmented_radix_sort_implINS0_14default_configELb1EPK6__halfPSP_PKlPlN2at6native12_GLOBAL__N_18offset_tEEE10hipError_tPvRmT1_PNSt15iterator_traitsIS13_E10value_typeET2_T3_PNS14_IS19_E10value_typeET4_jRbjT5_S1F_jjP12ihipStream_tbEUljE_ZNSN_ISO_Lb1ESR_SS_SU_SV_SZ_EES10_S11_S12_S13_S17_S18_S19_S1C_S1D_jS1E_jS1F_S1F_jjS1H_bEUljE0_EEES10_S11_S12_S19_S1D_S1F_T6_T7_T9_mT8_S1H_bDpT10_ENKUlT_T0_E_clISt17integral_constantIbLb0EES1U_IbLb1EEEEDaS1Q_S1R_EUlS1Q_E_NS1_11comp_targetILNS1_3genE4ELNS1_11target_archE910ELNS1_3gpuE8ELNS1_3repE0EEENS1_30default_config_static_selectorELNS0_4arch9wavefront6targetE0EEEvS13_.numbered_sgpr, 0
	.set _ZN7rocprim17ROCPRIM_400000_NS6detail17trampoline_kernelINS0_13select_configILj256ELj13ELNS0_17block_load_methodE3ELS4_3ELS4_3ELNS0_20block_scan_algorithmE0ELj4294967295EEENS1_25partition_config_selectorILNS1_17partition_subalgoE4EjNS0_10empty_typeEbEEZZNS1_14partition_implILS8_4ELb0ES6_15HIP_vector_typeIjLj2EENS0_17counting_iteratorIjlEEPS9_SG_NS0_5tupleIJPjSI_NS0_16reverse_iteratorISI_EEEEENSH_IJSG_SG_SG_EEES9_SI_JZNS1_25segmented_radix_sort_implINS0_14default_configELb1EPK6__halfPSP_PKlPlN2at6native12_GLOBAL__N_18offset_tEEE10hipError_tPvRmT1_PNSt15iterator_traitsIS13_E10value_typeET2_T3_PNS14_IS19_E10value_typeET4_jRbjT5_S1F_jjP12ihipStream_tbEUljE_ZNSN_ISO_Lb1ESR_SS_SU_SV_SZ_EES10_S11_S12_S13_S17_S18_S19_S1C_S1D_jS1E_jS1F_S1F_jjS1H_bEUljE0_EEES10_S11_S12_S19_S1D_S1F_T6_T7_T9_mT8_S1H_bDpT10_ENKUlT_T0_E_clISt17integral_constantIbLb0EES1U_IbLb1EEEEDaS1Q_S1R_EUlS1Q_E_NS1_11comp_targetILNS1_3genE4ELNS1_11target_archE910ELNS1_3gpuE8ELNS1_3repE0EEENS1_30default_config_static_selectorELNS0_4arch9wavefront6targetE0EEEvS13_.num_named_barrier, 0
	.set _ZN7rocprim17ROCPRIM_400000_NS6detail17trampoline_kernelINS0_13select_configILj256ELj13ELNS0_17block_load_methodE3ELS4_3ELS4_3ELNS0_20block_scan_algorithmE0ELj4294967295EEENS1_25partition_config_selectorILNS1_17partition_subalgoE4EjNS0_10empty_typeEbEEZZNS1_14partition_implILS8_4ELb0ES6_15HIP_vector_typeIjLj2EENS0_17counting_iteratorIjlEEPS9_SG_NS0_5tupleIJPjSI_NS0_16reverse_iteratorISI_EEEEENSH_IJSG_SG_SG_EEES9_SI_JZNS1_25segmented_radix_sort_implINS0_14default_configELb1EPK6__halfPSP_PKlPlN2at6native12_GLOBAL__N_18offset_tEEE10hipError_tPvRmT1_PNSt15iterator_traitsIS13_E10value_typeET2_T3_PNS14_IS19_E10value_typeET4_jRbjT5_S1F_jjP12ihipStream_tbEUljE_ZNSN_ISO_Lb1ESR_SS_SU_SV_SZ_EES10_S11_S12_S13_S17_S18_S19_S1C_S1D_jS1E_jS1F_S1F_jjS1H_bEUljE0_EEES10_S11_S12_S19_S1D_S1F_T6_T7_T9_mT8_S1H_bDpT10_ENKUlT_T0_E_clISt17integral_constantIbLb0EES1U_IbLb1EEEEDaS1Q_S1R_EUlS1Q_E_NS1_11comp_targetILNS1_3genE4ELNS1_11target_archE910ELNS1_3gpuE8ELNS1_3repE0EEENS1_30default_config_static_selectorELNS0_4arch9wavefront6targetE0EEEvS13_.private_seg_size, 0
	.set _ZN7rocprim17ROCPRIM_400000_NS6detail17trampoline_kernelINS0_13select_configILj256ELj13ELNS0_17block_load_methodE3ELS4_3ELS4_3ELNS0_20block_scan_algorithmE0ELj4294967295EEENS1_25partition_config_selectorILNS1_17partition_subalgoE4EjNS0_10empty_typeEbEEZZNS1_14partition_implILS8_4ELb0ES6_15HIP_vector_typeIjLj2EENS0_17counting_iteratorIjlEEPS9_SG_NS0_5tupleIJPjSI_NS0_16reverse_iteratorISI_EEEEENSH_IJSG_SG_SG_EEES9_SI_JZNS1_25segmented_radix_sort_implINS0_14default_configELb1EPK6__halfPSP_PKlPlN2at6native12_GLOBAL__N_18offset_tEEE10hipError_tPvRmT1_PNSt15iterator_traitsIS13_E10value_typeET2_T3_PNS14_IS19_E10value_typeET4_jRbjT5_S1F_jjP12ihipStream_tbEUljE_ZNSN_ISO_Lb1ESR_SS_SU_SV_SZ_EES10_S11_S12_S13_S17_S18_S19_S1C_S1D_jS1E_jS1F_S1F_jjS1H_bEUljE0_EEES10_S11_S12_S19_S1D_S1F_T6_T7_T9_mT8_S1H_bDpT10_ENKUlT_T0_E_clISt17integral_constantIbLb0EES1U_IbLb1EEEEDaS1Q_S1R_EUlS1Q_E_NS1_11comp_targetILNS1_3genE4ELNS1_11target_archE910ELNS1_3gpuE8ELNS1_3repE0EEENS1_30default_config_static_selectorELNS0_4arch9wavefront6targetE0EEEvS13_.uses_vcc, 0
	.set _ZN7rocprim17ROCPRIM_400000_NS6detail17trampoline_kernelINS0_13select_configILj256ELj13ELNS0_17block_load_methodE3ELS4_3ELS4_3ELNS0_20block_scan_algorithmE0ELj4294967295EEENS1_25partition_config_selectorILNS1_17partition_subalgoE4EjNS0_10empty_typeEbEEZZNS1_14partition_implILS8_4ELb0ES6_15HIP_vector_typeIjLj2EENS0_17counting_iteratorIjlEEPS9_SG_NS0_5tupleIJPjSI_NS0_16reverse_iteratorISI_EEEEENSH_IJSG_SG_SG_EEES9_SI_JZNS1_25segmented_radix_sort_implINS0_14default_configELb1EPK6__halfPSP_PKlPlN2at6native12_GLOBAL__N_18offset_tEEE10hipError_tPvRmT1_PNSt15iterator_traitsIS13_E10value_typeET2_T3_PNS14_IS19_E10value_typeET4_jRbjT5_S1F_jjP12ihipStream_tbEUljE_ZNSN_ISO_Lb1ESR_SS_SU_SV_SZ_EES10_S11_S12_S13_S17_S18_S19_S1C_S1D_jS1E_jS1F_S1F_jjS1H_bEUljE0_EEES10_S11_S12_S19_S1D_S1F_T6_T7_T9_mT8_S1H_bDpT10_ENKUlT_T0_E_clISt17integral_constantIbLb0EES1U_IbLb1EEEEDaS1Q_S1R_EUlS1Q_E_NS1_11comp_targetILNS1_3genE4ELNS1_11target_archE910ELNS1_3gpuE8ELNS1_3repE0EEENS1_30default_config_static_selectorELNS0_4arch9wavefront6targetE0EEEvS13_.uses_flat_scratch, 0
	.set _ZN7rocprim17ROCPRIM_400000_NS6detail17trampoline_kernelINS0_13select_configILj256ELj13ELNS0_17block_load_methodE3ELS4_3ELS4_3ELNS0_20block_scan_algorithmE0ELj4294967295EEENS1_25partition_config_selectorILNS1_17partition_subalgoE4EjNS0_10empty_typeEbEEZZNS1_14partition_implILS8_4ELb0ES6_15HIP_vector_typeIjLj2EENS0_17counting_iteratorIjlEEPS9_SG_NS0_5tupleIJPjSI_NS0_16reverse_iteratorISI_EEEEENSH_IJSG_SG_SG_EEES9_SI_JZNS1_25segmented_radix_sort_implINS0_14default_configELb1EPK6__halfPSP_PKlPlN2at6native12_GLOBAL__N_18offset_tEEE10hipError_tPvRmT1_PNSt15iterator_traitsIS13_E10value_typeET2_T3_PNS14_IS19_E10value_typeET4_jRbjT5_S1F_jjP12ihipStream_tbEUljE_ZNSN_ISO_Lb1ESR_SS_SU_SV_SZ_EES10_S11_S12_S13_S17_S18_S19_S1C_S1D_jS1E_jS1F_S1F_jjS1H_bEUljE0_EEES10_S11_S12_S19_S1D_S1F_T6_T7_T9_mT8_S1H_bDpT10_ENKUlT_T0_E_clISt17integral_constantIbLb0EES1U_IbLb1EEEEDaS1Q_S1R_EUlS1Q_E_NS1_11comp_targetILNS1_3genE4ELNS1_11target_archE910ELNS1_3gpuE8ELNS1_3repE0EEENS1_30default_config_static_selectorELNS0_4arch9wavefront6targetE0EEEvS13_.has_dyn_sized_stack, 0
	.set _ZN7rocprim17ROCPRIM_400000_NS6detail17trampoline_kernelINS0_13select_configILj256ELj13ELNS0_17block_load_methodE3ELS4_3ELS4_3ELNS0_20block_scan_algorithmE0ELj4294967295EEENS1_25partition_config_selectorILNS1_17partition_subalgoE4EjNS0_10empty_typeEbEEZZNS1_14partition_implILS8_4ELb0ES6_15HIP_vector_typeIjLj2EENS0_17counting_iteratorIjlEEPS9_SG_NS0_5tupleIJPjSI_NS0_16reverse_iteratorISI_EEEEENSH_IJSG_SG_SG_EEES9_SI_JZNS1_25segmented_radix_sort_implINS0_14default_configELb1EPK6__halfPSP_PKlPlN2at6native12_GLOBAL__N_18offset_tEEE10hipError_tPvRmT1_PNSt15iterator_traitsIS13_E10value_typeET2_T3_PNS14_IS19_E10value_typeET4_jRbjT5_S1F_jjP12ihipStream_tbEUljE_ZNSN_ISO_Lb1ESR_SS_SU_SV_SZ_EES10_S11_S12_S13_S17_S18_S19_S1C_S1D_jS1E_jS1F_S1F_jjS1H_bEUljE0_EEES10_S11_S12_S19_S1D_S1F_T6_T7_T9_mT8_S1H_bDpT10_ENKUlT_T0_E_clISt17integral_constantIbLb0EES1U_IbLb1EEEEDaS1Q_S1R_EUlS1Q_E_NS1_11comp_targetILNS1_3genE4ELNS1_11target_archE910ELNS1_3gpuE8ELNS1_3repE0EEENS1_30default_config_static_selectorELNS0_4arch9wavefront6targetE0EEEvS13_.has_recursion, 0
	.set _ZN7rocprim17ROCPRIM_400000_NS6detail17trampoline_kernelINS0_13select_configILj256ELj13ELNS0_17block_load_methodE3ELS4_3ELS4_3ELNS0_20block_scan_algorithmE0ELj4294967295EEENS1_25partition_config_selectorILNS1_17partition_subalgoE4EjNS0_10empty_typeEbEEZZNS1_14partition_implILS8_4ELb0ES6_15HIP_vector_typeIjLj2EENS0_17counting_iteratorIjlEEPS9_SG_NS0_5tupleIJPjSI_NS0_16reverse_iteratorISI_EEEEENSH_IJSG_SG_SG_EEES9_SI_JZNS1_25segmented_radix_sort_implINS0_14default_configELb1EPK6__halfPSP_PKlPlN2at6native12_GLOBAL__N_18offset_tEEE10hipError_tPvRmT1_PNSt15iterator_traitsIS13_E10value_typeET2_T3_PNS14_IS19_E10value_typeET4_jRbjT5_S1F_jjP12ihipStream_tbEUljE_ZNSN_ISO_Lb1ESR_SS_SU_SV_SZ_EES10_S11_S12_S13_S17_S18_S19_S1C_S1D_jS1E_jS1F_S1F_jjS1H_bEUljE0_EEES10_S11_S12_S19_S1D_S1F_T6_T7_T9_mT8_S1H_bDpT10_ENKUlT_T0_E_clISt17integral_constantIbLb0EES1U_IbLb1EEEEDaS1Q_S1R_EUlS1Q_E_NS1_11comp_targetILNS1_3genE4ELNS1_11target_archE910ELNS1_3gpuE8ELNS1_3repE0EEENS1_30default_config_static_selectorELNS0_4arch9wavefront6targetE0EEEvS13_.has_indirect_call, 0
	.section	.AMDGPU.csdata,"",@progbits
; Kernel info:
; codeLenInByte = 0
; TotalNumSgprs: 0
; NumVgprs: 0
; ScratchSize: 0
; MemoryBound: 0
; FloatMode: 240
; IeeeMode: 1
; LDSByteSize: 0 bytes/workgroup (compile time only)
; SGPRBlocks: 0
; VGPRBlocks: 0
; NumSGPRsForWavesPerEU: 1
; NumVGPRsForWavesPerEU: 1
; Occupancy: 16
; WaveLimiterHint : 0
; COMPUTE_PGM_RSRC2:SCRATCH_EN: 0
; COMPUTE_PGM_RSRC2:USER_SGPR: 2
; COMPUTE_PGM_RSRC2:TRAP_HANDLER: 0
; COMPUTE_PGM_RSRC2:TGID_X_EN: 1
; COMPUTE_PGM_RSRC2:TGID_Y_EN: 0
; COMPUTE_PGM_RSRC2:TGID_Z_EN: 0
; COMPUTE_PGM_RSRC2:TIDIG_COMP_CNT: 0
	.section	.text._ZN7rocprim17ROCPRIM_400000_NS6detail17trampoline_kernelINS0_13select_configILj256ELj13ELNS0_17block_load_methodE3ELS4_3ELS4_3ELNS0_20block_scan_algorithmE0ELj4294967295EEENS1_25partition_config_selectorILNS1_17partition_subalgoE4EjNS0_10empty_typeEbEEZZNS1_14partition_implILS8_4ELb0ES6_15HIP_vector_typeIjLj2EENS0_17counting_iteratorIjlEEPS9_SG_NS0_5tupleIJPjSI_NS0_16reverse_iteratorISI_EEEEENSH_IJSG_SG_SG_EEES9_SI_JZNS1_25segmented_radix_sort_implINS0_14default_configELb1EPK6__halfPSP_PKlPlN2at6native12_GLOBAL__N_18offset_tEEE10hipError_tPvRmT1_PNSt15iterator_traitsIS13_E10value_typeET2_T3_PNS14_IS19_E10value_typeET4_jRbjT5_S1F_jjP12ihipStream_tbEUljE_ZNSN_ISO_Lb1ESR_SS_SU_SV_SZ_EES10_S11_S12_S13_S17_S18_S19_S1C_S1D_jS1E_jS1F_S1F_jjS1H_bEUljE0_EEES10_S11_S12_S19_S1D_S1F_T6_T7_T9_mT8_S1H_bDpT10_ENKUlT_T0_E_clISt17integral_constantIbLb0EES1U_IbLb1EEEEDaS1Q_S1R_EUlS1Q_E_NS1_11comp_targetILNS1_3genE3ELNS1_11target_archE908ELNS1_3gpuE7ELNS1_3repE0EEENS1_30default_config_static_selectorELNS0_4arch9wavefront6targetE0EEEvS13_,"axG",@progbits,_ZN7rocprim17ROCPRIM_400000_NS6detail17trampoline_kernelINS0_13select_configILj256ELj13ELNS0_17block_load_methodE3ELS4_3ELS4_3ELNS0_20block_scan_algorithmE0ELj4294967295EEENS1_25partition_config_selectorILNS1_17partition_subalgoE4EjNS0_10empty_typeEbEEZZNS1_14partition_implILS8_4ELb0ES6_15HIP_vector_typeIjLj2EENS0_17counting_iteratorIjlEEPS9_SG_NS0_5tupleIJPjSI_NS0_16reverse_iteratorISI_EEEEENSH_IJSG_SG_SG_EEES9_SI_JZNS1_25segmented_radix_sort_implINS0_14default_configELb1EPK6__halfPSP_PKlPlN2at6native12_GLOBAL__N_18offset_tEEE10hipError_tPvRmT1_PNSt15iterator_traitsIS13_E10value_typeET2_T3_PNS14_IS19_E10value_typeET4_jRbjT5_S1F_jjP12ihipStream_tbEUljE_ZNSN_ISO_Lb1ESR_SS_SU_SV_SZ_EES10_S11_S12_S13_S17_S18_S19_S1C_S1D_jS1E_jS1F_S1F_jjS1H_bEUljE0_EEES10_S11_S12_S19_S1D_S1F_T6_T7_T9_mT8_S1H_bDpT10_ENKUlT_T0_E_clISt17integral_constantIbLb0EES1U_IbLb1EEEEDaS1Q_S1R_EUlS1Q_E_NS1_11comp_targetILNS1_3genE3ELNS1_11target_archE908ELNS1_3gpuE7ELNS1_3repE0EEENS1_30default_config_static_selectorELNS0_4arch9wavefront6targetE0EEEvS13_,comdat
	.globl	_ZN7rocprim17ROCPRIM_400000_NS6detail17trampoline_kernelINS0_13select_configILj256ELj13ELNS0_17block_load_methodE3ELS4_3ELS4_3ELNS0_20block_scan_algorithmE0ELj4294967295EEENS1_25partition_config_selectorILNS1_17partition_subalgoE4EjNS0_10empty_typeEbEEZZNS1_14partition_implILS8_4ELb0ES6_15HIP_vector_typeIjLj2EENS0_17counting_iteratorIjlEEPS9_SG_NS0_5tupleIJPjSI_NS0_16reverse_iteratorISI_EEEEENSH_IJSG_SG_SG_EEES9_SI_JZNS1_25segmented_radix_sort_implINS0_14default_configELb1EPK6__halfPSP_PKlPlN2at6native12_GLOBAL__N_18offset_tEEE10hipError_tPvRmT1_PNSt15iterator_traitsIS13_E10value_typeET2_T3_PNS14_IS19_E10value_typeET4_jRbjT5_S1F_jjP12ihipStream_tbEUljE_ZNSN_ISO_Lb1ESR_SS_SU_SV_SZ_EES10_S11_S12_S13_S17_S18_S19_S1C_S1D_jS1E_jS1F_S1F_jjS1H_bEUljE0_EEES10_S11_S12_S19_S1D_S1F_T6_T7_T9_mT8_S1H_bDpT10_ENKUlT_T0_E_clISt17integral_constantIbLb0EES1U_IbLb1EEEEDaS1Q_S1R_EUlS1Q_E_NS1_11comp_targetILNS1_3genE3ELNS1_11target_archE908ELNS1_3gpuE7ELNS1_3repE0EEENS1_30default_config_static_selectorELNS0_4arch9wavefront6targetE0EEEvS13_ ; -- Begin function _ZN7rocprim17ROCPRIM_400000_NS6detail17trampoline_kernelINS0_13select_configILj256ELj13ELNS0_17block_load_methodE3ELS4_3ELS4_3ELNS0_20block_scan_algorithmE0ELj4294967295EEENS1_25partition_config_selectorILNS1_17partition_subalgoE4EjNS0_10empty_typeEbEEZZNS1_14partition_implILS8_4ELb0ES6_15HIP_vector_typeIjLj2EENS0_17counting_iteratorIjlEEPS9_SG_NS0_5tupleIJPjSI_NS0_16reverse_iteratorISI_EEEEENSH_IJSG_SG_SG_EEES9_SI_JZNS1_25segmented_radix_sort_implINS0_14default_configELb1EPK6__halfPSP_PKlPlN2at6native12_GLOBAL__N_18offset_tEEE10hipError_tPvRmT1_PNSt15iterator_traitsIS13_E10value_typeET2_T3_PNS14_IS19_E10value_typeET4_jRbjT5_S1F_jjP12ihipStream_tbEUljE_ZNSN_ISO_Lb1ESR_SS_SU_SV_SZ_EES10_S11_S12_S13_S17_S18_S19_S1C_S1D_jS1E_jS1F_S1F_jjS1H_bEUljE0_EEES10_S11_S12_S19_S1D_S1F_T6_T7_T9_mT8_S1H_bDpT10_ENKUlT_T0_E_clISt17integral_constantIbLb0EES1U_IbLb1EEEEDaS1Q_S1R_EUlS1Q_E_NS1_11comp_targetILNS1_3genE3ELNS1_11target_archE908ELNS1_3gpuE7ELNS1_3repE0EEENS1_30default_config_static_selectorELNS0_4arch9wavefront6targetE0EEEvS13_
	.p2align	8
	.type	_ZN7rocprim17ROCPRIM_400000_NS6detail17trampoline_kernelINS0_13select_configILj256ELj13ELNS0_17block_load_methodE3ELS4_3ELS4_3ELNS0_20block_scan_algorithmE0ELj4294967295EEENS1_25partition_config_selectorILNS1_17partition_subalgoE4EjNS0_10empty_typeEbEEZZNS1_14partition_implILS8_4ELb0ES6_15HIP_vector_typeIjLj2EENS0_17counting_iteratorIjlEEPS9_SG_NS0_5tupleIJPjSI_NS0_16reverse_iteratorISI_EEEEENSH_IJSG_SG_SG_EEES9_SI_JZNS1_25segmented_radix_sort_implINS0_14default_configELb1EPK6__halfPSP_PKlPlN2at6native12_GLOBAL__N_18offset_tEEE10hipError_tPvRmT1_PNSt15iterator_traitsIS13_E10value_typeET2_T3_PNS14_IS19_E10value_typeET4_jRbjT5_S1F_jjP12ihipStream_tbEUljE_ZNSN_ISO_Lb1ESR_SS_SU_SV_SZ_EES10_S11_S12_S13_S17_S18_S19_S1C_S1D_jS1E_jS1F_S1F_jjS1H_bEUljE0_EEES10_S11_S12_S19_S1D_S1F_T6_T7_T9_mT8_S1H_bDpT10_ENKUlT_T0_E_clISt17integral_constantIbLb0EES1U_IbLb1EEEEDaS1Q_S1R_EUlS1Q_E_NS1_11comp_targetILNS1_3genE3ELNS1_11target_archE908ELNS1_3gpuE7ELNS1_3repE0EEENS1_30default_config_static_selectorELNS0_4arch9wavefront6targetE0EEEvS13_,@function
_ZN7rocprim17ROCPRIM_400000_NS6detail17trampoline_kernelINS0_13select_configILj256ELj13ELNS0_17block_load_methodE3ELS4_3ELS4_3ELNS0_20block_scan_algorithmE0ELj4294967295EEENS1_25partition_config_selectorILNS1_17partition_subalgoE4EjNS0_10empty_typeEbEEZZNS1_14partition_implILS8_4ELb0ES6_15HIP_vector_typeIjLj2EENS0_17counting_iteratorIjlEEPS9_SG_NS0_5tupleIJPjSI_NS0_16reverse_iteratorISI_EEEEENSH_IJSG_SG_SG_EEES9_SI_JZNS1_25segmented_radix_sort_implINS0_14default_configELb1EPK6__halfPSP_PKlPlN2at6native12_GLOBAL__N_18offset_tEEE10hipError_tPvRmT1_PNSt15iterator_traitsIS13_E10value_typeET2_T3_PNS14_IS19_E10value_typeET4_jRbjT5_S1F_jjP12ihipStream_tbEUljE_ZNSN_ISO_Lb1ESR_SS_SU_SV_SZ_EES10_S11_S12_S13_S17_S18_S19_S1C_S1D_jS1E_jS1F_S1F_jjS1H_bEUljE0_EEES10_S11_S12_S19_S1D_S1F_T6_T7_T9_mT8_S1H_bDpT10_ENKUlT_T0_E_clISt17integral_constantIbLb0EES1U_IbLb1EEEEDaS1Q_S1R_EUlS1Q_E_NS1_11comp_targetILNS1_3genE3ELNS1_11target_archE908ELNS1_3gpuE7ELNS1_3repE0EEENS1_30default_config_static_selectorELNS0_4arch9wavefront6targetE0EEEvS13_: ; @_ZN7rocprim17ROCPRIM_400000_NS6detail17trampoline_kernelINS0_13select_configILj256ELj13ELNS0_17block_load_methodE3ELS4_3ELS4_3ELNS0_20block_scan_algorithmE0ELj4294967295EEENS1_25partition_config_selectorILNS1_17partition_subalgoE4EjNS0_10empty_typeEbEEZZNS1_14partition_implILS8_4ELb0ES6_15HIP_vector_typeIjLj2EENS0_17counting_iteratorIjlEEPS9_SG_NS0_5tupleIJPjSI_NS0_16reverse_iteratorISI_EEEEENSH_IJSG_SG_SG_EEES9_SI_JZNS1_25segmented_radix_sort_implINS0_14default_configELb1EPK6__halfPSP_PKlPlN2at6native12_GLOBAL__N_18offset_tEEE10hipError_tPvRmT1_PNSt15iterator_traitsIS13_E10value_typeET2_T3_PNS14_IS19_E10value_typeET4_jRbjT5_S1F_jjP12ihipStream_tbEUljE_ZNSN_ISO_Lb1ESR_SS_SU_SV_SZ_EES10_S11_S12_S13_S17_S18_S19_S1C_S1D_jS1E_jS1F_S1F_jjS1H_bEUljE0_EEES10_S11_S12_S19_S1D_S1F_T6_T7_T9_mT8_S1H_bDpT10_ENKUlT_T0_E_clISt17integral_constantIbLb0EES1U_IbLb1EEEEDaS1Q_S1R_EUlS1Q_E_NS1_11comp_targetILNS1_3genE3ELNS1_11target_archE908ELNS1_3gpuE7ELNS1_3repE0EEENS1_30default_config_static_selectorELNS0_4arch9wavefront6targetE0EEEvS13_
; %bb.0:
	.section	.rodata,"a",@progbits
	.p2align	6, 0x0
	.amdhsa_kernel _ZN7rocprim17ROCPRIM_400000_NS6detail17trampoline_kernelINS0_13select_configILj256ELj13ELNS0_17block_load_methodE3ELS4_3ELS4_3ELNS0_20block_scan_algorithmE0ELj4294967295EEENS1_25partition_config_selectorILNS1_17partition_subalgoE4EjNS0_10empty_typeEbEEZZNS1_14partition_implILS8_4ELb0ES6_15HIP_vector_typeIjLj2EENS0_17counting_iteratorIjlEEPS9_SG_NS0_5tupleIJPjSI_NS0_16reverse_iteratorISI_EEEEENSH_IJSG_SG_SG_EEES9_SI_JZNS1_25segmented_radix_sort_implINS0_14default_configELb1EPK6__halfPSP_PKlPlN2at6native12_GLOBAL__N_18offset_tEEE10hipError_tPvRmT1_PNSt15iterator_traitsIS13_E10value_typeET2_T3_PNS14_IS19_E10value_typeET4_jRbjT5_S1F_jjP12ihipStream_tbEUljE_ZNSN_ISO_Lb1ESR_SS_SU_SV_SZ_EES10_S11_S12_S13_S17_S18_S19_S1C_S1D_jS1E_jS1F_S1F_jjS1H_bEUljE0_EEES10_S11_S12_S19_S1D_S1F_T6_T7_T9_mT8_S1H_bDpT10_ENKUlT_T0_E_clISt17integral_constantIbLb0EES1U_IbLb1EEEEDaS1Q_S1R_EUlS1Q_E_NS1_11comp_targetILNS1_3genE3ELNS1_11target_archE908ELNS1_3gpuE7ELNS1_3repE0EEENS1_30default_config_static_selectorELNS0_4arch9wavefront6targetE0EEEvS13_
		.amdhsa_group_segment_fixed_size 0
		.amdhsa_private_segment_fixed_size 0
		.amdhsa_kernarg_size 184
		.amdhsa_user_sgpr_count 2
		.amdhsa_user_sgpr_dispatch_ptr 0
		.amdhsa_user_sgpr_queue_ptr 0
		.amdhsa_user_sgpr_kernarg_segment_ptr 1
		.amdhsa_user_sgpr_dispatch_id 0
		.amdhsa_user_sgpr_private_segment_size 0
		.amdhsa_wavefront_size32 1
		.amdhsa_uses_dynamic_stack 0
		.amdhsa_enable_private_segment 0
		.amdhsa_system_sgpr_workgroup_id_x 1
		.amdhsa_system_sgpr_workgroup_id_y 0
		.amdhsa_system_sgpr_workgroup_id_z 0
		.amdhsa_system_sgpr_workgroup_info 0
		.amdhsa_system_vgpr_workitem_id 0
		.amdhsa_next_free_vgpr 1
		.amdhsa_next_free_sgpr 1
		.amdhsa_reserve_vcc 0
		.amdhsa_float_round_mode_32 0
		.amdhsa_float_round_mode_16_64 0
		.amdhsa_float_denorm_mode_32 3
		.amdhsa_float_denorm_mode_16_64 3
		.amdhsa_fp16_overflow 0
		.amdhsa_workgroup_processor_mode 1
		.amdhsa_memory_ordered 1
		.amdhsa_forward_progress 1
		.amdhsa_inst_pref_size 0
		.amdhsa_round_robin_scheduling 0
		.amdhsa_exception_fp_ieee_invalid_op 0
		.amdhsa_exception_fp_denorm_src 0
		.amdhsa_exception_fp_ieee_div_zero 0
		.amdhsa_exception_fp_ieee_overflow 0
		.amdhsa_exception_fp_ieee_underflow 0
		.amdhsa_exception_fp_ieee_inexact 0
		.amdhsa_exception_int_div_zero 0
	.end_amdhsa_kernel
	.section	.text._ZN7rocprim17ROCPRIM_400000_NS6detail17trampoline_kernelINS0_13select_configILj256ELj13ELNS0_17block_load_methodE3ELS4_3ELS4_3ELNS0_20block_scan_algorithmE0ELj4294967295EEENS1_25partition_config_selectorILNS1_17partition_subalgoE4EjNS0_10empty_typeEbEEZZNS1_14partition_implILS8_4ELb0ES6_15HIP_vector_typeIjLj2EENS0_17counting_iteratorIjlEEPS9_SG_NS0_5tupleIJPjSI_NS0_16reverse_iteratorISI_EEEEENSH_IJSG_SG_SG_EEES9_SI_JZNS1_25segmented_radix_sort_implINS0_14default_configELb1EPK6__halfPSP_PKlPlN2at6native12_GLOBAL__N_18offset_tEEE10hipError_tPvRmT1_PNSt15iterator_traitsIS13_E10value_typeET2_T3_PNS14_IS19_E10value_typeET4_jRbjT5_S1F_jjP12ihipStream_tbEUljE_ZNSN_ISO_Lb1ESR_SS_SU_SV_SZ_EES10_S11_S12_S13_S17_S18_S19_S1C_S1D_jS1E_jS1F_S1F_jjS1H_bEUljE0_EEES10_S11_S12_S19_S1D_S1F_T6_T7_T9_mT8_S1H_bDpT10_ENKUlT_T0_E_clISt17integral_constantIbLb0EES1U_IbLb1EEEEDaS1Q_S1R_EUlS1Q_E_NS1_11comp_targetILNS1_3genE3ELNS1_11target_archE908ELNS1_3gpuE7ELNS1_3repE0EEENS1_30default_config_static_selectorELNS0_4arch9wavefront6targetE0EEEvS13_,"axG",@progbits,_ZN7rocprim17ROCPRIM_400000_NS6detail17trampoline_kernelINS0_13select_configILj256ELj13ELNS0_17block_load_methodE3ELS4_3ELS4_3ELNS0_20block_scan_algorithmE0ELj4294967295EEENS1_25partition_config_selectorILNS1_17partition_subalgoE4EjNS0_10empty_typeEbEEZZNS1_14partition_implILS8_4ELb0ES6_15HIP_vector_typeIjLj2EENS0_17counting_iteratorIjlEEPS9_SG_NS0_5tupleIJPjSI_NS0_16reverse_iteratorISI_EEEEENSH_IJSG_SG_SG_EEES9_SI_JZNS1_25segmented_radix_sort_implINS0_14default_configELb1EPK6__halfPSP_PKlPlN2at6native12_GLOBAL__N_18offset_tEEE10hipError_tPvRmT1_PNSt15iterator_traitsIS13_E10value_typeET2_T3_PNS14_IS19_E10value_typeET4_jRbjT5_S1F_jjP12ihipStream_tbEUljE_ZNSN_ISO_Lb1ESR_SS_SU_SV_SZ_EES10_S11_S12_S13_S17_S18_S19_S1C_S1D_jS1E_jS1F_S1F_jjS1H_bEUljE0_EEES10_S11_S12_S19_S1D_S1F_T6_T7_T9_mT8_S1H_bDpT10_ENKUlT_T0_E_clISt17integral_constantIbLb0EES1U_IbLb1EEEEDaS1Q_S1R_EUlS1Q_E_NS1_11comp_targetILNS1_3genE3ELNS1_11target_archE908ELNS1_3gpuE7ELNS1_3repE0EEENS1_30default_config_static_selectorELNS0_4arch9wavefront6targetE0EEEvS13_,comdat
.Lfunc_end1702:
	.size	_ZN7rocprim17ROCPRIM_400000_NS6detail17trampoline_kernelINS0_13select_configILj256ELj13ELNS0_17block_load_methodE3ELS4_3ELS4_3ELNS0_20block_scan_algorithmE0ELj4294967295EEENS1_25partition_config_selectorILNS1_17partition_subalgoE4EjNS0_10empty_typeEbEEZZNS1_14partition_implILS8_4ELb0ES6_15HIP_vector_typeIjLj2EENS0_17counting_iteratorIjlEEPS9_SG_NS0_5tupleIJPjSI_NS0_16reverse_iteratorISI_EEEEENSH_IJSG_SG_SG_EEES9_SI_JZNS1_25segmented_radix_sort_implINS0_14default_configELb1EPK6__halfPSP_PKlPlN2at6native12_GLOBAL__N_18offset_tEEE10hipError_tPvRmT1_PNSt15iterator_traitsIS13_E10value_typeET2_T3_PNS14_IS19_E10value_typeET4_jRbjT5_S1F_jjP12ihipStream_tbEUljE_ZNSN_ISO_Lb1ESR_SS_SU_SV_SZ_EES10_S11_S12_S13_S17_S18_S19_S1C_S1D_jS1E_jS1F_S1F_jjS1H_bEUljE0_EEES10_S11_S12_S19_S1D_S1F_T6_T7_T9_mT8_S1H_bDpT10_ENKUlT_T0_E_clISt17integral_constantIbLb0EES1U_IbLb1EEEEDaS1Q_S1R_EUlS1Q_E_NS1_11comp_targetILNS1_3genE3ELNS1_11target_archE908ELNS1_3gpuE7ELNS1_3repE0EEENS1_30default_config_static_selectorELNS0_4arch9wavefront6targetE0EEEvS13_, .Lfunc_end1702-_ZN7rocprim17ROCPRIM_400000_NS6detail17trampoline_kernelINS0_13select_configILj256ELj13ELNS0_17block_load_methodE3ELS4_3ELS4_3ELNS0_20block_scan_algorithmE0ELj4294967295EEENS1_25partition_config_selectorILNS1_17partition_subalgoE4EjNS0_10empty_typeEbEEZZNS1_14partition_implILS8_4ELb0ES6_15HIP_vector_typeIjLj2EENS0_17counting_iteratorIjlEEPS9_SG_NS0_5tupleIJPjSI_NS0_16reverse_iteratorISI_EEEEENSH_IJSG_SG_SG_EEES9_SI_JZNS1_25segmented_radix_sort_implINS0_14default_configELb1EPK6__halfPSP_PKlPlN2at6native12_GLOBAL__N_18offset_tEEE10hipError_tPvRmT1_PNSt15iterator_traitsIS13_E10value_typeET2_T3_PNS14_IS19_E10value_typeET4_jRbjT5_S1F_jjP12ihipStream_tbEUljE_ZNSN_ISO_Lb1ESR_SS_SU_SV_SZ_EES10_S11_S12_S13_S17_S18_S19_S1C_S1D_jS1E_jS1F_S1F_jjS1H_bEUljE0_EEES10_S11_S12_S19_S1D_S1F_T6_T7_T9_mT8_S1H_bDpT10_ENKUlT_T0_E_clISt17integral_constantIbLb0EES1U_IbLb1EEEEDaS1Q_S1R_EUlS1Q_E_NS1_11comp_targetILNS1_3genE3ELNS1_11target_archE908ELNS1_3gpuE7ELNS1_3repE0EEENS1_30default_config_static_selectorELNS0_4arch9wavefront6targetE0EEEvS13_
                                        ; -- End function
	.set _ZN7rocprim17ROCPRIM_400000_NS6detail17trampoline_kernelINS0_13select_configILj256ELj13ELNS0_17block_load_methodE3ELS4_3ELS4_3ELNS0_20block_scan_algorithmE0ELj4294967295EEENS1_25partition_config_selectorILNS1_17partition_subalgoE4EjNS0_10empty_typeEbEEZZNS1_14partition_implILS8_4ELb0ES6_15HIP_vector_typeIjLj2EENS0_17counting_iteratorIjlEEPS9_SG_NS0_5tupleIJPjSI_NS0_16reverse_iteratorISI_EEEEENSH_IJSG_SG_SG_EEES9_SI_JZNS1_25segmented_radix_sort_implINS0_14default_configELb1EPK6__halfPSP_PKlPlN2at6native12_GLOBAL__N_18offset_tEEE10hipError_tPvRmT1_PNSt15iterator_traitsIS13_E10value_typeET2_T3_PNS14_IS19_E10value_typeET4_jRbjT5_S1F_jjP12ihipStream_tbEUljE_ZNSN_ISO_Lb1ESR_SS_SU_SV_SZ_EES10_S11_S12_S13_S17_S18_S19_S1C_S1D_jS1E_jS1F_S1F_jjS1H_bEUljE0_EEES10_S11_S12_S19_S1D_S1F_T6_T7_T9_mT8_S1H_bDpT10_ENKUlT_T0_E_clISt17integral_constantIbLb0EES1U_IbLb1EEEEDaS1Q_S1R_EUlS1Q_E_NS1_11comp_targetILNS1_3genE3ELNS1_11target_archE908ELNS1_3gpuE7ELNS1_3repE0EEENS1_30default_config_static_selectorELNS0_4arch9wavefront6targetE0EEEvS13_.num_vgpr, 0
	.set _ZN7rocprim17ROCPRIM_400000_NS6detail17trampoline_kernelINS0_13select_configILj256ELj13ELNS0_17block_load_methodE3ELS4_3ELS4_3ELNS0_20block_scan_algorithmE0ELj4294967295EEENS1_25partition_config_selectorILNS1_17partition_subalgoE4EjNS0_10empty_typeEbEEZZNS1_14partition_implILS8_4ELb0ES6_15HIP_vector_typeIjLj2EENS0_17counting_iteratorIjlEEPS9_SG_NS0_5tupleIJPjSI_NS0_16reverse_iteratorISI_EEEEENSH_IJSG_SG_SG_EEES9_SI_JZNS1_25segmented_radix_sort_implINS0_14default_configELb1EPK6__halfPSP_PKlPlN2at6native12_GLOBAL__N_18offset_tEEE10hipError_tPvRmT1_PNSt15iterator_traitsIS13_E10value_typeET2_T3_PNS14_IS19_E10value_typeET4_jRbjT5_S1F_jjP12ihipStream_tbEUljE_ZNSN_ISO_Lb1ESR_SS_SU_SV_SZ_EES10_S11_S12_S13_S17_S18_S19_S1C_S1D_jS1E_jS1F_S1F_jjS1H_bEUljE0_EEES10_S11_S12_S19_S1D_S1F_T6_T7_T9_mT8_S1H_bDpT10_ENKUlT_T0_E_clISt17integral_constantIbLb0EES1U_IbLb1EEEEDaS1Q_S1R_EUlS1Q_E_NS1_11comp_targetILNS1_3genE3ELNS1_11target_archE908ELNS1_3gpuE7ELNS1_3repE0EEENS1_30default_config_static_selectorELNS0_4arch9wavefront6targetE0EEEvS13_.num_agpr, 0
	.set _ZN7rocprim17ROCPRIM_400000_NS6detail17trampoline_kernelINS0_13select_configILj256ELj13ELNS0_17block_load_methodE3ELS4_3ELS4_3ELNS0_20block_scan_algorithmE0ELj4294967295EEENS1_25partition_config_selectorILNS1_17partition_subalgoE4EjNS0_10empty_typeEbEEZZNS1_14partition_implILS8_4ELb0ES6_15HIP_vector_typeIjLj2EENS0_17counting_iteratorIjlEEPS9_SG_NS0_5tupleIJPjSI_NS0_16reverse_iteratorISI_EEEEENSH_IJSG_SG_SG_EEES9_SI_JZNS1_25segmented_radix_sort_implINS0_14default_configELb1EPK6__halfPSP_PKlPlN2at6native12_GLOBAL__N_18offset_tEEE10hipError_tPvRmT1_PNSt15iterator_traitsIS13_E10value_typeET2_T3_PNS14_IS19_E10value_typeET4_jRbjT5_S1F_jjP12ihipStream_tbEUljE_ZNSN_ISO_Lb1ESR_SS_SU_SV_SZ_EES10_S11_S12_S13_S17_S18_S19_S1C_S1D_jS1E_jS1F_S1F_jjS1H_bEUljE0_EEES10_S11_S12_S19_S1D_S1F_T6_T7_T9_mT8_S1H_bDpT10_ENKUlT_T0_E_clISt17integral_constantIbLb0EES1U_IbLb1EEEEDaS1Q_S1R_EUlS1Q_E_NS1_11comp_targetILNS1_3genE3ELNS1_11target_archE908ELNS1_3gpuE7ELNS1_3repE0EEENS1_30default_config_static_selectorELNS0_4arch9wavefront6targetE0EEEvS13_.numbered_sgpr, 0
	.set _ZN7rocprim17ROCPRIM_400000_NS6detail17trampoline_kernelINS0_13select_configILj256ELj13ELNS0_17block_load_methodE3ELS4_3ELS4_3ELNS0_20block_scan_algorithmE0ELj4294967295EEENS1_25partition_config_selectorILNS1_17partition_subalgoE4EjNS0_10empty_typeEbEEZZNS1_14partition_implILS8_4ELb0ES6_15HIP_vector_typeIjLj2EENS0_17counting_iteratorIjlEEPS9_SG_NS0_5tupleIJPjSI_NS0_16reverse_iteratorISI_EEEEENSH_IJSG_SG_SG_EEES9_SI_JZNS1_25segmented_radix_sort_implINS0_14default_configELb1EPK6__halfPSP_PKlPlN2at6native12_GLOBAL__N_18offset_tEEE10hipError_tPvRmT1_PNSt15iterator_traitsIS13_E10value_typeET2_T3_PNS14_IS19_E10value_typeET4_jRbjT5_S1F_jjP12ihipStream_tbEUljE_ZNSN_ISO_Lb1ESR_SS_SU_SV_SZ_EES10_S11_S12_S13_S17_S18_S19_S1C_S1D_jS1E_jS1F_S1F_jjS1H_bEUljE0_EEES10_S11_S12_S19_S1D_S1F_T6_T7_T9_mT8_S1H_bDpT10_ENKUlT_T0_E_clISt17integral_constantIbLb0EES1U_IbLb1EEEEDaS1Q_S1R_EUlS1Q_E_NS1_11comp_targetILNS1_3genE3ELNS1_11target_archE908ELNS1_3gpuE7ELNS1_3repE0EEENS1_30default_config_static_selectorELNS0_4arch9wavefront6targetE0EEEvS13_.num_named_barrier, 0
	.set _ZN7rocprim17ROCPRIM_400000_NS6detail17trampoline_kernelINS0_13select_configILj256ELj13ELNS0_17block_load_methodE3ELS4_3ELS4_3ELNS0_20block_scan_algorithmE0ELj4294967295EEENS1_25partition_config_selectorILNS1_17partition_subalgoE4EjNS0_10empty_typeEbEEZZNS1_14partition_implILS8_4ELb0ES6_15HIP_vector_typeIjLj2EENS0_17counting_iteratorIjlEEPS9_SG_NS0_5tupleIJPjSI_NS0_16reverse_iteratorISI_EEEEENSH_IJSG_SG_SG_EEES9_SI_JZNS1_25segmented_radix_sort_implINS0_14default_configELb1EPK6__halfPSP_PKlPlN2at6native12_GLOBAL__N_18offset_tEEE10hipError_tPvRmT1_PNSt15iterator_traitsIS13_E10value_typeET2_T3_PNS14_IS19_E10value_typeET4_jRbjT5_S1F_jjP12ihipStream_tbEUljE_ZNSN_ISO_Lb1ESR_SS_SU_SV_SZ_EES10_S11_S12_S13_S17_S18_S19_S1C_S1D_jS1E_jS1F_S1F_jjS1H_bEUljE0_EEES10_S11_S12_S19_S1D_S1F_T6_T7_T9_mT8_S1H_bDpT10_ENKUlT_T0_E_clISt17integral_constantIbLb0EES1U_IbLb1EEEEDaS1Q_S1R_EUlS1Q_E_NS1_11comp_targetILNS1_3genE3ELNS1_11target_archE908ELNS1_3gpuE7ELNS1_3repE0EEENS1_30default_config_static_selectorELNS0_4arch9wavefront6targetE0EEEvS13_.private_seg_size, 0
	.set _ZN7rocprim17ROCPRIM_400000_NS6detail17trampoline_kernelINS0_13select_configILj256ELj13ELNS0_17block_load_methodE3ELS4_3ELS4_3ELNS0_20block_scan_algorithmE0ELj4294967295EEENS1_25partition_config_selectorILNS1_17partition_subalgoE4EjNS0_10empty_typeEbEEZZNS1_14partition_implILS8_4ELb0ES6_15HIP_vector_typeIjLj2EENS0_17counting_iteratorIjlEEPS9_SG_NS0_5tupleIJPjSI_NS0_16reverse_iteratorISI_EEEEENSH_IJSG_SG_SG_EEES9_SI_JZNS1_25segmented_radix_sort_implINS0_14default_configELb1EPK6__halfPSP_PKlPlN2at6native12_GLOBAL__N_18offset_tEEE10hipError_tPvRmT1_PNSt15iterator_traitsIS13_E10value_typeET2_T3_PNS14_IS19_E10value_typeET4_jRbjT5_S1F_jjP12ihipStream_tbEUljE_ZNSN_ISO_Lb1ESR_SS_SU_SV_SZ_EES10_S11_S12_S13_S17_S18_S19_S1C_S1D_jS1E_jS1F_S1F_jjS1H_bEUljE0_EEES10_S11_S12_S19_S1D_S1F_T6_T7_T9_mT8_S1H_bDpT10_ENKUlT_T0_E_clISt17integral_constantIbLb0EES1U_IbLb1EEEEDaS1Q_S1R_EUlS1Q_E_NS1_11comp_targetILNS1_3genE3ELNS1_11target_archE908ELNS1_3gpuE7ELNS1_3repE0EEENS1_30default_config_static_selectorELNS0_4arch9wavefront6targetE0EEEvS13_.uses_vcc, 0
	.set _ZN7rocprim17ROCPRIM_400000_NS6detail17trampoline_kernelINS0_13select_configILj256ELj13ELNS0_17block_load_methodE3ELS4_3ELS4_3ELNS0_20block_scan_algorithmE0ELj4294967295EEENS1_25partition_config_selectorILNS1_17partition_subalgoE4EjNS0_10empty_typeEbEEZZNS1_14partition_implILS8_4ELb0ES6_15HIP_vector_typeIjLj2EENS0_17counting_iteratorIjlEEPS9_SG_NS0_5tupleIJPjSI_NS0_16reverse_iteratorISI_EEEEENSH_IJSG_SG_SG_EEES9_SI_JZNS1_25segmented_radix_sort_implINS0_14default_configELb1EPK6__halfPSP_PKlPlN2at6native12_GLOBAL__N_18offset_tEEE10hipError_tPvRmT1_PNSt15iterator_traitsIS13_E10value_typeET2_T3_PNS14_IS19_E10value_typeET4_jRbjT5_S1F_jjP12ihipStream_tbEUljE_ZNSN_ISO_Lb1ESR_SS_SU_SV_SZ_EES10_S11_S12_S13_S17_S18_S19_S1C_S1D_jS1E_jS1F_S1F_jjS1H_bEUljE0_EEES10_S11_S12_S19_S1D_S1F_T6_T7_T9_mT8_S1H_bDpT10_ENKUlT_T0_E_clISt17integral_constantIbLb0EES1U_IbLb1EEEEDaS1Q_S1R_EUlS1Q_E_NS1_11comp_targetILNS1_3genE3ELNS1_11target_archE908ELNS1_3gpuE7ELNS1_3repE0EEENS1_30default_config_static_selectorELNS0_4arch9wavefront6targetE0EEEvS13_.uses_flat_scratch, 0
	.set _ZN7rocprim17ROCPRIM_400000_NS6detail17trampoline_kernelINS0_13select_configILj256ELj13ELNS0_17block_load_methodE3ELS4_3ELS4_3ELNS0_20block_scan_algorithmE0ELj4294967295EEENS1_25partition_config_selectorILNS1_17partition_subalgoE4EjNS0_10empty_typeEbEEZZNS1_14partition_implILS8_4ELb0ES6_15HIP_vector_typeIjLj2EENS0_17counting_iteratorIjlEEPS9_SG_NS0_5tupleIJPjSI_NS0_16reverse_iteratorISI_EEEEENSH_IJSG_SG_SG_EEES9_SI_JZNS1_25segmented_radix_sort_implINS0_14default_configELb1EPK6__halfPSP_PKlPlN2at6native12_GLOBAL__N_18offset_tEEE10hipError_tPvRmT1_PNSt15iterator_traitsIS13_E10value_typeET2_T3_PNS14_IS19_E10value_typeET4_jRbjT5_S1F_jjP12ihipStream_tbEUljE_ZNSN_ISO_Lb1ESR_SS_SU_SV_SZ_EES10_S11_S12_S13_S17_S18_S19_S1C_S1D_jS1E_jS1F_S1F_jjS1H_bEUljE0_EEES10_S11_S12_S19_S1D_S1F_T6_T7_T9_mT8_S1H_bDpT10_ENKUlT_T0_E_clISt17integral_constantIbLb0EES1U_IbLb1EEEEDaS1Q_S1R_EUlS1Q_E_NS1_11comp_targetILNS1_3genE3ELNS1_11target_archE908ELNS1_3gpuE7ELNS1_3repE0EEENS1_30default_config_static_selectorELNS0_4arch9wavefront6targetE0EEEvS13_.has_dyn_sized_stack, 0
	.set _ZN7rocprim17ROCPRIM_400000_NS6detail17trampoline_kernelINS0_13select_configILj256ELj13ELNS0_17block_load_methodE3ELS4_3ELS4_3ELNS0_20block_scan_algorithmE0ELj4294967295EEENS1_25partition_config_selectorILNS1_17partition_subalgoE4EjNS0_10empty_typeEbEEZZNS1_14partition_implILS8_4ELb0ES6_15HIP_vector_typeIjLj2EENS0_17counting_iteratorIjlEEPS9_SG_NS0_5tupleIJPjSI_NS0_16reverse_iteratorISI_EEEEENSH_IJSG_SG_SG_EEES9_SI_JZNS1_25segmented_radix_sort_implINS0_14default_configELb1EPK6__halfPSP_PKlPlN2at6native12_GLOBAL__N_18offset_tEEE10hipError_tPvRmT1_PNSt15iterator_traitsIS13_E10value_typeET2_T3_PNS14_IS19_E10value_typeET4_jRbjT5_S1F_jjP12ihipStream_tbEUljE_ZNSN_ISO_Lb1ESR_SS_SU_SV_SZ_EES10_S11_S12_S13_S17_S18_S19_S1C_S1D_jS1E_jS1F_S1F_jjS1H_bEUljE0_EEES10_S11_S12_S19_S1D_S1F_T6_T7_T9_mT8_S1H_bDpT10_ENKUlT_T0_E_clISt17integral_constantIbLb0EES1U_IbLb1EEEEDaS1Q_S1R_EUlS1Q_E_NS1_11comp_targetILNS1_3genE3ELNS1_11target_archE908ELNS1_3gpuE7ELNS1_3repE0EEENS1_30default_config_static_selectorELNS0_4arch9wavefront6targetE0EEEvS13_.has_recursion, 0
	.set _ZN7rocprim17ROCPRIM_400000_NS6detail17trampoline_kernelINS0_13select_configILj256ELj13ELNS0_17block_load_methodE3ELS4_3ELS4_3ELNS0_20block_scan_algorithmE0ELj4294967295EEENS1_25partition_config_selectorILNS1_17partition_subalgoE4EjNS0_10empty_typeEbEEZZNS1_14partition_implILS8_4ELb0ES6_15HIP_vector_typeIjLj2EENS0_17counting_iteratorIjlEEPS9_SG_NS0_5tupleIJPjSI_NS0_16reverse_iteratorISI_EEEEENSH_IJSG_SG_SG_EEES9_SI_JZNS1_25segmented_radix_sort_implINS0_14default_configELb1EPK6__halfPSP_PKlPlN2at6native12_GLOBAL__N_18offset_tEEE10hipError_tPvRmT1_PNSt15iterator_traitsIS13_E10value_typeET2_T3_PNS14_IS19_E10value_typeET4_jRbjT5_S1F_jjP12ihipStream_tbEUljE_ZNSN_ISO_Lb1ESR_SS_SU_SV_SZ_EES10_S11_S12_S13_S17_S18_S19_S1C_S1D_jS1E_jS1F_S1F_jjS1H_bEUljE0_EEES10_S11_S12_S19_S1D_S1F_T6_T7_T9_mT8_S1H_bDpT10_ENKUlT_T0_E_clISt17integral_constantIbLb0EES1U_IbLb1EEEEDaS1Q_S1R_EUlS1Q_E_NS1_11comp_targetILNS1_3genE3ELNS1_11target_archE908ELNS1_3gpuE7ELNS1_3repE0EEENS1_30default_config_static_selectorELNS0_4arch9wavefront6targetE0EEEvS13_.has_indirect_call, 0
	.section	.AMDGPU.csdata,"",@progbits
; Kernel info:
; codeLenInByte = 0
; TotalNumSgprs: 0
; NumVgprs: 0
; ScratchSize: 0
; MemoryBound: 0
; FloatMode: 240
; IeeeMode: 1
; LDSByteSize: 0 bytes/workgroup (compile time only)
; SGPRBlocks: 0
; VGPRBlocks: 0
; NumSGPRsForWavesPerEU: 1
; NumVGPRsForWavesPerEU: 1
; Occupancy: 16
; WaveLimiterHint : 0
; COMPUTE_PGM_RSRC2:SCRATCH_EN: 0
; COMPUTE_PGM_RSRC2:USER_SGPR: 2
; COMPUTE_PGM_RSRC2:TRAP_HANDLER: 0
; COMPUTE_PGM_RSRC2:TGID_X_EN: 1
; COMPUTE_PGM_RSRC2:TGID_Y_EN: 0
; COMPUTE_PGM_RSRC2:TGID_Z_EN: 0
; COMPUTE_PGM_RSRC2:TIDIG_COMP_CNT: 0
	.section	.text._ZN7rocprim17ROCPRIM_400000_NS6detail17trampoline_kernelINS0_13select_configILj256ELj13ELNS0_17block_load_methodE3ELS4_3ELS4_3ELNS0_20block_scan_algorithmE0ELj4294967295EEENS1_25partition_config_selectorILNS1_17partition_subalgoE4EjNS0_10empty_typeEbEEZZNS1_14partition_implILS8_4ELb0ES6_15HIP_vector_typeIjLj2EENS0_17counting_iteratorIjlEEPS9_SG_NS0_5tupleIJPjSI_NS0_16reverse_iteratorISI_EEEEENSH_IJSG_SG_SG_EEES9_SI_JZNS1_25segmented_radix_sort_implINS0_14default_configELb1EPK6__halfPSP_PKlPlN2at6native12_GLOBAL__N_18offset_tEEE10hipError_tPvRmT1_PNSt15iterator_traitsIS13_E10value_typeET2_T3_PNS14_IS19_E10value_typeET4_jRbjT5_S1F_jjP12ihipStream_tbEUljE_ZNSN_ISO_Lb1ESR_SS_SU_SV_SZ_EES10_S11_S12_S13_S17_S18_S19_S1C_S1D_jS1E_jS1F_S1F_jjS1H_bEUljE0_EEES10_S11_S12_S19_S1D_S1F_T6_T7_T9_mT8_S1H_bDpT10_ENKUlT_T0_E_clISt17integral_constantIbLb0EES1U_IbLb1EEEEDaS1Q_S1R_EUlS1Q_E_NS1_11comp_targetILNS1_3genE2ELNS1_11target_archE906ELNS1_3gpuE6ELNS1_3repE0EEENS1_30default_config_static_selectorELNS0_4arch9wavefront6targetE0EEEvS13_,"axG",@progbits,_ZN7rocprim17ROCPRIM_400000_NS6detail17trampoline_kernelINS0_13select_configILj256ELj13ELNS0_17block_load_methodE3ELS4_3ELS4_3ELNS0_20block_scan_algorithmE0ELj4294967295EEENS1_25partition_config_selectorILNS1_17partition_subalgoE4EjNS0_10empty_typeEbEEZZNS1_14partition_implILS8_4ELb0ES6_15HIP_vector_typeIjLj2EENS0_17counting_iteratorIjlEEPS9_SG_NS0_5tupleIJPjSI_NS0_16reverse_iteratorISI_EEEEENSH_IJSG_SG_SG_EEES9_SI_JZNS1_25segmented_radix_sort_implINS0_14default_configELb1EPK6__halfPSP_PKlPlN2at6native12_GLOBAL__N_18offset_tEEE10hipError_tPvRmT1_PNSt15iterator_traitsIS13_E10value_typeET2_T3_PNS14_IS19_E10value_typeET4_jRbjT5_S1F_jjP12ihipStream_tbEUljE_ZNSN_ISO_Lb1ESR_SS_SU_SV_SZ_EES10_S11_S12_S13_S17_S18_S19_S1C_S1D_jS1E_jS1F_S1F_jjS1H_bEUljE0_EEES10_S11_S12_S19_S1D_S1F_T6_T7_T9_mT8_S1H_bDpT10_ENKUlT_T0_E_clISt17integral_constantIbLb0EES1U_IbLb1EEEEDaS1Q_S1R_EUlS1Q_E_NS1_11comp_targetILNS1_3genE2ELNS1_11target_archE906ELNS1_3gpuE6ELNS1_3repE0EEENS1_30default_config_static_selectorELNS0_4arch9wavefront6targetE0EEEvS13_,comdat
	.globl	_ZN7rocprim17ROCPRIM_400000_NS6detail17trampoline_kernelINS0_13select_configILj256ELj13ELNS0_17block_load_methodE3ELS4_3ELS4_3ELNS0_20block_scan_algorithmE0ELj4294967295EEENS1_25partition_config_selectorILNS1_17partition_subalgoE4EjNS0_10empty_typeEbEEZZNS1_14partition_implILS8_4ELb0ES6_15HIP_vector_typeIjLj2EENS0_17counting_iteratorIjlEEPS9_SG_NS0_5tupleIJPjSI_NS0_16reverse_iteratorISI_EEEEENSH_IJSG_SG_SG_EEES9_SI_JZNS1_25segmented_radix_sort_implINS0_14default_configELb1EPK6__halfPSP_PKlPlN2at6native12_GLOBAL__N_18offset_tEEE10hipError_tPvRmT1_PNSt15iterator_traitsIS13_E10value_typeET2_T3_PNS14_IS19_E10value_typeET4_jRbjT5_S1F_jjP12ihipStream_tbEUljE_ZNSN_ISO_Lb1ESR_SS_SU_SV_SZ_EES10_S11_S12_S13_S17_S18_S19_S1C_S1D_jS1E_jS1F_S1F_jjS1H_bEUljE0_EEES10_S11_S12_S19_S1D_S1F_T6_T7_T9_mT8_S1H_bDpT10_ENKUlT_T0_E_clISt17integral_constantIbLb0EES1U_IbLb1EEEEDaS1Q_S1R_EUlS1Q_E_NS1_11comp_targetILNS1_3genE2ELNS1_11target_archE906ELNS1_3gpuE6ELNS1_3repE0EEENS1_30default_config_static_selectorELNS0_4arch9wavefront6targetE0EEEvS13_ ; -- Begin function _ZN7rocprim17ROCPRIM_400000_NS6detail17trampoline_kernelINS0_13select_configILj256ELj13ELNS0_17block_load_methodE3ELS4_3ELS4_3ELNS0_20block_scan_algorithmE0ELj4294967295EEENS1_25partition_config_selectorILNS1_17partition_subalgoE4EjNS0_10empty_typeEbEEZZNS1_14partition_implILS8_4ELb0ES6_15HIP_vector_typeIjLj2EENS0_17counting_iteratorIjlEEPS9_SG_NS0_5tupleIJPjSI_NS0_16reverse_iteratorISI_EEEEENSH_IJSG_SG_SG_EEES9_SI_JZNS1_25segmented_radix_sort_implINS0_14default_configELb1EPK6__halfPSP_PKlPlN2at6native12_GLOBAL__N_18offset_tEEE10hipError_tPvRmT1_PNSt15iterator_traitsIS13_E10value_typeET2_T3_PNS14_IS19_E10value_typeET4_jRbjT5_S1F_jjP12ihipStream_tbEUljE_ZNSN_ISO_Lb1ESR_SS_SU_SV_SZ_EES10_S11_S12_S13_S17_S18_S19_S1C_S1D_jS1E_jS1F_S1F_jjS1H_bEUljE0_EEES10_S11_S12_S19_S1D_S1F_T6_T7_T9_mT8_S1H_bDpT10_ENKUlT_T0_E_clISt17integral_constantIbLb0EES1U_IbLb1EEEEDaS1Q_S1R_EUlS1Q_E_NS1_11comp_targetILNS1_3genE2ELNS1_11target_archE906ELNS1_3gpuE6ELNS1_3repE0EEENS1_30default_config_static_selectorELNS0_4arch9wavefront6targetE0EEEvS13_
	.p2align	8
	.type	_ZN7rocprim17ROCPRIM_400000_NS6detail17trampoline_kernelINS0_13select_configILj256ELj13ELNS0_17block_load_methodE3ELS4_3ELS4_3ELNS0_20block_scan_algorithmE0ELj4294967295EEENS1_25partition_config_selectorILNS1_17partition_subalgoE4EjNS0_10empty_typeEbEEZZNS1_14partition_implILS8_4ELb0ES6_15HIP_vector_typeIjLj2EENS0_17counting_iteratorIjlEEPS9_SG_NS0_5tupleIJPjSI_NS0_16reverse_iteratorISI_EEEEENSH_IJSG_SG_SG_EEES9_SI_JZNS1_25segmented_radix_sort_implINS0_14default_configELb1EPK6__halfPSP_PKlPlN2at6native12_GLOBAL__N_18offset_tEEE10hipError_tPvRmT1_PNSt15iterator_traitsIS13_E10value_typeET2_T3_PNS14_IS19_E10value_typeET4_jRbjT5_S1F_jjP12ihipStream_tbEUljE_ZNSN_ISO_Lb1ESR_SS_SU_SV_SZ_EES10_S11_S12_S13_S17_S18_S19_S1C_S1D_jS1E_jS1F_S1F_jjS1H_bEUljE0_EEES10_S11_S12_S19_S1D_S1F_T6_T7_T9_mT8_S1H_bDpT10_ENKUlT_T0_E_clISt17integral_constantIbLb0EES1U_IbLb1EEEEDaS1Q_S1R_EUlS1Q_E_NS1_11comp_targetILNS1_3genE2ELNS1_11target_archE906ELNS1_3gpuE6ELNS1_3repE0EEENS1_30default_config_static_selectorELNS0_4arch9wavefront6targetE0EEEvS13_,@function
_ZN7rocprim17ROCPRIM_400000_NS6detail17trampoline_kernelINS0_13select_configILj256ELj13ELNS0_17block_load_methodE3ELS4_3ELS4_3ELNS0_20block_scan_algorithmE0ELj4294967295EEENS1_25partition_config_selectorILNS1_17partition_subalgoE4EjNS0_10empty_typeEbEEZZNS1_14partition_implILS8_4ELb0ES6_15HIP_vector_typeIjLj2EENS0_17counting_iteratorIjlEEPS9_SG_NS0_5tupleIJPjSI_NS0_16reverse_iteratorISI_EEEEENSH_IJSG_SG_SG_EEES9_SI_JZNS1_25segmented_radix_sort_implINS0_14default_configELb1EPK6__halfPSP_PKlPlN2at6native12_GLOBAL__N_18offset_tEEE10hipError_tPvRmT1_PNSt15iterator_traitsIS13_E10value_typeET2_T3_PNS14_IS19_E10value_typeET4_jRbjT5_S1F_jjP12ihipStream_tbEUljE_ZNSN_ISO_Lb1ESR_SS_SU_SV_SZ_EES10_S11_S12_S13_S17_S18_S19_S1C_S1D_jS1E_jS1F_S1F_jjS1H_bEUljE0_EEES10_S11_S12_S19_S1D_S1F_T6_T7_T9_mT8_S1H_bDpT10_ENKUlT_T0_E_clISt17integral_constantIbLb0EES1U_IbLb1EEEEDaS1Q_S1R_EUlS1Q_E_NS1_11comp_targetILNS1_3genE2ELNS1_11target_archE906ELNS1_3gpuE6ELNS1_3repE0EEENS1_30default_config_static_selectorELNS0_4arch9wavefront6targetE0EEEvS13_: ; @_ZN7rocprim17ROCPRIM_400000_NS6detail17trampoline_kernelINS0_13select_configILj256ELj13ELNS0_17block_load_methodE3ELS4_3ELS4_3ELNS0_20block_scan_algorithmE0ELj4294967295EEENS1_25partition_config_selectorILNS1_17partition_subalgoE4EjNS0_10empty_typeEbEEZZNS1_14partition_implILS8_4ELb0ES6_15HIP_vector_typeIjLj2EENS0_17counting_iteratorIjlEEPS9_SG_NS0_5tupleIJPjSI_NS0_16reverse_iteratorISI_EEEEENSH_IJSG_SG_SG_EEES9_SI_JZNS1_25segmented_radix_sort_implINS0_14default_configELb1EPK6__halfPSP_PKlPlN2at6native12_GLOBAL__N_18offset_tEEE10hipError_tPvRmT1_PNSt15iterator_traitsIS13_E10value_typeET2_T3_PNS14_IS19_E10value_typeET4_jRbjT5_S1F_jjP12ihipStream_tbEUljE_ZNSN_ISO_Lb1ESR_SS_SU_SV_SZ_EES10_S11_S12_S13_S17_S18_S19_S1C_S1D_jS1E_jS1F_S1F_jjS1H_bEUljE0_EEES10_S11_S12_S19_S1D_S1F_T6_T7_T9_mT8_S1H_bDpT10_ENKUlT_T0_E_clISt17integral_constantIbLb0EES1U_IbLb1EEEEDaS1Q_S1R_EUlS1Q_E_NS1_11comp_targetILNS1_3genE2ELNS1_11target_archE906ELNS1_3gpuE6ELNS1_3repE0EEENS1_30default_config_static_selectorELNS0_4arch9wavefront6targetE0EEEvS13_
; %bb.0:
	.section	.rodata,"a",@progbits
	.p2align	6, 0x0
	.amdhsa_kernel _ZN7rocprim17ROCPRIM_400000_NS6detail17trampoline_kernelINS0_13select_configILj256ELj13ELNS0_17block_load_methodE3ELS4_3ELS4_3ELNS0_20block_scan_algorithmE0ELj4294967295EEENS1_25partition_config_selectorILNS1_17partition_subalgoE4EjNS0_10empty_typeEbEEZZNS1_14partition_implILS8_4ELb0ES6_15HIP_vector_typeIjLj2EENS0_17counting_iteratorIjlEEPS9_SG_NS0_5tupleIJPjSI_NS0_16reverse_iteratorISI_EEEEENSH_IJSG_SG_SG_EEES9_SI_JZNS1_25segmented_radix_sort_implINS0_14default_configELb1EPK6__halfPSP_PKlPlN2at6native12_GLOBAL__N_18offset_tEEE10hipError_tPvRmT1_PNSt15iterator_traitsIS13_E10value_typeET2_T3_PNS14_IS19_E10value_typeET4_jRbjT5_S1F_jjP12ihipStream_tbEUljE_ZNSN_ISO_Lb1ESR_SS_SU_SV_SZ_EES10_S11_S12_S13_S17_S18_S19_S1C_S1D_jS1E_jS1F_S1F_jjS1H_bEUljE0_EEES10_S11_S12_S19_S1D_S1F_T6_T7_T9_mT8_S1H_bDpT10_ENKUlT_T0_E_clISt17integral_constantIbLb0EES1U_IbLb1EEEEDaS1Q_S1R_EUlS1Q_E_NS1_11comp_targetILNS1_3genE2ELNS1_11target_archE906ELNS1_3gpuE6ELNS1_3repE0EEENS1_30default_config_static_selectorELNS0_4arch9wavefront6targetE0EEEvS13_
		.amdhsa_group_segment_fixed_size 0
		.amdhsa_private_segment_fixed_size 0
		.amdhsa_kernarg_size 184
		.amdhsa_user_sgpr_count 2
		.amdhsa_user_sgpr_dispatch_ptr 0
		.amdhsa_user_sgpr_queue_ptr 0
		.amdhsa_user_sgpr_kernarg_segment_ptr 1
		.amdhsa_user_sgpr_dispatch_id 0
		.amdhsa_user_sgpr_private_segment_size 0
		.amdhsa_wavefront_size32 1
		.amdhsa_uses_dynamic_stack 0
		.amdhsa_enable_private_segment 0
		.amdhsa_system_sgpr_workgroup_id_x 1
		.amdhsa_system_sgpr_workgroup_id_y 0
		.amdhsa_system_sgpr_workgroup_id_z 0
		.amdhsa_system_sgpr_workgroup_info 0
		.amdhsa_system_vgpr_workitem_id 0
		.amdhsa_next_free_vgpr 1
		.amdhsa_next_free_sgpr 1
		.amdhsa_reserve_vcc 0
		.amdhsa_float_round_mode_32 0
		.amdhsa_float_round_mode_16_64 0
		.amdhsa_float_denorm_mode_32 3
		.amdhsa_float_denorm_mode_16_64 3
		.amdhsa_fp16_overflow 0
		.amdhsa_workgroup_processor_mode 1
		.amdhsa_memory_ordered 1
		.amdhsa_forward_progress 1
		.amdhsa_inst_pref_size 0
		.amdhsa_round_robin_scheduling 0
		.amdhsa_exception_fp_ieee_invalid_op 0
		.amdhsa_exception_fp_denorm_src 0
		.amdhsa_exception_fp_ieee_div_zero 0
		.amdhsa_exception_fp_ieee_overflow 0
		.amdhsa_exception_fp_ieee_underflow 0
		.amdhsa_exception_fp_ieee_inexact 0
		.amdhsa_exception_int_div_zero 0
	.end_amdhsa_kernel
	.section	.text._ZN7rocprim17ROCPRIM_400000_NS6detail17trampoline_kernelINS0_13select_configILj256ELj13ELNS0_17block_load_methodE3ELS4_3ELS4_3ELNS0_20block_scan_algorithmE0ELj4294967295EEENS1_25partition_config_selectorILNS1_17partition_subalgoE4EjNS0_10empty_typeEbEEZZNS1_14partition_implILS8_4ELb0ES6_15HIP_vector_typeIjLj2EENS0_17counting_iteratorIjlEEPS9_SG_NS0_5tupleIJPjSI_NS0_16reverse_iteratorISI_EEEEENSH_IJSG_SG_SG_EEES9_SI_JZNS1_25segmented_radix_sort_implINS0_14default_configELb1EPK6__halfPSP_PKlPlN2at6native12_GLOBAL__N_18offset_tEEE10hipError_tPvRmT1_PNSt15iterator_traitsIS13_E10value_typeET2_T3_PNS14_IS19_E10value_typeET4_jRbjT5_S1F_jjP12ihipStream_tbEUljE_ZNSN_ISO_Lb1ESR_SS_SU_SV_SZ_EES10_S11_S12_S13_S17_S18_S19_S1C_S1D_jS1E_jS1F_S1F_jjS1H_bEUljE0_EEES10_S11_S12_S19_S1D_S1F_T6_T7_T9_mT8_S1H_bDpT10_ENKUlT_T0_E_clISt17integral_constantIbLb0EES1U_IbLb1EEEEDaS1Q_S1R_EUlS1Q_E_NS1_11comp_targetILNS1_3genE2ELNS1_11target_archE906ELNS1_3gpuE6ELNS1_3repE0EEENS1_30default_config_static_selectorELNS0_4arch9wavefront6targetE0EEEvS13_,"axG",@progbits,_ZN7rocprim17ROCPRIM_400000_NS6detail17trampoline_kernelINS0_13select_configILj256ELj13ELNS0_17block_load_methodE3ELS4_3ELS4_3ELNS0_20block_scan_algorithmE0ELj4294967295EEENS1_25partition_config_selectorILNS1_17partition_subalgoE4EjNS0_10empty_typeEbEEZZNS1_14partition_implILS8_4ELb0ES6_15HIP_vector_typeIjLj2EENS0_17counting_iteratorIjlEEPS9_SG_NS0_5tupleIJPjSI_NS0_16reverse_iteratorISI_EEEEENSH_IJSG_SG_SG_EEES9_SI_JZNS1_25segmented_radix_sort_implINS0_14default_configELb1EPK6__halfPSP_PKlPlN2at6native12_GLOBAL__N_18offset_tEEE10hipError_tPvRmT1_PNSt15iterator_traitsIS13_E10value_typeET2_T3_PNS14_IS19_E10value_typeET4_jRbjT5_S1F_jjP12ihipStream_tbEUljE_ZNSN_ISO_Lb1ESR_SS_SU_SV_SZ_EES10_S11_S12_S13_S17_S18_S19_S1C_S1D_jS1E_jS1F_S1F_jjS1H_bEUljE0_EEES10_S11_S12_S19_S1D_S1F_T6_T7_T9_mT8_S1H_bDpT10_ENKUlT_T0_E_clISt17integral_constantIbLb0EES1U_IbLb1EEEEDaS1Q_S1R_EUlS1Q_E_NS1_11comp_targetILNS1_3genE2ELNS1_11target_archE906ELNS1_3gpuE6ELNS1_3repE0EEENS1_30default_config_static_selectorELNS0_4arch9wavefront6targetE0EEEvS13_,comdat
.Lfunc_end1703:
	.size	_ZN7rocprim17ROCPRIM_400000_NS6detail17trampoline_kernelINS0_13select_configILj256ELj13ELNS0_17block_load_methodE3ELS4_3ELS4_3ELNS0_20block_scan_algorithmE0ELj4294967295EEENS1_25partition_config_selectorILNS1_17partition_subalgoE4EjNS0_10empty_typeEbEEZZNS1_14partition_implILS8_4ELb0ES6_15HIP_vector_typeIjLj2EENS0_17counting_iteratorIjlEEPS9_SG_NS0_5tupleIJPjSI_NS0_16reverse_iteratorISI_EEEEENSH_IJSG_SG_SG_EEES9_SI_JZNS1_25segmented_radix_sort_implINS0_14default_configELb1EPK6__halfPSP_PKlPlN2at6native12_GLOBAL__N_18offset_tEEE10hipError_tPvRmT1_PNSt15iterator_traitsIS13_E10value_typeET2_T3_PNS14_IS19_E10value_typeET4_jRbjT5_S1F_jjP12ihipStream_tbEUljE_ZNSN_ISO_Lb1ESR_SS_SU_SV_SZ_EES10_S11_S12_S13_S17_S18_S19_S1C_S1D_jS1E_jS1F_S1F_jjS1H_bEUljE0_EEES10_S11_S12_S19_S1D_S1F_T6_T7_T9_mT8_S1H_bDpT10_ENKUlT_T0_E_clISt17integral_constantIbLb0EES1U_IbLb1EEEEDaS1Q_S1R_EUlS1Q_E_NS1_11comp_targetILNS1_3genE2ELNS1_11target_archE906ELNS1_3gpuE6ELNS1_3repE0EEENS1_30default_config_static_selectorELNS0_4arch9wavefront6targetE0EEEvS13_, .Lfunc_end1703-_ZN7rocprim17ROCPRIM_400000_NS6detail17trampoline_kernelINS0_13select_configILj256ELj13ELNS0_17block_load_methodE3ELS4_3ELS4_3ELNS0_20block_scan_algorithmE0ELj4294967295EEENS1_25partition_config_selectorILNS1_17partition_subalgoE4EjNS0_10empty_typeEbEEZZNS1_14partition_implILS8_4ELb0ES6_15HIP_vector_typeIjLj2EENS0_17counting_iteratorIjlEEPS9_SG_NS0_5tupleIJPjSI_NS0_16reverse_iteratorISI_EEEEENSH_IJSG_SG_SG_EEES9_SI_JZNS1_25segmented_radix_sort_implINS0_14default_configELb1EPK6__halfPSP_PKlPlN2at6native12_GLOBAL__N_18offset_tEEE10hipError_tPvRmT1_PNSt15iterator_traitsIS13_E10value_typeET2_T3_PNS14_IS19_E10value_typeET4_jRbjT5_S1F_jjP12ihipStream_tbEUljE_ZNSN_ISO_Lb1ESR_SS_SU_SV_SZ_EES10_S11_S12_S13_S17_S18_S19_S1C_S1D_jS1E_jS1F_S1F_jjS1H_bEUljE0_EEES10_S11_S12_S19_S1D_S1F_T6_T7_T9_mT8_S1H_bDpT10_ENKUlT_T0_E_clISt17integral_constantIbLb0EES1U_IbLb1EEEEDaS1Q_S1R_EUlS1Q_E_NS1_11comp_targetILNS1_3genE2ELNS1_11target_archE906ELNS1_3gpuE6ELNS1_3repE0EEENS1_30default_config_static_selectorELNS0_4arch9wavefront6targetE0EEEvS13_
                                        ; -- End function
	.set _ZN7rocprim17ROCPRIM_400000_NS6detail17trampoline_kernelINS0_13select_configILj256ELj13ELNS0_17block_load_methodE3ELS4_3ELS4_3ELNS0_20block_scan_algorithmE0ELj4294967295EEENS1_25partition_config_selectorILNS1_17partition_subalgoE4EjNS0_10empty_typeEbEEZZNS1_14partition_implILS8_4ELb0ES6_15HIP_vector_typeIjLj2EENS0_17counting_iteratorIjlEEPS9_SG_NS0_5tupleIJPjSI_NS0_16reverse_iteratorISI_EEEEENSH_IJSG_SG_SG_EEES9_SI_JZNS1_25segmented_radix_sort_implINS0_14default_configELb1EPK6__halfPSP_PKlPlN2at6native12_GLOBAL__N_18offset_tEEE10hipError_tPvRmT1_PNSt15iterator_traitsIS13_E10value_typeET2_T3_PNS14_IS19_E10value_typeET4_jRbjT5_S1F_jjP12ihipStream_tbEUljE_ZNSN_ISO_Lb1ESR_SS_SU_SV_SZ_EES10_S11_S12_S13_S17_S18_S19_S1C_S1D_jS1E_jS1F_S1F_jjS1H_bEUljE0_EEES10_S11_S12_S19_S1D_S1F_T6_T7_T9_mT8_S1H_bDpT10_ENKUlT_T0_E_clISt17integral_constantIbLb0EES1U_IbLb1EEEEDaS1Q_S1R_EUlS1Q_E_NS1_11comp_targetILNS1_3genE2ELNS1_11target_archE906ELNS1_3gpuE6ELNS1_3repE0EEENS1_30default_config_static_selectorELNS0_4arch9wavefront6targetE0EEEvS13_.num_vgpr, 0
	.set _ZN7rocprim17ROCPRIM_400000_NS6detail17trampoline_kernelINS0_13select_configILj256ELj13ELNS0_17block_load_methodE3ELS4_3ELS4_3ELNS0_20block_scan_algorithmE0ELj4294967295EEENS1_25partition_config_selectorILNS1_17partition_subalgoE4EjNS0_10empty_typeEbEEZZNS1_14partition_implILS8_4ELb0ES6_15HIP_vector_typeIjLj2EENS0_17counting_iteratorIjlEEPS9_SG_NS0_5tupleIJPjSI_NS0_16reverse_iteratorISI_EEEEENSH_IJSG_SG_SG_EEES9_SI_JZNS1_25segmented_radix_sort_implINS0_14default_configELb1EPK6__halfPSP_PKlPlN2at6native12_GLOBAL__N_18offset_tEEE10hipError_tPvRmT1_PNSt15iterator_traitsIS13_E10value_typeET2_T3_PNS14_IS19_E10value_typeET4_jRbjT5_S1F_jjP12ihipStream_tbEUljE_ZNSN_ISO_Lb1ESR_SS_SU_SV_SZ_EES10_S11_S12_S13_S17_S18_S19_S1C_S1D_jS1E_jS1F_S1F_jjS1H_bEUljE0_EEES10_S11_S12_S19_S1D_S1F_T6_T7_T9_mT8_S1H_bDpT10_ENKUlT_T0_E_clISt17integral_constantIbLb0EES1U_IbLb1EEEEDaS1Q_S1R_EUlS1Q_E_NS1_11comp_targetILNS1_3genE2ELNS1_11target_archE906ELNS1_3gpuE6ELNS1_3repE0EEENS1_30default_config_static_selectorELNS0_4arch9wavefront6targetE0EEEvS13_.num_agpr, 0
	.set _ZN7rocprim17ROCPRIM_400000_NS6detail17trampoline_kernelINS0_13select_configILj256ELj13ELNS0_17block_load_methodE3ELS4_3ELS4_3ELNS0_20block_scan_algorithmE0ELj4294967295EEENS1_25partition_config_selectorILNS1_17partition_subalgoE4EjNS0_10empty_typeEbEEZZNS1_14partition_implILS8_4ELb0ES6_15HIP_vector_typeIjLj2EENS0_17counting_iteratorIjlEEPS9_SG_NS0_5tupleIJPjSI_NS0_16reverse_iteratorISI_EEEEENSH_IJSG_SG_SG_EEES9_SI_JZNS1_25segmented_radix_sort_implINS0_14default_configELb1EPK6__halfPSP_PKlPlN2at6native12_GLOBAL__N_18offset_tEEE10hipError_tPvRmT1_PNSt15iterator_traitsIS13_E10value_typeET2_T3_PNS14_IS19_E10value_typeET4_jRbjT5_S1F_jjP12ihipStream_tbEUljE_ZNSN_ISO_Lb1ESR_SS_SU_SV_SZ_EES10_S11_S12_S13_S17_S18_S19_S1C_S1D_jS1E_jS1F_S1F_jjS1H_bEUljE0_EEES10_S11_S12_S19_S1D_S1F_T6_T7_T9_mT8_S1H_bDpT10_ENKUlT_T0_E_clISt17integral_constantIbLb0EES1U_IbLb1EEEEDaS1Q_S1R_EUlS1Q_E_NS1_11comp_targetILNS1_3genE2ELNS1_11target_archE906ELNS1_3gpuE6ELNS1_3repE0EEENS1_30default_config_static_selectorELNS0_4arch9wavefront6targetE0EEEvS13_.numbered_sgpr, 0
	.set _ZN7rocprim17ROCPRIM_400000_NS6detail17trampoline_kernelINS0_13select_configILj256ELj13ELNS0_17block_load_methodE3ELS4_3ELS4_3ELNS0_20block_scan_algorithmE0ELj4294967295EEENS1_25partition_config_selectorILNS1_17partition_subalgoE4EjNS0_10empty_typeEbEEZZNS1_14partition_implILS8_4ELb0ES6_15HIP_vector_typeIjLj2EENS0_17counting_iteratorIjlEEPS9_SG_NS0_5tupleIJPjSI_NS0_16reverse_iteratorISI_EEEEENSH_IJSG_SG_SG_EEES9_SI_JZNS1_25segmented_radix_sort_implINS0_14default_configELb1EPK6__halfPSP_PKlPlN2at6native12_GLOBAL__N_18offset_tEEE10hipError_tPvRmT1_PNSt15iterator_traitsIS13_E10value_typeET2_T3_PNS14_IS19_E10value_typeET4_jRbjT5_S1F_jjP12ihipStream_tbEUljE_ZNSN_ISO_Lb1ESR_SS_SU_SV_SZ_EES10_S11_S12_S13_S17_S18_S19_S1C_S1D_jS1E_jS1F_S1F_jjS1H_bEUljE0_EEES10_S11_S12_S19_S1D_S1F_T6_T7_T9_mT8_S1H_bDpT10_ENKUlT_T0_E_clISt17integral_constantIbLb0EES1U_IbLb1EEEEDaS1Q_S1R_EUlS1Q_E_NS1_11comp_targetILNS1_3genE2ELNS1_11target_archE906ELNS1_3gpuE6ELNS1_3repE0EEENS1_30default_config_static_selectorELNS0_4arch9wavefront6targetE0EEEvS13_.num_named_barrier, 0
	.set _ZN7rocprim17ROCPRIM_400000_NS6detail17trampoline_kernelINS0_13select_configILj256ELj13ELNS0_17block_load_methodE3ELS4_3ELS4_3ELNS0_20block_scan_algorithmE0ELj4294967295EEENS1_25partition_config_selectorILNS1_17partition_subalgoE4EjNS0_10empty_typeEbEEZZNS1_14partition_implILS8_4ELb0ES6_15HIP_vector_typeIjLj2EENS0_17counting_iteratorIjlEEPS9_SG_NS0_5tupleIJPjSI_NS0_16reverse_iteratorISI_EEEEENSH_IJSG_SG_SG_EEES9_SI_JZNS1_25segmented_radix_sort_implINS0_14default_configELb1EPK6__halfPSP_PKlPlN2at6native12_GLOBAL__N_18offset_tEEE10hipError_tPvRmT1_PNSt15iterator_traitsIS13_E10value_typeET2_T3_PNS14_IS19_E10value_typeET4_jRbjT5_S1F_jjP12ihipStream_tbEUljE_ZNSN_ISO_Lb1ESR_SS_SU_SV_SZ_EES10_S11_S12_S13_S17_S18_S19_S1C_S1D_jS1E_jS1F_S1F_jjS1H_bEUljE0_EEES10_S11_S12_S19_S1D_S1F_T6_T7_T9_mT8_S1H_bDpT10_ENKUlT_T0_E_clISt17integral_constantIbLb0EES1U_IbLb1EEEEDaS1Q_S1R_EUlS1Q_E_NS1_11comp_targetILNS1_3genE2ELNS1_11target_archE906ELNS1_3gpuE6ELNS1_3repE0EEENS1_30default_config_static_selectorELNS0_4arch9wavefront6targetE0EEEvS13_.private_seg_size, 0
	.set _ZN7rocprim17ROCPRIM_400000_NS6detail17trampoline_kernelINS0_13select_configILj256ELj13ELNS0_17block_load_methodE3ELS4_3ELS4_3ELNS0_20block_scan_algorithmE0ELj4294967295EEENS1_25partition_config_selectorILNS1_17partition_subalgoE4EjNS0_10empty_typeEbEEZZNS1_14partition_implILS8_4ELb0ES6_15HIP_vector_typeIjLj2EENS0_17counting_iteratorIjlEEPS9_SG_NS0_5tupleIJPjSI_NS0_16reverse_iteratorISI_EEEEENSH_IJSG_SG_SG_EEES9_SI_JZNS1_25segmented_radix_sort_implINS0_14default_configELb1EPK6__halfPSP_PKlPlN2at6native12_GLOBAL__N_18offset_tEEE10hipError_tPvRmT1_PNSt15iterator_traitsIS13_E10value_typeET2_T3_PNS14_IS19_E10value_typeET4_jRbjT5_S1F_jjP12ihipStream_tbEUljE_ZNSN_ISO_Lb1ESR_SS_SU_SV_SZ_EES10_S11_S12_S13_S17_S18_S19_S1C_S1D_jS1E_jS1F_S1F_jjS1H_bEUljE0_EEES10_S11_S12_S19_S1D_S1F_T6_T7_T9_mT8_S1H_bDpT10_ENKUlT_T0_E_clISt17integral_constantIbLb0EES1U_IbLb1EEEEDaS1Q_S1R_EUlS1Q_E_NS1_11comp_targetILNS1_3genE2ELNS1_11target_archE906ELNS1_3gpuE6ELNS1_3repE0EEENS1_30default_config_static_selectorELNS0_4arch9wavefront6targetE0EEEvS13_.uses_vcc, 0
	.set _ZN7rocprim17ROCPRIM_400000_NS6detail17trampoline_kernelINS0_13select_configILj256ELj13ELNS0_17block_load_methodE3ELS4_3ELS4_3ELNS0_20block_scan_algorithmE0ELj4294967295EEENS1_25partition_config_selectorILNS1_17partition_subalgoE4EjNS0_10empty_typeEbEEZZNS1_14partition_implILS8_4ELb0ES6_15HIP_vector_typeIjLj2EENS0_17counting_iteratorIjlEEPS9_SG_NS0_5tupleIJPjSI_NS0_16reverse_iteratorISI_EEEEENSH_IJSG_SG_SG_EEES9_SI_JZNS1_25segmented_radix_sort_implINS0_14default_configELb1EPK6__halfPSP_PKlPlN2at6native12_GLOBAL__N_18offset_tEEE10hipError_tPvRmT1_PNSt15iterator_traitsIS13_E10value_typeET2_T3_PNS14_IS19_E10value_typeET4_jRbjT5_S1F_jjP12ihipStream_tbEUljE_ZNSN_ISO_Lb1ESR_SS_SU_SV_SZ_EES10_S11_S12_S13_S17_S18_S19_S1C_S1D_jS1E_jS1F_S1F_jjS1H_bEUljE0_EEES10_S11_S12_S19_S1D_S1F_T6_T7_T9_mT8_S1H_bDpT10_ENKUlT_T0_E_clISt17integral_constantIbLb0EES1U_IbLb1EEEEDaS1Q_S1R_EUlS1Q_E_NS1_11comp_targetILNS1_3genE2ELNS1_11target_archE906ELNS1_3gpuE6ELNS1_3repE0EEENS1_30default_config_static_selectorELNS0_4arch9wavefront6targetE0EEEvS13_.uses_flat_scratch, 0
	.set _ZN7rocprim17ROCPRIM_400000_NS6detail17trampoline_kernelINS0_13select_configILj256ELj13ELNS0_17block_load_methodE3ELS4_3ELS4_3ELNS0_20block_scan_algorithmE0ELj4294967295EEENS1_25partition_config_selectorILNS1_17partition_subalgoE4EjNS0_10empty_typeEbEEZZNS1_14partition_implILS8_4ELb0ES6_15HIP_vector_typeIjLj2EENS0_17counting_iteratorIjlEEPS9_SG_NS0_5tupleIJPjSI_NS0_16reverse_iteratorISI_EEEEENSH_IJSG_SG_SG_EEES9_SI_JZNS1_25segmented_radix_sort_implINS0_14default_configELb1EPK6__halfPSP_PKlPlN2at6native12_GLOBAL__N_18offset_tEEE10hipError_tPvRmT1_PNSt15iterator_traitsIS13_E10value_typeET2_T3_PNS14_IS19_E10value_typeET4_jRbjT5_S1F_jjP12ihipStream_tbEUljE_ZNSN_ISO_Lb1ESR_SS_SU_SV_SZ_EES10_S11_S12_S13_S17_S18_S19_S1C_S1D_jS1E_jS1F_S1F_jjS1H_bEUljE0_EEES10_S11_S12_S19_S1D_S1F_T6_T7_T9_mT8_S1H_bDpT10_ENKUlT_T0_E_clISt17integral_constantIbLb0EES1U_IbLb1EEEEDaS1Q_S1R_EUlS1Q_E_NS1_11comp_targetILNS1_3genE2ELNS1_11target_archE906ELNS1_3gpuE6ELNS1_3repE0EEENS1_30default_config_static_selectorELNS0_4arch9wavefront6targetE0EEEvS13_.has_dyn_sized_stack, 0
	.set _ZN7rocprim17ROCPRIM_400000_NS6detail17trampoline_kernelINS0_13select_configILj256ELj13ELNS0_17block_load_methodE3ELS4_3ELS4_3ELNS0_20block_scan_algorithmE0ELj4294967295EEENS1_25partition_config_selectorILNS1_17partition_subalgoE4EjNS0_10empty_typeEbEEZZNS1_14partition_implILS8_4ELb0ES6_15HIP_vector_typeIjLj2EENS0_17counting_iteratorIjlEEPS9_SG_NS0_5tupleIJPjSI_NS0_16reverse_iteratorISI_EEEEENSH_IJSG_SG_SG_EEES9_SI_JZNS1_25segmented_radix_sort_implINS0_14default_configELb1EPK6__halfPSP_PKlPlN2at6native12_GLOBAL__N_18offset_tEEE10hipError_tPvRmT1_PNSt15iterator_traitsIS13_E10value_typeET2_T3_PNS14_IS19_E10value_typeET4_jRbjT5_S1F_jjP12ihipStream_tbEUljE_ZNSN_ISO_Lb1ESR_SS_SU_SV_SZ_EES10_S11_S12_S13_S17_S18_S19_S1C_S1D_jS1E_jS1F_S1F_jjS1H_bEUljE0_EEES10_S11_S12_S19_S1D_S1F_T6_T7_T9_mT8_S1H_bDpT10_ENKUlT_T0_E_clISt17integral_constantIbLb0EES1U_IbLb1EEEEDaS1Q_S1R_EUlS1Q_E_NS1_11comp_targetILNS1_3genE2ELNS1_11target_archE906ELNS1_3gpuE6ELNS1_3repE0EEENS1_30default_config_static_selectorELNS0_4arch9wavefront6targetE0EEEvS13_.has_recursion, 0
	.set _ZN7rocprim17ROCPRIM_400000_NS6detail17trampoline_kernelINS0_13select_configILj256ELj13ELNS0_17block_load_methodE3ELS4_3ELS4_3ELNS0_20block_scan_algorithmE0ELj4294967295EEENS1_25partition_config_selectorILNS1_17partition_subalgoE4EjNS0_10empty_typeEbEEZZNS1_14partition_implILS8_4ELb0ES6_15HIP_vector_typeIjLj2EENS0_17counting_iteratorIjlEEPS9_SG_NS0_5tupleIJPjSI_NS0_16reverse_iteratorISI_EEEEENSH_IJSG_SG_SG_EEES9_SI_JZNS1_25segmented_radix_sort_implINS0_14default_configELb1EPK6__halfPSP_PKlPlN2at6native12_GLOBAL__N_18offset_tEEE10hipError_tPvRmT1_PNSt15iterator_traitsIS13_E10value_typeET2_T3_PNS14_IS19_E10value_typeET4_jRbjT5_S1F_jjP12ihipStream_tbEUljE_ZNSN_ISO_Lb1ESR_SS_SU_SV_SZ_EES10_S11_S12_S13_S17_S18_S19_S1C_S1D_jS1E_jS1F_S1F_jjS1H_bEUljE0_EEES10_S11_S12_S19_S1D_S1F_T6_T7_T9_mT8_S1H_bDpT10_ENKUlT_T0_E_clISt17integral_constantIbLb0EES1U_IbLb1EEEEDaS1Q_S1R_EUlS1Q_E_NS1_11comp_targetILNS1_3genE2ELNS1_11target_archE906ELNS1_3gpuE6ELNS1_3repE0EEENS1_30default_config_static_selectorELNS0_4arch9wavefront6targetE0EEEvS13_.has_indirect_call, 0
	.section	.AMDGPU.csdata,"",@progbits
; Kernel info:
; codeLenInByte = 0
; TotalNumSgprs: 0
; NumVgprs: 0
; ScratchSize: 0
; MemoryBound: 0
; FloatMode: 240
; IeeeMode: 1
; LDSByteSize: 0 bytes/workgroup (compile time only)
; SGPRBlocks: 0
; VGPRBlocks: 0
; NumSGPRsForWavesPerEU: 1
; NumVGPRsForWavesPerEU: 1
; Occupancy: 16
; WaveLimiterHint : 0
; COMPUTE_PGM_RSRC2:SCRATCH_EN: 0
; COMPUTE_PGM_RSRC2:USER_SGPR: 2
; COMPUTE_PGM_RSRC2:TRAP_HANDLER: 0
; COMPUTE_PGM_RSRC2:TGID_X_EN: 1
; COMPUTE_PGM_RSRC2:TGID_Y_EN: 0
; COMPUTE_PGM_RSRC2:TGID_Z_EN: 0
; COMPUTE_PGM_RSRC2:TIDIG_COMP_CNT: 0
	.section	.text._ZN7rocprim17ROCPRIM_400000_NS6detail17trampoline_kernelINS0_13select_configILj256ELj13ELNS0_17block_load_methodE3ELS4_3ELS4_3ELNS0_20block_scan_algorithmE0ELj4294967295EEENS1_25partition_config_selectorILNS1_17partition_subalgoE4EjNS0_10empty_typeEbEEZZNS1_14partition_implILS8_4ELb0ES6_15HIP_vector_typeIjLj2EENS0_17counting_iteratorIjlEEPS9_SG_NS0_5tupleIJPjSI_NS0_16reverse_iteratorISI_EEEEENSH_IJSG_SG_SG_EEES9_SI_JZNS1_25segmented_radix_sort_implINS0_14default_configELb1EPK6__halfPSP_PKlPlN2at6native12_GLOBAL__N_18offset_tEEE10hipError_tPvRmT1_PNSt15iterator_traitsIS13_E10value_typeET2_T3_PNS14_IS19_E10value_typeET4_jRbjT5_S1F_jjP12ihipStream_tbEUljE_ZNSN_ISO_Lb1ESR_SS_SU_SV_SZ_EES10_S11_S12_S13_S17_S18_S19_S1C_S1D_jS1E_jS1F_S1F_jjS1H_bEUljE0_EEES10_S11_S12_S19_S1D_S1F_T6_T7_T9_mT8_S1H_bDpT10_ENKUlT_T0_E_clISt17integral_constantIbLb0EES1U_IbLb1EEEEDaS1Q_S1R_EUlS1Q_E_NS1_11comp_targetILNS1_3genE10ELNS1_11target_archE1200ELNS1_3gpuE4ELNS1_3repE0EEENS1_30default_config_static_selectorELNS0_4arch9wavefront6targetE0EEEvS13_,"axG",@progbits,_ZN7rocprim17ROCPRIM_400000_NS6detail17trampoline_kernelINS0_13select_configILj256ELj13ELNS0_17block_load_methodE3ELS4_3ELS4_3ELNS0_20block_scan_algorithmE0ELj4294967295EEENS1_25partition_config_selectorILNS1_17partition_subalgoE4EjNS0_10empty_typeEbEEZZNS1_14partition_implILS8_4ELb0ES6_15HIP_vector_typeIjLj2EENS0_17counting_iteratorIjlEEPS9_SG_NS0_5tupleIJPjSI_NS0_16reverse_iteratorISI_EEEEENSH_IJSG_SG_SG_EEES9_SI_JZNS1_25segmented_radix_sort_implINS0_14default_configELb1EPK6__halfPSP_PKlPlN2at6native12_GLOBAL__N_18offset_tEEE10hipError_tPvRmT1_PNSt15iterator_traitsIS13_E10value_typeET2_T3_PNS14_IS19_E10value_typeET4_jRbjT5_S1F_jjP12ihipStream_tbEUljE_ZNSN_ISO_Lb1ESR_SS_SU_SV_SZ_EES10_S11_S12_S13_S17_S18_S19_S1C_S1D_jS1E_jS1F_S1F_jjS1H_bEUljE0_EEES10_S11_S12_S19_S1D_S1F_T6_T7_T9_mT8_S1H_bDpT10_ENKUlT_T0_E_clISt17integral_constantIbLb0EES1U_IbLb1EEEEDaS1Q_S1R_EUlS1Q_E_NS1_11comp_targetILNS1_3genE10ELNS1_11target_archE1200ELNS1_3gpuE4ELNS1_3repE0EEENS1_30default_config_static_selectorELNS0_4arch9wavefront6targetE0EEEvS13_,comdat
	.globl	_ZN7rocprim17ROCPRIM_400000_NS6detail17trampoline_kernelINS0_13select_configILj256ELj13ELNS0_17block_load_methodE3ELS4_3ELS4_3ELNS0_20block_scan_algorithmE0ELj4294967295EEENS1_25partition_config_selectorILNS1_17partition_subalgoE4EjNS0_10empty_typeEbEEZZNS1_14partition_implILS8_4ELb0ES6_15HIP_vector_typeIjLj2EENS0_17counting_iteratorIjlEEPS9_SG_NS0_5tupleIJPjSI_NS0_16reverse_iteratorISI_EEEEENSH_IJSG_SG_SG_EEES9_SI_JZNS1_25segmented_radix_sort_implINS0_14default_configELb1EPK6__halfPSP_PKlPlN2at6native12_GLOBAL__N_18offset_tEEE10hipError_tPvRmT1_PNSt15iterator_traitsIS13_E10value_typeET2_T3_PNS14_IS19_E10value_typeET4_jRbjT5_S1F_jjP12ihipStream_tbEUljE_ZNSN_ISO_Lb1ESR_SS_SU_SV_SZ_EES10_S11_S12_S13_S17_S18_S19_S1C_S1D_jS1E_jS1F_S1F_jjS1H_bEUljE0_EEES10_S11_S12_S19_S1D_S1F_T6_T7_T9_mT8_S1H_bDpT10_ENKUlT_T0_E_clISt17integral_constantIbLb0EES1U_IbLb1EEEEDaS1Q_S1R_EUlS1Q_E_NS1_11comp_targetILNS1_3genE10ELNS1_11target_archE1200ELNS1_3gpuE4ELNS1_3repE0EEENS1_30default_config_static_selectorELNS0_4arch9wavefront6targetE0EEEvS13_ ; -- Begin function _ZN7rocprim17ROCPRIM_400000_NS6detail17trampoline_kernelINS0_13select_configILj256ELj13ELNS0_17block_load_methodE3ELS4_3ELS4_3ELNS0_20block_scan_algorithmE0ELj4294967295EEENS1_25partition_config_selectorILNS1_17partition_subalgoE4EjNS0_10empty_typeEbEEZZNS1_14partition_implILS8_4ELb0ES6_15HIP_vector_typeIjLj2EENS0_17counting_iteratorIjlEEPS9_SG_NS0_5tupleIJPjSI_NS0_16reverse_iteratorISI_EEEEENSH_IJSG_SG_SG_EEES9_SI_JZNS1_25segmented_radix_sort_implINS0_14default_configELb1EPK6__halfPSP_PKlPlN2at6native12_GLOBAL__N_18offset_tEEE10hipError_tPvRmT1_PNSt15iterator_traitsIS13_E10value_typeET2_T3_PNS14_IS19_E10value_typeET4_jRbjT5_S1F_jjP12ihipStream_tbEUljE_ZNSN_ISO_Lb1ESR_SS_SU_SV_SZ_EES10_S11_S12_S13_S17_S18_S19_S1C_S1D_jS1E_jS1F_S1F_jjS1H_bEUljE0_EEES10_S11_S12_S19_S1D_S1F_T6_T7_T9_mT8_S1H_bDpT10_ENKUlT_T0_E_clISt17integral_constantIbLb0EES1U_IbLb1EEEEDaS1Q_S1R_EUlS1Q_E_NS1_11comp_targetILNS1_3genE10ELNS1_11target_archE1200ELNS1_3gpuE4ELNS1_3repE0EEENS1_30default_config_static_selectorELNS0_4arch9wavefront6targetE0EEEvS13_
	.p2align	8
	.type	_ZN7rocprim17ROCPRIM_400000_NS6detail17trampoline_kernelINS0_13select_configILj256ELj13ELNS0_17block_load_methodE3ELS4_3ELS4_3ELNS0_20block_scan_algorithmE0ELj4294967295EEENS1_25partition_config_selectorILNS1_17partition_subalgoE4EjNS0_10empty_typeEbEEZZNS1_14partition_implILS8_4ELb0ES6_15HIP_vector_typeIjLj2EENS0_17counting_iteratorIjlEEPS9_SG_NS0_5tupleIJPjSI_NS0_16reverse_iteratorISI_EEEEENSH_IJSG_SG_SG_EEES9_SI_JZNS1_25segmented_radix_sort_implINS0_14default_configELb1EPK6__halfPSP_PKlPlN2at6native12_GLOBAL__N_18offset_tEEE10hipError_tPvRmT1_PNSt15iterator_traitsIS13_E10value_typeET2_T3_PNS14_IS19_E10value_typeET4_jRbjT5_S1F_jjP12ihipStream_tbEUljE_ZNSN_ISO_Lb1ESR_SS_SU_SV_SZ_EES10_S11_S12_S13_S17_S18_S19_S1C_S1D_jS1E_jS1F_S1F_jjS1H_bEUljE0_EEES10_S11_S12_S19_S1D_S1F_T6_T7_T9_mT8_S1H_bDpT10_ENKUlT_T0_E_clISt17integral_constantIbLb0EES1U_IbLb1EEEEDaS1Q_S1R_EUlS1Q_E_NS1_11comp_targetILNS1_3genE10ELNS1_11target_archE1200ELNS1_3gpuE4ELNS1_3repE0EEENS1_30default_config_static_selectorELNS0_4arch9wavefront6targetE0EEEvS13_,@function
_ZN7rocprim17ROCPRIM_400000_NS6detail17trampoline_kernelINS0_13select_configILj256ELj13ELNS0_17block_load_methodE3ELS4_3ELS4_3ELNS0_20block_scan_algorithmE0ELj4294967295EEENS1_25partition_config_selectorILNS1_17partition_subalgoE4EjNS0_10empty_typeEbEEZZNS1_14partition_implILS8_4ELb0ES6_15HIP_vector_typeIjLj2EENS0_17counting_iteratorIjlEEPS9_SG_NS0_5tupleIJPjSI_NS0_16reverse_iteratorISI_EEEEENSH_IJSG_SG_SG_EEES9_SI_JZNS1_25segmented_radix_sort_implINS0_14default_configELb1EPK6__halfPSP_PKlPlN2at6native12_GLOBAL__N_18offset_tEEE10hipError_tPvRmT1_PNSt15iterator_traitsIS13_E10value_typeET2_T3_PNS14_IS19_E10value_typeET4_jRbjT5_S1F_jjP12ihipStream_tbEUljE_ZNSN_ISO_Lb1ESR_SS_SU_SV_SZ_EES10_S11_S12_S13_S17_S18_S19_S1C_S1D_jS1E_jS1F_S1F_jjS1H_bEUljE0_EEES10_S11_S12_S19_S1D_S1F_T6_T7_T9_mT8_S1H_bDpT10_ENKUlT_T0_E_clISt17integral_constantIbLb0EES1U_IbLb1EEEEDaS1Q_S1R_EUlS1Q_E_NS1_11comp_targetILNS1_3genE10ELNS1_11target_archE1200ELNS1_3gpuE4ELNS1_3repE0EEENS1_30default_config_static_selectorELNS0_4arch9wavefront6targetE0EEEvS13_: ; @_ZN7rocprim17ROCPRIM_400000_NS6detail17trampoline_kernelINS0_13select_configILj256ELj13ELNS0_17block_load_methodE3ELS4_3ELS4_3ELNS0_20block_scan_algorithmE0ELj4294967295EEENS1_25partition_config_selectorILNS1_17partition_subalgoE4EjNS0_10empty_typeEbEEZZNS1_14partition_implILS8_4ELb0ES6_15HIP_vector_typeIjLj2EENS0_17counting_iteratorIjlEEPS9_SG_NS0_5tupleIJPjSI_NS0_16reverse_iteratorISI_EEEEENSH_IJSG_SG_SG_EEES9_SI_JZNS1_25segmented_radix_sort_implINS0_14default_configELb1EPK6__halfPSP_PKlPlN2at6native12_GLOBAL__N_18offset_tEEE10hipError_tPvRmT1_PNSt15iterator_traitsIS13_E10value_typeET2_T3_PNS14_IS19_E10value_typeET4_jRbjT5_S1F_jjP12ihipStream_tbEUljE_ZNSN_ISO_Lb1ESR_SS_SU_SV_SZ_EES10_S11_S12_S13_S17_S18_S19_S1C_S1D_jS1E_jS1F_S1F_jjS1H_bEUljE0_EEES10_S11_S12_S19_S1D_S1F_T6_T7_T9_mT8_S1H_bDpT10_ENKUlT_T0_E_clISt17integral_constantIbLb0EES1U_IbLb1EEEEDaS1Q_S1R_EUlS1Q_E_NS1_11comp_targetILNS1_3genE10ELNS1_11target_archE1200ELNS1_3gpuE4ELNS1_3repE0EEENS1_30default_config_static_selectorELNS0_4arch9wavefront6targetE0EEEvS13_
; %bb.0:
	s_clause 0x7
	s_load_b64 s[34:35], s[0:1], 0x10
	s_load_b128 s[28:31], s[0:1], 0x28
	s_load_b64 s[14:15], s[0:1], 0x38
	s_load_b128 s[24:27], s[0:1], 0x58
	s_load_b64 s[4:5], s[0:1], 0x68
	s_load_b64 s[36:37], s[0:1], 0x78
	;; [unrolled: 1-line block ×3, first 2 shown]
	s_load_b256 s[16:23], s[0:1], 0x90
	v_cmp_eq_u32_e64 s2, 0, v0
	s_and_saveexec_b32 s3, s2
	s_cbranch_execz .LBB1704_4
; %bb.1:
	s_mov_b32 s7, exec_lo
	s_mov_b32 s6, exec_lo
	v_mbcnt_lo_u32_b32 v1, s7, 0
                                        ; implicit-def: $vgpr2
	s_delay_alu instid0(VALU_DEP_1)
	v_cmpx_eq_u32_e32 0, v1
	s_cbranch_execz .LBB1704_3
; %bb.2:
	s_load_b64 s[8:9], s[0:1], 0x88
	s_bcnt1_i32_b32 s7, s7
	s_wait_alu 0xfffe
	v_dual_mov_b32 v2, 0 :: v_dual_mov_b32 v3, s7
	s_wait_kmcnt 0x0
	global_atomic_add_u32 v2, v2, v3, s[8:9] th:TH_ATOMIC_RETURN scope:SCOPE_DEV
.LBB1704_3:
	s_or_b32 exec_lo, exec_lo, s6
	s_wait_loadcnt 0x0
	v_readfirstlane_b32 s6, v2
	s_wait_alu 0xf1ff
	s_delay_alu instid0(VALU_DEP_1)
	v_dual_mov_b32 v2, 0 :: v_dual_add_nc_u32 v1, s6, v1
	ds_store_b32 v2, v1
.LBB1704_4:
	s_or_b32 exec_lo, exec_lo, s3
	v_mov_b32_e32 v1, 0
	s_clause 0x1
	s_load_b32 s3, s[0:1], 0x8
	s_load_b32 s0, s[0:1], 0x80
	s_wait_dscnt 0x0
	s_barrier_signal -1
	s_barrier_wait -1
	global_inv scope:SCOPE_SE
	ds_load_b32 v5, v1
	s_wait_loadcnt_dscnt 0x0
	s_barrier_signal -1
	s_barrier_wait -1
	global_inv scope:SCOPE_SE
	s_wait_kmcnt 0x0
	global_load_b128 v[1:4], v1, s[26:27]
	s_mov_b32 s1, 0
	s_add_co_i32 s3, s3, s34
	s_add_co_i32 s6, s0, -1
	s_mulk_i32 s0, 0xd00
	s_delay_alu instid0(SALU_CYCLE_1)
	s_add_co_i32 s7, s0, s34
	s_add_nc_u64 s[0:1], s[34:35], s[0:1]
	v_readfirstlane_b32 s33, v5
	v_cmp_gt_u64_e64 s0, s[4:5], s[0:1]
	s_wait_alu 0xfffe
	s_sub_co_i32 s27, s4, s7
	v_cmp_ne_u32_e32 vcc_lo, s6, v5
	v_mul_lo_u32 v43, 0xd00, v5
	s_addk_co_i32 s27, 0xd00
	s_cmp_eq_u32 s33, s6
	s_mov_b32 s4, -1
	s_cselect_b32 s26, -1, 0
	s_or_b32 s1, s0, vcc_lo
	s_wait_alu 0xfffe
	s_and_b32 vcc_lo, exec_lo, s1
	s_cbranch_vccz .LBB1704_6
; %bb.5:
	v_add3_u32 v5, v43, s3, v0
	v_lshlrev_b32_e32 v14, 2, v0
	s_mov_b32 s4, 0
	s_delay_alu instid0(VALU_DEP_2)
	v_add_nc_u32_e32 v6, 0x100, v5
	v_add_nc_u32_e32 v7, 0x200, v5
	;; [unrolled: 1-line block ×12, first 2 shown]
	ds_store_2addr_stride64_b32 v14, v5, v6 offset1:4
	ds_store_2addr_stride64_b32 v14, v7, v8 offset0:8 offset1:12
	ds_store_2addr_stride64_b32 v14, v9, v10 offset0:16 offset1:20
	ds_store_2addr_stride64_b32 v14, v11, v12 offset0:24 offset1:28
	ds_store_2addr_stride64_b32 v14, v13, v15 offset0:32 offset1:36
	ds_store_2addr_stride64_b32 v14, v16, v17 offset0:40 offset1:44
	ds_store_b32 v14, v18 offset:12288
	s_wait_loadcnt_dscnt 0x0
	s_barrier_signal -1
	s_barrier_wait -1
.LBB1704_6:
	v_cmp_gt_u32_e64 s0, s27, v0
	v_or_b32_e32 v42, 0x100, v0
	v_or_b32_e32 v41, 0x200, v0
	;; [unrolled: 1-line block ×12, first 2 shown]
	s_wait_alu 0xfffe
	s_and_not1_b32 vcc_lo, exec_lo, s4
	s_cbranch_vccnz .LBB1704_8
; %bb.7:
	v_add_nc_u32_e32 v5, s3, v43
	v_cmp_gt_u32_e32 vcc_lo, s27, v42
	s_delay_alu instid0(VALU_DEP_2) | instskip(NEXT) | instid1(VALU_DEP_1)
	v_add_nc_u32_e32 v7, v5, v42
	v_dual_cndmask_b32 v7, 0, v7 :: v_dual_add_nc_u32 v8, v5, v41
	v_cmp_gt_u32_e32 vcc_lo, s27, v41
	s_wait_alu 0xfffd
	s_delay_alu instid0(VALU_DEP_2)
	v_cndmask_b32_e32 v8, 0, v8, vcc_lo
	v_cmp_gt_u32_e32 vcc_lo, s27, v40
	v_add_nc_u32_e32 v17, v5, v32
	v_add_nc_u32_e32 v14, v5, v35
	;; [unrolled: 1-line block ×9, first 2 shown]
	s_wait_alu 0xfffd
	v_cndmask_b32_e32 v9, 0, v9, vcc_lo
	v_cmp_gt_u32_e32 vcc_lo, s27, v39
	v_cndmask_b32_e64 v6, 0, v6, s0
	s_wait_alu 0xfffd
	v_cndmask_b32_e32 v10, 0, v10, vcc_lo
	v_cmp_gt_u32_e32 vcc_lo, s27, v38
	v_add_nc_u32_e32 v12, v5, v37
	v_add_nc_u32_e32 v5, v5, v31
	s_wait_alu 0xfffd
	v_cndmask_b32_e32 v11, 0, v11, vcc_lo
	v_cmp_gt_u32_e32 vcc_lo, s27, v37
	s_wait_alu 0xfffd
	v_cndmask_b32_e32 v12, 0, v12, vcc_lo
	v_cmp_gt_u32_e32 vcc_lo, s27, v36
	;; [unrolled: 3-line block ×7, first 2 shown]
	s_wait_alu 0xfffd
	v_dual_cndmask_b32 v5, 0, v5 :: v_dual_lshlrev_b32 v18, 2, v0
	ds_store_2addr_stride64_b32 v18, v6, v7 offset1:4
	ds_store_2addr_stride64_b32 v18, v8, v9 offset0:8 offset1:12
	ds_store_2addr_stride64_b32 v18, v10, v11 offset0:16 offset1:20
	;; [unrolled: 1-line block ×5, first 2 shown]
	ds_store_b32 v18, v5 offset:12288
	s_wait_loadcnt_dscnt 0x0
	s_barrier_signal -1
	s_barrier_wait -1
.LBB1704_8:
	v_mul_u32_u24_e32 v46, 13, v0
	s_wait_loadcnt 0x0
	global_inv scope:SCOPE_SE
	v_cndmask_b32_e64 v44, 0, 1, s1
	s_and_not1_b32 vcc_lo, exec_lo, s1
	v_lshlrev_b32_e32 v5, 2, v46
	ds_load_2addr_b32 v[23:24], v5 offset1:1
	ds_load_2addr_b32 v[21:22], v5 offset0:2 offset1:3
	ds_load_2addr_b32 v[19:20], v5 offset0:4 offset1:5
	;; [unrolled: 1-line block ×5, first 2 shown]
	ds_load_b32 v45, v5 offset:48
	s_wait_loadcnt_dscnt 0x0
	s_barrier_signal -1
	s_barrier_wait -1
	global_inv scope:SCOPE_SE
	s_wait_alu 0xfffe
	s_cbranch_vccnz .LBB1704_36
; %bb.9:
	v_add_nc_u32_e32 v5, s17, v23
	v_add_nc_u32_e32 v6, s19, v23
	s_mov_b32 s41, 0
	s_mov_b32 s40, 0
	s_mov_b32 s1, exec_lo
	v_mul_lo_u32 v5, v5, s16
	v_mul_lo_u32 v6, v6, s18
	s_delay_alu instid0(VALU_DEP_1) | instskip(NEXT) | instid1(VALU_DEP_1)
	v_sub_nc_u32_e32 v5, v5, v6
	v_cmp_lt_u32_e32 vcc_lo, s20, v5
	v_cmpx_ge_u32_e64 s20, v5
	s_cbranch_execz .LBB1704_11
; %bb.10:
	v_add_nc_u32_e32 v5, s22, v23
	v_add_nc_u32_e32 v6, s38, v23
	s_delay_alu instid0(VALU_DEP_2) | instskip(NEXT) | instid1(VALU_DEP_2)
	v_mul_lo_u32 v5, v5, s21
	v_mul_lo_u32 v6, v6, s23
	s_delay_alu instid0(VALU_DEP_1) | instskip(NEXT) | instid1(VALU_DEP_1)
	v_sub_nc_u32_e32 v5, v5, v6
	v_cmp_lt_u32_e64 s0, s39, v5
	s_and_b32 s40, s0, exec_lo
.LBB1704_11:
	s_wait_alu 0xfffe
	s_or_b32 exec_lo, exec_lo, s1
	v_add_nc_u32_e32 v5, s17, v24
	v_add_nc_u32_e32 v6, s19, v24
	s_mov_b32 s3, exec_lo
	s_delay_alu instid0(VALU_DEP_2) | instskip(NEXT) | instid1(VALU_DEP_2)
	v_mul_lo_u32 v5, v5, s16
	v_mul_lo_u32 v6, v6, s18
	s_delay_alu instid0(VALU_DEP_1) | instskip(NEXT) | instid1(VALU_DEP_1)
	v_sub_nc_u32_e32 v5, v5, v6
	v_cmp_lt_u32_e64 s0, s20, v5
	v_cmpx_ge_u32_e64 s20, v5
	s_cbranch_execz .LBB1704_13
; %bb.12:
	v_add_nc_u32_e32 v5, s22, v24
	v_add_nc_u32_e32 v6, s38, v24
	s_delay_alu instid0(VALU_DEP_2) | instskip(NEXT) | instid1(VALU_DEP_2)
	v_mul_lo_u32 v5, v5, s21
	v_mul_lo_u32 v6, v6, s23
	s_delay_alu instid0(VALU_DEP_1) | instskip(NEXT) | instid1(VALU_DEP_1)
	v_sub_nc_u32_e32 v5, v5, v6
	v_cmp_lt_u32_e64 s1, s39, v5
	s_and_b32 s41, s1, exec_lo
.LBB1704_13:
	s_wait_alu 0xfffe
	s_or_b32 exec_lo, exec_lo, s3
	v_add_nc_u32_e32 v5, s17, v21
	v_add_nc_u32_e32 v6, s19, v21
	s_mov_b32 s43, 0
	s_mov_b32 s42, 0
	s_mov_b32 s4, exec_lo
	v_mul_lo_u32 v5, v5, s16
	v_mul_lo_u32 v6, v6, s18
	s_delay_alu instid0(VALU_DEP_1) | instskip(NEXT) | instid1(VALU_DEP_1)
	v_sub_nc_u32_e32 v5, v5, v6
	v_cmp_lt_u32_e64 s1, s20, v5
	v_cmpx_ge_u32_e64 s20, v5
	s_cbranch_execz .LBB1704_15
; %bb.14:
	v_add_nc_u32_e32 v5, s22, v21
	v_add_nc_u32_e32 v6, s38, v21
	s_delay_alu instid0(VALU_DEP_2) | instskip(NEXT) | instid1(VALU_DEP_2)
	v_mul_lo_u32 v5, v5, s21
	v_mul_lo_u32 v6, v6, s23
	s_delay_alu instid0(VALU_DEP_1) | instskip(NEXT) | instid1(VALU_DEP_1)
	v_sub_nc_u32_e32 v5, v5, v6
	v_cmp_lt_u32_e64 s3, s39, v5
	s_and_b32 s42, s3, exec_lo
.LBB1704_15:
	s_wait_alu 0xfffe
	s_or_b32 exec_lo, exec_lo, s4
	v_add_nc_u32_e32 v5, s17, v22
	v_add_nc_u32_e32 v6, s19, v22
	s_mov_b32 s5, exec_lo
	s_delay_alu instid0(VALU_DEP_2) | instskip(NEXT) | instid1(VALU_DEP_2)
	v_mul_lo_u32 v5, v5, s16
	v_mul_lo_u32 v6, v6, s18
	s_delay_alu instid0(VALU_DEP_1) | instskip(NEXT) | instid1(VALU_DEP_1)
	v_sub_nc_u32_e32 v5, v5, v6
	v_cmp_lt_u32_e64 s3, s20, v5
	v_cmpx_ge_u32_e64 s20, v5
	s_cbranch_execz .LBB1704_17
; %bb.16:
	v_add_nc_u32_e32 v5, s22, v22
	v_add_nc_u32_e32 v6, s38, v22
	s_delay_alu instid0(VALU_DEP_2) | instskip(NEXT) | instid1(VALU_DEP_2)
	v_mul_lo_u32 v5, v5, s21
	v_mul_lo_u32 v6, v6, s23
	s_delay_alu instid0(VALU_DEP_1) | instskip(NEXT) | instid1(VALU_DEP_1)
	v_sub_nc_u32_e32 v5, v5, v6
	v_cmp_lt_u32_e64 s4, s39, v5
	s_and_b32 s43, s4, exec_lo
.LBB1704_17:
	s_wait_alu 0xfffe
	s_or_b32 exec_lo, exec_lo, s5
	v_add_nc_u32_e32 v5, s17, v19
	v_add_nc_u32_e32 v6, s19, v19
	s_mov_b32 s45, 0
	s_mov_b32 s44, 0
	s_mov_b32 s6, exec_lo
	v_mul_lo_u32 v5, v5, s16
	v_mul_lo_u32 v6, v6, s18
	s_delay_alu instid0(VALU_DEP_1) | instskip(NEXT) | instid1(VALU_DEP_1)
	v_sub_nc_u32_e32 v5, v5, v6
	v_cmp_lt_u32_e64 s4, s20, v5
	;; [unrolled: 49-line block ×3, first 2 shown]
	v_cmpx_ge_u32_e64 s20, v5
	s_cbranch_execz .LBB1704_23
; %bb.22:
	v_add_nc_u32_e32 v5, s22, v17
	v_add_nc_u32_e32 v6, s38, v17
	s_delay_alu instid0(VALU_DEP_2) | instskip(NEXT) | instid1(VALU_DEP_2)
	v_mul_lo_u32 v5, v5, s21
	v_mul_lo_u32 v6, v6, s23
	s_delay_alu instid0(VALU_DEP_1) | instskip(NEXT) | instid1(VALU_DEP_1)
	v_sub_nc_u32_e32 v5, v5, v6
	v_cmp_lt_u32_e64 s7, s39, v5
	s_and_b32 s46, s7, exec_lo
.LBB1704_23:
	s_or_b32 exec_lo, exec_lo, s8
	v_add_nc_u32_e32 v5, s17, v18
	v_add_nc_u32_e32 v6, s19, v18
	s_mov_b32 s9, exec_lo
	s_delay_alu instid0(VALU_DEP_2) | instskip(NEXT) | instid1(VALU_DEP_2)
	v_mul_lo_u32 v5, v5, s16
	v_mul_lo_u32 v6, v6, s18
	s_delay_alu instid0(VALU_DEP_1) | instskip(NEXT) | instid1(VALU_DEP_1)
	v_sub_nc_u32_e32 v5, v5, v6
	v_cmp_lt_u32_e64 s7, s20, v5
	v_cmpx_ge_u32_e64 s20, v5
	s_cbranch_execz .LBB1704_25
; %bb.24:
	v_add_nc_u32_e32 v5, s22, v18
	v_add_nc_u32_e32 v6, s38, v18
	s_delay_alu instid0(VALU_DEP_2) | instskip(NEXT) | instid1(VALU_DEP_2)
	v_mul_lo_u32 v5, v5, s21
	v_mul_lo_u32 v6, v6, s23
	s_delay_alu instid0(VALU_DEP_1) | instskip(NEXT) | instid1(VALU_DEP_1)
	v_sub_nc_u32_e32 v5, v5, v6
	v_cmp_lt_u32_e64 s8, s39, v5
	s_and_b32 s47, s8, exec_lo
.LBB1704_25:
	s_or_b32 exec_lo, exec_lo, s9
	v_add_nc_u32_e32 v5, s17, v15
	v_add_nc_u32_e32 v6, s19, v15
	s_mov_b32 s50, 0
	s_mov_b32 s49, 0
	s_mov_b32 s10, exec_lo
	v_mul_lo_u32 v5, v5, s16
	v_mul_lo_u32 v6, v6, s18
	s_delay_alu instid0(VALU_DEP_1) | instskip(NEXT) | instid1(VALU_DEP_1)
	v_sub_nc_u32_e32 v5, v5, v6
	v_cmp_lt_u32_e64 s8, s20, v5
	v_cmpx_ge_u32_e64 s20, v5
	s_cbranch_execz .LBB1704_27
; %bb.26:
	v_add_nc_u32_e32 v5, s22, v15
	v_add_nc_u32_e32 v6, s38, v15
	s_delay_alu instid0(VALU_DEP_2) | instskip(NEXT) | instid1(VALU_DEP_2)
	v_mul_lo_u32 v5, v5, s21
	v_mul_lo_u32 v6, v6, s23
	s_delay_alu instid0(VALU_DEP_1) | instskip(NEXT) | instid1(VALU_DEP_1)
	v_sub_nc_u32_e32 v5, v5, v6
	v_cmp_lt_u32_e64 s9, s39, v5
	s_and_b32 s49, s9, exec_lo
.LBB1704_27:
	s_or_b32 exec_lo, exec_lo, s10
	v_add_nc_u32_e32 v5, s17, v16
	v_add_nc_u32_e32 v6, s19, v16
	s_mov_b32 s11, exec_lo
	s_delay_alu instid0(VALU_DEP_2) | instskip(NEXT) | instid1(VALU_DEP_2)
	v_mul_lo_u32 v5, v5, s16
	v_mul_lo_u32 v6, v6, s18
	s_delay_alu instid0(VALU_DEP_1) | instskip(NEXT) | instid1(VALU_DEP_1)
	v_sub_nc_u32_e32 v5, v5, v6
	v_cmp_lt_u32_e64 s9, s20, v5
	v_cmpx_ge_u32_e64 s20, v5
	s_cbranch_execz .LBB1704_29
; %bb.28:
	v_add_nc_u32_e32 v5, s22, v16
	v_add_nc_u32_e32 v6, s38, v16
	s_delay_alu instid0(VALU_DEP_2) | instskip(NEXT) | instid1(VALU_DEP_2)
	v_mul_lo_u32 v5, v5, s21
	v_mul_lo_u32 v6, v6, s23
	s_delay_alu instid0(VALU_DEP_1) | instskip(NEXT) | instid1(VALU_DEP_1)
	v_sub_nc_u32_e32 v5, v5, v6
	v_cmp_lt_u32_e64 s10, s39, v5
	s_and_b32 s50, s10, exec_lo
.LBB1704_29:
	s_or_b32 exec_lo, exec_lo, s11
	v_add_nc_u32_e32 v5, s17, v13
	v_add_nc_u32_e32 v6, s19, v13
	s_mov_b32 s51, 0
	s_mov_b32 s52, 0
	s_mov_b32 s12, exec_lo
	v_mul_lo_u32 v5, v5, s16
	v_mul_lo_u32 v6, v6, s18
	s_delay_alu instid0(VALU_DEP_1) | instskip(NEXT) | instid1(VALU_DEP_1)
	v_sub_nc_u32_e32 v5, v5, v6
	v_cmp_lt_u32_e64 s10, s20, v5
	v_cmpx_ge_u32_e64 s20, v5
	s_cbranch_execz .LBB1704_31
; %bb.30:
	v_add_nc_u32_e32 v5, s22, v13
	v_add_nc_u32_e32 v6, s38, v13
	s_delay_alu instid0(VALU_DEP_2) | instskip(NEXT) | instid1(VALU_DEP_2)
	v_mul_lo_u32 v5, v5, s21
	v_mul_lo_u32 v6, v6, s23
	s_delay_alu instid0(VALU_DEP_1) | instskip(NEXT) | instid1(VALU_DEP_1)
	v_sub_nc_u32_e32 v5, v5, v6
	v_cmp_lt_u32_e64 s11, s39, v5
	s_and_b32 s52, s11, exec_lo
.LBB1704_31:
	s_or_b32 exec_lo, exec_lo, s12
	v_add_nc_u32_e32 v5, s17, v14
	v_add_nc_u32_e32 v6, s19, v14
	s_mov_b32 s13, exec_lo
	s_delay_alu instid0(VALU_DEP_2) | instskip(NEXT) | instid1(VALU_DEP_2)
	v_mul_lo_u32 v5, v5, s16
	v_mul_lo_u32 v6, v6, s18
	s_delay_alu instid0(VALU_DEP_1) | instskip(NEXT) | instid1(VALU_DEP_1)
	v_sub_nc_u32_e32 v5, v5, v6
	v_cmp_lt_u32_e64 s12, s20, v5
	v_cmpx_ge_u32_e64 s20, v5
	s_cbranch_execz .LBB1704_33
; %bb.32:
	v_add_nc_u32_e32 v5, s22, v14
	v_add_nc_u32_e32 v6, s38, v14
	s_delay_alu instid0(VALU_DEP_2) | instskip(NEXT) | instid1(VALU_DEP_2)
	v_mul_lo_u32 v5, v5, s21
	v_mul_lo_u32 v6, v6, s23
	s_delay_alu instid0(VALU_DEP_1) | instskip(NEXT) | instid1(VALU_DEP_1)
	v_sub_nc_u32_e32 v5, v5, v6
	v_cmp_lt_u32_e64 s11, s39, v5
	s_and_b32 s51, s11, exec_lo
.LBB1704_33:
	s_or_b32 exec_lo, exec_lo, s13
	v_add_nc_u32_e32 v5, s17, v45
	v_add_nc_u32_e32 v6, s19, v45
	s_mov_b32 s48, 0
	s_mov_b32 s53, 0
	s_mov_b32 s54, exec_lo
	v_mul_lo_u32 v5, v5, s16
	v_mul_lo_u32 v6, v6, s18
	s_delay_alu instid0(VALU_DEP_1) | instskip(NEXT) | instid1(VALU_DEP_1)
	v_sub_nc_u32_e32 v5, v5, v6
	v_cmp_lt_u32_e64 s11, s20, v5
	v_cmpx_ge_u32_e64 s20, v5
	s_cbranch_execz .LBB1704_35
; %bb.34:
	v_add_nc_u32_e32 v5, s22, v45
	v_add_nc_u32_e32 v6, s38, v45
	s_delay_alu instid0(VALU_DEP_2) | instskip(NEXT) | instid1(VALU_DEP_2)
	v_mul_lo_u32 v5, v5, s21
	v_mul_lo_u32 v6, v6, s23
	s_delay_alu instid0(VALU_DEP_1) | instskip(NEXT) | instid1(VALU_DEP_1)
	v_sub_nc_u32_e32 v5, v5, v6
	v_cmp_lt_u32_e64 s13, s39, v5
	s_and_b32 s53, s13, exec_lo
.LBB1704_35:
	s_or_b32 exec_lo, exec_lo, s54
	v_cndmask_b32_e64 v6, 0, 1, s0
	v_cndmask_b32_e64 v8, 0, 1, s3
	s_wait_alu 0xfffd
	v_cndmask_b32_e64 v5, 0, 1, vcc_lo
	v_cndmask_b32_e64 v7, 0, 1, s1
	v_cndmask_b32_e64 v10, 0, 1, s5
	v_lshlrev_b16 v6, 8, v6
	v_lshlrev_b16 v8, 8, v8
	s_wait_alu 0xf1ff
	v_cndmask_b32_e64 v12, 0, 1, s7
	v_cndmask_b32_e64 v26, 0, 1, s9
	;; [unrolled: 1-line block ×3, first 2 shown]
	v_or_b32_e32 v5, v5, v6
	v_or_b32_e32 v6, v7, v8
	v_cndmask_b32_e64 v56, 0, 1, s40
	v_cndmask_b32_e64 v9, 0, 1, s4
	;; [unrolled: 1-line block ×3, first 2 shown]
	v_and_b32_e32 v5, 0xffff, v5
	v_lshlrev_b32_e32 v6, 16, v6
	v_cndmask_b32_e64 v25, 0, 1, s8
	v_cndmask_b32_e64 v27, 0, 1, s10
	;; [unrolled: 1-line block ×8, first 2 shown]
	v_or_b32_e32 v47, v5, v6
	v_lshlrev_b16 v5, 8, v10
	v_lshlrev_b16 v6, 8, v12
	;; [unrolled: 1-line block ×5, first 2 shown]
	v_cndmask_b32_e64 v30, 0, 1, s50
	v_cndmask_b32_e64 v49, 0, 1, s47
	;; [unrolled: 1-line block ×5, first 2 shown]
	v_or_b32_e32 v5, v9, v5
	v_or_b32_e32 v6, v11, v6
	;; [unrolled: 1-line block ×5, first 2 shown]
	v_lshlrev_b16 v8, 8, v8
	v_lshlrev_b16 v12, 8, v54
	;; [unrolled: 1-line block ×5, first 2 shown]
	v_or_b32_e32 v8, v55, v8
	v_or_b32_e32 v7, v7, v12
	;; [unrolled: 1-line block ×5, first 2 shown]
	v_and_b32_e32 v5, 0xffff, v5
	v_lshlrev_b32_e32 v6, 16, v6
	v_and_b32_e32 v9, 0xffff, v9
	v_lshlrev_b32_e32 v10, 16, v10
	;; [unrolled: 2-line block ×5, first 2 shown]
	v_cndmask_b32_e64 v50, 0, 1, s51
	v_cndmask_b32_e64 v53, 0, 1, s53
	v_or_b32_e32 v49, v5, v6
	v_or_b32_e32 v52, v9, v10
	;; [unrolled: 1-line block ×5, first 2 shown]
	s_and_b32 vcc_lo, exec_lo, s48
	s_wait_alu 0xfffe
	s_cbranch_vccnz .LBB1704_37
	s_branch .LBB1704_114
.LBB1704_36:
                                        ; implicit-def: $vgpr53
                                        ; implicit-def: $vgpr50
                                        ; implicit-def: $vgpr51
                                        ; implicit-def: $vgpr48
                                        ; implicit-def: $vgpr54
                                        ; implicit-def: $vgpr52
                                        ; implicit-def: $vgpr49
                                        ; implicit-def: $vgpr47
	s_cbranch_execz .LBB1704_114
.LBB1704_37:
	v_dual_mov_b32 v6, 0 :: v_dual_mov_b32 v5, 0
	s_mov_b32 s1, exec_lo
	v_cmpx_gt_u32_e64 s27, v46
	s_cbranch_execz .LBB1704_41
; %bb.38:
	v_add_nc_u32_e32 v5, s17, v23
	v_add_nc_u32_e32 v6, s19, v23
	s_mov_b32 s4, 0
	s_mov_b32 s3, exec_lo
	s_delay_alu instid0(VALU_DEP_2) | instskip(NEXT) | instid1(VALU_DEP_2)
	v_mul_lo_u32 v5, v5, s16
	v_mul_lo_u32 v6, v6, s18
	s_delay_alu instid0(VALU_DEP_1) | instskip(NEXT) | instid1(VALU_DEP_1)
	v_sub_nc_u32_e32 v5, v5, v6
	v_cmp_lt_u32_e32 vcc_lo, s20, v5
	v_cmpx_ge_u32_e64 s20, v5
	s_cbranch_execz .LBB1704_40
; %bb.39:
	v_add_nc_u32_e32 v5, s22, v23
	v_add_nc_u32_e32 v6, s38, v23
	s_delay_alu instid0(VALU_DEP_2) | instskip(NEXT) | instid1(VALU_DEP_2)
	v_mul_lo_u32 v5, v5, s21
	v_mul_lo_u32 v6, v6, s23
	s_delay_alu instid0(VALU_DEP_1) | instskip(NEXT) | instid1(VALU_DEP_1)
	v_sub_nc_u32_e32 v5, v5, v6
	v_cmp_lt_u32_e64 s0, s39, v5
	s_and_b32 s4, s0, exec_lo
.LBB1704_40:
	s_wait_alu 0xfffe
	s_or_b32 exec_lo, exec_lo, s3
	v_cndmask_b32_e64 v6, 0, 1, s4
	s_wait_alu 0xfffd
	v_cndmask_b32_e64 v5, 0, 1, vcc_lo
.LBB1704_41:
	s_wait_alu 0xfffe
	s_or_b32 exec_lo, exec_lo, s1
	v_lshlrev_b16 v6, 8, v6
	v_add_nc_u32_e32 v7, 1, v46
	v_and_b32_e32 v10, 0xff, v5
	v_lshlrev_b16 v5, 8, 0
                                        ; implicit-def: $vgpr9
                                        ; implicit-def: $vgpr12
                                        ; implicit-def: $vgpr8
	s_delay_alu instid0(VALU_DEP_4) | instskip(NEXT) | instid1(VALU_DEP_4)
	v_and_b32_e32 v6, 0xffff, v6
	v_cmp_le_u32_e32 vcc_lo, s27, v7
                                        ; implicit-def: $vgpr7
	s_delay_alu instid0(VALU_DEP_2)
	v_lshrrev_b32_e32 v25, 8, v6
	v_and_b32_e32 v11, 0xff, v6
                                        ; implicit-def: $vgpr6
	s_and_saveexec_b32 s0, vcc_lo
	s_wait_alu 0xfffe
	s_xor_b32 s0, exec_lo, s0
	s_cbranch_execz .LBB1704_43
; %bb.42:
	v_lshlrev_b16 v6, 8, v25
	v_and_b32_e32 v8, 0xffff, v5
                                        ; implicit-def: $vgpr25
	v_mov_b32_e32 v9, 0
	s_delay_alu instid0(VALU_DEP_3) | instskip(SKIP_1) | instid1(VALU_DEP_2)
	v_or_b32_e32 v7, v11, v6
	v_mov_b32_e32 v6, 0
                                        ; implicit-def: $vgpr11
	v_and_b32_e32 v12, 0xffff, v7
	v_and_b32_e32 v7, 0xffff, v5
                                        ; implicit-def: $vgpr5
.LBB1704_43:
	s_wait_alu 0xfffe
	s_and_not1_saveexec_b32 s1, s0
	s_cbranch_execz .LBB1704_47
; %bb.44:
	v_add_nc_u32_e32 v6, s17, v24
	v_add_nc_u32_e32 v7, s19, v24
	s_mov_b32 s3, 0
	s_mov_b32 s4, exec_lo
	s_delay_alu instid0(VALU_DEP_2) | instskip(NEXT) | instid1(VALU_DEP_2)
	v_mul_lo_u32 v6, v6, s16
	v_mul_lo_u32 v7, v7, s18
	s_delay_alu instid0(VALU_DEP_1) | instskip(NEXT) | instid1(VALU_DEP_1)
	v_sub_nc_u32_e32 v6, v6, v7
	v_cmp_lt_u32_e32 vcc_lo, s20, v6
	v_cmpx_ge_u32_e64 s20, v6
	s_cbranch_execz .LBB1704_46
; %bb.45:
	v_add_nc_u32_e32 v6, s22, v24
	v_add_nc_u32_e32 v7, s38, v24
	s_delay_alu instid0(VALU_DEP_2) | instskip(NEXT) | instid1(VALU_DEP_2)
	v_mul_lo_u32 v6, v6, s21
	v_mul_lo_u32 v7, v7, s23
	s_delay_alu instid0(VALU_DEP_1) | instskip(NEXT) | instid1(VALU_DEP_1)
	v_sub_nc_u32_e32 v6, v6, v7
	v_cmp_lt_u32_e64 s0, s39, v6
	s_and_b32 s3, s0, exec_lo
.LBB1704_46:
	s_wait_alu 0xfffe
	s_or_b32 exec_lo, exec_lo, s4
	s_wait_alu 0xfffd
	v_cndmask_b32_e64 v6, 0, 1, vcc_lo
	v_lshlrev_b16 v7, 8, v25
	v_dual_mov_b32 v9, 0 :: v_dual_and_b32 v8, 0xffff, v5
	s_delay_alu instid0(VALU_DEP_3) | instskip(NEXT) | instid1(VALU_DEP_3)
	v_lshlrev_b16 v6, 8, v6
	v_or_b32_e32 v7, v11, v7
	v_cndmask_b32_e64 v11, 0, 1, s3
	s_delay_alu instid0(VALU_DEP_3) | instskip(NEXT) | instid1(VALU_DEP_3)
	v_or_b32_e32 v10, v10, v6
	v_dual_mov_b32 v6, 0 :: v_dual_and_b32 v7, 0xffff, v7
	s_delay_alu instid0(VALU_DEP_2) | instskip(NEXT) | instid1(VALU_DEP_2)
	v_and_b32_e32 v10, 0xffff, v10
	v_lshl_or_b32 v12, v11, 16, v7
	v_and_b32_e32 v7, 0xffff, v5
.LBB1704_47:
	s_wait_alu 0xfffe
	s_or_b32 exec_lo, exec_lo, s1
	v_add_nc_u32_e32 v5, 2, v46
	v_and_b32_e32 v25, 0xff, v10
	v_lshrrev_b32_e32 v26, 8, v10
                                        ; implicit-def: $vgpr11
	s_delay_alu instid0(VALU_DEP_3)
	v_cmp_le_u32_e32 vcc_lo, s27, v5
                                        ; implicit-def: $vgpr5
	s_and_saveexec_b32 s0, vcc_lo
	s_wait_alu 0xfffe
	s_xor_b32 s0, exec_lo, s0
	s_cbranch_execz .LBB1704_49
; %bb.48:
	v_lshlrev_b16 v5, 8, v26
	v_perm_b32 v8, v8, v8, 0x3060504
                                        ; implicit-def: $vgpr26
	s_delay_alu instid0(VALU_DEP_2) | instskip(SKIP_1) | instid1(VALU_DEP_2)
	v_or_b32_e32 v5, v25, v5
	v_and_b32_e32 v25, 0xff0000, v12
	v_and_b32_e32 v5, 0xffff, v5
	s_delay_alu instid0(VALU_DEP_1) | instskip(NEXT) | instid1(VALU_DEP_3)
	v_and_or_b32 v11, 0xff000000, v10, v5
	v_perm_b32 v5, v12, v25, 0x3020504
                                        ; implicit-def: $vgpr25
                                        ; implicit-def: $vgpr10
                                        ; implicit-def: $vgpr12
.LBB1704_49:
	s_wait_alu 0xfffe
	s_and_not1_saveexec_b32 s1, s0
	s_cbranch_execz .LBB1704_53
; %bb.50:
	v_add_nc_u32_e32 v5, s17, v21
	v_add_nc_u32_e32 v11, s19, v21
	s_mov_b32 s3, 0
	s_mov_b32 s4, exec_lo
	s_delay_alu instid0(VALU_DEP_2) | instskip(NEXT) | instid1(VALU_DEP_2)
	v_mul_lo_u32 v5, v5, s16
	v_mul_lo_u32 v11, v11, s18
	s_delay_alu instid0(VALU_DEP_1) | instskip(NEXT) | instid1(VALU_DEP_1)
	v_sub_nc_u32_e32 v5, v5, v11
	v_cmp_lt_u32_e32 vcc_lo, s20, v5
	v_cmpx_ge_u32_e64 s20, v5
	s_cbranch_execz .LBB1704_52
; %bb.51:
	v_add_nc_u32_e32 v5, s22, v21
	v_add_nc_u32_e32 v11, s38, v21
	s_delay_alu instid0(VALU_DEP_2) | instskip(NEXT) | instid1(VALU_DEP_2)
	v_mul_lo_u32 v5, v5, s21
	v_mul_lo_u32 v11, v11, s23
	s_delay_alu instid0(VALU_DEP_1) | instskip(NEXT) | instid1(VALU_DEP_1)
	v_sub_nc_u32_e32 v5, v5, v11
	v_cmp_lt_u32_e64 s0, s39, v5
	s_and_b32 s3, s0, exec_lo
.LBB1704_52:
	s_wait_alu 0xfffe
	s_or_b32 exec_lo, exec_lo, s4
	v_lshrrev_b32_e32 v10, 24, v10
	v_cndmask_b32_e64 v11, 0, 1, s3
	v_lshrrev_b32_e32 v27, 8, v12
	v_lshrrev_b32_e32 v28, 16, v12
	s_wait_alu 0xfffd
	v_cndmask_b32_e64 v5, 0, 1, vcc_lo
	v_lshlrev_b16 v26, 8, v26
	v_lshlrev_b16 v10, 8, v10
	v_and_b32_e32 v12, 0xff, v12
	v_lshlrev_b16 v27, 8, v27
	v_lshlrev_b16 v11, 8, v11
	v_and_b32_e32 v28, 0xff, v28
	v_or_b32_e32 v25, v25, v26
	v_or_b32_e32 v5, v5, v10
	;; [unrolled: 1-line block ×3, first 2 shown]
	s_delay_alu instid0(VALU_DEP_4) | instskip(NEXT) | instid1(VALU_DEP_4)
	v_or_b32_e32 v11, v28, v11
	v_and_b32_e32 v12, 0xffff, v25
	s_delay_alu instid0(VALU_DEP_4) | instskip(NEXT) | instid1(VALU_DEP_4)
	v_lshlrev_b32_e32 v5, 16, v5
	v_and_b32_e32 v10, 0xffff, v10
	s_delay_alu instid0(VALU_DEP_4) | instskip(NEXT) | instid1(VALU_DEP_3)
	v_lshlrev_b32_e32 v25, 16, v11
	v_or_b32_e32 v11, v12, v5
	s_delay_alu instid0(VALU_DEP_2)
	v_or_b32_e32 v5, v10, v25
.LBB1704_53:
	s_wait_alu 0xfffe
	s_or_b32 exec_lo, exec_lo, s1
	v_add_nc_u32_e32 v10, 3, v46
	v_lshrrev_b32_e32 v12, 24, v9
	v_lshrrev_b32_e32 v25, 16, v9
	;; [unrolled: 1-line block ×3, first 2 shown]
                                        ; implicit-def: $vgpr47
	s_delay_alu instid0(VALU_DEP_4)
	v_cmp_le_u32_e32 vcc_lo, s27, v10
                                        ; implicit-def: $vgpr10
	s_and_saveexec_b32 s0, vcc_lo
	s_wait_alu 0xfffe
	s_xor_b32 s0, exec_lo, s0
	s_cbranch_execz .LBB1704_55
; %bb.54:
	v_lshlrev_b16 v10, 8, v12
	v_and_b32_e32 v12, 0xff, v25
	v_lshlrev_b16 v9, 8, v9
	v_perm_b32 v8, v8, v8, 0x3060504
	v_perm_b32 v7, v7, v7, 0x3060504
                                        ; implicit-def: $vgpr25
	s_delay_alu instid0(VALU_DEP_4) | instskip(SKIP_2) | instid1(VALU_DEP_3)
	v_or_b32_e32 v10, v12, v10
	v_and_b32_e32 v12, 0xff0000, v11
	v_and_b32_e32 v9, 0xffff, v9
	v_lshlrev_b32_e32 v10, 16, v10
	s_delay_alu instid0(VALU_DEP_3) | instskip(NEXT) | instid1(VALU_DEP_2)
	v_perm_b32 v47, v11, v12, 0x3020504
                                        ; implicit-def: $vgpr11
                                        ; implicit-def: $vgpr12
	v_or_b32_e32 v10, v9, v10
                                        ; implicit-def: $vgpr9
.LBB1704_55:
	s_wait_alu 0xfffe
	s_and_not1_saveexec_b32 s1, s0
	s_cbranch_execz .LBB1704_59
; %bb.56:
	v_add_nc_u32_e32 v10, s17, v22
	v_add_nc_u32_e32 v26, s19, v22
	s_mov_b32 s3, 0
	s_mov_b32 s4, exec_lo
	s_delay_alu instid0(VALU_DEP_2) | instskip(NEXT) | instid1(VALU_DEP_2)
	v_mul_lo_u32 v10, v10, s16
	v_mul_lo_u32 v26, v26, s18
	s_delay_alu instid0(VALU_DEP_1) | instskip(NEXT) | instid1(VALU_DEP_1)
	v_sub_nc_u32_e32 v10, v10, v26
	v_cmp_lt_u32_e32 vcc_lo, s20, v10
	v_cmpx_ge_u32_e64 s20, v10
	s_cbranch_execz .LBB1704_58
; %bb.57:
	v_add_nc_u32_e32 v10, s22, v22
	v_add_nc_u32_e32 v26, s38, v22
	s_delay_alu instid0(VALU_DEP_2) | instskip(NEXT) | instid1(VALU_DEP_2)
	v_mul_lo_u32 v10, v10, s21
	v_mul_lo_u32 v26, v26, s23
	s_delay_alu instid0(VALU_DEP_1) | instskip(NEXT) | instid1(VALU_DEP_1)
	v_sub_nc_u32_e32 v10, v10, v26
	v_cmp_lt_u32_e64 s0, s39, v10
	s_and_b32 s3, s0, exec_lo
.LBB1704_58:
	s_wait_alu 0xfffe
	s_or_b32 exec_lo, exec_lo, s4
	v_lshrrev_b32_e32 v10, 8, v11
	s_wait_alu 0xfffd
	v_cndmask_b32_e64 v26, 0, 1, vcc_lo
	v_lshrrev_b32_e32 v27, 16, v11
	v_cndmask_b32_e64 v28, 0, 1, s3
	v_and_b32_e32 v11, 0xff, v11
	v_lshlrev_b16 v10, 8, v10
	v_lshlrev_b16 v26, 8, v26
	v_and_b32_e32 v27, 0xff, v27
	v_lshlrev_b16 v12, 8, v12
	v_and_b32_e32 v25, 0xff, v25
	v_lshlrev_b16 v9, 8, v9
	v_or_b32_e32 v10, v11, v10
	v_or_b32_e32 v11, v27, v26
	s_delay_alu instid0(VALU_DEP_4) | instskip(NEXT) | instid1(VALU_DEP_4)
	v_or_b32_e32 v12, v25, v12
	v_or_b32_e32 v9, v28, v9
	s_delay_alu instid0(VALU_DEP_4) | instskip(NEXT) | instid1(VALU_DEP_4)
	v_and_b32_e32 v10, 0xffff, v10
	v_lshlrev_b32_e32 v11, 16, v11
	s_delay_alu instid0(VALU_DEP_4) | instskip(NEXT) | instid1(VALU_DEP_4)
	v_lshlrev_b32_e32 v12, 16, v12
	v_and_b32_e32 v9, 0xffff, v9
	s_delay_alu instid0(VALU_DEP_3) | instskip(NEXT) | instid1(VALU_DEP_2)
	v_or_b32_e32 v47, v10, v11
	v_or_b32_e32 v10, v9, v12
.LBB1704_59:
	s_wait_alu 0xfffe
	s_or_b32 exec_lo, exec_lo, s1
	v_add_nc_u32_e32 v9, 4, v46
	v_lshrrev_b32_e32 v25, 8, v8
	v_lshrrev_b32_e32 v26, 16, v8
	;; [unrolled: 1-line block ×4, first 2 shown]
	v_cmp_le_u32_e32 vcc_lo, s27, v9
	v_lshrrev_b32_e32 v12, 16, v10
                                        ; implicit-def: $vgpr8
                                        ; implicit-def: $vgpr9
	s_and_saveexec_b32 s0, vcc_lo
	s_wait_alu 0xfffe
	s_xor_b32 s0, exec_lo, s0
	s_cbranch_execz .LBB1704_61
; %bb.60:
	v_lshlrev_b16 v8, 8, v27
	v_and_b32_e32 v9, 0xff, v26
	v_lshlrev_b16 v25, 8, v25
	v_lshlrev_b16 v11, 8, v11
	v_and_b32_e32 v12, 0xff, v12
	v_perm_b32 v7, v7, v7, 0x3060504
	v_or_b32_e32 v8, v9, v8
	v_and_b32_e32 v9, 0xffff, v25
                                        ; implicit-def: $vgpr25
                                        ; implicit-def: $vgpr26
                                        ; implicit-def: $vgpr27
	s_delay_alu instid0(VALU_DEP_4) | instskip(NEXT) | instid1(VALU_DEP_3)
	v_or_b32_e32 v11, v12, v11
	v_lshlrev_b32_e32 v12, 16, v8
	s_delay_alu instid0(VALU_DEP_2) | instskip(NEXT) | instid1(VALU_DEP_2)
	v_perm_b32 v8, v11, v10, 0x5040c00
                                        ; implicit-def: $vgpr10
                                        ; implicit-def: $vgpr11
	v_or_b32_e32 v9, v9, v12
                                        ; implicit-def: $vgpr12
.LBB1704_61:
	s_wait_alu 0xfffe
	s_and_not1_saveexec_b32 s1, s0
	s_cbranch_execz .LBB1704_65
; %bb.62:
	v_add_nc_u32_e32 v8, s17, v19
	v_add_nc_u32_e32 v9, s19, v19
	s_mov_b32 s3, 0
	s_mov_b32 s4, exec_lo
	s_delay_alu instid0(VALU_DEP_2) | instskip(NEXT) | instid1(VALU_DEP_2)
	v_mul_lo_u32 v8, v8, s16
	v_mul_lo_u32 v9, v9, s18
	s_delay_alu instid0(VALU_DEP_1) | instskip(NEXT) | instid1(VALU_DEP_1)
	v_sub_nc_u32_e32 v8, v8, v9
	v_cmp_lt_u32_e32 vcc_lo, s20, v8
	v_cmpx_ge_u32_e64 s20, v8
	s_cbranch_execz .LBB1704_64
; %bb.63:
	v_add_nc_u32_e32 v8, s22, v19
	v_add_nc_u32_e32 v9, s38, v19
	s_delay_alu instid0(VALU_DEP_2) | instskip(NEXT) | instid1(VALU_DEP_2)
	v_mul_lo_u32 v8, v8, s21
	v_mul_lo_u32 v9, v9, s23
	s_delay_alu instid0(VALU_DEP_1) | instskip(NEXT) | instid1(VALU_DEP_1)
	v_sub_nc_u32_e32 v8, v8, v9
	v_cmp_lt_u32_e64 s0, s39, v8
	s_and_b32 s3, s0, exec_lo
.LBB1704_64:
	s_wait_alu 0xfffe
	s_or_b32 exec_lo, exec_lo, s4
	v_cndmask_b32_e64 v8, 0, 1, s3
	s_wait_alu 0xfffd
	v_cndmask_b32_e64 v9, 0, 1, vcc_lo
	v_lshlrev_b16 v27, 8, v27
	v_and_b32_e32 v26, 0xff, v26
	v_lshlrev_b16 v25, 8, v25
	v_lshlrev_b16 v8, 8, v8
	v_and_b32_e32 v10, 0xff, v10
	v_lshlrev_b16 v11, 8, v11
	v_and_b32_e32 v12, 0xff, v12
	v_or_b32_e32 v26, v26, v27
	v_or_b32_e32 v9, v9, v25
	;; [unrolled: 1-line block ×3, first 2 shown]
	s_delay_alu instid0(VALU_DEP_4) | instskip(NEXT) | instid1(VALU_DEP_4)
	v_or_b32_e32 v10, v12, v11
	v_lshlrev_b32_e32 v11, 16, v26
	s_delay_alu instid0(VALU_DEP_4) | instskip(NEXT) | instid1(VALU_DEP_4)
	v_and_b32_e32 v9, 0xffff, v9
	v_and_b32_e32 v8, 0xffff, v8
	s_delay_alu instid0(VALU_DEP_4) | instskip(NEXT) | instid1(VALU_DEP_3)
	v_lshlrev_b32_e32 v10, 16, v10
	v_or_b32_e32 v9, v9, v11
	s_delay_alu instid0(VALU_DEP_2)
	v_or_b32_e32 v8, v8, v10
.LBB1704_65:
	s_wait_alu 0xfffe
	s_or_b32 exec_lo, exec_lo, s1
	v_add_nc_u32_e32 v10, 5, v46
	v_lshrrev_b32_e32 v25, 16, v9
	v_lshrrev_b32_e32 v27, 24, v9
	v_and_b32_e32 v12, 0xff, v8
	v_lshrrev_b32_e32 v26, 8, v8
	v_cmp_le_u32_e32 vcc_lo, s27, v10
                                        ; implicit-def: $vgpr10
                                        ; implicit-def: $vgpr11
	s_and_saveexec_b32 s0, vcc_lo
	s_wait_alu 0xfffe
	s_xor_b32 s0, exec_lo, s0
	s_cbranch_execz .LBB1704_67
; %bb.66:
	v_lshlrev_b16 v10, 8, v26
	v_lshlrev_b16 v11, 8, v27
	v_and_b32_e32 v25, 0xff, v25
	v_perm_b32 v7, v7, v7, 0x3060504
                                        ; implicit-def: $vgpr27
                                        ; implicit-def: $vgpr26
	s_delay_alu instid0(VALU_DEP_4) | instskip(NEXT) | instid1(VALU_DEP_3)
	v_or_b32_e32 v10, v12, v10
                                        ; implicit-def: $vgpr12
	v_or_b32_e32 v11, v25, v11
                                        ; implicit-def: $vgpr25
	s_delay_alu instid0(VALU_DEP_2) | instskip(NEXT) | instid1(VALU_DEP_2)
	v_and_b32_e32 v10, 0xffff, v10
	v_perm_b32 v11, v11, v9, 0x5040c00
                                        ; implicit-def: $vgpr9
	s_delay_alu instid0(VALU_DEP_2)
	v_and_or_b32 v10, 0xff000000, v8, v10
                                        ; implicit-def: $vgpr8
.LBB1704_67:
	s_wait_alu 0xfffe
	s_and_not1_saveexec_b32 s1, s0
	s_cbranch_execz .LBB1704_71
; %bb.68:
	v_add_nc_u32_e32 v10, s17, v20
	v_add_nc_u32_e32 v11, s19, v20
	s_mov_b32 s3, 0
	s_mov_b32 s4, exec_lo
	s_delay_alu instid0(VALU_DEP_2) | instskip(NEXT) | instid1(VALU_DEP_2)
	v_mul_lo_u32 v10, v10, s16
	v_mul_lo_u32 v11, v11, s18
	s_delay_alu instid0(VALU_DEP_1) | instskip(NEXT) | instid1(VALU_DEP_1)
	v_sub_nc_u32_e32 v10, v10, v11
	v_cmp_lt_u32_e32 vcc_lo, s20, v10
	v_cmpx_ge_u32_e64 s20, v10
	s_cbranch_execz .LBB1704_70
; %bb.69:
	v_add_nc_u32_e32 v10, s22, v20
	v_add_nc_u32_e32 v11, s38, v20
	s_delay_alu instid0(VALU_DEP_2) | instskip(NEXT) | instid1(VALU_DEP_2)
	v_mul_lo_u32 v10, v10, s21
	v_mul_lo_u32 v11, v11, s23
	s_delay_alu instid0(VALU_DEP_1) | instskip(NEXT) | instid1(VALU_DEP_1)
	v_sub_nc_u32_e32 v10, v10, v11
	v_cmp_lt_u32_e64 s0, s39, v10
	s_and_b32 s3, s0, exec_lo
.LBB1704_70:
	s_wait_alu 0xfffe
	s_or_b32 exec_lo, exec_lo, s4
	s_wait_alu 0xfffd
	v_cndmask_b32_e64 v10, 0, 1, vcc_lo
	v_lshrrev_b32_e32 v8, 24, v8
	v_cndmask_b32_e64 v11, 0, 1, s3
	v_lshlrev_b16 v27, 8, v27
	v_and_b32_e32 v25, 0xff, v25
	v_lshlrev_b16 v10, 8, v10
	v_lshlrev_b16 v26, 8, v26
	v_and_b32_e32 v9, 0xff, v9
	v_lshlrev_b16 v8, 8, v8
	v_or_b32_e32 v25, v25, v27
	s_delay_alu instid0(VALU_DEP_4) | instskip(NEXT) | instid1(VALU_DEP_4)
	v_or_b32_e32 v12, v12, v26
	v_or_b32_e32 v9, v9, v10
	s_delay_alu instid0(VALU_DEP_4) | instskip(NEXT) | instid1(VALU_DEP_4)
	v_or_b32_e32 v8, v11, v8
	v_lshlrev_b32_e32 v10, 16, v25
	s_delay_alu instid0(VALU_DEP_4) | instskip(NEXT) | instid1(VALU_DEP_4)
	v_and_b32_e32 v12, 0xffff, v12
	v_and_b32_e32 v9, 0xffff, v9
	s_delay_alu instid0(VALU_DEP_4) | instskip(NEXT) | instid1(VALU_DEP_2)
	v_lshlrev_b32_e32 v8, 16, v8
	v_or_b32_e32 v11, v9, v10
	s_delay_alu instid0(VALU_DEP_2)
	v_or_b32_e32 v10, v12, v8
.LBB1704_71:
	s_wait_alu 0xfffe
	s_or_b32 exec_lo, exec_lo, s1
	v_add_nc_u32_e32 v8, 6, v46
	v_lshrrev_b32_e32 v12, 8, v11
                                        ; implicit-def: $vgpr48
                                        ; implicit-def: $vgpr9
	s_delay_alu instid0(VALU_DEP_2)
	v_cmp_le_u32_e32 vcc_lo, s27, v8
	v_and_b32_e32 v8, 0xff, v11
	s_and_saveexec_b32 s0, vcc_lo
	s_wait_alu 0xfffe
	s_xor_b32 s0, exec_lo, s0
	s_cbranch_execz .LBB1704_73
; %bb.72:
	v_lshlrev_b16 v9, 8, v12
	v_perm_b32 v7, v7, v7, 0x3060504
                                        ; implicit-def: $vgpr12
	s_delay_alu instid0(VALU_DEP_2) | instskip(SKIP_1) | instid1(VALU_DEP_2)
	v_or_b32_e32 v8, v8, v9
	v_and_b32_e32 v9, 0xff0000, v10
	v_and_b32_e32 v8, 0xffff, v8
	s_delay_alu instid0(VALU_DEP_2) | instskip(NEXT) | instid1(VALU_DEP_2)
	v_perm_b32 v48, v10, v9, 0x3020504
                                        ; implicit-def: $vgpr10
	v_and_or_b32 v9, 0xff000000, v11, v8
                                        ; implicit-def: $vgpr8
                                        ; implicit-def: $vgpr11
.LBB1704_73:
	s_wait_alu 0xfffe
	s_and_not1_saveexec_b32 s1, s0
	s_cbranch_execz .LBB1704_77
; %bb.74:
	v_add_nc_u32_e32 v9, s17, v17
	v_add_nc_u32_e32 v25, s19, v17
	s_mov_b32 s3, 0
	s_mov_b32 s4, exec_lo
	s_delay_alu instid0(VALU_DEP_2) | instskip(NEXT) | instid1(VALU_DEP_2)
	v_mul_lo_u32 v9, v9, s16
	v_mul_lo_u32 v25, v25, s18
	s_delay_alu instid0(VALU_DEP_1) | instskip(NEXT) | instid1(VALU_DEP_1)
	v_sub_nc_u32_e32 v9, v9, v25
	v_cmp_lt_u32_e32 vcc_lo, s20, v9
	v_cmpx_ge_u32_e64 s20, v9
	s_cbranch_execz .LBB1704_76
; %bb.75:
	v_add_nc_u32_e32 v9, s22, v17
	v_add_nc_u32_e32 v25, s38, v17
	s_delay_alu instid0(VALU_DEP_2) | instskip(NEXT) | instid1(VALU_DEP_2)
	v_mul_lo_u32 v9, v9, s21
	v_mul_lo_u32 v25, v25, s23
	s_delay_alu instid0(VALU_DEP_1) | instskip(NEXT) | instid1(VALU_DEP_1)
	v_sub_nc_u32_e32 v9, v9, v25
	v_cmp_lt_u32_e64 s0, s39, v9
	s_and_b32 s3, s0, exec_lo
.LBB1704_76:
	s_wait_alu 0xfffe
	s_or_b32 exec_lo, exec_lo, s4
	v_lshrrev_b32_e32 v11, 24, v11
	v_cndmask_b32_e64 v25, 0, 1, s3
	v_lshrrev_b32_e32 v26, 8, v10
	v_lshrrev_b32_e32 v27, 16, v10
	s_wait_alu 0xfffd
	v_cndmask_b32_e64 v9, 0, 1, vcc_lo
	v_lshlrev_b16 v12, 8, v12
	v_lshlrev_b16 v11, 8, v11
	v_and_b32_e32 v10, 0xff, v10
	v_lshlrev_b16 v26, 8, v26
	v_lshlrev_b16 v25, 8, v25
	v_and_b32_e32 v27, 0xff, v27
	v_or_b32_e32 v8, v8, v12
	v_or_b32_e32 v9, v9, v11
	v_or_b32_e32 v10, v10, v26
	s_delay_alu instid0(VALU_DEP_4) | instskip(NEXT) | instid1(VALU_DEP_4)
	v_or_b32_e32 v11, v27, v25
	v_and_b32_e32 v8, 0xffff, v8
	s_delay_alu instid0(VALU_DEP_4) | instskip(NEXT) | instid1(VALU_DEP_4)
	v_lshlrev_b32_e32 v9, 16, v9
	v_and_b32_e32 v10, 0xffff, v10
	s_delay_alu instid0(VALU_DEP_4) | instskip(NEXT) | instid1(VALU_DEP_3)
	v_lshlrev_b32_e32 v11, 16, v11
	v_or_b32_e32 v9, v8, v9
	s_delay_alu instid0(VALU_DEP_2)
	v_or_b32_e32 v48, v10, v11
.LBB1704_77:
	s_wait_alu 0xfffe
	s_or_b32 exec_lo, exec_lo, s1
	v_add_nc_u32_e32 v8, 7, v46
	v_lshrrev_b32_e32 v10, 8, v7
	v_lshrrev_b32_e32 v11, 16, v7
	;; [unrolled: 1-line block ×3, first 2 shown]
                                        ; implicit-def: $vgpr49
	s_delay_alu instid0(VALU_DEP_4)
	v_cmp_le_u32_e32 vcc_lo, s27, v8
                                        ; implicit-def: $vgpr8
	s_and_saveexec_b32 s0, vcc_lo
	s_wait_alu 0xfffe
	s_xor_b32 s0, exec_lo, s0
	s_cbranch_execz .LBB1704_79
; %bb.78:
	v_lshlrev_b16 v7, 8, v7
	v_and_b32_e32 v8, 0xff, v11
                                        ; implicit-def: $vgpr11
	s_delay_alu instid0(VALU_DEP_1) | instskip(SKIP_2) | instid1(VALU_DEP_3)
	v_or_b32_e32 v7, v8, v7
	v_lshlrev_b16 v8, 8, v10
	v_and_b32_e32 v10, 0xff0000, v9
	v_lshlrev_b32_e32 v7, 16, v7
	s_delay_alu instid0(VALU_DEP_3) | instskip(NEXT) | instid1(VALU_DEP_3)
	v_and_b32_e32 v8, 0xffff, v8
	v_perm_b32 v49, v9, v10, 0x3020504
                                        ; implicit-def: $vgpr9
                                        ; implicit-def: $vgpr10
	s_delay_alu instid0(VALU_DEP_2)
	v_or_b32_e32 v8, v8, v7
                                        ; implicit-def: $vgpr7
.LBB1704_79:
	s_wait_alu 0xfffe
	s_and_not1_saveexec_b32 s1, s0
	s_cbranch_execz .LBB1704_83
; %bb.80:
	v_add_nc_u32_e32 v8, s17, v18
	v_add_nc_u32_e32 v12, s19, v18
	s_mov_b32 s3, 0
	s_mov_b32 s4, exec_lo
	s_delay_alu instid0(VALU_DEP_2) | instskip(NEXT) | instid1(VALU_DEP_2)
	v_mul_lo_u32 v8, v8, s16
	v_mul_lo_u32 v12, v12, s18
	s_delay_alu instid0(VALU_DEP_1) | instskip(NEXT) | instid1(VALU_DEP_1)
	v_sub_nc_u32_e32 v8, v8, v12
	v_cmp_lt_u32_e32 vcc_lo, s20, v8
	v_cmpx_ge_u32_e64 s20, v8
	s_cbranch_execz .LBB1704_82
; %bb.81:
	v_add_nc_u32_e32 v8, s22, v18
	v_add_nc_u32_e32 v12, s38, v18
	s_delay_alu instid0(VALU_DEP_2) | instskip(NEXT) | instid1(VALU_DEP_2)
	v_mul_lo_u32 v8, v8, s21
	v_mul_lo_u32 v12, v12, s23
	s_delay_alu instid0(VALU_DEP_1) | instskip(NEXT) | instid1(VALU_DEP_1)
	v_sub_nc_u32_e32 v8, v8, v12
	v_cmp_lt_u32_e64 s0, s39, v8
	s_and_b32 s3, s0, exec_lo
.LBB1704_82:
	s_wait_alu 0xfffe
	s_or_b32 exec_lo, exec_lo, s4
	v_lshrrev_b32_e32 v8, 8, v9
	s_wait_alu 0xfffd
	v_cndmask_b32_e64 v12, 0, 1, vcc_lo
	v_lshrrev_b32_e32 v25, 16, v9
	v_cndmask_b32_e64 v26, 0, 1, s3
	v_and_b32_e32 v9, 0xff, v9
	v_lshlrev_b16 v8, 8, v8
	v_lshlrev_b16 v12, 8, v12
	v_and_b32_e32 v25, 0xff, v25
	v_lshlrev_b16 v7, 8, v7
	v_and_b32_e32 v11, 0xff, v11
	v_lshlrev_b16 v10, 8, v10
	v_or_b32_e32 v8, v9, v8
	v_or_b32_e32 v9, v25, v12
	s_delay_alu instid0(VALU_DEP_4) | instskip(NEXT) | instid1(VALU_DEP_4)
	v_or_b32_e32 v7, v11, v7
	v_or_b32_e32 v10, v26, v10
	s_delay_alu instid0(VALU_DEP_4) | instskip(NEXT) | instid1(VALU_DEP_4)
	v_and_b32_e32 v8, 0xffff, v8
	v_lshlrev_b32_e32 v9, 16, v9
	s_delay_alu instid0(VALU_DEP_4) | instskip(NEXT) | instid1(VALU_DEP_4)
	v_lshlrev_b32_e32 v7, 16, v7
	v_and_b32_e32 v10, 0xffff, v10
	s_delay_alu instid0(VALU_DEP_3) | instskip(NEXT) | instid1(VALU_DEP_2)
	v_or_b32_e32 v49, v8, v9
	v_or_b32_e32 v8, v10, v7
.LBB1704_83:
	s_wait_alu 0xfffe
	s_or_b32 exec_lo, exec_lo, s1
	v_add_nc_u32_e32 v7, 8, v46
	s_delay_alu instid0(VALU_DEP_2)
	v_lshrrev_b32_e32 v9, 16, v8
	v_lshrrev_b32_e32 v10, 24, v8
	;; [unrolled: 1-line block ×4, first 2 shown]
	v_cmp_le_u32_e32 vcc_lo, s27, v7
	v_lshrrev_b32_e32 v11, 8, v6
                                        ; implicit-def: $vgpr6
                                        ; implicit-def: $vgpr7
	s_and_saveexec_b32 s0, vcc_lo
	s_wait_alu 0xfffe
	s_xor_b32 s0, exec_lo, s0
	s_cbranch_execz .LBB1704_85
; %bb.84:
	v_lshlrev_b16 v6, 8, v12
	v_and_b32_e32 v7, 0xff, v25
	v_lshlrev_b16 v11, 8, v11
	v_lshlrev_b16 v10, 8, v10
	v_perm_b32 v5, v5, v5, 0x3060504
                                        ; implicit-def: $vgpr12
                                        ; implicit-def: $vgpr25
	s_delay_alu instid0(VALU_DEP_4) | instskip(SKIP_2) | instid1(VALU_DEP_3)
	v_or_b32_e32 v6, v7, v6
	v_and_b32_e32 v7, 0xff, v9
	v_and_b32_e32 v9, 0xffff, v11
                                        ; implicit-def: $vgpr11
	v_lshlrev_b32_e32 v6, 16, v6
	s_delay_alu instid0(VALU_DEP_3) | instskip(NEXT) | instid1(VALU_DEP_2)
	v_or_b32_e32 v10, v7, v10
	v_or_b32_e32 v7, v9, v6
	s_delay_alu instid0(VALU_DEP_2)
	v_perm_b32 v6, v10, v8, 0x5040c00
                                        ; implicit-def: $vgpr8
                                        ; implicit-def: $vgpr9
                                        ; implicit-def: $vgpr10
.LBB1704_85:
	s_wait_alu 0xfffe
	s_and_not1_saveexec_b32 s1, s0
	s_cbranch_execz .LBB1704_89
; %bb.86:
	v_add_nc_u32_e32 v6, s17, v15
	v_add_nc_u32_e32 v7, s19, v15
	s_mov_b32 s3, 0
	s_mov_b32 s4, exec_lo
	s_delay_alu instid0(VALU_DEP_2) | instskip(NEXT) | instid1(VALU_DEP_2)
	v_mul_lo_u32 v6, v6, s16
	v_mul_lo_u32 v7, v7, s18
	s_delay_alu instid0(VALU_DEP_1) | instskip(NEXT) | instid1(VALU_DEP_1)
	v_sub_nc_u32_e32 v6, v6, v7
	v_cmp_lt_u32_e32 vcc_lo, s20, v6
	v_cmpx_ge_u32_e64 s20, v6
	s_cbranch_execz .LBB1704_88
; %bb.87:
	v_add_nc_u32_e32 v6, s22, v15
	v_add_nc_u32_e32 v7, s38, v15
	s_delay_alu instid0(VALU_DEP_2) | instskip(NEXT) | instid1(VALU_DEP_2)
	v_mul_lo_u32 v6, v6, s21
	v_mul_lo_u32 v7, v7, s23
	s_delay_alu instid0(VALU_DEP_1) | instskip(NEXT) | instid1(VALU_DEP_1)
	v_sub_nc_u32_e32 v6, v6, v7
	v_cmp_lt_u32_e64 s0, s39, v6
	s_and_b32 s3, s0, exec_lo
.LBB1704_88:
	s_wait_alu 0xfffe
	s_or_b32 exec_lo, exec_lo, s4
	v_cndmask_b32_e64 v6, 0, 1, s3
	s_wait_alu 0xfffd
	v_cndmask_b32_e64 v7, 0, 1, vcc_lo
	v_lshlrev_b16 v12, 8, v12
	v_and_b32_e32 v25, 0xff, v25
	v_lshlrev_b16 v11, 8, v11
	v_lshlrev_b16 v6, 8, v6
	v_and_b32_e32 v8, 0xff, v8
	v_lshlrev_b16 v10, 8, v10
	v_and_b32_e32 v9, 0xff, v9
	v_or_b32_e32 v12, v25, v12
	v_or_b32_e32 v7, v7, v11
	;; [unrolled: 1-line block ×3, first 2 shown]
	s_delay_alu instid0(VALU_DEP_4) | instskip(NEXT) | instid1(VALU_DEP_4)
	v_or_b32_e32 v8, v9, v10
	v_lshlrev_b32_e32 v9, 16, v12
	s_delay_alu instid0(VALU_DEP_4) | instskip(NEXT) | instid1(VALU_DEP_4)
	v_and_b32_e32 v7, 0xffff, v7
	v_and_b32_e32 v6, 0xffff, v6
	s_delay_alu instid0(VALU_DEP_4) | instskip(NEXT) | instid1(VALU_DEP_3)
	v_lshlrev_b32_e32 v8, 16, v8
	v_or_b32_e32 v7, v7, v9
	s_delay_alu instid0(VALU_DEP_2)
	v_or_b32_e32 v6, v6, v8
.LBB1704_89:
	s_wait_alu 0xfffe
	s_or_b32 exec_lo, exec_lo, s1
	v_add_nc_u32_e32 v8, 9, v46
	s_delay_alu instid0(VALU_DEP_2)
	v_lshrrev_b32_e32 v10, 8, v6
	v_lshrrev_b32_e32 v25, 24, v7
	;; [unrolled: 1-line block ×3, first 2 shown]
	v_and_b32_e32 v11, 0xff, v6
	v_cmp_le_u32_e32 vcc_lo, s27, v8
                                        ; implicit-def: $vgpr8
                                        ; implicit-def: $vgpr9
	s_and_saveexec_b32 s0, vcc_lo
	s_wait_alu 0xfffe
	s_xor_b32 s0, exec_lo, s0
	s_cbranch_execz .LBB1704_91
; %bb.90:
	v_lshlrev_b16 v8, 8, v10
	v_lshlrev_b16 v9, 8, v25
	v_and_b32_e32 v10, 0xff, v12
	v_perm_b32 v5, v5, v5, 0x3060504
                                        ; implicit-def: $vgpr25
                                        ; implicit-def: $vgpr12
	s_delay_alu instid0(VALU_DEP_4) | instskip(NEXT) | instid1(VALU_DEP_3)
	v_or_b32_e32 v8, v11, v8
                                        ; implicit-def: $vgpr11
	v_or_b32_e32 v9, v10, v9
                                        ; implicit-def: $vgpr10
	s_delay_alu instid0(VALU_DEP_2) | instskip(NEXT) | instid1(VALU_DEP_2)
	v_and_b32_e32 v8, 0xffff, v8
	v_perm_b32 v9, v9, v7, 0x5040c00
                                        ; implicit-def: $vgpr7
	s_delay_alu instid0(VALU_DEP_2)
	v_and_or_b32 v8, 0xff000000, v6, v8
                                        ; implicit-def: $vgpr6
.LBB1704_91:
	s_wait_alu 0xfffe
	s_and_not1_saveexec_b32 s1, s0
	s_cbranch_execz .LBB1704_95
; %bb.92:
	v_add_nc_u32_e32 v8, s17, v16
	v_add_nc_u32_e32 v9, s19, v16
	s_mov_b32 s3, 0
	s_mov_b32 s4, exec_lo
	s_delay_alu instid0(VALU_DEP_2) | instskip(NEXT) | instid1(VALU_DEP_2)
	v_mul_lo_u32 v8, v8, s16
	v_mul_lo_u32 v9, v9, s18
	s_delay_alu instid0(VALU_DEP_1) | instskip(NEXT) | instid1(VALU_DEP_1)
	v_sub_nc_u32_e32 v8, v8, v9
	v_cmp_lt_u32_e32 vcc_lo, s20, v8
	v_cmpx_ge_u32_e64 s20, v8
	s_cbranch_execz .LBB1704_94
; %bb.93:
	v_add_nc_u32_e32 v8, s22, v16
	v_add_nc_u32_e32 v9, s38, v16
	s_delay_alu instid0(VALU_DEP_2) | instskip(NEXT) | instid1(VALU_DEP_2)
	v_mul_lo_u32 v8, v8, s21
	v_mul_lo_u32 v9, v9, s23
	s_delay_alu instid0(VALU_DEP_1) | instskip(NEXT) | instid1(VALU_DEP_1)
	v_sub_nc_u32_e32 v8, v8, v9
	v_cmp_lt_u32_e64 s0, s39, v8
	s_and_b32 s3, s0, exec_lo
.LBB1704_94:
	s_wait_alu 0xfffe
	s_or_b32 exec_lo, exec_lo, s4
	s_wait_alu 0xfffd
	v_cndmask_b32_e64 v8, 0, 1, vcc_lo
	v_lshrrev_b32_e32 v6, 24, v6
	v_cndmask_b32_e64 v9, 0, 1, s3
	v_lshlrev_b16 v25, 8, v25
	v_and_b32_e32 v12, 0xff, v12
	v_lshlrev_b16 v8, 8, v8
	v_lshlrev_b16 v10, 8, v10
	v_and_b32_e32 v7, 0xff, v7
	v_lshlrev_b16 v6, 8, v6
	v_or_b32_e32 v12, v12, v25
	s_delay_alu instid0(VALU_DEP_4) | instskip(NEXT) | instid1(VALU_DEP_4)
	v_or_b32_e32 v10, v11, v10
	v_or_b32_e32 v7, v7, v8
	s_delay_alu instid0(VALU_DEP_4) | instskip(NEXT) | instid1(VALU_DEP_4)
	v_or_b32_e32 v6, v9, v6
	v_lshlrev_b32_e32 v8, 16, v12
	s_delay_alu instid0(VALU_DEP_4) | instskip(NEXT) | instid1(VALU_DEP_4)
	v_and_b32_e32 v10, 0xffff, v10
	v_and_b32_e32 v7, 0xffff, v7
	s_delay_alu instid0(VALU_DEP_4) | instskip(NEXT) | instid1(VALU_DEP_2)
	v_lshlrev_b32_e32 v6, 16, v6
	v_or_b32_e32 v9, v7, v8
	s_delay_alu instid0(VALU_DEP_2)
	v_or_b32_e32 v8, v10, v6
.LBB1704_95:
	s_wait_alu 0xfffe
	s_or_b32 exec_lo, exec_lo, s1
	v_add_nc_u32_e32 v6, 10, v46
	v_and_b32_e32 v7, 0xff, v9
	v_lshrrev_b32_e32 v10, 8, v9
                                        ; implicit-def: $vgpr51
	s_delay_alu instid0(VALU_DEP_3)
	v_cmp_le_u32_e32 vcc_lo, s27, v6
                                        ; implicit-def: $vgpr6
	s_and_saveexec_b32 s0, vcc_lo
	s_wait_alu 0xfffe
	s_xor_b32 s0, exec_lo, s0
	s_cbranch_execz .LBB1704_97
; %bb.96:
	v_lshlrev_b16 v6, 8, v10
	v_perm_b32 v5, v5, v5, 0x3060504
                                        ; implicit-def: $vgpr10
	s_delay_alu instid0(VALU_DEP_2) | instskip(SKIP_1) | instid1(VALU_DEP_2)
	v_or_b32_e32 v6, v7, v6
	v_and_b32_e32 v7, 0xff0000, v8
	v_and_b32_e32 v6, 0xffff, v6
	s_delay_alu instid0(VALU_DEP_2) | instskip(NEXT) | instid1(VALU_DEP_2)
	v_perm_b32 v51, v8, v7, 0x3020504
                                        ; implicit-def: $vgpr7
                                        ; implicit-def: $vgpr8
	v_and_or_b32 v6, 0xff000000, v9, v6
                                        ; implicit-def: $vgpr9
.LBB1704_97:
	s_wait_alu 0xfffe
	s_and_not1_saveexec_b32 s1, s0
	s_cbranch_execz .LBB1704_101
; %bb.98:
	v_add_nc_u32_e32 v6, s17, v13
	v_add_nc_u32_e32 v11, s19, v13
	s_mov_b32 s3, 0
	s_mov_b32 s4, exec_lo
	s_delay_alu instid0(VALU_DEP_2) | instskip(NEXT) | instid1(VALU_DEP_2)
	v_mul_lo_u32 v6, v6, s16
	v_mul_lo_u32 v11, v11, s18
	s_delay_alu instid0(VALU_DEP_1) | instskip(NEXT) | instid1(VALU_DEP_1)
	v_sub_nc_u32_e32 v6, v6, v11
	v_cmp_lt_u32_e32 vcc_lo, s20, v6
	v_cmpx_ge_u32_e64 s20, v6
	s_cbranch_execz .LBB1704_100
; %bb.99:
	v_add_nc_u32_e32 v6, s22, v13
	v_add_nc_u32_e32 v11, s38, v13
	s_delay_alu instid0(VALU_DEP_2) | instskip(NEXT) | instid1(VALU_DEP_2)
	v_mul_lo_u32 v6, v6, s21
	v_mul_lo_u32 v11, v11, s23
	s_delay_alu instid0(VALU_DEP_1) | instskip(NEXT) | instid1(VALU_DEP_1)
	v_sub_nc_u32_e32 v6, v6, v11
	v_cmp_lt_u32_e64 s0, s39, v6
	s_and_b32 s3, s0, exec_lo
.LBB1704_100:
	s_wait_alu 0xfffe
	s_or_b32 exec_lo, exec_lo, s4
	v_lshrrev_b32_e32 v9, 24, v9
	v_cndmask_b32_e64 v11, 0, 1, s3
	v_lshrrev_b32_e32 v12, 8, v8
	v_lshrrev_b32_e32 v25, 16, v8
	s_wait_alu 0xfffd
	v_cndmask_b32_e64 v6, 0, 1, vcc_lo
	v_lshlrev_b16 v10, 8, v10
	v_lshlrev_b16 v9, 8, v9
	v_and_b32_e32 v8, 0xff, v8
	v_lshlrev_b16 v12, 8, v12
	v_lshlrev_b16 v11, 8, v11
	v_and_b32_e32 v25, 0xff, v25
	v_or_b32_e32 v7, v7, v10
	v_or_b32_e32 v6, v6, v9
	;; [unrolled: 1-line block ×3, first 2 shown]
	s_delay_alu instid0(VALU_DEP_4) | instskip(NEXT) | instid1(VALU_DEP_4)
	v_or_b32_e32 v9, v25, v11
	v_and_b32_e32 v7, 0xffff, v7
	s_delay_alu instid0(VALU_DEP_4) | instskip(NEXT) | instid1(VALU_DEP_4)
	v_lshlrev_b32_e32 v6, 16, v6
	v_and_b32_e32 v8, 0xffff, v8
	s_delay_alu instid0(VALU_DEP_4) | instskip(NEXT) | instid1(VALU_DEP_3)
	v_lshlrev_b32_e32 v9, 16, v9
	v_or_b32_e32 v6, v7, v6
	s_delay_alu instid0(VALU_DEP_2)
	v_or_b32_e32 v51, v8, v9
.LBB1704_101:
	s_wait_alu 0xfffe
	s_or_b32 exec_lo, exec_lo, s1
	v_dual_mov_b32 v50, 0 :: v_dual_add_nc_u32 v7, 11, v46
	s_mov_b32 s0, exec_lo
                                        ; implicit-def: $vgpr52
	s_delay_alu instid0(VALU_DEP_1)
	v_cmpx_le_u32_e64 s27, v7
	s_wait_alu 0xfffe
	s_xor_b32 s0, exec_lo, s0
; %bb.102:
	v_and_b32_e32 v7, 0xff0000, v6
	v_perm_b32 v5, v5, v5, 0x3060504
	s_delay_alu instid0(VALU_DEP_2)
	v_perm_b32 v52, v6, v7, 0x3020504
                                        ; implicit-def: $vgpr6
; %bb.103:
	s_wait_alu 0xfffe
	s_and_not1_saveexec_b32 s1, s0
	s_cbranch_execz .LBB1704_107
; %bb.104:
	v_add_nc_u32_e32 v7, s17, v14
	v_add_nc_u32_e32 v8, s19, v14
	s_mov_b32 s3, 0
	s_mov_b32 s4, exec_lo
	s_delay_alu instid0(VALU_DEP_2) | instskip(NEXT) | instid1(VALU_DEP_2)
	v_mul_lo_u32 v7, v7, s16
	v_mul_lo_u32 v8, v8, s18
	s_delay_alu instid0(VALU_DEP_1) | instskip(NEXT) | instid1(VALU_DEP_1)
	v_sub_nc_u32_e32 v7, v7, v8
	v_cmp_lt_u32_e32 vcc_lo, s20, v7
	v_cmpx_ge_u32_e64 s20, v7
	s_cbranch_execz .LBB1704_106
; %bb.105:
	v_add_nc_u32_e32 v7, s22, v14
	v_add_nc_u32_e32 v8, s38, v14
	s_delay_alu instid0(VALU_DEP_2) | instskip(NEXT) | instid1(VALU_DEP_2)
	v_mul_lo_u32 v7, v7, s21
	v_mul_lo_u32 v8, v8, s23
	s_delay_alu instid0(VALU_DEP_1) | instskip(NEXT) | instid1(VALU_DEP_1)
	v_sub_nc_u32_e32 v7, v7, v8
	v_cmp_lt_u32_e64 s0, s39, v7
	s_and_b32 s3, s0, exec_lo
.LBB1704_106:
	s_wait_alu 0xfffe
	s_or_b32 exec_lo, exec_lo, s4
	v_lshrrev_b32_e32 v7, 8, v6
	s_wait_alu 0xfffd
	v_cndmask_b32_e64 v8, 0, 1, vcc_lo
	v_lshrrev_b32_e32 v9, 16, v6
	v_and_b32_e32 v6, 0xff, v6
	v_cndmask_b32_e64 v50, 0, 1, s3
	v_lshlrev_b16 v7, 8, v7
	v_lshlrev_b16 v8, 8, v8
	v_and_b32_e32 v9, 0xff, v9
	s_delay_alu instid0(VALU_DEP_3) | instskip(NEXT) | instid1(VALU_DEP_2)
	v_or_b32_e32 v6, v6, v7
	v_or_b32_e32 v7, v9, v8
	s_delay_alu instid0(VALU_DEP_2) | instskip(NEXT) | instid1(VALU_DEP_2)
	v_and_b32_e32 v6, 0xffff, v6
	v_lshlrev_b32_e32 v7, 16, v7
	s_delay_alu instid0(VALU_DEP_1)
	v_or_b32_e32 v52, v6, v7
.LBB1704_107:
	s_wait_alu 0xfffe
	s_or_b32 exec_lo, exec_lo, s1
	v_add_nc_u32_e32 v8, 12, v46
	v_lshrrev_b32_e32 v6, 8, v5
	v_lshrrev_b32_e32 v7, 16, v5
	v_lshrrev_b32_e32 v5, 24, v5
	s_mov_b32 s0, exec_lo
                                        ; implicit-def: $vgpr54
	v_cmpx_le_u32_e64 s27, v8
	s_wait_alu 0xfffe
	s_xor_b32 s0, exec_lo, s0
	s_cbranch_execz .LBB1704_109
; %bb.108:
	v_lshlrev_b16 v5, 8, v5
	v_and_b32_e32 v7, 0xff, v7
	v_lshlrev_b16 v6, 8, v6
	s_delay_alu instid0(VALU_DEP_2) | instskip(NEXT) | instid1(VALU_DEP_2)
	v_or_b32_e32 v5, v7, v5
	v_and_b32_e32 v6, 0xffff, v6
                                        ; implicit-def: $vgpr7
	s_delay_alu instid0(VALU_DEP_2) | instskip(NEXT) | instid1(VALU_DEP_1)
	v_lshlrev_b32_e32 v5, 16, v5
	v_or_b32_e32 v54, v6, v5
                                        ; implicit-def: $vgpr5
                                        ; implicit-def: $vgpr6
.LBB1704_109:
	s_wait_alu 0xfffe
	s_or_saveexec_b32 s1, s0
	v_mov_b32_e32 v53, 0
	s_wait_alu 0xfffe
	s_xor_b32 exec_lo, exec_lo, s1
	s_cbranch_execz .LBB1704_113
; %bb.110:
	v_add_nc_u32_e32 v8, s17, v45
	v_add_nc_u32_e32 v9, s19, v45
	s_mov_b32 s3, 0
	s_mov_b32 s4, exec_lo
	s_delay_alu instid0(VALU_DEP_2) | instskip(NEXT) | instid1(VALU_DEP_2)
	v_mul_lo_u32 v8, v8, s16
	v_mul_lo_u32 v9, v9, s18
	s_delay_alu instid0(VALU_DEP_1) | instskip(NEXT) | instid1(VALU_DEP_1)
	v_sub_nc_u32_e32 v8, v8, v9
	v_cmp_lt_u32_e32 vcc_lo, s20, v8
	v_cmpx_ge_u32_e64 s20, v8
	s_cbranch_execz .LBB1704_112
; %bb.111:
	v_add_nc_u32_e32 v8, s22, v45
	v_add_nc_u32_e32 v9, s38, v45
	s_delay_alu instid0(VALU_DEP_2) | instskip(NEXT) | instid1(VALU_DEP_2)
	v_mul_lo_u32 v8, v8, s21
	v_mul_lo_u32 v9, v9, s23
	s_delay_alu instid0(VALU_DEP_1) | instskip(NEXT) | instid1(VALU_DEP_1)
	v_sub_nc_u32_e32 v8, v8, v9
	v_cmp_lt_u32_e64 s0, s39, v8
	s_and_b32 s3, s0, exec_lo
.LBB1704_112:
	s_wait_alu 0xfffe
	s_or_b32 exec_lo, exec_lo, s4
	s_wait_alu 0xfffd
	v_cndmask_b32_e64 v8, 0, 1, vcc_lo
	v_lshlrev_b16 v5, 8, v5
	v_and_b32_e32 v7, 0xff, v7
	v_lshlrev_b16 v6, 8, v6
	v_cndmask_b32_e64 v53, 0, 1, s3
	s_delay_alu instid0(VALU_DEP_3) | instskip(NEXT) | instid1(VALU_DEP_3)
	v_or_b32_e32 v5, v7, v5
	v_or_b32_e32 v6, v8, v6
	s_delay_alu instid0(VALU_DEP_2) | instskip(NEXT) | instid1(VALU_DEP_2)
	v_lshlrev_b32_e32 v5, 16, v5
	v_and_b32_e32 v6, 0xffff, v6
	s_delay_alu instid0(VALU_DEP_1)
	v_or_b32_e32 v54, v6, v5
.LBB1704_113:
	s_or_b32 exec_lo, exec_lo, s1
.LBB1704_114:
	v_and_b32_e32 v77, 0xff, v47
	s_delay_alu instid0(VALU_DEP_2)
	v_bfe_u32 v78, v54, 8, 8
	v_bfe_u32 v74, v47, 8, 8
	v_bfe_u32 v75, v54, 16, 8
	v_bfe_u32 v76, v47, 16, 8
	v_lshrrev_b32_e32 v60, 24, v54
	v_lshrrev_b32_e32 v59, 24, v47
	v_and_b32_e32 v73, 0xff, v48
	v_and_b32_e32 v71, 0xff, v49
	v_bfe_u32 v72, v48, 8, 8
	v_add3_u32 v5, v74, v77, v76
	v_add3_u32 v6, v75, v78, v60
	v_bfe_u32 v69, v49, 8, 8
	v_bfe_u32 v70, v48, 16, 8
	;; [unrolled: 1-line block ×3, first 2 shown]
	v_lshrrev_b32_e32 v58, 24, v48
	v_add3_u32 v5, v5, v59, v71
	v_add3_u32 v6, v6, v73, v72
	v_lshrrev_b32_e32 v57, 24, v49
	v_and_b32_e32 v68, 0xff, v51
	v_and_b32_e32 v66, 0xff, v52
	v_bfe_u32 v67, v51, 8, 8
	v_add3_u32 v5, v5, v69, v65
	v_add3_u32 v6, v6, v70, v58
	v_bfe_u32 v63, v52, 8, 8
	v_bfe_u32 v64, v51, 16, 8
	;; [unrolled: 1-line block ×3, first 2 shown]
	v_lshrrev_b32_e32 v56, 24, v51
	v_add3_u32 v5, v5, v57, v66
	v_add3_u32 v6, v6, v68, v67
	v_mbcnt_lo_u32_b32 v79, -1, 0
	v_lshrrev_b32_e32 v55, 24, v52
	v_and_b32_e32 v61, 0xff, v50
	v_and_b32_e32 v7, 0xff, v54
	;; [unrolled: 1-line block ×3, first 2 shown]
	v_add3_u32 v5, v5, v63, v62
	v_add3_u32 v6, v6, v64, v56
	v_and_b32_e32 v81, 15, v79
	v_and_b32_e32 v83, 16, v79
	v_lshrrev_b32_e32 v80, 5, v0
	v_add3_u32 v84, v5, v55, v7
	v_add3_u32 v85, v6, v61, v8
	v_cmp_eq_u32_e64 s1, 0, v81
	v_cmp_lt_u32_e64 s0, 1, v81
	v_cmp_lt_u32_e64 s3, 3, v81
	v_or_b32_e32 v82, 31, v0
	s_cmp_lg_u32 s33, 0
	s_mov_b32 s4, -1
	v_cmp_lt_u32_e32 vcc_lo, 7, v81
	s_cbranch_scc0 .LBB1704_135
; %bb.115:
	v_mov_b32_dpp v6, v84 row_shr:1 row_mask:0xf bank_mask:0xf
	v_mov_b32_dpp v5, v85 row_shr:1 row_mask:0xf bank_mask:0xf
	s_mov_b32 s4, exec_lo
	s_delay_alu instid0(VALU_DEP_2) | instskip(SKIP_1) | instid1(VALU_DEP_1)
	v_add_nc_u32_e32 v6, v6, v84
	s_wait_alu 0xf1ff
	v_cndmask_b32_e64 v6, v6, v84, s1
	s_delay_alu instid0(VALU_DEP_1) | instskip(NEXT) | instid1(VALU_DEP_1)
	v_mov_b32_dpp v8, v6 row_shr:2 row_mask:0xf bank_mask:0xf
	v_add_nc_u32_e32 v8, v6, v8
	s_delay_alu instid0(VALU_DEP_1) | instskip(NEXT) | instid1(VALU_DEP_1)
	v_cndmask_b32_e64 v6, v6, v8, s0
	v_mov_b32_dpp v8, v6 row_shr:4 row_mask:0xf bank_mask:0xf
	s_delay_alu instid0(VALU_DEP_1) | instskip(NEXT) | instid1(VALU_DEP_1)
	v_add_nc_u32_e32 v8, v6, v8
	v_cndmask_b32_e64 v6, v6, v8, s3
	s_delay_alu instid0(VALU_DEP_1) | instskip(NEXT) | instid1(VALU_DEP_1)
	v_mov_b32_dpp v8, v6 row_shr:8 row_mask:0xf bank_mask:0xf
	v_add_nc_u32_e32 v8, v6, v8
	s_wait_alu 0xfffd
	s_delay_alu instid0(VALU_DEP_1) | instskip(NEXT) | instid1(VALU_DEP_1)
	v_dual_cndmask_b32 v6, v6, v8 :: v_dual_add_nc_u32 v5, v5, v85
	v_cndmask_b32_e64 v5, v5, v85, s1
	ds_swizzle_b32 v8, v6 offset:swizzle(BROADCAST,32,15)
	v_mov_b32_dpp v7, v5 row_shr:2 row_mask:0xf bank_mask:0xf
	s_delay_alu instid0(VALU_DEP_1) | instskip(NEXT) | instid1(VALU_DEP_1)
	v_add_nc_u32_e32 v7, v5, v7
	v_cndmask_b32_e64 v5, v5, v7, s0
	s_delay_alu instid0(VALU_DEP_1) | instskip(SKIP_2) | instid1(VALU_DEP_2)
	v_mov_b32_dpp v7, v5 row_shr:4 row_mask:0xf bank_mask:0xf
	s_wait_dscnt 0x0
	v_add_nc_u32_e32 v8, v6, v8
	v_add_nc_u32_e32 v7, v5, v7
	s_delay_alu instid0(VALU_DEP_1) | instskip(NEXT) | instid1(VALU_DEP_1)
	v_cndmask_b32_e64 v5, v5, v7, s3
	v_mov_b32_dpp v7, v5 row_shr:8 row_mask:0xf bank_mask:0xf
	s_delay_alu instid0(VALU_DEP_1) | instskip(NEXT) | instid1(VALU_DEP_1)
	v_add_nc_u32_e32 v7, v5, v7
	v_cndmask_b32_e32 v5, v5, v7, vcc_lo
	v_cmp_eq_u32_e32 vcc_lo, 0, v83
	ds_swizzle_b32 v7, v5 offset:swizzle(BROADCAST,32,15)
	s_wait_dscnt 0x0
	v_add_nc_u32_e32 v7, v5, v7
	v_cmpx_eq_u32_e64 v0, v82
; %bb.116:
	s_wait_alu 0xfffd
	s_delay_alu instid0(VALU_DEP_2)
	v_dual_cndmask_b32 v10, v7, v5 :: v_dual_lshlrev_b32 v11, 3, v80
	v_cndmask_b32_e32 v9, v8, v6, vcc_lo
	ds_store_b64 v11, v[9:10]
; %bb.117:
	s_wait_alu 0xfffe
	s_or_b32 exec_lo, exec_lo, s4
	s_delay_alu instid0(SALU_CYCLE_1)
	s_mov_b32 s4, exec_lo
	s_wait_loadcnt_dscnt 0x0
	s_barrier_signal -1
	s_barrier_wait -1
	global_inv scope:SCOPE_SE
	v_cmpx_gt_u32_e32 8, v0
	s_cbranch_execz .LBB1704_119
; %bb.118:
	v_lshlrev_b32_e32 v11, 3, v0
	v_and_b32_e32 v26, 7, v79
	ds_load_b64 v[9:10], v11
	v_cmp_eq_u32_e64 s3, 0, v26
	s_wait_dscnt 0x0
	v_mov_b32_dpp v12, v9 row_shr:1 row_mask:0xf bank_mask:0xf
	v_mov_b32_dpp v25, v10 row_shr:1 row_mask:0xf bank_mask:0xf
	s_delay_alu instid0(VALU_DEP_2) | instskip(NEXT) | instid1(VALU_DEP_2)
	v_add_nc_u32_e32 v12, v12, v9
	v_add_nc_u32_e32 v25, v25, v10
	s_wait_alu 0xf1ff
	s_delay_alu instid0(VALU_DEP_2) | instskip(NEXT) | instid1(VALU_DEP_2)
	v_cndmask_b32_e64 v9, v12, v9, s3
	v_cndmask_b32_e64 v10, v25, v10, s3
	v_cmp_lt_u32_e64 s3, 1, v26
	s_delay_alu instid0(VALU_DEP_3) | instskip(NEXT) | instid1(VALU_DEP_3)
	v_mov_b32_dpp v12, v9 row_shr:2 row_mask:0xf bank_mask:0xf
	v_mov_b32_dpp v25, v10 row_shr:2 row_mask:0xf bank_mask:0xf
	s_delay_alu instid0(VALU_DEP_2) | instskip(NEXT) | instid1(VALU_DEP_2)
	v_add_nc_u32_e32 v12, v9, v12
	v_add_nc_u32_e32 v25, v10, v25
	s_wait_alu 0xf1ff
	s_delay_alu instid0(VALU_DEP_2) | instskip(NEXT) | instid1(VALU_DEP_2)
	v_cndmask_b32_e64 v9, v9, v12, s3
	v_cndmask_b32_e64 v10, v10, v25, s3
	v_cmp_lt_u32_e64 s3, 3, v26
	s_delay_alu instid0(VALU_DEP_3) | instskip(NEXT) | instid1(VALU_DEP_3)
	v_mov_b32_dpp v12, v9 row_shr:4 row_mask:0xf bank_mask:0xf
	v_mov_b32_dpp v25, v10 row_shr:4 row_mask:0xf bank_mask:0xf
	s_wait_alu 0xf1ff
	s_delay_alu instid0(VALU_DEP_2) | instskip(NEXT) | instid1(VALU_DEP_2)
	v_cndmask_b32_e64 v12, 0, v12, s3
	v_cndmask_b32_e64 v25, 0, v25, s3
	s_delay_alu instid0(VALU_DEP_2) | instskip(NEXT) | instid1(VALU_DEP_2)
	v_add_nc_u32_e32 v9, v12, v9
	v_add_nc_u32_e32 v10, v25, v10
	ds_store_b64 v11, v[9:10]
.LBB1704_119:
	s_wait_alu 0xfffe
	s_or_b32 exec_lo, exec_lo, s4
	v_dual_cndmask_b32 v5, v7, v5 :: v_dual_cndmask_b32 v6, v8, v6
	s_mov_b32 s4, exec_lo
	v_cmp_gt_u32_e32 vcc_lo, 32, v0
	s_wait_loadcnt_dscnt 0x0
	s_barrier_signal -1
	s_barrier_wait -1
	global_inv scope:SCOPE_SE
                                        ; implicit-def: $vgpr25
	v_cmpx_lt_u32_e32 31, v0
	s_cbranch_execz .LBB1704_121
; %bb.120:
	v_lshl_add_u32 v7, v80, 3, -8
	ds_load_b64 v[25:26], v7
	s_wait_dscnt 0x0
	v_add_nc_u32_e32 v5, v26, v5
	v_add_nc_u32_e32 v6, v25, v6
.LBB1704_121:
	s_wait_alu 0xfffe
	s_or_b32 exec_lo, exec_lo, s4
	v_sub_co_u32 v7, s3, v79, 1
	s_delay_alu instid0(VALU_DEP_1) | instskip(SKIP_1) | instid1(VALU_DEP_1)
	v_cmp_gt_i32_e64 s4, 0, v7
	s_wait_alu 0xf1ff
	v_cndmask_b32_e64 v7, v7, v79, s4
	s_delay_alu instid0(VALU_DEP_1)
	v_lshlrev_b32_e32 v7, 2, v7
	ds_bpermute_b32 v86, v7, v6
	ds_bpermute_b32 v87, v7, v5
	s_and_saveexec_b32 s4, vcc_lo
	s_cbranch_execz .LBB1704_140
; %bb.122:
	v_mov_b32_e32 v8, 0
	ds_load_b64 v[5:6], v8 offset:56
	s_and_saveexec_b32 s5, s3
	s_cbranch_execz .LBB1704_124
; %bb.123:
	s_add_co_i32 s6, s33, 32
	s_mov_b32 s7, 0
	s_wait_alu 0xfffe
	s_lshl_b64 s[6:7], s[6:7], 4
	s_wait_alu 0xfffe
	s_add_nc_u64 s[6:7], s[36:37], s[6:7]
	s_wait_alu 0xfffe
	v_dual_mov_b32 v7, 1 :: v_dual_mov_b32 v10, s7
	v_mov_b32_e32 v9, s6
	s_wait_dscnt 0x0
	;;#ASMSTART
	global_store_b128 v[9:10], v[5:8] off scope:SCOPE_DEV	
s_wait_storecnt 0x0
	;;#ASMEND
.LBB1704_124:
	s_wait_alu 0xfffe
	s_or_b32 exec_lo, exec_lo, s5
	v_xad_u32 v27, v79, -1, s33
	s_mov_b32 s6, 0
	s_mov_b32 s5, exec_lo
	s_delay_alu instid0(VALU_DEP_1) | instskip(NEXT) | instid1(VALU_DEP_1)
	v_add_nc_u32_e32 v7, 32, v27
	v_lshlrev_b64_e32 v[7:8], 4, v[7:8]
	s_delay_alu instid0(VALU_DEP_1) | instskip(SKIP_1) | instid1(VALU_DEP_2)
	v_add_co_u32 v7, vcc_lo, s36, v7
	s_wait_alu 0xfffd
	v_add_co_ci_u32_e64 v8, null, s37, v8, vcc_lo
	;;#ASMSTART
	global_load_b128 v[9:12], v[7:8] off scope:SCOPE_DEV	
s_wait_loadcnt 0x0
	;;#ASMEND
	v_and_b32_e32 v12, 0xff, v11
	s_delay_alu instid0(VALU_DEP_1)
	v_cmpx_eq_u16_e32 0, v12
	s_cbranch_execz .LBB1704_127
.LBB1704_125:                           ; =>This Inner Loop Header: Depth=1
	;;#ASMSTART
	global_load_b128 v[9:12], v[7:8] off scope:SCOPE_DEV	
s_wait_loadcnt 0x0
	;;#ASMEND
	v_and_b32_e32 v12, 0xff, v11
	s_delay_alu instid0(VALU_DEP_1)
	v_cmp_ne_u16_e32 vcc_lo, 0, v12
	s_wait_alu 0xfffe
	s_or_b32 s6, vcc_lo, s6
	s_wait_alu 0xfffe
	s_and_not1_b32 exec_lo, exec_lo, s6
	s_cbranch_execnz .LBB1704_125
; %bb.126:
	s_or_b32 exec_lo, exec_lo, s6
.LBB1704_127:
	s_wait_alu 0xfffe
	s_or_b32 exec_lo, exec_lo, s5
	v_cmp_ne_u32_e32 vcc_lo, 31, v79
	v_lshlrev_b32_e64 v89, v79, -1
	v_add_nc_u32_e32 v91, 2, v79
	v_add_nc_u32_e32 v93, 4, v79
	;; [unrolled: 1-line block ×3, first 2 shown]
	s_wait_alu 0xfffd
	v_add_co_ci_u32_e64 v7, null, 0, v79, vcc_lo
	v_lshl_or_b32 v96, v79, 2, 64
	v_add_nc_u32_e32 v97, 16, v79
	s_delay_alu instid0(VALU_DEP_3) | instskip(SKIP_4) | instid1(VALU_DEP_1)
	v_lshlrev_b32_e32 v88, 2, v7
	ds_bpermute_b32 v8, v88, v10
	s_wait_dscnt 0x0
	v_add_nc_u32_e32 v8, v8, v10
	v_and_b32_e32 v7, 0xff, v11
	v_cmp_eq_u16_e32 vcc_lo, 2, v7
	ds_bpermute_b32 v7, v88, v9
	s_wait_dscnt 0x0
	v_add_nc_u32_e32 v7, v7, v9
	s_wait_alu 0xfffd
	v_and_b32_e32 v12, vcc_lo, v89
	v_cmp_gt_u32_e32 vcc_lo, 30, v79
	s_delay_alu instid0(VALU_DEP_2) | instskip(SKIP_2) | instid1(VALU_DEP_2)
	v_or_b32_e32 v12, 0x80000000, v12
	s_wait_alu 0xfffd
	v_cndmask_b32_e64 v28, 0, 2, vcc_lo
	v_ctz_i32_b32_e32 v12, v12
	s_delay_alu instid0(VALU_DEP_2) | instskip(NEXT) | instid1(VALU_DEP_2)
	v_add_lshl_u32 v90, v28, v79, 2
	v_cmp_lt_u32_e32 vcc_lo, v79, v12
	s_wait_alu 0xfffd
	v_dual_cndmask_b32 v8, v10, v8 :: v_dual_cndmask_b32 v7, v9, v7
	v_cmp_gt_u32_e32 vcc_lo, 28, v79
	ds_bpermute_b32 v9, v90, v8
	ds_bpermute_b32 v10, v90, v7
	s_wait_alu 0xfffd
	v_cndmask_b32_e64 v28, 0, 4, vcc_lo
	v_cmp_gt_u32_e32 vcc_lo, v91, v12
	s_delay_alu instid0(VALU_DEP_2)
	v_add_lshl_u32 v92, v28, v79, 2
	s_wait_dscnt 0x1
	v_add_nc_u32_e32 v9, v8, v9
	s_wait_dscnt 0x0
	v_add_nc_u32_e32 v10, v7, v10
	s_wait_alu 0xfffd
	s_delay_alu instid0(VALU_DEP_1)
	v_dual_cndmask_b32 v8, v9, v8 :: v_dual_cndmask_b32 v7, v10, v7
	v_cmp_gt_u32_e32 vcc_lo, 24, v79
	ds_bpermute_b32 v9, v92, v8
	ds_bpermute_b32 v10, v92, v7
	s_wait_alu 0xfffd
	v_cndmask_b32_e64 v28, 0, 8, vcc_lo
	v_cmp_gt_u32_e32 vcc_lo, v93, v12
	s_delay_alu instid0(VALU_DEP_2)
	v_add_lshl_u32 v94, v28, v79, 2
	s_wait_dscnt 0x1
	v_dual_mov_b32 v28, 0 :: v_dual_add_nc_u32 v9, v8, v9
	s_wait_dscnt 0x0
	v_add_nc_u32_e32 v10, v7, v10
	s_wait_alu 0xfffd
	s_delay_alu instid0(VALU_DEP_1)
	v_dual_cndmask_b32 v8, v9, v8 :: v_dual_cndmask_b32 v7, v10, v7
	v_cmp_gt_u32_e32 vcc_lo, v95, v12
	ds_bpermute_b32 v9, v94, v8
	ds_bpermute_b32 v10, v94, v7
	s_wait_dscnt 0x1
	v_add_nc_u32_e32 v9, v8, v9
	s_wait_dscnt 0x0
	v_add_nc_u32_e32 v10, v7, v10
	s_wait_alu 0xfffd
	s_delay_alu instid0(VALU_DEP_1)
	v_dual_cndmask_b32 v8, v9, v8 :: v_dual_cndmask_b32 v7, v10, v7
	v_cmp_le_u32_e32 vcc_lo, v97, v12
	ds_bpermute_b32 v10, v96, v8
	ds_bpermute_b32 v9, v96, v7
	s_wait_dscnt 0x0
	s_wait_alu 0xfffd
	v_dual_cndmask_b32 v10, 0, v10 :: v_dual_cndmask_b32 v9, 0, v9
	s_delay_alu instid0(VALU_DEP_1) | instskip(NEXT) | instid1(VALU_DEP_2)
	v_add_nc_u32_e32 v10, v10, v8
	v_add_nc_u32_e32 v9, v9, v7
	s_branch .LBB1704_131
.LBB1704_128:                           ;   in Loop: Header=BB1704_131 Depth=1
	s_or_b32 exec_lo, exec_lo, s6
.LBB1704_129:                           ;   in Loop: Header=BB1704_131 Depth=1
	s_wait_alu 0xfffe
	s_or_b32 exec_lo, exec_lo, s5
	ds_bpermute_b32 v12, v88, v9
	ds_bpermute_b32 v29, v88, v10
	v_subrev_nc_u32_e32 v27, 32, v27
	s_mov_b32 s5, 0
	s_wait_dscnt 0x1
	v_add_nc_u32_e32 v12, v12, v9
	v_and_b32_e32 v30, 0xff, v11
	s_wait_dscnt 0x0
	v_add_nc_u32_e32 v29, v29, v10
	s_delay_alu instid0(VALU_DEP_2) | instskip(SKIP_2) | instid1(VALU_DEP_1)
	v_cmp_eq_u16_e32 vcc_lo, 2, v30
	s_wait_alu 0xfffd
	v_and_or_b32 v30, vcc_lo, v89, 0x80000000
	v_ctz_i32_b32_e32 v30, v30
	s_delay_alu instid0(VALU_DEP_1)
	v_cmp_lt_u32_e32 vcc_lo, v79, v30
	s_wait_alu 0xfffd
	v_dual_cndmask_b32 v10, v10, v29 :: v_dual_cndmask_b32 v9, v9, v12
	v_cmp_gt_u32_e32 vcc_lo, v91, v30
	ds_bpermute_b32 v29, v90, v10
	ds_bpermute_b32 v12, v90, v9
	s_wait_dscnt 0x1
	v_add_nc_u32_e32 v29, v10, v29
	s_wait_dscnt 0x0
	v_add_nc_u32_e32 v12, v9, v12
	s_wait_alu 0xfffd
	s_delay_alu instid0(VALU_DEP_1)
	v_dual_cndmask_b32 v10, v29, v10 :: v_dual_cndmask_b32 v9, v12, v9
	v_cmp_gt_u32_e32 vcc_lo, v93, v30
	ds_bpermute_b32 v29, v92, v10
	ds_bpermute_b32 v12, v92, v9
	s_wait_dscnt 0x1
	v_add_nc_u32_e32 v29, v10, v29
	s_wait_dscnt 0x0
	v_add_nc_u32_e32 v12, v9, v12
	s_wait_alu 0xfffd
	s_delay_alu instid0(VALU_DEP_1)
	;; [unrolled: 10-line block ×3, first 2 shown]
	v_dual_cndmask_b32 v10, v29, v10 :: v_dual_cndmask_b32 v9, v12, v9
	v_cmp_le_u32_e32 vcc_lo, v97, v30
	ds_bpermute_b32 v29, v96, v10
	ds_bpermute_b32 v12, v96, v9
	s_wait_dscnt 0x0
	s_wait_alu 0xfffd
	v_dual_cndmask_b32 v29, 0, v29 :: v_dual_cndmask_b32 v12, 0, v12
	s_delay_alu instid0(VALU_DEP_1) | instskip(NEXT) | instid1(VALU_DEP_2)
	v_add3_u32 v10, v10, v8, v29
	v_add3_u32 v9, v9, v7, v12
.LBB1704_130:                           ;   in Loop: Header=BB1704_131 Depth=1
	s_wait_alu 0xfffe
	s_and_b32 vcc_lo, exec_lo, s5
	s_wait_alu 0xfffe
	s_cbranch_vccnz .LBB1704_136
.LBB1704_131:                           ; =>This Loop Header: Depth=1
                                        ;     Child Loop BB1704_134 Depth 2
	v_and_b32_e32 v7, 0xff, v11
	s_mov_b32 s5, -1
                                        ; implicit-def: $vgpr11
	s_delay_alu instid0(VALU_DEP_1)
	v_cmp_ne_u16_e32 vcc_lo, 2, v7
	v_dual_mov_b32 v7, v9 :: v_dual_mov_b32 v8, v10
                                        ; implicit-def: $vgpr9_vgpr10
	s_cmp_lg_u32 vcc_lo, exec_lo
	s_cbranch_scc1 .LBB1704_130
; %bb.132:                              ;   in Loop: Header=BB1704_131 Depth=1
	v_lshlrev_b64_e32 v[9:10], 4, v[27:28]
	s_mov_b32 s5, exec_lo
	s_delay_alu instid0(VALU_DEP_1) | instskip(SKIP_1) | instid1(VALU_DEP_2)
	v_add_co_u32 v29, vcc_lo, s36, v9
	s_wait_alu 0xfffd
	v_add_co_ci_u32_e64 v30, null, s37, v10, vcc_lo
	;;#ASMSTART
	global_load_b128 v[9:12], v[29:30] off scope:SCOPE_DEV	
s_wait_loadcnt 0x0
	;;#ASMEND
	v_and_b32_e32 v12, 0xff, v11
	s_delay_alu instid0(VALU_DEP_1)
	v_cmpx_eq_u16_e32 0, v12
	s_cbranch_execz .LBB1704_129
; %bb.133:                              ;   in Loop: Header=BB1704_131 Depth=1
	s_mov_b32 s6, 0
.LBB1704_134:                           ;   Parent Loop BB1704_131 Depth=1
                                        ; =>  This Inner Loop Header: Depth=2
	;;#ASMSTART
	global_load_b128 v[9:12], v[29:30] off scope:SCOPE_DEV	
s_wait_loadcnt 0x0
	;;#ASMEND
	v_and_b32_e32 v12, 0xff, v11
	s_delay_alu instid0(VALU_DEP_1)
	v_cmp_ne_u16_e32 vcc_lo, 0, v12
	s_wait_alu 0xfffe
	s_or_b32 s6, vcc_lo, s6
	s_wait_alu 0xfffe
	s_and_not1_b32 exec_lo, exec_lo, s6
	s_cbranch_execnz .LBB1704_134
	s_branch .LBB1704_128
.LBB1704_135:
                                        ; implicit-def: $vgpr29
                                        ; implicit-def: $vgpr7
                                        ; implicit-def: $vgpr86
	s_wait_alu 0xfffe
	s_and_b32 vcc_lo, exec_lo, s4
	s_wait_alu 0xfffe
	s_cbranch_vccnz .LBB1704_141
	s_branch .LBB1704_150
.LBB1704_136:
	s_and_saveexec_b32 s5, s3
	s_cbranch_execnz .LBB1704_378
; %bb.137:
	s_wait_alu 0xfffe
	s_or_b32 exec_lo, exec_lo, s5
	s_and_saveexec_b32 s5, s3
	s_cbranch_execnz .LBB1704_379
.LBB1704_138:
	s_wait_alu 0xfffe
	s_or_b32 exec_lo, exec_lo, s5
	s_delay_alu instid0(SALU_CYCLE_1)
	s_and_b32 exec_lo, exec_lo, s2
.LBB1704_139:
	v_mov_b32_e32 v5, 0
	ds_store_b64 v5, v[7:8] offset:56
.LBB1704_140:
	s_wait_alu 0xfffe
	s_or_b32 exec_lo, exec_lo, s4
	s_wait_dscnt 0x1
	v_cndmask_b32_e64 v12, v86, v25, s3
	v_mov_b32_e32 v5, 0
	s_wait_loadcnt_dscnt 0x0
	s_barrier_signal -1
	s_barrier_wait -1
	global_inv scope:SCOPE_SE
	ds_load_b64 v[9:10], v5 offset:56
	s_wait_loadcnt_dscnt 0x0
	s_barrier_signal -1
	s_barrier_wait -1
	global_inv scope:SCOPE_SE
	v_cndmask_b32_e64 v11, v87, v26, s3
	v_add_nc_u32_e32 v12, v9, v12
	ds_load_b128 v[5:8], v5 offset:13312
	v_add_nc_u32_e32 v11, v10, v11
	v_cndmask_b32_e64 v86, v12, v9, s2
	s_delay_alu instid0(VALU_DEP_2)
	v_cndmask_b32_e64 v29, v11, v10, s2
	s_branch .LBB1704_150
.LBB1704_141:
	s_wait_dscnt 0x0
	v_mov_b32_dpp v5, v84 row_shr:1 row_mask:0xf bank_mask:0xf
	v_cmp_lt_u32_e32 vcc_lo, 3, v81
	v_mov_b32_dpp v6, v85 row_shr:1 row_mask:0xf bank_mask:0xf
	s_delay_alu instid0(VALU_DEP_3) | instskip(NEXT) | instid1(VALU_DEP_1)
	v_add_nc_u32_e32 v5, v5, v84
	v_cndmask_b32_e64 v5, v5, v84, s1
	s_delay_alu instid0(VALU_DEP_1) | instskip(NEXT) | instid1(VALU_DEP_1)
	v_mov_b32_dpp v7, v5 row_shr:2 row_mask:0xf bank_mask:0xf
	v_add_nc_u32_e32 v7, v5, v7
	s_delay_alu instid0(VALU_DEP_1) | instskip(NEXT) | instid1(VALU_DEP_1)
	v_cndmask_b32_e64 v5, v5, v7, s0
	v_mov_b32_dpp v7, v5 row_shr:4 row_mask:0xf bank_mask:0xf
	s_delay_alu instid0(VALU_DEP_1) | instskip(SKIP_1) | instid1(VALU_DEP_1)
	v_add_nc_u32_e32 v7, v5, v7
	s_wait_alu 0xfffd
	v_dual_cndmask_b32 v7, v5, v7 :: v_dual_add_nc_u32 v6, v6, v85
	s_delay_alu instid0(VALU_DEP_1) | instskip(SKIP_1) | instid1(VALU_DEP_2)
	v_cndmask_b32_e64 v6, v6, v85, s1
	s_mov_b32 s1, exec_lo
	v_mov_b32_dpp v5, v7 row_shr:8 row_mask:0xf bank_mask:0xf
	s_delay_alu instid0(VALU_DEP_2) | instskip(NEXT) | instid1(VALU_DEP_2)
	v_mov_b32_dpp v8, v6 row_shr:2 row_mask:0xf bank_mask:0xf
	v_add_nc_u32_e32 v9, v7, v5
	s_delay_alu instid0(VALU_DEP_2) | instskip(NEXT) | instid1(VALU_DEP_1)
	v_add_nc_u32_e32 v8, v6, v8
	v_cndmask_b32_e64 v6, v6, v8, s0
	s_delay_alu instid0(VALU_DEP_1) | instskip(NEXT) | instid1(VALU_DEP_1)
	v_mov_b32_dpp v8, v6 row_shr:4 row_mask:0xf bank_mask:0xf
	v_add_nc_u32_e32 v8, v6, v8
	s_delay_alu instid0(VALU_DEP_1) | instskip(SKIP_1) | instid1(VALU_DEP_2)
	v_cndmask_b32_e32 v6, v6, v8, vcc_lo
	v_cmp_lt_u32_e32 vcc_lo, 7, v81
	v_mov_b32_dpp v8, v6 row_shr:8 row_mask:0xf bank_mask:0xf
	s_delay_alu instid0(VALU_DEP_1) | instskip(SKIP_1) | instid1(VALU_DEP_1)
	v_add_nc_u32_e32 v5, v6, v8
	s_wait_alu 0xfffd
	v_cndmask_b32_e32 v5, v6, v5, vcc_lo
	v_cndmask_b32_e32 v6, v7, v9, vcc_lo
	v_cmp_eq_u32_e32 vcc_lo, 0, v83
	ds_swizzle_b32 v7, v5 offset:swizzle(BROADCAST,32,15)
	ds_swizzle_b32 v8, v6 offset:swizzle(BROADCAST,32,15)
	s_wait_dscnt 0x1
	v_add_nc_u32_e32 v7, v5, v7
	s_wait_dscnt 0x0
	v_add_nc_u32_e32 v8, v6, v8
	v_cmpx_eq_u32_e64 v0, v82
; %bb.142:
	s_wait_alu 0xfffd
	s_delay_alu instid0(VALU_DEP_2)
	v_dual_cndmask_b32 v9, v8, v6 :: v_dual_cndmask_b32 v10, v7, v5
	v_lshlrev_b32_e32 v11, 3, v80
	ds_store_b64 v11, v[9:10]
; %bb.143:
	s_wait_alu 0xfffe
	s_or_b32 exec_lo, exec_lo, s1
	s_delay_alu instid0(SALU_CYCLE_1)
	s_mov_b32 s1, exec_lo
	s_wait_loadcnt_dscnt 0x0
	s_barrier_signal -1
	s_barrier_wait -1
	global_inv scope:SCOPE_SE
	v_cmpx_gt_u32_e32 8, v0
	s_cbranch_execz .LBB1704_145
; %bb.144:
	v_lshlrev_b32_e32 v11, 3, v0
	v_and_b32_e32 v26, 7, v79
	ds_load_b64 v[9:10], v11
	v_cmp_eq_u32_e64 s0, 0, v26
	s_wait_dscnt 0x0
	v_mov_b32_dpp v12, v9 row_shr:1 row_mask:0xf bank_mask:0xf
	v_mov_b32_dpp v25, v10 row_shr:1 row_mask:0xf bank_mask:0xf
	s_delay_alu instid0(VALU_DEP_2) | instskip(NEXT) | instid1(VALU_DEP_2)
	v_add_nc_u32_e32 v12, v12, v9
	v_add_nc_u32_e32 v25, v25, v10
	s_wait_alu 0xf1ff
	s_delay_alu instid0(VALU_DEP_2) | instskip(NEXT) | instid1(VALU_DEP_2)
	v_cndmask_b32_e64 v9, v12, v9, s0
	v_cndmask_b32_e64 v10, v25, v10, s0
	v_cmp_lt_u32_e64 s0, 1, v26
	s_delay_alu instid0(VALU_DEP_3) | instskip(NEXT) | instid1(VALU_DEP_3)
	v_mov_b32_dpp v12, v9 row_shr:2 row_mask:0xf bank_mask:0xf
	v_mov_b32_dpp v25, v10 row_shr:2 row_mask:0xf bank_mask:0xf
	s_delay_alu instid0(VALU_DEP_2) | instskip(NEXT) | instid1(VALU_DEP_2)
	v_add_nc_u32_e32 v12, v9, v12
	v_add_nc_u32_e32 v25, v10, v25
	s_wait_alu 0xf1ff
	s_delay_alu instid0(VALU_DEP_2) | instskip(NEXT) | instid1(VALU_DEP_2)
	v_cndmask_b32_e64 v9, v9, v12, s0
	v_cndmask_b32_e64 v10, v10, v25, s0
	v_cmp_lt_u32_e64 s0, 3, v26
	s_delay_alu instid0(VALU_DEP_3) | instskip(NEXT) | instid1(VALU_DEP_3)
	v_mov_b32_dpp v12, v9 row_shr:4 row_mask:0xf bank_mask:0xf
	v_mov_b32_dpp v25, v10 row_shr:4 row_mask:0xf bank_mask:0xf
	s_wait_alu 0xf1ff
	s_delay_alu instid0(VALU_DEP_2) | instskip(NEXT) | instid1(VALU_DEP_2)
	v_cndmask_b32_e64 v12, 0, v12, s0
	v_cndmask_b32_e64 v25, 0, v25, s0
	s_delay_alu instid0(VALU_DEP_2) | instskip(NEXT) | instid1(VALU_DEP_2)
	v_add_nc_u32_e32 v9, v12, v9
	v_add_nc_u32_e32 v10, v25, v10
	ds_store_b64 v11, v[9:10]
.LBB1704_145:
	s_wait_alu 0xfffe
	s_or_b32 exec_lo, exec_lo, s1
	v_dual_mov_b32 v11, 0 :: v_dual_mov_b32 v10, 0
	v_mov_b32_e32 v9, 0
	s_mov_b32 s1, exec_lo
	s_wait_loadcnt_dscnt 0x0
	s_barrier_signal -1
	s_barrier_wait -1
	global_inv scope:SCOPE_SE
	v_cmpx_lt_u32_e32 31, v0
; %bb.146:
	v_lshl_add_u32 v9, v80, 3, -8
	ds_load_b64 v[9:10], v9
; %bb.147:
	s_wait_alu 0xfffe
	s_or_b32 exec_lo, exec_lo, s1
	v_sub_co_u32 v12, s0, v79, 1
	v_dual_cndmask_b32 v6, v8, v6 :: v_dual_cndmask_b32 v5, v7, v5
	s_delay_alu instid0(VALU_DEP_2) | instskip(SKIP_1) | instid1(VALU_DEP_2)
	v_cmp_gt_i32_e64 s1, 0, v12
	s_wait_dscnt 0x0
	v_add_nc_u32_e32 v6, v9, v6
	s_delay_alu instid0(VALU_DEP_3) | instskip(SKIP_2) | instid1(VALU_DEP_1)
	v_add_nc_u32_e32 v5, v10, v5
	s_wait_alu 0xf1ff
	v_cndmask_b32_e64 v8, v12, v79, s1
	v_lshlrev_b32_e32 v7, 2, v8
	ds_bpermute_b32 v12, v7, v6
	ds_bpermute_b32 v25, v7, v5
	ds_load_b64 v[5:6], v11 offset:56
	s_and_saveexec_b32 s1, s2
	s_cbranch_execz .LBB1704_149
; %bb.148:
	s_add_nc_u64 s[4:5], s[36:37], 0x200
	v_dual_mov_b32 v7, 2 :: v_dual_mov_b32 v8, 0
	s_wait_alu 0xfffe
	v_dual_mov_b32 v27, s5 :: v_dual_mov_b32 v26, s4
	s_wait_dscnt 0x0
	;;#ASMSTART
	global_store_b128 v[26:27], v[5:8] off scope:SCOPE_DEV	
s_wait_storecnt 0x0
	;;#ASMEND
.LBB1704_149:
	s_wait_alu 0xfffe
	s_or_b32 exec_lo, exec_lo, s1
	s_wait_dscnt 0x1
	v_cndmask_b32_e64 v7, v25, v10, s0
	v_cndmask_b32_e64 v9, v12, v9, s0
	v_mov_b32_e32 v8, 0
	s_wait_loadcnt_dscnt 0x0
	s_barrier_signal -1
	v_cndmask_b32_e64 v29, v7, 0, s2
	v_cndmask_b32_e64 v86, v9, 0, s2
	v_mov_b32_e32 v7, 0
	s_barrier_wait -1
	global_inv scope:SCOPE_SE
.LBB1704_150:
	v_lshrrev_b32_e32 v81, 8, v54
	s_wait_dscnt 0x0
	v_add_co_u32 v1, vcc_lo, v1, v7
	s_wait_alu 0xfffd
	v_add_co_ci_u32_e64 v2, null, 0, v2, vcc_lo
	v_and_b32_e32 v81, 1, v81
	v_sub_co_u32 v84, vcc_lo, v3, v5
	s_wait_alu 0xfffd
	v_subrev_co_ci_u32_e64 v85, null, 0, v4, vcc_lo
	s_delay_alu instid0(VALU_DEP_3)
	v_cmp_eq_u32_e32 vcc_lo, 1, v81
	v_add_nc_u32_e32 v78, v29, v78
	v_sub_nc_u32_e32 v29, v29, v8
	v_lshlrev_b32_e32 v87, 1, v5
	v_lshrrev_b32_e32 v79, 16, v54
	v_lshrrev_b32_e32 v80, 8, v47
	v_add_nc_u32_e32 v75, v78, v75
	v_sub_nc_u32_e32 v78, v78, v8
	v_add_nc_u32_e32 v29, v29, v5
	v_add3_u32 v90, v87, v6, v46
	v_and_b32_e32 v79, 1, v79
	v_lshrrev_b32_e32 v30, 16, v47
	v_add_nc_u32_e32 v78, v78, v5
	v_add_nc_u32_e32 v77, v86, v77
	v_sub_nc_u32_e32 v86, v86, v7
	v_and_b32_e32 v47, 1, v47
	v_and_b32_e32 v80, 1, v80
	v_and_b32_e32 v30, 1, v30
	v_add_nc_u32_e32 v74, v77, v74
	v_sub_nc_u32_e32 v77, v77, v7
	v_add_nc_u32_e32 v46, v86, v29
	v_lshrrev_b32_e32 v28, 8, v48
	v_lshrrev_b32_e32 v27, 16, v48
	v_and_b32_e32 v48, 1, v48
	v_add_nc_u32_e32 v91, v78, v77
	v_sub_nc_u32_e32 v46, v90, v46
	v_and_b32_e32 v28, 1, v28
	v_lshrrev_b32_e32 v25, 16, v49
	v_lshrrev_b32_e32 v26, 8, v49
	v_sub_nc_u32_e32 v91, v90, v91
	s_wait_alu 0xfffd
	v_cndmask_b32_e32 v29, v46, v29, vcc_lo
	v_cmp_eq_u32_e32 vcc_lo, 1, v79
	v_lshrrev_b32_e32 v12, 8, v51
	v_and_b32_e32 v26, 1, v26
	v_add_nc_u32_e32 v91, 1, v91
	v_lshrrev_b32_e32 v10, 16, v51
	v_lshrrev_b32_e32 v11, 8, v52
	v_and_b32_e32 v12, 1, v12
	v_lshrrev_b32_e32 v9, 16, v52
	s_wait_alu 0xfffd
	v_cndmask_b32_e32 v46, v91, v78, vcc_lo
	v_cmp_eq_u32_e32 vcc_lo, 1, v47
	v_add_nc_u32_e32 v82, v75, v60
	v_sub_nc_u32_e32 v75, v75, v8
	v_and_b32_e32 v60, 1, v60
	v_and_b32_e32 v10, 1, v10
	s_wait_alu 0xfffd
	v_cndmask_b32_e32 v29, v29, v86, vcc_lo
	v_cmp_eq_u32_e32 vcc_lo, 1, v80
	v_add_nc_u32_e32 v75, v75, v5
	v_sub_nc_u32_e32 v80, v82, v8
	v_and_b32_e32 v11, 1, v11
	v_lshlrev_b32_e32 v29, 2, v29
	s_wait_alu 0xfffd
	v_cndmask_b32_e32 v77, v46, v77, vcc_lo
	v_add_nc_u32_e32 v76, v74, v76
	v_sub_nc_u32_e32 v74, v74, v7
	v_add_co_u32 v46, vcc_lo, v84, v8
	s_wait_alu 0xfffd
	v_add_co_ci_u32_e64 v47, null, 0, v85, vcc_lo
	s_delay_alu instid0(VALU_DEP_3)
	v_add_nc_u32_e32 v79, v75, v74
	v_cmp_eq_u32_e32 vcc_lo, 1, v60
	v_add_nc_u32_e32 v83, v76, v59
	v_lshlrev_b32_e32 v77, 2, v77
	ds_store_b32 v29, v23
	ds_store_b32 v77, v24
	v_sub_nc_u32_e32 v79, v90, v79
	v_and_b32_e32 v9, 1, v9
	s_delay_alu instid0(VALU_DEP_2) | instskip(SKIP_1) | instid1(VALU_DEP_1)
	v_add_nc_u32_e32 v79, 2, v79
	s_wait_alu 0xfffd
	v_dual_cndmask_b32 v60, v79, v75 :: v_dual_add_nc_u32 v73, v82, v73
	s_delay_alu instid0(VALU_DEP_1)
	v_add_nc_u32_e32 v72, v73, v72
	v_sub_nc_u32_e32 v75, v76, v7
	v_sub_nc_u32_e32 v73, v73, v8
	v_add_nc_u32_e32 v76, v80, v5
	v_cmp_eq_u32_e32 vcc_lo, 1, v30
	s_wait_alu 0xfffd
	s_delay_alu instid0(VALU_DEP_3)
	v_dual_cndmask_b32 v30, v60, v74 :: v_dual_add_nc_u32 v73, v73, v5
	v_sub_nc_u32_e32 v60, v83, v7
	v_add_nc_u32_e32 v74, v75, v76
	v_cmp_eq_u32_e32 vcc_lo, 1, v48
	v_and_b32_e32 v48, 1, v49
	v_lshlrev_b32_e32 v23, 2, v30
	v_add_nc_u32_e32 v24, v60, v73
	v_sub_nc_u32_e32 v29, v90, v74
	v_and_b32_e32 v30, 1, v59
	v_sub_nc_u32_e32 v59, v72, v8
	ds_store_b32 v23, v21
	v_sub_nc_u32_e32 v24, v90, v24
	v_add_nc_u32_e32 v29, 3, v29
	v_and_b32_e32 v23, 1, v27
	v_add_nc_u32_e32 v59, v59, v5
	s_delay_alu instid0(VALU_DEP_4)
	v_add_nc_u32_e32 v24, 4, v24
	s_wait_alu 0xfffd
	v_cndmask_b32_e32 v29, v29, v76, vcc_lo
	v_cmp_eq_u32_e32 vcc_lo, 1, v28
	s_wait_alu 0xfffd
	v_dual_cndmask_b32 v24, v24, v73 :: v_dual_add_nc_u32 v71, v83, v71
	s_delay_alu instid0(VALU_DEP_1) | instskip(SKIP_2) | instid1(VALU_DEP_3)
	v_add_nc_u32_e32 v69, v71, v69
	v_sub_nc_u32_e32 v71, v71, v7
	v_cmp_eq_u32_e32 vcc_lo, 1, v30
	v_add_nc_u32_e32 v65, v69, v65
	s_delay_alu instid0(VALU_DEP_3)
	v_add_nc_u32_e32 v49, v71, v59
	s_wait_alu 0xfffd
	v_cndmask_b32_e32 v28, v29, v75, vcc_lo
	v_cmp_eq_u32_e32 vcc_lo, 1, v48
	v_add_nc_u32_e32 v89, v65, v57
	v_sub_nc_u32_e32 v29, v90, v49
	s_delay_alu instid0(VALU_DEP_4)
	v_lshlrev_b32_e32 v21, 2, v28
	s_wait_alu 0xfffd
	v_cndmask_b32_e32 v24, v24, v60, vcc_lo
	v_cmp_eq_u32_e32 vcc_lo, 1, v23
	v_sub_nc_u32_e32 v48, v89, v7
	v_add_nc_u32_e32 v27, 5, v29
	v_add_nc_u32_e32 v66, v89, v66
	v_lshlrev_b32_e32 v24, 2, v24
	ds_store_b32 v21, v22
	ds_store_b32 v24, v19
	s_wait_alu 0xfffd
	v_cndmask_b32_e32 v23, v27, v59, vcc_lo
	v_cmp_eq_u32_e32 vcc_lo, 1, v26
	v_sub_nc_u32_e32 v27, v69, v7
	v_sub_nc_u32_e32 v26, v65, v7
	v_and_b32_e32 v24, 1, v58
	v_add_nc_u32_e32 v63, v66, v63
	s_wait_alu 0xfffd
	v_dual_cndmask_b32 v23, v23, v71 :: v_dual_add_nc_u32 v70, v72, v70
	s_delay_alu instid0(VALU_DEP_3) | instskip(SKIP_1) | instid1(VALU_DEP_3)
	v_cmp_eq_u32_e32 vcc_lo, 1, v24
	v_and_b32_e32 v24, 1, v57
	v_lshlrev_b32_e32 v19, 2, v23
	s_delay_alu instid0(VALU_DEP_4) | instskip(SKIP_3) | instid1(VALU_DEP_4)
	v_add_nc_u32_e32 v88, v70, v58
	v_sub_nc_u32_e32 v28, v70, v8
	v_and_b32_e32 v23, 1, v25
	v_add_nc_u32_e32 v62, v63, v62
	v_sub_nc_u32_e32 v29, v88, v8
	s_delay_alu instid0(VALU_DEP_4) | instskip(SKIP_1) | instid1(VALU_DEP_4)
	v_add_nc_u32_e32 v28, v28, v5
	v_add_nc_u32_e32 v68, v88, v68
	;; [unrolled: 1-line block ×3, first 2 shown]
	s_delay_alu instid0(VALU_DEP_4) | instskip(NEXT) | instid1(VALU_DEP_4)
	v_add_nc_u32_e32 v29, v29, v5
	v_add_nc_u32_e32 v30, v27, v28
	s_delay_alu instid0(VALU_DEP_4) | instskip(SKIP_1) | instid1(VALU_DEP_4)
	v_sub_nc_u32_e32 v25, v68, v8
	v_add_nc_u32_e32 v67, v68, v67
	v_add_nc_u32_e32 v21, v26, v29
	s_delay_alu instid0(VALU_DEP_4)
	v_sub_nc_u32_e32 v22, v90, v30
	v_and_b32_e32 v30, 1, v51
	v_add_nc_u32_e32 v25, v25, v5
	v_add_nc_u32_e32 v64, v67, v64
	v_sub_nc_u32_e32 v21, v90, v21
	v_add_nc_u32_e32 v22, 6, v22
	s_delay_alu instid0(VALU_DEP_3) | instskip(SKIP_1) | instid1(VALU_DEP_2)
	v_add_nc_u32_e32 v92, v64, v56
	s_wait_alu 0xfffd
	v_dual_cndmask_b32 v22, v22, v28 :: v_dual_add_nc_u32 v21, 7, v21
	v_cmp_eq_u32_e32 vcc_lo, 1, v30
	v_add_nc_u32_e32 v28, v48, v25
	v_add_nc_u32_e32 v61, v92, v61
	s_wait_alu 0xfffd
	v_cndmask_b32_e32 v21, v21, v29, vcc_lo
	v_cmp_eq_u32_e32 vcc_lo, 1, v23
	v_sub_nc_u32_e32 v23, v90, v28
	s_wait_alu 0xfffd
	v_cndmask_b32_e32 v22, v22, v27, vcc_lo
	v_cmp_eq_u32_e32 vcc_lo, 1, v24
	v_sub_nc_u32_e32 v24, v67, v8
	v_add_nc_u32_e32 v23, 8, v23
	v_sub_nc_u32_e32 v27, v66, v7
	v_lshlrev_b32_e32 v22, 2, v22
	s_wait_alu 0xfffd
	v_dual_cndmask_b32 v21, v21, v26 :: v_dual_add_nc_u32 v24, v24, v5
	v_cmp_eq_u32_e32 vcc_lo, 1, v12
	v_and_b32_e32 v26, 1, v52
	s_delay_alu instid0(VALU_DEP_3)
	v_lshlrev_b32_e32 v21, 2, v21
	ds_store_b32 v19, v20
	ds_store_b32 v22, v17
	;; [unrolled: 1-line block ×3, first 2 shown]
	s_wait_alu 0xfffd
	v_cndmask_b32_e32 v12, v23, v25, vcc_lo
	v_add_nc_u32_e32 v23, v27, v24
	v_cmp_eq_u32_e32 vcc_lo, 1, v26
	v_sub_nc_u32_e32 v18, v64, v8
	v_sub_nc_u32_e32 v19, v63, v7
	;; [unrolled: 1-line block ×4, first 2 shown]
	s_wait_alu 0xfffd
	v_cndmask_b32_e32 v12, v12, v48, vcc_lo
	v_add_nc_u32_e32 v18, v18, v5
	v_cmp_eq_u32_e32 vcc_lo, 1, v10
	v_add_nc_u32_e32 v20, v20, v5
	v_add_nc_u32_e32 v17, 9, v17
	v_lshlrev_b32_e32 v12, 2, v12
	v_add_nc_u32_e32 v21, v19, v18
	v_and_b32_e32 v22, 1, v50
	s_wait_alu 0xfffd
	v_cndmask_b32_e32 v10, v17, v24, vcc_lo
	v_sub_nc_u32_e32 v17, v62, v7
	ds_store_b32 v12, v15
	v_cmp_eq_u32_e32 vcc_lo, 1, v11
	v_sub_nc_u32_e32 v12, v90, v21
	v_and_b32_e32 v15, 1, v56
	v_add_nc_u32_e32 v11, v17, v20
	v_sub_nc_u32_e32 v21, v61, v8
	s_wait_alu 0xfffd
	v_cndmask_b32_e32 v10, v10, v27, vcc_lo
	v_add_nc_u32_e32 v12, 10, v12
	v_cmp_eq_u32_e32 vcc_lo, 1, v15
	v_sub_nc_u32_e32 v11, v90, v11
	v_sub_nc_u32_e32 v7, v78, v7
	v_add_nc_u32_e32 v21, v21, v5
	s_wait_alu 0xfffd
	v_dual_cndmask_b32 v12, v12, v18 :: v_dual_and_b32 v15, 1, v55
	v_add_nc_u32_e32 v11, 11, v11
	v_cmp_eq_u32_e32 vcc_lo, 1, v22
	v_add_nc_u32_e32 v18, v7, v21
	s_wait_alu 0xfffd
	s_delay_alu instid0(VALU_DEP_3)
	v_dual_cndmask_b32 v11, v11, v20 :: v_dual_lshlrev_b32 v10, 2, v10
	v_cmp_eq_u32_e32 vcc_lo, 1, v9
	s_wait_alu 0xfffd
	v_cndmask_b32_e32 v9, v12, v19, vcc_lo
	v_cmp_eq_u32_e32 vcc_lo, 1, v15
	v_sub_nc_u32_e32 v12, v90, v18
	v_and_b32_e32 v15, 1, v53
	s_delay_alu instid0(VALU_DEP_4) | instskip(SKIP_1) | instid1(VALU_DEP_3)
	v_lshlrev_b32_e32 v9, 2, v9
	s_wait_alu 0xfffd
	v_dual_cndmask_b32 v11, v11, v17 :: v_dual_add_nc_u32 v12, 12, v12
	v_and_b32_e32 v17, 1, v54
	v_cmp_eq_u32_e32 vcc_lo, 1, v15
	s_delay_alu instid0(VALU_DEP_3)
	v_lshlrev_b32_e32 v11, 2, v11
	ds_store_b32 v10, v16
	ds_store_b32 v9, v13
	;; [unrolled: 1-line block ×3, first 2 shown]
	s_wait_alu 0xfffd
	v_cndmask_b32_e32 v12, v12, v21, vcc_lo
	v_cmp_eq_u32_e32 vcc_lo, 1, v17
	v_add_co_u32 v9, s0, v6, v87
	s_wait_alu 0xf1ff
	v_add_co_ci_u32_e64 v10, null, 0, 0, s0
	s_wait_alu 0xfffd
	v_cndmask_b32_e32 v7, v12, v7, vcc_lo
	v_add_co_u32 v9, vcc_lo, v9, v46
	s_wait_alu 0xfffd
	v_add_co_ci_u32_e64 v10, null, v10, v47, vcc_lo
	s_delay_alu instid0(VALU_DEP_3)
	v_lshlrev_b32_e32 v7, 2, v7
	v_add_co_u32 v11, s0, s34, v43
	v_add_co_u32 v9, vcc_lo, v9, v1
	s_wait_alu 0xf1ff
	v_add_co_ci_u32_e64 v12, null, s35, 0, s0
	s_wait_alu 0xfffd
	v_add_co_ci_u32_e64 v10, null, v10, v2, vcc_lo
	ds_store_b32 v7, v45
	v_sub_co_u32 v7, vcc_lo, v11, v9
	s_wait_alu 0xfffd
	v_sub_co_ci_u32_e64 v13, null, v12, v10, vcc_lo
	v_lshlrev_b64_e32 v[9:10], 2, v[46:47]
	v_lshlrev_b64_e32 v[11:12], 2, v[1:2]
	v_add_nc_u32_e32 v14, v5, v6
	s_wait_loadcnt_dscnt 0x0
	s_barrier_signal -1
	s_barrier_wait -1
	v_add_co_u32 v9, vcc_lo, s30, v9
	s_wait_alu 0xfffd
	v_add_co_ci_u32_e64 v10, null, s31, v10, vcc_lo
	v_cmp_ne_u32_e32 vcc_lo, 1, v44
	v_add_co_u32 v11, s0, s28, v11
	s_wait_alu 0xf1ff
	v_add_co_ci_u32_e64 v12, null, s29, v12, s0
	s_mov_b32 s0, -1
	global_inv scope:SCOPE_SE
	s_cbranch_vccz .LBB1704_154
; %bb.151:
	s_wait_alu 0xfffe
	s_and_b32 vcc_lo, exec_lo, s0
	s_wait_alu 0xfffe
	s_cbranch_vccnz .LBB1704_259
.LBB1704_152:
	s_and_b32 s0, s2, s26
	s_wait_alu 0xfffe
	s_and_saveexec_b32 s1, s0
	s_cbranch_execnz .LBB1704_377
.LBB1704_153:
	s_nop 0
	s_sendmsg sendmsg(MSG_DEALLOC_VGPRS)
	s_endpgm
.LBB1704_154:
	s_mov_b32 s0, exec_lo
	v_cmpx_ge_u32_e64 v0, v5
	s_wait_alu 0xfffe
	s_xor_b32 s0, exec_lo, s0
	s_cbranch_execz .LBB1704_160
; %bb.155:
	s_mov_b32 s1, exec_lo
	v_cmpx_ge_u32_e64 v0, v14
	s_wait_alu 0xfffe
	s_xor_b32 s1, exec_lo, s1
	s_cbranch_execz .LBB1704_157
; %bb.156:
	v_lshlrev_b32_e32 v15, 2, v0
	ds_load_b32 v17, v15
	v_add_co_u32 v15, vcc_lo, v7, v0
	s_wait_alu 0xfffd
	v_add_co_ci_u32_e64 v16, null, 0, v13, vcc_lo
	s_delay_alu instid0(VALU_DEP_1) | instskip(NEXT) | instid1(VALU_DEP_1)
	v_lshlrev_b64_e32 v[15:16], 2, v[15:16]
	v_sub_co_u32 v15, vcc_lo, s14, v15
	s_wait_alu 0xfffd
	s_delay_alu instid0(VALU_DEP_2)
	v_sub_co_ci_u32_e64 v16, null, s15, v16, vcc_lo
	s_wait_dscnt 0x0
	global_store_b32 v[15:16], v17, off offset:-4
.LBB1704_157:
	s_wait_alu 0xfffe
	s_and_not1_saveexec_b32 s1, s1
	s_cbranch_execz .LBB1704_159
; %bb.158:
	v_lshlrev_b32_e32 v15, 2, v0
	v_readfirstlane_b32 s4, v9
	v_readfirstlane_b32 s5, v10
	ds_load_b32 v16, v15
	s_wait_dscnt 0x0
	global_store_b32 v15, v16, s[4:5]
.LBB1704_159:
	s_wait_alu 0xfffe
	s_or_b32 exec_lo, exec_lo, s1
.LBB1704_160:
	s_wait_alu 0xfffe
	s_and_not1_saveexec_b32 s0, s0
	s_cbranch_execz .LBB1704_162
; %bb.161:
	v_lshlrev_b32_e32 v15, 2, v0
	v_readfirstlane_b32 s4, v11
	v_readfirstlane_b32 s5, v12
	ds_load_b32 v16, v15
	s_wait_dscnt 0x0
	global_store_b32 v15, v16, s[4:5]
.LBB1704_162:
	s_wait_alu 0xfffe
	s_or_b32 exec_lo, exec_lo, s0
	s_delay_alu instid0(SALU_CYCLE_1)
	s_mov_b32 s0, exec_lo
	v_cmpx_ge_u32_e64 v42, v5
	s_wait_alu 0xfffe
	s_xor_b32 s0, exec_lo, s0
	s_cbranch_execz .LBB1704_168
; %bb.163:
	s_mov_b32 s1, exec_lo
	v_cmpx_ge_u32_e64 v42, v14
	s_wait_alu 0xfffe
	s_xor_b32 s1, exec_lo, s1
	s_cbranch_execz .LBB1704_165
; %bb.164:
	v_lshlrev_b32_e32 v15, 2, v0
	ds_load_b32 v17, v15 offset:1024
	v_add_co_u32 v15, vcc_lo, v7, v0
	s_wait_alu 0xfffd
	v_add_co_ci_u32_e64 v16, null, 0, v13, vcc_lo
	s_delay_alu instid0(VALU_DEP_1) | instskip(NEXT) | instid1(VALU_DEP_1)
	v_lshlrev_b64_e32 v[15:16], 2, v[15:16]
	v_sub_co_u32 v15, vcc_lo, s14, v15
	s_wait_alu 0xfffd
	s_delay_alu instid0(VALU_DEP_2)
	v_sub_co_ci_u32_e64 v16, null, s15, v16, vcc_lo
	s_wait_dscnt 0x0
	global_store_b32 v[15:16], v17, off offset:-1028
.LBB1704_165:
	s_wait_alu 0xfffe
	s_and_not1_saveexec_b32 s1, s1
	s_cbranch_execz .LBB1704_167
; %bb.166:
	v_lshlrev_b32_e32 v15, 2, v0
	v_readfirstlane_b32 s4, v9
	v_readfirstlane_b32 s5, v10
	ds_load_b32 v16, v15 offset:1024
	s_wait_dscnt 0x0
	global_store_b32 v15, v16, s[4:5] offset:1024
.LBB1704_167:
	s_wait_alu 0xfffe
	s_or_b32 exec_lo, exec_lo, s1
.LBB1704_168:
	s_wait_alu 0xfffe
	s_and_not1_saveexec_b32 s0, s0
	s_cbranch_execz .LBB1704_170
; %bb.169:
	v_lshlrev_b32_e32 v15, 2, v0
	v_readfirstlane_b32 s4, v11
	v_readfirstlane_b32 s5, v12
	ds_load_b32 v16, v15 offset:1024
	s_wait_dscnt 0x0
	global_store_b32 v15, v16, s[4:5] offset:1024
.LBB1704_170:
	s_wait_alu 0xfffe
	s_or_b32 exec_lo, exec_lo, s0
	s_delay_alu instid0(SALU_CYCLE_1)
	s_mov_b32 s0, exec_lo
	v_cmpx_ge_u32_e64 v41, v5
	s_wait_alu 0xfffe
	s_xor_b32 s0, exec_lo, s0
	s_cbranch_execz .LBB1704_176
; %bb.171:
	s_mov_b32 s1, exec_lo
	v_cmpx_ge_u32_e64 v41, v14
	s_wait_alu 0xfffe
	s_xor_b32 s1, exec_lo, s1
	s_cbranch_execz .LBB1704_173
; %bb.172:
	v_lshlrev_b32_e32 v15, 2, v0
	ds_load_b32 v17, v15 offset:2048
	v_add_co_u32 v15, vcc_lo, v7, v0
	s_wait_alu 0xfffd
	v_add_co_ci_u32_e64 v16, null, 0, v13, vcc_lo
	s_delay_alu instid0(VALU_DEP_1) | instskip(NEXT) | instid1(VALU_DEP_1)
	v_lshlrev_b64_e32 v[15:16], 2, v[15:16]
	v_sub_co_u32 v15, vcc_lo, s14, v15
	s_wait_alu 0xfffd
	s_delay_alu instid0(VALU_DEP_2)
	v_sub_co_ci_u32_e64 v16, null, s15, v16, vcc_lo
	s_wait_dscnt 0x0
	global_store_b32 v[15:16], v17, off offset:-2052
.LBB1704_173:
	s_wait_alu 0xfffe
	s_and_not1_saveexec_b32 s1, s1
	s_cbranch_execz .LBB1704_175
; %bb.174:
	v_lshlrev_b32_e32 v15, 2, v0
	v_readfirstlane_b32 s4, v9
	v_readfirstlane_b32 s5, v10
	ds_load_b32 v16, v15 offset:2048
	s_wait_dscnt 0x0
	global_store_b32 v15, v16, s[4:5] offset:2048
.LBB1704_175:
	s_wait_alu 0xfffe
	s_or_b32 exec_lo, exec_lo, s1
.LBB1704_176:
	s_wait_alu 0xfffe
	s_and_not1_saveexec_b32 s0, s0
	s_cbranch_execz .LBB1704_178
; %bb.177:
	v_lshlrev_b32_e32 v15, 2, v0
	v_readfirstlane_b32 s4, v11
	v_readfirstlane_b32 s5, v12
	ds_load_b32 v16, v15 offset:2048
	s_wait_dscnt 0x0
	global_store_b32 v15, v16, s[4:5] offset:2048
.LBB1704_178:
	s_wait_alu 0xfffe
	s_or_b32 exec_lo, exec_lo, s0
	s_delay_alu instid0(SALU_CYCLE_1)
	s_mov_b32 s0, exec_lo
	v_cmpx_ge_u32_e64 v40, v5
	s_wait_alu 0xfffe
	s_xor_b32 s0, exec_lo, s0
	s_cbranch_execz .LBB1704_184
; %bb.179:
	s_mov_b32 s1, exec_lo
	v_cmpx_ge_u32_e64 v40, v14
	s_wait_alu 0xfffe
	s_xor_b32 s1, exec_lo, s1
	s_cbranch_execz .LBB1704_181
; %bb.180:
	v_lshlrev_b32_e32 v15, 2, v0
	ds_load_b32 v17, v15 offset:3072
	v_add_co_u32 v15, vcc_lo, v7, v0
	s_wait_alu 0xfffd
	v_add_co_ci_u32_e64 v16, null, 0, v13, vcc_lo
	s_delay_alu instid0(VALU_DEP_1) | instskip(NEXT) | instid1(VALU_DEP_1)
	v_lshlrev_b64_e32 v[15:16], 2, v[15:16]
	v_sub_co_u32 v15, vcc_lo, s14, v15
	s_wait_alu 0xfffd
	s_delay_alu instid0(VALU_DEP_2)
	v_sub_co_ci_u32_e64 v16, null, s15, v16, vcc_lo
	s_wait_dscnt 0x0
	global_store_b32 v[15:16], v17, off offset:-3076
.LBB1704_181:
	s_wait_alu 0xfffe
	s_and_not1_saveexec_b32 s1, s1
	s_cbranch_execz .LBB1704_183
; %bb.182:
	v_lshlrev_b32_e32 v15, 2, v0
	v_readfirstlane_b32 s4, v9
	v_readfirstlane_b32 s5, v10
	ds_load_b32 v16, v15 offset:3072
	s_wait_dscnt 0x0
	global_store_b32 v15, v16, s[4:5] offset:3072
.LBB1704_183:
	s_wait_alu 0xfffe
	s_or_b32 exec_lo, exec_lo, s1
.LBB1704_184:
	s_wait_alu 0xfffe
	s_and_not1_saveexec_b32 s0, s0
	s_cbranch_execz .LBB1704_186
; %bb.185:
	v_lshlrev_b32_e32 v15, 2, v0
	v_readfirstlane_b32 s4, v11
	v_readfirstlane_b32 s5, v12
	ds_load_b32 v16, v15 offset:3072
	s_wait_dscnt 0x0
	global_store_b32 v15, v16, s[4:5] offset:3072
.LBB1704_186:
	s_wait_alu 0xfffe
	s_or_b32 exec_lo, exec_lo, s0
	s_delay_alu instid0(SALU_CYCLE_1)
	s_mov_b32 s0, exec_lo
	v_cmpx_ge_u32_e64 v39, v5
	s_wait_alu 0xfffe
	s_xor_b32 s0, exec_lo, s0
	s_cbranch_execz .LBB1704_192
; %bb.187:
	s_mov_b32 s1, exec_lo
	v_cmpx_ge_u32_e64 v39, v14
	s_wait_alu 0xfffe
	s_xor_b32 s1, exec_lo, s1
	s_cbranch_execz .LBB1704_189
; %bb.188:
	v_lshlrev_b32_e32 v15, 2, v0
	ds_load_b32 v17, v15 offset:4096
	v_add_co_u32 v15, vcc_lo, v7, v0
	s_wait_alu 0xfffd
	v_add_co_ci_u32_e64 v16, null, 0, v13, vcc_lo
	s_delay_alu instid0(VALU_DEP_1) | instskip(NEXT) | instid1(VALU_DEP_1)
	v_lshlrev_b64_e32 v[15:16], 2, v[15:16]
	v_sub_co_u32 v15, vcc_lo, s14, v15
	s_wait_alu 0xfffd
	s_delay_alu instid0(VALU_DEP_2)
	v_sub_co_ci_u32_e64 v16, null, s15, v16, vcc_lo
	s_wait_dscnt 0x0
	global_store_b32 v[15:16], v17, off offset:-4100
.LBB1704_189:
	s_wait_alu 0xfffe
	s_and_not1_saveexec_b32 s1, s1
	s_cbranch_execz .LBB1704_191
; %bb.190:
	v_lshlrev_b32_e32 v15, 2, v0
	v_readfirstlane_b32 s4, v9
	v_readfirstlane_b32 s5, v10
	ds_load_b32 v16, v15 offset:4096
	s_wait_dscnt 0x0
	global_store_b32 v15, v16, s[4:5] offset:4096
.LBB1704_191:
	s_wait_alu 0xfffe
	s_or_b32 exec_lo, exec_lo, s1
.LBB1704_192:
	s_wait_alu 0xfffe
	s_and_not1_saveexec_b32 s0, s0
	s_cbranch_execz .LBB1704_194
; %bb.193:
	v_lshlrev_b32_e32 v15, 2, v0
	v_readfirstlane_b32 s4, v11
	v_readfirstlane_b32 s5, v12
	ds_load_b32 v16, v15 offset:4096
	s_wait_dscnt 0x0
	global_store_b32 v15, v16, s[4:5] offset:4096
.LBB1704_194:
	s_wait_alu 0xfffe
	s_or_b32 exec_lo, exec_lo, s0
	s_delay_alu instid0(SALU_CYCLE_1)
	s_mov_b32 s0, exec_lo
	v_cmpx_ge_u32_e64 v38, v5
	s_wait_alu 0xfffe
	s_xor_b32 s0, exec_lo, s0
	s_cbranch_execz .LBB1704_200
; %bb.195:
	s_mov_b32 s1, exec_lo
	v_cmpx_ge_u32_e64 v38, v14
	s_wait_alu 0xfffe
	s_xor_b32 s1, exec_lo, s1
	s_cbranch_execz .LBB1704_197
; %bb.196:
	v_lshlrev_b32_e32 v15, 2, v0
	ds_load_b32 v17, v15 offset:5120
	v_add_co_u32 v15, vcc_lo, v7, v0
	s_wait_alu 0xfffd
	v_add_co_ci_u32_e64 v16, null, 0, v13, vcc_lo
	s_delay_alu instid0(VALU_DEP_1) | instskip(NEXT) | instid1(VALU_DEP_1)
	v_lshlrev_b64_e32 v[15:16], 2, v[15:16]
	v_sub_co_u32 v15, vcc_lo, s14, v15
	s_wait_alu 0xfffd
	s_delay_alu instid0(VALU_DEP_2)
	v_sub_co_ci_u32_e64 v16, null, s15, v16, vcc_lo
	s_wait_dscnt 0x0
	global_store_b32 v[15:16], v17, off offset:-5124
.LBB1704_197:
	s_wait_alu 0xfffe
	s_and_not1_saveexec_b32 s1, s1
	s_cbranch_execz .LBB1704_199
; %bb.198:
	v_lshlrev_b32_e32 v15, 2, v0
	v_readfirstlane_b32 s4, v9
	v_readfirstlane_b32 s5, v10
	ds_load_b32 v16, v15 offset:5120
	s_wait_dscnt 0x0
	global_store_b32 v15, v16, s[4:5] offset:5120
.LBB1704_199:
	s_wait_alu 0xfffe
	s_or_b32 exec_lo, exec_lo, s1
.LBB1704_200:
	s_wait_alu 0xfffe
	s_and_not1_saveexec_b32 s0, s0
	s_cbranch_execz .LBB1704_202
; %bb.201:
	v_lshlrev_b32_e32 v15, 2, v0
	v_readfirstlane_b32 s4, v11
	v_readfirstlane_b32 s5, v12
	ds_load_b32 v16, v15 offset:5120
	s_wait_dscnt 0x0
	global_store_b32 v15, v16, s[4:5] offset:5120
.LBB1704_202:
	s_wait_alu 0xfffe
	s_or_b32 exec_lo, exec_lo, s0
	s_delay_alu instid0(SALU_CYCLE_1)
	s_mov_b32 s0, exec_lo
	v_cmpx_ge_u32_e64 v37, v5
	s_wait_alu 0xfffe
	s_xor_b32 s0, exec_lo, s0
	s_cbranch_execz .LBB1704_208
; %bb.203:
	s_mov_b32 s1, exec_lo
	v_cmpx_ge_u32_e64 v37, v14
	s_wait_alu 0xfffe
	s_xor_b32 s1, exec_lo, s1
	s_cbranch_execz .LBB1704_205
; %bb.204:
	v_lshlrev_b32_e32 v15, 2, v0
	ds_load_b32 v17, v15 offset:6144
	v_add_co_u32 v15, vcc_lo, v7, v0
	s_wait_alu 0xfffd
	v_add_co_ci_u32_e64 v16, null, 0, v13, vcc_lo
	s_delay_alu instid0(VALU_DEP_1) | instskip(NEXT) | instid1(VALU_DEP_1)
	v_lshlrev_b64_e32 v[15:16], 2, v[15:16]
	v_sub_co_u32 v15, vcc_lo, s14, v15
	s_wait_alu 0xfffd
	s_delay_alu instid0(VALU_DEP_2)
	v_sub_co_ci_u32_e64 v16, null, s15, v16, vcc_lo
	s_wait_dscnt 0x0
	global_store_b32 v[15:16], v17, off offset:-6148
.LBB1704_205:
	s_wait_alu 0xfffe
	s_and_not1_saveexec_b32 s1, s1
	s_cbranch_execz .LBB1704_207
; %bb.206:
	v_lshlrev_b32_e32 v15, 2, v0
	v_readfirstlane_b32 s4, v9
	v_readfirstlane_b32 s5, v10
	ds_load_b32 v16, v15 offset:6144
	s_wait_dscnt 0x0
	global_store_b32 v15, v16, s[4:5] offset:6144
.LBB1704_207:
	s_wait_alu 0xfffe
	s_or_b32 exec_lo, exec_lo, s1
.LBB1704_208:
	s_wait_alu 0xfffe
	s_and_not1_saveexec_b32 s0, s0
	s_cbranch_execz .LBB1704_210
; %bb.209:
	v_lshlrev_b32_e32 v15, 2, v0
	v_readfirstlane_b32 s4, v11
	v_readfirstlane_b32 s5, v12
	ds_load_b32 v16, v15 offset:6144
	s_wait_dscnt 0x0
	global_store_b32 v15, v16, s[4:5] offset:6144
.LBB1704_210:
	s_wait_alu 0xfffe
	s_or_b32 exec_lo, exec_lo, s0
	s_delay_alu instid0(SALU_CYCLE_1)
	s_mov_b32 s0, exec_lo
	v_cmpx_ge_u32_e64 v36, v5
	s_wait_alu 0xfffe
	s_xor_b32 s0, exec_lo, s0
	s_cbranch_execz .LBB1704_216
; %bb.211:
	s_mov_b32 s1, exec_lo
	v_cmpx_ge_u32_e64 v36, v14
	s_wait_alu 0xfffe
	s_xor_b32 s1, exec_lo, s1
	s_cbranch_execz .LBB1704_213
; %bb.212:
	v_lshlrev_b32_e32 v15, 2, v0
	ds_load_b32 v17, v15 offset:7168
	v_add_co_u32 v15, vcc_lo, v7, v0
	s_wait_alu 0xfffd
	v_add_co_ci_u32_e64 v16, null, 0, v13, vcc_lo
	s_delay_alu instid0(VALU_DEP_1) | instskip(NEXT) | instid1(VALU_DEP_1)
	v_lshlrev_b64_e32 v[15:16], 2, v[15:16]
	v_sub_co_u32 v15, vcc_lo, s14, v15
	s_wait_alu 0xfffd
	s_delay_alu instid0(VALU_DEP_2)
	v_sub_co_ci_u32_e64 v16, null, s15, v16, vcc_lo
	s_wait_dscnt 0x0
	global_store_b32 v[15:16], v17, off offset:-7172
.LBB1704_213:
	s_wait_alu 0xfffe
	s_and_not1_saveexec_b32 s1, s1
	s_cbranch_execz .LBB1704_215
; %bb.214:
	v_lshlrev_b32_e32 v15, 2, v0
	v_readfirstlane_b32 s4, v9
	v_readfirstlane_b32 s5, v10
	ds_load_b32 v16, v15 offset:7168
	s_wait_dscnt 0x0
	global_store_b32 v15, v16, s[4:5] offset:7168
.LBB1704_215:
	s_wait_alu 0xfffe
	s_or_b32 exec_lo, exec_lo, s1
.LBB1704_216:
	s_wait_alu 0xfffe
	s_and_not1_saveexec_b32 s0, s0
	s_cbranch_execz .LBB1704_218
; %bb.217:
	v_lshlrev_b32_e32 v15, 2, v0
	v_readfirstlane_b32 s4, v11
	v_readfirstlane_b32 s5, v12
	ds_load_b32 v16, v15 offset:7168
	s_wait_dscnt 0x0
	global_store_b32 v15, v16, s[4:5] offset:7168
.LBB1704_218:
	s_wait_alu 0xfffe
	s_or_b32 exec_lo, exec_lo, s0
	s_delay_alu instid0(SALU_CYCLE_1)
	s_mov_b32 s0, exec_lo
	v_cmpx_ge_u32_e64 v35, v5
	s_wait_alu 0xfffe
	s_xor_b32 s0, exec_lo, s0
	s_cbranch_execz .LBB1704_224
; %bb.219:
	s_mov_b32 s1, exec_lo
	v_cmpx_ge_u32_e64 v35, v14
	s_wait_alu 0xfffe
	s_xor_b32 s1, exec_lo, s1
	s_cbranch_execz .LBB1704_221
; %bb.220:
	v_lshlrev_b32_e32 v15, 2, v0
	ds_load_b32 v17, v15 offset:8192
	v_add_co_u32 v15, vcc_lo, v7, v0
	s_wait_alu 0xfffd
	v_add_co_ci_u32_e64 v16, null, 0, v13, vcc_lo
	s_delay_alu instid0(VALU_DEP_1) | instskip(NEXT) | instid1(VALU_DEP_1)
	v_lshlrev_b64_e32 v[15:16], 2, v[15:16]
	v_sub_co_u32 v15, vcc_lo, s14, v15
	s_wait_alu 0xfffd
	s_delay_alu instid0(VALU_DEP_2)
	v_sub_co_ci_u32_e64 v16, null, s15, v16, vcc_lo
	s_wait_dscnt 0x0
	global_store_b32 v[15:16], v17, off offset:-8196
.LBB1704_221:
	s_wait_alu 0xfffe
	s_and_not1_saveexec_b32 s1, s1
	s_cbranch_execz .LBB1704_223
; %bb.222:
	v_lshlrev_b32_e32 v15, 2, v0
	v_readfirstlane_b32 s4, v9
	v_readfirstlane_b32 s5, v10
	ds_load_b32 v16, v15 offset:8192
	s_wait_dscnt 0x0
	global_store_b32 v15, v16, s[4:5] offset:8192
.LBB1704_223:
	s_wait_alu 0xfffe
	s_or_b32 exec_lo, exec_lo, s1
.LBB1704_224:
	s_wait_alu 0xfffe
	s_and_not1_saveexec_b32 s0, s0
	s_cbranch_execz .LBB1704_226
; %bb.225:
	v_lshlrev_b32_e32 v15, 2, v0
	v_readfirstlane_b32 s4, v11
	v_readfirstlane_b32 s5, v12
	ds_load_b32 v16, v15 offset:8192
	s_wait_dscnt 0x0
	global_store_b32 v15, v16, s[4:5] offset:8192
.LBB1704_226:
	s_wait_alu 0xfffe
	s_or_b32 exec_lo, exec_lo, s0
	s_delay_alu instid0(SALU_CYCLE_1)
	s_mov_b32 s0, exec_lo
	v_cmpx_ge_u32_e64 v34, v5
	s_wait_alu 0xfffe
	s_xor_b32 s0, exec_lo, s0
	s_cbranch_execz .LBB1704_232
; %bb.227:
	s_mov_b32 s1, exec_lo
	v_cmpx_ge_u32_e64 v34, v14
	s_wait_alu 0xfffe
	s_xor_b32 s1, exec_lo, s1
	s_cbranch_execz .LBB1704_229
; %bb.228:
	v_lshlrev_b32_e32 v15, 2, v0
	ds_load_b32 v17, v15 offset:9216
	v_add_co_u32 v15, vcc_lo, v7, v0
	s_wait_alu 0xfffd
	v_add_co_ci_u32_e64 v16, null, 0, v13, vcc_lo
	s_delay_alu instid0(VALU_DEP_1) | instskip(NEXT) | instid1(VALU_DEP_1)
	v_lshlrev_b64_e32 v[15:16], 2, v[15:16]
	v_sub_co_u32 v15, vcc_lo, s14, v15
	s_wait_alu 0xfffd
	s_delay_alu instid0(VALU_DEP_2)
	v_sub_co_ci_u32_e64 v16, null, s15, v16, vcc_lo
	s_wait_dscnt 0x0
	global_store_b32 v[15:16], v17, off offset:-9220
.LBB1704_229:
	s_wait_alu 0xfffe
	s_and_not1_saveexec_b32 s1, s1
	s_cbranch_execz .LBB1704_231
; %bb.230:
	v_lshlrev_b32_e32 v15, 2, v0
	v_readfirstlane_b32 s4, v9
	v_readfirstlane_b32 s5, v10
	ds_load_b32 v16, v15 offset:9216
	s_wait_dscnt 0x0
	global_store_b32 v15, v16, s[4:5] offset:9216
.LBB1704_231:
	s_wait_alu 0xfffe
	s_or_b32 exec_lo, exec_lo, s1
.LBB1704_232:
	s_wait_alu 0xfffe
	s_and_not1_saveexec_b32 s0, s0
	s_cbranch_execz .LBB1704_234
; %bb.233:
	v_lshlrev_b32_e32 v15, 2, v0
	v_readfirstlane_b32 s4, v11
	v_readfirstlane_b32 s5, v12
	ds_load_b32 v16, v15 offset:9216
	s_wait_dscnt 0x0
	global_store_b32 v15, v16, s[4:5] offset:9216
.LBB1704_234:
	s_wait_alu 0xfffe
	s_or_b32 exec_lo, exec_lo, s0
	s_delay_alu instid0(SALU_CYCLE_1)
	s_mov_b32 s0, exec_lo
	v_cmpx_ge_u32_e64 v33, v5
	s_wait_alu 0xfffe
	s_xor_b32 s0, exec_lo, s0
	s_cbranch_execz .LBB1704_240
; %bb.235:
	s_mov_b32 s1, exec_lo
	v_cmpx_ge_u32_e64 v33, v14
	s_wait_alu 0xfffe
	s_xor_b32 s1, exec_lo, s1
	s_cbranch_execz .LBB1704_237
; %bb.236:
	v_lshlrev_b32_e32 v15, 2, v0
	ds_load_b32 v17, v15 offset:10240
	v_add_co_u32 v15, vcc_lo, v7, v0
	s_wait_alu 0xfffd
	v_add_co_ci_u32_e64 v16, null, 0, v13, vcc_lo
	s_delay_alu instid0(VALU_DEP_1) | instskip(NEXT) | instid1(VALU_DEP_1)
	v_lshlrev_b64_e32 v[15:16], 2, v[15:16]
	v_sub_co_u32 v15, vcc_lo, s14, v15
	s_wait_alu 0xfffd
	s_delay_alu instid0(VALU_DEP_2)
	v_sub_co_ci_u32_e64 v16, null, s15, v16, vcc_lo
	s_wait_dscnt 0x0
	global_store_b32 v[15:16], v17, off offset:-10244
.LBB1704_237:
	s_wait_alu 0xfffe
	s_and_not1_saveexec_b32 s1, s1
	s_cbranch_execz .LBB1704_239
; %bb.238:
	v_lshlrev_b32_e32 v15, 2, v0
	v_readfirstlane_b32 s4, v9
	v_readfirstlane_b32 s5, v10
	ds_load_b32 v16, v15 offset:10240
	s_wait_dscnt 0x0
	global_store_b32 v15, v16, s[4:5] offset:10240
.LBB1704_239:
	s_wait_alu 0xfffe
	s_or_b32 exec_lo, exec_lo, s1
.LBB1704_240:
	s_wait_alu 0xfffe
	s_and_not1_saveexec_b32 s0, s0
	s_cbranch_execz .LBB1704_242
; %bb.241:
	v_lshlrev_b32_e32 v15, 2, v0
	v_readfirstlane_b32 s4, v11
	v_readfirstlane_b32 s5, v12
	ds_load_b32 v16, v15 offset:10240
	s_wait_dscnt 0x0
	global_store_b32 v15, v16, s[4:5] offset:10240
.LBB1704_242:
	s_wait_alu 0xfffe
	s_or_b32 exec_lo, exec_lo, s0
	s_delay_alu instid0(SALU_CYCLE_1)
	s_mov_b32 s0, exec_lo
	v_cmpx_ge_u32_e64 v32, v5
	s_wait_alu 0xfffe
	s_xor_b32 s0, exec_lo, s0
	s_cbranch_execz .LBB1704_248
; %bb.243:
	s_mov_b32 s1, exec_lo
	v_cmpx_ge_u32_e64 v32, v14
	s_wait_alu 0xfffe
	s_xor_b32 s1, exec_lo, s1
	s_cbranch_execz .LBB1704_245
; %bb.244:
	v_lshlrev_b32_e32 v15, 2, v0
	ds_load_b32 v17, v15 offset:11264
	v_add_co_u32 v15, vcc_lo, v7, v0
	s_wait_alu 0xfffd
	v_add_co_ci_u32_e64 v16, null, 0, v13, vcc_lo
	s_delay_alu instid0(VALU_DEP_1) | instskip(NEXT) | instid1(VALU_DEP_1)
	v_lshlrev_b64_e32 v[15:16], 2, v[15:16]
	v_sub_co_u32 v15, vcc_lo, s14, v15
	s_wait_alu 0xfffd
	s_delay_alu instid0(VALU_DEP_2)
	v_sub_co_ci_u32_e64 v16, null, s15, v16, vcc_lo
	s_wait_dscnt 0x0
	global_store_b32 v[15:16], v17, off offset:-11268
.LBB1704_245:
	s_wait_alu 0xfffe
	s_and_not1_saveexec_b32 s1, s1
	s_cbranch_execz .LBB1704_247
; %bb.246:
	v_lshlrev_b32_e32 v15, 2, v0
	v_readfirstlane_b32 s4, v9
	v_readfirstlane_b32 s5, v10
	ds_load_b32 v16, v15 offset:11264
	s_wait_dscnt 0x0
	global_store_b32 v15, v16, s[4:5] offset:11264
.LBB1704_247:
	s_wait_alu 0xfffe
	s_or_b32 exec_lo, exec_lo, s1
.LBB1704_248:
	s_wait_alu 0xfffe
	s_and_not1_saveexec_b32 s0, s0
	s_cbranch_execz .LBB1704_250
; %bb.249:
	v_lshlrev_b32_e32 v15, 2, v0
	v_readfirstlane_b32 s4, v11
	v_readfirstlane_b32 s5, v12
	ds_load_b32 v16, v15 offset:11264
	s_wait_dscnt 0x0
	global_store_b32 v15, v16, s[4:5] offset:11264
.LBB1704_250:
	s_wait_alu 0xfffe
	s_or_b32 exec_lo, exec_lo, s0
	s_delay_alu instid0(SALU_CYCLE_1)
	s_mov_b32 s0, exec_lo
	v_cmpx_ge_u32_e64 v31, v5
	s_wait_alu 0xfffe
	s_xor_b32 s0, exec_lo, s0
	s_cbranch_execz .LBB1704_256
; %bb.251:
	s_mov_b32 s1, exec_lo
	v_cmpx_ge_u32_e64 v31, v14
	s_wait_alu 0xfffe
	s_xor_b32 s1, exec_lo, s1
	s_cbranch_execz .LBB1704_253
; %bb.252:
	v_lshlrev_b32_e32 v15, 2, v0
	ds_load_b32 v17, v15 offset:12288
	v_add_co_u32 v15, vcc_lo, v7, v0
	s_wait_alu 0xfffd
	v_add_co_ci_u32_e64 v16, null, 0, v13, vcc_lo
	s_delay_alu instid0(VALU_DEP_1) | instskip(NEXT) | instid1(VALU_DEP_1)
	v_lshlrev_b64_e32 v[15:16], 2, v[15:16]
	v_sub_co_u32 v15, vcc_lo, s14, v15
	s_wait_alu 0xfffd
	s_delay_alu instid0(VALU_DEP_2)
	v_sub_co_ci_u32_e64 v16, null, s15, v16, vcc_lo
	s_wait_dscnt 0x0
	global_store_b32 v[15:16], v17, off offset:-12292
.LBB1704_253:
	s_wait_alu 0xfffe
	s_and_not1_saveexec_b32 s1, s1
	s_cbranch_execz .LBB1704_255
; %bb.254:
	v_lshlrev_b32_e32 v15, 2, v0
	v_readfirstlane_b32 s4, v9
	v_readfirstlane_b32 s5, v10
	ds_load_b32 v16, v15 offset:12288
	s_wait_dscnt 0x0
	global_store_b32 v15, v16, s[4:5] offset:12288
.LBB1704_255:
	s_wait_alu 0xfffe
	s_or_b32 exec_lo, exec_lo, s1
.LBB1704_256:
	s_wait_alu 0xfffe
	s_and_not1_saveexec_b32 s0, s0
	s_cbranch_execz .LBB1704_258
; %bb.257:
	v_lshlrev_b32_e32 v15, 2, v0
	v_readfirstlane_b32 s4, v11
	v_readfirstlane_b32 s5, v12
	ds_load_b32 v16, v15 offset:12288
	s_wait_dscnt 0x0
	global_store_b32 v15, v16, s[4:5] offset:12288
.LBB1704_258:
	s_wait_alu 0xfffe
	s_or_b32 exec_lo, exec_lo, s0
	s_branch .LBB1704_152
.LBB1704_259:
	s_mov_b32 s0, exec_lo
	v_cmpx_gt_u32_e64 s27, v0
	s_cbranch_execz .LBB1704_268
; %bb.260:
	s_mov_b32 s1, exec_lo
	v_cmpx_ge_u32_e64 v0, v5
	s_wait_alu 0xfffe
	s_xor_b32 s1, exec_lo, s1
	s_cbranch_execz .LBB1704_266
; %bb.261:
	s_mov_b32 s3, exec_lo
	v_cmpx_ge_u32_e64 v0, v14
	s_wait_alu 0xfffe
	s_xor_b32 s3, exec_lo, s3
	s_cbranch_execz .LBB1704_263
; %bb.262:
	v_lshlrev_b32_e32 v15, 2, v0
	ds_load_b32 v17, v15
	v_add_co_u32 v15, vcc_lo, v7, v0
	s_wait_alu 0xfffd
	v_add_co_ci_u32_e64 v16, null, 0, v13, vcc_lo
	s_delay_alu instid0(VALU_DEP_1) | instskip(NEXT) | instid1(VALU_DEP_1)
	v_lshlrev_b64_e32 v[15:16], 2, v[15:16]
	v_sub_co_u32 v15, vcc_lo, s14, v15
	s_wait_alu 0xfffd
	s_delay_alu instid0(VALU_DEP_2)
	v_sub_co_ci_u32_e64 v16, null, s15, v16, vcc_lo
	s_wait_dscnt 0x0
	global_store_b32 v[15:16], v17, off offset:-4
.LBB1704_263:
	s_wait_alu 0xfffe
	s_and_not1_saveexec_b32 s3, s3
	s_cbranch_execz .LBB1704_265
; %bb.264:
	v_lshlrev_b32_e32 v15, 2, v0
	v_readfirstlane_b32 s4, v9
	v_readfirstlane_b32 s5, v10
	ds_load_b32 v16, v15
	s_wait_dscnt 0x0
	global_store_b32 v15, v16, s[4:5]
.LBB1704_265:
	s_wait_alu 0xfffe
	s_or_b32 exec_lo, exec_lo, s3
.LBB1704_266:
	s_wait_alu 0xfffe
	s_and_not1_saveexec_b32 s1, s1
	s_cbranch_execz .LBB1704_268
; %bb.267:
	v_lshlrev_b32_e32 v15, 2, v0
	v_readfirstlane_b32 s4, v11
	v_readfirstlane_b32 s5, v12
	ds_load_b32 v16, v15
	s_wait_dscnt 0x0
	global_store_b32 v15, v16, s[4:5]
.LBB1704_268:
	s_wait_alu 0xfffe
	s_or_b32 exec_lo, exec_lo, s0
	s_delay_alu instid0(SALU_CYCLE_1)
	s_mov_b32 s0, exec_lo
	v_cmpx_gt_u32_e64 s27, v42
	s_cbranch_execz .LBB1704_277
; %bb.269:
	s_mov_b32 s1, exec_lo
	v_cmpx_ge_u32_e64 v42, v5
	s_wait_alu 0xfffe
	s_xor_b32 s1, exec_lo, s1
	s_cbranch_execz .LBB1704_275
; %bb.270:
	s_mov_b32 s3, exec_lo
	v_cmpx_ge_u32_e64 v42, v14
	s_wait_alu 0xfffe
	s_xor_b32 s3, exec_lo, s3
	s_cbranch_execz .LBB1704_272
; %bb.271:
	v_lshlrev_b32_e32 v15, 2, v0
	ds_load_b32 v17, v15 offset:1024
	v_add_co_u32 v15, vcc_lo, v7, v0
	s_wait_alu 0xfffd
	v_add_co_ci_u32_e64 v16, null, 0, v13, vcc_lo
	s_delay_alu instid0(VALU_DEP_1) | instskip(NEXT) | instid1(VALU_DEP_1)
	v_lshlrev_b64_e32 v[15:16], 2, v[15:16]
	v_sub_co_u32 v15, vcc_lo, s14, v15
	s_wait_alu 0xfffd
	s_delay_alu instid0(VALU_DEP_2)
	v_sub_co_ci_u32_e64 v16, null, s15, v16, vcc_lo
	s_wait_dscnt 0x0
	global_store_b32 v[15:16], v17, off offset:-1028
.LBB1704_272:
	s_wait_alu 0xfffe
	s_and_not1_saveexec_b32 s3, s3
	s_cbranch_execz .LBB1704_274
; %bb.273:
	v_lshlrev_b32_e32 v15, 2, v0
	v_readfirstlane_b32 s4, v9
	v_readfirstlane_b32 s5, v10
	ds_load_b32 v16, v15 offset:1024
	s_wait_dscnt 0x0
	global_store_b32 v15, v16, s[4:5] offset:1024
.LBB1704_274:
	s_wait_alu 0xfffe
	s_or_b32 exec_lo, exec_lo, s3
.LBB1704_275:
	s_wait_alu 0xfffe
	s_and_not1_saveexec_b32 s1, s1
	s_cbranch_execz .LBB1704_277
; %bb.276:
	v_lshlrev_b32_e32 v15, 2, v0
	v_readfirstlane_b32 s4, v11
	v_readfirstlane_b32 s5, v12
	ds_load_b32 v16, v15 offset:1024
	s_wait_dscnt 0x0
	global_store_b32 v15, v16, s[4:5] offset:1024
.LBB1704_277:
	s_wait_alu 0xfffe
	s_or_b32 exec_lo, exec_lo, s0
	s_delay_alu instid0(SALU_CYCLE_1)
	s_mov_b32 s0, exec_lo
	v_cmpx_gt_u32_e64 s27, v41
	s_cbranch_execz .LBB1704_286
; %bb.278:
	s_mov_b32 s1, exec_lo
	v_cmpx_ge_u32_e64 v41, v5
	s_wait_alu 0xfffe
	s_xor_b32 s1, exec_lo, s1
	s_cbranch_execz .LBB1704_284
; %bb.279:
	s_mov_b32 s3, exec_lo
	v_cmpx_ge_u32_e64 v41, v14
	s_wait_alu 0xfffe
	s_xor_b32 s3, exec_lo, s3
	s_cbranch_execz .LBB1704_281
; %bb.280:
	v_lshlrev_b32_e32 v15, 2, v0
	ds_load_b32 v17, v15 offset:2048
	v_add_co_u32 v15, vcc_lo, v7, v0
	s_wait_alu 0xfffd
	v_add_co_ci_u32_e64 v16, null, 0, v13, vcc_lo
	s_delay_alu instid0(VALU_DEP_1) | instskip(NEXT) | instid1(VALU_DEP_1)
	v_lshlrev_b64_e32 v[15:16], 2, v[15:16]
	v_sub_co_u32 v15, vcc_lo, s14, v15
	s_wait_alu 0xfffd
	s_delay_alu instid0(VALU_DEP_2)
	v_sub_co_ci_u32_e64 v16, null, s15, v16, vcc_lo
	s_wait_dscnt 0x0
	global_store_b32 v[15:16], v17, off offset:-2052
.LBB1704_281:
	s_wait_alu 0xfffe
	s_and_not1_saveexec_b32 s3, s3
	s_cbranch_execz .LBB1704_283
; %bb.282:
	v_lshlrev_b32_e32 v15, 2, v0
	v_readfirstlane_b32 s4, v9
	v_readfirstlane_b32 s5, v10
	ds_load_b32 v16, v15 offset:2048
	s_wait_dscnt 0x0
	global_store_b32 v15, v16, s[4:5] offset:2048
.LBB1704_283:
	s_wait_alu 0xfffe
	s_or_b32 exec_lo, exec_lo, s3
.LBB1704_284:
	s_wait_alu 0xfffe
	s_and_not1_saveexec_b32 s1, s1
	s_cbranch_execz .LBB1704_286
; %bb.285:
	v_lshlrev_b32_e32 v15, 2, v0
	v_readfirstlane_b32 s4, v11
	v_readfirstlane_b32 s5, v12
	ds_load_b32 v16, v15 offset:2048
	s_wait_dscnt 0x0
	global_store_b32 v15, v16, s[4:5] offset:2048
.LBB1704_286:
	;; [unrolled: 58-line block ×11, first 2 shown]
	s_wait_alu 0xfffe
	s_or_b32 exec_lo, exec_lo, s0
	s_delay_alu instid0(SALU_CYCLE_1)
	s_mov_b32 s0, exec_lo
	v_cmpx_gt_u32_e64 s27, v31
	s_cbranch_execz .LBB1704_376
; %bb.368:
	s_mov_b32 s1, exec_lo
	v_cmpx_ge_u32_e64 v31, v5
	s_wait_alu 0xfffe
	s_xor_b32 s1, exec_lo, s1
	s_cbranch_execz .LBB1704_374
; %bb.369:
	s_mov_b32 s3, exec_lo
	v_cmpx_ge_u32_e64 v31, v14
	s_wait_alu 0xfffe
	s_xor_b32 s3, exec_lo, s3
	s_cbranch_execz .LBB1704_371
; %bb.370:
	v_lshlrev_b32_e32 v9, 2, v0
	ds_load_b32 v11, v9 offset:12288
	v_add_co_u32 v9, vcc_lo, v7, v0
	s_wait_alu 0xfffd
	v_add_co_ci_u32_e64 v10, null, 0, v13, vcc_lo
                                        ; implicit-def: $vgpr0
	s_delay_alu instid0(VALU_DEP_1) | instskip(NEXT) | instid1(VALU_DEP_1)
	v_lshlrev_b64_e32 v[9:10], 2, v[9:10]
	v_sub_co_u32 v9, vcc_lo, s14, v9
	s_wait_alu 0xfffd
	s_delay_alu instid0(VALU_DEP_2)
	v_sub_co_ci_u32_e64 v10, null, s15, v10, vcc_lo
	s_wait_dscnt 0x0
	global_store_b32 v[9:10], v11, off offset:-12292
                                        ; implicit-def: $vgpr9_vgpr10
.LBB1704_371:
	s_wait_alu 0xfffe
	s_and_not1_saveexec_b32 s3, s3
	s_cbranch_execz .LBB1704_373
; %bb.372:
	v_lshlrev_b32_e32 v0, 2, v0
	v_readfirstlane_b32 s4, v9
	v_readfirstlane_b32 s5, v10
	ds_load_b32 v7, v0 offset:12288
	s_wait_dscnt 0x0
	global_store_b32 v0, v7, s[4:5] offset:12288
.LBB1704_373:
	s_wait_alu 0xfffe
	s_or_b32 exec_lo, exec_lo, s3
                                        ; implicit-def: $vgpr0
                                        ; implicit-def: $vgpr11_vgpr12
.LBB1704_374:
	s_wait_alu 0xfffe
	s_and_not1_saveexec_b32 s1, s1
	s_cbranch_execz .LBB1704_376
; %bb.375:
	v_lshlrev_b32_e32 v0, 2, v0
	v_readfirstlane_b32 s4, v11
	v_readfirstlane_b32 s5, v12
	ds_load_b32 v7, v0 offset:12288
	s_wait_dscnt 0x0
	global_store_b32 v0, v7, s[4:5] offset:12288
.LBB1704_376:
	s_wait_alu 0xfffe
	s_or_b32 exec_lo, exec_lo, s0
	s_and_b32 s0, s2, s26
	s_wait_alu 0xfffe
	s_and_saveexec_b32 s1, s0
	s_cbranch_execz .LBB1704_153
.LBB1704_377:
	v_add_co_u32 v0, vcc_lo, v3, v6
	s_wait_alu 0xfffd
	v_add_co_ci_u32_e64 v4, null, 0, v4, vcc_lo
	v_mov_b32_e32 v6, 0
	s_delay_alu instid0(VALU_DEP_3) | instskip(SKIP_1) | instid1(VALU_DEP_3)
	v_add_co_u32 v3, vcc_lo, v0, v8
	s_wait_alu 0xfffd
	v_add_co_ci_u32_e64 v4, null, 0, v4, vcc_lo
	v_add_co_u32 v1, vcc_lo, v1, v5
	s_wait_alu 0xfffd
	v_add_co_ci_u32_e64 v2, null, 0, v2, vcc_lo
	global_store_b128 v6, v[1:4], s[24:25]
	s_nop 0
	s_sendmsg sendmsg(MSG_DEALLOC_VGPRS)
	s_endpgm
.LBB1704_378:
	s_add_co_i32 s6, s33, 32
	s_mov_b32 s7, 0
	v_dual_mov_b32 v11, 2 :: v_dual_add_nc_u32 v10, v8, v6
	s_wait_alu 0xfffe
	s_lshl_b64 s[6:7], s[6:7], 4
	v_dual_mov_b32 v12, 0 :: v_dual_add_nc_u32 v9, v7, v5
	s_wait_alu 0xfffe
	s_add_nc_u64 s[6:7], s[36:37], s[6:7]
	s_wait_alu 0xfffe
	v_dual_mov_b32 v28, s7 :: v_dual_mov_b32 v27, s6
	;;#ASMSTART
	global_store_b128 v[27:28], v[9:12] off scope:SCOPE_DEV	
s_wait_storecnt 0x0
	;;#ASMEND
	s_or_b32 exec_lo, exec_lo, s5
	s_and_saveexec_b32 s5, s3
	s_cbranch_execz .LBB1704_138
.LBB1704_379:
	v_mov_b32_e32 v9, 0
	ds_store_b128 v9, v[5:8] offset:13312
	s_wait_alu 0xfffe
	s_or_b32 exec_lo, exec_lo, s5
	s_delay_alu instid0(SALU_CYCLE_1)
	s_and_b32 exec_lo, exec_lo, s2
	s_cbranch_execnz .LBB1704_139
	s_branch .LBB1704_140
	.section	.rodata,"a",@progbits
	.p2align	6, 0x0
	.amdhsa_kernel _ZN7rocprim17ROCPRIM_400000_NS6detail17trampoline_kernelINS0_13select_configILj256ELj13ELNS0_17block_load_methodE3ELS4_3ELS4_3ELNS0_20block_scan_algorithmE0ELj4294967295EEENS1_25partition_config_selectorILNS1_17partition_subalgoE4EjNS0_10empty_typeEbEEZZNS1_14partition_implILS8_4ELb0ES6_15HIP_vector_typeIjLj2EENS0_17counting_iteratorIjlEEPS9_SG_NS0_5tupleIJPjSI_NS0_16reverse_iteratorISI_EEEEENSH_IJSG_SG_SG_EEES9_SI_JZNS1_25segmented_radix_sort_implINS0_14default_configELb1EPK6__halfPSP_PKlPlN2at6native12_GLOBAL__N_18offset_tEEE10hipError_tPvRmT1_PNSt15iterator_traitsIS13_E10value_typeET2_T3_PNS14_IS19_E10value_typeET4_jRbjT5_S1F_jjP12ihipStream_tbEUljE_ZNSN_ISO_Lb1ESR_SS_SU_SV_SZ_EES10_S11_S12_S13_S17_S18_S19_S1C_S1D_jS1E_jS1F_S1F_jjS1H_bEUljE0_EEES10_S11_S12_S19_S1D_S1F_T6_T7_T9_mT8_S1H_bDpT10_ENKUlT_T0_E_clISt17integral_constantIbLb0EES1U_IbLb1EEEEDaS1Q_S1R_EUlS1Q_E_NS1_11comp_targetILNS1_3genE10ELNS1_11target_archE1200ELNS1_3gpuE4ELNS1_3repE0EEENS1_30default_config_static_selectorELNS0_4arch9wavefront6targetE0EEEvS13_
		.amdhsa_group_segment_fixed_size 13328
		.amdhsa_private_segment_fixed_size 0
		.amdhsa_kernarg_size 184
		.amdhsa_user_sgpr_count 2
		.amdhsa_user_sgpr_dispatch_ptr 0
		.amdhsa_user_sgpr_queue_ptr 0
		.amdhsa_user_sgpr_kernarg_segment_ptr 1
		.amdhsa_user_sgpr_dispatch_id 0
		.amdhsa_user_sgpr_private_segment_size 0
		.amdhsa_wavefront_size32 1
		.amdhsa_uses_dynamic_stack 0
		.amdhsa_enable_private_segment 0
		.amdhsa_system_sgpr_workgroup_id_x 1
		.amdhsa_system_sgpr_workgroup_id_y 0
		.amdhsa_system_sgpr_workgroup_id_z 0
		.amdhsa_system_sgpr_workgroup_info 0
		.amdhsa_system_vgpr_workitem_id 0
		.amdhsa_next_free_vgpr 98
		.amdhsa_next_free_sgpr 55
		.amdhsa_reserve_vcc 1
		.amdhsa_float_round_mode_32 0
		.amdhsa_float_round_mode_16_64 0
		.amdhsa_float_denorm_mode_32 3
		.amdhsa_float_denorm_mode_16_64 3
		.amdhsa_fp16_overflow 0
		.amdhsa_workgroup_processor_mode 1
		.amdhsa_memory_ordered 1
		.amdhsa_forward_progress 1
		.amdhsa_inst_pref_size 151
		.amdhsa_round_robin_scheduling 0
		.amdhsa_exception_fp_ieee_invalid_op 0
		.amdhsa_exception_fp_denorm_src 0
		.amdhsa_exception_fp_ieee_div_zero 0
		.amdhsa_exception_fp_ieee_overflow 0
		.amdhsa_exception_fp_ieee_underflow 0
		.amdhsa_exception_fp_ieee_inexact 0
		.amdhsa_exception_int_div_zero 0
	.end_amdhsa_kernel
	.section	.text._ZN7rocprim17ROCPRIM_400000_NS6detail17trampoline_kernelINS0_13select_configILj256ELj13ELNS0_17block_load_methodE3ELS4_3ELS4_3ELNS0_20block_scan_algorithmE0ELj4294967295EEENS1_25partition_config_selectorILNS1_17partition_subalgoE4EjNS0_10empty_typeEbEEZZNS1_14partition_implILS8_4ELb0ES6_15HIP_vector_typeIjLj2EENS0_17counting_iteratorIjlEEPS9_SG_NS0_5tupleIJPjSI_NS0_16reverse_iteratorISI_EEEEENSH_IJSG_SG_SG_EEES9_SI_JZNS1_25segmented_radix_sort_implINS0_14default_configELb1EPK6__halfPSP_PKlPlN2at6native12_GLOBAL__N_18offset_tEEE10hipError_tPvRmT1_PNSt15iterator_traitsIS13_E10value_typeET2_T3_PNS14_IS19_E10value_typeET4_jRbjT5_S1F_jjP12ihipStream_tbEUljE_ZNSN_ISO_Lb1ESR_SS_SU_SV_SZ_EES10_S11_S12_S13_S17_S18_S19_S1C_S1D_jS1E_jS1F_S1F_jjS1H_bEUljE0_EEES10_S11_S12_S19_S1D_S1F_T6_T7_T9_mT8_S1H_bDpT10_ENKUlT_T0_E_clISt17integral_constantIbLb0EES1U_IbLb1EEEEDaS1Q_S1R_EUlS1Q_E_NS1_11comp_targetILNS1_3genE10ELNS1_11target_archE1200ELNS1_3gpuE4ELNS1_3repE0EEENS1_30default_config_static_selectorELNS0_4arch9wavefront6targetE0EEEvS13_,"axG",@progbits,_ZN7rocprim17ROCPRIM_400000_NS6detail17trampoline_kernelINS0_13select_configILj256ELj13ELNS0_17block_load_methodE3ELS4_3ELS4_3ELNS0_20block_scan_algorithmE0ELj4294967295EEENS1_25partition_config_selectorILNS1_17partition_subalgoE4EjNS0_10empty_typeEbEEZZNS1_14partition_implILS8_4ELb0ES6_15HIP_vector_typeIjLj2EENS0_17counting_iteratorIjlEEPS9_SG_NS0_5tupleIJPjSI_NS0_16reverse_iteratorISI_EEEEENSH_IJSG_SG_SG_EEES9_SI_JZNS1_25segmented_radix_sort_implINS0_14default_configELb1EPK6__halfPSP_PKlPlN2at6native12_GLOBAL__N_18offset_tEEE10hipError_tPvRmT1_PNSt15iterator_traitsIS13_E10value_typeET2_T3_PNS14_IS19_E10value_typeET4_jRbjT5_S1F_jjP12ihipStream_tbEUljE_ZNSN_ISO_Lb1ESR_SS_SU_SV_SZ_EES10_S11_S12_S13_S17_S18_S19_S1C_S1D_jS1E_jS1F_S1F_jjS1H_bEUljE0_EEES10_S11_S12_S19_S1D_S1F_T6_T7_T9_mT8_S1H_bDpT10_ENKUlT_T0_E_clISt17integral_constantIbLb0EES1U_IbLb1EEEEDaS1Q_S1R_EUlS1Q_E_NS1_11comp_targetILNS1_3genE10ELNS1_11target_archE1200ELNS1_3gpuE4ELNS1_3repE0EEENS1_30default_config_static_selectorELNS0_4arch9wavefront6targetE0EEEvS13_,comdat
.Lfunc_end1704:
	.size	_ZN7rocprim17ROCPRIM_400000_NS6detail17trampoline_kernelINS0_13select_configILj256ELj13ELNS0_17block_load_methodE3ELS4_3ELS4_3ELNS0_20block_scan_algorithmE0ELj4294967295EEENS1_25partition_config_selectorILNS1_17partition_subalgoE4EjNS0_10empty_typeEbEEZZNS1_14partition_implILS8_4ELb0ES6_15HIP_vector_typeIjLj2EENS0_17counting_iteratorIjlEEPS9_SG_NS0_5tupleIJPjSI_NS0_16reverse_iteratorISI_EEEEENSH_IJSG_SG_SG_EEES9_SI_JZNS1_25segmented_radix_sort_implINS0_14default_configELb1EPK6__halfPSP_PKlPlN2at6native12_GLOBAL__N_18offset_tEEE10hipError_tPvRmT1_PNSt15iterator_traitsIS13_E10value_typeET2_T3_PNS14_IS19_E10value_typeET4_jRbjT5_S1F_jjP12ihipStream_tbEUljE_ZNSN_ISO_Lb1ESR_SS_SU_SV_SZ_EES10_S11_S12_S13_S17_S18_S19_S1C_S1D_jS1E_jS1F_S1F_jjS1H_bEUljE0_EEES10_S11_S12_S19_S1D_S1F_T6_T7_T9_mT8_S1H_bDpT10_ENKUlT_T0_E_clISt17integral_constantIbLb0EES1U_IbLb1EEEEDaS1Q_S1R_EUlS1Q_E_NS1_11comp_targetILNS1_3genE10ELNS1_11target_archE1200ELNS1_3gpuE4ELNS1_3repE0EEENS1_30default_config_static_selectorELNS0_4arch9wavefront6targetE0EEEvS13_, .Lfunc_end1704-_ZN7rocprim17ROCPRIM_400000_NS6detail17trampoline_kernelINS0_13select_configILj256ELj13ELNS0_17block_load_methodE3ELS4_3ELS4_3ELNS0_20block_scan_algorithmE0ELj4294967295EEENS1_25partition_config_selectorILNS1_17partition_subalgoE4EjNS0_10empty_typeEbEEZZNS1_14partition_implILS8_4ELb0ES6_15HIP_vector_typeIjLj2EENS0_17counting_iteratorIjlEEPS9_SG_NS0_5tupleIJPjSI_NS0_16reverse_iteratorISI_EEEEENSH_IJSG_SG_SG_EEES9_SI_JZNS1_25segmented_radix_sort_implINS0_14default_configELb1EPK6__halfPSP_PKlPlN2at6native12_GLOBAL__N_18offset_tEEE10hipError_tPvRmT1_PNSt15iterator_traitsIS13_E10value_typeET2_T3_PNS14_IS19_E10value_typeET4_jRbjT5_S1F_jjP12ihipStream_tbEUljE_ZNSN_ISO_Lb1ESR_SS_SU_SV_SZ_EES10_S11_S12_S13_S17_S18_S19_S1C_S1D_jS1E_jS1F_S1F_jjS1H_bEUljE0_EEES10_S11_S12_S19_S1D_S1F_T6_T7_T9_mT8_S1H_bDpT10_ENKUlT_T0_E_clISt17integral_constantIbLb0EES1U_IbLb1EEEEDaS1Q_S1R_EUlS1Q_E_NS1_11comp_targetILNS1_3genE10ELNS1_11target_archE1200ELNS1_3gpuE4ELNS1_3repE0EEENS1_30default_config_static_selectorELNS0_4arch9wavefront6targetE0EEEvS13_
                                        ; -- End function
	.set _ZN7rocprim17ROCPRIM_400000_NS6detail17trampoline_kernelINS0_13select_configILj256ELj13ELNS0_17block_load_methodE3ELS4_3ELS4_3ELNS0_20block_scan_algorithmE0ELj4294967295EEENS1_25partition_config_selectorILNS1_17partition_subalgoE4EjNS0_10empty_typeEbEEZZNS1_14partition_implILS8_4ELb0ES6_15HIP_vector_typeIjLj2EENS0_17counting_iteratorIjlEEPS9_SG_NS0_5tupleIJPjSI_NS0_16reverse_iteratorISI_EEEEENSH_IJSG_SG_SG_EEES9_SI_JZNS1_25segmented_radix_sort_implINS0_14default_configELb1EPK6__halfPSP_PKlPlN2at6native12_GLOBAL__N_18offset_tEEE10hipError_tPvRmT1_PNSt15iterator_traitsIS13_E10value_typeET2_T3_PNS14_IS19_E10value_typeET4_jRbjT5_S1F_jjP12ihipStream_tbEUljE_ZNSN_ISO_Lb1ESR_SS_SU_SV_SZ_EES10_S11_S12_S13_S17_S18_S19_S1C_S1D_jS1E_jS1F_S1F_jjS1H_bEUljE0_EEES10_S11_S12_S19_S1D_S1F_T6_T7_T9_mT8_S1H_bDpT10_ENKUlT_T0_E_clISt17integral_constantIbLb0EES1U_IbLb1EEEEDaS1Q_S1R_EUlS1Q_E_NS1_11comp_targetILNS1_3genE10ELNS1_11target_archE1200ELNS1_3gpuE4ELNS1_3repE0EEENS1_30default_config_static_selectorELNS0_4arch9wavefront6targetE0EEEvS13_.num_vgpr, 98
	.set _ZN7rocprim17ROCPRIM_400000_NS6detail17trampoline_kernelINS0_13select_configILj256ELj13ELNS0_17block_load_methodE3ELS4_3ELS4_3ELNS0_20block_scan_algorithmE0ELj4294967295EEENS1_25partition_config_selectorILNS1_17partition_subalgoE4EjNS0_10empty_typeEbEEZZNS1_14partition_implILS8_4ELb0ES6_15HIP_vector_typeIjLj2EENS0_17counting_iteratorIjlEEPS9_SG_NS0_5tupleIJPjSI_NS0_16reverse_iteratorISI_EEEEENSH_IJSG_SG_SG_EEES9_SI_JZNS1_25segmented_radix_sort_implINS0_14default_configELb1EPK6__halfPSP_PKlPlN2at6native12_GLOBAL__N_18offset_tEEE10hipError_tPvRmT1_PNSt15iterator_traitsIS13_E10value_typeET2_T3_PNS14_IS19_E10value_typeET4_jRbjT5_S1F_jjP12ihipStream_tbEUljE_ZNSN_ISO_Lb1ESR_SS_SU_SV_SZ_EES10_S11_S12_S13_S17_S18_S19_S1C_S1D_jS1E_jS1F_S1F_jjS1H_bEUljE0_EEES10_S11_S12_S19_S1D_S1F_T6_T7_T9_mT8_S1H_bDpT10_ENKUlT_T0_E_clISt17integral_constantIbLb0EES1U_IbLb1EEEEDaS1Q_S1R_EUlS1Q_E_NS1_11comp_targetILNS1_3genE10ELNS1_11target_archE1200ELNS1_3gpuE4ELNS1_3repE0EEENS1_30default_config_static_selectorELNS0_4arch9wavefront6targetE0EEEvS13_.num_agpr, 0
	.set _ZN7rocprim17ROCPRIM_400000_NS6detail17trampoline_kernelINS0_13select_configILj256ELj13ELNS0_17block_load_methodE3ELS4_3ELS4_3ELNS0_20block_scan_algorithmE0ELj4294967295EEENS1_25partition_config_selectorILNS1_17partition_subalgoE4EjNS0_10empty_typeEbEEZZNS1_14partition_implILS8_4ELb0ES6_15HIP_vector_typeIjLj2EENS0_17counting_iteratorIjlEEPS9_SG_NS0_5tupleIJPjSI_NS0_16reverse_iteratorISI_EEEEENSH_IJSG_SG_SG_EEES9_SI_JZNS1_25segmented_radix_sort_implINS0_14default_configELb1EPK6__halfPSP_PKlPlN2at6native12_GLOBAL__N_18offset_tEEE10hipError_tPvRmT1_PNSt15iterator_traitsIS13_E10value_typeET2_T3_PNS14_IS19_E10value_typeET4_jRbjT5_S1F_jjP12ihipStream_tbEUljE_ZNSN_ISO_Lb1ESR_SS_SU_SV_SZ_EES10_S11_S12_S13_S17_S18_S19_S1C_S1D_jS1E_jS1F_S1F_jjS1H_bEUljE0_EEES10_S11_S12_S19_S1D_S1F_T6_T7_T9_mT8_S1H_bDpT10_ENKUlT_T0_E_clISt17integral_constantIbLb0EES1U_IbLb1EEEEDaS1Q_S1R_EUlS1Q_E_NS1_11comp_targetILNS1_3genE10ELNS1_11target_archE1200ELNS1_3gpuE4ELNS1_3repE0EEENS1_30default_config_static_selectorELNS0_4arch9wavefront6targetE0EEEvS13_.numbered_sgpr, 55
	.set _ZN7rocprim17ROCPRIM_400000_NS6detail17trampoline_kernelINS0_13select_configILj256ELj13ELNS0_17block_load_methodE3ELS4_3ELS4_3ELNS0_20block_scan_algorithmE0ELj4294967295EEENS1_25partition_config_selectorILNS1_17partition_subalgoE4EjNS0_10empty_typeEbEEZZNS1_14partition_implILS8_4ELb0ES6_15HIP_vector_typeIjLj2EENS0_17counting_iteratorIjlEEPS9_SG_NS0_5tupleIJPjSI_NS0_16reverse_iteratorISI_EEEEENSH_IJSG_SG_SG_EEES9_SI_JZNS1_25segmented_radix_sort_implINS0_14default_configELb1EPK6__halfPSP_PKlPlN2at6native12_GLOBAL__N_18offset_tEEE10hipError_tPvRmT1_PNSt15iterator_traitsIS13_E10value_typeET2_T3_PNS14_IS19_E10value_typeET4_jRbjT5_S1F_jjP12ihipStream_tbEUljE_ZNSN_ISO_Lb1ESR_SS_SU_SV_SZ_EES10_S11_S12_S13_S17_S18_S19_S1C_S1D_jS1E_jS1F_S1F_jjS1H_bEUljE0_EEES10_S11_S12_S19_S1D_S1F_T6_T7_T9_mT8_S1H_bDpT10_ENKUlT_T0_E_clISt17integral_constantIbLb0EES1U_IbLb1EEEEDaS1Q_S1R_EUlS1Q_E_NS1_11comp_targetILNS1_3genE10ELNS1_11target_archE1200ELNS1_3gpuE4ELNS1_3repE0EEENS1_30default_config_static_selectorELNS0_4arch9wavefront6targetE0EEEvS13_.num_named_barrier, 0
	.set _ZN7rocprim17ROCPRIM_400000_NS6detail17trampoline_kernelINS0_13select_configILj256ELj13ELNS0_17block_load_methodE3ELS4_3ELS4_3ELNS0_20block_scan_algorithmE0ELj4294967295EEENS1_25partition_config_selectorILNS1_17partition_subalgoE4EjNS0_10empty_typeEbEEZZNS1_14partition_implILS8_4ELb0ES6_15HIP_vector_typeIjLj2EENS0_17counting_iteratorIjlEEPS9_SG_NS0_5tupleIJPjSI_NS0_16reverse_iteratorISI_EEEEENSH_IJSG_SG_SG_EEES9_SI_JZNS1_25segmented_radix_sort_implINS0_14default_configELb1EPK6__halfPSP_PKlPlN2at6native12_GLOBAL__N_18offset_tEEE10hipError_tPvRmT1_PNSt15iterator_traitsIS13_E10value_typeET2_T3_PNS14_IS19_E10value_typeET4_jRbjT5_S1F_jjP12ihipStream_tbEUljE_ZNSN_ISO_Lb1ESR_SS_SU_SV_SZ_EES10_S11_S12_S13_S17_S18_S19_S1C_S1D_jS1E_jS1F_S1F_jjS1H_bEUljE0_EEES10_S11_S12_S19_S1D_S1F_T6_T7_T9_mT8_S1H_bDpT10_ENKUlT_T0_E_clISt17integral_constantIbLb0EES1U_IbLb1EEEEDaS1Q_S1R_EUlS1Q_E_NS1_11comp_targetILNS1_3genE10ELNS1_11target_archE1200ELNS1_3gpuE4ELNS1_3repE0EEENS1_30default_config_static_selectorELNS0_4arch9wavefront6targetE0EEEvS13_.private_seg_size, 0
	.set _ZN7rocprim17ROCPRIM_400000_NS6detail17trampoline_kernelINS0_13select_configILj256ELj13ELNS0_17block_load_methodE3ELS4_3ELS4_3ELNS0_20block_scan_algorithmE0ELj4294967295EEENS1_25partition_config_selectorILNS1_17partition_subalgoE4EjNS0_10empty_typeEbEEZZNS1_14partition_implILS8_4ELb0ES6_15HIP_vector_typeIjLj2EENS0_17counting_iteratorIjlEEPS9_SG_NS0_5tupleIJPjSI_NS0_16reverse_iteratorISI_EEEEENSH_IJSG_SG_SG_EEES9_SI_JZNS1_25segmented_radix_sort_implINS0_14default_configELb1EPK6__halfPSP_PKlPlN2at6native12_GLOBAL__N_18offset_tEEE10hipError_tPvRmT1_PNSt15iterator_traitsIS13_E10value_typeET2_T3_PNS14_IS19_E10value_typeET4_jRbjT5_S1F_jjP12ihipStream_tbEUljE_ZNSN_ISO_Lb1ESR_SS_SU_SV_SZ_EES10_S11_S12_S13_S17_S18_S19_S1C_S1D_jS1E_jS1F_S1F_jjS1H_bEUljE0_EEES10_S11_S12_S19_S1D_S1F_T6_T7_T9_mT8_S1H_bDpT10_ENKUlT_T0_E_clISt17integral_constantIbLb0EES1U_IbLb1EEEEDaS1Q_S1R_EUlS1Q_E_NS1_11comp_targetILNS1_3genE10ELNS1_11target_archE1200ELNS1_3gpuE4ELNS1_3repE0EEENS1_30default_config_static_selectorELNS0_4arch9wavefront6targetE0EEEvS13_.uses_vcc, 1
	.set _ZN7rocprim17ROCPRIM_400000_NS6detail17trampoline_kernelINS0_13select_configILj256ELj13ELNS0_17block_load_methodE3ELS4_3ELS4_3ELNS0_20block_scan_algorithmE0ELj4294967295EEENS1_25partition_config_selectorILNS1_17partition_subalgoE4EjNS0_10empty_typeEbEEZZNS1_14partition_implILS8_4ELb0ES6_15HIP_vector_typeIjLj2EENS0_17counting_iteratorIjlEEPS9_SG_NS0_5tupleIJPjSI_NS0_16reverse_iteratorISI_EEEEENSH_IJSG_SG_SG_EEES9_SI_JZNS1_25segmented_radix_sort_implINS0_14default_configELb1EPK6__halfPSP_PKlPlN2at6native12_GLOBAL__N_18offset_tEEE10hipError_tPvRmT1_PNSt15iterator_traitsIS13_E10value_typeET2_T3_PNS14_IS19_E10value_typeET4_jRbjT5_S1F_jjP12ihipStream_tbEUljE_ZNSN_ISO_Lb1ESR_SS_SU_SV_SZ_EES10_S11_S12_S13_S17_S18_S19_S1C_S1D_jS1E_jS1F_S1F_jjS1H_bEUljE0_EEES10_S11_S12_S19_S1D_S1F_T6_T7_T9_mT8_S1H_bDpT10_ENKUlT_T0_E_clISt17integral_constantIbLb0EES1U_IbLb1EEEEDaS1Q_S1R_EUlS1Q_E_NS1_11comp_targetILNS1_3genE10ELNS1_11target_archE1200ELNS1_3gpuE4ELNS1_3repE0EEENS1_30default_config_static_selectorELNS0_4arch9wavefront6targetE0EEEvS13_.uses_flat_scratch, 0
	.set _ZN7rocprim17ROCPRIM_400000_NS6detail17trampoline_kernelINS0_13select_configILj256ELj13ELNS0_17block_load_methodE3ELS4_3ELS4_3ELNS0_20block_scan_algorithmE0ELj4294967295EEENS1_25partition_config_selectorILNS1_17partition_subalgoE4EjNS0_10empty_typeEbEEZZNS1_14partition_implILS8_4ELb0ES6_15HIP_vector_typeIjLj2EENS0_17counting_iteratorIjlEEPS9_SG_NS0_5tupleIJPjSI_NS0_16reverse_iteratorISI_EEEEENSH_IJSG_SG_SG_EEES9_SI_JZNS1_25segmented_radix_sort_implINS0_14default_configELb1EPK6__halfPSP_PKlPlN2at6native12_GLOBAL__N_18offset_tEEE10hipError_tPvRmT1_PNSt15iterator_traitsIS13_E10value_typeET2_T3_PNS14_IS19_E10value_typeET4_jRbjT5_S1F_jjP12ihipStream_tbEUljE_ZNSN_ISO_Lb1ESR_SS_SU_SV_SZ_EES10_S11_S12_S13_S17_S18_S19_S1C_S1D_jS1E_jS1F_S1F_jjS1H_bEUljE0_EEES10_S11_S12_S19_S1D_S1F_T6_T7_T9_mT8_S1H_bDpT10_ENKUlT_T0_E_clISt17integral_constantIbLb0EES1U_IbLb1EEEEDaS1Q_S1R_EUlS1Q_E_NS1_11comp_targetILNS1_3genE10ELNS1_11target_archE1200ELNS1_3gpuE4ELNS1_3repE0EEENS1_30default_config_static_selectorELNS0_4arch9wavefront6targetE0EEEvS13_.has_dyn_sized_stack, 0
	.set _ZN7rocprim17ROCPRIM_400000_NS6detail17trampoline_kernelINS0_13select_configILj256ELj13ELNS0_17block_load_methodE3ELS4_3ELS4_3ELNS0_20block_scan_algorithmE0ELj4294967295EEENS1_25partition_config_selectorILNS1_17partition_subalgoE4EjNS0_10empty_typeEbEEZZNS1_14partition_implILS8_4ELb0ES6_15HIP_vector_typeIjLj2EENS0_17counting_iteratorIjlEEPS9_SG_NS0_5tupleIJPjSI_NS0_16reverse_iteratorISI_EEEEENSH_IJSG_SG_SG_EEES9_SI_JZNS1_25segmented_radix_sort_implINS0_14default_configELb1EPK6__halfPSP_PKlPlN2at6native12_GLOBAL__N_18offset_tEEE10hipError_tPvRmT1_PNSt15iterator_traitsIS13_E10value_typeET2_T3_PNS14_IS19_E10value_typeET4_jRbjT5_S1F_jjP12ihipStream_tbEUljE_ZNSN_ISO_Lb1ESR_SS_SU_SV_SZ_EES10_S11_S12_S13_S17_S18_S19_S1C_S1D_jS1E_jS1F_S1F_jjS1H_bEUljE0_EEES10_S11_S12_S19_S1D_S1F_T6_T7_T9_mT8_S1H_bDpT10_ENKUlT_T0_E_clISt17integral_constantIbLb0EES1U_IbLb1EEEEDaS1Q_S1R_EUlS1Q_E_NS1_11comp_targetILNS1_3genE10ELNS1_11target_archE1200ELNS1_3gpuE4ELNS1_3repE0EEENS1_30default_config_static_selectorELNS0_4arch9wavefront6targetE0EEEvS13_.has_recursion, 0
	.set _ZN7rocprim17ROCPRIM_400000_NS6detail17trampoline_kernelINS0_13select_configILj256ELj13ELNS0_17block_load_methodE3ELS4_3ELS4_3ELNS0_20block_scan_algorithmE0ELj4294967295EEENS1_25partition_config_selectorILNS1_17partition_subalgoE4EjNS0_10empty_typeEbEEZZNS1_14partition_implILS8_4ELb0ES6_15HIP_vector_typeIjLj2EENS0_17counting_iteratorIjlEEPS9_SG_NS0_5tupleIJPjSI_NS0_16reverse_iteratorISI_EEEEENSH_IJSG_SG_SG_EEES9_SI_JZNS1_25segmented_radix_sort_implINS0_14default_configELb1EPK6__halfPSP_PKlPlN2at6native12_GLOBAL__N_18offset_tEEE10hipError_tPvRmT1_PNSt15iterator_traitsIS13_E10value_typeET2_T3_PNS14_IS19_E10value_typeET4_jRbjT5_S1F_jjP12ihipStream_tbEUljE_ZNSN_ISO_Lb1ESR_SS_SU_SV_SZ_EES10_S11_S12_S13_S17_S18_S19_S1C_S1D_jS1E_jS1F_S1F_jjS1H_bEUljE0_EEES10_S11_S12_S19_S1D_S1F_T6_T7_T9_mT8_S1H_bDpT10_ENKUlT_T0_E_clISt17integral_constantIbLb0EES1U_IbLb1EEEEDaS1Q_S1R_EUlS1Q_E_NS1_11comp_targetILNS1_3genE10ELNS1_11target_archE1200ELNS1_3gpuE4ELNS1_3repE0EEENS1_30default_config_static_selectorELNS0_4arch9wavefront6targetE0EEEvS13_.has_indirect_call, 0
	.section	.AMDGPU.csdata,"",@progbits
; Kernel info:
; codeLenInByte = 19208
; TotalNumSgprs: 57
; NumVgprs: 98
; ScratchSize: 0
; MemoryBound: 0
; FloatMode: 240
; IeeeMode: 1
; LDSByteSize: 13328 bytes/workgroup (compile time only)
; SGPRBlocks: 0
; VGPRBlocks: 12
; NumSGPRsForWavesPerEU: 57
; NumVGPRsForWavesPerEU: 98
; Occupancy: 12
; WaveLimiterHint : 1
; COMPUTE_PGM_RSRC2:SCRATCH_EN: 0
; COMPUTE_PGM_RSRC2:USER_SGPR: 2
; COMPUTE_PGM_RSRC2:TRAP_HANDLER: 0
; COMPUTE_PGM_RSRC2:TGID_X_EN: 1
; COMPUTE_PGM_RSRC2:TGID_Y_EN: 0
; COMPUTE_PGM_RSRC2:TGID_Z_EN: 0
; COMPUTE_PGM_RSRC2:TIDIG_COMP_CNT: 0
	.section	.text._ZN7rocprim17ROCPRIM_400000_NS6detail17trampoline_kernelINS0_13select_configILj256ELj13ELNS0_17block_load_methodE3ELS4_3ELS4_3ELNS0_20block_scan_algorithmE0ELj4294967295EEENS1_25partition_config_selectorILNS1_17partition_subalgoE4EjNS0_10empty_typeEbEEZZNS1_14partition_implILS8_4ELb0ES6_15HIP_vector_typeIjLj2EENS0_17counting_iteratorIjlEEPS9_SG_NS0_5tupleIJPjSI_NS0_16reverse_iteratorISI_EEEEENSH_IJSG_SG_SG_EEES9_SI_JZNS1_25segmented_radix_sort_implINS0_14default_configELb1EPK6__halfPSP_PKlPlN2at6native12_GLOBAL__N_18offset_tEEE10hipError_tPvRmT1_PNSt15iterator_traitsIS13_E10value_typeET2_T3_PNS14_IS19_E10value_typeET4_jRbjT5_S1F_jjP12ihipStream_tbEUljE_ZNSN_ISO_Lb1ESR_SS_SU_SV_SZ_EES10_S11_S12_S13_S17_S18_S19_S1C_S1D_jS1E_jS1F_S1F_jjS1H_bEUljE0_EEES10_S11_S12_S19_S1D_S1F_T6_T7_T9_mT8_S1H_bDpT10_ENKUlT_T0_E_clISt17integral_constantIbLb0EES1U_IbLb1EEEEDaS1Q_S1R_EUlS1Q_E_NS1_11comp_targetILNS1_3genE9ELNS1_11target_archE1100ELNS1_3gpuE3ELNS1_3repE0EEENS1_30default_config_static_selectorELNS0_4arch9wavefront6targetE0EEEvS13_,"axG",@progbits,_ZN7rocprim17ROCPRIM_400000_NS6detail17trampoline_kernelINS0_13select_configILj256ELj13ELNS0_17block_load_methodE3ELS4_3ELS4_3ELNS0_20block_scan_algorithmE0ELj4294967295EEENS1_25partition_config_selectorILNS1_17partition_subalgoE4EjNS0_10empty_typeEbEEZZNS1_14partition_implILS8_4ELb0ES6_15HIP_vector_typeIjLj2EENS0_17counting_iteratorIjlEEPS9_SG_NS0_5tupleIJPjSI_NS0_16reverse_iteratorISI_EEEEENSH_IJSG_SG_SG_EEES9_SI_JZNS1_25segmented_radix_sort_implINS0_14default_configELb1EPK6__halfPSP_PKlPlN2at6native12_GLOBAL__N_18offset_tEEE10hipError_tPvRmT1_PNSt15iterator_traitsIS13_E10value_typeET2_T3_PNS14_IS19_E10value_typeET4_jRbjT5_S1F_jjP12ihipStream_tbEUljE_ZNSN_ISO_Lb1ESR_SS_SU_SV_SZ_EES10_S11_S12_S13_S17_S18_S19_S1C_S1D_jS1E_jS1F_S1F_jjS1H_bEUljE0_EEES10_S11_S12_S19_S1D_S1F_T6_T7_T9_mT8_S1H_bDpT10_ENKUlT_T0_E_clISt17integral_constantIbLb0EES1U_IbLb1EEEEDaS1Q_S1R_EUlS1Q_E_NS1_11comp_targetILNS1_3genE9ELNS1_11target_archE1100ELNS1_3gpuE3ELNS1_3repE0EEENS1_30default_config_static_selectorELNS0_4arch9wavefront6targetE0EEEvS13_,comdat
	.globl	_ZN7rocprim17ROCPRIM_400000_NS6detail17trampoline_kernelINS0_13select_configILj256ELj13ELNS0_17block_load_methodE3ELS4_3ELS4_3ELNS0_20block_scan_algorithmE0ELj4294967295EEENS1_25partition_config_selectorILNS1_17partition_subalgoE4EjNS0_10empty_typeEbEEZZNS1_14partition_implILS8_4ELb0ES6_15HIP_vector_typeIjLj2EENS0_17counting_iteratorIjlEEPS9_SG_NS0_5tupleIJPjSI_NS0_16reverse_iteratorISI_EEEEENSH_IJSG_SG_SG_EEES9_SI_JZNS1_25segmented_radix_sort_implINS0_14default_configELb1EPK6__halfPSP_PKlPlN2at6native12_GLOBAL__N_18offset_tEEE10hipError_tPvRmT1_PNSt15iterator_traitsIS13_E10value_typeET2_T3_PNS14_IS19_E10value_typeET4_jRbjT5_S1F_jjP12ihipStream_tbEUljE_ZNSN_ISO_Lb1ESR_SS_SU_SV_SZ_EES10_S11_S12_S13_S17_S18_S19_S1C_S1D_jS1E_jS1F_S1F_jjS1H_bEUljE0_EEES10_S11_S12_S19_S1D_S1F_T6_T7_T9_mT8_S1H_bDpT10_ENKUlT_T0_E_clISt17integral_constantIbLb0EES1U_IbLb1EEEEDaS1Q_S1R_EUlS1Q_E_NS1_11comp_targetILNS1_3genE9ELNS1_11target_archE1100ELNS1_3gpuE3ELNS1_3repE0EEENS1_30default_config_static_selectorELNS0_4arch9wavefront6targetE0EEEvS13_ ; -- Begin function _ZN7rocprim17ROCPRIM_400000_NS6detail17trampoline_kernelINS0_13select_configILj256ELj13ELNS0_17block_load_methodE3ELS4_3ELS4_3ELNS0_20block_scan_algorithmE0ELj4294967295EEENS1_25partition_config_selectorILNS1_17partition_subalgoE4EjNS0_10empty_typeEbEEZZNS1_14partition_implILS8_4ELb0ES6_15HIP_vector_typeIjLj2EENS0_17counting_iteratorIjlEEPS9_SG_NS0_5tupleIJPjSI_NS0_16reverse_iteratorISI_EEEEENSH_IJSG_SG_SG_EEES9_SI_JZNS1_25segmented_radix_sort_implINS0_14default_configELb1EPK6__halfPSP_PKlPlN2at6native12_GLOBAL__N_18offset_tEEE10hipError_tPvRmT1_PNSt15iterator_traitsIS13_E10value_typeET2_T3_PNS14_IS19_E10value_typeET4_jRbjT5_S1F_jjP12ihipStream_tbEUljE_ZNSN_ISO_Lb1ESR_SS_SU_SV_SZ_EES10_S11_S12_S13_S17_S18_S19_S1C_S1D_jS1E_jS1F_S1F_jjS1H_bEUljE0_EEES10_S11_S12_S19_S1D_S1F_T6_T7_T9_mT8_S1H_bDpT10_ENKUlT_T0_E_clISt17integral_constantIbLb0EES1U_IbLb1EEEEDaS1Q_S1R_EUlS1Q_E_NS1_11comp_targetILNS1_3genE9ELNS1_11target_archE1100ELNS1_3gpuE3ELNS1_3repE0EEENS1_30default_config_static_selectorELNS0_4arch9wavefront6targetE0EEEvS13_
	.p2align	8
	.type	_ZN7rocprim17ROCPRIM_400000_NS6detail17trampoline_kernelINS0_13select_configILj256ELj13ELNS0_17block_load_methodE3ELS4_3ELS4_3ELNS0_20block_scan_algorithmE0ELj4294967295EEENS1_25partition_config_selectorILNS1_17partition_subalgoE4EjNS0_10empty_typeEbEEZZNS1_14partition_implILS8_4ELb0ES6_15HIP_vector_typeIjLj2EENS0_17counting_iteratorIjlEEPS9_SG_NS0_5tupleIJPjSI_NS0_16reverse_iteratorISI_EEEEENSH_IJSG_SG_SG_EEES9_SI_JZNS1_25segmented_radix_sort_implINS0_14default_configELb1EPK6__halfPSP_PKlPlN2at6native12_GLOBAL__N_18offset_tEEE10hipError_tPvRmT1_PNSt15iterator_traitsIS13_E10value_typeET2_T3_PNS14_IS19_E10value_typeET4_jRbjT5_S1F_jjP12ihipStream_tbEUljE_ZNSN_ISO_Lb1ESR_SS_SU_SV_SZ_EES10_S11_S12_S13_S17_S18_S19_S1C_S1D_jS1E_jS1F_S1F_jjS1H_bEUljE0_EEES10_S11_S12_S19_S1D_S1F_T6_T7_T9_mT8_S1H_bDpT10_ENKUlT_T0_E_clISt17integral_constantIbLb0EES1U_IbLb1EEEEDaS1Q_S1R_EUlS1Q_E_NS1_11comp_targetILNS1_3genE9ELNS1_11target_archE1100ELNS1_3gpuE3ELNS1_3repE0EEENS1_30default_config_static_selectorELNS0_4arch9wavefront6targetE0EEEvS13_,@function
_ZN7rocprim17ROCPRIM_400000_NS6detail17trampoline_kernelINS0_13select_configILj256ELj13ELNS0_17block_load_methodE3ELS4_3ELS4_3ELNS0_20block_scan_algorithmE0ELj4294967295EEENS1_25partition_config_selectorILNS1_17partition_subalgoE4EjNS0_10empty_typeEbEEZZNS1_14partition_implILS8_4ELb0ES6_15HIP_vector_typeIjLj2EENS0_17counting_iteratorIjlEEPS9_SG_NS0_5tupleIJPjSI_NS0_16reverse_iteratorISI_EEEEENSH_IJSG_SG_SG_EEES9_SI_JZNS1_25segmented_radix_sort_implINS0_14default_configELb1EPK6__halfPSP_PKlPlN2at6native12_GLOBAL__N_18offset_tEEE10hipError_tPvRmT1_PNSt15iterator_traitsIS13_E10value_typeET2_T3_PNS14_IS19_E10value_typeET4_jRbjT5_S1F_jjP12ihipStream_tbEUljE_ZNSN_ISO_Lb1ESR_SS_SU_SV_SZ_EES10_S11_S12_S13_S17_S18_S19_S1C_S1D_jS1E_jS1F_S1F_jjS1H_bEUljE0_EEES10_S11_S12_S19_S1D_S1F_T6_T7_T9_mT8_S1H_bDpT10_ENKUlT_T0_E_clISt17integral_constantIbLb0EES1U_IbLb1EEEEDaS1Q_S1R_EUlS1Q_E_NS1_11comp_targetILNS1_3genE9ELNS1_11target_archE1100ELNS1_3gpuE3ELNS1_3repE0EEENS1_30default_config_static_selectorELNS0_4arch9wavefront6targetE0EEEvS13_: ; @_ZN7rocprim17ROCPRIM_400000_NS6detail17trampoline_kernelINS0_13select_configILj256ELj13ELNS0_17block_load_methodE3ELS4_3ELS4_3ELNS0_20block_scan_algorithmE0ELj4294967295EEENS1_25partition_config_selectorILNS1_17partition_subalgoE4EjNS0_10empty_typeEbEEZZNS1_14partition_implILS8_4ELb0ES6_15HIP_vector_typeIjLj2EENS0_17counting_iteratorIjlEEPS9_SG_NS0_5tupleIJPjSI_NS0_16reverse_iteratorISI_EEEEENSH_IJSG_SG_SG_EEES9_SI_JZNS1_25segmented_radix_sort_implINS0_14default_configELb1EPK6__halfPSP_PKlPlN2at6native12_GLOBAL__N_18offset_tEEE10hipError_tPvRmT1_PNSt15iterator_traitsIS13_E10value_typeET2_T3_PNS14_IS19_E10value_typeET4_jRbjT5_S1F_jjP12ihipStream_tbEUljE_ZNSN_ISO_Lb1ESR_SS_SU_SV_SZ_EES10_S11_S12_S13_S17_S18_S19_S1C_S1D_jS1E_jS1F_S1F_jjS1H_bEUljE0_EEES10_S11_S12_S19_S1D_S1F_T6_T7_T9_mT8_S1H_bDpT10_ENKUlT_T0_E_clISt17integral_constantIbLb0EES1U_IbLb1EEEEDaS1Q_S1R_EUlS1Q_E_NS1_11comp_targetILNS1_3genE9ELNS1_11target_archE1100ELNS1_3gpuE3ELNS1_3repE0EEENS1_30default_config_static_selectorELNS0_4arch9wavefront6targetE0EEEvS13_
; %bb.0:
	.section	.rodata,"a",@progbits
	.p2align	6, 0x0
	.amdhsa_kernel _ZN7rocprim17ROCPRIM_400000_NS6detail17trampoline_kernelINS0_13select_configILj256ELj13ELNS0_17block_load_methodE3ELS4_3ELS4_3ELNS0_20block_scan_algorithmE0ELj4294967295EEENS1_25partition_config_selectorILNS1_17partition_subalgoE4EjNS0_10empty_typeEbEEZZNS1_14partition_implILS8_4ELb0ES6_15HIP_vector_typeIjLj2EENS0_17counting_iteratorIjlEEPS9_SG_NS0_5tupleIJPjSI_NS0_16reverse_iteratorISI_EEEEENSH_IJSG_SG_SG_EEES9_SI_JZNS1_25segmented_radix_sort_implINS0_14default_configELb1EPK6__halfPSP_PKlPlN2at6native12_GLOBAL__N_18offset_tEEE10hipError_tPvRmT1_PNSt15iterator_traitsIS13_E10value_typeET2_T3_PNS14_IS19_E10value_typeET4_jRbjT5_S1F_jjP12ihipStream_tbEUljE_ZNSN_ISO_Lb1ESR_SS_SU_SV_SZ_EES10_S11_S12_S13_S17_S18_S19_S1C_S1D_jS1E_jS1F_S1F_jjS1H_bEUljE0_EEES10_S11_S12_S19_S1D_S1F_T6_T7_T9_mT8_S1H_bDpT10_ENKUlT_T0_E_clISt17integral_constantIbLb0EES1U_IbLb1EEEEDaS1Q_S1R_EUlS1Q_E_NS1_11comp_targetILNS1_3genE9ELNS1_11target_archE1100ELNS1_3gpuE3ELNS1_3repE0EEENS1_30default_config_static_selectorELNS0_4arch9wavefront6targetE0EEEvS13_
		.amdhsa_group_segment_fixed_size 0
		.amdhsa_private_segment_fixed_size 0
		.amdhsa_kernarg_size 184
		.amdhsa_user_sgpr_count 2
		.amdhsa_user_sgpr_dispatch_ptr 0
		.amdhsa_user_sgpr_queue_ptr 0
		.amdhsa_user_sgpr_kernarg_segment_ptr 1
		.amdhsa_user_sgpr_dispatch_id 0
		.amdhsa_user_sgpr_private_segment_size 0
		.amdhsa_wavefront_size32 1
		.amdhsa_uses_dynamic_stack 0
		.amdhsa_enable_private_segment 0
		.amdhsa_system_sgpr_workgroup_id_x 1
		.amdhsa_system_sgpr_workgroup_id_y 0
		.amdhsa_system_sgpr_workgroup_id_z 0
		.amdhsa_system_sgpr_workgroup_info 0
		.amdhsa_system_vgpr_workitem_id 0
		.amdhsa_next_free_vgpr 1
		.amdhsa_next_free_sgpr 1
		.amdhsa_reserve_vcc 0
		.amdhsa_float_round_mode_32 0
		.amdhsa_float_round_mode_16_64 0
		.amdhsa_float_denorm_mode_32 3
		.amdhsa_float_denorm_mode_16_64 3
		.amdhsa_fp16_overflow 0
		.amdhsa_workgroup_processor_mode 1
		.amdhsa_memory_ordered 1
		.amdhsa_forward_progress 1
		.amdhsa_inst_pref_size 0
		.amdhsa_round_robin_scheduling 0
		.amdhsa_exception_fp_ieee_invalid_op 0
		.amdhsa_exception_fp_denorm_src 0
		.amdhsa_exception_fp_ieee_div_zero 0
		.amdhsa_exception_fp_ieee_overflow 0
		.amdhsa_exception_fp_ieee_underflow 0
		.amdhsa_exception_fp_ieee_inexact 0
		.amdhsa_exception_int_div_zero 0
	.end_amdhsa_kernel
	.section	.text._ZN7rocprim17ROCPRIM_400000_NS6detail17trampoline_kernelINS0_13select_configILj256ELj13ELNS0_17block_load_methodE3ELS4_3ELS4_3ELNS0_20block_scan_algorithmE0ELj4294967295EEENS1_25partition_config_selectorILNS1_17partition_subalgoE4EjNS0_10empty_typeEbEEZZNS1_14partition_implILS8_4ELb0ES6_15HIP_vector_typeIjLj2EENS0_17counting_iteratorIjlEEPS9_SG_NS0_5tupleIJPjSI_NS0_16reverse_iteratorISI_EEEEENSH_IJSG_SG_SG_EEES9_SI_JZNS1_25segmented_radix_sort_implINS0_14default_configELb1EPK6__halfPSP_PKlPlN2at6native12_GLOBAL__N_18offset_tEEE10hipError_tPvRmT1_PNSt15iterator_traitsIS13_E10value_typeET2_T3_PNS14_IS19_E10value_typeET4_jRbjT5_S1F_jjP12ihipStream_tbEUljE_ZNSN_ISO_Lb1ESR_SS_SU_SV_SZ_EES10_S11_S12_S13_S17_S18_S19_S1C_S1D_jS1E_jS1F_S1F_jjS1H_bEUljE0_EEES10_S11_S12_S19_S1D_S1F_T6_T7_T9_mT8_S1H_bDpT10_ENKUlT_T0_E_clISt17integral_constantIbLb0EES1U_IbLb1EEEEDaS1Q_S1R_EUlS1Q_E_NS1_11comp_targetILNS1_3genE9ELNS1_11target_archE1100ELNS1_3gpuE3ELNS1_3repE0EEENS1_30default_config_static_selectorELNS0_4arch9wavefront6targetE0EEEvS13_,"axG",@progbits,_ZN7rocprim17ROCPRIM_400000_NS6detail17trampoline_kernelINS0_13select_configILj256ELj13ELNS0_17block_load_methodE3ELS4_3ELS4_3ELNS0_20block_scan_algorithmE0ELj4294967295EEENS1_25partition_config_selectorILNS1_17partition_subalgoE4EjNS0_10empty_typeEbEEZZNS1_14partition_implILS8_4ELb0ES6_15HIP_vector_typeIjLj2EENS0_17counting_iteratorIjlEEPS9_SG_NS0_5tupleIJPjSI_NS0_16reverse_iteratorISI_EEEEENSH_IJSG_SG_SG_EEES9_SI_JZNS1_25segmented_radix_sort_implINS0_14default_configELb1EPK6__halfPSP_PKlPlN2at6native12_GLOBAL__N_18offset_tEEE10hipError_tPvRmT1_PNSt15iterator_traitsIS13_E10value_typeET2_T3_PNS14_IS19_E10value_typeET4_jRbjT5_S1F_jjP12ihipStream_tbEUljE_ZNSN_ISO_Lb1ESR_SS_SU_SV_SZ_EES10_S11_S12_S13_S17_S18_S19_S1C_S1D_jS1E_jS1F_S1F_jjS1H_bEUljE0_EEES10_S11_S12_S19_S1D_S1F_T6_T7_T9_mT8_S1H_bDpT10_ENKUlT_T0_E_clISt17integral_constantIbLb0EES1U_IbLb1EEEEDaS1Q_S1R_EUlS1Q_E_NS1_11comp_targetILNS1_3genE9ELNS1_11target_archE1100ELNS1_3gpuE3ELNS1_3repE0EEENS1_30default_config_static_selectorELNS0_4arch9wavefront6targetE0EEEvS13_,comdat
.Lfunc_end1705:
	.size	_ZN7rocprim17ROCPRIM_400000_NS6detail17trampoline_kernelINS0_13select_configILj256ELj13ELNS0_17block_load_methodE3ELS4_3ELS4_3ELNS0_20block_scan_algorithmE0ELj4294967295EEENS1_25partition_config_selectorILNS1_17partition_subalgoE4EjNS0_10empty_typeEbEEZZNS1_14partition_implILS8_4ELb0ES6_15HIP_vector_typeIjLj2EENS0_17counting_iteratorIjlEEPS9_SG_NS0_5tupleIJPjSI_NS0_16reverse_iteratorISI_EEEEENSH_IJSG_SG_SG_EEES9_SI_JZNS1_25segmented_radix_sort_implINS0_14default_configELb1EPK6__halfPSP_PKlPlN2at6native12_GLOBAL__N_18offset_tEEE10hipError_tPvRmT1_PNSt15iterator_traitsIS13_E10value_typeET2_T3_PNS14_IS19_E10value_typeET4_jRbjT5_S1F_jjP12ihipStream_tbEUljE_ZNSN_ISO_Lb1ESR_SS_SU_SV_SZ_EES10_S11_S12_S13_S17_S18_S19_S1C_S1D_jS1E_jS1F_S1F_jjS1H_bEUljE0_EEES10_S11_S12_S19_S1D_S1F_T6_T7_T9_mT8_S1H_bDpT10_ENKUlT_T0_E_clISt17integral_constantIbLb0EES1U_IbLb1EEEEDaS1Q_S1R_EUlS1Q_E_NS1_11comp_targetILNS1_3genE9ELNS1_11target_archE1100ELNS1_3gpuE3ELNS1_3repE0EEENS1_30default_config_static_selectorELNS0_4arch9wavefront6targetE0EEEvS13_, .Lfunc_end1705-_ZN7rocprim17ROCPRIM_400000_NS6detail17trampoline_kernelINS0_13select_configILj256ELj13ELNS0_17block_load_methodE3ELS4_3ELS4_3ELNS0_20block_scan_algorithmE0ELj4294967295EEENS1_25partition_config_selectorILNS1_17partition_subalgoE4EjNS0_10empty_typeEbEEZZNS1_14partition_implILS8_4ELb0ES6_15HIP_vector_typeIjLj2EENS0_17counting_iteratorIjlEEPS9_SG_NS0_5tupleIJPjSI_NS0_16reverse_iteratorISI_EEEEENSH_IJSG_SG_SG_EEES9_SI_JZNS1_25segmented_radix_sort_implINS0_14default_configELb1EPK6__halfPSP_PKlPlN2at6native12_GLOBAL__N_18offset_tEEE10hipError_tPvRmT1_PNSt15iterator_traitsIS13_E10value_typeET2_T3_PNS14_IS19_E10value_typeET4_jRbjT5_S1F_jjP12ihipStream_tbEUljE_ZNSN_ISO_Lb1ESR_SS_SU_SV_SZ_EES10_S11_S12_S13_S17_S18_S19_S1C_S1D_jS1E_jS1F_S1F_jjS1H_bEUljE0_EEES10_S11_S12_S19_S1D_S1F_T6_T7_T9_mT8_S1H_bDpT10_ENKUlT_T0_E_clISt17integral_constantIbLb0EES1U_IbLb1EEEEDaS1Q_S1R_EUlS1Q_E_NS1_11comp_targetILNS1_3genE9ELNS1_11target_archE1100ELNS1_3gpuE3ELNS1_3repE0EEENS1_30default_config_static_selectorELNS0_4arch9wavefront6targetE0EEEvS13_
                                        ; -- End function
	.set _ZN7rocprim17ROCPRIM_400000_NS6detail17trampoline_kernelINS0_13select_configILj256ELj13ELNS0_17block_load_methodE3ELS4_3ELS4_3ELNS0_20block_scan_algorithmE0ELj4294967295EEENS1_25partition_config_selectorILNS1_17partition_subalgoE4EjNS0_10empty_typeEbEEZZNS1_14partition_implILS8_4ELb0ES6_15HIP_vector_typeIjLj2EENS0_17counting_iteratorIjlEEPS9_SG_NS0_5tupleIJPjSI_NS0_16reverse_iteratorISI_EEEEENSH_IJSG_SG_SG_EEES9_SI_JZNS1_25segmented_radix_sort_implINS0_14default_configELb1EPK6__halfPSP_PKlPlN2at6native12_GLOBAL__N_18offset_tEEE10hipError_tPvRmT1_PNSt15iterator_traitsIS13_E10value_typeET2_T3_PNS14_IS19_E10value_typeET4_jRbjT5_S1F_jjP12ihipStream_tbEUljE_ZNSN_ISO_Lb1ESR_SS_SU_SV_SZ_EES10_S11_S12_S13_S17_S18_S19_S1C_S1D_jS1E_jS1F_S1F_jjS1H_bEUljE0_EEES10_S11_S12_S19_S1D_S1F_T6_T7_T9_mT8_S1H_bDpT10_ENKUlT_T0_E_clISt17integral_constantIbLb0EES1U_IbLb1EEEEDaS1Q_S1R_EUlS1Q_E_NS1_11comp_targetILNS1_3genE9ELNS1_11target_archE1100ELNS1_3gpuE3ELNS1_3repE0EEENS1_30default_config_static_selectorELNS0_4arch9wavefront6targetE0EEEvS13_.num_vgpr, 0
	.set _ZN7rocprim17ROCPRIM_400000_NS6detail17trampoline_kernelINS0_13select_configILj256ELj13ELNS0_17block_load_methodE3ELS4_3ELS4_3ELNS0_20block_scan_algorithmE0ELj4294967295EEENS1_25partition_config_selectorILNS1_17partition_subalgoE4EjNS0_10empty_typeEbEEZZNS1_14partition_implILS8_4ELb0ES6_15HIP_vector_typeIjLj2EENS0_17counting_iteratorIjlEEPS9_SG_NS0_5tupleIJPjSI_NS0_16reverse_iteratorISI_EEEEENSH_IJSG_SG_SG_EEES9_SI_JZNS1_25segmented_radix_sort_implINS0_14default_configELb1EPK6__halfPSP_PKlPlN2at6native12_GLOBAL__N_18offset_tEEE10hipError_tPvRmT1_PNSt15iterator_traitsIS13_E10value_typeET2_T3_PNS14_IS19_E10value_typeET4_jRbjT5_S1F_jjP12ihipStream_tbEUljE_ZNSN_ISO_Lb1ESR_SS_SU_SV_SZ_EES10_S11_S12_S13_S17_S18_S19_S1C_S1D_jS1E_jS1F_S1F_jjS1H_bEUljE0_EEES10_S11_S12_S19_S1D_S1F_T6_T7_T9_mT8_S1H_bDpT10_ENKUlT_T0_E_clISt17integral_constantIbLb0EES1U_IbLb1EEEEDaS1Q_S1R_EUlS1Q_E_NS1_11comp_targetILNS1_3genE9ELNS1_11target_archE1100ELNS1_3gpuE3ELNS1_3repE0EEENS1_30default_config_static_selectorELNS0_4arch9wavefront6targetE0EEEvS13_.num_agpr, 0
	.set _ZN7rocprim17ROCPRIM_400000_NS6detail17trampoline_kernelINS0_13select_configILj256ELj13ELNS0_17block_load_methodE3ELS4_3ELS4_3ELNS0_20block_scan_algorithmE0ELj4294967295EEENS1_25partition_config_selectorILNS1_17partition_subalgoE4EjNS0_10empty_typeEbEEZZNS1_14partition_implILS8_4ELb0ES6_15HIP_vector_typeIjLj2EENS0_17counting_iteratorIjlEEPS9_SG_NS0_5tupleIJPjSI_NS0_16reverse_iteratorISI_EEEEENSH_IJSG_SG_SG_EEES9_SI_JZNS1_25segmented_radix_sort_implINS0_14default_configELb1EPK6__halfPSP_PKlPlN2at6native12_GLOBAL__N_18offset_tEEE10hipError_tPvRmT1_PNSt15iterator_traitsIS13_E10value_typeET2_T3_PNS14_IS19_E10value_typeET4_jRbjT5_S1F_jjP12ihipStream_tbEUljE_ZNSN_ISO_Lb1ESR_SS_SU_SV_SZ_EES10_S11_S12_S13_S17_S18_S19_S1C_S1D_jS1E_jS1F_S1F_jjS1H_bEUljE0_EEES10_S11_S12_S19_S1D_S1F_T6_T7_T9_mT8_S1H_bDpT10_ENKUlT_T0_E_clISt17integral_constantIbLb0EES1U_IbLb1EEEEDaS1Q_S1R_EUlS1Q_E_NS1_11comp_targetILNS1_3genE9ELNS1_11target_archE1100ELNS1_3gpuE3ELNS1_3repE0EEENS1_30default_config_static_selectorELNS0_4arch9wavefront6targetE0EEEvS13_.numbered_sgpr, 0
	.set _ZN7rocprim17ROCPRIM_400000_NS6detail17trampoline_kernelINS0_13select_configILj256ELj13ELNS0_17block_load_methodE3ELS4_3ELS4_3ELNS0_20block_scan_algorithmE0ELj4294967295EEENS1_25partition_config_selectorILNS1_17partition_subalgoE4EjNS0_10empty_typeEbEEZZNS1_14partition_implILS8_4ELb0ES6_15HIP_vector_typeIjLj2EENS0_17counting_iteratorIjlEEPS9_SG_NS0_5tupleIJPjSI_NS0_16reverse_iteratorISI_EEEEENSH_IJSG_SG_SG_EEES9_SI_JZNS1_25segmented_radix_sort_implINS0_14default_configELb1EPK6__halfPSP_PKlPlN2at6native12_GLOBAL__N_18offset_tEEE10hipError_tPvRmT1_PNSt15iterator_traitsIS13_E10value_typeET2_T3_PNS14_IS19_E10value_typeET4_jRbjT5_S1F_jjP12ihipStream_tbEUljE_ZNSN_ISO_Lb1ESR_SS_SU_SV_SZ_EES10_S11_S12_S13_S17_S18_S19_S1C_S1D_jS1E_jS1F_S1F_jjS1H_bEUljE0_EEES10_S11_S12_S19_S1D_S1F_T6_T7_T9_mT8_S1H_bDpT10_ENKUlT_T0_E_clISt17integral_constantIbLb0EES1U_IbLb1EEEEDaS1Q_S1R_EUlS1Q_E_NS1_11comp_targetILNS1_3genE9ELNS1_11target_archE1100ELNS1_3gpuE3ELNS1_3repE0EEENS1_30default_config_static_selectorELNS0_4arch9wavefront6targetE0EEEvS13_.num_named_barrier, 0
	.set _ZN7rocprim17ROCPRIM_400000_NS6detail17trampoline_kernelINS0_13select_configILj256ELj13ELNS0_17block_load_methodE3ELS4_3ELS4_3ELNS0_20block_scan_algorithmE0ELj4294967295EEENS1_25partition_config_selectorILNS1_17partition_subalgoE4EjNS0_10empty_typeEbEEZZNS1_14partition_implILS8_4ELb0ES6_15HIP_vector_typeIjLj2EENS0_17counting_iteratorIjlEEPS9_SG_NS0_5tupleIJPjSI_NS0_16reverse_iteratorISI_EEEEENSH_IJSG_SG_SG_EEES9_SI_JZNS1_25segmented_radix_sort_implINS0_14default_configELb1EPK6__halfPSP_PKlPlN2at6native12_GLOBAL__N_18offset_tEEE10hipError_tPvRmT1_PNSt15iterator_traitsIS13_E10value_typeET2_T3_PNS14_IS19_E10value_typeET4_jRbjT5_S1F_jjP12ihipStream_tbEUljE_ZNSN_ISO_Lb1ESR_SS_SU_SV_SZ_EES10_S11_S12_S13_S17_S18_S19_S1C_S1D_jS1E_jS1F_S1F_jjS1H_bEUljE0_EEES10_S11_S12_S19_S1D_S1F_T6_T7_T9_mT8_S1H_bDpT10_ENKUlT_T0_E_clISt17integral_constantIbLb0EES1U_IbLb1EEEEDaS1Q_S1R_EUlS1Q_E_NS1_11comp_targetILNS1_3genE9ELNS1_11target_archE1100ELNS1_3gpuE3ELNS1_3repE0EEENS1_30default_config_static_selectorELNS0_4arch9wavefront6targetE0EEEvS13_.private_seg_size, 0
	.set _ZN7rocprim17ROCPRIM_400000_NS6detail17trampoline_kernelINS0_13select_configILj256ELj13ELNS0_17block_load_methodE3ELS4_3ELS4_3ELNS0_20block_scan_algorithmE0ELj4294967295EEENS1_25partition_config_selectorILNS1_17partition_subalgoE4EjNS0_10empty_typeEbEEZZNS1_14partition_implILS8_4ELb0ES6_15HIP_vector_typeIjLj2EENS0_17counting_iteratorIjlEEPS9_SG_NS0_5tupleIJPjSI_NS0_16reverse_iteratorISI_EEEEENSH_IJSG_SG_SG_EEES9_SI_JZNS1_25segmented_radix_sort_implINS0_14default_configELb1EPK6__halfPSP_PKlPlN2at6native12_GLOBAL__N_18offset_tEEE10hipError_tPvRmT1_PNSt15iterator_traitsIS13_E10value_typeET2_T3_PNS14_IS19_E10value_typeET4_jRbjT5_S1F_jjP12ihipStream_tbEUljE_ZNSN_ISO_Lb1ESR_SS_SU_SV_SZ_EES10_S11_S12_S13_S17_S18_S19_S1C_S1D_jS1E_jS1F_S1F_jjS1H_bEUljE0_EEES10_S11_S12_S19_S1D_S1F_T6_T7_T9_mT8_S1H_bDpT10_ENKUlT_T0_E_clISt17integral_constantIbLb0EES1U_IbLb1EEEEDaS1Q_S1R_EUlS1Q_E_NS1_11comp_targetILNS1_3genE9ELNS1_11target_archE1100ELNS1_3gpuE3ELNS1_3repE0EEENS1_30default_config_static_selectorELNS0_4arch9wavefront6targetE0EEEvS13_.uses_vcc, 0
	.set _ZN7rocprim17ROCPRIM_400000_NS6detail17trampoline_kernelINS0_13select_configILj256ELj13ELNS0_17block_load_methodE3ELS4_3ELS4_3ELNS0_20block_scan_algorithmE0ELj4294967295EEENS1_25partition_config_selectorILNS1_17partition_subalgoE4EjNS0_10empty_typeEbEEZZNS1_14partition_implILS8_4ELb0ES6_15HIP_vector_typeIjLj2EENS0_17counting_iteratorIjlEEPS9_SG_NS0_5tupleIJPjSI_NS0_16reverse_iteratorISI_EEEEENSH_IJSG_SG_SG_EEES9_SI_JZNS1_25segmented_radix_sort_implINS0_14default_configELb1EPK6__halfPSP_PKlPlN2at6native12_GLOBAL__N_18offset_tEEE10hipError_tPvRmT1_PNSt15iterator_traitsIS13_E10value_typeET2_T3_PNS14_IS19_E10value_typeET4_jRbjT5_S1F_jjP12ihipStream_tbEUljE_ZNSN_ISO_Lb1ESR_SS_SU_SV_SZ_EES10_S11_S12_S13_S17_S18_S19_S1C_S1D_jS1E_jS1F_S1F_jjS1H_bEUljE0_EEES10_S11_S12_S19_S1D_S1F_T6_T7_T9_mT8_S1H_bDpT10_ENKUlT_T0_E_clISt17integral_constantIbLb0EES1U_IbLb1EEEEDaS1Q_S1R_EUlS1Q_E_NS1_11comp_targetILNS1_3genE9ELNS1_11target_archE1100ELNS1_3gpuE3ELNS1_3repE0EEENS1_30default_config_static_selectorELNS0_4arch9wavefront6targetE0EEEvS13_.uses_flat_scratch, 0
	.set _ZN7rocprim17ROCPRIM_400000_NS6detail17trampoline_kernelINS0_13select_configILj256ELj13ELNS0_17block_load_methodE3ELS4_3ELS4_3ELNS0_20block_scan_algorithmE0ELj4294967295EEENS1_25partition_config_selectorILNS1_17partition_subalgoE4EjNS0_10empty_typeEbEEZZNS1_14partition_implILS8_4ELb0ES6_15HIP_vector_typeIjLj2EENS0_17counting_iteratorIjlEEPS9_SG_NS0_5tupleIJPjSI_NS0_16reverse_iteratorISI_EEEEENSH_IJSG_SG_SG_EEES9_SI_JZNS1_25segmented_radix_sort_implINS0_14default_configELb1EPK6__halfPSP_PKlPlN2at6native12_GLOBAL__N_18offset_tEEE10hipError_tPvRmT1_PNSt15iterator_traitsIS13_E10value_typeET2_T3_PNS14_IS19_E10value_typeET4_jRbjT5_S1F_jjP12ihipStream_tbEUljE_ZNSN_ISO_Lb1ESR_SS_SU_SV_SZ_EES10_S11_S12_S13_S17_S18_S19_S1C_S1D_jS1E_jS1F_S1F_jjS1H_bEUljE0_EEES10_S11_S12_S19_S1D_S1F_T6_T7_T9_mT8_S1H_bDpT10_ENKUlT_T0_E_clISt17integral_constantIbLb0EES1U_IbLb1EEEEDaS1Q_S1R_EUlS1Q_E_NS1_11comp_targetILNS1_3genE9ELNS1_11target_archE1100ELNS1_3gpuE3ELNS1_3repE0EEENS1_30default_config_static_selectorELNS0_4arch9wavefront6targetE0EEEvS13_.has_dyn_sized_stack, 0
	.set _ZN7rocprim17ROCPRIM_400000_NS6detail17trampoline_kernelINS0_13select_configILj256ELj13ELNS0_17block_load_methodE3ELS4_3ELS4_3ELNS0_20block_scan_algorithmE0ELj4294967295EEENS1_25partition_config_selectorILNS1_17partition_subalgoE4EjNS0_10empty_typeEbEEZZNS1_14partition_implILS8_4ELb0ES6_15HIP_vector_typeIjLj2EENS0_17counting_iteratorIjlEEPS9_SG_NS0_5tupleIJPjSI_NS0_16reverse_iteratorISI_EEEEENSH_IJSG_SG_SG_EEES9_SI_JZNS1_25segmented_radix_sort_implINS0_14default_configELb1EPK6__halfPSP_PKlPlN2at6native12_GLOBAL__N_18offset_tEEE10hipError_tPvRmT1_PNSt15iterator_traitsIS13_E10value_typeET2_T3_PNS14_IS19_E10value_typeET4_jRbjT5_S1F_jjP12ihipStream_tbEUljE_ZNSN_ISO_Lb1ESR_SS_SU_SV_SZ_EES10_S11_S12_S13_S17_S18_S19_S1C_S1D_jS1E_jS1F_S1F_jjS1H_bEUljE0_EEES10_S11_S12_S19_S1D_S1F_T6_T7_T9_mT8_S1H_bDpT10_ENKUlT_T0_E_clISt17integral_constantIbLb0EES1U_IbLb1EEEEDaS1Q_S1R_EUlS1Q_E_NS1_11comp_targetILNS1_3genE9ELNS1_11target_archE1100ELNS1_3gpuE3ELNS1_3repE0EEENS1_30default_config_static_selectorELNS0_4arch9wavefront6targetE0EEEvS13_.has_recursion, 0
	.set _ZN7rocprim17ROCPRIM_400000_NS6detail17trampoline_kernelINS0_13select_configILj256ELj13ELNS0_17block_load_methodE3ELS4_3ELS4_3ELNS0_20block_scan_algorithmE0ELj4294967295EEENS1_25partition_config_selectorILNS1_17partition_subalgoE4EjNS0_10empty_typeEbEEZZNS1_14partition_implILS8_4ELb0ES6_15HIP_vector_typeIjLj2EENS0_17counting_iteratorIjlEEPS9_SG_NS0_5tupleIJPjSI_NS0_16reverse_iteratorISI_EEEEENSH_IJSG_SG_SG_EEES9_SI_JZNS1_25segmented_radix_sort_implINS0_14default_configELb1EPK6__halfPSP_PKlPlN2at6native12_GLOBAL__N_18offset_tEEE10hipError_tPvRmT1_PNSt15iterator_traitsIS13_E10value_typeET2_T3_PNS14_IS19_E10value_typeET4_jRbjT5_S1F_jjP12ihipStream_tbEUljE_ZNSN_ISO_Lb1ESR_SS_SU_SV_SZ_EES10_S11_S12_S13_S17_S18_S19_S1C_S1D_jS1E_jS1F_S1F_jjS1H_bEUljE0_EEES10_S11_S12_S19_S1D_S1F_T6_T7_T9_mT8_S1H_bDpT10_ENKUlT_T0_E_clISt17integral_constantIbLb0EES1U_IbLb1EEEEDaS1Q_S1R_EUlS1Q_E_NS1_11comp_targetILNS1_3genE9ELNS1_11target_archE1100ELNS1_3gpuE3ELNS1_3repE0EEENS1_30default_config_static_selectorELNS0_4arch9wavefront6targetE0EEEvS13_.has_indirect_call, 0
	.section	.AMDGPU.csdata,"",@progbits
; Kernel info:
; codeLenInByte = 0
; TotalNumSgprs: 0
; NumVgprs: 0
; ScratchSize: 0
; MemoryBound: 0
; FloatMode: 240
; IeeeMode: 1
; LDSByteSize: 0 bytes/workgroup (compile time only)
; SGPRBlocks: 0
; VGPRBlocks: 0
; NumSGPRsForWavesPerEU: 1
; NumVGPRsForWavesPerEU: 1
; Occupancy: 16
; WaveLimiterHint : 0
; COMPUTE_PGM_RSRC2:SCRATCH_EN: 0
; COMPUTE_PGM_RSRC2:USER_SGPR: 2
; COMPUTE_PGM_RSRC2:TRAP_HANDLER: 0
; COMPUTE_PGM_RSRC2:TGID_X_EN: 1
; COMPUTE_PGM_RSRC2:TGID_Y_EN: 0
; COMPUTE_PGM_RSRC2:TGID_Z_EN: 0
; COMPUTE_PGM_RSRC2:TIDIG_COMP_CNT: 0
	.section	.text._ZN7rocprim17ROCPRIM_400000_NS6detail17trampoline_kernelINS0_13select_configILj256ELj13ELNS0_17block_load_methodE3ELS4_3ELS4_3ELNS0_20block_scan_algorithmE0ELj4294967295EEENS1_25partition_config_selectorILNS1_17partition_subalgoE4EjNS0_10empty_typeEbEEZZNS1_14partition_implILS8_4ELb0ES6_15HIP_vector_typeIjLj2EENS0_17counting_iteratorIjlEEPS9_SG_NS0_5tupleIJPjSI_NS0_16reverse_iteratorISI_EEEEENSH_IJSG_SG_SG_EEES9_SI_JZNS1_25segmented_radix_sort_implINS0_14default_configELb1EPK6__halfPSP_PKlPlN2at6native12_GLOBAL__N_18offset_tEEE10hipError_tPvRmT1_PNSt15iterator_traitsIS13_E10value_typeET2_T3_PNS14_IS19_E10value_typeET4_jRbjT5_S1F_jjP12ihipStream_tbEUljE_ZNSN_ISO_Lb1ESR_SS_SU_SV_SZ_EES10_S11_S12_S13_S17_S18_S19_S1C_S1D_jS1E_jS1F_S1F_jjS1H_bEUljE0_EEES10_S11_S12_S19_S1D_S1F_T6_T7_T9_mT8_S1H_bDpT10_ENKUlT_T0_E_clISt17integral_constantIbLb0EES1U_IbLb1EEEEDaS1Q_S1R_EUlS1Q_E_NS1_11comp_targetILNS1_3genE8ELNS1_11target_archE1030ELNS1_3gpuE2ELNS1_3repE0EEENS1_30default_config_static_selectorELNS0_4arch9wavefront6targetE0EEEvS13_,"axG",@progbits,_ZN7rocprim17ROCPRIM_400000_NS6detail17trampoline_kernelINS0_13select_configILj256ELj13ELNS0_17block_load_methodE3ELS4_3ELS4_3ELNS0_20block_scan_algorithmE0ELj4294967295EEENS1_25partition_config_selectorILNS1_17partition_subalgoE4EjNS0_10empty_typeEbEEZZNS1_14partition_implILS8_4ELb0ES6_15HIP_vector_typeIjLj2EENS0_17counting_iteratorIjlEEPS9_SG_NS0_5tupleIJPjSI_NS0_16reverse_iteratorISI_EEEEENSH_IJSG_SG_SG_EEES9_SI_JZNS1_25segmented_radix_sort_implINS0_14default_configELb1EPK6__halfPSP_PKlPlN2at6native12_GLOBAL__N_18offset_tEEE10hipError_tPvRmT1_PNSt15iterator_traitsIS13_E10value_typeET2_T3_PNS14_IS19_E10value_typeET4_jRbjT5_S1F_jjP12ihipStream_tbEUljE_ZNSN_ISO_Lb1ESR_SS_SU_SV_SZ_EES10_S11_S12_S13_S17_S18_S19_S1C_S1D_jS1E_jS1F_S1F_jjS1H_bEUljE0_EEES10_S11_S12_S19_S1D_S1F_T6_T7_T9_mT8_S1H_bDpT10_ENKUlT_T0_E_clISt17integral_constantIbLb0EES1U_IbLb1EEEEDaS1Q_S1R_EUlS1Q_E_NS1_11comp_targetILNS1_3genE8ELNS1_11target_archE1030ELNS1_3gpuE2ELNS1_3repE0EEENS1_30default_config_static_selectorELNS0_4arch9wavefront6targetE0EEEvS13_,comdat
	.globl	_ZN7rocprim17ROCPRIM_400000_NS6detail17trampoline_kernelINS0_13select_configILj256ELj13ELNS0_17block_load_methodE3ELS4_3ELS4_3ELNS0_20block_scan_algorithmE0ELj4294967295EEENS1_25partition_config_selectorILNS1_17partition_subalgoE4EjNS0_10empty_typeEbEEZZNS1_14partition_implILS8_4ELb0ES6_15HIP_vector_typeIjLj2EENS0_17counting_iteratorIjlEEPS9_SG_NS0_5tupleIJPjSI_NS0_16reverse_iteratorISI_EEEEENSH_IJSG_SG_SG_EEES9_SI_JZNS1_25segmented_radix_sort_implINS0_14default_configELb1EPK6__halfPSP_PKlPlN2at6native12_GLOBAL__N_18offset_tEEE10hipError_tPvRmT1_PNSt15iterator_traitsIS13_E10value_typeET2_T3_PNS14_IS19_E10value_typeET4_jRbjT5_S1F_jjP12ihipStream_tbEUljE_ZNSN_ISO_Lb1ESR_SS_SU_SV_SZ_EES10_S11_S12_S13_S17_S18_S19_S1C_S1D_jS1E_jS1F_S1F_jjS1H_bEUljE0_EEES10_S11_S12_S19_S1D_S1F_T6_T7_T9_mT8_S1H_bDpT10_ENKUlT_T0_E_clISt17integral_constantIbLb0EES1U_IbLb1EEEEDaS1Q_S1R_EUlS1Q_E_NS1_11comp_targetILNS1_3genE8ELNS1_11target_archE1030ELNS1_3gpuE2ELNS1_3repE0EEENS1_30default_config_static_selectorELNS0_4arch9wavefront6targetE0EEEvS13_ ; -- Begin function _ZN7rocprim17ROCPRIM_400000_NS6detail17trampoline_kernelINS0_13select_configILj256ELj13ELNS0_17block_load_methodE3ELS4_3ELS4_3ELNS0_20block_scan_algorithmE0ELj4294967295EEENS1_25partition_config_selectorILNS1_17partition_subalgoE4EjNS0_10empty_typeEbEEZZNS1_14partition_implILS8_4ELb0ES6_15HIP_vector_typeIjLj2EENS0_17counting_iteratorIjlEEPS9_SG_NS0_5tupleIJPjSI_NS0_16reverse_iteratorISI_EEEEENSH_IJSG_SG_SG_EEES9_SI_JZNS1_25segmented_radix_sort_implINS0_14default_configELb1EPK6__halfPSP_PKlPlN2at6native12_GLOBAL__N_18offset_tEEE10hipError_tPvRmT1_PNSt15iterator_traitsIS13_E10value_typeET2_T3_PNS14_IS19_E10value_typeET4_jRbjT5_S1F_jjP12ihipStream_tbEUljE_ZNSN_ISO_Lb1ESR_SS_SU_SV_SZ_EES10_S11_S12_S13_S17_S18_S19_S1C_S1D_jS1E_jS1F_S1F_jjS1H_bEUljE0_EEES10_S11_S12_S19_S1D_S1F_T6_T7_T9_mT8_S1H_bDpT10_ENKUlT_T0_E_clISt17integral_constantIbLb0EES1U_IbLb1EEEEDaS1Q_S1R_EUlS1Q_E_NS1_11comp_targetILNS1_3genE8ELNS1_11target_archE1030ELNS1_3gpuE2ELNS1_3repE0EEENS1_30default_config_static_selectorELNS0_4arch9wavefront6targetE0EEEvS13_
	.p2align	8
	.type	_ZN7rocprim17ROCPRIM_400000_NS6detail17trampoline_kernelINS0_13select_configILj256ELj13ELNS0_17block_load_methodE3ELS4_3ELS4_3ELNS0_20block_scan_algorithmE0ELj4294967295EEENS1_25partition_config_selectorILNS1_17partition_subalgoE4EjNS0_10empty_typeEbEEZZNS1_14partition_implILS8_4ELb0ES6_15HIP_vector_typeIjLj2EENS0_17counting_iteratorIjlEEPS9_SG_NS0_5tupleIJPjSI_NS0_16reverse_iteratorISI_EEEEENSH_IJSG_SG_SG_EEES9_SI_JZNS1_25segmented_radix_sort_implINS0_14default_configELb1EPK6__halfPSP_PKlPlN2at6native12_GLOBAL__N_18offset_tEEE10hipError_tPvRmT1_PNSt15iterator_traitsIS13_E10value_typeET2_T3_PNS14_IS19_E10value_typeET4_jRbjT5_S1F_jjP12ihipStream_tbEUljE_ZNSN_ISO_Lb1ESR_SS_SU_SV_SZ_EES10_S11_S12_S13_S17_S18_S19_S1C_S1D_jS1E_jS1F_S1F_jjS1H_bEUljE0_EEES10_S11_S12_S19_S1D_S1F_T6_T7_T9_mT8_S1H_bDpT10_ENKUlT_T0_E_clISt17integral_constantIbLb0EES1U_IbLb1EEEEDaS1Q_S1R_EUlS1Q_E_NS1_11comp_targetILNS1_3genE8ELNS1_11target_archE1030ELNS1_3gpuE2ELNS1_3repE0EEENS1_30default_config_static_selectorELNS0_4arch9wavefront6targetE0EEEvS13_,@function
_ZN7rocprim17ROCPRIM_400000_NS6detail17trampoline_kernelINS0_13select_configILj256ELj13ELNS0_17block_load_methodE3ELS4_3ELS4_3ELNS0_20block_scan_algorithmE0ELj4294967295EEENS1_25partition_config_selectorILNS1_17partition_subalgoE4EjNS0_10empty_typeEbEEZZNS1_14partition_implILS8_4ELb0ES6_15HIP_vector_typeIjLj2EENS0_17counting_iteratorIjlEEPS9_SG_NS0_5tupleIJPjSI_NS0_16reverse_iteratorISI_EEEEENSH_IJSG_SG_SG_EEES9_SI_JZNS1_25segmented_radix_sort_implINS0_14default_configELb1EPK6__halfPSP_PKlPlN2at6native12_GLOBAL__N_18offset_tEEE10hipError_tPvRmT1_PNSt15iterator_traitsIS13_E10value_typeET2_T3_PNS14_IS19_E10value_typeET4_jRbjT5_S1F_jjP12ihipStream_tbEUljE_ZNSN_ISO_Lb1ESR_SS_SU_SV_SZ_EES10_S11_S12_S13_S17_S18_S19_S1C_S1D_jS1E_jS1F_S1F_jjS1H_bEUljE0_EEES10_S11_S12_S19_S1D_S1F_T6_T7_T9_mT8_S1H_bDpT10_ENKUlT_T0_E_clISt17integral_constantIbLb0EES1U_IbLb1EEEEDaS1Q_S1R_EUlS1Q_E_NS1_11comp_targetILNS1_3genE8ELNS1_11target_archE1030ELNS1_3gpuE2ELNS1_3repE0EEENS1_30default_config_static_selectorELNS0_4arch9wavefront6targetE0EEEvS13_: ; @_ZN7rocprim17ROCPRIM_400000_NS6detail17trampoline_kernelINS0_13select_configILj256ELj13ELNS0_17block_load_methodE3ELS4_3ELS4_3ELNS0_20block_scan_algorithmE0ELj4294967295EEENS1_25partition_config_selectorILNS1_17partition_subalgoE4EjNS0_10empty_typeEbEEZZNS1_14partition_implILS8_4ELb0ES6_15HIP_vector_typeIjLj2EENS0_17counting_iteratorIjlEEPS9_SG_NS0_5tupleIJPjSI_NS0_16reverse_iteratorISI_EEEEENSH_IJSG_SG_SG_EEES9_SI_JZNS1_25segmented_radix_sort_implINS0_14default_configELb1EPK6__halfPSP_PKlPlN2at6native12_GLOBAL__N_18offset_tEEE10hipError_tPvRmT1_PNSt15iterator_traitsIS13_E10value_typeET2_T3_PNS14_IS19_E10value_typeET4_jRbjT5_S1F_jjP12ihipStream_tbEUljE_ZNSN_ISO_Lb1ESR_SS_SU_SV_SZ_EES10_S11_S12_S13_S17_S18_S19_S1C_S1D_jS1E_jS1F_S1F_jjS1H_bEUljE0_EEES10_S11_S12_S19_S1D_S1F_T6_T7_T9_mT8_S1H_bDpT10_ENKUlT_T0_E_clISt17integral_constantIbLb0EES1U_IbLb1EEEEDaS1Q_S1R_EUlS1Q_E_NS1_11comp_targetILNS1_3genE8ELNS1_11target_archE1030ELNS1_3gpuE2ELNS1_3repE0EEENS1_30default_config_static_selectorELNS0_4arch9wavefront6targetE0EEEvS13_
; %bb.0:
	.section	.rodata,"a",@progbits
	.p2align	6, 0x0
	.amdhsa_kernel _ZN7rocprim17ROCPRIM_400000_NS6detail17trampoline_kernelINS0_13select_configILj256ELj13ELNS0_17block_load_methodE3ELS4_3ELS4_3ELNS0_20block_scan_algorithmE0ELj4294967295EEENS1_25partition_config_selectorILNS1_17partition_subalgoE4EjNS0_10empty_typeEbEEZZNS1_14partition_implILS8_4ELb0ES6_15HIP_vector_typeIjLj2EENS0_17counting_iteratorIjlEEPS9_SG_NS0_5tupleIJPjSI_NS0_16reverse_iteratorISI_EEEEENSH_IJSG_SG_SG_EEES9_SI_JZNS1_25segmented_radix_sort_implINS0_14default_configELb1EPK6__halfPSP_PKlPlN2at6native12_GLOBAL__N_18offset_tEEE10hipError_tPvRmT1_PNSt15iterator_traitsIS13_E10value_typeET2_T3_PNS14_IS19_E10value_typeET4_jRbjT5_S1F_jjP12ihipStream_tbEUljE_ZNSN_ISO_Lb1ESR_SS_SU_SV_SZ_EES10_S11_S12_S13_S17_S18_S19_S1C_S1D_jS1E_jS1F_S1F_jjS1H_bEUljE0_EEES10_S11_S12_S19_S1D_S1F_T6_T7_T9_mT8_S1H_bDpT10_ENKUlT_T0_E_clISt17integral_constantIbLb0EES1U_IbLb1EEEEDaS1Q_S1R_EUlS1Q_E_NS1_11comp_targetILNS1_3genE8ELNS1_11target_archE1030ELNS1_3gpuE2ELNS1_3repE0EEENS1_30default_config_static_selectorELNS0_4arch9wavefront6targetE0EEEvS13_
		.amdhsa_group_segment_fixed_size 0
		.amdhsa_private_segment_fixed_size 0
		.amdhsa_kernarg_size 184
		.amdhsa_user_sgpr_count 2
		.amdhsa_user_sgpr_dispatch_ptr 0
		.amdhsa_user_sgpr_queue_ptr 0
		.amdhsa_user_sgpr_kernarg_segment_ptr 1
		.amdhsa_user_sgpr_dispatch_id 0
		.amdhsa_user_sgpr_private_segment_size 0
		.amdhsa_wavefront_size32 1
		.amdhsa_uses_dynamic_stack 0
		.amdhsa_enable_private_segment 0
		.amdhsa_system_sgpr_workgroup_id_x 1
		.amdhsa_system_sgpr_workgroup_id_y 0
		.amdhsa_system_sgpr_workgroup_id_z 0
		.amdhsa_system_sgpr_workgroup_info 0
		.amdhsa_system_vgpr_workitem_id 0
		.amdhsa_next_free_vgpr 1
		.amdhsa_next_free_sgpr 1
		.amdhsa_reserve_vcc 0
		.amdhsa_float_round_mode_32 0
		.amdhsa_float_round_mode_16_64 0
		.amdhsa_float_denorm_mode_32 3
		.amdhsa_float_denorm_mode_16_64 3
		.amdhsa_fp16_overflow 0
		.amdhsa_workgroup_processor_mode 1
		.amdhsa_memory_ordered 1
		.amdhsa_forward_progress 1
		.amdhsa_inst_pref_size 0
		.amdhsa_round_robin_scheduling 0
		.amdhsa_exception_fp_ieee_invalid_op 0
		.amdhsa_exception_fp_denorm_src 0
		.amdhsa_exception_fp_ieee_div_zero 0
		.amdhsa_exception_fp_ieee_overflow 0
		.amdhsa_exception_fp_ieee_underflow 0
		.amdhsa_exception_fp_ieee_inexact 0
		.amdhsa_exception_int_div_zero 0
	.end_amdhsa_kernel
	.section	.text._ZN7rocprim17ROCPRIM_400000_NS6detail17trampoline_kernelINS0_13select_configILj256ELj13ELNS0_17block_load_methodE3ELS4_3ELS4_3ELNS0_20block_scan_algorithmE0ELj4294967295EEENS1_25partition_config_selectorILNS1_17partition_subalgoE4EjNS0_10empty_typeEbEEZZNS1_14partition_implILS8_4ELb0ES6_15HIP_vector_typeIjLj2EENS0_17counting_iteratorIjlEEPS9_SG_NS0_5tupleIJPjSI_NS0_16reverse_iteratorISI_EEEEENSH_IJSG_SG_SG_EEES9_SI_JZNS1_25segmented_radix_sort_implINS0_14default_configELb1EPK6__halfPSP_PKlPlN2at6native12_GLOBAL__N_18offset_tEEE10hipError_tPvRmT1_PNSt15iterator_traitsIS13_E10value_typeET2_T3_PNS14_IS19_E10value_typeET4_jRbjT5_S1F_jjP12ihipStream_tbEUljE_ZNSN_ISO_Lb1ESR_SS_SU_SV_SZ_EES10_S11_S12_S13_S17_S18_S19_S1C_S1D_jS1E_jS1F_S1F_jjS1H_bEUljE0_EEES10_S11_S12_S19_S1D_S1F_T6_T7_T9_mT8_S1H_bDpT10_ENKUlT_T0_E_clISt17integral_constantIbLb0EES1U_IbLb1EEEEDaS1Q_S1R_EUlS1Q_E_NS1_11comp_targetILNS1_3genE8ELNS1_11target_archE1030ELNS1_3gpuE2ELNS1_3repE0EEENS1_30default_config_static_selectorELNS0_4arch9wavefront6targetE0EEEvS13_,"axG",@progbits,_ZN7rocprim17ROCPRIM_400000_NS6detail17trampoline_kernelINS0_13select_configILj256ELj13ELNS0_17block_load_methodE3ELS4_3ELS4_3ELNS0_20block_scan_algorithmE0ELj4294967295EEENS1_25partition_config_selectorILNS1_17partition_subalgoE4EjNS0_10empty_typeEbEEZZNS1_14partition_implILS8_4ELb0ES6_15HIP_vector_typeIjLj2EENS0_17counting_iteratorIjlEEPS9_SG_NS0_5tupleIJPjSI_NS0_16reverse_iteratorISI_EEEEENSH_IJSG_SG_SG_EEES9_SI_JZNS1_25segmented_radix_sort_implINS0_14default_configELb1EPK6__halfPSP_PKlPlN2at6native12_GLOBAL__N_18offset_tEEE10hipError_tPvRmT1_PNSt15iterator_traitsIS13_E10value_typeET2_T3_PNS14_IS19_E10value_typeET4_jRbjT5_S1F_jjP12ihipStream_tbEUljE_ZNSN_ISO_Lb1ESR_SS_SU_SV_SZ_EES10_S11_S12_S13_S17_S18_S19_S1C_S1D_jS1E_jS1F_S1F_jjS1H_bEUljE0_EEES10_S11_S12_S19_S1D_S1F_T6_T7_T9_mT8_S1H_bDpT10_ENKUlT_T0_E_clISt17integral_constantIbLb0EES1U_IbLb1EEEEDaS1Q_S1R_EUlS1Q_E_NS1_11comp_targetILNS1_3genE8ELNS1_11target_archE1030ELNS1_3gpuE2ELNS1_3repE0EEENS1_30default_config_static_selectorELNS0_4arch9wavefront6targetE0EEEvS13_,comdat
.Lfunc_end1706:
	.size	_ZN7rocprim17ROCPRIM_400000_NS6detail17trampoline_kernelINS0_13select_configILj256ELj13ELNS0_17block_load_methodE3ELS4_3ELS4_3ELNS0_20block_scan_algorithmE0ELj4294967295EEENS1_25partition_config_selectorILNS1_17partition_subalgoE4EjNS0_10empty_typeEbEEZZNS1_14partition_implILS8_4ELb0ES6_15HIP_vector_typeIjLj2EENS0_17counting_iteratorIjlEEPS9_SG_NS0_5tupleIJPjSI_NS0_16reverse_iteratorISI_EEEEENSH_IJSG_SG_SG_EEES9_SI_JZNS1_25segmented_radix_sort_implINS0_14default_configELb1EPK6__halfPSP_PKlPlN2at6native12_GLOBAL__N_18offset_tEEE10hipError_tPvRmT1_PNSt15iterator_traitsIS13_E10value_typeET2_T3_PNS14_IS19_E10value_typeET4_jRbjT5_S1F_jjP12ihipStream_tbEUljE_ZNSN_ISO_Lb1ESR_SS_SU_SV_SZ_EES10_S11_S12_S13_S17_S18_S19_S1C_S1D_jS1E_jS1F_S1F_jjS1H_bEUljE0_EEES10_S11_S12_S19_S1D_S1F_T6_T7_T9_mT8_S1H_bDpT10_ENKUlT_T0_E_clISt17integral_constantIbLb0EES1U_IbLb1EEEEDaS1Q_S1R_EUlS1Q_E_NS1_11comp_targetILNS1_3genE8ELNS1_11target_archE1030ELNS1_3gpuE2ELNS1_3repE0EEENS1_30default_config_static_selectorELNS0_4arch9wavefront6targetE0EEEvS13_, .Lfunc_end1706-_ZN7rocprim17ROCPRIM_400000_NS6detail17trampoline_kernelINS0_13select_configILj256ELj13ELNS0_17block_load_methodE3ELS4_3ELS4_3ELNS0_20block_scan_algorithmE0ELj4294967295EEENS1_25partition_config_selectorILNS1_17partition_subalgoE4EjNS0_10empty_typeEbEEZZNS1_14partition_implILS8_4ELb0ES6_15HIP_vector_typeIjLj2EENS0_17counting_iteratorIjlEEPS9_SG_NS0_5tupleIJPjSI_NS0_16reverse_iteratorISI_EEEEENSH_IJSG_SG_SG_EEES9_SI_JZNS1_25segmented_radix_sort_implINS0_14default_configELb1EPK6__halfPSP_PKlPlN2at6native12_GLOBAL__N_18offset_tEEE10hipError_tPvRmT1_PNSt15iterator_traitsIS13_E10value_typeET2_T3_PNS14_IS19_E10value_typeET4_jRbjT5_S1F_jjP12ihipStream_tbEUljE_ZNSN_ISO_Lb1ESR_SS_SU_SV_SZ_EES10_S11_S12_S13_S17_S18_S19_S1C_S1D_jS1E_jS1F_S1F_jjS1H_bEUljE0_EEES10_S11_S12_S19_S1D_S1F_T6_T7_T9_mT8_S1H_bDpT10_ENKUlT_T0_E_clISt17integral_constantIbLb0EES1U_IbLb1EEEEDaS1Q_S1R_EUlS1Q_E_NS1_11comp_targetILNS1_3genE8ELNS1_11target_archE1030ELNS1_3gpuE2ELNS1_3repE0EEENS1_30default_config_static_selectorELNS0_4arch9wavefront6targetE0EEEvS13_
                                        ; -- End function
	.set _ZN7rocprim17ROCPRIM_400000_NS6detail17trampoline_kernelINS0_13select_configILj256ELj13ELNS0_17block_load_methodE3ELS4_3ELS4_3ELNS0_20block_scan_algorithmE0ELj4294967295EEENS1_25partition_config_selectorILNS1_17partition_subalgoE4EjNS0_10empty_typeEbEEZZNS1_14partition_implILS8_4ELb0ES6_15HIP_vector_typeIjLj2EENS0_17counting_iteratorIjlEEPS9_SG_NS0_5tupleIJPjSI_NS0_16reverse_iteratorISI_EEEEENSH_IJSG_SG_SG_EEES9_SI_JZNS1_25segmented_radix_sort_implINS0_14default_configELb1EPK6__halfPSP_PKlPlN2at6native12_GLOBAL__N_18offset_tEEE10hipError_tPvRmT1_PNSt15iterator_traitsIS13_E10value_typeET2_T3_PNS14_IS19_E10value_typeET4_jRbjT5_S1F_jjP12ihipStream_tbEUljE_ZNSN_ISO_Lb1ESR_SS_SU_SV_SZ_EES10_S11_S12_S13_S17_S18_S19_S1C_S1D_jS1E_jS1F_S1F_jjS1H_bEUljE0_EEES10_S11_S12_S19_S1D_S1F_T6_T7_T9_mT8_S1H_bDpT10_ENKUlT_T0_E_clISt17integral_constantIbLb0EES1U_IbLb1EEEEDaS1Q_S1R_EUlS1Q_E_NS1_11comp_targetILNS1_3genE8ELNS1_11target_archE1030ELNS1_3gpuE2ELNS1_3repE0EEENS1_30default_config_static_selectorELNS0_4arch9wavefront6targetE0EEEvS13_.num_vgpr, 0
	.set _ZN7rocprim17ROCPRIM_400000_NS6detail17trampoline_kernelINS0_13select_configILj256ELj13ELNS0_17block_load_methodE3ELS4_3ELS4_3ELNS0_20block_scan_algorithmE0ELj4294967295EEENS1_25partition_config_selectorILNS1_17partition_subalgoE4EjNS0_10empty_typeEbEEZZNS1_14partition_implILS8_4ELb0ES6_15HIP_vector_typeIjLj2EENS0_17counting_iteratorIjlEEPS9_SG_NS0_5tupleIJPjSI_NS0_16reverse_iteratorISI_EEEEENSH_IJSG_SG_SG_EEES9_SI_JZNS1_25segmented_radix_sort_implINS0_14default_configELb1EPK6__halfPSP_PKlPlN2at6native12_GLOBAL__N_18offset_tEEE10hipError_tPvRmT1_PNSt15iterator_traitsIS13_E10value_typeET2_T3_PNS14_IS19_E10value_typeET4_jRbjT5_S1F_jjP12ihipStream_tbEUljE_ZNSN_ISO_Lb1ESR_SS_SU_SV_SZ_EES10_S11_S12_S13_S17_S18_S19_S1C_S1D_jS1E_jS1F_S1F_jjS1H_bEUljE0_EEES10_S11_S12_S19_S1D_S1F_T6_T7_T9_mT8_S1H_bDpT10_ENKUlT_T0_E_clISt17integral_constantIbLb0EES1U_IbLb1EEEEDaS1Q_S1R_EUlS1Q_E_NS1_11comp_targetILNS1_3genE8ELNS1_11target_archE1030ELNS1_3gpuE2ELNS1_3repE0EEENS1_30default_config_static_selectorELNS0_4arch9wavefront6targetE0EEEvS13_.num_agpr, 0
	.set _ZN7rocprim17ROCPRIM_400000_NS6detail17trampoline_kernelINS0_13select_configILj256ELj13ELNS0_17block_load_methodE3ELS4_3ELS4_3ELNS0_20block_scan_algorithmE0ELj4294967295EEENS1_25partition_config_selectorILNS1_17partition_subalgoE4EjNS0_10empty_typeEbEEZZNS1_14partition_implILS8_4ELb0ES6_15HIP_vector_typeIjLj2EENS0_17counting_iteratorIjlEEPS9_SG_NS0_5tupleIJPjSI_NS0_16reverse_iteratorISI_EEEEENSH_IJSG_SG_SG_EEES9_SI_JZNS1_25segmented_radix_sort_implINS0_14default_configELb1EPK6__halfPSP_PKlPlN2at6native12_GLOBAL__N_18offset_tEEE10hipError_tPvRmT1_PNSt15iterator_traitsIS13_E10value_typeET2_T3_PNS14_IS19_E10value_typeET4_jRbjT5_S1F_jjP12ihipStream_tbEUljE_ZNSN_ISO_Lb1ESR_SS_SU_SV_SZ_EES10_S11_S12_S13_S17_S18_S19_S1C_S1D_jS1E_jS1F_S1F_jjS1H_bEUljE0_EEES10_S11_S12_S19_S1D_S1F_T6_T7_T9_mT8_S1H_bDpT10_ENKUlT_T0_E_clISt17integral_constantIbLb0EES1U_IbLb1EEEEDaS1Q_S1R_EUlS1Q_E_NS1_11comp_targetILNS1_3genE8ELNS1_11target_archE1030ELNS1_3gpuE2ELNS1_3repE0EEENS1_30default_config_static_selectorELNS0_4arch9wavefront6targetE0EEEvS13_.numbered_sgpr, 0
	.set _ZN7rocprim17ROCPRIM_400000_NS6detail17trampoline_kernelINS0_13select_configILj256ELj13ELNS0_17block_load_methodE3ELS4_3ELS4_3ELNS0_20block_scan_algorithmE0ELj4294967295EEENS1_25partition_config_selectorILNS1_17partition_subalgoE4EjNS0_10empty_typeEbEEZZNS1_14partition_implILS8_4ELb0ES6_15HIP_vector_typeIjLj2EENS0_17counting_iteratorIjlEEPS9_SG_NS0_5tupleIJPjSI_NS0_16reverse_iteratorISI_EEEEENSH_IJSG_SG_SG_EEES9_SI_JZNS1_25segmented_radix_sort_implINS0_14default_configELb1EPK6__halfPSP_PKlPlN2at6native12_GLOBAL__N_18offset_tEEE10hipError_tPvRmT1_PNSt15iterator_traitsIS13_E10value_typeET2_T3_PNS14_IS19_E10value_typeET4_jRbjT5_S1F_jjP12ihipStream_tbEUljE_ZNSN_ISO_Lb1ESR_SS_SU_SV_SZ_EES10_S11_S12_S13_S17_S18_S19_S1C_S1D_jS1E_jS1F_S1F_jjS1H_bEUljE0_EEES10_S11_S12_S19_S1D_S1F_T6_T7_T9_mT8_S1H_bDpT10_ENKUlT_T0_E_clISt17integral_constantIbLb0EES1U_IbLb1EEEEDaS1Q_S1R_EUlS1Q_E_NS1_11comp_targetILNS1_3genE8ELNS1_11target_archE1030ELNS1_3gpuE2ELNS1_3repE0EEENS1_30default_config_static_selectorELNS0_4arch9wavefront6targetE0EEEvS13_.num_named_barrier, 0
	.set _ZN7rocprim17ROCPRIM_400000_NS6detail17trampoline_kernelINS0_13select_configILj256ELj13ELNS0_17block_load_methodE3ELS4_3ELS4_3ELNS0_20block_scan_algorithmE0ELj4294967295EEENS1_25partition_config_selectorILNS1_17partition_subalgoE4EjNS0_10empty_typeEbEEZZNS1_14partition_implILS8_4ELb0ES6_15HIP_vector_typeIjLj2EENS0_17counting_iteratorIjlEEPS9_SG_NS0_5tupleIJPjSI_NS0_16reverse_iteratorISI_EEEEENSH_IJSG_SG_SG_EEES9_SI_JZNS1_25segmented_radix_sort_implINS0_14default_configELb1EPK6__halfPSP_PKlPlN2at6native12_GLOBAL__N_18offset_tEEE10hipError_tPvRmT1_PNSt15iterator_traitsIS13_E10value_typeET2_T3_PNS14_IS19_E10value_typeET4_jRbjT5_S1F_jjP12ihipStream_tbEUljE_ZNSN_ISO_Lb1ESR_SS_SU_SV_SZ_EES10_S11_S12_S13_S17_S18_S19_S1C_S1D_jS1E_jS1F_S1F_jjS1H_bEUljE0_EEES10_S11_S12_S19_S1D_S1F_T6_T7_T9_mT8_S1H_bDpT10_ENKUlT_T0_E_clISt17integral_constantIbLb0EES1U_IbLb1EEEEDaS1Q_S1R_EUlS1Q_E_NS1_11comp_targetILNS1_3genE8ELNS1_11target_archE1030ELNS1_3gpuE2ELNS1_3repE0EEENS1_30default_config_static_selectorELNS0_4arch9wavefront6targetE0EEEvS13_.private_seg_size, 0
	.set _ZN7rocprim17ROCPRIM_400000_NS6detail17trampoline_kernelINS0_13select_configILj256ELj13ELNS0_17block_load_methodE3ELS4_3ELS4_3ELNS0_20block_scan_algorithmE0ELj4294967295EEENS1_25partition_config_selectorILNS1_17partition_subalgoE4EjNS0_10empty_typeEbEEZZNS1_14partition_implILS8_4ELb0ES6_15HIP_vector_typeIjLj2EENS0_17counting_iteratorIjlEEPS9_SG_NS0_5tupleIJPjSI_NS0_16reverse_iteratorISI_EEEEENSH_IJSG_SG_SG_EEES9_SI_JZNS1_25segmented_radix_sort_implINS0_14default_configELb1EPK6__halfPSP_PKlPlN2at6native12_GLOBAL__N_18offset_tEEE10hipError_tPvRmT1_PNSt15iterator_traitsIS13_E10value_typeET2_T3_PNS14_IS19_E10value_typeET4_jRbjT5_S1F_jjP12ihipStream_tbEUljE_ZNSN_ISO_Lb1ESR_SS_SU_SV_SZ_EES10_S11_S12_S13_S17_S18_S19_S1C_S1D_jS1E_jS1F_S1F_jjS1H_bEUljE0_EEES10_S11_S12_S19_S1D_S1F_T6_T7_T9_mT8_S1H_bDpT10_ENKUlT_T0_E_clISt17integral_constantIbLb0EES1U_IbLb1EEEEDaS1Q_S1R_EUlS1Q_E_NS1_11comp_targetILNS1_3genE8ELNS1_11target_archE1030ELNS1_3gpuE2ELNS1_3repE0EEENS1_30default_config_static_selectorELNS0_4arch9wavefront6targetE0EEEvS13_.uses_vcc, 0
	.set _ZN7rocprim17ROCPRIM_400000_NS6detail17trampoline_kernelINS0_13select_configILj256ELj13ELNS0_17block_load_methodE3ELS4_3ELS4_3ELNS0_20block_scan_algorithmE0ELj4294967295EEENS1_25partition_config_selectorILNS1_17partition_subalgoE4EjNS0_10empty_typeEbEEZZNS1_14partition_implILS8_4ELb0ES6_15HIP_vector_typeIjLj2EENS0_17counting_iteratorIjlEEPS9_SG_NS0_5tupleIJPjSI_NS0_16reverse_iteratorISI_EEEEENSH_IJSG_SG_SG_EEES9_SI_JZNS1_25segmented_radix_sort_implINS0_14default_configELb1EPK6__halfPSP_PKlPlN2at6native12_GLOBAL__N_18offset_tEEE10hipError_tPvRmT1_PNSt15iterator_traitsIS13_E10value_typeET2_T3_PNS14_IS19_E10value_typeET4_jRbjT5_S1F_jjP12ihipStream_tbEUljE_ZNSN_ISO_Lb1ESR_SS_SU_SV_SZ_EES10_S11_S12_S13_S17_S18_S19_S1C_S1D_jS1E_jS1F_S1F_jjS1H_bEUljE0_EEES10_S11_S12_S19_S1D_S1F_T6_T7_T9_mT8_S1H_bDpT10_ENKUlT_T0_E_clISt17integral_constantIbLb0EES1U_IbLb1EEEEDaS1Q_S1R_EUlS1Q_E_NS1_11comp_targetILNS1_3genE8ELNS1_11target_archE1030ELNS1_3gpuE2ELNS1_3repE0EEENS1_30default_config_static_selectorELNS0_4arch9wavefront6targetE0EEEvS13_.uses_flat_scratch, 0
	.set _ZN7rocprim17ROCPRIM_400000_NS6detail17trampoline_kernelINS0_13select_configILj256ELj13ELNS0_17block_load_methodE3ELS4_3ELS4_3ELNS0_20block_scan_algorithmE0ELj4294967295EEENS1_25partition_config_selectorILNS1_17partition_subalgoE4EjNS0_10empty_typeEbEEZZNS1_14partition_implILS8_4ELb0ES6_15HIP_vector_typeIjLj2EENS0_17counting_iteratorIjlEEPS9_SG_NS0_5tupleIJPjSI_NS0_16reverse_iteratorISI_EEEEENSH_IJSG_SG_SG_EEES9_SI_JZNS1_25segmented_radix_sort_implINS0_14default_configELb1EPK6__halfPSP_PKlPlN2at6native12_GLOBAL__N_18offset_tEEE10hipError_tPvRmT1_PNSt15iterator_traitsIS13_E10value_typeET2_T3_PNS14_IS19_E10value_typeET4_jRbjT5_S1F_jjP12ihipStream_tbEUljE_ZNSN_ISO_Lb1ESR_SS_SU_SV_SZ_EES10_S11_S12_S13_S17_S18_S19_S1C_S1D_jS1E_jS1F_S1F_jjS1H_bEUljE0_EEES10_S11_S12_S19_S1D_S1F_T6_T7_T9_mT8_S1H_bDpT10_ENKUlT_T0_E_clISt17integral_constantIbLb0EES1U_IbLb1EEEEDaS1Q_S1R_EUlS1Q_E_NS1_11comp_targetILNS1_3genE8ELNS1_11target_archE1030ELNS1_3gpuE2ELNS1_3repE0EEENS1_30default_config_static_selectorELNS0_4arch9wavefront6targetE0EEEvS13_.has_dyn_sized_stack, 0
	.set _ZN7rocprim17ROCPRIM_400000_NS6detail17trampoline_kernelINS0_13select_configILj256ELj13ELNS0_17block_load_methodE3ELS4_3ELS4_3ELNS0_20block_scan_algorithmE0ELj4294967295EEENS1_25partition_config_selectorILNS1_17partition_subalgoE4EjNS0_10empty_typeEbEEZZNS1_14partition_implILS8_4ELb0ES6_15HIP_vector_typeIjLj2EENS0_17counting_iteratorIjlEEPS9_SG_NS0_5tupleIJPjSI_NS0_16reverse_iteratorISI_EEEEENSH_IJSG_SG_SG_EEES9_SI_JZNS1_25segmented_radix_sort_implINS0_14default_configELb1EPK6__halfPSP_PKlPlN2at6native12_GLOBAL__N_18offset_tEEE10hipError_tPvRmT1_PNSt15iterator_traitsIS13_E10value_typeET2_T3_PNS14_IS19_E10value_typeET4_jRbjT5_S1F_jjP12ihipStream_tbEUljE_ZNSN_ISO_Lb1ESR_SS_SU_SV_SZ_EES10_S11_S12_S13_S17_S18_S19_S1C_S1D_jS1E_jS1F_S1F_jjS1H_bEUljE0_EEES10_S11_S12_S19_S1D_S1F_T6_T7_T9_mT8_S1H_bDpT10_ENKUlT_T0_E_clISt17integral_constantIbLb0EES1U_IbLb1EEEEDaS1Q_S1R_EUlS1Q_E_NS1_11comp_targetILNS1_3genE8ELNS1_11target_archE1030ELNS1_3gpuE2ELNS1_3repE0EEENS1_30default_config_static_selectorELNS0_4arch9wavefront6targetE0EEEvS13_.has_recursion, 0
	.set _ZN7rocprim17ROCPRIM_400000_NS6detail17trampoline_kernelINS0_13select_configILj256ELj13ELNS0_17block_load_methodE3ELS4_3ELS4_3ELNS0_20block_scan_algorithmE0ELj4294967295EEENS1_25partition_config_selectorILNS1_17partition_subalgoE4EjNS0_10empty_typeEbEEZZNS1_14partition_implILS8_4ELb0ES6_15HIP_vector_typeIjLj2EENS0_17counting_iteratorIjlEEPS9_SG_NS0_5tupleIJPjSI_NS0_16reverse_iteratorISI_EEEEENSH_IJSG_SG_SG_EEES9_SI_JZNS1_25segmented_radix_sort_implINS0_14default_configELb1EPK6__halfPSP_PKlPlN2at6native12_GLOBAL__N_18offset_tEEE10hipError_tPvRmT1_PNSt15iterator_traitsIS13_E10value_typeET2_T3_PNS14_IS19_E10value_typeET4_jRbjT5_S1F_jjP12ihipStream_tbEUljE_ZNSN_ISO_Lb1ESR_SS_SU_SV_SZ_EES10_S11_S12_S13_S17_S18_S19_S1C_S1D_jS1E_jS1F_S1F_jjS1H_bEUljE0_EEES10_S11_S12_S19_S1D_S1F_T6_T7_T9_mT8_S1H_bDpT10_ENKUlT_T0_E_clISt17integral_constantIbLb0EES1U_IbLb1EEEEDaS1Q_S1R_EUlS1Q_E_NS1_11comp_targetILNS1_3genE8ELNS1_11target_archE1030ELNS1_3gpuE2ELNS1_3repE0EEENS1_30default_config_static_selectorELNS0_4arch9wavefront6targetE0EEEvS13_.has_indirect_call, 0
	.section	.AMDGPU.csdata,"",@progbits
; Kernel info:
; codeLenInByte = 0
; TotalNumSgprs: 0
; NumVgprs: 0
; ScratchSize: 0
; MemoryBound: 0
; FloatMode: 240
; IeeeMode: 1
; LDSByteSize: 0 bytes/workgroup (compile time only)
; SGPRBlocks: 0
; VGPRBlocks: 0
; NumSGPRsForWavesPerEU: 1
; NumVGPRsForWavesPerEU: 1
; Occupancy: 16
; WaveLimiterHint : 0
; COMPUTE_PGM_RSRC2:SCRATCH_EN: 0
; COMPUTE_PGM_RSRC2:USER_SGPR: 2
; COMPUTE_PGM_RSRC2:TRAP_HANDLER: 0
; COMPUTE_PGM_RSRC2:TGID_X_EN: 1
; COMPUTE_PGM_RSRC2:TGID_Y_EN: 0
; COMPUTE_PGM_RSRC2:TGID_Z_EN: 0
; COMPUTE_PGM_RSRC2:TIDIG_COMP_CNT: 0
	.section	.text._ZN7rocprim17ROCPRIM_400000_NS6detail17trampoline_kernelINS0_13select_configILj256ELj13ELNS0_17block_load_methodE3ELS4_3ELS4_3ELNS0_20block_scan_algorithmE0ELj4294967295EEENS1_25partition_config_selectorILNS1_17partition_subalgoE3EjNS0_10empty_typeEbEEZZNS1_14partition_implILS8_3ELb0ES6_jNS0_17counting_iteratorIjlEEPS9_SE_NS0_5tupleIJPjSE_EEENSF_IJSE_SE_EEES9_SG_JZNS1_25segmented_radix_sort_implINS0_14default_configELb1EPK6__halfPSL_PKlPlN2at6native12_GLOBAL__N_18offset_tEEE10hipError_tPvRmT1_PNSt15iterator_traitsISZ_E10value_typeET2_T3_PNS10_IS15_E10value_typeET4_jRbjT5_S1B_jjP12ihipStream_tbEUljE_EEESW_SX_SY_S15_S19_S1B_T6_T7_T9_mT8_S1D_bDpT10_ENKUlT_T0_E_clISt17integral_constantIbLb0EES1Q_EEDaS1L_S1M_EUlS1L_E_NS1_11comp_targetILNS1_3genE0ELNS1_11target_archE4294967295ELNS1_3gpuE0ELNS1_3repE0EEENS1_30default_config_static_selectorELNS0_4arch9wavefront6targetE0EEEvSZ_,"axG",@progbits,_ZN7rocprim17ROCPRIM_400000_NS6detail17trampoline_kernelINS0_13select_configILj256ELj13ELNS0_17block_load_methodE3ELS4_3ELS4_3ELNS0_20block_scan_algorithmE0ELj4294967295EEENS1_25partition_config_selectorILNS1_17partition_subalgoE3EjNS0_10empty_typeEbEEZZNS1_14partition_implILS8_3ELb0ES6_jNS0_17counting_iteratorIjlEEPS9_SE_NS0_5tupleIJPjSE_EEENSF_IJSE_SE_EEES9_SG_JZNS1_25segmented_radix_sort_implINS0_14default_configELb1EPK6__halfPSL_PKlPlN2at6native12_GLOBAL__N_18offset_tEEE10hipError_tPvRmT1_PNSt15iterator_traitsISZ_E10value_typeET2_T3_PNS10_IS15_E10value_typeET4_jRbjT5_S1B_jjP12ihipStream_tbEUljE_EEESW_SX_SY_S15_S19_S1B_T6_T7_T9_mT8_S1D_bDpT10_ENKUlT_T0_E_clISt17integral_constantIbLb0EES1Q_EEDaS1L_S1M_EUlS1L_E_NS1_11comp_targetILNS1_3genE0ELNS1_11target_archE4294967295ELNS1_3gpuE0ELNS1_3repE0EEENS1_30default_config_static_selectorELNS0_4arch9wavefront6targetE0EEEvSZ_,comdat
	.globl	_ZN7rocprim17ROCPRIM_400000_NS6detail17trampoline_kernelINS0_13select_configILj256ELj13ELNS0_17block_load_methodE3ELS4_3ELS4_3ELNS0_20block_scan_algorithmE0ELj4294967295EEENS1_25partition_config_selectorILNS1_17partition_subalgoE3EjNS0_10empty_typeEbEEZZNS1_14partition_implILS8_3ELb0ES6_jNS0_17counting_iteratorIjlEEPS9_SE_NS0_5tupleIJPjSE_EEENSF_IJSE_SE_EEES9_SG_JZNS1_25segmented_radix_sort_implINS0_14default_configELb1EPK6__halfPSL_PKlPlN2at6native12_GLOBAL__N_18offset_tEEE10hipError_tPvRmT1_PNSt15iterator_traitsISZ_E10value_typeET2_T3_PNS10_IS15_E10value_typeET4_jRbjT5_S1B_jjP12ihipStream_tbEUljE_EEESW_SX_SY_S15_S19_S1B_T6_T7_T9_mT8_S1D_bDpT10_ENKUlT_T0_E_clISt17integral_constantIbLb0EES1Q_EEDaS1L_S1M_EUlS1L_E_NS1_11comp_targetILNS1_3genE0ELNS1_11target_archE4294967295ELNS1_3gpuE0ELNS1_3repE0EEENS1_30default_config_static_selectorELNS0_4arch9wavefront6targetE0EEEvSZ_ ; -- Begin function _ZN7rocprim17ROCPRIM_400000_NS6detail17trampoline_kernelINS0_13select_configILj256ELj13ELNS0_17block_load_methodE3ELS4_3ELS4_3ELNS0_20block_scan_algorithmE0ELj4294967295EEENS1_25partition_config_selectorILNS1_17partition_subalgoE3EjNS0_10empty_typeEbEEZZNS1_14partition_implILS8_3ELb0ES6_jNS0_17counting_iteratorIjlEEPS9_SE_NS0_5tupleIJPjSE_EEENSF_IJSE_SE_EEES9_SG_JZNS1_25segmented_radix_sort_implINS0_14default_configELb1EPK6__halfPSL_PKlPlN2at6native12_GLOBAL__N_18offset_tEEE10hipError_tPvRmT1_PNSt15iterator_traitsISZ_E10value_typeET2_T3_PNS10_IS15_E10value_typeET4_jRbjT5_S1B_jjP12ihipStream_tbEUljE_EEESW_SX_SY_S15_S19_S1B_T6_T7_T9_mT8_S1D_bDpT10_ENKUlT_T0_E_clISt17integral_constantIbLb0EES1Q_EEDaS1L_S1M_EUlS1L_E_NS1_11comp_targetILNS1_3genE0ELNS1_11target_archE4294967295ELNS1_3gpuE0ELNS1_3repE0EEENS1_30default_config_static_selectorELNS0_4arch9wavefront6targetE0EEEvSZ_
	.p2align	8
	.type	_ZN7rocprim17ROCPRIM_400000_NS6detail17trampoline_kernelINS0_13select_configILj256ELj13ELNS0_17block_load_methodE3ELS4_3ELS4_3ELNS0_20block_scan_algorithmE0ELj4294967295EEENS1_25partition_config_selectorILNS1_17partition_subalgoE3EjNS0_10empty_typeEbEEZZNS1_14partition_implILS8_3ELb0ES6_jNS0_17counting_iteratorIjlEEPS9_SE_NS0_5tupleIJPjSE_EEENSF_IJSE_SE_EEES9_SG_JZNS1_25segmented_radix_sort_implINS0_14default_configELb1EPK6__halfPSL_PKlPlN2at6native12_GLOBAL__N_18offset_tEEE10hipError_tPvRmT1_PNSt15iterator_traitsISZ_E10value_typeET2_T3_PNS10_IS15_E10value_typeET4_jRbjT5_S1B_jjP12ihipStream_tbEUljE_EEESW_SX_SY_S15_S19_S1B_T6_T7_T9_mT8_S1D_bDpT10_ENKUlT_T0_E_clISt17integral_constantIbLb0EES1Q_EEDaS1L_S1M_EUlS1L_E_NS1_11comp_targetILNS1_3genE0ELNS1_11target_archE4294967295ELNS1_3gpuE0ELNS1_3repE0EEENS1_30default_config_static_selectorELNS0_4arch9wavefront6targetE0EEEvSZ_,@function
_ZN7rocprim17ROCPRIM_400000_NS6detail17trampoline_kernelINS0_13select_configILj256ELj13ELNS0_17block_load_methodE3ELS4_3ELS4_3ELNS0_20block_scan_algorithmE0ELj4294967295EEENS1_25partition_config_selectorILNS1_17partition_subalgoE3EjNS0_10empty_typeEbEEZZNS1_14partition_implILS8_3ELb0ES6_jNS0_17counting_iteratorIjlEEPS9_SE_NS0_5tupleIJPjSE_EEENSF_IJSE_SE_EEES9_SG_JZNS1_25segmented_radix_sort_implINS0_14default_configELb1EPK6__halfPSL_PKlPlN2at6native12_GLOBAL__N_18offset_tEEE10hipError_tPvRmT1_PNSt15iterator_traitsISZ_E10value_typeET2_T3_PNS10_IS15_E10value_typeET4_jRbjT5_S1B_jjP12ihipStream_tbEUljE_EEESW_SX_SY_S15_S19_S1B_T6_T7_T9_mT8_S1D_bDpT10_ENKUlT_T0_E_clISt17integral_constantIbLb0EES1Q_EEDaS1L_S1M_EUlS1L_E_NS1_11comp_targetILNS1_3genE0ELNS1_11target_archE4294967295ELNS1_3gpuE0ELNS1_3repE0EEENS1_30default_config_static_selectorELNS0_4arch9wavefront6targetE0EEEvSZ_: ; @_ZN7rocprim17ROCPRIM_400000_NS6detail17trampoline_kernelINS0_13select_configILj256ELj13ELNS0_17block_load_methodE3ELS4_3ELS4_3ELNS0_20block_scan_algorithmE0ELj4294967295EEENS1_25partition_config_selectorILNS1_17partition_subalgoE3EjNS0_10empty_typeEbEEZZNS1_14partition_implILS8_3ELb0ES6_jNS0_17counting_iteratorIjlEEPS9_SE_NS0_5tupleIJPjSE_EEENSF_IJSE_SE_EEES9_SG_JZNS1_25segmented_radix_sort_implINS0_14default_configELb1EPK6__halfPSL_PKlPlN2at6native12_GLOBAL__N_18offset_tEEE10hipError_tPvRmT1_PNSt15iterator_traitsISZ_E10value_typeET2_T3_PNS10_IS15_E10value_typeET4_jRbjT5_S1B_jjP12ihipStream_tbEUljE_EEESW_SX_SY_S15_S19_S1B_T6_T7_T9_mT8_S1D_bDpT10_ENKUlT_T0_E_clISt17integral_constantIbLb0EES1Q_EEDaS1L_S1M_EUlS1L_E_NS1_11comp_targetILNS1_3genE0ELNS1_11target_archE4294967295ELNS1_3gpuE0ELNS1_3repE0EEENS1_30default_config_static_selectorELNS0_4arch9wavefront6targetE0EEEvSZ_
; %bb.0:
	.section	.rodata,"a",@progbits
	.p2align	6, 0x0
	.amdhsa_kernel _ZN7rocprim17ROCPRIM_400000_NS6detail17trampoline_kernelINS0_13select_configILj256ELj13ELNS0_17block_load_methodE3ELS4_3ELS4_3ELNS0_20block_scan_algorithmE0ELj4294967295EEENS1_25partition_config_selectorILNS1_17partition_subalgoE3EjNS0_10empty_typeEbEEZZNS1_14partition_implILS8_3ELb0ES6_jNS0_17counting_iteratorIjlEEPS9_SE_NS0_5tupleIJPjSE_EEENSF_IJSE_SE_EEES9_SG_JZNS1_25segmented_radix_sort_implINS0_14default_configELb1EPK6__halfPSL_PKlPlN2at6native12_GLOBAL__N_18offset_tEEE10hipError_tPvRmT1_PNSt15iterator_traitsISZ_E10value_typeET2_T3_PNS10_IS15_E10value_typeET4_jRbjT5_S1B_jjP12ihipStream_tbEUljE_EEESW_SX_SY_S15_S19_S1B_T6_T7_T9_mT8_S1D_bDpT10_ENKUlT_T0_E_clISt17integral_constantIbLb0EES1Q_EEDaS1L_S1M_EUlS1L_E_NS1_11comp_targetILNS1_3genE0ELNS1_11target_archE4294967295ELNS1_3gpuE0ELNS1_3repE0EEENS1_30default_config_static_selectorELNS0_4arch9wavefront6targetE0EEEvSZ_
		.amdhsa_group_segment_fixed_size 0
		.amdhsa_private_segment_fixed_size 0
		.amdhsa_kernarg_size 144
		.amdhsa_user_sgpr_count 2
		.amdhsa_user_sgpr_dispatch_ptr 0
		.amdhsa_user_sgpr_queue_ptr 0
		.amdhsa_user_sgpr_kernarg_segment_ptr 1
		.amdhsa_user_sgpr_dispatch_id 0
		.amdhsa_user_sgpr_private_segment_size 0
		.amdhsa_wavefront_size32 1
		.amdhsa_uses_dynamic_stack 0
		.amdhsa_enable_private_segment 0
		.amdhsa_system_sgpr_workgroup_id_x 1
		.amdhsa_system_sgpr_workgroup_id_y 0
		.amdhsa_system_sgpr_workgroup_id_z 0
		.amdhsa_system_sgpr_workgroup_info 0
		.amdhsa_system_vgpr_workitem_id 0
		.amdhsa_next_free_vgpr 1
		.amdhsa_next_free_sgpr 1
		.amdhsa_reserve_vcc 0
		.amdhsa_float_round_mode_32 0
		.amdhsa_float_round_mode_16_64 0
		.amdhsa_float_denorm_mode_32 3
		.amdhsa_float_denorm_mode_16_64 3
		.amdhsa_fp16_overflow 0
		.amdhsa_workgroup_processor_mode 1
		.amdhsa_memory_ordered 1
		.amdhsa_forward_progress 1
		.amdhsa_inst_pref_size 0
		.amdhsa_round_robin_scheduling 0
		.amdhsa_exception_fp_ieee_invalid_op 0
		.amdhsa_exception_fp_denorm_src 0
		.amdhsa_exception_fp_ieee_div_zero 0
		.amdhsa_exception_fp_ieee_overflow 0
		.amdhsa_exception_fp_ieee_underflow 0
		.amdhsa_exception_fp_ieee_inexact 0
		.amdhsa_exception_int_div_zero 0
	.end_amdhsa_kernel
	.section	.text._ZN7rocprim17ROCPRIM_400000_NS6detail17trampoline_kernelINS0_13select_configILj256ELj13ELNS0_17block_load_methodE3ELS4_3ELS4_3ELNS0_20block_scan_algorithmE0ELj4294967295EEENS1_25partition_config_selectorILNS1_17partition_subalgoE3EjNS0_10empty_typeEbEEZZNS1_14partition_implILS8_3ELb0ES6_jNS0_17counting_iteratorIjlEEPS9_SE_NS0_5tupleIJPjSE_EEENSF_IJSE_SE_EEES9_SG_JZNS1_25segmented_radix_sort_implINS0_14default_configELb1EPK6__halfPSL_PKlPlN2at6native12_GLOBAL__N_18offset_tEEE10hipError_tPvRmT1_PNSt15iterator_traitsISZ_E10value_typeET2_T3_PNS10_IS15_E10value_typeET4_jRbjT5_S1B_jjP12ihipStream_tbEUljE_EEESW_SX_SY_S15_S19_S1B_T6_T7_T9_mT8_S1D_bDpT10_ENKUlT_T0_E_clISt17integral_constantIbLb0EES1Q_EEDaS1L_S1M_EUlS1L_E_NS1_11comp_targetILNS1_3genE0ELNS1_11target_archE4294967295ELNS1_3gpuE0ELNS1_3repE0EEENS1_30default_config_static_selectorELNS0_4arch9wavefront6targetE0EEEvSZ_,"axG",@progbits,_ZN7rocprim17ROCPRIM_400000_NS6detail17trampoline_kernelINS0_13select_configILj256ELj13ELNS0_17block_load_methodE3ELS4_3ELS4_3ELNS0_20block_scan_algorithmE0ELj4294967295EEENS1_25partition_config_selectorILNS1_17partition_subalgoE3EjNS0_10empty_typeEbEEZZNS1_14partition_implILS8_3ELb0ES6_jNS0_17counting_iteratorIjlEEPS9_SE_NS0_5tupleIJPjSE_EEENSF_IJSE_SE_EEES9_SG_JZNS1_25segmented_radix_sort_implINS0_14default_configELb1EPK6__halfPSL_PKlPlN2at6native12_GLOBAL__N_18offset_tEEE10hipError_tPvRmT1_PNSt15iterator_traitsISZ_E10value_typeET2_T3_PNS10_IS15_E10value_typeET4_jRbjT5_S1B_jjP12ihipStream_tbEUljE_EEESW_SX_SY_S15_S19_S1B_T6_T7_T9_mT8_S1D_bDpT10_ENKUlT_T0_E_clISt17integral_constantIbLb0EES1Q_EEDaS1L_S1M_EUlS1L_E_NS1_11comp_targetILNS1_3genE0ELNS1_11target_archE4294967295ELNS1_3gpuE0ELNS1_3repE0EEENS1_30default_config_static_selectorELNS0_4arch9wavefront6targetE0EEEvSZ_,comdat
.Lfunc_end1707:
	.size	_ZN7rocprim17ROCPRIM_400000_NS6detail17trampoline_kernelINS0_13select_configILj256ELj13ELNS0_17block_load_methodE3ELS4_3ELS4_3ELNS0_20block_scan_algorithmE0ELj4294967295EEENS1_25partition_config_selectorILNS1_17partition_subalgoE3EjNS0_10empty_typeEbEEZZNS1_14partition_implILS8_3ELb0ES6_jNS0_17counting_iteratorIjlEEPS9_SE_NS0_5tupleIJPjSE_EEENSF_IJSE_SE_EEES9_SG_JZNS1_25segmented_radix_sort_implINS0_14default_configELb1EPK6__halfPSL_PKlPlN2at6native12_GLOBAL__N_18offset_tEEE10hipError_tPvRmT1_PNSt15iterator_traitsISZ_E10value_typeET2_T3_PNS10_IS15_E10value_typeET4_jRbjT5_S1B_jjP12ihipStream_tbEUljE_EEESW_SX_SY_S15_S19_S1B_T6_T7_T9_mT8_S1D_bDpT10_ENKUlT_T0_E_clISt17integral_constantIbLb0EES1Q_EEDaS1L_S1M_EUlS1L_E_NS1_11comp_targetILNS1_3genE0ELNS1_11target_archE4294967295ELNS1_3gpuE0ELNS1_3repE0EEENS1_30default_config_static_selectorELNS0_4arch9wavefront6targetE0EEEvSZ_, .Lfunc_end1707-_ZN7rocprim17ROCPRIM_400000_NS6detail17trampoline_kernelINS0_13select_configILj256ELj13ELNS0_17block_load_methodE3ELS4_3ELS4_3ELNS0_20block_scan_algorithmE0ELj4294967295EEENS1_25partition_config_selectorILNS1_17partition_subalgoE3EjNS0_10empty_typeEbEEZZNS1_14partition_implILS8_3ELb0ES6_jNS0_17counting_iteratorIjlEEPS9_SE_NS0_5tupleIJPjSE_EEENSF_IJSE_SE_EEES9_SG_JZNS1_25segmented_radix_sort_implINS0_14default_configELb1EPK6__halfPSL_PKlPlN2at6native12_GLOBAL__N_18offset_tEEE10hipError_tPvRmT1_PNSt15iterator_traitsISZ_E10value_typeET2_T3_PNS10_IS15_E10value_typeET4_jRbjT5_S1B_jjP12ihipStream_tbEUljE_EEESW_SX_SY_S15_S19_S1B_T6_T7_T9_mT8_S1D_bDpT10_ENKUlT_T0_E_clISt17integral_constantIbLb0EES1Q_EEDaS1L_S1M_EUlS1L_E_NS1_11comp_targetILNS1_3genE0ELNS1_11target_archE4294967295ELNS1_3gpuE0ELNS1_3repE0EEENS1_30default_config_static_selectorELNS0_4arch9wavefront6targetE0EEEvSZ_
                                        ; -- End function
	.set _ZN7rocprim17ROCPRIM_400000_NS6detail17trampoline_kernelINS0_13select_configILj256ELj13ELNS0_17block_load_methodE3ELS4_3ELS4_3ELNS0_20block_scan_algorithmE0ELj4294967295EEENS1_25partition_config_selectorILNS1_17partition_subalgoE3EjNS0_10empty_typeEbEEZZNS1_14partition_implILS8_3ELb0ES6_jNS0_17counting_iteratorIjlEEPS9_SE_NS0_5tupleIJPjSE_EEENSF_IJSE_SE_EEES9_SG_JZNS1_25segmented_radix_sort_implINS0_14default_configELb1EPK6__halfPSL_PKlPlN2at6native12_GLOBAL__N_18offset_tEEE10hipError_tPvRmT1_PNSt15iterator_traitsISZ_E10value_typeET2_T3_PNS10_IS15_E10value_typeET4_jRbjT5_S1B_jjP12ihipStream_tbEUljE_EEESW_SX_SY_S15_S19_S1B_T6_T7_T9_mT8_S1D_bDpT10_ENKUlT_T0_E_clISt17integral_constantIbLb0EES1Q_EEDaS1L_S1M_EUlS1L_E_NS1_11comp_targetILNS1_3genE0ELNS1_11target_archE4294967295ELNS1_3gpuE0ELNS1_3repE0EEENS1_30default_config_static_selectorELNS0_4arch9wavefront6targetE0EEEvSZ_.num_vgpr, 0
	.set _ZN7rocprim17ROCPRIM_400000_NS6detail17trampoline_kernelINS0_13select_configILj256ELj13ELNS0_17block_load_methodE3ELS4_3ELS4_3ELNS0_20block_scan_algorithmE0ELj4294967295EEENS1_25partition_config_selectorILNS1_17partition_subalgoE3EjNS0_10empty_typeEbEEZZNS1_14partition_implILS8_3ELb0ES6_jNS0_17counting_iteratorIjlEEPS9_SE_NS0_5tupleIJPjSE_EEENSF_IJSE_SE_EEES9_SG_JZNS1_25segmented_radix_sort_implINS0_14default_configELb1EPK6__halfPSL_PKlPlN2at6native12_GLOBAL__N_18offset_tEEE10hipError_tPvRmT1_PNSt15iterator_traitsISZ_E10value_typeET2_T3_PNS10_IS15_E10value_typeET4_jRbjT5_S1B_jjP12ihipStream_tbEUljE_EEESW_SX_SY_S15_S19_S1B_T6_T7_T9_mT8_S1D_bDpT10_ENKUlT_T0_E_clISt17integral_constantIbLb0EES1Q_EEDaS1L_S1M_EUlS1L_E_NS1_11comp_targetILNS1_3genE0ELNS1_11target_archE4294967295ELNS1_3gpuE0ELNS1_3repE0EEENS1_30default_config_static_selectorELNS0_4arch9wavefront6targetE0EEEvSZ_.num_agpr, 0
	.set _ZN7rocprim17ROCPRIM_400000_NS6detail17trampoline_kernelINS0_13select_configILj256ELj13ELNS0_17block_load_methodE3ELS4_3ELS4_3ELNS0_20block_scan_algorithmE0ELj4294967295EEENS1_25partition_config_selectorILNS1_17partition_subalgoE3EjNS0_10empty_typeEbEEZZNS1_14partition_implILS8_3ELb0ES6_jNS0_17counting_iteratorIjlEEPS9_SE_NS0_5tupleIJPjSE_EEENSF_IJSE_SE_EEES9_SG_JZNS1_25segmented_radix_sort_implINS0_14default_configELb1EPK6__halfPSL_PKlPlN2at6native12_GLOBAL__N_18offset_tEEE10hipError_tPvRmT1_PNSt15iterator_traitsISZ_E10value_typeET2_T3_PNS10_IS15_E10value_typeET4_jRbjT5_S1B_jjP12ihipStream_tbEUljE_EEESW_SX_SY_S15_S19_S1B_T6_T7_T9_mT8_S1D_bDpT10_ENKUlT_T0_E_clISt17integral_constantIbLb0EES1Q_EEDaS1L_S1M_EUlS1L_E_NS1_11comp_targetILNS1_3genE0ELNS1_11target_archE4294967295ELNS1_3gpuE0ELNS1_3repE0EEENS1_30default_config_static_selectorELNS0_4arch9wavefront6targetE0EEEvSZ_.numbered_sgpr, 0
	.set _ZN7rocprim17ROCPRIM_400000_NS6detail17trampoline_kernelINS0_13select_configILj256ELj13ELNS0_17block_load_methodE3ELS4_3ELS4_3ELNS0_20block_scan_algorithmE0ELj4294967295EEENS1_25partition_config_selectorILNS1_17partition_subalgoE3EjNS0_10empty_typeEbEEZZNS1_14partition_implILS8_3ELb0ES6_jNS0_17counting_iteratorIjlEEPS9_SE_NS0_5tupleIJPjSE_EEENSF_IJSE_SE_EEES9_SG_JZNS1_25segmented_radix_sort_implINS0_14default_configELb1EPK6__halfPSL_PKlPlN2at6native12_GLOBAL__N_18offset_tEEE10hipError_tPvRmT1_PNSt15iterator_traitsISZ_E10value_typeET2_T3_PNS10_IS15_E10value_typeET4_jRbjT5_S1B_jjP12ihipStream_tbEUljE_EEESW_SX_SY_S15_S19_S1B_T6_T7_T9_mT8_S1D_bDpT10_ENKUlT_T0_E_clISt17integral_constantIbLb0EES1Q_EEDaS1L_S1M_EUlS1L_E_NS1_11comp_targetILNS1_3genE0ELNS1_11target_archE4294967295ELNS1_3gpuE0ELNS1_3repE0EEENS1_30default_config_static_selectorELNS0_4arch9wavefront6targetE0EEEvSZ_.num_named_barrier, 0
	.set _ZN7rocprim17ROCPRIM_400000_NS6detail17trampoline_kernelINS0_13select_configILj256ELj13ELNS0_17block_load_methodE3ELS4_3ELS4_3ELNS0_20block_scan_algorithmE0ELj4294967295EEENS1_25partition_config_selectorILNS1_17partition_subalgoE3EjNS0_10empty_typeEbEEZZNS1_14partition_implILS8_3ELb0ES6_jNS0_17counting_iteratorIjlEEPS9_SE_NS0_5tupleIJPjSE_EEENSF_IJSE_SE_EEES9_SG_JZNS1_25segmented_radix_sort_implINS0_14default_configELb1EPK6__halfPSL_PKlPlN2at6native12_GLOBAL__N_18offset_tEEE10hipError_tPvRmT1_PNSt15iterator_traitsISZ_E10value_typeET2_T3_PNS10_IS15_E10value_typeET4_jRbjT5_S1B_jjP12ihipStream_tbEUljE_EEESW_SX_SY_S15_S19_S1B_T6_T7_T9_mT8_S1D_bDpT10_ENKUlT_T0_E_clISt17integral_constantIbLb0EES1Q_EEDaS1L_S1M_EUlS1L_E_NS1_11comp_targetILNS1_3genE0ELNS1_11target_archE4294967295ELNS1_3gpuE0ELNS1_3repE0EEENS1_30default_config_static_selectorELNS0_4arch9wavefront6targetE0EEEvSZ_.private_seg_size, 0
	.set _ZN7rocprim17ROCPRIM_400000_NS6detail17trampoline_kernelINS0_13select_configILj256ELj13ELNS0_17block_load_methodE3ELS4_3ELS4_3ELNS0_20block_scan_algorithmE0ELj4294967295EEENS1_25partition_config_selectorILNS1_17partition_subalgoE3EjNS0_10empty_typeEbEEZZNS1_14partition_implILS8_3ELb0ES6_jNS0_17counting_iteratorIjlEEPS9_SE_NS0_5tupleIJPjSE_EEENSF_IJSE_SE_EEES9_SG_JZNS1_25segmented_radix_sort_implINS0_14default_configELb1EPK6__halfPSL_PKlPlN2at6native12_GLOBAL__N_18offset_tEEE10hipError_tPvRmT1_PNSt15iterator_traitsISZ_E10value_typeET2_T3_PNS10_IS15_E10value_typeET4_jRbjT5_S1B_jjP12ihipStream_tbEUljE_EEESW_SX_SY_S15_S19_S1B_T6_T7_T9_mT8_S1D_bDpT10_ENKUlT_T0_E_clISt17integral_constantIbLb0EES1Q_EEDaS1L_S1M_EUlS1L_E_NS1_11comp_targetILNS1_3genE0ELNS1_11target_archE4294967295ELNS1_3gpuE0ELNS1_3repE0EEENS1_30default_config_static_selectorELNS0_4arch9wavefront6targetE0EEEvSZ_.uses_vcc, 0
	.set _ZN7rocprim17ROCPRIM_400000_NS6detail17trampoline_kernelINS0_13select_configILj256ELj13ELNS0_17block_load_methodE3ELS4_3ELS4_3ELNS0_20block_scan_algorithmE0ELj4294967295EEENS1_25partition_config_selectorILNS1_17partition_subalgoE3EjNS0_10empty_typeEbEEZZNS1_14partition_implILS8_3ELb0ES6_jNS0_17counting_iteratorIjlEEPS9_SE_NS0_5tupleIJPjSE_EEENSF_IJSE_SE_EEES9_SG_JZNS1_25segmented_radix_sort_implINS0_14default_configELb1EPK6__halfPSL_PKlPlN2at6native12_GLOBAL__N_18offset_tEEE10hipError_tPvRmT1_PNSt15iterator_traitsISZ_E10value_typeET2_T3_PNS10_IS15_E10value_typeET4_jRbjT5_S1B_jjP12ihipStream_tbEUljE_EEESW_SX_SY_S15_S19_S1B_T6_T7_T9_mT8_S1D_bDpT10_ENKUlT_T0_E_clISt17integral_constantIbLb0EES1Q_EEDaS1L_S1M_EUlS1L_E_NS1_11comp_targetILNS1_3genE0ELNS1_11target_archE4294967295ELNS1_3gpuE0ELNS1_3repE0EEENS1_30default_config_static_selectorELNS0_4arch9wavefront6targetE0EEEvSZ_.uses_flat_scratch, 0
	.set _ZN7rocprim17ROCPRIM_400000_NS6detail17trampoline_kernelINS0_13select_configILj256ELj13ELNS0_17block_load_methodE3ELS4_3ELS4_3ELNS0_20block_scan_algorithmE0ELj4294967295EEENS1_25partition_config_selectorILNS1_17partition_subalgoE3EjNS0_10empty_typeEbEEZZNS1_14partition_implILS8_3ELb0ES6_jNS0_17counting_iteratorIjlEEPS9_SE_NS0_5tupleIJPjSE_EEENSF_IJSE_SE_EEES9_SG_JZNS1_25segmented_radix_sort_implINS0_14default_configELb1EPK6__halfPSL_PKlPlN2at6native12_GLOBAL__N_18offset_tEEE10hipError_tPvRmT1_PNSt15iterator_traitsISZ_E10value_typeET2_T3_PNS10_IS15_E10value_typeET4_jRbjT5_S1B_jjP12ihipStream_tbEUljE_EEESW_SX_SY_S15_S19_S1B_T6_T7_T9_mT8_S1D_bDpT10_ENKUlT_T0_E_clISt17integral_constantIbLb0EES1Q_EEDaS1L_S1M_EUlS1L_E_NS1_11comp_targetILNS1_3genE0ELNS1_11target_archE4294967295ELNS1_3gpuE0ELNS1_3repE0EEENS1_30default_config_static_selectorELNS0_4arch9wavefront6targetE0EEEvSZ_.has_dyn_sized_stack, 0
	.set _ZN7rocprim17ROCPRIM_400000_NS6detail17trampoline_kernelINS0_13select_configILj256ELj13ELNS0_17block_load_methodE3ELS4_3ELS4_3ELNS0_20block_scan_algorithmE0ELj4294967295EEENS1_25partition_config_selectorILNS1_17partition_subalgoE3EjNS0_10empty_typeEbEEZZNS1_14partition_implILS8_3ELb0ES6_jNS0_17counting_iteratorIjlEEPS9_SE_NS0_5tupleIJPjSE_EEENSF_IJSE_SE_EEES9_SG_JZNS1_25segmented_radix_sort_implINS0_14default_configELb1EPK6__halfPSL_PKlPlN2at6native12_GLOBAL__N_18offset_tEEE10hipError_tPvRmT1_PNSt15iterator_traitsISZ_E10value_typeET2_T3_PNS10_IS15_E10value_typeET4_jRbjT5_S1B_jjP12ihipStream_tbEUljE_EEESW_SX_SY_S15_S19_S1B_T6_T7_T9_mT8_S1D_bDpT10_ENKUlT_T0_E_clISt17integral_constantIbLb0EES1Q_EEDaS1L_S1M_EUlS1L_E_NS1_11comp_targetILNS1_3genE0ELNS1_11target_archE4294967295ELNS1_3gpuE0ELNS1_3repE0EEENS1_30default_config_static_selectorELNS0_4arch9wavefront6targetE0EEEvSZ_.has_recursion, 0
	.set _ZN7rocprim17ROCPRIM_400000_NS6detail17trampoline_kernelINS0_13select_configILj256ELj13ELNS0_17block_load_methodE3ELS4_3ELS4_3ELNS0_20block_scan_algorithmE0ELj4294967295EEENS1_25partition_config_selectorILNS1_17partition_subalgoE3EjNS0_10empty_typeEbEEZZNS1_14partition_implILS8_3ELb0ES6_jNS0_17counting_iteratorIjlEEPS9_SE_NS0_5tupleIJPjSE_EEENSF_IJSE_SE_EEES9_SG_JZNS1_25segmented_radix_sort_implINS0_14default_configELb1EPK6__halfPSL_PKlPlN2at6native12_GLOBAL__N_18offset_tEEE10hipError_tPvRmT1_PNSt15iterator_traitsISZ_E10value_typeET2_T3_PNS10_IS15_E10value_typeET4_jRbjT5_S1B_jjP12ihipStream_tbEUljE_EEESW_SX_SY_S15_S19_S1B_T6_T7_T9_mT8_S1D_bDpT10_ENKUlT_T0_E_clISt17integral_constantIbLb0EES1Q_EEDaS1L_S1M_EUlS1L_E_NS1_11comp_targetILNS1_3genE0ELNS1_11target_archE4294967295ELNS1_3gpuE0ELNS1_3repE0EEENS1_30default_config_static_selectorELNS0_4arch9wavefront6targetE0EEEvSZ_.has_indirect_call, 0
	.section	.AMDGPU.csdata,"",@progbits
; Kernel info:
; codeLenInByte = 0
; TotalNumSgprs: 0
; NumVgprs: 0
; ScratchSize: 0
; MemoryBound: 0
; FloatMode: 240
; IeeeMode: 1
; LDSByteSize: 0 bytes/workgroup (compile time only)
; SGPRBlocks: 0
; VGPRBlocks: 0
; NumSGPRsForWavesPerEU: 1
; NumVGPRsForWavesPerEU: 1
; Occupancy: 16
; WaveLimiterHint : 0
; COMPUTE_PGM_RSRC2:SCRATCH_EN: 0
; COMPUTE_PGM_RSRC2:USER_SGPR: 2
; COMPUTE_PGM_RSRC2:TRAP_HANDLER: 0
; COMPUTE_PGM_RSRC2:TGID_X_EN: 1
; COMPUTE_PGM_RSRC2:TGID_Y_EN: 0
; COMPUTE_PGM_RSRC2:TGID_Z_EN: 0
; COMPUTE_PGM_RSRC2:TIDIG_COMP_CNT: 0
	.section	.text._ZN7rocprim17ROCPRIM_400000_NS6detail17trampoline_kernelINS0_13select_configILj256ELj13ELNS0_17block_load_methodE3ELS4_3ELS4_3ELNS0_20block_scan_algorithmE0ELj4294967295EEENS1_25partition_config_selectorILNS1_17partition_subalgoE3EjNS0_10empty_typeEbEEZZNS1_14partition_implILS8_3ELb0ES6_jNS0_17counting_iteratorIjlEEPS9_SE_NS0_5tupleIJPjSE_EEENSF_IJSE_SE_EEES9_SG_JZNS1_25segmented_radix_sort_implINS0_14default_configELb1EPK6__halfPSL_PKlPlN2at6native12_GLOBAL__N_18offset_tEEE10hipError_tPvRmT1_PNSt15iterator_traitsISZ_E10value_typeET2_T3_PNS10_IS15_E10value_typeET4_jRbjT5_S1B_jjP12ihipStream_tbEUljE_EEESW_SX_SY_S15_S19_S1B_T6_T7_T9_mT8_S1D_bDpT10_ENKUlT_T0_E_clISt17integral_constantIbLb0EES1Q_EEDaS1L_S1M_EUlS1L_E_NS1_11comp_targetILNS1_3genE5ELNS1_11target_archE942ELNS1_3gpuE9ELNS1_3repE0EEENS1_30default_config_static_selectorELNS0_4arch9wavefront6targetE0EEEvSZ_,"axG",@progbits,_ZN7rocprim17ROCPRIM_400000_NS6detail17trampoline_kernelINS0_13select_configILj256ELj13ELNS0_17block_load_methodE3ELS4_3ELS4_3ELNS0_20block_scan_algorithmE0ELj4294967295EEENS1_25partition_config_selectorILNS1_17partition_subalgoE3EjNS0_10empty_typeEbEEZZNS1_14partition_implILS8_3ELb0ES6_jNS0_17counting_iteratorIjlEEPS9_SE_NS0_5tupleIJPjSE_EEENSF_IJSE_SE_EEES9_SG_JZNS1_25segmented_radix_sort_implINS0_14default_configELb1EPK6__halfPSL_PKlPlN2at6native12_GLOBAL__N_18offset_tEEE10hipError_tPvRmT1_PNSt15iterator_traitsISZ_E10value_typeET2_T3_PNS10_IS15_E10value_typeET4_jRbjT5_S1B_jjP12ihipStream_tbEUljE_EEESW_SX_SY_S15_S19_S1B_T6_T7_T9_mT8_S1D_bDpT10_ENKUlT_T0_E_clISt17integral_constantIbLb0EES1Q_EEDaS1L_S1M_EUlS1L_E_NS1_11comp_targetILNS1_3genE5ELNS1_11target_archE942ELNS1_3gpuE9ELNS1_3repE0EEENS1_30default_config_static_selectorELNS0_4arch9wavefront6targetE0EEEvSZ_,comdat
	.globl	_ZN7rocprim17ROCPRIM_400000_NS6detail17trampoline_kernelINS0_13select_configILj256ELj13ELNS0_17block_load_methodE3ELS4_3ELS4_3ELNS0_20block_scan_algorithmE0ELj4294967295EEENS1_25partition_config_selectorILNS1_17partition_subalgoE3EjNS0_10empty_typeEbEEZZNS1_14partition_implILS8_3ELb0ES6_jNS0_17counting_iteratorIjlEEPS9_SE_NS0_5tupleIJPjSE_EEENSF_IJSE_SE_EEES9_SG_JZNS1_25segmented_radix_sort_implINS0_14default_configELb1EPK6__halfPSL_PKlPlN2at6native12_GLOBAL__N_18offset_tEEE10hipError_tPvRmT1_PNSt15iterator_traitsISZ_E10value_typeET2_T3_PNS10_IS15_E10value_typeET4_jRbjT5_S1B_jjP12ihipStream_tbEUljE_EEESW_SX_SY_S15_S19_S1B_T6_T7_T9_mT8_S1D_bDpT10_ENKUlT_T0_E_clISt17integral_constantIbLb0EES1Q_EEDaS1L_S1M_EUlS1L_E_NS1_11comp_targetILNS1_3genE5ELNS1_11target_archE942ELNS1_3gpuE9ELNS1_3repE0EEENS1_30default_config_static_selectorELNS0_4arch9wavefront6targetE0EEEvSZ_ ; -- Begin function _ZN7rocprim17ROCPRIM_400000_NS6detail17trampoline_kernelINS0_13select_configILj256ELj13ELNS0_17block_load_methodE3ELS4_3ELS4_3ELNS0_20block_scan_algorithmE0ELj4294967295EEENS1_25partition_config_selectorILNS1_17partition_subalgoE3EjNS0_10empty_typeEbEEZZNS1_14partition_implILS8_3ELb0ES6_jNS0_17counting_iteratorIjlEEPS9_SE_NS0_5tupleIJPjSE_EEENSF_IJSE_SE_EEES9_SG_JZNS1_25segmented_radix_sort_implINS0_14default_configELb1EPK6__halfPSL_PKlPlN2at6native12_GLOBAL__N_18offset_tEEE10hipError_tPvRmT1_PNSt15iterator_traitsISZ_E10value_typeET2_T3_PNS10_IS15_E10value_typeET4_jRbjT5_S1B_jjP12ihipStream_tbEUljE_EEESW_SX_SY_S15_S19_S1B_T6_T7_T9_mT8_S1D_bDpT10_ENKUlT_T0_E_clISt17integral_constantIbLb0EES1Q_EEDaS1L_S1M_EUlS1L_E_NS1_11comp_targetILNS1_3genE5ELNS1_11target_archE942ELNS1_3gpuE9ELNS1_3repE0EEENS1_30default_config_static_selectorELNS0_4arch9wavefront6targetE0EEEvSZ_
	.p2align	8
	.type	_ZN7rocprim17ROCPRIM_400000_NS6detail17trampoline_kernelINS0_13select_configILj256ELj13ELNS0_17block_load_methodE3ELS4_3ELS4_3ELNS0_20block_scan_algorithmE0ELj4294967295EEENS1_25partition_config_selectorILNS1_17partition_subalgoE3EjNS0_10empty_typeEbEEZZNS1_14partition_implILS8_3ELb0ES6_jNS0_17counting_iteratorIjlEEPS9_SE_NS0_5tupleIJPjSE_EEENSF_IJSE_SE_EEES9_SG_JZNS1_25segmented_radix_sort_implINS0_14default_configELb1EPK6__halfPSL_PKlPlN2at6native12_GLOBAL__N_18offset_tEEE10hipError_tPvRmT1_PNSt15iterator_traitsISZ_E10value_typeET2_T3_PNS10_IS15_E10value_typeET4_jRbjT5_S1B_jjP12ihipStream_tbEUljE_EEESW_SX_SY_S15_S19_S1B_T6_T7_T9_mT8_S1D_bDpT10_ENKUlT_T0_E_clISt17integral_constantIbLb0EES1Q_EEDaS1L_S1M_EUlS1L_E_NS1_11comp_targetILNS1_3genE5ELNS1_11target_archE942ELNS1_3gpuE9ELNS1_3repE0EEENS1_30default_config_static_selectorELNS0_4arch9wavefront6targetE0EEEvSZ_,@function
_ZN7rocprim17ROCPRIM_400000_NS6detail17trampoline_kernelINS0_13select_configILj256ELj13ELNS0_17block_load_methodE3ELS4_3ELS4_3ELNS0_20block_scan_algorithmE0ELj4294967295EEENS1_25partition_config_selectorILNS1_17partition_subalgoE3EjNS0_10empty_typeEbEEZZNS1_14partition_implILS8_3ELb0ES6_jNS0_17counting_iteratorIjlEEPS9_SE_NS0_5tupleIJPjSE_EEENSF_IJSE_SE_EEES9_SG_JZNS1_25segmented_radix_sort_implINS0_14default_configELb1EPK6__halfPSL_PKlPlN2at6native12_GLOBAL__N_18offset_tEEE10hipError_tPvRmT1_PNSt15iterator_traitsISZ_E10value_typeET2_T3_PNS10_IS15_E10value_typeET4_jRbjT5_S1B_jjP12ihipStream_tbEUljE_EEESW_SX_SY_S15_S19_S1B_T6_T7_T9_mT8_S1D_bDpT10_ENKUlT_T0_E_clISt17integral_constantIbLb0EES1Q_EEDaS1L_S1M_EUlS1L_E_NS1_11comp_targetILNS1_3genE5ELNS1_11target_archE942ELNS1_3gpuE9ELNS1_3repE0EEENS1_30default_config_static_selectorELNS0_4arch9wavefront6targetE0EEEvSZ_: ; @_ZN7rocprim17ROCPRIM_400000_NS6detail17trampoline_kernelINS0_13select_configILj256ELj13ELNS0_17block_load_methodE3ELS4_3ELS4_3ELNS0_20block_scan_algorithmE0ELj4294967295EEENS1_25partition_config_selectorILNS1_17partition_subalgoE3EjNS0_10empty_typeEbEEZZNS1_14partition_implILS8_3ELb0ES6_jNS0_17counting_iteratorIjlEEPS9_SE_NS0_5tupleIJPjSE_EEENSF_IJSE_SE_EEES9_SG_JZNS1_25segmented_radix_sort_implINS0_14default_configELb1EPK6__halfPSL_PKlPlN2at6native12_GLOBAL__N_18offset_tEEE10hipError_tPvRmT1_PNSt15iterator_traitsISZ_E10value_typeET2_T3_PNS10_IS15_E10value_typeET4_jRbjT5_S1B_jjP12ihipStream_tbEUljE_EEESW_SX_SY_S15_S19_S1B_T6_T7_T9_mT8_S1D_bDpT10_ENKUlT_T0_E_clISt17integral_constantIbLb0EES1Q_EEDaS1L_S1M_EUlS1L_E_NS1_11comp_targetILNS1_3genE5ELNS1_11target_archE942ELNS1_3gpuE9ELNS1_3repE0EEENS1_30default_config_static_selectorELNS0_4arch9wavefront6targetE0EEEvSZ_
; %bb.0:
	.section	.rodata,"a",@progbits
	.p2align	6, 0x0
	.amdhsa_kernel _ZN7rocprim17ROCPRIM_400000_NS6detail17trampoline_kernelINS0_13select_configILj256ELj13ELNS0_17block_load_methodE3ELS4_3ELS4_3ELNS0_20block_scan_algorithmE0ELj4294967295EEENS1_25partition_config_selectorILNS1_17partition_subalgoE3EjNS0_10empty_typeEbEEZZNS1_14partition_implILS8_3ELb0ES6_jNS0_17counting_iteratorIjlEEPS9_SE_NS0_5tupleIJPjSE_EEENSF_IJSE_SE_EEES9_SG_JZNS1_25segmented_radix_sort_implINS0_14default_configELb1EPK6__halfPSL_PKlPlN2at6native12_GLOBAL__N_18offset_tEEE10hipError_tPvRmT1_PNSt15iterator_traitsISZ_E10value_typeET2_T3_PNS10_IS15_E10value_typeET4_jRbjT5_S1B_jjP12ihipStream_tbEUljE_EEESW_SX_SY_S15_S19_S1B_T6_T7_T9_mT8_S1D_bDpT10_ENKUlT_T0_E_clISt17integral_constantIbLb0EES1Q_EEDaS1L_S1M_EUlS1L_E_NS1_11comp_targetILNS1_3genE5ELNS1_11target_archE942ELNS1_3gpuE9ELNS1_3repE0EEENS1_30default_config_static_selectorELNS0_4arch9wavefront6targetE0EEEvSZ_
		.amdhsa_group_segment_fixed_size 0
		.amdhsa_private_segment_fixed_size 0
		.amdhsa_kernarg_size 144
		.amdhsa_user_sgpr_count 2
		.amdhsa_user_sgpr_dispatch_ptr 0
		.amdhsa_user_sgpr_queue_ptr 0
		.amdhsa_user_sgpr_kernarg_segment_ptr 1
		.amdhsa_user_sgpr_dispatch_id 0
		.amdhsa_user_sgpr_private_segment_size 0
		.amdhsa_wavefront_size32 1
		.amdhsa_uses_dynamic_stack 0
		.amdhsa_enable_private_segment 0
		.amdhsa_system_sgpr_workgroup_id_x 1
		.amdhsa_system_sgpr_workgroup_id_y 0
		.amdhsa_system_sgpr_workgroup_id_z 0
		.amdhsa_system_sgpr_workgroup_info 0
		.amdhsa_system_vgpr_workitem_id 0
		.amdhsa_next_free_vgpr 1
		.amdhsa_next_free_sgpr 1
		.amdhsa_reserve_vcc 0
		.amdhsa_float_round_mode_32 0
		.amdhsa_float_round_mode_16_64 0
		.amdhsa_float_denorm_mode_32 3
		.amdhsa_float_denorm_mode_16_64 3
		.amdhsa_fp16_overflow 0
		.amdhsa_workgroup_processor_mode 1
		.amdhsa_memory_ordered 1
		.amdhsa_forward_progress 1
		.amdhsa_inst_pref_size 0
		.amdhsa_round_robin_scheduling 0
		.amdhsa_exception_fp_ieee_invalid_op 0
		.amdhsa_exception_fp_denorm_src 0
		.amdhsa_exception_fp_ieee_div_zero 0
		.amdhsa_exception_fp_ieee_overflow 0
		.amdhsa_exception_fp_ieee_underflow 0
		.amdhsa_exception_fp_ieee_inexact 0
		.amdhsa_exception_int_div_zero 0
	.end_amdhsa_kernel
	.section	.text._ZN7rocprim17ROCPRIM_400000_NS6detail17trampoline_kernelINS0_13select_configILj256ELj13ELNS0_17block_load_methodE3ELS4_3ELS4_3ELNS0_20block_scan_algorithmE0ELj4294967295EEENS1_25partition_config_selectorILNS1_17partition_subalgoE3EjNS0_10empty_typeEbEEZZNS1_14partition_implILS8_3ELb0ES6_jNS0_17counting_iteratorIjlEEPS9_SE_NS0_5tupleIJPjSE_EEENSF_IJSE_SE_EEES9_SG_JZNS1_25segmented_radix_sort_implINS0_14default_configELb1EPK6__halfPSL_PKlPlN2at6native12_GLOBAL__N_18offset_tEEE10hipError_tPvRmT1_PNSt15iterator_traitsISZ_E10value_typeET2_T3_PNS10_IS15_E10value_typeET4_jRbjT5_S1B_jjP12ihipStream_tbEUljE_EEESW_SX_SY_S15_S19_S1B_T6_T7_T9_mT8_S1D_bDpT10_ENKUlT_T0_E_clISt17integral_constantIbLb0EES1Q_EEDaS1L_S1M_EUlS1L_E_NS1_11comp_targetILNS1_3genE5ELNS1_11target_archE942ELNS1_3gpuE9ELNS1_3repE0EEENS1_30default_config_static_selectorELNS0_4arch9wavefront6targetE0EEEvSZ_,"axG",@progbits,_ZN7rocprim17ROCPRIM_400000_NS6detail17trampoline_kernelINS0_13select_configILj256ELj13ELNS0_17block_load_methodE3ELS4_3ELS4_3ELNS0_20block_scan_algorithmE0ELj4294967295EEENS1_25partition_config_selectorILNS1_17partition_subalgoE3EjNS0_10empty_typeEbEEZZNS1_14partition_implILS8_3ELb0ES6_jNS0_17counting_iteratorIjlEEPS9_SE_NS0_5tupleIJPjSE_EEENSF_IJSE_SE_EEES9_SG_JZNS1_25segmented_radix_sort_implINS0_14default_configELb1EPK6__halfPSL_PKlPlN2at6native12_GLOBAL__N_18offset_tEEE10hipError_tPvRmT1_PNSt15iterator_traitsISZ_E10value_typeET2_T3_PNS10_IS15_E10value_typeET4_jRbjT5_S1B_jjP12ihipStream_tbEUljE_EEESW_SX_SY_S15_S19_S1B_T6_T7_T9_mT8_S1D_bDpT10_ENKUlT_T0_E_clISt17integral_constantIbLb0EES1Q_EEDaS1L_S1M_EUlS1L_E_NS1_11comp_targetILNS1_3genE5ELNS1_11target_archE942ELNS1_3gpuE9ELNS1_3repE0EEENS1_30default_config_static_selectorELNS0_4arch9wavefront6targetE0EEEvSZ_,comdat
.Lfunc_end1708:
	.size	_ZN7rocprim17ROCPRIM_400000_NS6detail17trampoline_kernelINS0_13select_configILj256ELj13ELNS0_17block_load_methodE3ELS4_3ELS4_3ELNS0_20block_scan_algorithmE0ELj4294967295EEENS1_25partition_config_selectorILNS1_17partition_subalgoE3EjNS0_10empty_typeEbEEZZNS1_14partition_implILS8_3ELb0ES6_jNS0_17counting_iteratorIjlEEPS9_SE_NS0_5tupleIJPjSE_EEENSF_IJSE_SE_EEES9_SG_JZNS1_25segmented_radix_sort_implINS0_14default_configELb1EPK6__halfPSL_PKlPlN2at6native12_GLOBAL__N_18offset_tEEE10hipError_tPvRmT1_PNSt15iterator_traitsISZ_E10value_typeET2_T3_PNS10_IS15_E10value_typeET4_jRbjT5_S1B_jjP12ihipStream_tbEUljE_EEESW_SX_SY_S15_S19_S1B_T6_T7_T9_mT8_S1D_bDpT10_ENKUlT_T0_E_clISt17integral_constantIbLb0EES1Q_EEDaS1L_S1M_EUlS1L_E_NS1_11comp_targetILNS1_3genE5ELNS1_11target_archE942ELNS1_3gpuE9ELNS1_3repE0EEENS1_30default_config_static_selectorELNS0_4arch9wavefront6targetE0EEEvSZ_, .Lfunc_end1708-_ZN7rocprim17ROCPRIM_400000_NS6detail17trampoline_kernelINS0_13select_configILj256ELj13ELNS0_17block_load_methodE3ELS4_3ELS4_3ELNS0_20block_scan_algorithmE0ELj4294967295EEENS1_25partition_config_selectorILNS1_17partition_subalgoE3EjNS0_10empty_typeEbEEZZNS1_14partition_implILS8_3ELb0ES6_jNS0_17counting_iteratorIjlEEPS9_SE_NS0_5tupleIJPjSE_EEENSF_IJSE_SE_EEES9_SG_JZNS1_25segmented_radix_sort_implINS0_14default_configELb1EPK6__halfPSL_PKlPlN2at6native12_GLOBAL__N_18offset_tEEE10hipError_tPvRmT1_PNSt15iterator_traitsISZ_E10value_typeET2_T3_PNS10_IS15_E10value_typeET4_jRbjT5_S1B_jjP12ihipStream_tbEUljE_EEESW_SX_SY_S15_S19_S1B_T6_T7_T9_mT8_S1D_bDpT10_ENKUlT_T0_E_clISt17integral_constantIbLb0EES1Q_EEDaS1L_S1M_EUlS1L_E_NS1_11comp_targetILNS1_3genE5ELNS1_11target_archE942ELNS1_3gpuE9ELNS1_3repE0EEENS1_30default_config_static_selectorELNS0_4arch9wavefront6targetE0EEEvSZ_
                                        ; -- End function
	.set _ZN7rocprim17ROCPRIM_400000_NS6detail17trampoline_kernelINS0_13select_configILj256ELj13ELNS0_17block_load_methodE3ELS4_3ELS4_3ELNS0_20block_scan_algorithmE0ELj4294967295EEENS1_25partition_config_selectorILNS1_17partition_subalgoE3EjNS0_10empty_typeEbEEZZNS1_14partition_implILS8_3ELb0ES6_jNS0_17counting_iteratorIjlEEPS9_SE_NS0_5tupleIJPjSE_EEENSF_IJSE_SE_EEES9_SG_JZNS1_25segmented_radix_sort_implINS0_14default_configELb1EPK6__halfPSL_PKlPlN2at6native12_GLOBAL__N_18offset_tEEE10hipError_tPvRmT1_PNSt15iterator_traitsISZ_E10value_typeET2_T3_PNS10_IS15_E10value_typeET4_jRbjT5_S1B_jjP12ihipStream_tbEUljE_EEESW_SX_SY_S15_S19_S1B_T6_T7_T9_mT8_S1D_bDpT10_ENKUlT_T0_E_clISt17integral_constantIbLb0EES1Q_EEDaS1L_S1M_EUlS1L_E_NS1_11comp_targetILNS1_3genE5ELNS1_11target_archE942ELNS1_3gpuE9ELNS1_3repE0EEENS1_30default_config_static_selectorELNS0_4arch9wavefront6targetE0EEEvSZ_.num_vgpr, 0
	.set _ZN7rocprim17ROCPRIM_400000_NS6detail17trampoline_kernelINS0_13select_configILj256ELj13ELNS0_17block_load_methodE3ELS4_3ELS4_3ELNS0_20block_scan_algorithmE0ELj4294967295EEENS1_25partition_config_selectorILNS1_17partition_subalgoE3EjNS0_10empty_typeEbEEZZNS1_14partition_implILS8_3ELb0ES6_jNS0_17counting_iteratorIjlEEPS9_SE_NS0_5tupleIJPjSE_EEENSF_IJSE_SE_EEES9_SG_JZNS1_25segmented_radix_sort_implINS0_14default_configELb1EPK6__halfPSL_PKlPlN2at6native12_GLOBAL__N_18offset_tEEE10hipError_tPvRmT1_PNSt15iterator_traitsISZ_E10value_typeET2_T3_PNS10_IS15_E10value_typeET4_jRbjT5_S1B_jjP12ihipStream_tbEUljE_EEESW_SX_SY_S15_S19_S1B_T6_T7_T9_mT8_S1D_bDpT10_ENKUlT_T0_E_clISt17integral_constantIbLb0EES1Q_EEDaS1L_S1M_EUlS1L_E_NS1_11comp_targetILNS1_3genE5ELNS1_11target_archE942ELNS1_3gpuE9ELNS1_3repE0EEENS1_30default_config_static_selectorELNS0_4arch9wavefront6targetE0EEEvSZ_.num_agpr, 0
	.set _ZN7rocprim17ROCPRIM_400000_NS6detail17trampoline_kernelINS0_13select_configILj256ELj13ELNS0_17block_load_methodE3ELS4_3ELS4_3ELNS0_20block_scan_algorithmE0ELj4294967295EEENS1_25partition_config_selectorILNS1_17partition_subalgoE3EjNS0_10empty_typeEbEEZZNS1_14partition_implILS8_3ELb0ES6_jNS0_17counting_iteratorIjlEEPS9_SE_NS0_5tupleIJPjSE_EEENSF_IJSE_SE_EEES9_SG_JZNS1_25segmented_radix_sort_implINS0_14default_configELb1EPK6__halfPSL_PKlPlN2at6native12_GLOBAL__N_18offset_tEEE10hipError_tPvRmT1_PNSt15iterator_traitsISZ_E10value_typeET2_T3_PNS10_IS15_E10value_typeET4_jRbjT5_S1B_jjP12ihipStream_tbEUljE_EEESW_SX_SY_S15_S19_S1B_T6_T7_T9_mT8_S1D_bDpT10_ENKUlT_T0_E_clISt17integral_constantIbLb0EES1Q_EEDaS1L_S1M_EUlS1L_E_NS1_11comp_targetILNS1_3genE5ELNS1_11target_archE942ELNS1_3gpuE9ELNS1_3repE0EEENS1_30default_config_static_selectorELNS0_4arch9wavefront6targetE0EEEvSZ_.numbered_sgpr, 0
	.set _ZN7rocprim17ROCPRIM_400000_NS6detail17trampoline_kernelINS0_13select_configILj256ELj13ELNS0_17block_load_methodE3ELS4_3ELS4_3ELNS0_20block_scan_algorithmE0ELj4294967295EEENS1_25partition_config_selectorILNS1_17partition_subalgoE3EjNS0_10empty_typeEbEEZZNS1_14partition_implILS8_3ELb0ES6_jNS0_17counting_iteratorIjlEEPS9_SE_NS0_5tupleIJPjSE_EEENSF_IJSE_SE_EEES9_SG_JZNS1_25segmented_radix_sort_implINS0_14default_configELb1EPK6__halfPSL_PKlPlN2at6native12_GLOBAL__N_18offset_tEEE10hipError_tPvRmT1_PNSt15iterator_traitsISZ_E10value_typeET2_T3_PNS10_IS15_E10value_typeET4_jRbjT5_S1B_jjP12ihipStream_tbEUljE_EEESW_SX_SY_S15_S19_S1B_T6_T7_T9_mT8_S1D_bDpT10_ENKUlT_T0_E_clISt17integral_constantIbLb0EES1Q_EEDaS1L_S1M_EUlS1L_E_NS1_11comp_targetILNS1_3genE5ELNS1_11target_archE942ELNS1_3gpuE9ELNS1_3repE0EEENS1_30default_config_static_selectorELNS0_4arch9wavefront6targetE0EEEvSZ_.num_named_barrier, 0
	.set _ZN7rocprim17ROCPRIM_400000_NS6detail17trampoline_kernelINS0_13select_configILj256ELj13ELNS0_17block_load_methodE3ELS4_3ELS4_3ELNS0_20block_scan_algorithmE0ELj4294967295EEENS1_25partition_config_selectorILNS1_17partition_subalgoE3EjNS0_10empty_typeEbEEZZNS1_14partition_implILS8_3ELb0ES6_jNS0_17counting_iteratorIjlEEPS9_SE_NS0_5tupleIJPjSE_EEENSF_IJSE_SE_EEES9_SG_JZNS1_25segmented_radix_sort_implINS0_14default_configELb1EPK6__halfPSL_PKlPlN2at6native12_GLOBAL__N_18offset_tEEE10hipError_tPvRmT1_PNSt15iterator_traitsISZ_E10value_typeET2_T3_PNS10_IS15_E10value_typeET4_jRbjT5_S1B_jjP12ihipStream_tbEUljE_EEESW_SX_SY_S15_S19_S1B_T6_T7_T9_mT8_S1D_bDpT10_ENKUlT_T0_E_clISt17integral_constantIbLb0EES1Q_EEDaS1L_S1M_EUlS1L_E_NS1_11comp_targetILNS1_3genE5ELNS1_11target_archE942ELNS1_3gpuE9ELNS1_3repE0EEENS1_30default_config_static_selectorELNS0_4arch9wavefront6targetE0EEEvSZ_.private_seg_size, 0
	.set _ZN7rocprim17ROCPRIM_400000_NS6detail17trampoline_kernelINS0_13select_configILj256ELj13ELNS0_17block_load_methodE3ELS4_3ELS4_3ELNS0_20block_scan_algorithmE0ELj4294967295EEENS1_25partition_config_selectorILNS1_17partition_subalgoE3EjNS0_10empty_typeEbEEZZNS1_14partition_implILS8_3ELb0ES6_jNS0_17counting_iteratorIjlEEPS9_SE_NS0_5tupleIJPjSE_EEENSF_IJSE_SE_EEES9_SG_JZNS1_25segmented_radix_sort_implINS0_14default_configELb1EPK6__halfPSL_PKlPlN2at6native12_GLOBAL__N_18offset_tEEE10hipError_tPvRmT1_PNSt15iterator_traitsISZ_E10value_typeET2_T3_PNS10_IS15_E10value_typeET4_jRbjT5_S1B_jjP12ihipStream_tbEUljE_EEESW_SX_SY_S15_S19_S1B_T6_T7_T9_mT8_S1D_bDpT10_ENKUlT_T0_E_clISt17integral_constantIbLb0EES1Q_EEDaS1L_S1M_EUlS1L_E_NS1_11comp_targetILNS1_3genE5ELNS1_11target_archE942ELNS1_3gpuE9ELNS1_3repE0EEENS1_30default_config_static_selectorELNS0_4arch9wavefront6targetE0EEEvSZ_.uses_vcc, 0
	.set _ZN7rocprim17ROCPRIM_400000_NS6detail17trampoline_kernelINS0_13select_configILj256ELj13ELNS0_17block_load_methodE3ELS4_3ELS4_3ELNS0_20block_scan_algorithmE0ELj4294967295EEENS1_25partition_config_selectorILNS1_17partition_subalgoE3EjNS0_10empty_typeEbEEZZNS1_14partition_implILS8_3ELb0ES6_jNS0_17counting_iteratorIjlEEPS9_SE_NS0_5tupleIJPjSE_EEENSF_IJSE_SE_EEES9_SG_JZNS1_25segmented_radix_sort_implINS0_14default_configELb1EPK6__halfPSL_PKlPlN2at6native12_GLOBAL__N_18offset_tEEE10hipError_tPvRmT1_PNSt15iterator_traitsISZ_E10value_typeET2_T3_PNS10_IS15_E10value_typeET4_jRbjT5_S1B_jjP12ihipStream_tbEUljE_EEESW_SX_SY_S15_S19_S1B_T6_T7_T9_mT8_S1D_bDpT10_ENKUlT_T0_E_clISt17integral_constantIbLb0EES1Q_EEDaS1L_S1M_EUlS1L_E_NS1_11comp_targetILNS1_3genE5ELNS1_11target_archE942ELNS1_3gpuE9ELNS1_3repE0EEENS1_30default_config_static_selectorELNS0_4arch9wavefront6targetE0EEEvSZ_.uses_flat_scratch, 0
	.set _ZN7rocprim17ROCPRIM_400000_NS6detail17trampoline_kernelINS0_13select_configILj256ELj13ELNS0_17block_load_methodE3ELS4_3ELS4_3ELNS0_20block_scan_algorithmE0ELj4294967295EEENS1_25partition_config_selectorILNS1_17partition_subalgoE3EjNS0_10empty_typeEbEEZZNS1_14partition_implILS8_3ELb0ES6_jNS0_17counting_iteratorIjlEEPS9_SE_NS0_5tupleIJPjSE_EEENSF_IJSE_SE_EEES9_SG_JZNS1_25segmented_radix_sort_implINS0_14default_configELb1EPK6__halfPSL_PKlPlN2at6native12_GLOBAL__N_18offset_tEEE10hipError_tPvRmT1_PNSt15iterator_traitsISZ_E10value_typeET2_T3_PNS10_IS15_E10value_typeET4_jRbjT5_S1B_jjP12ihipStream_tbEUljE_EEESW_SX_SY_S15_S19_S1B_T6_T7_T9_mT8_S1D_bDpT10_ENKUlT_T0_E_clISt17integral_constantIbLb0EES1Q_EEDaS1L_S1M_EUlS1L_E_NS1_11comp_targetILNS1_3genE5ELNS1_11target_archE942ELNS1_3gpuE9ELNS1_3repE0EEENS1_30default_config_static_selectorELNS0_4arch9wavefront6targetE0EEEvSZ_.has_dyn_sized_stack, 0
	.set _ZN7rocprim17ROCPRIM_400000_NS6detail17trampoline_kernelINS0_13select_configILj256ELj13ELNS0_17block_load_methodE3ELS4_3ELS4_3ELNS0_20block_scan_algorithmE0ELj4294967295EEENS1_25partition_config_selectorILNS1_17partition_subalgoE3EjNS0_10empty_typeEbEEZZNS1_14partition_implILS8_3ELb0ES6_jNS0_17counting_iteratorIjlEEPS9_SE_NS0_5tupleIJPjSE_EEENSF_IJSE_SE_EEES9_SG_JZNS1_25segmented_radix_sort_implINS0_14default_configELb1EPK6__halfPSL_PKlPlN2at6native12_GLOBAL__N_18offset_tEEE10hipError_tPvRmT1_PNSt15iterator_traitsISZ_E10value_typeET2_T3_PNS10_IS15_E10value_typeET4_jRbjT5_S1B_jjP12ihipStream_tbEUljE_EEESW_SX_SY_S15_S19_S1B_T6_T7_T9_mT8_S1D_bDpT10_ENKUlT_T0_E_clISt17integral_constantIbLb0EES1Q_EEDaS1L_S1M_EUlS1L_E_NS1_11comp_targetILNS1_3genE5ELNS1_11target_archE942ELNS1_3gpuE9ELNS1_3repE0EEENS1_30default_config_static_selectorELNS0_4arch9wavefront6targetE0EEEvSZ_.has_recursion, 0
	.set _ZN7rocprim17ROCPRIM_400000_NS6detail17trampoline_kernelINS0_13select_configILj256ELj13ELNS0_17block_load_methodE3ELS4_3ELS4_3ELNS0_20block_scan_algorithmE0ELj4294967295EEENS1_25partition_config_selectorILNS1_17partition_subalgoE3EjNS0_10empty_typeEbEEZZNS1_14partition_implILS8_3ELb0ES6_jNS0_17counting_iteratorIjlEEPS9_SE_NS0_5tupleIJPjSE_EEENSF_IJSE_SE_EEES9_SG_JZNS1_25segmented_radix_sort_implINS0_14default_configELb1EPK6__halfPSL_PKlPlN2at6native12_GLOBAL__N_18offset_tEEE10hipError_tPvRmT1_PNSt15iterator_traitsISZ_E10value_typeET2_T3_PNS10_IS15_E10value_typeET4_jRbjT5_S1B_jjP12ihipStream_tbEUljE_EEESW_SX_SY_S15_S19_S1B_T6_T7_T9_mT8_S1D_bDpT10_ENKUlT_T0_E_clISt17integral_constantIbLb0EES1Q_EEDaS1L_S1M_EUlS1L_E_NS1_11comp_targetILNS1_3genE5ELNS1_11target_archE942ELNS1_3gpuE9ELNS1_3repE0EEENS1_30default_config_static_selectorELNS0_4arch9wavefront6targetE0EEEvSZ_.has_indirect_call, 0
	.section	.AMDGPU.csdata,"",@progbits
; Kernel info:
; codeLenInByte = 0
; TotalNumSgprs: 0
; NumVgprs: 0
; ScratchSize: 0
; MemoryBound: 0
; FloatMode: 240
; IeeeMode: 1
; LDSByteSize: 0 bytes/workgroup (compile time only)
; SGPRBlocks: 0
; VGPRBlocks: 0
; NumSGPRsForWavesPerEU: 1
; NumVGPRsForWavesPerEU: 1
; Occupancy: 16
; WaveLimiterHint : 0
; COMPUTE_PGM_RSRC2:SCRATCH_EN: 0
; COMPUTE_PGM_RSRC2:USER_SGPR: 2
; COMPUTE_PGM_RSRC2:TRAP_HANDLER: 0
; COMPUTE_PGM_RSRC2:TGID_X_EN: 1
; COMPUTE_PGM_RSRC2:TGID_Y_EN: 0
; COMPUTE_PGM_RSRC2:TGID_Z_EN: 0
; COMPUTE_PGM_RSRC2:TIDIG_COMP_CNT: 0
	.section	.text._ZN7rocprim17ROCPRIM_400000_NS6detail17trampoline_kernelINS0_13select_configILj256ELj13ELNS0_17block_load_methodE3ELS4_3ELS4_3ELNS0_20block_scan_algorithmE0ELj4294967295EEENS1_25partition_config_selectorILNS1_17partition_subalgoE3EjNS0_10empty_typeEbEEZZNS1_14partition_implILS8_3ELb0ES6_jNS0_17counting_iteratorIjlEEPS9_SE_NS0_5tupleIJPjSE_EEENSF_IJSE_SE_EEES9_SG_JZNS1_25segmented_radix_sort_implINS0_14default_configELb1EPK6__halfPSL_PKlPlN2at6native12_GLOBAL__N_18offset_tEEE10hipError_tPvRmT1_PNSt15iterator_traitsISZ_E10value_typeET2_T3_PNS10_IS15_E10value_typeET4_jRbjT5_S1B_jjP12ihipStream_tbEUljE_EEESW_SX_SY_S15_S19_S1B_T6_T7_T9_mT8_S1D_bDpT10_ENKUlT_T0_E_clISt17integral_constantIbLb0EES1Q_EEDaS1L_S1M_EUlS1L_E_NS1_11comp_targetILNS1_3genE4ELNS1_11target_archE910ELNS1_3gpuE8ELNS1_3repE0EEENS1_30default_config_static_selectorELNS0_4arch9wavefront6targetE0EEEvSZ_,"axG",@progbits,_ZN7rocprim17ROCPRIM_400000_NS6detail17trampoline_kernelINS0_13select_configILj256ELj13ELNS0_17block_load_methodE3ELS4_3ELS4_3ELNS0_20block_scan_algorithmE0ELj4294967295EEENS1_25partition_config_selectorILNS1_17partition_subalgoE3EjNS0_10empty_typeEbEEZZNS1_14partition_implILS8_3ELb0ES6_jNS0_17counting_iteratorIjlEEPS9_SE_NS0_5tupleIJPjSE_EEENSF_IJSE_SE_EEES9_SG_JZNS1_25segmented_radix_sort_implINS0_14default_configELb1EPK6__halfPSL_PKlPlN2at6native12_GLOBAL__N_18offset_tEEE10hipError_tPvRmT1_PNSt15iterator_traitsISZ_E10value_typeET2_T3_PNS10_IS15_E10value_typeET4_jRbjT5_S1B_jjP12ihipStream_tbEUljE_EEESW_SX_SY_S15_S19_S1B_T6_T7_T9_mT8_S1D_bDpT10_ENKUlT_T0_E_clISt17integral_constantIbLb0EES1Q_EEDaS1L_S1M_EUlS1L_E_NS1_11comp_targetILNS1_3genE4ELNS1_11target_archE910ELNS1_3gpuE8ELNS1_3repE0EEENS1_30default_config_static_selectorELNS0_4arch9wavefront6targetE0EEEvSZ_,comdat
	.globl	_ZN7rocprim17ROCPRIM_400000_NS6detail17trampoline_kernelINS0_13select_configILj256ELj13ELNS0_17block_load_methodE3ELS4_3ELS4_3ELNS0_20block_scan_algorithmE0ELj4294967295EEENS1_25partition_config_selectorILNS1_17partition_subalgoE3EjNS0_10empty_typeEbEEZZNS1_14partition_implILS8_3ELb0ES6_jNS0_17counting_iteratorIjlEEPS9_SE_NS0_5tupleIJPjSE_EEENSF_IJSE_SE_EEES9_SG_JZNS1_25segmented_radix_sort_implINS0_14default_configELb1EPK6__halfPSL_PKlPlN2at6native12_GLOBAL__N_18offset_tEEE10hipError_tPvRmT1_PNSt15iterator_traitsISZ_E10value_typeET2_T3_PNS10_IS15_E10value_typeET4_jRbjT5_S1B_jjP12ihipStream_tbEUljE_EEESW_SX_SY_S15_S19_S1B_T6_T7_T9_mT8_S1D_bDpT10_ENKUlT_T0_E_clISt17integral_constantIbLb0EES1Q_EEDaS1L_S1M_EUlS1L_E_NS1_11comp_targetILNS1_3genE4ELNS1_11target_archE910ELNS1_3gpuE8ELNS1_3repE0EEENS1_30default_config_static_selectorELNS0_4arch9wavefront6targetE0EEEvSZ_ ; -- Begin function _ZN7rocprim17ROCPRIM_400000_NS6detail17trampoline_kernelINS0_13select_configILj256ELj13ELNS0_17block_load_methodE3ELS4_3ELS4_3ELNS0_20block_scan_algorithmE0ELj4294967295EEENS1_25partition_config_selectorILNS1_17partition_subalgoE3EjNS0_10empty_typeEbEEZZNS1_14partition_implILS8_3ELb0ES6_jNS0_17counting_iteratorIjlEEPS9_SE_NS0_5tupleIJPjSE_EEENSF_IJSE_SE_EEES9_SG_JZNS1_25segmented_radix_sort_implINS0_14default_configELb1EPK6__halfPSL_PKlPlN2at6native12_GLOBAL__N_18offset_tEEE10hipError_tPvRmT1_PNSt15iterator_traitsISZ_E10value_typeET2_T3_PNS10_IS15_E10value_typeET4_jRbjT5_S1B_jjP12ihipStream_tbEUljE_EEESW_SX_SY_S15_S19_S1B_T6_T7_T9_mT8_S1D_bDpT10_ENKUlT_T0_E_clISt17integral_constantIbLb0EES1Q_EEDaS1L_S1M_EUlS1L_E_NS1_11comp_targetILNS1_3genE4ELNS1_11target_archE910ELNS1_3gpuE8ELNS1_3repE0EEENS1_30default_config_static_selectorELNS0_4arch9wavefront6targetE0EEEvSZ_
	.p2align	8
	.type	_ZN7rocprim17ROCPRIM_400000_NS6detail17trampoline_kernelINS0_13select_configILj256ELj13ELNS0_17block_load_methodE3ELS4_3ELS4_3ELNS0_20block_scan_algorithmE0ELj4294967295EEENS1_25partition_config_selectorILNS1_17partition_subalgoE3EjNS0_10empty_typeEbEEZZNS1_14partition_implILS8_3ELb0ES6_jNS0_17counting_iteratorIjlEEPS9_SE_NS0_5tupleIJPjSE_EEENSF_IJSE_SE_EEES9_SG_JZNS1_25segmented_radix_sort_implINS0_14default_configELb1EPK6__halfPSL_PKlPlN2at6native12_GLOBAL__N_18offset_tEEE10hipError_tPvRmT1_PNSt15iterator_traitsISZ_E10value_typeET2_T3_PNS10_IS15_E10value_typeET4_jRbjT5_S1B_jjP12ihipStream_tbEUljE_EEESW_SX_SY_S15_S19_S1B_T6_T7_T9_mT8_S1D_bDpT10_ENKUlT_T0_E_clISt17integral_constantIbLb0EES1Q_EEDaS1L_S1M_EUlS1L_E_NS1_11comp_targetILNS1_3genE4ELNS1_11target_archE910ELNS1_3gpuE8ELNS1_3repE0EEENS1_30default_config_static_selectorELNS0_4arch9wavefront6targetE0EEEvSZ_,@function
_ZN7rocprim17ROCPRIM_400000_NS6detail17trampoline_kernelINS0_13select_configILj256ELj13ELNS0_17block_load_methodE3ELS4_3ELS4_3ELNS0_20block_scan_algorithmE0ELj4294967295EEENS1_25partition_config_selectorILNS1_17partition_subalgoE3EjNS0_10empty_typeEbEEZZNS1_14partition_implILS8_3ELb0ES6_jNS0_17counting_iteratorIjlEEPS9_SE_NS0_5tupleIJPjSE_EEENSF_IJSE_SE_EEES9_SG_JZNS1_25segmented_radix_sort_implINS0_14default_configELb1EPK6__halfPSL_PKlPlN2at6native12_GLOBAL__N_18offset_tEEE10hipError_tPvRmT1_PNSt15iterator_traitsISZ_E10value_typeET2_T3_PNS10_IS15_E10value_typeET4_jRbjT5_S1B_jjP12ihipStream_tbEUljE_EEESW_SX_SY_S15_S19_S1B_T6_T7_T9_mT8_S1D_bDpT10_ENKUlT_T0_E_clISt17integral_constantIbLb0EES1Q_EEDaS1L_S1M_EUlS1L_E_NS1_11comp_targetILNS1_3genE4ELNS1_11target_archE910ELNS1_3gpuE8ELNS1_3repE0EEENS1_30default_config_static_selectorELNS0_4arch9wavefront6targetE0EEEvSZ_: ; @_ZN7rocprim17ROCPRIM_400000_NS6detail17trampoline_kernelINS0_13select_configILj256ELj13ELNS0_17block_load_methodE3ELS4_3ELS4_3ELNS0_20block_scan_algorithmE0ELj4294967295EEENS1_25partition_config_selectorILNS1_17partition_subalgoE3EjNS0_10empty_typeEbEEZZNS1_14partition_implILS8_3ELb0ES6_jNS0_17counting_iteratorIjlEEPS9_SE_NS0_5tupleIJPjSE_EEENSF_IJSE_SE_EEES9_SG_JZNS1_25segmented_radix_sort_implINS0_14default_configELb1EPK6__halfPSL_PKlPlN2at6native12_GLOBAL__N_18offset_tEEE10hipError_tPvRmT1_PNSt15iterator_traitsISZ_E10value_typeET2_T3_PNS10_IS15_E10value_typeET4_jRbjT5_S1B_jjP12ihipStream_tbEUljE_EEESW_SX_SY_S15_S19_S1B_T6_T7_T9_mT8_S1D_bDpT10_ENKUlT_T0_E_clISt17integral_constantIbLb0EES1Q_EEDaS1L_S1M_EUlS1L_E_NS1_11comp_targetILNS1_3genE4ELNS1_11target_archE910ELNS1_3gpuE8ELNS1_3repE0EEENS1_30default_config_static_selectorELNS0_4arch9wavefront6targetE0EEEvSZ_
; %bb.0:
	.section	.rodata,"a",@progbits
	.p2align	6, 0x0
	.amdhsa_kernel _ZN7rocprim17ROCPRIM_400000_NS6detail17trampoline_kernelINS0_13select_configILj256ELj13ELNS0_17block_load_methodE3ELS4_3ELS4_3ELNS0_20block_scan_algorithmE0ELj4294967295EEENS1_25partition_config_selectorILNS1_17partition_subalgoE3EjNS0_10empty_typeEbEEZZNS1_14partition_implILS8_3ELb0ES6_jNS0_17counting_iteratorIjlEEPS9_SE_NS0_5tupleIJPjSE_EEENSF_IJSE_SE_EEES9_SG_JZNS1_25segmented_radix_sort_implINS0_14default_configELb1EPK6__halfPSL_PKlPlN2at6native12_GLOBAL__N_18offset_tEEE10hipError_tPvRmT1_PNSt15iterator_traitsISZ_E10value_typeET2_T3_PNS10_IS15_E10value_typeET4_jRbjT5_S1B_jjP12ihipStream_tbEUljE_EEESW_SX_SY_S15_S19_S1B_T6_T7_T9_mT8_S1D_bDpT10_ENKUlT_T0_E_clISt17integral_constantIbLb0EES1Q_EEDaS1L_S1M_EUlS1L_E_NS1_11comp_targetILNS1_3genE4ELNS1_11target_archE910ELNS1_3gpuE8ELNS1_3repE0EEENS1_30default_config_static_selectorELNS0_4arch9wavefront6targetE0EEEvSZ_
		.amdhsa_group_segment_fixed_size 0
		.amdhsa_private_segment_fixed_size 0
		.amdhsa_kernarg_size 144
		.amdhsa_user_sgpr_count 2
		.amdhsa_user_sgpr_dispatch_ptr 0
		.amdhsa_user_sgpr_queue_ptr 0
		.amdhsa_user_sgpr_kernarg_segment_ptr 1
		.amdhsa_user_sgpr_dispatch_id 0
		.amdhsa_user_sgpr_private_segment_size 0
		.amdhsa_wavefront_size32 1
		.amdhsa_uses_dynamic_stack 0
		.amdhsa_enable_private_segment 0
		.amdhsa_system_sgpr_workgroup_id_x 1
		.amdhsa_system_sgpr_workgroup_id_y 0
		.amdhsa_system_sgpr_workgroup_id_z 0
		.amdhsa_system_sgpr_workgroup_info 0
		.amdhsa_system_vgpr_workitem_id 0
		.amdhsa_next_free_vgpr 1
		.amdhsa_next_free_sgpr 1
		.amdhsa_reserve_vcc 0
		.amdhsa_float_round_mode_32 0
		.amdhsa_float_round_mode_16_64 0
		.amdhsa_float_denorm_mode_32 3
		.amdhsa_float_denorm_mode_16_64 3
		.amdhsa_fp16_overflow 0
		.amdhsa_workgroup_processor_mode 1
		.amdhsa_memory_ordered 1
		.amdhsa_forward_progress 1
		.amdhsa_inst_pref_size 0
		.amdhsa_round_robin_scheduling 0
		.amdhsa_exception_fp_ieee_invalid_op 0
		.amdhsa_exception_fp_denorm_src 0
		.amdhsa_exception_fp_ieee_div_zero 0
		.amdhsa_exception_fp_ieee_overflow 0
		.amdhsa_exception_fp_ieee_underflow 0
		.amdhsa_exception_fp_ieee_inexact 0
		.amdhsa_exception_int_div_zero 0
	.end_amdhsa_kernel
	.section	.text._ZN7rocprim17ROCPRIM_400000_NS6detail17trampoline_kernelINS0_13select_configILj256ELj13ELNS0_17block_load_methodE3ELS4_3ELS4_3ELNS0_20block_scan_algorithmE0ELj4294967295EEENS1_25partition_config_selectorILNS1_17partition_subalgoE3EjNS0_10empty_typeEbEEZZNS1_14partition_implILS8_3ELb0ES6_jNS0_17counting_iteratorIjlEEPS9_SE_NS0_5tupleIJPjSE_EEENSF_IJSE_SE_EEES9_SG_JZNS1_25segmented_radix_sort_implINS0_14default_configELb1EPK6__halfPSL_PKlPlN2at6native12_GLOBAL__N_18offset_tEEE10hipError_tPvRmT1_PNSt15iterator_traitsISZ_E10value_typeET2_T3_PNS10_IS15_E10value_typeET4_jRbjT5_S1B_jjP12ihipStream_tbEUljE_EEESW_SX_SY_S15_S19_S1B_T6_T7_T9_mT8_S1D_bDpT10_ENKUlT_T0_E_clISt17integral_constantIbLb0EES1Q_EEDaS1L_S1M_EUlS1L_E_NS1_11comp_targetILNS1_3genE4ELNS1_11target_archE910ELNS1_3gpuE8ELNS1_3repE0EEENS1_30default_config_static_selectorELNS0_4arch9wavefront6targetE0EEEvSZ_,"axG",@progbits,_ZN7rocprim17ROCPRIM_400000_NS6detail17trampoline_kernelINS0_13select_configILj256ELj13ELNS0_17block_load_methodE3ELS4_3ELS4_3ELNS0_20block_scan_algorithmE0ELj4294967295EEENS1_25partition_config_selectorILNS1_17partition_subalgoE3EjNS0_10empty_typeEbEEZZNS1_14partition_implILS8_3ELb0ES6_jNS0_17counting_iteratorIjlEEPS9_SE_NS0_5tupleIJPjSE_EEENSF_IJSE_SE_EEES9_SG_JZNS1_25segmented_radix_sort_implINS0_14default_configELb1EPK6__halfPSL_PKlPlN2at6native12_GLOBAL__N_18offset_tEEE10hipError_tPvRmT1_PNSt15iterator_traitsISZ_E10value_typeET2_T3_PNS10_IS15_E10value_typeET4_jRbjT5_S1B_jjP12ihipStream_tbEUljE_EEESW_SX_SY_S15_S19_S1B_T6_T7_T9_mT8_S1D_bDpT10_ENKUlT_T0_E_clISt17integral_constantIbLb0EES1Q_EEDaS1L_S1M_EUlS1L_E_NS1_11comp_targetILNS1_3genE4ELNS1_11target_archE910ELNS1_3gpuE8ELNS1_3repE0EEENS1_30default_config_static_selectorELNS0_4arch9wavefront6targetE0EEEvSZ_,comdat
.Lfunc_end1709:
	.size	_ZN7rocprim17ROCPRIM_400000_NS6detail17trampoline_kernelINS0_13select_configILj256ELj13ELNS0_17block_load_methodE3ELS4_3ELS4_3ELNS0_20block_scan_algorithmE0ELj4294967295EEENS1_25partition_config_selectorILNS1_17partition_subalgoE3EjNS0_10empty_typeEbEEZZNS1_14partition_implILS8_3ELb0ES6_jNS0_17counting_iteratorIjlEEPS9_SE_NS0_5tupleIJPjSE_EEENSF_IJSE_SE_EEES9_SG_JZNS1_25segmented_radix_sort_implINS0_14default_configELb1EPK6__halfPSL_PKlPlN2at6native12_GLOBAL__N_18offset_tEEE10hipError_tPvRmT1_PNSt15iterator_traitsISZ_E10value_typeET2_T3_PNS10_IS15_E10value_typeET4_jRbjT5_S1B_jjP12ihipStream_tbEUljE_EEESW_SX_SY_S15_S19_S1B_T6_T7_T9_mT8_S1D_bDpT10_ENKUlT_T0_E_clISt17integral_constantIbLb0EES1Q_EEDaS1L_S1M_EUlS1L_E_NS1_11comp_targetILNS1_3genE4ELNS1_11target_archE910ELNS1_3gpuE8ELNS1_3repE0EEENS1_30default_config_static_selectorELNS0_4arch9wavefront6targetE0EEEvSZ_, .Lfunc_end1709-_ZN7rocprim17ROCPRIM_400000_NS6detail17trampoline_kernelINS0_13select_configILj256ELj13ELNS0_17block_load_methodE3ELS4_3ELS4_3ELNS0_20block_scan_algorithmE0ELj4294967295EEENS1_25partition_config_selectorILNS1_17partition_subalgoE3EjNS0_10empty_typeEbEEZZNS1_14partition_implILS8_3ELb0ES6_jNS0_17counting_iteratorIjlEEPS9_SE_NS0_5tupleIJPjSE_EEENSF_IJSE_SE_EEES9_SG_JZNS1_25segmented_radix_sort_implINS0_14default_configELb1EPK6__halfPSL_PKlPlN2at6native12_GLOBAL__N_18offset_tEEE10hipError_tPvRmT1_PNSt15iterator_traitsISZ_E10value_typeET2_T3_PNS10_IS15_E10value_typeET4_jRbjT5_S1B_jjP12ihipStream_tbEUljE_EEESW_SX_SY_S15_S19_S1B_T6_T7_T9_mT8_S1D_bDpT10_ENKUlT_T0_E_clISt17integral_constantIbLb0EES1Q_EEDaS1L_S1M_EUlS1L_E_NS1_11comp_targetILNS1_3genE4ELNS1_11target_archE910ELNS1_3gpuE8ELNS1_3repE0EEENS1_30default_config_static_selectorELNS0_4arch9wavefront6targetE0EEEvSZ_
                                        ; -- End function
	.set _ZN7rocprim17ROCPRIM_400000_NS6detail17trampoline_kernelINS0_13select_configILj256ELj13ELNS0_17block_load_methodE3ELS4_3ELS4_3ELNS0_20block_scan_algorithmE0ELj4294967295EEENS1_25partition_config_selectorILNS1_17partition_subalgoE3EjNS0_10empty_typeEbEEZZNS1_14partition_implILS8_3ELb0ES6_jNS0_17counting_iteratorIjlEEPS9_SE_NS0_5tupleIJPjSE_EEENSF_IJSE_SE_EEES9_SG_JZNS1_25segmented_radix_sort_implINS0_14default_configELb1EPK6__halfPSL_PKlPlN2at6native12_GLOBAL__N_18offset_tEEE10hipError_tPvRmT1_PNSt15iterator_traitsISZ_E10value_typeET2_T3_PNS10_IS15_E10value_typeET4_jRbjT5_S1B_jjP12ihipStream_tbEUljE_EEESW_SX_SY_S15_S19_S1B_T6_T7_T9_mT8_S1D_bDpT10_ENKUlT_T0_E_clISt17integral_constantIbLb0EES1Q_EEDaS1L_S1M_EUlS1L_E_NS1_11comp_targetILNS1_3genE4ELNS1_11target_archE910ELNS1_3gpuE8ELNS1_3repE0EEENS1_30default_config_static_selectorELNS0_4arch9wavefront6targetE0EEEvSZ_.num_vgpr, 0
	.set _ZN7rocprim17ROCPRIM_400000_NS6detail17trampoline_kernelINS0_13select_configILj256ELj13ELNS0_17block_load_methodE3ELS4_3ELS4_3ELNS0_20block_scan_algorithmE0ELj4294967295EEENS1_25partition_config_selectorILNS1_17partition_subalgoE3EjNS0_10empty_typeEbEEZZNS1_14partition_implILS8_3ELb0ES6_jNS0_17counting_iteratorIjlEEPS9_SE_NS0_5tupleIJPjSE_EEENSF_IJSE_SE_EEES9_SG_JZNS1_25segmented_radix_sort_implINS0_14default_configELb1EPK6__halfPSL_PKlPlN2at6native12_GLOBAL__N_18offset_tEEE10hipError_tPvRmT1_PNSt15iterator_traitsISZ_E10value_typeET2_T3_PNS10_IS15_E10value_typeET4_jRbjT5_S1B_jjP12ihipStream_tbEUljE_EEESW_SX_SY_S15_S19_S1B_T6_T7_T9_mT8_S1D_bDpT10_ENKUlT_T0_E_clISt17integral_constantIbLb0EES1Q_EEDaS1L_S1M_EUlS1L_E_NS1_11comp_targetILNS1_3genE4ELNS1_11target_archE910ELNS1_3gpuE8ELNS1_3repE0EEENS1_30default_config_static_selectorELNS0_4arch9wavefront6targetE0EEEvSZ_.num_agpr, 0
	.set _ZN7rocprim17ROCPRIM_400000_NS6detail17trampoline_kernelINS0_13select_configILj256ELj13ELNS0_17block_load_methodE3ELS4_3ELS4_3ELNS0_20block_scan_algorithmE0ELj4294967295EEENS1_25partition_config_selectorILNS1_17partition_subalgoE3EjNS0_10empty_typeEbEEZZNS1_14partition_implILS8_3ELb0ES6_jNS0_17counting_iteratorIjlEEPS9_SE_NS0_5tupleIJPjSE_EEENSF_IJSE_SE_EEES9_SG_JZNS1_25segmented_radix_sort_implINS0_14default_configELb1EPK6__halfPSL_PKlPlN2at6native12_GLOBAL__N_18offset_tEEE10hipError_tPvRmT1_PNSt15iterator_traitsISZ_E10value_typeET2_T3_PNS10_IS15_E10value_typeET4_jRbjT5_S1B_jjP12ihipStream_tbEUljE_EEESW_SX_SY_S15_S19_S1B_T6_T7_T9_mT8_S1D_bDpT10_ENKUlT_T0_E_clISt17integral_constantIbLb0EES1Q_EEDaS1L_S1M_EUlS1L_E_NS1_11comp_targetILNS1_3genE4ELNS1_11target_archE910ELNS1_3gpuE8ELNS1_3repE0EEENS1_30default_config_static_selectorELNS0_4arch9wavefront6targetE0EEEvSZ_.numbered_sgpr, 0
	.set _ZN7rocprim17ROCPRIM_400000_NS6detail17trampoline_kernelINS0_13select_configILj256ELj13ELNS0_17block_load_methodE3ELS4_3ELS4_3ELNS0_20block_scan_algorithmE0ELj4294967295EEENS1_25partition_config_selectorILNS1_17partition_subalgoE3EjNS0_10empty_typeEbEEZZNS1_14partition_implILS8_3ELb0ES6_jNS0_17counting_iteratorIjlEEPS9_SE_NS0_5tupleIJPjSE_EEENSF_IJSE_SE_EEES9_SG_JZNS1_25segmented_radix_sort_implINS0_14default_configELb1EPK6__halfPSL_PKlPlN2at6native12_GLOBAL__N_18offset_tEEE10hipError_tPvRmT1_PNSt15iterator_traitsISZ_E10value_typeET2_T3_PNS10_IS15_E10value_typeET4_jRbjT5_S1B_jjP12ihipStream_tbEUljE_EEESW_SX_SY_S15_S19_S1B_T6_T7_T9_mT8_S1D_bDpT10_ENKUlT_T0_E_clISt17integral_constantIbLb0EES1Q_EEDaS1L_S1M_EUlS1L_E_NS1_11comp_targetILNS1_3genE4ELNS1_11target_archE910ELNS1_3gpuE8ELNS1_3repE0EEENS1_30default_config_static_selectorELNS0_4arch9wavefront6targetE0EEEvSZ_.num_named_barrier, 0
	.set _ZN7rocprim17ROCPRIM_400000_NS6detail17trampoline_kernelINS0_13select_configILj256ELj13ELNS0_17block_load_methodE3ELS4_3ELS4_3ELNS0_20block_scan_algorithmE0ELj4294967295EEENS1_25partition_config_selectorILNS1_17partition_subalgoE3EjNS0_10empty_typeEbEEZZNS1_14partition_implILS8_3ELb0ES6_jNS0_17counting_iteratorIjlEEPS9_SE_NS0_5tupleIJPjSE_EEENSF_IJSE_SE_EEES9_SG_JZNS1_25segmented_radix_sort_implINS0_14default_configELb1EPK6__halfPSL_PKlPlN2at6native12_GLOBAL__N_18offset_tEEE10hipError_tPvRmT1_PNSt15iterator_traitsISZ_E10value_typeET2_T3_PNS10_IS15_E10value_typeET4_jRbjT5_S1B_jjP12ihipStream_tbEUljE_EEESW_SX_SY_S15_S19_S1B_T6_T7_T9_mT8_S1D_bDpT10_ENKUlT_T0_E_clISt17integral_constantIbLb0EES1Q_EEDaS1L_S1M_EUlS1L_E_NS1_11comp_targetILNS1_3genE4ELNS1_11target_archE910ELNS1_3gpuE8ELNS1_3repE0EEENS1_30default_config_static_selectorELNS0_4arch9wavefront6targetE0EEEvSZ_.private_seg_size, 0
	.set _ZN7rocprim17ROCPRIM_400000_NS6detail17trampoline_kernelINS0_13select_configILj256ELj13ELNS0_17block_load_methodE3ELS4_3ELS4_3ELNS0_20block_scan_algorithmE0ELj4294967295EEENS1_25partition_config_selectorILNS1_17partition_subalgoE3EjNS0_10empty_typeEbEEZZNS1_14partition_implILS8_3ELb0ES6_jNS0_17counting_iteratorIjlEEPS9_SE_NS0_5tupleIJPjSE_EEENSF_IJSE_SE_EEES9_SG_JZNS1_25segmented_radix_sort_implINS0_14default_configELb1EPK6__halfPSL_PKlPlN2at6native12_GLOBAL__N_18offset_tEEE10hipError_tPvRmT1_PNSt15iterator_traitsISZ_E10value_typeET2_T3_PNS10_IS15_E10value_typeET4_jRbjT5_S1B_jjP12ihipStream_tbEUljE_EEESW_SX_SY_S15_S19_S1B_T6_T7_T9_mT8_S1D_bDpT10_ENKUlT_T0_E_clISt17integral_constantIbLb0EES1Q_EEDaS1L_S1M_EUlS1L_E_NS1_11comp_targetILNS1_3genE4ELNS1_11target_archE910ELNS1_3gpuE8ELNS1_3repE0EEENS1_30default_config_static_selectorELNS0_4arch9wavefront6targetE0EEEvSZ_.uses_vcc, 0
	.set _ZN7rocprim17ROCPRIM_400000_NS6detail17trampoline_kernelINS0_13select_configILj256ELj13ELNS0_17block_load_methodE3ELS4_3ELS4_3ELNS0_20block_scan_algorithmE0ELj4294967295EEENS1_25partition_config_selectorILNS1_17partition_subalgoE3EjNS0_10empty_typeEbEEZZNS1_14partition_implILS8_3ELb0ES6_jNS0_17counting_iteratorIjlEEPS9_SE_NS0_5tupleIJPjSE_EEENSF_IJSE_SE_EEES9_SG_JZNS1_25segmented_radix_sort_implINS0_14default_configELb1EPK6__halfPSL_PKlPlN2at6native12_GLOBAL__N_18offset_tEEE10hipError_tPvRmT1_PNSt15iterator_traitsISZ_E10value_typeET2_T3_PNS10_IS15_E10value_typeET4_jRbjT5_S1B_jjP12ihipStream_tbEUljE_EEESW_SX_SY_S15_S19_S1B_T6_T7_T9_mT8_S1D_bDpT10_ENKUlT_T0_E_clISt17integral_constantIbLb0EES1Q_EEDaS1L_S1M_EUlS1L_E_NS1_11comp_targetILNS1_3genE4ELNS1_11target_archE910ELNS1_3gpuE8ELNS1_3repE0EEENS1_30default_config_static_selectorELNS0_4arch9wavefront6targetE0EEEvSZ_.uses_flat_scratch, 0
	.set _ZN7rocprim17ROCPRIM_400000_NS6detail17trampoline_kernelINS0_13select_configILj256ELj13ELNS0_17block_load_methodE3ELS4_3ELS4_3ELNS0_20block_scan_algorithmE0ELj4294967295EEENS1_25partition_config_selectorILNS1_17partition_subalgoE3EjNS0_10empty_typeEbEEZZNS1_14partition_implILS8_3ELb0ES6_jNS0_17counting_iteratorIjlEEPS9_SE_NS0_5tupleIJPjSE_EEENSF_IJSE_SE_EEES9_SG_JZNS1_25segmented_radix_sort_implINS0_14default_configELb1EPK6__halfPSL_PKlPlN2at6native12_GLOBAL__N_18offset_tEEE10hipError_tPvRmT1_PNSt15iterator_traitsISZ_E10value_typeET2_T3_PNS10_IS15_E10value_typeET4_jRbjT5_S1B_jjP12ihipStream_tbEUljE_EEESW_SX_SY_S15_S19_S1B_T6_T7_T9_mT8_S1D_bDpT10_ENKUlT_T0_E_clISt17integral_constantIbLb0EES1Q_EEDaS1L_S1M_EUlS1L_E_NS1_11comp_targetILNS1_3genE4ELNS1_11target_archE910ELNS1_3gpuE8ELNS1_3repE0EEENS1_30default_config_static_selectorELNS0_4arch9wavefront6targetE0EEEvSZ_.has_dyn_sized_stack, 0
	.set _ZN7rocprim17ROCPRIM_400000_NS6detail17trampoline_kernelINS0_13select_configILj256ELj13ELNS0_17block_load_methodE3ELS4_3ELS4_3ELNS0_20block_scan_algorithmE0ELj4294967295EEENS1_25partition_config_selectorILNS1_17partition_subalgoE3EjNS0_10empty_typeEbEEZZNS1_14partition_implILS8_3ELb0ES6_jNS0_17counting_iteratorIjlEEPS9_SE_NS0_5tupleIJPjSE_EEENSF_IJSE_SE_EEES9_SG_JZNS1_25segmented_radix_sort_implINS0_14default_configELb1EPK6__halfPSL_PKlPlN2at6native12_GLOBAL__N_18offset_tEEE10hipError_tPvRmT1_PNSt15iterator_traitsISZ_E10value_typeET2_T3_PNS10_IS15_E10value_typeET4_jRbjT5_S1B_jjP12ihipStream_tbEUljE_EEESW_SX_SY_S15_S19_S1B_T6_T7_T9_mT8_S1D_bDpT10_ENKUlT_T0_E_clISt17integral_constantIbLb0EES1Q_EEDaS1L_S1M_EUlS1L_E_NS1_11comp_targetILNS1_3genE4ELNS1_11target_archE910ELNS1_3gpuE8ELNS1_3repE0EEENS1_30default_config_static_selectorELNS0_4arch9wavefront6targetE0EEEvSZ_.has_recursion, 0
	.set _ZN7rocprim17ROCPRIM_400000_NS6detail17trampoline_kernelINS0_13select_configILj256ELj13ELNS0_17block_load_methodE3ELS4_3ELS4_3ELNS0_20block_scan_algorithmE0ELj4294967295EEENS1_25partition_config_selectorILNS1_17partition_subalgoE3EjNS0_10empty_typeEbEEZZNS1_14partition_implILS8_3ELb0ES6_jNS0_17counting_iteratorIjlEEPS9_SE_NS0_5tupleIJPjSE_EEENSF_IJSE_SE_EEES9_SG_JZNS1_25segmented_radix_sort_implINS0_14default_configELb1EPK6__halfPSL_PKlPlN2at6native12_GLOBAL__N_18offset_tEEE10hipError_tPvRmT1_PNSt15iterator_traitsISZ_E10value_typeET2_T3_PNS10_IS15_E10value_typeET4_jRbjT5_S1B_jjP12ihipStream_tbEUljE_EEESW_SX_SY_S15_S19_S1B_T6_T7_T9_mT8_S1D_bDpT10_ENKUlT_T0_E_clISt17integral_constantIbLb0EES1Q_EEDaS1L_S1M_EUlS1L_E_NS1_11comp_targetILNS1_3genE4ELNS1_11target_archE910ELNS1_3gpuE8ELNS1_3repE0EEENS1_30default_config_static_selectorELNS0_4arch9wavefront6targetE0EEEvSZ_.has_indirect_call, 0
	.section	.AMDGPU.csdata,"",@progbits
; Kernel info:
; codeLenInByte = 0
; TotalNumSgprs: 0
; NumVgprs: 0
; ScratchSize: 0
; MemoryBound: 0
; FloatMode: 240
; IeeeMode: 1
; LDSByteSize: 0 bytes/workgroup (compile time only)
; SGPRBlocks: 0
; VGPRBlocks: 0
; NumSGPRsForWavesPerEU: 1
; NumVGPRsForWavesPerEU: 1
; Occupancy: 16
; WaveLimiterHint : 0
; COMPUTE_PGM_RSRC2:SCRATCH_EN: 0
; COMPUTE_PGM_RSRC2:USER_SGPR: 2
; COMPUTE_PGM_RSRC2:TRAP_HANDLER: 0
; COMPUTE_PGM_RSRC2:TGID_X_EN: 1
; COMPUTE_PGM_RSRC2:TGID_Y_EN: 0
; COMPUTE_PGM_RSRC2:TGID_Z_EN: 0
; COMPUTE_PGM_RSRC2:TIDIG_COMP_CNT: 0
	.section	.text._ZN7rocprim17ROCPRIM_400000_NS6detail17trampoline_kernelINS0_13select_configILj256ELj13ELNS0_17block_load_methodE3ELS4_3ELS4_3ELNS0_20block_scan_algorithmE0ELj4294967295EEENS1_25partition_config_selectorILNS1_17partition_subalgoE3EjNS0_10empty_typeEbEEZZNS1_14partition_implILS8_3ELb0ES6_jNS0_17counting_iteratorIjlEEPS9_SE_NS0_5tupleIJPjSE_EEENSF_IJSE_SE_EEES9_SG_JZNS1_25segmented_radix_sort_implINS0_14default_configELb1EPK6__halfPSL_PKlPlN2at6native12_GLOBAL__N_18offset_tEEE10hipError_tPvRmT1_PNSt15iterator_traitsISZ_E10value_typeET2_T3_PNS10_IS15_E10value_typeET4_jRbjT5_S1B_jjP12ihipStream_tbEUljE_EEESW_SX_SY_S15_S19_S1B_T6_T7_T9_mT8_S1D_bDpT10_ENKUlT_T0_E_clISt17integral_constantIbLb0EES1Q_EEDaS1L_S1M_EUlS1L_E_NS1_11comp_targetILNS1_3genE3ELNS1_11target_archE908ELNS1_3gpuE7ELNS1_3repE0EEENS1_30default_config_static_selectorELNS0_4arch9wavefront6targetE0EEEvSZ_,"axG",@progbits,_ZN7rocprim17ROCPRIM_400000_NS6detail17trampoline_kernelINS0_13select_configILj256ELj13ELNS0_17block_load_methodE3ELS4_3ELS4_3ELNS0_20block_scan_algorithmE0ELj4294967295EEENS1_25partition_config_selectorILNS1_17partition_subalgoE3EjNS0_10empty_typeEbEEZZNS1_14partition_implILS8_3ELb0ES6_jNS0_17counting_iteratorIjlEEPS9_SE_NS0_5tupleIJPjSE_EEENSF_IJSE_SE_EEES9_SG_JZNS1_25segmented_radix_sort_implINS0_14default_configELb1EPK6__halfPSL_PKlPlN2at6native12_GLOBAL__N_18offset_tEEE10hipError_tPvRmT1_PNSt15iterator_traitsISZ_E10value_typeET2_T3_PNS10_IS15_E10value_typeET4_jRbjT5_S1B_jjP12ihipStream_tbEUljE_EEESW_SX_SY_S15_S19_S1B_T6_T7_T9_mT8_S1D_bDpT10_ENKUlT_T0_E_clISt17integral_constantIbLb0EES1Q_EEDaS1L_S1M_EUlS1L_E_NS1_11comp_targetILNS1_3genE3ELNS1_11target_archE908ELNS1_3gpuE7ELNS1_3repE0EEENS1_30default_config_static_selectorELNS0_4arch9wavefront6targetE0EEEvSZ_,comdat
	.globl	_ZN7rocprim17ROCPRIM_400000_NS6detail17trampoline_kernelINS0_13select_configILj256ELj13ELNS0_17block_load_methodE3ELS4_3ELS4_3ELNS0_20block_scan_algorithmE0ELj4294967295EEENS1_25partition_config_selectorILNS1_17partition_subalgoE3EjNS0_10empty_typeEbEEZZNS1_14partition_implILS8_3ELb0ES6_jNS0_17counting_iteratorIjlEEPS9_SE_NS0_5tupleIJPjSE_EEENSF_IJSE_SE_EEES9_SG_JZNS1_25segmented_radix_sort_implINS0_14default_configELb1EPK6__halfPSL_PKlPlN2at6native12_GLOBAL__N_18offset_tEEE10hipError_tPvRmT1_PNSt15iterator_traitsISZ_E10value_typeET2_T3_PNS10_IS15_E10value_typeET4_jRbjT5_S1B_jjP12ihipStream_tbEUljE_EEESW_SX_SY_S15_S19_S1B_T6_T7_T9_mT8_S1D_bDpT10_ENKUlT_T0_E_clISt17integral_constantIbLb0EES1Q_EEDaS1L_S1M_EUlS1L_E_NS1_11comp_targetILNS1_3genE3ELNS1_11target_archE908ELNS1_3gpuE7ELNS1_3repE0EEENS1_30default_config_static_selectorELNS0_4arch9wavefront6targetE0EEEvSZ_ ; -- Begin function _ZN7rocprim17ROCPRIM_400000_NS6detail17trampoline_kernelINS0_13select_configILj256ELj13ELNS0_17block_load_methodE3ELS4_3ELS4_3ELNS0_20block_scan_algorithmE0ELj4294967295EEENS1_25partition_config_selectorILNS1_17partition_subalgoE3EjNS0_10empty_typeEbEEZZNS1_14partition_implILS8_3ELb0ES6_jNS0_17counting_iteratorIjlEEPS9_SE_NS0_5tupleIJPjSE_EEENSF_IJSE_SE_EEES9_SG_JZNS1_25segmented_radix_sort_implINS0_14default_configELb1EPK6__halfPSL_PKlPlN2at6native12_GLOBAL__N_18offset_tEEE10hipError_tPvRmT1_PNSt15iterator_traitsISZ_E10value_typeET2_T3_PNS10_IS15_E10value_typeET4_jRbjT5_S1B_jjP12ihipStream_tbEUljE_EEESW_SX_SY_S15_S19_S1B_T6_T7_T9_mT8_S1D_bDpT10_ENKUlT_T0_E_clISt17integral_constantIbLb0EES1Q_EEDaS1L_S1M_EUlS1L_E_NS1_11comp_targetILNS1_3genE3ELNS1_11target_archE908ELNS1_3gpuE7ELNS1_3repE0EEENS1_30default_config_static_selectorELNS0_4arch9wavefront6targetE0EEEvSZ_
	.p2align	8
	.type	_ZN7rocprim17ROCPRIM_400000_NS6detail17trampoline_kernelINS0_13select_configILj256ELj13ELNS0_17block_load_methodE3ELS4_3ELS4_3ELNS0_20block_scan_algorithmE0ELj4294967295EEENS1_25partition_config_selectorILNS1_17partition_subalgoE3EjNS0_10empty_typeEbEEZZNS1_14partition_implILS8_3ELb0ES6_jNS0_17counting_iteratorIjlEEPS9_SE_NS0_5tupleIJPjSE_EEENSF_IJSE_SE_EEES9_SG_JZNS1_25segmented_radix_sort_implINS0_14default_configELb1EPK6__halfPSL_PKlPlN2at6native12_GLOBAL__N_18offset_tEEE10hipError_tPvRmT1_PNSt15iterator_traitsISZ_E10value_typeET2_T3_PNS10_IS15_E10value_typeET4_jRbjT5_S1B_jjP12ihipStream_tbEUljE_EEESW_SX_SY_S15_S19_S1B_T6_T7_T9_mT8_S1D_bDpT10_ENKUlT_T0_E_clISt17integral_constantIbLb0EES1Q_EEDaS1L_S1M_EUlS1L_E_NS1_11comp_targetILNS1_3genE3ELNS1_11target_archE908ELNS1_3gpuE7ELNS1_3repE0EEENS1_30default_config_static_selectorELNS0_4arch9wavefront6targetE0EEEvSZ_,@function
_ZN7rocprim17ROCPRIM_400000_NS6detail17trampoline_kernelINS0_13select_configILj256ELj13ELNS0_17block_load_methodE3ELS4_3ELS4_3ELNS0_20block_scan_algorithmE0ELj4294967295EEENS1_25partition_config_selectorILNS1_17partition_subalgoE3EjNS0_10empty_typeEbEEZZNS1_14partition_implILS8_3ELb0ES6_jNS0_17counting_iteratorIjlEEPS9_SE_NS0_5tupleIJPjSE_EEENSF_IJSE_SE_EEES9_SG_JZNS1_25segmented_radix_sort_implINS0_14default_configELb1EPK6__halfPSL_PKlPlN2at6native12_GLOBAL__N_18offset_tEEE10hipError_tPvRmT1_PNSt15iterator_traitsISZ_E10value_typeET2_T3_PNS10_IS15_E10value_typeET4_jRbjT5_S1B_jjP12ihipStream_tbEUljE_EEESW_SX_SY_S15_S19_S1B_T6_T7_T9_mT8_S1D_bDpT10_ENKUlT_T0_E_clISt17integral_constantIbLb0EES1Q_EEDaS1L_S1M_EUlS1L_E_NS1_11comp_targetILNS1_3genE3ELNS1_11target_archE908ELNS1_3gpuE7ELNS1_3repE0EEENS1_30default_config_static_selectorELNS0_4arch9wavefront6targetE0EEEvSZ_: ; @_ZN7rocprim17ROCPRIM_400000_NS6detail17trampoline_kernelINS0_13select_configILj256ELj13ELNS0_17block_load_methodE3ELS4_3ELS4_3ELNS0_20block_scan_algorithmE0ELj4294967295EEENS1_25partition_config_selectorILNS1_17partition_subalgoE3EjNS0_10empty_typeEbEEZZNS1_14partition_implILS8_3ELb0ES6_jNS0_17counting_iteratorIjlEEPS9_SE_NS0_5tupleIJPjSE_EEENSF_IJSE_SE_EEES9_SG_JZNS1_25segmented_radix_sort_implINS0_14default_configELb1EPK6__halfPSL_PKlPlN2at6native12_GLOBAL__N_18offset_tEEE10hipError_tPvRmT1_PNSt15iterator_traitsISZ_E10value_typeET2_T3_PNS10_IS15_E10value_typeET4_jRbjT5_S1B_jjP12ihipStream_tbEUljE_EEESW_SX_SY_S15_S19_S1B_T6_T7_T9_mT8_S1D_bDpT10_ENKUlT_T0_E_clISt17integral_constantIbLb0EES1Q_EEDaS1L_S1M_EUlS1L_E_NS1_11comp_targetILNS1_3genE3ELNS1_11target_archE908ELNS1_3gpuE7ELNS1_3repE0EEENS1_30default_config_static_selectorELNS0_4arch9wavefront6targetE0EEEvSZ_
; %bb.0:
	.section	.rodata,"a",@progbits
	.p2align	6, 0x0
	.amdhsa_kernel _ZN7rocprim17ROCPRIM_400000_NS6detail17trampoline_kernelINS0_13select_configILj256ELj13ELNS0_17block_load_methodE3ELS4_3ELS4_3ELNS0_20block_scan_algorithmE0ELj4294967295EEENS1_25partition_config_selectorILNS1_17partition_subalgoE3EjNS0_10empty_typeEbEEZZNS1_14partition_implILS8_3ELb0ES6_jNS0_17counting_iteratorIjlEEPS9_SE_NS0_5tupleIJPjSE_EEENSF_IJSE_SE_EEES9_SG_JZNS1_25segmented_radix_sort_implINS0_14default_configELb1EPK6__halfPSL_PKlPlN2at6native12_GLOBAL__N_18offset_tEEE10hipError_tPvRmT1_PNSt15iterator_traitsISZ_E10value_typeET2_T3_PNS10_IS15_E10value_typeET4_jRbjT5_S1B_jjP12ihipStream_tbEUljE_EEESW_SX_SY_S15_S19_S1B_T6_T7_T9_mT8_S1D_bDpT10_ENKUlT_T0_E_clISt17integral_constantIbLb0EES1Q_EEDaS1L_S1M_EUlS1L_E_NS1_11comp_targetILNS1_3genE3ELNS1_11target_archE908ELNS1_3gpuE7ELNS1_3repE0EEENS1_30default_config_static_selectorELNS0_4arch9wavefront6targetE0EEEvSZ_
		.amdhsa_group_segment_fixed_size 0
		.amdhsa_private_segment_fixed_size 0
		.amdhsa_kernarg_size 144
		.amdhsa_user_sgpr_count 2
		.amdhsa_user_sgpr_dispatch_ptr 0
		.amdhsa_user_sgpr_queue_ptr 0
		.amdhsa_user_sgpr_kernarg_segment_ptr 1
		.amdhsa_user_sgpr_dispatch_id 0
		.amdhsa_user_sgpr_private_segment_size 0
		.amdhsa_wavefront_size32 1
		.amdhsa_uses_dynamic_stack 0
		.amdhsa_enable_private_segment 0
		.amdhsa_system_sgpr_workgroup_id_x 1
		.amdhsa_system_sgpr_workgroup_id_y 0
		.amdhsa_system_sgpr_workgroup_id_z 0
		.amdhsa_system_sgpr_workgroup_info 0
		.amdhsa_system_vgpr_workitem_id 0
		.amdhsa_next_free_vgpr 1
		.amdhsa_next_free_sgpr 1
		.amdhsa_reserve_vcc 0
		.amdhsa_float_round_mode_32 0
		.amdhsa_float_round_mode_16_64 0
		.amdhsa_float_denorm_mode_32 3
		.amdhsa_float_denorm_mode_16_64 3
		.amdhsa_fp16_overflow 0
		.amdhsa_workgroup_processor_mode 1
		.amdhsa_memory_ordered 1
		.amdhsa_forward_progress 1
		.amdhsa_inst_pref_size 0
		.amdhsa_round_robin_scheduling 0
		.amdhsa_exception_fp_ieee_invalid_op 0
		.amdhsa_exception_fp_denorm_src 0
		.amdhsa_exception_fp_ieee_div_zero 0
		.amdhsa_exception_fp_ieee_overflow 0
		.amdhsa_exception_fp_ieee_underflow 0
		.amdhsa_exception_fp_ieee_inexact 0
		.amdhsa_exception_int_div_zero 0
	.end_amdhsa_kernel
	.section	.text._ZN7rocprim17ROCPRIM_400000_NS6detail17trampoline_kernelINS0_13select_configILj256ELj13ELNS0_17block_load_methodE3ELS4_3ELS4_3ELNS0_20block_scan_algorithmE0ELj4294967295EEENS1_25partition_config_selectorILNS1_17partition_subalgoE3EjNS0_10empty_typeEbEEZZNS1_14partition_implILS8_3ELb0ES6_jNS0_17counting_iteratorIjlEEPS9_SE_NS0_5tupleIJPjSE_EEENSF_IJSE_SE_EEES9_SG_JZNS1_25segmented_radix_sort_implINS0_14default_configELb1EPK6__halfPSL_PKlPlN2at6native12_GLOBAL__N_18offset_tEEE10hipError_tPvRmT1_PNSt15iterator_traitsISZ_E10value_typeET2_T3_PNS10_IS15_E10value_typeET4_jRbjT5_S1B_jjP12ihipStream_tbEUljE_EEESW_SX_SY_S15_S19_S1B_T6_T7_T9_mT8_S1D_bDpT10_ENKUlT_T0_E_clISt17integral_constantIbLb0EES1Q_EEDaS1L_S1M_EUlS1L_E_NS1_11comp_targetILNS1_3genE3ELNS1_11target_archE908ELNS1_3gpuE7ELNS1_3repE0EEENS1_30default_config_static_selectorELNS0_4arch9wavefront6targetE0EEEvSZ_,"axG",@progbits,_ZN7rocprim17ROCPRIM_400000_NS6detail17trampoline_kernelINS0_13select_configILj256ELj13ELNS0_17block_load_methodE3ELS4_3ELS4_3ELNS0_20block_scan_algorithmE0ELj4294967295EEENS1_25partition_config_selectorILNS1_17partition_subalgoE3EjNS0_10empty_typeEbEEZZNS1_14partition_implILS8_3ELb0ES6_jNS0_17counting_iteratorIjlEEPS9_SE_NS0_5tupleIJPjSE_EEENSF_IJSE_SE_EEES9_SG_JZNS1_25segmented_radix_sort_implINS0_14default_configELb1EPK6__halfPSL_PKlPlN2at6native12_GLOBAL__N_18offset_tEEE10hipError_tPvRmT1_PNSt15iterator_traitsISZ_E10value_typeET2_T3_PNS10_IS15_E10value_typeET4_jRbjT5_S1B_jjP12ihipStream_tbEUljE_EEESW_SX_SY_S15_S19_S1B_T6_T7_T9_mT8_S1D_bDpT10_ENKUlT_T0_E_clISt17integral_constantIbLb0EES1Q_EEDaS1L_S1M_EUlS1L_E_NS1_11comp_targetILNS1_3genE3ELNS1_11target_archE908ELNS1_3gpuE7ELNS1_3repE0EEENS1_30default_config_static_selectorELNS0_4arch9wavefront6targetE0EEEvSZ_,comdat
.Lfunc_end1710:
	.size	_ZN7rocprim17ROCPRIM_400000_NS6detail17trampoline_kernelINS0_13select_configILj256ELj13ELNS0_17block_load_methodE3ELS4_3ELS4_3ELNS0_20block_scan_algorithmE0ELj4294967295EEENS1_25partition_config_selectorILNS1_17partition_subalgoE3EjNS0_10empty_typeEbEEZZNS1_14partition_implILS8_3ELb0ES6_jNS0_17counting_iteratorIjlEEPS9_SE_NS0_5tupleIJPjSE_EEENSF_IJSE_SE_EEES9_SG_JZNS1_25segmented_radix_sort_implINS0_14default_configELb1EPK6__halfPSL_PKlPlN2at6native12_GLOBAL__N_18offset_tEEE10hipError_tPvRmT1_PNSt15iterator_traitsISZ_E10value_typeET2_T3_PNS10_IS15_E10value_typeET4_jRbjT5_S1B_jjP12ihipStream_tbEUljE_EEESW_SX_SY_S15_S19_S1B_T6_T7_T9_mT8_S1D_bDpT10_ENKUlT_T0_E_clISt17integral_constantIbLb0EES1Q_EEDaS1L_S1M_EUlS1L_E_NS1_11comp_targetILNS1_3genE3ELNS1_11target_archE908ELNS1_3gpuE7ELNS1_3repE0EEENS1_30default_config_static_selectorELNS0_4arch9wavefront6targetE0EEEvSZ_, .Lfunc_end1710-_ZN7rocprim17ROCPRIM_400000_NS6detail17trampoline_kernelINS0_13select_configILj256ELj13ELNS0_17block_load_methodE3ELS4_3ELS4_3ELNS0_20block_scan_algorithmE0ELj4294967295EEENS1_25partition_config_selectorILNS1_17partition_subalgoE3EjNS0_10empty_typeEbEEZZNS1_14partition_implILS8_3ELb0ES6_jNS0_17counting_iteratorIjlEEPS9_SE_NS0_5tupleIJPjSE_EEENSF_IJSE_SE_EEES9_SG_JZNS1_25segmented_radix_sort_implINS0_14default_configELb1EPK6__halfPSL_PKlPlN2at6native12_GLOBAL__N_18offset_tEEE10hipError_tPvRmT1_PNSt15iterator_traitsISZ_E10value_typeET2_T3_PNS10_IS15_E10value_typeET4_jRbjT5_S1B_jjP12ihipStream_tbEUljE_EEESW_SX_SY_S15_S19_S1B_T6_T7_T9_mT8_S1D_bDpT10_ENKUlT_T0_E_clISt17integral_constantIbLb0EES1Q_EEDaS1L_S1M_EUlS1L_E_NS1_11comp_targetILNS1_3genE3ELNS1_11target_archE908ELNS1_3gpuE7ELNS1_3repE0EEENS1_30default_config_static_selectorELNS0_4arch9wavefront6targetE0EEEvSZ_
                                        ; -- End function
	.set _ZN7rocprim17ROCPRIM_400000_NS6detail17trampoline_kernelINS0_13select_configILj256ELj13ELNS0_17block_load_methodE3ELS4_3ELS4_3ELNS0_20block_scan_algorithmE0ELj4294967295EEENS1_25partition_config_selectorILNS1_17partition_subalgoE3EjNS0_10empty_typeEbEEZZNS1_14partition_implILS8_3ELb0ES6_jNS0_17counting_iteratorIjlEEPS9_SE_NS0_5tupleIJPjSE_EEENSF_IJSE_SE_EEES9_SG_JZNS1_25segmented_radix_sort_implINS0_14default_configELb1EPK6__halfPSL_PKlPlN2at6native12_GLOBAL__N_18offset_tEEE10hipError_tPvRmT1_PNSt15iterator_traitsISZ_E10value_typeET2_T3_PNS10_IS15_E10value_typeET4_jRbjT5_S1B_jjP12ihipStream_tbEUljE_EEESW_SX_SY_S15_S19_S1B_T6_T7_T9_mT8_S1D_bDpT10_ENKUlT_T0_E_clISt17integral_constantIbLb0EES1Q_EEDaS1L_S1M_EUlS1L_E_NS1_11comp_targetILNS1_3genE3ELNS1_11target_archE908ELNS1_3gpuE7ELNS1_3repE0EEENS1_30default_config_static_selectorELNS0_4arch9wavefront6targetE0EEEvSZ_.num_vgpr, 0
	.set _ZN7rocprim17ROCPRIM_400000_NS6detail17trampoline_kernelINS0_13select_configILj256ELj13ELNS0_17block_load_methodE3ELS4_3ELS4_3ELNS0_20block_scan_algorithmE0ELj4294967295EEENS1_25partition_config_selectorILNS1_17partition_subalgoE3EjNS0_10empty_typeEbEEZZNS1_14partition_implILS8_3ELb0ES6_jNS0_17counting_iteratorIjlEEPS9_SE_NS0_5tupleIJPjSE_EEENSF_IJSE_SE_EEES9_SG_JZNS1_25segmented_radix_sort_implINS0_14default_configELb1EPK6__halfPSL_PKlPlN2at6native12_GLOBAL__N_18offset_tEEE10hipError_tPvRmT1_PNSt15iterator_traitsISZ_E10value_typeET2_T3_PNS10_IS15_E10value_typeET4_jRbjT5_S1B_jjP12ihipStream_tbEUljE_EEESW_SX_SY_S15_S19_S1B_T6_T7_T9_mT8_S1D_bDpT10_ENKUlT_T0_E_clISt17integral_constantIbLb0EES1Q_EEDaS1L_S1M_EUlS1L_E_NS1_11comp_targetILNS1_3genE3ELNS1_11target_archE908ELNS1_3gpuE7ELNS1_3repE0EEENS1_30default_config_static_selectorELNS0_4arch9wavefront6targetE0EEEvSZ_.num_agpr, 0
	.set _ZN7rocprim17ROCPRIM_400000_NS6detail17trampoline_kernelINS0_13select_configILj256ELj13ELNS0_17block_load_methodE3ELS4_3ELS4_3ELNS0_20block_scan_algorithmE0ELj4294967295EEENS1_25partition_config_selectorILNS1_17partition_subalgoE3EjNS0_10empty_typeEbEEZZNS1_14partition_implILS8_3ELb0ES6_jNS0_17counting_iteratorIjlEEPS9_SE_NS0_5tupleIJPjSE_EEENSF_IJSE_SE_EEES9_SG_JZNS1_25segmented_radix_sort_implINS0_14default_configELb1EPK6__halfPSL_PKlPlN2at6native12_GLOBAL__N_18offset_tEEE10hipError_tPvRmT1_PNSt15iterator_traitsISZ_E10value_typeET2_T3_PNS10_IS15_E10value_typeET4_jRbjT5_S1B_jjP12ihipStream_tbEUljE_EEESW_SX_SY_S15_S19_S1B_T6_T7_T9_mT8_S1D_bDpT10_ENKUlT_T0_E_clISt17integral_constantIbLb0EES1Q_EEDaS1L_S1M_EUlS1L_E_NS1_11comp_targetILNS1_3genE3ELNS1_11target_archE908ELNS1_3gpuE7ELNS1_3repE0EEENS1_30default_config_static_selectorELNS0_4arch9wavefront6targetE0EEEvSZ_.numbered_sgpr, 0
	.set _ZN7rocprim17ROCPRIM_400000_NS6detail17trampoline_kernelINS0_13select_configILj256ELj13ELNS0_17block_load_methodE3ELS4_3ELS4_3ELNS0_20block_scan_algorithmE0ELj4294967295EEENS1_25partition_config_selectorILNS1_17partition_subalgoE3EjNS0_10empty_typeEbEEZZNS1_14partition_implILS8_3ELb0ES6_jNS0_17counting_iteratorIjlEEPS9_SE_NS0_5tupleIJPjSE_EEENSF_IJSE_SE_EEES9_SG_JZNS1_25segmented_radix_sort_implINS0_14default_configELb1EPK6__halfPSL_PKlPlN2at6native12_GLOBAL__N_18offset_tEEE10hipError_tPvRmT1_PNSt15iterator_traitsISZ_E10value_typeET2_T3_PNS10_IS15_E10value_typeET4_jRbjT5_S1B_jjP12ihipStream_tbEUljE_EEESW_SX_SY_S15_S19_S1B_T6_T7_T9_mT8_S1D_bDpT10_ENKUlT_T0_E_clISt17integral_constantIbLb0EES1Q_EEDaS1L_S1M_EUlS1L_E_NS1_11comp_targetILNS1_3genE3ELNS1_11target_archE908ELNS1_3gpuE7ELNS1_3repE0EEENS1_30default_config_static_selectorELNS0_4arch9wavefront6targetE0EEEvSZ_.num_named_barrier, 0
	.set _ZN7rocprim17ROCPRIM_400000_NS6detail17trampoline_kernelINS0_13select_configILj256ELj13ELNS0_17block_load_methodE3ELS4_3ELS4_3ELNS0_20block_scan_algorithmE0ELj4294967295EEENS1_25partition_config_selectorILNS1_17partition_subalgoE3EjNS0_10empty_typeEbEEZZNS1_14partition_implILS8_3ELb0ES6_jNS0_17counting_iteratorIjlEEPS9_SE_NS0_5tupleIJPjSE_EEENSF_IJSE_SE_EEES9_SG_JZNS1_25segmented_radix_sort_implINS0_14default_configELb1EPK6__halfPSL_PKlPlN2at6native12_GLOBAL__N_18offset_tEEE10hipError_tPvRmT1_PNSt15iterator_traitsISZ_E10value_typeET2_T3_PNS10_IS15_E10value_typeET4_jRbjT5_S1B_jjP12ihipStream_tbEUljE_EEESW_SX_SY_S15_S19_S1B_T6_T7_T9_mT8_S1D_bDpT10_ENKUlT_T0_E_clISt17integral_constantIbLb0EES1Q_EEDaS1L_S1M_EUlS1L_E_NS1_11comp_targetILNS1_3genE3ELNS1_11target_archE908ELNS1_3gpuE7ELNS1_3repE0EEENS1_30default_config_static_selectorELNS0_4arch9wavefront6targetE0EEEvSZ_.private_seg_size, 0
	.set _ZN7rocprim17ROCPRIM_400000_NS6detail17trampoline_kernelINS0_13select_configILj256ELj13ELNS0_17block_load_methodE3ELS4_3ELS4_3ELNS0_20block_scan_algorithmE0ELj4294967295EEENS1_25partition_config_selectorILNS1_17partition_subalgoE3EjNS0_10empty_typeEbEEZZNS1_14partition_implILS8_3ELb0ES6_jNS0_17counting_iteratorIjlEEPS9_SE_NS0_5tupleIJPjSE_EEENSF_IJSE_SE_EEES9_SG_JZNS1_25segmented_radix_sort_implINS0_14default_configELb1EPK6__halfPSL_PKlPlN2at6native12_GLOBAL__N_18offset_tEEE10hipError_tPvRmT1_PNSt15iterator_traitsISZ_E10value_typeET2_T3_PNS10_IS15_E10value_typeET4_jRbjT5_S1B_jjP12ihipStream_tbEUljE_EEESW_SX_SY_S15_S19_S1B_T6_T7_T9_mT8_S1D_bDpT10_ENKUlT_T0_E_clISt17integral_constantIbLb0EES1Q_EEDaS1L_S1M_EUlS1L_E_NS1_11comp_targetILNS1_3genE3ELNS1_11target_archE908ELNS1_3gpuE7ELNS1_3repE0EEENS1_30default_config_static_selectorELNS0_4arch9wavefront6targetE0EEEvSZ_.uses_vcc, 0
	.set _ZN7rocprim17ROCPRIM_400000_NS6detail17trampoline_kernelINS0_13select_configILj256ELj13ELNS0_17block_load_methodE3ELS4_3ELS4_3ELNS0_20block_scan_algorithmE0ELj4294967295EEENS1_25partition_config_selectorILNS1_17partition_subalgoE3EjNS0_10empty_typeEbEEZZNS1_14partition_implILS8_3ELb0ES6_jNS0_17counting_iteratorIjlEEPS9_SE_NS0_5tupleIJPjSE_EEENSF_IJSE_SE_EEES9_SG_JZNS1_25segmented_radix_sort_implINS0_14default_configELb1EPK6__halfPSL_PKlPlN2at6native12_GLOBAL__N_18offset_tEEE10hipError_tPvRmT1_PNSt15iterator_traitsISZ_E10value_typeET2_T3_PNS10_IS15_E10value_typeET4_jRbjT5_S1B_jjP12ihipStream_tbEUljE_EEESW_SX_SY_S15_S19_S1B_T6_T7_T9_mT8_S1D_bDpT10_ENKUlT_T0_E_clISt17integral_constantIbLb0EES1Q_EEDaS1L_S1M_EUlS1L_E_NS1_11comp_targetILNS1_3genE3ELNS1_11target_archE908ELNS1_3gpuE7ELNS1_3repE0EEENS1_30default_config_static_selectorELNS0_4arch9wavefront6targetE0EEEvSZ_.uses_flat_scratch, 0
	.set _ZN7rocprim17ROCPRIM_400000_NS6detail17trampoline_kernelINS0_13select_configILj256ELj13ELNS0_17block_load_methodE3ELS4_3ELS4_3ELNS0_20block_scan_algorithmE0ELj4294967295EEENS1_25partition_config_selectorILNS1_17partition_subalgoE3EjNS0_10empty_typeEbEEZZNS1_14partition_implILS8_3ELb0ES6_jNS0_17counting_iteratorIjlEEPS9_SE_NS0_5tupleIJPjSE_EEENSF_IJSE_SE_EEES9_SG_JZNS1_25segmented_radix_sort_implINS0_14default_configELb1EPK6__halfPSL_PKlPlN2at6native12_GLOBAL__N_18offset_tEEE10hipError_tPvRmT1_PNSt15iterator_traitsISZ_E10value_typeET2_T3_PNS10_IS15_E10value_typeET4_jRbjT5_S1B_jjP12ihipStream_tbEUljE_EEESW_SX_SY_S15_S19_S1B_T6_T7_T9_mT8_S1D_bDpT10_ENKUlT_T0_E_clISt17integral_constantIbLb0EES1Q_EEDaS1L_S1M_EUlS1L_E_NS1_11comp_targetILNS1_3genE3ELNS1_11target_archE908ELNS1_3gpuE7ELNS1_3repE0EEENS1_30default_config_static_selectorELNS0_4arch9wavefront6targetE0EEEvSZ_.has_dyn_sized_stack, 0
	.set _ZN7rocprim17ROCPRIM_400000_NS6detail17trampoline_kernelINS0_13select_configILj256ELj13ELNS0_17block_load_methodE3ELS4_3ELS4_3ELNS0_20block_scan_algorithmE0ELj4294967295EEENS1_25partition_config_selectorILNS1_17partition_subalgoE3EjNS0_10empty_typeEbEEZZNS1_14partition_implILS8_3ELb0ES6_jNS0_17counting_iteratorIjlEEPS9_SE_NS0_5tupleIJPjSE_EEENSF_IJSE_SE_EEES9_SG_JZNS1_25segmented_radix_sort_implINS0_14default_configELb1EPK6__halfPSL_PKlPlN2at6native12_GLOBAL__N_18offset_tEEE10hipError_tPvRmT1_PNSt15iterator_traitsISZ_E10value_typeET2_T3_PNS10_IS15_E10value_typeET4_jRbjT5_S1B_jjP12ihipStream_tbEUljE_EEESW_SX_SY_S15_S19_S1B_T6_T7_T9_mT8_S1D_bDpT10_ENKUlT_T0_E_clISt17integral_constantIbLb0EES1Q_EEDaS1L_S1M_EUlS1L_E_NS1_11comp_targetILNS1_3genE3ELNS1_11target_archE908ELNS1_3gpuE7ELNS1_3repE0EEENS1_30default_config_static_selectorELNS0_4arch9wavefront6targetE0EEEvSZ_.has_recursion, 0
	.set _ZN7rocprim17ROCPRIM_400000_NS6detail17trampoline_kernelINS0_13select_configILj256ELj13ELNS0_17block_load_methodE3ELS4_3ELS4_3ELNS0_20block_scan_algorithmE0ELj4294967295EEENS1_25partition_config_selectorILNS1_17partition_subalgoE3EjNS0_10empty_typeEbEEZZNS1_14partition_implILS8_3ELb0ES6_jNS0_17counting_iteratorIjlEEPS9_SE_NS0_5tupleIJPjSE_EEENSF_IJSE_SE_EEES9_SG_JZNS1_25segmented_radix_sort_implINS0_14default_configELb1EPK6__halfPSL_PKlPlN2at6native12_GLOBAL__N_18offset_tEEE10hipError_tPvRmT1_PNSt15iterator_traitsISZ_E10value_typeET2_T3_PNS10_IS15_E10value_typeET4_jRbjT5_S1B_jjP12ihipStream_tbEUljE_EEESW_SX_SY_S15_S19_S1B_T6_T7_T9_mT8_S1D_bDpT10_ENKUlT_T0_E_clISt17integral_constantIbLb0EES1Q_EEDaS1L_S1M_EUlS1L_E_NS1_11comp_targetILNS1_3genE3ELNS1_11target_archE908ELNS1_3gpuE7ELNS1_3repE0EEENS1_30default_config_static_selectorELNS0_4arch9wavefront6targetE0EEEvSZ_.has_indirect_call, 0
	.section	.AMDGPU.csdata,"",@progbits
; Kernel info:
; codeLenInByte = 0
; TotalNumSgprs: 0
; NumVgprs: 0
; ScratchSize: 0
; MemoryBound: 0
; FloatMode: 240
; IeeeMode: 1
; LDSByteSize: 0 bytes/workgroup (compile time only)
; SGPRBlocks: 0
; VGPRBlocks: 0
; NumSGPRsForWavesPerEU: 1
; NumVGPRsForWavesPerEU: 1
; Occupancy: 16
; WaveLimiterHint : 0
; COMPUTE_PGM_RSRC2:SCRATCH_EN: 0
; COMPUTE_PGM_RSRC2:USER_SGPR: 2
; COMPUTE_PGM_RSRC2:TRAP_HANDLER: 0
; COMPUTE_PGM_RSRC2:TGID_X_EN: 1
; COMPUTE_PGM_RSRC2:TGID_Y_EN: 0
; COMPUTE_PGM_RSRC2:TGID_Z_EN: 0
; COMPUTE_PGM_RSRC2:TIDIG_COMP_CNT: 0
	.section	.text._ZN7rocprim17ROCPRIM_400000_NS6detail17trampoline_kernelINS0_13select_configILj256ELj13ELNS0_17block_load_methodE3ELS4_3ELS4_3ELNS0_20block_scan_algorithmE0ELj4294967295EEENS1_25partition_config_selectorILNS1_17partition_subalgoE3EjNS0_10empty_typeEbEEZZNS1_14partition_implILS8_3ELb0ES6_jNS0_17counting_iteratorIjlEEPS9_SE_NS0_5tupleIJPjSE_EEENSF_IJSE_SE_EEES9_SG_JZNS1_25segmented_radix_sort_implINS0_14default_configELb1EPK6__halfPSL_PKlPlN2at6native12_GLOBAL__N_18offset_tEEE10hipError_tPvRmT1_PNSt15iterator_traitsISZ_E10value_typeET2_T3_PNS10_IS15_E10value_typeET4_jRbjT5_S1B_jjP12ihipStream_tbEUljE_EEESW_SX_SY_S15_S19_S1B_T6_T7_T9_mT8_S1D_bDpT10_ENKUlT_T0_E_clISt17integral_constantIbLb0EES1Q_EEDaS1L_S1M_EUlS1L_E_NS1_11comp_targetILNS1_3genE2ELNS1_11target_archE906ELNS1_3gpuE6ELNS1_3repE0EEENS1_30default_config_static_selectorELNS0_4arch9wavefront6targetE0EEEvSZ_,"axG",@progbits,_ZN7rocprim17ROCPRIM_400000_NS6detail17trampoline_kernelINS0_13select_configILj256ELj13ELNS0_17block_load_methodE3ELS4_3ELS4_3ELNS0_20block_scan_algorithmE0ELj4294967295EEENS1_25partition_config_selectorILNS1_17partition_subalgoE3EjNS0_10empty_typeEbEEZZNS1_14partition_implILS8_3ELb0ES6_jNS0_17counting_iteratorIjlEEPS9_SE_NS0_5tupleIJPjSE_EEENSF_IJSE_SE_EEES9_SG_JZNS1_25segmented_radix_sort_implINS0_14default_configELb1EPK6__halfPSL_PKlPlN2at6native12_GLOBAL__N_18offset_tEEE10hipError_tPvRmT1_PNSt15iterator_traitsISZ_E10value_typeET2_T3_PNS10_IS15_E10value_typeET4_jRbjT5_S1B_jjP12ihipStream_tbEUljE_EEESW_SX_SY_S15_S19_S1B_T6_T7_T9_mT8_S1D_bDpT10_ENKUlT_T0_E_clISt17integral_constantIbLb0EES1Q_EEDaS1L_S1M_EUlS1L_E_NS1_11comp_targetILNS1_3genE2ELNS1_11target_archE906ELNS1_3gpuE6ELNS1_3repE0EEENS1_30default_config_static_selectorELNS0_4arch9wavefront6targetE0EEEvSZ_,comdat
	.globl	_ZN7rocprim17ROCPRIM_400000_NS6detail17trampoline_kernelINS0_13select_configILj256ELj13ELNS0_17block_load_methodE3ELS4_3ELS4_3ELNS0_20block_scan_algorithmE0ELj4294967295EEENS1_25partition_config_selectorILNS1_17partition_subalgoE3EjNS0_10empty_typeEbEEZZNS1_14partition_implILS8_3ELb0ES6_jNS0_17counting_iteratorIjlEEPS9_SE_NS0_5tupleIJPjSE_EEENSF_IJSE_SE_EEES9_SG_JZNS1_25segmented_radix_sort_implINS0_14default_configELb1EPK6__halfPSL_PKlPlN2at6native12_GLOBAL__N_18offset_tEEE10hipError_tPvRmT1_PNSt15iterator_traitsISZ_E10value_typeET2_T3_PNS10_IS15_E10value_typeET4_jRbjT5_S1B_jjP12ihipStream_tbEUljE_EEESW_SX_SY_S15_S19_S1B_T6_T7_T9_mT8_S1D_bDpT10_ENKUlT_T0_E_clISt17integral_constantIbLb0EES1Q_EEDaS1L_S1M_EUlS1L_E_NS1_11comp_targetILNS1_3genE2ELNS1_11target_archE906ELNS1_3gpuE6ELNS1_3repE0EEENS1_30default_config_static_selectorELNS0_4arch9wavefront6targetE0EEEvSZ_ ; -- Begin function _ZN7rocprim17ROCPRIM_400000_NS6detail17trampoline_kernelINS0_13select_configILj256ELj13ELNS0_17block_load_methodE3ELS4_3ELS4_3ELNS0_20block_scan_algorithmE0ELj4294967295EEENS1_25partition_config_selectorILNS1_17partition_subalgoE3EjNS0_10empty_typeEbEEZZNS1_14partition_implILS8_3ELb0ES6_jNS0_17counting_iteratorIjlEEPS9_SE_NS0_5tupleIJPjSE_EEENSF_IJSE_SE_EEES9_SG_JZNS1_25segmented_radix_sort_implINS0_14default_configELb1EPK6__halfPSL_PKlPlN2at6native12_GLOBAL__N_18offset_tEEE10hipError_tPvRmT1_PNSt15iterator_traitsISZ_E10value_typeET2_T3_PNS10_IS15_E10value_typeET4_jRbjT5_S1B_jjP12ihipStream_tbEUljE_EEESW_SX_SY_S15_S19_S1B_T6_T7_T9_mT8_S1D_bDpT10_ENKUlT_T0_E_clISt17integral_constantIbLb0EES1Q_EEDaS1L_S1M_EUlS1L_E_NS1_11comp_targetILNS1_3genE2ELNS1_11target_archE906ELNS1_3gpuE6ELNS1_3repE0EEENS1_30default_config_static_selectorELNS0_4arch9wavefront6targetE0EEEvSZ_
	.p2align	8
	.type	_ZN7rocprim17ROCPRIM_400000_NS6detail17trampoline_kernelINS0_13select_configILj256ELj13ELNS0_17block_load_methodE3ELS4_3ELS4_3ELNS0_20block_scan_algorithmE0ELj4294967295EEENS1_25partition_config_selectorILNS1_17partition_subalgoE3EjNS0_10empty_typeEbEEZZNS1_14partition_implILS8_3ELb0ES6_jNS0_17counting_iteratorIjlEEPS9_SE_NS0_5tupleIJPjSE_EEENSF_IJSE_SE_EEES9_SG_JZNS1_25segmented_radix_sort_implINS0_14default_configELb1EPK6__halfPSL_PKlPlN2at6native12_GLOBAL__N_18offset_tEEE10hipError_tPvRmT1_PNSt15iterator_traitsISZ_E10value_typeET2_T3_PNS10_IS15_E10value_typeET4_jRbjT5_S1B_jjP12ihipStream_tbEUljE_EEESW_SX_SY_S15_S19_S1B_T6_T7_T9_mT8_S1D_bDpT10_ENKUlT_T0_E_clISt17integral_constantIbLb0EES1Q_EEDaS1L_S1M_EUlS1L_E_NS1_11comp_targetILNS1_3genE2ELNS1_11target_archE906ELNS1_3gpuE6ELNS1_3repE0EEENS1_30default_config_static_selectorELNS0_4arch9wavefront6targetE0EEEvSZ_,@function
_ZN7rocprim17ROCPRIM_400000_NS6detail17trampoline_kernelINS0_13select_configILj256ELj13ELNS0_17block_load_methodE3ELS4_3ELS4_3ELNS0_20block_scan_algorithmE0ELj4294967295EEENS1_25partition_config_selectorILNS1_17partition_subalgoE3EjNS0_10empty_typeEbEEZZNS1_14partition_implILS8_3ELb0ES6_jNS0_17counting_iteratorIjlEEPS9_SE_NS0_5tupleIJPjSE_EEENSF_IJSE_SE_EEES9_SG_JZNS1_25segmented_radix_sort_implINS0_14default_configELb1EPK6__halfPSL_PKlPlN2at6native12_GLOBAL__N_18offset_tEEE10hipError_tPvRmT1_PNSt15iterator_traitsISZ_E10value_typeET2_T3_PNS10_IS15_E10value_typeET4_jRbjT5_S1B_jjP12ihipStream_tbEUljE_EEESW_SX_SY_S15_S19_S1B_T6_T7_T9_mT8_S1D_bDpT10_ENKUlT_T0_E_clISt17integral_constantIbLb0EES1Q_EEDaS1L_S1M_EUlS1L_E_NS1_11comp_targetILNS1_3genE2ELNS1_11target_archE906ELNS1_3gpuE6ELNS1_3repE0EEENS1_30default_config_static_selectorELNS0_4arch9wavefront6targetE0EEEvSZ_: ; @_ZN7rocprim17ROCPRIM_400000_NS6detail17trampoline_kernelINS0_13select_configILj256ELj13ELNS0_17block_load_methodE3ELS4_3ELS4_3ELNS0_20block_scan_algorithmE0ELj4294967295EEENS1_25partition_config_selectorILNS1_17partition_subalgoE3EjNS0_10empty_typeEbEEZZNS1_14partition_implILS8_3ELb0ES6_jNS0_17counting_iteratorIjlEEPS9_SE_NS0_5tupleIJPjSE_EEENSF_IJSE_SE_EEES9_SG_JZNS1_25segmented_radix_sort_implINS0_14default_configELb1EPK6__halfPSL_PKlPlN2at6native12_GLOBAL__N_18offset_tEEE10hipError_tPvRmT1_PNSt15iterator_traitsISZ_E10value_typeET2_T3_PNS10_IS15_E10value_typeET4_jRbjT5_S1B_jjP12ihipStream_tbEUljE_EEESW_SX_SY_S15_S19_S1B_T6_T7_T9_mT8_S1D_bDpT10_ENKUlT_T0_E_clISt17integral_constantIbLb0EES1Q_EEDaS1L_S1M_EUlS1L_E_NS1_11comp_targetILNS1_3genE2ELNS1_11target_archE906ELNS1_3gpuE6ELNS1_3repE0EEENS1_30default_config_static_selectorELNS0_4arch9wavefront6targetE0EEEvSZ_
; %bb.0:
	.section	.rodata,"a",@progbits
	.p2align	6, 0x0
	.amdhsa_kernel _ZN7rocprim17ROCPRIM_400000_NS6detail17trampoline_kernelINS0_13select_configILj256ELj13ELNS0_17block_load_methodE3ELS4_3ELS4_3ELNS0_20block_scan_algorithmE0ELj4294967295EEENS1_25partition_config_selectorILNS1_17partition_subalgoE3EjNS0_10empty_typeEbEEZZNS1_14partition_implILS8_3ELb0ES6_jNS0_17counting_iteratorIjlEEPS9_SE_NS0_5tupleIJPjSE_EEENSF_IJSE_SE_EEES9_SG_JZNS1_25segmented_radix_sort_implINS0_14default_configELb1EPK6__halfPSL_PKlPlN2at6native12_GLOBAL__N_18offset_tEEE10hipError_tPvRmT1_PNSt15iterator_traitsISZ_E10value_typeET2_T3_PNS10_IS15_E10value_typeET4_jRbjT5_S1B_jjP12ihipStream_tbEUljE_EEESW_SX_SY_S15_S19_S1B_T6_T7_T9_mT8_S1D_bDpT10_ENKUlT_T0_E_clISt17integral_constantIbLb0EES1Q_EEDaS1L_S1M_EUlS1L_E_NS1_11comp_targetILNS1_3genE2ELNS1_11target_archE906ELNS1_3gpuE6ELNS1_3repE0EEENS1_30default_config_static_selectorELNS0_4arch9wavefront6targetE0EEEvSZ_
		.amdhsa_group_segment_fixed_size 0
		.amdhsa_private_segment_fixed_size 0
		.amdhsa_kernarg_size 144
		.amdhsa_user_sgpr_count 2
		.amdhsa_user_sgpr_dispatch_ptr 0
		.amdhsa_user_sgpr_queue_ptr 0
		.amdhsa_user_sgpr_kernarg_segment_ptr 1
		.amdhsa_user_sgpr_dispatch_id 0
		.amdhsa_user_sgpr_private_segment_size 0
		.amdhsa_wavefront_size32 1
		.amdhsa_uses_dynamic_stack 0
		.amdhsa_enable_private_segment 0
		.amdhsa_system_sgpr_workgroup_id_x 1
		.amdhsa_system_sgpr_workgroup_id_y 0
		.amdhsa_system_sgpr_workgroup_id_z 0
		.amdhsa_system_sgpr_workgroup_info 0
		.amdhsa_system_vgpr_workitem_id 0
		.amdhsa_next_free_vgpr 1
		.amdhsa_next_free_sgpr 1
		.amdhsa_reserve_vcc 0
		.amdhsa_float_round_mode_32 0
		.amdhsa_float_round_mode_16_64 0
		.amdhsa_float_denorm_mode_32 3
		.amdhsa_float_denorm_mode_16_64 3
		.amdhsa_fp16_overflow 0
		.amdhsa_workgroup_processor_mode 1
		.amdhsa_memory_ordered 1
		.amdhsa_forward_progress 1
		.amdhsa_inst_pref_size 0
		.amdhsa_round_robin_scheduling 0
		.amdhsa_exception_fp_ieee_invalid_op 0
		.amdhsa_exception_fp_denorm_src 0
		.amdhsa_exception_fp_ieee_div_zero 0
		.amdhsa_exception_fp_ieee_overflow 0
		.amdhsa_exception_fp_ieee_underflow 0
		.amdhsa_exception_fp_ieee_inexact 0
		.amdhsa_exception_int_div_zero 0
	.end_amdhsa_kernel
	.section	.text._ZN7rocprim17ROCPRIM_400000_NS6detail17trampoline_kernelINS0_13select_configILj256ELj13ELNS0_17block_load_methodE3ELS4_3ELS4_3ELNS0_20block_scan_algorithmE0ELj4294967295EEENS1_25partition_config_selectorILNS1_17partition_subalgoE3EjNS0_10empty_typeEbEEZZNS1_14partition_implILS8_3ELb0ES6_jNS0_17counting_iteratorIjlEEPS9_SE_NS0_5tupleIJPjSE_EEENSF_IJSE_SE_EEES9_SG_JZNS1_25segmented_radix_sort_implINS0_14default_configELb1EPK6__halfPSL_PKlPlN2at6native12_GLOBAL__N_18offset_tEEE10hipError_tPvRmT1_PNSt15iterator_traitsISZ_E10value_typeET2_T3_PNS10_IS15_E10value_typeET4_jRbjT5_S1B_jjP12ihipStream_tbEUljE_EEESW_SX_SY_S15_S19_S1B_T6_T7_T9_mT8_S1D_bDpT10_ENKUlT_T0_E_clISt17integral_constantIbLb0EES1Q_EEDaS1L_S1M_EUlS1L_E_NS1_11comp_targetILNS1_3genE2ELNS1_11target_archE906ELNS1_3gpuE6ELNS1_3repE0EEENS1_30default_config_static_selectorELNS0_4arch9wavefront6targetE0EEEvSZ_,"axG",@progbits,_ZN7rocprim17ROCPRIM_400000_NS6detail17trampoline_kernelINS0_13select_configILj256ELj13ELNS0_17block_load_methodE3ELS4_3ELS4_3ELNS0_20block_scan_algorithmE0ELj4294967295EEENS1_25partition_config_selectorILNS1_17partition_subalgoE3EjNS0_10empty_typeEbEEZZNS1_14partition_implILS8_3ELb0ES6_jNS0_17counting_iteratorIjlEEPS9_SE_NS0_5tupleIJPjSE_EEENSF_IJSE_SE_EEES9_SG_JZNS1_25segmented_radix_sort_implINS0_14default_configELb1EPK6__halfPSL_PKlPlN2at6native12_GLOBAL__N_18offset_tEEE10hipError_tPvRmT1_PNSt15iterator_traitsISZ_E10value_typeET2_T3_PNS10_IS15_E10value_typeET4_jRbjT5_S1B_jjP12ihipStream_tbEUljE_EEESW_SX_SY_S15_S19_S1B_T6_T7_T9_mT8_S1D_bDpT10_ENKUlT_T0_E_clISt17integral_constantIbLb0EES1Q_EEDaS1L_S1M_EUlS1L_E_NS1_11comp_targetILNS1_3genE2ELNS1_11target_archE906ELNS1_3gpuE6ELNS1_3repE0EEENS1_30default_config_static_selectorELNS0_4arch9wavefront6targetE0EEEvSZ_,comdat
.Lfunc_end1711:
	.size	_ZN7rocprim17ROCPRIM_400000_NS6detail17trampoline_kernelINS0_13select_configILj256ELj13ELNS0_17block_load_methodE3ELS4_3ELS4_3ELNS0_20block_scan_algorithmE0ELj4294967295EEENS1_25partition_config_selectorILNS1_17partition_subalgoE3EjNS0_10empty_typeEbEEZZNS1_14partition_implILS8_3ELb0ES6_jNS0_17counting_iteratorIjlEEPS9_SE_NS0_5tupleIJPjSE_EEENSF_IJSE_SE_EEES9_SG_JZNS1_25segmented_radix_sort_implINS0_14default_configELb1EPK6__halfPSL_PKlPlN2at6native12_GLOBAL__N_18offset_tEEE10hipError_tPvRmT1_PNSt15iterator_traitsISZ_E10value_typeET2_T3_PNS10_IS15_E10value_typeET4_jRbjT5_S1B_jjP12ihipStream_tbEUljE_EEESW_SX_SY_S15_S19_S1B_T6_T7_T9_mT8_S1D_bDpT10_ENKUlT_T0_E_clISt17integral_constantIbLb0EES1Q_EEDaS1L_S1M_EUlS1L_E_NS1_11comp_targetILNS1_3genE2ELNS1_11target_archE906ELNS1_3gpuE6ELNS1_3repE0EEENS1_30default_config_static_selectorELNS0_4arch9wavefront6targetE0EEEvSZ_, .Lfunc_end1711-_ZN7rocprim17ROCPRIM_400000_NS6detail17trampoline_kernelINS0_13select_configILj256ELj13ELNS0_17block_load_methodE3ELS4_3ELS4_3ELNS0_20block_scan_algorithmE0ELj4294967295EEENS1_25partition_config_selectorILNS1_17partition_subalgoE3EjNS0_10empty_typeEbEEZZNS1_14partition_implILS8_3ELb0ES6_jNS0_17counting_iteratorIjlEEPS9_SE_NS0_5tupleIJPjSE_EEENSF_IJSE_SE_EEES9_SG_JZNS1_25segmented_radix_sort_implINS0_14default_configELb1EPK6__halfPSL_PKlPlN2at6native12_GLOBAL__N_18offset_tEEE10hipError_tPvRmT1_PNSt15iterator_traitsISZ_E10value_typeET2_T3_PNS10_IS15_E10value_typeET4_jRbjT5_S1B_jjP12ihipStream_tbEUljE_EEESW_SX_SY_S15_S19_S1B_T6_T7_T9_mT8_S1D_bDpT10_ENKUlT_T0_E_clISt17integral_constantIbLb0EES1Q_EEDaS1L_S1M_EUlS1L_E_NS1_11comp_targetILNS1_3genE2ELNS1_11target_archE906ELNS1_3gpuE6ELNS1_3repE0EEENS1_30default_config_static_selectorELNS0_4arch9wavefront6targetE0EEEvSZ_
                                        ; -- End function
	.set _ZN7rocprim17ROCPRIM_400000_NS6detail17trampoline_kernelINS0_13select_configILj256ELj13ELNS0_17block_load_methodE3ELS4_3ELS4_3ELNS0_20block_scan_algorithmE0ELj4294967295EEENS1_25partition_config_selectorILNS1_17partition_subalgoE3EjNS0_10empty_typeEbEEZZNS1_14partition_implILS8_3ELb0ES6_jNS0_17counting_iteratorIjlEEPS9_SE_NS0_5tupleIJPjSE_EEENSF_IJSE_SE_EEES9_SG_JZNS1_25segmented_radix_sort_implINS0_14default_configELb1EPK6__halfPSL_PKlPlN2at6native12_GLOBAL__N_18offset_tEEE10hipError_tPvRmT1_PNSt15iterator_traitsISZ_E10value_typeET2_T3_PNS10_IS15_E10value_typeET4_jRbjT5_S1B_jjP12ihipStream_tbEUljE_EEESW_SX_SY_S15_S19_S1B_T6_T7_T9_mT8_S1D_bDpT10_ENKUlT_T0_E_clISt17integral_constantIbLb0EES1Q_EEDaS1L_S1M_EUlS1L_E_NS1_11comp_targetILNS1_3genE2ELNS1_11target_archE906ELNS1_3gpuE6ELNS1_3repE0EEENS1_30default_config_static_selectorELNS0_4arch9wavefront6targetE0EEEvSZ_.num_vgpr, 0
	.set _ZN7rocprim17ROCPRIM_400000_NS6detail17trampoline_kernelINS0_13select_configILj256ELj13ELNS0_17block_load_methodE3ELS4_3ELS4_3ELNS0_20block_scan_algorithmE0ELj4294967295EEENS1_25partition_config_selectorILNS1_17partition_subalgoE3EjNS0_10empty_typeEbEEZZNS1_14partition_implILS8_3ELb0ES6_jNS0_17counting_iteratorIjlEEPS9_SE_NS0_5tupleIJPjSE_EEENSF_IJSE_SE_EEES9_SG_JZNS1_25segmented_radix_sort_implINS0_14default_configELb1EPK6__halfPSL_PKlPlN2at6native12_GLOBAL__N_18offset_tEEE10hipError_tPvRmT1_PNSt15iterator_traitsISZ_E10value_typeET2_T3_PNS10_IS15_E10value_typeET4_jRbjT5_S1B_jjP12ihipStream_tbEUljE_EEESW_SX_SY_S15_S19_S1B_T6_T7_T9_mT8_S1D_bDpT10_ENKUlT_T0_E_clISt17integral_constantIbLb0EES1Q_EEDaS1L_S1M_EUlS1L_E_NS1_11comp_targetILNS1_3genE2ELNS1_11target_archE906ELNS1_3gpuE6ELNS1_3repE0EEENS1_30default_config_static_selectorELNS0_4arch9wavefront6targetE0EEEvSZ_.num_agpr, 0
	.set _ZN7rocprim17ROCPRIM_400000_NS6detail17trampoline_kernelINS0_13select_configILj256ELj13ELNS0_17block_load_methodE3ELS4_3ELS4_3ELNS0_20block_scan_algorithmE0ELj4294967295EEENS1_25partition_config_selectorILNS1_17partition_subalgoE3EjNS0_10empty_typeEbEEZZNS1_14partition_implILS8_3ELb0ES6_jNS0_17counting_iteratorIjlEEPS9_SE_NS0_5tupleIJPjSE_EEENSF_IJSE_SE_EEES9_SG_JZNS1_25segmented_radix_sort_implINS0_14default_configELb1EPK6__halfPSL_PKlPlN2at6native12_GLOBAL__N_18offset_tEEE10hipError_tPvRmT1_PNSt15iterator_traitsISZ_E10value_typeET2_T3_PNS10_IS15_E10value_typeET4_jRbjT5_S1B_jjP12ihipStream_tbEUljE_EEESW_SX_SY_S15_S19_S1B_T6_T7_T9_mT8_S1D_bDpT10_ENKUlT_T0_E_clISt17integral_constantIbLb0EES1Q_EEDaS1L_S1M_EUlS1L_E_NS1_11comp_targetILNS1_3genE2ELNS1_11target_archE906ELNS1_3gpuE6ELNS1_3repE0EEENS1_30default_config_static_selectorELNS0_4arch9wavefront6targetE0EEEvSZ_.numbered_sgpr, 0
	.set _ZN7rocprim17ROCPRIM_400000_NS6detail17trampoline_kernelINS0_13select_configILj256ELj13ELNS0_17block_load_methodE3ELS4_3ELS4_3ELNS0_20block_scan_algorithmE0ELj4294967295EEENS1_25partition_config_selectorILNS1_17partition_subalgoE3EjNS0_10empty_typeEbEEZZNS1_14partition_implILS8_3ELb0ES6_jNS0_17counting_iteratorIjlEEPS9_SE_NS0_5tupleIJPjSE_EEENSF_IJSE_SE_EEES9_SG_JZNS1_25segmented_radix_sort_implINS0_14default_configELb1EPK6__halfPSL_PKlPlN2at6native12_GLOBAL__N_18offset_tEEE10hipError_tPvRmT1_PNSt15iterator_traitsISZ_E10value_typeET2_T3_PNS10_IS15_E10value_typeET4_jRbjT5_S1B_jjP12ihipStream_tbEUljE_EEESW_SX_SY_S15_S19_S1B_T6_T7_T9_mT8_S1D_bDpT10_ENKUlT_T0_E_clISt17integral_constantIbLb0EES1Q_EEDaS1L_S1M_EUlS1L_E_NS1_11comp_targetILNS1_3genE2ELNS1_11target_archE906ELNS1_3gpuE6ELNS1_3repE0EEENS1_30default_config_static_selectorELNS0_4arch9wavefront6targetE0EEEvSZ_.num_named_barrier, 0
	.set _ZN7rocprim17ROCPRIM_400000_NS6detail17trampoline_kernelINS0_13select_configILj256ELj13ELNS0_17block_load_methodE3ELS4_3ELS4_3ELNS0_20block_scan_algorithmE0ELj4294967295EEENS1_25partition_config_selectorILNS1_17partition_subalgoE3EjNS0_10empty_typeEbEEZZNS1_14partition_implILS8_3ELb0ES6_jNS0_17counting_iteratorIjlEEPS9_SE_NS0_5tupleIJPjSE_EEENSF_IJSE_SE_EEES9_SG_JZNS1_25segmented_radix_sort_implINS0_14default_configELb1EPK6__halfPSL_PKlPlN2at6native12_GLOBAL__N_18offset_tEEE10hipError_tPvRmT1_PNSt15iterator_traitsISZ_E10value_typeET2_T3_PNS10_IS15_E10value_typeET4_jRbjT5_S1B_jjP12ihipStream_tbEUljE_EEESW_SX_SY_S15_S19_S1B_T6_T7_T9_mT8_S1D_bDpT10_ENKUlT_T0_E_clISt17integral_constantIbLb0EES1Q_EEDaS1L_S1M_EUlS1L_E_NS1_11comp_targetILNS1_3genE2ELNS1_11target_archE906ELNS1_3gpuE6ELNS1_3repE0EEENS1_30default_config_static_selectorELNS0_4arch9wavefront6targetE0EEEvSZ_.private_seg_size, 0
	.set _ZN7rocprim17ROCPRIM_400000_NS6detail17trampoline_kernelINS0_13select_configILj256ELj13ELNS0_17block_load_methodE3ELS4_3ELS4_3ELNS0_20block_scan_algorithmE0ELj4294967295EEENS1_25partition_config_selectorILNS1_17partition_subalgoE3EjNS0_10empty_typeEbEEZZNS1_14partition_implILS8_3ELb0ES6_jNS0_17counting_iteratorIjlEEPS9_SE_NS0_5tupleIJPjSE_EEENSF_IJSE_SE_EEES9_SG_JZNS1_25segmented_radix_sort_implINS0_14default_configELb1EPK6__halfPSL_PKlPlN2at6native12_GLOBAL__N_18offset_tEEE10hipError_tPvRmT1_PNSt15iterator_traitsISZ_E10value_typeET2_T3_PNS10_IS15_E10value_typeET4_jRbjT5_S1B_jjP12ihipStream_tbEUljE_EEESW_SX_SY_S15_S19_S1B_T6_T7_T9_mT8_S1D_bDpT10_ENKUlT_T0_E_clISt17integral_constantIbLb0EES1Q_EEDaS1L_S1M_EUlS1L_E_NS1_11comp_targetILNS1_3genE2ELNS1_11target_archE906ELNS1_3gpuE6ELNS1_3repE0EEENS1_30default_config_static_selectorELNS0_4arch9wavefront6targetE0EEEvSZ_.uses_vcc, 0
	.set _ZN7rocprim17ROCPRIM_400000_NS6detail17trampoline_kernelINS0_13select_configILj256ELj13ELNS0_17block_load_methodE3ELS4_3ELS4_3ELNS0_20block_scan_algorithmE0ELj4294967295EEENS1_25partition_config_selectorILNS1_17partition_subalgoE3EjNS0_10empty_typeEbEEZZNS1_14partition_implILS8_3ELb0ES6_jNS0_17counting_iteratorIjlEEPS9_SE_NS0_5tupleIJPjSE_EEENSF_IJSE_SE_EEES9_SG_JZNS1_25segmented_radix_sort_implINS0_14default_configELb1EPK6__halfPSL_PKlPlN2at6native12_GLOBAL__N_18offset_tEEE10hipError_tPvRmT1_PNSt15iterator_traitsISZ_E10value_typeET2_T3_PNS10_IS15_E10value_typeET4_jRbjT5_S1B_jjP12ihipStream_tbEUljE_EEESW_SX_SY_S15_S19_S1B_T6_T7_T9_mT8_S1D_bDpT10_ENKUlT_T0_E_clISt17integral_constantIbLb0EES1Q_EEDaS1L_S1M_EUlS1L_E_NS1_11comp_targetILNS1_3genE2ELNS1_11target_archE906ELNS1_3gpuE6ELNS1_3repE0EEENS1_30default_config_static_selectorELNS0_4arch9wavefront6targetE0EEEvSZ_.uses_flat_scratch, 0
	.set _ZN7rocprim17ROCPRIM_400000_NS6detail17trampoline_kernelINS0_13select_configILj256ELj13ELNS0_17block_load_methodE3ELS4_3ELS4_3ELNS0_20block_scan_algorithmE0ELj4294967295EEENS1_25partition_config_selectorILNS1_17partition_subalgoE3EjNS0_10empty_typeEbEEZZNS1_14partition_implILS8_3ELb0ES6_jNS0_17counting_iteratorIjlEEPS9_SE_NS0_5tupleIJPjSE_EEENSF_IJSE_SE_EEES9_SG_JZNS1_25segmented_radix_sort_implINS0_14default_configELb1EPK6__halfPSL_PKlPlN2at6native12_GLOBAL__N_18offset_tEEE10hipError_tPvRmT1_PNSt15iterator_traitsISZ_E10value_typeET2_T3_PNS10_IS15_E10value_typeET4_jRbjT5_S1B_jjP12ihipStream_tbEUljE_EEESW_SX_SY_S15_S19_S1B_T6_T7_T9_mT8_S1D_bDpT10_ENKUlT_T0_E_clISt17integral_constantIbLb0EES1Q_EEDaS1L_S1M_EUlS1L_E_NS1_11comp_targetILNS1_3genE2ELNS1_11target_archE906ELNS1_3gpuE6ELNS1_3repE0EEENS1_30default_config_static_selectorELNS0_4arch9wavefront6targetE0EEEvSZ_.has_dyn_sized_stack, 0
	.set _ZN7rocprim17ROCPRIM_400000_NS6detail17trampoline_kernelINS0_13select_configILj256ELj13ELNS0_17block_load_methodE3ELS4_3ELS4_3ELNS0_20block_scan_algorithmE0ELj4294967295EEENS1_25partition_config_selectorILNS1_17partition_subalgoE3EjNS0_10empty_typeEbEEZZNS1_14partition_implILS8_3ELb0ES6_jNS0_17counting_iteratorIjlEEPS9_SE_NS0_5tupleIJPjSE_EEENSF_IJSE_SE_EEES9_SG_JZNS1_25segmented_radix_sort_implINS0_14default_configELb1EPK6__halfPSL_PKlPlN2at6native12_GLOBAL__N_18offset_tEEE10hipError_tPvRmT1_PNSt15iterator_traitsISZ_E10value_typeET2_T3_PNS10_IS15_E10value_typeET4_jRbjT5_S1B_jjP12ihipStream_tbEUljE_EEESW_SX_SY_S15_S19_S1B_T6_T7_T9_mT8_S1D_bDpT10_ENKUlT_T0_E_clISt17integral_constantIbLb0EES1Q_EEDaS1L_S1M_EUlS1L_E_NS1_11comp_targetILNS1_3genE2ELNS1_11target_archE906ELNS1_3gpuE6ELNS1_3repE0EEENS1_30default_config_static_selectorELNS0_4arch9wavefront6targetE0EEEvSZ_.has_recursion, 0
	.set _ZN7rocprim17ROCPRIM_400000_NS6detail17trampoline_kernelINS0_13select_configILj256ELj13ELNS0_17block_load_methodE3ELS4_3ELS4_3ELNS0_20block_scan_algorithmE0ELj4294967295EEENS1_25partition_config_selectorILNS1_17partition_subalgoE3EjNS0_10empty_typeEbEEZZNS1_14partition_implILS8_3ELb0ES6_jNS0_17counting_iteratorIjlEEPS9_SE_NS0_5tupleIJPjSE_EEENSF_IJSE_SE_EEES9_SG_JZNS1_25segmented_radix_sort_implINS0_14default_configELb1EPK6__halfPSL_PKlPlN2at6native12_GLOBAL__N_18offset_tEEE10hipError_tPvRmT1_PNSt15iterator_traitsISZ_E10value_typeET2_T3_PNS10_IS15_E10value_typeET4_jRbjT5_S1B_jjP12ihipStream_tbEUljE_EEESW_SX_SY_S15_S19_S1B_T6_T7_T9_mT8_S1D_bDpT10_ENKUlT_T0_E_clISt17integral_constantIbLb0EES1Q_EEDaS1L_S1M_EUlS1L_E_NS1_11comp_targetILNS1_3genE2ELNS1_11target_archE906ELNS1_3gpuE6ELNS1_3repE0EEENS1_30default_config_static_selectorELNS0_4arch9wavefront6targetE0EEEvSZ_.has_indirect_call, 0
	.section	.AMDGPU.csdata,"",@progbits
; Kernel info:
; codeLenInByte = 0
; TotalNumSgprs: 0
; NumVgprs: 0
; ScratchSize: 0
; MemoryBound: 0
; FloatMode: 240
; IeeeMode: 1
; LDSByteSize: 0 bytes/workgroup (compile time only)
; SGPRBlocks: 0
; VGPRBlocks: 0
; NumSGPRsForWavesPerEU: 1
; NumVGPRsForWavesPerEU: 1
; Occupancy: 16
; WaveLimiterHint : 0
; COMPUTE_PGM_RSRC2:SCRATCH_EN: 0
; COMPUTE_PGM_RSRC2:USER_SGPR: 2
; COMPUTE_PGM_RSRC2:TRAP_HANDLER: 0
; COMPUTE_PGM_RSRC2:TGID_X_EN: 1
; COMPUTE_PGM_RSRC2:TGID_Y_EN: 0
; COMPUTE_PGM_RSRC2:TGID_Z_EN: 0
; COMPUTE_PGM_RSRC2:TIDIG_COMP_CNT: 0
	.section	.text._ZN7rocprim17ROCPRIM_400000_NS6detail17trampoline_kernelINS0_13select_configILj256ELj13ELNS0_17block_load_methodE3ELS4_3ELS4_3ELNS0_20block_scan_algorithmE0ELj4294967295EEENS1_25partition_config_selectorILNS1_17partition_subalgoE3EjNS0_10empty_typeEbEEZZNS1_14partition_implILS8_3ELb0ES6_jNS0_17counting_iteratorIjlEEPS9_SE_NS0_5tupleIJPjSE_EEENSF_IJSE_SE_EEES9_SG_JZNS1_25segmented_radix_sort_implINS0_14default_configELb1EPK6__halfPSL_PKlPlN2at6native12_GLOBAL__N_18offset_tEEE10hipError_tPvRmT1_PNSt15iterator_traitsISZ_E10value_typeET2_T3_PNS10_IS15_E10value_typeET4_jRbjT5_S1B_jjP12ihipStream_tbEUljE_EEESW_SX_SY_S15_S19_S1B_T6_T7_T9_mT8_S1D_bDpT10_ENKUlT_T0_E_clISt17integral_constantIbLb0EES1Q_EEDaS1L_S1M_EUlS1L_E_NS1_11comp_targetILNS1_3genE10ELNS1_11target_archE1200ELNS1_3gpuE4ELNS1_3repE0EEENS1_30default_config_static_selectorELNS0_4arch9wavefront6targetE0EEEvSZ_,"axG",@progbits,_ZN7rocprim17ROCPRIM_400000_NS6detail17trampoline_kernelINS0_13select_configILj256ELj13ELNS0_17block_load_methodE3ELS4_3ELS4_3ELNS0_20block_scan_algorithmE0ELj4294967295EEENS1_25partition_config_selectorILNS1_17partition_subalgoE3EjNS0_10empty_typeEbEEZZNS1_14partition_implILS8_3ELb0ES6_jNS0_17counting_iteratorIjlEEPS9_SE_NS0_5tupleIJPjSE_EEENSF_IJSE_SE_EEES9_SG_JZNS1_25segmented_radix_sort_implINS0_14default_configELb1EPK6__halfPSL_PKlPlN2at6native12_GLOBAL__N_18offset_tEEE10hipError_tPvRmT1_PNSt15iterator_traitsISZ_E10value_typeET2_T3_PNS10_IS15_E10value_typeET4_jRbjT5_S1B_jjP12ihipStream_tbEUljE_EEESW_SX_SY_S15_S19_S1B_T6_T7_T9_mT8_S1D_bDpT10_ENKUlT_T0_E_clISt17integral_constantIbLb0EES1Q_EEDaS1L_S1M_EUlS1L_E_NS1_11comp_targetILNS1_3genE10ELNS1_11target_archE1200ELNS1_3gpuE4ELNS1_3repE0EEENS1_30default_config_static_selectorELNS0_4arch9wavefront6targetE0EEEvSZ_,comdat
	.globl	_ZN7rocprim17ROCPRIM_400000_NS6detail17trampoline_kernelINS0_13select_configILj256ELj13ELNS0_17block_load_methodE3ELS4_3ELS4_3ELNS0_20block_scan_algorithmE0ELj4294967295EEENS1_25partition_config_selectorILNS1_17partition_subalgoE3EjNS0_10empty_typeEbEEZZNS1_14partition_implILS8_3ELb0ES6_jNS0_17counting_iteratorIjlEEPS9_SE_NS0_5tupleIJPjSE_EEENSF_IJSE_SE_EEES9_SG_JZNS1_25segmented_radix_sort_implINS0_14default_configELb1EPK6__halfPSL_PKlPlN2at6native12_GLOBAL__N_18offset_tEEE10hipError_tPvRmT1_PNSt15iterator_traitsISZ_E10value_typeET2_T3_PNS10_IS15_E10value_typeET4_jRbjT5_S1B_jjP12ihipStream_tbEUljE_EEESW_SX_SY_S15_S19_S1B_T6_T7_T9_mT8_S1D_bDpT10_ENKUlT_T0_E_clISt17integral_constantIbLb0EES1Q_EEDaS1L_S1M_EUlS1L_E_NS1_11comp_targetILNS1_3genE10ELNS1_11target_archE1200ELNS1_3gpuE4ELNS1_3repE0EEENS1_30default_config_static_selectorELNS0_4arch9wavefront6targetE0EEEvSZ_ ; -- Begin function _ZN7rocprim17ROCPRIM_400000_NS6detail17trampoline_kernelINS0_13select_configILj256ELj13ELNS0_17block_load_methodE3ELS4_3ELS4_3ELNS0_20block_scan_algorithmE0ELj4294967295EEENS1_25partition_config_selectorILNS1_17partition_subalgoE3EjNS0_10empty_typeEbEEZZNS1_14partition_implILS8_3ELb0ES6_jNS0_17counting_iteratorIjlEEPS9_SE_NS0_5tupleIJPjSE_EEENSF_IJSE_SE_EEES9_SG_JZNS1_25segmented_radix_sort_implINS0_14default_configELb1EPK6__halfPSL_PKlPlN2at6native12_GLOBAL__N_18offset_tEEE10hipError_tPvRmT1_PNSt15iterator_traitsISZ_E10value_typeET2_T3_PNS10_IS15_E10value_typeET4_jRbjT5_S1B_jjP12ihipStream_tbEUljE_EEESW_SX_SY_S15_S19_S1B_T6_T7_T9_mT8_S1D_bDpT10_ENKUlT_T0_E_clISt17integral_constantIbLb0EES1Q_EEDaS1L_S1M_EUlS1L_E_NS1_11comp_targetILNS1_3genE10ELNS1_11target_archE1200ELNS1_3gpuE4ELNS1_3repE0EEENS1_30default_config_static_selectorELNS0_4arch9wavefront6targetE0EEEvSZ_
	.p2align	8
	.type	_ZN7rocprim17ROCPRIM_400000_NS6detail17trampoline_kernelINS0_13select_configILj256ELj13ELNS0_17block_load_methodE3ELS4_3ELS4_3ELNS0_20block_scan_algorithmE0ELj4294967295EEENS1_25partition_config_selectorILNS1_17partition_subalgoE3EjNS0_10empty_typeEbEEZZNS1_14partition_implILS8_3ELb0ES6_jNS0_17counting_iteratorIjlEEPS9_SE_NS0_5tupleIJPjSE_EEENSF_IJSE_SE_EEES9_SG_JZNS1_25segmented_radix_sort_implINS0_14default_configELb1EPK6__halfPSL_PKlPlN2at6native12_GLOBAL__N_18offset_tEEE10hipError_tPvRmT1_PNSt15iterator_traitsISZ_E10value_typeET2_T3_PNS10_IS15_E10value_typeET4_jRbjT5_S1B_jjP12ihipStream_tbEUljE_EEESW_SX_SY_S15_S19_S1B_T6_T7_T9_mT8_S1D_bDpT10_ENKUlT_T0_E_clISt17integral_constantIbLb0EES1Q_EEDaS1L_S1M_EUlS1L_E_NS1_11comp_targetILNS1_3genE10ELNS1_11target_archE1200ELNS1_3gpuE4ELNS1_3repE0EEENS1_30default_config_static_selectorELNS0_4arch9wavefront6targetE0EEEvSZ_,@function
_ZN7rocprim17ROCPRIM_400000_NS6detail17trampoline_kernelINS0_13select_configILj256ELj13ELNS0_17block_load_methodE3ELS4_3ELS4_3ELNS0_20block_scan_algorithmE0ELj4294967295EEENS1_25partition_config_selectorILNS1_17partition_subalgoE3EjNS0_10empty_typeEbEEZZNS1_14partition_implILS8_3ELb0ES6_jNS0_17counting_iteratorIjlEEPS9_SE_NS0_5tupleIJPjSE_EEENSF_IJSE_SE_EEES9_SG_JZNS1_25segmented_radix_sort_implINS0_14default_configELb1EPK6__halfPSL_PKlPlN2at6native12_GLOBAL__N_18offset_tEEE10hipError_tPvRmT1_PNSt15iterator_traitsISZ_E10value_typeET2_T3_PNS10_IS15_E10value_typeET4_jRbjT5_S1B_jjP12ihipStream_tbEUljE_EEESW_SX_SY_S15_S19_S1B_T6_T7_T9_mT8_S1D_bDpT10_ENKUlT_T0_E_clISt17integral_constantIbLb0EES1Q_EEDaS1L_S1M_EUlS1L_E_NS1_11comp_targetILNS1_3genE10ELNS1_11target_archE1200ELNS1_3gpuE4ELNS1_3repE0EEENS1_30default_config_static_selectorELNS0_4arch9wavefront6targetE0EEEvSZ_: ; @_ZN7rocprim17ROCPRIM_400000_NS6detail17trampoline_kernelINS0_13select_configILj256ELj13ELNS0_17block_load_methodE3ELS4_3ELS4_3ELNS0_20block_scan_algorithmE0ELj4294967295EEENS1_25partition_config_selectorILNS1_17partition_subalgoE3EjNS0_10empty_typeEbEEZZNS1_14partition_implILS8_3ELb0ES6_jNS0_17counting_iteratorIjlEEPS9_SE_NS0_5tupleIJPjSE_EEENSF_IJSE_SE_EEES9_SG_JZNS1_25segmented_radix_sort_implINS0_14default_configELb1EPK6__halfPSL_PKlPlN2at6native12_GLOBAL__N_18offset_tEEE10hipError_tPvRmT1_PNSt15iterator_traitsISZ_E10value_typeET2_T3_PNS10_IS15_E10value_typeET4_jRbjT5_S1B_jjP12ihipStream_tbEUljE_EEESW_SX_SY_S15_S19_S1B_T6_T7_T9_mT8_S1D_bDpT10_ENKUlT_T0_E_clISt17integral_constantIbLb0EES1Q_EEDaS1L_S1M_EUlS1L_E_NS1_11comp_targetILNS1_3genE10ELNS1_11target_archE1200ELNS1_3gpuE4ELNS1_3repE0EEENS1_30default_config_static_selectorELNS0_4arch9wavefront6targetE0EEEvSZ_
; %bb.0:
	s_clause 0x6
	s_load_b32 s2, s[0:1], 0x70
	s_load_b128 s[8:11], s[0:1], 0x48
	s_load_b64 s[12:13], s[0:1], 0x10
	s_load_b64 s[14:15], s[0:1], 0x58
	s_load_b32 s20, s[0:1], 0x8
	s_load_b32 s3, s[0:1], 0x88
	s_load_b128 s[4:7], s[0:1], 0x78
	s_mov_b32 s17, 0
	v_lshlrev_b32_e32 v42, 2, v0
	s_wait_kmcnt 0x0
	s_mul_i32 s16, s2, 0xd00
	s_load_b64 s[18:19], s[10:11], 0x0
	s_add_co_i32 s10, s16, s12
	s_add_co_i32 s2, s2, -1
	s_sub_co_i32 s23, s14, s10
	s_add_nc_u64 s[10:11], s[12:13], s[16:17]
	s_addk_co_i32 s23, 0xd00
	s_cmp_eq_u32 ttmp9, s2
	s_mul_i32 s16, ttmp9, 0xd00
	s_cselect_b32 s22, -1, 0
	s_cmp_lg_u32 ttmp9, s2
	v_cmp_gt_u64_e64 s10, s[14:15], s[10:11]
	s_cselect_b32 s2, -1, 0
	s_add_co_i32 s11, s20, s16
	s_mov_b32 s17, -1
	s_wait_alu 0xfffe
	s_add_co_i32 s11, s11, s12
	s_wait_alu 0xfffe
	v_add_nc_u32_e32 v1, s11, v0
	s_or_b32 s10, s2, s10
	s_wait_alu 0xfffe
	s_and_b32 vcc_lo, exec_lo, s10
	s_cbranch_vccz .LBB1712_2
; %bb.1:
	v_add_nc_u32_e32 v2, 0x100, v1
	v_add_nc_u32_e32 v3, 0x200, v1
	;; [unrolled: 1-line block ×12, first 2 shown]
	ds_store_2addr_stride64_b32 v42, v1, v2 offset1:4
	ds_store_2addr_stride64_b32 v42, v3, v4 offset0:8 offset1:12
	ds_store_2addr_stride64_b32 v42, v5, v6 offset0:16 offset1:20
	;; [unrolled: 1-line block ×5, first 2 shown]
	ds_store_b32 v42, v13 offset:12288
	s_wait_dscnt 0x0
	s_barrier_signal -1
	s_mov_b32 s17, 0
	s_barrier_wait -1
.LBB1712_2:
	v_cmp_gt_u32_e64 s2, s23, v0
	v_or_b32_e32 v41, 0x100, v0
	v_or_b32_e32 v40, 0x200, v0
	;; [unrolled: 1-line block ×12, first 2 shown]
	s_and_not1_b32 vcc_lo, exec_lo, s17
	s_cbranch_vccnz .LBB1712_4
; %bb.3:
	v_cmp_gt_u32_e32 vcc_lo, s23, v41
	v_add_nc_u32_e32 v3, s11, v40
	v_add_nc_u32_e32 v2, s11, v41
	v_cndmask_b32_e64 v1, 0, v1, s2
	s_delay_alu instid0(VALU_DEP_2)
	v_cndmask_b32_e32 v2, 0, v2, vcc_lo
	v_cmp_gt_u32_e32 vcc_lo, s23, v40
	s_wait_alu 0xfffd
	v_cndmask_b32_e32 v3, 0, v3, vcc_lo
	v_cmp_gt_u32_e32 vcc_lo, s23, v39
	v_add_nc_u32_e32 v5, s11, v38
	v_add_nc_u32_e32 v4, s11, v39
	s_wait_alu 0xfffd
	s_delay_alu instid0(VALU_DEP_1)
	v_cndmask_b32_e32 v4, 0, v4, vcc_lo
	v_cmp_gt_u32_e32 vcc_lo, s23, v38
	s_wait_alu 0xfffd
	v_cndmask_b32_e32 v5, 0, v5, vcc_lo
	v_cmp_gt_u32_e32 vcc_lo, s23, v37
	v_add_nc_u32_e32 v7, s11, v36
	v_add_nc_u32_e32 v6, s11, v37
	s_wait_alu 0xfffd
	s_delay_alu instid0(VALU_DEP_1)
	;; [unrolled: 9-line block ×5, first 2 shown]
	v_cndmask_b32_e32 v12, 0, v12, vcc_lo
	v_cmp_gt_u32_e32 vcc_lo, s23, v30
	s_wait_alu 0xfffd
	v_cndmask_b32_e32 v13, 0, v13, vcc_lo
	ds_store_2addr_stride64_b32 v42, v1, v2 offset1:4
	ds_store_2addr_stride64_b32 v42, v3, v4 offset0:8 offset1:12
	ds_store_2addr_stride64_b32 v42, v5, v6 offset0:16 offset1:20
	;; [unrolled: 1-line block ×5, first 2 shown]
	ds_store_b32 v42, v13 offset:12288
	s_wait_dscnt 0x0
	s_barrier_signal -1
	s_barrier_wait -1
.LBB1712_4:
	v_mul_u32_u24_e32 v45, 13, v0
	global_inv scope:SCOPE_SE
	v_cndmask_b32_e64 v43, 0, 1, s10
	s_and_not1_b32 vcc_lo, exec_lo, s10
	v_lshlrev_b32_e32 v1, 2, v45
	ds_load_2addr_b32 v[26:27], v1 offset0:2 offset1:3
	ds_load_2addr_b32 v[22:23], v1 offset0:6 offset1:7
	;; [unrolled: 1-line block ×3, first 2 shown]
	ds_load_2addr_b32 v[28:29], v1 offset1:1
	ds_load_2addr_b32 v[18:19], v1 offset0:10 offset1:11
	ds_load_b32 v44, v1 offset:48
	ds_load_2addr_b32 v[20:21], v1 offset0:8 offset1:9
	s_wait_loadcnt_dscnt 0x0
	s_barrier_signal -1
	s_barrier_wait -1
	global_inv scope:SCOPE_SE
	s_wait_alu 0xfffe
	s_cbranch_vccnz .LBB1712_6
; %bb.5:
	v_add_nc_u32_e32 v1, s5, v27
	v_add_nc_u32_e32 v2, s7, v27
	;; [unrolled: 1-line block ×5, first 2 shown]
	v_mul_lo_u32 v1, v1, s4
	v_mul_lo_u32 v2, v2, s6
	v_add_nc_u32_e32 v8, s7, v26
	v_add_nc_u32_e32 v3, s5, v29
	;; [unrolled: 1-line block ×3, first 2 shown]
	v_mul_lo_u32 v5, v5, s4
	v_mul_lo_u32 v4, v4, s4
	v_add_nc_u32_e32 v9, s5, v24
	v_mul_lo_u32 v3, v3, s4
	v_sub_nc_u32_e32 v1, v1, v2
	v_mul_lo_u32 v2, v7, s6
	v_mul_lo_u32 v7, v8, s6
	;; [unrolled: 1-line block ×3, first 2 shown]
	v_add_nc_u32_e32 v8, s5, v25
	v_add_nc_u32_e32 v10, s7, v24
	v_mul_lo_u32 v9, v9, s4
	v_cmp_lt_u32_e32 vcc_lo, s3, v1
	v_add_nc_u32_e32 v14, s7, v19
	v_sub_nc_u32_e32 v2, v4, v2
	v_sub_nc_u32_e32 v4, v5, v7
	v_add_nc_u32_e32 v5, s7, v25
	v_sub_nc_u32_e32 v3, v3, v6
	v_add_nc_u32_e32 v6, s5, v23
	v_add_nc_u32_e32 v7, s7, v23
	v_mul_lo_u32 v8, v8, s4
	v_mul_lo_u32 v5, v5, s6
	;; [unrolled: 1-line block ×5, first 2 shown]
	s_wait_alu 0xfffd
	v_cndmask_b32_e64 v1, 0, 1, vcc_lo
	v_cmp_lt_u32_e32 vcc_lo, s3, v3
	v_mul_lo_u32 v14, v14, s6
	v_add_nc_u32_e32 v15, s7, v21
	v_sub_nc_u32_e32 v5, v8, v5
	v_add_nc_u32_e32 v8, s7, v22
	s_wait_alu 0xfffd
	v_cndmask_b32_e64 v3, 0, 1, vcc_lo
	v_sub_nc_u32_e32 v6, v6, v7
	v_mul_lo_u32 v15, v15, s6
	v_cmp_lt_u32_e32 vcc_lo, s3, v5
	v_mul_lo_u32 v7, v8, s6
	v_sub_nc_u32_e32 v8, v9, v10
	v_add_nc_u32_e32 v9, s5, v19
	v_add_nc_u32_e32 v10, s5, v21
	s_wait_alu 0xfffd
	v_cndmask_b32_e64 v5, 0, 1, vcc_lo
	v_cmp_lt_u32_e32 vcc_lo, s3, v6
	v_add_nc_u32_e32 v11, s5, v22
	v_mul_lo_u32 v9, v9, s4
	v_mul_lo_u32 v10, v10, s4
	v_add_nc_u32_e32 v12, s5, v20
	s_wait_alu 0xfffd
	v_cndmask_b32_e64 v6, 0, 1, vcc_lo
	v_mul_lo_u32 v11, v11, s4
	v_add_nc_u32_e32 v16, s7, v20
	v_lshlrev_b16 v3, 8, v3
	v_add_nc_u32_e32 v13, s5, v18
	v_sub_nc_u32_e32 v9, v9, v14
	v_sub_nc_u32_e32 v10, v10, v15
	v_add_nc_u32_e32 v17, s7, v18
	v_mul_lo_u32 v12, v12, s4
	v_mul_lo_u32 v16, v16, s6
	v_cmp_lt_u32_e32 vcc_lo, s3, v9
	v_sub_nc_u32_e32 v7, v11, v7
	v_lshrrev_b32_e32 v3, 8, v3
	v_mul_lo_u32 v11, v13, s4
	v_mul_lo_u32 v13, v17, s6
	s_wait_alu 0xfffd
	v_cndmask_b32_e64 v9, 0, 1, vcc_lo
	v_cmp_lt_u32_e32 vcc_lo, s3, v2
	v_sub_nc_u32_e32 v12, v12, v16
	v_lshlrev_b16 v3, 8, v3
	v_lshlrev_b16 v1, 8, v1
	;; [unrolled: 1-line block ×3, first 2 shown]
	s_wait_alu 0xfffd
	v_cndmask_b32_e64 v2, 0, 1, vcc_lo
	v_cmp_lt_u32_e32 vcc_lo, s3, v10
	v_sub_nc_u32_e32 v11, v11, v13
	v_add_nc_u32_e32 v14, s5, v44
	v_add_nc_u32_e32 v15, s7, v44
	v_or_b32_e32 v2, v2, v3
	s_wait_alu 0xfffd
	v_cndmask_b32_e64 v10, 0, 1, vcc_lo
	v_cmp_lt_u32_e32 vcc_lo, s3, v4
	v_lshlrev_b16 v3, 8, v9
	v_lshrrev_b32_e32 v5, 8, v5
	v_lshrrev_b32_e32 v1, 8, v1
	v_lshlrev_b16 v9, 8, v10
	s_wait_alu 0xfffd
	v_cndmask_b32_e64 v4, 0, 1, vcc_lo
	v_cmp_lt_u32_e32 vcc_lo, s3, v8
	v_lshrrev_b32_e32 v3, 8, v3
	v_mul_lo_u32 v14, v14, s4
	v_lshrrev_b32_e32 v9, 8, v9
	v_mul_lo_u32 v15, v15, s6
	s_wait_alu 0xfffd
	v_cndmask_b32_e64 v8, 0, 1, vcc_lo
	v_cmp_lt_u32_e32 vcc_lo, s3, v7
	v_lshlrev_b16 v6, 8, v6
	v_lshlrev_b16 v1, 8, v1
	;; [unrolled: 1-line block ×4, first 2 shown]
	s_wait_alu 0xfffd
	v_cndmask_b32_e64 v7, 0, 1, vcc_lo
	v_cmp_lt_u32_e32 vcc_lo, s3, v12
	v_lshlrev_b16 v3, 8, v3
	v_sub_nc_u32_e32 v10, v14, v15
	v_or_b32_e32 v1, v4, v1
	v_or_b32_e32 v4, v8, v5
	s_wait_alu 0xfffd
	v_cndmask_b32_e64 v12, 0, 1, vcc_lo
	v_cmp_lt_u32_e32 vcc_lo, s3, v11
	v_or_b32_e32 v5, v7, v6
	v_and_b32_e32 v2, 0xffff, v2
	v_lshlrev_b32_e32 v1, 16, v1
	v_or_b32_e32 v6, v12, v9
	s_wait_alu 0xfffd
	v_cndmask_b32_e64 v11, 0, 1, vcc_lo
	v_and_b32_e32 v4, 0xffff, v4
	v_lshlrev_b32_e32 v5, 16, v5
	v_cmp_lt_u32_e32 vcc_lo, s3, v10
	v_and_b32_e32 v6, 0xffff, v6
	v_or_b32_e32 v3, v11, v3
	v_or_b32_e32 v51, v2, v1
	;; [unrolled: 1-line block ×3, first 2 shown]
	s_wait_alu 0xfffd
	v_cndmask_b32_e64 v46, 0, 1, vcc_lo
	v_lshlrev_b32_e32 v3, 16, v3
	s_delay_alu instid0(VALU_DEP_1)
	v_or_b32_e32 v47, v6, v3
	s_clause 0x1
	s_load_b64 s[10:11], s[0:1], 0x28
	s_load_b64 s[20:21], s[0:1], 0x68
	s_cbranch_execz .LBB1712_7
	s_branch .LBB1712_34
.LBB1712_6:
                                        ; implicit-def: $vgpr46
                                        ; implicit-def: $vgpr47
                                        ; implicit-def: $vgpr49
                                        ; implicit-def: $vgpr51
	s_clause 0x1
	s_load_b64 s[10:11], s[0:1], 0x28
	s_load_b64 s[20:21], s[0:1], 0x68
.LBB1712_7:
	v_dual_mov_b32 v2, 0 :: v_dual_mov_b32 v1, 0
	s_mov_b32 s0, exec_lo
	v_cmpx_gt_u32_e64 s23, v45
	s_cbranch_execz .LBB1712_9
; %bb.8:
	v_add_nc_u32_e32 v1, s5, v28
	v_add_nc_u32_e32 v3, s7, v28
	s_delay_alu instid0(VALU_DEP_2) | instskip(NEXT) | instid1(VALU_DEP_2)
	v_mul_lo_u32 v1, v1, s4
	v_mul_lo_u32 v3, v3, s6
	s_delay_alu instid0(VALU_DEP_1) | instskip(NEXT) | instid1(VALU_DEP_1)
	v_sub_nc_u32_e32 v1, v1, v3
	v_cmp_lt_u32_e32 vcc_lo, s3, v1
	s_wait_alu 0xfffd
	v_cndmask_b32_e64 v1, 0, 1, vcc_lo
.LBB1712_9:
	s_or_b32 exec_lo, exec_lo, s0
	v_add_nc_u32_e32 v3, 1, v45
	s_mov_b32 s0, exec_lo
	s_delay_alu instid0(VALU_DEP_1)
	v_cmpx_gt_u32_e64 s23, v3
	s_cbranch_execz .LBB1712_11
; %bb.10:
	v_add_nc_u32_e32 v2, s5, v29
	v_add_nc_u32_e32 v3, s7, v29
	s_delay_alu instid0(VALU_DEP_2) | instskip(NEXT) | instid1(VALU_DEP_2)
	v_mul_lo_u32 v2, v2, s4
	v_mul_lo_u32 v3, v3, s6
	s_delay_alu instid0(VALU_DEP_1) | instskip(NEXT) | instid1(VALU_DEP_1)
	v_sub_nc_u32_e32 v2, v2, v3
	v_cmp_lt_u32_e32 vcc_lo, s3, v2
	s_wait_alu 0xfffd
	v_cndmask_b32_e64 v2, 0, 1, vcc_lo
.LBB1712_11:
	s_or_b32 exec_lo, exec_lo, s0
	v_dual_mov_b32 v4, 0 :: v_dual_add_nc_u32 v3, 2, v45
	s_delay_alu instid0(VALU_DEP_1)
	v_cmp_gt_u32_e32 vcc_lo, s23, v3
	v_mov_b32_e32 v3, 0
	s_and_saveexec_b32 s0, vcc_lo
	s_cbranch_execz .LBB1712_13
; %bb.12:
	v_add_nc_u32_e32 v3, s5, v26
	v_add_nc_u32_e32 v5, s7, v26
	s_delay_alu instid0(VALU_DEP_2) | instskip(NEXT) | instid1(VALU_DEP_2)
	v_mul_lo_u32 v3, v3, s4
	v_mul_lo_u32 v5, v5, s6
	s_delay_alu instid0(VALU_DEP_1) | instskip(NEXT) | instid1(VALU_DEP_1)
	v_sub_nc_u32_e32 v3, v3, v5
	v_cmp_lt_u32_e32 vcc_lo, s3, v3
	s_wait_alu 0xfffd
	v_cndmask_b32_e64 v3, 0, 1, vcc_lo
.LBB1712_13:
	s_or_b32 exec_lo, exec_lo, s0
	v_add_nc_u32_e32 v5, 3, v45
	s_mov_b32 s0, exec_lo
	s_delay_alu instid0(VALU_DEP_1)
	v_cmpx_gt_u32_e64 s23, v5
	s_cbranch_execz .LBB1712_15
; %bb.14:
	v_add_nc_u32_e32 v4, s5, v27
	v_add_nc_u32_e32 v5, s7, v27
	s_delay_alu instid0(VALU_DEP_2) | instskip(NEXT) | instid1(VALU_DEP_2)
	v_mul_lo_u32 v4, v4, s4
	v_mul_lo_u32 v5, v5, s6
	s_delay_alu instid0(VALU_DEP_1) | instskip(NEXT) | instid1(VALU_DEP_1)
	v_sub_nc_u32_e32 v4, v4, v5
	v_cmp_lt_u32_e32 vcc_lo, s3, v4
	s_wait_alu 0xfffd
	v_cndmask_b32_e64 v4, 0, 1, vcc_lo
.LBB1712_15:
	s_or_b32 exec_lo, exec_lo, s0
	v_dual_mov_b32 v6, 0 :: v_dual_add_nc_u32 v5, 4, v45
	s_delay_alu instid0(VALU_DEP_1)
	v_cmp_gt_u32_e32 vcc_lo, s23, v5
	v_mov_b32_e32 v5, 0
	s_and_saveexec_b32 s0, vcc_lo
	;; [unrolled: 37-line block ×5, first 2 shown]
	s_cbranch_execz .LBB1712_29
; %bb.28:
	v_add_nc_u32_e32 v11, s5, v18
	v_add_nc_u32_e32 v13, s7, v18
	s_delay_alu instid0(VALU_DEP_2) | instskip(NEXT) | instid1(VALU_DEP_2)
	v_mul_lo_u32 v11, v11, s4
	v_mul_lo_u32 v13, v13, s6
	s_delay_alu instid0(VALU_DEP_1) | instskip(NEXT) | instid1(VALU_DEP_1)
	v_sub_nc_u32_e32 v11, v11, v13
	v_cmp_lt_u32_e32 vcc_lo, s3, v11
	s_wait_alu 0xfffd
	v_cndmask_b32_e64 v11, 0, 1, vcc_lo
.LBB1712_29:
	s_or_b32 exec_lo, exec_lo, s0
	v_add_nc_u32_e32 v13, 11, v45
	s_mov_b32 s0, exec_lo
	s_delay_alu instid0(VALU_DEP_1)
	v_cmpx_gt_u32_e64 s23, v13
	s_cbranch_execz .LBB1712_31
; %bb.30:
	v_add_nc_u32_e32 v12, s5, v19
	v_add_nc_u32_e32 v13, s7, v19
	s_delay_alu instid0(VALU_DEP_2) | instskip(NEXT) | instid1(VALU_DEP_2)
	v_mul_lo_u32 v12, v12, s4
	v_mul_lo_u32 v13, v13, s6
	s_delay_alu instid0(VALU_DEP_1) | instskip(NEXT) | instid1(VALU_DEP_1)
	v_sub_nc_u32_e32 v12, v12, v13
	v_cmp_lt_u32_e32 vcc_lo, s3, v12
	s_wait_alu 0xfffd
	v_cndmask_b32_e64 v12, 0, 1, vcc_lo
.LBB1712_31:
	s_or_b32 exec_lo, exec_lo, s0
	v_dual_mov_b32 v46, 0 :: v_dual_add_nc_u32 v13, 12, v45
	s_mov_b32 s0, exec_lo
	s_delay_alu instid0(VALU_DEP_1)
	v_cmpx_gt_u32_e64 s23, v13
	s_cbranch_execz .LBB1712_33
; %bb.32:
	v_add_nc_u32_e32 v13, s5, v44
	v_add_nc_u32_e32 v14, s7, v44
	s_delay_alu instid0(VALU_DEP_2) | instskip(NEXT) | instid1(VALU_DEP_2)
	v_mul_lo_u32 v13, v13, s4
	v_mul_lo_u32 v14, v14, s6
	s_delay_alu instid0(VALU_DEP_1) | instskip(NEXT) | instid1(VALU_DEP_1)
	v_sub_nc_u32_e32 v13, v13, v14
	v_cmp_lt_u32_e32 vcc_lo, s3, v13
	s_wait_alu 0xfffd
	v_cndmask_b32_e64 v46, 0, 1, vcc_lo
.LBB1712_33:
	s_or_b32 exec_lo, exec_lo, s0
	v_lshlrev_b16 v2, 8, v2
	v_lshlrev_b16 v4, 8, v4
	;; [unrolled: 1-line block ×5, first 2 shown]
	v_or_b32_e32 v1, v1, v2
	v_lshlrev_b16 v2, 8, v12
	v_or_b32_e32 v3, v3, v4
	v_or_b32_e32 v4, v5, v6
	;; [unrolled: 1-line block ×5, first 2 shown]
	v_and_b32_e32 v1, 0xffff, v1
	v_lshlrev_b32_e32 v3, 16, v3
	v_and_b32_e32 v4, 0xffff, v4
	v_lshlrev_b32_e32 v5, 16, v5
	;; [unrolled: 2-line block ×3, first 2 shown]
	v_or_b32_e32 v51, v1, v3
	s_delay_alu instid0(VALU_DEP_4) | instskip(NEXT) | instid1(VALU_DEP_3)
	v_or_b32_e32 v49, v4, v5
	v_or_b32_e32 v47, v6, v2
.LBB1712_34:
	s_delay_alu instid0(VALU_DEP_3)
	v_and_b32_e32 v53, 0xff, v51
	v_bfe_u32 v54, v51, 8, 8
	v_bfe_u32 v55, v51, 16, 8
	v_lshrrev_b32_e32 v52, 24, v51
	v_and_b32_e32 v56, 0xff, v49
	v_bfe_u32 v57, v49, 8, 8
	v_bfe_u32 v58, v49, 16, 8
	v_add3_u32 v1, v54, v53, v55
	v_lshrrev_b32_e32 v50, 24, v49
	v_and_b32_e32 v59, 0xff, v47
	v_bfe_u32 v60, v47, 8, 8
	v_mbcnt_lo_u32_b32 v62, -1, 0
	v_add3_u32 v1, v1, v52, v56
	v_bfe_u32 v61, v47, 16, 8
	v_lshrrev_b32_e32 v48, 24, v47
	v_and_b32_e32 v2, 0xff, v46
	v_and_b32_e32 v3, 15, v62
	v_add3_u32 v1, v1, v57, v58
	v_or_b32_e32 v4, 31, v0
	v_and_b32_e32 v5, 16, v62
	v_lshrrev_b32_e32 v63, 5, v0
	v_cmp_eq_u32_e64 s5, 0, v3
	v_add3_u32 v1, v1, v50, v59
	v_cmp_lt_u32_e64 s4, 1, v3
	v_cmp_lt_u32_e64 s3, 3, v3
	;; [unrolled: 1-line block ×3, first 2 shown]
	v_cmp_eq_u32_e64 s1, 0, v5
	v_add3_u32 v1, v1, v60, v61
	v_cmp_eq_u32_e64 s0, v0, v4
	s_cmp_lg_u32 ttmp9, 0
	s_mov_b32 s6, -1
	v_add3_u32 v64, v1, v48, v2
	s_cbranch_scc0 .LBB1712_55
; %bb.35:
	s_delay_alu instid0(VALU_DEP_1) | instskip(SKIP_1) | instid1(VALU_DEP_1)
	v_mov_b32_dpp v1, v64 row_shr:1 row_mask:0xf bank_mask:0xf
	s_wait_alu 0xf1ff
	v_cndmask_b32_e64 v1, v1, 0, s5
	s_delay_alu instid0(VALU_DEP_1) | instskip(NEXT) | instid1(VALU_DEP_1)
	v_add_nc_u32_e32 v1, v1, v64
	v_mov_b32_dpp v2, v1 row_shr:2 row_mask:0xf bank_mask:0xf
	s_delay_alu instid0(VALU_DEP_1) | instskip(NEXT) | instid1(VALU_DEP_1)
	v_cndmask_b32_e64 v2, 0, v2, s4
	v_add_nc_u32_e32 v1, v1, v2
	s_delay_alu instid0(VALU_DEP_1) | instskip(NEXT) | instid1(VALU_DEP_1)
	v_mov_b32_dpp v2, v1 row_shr:4 row_mask:0xf bank_mask:0xf
	v_cndmask_b32_e64 v2, 0, v2, s3
	s_delay_alu instid0(VALU_DEP_1) | instskip(NEXT) | instid1(VALU_DEP_1)
	v_add_nc_u32_e32 v1, v1, v2
	v_mov_b32_dpp v2, v1 row_shr:8 row_mask:0xf bank_mask:0xf
	s_delay_alu instid0(VALU_DEP_1) | instskip(NEXT) | instid1(VALU_DEP_1)
	v_cndmask_b32_e64 v2, 0, v2, s2
	v_add_nc_u32_e32 v1, v1, v2
	ds_swizzle_b32 v2, v1 offset:swizzle(BROADCAST,32,15)
	s_wait_dscnt 0x0
	v_cndmask_b32_e64 v2, v2, 0, s1
	s_delay_alu instid0(VALU_DEP_1)
	v_add_nc_u32_e32 v1, v1, v2
	s_and_saveexec_b32 s6, s0
; %bb.36:
	v_lshlrev_b32_e32 v2, 2, v63
	ds_store_b32 v2, v1
; %bb.37:
	s_wait_alu 0xfffe
	s_or_b32 exec_lo, exec_lo, s6
	s_delay_alu instid0(SALU_CYCLE_1)
	s_mov_b32 s6, exec_lo
	s_wait_loadcnt_dscnt 0x0
	s_barrier_signal -1
	s_barrier_wait -1
	global_inv scope:SCOPE_SE
	v_cmpx_gt_u32_e32 8, v0
	s_cbranch_execz .LBB1712_39
; %bb.38:
	ds_load_b32 v2, v42
	s_wait_dscnt 0x0
	v_mov_b32_dpp v4, v2 row_shr:1 row_mask:0xf bank_mask:0xf
	v_and_b32_e32 v3, 7, v62
	s_delay_alu instid0(VALU_DEP_1) | instskip(SKIP_1) | instid1(VALU_DEP_3)
	v_cmp_ne_u32_e32 vcc_lo, 0, v3
	s_wait_alu 0xfffd
	v_cndmask_b32_e32 v4, 0, v4, vcc_lo
	v_cmp_lt_u32_e32 vcc_lo, 1, v3
	s_delay_alu instid0(VALU_DEP_2) | instskip(NEXT) | instid1(VALU_DEP_1)
	v_add_nc_u32_e32 v2, v4, v2
	v_mov_b32_dpp v4, v2 row_shr:2 row_mask:0xf bank_mask:0xf
	s_wait_alu 0xfffd
	s_delay_alu instid0(VALU_DEP_1) | instskip(SKIP_1) | instid1(VALU_DEP_2)
	v_cndmask_b32_e32 v4, 0, v4, vcc_lo
	v_cmp_lt_u32_e32 vcc_lo, 3, v3
	v_add_nc_u32_e32 v2, v2, v4
	s_delay_alu instid0(VALU_DEP_1) | instskip(SKIP_1) | instid1(VALU_DEP_1)
	v_mov_b32_dpp v4, v2 row_shr:4 row_mask:0xf bank_mask:0xf
	s_wait_alu 0xfffd
	v_cndmask_b32_e32 v3, 0, v4, vcc_lo
	s_delay_alu instid0(VALU_DEP_1)
	v_add_nc_u32_e32 v2, v2, v3
	ds_store_b32 v42, v2
.LBB1712_39:
	s_wait_alu 0xfffe
	s_or_b32 exec_lo, exec_lo, s6
	s_delay_alu instid0(SALU_CYCLE_1)
	s_mov_b32 s7, exec_lo
	v_cmp_gt_u32_e32 vcc_lo, 32, v0
	s_wait_loadcnt_dscnt 0x0
	s_barrier_signal -1
	s_barrier_wait -1
	global_inv scope:SCOPE_SE
                                        ; implicit-def: $vgpr9
	v_cmpx_lt_u32_e32 31, v0
	s_cbranch_execz .LBB1712_41
; %bb.40:
	v_lshl_add_u32 v2, v63, 2, -4
	ds_load_b32 v9, v2
	s_wait_dscnt 0x0
	v_add_nc_u32_e32 v1, v9, v1
.LBB1712_41:
	s_wait_alu 0xfffe
	s_or_b32 exec_lo, exec_lo, s7
	v_sub_co_u32 v2, s6, v62, 1
	s_delay_alu instid0(VALU_DEP_1) | instskip(SKIP_1) | instid1(VALU_DEP_1)
	v_cmp_gt_i32_e64 s7, 0, v2
	s_wait_alu 0xf1ff
	v_cndmask_b32_e64 v2, v2, v62, s7
	s_delay_alu instid0(VALU_DEP_1)
	v_lshlrev_b32_e32 v2, 2, v2
	ds_bpermute_b32 v10, v2, v1
	s_and_saveexec_b32 s7, vcc_lo
	s_cbranch_execz .LBB1712_60
; %bb.42:
	v_mov_b32_e32 v5, 0
	ds_load_b32 v1, v5 offset:28
	s_and_saveexec_b32 s17, s6
	s_cbranch_execz .LBB1712_44
; %bb.43:
	s_add_co_i32 s24, ttmp9, 32
	s_mov_b32 s25, 0
	v_mov_b32_e32 v2, 1
	s_lshl_b64 s[24:25], s[24:25], 3
	s_wait_kmcnt 0x0
	s_add_nc_u64 s[24:25], s[20:21], s[24:25]
	s_wait_dscnt 0x0
	global_store_b64 v5, v[1:2], s[24:25] scope:SCOPE_DEV
.LBB1712_44:
	s_or_b32 exec_lo, exec_lo, s17
	v_xad_u32 v3, v62, -1, ttmp9
	s_mov_b32 s24, 0
	s_mov_b32 s17, exec_lo
	s_delay_alu instid0(VALU_DEP_1) | instskip(NEXT) | instid1(VALU_DEP_1)
	v_add_nc_u32_e32 v4, 32, v3
	v_lshlrev_b64_e32 v[4:5], 3, v[4:5]
	s_wait_kmcnt 0x0
	s_delay_alu instid0(VALU_DEP_1) | instskip(SKIP_1) | instid1(VALU_DEP_2)
	v_add_co_u32 v7, vcc_lo, s20, v4
	s_wait_alu 0xfffd
	v_add_co_ci_u32_e64 v8, null, s21, v5, vcc_lo
	global_load_b64 v[5:6], v[7:8], off scope:SCOPE_DEV
	s_wait_loadcnt 0x0
	v_and_b32_e32 v2, 0xff, v6
	s_delay_alu instid0(VALU_DEP_1)
	v_cmpx_eq_u16_e32 0, v2
	s_cbranch_execz .LBB1712_47
.LBB1712_45:                            ; =>This Inner Loop Header: Depth=1
	global_load_b64 v[5:6], v[7:8], off scope:SCOPE_DEV
	s_wait_loadcnt 0x0
	v_and_b32_e32 v2, 0xff, v6
	s_delay_alu instid0(VALU_DEP_1) | instskip(SKIP_1) | instid1(SALU_CYCLE_1)
	v_cmp_ne_u16_e32 vcc_lo, 0, v2
	s_or_b32 s24, vcc_lo, s24
	s_and_not1_b32 exec_lo, exec_lo, s24
	s_cbranch_execnz .LBB1712_45
; %bb.46:
	s_or_b32 exec_lo, exec_lo, s24
.LBB1712_47:
	s_delay_alu instid0(SALU_CYCLE_1)
	s_or_b32 exec_lo, exec_lo, s17
	v_cmp_ne_u32_e32 vcc_lo, 31, v62
	v_lshlrev_b32_e64 v12, v62, -1
	v_add_nc_u32_e32 v14, 2, v62
	v_add_nc_u32_e32 v16, 4, v62
	v_add_nc_u32_e32 v65, 8, v62
	s_wait_alu 0xfffd
	v_add_co_ci_u32_e64 v2, null, 0, v62, vcc_lo
	v_lshl_or_b32 v66, v62, 2, 64
	v_add_nc_u32_e32 v67, 16, v62
	s_delay_alu instid0(VALU_DEP_3)
	v_lshlrev_b32_e32 v11, 2, v2
	v_and_b32_e32 v2, 0xff, v6
	ds_bpermute_b32 v4, v11, v5
	v_cmp_eq_u16_e32 vcc_lo, 2, v2
	s_wait_alu 0xfffd
	v_and_or_b32 v2, vcc_lo, v12, 0x80000000
	v_cmp_gt_u32_e32 vcc_lo, 30, v62
	s_delay_alu instid0(VALU_DEP_2) | instskip(SKIP_2) | instid1(VALU_DEP_2)
	v_ctz_i32_b32_e32 v2, v2
	s_wait_alu 0xfffd
	v_cndmask_b32_e64 v7, 0, 2, vcc_lo
	v_cmp_lt_u32_e32 vcc_lo, v62, v2
	s_delay_alu instid0(VALU_DEP_2) | instskip(SKIP_4) | instid1(VALU_DEP_2)
	v_add_lshl_u32 v13, v7, v62, 2
	s_wait_dscnt 0x0
	s_wait_alu 0xfffd
	v_cndmask_b32_e32 v4, 0, v4, vcc_lo
	v_cmp_gt_u32_e32 vcc_lo, 28, v62
	v_add_nc_u32_e32 v4, v4, v5
	s_wait_alu 0xfffd
	v_cndmask_b32_e64 v7, 0, 4, vcc_lo
	v_cmp_le_u32_e32 vcc_lo, v14, v2
	ds_bpermute_b32 v5, v13, v4
	v_add_lshl_u32 v15, v7, v62, 2
	s_wait_dscnt 0x0
	s_wait_alu 0xfffd
	v_cndmask_b32_e32 v5, 0, v5, vcc_lo
	v_cmp_gt_u32_e32 vcc_lo, 24, v62
	s_delay_alu instid0(VALU_DEP_2)
	v_add_nc_u32_e32 v4, v4, v5
	s_wait_alu 0xfffd
	v_cndmask_b32_e64 v7, 0, 8, vcc_lo
	v_cmp_le_u32_e32 vcc_lo, v16, v2
	ds_bpermute_b32 v5, v15, v4
	v_add_lshl_u32 v17, v7, v62, 2
	s_wait_dscnt 0x0
	s_wait_alu 0xfffd
	v_cndmask_b32_e32 v5, 0, v5, vcc_lo
	v_cmp_le_u32_e32 vcc_lo, v65, v2
	s_delay_alu instid0(VALU_DEP_2)
	v_add_nc_u32_e32 v4, v4, v5
	ds_bpermute_b32 v5, v17, v4
	s_wait_dscnt 0x0
	s_wait_alu 0xfffd
	v_cndmask_b32_e32 v5, 0, v5, vcc_lo
	v_cmp_le_u32_e32 vcc_lo, v67, v2
	s_delay_alu instid0(VALU_DEP_2) | instskip(SKIP_4) | instid1(VALU_DEP_1)
	v_add_nc_u32_e32 v4, v4, v5
	ds_bpermute_b32 v5, v66, v4
	s_wait_dscnt 0x0
	s_wait_alu 0xfffd
	v_cndmask_b32_e32 v2, 0, v5, vcc_lo
	v_dual_mov_b32 v4, 0 :: v_dual_add_nc_u32 v5, v4, v2
	s_branch .LBB1712_51
.LBB1712_48:                            ;   in Loop: Header=BB1712_51 Depth=1
	s_or_b32 exec_lo, exec_lo, s24
.LBB1712_49:                            ;   in Loop: Header=BB1712_51 Depth=1
	s_delay_alu instid0(SALU_CYCLE_1) | instskip(SKIP_4) | instid1(VALU_DEP_2)
	s_or_b32 exec_lo, exec_lo, s17
	ds_bpermute_b32 v8, v11, v5
	v_and_b32_e32 v7, 0xff, v6
	v_subrev_nc_u32_e32 v3, 32, v3
	s_mov_b32 s17, 0
	v_cmp_eq_u16_e32 vcc_lo, 2, v7
	s_wait_alu 0xfffd
	v_and_or_b32 v7, vcc_lo, v12, 0x80000000
	s_delay_alu instid0(VALU_DEP_1) | instskip(NEXT) | instid1(VALU_DEP_1)
	v_ctz_i32_b32_e32 v7, v7
	v_cmp_lt_u32_e32 vcc_lo, v62, v7
	s_wait_dscnt 0x0
	s_wait_alu 0xfffd
	v_cndmask_b32_e32 v8, 0, v8, vcc_lo
	v_cmp_le_u32_e32 vcc_lo, v14, v7
	s_delay_alu instid0(VALU_DEP_2)
	v_add_nc_u32_e32 v5, v8, v5
	ds_bpermute_b32 v8, v13, v5
	s_wait_dscnt 0x0
	s_wait_alu 0xfffd
	v_cndmask_b32_e32 v8, 0, v8, vcc_lo
	v_cmp_le_u32_e32 vcc_lo, v16, v7
	s_delay_alu instid0(VALU_DEP_2)
	v_add_nc_u32_e32 v5, v5, v8
	ds_bpermute_b32 v8, v15, v5
	;; [unrolled: 7-line block ×3, first 2 shown]
	s_wait_dscnt 0x0
	s_wait_alu 0xfffd
	v_cndmask_b32_e32 v8, 0, v8, vcc_lo
	v_cmp_le_u32_e32 vcc_lo, v67, v7
	s_delay_alu instid0(VALU_DEP_2) | instskip(SKIP_4) | instid1(VALU_DEP_1)
	v_add_nc_u32_e32 v5, v5, v8
	ds_bpermute_b32 v8, v66, v5
	s_wait_dscnt 0x0
	s_wait_alu 0xfffd
	v_cndmask_b32_e32 v7, 0, v8, vcc_lo
	v_add3_u32 v5, v7, v2, v5
.LBB1712_50:                            ;   in Loop: Header=BB1712_51 Depth=1
	s_and_b32 vcc_lo, exec_lo, s17
	s_wait_alu 0xfffe
	s_cbranch_vccnz .LBB1712_56
.LBB1712_51:                            ; =>This Loop Header: Depth=1
                                        ;     Child Loop BB1712_54 Depth 2
	v_and_b32_e32 v2, 0xff, v6
	s_mov_b32 s17, -1
                                        ; implicit-def: $vgpr6
	s_delay_alu instid0(VALU_DEP_1)
	v_cmp_ne_u16_e32 vcc_lo, 2, v2
	v_mov_b32_e32 v2, v5
                                        ; implicit-def: $vgpr5
	s_cmp_lg_u32 vcc_lo, exec_lo
	s_cbranch_scc1 .LBB1712_50
; %bb.52:                               ;   in Loop: Header=BB1712_51 Depth=1
	v_lshlrev_b64_e32 v[5:6], 3, v[3:4]
	s_mov_b32 s17, exec_lo
	s_delay_alu instid0(VALU_DEP_1) | instskip(SKIP_1) | instid1(VALU_DEP_2)
	v_add_co_u32 v7, vcc_lo, s20, v5
	s_wait_alu 0xfffd
	v_add_co_ci_u32_e64 v8, null, s21, v6, vcc_lo
	global_load_b64 v[5:6], v[7:8], off scope:SCOPE_DEV
	s_wait_loadcnt 0x0
	v_and_b32_e32 v68, 0xff, v6
	s_delay_alu instid0(VALU_DEP_1)
	v_cmpx_eq_u16_e32 0, v68
	s_cbranch_execz .LBB1712_49
; %bb.53:                               ;   in Loop: Header=BB1712_51 Depth=1
	s_mov_b32 s24, 0
.LBB1712_54:                            ;   Parent Loop BB1712_51 Depth=1
                                        ; =>  This Inner Loop Header: Depth=2
	global_load_b64 v[5:6], v[7:8], off scope:SCOPE_DEV
	s_wait_loadcnt 0x0
	v_and_b32_e32 v68, 0xff, v6
	s_delay_alu instid0(VALU_DEP_1) | instskip(SKIP_1) | instid1(SALU_CYCLE_1)
	v_cmp_ne_u16_e32 vcc_lo, 0, v68
	s_or_b32 s24, vcc_lo, s24
	s_and_not1_b32 exec_lo, exec_lo, s24
	s_cbranch_execnz .LBB1712_54
	s_branch .LBB1712_48
.LBB1712_55:
                                        ; implicit-def: $vgpr17
                                        ; implicit-def: $vgpr1_vgpr2_vgpr3_vgpr4_vgpr5_vgpr6_vgpr7_vgpr8_vgpr9_vgpr10_vgpr11_vgpr12_vgpr13_vgpr14_vgpr15_vgpr16
	s_wait_alu 0xfffe
	s_and_b32 vcc_lo, exec_lo, s6
	s_wait_alu 0xfffe
	s_cbranch_vccnz .LBB1712_61
	s_branch .LBB1712_70
.LBB1712_56:
	s_and_saveexec_b32 s17, s6
	s_cbranch_execz .LBB1712_58
; %bb.57:
	s_add_co_i32 s24, ttmp9, 32
	s_mov_b32 s25, 0
	v_dual_mov_b32 v4, 2 :: v_dual_add_nc_u32 v3, v2, v1
	v_mov_b32_e32 v5, 0
	s_lshl_b64 s[24:25], s[24:25], 3
	s_delay_alu instid0(SALU_CYCLE_1)
	s_add_nc_u64 s[24:25], s[20:21], s[24:25]
	global_store_b64 v5, v[3:4], s[24:25] scope:SCOPE_DEV
	ds_store_b64 v5, v[1:2] offset:13312
.LBB1712_58:
	s_or_b32 exec_lo, exec_lo, s17
	v_cmp_eq_u32_e32 vcc_lo, 0, v0
	s_and_b32 exec_lo, exec_lo, vcc_lo
; %bb.59:
	v_mov_b32_e32 v1, 0
	ds_store_b32 v1, v2 offset:28
.LBB1712_60:
	s_wait_alu 0xfffe
	s_or_b32 exec_lo, exec_lo, s7
	s_wait_dscnt 0x0
	v_cndmask_b32_e64 v2, v10, v9, s6
	v_cmp_ne_u32_e32 vcc_lo, 0, v0
	v_mov_b32_e32 v11, 0
	s_wait_loadcnt 0x0
	s_wait_storecnt 0x0
	s_barrier_signal -1
	s_barrier_wait -1
	global_inv scope:SCOPE_SE
	s_wait_alu 0xfffd
	v_cndmask_b32_e32 v2, 0, v2, vcc_lo
	ds_load_b32 v1, v11 offset:28
	s_wait_loadcnt_dscnt 0x0
	s_barrier_signal -1
	s_barrier_wait -1
	global_inv scope:SCOPE_SE
	ds_load_b64 v[16:17], v11 offset:13312
	v_add_nc_u32_e32 v1, v1, v2
	s_delay_alu instid0(VALU_DEP_1) | instskip(NEXT) | instid1(VALU_DEP_1)
	v_add_nc_u32_e32 v2, v1, v53
	v_add_nc_u32_e32 v3, v2, v54
	s_delay_alu instid0(VALU_DEP_1) | instskip(NEXT) | instid1(VALU_DEP_1)
	v_add_nc_u32_e32 v4, v3, v55
	;; [unrolled: 3-line block ×6, first 2 shown]
	v_add_nc_u32_e32 v13, v12, v48
	s_branch .LBB1712_70
.LBB1712_61:
	v_mov_b32_dpp v1, v64 row_shr:1 row_mask:0xf bank_mask:0xf
	s_delay_alu instid0(VALU_DEP_1) | instskip(NEXT) | instid1(VALU_DEP_1)
	v_cndmask_b32_e64 v1, v1, 0, s5
	v_add_nc_u32_e32 v1, v1, v64
	s_delay_alu instid0(VALU_DEP_1) | instskip(NEXT) | instid1(VALU_DEP_1)
	v_mov_b32_dpp v2, v1 row_shr:2 row_mask:0xf bank_mask:0xf
	v_cndmask_b32_e64 v2, 0, v2, s4
	s_delay_alu instid0(VALU_DEP_1) | instskip(NEXT) | instid1(VALU_DEP_1)
	v_add_nc_u32_e32 v1, v1, v2
	v_mov_b32_dpp v2, v1 row_shr:4 row_mask:0xf bank_mask:0xf
	s_delay_alu instid0(VALU_DEP_1) | instskip(NEXT) | instid1(VALU_DEP_1)
	v_cndmask_b32_e64 v2, 0, v2, s3
	v_add_nc_u32_e32 v1, v1, v2
	s_delay_alu instid0(VALU_DEP_1) | instskip(NEXT) | instid1(VALU_DEP_1)
	v_mov_b32_dpp v2, v1 row_shr:8 row_mask:0xf bank_mask:0xf
	v_cndmask_b32_e64 v2, 0, v2, s2
	s_delay_alu instid0(VALU_DEP_1) | instskip(SKIP_3) | instid1(VALU_DEP_1)
	v_add_nc_u32_e32 v1, v1, v2
	ds_swizzle_b32 v2, v1 offset:swizzle(BROADCAST,32,15)
	s_wait_dscnt 0x0
	v_cndmask_b32_e64 v2, v2, 0, s1
	v_add_nc_u32_e32 v1, v1, v2
	s_and_saveexec_b32 s1, s0
; %bb.62:
	v_lshlrev_b32_e32 v2, 2, v63
	ds_store_b32 v2, v1
; %bb.63:
	s_wait_alu 0xfffe
	s_or_b32 exec_lo, exec_lo, s1
	s_delay_alu instid0(SALU_CYCLE_1)
	s_mov_b32 s0, exec_lo
	s_wait_loadcnt_dscnt 0x0
	s_barrier_signal -1
	s_barrier_wait -1
	global_inv scope:SCOPE_SE
	v_cmpx_gt_u32_e32 8, v0
	s_cbranch_execz .LBB1712_65
; %bb.64:
	ds_load_b32 v2, v42
	s_wait_dscnt 0x0
	v_mov_b32_dpp v4, v2 row_shr:1 row_mask:0xf bank_mask:0xf
	v_and_b32_e32 v3, 7, v62
	s_delay_alu instid0(VALU_DEP_1) | instskip(SKIP_1) | instid1(VALU_DEP_3)
	v_cmp_ne_u32_e32 vcc_lo, 0, v3
	s_wait_alu 0xfffd
	v_cndmask_b32_e32 v4, 0, v4, vcc_lo
	v_cmp_lt_u32_e32 vcc_lo, 1, v3
	s_delay_alu instid0(VALU_DEP_2) | instskip(NEXT) | instid1(VALU_DEP_1)
	v_add_nc_u32_e32 v2, v4, v2
	v_mov_b32_dpp v4, v2 row_shr:2 row_mask:0xf bank_mask:0xf
	s_wait_alu 0xfffd
	s_delay_alu instid0(VALU_DEP_1) | instskip(SKIP_1) | instid1(VALU_DEP_2)
	v_cndmask_b32_e32 v4, 0, v4, vcc_lo
	v_cmp_lt_u32_e32 vcc_lo, 3, v3
	v_add_nc_u32_e32 v2, v2, v4
	s_delay_alu instid0(VALU_DEP_1) | instskip(SKIP_1) | instid1(VALU_DEP_1)
	v_mov_b32_dpp v4, v2 row_shr:4 row_mask:0xf bank_mask:0xf
	s_wait_alu 0xfffd
	v_cndmask_b32_e32 v3, 0, v4, vcc_lo
	s_delay_alu instid0(VALU_DEP_1)
	v_add_nc_u32_e32 v2, v2, v3
	ds_store_b32 v42, v2
.LBB1712_65:
	s_wait_alu 0xfffe
	s_or_b32 exec_lo, exec_lo, s0
	v_dual_mov_b32 v3, 0 :: v_dual_mov_b32 v2, 0
	s_mov_b32 s0, exec_lo
	s_wait_loadcnt_dscnt 0x0
	s_barrier_signal -1
	s_barrier_wait -1
	global_inv scope:SCOPE_SE
	v_cmpx_lt_u32_e32 31, v0
; %bb.66:
	v_lshl_add_u32 v2, v63, 2, -4
	ds_load_b32 v2, v2
; %bb.67:
	s_wait_alu 0xfffe
	s_or_b32 exec_lo, exec_lo, s0
	v_sub_co_u32 v4, vcc_lo, v62, 1
	s_wait_dscnt 0x0
	v_add_nc_u32_e32 v1, v2, v1
	ds_load_b32 v16, v3 offset:28
	v_cmp_gt_i32_e64 s0, 0, v4
	s_wait_alu 0xf1ff
	s_delay_alu instid0(VALU_DEP_1) | instskip(SKIP_1) | instid1(VALU_DEP_2)
	v_cndmask_b32_e64 v4, v4, v62, s0
	v_cmp_eq_u32_e64 s0, 0, v0
	v_lshlrev_b32_e32 v4, 2, v4
	ds_bpermute_b32 v1, v4, v1
	s_and_saveexec_b32 s1, s0
	s_cbranch_execz .LBB1712_69
; %bb.68:
	v_mov_b32_e32 v3, 0
	v_mov_b32_e32 v17, 2
	s_wait_dscnt 0x1
	s_wait_kmcnt 0x0
	global_store_b64 v3, v[16:17], s[20:21] offset:256 scope:SCOPE_DEV
.LBB1712_69:
	s_wait_alu 0xfffe
	s_or_b32 exec_lo, exec_lo, s1
	s_wait_dscnt 0x0
	s_wait_alu 0xfffd
	v_cndmask_b32_e32 v1, v1, v2, vcc_lo
	s_wait_loadcnt 0x0
	s_wait_storecnt 0x0
	s_barrier_signal -1
	s_barrier_wait -1
	global_inv scope:SCOPE_SE
	v_cndmask_b32_e64 v1, v1, 0, s0
	s_delay_alu instid0(VALU_DEP_1) | instskip(NEXT) | instid1(VALU_DEP_1)
	v_dual_mov_b32 v17, 0 :: v_dual_add_nc_u32 v2, v1, v53
	v_add_nc_u32_e32 v3, v2, v54
	s_delay_alu instid0(VALU_DEP_1) | instskip(NEXT) | instid1(VALU_DEP_1)
	v_add_nc_u32_e32 v4, v3, v55
	v_add_nc_u32_e32 v5, v4, v52
	s_delay_alu instid0(VALU_DEP_1) | instskip(NEXT) | instid1(VALU_DEP_1)
	v_add_nc_u32_e32 v6, v5, v56
	;; [unrolled: 3-line block ×5, first 2 shown]
	v_add_nc_u32_e32 v13, v12, v48
.LBB1712_70:
	v_lshrrev_b32_e32 v56, 8, v51
	v_lshrrev_b32_e32 v55, 16, v51
	s_wait_dscnt 0x0
	v_sub_nc_u32_e32 v1, v1, v17
	v_and_b32_e32 v51, 1, v51
	v_sub_nc_u32_e32 v3, v3, v17
	v_add_nc_u32_e32 v45, v16, v45
	v_sub_nc_u32_e32 v2, v2, v17
	v_sub_nc_u32_e32 v4, v4, v17
	v_cmp_eq_u32_e32 vcc_lo, 1, v51
	v_and_b32_e32 v51, 1, v55
	v_sub_nc_u32_e32 v57, v45, v1
	v_and_b32_e32 v56, 1, v56
	v_sub_nc_u32_e32 v55, v45, v2
	v_lshrrev_b32_e32 v54, 8, v49
	v_lshrrev_b32_e32 v53, 16, v49
	s_wait_alu 0xfffd
	v_cndmask_b32_e32 v1, v57, v1, vcc_lo
	v_sub_nc_u32_e32 v57, v45, v3
	v_add_nc_u32_e32 v55, 1, v55
	v_cmp_eq_u32_e32 vcc_lo, 1, v56
	v_and_b32_e32 v52, 1, v52
	v_lshlrev_b32_e32 v1, 2, v1
	v_add_nc_u32_e32 v57, 2, v57
	v_lshrrev_b32_e32 v15, 8, v47
	v_lshrrev_b32_e32 v14, 16, v47
	ds_store_b32 v1, v28
	s_wait_alu 0xfffd
	v_cndmask_b32_e32 v1, v55, v2, vcc_lo
	v_cmp_eq_u32_e32 vcc_lo, 1, v51
	s_wait_alu 0xfffd
	s_delay_alu instid0(VALU_DEP_2)
	v_dual_cndmask_b32 v2, v57, v3 :: v_dual_lshlrev_b32 v1, 2, v1
	v_sub_nc_u32_e32 v58, v45, v4
	v_cmp_eq_u32_e32 vcc_lo, 1, v52
	ds_store_b32 v1, v29
	v_lshlrev_b32_e32 v2, 2, v2
	v_add_nc_u32_e32 v58, 3, v58
	s_wait_alu 0xfffd
	s_delay_alu instid0(VALU_DEP_1) | instskip(SKIP_2) | instid1(VALU_DEP_3)
	v_cndmask_b32_e32 v3, v58, v4, vcc_lo
	v_sub_nc_u32_e32 v4, v5, v17
	v_sub_nc_u32_e32 v5, v6, v17
	v_lshlrev_b32_e32 v3, 2, v3
	s_delay_alu instid0(VALU_DEP_3) | instskip(NEXT) | instid1(VALU_DEP_3)
	v_sub_nc_u32_e32 v1, v45, v4
	v_sub_nc_u32_e32 v6, v45, v5
	ds_store_b32 v2, v26
	ds_store_b32 v3, v27
	v_and_b32_e32 v2, 1, v49
	v_add_nc_u32_e32 v1, 4, v1
	v_add_nc_u32_e32 v3, 5, v6
	v_sub_nc_u32_e32 v6, v7, v17
	v_and_b32_e32 v7, 1, v54
	v_cmp_eq_u32_e32 vcc_lo, 1, v2
	v_sub_nc_u32_e32 v2, v8, v17
	s_wait_alu 0xfffd
	v_dual_cndmask_b32 v1, v1, v4 :: v_dual_and_b32 v8, 1, v50
	v_sub_nc_u32_e32 v4, v45, v6
	v_cmp_eq_u32_e32 vcc_lo, 1, v7
	v_and_b32_e32 v7, 1, v53
	s_delay_alu instid0(VALU_DEP_4)
	v_lshlrev_b32_e32 v1, 2, v1
	s_wait_alu 0xfffd
	v_dual_cndmask_b32 v3, v3, v5 :: v_dual_add_nc_u32 v4, 6, v4
	v_sub_nc_u32_e32 v5, v45, v2
	v_cmp_eq_u32_e32 vcc_lo, 1, v7
	v_sub_nc_u32_e32 v7, v13, v17
	s_delay_alu instid0(VALU_DEP_4)
	v_lshlrev_b32_e32 v3, 2, v3
	s_wait_alu 0xfffd
	v_dual_cndmask_b32 v4, v4, v6 :: v_dual_add_nc_u32 v5, 7, v5
	v_cmp_eq_u32_e32 vcc_lo, 1, v8
	v_sub_nc_u32_e32 v6, v9, v17
	ds_store_b32 v1, v24
	ds_store_b32 v3, v25
	s_wait_alu 0xfffd
	v_dual_cndmask_b32 v2, v5, v2 :: v_dual_lshlrev_b32 v3, 2, v4
	v_and_b32_e32 v5, 1, v47
	v_sub_nc_u32_e32 v1, v45, v6
	v_sub_nc_u32_e32 v4, v10, v17
	v_and_b32_e32 v10, 1, v48
	s_delay_alu instid0(VALU_DEP_4) | instskip(SKIP_2) | instid1(VALU_DEP_2)
	v_cmp_eq_u32_e32 vcc_lo, 1, v5
	v_sub_nc_u32_e32 v5, v12, v17
	v_add_nc_u32_e32 v1, 8, v1
	v_sub_nc_u32_e32 v9, v45, v5
	s_wait_alu 0xfffd
	s_delay_alu instid0(VALU_DEP_2)
	v_dual_cndmask_b32 v1, v1, v6 :: v_dual_and_b32 v6, 1, v15
	s_wait_kmcnt 0x0
	v_add_co_u32 v15, s0, s18, v17
	v_add_nc_u32_e32 v9, 11, v9
	v_lshlrev_b32_e32 v2, 2, v2
	ds_store_b32 v3, v22
	ds_store_b32 v2, v23
	v_sub_nc_u32_e32 v3, v11, v17
	v_sub_nc_u32_e32 v2, v45, v4
	v_cmp_eq_u32_e32 vcc_lo, 1, v6
	v_and_b32_e32 v11, 1, v46
	v_lshlrev_b32_e32 v1, 2, v1
	v_sub_nc_u32_e32 v8, v45, v3
	v_add_nc_u32_e32 v2, 9, v2
	s_wait_alu 0xf1ff
	v_add_co_ci_u32_e64 v17, null, s19, 0, s0
	s_delay_alu instid0(VALU_DEP_3) | instskip(SKIP_4) | instid1(VALU_DEP_3)
	v_add_nc_u32_e32 v6, 10, v8
	v_and_b32_e32 v8, 1, v14
	s_wait_alu 0xfffd
	v_cndmask_b32_e32 v2, v2, v4, vcc_lo
	v_sub_nc_u32_e32 v4, v45, v7
	v_cmp_eq_u32_e32 vcc_lo, 1, v8
	s_delay_alu instid0(VALU_DEP_3) | instskip(SKIP_1) | instid1(VALU_DEP_3)
	v_lshlrev_b32_e32 v2, 2, v2
	s_wait_alu 0xfffd
	v_dual_cndmask_b32 v3, v6, v3 :: v_dual_add_nc_u32 v4, 12, v4
	v_cmp_eq_u32_e32 vcc_lo, 1, v10
	s_delay_alu instid0(VALU_DEP_2) | instskip(SKIP_4) | instid1(VALU_DEP_2)
	v_lshlrev_b32_e32 v3, 2, v3
	s_wait_alu 0xfffd
	v_cndmask_b32_e32 v5, v9, v5, vcc_lo
	v_cmp_eq_u32_e32 vcc_lo, 1, v11
	s_wait_alu 0xfffd
	v_dual_cndmask_b32 v4, v4, v7 :: v_dual_lshlrev_b32 v5, 2, v5
	v_cmp_ne_u32_e32 vcc_lo, 1, v43
	s_delay_alu instid0(VALU_DEP_2)
	v_lshlrev_b32_e32 v4, 2, v4
	ds_store_b32 v1, v20
	ds_store_b32 v2, v21
	;; [unrolled: 1-line block ×5, first 2 shown]
	s_wait_loadcnt_dscnt 0x0
	s_barrier_signal -1
	s_barrier_wait -1
	global_inv scope:SCOPE_SE
	ds_load_2addr_stride64_b32 v[11:12], v42 offset1:4
	ds_load_2addr_stride64_b32 v[9:10], v42 offset0:8 offset1:12
	ds_load_2addr_stride64_b32 v[7:8], v42 offset0:16 offset1:20
	;; [unrolled: 1-line block ×5, first 2 shown]
	ds_load_b32 v18, v42 offset:12288
	s_cbranch_vccnz .LBB1712_124
; %bb.71:
	s_mov_b32 s17, 0
	v_sub_co_u32 v13, vcc_lo, v15, s12
	s_sub_nc_u64 s[0:1], s[14:15], s[16:17]
	s_wait_alu 0xfffd
	v_subrev_co_ci_u32_e64 v14, null, s13, v17, vcc_lo
	s_wait_alu 0xfffe
	v_add_co_u32 v19, s0, s0, v16
	s_wait_alu 0xf1ff
	v_add_co_ci_u32_e64 v20, null, s1, 0, s0
	s_mov_b32 s0, exec_lo
	v_add_co_u32 v19, vcc_lo, v19, v13
	s_wait_alu 0xfffd
	v_add_co_ci_u32_e64 v20, null, v20, v14, vcc_lo
                                        ; implicit-def: $vgpr13_vgpr14
	v_cmpx_ge_u32_e64 v0, v16
	s_wait_alu 0xfffe
	s_xor_b32 s0, exec_lo, s0
; %bb.72:
	v_not_b32_e32 v13, v0
	s_delay_alu instid0(VALU_DEP_1) | instskip(SKIP_2) | instid1(VALU_DEP_2)
	v_ashrrev_i32_e32 v14, 31, v13
	v_add_co_u32 v13, vcc_lo, v19, v13
	s_wait_alu 0xfffd
	v_add_co_ci_u32_e64 v14, null, v20, v14, vcc_lo
; %bb.73:
	s_wait_alu 0xfffe
	s_and_not1_saveexec_b32 s0, s0
; %bb.74:
	v_add_co_u32 v13, vcc_lo, v15, v0
	s_wait_alu 0xfffd
	v_add_co_ci_u32_e64 v14, null, 0, v17, vcc_lo
; %bb.75:
	s_wait_alu 0xfffe
	s_or_b32 exec_lo, exec_lo, s0
	s_delay_alu instid0(VALU_DEP_1) | instskip(SKIP_1) | instid1(VALU_DEP_1)
	v_lshlrev_b64_e32 v[13:14], 2, v[13:14]
	s_mov_b32 s0, exec_lo
	v_add_co_u32 v13, vcc_lo, s10, v13
	s_wait_alu 0xfffd
	s_delay_alu instid0(VALU_DEP_2)
	v_add_co_ci_u32_e64 v14, null, s11, v14, vcc_lo
	s_wait_dscnt 0x6
	global_store_b32 v[13:14], v11, off
                                        ; implicit-def: $vgpr13_vgpr14
	v_cmpx_ge_u32_e64 v41, v16
	s_wait_alu 0xfffe
	s_xor_b32 s0, exec_lo, s0
; %bb.76:
	v_xor_b32_e32 v13, 0xfffffeff, v0
	s_delay_alu instid0(VALU_DEP_1) | instskip(SKIP_2) | instid1(VALU_DEP_2)
	v_ashrrev_i32_e32 v14, 31, v13
	v_add_co_u32 v13, vcc_lo, v19, v13
	s_wait_alu 0xfffd
	v_add_co_ci_u32_e64 v14, null, v20, v14, vcc_lo
; %bb.77:
	s_wait_alu 0xfffe
	s_and_not1_saveexec_b32 s0, s0
; %bb.78:
	v_add_co_u32 v13, vcc_lo, v15, v41
	s_wait_alu 0xfffd
	v_add_co_ci_u32_e64 v14, null, 0, v17, vcc_lo
; %bb.79:
	s_wait_alu 0xfffe
	s_or_b32 exec_lo, exec_lo, s0
	s_delay_alu instid0(VALU_DEP_1) | instskip(SKIP_1) | instid1(VALU_DEP_1)
	v_lshlrev_b64_e32 v[13:14], 2, v[13:14]
	s_mov_b32 s0, exec_lo
	v_add_co_u32 v13, vcc_lo, s10, v13
	s_wait_alu 0xfffd
	s_delay_alu instid0(VALU_DEP_2)
	v_add_co_ci_u32_e64 v14, null, s11, v14, vcc_lo
	global_store_b32 v[13:14], v12, off
                                        ; implicit-def: $vgpr13_vgpr14
	v_cmpx_ge_u32_e64 v40, v16
	s_wait_alu 0xfffe
	s_xor_b32 s0, exec_lo, s0
; %bb.80:
	v_xor_b32_e32 v13, 0xfffffdff, v0
	s_delay_alu instid0(VALU_DEP_1) | instskip(SKIP_2) | instid1(VALU_DEP_2)
	v_ashrrev_i32_e32 v14, 31, v13
	v_add_co_u32 v13, vcc_lo, v19, v13
	s_wait_alu 0xfffd
	v_add_co_ci_u32_e64 v14, null, v20, v14, vcc_lo
; %bb.81:
	s_wait_alu 0xfffe
	s_and_not1_saveexec_b32 s0, s0
; %bb.82:
	v_add_co_u32 v13, vcc_lo, v15, v40
	s_wait_alu 0xfffd
	v_add_co_ci_u32_e64 v14, null, 0, v17, vcc_lo
; %bb.83:
	s_wait_alu 0xfffe
	s_or_b32 exec_lo, exec_lo, s0
	s_delay_alu instid0(VALU_DEP_1) | instskip(SKIP_1) | instid1(VALU_DEP_1)
	v_lshlrev_b64_e32 v[13:14], 2, v[13:14]
	s_mov_b32 s0, exec_lo
	v_add_co_u32 v13, vcc_lo, s10, v13
	s_wait_alu 0xfffd
	s_delay_alu instid0(VALU_DEP_2)
	v_add_co_ci_u32_e64 v14, null, s11, v14, vcc_lo
	s_wait_dscnt 0x5
	global_store_b32 v[13:14], v9, off
                                        ; implicit-def: $vgpr13_vgpr14
	v_cmpx_ge_u32_e64 v39, v16
	s_wait_alu 0xfffe
	s_xor_b32 s0, exec_lo, s0
; %bb.84:
	v_xor_b32_e32 v13, 0xfffffcff, v0
	s_delay_alu instid0(VALU_DEP_1) | instskip(SKIP_2) | instid1(VALU_DEP_2)
	v_ashrrev_i32_e32 v14, 31, v13
	v_add_co_u32 v13, vcc_lo, v19, v13
	s_wait_alu 0xfffd
	v_add_co_ci_u32_e64 v14, null, v20, v14, vcc_lo
; %bb.85:
	s_wait_alu 0xfffe
	s_and_not1_saveexec_b32 s0, s0
; %bb.86:
	v_add_co_u32 v13, vcc_lo, v15, v39
	s_wait_alu 0xfffd
	v_add_co_ci_u32_e64 v14, null, 0, v17, vcc_lo
; %bb.87:
	s_wait_alu 0xfffe
	s_or_b32 exec_lo, exec_lo, s0
	s_delay_alu instid0(VALU_DEP_1) | instskip(SKIP_1) | instid1(VALU_DEP_1)
	v_lshlrev_b64_e32 v[13:14], 2, v[13:14]
	s_mov_b32 s0, exec_lo
	v_add_co_u32 v13, vcc_lo, s10, v13
	s_wait_alu 0xfffd
	s_delay_alu instid0(VALU_DEP_2)
	v_add_co_ci_u32_e64 v14, null, s11, v14, vcc_lo
	global_store_b32 v[13:14], v10, off
                                        ; implicit-def: $vgpr13_vgpr14
	v_cmpx_ge_u32_e64 v38, v16
	s_wait_alu 0xfffe
	s_xor_b32 s0, exec_lo, s0
; %bb.88:
	v_xor_b32_e32 v13, 0xfffffbff, v0
	;; [unrolled: 59-line block ×6, first 2 shown]
	s_delay_alu instid0(VALU_DEP_1) | instskip(SKIP_2) | instid1(VALU_DEP_2)
	v_ashrrev_i32_e32 v14, 31, v13
	v_add_co_u32 v13, vcc_lo, v19, v13
	s_wait_alu 0xfffd
	v_add_co_ci_u32_e64 v14, null, v20, v14, vcc_lo
; %bb.121:
	s_wait_alu 0xfffe
	s_and_not1_saveexec_b32 s0, s0
; %bb.122:
	v_add_co_u32 v13, vcc_lo, v15, v30
	s_wait_alu 0xfffd
	v_add_co_ci_u32_e64 v14, null, 0, v17, vcc_lo
; %bb.123:
	s_wait_alu 0xfffe
	s_or_b32 exec_lo, exec_lo, s0
	s_mov_b32 s0, -1
	s_branch .LBB1712_204
.LBB1712_124:
	s_mov_b32 s0, 0
                                        ; implicit-def: $vgpr13_vgpr14
	s_cbranch_execz .LBB1712_204
; %bb.125:
	s_mov_b32 s17, 0
	s_delay_alu instid0(SALU_CYCLE_1)
	s_add_nc_u64 s[2:3], s[12:13], s[16:17]
	s_wait_alu 0xfffe
	s_sub_nc_u64 s[2:3], s[14:15], s[2:3]
	s_wait_alu 0xfffe
	v_add_co_u32 v13, s1, s2, v16
	s_wait_alu 0xf1ff
	v_add_co_ci_u32_e64 v14, null, s3, 0, s1
	s_mov_b32 s1, exec_lo
	v_add_co_u32 v19, vcc_lo, v13, v15
	s_wait_alu 0xfffd
	v_add_co_ci_u32_e64 v20, null, v14, v17, vcc_lo
	v_cmpx_gt_u32_e64 s23, v0
	s_cbranch_execz .LBB1712_161
; %bb.126:
	s_mov_b32 s2, exec_lo
                                        ; implicit-def: $vgpr13_vgpr14
	v_cmpx_ge_u32_e64 v0, v16
	s_wait_alu 0xfffe
	s_xor_b32 s2, exec_lo, s2
; %bb.127:
	v_not_b32_e32 v13, v0
	s_delay_alu instid0(VALU_DEP_1) | instskip(SKIP_2) | instid1(VALU_DEP_2)
	v_ashrrev_i32_e32 v14, 31, v13
	v_add_co_u32 v13, vcc_lo, v19, v13
	s_wait_alu 0xfffd
	v_add_co_ci_u32_e64 v14, null, v20, v14, vcc_lo
; %bb.128:
	s_wait_alu 0xfffe
	s_and_not1_saveexec_b32 s2, s2
; %bb.129:
	v_add_co_u32 v13, vcc_lo, v15, v0
	s_wait_alu 0xfffd
	v_add_co_ci_u32_e64 v14, null, 0, v17, vcc_lo
; %bb.130:
	s_wait_alu 0xfffe
	s_or_b32 exec_lo, exec_lo, s2
	s_delay_alu instid0(VALU_DEP_1) | instskip(NEXT) | instid1(VALU_DEP_1)
	v_lshlrev_b64_e32 v[13:14], 2, v[13:14]
	v_add_co_u32 v13, vcc_lo, s10, v13
	s_wait_alu 0xfffd
	s_delay_alu instid0(VALU_DEP_2) | instskip(SKIP_3) | instid1(SALU_CYCLE_1)
	v_add_co_ci_u32_e64 v14, null, s11, v14, vcc_lo
	s_wait_dscnt 0x6
	global_store_b32 v[13:14], v11, off
	s_or_b32 exec_lo, exec_lo, s1
	s_mov_b32 s1, exec_lo
	v_cmpx_gt_u32_e64 s23, v41
	s_cbranch_execnz .LBB1712_162
.LBB1712_131:
	s_wait_alu 0xfffe
	s_or_b32 exec_lo, exec_lo, s1
	s_delay_alu instid0(SALU_CYCLE_1)
	s_mov_b32 s1, exec_lo
	v_cmpx_gt_u32_e64 s23, v40
	s_cbranch_execz .LBB1712_167
.LBB1712_132:
	s_mov_b32 s2, exec_lo
                                        ; implicit-def: $vgpr11_vgpr12
	v_cmpx_ge_u32_e64 v40, v16
	s_wait_alu 0xfffe
	s_xor_b32 s2, exec_lo, s2
	s_cbranch_execz .LBB1712_134
; %bb.133:
	s_wait_dscnt 0x6
	v_xor_b32_e32 v11, 0xfffffdff, v0
                                        ; implicit-def: $vgpr40
	s_delay_alu instid0(VALU_DEP_1) | instskip(SKIP_2) | instid1(VALU_DEP_2)
	v_ashrrev_i32_e32 v12, 31, v11
	v_add_co_u32 v11, vcc_lo, v19, v11
	s_wait_alu 0xfffd
	v_add_co_ci_u32_e64 v12, null, v20, v12, vcc_lo
.LBB1712_134:
	s_wait_alu 0xfffe
	s_and_not1_saveexec_b32 s2, s2
	s_cbranch_execz .LBB1712_136
; %bb.135:
	s_wait_dscnt 0x6
	v_add_co_u32 v11, vcc_lo, v15, v40
	s_wait_alu 0xfffd
	v_add_co_ci_u32_e64 v12, null, 0, v17, vcc_lo
.LBB1712_136:
	s_wait_alu 0xfffe
	s_or_b32 exec_lo, exec_lo, s2
	s_wait_dscnt 0x6
	s_delay_alu instid0(VALU_DEP_1) | instskip(NEXT) | instid1(VALU_DEP_1)
	v_lshlrev_b64_e32 v[11:12], 2, v[11:12]
	v_add_co_u32 v11, vcc_lo, s10, v11
	s_wait_alu 0xfffd
	s_delay_alu instid0(VALU_DEP_2) | instskip(SKIP_3) | instid1(SALU_CYCLE_1)
	v_add_co_ci_u32_e64 v12, null, s11, v12, vcc_lo
	s_wait_dscnt 0x5
	global_store_b32 v[11:12], v9, off
	s_or_b32 exec_lo, exec_lo, s1
	s_mov_b32 s1, exec_lo
	v_cmpx_gt_u32_e64 s23, v39
	s_cbranch_execnz .LBB1712_168
.LBB1712_137:
	s_wait_alu 0xfffe
	s_or_b32 exec_lo, exec_lo, s1
	s_delay_alu instid0(SALU_CYCLE_1)
	s_mov_b32 s1, exec_lo
	v_cmpx_gt_u32_e64 s23, v38
	s_cbranch_execz .LBB1712_173
.LBB1712_138:
	s_mov_b32 s2, exec_lo
                                        ; implicit-def: $vgpr9_vgpr10
	v_cmpx_ge_u32_e64 v38, v16
	s_wait_alu 0xfffe
	s_xor_b32 s2, exec_lo, s2
	s_cbranch_execz .LBB1712_140
; %bb.139:
	s_wait_dscnt 0x5
	v_xor_b32_e32 v9, 0xfffffbff, v0
                                        ; implicit-def: $vgpr38
	s_delay_alu instid0(VALU_DEP_1) | instskip(SKIP_2) | instid1(VALU_DEP_2)
	v_ashrrev_i32_e32 v10, 31, v9
	v_add_co_u32 v9, vcc_lo, v19, v9
	s_wait_alu 0xfffd
	v_add_co_ci_u32_e64 v10, null, v20, v10, vcc_lo
.LBB1712_140:
	s_wait_alu 0xfffe
	s_and_not1_saveexec_b32 s2, s2
	s_cbranch_execz .LBB1712_142
; %bb.141:
	s_wait_dscnt 0x5
	v_add_co_u32 v9, vcc_lo, v15, v38
	s_wait_alu 0xfffd
	v_add_co_ci_u32_e64 v10, null, 0, v17, vcc_lo
.LBB1712_142:
	s_wait_alu 0xfffe
	s_or_b32 exec_lo, exec_lo, s2
	s_wait_dscnt 0x5
	s_delay_alu instid0(VALU_DEP_1) | instskip(NEXT) | instid1(VALU_DEP_1)
	v_lshlrev_b64_e32 v[9:10], 2, v[9:10]
	v_add_co_u32 v9, vcc_lo, s10, v9
	s_wait_alu 0xfffd
	s_delay_alu instid0(VALU_DEP_2) | instskip(SKIP_3) | instid1(SALU_CYCLE_1)
	v_add_co_ci_u32_e64 v10, null, s11, v10, vcc_lo
	s_wait_dscnt 0x4
	global_store_b32 v[9:10], v7, off
	s_or_b32 exec_lo, exec_lo, s1
	s_mov_b32 s1, exec_lo
	v_cmpx_gt_u32_e64 s23, v37
	s_cbranch_execnz .LBB1712_174
.LBB1712_143:
	s_wait_alu 0xfffe
	s_or_b32 exec_lo, exec_lo, s1
	s_delay_alu instid0(SALU_CYCLE_1)
	s_mov_b32 s1, exec_lo
	v_cmpx_gt_u32_e64 s23, v36
	s_cbranch_execz .LBB1712_179
.LBB1712_144:
	s_mov_b32 s2, exec_lo
                                        ; implicit-def: $vgpr7_vgpr8
	v_cmpx_ge_u32_e64 v36, v16
	s_wait_alu 0xfffe
	s_xor_b32 s2, exec_lo, s2
	s_cbranch_execz .LBB1712_146
; %bb.145:
	s_wait_dscnt 0x4
	v_xor_b32_e32 v7, 0xfffff9ff, v0
                                        ; implicit-def: $vgpr36
	s_delay_alu instid0(VALU_DEP_1) | instskip(SKIP_2) | instid1(VALU_DEP_2)
	v_ashrrev_i32_e32 v8, 31, v7
	v_add_co_u32 v7, vcc_lo, v19, v7
	s_wait_alu 0xfffd
	v_add_co_ci_u32_e64 v8, null, v20, v8, vcc_lo
.LBB1712_146:
	s_wait_alu 0xfffe
	s_and_not1_saveexec_b32 s2, s2
	s_cbranch_execz .LBB1712_148
; %bb.147:
	s_wait_dscnt 0x4
	v_add_co_u32 v7, vcc_lo, v15, v36
	s_wait_alu 0xfffd
	v_add_co_ci_u32_e64 v8, null, 0, v17, vcc_lo
.LBB1712_148:
	s_wait_alu 0xfffe
	s_or_b32 exec_lo, exec_lo, s2
	s_wait_dscnt 0x4
	s_delay_alu instid0(VALU_DEP_1) | instskip(NEXT) | instid1(VALU_DEP_1)
	v_lshlrev_b64_e32 v[7:8], 2, v[7:8]
	v_add_co_u32 v7, vcc_lo, s10, v7
	s_wait_alu 0xfffd
	s_delay_alu instid0(VALU_DEP_2) | instskip(SKIP_3) | instid1(SALU_CYCLE_1)
	v_add_co_ci_u32_e64 v8, null, s11, v8, vcc_lo
	s_wait_dscnt 0x3
	global_store_b32 v[7:8], v5, off
	s_or_b32 exec_lo, exec_lo, s1
	s_mov_b32 s1, exec_lo
	v_cmpx_gt_u32_e64 s23, v35
	s_cbranch_execnz .LBB1712_180
.LBB1712_149:
	s_wait_alu 0xfffe
	s_or_b32 exec_lo, exec_lo, s1
	s_delay_alu instid0(SALU_CYCLE_1)
	s_mov_b32 s1, exec_lo
	v_cmpx_gt_u32_e64 s23, v34
	s_cbranch_execz .LBB1712_185
.LBB1712_150:
	s_mov_b32 s2, exec_lo
                                        ; implicit-def: $vgpr5_vgpr6
	v_cmpx_ge_u32_e64 v34, v16
	s_wait_alu 0xfffe
	s_xor_b32 s2, exec_lo, s2
	s_cbranch_execz .LBB1712_152
; %bb.151:
	s_wait_dscnt 0x3
	v_xor_b32_e32 v5, 0xfffff7ff, v0
                                        ; implicit-def: $vgpr34
	s_delay_alu instid0(VALU_DEP_1) | instskip(SKIP_2) | instid1(VALU_DEP_2)
	v_ashrrev_i32_e32 v6, 31, v5
	v_add_co_u32 v5, vcc_lo, v19, v5
	s_wait_alu 0xfffd
	v_add_co_ci_u32_e64 v6, null, v20, v6, vcc_lo
.LBB1712_152:
	s_wait_alu 0xfffe
	s_and_not1_saveexec_b32 s2, s2
	s_cbranch_execz .LBB1712_154
; %bb.153:
	s_wait_dscnt 0x3
	v_add_co_u32 v5, vcc_lo, v15, v34
	s_wait_alu 0xfffd
	v_add_co_ci_u32_e64 v6, null, 0, v17, vcc_lo
.LBB1712_154:
	s_wait_alu 0xfffe
	s_or_b32 exec_lo, exec_lo, s2
	s_wait_dscnt 0x3
	s_delay_alu instid0(VALU_DEP_1) | instskip(NEXT) | instid1(VALU_DEP_1)
	v_lshlrev_b64_e32 v[5:6], 2, v[5:6]
	v_add_co_u32 v5, vcc_lo, s10, v5
	s_wait_alu 0xfffd
	s_delay_alu instid0(VALU_DEP_2) | instskip(SKIP_3) | instid1(SALU_CYCLE_1)
	v_add_co_ci_u32_e64 v6, null, s11, v6, vcc_lo
	s_wait_dscnt 0x2
	global_store_b32 v[5:6], v3, off
	s_or_b32 exec_lo, exec_lo, s1
	s_mov_b32 s1, exec_lo
	v_cmpx_gt_u32_e64 s23, v33
	s_cbranch_execnz .LBB1712_186
.LBB1712_155:
	s_wait_alu 0xfffe
	s_or_b32 exec_lo, exec_lo, s1
	s_delay_alu instid0(SALU_CYCLE_1)
	s_mov_b32 s1, exec_lo
	v_cmpx_gt_u32_e64 s23, v32
	s_cbranch_execz .LBB1712_191
.LBB1712_156:
	s_mov_b32 s2, exec_lo
                                        ; implicit-def: $vgpr3_vgpr4
	v_cmpx_ge_u32_e64 v32, v16
	s_wait_alu 0xfffe
	s_xor_b32 s2, exec_lo, s2
	s_cbranch_execz .LBB1712_158
; %bb.157:
	s_wait_dscnt 0x2
	v_xor_b32_e32 v3, 0xfffff5ff, v0
                                        ; implicit-def: $vgpr32
	s_delay_alu instid0(VALU_DEP_1) | instskip(SKIP_2) | instid1(VALU_DEP_2)
	v_ashrrev_i32_e32 v4, 31, v3
	v_add_co_u32 v3, vcc_lo, v19, v3
	s_wait_alu 0xfffd
	v_add_co_ci_u32_e64 v4, null, v20, v4, vcc_lo
.LBB1712_158:
	s_wait_alu 0xfffe
	s_and_not1_saveexec_b32 s2, s2
	s_cbranch_execz .LBB1712_160
; %bb.159:
	s_wait_dscnt 0x2
	v_add_co_u32 v3, vcc_lo, v15, v32
	s_wait_alu 0xfffd
	v_add_co_ci_u32_e64 v4, null, 0, v17, vcc_lo
.LBB1712_160:
	s_wait_alu 0xfffe
	s_or_b32 exec_lo, exec_lo, s2
	s_wait_dscnt 0x2
	s_delay_alu instid0(VALU_DEP_1) | instskip(NEXT) | instid1(VALU_DEP_1)
	v_lshlrev_b64_e32 v[3:4], 2, v[3:4]
	v_add_co_u32 v3, vcc_lo, s10, v3
	s_wait_alu 0xfffd
	s_delay_alu instid0(VALU_DEP_2) | instskip(SKIP_3) | instid1(SALU_CYCLE_1)
	v_add_co_ci_u32_e64 v4, null, s11, v4, vcc_lo
	s_wait_dscnt 0x1
	global_store_b32 v[3:4], v1, off
	s_or_b32 exec_lo, exec_lo, s1
	s_mov_b32 s1, exec_lo
	v_cmpx_gt_u32_e64 s23, v31
	s_cbranch_execz .LBB1712_197
	s_branch .LBB1712_192
.LBB1712_161:
	s_wait_alu 0xfffe
	s_or_b32 exec_lo, exec_lo, s1
	s_delay_alu instid0(SALU_CYCLE_1)
	s_mov_b32 s1, exec_lo
	v_cmpx_gt_u32_e64 s23, v41
	s_cbranch_execz .LBB1712_131
.LBB1712_162:
	s_mov_b32 s2, exec_lo
                                        ; implicit-def: $vgpr13_vgpr14
	v_cmpx_ge_u32_e64 v41, v16
	s_wait_alu 0xfffe
	s_xor_b32 s2, exec_lo, s2
	s_cbranch_execz .LBB1712_164
; %bb.163:
	s_wait_dscnt 0x6
	v_xor_b32_e32 v11, 0xfffffeff, v0
                                        ; implicit-def: $vgpr41
	s_delay_alu instid0(VALU_DEP_1) | instskip(SKIP_2) | instid1(VALU_DEP_2)
	v_ashrrev_i32_e32 v14, 31, v11
	v_add_co_u32 v13, vcc_lo, v19, v11
	s_wait_alu 0xfffd
	v_add_co_ci_u32_e64 v14, null, v20, v14, vcc_lo
.LBB1712_164:
	s_wait_alu 0xfffe
	s_and_not1_saveexec_b32 s2, s2
; %bb.165:
	v_add_co_u32 v13, vcc_lo, v15, v41
	s_wait_alu 0xfffd
	v_add_co_ci_u32_e64 v14, null, 0, v17, vcc_lo
; %bb.166:
	s_wait_alu 0xfffe
	s_or_b32 exec_lo, exec_lo, s2
	s_delay_alu instid0(VALU_DEP_1) | instskip(NEXT) | instid1(VALU_DEP_1)
	v_lshlrev_b64_e32 v[13:14], 2, v[13:14]
	v_add_co_u32 v13, vcc_lo, s10, v13
	s_wait_alu 0xfffd
	s_delay_alu instid0(VALU_DEP_2) | instskip(SKIP_3) | instid1(SALU_CYCLE_1)
	v_add_co_ci_u32_e64 v14, null, s11, v14, vcc_lo
	s_wait_dscnt 0x6
	global_store_b32 v[13:14], v12, off
	s_or_b32 exec_lo, exec_lo, s1
	s_mov_b32 s1, exec_lo
	v_cmpx_gt_u32_e64 s23, v40
	s_cbranch_execnz .LBB1712_132
.LBB1712_167:
	s_wait_alu 0xfffe
	s_or_b32 exec_lo, exec_lo, s1
	s_delay_alu instid0(SALU_CYCLE_1)
	s_mov_b32 s1, exec_lo
	v_cmpx_gt_u32_e64 s23, v39
	s_cbranch_execz .LBB1712_137
.LBB1712_168:
	s_mov_b32 s2, exec_lo
                                        ; implicit-def: $vgpr11_vgpr12
	v_cmpx_ge_u32_e64 v39, v16
	s_wait_alu 0xfffe
	s_xor_b32 s2, exec_lo, s2
	s_cbranch_execz .LBB1712_170
; %bb.169:
	s_wait_dscnt 0x5
	v_xor_b32_e32 v9, 0xfffffcff, v0
                                        ; implicit-def: $vgpr39
	s_delay_alu instid0(VALU_DEP_1) | instskip(SKIP_2) | instid1(VALU_DEP_2)
	v_ashrrev_i32_e32 v12, 31, v9
	v_add_co_u32 v11, vcc_lo, v19, v9
	s_wait_alu 0xfffd
	v_add_co_ci_u32_e64 v12, null, v20, v12, vcc_lo
.LBB1712_170:
	s_wait_alu 0xfffe
	s_and_not1_saveexec_b32 s2, s2
	s_cbranch_execz .LBB1712_172
; %bb.171:
	s_wait_dscnt 0x6
	v_add_co_u32 v11, vcc_lo, v15, v39
	s_wait_alu 0xfffd
	v_add_co_ci_u32_e64 v12, null, 0, v17, vcc_lo
.LBB1712_172:
	s_wait_alu 0xfffe
	s_or_b32 exec_lo, exec_lo, s2
	s_wait_dscnt 0x6
	s_delay_alu instid0(VALU_DEP_1) | instskip(NEXT) | instid1(VALU_DEP_1)
	v_lshlrev_b64_e32 v[11:12], 2, v[11:12]
	v_add_co_u32 v11, vcc_lo, s10, v11
	s_wait_alu 0xfffd
	s_delay_alu instid0(VALU_DEP_2) | instskip(SKIP_3) | instid1(SALU_CYCLE_1)
	v_add_co_ci_u32_e64 v12, null, s11, v12, vcc_lo
	s_wait_dscnt 0x5
	global_store_b32 v[11:12], v10, off
	s_or_b32 exec_lo, exec_lo, s1
	s_mov_b32 s1, exec_lo
	v_cmpx_gt_u32_e64 s23, v38
	s_cbranch_execnz .LBB1712_138
.LBB1712_173:
	s_wait_alu 0xfffe
	s_or_b32 exec_lo, exec_lo, s1
	s_delay_alu instid0(SALU_CYCLE_1)
	s_mov_b32 s1, exec_lo
	v_cmpx_gt_u32_e64 s23, v37
	s_cbranch_execz .LBB1712_143
.LBB1712_174:
	s_mov_b32 s2, exec_lo
                                        ; implicit-def: $vgpr9_vgpr10
	v_cmpx_ge_u32_e64 v37, v16
	s_wait_alu 0xfffe
	s_xor_b32 s2, exec_lo, s2
	s_cbranch_execz .LBB1712_176
; %bb.175:
	s_wait_dscnt 0x4
	v_xor_b32_e32 v7, 0xfffffaff, v0
                                        ; implicit-def: $vgpr37
	s_delay_alu instid0(VALU_DEP_1) | instskip(SKIP_2) | instid1(VALU_DEP_2)
	v_ashrrev_i32_e32 v10, 31, v7
	v_add_co_u32 v9, vcc_lo, v19, v7
	s_wait_alu 0xfffd
	v_add_co_ci_u32_e64 v10, null, v20, v10, vcc_lo
.LBB1712_176:
	s_wait_alu 0xfffe
	s_and_not1_saveexec_b32 s2, s2
	s_cbranch_execz .LBB1712_178
; %bb.177:
	s_wait_dscnt 0x5
	v_add_co_u32 v9, vcc_lo, v15, v37
	s_wait_alu 0xfffd
	v_add_co_ci_u32_e64 v10, null, 0, v17, vcc_lo
.LBB1712_178:
	s_wait_alu 0xfffe
	s_or_b32 exec_lo, exec_lo, s2
	s_wait_dscnt 0x5
	s_delay_alu instid0(VALU_DEP_1) | instskip(NEXT) | instid1(VALU_DEP_1)
	v_lshlrev_b64_e32 v[9:10], 2, v[9:10]
	v_add_co_u32 v9, vcc_lo, s10, v9
	s_wait_alu 0xfffd
	s_delay_alu instid0(VALU_DEP_2) | instskip(SKIP_3) | instid1(SALU_CYCLE_1)
	v_add_co_ci_u32_e64 v10, null, s11, v10, vcc_lo
	s_wait_dscnt 0x4
	global_store_b32 v[9:10], v8, off
	s_or_b32 exec_lo, exec_lo, s1
	s_mov_b32 s1, exec_lo
	v_cmpx_gt_u32_e64 s23, v36
	s_cbranch_execnz .LBB1712_144
.LBB1712_179:
	s_wait_alu 0xfffe
	s_or_b32 exec_lo, exec_lo, s1
	s_delay_alu instid0(SALU_CYCLE_1)
	s_mov_b32 s1, exec_lo
	v_cmpx_gt_u32_e64 s23, v35
	s_cbranch_execz .LBB1712_149
.LBB1712_180:
	s_mov_b32 s2, exec_lo
                                        ; implicit-def: $vgpr7_vgpr8
	v_cmpx_ge_u32_e64 v35, v16
	s_wait_alu 0xfffe
	s_xor_b32 s2, exec_lo, s2
	s_cbranch_execz .LBB1712_182
; %bb.181:
	s_wait_dscnt 0x3
	v_xor_b32_e32 v5, 0xfffff8ff, v0
                                        ; implicit-def: $vgpr35
	s_delay_alu instid0(VALU_DEP_1) | instskip(SKIP_2) | instid1(VALU_DEP_2)
	v_ashrrev_i32_e32 v8, 31, v5
	v_add_co_u32 v7, vcc_lo, v19, v5
	s_wait_alu 0xfffd
	v_add_co_ci_u32_e64 v8, null, v20, v8, vcc_lo
.LBB1712_182:
	s_wait_alu 0xfffe
	s_and_not1_saveexec_b32 s2, s2
	s_cbranch_execz .LBB1712_184
; %bb.183:
	s_wait_dscnt 0x4
	v_add_co_u32 v7, vcc_lo, v15, v35
	s_wait_alu 0xfffd
	v_add_co_ci_u32_e64 v8, null, 0, v17, vcc_lo
.LBB1712_184:
	s_wait_alu 0xfffe
	s_or_b32 exec_lo, exec_lo, s2
	s_wait_dscnt 0x4
	s_delay_alu instid0(VALU_DEP_1) | instskip(NEXT) | instid1(VALU_DEP_1)
	v_lshlrev_b64_e32 v[7:8], 2, v[7:8]
	v_add_co_u32 v7, vcc_lo, s10, v7
	s_wait_alu 0xfffd
	s_delay_alu instid0(VALU_DEP_2) | instskip(SKIP_3) | instid1(SALU_CYCLE_1)
	v_add_co_ci_u32_e64 v8, null, s11, v8, vcc_lo
	s_wait_dscnt 0x3
	global_store_b32 v[7:8], v6, off
	s_or_b32 exec_lo, exec_lo, s1
	s_mov_b32 s1, exec_lo
	v_cmpx_gt_u32_e64 s23, v34
	s_cbranch_execnz .LBB1712_150
.LBB1712_185:
	s_wait_alu 0xfffe
	s_or_b32 exec_lo, exec_lo, s1
	s_delay_alu instid0(SALU_CYCLE_1)
	s_mov_b32 s1, exec_lo
	v_cmpx_gt_u32_e64 s23, v33
	s_cbranch_execz .LBB1712_155
.LBB1712_186:
	s_mov_b32 s2, exec_lo
                                        ; implicit-def: $vgpr5_vgpr6
	v_cmpx_ge_u32_e64 v33, v16
	s_wait_alu 0xfffe
	s_xor_b32 s2, exec_lo, s2
	s_cbranch_execz .LBB1712_188
; %bb.187:
	s_wait_dscnt 0x2
	v_xor_b32_e32 v3, 0xfffff6ff, v0
                                        ; implicit-def: $vgpr33
	s_delay_alu instid0(VALU_DEP_1) | instskip(SKIP_2) | instid1(VALU_DEP_2)
	v_ashrrev_i32_e32 v6, 31, v3
	v_add_co_u32 v5, vcc_lo, v19, v3
	s_wait_alu 0xfffd
	v_add_co_ci_u32_e64 v6, null, v20, v6, vcc_lo
.LBB1712_188:
	s_wait_alu 0xfffe
	s_and_not1_saveexec_b32 s2, s2
	s_cbranch_execz .LBB1712_190
; %bb.189:
	s_wait_dscnt 0x3
	v_add_co_u32 v5, vcc_lo, v15, v33
	s_wait_alu 0xfffd
	v_add_co_ci_u32_e64 v6, null, 0, v17, vcc_lo
.LBB1712_190:
	s_wait_alu 0xfffe
	s_or_b32 exec_lo, exec_lo, s2
	s_wait_dscnt 0x3
	s_delay_alu instid0(VALU_DEP_1) | instskip(NEXT) | instid1(VALU_DEP_1)
	v_lshlrev_b64_e32 v[5:6], 2, v[5:6]
	v_add_co_u32 v5, vcc_lo, s10, v5
	s_wait_alu 0xfffd
	s_delay_alu instid0(VALU_DEP_2) | instskip(SKIP_3) | instid1(SALU_CYCLE_1)
	v_add_co_ci_u32_e64 v6, null, s11, v6, vcc_lo
	s_wait_dscnt 0x2
	global_store_b32 v[5:6], v4, off
	s_or_b32 exec_lo, exec_lo, s1
	s_mov_b32 s1, exec_lo
	v_cmpx_gt_u32_e64 s23, v32
	s_cbranch_execnz .LBB1712_156
.LBB1712_191:
	s_wait_alu 0xfffe
	s_or_b32 exec_lo, exec_lo, s1
	s_delay_alu instid0(SALU_CYCLE_1)
	s_mov_b32 s1, exec_lo
	v_cmpx_gt_u32_e64 s23, v31
	s_cbranch_execz .LBB1712_197
.LBB1712_192:
	s_mov_b32 s2, exec_lo
                                        ; implicit-def: $vgpr3_vgpr4
	v_cmpx_ge_u32_e64 v31, v16
	s_wait_alu 0xfffe
	s_xor_b32 s2, exec_lo, s2
	s_cbranch_execz .LBB1712_194
; %bb.193:
	s_wait_dscnt 0x1
	v_xor_b32_e32 v1, 0xfffff4ff, v0
                                        ; implicit-def: $vgpr31
	s_delay_alu instid0(VALU_DEP_1) | instskip(SKIP_2) | instid1(VALU_DEP_2)
	v_ashrrev_i32_e32 v4, 31, v1
	v_add_co_u32 v3, vcc_lo, v19, v1
	s_wait_alu 0xfffd
	v_add_co_ci_u32_e64 v4, null, v20, v4, vcc_lo
.LBB1712_194:
	s_wait_alu 0xfffe
	s_and_not1_saveexec_b32 s2, s2
	s_cbranch_execz .LBB1712_196
; %bb.195:
	s_wait_dscnt 0x2
	v_add_co_u32 v3, vcc_lo, v15, v31
	s_wait_alu 0xfffd
	v_add_co_ci_u32_e64 v4, null, 0, v17, vcc_lo
.LBB1712_196:
	s_wait_alu 0xfffe
	s_or_b32 exec_lo, exec_lo, s2
	s_wait_dscnt 0x2
	s_delay_alu instid0(VALU_DEP_1) | instskip(NEXT) | instid1(VALU_DEP_1)
	v_lshlrev_b64_e32 v[3:4], 2, v[3:4]
	v_add_co_u32 v3, vcc_lo, s10, v3
	s_wait_alu 0xfffd
	s_delay_alu instid0(VALU_DEP_2)
	v_add_co_ci_u32_e64 v4, null, s11, v4, vcc_lo
	s_wait_dscnt 0x1
	global_store_b32 v[3:4], v2, off
.LBB1712_197:
	s_wait_alu 0xfffe
	s_or_b32 exec_lo, exec_lo, s1
	s_delay_alu instid0(SALU_CYCLE_1)
	s_mov_b32 s1, exec_lo
                                        ; implicit-def: $vgpr13_vgpr14
	v_cmpx_gt_u32_e64 s23, v30
	s_cbranch_execz .LBB1712_203
; %bb.198:
	s_mov_b32 s2, exec_lo
                                        ; implicit-def: $vgpr13_vgpr14
	v_cmpx_ge_u32_e64 v30, v16
	s_wait_alu 0xfffe
	s_xor_b32 s2, exec_lo, s2
	s_cbranch_execz .LBB1712_200
; %bb.199:
	s_wait_dscnt 0x1
	v_xor_b32_e32 v1, 0xfffff3ff, v0
                                        ; implicit-def: $vgpr30
	s_delay_alu instid0(VALU_DEP_1) | instskip(SKIP_2) | instid1(VALU_DEP_2)
	v_ashrrev_i32_e32 v2, 31, v1
	v_add_co_u32 v13, vcc_lo, v19, v1
	s_wait_alu 0xfffd
	v_add_co_ci_u32_e64 v14, null, v20, v2, vcc_lo
.LBB1712_200:
	s_wait_alu 0xfffe
	s_and_not1_saveexec_b32 s2, s2
; %bb.201:
	v_add_co_u32 v13, vcc_lo, v15, v30
	s_wait_alu 0xfffd
	v_add_co_ci_u32_e64 v14, null, 0, v17, vcc_lo
; %bb.202:
	s_wait_alu 0xfffe
	s_or_b32 exec_lo, exec_lo, s2
	s_delay_alu instid0(SALU_CYCLE_1)
	s_or_b32 s0, s0, exec_lo
.LBB1712_203:
	s_wait_alu 0xfffe
	s_or_b32 exec_lo, exec_lo, s1
.LBB1712_204:
	s_wait_alu 0xfffe
	s_and_saveexec_b32 s1, s0
	s_cbranch_execz .LBB1712_206
; %bb.205:
	s_wait_dscnt 0x1
	v_lshlrev_b64_e32 v[1:2], 2, v[13:14]
	s_delay_alu instid0(VALU_DEP_1) | instskip(SKIP_1) | instid1(VALU_DEP_2)
	v_add_co_u32 v1, vcc_lo, s10, v1
	s_wait_alu 0xfffd
	v_add_co_ci_u32_e64 v2, null, s11, v2, vcc_lo
	s_wait_dscnt 0x0
	global_store_b32 v[1:2], v18, off
.LBB1712_206:
	s_wait_alu 0xfffe
	s_or_b32 exec_lo, exec_lo, s1
	v_cmp_eq_u32_e32 vcc_lo, 0, v0
	s_and_b32 s0, vcc_lo, s22
	s_wait_alu 0xfffe
	s_and_saveexec_b32 s1, s0
	s_cbranch_execz .LBB1712_208
; %bb.207:
	v_add_co_u32 v0, vcc_lo, v15, v16
	s_wait_dscnt 0x1
	v_mov_b32_e32 v2, 0
	s_wait_alu 0xfffd
	v_add_co_ci_u32_e64 v1, null, 0, v17, vcc_lo
	global_store_b64 v2, v[0:1], s[8:9]
.LBB1712_208:
	s_endpgm
	.section	.rodata,"a",@progbits
	.p2align	6, 0x0
	.amdhsa_kernel _ZN7rocprim17ROCPRIM_400000_NS6detail17trampoline_kernelINS0_13select_configILj256ELj13ELNS0_17block_load_methodE3ELS4_3ELS4_3ELNS0_20block_scan_algorithmE0ELj4294967295EEENS1_25partition_config_selectorILNS1_17partition_subalgoE3EjNS0_10empty_typeEbEEZZNS1_14partition_implILS8_3ELb0ES6_jNS0_17counting_iteratorIjlEEPS9_SE_NS0_5tupleIJPjSE_EEENSF_IJSE_SE_EEES9_SG_JZNS1_25segmented_radix_sort_implINS0_14default_configELb1EPK6__halfPSL_PKlPlN2at6native12_GLOBAL__N_18offset_tEEE10hipError_tPvRmT1_PNSt15iterator_traitsISZ_E10value_typeET2_T3_PNS10_IS15_E10value_typeET4_jRbjT5_S1B_jjP12ihipStream_tbEUljE_EEESW_SX_SY_S15_S19_S1B_T6_T7_T9_mT8_S1D_bDpT10_ENKUlT_T0_E_clISt17integral_constantIbLb0EES1Q_EEDaS1L_S1M_EUlS1L_E_NS1_11comp_targetILNS1_3genE10ELNS1_11target_archE1200ELNS1_3gpuE4ELNS1_3repE0EEENS1_30default_config_static_selectorELNS0_4arch9wavefront6targetE0EEEvSZ_
		.amdhsa_group_segment_fixed_size 13320
		.amdhsa_private_segment_fixed_size 0
		.amdhsa_kernarg_size 144
		.amdhsa_user_sgpr_count 2
		.amdhsa_user_sgpr_dispatch_ptr 0
		.amdhsa_user_sgpr_queue_ptr 0
		.amdhsa_user_sgpr_kernarg_segment_ptr 1
		.amdhsa_user_sgpr_dispatch_id 0
		.amdhsa_user_sgpr_private_segment_size 0
		.amdhsa_wavefront_size32 1
		.amdhsa_uses_dynamic_stack 0
		.amdhsa_enable_private_segment 0
		.amdhsa_system_sgpr_workgroup_id_x 1
		.amdhsa_system_sgpr_workgroup_id_y 0
		.amdhsa_system_sgpr_workgroup_id_z 0
		.amdhsa_system_sgpr_workgroup_info 0
		.amdhsa_system_vgpr_workitem_id 0
		.amdhsa_next_free_vgpr 69
		.amdhsa_next_free_sgpr 26
		.amdhsa_reserve_vcc 1
		.amdhsa_float_round_mode_32 0
		.amdhsa_float_round_mode_16_64 0
		.amdhsa_float_denorm_mode_32 3
		.amdhsa_float_denorm_mode_16_64 3
		.amdhsa_fp16_overflow 0
		.amdhsa_workgroup_processor_mode 1
		.amdhsa_memory_ordered 1
		.amdhsa_forward_progress 1
		.amdhsa_inst_pref_size 84
		.amdhsa_round_robin_scheduling 0
		.amdhsa_exception_fp_ieee_invalid_op 0
		.amdhsa_exception_fp_denorm_src 0
		.amdhsa_exception_fp_ieee_div_zero 0
		.amdhsa_exception_fp_ieee_overflow 0
		.amdhsa_exception_fp_ieee_underflow 0
		.amdhsa_exception_fp_ieee_inexact 0
		.amdhsa_exception_int_div_zero 0
	.end_amdhsa_kernel
	.section	.text._ZN7rocprim17ROCPRIM_400000_NS6detail17trampoline_kernelINS0_13select_configILj256ELj13ELNS0_17block_load_methodE3ELS4_3ELS4_3ELNS0_20block_scan_algorithmE0ELj4294967295EEENS1_25partition_config_selectorILNS1_17partition_subalgoE3EjNS0_10empty_typeEbEEZZNS1_14partition_implILS8_3ELb0ES6_jNS0_17counting_iteratorIjlEEPS9_SE_NS0_5tupleIJPjSE_EEENSF_IJSE_SE_EEES9_SG_JZNS1_25segmented_radix_sort_implINS0_14default_configELb1EPK6__halfPSL_PKlPlN2at6native12_GLOBAL__N_18offset_tEEE10hipError_tPvRmT1_PNSt15iterator_traitsISZ_E10value_typeET2_T3_PNS10_IS15_E10value_typeET4_jRbjT5_S1B_jjP12ihipStream_tbEUljE_EEESW_SX_SY_S15_S19_S1B_T6_T7_T9_mT8_S1D_bDpT10_ENKUlT_T0_E_clISt17integral_constantIbLb0EES1Q_EEDaS1L_S1M_EUlS1L_E_NS1_11comp_targetILNS1_3genE10ELNS1_11target_archE1200ELNS1_3gpuE4ELNS1_3repE0EEENS1_30default_config_static_selectorELNS0_4arch9wavefront6targetE0EEEvSZ_,"axG",@progbits,_ZN7rocprim17ROCPRIM_400000_NS6detail17trampoline_kernelINS0_13select_configILj256ELj13ELNS0_17block_load_methodE3ELS4_3ELS4_3ELNS0_20block_scan_algorithmE0ELj4294967295EEENS1_25partition_config_selectorILNS1_17partition_subalgoE3EjNS0_10empty_typeEbEEZZNS1_14partition_implILS8_3ELb0ES6_jNS0_17counting_iteratorIjlEEPS9_SE_NS0_5tupleIJPjSE_EEENSF_IJSE_SE_EEES9_SG_JZNS1_25segmented_radix_sort_implINS0_14default_configELb1EPK6__halfPSL_PKlPlN2at6native12_GLOBAL__N_18offset_tEEE10hipError_tPvRmT1_PNSt15iterator_traitsISZ_E10value_typeET2_T3_PNS10_IS15_E10value_typeET4_jRbjT5_S1B_jjP12ihipStream_tbEUljE_EEESW_SX_SY_S15_S19_S1B_T6_T7_T9_mT8_S1D_bDpT10_ENKUlT_T0_E_clISt17integral_constantIbLb0EES1Q_EEDaS1L_S1M_EUlS1L_E_NS1_11comp_targetILNS1_3genE10ELNS1_11target_archE1200ELNS1_3gpuE4ELNS1_3repE0EEENS1_30default_config_static_selectorELNS0_4arch9wavefront6targetE0EEEvSZ_,comdat
.Lfunc_end1712:
	.size	_ZN7rocprim17ROCPRIM_400000_NS6detail17trampoline_kernelINS0_13select_configILj256ELj13ELNS0_17block_load_methodE3ELS4_3ELS4_3ELNS0_20block_scan_algorithmE0ELj4294967295EEENS1_25partition_config_selectorILNS1_17partition_subalgoE3EjNS0_10empty_typeEbEEZZNS1_14partition_implILS8_3ELb0ES6_jNS0_17counting_iteratorIjlEEPS9_SE_NS0_5tupleIJPjSE_EEENSF_IJSE_SE_EEES9_SG_JZNS1_25segmented_radix_sort_implINS0_14default_configELb1EPK6__halfPSL_PKlPlN2at6native12_GLOBAL__N_18offset_tEEE10hipError_tPvRmT1_PNSt15iterator_traitsISZ_E10value_typeET2_T3_PNS10_IS15_E10value_typeET4_jRbjT5_S1B_jjP12ihipStream_tbEUljE_EEESW_SX_SY_S15_S19_S1B_T6_T7_T9_mT8_S1D_bDpT10_ENKUlT_T0_E_clISt17integral_constantIbLb0EES1Q_EEDaS1L_S1M_EUlS1L_E_NS1_11comp_targetILNS1_3genE10ELNS1_11target_archE1200ELNS1_3gpuE4ELNS1_3repE0EEENS1_30default_config_static_selectorELNS0_4arch9wavefront6targetE0EEEvSZ_, .Lfunc_end1712-_ZN7rocprim17ROCPRIM_400000_NS6detail17trampoline_kernelINS0_13select_configILj256ELj13ELNS0_17block_load_methodE3ELS4_3ELS4_3ELNS0_20block_scan_algorithmE0ELj4294967295EEENS1_25partition_config_selectorILNS1_17partition_subalgoE3EjNS0_10empty_typeEbEEZZNS1_14partition_implILS8_3ELb0ES6_jNS0_17counting_iteratorIjlEEPS9_SE_NS0_5tupleIJPjSE_EEENSF_IJSE_SE_EEES9_SG_JZNS1_25segmented_radix_sort_implINS0_14default_configELb1EPK6__halfPSL_PKlPlN2at6native12_GLOBAL__N_18offset_tEEE10hipError_tPvRmT1_PNSt15iterator_traitsISZ_E10value_typeET2_T3_PNS10_IS15_E10value_typeET4_jRbjT5_S1B_jjP12ihipStream_tbEUljE_EEESW_SX_SY_S15_S19_S1B_T6_T7_T9_mT8_S1D_bDpT10_ENKUlT_T0_E_clISt17integral_constantIbLb0EES1Q_EEDaS1L_S1M_EUlS1L_E_NS1_11comp_targetILNS1_3genE10ELNS1_11target_archE1200ELNS1_3gpuE4ELNS1_3repE0EEENS1_30default_config_static_selectorELNS0_4arch9wavefront6targetE0EEEvSZ_
                                        ; -- End function
	.set _ZN7rocprim17ROCPRIM_400000_NS6detail17trampoline_kernelINS0_13select_configILj256ELj13ELNS0_17block_load_methodE3ELS4_3ELS4_3ELNS0_20block_scan_algorithmE0ELj4294967295EEENS1_25partition_config_selectorILNS1_17partition_subalgoE3EjNS0_10empty_typeEbEEZZNS1_14partition_implILS8_3ELb0ES6_jNS0_17counting_iteratorIjlEEPS9_SE_NS0_5tupleIJPjSE_EEENSF_IJSE_SE_EEES9_SG_JZNS1_25segmented_radix_sort_implINS0_14default_configELb1EPK6__halfPSL_PKlPlN2at6native12_GLOBAL__N_18offset_tEEE10hipError_tPvRmT1_PNSt15iterator_traitsISZ_E10value_typeET2_T3_PNS10_IS15_E10value_typeET4_jRbjT5_S1B_jjP12ihipStream_tbEUljE_EEESW_SX_SY_S15_S19_S1B_T6_T7_T9_mT8_S1D_bDpT10_ENKUlT_T0_E_clISt17integral_constantIbLb0EES1Q_EEDaS1L_S1M_EUlS1L_E_NS1_11comp_targetILNS1_3genE10ELNS1_11target_archE1200ELNS1_3gpuE4ELNS1_3repE0EEENS1_30default_config_static_selectorELNS0_4arch9wavefront6targetE0EEEvSZ_.num_vgpr, 69
	.set _ZN7rocprim17ROCPRIM_400000_NS6detail17trampoline_kernelINS0_13select_configILj256ELj13ELNS0_17block_load_methodE3ELS4_3ELS4_3ELNS0_20block_scan_algorithmE0ELj4294967295EEENS1_25partition_config_selectorILNS1_17partition_subalgoE3EjNS0_10empty_typeEbEEZZNS1_14partition_implILS8_3ELb0ES6_jNS0_17counting_iteratorIjlEEPS9_SE_NS0_5tupleIJPjSE_EEENSF_IJSE_SE_EEES9_SG_JZNS1_25segmented_radix_sort_implINS0_14default_configELb1EPK6__halfPSL_PKlPlN2at6native12_GLOBAL__N_18offset_tEEE10hipError_tPvRmT1_PNSt15iterator_traitsISZ_E10value_typeET2_T3_PNS10_IS15_E10value_typeET4_jRbjT5_S1B_jjP12ihipStream_tbEUljE_EEESW_SX_SY_S15_S19_S1B_T6_T7_T9_mT8_S1D_bDpT10_ENKUlT_T0_E_clISt17integral_constantIbLb0EES1Q_EEDaS1L_S1M_EUlS1L_E_NS1_11comp_targetILNS1_3genE10ELNS1_11target_archE1200ELNS1_3gpuE4ELNS1_3repE0EEENS1_30default_config_static_selectorELNS0_4arch9wavefront6targetE0EEEvSZ_.num_agpr, 0
	.set _ZN7rocprim17ROCPRIM_400000_NS6detail17trampoline_kernelINS0_13select_configILj256ELj13ELNS0_17block_load_methodE3ELS4_3ELS4_3ELNS0_20block_scan_algorithmE0ELj4294967295EEENS1_25partition_config_selectorILNS1_17partition_subalgoE3EjNS0_10empty_typeEbEEZZNS1_14partition_implILS8_3ELb0ES6_jNS0_17counting_iteratorIjlEEPS9_SE_NS0_5tupleIJPjSE_EEENSF_IJSE_SE_EEES9_SG_JZNS1_25segmented_radix_sort_implINS0_14default_configELb1EPK6__halfPSL_PKlPlN2at6native12_GLOBAL__N_18offset_tEEE10hipError_tPvRmT1_PNSt15iterator_traitsISZ_E10value_typeET2_T3_PNS10_IS15_E10value_typeET4_jRbjT5_S1B_jjP12ihipStream_tbEUljE_EEESW_SX_SY_S15_S19_S1B_T6_T7_T9_mT8_S1D_bDpT10_ENKUlT_T0_E_clISt17integral_constantIbLb0EES1Q_EEDaS1L_S1M_EUlS1L_E_NS1_11comp_targetILNS1_3genE10ELNS1_11target_archE1200ELNS1_3gpuE4ELNS1_3repE0EEENS1_30default_config_static_selectorELNS0_4arch9wavefront6targetE0EEEvSZ_.numbered_sgpr, 26
	.set _ZN7rocprim17ROCPRIM_400000_NS6detail17trampoline_kernelINS0_13select_configILj256ELj13ELNS0_17block_load_methodE3ELS4_3ELS4_3ELNS0_20block_scan_algorithmE0ELj4294967295EEENS1_25partition_config_selectorILNS1_17partition_subalgoE3EjNS0_10empty_typeEbEEZZNS1_14partition_implILS8_3ELb0ES6_jNS0_17counting_iteratorIjlEEPS9_SE_NS0_5tupleIJPjSE_EEENSF_IJSE_SE_EEES9_SG_JZNS1_25segmented_radix_sort_implINS0_14default_configELb1EPK6__halfPSL_PKlPlN2at6native12_GLOBAL__N_18offset_tEEE10hipError_tPvRmT1_PNSt15iterator_traitsISZ_E10value_typeET2_T3_PNS10_IS15_E10value_typeET4_jRbjT5_S1B_jjP12ihipStream_tbEUljE_EEESW_SX_SY_S15_S19_S1B_T6_T7_T9_mT8_S1D_bDpT10_ENKUlT_T0_E_clISt17integral_constantIbLb0EES1Q_EEDaS1L_S1M_EUlS1L_E_NS1_11comp_targetILNS1_3genE10ELNS1_11target_archE1200ELNS1_3gpuE4ELNS1_3repE0EEENS1_30default_config_static_selectorELNS0_4arch9wavefront6targetE0EEEvSZ_.num_named_barrier, 0
	.set _ZN7rocprim17ROCPRIM_400000_NS6detail17trampoline_kernelINS0_13select_configILj256ELj13ELNS0_17block_load_methodE3ELS4_3ELS4_3ELNS0_20block_scan_algorithmE0ELj4294967295EEENS1_25partition_config_selectorILNS1_17partition_subalgoE3EjNS0_10empty_typeEbEEZZNS1_14partition_implILS8_3ELb0ES6_jNS0_17counting_iteratorIjlEEPS9_SE_NS0_5tupleIJPjSE_EEENSF_IJSE_SE_EEES9_SG_JZNS1_25segmented_radix_sort_implINS0_14default_configELb1EPK6__halfPSL_PKlPlN2at6native12_GLOBAL__N_18offset_tEEE10hipError_tPvRmT1_PNSt15iterator_traitsISZ_E10value_typeET2_T3_PNS10_IS15_E10value_typeET4_jRbjT5_S1B_jjP12ihipStream_tbEUljE_EEESW_SX_SY_S15_S19_S1B_T6_T7_T9_mT8_S1D_bDpT10_ENKUlT_T0_E_clISt17integral_constantIbLb0EES1Q_EEDaS1L_S1M_EUlS1L_E_NS1_11comp_targetILNS1_3genE10ELNS1_11target_archE1200ELNS1_3gpuE4ELNS1_3repE0EEENS1_30default_config_static_selectorELNS0_4arch9wavefront6targetE0EEEvSZ_.private_seg_size, 0
	.set _ZN7rocprim17ROCPRIM_400000_NS6detail17trampoline_kernelINS0_13select_configILj256ELj13ELNS0_17block_load_methodE3ELS4_3ELS4_3ELNS0_20block_scan_algorithmE0ELj4294967295EEENS1_25partition_config_selectorILNS1_17partition_subalgoE3EjNS0_10empty_typeEbEEZZNS1_14partition_implILS8_3ELb0ES6_jNS0_17counting_iteratorIjlEEPS9_SE_NS0_5tupleIJPjSE_EEENSF_IJSE_SE_EEES9_SG_JZNS1_25segmented_radix_sort_implINS0_14default_configELb1EPK6__halfPSL_PKlPlN2at6native12_GLOBAL__N_18offset_tEEE10hipError_tPvRmT1_PNSt15iterator_traitsISZ_E10value_typeET2_T3_PNS10_IS15_E10value_typeET4_jRbjT5_S1B_jjP12ihipStream_tbEUljE_EEESW_SX_SY_S15_S19_S1B_T6_T7_T9_mT8_S1D_bDpT10_ENKUlT_T0_E_clISt17integral_constantIbLb0EES1Q_EEDaS1L_S1M_EUlS1L_E_NS1_11comp_targetILNS1_3genE10ELNS1_11target_archE1200ELNS1_3gpuE4ELNS1_3repE0EEENS1_30default_config_static_selectorELNS0_4arch9wavefront6targetE0EEEvSZ_.uses_vcc, 1
	.set _ZN7rocprim17ROCPRIM_400000_NS6detail17trampoline_kernelINS0_13select_configILj256ELj13ELNS0_17block_load_methodE3ELS4_3ELS4_3ELNS0_20block_scan_algorithmE0ELj4294967295EEENS1_25partition_config_selectorILNS1_17partition_subalgoE3EjNS0_10empty_typeEbEEZZNS1_14partition_implILS8_3ELb0ES6_jNS0_17counting_iteratorIjlEEPS9_SE_NS0_5tupleIJPjSE_EEENSF_IJSE_SE_EEES9_SG_JZNS1_25segmented_radix_sort_implINS0_14default_configELb1EPK6__halfPSL_PKlPlN2at6native12_GLOBAL__N_18offset_tEEE10hipError_tPvRmT1_PNSt15iterator_traitsISZ_E10value_typeET2_T3_PNS10_IS15_E10value_typeET4_jRbjT5_S1B_jjP12ihipStream_tbEUljE_EEESW_SX_SY_S15_S19_S1B_T6_T7_T9_mT8_S1D_bDpT10_ENKUlT_T0_E_clISt17integral_constantIbLb0EES1Q_EEDaS1L_S1M_EUlS1L_E_NS1_11comp_targetILNS1_3genE10ELNS1_11target_archE1200ELNS1_3gpuE4ELNS1_3repE0EEENS1_30default_config_static_selectorELNS0_4arch9wavefront6targetE0EEEvSZ_.uses_flat_scratch, 0
	.set _ZN7rocprim17ROCPRIM_400000_NS6detail17trampoline_kernelINS0_13select_configILj256ELj13ELNS0_17block_load_methodE3ELS4_3ELS4_3ELNS0_20block_scan_algorithmE0ELj4294967295EEENS1_25partition_config_selectorILNS1_17partition_subalgoE3EjNS0_10empty_typeEbEEZZNS1_14partition_implILS8_3ELb0ES6_jNS0_17counting_iteratorIjlEEPS9_SE_NS0_5tupleIJPjSE_EEENSF_IJSE_SE_EEES9_SG_JZNS1_25segmented_radix_sort_implINS0_14default_configELb1EPK6__halfPSL_PKlPlN2at6native12_GLOBAL__N_18offset_tEEE10hipError_tPvRmT1_PNSt15iterator_traitsISZ_E10value_typeET2_T3_PNS10_IS15_E10value_typeET4_jRbjT5_S1B_jjP12ihipStream_tbEUljE_EEESW_SX_SY_S15_S19_S1B_T6_T7_T9_mT8_S1D_bDpT10_ENKUlT_T0_E_clISt17integral_constantIbLb0EES1Q_EEDaS1L_S1M_EUlS1L_E_NS1_11comp_targetILNS1_3genE10ELNS1_11target_archE1200ELNS1_3gpuE4ELNS1_3repE0EEENS1_30default_config_static_selectorELNS0_4arch9wavefront6targetE0EEEvSZ_.has_dyn_sized_stack, 0
	.set _ZN7rocprim17ROCPRIM_400000_NS6detail17trampoline_kernelINS0_13select_configILj256ELj13ELNS0_17block_load_methodE3ELS4_3ELS4_3ELNS0_20block_scan_algorithmE0ELj4294967295EEENS1_25partition_config_selectorILNS1_17partition_subalgoE3EjNS0_10empty_typeEbEEZZNS1_14partition_implILS8_3ELb0ES6_jNS0_17counting_iteratorIjlEEPS9_SE_NS0_5tupleIJPjSE_EEENSF_IJSE_SE_EEES9_SG_JZNS1_25segmented_radix_sort_implINS0_14default_configELb1EPK6__halfPSL_PKlPlN2at6native12_GLOBAL__N_18offset_tEEE10hipError_tPvRmT1_PNSt15iterator_traitsISZ_E10value_typeET2_T3_PNS10_IS15_E10value_typeET4_jRbjT5_S1B_jjP12ihipStream_tbEUljE_EEESW_SX_SY_S15_S19_S1B_T6_T7_T9_mT8_S1D_bDpT10_ENKUlT_T0_E_clISt17integral_constantIbLb0EES1Q_EEDaS1L_S1M_EUlS1L_E_NS1_11comp_targetILNS1_3genE10ELNS1_11target_archE1200ELNS1_3gpuE4ELNS1_3repE0EEENS1_30default_config_static_selectorELNS0_4arch9wavefront6targetE0EEEvSZ_.has_recursion, 0
	.set _ZN7rocprim17ROCPRIM_400000_NS6detail17trampoline_kernelINS0_13select_configILj256ELj13ELNS0_17block_load_methodE3ELS4_3ELS4_3ELNS0_20block_scan_algorithmE0ELj4294967295EEENS1_25partition_config_selectorILNS1_17partition_subalgoE3EjNS0_10empty_typeEbEEZZNS1_14partition_implILS8_3ELb0ES6_jNS0_17counting_iteratorIjlEEPS9_SE_NS0_5tupleIJPjSE_EEENSF_IJSE_SE_EEES9_SG_JZNS1_25segmented_radix_sort_implINS0_14default_configELb1EPK6__halfPSL_PKlPlN2at6native12_GLOBAL__N_18offset_tEEE10hipError_tPvRmT1_PNSt15iterator_traitsISZ_E10value_typeET2_T3_PNS10_IS15_E10value_typeET4_jRbjT5_S1B_jjP12ihipStream_tbEUljE_EEESW_SX_SY_S15_S19_S1B_T6_T7_T9_mT8_S1D_bDpT10_ENKUlT_T0_E_clISt17integral_constantIbLb0EES1Q_EEDaS1L_S1M_EUlS1L_E_NS1_11comp_targetILNS1_3genE10ELNS1_11target_archE1200ELNS1_3gpuE4ELNS1_3repE0EEENS1_30default_config_static_selectorELNS0_4arch9wavefront6targetE0EEEvSZ_.has_indirect_call, 0
	.section	.AMDGPU.csdata,"",@progbits
; Kernel info:
; codeLenInByte = 10676
; TotalNumSgprs: 28
; NumVgprs: 69
; ScratchSize: 0
; MemoryBound: 0
; FloatMode: 240
; IeeeMode: 1
; LDSByteSize: 13320 bytes/workgroup (compile time only)
; SGPRBlocks: 0
; VGPRBlocks: 8
; NumSGPRsForWavesPerEU: 28
; NumVGPRsForWavesPerEU: 69
; Occupancy: 16
; WaveLimiterHint : 0
; COMPUTE_PGM_RSRC2:SCRATCH_EN: 0
; COMPUTE_PGM_RSRC2:USER_SGPR: 2
; COMPUTE_PGM_RSRC2:TRAP_HANDLER: 0
; COMPUTE_PGM_RSRC2:TGID_X_EN: 1
; COMPUTE_PGM_RSRC2:TGID_Y_EN: 0
; COMPUTE_PGM_RSRC2:TGID_Z_EN: 0
; COMPUTE_PGM_RSRC2:TIDIG_COMP_CNT: 0
	.section	.text._ZN7rocprim17ROCPRIM_400000_NS6detail17trampoline_kernelINS0_13select_configILj256ELj13ELNS0_17block_load_methodE3ELS4_3ELS4_3ELNS0_20block_scan_algorithmE0ELj4294967295EEENS1_25partition_config_selectorILNS1_17partition_subalgoE3EjNS0_10empty_typeEbEEZZNS1_14partition_implILS8_3ELb0ES6_jNS0_17counting_iteratorIjlEEPS9_SE_NS0_5tupleIJPjSE_EEENSF_IJSE_SE_EEES9_SG_JZNS1_25segmented_radix_sort_implINS0_14default_configELb1EPK6__halfPSL_PKlPlN2at6native12_GLOBAL__N_18offset_tEEE10hipError_tPvRmT1_PNSt15iterator_traitsISZ_E10value_typeET2_T3_PNS10_IS15_E10value_typeET4_jRbjT5_S1B_jjP12ihipStream_tbEUljE_EEESW_SX_SY_S15_S19_S1B_T6_T7_T9_mT8_S1D_bDpT10_ENKUlT_T0_E_clISt17integral_constantIbLb0EES1Q_EEDaS1L_S1M_EUlS1L_E_NS1_11comp_targetILNS1_3genE9ELNS1_11target_archE1100ELNS1_3gpuE3ELNS1_3repE0EEENS1_30default_config_static_selectorELNS0_4arch9wavefront6targetE0EEEvSZ_,"axG",@progbits,_ZN7rocprim17ROCPRIM_400000_NS6detail17trampoline_kernelINS0_13select_configILj256ELj13ELNS0_17block_load_methodE3ELS4_3ELS4_3ELNS0_20block_scan_algorithmE0ELj4294967295EEENS1_25partition_config_selectorILNS1_17partition_subalgoE3EjNS0_10empty_typeEbEEZZNS1_14partition_implILS8_3ELb0ES6_jNS0_17counting_iteratorIjlEEPS9_SE_NS0_5tupleIJPjSE_EEENSF_IJSE_SE_EEES9_SG_JZNS1_25segmented_radix_sort_implINS0_14default_configELb1EPK6__halfPSL_PKlPlN2at6native12_GLOBAL__N_18offset_tEEE10hipError_tPvRmT1_PNSt15iterator_traitsISZ_E10value_typeET2_T3_PNS10_IS15_E10value_typeET4_jRbjT5_S1B_jjP12ihipStream_tbEUljE_EEESW_SX_SY_S15_S19_S1B_T6_T7_T9_mT8_S1D_bDpT10_ENKUlT_T0_E_clISt17integral_constantIbLb0EES1Q_EEDaS1L_S1M_EUlS1L_E_NS1_11comp_targetILNS1_3genE9ELNS1_11target_archE1100ELNS1_3gpuE3ELNS1_3repE0EEENS1_30default_config_static_selectorELNS0_4arch9wavefront6targetE0EEEvSZ_,comdat
	.globl	_ZN7rocprim17ROCPRIM_400000_NS6detail17trampoline_kernelINS0_13select_configILj256ELj13ELNS0_17block_load_methodE3ELS4_3ELS4_3ELNS0_20block_scan_algorithmE0ELj4294967295EEENS1_25partition_config_selectorILNS1_17partition_subalgoE3EjNS0_10empty_typeEbEEZZNS1_14partition_implILS8_3ELb0ES6_jNS0_17counting_iteratorIjlEEPS9_SE_NS0_5tupleIJPjSE_EEENSF_IJSE_SE_EEES9_SG_JZNS1_25segmented_radix_sort_implINS0_14default_configELb1EPK6__halfPSL_PKlPlN2at6native12_GLOBAL__N_18offset_tEEE10hipError_tPvRmT1_PNSt15iterator_traitsISZ_E10value_typeET2_T3_PNS10_IS15_E10value_typeET4_jRbjT5_S1B_jjP12ihipStream_tbEUljE_EEESW_SX_SY_S15_S19_S1B_T6_T7_T9_mT8_S1D_bDpT10_ENKUlT_T0_E_clISt17integral_constantIbLb0EES1Q_EEDaS1L_S1M_EUlS1L_E_NS1_11comp_targetILNS1_3genE9ELNS1_11target_archE1100ELNS1_3gpuE3ELNS1_3repE0EEENS1_30default_config_static_selectorELNS0_4arch9wavefront6targetE0EEEvSZ_ ; -- Begin function _ZN7rocprim17ROCPRIM_400000_NS6detail17trampoline_kernelINS0_13select_configILj256ELj13ELNS0_17block_load_methodE3ELS4_3ELS4_3ELNS0_20block_scan_algorithmE0ELj4294967295EEENS1_25partition_config_selectorILNS1_17partition_subalgoE3EjNS0_10empty_typeEbEEZZNS1_14partition_implILS8_3ELb0ES6_jNS0_17counting_iteratorIjlEEPS9_SE_NS0_5tupleIJPjSE_EEENSF_IJSE_SE_EEES9_SG_JZNS1_25segmented_radix_sort_implINS0_14default_configELb1EPK6__halfPSL_PKlPlN2at6native12_GLOBAL__N_18offset_tEEE10hipError_tPvRmT1_PNSt15iterator_traitsISZ_E10value_typeET2_T3_PNS10_IS15_E10value_typeET4_jRbjT5_S1B_jjP12ihipStream_tbEUljE_EEESW_SX_SY_S15_S19_S1B_T6_T7_T9_mT8_S1D_bDpT10_ENKUlT_T0_E_clISt17integral_constantIbLb0EES1Q_EEDaS1L_S1M_EUlS1L_E_NS1_11comp_targetILNS1_3genE9ELNS1_11target_archE1100ELNS1_3gpuE3ELNS1_3repE0EEENS1_30default_config_static_selectorELNS0_4arch9wavefront6targetE0EEEvSZ_
	.p2align	8
	.type	_ZN7rocprim17ROCPRIM_400000_NS6detail17trampoline_kernelINS0_13select_configILj256ELj13ELNS0_17block_load_methodE3ELS4_3ELS4_3ELNS0_20block_scan_algorithmE0ELj4294967295EEENS1_25partition_config_selectorILNS1_17partition_subalgoE3EjNS0_10empty_typeEbEEZZNS1_14partition_implILS8_3ELb0ES6_jNS0_17counting_iteratorIjlEEPS9_SE_NS0_5tupleIJPjSE_EEENSF_IJSE_SE_EEES9_SG_JZNS1_25segmented_radix_sort_implINS0_14default_configELb1EPK6__halfPSL_PKlPlN2at6native12_GLOBAL__N_18offset_tEEE10hipError_tPvRmT1_PNSt15iterator_traitsISZ_E10value_typeET2_T3_PNS10_IS15_E10value_typeET4_jRbjT5_S1B_jjP12ihipStream_tbEUljE_EEESW_SX_SY_S15_S19_S1B_T6_T7_T9_mT8_S1D_bDpT10_ENKUlT_T0_E_clISt17integral_constantIbLb0EES1Q_EEDaS1L_S1M_EUlS1L_E_NS1_11comp_targetILNS1_3genE9ELNS1_11target_archE1100ELNS1_3gpuE3ELNS1_3repE0EEENS1_30default_config_static_selectorELNS0_4arch9wavefront6targetE0EEEvSZ_,@function
_ZN7rocprim17ROCPRIM_400000_NS6detail17trampoline_kernelINS0_13select_configILj256ELj13ELNS0_17block_load_methodE3ELS4_3ELS4_3ELNS0_20block_scan_algorithmE0ELj4294967295EEENS1_25partition_config_selectorILNS1_17partition_subalgoE3EjNS0_10empty_typeEbEEZZNS1_14partition_implILS8_3ELb0ES6_jNS0_17counting_iteratorIjlEEPS9_SE_NS0_5tupleIJPjSE_EEENSF_IJSE_SE_EEES9_SG_JZNS1_25segmented_radix_sort_implINS0_14default_configELb1EPK6__halfPSL_PKlPlN2at6native12_GLOBAL__N_18offset_tEEE10hipError_tPvRmT1_PNSt15iterator_traitsISZ_E10value_typeET2_T3_PNS10_IS15_E10value_typeET4_jRbjT5_S1B_jjP12ihipStream_tbEUljE_EEESW_SX_SY_S15_S19_S1B_T6_T7_T9_mT8_S1D_bDpT10_ENKUlT_T0_E_clISt17integral_constantIbLb0EES1Q_EEDaS1L_S1M_EUlS1L_E_NS1_11comp_targetILNS1_3genE9ELNS1_11target_archE1100ELNS1_3gpuE3ELNS1_3repE0EEENS1_30default_config_static_selectorELNS0_4arch9wavefront6targetE0EEEvSZ_: ; @_ZN7rocprim17ROCPRIM_400000_NS6detail17trampoline_kernelINS0_13select_configILj256ELj13ELNS0_17block_load_methodE3ELS4_3ELS4_3ELNS0_20block_scan_algorithmE0ELj4294967295EEENS1_25partition_config_selectorILNS1_17partition_subalgoE3EjNS0_10empty_typeEbEEZZNS1_14partition_implILS8_3ELb0ES6_jNS0_17counting_iteratorIjlEEPS9_SE_NS0_5tupleIJPjSE_EEENSF_IJSE_SE_EEES9_SG_JZNS1_25segmented_radix_sort_implINS0_14default_configELb1EPK6__halfPSL_PKlPlN2at6native12_GLOBAL__N_18offset_tEEE10hipError_tPvRmT1_PNSt15iterator_traitsISZ_E10value_typeET2_T3_PNS10_IS15_E10value_typeET4_jRbjT5_S1B_jjP12ihipStream_tbEUljE_EEESW_SX_SY_S15_S19_S1B_T6_T7_T9_mT8_S1D_bDpT10_ENKUlT_T0_E_clISt17integral_constantIbLb0EES1Q_EEDaS1L_S1M_EUlS1L_E_NS1_11comp_targetILNS1_3genE9ELNS1_11target_archE1100ELNS1_3gpuE3ELNS1_3repE0EEENS1_30default_config_static_selectorELNS0_4arch9wavefront6targetE0EEEvSZ_
; %bb.0:
	.section	.rodata,"a",@progbits
	.p2align	6, 0x0
	.amdhsa_kernel _ZN7rocprim17ROCPRIM_400000_NS6detail17trampoline_kernelINS0_13select_configILj256ELj13ELNS0_17block_load_methodE3ELS4_3ELS4_3ELNS0_20block_scan_algorithmE0ELj4294967295EEENS1_25partition_config_selectorILNS1_17partition_subalgoE3EjNS0_10empty_typeEbEEZZNS1_14partition_implILS8_3ELb0ES6_jNS0_17counting_iteratorIjlEEPS9_SE_NS0_5tupleIJPjSE_EEENSF_IJSE_SE_EEES9_SG_JZNS1_25segmented_radix_sort_implINS0_14default_configELb1EPK6__halfPSL_PKlPlN2at6native12_GLOBAL__N_18offset_tEEE10hipError_tPvRmT1_PNSt15iterator_traitsISZ_E10value_typeET2_T3_PNS10_IS15_E10value_typeET4_jRbjT5_S1B_jjP12ihipStream_tbEUljE_EEESW_SX_SY_S15_S19_S1B_T6_T7_T9_mT8_S1D_bDpT10_ENKUlT_T0_E_clISt17integral_constantIbLb0EES1Q_EEDaS1L_S1M_EUlS1L_E_NS1_11comp_targetILNS1_3genE9ELNS1_11target_archE1100ELNS1_3gpuE3ELNS1_3repE0EEENS1_30default_config_static_selectorELNS0_4arch9wavefront6targetE0EEEvSZ_
		.amdhsa_group_segment_fixed_size 0
		.amdhsa_private_segment_fixed_size 0
		.amdhsa_kernarg_size 144
		.amdhsa_user_sgpr_count 2
		.amdhsa_user_sgpr_dispatch_ptr 0
		.amdhsa_user_sgpr_queue_ptr 0
		.amdhsa_user_sgpr_kernarg_segment_ptr 1
		.amdhsa_user_sgpr_dispatch_id 0
		.amdhsa_user_sgpr_private_segment_size 0
		.amdhsa_wavefront_size32 1
		.amdhsa_uses_dynamic_stack 0
		.amdhsa_enable_private_segment 0
		.amdhsa_system_sgpr_workgroup_id_x 1
		.amdhsa_system_sgpr_workgroup_id_y 0
		.amdhsa_system_sgpr_workgroup_id_z 0
		.amdhsa_system_sgpr_workgroup_info 0
		.amdhsa_system_vgpr_workitem_id 0
		.amdhsa_next_free_vgpr 1
		.amdhsa_next_free_sgpr 1
		.amdhsa_reserve_vcc 0
		.amdhsa_float_round_mode_32 0
		.amdhsa_float_round_mode_16_64 0
		.amdhsa_float_denorm_mode_32 3
		.amdhsa_float_denorm_mode_16_64 3
		.amdhsa_fp16_overflow 0
		.amdhsa_workgroup_processor_mode 1
		.amdhsa_memory_ordered 1
		.amdhsa_forward_progress 1
		.amdhsa_inst_pref_size 0
		.amdhsa_round_robin_scheduling 0
		.amdhsa_exception_fp_ieee_invalid_op 0
		.amdhsa_exception_fp_denorm_src 0
		.amdhsa_exception_fp_ieee_div_zero 0
		.amdhsa_exception_fp_ieee_overflow 0
		.amdhsa_exception_fp_ieee_underflow 0
		.amdhsa_exception_fp_ieee_inexact 0
		.amdhsa_exception_int_div_zero 0
	.end_amdhsa_kernel
	.section	.text._ZN7rocprim17ROCPRIM_400000_NS6detail17trampoline_kernelINS0_13select_configILj256ELj13ELNS0_17block_load_methodE3ELS4_3ELS4_3ELNS0_20block_scan_algorithmE0ELj4294967295EEENS1_25partition_config_selectorILNS1_17partition_subalgoE3EjNS0_10empty_typeEbEEZZNS1_14partition_implILS8_3ELb0ES6_jNS0_17counting_iteratorIjlEEPS9_SE_NS0_5tupleIJPjSE_EEENSF_IJSE_SE_EEES9_SG_JZNS1_25segmented_radix_sort_implINS0_14default_configELb1EPK6__halfPSL_PKlPlN2at6native12_GLOBAL__N_18offset_tEEE10hipError_tPvRmT1_PNSt15iterator_traitsISZ_E10value_typeET2_T3_PNS10_IS15_E10value_typeET4_jRbjT5_S1B_jjP12ihipStream_tbEUljE_EEESW_SX_SY_S15_S19_S1B_T6_T7_T9_mT8_S1D_bDpT10_ENKUlT_T0_E_clISt17integral_constantIbLb0EES1Q_EEDaS1L_S1M_EUlS1L_E_NS1_11comp_targetILNS1_3genE9ELNS1_11target_archE1100ELNS1_3gpuE3ELNS1_3repE0EEENS1_30default_config_static_selectorELNS0_4arch9wavefront6targetE0EEEvSZ_,"axG",@progbits,_ZN7rocprim17ROCPRIM_400000_NS6detail17trampoline_kernelINS0_13select_configILj256ELj13ELNS0_17block_load_methodE3ELS4_3ELS4_3ELNS0_20block_scan_algorithmE0ELj4294967295EEENS1_25partition_config_selectorILNS1_17partition_subalgoE3EjNS0_10empty_typeEbEEZZNS1_14partition_implILS8_3ELb0ES6_jNS0_17counting_iteratorIjlEEPS9_SE_NS0_5tupleIJPjSE_EEENSF_IJSE_SE_EEES9_SG_JZNS1_25segmented_radix_sort_implINS0_14default_configELb1EPK6__halfPSL_PKlPlN2at6native12_GLOBAL__N_18offset_tEEE10hipError_tPvRmT1_PNSt15iterator_traitsISZ_E10value_typeET2_T3_PNS10_IS15_E10value_typeET4_jRbjT5_S1B_jjP12ihipStream_tbEUljE_EEESW_SX_SY_S15_S19_S1B_T6_T7_T9_mT8_S1D_bDpT10_ENKUlT_T0_E_clISt17integral_constantIbLb0EES1Q_EEDaS1L_S1M_EUlS1L_E_NS1_11comp_targetILNS1_3genE9ELNS1_11target_archE1100ELNS1_3gpuE3ELNS1_3repE0EEENS1_30default_config_static_selectorELNS0_4arch9wavefront6targetE0EEEvSZ_,comdat
.Lfunc_end1713:
	.size	_ZN7rocprim17ROCPRIM_400000_NS6detail17trampoline_kernelINS0_13select_configILj256ELj13ELNS0_17block_load_methodE3ELS4_3ELS4_3ELNS0_20block_scan_algorithmE0ELj4294967295EEENS1_25partition_config_selectorILNS1_17partition_subalgoE3EjNS0_10empty_typeEbEEZZNS1_14partition_implILS8_3ELb0ES6_jNS0_17counting_iteratorIjlEEPS9_SE_NS0_5tupleIJPjSE_EEENSF_IJSE_SE_EEES9_SG_JZNS1_25segmented_radix_sort_implINS0_14default_configELb1EPK6__halfPSL_PKlPlN2at6native12_GLOBAL__N_18offset_tEEE10hipError_tPvRmT1_PNSt15iterator_traitsISZ_E10value_typeET2_T3_PNS10_IS15_E10value_typeET4_jRbjT5_S1B_jjP12ihipStream_tbEUljE_EEESW_SX_SY_S15_S19_S1B_T6_T7_T9_mT8_S1D_bDpT10_ENKUlT_T0_E_clISt17integral_constantIbLb0EES1Q_EEDaS1L_S1M_EUlS1L_E_NS1_11comp_targetILNS1_3genE9ELNS1_11target_archE1100ELNS1_3gpuE3ELNS1_3repE0EEENS1_30default_config_static_selectorELNS0_4arch9wavefront6targetE0EEEvSZ_, .Lfunc_end1713-_ZN7rocprim17ROCPRIM_400000_NS6detail17trampoline_kernelINS0_13select_configILj256ELj13ELNS0_17block_load_methodE3ELS4_3ELS4_3ELNS0_20block_scan_algorithmE0ELj4294967295EEENS1_25partition_config_selectorILNS1_17partition_subalgoE3EjNS0_10empty_typeEbEEZZNS1_14partition_implILS8_3ELb0ES6_jNS0_17counting_iteratorIjlEEPS9_SE_NS0_5tupleIJPjSE_EEENSF_IJSE_SE_EEES9_SG_JZNS1_25segmented_radix_sort_implINS0_14default_configELb1EPK6__halfPSL_PKlPlN2at6native12_GLOBAL__N_18offset_tEEE10hipError_tPvRmT1_PNSt15iterator_traitsISZ_E10value_typeET2_T3_PNS10_IS15_E10value_typeET4_jRbjT5_S1B_jjP12ihipStream_tbEUljE_EEESW_SX_SY_S15_S19_S1B_T6_T7_T9_mT8_S1D_bDpT10_ENKUlT_T0_E_clISt17integral_constantIbLb0EES1Q_EEDaS1L_S1M_EUlS1L_E_NS1_11comp_targetILNS1_3genE9ELNS1_11target_archE1100ELNS1_3gpuE3ELNS1_3repE0EEENS1_30default_config_static_selectorELNS0_4arch9wavefront6targetE0EEEvSZ_
                                        ; -- End function
	.set _ZN7rocprim17ROCPRIM_400000_NS6detail17trampoline_kernelINS0_13select_configILj256ELj13ELNS0_17block_load_methodE3ELS4_3ELS4_3ELNS0_20block_scan_algorithmE0ELj4294967295EEENS1_25partition_config_selectorILNS1_17partition_subalgoE3EjNS0_10empty_typeEbEEZZNS1_14partition_implILS8_3ELb0ES6_jNS0_17counting_iteratorIjlEEPS9_SE_NS0_5tupleIJPjSE_EEENSF_IJSE_SE_EEES9_SG_JZNS1_25segmented_radix_sort_implINS0_14default_configELb1EPK6__halfPSL_PKlPlN2at6native12_GLOBAL__N_18offset_tEEE10hipError_tPvRmT1_PNSt15iterator_traitsISZ_E10value_typeET2_T3_PNS10_IS15_E10value_typeET4_jRbjT5_S1B_jjP12ihipStream_tbEUljE_EEESW_SX_SY_S15_S19_S1B_T6_T7_T9_mT8_S1D_bDpT10_ENKUlT_T0_E_clISt17integral_constantIbLb0EES1Q_EEDaS1L_S1M_EUlS1L_E_NS1_11comp_targetILNS1_3genE9ELNS1_11target_archE1100ELNS1_3gpuE3ELNS1_3repE0EEENS1_30default_config_static_selectorELNS0_4arch9wavefront6targetE0EEEvSZ_.num_vgpr, 0
	.set _ZN7rocprim17ROCPRIM_400000_NS6detail17trampoline_kernelINS0_13select_configILj256ELj13ELNS0_17block_load_methodE3ELS4_3ELS4_3ELNS0_20block_scan_algorithmE0ELj4294967295EEENS1_25partition_config_selectorILNS1_17partition_subalgoE3EjNS0_10empty_typeEbEEZZNS1_14partition_implILS8_3ELb0ES6_jNS0_17counting_iteratorIjlEEPS9_SE_NS0_5tupleIJPjSE_EEENSF_IJSE_SE_EEES9_SG_JZNS1_25segmented_radix_sort_implINS0_14default_configELb1EPK6__halfPSL_PKlPlN2at6native12_GLOBAL__N_18offset_tEEE10hipError_tPvRmT1_PNSt15iterator_traitsISZ_E10value_typeET2_T3_PNS10_IS15_E10value_typeET4_jRbjT5_S1B_jjP12ihipStream_tbEUljE_EEESW_SX_SY_S15_S19_S1B_T6_T7_T9_mT8_S1D_bDpT10_ENKUlT_T0_E_clISt17integral_constantIbLb0EES1Q_EEDaS1L_S1M_EUlS1L_E_NS1_11comp_targetILNS1_3genE9ELNS1_11target_archE1100ELNS1_3gpuE3ELNS1_3repE0EEENS1_30default_config_static_selectorELNS0_4arch9wavefront6targetE0EEEvSZ_.num_agpr, 0
	.set _ZN7rocprim17ROCPRIM_400000_NS6detail17trampoline_kernelINS0_13select_configILj256ELj13ELNS0_17block_load_methodE3ELS4_3ELS4_3ELNS0_20block_scan_algorithmE0ELj4294967295EEENS1_25partition_config_selectorILNS1_17partition_subalgoE3EjNS0_10empty_typeEbEEZZNS1_14partition_implILS8_3ELb0ES6_jNS0_17counting_iteratorIjlEEPS9_SE_NS0_5tupleIJPjSE_EEENSF_IJSE_SE_EEES9_SG_JZNS1_25segmented_radix_sort_implINS0_14default_configELb1EPK6__halfPSL_PKlPlN2at6native12_GLOBAL__N_18offset_tEEE10hipError_tPvRmT1_PNSt15iterator_traitsISZ_E10value_typeET2_T3_PNS10_IS15_E10value_typeET4_jRbjT5_S1B_jjP12ihipStream_tbEUljE_EEESW_SX_SY_S15_S19_S1B_T6_T7_T9_mT8_S1D_bDpT10_ENKUlT_T0_E_clISt17integral_constantIbLb0EES1Q_EEDaS1L_S1M_EUlS1L_E_NS1_11comp_targetILNS1_3genE9ELNS1_11target_archE1100ELNS1_3gpuE3ELNS1_3repE0EEENS1_30default_config_static_selectorELNS0_4arch9wavefront6targetE0EEEvSZ_.numbered_sgpr, 0
	.set _ZN7rocprim17ROCPRIM_400000_NS6detail17trampoline_kernelINS0_13select_configILj256ELj13ELNS0_17block_load_methodE3ELS4_3ELS4_3ELNS0_20block_scan_algorithmE0ELj4294967295EEENS1_25partition_config_selectorILNS1_17partition_subalgoE3EjNS0_10empty_typeEbEEZZNS1_14partition_implILS8_3ELb0ES6_jNS0_17counting_iteratorIjlEEPS9_SE_NS0_5tupleIJPjSE_EEENSF_IJSE_SE_EEES9_SG_JZNS1_25segmented_radix_sort_implINS0_14default_configELb1EPK6__halfPSL_PKlPlN2at6native12_GLOBAL__N_18offset_tEEE10hipError_tPvRmT1_PNSt15iterator_traitsISZ_E10value_typeET2_T3_PNS10_IS15_E10value_typeET4_jRbjT5_S1B_jjP12ihipStream_tbEUljE_EEESW_SX_SY_S15_S19_S1B_T6_T7_T9_mT8_S1D_bDpT10_ENKUlT_T0_E_clISt17integral_constantIbLb0EES1Q_EEDaS1L_S1M_EUlS1L_E_NS1_11comp_targetILNS1_3genE9ELNS1_11target_archE1100ELNS1_3gpuE3ELNS1_3repE0EEENS1_30default_config_static_selectorELNS0_4arch9wavefront6targetE0EEEvSZ_.num_named_barrier, 0
	.set _ZN7rocprim17ROCPRIM_400000_NS6detail17trampoline_kernelINS0_13select_configILj256ELj13ELNS0_17block_load_methodE3ELS4_3ELS4_3ELNS0_20block_scan_algorithmE0ELj4294967295EEENS1_25partition_config_selectorILNS1_17partition_subalgoE3EjNS0_10empty_typeEbEEZZNS1_14partition_implILS8_3ELb0ES6_jNS0_17counting_iteratorIjlEEPS9_SE_NS0_5tupleIJPjSE_EEENSF_IJSE_SE_EEES9_SG_JZNS1_25segmented_radix_sort_implINS0_14default_configELb1EPK6__halfPSL_PKlPlN2at6native12_GLOBAL__N_18offset_tEEE10hipError_tPvRmT1_PNSt15iterator_traitsISZ_E10value_typeET2_T3_PNS10_IS15_E10value_typeET4_jRbjT5_S1B_jjP12ihipStream_tbEUljE_EEESW_SX_SY_S15_S19_S1B_T6_T7_T9_mT8_S1D_bDpT10_ENKUlT_T0_E_clISt17integral_constantIbLb0EES1Q_EEDaS1L_S1M_EUlS1L_E_NS1_11comp_targetILNS1_3genE9ELNS1_11target_archE1100ELNS1_3gpuE3ELNS1_3repE0EEENS1_30default_config_static_selectorELNS0_4arch9wavefront6targetE0EEEvSZ_.private_seg_size, 0
	.set _ZN7rocprim17ROCPRIM_400000_NS6detail17trampoline_kernelINS0_13select_configILj256ELj13ELNS0_17block_load_methodE3ELS4_3ELS4_3ELNS0_20block_scan_algorithmE0ELj4294967295EEENS1_25partition_config_selectorILNS1_17partition_subalgoE3EjNS0_10empty_typeEbEEZZNS1_14partition_implILS8_3ELb0ES6_jNS0_17counting_iteratorIjlEEPS9_SE_NS0_5tupleIJPjSE_EEENSF_IJSE_SE_EEES9_SG_JZNS1_25segmented_radix_sort_implINS0_14default_configELb1EPK6__halfPSL_PKlPlN2at6native12_GLOBAL__N_18offset_tEEE10hipError_tPvRmT1_PNSt15iterator_traitsISZ_E10value_typeET2_T3_PNS10_IS15_E10value_typeET4_jRbjT5_S1B_jjP12ihipStream_tbEUljE_EEESW_SX_SY_S15_S19_S1B_T6_T7_T9_mT8_S1D_bDpT10_ENKUlT_T0_E_clISt17integral_constantIbLb0EES1Q_EEDaS1L_S1M_EUlS1L_E_NS1_11comp_targetILNS1_3genE9ELNS1_11target_archE1100ELNS1_3gpuE3ELNS1_3repE0EEENS1_30default_config_static_selectorELNS0_4arch9wavefront6targetE0EEEvSZ_.uses_vcc, 0
	.set _ZN7rocprim17ROCPRIM_400000_NS6detail17trampoline_kernelINS0_13select_configILj256ELj13ELNS0_17block_load_methodE3ELS4_3ELS4_3ELNS0_20block_scan_algorithmE0ELj4294967295EEENS1_25partition_config_selectorILNS1_17partition_subalgoE3EjNS0_10empty_typeEbEEZZNS1_14partition_implILS8_3ELb0ES6_jNS0_17counting_iteratorIjlEEPS9_SE_NS0_5tupleIJPjSE_EEENSF_IJSE_SE_EEES9_SG_JZNS1_25segmented_radix_sort_implINS0_14default_configELb1EPK6__halfPSL_PKlPlN2at6native12_GLOBAL__N_18offset_tEEE10hipError_tPvRmT1_PNSt15iterator_traitsISZ_E10value_typeET2_T3_PNS10_IS15_E10value_typeET4_jRbjT5_S1B_jjP12ihipStream_tbEUljE_EEESW_SX_SY_S15_S19_S1B_T6_T7_T9_mT8_S1D_bDpT10_ENKUlT_T0_E_clISt17integral_constantIbLb0EES1Q_EEDaS1L_S1M_EUlS1L_E_NS1_11comp_targetILNS1_3genE9ELNS1_11target_archE1100ELNS1_3gpuE3ELNS1_3repE0EEENS1_30default_config_static_selectorELNS0_4arch9wavefront6targetE0EEEvSZ_.uses_flat_scratch, 0
	.set _ZN7rocprim17ROCPRIM_400000_NS6detail17trampoline_kernelINS0_13select_configILj256ELj13ELNS0_17block_load_methodE3ELS4_3ELS4_3ELNS0_20block_scan_algorithmE0ELj4294967295EEENS1_25partition_config_selectorILNS1_17partition_subalgoE3EjNS0_10empty_typeEbEEZZNS1_14partition_implILS8_3ELb0ES6_jNS0_17counting_iteratorIjlEEPS9_SE_NS0_5tupleIJPjSE_EEENSF_IJSE_SE_EEES9_SG_JZNS1_25segmented_radix_sort_implINS0_14default_configELb1EPK6__halfPSL_PKlPlN2at6native12_GLOBAL__N_18offset_tEEE10hipError_tPvRmT1_PNSt15iterator_traitsISZ_E10value_typeET2_T3_PNS10_IS15_E10value_typeET4_jRbjT5_S1B_jjP12ihipStream_tbEUljE_EEESW_SX_SY_S15_S19_S1B_T6_T7_T9_mT8_S1D_bDpT10_ENKUlT_T0_E_clISt17integral_constantIbLb0EES1Q_EEDaS1L_S1M_EUlS1L_E_NS1_11comp_targetILNS1_3genE9ELNS1_11target_archE1100ELNS1_3gpuE3ELNS1_3repE0EEENS1_30default_config_static_selectorELNS0_4arch9wavefront6targetE0EEEvSZ_.has_dyn_sized_stack, 0
	.set _ZN7rocprim17ROCPRIM_400000_NS6detail17trampoline_kernelINS0_13select_configILj256ELj13ELNS0_17block_load_methodE3ELS4_3ELS4_3ELNS0_20block_scan_algorithmE0ELj4294967295EEENS1_25partition_config_selectorILNS1_17partition_subalgoE3EjNS0_10empty_typeEbEEZZNS1_14partition_implILS8_3ELb0ES6_jNS0_17counting_iteratorIjlEEPS9_SE_NS0_5tupleIJPjSE_EEENSF_IJSE_SE_EEES9_SG_JZNS1_25segmented_radix_sort_implINS0_14default_configELb1EPK6__halfPSL_PKlPlN2at6native12_GLOBAL__N_18offset_tEEE10hipError_tPvRmT1_PNSt15iterator_traitsISZ_E10value_typeET2_T3_PNS10_IS15_E10value_typeET4_jRbjT5_S1B_jjP12ihipStream_tbEUljE_EEESW_SX_SY_S15_S19_S1B_T6_T7_T9_mT8_S1D_bDpT10_ENKUlT_T0_E_clISt17integral_constantIbLb0EES1Q_EEDaS1L_S1M_EUlS1L_E_NS1_11comp_targetILNS1_3genE9ELNS1_11target_archE1100ELNS1_3gpuE3ELNS1_3repE0EEENS1_30default_config_static_selectorELNS0_4arch9wavefront6targetE0EEEvSZ_.has_recursion, 0
	.set _ZN7rocprim17ROCPRIM_400000_NS6detail17trampoline_kernelINS0_13select_configILj256ELj13ELNS0_17block_load_methodE3ELS4_3ELS4_3ELNS0_20block_scan_algorithmE0ELj4294967295EEENS1_25partition_config_selectorILNS1_17partition_subalgoE3EjNS0_10empty_typeEbEEZZNS1_14partition_implILS8_3ELb0ES6_jNS0_17counting_iteratorIjlEEPS9_SE_NS0_5tupleIJPjSE_EEENSF_IJSE_SE_EEES9_SG_JZNS1_25segmented_radix_sort_implINS0_14default_configELb1EPK6__halfPSL_PKlPlN2at6native12_GLOBAL__N_18offset_tEEE10hipError_tPvRmT1_PNSt15iterator_traitsISZ_E10value_typeET2_T3_PNS10_IS15_E10value_typeET4_jRbjT5_S1B_jjP12ihipStream_tbEUljE_EEESW_SX_SY_S15_S19_S1B_T6_T7_T9_mT8_S1D_bDpT10_ENKUlT_T0_E_clISt17integral_constantIbLb0EES1Q_EEDaS1L_S1M_EUlS1L_E_NS1_11comp_targetILNS1_3genE9ELNS1_11target_archE1100ELNS1_3gpuE3ELNS1_3repE0EEENS1_30default_config_static_selectorELNS0_4arch9wavefront6targetE0EEEvSZ_.has_indirect_call, 0
	.section	.AMDGPU.csdata,"",@progbits
; Kernel info:
; codeLenInByte = 0
; TotalNumSgprs: 0
; NumVgprs: 0
; ScratchSize: 0
; MemoryBound: 0
; FloatMode: 240
; IeeeMode: 1
; LDSByteSize: 0 bytes/workgroup (compile time only)
; SGPRBlocks: 0
; VGPRBlocks: 0
; NumSGPRsForWavesPerEU: 1
; NumVGPRsForWavesPerEU: 1
; Occupancy: 16
; WaveLimiterHint : 0
; COMPUTE_PGM_RSRC2:SCRATCH_EN: 0
; COMPUTE_PGM_RSRC2:USER_SGPR: 2
; COMPUTE_PGM_RSRC2:TRAP_HANDLER: 0
; COMPUTE_PGM_RSRC2:TGID_X_EN: 1
; COMPUTE_PGM_RSRC2:TGID_Y_EN: 0
; COMPUTE_PGM_RSRC2:TGID_Z_EN: 0
; COMPUTE_PGM_RSRC2:TIDIG_COMP_CNT: 0
	.section	.text._ZN7rocprim17ROCPRIM_400000_NS6detail17trampoline_kernelINS0_13select_configILj256ELj13ELNS0_17block_load_methodE3ELS4_3ELS4_3ELNS0_20block_scan_algorithmE0ELj4294967295EEENS1_25partition_config_selectorILNS1_17partition_subalgoE3EjNS0_10empty_typeEbEEZZNS1_14partition_implILS8_3ELb0ES6_jNS0_17counting_iteratorIjlEEPS9_SE_NS0_5tupleIJPjSE_EEENSF_IJSE_SE_EEES9_SG_JZNS1_25segmented_radix_sort_implINS0_14default_configELb1EPK6__halfPSL_PKlPlN2at6native12_GLOBAL__N_18offset_tEEE10hipError_tPvRmT1_PNSt15iterator_traitsISZ_E10value_typeET2_T3_PNS10_IS15_E10value_typeET4_jRbjT5_S1B_jjP12ihipStream_tbEUljE_EEESW_SX_SY_S15_S19_S1B_T6_T7_T9_mT8_S1D_bDpT10_ENKUlT_T0_E_clISt17integral_constantIbLb0EES1Q_EEDaS1L_S1M_EUlS1L_E_NS1_11comp_targetILNS1_3genE8ELNS1_11target_archE1030ELNS1_3gpuE2ELNS1_3repE0EEENS1_30default_config_static_selectorELNS0_4arch9wavefront6targetE0EEEvSZ_,"axG",@progbits,_ZN7rocprim17ROCPRIM_400000_NS6detail17trampoline_kernelINS0_13select_configILj256ELj13ELNS0_17block_load_methodE3ELS4_3ELS4_3ELNS0_20block_scan_algorithmE0ELj4294967295EEENS1_25partition_config_selectorILNS1_17partition_subalgoE3EjNS0_10empty_typeEbEEZZNS1_14partition_implILS8_3ELb0ES6_jNS0_17counting_iteratorIjlEEPS9_SE_NS0_5tupleIJPjSE_EEENSF_IJSE_SE_EEES9_SG_JZNS1_25segmented_radix_sort_implINS0_14default_configELb1EPK6__halfPSL_PKlPlN2at6native12_GLOBAL__N_18offset_tEEE10hipError_tPvRmT1_PNSt15iterator_traitsISZ_E10value_typeET2_T3_PNS10_IS15_E10value_typeET4_jRbjT5_S1B_jjP12ihipStream_tbEUljE_EEESW_SX_SY_S15_S19_S1B_T6_T7_T9_mT8_S1D_bDpT10_ENKUlT_T0_E_clISt17integral_constantIbLb0EES1Q_EEDaS1L_S1M_EUlS1L_E_NS1_11comp_targetILNS1_3genE8ELNS1_11target_archE1030ELNS1_3gpuE2ELNS1_3repE0EEENS1_30default_config_static_selectorELNS0_4arch9wavefront6targetE0EEEvSZ_,comdat
	.globl	_ZN7rocprim17ROCPRIM_400000_NS6detail17trampoline_kernelINS0_13select_configILj256ELj13ELNS0_17block_load_methodE3ELS4_3ELS4_3ELNS0_20block_scan_algorithmE0ELj4294967295EEENS1_25partition_config_selectorILNS1_17partition_subalgoE3EjNS0_10empty_typeEbEEZZNS1_14partition_implILS8_3ELb0ES6_jNS0_17counting_iteratorIjlEEPS9_SE_NS0_5tupleIJPjSE_EEENSF_IJSE_SE_EEES9_SG_JZNS1_25segmented_radix_sort_implINS0_14default_configELb1EPK6__halfPSL_PKlPlN2at6native12_GLOBAL__N_18offset_tEEE10hipError_tPvRmT1_PNSt15iterator_traitsISZ_E10value_typeET2_T3_PNS10_IS15_E10value_typeET4_jRbjT5_S1B_jjP12ihipStream_tbEUljE_EEESW_SX_SY_S15_S19_S1B_T6_T7_T9_mT8_S1D_bDpT10_ENKUlT_T0_E_clISt17integral_constantIbLb0EES1Q_EEDaS1L_S1M_EUlS1L_E_NS1_11comp_targetILNS1_3genE8ELNS1_11target_archE1030ELNS1_3gpuE2ELNS1_3repE0EEENS1_30default_config_static_selectorELNS0_4arch9wavefront6targetE0EEEvSZ_ ; -- Begin function _ZN7rocprim17ROCPRIM_400000_NS6detail17trampoline_kernelINS0_13select_configILj256ELj13ELNS0_17block_load_methodE3ELS4_3ELS4_3ELNS0_20block_scan_algorithmE0ELj4294967295EEENS1_25partition_config_selectorILNS1_17partition_subalgoE3EjNS0_10empty_typeEbEEZZNS1_14partition_implILS8_3ELb0ES6_jNS0_17counting_iteratorIjlEEPS9_SE_NS0_5tupleIJPjSE_EEENSF_IJSE_SE_EEES9_SG_JZNS1_25segmented_radix_sort_implINS0_14default_configELb1EPK6__halfPSL_PKlPlN2at6native12_GLOBAL__N_18offset_tEEE10hipError_tPvRmT1_PNSt15iterator_traitsISZ_E10value_typeET2_T3_PNS10_IS15_E10value_typeET4_jRbjT5_S1B_jjP12ihipStream_tbEUljE_EEESW_SX_SY_S15_S19_S1B_T6_T7_T9_mT8_S1D_bDpT10_ENKUlT_T0_E_clISt17integral_constantIbLb0EES1Q_EEDaS1L_S1M_EUlS1L_E_NS1_11comp_targetILNS1_3genE8ELNS1_11target_archE1030ELNS1_3gpuE2ELNS1_3repE0EEENS1_30default_config_static_selectorELNS0_4arch9wavefront6targetE0EEEvSZ_
	.p2align	8
	.type	_ZN7rocprim17ROCPRIM_400000_NS6detail17trampoline_kernelINS0_13select_configILj256ELj13ELNS0_17block_load_methodE3ELS4_3ELS4_3ELNS0_20block_scan_algorithmE0ELj4294967295EEENS1_25partition_config_selectorILNS1_17partition_subalgoE3EjNS0_10empty_typeEbEEZZNS1_14partition_implILS8_3ELb0ES6_jNS0_17counting_iteratorIjlEEPS9_SE_NS0_5tupleIJPjSE_EEENSF_IJSE_SE_EEES9_SG_JZNS1_25segmented_radix_sort_implINS0_14default_configELb1EPK6__halfPSL_PKlPlN2at6native12_GLOBAL__N_18offset_tEEE10hipError_tPvRmT1_PNSt15iterator_traitsISZ_E10value_typeET2_T3_PNS10_IS15_E10value_typeET4_jRbjT5_S1B_jjP12ihipStream_tbEUljE_EEESW_SX_SY_S15_S19_S1B_T6_T7_T9_mT8_S1D_bDpT10_ENKUlT_T0_E_clISt17integral_constantIbLb0EES1Q_EEDaS1L_S1M_EUlS1L_E_NS1_11comp_targetILNS1_3genE8ELNS1_11target_archE1030ELNS1_3gpuE2ELNS1_3repE0EEENS1_30default_config_static_selectorELNS0_4arch9wavefront6targetE0EEEvSZ_,@function
_ZN7rocprim17ROCPRIM_400000_NS6detail17trampoline_kernelINS0_13select_configILj256ELj13ELNS0_17block_load_methodE3ELS4_3ELS4_3ELNS0_20block_scan_algorithmE0ELj4294967295EEENS1_25partition_config_selectorILNS1_17partition_subalgoE3EjNS0_10empty_typeEbEEZZNS1_14partition_implILS8_3ELb0ES6_jNS0_17counting_iteratorIjlEEPS9_SE_NS0_5tupleIJPjSE_EEENSF_IJSE_SE_EEES9_SG_JZNS1_25segmented_radix_sort_implINS0_14default_configELb1EPK6__halfPSL_PKlPlN2at6native12_GLOBAL__N_18offset_tEEE10hipError_tPvRmT1_PNSt15iterator_traitsISZ_E10value_typeET2_T3_PNS10_IS15_E10value_typeET4_jRbjT5_S1B_jjP12ihipStream_tbEUljE_EEESW_SX_SY_S15_S19_S1B_T6_T7_T9_mT8_S1D_bDpT10_ENKUlT_T0_E_clISt17integral_constantIbLb0EES1Q_EEDaS1L_S1M_EUlS1L_E_NS1_11comp_targetILNS1_3genE8ELNS1_11target_archE1030ELNS1_3gpuE2ELNS1_3repE0EEENS1_30default_config_static_selectorELNS0_4arch9wavefront6targetE0EEEvSZ_: ; @_ZN7rocprim17ROCPRIM_400000_NS6detail17trampoline_kernelINS0_13select_configILj256ELj13ELNS0_17block_load_methodE3ELS4_3ELS4_3ELNS0_20block_scan_algorithmE0ELj4294967295EEENS1_25partition_config_selectorILNS1_17partition_subalgoE3EjNS0_10empty_typeEbEEZZNS1_14partition_implILS8_3ELb0ES6_jNS0_17counting_iteratorIjlEEPS9_SE_NS0_5tupleIJPjSE_EEENSF_IJSE_SE_EEES9_SG_JZNS1_25segmented_radix_sort_implINS0_14default_configELb1EPK6__halfPSL_PKlPlN2at6native12_GLOBAL__N_18offset_tEEE10hipError_tPvRmT1_PNSt15iterator_traitsISZ_E10value_typeET2_T3_PNS10_IS15_E10value_typeET4_jRbjT5_S1B_jjP12ihipStream_tbEUljE_EEESW_SX_SY_S15_S19_S1B_T6_T7_T9_mT8_S1D_bDpT10_ENKUlT_T0_E_clISt17integral_constantIbLb0EES1Q_EEDaS1L_S1M_EUlS1L_E_NS1_11comp_targetILNS1_3genE8ELNS1_11target_archE1030ELNS1_3gpuE2ELNS1_3repE0EEENS1_30default_config_static_selectorELNS0_4arch9wavefront6targetE0EEEvSZ_
; %bb.0:
	.section	.rodata,"a",@progbits
	.p2align	6, 0x0
	.amdhsa_kernel _ZN7rocprim17ROCPRIM_400000_NS6detail17trampoline_kernelINS0_13select_configILj256ELj13ELNS0_17block_load_methodE3ELS4_3ELS4_3ELNS0_20block_scan_algorithmE0ELj4294967295EEENS1_25partition_config_selectorILNS1_17partition_subalgoE3EjNS0_10empty_typeEbEEZZNS1_14partition_implILS8_3ELb0ES6_jNS0_17counting_iteratorIjlEEPS9_SE_NS0_5tupleIJPjSE_EEENSF_IJSE_SE_EEES9_SG_JZNS1_25segmented_radix_sort_implINS0_14default_configELb1EPK6__halfPSL_PKlPlN2at6native12_GLOBAL__N_18offset_tEEE10hipError_tPvRmT1_PNSt15iterator_traitsISZ_E10value_typeET2_T3_PNS10_IS15_E10value_typeET4_jRbjT5_S1B_jjP12ihipStream_tbEUljE_EEESW_SX_SY_S15_S19_S1B_T6_T7_T9_mT8_S1D_bDpT10_ENKUlT_T0_E_clISt17integral_constantIbLb0EES1Q_EEDaS1L_S1M_EUlS1L_E_NS1_11comp_targetILNS1_3genE8ELNS1_11target_archE1030ELNS1_3gpuE2ELNS1_3repE0EEENS1_30default_config_static_selectorELNS0_4arch9wavefront6targetE0EEEvSZ_
		.amdhsa_group_segment_fixed_size 0
		.amdhsa_private_segment_fixed_size 0
		.amdhsa_kernarg_size 144
		.amdhsa_user_sgpr_count 2
		.amdhsa_user_sgpr_dispatch_ptr 0
		.amdhsa_user_sgpr_queue_ptr 0
		.amdhsa_user_sgpr_kernarg_segment_ptr 1
		.amdhsa_user_sgpr_dispatch_id 0
		.amdhsa_user_sgpr_private_segment_size 0
		.amdhsa_wavefront_size32 1
		.amdhsa_uses_dynamic_stack 0
		.amdhsa_enable_private_segment 0
		.amdhsa_system_sgpr_workgroup_id_x 1
		.amdhsa_system_sgpr_workgroup_id_y 0
		.amdhsa_system_sgpr_workgroup_id_z 0
		.amdhsa_system_sgpr_workgroup_info 0
		.amdhsa_system_vgpr_workitem_id 0
		.amdhsa_next_free_vgpr 1
		.amdhsa_next_free_sgpr 1
		.amdhsa_reserve_vcc 0
		.amdhsa_float_round_mode_32 0
		.amdhsa_float_round_mode_16_64 0
		.amdhsa_float_denorm_mode_32 3
		.amdhsa_float_denorm_mode_16_64 3
		.amdhsa_fp16_overflow 0
		.amdhsa_workgroup_processor_mode 1
		.amdhsa_memory_ordered 1
		.amdhsa_forward_progress 1
		.amdhsa_inst_pref_size 0
		.amdhsa_round_robin_scheduling 0
		.amdhsa_exception_fp_ieee_invalid_op 0
		.amdhsa_exception_fp_denorm_src 0
		.amdhsa_exception_fp_ieee_div_zero 0
		.amdhsa_exception_fp_ieee_overflow 0
		.amdhsa_exception_fp_ieee_underflow 0
		.amdhsa_exception_fp_ieee_inexact 0
		.amdhsa_exception_int_div_zero 0
	.end_amdhsa_kernel
	.section	.text._ZN7rocprim17ROCPRIM_400000_NS6detail17trampoline_kernelINS0_13select_configILj256ELj13ELNS0_17block_load_methodE3ELS4_3ELS4_3ELNS0_20block_scan_algorithmE0ELj4294967295EEENS1_25partition_config_selectorILNS1_17partition_subalgoE3EjNS0_10empty_typeEbEEZZNS1_14partition_implILS8_3ELb0ES6_jNS0_17counting_iteratorIjlEEPS9_SE_NS0_5tupleIJPjSE_EEENSF_IJSE_SE_EEES9_SG_JZNS1_25segmented_radix_sort_implINS0_14default_configELb1EPK6__halfPSL_PKlPlN2at6native12_GLOBAL__N_18offset_tEEE10hipError_tPvRmT1_PNSt15iterator_traitsISZ_E10value_typeET2_T3_PNS10_IS15_E10value_typeET4_jRbjT5_S1B_jjP12ihipStream_tbEUljE_EEESW_SX_SY_S15_S19_S1B_T6_T7_T9_mT8_S1D_bDpT10_ENKUlT_T0_E_clISt17integral_constantIbLb0EES1Q_EEDaS1L_S1M_EUlS1L_E_NS1_11comp_targetILNS1_3genE8ELNS1_11target_archE1030ELNS1_3gpuE2ELNS1_3repE0EEENS1_30default_config_static_selectorELNS0_4arch9wavefront6targetE0EEEvSZ_,"axG",@progbits,_ZN7rocprim17ROCPRIM_400000_NS6detail17trampoline_kernelINS0_13select_configILj256ELj13ELNS0_17block_load_methodE3ELS4_3ELS4_3ELNS0_20block_scan_algorithmE0ELj4294967295EEENS1_25partition_config_selectorILNS1_17partition_subalgoE3EjNS0_10empty_typeEbEEZZNS1_14partition_implILS8_3ELb0ES6_jNS0_17counting_iteratorIjlEEPS9_SE_NS0_5tupleIJPjSE_EEENSF_IJSE_SE_EEES9_SG_JZNS1_25segmented_radix_sort_implINS0_14default_configELb1EPK6__halfPSL_PKlPlN2at6native12_GLOBAL__N_18offset_tEEE10hipError_tPvRmT1_PNSt15iterator_traitsISZ_E10value_typeET2_T3_PNS10_IS15_E10value_typeET4_jRbjT5_S1B_jjP12ihipStream_tbEUljE_EEESW_SX_SY_S15_S19_S1B_T6_T7_T9_mT8_S1D_bDpT10_ENKUlT_T0_E_clISt17integral_constantIbLb0EES1Q_EEDaS1L_S1M_EUlS1L_E_NS1_11comp_targetILNS1_3genE8ELNS1_11target_archE1030ELNS1_3gpuE2ELNS1_3repE0EEENS1_30default_config_static_selectorELNS0_4arch9wavefront6targetE0EEEvSZ_,comdat
.Lfunc_end1714:
	.size	_ZN7rocprim17ROCPRIM_400000_NS6detail17trampoline_kernelINS0_13select_configILj256ELj13ELNS0_17block_load_methodE3ELS4_3ELS4_3ELNS0_20block_scan_algorithmE0ELj4294967295EEENS1_25partition_config_selectorILNS1_17partition_subalgoE3EjNS0_10empty_typeEbEEZZNS1_14partition_implILS8_3ELb0ES6_jNS0_17counting_iteratorIjlEEPS9_SE_NS0_5tupleIJPjSE_EEENSF_IJSE_SE_EEES9_SG_JZNS1_25segmented_radix_sort_implINS0_14default_configELb1EPK6__halfPSL_PKlPlN2at6native12_GLOBAL__N_18offset_tEEE10hipError_tPvRmT1_PNSt15iterator_traitsISZ_E10value_typeET2_T3_PNS10_IS15_E10value_typeET4_jRbjT5_S1B_jjP12ihipStream_tbEUljE_EEESW_SX_SY_S15_S19_S1B_T6_T7_T9_mT8_S1D_bDpT10_ENKUlT_T0_E_clISt17integral_constantIbLb0EES1Q_EEDaS1L_S1M_EUlS1L_E_NS1_11comp_targetILNS1_3genE8ELNS1_11target_archE1030ELNS1_3gpuE2ELNS1_3repE0EEENS1_30default_config_static_selectorELNS0_4arch9wavefront6targetE0EEEvSZ_, .Lfunc_end1714-_ZN7rocprim17ROCPRIM_400000_NS6detail17trampoline_kernelINS0_13select_configILj256ELj13ELNS0_17block_load_methodE3ELS4_3ELS4_3ELNS0_20block_scan_algorithmE0ELj4294967295EEENS1_25partition_config_selectorILNS1_17partition_subalgoE3EjNS0_10empty_typeEbEEZZNS1_14partition_implILS8_3ELb0ES6_jNS0_17counting_iteratorIjlEEPS9_SE_NS0_5tupleIJPjSE_EEENSF_IJSE_SE_EEES9_SG_JZNS1_25segmented_radix_sort_implINS0_14default_configELb1EPK6__halfPSL_PKlPlN2at6native12_GLOBAL__N_18offset_tEEE10hipError_tPvRmT1_PNSt15iterator_traitsISZ_E10value_typeET2_T3_PNS10_IS15_E10value_typeET4_jRbjT5_S1B_jjP12ihipStream_tbEUljE_EEESW_SX_SY_S15_S19_S1B_T6_T7_T9_mT8_S1D_bDpT10_ENKUlT_T0_E_clISt17integral_constantIbLb0EES1Q_EEDaS1L_S1M_EUlS1L_E_NS1_11comp_targetILNS1_3genE8ELNS1_11target_archE1030ELNS1_3gpuE2ELNS1_3repE0EEENS1_30default_config_static_selectorELNS0_4arch9wavefront6targetE0EEEvSZ_
                                        ; -- End function
	.set _ZN7rocprim17ROCPRIM_400000_NS6detail17trampoline_kernelINS0_13select_configILj256ELj13ELNS0_17block_load_methodE3ELS4_3ELS4_3ELNS0_20block_scan_algorithmE0ELj4294967295EEENS1_25partition_config_selectorILNS1_17partition_subalgoE3EjNS0_10empty_typeEbEEZZNS1_14partition_implILS8_3ELb0ES6_jNS0_17counting_iteratorIjlEEPS9_SE_NS0_5tupleIJPjSE_EEENSF_IJSE_SE_EEES9_SG_JZNS1_25segmented_radix_sort_implINS0_14default_configELb1EPK6__halfPSL_PKlPlN2at6native12_GLOBAL__N_18offset_tEEE10hipError_tPvRmT1_PNSt15iterator_traitsISZ_E10value_typeET2_T3_PNS10_IS15_E10value_typeET4_jRbjT5_S1B_jjP12ihipStream_tbEUljE_EEESW_SX_SY_S15_S19_S1B_T6_T7_T9_mT8_S1D_bDpT10_ENKUlT_T0_E_clISt17integral_constantIbLb0EES1Q_EEDaS1L_S1M_EUlS1L_E_NS1_11comp_targetILNS1_3genE8ELNS1_11target_archE1030ELNS1_3gpuE2ELNS1_3repE0EEENS1_30default_config_static_selectorELNS0_4arch9wavefront6targetE0EEEvSZ_.num_vgpr, 0
	.set _ZN7rocprim17ROCPRIM_400000_NS6detail17trampoline_kernelINS0_13select_configILj256ELj13ELNS0_17block_load_methodE3ELS4_3ELS4_3ELNS0_20block_scan_algorithmE0ELj4294967295EEENS1_25partition_config_selectorILNS1_17partition_subalgoE3EjNS0_10empty_typeEbEEZZNS1_14partition_implILS8_3ELb0ES6_jNS0_17counting_iteratorIjlEEPS9_SE_NS0_5tupleIJPjSE_EEENSF_IJSE_SE_EEES9_SG_JZNS1_25segmented_radix_sort_implINS0_14default_configELb1EPK6__halfPSL_PKlPlN2at6native12_GLOBAL__N_18offset_tEEE10hipError_tPvRmT1_PNSt15iterator_traitsISZ_E10value_typeET2_T3_PNS10_IS15_E10value_typeET4_jRbjT5_S1B_jjP12ihipStream_tbEUljE_EEESW_SX_SY_S15_S19_S1B_T6_T7_T9_mT8_S1D_bDpT10_ENKUlT_T0_E_clISt17integral_constantIbLb0EES1Q_EEDaS1L_S1M_EUlS1L_E_NS1_11comp_targetILNS1_3genE8ELNS1_11target_archE1030ELNS1_3gpuE2ELNS1_3repE0EEENS1_30default_config_static_selectorELNS0_4arch9wavefront6targetE0EEEvSZ_.num_agpr, 0
	.set _ZN7rocprim17ROCPRIM_400000_NS6detail17trampoline_kernelINS0_13select_configILj256ELj13ELNS0_17block_load_methodE3ELS4_3ELS4_3ELNS0_20block_scan_algorithmE0ELj4294967295EEENS1_25partition_config_selectorILNS1_17partition_subalgoE3EjNS0_10empty_typeEbEEZZNS1_14partition_implILS8_3ELb0ES6_jNS0_17counting_iteratorIjlEEPS9_SE_NS0_5tupleIJPjSE_EEENSF_IJSE_SE_EEES9_SG_JZNS1_25segmented_radix_sort_implINS0_14default_configELb1EPK6__halfPSL_PKlPlN2at6native12_GLOBAL__N_18offset_tEEE10hipError_tPvRmT1_PNSt15iterator_traitsISZ_E10value_typeET2_T3_PNS10_IS15_E10value_typeET4_jRbjT5_S1B_jjP12ihipStream_tbEUljE_EEESW_SX_SY_S15_S19_S1B_T6_T7_T9_mT8_S1D_bDpT10_ENKUlT_T0_E_clISt17integral_constantIbLb0EES1Q_EEDaS1L_S1M_EUlS1L_E_NS1_11comp_targetILNS1_3genE8ELNS1_11target_archE1030ELNS1_3gpuE2ELNS1_3repE0EEENS1_30default_config_static_selectorELNS0_4arch9wavefront6targetE0EEEvSZ_.numbered_sgpr, 0
	.set _ZN7rocprim17ROCPRIM_400000_NS6detail17trampoline_kernelINS0_13select_configILj256ELj13ELNS0_17block_load_methodE3ELS4_3ELS4_3ELNS0_20block_scan_algorithmE0ELj4294967295EEENS1_25partition_config_selectorILNS1_17partition_subalgoE3EjNS0_10empty_typeEbEEZZNS1_14partition_implILS8_3ELb0ES6_jNS0_17counting_iteratorIjlEEPS9_SE_NS0_5tupleIJPjSE_EEENSF_IJSE_SE_EEES9_SG_JZNS1_25segmented_radix_sort_implINS0_14default_configELb1EPK6__halfPSL_PKlPlN2at6native12_GLOBAL__N_18offset_tEEE10hipError_tPvRmT1_PNSt15iterator_traitsISZ_E10value_typeET2_T3_PNS10_IS15_E10value_typeET4_jRbjT5_S1B_jjP12ihipStream_tbEUljE_EEESW_SX_SY_S15_S19_S1B_T6_T7_T9_mT8_S1D_bDpT10_ENKUlT_T0_E_clISt17integral_constantIbLb0EES1Q_EEDaS1L_S1M_EUlS1L_E_NS1_11comp_targetILNS1_3genE8ELNS1_11target_archE1030ELNS1_3gpuE2ELNS1_3repE0EEENS1_30default_config_static_selectorELNS0_4arch9wavefront6targetE0EEEvSZ_.num_named_barrier, 0
	.set _ZN7rocprim17ROCPRIM_400000_NS6detail17trampoline_kernelINS0_13select_configILj256ELj13ELNS0_17block_load_methodE3ELS4_3ELS4_3ELNS0_20block_scan_algorithmE0ELj4294967295EEENS1_25partition_config_selectorILNS1_17partition_subalgoE3EjNS0_10empty_typeEbEEZZNS1_14partition_implILS8_3ELb0ES6_jNS0_17counting_iteratorIjlEEPS9_SE_NS0_5tupleIJPjSE_EEENSF_IJSE_SE_EEES9_SG_JZNS1_25segmented_radix_sort_implINS0_14default_configELb1EPK6__halfPSL_PKlPlN2at6native12_GLOBAL__N_18offset_tEEE10hipError_tPvRmT1_PNSt15iterator_traitsISZ_E10value_typeET2_T3_PNS10_IS15_E10value_typeET4_jRbjT5_S1B_jjP12ihipStream_tbEUljE_EEESW_SX_SY_S15_S19_S1B_T6_T7_T9_mT8_S1D_bDpT10_ENKUlT_T0_E_clISt17integral_constantIbLb0EES1Q_EEDaS1L_S1M_EUlS1L_E_NS1_11comp_targetILNS1_3genE8ELNS1_11target_archE1030ELNS1_3gpuE2ELNS1_3repE0EEENS1_30default_config_static_selectorELNS0_4arch9wavefront6targetE0EEEvSZ_.private_seg_size, 0
	.set _ZN7rocprim17ROCPRIM_400000_NS6detail17trampoline_kernelINS0_13select_configILj256ELj13ELNS0_17block_load_methodE3ELS4_3ELS4_3ELNS0_20block_scan_algorithmE0ELj4294967295EEENS1_25partition_config_selectorILNS1_17partition_subalgoE3EjNS0_10empty_typeEbEEZZNS1_14partition_implILS8_3ELb0ES6_jNS0_17counting_iteratorIjlEEPS9_SE_NS0_5tupleIJPjSE_EEENSF_IJSE_SE_EEES9_SG_JZNS1_25segmented_radix_sort_implINS0_14default_configELb1EPK6__halfPSL_PKlPlN2at6native12_GLOBAL__N_18offset_tEEE10hipError_tPvRmT1_PNSt15iterator_traitsISZ_E10value_typeET2_T3_PNS10_IS15_E10value_typeET4_jRbjT5_S1B_jjP12ihipStream_tbEUljE_EEESW_SX_SY_S15_S19_S1B_T6_T7_T9_mT8_S1D_bDpT10_ENKUlT_T0_E_clISt17integral_constantIbLb0EES1Q_EEDaS1L_S1M_EUlS1L_E_NS1_11comp_targetILNS1_3genE8ELNS1_11target_archE1030ELNS1_3gpuE2ELNS1_3repE0EEENS1_30default_config_static_selectorELNS0_4arch9wavefront6targetE0EEEvSZ_.uses_vcc, 0
	.set _ZN7rocprim17ROCPRIM_400000_NS6detail17trampoline_kernelINS0_13select_configILj256ELj13ELNS0_17block_load_methodE3ELS4_3ELS4_3ELNS0_20block_scan_algorithmE0ELj4294967295EEENS1_25partition_config_selectorILNS1_17partition_subalgoE3EjNS0_10empty_typeEbEEZZNS1_14partition_implILS8_3ELb0ES6_jNS0_17counting_iteratorIjlEEPS9_SE_NS0_5tupleIJPjSE_EEENSF_IJSE_SE_EEES9_SG_JZNS1_25segmented_radix_sort_implINS0_14default_configELb1EPK6__halfPSL_PKlPlN2at6native12_GLOBAL__N_18offset_tEEE10hipError_tPvRmT1_PNSt15iterator_traitsISZ_E10value_typeET2_T3_PNS10_IS15_E10value_typeET4_jRbjT5_S1B_jjP12ihipStream_tbEUljE_EEESW_SX_SY_S15_S19_S1B_T6_T7_T9_mT8_S1D_bDpT10_ENKUlT_T0_E_clISt17integral_constantIbLb0EES1Q_EEDaS1L_S1M_EUlS1L_E_NS1_11comp_targetILNS1_3genE8ELNS1_11target_archE1030ELNS1_3gpuE2ELNS1_3repE0EEENS1_30default_config_static_selectorELNS0_4arch9wavefront6targetE0EEEvSZ_.uses_flat_scratch, 0
	.set _ZN7rocprim17ROCPRIM_400000_NS6detail17trampoline_kernelINS0_13select_configILj256ELj13ELNS0_17block_load_methodE3ELS4_3ELS4_3ELNS0_20block_scan_algorithmE0ELj4294967295EEENS1_25partition_config_selectorILNS1_17partition_subalgoE3EjNS0_10empty_typeEbEEZZNS1_14partition_implILS8_3ELb0ES6_jNS0_17counting_iteratorIjlEEPS9_SE_NS0_5tupleIJPjSE_EEENSF_IJSE_SE_EEES9_SG_JZNS1_25segmented_radix_sort_implINS0_14default_configELb1EPK6__halfPSL_PKlPlN2at6native12_GLOBAL__N_18offset_tEEE10hipError_tPvRmT1_PNSt15iterator_traitsISZ_E10value_typeET2_T3_PNS10_IS15_E10value_typeET4_jRbjT5_S1B_jjP12ihipStream_tbEUljE_EEESW_SX_SY_S15_S19_S1B_T6_T7_T9_mT8_S1D_bDpT10_ENKUlT_T0_E_clISt17integral_constantIbLb0EES1Q_EEDaS1L_S1M_EUlS1L_E_NS1_11comp_targetILNS1_3genE8ELNS1_11target_archE1030ELNS1_3gpuE2ELNS1_3repE0EEENS1_30default_config_static_selectorELNS0_4arch9wavefront6targetE0EEEvSZ_.has_dyn_sized_stack, 0
	.set _ZN7rocprim17ROCPRIM_400000_NS6detail17trampoline_kernelINS0_13select_configILj256ELj13ELNS0_17block_load_methodE3ELS4_3ELS4_3ELNS0_20block_scan_algorithmE0ELj4294967295EEENS1_25partition_config_selectorILNS1_17partition_subalgoE3EjNS0_10empty_typeEbEEZZNS1_14partition_implILS8_3ELb0ES6_jNS0_17counting_iteratorIjlEEPS9_SE_NS0_5tupleIJPjSE_EEENSF_IJSE_SE_EEES9_SG_JZNS1_25segmented_radix_sort_implINS0_14default_configELb1EPK6__halfPSL_PKlPlN2at6native12_GLOBAL__N_18offset_tEEE10hipError_tPvRmT1_PNSt15iterator_traitsISZ_E10value_typeET2_T3_PNS10_IS15_E10value_typeET4_jRbjT5_S1B_jjP12ihipStream_tbEUljE_EEESW_SX_SY_S15_S19_S1B_T6_T7_T9_mT8_S1D_bDpT10_ENKUlT_T0_E_clISt17integral_constantIbLb0EES1Q_EEDaS1L_S1M_EUlS1L_E_NS1_11comp_targetILNS1_3genE8ELNS1_11target_archE1030ELNS1_3gpuE2ELNS1_3repE0EEENS1_30default_config_static_selectorELNS0_4arch9wavefront6targetE0EEEvSZ_.has_recursion, 0
	.set _ZN7rocprim17ROCPRIM_400000_NS6detail17trampoline_kernelINS0_13select_configILj256ELj13ELNS0_17block_load_methodE3ELS4_3ELS4_3ELNS0_20block_scan_algorithmE0ELj4294967295EEENS1_25partition_config_selectorILNS1_17partition_subalgoE3EjNS0_10empty_typeEbEEZZNS1_14partition_implILS8_3ELb0ES6_jNS0_17counting_iteratorIjlEEPS9_SE_NS0_5tupleIJPjSE_EEENSF_IJSE_SE_EEES9_SG_JZNS1_25segmented_radix_sort_implINS0_14default_configELb1EPK6__halfPSL_PKlPlN2at6native12_GLOBAL__N_18offset_tEEE10hipError_tPvRmT1_PNSt15iterator_traitsISZ_E10value_typeET2_T3_PNS10_IS15_E10value_typeET4_jRbjT5_S1B_jjP12ihipStream_tbEUljE_EEESW_SX_SY_S15_S19_S1B_T6_T7_T9_mT8_S1D_bDpT10_ENKUlT_T0_E_clISt17integral_constantIbLb0EES1Q_EEDaS1L_S1M_EUlS1L_E_NS1_11comp_targetILNS1_3genE8ELNS1_11target_archE1030ELNS1_3gpuE2ELNS1_3repE0EEENS1_30default_config_static_selectorELNS0_4arch9wavefront6targetE0EEEvSZ_.has_indirect_call, 0
	.section	.AMDGPU.csdata,"",@progbits
; Kernel info:
; codeLenInByte = 0
; TotalNumSgprs: 0
; NumVgprs: 0
; ScratchSize: 0
; MemoryBound: 0
; FloatMode: 240
; IeeeMode: 1
; LDSByteSize: 0 bytes/workgroup (compile time only)
; SGPRBlocks: 0
; VGPRBlocks: 0
; NumSGPRsForWavesPerEU: 1
; NumVGPRsForWavesPerEU: 1
; Occupancy: 16
; WaveLimiterHint : 0
; COMPUTE_PGM_RSRC2:SCRATCH_EN: 0
; COMPUTE_PGM_RSRC2:USER_SGPR: 2
; COMPUTE_PGM_RSRC2:TRAP_HANDLER: 0
; COMPUTE_PGM_RSRC2:TGID_X_EN: 1
; COMPUTE_PGM_RSRC2:TGID_Y_EN: 0
; COMPUTE_PGM_RSRC2:TGID_Z_EN: 0
; COMPUTE_PGM_RSRC2:TIDIG_COMP_CNT: 0
	.section	.text._ZN7rocprim17ROCPRIM_400000_NS6detail17trampoline_kernelINS0_13select_configILj256ELj13ELNS0_17block_load_methodE3ELS4_3ELS4_3ELNS0_20block_scan_algorithmE0ELj4294967295EEENS1_25partition_config_selectorILNS1_17partition_subalgoE3EjNS0_10empty_typeEbEEZZNS1_14partition_implILS8_3ELb0ES6_jNS0_17counting_iteratorIjlEEPS9_SE_NS0_5tupleIJPjSE_EEENSF_IJSE_SE_EEES9_SG_JZNS1_25segmented_radix_sort_implINS0_14default_configELb1EPK6__halfPSL_PKlPlN2at6native12_GLOBAL__N_18offset_tEEE10hipError_tPvRmT1_PNSt15iterator_traitsISZ_E10value_typeET2_T3_PNS10_IS15_E10value_typeET4_jRbjT5_S1B_jjP12ihipStream_tbEUljE_EEESW_SX_SY_S15_S19_S1B_T6_T7_T9_mT8_S1D_bDpT10_ENKUlT_T0_E_clISt17integral_constantIbLb1EES1Q_EEDaS1L_S1M_EUlS1L_E_NS1_11comp_targetILNS1_3genE0ELNS1_11target_archE4294967295ELNS1_3gpuE0ELNS1_3repE0EEENS1_30default_config_static_selectorELNS0_4arch9wavefront6targetE0EEEvSZ_,"axG",@progbits,_ZN7rocprim17ROCPRIM_400000_NS6detail17trampoline_kernelINS0_13select_configILj256ELj13ELNS0_17block_load_methodE3ELS4_3ELS4_3ELNS0_20block_scan_algorithmE0ELj4294967295EEENS1_25partition_config_selectorILNS1_17partition_subalgoE3EjNS0_10empty_typeEbEEZZNS1_14partition_implILS8_3ELb0ES6_jNS0_17counting_iteratorIjlEEPS9_SE_NS0_5tupleIJPjSE_EEENSF_IJSE_SE_EEES9_SG_JZNS1_25segmented_radix_sort_implINS0_14default_configELb1EPK6__halfPSL_PKlPlN2at6native12_GLOBAL__N_18offset_tEEE10hipError_tPvRmT1_PNSt15iterator_traitsISZ_E10value_typeET2_T3_PNS10_IS15_E10value_typeET4_jRbjT5_S1B_jjP12ihipStream_tbEUljE_EEESW_SX_SY_S15_S19_S1B_T6_T7_T9_mT8_S1D_bDpT10_ENKUlT_T0_E_clISt17integral_constantIbLb1EES1Q_EEDaS1L_S1M_EUlS1L_E_NS1_11comp_targetILNS1_3genE0ELNS1_11target_archE4294967295ELNS1_3gpuE0ELNS1_3repE0EEENS1_30default_config_static_selectorELNS0_4arch9wavefront6targetE0EEEvSZ_,comdat
	.globl	_ZN7rocprim17ROCPRIM_400000_NS6detail17trampoline_kernelINS0_13select_configILj256ELj13ELNS0_17block_load_methodE3ELS4_3ELS4_3ELNS0_20block_scan_algorithmE0ELj4294967295EEENS1_25partition_config_selectorILNS1_17partition_subalgoE3EjNS0_10empty_typeEbEEZZNS1_14partition_implILS8_3ELb0ES6_jNS0_17counting_iteratorIjlEEPS9_SE_NS0_5tupleIJPjSE_EEENSF_IJSE_SE_EEES9_SG_JZNS1_25segmented_radix_sort_implINS0_14default_configELb1EPK6__halfPSL_PKlPlN2at6native12_GLOBAL__N_18offset_tEEE10hipError_tPvRmT1_PNSt15iterator_traitsISZ_E10value_typeET2_T3_PNS10_IS15_E10value_typeET4_jRbjT5_S1B_jjP12ihipStream_tbEUljE_EEESW_SX_SY_S15_S19_S1B_T6_T7_T9_mT8_S1D_bDpT10_ENKUlT_T0_E_clISt17integral_constantIbLb1EES1Q_EEDaS1L_S1M_EUlS1L_E_NS1_11comp_targetILNS1_3genE0ELNS1_11target_archE4294967295ELNS1_3gpuE0ELNS1_3repE0EEENS1_30default_config_static_selectorELNS0_4arch9wavefront6targetE0EEEvSZ_ ; -- Begin function _ZN7rocprim17ROCPRIM_400000_NS6detail17trampoline_kernelINS0_13select_configILj256ELj13ELNS0_17block_load_methodE3ELS4_3ELS4_3ELNS0_20block_scan_algorithmE0ELj4294967295EEENS1_25partition_config_selectorILNS1_17partition_subalgoE3EjNS0_10empty_typeEbEEZZNS1_14partition_implILS8_3ELb0ES6_jNS0_17counting_iteratorIjlEEPS9_SE_NS0_5tupleIJPjSE_EEENSF_IJSE_SE_EEES9_SG_JZNS1_25segmented_radix_sort_implINS0_14default_configELb1EPK6__halfPSL_PKlPlN2at6native12_GLOBAL__N_18offset_tEEE10hipError_tPvRmT1_PNSt15iterator_traitsISZ_E10value_typeET2_T3_PNS10_IS15_E10value_typeET4_jRbjT5_S1B_jjP12ihipStream_tbEUljE_EEESW_SX_SY_S15_S19_S1B_T6_T7_T9_mT8_S1D_bDpT10_ENKUlT_T0_E_clISt17integral_constantIbLb1EES1Q_EEDaS1L_S1M_EUlS1L_E_NS1_11comp_targetILNS1_3genE0ELNS1_11target_archE4294967295ELNS1_3gpuE0ELNS1_3repE0EEENS1_30default_config_static_selectorELNS0_4arch9wavefront6targetE0EEEvSZ_
	.p2align	8
	.type	_ZN7rocprim17ROCPRIM_400000_NS6detail17trampoline_kernelINS0_13select_configILj256ELj13ELNS0_17block_load_methodE3ELS4_3ELS4_3ELNS0_20block_scan_algorithmE0ELj4294967295EEENS1_25partition_config_selectorILNS1_17partition_subalgoE3EjNS0_10empty_typeEbEEZZNS1_14partition_implILS8_3ELb0ES6_jNS0_17counting_iteratorIjlEEPS9_SE_NS0_5tupleIJPjSE_EEENSF_IJSE_SE_EEES9_SG_JZNS1_25segmented_radix_sort_implINS0_14default_configELb1EPK6__halfPSL_PKlPlN2at6native12_GLOBAL__N_18offset_tEEE10hipError_tPvRmT1_PNSt15iterator_traitsISZ_E10value_typeET2_T3_PNS10_IS15_E10value_typeET4_jRbjT5_S1B_jjP12ihipStream_tbEUljE_EEESW_SX_SY_S15_S19_S1B_T6_T7_T9_mT8_S1D_bDpT10_ENKUlT_T0_E_clISt17integral_constantIbLb1EES1Q_EEDaS1L_S1M_EUlS1L_E_NS1_11comp_targetILNS1_3genE0ELNS1_11target_archE4294967295ELNS1_3gpuE0ELNS1_3repE0EEENS1_30default_config_static_selectorELNS0_4arch9wavefront6targetE0EEEvSZ_,@function
_ZN7rocprim17ROCPRIM_400000_NS6detail17trampoline_kernelINS0_13select_configILj256ELj13ELNS0_17block_load_methodE3ELS4_3ELS4_3ELNS0_20block_scan_algorithmE0ELj4294967295EEENS1_25partition_config_selectorILNS1_17partition_subalgoE3EjNS0_10empty_typeEbEEZZNS1_14partition_implILS8_3ELb0ES6_jNS0_17counting_iteratorIjlEEPS9_SE_NS0_5tupleIJPjSE_EEENSF_IJSE_SE_EEES9_SG_JZNS1_25segmented_radix_sort_implINS0_14default_configELb1EPK6__halfPSL_PKlPlN2at6native12_GLOBAL__N_18offset_tEEE10hipError_tPvRmT1_PNSt15iterator_traitsISZ_E10value_typeET2_T3_PNS10_IS15_E10value_typeET4_jRbjT5_S1B_jjP12ihipStream_tbEUljE_EEESW_SX_SY_S15_S19_S1B_T6_T7_T9_mT8_S1D_bDpT10_ENKUlT_T0_E_clISt17integral_constantIbLb1EES1Q_EEDaS1L_S1M_EUlS1L_E_NS1_11comp_targetILNS1_3genE0ELNS1_11target_archE4294967295ELNS1_3gpuE0ELNS1_3repE0EEENS1_30default_config_static_selectorELNS0_4arch9wavefront6targetE0EEEvSZ_: ; @_ZN7rocprim17ROCPRIM_400000_NS6detail17trampoline_kernelINS0_13select_configILj256ELj13ELNS0_17block_load_methodE3ELS4_3ELS4_3ELNS0_20block_scan_algorithmE0ELj4294967295EEENS1_25partition_config_selectorILNS1_17partition_subalgoE3EjNS0_10empty_typeEbEEZZNS1_14partition_implILS8_3ELb0ES6_jNS0_17counting_iteratorIjlEEPS9_SE_NS0_5tupleIJPjSE_EEENSF_IJSE_SE_EEES9_SG_JZNS1_25segmented_radix_sort_implINS0_14default_configELb1EPK6__halfPSL_PKlPlN2at6native12_GLOBAL__N_18offset_tEEE10hipError_tPvRmT1_PNSt15iterator_traitsISZ_E10value_typeET2_T3_PNS10_IS15_E10value_typeET4_jRbjT5_S1B_jjP12ihipStream_tbEUljE_EEESW_SX_SY_S15_S19_S1B_T6_T7_T9_mT8_S1D_bDpT10_ENKUlT_T0_E_clISt17integral_constantIbLb1EES1Q_EEDaS1L_S1M_EUlS1L_E_NS1_11comp_targetILNS1_3genE0ELNS1_11target_archE4294967295ELNS1_3gpuE0ELNS1_3repE0EEENS1_30default_config_static_selectorELNS0_4arch9wavefront6targetE0EEEvSZ_
; %bb.0:
	.section	.rodata,"a",@progbits
	.p2align	6, 0x0
	.amdhsa_kernel _ZN7rocprim17ROCPRIM_400000_NS6detail17trampoline_kernelINS0_13select_configILj256ELj13ELNS0_17block_load_methodE3ELS4_3ELS4_3ELNS0_20block_scan_algorithmE0ELj4294967295EEENS1_25partition_config_selectorILNS1_17partition_subalgoE3EjNS0_10empty_typeEbEEZZNS1_14partition_implILS8_3ELb0ES6_jNS0_17counting_iteratorIjlEEPS9_SE_NS0_5tupleIJPjSE_EEENSF_IJSE_SE_EEES9_SG_JZNS1_25segmented_radix_sort_implINS0_14default_configELb1EPK6__halfPSL_PKlPlN2at6native12_GLOBAL__N_18offset_tEEE10hipError_tPvRmT1_PNSt15iterator_traitsISZ_E10value_typeET2_T3_PNS10_IS15_E10value_typeET4_jRbjT5_S1B_jjP12ihipStream_tbEUljE_EEESW_SX_SY_S15_S19_S1B_T6_T7_T9_mT8_S1D_bDpT10_ENKUlT_T0_E_clISt17integral_constantIbLb1EES1Q_EEDaS1L_S1M_EUlS1L_E_NS1_11comp_targetILNS1_3genE0ELNS1_11target_archE4294967295ELNS1_3gpuE0ELNS1_3repE0EEENS1_30default_config_static_selectorELNS0_4arch9wavefront6targetE0EEEvSZ_
		.amdhsa_group_segment_fixed_size 0
		.amdhsa_private_segment_fixed_size 0
		.amdhsa_kernarg_size 152
		.amdhsa_user_sgpr_count 2
		.amdhsa_user_sgpr_dispatch_ptr 0
		.amdhsa_user_sgpr_queue_ptr 0
		.amdhsa_user_sgpr_kernarg_segment_ptr 1
		.amdhsa_user_sgpr_dispatch_id 0
		.amdhsa_user_sgpr_private_segment_size 0
		.amdhsa_wavefront_size32 1
		.amdhsa_uses_dynamic_stack 0
		.amdhsa_enable_private_segment 0
		.amdhsa_system_sgpr_workgroup_id_x 1
		.amdhsa_system_sgpr_workgroup_id_y 0
		.amdhsa_system_sgpr_workgroup_id_z 0
		.amdhsa_system_sgpr_workgroup_info 0
		.amdhsa_system_vgpr_workitem_id 0
		.amdhsa_next_free_vgpr 1
		.amdhsa_next_free_sgpr 1
		.amdhsa_reserve_vcc 0
		.amdhsa_float_round_mode_32 0
		.amdhsa_float_round_mode_16_64 0
		.amdhsa_float_denorm_mode_32 3
		.amdhsa_float_denorm_mode_16_64 3
		.amdhsa_fp16_overflow 0
		.amdhsa_workgroup_processor_mode 1
		.amdhsa_memory_ordered 1
		.amdhsa_forward_progress 1
		.amdhsa_inst_pref_size 0
		.amdhsa_round_robin_scheduling 0
		.amdhsa_exception_fp_ieee_invalid_op 0
		.amdhsa_exception_fp_denorm_src 0
		.amdhsa_exception_fp_ieee_div_zero 0
		.amdhsa_exception_fp_ieee_overflow 0
		.amdhsa_exception_fp_ieee_underflow 0
		.amdhsa_exception_fp_ieee_inexact 0
		.amdhsa_exception_int_div_zero 0
	.end_amdhsa_kernel
	.section	.text._ZN7rocprim17ROCPRIM_400000_NS6detail17trampoline_kernelINS0_13select_configILj256ELj13ELNS0_17block_load_methodE3ELS4_3ELS4_3ELNS0_20block_scan_algorithmE0ELj4294967295EEENS1_25partition_config_selectorILNS1_17partition_subalgoE3EjNS0_10empty_typeEbEEZZNS1_14partition_implILS8_3ELb0ES6_jNS0_17counting_iteratorIjlEEPS9_SE_NS0_5tupleIJPjSE_EEENSF_IJSE_SE_EEES9_SG_JZNS1_25segmented_radix_sort_implINS0_14default_configELb1EPK6__halfPSL_PKlPlN2at6native12_GLOBAL__N_18offset_tEEE10hipError_tPvRmT1_PNSt15iterator_traitsISZ_E10value_typeET2_T3_PNS10_IS15_E10value_typeET4_jRbjT5_S1B_jjP12ihipStream_tbEUljE_EEESW_SX_SY_S15_S19_S1B_T6_T7_T9_mT8_S1D_bDpT10_ENKUlT_T0_E_clISt17integral_constantIbLb1EES1Q_EEDaS1L_S1M_EUlS1L_E_NS1_11comp_targetILNS1_3genE0ELNS1_11target_archE4294967295ELNS1_3gpuE0ELNS1_3repE0EEENS1_30default_config_static_selectorELNS0_4arch9wavefront6targetE0EEEvSZ_,"axG",@progbits,_ZN7rocprim17ROCPRIM_400000_NS6detail17trampoline_kernelINS0_13select_configILj256ELj13ELNS0_17block_load_methodE3ELS4_3ELS4_3ELNS0_20block_scan_algorithmE0ELj4294967295EEENS1_25partition_config_selectorILNS1_17partition_subalgoE3EjNS0_10empty_typeEbEEZZNS1_14partition_implILS8_3ELb0ES6_jNS0_17counting_iteratorIjlEEPS9_SE_NS0_5tupleIJPjSE_EEENSF_IJSE_SE_EEES9_SG_JZNS1_25segmented_radix_sort_implINS0_14default_configELb1EPK6__halfPSL_PKlPlN2at6native12_GLOBAL__N_18offset_tEEE10hipError_tPvRmT1_PNSt15iterator_traitsISZ_E10value_typeET2_T3_PNS10_IS15_E10value_typeET4_jRbjT5_S1B_jjP12ihipStream_tbEUljE_EEESW_SX_SY_S15_S19_S1B_T6_T7_T9_mT8_S1D_bDpT10_ENKUlT_T0_E_clISt17integral_constantIbLb1EES1Q_EEDaS1L_S1M_EUlS1L_E_NS1_11comp_targetILNS1_3genE0ELNS1_11target_archE4294967295ELNS1_3gpuE0ELNS1_3repE0EEENS1_30default_config_static_selectorELNS0_4arch9wavefront6targetE0EEEvSZ_,comdat
.Lfunc_end1715:
	.size	_ZN7rocprim17ROCPRIM_400000_NS6detail17trampoline_kernelINS0_13select_configILj256ELj13ELNS0_17block_load_methodE3ELS4_3ELS4_3ELNS0_20block_scan_algorithmE0ELj4294967295EEENS1_25partition_config_selectorILNS1_17partition_subalgoE3EjNS0_10empty_typeEbEEZZNS1_14partition_implILS8_3ELb0ES6_jNS0_17counting_iteratorIjlEEPS9_SE_NS0_5tupleIJPjSE_EEENSF_IJSE_SE_EEES9_SG_JZNS1_25segmented_radix_sort_implINS0_14default_configELb1EPK6__halfPSL_PKlPlN2at6native12_GLOBAL__N_18offset_tEEE10hipError_tPvRmT1_PNSt15iterator_traitsISZ_E10value_typeET2_T3_PNS10_IS15_E10value_typeET4_jRbjT5_S1B_jjP12ihipStream_tbEUljE_EEESW_SX_SY_S15_S19_S1B_T6_T7_T9_mT8_S1D_bDpT10_ENKUlT_T0_E_clISt17integral_constantIbLb1EES1Q_EEDaS1L_S1M_EUlS1L_E_NS1_11comp_targetILNS1_3genE0ELNS1_11target_archE4294967295ELNS1_3gpuE0ELNS1_3repE0EEENS1_30default_config_static_selectorELNS0_4arch9wavefront6targetE0EEEvSZ_, .Lfunc_end1715-_ZN7rocprim17ROCPRIM_400000_NS6detail17trampoline_kernelINS0_13select_configILj256ELj13ELNS0_17block_load_methodE3ELS4_3ELS4_3ELNS0_20block_scan_algorithmE0ELj4294967295EEENS1_25partition_config_selectorILNS1_17partition_subalgoE3EjNS0_10empty_typeEbEEZZNS1_14partition_implILS8_3ELb0ES6_jNS0_17counting_iteratorIjlEEPS9_SE_NS0_5tupleIJPjSE_EEENSF_IJSE_SE_EEES9_SG_JZNS1_25segmented_radix_sort_implINS0_14default_configELb1EPK6__halfPSL_PKlPlN2at6native12_GLOBAL__N_18offset_tEEE10hipError_tPvRmT1_PNSt15iterator_traitsISZ_E10value_typeET2_T3_PNS10_IS15_E10value_typeET4_jRbjT5_S1B_jjP12ihipStream_tbEUljE_EEESW_SX_SY_S15_S19_S1B_T6_T7_T9_mT8_S1D_bDpT10_ENKUlT_T0_E_clISt17integral_constantIbLb1EES1Q_EEDaS1L_S1M_EUlS1L_E_NS1_11comp_targetILNS1_3genE0ELNS1_11target_archE4294967295ELNS1_3gpuE0ELNS1_3repE0EEENS1_30default_config_static_selectorELNS0_4arch9wavefront6targetE0EEEvSZ_
                                        ; -- End function
	.set _ZN7rocprim17ROCPRIM_400000_NS6detail17trampoline_kernelINS0_13select_configILj256ELj13ELNS0_17block_load_methodE3ELS4_3ELS4_3ELNS0_20block_scan_algorithmE0ELj4294967295EEENS1_25partition_config_selectorILNS1_17partition_subalgoE3EjNS0_10empty_typeEbEEZZNS1_14partition_implILS8_3ELb0ES6_jNS0_17counting_iteratorIjlEEPS9_SE_NS0_5tupleIJPjSE_EEENSF_IJSE_SE_EEES9_SG_JZNS1_25segmented_radix_sort_implINS0_14default_configELb1EPK6__halfPSL_PKlPlN2at6native12_GLOBAL__N_18offset_tEEE10hipError_tPvRmT1_PNSt15iterator_traitsISZ_E10value_typeET2_T3_PNS10_IS15_E10value_typeET4_jRbjT5_S1B_jjP12ihipStream_tbEUljE_EEESW_SX_SY_S15_S19_S1B_T6_T7_T9_mT8_S1D_bDpT10_ENKUlT_T0_E_clISt17integral_constantIbLb1EES1Q_EEDaS1L_S1M_EUlS1L_E_NS1_11comp_targetILNS1_3genE0ELNS1_11target_archE4294967295ELNS1_3gpuE0ELNS1_3repE0EEENS1_30default_config_static_selectorELNS0_4arch9wavefront6targetE0EEEvSZ_.num_vgpr, 0
	.set _ZN7rocprim17ROCPRIM_400000_NS6detail17trampoline_kernelINS0_13select_configILj256ELj13ELNS0_17block_load_methodE3ELS4_3ELS4_3ELNS0_20block_scan_algorithmE0ELj4294967295EEENS1_25partition_config_selectorILNS1_17partition_subalgoE3EjNS0_10empty_typeEbEEZZNS1_14partition_implILS8_3ELb0ES6_jNS0_17counting_iteratorIjlEEPS9_SE_NS0_5tupleIJPjSE_EEENSF_IJSE_SE_EEES9_SG_JZNS1_25segmented_radix_sort_implINS0_14default_configELb1EPK6__halfPSL_PKlPlN2at6native12_GLOBAL__N_18offset_tEEE10hipError_tPvRmT1_PNSt15iterator_traitsISZ_E10value_typeET2_T3_PNS10_IS15_E10value_typeET4_jRbjT5_S1B_jjP12ihipStream_tbEUljE_EEESW_SX_SY_S15_S19_S1B_T6_T7_T9_mT8_S1D_bDpT10_ENKUlT_T0_E_clISt17integral_constantIbLb1EES1Q_EEDaS1L_S1M_EUlS1L_E_NS1_11comp_targetILNS1_3genE0ELNS1_11target_archE4294967295ELNS1_3gpuE0ELNS1_3repE0EEENS1_30default_config_static_selectorELNS0_4arch9wavefront6targetE0EEEvSZ_.num_agpr, 0
	.set _ZN7rocprim17ROCPRIM_400000_NS6detail17trampoline_kernelINS0_13select_configILj256ELj13ELNS0_17block_load_methodE3ELS4_3ELS4_3ELNS0_20block_scan_algorithmE0ELj4294967295EEENS1_25partition_config_selectorILNS1_17partition_subalgoE3EjNS0_10empty_typeEbEEZZNS1_14partition_implILS8_3ELb0ES6_jNS0_17counting_iteratorIjlEEPS9_SE_NS0_5tupleIJPjSE_EEENSF_IJSE_SE_EEES9_SG_JZNS1_25segmented_radix_sort_implINS0_14default_configELb1EPK6__halfPSL_PKlPlN2at6native12_GLOBAL__N_18offset_tEEE10hipError_tPvRmT1_PNSt15iterator_traitsISZ_E10value_typeET2_T3_PNS10_IS15_E10value_typeET4_jRbjT5_S1B_jjP12ihipStream_tbEUljE_EEESW_SX_SY_S15_S19_S1B_T6_T7_T9_mT8_S1D_bDpT10_ENKUlT_T0_E_clISt17integral_constantIbLb1EES1Q_EEDaS1L_S1M_EUlS1L_E_NS1_11comp_targetILNS1_3genE0ELNS1_11target_archE4294967295ELNS1_3gpuE0ELNS1_3repE0EEENS1_30default_config_static_selectorELNS0_4arch9wavefront6targetE0EEEvSZ_.numbered_sgpr, 0
	.set _ZN7rocprim17ROCPRIM_400000_NS6detail17trampoline_kernelINS0_13select_configILj256ELj13ELNS0_17block_load_methodE3ELS4_3ELS4_3ELNS0_20block_scan_algorithmE0ELj4294967295EEENS1_25partition_config_selectorILNS1_17partition_subalgoE3EjNS0_10empty_typeEbEEZZNS1_14partition_implILS8_3ELb0ES6_jNS0_17counting_iteratorIjlEEPS9_SE_NS0_5tupleIJPjSE_EEENSF_IJSE_SE_EEES9_SG_JZNS1_25segmented_radix_sort_implINS0_14default_configELb1EPK6__halfPSL_PKlPlN2at6native12_GLOBAL__N_18offset_tEEE10hipError_tPvRmT1_PNSt15iterator_traitsISZ_E10value_typeET2_T3_PNS10_IS15_E10value_typeET4_jRbjT5_S1B_jjP12ihipStream_tbEUljE_EEESW_SX_SY_S15_S19_S1B_T6_T7_T9_mT8_S1D_bDpT10_ENKUlT_T0_E_clISt17integral_constantIbLb1EES1Q_EEDaS1L_S1M_EUlS1L_E_NS1_11comp_targetILNS1_3genE0ELNS1_11target_archE4294967295ELNS1_3gpuE0ELNS1_3repE0EEENS1_30default_config_static_selectorELNS0_4arch9wavefront6targetE0EEEvSZ_.num_named_barrier, 0
	.set _ZN7rocprim17ROCPRIM_400000_NS6detail17trampoline_kernelINS0_13select_configILj256ELj13ELNS0_17block_load_methodE3ELS4_3ELS4_3ELNS0_20block_scan_algorithmE0ELj4294967295EEENS1_25partition_config_selectorILNS1_17partition_subalgoE3EjNS0_10empty_typeEbEEZZNS1_14partition_implILS8_3ELb0ES6_jNS0_17counting_iteratorIjlEEPS9_SE_NS0_5tupleIJPjSE_EEENSF_IJSE_SE_EEES9_SG_JZNS1_25segmented_radix_sort_implINS0_14default_configELb1EPK6__halfPSL_PKlPlN2at6native12_GLOBAL__N_18offset_tEEE10hipError_tPvRmT1_PNSt15iterator_traitsISZ_E10value_typeET2_T3_PNS10_IS15_E10value_typeET4_jRbjT5_S1B_jjP12ihipStream_tbEUljE_EEESW_SX_SY_S15_S19_S1B_T6_T7_T9_mT8_S1D_bDpT10_ENKUlT_T0_E_clISt17integral_constantIbLb1EES1Q_EEDaS1L_S1M_EUlS1L_E_NS1_11comp_targetILNS1_3genE0ELNS1_11target_archE4294967295ELNS1_3gpuE0ELNS1_3repE0EEENS1_30default_config_static_selectorELNS0_4arch9wavefront6targetE0EEEvSZ_.private_seg_size, 0
	.set _ZN7rocprim17ROCPRIM_400000_NS6detail17trampoline_kernelINS0_13select_configILj256ELj13ELNS0_17block_load_methodE3ELS4_3ELS4_3ELNS0_20block_scan_algorithmE0ELj4294967295EEENS1_25partition_config_selectorILNS1_17partition_subalgoE3EjNS0_10empty_typeEbEEZZNS1_14partition_implILS8_3ELb0ES6_jNS0_17counting_iteratorIjlEEPS9_SE_NS0_5tupleIJPjSE_EEENSF_IJSE_SE_EEES9_SG_JZNS1_25segmented_radix_sort_implINS0_14default_configELb1EPK6__halfPSL_PKlPlN2at6native12_GLOBAL__N_18offset_tEEE10hipError_tPvRmT1_PNSt15iterator_traitsISZ_E10value_typeET2_T3_PNS10_IS15_E10value_typeET4_jRbjT5_S1B_jjP12ihipStream_tbEUljE_EEESW_SX_SY_S15_S19_S1B_T6_T7_T9_mT8_S1D_bDpT10_ENKUlT_T0_E_clISt17integral_constantIbLb1EES1Q_EEDaS1L_S1M_EUlS1L_E_NS1_11comp_targetILNS1_3genE0ELNS1_11target_archE4294967295ELNS1_3gpuE0ELNS1_3repE0EEENS1_30default_config_static_selectorELNS0_4arch9wavefront6targetE0EEEvSZ_.uses_vcc, 0
	.set _ZN7rocprim17ROCPRIM_400000_NS6detail17trampoline_kernelINS0_13select_configILj256ELj13ELNS0_17block_load_methodE3ELS4_3ELS4_3ELNS0_20block_scan_algorithmE0ELj4294967295EEENS1_25partition_config_selectorILNS1_17partition_subalgoE3EjNS0_10empty_typeEbEEZZNS1_14partition_implILS8_3ELb0ES6_jNS0_17counting_iteratorIjlEEPS9_SE_NS0_5tupleIJPjSE_EEENSF_IJSE_SE_EEES9_SG_JZNS1_25segmented_radix_sort_implINS0_14default_configELb1EPK6__halfPSL_PKlPlN2at6native12_GLOBAL__N_18offset_tEEE10hipError_tPvRmT1_PNSt15iterator_traitsISZ_E10value_typeET2_T3_PNS10_IS15_E10value_typeET4_jRbjT5_S1B_jjP12ihipStream_tbEUljE_EEESW_SX_SY_S15_S19_S1B_T6_T7_T9_mT8_S1D_bDpT10_ENKUlT_T0_E_clISt17integral_constantIbLb1EES1Q_EEDaS1L_S1M_EUlS1L_E_NS1_11comp_targetILNS1_3genE0ELNS1_11target_archE4294967295ELNS1_3gpuE0ELNS1_3repE0EEENS1_30default_config_static_selectorELNS0_4arch9wavefront6targetE0EEEvSZ_.uses_flat_scratch, 0
	.set _ZN7rocprim17ROCPRIM_400000_NS6detail17trampoline_kernelINS0_13select_configILj256ELj13ELNS0_17block_load_methodE3ELS4_3ELS4_3ELNS0_20block_scan_algorithmE0ELj4294967295EEENS1_25partition_config_selectorILNS1_17partition_subalgoE3EjNS0_10empty_typeEbEEZZNS1_14partition_implILS8_3ELb0ES6_jNS0_17counting_iteratorIjlEEPS9_SE_NS0_5tupleIJPjSE_EEENSF_IJSE_SE_EEES9_SG_JZNS1_25segmented_radix_sort_implINS0_14default_configELb1EPK6__halfPSL_PKlPlN2at6native12_GLOBAL__N_18offset_tEEE10hipError_tPvRmT1_PNSt15iterator_traitsISZ_E10value_typeET2_T3_PNS10_IS15_E10value_typeET4_jRbjT5_S1B_jjP12ihipStream_tbEUljE_EEESW_SX_SY_S15_S19_S1B_T6_T7_T9_mT8_S1D_bDpT10_ENKUlT_T0_E_clISt17integral_constantIbLb1EES1Q_EEDaS1L_S1M_EUlS1L_E_NS1_11comp_targetILNS1_3genE0ELNS1_11target_archE4294967295ELNS1_3gpuE0ELNS1_3repE0EEENS1_30default_config_static_selectorELNS0_4arch9wavefront6targetE0EEEvSZ_.has_dyn_sized_stack, 0
	.set _ZN7rocprim17ROCPRIM_400000_NS6detail17trampoline_kernelINS0_13select_configILj256ELj13ELNS0_17block_load_methodE3ELS4_3ELS4_3ELNS0_20block_scan_algorithmE0ELj4294967295EEENS1_25partition_config_selectorILNS1_17partition_subalgoE3EjNS0_10empty_typeEbEEZZNS1_14partition_implILS8_3ELb0ES6_jNS0_17counting_iteratorIjlEEPS9_SE_NS0_5tupleIJPjSE_EEENSF_IJSE_SE_EEES9_SG_JZNS1_25segmented_radix_sort_implINS0_14default_configELb1EPK6__halfPSL_PKlPlN2at6native12_GLOBAL__N_18offset_tEEE10hipError_tPvRmT1_PNSt15iterator_traitsISZ_E10value_typeET2_T3_PNS10_IS15_E10value_typeET4_jRbjT5_S1B_jjP12ihipStream_tbEUljE_EEESW_SX_SY_S15_S19_S1B_T6_T7_T9_mT8_S1D_bDpT10_ENKUlT_T0_E_clISt17integral_constantIbLb1EES1Q_EEDaS1L_S1M_EUlS1L_E_NS1_11comp_targetILNS1_3genE0ELNS1_11target_archE4294967295ELNS1_3gpuE0ELNS1_3repE0EEENS1_30default_config_static_selectorELNS0_4arch9wavefront6targetE0EEEvSZ_.has_recursion, 0
	.set _ZN7rocprim17ROCPRIM_400000_NS6detail17trampoline_kernelINS0_13select_configILj256ELj13ELNS0_17block_load_methodE3ELS4_3ELS4_3ELNS0_20block_scan_algorithmE0ELj4294967295EEENS1_25partition_config_selectorILNS1_17partition_subalgoE3EjNS0_10empty_typeEbEEZZNS1_14partition_implILS8_3ELb0ES6_jNS0_17counting_iteratorIjlEEPS9_SE_NS0_5tupleIJPjSE_EEENSF_IJSE_SE_EEES9_SG_JZNS1_25segmented_radix_sort_implINS0_14default_configELb1EPK6__halfPSL_PKlPlN2at6native12_GLOBAL__N_18offset_tEEE10hipError_tPvRmT1_PNSt15iterator_traitsISZ_E10value_typeET2_T3_PNS10_IS15_E10value_typeET4_jRbjT5_S1B_jjP12ihipStream_tbEUljE_EEESW_SX_SY_S15_S19_S1B_T6_T7_T9_mT8_S1D_bDpT10_ENKUlT_T0_E_clISt17integral_constantIbLb1EES1Q_EEDaS1L_S1M_EUlS1L_E_NS1_11comp_targetILNS1_3genE0ELNS1_11target_archE4294967295ELNS1_3gpuE0ELNS1_3repE0EEENS1_30default_config_static_selectorELNS0_4arch9wavefront6targetE0EEEvSZ_.has_indirect_call, 0
	.section	.AMDGPU.csdata,"",@progbits
; Kernel info:
; codeLenInByte = 0
; TotalNumSgprs: 0
; NumVgprs: 0
; ScratchSize: 0
; MemoryBound: 0
; FloatMode: 240
; IeeeMode: 1
; LDSByteSize: 0 bytes/workgroup (compile time only)
; SGPRBlocks: 0
; VGPRBlocks: 0
; NumSGPRsForWavesPerEU: 1
; NumVGPRsForWavesPerEU: 1
; Occupancy: 16
; WaveLimiterHint : 0
; COMPUTE_PGM_RSRC2:SCRATCH_EN: 0
; COMPUTE_PGM_RSRC2:USER_SGPR: 2
; COMPUTE_PGM_RSRC2:TRAP_HANDLER: 0
; COMPUTE_PGM_RSRC2:TGID_X_EN: 1
; COMPUTE_PGM_RSRC2:TGID_Y_EN: 0
; COMPUTE_PGM_RSRC2:TGID_Z_EN: 0
; COMPUTE_PGM_RSRC2:TIDIG_COMP_CNT: 0
	.section	.text._ZN7rocprim17ROCPRIM_400000_NS6detail17trampoline_kernelINS0_13select_configILj256ELj13ELNS0_17block_load_methodE3ELS4_3ELS4_3ELNS0_20block_scan_algorithmE0ELj4294967295EEENS1_25partition_config_selectorILNS1_17partition_subalgoE3EjNS0_10empty_typeEbEEZZNS1_14partition_implILS8_3ELb0ES6_jNS0_17counting_iteratorIjlEEPS9_SE_NS0_5tupleIJPjSE_EEENSF_IJSE_SE_EEES9_SG_JZNS1_25segmented_radix_sort_implINS0_14default_configELb1EPK6__halfPSL_PKlPlN2at6native12_GLOBAL__N_18offset_tEEE10hipError_tPvRmT1_PNSt15iterator_traitsISZ_E10value_typeET2_T3_PNS10_IS15_E10value_typeET4_jRbjT5_S1B_jjP12ihipStream_tbEUljE_EEESW_SX_SY_S15_S19_S1B_T6_T7_T9_mT8_S1D_bDpT10_ENKUlT_T0_E_clISt17integral_constantIbLb1EES1Q_EEDaS1L_S1M_EUlS1L_E_NS1_11comp_targetILNS1_3genE5ELNS1_11target_archE942ELNS1_3gpuE9ELNS1_3repE0EEENS1_30default_config_static_selectorELNS0_4arch9wavefront6targetE0EEEvSZ_,"axG",@progbits,_ZN7rocprim17ROCPRIM_400000_NS6detail17trampoline_kernelINS0_13select_configILj256ELj13ELNS0_17block_load_methodE3ELS4_3ELS4_3ELNS0_20block_scan_algorithmE0ELj4294967295EEENS1_25partition_config_selectorILNS1_17partition_subalgoE3EjNS0_10empty_typeEbEEZZNS1_14partition_implILS8_3ELb0ES6_jNS0_17counting_iteratorIjlEEPS9_SE_NS0_5tupleIJPjSE_EEENSF_IJSE_SE_EEES9_SG_JZNS1_25segmented_radix_sort_implINS0_14default_configELb1EPK6__halfPSL_PKlPlN2at6native12_GLOBAL__N_18offset_tEEE10hipError_tPvRmT1_PNSt15iterator_traitsISZ_E10value_typeET2_T3_PNS10_IS15_E10value_typeET4_jRbjT5_S1B_jjP12ihipStream_tbEUljE_EEESW_SX_SY_S15_S19_S1B_T6_T7_T9_mT8_S1D_bDpT10_ENKUlT_T0_E_clISt17integral_constantIbLb1EES1Q_EEDaS1L_S1M_EUlS1L_E_NS1_11comp_targetILNS1_3genE5ELNS1_11target_archE942ELNS1_3gpuE9ELNS1_3repE0EEENS1_30default_config_static_selectorELNS0_4arch9wavefront6targetE0EEEvSZ_,comdat
	.globl	_ZN7rocprim17ROCPRIM_400000_NS6detail17trampoline_kernelINS0_13select_configILj256ELj13ELNS0_17block_load_methodE3ELS4_3ELS4_3ELNS0_20block_scan_algorithmE0ELj4294967295EEENS1_25partition_config_selectorILNS1_17partition_subalgoE3EjNS0_10empty_typeEbEEZZNS1_14partition_implILS8_3ELb0ES6_jNS0_17counting_iteratorIjlEEPS9_SE_NS0_5tupleIJPjSE_EEENSF_IJSE_SE_EEES9_SG_JZNS1_25segmented_radix_sort_implINS0_14default_configELb1EPK6__halfPSL_PKlPlN2at6native12_GLOBAL__N_18offset_tEEE10hipError_tPvRmT1_PNSt15iterator_traitsISZ_E10value_typeET2_T3_PNS10_IS15_E10value_typeET4_jRbjT5_S1B_jjP12ihipStream_tbEUljE_EEESW_SX_SY_S15_S19_S1B_T6_T7_T9_mT8_S1D_bDpT10_ENKUlT_T0_E_clISt17integral_constantIbLb1EES1Q_EEDaS1L_S1M_EUlS1L_E_NS1_11comp_targetILNS1_3genE5ELNS1_11target_archE942ELNS1_3gpuE9ELNS1_3repE0EEENS1_30default_config_static_selectorELNS0_4arch9wavefront6targetE0EEEvSZ_ ; -- Begin function _ZN7rocprim17ROCPRIM_400000_NS6detail17trampoline_kernelINS0_13select_configILj256ELj13ELNS0_17block_load_methodE3ELS4_3ELS4_3ELNS0_20block_scan_algorithmE0ELj4294967295EEENS1_25partition_config_selectorILNS1_17partition_subalgoE3EjNS0_10empty_typeEbEEZZNS1_14partition_implILS8_3ELb0ES6_jNS0_17counting_iteratorIjlEEPS9_SE_NS0_5tupleIJPjSE_EEENSF_IJSE_SE_EEES9_SG_JZNS1_25segmented_radix_sort_implINS0_14default_configELb1EPK6__halfPSL_PKlPlN2at6native12_GLOBAL__N_18offset_tEEE10hipError_tPvRmT1_PNSt15iterator_traitsISZ_E10value_typeET2_T3_PNS10_IS15_E10value_typeET4_jRbjT5_S1B_jjP12ihipStream_tbEUljE_EEESW_SX_SY_S15_S19_S1B_T6_T7_T9_mT8_S1D_bDpT10_ENKUlT_T0_E_clISt17integral_constantIbLb1EES1Q_EEDaS1L_S1M_EUlS1L_E_NS1_11comp_targetILNS1_3genE5ELNS1_11target_archE942ELNS1_3gpuE9ELNS1_3repE0EEENS1_30default_config_static_selectorELNS0_4arch9wavefront6targetE0EEEvSZ_
	.p2align	8
	.type	_ZN7rocprim17ROCPRIM_400000_NS6detail17trampoline_kernelINS0_13select_configILj256ELj13ELNS0_17block_load_methodE3ELS4_3ELS4_3ELNS0_20block_scan_algorithmE0ELj4294967295EEENS1_25partition_config_selectorILNS1_17partition_subalgoE3EjNS0_10empty_typeEbEEZZNS1_14partition_implILS8_3ELb0ES6_jNS0_17counting_iteratorIjlEEPS9_SE_NS0_5tupleIJPjSE_EEENSF_IJSE_SE_EEES9_SG_JZNS1_25segmented_radix_sort_implINS0_14default_configELb1EPK6__halfPSL_PKlPlN2at6native12_GLOBAL__N_18offset_tEEE10hipError_tPvRmT1_PNSt15iterator_traitsISZ_E10value_typeET2_T3_PNS10_IS15_E10value_typeET4_jRbjT5_S1B_jjP12ihipStream_tbEUljE_EEESW_SX_SY_S15_S19_S1B_T6_T7_T9_mT8_S1D_bDpT10_ENKUlT_T0_E_clISt17integral_constantIbLb1EES1Q_EEDaS1L_S1M_EUlS1L_E_NS1_11comp_targetILNS1_3genE5ELNS1_11target_archE942ELNS1_3gpuE9ELNS1_3repE0EEENS1_30default_config_static_selectorELNS0_4arch9wavefront6targetE0EEEvSZ_,@function
_ZN7rocprim17ROCPRIM_400000_NS6detail17trampoline_kernelINS0_13select_configILj256ELj13ELNS0_17block_load_methodE3ELS4_3ELS4_3ELNS0_20block_scan_algorithmE0ELj4294967295EEENS1_25partition_config_selectorILNS1_17partition_subalgoE3EjNS0_10empty_typeEbEEZZNS1_14partition_implILS8_3ELb0ES6_jNS0_17counting_iteratorIjlEEPS9_SE_NS0_5tupleIJPjSE_EEENSF_IJSE_SE_EEES9_SG_JZNS1_25segmented_radix_sort_implINS0_14default_configELb1EPK6__halfPSL_PKlPlN2at6native12_GLOBAL__N_18offset_tEEE10hipError_tPvRmT1_PNSt15iterator_traitsISZ_E10value_typeET2_T3_PNS10_IS15_E10value_typeET4_jRbjT5_S1B_jjP12ihipStream_tbEUljE_EEESW_SX_SY_S15_S19_S1B_T6_T7_T9_mT8_S1D_bDpT10_ENKUlT_T0_E_clISt17integral_constantIbLb1EES1Q_EEDaS1L_S1M_EUlS1L_E_NS1_11comp_targetILNS1_3genE5ELNS1_11target_archE942ELNS1_3gpuE9ELNS1_3repE0EEENS1_30default_config_static_selectorELNS0_4arch9wavefront6targetE0EEEvSZ_: ; @_ZN7rocprim17ROCPRIM_400000_NS6detail17trampoline_kernelINS0_13select_configILj256ELj13ELNS0_17block_load_methodE3ELS4_3ELS4_3ELNS0_20block_scan_algorithmE0ELj4294967295EEENS1_25partition_config_selectorILNS1_17partition_subalgoE3EjNS0_10empty_typeEbEEZZNS1_14partition_implILS8_3ELb0ES6_jNS0_17counting_iteratorIjlEEPS9_SE_NS0_5tupleIJPjSE_EEENSF_IJSE_SE_EEES9_SG_JZNS1_25segmented_radix_sort_implINS0_14default_configELb1EPK6__halfPSL_PKlPlN2at6native12_GLOBAL__N_18offset_tEEE10hipError_tPvRmT1_PNSt15iterator_traitsISZ_E10value_typeET2_T3_PNS10_IS15_E10value_typeET4_jRbjT5_S1B_jjP12ihipStream_tbEUljE_EEESW_SX_SY_S15_S19_S1B_T6_T7_T9_mT8_S1D_bDpT10_ENKUlT_T0_E_clISt17integral_constantIbLb1EES1Q_EEDaS1L_S1M_EUlS1L_E_NS1_11comp_targetILNS1_3genE5ELNS1_11target_archE942ELNS1_3gpuE9ELNS1_3repE0EEENS1_30default_config_static_selectorELNS0_4arch9wavefront6targetE0EEEvSZ_
; %bb.0:
	.section	.rodata,"a",@progbits
	.p2align	6, 0x0
	.amdhsa_kernel _ZN7rocprim17ROCPRIM_400000_NS6detail17trampoline_kernelINS0_13select_configILj256ELj13ELNS0_17block_load_methodE3ELS4_3ELS4_3ELNS0_20block_scan_algorithmE0ELj4294967295EEENS1_25partition_config_selectorILNS1_17partition_subalgoE3EjNS0_10empty_typeEbEEZZNS1_14partition_implILS8_3ELb0ES6_jNS0_17counting_iteratorIjlEEPS9_SE_NS0_5tupleIJPjSE_EEENSF_IJSE_SE_EEES9_SG_JZNS1_25segmented_radix_sort_implINS0_14default_configELb1EPK6__halfPSL_PKlPlN2at6native12_GLOBAL__N_18offset_tEEE10hipError_tPvRmT1_PNSt15iterator_traitsISZ_E10value_typeET2_T3_PNS10_IS15_E10value_typeET4_jRbjT5_S1B_jjP12ihipStream_tbEUljE_EEESW_SX_SY_S15_S19_S1B_T6_T7_T9_mT8_S1D_bDpT10_ENKUlT_T0_E_clISt17integral_constantIbLb1EES1Q_EEDaS1L_S1M_EUlS1L_E_NS1_11comp_targetILNS1_3genE5ELNS1_11target_archE942ELNS1_3gpuE9ELNS1_3repE0EEENS1_30default_config_static_selectorELNS0_4arch9wavefront6targetE0EEEvSZ_
		.amdhsa_group_segment_fixed_size 0
		.amdhsa_private_segment_fixed_size 0
		.amdhsa_kernarg_size 152
		.amdhsa_user_sgpr_count 2
		.amdhsa_user_sgpr_dispatch_ptr 0
		.amdhsa_user_sgpr_queue_ptr 0
		.amdhsa_user_sgpr_kernarg_segment_ptr 1
		.amdhsa_user_sgpr_dispatch_id 0
		.amdhsa_user_sgpr_private_segment_size 0
		.amdhsa_wavefront_size32 1
		.amdhsa_uses_dynamic_stack 0
		.amdhsa_enable_private_segment 0
		.amdhsa_system_sgpr_workgroup_id_x 1
		.amdhsa_system_sgpr_workgroup_id_y 0
		.amdhsa_system_sgpr_workgroup_id_z 0
		.amdhsa_system_sgpr_workgroup_info 0
		.amdhsa_system_vgpr_workitem_id 0
		.amdhsa_next_free_vgpr 1
		.amdhsa_next_free_sgpr 1
		.amdhsa_reserve_vcc 0
		.amdhsa_float_round_mode_32 0
		.amdhsa_float_round_mode_16_64 0
		.amdhsa_float_denorm_mode_32 3
		.amdhsa_float_denorm_mode_16_64 3
		.amdhsa_fp16_overflow 0
		.amdhsa_workgroup_processor_mode 1
		.amdhsa_memory_ordered 1
		.amdhsa_forward_progress 1
		.amdhsa_inst_pref_size 0
		.amdhsa_round_robin_scheduling 0
		.amdhsa_exception_fp_ieee_invalid_op 0
		.amdhsa_exception_fp_denorm_src 0
		.amdhsa_exception_fp_ieee_div_zero 0
		.amdhsa_exception_fp_ieee_overflow 0
		.amdhsa_exception_fp_ieee_underflow 0
		.amdhsa_exception_fp_ieee_inexact 0
		.amdhsa_exception_int_div_zero 0
	.end_amdhsa_kernel
	.section	.text._ZN7rocprim17ROCPRIM_400000_NS6detail17trampoline_kernelINS0_13select_configILj256ELj13ELNS0_17block_load_methodE3ELS4_3ELS4_3ELNS0_20block_scan_algorithmE0ELj4294967295EEENS1_25partition_config_selectorILNS1_17partition_subalgoE3EjNS0_10empty_typeEbEEZZNS1_14partition_implILS8_3ELb0ES6_jNS0_17counting_iteratorIjlEEPS9_SE_NS0_5tupleIJPjSE_EEENSF_IJSE_SE_EEES9_SG_JZNS1_25segmented_radix_sort_implINS0_14default_configELb1EPK6__halfPSL_PKlPlN2at6native12_GLOBAL__N_18offset_tEEE10hipError_tPvRmT1_PNSt15iterator_traitsISZ_E10value_typeET2_T3_PNS10_IS15_E10value_typeET4_jRbjT5_S1B_jjP12ihipStream_tbEUljE_EEESW_SX_SY_S15_S19_S1B_T6_T7_T9_mT8_S1D_bDpT10_ENKUlT_T0_E_clISt17integral_constantIbLb1EES1Q_EEDaS1L_S1M_EUlS1L_E_NS1_11comp_targetILNS1_3genE5ELNS1_11target_archE942ELNS1_3gpuE9ELNS1_3repE0EEENS1_30default_config_static_selectorELNS0_4arch9wavefront6targetE0EEEvSZ_,"axG",@progbits,_ZN7rocprim17ROCPRIM_400000_NS6detail17trampoline_kernelINS0_13select_configILj256ELj13ELNS0_17block_load_methodE3ELS4_3ELS4_3ELNS0_20block_scan_algorithmE0ELj4294967295EEENS1_25partition_config_selectorILNS1_17partition_subalgoE3EjNS0_10empty_typeEbEEZZNS1_14partition_implILS8_3ELb0ES6_jNS0_17counting_iteratorIjlEEPS9_SE_NS0_5tupleIJPjSE_EEENSF_IJSE_SE_EEES9_SG_JZNS1_25segmented_radix_sort_implINS0_14default_configELb1EPK6__halfPSL_PKlPlN2at6native12_GLOBAL__N_18offset_tEEE10hipError_tPvRmT1_PNSt15iterator_traitsISZ_E10value_typeET2_T3_PNS10_IS15_E10value_typeET4_jRbjT5_S1B_jjP12ihipStream_tbEUljE_EEESW_SX_SY_S15_S19_S1B_T6_T7_T9_mT8_S1D_bDpT10_ENKUlT_T0_E_clISt17integral_constantIbLb1EES1Q_EEDaS1L_S1M_EUlS1L_E_NS1_11comp_targetILNS1_3genE5ELNS1_11target_archE942ELNS1_3gpuE9ELNS1_3repE0EEENS1_30default_config_static_selectorELNS0_4arch9wavefront6targetE0EEEvSZ_,comdat
.Lfunc_end1716:
	.size	_ZN7rocprim17ROCPRIM_400000_NS6detail17trampoline_kernelINS0_13select_configILj256ELj13ELNS0_17block_load_methodE3ELS4_3ELS4_3ELNS0_20block_scan_algorithmE0ELj4294967295EEENS1_25partition_config_selectorILNS1_17partition_subalgoE3EjNS0_10empty_typeEbEEZZNS1_14partition_implILS8_3ELb0ES6_jNS0_17counting_iteratorIjlEEPS9_SE_NS0_5tupleIJPjSE_EEENSF_IJSE_SE_EEES9_SG_JZNS1_25segmented_radix_sort_implINS0_14default_configELb1EPK6__halfPSL_PKlPlN2at6native12_GLOBAL__N_18offset_tEEE10hipError_tPvRmT1_PNSt15iterator_traitsISZ_E10value_typeET2_T3_PNS10_IS15_E10value_typeET4_jRbjT5_S1B_jjP12ihipStream_tbEUljE_EEESW_SX_SY_S15_S19_S1B_T6_T7_T9_mT8_S1D_bDpT10_ENKUlT_T0_E_clISt17integral_constantIbLb1EES1Q_EEDaS1L_S1M_EUlS1L_E_NS1_11comp_targetILNS1_3genE5ELNS1_11target_archE942ELNS1_3gpuE9ELNS1_3repE0EEENS1_30default_config_static_selectorELNS0_4arch9wavefront6targetE0EEEvSZ_, .Lfunc_end1716-_ZN7rocprim17ROCPRIM_400000_NS6detail17trampoline_kernelINS0_13select_configILj256ELj13ELNS0_17block_load_methodE3ELS4_3ELS4_3ELNS0_20block_scan_algorithmE0ELj4294967295EEENS1_25partition_config_selectorILNS1_17partition_subalgoE3EjNS0_10empty_typeEbEEZZNS1_14partition_implILS8_3ELb0ES6_jNS0_17counting_iteratorIjlEEPS9_SE_NS0_5tupleIJPjSE_EEENSF_IJSE_SE_EEES9_SG_JZNS1_25segmented_radix_sort_implINS0_14default_configELb1EPK6__halfPSL_PKlPlN2at6native12_GLOBAL__N_18offset_tEEE10hipError_tPvRmT1_PNSt15iterator_traitsISZ_E10value_typeET2_T3_PNS10_IS15_E10value_typeET4_jRbjT5_S1B_jjP12ihipStream_tbEUljE_EEESW_SX_SY_S15_S19_S1B_T6_T7_T9_mT8_S1D_bDpT10_ENKUlT_T0_E_clISt17integral_constantIbLb1EES1Q_EEDaS1L_S1M_EUlS1L_E_NS1_11comp_targetILNS1_3genE5ELNS1_11target_archE942ELNS1_3gpuE9ELNS1_3repE0EEENS1_30default_config_static_selectorELNS0_4arch9wavefront6targetE0EEEvSZ_
                                        ; -- End function
	.set _ZN7rocprim17ROCPRIM_400000_NS6detail17trampoline_kernelINS0_13select_configILj256ELj13ELNS0_17block_load_methodE3ELS4_3ELS4_3ELNS0_20block_scan_algorithmE0ELj4294967295EEENS1_25partition_config_selectorILNS1_17partition_subalgoE3EjNS0_10empty_typeEbEEZZNS1_14partition_implILS8_3ELb0ES6_jNS0_17counting_iteratorIjlEEPS9_SE_NS0_5tupleIJPjSE_EEENSF_IJSE_SE_EEES9_SG_JZNS1_25segmented_radix_sort_implINS0_14default_configELb1EPK6__halfPSL_PKlPlN2at6native12_GLOBAL__N_18offset_tEEE10hipError_tPvRmT1_PNSt15iterator_traitsISZ_E10value_typeET2_T3_PNS10_IS15_E10value_typeET4_jRbjT5_S1B_jjP12ihipStream_tbEUljE_EEESW_SX_SY_S15_S19_S1B_T6_T7_T9_mT8_S1D_bDpT10_ENKUlT_T0_E_clISt17integral_constantIbLb1EES1Q_EEDaS1L_S1M_EUlS1L_E_NS1_11comp_targetILNS1_3genE5ELNS1_11target_archE942ELNS1_3gpuE9ELNS1_3repE0EEENS1_30default_config_static_selectorELNS0_4arch9wavefront6targetE0EEEvSZ_.num_vgpr, 0
	.set _ZN7rocprim17ROCPRIM_400000_NS6detail17trampoline_kernelINS0_13select_configILj256ELj13ELNS0_17block_load_methodE3ELS4_3ELS4_3ELNS0_20block_scan_algorithmE0ELj4294967295EEENS1_25partition_config_selectorILNS1_17partition_subalgoE3EjNS0_10empty_typeEbEEZZNS1_14partition_implILS8_3ELb0ES6_jNS0_17counting_iteratorIjlEEPS9_SE_NS0_5tupleIJPjSE_EEENSF_IJSE_SE_EEES9_SG_JZNS1_25segmented_radix_sort_implINS0_14default_configELb1EPK6__halfPSL_PKlPlN2at6native12_GLOBAL__N_18offset_tEEE10hipError_tPvRmT1_PNSt15iterator_traitsISZ_E10value_typeET2_T3_PNS10_IS15_E10value_typeET4_jRbjT5_S1B_jjP12ihipStream_tbEUljE_EEESW_SX_SY_S15_S19_S1B_T6_T7_T9_mT8_S1D_bDpT10_ENKUlT_T0_E_clISt17integral_constantIbLb1EES1Q_EEDaS1L_S1M_EUlS1L_E_NS1_11comp_targetILNS1_3genE5ELNS1_11target_archE942ELNS1_3gpuE9ELNS1_3repE0EEENS1_30default_config_static_selectorELNS0_4arch9wavefront6targetE0EEEvSZ_.num_agpr, 0
	.set _ZN7rocprim17ROCPRIM_400000_NS6detail17trampoline_kernelINS0_13select_configILj256ELj13ELNS0_17block_load_methodE3ELS4_3ELS4_3ELNS0_20block_scan_algorithmE0ELj4294967295EEENS1_25partition_config_selectorILNS1_17partition_subalgoE3EjNS0_10empty_typeEbEEZZNS1_14partition_implILS8_3ELb0ES6_jNS0_17counting_iteratorIjlEEPS9_SE_NS0_5tupleIJPjSE_EEENSF_IJSE_SE_EEES9_SG_JZNS1_25segmented_radix_sort_implINS0_14default_configELb1EPK6__halfPSL_PKlPlN2at6native12_GLOBAL__N_18offset_tEEE10hipError_tPvRmT1_PNSt15iterator_traitsISZ_E10value_typeET2_T3_PNS10_IS15_E10value_typeET4_jRbjT5_S1B_jjP12ihipStream_tbEUljE_EEESW_SX_SY_S15_S19_S1B_T6_T7_T9_mT8_S1D_bDpT10_ENKUlT_T0_E_clISt17integral_constantIbLb1EES1Q_EEDaS1L_S1M_EUlS1L_E_NS1_11comp_targetILNS1_3genE5ELNS1_11target_archE942ELNS1_3gpuE9ELNS1_3repE0EEENS1_30default_config_static_selectorELNS0_4arch9wavefront6targetE0EEEvSZ_.numbered_sgpr, 0
	.set _ZN7rocprim17ROCPRIM_400000_NS6detail17trampoline_kernelINS0_13select_configILj256ELj13ELNS0_17block_load_methodE3ELS4_3ELS4_3ELNS0_20block_scan_algorithmE0ELj4294967295EEENS1_25partition_config_selectorILNS1_17partition_subalgoE3EjNS0_10empty_typeEbEEZZNS1_14partition_implILS8_3ELb0ES6_jNS0_17counting_iteratorIjlEEPS9_SE_NS0_5tupleIJPjSE_EEENSF_IJSE_SE_EEES9_SG_JZNS1_25segmented_radix_sort_implINS0_14default_configELb1EPK6__halfPSL_PKlPlN2at6native12_GLOBAL__N_18offset_tEEE10hipError_tPvRmT1_PNSt15iterator_traitsISZ_E10value_typeET2_T3_PNS10_IS15_E10value_typeET4_jRbjT5_S1B_jjP12ihipStream_tbEUljE_EEESW_SX_SY_S15_S19_S1B_T6_T7_T9_mT8_S1D_bDpT10_ENKUlT_T0_E_clISt17integral_constantIbLb1EES1Q_EEDaS1L_S1M_EUlS1L_E_NS1_11comp_targetILNS1_3genE5ELNS1_11target_archE942ELNS1_3gpuE9ELNS1_3repE0EEENS1_30default_config_static_selectorELNS0_4arch9wavefront6targetE0EEEvSZ_.num_named_barrier, 0
	.set _ZN7rocprim17ROCPRIM_400000_NS6detail17trampoline_kernelINS0_13select_configILj256ELj13ELNS0_17block_load_methodE3ELS4_3ELS4_3ELNS0_20block_scan_algorithmE0ELj4294967295EEENS1_25partition_config_selectorILNS1_17partition_subalgoE3EjNS0_10empty_typeEbEEZZNS1_14partition_implILS8_3ELb0ES6_jNS0_17counting_iteratorIjlEEPS9_SE_NS0_5tupleIJPjSE_EEENSF_IJSE_SE_EEES9_SG_JZNS1_25segmented_radix_sort_implINS0_14default_configELb1EPK6__halfPSL_PKlPlN2at6native12_GLOBAL__N_18offset_tEEE10hipError_tPvRmT1_PNSt15iterator_traitsISZ_E10value_typeET2_T3_PNS10_IS15_E10value_typeET4_jRbjT5_S1B_jjP12ihipStream_tbEUljE_EEESW_SX_SY_S15_S19_S1B_T6_T7_T9_mT8_S1D_bDpT10_ENKUlT_T0_E_clISt17integral_constantIbLb1EES1Q_EEDaS1L_S1M_EUlS1L_E_NS1_11comp_targetILNS1_3genE5ELNS1_11target_archE942ELNS1_3gpuE9ELNS1_3repE0EEENS1_30default_config_static_selectorELNS0_4arch9wavefront6targetE0EEEvSZ_.private_seg_size, 0
	.set _ZN7rocprim17ROCPRIM_400000_NS6detail17trampoline_kernelINS0_13select_configILj256ELj13ELNS0_17block_load_methodE3ELS4_3ELS4_3ELNS0_20block_scan_algorithmE0ELj4294967295EEENS1_25partition_config_selectorILNS1_17partition_subalgoE3EjNS0_10empty_typeEbEEZZNS1_14partition_implILS8_3ELb0ES6_jNS0_17counting_iteratorIjlEEPS9_SE_NS0_5tupleIJPjSE_EEENSF_IJSE_SE_EEES9_SG_JZNS1_25segmented_radix_sort_implINS0_14default_configELb1EPK6__halfPSL_PKlPlN2at6native12_GLOBAL__N_18offset_tEEE10hipError_tPvRmT1_PNSt15iterator_traitsISZ_E10value_typeET2_T3_PNS10_IS15_E10value_typeET4_jRbjT5_S1B_jjP12ihipStream_tbEUljE_EEESW_SX_SY_S15_S19_S1B_T6_T7_T9_mT8_S1D_bDpT10_ENKUlT_T0_E_clISt17integral_constantIbLb1EES1Q_EEDaS1L_S1M_EUlS1L_E_NS1_11comp_targetILNS1_3genE5ELNS1_11target_archE942ELNS1_3gpuE9ELNS1_3repE0EEENS1_30default_config_static_selectorELNS0_4arch9wavefront6targetE0EEEvSZ_.uses_vcc, 0
	.set _ZN7rocprim17ROCPRIM_400000_NS6detail17trampoline_kernelINS0_13select_configILj256ELj13ELNS0_17block_load_methodE3ELS4_3ELS4_3ELNS0_20block_scan_algorithmE0ELj4294967295EEENS1_25partition_config_selectorILNS1_17partition_subalgoE3EjNS0_10empty_typeEbEEZZNS1_14partition_implILS8_3ELb0ES6_jNS0_17counting_iteratorIjlEEPS9_SE_NS0_5tupleIJPjSE_EEENSF_IJSE_SE_EEES9_SG_JZNS1_25segmented_radix_sort_implINS0_14default_configELb1EPK6__halfPSL_PKlPlN2at6native12_GLOBAL__N_18offset_tEEE10hipError_tPvRmT1_PNSt15iterator_traitsISZ_E10value_typeET2_T3_PNS10_IS15_E10value_typeET4_jRbjT5_S1B_jjP12ihipStream_tbEUljE_EEESW_SX_SY_S15_S19_S1B_T6_T7_T9_mT8_S1D_bDpT10_ENKUlT_T0_E_clISt17integral_constantIbLb1EES1Q_EEDaS1L_S1M_EUlS1L_E_NS1_11comp_targetILNS1_3genE5ELNS1_11target_archE942ELNS1_3gpuE9ELNS1_3repE0EEENS1_30default_config_static_selectorELNS0_4arch9wavefront6targetE0EEEvSZ_.uses_flat_scratch, 0
	.set _ZN7rocprim17ROCPRIM_400000_NS6detail17trampoline_kernelINS0_13select_configILj256ELj13ELNS0_17block_load_methodE3ELS4_3ELS4_3ELNS0_20block_scan_algorithmE0ELj4294967295EEENS1_25partition_config_selectorILNS1_17partition_subalgoE3EjNS0_10empty_typeEbEEZZNS1_14partition_implILS8_3ELb0ES6_jNS0_17counting_iteratorIjlEEPS9_SE_NS0_5tupleIJPjSE_EEENSF_IJSE_SE_EEES9_SG_JZNS1_25segmented_radix_sort_implINS0_14default_configELb1EPK6__halfPSL_PKlPlN2at6native12_GLOBAL__N_18offset_tEEE10hipError_tPvRmT1_PNSt15iterator_traitsISZ_E10value_typeET2_T3_PNS10_IS15_E10value_typeET4_jRbjT5_S1B_jjP12ihipStream_tbEUljE_EEESW_SX_SY_S15_S19_S1B_T6_T7_T9_mT8_S1D_bDpT10_ENKUlT_T0_E_clISt17integral_constantIbLb1EES1Q_EEDaS1L_S1M_EUlS1L_E_NS1_11comp_targetILNS1_3genE5ELNS1_11target_archE942ELNS1_3gpuE9ELNS1_3repE0EEENS1_30default_config_static_selectorELNS0_4arch9wavefront6targetE0EEEvSZ_.has_dyn_sized_stack, 0
	.set _ZN7rocprim17ROCPRIM_400000_NS6detail17trampoline_kernelINS0_13select_configILj256ELj13ELNS0_17block_load_methodE3ELS4_3ELS4_3ELNS0_20block_scan_algorithmE0ELj4294967295EEENS1_25partition_config_selectorILNS1_17partition_subalgoE3EjNS0_10empty_typeEbEEZZNS1_14partition_implILS8_3ELb0ES6_jNS0_17counting_iteratorIjlEEPS9_SE_NS0_5tupleIJPjSE_EEENSF_IJSE_SE_EEES9_SG_JZNS1_25segmented_radix_sort_implINS0_14default_configELb1EPK6__halfPSL_PKlPlN2at6native12_GLOBAL__N_18offset_tEEE10hipError_tPvRmT1_PNSt15iterator_traitsISZ_E10value_typeET2_T3_PNS10_IS15_E10value_typeET4_jRbjT5_S1B_jjP12ihipStream_tbEUljE_EEESW_SX_SY_S15_S19_S1B_T6_T7_T9_mT8_S1D_bDpT10_ENKUlT_T0_E_clISt17integral_constantIbLb1EES1Q_EEDaS1L_S1M_EUlS1L_E_NS1_11comp_targetILNS1_3genE5ELNS1_11target_archE942ELNS1_3gpuE9ELNS1_3repE0EEENS1_30default_config_static_selectorELNS0_4arch9wavefront6targetE0EEEvSZ_.has_recursion, 0
	.set _ZN7rocprim17ROCPRIM_400000_NS6detail17trampoline_kernelINS0_13select_configILj256ELj13ELNS0_17block_load_methodE3ELS4_3ELS4_3ELNS0_20block_scan_algorithmE0ELj4294967295EEENS1_25partition_config_selectorILNS1_17partition_subalgoE3EjNS0_10empty_typeEbEEZZNS1_14partition_implILS8_3ELb0ES6_jNS0_17counting_iteratorIjlEEPS9_SE_NS0_5tupleIJPjSE_EEENSF_IJSE_SE_EEES9_SG_JZNS1_25segmented_radix_sort_implINS0_14default_configELb1EPK6__halfPSL_PKlPlN2at6native12_GLOBAL__N_18offset_tEEE10hipError_tPvRmT1_PNSt15iterator_traitsISZ_E10value_typeET2_T3_PNS10_IS15_E10value_typeET4_jRbjT5_S1B_jjP12ihipStream_tbEUljE_EEESW_SX_SY_S15_S19_S1B_T6_T7_T9_mT8_S1D_bDpT10_ENKUlT_T0_E_clISt17integral_constantIbLb1EES1Q_EEDaS1L_S1M_EUlS1L_E_NS1_11comp_targetILNS1_3genE5ELNS1_11target_archE942ELNS1_3gpuE9ELNS1_3repE0EEENS1_30default_config_static_selectorELNS0_4arch9wavefront6targetE0EEEvSZ_.has_indirect_call, 0
	.section	.AMDGPU.csdata,"",@progbits
; Kernel info:
; codeLenInByte = 0
; TotalNumSgprs: 0
; NumVgprs: 0
; ScratchSize: 0
; MemoryBound: 0
; FloatMode: 240
; IeeeMode: 1
; LDSByteSize: 0 bytes/workgroup (compile time only)
; SGPRBlocks: 0
; VGPRBlocks: 0
; NumSGPRsForWavesPerEU: 1
; NumVGPRsForWavesPerEU: 1
; Occupancy: 16
; WaveLimiterHint : 0
; COMPUTE_PGM_RSRC2:SCRATCH_EN: 0
; COMPUTE_PGM_RSRC2:USER_SGPR: 2
; COMPUTE_PGM_RSRC2:TRAP_HANDLER: 0
; COMPUTE_PGM_RSRC2:TGID_X_EN: 1
; COMPUTE_PGM_RSRC2:TGID_Y_EN: 0
; COMPUTE_PGM_RSRC2:TGID_Z_EN: 0
; COMPUTE_PGM_RSRC2:TIDIG_COMP_CNT: 0
	.section	.text._ZN7rocprim17ROCPRIM_400000_NS6detail17trampoline_kernelINS0_13select_configILj256ELj13ELNS0_17block_load_methodE3ELS4_3ELS4_3ELNS0_20block_scan_algorithmE0ELj4294967295EEENS1_25partition_config_selectorILNS1_17partition_subalgoE3EjNS0_10empty_typeEbEEZZNS1_14partition_implILS8_3ELb0ES6_jNS0_17counting_iteratorIjlEEPS9_SE_NS0_5tupleIJPjSE_EEENSF_IJSE_SE_EEES9_SG_JZNS1_25segmented_radix_sort_implINS0_14default_configELb1EPK6__halfPSL_PKlPlN2at6native12_GLOBAL__N_18offset_tEEE10hipError_tPvRmT1_PNSt15iterator_traitsISZ_E10value_typeET2_T3_PNS10_IS15_E10value_typeET4_jRbjT5_S1B_jjP12ihipStream_tbEUljE_EEESW_SX_SY_S15_S19_S1B_T6_T7_T9_mT8_S1D_bDpT10_ENKUlT_T0_E_clISt17integral_constantIbLb1EES1Q_EEDaS1L_S1M_EUlS1L_E_NS1_11comp_targetILNS1_3genE4ELNS1_11target_archE910ELNS1_3gpuE8ELNS1_3repE0EEENS1_30default_config_static_selectorELNS0_4arch9wavefront6targetE0EEEvSZ_,"axG",@progbits,_ZN7rocprim17ROCPRIM_400000_NS6detail17trampoline_kernelINS0_13select_configILj256ELj13ELNS0_17block_load_methodE3ELS4_3ELS4_3ELNS0_20block_scan_algorithmE0ELj4294967295EEENS1_25partition_config_selectorILNS1_17partition_subalgoE3EjNS0_10empty_typeEbEEZZNS1_14partition_implILS8_3ELb0ES6_jNS0_17counting_iteratorIjlEEPS9_SE_NS0_5tupleIJPjSE_EEENSF_IJSE_SE_EEES9_SG_JZNS1_25segmented_radix_sort_implINS0_14default_configELb1EPK6__halfPSL_PKlPlN2at6native12_GLOBAL__N_18offset_tEEE10hipError_tPvRmT1_PNSt15iterator_traitsISZ_E10value_typeET2_T3_PNS10_IS15_E10value_typeET4_jRbjT5_S1B_jjP12ihipStream_tbEUljE_EEESW_SX_SY_S15_S19_S1B_T6_T7_T9_mT8_S1D_bDpT10_ENKUlT_T0_E_clISt17integral_constantIbLb1EES1Q_EEDaS1L_S1M_EUlS1L_E_NS1_11comp_targetILNS1_3genE4ELNS1_11target_archE910ELNS1_3gpuE8ELNS1_3repE0EEENS1_30default_config_static_selectorELNS0_4arch9wavefront6targetE0EEEvSZ_,comdat
	.globl	_ZN7rocprim17ROCPRIM_400000_NS6detail17trampoline_kernelINS0_13select_configILj256ELj13ELNS0_17block_load_methodE3ELS4_3ELS4_3ELNS0_20block_scan_algorithmE0ELj4294967295EEENS1_25partition_config_selectorILNS1_17partition_subalgoE3EjNS0_10empty_typeEbEEZZNS1_14partition_implILS8_3ELb0ES6_jNS0_17counting_iteratorIjlEEPS9_SE_NS0_5tupleIJPjSE_EEENSF_IJSE_SE_EEES9_SG_JZNS1_25segmented_radix_sort_implINS0_14default_configELb1EPK6__halfPSL_PKlPlN2at6native12_GLOBAL__N_18offset_tEEE10hipError_tPvRmT1_PNSt15iterator_traitsISZ_E10value_typeET2_T3_PNS10_IS15_E10value_typeET4_jRbjT5_S1B_jjP12ihipStream_tbEUljE_EEESW_SX_SY_S15_S19_S1B_T6_T7_T9_mT8_S1D_bDpT10_ENKUlT_T0_E_clISt17integral_constantIbLb1EES1Q_EEDaS1L_S1M_EUlS1L_E_NS1_11comp_targetILNS1_3genE4ELNS1_11target_archE910ELNS1_3gpuE8ELNS1_3repE0EEENS1_30default_config_static_selectorELNS0_4arch9wavefront6targetE0EEEvSZ_ ; -- Begin function _ZN7rocprim17ROCPRIM_400000_NS6detail17trampoline_kernelINS0_13select_configILj256ELj13ELNS0_17block_load_methodE3ELS4_3ELS4_3ELNS0_20block_scan_algorithmE0ELj4294967295EEENS1_25partition_config_selectorILNS1_17partition_subalgoE3EjNS0_10empty_typeEbEEZZNS1_14partition_implILS8_3ELb0ES6_jNS0_17counting_iteratorIjlEEPS9_SE_NS0_5tupleIJPjSE_EEENSF_IJSE_SE_EEES9_SG_JZNS1_25segmented_radix_sort_implINS0_14default_configELb1EPK6__halfPSL_PKlPlN2at6native12_GLOBAL__N_18offset_tEEE10hipError_tPvRmT1_PNSt15iterator_traitsISZ_E10value_typeET2_T3_PNS10_IS15_E10value_typeET4_jRbjT5_S1B_jjP12ihipStream_tbEUljE_EEESW_SX_SY_S15_S19_S1B_T6_T7_T9_mT8_S1D_bDpT10_ENKUlT_T0_E_clISt17integral_constantIbLb1EES1Q_EEDaS1L_S1M_EUlS1L_E_NS1_11comp_targetILNS1_3genE4ELNS1_11target_archE910ELNS1_3gpuE8ELNS1_3repE0EEENS1_30default_config_static_selectorELNS0_4arch9wavefront6targetE0EEEvSZ_
	.p2align	8
	.type	_ZN7rocprim17ROCPRIM_400000_NS6detail17trampoline_kernelINS0_13select_configILj256ELj13ELNS0_17block_load_methodE3ELS4_3ELS4_3ELNS0_20block_scan_algorithmE0ELj4294967295EEENS1_25partition_config_selectorILNS1_17partition_subalgoE3EjNS0_10empty_typeEbEEZZNS1_14partition_implILS8_3ELb0ES6_jNS0_17counting_iteratorIjlEEPS9_SE_NS0_5tupleIJPjSE_EEENSF_IJSE_SE_EEES9_SG_JZNS1_25segmented_radix_sort_implINS0_14default_configELb1EPK6__halfPSL_PKlPlN2at6native12_GLOBAL__N_18offset_tEEE10hipError_tPvRmT1_PNSt15iterator_traitsISZ_E10value_typeET2_T3_PNS10_IS15_E10value_typeET4_jRbjT5_S1B_jjP12ihipStream_tbEUljE_EEESW_SX_SY_S15_S19_S1B_T6_T7_T9_mT8_S1D_bDpT10_ENKUlT_T0_E_clISt17integral_constantIbLb1EES1Q_EEDaS1L_S1M_EUlS1L_E_NS1_11comp_targetILNS1_3genE4ELNS1_11target_archE910ELNS1_3gpuE8ELNS1_3repE0EEENS1_30default_config_static_selectorELNS0_4arch9wavefront6targetE0EEEvSZ_,@function
_ZN7rocprim17ROCPRIM_400000_NS6detail17trampoline_kernelINS0_13select_configILj256ELj13ELNS0_17block_load_methodE3ELS4_3ELS4_3ELNS0_20block_scan_algorithmE0ELj4294967295EEENS1_25partition_config_selectorILNS1_17partition_subalgoE3EjNS0_10empty_typeEbEEZZNS1_14partition_implILS8_3ELb0ES6_jNS0_17counting_iteratorIjlEEPS9_SE_NS0_5tupleIJPjSE_EEENSF_IJSE_SE_EEES9_SG_JZNS1_25segmented_radix_sort_implINS0_14default_configELb1EPK6__halfPSL_PKlPlN2at6native12_GLOBAL__N_18offset_tEEE10hipError_tPvRmT1_PNSt15iterator_traitsISZ_E10value_typeET2_T3_PNS10_IS15_E10value_typeET4_jRbjT5_S1B_jjP12ihipStream_tbEUljE_EEESW_SX_SY_S15_S19_S1B_T6_T7_T9_mT8_S1D_bDpT10_ENKUlT_T0_E_clISt17integral_constantIbLb1EES1Q_EEDaS1L_S1M_EUlS1L_E_NS1_11comp_targetILNS1_3genE4ELNS1_11target_archE910ELNS1_3gpuE8ELNS1_3repE0EEENS1_30default_config_static_selectorELNS0_4arch9wavefront6targetE0EEEvSZ_: ; @_ZN7rocprim17ROCPRIM_400000_NS6detail17trampoline_kernelINS0_13select_configILj256ELj13ELNS0_17block_load_methodE3ELS4_3ELS4_3ELNS0_20block_scan_algorithmE0ELj4294967295EEENS1_25partition_config_selectorILNS1_17partition_subalgoE3EjNS0_10empty_typeEbEEZZNS1_14partition_implILS8_3ELb0ES6_jNS0_17counting_iteratorIjlEEPS9_SE_NS0_5tupleIJPjSE_EEENSF_IJSE_SE_EEES9_SG_JZNS1_25segmented_radix_sort_implINS0_14default_configELb1EPK6__halfPSL_PKlPlN2at6native12_GLOBAL__N_18offset_tEEE10hipError_tPvRmT1_PNSt15iterator_traitsISZ_E10value_typeET2_T3_PNS10_IS15_E10value_typeET4_jRbjT5_S1B_jjP12ihipStream_tbEUljE_EEESW_SX_SY_S15_S19_S1B_T6_T7_T9_mT8_S1D_bDpT10_ENKUlT_T0_E_clISt17integral_constantIbLb1EES1Q_EEDaS1L_S1M_EUlS1L_E_NS1_11comp_targetILNS1_3genE4ELNS1_11target_archE910ELNS1_3gpuE8ELNS1_3repE0EEENS1_30default_config_static_selectorELNS0_4arch9wavefront6targetE0EEEvSZ_
; %bb.0:
	.section	.rodata,"a",@progbits
	.p2align	6, 0x0
	.amdhsa_kernel _ZN7rocprim17ROCPRIM_400000_NS6detail17trampoline_kernelINS0_13select_configILj256ELj13ELNS0_17block_load_methodE3ELS4_3ELS4_3ELNS0_20block_scan_algorithmE0ELj4294967295EEENS1_25partition_config_selectorILNS1_17partition_subalgoE3EjNS0_10empty_typeEbEEZZNS1_14partition_implILS8_3ELb0ES6_jNS0_17counting_iteratorIjlEEPS9_SE_NS0_5tupleIJPjSE_EEENSF_IJSE_SE_EEES9_SG_JZNS1_25segmented_radix_sort_implINS0_14default_configELb1EPK6__halfPSL_PKlPlN2at6native12_GLOBAL__N_18offset_tEEE10hipError_tPvRmT1_PNSt15iterator_traitsISZ_E10value_typeET2_T3_PNS10_IS15_E10value_typeET4_jRbjT5_S1B_jjP12ihipStream_tbEUljE_EEESW_SX_SY_S15_S19_S1B_T6_T7_T9_mT8_S1D_bDpT10_ENKUlT_T0_E_clISt17integral_constantIbLb1EES1Q_EEDaS1L_S1M_EUlS1L_E_NS1_11comp_targetILNS1_3genE4ELNS1_11target_archE910ELNS1_3gpuE8ELNS1_3repE0EEENS1_30default_config_static_selectorELNS0_4arch9wavefront6targetE0EEEvSZ_
		.amdhsa_group_segment_fixed_size 0
		.amdhsa_private_segment_fixed_size 0
		.amdhsa_kernarg_size 152
		.amdhsa_user_sgpr_count 2
		.amdhsa_user_sgpr_dispatch_ptr 0
		.amdhsa_user_sgpr_queue_ptr 0
		.amdhsa_user_sgpr_kernarg_segment_ptr 1
		.amdhsa_user_sgpr_dispatch_id 0
		.amdhsa_user_sgpr_private_segment_size 0
		.amdhsa_wavefront_size32 1
		.amdhsa_uses_dynamic_stack 0
		.amdhsa_enable_private_segment 0
		.amdhsa_system_sgpr_workgroup_id_x 1
		.amdhsa_system_sgpr_workgroup_id_y 0
		.amdhsa_system_sgpr_workgroup_id_z 0
		.amdhsa_system_sgpr_workgroup_info 0
		.amdhsa_system_vgpr_workitem_id 0
		.amdhsa_next_free_vgpr 1
		.amdhsa_next_free_sgpr 1
		.amdhsa_reserve_vcc 0
		.amdhsa_float_round_mode_32 0
		.amdhsa_float_round_mode_16_64 0
		.amdhsa_float_denorm_mode_32 3
		.amdhsa_float_denorm_mode_16_64 3
		.amdhsa_fp16_overflow 0
		.amdhsa_workgroup_processor_mode 1
		.amdhsa_memory_ordered 1
		.amdhsa_forward_progress 1
		.amdhsa_inst_pref_size 0
		.amdhsa_round_robin_scheduling 0
		.amdhsa_exception_fp_ieee_invalid_op 0
		.amdhsa_exception_fp_denorm_src 0
		.amdhsa_exception_fp_ieee_div_zero 0
		.amdhsa_exception_fp_ieee_overflow 0
		.amdhsa_exception_fp_ieee_underflow 0
		.amdhsa_exception_fp_ieee_inexact 0
		.amdhsa_exception_int_div_zero 0
	.end_amdhsa_kernel
	.section	.text._ZN7rocprim17ROCPRIM_400000_NS6detail17trampoline_kernelINS0_13select_configILj256ELj13ELNS0_17block_load_methodE3ELS4_3ELS4_3ELNS0_20block_scan_algorithmE0ELj4294967295EEENS1_25partition_config_selectorILNS1_17partition_subalgoE3EjNS0_10empty_typeEbEEZZNS1_14partition_implILS8_3ELb0ES6_jNS0_17counting_iteratorIjlEEPS9_SE_NS0_5tupleIJPjSE_EEENSF_IJSE_SE_EEES9_SG_JZNS1_25segmented_radix_sort_implINS0_14default_configELb1EPK6__halfPSL_PKlPlN2at6native12_GLOBAL__N_18offset_tEEE10hipError_tPvRmT1_PNSt15iterator_traitsISZ_E10value_typeET2_T3_PNS10_IS15_E10value_typeET4_jRbjT5_S1B_jjP12ihipStream_tbEUljE_EEESW_SX_SY_S15_S19_S1B_T6_T7_T9_mT8_S1D_bDpT10_ENKUlT_T0_E_clISt17integral_constantIbLb1EES1Q_EEDaS1L_S1M_EUlS1L_E_NS1_11comp_targetILNS1_3genE4ELNS1_11target_archE910ELNS1_3gpuE8ELNS1_3repE0EEENS1_30default_config_static_selectorELNS0_4arch9wavefront6targetE0EEEvSZ_,"axG",@progbits,_ZN7rocprim17ROCPRIM_400000_NS6detail17trampoline_kernelINS0_13select_configILj256ELj13ELNS0_17block_load_methodE3ELS4_3ELS4_3ELNS0_20block_scan_algorithmE0ELj4294967295EEENS1_25partition_config_selectorILNS1_17partition_subalgoE3EjNS0_10empty_typeEbEEZZNS1_14partition_implILS8_3ELb0ES6_jNS0_17counting_iteratorIjlEEPS9_SE_NS0_5tupleIJPjSE_EEENSF_IJSE_SE_EEES9_SG_JZNS1_25segmented_radix_sort_implINS0_14default_configELb1EPK6__halfPSL_PKlPlN2at6native12_GLOBAL__N_18offset_tEEE10hipError_tPvRmT1_PNSt15iterator_traitsISZ_E10value_typeET2_T3_PNS10_IS15_E10value_typeET4_jRbjT5_S1B_jjP12ihipStream_tbEUljE_EEESW_SX_SY_S15_S19_S1B_T6_T7_T9_mT8_S1D_bDpT10_ENKUlT_T0_E_clISt17integral_constantIbLb1EES1Q_EEDaS1L_S1M_EUlS1L_E_NS1_11comp_targetILNS1_3genE4ELNS1_11target_archE910ELNS1_3gpuE8ELNS1_3repE0EEENS1_30default_config_static_selectorELNS0_4arch9wavefront6targetE0EEEvSZ_,comdat
.Lfunc_end1717:
	.size	_ZN7rocprim17ROCPRIM_400000_NS6detail17trampoline_kernelINS0_13select_configILj256ELj13ELNS0_17block_load_methodE3ELS4_3ELS4_3ELNS0_20block_scan_algorithmE0ELj4294967295EEENS1_25partition_config_selectorILNS1_17partition_subalgoE3EjNS0_10empty_typeEbEEZZNS1_14partition_implILS8_3ELb0ES6_jNS0_17counting_iteratorIjlEEPS9_SE_NS0_5tupleIJPjSE_EEENSF_IJSE_SE_EEES9_SG_JZNS1_25segmented_radix_sort_implINS0_14default_configELb1EPK6__halfPSL_PKlPlN2at6native12_GLOBAL__N_18offset_tEEE10hipError_tPvRmT1_PNSt15iterator_traitsISZ_E10value_typeET2_T3_PNS10_IS15_E10value_typeET4_jRbjT5_S1B_jjP12ihipStream_tbEUljE_EEESW_SX_SY_S15_S19_S1B_T6_T7_T9_mT8_S1D_bDpT10_ENKUlT_T0_E_clISt17integral_constantIbLb1EES1Q_EEDaS1L_S1M_EUlS1L_E_NS1_11comp_targetILNS1_3genE4ELNS1_11target_archE910ELNS1_3gpuE8ELNS1_3repE0EEENS1_30default_config_static_selectorELNS0_4arch9wavefront6targetE0EEEvSZ_, .Lfunc_end1717-_ZN7rocprim17ROCPRIM_400000_NS6detail17trampoline_kernelINS0_13select_configILj256ELj13ELNS0_17block_load_methodE3ELS4_3ELS4_3ELNS0_20block_scan_algorithmE0ELj4294967295EEENS1_25partition_config_selectorILNS1_17partition_subalgoE3EjNS0_10empty_typeEbEEZZNS1_14partition_implILS8_3ELb0ES6_jNS0_17counting_iteratorIjlEEPS9_SE_NS0_5tupleIJPjSE_EEENSF_IJSE_SE_EEES9_SG_JZNS1_25segmented_radix_sort_implINS0_14default_configELb1EPK6__halfPSL_PKlPlN2at6native12_GLOBAL__N_18offset_tEEE10hipError_tPvRmT1_PNSt15iterator_traitsISZ_E10value_typeET2_T3_PNS10_IS15_E10value_typeET4_jRbjT5_S1B_jjP12ihipStream_tbEUljE_EEESW_SX_SY_S15_S19_S1B_T6_T7_T9_mT8_S1D_bDpT10_ENKUlT_T0_E_clISt17integral_constantIbLb1EES1Q_EEDaS1L_S1M_EUlS1L_E_NS1_11comp_targetILNS1_3genE4ELNS1_11target_archE910ELNS1_3gpuE8ELNS1_3repE0EEENS1_30default_config_static_selectorELNS0_4arch9wavefront6targetE0EEEvSZ_
                                        ; -- End function
	.set _ZN7rocprim17ROCPRIM_400000_NS6detail17trampoline_kernelINS0_13select_configILj256ELj13ELNS0_17block_load_methodE3ELS4_3ELS4_3ELNS0_20block_scan_algorithmE0ELj4294967295EEENS1_25partition_config_selectorILNS1_17partition_subalgoE3EjNS0_10empty_typeEbEEZZNS1_14partition_implILS8_3ELb0ES6_jNS0_17counting_iteratorIjlEEPS9_SE_NS0_5tupleIJPjSE_EEENSF_IJSE_SE_EEES9_SG_JZNS1_25segmented_radix_sort_implINS0_14default_configELb1EPK6__halfPSL_PKlPlN2at6native12_GLOBAL__N_18offset_tEEE10hipError_tPvRmT1_PNSt15iterator_traitsISZ_E10value_typeET2_T3_PNS10_IS15_E10value_typeET4_jRbjT5_S1B_jjP12ihipStream_tbEUljE_EEESW_SX_SY_S15_S19_S1B_T6_T7_T9_mT8_S1D_bDpT10_ENKUlT_T0_E_clISt17integral_constantIbLb1EES1Q_EEDaS1L_S1M_EUlS1L_E_NS1_11comp_targetILNS1_3genE4ELNS1_11target_archE910ELNS1_3gpuE8ELNS1_3repE0EEENS1_30default_config_static_selectorELNS0_4arch9wavefront6targetE0EEEvSZ_.num_vgpr, 0
	.set _ZN7rocprim17ROCPRIM_400000_NS6detail17trampoline_kernelINS0_13select_configILj256ELj13ELNS0_17block_load_methodE3ELS4_3ELS4_3ELNS0_20block_scan_algorithmE0ELj4294967295EEENS1_25partition_config_selectorILNS1_17partition_subalgoE3EjNS0_10empty_typeEbEEZZNS1_14partition_implILS8_3ELb0ES6_jNS0_17counting_iteratorIjlEEPS9_SE_NS0_5tupleIJPjSE_EEENSF_IJSE_SE_EEES9_SG_JZNS1_25segmented_radix_sort_implINS0_14default_configELb1EPK6__halfPSL_PKlPlN2at6native12_GLOBAL__N_18offset_tEEE10hipError_tPvRmT1_PNSt15iterator_traitsISZ_E10value_typeET2_T3_PNS10_IS15_E10value_typeET4_jRbjT5_S1B_jjP12ihipStream_tbEUljE_EEESW_SX_SY_S15_S19_S1B_T6_T7_T9_mT8_S1D_bDpT10_ENKUlT_T0_E_clISt17integral_constantIbLb1EES1Q_EEDaS1L_S1M_EUlS1L_E_NS1_11comp_targetILNS1_3genE4ELNS1_11target_archE910ELNS1_3gpuE8ELNS1_3repE0EEENS1_30default_config_static_selectorELNS0_4arch9wavefront6targetE0EEEvSZ_.num_agpr, 0
	.set _ZN7rocprim17ROCPRIM_400000_NS6detail17trampoline_kernelINS0_13select_configILj256ELj13ELNS0_17block_load_methodE3ELS4_3ELS4_3ELNS0_20block_scan_algorithmE0ELj4294967295EEENS1_25partition_config_selectorILNS1_17partition_subalgoE3EjNS0_10empty_typeEbEEZZNS1_14partition_implILS8_3ELb0ES6_jNS0_17counting_iteratorIjlEEPS9_SE_NS0_5tupleIJPjSE_EEENSF_IJSE_SE_EEES9_SG_JZNS1_25segmented_radix_sort_implINS0_14default_configELb1EPK6__halfPSL_PKlPlN2at6native12_GLOBAL__N_18offset_tEEE10hipError_tPvRmT1_PNSt15iterator_traitsISZ_E10value_typeET2_T3_PNS10_IS15_E10value_typeET4_jRbjT5_S1B_jjP12ihipStream_tbEUljE_EEESW_SX_SY_S15_S19_S1B_T6_T7_T9_mT8_S1D_bDpT10_ENKUlT_T0_E_clISt17integral_constantIbLb1EES1Q_EEDaS1L_S1M_EUlS1L_E_NS1_11comp_targetILNS1_3genE4ELNS1_11target_archE910ELNS1_3gpuE8ELNS1_3repE0EEENS1_30default_config_static_selectorELNS0_4arch9wavefront6targetE0EEEvSZ_.numbered_sgpr, 0
	.set _ZN7rocprim17ROCPRIM_400000_NS6detail17trampoline_kernelINS0_13select_configILj256ELj13ELNS0_17block_load_methodE3ELS4_3ELS4_3ELNS0_20block_scan_algorithmE0ELj4294967295EEENS1_25partition_config_selectorILNS1_17partition_subalgoE3EjNS0_10empty_typeEbEEZZNS1_14partition_implILS8_3ELb0ES6_jNS0_17counting_iteratorIjlEEPS9_SE_NS0_5tupleIJPjSE_EEENSF_IJSE_SE_EEES9_SG_JZNS1_25segmented_radix_sort_implINS0_14default_configELb1EPK6__halfPSL_PKlPlN2at6native12_GLOBAL__N_18offset_tEEE10hipError_tPvRmT1_PNSt15iterator_traitsISZ_E10value_typeET2_T3_PNS10_IS15_E10value_typeET4_jRbjT5_S1B_jjP12ihipStream_tbEUljE_EEESW_SX_SY_S15_S19_S1B_T6_T7_T9_mT8_S1D_bDpT10_ENKUlT_T0_E_clISt17integral_constantIbLb1EES1Q_EEDaS1L_S1M_EUlS1L_E_NS1_11comp_targetILNS1_3genE4ELNS1_11target_archE910ELNS1_3gpuE8ELNS1_3repE0EEENS1_30default_config_static_selectorELNS0_4arch9wavefront6targetE0EEEvSZ_.num_named_barrier, 0
	.set _ZN7rocprim17ROCPRIM_400000_NS6detail17trampoline_kernelINS0_13select_configILj256ELj13ELNS0_17block_load_methodE3ELS4_3ELS4_3ELNS0_20block_scan_algorithmE0ELj4294967295EEENS1_25partition_config_selectorILNS1_17partition_subalgoE3EjNS0_10empty_typeEbEEZZNS1_14partition_implILS8_3ELb0ES6_jNS0_17counting_iteratorIjlEEPS9_SE_NS0_5tupleIJPjSE_EEENSF_IJSE_SE_EEES9_SG_JZNS1_25segmented_radix_sort_implINS0_14default_configELb1EPK6__halfPSL_PKlPlN2at6native12_GLOBAL__N_18offset_tEEE10hipError_tPvRmT1_PNSt15iterator_traitsISZ_E10value_typeET2_T3_PNS10_IS15_E10value_typeET4_jRbjT5_S1B_jjP12ihipStream_tbEUljE_EEESW_SX_SY_S15_S19_S1B_T6_T7_T9_mT8_S1D_bDpT10_ENKUlT_T0_E_clISt17integral_constantIbLb1EES1Q_EEDaS1L_S1M_EUlS1L_E_NS1_11comp_targetILNS1_3genE4ELNS1_11target_archE910ELNS1_3gpuE8ELNS1_3repE0EEENS1_30default_config_static_selectorELNS0_4arch9wavefront6targetE0EEEvSZ_.private_seg_size, 0
	.set _ZN7rocprim17ROCPRIM_400000_NS6detail17trampoline_kernelINS0_13select_configILj256ELj13ELNS0_17block_load_methodE3ELS4_3ELS4_3ELNS0_20block_scan_algorithmE0ELj4294967295EEENS1_25partition_config_selectorILNS1_17partition_subalgoE3EjNS0_10empty_typeEbEEZZNS1_14partition_implILS8_3ELb0ES6_jNS0_17counting_iteratorIjlEEPS9_SE_NS0_5tupleIJPjSE_EEENSF_IJSE_SE_EEES9_SG_JZNS1_25segmented_radix_sort_implINS0_14default_configELb1EPK6__halfPSL_PKlPlN2at6native12_GLOBAL__N_18offset_tEEE10hipError_tPvRmT1_PNSt15iterator_traitsISZ_E10value_typeET2_T3_PNS10_IS15_E10value_typeET4_jRbjT5_S1B_jjP12ihipStream_tbEUljE_EEESW_SX_SY_S15_S19_S1B_T6_T7_T9_mT8_S1D_bDpT10_ENKUlT_T0_E_clISt17integral_constantIbLb1EES1Q_EEDaS1L_S1M_EUlS1L_E_NS1_11comp_targetILNS1_3genE4ELNS1_11target_archE910ELNS1_3gpuE8ELNS1_3repE0EEENS1_30default_config_static_selectorELNS0_4arch9wavefront6targetE0EEEvSZ_.uses_vcc, 0
	.set _ZN7rocprim17ROCPRIM_400000_NS6detail17trampoline_kernelINS0_13select_configILj256ELj13ELNS0_17block_load_methodE3ELS4_3ELS4_3ELNS0_20block_scan_algorithmE0ELj4294967295EEENS1_25partition_config_selectorILNS1_17partition_subalgoE3EjNS0_10empty_typeEbEEZZNS1_14partition_implILS8_3ELb0ES6_jNS0_17counting_iteratorIjlEEPS9_SE_NS0_5tupleIJPjSE_EEENSF_IJSE_SE_EEES9_SG_JZNS1_25segmented_radix_sort_implINS0_14default_configELb1EPK6__halfPSL_PKlPlN2at6native12_GLOBAL__N_18offset_tEEE10hipError_tPvRmT1_PNSt15iterator_traitsISZ_E10value_typeET2_T3_PNS10_IS15_E10value_typeET4_jRbjT5_S1B_jjP12ihipStream_tbEUljE_EEESW_SX_SY_S15_S19_S1B_T6_T7_T9_mT8_S1D_bDpT10_ENKUlT_T0_E_clISt17integral_constantIbLb1EES1Q_EEDaS1L_S1M_EUlS1L_E_NS1_11comp_targetILNS1_3genE4ELNS1_11target_archE910ELNS1_3gpuE8ELNS1_3repE0EEENS1_30default_config_static_selectorELNS0_4arch9wavefront6targetE0EEEvSZ_.uses_flat_scratch, 0
	.set _ZN7rocprim17ROCPRIM_400000_NS6detail17trampoline_kernelINS0_13select_configILj256ELj13ELNS0_17block_load_methodE3ELS4_3ELS4_3ELNS0_20block_scan_algorithmE0ELj4294967295EEENS1_25partition_config_selectorILNS1_17partition_subalgoE3EjNS0_10empty_typeEbEEZZNS1_14partition_implILS8_3ELb0ES6_jNS0_17counting_iteratorIjlEEPS9_SE_NS0_5tupleIJPjSE_EEENSF_IJSE_SE_EEES9_SG_JZNS1_25segmented_radix_sort_implINS0_14default_configELb1EPK6__halfPSL_PKlPlN2at6native12_GLOBAL__N_18offset_tEEE10hipError_tPvRmT1_PNSt15iterator_traitsISZ_E10value_typeET2_T3_PNS10_IS15_E10value_typeET4_jRbjT5_S1B_jjP12ihipStream_tbEUljE_EEESW_SX_SY_S15_S19_S1B_T6_T7_T9_mT8_S1D_bDpT10_ENKUlT_T0_E_clISt17integral_constantIbLb1EES1Q_EEDaS1L_S1M_EUlS1L_E_NS1_11comp_targetILNS1_3genE4ELNS1_11target_archE910ELNS1_3gpuE8ELNS1_3repE0EEENS1_30default_config_static_selectorELNS0_4arch9wavefront6targetE0EEEvSZ_.has_dyn_sized_stack, 0
	.set _ZN7rocprim17ROCPRIM_400000_NS6detail17trampoline_kernelINS0_13select_configILj256ELj13ELNS0_17block_load_methodE3ELS4_3ELS4_3ELNS0_20block_scan_algorithmE0ELj4294967295EEENS1_25partition_config_selectorILNS1_17partition_subalgoE3EjNS0_10empty_typeEbEEZZNS1_14partition_implILS8_3ELb0ES6_jNS0_17counting_iteratorIjlEEPS9_SE_NS0_5tupleIJPjSE_EEENSF_IJSE_SE_EEES9_SG_JZNS1_25segmented_radix_sort_implINS0_14default_configELb1EPK6__halfPSL_PKlPlN2at6native12_GLOBAL__N_18offset_tEEE10hipError_tPvRmT1_PNSt15iterator_traitsISZ_E10value_typeET2_T3_PNS10_IS15_E10value_typeET4_jRbjT5_S1B_jjP12ihipStream_tbEUljE_EEESW_SX_SY_S15_S19_S1B_T6_T7_T9_mT8_S1D_bDpT10_ENKUlT_T0_E_clISt17integral_constantIbLb1EES1Q_EEDaS1L_S1M_EUlS1L_E_NS1_11comp_targetILNS1_3genE4ELNS1_11target_archE910ELNS1_3gpuE8ELNS1_3repE0EEENS1_30default_config_static_selectorELNS0_4arch9wavefront6targetE0EEEvSZ_.has_recursion, 0
	.set _ZN7rocprim17ROCPRIM_400000_NS6detail17trampoline_kernelINS0_13select_configILj256ELj13ELNS0_17block_load_methodE3ELS4_3ELS4_3ELNS0_20block_scan_algorithmE0ELj4294967295EEENS1_25partition_config_selectorILNS1_17partition_subalgoE3EjNS0_10empty_typeEbEEZZNS1_14partition_implILS8_3ELb0ES6_jNS0_17counting_iteratorIjlEEPS9_SE_NS0_5tupleIJPjSE_EEENSF_IJSE_SE_EEES9_SG_JZNS1_25segmented_radix_sort_implINS0_14default_configELb1EPK6__halfPSL_PKlPlN2at6native12_GLOBAL__N_18offset_tEEE10hipError_tPvRmT1_PNSt15iterator_traitsISZ_E10value_typeET2_T3_PNS10_IS15_E10value_typeET4_jRbjT5_S1B_jjP12ihipStream_tbEUljE_EEESW_SX_SY_S15_S19_S1B_T6_T7_T9_mT8_S1D_bDpT10_ENKUlT_T0_E_clISt17integral_constantIbLb1EES1Q_EEDaS1L_S1M_EUlS1L_E_NS1_11comp_targetILNS1_3genE4ELNS1_11target_archE910ELNS1_3gpuE8ELNS1_3repE0EEENS1_30default_config_static_selectorELNS0_4arch9wavefront6targetE0EEEvSZ_.has_indirect_call, 0
	.section	.AMDGPU.csdata,"",@progbits
; Kernel info:
; codeLenInByte = 0
; TotalNumSgprs: 0
; NumVgprs: 0
; ScratchSize: 0
; MemoryBound: 0
; FloatMode: 240
; IeeeMode: 1
; LDSByteSize: 0 bytes/workgroup (compile time only)
; SGPRBlocks: 0
; VGPRBlocks: 0
; NumSGPRsForWavesPerEU: 1
; NumVGPRsForWavesPerEU: 1
; Occupancy: 16
; WaveLimiterHint : 0
; COMPUTE_PGM_RSRC2:SCRATCH_EN: 0
; COMPUTE_PGM_RSRC2:USER_SGPR: 2
; COMPUTE_PGM_RSRC2:TRAP_HANDLER: 0
; COMPUTE_PGM_RSRC2:TGID_X_EN: 1
; COMPUTE_PGM_RSRC2:TGID_Y_EN: 0
; COMPUTE_PGM_RSRC2:TGID_Z_EN: 0
; COMPUTE_PGM_RSRC2:TIDIG_COMP_CNT: 0
	.section	.text._ZN7rocprim17ROCPRIM_400000_NS6detail17trampoline_kernelINS0_13select_configILj256ELj13ELNS0_17block_load_methodE3ELS4_3ELS4_3ELNS0_20block_scan_algorithmE0ELj4294967295EEENS1_25partition_config_selectorILNS1_17partition_subalgoE3EjNS0_10empty_typeEbEEZZNS1_14partition_implILS8_3ELb0ES6_jNS0_17counting_iteratorIjlEEPS9_SE_NS0_5tupleIJPjSE_EEENSF_IJSE_SE_EEES9_SG_JZNS1_25segmented_radix_sort_implINS0_14default_configELb1EPK6__halfPSL_PKlPlN2at6native12_GLOBAL__N_18offset_tEEE10hipError_tPvRmT1_PNSt15iterator_traitsISZ_E10value_typeET2_T3_PNS10_IS15_E10value_typeET4_jRbjT5_S1B_jjP12ihipStream_tbEUljE_EEESW_SX_SY_S15_S19_S1B_T6_T7_T9_mT8_S1D_bDpT10_ENKUlT_T0_E_clISt17integral_constantIbLb1EES1Q_EEDaS1L_S1M_EUlS1L_E_NS1_11comp_targetILNS1_3genE3ELNS1_11target_archE908ELNS1_3gpuE7ELNS1_3repE0EEENS1_30default_config_static_selectorELNS0_4arch9wavefront6targetE0EEEvSZ_,"axG",@progbits,_ZN7rocprim17ROCPRIM_400000_NS6detail17trampoline_kernelINS0_13select_configILj256ELj13ELNS0_17block_load_methodE3ELS4_3ELS4_3ELNS0_20block_scan_algorithmE0ELj4294967295EEENS1_25partition_config_selectorILNS1_17partition_subalgoE3EjNS0_10empty_typeEbEEZZNS1_14partition_implILS8_3ELb0ES6_jNS0_17counting_iteratorIjlEEPS9_SE_NS0_5tupleIJPjSE_EEENSF_IJSE_SE_EEES9_SG_JZNS1_25segmented_radix_sort_implINS0_14default_configELb1EPK6__halfPSL_PKlPlN2at6native12_GLOBAL__N_18offset_tEEE10hipError_tPvRmT1_PNSt15iterator_traitsISZ_E10value_typeET2_T3_PNS10_IS15_E10value_typeET4_jRbjT5_S1B_jjP12ihipStream_tbEUljE_EEESW_SX_SY_S15_S19_S1B_T6_T7_T9_mT8_S1D_bDpT10_ENKUlT_T0_E_clISt17integral_constantIbLb1EES1Q_EEDaS1L_S1M_EUlS1L_E_NS1_11comp_targetILNS1_3genE3ELNS1_11target_archE908ELNS1_3gpuE7ELNS1_3repE0EEENS1_30default_config_static_selectorELNS0_4arch9wavefront6targetE0EEEvSZ_,comdat
	.globl	_ZN7rocprim17ROCPRIM_400000_NS6detail17trampoline_kernelINS0_13select_configILj256ELj13ELNS0_17block_load_methodE3ELS4_3ELS4_3ELNS0_20block_scan_algorithmE0ELj4294967295EEENS1_25partition_config_selectorILNS1_17partition_subalgoE3EjNS0_10empty_typeEbEEZZNS1_14partition_implILS8_3ELb0ES6_jNS0_17counting_iteratorIjlEEPS9_SE_NS0_5tupleIJPjSE_EEENSF_IJSE_SE_EEES9_SG_JZNS1_25segmented_radix_sort_implINS0_14default_configELb1EPK6__halfPSL_PKlPlN2at6native12_GLOBAL__N_18offset_tEEE10hipError_tPvRmT1_PNSt15iterator_traitsISZ_E10value_typeET2_T3_PNS10_IS15_E10value_typeET4_jRbjT5_S1B_jjP12ihipStream_tbEUljE_EEESW_SX_SY_S15_S19_S1B_T6_T7_T9_mT8_S1D_bDpT10_ENKUlT_T0_E_clISt17integral_constantIbLb1EES1Q_EEDaS1L_S1M_EUlS1L_E_NS1_11comp_targetILNS1_3genE3ELNS1_11target_archE908ELNS1_3gpuE7ELNS1_3repE0EEENS1_30default_config_static_selectorELNS0_4arch9wavefront6targetE0EEEvSZ_ ; -- Begin function _ZN7rocprim17ROCPRIM_400000_NS6detail17trampoline_kernelINS0_13select_configILj256ELj13ELNS0_17block_load_methodE3ELS4_3ELS4_3ELNS0_20block_scan_algorithmE0ELj4294967295EEENS1_25partition_config_selectorILNS1_17partition_subalgoE3EjNS0_10empty_typeEbEEZZNS1_14partition_implILS8_3ELb0ES6_jNS0_17counting_iteratorIjlEEPS9_SE_NS0_5tupleIJPjSE_EEENSF_IJSE_SE_EEES9_SG_JZNS1_25segmented_radix_sort_implINS0_14default_configELb1EPK6__halfPSL_PKlPlN2at6native12_GLOBAL__N_18offset_tEEE10hipError_tPvRmT1_PNSt15iterator_traitsISZ_E10value_typeET2_T3_PNS10_IS15_E10value_typeET4_jRbjT5_S1B_jjP12ihipStream_tbEUljE_EEESW_SX_SY_S15_S19_S1B_T6_T7_T9_mT8_S1D_bDpT10_ENKUlT_T0_E_clISt17integral_constantIbLb1EES1Q_EEDaS1L_S1M_EUlS1L_E_NS1_11comp_targetILNS1_3genE3ELNS1_11target_archE908ELNS1_3gpuE7ELNS1_3repE0EEENS1_30default_config_static_selectorELNS0_4arch9wavefront6targetE0EEEvSZ_
	.p2align	8
	.type	_ZN7rocprim17ROCPRIM_400000_NS6detail17trampoline_kernelINS0_13select_configILj256ELj13ELNS0_17block_load_methodE3ELS4_3ELS4_3ELNS0_20block_scan_algorithmE0ELj4294967295EEENS1_25partition_config_selectorILNS1_17partition_subalgoE3EjNS0_10empty_typeEbEEZZNS1_14partition_implILS8_3ELb0ES6_jNS0_17counting_iteratorIjlEEPS9_SE_NS0_5tupleIJPjSE_EEENSF_IJSE_SE_EEES9_SG_JZNS1_25segmented_radix_sort_implINS0_14default_configELb1EPK6__halfPSL_PKlPlN2at6native12_GLOBAL__N_18offset_tEEE10hipError_tPvRmT1_PNSt15iterator_traitsISZ_E10value_typeET2_T3_PNS10_IS15_E10value_typeET4_jRbjT5_S1B_jjP12ihipStream_tbEUljE_EEESW_SX_SY_S15_S19_S1B_T6_T7_T9_mT8_S1D_bDpT10_ENKUlT_T0_E_clISt17integral_constantIbLb1EES1Q_EEDaS1L_S1M_EUlS1L_E_NS1_11comp_targetILNS1_3genE3ELNS1_11target_archE908ELNS1_3gpuE7ELNS1_3repE0EEENS1_30default_config_static_selectorELNS0_4arch9wavefront6targetE0EEEvSZ_,@function
_ZN7rocprim17ROCPRIM_400000_NS6detail17trampoline_kernelINS0_13select_configILj256ELj13ELNS0_17block_load_methodE3ELS4_3ELS4_3ELNS0_20block_scan_algorithmE0ELj4294967295EEENS1_25partition_config_selectorILNS1_17partition_subalgoE3EjNS0_10empty_typeEbEEZZNS1_14partition_implILS8_3ELb0ES6_jNS0_17counting_iteratorIjlEEPS9_SE_NS0_5tupleIJPjSE_EEENSF_IJSE_SE_EEES9_SG_JZNS1_25segmented_radix_sort_implINS0_14default_configELb1EPK6__halfPSL_PKlPlN2at6native12_GLOBAL__N_18offset_tEEE10hipError_tPvRmT1_PNSt15iterator_traitsISZ_E10value_typeET2_T3_PNS10_IS15_E10value_typeET4_jRbjT5_S1B_jjP12ihipStream_tbEUljE_EEESW_SX_SY_S15_S19_S1B_T6_T7_T9_mT8_S1D_bDpT10_ENKUlT_T0_E_clISt17integral_constantIbLb1EES1Q_EEDaS1L_S1M_EUlS1L_E_NS1_11comp_targetILNS1_3genE3ELNS1_11target_archE908ELNS1_3gpuE7ELNS1_3repE0EEENS1_30default_config_static_selectorELNS0_4arch9wavefront6targetE0EEEvSZ_: ; @_ZN7rocprim17ROCPRIM_400000_NS6detail17trampoline_kernelINS0_13select_configILj256ELj13ELNS0_17block_load_methodE3ELS4_3ELS4_3ELNS0_20block_scan_algorithmE0ELj4294967295EEENS1_25partition_config_selectorILNS1_17partition_subalgoE3EjNS0_10empty_typeEbEEZZNS1_14partition_implILS8_3ELb0ES6_jNS0_17counting_iteratorIjlEEPS9_SE_NS0_5tupleIJPjSE_EEENSF_IJSE_SE_EEES9_SG_JZNS1_25segmented_radix_sort_implINS0_14default_configELb1EPK6__halfPSL_PKlPlN2at6native12_GLOBAL__N_18offset_tEEE10hipError_tPvRmT1_PNSt15iterator_traitsISZ_E10value_typeET2_T3_PNS10_IS15_E10value_typeET4_jRbjT5_S1B_jjP12ihipStream_tbEUljE_EEESW_SX_SY_S15_S19_S1B_T6_T7_T9_mT8_S1D_bDpT10_ENKUlT_T0_E_clISt17integral_constantIbLb1EES1Q_EEDaS1L_S1M_EUlS1L_E_NS1_11comp_targetILNS1_3genE3ELNS1_11target_archE908ELNS1_3gpuE7ELNS1_3repE0EEENS1_30default_config_static_selectorELNS0_4arch9wavefront6targetE0EEEvSZ_
; %bb.0:
	.section	.rodata,"a",@progbits
	.p2align	6, 0x0
	.amdhsa_kernel _ZN7rocprim17ROCPRIM_400000_NS6detail17trampoline_kernelINS0_13select_configILj256ELj13ELNS0_17block_load_methodE3ELS4_3ELS4_3ELNS0_20block_scan_algorithmE0ELj4294967295EEENS1_25partition_config_selectorILNS1_17partition_subalgoE3EjNS0_10empty_typeEbEEZZNS1_14partition_implILS8_3ELb0ES6_jNS0_17counting_iteratorIjlEEPS9_SE_NS0_5tupleIJPjSE_EEENSF_IJSE_SE_EEES9_SG_JZNS1_25segmented_radix_sort_implINS0_14default_configELb1EPK6__halfPSL_PKlPlN2at6native12_GLOBAL__N_18offset_tEEE10hipError_tPvRmT1_PNSt15iterator_traitsISZ_E10value_typeET2_T3_PNS10_IS15_E10value_typeET4_jRbjT5_S1B_jjP12ihipStream_tbEUljE_EEESW_SX_SY_S15_S19_S1B_T6_T7_T9_mT8_S1D_bDpT10_ENKUlT_T0_E_clISt17integral_constantIbLb1EES1Q_EEDaS1L_S1M_EUlS1L_E_NS1_11comp_targetILNS1_3genE3ELNS1_11target_archE908ELNS1_3gpuE7ELNS1_3repE0EEENS1_30default_config_static_selectorELNS0_4arch9wavefront6targetE0EEEvSZ_
		.amdhsa_group_segment_fixed_size 0
		.amdhsa_private_segment_fixed_size 0
		.amdhsa_kernarg_size 152
		.amdhsa_user_sgpr_count 2
		.amdhsa_user_sgpr_dispatch_ptr 0
		.amdhsa_user_sgpr_queue_ptr 0
		.amdhsa_user_sgpr_kernarg_segment_ptr 1
		.amdhsa_user_sgpr_dispatch_id 0
		.amdhsa_user_sgpr_private_segment_size 0
		.amdhsa_wavefront_size32 1
		.amdhsa_uses_dynamic_stack 0
		.amdhsa_enable_private_segment 0
		.amdhsa_system_sgpr_workgroup_id_x 1
		.amdhsa_system_sgpr_workgroup_id_y 0
		.amdhsa_system_sgpr_workgroup_id_z 0
		.amdhsa_system_sgpr_workgroup_info 0
		.amdhsa_system_vgpr_workitem_id 0
		.amdhsa_next_free_vgpr 1
		.amdhsa_next_free_sgpr 1
		.amdhsa_reserve_vcc 0
		.amdhsa_float_round_mode_32 0
		.amdhsa_float_round_mode_16_64 0
		.amdhsa_float_denorm_mode_32 3
		.amdhsa_float_denorm_mode_16_64 3
		.amdhsa_fp16_overflow 0
		.amdhsa_workgroup_processor_mode 1
		.amdhsa_memory_ordered 1
		.amdhsa_forward_progress 1
		.amdhsa_inst_pref_size 0
		.amdhsa_round_robin_scheduling 0
		.amdhsa_exception_fp_ieee_invalid_op 0
		.amdhsa_exception_fp_denorm_src 0
		.amdhsa_exception_fp_ieee_div_zero 0
		.amdhsa_exception_fp_ieee_overflow 0
		.amdhsa_exception_fp_ieee_underflow 0
		.amdhsa_exception_fp_ieee_inexact 0
		.amdhsa_exception_int_div_zero 0
	.end_amdhsa_kernel
	.section	.text._ZN7rocprim17ROCPRIM_400000_NS6detail17trampoline_kernelINS0_13select_configILj256ELj13ELNS0_17block_load_methodE3ELS4_3ELS4_3ELNS0_20block_scan_algorithmE0ELj4294967295EEENS1_25partition_config_selectorILNS1_17partition_subalgoE3EjNS0_10empty_typeEbEEZZNS1_14partition_implILS8_3ELb0ES6_jNS0_17counting_iteratorIjlEEPS9_SE_NS0_5tupleIJPjSE_EEENSF_IJSE_SE_EEES9_SG_JZNS1_25segmented_radix_sort_implINS0_14default_configELb1EPK6__halfPSL_PKlPlN2at6native12_GLOBAL__N_18offset_tEEE10hipError_tPvRmT1_PNSt15iterator_traitsISZ_E10value_typeET2_T3_PNS10_IS15_E10value_typeET4_jRbjT5_S1B_jjP12ihipStream_tbEUljE_EEESW_SX_SY_S15_S19_S1B_T6_T7_T9_mT8_S1D_bDpT10_ENKUlT_T0_E_clISt17integral_constantIbLb1EES1Q_EEDaS1L_S1M_EUlS1L_E_NS1_11comp_targetILNS1_3genE3ELNS1_11target_archE908ELNS1_3gpuE7ELNS1_3repE0EEENS1_30default_config_static_selectorELNS0_4arch9wavefront6targetE0EEEvSZ_,"axG",@progbits,_ZN7rocprim17ROCPRIM_400000_NS6detail17trampoline_kernelINS0_13select_configILj256ELj13ELNS0_17block_load_methodE3ELS4_3ELS4_3ELNS0_20block_scan_algorithmE0ELj4294967295EEENS1_25partition_config_selectorILNS1_17partition_subalgoE3EjNS0_10empty_typeEbEEZZNS1_14partition_implILS8_3ELb0ES6_jNS0_17counting_iteratorIjlEEPS9_SE_NS0_5tupleIJPjSE_EEENSF_IJSE_SE_EEES9_SG_JZNS1_25segmented_radix_sort_implINS0_14default_configELb1EPK6__halfPSL_PKlPlN2at6native12_GLOBAL__N_18offset_tEEE10hipError_tPvRmT1_PNSt15iterator_traitsISZ_E10value_typeET2_T3_PNS10_IS15_E10value_typeET4_jRbjT5_S1B_jjP12ihipStream_tbEUljE_EEESW_SX_SY_S15_S19_S1B_T6_T7_T9_mT8_S1D_bDpT10_ENKUlT_T0_E_clISt17integral_constantIbLb1EES1Q_EEDaS1L_S1M_EUlS1L_E_NS1_11comp_targetILNS1_3genE3ELNS1_11target_archE908ELNS1_3gpuE7ELNS1_3repE0EEENS1_30default_config_static_selectorELNS0_4arch9wavefront6targetE0EEEvSZ_,comdat
.Lfunc_end1718:
	.size	_ZN7rocprim17ROCPRIM_400000_NS6detail17trampoline_kernelINS0_13select_configILj256ELj13ELNS0_17block_load_methodE3ELS4_3ELS4_3ELNS0_20block_scan_algorithmE0ELj4294967295EEENS1_25partition_config_selectorILNS1_17partition_subalgoE3EjNS0_10empty_typeEbEEZZNS1_14partition_implILS8_3ELb0ES6_jNS0_17counting_iteratorIjlEEPS9_SE_NS0_5tupleIJPjSE_EEENSF_IJSE_SE_EEES9_SG_JZNS1_25segmented_radix_sort_implINS0_14default_configELb1EPK6__halfPSL_PKlPlN2at6native12_GLOBAL__N_18offset_tEEE10hipError_tPvRmT1_PNSt15iterator_traitsISZ_E10value_typeET2_T3_PNS10_IS15_E10value_typeET4_jRbjT5_S1B_jjP12ihipStream_tbEUljE_EEESW_SX_SY_S15_S19_S1B_T6_T7_T9_mT8_S1D_bDpT10_ENKUlT_T0_E_clISt17integral_constantIbLb1EES1Q_EEDaS1L_S1M_EUlS1L_E_NS1_11comp_targetILNS1_3genE3ELNS1_11target_archE908ELNS1_3gpuE7ELNS1_3repE0EEENS1_30default_config_static_selectorELNS0_4arch9wavefront6targetE0EEEvSZ_, .Lfunc_end1718-_ZN7rocprim17ROCPRIM_400000_NS6detail17trampoline_kernelINS0_13select_configILj256ELj13ELNS0_17block_load_methodE3ELS4_3ELS4_3ELNS0_20block_scan_algorithmE0ELj4294967295EEENS1_25partition_config_selectorILNS1_17partition_subalgoE3EjNS0_10empty_typeEbEEZZNS1_14partition_implILS8_3ELb0ES6_jNS0_17counting_iteratorIjlEEPS9_SE_NS0_5tupleIJPjSE_EEENSF_IJSE_SE_EEES9_SG_JZNS1_25segmented_radix_sort_implINS0_14default_configELb1EPK6__halfPSL_PKlPlN2at6native12_GLOBAL__N_18offset_tEEE10hipError_tPvRmT1_PNSt15iterator_traitsISZ_E10value_typeET2_T3_PNS10_IS15_E10value_typeET4_jRbjT5_S1B_jjP12ihipStream_tbEUljE_EEESW_SX_SY_S15_S19_S1B_T6_T7_T9_mT8_S1D_bDpT10_ENKUlT_T0_E_clISt17integral_constantIbLb1EES1Q_EEDaS1L_S1M_EUlS1L_E_NS1_11comp_targetILNS1_3genE3ELNS1_11target_archE908ELNS1_3gpuE7ELNS1_3repE0EEENS1_30default_config_static_selectorELNS0_4arch9wavefront6targetE0EEEvSZ_
                                        ; -- End function
	.set _ZN7rocprim17ROCPRIM_400000_NS6detail17trampoline_kernelINS0_13select_configILj256ELj13ELNS0_17block_load_methodE3ELS4_3ELS4_3ELNS0_20block_scan_algorithmE0ELj4294967295EEENS1_25partition_config_selectorILNS1_17partition_subalgoE3EjNS0_10empty_typeEbEEZZNS1_14partition_implILS8_3ELb0ES6_jNS0_17counting_iteratorIjlEEPS9_SE_NS0_5tupleIJPjSE_EEENSF_IJSE_SE_EEES9_SG_JZNS1_25segmented_radix_sort_implINS0_14default_configELb1EPK6__halfPSL_PKlPlN2at6native12_GLOBAL__N_18offset_tEEE10hipError_tPvRmT1_PNSt15iterator_traitsISZ_E10value_typeET2_T3_PNS10_IS15_E10value_typeET4_jRbjT5_S1B_jjP12ihipStream_tbEUljE_EEESW_SX_SY_S15_S19_S1B_T6_T7_T9_mT8_S1D_bDpT10_ENKUlT_T0_E_clISt17integral_constantIbLb1EES1Q_EEDaS1L_S1M_EUlS1L_E_NS1_11comp_targetILNS1_3genE3ELNS1_11target_archE908ELNS1_3gpuE7ELNS1_3repE0EEENS1_30default_config_static_selectorELNS0_4arch9wavefront6targetE0EEEvSZ_.num_vgpr, 0
	.set _ZN7rocprim17ROCPRIM_400000_NS6detail17trampoline_kernelINS0_13select_configILj256ELj13ELNS0_17block_load_methodE3ELS4_3ELS4_3ELNS0_20block_scan_algorithmE0ELj4294967295EEENS1_25partition_config_selectorILNS1_17partition_subalgoE3EjNS0_10empty_typeEbEEZZNS1_14partition_implILS8_3ELb0ES6_jNS0_17counting_iteratorIjlEEPS9_SE_NS0_5tupleIJPjSE_EEENSF_IJSE_SE_EEES9_SG_JZNS1_25segmented_radix_sort_implINS0_14default_configELb1EPK6__halfPSL_PKlPlN2at6native12_GLOBAL__N_18offset_tEEE10hipError_tPvRmT1_PNSt15iterator_traitsISZ_E10value_typeET2_T3_PNS10_IS15_E10value_typeET4_jRbjT5_S1B_jjP12ihipStream_tbEUljE_EEESW_SX_SY_S15_S19_S1B_T6_T7_T9_mT8_S1D_bDpT10_ENKUlT_T0_E_clISt17integral_constantIbLb1EES1Q_EEDaS1L_S1M_EUlS1L_E_NS1_11comp_targetILNS1_3genE3ELNS1_11target_archE908ELNS1_3gpuE7ELNS1_3repE0EEENS1_30default_config_static_selectorELNS0_4arch9wavefront6targetE0EEEvSZ_.num_agpr, 0
	.set _ZN7rocprim17ROCPRIM_400000_NS6detail17trampoline_kernelINS0_13select_configILj256ELj13ELNS0_17block_load_methodE3ELS4_3ELS4_3ELNS0_20block_scan_algorithmE0ELj4294967295EEENS1_25partition_config_selectorILNS1_17partition_subalgoE3EjNS0_10empty_typeEbEEZZNS1_14partition_implILS8_3ELb0ES6_jNS0_17counting_iteratorIjlEEPS9_SE_NS0_5tupleIJPjSE_EEENSF_IJSE_SE_EEES9_SG_JZNS1_25segmented_radix_sort_implINS0_14default_configELb1EPK6__halfPSL_PKlPlN2at6native12_GLOBAL__N_18offset_tEEE10hipError_tPvRmT1_PNSt15iterator_traitsISZ_E10value_typeET2_T3_PNS10_IS15_E10value_typeET4_jRbjT5_S1B_jjP12ihipStream_tbEUljE_EEESW_SX_SY_S15_S19_S1B_T6_T7_T9_mT8_S1D_bDpT10_ENKUlT_T0_E_clISt17integral_constantIbLb1EES1Q_EEDaS1L_S1M_EUlS1L_E_NS1_11comp_targetILNS1_3genE3ELNS1_11target_archE908ELNS1_3gpuE7ELNS1_3repE0EEENS1_30default_config_static_selectorELNS0_4arch9wavefront6targetE0EEEvSZ_.numbered_sgpr, 0
	.set _ZN7rocprim17ROCPRIM_400000_NS6detail17trampoline_kernelINS0_13select_configILj256ELj13ELNS0_17block_load_methodE3ELS4_3ELS4_3ELNS0_20block_scan_algorithmE0ELj4294967295EEENS1_25partition_config_selectorILNS1_17partition_subalgoE3EjNS0_10empty_typeEbEEZZNS1_14partition_implILS8_3ELb0ES6_jNS0_17counting_iteratorIjlEEPS9_SE_NS0_5tupleIJPjSE_EEENSF_IJSE_SE_EEES9_SG_JZNS1_25segmented_radix_sort_implINS0_14default_configELb1EPK6__halfPSL_PKlPlN2at6native12_GLOBAL__N_18offset_tEEE10hipError_tPvRmT1_PNSt15iterator_traitsISZ_E10value_typeET2_T3_PNS10_IS15_E10value_typeET4_jRbjT5_S1B_jjP12ihipStream_tbEUljE_EEESW_SX_SY_S15_S19_S1B_T6_T7_T9_mT8_S1D_bDpT10_ENKUlT_T0_E_clISt17integral_constantIbLb1EES1Q_EEDaS1L_S1M_EUlS1L_E_NS1_11comp_targetILNS1_3genE3ELNS1_11target_archE908ELNS1_3gpuE7ELNS1_3repE0EEENS1_30default_config_static_selectorELNS0_4arch9wavefront6targetE0EEEvSZ_.num_named_barrier, 0
	.set _ZN7rocprim17ROCPRIM_400000_NS6detail17trampoline_kernelINS0_13select_configILj256ELj13ELNS0_17block_load_methodE3ELS4_3ELS4_3ELNS0_20block_scan_algorithmE0ELj4294967295EEENS1_25partition_config_selectorILNS1_17partition_subalgoE3EjNS0_10empty_typeEbEEZZNS1_14partition_implILS8_3ELb0ES6_jNS0_17counting_iteratorIjlEEPS9_SE_NS0_5tupleIJPjSE_EEENSF_IJSE_SE_EEES9_SG_JZNS1_25segmented_radix_sort_implINS0_14default_configELb1EPK6__halfPSL_PKlPlN2at6native12_GLOBAL__N_18offset_tEEE10hipError_tPvRmT1_PNSt15iterator_traitsISZ_E10value_typeET2_T3_PNS10_IS15_E10value_typeET4_jRbjT5_S1B_jjP12ihipStream_tbEUljE_EEESW_SX_SY_S15_S19_S1B_T6_T7_T9_mT8_S1D_bDpT10_ENKUlT_T0_E_clISt17integral_constantIbLb1EES1Q_EEDaS1L_S1M_EUlS1L_E_NS1_11comp_targetILNS1_3genE3ELNS1_11target_archE908ELNS1_3gpuE7ELNS1_3repE0EEENS1_30default_config_static_selectorELNS0_4arch9wavefront6targetE0EEEvSZ_.private_seg_size, 0
	.set _ZN7rocprim17ROCPRIM_400000_NS6detail17trampoline_kernelINS0_13select_configILj256ELj13ELNS0_17block_load_methodE3ELS4_3ELS4_3ELNS0_20block_scan_algorithmE0ELj4294967295EEENS1_25partition_config_selectorILNS1_17partition_subalgoE3EjNS0_10empty_typeEbEEZZNS1_14partition_implILS8_3ELb0ES6_jNS0_17counting_iteratorIjlEEPS9_SE_NS0_5tupleIJPjSE_EEENSF_IJSE_SE_EEES9_SG_JZNS1_25segmented_radix_sort_implINS0_14default_configELb1EPK6__halfPSL_PKlPlN2at6native12_GLOBAL__N_18offset_tEEE10hipError_tPvRmT1_PNSt15iterator_traitsISZ_E10value_typeET2_T3_PNS10_IS15_E10value_typeET4_jRbjT5_S1B_jjP12ihipStream_tbEUljE_EEESW_SX_SY_S15_S19_S1B_T6_T7_T9_mT8_S1D_bDpT10_ENKUlT_T0_E_clISt17integral_constantIbLb1EES1Q_EEDaS1L_S1M_EUlS1L_E_NS1_11comp_targetILNS1_3genE3ELNS1_11target_archE908ELNS1_3gpuE7ELNS1_3repE0EEENS1_30default_config_static_selectorELNS0_4arch9wavefront6targetE0EEEvSZ_.uses_vcc, 0
	.set _ZN7rocprim17ROCPRIM_400000_NS6detail17trampoline_kernelINS0_13select_configILj256ELj13ELNS0_17block_load_methodE3ELS4_3ELS4_3ELNS0_20block_scan_algorithmE0ELj4294967295EEENS1_25partition_config_selectorILNS1_17partition_subalgoE3EjNS0_10empty_typeEbEEZZNS1_14partition_implILS8_3ELb0ES6_jNS0_17counting_iteratorIjlEEPS9_SE_NS0_5tupleIJPjSE_EEENSF_IJSE_SE_EEES9_SG_JZNS1_25segmented_radix_sort_implINS0_14default_configELb1EPK6__halfPSL_PKlPlN2at6native12_GLOBAL__N_18offset_tEEE10hipError_tPvRmT1_PNSt15iterator_traitsISZ_E10value_typeET2_T3_PNS10_IS15_E10value_typeET4_jRbjT5_S1B_jjP12ihipStream_tbEUljE_EEESW_SX_SY_S15_S19_S1B_T6_T7_T9_mT8_S1D_bDpT10_ENKUlT_T0_E_clISt17integral_constantIbLb1EES1Q_EEDaS1L_S1M_EUlS1L_E_NS1_11comp_targetILNS1_3genE3ELNS1_11target_archE908ELNS1_3gpuE7ELNS1_3repE0EEENS1_30default_config_static_selectorELNS0_4arch9wavefront6targetE0EEEvSZ_.uses_flat_scratch, 0
	.set _ZN7rocprim17ROCPRIM_400000_NS6detail17trampoline_kernelINS0_13select_configILj256ELj13ELNS0_17block_load_methodE3ELS4_3ELS4_3ELNS0_20block_scan_algorithmE0ELj4294967295EEENS1_25partition_config_selectorILNS1_17partition_subalgoE3EjNS0_10empty_typeEbEEZZNS1_14partition_implILS8_3ELb0ES6_jNS0_17counting_iteratorIjlEEPS9_SE_NS0_5tupleIJPjSE_EEENSF_IJSE_SE_EEES9_SG_JZNS1_25segmented_radix_sort_implINS0_14default_configELb1EPK6__halfPSL_PKlPlN2at6native12_GLOBAL__N_18offset_tEEE10hipError_tPvRmT1_PNSt15iterator_traitsISZ_E10value_typeET2_T3_PNS10_IS15_E10value_typeET4_jRbjT5_S1B_jjP12ihipStream_tbEUljE_EEESW_SX_SY_S15_S19_S1B_T6_T7_T9_mT8_S1D_bDpT10_ENKUlT_T0_E_clISt17integral_constantIbLb1EES1Q_EEDaS1L_S1M_EUlS1L_E_NS1_11comp_targetILNS1_3genE3ELNS1_11target_archE908ELNS1_3gpuE7ELNS1_3repE0EEENS1_30default_config_static_selectorELNS0_4arch9wavefront6targetE0EEEvSZ_.has_dyn_sized_stack, 0
	.set _ZN7rocprim17ROCPRIM_400000_NS6detail17trampoline_kernelINS0_13select_configILj256ELj13ELNS0_17block_load_methodE3ELS4_3ELS4_3ELNS0_20block_scan_algorithmE0ELj4294967295EEENS1_25partition_config_selectorILNS1_17partition_subalgoE3EjNS0_10empty_typeEbEEZZNS1_14partition_implILS8_3ELb0ES6_jNS0_17counting_iteratorIjlEEPS9_SE_NS0_5tupleIJPjSE_EEENSF_IJSE_SE_EEES9_SG_JZNS1_25segmented_radix_sort_implINS0_14default_configELb1EPK6__halfPSL_PKlPlN2at6native12_GLOBAL__N_18offset_tEEE10hipError_tPvRmT1_PNSt15iterator_traitsISZ_E10value_typeET2_T3_PNS10_IS15_E10value_typeET4_jRbjT5_S1B_jjP12ihipStream_tbEUljE_EEESW_SX_SY_S15_S19_S1B_T6_T7_T9_mT8_S1D_bDpT10_ENKUlT_T0_E_clISt17integral_constantIbLb1EES1Q_EEDaS1L_S1M_EUlS1L_E_NS1_11comp_targetILNS1_3genE3ELNS1_11target_archE908ELNS1_3gpuE7ELNS1_3repE0EEENS1_30default_config_static_selectorELNS0_4arch9wavefront6targetE0EEEvSZ_.has_recursion, 0
	.set _ZN7rocprim17ROCPRIM_400000_NS6detail17trampoline_kernelINS0_13select_configILj256ELj13ELNS0_17block_load_methodE3ELS4_3ELS4_3ELNS0_20block_scan_algorithmE0ELj4294967295EEENS1_25partition_config_selectorILNS1_17partition_subalgoE3EjNS0_10empty_typeEbEEZZNS1_14partition_implILS8_3ELb0ES6_jNS0_17counting_iteratorIjlEEPS9_SE_NS0_5tupleIJPjSE_EEENSF_IJSE_SE_EEES9_SG_JZNS1_25segmented_radix_sort_implINS0_14default_configELb1EPK6__halfPSL_PKlPlN2at6native12_GLOBAL__N_18offset_tEEE10hipError_tPvRmT1_PNSt15iterator_traitsISZ_E10value_typeET2_T3_PNS10_IS15_E10value_typeET4_jRbjT5_S1B_jjP12ihipStream_tbEUljE_EEESW_SX_SY_S15_S19_S1B_T6_T7_T9_mT8_S1D_bDpT10_ENKUlT_T0_E_clISt17integral_constantIbLb1EES1Q_EEDaS1L_S1M_EUlS1L_E_NS1_11comp_targetILNS1_3genE3ELNS1_11target_archE908ELNS1_3gpuE7ELNS1_3repE0EEENS1_30default_config_static_selectorELNS0_4arch9wavefront6targetE0EEEvSZ_.has_indirect_call, 0
	.section	.AMDGPU.csdata,"",@progbits
; Kernel info:
; codeLenInByte = 0
; TotalNumSgprs: 0
; NumVgprs: 0
; ScratchSize: 0
; MemoryBound: 0
; FloatMode: 240
; IeeeMode: 1
; LDSByteSize: 0 bytes/workgroup (compile time only)
; SGPRBlocks: 0
; VGPRBlocks: 0
; NumSGPRsForWavesPerEU: 1
; NumVGPRsForWavesPerEU: 1
; Occupancy: 16
; WaveLimiterHint : 0
; COMPUTE_PGM_RSRC2:SCRATCH_EN: 0
; COMPUTE_PGM_RSRC2:USER_SGPR: 2
; COMPUTE_PGM_RSRC2:TRAP_HANDLER: 0
; COMPUTE_PGM_RSRC2:TGID_X_EN: 1
; COMPUTE_PGM_RSRC2:TGID_Y_EN: 0
; COMPUTE_PGM_RSRC2:TGID_Z_EN: 0
; COMPUTE_PGM_RSRC2:TIDIG_COMP_CNT: 0
	.section	.text._ZN7rocprim17ROCPRIM_400000_NS6detail17trampoline_kernelINS0_13select_configILj256ELj13ELNS0_17block_load_methodE3ELS4_3ELS4_3ELNS0_20block_scan_algorithmE0ELj4294967295EEENS1_25partition_config_selectorILNS1_17partition_subalgoE3EjNS0_10empty_typeEbEEZZNS1_14partition_implILS8_3ELb0ES6_jNS0_17counting_iteratorIjlEEPS9_SE_NS0_5tupleIJPjSE_EEENSF_IJSE_SE_EEES9_SG_JZNS1_25segmented_radix_sort_implINS0_14default_configELb1EPK6__halfPSL_PKlPlN2at6native12_GLOBAL__N_18offset_tEEE10hipError_tPvRmT1_PNSt15iterator_traitsISZ_E10value_typeET2_T3_PNS10_IS15_E10value_typeET4_jRbjT5_S1B_jjP12ihipStream_tbEUljE_EEESW_SX_SY_S15_S19_S1B_T6_T7_T9_mT8_S1D_bDpT10_ENKUlT_T0_E_clISt17integral_constantIbLb1EES1Q_EEDaS1L_S1M_EUlS1L_E_NS1_11comp_targetILNS1_3genE2ELNS1_11target_archE906ELNS1_3gpuE6ELNS1_3repE0EEENS1_30default_config_static_selectorELNS0_4arch9wavefront6targetE0EEEvSZ_,"axG",@progbits,_ZN7rocprim17ROCPRIM_400000_NS6detail17trampoline_kernelINS0_13select_configILj256ELj13ELNS0_17block_load_methodE3ELS4_3ELS4_3ELNS0_20block_scan_algorithmE0ELj4294967295EEENS1_25partition_config_selectorILNS1_17partition_subalgoE3EjNS0_10empty_typeEbEEZZNS1_14partition_implILS8_3ELb0ES6_jNS0_17counting_iteratorIjlEEPS9_SE_NS0_5tupleIJPjSE_EEENSF_IJSE_SE_EEES9_SG_JZNS1_25segmented_radix_sort_implINS0_14default_configELb1EPK6__halfPSL_PKlPlN2at6native12_GLOBAL__N_18offset_tEEE10hipError_tPvRmT1_PNSt15iterator_traitsISZ_E10value_typeET2_T3_PNS10_IS15_E10value_typeET4_jRbjT5_S1B_jjP12ihipStream_tbEUljE_EEESW_SX_SY_S15_S19_S1B_T6_T7_T9_mT8_S1D_bDpT10_ENKUlT_T0_E_clISt17integral_constantIbLb1EES1Q_EEDaS1L_S1M_EUlS1L_E_NS1_11comp_targetILNS1_3genE2ELNS1_11target_archE906ELNS1_3gpuE6ELNS1_3repE0EEENS1_30default_config_static_selectorELNS0_4arch9wavefront6targetE0EEEvSZ_,comdat
	.globl	_ZN7rocprim17ROCPRIM_400000_NS6detail17trampoline_kernelINS0_13select_configILj256ELj13ELNS0_17block_load_methodE3ELS4_3ELS4_3ELNS0_20block_scan_algorithmE0ELj4294967295EEENS1_25partition_config_selectorILNS1_17partition_subalgoE3EjNS0_10empty_typeEbEEZZNS1_14partition_implILS8_3ELb0ES6_jNS0_17counting_iteratorIjlEEPS9_SE_NS0_5tupleIJPjSE_EEENSF_IJSE_SE_EEES9_SG_JZNS1_25segmented_radix_sort_implINS0_14default_configELb1EPK6__halfPSL_PKlPlN2at6native12_GLOBAL__N_18offset_tEEE10hipError_tPvRmT1_PNSt15iterator_traitsISZ_E10value_typeET2_T3_PNS10_IS15_E10value_typeET4_jRbjT5_S1B_jjP12ihipStream_tbEUljE_EEESW_SX_SY_S15_S19_S1B_T6_T7_T9_mT8_S1D_bDpT10_ENKUlT_T0_E_clISt17integral_constantIbLb1EES1Q_EEDaS1L_S1M_EUlS1L_E_NS1_11comp_targetILNS1_3genE2ELNS1_11target_archE906ELNS1_3gpuE6ELNS1_3repE0EEENS1_30default_config_static_selectorELNS0_4arch9wavefront6targetE0EEEvSZ_ ; -- Begin function _ZN7rocprim17ROCPRIM_400000_NS6detail17trampoline_kernelINS0_13select_configILj256ELj13ELNS0_17block_load_methodE3ELS4_3ELS4_3ELNS0_20block_scan_algorithmE0ELj4294967295EEENS1_25partition_config_selectorILNS1_17partition_subalgoE3EjNS0_10empty_typeEbEEZZNS1_14partition_implILS8_3ELb0ES6_jNS0_17counting_iteratorIjlEEPS9_SE_NS0_5tupleIJPjSE_EEENSF_IJSE_SE_EEES9_SG_JZNS1_25segmented_radix_sort_implINS0_14default_configELb1EPK6__halfPSL_PKlPlN2at6native12_GLOBAL__N_18offset_tEEE10hipError_tPvRmT1_PNSt15iterator_traitsISZ_E10value_typeET2_T3_PNS10_IS15_E10value_typeET4_jRbjT5_S1B_jjP12ihipStream_tbEUljE_EEESW_SX_SY_S15_S19_S1B_T6_T7_T9_mT8_S1D_bDpT10_ENKUlT_T0_E_clISt17integral_constantIbLb1EES1Q_EEDaS1L_S1M_EUlS1L_E_NS1_11comp_targetILNS1_3genE2ELNS1_11target_archE906ELNS1_3gpuE6ELNS1_3repE0EEENS1_30default_config_static_selectorELNS0_4arch9wavefront6targetE0EEEvSZ_
	.p2align	8
	.type	_ZN7rocprim17ROCPRIM_400000_NS6detail17trampoline_kernelINS0_13select_configILj256ELj13ELNS0_17block_load_methodE3ELS4_3ELS4_3ELNS0_20block_scan_algorithmE0ELj4294967295EEENS1_25partition_config_selectorILNS1_17partition_subalgoE3EjNS0_10empty_typeEbEEZZNS1_14partition_implILS8_3ELb0ES6_jNS0_17counting_iteratorIjlEEPS9_SE_NS0_5tupleIJPjSE_EEENSF_IJSE_SE_EEES9_SG_JZNS1_25segmented_radix_sort_implINS0_14default_configELb1EPK6__halfPSL_PKlPlN2at6native12_GLOBAL__N_18offset_tEEE10hipError_tPvRmT1_PNSt15iterator_traitsISZ_E10value_typeET2_T3_PNS10_IS15_E10value_typeET4_jRbjT5_S1B_jjP12ihipStream_tbEUljE_EEESW_SX_SY_S15_S19_S1B_T6_T7_T9_mT8_S1D_bDpT10_ENKUlT_T0_E_clISt17integral_constantIbLb1EES1Q_EEDaS1L_S1M_EUlS1L_E_NS1_11comp_targetILNS1_3genE2ELNS1_11target_archE906ELNS1_3gpuE6ELNS1_3repE0EEENS1_30default_config_static_selectorELNS0_4arch9wavefront6targetE0EEEvSZ_,@function
_ZN7rocprim17ROCPRIM_400000_NS6detail17trampoline_kernelINS0_13select_configILj256ELj13ELNS0_17block_load_methodE3ELS4_3ELS4_3ELNS0_20block_scan_algorithmE0ELj4294967295EEENS1_25partition_config_selectorILNS1_17partition_subalgoE3EjNS0_10empty_typeEbEEZZNS1_14partition_implILS8_3ELb0ES6_jNS0_17counting_iteratorIjlEEPS9_SE_NS0_5tupleIJPjSE_EEENSF_IJSE_SE_EEES9_SG_JZNS1_25segmented_radix_sort_implINS0_14default_configELb1EPK6__halfPSL_PKlPlN2at6native12_GLOBAL__N_18offset_tEEE10hipError_tPvRmT1_PNSt15iterator_traitsISZ_E10value_typeET2_T3_PNS10_IS15_E10value_typeET4_jRbjT5_S1B_jjP12ihipStream_tbEUljE_EEESW_SX_SY_S15_S19_S1B_T6_T7_T9_mT8_S1D_bDpT10_ENKUlT_T0_E_clISt17integral_constantIbLb1EES1Q_EEDaS1L_S1M_EUlS1L_E_NS1_11comp_targetILNS1_3genE2ELNS1_11target_archE906ELNS1_3gpuE6ELNS1_3repE0EEENS1_30default_config_static_selectorELNS0_4arch9wavefront6targetE0EEEvSZ_: ; @_ZN7rocprim17ROCPRIM_400000_NS6detail17trampoline_kernelINS0_13select_configILj256ELj13ELNS0_17block_load_methodE3ELS4_3ELS4_3ELNS0_20block_scan_algorithmE0ELj4294967295EEENS1_25partition_config_selectorILNS1_17partition_subalgoE3EjNS0_10empty_typeEbEEZZNS1_14partition_implILS8_3ELb0ES6_jNS0_17counting_iteratorIjlEEPS9_SE_NS0_5tupleIJPjSE_EEENSF_IJSE_SE_EEES9_SG_JZNS1_25segmented_radix_sort_implINS0_14default_configELb1EPK6__halfPSL_PKlPlN2at6native12_GLOBAL__N_18offset_tEEE10hipError_tPvRmT1_PNSt15iterator_traitsISZ_E10value_typeET2_T3_PNS10_IS15_E10value_typeET4_jRbjT5_S1B_jjP12ihipStream_tbEUljE_EEESW_SX_SY_S15_S19_S1B_T6_T7_T9_mT8_S1D_bDpT10_ENKUlT_T0_E_clISt17integral_constantIbLb1EES1Q_EEDaS1L_S1M_EUlS1L_E_NS1_11comp_targetILNS1_3genE2ELNS1_11target_archE906ELNS1_3gpuE6ELNS1_3repE0EEENS1_30default_config_static_selectorELNS0_4arch9wavefront6targetE0EEEvSZ_
; %bb.0:
	.section	.rodata,"a",@progbits
	.p2align	6, 0x0
	.amdhsa_kernel _ZN7rocprim17ROCPRIM_400000_NS6detail17trampoline_kernelINS0_13select_configILj256ELj13ELNS0_17block_load_methodE3ELS4_3ELS4_3ELNS0_20block_scan_algorithmE0ELj4294967295EEENS1_25partition_config_selectorILNS1_17partition_subalgoE3EjNS0_10empty_typeEbEEZZNS1_14partition_implILS8_3ELb0ES6_jNS0_17counting_iteratorIjlEEPS9_SE_NS0_5tupleIJPjSE_EEENSF_IJSE_SE_EEES9_SG_JZNS1_25segmented_radix_sort_implINS0_14default_configELb1EPK6__halfPSL_PKlPlN2at6native12_GLOBAL__N_18offset_tEEE10hipError_tPvRmT1_PNSt15iterator_traitsISZ_E10value_typeET2_T3_PNS10_IS15_E10value_typeET4_jRbjT5_S1B_jjP12ihipStream_tbEUljE_EEESW_SX_SY_S15_S19_S1B_T6_T7_T9_mT8_S1D_bDpT10_ENKUlT_T0_E_clISt17integral_constantIbLb1EES1Q_EEDaS1L_S1M_EUlS1L_E_NS1_11comp_targetILNS1_3genE2ELNS1_11target_archE906ELNS1_3gpuE6ELNS1_3repE0EEENS1_30default_config_static_selectorELNS0_4arch9wavefront6targetE0EEEvSZ_
		.amdhsa_group_segment_fixed_size 0
		.amdhsa_private_segment_fixed_size 0
		.amdhsa_kernarg_size 152
		.amdhsa_user_sgpr_count 2
		.amdhsa_user_sgpr_dispatch_ptr 0
		.amdhsa_user_sgpr_queue_ptr 0
		.amdhsa_user_sgpr_kernarg_segment_ptr 1
		.amdhsa_user_sgpr_dispatch_id 0
		.amdhsa_user_sgpr_private_segment_size 0
		.amdhsa_wavefront_size32 1
		.amdhsa_uses_dynamic_stack 0
		.amdhsa_enable_private_segment 0
		.amdhsa_system_sgpr_workgroup_id_x 1
		.amdhsa_system_sgpr_workgroup_id_y 0
		.amdhsa_system_sgpr_workgroup_id_z 0
		.amdhsa_system_sgpr_workgroup_info 0
		.amdhsa_system_vgpr_workitem_id 0
		.amdhsa_next_free_vgpr 1
		.amdhsa_next_free_sgpr 1
		.amdhsa_reserve_vcc 0
		.amdhsa_float_round_mode_32 0
		.amdhsa_float_round_mode_16_64 0
		.amdhsa_float_denorm_mode_32 3
		.amdhsa_float_denorm_mode_16_64 3
		.amdhsa_fp16_overflow 0
		.amdhsa_workgroup_processor_mode 1
		.amdhsa_memory_ordered 1
		.amdhsa_forward_progress 1
		.amdhsa_inst_pref_size 0
		.amdhsa_round_robin_scheduling 0
		.amdhsa_exception_fp_ieee_invalid_op 0
		.amdhsa_exception_fp_denorm_src 0
		.amdhsa_exception_fp_ieee_div_zero 0
		.amdhsa_exception_fp_ieee_overflow 0
		.amdhsa_exception_fp_ieee_underflow 0
		.amdhsa_exception_fp_ieee_inexact 0
		.amdhsa_exception_int_div_zero 0
	.end_amdhsa_kernel
	.section	.text._ZN7rocprim17ROCPRIM_400000_NS6detail17trampoline_kernelINS0_13select_configILj256ELj13ELNS0_17block_load_methodE3ELS4_3ELS4_3ELNS0_20block_scan_algorithmE0ELj4294967295EEENS1_25partition_config_selectorILNS1_17partition_subalgoE3EjNS0_10empty_typeEbEEZZNS1_14partition_implILS8_3ELb0ES6_jNS0_17counting_iteratorIjlEEPS9_SE_NS0_5tupleIJPjSE_EEENSF_IJSE_SE_EEES9_SG_JZNS1_25segmented_radix_sort_implINS0_14default_configELb1EPK6__halfPSL_PKlPlN2at6native12_GLOBAL__N_18offset_tEEE10hipError_tPvRmT1_PNSt15iterator_traitsISZ_E10value_typeET2_T3_PNS10_IS15_E10value_typeET4_jRbjT5_S1B_jjP12ihipStream_tbEUljE_EEESW_SX_SY_S15_S19_S1B_T6_T7_T9_mT8_S1D_bDpT10_ENKUlT_T0_E_clISt17integral_constantIbLb1EES1Q_EEDaS1L_S1M_EUlS1L_E_NS1_11comp_targetILNS1_3genE2ELNS1_11target_archE906ELNS1_3gpuE6ELNS1_3repE0EEENS1_30default_config_static_selectorELNS0_4arch9wavefront6targetE0EEEvSZ_,"axG",@progbits,_ZN7rocprim17ROCPRIM_400000_NS6detail17trampoline_kernelINS0_13select_configILj256ELj13ELNS0_17block_load_methodE3ELS4_3ELS4_3ELNS0_20block_scan_algorithmE0ELj4294967295EEENS1_25partition_config_selectorILNS1_17partition_subalgoE3EjNS0_10empty_typeEbEEZZNS1_14partition_implILS8_3ELb0ES6_jNS0_17counting_iteratorIjlEEPS9_SE_NS0_5tupleIJPjSE_EEENSF_IJSE_SE_EEES9_SG_JZNS1_25segmented_radix_sort_implINS0_14default_configELb1EPK6__halfPSL_PKlPlN2at6native12_GLOBAL__N_18offset_tEEE10hipError_tPvRmT1_PNSt15iterator_traitsISZ_E10value_typeET2_T3_PNS10_IS15_E10value_typeET4_jRbjT5_S1B_jjP12ihipStream_tbEUljE_EEESW_SX_SY_S15_S19_S1B_T6_T7_T9_mT8_S1D_bDpT10_ENKUlT_T0_E_clISt17integral_constantIbLb1EES1Q_EEDaS1L_S1M_EUlS1L_E_NS1_11comp_targetILNS1_3genE2ELNS1_11target_archE906ELNS1_3gpuE6ELNS1_3repE0EEENS1_30default_config_static_selectorELNS0_4arch9wavefront6targetE0EEEvSZ_,comdat
.Lfunc_end1719:
	.size	_ZN7rocprim17ROCPRIM_400000_NS6detail17trampoline_kernelINS0_13select_configILj256ELj13ELNS0_17block_load_methodE3ELS4_3ELS4_3ELNS0_20block_scan_algorithmE0ELj4294967295EEENS1_25partition_config_selectorILNS1_17partition_subalgoE3EjNS0_10empty_typeEbEEZZNS1_14partition_implILS8_3ELb0ES6_jNS0_17counting_iteratorIjlEEPS9_SE_NS0_5tupleIJPjSE_EEENSF_IJSE_SE_EEES9_SG_JZNS1_25segmented_radix_sort_implINS0_14default_configELb1EPK6__halfPSL_PKlPlN2at6native12_GLOBAL__N_18offset_tEEE10hipError_tPvRmT1_PNSt15iterator_traitsISZ_E10value_typeET2_T3_PNS10_IS15_E10value_typeET4_jRbjT5_S1B_jjP12ihipStream_tbEUljE_EEESW_SX_SY_S15_S19_S1B_T6_T7_T9_mT8_S1D_bDpT10_ENKUlT_T0_E_clISt17integral_constantIbLb1EES1Q_EEDaS1L_S1M_EUlS1L_E_NS1_11comp_targetILNS1_3genE2ELNS1_11target_archE906ELNS1_3gpuE6ELNS1_3repE0EEENS1_30default_config_static_selectorELNS0_4arch9wavefront6targetE0EEEvSZ_, .Lfunc_end1719-_ZN7rocprim17ROCPRIM_400000_NS6detail17trampoline_kernelINS0_13select_configILj256ELj13ELNS0_17block_load_methodE3ELS4_3ELS4_3ELNS0_20block_scan_algorithmE0ELj4294967295EEENS1_25partition_config_selectorILNS1_17partition_subalgoE3EjNS0_10empty_typeEbEEZZNS1_14partition_implILS8_3ELb0ES6_jNS0_17counting_iteratorIjlEEPS9_SE_NS0_5tupleIJPjSE_EEENSF_IJSE_SE_EEES9_SG_JZNS1_25segmented_radix_sort_implINS0_14default_configELb1EPK6__halfPSL_PKlPlN2at6native12_GLOBAL__N_18offset_tEEE10hipError_tPvRmT1_PNSt15iterator_traitsISZ_E10value_typeET2_T3_PNS10_IS15_E10value_typeET4_jRbjT5_S1B_jjP12ihipStream_tbEUljE_EEESW_SX_SY_S15_S19_S1B_T6_T7_T9_mT8_S1D_bDpT10_ENKUlT_T0_E_clISt17integral_constantIbLb1EES1Q_EEDaS1L_S1M_EUlS1L_E_NS1_11comp_targetILNS1_3genE2ELNS1_11target_archE906ELNS1_3gpuE6ELNS1_3repE0EEENS1_30default_config_static_selectorELNS0_4arch9wavefront6targetE0EEEvSZ_
                                        ; -- End function
	.set _ZN7rocprim17ROCPRIM_400000_NS6detail17trampoline_kernelINS0_13select_configILj256ELj13ELNS0_17block_load_methodE3ELS4_3ELS4_3ELNS0_20block_scan_algorithmE0ELj4294967295EEENS1_25partition_config_selectorILNS1_17partition_subalgoE3EjNS0_10empty_typeEbEEZZNS1_14partition_implILS8_3ELb0ES6_jNS0_17counting_iteratorIjlEEPS9_SE_NS0_5tupleIJPjSE_EEENSF_IJSE_SE_EEES9_SG_JZNS1_25segmented_radix_sort_implINS0_14default_configELb1EPK6__halfPSL_PKlPlN2at6native12_GLOBAL__N_18offset_tEEE10hipError_tPvRmT1_PNSt15iterator_traitsISZ_E10value_typeET2_T3_PNS10_IS15_E10value_typeET4_jRbjT5_S1B_jjP12ihipStream_tbEUljE_EEESW_SX_SY_S15_S19_S1B_T6_T7_T9_mT8_S1D_bDpT10_ENKUlT_T0_E_clISt17integral_constantIbLb1EES1Q_EEDaS1L_S1M_EUlS1L_E_NS1_11comp_targetILNS1_3genE2ELNS1_11target_archE906ELNS1_3gpuE6ELNS1_3repE0EEENS1_30default_config_static_selectorELNS0_4arch9wavefront6targetE0EEEvSZ_.num_vgpr, 0
	.set _ZN7rocprim17ROCPRIM_400000_NS6detail17trampoline_kernelINS0_13select_configILj256ELj13ELNS0_17block_load_methodE3ELS4_3ELS4_3ELNS0_20block_scan_algorithmE0ELj4294967295EEENS1_25partition_config_selectorILNS1_17partition_subalgoE3EjNS0_10empty_typeEbEEZZNS1_14partition_implILS8_3ELb0ES6_jNS0_17counting_iteratorIjlEEPS9_SE_NS0_5tupleIJPjSE_EEENSF_IJSE_SE_EEES9_SG_JZNS1_25segmented_radix_sort_implINS0_14default_configELb1EPK6__halfPSL_PKlPlN2at6native12_GLOBAL__N_18offset_tEEE10hipError_tPvRmT1_PNSt15iterator_traitsISZ_E10value_typeET2_T3_PNS10_IS15_E10value_typeET4_jRbjT5_S1B_jjP12ihipStream_tbEUljE_EEESW_SX_SY_S15_S19_S1B_T6_T7_T9_mT8_S1D_bDpT10_ENKUlT_T0_E_clISt17integral_constantIbLb1EES1Q_EEDaS1L_S1M_EUlS1L_E_NS1_11comp_targetILNS1_3genE2ELNS1_11target_archE906ELNS1_3gpuE6ELNS1_3repE0EEENS1_30default_config_static_selectorELNS0_4arch9wavefront6targetE0EEEvSZ_.num_agpr, 0
	.set _ZN7rocprim17ROCPRIM_400000_NS6detail17trampoline_kernelINS0_13select_configILj256ELj13ELNS0_17block_load_methodE3ELS4_3ELS4_3ELNS0_20block_scan_algorithmE0ELj4294967295EEENS1_25partition_config_selectorILNS1_17partition_subalgoE3EjNS0_10empty_typeEbEEZZNS1_14partition_implILS8_3ELb0ES6_jNS0_17counting_iteratorIjlEEPS9_SE_NS0_5tupleIJPjSE_EEENSF_IJSE_SE_EEES9_SG_JZNS1_25segmented_radix_sort_implINS0_14default_configELb1EPK6__halfPSL_PKlPlN2at6native12_GLOBAL__N_18offset_tEEE10hipError_tPvRmT1_PNSt15iterator_traitsISZ_E10value_typeET2_T3_PNS10_IS15_E10value_typeET4_jRbjT5_S1B_jjP12ihipStream_tbEUljE_EEESW_SX_SY_S15_S19_S1B_T6_T7_T9_mT8_S1D_bDpT10_ENKUlT_T0_E_clISt17integral_constantIbLb1EES1Q_EEDaS1L_S1M_EUlS1L_E_NS1_11comp_targetILNS1_3genE2ELNS1_11target_archE906ELNS1_3gpuE6ELNS1_3repE0EEENS1_30default_config_static_selectorELNS0_4arch9wavefront6targetE0EEEvSZ_.numbered_sgpr, 0
	.set _ZN7rocprim17ROCPRIM_400000_NS6detail17trampoline_kernelINS0_13select_configILj256ELj13ELNS0_17block_load_methodE3ELS4_3ELS4_3ELNS0_20block_scan_algorithmE0ELj4294967295EEENS1_25partition_config_selectorILNS1_17partition_subalgoE3EjNS0_10empty_typeEbEEZZNS1_14partition_implILS8_3ELb0ES6_jNS0_17counting_iteratorIjlEEPS9_SE_NS0_5tupleIJPjSE_EEENSF_IJSE_SE_EEES9_SG_JZNS1_25segmented_radix_sort_implINS0_14default_configELb1EPK6__halfPSL_PKlPlN2at6native12_GLOBAL__N_18offset_tEEE10hipError_tPvRmT1_PNSt15iterator_traitsISZ_E10value_typeET2_T3_PNS10_IS15_E10value_typeET4_jRbjT5_S1B_jjP12ihipStream_tbEUljE_EEESW_SX_SY_S15_S19_S1B_T6_T7_T9_mT8_S1D_bDpT10_ENKUlT_T0_E_clISt17integral_constantIbLb1EES1Q_EEDaS1L_S1M_EUlS1L_E_NS1_11comp_targetILNS1_3genE2ELNS1_11target_archE906ELNS1_3gpuE6ELNS1_3repE0EEENS1_30default_config_static_selectorELNS0_4arch9wavefront6targetE0EEEvSZ_.num_named_barrier, 0
	.set _ZN7rocprim17ROCPRIM_400000_NS6detail17trampoline_kernelINS0_13select_configILj256ELj13ELNS0_17block_load_methodE3ELS4_3ELS4_3ELNS0_20block_scan_algorithmE0ELj4294967295EEENS1_25partition_config_selectorILNS1_17partition_subalgoE3EjNS0_10empty_typeEbEEZZNS1_14partition_implILS8_3ELb0ES6_jNS0_17counting_iteratorIjlEEPS9_SE_NS0_5tupleIJPjSE_EEENSF_IJSE_SE_EEES9_SG_JZNS1_25segmented_radix_sort_implINS0_14default_configELb1EPK6__halfPSL_PKlPlN2at6native12_GLOBAL__N_18offset_tEEE10hipError_tPvRmT1_PNSt15iterator_traitsISZ_E10value_typeET2_T3_PNS10_IS15_E10value_typeET4_jRbjT5_S1B_jjP12ihipStream_tbEUljE_EEESW_SX_SY_S15_S19_S1B_T6_T7_T9_mT8_S1D_bDpT10_ENKUlT_T0_E_clISt17integral_constantIbLb1EES1Q_EEDaS1L_S1M_EUlS1L_E_NS1_11comp_targetILNS1_3genE2ELNS1_11target_archE906ELNS1_3gpuE6ELNS1_3repE0EEENS1_30default_config_static_selectorELNS0_4arch9wavefront6targetE0EEEvSZ_.private_seg_size, 0
	.set _ZN7rocprim17ROCPRIM_400000_NS6detail17trampoline_kernelINS0_13select_configILj256ELj13ELNS0_17block_load_methodE3ELS4_3ELS4_3ELNS0_20block_scan_algorithmE0ELj4294967295EEENS1_25partition_config_selectorILNS1_17partition_subalgoE3EjNS0_10empty_typeEbEEZZNS1_14partition_implILS8_3ELb0ES6_jNS0_17counting_iteratorIjlEEPS9_SE_NS0_5tupleIJPjSE_EEENSF_IJSE_SE_EEES9_SG_JZNS1_25segmented_radix_sort_implINS0_14default_configELb1EPK6__halfPSL_PKlPlN2at6native12_GLOBAL__N_18offset_tEEE10hipError_tPvRmT1_PNSt15iterator_traitsISZ_E10value_typeET2_T3_PNS10_IS15_E10value_typeET4_jRbjT5_S1B_jjP12ihipStream_tbEUljE_EEESW_SX_SY_S15_S19_S1B_T6_T7_T9_mT8_S1D_bDpT10_ENKUlT_T0_E_clISt17integral_constantIbLb1EES1Q_EEDaS1L_S1M_EUlS1L_E_NS1_11comp_targetILNS1_3genE2ELNS1_11target_archE906ELNS1_3gpuE6ELNS1_3repE0EEENS1_30default_config_static_selectorELNS0_4arch9wavefront6targetE0EEEvSZ_.uses_vcc, 0
	.set _ZN7rocprim17ROCPRIM_400000_NS6detail17trampoline_kernelINS0_13select_configILj256ELj13ELNS0_17block_load_methodE3ELS4_3ELS4_3ELNS0_20block_scan_algorithmE0ELj4294967295EEENS1_25partition_config_selectorILNS1_17partition_subalgoE3EjNS0_10empty_typeEbEEZZNS1_14partition_implILS8_3ELb0ES6_jNS0_17counting_iteratorIjlEEPS9_SE_NS0_5tupleIJPjSE_EEENSF_IJSE_SE_EEES9_SG_JZNS1_25segmented_radix_sort_implINS0_14default_configELb1EPK6__halfPSL_PKlPlN2at6native12_GLOBAL__N_18offset_tEEE10hipError_tPvRmT1_PNSt15iterator_traitsISZ_E10value_typeET2_T3_PNS10_IS15_E10value_typeET4_jRbjT5_S1B_jjP12ihipStream_tbEUljE_EEESW_SX_SY_S15_S19_S1B_T6_T7_T9_mT8_S1D_bDpT10_ENKUlT_T0_E_clISt17integral_constantIbLb1EES1Q_EEDaS1L_S1M_EUlS1L_E_NS1_11comp_targetILNS1_3genE2ELNS1_11target_archE906ELNS1_3gpuE6ELNS1_3repE0EEENS1_30default_config_static_selectorELNS0_4arch9wavefront6targetE0EEEvSZ_.uses_flat_scratch, 0
	.set _ZN7rocprim17ROCPRIM_400000_NS6detail17trampoline_kernelINS0_13select_configILj256ELj13ELNS0_17block_load_methodE3ELS4_3ELS4_3ELNS0_20block_scan_algorithmE0ELj4294967295EEENS1_25partition_config_selectorILNS1_17partition_subalgoE3EjNS0_10empty_typeEbEEZZNS1_14partition_implILS8_3ELb0ES6_jNS0_17counting_iteratorIjlEEPS9_SE_NS0_5tupleIJPjSE_EEENSF_IJSE_SE_EEES9_SG_JZNS1_25segmented_radix_sort_implINS0_14default_configELb1EPK6__halfPSL_PKlPlN2at6native12_GLOBAL__N_18offset_tEEE10hipError_tPvRmT1_PNSt15iterator_traitsISZ_E10value_typeET2_T3_PNS10_IS15_E10value_typeET4_jRbjT5_S1B_jjP12ihipStream_tbEUljE_EEESW_SX_SY_S15_S19_S1B_T6_T7_T9_mT8_S1D_bDpT10_ENKUlT_T0_E_clISt17integral_constantIbLb1EES1Q_EEDaS1L_S1M_EUlS1L_E_NS1_11comp_targetILNS1_3genE2ELNS1_11target_archE906ELNS1_3gpuE6ELNS1_3repE0EEENS1_30default_config_static_selectorELNS0_4arch9wavefront6targetE0EEEvSZ_.has_dyn_sized_stack, 0
	.set _ZN7rocprim17ROCPRIM_400000_NS6detail17trampoline_kernelINS0_13select_configILj256ELj13ELNS0_17block_load_methodE3ELS4_3ELS4_3ELNS0_20block_scan_algorithmE0ELj4294967295EEENS1_25partition_config_selectorILNS1_17partition_subalgoE3EjNS0_10empty_typeEbEEZZNS1_14partition_implILS8_3ELb0ES6_jNS0_17counting_iteratorIjlEEPS9_SE_NS0_5tupleIJPjSE_EEENSF_IJSE_SE_EEES9_SG_JZNS1_25segmented_radix_sort_implINS0_14default_configELb1EPK6__halfPSL_PKlPlN2at6native12_GLOBAL__N_18offset_tEEE10hipError_tPvRmT1_PNSt15iterator_traitsISZ_E10value_typeET2_T3_PNS10_IS15_E10value_typeET4_jRbjT5_S1B_jjP12ihipStream_tbEUljE_EEESW_SX_SY_S15_S19_S1B_T6_T7_T9_mT8_S1D_bDpT10_ENKUlT_T0_E_clISt17integral_constantIbLb1EES1Q_EEDaS1L_S1M_EUlS1L_E_NS1_11comp_targetILNS1_3genE2ELNS1_11target_archE906ELNS1_3gpuE6ELNS1_3repE0EEENS1_30default_config_static_selectorELNS0_4arch9wavefront6targetE0EEEvSZ_.has_recursion, 0
	.set _ZN7rocprim17ROCPRIM_400000_NS6detail17trampoline_kernelINS0_13select_configILj256ELj13ELNS0_17block_load_methodE3ELS4_3ELS4_3ELNS0_20block_scan_algorithmE0ELj4294967295EEENS1_25partition_config_selectorILNS1_17partition_subalgoE3EjNS0_10empty_typeEbEEZZNS1_14partition_implILS8_3ELb0ES6_jNS0_17counting_iteratorIjlEEPS9_SE_NS0_5tupleIJPjSE_EEENSF_IJSE_SE_EEES9_SG_JZNS1_25segmented_radix_sort_implINS0_14default_configELb1EPK6__halfPSL_PKlPlN2at6native12_GLOBAL__N_18offset_tEEE10hipError_tPvRmT1_PNSt15iterator_traitsISZ_E10value_typeET2_T3_PNS10_IS15_E10value_typeET4_jRbjT5_S1B_jjP12ihipStream_tbEUljE_EEESW_SX_SY_S15_S19_S1B_T6_T7_T9_mT8_S1D_bDpT10_ENKUlT_T0_E_clISt17integral_constantIbLb1EES1Q_EEDaS1L_S1M_EUlS1L_E_NS1_11comp_targetILNS1_3genE2ELNS1_11target_archE906ELNS1_3gpuE6ELNS1_3repE0EEENS1_30default_config_static_selectorELNS0_4arch9wavefront6targetE0EEEvSZ_.has_indirect_call, 0
	.section	.AMDGPU.csdata,"",@progbits
; Kernel info:
; codeLenInByte = 0
; TotalNumSgprs: 0
; NumVgprs: 0
; ScratchSize: 0
; MemoryBound: 0
; FloatMode: 240
; IeeeMode: 1
; LDSByteSize: 0 bytes/workgroup (compile time only)
; SGPRBlocks: 0
; VGPRBlocks: 0
; NumSGPRsForWavesPerEU: 1
; NumVGPRsForWavesPerEU: 1
; Occupancy: 16
; WaveLimiterHint : 0
; COMPUTE_PGM_RSRC2:SCRATCH_EN: 0
; COMPUTE_PGM_RSRC2:USER_SGPR: 2
; COMPUTE_PGM_RSRC2:TRAP_HANDLER: 0
; COMPUTE_PGM_RSRC2:TGID_X_EN: 1
; COMPUTE_PGM_RSRC2:TGID_Y_EN: 0
; COMPUTE_PGM_RSRC2:TGID_Z_EN: 0
; COMPUTE_PGM_RSRC2:TIDIG_COMP_CNT: 0
	.section	.text._ZN7rocprim17ROCPRIM_400000_NS6detail17trampoline_kernelINS0_13select_configILj256ELj13ELNS0_17block_load_methodE3ELS4_3ELS4_3ELNS0_20block_scan_algorithmE0ELj4294967295EEENS1_25partition_config_selectorILNS1_17partition_subalgoE3EjNS0_10empty_typeEbEEZZNS1_14partition_implILS8_3ELb0ES6_jNS0_17counting_iteratorIjlEEPS9_SE_NS0_5tupleIJPjSE_EEENSF_IJSE_SE_EEES9_SG_JZNS1_25segmented_radix_sort_implINS0_14default_configELb1EPK6__halfPSL_PKlPlN2at6native12_GLOBAL__N_18offset_tEEE10hipError_tPvRmT1_PNSt15iterator_traitsISZ_E10value_typeET2_T3_PNS10_IS15_E10value_typeET4_jRbjT5_S1B_jjP12ihipStream_tbEUljE_EEESW_SX_SY_S15_S19_S1B_T6_T7_T9_mT8_S1D_bDpT10_ENKUlT_T0_E_clISt17integral_constantIbLb1EES1Q_EEDaS1L_S1M_EUlS1L_E_NS1_11comp_targetILNS1_3genE10ELNS1_11target_archE1200ELNS1_3gpuE4ELNS1_3repE0EEENS1_30default_config_static_selectorELNS0_4arch9wavefront6targetE0EEEvSZ_,"axG",@progbits,_ZN7rocprim17ROCPRIM_400000_NS6detail17trampoline_kernelINS0_13select_configILj256ELj13ELNS0_17block_load_methodE3ELS4_3ELS4_3ELNS0_20block_scan_algorithmE0ELj4294967295EEENS1_25partition_config_selectorILNS1_17partition_subalgoE3EjNS0_10empty_typeEbEEZZNS1_14partition_implILS8_3ELb0ES6_jNS0_17counting_iteratorIjlEEPS9_SE_NS0_5tupleIJPjSE_EEENSF_IJSE_SE_EEES9_SG_JZNS1_25segmented_radix_sort_implINS0_14default_configELb1EPK6__halfPSL_PKlPlN2at6native12_GLOBAL__N_18offset_tEEE10hipError_tPvRmT1_PNSt15iterator_traitsISZ_E10value_typeET2_T3_PNS10_IS15_E10value_typeET4_jRbjT5_S1B_jjP12ihipStream_tbEUljE_EEESW_SX_SY_S15_S19_S1B_T6_T7_T9_mT8_S1D_bDpT10_ENKUlT_T0_E_clISt17integral_constantIbLb1EES1Q_EEDaS1L_S1M_EUlS1L_E_NS1_11comp_targetILNS1_3genE10ELNS1_11target_archE1200ELNS1_3gpuE4ELNS1_3repE0EEENS1_30default_config_static_selectorELNS0_4arch9wavefront6targetE0EEEvSZ_,comdat
	.globl	_ZN7rocprim17ROCPRIM_400000_NS6detail17trampoline_kernelINS0_13select_configILj256ELj13ELNS0_17block_load_methodE3ELS4_3ELS4_3ELNS0_20block_scan_algorithmE0ELj4294967295EEENS1_25partition_config_selectorILNS1_17partition_subalgoE3EjNS0_10empty_typeEbEEZZNS1_14partition_implILS8_3ELb0ES6_jNS0_17counting_iteratorIjlEEPS9_SE_NS0_5tupleIJPjSE_EEENSF_IJSE_SE_EEES9_SG_JZNS1_25segmented_radix_sort_implINS0_14default_configELb1EPK6__halfPSL_PKlPlN2at6native12_GLOBAL__N_18offset_tEEE10hipError_tPvRmT1_PNSt15iterator_traitsISZ_E10value_typeET2_T3_PNS10_IS15_E10value_typeET4_jRbjT5_S1B_jjP12ihipStream_tbEUljE_EEESW_SX_SY_S15_S19_S1B_T6_T7_T9_mT8_S1D_bDpT10_ENKUlT_T0_E_clISt17integral_constantIbLb1EES1Q_EEDaS1L_S1M_EUlS1L_E_NS1_11comp_targetILNS1_3genE10ELNS1_11target_archE1200ELNS1_3gpuE4ELNS1_3repE0EEENS1_30default_config_static_selectorELNS0_4arch9wavefront6targetE0EEEvSZ_ ; -- Begin function _ZN7rocprim17ROCPRIM_400000_NS6detail17trampoline_kernelINS0_13select_configILj256ELj13ELNS0_17block_load_methodE3ELS4_3ELS4_3ELNS0_20block_scan_algorithmE0ELj4294967295EEENS1_25partition_config_selectorILNS1_17partition_subalgoE3EjNS0_10empty_typeEbEEZZNS1_14partition_implILS8_3ELb0ES6_jNS0_17counting_iteratorIjlEEPS9_SE_NS0_5tupleIJPjSE_EEENSF_IJSE_SE_EEES9_SG_JZNS1_25segmented_radix_sort_implINS0_14default_configELb1EPK6__halfPSL_PKlPlN2at6native12_GLOBAL__N_18offset_tEEE10hipError_tPvRmT1_PNSt15iterator_traitsISZ_E10value_typeET2_T3_PNS10_IS15_E10value_typeET4_jRbjT5_S1B_jjP12ihipStream_tbEUljE_EEESW_SX_SY_S15_S19_S1B_T6_T7_T9_mT8_S1D_bDpT10_ENKUlT_T0_E_clISt17integral_constantIbLb1EES1Q_EEDaS1L_S1M_EUlS1L_E_NS1_11comp_targetILNS1_3genE10ELNS1_11target_archE1200ELNS1_3gpuE4ELNS1_3repE0EEENS1_30default_config_static_selectorELNS0_4arch9wavefront6targetE0EEEvSZ_
	.p2align	8
	.type	_ZN7rocprim17ROCPRIM_400000_NS6detail17trampoline_kernelINS0_13select_configILj256ELj13ELNS0_17block_load_methodE3ELS4_3ELS4_3ELNS0_20block_scan_algorithmE0ELj4294967295EEENS1_25partition_config_selectorILNS1_17partition_subalgoE3EjNS0_10empty_typeEbEEZZNS1_14partition_implILS8_3ELb0ES6_jNS0_17counting_iteratorIjlEEPS9_SE_NS0_5tupleIJPjSE_EEENSF_IJSE_SE_EEES9_SG_JZNS1_25segmented_radix_sort_implINS0_14default_configELb1EPK6__halfPSL_PKlPlN2at6native12_GLOBAL__N_18offset_tEEE10hipError_tPvRmT1_PNSt15iterator_traitsISZ_E10value_typeET2_T3_PNS10_IS15_E10value_typeET4_jRbjT5_S1B_jjP12ihipStream_tbEUljE_EEESW_SX_SY_S15_S19_S1B_T6_T7_T9_mT8_S1D_bDpT10_ENKUlT_T0_E_clISt17integral_constantIbLb1EES1Q_EEDaS1L_S1M_EUlS1L_E_NS1_11comp_targetILNS1_3genE10ELNS1_11target_archE1200ELNS1_3gpuE4ELNS1_3repE0EEENS1_30default_config_static_selectorELNS0_4arch9wavefront6targetE0EEEvSZ_,@function
_ZN7rocprim17ROCPRIM_400000_NS6detail17trampoline_kernelINS0_13select_configILj256ELj13ELNS0_17block_load_methodE3ELS4_3ELS4_3ELNS0_20block_scan_algorithmE0ELj4294967295EEENS1_25partition_config_selectorILNS1_17partition_subalgoE3EjNS0_10empty_typeEbEEZZNS1_14partition_implILS8_3ELb0ES6_jNS0_17counting_iteratorIjlEEPS9_SE_NS0_5tupleIJPjSE_EEENSF_IJSE_SE_EEES9_SG_JZNS1_25segmented_radix_sort_implINS0_14default_configELb1EPK6__halfPSL_PKlPlN2at6native12_GLOBAL__N_18offset_tEEE10hipError_tPvRmT1_PNSt15iterator_traitsISZ_E10value_typeET2_T3_PNS10_IS15_E10value_typeET4_jRbjT5_S1B_jjP12ihipStream_tbEUljE_EEESW_SX_SY_S15_S19_S1B_T6_T7_T9_mT8_S1D_bDpT10_ENKUlT_T0_E_clISt17integral_constantIbLb1EES1Q_EEDaS1L_S1M_EUlS1L_E_NS1_11comp_targetILNS1_3genE10ELNS1_11target_archE1200ELNS1_3gpuE4ELNS1_3repE0EEENS1_30default_config_static_selectorELNS0_4arch9wavefront6targetE0EEEvSZ_: ; @_ZN7rocprim17ROCPRIM_400000_NS6detail17trampoline_kernelINS0_13select_configILj256ELj13ELNS0_17block_load_methodE3ELS4_3ELS4_3ELNS0_20block_scan_algorithmE0ELj4294967295EEENS1_25partition_config_selectorILNS1_17partition_subalgoE3EjNS0_10empty_typeEbEEZZNS1_14partition_implILS8_3ELb0ES6_jNS0_17counting_iteratorIjlEEPS9_SE_NS0_5tupleIJPjSE_EEENSF_IJSE_SE_EEES9_SG_JZNS1_25segmented_radix_sort_implINS0_14default_configELb1EPK6__halfPSL_PKlPlN2at6native12_GLOBAL__N_18offset_tEEE10hipError_tPvRmT1_PNSt15iterator_traitsISZ_E10value_typeET2_T3_PNS10_IS15_E10value_typeET4_jRbjT5_S1B_jjP12ihipStream_tbEUljE_EEESW_SX_SY_S15_S19_S1B_T6_T7_T9_mT8_S1D_bDpT10_ENKUlT_T0_E_clISt17integral_constantIbLb1EES1Q_EEDaS1L_S1M_EUlS1L_E_NS1_11comp_targetILNS1_3genE10ELNS1_11target_archE1200ELNS1_3gpuE4ELNS1_3repE0EEENS1_30default_config_static_selectorELNS0_4arch9wavefront6targetE0EEEvSZ_
; %bb.0:
	s_endpgm
	.section	.rodata,"a",@progbits
	.p2align	6, 0x0
	.amdhsa_kernel _ZN7rocprim17ROCPRIM_400000_NS6detail17trampoline_kernelINS0_13select_configILj256ELj13ELNS0_17block_load_methodE3ELS4_3ELS4_3ELNS0_20block_scan_algorithmE0ELj4294967295EEENS1_25partition_config_selectorILNS1_17partition_subalgoE3EjNS0_10empty_typeEbEEZZNS1_14partition_implILS8_3ELb0ES6_jNS0_17counting_iteratorIjlEEPS9_SE_NS0_5tupleIJPjSE_EEENSF_IJSE_SE_EEES9_SG_JZNS1_25segmented_radix_sort_implINS0_14default_configELb1EPK6__halfPSL_PKlPlN2at6native12_GLOBAL__N_18offset_tEEE10hipError_tPvRmT1_PNSt15iterator_traitsISZ_E10value_typeET2_T3_PNS10_IS15_E10value_typeET4_jRbjT5_S1B_jjP12ihipStream_tbEUljE_EEESW_SX_SY_S15_S19_S1B_T6_T7_T9_mT8_S1D_bDpT10_ENKUlT_T0_E_clISt17integral_constantIbLb1EES1Q_EEDaS1L_S1M_EUlS1L_E_NS1_11comp_targetILNS1_3genE10ELNS1_11target_archE1200ELNS1_3gpuE4ELNS1_3repE0EEENS1_30default_config_static_selectorELNS0_4arch9wavefront6targetE0EEEvSZ_
		.amdhsa_group_segment_fixed_size 0
		.amdhsa_private_segment_fixed_size 0
		.amdhsa_kernarg_size 152
		.amdhsa_user_sgpr_count 2
		.amdhsa_user_sgpr_dispatch_ptr 0
		.amdhsa_user_sgpr_queue_ptr 0
		.amdhsa_user_sgpr_kernarg_segment_ptr 1
		.amdhsa_user_sgpr_dispatch_id 0
		.amdhsa_user_sgpr_private_segment_size 0
		.amdhsa_wavefront_size32 1
		.amdhsa_uses_dynamic_stack 0
		.amdhsa_enable_private_segment 0
		.amdhsa_system_sgpr_workgroup_id_x 1
		.amdhsa_system_sgpr_workgroup_id_y 0
		.amdhsa_system_sgpr_workgroup_id_z 0
		.amdhsa_system_sgpr_workgroup_info 0
		.amdhsa_system_vgpr_workitem_id 0
		.amdhsa_next_free_vgpr 1
		.amdhsa_next_free_sgpr 1
		.amdhsa_reserve_vcc 0
		.amdhsa_float_round_mode_32 0
		.amdhsa_float_round_mode_16_64 0
		.amdhsa_float_denorm_mode_32 3
		.amdhsa_float_denorm_mode_16_64 3
		.amdhsa_fp16_overflow 0
		.amdhsa_workgroup_processor_mode 1
		.amdhsa_memory_ordered 1
		.amdhsa_forward_progress 1
		.amdhsa_inst_pref_size 1
		.amdhsa_round_robin_scheduling 0
		.amdhsa_exception_fp_ieee_invalid_op 0
		.amdhsa_exception_fp_denorm_src 0
		.amdhsa_exception_fp_ieee_div_zero 0
		.amdhsa_exception_fp_ieee_overflow 0
		.amdhsa_exception_fp_ieee_underflow 0
		.amdhsa_exception_fp_ieee_inexact 0
		.amdhsa_exception_int_div_zero 0
	.end_amdhsa_kernel
	.section	.text._ZN7rocprim17ROCPRIM_400000_NS6detail17trampoline_kernelINS0_13select_configILj256ELj13ELNS0_17block_load_methodE3ELS4_3ELS4_3ELNS0_20block_scan_algorithmE0ELj4294967295EEENS1_25partition_config_selectorILNS1_17partition_subalgoE3EjNS0_10empty_typeEbEEZZNS1_14partition_implILS8_3ELb0ES6_jNS0_17counting_iteratorIjlEEPS9_SE_NS0_5tupleIJPjSE_EEENSF_IJSE_SE_EEES9_SG_JZNS1_25segmented_radix_sort_implINS0_14default_configELb1EPK6__halfPSL_PKlPlN2at6native12_GLOBAL__N_18offset_tEEE10hipError_tPvRmT1_PNSt15iterator_traitsISZ_E10value_typeET2_T3_PNS10_IS15_E10value_typeET4_jRbjT5_S1B_jjP12ihipStream_tbEUljE_EEESW_SX_SY_S15_S19_S1B_T6_T7_T9_mT8_S1D_bDpT10_ENKUlT_T0_E_clISt17integral_constantIbLb1EES1Q_EEDaS1L_S1M_EUlS1L_E_NS1_11comp_targetILNS1_3genE10ELNS1_11target_archE1200ELNS1_3gpuE4ELNS1_3repE0EEENS1_30default_config_static_selectorELNS0_4arch9wavefront6targetE0EEEvSZ_,"axG",@progbits,_ZN7rocprim17ROCPRIM_400000_NS6detail17trampoline_kernelINS0_13select_configILj256ELj13ELNS0_17block_load_methodE3ELS4_3ELS4_3ELNS0_20block_scan_algorithmE0ELj4294967295EEENS1_25partition_config_selectorILNS1_17partition_subalgoE3EjNS0_10empty_typeEbEEZZNS1_14partition_implILS8_3ELb0ES6_jNS0_17counting_iteratorIjlEEPS9_SE_NS0_5tupleIJPjSE_EEENSF_IJSE_SE_EEES9_SG_JZNS1_25segmented_radix_sort_implINS0_14default_configELb1EPK6__halfPSL_PKlPlN2at6native12_GLOBAL__N_18offset_tEEE10hipError_tPvRmT1_PNSt15iterator_traitsISZ_E10value_typeET2_T3_PNS10_IS15_E10value_typeET4_jRbjT5_S1B_jjP12ihipStream_tbEUljE_EEESW_SX_SY_S15_S19_S1B_T6_T7_T9_mT8_S1D_bDpT10_ENKUlT_T0_E_clISt17integral_constantIbLb1EES1Q_EEDaS1L_S1M_EUlS1L_E_NS1_11comp_targetILNS1_3genE10ELNS1_11target_archE1200ELNS1_3gpuE4ELNS1_3repE0EEENS1_30default_config_static_selectorELNS0_4arch9wavefront6targetE0EEEvSZ_,comdat
.Lfunc_end1720:
	.size	_ZN7rocprim17ROCPRIM_400000_NS6detail17trampoline_kernelINS0_13select_configILj256ELj13ELNS0_17block_load_methodE3ELS4_3ELS4_3ELNS0_20block_scan_algorithmE0ELj4294967295EEENS1_25partition_config_selectorILNS1_17partition_subalgoE3EjNS0_10empty_typeEbEEZZNS1_14partition_implILS8_3ELb0ES6_jNS0_17counting_iteratorIjlEEPS9_SE_NS0_5tupleIJPjSE_EEENSF_IJSE_SE_EEES9_SG_JZNS1_25segmented_radix_sort_implINS0_14default_configELb1EPK6__halfPSL_PKlPlN2at6native12_GLOBAL__N_18offset_tEEE10hipError_tPvRmT1_PNSt15iterator_traitsISZ_E10value_typeET2_T3_PNS10_IS15_E10value_typeET4_jRbjT5_S1B_jjP12ihipStream_tbEUljE_EEESW_SX_SY_S15_S19_S1B_T6_T7_T9_mT8_S1D_bDpT10_ENKUlT_T0_E_clISt17integral_constantIbLb1EES1Q_EEDaS1L_S1M_EUlS1L_E_NS1_11comp_targetILNS1_3genE10ELNS1_11target_archE1200ELNS1_3gpuE4ELNS1_3repE0EEENS1_30default_config_static_selectorELNS0_4arch9wavefront6targetE0EEEvSZ_, .Lfunc_end1720-_ZN7rocprim17ROCPRIM_400000_NS6detail17trampoline_kernelINS0_13select_configILj256ELj13ELNS0_17block_load_methodE3ELS4_3ELS4_3ELNS0_20block_scan_algorithmE0ELj4294967295EEENS1_25partition_config_selectorILNS1_17partition_subalgoE3EjNS0_10empty_typeEbEEZZNS1_14partition_implILS8_3ELb0ES6_jNS0_17counting_iteratorIjlEEPS9_SE_NS0_5tupleIJPjSE_EEENSF_IJSE_SE_EEES9_SG_JZNS1_25segmented_radix_sort_implINS0_14default_configELb1EPK6__halfPSL_PKlPlN2at6native12_GLOBAL__N_18offset_tEEE10hipError_tPvRmT1_PNSt15iterator_traitsISZ_E10value_typeET2_T3_PNS10_IS15_E10value_typeET4_jRbjT5_S1B_jjP12ihipStream_tbEUljE_EEESW_SX_SY_S15_S19_S1B_T6_T7_T9_mT8_S1D_bDpT10_ENKUlT_T0_E_clISt17integral_constantIbLb1EES1Q_EEDaS1L_S1M_EUlS1L_E_NS1_11comp_targetILNS1_3genE10ELNS1_11target_archE1200ELNS1_3gpuE4ELNS1_3repE0EEENS1_30default_config_static_selectorELNS0_4arch9wavefront6targetE0EEEvSZ_
                                        ; -- End function
	.set _ZN7rocprim17ROCPRIM_400000_NS6detail17trampoline_kernelINS0_13select_configILj256ELj13ELNS0_17block_load_methodE3ELS4_3ELS4_3ELNS0_20block_scan_algorithmE0ELj4294967295EEENS1_25partition_config_selectorILNS1_17partition_subalgoE3EjNS0_10empty_typeEbEEZZNS1_14partition_implILS8_3ELb0ES6_jNS0_17counting_iteratorIjlEEPS9_SE_NS0_5tupleIJPjSE_EEENSF_IJSE_SE_EEES9_SG_JZNS1_25segmented_radix_sort_implINS0_14default_configELb1EPK6__halfPSL_PKlPlN2at6native12_GLOBAL__N_18offset_tEEE10hipError_tPvRmT1_PNSt15iterator_traitsISZ_E10value_typeET2_T3_PNS10_IS15_E10value_typeET4_jRbjT5_S1B_jjP12ihipStream_tbEUljE_EEESW_SX_SY_S15_S19_S1B_T6_T7_T9_mT8_S1D_bDpT10_ENKUlT_T0_E_clISt17integral_constantIbLb1EES1Q_EEDaS1L_S1M_EUlS1L_E_NS1_11comp_targetILNS1_3genE10ELNS1_11target_archE1200ELNS1_3gpuE4ELNS1_3repE0EEENS1_30default_config_static_selectorELNS0_4arch9wavefront6targetE0EEEvSZ_.num_vgpr, 0
	.set _ZN7rocprim17ROCPRIM_400000_NS6detail17trampoline_kernelINS0_13select_configILj256ELj13ELNS0_17block_load_methodE3ELS4_3ELS4_3ELNS0_20block_scan_algorithmE0ELj4294967295EEENS1_25partition_config_selectorILNS1_17partition_subalgoE3EjNS0_10empty_typeEbEEZZNS1_14partition_implILS8_3ELb0ES6_jNS0_17counting_iteratorIjlEEPS9_SE_NS0_5tupleIJPjSE_EEENSF_IJSE_SE_EEES9_SG_JZNS1_25segmented_radix_sort_implINS0_14default_configELb1EPK6__halfPSL_PKlPlN2at6native12_GLOBAL__N_18offset_tEEE10hipError_tPvRmT1_PNSt15iterator_traitsISZ_E10value_typeET2_T3_PNS10_IS15_E10value_typeET4_jRbjT5_S1B_jjP12ihipStream_tbEUljE_EEESW_SX_SY_S15_S19_S1B_T6_T7_T9_mT8_S1D_bDpT10_ENKUlT_T0_E_clISt17integral_constantIbLb1EES1Q_EEDaS1L_S1M_EUlS1L_E_NS1_11comp_targetILNS1_3genE10ELNS1_11target_archE1200ELNS1_3gpuE4ELNS1_3repE0EEENS1_30default_config_static_selectorELNS0_4arch9wavefront6targetE0EEEvSZ_.num_agpr, 0
	.set _ZN7rocprim17ROCPRIM_400000_NS6detail17trampoline_kernelINS0_13select_configILj256ELj13ELNS0_17block_load_methodE3ELS4_3ELS4_3ELNS0_20block_scan_algorithmE0ELj4294967295EEENS1_25partition_config_selectorILNS1_17partition_subalgoE3EjNS0_10empty_typeEbEEZZNS1_14partition_implILS8_3ELb0ES6_jNS0_17counting_iteratorIjlEEPS9_SE_NS0_5tupleIJPjSE_EEENSF_IJSE_SE_EEES9_SG_JZNS1_25segmented_radix_sort_implINS0_14default_configELb1EPK6__halfPSL_PKlPlN2at6native12_GLOBAL__N_18offset_tEEE10hipError_tPvRmT1_PNSt15iterator_traitsISZ_E10value_typeET2_T3_PNS10_IS15_E10value_typeET4_jRbjT5_S1B_jjP12ihipStream_tbEUljE_EEESW_SX_SY_S15_S19_S1B_T6_T7_T9_mT8_S1D_bDpT10_ENKUlT_T0_E_clISt17integral_constantIbLb1EES1Q_EEDaS1L_S1M_EUlS1L_E_NS1_11comp_targetILNS1_3genE10ELNS1_11target_archE1200ELNS1_3gpuE4ELNS1_3repE0EEENS1_30default_config_static_selectorELNS0_4arch9wavefront6targetE0EEEvSZ_.numbered_sgpr, 0
	.set _ZN7rocprim17ROCPRIM_400000_NS6detail17trampoline_kernelINS0_13select_configILj256ELj13ELNS0_17block_load_methodE3ELS4_3ELS4_3ELNS0_20block_scan_algorithmE0ELj4294967295EEENS1_25partition_config_selectorILNS1_17partition_subalgoE3EjNS0_10empty_typeEbEEZZNS1_14partition_implILS8_3ELb0ES6_jNS0_17counting_iteratorIjlEEPS9_SE_NS0_5tupleIJPjSE_EEENSF_IJSE_SE_EEES9_SG_JZNS1_25segmented_radix_sort_implINS0_14default_configELb1EPK6__halfPSL_PKlPlN2at6native12_GLOBAL__N_18offset_tEEE10hipError_tPvRmT1_PNSt15iterator_traitsISZ_E10value_typeET2_T3_PNS10_IS15_E10value_typeET4_jRbjT5_S1B_jjP12ihipStream_tbEUljE_EEESW_SX_SY_S15_S19_S1B_T6_T7_T9_mT8_S1D_bDpT10_ENKUlT_T0_E_clISt17integral_constantIbLb1EES1Q_EEDaS1L_S1M_EUlS1L_E_NS1_11comp_targetILNS1_3genE10ELNS1_11target_archE1200ELNS1_3gpuE4ELNS1_3repE0EEENS1_30default_config_static_selectorELNS0_4arch9wavefront6targetE0EEEvSZ_.num_named_barrier, 0
	.set _ZN7rocprim17ROCPRIM_400000_NS6detail17trampoline_kernelINS0_13select_configILj256ELj13ELNS0_17block_load_methodE3ELS4_3ELS4_3ELNS0_20block_scan_algorithmE0ELj4294967295EEENS1_25partition_config_selectorILNS1_17partition_subalgoE3EjNS0_10empty_typeEbEEZZNS1_14partition_implILS8_3ELb0ES6_jNS0_17counting_iteratorIjlEEPS9_SE_NS0_5tupleIJPjSE_EEENSF_IJSE_SE_EEES9_SG_JZNS1_25segmented_radix_sort_implINS0_14default_configELb1EPK6__halfPSL_PKlPlN2at6native12_GLOBAL__N_18offset_tEEE10hipError_tPvRmT1_PNSt15iterator_traitsISZ_E10value_typeET2_T3_PNS10_IS15_E10value_typeET4_jRbjT5_S1B_jjP12ihipStream_tbEUljE_EEESW_SX_SY_S15_S19_S1B_T6_T7_T9_mT8_S1D_bDpT10_ENKUlT_T0_E_clISt17integral_constantIbLb1EES1Q_EEDaS1L_S1M_EUlS1L_E_NS1_11comp_targetILNS1_3genE10ELNS1_11target_archE1200ELNS1_3gpuE4ELNS1_3repE0EEENS1_30default_config_static_selectorELNS0_4arch9wavefront6targetE0EEEvSZ_.private_seg_size, 0
	.set _ZN7rocprim17ROCPRIM_400000_NS6detail17trampoline_kernelINS0_13select_configILj256ELj13ELNS0_17block_load_methodE3ELS4_3ELS4_3ELNS0_20block_scan_algorithmE0ELj4294967295EEENS1_25partition_config_selectorILNS1_17partition_subalgoE3EjNS0_10empty_typeEbEEZZNS1_14partition_implILS8_3ELb0ES6_jNS0_17counting_iteratorIjlEEPS9_SE_NS0_5tupleIJPjSE_EEENSF_IJSE_SE_EEES9_SG_JZNS1_25segmented_radix_sort_implINS0_14default_configELb1EPK6__halfPSL_PKlPlN2at6native12_GLOBAL__N_18offset_tEEE10hipError_tPvRmT1_PNSt15iterator_traitsISZ_E10value_typeET2_T3_PNS10_IS15_E10value_typeET4_jRbjT5_S1B_jjP12ihipStream_tbEUljE_EEESW_SX_SY_S15_S19_S1B_T6_T7_T9_mT8_S1D_bDpT10_ENKUlT_T0_E_clISt17integral_constantIbLb1EES1Q_EEDaS1L_S1M_EUlS1L_E_NS1_11comp_targetILNS1_3genE10ELNS1_11target_archE1200ELNS1_3gpuE4ELNS1_3repE0EEENS1_30default_config_static_selectorELNS0_4arch9wavefront6targetE0EEEvSZ_.uses_vcc, 0
	.set _ZN7rocprim17ROCPRIM_400000_NS6detail17trampoline_kernelINS0_13select_configILj256ELj13ELNS0_17block_load_methodE3ELS4_3ELS4_3ELNS0_20block_scan_algorithmE0ELj4294967295EEENS1_25partition_config_selectorILNS1_17partition_subalgoE3EjNS0_10empty_typeEbEEZZNS1_14partition_implILS8_3ELb0ES6_jNS0_17counting_iteratorIjlEEPS9_SE_NS0_5tupleIJPjSE_EEENSF_IJSE_SE_EEES9_SG_JZNS1_25segmented_radix_sort_implINS0_14default_configELb1EPK6__halfPSL_PKlPlN2at6native12_GLOBAL__N_18offset_tEEE10hipError_tPvRmT1_PNSt15iterator_traitsISZ_E10value_typeET2_T3_PNS10_IS15_E10value_typeET4_jRbjT5_S1B_jjP12ihipStream_tbEUljE_EEESW_SX_SY_S15_S19_S1B_T6_T7_T9_mT8_S1D_bDpT10_ENKUlT_T0_E_clISt17integral_constantIbLb1EES1Q_EEDaS1L_S1M_EUlS1L_E_NS1_11comp_targetILNS1_3genE10ELNS1_11target_archE1200ELNS1_3gpuE4ELNS1_3repE0EEENS1_30default_config_static_selectorELNS0_4arch9wavefront6targetE0EEEvSZ_.uses_flat_scratch, 0
	.set _ZN7rocprim17ROCPRIM_400000_NS6detail17trampoline_kernelINS0_13select_configILj256ELj13ELNS0_17block_load_methodE3ELS4_3ELS4_3ELNS0_20block_scan_algorithmE0ELj4294967295EEENS1_25partition_config_selectorILNS1_17partition_subalgoE3EjNS0_10empty_typeEbEEZZNS1_14partition_implILS8_3ELb0ES6_jNS0_17counting_iteratorIjlEEPS9_SE_NS0_5tupleIJPjSE_EEENSF_IJSE_SE_EEES9_SG_JZNS1_25segmented_radix_sort_implINS0_14default_configELb1EPK6__halfPSL_PKlPlN2at6native12_GLOBAL__N_18offset_tEEE10hipError_tPvRmT1_PNSt15iterator_traitsISZ_E10value_typeET2_T3_PNS10_IS15_E10value_typeET4_jRbjT5_S1B_jjP12ihipStream_tbEUljE_EEESW_SX_SY_S15_S19_S1B_T6_T7_T9_mT8_S1D_bDpT10_ENKUlT_T0_E_clISt17integral_constantIbLb1EES1Q_EEDaS1L_S1M_EUlS1L_E_NS1_11comp_targetILNS1_3genE10ELNS1_11target_archE1200ELNS1_3gpuE4ELNS1_3repE0EEENS1_30default_config_static_selectorELNS0_4arch9wavefront6targetE0EEEvSZ_.has_dyn_sized_stack, 0
	.set _ZN7rocprim17ROCPRIM_400000_NS6detail17trampoline_kernelINS0_13select_configILj256ELj13ELNS0_17block_load_methodE3ELS4_3ELS4_3ELNS0_20block_scan_algorithmE0ELj4294967295EEENS1_25partition_config_selectorILNS1_17partition_subalgoE3EjNS0_10empty_typeEbEEZZNS1_14partition_implILS8_3ELb0ES6_jNS0_17counting_iteratorIjlEEPS9_SE_NS0_5tupleIJPjSE_EEENSF_IJSE_SE_EEES9_SG_JZNS1_25segmented_radix_sort_implINS0_14default_configELb1EPK6__halfPSL_PKlPlN2at6native12_GLOBAL__N_18offset_tEEE10hipError_tPvRmT1_PNSt15iterator_traitsISZ_E10value_typeET2_T3_PNS10_IS15_E10value_typeET4_jRbjT5_S1B_jjP12ihipStream_tbEUljE_EEESW_SX_SY_S15_S19_S1B_T6_T7_T9_mT8_S1D_bDpT10_ENKUlT_T0_E_clISt17integral_constantIbLb1EES1Q_EEDaS1L_S1M_EUlS1L_E_NS1_11comp_targetILNS1_3genE10ELNS1_11target_archE1200ELNS1_3gpuE4ELNS1_3repE0EEENS1_30default_config_static_selectorELNS0_4arch9wavefront6targetE0EEEvSZ_.has_recursion, 0
	.set _ZN7rocprim17ROCPRIM_400000_NS6detail17trampoline_kernelINS0_13select_configILj256ELj13ELNS0_17block_load_methodE3ELS4_3ELS4_3ELNS0_20block_scan_algorithmE0ELj4294967295EEENS1_25partition_config_selectorILNS1_17partition_subalgoE3EjNS0_10empty_typeEbEEZZNS1_14partition_implILS8_3ELb0ES6_jNS0_17counting_iteratorIjlEEPS9_SE_NS0_5tupleIJPjSE_EEENSF_IJSE_SE_EEES9_SG_JZNS1_25segmented_radix_sort_implINS0_14default_configELb1EPK6__halfPSL_PKlPlN2at6native12_GLOBAL__N_18offset_tEEE10hipError_tPvRmT1_PNSt15iterator_traitsISZ_E10value_typeET2_T3_PNS10_IS15_E10value_typeET4_jRbjT5_S1B_jjP12ihipStream_tbEUljE_EEESW_SX_SY_S15_S19_S1B_T6_T7_T9_mT8_S1D_bDpT10_ENKUlT_T0_E_clISt17integral_constantIbLb1EES1Q_EEDaS1L_S1M_EUlS1L_E_NS1_11comp_targetILNS1_3genE10ELNS1_11target_archE1200ELNS1_3gpuE4ELNS1_3repE0EEENS1_30default_config_static_selectorELNS0_4arch9wavefront6targetE0EEEvSZ_.has_indirect_call, 0
	.section	.AMDGPU.csdata,"",@progbits
; Kernel info:
; codeLenInByte = 4
; TotalNumSgprs: 0
; NumVgprs: 0
; ScratchSize: 0
; MemoryBound: 0
; FloatMode: 240
; IeeeMode: 1
; LDSByteSize: 0 bytes/workgroup (compile time only)
; SGPRBlocks: 0
; VGPRBlocks: 0
; NumSGPRsForWavesPerEU: 1
; NumVGPRsForWavesPerEU: 1
; Occupancy: 16
; WaveLimiterHint : 0
; COMPUTE_PGM_RSRC2:SCRATCH_EN: 0
; COMPUTE_PGM_RSRC2:USER_SGPR: 2
; COMPUTE_PGM_RSRC2:TRAP_HANDLER: 0
; COMPUTE_PGM_RSRC2:TGID_X_EN: 1
; COMPUTE_PGM_RSRC2:TGID_Y_EN: 0
; COMPUTE_PGM_RSRC2:TGID_Z_EN: 0
; COMPUTE_PGM_RSRC2:TIDIG_COMP_CNT: 0
	.section	.text._ZN7rocprim17ROCPRIM_400000_NS6detail17trampoline_kernelINS0_13select_configILj256ELj13ELNS0_17block_load_methodE3ELS4_3ELS4_3ELNS0_20block_scan_algorithmE0ELj4294967295EEENS1_25partition_config_selectorILNS1_17partition_subalgoE3EjNS0_10empty_typeEbEEZZNS1_14partition_implILS8_3ELb0ES6_jNS0_17counting_iteratorIjlEEPS9_SE_NS0_5tupleIJPjSE_EEENSF_IJSE_SE_EEES9_SG_JZNS1_25segmented_radix_sort_implINS0_14default_configELb1EPK6__halfPSL_PKlPlN2at6native12_GLOBAL__N_18offset_tEEE10hipError_tPvRmT1_PNSt15iterator_traitsISZ_E10value_typeET2_T3_PNS10_IS15_E10value_typeET4_jRbjT5_S1B_jjP12ihipStream_tbEUljE_EEESW_SX_SY_S15_S19_S1B_T6_T7_T9_mT8_S1D_bDpT10_ENKUlT_T0_E_clISt17integral_constantIbLb1EES1Q_EEDaS1L_S1M_EUlS1L_E_NS1_11comp_targetILNS1_3genE9ELNS1_11target_archE1100ELNS1_3gpuE3ELNS1_3repE0EEENS1_30default_config_static_selectorELNS0_4arch9wavefront6targetE0EEEvSZ_,"axG",@progbits,_ZN7rocprim17ROCPRIM_400000_NS6detail17trampoline_kernelINS0_13select_configILj256ELj13ELNS0_17block_load_methodE3ELS4_3ELS4_3ELNS0_20block_scan_algorithmE0ELj4294967295EEENS1_25partition_config_selectorILNS1_17partition_subalgoE3EjNS0_10empty_typeEbEEZZNS1_14partition_implILS8_3ELb0ES6_jNS0_17counting_iteratorIjlEEPS9_SE_NS0_5tupleIJPjSE_EEENSF_IJSE_SE_EEES9_SG_JZNS1_25segmented_radix_sort_implINS0_14default_configELb1EPK6__halfPSL_PKlPlN2at6native12_GLOBAL__N_18offset_tEEE10hipError_tPvRmT1_PNSt15iterator_traitsISZ_E10value_typeET2_T3_PNS10_IS15_E10value_typeET4_jRbjT5_S1B_jjP12ihipStream_tbEUljE_EEESW_SX_SY_S15_S19_S1B_T6_T7_T9_mT8_S1D_bDpT10_ENKUlT_T0_E_clISt17integral_constantIbLb1EES1Q_EEDaS1L_S1M_EUlS1L_E_NS1_11comp_targetILNS1_3genE9ELNS1_11target_archE1100ELNS1_3gpuE3ELNS1_3repE0EEENS1_30default_config_static_selectorELNS0_4arch9wavefront6targetE0EEEvSZ_,comdat
	.globl	_ZN7rocprim17ROCPRIM_400000_NS6detail17trampoline_kernelINS0_13select_configILj256ELj13ELNS0_17block_load_methodE3ELS4_3ELS4_3ELNS0_20block_scan_algorithmE0ELj4294967295EEENS1_25partition_config_selectorILNS1_17partition_subalgoE3EjNS0_10empty_typeEbEEZZNS1_14partition_implILS8_3ELb0ES6_jNS0_17counting_iteratorIjlEEPS9_SE_NS0_5tupleIJPjSE_EEENSF_IJSE_SE_EEES9_SG_JZNS1_25segmented_radix_sort_implINS0_14default_configELb1EPK6__halfPSL_PKlPlN2at6native12_GLOBAL__N_18offset_tEEE10hipError_tPvRmT1_PNSt15iterator_traitsISZ_E10value_typeET2_T3_PNS10_IS15_E10value_typeET4_jRbjT5_S1B_jjP12ihipStream_tbEUljE_EEESW_SX_SY_S15_S19_S1B_T6_T7_T9_mT8_S1D_bDpT10_ENKUlT_T0_E_clISt17integral_constantIbLb1EES1Q_EEDaS1L_S1M_EUlS1L_E_NS1_11comp_targetILNS1_3genE9ELNS1_11target_archE1100ELNS1_3gpuE3ELNS1_3repE0EEENS1_30default_config_static_selectorELNS0_4arch9wavefront6targetE0EEEvSZ_ ; -- Begin function _ZN7rocprim17ROCPRIM_400000_NS6detail17trampoline_kernelINS0_13select_configILj256ELj13ELNS0_17block_load_methodE3ELS4_3ELS4_3ELNS0_20block_scan_algorithmE0ELj4294967295EEENS1_25partition_config_selectorILNS1_17partition_subalgoE3EjNS0_10empty_typeEbEEZZNS1_14partition_implILS8_3ELb0ES6_jNS0_17counting_iteratorIjlEEPS9_SE_NS0_5tupleIJPjSE_EEENSF_IJSE_SE_EEES9_SG_JZNS1_25segmented_radix_sort_implINS0_14default_configELb1EPK6__halfPSL_PKlPlN2at6native12_GLOBAL__N_18offset_tEEE10hipError_tPvRmT1_PNSt15iterator_traitsISZ_E10value_typeET2_T3_PNS10_IS15_E10value_typeET4_jRbjT5_S1B_jjP12ihipStream_tbEUljE_EEESW_SX_SY_S15_S19_S1B_T6_T7_T9_mT8_S1D_bDpT10_ENKUlT_T0_E_clISt17integral_constantIbLb1EES1Q_EEDaS1L_S1M_EUlS1L_E_NS1_11comp_targetILNS1_3genE9ELNS1_11target_archE1100ELNS1_3gpuE3ELNS1_3repE0EEENS1_30default_config_static_selectorELNS0_4arch9wavefront6targetE0EEEvSZ_
	.p2align	8
	.type	_ZN7rocprim17ROCPRIM_400000_NS6detail17trampoline_kernelINS0_13select_configILj256ELj13ELNS0_17block_load_methodE3ELS4_3ELS4_3ELNS0_20block_scan_algorithmE0ELj4294967295EEENS1_25partition_config_selectorILNS1_17partition_subalgoE3EjNS0_10empty_typeEbEEZZNS1_14partition_implILS8_3ELb0ES6_jNS0_17counting_iteratorIjlEEPS9_SE_NS0_5tupleIJPjSE_EEENSF_IJSE_SE_EEES9_SG_JZNS1_25segmented_radix_sort_implINS0_14default_configELb1EPK6__halfPSL_PKlPlN2at6native12_GLOBAL__N_18offset_tEEE10hipError_tPvRmT1_PNSt15iterator_traitsISZ_E10value_typeET2_T3_PNS10_IS15_E10value_typeET4_jRbjT5_S1B_jjP12ihipStream_tbEUljE_EEESW_SX_SY_S15_S19_S1B_T6_T7_T9_mT8_S1D_bDpT10_ENKUlT_T0_E_clISt17integral_constantIbLb1EES1Q_EEDaS1L_S1M_EUlS1L_E_NS1_11comp_targetILNS1_3genE9ELNS1_11target_archE1100ELNS1_3gpuE3ELNS1_3repE0EEENS1_30default_config_static_selectorELNS0_4arch9wavefront6targetE0EEEvSZ_,@function
_ZN7rocprim17ROCPRIM_400000_NS6detail17trampoline_kernelINS0_13select_configILj256ELj13ELNS0_17block_load_methodE3ELS4_3ELS4_3ELNS0_20block_scan_algorithmE0ELj4294967295EEENS1_25partition_config_selectorILNS1_17partition_subalgoE3EjNS0_10empty_typeEbEEZZNS1_14partition_implILS8_3ELb0ES6_jNS0_17counting_iteratorIjlEEPS9_SE_NS0_5tupleIJPjSE_EEENSF_IJSE_SE_EEES9_SG_JZNS1_25segmented_radix_sort_implINS0_14default_configELb1EPK6__halfPSL_PKlPlN2at6native12_GLOBAL__N_18offset_tEEE10hipError_tPvRmT1_PNSt15iterator_traitsISZ_E10value_typeET2_T3_PNS10_IS15_E10value_typeET4_jRbjT5_S1B_jjP12ihipStream_tbEUljE_EEESW_SX_SY_S15_S19_S1B_T6_T7_T9_mT8_S1D_bDpT10_ENKUlT_T0_E_clISt17integral_constantIbLb1EES1Q_EEDaS1L_S1M_EUlS1L_E_NS1_11comp_targetILNS1_3genE9ELNS1_11target_archE1100ELNS1_3gpuE3ELNS1_3repE0EEENS1_30default_config_static_selectorELNS0_4arch9wavefront6targetE0EEEvSZ_: ; @_ZN7rocprim17ROCPRIM_400000_NS6detail17trampoline_kernelINS0_13select_configILj256ELj13ELNS0_17block_load_methodE3ELS4_3ELS4_3ELNS0_20block_scan_algorithmE0ELj4294967295EEENS1_25partition_config_selectorILNS1_17partition_subalgoE3EjNS0_10empty_typeEbEEZZNS1_14partition_implILS8_3ELb0ES6_jNS0_17counting_iteratorIjlEEPS9_SE_NS0_5tupleIJPjSE_EEENSF_IJSE_SE_EEES9_SG_JZNS1_25segmented_radix_sort_implINS0_14default_configELb1EPK6__halfPSL_PKlPlN2at6native12_GLOBAL__N_18offset_tEEE10hipError_tPvRmT1_PNSt15iterator_traitsISZ_E10value_typeET2_T3_PNS10_IS15_E10value_typeET4_jRbjT5_S1B_jjP12ihipStream_tbEUljE_EEESW_SX_SY_S15_S19_S1B_T6_T7_T9_mT8_S1D_bDpT10_ENKUlT_T0_E_clISt17integral_constantIbLb1EES1Q_EEDaS1L_S1M_EUlS1L_E_NS1_11comp_targetILNS1_3genE9ELNS1_11target_archE1100ELNS1_3gpuE3ELNS1_3repE0EEENS1_30default_config_static_selectorELNS0_4arch9wavefront6targetE0EEEvSZ_
; %bb.0:
	.section	.rodata,"a",@progbits
	.p2align	6, 0x0
	.amdhsa_kernel _ZN7rocprim17ROCPRIM_400000_NS6detail17trampoline_kernelINS0_13select_configILj256ELj13ELNS0_17block_load_methodE3ELS4_3ELS4_3ELNS0_20block_scan_algorithmE0ELj4294967295EEENS1_25partition_config_selectorILNS1_17partition_subalgoE3EjNS0_10empty_typeEbEEZZNS1_14partition_implILS8_3ELb0ES6_jNS0_17counting_iteratorIjlEEPS9_SE_NS0_5tupleIJPjSE_EEENSF_IJSE_SE_EEES9_SG_JZNS1_25segmented_radix_sort_implINS0_14default_configELb1EPK6__halfPSL_PKlPlN2at6native12_GLOBAL__N_18offset_tEEE10hipError_tPvRmT1_PNSt15iterator_traitsISZ_E10value_typeET2_T3_PNS10_IS15_E10value_typeET4_jRbjT5_S1B_jjP12ihipStream_tbEUljE_EEESW_SX_SY_S15_S19_S1B_T6_T7_T9_mT8_S1D_bDpT10_ENKUlT_T0_E_clISt17integral_constantIbLb1EES1Q_EEDaS1L_S1M_EUlS1L_E_NS1_11comp_targetILNS1_3genE9ELNS1_11target_archE1100ELNS1_3gpuE3ELNS1_3repE0EEENS1_30default_config_static_selectorELNS0_4arch9wavefront6targetE0EEEvSZ_
		.amdhsa_group_segment_fixed_size 0
		.amdhsa_private_segment_fixed_size 0
		.amdhsa_kernarg_size 152
		.amdhsa_user_sgpr_count 2
		.amdhsa_user_sgpr_dispatch_ptr 0
		.amdhsa_user_sgpr_queue_ptr 0
		.amdhsa_user_sgpr_kernarg_segment_ptr 1
		.amdhsa_user_sgpr_dispatch_id 0
		.amdhsa_user_sgpr_private_segment_size 0
		.amdhsa_wavefront_size32 1
		.amdhsa_uses_dynamic_stack 0
		.amdhsa_enable_private_segment 0
		.amdhsa_system_sgpr_workgroup_id_x 1
		.amdhsa_system_sgpr_workgroup_id_y 0
		.amdhsa_system_sgpr_workgroup_id_z 0
		.amdhsa_system_sgpr_workgroup_info 0
		.amdhsa_system_vgpr_workitem_id 0
		.amdhsa_next_free_vgpr 1
		.amdhsa_next_free_sgpr 1
		.amdhsa_reserve_vcc 0
		.amdhsa_float_round_mode_32 0
		.amdhsa_float_round_mode_16_64 0
		.amdhsa_float_denorm_mode_32 3
		.amdhsa_float_denorm_mode_16_64 3
		.amdhsa_fp16_overflow 0
		.amdhsa_workgroup_processor_mode 1
		.amdhsa_memory_ordered 1
		.amdhsa_forward_progress 1
		.amdhsa_inst_pref_size 0
		.amdhsa_round_robin_scheduling 0
		.amdhsa_exception_fp_ieee_invalid_op 0
		.amdhsa_exception_fp_denorm_src 0
		.amdhsa_exception_fp_ieee_div_zero 0
		.amdhsa_exception_fp_ieee_overflow 0
		.amdhsa_exception_fp_ieee_underflow 0
		.amdhsa_exception_fp_ieee_inexact 0
		.amdhsa_exception_int_div_zero 0
	.end_amdhsa_kernel
	.section	.text._ZN7rocprim17ROCPRIM_400000_NS6detail17trampoline_kernelINS0_13select_configILj256ELj13ELNS0_17block_load_methodE3ELS4_3ELS4_3ELNS0_20block_scan_algorithmE0ELj4294967295EEENS1_25partition_config_selectorILNS1_17partition_subalgoE3EjNS0_10empty_typeEbEEZZNS1_14partition_implILS8_3ELb0ES6_jNS0_17counting_iteratorIjlEEPS9_SE_NS0_5tupleIJPjSE_EEENSF_IJSE_SE_EEES9_SG_JZNS1_25segmented_radix_sort_implINS0_14default_configELb1EPK6__halfPSL_PKlPlN2at6native12_GLOBAL__N_18offset_tEEE10hipError_tPvRmT1_PNSt15iterator_traitsISZ_E10value_typeET2_T3_PNS10_IS15_E10value_typeET4_jRbjT5_S1B_jjP12ihipStream_tbEUljE_EEESW_SX_SY_S15_S19_S1B_T6_T7_T9_mT8_S1D_bDpT10_ENKUlT_T0_E_clISt17integral_constantIbLb1EES1Q_EEDaS1L_S1M_EUlS1L_E_NS1_11comp_targetILNS1_3genE9ELNS1_11target_archE1100ELNS1_3gpuE3ELNS1_3repE0EEENS1_30default_config_static_selectorELNS0_4arch9wavefront6targetE0EEEvSZ_,"axG",@progbits,_ZN7rocprim17ROCPRIM_400000_NS6detail17trampoline_kernelINS0_13select_configILj256ELj13ELNS0_17block_load_methodE3ELS4_3ELS4_3ELNS0_20block_scan_algorithmE0ELj4294967295EEENS1_25partition_config_selectorILNS1_17partition_subalgoE3EjNS0_10empty_typeEbEEZZNS1_14partition_implILS8_3ELb0ES6_jNS0_17counting_iteratorIjlEEPS9_SE_NS0_5tupleIJPjSE_EEENSF_IJSE_SE_EEES9_SG_JZNS1_25segmented_radix_sort_implINS0_14default_configELb1EPK6__halfPSL_PKlPlN2at6native12_GLOBAL__N_18offset_tEEE10hipError_tPvRmT1_PNSt15iterator_traitsISZ_E10value_typeET2_T3_PNS10_IS15_E10value_typeET4_jRbjT5_S1B_jjP12ihipStream_tbEUljE_EEESW_SX_SY_S15_S19_S1B_T6_T7_T9_mT8_S1D_bDpT10_ENKUlT_T0_E_clISt17integral_constantIbLb1EES1Q_EEDaS1L_S1M_EUlS1L_E_NS1_11comp_targetILNS1_3genE9ELNS1_11target_archE1100ELNS1_3gpuE3ELNS1_3repE0EEENS1_30default_config_static_selectorELNS0_4arch9wavefront6targetE0EEEvSZ_,comdat
.Lfunc_end1721:
	.size	_ZN7rocprim17ROCPRIM_400000_NS6detail17trampoline_kernelINS0_13select_configILj256ELj13ELNS0_17block_load_methodE3ELS4_3ELS4_3ELNS0_20block_scan_algorithmE0ELj4294967295EEENS1_25partition_config_selectorILNS1_17partition_subalgoE3EjNS0_10empty_typeEbEEZZNS1_14partition_implILS8_3ELb0ES6_jNS0_17counting_iteratorIjlEEPS9_SE_NS0_5tupleIJPjSE_EEENSF_IJSE_SE_EEES9_SG_JZNS1_25segmented_radix_sort_implINS0_14default_configELb1EPK6__halfPSL_PKlPlN2at6native12_GLOBAL__N_18offset_tEEE10hipError_tPvRmT1_PNSt15iterator_traitsISZ_E10value_typeET2_T3_PNS10_IS15_E10value_typeET4_jRbjT5_S1B_jjP12ihipStream_tbEUljE_EEESW_SX_SY_S15_S19_S1B_T6_T7_T9_mT8_S1D_bDpT10_ENKUlT_T0_E_clISt17integral_constantIbLb1EES1Q_EEDaS1L_S1M_EUlS1L_E_NS1_11comp_targetILNS1_3genE9ELNS1_11target_archE1100ELNS1_3gpuE3ELNS1_3repE0EEENS1_30default_config_static_selectorELNS0_4arch9wavefront6targetE0EEEvSZ_, .Lfunc_end1721-_ZN7rocprim17ROCPRIM_400000_NS6detail17trampoline_kernelINS0_13select_configILj256ELj13ELNS0_17block_load_methodE3ELS4_3ELS4_3ELNS0_20block_scan_algorithmE0ELj4294967295EEENS1_25partition_config_selectorILNS1_17partition_subalgoE3EjNS0_10empty_typeEbEEZZNS1_14partition_implILS8_3ELb0ES6_jNS0_17counting_iteratorIjlEEPS9_SE_NS0_5tupleIJPjSE_EEENSF_IJSE_SE_EEES9_SG_JZNS1_25segmented_radix_sort_implINS0_14default_configELb1EPK6__halfPSL_PKlPlN2at6native12_GLOBAL__N_18offset_tEEE10hipError_tPvRmT1_PNSt15iterator_traitsISZ_E10value_typeET2_T3_PNS10_IS15_E10value_typeET4_jRbjT5_S1B_jjP12ihipStream_tbEUljE_EEESW_SX_SY_S15_S19_S1B_T6_T7_T9_mT8_S1D_bDpT10_ENKUlT_T0_E_clISt17integral_constantIbLb1EES1Q_EEDaS1L_S1M_EUlS1L_E_NS1_11comp_targetILNS1_3genE9ELNS1_11target_archE1100ELNS1_3gpuE3ELNS1_3repE0EEENS1_30default_config_static_selectorELNS0_4arch9wavefront6targetE0EEEvSZ_
                                        ; -- End function
	.set _ZN7rocprim17ROCPRIM_400000_NS6detail17trampoline_kernelINS0_13select_configILj256ELj13ELNS0_17block_load_methodE3ELS4_3ELS4_3ELNS0_20block_scan_algorithmE0ELj4294967295EEENS1_25partition_config_selectorILNS1_17partition_subalgoE3EjNS0_10empty_typeEbEEZZNS1_14partition_implILS8_3ELb0ES6_jNS0_17counting_iteratorIjlEEPS9_SE_NS0_5tupleIJPjSE_EEENSF_IJSE_SE_EEES9_SG_JZNS1_25segmented_radix_sort_implINS0_14default_configELb1EPK6__halfPSL_PKlPlN2at6native12_GLOBAL__N_18offset_tEEE10hipError_tPvRmT1_PNSt15iterator_traitsISZ_E10value_typeET2_T3_PNS10_IS15_E10value_typeET4_jRbjT5_S1B_jjP12ihipStream_tbEUljE_EEESW_SX_SY_S15_S19_S1B_T6_T7_T9_mT8_S1D_bDpT10_ENKUlT_T0_E_clISt17integral_constantIbLb1EES1Q_EEDaS1L_S1M_EUlS1L_E_NS1_11comp_targetILNS1_3genE9ELNS1_11target_archE1100ELNS1_3gpuE3ELNS1_3repE0EEENS1_30default_config_static_selectorELNS0_4arch9wavefront6targetE0EEEvSZ_.num_vgpr, 0
	.set _ZN7rocprim17ROCPRIM_400000_NS6detail17trampoline_kernelINS0_13select_configILj256ELj13ELNS0_17block_load_methodE3ELS4_3ELS4_3ELNS0_20block_scan_algorithmE0ELj4294967295EEENS1_25partition_config_selectorILNS1_17partition_subalgoE3EjNS0_10empty_typeEbEEZZNS1_14partition_implILS8_3ELb0ES6_jNS0_17counting_iteratorIjlEEPS9_SE_NS0_5tupleIJPjSE_EEENSF_IJSE_SE_EEES9_SG_JZNS1_25segmented_radix_sort_implINS0_14default_configELb1EPK6__halfPSL_PKlPlN2at6native12_GLOBAL__N_18offset_tEEE10hipError_tPvRmT1_PNSt15iterator_traitsISZ_E10value_typeET2_T3_PNS10_IS15_E10value_typeET4_jRbjT5_S1B_jjP12ihipStream_tbEUljE_EEESW_SX_SY_S15_S19_S1B_T6_T7_T9_mT8_S1D_bDpT10_ENKUlT_T0_E_clISt17integral_constantIbLb1EES1Q_EEDaS1L_S1M_EUlS1L_E_NS1_11comp_targetILNS1_3genE9ELNS1_11target_archE1100ELNS1_3gpuE3ELNS1_3repE0EEENS1_30default_config_static_selectorELNS0_4arch9wavefront6targetE0EEEvSZ_.num_agpr, 0
	.set _ZN7rocprim17ROCPRIM_400000_NS6detail17trampoline_kernelINS0_13select_configILj256ELj13ELNS0_17block_load_methodE3ELS4_3ELS4_3ELNS0_20block_scan_algorithmE0ELj4294967295EEENS1_25partition_config_selectorILNS1_17partition_subalgoE3EjNS0_10empty_typeEbEEZZNS1_14partition_implILS8_3ELb0ES6_jNS0_17counting_iteratorIjlEEPS9_SE_NS0_5tupleIJPjSE_EEENSF_IJSE_SE_EEES9_SG_JZNS1_25segmented_radix_sort_implINS0_14default_configELb1EPK6__halfPSL_PKlPlN2at6native12_GLOBAL__N_18offset_tEEE10hipError_tPvRmT1_PNSt15iterator_traitsISZ_E10value_typeET2_T3_PNS10_IS15_E10value_typeET4_jRbjT5_S1B_jjP12ihipStream_tbEUljE_EEESW_SX_SY_S15_S19_S1B_T6_T7_T9_mT8_S1D_bDpT10_ENKUlT_T0_E_clISt17integral_constantIbLb1EES1Q_EEDaS1L_S1M_EUlS1L_E_NS1_11comp_targetILNS1_3genE9ELNS1_11target_archE1100ELNS1_3gpuE3ELNS1_3repE0EEENS1_30default_config_static_selectorELNS0_4arch9wavefront6targetE0EEEvSZ_.numbered_sgpr, 0
	.set _ZN7rocprim17ROCPRIM_400000_NS6detail17trampoline_kernelINS0_13select_configILj256ELj13ELNS0_17block_load_methodE3ELS4_3ELS4_3ELNS0_20block_scan_algorithmE0ELj4294967295EEENS1_25partition_config_selectorILNS1_17partition_subalgoE3EjNS0_10empty_typeEbEEZZNS1_14partition_implILS8_3ELb0ES6_jNS0_17counting_iteratorIjlEEPS9_SE_NS0_5tupleIJPjSE_EEENSF_IJSE_SE_EEES9_SG_JZNS1_25segmented_radix_sort_implINS0_14default_configELb1EPK6__halfPSL_PKlPlN2at6native12_GLOBAL__N_18offset_tEEE10hipError_tPvRmT1_PNSt15iterator_traitsISZ_E10value_typeET2_T3_PNS10_IS15_E10value_typeET4_jRbjT5_S1B_jjP12ihipStream_tbEUljE_EEESW_SX_SY_S15_S19_S1B_T6_T7_T9_mT8_S1D_bDpT10_ENKUlT_T0_E_clISt17integral_constantIbLb1EES1Q_EEDaS1L_S1M_EUlS1L_E_NS1_11comp_targetILNS1_3genE9ELNS1_11target_archE1100ELNS1_3gpuE3ELNS1_3repE0EEENS1_30default_config_static_selectorELNS0_4arch9wavefront6targetE0EEEvSZ_.num_named_barrier, 0
	.set _ZN7rocprim17ROCPRIM_400000_NS6detail17trampoline_kernelINS0_13select_configILj256ELj13ELNS0_17block_load_methodE3ELS4_3ELS4_3ELNS0_20block_scan_algorithmE0ELj4294967295EEENS1_25partition_config_selectorILNS1_17partition_subalgoE3EjNS0_10empty_typeEbEEZZNS1_14partition_implILS8_3ELb0ES6_jNS0_17counting_iteratorIjlEEPS9_SE_NS0_5tupleIJPjSE_EEENSF_IJSE_SE_EEES9_SG_JZNS1_25segmented_radix_sort_implINS0_14default_configELb1EPK6__halfPSL_PKlPlN2at6native12_GLOBAL__N_18offset_tEEE10hipError_tPvRmT1_PNSt15iterator_traitsISZ_E10value_typeET2_T3_PNS10_IS15_E10value_typeET4_jRbjT5_S1B_jjP12ihipStream_tbEUljE_EEESW_SX_SY_S15_S19_S1B_T6_T7_T9_mT8_S1D_bDpT10_ENKUlT_T0_E_clISt17integral_constantIbLb1EES1Q_EEDaS1L_S1M_EUlS1L_E_NS1_11comp_targetILNS1_3genE9ELNS1_11target_archE1100ELNS1_3gpuE3ELNS1_3repE0EEENS1_30default_config_static_selectorELNS0_4arch9wavefront6targetE0EEEvSZ_.private_seg_size, 0
	.set _ZN7rocprim17ROCPRIM_400000_NS6detail17trampoline_kernelINS0_13select_configILj256ELj13ELNS0_17block_load_methodE3ELS4_3ELS4_3ELNS0_20block_scan_algorithmE0ELj4294967295EEENS1_25partition_config_selectorILNS1_17partition_subalgoE3EjNS0_10empty_typeEbEEZZNS1_14partition_implILS8_3ELb0ES6_jNS0_17counting_iteratorIjlEEPS9_SE_NS0_5tupleIJPjSE_EEENSF_IJSE_SE_EEES9_SG_JZNS1_25segmented_radix_sort_implINS0_14default_configELb1EPK6__halfPSL_PKlPlN2at6native12_GLOBAL__N_18offset_tEEE10hipError_tPvRmT1_PNSt15iterator_traitsISZ_E10value_typeET2_T3_PNS10_IS15_E10value_typeET4_jRbjT5_S1B_jjP12ihipStream_tbEUljE_EEESW_SX_SY_S15_S19_S1B_T6_T7_T9_mT8_S1D_bDpT10_ENKUlT_T0_E_clISt17integral_constantIbLb1EES1Q_EEDaS1L_S1M_EUlS1L_E_NS1_11comp_targetILNS1_3genE9ELNS1_11target_archE1100ELNS1_3gpuE3ELNS1_3repE0EEENS1_30default_config_static_selectorELNS0_4arch9wavefront6targetE0EEEvSZ_.uses_vcc, 0
	.set _ZN7rocprim17ROCPRIM_400000_NS6detail17trampoline_kernelINS0_13select_configILj256ELj13ELNS0_17block_load_methodE3ELS4_3ELS4_3ELNS0_20block_scan_algorithmE0ELj4294967295EEENS1_25partition_config_selectorILNS1_17partition_subalgoE3EjNS0_10empty_typeEbEEZZNS1_14partition_implILS8_3ELb0ES6_jNS0_17counting_iteratorIjlEEPS9_SE_NS0_5tupleIJPjSE_EEENSF_IJSE_SE_EEES9_SG_JZNS1_25segmented_radix_sort_implINS0_14default_configELb1EPK6__halfPSL_PKlPlN2at6native12_GLOBAL__N_18offset_tEEE10hipError_tPvRmT1_PNSt15iterator_traitsISZ_E10value_typeET2_T3_PNS10_IS15_E10value_typeET4_jRbjT5_S1B_jjP12ihipStream_tbEUljE_EEESW_SX_SY_S15_S19_S1B_T6_T7_T9_mT8_S1D_bDpT10_ENKUlT_T0_E_clISt17integral_constantIbLb1EES1Q_EEDaS1L_S1M_EUlS1L_E_NS1_11comp_targetILNS1_3genE9ELNS1_11target_archE1100ELNS1_3gpuE3ELNS1_3repE0EEENS1_30default_config_static_selectorELNS0_4arch9wavefront6targetE0EEEvSZ_.uses_flat_scratch, 0
	.set _ZN7rocprim17ROCPRIM_400000_NS6detail17trampoline_kernelINS0_13select_configILj256ELj13ELNS0_17block_load_methodE3ELS4_3ELS4_3ELNS0_20block_scan_algorithmE0ELj4294967295EEENS1_25partition_config_selectorILNS1_17partition_subalgoE3EjNS0_10empty_typeEbEEZZNS1_14partition_implILS8_3ELb0ES6_jNS0_17counting_iteratorIjlEEPS9_SE_NS0_5tupleIJPjSE_EEENSF_IJSE_SE_EEES9_SG_JZNS1_25segmented_radix_sort_implINS0_14default_configELb1EPK6__halfPSL_PKlPlN2at6native12_GLOBAL__N_18offset_tEEE10hipError_tPvRmT1_PNSt15iterator_traitsISZ_E10value_typeET2_T3_PNS10_IS15_E10value_typeET4_jRbjT5_S1B_jjP12ihipStream_tbEUljE_EEESW_SX_SY_S15_S19_S1B_T6_T7_T9_mT8_S1D_bDpT10_ENKUlT_T0_E_clISt17integral_constantIbLb1EES1Q_EEDaS1L_S1M_EUlS1L_E_NS1_11comp_targetILNS1_3genE9ELNS1_11target_archE1100ELNS1_3gpuE3ELNS1_3repE0EEENS1_30default_config_static_selectorELNS0_4arch9wavefront6targetE0EEEvSZ_.has_dyn_sized_stack, 0
	.set _ZN7rocprim17ROCPRIM_400000_NS6detail17trampoline_kernelINS0_13select_configILj256ELj13ELNS0_17block_load_methodE3ELS4_3ELS4_3ELNS0_20block_scan_algorithmE0ELj4294967295EEENS1_25partition_config_selectorILNS1_17partition_subalgoE3EjNS0_10empty_typeEbEEZZNS1_14partition_implILS8_3ELb0ES6_jNS0_17counting_iteratorIjlEEPS9_SE_NS0_5tupleIJPjSE_EEENSF_IJSE_SE_EEES9_SG_JZNS1_25segmented_radix_sort_implINS0_14default_configELb1EPK6__halfPSL_PKlPlN2at6native12_GLOBAL__N_18offset_tEEE10hipError_tPvRmT1_PNSt15iterator_traitsISZ_E10value_typeET2_T3_PNS10_IS15_E10value_typeET4_jRbjT5_S1B_jjP12ihipStream_tbEUljE_EEESW_SX_SY_S15_S19_S1B_T6_T7_T9_mT8_S1D_bDpT10_ENKUlT_T0_E_clISt17integral_constantIbLb1EES1Q_EEDaS1L_S1M_EUlS1L_E_NS1_11comp_targetILNS1_3genE9ELNS1_11target_archE1100ELNS1_3gpuE3ELNS1_3repE0EEENS1_30default_config_static_selectorELNS0_4arch9wavefront6targetE0EEEvSZ_.has_recursion, 0
	.set _ZN7rocprim17ROCPRIM_400000_NS6detail17trampoline_kernelINS0_13select_configILj256ELj13ELNS0_17block_load_methodE3ELS4_3ELS4_3ELNS0_20block_scan_algorithmE0ELj4294967295EEENS1_25partition_config_selectorILNS1_17partition_subalgoE3EjNS0_10empty_typeEbEEZZNS1_14partition_implILS8_3ELb0ES6_jNS0_17counting_iteratorIjlEEPS9_SE_NS0_5tupleIJPjSE_EEENSF_IJSE_SE_EEES9_SG_JZNS1_25segmented_radix_sort_implINS0_14default_configELb1EPK6__halfPSL_PKlPlN2at6native12_GLOBAL__N_18offset_tEEE10hipError_tPvRmT1_PNSt15iterator_traitsISZ_E10value_typeET2_T3_PNS10_IS15_E10value_typeET4_jRbjT5_S1B_jjP12ihipStream_tbEUljE_EEESW_SX_SY_S15_S19_S1B_T6_T7_T9_mT8_S1D_bDpT10_ENKUlT_T0_E_clISt17integral_constantIbLb1EES1Q_EEDaS1L_S1M_EUlS1L_E_NS1_11comp_targetILNS1_3genE9ELNS1_11target_archE1100ELNS1_3gpuE3ELNS1_3repE0EEENS1_30default_config_static_selectorELNS0_4arch9wavefront6targetE0EEEvSZ_.has_indirect_call, 0
	.section	.AMDGPU.csdata,"",@progbits
; Kernel info:
; codeLenInByte = 0
; TotalNumSgprs: 0
; NumVgprs: 0
; ScratchSize: 0
; MemoryBound: 0
; FloatMode: 240
; IeeeMode: 1
; LDSByteSize: 0 bytes/workgroup (compile time only)
; SGPRBlocks: 0
; VGPRBlocks: 0
; NumSGPRsForWavesPerEU: 1
; NumVGPRsForWavesPerEU: 1
; Occupancy: 16
; WaveLimiterHint : 0
; COMPUTE_PGM_RSRC2:SCRATCH_EN: 0
; COMPUTE_PGM_RSRC2:USER_SGPR: 2
; COMPUTE_PGM_RSRC2:TRAP_HANDLER: 0
; COMPUTE_PGM_RSRC2:TGID_X_EN: 1
; COMPUTE_PGM_RSRC2:TGID_Y_EN: 0
; COMPUTE_PGM_RSRC2:TGID_Z_EN: 0
; COMPUTE_PGM_RSRC2:TIDIG_COMP_CNT: 0
	.section	.text._ZN7rocprim17ROCPRIM_400000_NS6detail17trampoline_kernelINS0_13select_configILj256ELj13ELNS0_17block_load_methodE3ELS4_3ELS4_3ELNS0_20block_scan_algorithmE0ELj4294967295EEENS1_25partition_config_selectorILNS1_17partition_subalgoE3EjNS0_10empty_typeEbEEZZNS1_14partition_implILS8_3ELb0ES6_jNS0_17counting_iteratorIjlEEPS9_SE_NS0_5tupleIJPjSE_EEENSF_IJSE_SE_EEES9_SG_JZNS1_25segmented_radix_sort_implINS0_14default_configELb1EPK6__halfPSL_PKlPlN2at6native12_GLOBAL__N_18offset_tEEE10hipError_tPvRmT1_PNSt15iterator_traitsISZ_E10value_typeET2_T3_PNS10_IS15_E10value_typeET4_jRbjT5_S1B_jjP12ihipStream_tbEUljE_EEESW_SX_SY_S15_S19_S1B_T6_T7_T9_mT8_S1D_bDpT10_ENKUlT_T0_E_clISt17integral_constantIbLb1EES1Q_EEDaS1L_S1M_EUlS1L_E_NS1_11comp_targetILNS1_3genE8ELNS1_11target_archE1030ELNS1_3gpuE2ELNS1_3repE0EEENS1_30default_config_static_selectorELNS0_4arch9wavefront6targetE0EEEvSZ_,"axG",@progbits,_ZN7rocprim17ROCPRIM_400000_NS6detail17trampoline_kernelINS0_13select_configILj256ELj13ELNS0_17block_load_methodE3ELS4_3ELS4_3ELNS0_20block_scan_algorithmE0ELj4294967295EEENS1_25partition_config_selectorILNS1_17partition_subalgoE3EjNS0_10empty_typeEbEEZZNS1_14partition_implILS8_3ELb0ES6_jNS0_17counting_iteratorIjlEEPS9_SE_NS0_5tupleIJPjSE_EEENSF_IJSE_SE_EEES9_SG_JZNS1_25segmented_radix_sort_implINS0_14default_configELb1EPK6__halfPSL_PKlPlN2at6native12_GLOBAL__N_18offset_tEEE10hipError_tPvRmT1_PNSt15iterator_traitsISZ_E10value_typeET2_T3_PNS10_IS15_E10value_typeET4_jRbjT5_S1B_jjP12ihipStream_tbEUljE_EEESW_SX_SY_S15_S19_S1B_T6_T7_T9_mT8_S1D_bDpT10_ENKUlT_T0_E_clISt17integral_constantIbLb1EES1Q_EEDaS1L_S1M_EUlS1L_E_NS1_11comp_targetILNS1_3genE8ELNS1_11target_archE1030ELNS1_3gpuE2ELNS1_3repE0EEENS1_30default_config_static_selectorELNS0_4arch9wavefront6targetE0EEEvSZ_,comdat
	.globl	_ZN7rocprim17ROCPRIM_400000_NS6detail17trampoline_kernelINS0_13select_configILj256ELj13ELNS0_17block_load_methodE3ELS4_3ELS4_3ELNS0_20block_scan_algorithmE0ELj4294967295EEENS1_25partition_config_selectorILNS1_17partition_subalgoE3EjNS0_10empty_typeEbEEZZNS1_14partition_implILS8_3ELb0ES6_jNS0_17counting_iteratorIjlEEPS9_SE_NS0_5tupleIJPjSE_EEENSF_IJSE_SE_EEES9_SG_JZNS1_25segmented_radix_sort_implINS0_14default_configELb1EPK6__halfPSL_PKlPlN2at6native12_GLOBAL__N_18offset_tEEE10hipError_tPvRmT1_PNSt15iterator_traitsISZ_E10value_typeET2_T3_PNS10_IS15_E10value_typeET4_jRbjT5_S1B_jjP12ihipStream_tbEUljE_EEESW_SX_SY_S15_S19_S1B_T6_T7_T9_mT8_S1D_bDpT10_ENKUlT_T0_E_clISt17integral_constantIbLb1EES1Q_EEDaS1L_S1M_EUlS1L_E_NS1_11comp_targetILNS1_3genE8ELNS1_11target_archE1030ELNS1_3gpuE2ELNS1_3repE0EEENS1_30default_config_static_selectorELNS0_4arch9wavefront6targetE0EEEvSZ_ ; -- Begin function _ZN7rocprim17ROCPRIM_400000_NS6detail17trampoline_kernelINS0_13select_configILj256ELj13ELNS0_17block_load_methodE3ELS4_3ELS4_3ELNS0_20block_scan_algorithmE0ELj4294967295EEENS1_25partition_config_selectorILNS1_17partition_subalgoE3EjNS0_10empty_typeEbEEZZNS1_14partition_implILS8_3ELb0ES6_jNS0_17counting_iteratorIjlEEPS9_SE_NS0_5tupleIJPjSE_EEENSF_IJSE_SE_EEES9_SG_JZNS1_25segmented_radix_sort_implINS0_14default_configELb1EPK6__halfPSL_PKlPlN2at6native12_GLOBAL__N_18offset_tEEE10hipError_tPvRmT1_PNSt15iterator_traitsISZ_E10value_typeET2_T3_PNS10_IS15_E10value_typeET4_jRbjT5_S1B_jjP12ihipStream_tbEUljE_EEESW_SX_SY_S15_S19_S1B_T6_T7_T9_mT8_S1D_bDpT10_ENKUlT_T0_E_clISt17integral_constantIbLb1EES1Q_EEDaS1L_S1M_EUlS1L_E_NS1_11comp_targetILNS1_3genE8ELNS1_11target_archE1030ELNS1_3gpuE2ELNS1_3repE0EEENS1_30default_config_static_selectorELNS0_4arch9wavefront6targetE0EEEvSZ_
	.p2align	8
	.type	_ZN7rocprim17ROCPRIM_400000_NS6detail17trampoline_kernelINS0_13select_configILj256ELj13ELNS0_17block_load_methodE3ELS4_3ELS4_3ELNS0_20block_scan_algorithmE0ELj4294967295EEENS1_25partition_config_selectorILNS1_17partition_subalgoE3EjNS0_10empty_typeEbEEZZNS1_14partition_implILS8_3ELb0ES6_jNS0_17counting_iteratorIjlEEPS9_SE_NS0_5tupleIJPjSE_EEENSF_IJSE_SE_EEES9_SG_JZNS1_25segmented_radix_sort_implINS0_14default_configELb1EPK6__halfPSL_PKlPlN2at6native12_GLOBAL__N_18offset_tEEE10hipError_tPvRmT1_PNSt15iterator_traitsISZ_E10value_typeET2_T3_PNS10_IS15_E10value_typeET4_jRbjT5_S1B_jjP12ihipStream_tbEUljE_EEESW_SX_SY_S15_S19_S1B_T6_T7_T9_mT8_S1D_bDpT10_ENKUlT_T0_E_clISt17integral_constantIbLb1EES1Q_EEDaS1L_S1M_EUlS1L_E_NS1_11comp_targetILNS1_3genE8ELNS1_11target_archE1030ELNS1_3gpuE2ELNS1_3repE0EEENS1_30default_config_static_selectorELNS0_4arch9wavefront6targetE0EEEvSZ_,@function
_ZN7rocprim17ROCPRIM_400000_NS6detail17trampoline_kernelINS0_13select_configILj256ELj13ELNS0_17block_load_methodE3ELS4_3ELS4_3ELNS0_20block_scan_algorithmE0ELj4294967295EEENS1_25partition_config_selectorILNS1_17partition_subalgoE3EjNS0_10empty_typeEbEEZZNS1_14partition_implILS8_3ELb0ES6_jNS0_17counting_iteratorIjlEEPS9_SE_NS0_5tupleIJPjSE_EEENSF_IJSE_SE_EEES9_SG_JZNS1_25segmented_radix_sort_implINS0_14default_configELb1EPK6__halfPSL_PKlPlN2at6native12_GLOBAL__N_18offset_tEEE10hipError_tPvRmT1_PNSt15iterator_traitsISZ_E10value_typeET2_T3_PNS10_IS15_E10value_typeET4_jRbjT5_S1B_jjP12ihipStream_tbEUljE_EEESW_SX_SY_S15_S19_S1B_T6_T7_T9_mT8_S1D_bDpT10_ENKUlT_T0_E_clISt17integral_constantIbLb1EES1Q_EEDaS1L_S1M_EUlS1L_E_NS1_11comp_targetILNS1_3genE8ELNS1_11target_archE1030ELNS1_3gpuE2ELNS1_3repE0EEENS1_30default_config_static_selectorELNS0_4arch9wavefront6targetE0EEEvSZ_: ; @_ZN7rocprim17ROCPRIM_400000_NS6detail17trampoline_kernelINS0_13select_configILj256ELj13ELNS0_17block_load_methodE3ELS4_3ELS4_3ELNS0_20block_scan_algorithmE0ELj4294967295EEENS1_25partition_config_selectorILNS1_17partition_subalgoE3EjNS0_10empty_typeEbEEZZNS1_14partition_implILS8_3ELb0ES6_jNS0_17counting_iteratorIjlEEPS9_SE_NS0_5tupleIJPjSE_EEENSF_IJSE_SE_EEES9_SG_JZNS1_25segmented_radix_sort_implINS0_14default_configELb1EPK6__halfPSL_PKlPlN2at6native12_GLOBAL__N_18offset_tEEE10hipError_tPvRmT1_PNSt15iterator_traitsISZ_E10value_typeET2_T3_PNS10_IS15_E10value_typeET4_jRbjT5_S1B_jjP12ihipStream_tbEUljE_EEESW_SX_SY_S15_S19_S1B_T6_T7_T9_mT8_S1D_bDpT10_ENKUlT_T0_E_clISt17integral_constantIbLb1EES1Q_EEDaS1L_S1M_EUlS1L_E_NS1_11comp_targetILNS1_3genE8ELNS1_11target_archE1030ELNS1_3gpuE2ELNS1_3repE0EEENS1_30default_config_static_selectorELNS0_4arch9wavefront6targetE0EEEvSZ_
; %bb.0:
	.section	.rodata,"a",@progbits
	.p2align	6, 0x0
	.amdhsa_kernel _ZN7rocprim17ROCPRIM_400000_NS6detail17trampoline_kernelINS0_13select_configILj256ELj13ELNS0_17block_load_methodE3ELS4_3ELS4_3ELNS0_20block_scan_algorithmE0ELj4294967295EEENS1_25partition_config_selectorILNS1_17partition_subalgoE3EjNS0_10empty_typeEbEEZZNS1_14partition_implILS8_3ELb0ES6_jNS0_17counting_iteratorIjlEEPS9_SE_NS0_5tupleIJPjSE_EEENSF_IJSE_SE_EEES9_SG_JZNS1_25segmented_radix_sort_implINS0_14default_configELb1EPK6__halfPSL_PKlPlN2at6native12_GLOBAL__N_18offset_tEEE10hipError_tPvRmT1_PNSt15iterator_traitsISZ_E10value_typeET2_T3_PNS10_IS15_E10value_typeET4_jRbjT5_S1B_jjP12ihipStream_tbEUljE_EEESW_SX_SY_S15_S19_S1B_T6_T7_T9_mT8_S1D_bDpT10_ENKUlT_T0_E_clISt17integral_constantIbLb1EES1Q_EEDaS1L_S1M_EUlS1L_E_NS1_11comp_targetILNS1_3genE8ELNS1_11target_archE1030ELNS1_3gpuE2ELNS1_3repE0EEENS1_30default_config_static_selectorELNS0_4arch9wavefront6targetE0EEEvSZ_
		.amdhsa_group_segment_fixed_size 0
		.amdhsa_private_segment_fixed_size 0
		.amdhsa_kernarg_size 152
		.amdhsa_user_sgpr_count 2
		.amdhsa_user_sgpr_dispatch_ptr 0
		.amdhsa_user_sgpr_queue_ptr 0
		.amdhsa_user_sgpr_kernarg_segment_ptr 1
		.amdhsa_user_sgpr_dispatch_id 0
		.amdhsa_user_sgpr_private_segment_size 0
		.amdhsa_wavefront_size32 1
		.amdhsa_uses_dynamic_stack 0
		.amdhsa_enable_private_segment 0
		.amdhsa_system_sgpr_workgroup_id_x 1
		.amdhsa_system_sgpr_workgroup_id_y 0
		.amdhsa_system_sgpr_workgroup_id_z 0
		.amdhsa_system_sgpr_workgroup_info 0
		.amdhsa_system_vgpr_workitem_id 0
		.amdhsa_next_free_vgpr 1
		.amdhsa_next_free_sgpr 1
		.amdhsa_reserve_vcc 0
		.amdhsa_float_round_mode_32 0
		.amdhsa_float_round_mode_16_64 0
		.amdhsa_float_denorm_mode_32 3
		.amdhsa_float_denorm_mode_16_64 3
		.amdhsa_fp16_overflow 0
		.amdhsa_workgroup_processor_mode 1
		.amdhsa_memory_ordered 1
		.amdhsa_forward_progress 1
		.amdhsa_inst_pref_size 0
		.amdhsa_round_robin_scheduling 0
		.amdhsa_exception_fp_ieee_invalid_op 0
		.amdhsa_exception_fp_denorm_src 0
		.amdhsa_exception_fp_ieee_div_zero 0
		.amdhsa_exception_fp_ieee_overflow 0
		.amdhsa_exception_fp_ieee_underflow 0
		.amdhsa_exception_fp_ieee_inexact 0
		.amdhsa_exception_int_div_zero 0
	.end_amdhsa_kernel
	.section	.text._ZN7rocprim17ROCPRIM_400000_NS6detail17trampoline_kernelINS0_13select_configILj256ELj13ELNS0_17block_load_methodE3ELS4_3ELS4_3ELNS0_20block_scan_algorithmE0ELj4294967295EEENS1_25partition_config_selectorILNS1_17partition_subalgoE3EjNS0_10empty_typeEbEEZZNS1_14partition_implILS8_3ELb0ES6_jNS0_17counting_iteratorIjlEEPS9_SE_NS0_5tupleIJPjSE_EEENSF_IJSE_SE_EEES9_SG_JZNS1_25segmented_radix_sort_implINS0_14default_configELb1EPK6__halfPSL_PKlPlN2at6native12_GLOBAL__N_18offset_tEEE10hipError_tPvRmT1_PNSt15iterator_traitsISZ_E10value_typeET2_T3_PNS10_IS15_E10value_typeET4_jRbjT5_S1B_jjP12ihipStream_tbEUljE_EEESW_SX_SY_S15_S19_S1B_T6_T7_T9_mT8_S1D_bDpT10_ENKUlT_T0_E_clISt17integral_constantIbLb1EES1Q_EEDaS1L_S1M_EUlS1L_E_NS1_11comp_targetILNS1_3genE8ELNS1_11target_archE1030ELNS1_3gpuE2ELNS1_3repE0EEENS1_30default_config_static_selectorELNS0_4arch9wavefront6targetE0EEEvSZ_,"axG",@progbits,_ZN7rocprim17ROCPRIM_400000_NS6detail17trampoline_kernelINS0_13select_configILj256ELj13ELNS0_17block_load_methodE3ELS4_3ELS4_3ELNS0_20block_scan_algorithmE0ELj4294967295EEENS1_25partition_config_selectorILNS1_17partition_subalgoE3EjNS0_10empty_typeEbEEZZNS1_14partition_implILS8_3ELb0ES6_jNS0_17counting_iteratorIjlEEPS9_SE_NS0_5tupleIJPjSE_EEENSF_IJSE_SE_EEES9_SG_JZNS1_25segmented_radix_sort_implINS0_14default_configELb1EPK6__halfPSL_PKlPlN2at6native12_GLOBAL__N_18offset_tEEE10hipError_tPvRmT1_PNSt15iterator_traitsISZ_E10value_typeET2_T3_PNS10_IS15_E10value_typeET4_jRbjT5_S1B_jjP12ihipStream_tbEUljE_EEESW_SX_SY_S15_S19_S1B_T6_T7_T9_mT8_S1D_bDpT10_ENKUlT_T0_E_clISt17integral_constantIbLb1EES1Q_EEDaS1L_S1M_EUlS1L_E_NS1_11comp_targetILNS1_3genE8ELNS1_11target_archE1030ELNS1_3gpuE2ELNS1_3repE0EEENS1_30default_config_static_selectorELNS0_4arch9wavefront6targetE0EEEvSZ_,comdat
.Lfunc_end1722:
	.size	_ZN7rocprim17ROCPRIM_400000_NS6detail17trampoline_kernelINS0_13select_configILj256ELj13ELNS0_17block_load_methodE3ELS4_3ELS4_3ELNS0_20block_scan_algorithmE0ELj4294967295EEENS1_25partition_config_selectorILNS1_17partition_subalgoE3EjNS0_10empty_typeEbEEZZNS1_14partition_implILS8_3ELb0ES6_jNS0_17counting_iteratorIjlEEPS9_SE_NS0_5tupleIJPjSE_EEENSF_IJSE_SE_EEES9_SG_JZNS1_25segmented_radix_sort_implINS0_14default_configELb1EPK6__halfPSL_PKlPlN2at6native12_GLOBAL__N_18offset_tEEE10hipError_tPvRmT1_PNSt15iterator_traitsISZ_E10value_typeET2_T3_PNS10_IS15_E10value_typeET4_jRbjT5_S1B_jjP12ihipStream_tbEUljE_EEESW_SX_SY_S15_S19_S1B_T6_T7_T9_mT8_S1D_bDpT10_ENKUlT_T0_E_clISt17integral_constantIbLb1EES1Q_EEDaS1L_S1M_EUlS1L_E_NS1_11comp_targetILNS1_3genE8ELNS1_11target_archE1030ELNS1_3gpuE2ELNS1_3repE0EEENS1_30default_config_static_selectorELNS0_4arch9wavefront6targetE0EEEvSZ_, .Lfunc_end1722-_ZN7rocprim17ROCPRIM_400000_NS6detail17trampoline_kernelINS0_13select_configILj256ELj13ELNS0_17block_load_methodE3ELS4_3ELS4_3ELNS0_20block_scan_algorithmE0ELj4294967295EEENS1_25partition_config_selectorILNS1_17partition_subalgoE3EjNS0_10empty_typeEbEEZZNS1_14partition_implILS8_3ELb0ES6_jNS0_17counting_iteratorIjlEEPS9_SE_NS0_5tupleIJPjSE_EEENSF_IJSE_SE_EEES9_SG_JZNS1_25segmented_radix_sort_implINS0_14default_configELb1EPK6__halfPSL_PKlPlN2at6native12_GLOBAL__N_18offset_tEEE10hipError_tPvRmT1_PNSt15iterator_traitsISZ_E10value_typeET2_T3_PNS10_IS15_E10value_typeET4_jRbjT5_S1B_jjP12ihipStream_tbEUljE_EEESW_SX_SY_S15_S19_S1B_T6_T7_T9_mT8_S1D_bDpT10_ENKUlT_T0_E_clISt17integral_constantIbLb1EES1Q_EEDaS1L_S1M_EUlS1L_E_NS1_11comp_targetILNS1_3genE8ELNS1_11target_archE1030ELNS1_3gpuE2ELNS1_3repE0EEENS1_30default_config_static_selectorELNS0_4arch9wavefront6targetE0EEEvSZ_
                                        ; -- End function
	.set _ZN7rocprim17ROCPRIM_400000_NS6detail17trampoline_kernelINS0_13select_configILj256ELj13ELNS0_17block_load_methodE3ELS4_3ELS4_3ELNS0_20block_scan_algorithmE0ELj4294967295EEENS1_25partition_config_selectorILNS1_17partition_subalgoE3EjNS0_10empty_typeEbEEZZNS1_14partition_implILS8_3ELb0ES6_jNS0_17counting_iteratorIjlEEPS9_SE_NS0_5tupleIJPjSE_EEENSF_IJSE_SE_EEES9_SG_JZNS1_25segmented_radix_sort_implINS0_14default_configELb1EPK6__halfPSL_PKlPlN2at6native12_GLOBAL__N_18offset_tEEE10hipError_tPvRmT1_PNSt15iterator_traitsISZ_E10value_typeET2_T3_PNS10_IS15_E10value_typeET4_jRbjT5_S1B_jjP12ihipStream_tbEUljE_EEESW_SX_SY_S15_S19_S1B_T6_T7_T9_mT8_S1D_bDpT10_ENKUlT_T0_E_clISt17integral_constantIbLb1EES1Q_EEDaS1L_S1M_EUlS1L_E_NS1_11comp_targetILNS1_3genE8ELNS1_11target_archE1030ELNS1_3gpuE2ELNS1_3repE0EEENS1_30default_config_static_selectorELNS0_4arch9wavefront6targetE0EEEvSZ_.num_vgpr, 0
	.set _ZN7rocprim17ROCPRIM_400000_NS6detail17trampoline_kernelINS0_13select_configILj256ELj13ELNS0_17block_load_methodE3ELS4_3ELS4_3ELNS0_20block_scan_algorithmE0ELj4294967295EEENS1_25partition_config_selectorILNS1_17partition_subalgoE3EjNS0_10empty_typeEbEEZZNS1_14partition_implILS8_3ELb0ES6_jNS0_17counting_iteratorIjlEEPS9_SE_NS0_5tupleIJPjSE_EEENSF_IJSE_SE_EEES9_SG_JZNS1_25segmented_radix_sort_implINS0_14default_configELb1EPK6__halfPSL_PKlPlN2at6native12_GLOBAL__N_18offset_tEEE10hipError_tPvRmT1_PNSt15iterator_traitsISZ_E10value_typeET2_T3_PNS10_IS15_E10value_typeET4_jRbjT5_S1B_jjP12ihipStream_tbEUljE_EEESW_SX_SY_S15_S19_S1B_T6_T7_T9_mT8_S1D_bDpT10_ENKUlT_T0_E_clISt17integral_constantIbLb1EES1Q_EEDaS1L_S1M_EUlS1L_E_NS1_11comp_targetILNS1_3genE8ELNS1_11target_archE1030ELNS1_3gpuE2ELNS1_3repE0EEENS1_30default_config_static_selectorELNS0_4arch9wavefront6targetE0EEEvSZ_.num_agpr, 0
	.set _ZN7rocprim17ROCPRIM_400000_NS6detail17trampoline_kernelINS0_13select_configILj256ELj13ELNS0_17block_load_methodE3ELS4_3ELS4_3ELNS0_20block_scan_algorithmE0ELj4294967295EEENS1_25partition_config_selectorILNS1_17partition_subalgoE3EjNS0_10empty_typeEbEEZZNS1_14partition_implILS8_3ELb0ES6_jNS0_17counting_iteratorIjlEEPS9_SE_NS0_5tupleIJPjSE_EEENSF_IJSE_SE_EEES9_SG_JZNS1_25segmented_radix_sort_implINS0_14default_configELb1EPK6__halfPSL_PKlPlN2at6native12_GLOBAL__N_18offset_tEEE10hipError_tPvRmT1_PNSt15iterator_traitsISZ_E10value_typeET2_T3_PNS10_IS15_E10value_typeET4_jRbjT5_S1B_jjP12ihipStream_tbEUljE_EEESW_SX_SY_S15_S19_S1B_T6_T7_T9_mT8_S1D_bDpT10_ENKUlT_T0_E_clISt17integral_constantIbLb1EES1Q_EEDaS1L_S1M_EUlS1L_E_NS1_11comp_targetILNS1_3genE8ELNS1_11target_archE1030ELNS1_3gpuE2ELNS1_3repE0EEENS1_30default_config_static_selectorELNS0_4arch9wavefront6targetE0EEEvSZ_.numbered_sgpr, 0
	.set _ZN7rocprim17ROCPRIM_400000_NS6detail17trampoline_kernelINS0_13select_configILj256ELj13ELNS0_17block_load_methodE3ELS4_3ELS4_3ELNS0_20block_scan_algorithmE0ELj4294967295EEENS1_25partition_config_selectorILNS1_17partition_subalgoE3EjNS0_10empty_typeEbEEZZNS1_14partition_implILS8_3ELb0ES6_jNS0_17counting_iteratorIjlEEPS9_SE_NS0_5tupleIJPjSE_EEENSF_IJSE_SE_EEES9_SG_JZNS1_25segmented_radix_sort_implINS0_14default_configELb1EPK6__halfPSL_PKlPlN2at6native12_GLOBAL__N_18offset_tEEE10hipError_tPvRmT1_PNSt15iterator_traitsISZ_E10value_typeET2_T3_PNS10_IS15_E10value_typeET4_jRbjT5_S1B_jjP12ihipStream_tbEUljE_EEESW_SX_SY_S15_S19_S1B_T6_T7_T9_mT8_S1D_bDpT10_ENKUlT_T0_E_clISt17integral_constantIbLb1EES1Q_EEDaS1L_S1M_EUlS1L_E_NS1_11comp_targetILNS1_3genE8ELNS1_11target_archE1030ELNS1_3gpuE2ELNS1_3repE0EEENS1_30default_config_static_selectorELNS0_4arch9wavefront6targetE0EEEvSZ_.num_named_barrier, 0
	.set _ZN7rocprim17ROCPRIM_400000_NS6detail17trampoline_kernelINS0_13select_configILj256ELj13ELNS0_17block_load_methodE3ELS4_3ELS4_3ELNS0_20block_scan_algorithmE0ELj4294967295EEENS1_25partition_config_selectorILNS1_17partition_subalgoE3EjNS0_10empty_typeEbEEZZNS1_14partition_implILS8_3ELb0ES6_jNS0_17counting_iteratorIjlEEPS9_SE_NS0_5tupleIJPjSE_EEENSF_IJSE_SE_EEES9_SG_JZNS1_25segmented_radix_sort_implINS0_14default_configELb1EPK6__halfPSL_PKlPlN2at6native12_GLOBAL__N_18offset_tEEE10hipError_tPvRmT1_PNSt15iterator_traitsISZ_E10value_typeET2_T3_PNS10_IS15_E10value_typeET4_jRbjT5_S1B_jjP12ihipStream_tbEUljE_EEESW_SX_SY_S15_S19_S1B_T6_T7_T9_mT8_S1D_bDpT10_ENKUlT_T0_E_clISt17integral_constantIbLb1EES1Q_EEDaS1L_S1M_EUlS1L_E_NS1_11comp_targetILNS1_3genE8ELNS1_11target_archE1030ELNS1_3gpuE2ELNS1_3repE0EEENS1_30default_config_static_selectorELNS0_4arch9wavefront6targetE0EEEvSZ_.private_seg_size, 0
	.set _ZN7rocprim17ROCPRIM_400000_NS6detail17trampoline_kernelINS0_13select_configILj256ELj13ELNS0_17block_load_methodE3ELS4_3ELS4_3ELNS0_20block_scan_algorithmE0ELj4294967295EEENS1_25partition_config_selectorILNS1_17partition_subalgoE3EjNS0_10empty_typeEbEEZZNS1_14partition_implILS8_3ELb0ES6_jNS0_17counting_iteratorIjlEEPS9_SE_NS0_5tupleIJPjSE_EEENSF_IJSE_SE_EEES9_SG_JZNS1_25segmented_radix_sort_implINS0_14default_configELb1EPK6__halfPSL_PKlPlN2at6native12_GLOBAL__N_18offset_tEEE10hipError_tPvRmT1_PNSt15iterator_traitsISZ_E10value_typeET2_T3_PNS10_IS15_E10value_typeET4_jRbjT5_S1B_jjP12ihipStream_tbEUljE_EEESW_SX_SY_S15_S19_S1B_T6_T7_T9_mT8_S1D_bDpT10_ENKUlT_T0_E_clISt17integral_constantIbLb1EES1Q_EEDaS1L_S1M_EUlS1L_E_NS1_11comp_targetILNS1_3genE8ELNS1_11target_archE1030ELNS1_3gpuE2ELNS1_3repE0EEENS1_30default_config_static_selectorELNS0_4arch9wavefront6targetE0EEEvSZ_.uses_vcc, 0
	.set _ZN7rocprim17ROCPRIM_400000_NS6detail17trampoline_kernelINS0_13select_configILj256ELj13ELNS0_17block_load_methodE3ELS4_3ELS4_3ELNS0_20block_scan_algorithmE0ELj4294967295EEENS1_25partition_config_selectorILNS1_17partition_subalgoE3EjNS0_10empty_typeEbEEZZNS1_14partition_implILS8_3ELb0ES6_jNS0_17counting_iteratorIjlEEPS9_SE_NS0_5tupleIJPjSE_EEENSF_IJSE_SE_EEES9_SG_JZNS1_25segmented_radix_sort_implINS0_14default_configELb1EPK6__halfPSL_PKlPlN2at6native12_GLOBAL__N_18offset_tEEE10hipError_tPvRmT1_PNSt15iterator_traitsISZ_E10value_typeET2_T3_PNS10_IS15_E10value_typeET4_jRbjT5_S1B_jjP12ihipStream_tbEUljE_EEESW_SX_SY_S15_S19_S1B_T6_T7_T9_mT8_S1D_bDpT10_ENKUlT_T0_E_clISt17integral_constantIbLb1EES1Q_EEDaS1L_S1M_EUlS1L_E_NS1_11comp_targetILNS1_3genE8ELNS1_11target_archE1030ELNS1_3gpuE2ELNS1_3repE0EEENS1_30default_config_static_selectorELNS0_4arch9wavefront6targetE0EEEvSZ_.uses_flat_scratch, 0
	.set _ZN7rocprim17ROCPRIM_400000_NS6detail17trampoline_kernelINS0_13select_configILj256ELj13ELNS0_17block_load_methodE3ELS4_3ELS4_3ELNS0_20block_scan_algorithmE0ELj4294967295EEENS1_25partition_config_selectorILNS1_17partition_subalgoE3EjNS0_10empty_typeEbEEZZNS1_14partition_implILS8_3ELb0ES6_jNS0_17counting_iteratorIjlEEPS9_SE_NS0_5tupleIJPjSE_EEENSF_IJSE_SE_EEES9_SG_JZNS1_25segmented_radix_sort_implINS0_14default_configELb1EPK6__halfPSL_PKlPlN2at6native12_GLOBAL__N_18offset_tEEE10hipError_tPvRmT1_PNSt15iterator_traitsISZ_E10value_typeET2_T3_PNS10_IS15_E10value_typeET4_jRbjT5_S1B_jjP12ihipStream_tbEUljE_EEESW_SX_SY_S15_S19_S1B_T6_T7_T9_mT8_S1D_bDpT10_ENKUlT_T0_E_clISt17integral_constantIbLb1EES1Q_EEDaS1L_S1M_EUlS1L_E_NS1_11comp_targetILNS1_3genE8ELNS1_11target_archE1030ELNS1_3gpuE2ELNS1_3repE0EEENS1_30default_config_static_selectorELNS0_4arch9wavefront6targetE0EEEvSZ_.has_dyn_sized_stack, 0
	.set _ZN7rocprim17ROCPRIM_400000_NS6detail17trampoline_kernelINS0_13select_configILj256ELj13ELNS0_17block_load_methodE3ELS4_3ELS4_3ELNS0_20block_scan_algorithmE0ELj4294967295EEENS1_25partition_config_selectorILNS1_17partition_subalgoE3EjNS0_10empty_typeEbEEZZNS1_14partition_implILS8_3ELb0ES6_jNS0_17counting_iteratorIjlEEPS9_SE_NS0_5tupleIJPjSE_EEENSF_IJSE_SE_EEES9_SG_JZNS1_25segmented_radix_sort_implINS0_14default_configELb1EPK6__halfPSL_PKlPlN2at6native12_GLOBAL__N_18offset_tEEE10hipError_tPvRmT1_PNSt15iterator_traitsISZ_E10value_typeET2_T3_PNS10_IS15_E10value_typeET4_jRbjT5_S1B_jjP12ihipStream_tbEUljE_EEESW_SX_SY_S15_S19_S1B_T6_T7_T9_mT8_S1D_bDpT10_ENKUlT_T0_E_clISt17integral_constantIbLb1EES1Q_EEDaS1L_S1M_EUlS1L_E_NS1_11comp_targetILNS1_3genE8ELNS1_11target_archE1030ELNS1_3gpuE2ELNS1_3repE0EEENS1_30default_config_static_selectorELNS0_4arch9wavefront6targetE0EEEvSZ_.has_recursion, 0
	.set _ZN7rocprim17ROCPRIM_400000_NS6detail17trampoline_kernelINS0_13select_configILj256ELj13ELNS0_17block_load_methodE3ELS4_3ELS4_3ELNS0_20block_scan_algorithmE0ELj4294967295EEENS1_25partition_config_selectorILNS1_17partition_subalgoE3EjNS0_10empty_typeEbEEZZNS1_14partition_implILS8_3ELb0ES6_jNS0_17counting_iteratorIjlEEPS9_SE_NS0_5tupleIJPjSE_EEENSF_IJSE_SE_EEES9_SG_JZNS1_25segmented_radix_sort_implINS0_14default_configELb1EPK6__halfPSL_PKlPlN2at6native12_GLOBAL__N_18offset_tEEE10hipError_tPvRmT1_PNSt15iterator_traitsISZ_E10value_typeET2_T3_PNS10_IS15_E10value_typeET4_jRbjT5_S1B_jjP12ihipStream_tbEUljE_EEESW_SX_SY_S15_S19_S1B_T6_T7_T9_mT8_S1D_bDpT10_ENKUlT_T0_E_clISt17integral_constantIbLb1EES1Q_EEDaS1L_S1M_EUlS1L_E_NS1_11comp_targetILNS1_3genE8ELNS1_11target_archE1030ELNS1_3gpuE2ELNS1_3repE0EEENS1_30default_config_static_selectorELNS0_4arch9wavefront6targetE0EEEvSZ_.has_indirect_call, 0
	.section	.AMDGPU.csdata,"",@progbits
; Kernel info:
; codeLenInByte = 0
; TotalNumSgprs: 0
; NumVgprs: 0
; ScratchSize: 0
; MemoryBound: 0
; FloatMode: 240
; IeeeMode: 1
; LDSByteSize: 0 bytes/workgroup (compile time only)
; SGPRBlocks: 0
; VGPRBlocks: 0
; NumSGPRsForWavesPerEU: 1
; NumVGPRsForWavesPerEU: 1
; Occupancy: 16
; WaveLimiterHint : 0
; COMPUTE_PGM_RSRC2:SCRATCH_EN: 0
; COMPUTE_PGM_RSRC2:USER_SGPR: 2
; COMPUTE_PGM_RSRC2:TRAP_HANDLER: 0
; COMPUTE_PGM_RSRC2:TGID_X_EN: 1
; COMPUTE_PGM_RSRC2:TGID_Y_EN: 0
; COMPUTE_PGM_RSRC2:TGID_Z_EN: 0
; COMPUTE_PGM_RSRC2:TIDIG_COMP_CNT: 0
	.section	.text._ZN7rocprim17ROCPRIM_400000_NS6detail17trampoline_kernelINS0_13select_configILj256ELj13ELNS0_17block_load_methodE3ELS4_3ELS4_3ELNS0_20block_scan_algorithmE0ELj4294967295EEENS1_25partition_config_selectorILNS1_17partition_subalgoE3EjNS0_10empty_typeEbEEZZNS1_14partition_implILS8_3ELb0ES6_jNS0_17counting_iteratorIjlEEPS9_SE_NS0_5tupleIJPjSE_EEENSF_IJSE_SE_EEES9_SG_JZNS1_25segmented_radix_sort_implINS0_14default_configELb1EPK6__halfPSL_PKlPlN2at6native12_GLOBAL__N_18offset_tEEE10hipError_tPvRmT1_PNSt15iterator_traitsISZ_E10value_typeET2_T3_PNS10_IS15_E10value_typeET4_jRbjT5_S1B_jjP12ihipStream_tbEUljE_EEESW_SX_SY_S15_S19_S1B_T6_T7_T9_mT8_S1D_bDpT10_ENKUlT_T0_E_clISt17integral_constantIbLb1EES1P_IbLb0EEEEDaS1L_S1M_EUlS1L_E_NS1_11comp_targetILNS1_3genE0ELNS1_11target_archE4294967295ELNS1_3gpuE0ELNS1_3repE0EEENS1_30default_config_static_selectorELNS0_4arch9wavefront6targetE0EEEvSZ_,"axG",@progbits,_ZN7rocprim17ROCPRIM_400000_NS6detail17trampoline_kernelINS0_13select_configILj256ELj13ELNS0_17block_load_methodE3ELS4_3ELS4_3ELNS0_20block_scan_algorithmE0ELj4294967295EEENS1_25partition_config_selectorILNS1_17partition_subalgoE3EjNS0_10empty_typeEbEEZZNS1_14partition_implILS8_3ELb0ES6_jNS0_17counting_iteratorIjlEEPS9_SE_NS0_5tupleIJPjSE_EEENSF_IJSE_SE_EEES9_SG_JZNS1_25segmented_radix_sort_implINS0_14default_configELb1EPK6__halfPSL_PKlPlN2at6native12_GLOBAL__N_18offset_tEEE10hipError_tPvRmT1_PNSt15iterator_traitsISZ_E10value_typeET2_T3_PNS10_IS15_E10value_typeET4_jRbjT5_S1B_jjP12ihipStream_tbEUljE_EEESW_SX_SY_S15_S19_S1B_T6_T7_T9_mT8_S1D_bDpT10_ENKUlT_T0_E_clISt17integral_constantIbLb1EES1P_IbLb0EEEEDaS1L_S1M_EUlS1L_E_NS1_11comp_targetILNS1_3genE0ELNS1_11target_archE4294967295ELNS1_3gpuE0ELNS1_3repE0EEENS1_30default_config_static_selectorELNS0_4arch9wavefront6targetE0EEEvSZ_,comdat
	.globl	_ZN7rocprim17ROCPRIM_400000_NS6detail17trampoline_kernelINS0_13select_configILj256ELj13ELNS0_17block_load_methodE3ELS4_3ELS4_3ELNS0_20block_scan_algorithmE0ELj4294967295EEENS1_25partition_config_selectorILNS1_17partition_subalgoE3EjNS0_10empty_typeEbEEZZNS1_14partition_implILS8_3ELb0ES6_jNS0_17counting_iteratorIjlEEPS9_SE_NS0_5tupleIJPjSE_EEENSF_IJSE_SE_EEES9_SG_JZNS1_25segmented_radix_sort_implINS0_14default_configELb1EPK6__halfPSL_PKlPlN2at6native12_GLOBAL__N_18offset_tEEE10hipError_tPvRmT1_PNSt15iterator_traitsISZ_E10value_typeET2_T3_PNS10_IS15_E10value_typeET4_jRbjT5_S1B_jjP12ihipStream_tbEUljE_EEESW_SX_SY_S15_S19_S1B_T6_T7_T9_mT8_S1D_bDpT10_ENKUlT_T0_E_clISt17integral_constantIbLb1EES1P_IbLb0EEEEDaS1L_S1M_EUlS1L_E_NS1_11comp_targetILNS1_3genE0ELNS1_11target_archE4294967295ELNS1_3gpuE0ELNS1_3repE0EEENS1_30default_config_static_selectorELNS0_4arch9wavefront6targetE0EEEvSZ_ ; -- Begin function _ZN7rocprim17ROCPRIM_400000_NS6detail17trampoline_kernelINS0_13select_configILj256ELj13ELNS0_17block_load_methodE3ELS4_3ELS4_3ELNS0_20block_scan_algorithmE0ELj4294967295EEENS1_25partition_config_selectorILNS1_17partition_subalgoE3EjNS0_10empty_typeEbEEZZNS1_14partition_implILS8_3ELb0ES6_jNS0_17counting_iteratorIjlEEPS9_SE_NS0_5tupleIJPjSE_EEENSF_IJSE_SE_EEES9_SG_JZNS1_25segmented_radix_sort_implINS0_14default_configELb1EPK6__halfPSL_PKlPlN2at6native12_GLOBAL__N_18offset_tEEE10hipError_tPvRmT1_PNSt15iterator_traitsISZ_E10value_typeET2_T3_PNS10_IS15_E10value_typeET4_jRbjT5_S1B_jjP12ihipStream_tbEUljE_EEESW_SX_SY_S15_S19_S1B_T6_T7_T9_mT8_S1D_bDpT10_ENKUlT_T0_E_clISt17integral_constantIbLb1EES1P_IbLb0EEEEDaS1L_S1M_EUlS1L_E_NS1_11comp_targetILNS1_3genE0ELNS1_11target_archE4294967295ELNS1_3gpuE0ELNS1_3repE0EEENS1_30default_config_static_selectorELNS0_4arch9wavefront6targetE0EEEvSZ_
	.p2align	8
	.type	_ZN7rocprim17ROCPRIM_400000_NS6detail17trampoline_kernelINS0_13select_configILj256ELj13ELNS0_17block_load_methodE3ELS4_3ELS4_3ELNS0_20block_scan_algorithmE0ELj4294967295EEENS1_25partition_config_selectorILNS1_17partition_subalgoE3EjNS0_10empty_typeEbEEZZNS1_14partition_implILS8_3ELb0ES6_jNS0_17counting_iteratorIjlEEPS9_SE_NS0_5tupleIJPjSE_EEENSF_IJSE_SE_EEES9_SG_JZNS1_25segmented_radix_sort_implINS0_14default_configELb1EPK6__halfPSL_PKlPlN2at6native12_GLOBAL__N_18offset_tEEE10hipError_tPvRmT1_PNSt15iterator_traitsISZ_E10value_typeET2_T3_PNS10_IS15_E10value_typeET4_jRbjT5_S1B_jjP12ihipStream_tbEUljE_EEESW_SX_SY_S15_S19_S1B_T6_T7_T9_mT8_S1D_bDpT10_ENKUlT_T0_E_clISt17integral_constantIbLb1EES1P_IbLb0EEEEDaS1L_S1M_EUlS1L_E_NS1_11comp_targetILNS1_3genE0ELNS1_11target_archE4294967295ELNS1_3gpuE0ELNS1_3repE0EEENS1_30default_config_static_selectorELNS0_4arch9wavefront6targetE0EEEvSZ_,@function
_ZN7rocprim17ROCPRIM_400000_NS6detail17trampoline_kernelINS0_13select_configILj256ELj13ELNS0_17block_load_methodE3ELS4_3ELS4_3ELNS0_20block_scan_algorithmE0ELj4294967295EEENS1_25partition_config_selectorILNS1_17partition_subalgoE3EjNS0_10empty_typeEbEEZZNS1_14partition_implILS8_3ELb0ES6_jNS0_17counting_iteratorIjlEEPS9_SE_NS0_5tupleIJPjSE_EEENSF_IJSE_SE_EEES9_SG_JZNS1_25segmented_radix_sort_implINS0_14default_configELb1EPK6__halfPSL_PKlPlN2at6native12_GLOBAL__N_18offset_tEEE10hipError_tPvRmT1_PNSt15iterator_traitsISZ_E10value_typeET2_T3_PNS10_IS15_E10value_typeET4_jRbjT5_S1B_jjP12ihipStream_tbEUljE_EEESW_SX_SY_S15_S19_S1B_T6_T7_T9_mT8_S1D_bDpT10_ENKUlT_T0_E_clISt17integral_constantIbLb1EES1P_IbLb0EEEEDaS1L_S1M_EUlS1L_E_NS1_11comp_targetILNS1_3genE0ELNS1_11target_archE4294967295ELNS1_3gpuE0ELNS1_3repE0EEENS1_30default_config_static_selectorELNS0_4arch9wavefront6targetE0EEEvSZ_: ; @_ZN7rocprim17ROCPRIM_400000_NS6detail17trampoline_kernelINS0_13select_configILj256ELj13ELNS0_17block_load_methodE3ELS4_3ELS4_3ELNS0_20block_scan_algorithmE0ELj4294967295EEENS1_25partition_config_selectorILNS1_17partition_subalgoE3EjNS0_10empty_typeEbEEZZNS1_14partition_implILS8_3ELb0ES6_jNS0_17counting_iteratorIjlEEPS9_SE_NS0_5tupleIJPjSE_EEENSF_IJSE_SE_EEES9_SG_JZNS1_25segmented_radix_sort_implINS0_14default_configELb1EPK6__halfPSL_PKlPlN2at6native12_GLOBAL__N_18offset_tEEE10hipError_tPvRmT1_PNSt15iterator_traitsISZ_E10value_typeET2_T3_PNS10_IS15_E10value_typeET4_jRbjT5_S1B_jjP12ihipStream_tbEUljE_EEESW_SX_SY_S15_S19_S1B_T6_T7_T9_mT8_S1D_bDpT10_ENKUlT_T0_E_clISt17integral_constantIbLb1EES1P_IbLb0EEEEDaS1L_S1M_EUlS1L_E_NS1_11comp_targetILNS1_3genE0ELNS1_11target_archE4294967295ELNS1_3gpuE0ELNS1_3repE0EEENS1_30default_config_static_selectorELNS0_4arch9wavefront6targetE0EEEvSZ_
; %bb.0:
	.section	.rodata,"a",@progbits
	.p2align	6, 0x0
	.amdhsa_kernel _ZN7rocprim17ROCPRIM_400000_NS6detail17trampoline_kernelINS0_13select_configILj256ELj13ELNS0_17block_load_methodE3ELS4_3ELS4_3ELNS0_20block_scan_algorithmE0ELj4294967295EEENS1_25partition_config_selectorILNS1_17partition_subalgoE3EjNS0_10empty_typeEbEEZZNS1_14partition_implILS8_3ELb0ES6_jNS0_17counting_iteratorIjlEEPS9_SE_NS0_5tupleIJPjSE_EEENSF_IJSE_SE_EEES9_SG_JZNS1_25segmented_radix_sort_implINS0_14default_configELb1EPK6__halfPSL_PKlPlN2at6native12_GLOBAL__N_18offset_tEEE10hipError_tPvRmT1_PNSt15iterator_traitsISZ_E10value_typeET2_T3_PNS10_IS15_E10value_typeET4_jRbjT5_S1B_jjP12ihipStream_tbEUljE_EEESW_SX_SY_S15_S19_S1B_T6_T7_T9_mT8_S1D_bDpT10_ENKUlT_T0_E_clISt17integral_constantIbLb1EES1P_IbLb0EEEEDaS1L_S1M_EUlS1L_E_NS1_11comp_targetILNS1_3genE0ELNS1_11target_archE4294967295ELNS1_3gpuE0ELNS1_3repE0EEENS1_30default_config_static_selectorELNS0_4arch9wavefront6targetE0EEEvSZ_
		.amdhsa_group_segment_fixed_size 0
		.amdhsa_private_segment_fixed_size 0
		.amdhsa_kernarg_size 144
		.amdhsa_user_sgpr_count 2
		.amdhsa_user_sgpr_dispatch_ptr 0
		.amdhsa_user_sgpr_queue_ptr 0
		.amdhsa_user_sgpr_kernarg_segment_ptr 1
		.amdhsa_user_sgpr_dispatch_id 0
		.amdhsa_user_sgpr_private_segment_size 0
		.amdhsa_wavefront_size32 1
		.amdhsa_uses_dynamic_stack 0
		.amdhsa_enable_private_segment 0
		.amdhsa_system_sgpr_workgroup_id_x 1
		.amdhsa_system_sgpr_workgroup_id_y 0
		.amdhsa_system_sgpr_workgroup_id_z 0
		.amdhsa_system_sgpr_workgroup_info 0
		.amdhsa_system_vgpr_workitem_id 0
		.amdhsa_next_free_vgpr 1
		.amdhsa_next_free_sgpr 1
		.amdhsa_reserve_vcc 0
		.amdhsa_float_round_mode_32 0
		.amdhsa_float_round_mode_16_64 0
		.amdhsa_float_denorm_mode_32 3
		.amdhsa_float_denorm_mode_16_64 3
		.amdhsa_fp16_overflow 0
		.amdhsa_workgroup_processor_mode 1
		.amdhsa_memory_ordered 1
		.amdhsa_forward_progress 1
		.amdhsa_inst_pref_size 0
		.amdhsa_round_robin_scheduling 0
		.amdhsa_exception_fp_ieee_invalid_op 0
		.amdhsa_exception_fp_denorm_src 0
		.amdhsa_exception_fp_ieee_div_zero 0
		.amdhsa_exception_fp_ieee_overflow 0
		.amdhsa_exception_fp_ieee_underflow 0
		.amdhsa_exception_fp_ieee_inexact 0
		.amdhsa_exception_int_div_zero 0
	.end_amdhsa_kernel
	.section	.text._ZN7rocprim17ROCPRIM_400000_NS6detail17trampoline_kernelINS0_13select_configILj256ELj13ELNS0_17block_load_methodE3ELS4_3ELS4_3ELNS0_20block_scan_algorithmE0ELj4294967295EEENS1_25partition_config_selectorILNS1_17partition_subalgoE3EjNS0_10empty_typeEbEEZZNS1_14partition_implILS8_3ELb0ES6_jNS0_17counting_iteratorIjlEEPS9_SE_NS0_5tupleIJPjSE_EEENSF_IJSE_SE_EEES9_SG_JZNS1_25segmented_radix_sort_implINS0_14default_configELb1EPK6__halfPSL_PKlPlN2at6native12_GLOBAL__N_18offset_tEEE10hipError_tPvRmT1_PNSt15iterator_traitsISZ_E10value_typeET2_T3_PNS10_IS15_E10value_typeET4_jRbjT5_S1B_jjP12ihipStream_tbEUljE_EEESW_SX_SY_S15_S19_S1B_T6_T7_T9_mT8_S1D_bDpT10_ENKUlT_T0_E_clISt17integral_constantIbLb1EES1P_IbLb0EEEEDaS1L_S1M_EUlS1L_E_NS1_11comp_targetILNS1_3genE0ELNS1_11target_archE4294967295ELNS1_3gpuE0ELNS1_3repE0EEENS1_30default_config_static_selectorELNS0_4arch9wavefront6targetE0EEEvSZ_,"axG",@progbits,_ZN7rocprim17ROCPRIM_400000_NS6detail17trampoline_kernelINS0_13select_configILj256ELj13ELNS0_17block_load_methodE3ELS4_3ELS4_3ELNS0_20block_scan_algorithmE0ELj4294967295EEENS1_25partition_config_selectorILNS1_17partition_subalgoE3EjNS0_10empty_typeEbEEZZNS1_14partition_implILS8_3ELb0ES6_jNS0_17counting_iteratorIjlEEPS9_SE_NS0_5tupleIJPjSE_EEENSF_IJSE_SE_EEES9_SG_JZNS1_25segmented_radix_sort_implINS0_14default_configELb1EPK6__halfPSL_PKlPlN2at6native12_GLOBAL__N_18offset_tEEE10hipError_tPvRmT1_PNSt15iterator_traitsISZ_E10value_typeET2_T3_PNS10_IS15_E10value_typeET4_jRbjT5_S1B_jjP12ihipStream_tbEUljE_EEESW_SX_SY_S15_S19_S1B_T6_T7_T9_mT8_S1D_bDpT10_ENKUlT_T0_E_clISt17integral_constantIbLb1EES1P_IbLb0EEEEDaS1L_S1M_EUlS1L_E_NS1_11comp_targetILNS1_3genE0ELNS1_11target_archE4294967295ELNS1_3gpuE0ELNS1_3repE0EEENS1_30default_config_static_selectorELNS0_4arch9wavefront6targetE0EEEvSZ_,comdat
.Lfunc_end1723:
	.size	_ZN7rocprim17ROCPRIM_400000_NS6detail17trampoline_kernelINS0_13select_configILj256ELj13ELNS0_17block_load_methodE3ELS4_3ELS4_3ELNS0_20block_scan_algorithmE0ELj4294967295EEENS1_25partition_config_selectorILNS1_17partition_subalgoE3EjNS0_10empty_typeEbEEZZNS1_14partition_implILS8_3ELb0ES6_jNS0_17counting_iteratorIjlEEPS9_SE_NS0_5tupleIJPjSE_EEENSF_IJSE_SE_EEES9_SG_JZNS1_25segmented_radix_sort_implINS0_14default_configELb1EPK6__halfPSL_PKlPlN2at6native12_GLOBAL__N_18offset_tEEE10hipError_tPvRmT1_PNSt15iterator_traitsISZ_E10value_typeET2_T3_PNS10_IS15_E10value_typeET4_jRbjT5_S1B_jjP12ihipStream_tbEUljE_EEESW_SX_SY_S15_S19_S1B_T6_T7_T9_mT8_S1D_bDpT10_ENKUlT_T0_E_clISt17integral_constantIbLb1EES1P_IbLb0EEEEDaS1L_S1M_EUlS1L_E_NS1_11comp_targetILNS1_3genE0ELNS1_11target_archE4294967295ELNS1_3gpuE0ELNS1_3repE0EEENS1_30default_config_static_selectorELNS0_4arch9wavefront6targetE0EEEvSZ_, .Lfunc_end1723-_ZN7rocprim17ROCPRIM_400000_NS6detail17trampoline_kernelINS0_13select_configILj256ELj13ELNS0_17block_load_methodE3ELS4_3ELS4_3ELNS0_20block_scan_algorithmE0ELj4294967295EEENS1_25partition_config_selectorILNS1_17partition_subalgoE3EjNS0_10empty_typeEbEEZZNS1_14partition_implILS8_3ELb0ES6_jNS0_17counting_iteratorIjlEEPS9_SE_NS0_5tupleIJPjSE_EEENSF_IJSE_SE_EEES9_SG_JZNS1_25segmented_radix_sort_implINS0_14default_configELb1EPK6__halfPSL_PKlPlN2at6native12_GLOBAL__N_18offset_tEEE10hipError_tPvRmT1_PNSt15iterator_traitsISZ_E10value_typeET2_T3_PNS10_IS15_E10value_typeET4_jRbjT5_S1B_jjP12ihipStream_tbEUljE_EEESW_SX_SY_S15_S19_S1B_T6_T7_T9_mT8_S1D_bDpT10_ENKUlT_T0_E_clISt17integral_constantIbLb1EES1P_IbLb0EEEEDaS1L_S1M_EUlS1L_E_NS1_11comp_targetILNS1_3genE0ELNS1_11target_archE4294967295ELNS1_3gpuE0ELNS1_3repE0EEENS1_30default_config_static_selectorELNS0_4arch9wavefront6targetE0EEEvSZ_
                                        ; -- End function
	.set _ZN7rocprim17ROCPRIM_400000_NS6detail17trampoline_kernelINS0_13select_configILj256ELj13ELNS0_17block_load_methodE3ELS4_3ELS4_3ELNS0_20block_scan_algorithmE0ELj4294967295EEENS1_25partition_config_selectorILNS1_17partition_subalgoE3EjNS0_10empty_typeEbEEZZNS1_14partition_implILS8_3ELb0ES6_jNS0_17counting_iteratorIjlEEPS9_SE_NS0_5tupleIJPjSE_EEENSF_IJSE_SE_EEES9_SG_JZNS1_25segmented_radix_sort_implINS0_14default_configELb1EPK6__halfPSL_PKlPlN2at6native12_GLOBAL__N_18offset_tEEE10hipError_tPvRmT1_PNSt15iterator_traitsISZ_E10value_typeET2_T3_PNS10_IS15_E10value_typeET4_jRbjT5_S1B_jjP12ihipStream_tbEUljE_EEESW_SX_SY_S15_S19_S1B_T6_T7_T9_mT8_S1D_bDpT10_ENKUlT_T0_E_clISt17integral_constantIbLb1EES1P_IbLb0EEEEDaS1L_S1M_EUlS1L_E_NS1_11comp_targetILNS1_3genE0ELNS1_11target_archE4294967295ELNS1_3gpuE0ELNS1_3repE0EEENS1_30default_config_static_selectorELNS0_4arch9wavefront6targetE0EEEvSZ_.num_vgpr, 0
	.set _ZN7rocprim17ROCPRIM_400000_NS6detail17trampoline_kernelINS0_13select_configILj256ELj13ELNS0_17block_load_methodE3ELS4_3ELS4_3ELNS0_20block_scan_algorithmE0ELj4294967295EEENS1_25partition_config_selectorILNS1_17partition_subalgoE3EjNS0_10empty_typeEbEEZZNS1_14partition_implILS8_3ELb0ES6_jNS0_17counting_iteratorIjlEEPS9_SE_NS0_5tupleIJPjSE_EEENSF_IJSE_SE_EEES9_SG_JZNS1_25segmented_radix_sort_implINS0_14default_configELb1EPK6__halfPSL_PKlPlN2at6native12_GLOBAL__N_18offset_tEEE10hipError_tPvRmT1_PNSt15iterator_traitsISZ_E10value_typeET2_T3_PNS10_IS15_E10value_typeET4_jRbjT5_S1B_jjP12ihipStream_tbEUljE_EEESW_SX_SY_S15_S19_S1B_T6_T7_T9_mT8_S1D_bDpT10_ENKUlT_T0_E_clISt17integral_constantIbLb1EES1P_IbLb0EEEEDaS1L_S1M_EUlS1L_E_NS1_11comp_targetILNS1_3genE0ELNS1_11target_archE4294967295ELNS1_3gpuE0ELNS1_3repE0EEENS1_30default_config_static_selectorELNS0_4arch9wavefront6targetE0EEEvSZ_.num_agpr, 0
	.set _ZN7rocprim17ROCPRIM_400000_NS6detail17trampoline_kernelINS0_13select_configILj256ELj13ELNS0_17block_load_methodE3ELS4_3ELS4_3ELNS0_20block_scan_algorithmE0ELj4294967295EEENS1_25partition_config_selectorILNS1_17partition_subalgoE3EjNS0_10empty_typeEbEEZZNS1_14partition_implILS8_3ELb0ES6_jNS0_17counting_iteratorIjlEEPS9_SE_NS0_5tupleIJPjSE_EEENSF_IJSE_SE_EEES9_SG_JZNS1_25segmented_radix_sort_implINS0_14default_configELb1EPK6__halfPSL_PKlPlN2at6native12_GLOBAL__N_18offset_tEEE10hipError_tPvRmT1_PNSt15iterator_traitsISZ_E10value_typeET2_T3_PNS10_IS15_E10value_typeET4_jRbjT5_S1B_jjP12ihipStream_tbEUljE_EEESW_SX_SY_S15_S19_S1B_T6_T7_T9_mT8_S1D_bDpT10_ENKUlT_T0_E_clISt17integral_constantIbLb1EES1P_IbLb0EEEEDaS1L_S1M_EUlS1L_E_NS1_11comp_targetILNS1_3genE0ELNS1_11target_archE4294967295ELNS1_3gpuE0ELNS1_3repE0EEENS1_30default_config_static_selectorELNS0_4arch9wavefront6targetE0EEEvSZ_.numbered_sgpr, 0
	.set _ZN7rocprim17ROCPRIM_400000_NS6detail17trampoline_kernelINS0_13select_configILj256ELj13ELNS0_17block_load_methodE3ELS4_3ELS4_3ELNS0_20block_scan_algorithmE0ELj4294967295EEENS1_25partition_config_selectorILNS1_17partition_subalgoE3EjNS0_10empty_typeEbEEZZNS1_14partition_implILS8_3ELb0ES6_jNS0_17counting_iteratorIjlEEPS9_SE_NS0_5tupleIJPjSE_EEENSF_IJSE_SE_EEES9_SG_JZNS1_25segmented_radix_sort_implINS0_14default_configELb1EPK6__halfPSL_PKlPlN2at6native12_GLOBAL__N_18offset_tEEE10hipError_tPvRmT1_PNSt15iterator_traitsISZ_E10value_typeET2_T3_PNS10_IS15_E10value_typeET4_jRbjT5_S1B_jjP12ihipStream_tbEUljE_EEESW_SX_SY_S15_S19_S1B_T6_T7_T9_mT8_S1D_bDpT10_ENKUlT_T0_E_clISt17integral_constantIbLb1EES1P_IbLb0EEEEDaS1L_S1M_EUlS1L_E_NS1_11comp_targetILNS1_3genE0ELNS1_11target_archE4294967295ELNS1_3gpuE0ELNS1_3repE0EEENS1_30default_config_static_selectorELNS0_4arch9wavefront6targetE0EEEvSZ_.num_named_barrier, 0
	.set _ZN7rocprim17ROCPRIM_400000_NS6detail17trampoline_kernelINS0_13select_configILj256ELj13ELNS0_17block_load_methodE3ELS4_3ELS4_3ELNS0_20block_scan_algorithmE0ELj4294967295EEENS1_25partition_config_selectorILNS1_17partition_subalgoE3EjNS0_10empty_typeEbEEZZNS1_14partition_implILS8_3ELb0ES6_jNS0_17counting_iteratorIjlEEPS9_SE_NS0_5tupleIJPjSE_EEENSF_IJSE_SE_EEES9_SG_JZNS1_25segmented_radix_sort_implINS0_14default_configELb1EPK6__halfPSL_PKlPlN2at6native12_GLOBAL__N_18offset_tEEE10hipError_tPvRmT1_PNSt15iterator_traitsISZ_E10value_typeET2_T3_PNS10_IS15_E10value_typeET4_jRbjT5_S1B_jjP12ihipStream_tbEUljE_EEESW_SX_SY_S15_S19_S1B_T6_T7_T9_mT8_S1D_bDpT10_ENKUlT_T0_E_clISt17integral_constantIbLb1EES1P_IbLb0EEEEDaS1L_S1M_EUlS1L_E_NS1_11comp_targetILNS1_3genE0ELNS1_11target_archE4294967295ELNS1_3gpuE0ELNS1_3repE0EEENS1_30default_config_static_selectorELNS0_4arch9wavefront6targetE0EEEvSZ_.private_seg_size, 0
	.set _ZN7rocprim17ROCPRIM_400000_NS6detail17trampoline_kernelINS0_13select_configILj256ELj13ELNS0_17block_load_methodE3ELS4_3ELS4_3ELNS0_20block_scan_algorithmE0ELj4294967295EEENS1_25partition_config_selectorILNS1_17partition_subalgoE3EjNS0_10empty_typeEbEEZZNS1_14partition_implILS8_3ELb0ES6_jNS0_17counting_iteratorIjlEEPS9_SE_NS0_5tupleIJPjSE_EEENSF_IJSE_SE_EEES9_SG_JZNS1_25segmented_radix_sort_implINS0_14default_configELb1EPK6__halfPSL_PKlPlN2at6native12_GLOBAL__N_18offset_tEEE10hipError_tPvRmT1_PNSt15iterator_traitsISZ_E10value_typeET2_T3_PNS10_IS15_E10value_typeET4_jRbjT5_S1B_jjP12ihipStream_tbEUljE_EEESW_SX_SY_S15_S19_S1B_T6_T7_T9_mT8_S1D_bDpT10_ENKUlT_T0_E_clISt17integral_constantIbLb1EES1P_IbLb0EEEEDaS1L_S1M_EUlS1L_E_NS1_11comp_targetILNS1_3genE0ELNS1_11target_archE4294967295ELNS1_3gpuE0ELNS1_3repE0EEENS1_30default_config_static_selectorELNS0_4arch9wavefront6targetE0EEEvSZ_.uses_vcc, 0
	.set _ZN7rocprim17ROCPRIM_400000_NS6detail17trampoline_kernelINS0_13select_configILj256ELj13ELNS0_17block_load_methodE3ELS4_3ELS4_3ELNS0_20block_scan_algorithmE0ELj4294967295EEENS1_25partition_config_selectorILNS1_17partition_subalgoE3EjNS0_10empty_typeEbEEZZNS1_14partition_implILS8_3ELb0ES6_jNS0_17counting_iteratorIjlEEPS9_SE_NS0_5tupleIJPjSE_EEENSF_IJSE_SE_EEES9_SG_JZNS1_25segmented_radix_sort_implINS0_14default_configELb1EPK6__halfPSL_PKlPlN2at6native12_GLOBAL__N_18offset_tEEE10hipError_tPvRmT1_PNSt15iterator_traitsISZ_E10value_typeET2_T3_PNS10_IS15_E10value_typeET4_jRbjT5_S1B_jjP12ihipStream_tbEUljE_EEESW_SX_SY_S15_S19_S1B_T6_T7_T9_mT8_S1D_bDpT10_ENKUlT_T0_E_clISt17integral_constantIbLb1EES1P_IbLb0EEEEDaS1L_S1M_EUlS1L_E_NS1_11comp_targetILNS1_3genE0ELNS1_11target_archE4294967295ELNS1_3gpuE0ELNS1_3repE0EEENS1_30default_config_static_selectorELNS0_4arch9wavefront6targetE0EEEvSZ_.uses_flat_scratch, 0
	.set _ZN7rocprim17ROCPRIM_400000_NS6detail17trampoline_kernelINS0_13select_configILj256ELj13ELNS0_17block_load_methodE3ELS4_3ELS4_3ELNS0_20block_scan_algorithmE0ELj4294967295EEENS1_25partition_config_selectorILNS1_17partition_subalgoE3EjNS0_10empty_typeEbEEZZNS1_14partition_implILS8_3ELb0ES6_jNS0_17counting_iteratorIjlEEPS9_SE_NS0_5tupleIJPjSE_EEENSF_IJSE_SE_EEES9_SG_JZNS1_25segmented_radix_sort_implINS0_14default_configELb1EPK6__halfPSL_PKlPlN2at6native12_GLOBAL__N_18offset_tEEE10hipError_tPvRmT1_PNSt15iterator_traitsISZ_E10value_typeET2_T3_PNS10_IS15_E10value_typeET4_jRbjT5_S1B_jjP12ihipStream_tbEUljE_EEESW_SX_SY_S15_S19_S1B_T6_T7_T9_mT8_S1D_bDpT10_ENKUlT_T0_E_clISt17integral_constantIbLb1EES1P_IbLb0EEEEDaS1L_S1M_EUlS1L_E_NS1_11comp_targetILNS1_3genE0ELNS1_11target_archE4294967295ELNS1_3gpuE0ELNS1_3repE0EEENS1_30default_config_static_selectorELNS0_4arch9wavefront6targetE0EEEvSZ_.has_dyn_sized_stack, 0
	.set _ZN7rocprim17ROCPRIM_400000_NS6detail17trampoline_kernelINS0_13select_configILj256ELj13ELNS0_17block_load_methodE3ELS4_3ELS4_3ELNS0_20block_scan_algorithmE0ELj4294967295EEENS1_25partition_config_selectorILNS1_17partition_subalgoE3EjNS0_10empty_typeEbEEZZNS1_14partition_implILS8_3ELb0ES6_jNS0_17counting_iteratorIjlEEPS9_SE_NS0_5tupleIJPjSE_EEENSF_IJSE_SE_EEES9_SG_JZNS1_25segmented_radix_sort_implINS0_14default_configELb1EPK6__halfPSL_PKlPlN2at6native12_GLOBAL__N_18offset_tEEE10hipError_tPvRmT1_PNSt15iterator_traitsISZ_E10value_typeET2_T3_PNS10_IS15_E10value_typeET4_jRbjT5_S1B_jjP12ihipStream_tbEUljE_EEESW_SX_SY_S15_S19_S1B_T6_T7_T9_mT8_S1D_bDpT10_ENKUlT_T0_E_clISt17integral_constantIbLb1EES1P_IbLb0EEEEDaS1L_S1M_EUlS1L_E_NS1_11comp_targetILNS1_3genE0ELNS1_11target_archE4294967295ELNS1_3gpuE0ELNS1_3repE0EEENS1_30default_config_static_selectorELNS0_4arch9wavefront6targetE0EEEvSZ_.has_recursion, 0
	.set _ZN7rocprim17ROCPRIM_400000_NS6detail17trampoline_kernelINS0_13select_configILj256ELj13ELNS0_17block_load_methodE3ELS4_3ELS4_3ELNS0_20block_scan_algorithmE0ELj4294967295EEENS1_25partition_config_selectorILNS1_17partition_subalgoE3EjNS0_10empty_typeEbEEZZNS1_14partition_implILS8_3ELb0ES6_jNS0_17counting_iteratorIjlEEPS9_SE_NS0_5tupleIJPjSE_EEENSF_IJSE_SE_EEES9_SG_JZNS1_25segmented_radix_sort_implINS0_14default_configELb1EPK6__halfPSL_PKlPlN2at6native12_GLOBAL__N_18offset_tEEE10hipError_tPvRmT1_PNSt15iterator_traitsISZ_E10value_typeET2_T3_PNS10_IS15_E10value_typeET4_jRbjT5_S1B_jjP12ihipStream_tbEUljE_EEESW_SX_SY_S15_S19_S1B_T6_T7_T9_mT8_S1D_bDpT10_ENKUlT_T0_E_clISt17integral_constantIbLb1EES1P_IbLb0EEEEDaS1L_S1M_EUlS1L_E_NS1_11comp_targetILNS1_3genE0ELNS1_11target_archE4294967295ELNS1_3gpuE0ELNS1_3repE0EEENS1_30default_config_static_selectorELNS0_4arch9wavefront6targetE0EEEvSZ_.has_indirect_call, 0
	.section	.AMDGPU.csdata,"",@progbits
; Kernel info:
; codeLenInByte = 0
; TotalNumSgprs: 0
; NumVgprs: 0
; ScratchSize: 0
; MemoryBound: 0
; FloatMode: 240
; IeeeMode: 1
; LDSByteSize: 0 bytes/workgroup (compile time only)
; SGPRBlocks: 0
; VGPRBlocks: 0
; NumSGPRsForWavesPerEU: 1
; NumVGPRsForWavesPerEU: 1
; Occupancy: 16
; WaveLimiterHint : 0
; COMPUTE_PGM_RSRC2:SCRATCH_EN: 0
; COMPUTE_PGM_RSRC2:USER_SGPR: 2
; COMPUTE_PGM_RSRC2:TRAP_HANDLER: 0
; COMPUTE_PGM_RSRC2:TGID_X_EN: 1
; COMPUTE_PGM_RSRC2:TGID_Y_EN: 0
; COMPUTE_PGM_RSRC2:TGID_Z_EN: 0
; COMPUTE_PGM_RSRC2:TIDIG_COMP_CNT: 0
	.section	.text._ZN7rocprim17ROCPRIM_400000_NS6detail17trampoline_kernelINS0_13select_configILj256ELj13ELNS0_17block_load_methodE3ELS4_3ELS4_3ELNS0_20block_scan_algorithmE0ELj4294967295EEENS1_25partition_config_selectorILNS1_17partition_subalgoE3EjNS0_10empty_typeEbEEZZNS1_14partition_implILS8_3ELb0ES6_jNS0_17counting_iteratorIjlEEPS9_SE_NS0_5tupleIJPjSE_EEENSF_IJSE_SE_EEES9_SG_JZNS1_25segmented_radix_sort_implINS0_14default_configELb1EPK6__halfPSL_PKlPlN2at6native12_GLOBAL__N_18offset_tEEE10hipError_tPvRmT1_PNSt15iterator_traitsISZ_E10value_typeET2_T3_PNS10_IS15_E10value_typeET4_jRbjT5_S1B_jjP12ihipStream_tbEUljE_EEESW_SX_SY_S15_S19_S1B_T6_T7_T9_mT8_S1D_bDpT10_ENKUlT_T0_E_clISt17integral_constantIbLb1EES1P_IbLb0EEEEDaS1L_S1M_EUlS1L_E_NS1_11comp_targetILNS1_3genE5ELNS1_11target_archE942ELNS1_3gpuE9ELNS1_3repE0EEENS1_30default_config_static_selectorELNS0_4arch9wavefront6targetE0EEEvSZ_,"axG",@progbits,_ZN7rocprim17ROCPRIM_400000_NS6detail17trampoline_kernelINS0_13select_configILj256ELj13ELNS0_17block_load_methodE3ELS4_3ELS4_3ELNS0_20block_scan_algorithmE0ELj4294967295EEENS1_25partition_config_selectorILNS1_17partition_subalgoE3EjNS0_10empty_typeEbEEZZNS1_14partition_implILS8_3ELb0ES6_jNS0_17counting_iteratorIjlEEPS9_SE_NS0_5tupleIJPjSE_EEENSF_IJSE_SE_EEES9_SG_JZNS1_25segmented_radix_sort_implINS0_14default_configELb1EPK6__halfPSL_PKlPlN2at6native12_GLOBAL__N_18offset_tEEE10hipError_tPvRmT1_PNSt15iterator_traitsISZ_E10value_typeET2_T3_PNS10_IS15_E10value_typeET4_jRbjT5_S1B_jjP12ihipStream_tbEUljE_EEESW_SX_SY_S15_S19_S1B_T6_T7_T9_mT8_S1D_bDpT10_ENKUlT_T0_E_clISt17integral_constantIbLb1EES1P_IbLb0EEEEDaS1L_S1M_EUlS1L_E_NS1_11comp_targetILNS1_3genE5ELNS1_11target_archE942ELNS1_3gpuE9ELNS1_3repE0EEENS1_30default_config_static_selectorELNS0_4arch9wavefront6targetE0EEEvSZ_,comdat
	.globl	_ZN7rocprim17ROCPRIM_400000_NS6detail17trampoline_kernelINS0_13select_configILj256ELj13ELNS0_17block_load_methodE3ELS4_3ELS4_3ELNS0_20block_scan_algorithmE0ELj4294967295EEENS1_25partition_config_selectorILNS1_17partition_subalgoE3EjNS0_10empty_typeEbEEZZNS1_14partition_implILS8_3ELb0ES6_jNS0_17counting_iteratorIjlEEPS9_SE_NS0_5tupleIJPjSE_EEENSF_IJSE_SE_EEES9_SG_JZNS1_25segmented_radix_sort_implINS0_14default_configELb1EPK6__halfPSL_PKlPlN2at6native12_GLOBAL__N_18offset_tEEE10hipError_tPvRmT1_PNSt15iterator_traitsISZ_E10value_typeET2_T3_PNS10_IS15_E10value_typeET4_jRbjT5_S1B_jjP12ihipStream_tbEUljE_EEESW_SX_SY_S15_S19_S1B_T6_T7_T9_mT8_S1D_bDpT10_ENKUlT_T0_E_clISt17integral_constantIbLb1EES1P_IbLb0EEEEDaS1L_S1M_EUlS1L_E_NS1_11comp_targetILNS1_3genE5ELNS1_11target_archE942ELNS1_3gpuE9ELNS1_3repE0EEENS1_30default_config_static_selectorELNS0_4arch9wavefront6targetE0EEEvSZ_ ; -- Begin function _ZN7rocprim17ROCPRIM_400000_NS6detail17trampoline_kernelINS0_13select_configILj256ELj13ELNS0_17block_load_methodE3ELS4_3ELS4_3ELNS0_20block_scan_algorithmE0ELj4294967295EEENS1_25partition_config_selectorILNS1_17partition_subalgoE3EjNS0_10empty_typeEbEEZZNS1_14partition_implILS8_3ELb0ES6_jNS0_17counting_iteratorIjlEEPS9_SE_NS0_5tupleIJPjSE_EEENSF_IJSE_SE_EEES9_SG_JZNS1_25segmented_radix_sort_implINS0_14default_configELb1EPK6__halfPSL_PKlPlN2at6native12_GLOBAL__N_18offset_tEEE10hipError_tPvRmT1_PNSt15iterator_traitsISZ_E10value_typeET2_T3_PNS10_IS15_E10value_typeET4_jRbjT5_S1B_jjP12ihipStream_tbEUljE_EEESW_SX_SY_S15_S19_S1B_T6_T7_T9_mT8_S1D_bDpT10_ENKUlT_T0_E_clISt17integral_constantIbLb1EES1P_IbLb0EEEEDaS1L_S1M_EUlS1L_E_NS1_11comp_targetILNS1_3genE5ELNS1_11target_archE942ELNS1_3gpuE9ELNS1_3repE0EEENS1_30default_config_static_selectorELNS0_4arch9wavefront6targetE0EEEvSZ_
	.p2align	8
	.type	_ZN7rocprim17ROCPRIM_400000_NS6detail17trampoline_kernelINS0_13select_configILj256ELj13ELNS0_17block_load_methodE3ELS4_3ELS4_3ELNS0_20block_scan_algorithmE0ELj4294967295EEENS1_25partition_config_selectorILNS1_17partition_subalgoE3EjNS0_10empty_typeEbEEZZNS1_14partition_implILS8_3ELb0ES6_jNS0_17counting_iteratorIjlEEPS9_SE_NS0_5tupleIJPjSE_EEENSF_IJSE_SE_EEES9_SG_JZNS1_25segmented_radix_sort_implINS0_14default_configELb1EPK6__halfPSL_PKlPlN2at6native12_GLOBAL__N_18offset_tEEE10hipError_tPvRmT1_PNSt15iterator_traitsISZ_E10value_typeET2_T3_PNS10_IS15_E10value_typeET4_jRbjT5_S1B_jjP12ihipStream_tbEUljE_EEESW_SX_SY_S15_S19_S1B_T6_T7_T9_mT8_S1D_bDpT10_ENKUlT_T0_E_clISt17integral_constantIbLb1EES1P_IbLb0EEEEDaS1L_S1M_EUlS1L_E_NS1_11comp_targetILNS1_3genE5ELNS1_11target_archE942ELNS1_3gpuE9ELNS1_3repE0EEENS1_30default_config_static_selectorELNS0_4arch9wavefront6targetE0EEEvSZ_,@function
_ZN7rocprim17ROCPRIM_400000_NS6detail17trampoline_kernelINS0_13select_configILj256ELj13ELNS0_17block_load_methodE3ELS4_3ELS4_3ELNS0_20block_scan_algorithmE0ELj4294967295EEENS1_25partition_config_selectorILNS1_17partition_subalgoE3EjNS0_10empty_typeEbEEZZNS1_14partition_implILS8_3ELb0ES6_jNS0_17counting_iteratorIjlEEPS9_SE_NS0_5tupleIJPjSE_EEENSF_IJSE_SE_EEES9_SG_JZNS1_25segmented_radix_sort_implINS0_14default_configELb1EPK6__halfPSL_PKlPlN2at6native12_GLOBAL__N_18offset_tEEE10hipError_tPvRmT1_PNSt15iterator_traitsISZ_E10value_typeET2_T3_PNS10_IS15_E10value_typeET4_jRbjT5_S1B_jjP12ihipStream_tbEUljE_EEESW_SX_SY_S15_S19_S1B_T6_T7_T9_mT8_S1D_bDpT10_ENKUlT_T0_E_clISt17integral_constantIbLb1EES1P_IbLb0EEEEDaS1L_S1M_EUlS1L_E_NS1_11comp_targetILNS1_3genE5ELNS1_11target_archE942ELNS1_3gpuE9ELNS1_3repE0EEENS1_30default_config_static_selectorELNS0_4arch9wavefront6targetE0EEEvSZ_: ; @_ZN7rocprim17ROCPRIM_400000_NS6detail17trampoline_kernelINS0_13select_configILj256ELj13ELNS0_17block_load_methodE3ELS4_3ELS4_3ELNS0_20block_scan_algorithmE0ELj4294967295EEENS1_25partition_config_selectorILNS1_17partition_subalgoE3EjNS0_10empty_typeEbEEZZNS1_14partition_implILS8_3ELb0ES6_jNS0_17counting_iteratorIjlEEPS9_SE_NS0_5tupleIJPjSE_EEENSF_IJSE_SE_EEES9_SG_JZNS1_25segmented_radix_sort_implINS0_14default_configELb1EPK6__halfPSL_PKlPlN2at6native12_GLOBAL__N_18offset_tEEE10hipError_tPvRmT1_PNSt15iterator_traitsISZ_E10value_typeET2_T3_PNS10_IS15_E10value_typeET4_jRbjT5_S1B_jjP12ihipStream_tbEUljE_EEESW_SX_SY_S15_S19_S1B_T6_T7_T9_mT8_S1D_bDpT10_ENKUlT_T0_E_clISt17integral_constantIbLb1EES1P_IbLb0EEEEDaS1L_S1M_EUlS1L_E_NS1_11comp_targetILNS1_3genE5ELNS1_11target_archE942ELNS1_3gpuE9ELNS1_3repE0EEENS1_30default_config_static_selectorELNS0_4arch9wavefront6targetE0EEEvSZ_
; %bb.0:
	.section	.rodata,"a",@progbits
	.p2align	6, 0x0
	.amdhsa_kernel _ZN7rocprim17ROCPRIM_400000_NS6detail17trampoline_kernelINS0_13select_configILj256ELj13ELNS0_17block_load_methodE3ELS4_3ELS4_3ELNS0_20block_scan_algorithmE0ELj4294967295EEENS1_25partition_config_selectorILNS1_17partition_subalgoE3EjNS0_10empty_typeEbEEZZNS1_14partition_implILS8_3ELb0ES6_jNS0_17counting_iteratorIjlEEPS9_SE_NS0_5tupleIJPjSE_EEENSF_IJSE_SE_EEES9_SG_JZNS1_25segmented_radix_sort_implINS0_14default_configELb1EPK6__halfPSL_PKlPlN2at6native12_GLOBAL__N_18offset_tEEE10hipError_tPvRmT1_PNSt15iterator_traitsISZ_E10value_typeET2_T3_PNS10_IS15_E10value_typeET4_jRbjT5_S1B_jjP12ihipStream_tbEUljE_EEESW_SX_SY_S15_S19_S1B_T6_T7_T9_mT8_S1D_bDpT10_ENKUlT_T0_E_clISt17integral_constantIbLb1EES1P_IbLb0EEEEDaS1L_S1M_EUlS1L_E_NS1_11comp_targetILNS1_3genE5ELNS1_11target_archE942ELNS1_3gpuE9ELNS1_3repE0EEENS1_30default_config_static_selectorELNS0_4arch9wavefront6targetE0EEEvSZ_
		.amdhsa_group_segment_fixed_size 0
		.amdhsa_private_segment_fixed_size 0
		.amdhsa_kernarg_size 144
		.amdhsa_user_sgpr_count 2
		.amdhsa_user_sgpr_dispatch_ptr 0
		.amdhsa_user_sgpr_queue_ptr 0
		.amdhsa_user_sgpr_kernarg_segment_ptr 1
		.amdhsa_user_sgpr_dispatch_id 0
		.amdhsa_user_sgpr_private_segment_size 0
		.amdhsa_wavefront_size32 1
		.amdhsa_uses_dynamic_stack 0
		.amdhsa_enable_private_segment 0
		.amdhsa_system_sgpr_workgroup_id_x 1
		.amdhsa_system_sgpr_workgroup_id_y 0
		.amdhsa_system_sgpr_workgroup_id_z 0
		.amdhsa_system_sgpr_workgroup_info 0
		.amdhsa_system_vgpr_workitem_id 0
		.amdhsa_next_free_vgpr 1
		.amdhsa_next_free_sgpr 1
		.amdhsa_reserve_vcc 0
		.amdhsa_float_round_mode_32 0
		.amdhsa_float_round_mode_16_64 0
		.amdhsa_float_denorm_mode_32 3
		.amdhsa_float_denorm_mode_16_64 3
		.amdhsa_fp16_overflow 0
		.amdhsa_workgroup_processor_mode 1
		.amdhsa_memory_ordered 1
		.amdhsa_forward_progress 1
		.amdhsa_inst_pref_size 0
		.amdhsa_round_robin_scheduling 0
		.amdhsa_exception_fp_ieee_invalid_op 0
		.amdhsa_exception_fp_denorm_src 0
		.amdhsa_exception_fp_ieee_div_zero 0
		.amdhsa_exception_fp_ieee_overflow 0
		.amdhsa_exception_fp_ieee_underflow 0
		.amdhsa_exception_fp_ieee_inexact 0
		.amdhsa_exception_int_div_zero 0
	.end_amdhsa_kernel
	.section	.text._ZN7rocprim17ROCPRIM_400000_NS6detail17trampoline_kernelINS0_13select_configILj256ELj13ELNS0_17block_load_methodE3ELS4_3ELS4_3ELNS0_20block_scan_algorithmE0ELj4294967295EEENS1_25partition_config_selectorILNS1_17partition_subalgoE3EjNS0_10empty_typeEbEEZZNS1_14partition_implILS8_3ELb0ES6_jNS0_17counting_iteratorIjlEEPS9_SE_NS0_5tupleIJPjSE_EEENSF_IJSE_SE_EEES9_SG_JZNS1_25segmented_radix_sort_implINS0_14default_configELb1EPK6__halfPSL_PKlPlN2at6native12_GLOBAL__N_18offset_tEEE10hipError_tPvRmT1_PNSt15iterator_traitsISZ_E10value_typeET2_T3_PNS10_IS15_E10value_typeET4_jRbjT5_S1B_jjP12ihipStream_tbEUljE_EEESW_SX_SY_S15_S19_S1B_T6_T7_T9_mT8_S1D_bDpT10_ENKUlT_T0_E_clISt17integral_constantIbLb1EES1P_IbLb0EEEEDaS1L_S1M_EUlS1L_E_NS1_11comp_targetILNS1_3genE5ELNS1_11target_archE942ELNS1_3gpuE9ELNS1_3repE0EEENS1_30default_config_static_selectorELNS0_4arch9wavefront6targetE0EEEvSZ_,"axG",@progbits,_ZN7rocprim17ROCPRIM_400000_NS6detail17trampoline_kernelINS0_13select_configILj256ELj13ELNS0_17block_load_methodE3ELS4_3ELS4_3ELNS0_20block_scan_algorithmE0ELj4294967295EEENS1_25partition_config_selectorILNS1_17partition_subalgoE3EjNS0_10empty_typeEbEEZZNS1_14partition_implILS8_3ELb0ES6_jNS0_17counting_iteratorIjlEEPS9_SE_NS0_5tupleIJPjSE_EEENSF_IJSE_SE_EEES9_SG_JZNS1_25segmented_radix_sort_implINS0_14default_configELb1EPK6__halfPSL_PKlPlN2at6native12_GLOBAL__N_18offset_tEEE10hipError_tPvRmT1_PNSt15iterator_traitsISZ_E10value_typeET2_T3_PNS10_IS15_E10value_typeET4_jRbjT5_S1B_jjP12ihipStream_tbEUljE_EEESW_SX_SY_S15_S19_S1B_T6_T7_T9_mT8_S1D_bDpT10_ENKUlT_T0_E_clISt17integral_constantIbLb1EES1P_IbLb0EEEEDaS1L_S1M_EUlS1L_E_NS1_11comp_targetILNS1_3genE5ELNS1_11target_archE942ELNS1_3gpuE9ELNS1_3repE0EEENS1_30default_config_static_selectorELNS0_4arch9wavefront6targetE0EEEvSZ_,comdat
.Lfunc_end1724:
	.size	_ZN7rocprim17ROCPRIM_400000_NS6detail17trampoline_kernelINS0_13select_configILj256ELj13ELNS0_17block_load_methodE3ELS4_3ELS4_3ELNS0_20block_scan_algorithmE0ELj4294967295EEENS1_25partition_config_selectorILNS1_17partition_subalgoE3EjNS0_10empty_typeEbEEZZNS1_14partition_implILS8_3ELb0ES6_jNS0_17counting_iteratorIjlEEPS9_SE_NS0_5tupleIJPjSE_EEENSF_IJSE_SE_EEES9_SG_JZNS1_25segmented_radix_sort_implINS0_14default_configELb1EPK6__halfPSL_PKlPlN2at6native12_GLOBAL__N_18offset_tEEE10hipError_tPvRmT1_PNSt15iterator_traitsISZ_E10value_typeET2_T3_PNS10_IS15_E10value_typeET4_jRbjT5_S1B_jjP12ihipStream_tbEUljE_EEESW_SX_SY_S15_S19_S1B_T6_T7_T9_mT8_S1D_bDpT10_ENKUlT_T0_E_clISt17integral_constantIbLb1EES1P_IbLb0EEEEDaS1L_S1M_EUlS1L_E_NS1_11comp_targetILNS1_3genE5ELNS1_11target_archE942ELNS1_3gpuE9ELNS1_3repE0EEENS1_30default_config_static_selectorELNS0_4arch9wavefront6targetE0EEEvSZ_, .Lfunc_end1724-_ZN7rocprim17ROCPRIM_400000_NS6detail17trampoline_kernelINS0_13select_configILj256ELj13ELNS0_17block_load_methodE3ELS4_3ELS4_3ELNS0_20block_scan_algorithmE0ELj4294967295EEENS1_25partition_config_selectorILNS1_17partition_subalgoE3EjNS0_10empty_typeEbEEZZNS1_14partition_implILS8_3ELb0ES6_jNS0_17counting_iteratorIjlEEPS9_SE_NS0_5tupleIJPjSE_EEENSF_IJSE_SE_EEES9_SG_JZNS1_25segmented_radix_sort_implINS0_14default_configELb1EPK6__halfPSL_PKlPlN2at6native12_GLOBAL__N_18offset_tEEE10hipError_tPvRmT1_PNSt15iterator_traitsISZ_E10value_typeET2_T3_PNS10_IS15_E10value_typeET4_jRbjT5_S1B_jjP12ihipStream_tbEUljE_EEESW_SX_SY_S15_S19_S1B_T6_T7_T9_mT8_S1D_bDpT10_ENKUlT_T0_E_clISt17integral_constantIbLb1EES1P_IbLb0EEEEDaS1L_S1M_EUlS1L_E_NS1_11comp_targetILNS1_3genE5ELNS1_11target_archE942ELNS1_3gpuE9ELNS1_3repE0EEENS1_30default_config_static_selectorELNS0_4arch9wavefront6targetE0EEEvSZ_
                                        ; -- End function
	.set _ZN7rocprim17ROCPRIM_400000_NS6detail17trampoline_kernelINS0_13select_configILj256ELj13ELNS0_17block_load_methodE3ELS4_3ELS4_3ELNS0_20block_scan_algorithmE0ELj4294967295EEENS1_25partition_config_selectorILNS1_17partition_subalgoE3EjNS0_10empty_typeEbEEZZNS1_14partition_implILS8_3ELb0ES6_jNS0_17counting_iteratorIjlEEPS9_SE_NS0_5tupleIJPjSE_EEENSF_IJSE_SE_EEES9_SG_JZNS1_25segmented_radix_sort_implINS0_14default_configELb1EPK6__halfPSL_PKlPlN2at6native12_GLOBAL__N_18offset_tEEE10hipError_tPvRmT1_PNSt15iterator_traitsISZ_E10value_typeET2_T3_PNS10_IS15_E10value_typeET4_jRbjT5_S1B_jjP12ihipStream_tbEUljE_EEESW_SX_SY_S15_S19_S1B_T6_T7_T9_mT8_S1D_bDpT10_ENKUlT_T0_E_clISt17integral_constantIbLb1EES1P_IbLb0EEEEDaS1L_S1M_EUlS1L_E_NS1_11comp_targetILNS1_3genE5ELNS1_11target_archE942ELNS1_3gpuE9ELNS1_3repE0EEENS1_30default_config_static_selectorELNS0_4arch9wavefront6targetE0EEEvSZ_.num_vgpr, 0
	.set _ZN7rocprim17ROCPRIM_400000_NS6detail17trampoline_kernelINS0_13select_configILj256ELj13ELNS0_17block_load_methodE3ELS4_3ELS4_3ELNS0_20block_scan_algorithmE0ELj4294967295EEENS1_25partition_config_selectorILNS1_17partition_subalgoE3EjNS0_10empty_typeEbEEZZNS1_14partition_implILS8_3ELb0ES6_jNS0_17counting_iteratorIjlEEPS9_SE_NS0_5tupleIJPjSE_EEENSF_IJSE_SE_EEES9_SG_JZNS1_25segmented_radix_sort_implINS0_14default_configELb1EPK6__halfPSL_PKlPlN2at6native12_GLOBAL__N_18offset_tEEE10hipError_tPvRmT1_PNSt15iterator_traitsISZ_E10value_typeET2_T3_PNS10_IS15_E10value_typeET4_jRbjT5_S1B_jjP12ihipStream_tbEUljE_EEESW_SX_SY_S15_S19_S1B_T6_T7_T9_mT8_S1D_bDpT10_ENKUlT_T0_E_clISt17integral_constantIbLb1EES1P_IbLb0EEEEDaS1L_S1M_EUlS1L_E_NS1_11comp_targetILNS1_3genE5ELNS1_11target_archE942ELNS1_3gpuE9ELNS1_3repE0EEENS1_30default_config_static_selectorELNS0_4arch9wavefront6targetE0EEEvSZ_.num_agpr, 0
	.set _ZN7rocprim17ROCPRIM_400000_NS6detail17trampoline_kernelINS0_13select_configILj256ELj13ELNS0_17block_load_methodE3ELS4_3ELS4_3ELNS0_20block_scan_algorithmE0ELj4294967295EEENS1_25partition_config_selectorILNS1_17partition_subalgoE3EjNS0_10empty_typeEbEEZZNS1_14partition_implILS8_3ELb0ES6_jNS0_17counting_iteratorIjlEEPS9_SE_NS0_5tupleIJPjSE_EEENSF_IJSE_SE_EEES9_SG_JZNS1_25segmented_radix_sort_implINS0_14default_configELb1EPK6__halfPSL_PKlPlN2at6native12_GLOBAL__N_18offset_tEEE10hipError_tPvRmT1_PNSt15iterator_traitsISZ_E10value_typeET2_T3_PNS10_IS15_E10value_typeET4_jRbjT5_S1B_jjP12ihipStream_tbEUljE_EEESW_SX_SY_S15_S19_S1B_T6_T7_T9_mT8_S1D_bDpT10_ENKUlT_T0_E_clISt17integral_constantIbLb1EES1P_IbLb0EEEEDaS1L_S1M_EUlS1L_E_NS1_11comp_targetILNS1_3genE5ELNS1_11target_archE942ELNS1_3gpuE9ELNS1_3repE0EEENS1_30default_config_static_selectorELNS0_4arch9wavefront6targetE0EEEvSZ_.numbered_sgpr, 0
	.set _ZN7rocprim17ROCPRIM_400000_NS6detail17trampoline_kernelINS0_13select_configILj256ELj13ELNS0_17block_load_methodE3ELS4_3ELS4_3ELNS0_20block_scan_algorithmE0ELj4294967295EEENS1_25partition_config_selectorILNS1_17partition_subalgoE3EjNS0_10empty_typeEbEEZZNS1_14partition_implILS8_3ELb0ES6_jNS0_17counting_iteratorIjlEEPS9_SE_NS0_5tupleIJPjSE_EEENSF_IJSE_SE_EEES9_SG_JZNS1_25segmented_radix_sort_implINS0_14default_configELb1EPK6__halfPSL_PKlPlN2at6native12_GLOBAL__N_18offset_tEEE10hipError_tPvRmT1_PNSt15iterator_traitsISZ_E10value_typeET2_T3_PNS10_IS15_E10value_typeET4_jRbjT5_S1B_jjP12ihipStream_tbEUljE_EEESW_SX_SY_S15_S19_S1B_T6_T7_T9_mT8_S1D_bDpT10_ENKUlT_T0_E_clISt17integral_constantIbLb1EES1P_IbLb0EEEEDaS1L_S1M_EUlS1L_E_NS1_11comp_targetILNS1_3genE5ELNS1_11target_archE942ELNS1_3gpuE9ELNS1_3repE0EEENS1_30default_config_static_selectorELNS0_4arch9wavefront6targetE0EEEvSZ_.num_named_barrier, 0
	.set _ZN7rocprim17ROCPRIM_400000_NS6detail17trampoline_kernelINS0_13select_configILj256ELj13ELNS0_17block_load_methodE3ELS4_3ELS4_3ELNS0_20block_scan_algorithmE0ELj4294967295EEENS1_25partition_config_selectorILNS1_17partition_subalgoE3EjNS0_10empty_typeEbEEZZNS1_14partition_implILS8_3ELb0ES6_jNS0_17counting_iteratorIjlEEPS9_SE_NS0_5tupleIJPjSE_EEENSF_IJSE_SE_EEES9_SG_JZNS1_25segmented_radix_sort_implINS0_14default_configELb1EPK6__halfPSL_PKlPlN2at6native12_GLOBAL__N_18offset_tEEE10hipError_tPvRmT1_PNSt15iterator_traitsISZ_E10value_typeET2_T3_PNS10_IS15_E10value_typeET4_jRbjT5_S1B_jjP12ihipStream_tbEUljE_EEESW_SX_SY_S15_S19_S1B_T6_T7_T9_mT8_S1D_bDpT10_ENKUlT_T0_E_clISt17integral_constantIbLb1EES1P_IbLb0EEEEDaS1L_S1M_EUlS1L_E_NS1_11comp_targetILNS1_3genE5ELNS1_11target_archE942ELNS1_3gpuE9ELNS1_3repE0EEENS1_30default_config_static_selectorELNS0_4arch9wavefront6targetE0EEEvSZ_.private_seg_size, 0
	.set _ZN7rocprim17ROCPRIM_400000_NS6detail17trampoline_kernelINS0_13select_configILj256ELj13ELNS0_17block_load_methodE3ELS4_3ELS4_3ELNS0_20block_scan_algorithmE0ELj4294967295EEENS1_25partition_config_selectorILNS1_17partition_subalgoE3EjNS0_10empty_typeEbEEZZNS1_14partition_implILS8_3ELb0ES6_jNS0_17counting_iteratorIjlEEPS9_SE_NS0_5tupleIJPjSE_EEENSF_IJSE_SE_EEES9_SG_JZNS1_25segmented_radix_sort_implINS0_14default_configELb1EPK6__halfPSL_PKlPlN2at6native12_GLOBAL__N_18offset_tEEE10hipError_tPvRmT1_PNSt15iterator_traitsISZ_E10value_typeET2_T3_PNS10_IS15_E10value_typeET4_jRbjT5_S1B_jjP12ihipStream_tbEUljE_EEESW_SX_SY_S15_S19_S1B_T6_T7_T9_mT8_S1D_bDpT10_ENKUlT_T0_E_clISt17integral_constantIbLb1EES1P_IbLb0EEEEDaS1L_S1M_EUlS1L_E_NS1_11comp_targetILNS1_3genE5ELNS1_11target_archE942ELNS1_3gpuE9ELNS1_3repE0EEENS1_30default_config_static_selectorELNS0_4arch9wavefront6targetE0EEEvSZ_.uses_vcc, 0
	.set _ZN7rocprim17ROCPRIM_400000_NS6detail17trampoline_kernelINS0_13select_configILj256ELj13ELNS0_17block_load_methodE3ELS4_3ELS4_3ELNS0_20block_scan_algorithmE0ELj4294967295EEENS1_25partition_config_selectorILNS1_17partition_subalgoE3EjNS0_10empty_typeEbEEZZNS1_14partition_implILS8_3ELb0ES6_jNS0_17counting_iteratorIjlEEPS9_SE_NS0_5tupleIJPjSE_EEENSF_IJSE_SE_EEES9_SG_JZNS1_25segmented_radix_sort_implINS0_14default_configELb1EPK6__halfPSL_PKlPlN2at6native12_GLOBAL__N_18offset_tEEE10hipError_tPvRmT1_PNSt15iterator_traitsISZ_E10value_typeET2_T3_PNS10_IS15_E10value_typeET4_jRbjT5_S1B_jjP12ihipStream_tbEUljE_EEESW_SX_SY_S15_S19_S1B_T6_T7_T9_mT8_S1D_bDpT10_ENKUlT_T0_E_clISt17integral_constantIbLb1EES1P_IbLb0EEEEDaS1L_S1M_EUlS1L_E_NS1_11comp_targetILNS1_3genE5ELNS1_11target_archE942ELNS1_3gpuE9ELNS1_3repE0EEENS1_30default_config_static_selectorELNS0_4arch9wavefront6targetE0EEEvSZ_.uses_flat_scratch, 0
	.set _ZN7rocprim17ROCPRIM_400000_NS6detail17trampoline_kernelINS0_13select_configILj256ELj13ELNS0_17block_load_methodE3ELS4_3ELS4_3ELNS0_20block_scan_algorithmE0ELj4294967295EEENS1_25partition_config_selectorILNS1_17partition_subalgoE3EjNS0_10empty_typeEbEEZZNS1_14partition_implILS8_3ELb0ES6_jNS0_17counting_iteratorIjlEEPS9_SE_NS0_5tupleIJPjSE_EEENSF_IJSE_SE_EEES9_SG_JZNS1_25segmented_radix_sort_implINS0_14default_configELb1EPK6__halfPSL_PKlPlN2at6native12_GLOBAL__N_18offset_tEEE10hipError_tPvRmT1_PNSt15iterator_traitsISZ_E10value_typeET2_T3_PNS10_IS15_E10value_typeET4_jRbjT5_S1B_jjP12ihipStream_tbEUljE_EEESW_SX_SY_S15_S19_S1B_T6_T7_T9_mT8_S1D_bDpT10_ENKUlT_T0_E_clISt17integral_constantIbLb1EES1P_IbLb0EEEEDaS1L_S1M_EUlS1L_E_NS1_11comp_targetILNS1_3genE5ELNS1_11target_archE942ELNS1_3gpuE9ELNS1_3repE0EEENS1_30default_config_static_selectorELNS0_4arch9wavefront6targetE0EEEvSZ_.has_dyn_sized_stack, 0
	.set _ZN7rocprim17ROCPRIM_400000_NS6detail17trampoline_kernelINS0_13select_configILj256ELj13ELNS0_17block_load_methodE3ELS4_3ELS4_3ELNS0_20block_scan_algorithmE0ELj4294967295EEENS1_25partition_config_selectorILNS1_17partition_subalgoE3EjNS0_10empty_typeEbEEZZNS1_14partition_implILS8_3ELb0ES6_jNS0_17counting_iteratorIjlEEPS9_SE_NS0_5tupleIJPjSE_EEENSF_IJSE_SE_EEES9_SG_JZNS1_25segmented_radix_sort_implINS0_14default_configELb1EPK6__halfPSL_PKlPlN2at6native12_GLOBAL__N_18offset_tEEE10hipError_tPvRmT1_PNSt15iterator_traitsISZ_E10value_typeET2_T3_PNS10_IS15_E10value_typeET4_jRbjT5_S1B_jjP12ihipStream_tbEUljE_EEESW_SX_SY_S15_S19_S1B_T6_T7_T9_mT8_S1D_bDpT10_ENKUlT_T0_E_clISt17integral_constantIbLb1EES1P_IbLb0EEEEDaS1L_S1M_EUlS1L_E_NS1_11comp_targetILNS1_3genE5ELNS1_11target_archE942ELNS1_3gpuE9ELNS1_3repE0EEENS1_30default_config_static_selectorELNS0_4arch9wavefront6targetE0EEEvSZ_.has_recursion, 0
	.set _ZN7rocprim17ROCPRIM_400000_NS6detail17trampoline_kernelINS0_13select_configILj256ELj13ELNS0_17block_load_methodE3ELS4_3ELS4_3ELNS0_20block_scan_algorithmE0ELj4294967295EEENS1_25partition_config_selectorILNS1_17partition_subalgoE3EjNS0_10empty_typeEbEEZZNS1_14partition_implILS8_3ELb0ES6_jNS0_17counting_iteratorIjlEEPS9_SE_NS0_5tupleIJPjSE_EEENSF_IJSE_SE_EEES9_SG_JZNS1_25segmented_radix_sort_implINS0_14default_configELb1EPK6__halfPSL_PKlPlN2at6native12_GLOBAL__N_18offset_tEEE10hipError_tPvRmT1_PNSt15iterator_traitsISZ_E10value_typeET2_T3_PNS10_IS15_E10value_typeET4_jRbjT5_S1B_jjP12ihipStream_tbEUljE_EEESW_SX_SY_S15_S19_S1B_T6_T7_T9_mT8_S1D_bDpT10_ENKUlT_T0_E_clISt17integral_constantIbLb1EES1P_IbLb0EEEEDaS1L_S1M_EUlS1L_E_NS1_11comp_targetILNS1_3genE5ELNS1_11target_archE942ELNS1_3gpuE9ELNS1_3repE0EEENS1_30default_config_static_selectorELNS0_4arch9wavefront6targetE0EEEvSZ_.has_indirect_call, 0
	.section	.AMDGPU.csdata,"",@progbits
; Kernel info:
; codeLenInByte = 0
; TotalNumSgprs: 0
; NumVgprs: 0
; ScratchSize: 0
; MemoryBound: 0
; FloatMode: 240
; IeeeMode: 1
; LDSByteSize: 0 bytes/workgroup (compile time only)
; SGPRBlocks: 0
; VGPRBlocks: 0
; NumSGPRsForWavesPerEU: 1
; NumVGPRsForWavesPerEU: 1
; Occupancy: 16
; WaveLimiterHint : 0
; COMPUTE_PGM_RSRC2:SCRATCH_EN: 0
; COMPUTE_PGM_RSRC2:USER_SGPR: 2
; COMPUTE_PGM_RSRC2:TRAP_HANDLER: 0
; COMPUTE_PGM_RSRC2:TGID_X_EN: 1
; COMPUTE_PGM_RSRC2:TGID_Y_EN: 0
; COMPUTE_PGM_RSRC2:TGID_Z_EN: 0
; COMPUTE_PGM_RSRC2:TIDIG_COMP_CNT: 0
	.section	.text._ZN7rocprim17ROCPRIM_400000_NS6detail17trampoline_kernelINS0_13select_configILj256ELj13ELNS0_17block_load_methodE3ELS4_3ELS4_3ELNS0_20block_scan_algorithmE0ELj4294967295EEENS1_25partition_config_selectorILNS1_17partition_subalgoE3EjNS0_10empty_typeEbEEZZNS1_14partition_implILS8_3ELb0ES6_jNS0_17counting_iteratorIjlEEPS9_SE_NS0_5tupleIJPjSE_EEENSF_IJSE_SE_EEES9_SG_JZNS1_25segmented_radix_sort_implINS0_14default_configELb1EPK6__halfPSL_PKlPlN2at6native12_GLOBAL__N_18offset_tEEE10hipError_tPvRmT1_PNSt15iterator_traitsISZ_E10value_typeET2_T3_PNS10_IS15_E10value_typeET4_jRbjT5_S1B_jjP12ihipStream_tbEUljE_EEESW_SX_SY_S15_S19_S1B_T6_T7_T9_mT8_S1D_bDpT10_ENKUlT_T0_E_clISt17integral_constantIbLb1EES1P_IbLb0EEEEDaS1L_S1M_EUlS1L_E_NS1_11comp_targetILNS1_3genE4ELNS1_11target_archE910ELNS1_3gpuE8ELNS1_3repE0EEENS1_30default_config_static_selectorELNS0_4arch9wavefront6targetE0EEEvSZ_,"axG",@progbits,_ZN7rocprim17ROCPRIM_400000_NS6detail17trampoline_kernelINS0_13select_configILj256ELj13ELNS0_17block_load_methodE3ELS4_3ELS4_3ELNS0_20block_scan_algorithmE0ELj4294967295EEENS1_25partition_config_selectorILNS1_17partition_subalgoE3EjNS0_10empty_typeEbEEZZNS1_14partition_implILS8_3ELb0ES6_jNS0_17counting_iteratorIjlEEPS9_SE_NS0_5tupleIJPjSE_EEENSF_IJSE_SE_EEES9_SG_JZNS1_25segmented_radix_sort_implINS0_14default_configELb1EPK6__halfPSL_PKlPlN2at6native12_GLOBAL__N_18offset_tEEE10hipError_tPvRmT1_PNSt15iterator_traitsISZ_E10value_typeET2_T3_PNS10_IS15_E10value_typeET4_jRbjT5_S1B_jjP12ihipStream_tbEUljE_EEESW_SX_SY_S15_S19_S1B_T6_T7_T9_mT8_S1D_bDpT10_ENKUlT_T0_E_clISt17integral_constantIbLb1EES1P_IbLb0EEEEDaS1L_S1M_EUlS1L_E_NS1_11comp_targetILNS1_3genE4ELNS1_11target_archE910ELNS1_3gpuE8ELNS1_3repE0EEENS1_30default_config_static_selectorELNS0_4arch9wavefront6targetE0EEEvSZ_,comdat
	.globl	_ZN7rocprim17ROCPRIM_400000_NS6detail17trampoline_kernelINS0_13select_configILj256ELj13ELNS0_17block_load_methodE3ELS4_3ELS4_3ELNS0_20block_scan_algorithmE0ELj4294967295EEENS1_25partition_config_selectorILNS1_17partition_subalgoE3EjNS0_10empty_typeEbEEZZNS1_14partition_implILS8_3ELb0ES6_jNS0_17counting_iteratorIjlEEPS9_SE_NS0_5tupleIJPjSE_EEENSF_IJSE_SE_EEES9_SG_JZNS1_25segmented_radix_sort_implINS0_14default_configELb1EPK6__halfPSL_PKlPlN2at6native12_GLOBAL__N_18offset_tEEE10hipError_tPvRmT1_PNSt15iterator_traitsISZ_E10value_typeET2_T3_PNS10_IS15_E10value_typeET4_jRbjT5_S1B_jjP12ihipStream_tbEUljE_EEESW_SX_SY_S15_S19_S1B_T6_T7_T9_mT8_S1D_bDpT10_ENKUlT_T0_E_clISt17integral_constantIbLb1EES1P_IbLb0EEEEDaS1L_S1M_EUlS1L_E_NS1_11comp_targetILNS1_3genE4ELNS1_11target_archE910ELNS1_3gpuE8ELNS1_3repE0EEENS1_30default_config_static_selectorELNS0_4arch9wavefront6targetE0EEEvSZ_ ; -- Begin function _ZN7rocprim17ROCPRIM_400000_NS6detail17trampoline_kernelINS0_13select_configILj256ELj13ELNS0_17block_load_methodE3ELS4_3ELS4_3ELNS0_20block_scan_algorithmE0ELj4294967295EEENS1_25partition_config_selectorILNS1_17partition_subalgoE3EjNS0_10empty_typeEbEEZZNS1_14partition_implILS8_3ELb0ES6_jNS0_17counting_iteratorIjlEEPS9_SE_NS0_5tupleIJPjSE_EEENSF_IJSE_SE_EEES9_SG_JZNS1_25segmented_radix_sort_implINS0_14default_configELb1EPK6__halfPSL_PKlPlN2at6native12_GLOBAL__N_18offset_tEEE10hipError_tPvRmT1_PNSt15iterator_traitsISZ_E10value_typeET2_T3_PNS10_IS15_E10value_typeET4_jRbjT5_S1B_jjP12ihipStream_tbEUljE_EEESW_SX_SY_S15_S19_S1B_T6_T7_T9_mT8_S1D_bDpT10_ENKUlT_T0_E_clISt17integral_constantIbLb1EES1P_IbLb0EEEEDaS1L_S1M_EUlS1L_E_NS1_11comp_targetILNS1_3genE4ELNS1_11target_archE910ELNS1_3gpuE8ELNS1_3repE0EEENS1_30default_config_static_selectorELNS0_4arch9wavefront6targetE0EEEvSZ_
	.p2align	8
	.type	_ZN7rocprim17ROCPRIM_400000_NS6detail17trampoline_kernelINS0_13select_configILj256ELj13ELNS0_17block_load_methodE3ELS4_3ELS4_3ELNS0_20block_scan_algorithmE0ELj4294967295EEENS1_25partition_config_selectorILNS1_17partition_subalgoE3EjNS0_10empty_typeEbEEZZNS1_14partition_implILS8_3ELb0ES6_jNS0_17counting_iteratorIjlEEPS9_SE_NS0_5tupleIJPjSE_EEENSF_IJSE_SE_EEES9_SG_JZNS1_25segmented_radix_sort_implINS0_14default_configELb1EPK6__halfPSL_PKlPlN2at6native12_GLOBAL__N_18offset_tEEE10hipError_tPvRmT1_PNSt15iterator_traitsISZ_E10value_typeET2_T3_PNS10_IS15_E10value_typeET4_jRbjT5_S1B_jjP12ihipStream_tbEUljE_EEESW_SX_SY_S15_S19_S1B_T6_T7_T9_mT8_S1D_bDpT10_ENKUlT_T0_E_clISt17integral_constantIbLb1EES1P_IbLb0EEEEDaS1L_S1M_EUlS1L_E_NS1_11comp_targetILNS1_3genE4ELNS1_11target_archE910ELNS1_3gpuE8ELNS1_3repE0EEENS1_30default_config_static_selectorELNS0_4arch9wavefront6targetE0EEEvSZ_,@function
_ZN7rocprim17ROCPRIM_400000_NS6detail17trampoline_kernelINS0_13select_configILj256ELj13ELNS0_17block_load_methodE3ELS4_3ELS4_3ELNS0_20block_scan_algorithmE0ELj4294967295EEENS1_25partition_config_selectorILNS1_17partition_subalgoE3EjNS0_10empty_typeEbEEZZNS1_14partition_implILS8_3ELb0ES6_jNS0_17counting_iteratorIjlEEPS9_SE_NS0_5tupleIJPjSE_EEENSF_IJSE_SE_EEES9_SG_JZNS1_25segmented_radix_sort_implINS0_14default_configELb1EPK6__halfPSL_PKlPlN2at6native12_GLOBAL__N_18offset_tEEE10hipError_tPvRmT1_PNSt15iterator_traitsISZ_E10value_typeET2_T3_PNS10_IS15_E10value_typeET4_jRbjT5_S1B_jjP12ihipStream_tbEUljE_EEESW_SX_SY_S15_S19_S1B_T6_T7_T9_mT8_S1D_bDpT10_ENKUlT_T0_E_clISt17integral_constantIbLb1EES1P_IbLb0EEEEDaS1L_S1M_EUlS1L_E_NS1_11comp_targetILNS1_3genE4ELNS1_11target_archE910ELNS1_3gpuE8ELNS1_3repE0EEENS1_30default_config_static_selectorELNS0_4arch9wavefront6targetE0EEEvSZ_: ; @_ZN7rocprim17ROCPRIM_400000_NS6detail17trampoline_kernelINS0_13select_configILj256ELj13ELNS0_17block_load_methodE3ELS4_3ELS4_3ELNS0_20block_scan_algorithmE0ELj4294967295EEENS1_25partition_config_selectorILNS1_17partition_subalgoE3EjNS0_10empty_typeEbEEZZNS1_14partition_implILS8_3ELb0ES6_jNS0_17counting_iteratorIjlEEPS9_SE_NS0_5tupleIJPjSE_EEENSF_IJSE_SE_EEES9_SG_JZNS1_25segmented_radix_sort_implINS0_14default_configELb1EPK6__halfPSL_PKlPlN2at6native12_GLOBAL__N_18offset_tEEE10hipError_tPvRmT1_PNSt15iterator_traitsISZ_E10value_typeET2_T3_PNS10_IS15_E10value_typeET4_jRbjT5_S1B_jjP12ihipStream_tbEUljE_EEESW_SX_SY_S15_S19_S1B_T6_T7_T9_mT8_S1D_bDpT10_ENKUlT_T0_E_clISt17integral_constantIbLb1EES1P_IbLb0EEEEDaS1L_S1M_EUlS1L_E_NS1_11comp_targetILNS1_3genE4ELNS1_11target_archE910ELNS1_3gpuE8ELNS1_3repE0EEENS1_30default_config_static_selectorELNS0_4arch9wavefront6targetE0EEEvSZ_
; %bb.0:
	.section	.rodata,"a",@progbits
	.p2align	6, 0x0
	.amdhsa_kernel _ZN7rocprim17ROCPRIM_400000_NS6detail17trampoline_kernelINS0_13select_configILj256ELj13ELNS0_17block_load_methodE3ELS4_3ELS4_3ELNS0_20block_scan_algorithmE0ELj4294967295EEENS1_25partition_config_selectorILNS1_17partition_subalgoE3EjNS0_10empty_typeEbEEZZNS1_14partition_implILS8_3ELb0ES6_jNS0_17counting_iteratorIjlEEPS9_SE_NS0_5tupleIJPjSE_EEENSF_IJSE_SE_EEES9_SG_JZNS1_25segmented_radix_sort_implINS0_14default_configELb1EPK6__halfPSL_PKlPlN2at6native12_GLOBAL__N_18offset_tEEE10hipError_tPvRmT1_PNSt15iterator_traitsISZ_E10value_typeET2_T3_PNS10_IS15_E10value_typeET4_jRbjT5_S1B_jjP12ihipStream_tbEUljE_EEESW_SX_SY_S15_S19_S1B_T6_T7_T9_mT8_S1D_bDpT10_ENKUlT_T0_E_clISt17integral_constantIbLb1EES1P_IbLb0EEEEDaS1L_S1M_EUlS1L_E_NS1_11comp_targetILNS1_3genE4ELNS1_11target_archE910ELNS1_3gpuE8ELNS1_3repE0EEENS1_30default_config_static_selectorELNS0_4arch9wavefront6targetE0EEEvSZ_
		.amdhsa_group_segment_fixed_size 0
		.amdhsa_private_segment_fixed_size 0
		.amdhsa_kernarg_size 144
		.amdhsa_user_sgpr_count 2
		.amdhsa_user_sgpr_dispatch_ptr 0
		.amdhsa_user_sgpr_queue_ptr 0
		.amdhsa_user_sgpr_kernarg_segment_ptr 1
		.amdhsa_user_sgpr_dispatch_id 0
		.amdhsa_user_sgpr_private_segment_size 0
		.amdhsa_wavefront_size32 1
		.amdhsa_uses_dynamic_stack 0
		.amdhsa_enable_private_segment 0
		.amdhsa_system_sgpr_workgroup_id_x 1
		.amdhsa_system_sgpr_workgroup_id_y 0
		.amdhsa_system_sgpr_workgroup_id_z 0
		.amdhsa_system_sgpr_workgroup_info 0
		.amdhsa_system_vgpr_workitem_id 0
		.amdhsa_next_free_vgpr 1
		.amdhsa_next_free_sgpr 1
		.amdhsa_reserve_vcc 0
		.amdhsa_float_round_mode_32 0
		.amdhsa_float_round_mode_16_64 0
		.amdhsa_float_denorm_mode_32 3
		.amdhsa_float_denorm_mode_16_64 3
		.amdhsa_fp16_overflow 0
		.amdhsa_workgroup_processor_mode 1
		.amdhsa_memory_ordered 1
		.amdhsa_forward_progress 1
		.amdhsa_inst_pref_size 0
		.amdhsa_round_robin_scheduling 0
		.amdhsa_exception_fp_ieee_invalid_op 0
		.amdhsa_exception_fp_denorm_src 0
		.amdhsa_exception_fp_ieee_div_zero 0
		.amdhsa_exception_fp_ieee_overflow 0
		.amdhsa_exception_fp_ieee_underflow 0
		.amdhsa_exception_fp_ieee_inexact 0
		.amdhsa_exception_int_div_zero 0
	.end_amdhsa_kernel
	.section	.text._ZN7rocprim17ROCPRIM_400000_NS6detail17trampoline_kernelINS0_13select_configILj256ELj13ELNS0_17block_load_methodE3ELS4_3ELS4_3ELNS0_20block_scan_algorithmE0ELj4294967295EEENS1_25partition_config_selectorILNS1_17partition_subalgoE3EjNS0_10empty_typeEbEEZZNS1_14partition_implILS8_3ELb0ES6_jNS0_17counting_iteratorIjlEEPS9_SE_NS0_5tupleIJPjSE_EEENSF_IJSE_SE_EEES9_SG_JZNS1_25segmented_radix_sort_implINS0_14default_configELb1EPK6__halfPSL_PKlPlN2at6native12_GLOBAL__N_18offset_tEEE10hipError_tPvRmT1_PNSt15iterator_traitsISZ_E10value_typeET2_T3_PNS10_IS15_E10value_typeET4_jRbjT5_S1B_jjP12ihipStream_tbEUljE_EEESW_SX_SY_S15_S19_S1B_T6_T7_T9_mT8_S1D_bDpT10_ENKUlT_T0_E_clISt17integral_constantIbLb1EES1P_IbLb0EEEEDaS1L_S1M_EUlS1L_E_NS1_11comp_targetILNS1_3genE4ELNS1_11target_archE910ELNS1_3gpuE8ELNS1_3repE0EEENS1_30default_config_static_selectorELNS0_4arch9wavefront6targetE0EEEvSZ_,"axG",@progbits,_ZN7rocprim17ROCPRIM_400000_NS6detail17trampoline_kernelINS0_13select_configILj256ELj13ELNS0_17block_load_methodE3ELS4_3ELS4_3ELNS0_20block_scan_algorithmE0ELj4294967295EEENS1_25partition_config_selectorILNS1_17partition_subalgoE3EjNS0_10empty_typeEbEEZZNS1_14partition_implILS8_3ELb0ES6_jNS0_17counting_iteratorIjlEEPS9_SE_NS0_5tupleIJPjSE_EEENSF_IJSE_SE_EEES9_SG_JZNS1_25segmented_radix_sort_implINS0_14default_configELb1EPK6__halfPSL_PKlPlN2at6native12_GLOBAL__N_18offset_tEEE10hipError_tPvRmT1_PNSt15iterator_traitsISZ_E10value_typeET2_T3_PNS10_IS15_E10value_typeET4_jRbjT5_S1B_jjP12ihipStream_tbEUljE_EEESW_SX_SY_S15_S19_S1B_T6_T7_T9_mT8_S1D_bDpT10_ENKUlT_T0_E_clISt17integral_constantIbLb1EES1P_IbLb0EEEEDaS1L_S1M_EUlS1L_E_NS1_11comp_targetILNS1_3genE4ELNS1_11target_archE910ELNS1_3gpuE8ELNS1_3repE0EEENS1_30default_config_static_selectorELNS0_4arch9wavefront6targetE0EEEvSZ_,comdat
.Lfunc_end1725:
	.size	_ZN7rocprim17ROCPRIM_400000_NS6detail17trampoline_kernelINS0_13select_configILj256ELj13ELNS0_17block_load_methodE3ELS4_3ELS4_3ELNS0_20block_scan_algorithmE0ELj4294967295EEENS1_25partition_config_selectorILNS1_17partition_subalgoE3EjNS0_10empty_typeEbEEZZNS1_14partition_implILS8_3ELb0ES6_jNS0_17counting_iteratorIjlEEPS9_SE_NS0_5tupleIJPjSE_EEENSF_IJSE_SE_EEES9_SG_JZNS1_25segmented_radix_sort_implINS0_14default_configELb1EPK6__halfPSL_PKlPlN2at6native12_GLOBAL__N_18offset_tEEE10hipError_tPvRmT1_PNSt15iterator_traitsISZ_E10value_typeET2_T3_PNS10_IS15_E10value_typeET4_jRbjT5_S1B_jjP12ihipStream_tbEUljE_EEESW_SX_SY_S15_S19_S1B_T6_T7_T9_mT8_S1D_bDpT10_ENKUlT_T0_E_clISt17integral_constantIbLb1EES1P_IbLb0EEEEDaS1L_S1M_EUlS1L_E_NS1_11comp_targetILNS1_3genE4ELNS1_11target_archE910ELNS1_3gpuE8ELNS1_3repE0EEENS1_30default_config_static_selectorELNS0_4arch9wavefront6targetE0EEEvSZ_, .Lfunc_end1725-_ZN7rocprim17ROCPRIM_400000_NS6detail17trampoline_kernelINS0_13select_configILj256ELj13ELNS0_17block_load_methodE3ELS4_3ELS4_3ELNS0_20block_scan_algorithmE0ELj4294967295EEENS1_25partition_config_selectorILNS1_17partition_subalgoE3EjNS0_10empty_typeEbEEZZNS1_14partition_implILS8_3ELb0ES6_jNS0_17counting_iteratorIjlEEPS9_SE_NS0_5tupleIJPjSE_EEENSF_IJSE_SE_EEES9_SG_JZNS1_25segmented_radix_sort_implINS0_14default_configELb1EPK6__halfPSL_PKlPlN2at6native12_GLOBAL__N_18offset_tEEE10hipError_tPvRmT1_PNSt15iterator_traitsISZ_E10value_typeET2_T3_PNS10_IS15_E10value_typeET4_jRbjT5_S1B_jjP12ihipStream_tbEUljE_EEESW_SX_SY_S15_S19_S1B_T6_T7_T9_mT8_S1D_bDpT10_ENKUlT_T0_E_clISt17integral_constantIbLb1EES1P_IbLb0EEEEDaS1L_S1M_EUlS1L_E_NS1_11comp_targetILNS1_3genE4ELNS1_11target_archE910ELNS1_3gpuE8ELNS1_3repE0EEENS1_30default_config_static_selectorELNS0_4arch9wavefront6targetE0EEEvSZ_
                                        ; -- End function
	.set _ZN7rocprim17ROCPRIM_400000_NS6detail17trampoline_kernelINS0_13select_configILj256ELj13ELNS0_17block_load_methodE3ELS4_3ELS4_3ELNS0_20block_scan_algorithmE0ELj4294967295EEENS1_25partition_config_selectorILNS1_17partition_subalgoE3EjNS0_10empty_typeEbEEZZNS1_14partition_implILS8_3ELb0ES6_jNS0_17counting_iteratorIjlEEPS9_SE_NS0_5tupleIJPjSE_EEENSF_IJSE_SE_EEES9_SG_JZNS1_25segmented_radix_sort_implINS0_14default_configELb1EPK6__halfPSL_PKlPlN2at6native12_GLOBAL__N_18offset_tEEE10hipError_tPvRmT1_PNSt15iterator_traitsISZ_E10value_typeET2_T3_PNS10_IS15_E10value_typeET4_jRbjT5_S1B_jjP12ihipStream_tbEUljE_EEESW_SX_SY_S15_S19_S1B_T6_T7_T9_mT8_S1D_bDpT10_ENKUlT_T0_E_clISt17integral_constantIbLb1EES1P_IbLb0EEEEDaS1L_S1M_EUlS1L_E_NS1_11comp_targetILNS1_3genE4ELNS1_11target_archE910ELNS1_3gpuE8ELNS1_3repE0EEENS1_30default_config_static_selectorELNS0_4arch9wavefront6targetE0EEEvSZ_.num_vgpr, 0
	.set _ZN7rocprim17ROCPRIM_400000_NS6detail17trampoline_kernelINS0_13select_configILj256ELj13ELNS0_17block_load_methodE3ELS4_3ELS4_3ELNS0_20block_scan_algorithmE0ELj4294967295EEENS1_25partition_config_selectorILNS1_17partition_subalgoE3EjNS0_10empty_typeEbEEZZNS1_14partition_implILS8_3ELb0ES6_jNS0_17counting_iteratorIjlEEPS9_SE_NS0_5tupleIJPjSE_EEENSF_IJSE_SE_EEES9_SG_JZNS1_25segmented_radix_sort_implINS0_14default_configELb1EPK6__halfPSL_PKlPlN2at6native12_GLOBAL__N_18offset_tEEE10hipError_tPvRmT1_PNSt15iterator_traitsISZ_E10value_typeET2_T3_PNS10_IS15_E10value_typeET4_jRbjT5_S1B_jjP12ihipStream_tbEUljE_EEESW_SX_SY_S15_S19_S1B_T6_T7_T9_mT8_S1D_bDpT10_ENKUlT_T0_E_clISt17integral_constantIbLb1EES1P_IbLb0EEEEDaS1L_S1M_EUlS1L_E_NS1_11comp_targetILNS1_3genE4ELNS1_11target_archE910ELNS1_3gpuE8ELNS1_3repE0EEENS1_30default_config_static_selectorELNS0_4arch9wavefront6targetE0EEEvSZ_.num_agpr, 0
	.set _ZN7rocprim17ROCPRIM_400000_NS6detail17trampoline_kernelINS0_13select_configILj256ELj13ELNS0_17block_load_methodE3ELS4_3ELS4_3ELNS0_20block_scan_algorithmE0ELj4294967295EEENS1_25partition_config_selectorILNS1_17partition_subalgoE3EjNS0_10empty_typeEbEEZZNS1_14partition_implILS8_3ELb0ES6_jNS0_17counting_iteratorIjlEEPS9_SE_NS0_5tupleIJPjSE_EEENSF_IJSE_SE_EEES9_SG_JZNS1_25segmented_radix_sort_implINS0_14default_configELb1EPK6__halfPSL_PKlPlN2at6native12_GLOBAL__N_18offset_tEEE10hipError_tPvRmT1_PNSt15iterator_traitsISZ_E10value_typeET2_T3_PNS10_IS15_E10value_typeET4_jRbjT5_S1B_jjP12ihipStream_tbEUljE_EEESW_SX_SY_S15_S19_S1B_T6_T7_T9_mT8_S1D_bDpT10_ENKUlT_T0_E_clISt17integral_constantIbLb1EES1P_IbLb0EEEEDaS1L_S1M_EUlS1L_E_NS1_11comp_targetILNS1_3genE4ELNS1_11target_archE910ELNS1_3gpuE8ELNS1_3repE0EEENS1_30default_config_static_selectorELNS0_4arch9wavefront6targetE0EEEvSZ_.numbered_sgpr, 0
	.set _ZN7rocprim17ROCPRIM_400000_NS6detail17trampoline_kernelINS0_13select_configILj256ELj13ELNS0_17block_load_methodE3ELS4_3ELS4_3ELNS0_20block_scan_algorithmE0ELj4294967295EEENS1_25partition_config_selectorILNS1_17partition_subalgoE3EjNS0_10empty_typeEbEEZZNS1_14partition_implILS8_3ELb0ES6_jNS0_17counting_iteratorIjlEEPS9_SE_NS0_5tupleIJPjSE_EEENSF_IJSE_SE_EEES9_SG_JZNS1_25segmented_radix_sort_implINS0_14default_configELb1EPK6__halfPSL_PKlPlN2at6native12_GLOBAL__N_18offset_tEEE10hipError_tPvRmT1_PNSt15iterator_traitsISZ_E10value_typeET2_T3_PNS10_IS15_E10value_typeET4_jRbjT5_S1B_jjP12ihipStream_tbEUljE_EEESW_SX_SY_S15_S19_S1B_T6_T7_T9_mT8_S1D_bDpT10_ENKUlT_T0_E_clISt17integral_constantIbLb1EES1P_IbLb0EEEEDaS1L_S1M_EUlS1L_E_NS1_11comp_targetILNS1_3genE4ELNS1_11target_archE910ELNS1_3gpuE8ELNS1_3repE0EEENS1_30default_config_static_selectorELNS0_4arch9wavefront6targetE0EEEvSZ_.num_named_barrier, 0
	.set _ZN7rocprim17ROCPRIM_400000_NS6detail17trampoline_kernelINS0_13select_configILj256ELj13ELNS0_17block_load_methodE3ELS4_3ELS4_3ELNS0_20block_scan_algorithmE0ELj4294967295EEENS1_25partition_config_selectorILNS1_17partition_subalgoE3EjNS0_10empty_typeEbEEZZNS1_14partition_implILS8_3ELb0ES6_jNS0_17counting_iteratorIjlEEPS9_SE_NS0_5tupleIJPjSE_EEENSF_IJSE_SE_EEES9_SG_JZNS1_25segmented_radix_sort_implINS0_14default_configELb1EPK6__halfPSL_PKlPlN2at6native12_GLOBAL__N_18offset_tEEE10hipError_tPvRmT1_PNSt15iterator_traitsISZ_E10value_typeET2_T3_PNS10_IS15_E10value_typeET4_jRbjT5_S1B_jjP12ihipStream_tbEUljE_EEESW_SX_SY_S15_S19_S1B_T6_T7_T9_mT8_S1D_bDpT10_ENKUlT_T0_E_clISt17integral_constantIbLb1EES1P_IbLb0EEEEDaS1L_S1M_EUlS1L_E_NS1_11comp_targetILNS1_3genE4ELNS1_11target_archE910ELNS1_3gpuE8ELNS1_3repE0EEENS1_30default_config_static_selectorELNS0_4arch9wavefront6targetE0EEEvSZ_.private_seg_size, 0
	.set _ZN7rocprim17ROCPRIM_400000_NS6detail17trampoline_kernelINS0_13select_configILj256ELj13ELNS0_17block_load_methodE3ELS4_3ELS4_3ELNS0_20block_scan_algorithmE0ELj4294967295EEENS1_25partition_config_selectorILNS1_17partition_subalgoE3EjNS0_10empty_typeEbEEZZNS1_14partition_implILS8_3ELb0ES6_jNS0_17counting_iteratorIjlEEPS9_SE_NS0_5tupleIJPjSE_EEENSF_IJSE_SE_EEES9_SG_JZNS1_25segmented_radix_sort_implINS0_14default_configELb1EPK6__halfPSL_PKlPlN2at6native12_GLOBAL__N_18offset_tEEE10hipError_tPvRmT1_PNSt15iterator_traitsISZ_E10value_typeET2_T3_PNS10_IS15_E10value_typeET4_jRbjT5_S1B_jjP12ihipStream_tbEUljE_EEESW_SX_SY_S15_S19_S1B_T6_T7_T9_mT8_S1D_bDpT10_ENKUlT_T0_E_clISt17integral_constantIbLb1EES1P_IbLb0EEEEDaS1L_S1M_EUlS1L_E_NS1_11comp_targetILNS1_3genE4ELNS1_11target_archE910ELNS1_3gpuE8ELNS1_3repE0EEENS1_30default_config_static_selectorELNS0_4arch9wavefront6targetE0EEEvSZ_.uses_vcc, 0
	.set _ZN7rocprim17ROCPRIM_400000_NS6detail17trampoline_kernelINS0_13select_configILj256ELj13ELNS0_17block_load_methodE3ELS4_3ELS4_3ELNS0_20block_scan_algorithmE0ELj4294967295EEENS1_25partition_config_selectorILNS1_17partition_subalgoE3EjNS0_10empty_typeEbEEZZNS1_14partition_implILS8_3ELb0ES6_jNS0_17counting_iteratorIjlEEPS9_SE_NS0_5tupleIJPjSE_EEENSF_IJSE_SE_EEES9_SG_JZNS1_25segmented_radix_sort_implINS0_14default_configELb1EPK6__halfPSL_PKlPlN2at6native12_GLOBAL__N_18offset_tEEE10hipError_tPvRmT1_PNSt15iterator_traitsISZ_E10value_typeET2_T3_PNS10_IS15_E10value_typeET4_jRbjT5_S1B_jjP12ihipStream_tbEUljE_EEESW_SX_SY_S15_S19_S1B_T6_T7_T9_mT8_S1D_bDpT10_ENKUlT_T0_E_clISt17integral_constantIbLb1EES1P_IbLb0EEEEDaS1L_S1M_EUlS1L_E_NS1_11comp_targetILNS1_3genE4ELNS1_11target_archE910ELNS1_3gpuE8ELNS1_3repE0EEENS1_30default_config_static_selectorELNS0_4arch9wavefront6targetE0EEEvSZ_.uses_flat_scratch, 0
	.set _ZN7rocprim17ROCPRIM_400000_NS6detail17trampoline_kernelINS0_13select_configILj256ELj13ELNS0_17block_load_methodE3ELS4_3ELS4_3ELNS0_20block_scan_algorithmE0ELj4294967295EEENS1_25partition_config_selectorILNS1_17partition_subalgoE3EjNS0_10empty_typeEbEEZZNS1_14partition_implILS8_3ELb0ES6_jNS0_17counting_iteratorIjlEEPS9_SE_NS0_5tupleIJPjSE_EEENSF_IJSE_SE_EEES9_SG_JZNS1_25segmented_radix_sort_implINS0_14default_configELb1EPK6__halfPSL_PKlPlN2at6native12_GLOBAL__N_18offset_tEEE10hipError_tPvRmT1_PNSt15iterator_traitsISZ_E10value_typeET2_T3_PNS10_IS15_E10value_typeET4_jRbjT5_S1B_jjP12ihipStream_tbEUljE_EEESW_SX_SY_S15_S19_S1B_T6_T7_T9_mT8_S1D_bDpT10_ENKUlT_T0_E_clISt17integral_constantIbLb1EES1P_IbLb0EEEEDaS1L_S1M_EUlS1L_E_NS1_11comp_targetILNS1_3genE4ELNS1_11target_archE910ELNS1_3gpuE8ELNS1_3repE0EEENS1_30default_config_static_selectorELNS0_4arch9wavefront6targetE0EEEvSZ_.has_dyn_sized_stack, 0
	.set _ZN7rocprim17ROCPRIM_400000_NS6detail17trampoline_kernelINS0_13select_configILj256ELj13ELNS0_17block_load_methodE3ELS4_3ELS4_3ELNS0_20block_scan_algorithmE0ELj4294967295EEENS1_25partition_config_selectorILNS1_17partition_subalgoE3EjNS0_10empty_typeEbEEZZNS1_14partition_implILS8_3ELb0ES6_jNS0_17counting_iteratorIjlEEPS9_SE_NS0_5tupleIJPjSE_EEENSF_IJSE_SE_EEES9_SG_JZNS1_25segmented_radix_sort_implINS0_14default_configELb1EPK6__halfPSL_PKlPlN2at6native12_GLOBAL__N_18offset_tEEE10hipError_tPvRmT1_PNSt15iterator_traitsISZ_E10value_typeET2_T3_PNS10_IS15_E10value_typeET4_jRbjT5_S1B_jjP12ihipStream_tbEUljE_EEESW_SX_SY_S15_S19_S1B_T6_T7_T9_mT8_S1D_bDpT10_ENKUlT_T0_E_clISt17integral_constantIbLb1EES1P_IbLb0EEEEDaS1L_S1M_EUlS1L_E_NS1_11comp_targetILNS1_3genE4ELNS1_11target_archE910ELNS1_3gpuE8ELNS1_3repE0EEENS1_30default_config_static_selectorELNS0_4arch9wavefront6targetE0EEEvSZ_.has_recursion, 0
	.set _ZN7rocprim17ROCPRIM_400000_NS6detail17trampoline_kernelINS0_13select_configILj256ELj13ELNS0_17block_load_methodE3ELS4_3ELS4_3ELNS0_20block_scan_algorithmE0ELj4294967295EEENS1_25partition_config_selectorILNS1_17partition_subalgoE3EjNS0_10empty_typeEbEEZZNS1_14partition_implILS8_3ELb0ES6_jNS0_17counting_iteratorIjlEEPS9_SE_NS0_5tupleIJPjSE_EEENSF_IJSE_SE_EEES9_SG_JZNS1_25segmented_radix_sort_implINS0_14default_configELb1EPK6__halfPSL_PKlPlN2at6native12_GLOBAL__N_18offset_tEEE10hipError_tPvRmT1_PNSt15iterator_traitsISZ_E10value_typeET2_T3_PNS10_IS15_E10value_typeET4_jRbjT5_S1B_jjP12ihipStream_tbEUljE_EEESW_SX_SY_S15_S19_S1B_T6_T7_T9_mT8_S1D_bDpT10_ENKUlT_T0_E_clISt17integral_constantIbLb1EES1P_IbLb0EEEEDaS1L_S1M_EUlS1L_E_NS1_11comp_targetILNS1_3genE4ELNS1_11target_archE910ELNS1_3gpuE8ELNS1_3repE0EEENS1_30default_config_static_selectorELNS0_4arch9wavefront6targetE0EEEvSZ_.has_indirect_call, 0
	.section	.AMDGPU.csdata,"",@progbits
; Kernel info:
; codeLenInByte = 0
; TotalNumSgprs: 0
; NumVgprs: 0
; ScratchSize: 0
; MemoryBound: 0
; FloatMode: 240
; IeeeMode: 1
; LDSByteSize: 0 bytes/workgroup (compile time only)
; SGPRBlocks: 0
; VGPRBlocks: 0
; NumSGPRsForWavesPerEU: 1
; NumVGPRsForWavesPerEU: 1
; Occupancy: 16
; WaveLimiterHint : 0
; COMPUTE_PGM_RSRC2:SCRATCH_EN: 0
; COMPUTE_PGM_RSRC2:USER_SGPR: 2
; COMPUTE_PGM_RSRC2:TRAP_HANDLER: 0
; COMPUTE_PGM_RSRC2:TGID_X_EN: 1
; COMPUTE_PGM_RSRC2:TGID_Y_EN: 0
; COMPUTE_PGM_RSRC2:TGID_Z_EN: 0
; COMPUTE_PGM_RSRC2:TIDIG_COMP_CNT: 0
	.section	.text._ZN7rocprim17ROCPRIM_400000_NS6detail17trampoline_kernelINS0_13select_configILj256ELj13ELNS0_17block_load_methodE3ELS4_3ELS4_3ELNS0_20block_scan_algorithmE0ELj4294967295EEENS1_25partition_config_selectorILNS1_17partition_subalgoE3EjNS0_10empty_typeEbEEZZNS1_14partition_implILS8_3ELb0ES6_jNS0_17counting_iteratorIjlEEPS9_SE_NS0_5tupleIJPjSE_EEENSF_IJSE_SE_EEES9_SG_JZNS1_25segmented_radix_sort_implINS0_14default_configELb1EPK6__halfPSL_PKlPlN2at6native12_GLOBAL__N_18offset_tEEE10hipError_tPvRmT1_PNSt15iterator_traitsISZ_E10value_typeET2_T3_PNS10_IS15_E10value_typeET4_jRbjT5_S1B_jjP12ihipStream_tbEUljE_EEESW_SX_SY_S15_S19_S1B_T6_T7_T9_mT8_S1D_bDpT10_ENKUlT_T0_E_clISt17integral_constantIbLb1EES1P_IbLb0EEEEDaS1L_S1M_EUlS1L_E_NS1_11comp_targetILNS1_3genE3ELNS1_11target_archE908ELNS1_3gpuE7ELNS1_3repE0EEENS1_30default_config_static_selectorELNS0_4arch9wavefront6targetE0EEEvSZ_,"axG",@progbits,_ZN7rocprim17ROCPRIM_400000_NS6detail17trampoline_kernelINS0_13select_configILj256ELj13ELNS0_17block_load_methodE3ELS4_3ELS4_3ELNS0_20block_scan_algorithmE0ELj4294967295EEENS1_25partition_config_selectorILNS1_17partition_subalgoE3EjNS0_10empty_typeEbEEZZNS1_14partition_implILS8_3ELb0ES6_jNS0_17counting_iteratorIjlEEPS9_SE_NS0_5tupleIJPjSE_EEENSF_IJSE_SE_EEES9_SG_JZNS1_25segmented_radix_sort_implINS0_14default_configELb1EPK6__halfPSL_PKlPlN2at6native12_GLOBAL__N_18offset_tEEE10hipError_tPvRmT1_PNSt15iterator_traitsISZ_E10value_typeET2_T3_PNS10_IS15_E10value_typeET4_jRbjT5_S1B_jjP12ihipStream_tbEUljE_EEESW_SX_SY_S15_S19_S1B_T6_T7_T9_mT8_S1D_bDpT10_ENKUlT_T0_E_clISt17integral_constantIbLb1EES1P_IbLb0EEEEDaS1L_S1M_EUlS1L_E_NS1_11comp_targetILNS1_3genE3ELNS1_11target_archE908ELNS1_3gpuE7ELNS1_3repE0EEENS1_30default_config_static_selectorELNS0_4arch9wavefront6targetE0EEEvSZ_,comdat
	.globl	_ZN7rocprim17ROCPRIM_400000_NS6detail17trampoline_kernelINS0_13select_configILj256ELj13ELNS0_17block_load_methodE3ELS4_3ELS4_3ELNS0_20block_scan_algorithmE0ELj4294967295EEENS1_25partition_config_selectorILNS1_17partition_subalgoE3EjNS0_10empty_typeEbEEZZNS1_14partition_implILS8_3ELb0ES6_jNS0_17counting_iteratorIjlEEPS9_SE_NS0_5tupleIJPjSE_EEENSF_IJSE_SE_EEES9_SG_JZNS1_25segmented_radix_sort_implINS0_14default_configELb1EPK6__halfPSL_PKlPlN2at6native12_GLOBAL__N_18offset_tEEE10hipError_tPvRmT1_PNSt15iterator_traitsISZ_E10value_typeET2_T3_PNS10_IS15_E10value_typeET4_jRbjT5_S1B_jjP12ihipStream_tbEUljE_EEESW_SX_SY_S15_S19_S1B_T6_T7_T9_mT8_S1D_bDpT10_ENKUlT_T0_E_clISt17integral_constantIbLb1EES1P_IbLb0EEEEDaS1L_S1M_EUlS1L_E_NS1_11comp_targetILNS1_3genE3ELNS1_11target_archE908ELNS1_3gpuE7ELNS1_3repE0EEENS1_30default_config_static_selectorELNS0_4arch9wavefront6targetE0EEEvSZ_ ; -- Begin function _ZN7rocprim17ROCPRIM_400000_NS6detail17trampoline_kernelINS0_13select_configILj256ELj13ELNS0_17block_load_methodE3ELS4_3ELS4_3ELNS0_20block_scan_algorithmE0ELj4294967295EEENS1_25partition_config_selectorILNS1_17partition_subalgoE3EjNS0_10empty_typeEbEEZZNS1_14partition_implILS8_3ELb0ES6_jNS0_17counting_iteratorIjlEEPS9_SE_NS0_5tupleIJPjSE_EEENSF_IJSE_SE_EEES9_SG_JZNS1_25segmented_radix_sort_implINS0_14default_configELb1EPK6__halfPSL_PKlPlN2at6native12_GLOBAL__N_18offset_tEEE10hipError_tPvRmT1_PNSt15iterator_traitsISZ_E10value_typeET2_T3_PNS10_IS15_E10value_typeET4_jRbjT5_S1B_jjP12ihipStream_tbEUljE_EEESW_SX_SY_S15_S19_S1B_T6_T7_T9_mT8_S1D_bDpT10_ENKUlT_T0_E_clISt17integral_constantIbLb1EES1P_IbLb0EEEEDaS1L_S1M_EUlS1L_E_NS1_11comp_targetILNS1_3genE3ELNS1_11target_archE908ELNS1_3gpuE7ELNS1_3repE0EEENS1_30default_config_static_selectorELNS0_4arch9wavefront6targetE0EEEvSZ_
	.p2align	8
	.type	_ZN7rocprim17ROCPRIM_400000_NS6detail17trampoline_kernelINS0_13select_configILj256ELj13ELNS0_17block_load_methodE3ELS4_3ELS4_3ELNS0_20block_scan_algorithmE0ELj4294967295EEENS1_25partition_config_selectorILNS1_17partition_subalgoE3EjNS0_10empty_typeEbEEZZNS1_14partition_implILS8_3ELb0ES6_jNS0_17counting_iteratorIjlEEPS9_SE_NS0_5tupleIJPjSE_EEENSF_IJSE_SE_EEES9_SG_JZNS1_25segmented_radix_sort_implINS0_14default_configELb1EPK6__halfPSL_PKlPlN2at6native12_GLOBAL__N_18offset_tEEE10hipError_tPvRmT1_PNSt15iterator_traitsISZ_E10value_typeET2_T3_PNS10_IS15_E10value_typeET4_jRbjT5_S1B_jjP12ihipStream_tbEUljE_EEESW_SX_SY_S15_S19_S1B_T6_T7_T9_mT8_S1D_bDpT10_ENKUlT_T0_E_clISt17integral_constantIbLb1EES1P_IbLb0EEEEDaS1L_S1M_EUlS1L_E_NS1_11comp_targetILNS1_3genE3ELNS1_11target_archE908ELNS1_3gpuE7ELNS1_3repE0EEENS1_30default_config_static_selectorELNS0_4arch9wavefront6targetE0EEEvSZ_,@function
_ZN7rocprim17ROCPRIM_400000_NS6detail17trampoline_kernelINS0_13select_configILj256ELj13ELNS0_17block_load_methodE3ELS4_3ELS4_3ELNS0_20block_scan_algorithmE0ELj4294967295EEENS1_25partition_config_selectorILNS1_17partition_subalgoE3EjNS0_10empty_typeEbEEZZNS1_14partition_implILS8_3ELb0ES6_jNS0_17counting_iteratorIjlEEPS9_SE_NS0_5tupleIJPjSE_EEENSF_IJSE_SE_EEES9_SG_JZNS1_25segmented_radix_sort_implINS0_14default_configELb1EPK6__halfPSL_PKlPlN2at6native12_GLOBAL__N_18offset_tEEE10hipError_tPvRmT1_PNSt15iterator_traitsISZ_E10value_typeET2_T3_PNS10_IS15_E10value_typeET4_jRbjT5_S1B_jjP12ihipStream_tbEUljE_EEESW_SX_SY_S15_S19_S1B_T6_T7_T9_mT8_S1D_bDpT10_ENKUlT_T0_E_clISt17integral_constantIbLb1EES1P_IbLb0EEEEDaS1L_S1M_EUlS1L_E_NS1_11comp_targetILNS1_3genE3ELNS1_11target_archE908ELNS1_3gpuE7ELNS1_3repE0EEENS1_30default_config_static_selectorELNS0_4arch9wavefront6targetE0EEEvSZ_: ; @_ZN7rocprim17ROCPRIM_400000_NS6detail17trampoline_kernelINS0_13select_configILj256ELj13ELNS0_17block_load_methodE3ELS4_3ELS4_3ELNS0_20block_scan_algorithmE0ELj4294967295EEENS1_25partition_config_selectorILNS1_17partition_subalgoE3EjNS0_10empty_typeEbEEZZNS1_14partition_implILS8_3ELb0ES6_jNS0_17counting_iteratorIjlEEPS9_SE_NS0_5tupleIJPjSE_EEENSF_IJSE_SE_EEES9_SG_JZNS1_25segmented_radix_sort_implINS0_14default_configELb1EPK6__halfPSL_PKlPlN2at6native12_GLOBAL__N_18offset_tEEE10hipError_tPvRmT1_PNSt15iterator_traitsISZ_E10value_typeET2_T3_PNS10_IS15_E10value_typeET4_jRbjT5_S1B_jjP12ihipStream_tbEUljE_EEESW_SX_SY_S15_S19_S1B_T6_T7_T9_mT8_S1D_bDpT10_ENKUlT_T0_E_clISt17integral_constantIbLb1EES1P_IbLb0EEEEDaS1L_S1M_EUlS1L_E_NS1_11comp_targetILNS1_3genE3ELNS1_11target_archE908ELNS1_3gpuE7ELNS1_3repE0EEENS1_30default_config_static_selectorELNS0_4arch9wavefront6targetE0EEEvSZ_
; %bb.0:
	.section	.rodata,"a",@progbits
	.p2align	6, 0x0
	.amdhsa_kernel _ZN7rocprim17ROCPRIM_400000_NS6detail17trampoline_kernelINS0_13select_configILj256ELj13ELNS0_17block_load_methodE3ELS4_3ELS4_3ELNS0_20block_scan_algorithmE0ELj4294967295EEENS1_25partition_config_selectorILNS1_17partition_subalgoE3EjNS0_10empty_typeEbEEZZNS1_14partition_implILS8_3ELb0ES6_jNS0_17counting_iteratorIjlEEPS9_SE_NS0_5tupleIJPjSE_EEENSF_IJSE_SE_EEES9_SG_JZNS1_25segmented_radix_sort_implINS0_14default_configELb1EPK6__halfPSL_PKlPlN2at6native12_GLOBAL__N_18offset_tEEE10hipError_tPvRmT1_PNSt15iterator_traitsISZ_E10value_typeET2_T3_PNS10_IS15_E10value_typeET4_jRbjT5_S1B_jjP12ihipStream_tbEUljE_EEESW_SX_SY_S15_S19_S1B_T6_T7_T9_mT8_S1D_bDpT10_ENKUlT_T0_E_clISt17integral_constantIbLb1EES1P_IbLb0EEEEDaS1L_S1M_EUlS1L_E_NS1_11comp_targetILNS1_3genE3ELNS1_11target_archE908ELNS1_3gpuE7ELNS1_3repE0EEENS1_30default_config_static_selectorELNS0_4arch9wavefront6targetE0EEEvSZ_
		.amdhsa_group_segment_fixed_size 0
		.amdhsa_private_segment_fixed_size 0
		.amdhsa_kernarg_size 144
		.amdhsa_user_sgpr_count 2
		.amdhsa_user_sgpr_dispatch_ptr 0
		.amdhsa_user_sgpr_queue_ptr 0
		.amdhsa_user_sgpr_kernarg_segment_ptr 1
		.amdhsa_user_sgpr_dispatch_id 0
		.amdhsa_user_sgpr_private_segment_size 0
		.amdhsa_wavefront_size32 1
		.amdhsa_uses_dynamic_stack 0
		.amdhsa_enable_private_segment 0
		.amdhsa_system_sgpr_workgroup_id_x 1
		.amdhsa_system_sgpr_workgroup_id_y 0
		.amdhsa_system_sgpr_workgroup_id_z 0
		.amdhsa_system_sgpr_workgroup_info 0
		.amdhsa_system_vgpr_workitem_id 0
		.amdhsa_next_free_vgpr 1
		.amdhsa_next_free_sgpr 1
		.amdhsa_reserve_vcc 0
		.amdhsa_float_round_mode_32 0
		.amdhsa_float_round_mode_16_64 0
		.amdhsa_float_denorm_mode_32 3
		.amdhsa_float_denorm_mode_16_64 3
		.amdhsa_fp16_overflow 0
		.amdhsa_workgroup_processor_mode 1
		.amdhsa_memory_ordered 1
		.amdhsa_forward_progress 1
		.amdhsa_inst_pref_size 0
		.amdhsa_round_robin_scheduling 0
		.amdhsa_exception_fp_ieee_invalid_op 0
		.amdhsa_exception_fp_denorm_src 0
		.amdhsa_exception_fp_ieee_div_zero 0
		.amdhsa_exception_fp_ieee_overflow 0
		.amdhsa_exception_fp_ieee_underflow 0
		.amdhsa_exception_fp_ieee_inexact 0
		.amdhsa_exception_int_div_zero 0
	.end_amdhsa_kernel
	.section	.text._ZN7rocprim17ROCPRIM_400000_NS6detail17trampoline_kernelINS0_13select_configILj256ELj13ELNS0_17block_load_methodE3ELS4_3ELS4_3ELNS0_20block_scan_algorithmE0ELj4294967295EEENS1_25partition_config_selectorILNS1_17partition_subalgoE3EjNS0_10empty_typeEbEEZZNS1_14partition_implILS8_3ELb0ES6_jNS0_17counting_iteratorIjlEEPS9_SE_NS0_5tupleIJPjSE_EEENSF_IJSE_SE_EEES9_SG_JZNS1_25segmented_radix_sort_implINS0_14default_configELb1EPK6__halfPSL_PKlPlN2at6native12_GLOBAL__N_18offset_tEEE10hipError_tPvRmT1_PNSt15iterator_traitsISZ_E10value_typeET2_T3_PNS10_IS15_E10value_typeET4_jRbjT5_S1B_jjP12ihipStream_tbEUljE_EEESW_SX_SY_S15_S19_S1B_T6_T7_T9_mT8_S1D_bDpT10_ENKUlT_T0_E_clISt17integral_constantIbLb1EES1P_IbLb0EEEEDaS1L_S1M_EUlS1L_E_NS1_11comp_targetILNS1_3genE3ELNS1_11target_archE908ELNS1_3gpuE7ELNS1_3repE0EEENS1_30default_config_static_selectorELNS0_4arch9wavefront6targetE0EEEvSZ_,"axG",@progbits,_ZN7rocprim17ROCPRIM_400000_NS6detail17trampoline_kernelINS0_13select_configILj256ELj13ELNS0_17block_load_methodE3ELS4_3ELS4_3ELNS0_20block_scan_algorithmE0ELj4294967295EEENS1_25partition_config_selectorILNS1_17partition_subalgoE3EjNS0_10empty_typeEbEEZZNS1_14partition_implILS8_3ELb0ES6_jNS0_17counting_iteratorIjlEEPS9_SE_NS0_5tupleIJPjSE_EEENSF_IJSE_SE_EEES9_SG_JZNS1_25segmented_radix_sort_implINS0_14default_configELb1EPK6__halfPSL_PKlPlN2at6native12_GLOBAL__N_18offset_tEEE10hipError_tPvRmT1_PNSt15iterator_traitsISZ_E10value_typeET2_T3_PNS10_IS15_E10value_typeET4_jRbjT5_S1B_jjP12ihipStream_tbEUljE_EEESW_SX_SY_S15_S19_S1B_T6_T7_T9_mT8_S1D_bDpT10_ENKUlT_T0_E_clISt17integral_constantIbLb1EES1P_IbLb0EEEEDaS1L_S1M_EUlS1L_E_NS1_11comp_targetILNS1_3genE3ELNS1_11target_archE908ELNS1_3gpuE7ELNS1_3repE0EEENS1_30default_config_static_selectorELNS0_4arch9wavefront6targetE0EEEvSZ_,comdat
.Lfunc_end1726:
	.size	_ZN7rocprim17ROCPRIM_400000_NS6detail17trampoline_kernelINS0_13select_configILj256ELj13ELNS0_17block_load_methodE3ELS4_3ELS4_3ELNS0_20block_scan_algorithmE0ELj4294967295EEENS1_25partition_config_selectorILNS1_17partition_subalgoE3EjNS0_10empty_typeEbEEZZNS1_14partition_implILS8_3ELb0ES6_jNS0_17counting_iteratorIjlEEPS9_SE_NS0_5tupleIJPjSE_EEENSF_IJSE_SE_EEES9_SG_JZNS1_25segmented_radix_sort_implINS0_14default_configELb1EPK6__halfPSL_PKlPlN2at6native12_GLOBAL__N_18offset_tEEE10hipError_tPvRmT1_PNSt15iterator_traitsISZ_E10value_typeET2_T3_PNS10_IS15_E10value_typeET4_jRbjT5_S1B_jjP12ihipStream_tbEUljE_EEESW_SX_SY_S15_S19_S1B_T6_T7_T9_mT8_S1D_bDpT10_ENKUlT_T0_E_clISt17integral_constantIbLb1EES1P_IbLb0EEEEDaS1L_S1M_EUlS1L_E_NS1_11comp_targetILNS1_3genE3ELNS1_11target_archE908ELNS1_3gpuE7ELNS1_3repE0EEENS1_30default_config_static_selectorELNS0_4arch9wavefront6targetE0EEEvSZ_, .Lfunc_end1726-_ZN7rocprim17ROCPRIM_400000_NS6detail17trampoline_kernelINS0_13select_configILj256ELj13ELNS0_17block_load_methodE3ELS4_3ELS4_3ELNS0_20block_scan_algorithmE0ELj4294967295EEENS1_25partition_config_selectorILNS1_17partition_subalgoE3EjNS0_10empty_typeEbEEZZNS1_14partition_implILS8_3ELb0ES6_jNS0_17counting_iteratorIjlEEPS9_SE_NS0_5tupleIJPjSE_EEENSF_IJSE_SE_EEES9_SG_JZNS1_25segmented_radix_sort_implINS0_14default_configELb1EPK6__halfPSL_PKlPlN2at6native12_GLOBAL__N_18offset_tEEE10hipError_tPvRmT1_PNSt15iterator_traitsISZ_E10value_typeET2_T3_PNS10_IS15_E10value_typeET4_jRbjT5_S1B_jjP12ihipStream_tbEUljE_EEESW_SX_SY_S15_S19_S1B_T6_T7_T9_mT8_S1D_bDpT10_ENKUlT_T0_E_clISt17integral_constantIbLb1EES1P_IbLb0EEEEDaS1L_S1M_EUlS1L_E_NS1_11comp_targetILNS1_3genE3ELNS1_11target_archE908ELNS1_3gpuE7ELNS1_3repE0EEENS1_30default_config_static_selectorELNS0_4arch9wavefront6targetE0EEEvSZ_
                                        ; -- End function
	.set _ZN7rocprim17ROCPRIM_400000_NS6detail17trampoline_kernelINS0_13select_configILj256ELj13ELNS0_17block_load_methodE3ELS4_3ELS4_3ELNS0_20block_scan_algorithmE0ELj4294967295EEENS1_25partition_config_selectorILNS1_17partition_subalgoE3EjNS0_10empty_typeEbEEZZNS1_14partition_implILS8_3ELb0ES6_jNS0_17counting_iteratorIjlEEPS9_SE_NS0_5tupleIJPjSE_EEENSF_IJSE_SE_EEES9_SG_JZNS1_25segmented_radix_sort_implINS0_14default_configELb1EPK6__halfPSL_PKlPlN2at6native12_GLOBAL__N_18offset_tEEE10hipError_tPvRmT1_PNSt15iterator_traitsISZ_E10value_typeET2_T3_PNS10_IS15_E10value_typeET4_jRbjT5_S1B_jjP12ihipStream_tbEUljE_EEESW_SX_SY_S15_S19_S1B_T6_T7_T9_mT8_S1D_bDpT10_ENKUlT_T0_E_clISt17integral_constantIbLb1EES1P_IbLb0EEEEDaS1L_S1M_EUlS1L_E_NS1_11comp_targetILNS1_3genE3ELNS1_11target_archE908ELNS1_3gpuE7ELNS1_3repE0EEENS1_30default_config_static_selectorELNS0_4arch9wavefront6targetE0EEEvSZ_.num_vgpr, 0
	.set _ZN7rocprim17ROCPRIM_400000_NS6detail17trampoline_kernelINS0_13select_configILj256ELj13ELNS0_17block_load_methodE3ELS4_3ELS4_3ELNS0_20block_scan_algorithmE0ELj4294967295EEENS1_25partition_config_selectorILNS1_17partition_subalgoE3EjNS0_10empty_typeEbEEZZNS1_14partition_implILS8_3ELb0ES6_jNS0_17counting_iteratorIjlEEPS9_SE_NS0_5tupleIJPjSE_EEENSF_IJSE_SE_EEES9_SG_JZNS1_25segmented_radix_sort_implINS0_14default_configELb1EPK6__halfPSL_PKlPlN2at6native12_GLOBAL__N_18offset_tEEE10hipError_tPvRmT1_PNSt15iterator_traitsISZ_E10value_typeET2_T3_PNS10_IS15_E10value_typeET4_jRbjT5_S1B_jjP12ihipStream_tbEUljE_EEESW_SX_SY_S15_S19_S1B_T6_T7_T9_mT8_S1D_bDpT10_ENKUlT_T0_E_clISt17integral_constantIbLb1EES1P_IbLb0EEEEDaS1L_S1M_EUlS1L_E_NS1_11comp_targetILNS1_3genE3ELNS1_11target_archE908ELNS1_3gpuE7ELNS1_3repE0EEENS1_30default_config_static_selectorELNS0_4arch9wavefront6targetE0EEEvSZ_.num_agpr, 0
	.set _ZN7rocprim17ROCPRIM_400000_NS6detail17trampoline_kernelINS0_13select_configILj256ELj13ELNS0_17block_load_methodE3ELS4_3ELS4_3ELNS0_20block_scan_algorithmE0ELj4294967295EEENS1_25partition_config_selectorILNS1_17partition_subalgoE3EjNS0_10empty_typeEbEEZZNS1_14partition_implILS8_3ELb0ES6_jNS0_17counting_iteratorIjlEEPS9_SE_NS0_5tupleIJPjSE_EEENSF_IJSE_SE_EEES9_SG_JZNS1_25segmented_radix_sort_implINS0_14default_configELb1EPK6__halfPSL_PKlPlN2at6native12_GLOBAL__N_18offset_tEEE10hipError_tPvRmT1_PNSt15iterator_traitsISZ_E10value_typeET2_T3_PNS10_IS15_E10value_typeET4_jRbjT5_S1B_jjP12ihipStream_tbEUljE_EEESW_SX_SY_S15_S19_S1B_T6_T7_T9_mT8_S1D_bDpT10_ENKUlT_T0_E_clISt17integral_constantIbLb1EES1P_IbLb0EEEEDaS1L_S1M_EUlS1L_E_NS1_11comp_targetILNS1_3genE3ELNS1_11target_archE908ELNS1_3gpuE7ELNS1_3repE0EEENS1_30default_config_static_selectorELNS0_4arch9wavefront6targetE0EEEvSZ_.numbered_sgpr, 0
	.set _ZN7rocprim17ROCPRIM_400000_NS6detail17trampoline_kernelINS0_13select_configILj256ELj13ELNS0_17block_load_methodE3ELS4_3ELS4_3ELNS0_20block_scan_algorithmE0ELj4294967295EEENS1_25partition_config_selectorILNS1_17partition_subalgoE3EjNS0_10empty_typeEbEEZZNS1_14partition_implILS8_3ELb0ES6_jNS0_17counting_iteratorIjlEEPS9_SE_NS0_5tupleIJPjSE_EEENSF_IJSE_SE_EEES9_SG_JZNS1_25segmented_radix_sort_implINS0_14default_configELb1EPK6__halfPSL_PKlPlN2at6native12_GLOBAL__N_18offset_tEEE10hipError_tPvRmT1_PNSt15iterator_traitsISZ_E10value_typeET2_T3_PNS10_IS15_E10value_typeET4_jRbjT5_S1B_jjP12ihipStream_tbEUljE_EEESW_SX_SY_S15_S19_S1B_T6_T7_T9_mT8_S1D_bDpT10_ENKUlT_T0_E_clISt17integral_constantIbLb1EES1P_IbLb0EEEEDaS1L_S1M_EUlS1L_E_NS1_11comp_targetILNS1_3genE3ELNS1_11target_archE908ELNS1_3gpuE7ELNS1_3repE0EEENS1_30default_config_static_selectorELNS0_4arch9wavefront6targetE0EEEvSZ_.num_named_barrier, 0
	.set _ZN7rocprim17ROCPRIM_400000_NS6detail17trampoline_kernelINS0_13select_configILj256ELj13ELNS0_17block_load_methodE3ELS4_3ELS4_3ELNS0_20block_scan_algorithmE0ELj4294967295EEENS1_25partition_config_selectorILNS1_17partition_subalgoE3EjNS0_10empty_typeEbEEZZNS1_14partition_implILS8_3ELb0ES6_jNS0_17counting_iteratorIjlEEPS9_SE_NS0_5tupleIJPjSE_EEENSF_IJSE_SE_EEES9_SG_JZNS1_25segmented_radix_sort_implINS0_14default_configELb1EPK6__halfPSL_PKlPlN2at6native12_GLOBAL__N_18offset_tEEE10hipError_tPvRmT1_PNSt15iterator_traitsISZ_E10value_typeET2_T3_PNS10_IS15_E10value_typeET4_jRbjT5_S1B_jjP12ihipStream_tbEUljE_EEESW_SX_SY_S15_S19_S1B_T6_T7_T9_mT8_S1D_bDpT10_ENKUlT_T0_E_clISt17integral_constantIbLb1EES1P_IbLb0EEEEDaS1L_S1M_EUlS1L_E_NS1_11comp_targetILNS1_3genE3ELNS1_11target_archE908ELNS1_3gpuE7ELNS1_3repE0EEENS1_30default_config_static_selectorELNS0_4arch9wavefront6targetE0EEEvSZ_.private_seg_size, 0
	.set _ZN7rocprim17ROCPRIM_400000_NS6detail17trampoline_kernelINS0_13select_configILj256ELj13ELNS0_17block_load_methodE3ELS4_3ELS4_3ELNS0_20block_scan_algorithmE0ELj4294967295EEENS1_25partition_config_selectorILNS1_17partition_subalgoE3EjNS0_10empty_typeEbEEZZNS1_14partition_implILS8_3ELb0ES6_jNS0_17counting_iteratorIjlEEPS9_SE_NS0_5tupleIJPjSE_EEENSF_IJSE_SE_EEES9_SG_JZNS1_25segmented_radix_sort_implINS0_14default_configELb1EPK6__halfPSL_PKlPlN2at6native12_GLOBAL__N_18offset_tEEE10hipError_tPvRmT1_PNSt15iterator_traitsISZ_E10value_typeET2_T3_PNS10_IS15_E10value_typeET4_jRbjT5_S1B_jjP12ihipStream_tbEUljE_EEESW_SX_SY_S15_S19_S1B_T6_T7_T9_mT8_S1D_bDpT10_ENKUlT_T0_E_clISt17integral_constantIbLb1EES1P_IbLb0EEEEDaS1L_S1M_EUlS1L_E_NS1_11comp_targetILNS1_3genE3ELNS1_11target_archE908ELNS1_3gpuE7ELNS1_3repE0EEENS1_30default_config_static_selectorELNS0_4arch9wavefront6targetE0EEEvSZ_.uses_vcc, 0
	.set _ZN7rocprim17ROCPRIM_400000_NS6detail17trampoline_kernelINS0_13select_configILj256ELj13ELNS0_17block_load_methodE3ELS4_3ELS4_3ELNS0_20block_scan_algorithmE0ELj4294967295EEENS1_25partition_config_selectorILNS1_17partition_subalgoE3EjNS0_10empty_typeEbEEZZNS1_14partition_implILS8_3ELb0ES6_jNS0_17counting_iteratorIjlEEPS9_SE_NS0_5tupleIJPjSE_EEENSF_IJSE_SE_EEES9_SG_JZNS1_25segmented_radix_sort_implINS0_14default_configELb1EPK6__halfPSL_PKlPlN2at6native12_GLOBAL__N_18offset_tEEE10hipError_tPvRmT1_PNSt15iterator_traitsISZ_E10value_typeET2_T3_PNS10_IS15_E10value_typeET4_jRbjT5_S1B_jjP12ihipStream_tbEUljE_EEESW_SX_SY_S15_S19_S1B_T6_T7_T9_mT8_S1D_bDpT10_ENKUlT_T0_E_clISt17integral_constantIbLb1EES1P_IbLb0EEEEDaS1L_S1M_EUlS1L_E_NS1_11comp_targetILNS1_3genE3ELNS1_11target_archE908ELNS1_3gpuE7ELNS1_3repE0EEENS1_30default_config_static_selectorELNS0_4arch9wavefront6targetE0EEEvSZ_.uses_flat_scratch, 0
	.set _ZN7rocprim17ROCPRIM_400000_NS6detail17trampoline_kernelINS0_13select_configILj256ELj13ELNS0_17block_load_methodE3ELS4_3ELS4_3ELNS0_20block_scan_algorithmE0ELj4294967295EEENS1_25partition_config_selectorILNS1_17partition_subalgoE3EjNS0_10empty_typeEbEEZZNS1_14partition_implILS8_3ELb0ES6_jNS0_17counting_iteratorIjlEEPS9_SE_NS0_5tupleIJPjSE_EEENSF_IJSE_SE_EEES9_SG_JZNS1_25segmented_radix_sort_implINS0_14default_configELb1EPK6__halfPSL_PKlPlN2at6native12_GLOBAL__N_18offset_tEEE10hipError_tPvRmT1_PNSt15iterator_traitsISZ_E10value_typeET2_T3_PNS10_IS15_E10value_typeET4_jRbjT5_S1B_jjP12ihipStream_tbEUljE_EEESW_SX_SY_S15_S19_S1B_T6_T7_T9_mT8_S1D_bDpT10_ENKUlT_T0_E_clISt17integral_constantIbLb1EES1P_IbLb0EEEEDaS1L_S1M_EUlS1L_E_NS1_11comp_targetILNS1_3genE3ELNS1_11target_archE908ELNS1_3gpuE7ELNS1_3repE0EEENS1_30default_config_static_selectorELNS0_4arch9wavefront6targetE0EEEvSZ_.has_dyn_sized_stack, 0
	.set _ZN7rocprim17ROCPRIM_400000_NS6detail17trampoline_kernelINS0_13select_configILj256ELj13ELNS0_17block_load_methodE3ELS4_3ELS4_3ELNS0_20block_scan_algorithmE0ELj4294967295EEENS1_25partition_config_selectorILNS1_17partition_subalgoE3EjNS0_10empty_typeEbEEZZNS1_14partition_implILS8_3ELb0ES6_jNS0_17counting_iteratorIjlEEPS9_SE_NS0_5tupleIJPjSE_EEENSF_IJSE_SE_EEES9_SG_JZNS1_25segmented_radix_sort_implINS0_14default_configELb1EPK6__halfPSL_PKlPlN2at6native12_GLOBAL__N_18offset_tEEE10hipError_tPvRmT1_PNSt15iterator_traitsISZ_E10value_typeET2_T3_PNS10_IS15_E10value_typeET4_jRbjT5_S1B_jjP12ihipStream_tbEUljE_EEESW_SX_SY_S15_S19_S1B_T6_T7_T9_mT8_S1D_bDpT10_ENKUlT_T0_E_clISt17integral_constantIbLb1EES1P_IbLb0EEEEDaS1L_S1M_EUlS1L_E_NS1_11comp_targetILNS1_3genE3ELNS1_11target_archE908ELNS1_3gpuE7ELNS1_3repE0EEENS1_30default_config_static_selectorELNS0_4arch9wavefront6targetE0EEEvSZ_.has_recursion, 0
	.set _ZN7rocprim17ROCPRIM_400000_NS6detail17trampoline_kernelINS0_13select_configILj256ELj13ELNS0_17block_load_methodE3ELS4_3ELS4_3ELNS0_20block_scan_algorithmE0ELj4294967295EEENS1_25partition_config_selectorILNS1_17partition_subalgoE3EjNS0_10empty_typeEbEEZZNS1_14partition_implILS8_3ELb0ES6_jNS0_17counting_iteratorIjlEEPS9_SE_NS0_5tupleIJPjSE_EEENSF_IJSE_SE_EEES9_SG_JZNS1_25segmented_radix_sort_implINS0_14default_configELb1EPK6__halfPSL_PKlPlN2at6native12_GLOBAL__N_18offset_tEEE10hipError_tPvRmT1_PNSt15iterator_traitsISZ_E10value_typeET2_T3_PNS10_IS15_E10value_typeET4_jRbjT5_S1B_jjP12ihipStream_tbEUljE_EEESW_SX_SY_S15_S19_S1B_T6_T7_T9_mT8_S1D_bDpT10_ENKUlT_T0_E_clISt17integral_constantIbLb1EES1P_IbLb0EEEEDaS1L_S1M_EUlS1L_E_NS1_11comp_targetILNS1_3genE3ELNS1_11target_archE908ELNS1_3gpuE7ELNS1_3repE0EEENS1_30default_config_static_selectorELNS0_4arch9wavefront6targetE0EEEvSZ_.has_indirect_call, 0
	.section	.AMDGPU.csdata,"",@progbits
; Kernel info:
; codeLenInByte = 0
; TotalNumSgprs: 0
; NumVgprs: 0
; ScratchSize: 0
; MemoryBound: 0
; FloatMode: 240
; IeeeMode: 1
; LDSByteSize: 0 bytes/workgroup (compile time only)
; SGPRBlocks: 0
; VGPRBlocks: 0
; NumSGPRsForWavesPerEU: 1
; NumVGPRsForWavesPerEU: 1
; Occupancy: 16
; WaveLimiterHint : 0
; COMPUTE_PGM_RSRC2:SCRATCH_EN: 0
; COMPUTE_PGM_RSRC2:USER_SGPR: 2
; COMPUTE_PGM_RSRC2:TRAP_HANDLER: 0
; COMPUTE_PGM_RSRC2:TGID_X_EN: 1
; COMPUTE_PGM_RSRC2:TGID_Y_EN: 0
; COMPUTE_PGM_RSRC2:TGID_Z_EN: 0
; COMPUTE_PGM_RSRC2:TIDIG_COMP_CNT: 0
	.section	.text._ZN7rocprim17ROCPRIM_400000_NS6detail17trampoline_kernelINS0_13select_configILj256ELj13ELNS0_17block_load_methodE3ELS4_3ELS4_3ELNS0_20block_scan_algorithmE0ELj4294967295EEENS1_25partition_config_selectorILNS1_17partition_subalgoE3EjNS0_10empty_typeEbEEZZNS1_14partition_implILS8_3ELb0ES6_jNS0_17counting_iteratorIjlEEPS9_SE_NS0_5tupleIJPjSE_EEENSF_IJSE_SE_EEES9_SG_JZNS1_25segmented_radix_sort_implINS0_14default_configELb1EPK6__halfPSL_PKlPlN2at6native12_GLOBAL__N_18offset_tEEE10hipError_tPvRmT1_PNSt15iterator_traitsISZ_E10value_typeET2_T3_PNS10_IS15_E10value_typeET4_jRbjT5_S1B_jjP12ihipStream_tbEUljE_EEESW_SX_SY_S15_S19_S1B_T6_T7_T9_mT8_S1D_bDpT10_ENKUlT_T0_E_clISt17integral_constantIbLb1EES1P_IbLb0EEEEDaS1L_S1M_EUlS1L_E_NS1_11comp_targetILNS1_3genE2ELNS1_11target_archE906ELNS1_3gpuE6ELNS1_3repE0EEENS1_30default_config_static_selectorELNS0_4arch9wavefront6targetE0EEEvSZ_,"axG",@progbits,_ZN7rocprim17ROCPRIM_400000_NS6detail17trampoline_kernelINS0_13select_configILj256ELj13ELNS0_17block_load_methodE3ELS4_3ELS4_3ELNS0_20block_scan_algorithmE0ELj4294967295EEENS1_25partition_config_selectorILNS1_17partition_subalgoE3EjNS0_10empty_typeEbEEZZNS1_14partition_implILS8_3ELb0ES6_jNS0_17counting_iteratorIjlEEPS9_SE_NS0_5tupleIJPjSE_EEENSF_IJSE_SE_EEES9_SG_JZNS1_25segmented_radix_sort_implINS0_14default_configELb1EPK6__halfPSL_PKlPlN2at6native12_GLOBAL__N_18offset_tEEE10hipError_tPvRmT1_PNSt15iterator_traitsISZ_E10value_typeET2_T3_PNS10_IS15_E10value_typeET4_jRbjT5_S1B_jjP12ihipStream_tbEUljE_EEESW_SX_SY_S15_S19_S1B_T6_T7_T9_mT8_S1D_bDpT10_ENKUlT_T0_E_clISt17integral_constantIbLb1EES1P_IbLb0EEEEDaS1L_S1M_EUlS1L_E_NS1_11comp_targetILNS1_3genE2ELNS1_11target_archE906ELNS1_3gpuE6ELNS1_3repE0EEENS1_30default_config_static_selectorELNS0_4arch9wavefront6targetE0EEEvSZ_,comdat
	.globl	_ZN7rocprim17ROCPRIM_400000_NS6detail17trampoline_kernelINS0_13select_configILj256ELj13ELNS0_17block_load_methodE3ELS4_3ELS4_3ELNS0_20block_scan_algorithmE0ELj4294967295EEENS1_25partition_config_selectorILNS1_17partition_subalgoE3EjNS0_10empty_typeEbEEZZNS1_14partition_implILS8_3ELb0ES6_jNS0_17counting_iteratorIjlEEPS9_SE_NS0_5tupleIJPjSE_EEENSF_IJSE_SE_EEES9_SG_JZNS1_25segmented_radix_sort_implINS0_14default_configELb1EPK6__halfPSL_PKlPlN2at6native12_GLOBAL__N_18offset_tEEE10hipError_tPvRmT1_PNSt15iterator_traitsISZ_E10value_typeET2_T3_PNS10_IS15_E10value_typeET4_jRbjT5_S1B_jjP12ihipStream_tbEUljE_EEESW_SX_SY_S15_S19_S1B_T6_T7_T9_mT8_S1D_bDpT10_ENKUlT_T0_E_clISt17integral_constantIbLb1EES1P_IbLb0EEEEDaS1L_S1M_EUlS1L_E_NS1_11comp_targetILNS1_3genE2ELNS1_11target_archE906ELNS1_3gpuE6ELNS1_3repE0EEENS1_30default_config_static_selectorELNS0_4arch9wavefront6targetE0EEEvSZ_ ; -- Begin function _ZN7rocprim17ROCPRIM_400000_NS6detail17trampoline_kernelINS0_13select_configILj256ELj13ELNS0_17block_load_methodE3ELS4_3ELS4_3ELNS0_20block_scan_algorithmE0ELj4294967295EEENS1_25partition_config_selectorILNS1_17partition_subalgoE3EjNS0_10empty_typeEbEEZZNS1_14partition_implILS8_3ELb0ES6_jNS0_17counting_iteratorIjlEEPS9_SE_NS0_5tupleIJPjSE_EEENSF_IJSE_SE_EEES9_SG_JZNS1_25segmented_radix_sort_implINS0_14default_configELb1EPK6__halfPSL_PKlPlN2at6native12_GLOBAL__N_18offset_tEEE10hipError_tPvRmT1_PNSt15iterator_traitsISZ_E10value_typeET2_T3_PNS10_IS15_E10value_typeET4_jRbjT5_S1B_jjP12ihipStream_tbEUljE_EEESW_SX_SY_S15_S19_S1B_T6_T7_T9_mT8_S1D_bDpT10_ENKUlT_T0_E_clISt17integral_constantIbLb1EES1P_IbLb0EEEEDaS1L_S1M_EUlS1L_E_NS1_11comp_targetILNS1_3genE2ELNS1_11target_archE906ELNS1_3gpuE6ELNS1_3repE0EEENS1_30default_config_static_selectorELNS0_4arch9wavefront6targetE0EEEvSZ_
	.p2align	8
	.type	_ZN7rocprim17ROCPRIM_400000_NS6detail17trampoline_kernelINS0_13select_configILj256ELj13ELNS0_17block_load_methodE3ELS4_3ELS4_3ELNS0_20block_scan_algorithmE0ELj4294967295EEENS1_25partition_config_selectorILNS1_17partition_subalgoE3EjNS0_10empty_typeEbEEZZNS1_14partition_implILS8_3ELb0ES6_jNS0_17counting_iteratorIjlEEPS9_SE_NS0_5tupleIJPjSE_EEENSF_IJSE_SE_EEES9_SG_JZNS1_25segmented_radix_sort_implINS0_14default_configELb1EPK6__halfPSL_PKlPlN2at6native12_GLOBAL__N_18offset_tEEE10hipError_tPvRmT1_PNSt15iterator_traitsISZ_E10value_typeET2_T3_PNS10_IS15_E10value_typeET4_jRbjT5_S1B_jjP12ihipStream_tbEUljE_EEESW_SX_SY_S15_S19_S1B_T6_T7_T9_mT8_S1D_bDpT10_ENKUlT_T0_E_clISt17integral_constantIbLb1EES1P_IbLb0EEEEDaS1L_S1M_EUlS1L_E_NS1_11comp_targetILNS1_3genE2ELNS1_11target_archE906ELNS1_3gpuE6ELNS1_3repE0EEENS1_30default_config_static_selectorELNS0_4arch9wavefront6targetE0EEEvSZ_,@function
_ZN7rocprim17ROCPRIM_400000_NS6detail17trampoline_kernelINS0_13select_configILj256ELj13ELNS0_17block_load_methodE3ELS4_3ELS4_3ELNS0_20block_scan_algorithmE0ELj4294967295EEENS1_25partition_config_selectorILNS1_17partition_subalgoE3EjNS0_10empty_typeEbEEZZNS1_14partition_implILS8_3ELb0ES6_jNS0_17counting_iteratorIjlEEPS9_SE_NS0_5tupleIJPjSE_EEENSF_IJSE_SE_EEES9_SG_JZNS1_25segmented_radix_sort_implINS0_14default_configELb1EPK6__halfPSL_PKlPlN2at6native12_GLOBAL__N_18offset_tEEE10hipError_tPvRmT1_PNSt15iterator_traitsISZ_E10value_typeET2_T3_PNS10_IS15_E10value_typeET4_jRbjT5_S1B_jjP12ihipStream_tbEUljE_EEESW_SX_SY_S15_S19_S1B_T6_T7_T9_mT8_S1D_bDpT10_ENKUlT_T0_E_clISt17integral_constantIbLb1EES1P_IbLb0EEEEDaS1L_S1M_EUlS1L_E_NS1_11comp_targetILNS1_3genE2ELNS1_11target_archE906ELNS1_3gpuE6ELNS1_3repE0EEENS1_30default_config_static_selectorELNS0_4arch9wavefront6targetE0EEEvSZ_: ; @_ZN7rocprim17ROCPRIM_400000_NS6detail17trampoline_kernelINS0_13select_configILj256ELj13ELNS0_17block_load_methodE3ELS4_3ELS4_3ELNS0_20block_scan_algorithmE0ELj4294967295EEENS1_25partition_config_selectorILNS1_17partition_subalgoE3EjNS0_10empty_typeEbEEZZNS1_14partition_implILS8_3ELb0ES6_jNS0_17counting_iteratorIjlEEPS9_SE_NS0_5tupleIJPjSE_EEENSF_IJSE_SE_EEES9_SG_JZNS1_25segmented_radix_sort_implINS0_14default_configELb1EPK6__halfPSL_PKlPlN2at6native12_GLOBAL__N_18offset_tEEE10hipError_tPvRmT1_PNSt15iterator_traitsISZ_E10value_typeET2_T3_PNS10_IS15_E10value_typeET4_jRbjT5_S1B_jjP12ihipStream_tbEUljE_EEESW_SX_SY_S15_S19_S1B_T6_T7_T9_mT8_S1D_bDpT10_ENKUlT_T0_E_clISt17integral_constantIbLb1EES1P_IbLb0EEEEDaS1L_S1M_EUlS1L_E_NS1_11comp_targetILNS1_3genE2ELNS1_11target_archE906ELNS1_3gpuE6ELNS1_3repE0EEENS1_30default_config_static_selectorELNS0_4arch9wavefront6targetE0EEEvSZ_
; %bb.0:
	.section	.rodata,"a",@progbits
	.p2align	6, 0x0
	.amdhsa_kernel _ZN7rocprim17ROCPRIM_400000_NS6detail17trampoline_kernelINS0_13select_configILj256ELj13ELNS0_17block_load_methodE3ELS4_3ELS4_3ELNS0_20block_scan_algorithmE0ELj4294967295EEENS1_25partition_config_selectorILNS1_17partition_subalgoE3EjNS0_10empty_typeEbEEZZNS1_14partition_implILS8_3ELb0ES6_jNS0_17counting_iteratorIjlEEPS9_SE_NS0_5tupleIJPjSE_EEENSF_IJSE_SE_EEES9_SG_JZNS1_25segmented_radix_sort_implINS0_14default_configELb1EPK6__halfPSL_PKlPlN2at6native12_GLOBAL__N_18offset_tEEE10hipError_tPvRmT1_PNSt15iterator_traitsISZ_E10value_typeET2_T3_PNS10_IS15_E10value_typeET4_jRbjT5_S1B_jjP12ihipStream_tbEUljE_EEESW_SX_SY_S15_S19_S1B_T6_T7_T9_mT8_S1D_bDpT10_ENKUlT_T0_E_clISt17integral_constantIbLb1EES1P_IbLb0EEEEDaS1L_S1M_EUlS1L_E_NS1_11comp_targetILNS1_3genE2ELNS1_11target_archE906ELNS1_3gpuE6ELNS1_3repE0EEENS1_30default_config_static_selectorELNS0_4arch9wavefront6targetE0EEEvSZ_
		.amdhsa_group_segment_fixed_size 0
		.amdhsa_private_segment_fixed_size 0
		.amdhsa_kernarg_size 144
		.amdhsa_user_sgpr_count 2
		.amdhsa_user_sgpr_dispatch_ptr 0
		.amdhsa_user_sgpr_queue_ptr 0
		.amdhsa_user_sgpr_kernarg_segment_ptr 1
		.amdhsa_user_sgpr_dispatch_id 0
		.amdhsa_user_sgpr_private_segment_size 0
		.amdhsa_wavefront_size32 1
		.amdhsa_uses_dynamic_stack 0
		.amdhsa_enable_private_segment 0
		.amdhsa_system_sgpr_workgroup_id_x 1
		.amdhsa_system_sgpr_workgroup_id_y 0
		.amdhsa_system_sgpr_workgroup_id_z 0
		.amdhsa_system_sgpr_workgroup_info 0
		.amdhsa_system_vgpr_workitem_id 0
		.amdhsa_next_free_vgpr 1
		.amdhsa_next_free_sgpr 1
		.amdhsa_reserve_vcc 0
		.amdhsa_float_round_mode_32 0
		.amdhsa_float_round_mode_16_64 0
		.amdhsa_float_denorm_mode_32 3
		.amdhsa_float_denorm_mode_16_64 3
		.amdhsa_fp16_overflow 0
		.amdhsa_workgroup_processor_mode 1
		.amdhsa_memory_ordered 1
		.amdhsa_forward_progress 1
		.amdhsa_inst_pref_size 0
		.amdhsa_round_robin_scheduling 0
		.amdhsa_exception_fp_ieee_invalid_op 0
		.amdhsa_exception_fp_denorm_src 0
		.amdhsa_exception_fp_ieee_div_zero 0
		.amdhsa_exception_fp_ieee_overflow 0
		.amdhsa_exception_fp_ieee_underflow 0
		.amdhsa_exception_fp_ieee_inexact 0
		.amdhsa_exception_int_div_zero 0
	.end_amdhsa_kernel
	.section	.text._ZN7rocprim17ROCPRIM_400000_NS6detail17trampoline_kernelINS0_13select_configILj256ELj13ELNS0_17block_load_methodE3ELS4_3ELS4_3ELNS0_20block_scan_algorithmE0ELj4294967295EEENS1_25partition_config_selectorILNS1_17partition_subalgoE3EjNS0_10empty_typeEbEEZZNS1_14partition_implILS8_3ELb0ES6_jNS0_17counting_iteratorIjlEEPS9_SE_NS0_5tupleIJPjSE_EEENSF_IJSE_SE_EEES9_SG_JZNS1_25segmented_radix_sort_implINS0_14default_configELb1EPK6__halfPSL_PKlPlN2at6native12_GLOBAL__N_18offset_tEEE10hipError_tPvRmT1_PNSt15iterator_traitsISZ_E10value_typeET2_T3_PNS10_IS15_E10value_typeET4_jRbjT5_S1B_jjP12ihipStream_tbEUljE_EEESW_SX_SY_S15_S19_S1B_T6_T7_T9_mT8_S1D_bDpT10_ENKUlT_T0_E_clISt17integral_constantIbLb1EES1P_IbLb0EEEEDaS1L_S1M_EUlS1L_E_NS1_11comp_targetILNS1_3genE2ELNS1_11target_archE906ELNS1_3gpuE6ELNS1_3repE0EEENS1_30default_config_static_selectorELNS0_4arch9wavefront6targetE0EEEvSZ_,"axG",@progbits,_ZN7rocprim17ROCPRIM_400000_NS6detail17trampoline_kernelINS0_13select_configILj256ELj13ELNS0_17block_load_methodE3ELS4_3ELS4_3ELNS0_20block_scan_algorithmE0ELj4294967295EEENS1_25partition_config_selectorILNS1_17partition_subalgoE3EjNS0_10empty_typeEbEEZZNS1_14partition_implILS8_3ELb0ES6_jNS0_17counting_iteratorIjlEEPS9_SE_NS0_5tupleIJPjSE_EEENSF_IJSE_SE_EEES9_SG_JZNS1_25segmented_radix_sort_implINS0_14default_configELb1EPK6__halfPSL_PKlPlN2at6native12_GLOBAL__N_18offset_tEEE10hipError_tPvRmT1_PNSt15iterator_traitsISZ_E10value_typeET2_T3_PNS10_IS15_E10value_typeET4_jRbjT5_S1B_jjP12ihipStream_tbEUljE_EEESW_SX_SY_S15_S19_S1B_T6_T7_T9_mT8_S1D_bDpT10_ENKUlT_T0_E_clISt17integral_constantIbLb1EES1P_IbLb0EEEEDaS1L_S1M_EUlS1L_E_NS1_11comp_targetILNS1_3genE2ELNS1_11target_archE906ELNS1_3gpuE6ELNS1_3repE0EEENS1_30default_config_static_selectorELNS0_4arch9wavefront6targetE0EEEvSZ_,comdat
.Lfunc_end1727:
	.size	_ZN7rocprim17ROCPRIM_400000_NS6detail17trampoline_kernelINS0_13select_configILj256ELj13ELNS0_17block_load_methodE3ELS4_3ELS4_3ELNS0_20block_scan_algorithmE0ELj4294967295EEENS1_25partition_config_selectorILNS1_17partition_subalgoE3EjNS0_10empty_typeEbEEZZNS1_14partition_implILS8_3ELb0ES6_jNS0_17counting_iteratorIjlEEPS9_SE_NS0_5tupleIJPjSE_EEENSF_IJSE_SE_EEES9_SG_JZNS1_25segmented_radix_sort_implINS0_14default_configELb1EPK6__halfPSL_PKlPlN2at6native12_GLOBAL__N_18offset_tEEE10hipError_tPvRmT1_PNSt15iterator_traitsISZ_E10value_typeET2_T3_PNS10_IS15_E10value_typeET4_jRbjT5_S1B_jjP12ihipStream_tbEUljE_EEESW_SX_SY_S15_S19_S1B_T6_T7_T9_mT8_S1D_bDpT10_ENKUlT_T0_E_clISt17integral_constantIbLb1EES1P_IbLb0EEEEDaS1L_S1M_EUlS1L_E_NS1_11comp_targetILNS1_3genE2ELNS1_11target_archE906ELNS1_3gpuE6ELNS1_3repE0EEENS1_30default_config_static_selectorELNS0_4arch9wavefront6targetE0EEEvSZ_, .Lfunc_end1727-_ZN7rocprim17ROCPRIM_400000_NS6detail17trampoline_kernelINS0_13select_configILj256ELj13ELNS0_17block_load_methodE3ELS4_3ELS4_3ELNS0_20block_scan_algorithmE0ELj4294967295EEENS1_25partition_config_selectorILNS1_17partition_subalgoE3EjNS0_10empty_typeEbEEZZNS1_14partition_implILS8_3ELb0ES6_jNS0_17counting_iteratorIjlEEPS9_SE_NS0_5tupleIJPjSE_EEENSF_IJSE_SE_EEES9_SG_JZNS1_25segmented_radix_sort_implINS0_14default_configELb1EPK6__halfPSL_PKlPlN2at6native12_GLOBAL__N_18offset_tEEE10hipError_tPvRmT1_PNSt15iterator_traitsISZ_E10value_typeET2_T3_PNS10_IS15_E10value_typeET4_jRbjT5_S1B_jjP12ihipStream_tbEUljE_EEESW_SX_SY_S15_S19_S1B_T6_T7_T9_mT8_S1D_bDpT10_ENKUlT_T0_E_clISt17integral_constantIbLb1EES1P_IbLb0EEEEDaS1L_S1M_EUlS1L_E_NS1_11comp_targetILNS1_3genE2ELNS1_11target_archE906ELNS1_3gpuE6ELNS1_3repE0EEENS1_30default_config_static_selectorELNS0_4arch9wavefront6targetE0EEEvSZ_
                                        ; -- End function
	.set _ZN7rocprim17ROCPRIM_400000_NS6detail17trampoline_kernelINS0_13select_configILj256ELj13ELNS0_17block_load_methodE3ELS4_3ELS4_3ELNS0_20block_scan_algorithmE0ELj4294967295EEENS1_25partition_config_selectorILNS1_17partition_subalgoE3EjNS0_10empty_typeEbEEZZNS1_14partition_implILS8_3ELb0ES6_jNS0_17counting_iteratorIjlEEPS9_SE_NS0_5tupleIJPjSE_EEENSF_IJSE_SE_EEES9_SG_JZNS1_25segmented_radix_sort_implINS0_14default_configELb1EPK6__halfPSL_PKlPlN2at6native12_GLOBAL__N_18offset_tEEE10hipError_tPvRmT1_PNSt15iterator_traitsISZ_E10value_typeET2_T3_PNS10_IS15_E10value_typeET4_jRbjT5_S1B_jjP12ihipStream_tbEUljE_EEESW_SX_SY_S15_S19_S1B_T6_T7_T9_mT8_S1D_bDpT10_ENKUlT_T0_E_clISt17integral_constantIbLb1EES1P_IbLb0EEEEDaS1L_S1M_EUlS1L_E_NS1_11comp_targetILNS1_3genE2ELNS1_11target_archE906ELNS1_3gpuE6ELNS1_3repE0EEENS1_30default_config_static_selectorELNS0_4arch9wavefront6targetE0EEEvSZ_.num_vgpr, 0
	.set _ZN7rocprim17ROCPRIM_400000_NS6detail17trampoline_kernelINS0_13select_configILj256ELj13ELNS0_17block_load_methodE3ELS4_3ELS4_3ELNS0_20block_scan_algorithmE0ELj4294967295EEENS1_25partition_config_selectorILNS1_17partition_subalgoE3EjNS0_10empty_typeEbEEZZNS1_14partition_implILS8_3ELb0ES6_jNS0_17counting_iteratorIjlEEPS9_SE_NS0_5tupleIJPjSE_EEENSF_IJSE_SE_EEES9_SG_JZNS1_25segmented_radix_sort_implINS0_14default_configELb1EPK6__halfPSL_PKlPlN2at6native12_GLOBAL__N_18offset_tEEE10hipError_tPvRmT1_PNSt15iterator_traitsISZ_E10value_typeET2_T3_PNS10_IS15_E10value_typeET4_jRbjT5_S1B_jjP12ihipStream_tbEUljE_EEESW_SX_SY_S15_S19_S1B_T6_T7_T9_mT8_S1D_bDpT10_ENKUlT_T0_E_clISt17integral_constantIbLb1EES1P_IbLb0EEEEDaS1L_S1M_EUlS1L_E_NS1_11comp_targetILNS1_3genE2ELNS1_11target_archE906ELNS1_3gpuE6ELNS1_3repE0EEENS1_30default_config_static_selectorELNS0_4arch9wavefront6targetE0EEEvSZ_.num_agpr, 0
	.set _ZN7rocprim17ROCPRIM_400000_NS6detail17trampoline_kernelINS0_13select_configILj256ELj13ELNS0_17block_load_methodE3ELS4_3ELS4_3ELNS0_20block_scan_algorithmE0ELj4294967295EEENS1_25partition_config_selectorILNS1_17partition_subalgoE3EjNS0_10empty_typeEbEEZZNS1_14partition_implILS8_3ELb0ES6_jNS0_17counting_iteratorIjlEEPS9_SE_NS0_5tupleIJPjSE_EEENSF_IJSE_SE_EEES9_SG_JZNS1_25segmented_radix_sort_implINS0_14default_configELb1EPK6__halfPSL_PKlPlN2at6native12_GLOBAL__N_18offset_tEEE10hipError_tPvRmT1_PNSt15iterator_traitsISZ_E10value_typeET2_T3_PNS10_IS15_E10value_typeET4_jRbjT5_S1B_jjP12ihipStream_tbEUljE_EEESW_SX_SY_S15_S19_S1B_T6_T7_T9_mT8_S1D_bDpT10_ENKUlT_T0_E_clISt17integral_constantIbLb1EES1P_IbLb0EEEEDaS1L_S1M_EUlS1L_E_NS1_11comp_targetILNS1_3genE2ELNS1_11target_archE906ELNS1_3gpuE6ELNS1_3repE0EEENS1_30default_config_static_selectorELNS0_4arch9wavefront6targetE0EEEvSZ_.numbered_sgpr, 0
	.set _ZN7rocprim17ROCPRIM_400000_NS6detail17trampoline_kernelINS0_13select_configILj256ELj13ELNS0_17block_load_methodE3ELS4_3ELS4_3ELNS0_20block_scan_algorithmE0ELj4294967295EEENS1_25partition_config_selectorILNS1_17partition_subalgoE3EjNS0_10empty_typeEbEEZZNS1_14partition_implILS8_3ELb0ES6_jNS0_17counting_iteratorIjlEEPS9_SE_NS0_5tupleIJPjSE_EEENSF_IJSE_SE_EEES9_SG_JZNS1_25segmented_radix_sort_implINS0_14default_configELb1EPK6__halfPSL_PKlPlN2at6native12_GLOBAL__N_18offset_tEEE10hipError_tPvRmT1_PNSt15iterator_traitsISZ_E10value_typeET2_T3_PNS10_IS15_E10value_typeET4_jRbjT5_S1B_jjP12ihipStream_tbEUljE_EEESW_SX_SY_S15_S19_S1B_T6_T7_T9_mT8_S1D_bDpT10_ENKUlT_T0_E_clISt17integral_constantIbLb1EES1P_IbLb0EEEEDaS1L_S1M_EUlS1L_E_NS1_11comp_targetILNS1_3genE2ELNS1_11target_archE906ELNS1_3gpuE6ELNS1_3repE0EEENS1_30default_config_static_selectorELNS0_4arch9wavefront6targetE0EEEvSZ_.num_named_barrier, 0
	.set _ZN7rocprim17ROCPRIM_400000_NS6detail17trampoline_kernelINS0_13select_configILj256ELj13ELNS0_17block_load_methodE3ELS4_3ELS4_3ELNS0_20block_scan_algorithmE0ELj4294967295EEENS1_25partition_config_selectorILNS1_17partition_subalgoE3EjNS0_10empty_typeEbEEZZNS1_14partition_implILS8_3ELb0ES6_jNS0_17counting_iteratorIjlEEPS9_SE_NS0_5tupleIJPjSE_EEENSF_IJSE_SE_EEES9_SG_JZNS1_25segmented_radix_sort_implINS0_14default_configELb1EPK6__halfPSL_PKlPlN2at6native12_GLOBAL__N_18offset_tEEE10hipError_tPvRmT1_PNSt15iterator_traitsISZ_E10value_typeET2_T3_PNS10_IS15_E10value_typeET4_jRbjT5_S1B_jjP12ihipStream_tbEUljE_EEESW_SX_SY_S15_S19_S1B_T6_T7_T9_mT8_S1D_bDpT10_ENKUlT_T0_E_clISt17integral_constantIbLb1EES1P_IbLb0EEEEDaS1L_S1M_EUlS1L_E_NS1_11comp_targetILNS1_3genE2ELNS1_11target_archE906ELNS1_3gpuE6ELNS1_3repE0EEENS1_30default_config_static_selectorELNS0_4arch9wavefront6targetE0EEEvSZ_.private_seg_size, 0
	.set _ZN7rocprim17ROCPRIM_400000_NS6detail17trampoline_kernelINS0_13select_configILj256ELj13ELNS0_17block_load_methodE3ELS4_3ELS4_3ELNS0_20block_scan_algorithmE0ELj4294967295EEENS1_25partition_config_selectorILNS1_17partition_subalgoE3EjNS0_10empty_typeEbEEZZNS1_14partition_implILS8_3ELb0ES6_jNS0_17counting_iteratorIjlEEPS9_SE_NS0_5tupleIJPjSE_EEENSF_IJSE_SE_EEES9_SG_JZNS1_25segmented_radix_sort_implINS0_14default_configELb1EPK6__halfPSL_PKlPlN2at6native12_GLOBAL__N_18offset_tEEE10hipError_tPvRmT1_PNSt15iterator_traitsISZ_E10value_typeET2_T3_PNS10_IS15_E10value_typeET4_jRbjT5_S1B_jjP12ihipStream_tbEUljE_EEESW_SX_SY_S15_S19_S1B_T6_T7_T9_mT8_S1D_bDpT10_ENKUlT_T0_E_clISt17integral_constantIbLb1EES1P_IbLb0EEEEDaS1L_S1M_EUlS1L_E_NS1_11comp_targetILNS1_3genE2ELNS1_11target_archE906ELNS1_3gpuE6ELNS1_3repE0EEENS1_30default_config_static_selectorELNS0_4arch9wavefront6targetE0EEEvSZ_.uses_vcc, 0
	.set _ZN7rocprim17ROCPRIM_400000_NS6detail17trampoline_kernelINS0_13select_configILj256ELj13ELNS0_17block_load_methodE3ELS4_3ELS4_3ELNS0_20block_scan_algorithmE0ELj4294967295EEENS1_25partition_config_selectorILNS1_17partition_subalgoE3EjNS0_10empty_typeEbEEZZNS1_14partition_implILS8_3ELb0ES6_jNS0_17counting_iteratorIjlEEPS9_SE_NS0_5tupleIJPjSE_EEENSF_IJSE_SE_EEES9_SG_JZNS1_25segmented_radix_sort_implINS0_14default_configELb1EPK6__halfPSL_PKlPlN2at6native12_GLOBAL__N_18offset_tEEE10hipError_tPvRmT1_PNSt15iterator_traitsISZ_E10value_typeET2_T3_PNS10_IS15_E10value_typeET4_jRbjT5_S1B_jjP12ihipStream_tbEUljE_EEESW_SX_SY_S15_S19_S1B_T6_T7_T9_mT8_S1D_bDpT10_ENKUlT_T0_E_clISt17integral_constantIbLb1EES1P_IbLb0EEEEDaS1L_S1M_EUlS1L_E_NS1_11comp_targetILNS1_3genE2ELNS1_11target_archE906ELNS1_3gpuE6ELNS1_3repE0EEENS1_30default_config_static_selectorELNS0_4arch9wavefront6targetE0EEEvSZ_.uses_flat_scratch, 0
	.set _ZN7rocprim17ROCPRIM_400000_NS6detail17trampoline_kernelINS0_13select_configILj256ELj13ELNS0_17block_load_methodE3ELS4_3ELS4_3ELNS0_20block_scan_algorithmE0ELj4294967295EEENS1_25partition_config_selectorILNS1_17partition_subalgoE3EjNS0_10empty_typeEbEEZZNS1_14partition_implILS8_3ELb0ES6_jNS0_17counting_iteratorIjlEEPS9_SE_NS0_5tupleIJPjSE_EEENSF_IJSE_SE_EEES9_SG_JZNS1_25segmented_radix_sort_implINS0_14default_configELb1EPK6__halfPSL_PKlPlN2at6native12_GLOBAL__N_18offset_tEEE10hipError_tPvRmT1_PNSt15iterator_traitsISZ_E10value_typeET2_T3_PNS10_IS15_E10value_typeET4_jRbjT5_S1B_jjP12ihipStream_tbEUljE_EEESW_SX_SY_S15_S19_S1B_T6_T7_T9_mT8_S1D_bDpT10_ENKUlT_T0_E_clISt17integral_constantIbLb1EES1P_IbLb0EEEEDaS1L_S1M_EUlS1L_E_NS1_11comp_targetILNS1_3genE2ELNS1_11target_archE906ELNS1_3gpuE6ELNS1_3repE0EEENS1_30default_config_static_selectorELNS0_4arch9wavefront6targetE0EEEvSZ_.has_dyn_sized_stack, 0
	.set _ZN7rocprim17ROCPRIM_400000_NS6detail17trampoline_kernelINS0_13select_configILj256ELj13ELNS0_17block_load_methodE3ELS4_3ELS4_3ELNS0_20block_scan_algorithmE0ELj4294967295EEENS1_25partition_config_selectorILNS1_17partition_subalgoE3EjNS0_10empty_typeEbEEZZNS1_14partition_implILS8_3ELb0ES6_jNS0_17counting_iteratorIjlEEPS9_SE_NS0_5tupleIJPjSE_EEENSF_IJSE_SE_EEES9_SG_JZNS1_25segmented_radix_sort_implINS0_14default_configELb1EPK6__halfPSL_PKlPlN2at6native12_GLOBAL__N_18offset_tEEE10hipError_tPvRmT1_PNSt15iterator_traitsISZ_E10value_typeET2_T3_PNS10_IS15_E10value_typeET4_jRbjT5_S1B_jjP12ihipStream_tbEUljE_EEESW_SX_SY_S15_S19_S1B_T6_T7_T9_mT8_S1D_bDpT10_ENKUlT_T0_E_clISt17integral_constantIbLb1EES1P_IbLb0EEEEDaS1L_S1M_EUlS1L_E_NS1_11comp_targetILNS1_3genE2ELNS1_11target_archE906ELNS1_3gpuE6ELNS1_3repE0EEENS1_30default_config_static_selectorELNS0_4arch9wavefront6targetE0EEEvSZ_.has_recursion, 0
	.set _ZN7rocprim17ROCPRIM_400000_NS6detail17trampoline_kernelINS0_13select_configILj256ELj13ELNS0_17block_load_methodE3ELS4_3ELS4_3ELNS0_20block_scan_algorithmE0ELj4294967295EEENS1_25partition_config_selectorILNS1_17partition_subalgoE3EjNS0_10empty_typeEbEEZZNS1_14partition_implILS8_3ELb0ES6_jNS0_17counting_iteratorIjlEEPS9_SE_NS0_5tupleIJPjSE_EEENSF_IJSE_SE_EEES9_SG_JZNS1_25segmented_radix_sort_implINS0_14default_configELb1EPK6__halfPSL_PKlPlN2at6native12_GLOBAL__N_18offset_tEEE10hipError_tPvRmT1_PNSt15iterator_traitsISZ_E10value_typeET2_T3_PNS10_IS15_E10value_typeET4_jRbjT5_S1B_jjP12ihipStream_tbEUljE_EEESW_SX_SY_S15_S19_S1B_T6_T7_T9_mT8_S1D_bDpT10_ENKUlT_T0_E_clISt17integral_constantIbLb1EES1P_IbLb0EEEEDaS1L_S1M_EUlS1L_E_NS1_11comp_targetILNS1_3genE2ELNS1_11target_archE906ELNS1_3gpuE6ELNS1_3repE0EEENS1_30default_config_static_selectorELNS0_4arch9wavefront6targetE0EEEvSZ_.has_indirect_call, 0
	.section	.AMDGPU.csdata,"",@progbits
; Kernel info:
; codeLenInByte = 0
; TotalNumSgprs: 0
; NumVgprs: 0
; ScratchSize: 0
; MemoryBound: 0
; FloatMode: 240
; IeeeMode: 1
; LDSByteSize: 0 bytes/workgroup (compile time only)
; SGPRBlocks: 0
; VGPRBlocks: 0
; NumSGPRsForWavesPerEU: 1
; NumVGPRsForWavesPerEU: 1
; Occupancy: 16
; WaveLimiterHint : 0
; COMPUTE_PGM_RSRC2:SCRATCH_EN: 0
; COMPUTE_PGM_RSRC2:USER_SGPR: 2
; COMPUTE_PGM_RSRC2:TRAP_HANDLER: 0
; COMPUTE_PGM_RSRC2:TGID_X_EN: 1
; COMPUTE_PGM_RSRC2:TGID_Y_EN: 0
; COMPUTE_PGM_RSRC2:TGID_Z_EN: 0
; COMPUTE_PGM_RSRC2:TIDIG_COMP_CNT: 0
	.section	.text._ZN7rocprim17ROCPRIM_400000_NS6detail17trampoline_kernelINS0_13select_configILj256ELj13ELNS0_17block_load_methodE3ELS4_3ELS4_3ELNS0_20block_scan_algorithmE0ELj4294967295EEENS1_25partition_config_selectorILNS1_17partition_subalgoE3EjNS0_10empty_typeEbEEZZNS1_14partition_implILS8_3ELb0ES6_jNS0_17counting_iteratorIjlEEPS9_SE_NS0_5tupleIJPjSE_EEENSF_IJSE_SE_EEES9_SG_JZNS1_25segmented_radix_sort_implINS0_14default_configELb1EPK6__halfPSL_PKlPlN2at6native12_GLOBAL__N_18offset_tEEE10hipError_tPvRmT1_PNSt15iterator_traitsISZ_E10value_typeET2_T3_PNS10_IS15_E10value_typeET4_jRbjT5_S1B_jjP12ihipStream_tbEUljE_EEESW_SX_SY_S15_S19_S1B_T6_T7_T9_mT8_S1D_bDpT10_ENKUlT_T0_E_clISt17integral_constantIbLb1EES1P_IbLb0EEEEDaS1L_S1M_EUlS1L_E_NS1_11comp_targetILNS1_3genE10ELNS1_11target_archE1200ELNS1_3gpuE4ELNS1_3repE0EEENS1_30default_config_static_selectorELNS0_4arch9wavefront6targetE0EEEvSZ_,"axG",@progbits,_ZN7rocprim17ROCPRIM_400000_NS6detail17trampoline_kernelINS0_13select_configILj256ELj13ELNS0_17block_load_methodE3ELS4_3ELS4_3ELNS0_20block_scan_algorithmE0ELj4294967295EEENS1_25partition_config_selectorILNS1_17partition_subalgoE3EjNS0_10empty_typeEbEEZZNS1_14partition_implILS8_3ELb0ES6_jNS0_17counting_iteratorIjlEEPS9_SE_NS0_5tupleIJPjSE_EEENSF_IJSE_SE_EEES9_SG_JZNS1_25segmented_radix_sort_implINS0_14default_configELb1EPK6__halfPSL_PKlPlN2at6native12_GLOBAL__N_18offset_tEEE10hipError_tPvRmT1_PNSt15iterator_traitsISZ_E10value_typeET2_T3_PNS10_IS15_E10value_typeET4_jRbjT5_S1B_jjP12ihipStream_tbEUljE_EEESW_SX_SY_S15_S19_S1B_T6_T7_T9_mT8_S1D_bDpT10_ENKUlT_T0_E_clISt17integral_constantIbLb1EES1P_IbLb0EEEEDaS1L_S1M_EUlS1L_E_NS1_11comp_targetILNS1_3genE10ELNS1_11target_archE1200ELNS1_3gpuE4ELNS1_3repE0EEENS1_30default_config_static_selectorELNS0_4arch9wavefront6targetE0EEEvSZ_,comdat
	.globl	_ZN7rocprim17ROCPRIM_400000_NS6detail17trampoline_kernelINS0_13select_configILj256ELj13ELNS0_17block_load_methodE3ELS4_3ELS4_3ELNS0_20block_scan_algorithmE0ELj4294967295EEENS1_25partition_config_selectorILNS1_17partition_subalgoE3EjNS0_10empty_typeEbEEZZNS1_14partition_implILS8_3ELb0ES6_jNS0_17counting_iteratorIjlEEPS9_SE_NS0_5tupleIJPjSE_EEENSF_IJSE_SE_EEES9_SG_JZNS1_25segmented_radix_sort_implINS0_14default_configELb1EPK6__halfPSL_PKlPlN2at6native12_GLOBAL__N_18offset_tEEE10hipError_tPvRmT1_PNSt15iterator_traitsISZ_E10value_typeET2_T3_PNS10_IS15_E10value_typeET4_jRbjT5_S1B_jjP12ihipStream_tbEUljE_EEESW_SX_SY_S15_S19_S1B_T6_T7_T9_mT8_S1D_bDpT10_ENKUlT_T0_E_clISt17integral_constantIbLb1EES1P_IbLb0EEEEDaS1L_S1M_EUlS1L_E_NS1_11comp_targetILNS1_3genE10ELNS1_11target_archE1200ELNS1_3gpuE4ELNS1_3repE0EEENS1_30default_config_static_selectorELNS0_4arch9wavefront6targetE0EEEvSZ_ ; -- Begin function _ZN7rocprim17ROCPRIM_400000_NS6detail17trampoline_kernelINS0_13select_configILj256ELj13ELNS0_17block_load_methodE3ELS4_3ELS4_3ELNS0_20block_scan_algorithmE0ELj4294967295EEENS1_25partition_config_selectorILNS1_17partition_subalgoE3EjNS0_10empty_typeEbEEZZNS1_14partition_implILS8_3ELb0ES6_jNS0_17counting_iteratorIjlEEPS9_SE_NS0_5tupleIJPjSE_EEENSF_IJSE_SE_EEES9_SG_JZNS1_25segmented_radix_sort_implINS0_14default_configELb1EPK6__halfPSL_PKlPlN2at6native12_GLOBAL__N_18offset_tEEE10hipError_tPvRmT1_PNSt15iterator_traitsISZ_E10value_typeET2_T3_PNS10_IS15_E10value_typeET4_jRbjT5_S1B_jjP12ihipStream_tbEUljE_EEESW_SX_SY_S15_S19_S1B_T6_T7_T9_mT8_S1D_bDpT10_ENKUlT_T0_E_clISt17integral_constantIbLb1EES1P_IbLb0EEEEDaS1L_S1M_EUlS1L_E_NS1_11comp_targetILNS1_3genE10ELNS1_11target_archE1200ELNS1_3gpuE4ELNS1_3repE0EEENS1_30default_config_static_selectorELNS0_4arch9wavefront6targetE0EEEvSZ_
	.p2align	8
	.type	_ZN7rocprim17ROCPRIM_400000_NS6detail17trampoline_kernelINS0_13select_configILj256ELj13ELNS0_17block_load_methodE3ELS4_3ELS4_3ELNS0_20block_scan_algorithmE0ELj4294967295EEENS1_25partition_config_selectorILNS1_17partition_subalgoE3EjNS0_10empty_typeEbEEZZNS1_14partition_implILS8_3ELb0ES6_jNS0_17counting_iteratorIjlEEPS9_SE_NS0_5tupleIJPjSE_EEENSF_IJSE_SE_EEES9_SG_JZNS1_25segmented_radix_sort_implINS0_14default_configELb1EPK6__halfPSL_PKlPlN2at6native12_GLOBAL__N_18offset_tEEE10hipError_tPvRmT1_PNSt15iterator_traitsISZ_E10value_typeET2_T3_PNS10_IS15_E10value_typeET4_jRbjT5_S1B_jjP12ihipStream_tbEUljE_EEESW_SX_SY_S15_S19_S1B_T6_T7_T9_mT8_S1D_bDpT10_ENKUlT_T0_E_clISt17integral_constantIbLb1EES1P_IbLb0EEEEDaS1L_S1M_EUlS1L_E_NS1_11comp_targetILNS1_3genE10ELNS1_11target_archE1200ELNS1_3gpuE4ELNS1_3repE0EEENS1_30default_config_static_selectorELNS0_4arch9wavefront6targetE0EEEvSZ_,@function
_ZN7rocprim17ROCPRIM_400000_NS6detail17trampoline_kernelINS0_13select_configILj256ELj13ELNS0_17block_load_methodE3ELS4_3ELS4_3ELNS0_20block_scan_algorithmE0ELj4294967295EEENS1_25partition_config_selectorILNS1_17partition_subalgoE3EjNS0_10empty_typeEbEEZZNS1_14partition_implILS8_3ELb0ES6_jNS0_17counting_iteratorIjlEEPS9_SE_NS0_5tupleIJPjSE_EEENSF_IJSE_SE_EEES9_SG_JZNS1_25segmented_radix_sort_implINS0_14default_configELb1EPK6__halfPSL_PKlPlN2at6native12_GLOBAL__N_18offset_tEEE10hipError_tPvRmT1_PNSt15iterator_traitsISZ_E10value_typeET2_T3_PNS10_IS15_E10value_typeET4_jRbjT5_S1B_jjP12ihipStream_tbEUljE_EEESW_SX_SY_S15_S19_S1B_T6_T7_T9_mT8_S1D_bDpT10_ENKUlT_T0_E_clISt17integral_constantIbLb1EES1P_IbLb0EEEEDaS1L_S1M_EUlS1L_E_NS1_11comp_targetILNS1_3genE10ELNS1_11target_archE1200ELNS1_3gpuE4ELNS1_3repE0EEENS1_30default_config_static_selectorELNS0_4arch9wavefront6targetE0EEEvSZ_: ; @_ZN7rocprim17ROCPRIM_400000_NS6detail17trampoline_kernelINS0_13select_configILj256ELj13ELNS0_17block_load_methodE3ELS4_3ELS4_3ELNS0_20block_scan_algorithmE0ELj4294967295EEENS1_25partition_config_selectorILNS1_17partition_subalgoE3EjNS0_10empty_typeEbEEZZNS1_14partition_implILS8_3ELb0ES6_jNS0_17counting_iteratorIjlEEPS9_SE_NS0_5tupleIJPjSE_EEENSF_IJSE_SE_EEES9_SG_JZNS1_25segmented_radix_sort_implINS0_14default_configELb1EPK6__halfPSL_PKlPlN2at6native12_GLOBAL__N_18offset_tEEE10hipError_tPvRmT1_PNSt15iterator_traitsISZ_E10value_typeET2_T3_PNS10_IS15_E10value_typeET4_jRbjT5_S1B_jjP12ihipStream_tbEUljE_EEESW_SX_SY_S15_S19_S1B_T6_T7_T9_mT8_S1D_bDpT10_ENKUlT_T0_E_clISt17integral_constantIbLb1EES1P_IbLb0EEEEDaS1L_S1M_EUlS1L_E_NS1_11comp_targetILNS1_3genE10ELNS1_11target_archE1200ELNS1_3gpuE4ELNS1_3repE0EEENS1_30default_config_static_selectorELNS0_4arch9wavefront6targetE0EEEvSZ_
; %bb.0:
	s_endpgm
	.section	.rodata,"a",@progbits
	.p2align	6, 0x0
	.amdhsa_kernel _ZN7rocprim17ROCPRIM_400000_NS6detail17trampoline_kernelINS0_13select_configILj256ELj13ELNS0_17block_load_methodE3ELS4_3ELS4_3ELNS0_20block_scan_algorithmE0ELj4294967295EEENS1_25partition_config_selectorILNS1_17partition_subalgoE3EjNS0_10empty_typeEbEEZZNS1_14partition_implILS8_3ELb0ES6_jNS0_17counting_iteratorIjlEEPS9_SE_NS0_5tupleIJPjSE_EEENSF_IJSE_SE_EEES9_SG_JZNS1_25segmented_radix_sort_implINS0_14default_configELb1EPK6__halfPSL_PKlPlN2at6native12_GLOBAL__N_18offset_tEEE10hipError_tPvRmT1_PNSt15iterator_traitsISZ_E10value_typeET2_T3_PNS10_IS15_E10value_typeET4_jRbjT5_S1B_jjP12ihipStream_tbEUljE_EEESW_SX_SY_S15_S19_S1B_T6_T7_T9_mT8_S1D_bDpT10_ENKUlT_T0_E_clISt17integral_constantIbLb1EES1P_IbLb0EEEEDaS1L_S1M_EUlS1L_E_NS1_11comp_targetILNS1_3genE10ELNS1_11target_archE1200ELNS1_3gpuE4ELNS1_3repE0EEENS1_30default_config_static_selectorELNS0_4arch9wavefront6targetE0EEEvSZ_
		.amdhsa_group_segment_fixed_size 0
		.amdhsa_private_segment_fixed_size 0
		.amdhsa_kernarg_size 144
		.amdhsa_user_sgpr_count 2
		.amdhsa_user_sgpr_dispatch_ptr 0
		.amdhsa_user_sgpr_queue_ptr 0
		.amdhsa_user_sgpr_kernarg_segment_ptr 1
		.amdhsa_user_sgpr_dispatch_id 0
		.amdhsa_user_sgpr_private_segment_size 0
		.amdhsa_wavefront_size32 1
		.amdhsa_uses_dynamic_stack 0
		.amdhsa_enable_private_segment 0
		.amdhsa_system_sgpr_workgroup_id_x 1
		.amdhsa_system_sgpr_workgroup_id_y 0
		.amdhsa_system_sgpr_workgroup_id_z 0
		.amdhsa_system_sgpr_workgroup_info 0
		.amdhsa_system_vgpr_workitem_id 0
		.amdhsa_next_free_vgpr 1
		.amdhsa_next_free_sgpr 1
		.amdhsa_reserve_vcc 0
		.amdhsa_float_round_mode_32 0
		.amdhsa_float_round_mode_16_64 0
		.amdhsa_float_denorm_mode_32 3
		.amdhsa_float_denorm_mode_16_64 3
		.amdhsa_fp16_overflow 0
		.amdhsa_workgroup_processor_mode 1
		.amdhsa_memory_ordered 1
		.amdhsa_forward_progress 1
		.amdhsa_inst_pref_size 1
		.amdhsa_round_robin_scheduling 0
		.amdhsa_exception_fp_ieee_invalid_op 0
		.amdhsa_exception_fp_denorm_src 0
		.amdhsa_exception_fp_ieee_div_zero 0
		.amdhsa_exception_fp_ieee_overflow 0
		.amdhsa_exception_fp_ieee_underflow 0
		.amdhsa_exception_fp_ieee_inexact 0
		.amdhsa_exception_int_div_zero 0
	.end_amdhsa_kernel
	.section	.text._ZN7rocprim17ROCPRIM_400000_NS6detail17trampoline_kernelINS0_13select_configILj256ELj13ELNS0_17block_load_methodE3ELS4_3ELS4_3ELNS0_20block_scan_algorithmE0ELj4294967295EEENS1_25partition_config_selectorILNS1_17partition_subalgoE3EjNS0_10empty_typeEbEEZZNS1_14partition_implILS8_3ELb0ES6_jNS0_17counting_iteratorIjlEEPS9_SE_NS0_5tupleIJPjSE_EEENSF_IJSE_SE_EEES9_SG_JZNS1_25segmented_radix_sort_implINS0_14default_configELb1EPK6__halfPSL_PKlPlN2at6native12_GLOBAL__N_18offset_tEEE10hipError_tPvRmT1_PNSt15iterator_traitsISZ_E10value_typeET2_T3_PNS10_IS15_E10value_typeET4_jRbjT5_S1B_jjP12ihipStream_tbEUljE_EEESW_SX_SY_S15_S19_S1B_T6_T7_T9_mT8_S1D_bDpT10_ENKUlT_T0_E_clISt17integral_constantIbLb1EES1P_IbLb0EEEEDaS1L_S1M_EUlS1L_E_NS1_11comp_targetILNS1_3genE10ELNS1_11target_archE1200ELNS1_3gpuE4ELNS1_3repE0EEENS1_30default_config_static_selectorELNS0_4arch9wavefront6targetE0EEEvSZ_,"axG",@progbits,_ZN7rocprim17ROCPRIM_400000_NS6detail17trampoline_kernelINS0_13select_configILj256ELj13ELNS0_17block_load_methodE3ELS4_3ELS4_3ELNS0_20block_scan_algorithmE0ELj4294967295EEENS1_25partition_config_selectorILNS1_17partition_subalgoE3EjNS0_10empty_typeEbEEZZNS1_14partition_implILS8_3ELb0ES6_jNS0_17counting_iteratorIjlEEPS9_SE_NS0_5tupleIJPjSE_EEENSF_IJSE_SE_EEES9_SG_JZNS1_25segmented_radix_sort_implINS0_14default_configELb1EPK6__halfPSL_PKlPlN2at6native12_GLOBAL__N_18offset_tEEE10hipError_tPvRmT1_PNSt15iterator_traitsISZ_E10value_typeET2_T3_PNS10_IS15_E10value_typeET4_jRbjT5_S1B_jjP12ihipStream_tbEUljE_EEESW_SX_SY_S15_S19_S1B_T6_T7_T9_mT8_S1D_bDpT10_ENKUlT_T0_E_clISt17integral_constantIbLb1EES1P_IbLb0EEEEDaS1L_S1M_EUlS1L_E_NS1_11comp_targetILNS1_3genE10ELNS1_11target_archE1200ELNS1_3gpuE4ELNS1_3repE0EEENS1_30default_config_static_selectorELNS0_4arch9wavefront6targetE0EEEvSZ_,comdat
.Lfunc_end1728:
	.size	_ZN7rocprim17ROCPRIM_400000_NS6detail17trampoline_kernelINS0_13select_configILj256ELj13ELNS0_17block_load_methodE3ELS4_3ELS4_3ELNS0_20block_scan_algorithmE0ELj4294967295EEENS1_25partition_config_selectorILNS1_17partition_subalgoE3EjNS0_10empty_typeEbEEZZNS1_14partition_implILS8_3ELb0ES6_jNS0_17counting_iteratorIjlEEPS9_SE_NS0_5tupleIJPjSE_EEENSF_IJSE_SE_EEES9_SG_JZNS1_25segmented_radix_sort_implINS0_14default_configELb1EPK6__halfPSL_PKlPlN2at6native12_GLOBAL__N_18offset_tEEE10hipError_tPvRmT1_PNSt15iterator_traitsISZ_E10value_typeET2_T3_PNS10_IS15_E10value_typeET4_jRbjT5_S1B_jjP12ihipStream_tbEUljE_EEESW_SX_SY_S15_S19_S1B_T6_T7_T9_mT8_S1D_bDpT10_ENKUlT_T0_E_clISt17integral_constantIbLb1EES1P_IbLb0EEEEDaS1L_S1M_EUlS1L_E_NS1_11comp_targetILNS1_3genE10ELNS1_11target_archE1200ELNS1_3gpuE4ELNS1_3repE0EEENS1_30default_config_static_selectorELNS0_4arch9wavefront6targetE0EEEvSZ_, .Lfunc_end1728-_ZN7rocprim17ROCPRIM_400000_NS6detail17trampoline_kernelINS0_13select_configILj256ELj13ELNS0_17block_load_methodE3ELS4_3ELS4_3ELNS0_20block_scan_algorithmE0ELj4294967295EEENS1_25partition_config_selectorILNS1_17partition_subalgoE3EjNS0_10empty_typeEbEEZZNS1_14partition_implILS8_3ELb0ES6_jNS0_17counting_iteratorIjlEEPS9_SE_NS0_5tupleIJPjSE_EEENSF_IJSE_SE_EEES9_SG_JZNS1_25segmented_radix_sort_implINS0_14default_configELb1EPK6__halfPSL_PKlPlN2at6native12_GLOBAL__N_18offset_tEEE10hipError_tPvRmT1_PNSt15iterator_traitsISZ_E10value_typeET2_T3_PNS10_IS15_E10value_typeET4_jRbjT5_S1B_jjP12ihipStream_tbEUljE_EEESW_SX_SY_S15_S19_S1B_T6_T7_T9_mT8_S1D_bDpT10_ENKUlT_T0_E_clISt17integral_constantIbLb1EES1P_IbLb0EEEEDaS1L_S1M_EUlS1L_E_NS1_11comp_targetILNS1_3genE10ELNS1_11target_archE1200ELNS1_3gpuE4ELNS1_3repE0EEENS1_30default_config_static_selectorELNS0_4arch9wavefront6targetE0EEEvSZ_
                                        ; -- End function
	.set _ZN7rocprim17ROCPRIM_400000_NS6detail17trampoline_kernelINS0_13select_configILj256ELj13ELNS0_17block_load_methodE3ELS4_3ELS4_3ELNS0_20block_scan_algorithmE0ELj4294967295EEENS1_25partition_config_selectorILNS1_17partition_subalgoE3EjNS0_10empty_typeEbEEZZNS1_14partition_implILS8_3ELb0ES6_jNS0_17counting_iteratorIjlEEPS9_SE_NS0_5tupleIJPjSE_EEENSF_IJSE_SE_EEES9_SG_JZNS1_25segmented_radix_sort_implINS0_14default_configELb1EPK6__halfPSL_PKlPlN2at6native12_GLOBAL__N_18offset_tEEE10hipError_tPvRmT1_PNSt15iterator_traitsISZ_E10value_typeET2_T3_PNS10_IS15_E10value_typeET4_jRbjT5_S1B_jjP12ihipStream_tbEUljE_EEESW_SX_SY_S15_S19_S1B_T6_T7_T9_mT8_S1D_bDpT10_ENKUlT_T0_E_clISt17integral_constantIbLb1EES1P_IbLb0EEEEDaS1L_S1M_EUlS1L_E_NS1_11comp_targetILNS1_3genE10ELNS1_11target_archE1200ELNS1_3gpuE4ELNS1_3repE0EEENS1_30default_config_static_selectorELNS0_4arch9wavefront6targetE0EEEvSZ_.num_vgpr, 0
	.set _ZN7rocprim17ROCPRIM_400000_NS6detail17trampoline_kernelINS0_13select_configILj256ELj13ELNS0_17block_load_methodE3ELS4_3ELS4_3ELNS0_20block_scan_algorithmE0ELj4294967295EEENS1_25partition_config_selectorILNS1_17partition_subalgoE3EjNS0_10empty_typeEbEEZZNS1_14partition_implILS8_3ELb0ES6_jNS0_17counting_iteratorIjlEEPS9_SE_NS0_5tupleIJPjSE_EEENSF_IJSE_SE_EEES9_SG_JZNS1_25segmented_radix_sort_implINS0_14default_configELb1EPK6__halfPSL_PKlPlN2at6native12_GLOBAL__N_18offset_tEEE10hipError_tPvRmT1_PNSt15iterator_traitsISZ_E10value_typeET2_T3_PNS10_IS15_E10value_typeET4_jRbjT5_S1B_jjP12ihipStream_tbEUljE_EEESW_SX_SY_S15_S19_S1B_T6_T7_T9_mT8_S1D_bDpT10_ENKUlT_T0_E_clISt17integral_constantIbLb1EES1P_IbLb0EEEEDaS1L_S1M_EUlS1L_E_NS1_11comp_targetILNS1_3genE10ELNS1_11target_archE1200ELNS1_3gpuE4ELNS1_3repE0EEENS1_30default_config_static_selectorELNS0_4arch9wavefront6targetE0EEEvSZ_.num_agpr, 0
	.set _ZN7rocprim17ROCPRIM_400000_NS6detail17trampoline_kernelINS0_13select_configILj256ELj13ELNS0_17block_load_methodE3ELS4_3ELS4_3ELNS0_20block_scan_algorithmE0ELj4294967295EEENS1_25partition_config_selectorILNS1_17partition_subalgoE3EjNS0_10empty_typeEbEEZZNS1_14partition_implILS8_3ELb0ES6_jNS0_17counting_iteratorIjlEEPS9_SE_NS0_5tupleIJPjSE_EEENSF_IJSE_SE_EEES9_SG_JZNS1_25segmented_radix_sort_implINS0_14default_configELb1EPK6__halfPSL_PKlPlN2at6native12_GLOBAL__N_18offset_tEEE10hipError_tPvRmT1_PNSt15iterator_traitsISZ_E10value_typeET2_T3_PNS10_IS15_E10value_typeET4_jRbjT5_S1B_jjP12ihipStream_tbEUljE_EEESW_SX_SY_S15_S19_S1B_T6_T7_T9_mT8_S1D_bDpT10_ENKUlT_T0_E_clISt17integral_constantIbLb1EES1P_IbLb0EEEEDaS1L_S1M_EUlS1L_E_NS1_11comp_targetILNS1_3genE10ELNS1_11target_archE1200ELNS1_3gpuE4ELNS1_3repE0EEENS1_30default_config_static_selectorELNS0_4arch9wavefront6targetE0EEEvSZ_.numbered_sgpr, 0
	.set _ZN7rocprim17ROCPRIM_400000_NS6detail17trampoline_kernelINS0_13select_configILj256ELj13ELNS0_17block_load_methodE3ELS4_3ELS4_3ELNS0_20block_scan_algorithmE0ELj4294967295EEENS1_25partition_config_selectorILNS1_17partition_subalgoE3EjNS0_10empty_typeEbEEZZNS1_14partition_implILS8_3ELb0ES6_jNS0_17counting_iteratorIjlEEPS9_SE_NS0_5tupleIJPjSE_EEENSF_IJSE_SE_EEES9_SG_JZNS1_25segmented_radix_sort_implINS0_14default_configELb1EPK6__halfPSL_PKlPlN2at6native12_GLOBAL__N_18offset_tEEE10hipError_tPvRmT1_PNSt15iterator_traitsISZ_E10value_typeET2_T3_PNS10_IS15_E10value_typeET4_jRbjT5_S1B_jjP12ihipStream_tbEUljE_EEESW_SX_SY_S15_S19_S1B_T6_T7_T9_mT8_S1D_bDpT10_ENKUlT_T0_E_clISt17integral_constantIbLb1EES1P_IbLb0EEEEDaS1L_S1M_EUlS1L_E_NS1_11comp_targetILNS1_3genE10ELNS1_11target_archE1200ELNS1_3gpuE4ELNS1_3repE0EEENS1_30default_config_static_selectorELNS0_4arch9wavefront6targetE0EEEvSZ_.num_named_barrier, 0
	.set _ZN7rocprim17ROCPRIM_400000_NS6detail17trampoline_kernelINS0_13select_configILj256ELj13ELNS0_17block_load_methodE3ELS4_3ELS4_3ELNS0_20block_scan_algorithmE0ELj4294967295EEENS1_25partition_config_selectorILNS1_17partition_subalgoE3EjNS0_10empty_typeEbEEZZNS1_14partition_implILS8_3ELb0ES6_jNS0_17counting_iteratorIjlEEPS9_SE_NS0_5tupleIJPjSE_EEENSF_IJSE_SE_EEES9_SG_JZNS1_25segmented_radix_sort_implINS0_14default_configELb1EPK6__halfPSL_PKlPlN2at6native12_GLOBAL__N_18offset_tEEE10hipError_tPvRmT1_PNSt15iterator_traitsISZ_E10value_typeET2_T3_PNS10_IS15_E10value_typeET4_jRbjT5_S1B_jjP12ihipStream_tbEUljE_EEESW_SX_SY_S15_S19_S1B_T6_T7_T9_mT8_S1D_bDpT10_ENKUlT_T0_E_clISt17integral_constantIbLb1EES1P_IbLb0EEEEDaS1L_S1M_EUlS1L_E_NS1_11comp_targetILNS1_3genE10ELNS1_11target_archE1200ELNS1_3gpuE4ELNS1_3repE0EEENS1_30default_config_static_selectorELNS0_4arch9wavefront6targetE0EEEvSZ_.private_seg_size, 0
	.set _ZN7rocprim17ROCPRIM_400000_NS6detail17trampoline_kernelINS0_13select_configILj256ELj13ELNS0_17block_load_methodE3ELS4_3ELS4_3ELNS0_20block_scan_algorithmE0ELj4294967295EEENS1_25partition_config_selectorILNS1_17partition_subalgoE3EjNS0_10empty_typeEbEEZZNS1_14partition_implILS8_3ELb0ES6_jNS0_17counting_iteratorIjlEEPS9_SE_NS0_5tupleIJPjSE_EEENSF_IJSE_SE_EEES9_SG_JZNS1_25segmented_radix_sort_implINS0_14default_configELb1EPK6__halfPSL_PKlPlN2at6native12_GLOBAL__N_18offset_tEEE10hipError_tPvRmT1_PNSt15iterator_traitsISZ_E10value_typeET2_T3_PNS10_IS15_E10value_typeET4_jRbjT5_S1B_jjP12ihipStream_tbEUljE_EEESW_SX_SY_S15_S19_S1B_T6_T7_T9_mT8_S1D_bDpT10_ENKUlT_T0_E_clISt17integral_constantIbLb1EES1P_IbLb0EEEEDaS1L_S1M_EUlS1L_E_NS1_11comp_targetILNS1_3genE10ELNS1_11target_archE1200ELNS1_3gpuE4ELNS1_3repE0EEENS1_30default_config_static_selectorELNS0_4arch9wavefront6targetE0EEEvSZ_.uses_vcc, 0
	.set _ZN7rocprim17ROCPRIM_400000_NS6detail17trampoline_kernelINS0_13select_configILj256ELj13ELNS0_17block_load_methodE3ELS4_3ELS4_3ELNS0_20block_scan_algorithmE0ELj4294967295EEENS1_25partition_config_selectorILNS1_17partition_subalgoE3EjNS0_10empty_typeEbEEZZNS1_14partition_implILS8_3ELb0ES6_jNS0_17counting_iteratorIjlEEPS9_SE_NS0_5tupleIJPjSE_EEENSF_IJSE_SE_EEES9_SG_JZNS1_25segmented_radix_sort_implINS0_14default_configELb1EPK6__halfPSL_PKlPlN2at6native12_GLOBAL__N_18offset_tEEE10hipError_tPvRmT1_PNSt15iterator_traitsISZ_E10value_typeET2_T3_PNS10_IS15_E10value_typeET4_jRbjT5_S1B_jjP12ihipStream_tbEUljE_EEESW_SX_SY_S15_S19_S1B_T6_T7_T9_mT8_S1D_bDpT10_ENKUlT_T0_E_clISt17integral_constantIbLb1EES1P_IbLb0EEEEDaS1L_S1M_EUlS1L_E_NS1_11comp_targetILNS1_3genE10ELNS1_11target_archE1200ELNS1_3gpuE4ELNS1_3repE0EEENS1_30default_config_static_selectorELNS0_4arch9wavefront6targetE0EEEvSZ_.uses_flat_scratch, 0
	.set _ZN7rocprim17ROCPRIM_400000_NS6detail17trampoline_kernelINS0_13select_configILj256ELj13ELNS0_17block_load_methodE3ELS4_3ELS4_3ELNS0_20block_scan_algorithmE0ELj4294967295EEENS1_25partition_config_selectorILNS1_17partition_subalgoE3EjNS0_10empty_typeEbEEZZNS1_14partition_implILS8_3ELb0ES6_jNS0_17counting_iteratorIjlEEPS9_SE_NS0_5tupleIJPjSE_EEENSF_IJSE_SE_EEES9_SG_JZNS1_25segmented_radix_sort_implINS0_14default_configELb1EPK6__halfPSL_PKlPlN2at6native12_GLOBAL__N_18offset_tEEE10hipError_tPvRmT1_PNSt15iterator_traitsISZ_E10value_typeET2_T3_PNS10_IS15_E10value_typeET4_jRbjT5_S1B_jjP12ihipStream_tbEUljE_EEESW_SX_SY_S15_S19_S1B_T6_T7_T9_mT8_S1D_bDpT10_ENKUlT_T0_E_clISt17integral_constantIbLb1EES1P_IbLb0EEEEDaS1L_S1M_EUlS1L_E_NS1_11comp_targetILNS1_3genE10ELNS1_11target_archE1200ELNS1_3gpuE4ELNS1_3repE0EEENS1_30default_config_static_selectorELNS0_4arch9wavefront6targetE0EEEvSZ_.has_dyn_sized_stack, 0
	.set _ZN7rocprim17ROCPRIM_400000_NS6detail17trampoline_kernelINS0_13select_configILj256ELj13ELNS0_17block_load_methodE3ELS4_3ELS4_3ELNS0_20block_scan_algorithmE0ELj4294967295EEENS1_25partition_config_selectorILNS1_17partition_subalgoE3EjNS0_10empty_typeEbEEZZNS1_14partition_implILS8_3ELb0ES6_jNS0_17counting_iteratorIjlEEPS9_SE_NS0_5tupleIJPjSE_EEENSF_IJSE_SE_EEES9_SG_JZNS1_25segmented_radix_sort_implINS0_14default_configELb1EPK6__halfPSL_PKlPlN2at6native12_GLOBAL__N_18offset_tEEE10hipError_tPvRmT1_PNSt15iterator_traitsISZ_E10value_typeET2_T3_PNS10_IS15_E10value_typeET4_jRbjT5_S1B_jjP12ihipStream_tbEUljE_EEESW_SX_SY_S15_S19_S1B_T6_T7_T9_mT8_S1D_bDpT10_ENKUlT_T0_E_clISt17integral_constantIbLb1EES1P_IbLb0EEEEDaS1L_S1M_EUlS1L_E_NS1_11comp_targetILNS1_3genE10ELNS1_11target_archE1200ELNS1_3gpuE4ELNS1_3repE0EEENS1_30default_config_static_selectorELNS0_4arch9wavefront6targetE0EEEvSZ_.has_recursion, 0
	.set _ZN7rocprim17ROCPRIM_400000_NS6detail17trampoline_kernelINS0_13select_configILj256ELj13ELNS0_17block_load_methodE3ELS4_3ELS4_3ELNS0_20block_scan_algorithmE0ELj4294967295EEENS1_25partition_config_selectorILNS1_17partition_subalgoE3EjNS0_10empty_typeEbEEZZNS1_14partition_implILS8_3ELb0ES6_jNS0_17counting_iteratorIjlEEPS9_SE_NS0_5tupleIJPjSE_EEENSF_IJSE_SE_EEES9_SG_JZNS1_25segmented_radix_sort_implINS0_14default_configELb1EPK6__halfPSL_PKlPlN2at6native12_GLOBAL__N_18offset_tEEE10hipError_tPvRmT1_PNSt15iterator_traitsISZ_E10value_typeET2_T3_PNS10_IS15_E10value_typeET4_jRbjT5_S1B_jjP12ihipStream_tbEUljE_EEESW_SX_SY_S15_S19_S1B_T6_T7_T9_mT8_S1D_bDpT10_ENKUlT_T0_E_clISt17integral_constantIbLb1EES1P_IbLb0EEEEDaS1L_S1M_EUlS1L_E_NS1_11comp_targetILNS1_3genE10ELNS1_11target_archE1200ELNS1_3gpuE4ELNS1_3repE0EEENS1_30default_config_static_selectorELNS0_4arch9wavefront6targetE0EEEvSZ_.has_indirect_call, 0
	.section	.AMDGPU.csdata,"",@progbits
; Kernel info:
; codeLenInByte = 4
; TotalNumSgprs: 0
; NumVgprs: 0
; ScratchSize: 0
; MemoryBound: 0
; FloatMode: 240
; IeeeMode: 1
; LDSByteSize: 0 bytes/workgroup (compile time only)
; SGPRBlocks: 0
; VGPRBlocks: 0
; NumSGPRsForWavesPerEU: 1
; NumVGPRsForWavesPerEU: 1
; Occupancy: 16
; WaveLimiterHint : 0
; COMPUTE_PGM_RSRC2:SCRATCH_EN: 0
; COMPUTE_PGM_RSRC2:USER_SGPR: 2
; COMPUTE_PGM_RSRC2:TRAP_HANDLER: 0
; COMPUTE_PGM_RSRC2:TGID_X_EN: 1
; COMPUTE_PGM_RSRC2:TGID_Y_EN: 0
; COMPUTE_PGM_RSRC2:TGID_Z_EN: 0
; COMPUTE_PGM_RSRC2:TIDIG_COMP_CNT: 0
	.section	.text._ZN7rocprim17ROCPRIM_400000_NS6detail17trampoline_kernelINS0_13select_configILj256ELj13ELNS0_17block_load_methodE3ELS4_3ELS4_3ELNS0_20block_scan_algorithmE0ELj4294967295EEENS1_25partition_config_selectorILNS1_17partition_subalgoE3EjNS0_10empty_typeEbEEZZNS1_14partition_implILS8_3ELb0ES6_jNS0_17counting_iteratorIjlEEPS9_SE_NS0_5tupleIJPjSE_EEENSF_IJSE_SE_EEES9_SG_JZNS1_25segmented_radix_sort_implINS0_14default_configELb1EPK6__halfPSL_PKlPlN2at6native12_GLOBAL__N_18offset_tEEE10hipError_tPvRmT1_PNSt15iterator_traitsISZ_E10value_typeET2_T3_PNS10_IS15_E10value_typeET4_jRbjT5_S1B_jjP12ihipStream_tbEUljE_EEESW_SX_SY_S15_S19_S1B_T6_T7_T9_mT8_S1D_bDpT10_ENKUlT_T0_E_clISt17integral_constantIbLb1EES1P_IbLb0EEEEDaS1L_S1M_EUlS1L_E_NS1_11comp_targetILNS1_3genE9ELNS1_11target_archE1100ELNS1_3gpuE3ELNS1_3repE0EEENS1_30default_config_static_selectorELNS0_4arch9wavefront6targetE0EEEvSZ_,"axG",@progbits,_ZN7rocprim17ROCPRIM_400000_NS6detail17trampoline_kernelINS0_13select_configILj256ELj13ELNS0_17block_load_methodE3ELS4_3ELS4_3ELNS0_20block_scan_algorithmE0ELj4294967295EEENS1_25partition_config_selectorILNS1_17partition_subalgoE3EjNS0_10empty_typeEbEEZZNS1_14partition_implILS8_3ELb0ES6_jNS0_17counting_iteratorIjlEEPS9_SE_NS0_5tupleIJPjSE_EEENSF_IJSE_SE_EEES9_SG_JZNS1_25segmented_radix_sort_implINS0_14default_configELb1EPK6__halfPSL_PKlPlN2at6native12_GLOBAL__N_18offset_tEEE10hipError_tPvRmT1_PNSt15iterator_traitsISZ_E10value_typeET2_T3_PNS10_IS15_E10value_typeET4_jRbjT5_S1B_jjP12ihipStream_tbEUljE_EEESW_SX_SY_S15_S19_S1B_T6_T7_T9_mT8_S1D_bDpT10_ENKUlT_T0_E_clISt17integral_constantIbLb1EES1P_IbLb0EEEEDaS1L_S1M_EUlS1L_E_NS1_11comp_targetILNS1_3genE9ELNS1_11target_archE1100ELNS1_3gpuE3ELNS1_3repE0EEENS1_30default_config_static_selectorELNS0_4arch9wavefront6targetE0EEEvSZ_,comdat
	.globl	_ZN7rocprim17ROCPRIM_400000_NS6detail17trampoline_kernelINS0_13select_configILj256ELj13ELNS0_17block_load_methodE3ELS4_3ELS4_3ELNS0_20block_scan_algorithmE0ELj4294967295EEENS1_25partition_config_selectorILNS1_17partition_subalgoE3EjNS0_10empty_typeEbEEZZNS1_14partition_implILS8_3ELb0ES6_jNS0_17counting_iteratorIjlEEPS9_SE_NS0_5tupleIJPjSE_EEENSF_IJSE_SE_EEES9_SG_JZNS1_25segmented_radix_sort_implINS0_14default_configELb1EPK6__halfPSL_PKlPlN2at6native12_GLOBAL__N_18offset_tEEE10hipError_tPvRmT1_PNSt15iterator_traitsISZ_E10value_typeET2_T3_PNS10_IS15_E10value_typeET4_jRbjT5_S1B_jjP12ihipStream_tbEUljE_EEESW_SX_SY_S15_S19_S1B_T6_T7_T9_mT8_S1D_bDpT10_ENKUlT_T0_E_clISt17integral_constantIbLb1EES1P_IbLb0EEEEDaS1L_S1M_EUlS1L_E_NS1_11comp_targetILNS1_3genE9ELNS1_11target_archE1100ELNS1_3gpuE3ELNS1_3repE0EEENS1_30default_config_static_selectorELNS0_4arch9wavefront6targetE0EEEvSZ_ ; -- Begin function _ZN7rocprim17ROCPRIM_400000_NS6detail17trampoline_kernelINS0_13select_configILj256ELj13ELNS0_17block_load_methodE3ELS4_3ELS4_3ELNS0_20block_scan_algorithmE0ELj4294967295EEENS1_25partition_config_selectorILNS1_17partition_subalgoE3EjNS0_10empty_typeEbEEZZNS1_14partition_implILS8_3ELb0ES6_jNS0_17counting_iteratorIjlEEPS9_SE_NS0_5tupleIJPjSE_EEENSF_IJSE_SE_EEES9_SG_JZNS1_25segmented_radix_sort_implINS0_14default_configELb1EPK6__halfPSL_PKlPlN2at6native12_GLOBAL__N_18offset_tEEE10hipError_tPvRmT1_PNSt15iterator_traitsISZ_E10value_typeET2_T3_PNS10_IS15_E10value_typeET4_jRbjT5_S1B_jjP12ihipStream_tbEUljE_EEESW_SX_SY_S15_S19_S1B_T6_T7_T9_mT8_S1D_bDpT10_ENKUlT_T0_E_clISt17integral_constantIbLb1EES1P_IbLb0EEEEDaS1L_S1M_EUlS1L_E_NS1_11comp_targetILNS1_3genE9ELNS1_11target_archE1100ELNS1_3gpuE3ELNS1_3repE0EEENS1_30default_config_static_selectorELNS0_4arch9wavefront6targetE0EEEvSZ_
	.p2align	8
	.type	_ZN7rocprim17ROCPRIM_400000_NS6detail17trampoline_kernelINS0_13select_configILj256ELj13ELNS0_17block_load_methodE3ELS4_3ELS4_3ELNS0_20block_scan_algorithmE0ELj4294967295EEENS1_25partition_config_selectorILNS1_17partition_subalgoE3EjNS0_10empty_typeEbEEZZNS1_14partition_implILS8_3ELb0ES6_jNS0_17counting_iteratorIjlEEPS9_SE_NS0_5tupleIJPjSE_EEENSF_IJSE_SE_EEES9_SG_JZNS1_25segmented_radix_sort_implINS0_14default_configELb1EPK6__halfPSL_PKlPlN2at6native12_GLOBAL__N_18offset_tEEE10hipError_tPvRmT1_PNSt15iterator_traitsISZ_E10value_typeET2_T3_PNS10_IS15_E10value_typeET4_jRbjT5_S1B_jjP12ihipStream_tbEUljE_EEESW_SX_SY_S15_S19_S1B_T6_T7_T9_mT8_S1D_bDpT10_ENKUlT_T0_E_clISt17integral_constantIbLb1EES1P_IbLb0EEEEDaS1L_S1M_EUlS1L_E_NS1_11comp_targetILNS1_3genE9ELNS1_11target_archE1100ELNS1_3gpuE3ELNS1_3repE0EEENS1_30default_config_static_selectorELNS0_4arch9wavefront6targetE0EEEvSZ_,@function
_ZN7rocprim17ROCPRIM_400000_NS6detail17trampoline_kernelINS0_13select_configILj256ELj13ELNS0_17block_load_methodE3ELS4_3ELS4_3ELNS0_20block_scan_algorithmE0ELj4294967295EEENS1_25partition_config_selectorILNS1_17partition_subalgoE3EjNS0_10empty_typeEbEEZZNS1_14partition_implILS8_3ELb0ES6_jNS0_17counting_iteratorIjlEEPS9_SE_NS0_5tupleIJPjSE_EEENSF_IJSE_SE_EEES9_SG_JZNS1_25segmented_radix_sort_implINS0_14default_configELb1EPK6__halfPSL_PKlPlN2at6native12_GLOBAL__N_18offset_tEEE10hipError_tPvRmT1_PNSt15iterator_traitsISZ_E10value_typeET2_T3_PNS10_IS15_E10value_typeET4_jRbjT5_S1B_jjP12ihipStream_tbEUljE_EEESW_SX_SY_S15_S19_S1B_T6_T7_T9_mT8_S1D_bDpT10_ENKUlT_T0_E_clISt17integral_constantIbLb1EES1P_IbLb0EEEEDaS1L_S1M_EUlS1L_E_NS1_11comp_targetILNS1_3genE9ELNS1_11target_archE1100ELNS1_3gpuE3ELNS1_3repE0EEENS1_30default_config_static_selectorELNS0_4arch9wavefront6targetE0EEEvSZ_: ; @_ZN7rocprim17ROCPRIM_400000_NS6detail17trampoline_kernelINS0_13select_configILj256ELj13ELNS0_17block_load_methodE3ELS4_3ELS4_3ELNS0_20block_scan_algorithmE0ELj4294967295EEENS1_25partition_config_selectorILNS1_17partition_subalgoE3EjNS0_10empty_typeEbEEZZNS1_14partition_implILS8_3ELb0ES6_jNS0_17counting_iteratorIjlEEPS9_SE_NS0_5tupleIJPjSE_EEENSF_IJSE_SE_EEES9_SG_JZNS1_25segmented_radix_sort_implINS0_14default_configELb1EPK6__halfPSL_PKlPlN2at6native12_GLOBAL__N_18offset_tEEE10hipError_tPvRmT1_PNSt15iterator_traitsISZ_E10value_typeET2_T3_PNS10_IS15_E10value_typeET4_jRbjT5_S1B_jjP12ihipStream_tbEUljE_EEESW_SX_SY_S15_S19_S1B_T6_T7_T9_mT8_S1D_bDpT10_ENKUlT_T0_E_clISt17integral_constantIbLb1EES1P_IbLb0EEEEDaS1L_S1M_EUlS1L_E_NS1_11comp_targetILNS1_3genE9ELNS1_11target_archE1100ELNS1_3gpuE3ELNS1_3repE0EEENS1_30default_config_static_selectorELNS0_4arch9wavefront6targetE0EEEvSZ_
; %bb.0:
	.section	.rodata,"a",@progbits
	.p2align	6, 0x0
	.amdhsa_kernel _ZN7rocprim17ROCPRIM_400000_NS6detail17trampoline_kernelINS0_13select_configILj256ELj13ELNS0_17block_load_methodE3ELS4_3ELS4_3ELNS0_20block_scan_algorithmE0ELj4294967295EEENS1_25partition_config_selectorILNS1_17partition_subalgoE3EjNS0_10empty_typeEbEEZZNS1_14partition_implILS8_3ELb0ES6_jNS0_17counting_iteratorIjlEEPS9_SE_NS0_5tupleIJPjSE_EEENSF_IJSE_SE_EEES9_SG_JZNS1_25segmented_radix_sort_implINS0_14default_configELb1EPK6__halfPSL_PKlPlN2at6native12_GLOBAL__N_18offset_tEEE10hipError_tPvRmT1_PNSt15iterator_traitsISZ_E10value_typeET2_T3_PNS10_IS15_E10value_typeET4_jRbjT5_S1B_jjP12ihipStream_tbEUljE_EEESW_SX_SY_S15_S19_S1B_T6_T7_T9_mT8_S1D_bDpT10_ENKUlT_T0_E_clISt17integral_constantIbLb1EES1P_IbLb0EEEEDaS1L_S1M_EUlS1L_E_NS1_11comp_targetILNS1_3genE9ELNS1_11target_archE1100ELNS1_3gpuE3ELNS1_3repE0EEENS1_30default_config_static_selectorELNS0_4arch9wavefront6targetE0EEEvSZ_
		.amdhsa_group_segment_fixed_size 0
		.amdhsa_private_segment_fixed_size 0
		.amdhsa_kernarg_size 144
		.amdhsa_user_sgpr_count 2
		.amdhsa_user_sgpr_dispatch_ptr 0
		.amdhsa_user_sgpr_queue_ptr 0
		.amdhsa_user_sgpr_kernarg_segment_ptr 1
		.amdhsa_user_sgpr_dispatch_id 0
		.amdhsa_user_sgpr_private_segment_size 0
		.amdhsa_wavefront_size32 1
		.amdhsa_uses_dynamic_stack 0
		.amdhsa_enable_private_segment 0
		.amdhsa_system_sgpr_workgroup_id_x 1
		.amdhsa_system_sgpr_workgroup_id_y 0
		.amdhsa_system_sgpr_workgroup_id_z 0
		.amdhsa_system_sgpr_workgroup_info 0
		.amdhsa_system_vgpr_workitem_id 0
		.amdhsa_next_free_vgpr 1
		.amdhsa_next_free_sgpr 1
		.amdhsa_reserve_vcc 0
		.amdhsa_float_round_mode_32 0
		.amdhsa_float_round_mode_16_64 0
		.amdhsa_float_denorm_mode_32 3
		.amdhsa_float_denorm_mode_16_64 3
		.amdhsa_fp16_overflow 0
		.amdhsa_workgroup_processor_mode 1
		.amdhsa_memory_ordered 1
		.amdhsa_forward_progress 1
		.amdhsa_inst_pref_size 0
		.amdhsa_round_robin_scheduling 0
		.amdhsa_exception_fp_ieee_invalid_op 0
		.amdhsa_exception_fp_denorm_src 0
		.amdhsa_exception_fp_ieee_div_zero 0
		.amdhsa_exception_fp_ieee_overflow 0
		.amdhsa_exception_fp_ieee_underflow 0
		.amdhsa_exception_fp_ieee_inexact 0
		.amdhsa_exception_int_div_zero 0
	.end_amdhsa_kernel
	.section	.text._ZN7rocprim17ROCPRIM_400000_NS6detail17trampoline_kernelINS0_13select_configILj256ELj13ELNS0_17block_load_methodE3ELS4_3ELS4_3ELNS0_20block_scan_algorithmE0ELj4294967295EEENS1_25partition_config_selectorILNS1_17partition_subalgoE3EjNS0_10empty_typeEbEEZZNS1_14partition_implILS8_3ELb0ES6_jNS0_17counting_iteratorIjlEEPS9_SE_NS0_5tupleIJPjSE_EEENSF_IJSE_SE_EEES9_SG_JZNS1_25segmented_radix_sort_implINS0_14default_configELb1EPK6__halfPSL_PKlPlN2at6native12_GLOBAL__N_18offset_tEEE10hipError_tPvRmT1_PNSt15iterator_traitsISZ_E10value_typeET2_T3_PNS10_IS15_E10value_typeET4_jRbjT5_S1B_jjP12ihipStream_tbEUljE_EEESW_SX_SY_S15_S19_S1B_T6_T7_T9_mT8_S1D_bDpT10_ENKUlT_T0_E_clISt17integral_constantIbLb1EES1P_IbLb0EEEEDaS1L_S1M_EUlS1L_E_NS1_11comp_targetILNS1_3genE9ELNS1_11target_archE1100ELNS1_3gpuE3ELNS1_3repE0EEENS1_30default_config_static_selectorELNS0_4arch9wavefront6targetE0EEEvSZ_,"axG",@progbits,_ZN7rocprim17ROCPRIM_400000_NS6detail17trampoline_kernelINS0_13select_configILj256ELj13ELNS0_17block_load_methodE3ELS4_3ELS4_3ELNS0_20block_scan_algorithmE0ELj4294967295EEENS1_25partition_config_selectorILNS1_17partition_subalgoE3EjNS0_10empty_typeEbEEZZNS1_14partition_implILS8_3ELb0ES6_jNS0_17counting_iteratorIjlEEPS9_SE_NS0_5tupleIJPjSE_EEENSF_IJSE_SE_EEES9_SG_JZNS1_25segmented_radix_sort_implINS0_14default_configELb1EPK6__halfPSL_PKlPlN2at6native12_GLOBAL__N_18offset_tEEE10hipError_tPvRmT1_PNSt15iterator_traitsISZ_E10value_typeET2_T3_PNS10_IS15_E10value_typeET4_jRbjT5_S1B_jjP12ihipStream_tbEUljE_EEESW_SX_SY_S15_S19_S1B_T6_T7_T9_mT8_S1D_bDpT10_ENKUlT_T0_E_clISt17integral_constantIbLb1EES1P_IbLb0EEEEDaS1L_S1M_EUlS1L_E_NS1_11comp_targetILNS1_3genE9ELNS1_11target_archE1100ELNS1_3gpuE3ELNS1_3repE0EEENS1_30default_config_static_selectorELNS0_4arch9wavefront6targetE0EEEvSZ_,comdat
.Lfunc_end1729:
	.size	_ZN7rocprim17ROCPRIM_400000_NS6detail17trampoline_kernelINS0_13select_configILj256ELj13ELNS0_17block_load_methodE3ELS4_3ELS4_3ELNS0_20block_scan_algorithmE0ELj4294967295EEENS1_25partition_config_selectorILNS1_17partition_subalgoE3EjNS0_10empty_typeEbEEZZNS1_14partition_implILS8_3ELb0ES6_jNS0_17counting_iteratorIjlEEPS9_SE_NS0_5tupleIJPjSE_EEENSF_IJSE_SE_EEES9_SG_JZNS1_25segmented_radix_sort_implINS0_14default_configELb1EPK6__halfPSL_PKlPlN2at6native12_GLOBAL__N_18offset_tEEE10hipError_tPvRmT1_PNSt15iterator_traitsISZ_E10value_typeET2_T3_PNS10_IS15_E10value_typeET4_jRbjT5_S1B_jjP12ihipStream_tbEUljE_EEESW_SX_SY_S15_S19_S1B_T6_T7_T9_mT8_S1D_bDpT10_ENKUlT_T0_E_clISt17integral_constantIbLb1EES1P_IbLb0EEEEDaS1L_S1M_EUlS1L_E_NS1_11comp_targetILNS1_3genE9ELNS1_11target_archE1100ELNS1_3gpuE3ELNS1_3repE0EEENS1_30default_config_static_selectorELNS0_4arch9wavefront6targetE0EEEvSZ_, .Lfunc_end1729-_ZN7rocprim17ROCPRIM_400000_NS6detail17trampoline_kernelINS0_13select_configILj256ELj13ELNS0_17block_load_methodE3ELS4_3ELS4_3ELNS0_20block_scan_algorithmE0ELj4294967295EEENS1_25partition_config_selectorILNS1_17partition_subalgoE3EjNS0_10empty_typeEbEEZZNS1_14partition_implILS8_3ELb0ES6_jNS0_17counting_iteratorIjlEEPS9_SE_NS0_5tupleIJPjSE_EEENSF_IJSE_SE_EEES9_SG_JZNS1_25segmented_radix_sort_implINS0_14default_configELb1EPK6__halfPSL_PKlPlN2at6native12_GLOBAL__N_18offset_tEEE10hipError_tPvRmT1_PNSt15iterator_traitsISZ_E10value_typeET2_T3_PNS10_IS15_E10value_typeET4_jRbjT5_S1B_jjP12ihipStream_tbEUljE_EEESW_SX_SY_S15_S19_S1B_T6_T7_T9_mT8_S1D_bDpT10_ENKUlT_T0_E_clISt17integral_constantIbLb1EES1P_IbLb0EEEEDaS1L_S1M_EUlS1L_E_NS1_11comp_targetILNS1_3genE9ELNS1_11target_archE1100ELNS1_3gpuE3ELNS1_3repE0EEENS1_30default_config_static_selectorELNS0_4arch9wavefront6targetE0EEEvSZ_
                                        ; -- End function
	.set _ZN7rocprim17ROCPRIM_400000_NS6detail17trampoline_kernelINS0_13select_configILj256ELj13ELNS0_17block_load_methodE3ELS4_3ELS4_3ELNS0_20block_scan_algorithmE0ELj4294967295EEENS1_25partition_config_selectorILNS1_17partition_subalgoE3EjNS0_10empty_typeEbEEZZNS1_14partition_implILS8_3ELb0ES6_jNS0_17counting_iteratorIjlEEPS9_SE_NS0_5tupleIJPjSE_EEENSF_IJSE_SE_EEES9_SG_JZNS1_25segmented_radix_sort_implINS0_14default_configELb1EPK6__halfPSL_PKlPlN2at6native12_GLOBAL__N_18offset_tEEE10hipError_tPvRmT1_PNSt15iterator_traitsISZ_E10value_typeET2_T3_PNS10_IS15_E10value_typeET4_jRbjT5_S1B_jjP12ihipStream_tbEUljE_EEESW_SX_SY_S15_S19_S1B_T6_T7_T9_mT8_S1D_bDpT10_ENKUlT_T0_E_clISt17integral_constantIbLb1EES1P_IbLb0EEEEDaS1L_S1M_EUlS1L_E_NS1_11comp_targetILNS1_3genE9ELNS1_11target_archE1100ELNS1_3gpuE3ELNS1_3repE0EEENS1_30default_config_static_selectorELNS0_4arch9wavefront6targetE0EEEvSZ_.num_vgpr, 0
	.set _ZN7rocprim17ROCPRIM_400000_NS6detail17trampoline_kernelINS0_13select_configILj256ELj13ELNS0_17block_load_methodE3ELS4_3ELS4_3ELNS0_20block_scan_algorithmE0ELj4294967295EEENS1_25partition_config_selectorILNS1_17partition_subalgoE3EjNS0_10empty_typeEbEEZZNS1_14partition_implILS8_3ELb0ES6_jNS0_17counting_iteratorIjlEEPS9_SE_NS0_5tupleIJPjSE_EEENSF_IJSE_SE_EEES9_SG_JZNS1_25segmented_radix_sort_implINS0_14default_configELb1EPK6__halfPSL_PKlPlN2at6native12_GLOBAL__N_18offset_tEEE10hipError_tPvRmT1_PNSt15iterator_traitsISZ_E10value_typeET2_T3_PNS10_IS15_E10value_typeET4_jRbjT5_S1B_jjP12ihipStream_tbEUljE_EEESW_SX_SY_S15_S19_S1B_T6_T7_T9_mT8_S1D_bDpT10_ENKUlT_T0_E_clISt17integral_constantIbLb1EES1P_IbLb0EEEEDaS1L_S1M_EUlS1L_E_NS1_11comp_targetILNS1_3genE9ELNS1_11target_archE1100ELNS1_3gpuE3ELNS1_3repE0EEENS1_30default_config_static_selectorELNS0_4arch9wavefront6targetE0EEEvSZ_.num_agpr, 0
	.set _ZN7rocprim17ROCPRIM_400000_NS6detail17trampoline_kernelINS0_13select_configILj256ELj13ELNS0_17block_load_methodE3ELS4_3ELS4_3ELNS0_20block_scan_algorithmE0ELj4294967295EEENS1_25partition_config_selectorILNS1_17partition_subalgoE3EjNS0_10empty_typeEbEEZZNS1_14partition_implILS8_3ELb0ES6_jNS0_17counting_iteratorIjlEEPS9_SE_NS0_5tupleIJPjSE_EEENSF_IJSE_SE_EEES9_SG_JZNS1_25segmented_radix_sort_implINS0_14default_configELb1EPK6__halfPSL_PKlPlN2at6native12_GLOBAL__N_18offset_tEEE10hipError_tPvRmT1_PNSt15iterator_traitsISZ_E10value_typeET2_T3_PNS10_IS15_E10value_typeET4_jRbjT5_S1B_jjP12ihipStream_tbEUljE_EEESW_SX_SY_S15_S19_S1B_T6_T7_T9_mT8_S1D_bDpT10_ENKUlT_T0_E_clISt17integral_constantIbLb1EES1P_IbLb0EEEEDaS1L_S1M_EUlS1L_E_NS1_11comp_targetILNS1_3genE9ELNS1_11target_archE1100ELNS1_3gpuE3ELNS1_3repE0EEENS1_30default_config_static_selectorELNS0_4arch9wavefront6targetE0EEEvSZ_.numbered_sgpr, 0
	.set _ZN7rocprim17ROCPRIM_400000_NS6detail17trampoline_kernelINS0_13select_configILj256ELj13ELNS0_17block_load_methodE3ELS4_3ELS4_3ELNS0_20block_scan_algorithmE0ELj4294967295EEENS1_25partition_config_selectorILNS1_17partition_subalgoE3EjNS0_10empty_typeEbEEZZNS1_14partition_implILS8_3ELb0ES6_jNS0_17counting_iteratorIjlEEPS9_SE_NS0_5tupleIJPjSE_EEENSF_IJSE_SE_EEES9_SG_JZNS1_25segmented_radix_sort_implINS0_14default_configELb1EPK6__halfPSL_PKlPlN2at6native12_GLOBAL__N_18offset_tEEE10hipError_tPvRmT1_PNSt15iterator_traitsISZ_E10value_typeET2_T3_PNS10_IS15_E10value_typeET4_jRbjT5_S1B_jjP12ihipStream_tbEUljE_EEESW_SX_SY_S15_S19_S1B_T6_T7_T9_mT8_S1D_bDpT10_ENKUlT_T0_E_clISt17integral_constantIbLb1EES1P_IbLb0EEEEDaS1L_S1M_EUlS1L_E_NS1_11comp_targetILNS1_3genE9ELNS1_11target_archE1100ELNS1_3gpuE3ELNS1_3repE0EEENS1_30default_config_static_selectorELNS0_4arch9wavefront6targetE0EEEvSZ_.num_named_barrier, 0
	.set _ZN7rocprim17ROCPRIM_400000_NS6detail17trampoline_kernelINS0_13select_configILj256ELj13ELNS0_17block_load_methodE3ELS4_3ELS4_3ELNS0_20block_scan_algorithmE0ELj4294967295EEENS1_25partition_config_selectorILNS1_17partition_subalgoE3EjNS0_10empty_typeEbEEZZNS1_14partition_implILS8_3ELb0ES6_jNS0_17counting_iteratorIjlEEPS9_SE_NS0_5tupleIJPjSE_EEENSF_IJSE_SE_EEES9_SG_JZNS1_25segmented_radix_sort_implINS0_14default_configELb1EPK6__halfPSL_PKlPlN2at6native12_GLOBAL__N_18offset_tEEE10hipError_tPvRmT1_PNSt15iterator_traitsISZ_E10value_typeET2_T3_PNS10_IS15_E10value_typeET4_jRbjT5_S1B_jjP12ihipStream_tbEUljE_EEESW_SX_SY_S15_S19_S1B_T6_T7_T9_mT8_S1D_bDpT10_ENKUlT_T0_E_clISt17integral_constantIbLb1EES1P_IbLb0EEEEDaS1L_S1M_EUlS1L_E_NS1_11comp_targetILNS1_3genE9ELNS1_11target_archE1100ELNS1_3gpuE3ELNS1_3repE0EEENS1_30default_config_static_selectorELNS0_4arch9wavefront6targetE0EEEvSZ_.private_seg_size, 0
	.set _ZN7rocprim17ROCPRIM_400000_NS6detail17trampoline_kernelINS0_13select_configILj256ELj13ELNS0_17block_load_methodE3ELS4_3ELS4_3ELNS0_20block_scan_algorithmE0ELj4294967295EEENS1_25partition_config_selectorILNS1_17partition_subalgoE3EjNS0_10empty_typeEbEEZZNS1_14partition_implILS8_3ELb0ES6_jNS0_17counting_iteratorIjlEEPS9_SE_NS0_5tupleIJPjSE_EEENSF_IJSE_SE_EEES9_SG_JZNS1_25segmented_radix_sort_implINS0_14default_configELb1EPK6__halfPSL_PKlPlN2at6native12_GLOBAL__N_18offset_tEEE10hipError_tPvRmT1_PNSt15iterator_traitsISZ_E10value_typeET2_T3_PNS10_IS15_E10value_typeET4_jRbjT5_S1B_jjP12ihipStream_tbEUljE_EEESW_SX_SY_S15_S19_S1B_T6_T7_T9_mT8_S1D_bDpT10_ENKUlT_T0_E_clISt17integral_constantIbLb1EES1P_IbLb0EEEEDaS1L_S1M_EUlS1L_E_NS1_11comp_targetILNS1_3genE9ELNS1_11target_archE1100ELNS1_3gpuE3ELNS1_3repE0EEENS1_30default_config_static_selectorELNS0_4arch9wavefront6targetE0EEEvSZ_.uses_vcc, 0
	.set _ZN7rocprim17ROCPRIM_400000_NS6detail17trampoline_kernelINS0_13select_configILj256ELj13ELNS0_17block_load_methodE3ELS4_3ELS4_3ELNS0_20block_scan_algorithmE0ELj4294967295EEENS1_25partition_config_selectorILNS1_17partition_subalgoE3EjNS0_10empty_typeEbEEZZNS1_14partition_implILS8_3ELb0ES6_jNS0_17counting_iteratorIjlEEPS9_SE_NS0_5tupleIJPjSE_EEENSF_IJSE_SE_EEES9_SG_JZNS1_25segmented_radix_sort_implINS0_14default_configELb1EPK6__halfPSL_PKlPlN2at6native12_GLOBAL__N_18offset_tEEE10hipError_tPvRmT1_PNSt15iterator_traitsISZ_E10value_typeET2_T3_PNS10_IS15_E10value_typeET4_jRbjT5_S1B_jjP12ihipStream_tbEUljE_EEESW_SX_SY_S15_S19_S1B_T6_T7_T9_mT8_S1D_bDpT10_ENKUlT_T0_E_clISt17integral_constantIbLb1EES1P_IbLb0EEEEDaS1L_S1M_EUlS1L_E_NS1_11comp_targetILNS1_3genE9ELNS1_11target_archE1100ELNS1_3gpuE3ELNS1_3repE0EEENS1_30default_config_static_selectorELNS0_4arch9wavefront6targetE0EEEvSZ_.uses_flat_scratch, 0
	.set _ZN7rocprim17ROCPRIM_400000_NS6detail17trampoline_kernelINS0_13select_configILj256ELj13ELNS0_17block_load_methodE3ELS4_3ELS4_3ELNS0_20block_scan_algorithmE0ELj4294967295EEENS1_25partition_config_selectorILNS1_17partition_subalgoE3EjNS0_10empty_typeEbEEZZNS1_14partition_implILS8_3ELb0ES6_jNS0_17counting_iteratorIjlEEPS9_SE_NS0_5tupleIJPjSE_EEENSF_IJSE_SE_EEES9_SG_JZNS1_25segmented_radix_sort_implINS0_14default_configELb1EPK6__halfPSL_PKlPlN2at6native12_GLOBAL__N_18offset_tEEE10hipError_tPvRmT1_PNSt15iterator_traitsISZ_E10value_typeET2_T3_PNS10_IS15_E10value_typeET4_jRbjT5_S1B_jjP12ihipStream_tbEUljE_EEESW_SX_SY_S15_S19_S1B_T6_T7_T9_mT8_S1D_bDpT10_ENKUlT_T0_E_clISt17integral_constantIbLb1EES1P_IbLb0EEEEDaS1L_S1M_EUlS1L_E_NS1_11comp_targetILNS1_3genE9ELNS1_11target_archE1100ELNS1_3gpuE3ELNS1_3repE0EEENS1_30default_config_static_selectorELNS0_4arch9wavefront6targetE0EEEvSZ_.has_dyn_sized_stack, 0
	.set _ZN7rocprim17ROCPRIM_400000_NS6detail17trampoline_kernelINS0_13select_configILj256ELj13ELNS0_17block_load_methodE3ELS4_3ELS4_3ELNS0_20block_scan_algorithmE0ELj4294967295EEENS1_25partition_config_selectorILNS1_17partition_subalgoE3EjNS0_10empty_typeEbEEZZNS1_14partition_implILS8_3ELb0ES6_jNS0_17counting_iteratorIjlEEPS9_SE_NS0_5tupleIJPjSE_EEENSF_IJSE_SE_EEES9_SG_JZNS1_25segmented_radix_sort_implINS0_14default_configELb1EPK6__halfPSL_PKlPlN2at6native12_GLOBAL__N_18offset_tEEE10hipError_tPvRmT1_PNSt15iterator_traitsISZ_E10value_typeET2_T3_PNS10_IS15_E10value_typeET4_jRbjT5_S1B_jjP12ihipStream_tbEUljE_EEESW_SX_SY_S15_S19_S1B_T6_T7_T9_mT8_S1D_bDpT10_ENKUlT_T0_E_clISt17integral_constantIbLb1EES1P_IbLb0EEEEDaS1L_S1M_EUlS1L_E_NS1_11comp_targetILNS1_3genE9ELNS1_11target_archE1100ELNS1_3gpuE3ELNS1_3repE0EEENS1_30default_config_static_selectorELNS0_4arch9wavefront6targetE0EEEvSZ_.has_recursion, 0
	.set _ZN7rocprim17ROCPRIM_400000_NS6detail17trampoline_kernelINS0_13select_configILj256ELj13ELNS0_17block_load_methodE3ELS4_3ELS4_3ELNS0_20block_scan_algorithmE0ELj4294967295EEENS1_25partition_config_selectorILNS1_17partition_subalgoE3EjNS0_10empty_typeEbEEZZNS1_14partition_implILS8_3ELb0ES6_jNS0_17counting_iteratorIjlEEPS9_SE_NS0_5tupleIJPjSE_EEENSF_IJSE_SE_EEES9_SG_JZNS1_25segmented_radix_sort_implINS0_14default_configELb1EPK6__halfPSL_PKlPlN2at6native12_GLOBAL__N_18offset_tEEE10hipError_tPvRmT1_PNSt15iterator_traitsISZ_E10value_typeET2_T3_PNS10_IS15_E10value_typeET4_jRbjT5_S1B_jjP12ihipStream_tbEUljE_EEESW_SX_SY_S15_S19_S1B_T6_T7_T9_mT8_S1D_bDpT10_ENKUlT_T0_E_clISt17integral_constantIbLb1EES1P_IbLb0EEEEDaS1L_S1M_EUlS1L_E_NS1_11comp_targetILNS1_3genE9ELNS1_11target_archE1100ELNS1_3gpuE3ELNS1_3repE0EEENS1_30default_config_static_selectorELNS0_4arch9wavefront6targetE0EEEvSZ_.has_indirect_call, 0
	.section	.AMDGPU.csdata,"",@progbits
; Kernel info:
; codeLenInByte = 0
; TotalNumSgprs: 0
; NumVgprs: 0
; ScratchSize: 0
; MemoryBound: 0
; FloatMode: 240
; IeeeMode: 1
; LDSByteSize: 0 bytes/workgroup (compile time only)
; SGPRBlocks: 0
; VGPRBlocks: 0
; NumSGPRsForWavesPerEU: 1
; NumVGPRsForWavesPerEU: 1
; Occupancy: 16
; WaveLimiterHint : 0
; COMPUTE_PGM_RSRC2:SCRATCH_EN: 0
; COMPUTE_PGM_RSRC2:USER_SGPR: 2
; COMPUTE_PGM_RSRC2:TRAP_HANDLER: 0
; COMPUTE_PGM_RSRC2:TGID_X_EN: 1
; COMPUTE_PGM_RSRC2:TGID_Y_EN: 0
; COMPUTE_PGM_RSRC2:TGID_Z_EN: 0
; COMPUTE_PGM_RSRC2:TIDIG_COMP_CNT: 0
	.section	.text._ZN7rocprim17ROCPRIM_400000_NS6detail17trampoline_kernelINS0_13select_configILj256ELj13ELNS0_17block_load_methodE3ELS4_3ELS4_3ELNS0_20block_scan_algorithmE0ELj4294967295EEENS1_25partition_config_selectorILNS1_17partition_subalgoE3EjNS0_10empty_typeEbEEZZNS1_14partition_implILS8_3ELb0ES6_jNS0_17counting_iteratorIjlEEPS9_SE_NS0_5tupleIJPjSE_EEENSF_IJSE_SE_EEES9_SG_JZNS1_25segmented_radix_sort_implINS0_14default_configELb1EPK6__halfPSL_PKlPlN2at6native12_GLOBAL__N_18offset_tEEE10hipError_tPvRmT1_PNSt15iterator_traitsISZ_E10value_typeET2_T3_PNS10_IS15_E10value_typeET4_jRbjT5_S1B_jjP12ihipStream_tbEUljE_EEESW_SX_SY_S15_S19_S1B_T6_T7_T9_mT8_S1D_bDpT10_ENKUlT_T0_E_clISt17integral_constantIbLb1EES1P_IbLb0EEEEDaS1L_S1M_EUlS1L_E_NS1_11comp_targetILNS1_3genE8ELNS1_11target_archE1030ELNS1_3gpuE2ELNS1_3repE0EEENS1_30default_config_static_selectorELNS0_4arch9wavefront6targetE0EEEvSZ_,"axG",@progbits,_ZN7rocprim17ROCPRIM_400000_NS6detail17trampoline_kernelINS0_13select_configILj256ELj13ELNS0_17block_load_methodE3ELS4_3ELS4_3ELNS0_20block_scan_algorithmE0ELj4294967295EEENS1_25partition_config_selectorILNS1_17partition_subalgoE3EjNS0_10empty_typeEbEEZZNS1_14partition_implILS8_3ELb0ES6_jNS0_17counting_iteratorIjlEEPS9_SE_NS0_5tupleIJPjSE_EEENSF_IJSE_SE_EEES9_SG_JZNS1_25segmented_radix_sort_implINS0_14default_configELb1EPK6__halfPSL_PKlPlN2at6native12_GLOBAL__N_18offset_tEEE10hipError_tPvRmT1_PNSt15iterator_traitsISZ_E10value_typeET2_T3_PNS10_IS15_E10value_typeET4_jRbjT5_S1B_jjP12ihipStream_tbEUljE_EEESW_SX_SY_S15_S19_S1B_T6_T7_T9_mT8_S1D_bDpT10_ENKUlT_T0_E_clISt17integral_constantIbLb1EES1P_IbLb0EEEEDaS1L_S1M_EUlS1L_E_NS1_11comp_targetILNS1_3genE8ELNS1_11target_archE1030ELNS1_3gpuE2ELNS1_3repE0EEENS1_30default_config_static_selectorELNS0_4arch9wavefront6targetE0EEEvSZ_,comdat
	.globl	_ZN7rocprim17ROCPRIM_400000_NS6detail17trampoline_kernelINS0_13select_configILj256ELj13ELNS0_17block_load_methodE3ELS4_3ELS4_3ELNS0_20block_scan_algorithmE0ELj4294967295EEENS1_25partition_config_selectorILNS1_17partition_subalgoE3EjNS0_10empty_typeEbEEZZNS1_14partition_implILS8_3ELb0ES6_jNS0_17counting_iteratorIjlEEPS9_SE_NS0_5tupleIJPjSE_EEENSF_IJSE_SE_EEES9_SG_JZNS1_25segmented_radix_sort_implINS0_14default_configELb1EPK6__halfPSL_PKlPlN2at6native12_GLOBAL__N_18offset_tEEE10hipError_tPvRmT1_PNSt15iterator_traitsISZ_E10value_typeET2_T3_PNS10_IS15_E10value_typeET4_jRbjT5_S1B_jjP12ihipStream_tbEUljE_EEESW_SX_SY_S15_S19_S1B_T6_T7_T9_mT8_S1D_bDpT10_ENKUlT_T0_E_clISt17integral_constantIbLb1EES1P_IbLb0EEEEDaS1L_S1M_EUlS1L_E_NS1_11comp_targetILNS1_3genE8ELNS1_11target_archE1030ELNS1_3gpuE2ELNS1_3repE0EEENS1_30default_config_static_selectorELNS0_4arch9wavefront6targetE0EEEvSZ_ ; -- Begin function _ZN7rocprim17ROCPRIM_400000_NS6detail17trampoline_kernelINS0_13select_configILj256ELj13ELNS0_17block_load_methodE3ELS4_3ELS4_3ELNS0_20block_scan_algorithmE0ELj4294967295EEENS1_25partition_config_selectorILNS1_17partition_subalgoE3EjNS0_10empty_typeEbEEZZNS1_14partition_implILS8_3ELb0ES6_jNS0_17counting_iteratorIjlEEPS9_SE_NS0_5tupleIJPjSE_EEENSF_IJSE_SE_EEES9_SG_JZNS1_25segmented_radix_sort_implINS0_14default_configELb1EPK6__halfPSL_PKlPlN2at6native12_GLOBAL__N_18offset_tEEE10hipError_tPvRmT1_PNSt15iterator_traitsISZ_E10value_typeET2_T3_PNS10_IS15_E10value_typeET4_jRbjT5_S1B_jjP12ihipStream_tbEUljE_EEESW_SX_SY_S15_S19_S1B_T6_T7_T9_mT8_S1D_bDpT10_ENKUlT_T0_E_clISt17integral_constantIbLb1EES1P_IbLb0EEEEDaS1L_S1M_EUlS1L_E_NS1_11comp_targetILNS1_3genE8ELNS1_11target_archE1030ELNS1_3gpuE2ELNS1_3repE0EEENS1_30default_config_static_selectorELNS0_4arch9wavefront6targetE0EEEvSZ_
	.p2align	8
	.type	_ZN7rocprim17ROCPRIM_400000_NS6detail17trampoline_kernelINS0_13select_configILj256ELj13ELNS0_17block_load_methodE3ELS4_3ELS4_3ELNS0_20block_scan_algorithmE0ELj4294967295EEENS1_25partition_config_selectorILNS1_17partition_subalgoE3EjNS0_10empty_typeEbEEZZNS1_14partition_implILS8_3ELb0ES6_jNS0_17counting_iteratorIjlEEPS9_SE_NS0_5tupleIJPjSE_EEENSF_IJSE_SE_EEES9_SG_JZNS1_25segmented_radix_sort_implINS0_14default_configELb1EPK6__halfPSL_PKlPlN2at6native12_GLOBAL__N_18offset_tEEE10hipError_tPvRmT1_PNSt15iterator_traitsISZ_E10value_typeET2_T3_PNS10_IS15_E10value_typeET4_jRbjT5_S1B_jjP12ihipStream_tbEUljE_EEESW_SX_SY_S15_S19_S1B_T6_T7_T9_mT8_S1D_bDpT10_ENKUlT_T0_E_clISt17integral_constantIbLb1EES1P_IbLb0EEEEDaS1L_S1M_EUlS1L_E_NS1_11comp_targetILNS1_3genE8ELNS1_11target_archE1030ELNS1_3gpuE2ELNS1_3repE0EEENS1_30default_config_static_selectorELNS0_4arch9wavefront6targetE0EEEvSZ_,@function
_ZN7rocprim17ROCPRIM_400000_NS6detail17trampoline_kernelINS0_13select_configILj256ELj13ELNS0_17block_load_methodE3ELS4_3ELS4_3ELNS0_20block_scan_algorithmE0ELj4294967295EEENS1_25partition_config_selectorILNS1_17partition_subalgoE3EjNS0_10empty_typeEbEEZZNS1_14partition_implILS8_3ELb0ES6_jNS0_17counting_iteratorIjlEEPS9_SE_NS0_5tupleIJPjSE_EEENSF_IJSE_SE_EEES9_SG_JZNS1_25segmented_radix_sort_implINS0_14default_configELb1EPK6__halfPSL_PKlPlN2at6native12_GLOBAL__N_18offset_tEEE10hipError_tPvRmT1_PNSt15iterator_traitsISZ_E10value_typeET2_T3_PNS10_IS15_E10value_typeET4_jRbjT5_S1B_jjP12ihipStream_tbEUljE_EEESW_SX_SY_S15_S19_S1B_T6_T7_T9_mT8_S1D_bDpT10_ENKUlT_T0_E_clISt17integral_constantIbLb1EES1P_IbLb0EEEEDaS1L_S1M_EUlS1L_E_NS1_11comp_targetILNS1_3genE8ELNS1_11target_archE1030ELNS1_3gpuE2ELNS1_3repE0EEENS1_30default_config_static_selectorELNS0_4arch9wavefront6targetE0EEEvSZ_: ; @_ZN7rocprim17ROCPRIM_400000_NS6detail17trampoline_kernelINS0_13select_configILj256ELj13ELNS0_17block_load_methodE3ELS4_3ELS4_3ELNS0_20block_scan_algorithmE0ELj4294967295EEENS1_25partition_config_selectorILNS1_17partition_subalgoE3EjNS0_10empty_typeEbEEZZNS1_14partition_implILS8_3ELb0ES6_jNS0_17counting_iteratorIjlEEPS9_SE_NS0_5tupleIJPjSE_EEENSF_IJSE_SE_EEES9_SG_JZNS1_25segmented_radix_sort_implINS0_14default_configELb1EPK6__halfPSL_PKlPlN2at6native12_GLOBAL__N_18offset_tEEE10hipError_tPvRmT1_PNSt15iterator_traitsISZ_E10value_typeET2_T3_PNS10_IS15_E10value_typeET4_jRbjT5_S1B_jjP12ihipStream_tbEUljE_EEESW_SX_SY_S15_S19_S1B_T6_T7_T9_mT8_S1D_bDpT10_ENKUlT_T0_E_clISt17integral_constantIbLb1EES1P_IbLb0EEEEDaS1L_S1M_EUlS1L_E_NS1_11comp_targetILNS1_3genE8ELNS1_11target_archE1030ELNS1_3gpuE2ELNS1_3repE0EEENS1_30default_config_static_selectorELNS0_4arch9wavefront6targetE0EEEvSZ_
; %bb.0:
	.section	.rodata,"a",@progbits
	.p2align	6, 0x0
	.amdhsa_kernel _ZN7rocprim17ROCPRIM_400000_NS6detail17trampoline_kernelINS0_13select_configILj256ELj13ELNS0_17block_load_methodE3ELS4_3ELS4_3ELNS0_20block_scan_algorithmE0ELj4294967295EEENS1_25partition_config_selectorILNS1_17partition_subalgoE3EjNS0_10empty_typeEbEEZZNS1_14partition_implILS8_3ELb0ES6_jNS0_17counting_iteratorIjlEEPS9_SE_NS0_5tupleIJPjSE_EEENSF_IJSE_SE_EEES9_SG_JZNS1_25segmented_radix_sort_implINS0_14default_configELb1EPK6__halfPSL_PKlPlN2at6native12_GLOBAL__N_18offset_tEEE10hipError_tPvRmT1_PNSt15iterator_traitsISZ_E10value_typeET2_T3_PNS10_IS15_E10value_typeET4_jRbjT5_S1B_jjP12ihipStream_tbEUljE_EEESW_SX_SY_S15_S19_S1B_T6_T7_T9_mT8_S1D_bDpT10_ENKUlT_T0_E_clISt17integral_constantIbLb1EES1P_IbLb0EEEEDaS1L_S1M_EUlS1L_E_NS1_11comp_targetILNS1_3genE8ELNS1_11target_archE1030ELNS1_3gpuE2ELNS1_3repE0EEENS1_30default_config_static_selectorELNS0_4arch9wavefront6targetE0EEEvSZ_
		.amdhsa_group_segment_fixed_size 0
		.amdhsa_private_segment_fixed_size 0
		.amdhsa_kernarg_size 144
		.amdhsa_user_sgpr_count 2
		.amdhsa_user_sgpr_dispatch_ptr 0
		.amdhsa_user_sgpr_queue_ptr 0
		.amdhsa_user_sgpr_kernarg_segment_ptr 1
		.amdhsa_user_sgpr_dispatch_id 0
		.amdhsa_user_sgpr_private_segment_size 0
		.amdhsa_wavefront_size32 1
		.amdhsa_uses_dynamic_stack 0
		.amdhsa_enable_private_segment 0
		.amdhsa_system_sgpr_workgroup_id_x 1
		.amdhsa_system_sgpr_workgroup_id_y 0
		.amdhsa_system_sgpr_workgroup_id_z 0
		.amdhsa_system_sgpr_workgroup_info 0
		.amdhsa_system_vgpr_workitem_id 0
		.amdhsa_next_free_vgpr 1
		.amdhsa_next_free_sgpr 1
		.amdhsa_reserve_vcc 0
		.amdhsa_float_round_mode_32 0
		.amdhsa_float_round_mode_16_64 0
		.amdhsa_float_denorm_mode_32 3
		.amdhsa_float_denorm_mode_16_64 3
		.amdhsa_fp16_overflow 0
		.amdhsa_workgroup_processor_mode 1
		.amdhsa_memory_ordered 1
		.amdhsa_forward_progress 1
		.amdhsa_inst_pref_size 0
		.amdhsa_round_robin_scheduling 0
		.amdhsa_exception_fp_ieee_invalid_op 0
		.amdhsa_exception_fp_denorm_src 0
		.amdhsa_exception_fp_ieee_div_zero 0
		.amdhsa_exception_fp_ieee_overflow 0
		.amdhsa_exception_fp_ieee_underflow 0
		.amdhsa_exception_fp_ieee_inexact 0
		.amdhsa_exception_int_div_zero 0
	.end_amdhsa_kernel
	.section	.text._ZN7rocprim17ROCPRIM_400000_NS6detail17trampoline_kernelINS0_13select_configILj256ELj13ELNS0_17block_load_methodE3ELS4_3ELS4_3ELNS0_20block_scan_algorithmE0ELj4294967295EEENS1_25partition_config_selectorILNS1_17partition_subalgoE3EjNS0_10empty_typeEbEEZZNS1_14partition_implILS8_3ELb0ES6_jNS0_17counting_iteratorIjlEEPS9_SE_NS0_5tupleIJPjSE_EEENSF_IJSE_SE_EEES9_SG_JZNS1_25segmented_radix_sort_implINS0_14default_configELb1EPK6__halfPSL_PKlPlN2at6native12_GLOBAL__N_18offset_tEEE10hipError_tPvRmT1_PNSt15iterator_traitsISZ_E10value_typeET2_T3_PNS10_IS15_E10value_typeET4_jRbjT5_S1B_jjP12ihipStream_tbEUljE_EEESW_SX_SY_S15_S19_S1B_T6_T7_T9_mT8_S1D_bDpT10_ENKUlT_T0_E_clISt17integral_constantIbLb1EES1P_IbLb0EEEEDaS1L_S1M_EUlS1L_E_NS1_11comp_targetILNS1_3genE8ELNS1_11target_archE1030ELNS1_3gpuE2ELNS1_3repE0EEENS1_30default_config_static_selectorELNS0_4arch9wavefront6targetE0EEEvSZ_,"axG",@progbits,_ZN7rocprim17ROCPRIM_400000_NS6detail17trampoline_kernelINS0_13select_configILj256ELj13ELNS0_17block_load_methodE3ELS4_3ELS4_3ELNS0_20block_scan_algorithmE0ELj4294967295EEENS1_25partition_config_selectorILNS1_17partition_subalgoE3EjNS0_10empty_typeEbEEZZNS1_14partition_implILS8_3ELb0ES6_jNS0_17counting_iteratorIjlEEPS9_SE_NS0_5tupleIJPjSE_EEENSF_IJSE_SE_EEES9_SG_JZNS1_25segmented_radix_sort_implINS0_14default_configELb1EPK6__halfPSL_PKlPlN2at6native12_GLOBAL__N_18offset_tEEE10hipError_tPvRmT1_PNSt15iterator_traitsISZ_E10value_typeET2_T3_PNS10_IS15_E10value_typeET4_jRbjT5_S1B_jjP12ihipStream_tbEUljE_EEESW_SX_SY_S15_S19_S1B_T6_T7_T9_mT8_S1D_bDpT10_ENKUlT_T0_E_clISt17integral_constantIbLb1EES1P_IbLb0EEEEDaS1L_S1M_EUlS1L_E_NS1_11comp_targetILNS1_3genE8ELNS1_11target_archE1030ELNS1_3gpuE2ELNS1_3repE0EEENS1_30default_config_static_selectorELNS0_4arch9wavefront6targetE0EEEvSZ_,comdat
.Lfunc_end1730:
	.size	_ZN7rocprim17ROCPRIM_400000_NS6detail17trampoline_kernelINS0_13select_configILj256ELj13ELNS0_17block_load_methodE3ELS4_3ELS4_3ELNS0_20block_scan_algorithmE0ELj4294967295EEENS1_25partition_config_selectorILNS1_17partition_subalgoE3EjNS0_10empty_typeEbEEZZNS1_14partition_implILS8_3ELb0ES6_jNS0_17counting_iteratorIjlEEPS9_SE_NS0_5tupleIJPjSE_EEENSF_IJSE_SE_EEES9_SG_JZNS1_25segmented_radix_sort_implINS0_14default_configELb1EPK6__halfPSL_PKlPlN2at6native12_GLOBAL__N_18offset_tEEE10hipError_tPvRmT1_PNSt15iterator_traitsISZ_E10value_typeET2_T3_PNS10_IS15_E10value_typeET4_jRbjT5_S1B_jjP12ihipStream_tbEUljE_EEESW_SX_SY_S15_S19_S1B_T6_T7_T9_mT8_S1D_bDpT10_ENKUlT_T0_E_clISt17integral_constantIbLb1EES1P_IbLb0EEEEDaS1L_S1M_EUlS1L_E_NS1_11comp_targetILNS1_3genE8ELNS1_11target_archE1030ELNS1_3gpuE2ELNS1_3repE0EEENS1_30default_config_static_selectorELNS0_4arch9wavefront6targetE0EEEvSZ_, .Lfunc_end1730-_ZN7rocprim17ROCPRIM_400000_NS6detail17trampoline_kernelINS0_13select_configILj256ELj13ELNS0_17block_load_methodE3ELS4_3ELS4_3ELNS0_20block_scan_algorithmE0ELj4294967295EEENS1_25partition_config_selectorILNS1_17partition_subalgoE3EjNS0_10empty_typeEbEEZZNS1_14partition_implILS8_3ELb0ES6_jNS0_17counting_iteratorIjlEEPS9_SE_NS0_5tupleIJPjSE_EEENSF_IJSE_SE_EEES9_SG_JZNS1_25segmented_radix_sort_implINS0_14default_configELb1EPK6__halfPSL_PKlPlN2at6native12_GLOBAL__N_18offset_tEEE10hipError_tPvRmT1_PNSt15iterator_traitsISZ_E10value_typeET2_T3_PNS10_IS15_E10value_typeET4_jRbjT5_S1B_jjP12ihipStream_tbEUljE_EEESW_SX_SY_S15_S19_S1B_T6_T7_T9_mT8_S1D_bDpT10_ENKUlT_T0_E_clISt17integral_constantIbLb1EES1P_IbLb0EEEEDaS1L_S1M_EUlS1L_E_NS1_11comp_targetILNS1_3genE8ELNS1_11target_archE1030ELNS1_3gpuE2ELNS1_3repE0EEENS1_30default_config_static_selectorELNS0_4arch9wavefront6targetE0EEEvSZ_
                                        ; -- End function
	.set _ZN7rocprim17ROCPRIM_400000_NS6detail17trampoline_kernelINS0_13select_configILj256ELj13ELNS0_17block_load_methodE3ELS4_3ELS4_3ELNS0_20block_scan_algorithmE0ELj4294967295EEENS1_25partition_config_selectorILNS1_17partition_subalgoE3EjNS0_10empty_typeEbEEZZNS1_14partition_implILS8_3ELb0ES6_jNS0_17counting_iteratorIjlEEPS9_SE_NS0_5tupleIJPjSE_EEENSF_IJSE_SE_EEES9_SG_JZNS1_25segmented_radix_sort_implINS0_14default_configELb1EPK6__halfPSL_PKlPlN2at6native12_GLOBAL__N_18offset_tEEE10hipError_tPvRmT1_PNSt15iterator_traitsISZ_E10value_typeET2_T3_PNS10_IS15_E10value_typeET4_jRbjT5_S1B_jjP12ihipStream_tbEUljE_EEESW_SX_SY_S15_S19_S1B_T6_T7_T9_mT8_S1D_bDpT10_ENKUlT_T0_E_clISt17integral_constantIbLb1EES1P_IbLb0EEEEDaS1L_S1M_EUlS1L_E_NS1_11comp_targetILNS1_3genE8ELNS1_11target_archE1030ELNS1_3gpuE2ELNS1_3repE0EEENS1_30default_config_static_selectorELNS0_4arch9wavefront6targetE0EEEvSZ_.num_vgpr, 0
	.set _ZN7rocprim17ROCPRIM_400000_NS6detail17trampoline_kernelINS0_13select_configILj256ELj13ELNS0_17block_load_methodE3ELS4_3ELS4_3ELNS0_20block_scan_algorithmE0ELj4294967295EEENS1_25partition_config_selectorILNS1_17partition_subalgoE3EjNS0_10empty_typeEbEEZZNS1_14partition_implILS8_3ELb0ES6_jNS0_17counting_iteratorIjlEEPS9_SE_NS0_5tupleIJPjSE_EEENSF_IJSE_SE_EEES9_SG_JZNS1_25segmented_radix_sort_implINS0_14default_configELb1EPK6__halfPSL_PKlPlN2at6native12_GLOBAL__N_18offset_tEEE10hipError_tPvRmT1_PNSt15iterator_traitsISZ_E10value_typeET2_T3_PNS10_IS15_E10value_typeET4_jRbjT5_S1B_jjP12ihipStream_tbEUljE_EEESW_SX_SY_S15_S19_S1B_T6_T7_T9_mT8_S1D_bDpT10_ENKUlT_T0_E_clISt17integral_constantIbLb1EES1P_IbLb0EEEEDaS1L_S1M_EUlS1L_E_NS1_11comp_targetILNS1_3genE8ELNS1_11target_archE1030ELNS1_3gpuE2ELNS1_3repE0EEENS1_30default_config_static_selectorELNS0_4arch9wavefront6targetE0EEEvSZ_.num_agpr, 0
	.set _ZN7rocprim17ROCPRIM_400000_NS6detail17trampoline_kernelINS0_13select_configILj256ELj13ELNS0_17block_load_methodE3ELS4_3ELS4_3ELNS0_20block_scan_algorithmE0ELj4294967295EEENS1_25partition_config_selectorILNS1_17partition_subalgoE3EjNS0_10empty_typeEbEEZZNS1_14partition_implILS8_3ELb0ES6_jNS0_17counting_iteratorIjlEEPS9_SE_NS0_5tupleIJPjSE_EEENSF_IJSE_SE_EEES9_SG_JZNS1_25segmented_radix_sort_implINS0_14default_configELb1EPK6__halfPSL_PKlPlN2at6native12_GLOBAL__N_18offset_tEEE10hipError_tPvRmT1_PNSt15iterator_traitsISZ_E10value_typeET2_T3_PNS10_IS15_E10value_typeET4_jRbjT5_S1B_jjP12ihipStream_tbEUljE_EEESW_SX_SY_S15_S19_S1B_T6_T7_T9_mT8_S1D_bDpT10_ENKUlT_T0_E_clISt17integral_constantIbLb1EES1P_IbLb0EEEEDaS1L_S1M_EUlS1L_E_NS1_11comp_targetILNS1_3genE8ELNS1_11target_archE1030ELNS1_3gpuE2ELNS1_3repE0EEENS1_30default_config_static_selectorELNS0_4arch9wavefront6targetE0EEEvSZ_.numbered_sgpr, 0
	.set _ZN7rocprim17ROCPRIM_400000_NS6detail17trampoline_kernelINS0_13select_configILj256ELj13ELNS0_17block_load_methodE3ELS4_3ELS4_3ELNS0_20block_scan_algorithmE0ELj4294967295EEENS1_25partition_config_selectorILNS1_17partition_subalgoE3EjNS0_10empty_typeEbEEZZNS1_14partition_implILS8_3ELb0ES6_jNS0_17counting_iteratorIjlEEPS9_SE_NS0_5tupleIJPjSE_EEENSF_IJSE_SE_EEES9_SG_JZNS1_25segmented_radix_sort_implINS0_14default_configELb1EPK6__halfPSL_PKlPlN2at6native12_GLOBAL__N_18offset_tEEE10hipError_tPvRmT1_PNSt15iterator_traitsISZ_E10value_typeET2_T3_PNS10_IS15_E10value_typeET4_jRbjT5_S1B_jjP12ihipStream_tbEUljE_EEESW_SX_SY_S15_S19_S1B_T6_T7_T9_mT8_S1D_bDpT10_ENKUlT_T0_E_clISt17integral_constantIbLb1EES1P_IbLb0EEEEDaS1L_S1M_EUlS1L_E_NS1_11comp_targetILNS1_3genE8ELNS1_11target_archE1030ELNS1_3gpuE2ELNS1_3repE0EEENS1_30default_config_static_selectorELNS0_4arch9wavefront6targetE0EEEvSZ_.num_named_barrier, 0
	.set _ZN7rocprim17ROCPRIM_400000_NS6detail17trampoline_kernelINS0_13select_configILj256ELj13ELNS0_17block_load_methodE3ELS4_3ELS4_3ELNS0_20block_scan_algorithmE0ELj4294967295EEENS1_25partition_config_selectorILNS1_17partition_subalgoE3EjNS0_10empty_typeEbEEZZNS1_14partition_implILS8_3ELb0ES6_jNS0_17counting_iteratorIjlEEPS9_SE_NS0_5tupleIJPjSE_EEENSF_IJSE_SE_EEES9_SG_JZNS1_25segmented_radix_sort_implINS0_14default_configELb1EPK6__halfPSL_PKlPlN2at6native12_GLOBAL__N_18offset_tEEE10hipError_tPvRmT1_PNSt15iterator_traitsISZ_E10value_typeET2_T3_PNS10_IS15_E10value_typeET4_jRbjT5_S1B_jjP12ihipStream_tbEUljE_EEESW_SX_SY_S15_S19_S1B_T6_T7_T9_mT8_S1D_bDpT10_ENKUlT_T0_E_clISt17integral_constantIbLb1EES1P_IbLb0EEEEDaS1L_S1M_EUlS1L_E_NS1_11comp_targetILNS1_3genE8ELNS1_11target_archE1030ELNS1_3gpuE2ELNS1_3repE0EEENS1_30default_config_static_selectorELNS0_4arch9wavefront6targetE0EEEvSZ_.private_seg_size, 0
	.set _ZN7rocprim17ROCPRIM_400000_NS6detail17trampoline_kernelINS0_13select_configILj256ELj13ELNS0_17block_load_methodE3ELS4_3ELS4_3ELNS0_20block_scan_algorithmE0ELj4294967295EEENS1_25partition_config_selectorILNS1_17partition_subalgoE3EjNS0_10empty_typeEbEEZZNS1_14partition_implILS8_3ELb0ES6_jNS0_17counting_iteratorIjlEEPS9_SE_NS0_5tupleIJPjSE_EEENSF_IJSE_SE_EEES9_SG_JZNS1_25segmented_radix_sort_implINS0_14default_configELb1EPK6__halfPSL_PKlPlN2at6native12_GLOBAL__N_18offset_tEEE10hipError_tPvRmT1_PNSt15iterator_traitsISZ_E10value_typeET2_T3_PNS10_IS15_E10value_typeET4_jRbjT5_S1B_jjP12ihipStream_tbEUljE_EEESW_SX_SY_S15_S19_S1B_T6_T7_T9_mT8_S1D_bDpT10_ENKUlT_T0_E_clISt17integral_constantIbLb1EES1P_IbLb0EEEEDaS1L_S1M_EUlS1L_E_NS1_11comp_targetILNS1_3genE8ELNS1_11target_archE1030ELNS1_3gpuE2ELNS1_3repE0EEENS1_30default_config_static_selectorELNS0_4arch9wavefront6targetE0EEEvSZ_.uses_vcc, 0
	.set _ZN7rocprim17ROCPRIM_400000_NS6detail17trampoline_kernelINS0_13select_configILj256ELj13ELNS0_17block_load_methodE3ELS4_3ELS4_3ELNS0_20block_scan_algorithmE0ELj4294967295EEENS1_25partition_config_selectorILNS1_17partition_subalgoE3EjNS0_10empty_typeEbEEZZNS1_14partition_implILS8_3ELb0ES6_jNS0_17counting_iteratorIjlEEPS9_SE_NS0_5tupleIJPjSE_EEENSF_IJSE_SE_EEES9_SG_JZNS1_25segmented_radix_sort_implINS0_14default_configELb1EPK6__halfPSL_PKlPlN2at6native12_GLOBAL__N_18offset_tEEE10hipError_tPvRmT1_PNSt15iterator_traitsISZ_E10value_typeET2_T3_PNS10_IS15_E10value_typeET4_jRbjT5_S1B_jjP12ihipStream_tbEUljE_EEESW_SX_SY_S15_S19_S1B_T6_T7_T9_mT8_S1D_bDpT10_ENKUlT_T0_E_clISt17integral_constantIbLb1EES1P_IbLb0EEEEDaS1L_S1M_EUlS1L_E_NS1_11comp_targetILNS1_3genE8ELNS1_11target_archE1030ELNS1_3gpuE2ELNS1_3repE0EEENS1_30default_config_static_selectorELNS0_4arch9wavefront6targetE0EEEvSZ_.uses_flat_scratch, 0
	.set _ZN7rocprim17ROCPRIM_400000_NS6detail17trampoline_kernelINS0_13select_configILj256ELj13ELNS0_17block_load_methodE3ELS4_3ELS4_3ELNS0_20block_scan_algorithmE0ELj4294967295EEENS1_25partition_config_selectorILNS1_17partition_subalgoE3EjNS0_10empty_typeEbEEZZNS1_14partition_implILS8_3ELb0ES6_jNS0_17counting_iteratorIjlEEPS9_SE_NS0_5tupleIJPjSE_EEENSF_IJSE_SE_EEES9_SG_JZNS1_25segmented_radix_sort_implINS0_14default_configELb1EPK6__halfPSL_PKlPlN2at6native12_GLOBAL__N_18offset_tEEE10hipError_tPvRmT1_PNSt15iterator_traitsISZ_E10value_typeET2_T3_PNS10_IS15_E10value_typeET4_jRbjT5_S1B_jjP12ihipStream_tbEUljE_EEESW_SX_SY_S15_S19_S1B_T6_T7_T9_mT8_S1D_bDpT10_ENKUlT_T0_E_clISt17integral_constantIbLb1EES1P_IbLb0EEEEDaS1L_S1M_EUlS1L_E_NS1_11comp_targetILNS1_3genE8ELNS1_11target_archE1030ELNS1_3gpuE2ELNS1_3repE0EEENS1_30default_config_static_selectorELNS0_4arch9wavefront6targetE0EEEvSZ_.has_dyn_sized_stack, 0
	.set _ZN7rocprim17ROCPRIM_400000_NS6detail17trampoline_kernelINS0_13select_configILj256ELj13ELNS0_17block_load_methodE3ELS4_3ELS4_3ELNS0_20block_scan_algorithmE0ELj4294967295EEENS1_25partition_config_selectorILNS1_17partition_subalgoE3EjNS0_10empty_typeEbEEZZNS1_14partition_implILS8_3ELb0ES6_jNS0_17counting_iteratorIjlEEPS9_SE_NS0_5tupleIJPjSE_EEENSF_IJSE_SE_EEES9_SG_JZNS1_25segmented_radix_sort_implINS0_14default_configELb1EPK6__halfPSL_PKlPlN2at6native12_GLOBAL__N_18offset_tEEE10hipError_tPvRmT1_PNSt15iterator_traitsISZ_E10value_typeET2_T3_PNS10_IS15_E10value_typeET4_jRbjT5_S1B_jjP12ihipStream_tbEUljE_EEESW_SX_SY_S15_S19_S1B_T6_T7_T9_mT8_S1D_bDpT10_ENKUlT_T0_E_clISt17integral_constantIbLb1EES1P_IbLb0EEEEDaS1L_S1M_EUlS1L_E_NS1_11comp_targetILNS1_3genE8ELNS1_11target_archE1030ELNS1_3gpuE2ELNS1_3repE0EEENS1_30default_config_static_selectorELNS0_4arch9wavefront6targetE0EEEvSZ_.has_recursion, 0
	.set _ZN7rocprim17ROCPRIM_400000_NS6detail17trampoline_kernelINS0_13select_configILj256ELj13ELNS0_17block_load_methodE3ELS4_3ELS4_3ELNS0_20block_scan_algorithmE0ELj4294967295EEENS1_25partition_config_selectorILNS1_17partition_subalgoE3EjNS0_10empty_typeEbEEZZNS1_14partition_implILS8_3ELb0ES6_jNS0_17counting_iteratorIjlEEPS9_SE_NS0_5tupleIJPjSE_EEENSF_IJSE_SE_EEES9_SG_JZNS1_25segmented_radix_sort_implINS0_14default_configELb1EPK6__halfPSL_PKlPlN2at6native12_GLOBAL__N_18offset_tEEE10hipError_tPvRmT1_PNSt15iterator_traitsISZ_E10value_typeET2_T3_PNS10_IS15_E10value_typeET4_jRbjT5_S1B_jjP12ihipStream_tbEUljE_EEESW_SX_SY_S15_S19_S1B_T6_T7_T9_mT8_S1D_bDpT10_ENKUlT_T0_E_clISt17integral_constantIbLb1EES1P_IbLb0EEEEDaS1L_S1M_EUlS1L_E_NS1_11comp_targetILNS1_3genE8ELNS1_11target_archE1030ELNS1_3gpuE2ELNS1_3repE0EEENS1_30default_config_static_selectorELNS0_4arch9wavefront6targetE0EEEvSZ_.has_indirect_call, 0
	.section	.AMDGPU.csdata,"",@progbits
; Kernel info:
; codeLenInByte = 0
; TotalNumSgprs: 0
; NumVgprs: 0
; ScratchSize: 0
; MemoryBound: 0
; FloatMode: 240
; IeeeMode: 1
; LDSByteSize: 0 bytes/workgroup (compile time only)
; SGPRBlocks: 0
; VGPRBlocks: 0
; NumSGPRsForWavesPerEU: 1
; NumVGPRsForWavesPerEU: 1
; Occupancy: 16
; WaveLimiterHint : 0
; COMPUTE_PGM_RSRC2:SCRATCH_EN: 0
; COMPUTE_PGM_RSRC2:USER_SGPR: 2
; COMPUTE_PGM_RSRC2:TRAP_HANDLER: 0
; COMPUTE_PGM_RSRC2:TGID_X_EN: 1
; COMPUTE_PGM_RSRC2:TGID_Y_EN: 0
; COMPUTE_PGM_RSRC2:TGID_Z_EN: 0
; COMPUTE_PGM_RSRC2:TIDIG_COMP_CNT: 0
	.section	.text._ZN7rocprim17ROCPRIM_400000_NS6detail17trampoline_kernelINS0_13select_configILj256ELj13ELNS0_17block_load_methodE3ELS4_3ELS4_3ELNS0_20block_scan_algorithmE0ELj4294967295EEENS1_25partition_config_selectorILNS1_17partition_subalgoE3EjNS0_10empty_typeEbEEZZNS1_14partition_implILS8_3ELb0ES6_jNS0_17counting_iteratorIjlEEPS9_SE_NS0_5tupleIJPjSE_EEENSF_IJSE_SE_EEES9_SG_JZNS1_25segmented_radix_sort_implINS0_14default_configELb1EPK6__halfPSL_PKlPlN2at6native12_GLOBAL__N_18offset_tEEE10hipError_tPvRmT1_PNSt15iterator_traitsISZ_E10value_typeET2_T3_PNS10_IS15_E10value_typeET4_jRbjT5_S1B_jjP12ihipStream_tbEUljE_EEESW_SX_SY_S15_S19_S1B_T6_T7_T9_mT8_S1D_bDpT10_ENKUlT_T0_E_clISt17integral_constantIbLb0EES1P_IbLb1EEEEDaS1L_S1M_EUlS1L_E_NS1_11comp_targetILNS1_3genE0ELNS1_11target_archE4294967295ELNS1_3gpuE0ELNS1_3repE0EEENS1_30default_config_static_selectorELNS0_4arch9wavefront6targetE0EEEvSZ_,"axG",@progbits,_ZN7rocprim17ROCPRIM_400000_NS6detail17trampoline_kernelINS0_13select_configILj256ELj13ELNS0_17block_load_methodE3ELS4_3ELS4_3ELNS0_20block_scan_algorithmE0ELj4294967295EEENS1_25partition_config_selectorILNS1_17partition_subalgoE3EjNS0_10empty_typeEbEEZZNS1_14partition_implILS8_3ELb0ES6_jNS0_17counting_iteratorIjlEEPS9_SE_NS0_5tupleIJPjSE_EEENSF_IJSE_SE_EEES9_SG_JZNS1_25segmented_radix_sort_implINS0_14default_configELb1EPK6__halfPSL_PKlPlN2at6native12_GLOBAL__N_18offset_tEEE10hipError_tPvRmT1_PNSt15iterator_traitsISZ_E10value_typeET2_T3_PNS10_IS15_E10value_typeET4_jRbjT5_S1B_jjP12ihipStream_tbEUljE_EEESW_SX_SY_S15_S19_S1B_T6_T7_T9_mT8_S1D_bDpT10_ENKUlT_T0_E_clISt17integral_constantIbLb0EES1P_IbLb1EEEEDaS1L_S1M_EUlS1L_E_NS1_11comp_targetILNS1_3genE0ELNS1_11target_archE4294967295ELNS1_3gpuE0ELNS1_3repE0EEENS1_30default_config_static_selectorELNS0_4arch9wavefront6targetE0EEEvSZ_,comdat
	.globl	_ZN7rocprim17ROCPRIM_400000_NS6detail17trampoline_kernelINS0_13select_configILj256ELj13ELNS0_17block_load_methodE3ELS4_3ELS4_3ELNS0_20block_scan_algorithmE0ELj4294967295EEENS1_25partition_config_selectorILNS1_17partition_subalgoE3EjNS0_10empty_typeEbEEZZNS1_14partition_implILS8_3ELb0ES6_jNS0_17counting_iteratorIjlEEPS9_SE_NS0_5tupleIJPjSE_EEENSF_IJSE_SE_EEES9_SG_JZNS1_25segmented_radix_sort_implINS0_14default_configELb1EPK6__halfPSL_PKlPlN2at6native12_GLOBAL__N_18offset_tEEE10hipError_tPvRmT1_PNSt15iterator_traitsISZ_E10value_typeET2_T3_PNS10_IS15_E10value_typeET4_jRbjT5_S1B_jjP12ihipStream_tbEUljE_EEESW_SX_SY_S15_S19_S1B_T6_T7_T9_mT8_S1D_bDpT10_ENKUlT_T0_E_clISt17integral_constantIbLb0EES1P_IbLb1EEEEDaS1L_S1M_EUlS1L_E_NS1_11comp_targetILNS1_3genE0ELNS1_11target_archE4294967295ELNS1_3gpuE0ELNS1_3repE0EEENS1_30default_config_static_selectorELNS0_4arch9wavefront6targetE0EEEvSZ_ ; -- Begin function _ZN7rocprim17ROCPRIM_400000_NS6detail17trampoline_kernelINS0_13select_configILj256ELj13ELNS0_17block_load_methodE3ELS4_3ELS4_3ELNS0_20block_scan_algorithmE0ELj4294967295EEENS1_25partition_config_selectorILNS1_17partition_subalgoE3EjNS0_10empty_typeEbEEZZNS1_14partition_implILS8_3ELb0ES6_jNS0_17counting_iteratorIjlEEPS9_SE_NS0_5tupleIJPjSE_EEENSF_IJSE_SE_EEES9_SG_JZNS1_25segmented_radix_sort_implINS0_14default_configELb1EPK6__halfPSL_PKlPlN2at6native12_GLOBAL__N_18offset_tEEE10hipError_tPvRmT1_PNSt15iterator_traitsISZ_E10value_typeET2_T3_PNS10_IS15_E10value_typeET4_jRbjT5_S1B_jjP12ihipStream_tbEUljE_EEESW_SX_SY_S15_S19_S1B_T6_T7_T9_mT8_S1D_bDpT10_ENKUlT_T0_E_clISt17integral_constantIbLb0EES1P_IbLb1EEEEDaS1L_S1M_EUlS1L_E_NS1_11comp_targetILNS1_3genE0ELNS1_11target_archE4294967295ELNS1_3gpuE0ELNS1_3repE0EEENS1_30default_config_static_selectorELNS0_4arch9wavefront6targetE0EEEvSZ_
	.p2align	8
	.type	_ZN7rocprim17ROCPRIM_400000_NS6detail17trampoline_kernelINS0_13select_configILj256ELj13ELNS0_17block_load_methodE3ELS4_3ELS4_3ELNS0_20block_scan_algorithmE0ELj4294967295EEENS1_25partition_config_selectorILNS1_17partition_subalgoE3EjNS0_10empty_typeEbEEZZNS1_14partition_implILS8_3ELb0ES6_jNS0_17counting_iteratorIjlEEPS9_SE_NS0_5tupleIJPjSE_EEENSF_IJSE_SE_EEES9_SG_JZNS1_25segmented_radix_sort_implINS0_14default_configELb1EPK6__halfPSL_PKlPlN2at6native12_GLOBAL__N_18offset_tEEE10hipError_tPvRmT1_PNSt15iterator_traitsISZ_E10value_typeET2_T3_PNS10_IS15_E10value_typeET4_jRbjT5_S1B_jjP12ihipStream_tbEUljE_EEESW_SX_SY_S15_S19_S1B_T6_T7_T9_mT8_S1D_bDpT10_ENKUlT_T0_E_clISt17integral_constantIbLb0EES1P_IbLb1EEEEDaS1L_S1M_EUlS1L_E_NS1_11comp_targetILNS1_3genE0ELNS1_11target_archE4294967295ELNS1_3gpuE0ELNS1_3repE0EEENS1_30default_config_static_selectorELNS0_4arch9wavefront6targetE0EEEvSZ_,@function
_ZN7rocprim17ROCPRIM_400000_NS6detail17trampoline_kernelINS0_13select_configILj256ELj13ELNS0_17block_load_methodE3ELS4_3ELS4_3ELNS0_20block_scan_algorithmE0ELj4294967295EEENS1_25partition_config_selectorILNS1_17partition_subalgoE3EjNS0_10empty_typeEbEEZZNS1_14partition_implILS8_3ELb0ES6_jNS0_17counting_iteratorIjlEEPS9_SE_NS0_5tupleIJPjSE_EEENSF_IJSE_SE_EEES9_SG_JZNS1_25segmented_radix_sort_implINS0_14default_configELb1EPK6__halfPSL_PKlPlN2at6native12_GLOBAL__N_18offset_tEEE10hipError_tPvRmT1_PNSt15iterator_traitsISZ_E10value_typeET2_T3_PNS10_IS15_E10value_typeET4_jRbjT5_S1B_jjP12ihipStream_tbEUljE_EEESW_SX_SY_S15_S19_S1B_T6_T7_T9_mT8_S1D_bDpT10_ENKUlT_T0_E_clISt17integral_constantIbLb0EES1P_IbLb1EEEEDaS1L_S1M_EUlS1L_E_NS1_11comp_targetILNS1_3genE0ELNS1_11target_archE4294967295ELNS1_3gpuE0ELNS1_3repE0EEENS1_30default_config_static_selectorELNS0_4arch9wavefront6targetE0EEEvSZ_: ; @_ZN7rocprim17ROCPRIM_400000_NS6detail17trampoline_kernelINS0_13select_configILj256ELj13ELNS0_17block_load_methodE3ELS4_3ELS4_3ELNS0_20block_scan_algorithmE0ELj4294967295EEENS1_25partition_config_selectorILNS1_17partition_subalgoE3EjNS0_10empty_typeEbEEZZNS1_14partition_implILS8_3ELb0ES6_jNS0_17counting_iteratorIjlEEPS9_SE_NS0_5tupleIJPjSE_EEENSF_IJSE_SE_EEES9_SG_JZNS1_25segmented_radix_sort_implINS0_14default_configELb1EPK6__halfPSL_PKlPlN2at6native12_GLOBAL__N_18offset_tEEE10hipError_tPvRmT1_PNSt15iterator_traitsISZ_E10value_typeET2_T3_PNS10_IS15_E10value_typeET4_jRbjT5_S1B_jjP12ihipStream_tbEUljE_EEESW_SX_SY_S15_S19_S1B_T6_T7_T9_mT8_S1D_bDpT10_ENKUlT_T0_E_clISt17integral_constantIbLb0EES1P_IbLb1EEEEDaS1L_S1M_EUlS1L_E_NS1_11comp_targetILNS1_3genE0ELNS1_11target_archE4294967295ELNS1_3gpuE0ELNS1_3repE0EEENS1_30default_config_static_selectorELNS0_4arch9wavefront6targetE0EEEvSZ_
; %bb.0:
	.section	.rodata,"a",@progbits
	.p2align	6, 0x0
	.amdhsa_kernel _ZN7rocprim17ROCPRIM_400000_NS6detail17trampoline_kernelINS0_13select_configILj256ELj13ELNS0_17block_load_methodE3ELS4_3ELS4_3ELNS0_20block_scan_algorithmE0ELj4294967295EEENS1_25partition_config_selectorILNS1_17partition_subalgoE3EjNS0_10empty_typeEbEEZZNS1_14partition_implILS8_3ELb0ES6_jNS0_17counting_iteratorIjlEEPS9_SE_NS0_5tupleIJPjSE_EEENSF_IJSE_SE_EEES9_SG_JZNS1_25segmented_radix_sort_implINS0_14default_configELb1EPK6__halfPSL_PKlPlN2at6native12_GLOBAL__N_18offset_tEEE10hipError_tPvRmT1_PNSt15iterator_traitsISZ_E10value_typeET2_T3_PNS10_IS15_E10value_typeET4_jRbjT5_S1B_jjP12ihipStream_tbEUljE_EEESW_SX_SY_S15_S19_S1B_T6_T7_T9_mT8_S1D_bDpT10_ENKUlT_T0_E_clISt17integral_constantIbLb0EES1P_IbLb1EEEEDaS1L_S1M_EUlS1L_E_NS1_11comp_targetILNS1_3genE0ELNS1_11target_archE4294967295ELNS1_3gpuE0ELNS1_3repE0EEENS1_30default_config_static_selectorELNS0_4arch9wavefront6targetE0EEEvSZ_
		.amdhsa_group_segment_fixed_size 0
		.amdhsa_private_segment_fixed_size 0
		.amdhsa_kernarg_size 152
		.amdhsa_user_sgpr_count 2
		.amdhsa_user_sgpr_dispatch_ptr 0
		.amdhsa_user_sgpr_queue_ptr 0
		.amdhsa_user_sgpr_kernarg_segment_ptr 1
		.amdhsa_user_sgpr_dispatch_id 0
		.amdhsa_user_sgpr_private_segment_size 0
		.amdhsa_wavefront_size32 1
		.amdhsa_uses_dynamic_stack 0
		.amdhsa_enable_private_segment 0
		.amdhsa_system_sgpr_workgroup_id_x 1
		.amdhsa_system_sgpr_workgroup_id_y 0
		.amdhsa_system_sgpr_workgroup_id_z 0
		.amdhsa_system_sgpr_workgroup_info 0
		.amdhsa_system_vgpr_workitem_id 0
		.amdhsa_next_free_vgpr 1
		.amdhsa_next_free_sgpr 1
		.amdhsa_reserve_vcc 0
		.amdhsa_float_round_mode_32 0
		.amdhsa_float_round_mode_16_64 0
		.amdhsa_float_denorm_mode_32 3
		.amdhsa_float_denorm_mode_16_64 3
		.amdhsa_fp16_overflow 0
		.amdhsa_workgroup_processor_mode 1
		.amdhsa_memory_ordered 1
		.amdhsa_forward_progress 1
		.amdhsa_inst_pref_size 0
		.amdhsa_round_robin_scheduling 0
		.amdhsa_exception_fp_ieee_invalid_op 0
		.amdhsa_exception_fp_denorm_src 0
		.amdhsa_exception_fp_ieee_div_zero 0
		.amdhsa_exception_fp_ieee_overflow 0
		.amdhsa_exception_fp_ieee_underflow 0
		.amdhsa_exception_fp_ieee_inexact 0
		.amdhsa_exception_int_div_zero 0
	.end_amdhsa_kernel
	.section	.text._ZN7rocprim17ROCPRIM_400000_NS6detail17trampoline_kernelINS0_13select_configILj256ELj13ELNS0_17block_load_methodE3ELS4_3ELS4_3ELNS0_20block_scan_algorithmE0ELj4294967295EEENS1_25partition_config_selectorILNS1_17partition_subalgoE3EjNS0_10empty_typeEbEEZZNS1_14partition_implILS8_3ELb0ES6_jNS0_17counting_iteratorIjlEEPS9_SE_NS0_5tupleIJPjSE_EEENSF_IJSE_SE_EEES9_SG_JZNS1_25segmented_radix_sort_implINS0_14default_configELb1EPK6__halfPSL_PKlPlN2at6native12_GLOBAL__N_18offset_tEEE10hipError_tPvRmT1_PNSt15iterator_traitsISZ_E10value_typeET2_T3_PNS10_IS15_E10value_typeET4_jRbjT5_S1B_jjP12ihipStream_tbEUljE_EEESW_SX_SY_S15_S19_S1B_T6_T7_T9_mT8_S1D_bDpT10_ENKUlT_T0_E_clISt17integral_constantIbLb0EES1P_IbLb1EEEEDaS1L_S1M_EUlS1L_E_NS1_11comp_targetILNS1_3genE0ELNS1_11target_archE4294967295ELNS1_3gpuE0ELNS1_3repE0EEENS1_30default_config_static_selectorELNS0_4arch9wavefront6targetE0EEEvSZ_,"axG",@progbits,_ZN7rocprim17ROCPRIM_400000_NS6detail17trampoline_kernelINS0_13select_configILj256ELj13ELNS0_17block_load_methodE3ELS4_3ELS4_3ELNS0_20block_scan_algorithmE0ELj4294967295EEENS1_25partition_config_selectorILNS1_17partition_subalgoE3EjNS0_10empty_typeEbEEZZNS1_14partition_implILS8_3ELb0ES6_jNS0_17counting_iteratorIjlEEPS9_SE_NS0_5tupleIJPjSE_EEENSF_IJSE_SE_EEES9_SG_JZNS1_25segmented_radix_sort_implINS0_14default_configELb1EPK6__halfPSL_PKlPlN2at6native12_GLOBAL__N_18offset_tEEE10hipError_tPvRmT1_PNSt15iterator_traitsISZ_E10value_typeET2_T3_PNS10_IS15_E10value_typeET4_jRbjT5_S1B_jjP12ihipStream_tbEUljE_EEESW_SX_SY_S15_S19_S1B_T6_T7_T9_mT8_S1D_bDpT10_ENKUlT_T0_E_clISt17integral_constantIbLb0EES1P_IbLb1EEEEDaS1L_S1M_EUlS1L_E_NS1_11comp_targetILNS1_3genE0ELNS1_11target_archE4294967295ELNS1_3gpuE0ELNS1_3repE0EEENS1_30default_config_static_selectorELNS0_4arch9wavefront6targetE0EEEvSZ_,comdat
.Lfunc_end1731:
	.size	_ZN7rocprim17ROCPRIM_400000_NS6detail17trampoline_kernelINS0_13select_configILj256ELj13ELNS0_17block_load_methodE3ELS4_3ELS4_3ELNS0_20block_scan_algorithmE0ELj4294967295EEENS1_25partition_config_selectorILNS1_17partition_subalgoE3EjNS0_10empty_typeEbEEZZNS1_14partition_implILS8_3ELb0ES6_jNS0_17counting_iteratorIjlEEPS9_SE_NS0_5tupleIJPjSE_EEENSF_IJSE_SE_EEES9_SG_JZNS1_25segmented_radix_sort_implINS0_14default_configELb1EPK6__halfPSL_PKlPlN2at6native12_GLOBAL__N_18offset_tEEE10hipError_tPvRmT1_PNSt15iterator_traitsISZ_E10value_typeET2_T3_PNS10_IS15_E10value_typeET4_jRbjT5_S1B_jjP12ihipStream_tbEUljE_EEESW_SX_SY_S15_S19_S1B_T6_T7_T9_mT8_S1D_bDpT10_ENKUlT_T0_E_clISt17integral_constantIbLb0EES1P_IbLb1EEEEDaS1L_S1M_EUlS1L_E_NS1_11comp_targetILNS1_3genE0ELNS1_11target_archE4294967295ELNS1_3gpuE0ELNS1_3repE0EEENS1_30default_config_static_selectorELNS0_4arch9wavefront6targetE0EEEvSZ_, .Lfunc_end1731-_ZN7rocprim17ROCPRIM_400000_NS6detail17trampoline_kernelINS0_13select_configILj256ELj13ELNS0_17block_load_methodE3ELS4_3ELS4_3ELNS0_20block_scan_algorithmE0ELj4294967295EEENS1_25partition_config_selectorILNS1_17partition_subalgoE3EjNS0_10empty_typeEbEEZZNS1_14partition_implILS8_3ELb0ES6_jNS0_17counting_iteratorIjlEEPS9_SE_NS0_5tupleIJPjSE_EEENSF_IJSE_SE_EEES9_SG_JZNS1_25segmented_radix_sort_implINS0_14default_configELb1EPK6__halfPSL_PKlPlN2at6native12_GLOBAL__N_18offset_tEEE10hipError_tPvRmT1_PNSt15iterator_traitsISZ_E10value_typeET2_T3_PNS10_IS15_E10value_typeET4_jRbjT5_S1B_jjP12ihipStream_tbEUljE_EEESW_SX_SY_S15_S19_S1B_T6_T7_T9_mT8_S1D_bDpT10_ENKUlT_T0_E_clISt17integral_constantIbLb0EES1P_IbLb1EEEEDaS1L_S1M_EUlS1L_E_NS1_11comp_targetILNS1_3genE0ELNS1_11target_archE4294967295ELNS1_3gpuE0ELNS1_3repE0EEENS1_30default_config_static_selectorELNS0_4arch9wavefront6targetE0EEEvSZ_
                                        ; -- End function
	.set _ZN7rocprim17ROCPRIM_400000_NS6detail17trampoline_kernelINS0_13select_configILj256ELj13ELNS0_17block_load_methodE3ELS4_3ELS4_3ELNS0_20block_scan_algorithmE0ELj4294967295EEENS1_25partition_config_selectorILNS1_17partition_subalgoE3EjNS0_10empty_typeEbEEZZNS1_14partition_implILS8_3ELb0ES6_jNS0_17counting_iteratorIjlEEPS9_SE_NS0_5tupleIJPjSE_EEENSF_IJSE_SE_EEES9_SG_JZNS1_25segmented_radix_sort_implINS0_14default_configELb1EPK6__halfPSL_PKlPlN2at6native12_GLOBAL__N_18offset_tEEE10hipError_tPvRmT1_PNSt15iterator_traitsISZ_E10value_typeET2_T3_PNS10_IS15_E10value_typeET4_jRbjT5_S1B_jjP12ihipStream_tbEUljE_EEESW_SX_SY_S15_S19_S1B_T6_T7_T9_mT8_S1D_bDpT10_ENKUlT_T0_E_clISt17integral_constantIbLb0EES1P_IbLb1EEEEDaS1L_S1M_EUlS1L_E_NS1_11comp_targetILNS1_3genE0ELNS1_11target_archE4294967295ELNS1_3gpuE0ELNS1_3repE0EEENS1_30default_config_static_selectorELNS0_4arch9wavefront6targetE0EEEvSZ_.num_vgpr, 0
	.set _ZN7rocprim17ROCPRIM_400000_NS6detail17trampoline_kernelINS0_13select_configILj256ELj13ELNS0_17block_load_methodE3ELS4_3ELS4_3ELNS0_20block_scan_algorithmE0ELj4294967295EEENS1_25partition_config_selectorILNS1_17partition_subalgoE3EjNS0_10empty_typeEbEEZZNS1_14partition_implILS8_3ELb0ES6_jNS0_17counting_iteratorIjlEEPS9_SE_NS0_5tupleIJPjSE_EEENSF_IJSE_SE_EEES9_SG_JZNS1_25segmented_radix_sort_implINS0_14default_configELb1EPK6__halfPSL_PKlPlN2at6native12_GLOBAL__N_18offset_tEEE10hipError_tPvRmT1_PNSt15iterator_traitsISZ_E10value_typeET2_T3_PNS10_IS15_E10value_typeET4_jRbjT5_S1B_jjP12ihipStream_tbEUljE_EEESW_SX_SY_S15_S19_S1B_T6_T7_T9_mT8_S1D_bDpT10_ENKUlT_T0_E_clISt17integral_constantIbLb0EES1P_IbLb1EEEEDaS1L_S1M_EUlS1L_E_NS1_11comp_targetILNS1_3genE0ELNS1_11target_archE4294967295ELNS1_3gpuE0ELNS1_3repE0EEENS1_30default_config_static_selectorELNS0_4arch9wavefront6targetE0EEEvSZ_.num_agpr, 0
	.set _ZN7rocprim17ROCPRIM_400000_NS6detail17trampoline_kernelINS0_13select_configILj256ELj13ELNS0_17block_load_methodE3ELS4_3ELS4_3ELNS0_20block_scan_algorithmE0ELj4294967295EEENS1_25partition_config_selectorILNS1_17partition_subalgoE3EjNS0_10empty_typeEbEEZZNS1_14partition_implILS8_3ELb0ES6_jNS0_17counting_iteratorIjlEEPS9_SE_NS0_5tupleIJPjSE_EEENSF_IJSE_SE_EEES9_SG_JZNS1_25segmented_radix_sort_implINS0_14default_configELb1EPK6__halfPSL_PKlPlN2at6native12_GLOBAL__N_18offset_tEEE10hipError_tPvRmT1_PNSt15iterator_traitsISZ_E10value_typeET2_T3_PNS10_IS15_E10value_typeET4_jRbjT5_S1B_jjP12ihipStream_tbEUljE_EEESW_SX_SY_S15_S19_S1B_T6_T7_T9_mT8_S1D_bDpT10_ENKUlT_T0_E_clISt17integral_constantIbLb0EES1P_IbLb1EEEEDaS1L_S1M_EUlS1L_E_NS1_11comp_targetILNS1_3genE0ELNS1_11target_archE4294967295ELNS1_3gpuE0ELNS1_3repE0EEENS1_30default_config_static_selectorELNS0_4arch9wavefront6targetE0EEEvSZ_.numbered_sgpr, 0
	.set _ZN7rocprim17ROCPRIM_400000_NS6detail17trampoline_kernelINS0_13select_configILj256ELj13ELNS0_17block_load_methodE3ELS4_3ELS4_3ELNS0_20block_scan_algorithmE0ELj4294967295EEENS1_25partition_config_selectorILNS1_17partition_subalgoE3EjNS0_10empty_typeEbEEZZNS1_14partition_implILS8_3ELb0ES6_jNS0_17counting_iteratorIjlEEPS9_SE_NS0_5tupleIJPjSE_EEENSF_IJSE_SE_EEES9_SG_JZNS1_25segmented_radix_sort_implINS0_14default_configELb1EPK6__halfPSL_PKlPlN2at6native12_GLOBAL__N_18offset_tEEE10hipError_tPvRmT1_PNSt15iterator_traitsISZ_E10value_typeET2_T3_PNS10_IS15_E10value_typeET4_jRbjT5_S1B_jjP12ihipStream_tbEUljE_EEESW_SX_SY_S15_S19_S1B_T6_T7_T9_mT8_S1D_bDpT10_ENKUlT_T0_E_clISt17integral_constantIbLb0EES1P_IbLb1EEEEDaS1L_S1M_EUlS1L_E_NS1_11comp_targetILNS1_3genE0ELNS1_11target_archE4294967295ELNS1_3gpuE0ELNS1_3repE0EEENS1_30default_config_static_selectorELNS0_4arch9wavefront6targetE0EEEvSZ_.num_named_barrier, 0
	.set _ZN7rocprim17ROCPRIM_400000_NS6detail17trampoline_kernelINS0_13select_configILj256ELj13ELNS0_17block_load_methodE3ELS4_3ELS4_3ELNS0_20block_scan_algorithmE0ELj4294967295EEENS1_25partition_config_selectorILNS1_17partition_subalgoE3EjNS0_10empty_typeEbEEZZNS1_14partition_implILS8_3ELb0ES6_jNS0_17counting_iteratorIjlEEPS9_SE_NS0_5tupleIJPjSE_EEENSF_IJSE_SE_EEES9_SG_JZNS1_25segmented_radix_sort_implINS0_14default_configELb1EPK6__halfPSL_PKlPlN2at6native12_GLOBAL__N_18offset_tEEE10hipError_tPvRmT1_PNSt15iterator_traitsISZ_E10value_typeET2_T3_PNS10_IS15_E10value_typeET4_jRbjT5_S1B_jjP12ihipStream_tbEUljE_EEESW_SX_SY_S15_S19_S1B_T6_T7_T9_mT8_S1D_bDpT10_ENKUlT_T0_E_clISt17integral_constantIbLb0EES1P_IbLb1EEEEDaS1L_S1M_EUlS1L_E_NS1_11comp_targetILNS1_3genE0ELNS1_11target_archE4294967295ELNS1_3gpuE0ELNS1_3repE0EEENS1_30default_config_static_selectorELNS0_4arch9wavefront6targetE0EEEvSZ_.private_seg_size, 0
	.set _ZN7rocprim17ROCPRIM_400000_NS6detail17trampoline_kernelINS0_13select_configILj256ELj13ELNS0_17block_load_methodE3ELS4_3ELS4_3ELNS0_20block_scan_algorithmE0ELj4294967295EEENS1_25partition_config_selectorILNS1_17partition_subalgoE3EjNS0_10empty_typeEbEEZZNS1_14partition_implILS8_3ELb0ES6_jNS0_17counting_iteratorIjlEEPS9_SE_NS0_5tupleIJPjSE_EEENSF_IJSE_SE_EEES9_SG_JZNS1_25segmented_radix_sort_implINS0_14default_configELb1EPK6__halfPSL_PKlPlN2at6native12_GLOBAL__N_18offset_tEEE10hipError_tPvRmT1_PNSt15iterator_traitsISZ_E10value_typeET2_T3_PNS10_IS15_E10value_typeET4_jRbjT5_S1B_jjP12ihipStream_tbEUljE_EEESW_SX_SY_S15_S19_S1B_T6_T7_T9_mT8_S1D_bDpT10_ENKUlT_T0_E_clISt17integral_constantIbLb0EES1P_IbLb1EEEEDaS1L_S1M_EUlS1L_E_NS1_11comp_targetILNS1_3genE0ELNS1_11target_archE4294967295ELNS1_3gpuE0ELNS1_3repE0EEENS1_30default_config_static_selectorELNS0_4arch9wavefront6targetE0EEEvSZ_.uses_vcc, 0
	.set _ZN7rocprim17ROCPRIM_400000_NS6detail17trampoline_kernelINS0_13select_configILj256ELj13ELNS0_17block_load_methodE3ELS4_3ELS4_3ELNS0_20block_scan_algorithmE0ELj4294967295EEENS1_25partition_config_selectorILNS1_17partition_subalgoE3EjNS0_10empty_typeEbEEZZNS1_14partition_implILS8_3ELb0ES6_jNS0_17counting_iteratorIjlEEPS9_SE_NS0_5tupleIJPjSE_EEENSF_IJSE_SE_EEES9_SG_JZNS1_25segmented_radix_sort_implINS0_14default_configELb1EPK6__halfPSL_PKlPlN2at6native12_GLOBAL__N_18offset_tEEE10hipError_tPvRmT1_PNSt15iterator_traitsISZ_E10value_typeET2_T3_PNS10_IS15_E10value_typeET4_jRbjT5_S1B_jjP12ihipStream_tbEUljE_EEESW_SX_SY_S15_S19_S1B_T6_T7_T9_mT8_S1D_bDpT10_ENKUlT_T0_E_clISt17integral_constantIbLb0EES1P_IbLb1EEEEDaS1L_S1M_EUlS1L_E_NS1_11comp_targetILNS1_3genE0ELNS1_11target_archE4294967295ELNS1_3gpuE0ELNS1_3repE0EEENS1_30default_config_static_selectorELNS0_4arch9wavefront6targetE0EEEvSZ_.uses_flat_scratch, 0
	.set _ZN7rocprim17ROCPRIM_400000_NS6detail17trampoline_kernelINS0_13select_configILj256ELj13ELNS0_17block_load_methodE3ELS4_3ELS4_3ELNS0_20block_scan_algorithmE0ELj4294967295EEENS1_25partition_config_selectorILNS1_17partition_subalgoE3EjNS0_10empty_typeEbEEZZNS1_14partition_implILS8_3ELb0ES6_jNS0_17counting_iteratorIjlEEPS9_SE_NS0_5tupleIJPjSE_EEENSF_IJSE_SE_EEES9_SG_JZNS1_25segmented_radix_sort_implINS0_14default_configELb1EPK6__halfPSL_PKlPlN2at6native12_GLOBAL__N_18offset_tEEE10hipError_tPvRmT1_PNSt15iterator_traitsISZ_E10value_typeET2_T3_PNS10_IS15_E10value_typeET4_jRbjT5_S1B_jjP12ihipStream_tbEUljE_EEESW_SX_SY_S15_S19_S1B_T6_T7_T9_mT8_S1D_bDpT10_ENKUlT_T0_E_clISt17integral_constantIbLb0EES1P_IbLb1EEEEDaS1L_S1M_EUlS1L_E_NS1_11comp_targetILNS1_3genE0ELNS1_11target_archE4294967295ELNS1_3gpuE0ELNS1_3repE0EEENS1_30default_config_static_selectorELNS0_4arch9wavefront6targetE0EEEvSZ_.has_dyn_sized_stack, 0
	.set _ZN7rocprim17ROCPRIM_400000_NS6detail17trampoline_kernelINS0_13select_configILj256ELj13ELNS0_17block_load_methodE3ELS4_3ELS4_3ELNS0_20block_scan_algorithmE0ELj4294967295EEENS1_25partition_config_selectorILNS1_17partition_subalgoE3EjNS0_10empty_typeEbEEZZNS1_14partition_implILS8_3ELb0ES6_jNS0_17counting_iteratorIjlEEPS9_SE_NS0_5tupleIJPjSE_EEENSF_IJSE_SE_EEES9_SG_JZNS1_25segmented_radix_sort_implINS0_14default_configELb1EPK6__halfPSL_PKlPlN2at6native12_GLOBAL__N_18offset_tEEE10hipError_tPvRmT1_PNSt15iterator_traitsISZ_E10value_typeET2_T3_PNS10_IS15_E10value_typeET4_jRbjT5_S1B_jjP12ihipStream_tbEUljE_EEESW_SX_SY_S15_S19_S1B_T6_T7_T9_mT8_S1D_bDpT10_ENKUlT_T0_E_clISt17integral_constantIbLb0EES1P_IbLb1EEEEDaS1L_S1M_EUlS1L_E_NS1_11comp_targetILNS1_3genE0ELNS1_11target_archE4294967295ELNS1_3gpuE0ELNS1_3repE0EEENS1_30default_config_static_selectorELNS0_4arch9wavefront6targetE0EEEvSZ_.has_recursion, 0
	.set _ZN7rocprim17ROCPRIM_400000_NS6detail17trampoline_kernelINS0_13select_configILj256ELj13ELNS0_17block_load_methodE3ELS4_3ELS4_3ELNS0_20block_scan_algorithmE0ELj4294967295EEENS1_25partition_config_selectorILNS1_17partition_subalgoE3EjNS0_10empty_typeEbEEZZNS1_14partition_implILS8_3ELb0ES6_jNS0_17counting_iteratorIjlEEPS9_SE_NS0_5tupleIJPjSE_EEENSF_IJSE_SE_EEES9_SG_JZNS1_25segmented_radix_sort_implINS0_14default_configELb1EPK6__halfPSL_PKlPlN2at6native12_GLOBAL__N_18offset_tEEE10hipError_tPvRmT1_PNSt15iterator_traitsISZ_E10value_typeET2_T3_PNS10_IS15_E10value_typeET4_jRbjT5_S1B_jjP12ihipStream_tbEUljE_EEESW_SX_SY_S15_S19_S1B_T6_T7_T9_mT8_S1D_bDpT10_ENKUlT_T0_E_clISt17integral_constantIbLb0EES1P_IbLb1EEEEDaS1L_S1M_EUlS1L_E_NS1_11comp_targetILNS1_3genE0ELNS1_11target_archE4294967295ELNS1_3gpuE0ELNS1_3repE0EEENS1_30default_config_static_selectorELNS0_4arch9wavefront6targetE0EEEvSZ_.has_indirect_call, 0
	.section	.AMDGPU.csdata,"",@progbits
; Kernel info:
; codeLenInByte = 0
; TotalNumSgprs: 0
; NumVgprs: 0
; ScratchSize: 0
; MemoryBound: 0
; FloatMode: 240
; IeeeMode: 1
; LDSByteSize: 0 bytes/workgroup (compile time only)
; SGPRBlocks: 0
; VGPRBlocks: 0
; NumSGPRsForWavesPerEU: 1
; NumVGPRsForWavesPerEU: 1
; Occupancy: 16
; WaveLimiterHint : 0
; COMPUTE_PGM_RSRC2:SCRATCH_EN: 0
; COMPUTE_PGM_RSRC2:USER_SGPR: 2
; COMPUTE_PGM_RSRC2:TRAP_HANDLER: 0
; COMPUTE_PGM_RSRC2:TGID_X_EN: 1
; COMPUTE_PGM_RSRC2:TGID_Y_EN: 0
; COMPUTE_PGM_RSRC2:TGID_Z_EN: 0
; COMPUTE_PGM_RSRC2:TIDIG_COMP_CNT: 0
	.section	.text._ZN7rocprim17ROCPRIM_400000_NS6detail17trampoline_kernelINS0_13select_configILj256ELj13ELNS0_17block_load_methodE3ELS4_3ELS4_3ELNS0_20block_scan_algorithmE0ELj4294967295EEENS1_25partition_config_selectorILNS1_17partition_subalgoE3EjNS0_10empty_typeEbEEZZNS1_14partition_implILS8_3ELb0ES6_jNS0_17counting_iteratorIjlEEPS9_SE_NS0_5tupleIJPjSE_EEENSF_IJSE_SE_EEES9_SG_JZNS1_25segmented_radix_sort_implINS0_14default_configELb1EPK6__halfPSL_PKlPlN2at6native12_GLOBAL__N_18offset_tEEE10hipError_tPvRmT1_PNSt15iterator_traitsISZ_E10value_typeET2_T3_PNS10_IS15_E10value_typeET4_jRbjT5_S1B_jjP12ihipStream_tbEUljE_EEESW_SX_SY_S15_S19_S1B_T6_T7_T9_mT8_S1D_bDpT10_ENKUlT_T0_E_clISt17integral_constantIbLb0EES1P_IbLb1EEEEDaS1L_S1M_EUlS1L_E_NS1_11comp_targetILNS1_3genE5ELNS1_11target_archE942ELNS1_3gpuE9ELNS1_3repE0EEENS1_30default_config_static_selectorELNS0_4arch9wavefront6targetE0EEEvSZ_,"axG",@progbits,_ZN7rocprim17ROCPRIM_400000_NS6detail17trampoline_kernelINS0_13select_configILj256ELj13ELNS0_17block_load_methodE3ELS4_3ELS4_3ELNS0_20block_scan_algorithmE0ELj4294967295EEENS1_25partition_config_selectorILNS1_17partition_subalgoE3EjNS0_10empty_typeEbEEZZNS1_14partition_implILS8_3ELb0ES6_jNS0_17counting_iteratorIjlEEPS9_SE_NS0_5tupleIJPjSE_EEENSF_IJSE_SE_EEES9_SG_JZNS1_25segmented_radix_sort_implINS0_14default_configELb1EPK6__halfPSL_PKlPlN2at6native12_GLOBAL__N_18offset_tEEE10hipError_tPvRmT1_PNSt15iterator_traitsISZ_E10value_typeET2_T3_PNS10_IS15_E10value_typeET4_jRbjT5_S1B_jjP12ihipStream_tbEUljE_EEESW_SX_SY_S15_S19_S1B_T6_T7_T9_mT8_S1D_bDpT10_ENKUlT_T0_E_clISt17integral_constantIbLb0EES1P_IbLb1EEEEDaS1L_S1M_EUlS1L_E_NS1_11comp_targetILNS1_3genE5ELNS1_11target_archE942ELNS1_3gpuE9ELNS1_3repE0EEENS1_30default_config_static_selectorELNS0_4arch9wavefront6targetE0EEEvSZ_,comdat
	.globl	_ZN7rocprim17ROCPRIM_400000_NS6detail17trampoline_kernelINS0_13select_configILj256ELj13ELNS0_17block_load_methodE3ELS4_3ELS4_3ELNS0_20block_scan_algorithmE0ELj4294967295EEENS1_25partition_config_selectorILNS1_17partition_subalgoE3EjNS0_10empty_typeEbEEZZNS1_14partition_implILS8_3ELb0ES6_jNS0_17counting_iteratorIjlEEPS9_SE_NS0_5tupleIJPjSE_EEENSF_IJSE_SE_EEES9_SG_JZNS1_25segmented_radix_sort_implINS0_14default_configELb1EPK6__halfPSL_PKlPlN2at6native12_GLOBAL__N_18offset_tEEE10hipError_tPvRmT1_PNSt15iterator_traitsISZ_E10value_typeET2_T3_PNS10_IS15_E10value_typeET4_jRbjT5_S1B_jjP12ihipStream_tbEUljE_EEESW_SX_SY_S15_S19_S1B_T6_T7_T9_mT8_S1D_bDpT10_ENKUlT_T0_E_clISt17integral_constantIbLb0EES1P_IbLb1EEEEDaS1L_S1M_EUlS1L_E_NS1_11comp_targetILNS1_3genE5ELNS1_11target_archE942ELNS1_3gpuE9ELNS1_3repE0EEENS1_30default_config_static_selectorELNS0_4arch9wavefront6targetE0EEEvSZ_ ; -- Begin function _ZN7rocprim17ROCPRIM_400000_NS6detail17trampoline_kernelINS0_13select_configILj256ELj13ELNS0_17block_load_methodE3ELS4_3ELS4_3ELNS0_20block_scan_algorithmE0ELj4294967295EEENS1_25partition_config_selectorILNS1_17partition_subalgoE3EjNS0_10empty_typeEbEEZZNS1_14partition_implILS8_3ELb0ES6_jNS0_17counting_iteratorIjlEEPS9_SE_NS0_5tupleIJPjSE_EEENSF_IJSE_SE_EEES9_SG_JZNS1_25segmented_radix_sort_implINS0_14default_configELb1EPK6__halfPSL_PKlPlN2at6native12_GLOBAL__N_18offset_tEEE10hipError_tPvRmT1_PNSt15iterator_traitsISZ_E10value_typeET2_T3_PNS10_IS15_E10value_typeET4_jRbjT5_S1B_jjP12ihipStream_tbEUljE_EEESW_SX_SY_S15_S19_S1B_T6_T7_T9_mT8_S1D_bDpT10_ENKUlT_T0_E_clISt17integral_constantIbLb0EES1P_IbLb1EEEEDaS1L_S1M_EUlS1L_E_NS1_11comp_targetILNS1_3genE5ELNS1_11target_archE942ELNS1_3gpuE9ELNS1_3repE0EEENS1_30default_config_static_selectorELNS0_4arch9wavefront6targetE0EEEvSZ_
	.p2align	8
	.type	_ZN7rocprim17ROCPRIM_400000_NS6detail17trampoline_kernelINS0_13select_configILj256ELj13ELNS0_17block_load_methodE3ELS4_3ELS4_3ELNS0_20block_scan_algorithmE0ELj4294967295EEENS1_25partition_config_selectorILNS1_17partition_subalgoE3EjNS0_10empty_typeEbEEZZNS1_14partition_implILS8_3ELb0ES6_jNS0_17counting_iteratorIjlEEPS9_SE_NS0_5tupleIJPjSE_EEENSF_IJSE_SE_EEES9_SG_JZNS1_25segmented_radix_sort_implINS0_14default_configELb1EPK6__halfPSL_PKlPlN2at6native12_GLOBAL__N_18offset_tEEE10hipError_tPvRmT1_PNSt15iterator_traitsISZ_E10value_typeET2_T3_PNS10_IS15_E10value_typeET4_jRbjT5_S1B_jjP12ihipStream_tbEUljE_EEESW_SX_SY_S15_S19_S1B_T6_T7_T9_mT8_S1D_bDpT10_ENKUlT_T0_E_clISt17integral_constantIbLb0EES1P_IbLb1EEEEDaS1L_S1M_EUlS1L_E_NS1_11comp_targetILNS1_3genE5ELNS1_11target_archE942ELNS1_3gpuE9ELNS1_3repE0EEENS1_30default_config_static_selectorELNS0_4arch9wavefront6targetE0EEEvSZ_,@function
_ZN7rocprim17ROCPRIM_400000_NS6detail17trampoline_kernelINS0_13select_configILj256ELj13ELNS0_17block_load_methodE3ELS4_3ELS4_3ELNS0_20block_scan_algorithmE0ELj4294967295EEENS1_25partition_config_selectorILNS1_17partition_subalgoE3EjNS0_10empty_typeEbEEZZNS1_14partition_implILS8_3ELb0ES6_jNS0_17counting_iteratorIjlEEPS9_SE_NS0_5tupleIJPjSE_EEENSF_IJSE_SE_EEES9_SG_JZNS1_25segmented_radix_sort_implINS0_14default_configELb1EPK6__halfPSL_PKlPlN2at6native12_GLOBAL__N_18offset_tEEE10hipError_tPvRmT1_PNSt15iterator_traitsISZ_E10value_typeET2_T3_PNS10_IS15_E10value_typeET4_jRbjT5_S1B_jjP12ihipStream_tbEUljE_EEESW_SX_SY_S15_S19_S1B_T6_T7_T9_mT8_S1D_bDpT10_ENKUlT_T0_E_clISt17integral_constantIbLb0EES1P_IbLb1EEEEDaS1L_S1M_EUlS1L_E_NS1_11comp_targetILNS1_3genE5ELNS1_11target_archE942ELNS1_3gpuE9ELNS1_3repE0EEENS1_30default_config_static_selectorELNS0_4arch9wavefront6targetE0EEEvSZ_: ; @_ZN7rocprim17ROCPRIM_400000_NS6detail17trampoline_kernelINS0_13select_configILj256ELj13ELNS0_17block_load_methodE3ELS4_3ELS4_3ELNS0_20block_scan_algorithmE0ELj4294967295EEENS1_25partition_config_selectorILNS1_17partition_subalgoE3EjNS0_10empty_typeEbEEZZNS1_14partition_implILS8_3ELb0ES6_jNS0_17counting_iteratorIjlEEPS9_SE_NS0_5tupleIJPjSE_EEENSF_IJSE_SE_EEES9_SG_JZNS1_25segmented_radix_sort_implINS0_14default_configELb1EPK6__halfPSL_PKlPlN2at6native12_GLOBAL__N_18offset_tEEE10hipError_tPvRmT1_PNSt15iterator_traitsISZ_E10value_typeET2_T3_PNS10_IS15_E10value_typeET4_jRbjT5_S1B_jjP12ihipStream_tbEUljE_EEESW_SX_SY_S15_S19_S1B_T6_T7_T9_mT8_S1D_bDpT10_ENKUlT_T0_E_clISt17integral_constantIbLb0EES1P_IbLb1EEEEDaS1L_S1M_EUlS1L_E_NS1_11comp_targetILNS1_3genE5ELNS1_11target_archE942ELNS1_3gpuE9ELNS1_3repE0EEENS1_30default_config_static_selectorELNS0_4arch9wavefront6targetE0EEEvSZ_
; %bb.0:
	.section	.rodata,"a",@progbits
	.p2align	6, 0x0
	.amdhsa_kernel _ZN7rocprim17ROCPRIM_400000_NS6detail17trampoline_kernelINS0_13select_configILj256ELj13ELNS0_17block_load_methodE3ELS4_3ELS4_3ELNS0_20block_scan_algorithmE0ELj4294967295EEENS1_25partition_config_selectorILNS1_17partition_subalgoE3EjNS0_10empty_typeEbEEZZNS1_14partition_implILS8_3ELb0ES6_jNS0_17counting_iteratorIjlEEPS9_SE_NS0_5tupleIJPjSE_EEENSF_IJSE_SE_EEES9_SG_JZNS1_25segmented_radix_sort_implINS0_14default_configELb1EPK6__halfPSL_PKlPlN2at6native12_GLOBAL__N_18offset_tEEE10hipError_tPvRmT1_PNSt15iterator_traitsISZ_E10value_typeET2_T3_PNS10_IS15_E10value_typeET4_jRbjT5_S1B_jjP12ihipStream_tbEUljE_EEESW_SX_SY_S15_S19_S1B_T6_T7_T9_mT8_S1D_bDpT10_ENKUlT_T0_E_clISt17integral_constantIbLb0EES1P_IbLb1EEEEDaS1L_S1M_EUlS1L_E_NS1_11comp_targetILNS1_3genE5ELNS1_11target_archE942ELNS1_3gpuE9ELNS1_3repE0EEENS1_30default_config_static_selectorELNS0_4arch9wavefront6targetE0EEEvSZ_
		.amdhsa_group_segment_fixed_size 0
		.amdhsa_private_segment_fixed_size 0
		.amdhsa_kernarg_size 152
		.amdhsa_user_sgpr_count 2
		.amdhsa_user_sgpr_dispatch_ptr 0
		.amdhsa_user_sgpr_queue_ptr 0
		.amdhsa_user_sgpr_kernarg_segment_ptr 1
		.amdhsa_user_sgpr_dispatch_id 0
		.amdhsa_user_sgpr_private_segment_size 0
		.amdhsa_wavefront_size32 1
		.amdhsa_uses_dynamic_stack 0
		.amdhsa_enable_private_segment 0
		.amdhsa_system_sgpr_workgroup_id_x 1
		.amdhsa_system_sgpr_workgroup_id_y 0
		.amdhsa_system_sgpr_workgroup_id_z 0
		.amdhsa_system_sgpr_workgroup_info 0
		.amdhsa_system_vgpr_workitem_id 0
		.amdhsa_next_free_vgpr 1
		.amdhsa_next_free_sgpr 1
		.amdhsa_reserve_vcc 0
		.amdhsa_float_round_mode_32 0
		.amdhsa_float_round_mode_16_64 0
		.amdhsa_float_denorm_mode_32 3
		.amdhsa_float_denorm_mode_16_64 3
		.amdhsa_fp16_overflow 0
		.amdhsa_workgroup_processor_mode 1
		.amdhsa_memory_ordered 1
		.amdhsa_forward_progress 1
		.amdhsa_inst_pref_size 0
		.amdhsa_round_robin_scheduling 0
		.amdhsa_exception_fp_ieee_invalid_op 0
		.amdhsa_exception_fp_denorm_src 0
		.amdhsa_exception_fp_ieee_div_zero 0
		.amdhsa_exception_fp_ieee_overflow 0
		.amdhsa_exception_fp_ieee_underflow 0
		.amdhsa_exception_fp_ieee_inexact 0
		.amdhsa_exception_int_div_zero 0
	.end_amdhsa_kernel
	.section	.text._ZN7rocprim17ROCPRIM_400000_NS6detail17trampoline_kernelINS0_13select_configILj256ELj13ELNS0_17block_load_methodE3ELS4_3ELS4_3ELNS0_20block_scan_algorithmE0ELj4294967295EEENS1_25partition_config_selectorILNS1_17partition_subalgoE3EjNS0_10empty_typeEbEEZZNS1_14partition_implILS8_3ELb0ES6_jNS0_17counting_iteratorIjlEEPS9_SE_NS0_5tupleIJPjSE_EEENSF_IJSE_SE_EEES9_SG_JZNS1_25segmented_radix_sort_implINS0_14default_configELb1EPK6__halfPSL_PKlPlN2at6native12_GLOBAL__N_18offset_tEEE10hipError_tPvRmT1_PNSt15iterator_traitsISZ_E10value_typeET2_T3_PNS10_IS15_E10value_typeET4_jRbjT5_S1B_jjP12ihipStream_tbEUljE_EEESW_SX_SY_S15_S19_S1B_T6_T7_T9_mT8_S1D_bDpT10_ENKUlT_T0_E_clISt17integral_constantIbLb0EES1P_IbLb1EEEEDaS1L_S1M_EUlS1L_E_NS1_11comp_targetILNS1_3genE5ELNS1_11target_archE942ELNS1_3gpuE9ELNS1_3repE0EEENS1_30default_config_static_selectorELNS0_4arch9wavefront6targetE0EEEvSZ_,"axG",@progbits,_ZN7rocprim17ROCPRIM_400000_NS6detail17trampoline_kernelINS0_13select_configILj256ELj13ELNS0_17block_load_methodE3ELS4_3ELS4_3ELNS0_20block_scan_algorithmE0ELj4294967295EEENS1_25partition_config_selectorILNS1_17partition_subalgoE3EjNS0_10empty_typeEbEEZZNS1_14partition_implILS8_3ELb0ES6_jNS0_17counting_iteratorIjlEEPS9_SE_NS0_5tupleIJPjSE_EEENSF_IJSE_SE_EEES9_SG_JZNS1_25segmented_radix_sort_implINS0_14default_configELb1EPK6__halfPSL_PKlPlN2at6native12_GLOBAL__N_18offset_tEEE10hipError_tPvRmT1_PNSt15iterator_traitsISZ_E10value_typeET2_T3_PNS10_IS15_E10value_typeET4_jRbjT5_S1B_jjP12ihipStream_tbEUljE_EEESW_SX_SY_S15_S19_S1B_T6_T7_T9_mT8_S1D_bDpT10_ENKUlT_T0_E_clISt17integral_constantIbLb0EES1P_IbLb1EEEEDaS1L_S1M_EUlS1L_E_NS1_11comp_targetILNS1_3genE5ELNS1_11target_archE942ELNS1_3gpuE9ELNS1_3repE0EEENS1_30default_config_static_selectorELNS0_4arch9wavefront6targetE0EEEvSZ_,comdat
.Lfunc_end1732:
	.size	_ZN7rocprim17ROCPRIM_400000_NS6detail17trampoline_kernelINS0_13select_configILj256ELj13ELNS0_17block_load_methodE3ELS4_3ELS4_3ELNS0_20block_scan_algorithmE0ELj4294967295EEENS1_25partition_config_selectorILNS1_17partition_subalgoE3EjNS0_10empty_typeEbEEZZNS1_14partition_implILS8_3ELb0ES6_jNS0_17counting_iteratorIjlEEPS9_SE_NS0_5tupleIJPjSE_EEENSF_IJSE_SE_EEES9_SG_JZNS1_25segmented_radix_sort_implINS0_14default_configELb1EPK6__halfPSL_PKlPlN2at6native12_GLOBAL__N_18offset_tEEE10hipError_tPvRmT1_PNSt15iterator_traitsISZ_E10value_typeET2_T3_PNS10_IS15_E10value_typeET4_jRbjT5_S1B_jjP12ihipStream_tbEUljE_EEESW_SX_SY_S15_S19_S1B_T6_T7_T9_mT8_S1D_bDpT10_ENKUlT_T0_E_clISt17integral_constantIbLb0EES1P_IbLb1EEEEDaS1L_S1M_EUlS1L_E_NS1_11comp_targetILNS1_3genE5ELNS1_11target_archE942ELNS1_3gpuE9ELNS1_3repE0EEENS1_30default_config_static_selectorELNS0_4arch9wavefront6targetE0EEEvSZ_, .Lfunc_end1732-_ZN7rocprim17ROCPRIM_400000_NS6detail17trampoline_kernelINS0_13select_configILj256ELj13ELNS0_17block_load_methodE3ELS4_3ELS4_3ELNS0_20block_scan_algorithmE0ELj4294967295EEENS1_25partition_config_selectorILNS1_17partition_subalgoE3EjNS0_10empty_typeEbEEZZNS1_14partition_implILS8_3ELb0ES6_jNS0_17counting_iteratorIjlEEPS9_SE_NS0_5tupleIJPjSE_EEENSF_IJSE_SE_EEES9_SG_JZNS1_25segmented_radix_sort_implINS0_14default_configELb1EPK6__halfPSL_PKlPlN2at6native12_GLOBAL__N_18offset_tEEE10hipError_tPvRmT1_PNSt15iterator_traitsISZ_E10value_typeET2_T3_PNS10_IS15_E10value_typeET4_jRbjT5_S1B_jjP12ihipStream_tbEUljE_EEESW_SX_SY_S15_S19_S1B_T6_T7_T9_mT8_S1D_bDpT10_ENKUlT_T0_E_clISt17integral_constantIbLb0EES1P_IbLb1EEEEDaS1L_S1M_EUlS1L_E_NS1_11comp_targetILNS1_3genE5ELNS1_11target_archE942ELNS1_3gpuE9ELNS1_3repE0EEENS1_30default_config_static_selectorELNS0_4arch9wavefront6targetE0EEEvSZ_
                                        ; -- End function
	.set _ZN7rocprim17ROCPRIM_400000_NS6detail17trampoline_kernelINS0_13select_configILj256ELj13ELNS0_17block_load_methodE3ELS4_3ELS4_3ELNS0_20block_scan_algorithmE0ELj4294967295EEENS1_25partition_config_selectorILNS1_17partition_subalgoE3EjNS0_10empty_typeEbEEZZNS1_14partition_implILS8_3ELb0ES6_jNS0_17counting_iteratorIjlEEPS9_SE_NS0_5tupleIJPjSE_EEENSF_IJSE_SE_EEES9_SG_JZNS1_25segmented_radix_sort_implINS0_14default_configELb1EPK6__halfPSL_PKlPlN2at6native12_GLOBAL__N_18offset_tEEE10hipError_tPvRmT1_PNSt15iterator_traitsISZ_E10value_typeET2_T3_PNS10_IS15_E10value_typeET4_jRbjT5_S1B_jjP12ihipStream_tbEUljE_EEESW_SX_SY_S15_S19_S1B_T6_T7_T9_mT8_S1D_bDpT10_ENKUlT_T0_E_clISt17integral_constantIbLb0EES1P_IbLb1EEEEDaS1L_S1M_EUlS1L_E_NS1_11comp_targetILNS1_3genE5ELNS1_11target_archE942ELNS1_3gpuE9ELNS1_3repE0EEENS1_30default_config_static_selectorELNS0_4arch9wavefront6targetE0EEEvSZ_.num_vgpr, 0
	.set _ZN7rocprim17ROCPRIM_400000_NS6detail17trampoline_kernelINS0_13select_configILj256ELj13ELNS0_17block_load_methodE3ELS4_3ELS4_3ELNS0_20block_scan_algorithmE0ELj4294967295EEENS1_25partition_config_selectorILNS1_17partition_subalgoE3EjNS0_10empty_typeEbEEZZNS1_14partition_implILS8_3ELb0ES6_jNS0_17counting_iteratorIjlEEPS9_SE_NS0_5tupleIJPjSE_EEENSF_IJSE_SE_EEES9_SG_JZNS1_25segmented_radix_sort_implINS0_14default_configELb1EPK6__halfPSL_PKlPlN2at6native12_GLOBAL__N_18offset_tEEE10hipError_tPvRmT1_PNSt15iterator_traitsISZ_E10value_typeET2_T3_PNS10_IS15_E10value_typeET4_jRbjT5_S1B_jjP12ihipStream_tbEUljE_EEESW_SX_SY_S15_S19_S1B_T6_T7_T9_mT8_S1D_bDpT10_ENKUlT_T0_E_clISt17integral_constantIbLb0EES1P_IbLb1EEEEDaS1L_S1M_EUlS1L_E_NS1_11comp_targetILNS1_3genE5ELNS1_11target_archE942ELNS1_3gpuE9ELNS1_3repE0EEENS1_30default_config_static_selectorELNS0_4arch9wavefront6targetE0EEEvSZ_.num_agpr, 0
	.set _ZN7rocprim17ROCPRIM_400000_NS6detail17trampoline_kernelINS0_13select_configILj256ELj13ELNS0_17block_load_methodE3ELS4_3ELS4_3ELNS0_20block_scan_algorithmE0ELj4294967295EEENS1_25partition_config_selectorILNS1_17partition_subalgoE3EjNS0_10empty_typeEbEEZZNS1_14partition_implILS8_3ELb0ES6_jNS0_17counting_iteratorIjlEEPS9_SE_NS0_5tupleIJPjSE_EEENSF_IJSE_SE_EEES9_SG_JZNS1_25segmented_radix_sort_implINS0_14default_configELb1EPK6__halfPSL_PKlPlN2at6native12_GLOBAL__N_18offset_tEEE10hipError_tPvRmT1_PNSt15iterator_traitsISZ_E10value_typeET2_T3_PNS10_IS15_E10value_typeET4_jRbjT5_S1B_jjP12ihipStream_tbEUljE_EEESW_SX_SY_S15_S19_S1B_T6_T7_T9_mT8_S1D_bDpT10_ENKUlT_T0_E_clISt17integral_constantIbLb0EES1P_IbLb1EEEEDaS1L_S1M_EUlS1L_E_NS1_11comp_targetILNS1_3genE5ELNS1_11target_archE942ELNS1_3gpuE9ELNS1_3repE0EEENS1_30default_config_static_selectorELNS0_4arch9wavefront6targetE0EEEvSZ_.numbered_sgpr, 0
	.set _ZN7rocprim17ROCPRIM_400000_NS6detail17trampoline_kernelINS0_13select_configILj256ELj13ELNS0_17block_load_methodE3ELS4_3ELS4_3ELNS0_20block_scan_algorithmE0ELj4294967295EEENS1_25partition_config_selectorILNS1_17partition_subalgoE3EjNS0_10empty_typeEbEEZZNS1_14partition_implILS8_3ELb0ES6_jNS0_17counting_iteratorIjlEEPS9_SE_NS0_5tupleIJPjSE_EEENSF_IJSE_SE_EEES9_SG_JZNS1_25segmented_radix_sort_implINS0_14default_configELb1EPK6__halfPSL_PKlPlN2at6native12_GLOBAL__N_18offset_tEEE10hipError_tPvRmT1_PNSt15iterator_traitsISZ_E10value_typeET2_T3_PNS10_IS15_E10value_typeET4_jRbjT5_S1B_jjP12ihipStream_tbEUljE_EEESW_SX_SY_S15_S19_S1B_T6_T7_T9_mT8_S1D_bDpT10_ENKUlT_T0_E_clISt17integral_constantIbLb0EES1P_IbLb1EEEEDaS1L_S1M_EUlS1L_E_NS1_11comp_targetILNS1_3genE5ELNS1_11target_archE942ELNS1_3gpuE9ELNS1_3repE0EEENS1_30default_config_static_selectorELNS0_4arch9wavefront6targetE0EEEvSZ_.num_named_barrier, 0
	.set _ZN7rocprim17ROCPRIM_400000_NS6detail17trampoline_kernelINS0_13select_configILj256ELj13ELNS0_17block_load_methodE3ELS4_3ELS4_3ELNS0_20block_scan_algorithmE0ELj4294967295EEENS1_25partition_config_selectorILNS1_17partition_subalgoE3EjNS0_10empty_typeEbEEZZNS1_14partition_implILS8_3ELb0ES6_jNS0_17counting_iteratorIjlEEPS9_SE_NS0_5tupleIJPjSE_EEENSF_IJSE_SE_EEES9_SG_JZNS1_25segmented_radix_sort_implINS0_14default_configELb1EPK6__halfPSL_PKlPlN2at6native12_GLOBAL__N_18offset_tEEE10hipError_tPvRmT1_PNSt15iterator_traitsISZ_E10value_typeET2_T3_PNS10_IS15_E10value_typeET4_jRbjT5_S1B_jjP12ihipStream_tbEUljE_EEESW_SX_SY_S15_S19_S1B_T6_T7_T9_mT8_S1D_bDpT10_ENKUlT_T0_E_clISt17integral_constantIbLb0EES1P_IbLb1EEEEDaS1L_S1M_EUlS1L_E_NS1_11comp_targetILNS1_3genE5ELNS1_11target_archE942ELNS1_3gpuE9ELNS1_3repE0EEENS1_30default_config_static_selectorELNS0_4arch9wavefront6targetE0EEEvSZ_.private_seg_size, 0
	.set _ZN7rocprim17ROCPRIM_400000_NS6detail17trampoline_kernelINS0_13select_configILj256ELj13ELNS0_17block_load_methodE3ELS4_3ELS4_3ELNS0_20block_scan_algorithmE0ELj4294967295EEENS1_25partition_config_selectorILNS1_17partition_subalgoE3EjNS0_10empty_typeEbEEZZNS1_14partition_implILS8_3ELb0ES6_jNS0_17counting_iteratorIjlEEPS9_SE_NS0_5tupleIJPjSE_EEENSF_IJSE_SE_EEES9_SG_JZNS1_25segmented_radix_sort_implINS0_14default_configELb1EPK6__halfPSL_PKlPlN2at6native12_GLOBAL__N_18offset_tEEE10hipError_tPvRmT1_PNSt15iterator_traitsISZ_E10value_typeET2_T3_PNS10_IS15_E10value_typeET4_jRbjT5_S1B_jjP12ihipStream_tbEUljE_EEESW_SX_SY_S15_S19_S1B_T6_T7_T9_mT8_S1D_bDpT10_ENKUlT_T0_E_clISt17integral_constantIbLb0EES1P_IbLb1EEEEDaS1L_S1M_EUlS1L_E_NS1_11comp_targetILNS1_3genE5ELNS1_11target_archE942ELNS1_3gpuE9ELNS1_3repE0EEENS1_30default_config_static_selectorELNS0_4arch9wavefront6targetE0EEEvSZ_.uses_vcc, 0
	.set _ZN7rocprim17ROCPRIM_400000_NS6detail17trampoline_kernelINS0_13select_configILj256ELj13ELNS0_17block_load_methodE3ELS4_3ELS4_3ELNS0_20block_scan_algorithmE0ELj4294967295EEENS1_25partition_config_selectorILNS1_17partition_subalgoE3EjNS0_10empty_typeEbEEZZNS1_14partition_implILS8_3ELb0ES6_jNS0_17counting_iteratorIjlEEPS9_SE_NS0_5tupleIJPjSE_EEENSF_IJSE_SE_EEES9_SG_JZNS1_25segmented_radix_sort_implINS0_14default_configELb1EPK6__halfPSL_PKlPlN2at6native12_GLOBAL__N_18offset_tEEE10hipError_tPvRmT1_PNSt15iterator_traitsISZ_E10value_typeET2_T3_PNS10_IS15_E10value_typeET4_jRbjT5_S1B_jjP12ihipStream_tbEUljE_EEESW_SX_SY_S15_S19_S1B_T6_T7_T9_mT8_S1D_bDpT10_ENKUlT_T0_E_clISt17integral_constantIbLb0EES1P_IbLb1EEEEDaS1L_S1M_EUlS1L_E_NS1_11comp_targetILNS1_3genE5ELNS1_11target_archE942ELNS1_3gpuE9ELNS1_3repE0EEENS1_30default_config_static_selectorELNS0_4arch9wavefront6targetE0EEEvSZ_.uses_flat_scratch, 0
	.set _ZN7rocprim17ROCPRIM_400000_NS6detail17trampoline_kernelINS0_13select_configILj256ELj13ELNS0_17block_load_methodE3ELS4_3ELS4_3ELNS0_20block_scan_algorithmE0ELj4294967295EEENS1_25partition_config_selectorILNS1_17partition_subalgoE3EjNS0_10empty_typeEbEEZZNS1_14partition_implILS8_3ELb0ES6_jNS0_17counting_iteratorIjlEEPS9_SE_NS0_5tupleIJPjSE_EEENSF_IJSE_SE_EEES9_SG_JZNS1_25segmented_radix_sort_implINS0_14default_configELb1EPK6__halfPSL_PKlPlN2at6native12_GLOBAL__N_18offset_tEEE10hipError_tPvRmT1_PNSt15iterator_traitsISZ_E10value_typeET2_T3_PNS10_IS15_E10value_typeET4_jRbjT5_S1B_jjP12ihipStream_tbEUljE_EEESW_SX_SY_S15_S19_S1B_T6_T7_T9_mT8_S1D_bDpT10_ENKUlT_T0_E_clISt17integral_constantIbLb0EES1P_IbLb1EEEEDaS1L_S1M_EUlS1L_E_NS1_11comp_targetILNS1_3genE5ELNS1_11target_archE942ELNS1_3gpuE9ELNS1_3repE0EEENS1_30default_config_static_selectorELNS0_4arch9wavefront6targetE0EEEvSZ_.has_dyn_sized_stack, 0
	.set _ZN7rocprim17ROCPRIM_400000_NS6detail17trampoline_kernelINS0_13select_configILj256ELj13ELNS0_17block_load_methodE3ELS4_3ELS4_3ELNS0_20block_scan_algorithmE0ELj4294967295EEENS1_25partition_config_selectorILNS1_17partition_subalgoE3EjNS0_10empty_typeEbEEZZNS1_14partition_implILS8_3ELb0ES6_jNS0_17counting_iteratorIjlEEPS9_SE_NS0_5tupleIJPjSE_EEENSF_IJSE_SE_EEES9_SG_JZNS1_25segmented_radix_sort_implINS0_14default_configELb1EPK6__halfPSL_PKlPlN2at6native12_GLOBAL__N_18offset_tEEE10hipError_tPvRmT1_PNSt15iterator_traitsISZ_E10value_typeET2_T3_PNS10_IS15_E10value_typeET4_jRbjT5_S1B_jjP12ihipStream_tbEUljE_EEESW_SX_SY_S15_S19_S1B_T6_T7_T9_mT8_S1D_bDpT10_ENKUlT_T0_E_clISt17integral_constantIbLb0EES1P_IbLb1EEEEDaS1L_S1M_EUlS1L_E_NS1_11comp_targetILNS1_3genE5ELNS1_11target_archE942ELNS1_3gpuE9ELNS1_3repE0EEENS1_30default_config_static_selectorELNS0_4arch9wavefront6targetE0EEEvSZ_.has_recursion, 0
	.set _ZN7rocprim17ROCPRIM_400000_NS6detail17trampoline_kernelINS0_13select_configILj256ELj13ELNS0_17block_load_methodE3ELS4_3ELS4_3ELNS0_20block_scan_algorithmE0ELj4294967295EEENS1_25partition_config_selectorILNS1_17partition_subalgoE3EjNS0_10empty_typeEbEEZZNS1_14partition_implILS8_3ELb0ES6_jNS0_17counting_iteratorIjlEEPS9_SE_NS0_5tupleIJPjSE_EEENSF_IJSE_SE_EEES9_SG_JZNS1_25segmented_radix_sort_implINS0_14default_configELb1EPK6__halfPSL_PKlPlN2at6native12_GLOBAL__N_18offset_tEEE10hipError_tPvRmT1_PNSt15iterator_traitsISZ_E10value_typeET2_T3_PNS10_IS15_E10value_typeET4_jRbjT5_S1B_jjP12ihipStream_tbEUljE_EEESW_SX_SY_S15_S19_S1B_T6_T7_T9_mT8_S1D_bDpT10_ENKUlT_T0_E_clISt17integral_constantIbLb0EES1P_IbLb1EEEEDaS1L_S1M_EUlS1L_E_NS1_11comp_targetILNS1_3genE5ELNS1_11target_archE942ELNS1_3gpuE9ELNS1_3repE0EEENS1_30default_config_static_selectorELNS0_4arch9wavefront6targetE0EEEvSZ_.has_indirect_call, 0
	.section	.AMDGPU.csdata,"",@progbits
; Kernel info:
; codeLenInByte = 0
; TotalNumSgprs: 0
; NumVgprs: 0
; ScratchSize: 0
; MemoryBound: 0
; FloatMode: 240
; IeeeMode: 1
; LDSByteSize: 0 bytes/workgroup (compile time only)
; SGPRBlocks: 0
; VGPRBlocks: 0
; NumSGPRsForWavesPerEU: 1
; NumVGPRsForWavesPerEU: 1
; Occupancy: 16
; WaveLimiterHint : 0
; COMPUTE_PGM_RSRC2:SCRATCH_EN: 0
; COMPUTE_PGM_RSRC2:USER_SGPR: 2
; COMPUTE_PGM_RSRC2:TRAP_HANDLER: 0
; COMPUTE_PGM_RSRC2:TGID_X_EN: 1
; COMPUTE_PGM_RSRC2:TGID_Y_EN: 0
; COMPUTE_PGM_RSRC2:TGID_Z_EN: 0
; COMPUTE_PGM_RSRC2:TIDIG_COMP_CNT: 0
	.section	.text._ZN7rocprim17ROCPRIM_400000_NS6detail17trampoline_kernelINS0_13select_configILj256ELj13ELNS0_17block_load_methodE3ELS4_3ELS4_3ELNS0_20block_scan_algorithmE0ELj4294967295EEENS1_25partition_config_selectorILNS1_17partition_subalgoE3EjNS0_10empty_typeEbEEZZNS1_14partition_implILS8_3ELb0ES6_jNS0_17counting_iteratorIjlEEPS9_SE_NS0_5tupleIJPjSE_EEENSF_IJSE_SE_EEES9_SG_JZNS1_25segmented_radix_sort_implINS0_14default_configELb1EPK6__halfPSL_PKlPlN2at6native12_GLOBAL__N_18offset_tEEE10hipError_tPvRmT1_PNSt15iterator_traitsISZ_E10value_typeET2_T3_PNS10_IS15_E10value_typeET4_jRbjT5_S1B_jjP12ihipStream_tbEUljE_EEESW_SX_SY_S15_S19_S1B_T6_T7_T9_mT8_S1D_bDpT10_ENKUlT_T0_E_clISt17integral_constantIbLb0EES1P_IbLb1EEEEDaS1L_S1M_EUlS1L_E_NS1_11comp_targetILNS1_3genE4ELNS1_11target_archE910ELNS1_3gpuE8ELNS1_3repE0EEENS1_30default_config_static_selectorELNS0_4arch9wavefront6targetE0EEEvSZ_,"axG",@progbits,_ZN7rocprim17ROCPRIM_400000_NS6detail17trampoline_kernelINS0_13select_configILj256ELj13ELNS0_17block_load_methodE3ELS4_3ELS4_3ELNS0_20block_scan_algorithmE0ELj4294967295EEENS1_25partition_config_selectorILNS1_17partition_subalgoE3EjNS0_10empty_typeEbEEZZNS1_14partition_implILS8_3ELb0ES6_jNS0_17counting_iteratorIjlEEPS9_SE_NS0_5tupleIJPjSE_EEENSF_IJSE_SE_EEES9_SG_JZNS1_25segmented_radix_sort_implINS0_14default_configELb1EPK6__halfPSL_PKlPlN2at6native12_GLOBAL__N_18offset_tEEE10hipError_tPvRmT1_PNSt15iterator_traitsISZ_E10value_typeET2_T3_PNS10_IS15_E10value_typeET4_jRbjT5_S1B_jjP12ihipStream_tbEUljE_EEESW_SX_SY_S15_S19_S1B_T6_T7_T9_mT8_S1D_bDpT10_ENKUlT_T0_E_clISt17integral_constantIbLb0EES1P_IbLb1EEEEDaS1L_S1M_EUlS1L_E_NS1_11comp_targetILNS1_3genE4ELNS1_11target_archE910ELNS1_3gpuE8ELNS1_3repE0EEENS1_30default_config_static_selectorELNS0_4arch9wavefront6targetE0EEEvSZ_,comdat
	.globl	_ZN7rocprim17ROCPRIM_400000_NS6detail17trampoline_kernelINS0_13select_configILj256ELj13ELNS0_17block_load_methodE3ELS4_3ELS4_3ELNS0_20block_scan_algorithmE0ELj4294967295EEENS1_25partition_config_selectorILNS1_17partition_subalgoE3EjNS0_10empty_typeEbEEZZNS1_14partition_implILS8_3ELb0ES6_jNS0_17counting_iteratorIjlEEPS9_SE_NS0_5tupleIJPjSE_EEENSF_IJSE_SE_EEES9_SG_JZNS1_25segmented_radix_sort_implINS0_14default_configELb1EPK6__halfPSL_PKlPlN2at6native12_GLOBAL__N_18offset_tEEE10hipError_tPvRmT1_PNSt15iterator_traitsISZ_E10value_typeET2_T3_PNS10_IS15_E10value_typeET4_jRbjT5_S1B_jjP12ihipStream_tbEUljE_EEESW_SX_SY_S15_S19_S1B_T6_T7_T9_mT8_S1D_bDpT10_ENKUlT_T0_E_clISt17integral_constantIbLb0EES1P_IbLb1EEEEDaS1L_S1M_EUlS1L_E_NS1_11comp_targetILNS1_3genE4ELNS1_11target_archE910ELNS1_3gpuE8ELNS1_3repE0EEENS1_30default_config_static_selectorELNS0_4arch9wavefront6targetE0EEEvSZ_ ; -- Begin function _ZN7rocprim17ROCPRIM_400000_NS6detail17trampoline_kernelINS0_13select_configILj256ELj13ELNS0_17block_load_methodE3ELS4_3ELS4_3ELNS0_20block_scan_algorithmE0ELj4294967295EEENS1_25partition_config_selectorILNS1_17partition_subalgoE3EjNS0_10empty_typeEbEEZZNS1_14partition_implILS8_3ELb0ES6_jNS0_17counting_iteratorIjlEEPS9_SE_NS0_5tupleIJPjSE_EEENSF_IJSE_SE_EEES9_SG_JZNS1_25segmented_radix_sort_implINS0_14default_configELb1EPK6__halfPSL_PKlPlN2at6native12_GLOBAL__N_18offset_tEEE10hipError_tPvRmT1_PNSt15iterator_traitsISZ_E10value_typeET2_T3_PNS10_IS15_E10value_typeET4_jRbjT5_S1B_jjP12ihipStream_tbEUljE_EEESW_SX_SY_S15_S19_S1B_T6_T7_T9_mT8_S1D_bDpT10_ENKUlT_T0_E_clISt17integral_constantIbLb0EES1P_IbLb1EEEEDaS1L_S1M_EUlS1L_E_NS1_11comp_targetILNS1_3genE4ELNS1_11target_archE910ELNS1_3gpuE8ELNS1_3repE0EEENS1_30default_config_static_selectorELNS0_4arch9wavefront6targetE0EEEvSZ_
	.p2align	8
	.type	_ZN7rocprim17ROCPRIM_400000_NS6detail17trampoline_kernelINS0_13select_configILj256ELj13ELNS0_17block_load_methodE3ELS4_3ELS4_3ELNS0_20block_scan_algorithmE0ELj4294967295EEENS1_25partition_config_selectorILNS1_17partition_subalgoE3EjNS0_10empty_typeEbEEZZNS1_14partition_implILS8_3ELb0ES6_jNS0_17counting_iteratorIjlEEPS9_SE_NS0_5tupleIJPjSE_EEENSF_IJSE_SE_EEES9_SG_JZNS1_25segmented_radix_sort_implINS0_14default_configELb1EPK6__halfPSL_PKlPlN2at6native12_GLOBAL__N_18offset_tEEE10hipError_tPvRmT1_PNSt15iterator_traitsISZ_E10value_typeET2_T3_PNS10_IS15_E10value_typeET4_jRbjT5_S1B_jjP12ihipStream_tbEUljE_EEESW_SX_SY_S15_S19_S1B_T6_T7_T9_mT8_S1D_bDpT10_ENKUlT_T0_E_clISt17integral_constantIbLb0EES1P_IbLb1EEEEDaS1L_S1M_EUlS1L_E_NS1_11comp_targetILNS1_3genE4ELNS1_11target_archE910ELNS1_3gpuE8ELNS1_3repE0EEENS1_30default_config_static_selectorELNS0_4arch9wavefront6targetE0EEEvSZ_,@function
_ZN7rocprim17ROCPRIM_400000_NS6detail17trampoline_kernelINS0_13select_configILj256ELj13ELNS0_17block_load_methodE3ELS4_3ELS4_3ELNS0_20block_scan_algorithmE0ELj4294967295EEENS1_25partition_config_selectorILNS1_17partition_subalgoE3EjNS0_10empty_typeEbEEZZNS1_14partition_implILS8_3ELb0ES6_jNS0_17counting_iteratorIjlEEPS9_SE_NS0_5tupleIJPjSE_EEENSF_IJSE_SE_EEES9_SG_JZNS1_25segmented_radix_sort_implINS0_14default_configELb1EPK6__halfPSL_PKlPlN2at6native12_GLOBAL__N_18offset_tEEE10hipError_tPvRmT1_PNSt15iterator_traitsISZ_E10value_typeET2_T3_PNS10_IS15_E10value_typeET4_jRbjT5_S1B_jjP12ihipStream_tbEUljE_EEESW_SX_SY_S15_S19_S1B_T6_T7_T9_mT8_S1D_bDpT10_ENKUlT_T0_E_clISt17integral_constantIbLb0EES1P_IbLb1EEEEDaS1L_S1M_EUlS1L_E_NS1_11comp_targetILNS1_3genE4ELNS1_11target_archE910ELNS1_3gpuE8ELNS1_3repE0EEENS1_30default_config_static_selectorELNS0_4arch9wavefront6targetE0EEEvSZ_: ; @_ZN7rocprim17ROCPRIM_400000_NS6detail17trampoline_kernelINS0_13select_configILj256ELj13ELNS0_17block_load_methodE3ELS4_3ELS4_3ELNS0_20block_scan_algorithmE0ELj4294967295EEENS1_25partition_config_selectorILNS1_17partition_subalgoE3EjNS0_10empty_typeEbEEZZNS1_14partition_implILS8_3ELb0ES6_jNS0_17counting_iteratorIjlEEPS9_SE_NS0_5tupleIJPjSE_EEENSF_IJSE_SE_EEES9_SG_JZNS1_25segmented_radix_sort_implINS0_14default_configELb1EPK6__halfPSL_PKlPlN2at6native12_GLOBAL__N_18offset_tEEE10hipError_tPvRmT1_PNSt15iterator_traitsISZ_E10value_typeET2_T3_PNS10_IS15_E10value_typeET4_jRbjT5_S1B_jjP12ihipStream_tbEUljE_EEESW_SX_SY_S15_S19_S1B_T6_T7_T9_mT8_S1D_bDpT10_ENKUlT_T0_E_clISt17integral_constantIbLb0EES1P_IbLb1EEEEDaS1L_S1M_EUlS1L_E_NS1_11comp_targetILNS1_3genE4ELNS1_11target_archE910ELNS1_3gpuE8ELNS1_3repE0EEENS1_30default_config_static_selectorELNS0_4arch9wavefront6targetE0EEEvSZ_
; %bb.0:
	.section	.rodata,"a",@progbits
	.p2align	6, 0x0
	.amdhsa_kernel _ZN7rocprim17ROCPRIM_400000_NS6detail17trampoline_kernelINS0_13select_configILj256ELj13ELNS0_17block_load_methodE3ELS4_3ELS4_3ELNS0_20block_scan_algorithmE0ELj4294967295EEENS1_25partition_config_selectorILNS1_17partition_subalgoE3EjNS0_10empty_typeEbEEZZNS1_14partition_implILS8_3ELb0ES6_jNS0_17counting_iteratorIjlEEPS9_SE_NS0_5tupleIJPjSE_EEENSF_IJSE_SE_EEES9_SG_JZNS1_25segmented_radix_sort_implINS0_14default_configELb1EPK6__halfPSL_PKlPlN2at6native12_GLOBAL__N_18offset_tEEE10hipError_tPvRmT1_PNSt15iterator_traitsISZ_E10value_typeET2_T3_PNS10_IS15_E10value_typeET4_jRbjT5_S1B_jjP12ihipStream_tbEUljE_EEESW_SX_SY_S15_S19_S1B_T6_T7_T9_mT8_S1D_bDpT10_ENKUlT_T0_E_clISt17integral_constantIbLb0EES1P_IbLb1EEEEDaS1L_S1M_EUlS1L_E_NS1_11comp_targetILNS1_3genE4ELNS1_11target_archE910ELNS1_3gpuE8ELNS1_3repE0EEENS1_30default_config_static_selectorELNS0_4arch9wavefront6targetE0EEEvSZ_
		.amdhsa_group_segment_fixed_size 0
		.amdhsa_private_segment_fixed_size 0
		.amdhsa_kernarg_size 152
		.amdhsa_user_sgpr_count 2
		.amdhsa_user_sgpr_dispatch_ptr 0
		.amdhsa_user_sgpr_queue_ptr 0
		.amdhsa_user_sgpr_kernarg_segment_ptr 1
		.amdhsa_user_sgpr_dispatch_id 0
		.amdhsa_user_sgpr_private_segment_size 0
		.amdhsa_wavefront_size32 1
		.amdhsa_uses_dynamic_stack 0
		.amdhsa_enable_private_segment 0
		.amdhsa_system_sgpr_workgroup_id_x 1
		.amdhsa_system_sgpr_workgroup_id_y 0
		.amdhsa_system_sgpr_workgroup_id_z 0
		.amdhsa_system_sgpr_workgroup_info 0
		.amdhsa_system_vgpr_workitem_id 0
		.amdhsa_next_free_vgpr 1
		.amdhsa_next_free_sgpr 1
		.amdhsa_reserve_vcc 0
		.amdhsa_float_round_mode_32 0
		.amdhsa_float_round_mode_16_64 0
		.amdhsa_float_denorm_mode_32 3
		.amdhsa_float_denorm_mode_16_64 3
		.amdhsa_fp16_overflow 0
		.amdhsa_workgroup_processor_mode 1
		.amdhsa_memory_ordered 1
		.amdhsa_forward_progress 1
		.amdhsa_inst_pref_size 0
		.amdhsa_round_robin_scheduling 0
		.amdhsa_exception_fp_ieee_invalid_op 0
		.amdhsa_exception_fp_denorm_src 0
		.amdhsa_exception_fp_ieee_div_zero 0
		.amdhsa_exception_fp_ieee_overflow 0
		.amdhsa_exception_fp_ieee_underflow 0
		.amdhsa_exception_fp_ieee_inexact 0
		.amdhsa_exception_int_div_zero 0
	.end_amdhsa_kernel
	.section	.text._ZN7rocprim17ROCPRIM_400000_NS6detail17trampoline_kernelINS0_13select_configILj256ELj13ELNS0_17block_load_methodE3ELS4_3ELS4_3ELNS0_20block_scan_algorithmE0ELj4294967295EEENS1_25partition_config_selectorILNS1_17partition_subalgoE3EjNS0_10empty_typeEbEEZZNS1_14partition_implILS8_3ELb0ES6_jNS0_17counting_iteratorIjlEEPS9_SE_NS0_5tupleIJPjSE_EEENSF_IJSE_SE_EEES9_SG_JZNS1_25segmented_radix_sort_implINS0_14default_configELb1EPK6__halfPSL_PKlPlN2at6native12_GLOBAL__N_18offset_tEEE10hipError_tPvRmT1_PNSt15iterator_traitsISZ_E10value_typeET2_T3_PNS10_IS15_E10value_typeET4_jRbjT5_S1B_jjP12ihipStream_tbEUljE_EEESW_SX_SY_S15_S19_S1B_T6_T7_T9_mT8_S1D_bDpT10_ENKUlT_T0_E_clISt17integral_constantIbLb0EES1P_IbLb1EEEEDaS1L_S1M_EUlS1L_E_NS1_11comp_targetILNS1_3genE4ELNS1_11target_archE910ELNS1_3gpuE8ELNS1_3repE0EEENS1_30default_config_static_selectorELNS0_4arch9wavefront6targetE0EEEvSZ_,"axG",@progbits,_ZN7rocprim17ROCPRIM_400000_NS6detail17trampoline_kernelINS0_13select_configILj256ELj13ELNS0_17block_load_methodE3ELS4_3ELS4_3ELNS0_20block_scan_algorithmE0ELj4294967295EEENS1_25partition_config_selectorILNS1_17partition_subalgoE3EjNS0_10empty_typeEbEEZZNS1_14partition_implILS8_3ELb0ES6_jNS0_17counting_iteratorIjlEEPS9_SE_NS0_5tupleIJPjSE_EEENSF_IJSE_SE_EEES9_SG_JZNS1_25segmented_radix_sort_implINS0_14default_configELb1EPK6__halfPSL_PKlPlN2at6native12_GLOBAL__N_18offset_tEEE10hipError_tPvRmT1_PNSt15iterator_traitsISZ_E10value_typeET2_T3_PNS10_IS15_E10value_typeET4_jRbjT5_S1B_jjP12ihipStream_tbEUljE_EEESW_SX_SY_S15_S19_S1B_T6_T7_T9_mT8_S1D_bDpT10_ENKUlT_T0_E_clISt17integral_constantIbLb0EES1P_IbLb1EEEEDaS1L_S1M_EUlS1L_E_NS1_11comp_targetILNS1_3genE4ELNS1_11target_archE910ELNS1_3gpuE8ELNS1_3repE0EEENS1_30default_config_static_selectorELNS0_4arch9wavefront6targetE0EEEvSZ_,comdat
.Lfunc_end1733:
	.size	_ZN7rocprim17ROCPRIM_400000_NS6detail17trampoline_kernelINS0_13select_configILj256ELj13ELNS0_17block_load_methodE3ELS4_3ELS4_3ELNS0_20block_scan_algorithmE0ELj4294967295EEENS1_25partition_config_selectorILNS1_17partition_subalgoE3EjNS0_10empty_typeEbEEZZNS1_14partition_implILS8_3ELb0ES6_jNS0_17counting_iteratorIjlEEPS9_SE_NS0_5tupleIJPjSE_EEENSF_IJSE_SE_EEES9_SG_JZNS1_25segmented_radix_sort_implINS0_14default_configELb1EPK6__halfPSL_PKlPlN2at6native12_GLOBAL__N_18offset_tEEE10hipError_tPvRmT1_PNSt15iterator_traitsISZ_E10value_typeET2_T3_PNS10_IS15_E10value_typeET4_jRbjT5_S1B_jjP12ihipStream_tbEUljE_EEESW_SX_SY_S15_S19_S1B_T6_T7_T9_mT8_S1D_bDpT10_ENKUlT_T0_E_clISt17integral_constantIbLb0EES1P_IbLb1EEEEDaS1L_S1M_EUlS1L_E_NS1_11comp_targetILNS1_3genE4ELNS1_11target_archE910ELNS1_3gpuE8ELNS1_3repE0EEENS1_30default_config_static_selectorELNS0_4arch9wavefront6targetE0EEEvSZ_, .Lfunc_end1733-_ZN7rocprim17ROCPRIM_400000_NS6detail17trampoline_kernelINS0_13select_configILj256ELj13ELNS0_17block_load_methodE3ELS4_3ELS4_3ELNS0_20block_scan_algorithmE0ELj4294967295EEENS1_25partition_config_selectorILNS1_17partition_subalgoE3EjNS0_10empty_typeEbEEZZNS1_14partition_implILS8_3ELb0ES6_jNS0_17counting_iteratorIjlEEPS9_SE_NS0_5tupleIJPjSE_EEENSF_IJSE_SE_EEES9_SG_JZNS1_25segmented_radix_sort_implINS0_14default_configELb1EPK6__halfPSL_PKlPlN2at6native12_GLOBAL__N_18offset_tEEE10hipError_tPvRmT1_PNSt15iterator_traitsISZ_E10value_typeET2_T3_PNS10_IS15_E10value_typeET4_jRbjT5_S1B_jjP12ihipStream_tbEUljE_EEESW_SX_SY_S15_S19_S1B_T6_T7_T9_mT8_S1D_bDpT10_ENKUlT_T0_E_clISt17integral_constantIbLb0EES1P_IbLb1EEEEDaS1L_S1M_EUlS1L_E_NS1_11comp_targetILNS1_3genE4ELNS1_11target_archE910ELNS1_3gpuE8ELNS1_3repE0EEENS1_30default_config_static_selectorELNS0_4arch9wavefront6targetE0EEEvSZ_
                                        ; -- End function
	.set _ZN7rocprim17ROCPRIM_400000_NS6detail17trampoline_kernelINS0_13select_configILj256ELj13ELNS0_17block_load_methodE3ELS4_3ELS4_3ELNS0_20block_scan_algorithmE0ELj4294967295EEENS1_25partition_config_selectorILNS1_17partition_subalgoE3EjNS0_10empty_typeEbEEZZNS1_14partition_implILS8_3ELb0ES6_jNS0_17counting_iteratorIjlEEPS9_SE_NS0_5tupleIJPjSE_EEENSF_IJSE_SE_EEES9_SG_JZNS1_25segmented_radix_sort_implINS0_14default_configELb1EPK6__halfPSL_PKlPlN2at6native12_GLOBAL__N_18offset_tEEE10hipError_tPvRmT1_PNSt15iterator_traitsISZ_E10value_typeET2_T3_PNS10_IS15_E10value_typeET4_jRbjT5_S1B_jjP12ihipStream_tbEUljE_EEESW_SX_SY_S15_S19_S1B_T6_T7_T9_mT8_S1D_bDpT10_ENKUlT_T0_E_clISt17integral_constantIbLb0EES1P_IbLb1EEEEDaS1L_S1M_EUlS1L_E_NS1_11comp_targetILNS1_3genE4ELNS1_11target_archE910ELNS1_3gpuE8ELNS1_3repE0EEENS1_30default_config_static_selectorELNS0_4arch9wavefront6targetE0EEEvSZ_.num_vgpr, 0
	.set _ZN7rocprim17ROCPRIM_400000_NS6detail17trampoline_kernelINS0_13select_configILj256ELj13ELNS0_17block_load_methodE3ELS4_3ELS4_3ELNS0_20block_scan_algorithmE0ELj4294967295EEENS1_25partition_config_selectorILNS1_17partition_subalgoE3EjNS0_10empty_typeEbEEZZNS1_14partition_implILS8_3ELb0ES6_jNS0_17counting_iteratorIjlEEPS9_SE_NS0_5tupleIJPjSE_EEENSF_IJSE_SE_EEES9_SG_JZNS1_25segmented_radix_sort_implINS0_14default_configELb1EPK6__halfPSL_PKlPlN2at6native12_GLOBAL__N_18offset_tEEE10hipError_tPvRmT1_PNSt15iterator_traitsISZ_E10value_typeET2_T3_PNS10_IS15_E10value_typeET4_jRbjT5_S1B_jjP12ihipStream_tbEUljE_EEESW_SX_SY_S15_S19_S1B_T6_T7_T9_mT8_S1D_bDpT10_ENKUlT_T0_E_clISt17integral_constantIbLb0EES1P_IbLb1EEEEDaS1L_S1M_EUlS1L_E_NS1_11comp_targetILNS1_3genE4ELNS1_11target_archE910ELNS1_3gpuE8ELNS1_3repE0EEENS1_30default_config_static_selectorELNS0_4arch9wavefront6targetE0EEEvSZ_.num_agpr, 0
	.set _ZN7rocprim17ROCPRIM_400000_NS6detail17trampoline_kernelINS0_13select_configILj256ELj13ELNS0_17block_load_methodE3ELS4_3ELS4_3ELNS0_20block_scan_algorithmE0ELj4294967295EEENS1_25partition_config_selectorILNS1_17partition_subalgoE3EjNS0_10empty_typeEbEEZZNS1_14partition_implILS8_3ELb0ES6_jNS0_17counting_iteratorIjlEEPS9_SE_NS0_5tupleIJPjSE_EEENSF_IJSE_SE_EEES9_SG_JZNS1_25segmented_radix_sort_implINS0_14default_configELb1EPK6__halfPSL_PKlPlN2at6native12_GLOBAL__N_18offset_tEEE10hipError_tPvRmT1_PNSt15iterator_traitsISZ_E10value_typeET2_T3_PNS10_IS15_E10value_typeET4_jRbjT5_S1B_jjP12ihipStream_tbEUljE_EEESW_SX_SY_S15_S19_S1B_T6_T7_T9_mT8_S1D_bDpT10_ENKUlT_T0_E_clISt17integral_constantIbLb0EES1P_IbLb1EEEEDaS1L_S1M_EUlS1L_E_NS1_11comp_targetILNS1_3genE4ELNS1_11target_archE910ELNS1_3gpuE8ELNS1_3repE0EEENS1_30default_config_static_selectorELNS0_4arch9wavefront6targetE0EEEvSZ_.numbered_sgpr, 0
	.set _ZN7rocprim17ROCPRIM_400000_NS6detail17trampoline_kernelINS0_13select_configILj256ELj13ELNS0_17block_load_methodE3ELS4_3ELS4_3ELNS0_20block_scan_algorithmE0ELj4294967295EEENS1_25partition_config_selectorILNS1_17partition_subalgoE3EjNS0_10empty_typeEbEEZZNS1_14partition_implILS8_3ELb0ES6_jNS0_17counting_iteratorIjlEEPS9_SE_NS0_5tupleIJPjSE_EEENSF_IJSE_SE_EEES9_SG_JZNS1_25segmented_radix_sort_implINS0_14default_configELb1EPK6__halfPSL_PKlPlN2at6native12_GLOBAL__N_18offset_tEEE10hipError_tPvRmT1_PNSt15iterator_traitsISZ_E10value_typeET2_T3_PNS10_IS15_E10value_typeET4_jRbjT5_S1B_jjP12ihipStream_tbEUljE_EEESW_SX_SY_S15_S19_S1B_T6_T7_T9_mT8_S1D_bDpT10_ENKUlT_T0_E_clISt17integral_constantIbLb0EES1P_IbLb1EEEEDaS1L_S1M_EUlS1L_E_NS1_11comp_targetILNS1_3genE4ELNS1_11target_archE910ELNS1_3gpuE8ELNS1_3repE0EEENS1_30default_config_static_selectorELNS0_4arch9wavefront6targetE0EEEvSZ_.num_named_barrier, 0
	.set _ZN7rocprim17ROCPRIM_400000_NS6detail17trampoline_kernelINS0_13select_configILj256ELj13ELNS0_17block_load_methodE3ELS4_3ELS4_3ELNS0_20block_scan_algorithmE0ELj4294967295EEENS1_25partition_config_selectorILNS1_17partition_subalgoE3EjNS0_10empty_typeEbEEZZNS1_14partition_implILS8_3ELb0ES6_jNS0_17counting_iteratorIjlEEPS9_SE_NS0_5tupleIJPjSE_EEENSF_IJSE_SE_EEES9_SG_JZNS1_25segmented_radix_sort_implINS0_14default_configELb1EPK6__halfPSL_PKlPlN2at6native12_GLOBAL__N_18offset_tEEE10hipError_tPvRmT1_PNSt15iterator_traitsISZ_E10value_typeET2_T3_PNS10_IS15_E10value_typeET4_jRbjT5_S1B_jjP12ihipStream_tbEUljE_EEESW_SX_SY_S15_S19_S1B_T6_T7_T9_mT8_S1D_bDpT10_ENKUlT_T0_E_clISt17integral_constantIbLb0EES1P_IbLb1EEEEDaS1L_S1M_EUlS1L_E_NS1_11comp_targetILNS1_3genE4ELNS1_11target_archE910ELNS1_3gpuE8ELNS1_3repE0EEENS1_30default_config_static_selectorELNS0_4arch9wavefront6targetE0EEEvSZ_.private_seg_size, 0
	.set _ZN7rocprim17ROCPRIM_400000_NS6detail17trampoline_kernelINS0_13select_configILj256ELj13ELNS0_17block_load_methodE3ELS4_3ELS4_3ELNS0_20block_scan_algorithmE0ELj4294967295EEENS1_25partition_config_selectorILNS1_17partition_subalgoE3EjNS0_10empty_typeEbEEZZNS1_14partition_implILS8_3ELb0ES6_jNS0_17counting_iteratorIjlEEPS9_SE_NS0_5tupleIJPjSE_EEENSF_IJSE_SE_EEES9_SG_JZNS1_25segmented_radix_sort_implINS0_14default_configELb1EPK6__halfPSL_PKlPlN2at6native12_GLOBAL__N_18offset_tEEE10hipError_tPvRmT1_PNSt15iterator_traitsISZ_E10value_typeET2_T3_PNS10_IS15_E10value_typeET4_jRbjT5_S1B_jjP12ihipStream_tbEUljE_EEESW_SX_SY_S15_S19_S1B_T6_T7_T9_mT8_S1D_bDpT10_ENKUlT_T0_E_clISt17integral_constantIbLb0EES1P_IbLb1EEEEDaS1L_S1M_EUlS1L_E_NS1_11comp_targetILNS1_3genE4ELNS1_11target_archE910ELNS1_3gpuE8ELNS1_3repE0EEENS1_30default_config_static_selectorELNS0_4arch9wavefront6targetE0EEEvSZ_.uses_vcc, 0
	.set _ZN7rocprim17ROCPRIM_400000_NS6detail17trampoline_kernelINS0_13select_configILj256ELj13ELNS0_17block_load_methodE3ELS4_3ELS4_3ELNS0_20block_scan_algorithmE0ELj4294967295EEENS1_25partition_config_selectorILNS1_17partition_subalgoE3EjNS0_10empty_typeEbEEZZNS1_14partition_implILS8_3ELb0ES6_jNS0_17counting_iteratorIjlEEPS9_SE_NS0_5tupleIJPjSE_EEENSF_IJSE_SE_EEES9_SG_JZNS1_25segmented_radix_sort_implINS0_14default_configELb1EPK6__halfPSL_PKlPlN2at6native12_GLOBAL__N_18offset_tEEE10hipError_tPvRmT1_PNSt15iterator_traitsISZ_E10value_typeET2_T3_PNS10_IS15_E10value_typeET4_jRbjT5_S1B_jjP12ihipStream_tbEUljE_EEESW_SX_SY_S15_S19_S1B_T6_T7_T9_mT8_S1D_bDpT10_ENKUlT_T0_E_clISt17integral_constantIbLb0EES1P_IbLb1EEEEDaS1L_S1M_EUlS1L_E_NS1_11comp_targetILNS1_3genE4ELNS1_11target_archE910ELNS1_3gpuE8ELNS1_3repE0EEENS1_30default_config_static_selectorELNS0_4arch9wavefront6targetE0EEEvSZ_.uses_flat_scratch, 0
	.set _ZN7rocprim17ROCPRIM_400000_NS6detail17trampoline_kernelINS0_13select_configILj256ELj13ELNS0_17block_load_methodE3ELS4_3ELS4_3ELNS0_20block_scan_algorithmE0ELj4294967295EEENS1_25partition_config_selectorILNS1_17partition_subalgoE3EjNS0_10empty_typeEbEEZZNS1_14partition_implILS8_3ELb0ES6_jNS0_17counting_iteratorIjlEEPS9_SE_NS0_5tupleIJPjSE_EEENSF_IJSE_SE_EEES9_SG_JZNS1_25segmented_radix_sort_implINS0_14default_configELb1EPK6__halfPSL_PKlPlN2at6native12_GLOBAL__N_18offset_tEEE10hipError_tPvRmT1_PNSt15iterator_traitsISZ_E10value_typeET2_T3_PNS10_IS15_E10value_typeET4_jRbjT5_S1B_jjP12ihipStream_tbEUljE_EEESW_SX_SY_S15_S19_S1B_T6_T7_T9_mT8_S1D_bDpT10_ENKUlT_T0_E_clISt17integral_constantIbLb0EES1P_IbLb1EEEEDaS1L_S1M_EUlS1L_E_NS1_11comp_targetILNS1_3genE4ELNS1_11target_archE910ELNS1_3gpuE8ELNS1_3repE0EEENS1_30default_config_static_selectorELNS0_4arch9wavefront6targetE0EEEvSZ_.has_dyn_sized_stack, 0
	.set _ZN7rocprim17ROCPRIM_400000_NS6detail17trampoline_kernelINS0_13select_configILj256ELj13ELNS0_17block_load_methodE3ELS4_3ELS4_3ELNS0_20block_scan_algorithmE0ELj4294967295EEENS1_25partition_config_selectorILNS1_17partition_subalgoE3EjNS0_10empty_typeEbEEZZNS1_14partition_implILS8_3ELb0ES6_jNS0_17counting_iteratorIjlEEPS9_SE_NS0_5tupleIJPjSE_EEENSF_IJSE_SE_EEES9_SG_JZNS1_25segmented_radix_sort_implINS0_14default_configELb1EPK6__halfPSL_PKlPlN2at6native12_GLOBAL__N_18offset_tEEE10hipError_tPvRmT1_PNSt15iterator_traitsISZ_E10value_typeET2_T3_PNS10_IS15_E10value_typeET4_jRbjT5_S1B_jjP12ihipStream_tbEUljE_EEESW_SX_SY_S15_S19_S1B_T6_T7_T9_mT8_S1D_bDpT10_ENKUlT_T0_E_clISt17integral_constantIbLb0EES1P_IbLb1EEEEDaS1L_S1M_EUlS1L_E_NS1_11comp_targetILNS1_3genE4ELNS1_11target_archE910ELNS1_3gpuE8ELNS1_3repE0EEENS1_30default_config_static_selectorELNS0_4arch9wavefront6targetE0EEEvSZ_.has_recursion, 0
	.set _ZN7rocprim17ROCPRIM_400000_NS6detail17trampoline_kernelINS0_13select_configILj256ELj13ELNS0_17block_load_methodE3ELS4_3ELS4_3ELNS0_20block_scan_algorithmE0ELj4294967295EEENS1_25partition_config_selectorILNS1_17partition_subalgoE3EjNS0_10empty_typeEbEEZZNS1_14partition_implILS8_3ELb0ES6_jNS0_17counting_iteratorIjlEEPS9_SE_NS0_5tupleIJPjSE_EEENSF_IJSE_SE_EEES9_SG_JZNS1_25segmented_radix_sort_implINS0_14default_configELb1EPK6__halfPSL_PKlPlN2at6native12_GLOBAL__N_18offset_tEEE10hipError_tPvRmT1_PNSt15iterator_traitsISZ_E10value_typeET2_T3_PNS10_IS15_E10value_typeET4_jRbjT5_S1B_jjP12ihipStream_tbEUljE_EEESW_SX_SY_S15_S19_S1B_T6_T7_T9_mT8_S1D_bDpT10_ENKUlT_T0_E_clISt17integral_constantIbLb0EES1P_IbLb1EEEEDaS1L_S1M_EUlS1L_E_NS1_11comp_targetILNS1_3genE4ELNS1_11target_archE910ELNS1_3gpuE8ELNS1_3repE0EEENS1_30default_config_static_selectorELNS0_4arch9wavefront6targetE0EEEvSZ_.has_indirect_call, 0
	.section	.AMDGPU.csdata,"",@progbits
; Kernel info:
; codeLenInByte = 0
; TotalNumSgprs: 0
; NumVgprs: 0
; ScratchSize: 0
; MemoryBound: 0
; FloatMode: 240
; IeeeMode: 1
; LDSByteSize: 0 bytes/workgroup (compile time only)
; SGPRBlocks: 0
; VGPRBlocks: 0
; NumSGPRsForWavesPerEU: 1
; NumVGPRsForWavesPerEU: 1
; Occupancy: 16
; WaveLimiterHint : 0
; COMPUTE_PGM_RSRC2:SCRATCH_EN: 0
; COMPUTE_PGM_RSRC2:USER_SGPR: 2
; COMPUTE_PGM_RSRC2:TRAP_HANDLER: 0
; COMPUTE_PGM_RSRC2:TGID_X_EN: 1
; COMPUTE_PGM_RSRC2:TGID_Y_EN: 0
; COMPUTE_PGM_RSRC2:TGID_Z_EN: 0
; COMPUTE_PGM_RSRC2:TIDIG_COMP_CNT: 0
	.section	.text._ZN7rocprim17ROCPRIM_400000_NS6detail17trampoline_kernelINS0_13select_configILj256ELj13ELNS0_17block_load_methodE3ELS4_3ELS4_3ELNS0_20block_scan_algorithmE0ELj4294967295EEENS1_25partition_config_selectorILNS1_17partition_subalgoE3EjNS0_10empty_typeEbEEZZNS1_14partition_implILS8_3ELb0ES6_jNS0_17counting_iteratorIjlEEPS9_SE_NS0_5tupleIJPjSE_EEENSF_IJSE_SE_EEES9_SG_JZNS1_25segmented_radix_sort_implINS0_14default_configELb1EPK6__halfPSL_PKlPlN2at6native12_GLOBAL__N_18offset_tEEE10hipError_tPvRmT1_PNSt15iterator_traitsISZ_E10value_typeET2_T3_PNS10_IS15_E10value_typeET4_jRbjT5_S1B_jjP12ihipStream_tbEUljE_EEESW_SX_SY_S15_S19_S1B_T6_T7_T9_mT8_S1D_bDpT10_ENKUlT_T0_E_clISt17integral_constantIbLb0EES1P_IbLb1EEEEDaS1L_S1M_EUlS1L_E_NS1_11comp_targetILNS1_3genE3ELNS1_11target_archE908ELNS1_3gpuE7ELNS1_3repE0EEENS1_30default_config_static_selectorELNS0_4arch9wavefront6targetE0EEEvSZ_,"axG",@progbits,_ZN7rocprim17ROCPRIM_400000_NS6detail17trampoline_kernelINS0_13select_configILj256ELj13ELNS0_17block_load_methodE3ELS4_3ELS4_3ELNS0_20block_scan_algorithmE0ELj4294967295EEENS1_25partition_config_selectorILNS1_17partition_subalgoE3EjNS0_10empty_typeEbEEZZNS1_14partition_implILS8_3ELb0ES6_jNS0_17counting_iteratorIjlEEPS9_SE_NS0_5tupleIJPjSE_EEENSF_IJSE_SE_EEES9_SG_JZNS1_25segmented_radix_sort_implINS0_14default_configELb1EPK6__halfPSL_PKlPlN2at6native12_GLOBAL__N_18offset_tEEE10hipError_tPvRmT1_PNSt15iterator_traitsISZ_E10value_typeET2_T3_PNS10_IS15_E10value_typeET4_jRbjT5_S1B_jjP12ihipStream_tbEUljE_EEESW_SX_SY_S15_S19_S1B_T6_T7_T9_mT8_S1D_bDpT10_ENKUlT_T0_E_clISt17integral_constantIbLb0EES1P_IbLb1EEEEDaS1L_S1M_EUlS1L_E_NS1_11comp_targetILNS1_3genE3ELNS1_11target_archE908ELNS1_3gpuE7ELNS1_3repE0EEENS1_30default_config_static_selectorELNS0_4arch9wavefront6targetE0EEEvSZ_,comdat
	.globl	_ZN7rocprim17ROCPRIM_400000_NS6detail17trampoline_kernelINS0_13select_configILj256ELj13ELNS0_17block_load_methodE3ELS4_3ELS4_3ELNS0_20block_scan_algorithmE0ELj4294967295EEENS1_25partition_config_selectorILNS1_17partition_subalgoE3EjNS0_10empty_typeEbEEZZNS1_14partition_implILS8_3ELb0ES6_jNS0_17counting_iteratorIjlEEPS9_SE_NS0_5tupleIJPjSE_EEENSF_IJSE_SE_EEES9_SG_JZNS1_25segmented_radix_sort_implINS0_14default_configELb1EPK6__halfPSL_PKlPlN2at6native12_GLOBAL__N_18offset_tEEE10hipError_tPvRmT1_PNSt15iterator_traitsISZ_E10value_typeET2_T3_PNS10_IS15_E10value_typeET4_jRbjT5_S1B_jjP12ihipStream_tbEUljE_EEESW_SX_SY_S15_S19_S1B_T6_T7_T9_mT8_S1D_bDpT10_ENKUlT_T0_E_clISt17integral_constantIbLb0EES1P_IbLb1EEEEDaS1L_S1M_EUlS1L_E_NS1_11comp_targetILNS1_3genE3ELNS1_11target_archE908ELNS1_3gpuE7ELNS1_3repE0EEENS1_30default_config_static_selectorELNS0_4arch9wavefront6targetE0EEEvSZ_ ; -- Begin function _ZN7rocprim17ROCPRIM_400000_NS6detail17trampoline_kernelINS0_13select_configILj256ELj13ELNS0_17block_load_methodE3ELS4_3ELS4_3ELNS0_20block_scan_algorithmE0ELj4294967295EEENS1_25partition_config_selectorILNS1_17partition_subalgoE3EjNS0_10empty_typeEbEEZZNS1_14partition_implILS8_3ELb0ES6_jNS0_17counting_iteratorIjlEEPS9_SE_NS0_5tupleIJPjSE_EEENSF_IJSE_SE_EEES9_SG_JZNS1_25segmented_radix_sort_implINS0_14default_configELb1EPK6__halfPSL_PKlPlN2at6native12_GLOBAL__N_18offset_tEEE10hipError_tPvRmT1_PNSt15iterator_traitsISZ_E10value_typeET2_T3_PNS10_IS15_E10value_typeET4_jRbjT5_S1B_jjP12ihipStream_tbEUljE_EEESW_SX_SY_S15_S19_S1B_T6_T7_T9_mT8_S1D_bDpT10_ENKUlT_T0_E_clISt17integral_constantIbLb0EES1P_IbLb1EEEEDaS1L_S1M_EUlS1L_E_NS1_11comp_targetILNS1_3genE3ELNS1_11target_archE908ELNS1_3gpuE7ELNS1_3repE0EEENS1_30default_config_static_selectorELNS0_4arch9wavefront6targetE0EEEvSZ_
	.p2align	8
	.type	_ZN7rocprim17ROCPRIM_400000_NS6detail17trampoline_kernelINS0_13select_configILj256ELj13ELNS0_17block_load_methodE3ELS4_3ELS4_3ELNS0_20block_scan_algorithmE0ELj4294967295EEENS1_25partition_config_selectorILNS1_17partition_subalgoE3EjNS0_10empty_typeEbEEZZNS1_14partition_implILS8_3ELb0ES6_jNS0_17counting_iteratorIjlEEPS9_SE_NS0_5tupleIJPjSE_EEENSF_IJSE_SE_EEES9_SG_JZNS1_25segmented_radix_sort_implINS0_14default_configELb1EPK6__halfPSL_PKlPlN2at6native12_GLOBAL__N_18offset_tEEE10hipError_tPvRmT1_PNSt15iterator_traitsISZ_E10value_typeET2_T3_PNS10_IS15_E10value_typeET4_jRbjT5_S1B_jjP12ihipStream_tbEUljE_EEESW_SX_SY_S15_S19_S1B_T6_T7_T9_mT8_S1D_bDpT10_ENKUlT_T0_E_clISt17integral_constantIbLb0EES1P_IbLb1EEEEDaS1L_S1M_EUlS1L_E_NS1_11comp_targetILNS1_3genE3ELNS1_11target_archE908ELNS1_3gpuE7ELNS1_3repE0EEENS1_30default_config_static_selectorELNS0_4arch9wavefront6targetE0EEEvSZ_,@function
_ZN7rocprim17ROCPRIM_400000_NS6detail17trampoline_kernelINS0_13select_configILj256ELj13ELNS0_17block_load_methodE3ELS4_3ELS4_3ELNS0_20block_scan_algorithmE0ELj4294967295EEENS1_25partition_config_selectorILNS1_17partition_subalgoE3EjNS0_10empty_typeEbEEZZNS1_14partition_implILS8_3ELb0ES6_jNS0_17counting_iteratorIjlEEPS9_SE_NS0_5tupleIJPjSE_EEENSF_IJSE_SE_EEES9_SG_JZNS1_25segmented_radix_sort_implINS0_14default_configELb1EPK6__halfPSL_PKlPlN2at6native12_GLOBAL__N_18offset_tEEE10hipError_tPvRmT1_PNSt15iterator_traitsISZ_E10value_typeET2_T3_PNS10_IS15_E10value_typeET4_jRbjT5_S1B_jjP12ihipStream_tbEUljE_EEESW_SX_SY_S15_S19_S1B_T6_T7_T9_mT8_S1D_bDpT10_ENKUlT_T0_E_clISt17integral_constantIbLb0EES1P_IbLb1EEEEDaS1L_S1M_EUlS1L_E_NS1_11comp_targetILNS1_3genE3ELNS1_11target_archE908ELNS1_3gpuE7ELNS1_3repE0EEENS1_30default_config_static_selectorELNS0_4arch9wavefront6targetE0EEEvSZ_: ; @_ZN7rocprim17ROCPRIM_400000_NS6detail17trampoline_kernelINS0_13select_configILj256ELj13ELNS0_17block_load_methodE3ELS4_3ELS4_3ELNS0_20block_scan_algorithmE0ELj4294967295EEENS1_25partition_config_selectorILNS1_17partition_subalgoE3EjNS0_10empty_typeEbEEZZNS1_14partition_implILS8_3ELb0ES6_jNS0_17counting_iteratorIjlEEPS9_SE_NS0_5tupleIJPjSE_EEENSF_IJSE_SE_EEES9_SG_JZNS1_25segmented_radix_sort_implINS0_14default_configELb1EPK6__halfPSL_PKlPlN2at6native12_GLOBAL__N_18offset_tEEE10hipError_tPvRmT1_PNSt15iterator_traitsISZ_E10value_typeET2_T3_PNS10_IS15_E10value_typeET4_jRbjT5_S1B_jjP12ihipStream_tbEUljE_EEESW_SX_SY_S15_S19_S1B_T6_T7_T9_mT8_S1D_bDpT10_ENKUlT_T0_E_clISt17integral_constantIbLb0EES1P_IbLb1EEEEDaS1L_S1M_EUlS1L_E_NS1_11comp_targetILNS1_3genE3ELNS1_11target_archE908ELNS1_3gpuE7ELNS1_3repE0EEENS1_30default_config_static_selectorELNS0_4arch9wavefront6targetE0EEEvSZ_
; %bb.0:
	.section	.rodata,"a",@progbits
	.p2align	6, 0x0
	.amdhsa_kernel _ZN7rocprim17ROCPRIM_400000_NS6detail17trampoline_kernelINS0_13select_configILj256ELj13ELNS0_17block_load_methodE3ELS4_3ELS4_3ELNS0_20block_scan_algorithmE0ELj4294967295EEENS1_25partition_config_selectorILNS1_17partition_subalgoE3EjNS0_10empty_typeEbEEZZNS1_14partition_implILS8_3ELb0ES6_jNS0_17counting_iteratorIjlEEPS9_SE_NS0_5tupleIJPjSE_EEENSF_IJSE_SE_EEES9_SG_JZNS1_25segmented_radix_sort_implINS0_14default_configELb1EPK6__halfPSL_PKlPlN2at6native12_GLOBAL__N_18offset_tEEE10hipError_tPvRmT1_PNSt15iterator_traitsISZ_E10value_typeET2_T3_PNS10_IS15_E10value_typeET4_jRbjT5_S1B_jjP12ihipStream_tbEUljE_EEESW_SX_SY_S15_S19_S1B_T6_T7_T9_mT8_S1D_bDpT10_ENKUlT_T0_E_clISt17integral_constantIbLb0EES1P_IbLb1EEEEDaS1L_S1M_EUlS1L_E_NS1_11comp_targetILNS1_3genE3ELNS1_11target_archE908ELNS1_3gpuE7ELNS1_3repE0EEENS1_30default_config_static_selectorELNS0_4arch9wavefront6targetE0EEEvSZ_
		.amdhsa_group_segment_fixed_size 0
		.amdhsa_private_segment_fixed_size 0
		.amdhsa_kernarg_size 152
		.amdhsa_user_sgpr_count 2
		.amdhsa_user_sgpr_dispatch_ptr 0
		.amdhsa_user_sgpr_queue_ptr 0
		.amdhsa_user_sgpr_kernarg_segment_ptr 1
		.amdhsa_user_sgpr_dispatch_id 0
		.amdhsa_user_sgpr_private_segment_size 0
		.amdhsa_wavefront_size32 1
		.amdhsa_uses_dynamic_stack 0
		.amdhsa_enable_private_segment 0
		.amdhsa_system_sgpr_workgroup_id_x 1
		.amdhsa_system_sgpr_workgroup_id_y 0
		.amdhsa_system_sgpr_workgroup_id_z 0
		.amdhsa_system_sgpr_workgroup_info 0
		.amdhsa_system_vgpr_workitem_id 0
		.amdhsa_next_free_vgpr 1
		.amdhsa_next_free_sgpr 1
		.amdhsa_reserve_vcc 0
		.amdhsa_float_round_mode_32 0
		.amdhsa_float_round_mode_16_64 0
		.amdhsa_float_denorm_mode_32 3
		.amdhsa_float_denorm_mode_16_64 3
		.amdhsa_fp16_overflow 0
		.amdhsa_workgroup_processor_mode 1
		.amdhsa_memory_ordered 1
		.amdhsa_forward_progress 1
		.amdhsa_inst_pref_size 0
		.amdhsa_round_robin_scheduling 0
		.amdhsa_exception_fp_ieee_invalid_op 0
		.amdhsa_exception_fp_denorm_src 0
		.amdhsa_exception_fp_ieee_div_zero 0
		.amdhsa_exception_fp_ieee_overflow 0
		.amdhsa_exception_fp_ieee_underflow 0
		.amdhsa_exception_fp_ieee_inexact 0
		.amdhsa_exception_int_div_zero 0
	.end_amdhsa_kernel
	.section	.text._ZN7rocprim17ROCPRIM_400000_NS6detail17trampoline_kernelINS0_13select_configILj256ELj13ELNS0_17block_load_methodE3ELS4_3ELS4_3ELNS0_20block_scan_algorithmE0ELj4294967295EEENS1_25partition_config_selectorILNS1_17partition_subalgoE3EjNS0_10empty_typeEbEEZZNS1_14partition_implILS8_3ELb0ES6_jNS0_17counting_iteratorIjlEEPS9_SE_NS0_5tupleIJPjSE_EEENSF_IJSE_SE_EEES9_SG_JZNS1_25segmented_radix_sort_implINS0_14default_configELb1EPK6__halfPSL_PKlPlN2at6native12_GLOBAL__N_18offset_tEEE10hipError_tPvRmT1_PNSt15iterator_traitsISZ_E10value_typeET2_T3_PNS10_IS15_E10value_typeET4_jRbjT5_S1B_jjP12ihipStream_tbEUljE_EEESW_SX_SY_S15_S19_S1B_T6_T7_T9_mT8_S1D_bDpT10_ENKUlT_T0_E_clISt17integral_constantIbLb0EES1P_IbLb1EEEEDaS1L_S1M_EUlS1L_E_NS1_11comp_targetILNS1_3genE3ELNS1_11target_archE908ELNS1_3gpuE7ELNS1_3repE0EEENS1_30default_config_static_selectorELNS0_4arch9wavefront6targetE0EEEvSZ_,"axG",@progbits,_ZN7rocprim17ROCPRIM_400000_NS6detail17trampoline_kernelINS0_13select_configILj256ELj13ELNS0_17block_load_methodE3ELS4_3ELS4_3ELNS0_20block_scan_algorithmE0ELj4294967295EEENS1_25partition_config_selectorILNS1_17partition_subalgoE3EjNS0_10empty_typeEbEEZZNS1_14partition_implILS8_3ELb0ES6_jNS0_17counting_iteratorIjlEEPS9_SE_NS0_5tupleIJPjSE_EEENSF_IJSE_SE_EEES9_SG_JZNS1_25segmented_radix_sort_implINS0_14default_configELb1EPK6__halfPSL_PKlPlN2at6native12_GLOBAL__N_18offset_tEEE10hipError_tPvRmT1_PNSt15iterator_traitsISZ_E10value_typeET2_T3_PNS10_IS15_E10value_typeET4_jRbjT5_S1B_jjP12ihipStream_tbEUljE_EEESW_SX_SY_S15_S19_S1B_T6_T7_T9_mT8_S1D_bDpT10_ENKUlT_T0_E_clISt17integral_constantIbLb0EES1P_IbLb1EEEEDaS1L_S1M_EUlS1L_E_NS1_11comp_targetILNS1_3genE3ELNS1_11target_archE908ELNS1_3gpuE7ELNS1_3repE0EEENS1_30default_config_static_selectorELNS0_4arch9wavefront6targetE0EEEvSZ_,comdat
.Lfunc_end1734:
	.size	_ZN7rocprim17ROCPRIM_400000_NS6detail17trampoline_kernelINS0_13select_configILj256ELj13ELNS0_17block_load_methodE3ELS4_3ELS4_3ELNS0_20block_scan_algorithmE0ELj4294967295EEENS1_25partition_config_selectorILNS1_17partition_subalgoE3EjNS0_10empty_typeEbEEZZNS1_14partition_implILS8_3ELb0ES6_jNS0_17counting_iteratorIjlEEPS9_SE_NS0_5tupleIJPjSE_EEENSF_IJSE_SE_EEES9_SG_JZNS1_25segmented_radix_sort_implINS0_14default_configELb1EPK6__halfPSL_PKlPlN2at6native12_GLOBAL__N_18offset_tEEE10hipError_tPvRmT1_PNSt15iterator_traitsISZ_E10value_typeET2_T3_PNS10_IS15_E10value_typeET4_jRbjT5_S1B_jjP12ihipStream_tbEUljE_EEESW_SX_SY_S15_S19_S1B_T6_T7_T9_mT8_S1D_bDpT10_ENKUlT_T0_E_clISt17integral_constantIbLb0EES1P_IbLb1EEEEDaS1L_S1M_EUlS1L_E_NS1_11comp_targetILNS1_3genE3ELNS1_11target_archE908ELNS1_3gpuE7ELNS1_3repE0EEENS1_30default_config_static_selectorELNS0_4arch9wavefront6targetE0EEEvSZ_, .Lfunc_end1734-_ZN7rocprim17ROCPRIM_400000_NS6detail17trampoline_kernelINS0_13select_configILj256ELj13ELNS0_17block_load_methodE3ELS4_3ELS4_3ELNS0_20block_scan_algorithmE0ELj4294967295EEENS1_25partition_config_selectorILNS1_17partition_subalgoE3EjNS0_10empty_typeEbEEZZNS1_14partition_implILS8_3ELb0ES6_jNS0_17counting_iteratorIjlEEPS9_SE_NS0_5tupleIJPjSE_EEENSF_IJSE_SE_EEES9_SG_JZNS1_25segmented_radix_sort_implINS0_14default_configELb1EPK6__halfPSL_PKlPlN2at6native12_GLOBAL__N_18offset_tEEE10hipError_tPvRmT1_PNSt15iterator_traitsISZ_E10value_typeET2_T3_PNS10_IS15_E10value_typeET4_jRbjT5_S1B_jjP12ihipStream_tbEUljE_EEESW_SX_SY_S15_S19_S1B_T6_T7_T9_mT8_S1D_bDpT10_ENKUlT_T0_E_clISt17integral_constantIbLb0EES1P_IbLb1EEEEDaS1L_S1M_EUlS1L_E_NS1_11comp_targetILNS1_3genE3ELNS1_11target_archE908ELNS1_3gpuE7ELNS1_3repE0EEENS1_30default_config_static_selectorELNS0_4arch9wavefront6targetE0EEEvSZ_
                                        ; -- End function
	.set _ZN7rocprim17ROCPRIM_400000_NS6detail17trampoline_kernelINS0_13select_configILj256ELj13ELNS0_17block_load_methodE3ELS4_3ELS4_3ELNS0_20block_scan_algorithmE0ELj4294967295EEENS1_25partition_config_selectorILNS1_17partition_subalgoE3EjNS0_10empty_typeEbEEZZNS1_14partition_implILS8_3ELb0ES6_jNS0_17counting_iteratorIjlEEPS9_SE_NS0_5tupleIJPjSE_EEENSF_IJSE_SE_EEES9_SG_JZNS1_25segmented_radix_sort_implINS0_14default_configELb1EPK6__halfPSL_PKlPlN2at6native12_GLOBAL__N_18offset_tEEE10hipError_tPvRmT1_PNSt15iterator_traitsISZ_E10value_typeET2_T3_PNS10_IS15_E10value_typeET4_jRbjT5_S1B_jjP12ihipStream_tbEUljE_EEESW_SX_SY_S15_S19_S1B_T6_T7_T9_mT8_S1D_bDpT10_ENKUlT_T0_E_clISt17integral_constantIbLb0EES1P_IbLb1EEEEDaS1L_S1M_EUlS1L_E_NS1_11comp_targetILNS1_3genE3ELNS1_11target_archE908ELNS1_3gpuE7ELNS1_3repE0EEENS1_30default_config_static_selectorELNS0_4arch9wavefront6targetE0EEEvSZ_.num_vgpr, 0
	.set _ZN7rocprim17ROCPRIM_400000_NS6detail17trampoline_kernelINS0_13select_configILj256ELj13ELNS0_17block_load_methodE3ELS4_3ELS4_3ELNS0_20block_scan_algorithmE0ELj4294967295EEENS1_25partition_config_selectorILNS1_17partition_subalgoE3EjNS0_10empty_typeEbEEZZNS1_14partition_implILS8_3ELb0ES6_jNS0_17counting_iteratorIjlEEPS9_SE_NS0_5tupleIJPjSE_EEENSF_IJSE_SE_EEES9_SG_JZNS1_25segmented_radix_sort_implINS0_14default_configELb1EPK6__halfPSL_PKlPlN2at6native12_GLOBAL__N_18offset_tEEE10hipError_tPvRmT1_PNSt15iterator_traitsISZ_E10value_typeET2_T3_PNS10_IS15_E10value_typeET4_jRbjT5_S1B_jjP12ihipStream_tbEUljE_EEESW_SX_SY_S15_S19_S1B_T6_T7_T9_mT8_S1D_bDpT10_ENKUlT_T0_E_clISt17integral_constantIbLb0EES1P_IbLb1EEEEDaS1L_S1M_EUlS1L_E_NS1_11comp_targetILNS1_3genE3ELNS1_11target_archE908ELNS1_3gpuE7ELNS1_3repE0EEENS1_30default_config_static_selectorELNS0_4arch9wavefront6targetE0EEEvSZ_.num_agpr, 0
	.set _ZN7rocprim17ROCPRIM_400000_NS6detail17trampoline_kernelINS0_13select_configILj256ELj13ELNS0_17block_load_methodE3ELS4_3ELS4_3ELNS0_20block_scan_algorithmE0ELj4294967295EEENS1_25partition_config_selectorILNS1_17partition_subalgoE3EjNS0_10empty_typeEbEEZZNS1_14partition_implILS8_3ELb0ES6_jNS0_17counting_iteratorIjlEEPS9_SE_NS0_5tupleIJPjSE_EEENSF_IJSE_SE_EEES9_SG_JZNS1_25segmented_radix_sort_implINS0_14default_configELb1EPK6__halfPSL_PKlPlN2at6native12_GLOBAL__N_18offset_tEEE10hipError_tPvRmT1_PNSt15iterator_traitsISZ_E10value_typeET2_T3_PNS10_IS15_E10value_typeET4_jRbjT5_S1B_jjP12ihipStream_tbEUljE_EEESW_SX_SY_S15_S19_S1B_T6_T7_T9_mT8_S1D_bDpT10_ENKUlT_T0_E_clISt17integral_constantIbLb0EES1P_IbLb1EEEEDaS1L_S1M_EUlS1L_E_NS1_11comp_targetILNS1_3genE3ELNS1_11target_archE908ELNS1_3gpuE7ELNS1_3repE0EEENS1_30default_config_static_selectorELNS0_4arch9wavefront6targetE0EEEvSZ_.numbered_sgpr, 0
	.set _ZN7rocprim17ROCPRIM_400000_NS6detail17trampoline_kernelINS0_13select_configILj256ELj13ELNS0_17block_load_methodE3ELS4_3ELS4_3ELNS0_20block_scan_algorithmE0ELj4294967295EEENS1_25partition_config_selectorILNS1_17partition_subalgoE3EjNS0_10empty_typeEbEEZZNS1_14partition_implILS8_3ELb0ES6_jNS0_17counting_iteratorIjlEEPS9_SE_NS0_5tupleIJPjSE_EEENSF_IJSE_SE_EEES9_SG_JZNS1_25segmented_radix_sort_implINS0_14default_configELb1EPK6__halfPSL_PKlPlN2at6native12_GLOBAL__N_18offset_tEEE10hipError_tPvRmT1_PNSt15iterator_traitsISZ_E10value_typeET2_T3_PNS10_IS15_E10value_typeET4_jRbjT5_S1B_jjP12ihipStream_tbEUljE_EEESW_SX_SY_S15_S19_S1B_T6_T7_T9_mT8_S1D_bDpT10_ENKUlT_T0_E_clISt17integral_constantIbLb0EES1P_IbLb1EEEEDaS1L_S1M_EUlS1L_E_NS1_11comp_targetILNS1_3genE3ELNS1_11target_archE908ELNS1_3gpuE7ELNS1_3repE0EEENS1_30default_config_static_selectorELNS0_4arch9wavefront6targetE0EEEvSZ_.num_named_barrier, 0
	.set _ZN7rocprim17ROCPRIM_400000_NS6detail17trampoline_kernelINS0_13select_configILj256ELj13ELNS0_17block_load_methodE3ELS4_3ELS4_3ELNS0_20block_scan_algorithmE0ELj4294967295EEENS1_25partition_config_selectorILNS1_17partition_subalgoE3EjNS0_10empty_typeEbEEZZNS1_14partition_implILS8_3ELb0ES6_jNS0_17counting_iteratorIjlEEPS9_SE_NS0_5tupleIJPjSE_EEENSF_IJSE_SE_EEES9_SG_JZNS1_25segmented_radix_sort_implINS0_14default_configELb1EPK6__halfPSL_PKlPlN2at6native12_GLOBAL__N_18offset_tEEE10hipError_tPvRmT1_PNSt15iterator_traitsISZ_E10value_typeET2_T3_PNS10_IS15_E10value_typeET4_jRbjT5_S1B_jjP12ihipStream_tbEUljE_EEESW_SX_SY_S15_S19_S1B_T6_T7_T9_mT8_S1D_bDpT10_ENKUlT_T0_E_clISt17integral_constantIbLb0EES1P_IbLb1EEEEDaS1L_S1M_EUlS1L_E_NS1_11comp_targetILNS1_3genE3ELNS1_11target_archE908ELNS1_3gpuE7ELNS1_3repE0EEENS1_30default_config_static_selectorELNS0_4arch9wavefront6targetE0EEEvSZ_.private_seg_size, 0
	.set _ZN7rocprim17ROCPRIM_400000_NS6detail17trampoline_kernelINS0_13select_configILj256ELj13ELNS0_17block_load_methodE3ELS4_3ELS4_3ELNS0_20block_scan_algorithmE0ELj4294967295EEENS1_25partition_config_selectorILNS1_17partition_subalgoE3EjNS0_10empty_typeEbEEZZNS1_14partition_implILS8_3ELb0ES6_jNS0_17counting_iteratorIjlEEPS9_SE_NS0_5tupleIJPjSE_EEENSF_IJSE_SE_EEES9_SG_JZNS1_25segmented_radix_sort_implINS0_14default_configELb1EPK6__halfPSL_PKlPlN2at6native12_GLOBAL__N_18offset_tEEE10hipError_tPvRmT1_PNSt15iterator_traitsISZ_E10value_typeET2_T3_PNS10_IS15_E10value_typeET4_jRbjT5_S1B_jjP12ihipStream_tbEUljE_EEESW_SX_SY_S15_S19_S1B_T6_T7_T9_mT8_S1D_bDpT10_ENKUlT_T0_E_clISt17integral_constantIbLb0EES1P_IbLb1EEEEDaS1L_S1M_EUlS1L_E_NS1_11comp_targetILNS1_3genE3ELNS1_11target_archE908ELNS1_3gpuE7ELNS1_3repE0EEENS1_30default_config_static_selectorELNS0_4arch9wavefront6targetE0EEEvSZ_.uses_vcc, 0
	.set _ZN7rocprim17ROCPRIM_400000_NS6detail17trampoline_kernelINS0_13select_configILj256ELj13ELNS0_17block_load_methodE3ELS4_3ELS4_3ELNS0_20block_scan_algorithmE0ELj4294967295EEENS1_25partition_config_selectorILNS1_17partition_subalgoE3EjNS0_10empty_typeEbEEZZNS1_14partition_implILS8_3ELb0ES6_jNS0_17counting_iteratorIjlEEPS9_SE_NS0_5tupleIJPjSE_EEENSF_IJSE_SE_EEES9_SG_JZNS1_25segmented_radix_sort_implINS0_14default_configELb1EPK6__halfPSL_PKlPlN2at6native12_GLOBAL__N_18offset_tEEE10hipError_tPvRmT1_PNSt15iterator_traitsISZ_E10value_typeET2_T3_PNS10_IS15_E10value_typeET4_jRbjT5_S1B_jjP12ihipStream_tbEUljE_EEESW_SX_SY_S15_S19_S1B_T6_T7_T9_mT8_S1D_bDpT10_ENKUlT_T0_E_clISt17integral_constantIbLb0EES1P_IbLb1EEEEDaS1L_S1M_EUlS1L_E_NS1_11comp_targetILNS1_3genE3ELNS1_11target_archE908ELNS1_3gpuE7ELNS1_3repE0EEENS1_30default_config_static_selectorELNS0_4arch9wavefront6targetE0EEEvSZ_.uses_flat_scratch, 0
	.set _ZN7rocprim17ROCPRIM_400000_NS6detail17trampoline_kernelINS0_13select_configILj256ELj13ELNS0_17block_load_methodE3ELS4_3ELS4_3ELNS0_20block_scan_algorithmE0ELj4294967295EEENS1_25partition_config_selectorILNS1_17partition_subalgoE3EjNS0_10empty_typeEbEEZZNS1_14partition_implILS8_3ELb0ES6_jNS0_17counting_iteratorIjlEEPS9_SE_NS0_5tupleIJPjSE_EEENSF_IJSE_SE_EEES9_SG_JZNS1_25segmented_radix_sort_implINS0_14default_configELb1EPK6__halfPSL_PKlPlN2at6native12_GLOBAL__N_18offset_tEEE10hipError_tPvRmT1_PNSt15iterator_traitsISZ_E10value_typeET2_T3_PNS10_IS15_E10value_typeET4_jRbjT5_S1B_jjP12ihipStream_tbEUljE_EEESW_SX_SY_S15_S19_S1B_T6_T7_T9_mT8_S1D_bDpT10_ENKUlT_T0_E_clISt17integral_constantIbLb0EES1P_IbLb1EEEEDaS1L_S1M_EUlS1L_E_NS1_11comp_targetILNS1_3genE3ELNS1_11target_archE908ELNS1_3gpuE7ELNS1_3repE0EEENS1_30default_config_static_selectorELNS0_4arch9wavefront6targetE0EEEvSZ_.has_dyn_sized_stack, 0
	.set _ZN7rocprim17ROCPRIM_400000_NS6detail17trampoline_kernelINS0_13select_configILj256ELj13ELNS0_17block_load_methodE3ELS4_3ELS4_3ELNS0_20block_scan_algorithmE0ELj4294967295EEENS1_25partition_config_selectorILNS1_17partition_subalgoE3EjNS0_10empty_typeEbEEZZNS1_14partition_implILS8_3ELb0ES6_jNS0_17counting_iteratorIjlEEPS9_SE_NS0_5tupleIJPjSE_EEENSF_IJSE_SE_EEES9_SG_JZNS1_25segmented_radix_sort_implINS0_14default_configELb1EPK6__halfPSL_PKlPlN2at6native12_GLOBAL__N_18offset_tEEE10hipError_tPvRmT1_PNSt15iterator_traitsISZ_E10value_typeET2_T3_PNS10_IS15_E10value_typeET4_jRbjT5_S1B_jjP12ihipStream_tbEUljE_EEESW_SX_SY_S15_S19_S1B_T6_T7_T9_mT8_S1D_bDpT10_ENKUlT_T0_E_clISt17integral_constantIbLb0EES1P_IbLb1EEEEDaS1L_S1M_EUlS1L_E_NS1_11comp_targetILNS1_3genE3ELNS1_11target_archE908ELNS1_3gpuE7ELNS1_3repE0EEENS1_30default_config_static_selectorELNS0_4arch9wavefront6targetE0EEEvSZ_.has_recursion, 0
	.set _ZN7rocprim17ROCPRIM_400000_NS6detail17trampoline_kernelINS0_13select_configILj256ELj13ELNS0_17block_load_methodE3ELS4_3ELS4_3ELNS0_20block_scan_algorithmE0ELj4294967295EEENS1_25partition_config_selectorILNS1_17partition_subalgoE3EjNS0_10empty_typeEbEEZZNS1_14partition_implILS8_3ELb0ES6_jNS0_17counting_iteratorIjlEEPS9_SE_NS0_5tupleIJPjSE_EEENSF_IJSE_SE_EEES9_SG_JZNS1_25segmented_radix_sort_implINS0_14default_configELb1EPK6__halfPSL_PKlPlN2at6native12_GLOBAL__N_18offset_tEEE10hipError_tPvRmT1_PNSt15iterator_traitsISZ_E10value_typeET2_T3_PNS10_IS15_E10value_typeET4_jRbjT5_S1B_jjP12ihipStream_tbEUljE_EEESW_SX_SY_S15_S19_S1B_T6_T7_T9_mT8_S1D_bDpT10_ENKUlT_T0_E_clISt17integral_constantIbLb0EES1P_IbLb1EEEEDaS1L_S1M_EUlS1L_E_NS1_11comp_targetILNS1_3genE3ELNS1_11target_archE908ELNS1_3gpuE7ELNS1_3repE0EEENS1_30default_config_static_selectorELNS0_4arch9wavefront6targetE0EEEvSZ_.has_indirect_call, 0
	.section	.AMDGPU.csdata,"",@progbits
; Kernel info:
; codeLenInByte = 0
; TotalNumSgprs: 0
; NumVgprs: 0
; ScratchSize: 0
; MemoryBound: 0
; FloatMode: 240
; IeeeMode: 1
; LDSByteSize: 0 bytes/workgroup (compile time only)
; SGPRBlocks: 0
; VGPRBlocks: 0
; NumSGPRsForWavesPerEU: 1
; NumVGPRsForWavesPerEU: 1
; Occupancy: 16
; WaveLimiterHint : 0
; COMPUTE_PGM_RSRC2:SCRATCH_EN: 0
; COMPUTE_PGM_RSRC2:USER_SGPR: 2
; COMPUTE_PGM_RSRC2:TRAP_HANDLER: 0
; COMPUTE_PGM_RSRC2:TGID_X_EN: 1
; COMPUTE_PGM_RSRC2:TGID_Y_EN: 0
; COMPUTE_PGM_RSRC2:TGID_Z_EN: 0
; COMPUTE_PGM_RSRC2:TIDIG_COMP_CNT: 0
	.section	.text._ZN7rocprim17ROCPRIM_400000_NS6detail17trampoline_kernelINS0_13select_configILj256ELj13ELNS0_17block_load_methodE3ELS4_3ELS4_3ELNS0_20block_scan_algorithmE0ELj4294967295EEENS1_25partition_config_selectorILNS1_17partition_subalgoE3EjNS0_10empty_typeEbEEZZNS1_14partition_implILS8_3ELb0ES6_jNS0_17counting_iteratorIjlEEPS9_SE_NS0_5tupleIJPjSE_EEENSF_IJSE_SE_EEES9_SG_JZNS1_25segmented_radix_sort_implINS0_14default_configELb1EPK6__halfPSL_PKlPlN2at6native12_GLOBAL__N_18offset_tEEE10hipError_tPvRmT1_PNSt15iterator_traitsISZ_E10value_typeET2_T3_PNS10_IS15_E10value_typeET4_jRbjT5_S1B_jjP12ihipStream_tbEUljE_EEESW_SX_SY_S15_S19_S1B_T6_T7_T9_mT8_S1D_bDpT10_ENKUlT_T0_E_clISt17integral_constantIbLb0EES1P_IbLb1EEEEDaS1L_S1M_EUlS1L_E_NS1_11comp_targetILNS1_3genE2ELNS1_11target_archE906ELNS1_3gpuE6ELNS1_3repE0EEENS1_30default_config_static_selectorELNS0_4arch9wavefront6targetE0EEEvSZ_,"axG",@progbits,_ZN7rocprim17ROCPRIM_400000_NS6detail17trampoline_kernelINS0_13select_configILj256ELj13ELNS0_17block_load_methodE3ELS4_3ELS4_3ELNS0_20block_scan_algorithmE0ELj4294967295EEENS1_25partition_config_selectorILNS1_17partition_subalgoE3EjNS0_10empty_typeEbEEZZNS1_14partition_implILS8_3ELb0ES6_jNS0_17counting_iteratorIjlEEPS9_SE_NS0_5tupleIJPjSE_EEENSF_IJSE_SE_EEES9_SG_JZNS1_25segmented_radix_sort_implINS0_14default_configELb1EPK6__halfPSL_PKlPlN2at6native12_GLOBAL__N_18offset_tEEE10hipError_tPvRmT1_PNSt15iterator_traitsISZ_E10value_typeET2_T3_PNS10_IS15_E10value_typeET4_jRbjT5_S1B_jjP12ihipStream_tbEUljE_EEESW_SX_SY_S15_S19_S1B_T6_T7_T9_mT8_S1D_bDpT10_ENKUlT_T0_E_clISt17integral_constantIbLb0EES1P_IbLb1EEEEDaS1L_S1M_EUlS1L_E_NS1_11comp_targetILNS1_3genE2ELNS1_11target_archE906ELNS1_3gpuE6ELNS1_3repE0EEENS1_30default_config_static_selectorELNS0_4arch9wavefront6targetE0EEEvSZ_,comdat
	.globl	_ZN7rocprim17ROCPRIM_400000_NS6detail17trampoline_kernelINS0_13select_configILj256ELj13ELNS0_17block_load_methodE3ELS4_3ELS4_3ELNS0_20block_scan_algorithmE0ELj4294967295EEENS1_25partition_config_selectorILNS1_17partition_subalgoE3EjNS0_10empty_typeEbEEZZNS1_14partition_implILS8_3ELb0ES6_jNS0_17counting_iteratorIjlEEPS9_SE_NS0_5tupleIJPjSE_EEENSF_IJSE_SE_EEES9_SG_JZNS1_25segmented_radix_sort_implINS0_14default_configELb1EPK6__halfPSL_PKlPlN2at6native12_GLOBAL__N_18offset_tEEE10hipError_tPvRmT1_PNSt15iterator_traitsISZ_E10value_typeET2_T3_PNS10_IS15_E10value_typeET4_jRbjT5_S1B_jjP12ihipStream_tbEUljE_EEESW_SX_SY_S15_S19_S1B_T6_T7_T9_mT8_S1D_bDpT10_ENKUlT_T0_E_clISt17integral_constantIbLb0EES1P_IbLb1EEEEDaS1L_S1M_EUlS1L_E_NS1_11comp_targetILNS1_3genE2ELNS1_11target_archE906ELNS1_3gpuE6ELNS1_3repE0EEENS1_30default_config_static_selectorELNS0_4arch9wavefront6targetE0EEEvSZ_ ; -- Begin function _ZN7rocprim17ROCPRIM_400000_NS6detail17trampoline_kernelINS0_13select_configILj256ELj13ELNS0_17block_load_methodE3ELS4_3ELS4_3ELNS0_20block_scan_algorithmE0ELj4294967295EEENS1_25partition_config_selectorILNS1_17partition_subalgoE3EjNS0_10empty_typeEbEEZZNS1_14partition_implILS8_3ELb0ES6_jNS0_17counting_iteratorIjlEEPS9_SE_NS0_5tupleIJPjSE_EEENSF_IJSE_SE_EEES9_SG_JZNS1_25segmented_radix_sort_implINS0_14default_configELb1EPK6__halfPSL_PKlPlN2at6native12_GLOBAL__N_18offset_tEEE10hipError_tPvRmT1_PNSt15iterator_traitsISZ_E10value_typeET2_T3_PNS10_IS15_E10value_typeET4_jRbjT5_S1B_jjP12ihipStream_tbEUljE_EEESW_SX_SY_S15_S19_S1B_T6_T7_T9_mT8_S1D_bDpT10_ENKUlT_T0_E_clISt17integral_constantIbLb0EES1P_IbLb1EEEEDaS1L_S1M_EUlS1L_E_NS1_11comp_targetILNS1_3genE2ELNS1_11target_archE906ELNS1_3gpuE6ELNS1_3repE0EEENS1_30default_config_static_selectorELNS0_4arch9wavefront6targetE0EEEvSZ_
	.p2align	8
	.type	_ZN7rocprim17ROCPRIM_400000_NS6detail17trampoline_kernelINS0_13select_configILj256ELj13ELNS0_17block_load_methodE3ELS4_3ELS4_3ELNS0_20block_scan_algorithmE0ELj4294967295EEENS1_25partition_config_selectorILNS1_17partition_subalgoE3EjNS0_10empty_typeEbEEZZNS1_14partition_implILS8_3ELb0ES6_jNS0_17counting_iteratorIjlEEPS9_SE_NS0_5tupleIJPjSE_EEENSF_IJSE_SE_EEES9_SG_JZNS1_25segmented_radix_sort_implINS0_14default_configELb1EPK6__halfPSL_PKlPlN2at6native12_GLOBAL__N_18offset_tEEE10hipError_tPvRmT1_PNSt15iterator_traitsISZ_E10value_typeET2_T3_PNS10_IS15_E10value_typeET4_jRbjT5_S1B_jjP12ihipStream_tbEUljE_EEESW_SX_SY_S15_S19_S1B_T6_T7_T9_mT8_S1D_bDpT10_ENKUlT_T0_E_clISt17integral_constantIbLb0EES1P_IbLb1EEEEDaS1L_S1M_EUlS1L_E_NS1_11comp_targetILNS1_3genE2ELNS1_11target_archE906ELNS1_3gpuE6ELNS1_3repE0EEENS1_30default_config_static_selectorELNS0_4arch9wavefront6targetE0EEEvSZ_,@function
_ZN7rocprim17ROCPRIM_400000_NS6detail17trampoline_kernelINS0_13select_configILj256ELj13ELNS0_17block_load_methodE3ELS4_3ELS4_3ELNS0_20block_scan_algorithmE0ELj4294967295EEENS1_25partition_config_selectorILNS1_17partition_subalgoE3EjNS0_10empty_typeEbEEZZNS1_14partition_implILS8_3ELb0ES6_jNS0_17counting_iteratorIjlEEPS9_SE_NS0_5tupleIJPjSE_EEENSF_IJSE_SE_EEES9_SG_JZNS1_25segmented_radix_sort_implINS0_14default_configELb1EPK6__halfPSL_PKlPlN2at6native12_GLOBAL__N_18offset_tEEE10hipError_tPvRmT1_PNSt15iterator_traitsISZ_E10value_typeET2_T3_PNS10_IS15_E10value_typeET4_jRbjT5_S1B_jjP12ihipStream_tbEUljE_EEESW_SX_SY_S15_S19_S1B_T6_T7_T9_mT8_S1D_bDpT10_ENKUlT_T0_E_clISt17integral_constantIbLb0EES1P_IbLb1EEEEDaS1L_S1M_EUlS1L_E_NS1_11comp_targetILNS1_3genE2ELNS1_11target_archE906ELNS1_3gpuE6ELNS1_3repE0EEENS1_30default_config_static_selectorELNS0_4arch9wavefront6targetE0EEEvSZ_: ; @_ZN7rocprim17ROCPRIM_400000_NS6detail17trampoline_kernelINS0_13select_configILj256ELj13ELNS0_17block_load_methodE3ELS4_3ELS4_3ELNS0_20block_scan_algorithmE0ELj4294967295EEENS1_25partition_config_selectorILNS1_17partition_subalgoE3EjNS0_10empty_typeEbEEZZNS1_14partition_implILS8_3ELb0ES6_jNS0_17counting_iteratorIjlEEPS9_SE_NS0_5tupleIJPjSE_EEENSF_IJSE_SE_EEES9_SG_JZNS1_25segmented_radix_sort_implINS0_14default_configELb1EPK6__halfPSL_PKlPlN2at6native12_GLOBAL__N_18offset_tEEE10hipError_tPvRmT1_PNSt15iterator_traitsISZ_E10value_typeET2_T3_PNS10_IS15_E10value_typeET4_jRbjT5_S1B_jjP12ihipStream_tbEUljE_EEESW_SX_SY_S15_S19_S1B_T6_T7_T9_mT8_S1D_bDpT10_ENKUlT_T0_E_clISt17integral_constantIbLb0EES1P_IbLb1EEEEDaS1L_S1M_EUlS1L_E_NS1_11comp_targetILNS1_3genE2ELNS1_11target_archE906ELNS1_3gpuE6ELNS1_3repE0EEENS1_30default_config_static_selectorELNS0_4arch9wavefront6targetE0EEEvSZ_
; %bb.0:
	.section	.rodata,"a",@progbits
	.p2align	6, 0x0
	.amdhsa_kernel _ZN7rocprim17ROCPRIM_400000_NS6detail17trampoline_kernelINS0_13select_configILj256ELj13ELNS0_17block_load_methodE3ELS4_3ELS4_3ELNS0_20block_scan_algorithmE0ELj4294967295EEENS1_25partition_config_selectorILNS1_17partition_subalgoE3EjNS0_10empty_typeEbEEZZNS1_14partition_implILS8_3ELb0ES6_jNS0_17counting_iteratorIjlEEPS9_SE_NS0_5tupleIJPjSE_EEENSF_IJSE_SE_EEES9_SG_JZNS1_25segmented_radix_sort_implINS0_14default_configELb1EPK6__halfPSL_PKlPlN2at6native12_GLOBAL__N_18offset_tEEE10hipError_tPvRmT1_PNSt15iterator_traitsISZ_E10value_typeET2_T3_PNS10_IS15_E10value_typeET4_jRbjT5_S1B_jjP12ihipStream_tbEUljE_EEESW_SX_SY_S15_S19_S1B_T6_T7_T9_mT8_S1D_bDpT10_ENKUlT_T0_E_clISt17integral_constantIbLb0EES1P_IbLb1EEEEDaS1L_S1M_EUlS1L_E_NS1_11comp_targetILNS1_3genE2ELNS1_11target_archE906ELNS1_3gpuE6ELNS1_3repE0EEENS1_30default_config_static_selectorELNS0_4arch9wavefront6targetE0EEEvSZ_
		.amdhsa_group_segment_fixed_size 0
		.amdhsa_private_segment_fixed_size 0
		.amdhsa_kernarg_size 152
		.amdhsa_user_sgpr_count 2
		.amdhsa_user_sgpr_dispatch_ptr 0
		.amdhsa_user_sgpr_queue_ptr 0
		.amdhsa_user_sgpr_kernarg_segment_ptr 1
		.amdhsa_user_sgpr_dispatch_id 0
		.amdhsa_user_sgpr_private_segment_size 0
		.amdhsa_wavefront_size32 1
		.amdhsa_uses_dynamic_stack 0
		.amdhsa_enable_private_segment 0
		.amdhsa_system_sgpr_workgroup_id_x 1
		.amdhsa_system_sgpr_workgroup_id_y 0
		.amdhsa_system_sgpr_workgroup_id_z 0
		.amdhsa_system_sgpr_workgroup_info 0
		.amdhsa_system_vgpr_workitem_id 0
		.amdhsa_next_free_vgpr 1
		.amdhsa_next_free_sgpr 1
		.amdhsa_reserve_vcc 0
		.amdhsa_float_round_mode_32 0
		.amdhsa_float_round_mode_16_64 0
		.amdhsa_float_denorm_mode_32 3
		.amdhsa_float_denorm_mode_16_64 3
		.amdhsa_fp16_overflow 0
		.amdhsa_workgroup_processor_mode 1
		.amdhsa_memory_ordered 1
		.amdhsa_forward_progress 1
		.amdhsa_inst_pref_size 0
		.amdhsa_round_robin_scheduling 0
		.amdhsa_exception_fp_ieee_invalid_op 0
		.amdhsa_exception_fp_denorm_src 0
		.amdhsa_exception_fp_ieee_div_zero 0
		.amdhsa_exception_fp_ieee_overflow 0
		.amdhsa_exception_fp_ieee_underflow 0
		.amdhsa_exception_fp_ieee_inexact 0
		.amdhsa_exception_int_div_zero 0
	.end_amdhsa_kernel
	.section	.text._ZN7rocprim17ROCPRIM_400000_NS6detail17trampoline_kernelINS0_13select_configILj256ELj13ELNS0_17block_load_methodE3ELS4_3ELS4_3ELNS0_20block_scan_algorithmE0ELj4294967295EEENS1_25partition_config_selectorILNS1_17partition_subalgoE3EjNS0_10empty_typeEbEEZZNS1_14partition_implILS8_3ELb0ES6_jNS0_17counting_iteratorIjlEEPS9_SE_NS0_5tupleIJPjSE_EEENSF_IJSE_SE_EEES9_SG_JZNS1_25segmented_radix_sort_implINS0_14default_configELb1EPK6__halfPSL_PKlPlN2at6native12_GLOBAL__N_18offset_tEEE10hipError_tPvRmT1_PNSt15iterator_traitsISZ_E10value_typeET2_T3_PNS10_IS15_E10value_typeET4_jRbjT5_S1B_jjP12ihipStream_tbEUljE_EEESW_SX_SY_S15_S19_S1B_T6_T7_T9_mT8_S1D_bDpT10_ENKUlT_T0_E_clISt17integral_constantIbLb0EES1P_IbLb1EEEEDaS1L_S1M_EUlS1L_E_NS1_11comp_targetILNS1_3genE2ELNS1_11target_archE906ELNS1_3gpuE6ELNS1_3repE0EEENS1_30default_config_static_selectorELNS0_4arch9wavefront6targetE0EEEvSZ_,"axG",@progbits,_ZN7rocprim17ROCPRIM_400000_NS6detail17trampoline_kernelINS0_13select_configILj256ELj13ELNS0_17block_load_methodE3ELS4_3ELS4_3ELNS0_20block_scan_algorithmE0ELj4294967295EEENS1_25partition_config_selectorILNS1_17partition_subalgoE3EjNS0_10empty_typeEbEEZZNS1_14partition_implILS8_3ELb0ES6_jNS0_17counting_iteratorIjlEEPS9_SE_NS0_5tupleIJPjSE_EEENSF_IJSE_SE_EEES9_SG_JZNS1_25segmented_radix_sort_implINS0_14default_configELb1EPK6__halfPSL_PKlPlN2at6native12_GLOBAL__N_18offset_tEEE10hipError_tPvRmT1_PNSt15iterator_traitsISZ_E10value_typeET2_T3_PNS10_IS15_E10value_typeET4_jRbjT5_S1B_jjP12ihipStream_tbEUljE_EEESW_SX_SY_S15_S19_S1B_T6_T7_T9_mT8_S1D_bDpT10_ENKUlT_T0_E_clISt17integral_constantIbLb0EES1P_IbLb1EEEEDaS1L_S1M_EUlS1L_E_NS1_11comp_targetILNS1_3genE2ELNS1_11target_archE906ELNS1_3gpuE6ELNS1_3repE0EEENS1_30default_config_static_selectorELNS0_4arch9wavefront6targetE0EEEvSZ_,comdat
.Lfunc_end1735:
	.size	_ZN7rocprim17ROCPRIM_400000_NS6detail17trampoline_kernelINS0_13select_configILj256ELj13ELNS0_17block_load_methodE3ELS4_3ELS4_3ELNS0_20block_scan_algorithmE0ELj4294967295EEENS1_25partition_config_selectorILNS1_17partition_subalgoE3EjNS0_10empty_typeEbEEZZNS1_14partition_implILS8_3ELb0ES6_jNS0_17counting_iteratorIjlEEPS9_SE_NS0_5tupleIJPjSE_EEENSF_IJSE_SE_EEES9_SG_JZNS1_25segmented_radix_sort_implINS0_14default_configELb1EPK6__halfPSL_PKlPlN2at6native12_GLOBAL__N_18offset_tEEE10hipError_tPvRmT1_PNSt15iterator_traitsISZ_E10value_typeET2_T3_PNS10_IS15_E10value_typeET4_jRbjT5_S1B_jjP12ihipStream_tbEUljE_EEESW_SX_SY_S15_S19_S1B_T6_T7_T9_mT8_S1D_bDpT10_ENKUlT_T0_E_clISt17integral_constantIbLb0EES1P_IbLb1EEEEDaS1L_S1M_EUlS1L_E_NS1_11comp_targetILNS1_3genE2ELNS1_11target_archE906ELNS1_3gpuE6ELNS1_3repE0EEENS1_30default_config_static_selectorELNS0_4arch9wavefront6targetE0EEEvSZ_, .Lfunc_end1735-_ZN7rocprim17ROCPRIM_400000_NS6detail17trampoline_kernelINS0_13select_configILj256ELj13ELNS0_17block_load_methodE3ELS4_3ELS4_3ELNS0_20block_scan_algorithmE0ELj4294967295EEENS1_25partition_config_selectorILNS1_17partition_subalgoE3EjNS0_10empty_typeEbEEZZNS1_14partition_implILS8_3ELb0ES6_jNS0_17counting_iteratorIjlEEPS9_SE_NS0_5tupleIJPjSE_EEENSF_IJSE_SE_EEES9_SG_JZNS1_25segmented_radix_sort_implINS0_14default_configELb1EPK6__halfPSL_PKlPlN2at6native12_GLOBAL__N_18offset_tEEE10hipError_tPvRmT1_PNSt15iterator_traitsISZ_E10value_typeET2_T3_PNS10_IS15_E10value_typeET4_jRbjT5_S1B_jjP12ihipStream_tbEUljE_EEESW_SX_SY_S15_S19_S1B_T6_T7_T9_mT8_S1D_bDpT10_ENKUlT_T0_E_clISt17integral_constantIbLb0EES1P_IbLb1EEEEDaS1L_S1M_EUlS1L_E_NS1_11comp_targetILNS1_3genE2ELNS1_11target_archE906ELNS1_3gpuE6ELNS1_3repE0EEENS1_30default_config_static_selectorELNS0_4arch9wavefront6targetE0EEEvSZ_
                                        ; -- End function
	.set _ZN7rocprim17ROCPRIM_400000_NS6detail17trampoline_kernelINS0_13select_configILj256ELj13ELNS0_17block_load_methodE3ELS4_3ELS4_3ELNS0_20block_scan_algorithmE0ELj4294967295EEENS1_25partition_config_selectorILNS1_17partition_subalgoE3EjNS0_10empty_typeEbEEZZNS1_14partition_implILS8_3ELb0ES6_jNS0_17counting_iteratorIjlEEPS9_SE_NS0_5tupleIJPjSE_EEENSF_IJSE_SE_EEES9_SG_JZNS1_25segmented_radix_sort_implINS0_14default_configELb1EPK6__halfPSL_PKlPlN2at6native12_GLOBAL__N_18offset_tEEE10hipError_tPvRmT1_PNSt15iterator_traitsISZ_E10value_typeET2_T3_PNS10_IS15_E10value_typeET4_jRbjT5_S1B_jjP12ihipStream_tbEUljE_EEESW_SX_SY_S15_S19_S1B_T6_T7_T9_mT8_S1D_bDpT10_ENKUlT_T0_E_clISt17integral_constantIbLb0EES1P_IbLb1EEEEDaS1L_S1M_EUlS1L_E_NS1_11comp_targetILNS1_3genE2ELNS1_11target_archE906ELNS1_3gpuE6ELNS1_3repE0EEENS1_30default_config_static_selectorELNS0_4arch9wavefront6targetE0EEEvSZ_.num_vgpr, 0
	.set _ZN7rocprim17ROCPRIM_400000_NS6detail17trampoline_kernelINS0_13select_configILj256ELj13ELNS0_17block_load_methodE3ELS4_3ELS4_3ELNS0_20block_scan_algorithmE0ELj4294967295EEENS1_25partition_config_selectorILNS1_17partition_subalgoE3EjNS0_10empty_typeEbEEZZNS1_14partition_implILS8_3ELb0ES6_jNS0_17counting_iteratorIjlEEPS9_SE_NS0_5tupleIJPjSE_EEENSF_IJSE_SE_EEES9_SG_JZNS1_25segmented_radix_sort_implINS0_14default_configELb1EPK6__halfPSL_PKlPlN2at6native12_GLOBAL__N_18offset_tEEE10hipError_tPvRmT1_PNSt15iterator_traitsISZ_E10value_typeET2_T3_PNS10_IS15_E10value_typeET4_jRbjT5_S1B_jjP12ihipStream_tbEUljE_EEESW_SX_SY_S15_S19_S1B_T6_T7_T9_mT8_S1D_bDpT10_ENKUlT_T0_E_clISt17integral_constantIbLb0EES1P_IbLb1EEEEDaS1L_S1M_EUlS1L_E_NS1_11comp_targetILNS1_3genE2ELNS1_11target_archE906ELNS1_3gpuE6ELNS1_3repE0EEENS1_30default_config_static_selectorELNS0_4arch9wavefront6targetE0EEEvSZ_.num_agpr, 0
	.set _ZN7rocprim17ROCPRIM_400000_NS6detail17trampoline_kernelINS0_13select_configILj256ELj13ELNS0_17block_load_methodE3ELS4_3ELS4_3ELNS0_20block_scan_algorithmE0ELj4294967295EEENS1_25partition_config_selectorILNS1_17partition_subalgoE3EjNS0_10empty_typeEbEEZZNS1_14partition_implILS8_3ELb0ES6_jNS0_17counting_iteratorIjlEEPS9_SE_NS0_5tupleIJPjSE_EEENSF_IJSE_SE_EEES9_SG_JZNS1_25segmented_radix_sort_implINS0_14default_configELb1EPK6__halfPSL_PKlPlN2at6native12_GLOBAL__N_18offset_tEEE10hipError_tPvRmT1_PNSt15iterator_traitsISZ_E10value_typeET2_T3_PNS10_IS15_E10value_typeET4_jRbjT5_S1B_jjP12ihipStream_tbEUljE_EEESW_SX_SY_S15_S19_S1B_T6_T7_T9_mT8_S1D_bDpT10_ENKUlT_T0_E_clISt17integral_constantIbLb0EES1P_IbLb1EEEEDaS1L_S1M_EUlS1L_E_NS1_11comp_targetILNS1_3genE2ELNS1_11target_archE906ELNS1_3gpuE6ELNS1_3repE0EEENS1_30default_config_static_selectorELNS0_4arch9wavefront6targetE0EEEvSZ_.numbered_sgpr, 0
	.set _ZN7rocprim17ROCPRIM_400000_NS6detail17trampoline_kernelINS0_13select_configILj256ELj13ELNS0_17block_load_methodE3ELS4_3ELS4_3ELNS0_20block_scan_algorithmE0ELj4294967295EEENS1_25partition_config_selectorILNS1_17partition_subalgoE3EjNS0_10empty_typeEbEEZZNS1_14partition_implILS8_3ELb0ES6_jNS0_17counting_iteratorIjlEEPS9_SE_NS0_5tupleIJPjSE_EEENSF_IJSE_SE_EEES9_SG_JZNS1_25segmented_radix_sort_implINS0_14default_configELb1EPK6__halfPSL_PKlPlN2at6native12_GLOBAL__N_18offset_tEEE10hipError_tPvRmT1_PNSt15iterator_traitsISZ_E10value_typeET2_T3_PNS10_IS15_E10value_typeET4_jRbjT5_S1B_jjP12ihipStream_tbEUljE_EEESW_SX_SY_S15_S19_S1B_T6_T7_T9_mT8_S1D_bDpT10_ENKUlT_T0_E_clISt17integral_constantIbLb0EES1P_IbLb1EEEEDaS1L_S1M_EUlS1L_E_NS1_11comp_targetILNS1_3genE2ELNS1_11target_archE906ELNS1_3gpuE6ELNS1_3repE0EEENS1_30default_config_static_selectorELNS0_4arch9wavefront6targetE0EEEvSZ_.num_named_barrier, 0
	.set _ZN7rocprim17ROCPRIM_400000_NS6detail17trampoline_kernelINS0_13select_configILj256ELj13ELNS0_17block_load_methodE3ELS4_3ELS4_3ELNS0_20block_scan_algorithmE0ELj4294967295EEENS1_25partition_config_selectorILNS1_17partition_subalgoE3EjNS0_10empty_typeEbEEZZNS1_14partition_implILS8_3ELb0ES6_jNS0_17counting_iteratorIjlEEPS9_SE_NS0_5tupleIJPjSE_EEENSF_IJSE_SE_EEES9_SG_JZNS1_25segmented_radix_sort_implINS0_14default_configELb1EPK6__halfPSL_PKlPlN2at6native12_GLOBAL__N_18offset_tEEE10hipError_tPvRmT1_PNSt15iterator_traitsISZ_E10value_typeET2_T3_PNS10_IS15_E10value_typeET4_jRbjT5_S1B_jjP12ihipStream_tbEUljE_EEESW_SX_SY_S15_S19_S1B_T6_T7_T9_mT8_S1D_bDpT10_ENKUlT_T0_E_clISt17integral_constantIbLb0EES1P_IbLb1EEEEDaS1L_S1M_EUlS1L_E_NS1_11comp_targetILNS1_3genE2ELNS1_11target_archE906ELNS1_3gpuE6ELNS1_3repE0EEENS1_30default_config_static_selectorELNS0_4arch9wavefront6targetE0EEEvSZ_.private_seg_size, 0
	.set _ZN7rocprim17ROCPRIM_400000_NS6detail17trampoline_kernelINS0_13select_configILj256ELj13ELNS0_17block_load_methodE3ELS4_3ELS4_3ELNS0_20block_scan_algorithmE0ELj4294967295EEENS1_25partition_config_selectorILNS1_17partition_subalgoE3EjNS0_10empty_typeEbEEZZNS1_14partition_implILS8_3ELb0ES6_jNS0_17counting_iteratorIjlEEPS9_SE_NS0_5tupleIJPjSE_EEENSF_IJSE_SE_EEES9_SG_JZNS1_25segmented_radix_sort_implINS0_14default_configELb1EPK6__halfPSL_PKlPlN2at6native12_GLOBAL__N_18offset_tEEE10hipError_tPvRmT1_PNSt15iterator_traitsISZ_E10value_typeET2_T3_PNS10_IS15_E10value_typeET4_jRbjT5_S1B_jjP12ihipStream_tbEUljE_EEESW_SX_SY_S15_S19_S1B_T6_T7_T9_mT8_S1D_bDpT10_ENKUlT_T0_E_clISt17integral_constantIbLb0EES1P_IbLb1EEEEDaS1L_S1M_EUlS1L_E_NS1_11comp_targetILNS1_3genE2ELNS1_11target_archE906ELNS1_3gpuE6ELNS1_3repE0EEENS1_30default_config_static_selectorELNS0_4arch9wavefront6targetE0EEEvSZ_.uses_vcc, 0
	.set _ZN7rocprim17ROCPRIM_400000_NS6detail17trampoline_kernelINS0_13select_configILj256ELj13ELNS0_17block_load_methodE3ELS4_3ELS4_3ELNS0_20block_scan_algorithmE0ELj4294967295EEENS1_25partition_config_selectorILNS1_17partition_subalgoE3EjNS0_10empty_typeEbEEZZNS1_14partition_implILS8_3ELb0ES6_jNS0_17counting_iteratorIjlEEPS9_SE_NS0_5tupleIJPjSE_EEENSF_IJSE_SE_EEES9_SG_JZNS1_25segmented_radix_sort_implINS0_14default_configELb1EPK6__halfPSL_PKlPlN2at6native12_GLOBAL__N_18offset_tEEE10hipError_tPvRmT1_PNSt15iterator_traitsISZ_E10value_typeET2_T3_PNS10_IS15_E10value_typeET4_jRbjT5_S1B_jjP12ihipStream_tbEUljE_EEESW_SX_SY_S15_S19_S1B_T6_T7_T9_mT8_S1D_bDpT10_ENKUlT_T0_E_clISt17integral_constantIbLb0EES1P_IbLb1EEEEDaS1L_S1M_EUlS1L_E_NS1_11comp_targetILNS1_3genE2ELNS1_11target_archE906ELNS1_3gpuE6ELNS1_3repE0EEENS1_30default_config_static_selectorELNS0_4arch9wavefront6targetE0EEEvSZ_.uses_flat_scratch, 0
	.set _ZN7rocprim17ROCPRIM_400000_NS6detail17trampoline_kernelINS0_13select_configILj256ELj13ELNS0_17block_load_methodE3ELS4_3ELS4_3ELNS0_20block_scan_algorithmE0ELj4294967295EEENS1_25partition_config_selectorILNS1_17partition_subalgoE3EjNS0_10empty_typeEbEEZZNS1_14partition_implILS8_3ELb0ES6_jNS0_17counting_iteratorIjlEEPS9_SE_NS0_5tupleIJPjSE_EEENSF_IJSE_SE_EEES9_SG_JZNS1_25segmented_radix_sort_implINS0_14default_configELb1EPK6__halfPSL_PKlPlN2at6native12_GLOBAL__N_18offset_tEEE10hipError_tPvRmT1_PNSt15iterator_traitsISZ_E10value_typeET2_T3_PNS10_IS15_E10value_typeET4_jRbjT5_S1B_jjP12ihipStream_tbEUljE_EEESW_SX_SY_S15_S19_S1B_T6_T7_T9_mT8_S1D_bDpT10_ENKUlT_T0_E_clISt17integral_constantIbLb0EES1P_IbLb1EEEEDaS1L_S1M_EUlS1L_E_NS1_11comp_targetILNS1_3genE2ELNS1_11target_archE906ELNS1_3gpuE6ELNS1_3repE0EEENS1_30default_config_static_selectorELNS0_4arch9wavefront6targetE0EEEvSZ_.has_dyn_sized_stack, 0
	.set _ZN7rocprim17ROCPRIM_400000_NS6detail17trampoline_kernelINS0_13select_configILj256ELj13ELNS0_17block_load_methodE3ELS4_3ELS4_3ELNS0_20block_scan_algorithmE0ELj4294967295EEENS1_25partition_config_selectorILNS1_17partition_subalgoE3EjNS0_10empty_typeEbEEZZNS1_14partition_implILS8_3ELb0ES6_jNS0_17counting_iteratorIjlEEPS9_SE_NS0_5tupleIJPjSE_EEENSF_IJSE_SE_EEES9_SG_JZNS1_25segmented_radix_sort_implINS0_14default_configELb1EPK6__halfPSL_PKlPlN2at6native12_GLOBAL__N_18offset_tEEE10hipError_tPvRmT1_PNSt15iterator_traitsISZ_E10value_typeET2_T3_PNS10_IS15_E10value_typeET4_jRbjT5_S1B_jjP12ihipStream_tbEUljE_EEESW_SX_SY_S15_S19_S1B_T6_T7_T9_mT8_S1D_bDpT10_ENKUlT_T0_E_clISt17integral_constantIbLb0EES1P_IbLb1EEEEDaS1L_S1M_EUlS1L_E_NS1_11comp_targetILNS1_3genE2ELNS1_11target_archE906ELNS1_3gpuE6ELNS1_3repE0EEENS1_30default_config_static_selectorELNS0_4arch9wavefront6targetE0EEEvSZ_.has_recursion, 0
	.set _ZN7rocprim17ROCPRIM_400000_NS6detail17trampoline_kernelINS0_13select_configILj256ELj13ELNS0_17block_load_methodE3ELS4_3ELS4_3ELNS0_20block_scan_algorithmE0ELj4294967295EEENS1_25partition_config_selectorILNS1_17partition_subalgoE3EjNS0_10empty_typeEbEEZZNS1_14partition_implILS8_3ELb0ES6_jNS0_17counting_iteratorIjlEEPS9_SE_NS0_5tupleIJPjSE_EEENSF_IJSE_SE_EEES9_SG_JZNS1_25segmented_radix_sort_implINS0_14default_configELb1EPK6__halfPSL_PKlPlN2at6native12_GLOBAL__N_18offset_tEEE10hipError_tPvRmT1_PNSt15iterator_traitsISZ_E10value_typeET2_T3_PNS10_IS15_E10value_typeET4_jRbjT5_S1B_jjP12ihipStream_tbEUljE_EEESW_SX_SY_S15_S19_S1B_T6_T7_T9_mT8_S1D_bDpT10_ENKUlT_T0_E_clISt17integral_constantIbLb0EES1P_IbLb1EEEEDaS1L_S1M_EUlS1L_E_NS1_11comp_targetILNS1_3genE2ELNS1_11target_archE906ELNS1_3gpuE6ELNS1_3repE0EEENS1_30default_config_static_selectorELNS0_4arch9wavefront6targetE0EEEvSZ_.has_indirect_call, 0
	.section	.AMDGPU.csdata,"",@progbits
; Kernel info:
; codeLenInByte = 0
; TotalNumSgprs: 0
; NumVgprs: 0
; ScratchSize: 0
; MemoryBound: 0
; FloatMode: 240
; IeeeMode: 1
; LDSByteSize: 0 bytes/workgroup (compile time only)
; SGPRBlocks: 0
; VGPRBlocks: 0
; NumSGPRsForWavesPerEU: 1
; NumVGPRsForWavesPerEU: 1
; Occupancy: 16
; WaveLimiterHint : 0
; COMPUTE_PGM_RSRC2:SCRATCH_EN: 0
; COMPUTE_PGM_RSRC2:USER_SGPR: 2
; COMPUTE_PGM_RSRC2:TRAP_HANDLER: 0
; COMPUTE_PGM_RSRC2:TGID_X_EN: 1
; COMPUTE_PGM_RSRC2:TGID_Y_EN: 0
; COMPUTE_PGM_RSRC2:TGID_Z_EN: 0
; COMPUTE_PGM_RSRC2:TIDIG_COMP_CNT: 0
	.section	.text._ZN7rocprim17ROCPRIM_400000_NS6detail17trampoline_kernelINS0_13select_configILj256ELj13ELNS0_17block_load_methodE3ELS4_3ELS4_3ELNS0_20block_scan_algorithmE0ELj4294967295EEENS1_25partition_config_selectorILNS1_17partition_subalgoE3EjNS0_10empty_typeEbEEZZNS1_14partition_implILS8_3ELb0ES6_jNS0_17counting_iteratorIjlEEPS9_SE_NS0_5tupleIJPjSE_EEENSF_IJSE_SE_EEES9_SG_JZNS1_25segmented_radix_sort_implINS0_14default_configELb1EPK6__halfPSL_PKlPlN2at6native12_GLOBAL__N_18offset_tEEE10hipError_tPvRmT1_PNSt15iterator_traitsISZ_E10value_typeET2_T3_PNS10_IS15_E10value_typeET4_jRbjT5_S1B_jjP12ihipStream_tbEUljE_EEESW_SX_SY_S15_S19_S1B_T6_T7_T9_mT8_S1D_bDpT10_ENKUlT_T0_E_clISt17integral_constantIbLb0EES1P_IbLb1EEEEDaS1L_S1M_EUlS1L_E_NS1_11comp_targetILNS1_3genE10ELNS1_11target_archE1200ELNS1_3gpuE4ELNS1_3repE0EEENS1_30default_config_static_selectorELNS0_4arch9wavefront6targetE0EEEvSZ_,"axG",@progbits,_ZN7rocprim17ROCPRIM_400000_NS6detail17trampoline_kernelINS0_13select_configILj256ELj13ELNS0_17block_load_methodE3ELS4_3ELS4_3ELNS0_20block_scan_algorithmE0ELj4294967295EEENS1_25partition_config_selectorILNS1_17partition_subalgoE3EjNS0_10empty_typeEbEEZZNS1_14partition_implILS8_3ELb0ES6_jNS0_17counting_iteratorIjlEEPS9_SE_NS0_5tupleIJPjSE_EEENSF_IJSE_SE_EEES9_SG_JZNS1_25segmented_radix_sort_implINS0_14default_configELb1EPK6__halfPSL_PKlPlN2at6native12_GLOBAL__N_18offset_tEEE10hipError_tPvRmT1_PNSt15iterator_traitsISZ_E10value_typeET2_T3_PNS10_IS15_E10value_typeET4_jRbjT5_S1B_jjP12ihipStream_tbEUljE_EEESW_SX_SY_S15_S19_S1B_T6_T7_T9_mT8_S1D_bDpT10_ENKUlT_T0_E_clISt17integral_constantIbLb0EES1P_IbLb1EEEEDaS1L_S1M_EUlS1L_E_NS1_11comp_targetILNS1_3genE10ELNS1_11target_archE1200ELNS1_3gpuE4ELNS1_3repE0EEENS1_30default_config_static_selectorELNS0_4arch9wavefront6targetE0EEEvSZ_,comdat
	.globl	_ZN7rocprim17ROCPRIM_400000_NS6detail17trampoline_kernelINS0_13select_configILj256ELj13ELNS0_17block_load_methodE3ELS4_3ELS4_3ELNS0_20block_scan_algorithmE0ELj4294967295EEENS1_25partition_config_selectorILNS1_17partition_subalgoE3EjNS0_10empty_typeEbEEZZNS1_14partition_implILS8_3ELb0ES6_jNS0_17counting_iteratorIjlEEPS9_SE_NS0_5tupleIJPjSE_EEENSF_IJSE_SE_EEES9_SG_JZNS1_25segmented_radix_sort_implINS0_14default_configELb1EPK6__halfPSL_PKlPlN2at6native12_GLOBAL__N_18offset_tEEE10hipError_tPvRmT1_PNSt15iterator_traitsISZ_E10value_typeET2_T3_PNS10_IS15_E10value_typeET4_jRbjT5_S1B_jjP12ihipStream_tbEUljE_EEESW_SX_SY_S15_S19_S1B_T6_T7_T9_mT8_S1D_bDpT10_ENKUlT_T0_E_clISt17integral_constantIbLb0EES1P_IbLb1EEEEDaS1L_S1M_EUlS1L_E_NS1_11comp_targetILNS1_3genE10ELNS1_11target_archE1200ELNS1_3gpuE4ELNS1_3repE0EEENS1_30default_config_static_selectorELNS0_4arch9wavefront6targetE0EEEvSZ_ ; -- Begin function _ZN7rocprim17ROCPRIM_400000_NS6detail17trampoline_kernelINS0_13select_configILj256ELj13ELNS0_17block_load_methodE3ELS4_3ELS4_3ELNS0_20block_scan_algorithmE0ELj4294967295EEENS1_25partition_config_selectorILNS1_17partition_subalgoE3EjNS0_10empty_typeEbEEZZNS1_14partition_implILS8_3ELb0ES6_jNS0_17counting_iteratorIjlEEPS9_SE_NS0_5tupleIJPjSE_EEENSF_IJSE_SE_EEES9_SG_JZNS1_25segmented_radix_sort_implINS0_14default_configELb1EPK6__halfPSL_PKlPlN2at6native12_GLOBAL__N_18offset_tEEE10hipError_tPvRmT1_PNSt15iterator_traitsISZ_E10value_typeET2_T3_PNS10_IS15_E10value_typeET4_jRbjT5_S1B_jjP12ihipStream_tbEUljE_EEESW_SX_SY_S15_S19_S1B_T6_T7_T9_mT8_S1D_bDpT10_ENKUlT_T0_E_clISt17integral_constantIbLb0EES1P_IbLb1EEEEDaS1L_S1M_EUlS1L_E_NS1_11comp_targetILNS1_3genE10ELNS1_11target_archE1200ELNS1_3gpuE4ELNS1_3repE0EEENS1_30default_config_static_selectorELNS0_4arch9wavefront6targetE0EEEvSZ_
	.p2align	8
	.type	_ZN7rocprim17ROCPRIM_400000_NS6detail17trampoline_kernelINS0_13select_configILj256ELj13ELNS0_17block_load_methodE3ELS4_3ELS4_3ELNS0_20block_scan_algorithmE0ELj4294967295EEENS1_25partition_config_selectorILNS1_17partition_subalgoE3EjNS0_10empty_typeEbEEZZNS1_14partition_implILS8_3ELb0ES6_jNS0_17counting_iteratorIjlEEPS9_SE_NS0_5tupleIJPjSE_EEENSF_IJSE_SE_EEES9_SG_JZNS1_25segmented_radix_sort_implINS0_14default_configELb1EPK6__halfPSL_PKlPlN2at6native12_GLOBAL__N_18offset_tEEE10hipError_tPvRmT1_PNSt15iterator_traitsISZ_E10value_typeET2_T3_PNS10_IS15_E10value_typeET4_jRbjT5_S1B_jjP12ihipStream_tbEUljE_EEESW_SX_SY_S15_S19_S1B_T6_T7_T9_mT8_S1D_bDpT10_ENKUlT_T0_E_clISt17integral_constantIbLb0EES1P_IbLb1EEEEDaS1L_S1M_EUlS1L_E_NS1_11comp_targetILNS1_3genE10ELNS1_11target_archE1200ELNS1_3gpuE4ELNS1_3repE0EEENS1_30default_config_static_selectorELNS0_4arch9wavefront6targetE0EEEvSZ_,@function
_ZN7rocprim17ROCPRIM_400000_NS6detail17trampoline_kernelINS0_13select_configILj256ELj13ELNS0_17block_load_methodE3ELS4_3ELS4_3ELNS0_20block_scan_algorithmE0ELj4294967295EEENS1_25partition_config_selectorILNS1_17partition_subalgoE3EjNS0_10empty_typeEbEEZZNS1_14partition_implILS8_3ELb0ES6_jNS0_17counting_iteratorIjlEEPS9_SE_NS0_5tupleIJPjSE_EEENSF_IJSE_SE_EEES9_SG_JZNS1_25segmented_radix_sort_implINS0_14default_configELb1EPK6__halfPSL_PKlPlN2at6native12_GLOBAL__N_18offset_tEEE10hipError_tPvRmT1_PNSt15iterator_traitsISZ_E10value_typeET2_T3_PNS10_IS15_E10value_typeET4_jRbjT5_S1B_jjP12ihipStream_tbEUljE_EEESW_SX_SY_S15_S19_S1B_T6_T7_T9_mT8_S1D_bDpT10_ENKUlT_T0_E_clISt17integral_constantIbLb0EES1P_IbLb1EEEEDaS1L_S1M_EUlS1L_E_NS1_11comp_targetILNS1_3genE10ELNS1_11target_archE1200ELNS1_3gpuE4ELNS1_3repE0EEENS1_30default_config_static_selectorELNS0_4arch9wavefront6targetE0EEEvSZ_: ; @_ZN7rocprim17ROCPRIM_400000_NS6detail17trampoline_kernelINS0_13select_configILj256ELj13ELNS0_17block_load_methodE3ELS4_3ELS4_3ELNS0_20block_scan_algorithmE0ELj4294967295EEENS1_25partition_config_selectorILNS1_17partition_subalgoE3EjNS0_10empty_typeEbEEZZNS1_14partition_implILS8_3ELb0ES6_jNS0_17counting_iteratorIjlEEPS9_SE_NS0_5tupleIJPjSE_EEENSF_IJSE_SE_EEES9_SG_JZNS1_25segmented_radix_sort_implINS0_14default_configELb1EPK6__halfPSL_PKlPlN2at6native12_GLOBAL__N_18offset_tEEE10hipError_tPvRmT1_PNSt15iterator_traitsISZ_E10value_typeET2_T3_PNS10_IS15_E10value_typeET4_jRbjT5_S1B_jjP12ihipStream_tbEUljE_EEESW_SX_SY_S15_S19_S1B_T6_T7_T9_mT8_S1D_bDpT10_ENKUlT_T0_E_clISt17integral_constantIbLb0EES1P_IbLb1EEEEDaS1L_S1M_EUlS1L_E_NS1_11comp_targetILNS1_3genE10ELNS1_11target_archE1200ELNS1_3gpuE4ELNS1_3repE0EEENS1_30default_config_static_selectorELNS0_4arch9wavefront6targetE0EEEvSZ_
; %bb.0:
	s_clause 0x6
	s_load_b64 s[16:17], s[0:1], 0x10
	s_load_b64 s[10:11], s[0:1], 0x28
	;; [unrolled: 1-line block ×3, first 2 shown]
	s_load_b128 s[12:15], s[0:1], 0x48
	s_load_b32 s3, s[0:1], 0x90
	s_load_b64 s[20:21], s[0:1], 0x68
	s_load_b128 s[4:7], s[0:1], 0x80
	v_cmp_eq_u32_e64 s2, 0, v0
	s_and_saveexec_b32 s8, s2
	s_cbranch_execz .LBB1736_4
; %bb.1:
	s_mov_b32 s22, exec_lo
	s_mov_b32 s9, exec_lo
	v_mbcnt_lo_u32_b32 v1, s22, 0
                                        ; implicit-def: $vgpr2
	s_delay_alu instid0(VALU_DEP_1)
	v_cmpx_eq_u32_e32 0, v1
	s_cbranch_execz .LBB1736_3
; %bb.2:
	s_load_b64 s[24:25], s[0:1], 0x78
	s_bcnt1_i32_b32 s22, s22
	s_wait_alu 0xfffe
	v_dual_mov_b32 v2, 0 :: v_dual_mov_b32 v3, s22
	s_wait_kmcnt 0x0
	global_atomic_add_u32 v2, v2, v3, s[24:25] th:TH_ATOMIC_RETURN scope:SCOPE_DEV
.LBB1736_3:
	s_or_b32 exec_lo, exec_lo, s9
	s_wait_loadcnt 0x0
	v_readfirstlane_b32 s9, v2
	s_delay_alu instid0(VALU_DEP_1)
	v_dual_mov_b32 v2, 0 :: v_dual_add_nc_u32 v1, s9, v1
	ds_store_b32 v2, v1
.LBB1736_4:
	s_or_b32 exec_lo, exec_lo, s8
	v_mov_b32_e32 v1, 0
	s_clause 0x1
	s_load_b32 s8, s[0:1], 0x8
	s_load_b32 s0, s[0:1], 0x70
	s_wait_dscnt 0x0
	s_barrier_signal -1
	s_barrier_wait -1
	global_inv scope:SCOPE_SE
	ds_load_b32 v2, v1
	s_wait_loadcnt_dscnt 0x0
	s_barrier_signal -1
	s_barrier_wait -1
	global_inv scope:SCOPE_SE
	s_wait_kmcnt 0x0
	global_load_b64 v[17:18], v1, s[14:15]
	s_mov_b32 s1, 0
	v_lshlrev_b32_e32 v45, 2, v0
	s_mov_b32 s23, -1
	s_add_co_i32 s8, s8, s16
	s_add_co_i32 s9, s0, -1
	s_mulk_i32 s0, 0xd00
	s_delay_alu instid0(SALU_CYCLE_1)
	s_add_co_i32 s14, s0, s16
	s_add_nc_u64 s[0:1], s[16:17], s[0:1]
	v_readfirstlane_b32 s15, v2
	v_cmp_gt_u64_e64 s0, s[18:19], s[0:1]
	s_sub_co_i32 s22, s18, s14
	s_wait_alu 0xfffe
	v_cmp_ne_u32_e32 vcc_lo, s9, v2
	s_addk_co_i32 s22, 0xd00
	s_cmp_eq_u32 s15, s9
	s_mul_i32 s14, s15, 0xd00
	s_cselect_b32 s9, -1, 0
	s_or_b32 s1, s0, vcc_lo
	s_wait_alu 0xfffe
	s_and_b32 vcc_lo, exec_lo, s1
	s_cbranch_vccz .LBB1736_6
; %bb.5:
	v_add3_u32 v1, s14, s8, v0
	s_mov_b32 s23, 0
	s_delay_alu instid0(VALU_DEP_1)
	v_add_nc_u32_e32 v2, 0x100, v1
	v_add_nc_u32_e32 v3, 0x200, v1
	;; [unrolled: 1-line block ×12, first 2 shown]
	ds_store_2addr_stride64_b32 v45, v1, v2 offset1:4
	ds_store_2addr_stride64_b32 v45, v3, v4 offset0:8 offset1:12
	ds_store_2addr_stride64_b32 v45, v5, v6 offset0:16 offset1:20
	;; [unrolled: 1-line block ×5, first 2 shown]
	ds_store_b32 v45, v13 offset:12288
	s_wait_loadcnt_dscnt 0x0
	s_barrier_signal -1
	s_barrier_wait -1
.LBB1736_6:
	v_cmp_gt_u32_e64 s0, s22, v0
	v_or_b32_e32 v44, 0x100, v0
	v_or_b32_e32 v43, 0x200, v0
	;; [unrolled: 1-line block ×12, first 2 shown]
	s_wait_alu 0xfffe
	s_and_not1_b32 vcc_lo, exec_lo, s23
	s_cbranch_vccnz .LBB1736_8
; %bb.7:
	s_add_co_i32 s8, s14, s8
	v_cmp_gt_u32_e32 vcc_lo, s22, v44
	s_wait_alu 0xfffe
	v_add_nc_u32_e32 v13, s8, v33
	v_add_nc_u32_e32 v12, s8, v34
	;; [unrolled: 1-line block ×12, first 2 shown]
	s_delay_alu instid0(VALU_DEP_1) | instskip(SKIP_1) | instid1(VALU_DEP_2)
	v_dual_cndmask_b32 v2, 0, v2 :: v_dual_add_nc_u32 v1, s8, v0
	v_cmp_gt_u32_e32 vcc_lo, s22, v43
	v_cndmask_b32_e64 v1, 0, v1, s0
	s_wait_alu 0xfffd
	v_cndmask_b32_e32 v3, 0, v3, vcc_lo
	v_cmp_gt_u32_e32 vcc_lo, s22, v42
	s_wait_alu 0xfffd
	v_cndmask_b32_e32 v4, 0, v4, vcc_lo
	v_cmp_gt_u32_e32 vcc_lo, s22, v41
	;; [unrolled: 3-line block ×10, first 2 shown]
	s_wait_alu 0xfffd
	v_cndmask_b32_e32 v13, 0, v13, vcc_lo
	ds_store_2addr_stride64_b32 v45, v1, v2 offset1:4
	ds_store_2addr_stride64_b32 v45, v3, v4 offset0:8 offset1:12
	ds_store_2addr_stride64_b32 v45, v5, v6 offset0:16 offset1:20
	;; [unrolled: 1-line block ×5, first 2 shown]
	ds_store_b32 v45, v13 offset:12288
	s_wait_loadcnt_dscnt 0x0
	s_barrier_signal -1
	s_barrier_wait -1
.LBB1736_8:
	v_mul_u32_u24_e32 v48, 13, v0
	s_wait_loadcnt 0x0
	global_inv scope:SCOPE_SE
	v_cndmask_b32_e64 v46, 0, 1, s1
	s_and_not1_b32 vcc_lo, exec_lo, s1
	v_lshlrev_b32_e32 v1, 2, v48
	ds_load_2addr_b32 v[29:30], v1 offset0:2 offset1:3
	ds_load_2addr_b32 v[25:26], v1 offset0:6 offset1:7
	;; [unrolled: 1-line block ×3, first 2 shown]
	ds_load_2addr_b32 v[31:32], v1 offset1:1
	ds_load_2addr_b32 v[21:22], v1 offset0:10 offset1:11
	ds_load_b32 v47, v1 offset:48
	ds_load_2addr_b32 v[23:24], v1 offset0:8 offset1:9
	s_wait_loadcnt_dscnt 0x0
	s_barrier_signal -1
	s_barrier_wait -1
	global_inv scope:SCOPE_SE
	s_wait_alu 0xfffe
	s_cbranch_vccnz .LBB1736_10
; %bb.9:
	v_add_nc_u32_e32 v1, s5, v30
	v_add_nc_u32_e32 v2, s7, v30
	;; [unrolled: 1-line block ×5, first 2 shown]
	v_mul_lo_u32 v1, v1, s4
	v_mul_lo_u32 v2, v2, s6
	v_add_nc_u32_e32 v8, s7, v29
	v_add_nc_u32_e32 v3, s5, v32
	;; [unrolled: 1-line block ×3, first 2 shown]
	v_mul_lo_u32 v5, v5, s4
	v_mul_lo_u32 v4, v4, s4
	v_add_nc_u32_e32 v9, s5, v27
	v_mul_lo_u32 v3, v3, s4
	v_sub_nc_u32_e32 v1, v1, v2
	v_mul_lo_u32 v2, v7, s6
	v_mul_lo_u32 v7, v8, s6
	;; [unrolled: 1-line block ×3, first 2 shown]
	v_add_nc_u32_e32 v8, s5, v28
	v_add_nc_u32_e32 v10, s7, v27
	v_mul_lo_u32 v9, v9, s4
	v_cmp_lt_u32_e32 vcc_lo, s3, v1
	v_add_nc_u32_e32 v14, s7, v22
	v_sub_nc_u32_e32 v2, v4, v2
	v_sub_nc_u32_e32 v4, v5, v7
	v_add_nc_u32_e32 v5, s7, v28
	v_sub_nc_u32_e32 v3, v3, v6
	v_add_nc_u32_e32 v6, s5, v26
	v_add_nc_u32_e32 v7, s7, v26
	v_mul_lo_u32 v8, v8, s4
	v_mul_lo_u32 v5, v5, s6
	;; [unrolled: 1-line block ×5, first 2 shown]
	s_wait_alu 0xfffd
	v_cndmask_b32_e64 v1, 0, 1, vcc_lo
	v_cmp_lt_u32_e32 vcc_lo, s3, v3
	v_mul_lo_u32 v14, v14, s6
	v_add_nc_u32_e32 v15, s7, v24
	v_sub_nc_u32_e32 v5, v8, v5
	v_add_nc_u32_e32 v8, s7, v25
	s_wait_alu 0xfffd
	v_cndmask_b32_e64 v3, 0, 1, vcc_lo
	v_sub_nc_u32_e32 v6, v6, v7
	v_mul_lo_u32 v15, v15, s6
	v_cmp_lt_u32_e32 vcc_lo, s3, v5
	v_mul_lo_u32 v7, v8, s6
	v_sub_nc_u32_e32 v8, v9, v10
	v_add_nc_u32_e32 v9, s5, v22
	v_add_nc_u32_e32 v10, s5, v24
	s_wait_alu 0xfffd
	v_cndmask_b32_e64 v5, 0, 1, vcc_lo
	v_cmp_lt_u32_e32 vcc_lo, s3, v6
	v_add_nc_u32_e32 v11, s5, v25
	v_mul_lo_u32 v9, v9, s4
	v_mul_lo_u32 v10, v10, s4
	v_add_nc_u32_e32 v12, s5, v23
	s_wait_alu 0xfffd
	v_cndmask_b32_e64 v6, 0, 1, vcc_lo
	v_mul_lo_u32 v11, v11, s4
	v_add_nc_u32_e32 v16, s7, v23
	v_lshlrev_b16 v3, 8, v3
	v_add_nc_u32_e32 v13, s5, v21
	v_sub_nc_u32_e32 v9, v9, v14
	v_sub_nc_u32_e32 v10, v10, v15
	v_add_nc_u32_e32 v19, s7, v21
	v_mul_lo_u32 v12, v12, s4
	v_mul_lo_u32 v16, v16, s6
	v_cmp_lt_u32_e32 vcc_lo, s3, v9
	v_sub_nc_u32_e32 v7, v11, v7
	v_lshrrev_b32_e32 v3, 8, v3
	v_mul_lo_u32 v11, v13, s4
	v_mul_lo_u32 v13, v19, s6
	s_wait_alu 0xfffd
	v_cndmask_b32_e64 v9, 0, 1, vcc_lo
	v_cmp_lt_u32_e32 vcc_lo, s3, v2
	v_sub_nc_u32_e32 v12, v12, v16
	v_lshlrev_b16 v3, 8, v3
	v_lshlrev_b16 v1, 8, v1
	;; [unrolled: 1-line block ×3, first 2 shown]
	s_wait_alu 0xfffd
	v_cndmask_b32_e64 v2, 0, 1, vcc_lo
	v_cmp_lt_u32_e32 vcc_lo, s3, v10
	v_sub_nc_u32_e32 v11, v11, v13
	v_add_nc_u32_e32 v14, s5, v47
	v_add_nc_u32_e32 v15, s7, v47
	v_or_b32_e32 v2, v2, v3
	s_wait_alu 0xfffd
	v_cndmask_b32_e64 v10, 0, 1, vcc_lo
	v_cmp_lt_u32_e32 vcc_lo, s3, v4
	v_lshlrev_b16 v3, 8, v9
	v_lshrrev_b32_e32 v5, 8, v5
	v_lshrrev_b32_e32 v1, 8, v1
	v_lshlrev_b16 v9, 8, v10
	s_wait_alu 0xfffd
	v_cndmask_b32_e64 v4, 0, 1, vcc_lo
	v_cmp_lt_u32_e32 vcc_lo, s3, v8
	v_lshrrev_b32_e32 v3, 8, v3
	v_mul_lo_u32 v14, v14, s4
	v_lshrrev_b32_e32 v9, 8, v9
	v_mul_lo_u32 v15, v15, s6
	s_wait_alu 0xfffd
	v_cndmask_b32_e64 v8, 0, 1, vcc_lo
	v_cmp_lt_u32_e32 vcc_lo, s3, v7
	v_lshlrev_b16 v6, 8, v6
	v_lshlrev_b16 v1, 8, v1
	;; [unrolled: 1-line block ×4, first 2 shown]
	s_wait_alu 0xfffd
	v_cndmask_b32_e64 v7, 0, 1, vcc_lo
	v_cmp_lt_u32_e32 vcc_lo, s3, v12
	v_lshlrev_b16 v3, 8, v3
	v_sub_nc_u32_e32 v10, v14, v15
	v_or_b32_e32 v1, v4, v1
	v_or_b32_e32 v4, v8, v5
	s_wait_alu 0xfffd
	v_cndmask_b32_e64 v12, 0, 1, vcc_lo
	v_cmp_lt_u32_e32 vcc_lo, s3, v11
	v_or_b32_e32 v5, v7, v6
	v_and_b32_e32 v2, 0xffff, v2
	v_lshlrev_b32_e32 v1, 16, v1
	v_or_b32_e32 v6, v12, v9
	s_wait_alu 0xfffd
	v_cndmask_b32_e64 v11, 0, 1, vcc_lo
	v_and_b32_e32 v4, 0xffff, v4
	v_lshlrev_b32_e32 v5, 16, v5
	v_cmp_lt_u32_e32 vcc_lo, s3, v10
	v_and_b32_e32 v6, 0xffff, v6
	v_or_b32_e32 v3, v11, v3
	v_or_b32_e32 v54, v2, v1
	;; [unrolled: 1-line block ×3, first 2 shown]
	s_wait_alu 0xfffd
	v_cndmask_b32_e64 v49, 0, 1, vcc_lo
	v_lshlrev_b32_e32 v3, 16, v3
	s_delay_alu instid0(VALU_DEP_1)
	v_or_b32_e32 v50, v6, v3
	s_cbranch_execz .LBB1736_11
	s_branch .LBB1736_38
.LBB1736_10:
                                        ; implicit-def: $vgpr49
                                        ; implicit-def: $vgpr50
                                        ; implicit-def: $vgpr52
                                        ; implicit-def: $vgpr54
.LBB1736_11:
	v_dual_mov_b32 v2, 0 :: v_dual_mov_b32 v1, 0
	s_mov_b32 s0, exec_lo
	v_cmpx_gt_u32_e64 s22, v48
	s_cbranch_execz .LBB1736_13
; %bb.12:
	v_add_nc_u32_e32 v1, s5, v31
	v_add_nc_u32_e32 v3, s7, v31
	s_delay_alu instid0(VALU_DEP_2) | instskip(NEXT) | instid1(VALU_DEP_2)
	v_mul_lo_u32 v1, v1, s4
	v_mul_lo_u32 v3, v3, s6
	s_delay_alu instid0(VALU_DEP_1) | instskip(NEXT) | instid1(VALU_DEP_1)
	v_sub_nc_u32_e32 v1, v1, v3
	v_cmp_lt_u32_e32 vcc_lo, s3, v1
	s_wait_alu 0xfffd
	v_cndmask_b32_e64 v1, 0, 1, vcc_lo
.LBB1736_13:
	s_wait_alu 0xfffe
	s_or_b32 exec_lo, exec_lo, s0
	v_add_nc_u32_e32 v3, 1, v48
	s_mov_b32 s0, exec_lo
	s_delay_alu instid0(VALU_DEP_1)
	v_cmpx_gt_u32_e64 s22, v3
	s_cbranch_execz .LBB1736_15
; %bb.14:
	v_add_nc_u32_e32 v2, s5, v32
	v_add_nc_u32_e32 v3, s7, v32
	s_delay_alu instid0(VALU_DEP_2) | instskip(NEXT) | instid1(VALU_DEP_2)
	v_mul_lo_u32 v2, v2, s4
	v_mul_lo_u32 v3, v3, s6
	s_delay_alu instid0(VALU_DEP_1) | instskip(NEXT) | instid1(VALU_DEP_1)
	v_sub_nc_u32_e32 v2, v2, v3
	v_cmp_lt_u32_e32 vcc_lo, s3, v2
	s_wait_alu 0xfffd
	v_cndmask_b32_e64 v2, 0, 1, vcc_lo
.LBB1736_15:
	s_wait_alu 0xfffe
	s_or_b32 exec_lo, exec_lo, s0
	v_dual_mov_b32 v4, 0 :: v_dual_add_nc_u32 v3, 2, v48
	s_delay_alu instid0(VALU_DEP_1)
	v_cmp_gt_u32_e32 vcc_lo, s22, v3
	v_mov_b32_e32 v3, 0
	s_and_saveexec_b32 s0, vcc_lo
	s_cbranch_execz .LBB1736_17
; %bb.16:
	v_add_nc_u32_e32 v3, s5, v29
	v_add_nc_u32_e32 v5, s7, v29
	s_delay_alu instid0(VALU_DEP_2) | instskip(NEXT) | instid1(VALU_DEP_2)
	v_mul_lo_u32 v3, v3, s4
	v_mul_lo_u32 v5, v5, s6
	s_delay_alu instid0(VALU_DEP_1) | instskip(NEXT) | instid1(VALU_DEP_1)
	v_sub_nc_u32_e32 v3, v3, v5
	v_cmp_lt_u32_e32 vcc_lo, s3, v3
	s_wait_alu 0xfffd
	v_cndmask_b32_e64 v3, 0, 1, vcc_lo
.LBB1736_17:
	s_wait_alu 0xfffe
	s_or_b32 exec_lo, exec_lo, s0
	v_add_nc_u32_e32 v5, 3, v48
	s_mov_b32 s0, exec_lo
	s_delay_alu instid0(VALU_DEP_1)
	v_cmpx_gt_u32_e64 s22, v5
	s_cbranch_execz .LBB1736_19
; %bb.18:
	v_add_nc_u32_e32 v4, s5, v30
	v_add_nc_u32_e32 v5, s7, v30
	s_delay_alu instid0(VALU_DEP_2) | instskip(NEXT) | instid1(VALU_DEP_2)
	v_mul_lo_u32 v4, v4, s4
	v_mul_lo_u32 v5, v5, s6
	s_delay_alu instid0(VALU_DEP_1) | instskip(NEXT) | instid1(VALU_DEP_1)
	v_sub_nc_u32_e32 v4, v4, v5
	v_cmp_lt_u32_e32 vcc_lo, s3, v4
	s_wait_alu 0xfffd
	v_cndmask_b32_e64 v4, 0, 1, vcc_lo
.LBB1736_19:
	s_wait_alu 0xfffe
	s_or_b32 exec_lo, exec_lo, s0
	v_dual_mov_b32 v6, 0 :: v_dual_add_nc_u32 v5, 4, v48
	s_delay_alu instid0(VALU_DEP_1)
	v_cmp_gt_u32_e32 vcc_lo, s22, v5
	v_mov_b32_e32 v5, 0
	s_and_saveexec_b32 s0, vcc_lo
	;; [unrolled: 39-line block ×5, first 2 shown]
	s_cbranch_execz .LBB1736_33
; %bb.32:
	v_add_nc_u32_e32 v11, s5, v21
	v_add_nc_u32_e32 v13, s7, v21
	s_delay_alu instid0(VALU_DEP_2) | instskip(NEXT) | instid1(VALU_DEP_2)
	v_mul_lo_u32 v11, v11, s4
	v_mul_lo_u32 v13, v13, s6
	s_delay_alu instid0(VALU_DEP_1) | instskip(NEXT) | instid1(VALU_DEP_1)
	v_sub_nc_u32_e32 v11, v11, v13
	v_cmp_lt_u32_e32 vcc_lo, s3, v11
	s_wait_alu 0xfffd
	v_cndmask_b32_e64 v11, 0, 1, vcc_lo
.LBB1736_33:
	s_wait_alu 0xfffe
	s_or_b32 exec_lo, exec_lo, s0
	v_add_nc_u32_e32 v13, 11, v48
	s_mov_b32 s0, exec_lo
	s_delay_alu instid0(VALU_DEP_1)
	v_cmpx_gt_u32_e64 s22, v13
	s_cbranch_execz .LBB1736_35
; %bb.34:
	v_add_nc_u32_e32 v12, s5, v22
	v_add_nc_u32_e32 v13, s7, v22
	s_delay_alu instid0(VALU_DEP_2) | instskip(NEXT) | instid1(VALU_DEP_2)
	v_mul_lo_u32 v12, v12, s4
	v_mul_lo_u32 v13, v13, s6
	s_delay_alu instid0(VALU_DEP_1) | instskip(NEXT) | instid1(VALU_DEP_1)
	v_sub_nc_u32_e32 v12, v12, v13
	v_cmp_lt_u32_e32 vcc_lo, s3, v12
	s_wait_alu 0xfffd
	v_cndmask_b32_e64 v12, 0, 1, vcc_lo
.LBB1736_35:
	s_wait_alu 0xfffe
	s_or_b32 exec_lo, exec_lo, s0
	v_add_nc_u32_e32 v13, 12, v48
	v_mov_b32_e32 v49, 0
	s_mov_b32 s0, exec_lo
	s_delay_alu instid0(VALU_DEP_2)
	v_cmpx_gt_u32_e64 s22, v13
	s_cbranch_execz .LBB1736_37
; %bb.36:
	v_add_nc_u32_e32 v13, s5, v47
	v_add_nc_u32_e32 v14, s7, v47
	s_delay_alu instid0(VALU_DEP_2) | instskip(NEXT) | instid1(VALU_DEP_2)
	v_mul_lo_u32 v13, v13, s4
	v_mul_lo_u32 v14, v14, s6
	s_delay_alu instid0(VALU_DEP_1) | instskip(NEXT) | instid1(VALU_DEP_1)
	v_sub_nc_u32_e32 v13, v13, v14
	v_cmp_lt_u32_e32 vcc_lo, s3, v13
	s_wait_alu 0xfffd
	v_cndmask_b32_e64 v49, 0, 1, vcc_lo
.LBB1736_37:
	s_wait_alu 0xfffe
	s_or_b32 exec_lo, exec_lo, s0
	v_lshlrev_b16 v2, 8, v2
	v_lshlrev_b16 v4, 8, v4
	;; [unrolled: 1-line block ×5, first 2 shown]
	v_or_b32_e32 v1, v1, v2
	v_lshlrev_b16 v2, 8, v12
	v_or_b32_e32 v3, v3, v4
	v_or_b32_e32 v4, v5, v6
	;; [unrolled: 1-line block ×5, first 2 shown]
	v_and_b32_e32 v1, 0xffff, v1
	v_lshlrev_b32_e32 v3, 16, v3
	v_and_b32_e32 v4, 0xffff, v4
	v_lshlrev_b32_e32 v5, 16, v5
	;; [unrolled: 2-line block ×3, first 2 shown]
	v_or_b32_e32 v54, v1, v3
	s_delay_alu instid0(VALU_DEP_4) | instskip(NEXT) | instid1(VALU_DEP_3)
	v_or_b32_e32 v52, v4, v5
	v_or_b32_e32 v50, v6, v2
.LBB1736_38:
	s_delay_alu instid0(VALU_DEP_3)
	v_and_b32_e32 v56, 0xff, v54
	v_bfe_u32 v57, v54, 8, 8
	v_bfe_u32 v58, v54, 16, 8
	v_lshrrev_b32_e32 v55, 24, v54
	v_and_b32_e32 v59, 0xff, v52
	v_bfe_u32 v60, v52, 8, 8
	v_bfe_u32 v61, v52, 16, 8
	v_add3_u32 v1, v57, v56, v58
	v_lshrrev_b32_e32 v53, 24, v52
	v_and_b32_e32 v62, 0xff, v50
	v_bfe_u32 v63, v50, 8, 8
	v_mbcnt_lo_u32_b32 v65, -1, 0
	v_add3_u32 v1, v1, v55, v59
	v_bfe_u32 v64, v50, 16, 8
	v_lshrrev_b32_e32 v51, 24, v50
	v_and_b32_e32 v2, 0xff, v49
	v_and_b32_e32 v3, 15, v65
	v_add3_u32 v1, v1, v60, v61
	v_or_b32_e32 v4, 31, v0
	v_and_b32_e32 v5, 16, v65
	v_lshrrev_b32_e32 v66, 5, v0
	v_cmp_eq_u32_e64 s6, 0, v3
	v_add3_u32 v1, v1, v53, v62
	v_cmp_lt_u32_e64 s5, 1, v3
	v_cmp_lt_u32_e64 s4, 3, v3
	;; [unrolled: 1-line block ×3, first 2 shown]
	v_cmp_eq_u32_e64 s1, 0, v5
	v_add3_u32 v1, v1, v63, v64
	v_cmp_eq_u32_e64 s0, v0, v4
	s_cmp_lg_u32 s15, 0
	s_mov_b32 s7, -1
	v_add3_u32 v67, v1, v51, v2
	s_cbranch_scc0 .LBB1736_59
; %bb.39:
	s_delay_alu instid0(VALU_DEP_1) | instskip(NEXT) | instid1(VALU_DEP_1)
	v_mov_b32_dpp v1, v67 row_shr:1 row_mask:0xf bank_mask:0xf
	v_cndmask_b32_e64 v1, v1, 0, s6
	s_delay_alu instid0(VALU_DEP_1) | instskip(NEXT) | instid1(VALU_DEP_1)
	v_add_nc_u32_e32 v1, v1, v67
	v_mov_b32_dpp v2, v1 row_shr:2 row_mask:0xf bank_mask:0xf
	s_delay_alu instid0(VALU_DEP_1) | instskip(NEXT) | instid1(VALU_DEP_1)
	v_cndmask_b32_e64 v2, 0, v2, s5
	v_add_nc_u32_e32 v1, v1, v2
	s_delay_alu instid0(VALU_DEP_1) | instskip(NEXT) | instid1(VALU_DEP_1)
	v_mov_b32_dpp v2, v1 row_shr:4 row_mask:0xf bank_mask:0xf
	v_cndmask_b32_e64 v2, 0, v2, s4
	s_delay_alu instid0(VALU_DEP_1) | instskip(NEXT) | instid1(VALU_DEP_1)
	v_add_nc_u32_e32 v1, v1, v2
	v_mov_b32_dpp v2, v1 row_shr:8 row_mask:0xf bank_mask:0xf
	s_delay_alu instid0(VALU_DEP_1) | instskip(NEXT) | instid1(VALU_DEP_1)
	v_cndmask_b32_e64 v2, 0, v2, s3
	v_add_nc_u32_e32 v1, v1, v2
	ds_swizzle_b32 v2, v1 offset:swizzle(BROADCAST,32,15)
	s_wait_dscnt 0x0
	v_cndmask_b32_e64 v2, v2, 0, s1
	s_delay_alu instid0(VALU_DEP_1)
	v_add_nc_u32_e32 v1, v1, v2
	s_and_saveexec_b32 s7, s0
; %bb.40:
	v_lshlrev_b32_e32 v2, 2, v66
	ds_store_b32 v2, v1
; %bb.41:
	s_wait_alu 0xfffe
	s_or_b32 exec_lo, exec_lo, s7
	s_delay_alu instid0(SALU_CYCLE_1)
	s_mov_b32 s7, exec_lo
	s_wait_loadcnt_dscnt 0x0
	s_barrier_signal -1
	s_barrier_wait -1
	global_inv scope:SCOPE_SE
	v_cmpx_gt_u32_e32 8, v0
	s_cbranch_execz .LBB1736_43
; %bb.42:
	ds_load_b32 v2, v45
	s_wait_dscnt 0x0
	v_mov_b32_dpp v4, v2 row_shr:1 row_mask:0xf bank_mask:0xf
	v_and_b32_e32 v3, 7, v65
	s_delay_alu instid0(VALU_DEP_1) | instskip(SKIP_1) | instid1(VALU_DEP_3)
	v_cmp_ne_u32_e32 vcc_lo, 0, v3
	s_wait_alu 0xfffd
	v_cndmask_b32_e32 v4, 0, v4, vcc_lo
	v_cmp_lt_u32_e32 vcc_lo, 1, v3
	s_delay_alu instid0(VALU_DEP_2) | instskip(NEXT) | instid1(VALU_DEP_1)
	v_add_nc_u32_e32 v2, v4, v2
	v_mov_b32_dpp v4, v2 row_shr:2 row_mask:0xf bank_mask:0xf
	s_wait_alu 0xfffd
	s_delay_alu instid0(VALU_DEP_1) | instskip(SKIP_1) | instid1(VALU_DEP_2)
	v_cndmask_b32_e32 v4, 0, v4, vcc_lo
	v_cmp_lt_u32_e32 vcc_lo, 3, v3
	v_add_nc_u32_e32 v2, v2, v4
	s_delay_alu instid0(VALU_DEP_1) | instskip(SKIP_1) | instid1(VALU_DEP_1)
	v_mov_b32_dpp v4, v2 row_shr:4 row_mask:0xf bank_mask:0xf
	s_wait_alu 0xfffd
	v_cndmask_b32_e32 v3, 0, v4, vcc_lo
	s_delay_alu instid0(VALU_DEP_1)
	v_add_nc_u32_e32 v2, v2, v3
	ds_store_b32 v45, v2
.LBB1736_43:
	s_wait_alu 0xfffe
	s_or_b32 exec_lo, exec_lo, s7
	s_delay_alu instid0(SALU_CYCLE_1)
	s_mov_b32 s8, exec_lo
	v_cmp_gt_u32_e32 vcc_lo, 32, v0
	s_wait_loadcnt_dscnt 0x0
	s_barrier_signal -1
	s_barrier_wait -1
	global_inv scope:SCOPE_SE
                                        ; implicit-def: $vgpr9
	v_cmpx_lt_u32_e32 31, v0
	s_cbranch_execz .LBB1736_45
; %bb.44:
	v_lshl_add_u32 v2, v66, 2, -4
	ds_load_b32 v9, v2
	s_wait_dscnt 0x0
	v_add_nc_u32_e32 v1, v9, v1
.LBB1736_45:
	s_wait_alu 0xfffe
	s_or_b32 exec_lo, exec_lo, s8
	v_sub_co_u32 v2, s7, v65, 1
	s_delay_alu instid0(VALU_DEP_1) | instskip(SKIP_1) | instid1(VALU_DEP_1)
	v_cmp_gt_i32_e64 s8, 0, v2
	s_wait_alu 0xf1ff
	v_cndmask_b32_e64 v2, v2, v65, s8
	s_delay_alu instid0(VALU_DEP_1)
	v_lshlrev_b32_e32 v2, 2, v2
	ds_bpermute_b32 v10, v2, v1
	s_and_saveexec_b32 s8, vcc_lo
	s_cbranch_execz .LBB1736_64
; %bb.46:
	v_mov_b32_e32 v5, 0
	ds_load_b32 v1, v5 offset:28
	s_and_saveexec_b32 s23, s7
	s_cbranch_execz .LBB1736_48
; %bb.47:
	s_add_co_i32 s24, s15, 32
	s_mov_b32 s25, 0
	v_mov_b32_e32 v2, 1
	s_lshl_b64 s[24:25], s[24:25], 3
	s_delay_alu instid0(SALU_CYCLE_1)
	s_add_nc_u64 s[24:25], s[20:21], s[24:25]
	s_wait_dscnt 0x0
	global_store_b64 v5, v[1:2], s[24:25] scope:SCOPE_DEV
.LBB1736_48:
	s_wait_alu 0xfffe
	s_or_b32 exec_lo, exec_lo, s23
	v_xad_u32 v3, v65, -1, s15
	s_mov_b32 s24, 0
	s_mov_b32 s23, exec_lo
	s_delay_alu instid0(VALU_DEP_1) | instskip(NEXT) | instid1(VALU_DEP_1)
	v_add_nc_u32_e32 v4, 32, v3
	v_lshlrev_b64_e32 v[4:5], 3, v[4:5]
	s_delay_alu instid0(VALU_DEP_1) | instskip(SKIP_1) | instid1(VALU_DEP_2)
	v_add_co_u32 v7, vcc_lo, s20, v4
	s_wait_alu 0xfffd
	v_add_co_ci_u32_e64 v8, null, s21, v5, vcc_lo
	global_load_b64 v[5:6], v[7:8], off scope:SCOPE_DEV
	s_wait_loadcnt 0x0
	v_and_b32_e32 v2, 0xff, v6
	s_delay_alu instid0(VALU_DEP_1)
	v_cmpx_eq_u16_e32 0, v2
	s_cbranch_execz .LBB1736_51
.LBB1736_49:                            ; =>This Inner Loop Header: Depth=1
	global_load_b64 v[5:6], v[7:8], off scope:SCOPE_DEV
	s_wait_loadcnt 0x0
	v_and_b32_e32 v2, 0xff, v6
	s_delay_alu instid0(VALU_DEP_1) | instskip(SKIP_1) | instid1(SALU_CYCLE_1)
	v_cmp_ne_u16_e32 vcc_lo, 0, v2
	s_or_b32 s24, vcc_lo, s24
	s_and_not1_b32 exec_lo, exec_lo, s24
	s_cbranch_execnz .LBB1736_49
; %bb.50:
	s_or_b32 exec_lo, exec_lo, s24
.LBB1736_51:
	s_wait_alu 0xfffe
	s_or_b32 exec_lo, exec_lo, s23
	v_cmp_ne_u32_e32 vcc_lo, 31, v65
	v_lshlrev_b32_e64 v12, v65, -1
	v_add_nc_u32_e32 v14, 2, v65
	v_add_nc_u32_e32 v16, 4, v65
	;; [unrolled: 1-line block ×3, first 2 shown]
	s_wait_alu 0xfffd
	v_add_co_ci_u32_e64 v2, null, 0, v65, vcc_lo
	v_lshl_or_b32 v68, v65, 2, 64
	v_add_nc_u32_e32 v69, 16, v65
	s_delay_alu instid0(VALU_DEP_3)
	v_lshlrev_b32_e32 v11, 2, v2
	v_and_b32_e32 v2, 0xff, v6
	ds_bpermute_b32 v4, v11, v5
	v_cmp_eq_u16_e32 vcc_lo, 2, v2
	s_wait_alu 0xfffd
	v_and_or_b32 v2, vcc_lo, v12, 0x80000000
	v_cmp_gt_u32_e32 vcc_lo, 30, v65
	s_delay_alu instid0(VALU_DEP_2) | instskip(SKIP_2) | instid1(VALU_DEP_2)
	v_ctz_i32_b32_e32 v2, v2
	s_wait_alu 0xfffd
	v_cndmask_b32_e64 v7, 0, 2, vcc_lo
	v_cmp_lt_u32_e32 vcc_lo, v65, v2
	s_delay_alu instid0(VALU_DEP_2) | instskip(SKIP_4) | instid1(VALU_DEP_2)
	v_add_lshl_u32 v13, v7, v65, 2
	s_wait_dscnt 0x0
	s_wait_alu 0xfffd
	v_cndmask_b32_e32 v4, 0, v4, vcc_lo
	v_cmp_gt_u32_e32 vcc_lo, 28, v65
	v_add_nc_u32_e32 v4, v4, v5
	s_wait_alu 0xfffd
	v_cndmask_b32_e64 v7, 0, 4, vcc_lo
	v_cmp_le_u32_e32 vcc_lo, v14, v2
	ds_bpermute_b32 v5, v13, v4
	v_add_lshl_u32 v15, v7, v65, 2
	s_wait_dscnt 0x0
	s_wait_alu 0xfffd
	v_cndmask_b32_e32 v5, 0, v5, vcc_lo
	v_cmp_gt_u32_e32 vcc_lo, 24, v65
	s_delay_alu instid0(VALU_DEP_2)
	v_add_nc_u32_e32 v4, v4, v5
	s_wait_alu 0xfffd
	v_cndmask_b32_e64 v7, 0, 8, vcc_lo
	v_cmp_le_u32_e32 vcc_lo, v16, v2
	ds_bpermute_b32 v5, v15, v4
	v_add_lshl_u32 v19, v7, v65, 2
	s_wait_dscnt 0x0
	s_wait_alu 0xfffd
	v_cndmask_b32_e32 v5, 0, v5, vcc_lo
	v_cmp_le_u32_e32 vcc_lo, v20, v2
	s_delay_alu instid0(VALU_DEP_2)
	v_add_nc_u32_e32 v4, v4, v5
	ds_bpermute_b32 v5, v19, v4
	s_wait_dscnt 0x0
	s_wait_alu 0xfffd
	v_cndmask_b32_e32 v5, 0, v5, vcc_lo
	v_cmp_le_u32_e32 vcc_lo, v69, v2
	s_delay_alu instid0(VALU_DEP_2) | instskip(SKIP_4) | instid1(VALU_DEP_1)
	v_add_nc_u32_e32 v4, v4, v5
	ds_bpermute_b32 v5, v68, v4
	s_wait_dscnt 0x0
	s_wait_alu 0xfffd
	v_cndmask_b32_e32 v2, 0, v5, vcc_lo
	v_dual_mov_b32 v4, 0 :: v_dual_add_nc_u32 v5, v4, v2
	s_branch .LBB1736_55
.LBB1736_52:                            ;   in Loop: Header=BB1736_55 Depth=1
	s_or_b32 exec_lo, exec_lo, s24
.LBB1736_53:                            ;   in Loop: Header=BB1736_55 Depth=1
	s_wait_alu 0xfffe
	s_or_b32 exec_lo, exec_lo, s23
	ds_bpermute_b32 v8, v11, v5
	v_and_b32_e32 v7, 0xff, v6
	v_subrev_nc_u32_e32 v3, 32, v3
	s_mov_b32 s23, 0
	s_delay_alu instid0(VALU_DEP_2) | instskip(SKIP_2) | instid1(VALU_DEP_1)
	v_cmp_eq_u16_e32 vcc_lo, 2, v7
	s_wait_alu 0xfffd
	v_and_or_b32 v7, vcc_lo, v12, 0x80000000
	v_ctz_i32_b32_e32 v7, v7
	s_delay_alu instid0(VALU_DEP_1) | instskip(SKIP_4) | instid1(VALU_DEP_2)
	v_cmp_lt_u32_e32 vcc_lo, v65, v7
	s_wait_dscnt 0x0
	s_wait_alu 0xfffd
	v_cndmask_b32_e32 v8, 0, v8, vcc_lo
	v_cmp_le_u32_e32 vcc_lo, v14, v7
	v_add_nc_u32_e32 v5, v8, v5
	ds_bpermute_b32 v8, v13, v5
	s_wait_dscnt 0x0
	s_wait_alu 0xfffd
	v_cndmask_b32_e32 v8, 0, v8, vcc_lo
	v_cmp_le_u32_e32 vcc_lo, v16, v7
	s_delay_alu instid0(VALU_DEP_2)
	v_add_nc_u32_e32 v5, v5, v8
	ds_bpermute_b32 v8, v15, v5
	s_wait_dscnt 0x0
	s_wait_alu 0xfffd
	v_cndmask_b32_e32 v8, 0, v8, vcc_lo
	v_cmp_le_u32_e32 vcc_lo, v20, v7
	s_delay_alu instid0(VALU_DEP_2)
	v_add_nc_u32_e32 v5, v5, v8
	ds_bpermute_b32 v8, v19, v5
	s_wait_dscnt 0x0
	s_wait_alu 0xfffd
	v_cndmask_b32_e32 v8, 0, v8, vcc_lo
	v_cmp_le_u32_e32 vcc_lo, v69, v7
	s_delay_alu instid0(VALU_DEP_2) | instskip(SKIP_4) | instid1(VALU_DEP_1)
	v_add_nc_u32_e32 v5, v5, v8
	ds_bpermute_b32 v8, v68, v5
	s_wait_dscnt 0x0
	s_wait_alu 0xfffd
	v_cndmask_b32_e32 v7, 0, v8, vcc_lo
	v_add3_u32 v5, v7, v2, v5
.LBB1736_54:                            ;   in Loop: Header=BB1736_55 Depth=1
	s_wait_alu 0xfffe
	s_and_b32 vcc_lo, exec_lo, s23
	s_wait_alu 0xfffe
	s_cbranch_vccnz .LBB1736_60
.LBB1736_55:                            ; =>This Loop Header: Depth=1
                                        ;     Child Loop BB1736_58 Depth 2
	v_and_b32_e32 v2, 0xff, v6
	s_mov_b32 s23, -1
                                        ; implicit-def: $vgpr6
	s_delay_alu instid0(VALU_DEP_1)
	v_cmp_ne_u16_e32 vcc_lo, 2, v2
	v_mov_b32_e32 v2, v5
                                        ; implicit-def: $vgpr5
	s_cmp_lg_u32 vcc_lo, exec_lo
	s_cbranch_scc1 .LBB1736_54
; %bb.56:                               ;   in Loop: Header=BB1736_55 Depth=1
	v_lshlrev_b64_e32 v[5:6], 3, v[3:4]
	s_mov_b32 s23, exec_lo
	s_delay_alu instid0(VALU_DEP_1) | instskip(SKIP_1) | instid1(VALU_DEP_2)
	v_add_co_u32 v7, vcc_lo, s20, v5
	s_wait_alu 0xfffd
	v_add_co_ci_u32_e64 v8, null, s21, v6, vcc_lo
	global_load_b64 v[5:6], v[7:8], off scope:SCOPE_DEV
	s_wait_loadcnt 0x0
	v_and_b32_e32 v70, 0xff, v6
	s_delay_alu instid0(VALU_DEP_1)
	v_cmpx_eq_u16_e32 0, v70
	s_cbranch_execz .LBB1736_53
; %bb.57:                               ;   in Loop: Header=BB1736_55 Depth=1
	s_mov_b32 s24, 0
.LBB1736_58:                            ;   Parent Loop BB1736_55 Depth=1
                                        ; =>  This Inner Loop Header: Depth=2
	global_load_b64 v[5:6], v[7:8], off scope:SCOPE_DEV
	s_wait_loadcnt 0x0
	v_and_b32_e32 v70, 0xff, v6
	s_delay_alu instid0(VALU_DEP_1) | instskip(SKIP_1) | instid1(SALU_CYCLE_1)
	v_cmp_ne_u16_e32 vcc_lo, 0, v70
	s_or_b32 s24, vcc_lo, s24
	s_and_not1_b32 exec_lo, exec_lo, s24
	s_cbranch_execnz .LBB1736_58
	s_branch .LBB1736_52
.LBB1736_59:
                                        ; implicit-def: $vgpr20
                                        ; implicit-def: $vgpr1_vgpr2_vgpr3_vgpr4_vgpr5_vgpr6_vgpr7_vgpr8_vgpr9_vgpr10_vgpr11_vgpr12_vgpr13_vgpr14_vgpr15_vgpr16
	s_wait_alu 0xfffe
	s_and_b32 vcc_lo, exec_lo, s7
	s_wait_alu 0xfffe
	s_cbranch_vccnz .LBB1736_65
	s_branch .LBB1736_74
.LBB1736_60:
	s_and_saveexec_b32 s23, s7
	s_cbranch_execz .LBB1736_62
; %bb.61:
	s_add_co_i32 s24, s15, 32
	s_mov_b32 s25, 0
	v_dual_mov_b32 v4, 2 :: v_dual_add_nc_u32 v3, v2, v1
	v_mov_b32_e32 v5, 0
	s_lshl_b64 s[24:25], s[24:25], 3
	s_delay_alu instid0(SALU_CYCLE_1)
	s_add_nc_u64 s[24:25], s[20:21], s[24:25]
	global_store_b64 v5, v[3:4], s[24:25] scope:SCOPE_DEV
	ds_store_b64 v5, v[1:2] offset:13312
.LBB1736_62:
	s_wait_alu 0xfffe
	s_or_b32 exec_lo, exec_lo, s23
	s_delay_alu instid0(SALU_CYCLE_1)
	s_and_b32 exec_lo, exec_lo, s2
; %bb.63:
	v_mov_b32_e32 v1, 0
	ds_store_b32 v1, v2 offset:28
.LBB1736_64:
	s_wait_alu 0xfffe
	s_or_b32 exec_lo, exec_lo, s8
	v_mov_b32_e32 v11, 0
	s_wait_storecnt 0x0
	s_wait_loadcnt_dscnt 0x0
	s_barrier_signal -1
	s_barrier_wait -1
	global_inv scope:SCOPE_SE
	ds_load_b32 v1, v11 offset:28
	v_cndmask_b32_e64 v2, v10, v9, s7
	s_wait_loadcnt_dscnt 0x0
	s_barrier_signal -1
	s_barrier_wait -1
	global_inv scope:SCOPE_SE
	v_cndmask_b32_e64 v2, v2, 0, s2
	s_delay_alu instid0(VALU_DEP_1) | instskip(NEXT) | instid1(VALU_DEP_1)
	v_add_nc_u32_e32 v1, v1, v2
	v_add_nc_u32_e32 v2, v1, v56
	ds_load_b64 v[19:20], v11 offset:13312
	v_add_nc_u32_e32 v3, v2, v57
	s_delay_alu instid0(VALU_DEP_1) | instskip(NEXT) | instid1(VALU_DEP_1)
	v_add_nc_u32_e32 v4, v3, v58
	v_add_nc_u32_e32 v5, v4, v55
	s_delay_alu instid0(VALU_DEP_1) | instskip(NEXT) | instid1(VALU_DEP_1)
	v_add_nc_u32_e32 v6, v5, v59
	;; [unrolled: 3-line block ×5, first 2 shown]
	v_add_nc_u32_e32 v13, v12, v51
	s_branch .LBB1736_74
.LBB1736_65:
	v_mov_b32_dpp v1, v67 row_shr:1 row_mask:0xf bank_mask:0xf
	s_delay_alu instid0(VALU_DEP_1) | instskip(NEXT) | instid1(VALU_DEP_1)
	v_cndmask_b32_e64 v1, v1, 0, s6
	v_add_nc_u32_e32 v1, v1, v67
	s_delay_alu instid0(VALU_DEP_1) | instskip(NEXT) | instid1(VALU_DEP_1)
	v_mov_b32_dpp v2, v1 row_shr:2 row_mask:0xf bank_mask:0xf
	v_cndmask_b32_e64 v2, 0, v2, s5
	s_delay_alu instid0(VALU_DEP_1) | instskip(NEXT) | instid1(VALU_DEP_1)
	v_add_nc_u32_e32 v1, v1, v2
	v_mov_b32_dpp v2, v1 row_shr:4 row_mask:0xf bank_mask:0xf
	s_delay_alu instid0(VALU_DEP_1) | instskip(NEXT) | instid1(VALU_DEP_1)
	v_cndmask_b32_e64 v2, 0, v2, s4
	v_add_nc_u32_e32 v1, v1, v2
	s_delay_alu instid0(VALU_DEP_1) | instskip(NEXT) | instid1(VALU_DEP_1)
	v_mov_b32_dpp v2, v1 row_shr:8 row_mask:0xf bank_mask:0xf
	v_cndmask_b32_e64 v2, 0, v2, s3
	s_delay_alu instid0(VALU_DEP_1) | instskip(SKIP_3) | instid1(VALU_DEP_1)
	v_add_nc_u32_e32 v1, v1, v2
	ds_swizzle_b32 v2, v1 offset:swizzle(BROADCAST,32,15)
	s_wait_dscnt 0x0
	v_cndmask_b32_e64 v2, v2, 0, s1
	v_add_nc_u32_e32 v1, v1, v2
	s_and_saveexec_b32 s1, s0
; %bb.66:
	v_lshlrev_b32_e32 v2, 2, v66
	ds_store_b32 v2, v1
; %bb.67:
	s_wait_alu 0xfffe
	s_or_b32 exec_lo, exec_lo, s1
	s_delay_alu instid0(SALU_CYCLE_1)
	s_mov_b32 s0, exec_lo
	s_wait_loadcnt_dscnt 0x0
	s_barrier_signal -1
	s_barrier_wait -1
	global_inv scope:SCOPE_SE
	v_cmpx_gt_u32_e32 8, v0
	s_cbranch_execz .LBB1736_69
; %bb.68:
	ds_load_b32 v2, v45
	s_wait_dscnt 0x0
	v_mov_b32_dpp v4, v2 row_shr:1 row_mask:0xf bank_mask:0xf
	v_and_b32_e32 v3, 7, v65
	s_delay_alu instid0(VALU_DEP_1) | instskip(SKIP_1) | instid1(VALU_DEP_3)
	v_cmp_ne_u32_e32 vcc_lo, 0, v3
	s_wait_alu 0xfffd
	v_cndmask_b32_e32 v4, 0, v4, vcc_lo
	v_cmp_lt_u32_e32 vcc_lo, 1, v3
	s_delay_alu instid0(VALU_DEP_2) | instskip(NEXT) | instid1(VALU_DEP_1)
	v_add_nc_u32_e32 v2, v4, v2
	v_mov_b32_dpp v4, v2 row_shr:2 row_mask:0xf bank_mask:0xf
	s_wait_alu 0xfffd
	s_delay_alu instid0(VALU_DEP_1) | instskip(SKIP_1) | instid1(VALU_DEP_2)
	v_cndmask_b32_e32 v4, 0, v4, vcc_lo
	v_cmp_lt_u32_e32 vcc_lo, 3, v3
	v_add_nc_u32_e32 v2, v2, v4
	s_delay_alu instid0(VALU_DEP_1) | instskip(SKIP_1) | instid1(VALU_DEP_1)
	v_mov_b32_dpp v4, v2 row_shr:4 row_mask:0xf bank_mask:0xf
	s_wait_alu 0xfffd
	v_cndmask_b32_e32 v3, 0, v4, vcc_lo
	s_delay_alu instid0(VALU_DEP_1)
	v_add_nc_u32_e32 v2, v2, v3
	ds_store_b32 v45, v2
.LBB1736_69:
	s_wait_alu 0xfffe
	s_or_b32 exec_lo, exec_lo, s0
	v_dual_mov_b32 v3, 0 :: v_dual_mov_b32 v2, 0
	s_mov_b32 s0, exec_lo
	s_wait_loadcnt_dscnt 0x0
	s_barrier_signal -1
	s_barrier_wait -1
	global_inv scope:SCOPE_SE
	v_cmpx_lt_u32_e32 31, v0
; %bb.70:
	v_lshl_add_u32 v2, v66, 2, -4
	ds_load_b32 v2, v2
; %bb.71:
	s_wait_alu 0xfffe
	s_or_b32 exec_lo, exec_lo, s0
	v_sub_co_u32 v4, vcc_lo, v65, 1
	s_wait_dscnt 0x0
	v_add_nc_u32_e32 v1, v2, v1
	ds_load_b32 v19, v3 offset:28
	v_cmp_gt_i32_e64 s0, 0, v4
	s_wait_alu 0xf1ff
	s_delay_alu instid0(VALU_DEP_1) | instskip(NEXT) | instid1(VALU_DEP_1)
	v_cndmask_b32_e64 v4, v4, v65, s0
	v_lshlrev_b32_e32 v4, 2, v4
	ds_bpermute_b32 v1, v4, v1
	s_and_saveexec_b32 s0, s2
	s_cbranch_execz .LBB1736_73
; %bb.72:
	v_dual_mov_b32 v3, 0 :: v_dual_mov_b32 v20, 2
	s_wait_dscnt 0x1
	global_store_b64 v3, v[19:20], s[20:21] offset:256 scope:SCOPE_DEV
.LBB1736_73:
	s_wait_alu 0xfffe
	s_or_b32 exec_lo, exec_lo, s0
	s_wait_dscnt 0x0
	s_wait_alu 0xfffd
	v_cndmask_b32_e32 v1, v1, v2, vcc_lo
	s_wait_loadcnt 0x0
	s_wait_storecnt 0x0
	s_barrier_signal -1
	s_barrier_wait -1
	global_inv scope:SCOPE_SE
	v_cndmask_b32_e64 v1, v1, 0, s2
	v_mov_b32_e32 v20, 0
	s_delay_alu instid0(VALU_DEP_2) | instskip(NEXT) | instid1(VALU_DEP_1)
	v_add_nc_u32_e32 v2, v1, v56
	v_add_nc_u32_e32 v3, v2, v57
	s_delay_alu instid0(VALU_DEP_1) | instskip(NEXT) | instid1(VALU_DEP_1)
	v_add_nc_u32_e32 v4, v3, v58
	v_add_nc_u32_e32 v5, v4, v55
	s_delay_alu instid0(VALU_DEP_1) | instskip(NEXT) | instid1(VALU_DEP_1)
	;; [unrolled: 3-line block ×5, first 2 shown]
	v_add_nc_u32_e32 v12, v11, v64
	v_add_nc_u32_e32 v13, v12, v51
.LBB1736_74:
	s_wait_dscnt 0x0
	v_sub_nc_u32_e32 v1, v1, v20
	v_sub_nc_u32_e32 v2, v2, v20
	v_add_nc_u32_e32 v48, v19, v48
	v_lshrrev_b32_e32 v58, 8, v54
	v_lshrrev_b32_e32 v57, 16, v54
	v_sub_nc_u32_e32 v4, v4, v20
	v_sub_nc_u32_e32 v3, v3, v20
	;; [unrolled: 1-line block ×3, first 2 shown]
	v_and_b32_e32 v54, 1, v54
	v_and_b32_e32 v58, 1, v58
	;; [unrolled: 1-line block ×3, first 2 shown]
	v_lshrrev_b32_e32 v56, 8, v52
	v_lshrrev_b32_e32 v16, 16, v52
	v_cmp_eq_u32_e32 vcc_lo, 1, v54
	v_and_b32_e32 v54, 1, v57
	v_sub_nc_u32_e32 v57, v48, v2
	v_lshrrev_b32_e32 v15, 8, v50
	v_lshrrev_b32_e32 v14, 16, v50
	s_wait_alu 0xfffd
	v_cndmask_b32_e32 v1, v59, v1, vcc_lo
	v_cmp_eq_u32_e32 vcc_lo, 1, v58
	v_add_nc_u32_e32 v57, 1, v57
	s_delay_alu instid0(VALU_DEP_3)
	v_lshlrev_b32_e32 v1, 2, v1
	ds_store_b32 v1, v31
	s_wait_alu 0xfffd
	v_cndmask_b32_e32 v1, v57, v2, vcc_lo
	v_sub_nc_u32_e32 v59, v48, v3
	v_sub_nc_u32_e32 v60, v48, v4
	v_cmp_eq_u32_e32 vcc_lo, 1, v54
	s_delay_alu instid0(VALU_DEP_4) | instskip(NEXT) | instid1(VALU_DEP_4)
	v_lshlrev_b32_e32 v1, 2, v1
	v_add_nc_u32_e32 v59, 2, v59
	s_delay_alu instid0(VALU_DEP_4)
	v_add_nc_u32_e32 v60, 3, v60
	ds_store_b32 v1, v32
	s_wait_alu 0xfffd
	v_cndmask_b32_e32 v2, v59, v3, vcc_lo
	v_cmp_eq_u32_e32 vcc_lo, 1, v55
	s_wait_alu 0xfffd
	s_delay_alu instid0(VALU_DEP_2) | instskip(SKIP_2) | instid1(VALU_DEP_3)
	v_dual_cndmask_b32 v3, v60, v4 :: v_dual_lshlrev_b32 v2, 2, v2
	v_sub_nc_u32_e32 v4, v5, v20
	v_sub_nc_u32_e32 v5, v6, v20
	v_lshlrev_b32_e32 v3, 2, v3
	s_delay_alu instid0(VALU_DEP_3) | instskip(NEXT) | instid1(VALU_DEP_3)
	v_sub_nc_u32_e32 v1, v48, v4
	v_sub_nc_u32_e32 v6, v48, v5
	ds_store_b32 v2, v29
	ds_store_b32 v3, v30
	v_and_b32_e32 v2, 1, v52
	v_add_nc_u32_e32 v1, 4, v1
	v_add_nc_u32_e32 v3, 5, v6
	v_sub_nc_u32_e32 v6, v7, v20
	v_and_b32_e32 v7, 1, v56
	v_cmp_eq_u32_e32 vcc_lo, 1, v2
	v_sub_nc_u32_e32 v2, v8, v20
	s_wait_alu 0xfffd
	v_dual_cndmask_b32 v1, v1, v4 :: v_dual_and_b32 v8, 1, v53
	v_sub_nc_u32_e32 v4, v48, v6
	v_cmp_eq_u32_e32 vcc_lo, 1, v7
	v_and_b32_e32 v7, 1, v16
	s_delay_alu instid0(VALU_DEP_4)
	v_lshlrev_b32_e32 v1, 2, v1
	s_wait_alu 0xfffd
	v_dual_cndmask_b32 v3, v3, v5 :: v_dual_add_nc_u32 v4, 6, v4
	v_sub_nc_u32_e32 v5, v48, v2
	v_cmp_eq_u32_e32 vcc_lo, 1, v7
	v_sub_nc_u32_e32 v7, v13, v20
	s_delay_alu instid0(VALU_DEP_4)
	v_lshlrev_b32_e32 v3, 2, v3
	s_wait_alu 0xfffd
	v_dual_cndmask_b32 v4, v4, v6 :: v_dual_add_nc_u32 v5, 7, v5
	v_cmp_eq_u32_e32 vcc_lo, 1, v8
	v_sub_nc_u32_e32 v6, v9, v20
	ds_store_b32 v1, v27
	ds_store_b32 v3, v28
	s_wait_alu 0xfffd
	v_dual_cndmask_b32 v2, v5, v2 :: v_dual_lshlrev_b32 v3, 2, v4
	v_sub_nc_u32_e32 v1, v48, v6
	v_and_b32_e32 v5, 1, v50
	v_sub_nc_u32_e32 v4, v10, v20
	v_and_b32_e32 v10, 1, v51
	v_lshlrev_b32_e32 v2, 2, v2
	v_add_nc_u32_e32 v1, 8, v1
	ds_store_b32 v3, v25
	ds_store_b32 v2, v26
	v_cmp_eq_u32_e32 vcc_lo, 1, v5
	v_sub_nc_u32_e32 v3, v11, v20
	v_sub_nc_u32_e32 v2, v48, v4
	;; [unrolled: 1-line block ×3, first 2 shown]
	v_and_b32_e32 v11, 1, v49
	s_wait_alu 0xfffd
	v_dual_cndmask_b32 v1, v1, v6 :: v_dual_and_b32 v6, 1, v15
	v_sub_nc_u32_e32 v8, v48, v3
	v_add_nc_u32_e32 v2, 9, v2
	v_sub_nc_u32_e32 v9, v48, v5
	s_delay_alu instid0(VALU_DEP_4)
	v_lshlrev_b32_e32 v1, 2, v1
	v_cmp_eq_u32_e32 vcc_lo, 1, v6
	v_add_nc_u32_e32 v6, 10, v8
	v_and_b32_e32 v8, 1, v14
	v_add_nc_u32_e32 v9, 11, v9
	v_add_co_u32 v15, s0, v17, v20
	s_wait_alu 0xfffd
	v_cndmask_b32_e32 v2, v2, v4, vcc_lo
	v_cmp_eq_u32_e32 vcc_lo, 1, v8
	v_sub_nc_u32_e32 v4, v48, v7
	s_wait_alu 0xf1ff
	v_add_co_ci_u32_e64 v16, null, 0, v18, s0
	s_wait_alu 0xfffd
	v_dual_cndmask_b32 v3, v6, v3 :: v_dual_lshlrev_b32 v2, 2, v2
	v_cmp_eq_u32_e32 vcc_lo, 1, v10
	v_add_nc_u32_e32 v4, 12, v4
	s_delay_alu instid0(VALU_DEP_3) | instskip(SKIP_4) | instid1(VALU_DEP_2)
	v_lshlrev_b32_e32 v3, 2, v3
	s_wait_alu 0xfffd
	v_cndmask_b32_e32 v5, v9, v5, vcc_lo
	v_cmp_eq_u32_e32 vcc_lo, 1, v11
	s_wait_alu 0xfffd
	v_dual_cndmask_b32 v4, v4, v7 :: v_dual_lshlrev_b32 v5, 2, v5
	v_cmp_ne_u32_e32 vcc_lo, 1, v46
	s_delay_alu instid0(VALU_DEP_2)
	v_lshlrev_b32_e32 v4, 2, v4
	ds_store_b32 v1, v23
	ds_store_b32 v2, v24
	;; [unrolled: 1-line block ×5, first 2 shown]
	s_wait_loadcnt_dscnt 0x0
	s_barrier_signal -1
	s_barrier_wait -1
	global_inv scope:SCOPE_SE
	ds_load_2addr_stride64_b32 v[11:12], v45 offset1:4
	ds_load_2addr_stride64_b32 v[9:10], v45 offset0:8 offset1:12
	ds_load_2addr_stride64_b32 v[7:8], v45 offset0:16 offset1:20
	;; [unrolled: 1-line block ×5, first 2 shown]
	ds_load_b32 v21, v45 offset:12288
	s_cbranch_vccnz .LBB1736_131
; %bb.75:
	s_mov_b32 s15, 0
	v_sub_co_u32 v13, vcc_lo, v15, s16
	s_wait_alu 0xfffe
	s_sub_nc_u64 s[0:1], s[18:19], s[14:15]
	s_wait_alu 0xfffd
	v_subrev_co_ci_u32_e64 v14, null, s17, v16, vcc_lo
	s_wait_alu 0xfffe
	v_add_co_u32 v17, s0, s0, v19
	s_wait_alu 0xf1ff
	v_add_co_ci_u32_e64 v18, null, s1, 0, s0
	s_mov_b32 s0, exec_lo
	v_add_co_u32 v17, vcc_lo, v17, v13
	s_wait_alu 0xfffd
	v_add_co_ci_u32_e64 v18, null, v18, v14, vcc_lo
                                        ; implicit-def: $vgpr13_vgpr14
	v_cmpx_ge_u32_e64 v0, v19
	s_wait_alu 0xfffe
	s_xor_b32 s0, exec_lo, s0
; %bb.76:
	v_not_b32_e32 v13, v0
	s_delay_alu instid0(VALU_DEP_1) | instskip(SKIP_2) | instid1(VALU_DEP_2)
	v_ashrrev_i32_e32 v14, 31, v13
	v_add_co_u32 v13, vcc_lo, v17, v13
	s_wait_alu 0xfffd
	v_add_co_ci_u32_e64 v14, null, v18, v14, vcc_lo
; %bb.77:
	s_wait_alu 0xfffe
	s_and_not1_saveexec_b32 s0, s0
; %bb.78:
	v_add_co_u32 v13, vcc_lo, v15, v0
	s_wait_alu 0xfffd
	v_add_co_ci_u32_e64 v14, null, 0, v16, vcc_lo
; %bb.79:
	s_wait_alu 0xfffe
	s_or_b32 exec_lo, exec_lo, s0
	s_delay_alu instid0(VALU_DEP_1) | instskip(SKIP_1) | instid1(VALU_DEP_1)
	v_lshlrev_b64_e32 v[13:14], 2, v[13:14]
	s_mov_b32 s0, exec_lo
	v_add_co_u32 v13, vcc_lo, s10, v13
	s_wait_alu 0xfffd
	s_delay_alu instid0(VALU_DEP_2)
	v_add_co_ci_u32_e64 v14, null, s11, v14, vcc_lo
	s_wait_dscnt 0x6
	global_store_b32 v[13:14], v11, off
                                        ; implicit-def: $vgpr13_vgpr14
	v_cmpx_ge_u32_e64 v44, v19
	s_wait_alu 0xfffe
	s_xor_b32 s0, exec_lo, s0
; %bb.80:
	v_xor_b32_e32 v13, 0xfffffeff, v0
	s_delay_alu instid0(VALU_DEP_1) | instskip(SKIP_2) | instid1(VALU_DEP_2)
	v_ashrrev_i32_e32 v14, 31, v13
	v_add_co_u32 v13, vcc_lo, v17, v13
	s_wait_alu 0xfffd
	v_add_co_ci_u32_e64 v14, null, v18, v14, vcc_lo
; %bb.81:
	s_wait_alu 0xfffe
	s_and_not1_saveexec_b32 s0, s0
; %bb.82:
	v_add_co_u32 v13, vcc_lo, v15, v44
	s_wait_alu 0xfffd
	v_add_co_ci_u32_e64 v14, null, 0, v16, vcc_lo
; %bb.83:
	s_wait_alu 0xfffe
	s_or_b32 exec_lo, exec_lo, s0
	s_delay_alu instid0(VALU_DEP_1) | instskip(SKIP_1) | instid1(VALU_DEP_1)
	v_lshlrev_b64_e32 v[13:14], 2, v[13:14]
	s_mov_b32 s0, exec_lo
	v_add_co_u32 v13, vcc_lo, s10, v13
	s_wait_alu 0xfffd
	s_delay_alu instid0(VALU_DEP_2)
	v_add_co_ci_u32_e64 v14, null, s11, v14, vcc_lo
	global_store_b32 v[13:14], v12, off
                                        ; implicit-def: $vgpr13_vgpr14
	v_cmpx_ge_u32_e64 v43, v19
	s_wait_alu 0xfffe
	s_xor_b32 s0, exec_lo, s0
; %bb.84:
	v_xor_b32_e32 v13, 0xfffffdff, v0
	s_delay_alu instid0(VALU_DEP_1) | instskip(SKIP_2) | instid1(VALU_DEP_2)
	v_ashrrev_i32_e32 v14, 31, v13
	v_add_co_u32 v13, vcc_lo, v17, v13
	s_wait_alu 0xfffd
	v_add_co_ci_u32_e64 v14, null, v18, v14, vcc_lo
; %bb.85:
	s_wait_alu 0xfffe
	s_and_not1_saveexec_b32 s0, s0
; %bb.86:
	v_add_co_u32 v13, vcc_lo, v15, v43
	s_wait_alu 0xfffd
	v_add_co_ci_u32_e64 v14, null, 0, v16, vcc_lo
; %bb.87:
	s_wait_alu 0xfffe
	s_or_b32 exec_lo, exec_lo, s0
	s_delay_alu instid0(VALU_DEP_1) | instskip(SKIP_1) | instid1(VALU_DEP_1)
	v_lshlrev_b64_e32 v[13:14], 2, v[13:14]
	s_mov_b32 s0, exec_lo
	v_add_co_u32 v13, vcc_lo, s10, v13
	s_wait_alu 0xfffd
	s_delay_alu instid0(VALU_DEP_2)
	v_add_co_ci_u32_e64 v14, null, s11, v14, vcc_lo
	s_wait_dscnt 0x5
	global_store_b32 v[13:14], v9, off
                                        ; implicit-def: $vgpr13_vgpr14
	v_cmpx_ge_u32_e64 v42, v19
	s_wait_alu 0xfffe
	s_xor_b32 s0, exec_lo, s0
; %bb.88:
	v_xor_b32_e32 v13, 0xfffffcff, v0
	s_delay_alu instid0(VALU_DEP_1) | instskip(SKIP_2) | instid1(VALU_DEP_2)
	v_ashrrev_i32_e32 v14, 31, v13
	v_add_co_u32 v13, vcc_lo, v17, v13
	s_wait_alu 0xfffd
	v_add_co_ci_u32_e64 v14, null, v18, v14, vcc_lo
; %bb.89:
	s_wait_alu 0xfffe
	s_and_not1_saveexec_b32 s0, s0
; %bb.90:
	v_add_co_u32 v13, vcc_lo, v15, v42
	s_wait_alu 0xfffd
	v_add_co_ci_u32_e64 v14, null, 0, v16, vcc_lo
; %bb.91:
	s_wait_alu 0xfffe
	s_or_b32 exec_lo, exec_lo, s0
	s_delay_alu instid0(VALU_DEP_1) | instskip(SKIP_1) | instid1(VALU_DEP_1)
	v_lshlrev_b64_e32 v[13:14], 2, v[13:14]
	s_mov_b32 s0, exec_lo
	v_add_co_u32 v13, vcc_lo, s10, v13
	s_wait_alu 0xfffd
	s_delay_alu instid0(VALU_DEP_2)
	v_add_co_ci_u32_e64 v14, null, s11, v14, vcc_lo
	global_store_b32 v[13:14], v10, off
                                        ; implicit-def: $vgpr13_vgpr14
	v_cmpx_ge_u32_e64 v41, v19
	s_wait_alu 0xfffe
	s_xor_b32 s0, exec_lo, s0
; %bb.92:
	v_xor_b32_e32 v13, 0xfffffbff, v0
	;; [unrolled: 59-line block ×6, first 2 shown]
	s_delay_alu instid0(VALU_DEP_1) | instskip(SKIP_2) | instid1(VALU_DEP_2)
	v_ashrrev_i32_e32 v14, 31, v13
	v_add_co_u32 v13, vcc_lo, v17, v13
	s_wait_alu 0xfffd
	v_add_co_ci_u32_e64 v14, null, v18, v14, vcc_lo
; %bb.125:
	s_wait_alu 0xfffe
	s_and_not1_saveexec_b32 s0, s0
; %bb.126:
	v_add_co_u32 v13, vcc_lo, v15, v33
	s_wait_alu 0xfffd
	v_add_co_ci_u32_e64 v14, null, 0, v16, vcc_lo
; %bb.127:
	s_wait_alu 0xfffe
	s_or_b32 exec_lo, exec_lo, s0
	s_mov_b32 s0, -1
.LBB1736_128:
	s_wait_alu 0xfffe
	s_and_saveexec_b32 s1, s0
	s_cbranch_execz .LBB1736_211
.LBB1736_129:
	s_wait_dscnt 0x1
	v_lshlrev_b64_e32 v[0:1], 2, v[13:14]
	s_delay_alu instid0(VALU_DEP_1) | instskip(SKIP_1) | instid1(VALU_DEP_2)
	v_add_co_u32 v0, vcc_lo, s10, v0
	s_wait_alu 0xfffd
	v_add_co_ci_u32_e64 v1, null, s11, v1, vcc_lo
	s_wait_dscnt 0x0
	global_store_b32 v[0:1], v21, off
	s_wait_alu 0xfffe
	s_or_b32 exec_lo, exec_lo, s1
	s_and_b32 s0, s2, s9
	s_wait_alu 0xfffe
	s_and_saveexec_b32 s1, s0
	s_cbranch_execnz .LBB1736_212
.LBB1736_130:
	s_endpgm
.LBB1736_131:
	s_mov_b32 s0, 0
                                        ; implicit-def: $vgpr13_vgpr14
	s_cbranch_execz .LBB1736_128
; %bb.132:
	s_mov_b32 s15, 0
	s_wait_alu 0xfffe
	s_add_nc_u64 s[4:5], s[16:17], s[14:15]
	s_wait_alu 0xfffe
	s_sub_nc_u64 s[4:5], s[18:19], s[4:5]
	s_wait_alu 0xfffe
	v_add_co_u32 v13, s1, s4, v19
	s_wait_alu 0xf1ff
	v_add_co_ci_u32_e64 v14, null, s5, 0, s1
	s_mov_b32 s1, exec_lo
	v_add_co_u32 v17, vcc_lo, v13, v15
	s_wait_alu 0xfffd
	v_add_co_ci_u32_e64 v18, null, v14, v16, vcc_lo
	v_cmpx_gt_u32_e64 s22, v0
	s_cbranch_execz .LBB1736_168
; %bb.133:
	s_mov_b32 s3, exec_lo
                                        ; implicit-def: $vgpr13_vgpr14
	v_cmpx_ge_u32_e64 v0, v19
	s_wait_alu 0xfffe
	s_xor_b32 s3, exec_lo, s3
; %bb.134:
	v_not_b32_e32 v13, v0
	s_delay_alu instid0(VALU_DEP_1) | instskip(SKIP_2) | instid1(VALU_DEP_2)
	v_ashrrev_i32_e32 v14, 31, v13
	v_add_co_u32 v13, vcc_lo, v17, v13
	s_wait_alu 0xfffd
	v_add_co_ci_u32_e64 v14, null, v18, v14, vcc_lo
; %bb.135:
	s_wait_alu 0xfffe
	s_and_not1_saveexec_b32 s3, s3
; %bb.136:
	v_add_co_u32 v13, vcc_lo, v15, v0
	s_wait_alu 0xfffd
	v_add_co_ci_u32_e64 v14, null, 0, v16, vcc_lo
; %bb.137:
	s_wait_alu 0xfffe
	s_or_b32 exec_lo, exec_lo, s3
	s_delay_alu instid0(VALU_DEP_1) | instskip(NEXT) | instid1(VALU_DEP_1)
	v_lshlrev_b64_e32 v[13:14], 2, v[13:14]
	v_add_co_u32 v13, vcc_lo, s10, v13
	s_wait_alu 0xfffd
	s_delay_alu instid0(VALU_DEP_2) | instskip(SKIP_3) | instid1(SALU_CYCLE_1)
	v_add_co_ci_u32_e64 v14, null, s11, v14, vcc_lo
	s_wait_dscnt 0x6
	global_store_b32 v[13:14], v11, off
	s_or_b32 exec_lo, exec_lo, s1
	s_mov_b32 s1, exec_lo
	v_cmpx_gt_u32_e64 s22, v44
	s_cbranch_execnz .LBB1736_169
.LBB1736_138:
	s_wait_alu 0xfffe
	s_or_b32 exec_lo, exec_lo, s1
	s_delay_alu instid0(SALU_CYCLE_1)
	s_mov_b32 s1, exec_lo
	v_cmpx_gt_u32_e64 s22, v43
	s_cbranch_execz .LBB1736_174
.LBB1736_139:
	s_mov_b32 s3, exec_lo
                                        ; implicit-def: $vgpr11_vgpr12
	v_cmpx_ge_u32_e64 v43, v19
	s_wait_alu 0xfffe
	s_xor_b32 s3, exec_lo, s3
	s_cbranch_execz .LBB1736_141
; %bb.140:
	s_wait_dscnt 0x6
	v_xor_b32_e32 v11, 0xfffffdff, v0
                                        ; implicit-def: $vgpr43
	s_delay_alu instid0(VALU_DEP_1) | instskip(SKIP_2) | instid1(VALU_DEP_2)
	v_ashrrev_i32_e32 v12, 31, v11
	v_add_co_u32 v11, vcc_lo, v17, v11
	s_wait_alu 0xfffd
	v_add_co_ci_u32_e64 v12, null, v18, v12, vcc_lo
.LBB1736_141:
	s_wait_alu 0xfffe
	s_and_not1_saveexec_b32 s3, s3
	s_cbranch_execz .LBB1736_143
; %bb.142:
	s_wait_dscnt 0x6
	v_add_co_u32 v11, vcc_lo, v15, v43
	s_wait_alu 0xfffd
	v_add_co_ci_u32_e64 v12, null, 0, v16, vcc_lo
.LBB1736_143:
	s_wait_alu 0xfffe
	s_or_b32 exec_lo, exec_lo, s3
	s_wait_dscnt 0x6
	s_delay_alu instid0(VALU_DEP_1) | instskip(NEXT) | instid1(VALU_DEP_1)
	v_lshlrev_b64_e32 v[11:12], 2, v[11:12]
	v_add_co_u32 v11, vcc_lo, s10, v11
	s_wait_alu 0xfffd
	s_delay_alu instid0(VALU_DEP_2) | instskip(SKIP_3) | instid1(SALU_CYCLE_1)
	v_add_co_ci_u32_e64 v12, null, s11, v12, vcc_lo
	s_wait_dscnt 0x5
	global_store_b32 v[11:12], v9, off
	s_or_b32 exec_lo, exec_lo, s1
	s_mov_b32 s1, exec_lo
	v_cmpx_gt_u32_e64 s22, v42
	s_cbranch_execnz .LBB1736_175
.LBB1736_144:
	s_wait_alu 0xfffe
	s_or_b32 exec_lo, exec_lo, s1
	s_delay_alu instid0(SALU_CYCLE_1)
	s_mov_b32 s1, exec_lo
	v_cmpx_gt_u32_e64 s22, v41
	s_cbranch_execz .LBB1736_180
.LBB1736_145:
	s_mov_b32 s3, exec_lo
                                        ; implicit-def: $vgpr9_vgpr10
	v_cmpx_ge_u32_e64 v41, v19
	s_wait_alu 0xfffe
	s_xor_b32 s3, exec_lo, s3
	s_cbranch_execz .LBB1736_147
; %bb.146:
	s_wait_dscnt 0x5
	v_xor_b32_e32 v9, 0xfffffbff, v0
                                        ; implicit-def: $vgpr41
	s_delay_alu instid0(VALU_DEP_1) | instskip(SKIP_2) | instid1(VALU_DEP_2)
	v_ashrrev_i32_e32 v10, 31, v9
	v_add_co_u32 v9, vcc_lo, v17, v9
	s_wait_alu 0xfffd
	v_add_co_ci_u32_e64 v10, null, v18, v10, vcc_lo
.LBB1736_147:
	s_wait_alu 0xfffe
	s_and_not1_saveexec_b32 s3, s3
	s_cbranch_execz .LBB1736_149
; %bb.148:
	s_wait_dscnt 0x5
	v_add_co_u32 v9, vcc_lo, v15, v41
	s_wait_alu 0xfffd
	v_add_co_ci_u32_e64 v10, null, 0, v16, vcc_lo
.LBB1736_149:
	s_wait_alu 0xfffe
	s_or_b32 exec_lo, exec_lo, s3
	s_wait_dscnt 0x5
	s_delay_alu instid0(VALU_DEP_1) | instskip(NEXT) | instid1(VALU_DEP_1)
	v_lshlrev_b64_e32 v[9:10], 2, v[9:10]
	v_add_co_u32 v9, vcc_lo, s10, v9
	s_wait_alu 0xfffd
	s_delay_alu instid0(VALU_DEP_2) | instskip(SKIP_3) | instid1(SALU_CYCLE_1)
	v_add_co_ci_u32_e64 v10, null, s11, v10, vcc_lo
	s_wait_dscnt 0x4
	global_store_b32 v[9:10], v7, off
	s_or_b32 exec_lo, exec_lo, s1
	s_mov_b32 s1, exec_lo
	v_cmpx_gt_u32_e64 s22, v40
	s_cbranch_execnz .LBB1736_181
.LBB1736_150:
	s_wait_alu 0xfffe
	s_or_b32 exec_lo, exec_lo, s1
	s_delay_alu instid0(SALU_CYCLE_1)
	s_mov_b32 s1, exec_lo
	v_cmpx_gt_u32_e64 s22, v39
	s_cbranch_execz .LBB1736_186
.LBB1736_151:
	s_mov_b32 s3, exec_lo
                                        ; implicit-def: $vgpr7_vgpr8
	v_cmpx_ge_u32_e64 v39, v19
	s_wait_alu 0xfffe
	s_xor_b32 s3, exec_lo, s3
	s_cbranch_execz .LBB1736_153
; %bb.152:
	s_wait_dscnt 0x4
	v_xor_b32_e32 v7, 0xfffff9ff, v0
                                        ; implicit-def: $vgpr39
	s_delay_alu instid0(VALU_DEP_1) | instskip(SKIP_2) | instid1(VALU_DEP_2)
	v_ashrrev_i32_e32 v8, 31, v7
	v_add_co_u32 v7, vcc_lo, v17, v7
	s_wait_alu 0xfffd
	v_add_co_ci_u32_e64 v8, null, v18, v8, vcc_lo
.LBB1736_153:
	s_wait_alu 0xfffe
	s_and_not1_saveexec_b32 s3, s3
	s_cbranch_execz .LBB1736_155
; %bb.154:
	s_wait_dscnt 0x4
	v_add_co_u32 v7, vcc_lo, v15, v39
	s_wait_alu 0xfffd
	v_add_co_ci_u32_e64 v8, null, 0, v16, vcc_lo
.LBB1736_155:
	s_wait_alu 0xfffe
	s_or_b32 exec_lo, exec_lo, s3
	s_wait_dscnt 0x4
	s_delay_alu instid0(VALU_DEP_1) | instskip(NEXT) | instid1(VALU_DEP_1)
	v_lshlrev_b64_e32 v[7:8], 2, v[7:8]
	v_add_co_u32 v7, vcc_lo, s10, v7
	s_wait_alu 0xfffd
	s_delay_alu instid0(VALU_DEP_2) | instskip(SKIP_3) | instid1(SALU_CYCLE_1)
	v_add_co_ci_u32_e64 v8, null, s11, v8, vcc_lo
	s_wait_dscnt 0x3
	global_store_b32 v[7:8], v5, off
	s_or_b32 exec_lo, exec_lo, s1
	s_mov_b32 s1, exec_lo
	v_cmpx_gt_u32_e64 s22, v38
	s_cbranch_execnz .LBB1736_187
.LBB1736_156:
	s_wait_alu 0xfffe
	s_or_b32 exec_lo, exec_lo, s1
	s_delay_alu instid0(SALU_CYCLE_1)
	s_mov_b32 s1, exec_lo
	v_cmpx_gt_u32_e64 s22, v37
	s_cbranch_execz .LBB1736_192
.LBB1736_157:
	s_mov_b32 s3, exec_lo
                                        ; implicit-def: $vgpr5_vgpr6
	v_cmpx_ge_u32_e64 v37, v19
	s_wait_alu 0xfffe
	s_xor_b32 s3, exec_lo, s3
	s_cbranch_execz .LBB1736_159
; %bb.158:
	s_wait_dscnt 0x3
	v_xor_b32_e32 v5, 0xfffff7ff, v0
                                        ; implicit-def: $vgpr37
	s_delay_alu instid0(VALU_DEP_1) | instskip(SKIP_2) | instid1(VALU_DEP_2)
	v_ashrrev_i32_e32 v6, 31, v5
	v_add_co_u32 v5, vcc_lo, v17, v5
	s_wait_alu 0xfffd
	v_add_co_ci_u32_e64 v6, null, v18, v6, vcc_lo
.LBB1736_159:
	s_wait_alu 0xfffe
	s_and_not1_saveexec_b32 s3, s3
	s_cbranch_execz .LBB1736_161
; %bb.160:
	s_wait_dscnt 0x3
	v_add_co_u32 v5, vcc_lo, v15, v37
	s_wait_alu 0xfffd
	v_add_co_ci_u32_e64 v6, null, 0, v16, vcc_lo
.LBB1736_161:
	s_wait_alu 0xfffe
	s_or_b32 exec_lo, exec_lo, s3
	s_wait_dscnt 0x3
	s_delay_alu instid0(VALU_DEP_1) | instskip(NEXT) | instid1(VALU_DEP_1)
	v_lshlrev_b64_e32 v[5:6], 2, v[5:6]
	v_add_co_u32 v5, vcc_lo, s10, v5
	s_wait_alu 0xfffd
	s_delay_alu instid0(VALU_DEP_2) | instskip(SKIP_3) | instid1(SALU_CYCLE_1)
	v_add_co_ci_u32_e64 v6, null, s11, v6, vcc_lo
	s_wait_dscnt 0x2
	global_store_b32 v[5:6], v3, off
	s_or_b32 exec_lo, exec_lo, s1
	s_mov_b32 s1, exec_lo
	v_cmpx_gt_u32_e64 s22, v36
	s_cbranch_execnz .LBB1736_193
.LBB1736_162:
	s_wait_alu 0xfffe
	s_or_b32 exec_lo, exec_lo, s1
	s_delay_alu instid0(SALU_CYCLE_1)
	s_mov_b32 s1, exec_lo
	v_cmpx_gt_u32_e64 s22, v35
	s_cbranch_execz .LBB1736_198
.LBB1736_163:
	s_mov_b32 s3, exec_lo
                                        ; implicit-def: $vgpr3_vgpr4
	v_cmpx_ge_u32_e64 v35, v19
	s_wait_alu 0xfffe
	s_xor_b32 s3, exec_lo, s3
	s_cbranch_execz .LBB1736_165
; %bb.164:
	s_wait_dscnt 0x2
	v_xor_b32_e32 v3, 0xfffff5ff, v0
                                        ; implicit-def: $vgpr35
	s_delay_alu instid0(VALU_DEP_1) | instskip(SKIP_2) | instid1(VALU_DEP_2)
	v_ashrrev_i32_e32 v4, 31, v3
	v_add_co_u32 v3, vcc_lo, v17, v3
	s_wait_alu 0xfffd
	v_add_co_ci_u32_e64 v4, null, v18, v4, vcc_lo
.LBB1736_165:
	s_wait_alu 0xfffe
	s_and_not1_saveexec_b32 s3, s3
	s_cbranch_execz .LBB1736_167
; %bb.166:
	s_wait_dscnt 0x2
	v_add_co_u32 v3, vcc_lo, v15, v35
	s_wait_alu 0xfffd
	v_add_co_ci_u32_e64 v4, null, 0, v16, vcc_lo
.LBB1736_167:
	s_wait_alu 0xfffe
	s_or_b32 exec_lo, exec_lo, s3
	s_wait_dscnt 0x2
	s_delay_alu instid0(VALU_DEP_1) | instskip(NEXT) | instid1(VALU_DEP_1)
	v_lshlrev_b64_e32 v[3:4], 2, v[3:4]
	v_add_co_u32 v3, vcc_lo, s10, v3
	s_wait_alu 0xfffd
	s_delay_alu instid0(VALU_DEP_2) | instskip(SKIP_3) | instid1(SALU_CYCLE_1)
	v_add_co_ci_u32_e64 v4, null, s11, v4, vcc_lo
	s_wait_dscnt 0x1
	global_store_b32 v[3:4], v1, off
	s_or_b32 exec_lo, exec_lo, s1
	s_mov_b32 s1, exec_lo
	v_cmpx_gt_u32_e64 s22, v34
	s_cbranch_execz .LBB1736_204
	s_branch .LBB1736_199
.LBB1736_168:
	s_wait_alu 0xfffe
	s_or_b32 exec_lo, exec_lo, s1
	s_delay_alu instid0(SALU_CYCLE_1)
	s_mov_b32 s1, exec_lo
	v_cmpx_gt_u32_e64 s22, v44
	s_cbranch_execz .LBB1736_138
.LBB1736_169:
	s_mov_b32 s3, exec_lo
                                        ; implicit-def: $vgpr13_vgpr14
	v_cmpx_ge_u32_e64 v44, v19
	s_wait_alu 0xfffe
	s_xor_b32 s3, exec_lo, s3
	s_cbranch_execz .LBB1736_171
; %bb.170:
	s_wait_dscnt 0x6
	v_xor_b32_e32 v11, 0xfffffeff, v0
                                        ; implicit-def: $vgpr44
	s_delay_alu instid0(VALU_DEP_1) | instskip(SKIP_2) | instid1(VALU_DEP_2)
	v_ashrrev_i32_e32 v14, 31, v11
	v_add_co_u32 v13, vcc_lo, v17, v11
	s_wait_alu 0xfffd
	v_add_co_ci_u32_e64 v14, null, v18, v14, vcc_lo
.LBB1736_171:
	s_wait_alu 0xfffe
	s_and_not1_saveexec_b32 s3, s3
; %bb.172:
	v_add_co_u32 v13, vcc_lo, v15, v44
	s_wait_alu 0xfffd
	v_add_co_ci_u32_e64 v14, null, 0, v16, vcc_lo
; %bb.173:
	s_wait_alu 0xfffe
	s_or_b32 exec_lo, exec_lo, s3
	s_delay_alu instid0(VALU_DEP_1) | instskip(NEXT) | instid1(VALU_DEP_1)
	v_lshlrev_b64_e32 v[13:14], 2, v[13:14]
	v_add_co_u32 v13, vcc_lo, s10, v13
	s_wait_alu 0xfffd
	s_delay_alu instid0(VALU_DEP_2) | instskip(SKIP_3) | instid1(SALU_CYCLE_1)
	v_add_co_ci_u32_e64 v14, null, s11, v14, vcc_lo
	s_wait_dscnt 0x6
	global_store_b32 v[13:14], v12, off
	s_or_b32 exec_lo, exec_lo, s1
	s_mov_b32 s1, exec_lo
	v_cmpx_gt_u32_e64 s22, v43
	s_cbranch_execnz .LBB1736_139
.LBB1736_174:
	s_wait_alu 0xfffe
	s_or_b32 exec_lo, exec_lo, s1
	s_delay_alu instid0(SALU_CYCLE_1)
	s_mov_b32 s1, exec_lo
	v_cmpx_gt_u32_e64 s22, v42
	s_cbranch_execz .LBB1736_144
.LBB1736_175:
	s_mov_b32 s3, exec_lo
                                        ; implicit-def: $vgpr11_vgpr12
	v_cmpx_ge_u32_e64 v42, v19
	s_wait_alu 0xfffe
	s_xor_b32 s3, exec_lo, s3
	s_cbranch_execz .LBB1736_177
; %bb.176:
	s_wait_dscnt 0x5
	v_xor_b32_e32 v9, 0xfffffcff, v0
                                        ; implicit-def: $vgpr42
	s_delay_alu instid0(VALU_DEP_1) | instskip(SKIP_2) | instid1(VALU_DEP_2)
	v_ashrrev_i32_e32 v12, 31, v9
	v_add_co_u32 v11, vcc_lo, v17, v9
	s_wait_alu 0xfffd
	v_add_co_ci_u32_e64 v12, null, v18, v12, vcc_lo
.LBB1736_177:
	s_wait_alu 0xfffe
	s_and_not1_saveexec_b32 s3, s3
	s_cbranch_execz .LBB1736_179
; %bb.178:
	s_wait_dscnt 0x6
	v_add_co_u32 v11, vcc_lo, v15, v42
	s_wait_alu 0xfffd
	v_add_co_ci_u32_e64 v12, null, 0, v16, vcc_lo
.LBB1736_179:
	s_wait_alu 0xfffe
	s_or_b32 exec_lo, exec_lo, s3
	s_wait_dscnt 0x6
	s_delay_alu instid0(VALU_DEP_1) | instskip(NEXT) | instid1(VALU_DEP_1)
	v_lshlrev_b64_e32 v[11:12], 2, v[11:12]
	v_add_co_u32 v11, vcc_lo, s10, v11
	s_wait_alu 0xfffd
	s_delay_alu instid0(VALU_DEP_2) | instskip(SKIP_3) | instid1(SALU_CYCLE_1)
	v_add_co_ci_u32_e64 v12, null, s11, v12, vcc_lo
	s_wait_dscnt 0x5
	global_store_b32 v[11:12], v10, off
	s_or_b32 exec_lo, exec_lo, s1
	s_mov_b32 s1, exec_lo
	v_cmpx_gt_u32_e64 s22, v41
	s_cbranch_execnz .LBB1736_145
.LBB1736_180:
	s_wait_alu 0xfffe
	s_or_b32 exec_lo, exec_lo, s1
	s_delay_alu instid0(SALU_CYCLE_1)
	s_mov_b32 s1, exec_lo
	v_cmpx_gt_u32_e64 s22, v40
	s_cbranch_execz .LBB1736_150
.LBB1736_181:
	s_mov_b32 s3, exec_lo
                                        ; implicit-def: $vgpr9_vgpr10
	v_cmpx_ge_u32_e64 v40, v19
	s_wait_alu 0xfffe
	s_xor_b32 s3, exec_lo, s3
	s_cbranch_execz .LBB1736_183
; %bb.182:
	s_wait_dscnt 0x4
	v_xor_b32_e32 v7, 0xfffffaff, v0
                                        ; implicit-def: $vgpr40
	s_delay_alu instid0(VALU_DEP_1) | instskip(SKIP_2) | instid1(VALU_DEP_2)
	v_ashrrev_i32_e32 v10, 31, v7
	v_add_co_u32 v9, vcc_lo, v17, v7
	s_wait_alu 0xfffd
	v_add_co_ci_u32_e64 v10, null, v18, v10, vcc_lo
.LBB1736_183:
	s_wait_alu 0xfffe
	s_and_not1_saveexec_b32 s3, s3
	s_cbranch_execz .LBB1736_185
; %bb.184:
	s_wait_dscnt 0x5
	v_add_co_u32 v9, vcc_lo, v15, v40
	s_wait_alu 0xfffd
	v_add_co_ci_u32_e64 v10, null, 0, v16, vcc_lo
.LBB1736_185:
	s_wait_alu 0xfffe
	s_or_b32 exec_lo, exec_lo, s3
	s_wait_dscnt 0x5
	s_delay_alu instid0(VALU_DEP_1) | instskip(NEXT) | instid1(VALU_DEP_1)
	v_lshlrev_b64_e32 v[9:10], 2, v[9:10]
	v_add_co_u32 v9, vcc_lo, s10, v9
	s_wait_alu 0xfffd
	s_delay_alu instid0(VALU_DEP_2) | instskip(SKIP_3) | instid1(SALU_CYCLE_1)
	v_add_co_ci_u32_e64 v10, null, s11, v10, vcc_lo
	s_wait_dscnt 0x4
	global_store_b32 v[9:10], v8, off
	s_or_b32 exec_lo, exec_lo, s1
	s_mov_b32 s1, exec_lo
	v_cmpx_gt_u32_e64 s22, v39
	s_cbranch_execnz .LBB1736_151
.LBB1736_186:
	s_wait_alu 0xfffe
	s_or_b32 exec_lo, exec_lo, s1
	s_delay_alu instid0(SALU_CYCLE_1)
	s_mov_b32 s1, exec_lo
	v_cmpx_gt_u32_e64 s22, v38
	s_cbranch_execz .LBB1736_156
.LBB1736_187:
	s_mov_b32 s3, exec_lo
                                        ; implicit-def: $vgpr7_vgpr8
	v_cmpx_ge_u32_e64 v38, v19
	s_wait_alu 0xfffe
	s_xor_b32 s3, exec_lo, s3
	s_cbranch_execz .LBB1736_189
; %bb.188:
	s_wait_dscnt 0x3
	v_xor_b32_e32 v5, 0xfffff8ff, v0
                                        ; implicit-def: $vgpr38
	s_delay_alu instid0(VALU_DEP_1) | instskip(SKIP_2) | instid1(VALU_DEP_2)
	v_ashrrev_i32_e32 v8, 31, v5
	v_add_co_u32 v7, vcc_lo, v17, v5
	s_wait_alu 0xfffd
	v_add_co_ci_u32_e64 v8, null, v18, v8, vcc_lo
.LBB1736_189:
	s_wait_alu 0xfffe
	s_and_not1_saveexec_b32 s3, s3
	s_cbranch_execz .LBB1736_191
; %bb.190:
	s_wait_dscnt 0x4
	v_add_co_u32 v7, vcc_lo, v15, v38
	s_wait_alu 0xfffd
	v_add_co_ci_u32_e64 v8, null, 0, v16, vcc_lo
.LBB1736_191:
	s_wait_alu 0xfffe
	s_or_b32 exec_lo, exec_lo, s3
	s_wait_dscnt 0x4
	s_delay_alu instid0(VALU_DEP_1) | instskip(NEXT) | instid1(VALU_DEP_1)
	v_lshlrev_b64_e32 v[7:8], 2, v[7:8]
	v_add_co_u32 v7, vcc_lo, s10, v7
	s_wait_alu 0xfffd
	s_delay_alu instid0(VALU_DEP_2) | instskip(SKIP_3) | instid1(SALU_CYCLE_1)
	v_add_co_ci_u32_e64 v8, null, s11, v8, vcc_lo
	s_wait_dscnt 0x3
	global_store_b32 v[7:8], v6, off
	s_or_b32 exec_lo, exec_lo, s1
	s_mov_b32 s1, exec_lo
	v_cmpx_gt_u32_e64 s22, v37
	s_cbranch_execnz .LBB1736_157
.LBB1736_192:
	s_wait_alu 0xfffe
	s_or_b32 exec_lo, exec_lo, s1
	s_delay_alu instid0(SALU_CYCLE_1)
	s_mov_b32 s1, exec_lo
	v_cmpx_gt_u32_e64 s22, v36
	s_cbranch_execz .LBB1736_162
.LBB1736_193:
	s_mov_b32 s3, exec_lo
                                        ; implicit-def: $vgpr5_vgpr6
	v_cmpx_ge_u32_e64 v36, v19
	s_wait_alu 0xfffe
	s_xor_b32 s3, exec_lo, s3
	s_cbranch_execz .LBB1736_195
; %bb.194:
	s_wait_dscnt 0x2
	v_xor_b32_e32 v3, 0xfffff6ff, v0
                                        ; implicit-def: $vgpr36
	s_delay_alu instid0(VALU_DEP_1) | instskip(SKIP_2) | instid1(VALU_DEP_2)
	v_ashrrev_i32_e32 v6, 31, v3
	v_add_co_u32 v5, vcc_lo, v17, v3
	s_wait_alu 0xfffd
	v_add_co_ci_u32_e64 v6, null, v18, v6, vcc_lo
.LBB1736_195:
	s_wait_alu 0xfffe
	s_and_not1_saveexec_b32 s3, s3
	s_cbranch_execz .LBB1736_197
; %bb.196:
	s_wait_dscnt 0x3
	v_add_co_u32 v5, vcc_lo, v15, v36
	s_wait_alu 0xfffd
	v_add_co_ci_u32_e64 v6, null, 0, v16, vcc_lo
.LBB1736_197:
	s_wait_alu 0xfffe
	s_or_b32 exec_lo, exec_lo, s3
	s_wait_dscnt 0x3
	s_delay_alu instid0(VALU_DEP_1) | instskip(NEXT) | instid1(VALU_DEP_1)
	v_lshlrev_b64_e32 v[5:6], 2, v[5:6]
	v_add_co_u32 v5, vcc_lo, s10, v5
	s_wait_alu 0xfffd
	s_delay_alu instid0(VALU_DEP_2) | instskip(SKIP_3) | instid1(SALU_CYCLE_1)
	v_add_co_ci_u32_e64 v6, null, s11, v6, vcc_lo
	s_wait_dscnt 0x2
	global_store_b32 v[5:6], v4, off
	s_or_b32 exec_lo, exec_lo, s1
	s_mov_b32 s1, exec_lo
	v_cmpx_gt_u32_e64 s22, v35
	s_cbranch_execnz .LBB1736_163
.LBB1736_198:
	s_wait_alu 0xfffe
	s_or_b32 exec_lo, exec_lo, s1
	s_delay_alu instid0(SALU_CYCLE_1)
	s_mov_b32 s1, exec_lo
	v_cmpx_gt_u32_e64 s22, v34
	s_cbranch_execz .LBB1736_204
.LBB1736_199:
	s_mov_b32 s3, exec_lo
                                        ; implicit-def: $vgpr3_vgpr4
	v_cmpx_ge_u32_e64 v34, v19
	s_wait_alu 0xfffe
	s_xor_b32 s3, exec_lo, s3
	s_cbranch_execz .LBB1736_201
; %bb.200:
	s_wait_dscnt 0x1
	v_xor_b32_e32 v1, 0xfffff4ff, v0
                                        ; implicit-def: $vgpr34
	s_delay_alu instid0(VALU_DEP_1) | instskip(SKIP_2) | instid1(VALU_DEP_2)
	v_ashrrev_i32_e32 v4, 31, v1
	v_add_co_u32 v3, vcc_lo, v17, v1
	s_wait_alu 0xfffd
	v_add_co_ci_u32_e64 v4, null, v18, v4, vcc_lo
.LBB1736_201:
	s_wait_alu 0xfffe
	s_and_not1_saveexec_b32 s3, s3
	s_cbranch_execz .LBB1736_203
; %bb.202:
	s_wait_dscnt 0x2
	v_add_co_u32 v3, vcc_lo, v15, v34
	s_wait_alu 0xfffd
	v_add_co_ci_u32_e64 v4, null, 0, v16, vcc_lo
.LBB1736_203:
	s_wait_alu 0xfffe
	s_or_b32 exec_lo, exec_lo, s3
	s_wait_dscnt 0x2
	s_delay_alu instid0(VALU_DEP_1) | instskip(NEXT) | instid1(VALU_DEP_1)
	v_lshlrev_b64_e32 v[3:4], 2, v[3:4]
	v_add_co_u32 v3, vcc_lo, s10, v3
	s_wait_alu 0xfffd
	s_delay_alu instid0(VALU_DEP_2)
	v_add_co_ci_u32_e64 v4, null, s11, v4, vcc_lo
	s_wait_dscnt 0x1
	global_store_b32 v[3:4], v2, off
.LBB1736_204:
	s_wait_alu 0xfffe
	s_or_b32 exec_lo, exec_lo, s1
	s_delay_alu instid0(SALU_CYCLE_1)
	s_mov_b32 s1, exec_lo
                                        ; implicit-def: $vgpr13_vgpr14
	v_cmpx_gt_u32_e64 s22, v33
	s_cbranch_execz .LBB1736_210
; %bb.205:
	s_mov_b32 s3, exec_lo
                                        ; implicit-def: $vgpr13_vgpr14
	v_cmpx_ge_u32_e64 v33, v19
	s_wait_alu 0xfffe
	s_xor_b32 s3, exec_lo, s3
	s_cbranch_execz .LBB1736_207
; %bb.206:
	v_xor_b32_e32 v0, 0xfffff3ff, v0
                                        ; implicit-def: $vgpr33
	s_wait_dscnt 0x1
	s_delay_alu instid0(VALU_DEP_1) | instskip(SKIP_2) | instid1(VALU_DEP_2)
	v_ashrrev_i32_e32 v1, 31, v0
	v_add_co_u32 v13, vcc_lo, v17, v0
	s_wait_alu 0xfffd
	v_add_co_ci_u32_e64 v14, null, v18, v1, vcc_lo
.LBB1736_207:
	s_wait_alu 0xfffe
	s_and_not1_saveexec_b32 s3, s3
; %bb.208:
	v_add_co_u32 v13, vcc_lo, v15, v33
	s_wait_alu 0xfffd
	v_add_co_ci_u32_e64 v14, null, 0, v16, vcc_lo
; %bb.209:
	s_wait_alu 0xfffe
	s_or_b32 exec_lo, exec_lo, s3
	s_delay_alu instid0(SALU_CYCLE_1)
	s_or_b32 s0, s0, exec_lo
.LBB1736_210:
	s_wait_alu 0xfffe
	s_or_b32 exec_lo, exec_lo, s1
	s_and_saveexec_b32 s1, s0
	s_cbranch_execnz .LBB1736_129
.LBB1736_211:
	s_wait_alu 0xfffe
	s_or_b32 exec_lo, exec_lo, s1
	s_and_b32 s0, s2, s9
	s_wait_alu 0xfffe
	s_and_saveexec_b32 s1, s0
	s_cbranch_execz .LBB1736_130
.LBB1736_212:
	v_add_co_u32 v0, vcc_lo, v15, v19
	s_wait_dscnt 0x1
	v_mov_b32_e32 v2, 0
	s_wait_alu 0xfffd
	v_add_co_ci_u32_e64 v1, null, 0, v16, vcc_lo
	global_store_b64 v2, v[0:1], s[12:13]
	s_endpgm
	.section	.rodata,"a",@progbits
	.p2align	6, 0x0
	.amdhsa_kernel _ZN7rocprim17ROCPRIM_400000_NS6detail17trampoline_kernelINS0_13select_configILj256ELj13ELNS0_17block_load_methodE3ELS4_3ELS4_3ELNS0_20block_scan_algorithmE0ELj4294967295EEENS1_25partition_config_selectorILNS1_17partition_subalgoE3EjNS0_10empty_typeEbEEZZNS1_14partition_implILS8_3ELb0ES6_jNS0_17counting_iteratorIjlEEPS9_SE_NS0_5tupleIJPjSE_EEENSF_IJSE_SE_EEES9_SG_JZNS1_25segmented_radix_sort_implINS0_14default_configELb1EPK6__halfPSL_PKlPlN2at6native12_GLOBAL__N_18offset_tEEE10hipError_tPvRmT1_PNSt15iterator_traitsISZ_E10value_typeET2_T3_PNS10_IS15_E10value_typeET4_jRbjT5_S1B_jjP12ihipStream_tbEUljE_EEESW_SX_SY_S15_S19_S1B_T6_T7_T9_mT8_S1D_bDpT10_ENKUlT_T0_E_clISt17integral_constantIbLb0EES1P_IbLb1EEEEDaS1L_S1M_EUlS1L_E_NS1_11comp_targetILNS1_3genE10ELNS1_11target_archE1200ELNS1_3gpuE4ELNS1_3repE0EEENS1_30default_config_static_selectorELNS0_4arch9wavefront6targetE0EEEvSZ_
		.amdhsa_group_segment_fixed_size 13320
		.amdhsa_private_segment_fixed_size 0
		.amdhsa_kernarg_size 152
		.amdhsa_user_sgpr_count 2
		.amdhsa_user_sgpr_dispatch_ptr 0
		.amdhsa_user_sgpr_queue_ptr 0
		.amdhsa_user_sgpr_kernarg_segment_ptr 1
		.amdhsa_user_sgpr_dispatch_id 0
		.amdhsa_user_sgpr_private_segment_size 0
		.amdhsa_wavefront_size32 1
		.amdhsa_uses_dynamic_stack 0
		.amdhsa_enable_private_segment 0
		.amdhsa_system_sgpr_workgroup_id_x 1
		.amdhsa_system_sgpr_workgroup_id_y 0
		.amdhsa_system_sgpr_workgroup_id_z 0
		.amdhsa_system_sgpr_workgroup_info 0
		.amdhsa_system_vgpr_workitem_id 0
		.amdhsa_next_free_vgpr 71
		.amdhsa_next_free_sgpr 26
		.amdhsa_reserve_vcc 1
		.amdhsa_float_round_mode_32 0
		.amdhsa_float_round_mode_16_64 0
		.amdhsa_float_denorm_mode_32 3
		.amdhsa_float_denorm_mode_16_64 3
		.amdhsa_fp16_overflow 0
		.amdhsa_workgroup_processor_mode 1
		.amdhsa_memory_ordered 1
		.amdhsa_forward_progress 1
		.amdhsa_inst_pref_size 86
		.amdhsa_round_robin_scheduling 0
		.amdhsa_exception_fp_ieee_invalid_op 0
		.amdhsa_exception_fp_denorm_src 0
		.amdhsa_exception_fp_ieee_div_zero 0
		.amdhsa_exception_fp_ieee_overflow 0
		.amdhsa_exception_fp_ieee_underflow 0
		.amdhsa_exception_fp_ieee_inexact 0
		.amdhsa_exception_int_div_zero 0
	.end_amdhsa_kernel
	.section	.text._ZN7rocprim17ROCPRIM_400000_NS6detail17trampoline_kernelINS0_13select_configILj256ELj13ELNS0_17block_load_methodE3ELS4_3ELS4_3ELNS0_20block_scan_algorithmE0ELj4294967295EEENS1_25partition_config_selectorILNS1_17partition_subalgoE3EjNS0_10empty_typeEbEEZZNS1_14partition_implILS8_3ELb0ES6_jNS0_17counting_iteratorIjlEEPS9_SE_NS0_5tupleIJPjSE_EEENSF_IJSE_SE_EEES9_SG_JZNS1_25segmented_radix_sort_implINS0_14default_configELb1EPK6__halfPSL_PKlPlN2at6native12_GLOBAL__N_18offset_tEEE10hipError_tPvRmT1_PNSt15iterator_traitsISZ_E10value_typeET2_T3_PNS10_IS15_E10value_typeET4_jRbjT5_S1B_jjP12ihipStream_tbEUljE_EEESW_SX_SY_S15_S19_S1B_T6_T7_T9_mT8_S1D_bDpT10_ENKUlT_T0_E_clISt17integral_constantIbLb0EES1P_IbLb1EEEEDaS1L_S1M_EUlS1L_E_NS1_11comp_targetILNS1_3genE10ELNS1_11target_archE1200ELNS1_3gpuE4ELNS1_3repE0EEENS1_30default_config_static_selectorELNS0_4arch9wavefront6targetE0EEEvSZ_,"axG",@progbits,_ZN7rocprim17ROCPRIM_400000_NS6detail17trampoline_kernelINS0_13select_configILj256ELj13ELNS0_17block_load_methodE3ELS4_3ELS4_3ELNS0_20block_scan_algorithmE0ELj4294967295EEENS1_25partition_config_selectorILNS1_17partition_subalgoE3EjNS0_10empty_typeEbEEZZNS1_14partition_implILS8_3ELb0ES6_jNS0_17counting_iteratorIjlEEPS9_SE_NS0_5tupleIJPjSE_EEENSF_IJSE_SE_EEES9_SG_JZNS1_25segmented_radix_sort_implINS0_14default_configELb1EPK6__halfPSL_PKlPlN2at6native12_GLOBAL__N_18offset_tEEE10hipError_tPvRmT1_PNSt15iterator_traitsISZ_E10value_typeET2_T3_PNS10_IS15_E10value_typeET4_jRbjT5_S1B_jjP12ihipStream_tbEUljE_EEESW_SX_SY_S15_S19_S1B_T6_T7_T9_mT8_S1D_bDpT10_ENKUlT_T0_E_clISt17integral_constantIbLb0EES1P_IbLb1EEEEDaS1L_S1M_EUlS1L_E_NS1_11comp_targetILNS1_3genE10ELNS1_11target_archE1200ELNS1_3gpuE4ELNS1_3repE0EEENS1_30default_config_static_selectorELNS0_4arch9wavefront6targetE0EEEvSZ_,comdat
.Lfunc_end1736:
	.size	_ZN7rocprim17ROCPRIM_400000_NS6detail17trampoline_kernelINS0_13select_configILj256ELj13ELNS0_17block_load_methodE3ELS4_3ELS4_3ELNS0_20block_scan_algorithmE0ELj4294967295EEENS1_25partition_config_selectorILNS1_17partition_subalgoE3EjNS0_10empty_typeEbEEZZNS1_14partition_implILS8_3ELb0ES6_jNS0_17counting_iteratorIjlEEPS9_SE_NS0_5tupleIJPjSE_EEENSF_IJSE_SE_EEES9_SG_JZNS1_25segmented_radix_sort_implINS0_14default_configELb1EPK6__halfPSL_PKlPlN2at6native12_GLOBAL__N_18offset_tEEE10hipError_tPvRmT1_PNSt15iterator_traitsISZ_E10value_typeET2_T3_PNS10_IS15_E10value_typeET4_jRbjT5_S1B_jjP12ihipStream_tbEUljE_EEESW_SX_SY_S15_S19_S1B_T6_T7_T9_mT8_S1D_bDpT10_ENKUlT_T0_E_clISt17integral_constantIbLb0EES1P_IbLb1EEEEDaS1L_S1M_EUlS1L_E_NS1_11comp_targetILNS1_3genE10ELNS1_11target_archE1200ELNS1_3gpuE4ELNS1_3repE0EEENS1_30default_config_static_selectorELNS0_4arch9wavefront6targetE0EEEvSZ_, .Lfunc_end1736-_ZN7rocprim17ROCPRIM_400000_NS6detail17trampoline_kernelINS0_13select_configILj256ELj13ELNS0_17block_load_methodE3ELS4_3ELS4_3ELNS0_20block_scan_algorithmE0ELj4294967295EEENS1_25partition_config_selectorILNS1_17partition_subalgoE3EjNS0_10empty_typeEbEEZZNS1_14partition_implILS8_3ELb0ES6_jNS0_17counting_iteratorIjlEEPS9_SE_NS0_5tupleIJPjSE_EEENSF_IJSE_SE_EEES9_SG_JZNS1_25segmented_radix_sort_implINS0_14default_configELb1EPK6__halfPSL_PKlPlN2at6native12_GLOBAL__N_18offset_tEEE10hipError_tPvRmT1_PNSt15iterator_traitsISZ_E10value_typeET2_T3_PNS10_IS15_E10value_typeET4_jRbjT5_S1B_jjP12ihipStream_tbEUljE_EEESW_SX_SY_S15_S19_S1B_T6_T7_T9_mT8_S1D_bDpT10_ENKUlT_T0_E_clISt17integral_constantIbLb0EES1P_IbLb1EEEEDaS1L_S1M_EUlS1L_E_NS1_11comp_targetILNS1_3genE10ELNS1_11target_archE1200ELNS1_3gpuE4ELNS1_3repE0EEENS1_30default_config_static_selectorELNS0_4arch9wavefront6targetE0EEEvSZ_
                                        ; -- End function
	.set _ZN7rocprim17ROCPRIM_400000_NS6detail17trampoline_kernelINS0_13select_configILj256ELj13ELNS0_17block_load_methodE3ELS4_3ELS4_3ELNS0_20block_scan_algorithmE0ELj4294967295EEENS1_25partition_config_selectorILNS1_17partition_subalgoE3EjNS0_10empty_typeEbEEZZNS1_14partition_implILS8_3ELb0ES6_jNS0_17counting_iteratorIjlEEPS9_SE_NS0_5tupleIJPjSE_EEENSF_IJSE_SE_EEES9_SG_JZNS1_25segmented_radix_sort_implINS0_14default_configELb1EPK6__halfPSL_PKlPlN2at6native12_GLOBAL__N_18offset_tEEE10hipError_tPvRmT1_PNSt15iterator_traitsISZ_E10value_typeET2_T3_PNS10_IS15_E10value_typeET4_jRbjT5_S1B_jjP12ihipStream_tbEUljE_EEESW_SX_SY_S15_S19_S1B_T6_T7_T9_mT8_S1D_bDpT10_ENKUlT_T0_E_clISt17integral_constantIbLb0EES1P_IbLb1EEEEDaS1L_S1M_EUlS1L_E_NS1_11comp_targetILNS1_3genE10ELNS1_11target_archE1200ELNS1_3gpuE4ELNS1_3repE0EEENS1_30default_config_static_selectorELNS0_4arch9wavefront6targetE0EEEvSZ_.num_vgpr, 71
	.set _ZN7rocprim17ROCPRIM_400000_NS6detail17trampoline_kernelINS0_13select_configILj256ELj13ELNS0_17block_load_methodE3ELS4_3ELS4_3ELNS0_20block_scan_algorithmE0ELj4294967295EEENS1_25partition_config_selectorILNS1_17partition_subalgoE3EjNS0_10empty_typeEbEEZZNS1_14partition_implILS8_3ELb0ES6_jNS0_17counting_iteratorIjlEEPS9_SE_NS0_5tupleIJPjSE_EEENSF_IJSE_SE_EEES9_SG_JZNS1_25segmented_radix_sort_implINS0_14default_configELb1EPK6__halfPSL_PKlPlN2at6native12_GLOBAL__N_18offset_tEEE10hipError_tPvRmT1_PNSt15iterator_traitsISZ_E10value_typeET2_T3_PNS10_IS15_E10value_typeET4_jRbjT5_S1B_jjP12ihipStream_tbEUljE_EEESW_SX_SY_S15_S19_S1B_T6_T7_T9_mT8_S1D_bDpT10_ENKUlT_T0_E_clISt17integral_constantIbLb0EES1P_IbLb1EEEEDaS1L_S1M_EUlS1L_E_NS1_11comp_targetILNS1_3genE10ELNS1_11target_archE1200ELNS1_3gpuE4ELNS1_3repE0EEENS1_30default_config_static_selectorELNS0_4arch9wavefront6targetE0EEEvSZ_.num_agpr, 0
	.set _ZN7rocprim17ROCPRIM_400000_NS6detail17trampoline_kernelINS0_13select_configILj256ELj13ELNS0_17block_load_methodE3ELS4_3ELS4_3ELNS0_20block_scan_algorithmE0ELj4294967295EEENS1_25partition_config_selectorILNS1_17partition_subalgoE3EjNS0_10empty_typeEbEEZZNS1_14partition_implILS8_3ELb0ES6_jNS0_17counting_iteratorIjlEEPS9_SE_NS0_5tupleIJPjSE_EEENSF_IJSE_SE_EEES9_SG_JZNS1_25segmented_radix_sort_implINS0_14default_configELb1EPK6__halfPSL_PKlPlN2at6native12_GLOBAL__N_18offset_tEEE10hipError_tPvRmT1_PNSt15iterator_traitsISZ_E10value_typeET2_T3_PNS10_IS15_E10value_typeET4_jRbjT5_S1B_jjP12ihipStream_tbEUljE_EEESW_SX_SY_S15_S19_S1B_T6_T7_T9_mT8_S1D_bDpT10_ENKUlT_T0_E_clISt17integral_constantIbLb0EES1P_IbLb1EEEEDaS1L_S1M_EUlS1L_E_NS1_11comp_targetILNS1_3genE10ELNS1_11target_archE1200ELNS1_3gpuE4ELNS1_3repE0EEENS1_30default_config_static_selectorELNS0_4arch9wavefront6targetE0EEEvSZ_.numbered_sgpr, 26
	.set _ZN7rocprim17ROCPRIM_400000_NS6detail17trampoline_kernelINS0_13select_configILj256ELj13ELNS0_17block_load_methodE3ELS4_3ELS4_3ELNS0_20block_scan_algorithmE0ELj4294967295EEENS1_25partition_config_selectorILNS1_17partition_subalgoE3EjNS0_10empty_typeEbEEZZNS1_14partition_implILS8_3ELb0ES6_jNS0_17counting_iteratorIjlEEPS9_SE_NS0_5tupleIJPjSE_EEENSF_IJSE_SE_EEES9_SG_JZNS1_25segmented_radix_sort_implINS0_14default_configELb1EPK6__halfPSL_PKlPlN2at6native12_GLOBAL__N_18offset_tEEE10hipError_tPvRmT1_PNSt15iterator_traitsISZ_E10value_typeET2_T3_PNS10_IS15_E10value_typeET4_jRbjT5_S1B_jjP12ihipStream_tbEUljE_EEESW_SX_SY_S15_S19_S1B_T6_T7_T9_mT8_S1D_bDpT10_ENKUlT_T0_E_clISt17integral_constantIbLb0EES1P_IbLb1EEEEDaS1L_S1M_EUlS1L_E_NS1_11comp_targetILNS1_3genE10ELNS1_11target_archE1200ELNS1_3gpuE4ELNS1_3repE0EEENS1_30default_config_static_selectorELNS0_4arch9wavefront6targetE0EEEvSZ_.num_named_barrier, 0
	.set _ZN7rocprim17ROCPRIM_400000_NS6detail17trampoline_kernelINS0_13select_configILj256ELj13ELNS0_17block_load_methodE3ELS4_3ELS4_3ELNS0_20block_scan_algorithmE0ELj4294967295EEENS1_25partition_config_selectorILNS1_17partition_subalgoE3EjNS0_10empty_typeEbEEZZNS1_14partition_implILS8_3ELb0ES6_jNS0_17counting_iteratorIjlEEPS9_SE_NS0_5tupleIJPjSE_EEENSF_IJSE_SE_EEES9_SG_JZNS1_25segmented_radix_sort_implINS0_14default_configELb1EPK6__halfPSL_PKlPlN2at6native12_GLOBAL__N_18offset_tEEE10hipError_tPvRmT1_PNSt15iterator_traitsISZ_E10value_typeET2_T3_PNS10_IS15_E10value_typeET4_jRbjT5_S1B_jjP12ihipStream_tbEUljE_EEESW_SX_SY_S15_S19_S1B_T6_T7_T9_mT8_S1D_bDpT10_ENKUlT_T0_E_clISt17integral_constantIbLb0EES1P_IbLb1EEEEDaS1L_S1M_EUlS1L_E_NS1_11comp_targetILNS1_3genE10ELNS1_11target_archE1200ELNS1_3gpuE4ELNS1_3repE0EEENS1_30default_config_static_selectorELNS0_4arch9wavefront6targetE0EEEvSZ_.private_seg_size, 0
	.set _ZN7rocprim17ROCPRIM_400000_NS6detail17trampoline_kernelINS0_13select_configILj256ELj13ELNS0_17block_load_methodE3ELS4_3ELS4_3ELNS0_20block_scan_algorithmE0ELj4294967295EEENS1_25partition_config_selectorILNS1_17partition_subalgoE3EjNS0_10empty_typeEbEEZZNS1_14partition_implILS8_3ELb0ES6_jNS0_17counting_iteratorIjlEEPS9_SE_NS0_5tupleIJPjSE_EEENSF_IJSE_SE_EEES9_SG_JZNS1_25segmented_radix_sort_implINS0_14default_configELb1EPK6__halfPSL_PKlPlN2at6native12_GLOBAL__N_18offset_tEEE10hipError_tPvRmT1_PNSt15iterator_traitsISZ_E10value_typeET2_T3_PNS10_IS15_E10value_typeET4_jRbjT5_S1B_jjP12ihipStream_tbEUljE_EEESW_SX_SY_S15_S19_S1B_T6_T7_T9_mT8_S1D_bDpT10_ENKUlT_T0_E_clISt17integral_constantIbLb0EES1P_IbLb1EEEEDaS1L_S1M_EUlS1L_E_NS1_11comp_targetILNS1_3genE10ELNS1_11target_archE1200ELNS1_3gpuE4ELNS1_3repE0EEENS1_30default_config_static_selectorELNS0_4arch9wavefront6targetE0EEEvSZ_.uses_vcc, 1
	.set _ZN7rocprim17ROCPRIM_400000_NS6detail17trampoline_kernelINS0_13select_configILj256ELj13ELNS0_17block_load_methodE3ELS4_3ELS4_3ELNS0_20block_scan_algorithmE0ELj4294967295EEENS1_25partition_config_selectorILNS1_17partition_subalgoE3EjNS0_10empty_typeEbEEZZNS1_14partition_implILS8_3ELb0ES6_jNS0_17counting_iteratorIjlEEPS9_SE_NS0_5tupleIJPjSE_EEENSF_IJSE_SE_EEES9_SG_JZNS1_25segmented_radix_sort_implINS0_14default_configELb1EPK6__halfPSL_PKlPlN2at6native12_GLOBAL__N_18offset_tEEE10hipError_tPvRmT1_PNSt15iterator_traitsISZ_E10value_typeET2_T3_PNS10_IS15_E10value_typeET4_jRbjT5_S1B_jjP12ihipStream_tbEUljE_EEESW_SX_SY_S15_S19_S1B_T6_T7_T9_mT8_S1D_bDpT10_ENKUlT_T0_E_clISt17integral_constantIbLb0EES1P_IbLb1EEEEDaS1L_S1M_EUlS1L_E_NS1_11comp_targetILNS1_3genE10ELNS1_11target_archE1200ELNS1_3gpuE4ELNS1_3repE0EEENS1_30default_config_static_selectorELNS0_4arch9wavefront6targetE0EEEvSZ_.uses_flat_scratch, 0
	.set _ZN7rocprim17ROCPRIM_400000_NS6detail17trampoline_kernelINS0_13select_configILj256ELj13ELNS0_17block_load_methodE3ELS4_3ELS4_3ELNS0_20block_scan_algorithmE0ELj4294967295EEENS1_25partition_config_selectorILNS1_17partition_subalgoE3EjNS0_10empty_typeEbEEZZNS1_14partition_implILS8_3ELb0ES6_jNS0_17counting_iteratorIjlEEPS9_SE_NS0_5tupleIJPjSE_EEENSF_IJSE_SE_EEES9_SG_JZNS1_25segmented_radix_sort_implINS0_14default_configELb1EPK6__halfPSL_PKlPlN2at6native12_GLOBAL__N_18offset_tEEE10hipError_tPvRmT1_PNSt15iterator_traitsISZ_E10value_typeET2_T3_PNS10_IS15_E10value_typeET4_jRbjT5_S1B_jjP12ihipStream_tbEUljE_EEESW_SX_SY_S15_S19_S1B_T6_T7_T9_mT8_S1D_bDpT10_ENKUlT_T0_E_clISt17integral_constantIbLb0EES1P_IbLb1EEEEDaS1L_S1M_EUlS1L_E_NS1_11comp_targetILNS1_3genE10ELNS1_11target_archE1200ELNS1_3gpuE4ELNS1_3repE0EEENS1_30default_config_static_selectorELNS0_4arch9wavefront6targetE0EEEvSZ_.has_dyn_sized_stack, 0
	.set _ZN7rocprim17ROCPRIM_400000_NS6detail17trampoline_kernelINS0_13select_configILj256ELj13ELNS0_17block_load_methodE3ELS4_3ELS4_3ELNS0_20block_scan_algorithmE0ELj4294967295EEENS1_25partition_config_selectorILNS1_17partition_subalgoE3EjNS0_10empty_typeEbEEZZNS1_14partition_implILS8_3ELb0ES6_jNS0_17counting_iteratorIjlEEPS9_SE_NS0_5tupleIJPjSE_EEENSF_IJSE_SE_EEES9_SG_JZNS1_25segmented_radix_sort_implINS0_14default_configELb1EPK6__halfPSL_PKlPlN2at6native12_GLOBAL__N_18offset_tEEE10hipError_tPvRmT1_PNSt15iterator_traitsISZ_E10value_typeET2_T3_PNS10_IS15_E10value_typeET4_jRbjT5_S1B_jjP12ihipStream_tbEUljE_EEESW_SX_SY_S15_S19_S1B_T6_T7_T9_mT8_S1D_bDpT10_ENKUlT_T0_E_clISt17integral_constantIbLb0EES1P_IbLb1EEEEDaS1L_S1M_EUlS1L_E_NS1_11comp_targetILNS1_3genE10ELNS1_11target_archE1200ELNS1_3gpuE4ELNS1_3repE0EEENS1_30default_config_static_selectorELNS0_4arch9wavefront6targetE0EEEvSZ_.has_recursion, 0
	.set _ZN7rocprim17ROCPRIM_400000_NS6detail17trampoline_kernelINS0_13select_configILj256ELj13ELNS0_17block_load_methodE3ELS4_3ELS4_3ELNS0_20block_scan_algorithmE0ELj4294967295EEENS1_25partition_config_selectorILNS1_17partition_subalgoE3EjNS0_10empty_typeEbEEZZNS1_14partition_implILS8_3ELb0ES6_jNS0_17counting_iteratorIjlEEPS9_SE_NS0_5tupleIJPjSE_EEENSF_IJSE_SE_EEES9_SG_JZNS1_25segmented_radix_sort_implINS0_14default_configELb1EPK6__halfPSL_PKlPlN2at6native12_GLOBAL__N_18offset_tEEE10hipError_tPvRmT1_PNSt15iterator_traitsISZ_E10value_typeET2_T3_PNS10_IS15_E10value_typeET4_jRbjT5_S1B_jjP12ihipStream_tbEUljE_EEESW_SX_SY_S15_S19_S1B_T6_T7_T9_mT8_S1D_bDpT10_ENKUlT_T0_E_clISt17integral_constantIbLb0EES1P_IbLb1EEEEDaS1L_S1M_EUlS1L_E_NS1_11comp_targetILNS1_3genE10ELNS1_11target_archE1200ELNS1_3gpuE4ELNS1_3repE0EEENS1_30default_config_static_selectorELNS0_4arch9wavefront6targetE0EEEvSZ_.has_indirect_call, 0
	.section	.AMDGPU.csdata,"",@progbits
; Kernel info:
; codeLenInByte = 10900
; TotalNumSgprs: 28
; NumVgprs: 71
; ScratchSize: 0
; MemoryBound: 0
; FloatMode: 240
; IeeeMode: 1
; LDSByteSize: 13320 bytes/workgroup (compile time only)
; SGPRBlocks: 0
; VGPRBlocks: 8
; NumSGPRsForWavesPerEU: 28
; NumVGPRsForWavesPerEU: 71
; Occupancy: 16
; WaveLimiterHint : 0
; COMPUTE_PGM_RSRC2:SCRATCH_EN: 0
; COMPUTE_PGM_RSRC2:USER_SGPR: 2
; COMPUTE_PGM_RSRC2:TRAP_HANDLER: 0
; COMPUTE_PGM_RSRC2:TGID_X_EN: 1
; COMPUTE_PGM_RSRC2:TGID_Y_EN: 0
; COMPUTE_PGM_RSRC2:TGID_Z_EN: 0
; COMPUTE_PGM_RSRC2:TIDIG_COMP_CNT: 0
	.section	.text._ZN7rocprim17ROCPRIM_400000_NS6detail17trampoline_kernelINS0_13select_configILj256ELj13ELNS0_17block_load_methodE3ELS4_3ELS4_3ELNS0_20block_scan_algorithmE0ELj4294967295EEENS1_25partition_config_selectorILNS1_17partition_subalgoE3EjNS0_10empty_typeEbEEZZNS1_14partition_implILS8_3ELb0ES6_jNS0_17counting_iteratorIjlEEPS9_SE_NS0_5tupleIJPjSE_EEENSF_IJSE_SE_EEES9_SG_JZNS1_25segmented_radix_sort_implINS0_14default_configELb1EPK6__halfPSL_PKlPlN2at6native12_GLOBAL__N_18offset_tEEE10hipError_tPvRmT1_PNSt15iterator_traitsISZ_E10value_typeET2_T3_PNS10_IS15_E10value_typeET4_jRbjT5_S1B_jjP12ihipStream_tbEUljE_EEESW_SX_SY_S15_S19_S1B_T6_T7_T9_mT8_S1D_bDpT10_ENKUlT_T0_E_clISt17integral_constantIbLb0EES1P_IbLb1EEEEDaS1L_S1M_EUlS1L_E_NS1_11comp_targetILNS1_3genE9ELNS1_11target_archE1100ELNS1_3gpuE3ELNS1_3repE0EEENS1_30default_config_static_selectorELNS0_4arch9wavefront6targetE0EEEvSZ_,"axG",@progbits,_ZN7rocprim17ROCPRIM_400000_NS6detail17trampoline_kernelINS0_13select_configILj256ELj13ELNS0_17block_load_methodE3ELS4_3ELS4_3ELNS0_20block_scan_algorithmE0ELj4294967295EEENS1_25partition_config_selectorILNS1_17partition_subalgoE3EjNS0_10empty_typeEbEEZZNS1_14partition_implILS8_3ELb0ES6_jNS0_17counting_iteratorIjlEEPS9_SE_NS0_5tupleIJPjSE_EEENSF_IJSE_SE_EEES9_SG_JZNS1_25segmented_radix_sort_implINS0_14default_configELb1EPK6__halfPSL_PKlPlN2at6native12_GLOBAL__N_18offset_tEEE10hipError_tPvRmT1_PNSt15iterator_traitsISZ_E10value_typeET2_T3_PNS10_IS15_E10value_typeET4_jRbjT5_S1B_jjP12ihipStream_tbEUljE_EEESW_SX_SY_S15_S19_S1B_T6_T7_T9_mT8_S1D_bDpT10_ENKUlT_T0_E_clISt17integral_constantIbLb0EES1P_IbLb1EEEEDaS1L_S1M_EUlS1L_E_NS1_11comp_targetILNS1_3genE9ELNS1_11target_archE1100ELNS1_3gpuE3ELNS1_3repE0EEENS1_30default_config_static_selectorELNS0_4arch9wavefront6targetE0EEEvSZ_,comdat
	.globl	_ZN7rocprim17ROCPRIM_400000_NS6detail17trampoline_kernelINS0_13select_configILj256ELj13ELNS0_17block_load_methodE3ELS4_3ELS4_3ELNS0_20block_scan_algorithmE0ELj4294967295EEENS1_25partition_config_selectorILNS1_17partition_subalgoE3EjNS0_10empty_typeEbEEZZNS1_14partition_implILS8_3ELb0ES6_jNS0_17counting_iteratorIjlEEPS9_SE_NS0_5tupleIJPjSE_EEENSF_IJSE_SE_EEES9_SG_JZNS1_25segmented_radix_sort_implINS0_14default_configELb1EPK6__halfPSL_PKlPlN2at6native12_GLOBAL__N_18offset_tEEE10hipError_tPvRmT1_PNSt15iterator_traitsISZ_E10value_typeET2_T3_PNS10_IS15_E10value_typeET4_jRbjT5_S1B_jjP12ihipStream_tbEUljE_EEESW_SX_SY_S15_S19_S1B_T6_T7_T9_mT8_S1D_bDpT10_ENKUlT_T0_E_clISt17integral_constantIbLb0EES1P_IbLb1EEEEDaS1L_S1M_EUlS1L_E_NS1_11comp_targetILNS1_3genE9ELNS1_11target_archE1100ELNS1_3gpuE3ELNS1_3repE0EEENS1_30default_config_static_selectorELNS0_4arch9wavefront6targetE0EEEvSZ_ ; -- Begin function _ZN7rocprim17ROCPRIM_400000_NS6detail17trampoline_kernelINS0_13select_configILj256ELj13ELNS0_17block_load_methodE3ELS4_3ELS4_3ELNS0_20block_scan_algorithmE0ELj4294967295EEENS1_25partition_config_selectorILNS1_17partition_subalgoE3EjNS0_10empty_typeEbEEZZNS1_14partition_implILS8_3ELb0ES6_jNS0_17counting_iteratorIjlEEPS9_SE_NS0_5tupleIJPjSE_EEENSF_IJSE_SE_EEES9_SG_JZNS1_25segmented_radix_sort_implINS0_14default_configELb1EPK6__halfPSL_PKlPlN2at6native12_GLOBAL__N_18offset_tEEE10hipError_tPvRmT1_PNSt15iterator_traitsISZ_E10value_typeET2_T3_PNS10_IS15_E10value_typeET4_jRbjT5_S1B_jjP12ihipStream_tbEUljE_EEESW_SX_SY_S15_S19_S1B_T6_T7_T9_mT8_S1D_bDpT10_ENKUlT_T0_E_clISt17integral_constantIbLb0EES1P_IbLb1EEEEDaS1L_S1M_EUlS1L_E_NS1_11comp_targetILNS1_3genE9ELNS1_11target_archE1100ELNS1_3gpuE3ELNS1_3repE0EEENS1_30default_config_static_selectorELNS0_4arch9wavefront6targetE0EEEvSZ_
	.p2align	8
	.type	_ZN7rocprim17ROCPRIM_400000_NS6detail17trampoline_kernelINS0_13select_configILj256ELj13ELNS0_17block_load_methodE3ELS4_3ELS4_3ELNS0_20block_scan_algorithmE0ELj4294967295EEENS1_25partition_config_selectorILNS1_17partition_subalgoE3EjNS0_10empty_typeEbEEZZNS1_14partition_implILS8_3ELb0ES6_jNS0_17counting_iteratorIjlEEPS9_SE_NS0_5tupleIJPjSE_EEENSF_IJSE_SE_EEES9_SG_JZNS1_25segmented_radix_sort_implINS0_14default_configELb1EPK6__halfPSL_PKlPlN2at6native12_GLOBAL__N_18offset_tEEE10hipError_tPvRmT1_PNSt15iterator_traitsISZ_E10value_typeET2_T3_PNS10_IS15_E10value_typeET4_jRbjT5_S1B_jjP12ihipStream_tbEUljE_EEESW_SX_SY_S15_S19_S1B_T6_T7_T9_mT8_S1D_bDpT10_ENKUlT_T0_E_clISt17integral_constantIbLb0EES1P_IbLb1EEEEDaS1L_S1M_EUlS1L_E_NS1_11comp_targetILNS1_3genE9ELNS1_11target_archE1100ELNS1_3gpuE3ELNS1_3repE0EEENS1_30default_config_static_selectorELNS0_4arch9wavefront6targetE0EEEvSZ_,@function
_ZN7rocprim17ROCPRIM_400000_NS6detail17trampoline_kernelINS0_13select_configILj256ELj13ELNS0_17block_load_methodE3ELS4_3ELS4_3ELNS0_20block_scan_algorithmE0ELj4294967295EEENS1_25partition_config_selectorILNS1_17partition_subalgoE3EjNS0_10empty_typeEbEEZZNS1_14partition_implILS8_3ELb0ES6_jNS0_17counting_iteratorIjlEEPS9_SE_NS0_5tupleIJPjSE_EEENSF_IJSE_SE_EEES9_SG_JZNS1_25segmented_radix_sort_implINS0_14default_configELb1EPK6__halfPSL_PKlPlN2at6native12_GLOBAL__N_18offset_tEEE10hipError_tPvRmT1_PNSt15iterator_traitsISZ_E10value_typeET2_T3_PNS10_IS15_E10value_typeET4_jRbjT5_S1B_jjP12ihipStream_tbEUljE_EEESW_SX_SY_S15_S19_S1B_T6_T7_T9_mT8_S1D_bDpT10_ENKUlT_T0_E_clISt17integral_constantIbLb0EES1P_IbLb1EEEEDaS1L_S1M_EUlS1L_E_NS1_11comp_targetILNS1_3genE9ELNS1_11target_archE1100ELNS1_3gpuE3ELNS1_3repE0EEENS1_30default_config_static_selectorELNS0_4arch9wavefront6targetE0EEEvSZ_: ; @_ZN7rocprim17ROCPRIM_400000_NS6detail17trampoline_kernelINS0_13select_configILj256ELj13ELNS0_17block_load_methodE3ELS4_3ELS4_3ELNS0_20block_scan_algorithmE0ELj4294967295EEENS1_25partition_config_selectorILNS1_17partition_subalgoE3EjNS0_10empty_typeEbEEZZNS1_14partition_implILS8_3ELb0ES6_jNS0_17counting_iteratorIjlEEPS9_SE_NS0_5tupleIJPjSE_EEENSF_IJSE_SE_EEES9_SG_JZNS1_25segmented_radix_sort_implINS0_14default_configELb1EPK6__halfPSL_PKlPlN2at6native12_GLOBAL__N_18offset_tEEE10hipError_tPvRmT1_PNSt15iterator_traitsISZ_E10value_typeET2_T3_PNS10_IS15_E10value_typeET4_jRbjT5_S1B_jjP12ihipStream_tbEUljE_EEESW_SX_SY_S15_S19_S1B_T6_T7_T9_mT8_S1D_bDpT10_ENKUlT_T0_E_clISt17integral_constantIbLb0EES1P_IbLb1EEEEDaS1L_S1M_EUlS1L_E_NS1_11comp_targetILNS1_3genE9ELNS1_11target_archE1100ELNS1_3gpuE3ELNS1_3repE0EEENS1_30default_config_static_selectorELNS0_4arch9wavefront6targetE0EEEvSZ_
; %bb.0:
	.section	.rodata,"a",@progbits
	.p2align	6, 0x0
	.amdhsa_kernel _ZN7rocprim17ROCPRIM_400000_NS6detail17trampoline_kernelINS0_13select_configILj256ELj13ELNS0_17block_load_methodE3ELS4_3ELS4_3ELNS0_20block_scan_algorithmE0ELj4294967295EEENS1_25partition_config_selectorILNS1_17partition_subalgoE3EjNS0_10empty_typeEbEEZZNS1_14partition_implILS8_3ELb0ES6_jNS0_17counting_iteratorIjlEEPS9_SE_NS0_5tupleIJPjSE_EEENSF_IJSE_SE_EEES9_SG_JZNS1_25segmented_radix_sort_implINS0_14default_configELb1EPK6__halfPSL_PKlPlN2at6native12_GLOBAL__N_18offset_tEEE10hipError_tPvRmT1_PNSt15iterator_traitsISZ_E10value_typeET2_T3_PNS10_IS15_E10value_typeET4_jRbjT5_S1B_jjP12ihipStream_tbEUljE_EEESW_SX_SY_S15_S19_S1B_T6_T7_T9_mT8_S1D_bDpT10_ENKUlT_T0_E_clISt17integral_constantIbLb0EES1P_IbLb1EEEEDaS1L_S1M_EUlS1L_E_NS1_11comp_targetILNS1_3genE9ELNS1_11target_archE1100ELNS1_3gpuE3ELNS1_3repE0EEENS1_30default_config_static_selectorELNS0_4arch9wavefront6targetE0EEEvSZ_
		.amdhsa_group_segment_fixed_size 0
		.amdhsa_private_segment_fixed_size 0
		.amdhsa_kernarg_size 152
		.amdhsa_user_sgpr_count 2
		.amdhsa_user_sgpr_dispatch_ptr 0
		.amdhsa_user_sgpr_queue_ptr 0
		.amdhsa_user_sgpr_kernarg_segment_ptr 1
		.amdhsa_user_sgpr_dispatch_id 0
		.amdhsa_user_sgpr_private_segment_size 0
		.amdhsa_wavefront_size32 1
		.amdhsa_uses_dynamic_stack 0
		.amdhsa_enable_private_segment 0
		.amdhsa_system_sgpr_workgroup_id_x 1
		.amdhsa_system_sgpr_workgroup_id_y 0
		.amdhsa_system_sgpr_workgroup_id_z 0
		.amdhsa_system_sgpr_workgroup_info 0
		.amdhsa_system_vgpr_workitem_id 0
		.amdhsa_next_free_vgpr 1
		.amdhsa_next_free_sgpr 1
		.amdhsa_reserve_vcc 0
		.amdhsa_float_round_mode_32 0
		.amdhsa_float_round_mode_16_64 0
		.amdhsa_float_denorm_mode_32 3
		.amdhsa_float_denorm_mode_16_64 3
		.amdhsa_fp16_overflow 0
		.amdhsa_workgroup_processor_mode 1
		.amdhsa_memory_ordered 1
		.amdhsa_forward_progress 1
		.amdhsa_inst_pref_size 0
		.amdhsa_round_robin_scheduling 0
		.amdhsa_exception_fp_ieee_invalid_op 0
		.amdhsa_exception_fp_denorm_src 0
		.amdhsa_exception_fp_ieee_div_zero 0
		.amdhsa_exception_fp_ieee_overflow 0
		.amdhsa_exception_fp_ieee_underflow 0
		.amdhsa_exception_fp_ieee_inexact 0
		.amdhsa_exception_int_div_zero 0
	.end_amdhsa_kernel
	.section	.text._ZN7rocprim17ROCPRIM_400000_NS6detail17trampoline_kernelINS0_13select_configILj256ELj13ELNS0_17block_load_methodE3ELS4_3ELS4_3ELNS0_20block_scan_algorithmE0ELj4294967295EEENS1_25partition_config_selectorILNS1_17partition_subalgoE3EjNS0_10empty_typeEbEEZZNS1_14partition_implILS8_3ELb0ES6_jNS0_17counting_iteratorIjlEEPS9_SE_NS0_5tupleIJPjSE_EEENSF_IJSE_SE_EEES9_SG_JZNS1_25segmented_radix_sort_implINS0_14default_configELb1EPK6__halfPSL_PKlPlN2at6native12_GLOBAL__N_18offset_tEEE10hipError_tPvRmT1_PNSt15iterator_traitsISZ_E10value_typeET2_T3_PNS10_IS15_E10value_typeET4_jRbjT5_S1B_jjP12ihipStream_tbEUljE_EEESW_SX_SY_S15_S19_S1B_T6_T7_T9_mT8_S1D_bDpT10_ENKUlT_T0_E_clISt17integral_constantIbLb0EES1P_IbLb1EEEEDaS1L_S1M_EUlS1L_E_NS1_11comp_targetILNS1_3genE9ELNS1_11target_archE1100ELNS1_3gpuE3ELNS1_3repE0EEENS1_30default_config_static_selectorELNS0_4arch9wavefront6targetE0EEEvSZ_,"axG",@progbits,_ZN7rocprim17ROCPRIM_400000_NS6detail17trampoline_kernelINS0_13select_configILj256ELj13ELNS0_17block_load_methodE3ELS4_3ELS4_3ELNS0_20block_scan_algorithmE0ELj4294967295EEENS1_25partition_config_selectorILNS1_17partition_subalgoE3EjNS0_10empty_typeEbEEZZNS1_14partition_implILS8_3ELb0ES6_jNS0_17counting_iteratorIjlEEPS9_SE_NS0_5tupleIJPjSE_EEENSF_IJSE_SE_EEES9_SG_JZNS1_25segmented_radix_sort_implINS0_14default_configELb1EPK6__halfPSL_PKlPlN2at6native12_GLOBAL__N_18offset_tEEE10hipError_tPvRmT1_PNSt15iterator_traitsISZ_E10value_typeET2_T3_PNS10_IS15_E10value_typeET4_jRbjT5_S1B_jjP12ihipStream_tbEUljE_EEESW_SX_SY_S15_S19_S1B_T6_T7_T9_mT8_S1D_bDpT10_ENKUlT_T0_E_clISt17integral_constantIbLb0EES1P_IbLb1EEEEDaS1L_S1M_EUlS1L_E_NS1_11comp_targetILNS1_3genE9ELNS1_11target_archE1100ELNS1_3gpuE3ELNS1_3repE0EEENS1_30default_config_static_selectorELNS0_4arch9wavefront6targetE0EEEvSZ_,comdat
.Lfunc_end1737:
	.size	_ZN7rocprim17ROCPRIM_400000_NS6detail17trampoline_kernelINS0_13select_configILj256ELj13ELNS0_17block_load_methodE3ELS4_3ELS4_3ELNS0_20block_scan_algorithmE0ELj4294967295EEENS1_25partition_config_selectorILNS1_17partition_subalgoE3EjNS0_10empty_typeEbEEZZNS1_14partition_implILS8_3ELb0ES6_jNS0_17counting_iteratorIjlEEPS9_SE_NS0_5tupleIJPjSE_EEENSF_IJSE_SE_EEES9_SG_JZNS1_25segmented_radix_sort_implINS0_14default_configELb1EPK6__halfPSL_PKlPlN2at6native12_GLOBAL__N_18offset_tEEE10hipError_tPvRmT1_PNSt15iterator_traitsISZ_E10value_typeET2_T3_PNS10_IS15_E10value_typeET4_jRbjT5_S1B_jjP12ihipStream_tbEUljE_EEESW_SX_SY_S15_S19_S1B_T6_T7_T9_mT8_S1D_bDpT10_ENKUlT_T0_E_clISt17integral_constantIbLb0EES1P_IbLb1EEEEDaS1L_S1M_EUlS1L_E_NS1_11comp_targetILNS1_3genE9ELNS1_11target_archE1100ELNS1_3gpuE3ELNS1_3repE0EEENS1_30default_config_static_selectorELNS0_4arch9wavefront6targetE0EEEvSZ_, .Lfunc_end1737-_ZN7rocprim17ROCPRIM_400000_NS6detail17trampoline_kernelINS0_13select_configILj256ELj13ELNS0_17block_load_methodE3ELS4_3ELS4_3ELNS0_20block_scan_algorithmE0ELj4294967295EEENS1_25partition_config_selectorILNS1_17partition_subalgoE3EjNS0_10empty_typeEbEEZZNS1_14partition_implILS8_3ELb0ES6_jNS0_17counting_iteratorIjlEEPS9_SE_NS0_5tupleIJPjSE_EEENSF_IJSE_SE_EEES9_SG_JZNS1_25segmented_radix_sort_implINS0_14default_configELb1EPK6__halfPSL_PKlPlN2at6native12_GLOBAL__N_18offset_tEEE10hipError_tPvRmT1_PNSt15iterator_traitsISZ_E10value_typeET2_T3_PNS10_IS15_E10value_typeET4_jRbjT5_S1B_jjP12ihipStream_tbEUljE_EEESW_SX_SY_S15_S19_S1B_T6_T7_T9_mT8_S1D_bDpT10_ENKUlT_T0_E_clISt17integral_constantIbLb0EES1P_IbLb1EEEEDaS1L_S1M_EUlS1L_E_NS1_11comp_targetILNS1_3genE9ELNS1_11target_archE1100ELNS1_3gpuE3ELNS1_3repE0EEENS1_30default_config_static_selectorELNS0_4arch9wavefront6targetE0EEEvSZ_
                                        ; -- End function
	.set _ZN7rocprim17ROCPRIM_400000_NS6detail17trampoline_kernelINS0_13select_configILj256ELj13ELNS0_17block_load_methodE3ELS4_3ELS4_3ELNS0_20block_scan_algorithmE0ELj4294967295EEENS1_25partition_config_selectorILNS1_17partition_subalgoE3EjNS0_10empty_typeEbEEZZNS1_14partition_implILS8_3ELb0ES6_jNS0_17counting_iteratorIjlEEPS9_SE_NS0_5tupleIJPjSE_EEENSF_IJSE_SE_EEES9_SG_JZNS1_25segmented_radix_sort_implINS0_14default_configELb1EPK6__halfPSL_PKlPlN2at6native12_GLOBAL__N_18offset_tEEE10hipError_tPvRmT1_PNSt15iterator_traitsISZ_E10value_typeET2_T3_PNS10_IS15_E10value_typeET4_jRbjT5_S1B_jjP12ihipStream_tbEUljE_EEESW_SX_SY_S15_S19_S1B_T6_T7_T9_mT8_S1D_bDpT10_ENKUlT_T0_E_clISt17integral_constantIbLb0EES1P_IbLb1EEEEDaS1L_S1M_EUlS1L_E_NS1_11comp_targetILNS1_3genE9ELNS1_11target_archE1100ELNS1_3gpuE3ELNS1_3repE0EEENS1_30default_config_static_selectorELNS0_4arch9wavefront6targetE0EEEvSZ_.num_vgpr, 0
	.set _ZN7rocprim17ROCPRIM_400000_NS6detail17trampoline_kernelINS0_13select_configILj256ELj13ELNS0_17block_load_methodE3ELS4_3ELS4_3ELNS0_20block_scan_algorithmE0ELj4294967295EEENS1_25partition_config_selectorILNS1_17partition_subalgoE3EjNS0_10empty_typeEbEEZZNS1_14partition_implILS8_3ELb0ES6_jNS0_17counting_iteratorIjlEEPS9_SE_NS0_5tupleIJPjSE_EEENSF_IJSE_SE_EEES9_SG_JZNS1_25segmented_radix_sort_implINS0_14default_configELb1EPK6__halfPSL_PKlPlN2at6native12_GLOBAL__N_18offset_tEEE10hipError_tPvRmT1_PNSt15iterator_traitsISZ_E10value_typeET2_T3_PNS10_IS15_E10value_typeET4_jRbjT5_S1B_jjP12ihipStream_tbEUljE_EEESW_SX_SY_S15_S19_S1B_T6_T7_T9_mT8_S1D_bDpT10_ENKUlT_T0_E_clISt17integral_constantIbLb0EES1P_IbLb1EEEEDaS1L_S1M_EUlS1L_E_NS1_11comp_targetILNS1_3genE9ELNS1_11target_archE1100ELNS1_3gpuE3ELNS1_3repE0EEENS1_30default_config_static_selectorELNS0_4arch9wavefront6targetE0EEEvSZ_.num_agpr, 0
	.set _ZN7rocprim17ROCPRIM_400000_NS6detail17trampoline_kernelINS0_13select_configILj256ELj13ELNS0_17block_load_methodE3ELS4_3ELS4_3ELNS0_20block_scan_algorithmE0ELj4294967295EEENS1_25partition_config_selectorILNS1_17partition_subalgoE3EjNS0_10empty_typeEbEEZZNS1_14partition_implILS8_3ELb0ES6_jNS0_17counting_iteratorIjlEEPS9_SE_NS0_5tupleIJPjSE_EEENSF_IJSE_SE_EEES9_SG_JZNS1_25segmented_radix_sort_implINS0_14default_configELb1EPK6__halfPSL_PKlPlN2at6native12_GLOBAL__N_18offset_tEEE10hipError_tPvRmT1_PNSt15iterator_traitsISZ_E10value_typeET2_T3_PNS10_IS15_E10value_typeET4_jRbjT5_S1B_jjP12ihipStream_tbEUljE_EEESW_SX_SY_S15_S19_S1B_T6_T7_T9_mT8_S1D_bDpT10_ENKUlT_T0_E_clISt17integral_constantIbLb0EES1P_IbLb1EEEEDaS1L_S1M_EUlS1L_E_NS1_11comp_targetILNS1_3genE9ELNS1_11target_archE1100ELNS1_3gpuE3ELNS1_3repE0EEENS1_30default_config_static_selectorELNS0_4arch9wavefront6targetE0EEEvSZ_.numbered_sgpr, 0
	.set _ZN7rocprim17ROCPRIM_400000_NS6detail17trampoline_kernelINS0_13select_configILj256ELj13ELNS0_17block_load_methodE3ELS4_3ELS4_3ELNS0_20block_scan_algorithmE0ELj4294967295EEENS1_25partition_config_selectorILNS1_17partition_subalgoE3EjNS0_10empty_typeEbEEZZNS1_14partition_implILS8_3ELb0ES6_jNS0_17counting_iteratorIjlEEPS9_SE_NS0_5tupleIJPjSE_EEENSF_IJSE_SE_EEES9_SG_JZNS1_25segmented_radix_sort_implINS0_14default_configELb1EPK6__halfPSL_PKlPlN2at6native12_GLOBAL__N_18offset_tEEE10hipError_tPvRmT1_PNSt15iterator_traitsISZ_E10value_typeET2_T3_PNS10_IS15_E10value_typeET4_jRbjT5_S1B_jjP12ihipStream_tbEUljE_EEESW_SX_SY_S15_S19_S1B_T6_T7_T9_mT8_S1D_bDpT10_ENKUlT_T0_E_clISt17integral_constantIbLb0EES1P_IbLb1EEEEDaS1L_S1M_EUlS1L_E_NS1_11comp_targetILNS1_3genE9ELNS1_11target_archE1100ELNS1_3gpuE3ELNS1_3repE0EEENS1_30default_config_static_selectorELNS0_4arch9wavefront6targetE0EEEvSZ_.num_named_barrier, 0
	.set _ZN7rocprim17ROCPRIM_400000_NS6detail17trampoline_kernelINS0_13select_configILj256ELj13ELNS0_17block_load_methodE3ELS4_3ELS4_3ELNS0_20block_scan_algorithmE0ELj4294967295EEENS1_25partition_config_selectorILNS1_17partition_subalgoE3EjNS0_10empty_typeEbEEZZNS1_14partition_implILS8_3ELb0ES6_jNS0_17counting_iteratorIjlEEPS9_SE_NS0_5tupleIJPjSE_EEENSF_IJSE_SE_EEES9_SG_JZNS1_25segmented_radix_sort_implINS0_14default_configELb1EPK6__halfPSL_PKlPlN2at6native12_GLOBAL__N_18offset_tEEE10hipError_tPvRmT1_PNSt15iterator_traitsISZ_E10value_typeET2_T3_PNS10_IS15_E10value_typeET4_jRbjT5_S1B_jjP12ihipStream_tbEUljE_EEESW_SX_SY_S15_S19_S1B_T6_T7_T9_mT8_S1D_bDpT10_ENKUlT_T0_E_clISt17integral_constantIbLb0EES1P_IbLb1EEEEDaS1L_S1M_EUlS1L_E_NS1_11comp_targetILNS1_3genE9ELNS1_11target_archE1100ELNS1_3gpuE3ELNS1_3repE0EEENS1_30default_config_static_selectorELNS0_4arch9wavefront6targetE0EEEvSZ_.private_seg_size, 0
	.set _ZN7rocprim17ROCPRIM_400000_NS6detail17trampoline_kernelINS0_13select_configILj256ELj13ELNS0_17block_load_methodE3ELS4_3ELS4_3ELNS0_20block_scan_algorithmE0ELj4294967295EEENS1_25partition_config_selectorILNS1_17partition_subalgoE3EjNS0_10empty_typeEbEEZZNS1_14partition_implILS8_3ELb0ES6_jNS0_17counting_iteratorIjlEEPS9_SE_NS0_5tupleIJPjSE_EEENSF_IJSE_SE_EEES9_SG_JZNS1_25segmented_radix_sort_implINS0_14default_configELb1EPK6__halfPSL_PKlPlN2at6native12_GLOBAL__N_18offset_tEEE10hipError_tPvRmT1_PNSt15iterator_traitsISZ_E10value_typeET2_T3_PNS10_IS15_E10value_typeET4_jRbjT5_S1B_jjP12ihipStream_tbEUljE_EEESW_SX_SY_S15_S19_S1B_T6_T7_T9_mT8_S1D_bDpT10_ENKUlT_T0_E_clISt17integral_constantIbLb0EES1P_IbLb1EEEEDaS1L_S1M_EUlS1L_E_NS1_11comp_targetILNS1_3genE9ELNS1_11target_archE1100ELNS1_3gpuE3ELNS1_3repE0EEENS1_30default_config_static_selectorELNS0_4arch9wavefront6targetE0EEEvSZ_.uses_vcc, 0
	.set _ZN7rocprim17ROCPRIM_400000_NS6detail17trampoline_kernelINS0_13select_configILj256ELj13ELNS0_17block_load_methodE3ELS4_3ELS4_3ELNS0_20block_scan_algorithmE0ELj4294967295EEENS1_25partition_config_selectorILNS1_17partition_subalgoE3EjNS0_10empty_typeEbEEZZNS1_14partition_implILS8_3ELb0ES6_jNS0_17counting_iteratorIjlEEPS9_SE_NS0_5tupleIJPjSE_EEENSF_IJSE_SE_EEES9_SG_JZNS1_25segmented_radix_sort_implINS0_14default_configELb1EPK6__halfPSL_PKlPlN2at6native12_GLOBAL__N_18offset_tEEE10hipError_tPvRmT1_PNSt15iterator_traitsISZ_E10value_typeET2_T3_PNS10_IS15_E10value_typeET4_jRbjT5_S1B_jjP12ihipStream_tbEUljE_EEESW_SX_SY_S15_S19_S1B_T6_T7_T9_mT8_S1D_bDpT10_ENKUlT_T0_E_clISt17integral_constantIbLb0EES1P_IbLb1EEEEDaS1L_S1M_EUlS1L_E_NS1_11comp_targetILNS1_3genE9ELNS1_11target_archE1100ELNS1_3gpuE3ELNS1_3repE0EEENS1_30default_config_static_selectorELNS0_4arch9wavefront6targetE0EEEvSZ_.uses_flat_scratch, 0
	.set _ZN7rocprim17ROCPRIM_400000_NS6detail17trampoline_kernelINS0_13select_configILj256ELj13ELNS0_17block_load_methodE3ELS4_3ELS4_3ELNS0_20block_scan_algorithmE0ELj4294967295EEENS1_25partition_config_selectorILNS1_17partition_subalgoE3EjNS0_10empty_typeEbEEZZNS1_14partition_implILS8_3ELb0ES6_jNS0_17counting_iteratorIjlEEPS9_SE_NS0_5tupleIJPjSE_EEENSF_IJSE_SE_EEES9_SG_JZNS1_25segmented_radix_sort_implINS0_14default_configELb1EPK6__halfPSL_PKlPlN2at6native12_GLOBAL__N_18offset_tEEE10hipError_tPvRmT1_PNSt15iterator_traitsISZ_E10value_typeET2_T3_PNS10_IS15_E10value_typeET4_jRbjT5_S1B_jjP12ihipStream_tbEUljE_EEESW_SX_SY_S15_S19_S1B_T6_T7_T9_mT8_S1D_bDpT10_ENKUlT_T0_E_clISt17integral_constantIbLb0EES1P_IbLb1EEEEDaS1L_S1M_EUlS1L_E_NS1_11comp_targetILNS1_3genE9ELNS1_11target_archE1100ELNS1_3gpuE3ELNS1_3repE0EEENS1_30default_config_static_selectorELNS0_4arch9wavefront6targetE0EEEvSZ_.has_dyn_sized_stack, 0
	.set _ZN7rocprim17ROCPRIM_400000_NS6detail17trampoline_kernelINS0_13select_configILj256ELj13ELNS0_17block_load_methodE3ELS4_3ELS4_3ELNS0_20block_scan_algorithmE0ELj4294967295EEENS1_25partition_config_selectorILNS1_17partition_subalgoE3EjNS0_10empty_typeEbEEZZNS1_14partition_implILS8_3ELb0ES6_jNS0_17counting_iteratorIjlEEPS9_SE_NS0_5tupleIJPjSE_EEENSF_IJSE_SE_EEES9_SG_JZNS1_25segmented_radix_sort_implINS0_14default_configELb1EPK6__halfPSL_PKlPlN2at6native12_GLOBAL__N_18offset_tEEE10hipError_tPvRmT1_PNSt15iterator_traitsISZ_E10value_typeET2_T3_PNS10_IS15_E10value_typeET4_jRbjT5_S1B_jjP12ihipStream_tbEUljE_EEESW_SX_SY_S15_S19_S1B_T6_T7_T9_mT8_S1D_bDpT10_ENKUlT_T0_E_clISt17integral_constantIbLb0EES1P_IbLb1EEEEDaS1L_S1M_EUlS1L_E_NS1_11comp_targetILNS1_3genE9ELNS1_11target_archE1100ELNS1_3gpuE3ELNS1_3repE0EEENS1_30default_config_static_selectorELNS0_4arch9wavefront6targetE0EEEvSZ_.has_recursion, 0
	.set _ZN7rocprim17ROCPRIM_400000_NS6detail17trampoline_kernelINS0_13select_configILj256ELj13ELNS0_17block_load_methodE3ELS4_3ELS4_3ELNS0_20block_scan_algorithmE0ELj4294967295EEENS1_25partition_config_selectorILNS1_17partition_subalgoE3EjNS0_10empty_typeEbEEZZNS1_14partition_implILS8_3ELb0ES6_jNS0_17counting_iteratorIjlEEPS9_SE_NS0_5tupleIJPjSE_EEENSF_IJSE_SE_EEES9_SG_JZNS1_25segmented_radix_sort_implINS0_14default_configELb1EPK6__halfPSL_PKlPlN2at6native12_GLOBAL__N_18offset_tEEE10hipError_tPvRmT1_PNSt15iterator_traitsISZ_E10value_typeET2_T3_PNS10_IS15_E10value_typeET4_jRbjT5_S1B_jjP12ihipStream_tbEUljE_EEESW_SX_SY_S15_S19_S1B_T6_T7_T9_mT8_S1D_bDpT10_ENKUlT_T0_E_clISt17integral_constantIbLb0EES1P_IbLb1EEEEDaS1L_S1M_EUlS1L_E_NS1_11comp_targetILNS1_3genE9ELNS1_11target_archE1100ELNS1_3gpuE3ELNS1_3repE0EEENS1_30default_config_static_selectorELNS0_4arch9wavefront6targetE0EEEvSZ_.has_indirect_call, 0
	.section	.AMDGPU.csdata,"",@progbits
; Kernel info:
; codeLenInByte = 0
; TotalNumSgprs: 0
; NumVgprs: 0
; ScratchSize: 0
; MemoryBound: 0
; FloatMode: 240
; IeeeMode: 1
; LDSByteSize: 0 bytes/workgroup (compile time only)
; SGPRBlocks: 0
; VGPRBlocks: 0
; NumSGPRsForWavesPerEU: 1
; NumVGPRsForWavesPerEU: 1
; Occupancy: 16
; WaveLimiterHint : 0
; COMPUTE_PGM_RSRC2:SCRATCH_EN: 0
; COMPUTE_PGM_RSRC2:USER_SGPR: 2
; COMPUTE_PGM_RSRC2:TRAP_HANDLER: 0
; COMPUTE_PGM_RSRC2:TGID_X_EN: 1
; COMPUTE_PGM_RSRC2:TGID_Y_EN: 0
; COMPUTE_PGM_RSRC2:TGID_Z_EN: 0
; COMPUTE_PGM_RSRC2:TIDIG_COMP_CNT: 0
	.section	.text._ZN7rocprim17ROCPRIM_400000_NS6detail17trampoline_kernelINS0_13select_configILj256ELj13ELNS0_17block_load_methodE3ELS4_3ELS4_3ELNS0_20block_scan_algorithmE0ELj4294967295EEENS1_25partition_config_selectorILNS1_17partition_subalgoE3EjNS0_10empty_typeEbEEZZNS1_14partition_implILS8_3ELb0ES6_jNS0_17counting_iteratorIjlEEPS9_SE_NS0_5tupleIJPjSE_EEENSF_IJSE_SE_EEES9_SG_JZNS1_25segmented_radix_sort_implINS0_14default_configELb1EPK6__halfPSL_PKlPlN2at6native12_GLOBAL__N_18offset_tEEE10hipError_tPvRmT1_PNSt15iterator_traitsISZ_E10value_typeET2_T3_PNS10_IS15_E10value_typeET4_jRbjT5_S1B_jjP12ihipStream_tbEUljE_EEESW_SX_SY_S15_S19_S1B_T6_T7_T9_mT8_S1D_bDpT10_ENKUlT_T0_E_clISt17integral_constantIbLb0EES1P_IbLb1EEEEDaS1L_S1M_EUlS1L_E_NS1_11comp_targetILNS1_3genE8ELNS1_11target_archE1030ELNS1_3gpuE2ELNS1_3repE0EEENS1_30default_config_static_selectorELNS0_4arch9wavefront6targetE0EEEvSZ_,"axG",@progbits,_ZN7rocprim17ROCPRIM_400000_NS6detail17trampoline_kernelINS0_13select_configILj256ELj13ELNS0_17block_load_methodE3ELS4_3ELS4_3ELNS0_20block_scan_algorithmE0ELj4294967295EEENS1_25partition_config_selectorILNS1_17partition_subalgoE3EjNS0_10empty_typeEbEEZZNS1_14partition_implILS8_3ELb0ES6_jNS0_17counting_iteratorIjlEEPS9_SE_NS0_5tupleIJPjSE_EEENSF_IJSE_SE_EEES9_SG_JZNS1_25segmented_radix_sort_implINS0_14default_configELb1EPK6__halfPSL_PKlPlN2at6native12_GLOBAL__N_18offset_tEEE10hipError_tPvRmT1_PNSt15iterator_traitsISZ_E10value_typeET2_T3_PNS10_IS15_E10value_typeET4_jRbjT5_S1B_jjP12ihipStream_tbEUljE_EEESW_SX_SY_S15_S19_S1B_T6_T7_T9_mT8_S1D_bDpT10_ENKUlT_T0_E_clISt17integral_constantIbLb0EES1P_IbLb1EEEEDaS1L_S1M_EUlS1L_E_NS1_11comp_targetILNS1_3genE8ELNS1_11target_archE1030ELNS1_3gpuE2ELNS1_3repE0EEENS1_30default_config_static_selectorELNS0_4arch9wavefront6targetE0EEEvSZ_,comdat
	.globl	_ZN7rocprim17ROCPRIM_400000_NS6detail17trampoline_kernelINS0_13select_configILj256ELj13ELNS0_17block_load_methodE3ELS4_3ELS4_3ELNS0_20block_scan_algorithmE0ELj4294967295EEENS1_25partition_config_selectorILNS1_17partition_subalgoE3EjNS0_10empty_typeEbEEZZNS1_14partition_implILS8_3ELb0ES6_jNS0_17counting_iteratorIjlEEPS9_SE_NS0_5tupleIJPjSE_EEENSF_IJSE_SE_EEES9_SG_JZNS1_25segmented_radix_sort_implINS0_14default_configELb1EPK6__halfPSL_PKlPlN2at6native12_GLOBAL__N_18offset_tEEE10hipError_tPvRmT1_PNSt15iterator_traitsISZ_E10value_typeET2_T3_PNS10_IS15_E10value_typeET4_jRbjT5_S1B_jjP12ihipStream_tbEUljE_EEESW_SX_SY_S15_S19_S1B_T6_T7_T9_mT8_S1D_bDpT10_ENKUlT_T0_E_clISt17integral_constantIbLb0EES1P_IbLb1EEEEDaS1L_S1M_EUlS1L_E_NS1_11comp_targetILNS1_3genE8ELNS1_11target_archE1030ELNS1_3gpuE2ELNS1_3repE0EEENS1_30default_config_static_selectorELNS0_4arch9wavefront6targetE0EEEvSZ_ ; -- Begin function _ZN7rocprim17ROCPRIM_400000_NS6detail17trampoline_kernelINS0_13select_configILj256ELj13ELNS0_17block_load_methodE3ELS4_3ELS4_3ELNS0_20block_scan_algorithmE0ELj4294967295EEENS1_25partition_config_selectorILNS1_17partition_subalgoE3EjNS0_10empty_typeEbEEZZNS1_14partition_implILS8_3ELb0ES6_jNS0_17counting_iteratorIjlEEPS9_SE_NS0_5tupleIJPjSE_EEENSF_IJSE_SE_EEES9_SG_JZNS1_25segmented_radix_sort_implINS0_14default_configELb1EPK6__halfPSL_PKlPlN2at6native12_GLOBAL__N_18offset_tEEE10hipError_tPvRmT1_PNSt15iterator_traitsISZ_E10value_typeET2_T3_PNS10_IS15_E10value_typeET4_jRbjT5_S1B_jjP12ihipStream_tbEUljE_EEESW_SX_SY_S15_S19_S1B_T6_T7_T9_mT8_S1D_bDpT10_ENKUlT_T0_E_clISt17integral_constantIbLb0EES1P_IbLb1EEEEDaS1L_S1M_EUlS1L_E_NS1_11comp_targetILNS1_3genE8ELNS1_11target_archE1030ELNS1_3gpuE2ELNS1_3repE0EEENS1_30default_config_static_selectorELNS0_4arch9wavefront6targetE0EEEvSZ_
	.p2align	8
	.type	_ZN7rocprim17ROCPRIM_400000_NS6detail17trampoline_kernelINS0_13select_configILj256ELj13ELNS0_17block_load_methodE3ELS4_3ELS4_3ELNS0_20block_scan_algorithmE0ELj4294967295EEENS1_25partition_config_selectorILNS1_17partition_subalgoE3EjNS0_10empty_typeEbEEZZNS1_14partition_implILS8_3ELb0ES6_jNS0_17counting_iteratorIjlEEPS9_SE_NS0_5tupleIJPjSE_EEENSF_IJSE_SE_EEES9_SG_JZNS1_25segmented_radix_sort_implINS0_14default_configELb1EPK6__halfPSL_PKlPlN2at6native12_GLOBAL__N_18offset_tEEE10hipError_tPvRmT1_PNSt15iterator_traitsISZ_E10value_typeET2_T3_PNS10_IS15_E10value_typeET4_jRbjT5_S1B_jjP12ihipStream_tbEUljE_EEESW_SX_SY_S15_S19_S1B_T6_T7_T9_mT8_S1D_bDpT10_ENKUlT_T0_E_clISt17integral_constantIbLb0EES1P_IbLb1EEEEDaS1L_S1M_EUlS1L_E_NS1_11comp_targetILNS1_3genE8ELNS1_11target_archE1030ELNS1_3gpuE2ELNS1_3repE0EEENS1_30default_config_static_selectorELNS0_4arch9wavefront6targetE0EEEvSZ_,@function
_ZN7rocprim17ROCPRIM_400000_NS6detail17trampoline_kernelINS0_13select_configILj256ELj13ELNS0_17block_load_methodE3ELS4_3ELS4_3ELNS0_20block_scan_algorithmE0ELj4294967295EEENS1_25partition_config_selectorILNS1_17partition_subalgoE3EjNS0_10empty_typeEbEEZZNS1_14partition_implILS8_3ELb0ES6_jNS0_17counting_iteratorIjlEEPS9_SE_NS0_5tupleIJPjSE_EEENSF_IJSE_SE_EEES9_SG_JZNS1_25segmented_radix_sort_implINS0_14default_configELb1EPK6__halfPSL_PKlPlN2at6native12_GLOBAL__N_18offset_tEEE10hipError_tPvRmT1_PNSt15iterator_traitsISZ_E10value_typeET2_T3_PNS10_IS15_E10value_typeET4_jRbjT5_S1B_jjP12ihipStream_tbEUljE_EEESW_SX_SY_S15_S19_S1B_T6_T7_T9_mT8_S1D_bDpT10_ENKUlT_T0_E_clISt17integral_constantIbLb0EES1P_IbLb1EEEEDaS1L_S1M_EUlS1L_E_NS1_11comp_targetILNS1_3genE8ELNS1_11target_archE1030ELNS1_3gpuE2ELNS1_3repE0EEENS1_30default_config_static_selectorELNS0_4arch9wavefront6targetE0EEEvSZ_: ; @_ZN7rocprim17ROCPRIM_400000_NS6detail17trampoline_kernelINS0_13select_configILj256ELj13ELNS0_17block_load_methodE3ELS4_3ELS4_3ELNS0_20block_scan_algorithmE0ELj4294967295EEENS1_25partition_config_selectorILNS1_17partition_subalgoE3EjNS0_10empty_typeEbEEZZNS1_14partition_implILS8_3ELb0ES6_jNS0_17counting_iteratorIjlEEPS9_SE_NS0_5tupleIJPjSE_EEENSF_IJSE_SE_EEES9_SG_JZNS1_25segmented_radix_sort_implINS0_14default_configELb1EPK6__halfPSL_PKlPlN2at6native12_GLOBAL__N_18offset_tEEE10hipError_tPvRmT1_PNSt15iterator_traitsISZ_E10value_typeET2_T3_PNS10_IS15_E10value_typeET4_jRbjT5_S1B_jjP12ihipStream_tbEUljE_EEESW_SX_SY_S15_S19_S1B_T6_T7_T9_mT8_S1D_bDpT10_ENKUlT_T0_E_clISt17integral_constantIbLb0EES1P_IbLb1EEEEDaS1L_S1M_EUlS1L_E_NS1_11comp_targetILNS1_3genE8ELNS1_11target_archE1030ELNS1_3gpuE2ELNS1_3repE0EEENS1_30default_config_static_selectorELNS0_4arch9wavefront6targetE0EEEvSZ_
; %bb.0:
	.section	.rodata,"a",@progbits
	.p2align	6, 0x0
	.amdhsa_kernel _ZN7rocprim17ROCPRIM_400000_NS6detail17trampoline_kernelINS0_13select_configILj256ELj13ELNS0_17block_load_methodE3ELS4_3ELS4_3ELNS0_20block_scan_algorithmE0ELj4294967295EEENS1_25partition_config_selectorILNS1_17partition_subalgoE3EjNS0_10empty_typeEbEEZZNS1_14partition_implILS8_3ELb0ES6_jNS0_17counting_iteratorIjlEEPS9_SE_NS0_5tupleIJPjSE_EEENSF_IJSE_SE_EEES9_SG_JZNS1_25segmented_radix_sort_implINS0_14default_configELb1EPK6__halfPSL_PKlPlN2at6native12_GLOBAL__N_18offset_tEEE10hipError_tPvRmT1_PNSt15iterator_traitsISZ_E10value_typeET2_T3_PNS10_IS15_E10value_typeET4_jRbjT5_S1B_jjP12ihipStream_tbEUljE_EEESW_SX_SY_S15_S19_S1B_T6_T7_T9_mT8_S1D_bDpT10_ENKUlT_T0_E_clISt17integral_constantIbLb0EES1P_IbLb1EEEEDaS1L_S1M_EUlS1L_E_NS1_11comp_targetILNS1_3genE8ELNS1_11target_archE1030ELNS1_3gpuE2ELNS1_3repE0EEENS1_30default_config_static_selectorELNS0_4arch9wavefront6targetE0EEEvSZ_
		.amdhsa_group_segment_fixed_size 0
		.amdhsa_private_segment_fixed_size 0
		.amdhsa_kernarg_size 152
		.amdhsa_user_sgpr_count 2
		.amdhsa_user_sgpr_dispatch_ptr 0
		.amdhsa_user_sgpr_queue_ptr 0
		.amdhsa_user_sgpr_kernarg_segment_ptr 1
		.amdhsa_user_sgpr_dispatch_id 0
		.amdhsa_user_sgpr_private_segment_size 0
		.amdhsa_wavefront_size32 1
		.amdhsa_uses_dynamic_stack 0
		.amdhsa_enable_private_segment 0
		.amdhsa_system_sgpr_workgroup_id_x 1
		.amdhsa_system_sgpr_workgroup_id_y 0
		.amdhsa_system_sgpr_workgroup_id_z 0
		.amdhsa_system_sgpr_workgroup_info 0
		.amdhsa_system_vgpr_workitem_id 0
		.amdhsa_next_free_vgpr 1
		.amdhsa_next_free_sgpr 1
		.amdhsa_reserve_vcc 0
		.amdhsa_float_round_mode_32 0
		.amdhsa_float_round_mode_16_64 0
		.amdhsa_float_denorm_mode_32 3
		.amdhsa_float_denorm_mode_16_64 3
		.amdhsa_fp16_overflow 0
		.amdhsa_workgroup_processor_mode 1
		.amdhsa_memory_ordered 1
		.amdhsa_forward_progress 1
		.amdhsa_inst_pref_size 0
		.amdhsa_round_robin_scheduling 0
		.amdhsa_exception_fp_ieee_invalid_op 0
		.amdhsa_exception_fp_denorm_src 0
		.amdhsa_exception_fp_ieee_div_zero 0
		.amdhsa_exception_fp_ieee_overflow 0
		.amdhsa_exception_fp_ieee_underflow 0
		.amdhsa_exception_fp_ieee_inexact 0
		.amdhsa_exception_int_div_zero 0
	.end_amdhsa_kernel
	.section	.text._ZN7rocprim17ROCPRIM_400000_NS6detail17trampoline_kernelINS0_13select_configILj256ELj13ELNS0_17block_load_methodE3ELS4_3ELS4_3ELNS0_20block_scan_algorithmE0ELj4294967295EEENS1_25partition_config_selectorILNS1_17partition_subalgoE3EjNS0_10empty_typeEbEEZZNS1_14partition_implILS8_3ELb0ES6_jNS0_17counting_iteratorIjlEEPS9_SE_NS0_5tupleIJPjSE_EEENSF_IJSE_SE_EEES9_SG_JZNS1_25segmented_radix_sort_implINS0_14default_configELb1EPK6__halfPSL_PKlPlN2at6native12_GLOBAL__N_18offset_tEEE10hipError_tPvRmT1_PNSt15iterator_traitsISZ_E10value_typeET2_T3_PNS10_IS15_E10value_typeET4_jRbjT5_S1B_jjP12ihipStream_tbEUljE_EEESW_SX_SY_S15_S19_S1B_T6_T7_T9_mT8_S1D_bDpT10_ENKUlT_T0_E_clISt17integral_constantIbLb0EES1P_IbLb1EEEEDaS1L_S1M_EUlS1L_E_NS1_11comp_targetILNS1_3genE8ELNS1_11target_archE1030ELNS1_3gpuE2ELNS1_3repE0EEENS1_30default_config_static_selectorELNS0_4arch9wavefront6targetE0EEEvSZ_,"axG",@progbits,_ZN7rocprim17ROCPRIM_400000_NS6detail17trampoline_kernelINS0_13select_configILj256ELj13ELNS0_17block_load_methodE3ELS4_3ELS4_3ELNS0_20block_scan_algorithmE0ELj4294967295EEENS1_25partition_config_selectorILNS1_17partition_subalgoE3EjNS0_10empty_typeEbEEZZNS1_14partition_implILS8_3ELb0ES6_jNS0_17counting_iteratorIjlEEPS9_SE_NS0_5tupleIJPjSE_EEENSF_IJSE_SE_EEES9_SG_JZNS1_25segmented_radix_sort_implINS0_14default_configELb1EPK6__halfPSL_PKlPlN2at6native12_GLOBAL__N_18offset_tEEE10hipError_tPvRmT1_PNSt15iterator_traitsISZ_E10value_typeET2_T3_PNS10_IS15_E10value_typeET4_jRbjT5_S1B_jjP12ihipStream_tbEUljE_EEESW_SX_SY_S15_S19_S1B_T6_T7_T9_mT8_S1D_bDpT10_ENKUlT_T0_E_clISt17integral_constantIbLb0EES1P_IbLb1EEEEDaS1L_S1M_EUlS1L_E_NS1_11comp_targetILNS1_3genE8ELNS1_11target_archE1030ELNS1_3gpuE2ELNS1_3repE0EEENS1_30default_config_static_selectorELNS0_4arch9wavefront6targetE0EEEvSZ_,comdat
.Lfunc_end1738:
	.size	_ZN7rocprim17ROCPRIM_400000_NS6detail17trampoline_kernelINS0_13select_configILj256ELj13ELNS0_17block_load_methodE3ELS4_3ELS4_3ELNS0_20block_scan_algorithmE0ELj4294967295EEENS1_25partition_config_selectorILNS1_17partition_subalgoE3EjNS0_10empty_typeEbEEZZNS1_14partition_implILS8_3ELb0ES6_jNS0_17counting_iteratorIjlEEPS9_SE_NS0_5tupleIJPjSE_EEENSF_IJSE_SE_EEES9_SG_JZNS1_25segmented_radix_sort_implINS0_14default_configELb1EPK6__halfPSL_PKlPlN2at6native12_GLOBAL__N_18offset_tEEE10hipError_tPvRmT1_PNSt15iterator_traitsISZ_E10value_typeET2_T3_PNS10_IS15_E10value_typeET4_jRbjT5_S1B_jjP12ihipStream_tbEUljE_EEESW_SX_SY_S15_S19_S1B_T6_T7_T9_mT8_S1D_bDpT10_ENKUlT_T0_E_clISt17integral_constantIbLb0EES1P_IbLb1EEEEDaS1L_S1M_EUlS1L_E_NS1_11comp_targetILNS1_3genE8ELNS1_11target_archE1030ELNS1_3gpuE2ELNS1_3repE0EEENS1_30default_config_static_selectorELNS0_4arch9wavefront6targetE0EEEvSZ_, .Lfunc_end1738-_ZN7rocprim17ROCPRIM_400000_NS6detail17trampoline_kernelINS0_13select_configILj256ELj13ELNS0_17block_load_methodE3ELS4_3ELS4_3ELNS0_20block_scan_algorithmE0ELj4294967295EEENS1_25partition_config_selectorILNS1_17partition_subalgoE3EjNS0_10empty_typeEbEEZZNS1_14partition_implILS8_3ELb0ES6_jNS0_17counting_iteratorIjlEEPS9_SE_NS0_5tupleIJPjSE_EEENSF_IJSE_SE_EEES9_SG_JZNS1_25segmented_radix_sort_implINS0_14default_configELb1EPK6__halfPSL_PKlPlN2at6native12_GLOBAL__N_18offset_tEEE10hipError_tPvRmT1_PNSt15iterator_traitsISZ_E10value_typeET2_T3_PNS10_IS15_E10value_typeET4_jRbjT5_S1B_jjP12ihipStream_tbEUljE_EEESW_SX_SY_S15_S19_S1B_T6_T7_T9_mT8_S1D_bDpT10_ENKUlT_T0_E_clISt17integral_constantIbLb0EES1P_IbLb1EEEEDaS1L_S1M_EUlS1L_E_NS1_11comp_targetILNS1_3genE8ELNS1_11target_archE1030ELNS1_3gpuE2ELNS1_3repE0EEENS1_30default_config_static_selectorELNS0_4arch9wavefront6targetE0EEEvSZ_
                                        ; -- End function
	.set _ZN7rocprim17ROCPRIM_400000_NS6detail17trampoline_kernelINS0_13select_configILj256ELj13ELNS0_17block_load_methodE3ELS4_3ELS4_3ELNS0_20block_scan_algorithmE0ELj4294967295EEENS1_25partition_config_selectorILNS1_17partition_subalgoE3EjNS0_10empty_typeEbEEZZNS1_14partition_implILS8_3ELb0ES6_jNS0_17counting_iteratorIjlEEPS9_SE_NS0_5tupleIJPjSE_EEENSF_IJSE_SE_EEES9_SG_JZNS1_25segmented_radix_sort_implINS0_14default_configELb1EPK6__halfPSL_PKlPlN2at6native12_GLOBAL__N_18offset_tEEE10hipError_tPvRmT1_PNSt15iterator_traitsISZ_E10value_typeET2_T3_PNS10_IS15_E10value_typeET4_jRbjT5_S1B_jjP12ihipStream_tbEUljE_EEESW_SX_SY_S15_S19_S1B_T6_T7_T9_mT8_S1D_bDpT10_ENKUlT_T0_E_clISt17integral_constantIbLb0EES1P_IbLb1EEEEDaS1L_S1M_EUlS1L_E_NS1_11comp_targetILNS1_3genE8ELNS1_11target_archE1030ELNS1_3gpuE2ELNS1_3repE0EEENS1_30default_config_static_selectorELNS0_4arch9wavefront6targetE0EEEvSZ_.num_vgpr, 0
	.set _ZN7rocprim17ROCPRIM_400000_NS6detail17trampoline_kernelINS0_13select_configILj256ELj13ELNS0_17block_load_methodE3ELS4_3ELS4_3ELNS0_20block_scan_algorithmE0ELj4294967295EEENS1_25partition_config_selectorILNS1_17partition_subalgoE3EjNS0_10empty_typeEbEEZZNS1_14partition_implILS8_3ELb0ES6_jNS0_17counting_iteratorIjlEEPS9_SE_NS0_5tupleIJPjSE_EEENSF_IJSE_SE_EEES9_SG_JZNS1_25segmented_radix_sort_implINS0_14default_configELb1EPK6__halfPSL_PKlPlN2at6native12_GLOBAL__N_18offset_tEEE10hipError_tPvRmT1_PNSt15iterator_traitsISZ_E10value_typeET2_T3_PNS10_IS15_E10value_typeET4_jRbjT5_S1B_jjP12ihipStream_tbEUljE_EEESW_SX_SY_S15_S19_S1B_T6_T7_T9_mT8_S1D_bDpT10_ENKUlT_T0_E_clISt17integral_constantIbLb0EES1P_IbLb1EEEEDaS1L_S1M_EUlS1L_E_NS1_11comp_targetILNS1_3genE8ELNS1_11target_archE1030ELNS1_3gpuE2ELNS1_3repE0EEENS1_30default_config_static_selectorELNS0_4arch9wavefront6targetE0EEEvSZ_.num_agpr, 0
	.set _ZN7rocprim17ROCPRIM_400000_NS6detail17trampoline_kernelINS0_13select_configILj256ELj13ELNS0_17block_load_methodE3ELS4_3ELS4_3ELNS0_20block_scan_algorithmE0ELj4294967295EEENS1_25partition_config_selectorILNS1_17partition_subalgoE3EjNS0_10empty_typeEbEEZZNS1_14partition_implILS8_3ELb0ES6_jNS0_17counting_iteratorIjlEEPS9_SE_NS0_5tupleIJPjSE_EEENSF_IJSE_SE_EEES9_SG_JZNS1_25segmented_radix_sort_implINS0_14default_configELb1EPK6__halfPSL_PKlPlN2at6native12_GLOBAL__N_18offset_tEEE10hipError_tPvRmT1_PNSt15iterator_traitsISZ_E10value_typeET2_T3_PNS10_IS15_E10value_typeET4_jRbjT5_S1B_jjP12ihipStream_tbEUljE_EEESW_SX_SY_S15_S19_S1B_T6_T7_T9_mT8_S1D_bDpT10_ENKUlT_T0_E_clISt17integral_constantIbLb0EES1P_IbLb1EEEEDaS1L_S1M_EUlS1L_E_NS1_11comp_targetILNS1_3genE8ELNS1_11target_archE1030ELNS1_3gpuE2ELNS1_3repE0EEENS1_30default_config_static_selectorELNS0_4arch9wavefront6targetE0EEEvSZ_.numbered_sgpr, 0
	.set _ZN7rocprim17ROCPRIM_400000_NS6detail17trampoline_kernelINS0_13select_configILj256ELj13ELNS0_17block_load_methodE3ELS4_3ELS4_3ELNS0_20block_scan_algorithmE0ELj4294967295EEENS1_25partition_config_selectorILNS1_17partition_subalgoE3EjNS0_10empty_typeEbEEZZNS1_14partition_implILS8_3ELb0ES6_jNS0_17counting_iteratorIjlEEPS9_SE_NS0_5tupleIJPjSE_EEENSF_IJSE_SE_EEES9_SG_JZNS1_25segmented_radix_sort_implINS0_14default_configELb1EPK6__halfPSL_PKlPlN2at6native12_GLOBAL__N_18offset_tEEE10hipError_tPvRmT1_PNSt15iterator_traitsISZ_E10value_typeET2_T3_PNS10_IS15_E10value_typeET4_jRbjT5_S1B_jjP12ihipStream_tbEUljE_EEESW_SX_SY_S15_S19_S1B_T6_T7_T9_mT8_S1D_bDpT10_ENKUlT_T0_E_clISt17integral_constantIbLb0EES1P_IbLb1EEEEDaS1L_S1M_EUlS1L_E_NS1_11comp_targetILNS1_3genE8ELNS1_11target_archE1030ELNS1_3gpuE2ELNS1_3repE0EEENS1_30default_config_static_selectorELNS0_4arch9wavefront6targetE0EEEvSZ_.num_named_barrier, 0
	.set _ZN7rocprim17ROCPRIM_400000_NS6detail17trampoline_kernelINS0_13select_configILj256ELj13ELNS0_17block_load_methodE3ELS4_3ELS4_3ELNS0_20block_scan_algorithmE0ELj4294967295EEENS1_25partition_config_selectorILNS1_17partition_subalgoE3EjNS0_10empty_typeEbEEZZNS1_14partition_implILS8_3ELb0ES6_jNS0_17counting_iteratorIjlEEPS9_SE_NS0_5tupleIJPjSE_EEENSF_IJSE_SE_EEES9_SG_JZNS1_25segmented_radix_sort_implINS0_14default_configELb1EPK6__halfPSL_PKlPlN2at6native12_GLOBAL__N_18offset_tEEE10hipError_tPvRmT1_PNSt15iterator_traitsISZ_E10value_typeET2_T3_PNS10_IS15_E10value_typeET4_jRbjT5_S1B_jjP12ihipStream_tbEUljE_EEESW_SX_SY_S15_S19_S1B_T6_T7_T9_mT8_S1D_bDpT10_ENKUlT_T0_E_clISt17integral_constantIbLb0EES1P_IbLb1EEEEDaS1L_S1M_EUlS1L_E_NS1_11comp_targetILNS1_3genE8ELNS1_11target_archE1030ELNS1_3gpuE2ELNS1_3repE0EEENS1_30default_config_static_selectorELNS0_4arch9wavefront6targetE0EEEvSZ_.private_seg_size, 0
	.set _ZN7rocprim17ROCPRIM_400000_NS6detail17trampoline_kernelINS0_13select_configILj256ELj13ELNS0_17block_load_methodE3ELS4_3ELS4_3ELNS0_20block_scan_algorithmE0ELj4294967295EEENS1_25partition_config_selectorILNS1_17partition_subalgoE3EjNS0_10empty_typeEbEEZZNS1_14partition_implILS8_3ELb0ES6_jNS0_17counting_iteratorIjlEEPS9_SE_NS0_5tupleIJPjSE_EEENSF_IJSE_SE_EEES9_SG_JZNS1_25segmented_radix_sort_implINS0_14default_configELb1EPK6__halfPSL_PKlPlN2at6native12_GLOBAL__N_18offset_tEEE10hipError_tPvRmT1_PNSt15iterator_traitsISZ_E10value_typeET2_T3_PNS10_IS15_E10value_typeET4_jRbjT5_S1B_jjP12ihipStream_tbEUljE_EEESW_SX_SY_S15_S19_S1B_T6_T7_T9_mT8_S1D_bDpT10_ENKUlT_T0_E_clISt17integral_constantIbLb0EES1P_IbLb1EEEEDaS1L_S1M_EUlS1L_E_NS1_11comp_targetILNS1_3genE8ELNS1_11target_archE1030ELNS1_3gpuE2ELNS1_3repE0EEENS1_30default_config_static_selectorELNS0_4arch9wavefront6targetE0EEEvSZ_.uses_vcc, 0
	.set _ZN7rocprim17ROCPRIM_400000_NS6detail17trampoline_kernelINS0_13select_configILj256ELj13ELNS0_17block_load_methodE3ELS4_3ELS4_3ELNS0_20block_scan_algorithmE0ELj4294967295EEENS1_25partition_config_selectorILNS1_17partition_subalgoE3EjNS0_10empty_typeEbEEZZNS1_14partition_implILS8_3ELb0ES6_jNS0_17counting_iteratorIjlEEPS9_SE_NS0_5tupleIJPjSE_EEENSF_IJSE_SE_EEES9_SG_JZNS1_25segmented_radix_sort_implINS0_14default_configELb1EPK6__halfPSL_PKlPlN2at6native12_GLOBAL__N_18offset_tEEE10hipError_tPvRmT1_PNSt15iterator_traitsISZ_E10value_typeET2_T3_PNS10_IS15_E10value_typeET4_jRbjT5_S1B_jjP12ihipStream_tbEUljE_EEESW_SX_SY_S15_S19_S1B_T6_T7_T9_mT8_S1D_bDpT10_ENKUlT_T0_E_clISt17integral_constantIbLb0EES1P_IbLb1EEEEDaS1L_S1M_EUlS1L_E_NS1_11comp_targetILNS1_3genE8ELNS1_11target_archE1030ELNS1_3gpuE2ELNS1_3repE0EEENS1_30default_config_static_selectorELNS0_4arch9wavefront6targetE0EEEvSZ_.uses_flat_scratch, 0
	.set _ZN7rocprim17ROCPRIM_400000_NS6detail17trampoline_kernelINS0_13select_configILj256ELj13ELNS0_17block_load_methodE3ELS4_3ELS4_3ELNS0_20block_scan_algorithmE0ELj4294967295EEENS1_25partition_config_selectorILNS1_17partition_subalgoE3EjNS0_10empty_typeEbEEZZNS1_14partition_implILS8_3ELb0ES6_jNS0_17counting_iteratorIjlEEPS9_SE_NS0_5tupleIJPjSE_EEENSF_IJSE_SE_EEES9_SG_JZNS1_25segmented_radix_sort_implINS0_14default_configELb1EPK6__halfPSL_PKlPlN2at6native12_GLOBAL__N_18offset_tEEE10hipError_tPvRmT1_PNSt15iterator_traitsISZ_E10value_typeET2_T3_PNS10_IS15_E10value_typeET4_jRbjT5_S1B_jjP12ihipStream_tbEUljE_EEESW_SX_SY_S15_S19_S1B_T6_T7_T9_mT8_S1D_bDpT10_ENKUlT_T0_E_clISt17integral_constantIbLb0EES1P_IbLb1EEEEDaS1L_S1M_EUlS1L_E_NS1_11comp_targetILNS1_3genE8ELNS1_11target_archE1030ELNS1_3gpuE2ELNS1_3repE0EEENS1_30default_config_static_selectorELNS0_4arch9wavefront6targetE0EEEvSZ_.has_dyn_sized_stack, 0
	.set _ZN7rocprim17ROCPRIM_400000_NS6detail17trampoline_kernelINS0_13select_configILj256ELj13ELNS0_17block_load_methodE3ELS4_3ELS4_3ELNS0_20block_scan_algorithmE0ELj4294967295EEENS1_25partition_config_selectorILNS1_17partition_subalgoE3EjNS0_10empty_typeEbEEZZNS1_14partition_implILS8_3ELb0ES6_jNS0_17counting_iteratorIjlEEPS9_SE_NS0_5tupleIJPjSE_EEENSF_IJSE_SE_EEES9_SG_JZNS1_25segmented_radix_sort_implINS0_14default_configELb1EPK6__halfPSL_PKlPlN2at6native12_GLOBAL__N_18offset_tEEE10hipError_tPvRmT1_PNSt15iterator_traitsISZ_E10value_typeET2_T3_PNS10_IS15_E10value_typeET4_jRbjT5_S1B_jjP12ihipStream_tbEUljE_EEESW_SX_SY_S15_S19_S1B_T6_T7_T9_mT8_S1D_bDpT10_ENKUlT_T0_E_clISt17integral_constantIbLb0EES1P_IbLb1EEEEDaS1L_S1M_EUlS1L_E_NS1_11comp_targetILNS1_3genE8ELNS1_11target_archE1030ELNS1_3gpuE2ELNS1_3repE0EEENS1_30default_config_static_selectorELNS0_4arch9wavefront6targetE0EEEvSZ_.has_recursion, 0
	.set _ZN7rocprim17ROCPRIM_400000_NS6detail17trampoline_kernelINS0_13select_configILj256ELj13ELNS0_17block_load_methodE3ELS4_3ELS4_3ELNS0_20block_scan_algorithmE0ELj4294967295EEENS1_25partition_config_selectorILNS1_17partition_subalgoE3EjNS0_10empty_typeEbEEZZNS1_14partition_implILS8_3ELb0ES6_jNS0_17counting_iteratorIjlEEPS9_SE_NS0_5tupleIJPjSE_EEENSF_IJSE_SE_EEES9_SG_JZNS1_25segmented_radix_sort_implINS0_14default_configELb1EPK6__halfPSL_PKlPlN2at6native12_GLOBAL__N_18offset_tEEE10hipError_tPvRmT1_PNSt15iterator_traitsISZ_E10value_typeET2_T3_PNS10_IS15_E10value_typeET4_jRbjT5_S1B_jjP12ihipStream_tbEUljE_EEESW_SX_SY_S15_S19_S1B_T6_T7_T9_mT8_S1D_bDpT10_ENKUlT_T0_E_clISt17integral_constantIbLb0EES1P_IbLb1EEEEDaS1L_S1M_EUlS1L_E_NS1_11comp_targetILNS1_3genE8ELNS1_11target_archE1030ELNS1_3gpuE2ELNS1_3repE0EEENS1_30default_config_static_selectorELNS0_4arch9wavefront6targetE0EEEvSZ_.has_indirect_call, 0
	.section	.AMDGPU.csdata,"",@progbits
; Kernel info:
; codeLenInByte = 0
; TotalNumSgprs: 0
; NumVgprs: 0
; ScratchSize: 0
; MemoryBound: 0
; FloatMode: 240
; IeeeMode: 1
; LDSByteSize: 0 bytes/workgroup (compile time only)
; SGPRBlocks: 0
; VGPRBlocks: 0
; NumSGPRsForWavesPerEU: 1
; NumVGPRsForWavesPerEU: 1
; Occupancy: 16
; WaveLimiterHint : 0
; COMPUTE_PGM_RSRC2:SCRATCH_EN: 0
; COMPUTE_PGM_RSRC2:USER_SGPR: 2
; COMPUTE_PGM_RSRC2:TRAP_HANDLER: 0
; COMPUTE_PGM_RSRC2:TGID_X_EN: 1
; COMPUTE_PGM_RSRC2:TGID_Y_EN: 0
; COMPUTE_PGM_RSRC2:TGID_Z_EN: 0
; COMPUTE_PGM_RSRC2:TIDIG_COMP_CNT: 0
	.section	.text._ZN7rocprim17ROCPRIM_400000_NS6detail17trampoline_kernelINS0_14default_configENS1_36segmented_radix_sort_config_selectorI6__halflEEZNS1_25segmented_radix_sort_implIS3_Lb1EPKS5_PS5_PKlPlN2at6native12_GLOBAL__N_18offset_tEEE10hipError_tPvRmT1_PNSt15iterator_traitsISL_E10value_typeET2_T3_PNSM_ISR_E10value_typeET4_jRbjT5_SX_jjP12ihipStream_tbEUlT_E_NS1_11comp_targetILNS1_3genE0ELNS1_11target_archE4294967295ELNS1_3gpuE0ELNS1_3repE0EEENS1_30default_config_static_selectorELNS0_4arch9wavefront6targetE0EEEvSL_,"axG",@progbits,_ZN7rocprim17ROCPRIM_400000_NS6detail17trampoline_kernelINS0_14default_configENS1_36segmented_radix_sort_config_selectorI6__halflEEZNS1_25segmented_radix_sort_implIS3_Lb1EPKS5_PS5_PKlPlN2at6native12_GLOBAL__N_18offset_tEEE10hipError_tPvRmT1_PNSt15iterator_traitsISL_E10value_typeET2_T3_PNSM_ISR_E10value_typeET4_jRbjT5_SX_jjP12ihipStream_tbEUlT_E_NS1_11comp_targetILNS1_3genE0ELNS1_11target_archE4294967295ELNS1_3gpuE0ELNS1_3repE0EEENS1_30default_config_static_selectorELNS0_4arch9wavefront6targetE0EEEvSL_,comdat
	.globl	_ZN7rocprim17ROCPRIM_400000_NS6detail17trampoline_kernelINS0_14default_configENS1_36segmented_radix_sort_config_selectorI6__halflEEZNS1_25segmented_radix_sort_implIS3_Lb1EPKS5_PS5_PKlPlN2at6native12_GLOBAL__N_18offset_tEEE10hipError_tPvRmT1_PNSt15iterator_traitsISL_E10value_typeET2_T3_PNSM_ISR_E10value_typeET4_jRbjT5_SX_jjP12ihipStream_tbEUlT_E_NS1_11comp_targetILNS1_3genE0ELNS1_11target_archE4294967295ELNS1_3gpuE0ELNS1_3repE0EEENS1_30default_config_static_selectorELNS0_4arch9wavefront6targetE0EEEvSL_ ; -- Begin function _ZN7rocprim17ROCPRIM_400000_NS6detail17trampoline_kernelINS0_14default_configENS1_36segmented_radix_sort_config_selectorI6__halflEEZNS1_25segmented_radix_sort_implIS3_Lb1EPKS5_PS5_PKlPlN2at6native12_GLOBAL__N_18offset_tEEE10hipError_tPvRmT1_PNSt15iterator_traitsISL_E10value_typeET2_T3_PNSM_ISR_E10value_typeET4_jRbjT5_SX_jjP12ihipStream_tbEUlT_E_NS1_11comp_targetILNS1_3genE0ELNS1_11target_archE4294967295ELNS1_3gpuE0ELNS1_3repE0EEENS1_30default_config_static_selectorELNS0_4arch9wavefront6targetE0EEEvSL_
	.p2align	8
	.type	_ZN7rocprim17ROCPRIM_400000_NS6detail17trampoline_kernelINS0_14default_configENS1_36segmented_radix_sort_config_selectorI6__halflEEZNS1_25segmented_radix_sort_implIS3_Lb1EPKS5_PS5_PKlPlN2at6native12_GLOBAL__N_18offset_tEEE10hipError_tPvRmT1_PNSt15iterator_traitsISL_E10value_typeET2_T3_PNSM_ISR_E10value_typeET4_jRbjT5_SX_jjP12ihipStream_tbEUlT_E_NS1_11comp_targetILNS1_3genE0ELNS1_11target_archE4294967295ELNS1_3gpuE0ELNS1_3repE0EEENS1_30default_config_static_selectorELNS0_4arch9wavefront6targetE0EEEvSL_,@function
_ZN7rocprim17ROCPRIM_400000_NS6detail17trampoline_kernelINS0_14default_configENS1_36segmented_radix_sort_config_selectorI6__halflEEZNS1_25segmented_radix_sort_implIS3_Lb1EPKS5_PS5_PKlPlN2at6native12_GLOBAL__N_18offset_tEEE10hipError_tPvRmT1_PNSt15iterator_traitsISL_E10value_typeET2_T3_PNSM_ISR_E10value_typeET4_jRbjT5_SX_jjP12ihipStream_tbEUlT_E_NS1_11comp_targetILNS1_3genE0ELNS1_11target_archE4294967295ELNS1_3gpuE0ELNS1_3repE0EEENS1_30default_config_static_selectorELNS0_4arch9wavefront6targetE0EEEvSL_: ; @_ZN7rocprim17ROCPRIM_400000_NS6detail17trampoline_kernelINS0_14default_configENS1_36segmented_radix_sort_config_selectorI6__halflEEZNS1_25segmented_radix_sort_implIS3_Lb1EPKS5_PS5_PKlPlN2at6native12_GLOBAL__N_18offset_tEEE10hipError_tPvRmT1_PNSt15iterator_traitsISL_E10value_typeET2_T3_PNSM_ISR_E10value_typeET4_jRbjT5_SX_jjP12ihipStream_tbEUlT_E_NS1_11comp_targetILNS1_3genE0ELNS1_11target_archE4294967295ELNS1_3gpuE0ELNS1_3repE0EEENS1_30default_config_static_selectorELNS0_4arch9wavefront6targetE0EEEvSL_
; %bb.0:
	.section	.rodata,"a",@progbits
	.p2align	6, 0x0
	.amdhsa_kernel _ZN7rocprim17ROCPRIM_400000_NS6detail17trampoline_kernelINS0_14default_configENS1_36segmented_radix_sort_config_selectorI6__halflEEZNS1_25segmented_radix_sort_implIS3_Lb1EPKS5_PS5_PKlPlN2at6native12_GLOBAL__N_18offset_tEEE10hipError_tPvRmT1_PNSt15iterator_traitsISL_E10value_typeET2_T3_PNSM_ISR_E10value_typeET4_jRbjT5_SX_jjP12ihipStream_tbEUlT_E_NS1_11comp_targetILNS1_3genE0ELNS1_11target_archE4294967295ELNS1_3gpuE0ELNS1_3repE0EEENS1_30default_config_static_selectorELNS0_4arch9wavefront6targetE0EEEvSL_
		.amdhsa_group_segment_fixed_size 0
		.amdhsa_private_segment_fixed_size 0
		.amdhsa_kernarg_size 96
		.amdhsa_user_sgpr_count 2
		.amdhsa_user_sgpr_dispatch_ptr 0
		.amdhsa_user_sgpr_queue_ptr 0
		.amdhsa_user_sgpr_kernarg_segment_ptr 1
		.amdhsa_user_sgpr_dispatch_id 0
		.amdhsa_user_sgpr_private_segment_size 0
		.amdhsa_wavefront_size32 1
		.amdhsa_uses_dynamic_stack 0
		.amdhsa_enable_private_segment 0
		.amdhsa_system_sgpr_workgroup_id_x 1
		.amdhsa_system_sgpr_workgroup_id_y 0
		.amdhsa_system_sgpr_workgroup_id_z 0
		.amdhsa_system_sgpr_workgroup_info 0
		.amdhsa_system_vgpr_workitem_id 0
		.amdhsa_next_free_vgpr 1
		.amdhsa_next_free_sgpr 1
		.amdhsa_reserve_vcc 0
		.amdhsa_float_round_mode_32 0
		.amdhsa_float_round_mode_16_64 0
		.amdhsa_float_denorm_mode_32 3
		.amdhsa_float_denorm_mode_16_64 3
		.amdhsa_fp16_overflow 0
		.amdhsa_workgroup_processor_mode 1
		.amdhsa_memory_ordered 1
		.amdhsa_forward_progress 1
		.amdhsa_inst_pref_size 0
		.amdhsa_round_robin_scheduling 0
		.amdhsa_exception_fp_ieee_invalid_op 0
		.amdhsa_exception_fp_denorm_src 0
		.amdhsa_exception_fp_ieee_div_zero 0
		.amdhsa_exception_fp_ieee_overflow 0
		.amdhsa_exception_fp_ieee_underflow 0
		.amdhsa_exception_fp_ieee_inexact 0
		.amdhsa_exception_int_div_zero 0
	.end_amdhsa_kernel
	.section	.text._ZN7rocprim17ROCPRIM_400000_NS6detail17trampoline_kernelINS0_14default_configENS1_36segmented_radix_sort_config_selectorI6__halflEEZNS1_25segmented_radix_sort_implIS3_Lb1EPKS5_PS5_PKlPlN2at6native12_GLOBAL__N_18offset_tEEE10hipError_tPvRmT1_PNSt15iterator_traitsISL_E10value_typeET2_T3_PNSM_ISR_E10value_typeET4_jRbjT5_SX_jjP12ihipStream_tbEUlT_E_NS1_11comp_targetILNS1_3genE0ELNS1_11target_archE4294967295ELNS1_3gpuE0ELNS1_3repE0EEENS1_30default_config_static_selectorELNS0_4arch9wavefront6targetE0EEEvSL_,"axG",@progbits,_ZN7rocprim17ROCPRIM_400000_NS6detail17trampoline_kernelINS0_14default_configENS1_36segmented_radix_sort_config_selectorI6__halflEEZNS1_25segmented_radix_sort_implIS3_Lb1EPKS5_PS5_PKlPlN2at6native12_GLOBAL__N_18offset_tEEE10hipError_tPvRmT1_PNSt15iterator_traitsISL_E10value_typeET2_T3_PNSM_ISR_E10value_typeET4_jRbjT5_SX_jjP12ihipStream_tbEUlT_E_NS1_11comp_targetILNS1_3genE0ELNS1_11target_archE4294967295ELNS1_3gpuE0ELNS1_3repE0EEENS1_30default_config_static_selectorELNS0_4arch9wavefront6targetE0EEEvSL_,comdat
.Lfunc_end1739:
	.size	_ZN7rocprim17ROCPRIM_400000_NS6detail17trampoline_kernelINS0_14default_configENS1_36segmented_radix_sort_config_selectorI6__halflEEZNS1_25segmented_radix_sort_implIS3_Lb1EPKS5_PS5_PKlPlN2at6native12_GLOBAL__N_18offset_tEEE10hipError_tPvRmT1_PNSt15iterator_traitsISL_E10value_typeET2_T3_PNSM_ISR_E10value_typeET4_jRbjT5_SX_jjP12ihipStream_tbEUlT_E_NS1_11comp_targetILNS1_3genE0ELNS1_11target_archE4294967295ELNS1_3gpuE0ELNS1_3repE0EEENS1_30default_config_static_selectorELNS0_4arch9wavefront6targetE0EEEvSL_, .Lfunc_end1739-_ZN7rocprim17ROCPRIM_400000_NS6detail17trampoline_kernelINS0_14default_configENS1_36segmented_radix_sort_config_selectorI6__halflEEZNS1_25segmented_radix_sort_implIS3_Lb1EPKS5_PS5_PKlPlN2at6native12_GLOBAL__N_18offset_tEEE10hipError_tPvRmT1_PNSt15iterator_traitsISL_E10value_typeET2_T3_PNSM_ISR_E10value_typeET4_jRbjT5_SX_jjP12ihipStream_tbEUlT_E_NS1_11comp_targetILNS1_3genE0ELNS1_11target_archE4294967295ELNS1_3gpuE0ELNS1_3repE0EEENS1_30default_config_static_selectorELNS0_4arch9wavefront6targetE0EEEvSL_
                                        ; -- End function
	.set _ZN7rocprim17ROCPRIM_400000_NS6detail17trampoline_kernelINS0_14default_configENS1_36segmented_radix_sort_config_selectorI6__halflEEZNS1_25segmented_radix_sort_implIS3_Lb1EPKS5_PS5_PKlPlN2at6native12_GLOBAL__N_18offset_tEEE10hipError_tPvRmT1_PNSt15iterator_traitsISL_E10value_typeET2_T3_PNSM_ISR_E10value_typeET4_jRbjT5_SX_jjP12ihipStream_tbEUlT_E_NS1_11comp_targetILNS1_3genE0ELNS1_11target_archE4294967295ELNS1_3gpuE0ELNS1_3repE0EEENS1_30default_config_static_selectorELNS0_4arch9wavefront6targetE0EEEvSL_.num_vgpr, 0
	.set _ZN7rocprim17ROCPRIM_400000_NS6detail17trampoline_kernelINS0_14default_configENS1_36segmented_radix_sort_config_selectorI6__halflEEZNS1_25segmented_radix_sort_implIS3_Lb1EPKS5_PS5_PKlPlN2at6native12_GLOBAL__N_18offset_tEEE10hipError_tPvRmT1_PNSt15iterator_traitsISL_E10value_typeET2_T3_PNSM_ISR_E10value_typeET4_jRbjT5_SX_jjP12ihipStream_tbEUlT_E_NS1_11comp_targetILNS1_3genE0ELNS1_11target_archE4294967295ELNS1_3gpuE0ELNS1_3repE0EEENS1_30default_config_static_selectorELNS0_4arch9wavefront6targetE0EEEvSL_.num_agpr, 0
	.set _ZN7rocprim17ROCPRIM_400000_NS6detail17trampoline_kernelINS0_14default_configENS1_36segmented_radix_sort_config_selectorI6__halflEEZNS1_25segmented_radix_sort_implIS3_Lb1EPKS5_PS5_PKlPlN2at6native12_GLOBAL__N_18offset_tEEE10hipError_tPvRmT1_PNSt15iterator_traitsISL_E10value_typeET2_T3_PNSM_ISR_E10value_typeET4_jRbjT5_SX_jjP12ihipStream_tbEUlT_E_NS1_11comp_targetILNS1_3genE0ELNS1_11target_archE4294967295ELNS1_3gpuE0ELNS1_3repE0EEENS1_30default_config_static_selectorELNS0_4arch9wavefront6targetE0EEEvSL_.numbered_sgpr, 0
	.set _ZN7rocprim17ROCPRIM_400000_NS6detail17trampoline_kernelINS0_14default_configENS1_36segmented_radix_sort_config_selectorI6__halflEEZNS1_25segmented_radix_sort_implIS3_Lb1EPKS5_PS5_PKlPlN2at6native12_GLOBAL__N_18offset_tEEE10hipError_tPvRmT1_PNSt15iterator_traitsISL_E10value_typeET2_T3_PNSM_ISR_E10value_typeET4_jRbjT5_SX_jjP12ihipStream_tbEUlT_E_NS1_11comp_targetILNS1_3genE0ELNS1_11target_archE4294967295ELNS1_3gpuE0ELNS1_3repE0EEENS1_30default_config_static_selectorELNS0_4arch9wavefront6targetE0EEEvSL_.num_named_barrier, 0
	.set _ZN7rocprim17ROCPRIM_400000_NS6detail17trampoline_kernelINS0_14default_configENS1_36segmented_radix_sort_config_selectorI6__halflEEZNS1_25segmented_radix_sort_implIS3_Lb1EPKS5_PS5_PKlPlN2at6native12_GLOBAL__N_18offset_tEEE10hipError_tPvRmT1_PNSt15iterator_traitsISL_E10value_typeET2_T3_PNSM_ISR_E10value_typeET4_jRbjT5_SX_jjP12ihipStream_tbEUlT_E_NS1_11comp_targetILNS1_3genE0ELNS1_11target_archE4294967295ELNS1_3gpuE0ELNS1_3repE0EEENS1_30default_config_static_selectorELNS0_4arch9wavefront6targetE0EEEvSL_.private_seg_size, 0
	.set _ZN7rocprim17ROCPRIM_400000_NS6detail17trampoline_kernelINS0_14default_configENS1_36segmented_radix_sort_config_selectorI6__halflEEZNS1_25segmented_radix_sort_implIS3_Lb1EPKS5_PS5_PKlPlN2at6native12_GLOBAL__N_18offset_tEEE10hipError_tPvRmT1_PNSt15iterator_traitsISL_E10value_typeET2_T3_PNSM_ISR_E10value_typeET4_jRbjT5_SX_jjP12ihipStream_tbEUlT_E_NS1_11comp_targetILNS1_3genE0ELNS1_11target_archE4294967295ELNS1_3gpuE0ELNS1_3repE0EEENS1_30default_config_static_selectorELNS0_4arch9wavefront6targetE0EEEvSL_.uses_vcc, 0
	.set _ZN7rocprim17ROCPRIM_400000_NS6detail17trampoline_kernelINS0_14default_configENS1_36segmented_radix_sort_config_selectorI6__halflEEZNS1_25segmented_radix_sort_implIS3_Lb1EPKS5_PS5_PKlPlN2at6native12_GLOBAL__N_18offset_tEEE10hipError_tPvRmT1_PNSt15iterator_traitsISL_E10value_typeET2_T3_PNSM_ISR_E10value_typeET4_jRbjT5_SX_jjP12ihipStream_tbEUlT_E_NS1_11comp_targetILNS1_3genE0ELNS1_11target_archE4294967295ELNS1_3gpuE0ELNS1_3repE0EEENS1_30default_config_static_selectorELNS0_4arch9wavefront6targetE0EEEvSL_.uses_flat_scratch, 0
	.set _ZN7rocprim17ROCPRIM_400000_NS6detail17trampoline_kernelINS0_14default_configENS1_36segmented_radix_sort_config_selectorI6__halflEEZNS1_25segmented_radix_sort_implIS3_Lb1EPKS5_PS5_PKlPlN2at6native12_GLOBAL__N_18offset_tEEE10hipError_tPvRmT1_PNSt15iterator_traitsISL_E10value_typeET2_T3_PNSM_ISR_E10value_typeET4_jRbjT5_SX_jjP12ihipStream_tbEUlT_E_NS1_11comp_targetILNS1_3genE0ELNS1_11target_archE4294967295ELNS1_3gpuE0ELNS1_3repE0EEENS1_30default_config_static_selectorELNS0_4arch9wavefront6targetE0EEEvSL_.has_dyn_sized_stack, 0
	.set _ZN7rocprim17ROCPRIM_400000_NS6detail17trampoline_kernelINS0_14default_configENS1_36segmented_radix_sort_config_selectorI6__halflEEZNS1_25segmented_radix_sort_implIS3_Lb1EPKS5_PS5_PKlPlN2at6native12_GLOBAL__N_18offset_tEEE10hipError_tPvRmT1_PNSt15iterator_traitsISL_E10value_typeET2_T3_PNSM_ISR_E10value_typeET4_jRbjT5_SX_jjP12ihipStream_tbEUlT_E_NS1_11comp_targetILNS1_3genE0ELNS1_11target_archE4294967295ELNS1_3gpuE0ELNS1_3repE0EEENS1_30default_config_static_selectorELNS0_4arch9wavefront6targetE0EEEvSL_.has_recursion, 0
	.set _ZN7rocprim17ROCPRIM_400000_NS6detail17trampoline_kernelINS0_14default_configENS1_36segmented_radix_sort_config_selectorI6__halflEEZNS1_25segmented_radix_sort_implIS3_Lb1EPKS5_PS5_PKlPlN2at6native12_GLOBAL__N_18offset_tEEE10hipError_tPvRmT1_PNSt15iterator_traitsISL_E10value_typeET2_T3_PNSM_ISR_E10value_typeET4_jRbjT5_SX_jjP12ihipStream_tbEUlT_E_NS1_11comp_targetILNS1_3genE0ELNS1_11target_archE4294967295ELNS1_3gpuE0ELNS1_3repE0EEENS1_30default_config_static_selectorELNS0_4arch9wavefront6targetE0EEEvSL_.has_indirect_call, 0
	.section	.AMDGPU.csdata,"",@progbits
; Kernel info:
; codeLenInByte = 0
; TotalNumSgprs: 0
; NumVgprs: 0
; ScratchSize: 0
; MemoryBound: 0
; FloatMode: 240
; IeeeMode: 1
; LDSByteSize: 0 bytes/workgroup (compile time only)
; SGPRBlocks: 0
; VGPRBlocks: 0
; NumSGPRsForWavesPerEU: 1
; NumVGPRsForWavesPerEU: 1
; Occupancy: 16
; WaveLimiterHint : 0
; COMPUTE_PGM_RSRC2:SCRATCH_EN: 0
; COMPUTE_PGM_RSRC2:USER_SGPR: 2
; COMPUTE_PGM_RSRC2:TRAP_HANDLER: 0
; COMPUTE_PGM_RSRC2:TGID_X_EN: 1
; COMPUTE_PGM_RSRC2:TGID_Y_EN: 0
; COMPUTE_PGM_RSRC2:TGID_Z_EN: 0
; COMPUTE_PGM_RSRC2:TIDIG_COMP_CNT: 0
	.section	.text._ZN7rocprim17ROCPRIM_400000_NS6detail17trampoline_kernelINS0_14default_configENS1_36segmented_radix_sort_config_selectorI6__halflEEZNS1_25segmented_radix_sort_implIS3_Lb1EPKS5_PS5_PKlPlN2at6native12_GLOBAL__N_18offset_tEEE10hipError_tPvRmT1_PNSt15iterator_traitsISL_E10value_typeET2_T3_PNSM_ISR_E10value_typeET4_jRbjT5_SX_jjP12ihipStream_tbEUlT_E_NS1_11comp_targetILNS1_3genE5ELNS1_11target_archE942ELNS1_3gpuE9ELNS1_3repE0EEENS1_30default_config_static_selectorELNS0_4arch9wavefront6targetE0EEEvSL_,"axG",@progbits,_ZN7rocprim17ROCPRIM_400000_NS6detail17trampoline_kernelINS0_14default_configENS1_36segmented_radix_sort_config_selectorI6__halflEEZNS1_25segmented_radix_sort_implIS3_Lb1EPKS5_PS5_PKlPlN2at6native12_GLOBAL__N_18offset_tEEE10hipError_tPvRmT1_PNSt15iterator_traitsISL_E10value_typeET2_T3_PNSM_ISR_E10value_typeET4_jRbjT5_SX_jjP12ihipStream_tbEUlT_E_NS1_11comp_targetILNS1_3genE5ELNS1_11target_archE942ELNS1_3gpuE9ELNS1_3repE0EEENS1_30default_config_static_selectorELNS0_4arch9wavefront6targetE0EEEvSL_,comdat
	.globl	_ZN7rocprim17ROCPRIM_400000_NS6detail17trampoline_kernelINS0_14default_configENS1_36segmented_radix_sort_config_selectorI6__halflEEZNS1_25segmented_radix_sort_implIS3_Lb1EPKS5_PS5_PKlPlN2at6native12_GLOBAL__N_18offset_tEEE10hipError_tPvRmT1_PNSt15iterator_traitsISL_E10value_typeET2_T3_PNSM_ISR_E10value_typeET4_jRbjT5_SX_jjP12ihipStream_tbEUlT_E_NS1_11comp_targetILNS1_3genE5ELNS1_11target_archE942ELNS1_3gpuE9ELNS1_3repE0EEENS1_30default_config_static_selectorELNS0_4arch9wavefront6targetE0EEEvSL_ ; -- Begin function _ZN7rocprim17ROCPRIM_400000_NS6detail17trampoline_kernelINS0_14default_configENS1_36segmented_radix_sort_config_selectorI6__halflEEZNS1_25segmented_radix_sort_implIS3_Lb1EPKS5_PS5_PKlPlN2at6native12_GLOBAL__N_18offset_tEEE10hipError_tPvRmT1_PNSt15iterator_traitsISL_E10value_typeET2_T3_PNSM_ISR_E10value_typeET4_jRbjT5_SX_jjP12ihipStream_tbEUlT_E_NS1_11comp_targetILNS1_3genE5ELNS1_11target_archE942ELNS1_3gpuE9ELNS1_3repE0EEENS1_30default_config_static_selectorELNS0_4arch9wavefront6targetE0EEEvSL_
	.p2align	8
	.type	_ZN7rocprim17ROCPRIM_400000_NS6detail17trampoline_kernelINS0_14default_configENS1_36segmented_radix_sort_config_selectorI6__halflEEZNS1_25segmented_radix_sort_implIS3_Lb1EPKS5_PS5_PKlPlN2at6native12_GLOBAL__N_18offset_tEEE10hipError_tPvRmT1_PNSt15iterator_traitsISL_E10value_typeET2_T3_PNSM_ISR_E10value_typeET4_jRbjT5_SX_jjP12ihipStream_tbEUlT_E_NS1_11comp_targetILNS1_3genE5ELNS1_11target_archE942ELNS1_3gpuE9ELNS1_3repE0EEENS1_30default_config_static_selectorELNS0_4arch9wavefront6targetE0EEEvSL_,@function
_ZN7rocprim17ROCPRIM_400000_NS6detail17trampoline_kernelINS0_14default_configENS1_36segmented_radix_sort_config_selectorI6__halflEEZNS1_25segmented_radix_sort_implIS3_Lb1EPKS5_PS5_PKlPlN2at6native12_GLOBAL__N_18offset_tEEE10hipError_tPvRmT1_PNSt15iterator_traitsISL_E10value_typeET2_T3_PNSM_ISR_E10value_typeET4_jRbjT5_SX_jjP12ihipStream_tbEUlT_E_NS1_11comp_targetILNS1_3genE5ELNS1_11target_archE942ELNS1_3gpuE9ELNS1_3repE0EEENS1_30default_config_static_selectorELNS0_4arch9wavefront6targetE0EEEvSL_: ; @_ZN7rocprim17ROCPRIM_400000_NS6detail17trampoline_kernelINS0_14default_configENS1_36segmented_radix_sort_config_selectorI6__halflEEZNS1_25segmented_radix_sort_implIS3_Lb1EPKS5_PS5_PKlPlN2at6native12_GLOBAL__N_18offset_tEEE10hipError_tPvRmT1_PNSt15iterator_traitsISL_E10value_typeET2_T3_PNSM_ISR_E10value_typeET4_jRbjT5_SX_jjP12ihipStream_tbEUlT_E_NS1_11comp_targetILNS1_3genE5ELNS1_11target_archE942ELNS1_3gpuE9ELNS1_3repE0EEENS1_30default_config_static_selectorELNS0_4arch9wavefront6targetE0EEEvSL_
; %bb.0:
	.section	.rodata,"a",@progbits
	.p2align	6, 0x0
	.amdhsa_kernel _ZN7rocprim17ROCPRIM_400000_NS6detail17trampoline_kernelINS0_14default_configENS1_36segmented_radix_sort_config_selectorI6__halflEEZNS1_25segmented_radix_sort_implIS3_Lb1EPKS5_PS5_PKlPlN2at6native12_GLOBAL__N_18offset_tEEE10hipError_tPvRmT1_PNSt15iterator_traitsISL_E10value_typeET2_T3_PNSM_ISR_E10value_typeET4_jRbjT5_SX_jjP12ihipStream_tbEUlT_E_NS1_11comp_targetILNS1_3genE5ELNS1_11target_archE942ELNS1_3gpuE9ELNS1_3repE0EEENS1_30default_config_static_selectorELNS0_4arch9wavefront6targetE0EEEvSL_
		.amdhsa_group_segment_fixed_size 0
		.amdhsa_private_segment_fixed_size 0
		.amdhsa_kernarg_size 96
		.amdhsa_user_sgpr_count 2
		.amdhsa_user_sgpr_dispatch_ptr 0
		.amdhsa_user_sgpr_queue_ptr 0
		.amdhsa_user_sgpr_kernarg_segment_ptr 1
		.amdhsa_user_sgpr_dispatch_id 0
		.amdhsa_user_sgpr_private_segment_size 0
		.amdhsa_wavefront_size32 1
		.amdhsa_uses_dynamic_stack 0
		.amdhsa_enable_private_segment 0
		.amdhsa_system_sgpr_workgroup_id_x 1
		.amdhsa_system_sgpr_workgroup_id_y 0
		.amdhsa_system_sgpr_workgroup_id_z 0
		.amdhsa_system_sgpr_workgroup_info 0
		.amdhsa_system_vgpr_workitem_id 0
		.amdhsa_next_free_vgpr 1
		.amdhsa_next_free_sgpr 1
		.amdhsa_reserve_vcc 0
		.amdhsa_float_round_mode_32 0
		.amdhsa_float_round_mode_16_64 0
		.amdhsa_float_denorm_mode_32 3
		.amdhsa_float_denorm_mode_16_64 3
		.amdhsa_fp16_overflow 0
		.amdhsa_workgroup_processor_mode 1
		.amdhsa_memory_ordered 1
		.amdhsa_forward_progress 1
		.amdhsa_inst_pref_size 0
		.amdhsa_round_robin_scheduling 0
		.amdhsa_exception_fp_ieee_invalid_op 0
		.amdhsa_exception_fp_denorm_src 0
		.amdhsa_exception_fp_ieee_div_zero 0
		.amdhsa_exception_fp_ieee_overflow 0
		.amdhsa_exception_fp_ieee_underflow 0
		.amdhsa_exception_fp_ieee_inexact 0
		.amdhsa_exception_int_div_zero 0
	.end_amdhsa_kernel
	.section	.text._ZN7rocprim17ROCPRIM_400000_NS6detail17trampoline_kernelINS0_14default_configENS1_36segmented_radix_sort_config_selectorI6__halflEEZNS1_25segmented_radix_sort_implIS3_Lb1EPKS5_PS5_PKlPlN2at6native12_GLOBAL__N_18offset_tEEE10hipError_tPvRmT1_PNSt15iterator_traitsISL_E10value_typeET2_T3_PNSM_ISR_E10value_typeET4_jRbjT5_SX_jjP12ihipStream_tbEUlT_E_NS1_11comp_targetILNS1_3genE5ELNS1_11target_archE942ELNS1_3gpuE9ELNS1_3repE0EEENS1_30default_config_static_selectorELNS0_4arch9wavefront6targetE0EEEvSL_,"axG",@progbits,_ZN7rocprim17ROCPRIM_400000_NS6detail17trampoline_kernelINS0_14default_configENS1_36segmented_radix_sort_config_selectorI6__halflEEZNS1_25segmented_radix_sort_implIS3_Lb1EPKS5_PS5_PKlPlN2at6native12_GLOBAL__N_18offset_tEEE10hipError_tPvRmT1_PNSt15iterator_traitsISL_E10value_typeET2_T3_PNSM_ISR_E10value_typeET4_jRbjT5_SX_jjP12ihipStream_tbEUlT_E_NS1_11comp_targetILNS1_3genE5ELNS1_11target_archE942ELNS1_3gpuE9ELNS1_3repE0EEENS1_30default_config_static_selectorELNS0_4arch9wavefront6targetE0EEEvSL_,comdat
.Lfunc_end1740:
	.size	_ZN7rocprim17ROCPRIM_400000_NS6detail17trampoline_kernelINS0_14default_configENS1_36segmented_radix_sort_config_selectorI6__halflEEZNS1_25segmented_radix_sort_implIS3_Lb1EPKS5_PS5_PKlPlN2at6native12_GLOBAL__N_18offset_tEEE10hipError_tPvRmT1_PNSt15iterator_traitsISL_E10value_typeET2_T3_PNSM_ISR_E10value_typeET4_jRbjT5_SX_jjP12ihipStream_tbEUlT_E_NS1_11comp_targetILNS1_3genE5ELNS1_11target_archE942ELNS1_3gpuE9ELNS1_3repE0EEENS1_30default_config_static_selectorELNS0_4arch9wavefront6targetE0EEEvSL_, .Lfunc_end1740-_ZN7rocprim17ROCPRIM_400000_NS6detail17trampoline_kernelINS0_14default_configENS1_36segmented_radix_sort_config_selectorI6__halflEEZNS1_25segmented_radix_sort_implIS3_Lb1EPKS5_PS5_PKlPlN2at6native12_GLOBAL__N_18offset_tEEE10hipError_tPvRmT1_PNSt15iterator_traitsISL_E10value_typeET2_T3_PNSM_ISR_E10value_typeET4_jRbjT5_SX_jjP12ihipStream_tbEUlT_E_NS1_11comp_targetILNS1_3genE5ELNS1_11target_archE942ELNS1_3gpuE9ELNS1_3repE0EEENS1_30default_config_static_selectorELNS0_4arch9wavefront6targetE0EEEvSL_
                                        ; -- End function
	.set _ZN7rocprim17ROCPRIM_400000_NS6detail17trampoline_kernelINS0_14default_configENS1_36segmented_radix_sort_config_selectorI6__halflEEZNS1_25segmented_radix_sort_implIS3_Lb1EPKS5_PS5_PKlPlN2at6native12_GLOBAL__N_18offset_tEEE10hipError_tPvRmT1_PNSt15iterator_traitsISL_E10value_typeET2_T3_PNSM_ISR_E10value_typeET4_jRbjT5_SX_jjP12ihipStream_tbEUlT_E_NS1_11comp_targetILNS1_3genE5ELNS1_11target_archE942ELNS1_3gpuE9ELNS1_3repE0EEENS1_30default_config_static_selectorELNS0_4arch9wavefront6targetE0EEEvSL_.num_vgpr, 0
	.set _ZN7rocprim17ROCPRIM_400000_NS6detail17trampoline_kernelINS0_14default_configENS1_36segmented_radix_sort_config_selectorI6__halflEEZNS1_25segmented_radix_sort_implIS3_Lb1EPKS5_PS5_PKlPlN2at6native12_GLOBAL__N_18offset_tEEE10hipError_tPvRmT1_PNSt15iterator_traitsISL_E10value_typeET2_T3_PNSM_ISR_E10value_typeET4_jRbjT5_SX_jjP12ihipStream_tbEUlT_E_NS1_11comp_targetILNS1_3genE5ELNS1_11target_archE942ELNS1_3gpuE9ELNS1_3repE0EEENS1_30default_config_static_selectorELNS0_4arch9wavefront6targetE0EEEvSL_.num_agpr, 0
	.set _ZN7rocprim17ROCPRIM_400000_NS6detail17trampoline_kernelINS0_14default_configENS1_36segmented_radix_sort_config_selectorI6__halflEEZNS1_25segmented_radix_sort_implIS3_Lb1EPKS5_PS5_PKlPlN2at6native12_GLOBAL__N_18offset_tEEE10hipError_tPvRmT1_PNSt15iterator_traitsISL_E10value_typeET2_T3_PNSM_ISR_E10value_typeET4_jRbjT5_SX_jjP12ihipStream_tbEUlT_E_NS1_11comp_targetILNS1_3genE5ELNS1_11target_archE942ELNS1_3gpuE9ELNS1_3repE0EEENS1_30default_config_static_selectorELNS0_4arch9wavefront6targetE0EEEvSL_.numbered_sgpr, 0
	.set _ZN7rocprim17ROCPRIM_400000_NS6detail17trampoline_kernelINS0_14default_configENS1_36segmented_radix_sort_config_selectorI6__halflEEZNS1_25segmented_radix_sort_implIS3_Lb1EPKS5_PS5_PKlPlN2at6native12_GLOBAL__N_18offset_tEEE10hipError_tPvRmT1_PNSt15iterator_traitsISL_E10value_typeET2_T3_PNSM_ISR_E10value_typeET4_jRbjT5_SX_jjP12ihipStream_tbEUlT_E_NS1_11comp_targetILNS1_3genE5ELNS1_11target_archE942ELNS1_3gpuE9ELNS1_3repE0EEENS1_30default_config_static_selectorELNS0_4arch9wavefront6targetE0EEEvSL_.num_named_barrier, 0
	.set _ZN7rocprim17ROCPRIM_400000_NS6detail17trampoline_kernelINS0_14default_configENS1_36segmented_radix_sort_config_selectorI6__halflEEZNS1_25segmented_radix_sort_implIS3_Lb1EPKS5_PS5_PKlPlN2at6native12_GLOBAL__N_18offset_tEEE10hipError_tPvRmT1_PNSt15iterator_traitsISL_E10value_typeET2_T3_PNSM_ISR_E10value_typeET4_jRbjT5_SX_jjP12ihipStream_tbEUlT_E_NS1_11comp_targetILNS1_3genE5ELNS1_11target_archE942ELNS1_3gpuE9ELNS1_3repE0EEENS1_30default_config_static_selectorELNS0_4arch9wavefront6targetE0EEEvSL_.private_seg_size, 0
	.set _ZN7rocprim17ROCPRIM_400000_NS6detail17trampoline_kernelINS0_14default_configENS1_36segmented_radix_sort_config_selectorI6__halflEEZNS1_25segmented_radix_sort_implIS3_Lb1EPKS5_PS5_PKlPlN2at6native12_GLOBAL__N_18offset_tEEE10hipError_tPvRmT1_PNSt15iterator_traitsISL_E10value_typeET2_T3_PNSM_ISR_E10value_typeET4_jRbjT5_SX_jjP12ihipStream_tbEUlT_E_NS1_11comp_targetILNS1_3genE5ELNS1_11target_archE942ELNS1_3gpuE9ELNS1_3repE0EEENS1_30default_config_static_selectorELNS0_4arch9wavefront6targetE0EEEvSL_.uses_vcc, 0
	.set _ZN7rocprim17ROCPRIM_400000_NS6detail17trampoline_kernelINS0_14default_configENS1_36segmented_radix_sort_config_selectorI6__halflEEZNS1_25segmented_radix_sort_implIS3_Lb1EPKS5_PS5_PKlPlN2at6native12_GLOBAL__N_18offset_tEEE10hipError_tPvRmT1_PNSt15iterator_traitsISL_E10value_typeET2_T3_PNSM_ISR_E10value_typeET4_jRbjT5_SX_jjP12ihipStream_tbEUlT_E_NS1_11comp_targetILNS1_3genE5ELNS1_11target_archE942ELNS1_3gpuE9ELNS1_3repE0EEENS1_30default_config_static_selectorELNS0_4arch9wavefront6targetE0EEEvSL_.uses_flat_scratch, 0
	.set _ZN7rocprim17ROCPRIM_400000_NS6detail17trampoline_kernelINS0_14default_configENS1_36segmented_radix_sort_config_selectorI6__halflEEZNS1_25segmented_radix_sort_implIS3_Lb1EPKS5_PS5_PKlPlN2at6native12_GLOBAL__N_18offset_tEEE10hipError_tPvRmT1_PNSt15iterator_traitsISL_E10value_typeET2_T3_PNSM_ISR_E10value_typeET4_jRbjT5_SX_jjP12ihipStream_tbEUlT_E_NS1_11comp_targetILNS1_3genE5ELNS1_11target_archE942ELNS1_3gpuE9ELNS1_3repE0EEENS1_30default_config_static_selectorELNS0_4arch9wavefront6targetE0EEEvSL_.has_dyn_sized_stack, 0
	.set _ZN7rocprim17ROCPRIM_400000_NS6detail17trampoline_kernelINS0_14default_configENS1_36segmented_radix_sort_config_selectorI6__halflEEZNS1_25segmented_radix_sort_implIS3_Lb1EPKS5_PS5_PKlPlN2at6native12_GLOBAL__N_18offset_tEEE10hipError_tPvRmT1_PNSt15iterator_traitsISL_E10value_typeET2_T3_PNSM_ISR_E10value_typeET4_jRbjT5_SX_jjP12ihipStream_tbEUlT_E_NS1_11comp_targetILNS1_3genE5ELNS1_11target_archE942ELNS1_3gpuE9ELNS1_3repE0EEENS1_30default_config_static_selectorELNS0_4arch9wavefront6targetE0EEEvSL_.has_recursion, 0
	.set _ZN7rocprim17ROCPRIM_400000_NS6detail17trampoline_kernelINS0_14default_configENS1_36segmented_radix_sort_config_selectorI6__halflEEZNS1_25segmented_radix_sort_implIS3_Lb1EPKS5_PS5_PKlPlN2at6native12_GLOBAL__N_18offset_tEEE10hipError_tPvRmT1_PNSt15iterator_traitsISL_E10value_typeET2_T3_PNSM_ISR_E10value_typeET4_jRbjT5_SX_jjP12ihipStream_tbEUlT_E_NS1_11comp_targetILNS1_3genE5ELNS1_11target_archE942ELNS1_3gpuE9ELNS1_3repE0EEENS1_30default_config_static_selectorELNS0_4arch9wavefront6targetE0EEEvSL_.has_indirect_call, 0
	.section	.AMDGPU.csdata,"",@progbits
; Kernel info:
; codeLenInByte = 0
; TotalNumSgprs: 0
; NumVgprs: 0
; ScratchSize: 0
; MemoryBound: 0
; FloatMode: 240
; IeeeMode: 1
; LDSByteSize: 0 bytes/workgroup (compile time only)
; SGPRBlocks: 0
; VGPRBlocks: 0
; NumSGPRsForWavesPerEU: 1
; NumVGPRsForWavesPerEU: 1
; Occupancy: 16
; WaveLimiterHint : 0
; COMPUTE_PGM_RSRC2:SCRATCH_EN: 0
; COMPUTE_PGM_RSRC2:USER_SGPR: 2
; COMPUTE_PGM_RSRC2:TRAP_HANDLER: 0
; COMPUTE_PGM_RSRC2:TGID_X_EN: 1
; COMPUTE_PGM_RSRC2:TGID_Y_EN: 0
; COMPUTE_PGM_RSRC2:TGID_Z_EN: 0
; COMPUTE_PGM_RSRC2:TIDIG_COMP_CNT: 0
	.section	.text._ZN7rocprim17ROCPRIM_400000_NS6detail17trampoline_kernelINS0_14default_configENS1_36segmented_radix_sort_config_selectorI6__halflEEZNS1_25segmented_radix_sort_implIS3_Lb1EPKS5_PS5_PKlPlN2at6native12_GLOBAL__N_18offset_tEEE10hipError_tPvRmT1_PNSt15iterator_traitsISL_E10value_typeET2_T3_PNSM_ISR_E10value_typeET4_jRbjT5_SX_jjP12ihipStream_tbEUlT_E_NS1_11comp_targetILNS1_3genE4ELNS1_11target_archE910ELNS1_3gpuE8ELNS1_3repE0EEENS1_30default_config_static_selectorELNS0_4arch9wavefront6targetE0EEEvSL_,"axG",@progbits,_ZN7rocprim17ROCPRIM_400000_NS6detail17trampoline_kernelINS0_14default_configENS1_36segmented_radix_sort_config_selectorI6__halflEEZNS1_25segmented_radix_sort_implIS3_Lb1EPKS5_PS5_PKlPlN2at6native12_GLOBAL__N_18offset_tEEE10hipError_tPvRmT1_PNSt15iterator_traitsISL_E10value_typeET2_T3_PNSM_ISR_E10value_typeET4_jRbjT5_SX_jjP12ihipStream_tbEUlT_E_NS1_11comp_targetILNS1_3genE4ELNS1_11target_archE910ELNS1_3gpuE8ELNS1_3repE0EEENS1_30default_config_static_selectorELNS0_4arch9wavefront6targetE0EEEvSL_,comdat
	.globl	_ZN7rocprim17ROCPRIM_400000_NS6detail17trampoline_kernelINS0_14default_configENS1_36segmented_radix_sort_config_selectorI6__halflEEZNS1_25segmented_radix_sort_implIS3_Lb1EPKS5_PS5_PKlPlN2at6native12_GLOBAL__N_18offset_tEEE10hipError_tPvRmT1_PNSt15iterator_traitsISL_E10value_typeET2_T3_PNSM_ISR_E10value_typeET4_jRbjT5_SX_jjP12ihipStream_tbEUlT_E_NS1_11comp_targetILNS1_3genE4ELNS1_11target_archE910ELNS1_3gpuE8ELNS1_3repE0EEENS1_30default_config_static_selectorELNS0_4arch9wavefront6targetE0EEEvSL_ ; -- Begin function _ZN7rocprim17ROCPRIM_400000_NS6detail17trampoline_kernelINS0_14default_configENS1_36segmented_radix_sort_config_selectorI6__halflEEZNS1_25segmented_radix_sort_implIS3_Lb1EPKS5_PS5_PKlPlN2at6native12_GLOBAL__N_18offset_tEEE10hipError_tPvRmT1_PNSt15iterator_traitsISL_E10value_typeET2_T3_PNSM_ISR_E10value_typeET4_jRbjT5_SX_jjP12ihipStream_tbEUlT_E_NS1_11comp_targetILNS1_3genE4ELNS1_11target_archE910ELNS1_3gpuE8ELNS1_3repE0EEENS1_30default_config_static_selectorELNS0_4arch9wavefront6targetE0EEEvSL_
	.p2align	8
	.type	_ZN7rocprim17ROCPRIM_400000_NS6detail17trampoline_kernelINS0_14default_configENS1_36segmented_radix_sort_config_selectorI6__halflEEZNS1_25segmented_radix_sort_implIS3_Lb1EPKS5_PS5_PKlPlN2at6native12_GLOBAL__N_18offset_tEEE10hipError_tPvRmT1_PNSt15iterator_traitsISL_E10value_typeET2_T3_PNSM_ISR_E10value_typeET4_jRbjT5_SX_jjP12ihipStream_tbEUlT_E_NS1_11comp_targetILNS1_3genE4ELNS1_11target_archE910ELNS1_3gpuE8ELNS1_3repE0EEENS1_30default_config_static_selectorELNS0_4arch9wavefront6targetE0EEEvSL_,@function
_ZN7rocprim17ROCPRIM_400000_NS6detail17trampoline_kernelINS0_14default_configENS1_36segmented_radix_sort_config_selectorI6__halflEEZNS1_25segmented_radix_sort_implIS3_Lb1EPKS5_PS5_PKlPlN2at6native12_GLOBAL__N_18offset_tEEE10hipError_tPvRmT1_PNSt15iterator_traitsISL_E10value_typeET2_T3_PNSM_ISR_E10value_typeET4_jRbjT5_SX_jjP12ihipStream_tbEUlT_E_NS1_11comp_targetILNS1_3genE4ELNS1_11target_archE910ELNS1_3gpuE8ELNS1_3repE0EEENS1_30default_config_static_selectorELNS0_4arch9wavefront6targetE0EEEvSL_: ; @_ZN7rocprim17ROCPRIM_400000_NS6detail17trampoline_kernelINS0_14default_configENS1_36segmented_radix_sort_config_selectorI6__halflEEZNS1_25segmented_radix_sort_implIS3_Lb1EPKS5_PS5_PKlPlN2at6native12_GLOBAL__N_18offset_tEEE10hipError_tPvRmT1_PNSt15iterator_traitsISL_E10value_typeET2_T3_PNSM_ISR_E10value_typeET4_jRbjT5_SX_jjP12ihipStream_tbEUlT_E_NS1_11comp_targetILNS1_3genE4ELNS1_11target_archE910ELNS1_3gpuE8ELNS1_3repE0EEENS1_30default_config_static_selectorELNS0_4arch9wavefront6targetE0EEEvSL_
; %bb.0:
	.section	.rodata,"a",@progbits
	.p2align	6, 0x0
	.amdhsa_kernel _ZN7rocprim17ROCPRIM_400000_NS6detail17trampoline_kernelINS0_14default_configENS1_36segmented_radix_sort_config_selectorI6__halflEEZNS1_25segmented_radix_sort_implIS3_Lb1EPKS5_PS5_PKlPlN2at6native12_GLOBAL__N_18offset_tEEE10hipError_tPvRmT1_PNSt15iterator_traitsISL_E10value_typeET2_T3_PNSM_ISR_E10value_typeET4_jRbjT5_SX_jjP12ihipStream_tbEUlT_E_NS1_11comp_targetILNS1_3genE4ELNS1_11target_archE910ELNS1_3gpuE8ELNS1_3repE0EEENS1_30default_config_static_selectorELNS0_4arch9wavefront6targetE0EEEvSL_
		.amdhsa_group_segment_fixed_size 0
		.amdhsa_private_segment_fixed_size 0
		.amdhsa_kernarg_size 96
		.amdhsa_user_sgpr_count 2
		.amdhsa_user_sgpr_dispatch_ptr 0
		.amdhsa_user_sgpr_queue_ptr 0
		.amdhsa_user_sgpr_kernarg_segment_ptr 1
		.amdhsa_user_sgpr_dispatch_id 0
		.amdhsa_user_sgpr_private_segment_size 0
		.amdhsa_wavefront_size32 1
		.amdhsa_uses_dynamic_stack 0
		.amdhsa_enable_private_segment 0
		.amdhsa_system_sgpr_workgroup_id_x 1
		.amdhsa_system_sgpr_workgroup_id_y 0
		.amdhsa_system_sgpr_workgroup_id_z 0
		.amdhsa_system_sgpr_workgroup_info 0
		.amdhsa_system_vgpr_workitem_id 0
		.amdhsa_next_free_vgpr 1
		.amdhsa_next_free_sgpr 1
		.amdhsa_reserve_vcc 0
		.amdhsa_float_round_mode_32 0
		.amdhsa_float_round_mode_16_64 0
		.amdhsa_float_denorm_mode_32 3
		.amdhsa_float_denorm_mode_16_64 3
		.amdhsa_fp16_overflow 0
		.amdhsa_workgroup_processor_mode 1
		.amdhsa_memory_ordered 1
		.amdhsa_forward_progress 1
		.amdhsa_inst_pref_size 0
		.amdhsa_round_robin_scheduling 0
		.amdhsa_exception_fp_ieee_invalid_op 0
		.amdhsa_exception_fp_denorm_src 0
		.amdhsa_exception_fp_ieee_div_zero 0
		.amdhsa_exception_fp_ieee_overflow 0
		.amdhsa_exception_fp_ieee_underflow 0
		.amdhsa_exception_fp_ieee_inexact 0
		.amdhsa_exception_int_div_zero 0
	.end_amdhsa_kernel
	.section	.text._ZN7rocprim17ROCPRIM_400000_NS6detail17trampoline_kernelINS0_14default_configENS1_36segmented_radix_sort_config_selectorI6__halflEEZNS1_25segmented_radix_sort_implIS3_Lb1EPKS5_PS5_PKlPlN2at6native12_GLOBAL__N_18offset_tEEE10hipError_tPvRmT1_PNSt15iterator_traitsISL_E10value_typeET2_T3_PNSM_ISR_E10value_typeET4_jRbjT5_SX_jjP12ihipStream_tbEUlT_E_NS1_11comp_targetILNS1_3genE4ELNS1_11target_archE910ELNS1_3gpuE8ELNS1_3repE0EEENS1_30default_config_static_selectorELNS0_4arch9wavefront6targetE0EEEvSL_,"axG",@progbits,_ZN7rocprim17ROCPRIM_400000_NS6detail17trampoline_kernelINS0_14default_configENS1_36segmented_radix_sort_config_selectorI6__halflEEZNS1_25segmented_radix_sort_implIS3_Lb1EPKS5_PS5_PKlPlN2at6native12_GLOBAL__N_18offset_tEEE10hipError_tPvRmT1_PNSt15iterator_traitsISL_E10value_typeET2_T3_PNSM_ISR_E10value_typeET4_jRbjT5_SX_jjP12ihipStream_tbEUlT_E_NS1_11comp_targetILNS1_3genE4ELNS1_11target_archE910ELNS1_3gpuE8ELNS1_3repE0EEENS1_30default_config_static_selectorELNS0_4arch9wavefront6targetE0EEEvSL_,comdat
.Lfunc_end1741:
	.size	_ZN7rocprim17ROCPRIM_400000_NS6detail17trampoline_kernelINS0_14default_configENS1_36segmented_radix_sort_config_selectorI6__halflEEZNS1_25segmented_radix_sort_implIS3_Lb1EPKS5_PS5_PKlPlN2at6native12_GLOBAL__N_18offset_tEEE10hipError_tPvRmT1_PNSt15iterator_traitsISL_E10value_typeET2_T3_PNSM_ISR_E10value_typeET4_jRbjT5_SX_jjP12ihipStream_tbEUlT_E_NS1_11comp_targetILNS1_3genE4ELNS1_11target_archE910ELNS1_3gpuE8ELNS1_3repE0EEENS1_30default_config_static_selectorELNS0_4arch9wavefront6targetE0EEEvSL_, .Lfunc_end1741-_ZN7rocprim17ROCPRIM_400000_NS6detail17trampoline_kernelINS0_14default_configENS1_36segmented_radix_sort_config_selectorI6__halflEEZNS1_25segmented_radix_sort_implIS3_Lb1EPKS5_PS5_PKlPlN2at6native12_GLOBAL__N_18offset_tEEE10hipError_tPvRmT1_PNSt15iterator_traitsISL_E10value_typeET2_T3_PNSM_ISR_E10value_typeET4_jRbjT5_SX_jjP12ihipStream_tbEUlT_E_NS1_11comp_targetILNS1_3genE4ELNS1_11target_archE910ELNS1_3gpuE8ELNS1_3repE0EEENS1_30default_config_static_selectorELNS0_4arch9wavefront6targetE0EEEvSL_
                                        ; -- End function
	.set _ZN7rocprim17ROCPRIM_400000_NS6detail17trampoline_kernelINS0_14default_configENS1_36segmented_radix_sort_config_selectorI6__halflEEZNS1_25segmented_radix_sort_implIS3_Lb1EPKS5_PS5_PKlPlN2at6native12_GLOBAL__N_18offset_tEEE10hipError_tPvRmT1_PNSt15iterator_traitsISL_E10value_typeET2_T3_PNSM_ISR_E10value_typeET4_jRbjT5_SX_jjP12ihipStream_tbEUlT_E_NS1_11comp_targetILNS1_3genE4ELNS1_11target_archE910ELNS1_3gpuE8ELNS1_3repE0EEENS1_30default_config_static_selectorELNS0_4arch9wavefront6targetE0EEEvSL_.num_vgpr, 0
	.set _ZN7rocprim17ROCPRIM_400000_NS6detail17trampoline_kernelINS0_14default_configENS1_36segmented_radix_sort_config_selectorI6__halflEEZNS1_25segmented_radix_sort_implIS3_Lb1EPKS5_PS5_PKlPlN2at6native12_GLOBAL__N_18offset_tEEE10hipError_tPvRmT1_PNSt15iterator_traitsISL_E10value_typeET2_T3_PNSM_ISR_E10value_typeET4_jRbjT5_SX_jjP12ihipStream_tbEUlT_E_NS1_11comp_targetILNS1_3genE4ELNS1_11target_archE910ELNS1_3gpuE8ELNS1_3repE0EEENS1_30default_config_static_selectorELNS0_4arch9wavefront6targetE0EEEvSL_.num_agpr, 0
	.set _ZN7rocprim17ROCPRIM_400000_NS6detail17trampoline_kernelINS0_14default_configENS1_36segmented_radix_sort_config_selectorI6__halflEEZNS1_25segmented_radix_sort_implIS3_Lb1EPKS5_PS5_PKlPlN2at6native12_GLOBAL__N_18offset_tEEE10hipError_tPvRmT1_PNSt15iterator_traitsISL_E10value_typeET2_T3_PNSM_ISR_E10value_typeET4_jRbjT5_SX_jjP12ihipStream_tbEUlT_E_NS1_11comp_targetILNS1_3genE4ELNS1_11target_archE910ELNS1_3gpuE8ELNS1_3repE0EEENS1_30default_config_static_selectorELNS0_4arch9wavefront6targetE0EEEvSL_.numbered_sgpr, 0
	.set _ZN7rocprim17ROCPRIM_400000_NS6detail17trampoline_kernelINS0_14default_configENS1_36segmented_radix_sort_config_selectorI6__halflEEZNS1_25segmented_radix_sort_implIS3_Lb1EPKS5_PS5_PKlPlN2at6native12_GLOBAL__N_18offset_tEEE10hipError_tPvRmT1_PNSt15iterator_traitsISL_E10value_typeET2_T3_PNSM_ISR_E10value_typeET4_jRbjT5_SX_jjP12ihipStream_tbEUlT_E_NS1_11comp_targetILNS1_3genE4ELNS1_11target_archE910ELNS1_3gpuE8ELNS1_3repE0EEENS1_30default_config_static_selectorELNS0_4arch9wavefront6targetE0EEEvSL_.num_named_barrier, 0
	.set _ZN7rocprim17ROCPRIM_400000_NS6detail17trampoline_kernelINS0_14default_configENS1_36segmented_radix_sort_config_selectorI6__halflEEZNS1_25segmented_radix_sort_implIS3_Lb1EPKS5_PS5_PKlPlN2at6native12_GLOBAL__N_18offset_tEEE10hipError_tPvRmT1_PNSt15iterator_traitsISL_E10value_typeET2_T3_PNSM_ISR_E10value_typeET4_jRbjT5_SX_jjP12ihipStream_tbEUlT_E_NS1_11comp_targetILNS1_3genE4ELNS1_11target_archE910ELNS1_3gpuE8ELNS1_3repE0EEENS1_30default_config_static_selectorELNS0_4arch9wavefront6targetE0EEEvSL_.private_seg_size, 0
	.set _ZN7rocprim17ROCPRIM_400000_NS6detail17trampoline_kernelINS0_14default_configENS1_36segmented_radix_sort_config_selectorI6__halflEEZNS1_25segmented_radix_sort_implIS3_Lb1EPKS5_PS5_PKlPlN2at6native12_GLOBAL__N_18offset_tEEE10hipError_tPvRmT1_PNSt15iterator_traitsISL_E10value_typeET2_T3_PNSM_ISR_E10value_typeET4_jRbjT5_SX_jjP12ihipStream_tbEUlT_E_NS1_11comp_targetILNS1_3genE4ELNS1_11target_archE910ELNS1_3gpuE8ELNS1_3repE0EEENS1_30default_config_static_selectorELNS0_4arch9wavefront6targetE0EEEvSL_.uses_vcc, 0
	.set _ZN7rocprim17ROCPRIM_400000_NS6detail17trampoline_kernelINS0_14default_configENS1_36segmented_radix_sort_config_selectorI6__halflEEZNS1_25segmented_radix_sort_implIS3_Lb1EPKS5_PS5_PKlPlN2at6native12_GLOBAL__N_18offset_tEEE10hipError_tPvRmT1_PNSt15iterator_traitsISL_E10value_typeET2_T3_PNSM_ISR_E10value_typeET4_jRbjT5_SX_jjP12ihipStream_tbEUlT_E_NS1_11comp_targetILNS1_3genE4ELNS1_11target_archE910ELNS1_3gpuE8ELNS1_3repE0EEENS1_30default_config_static_selectorELNS0_4arch9wavefront6targetE0EEEvSL_.uses_flat_scratch, 0
	.set _ZN7rocprim17ROCPRIM_400000_NS6detail17trampoline_kernelINS0_14default_configENS1_36segmented_radix_sort_config_selectorI6__halflEEZNS1_25segmented_radix_sort_implIS3_Lb1EPKS5_PS5_PKlPlN2at6native12_GLOBAL__N_18offset_tEEE10hipError_tPvRmT1_PNSt15iterator_traitsISL_E10value_typeET2_T3_PNSM_ISR_E10value_typeET4_jRbjT5_SX_jjP12ihipStream_tbEUlT_E_NS1_11comp_targetILNS1_3genE4ELNS1_11target_archE910ELNS1_3gpuE8ELNS1_3repE0EEENS1_30default_config_static_selectorELNS0_4arch9wavefront6targetE0EEEvSL_.has_dyn_sized_stack, 0
	.set _ZN7rocprim17ROCPRIM_400000_NS6detail17trampoline_kernelINS0_14default_configENS1_36segmented_radix_sort_config_selectorI6__halflEEZNS1_25segmented_radix_sort_implIS3_Lb1EPKS5_PS5_PKlPlN2at6native12_GLOBAL__N_18offset_tEEE10hipError_tPvRmT1_PNSt15iterator_traitsISL_E10value_typeET2_T3_PNSM_ISR_E10value_typeET4_jRbjT5_SX_jjP12ihipStream_tbEUlT_E_NS1_11comp_targetILNS1_3genE4ELNS1_11target_archE910ELNS1_3gpuE8ELNS1_3repE0EEENS1_30default_config_static_selectorELNS0_4arch9wavefront6targetE0EEEvSL_.has_recursion, 0
	.set _ZN7rocprim17ROCPRIM_400000_NS6detail17trampoline_kernelINS0_14default_configENS1_36segmented_radix_sort_config_selectorI6__halflEEZNS1_25segmented_radix_sort_implIS3_Lb1EPKS5_PS5_PKlPlN2at6native12_GLOBAL__N_18offset_tEEE10hipError_tPvRmT1_PNSt15iterator_traitsISL_E10value_typeET2_T3_PNSM_ISR_E10value_typeET4_jRbjT5_SX_jjP12ihipStream_tbEUlT_E_NS1_11comp_targetILNS1_3genE4ELNS1_11target_archE910ELNS1_3gpuE8ELNS1_3repE0EEENS1_30default_config_static_selectorELNS0_4arch9wavefront6targetE0EEEvSL_.has_indirect_call, 0
	.section	.AMDGPU.csdata,"",@progbits
; Kernel info:
; codeLenInByte = 0
; TotalNumSgprs: 0
; NumVgprs: 0
; ScratchSize: 0
; MemoryBound: 0
; FloatMode: 240
; IeeeMode: 1
; LDSByteSize: 0 bytes/workgroup (compile time only)
; SGPRBlocks: 0
; VGPRBlocks: 0
; NumSGPRsForWavesPerEU: 1
; NumVGPRsForWavesPerEU: 1
; Occupancy: 16
; WaveLimiterHint : 0
; COMPUTE_PGM_RSRC2:SCRATCH_EN: 0
; COMPUTE_PGM_RSRC2:USER_SGPR: 2
; COMPUTE_PGM_RSRC2:TRAP_HANDLER: 0
; COMPUTE_PGM_RSRC2:TGID_X_EN: 1
; COMPUTE_PGM_RSRC2:TGID_Y_EN: 0
; COMPUTE_PGM_RSRC2:TGID_Z_EN: 0
; COMPUTE_PGM_RSRC2:TIDIG_COMP_CNT: 0
	.section	.text._ZN7rocprim17ROCPRIM_400000_NS6detail17trampoline_kernelINS0_14default_configENS1_36segmented_radix_sort_config_selectorI6__halflEEZNS1_25segmented_radix_sort_implIS3_Lb1EPKS5_PS5_PKlPlN2at6native12_GLOBAL__N_18offset_tEEE10hipError_tPvRmT1_PNSt15iterator_traitsISL_E10value_typeET2_T3_PNSM_ISR_E10value_typeET4_jRbjT5_SX_jjP12ihipStream_tbEUlT_E_NS1_11comp_targetILNS1_3genE3ELNS1_11target_archE908ELNS1_3gpuE7ELNS1_3repE0EEENS1_30default_config_static_selectorELNS0_4arch9wavefront6targetE0EEEvSL_,"axG",@progbits,_ZN7rocprim17ROCPRIM_400000_NS6detail17trampoline_kernelINS0_14default_configENS1_36segmented_radix_sort_config_selectorI6__halflEEZNS1_25segmented_radix_sort_implIS3_Lb1EPKS5_PS5_PKlPlN2at6native12_GLOBAL__N_18offset_tEEE10hipError_tPvRmT1_PNSt15iterator_traitsISL_E10value_typeET2_T3_PNSM_ISR_E10value_typeET4_jRbjT5_SX_jjP12ihipStream_tbEUlT_E_NS1_11comp_targetILNS1_3genE3ELNS1_11target_archE908ELNS1_3gpuE7ELNS1_3repE0EEENS1_30default_config_static_selectorELNS0_4arch9wavefront6targetE0EEEvSL_,comdat
	.globl	_ZN7rocprim17ROCPRIM_400000_NS6detail17trampoline_kernelINS0_14default_configENS1_36segmented_radix_sort_config_selectorI6__halflEEZNS1_25segmented_radix_sort_implIS3_Lb1EPKS5_PS5_PKlPlN2at6native12_GLOBAL__N_18offset_tEEE10hipError_tPvRmT1_PNSt15iterator_traitsISL_E10value_typeET2_T3_PNSM_ISR_E10value_typeET4_jRbjT5_SX_jjP12ihipStream_tbEUlT_E_NS1_11comp_targetILNS1_3genE3ELNS1_11target_archE908ELNS1_3gpuE7ELNS1_3repE0EEENS1_30default_config_static_selectorELNS0_4arch9wavefront6targetE0EEEvSL_ ; -- Begin function _ZN7rocprim17ROCPRIM_400000_NS6detail17trampoline_kernelINS0_14default_configENS1_36segmented_radix_sort_config_selectorI6__halflEEZNS1_25segmented_radix_sort_implIS3_Lb1EPKS5_PS5_PKlPlN2at6native12_GLOBAL__N_18offset_tEEE10hipError_tPvRmT1_PNSt15iterator_traitsISL_E10value_typeET2_T3_PNSM_ISR_E10value_typeET4_jRbjT5_SX_jjP12ihipStream_tbEUlT_E_NS1_11comp_targetILNS1_3genE3ELNS1_11target_archE908ELNS1_3gpuE7ELNS1_3repE0EEENS1_30default_config_static_selectorELNS0_4arch9wavefront6targetE0EEEvSL_
	.p2align	8
	.type	_ZN7rocprim17ROCPRIM_400000_NS6detail17trampoline_kernelINS0_14default_configENS1_36segmented_radix_sort_config_selectorI6__halflEEZNS1_25segmented_radix_sort_implIS3_Lb1EPKS5_PS5_PKlPlN2at6native12_GLOBAL__N_18offset_tEEE10hipError_tPvRmT1_PNSt15iterator_traitsISL_E10value_typeET2_T3_PNSM_ISR_E10value_typeET4_jRbjT5_SX_jjP12ihipStream_tbEUlT_E_NS1_11comp_targetILNS1_3genE3ELNS1_11target_archE908ELNS1_3gpuE7ELNS1_3repE0EEENS1_30default_config_static_selectorELNS0_4arch9wavefront6targetE0EEEvSL_,@function
_ZN7rocprim17ROCPRIM_400000_NS6detail17trampoline_kernelINS0_14default_configENS1_36segmented_radix_sort_config_selectorI6__halflEEZNS1_25segmented_radix_sort_implIS3_Lb1EPKS5_PS5_PKlPlN2at6native12_GLOBAL__N_18offset_tEEE10hipError_tPvRmT1_PNSt15iterator_traitsISL_E10value_typeET2_T3_PNSM_ISR_E10value_typeET4_jRbjT5_SX_jjP12ihipStream_tbEUlT_E_NS1_11comp_targetILNS1_3genE3ELNS1_11target_archE908ELNS1_3gpuE7ELNS1_3repE0EEENS1_30default_config_static_selectorELNS0_4arch9wavefront6targetE0EEEvSL_: ; @_ZN7rocprim17ROCPRIM_400000_NS6detail17trampoline_kernelINS0_14default_configENS1_36segmented_radix_sort_config_selectorI6__halflEEZNS1_25segmented_radix_sort_implIS3_Lb1EPKS5_PS5_PKlPlN2at6native12_GLOBAL__N_18offset_tEEE10hipError_tPvRmT1_PNSt15iterator_traitsISL_E10value_typeET2_T3_PNSM_ISR_E10value_typeET4_jRbjT5_SX_jjP12ihipStream_tbEUlT_E_NS1_11comp_targetILNS1_3genE3ELNS1_11target_archE908ELNS1_3gpuE7ELNS1_3repE0EEENS1_30default_config_static_selectorELNS0_4arch9wavefront6targetE0EEEvSL_
; %bb.0:
	.section	.rodata,"a",@progbits
	.p2align	6, 0x0
	.amdhsa_kernel _ZN7rocprim17ROCPRIM_400000_NS6detail17trampoline_kernelINS0_14default_configENS1_36segmented_radix_sort_config_selectorI6__halflEEZNS1_25segmented_radix_sort_implIS3_Lb1EPKS5_PS5_PKlPlN2at6native12_GLOBAL__N_18offset_tEEE10hipError_tPvRmT1_PNSt15iterator_traitsISL_E10value_typeET2_T3_PNSM_ISR_E10value_typeET4_jRbjT5_SX_jjP12ihipStream_tbEUlT_E_NS1_11comp_targetILNS1_3genE3ELNS1_11target_archE908ELNS1_3gpuE7ELNS1_3repE0EEENS1_30default_config_static_selectorELNS0_4arch9wavefront6targetE0EEEvSL_
		.amdhsa_group_segment_fixed_size 0
		.amdhsa_private_segment_fixed_size 0
		.amdhsa_kernarg_size 96
		.amdhsa_user_sgpr_count 2
		.amdhsa_user_sgpr_dispatch_ptr 0
		.amdhsa_user_sgpr_queue_ptr 0
		.amdhsa_user_sgpr_kernarg_segment_ptr 1
		.amdhsa_user_sgpr_dispatch_id 0
		.amdhsa_user_sgpr_private_segment_size 0
		.amdhsa_wavefront_size32 1
		.amdhsa_uses_dynamic_stack 0
		.amdhsa_enable_private_segment 0
		.amdhsa_system_sgpr_workgroup_id_x 1
		.amdhsa_system_sgpr_workgroup_id_y 0
		.amdhsa_system_sgpr_workgroup_id_z 0
		.amdhsa_system_sgpr_workgroup_info 0
		.amdhsa_system_vgpr_workitem_id 0
		.amdhsa_next_free_vgpr 1
		.amdhsa_next_free_sgpr 1
		.amdhsa_reserve_vcc 0
		.amdhsa_float_round_mode_32 0
		.amdhsa_float_round_mode_16_64 0
		.amdhsa_float_denorm_mode_32 3
		.amdhsa_float_denorm_mode_16_64 3
		.amdhsa_fp16_overflow 0
		.amdhsa_workgroup_processor_mode 1
		.amdhsa_memory_ordered 1
		.amdhsa_forward_progress 1
		.amdhsa_inst_pref_size 0
		.amdhsa_round_robin_scheduling 0
		.amdhsa_exception_fp_ieee_invalid_op 0
		.amdhsa_exception_fp_denorm_src 0
		.amdhsa_exception_fp_ieee_div_zero 0
		.amdhsa_exception_fp_ieee_overflow 0
		.amdhsa_exception_fp_ieee_underflow 0
		.amdhsa_exception_fp_ieee_inexact 0
		.amdhsa_exception_int_div_zero 0
	.end_amdhsa_kernel
	.section	.text._ZN7rocprim17ROCPRIM_400000_NS6detail17trampoline_kernelINS0_14default_configENS1_36segmented_radix_sort_config_selectorI6__halflEEZNS1_25segmented_radix_sort_implIS3_Lb1EPKS5_PS5_PKlPlN2at6native12_GLOBAL__N_18offset_tEEE10hipError_tPvRmT1_PNSt15iterator_traitsISL_E10value_typeET2_T3_PNSM_ISR_E10value_typeET4_jRbjT5_SX_jjP12ihipStream_tbEUlT_E_NS1_11comp_targetILNS1_3genE3ELNS1_11target_archE908ELNS1_3gpuE7ELNS1_3repE0EEENS1_30default_config_static_selectorELNS0_4arch9wavefront6targetE0EEEvSL_,"axG",@progbits,_ZN7rocprim17ROCPRIM_400000_NS6detail17trampoline_kernelINS0_14default_configENS1_36segmented_radix_sort_config_selectorI6__halflEEZNS1_25segmented_radix_sort_implIS3_Lb1EPKS5_PS5_PKlPlN2at6native12_GLOBAL__N_18offset_tEEE10hipError_tPvRmT1_PNSt15iterator_traitsISL_E10value_typeET2_T3_PNSM_ISR_E10value_typeET4_jRbjT5_SX_jjP12ihipStream_tbEUlT_E_NS1_11comp_targetILNS1_3genE3ELNS1_11target_archE908ELNS1_3gpuE7ELNS1_3repE0EEENS1_30default_config_static_selectorELNS0_4arch9wavefront6targetE0EEEvSL_,comdat
.Lfunc_end1742:
	.size	_ZN7rocprim17ROCPRIM_400000_NS6detail17trampoline_kernelINS0_14default_configENS1_36segmented_radix_sort_config_selectorI6__halflEEZNS1_25segmented_radix_sort_implIS3_Lb1EPKS5_PS5_PKlPlN2at6native12_GLOBAL__N_18offset_tEEE10hipError_tPvRmT1_PNSt15iterator_traitsISL_E10value_typeET2_T3_PNSM_ISR_E10value_typeET4_jRbjT5_SX_jjP12ihipStream_tbEUlT_E_NS1_11comp_targetILNS1_3genE3ELNS1_11target_archE908ELNS1_3gpuE7ELNS1_3repE0EEENS1_30default_config_static_selectorELNS0_4arch9wavefront6targetE0EEEvSL_, .Lfunc_end1742-_ZN7rocprim17ROCPRIM_400000_NS6detail17trampoline_kernelINS0_14default_configENS1_36segmented_radix_sort_config_selectorI6__halflEEZNS1_25segmented_radix_sort_implIS3_Lb1EPKS5_PS5_PKlPlN2at6native12_GLOBAL__N_18offset_tEEE10hipError_tPvRmT1_PNSt15iterator_traitsISL_E10value_typeET2_T3_PNSM_ISR_E10value_typeET4_jRbjT5_SX_jjP12ihipStream_tbEUlT_E_NS1_11comp_targetILNS1_3genE3ELNS1_11target_archE908ELNS1_3gpuE7ELNS1_3repE0EEENS1_30default_config_static_selectorELNS0_4arch9wavefront6targetE0EEEvSL_
                                        ; -- End function
	.set _ZN7rocprim17ROCPRIM_400000_NS6detail17trampoline_kernelINS0_14default_configENS1_36segmented_radix_sort_config_selectorI6__halflEEZNS1_25segmented_radix_sort_implIS3_Lb1EPKS5_PS5_PKlPlN2at6native12_GLOBAL__N_18offset_tEEE10hipError_tPvRmT1_PNSt15iterator_traitsISL_E10value_typeET2_T3_PNSM_ISR_E10value_typeET4_jRbjT5_SX_jjP12ihipStream_tbEUlT_E_NS1_11comp_targetILNS1_3genE3ELNS1_11target_archE908ELNS1_3gpuE7ELNS1_3repE0EEENS1_30default_config_static_selectorELNS0_4arch9wavefront6targetE0EEEvSL_.num_vgpr, 0
	.set _ZN7rocprim17ROCPRIM_400000_NS6detail17trampoline_kernelINS0_14default_configENS1_36segmented_radix_sort_config_selectorI6__halflEEZNS1_25segmented_radix_sort_implIS3_Lb1EPKS5_PS5_PKlPlN2at6native12_GLOBAL__N_18offset_tEEE10hipError_tPvRmT1_PNSt15iterator_traitsISL_E10value_typeET2_T3_PNSM_ISR_E10value_typeET4_jRbjT5_SX_jjP12ihipStream_tbEUlT_E_NS1_11comp_targetILNS1_3genE3ELNS1_11target_archE908ELNS1_3gpuE7ELNS1_3repE0EEENS1_30default_config_static_selectorELNS0_4arch9wavefront6targetE0EEEvSL_.num_agpr, 0
	.set _ZN7rocprim17ROCPRIM_400000_NS6detail17trampoline_kernelINS0_14default_configENS1_36segmented_radix_sort_config_selectorI6__halflEEZNS1_25segmented_radix_sort_implIS3_Lb1EPKS5_PS5_PKlPlN2at6native12_GLOBAL__N_18offset_tEEE10hipError_tPvRmT1_PNSt15iterator_traitsISL_E10value_typeET2_T3_PNSM_ISR_E10value_typeET4_jRbjT5_SX_jjP12ihipStream_tbEUlT_E_NS1_11comp_targetILNS1_3genE3ELNS1_11target_archE908ELNS1_3gpuE7ELNS1_3repE0EEENS1_30default_config_static_selectorELNS0_4arch9wavefront6targetE0EEEvSL_.numbered_sgpr, 0
	.set _ZN7rocprim17ROCPRIM_400000_NS6detail17trampoline_kernelINS0_14default_configENS1_36segmented_radix_sort_config_selectorI6__halflEEZNS1_25segmented_radix_sort_implIS3_Lb1EPKS5_PS5_PKlPlN2at6native12_GLOBAL__N_18offset_tEEE10hipError_tPvRmT1_PNSt15iterator_traitsISL_E10value_typeET2_T3_PNSM_ISR_E10value_typeET4_jRbjT5_SX_jjP12ihipStream_tbEUlT_E_NS1_11comp_targetILNS1_3genE3ELNS1_11target_archE908ELNS1_3gpuE7ELNS1_3repE0EEENS1_30default_config_static_selectorELNS0_4arch9wavefront6targetE0EEEvSL_.num_named_barrier, 0
	.set _ZN7rocprim17ROCPRIM_400000_NS6detail17trampoline_kernelINS0_14default_configENS1_36segmented_radix_sort_config_selectorI6__halflEEZNS1_25segmented_radix_sort_implIS3_Lb1EPKS5_PS5_PKlPlN2at6native12_GLOBAL__N_18offset_tEEE10hipError_tPvRmT1_PNSt15iterator_traitsISL_E10value_typeET2_T3_PNSM_ISR_E10value_typeET4_jRbjT5_SX_jjP12ihipStream_tbEUlT_E_NS1_11comp_targetILNS1_3genE3ELNS1_11target_archE908ELNS1_3gpuE7ELNS1_3repE0EEENS1_30default_config_static_selectorELNS0_4arch9wavefront6targetE0EEEvSL_.private_seg_size, 0
	.set _ZN7rocprim17ROCPRIM_400000_NS6detail17trampoline_kernelINS0_14default_configENS1_36segmented_radix_sort_config_selectorI6__halflEEZNS1_25segmented_radix_sort_implIS3_Lb1EPKS5_PS5_PKlPlN2at6native12_GLOBAL__N_18offset_tEEE10hipError_tPvRmT1_PNSt15iterator_traitsISL_E10value_typeET2_T3_PNSM_ISR_E10value_typeET4_jRbjT5_SX_jjP12ihipStream_tbEUlT_E_NS1_11comp_targetILNS1_3genE3ELNS1_11target_archE908ELNS1_3gpuE7ELNS1_3repE0EEENS1_30default_config_static_selectorELNS0_4arch9wavefront6targetE0EEEvSL_.uses_vcc, 0
	.set _ZN7rocprim17ROCPRIM_400000_NS6detail17trampoline_kernelINS0_14default_configENS1_36segmented_radix_sort_config_selectorI6__halflEEZNS1_25segmented_radix_sort_implIS3_Lb1EPKS5_PS5_PKlPlN2at6native12_GLOBAL__N_18offset_tEEE10hipError_tPvRmT1_PNSt15iterator_traitsISL_E10value_typeET2_T3_PNSM_ISR_E10value_typeET4_jRbjT5_SX_jjP12ihipStream_tbEUlT_E_NS1_11comp_targetILNS1_3genE3ELNS1_11target_archE908ELNS1_3gpuE7ELNS1_3repE0EEENS1_30default_config_static_selectorELNS0_4arch9wavefront6targetE0EEEvSL_.uses_flat_scratch, 0
	.set _ZN7rocprim17ROCPRIM_400000_NS6detail17trampoline_kernelINS0_14default_configENS1_36segmented_radix_sort_config_selectorI6__halflEEZNS1_25segmented_radix_sort_implIS3_Lb1EPKS5_PS5_PKlPlN2at6native12_GLOBAL__N_18offset_tEEE10hipError_tPvRmT1_PNSt15iterator_traitsISL_E10value_typeET2_T3_PNSM_ISR_E10value_typeET4_jRbjT5_SX_jjP12ihipStream_tbEUlT_E_NS1_11comp_targetILNS1_3genE3ELNS1_11target_archE908ELNS1_3gpuE7ELNS1_3repE0EEENS1_30default_config_static_selectorELNS0_4arch9wavefront6targetE0EEEvSL_.has_dyn_sized_stack, 0
	.set _ZN7rocprim17ROCPRIM_400000_NS6detail17trampoline_kernelINS0_14default_configENS1_36segmented_radix_sort_config_selectorI6__halflEEZNS1_25segmented_radix_sort_implIS3_Lb1EPKS5_PS5_PKlPlN2at6native12_GLOBAL__N_18offset_tEEE10hipError_tPvRmT1_PNSt15iterator_traitsISL_E10value_typeET2_T3_PNSM_ISR_E10value_typeET4_jRbjT5_SX_jjP12ihipStream_tbEUlT_E_NS1_11comp_targetILNS1_3genE3ELNS1_11target_archE908ELNS1_3gpuE7ELNS1_3repE0EEENS1_30default_config_static_selectorELNS0_4arch9wavefront6targetE0EEEvSL_.has_recursion, 0
	.set _ZN7rocprim17ROCPRIM_400000_NS6detail17trampoline_kernelINS0_14default_configENS1_36segmented_radix_sort_config_selectorI6__halflEEZNS1_25segmented_radix_sort_implIS3_Lb1EPKS5_PS5_PKlPlN2at6native12_GLOBAL__N_18offset_tEEE10hipError_tPvRmT1_PNSt15iterator_traitsISL_E10value_typeET2_T3_PNSM_ISR_E10value_typeET4_jRbjT5_SX_jjP12ihipStream_tbEUlT_E_NS1_11comp_targetILNS1_3genE3ELNS1_11target_archE908ELNS1_3gpuE7ELNS1_3repE0EEENS1_30default_config_static_selectorELNS0_4arch9wavefront6targetE0EEEvSL_.has_indirect_call, 0
	.section	.AMDGPU.csdata,"",@progbits
; Kernel info:
; codeLenInByte = 0
; TotalNumSgprs: 0
; NumVgprs: 0
; ScratchSize: 0
; MemoryBound: 0
; FloatMode: 240
; IeeeMode: 1
; LDSByteSize: 0 bytes/workgroup (compile time only)
; SGPRBlocks: 0
; VGPRBlocks: 0
; NumSGPRsForWavesPerEU: 1
; NumVGPRsForWavesPerEU: 1
; Occupancy: 16
; WaveLimiterHint : 0
; COMPUTE_PGM_RSRC2:SCRATCH_EN: 0
; COMPUTE_PGM_RSRC2:USER_SGPR: 2
; COMPUTE_PGM_RSRC2:TRAP_HANDLER: 0
; COMPUTE_PGM_RSRC2:TGID_X_EN: 1
; COMPUTE_PGM_RSRC2:TGID_Y_EN: 0
; COMPUTE_PGM_RSRC2:TGID_Z_EN: 0
; COMPUTE_PGM_RSRC2:TIDIG_COMP_CNT: 0
	.section	.text._ZN7rocprim17ROCPRIM_400000_NS6detail17trampoline_kernelINS0_14default_configENS1_36segmented_radix_sort_config_selectorI6__halflEEZNS1_25segmented_radix_sort_implIS3_Lb1EPKS5_PS5_PKlPlN2at6native12_GLOBAL__N_18offset_tEEE10hipError_tPvRmT1_PNSt15iterator_traitsISL_E10value_typeET2_T3_PNSM_ISR_E10value_typeET4_jRbjT5_SX_jjP12ihipStream_tbEUlT_E_NS1_11comp_targetILNS1_3genE2ELNS1_11target_archE906ELNS1_3gpuE6ELNS1_3repE0EEENS1_30default_config_static_selectorELNS0_4arch9wavefront6targetE0EEEvSL_,"axG",@progbits,_ZN7rocprim17ROCPRIM_400000_NS6detail17trampoline_kernelINS0_14default_configENS1_36segmented_radix_sort_config_selectorI6__halflEEZNS1_25segmented_radix_sort_implIS3_Lb1EPKS5_PS5_PKlPlN2at6native12_GLOBAL__N_18offset_tEEE10hipError_tPvRmT1_PNSt15iterator_traitsISL_E10value_typeET2_T3_PNSM_ISR_E10value_typeET4_jRbjT5_SX_jjP12ihipStream_tbEUlT_E_NS1_11comp_targetILNS1_3genE2ELNS1_11target_archE906ELNS1_3gpuE6ELNS1_3repE0EEENS1_30default_config_static_selectorELNS0_4arch9wavefront6targetE0EEEvSL_,comdat
	.globl	_ZN7rocprim17ROCPRIM_400000_NS6detail17trampoline_kernelINS0_14default_configENS1_36segmented_radix_sort_config_selectorI6__halflEEZNS1_25segmented_radix_sort_implIS3_Lb1EPKS5_PS5_PKlPlN2at6native12_GLOBAL__N_18offset_tEEE10hipError_tPvRmT1_PNSt15iterator_traitsISL_E10value_typeET2_T3_PNSM_ISR_E10value_typeET4_jRbjT5_SX_jjP12ihipStream_tbEUlT_E_NS1_11comp_targetILNS1_3genE2ELNS1_11target_archE906ELNS1_3gpuE6ELNS1_3repE0EEENS1_30default_config_static_selectorELNS0_4arch9wavefront6targetE0EEEvSL_ ; -- Begin function _ZN7rocprim17ROCPRIM_400000_NS6detail17trampoline_kernelINS0_14default_configENS1_36segmented_radix_sort_config_selectorI6__halflEEZNS1_25segmented_radix_sort_implIS3_Lb1EPKS5_PS5_PKlPlN2at6native12_GLOBAL__N_18offset_tEEE10hipError_tPvRmT1_PNSt15iterator_traitsISL_E10value_typeET2_T3_PNSM_ISR_E10value_typeET4_jRbjT5_SX_jjP12ihipStream_tbEUlT_E_NS1_11comp_targetILNS1_3genE2ELNS1_11target_archE906ELNS1_3gpuE6ELNS1_3repE0EEENS1_30default_config_static_selectorELNS0_4arch9wavefront6targetE0EEEvSL_
	.p2align	8
	.type	_ZN7rocprim17ROCPRIM_400000_NS6detail17trampoline_kernelINS0_14default_configENS1_36segmented_radix_sort_config_selectorI6__halflEEZNS1_25segmented_radix_sort_implIS3_Lb1EPKS5_PS5_PKlPlN2at6native12_GLOBAL__N_18offset_tEEE10hipError_tPvRmT1_PNSt15iterator_traitsISL_E10value_typeET2_T3_PNSM_ISR_E10value_typeET4_jRbjT5_SX_jjP12ihipStream_tbEUlT_E_NS1_11comp_targetILNS1_3genE2ELNS1_11target_archE906ELNS1_3gpuE6ELNS1_3repE0EEENS1_30default_config_static_selectorELNS0_4arch9wavefront6targetE0EEEvSL_,@function
_ZN7rocprim17ROCPRIM_400000_NS6detail17trampoline_kernelINS0_14default_configENS1_36segmented_radix_sort_config_selectorI6__halflEEZNS1_25segmented_radix_sort_implIS3_Lb1EPKS5_PS5_PKlPlN2at6native12_GLOBAL__N_18offset_tEEE10hipError_tPvRmT1_PNSt15iterator_traitsISL_E10value_typeET2_T3_PNSM_ISR_E10value_typeET4_jRbjT5_SX_jjP12ihipStream_tbEUlT_E_NS1_11comp_targetILNS1_3genE2ELNS1_11target_archE906ELNS1_3gpuE6ELNS1_3repE0EEENS1_30default_config_static_selectorELNS0_4arch9wavefront6targetE0EEEvSL_: ; @_ZN7rocprim17ROCPRIM_400000_NS6detail17trampoline_kernelINS0_14default_configENS1_36segmented_radix_sort_config_selectorI6__halflEEZNS1_25segmented_radix_sort_implIS3_Lb1EPKS5_PS5_PKlPlN2at6native12_GLOBAL__N_18offset_tEEE10hipError_tPvRmT1_PNSt15iterator_traitsISL_E10value_typeET2_T3_PNSM_ISR_E10value_typeET4_jRbjT5_SX_jjP12ihipStream_tbEUlT_E_NS1_11comp_targetILNS1_3genE2ELNS1_11target_archE906ELNS1_3gpuE6ELNS1_3repE0EEENS1_30default_config_static_selectorELNS0_4arch9wavefront6targetE0EEEvSL_
; %bb.0:
	.section	.rodata,"a",@progbits
	.p2align	6, 0x0
	.amdhsa_kernel _ZN7rocprim17ROCPRIM_400000_NS6detail17trampoline_kernelINS0_14default_configENS1_36segmented_radix_sort_config_selectorI6__halflEEZNS1_25segmented_radix_sort_implIS3_Lb1EPKS5_PS5_PKlPlN2at6native12_GLOBAL__N_18offset_tEEE10hipError_tPvRmT1_PNSt15iterator_traitsISL_E10value_typeET2_T3_PNSM_ISR_E10value_typeET4_jRbjT5_SX_jjP12ihipStream_tbEUlT_E_NS1_11comp_targetILNS1_3genE2ELNS1_11target_archE906ELNS1_3gpuE6ELNS1_3repE0EEENS1_30default_config_static_selectorELNS0_4arch9wavefront6targetE0EEEvSL_
		.amdhsa_group_segment_fixed_size 0
		.amdhsa_private_segment_fixed_size 0
		.amdhsa_kernarg_size 96
		.amdhsa_user_sgpr_count 2
		.amdhsa_user_sgpr_dispatch_ptr 0
		.amdhsa_user_sgpr_queue_ptr 0
		.amdhsa_user_sgpr_kernarg_segment_ptr 1
		.amdhsa_user_sgpr_dispatch_id 0
		.amdhsa_user_sgpr_private_segment_size 0
		.amdhsa_wavefront_size32 1
		.amdhsa_uses_dynamic_stack 0
		.amdhsa_enable_private_segment 0
		.amdhsa_system_sgpr_workgroup_id_x 1
		.amdhsa_system_sgpr_workgroup_id_y 0
		.amdhsa_system_sgpr_workgroup_id_z 0
		.amdhsa_system_sgpr_workgroup_info 0
		.amdhsa_system_vgpr_workitem_id 0
		.amdhsa_next_free_vgpr 1
		.amdhsa_next_free_sgpr 1
		.amdhsa_reserve_vcc 0
		.amdhsa_float_round_mode_32 0
		.amdhsa_float_round_mode_16_64 0
		.amdhsa_float_denorm_mode_32 3
		.amdhsa_float_denorm_mode_16_64 3
		.amdhsa_fp16_overflow 0
		.amdhsa_workgroup_processor_mode 1
		.amdhsa_memory_ordered 1
		.amdhsa_forward_progress 1
		.amdhsa_inst_pref_size 0
		.amdhsa_round_robin_scheduling 0
		.amdhsa_exception_fp_ieee_invalid_op 0
		.amdhsa_exception_fp_denorm_src 0
		.amdhsa_exception_fp_ieee_div_zero 0
		.amdhsa_exception_fp_ieee_overflow 0
		.amdhsa_exception_fp_ieee_underflow 0
		.amdhsa_exception_fp_ieee_inexact 0
		.amdhsa_exception_int_div_zero 0
	.end_amdhsa_kernel
	.section	.text._ZN7rocprim17ROCPRIM_400000_NS6detail17trampoline_kernelINS0_14default_configENS1_36segmented_radix_sort_config_selectorI6__halflEEZNS1_25segmented_radix_sort_implIS3_Lb1EPKS5_PS5_PKlPlN2at6native12_GLOBAL__N_18offset_tEEE10hipError_tPvRmT1_PNSt15iterator_traitsISL_E10value_typeET2_T3_PNSM_ISR_E10value_typeET4_jRbjT5_SX_jjP12ihipStream_tbEUlT_E_NS1_11comp_targetILNS1_3genE2ELNS1_11target_archE906ELNS1_3gpuE6ELNS1_3repE0EEENS1_30default_config_static_selectorELNS0_4arch9wavefront6targetE0EEEvSL_,"axG",@progbits,_ZN7rocprim17ROCPRIM_400000_NS6detail17trampoline_kernelINS0_14default_configENS1_36segmented_radix_sort_config_selectorI6__halflEEZNS1_25segmented_radix_sort_implIS3_Lb1EPKS5_PS5_PKlPlN2at6native12_GLOBAL__N_18offset_tEEE10hipError_tPvRmT1_PNSt15iterator_traitsISL_E10value_typeET2_T3_PNSM_ISR_E10value_typeET4_jRbjT5_SX_jjP12ihipStream_tbEUlT_E_NS1_11comp_targetILNS1_3genE2ELNS1_11target_archE906ELNS1_3gpuE6ELNS1_3repE0EEENS1_30default_config_static_selectorELNS0_4arch9wavefront6targetE0EEEvSL_,comdat
.Lfunc_end1743:
	.size	_ZN7rocprim17ROCPRIM_400000_NS6detail17trampoline_kernelINS0_14default_configENS1_36segmented_radix_sort_config_selectorI6__halflEEZNS1_25segmented_radix_sort_implIS3_Lb1EPKS5_PS5_PKlPlN2at6native12_GLOBAL__N_18offset_tEEE10hipError_tPvRmT1_PNSt15iterator_traitsISL_E10value_typeET2_T3_PNSM_ISR_E10value_typeET4_jRbjT5_SX_jjP12ihipStream_tbEUlT_E_NS1_11comp_targetILNS1_3genE2ELNS1_11target_archE906ELNS1_3gpuE6ELNS1_3repE0EEENS1_30default_config_static_selectorELNS0_4arch9wavefront6targetE0EEEvSL_, .Lfunc_end1743-_ZN7rocprim17ROCPRIM_400000_NS6detail17trampoline_kernelINS0_14default_configENS1_36segmented_radix_sort_config_selectorI6__halflEEZNS1_25segmented_radix_sort_implIS3_Lb1EPKS5_PS5_PKlPlN2at6native12_GLOBAL__N_18offset_tEEE10hipError_tPvRmT1_PNSt15iterator_traitsISL_E10value_typeET2_T3_PNSM_ISR_E10value_typeET4_jRbjT5_SX_jjP12ihipStream_tbEUlT_E_NS1_11comp_targetILNS1_3genE2ELNS1_11target_archE906ELNS1_3gpuE6ELNS1_3repE0EEENS1_30default_config_static_selectorELNS0_4arch9wavefront6targetE0EEEvSL_
                                        ; -- End function
	.set _ZN7rocprim17ROCPRIM_400000_NS6detail17trampoline_kernelINS0_14default_configENS1_36segmented_radix_sort_config_selectorI6__halflEEZNS1_25segmented_radix_sort_implIS3_Lb1EPKS5_PS5_PKlPlN2at6native12_GLOBAL__N_18offset_tEEE10hipError_tPvRmT1_PNSt15iterator_traitsISL_E10value_typeET2_T3_PNSM_ISR_E10value_typeET4_jRbjT5_SX_jjP12ihipStream_tbEUlT_E_NS1_11comp_targetILNS1_3genE2ELNS1_11target_archE906ELNS1_3gpuE6ELNS1_3repE0EEENS1_30default_config_static_selectorELNS0_4arch9wavefront6targetE0EEEvSL_.num_vgpr, 0
	.set _ZN7rocprim17ROCPRIM_400000_NS6detail17trampoline_kernelINS0_14default_configENS1_36segmented_radix_sort_config_selectorI6__halflEEZNS1_25segmented_radix_sort_implIS3_Lb1EPKS5_PS5_PKlPlN2at6native12_GLOBAL__N_18offset_tEEE10hipError_tPvRmT1_PNSt15iterator_traitsISL_E10value_typeET2_T3_PNSM_ISR_E10value_typeET4_jRbjT5_SX_jjP12ihipStream_tbEUlT_E_NS1_11comp_targetILNS1_3genE2ELNS1_11target_archE906ELNS1_3gpuE6ELNS1_3repE0EEENS1_30default_config_static_selectorELNS0_4arch9wavefront6targetE0EEEvSL_.num_agpr, 0
	.set _ZN7rocprim17ROCPRIM_400000_NS6detail17trampoline_kernelINS0_14default_configENS1_36segmented_radix_sort_config_selectorI6__halflEEZNS1_25segmented_radix_sort_implIS3_Lb1EPKS5_PS5_PKlPlN2at6native12_GLOBAL__N_18offset_tEEE10hipError_tPvRmT1_PNSt15iterator_traitsISL_E10value_typeET2_T3_PNSM_ISR_E10value_typeET4_jRbjT5_SX_jjP12ihipStream_tbEUlT_E_NS1_11comp_targetILNS1_3genE2ELNS1_11target_archE906ELNS1_3gpuE6ELNS1_3repE0EEENS1_30default_config_static_selectorELNS0_4arch9wavefront6targetE0EEEvSL_.numbered_sgpr, 0
	.set _ZN7rocprim17ROCPRIM_400000_NS6detail17trampoline_kernelINS0_14default_configENS1_36segmented_radix_sort_config_selectorI6__halflEEZNS1_25segmented_radix_sort_implIS3_Lb1EPKS5_PS5_PKlPlN2at6native12_GLOBAL__N_18offset_tEEE10hipError_tPvRmT1_PNSt15iterator_traitsISL_E10value_typeET2_T3_PNSM_ISR_E10value_typeET4_jRbjT5_SX_jjP12ihipStream_tbEUlT_E_NS1_11comp_targetILNS1_3genE2ELNS1_11target_archE906ELNS1_3gpuE6ELNS1_3repE0EEENS1_30default_config_static_selectorELNS0_4arch9wavefront6targetE0EEEvSL_.num_named_barrier, 0
	.set _ZN7rocprim17ROCPRIM_400000_NS6detail17trampoline_kernelINS0_14default_configENS1_36segmented_radix_sort_config_selectorI6__halflEEZNS1_25segmented_radix_sort_implIS3_Lb1EPKS5_PS5_PKlPlN2at6native12_GLOBAL__N_18offset_tEEE10hipError_tPvRmT1_PNSt15iterator_traitsISL_E10value_typeET2_T3_PNSM_ISR_E10value_typeET4_jRbjT5_SX_jjP12ihipStream_tbEUlT_E_NS1_11comp_targetILNS1_3genE2ELNS1_11target_archE906ELNS1_3gpuE6ELNS1_3repE0EEENS1_30default_config_static_selectorELNS0_4arch9wavefront6targetE0EEEvSL_.private_seg_size, 0
	.set _ZN7rocprim17ROCPRIM_400000_NS6detail17trampoline_kernelINS0_14default_configENS1_36segmented_radix_sort_config_selectorI6__halflEEZNS1_25segmented_radix_sort_implIS3_Lb1EPKS5_PS5_PKlPlN2at6native12_GLOBAL__N_18offset_tEEE10hipError_tPvRmT1_PNSt15iterator_traitsISL_E10value_typeET2_T3_PNSM_ISR_E10value_typeET4_jRbjT5_SX_jjP12ihipStream_tbEUlT_E_NS1_11comp_targetILNS1_3genE2ELNS1_11target_archE906ELNS1_3gpuE6ELNS1_3repE0EEENS1_30default_config_static_selectorELNS0_4arch9wavefront6targetE0EEEvSL_.uses_vcc, 0
	.set _ZN7rocprim17ROCPRIM_400000_NS6detail17trampoline_kernelINS0_14default_configENS1_36segmented_radix_sort_config_selectorI6__halflEEZNS1_25segmented_radix_sort_implIS3_Lb1EPKS5_PS5_PKlPlN2at6native12_GLOBAL__N_18offset_tEEE10hipError_tPvRmT1_PNSt15iterator_traitsISL_E10value_typeET2_T3_PNSM_ISR_E10value_typeET4_jRbjT5_SX_jjP12ihipStream_tbEUlT_E_NS1_11comp_targetILNS1_3genE2ELNS1_11target_archE906ELNS1_3gpuE6ELNS1_3repE0EEENS1_30default_config_static_selectorELNS0_4arch9wavefront6targetE0EEEvSL_.uses_flat_scratch, 0
	.set _ZN7rocprim17ROCPRIM_400000_NS6detail17trampoline_kernelINS0_14default_configENS1_36segmented_radix_sort_config_selectorI6__halflEEZNS1_25segmented_radix_sort_implIS3_Lb1EPKS5_PS5_PKlPlN2at6native12_GLOBAL__N_18offset_tEEE10hipError_tPvRmT1_PNSt15iterator_traitsISL_E10value_typeET2_T3_PNSM_ISR_E10value_typeET4_jRbjT5_SX_jjP12ihipStream_tbEUlT_E_NS1_11comp_targetILNS1_3genE2ELNS1_11target_archE906ELNS1_3gpuE6ELNS1_3repE0EEENS1_30default_config_static_selectorELNS0_4arch9wavefront6targetE0EEEvSL_.has_dyn_sized_stack, 0
	.set _ZN7rocprim17ROCPRIM_400000_NS6detail17trampoline_kernelINS0_14default_configENS1_36segmented_radix_sort_config_selectorI6__halflEEZNS1_25segmented_radix_sort_implIS3_Lb1EPKS5_PS5_PKlPlN2at6native12_GLOBAL__N_18offset_tEEE10hipError_tPvRmT1_PNSt15iterator_traitsISL_E10value_typeET2_T3_PNSM_ISR_E10value_typeET4_jRbjT5_SX_jjP12ihipStream_tbEUlT_E_NS1_11comp_targetILNS1_3genE2ELNS1_11target_archE906ELNS1_3gpuE6ELNS1_3repE0EEENS1_30default_config_static_selectorELNS0_4arch9wavefront6targetE0EEEvSL_.has_recursion, 0
	.set _ZN7rocprim17ROCPRIM_400000_NS6detail17trampoline_kernelINS0_14default_configENS1_36segmented_radix_sort_config_selectorI6__halflEEZNS1_25segmented_radix_sort_implIS3_Lb1EPKS5_PS5_PKlPlN2at6native12_GLOBAL__N_18offset_tEEE10hipError_tPvRmT1_PNSt15iterator_traitsISL_E10value_typeET2_T3_PNSM_ISR_E10value_typeET4_jRbjT5_SX_jjP12ihipStream_tbEUlT_E_NS1_11comp_targetILNS1_3genE2ELNS1_11target_archE906ELNS1_3gpuE6ELNS1_3repE0EEENS1_30default_config_static_selectorELNS0_4arch9wavefront6targetE0EEEvSL_.has_indirect_call, 0
	.section	.AMDGPU.csdata,"",@progbits
; Kernel info:
; codeLenInByte = 0
; TotalNumSgprs: 0
; NumVgprs: 0
; ScratchSize: 0
; MemoryBound: 0
; FloatMode: 240
; IeeeMode: 1
; LDSByteSize: 0 bytes/workgroup (compile time only)
; SGPRBlocks: 0
; VGPRBlocks: 0
; NumSGPRsForWavesPerEU: 1
; NumVGPRsForWavesPerEU: 1
; Occupancy: 16
; WaveLimiterHint : 0
; COMPUTE_PGM_RSRC2:SCRATCH_EN: 0
; COMPUTE_PGM_RSRC2:USER_SGPR: 2
; COMPUTE_PGM_RSRC2:TRAP_HANDLER: 0
; COMPUTE_PGM_RSRC2:TGID_X_EN: 1
; COMPUTE_PGM_RSRC2:TGID_Y_EN: 0
; COMPUTE_PGM_RSRC2:TGID_Z_EN: 0
; COMPUTE_PGM_RSRC2:TIDIG_COMP_CNT: 0
	.text
	.p2align	2                               ; -- Begin function _ZN7rocprim17ROCPRIM_400000_NS6detail40segmented_radix_sort_single_block_helperI6__halflLj256ELj8ELb1EE4sortIPKS3_PS3_PKlPlEEbT_T0_T1_T2_jjjjRNS4_12storage_typeE
	.type	_ZN7rocprim17ROCPRIM_400000_NS6detail40segmented_radix_sort_single_block_helperI6__halflLj256ELj8ELb1EE4sortIPKS3_PS3_PKlPlEEbT_T0_T1_T2_jjjjRNS4_12storage_typeE,@function
_ZN7rocprim17ROCPRIM_400000_NS6detail40segmented_radix_sort_single_block_helperI6__halflLj256ELj8ELb1EE4sortIPKS3_PS3_PKlPlEEbT_T0_T1_T2_jjjjRNS4_12storage_typeE: ; @_ZN7rocprim17ROCPRIM_400000_NS6detail40segmented_radix_sort_single_block_helperI6__halflLj256ELj8ELb1EE4sortIPKS3_PS3_PKlPlEEbT_T0_T1_T2_jjjjRNS4_12storage_typeE
; %bb.0:
	s_wait_loadcnt_dscnt 0x0
	s_wait_expcnt 0x0
	s_wait_samplecnt 0x0
	s_wait_bvhcnt 0x0
	s_wait_kmcnt 0x0
	v_sub_nc_u32_e32 v128, v9, v8
	s_mov_b32 s16, exec_lo
	s_delay_alu instid0(VALU_DEP_1)
	v_cmpx_gt_u32_e32 0x801, v128
	s_cbranch_execz .LBB1744_199
; %bb.1:
	v_bfe_u32 v9, v31, 10, 10
	v_bfe_u32 v14, v31, 20, 10
	v_and_b32_e32 v30, 0x3ff, v31
	v_mbcnt_lo_u32_b32 v66, -1, 0
	s_mov_b32 s0, exec_lo
	v_cmpx_lt_u32_e32 0x400, v128
	s_wait_alu 0xfffe
	s_xor_b32 s17, exec_lo, s0
	s_cbranch_execz .LBB1744_79
; %bb.2:
	s_load_b64 s[0:1], s[8:9], 0x0
	s_and_b32 s2, ttmp7, 0xffff
	s_mov_b32 s3, 0
	v_dual_mov_b32 v16, -1 :: v_dual_lshlrev_b32 v17, 1, v66
	s_wait_kmcnt 0x0
	s_wait_alu 0xfffe
	s_cmp_lt_u32 s2, s1
	s_cselect_b32 s2, 14, 20
	s_cmp_lt_u32 ttmp9, s0
	s_wait_alu 0xfffe
	s_add_nc_u64 s[4:5], s[8:9], s[2:3]
	s_cselect_b32 s2, 12, 18
	s_load_u16 s4, s[4:5], 0x0
	s_add_nc_u64 s[0:1], s[8:9], s[2:3]
	s_load_u16 s0, s[0:1], 0x0
	s_wait_kmcnt 0x0
	v_mad_u32_u24 v9, v14, s4, v9
	s_delay_alu instid0(VALU_DEP_1) | instskip(NEXT) | instid1(VALU_DEP_1)
	v_mad_co_u64_u32 v[24:25], null, v9, s0, v[30:31]
	v_dual_mov_b32 v9, 0 :: v_dual_lshlrev_b32 v14, 3, v24
	s_delay_alu instid0(VALU_DEP_1) | instskip(NEXT) | instid1(VALU_DEP_2)
	v_lshlrev_b64_e32 v[26:27], 1, v[8:9]
	v_dual_mov_b32 v15, v9 :: v_dual_and_b32 v14, 0xffffff00, v14
	s_delay_alu instid0(VALU_DEP_2) | instskip(SKIP_1) | instid1(VALU_DEP_3)
	v_add_co_u32 v18, vcc_lo, v0, v26
	s_wait_alu 0xfffd
	v_add_co_ci_u32_e64 v19, null, v1, v27, vcc_lo
	s_delay_alu instid0(VALU_DEP_3) | instskip(NEXT) | instid1(VALU_DEP_3)
	v_lshlrev_b64_e32 v[0:1], 1, v[14:15]
	v_add_co_u32 v17, vcc_lo, v18, v17
	v_or_b32_e32 v25, v14, v66
	s_wait_alu 0xfffd
	v_add_co_ci_u32_e64 v18, null, 0, v19, vcc_lo
	s_delay_alu instid0(VALU_DEP_3) | instskip(NEXT) | instid1(VALU_DEP_3)
	v_add_co_u32 v0, s0, v17, v0
	v_cmp_lt_u32_e32 vcc_lo, v25, v128
	s_wait_alu 0xf1ff
	s_delay_alu instid0(VALU_DEP_3)
	v_add_co_ci_u32_e64 v1, null, v18, v1, s0
	v_mov_b32_e32 v17, -1
	s_and_saveexec_b32 s0, vcc_lo
	s_cbranch_execz .LBB1744_4
; %bb.3:
	flat_load_u16 v17, v[0:1]
.LBB1744_4:
	s_wait_alu 0xfffe
	s_or_b32 exec_lo, exec_lo, s0
	v_or_b32_e32 v18, 32, v25
	s_delay_alu instid0(VALU_DEP_1)
	v_cmp_lt_u32_e64 s0, v18, v128
	s_and_saveexec_b32 s1, s0
	s_cbranch_execz .LBB1744_6
; %bb.5:
	flat_load_u16 v16, v[0:1] offset:64
.LBB1744_6:
	s_wait_alu 0xfffe
	s_or_b32 exec_lo, exec_lo, s1
	v_or_b32_e32 v19, 64, v25
	v_mov_b32_e32 v18, -1
	s_delay_alu instid0(VALU_DEP_2)
	v_cmp_lt_u32_e64 s1, v19, v128
	v_mov_b32_e32 v19, -1
	s_and_saveexec_b32 s2, s1
	s_cbranch_execz .LBB1744_8
; %bb.7:
	flat_load_u16 v19, v[0:1] offset:128
.LBB1744_8:
	s_wait_alu 0xfffe
	s_or_b32 exec_lo, exec_lo, s2
	v_or_b32_e32 v20, 0x60, v25
	s_delay_alu instid0(VALU_DEP_1)
	v_cmp_lt_u32_e64 s2, v20, v128
	s_and_saveexec_b32 s3, s2
	s_cbranch_execz .LBB1744_10
; %bb.9:
	flat_load_u16 v18, v[0:1] offset:192
.LBB1744_10:
	s_wait_alu 0xfffe
	s_or_b32 exec_lo, exec_lo, s3
	v_or_b32_e32 v21, 0x80, v25
	v_mov_b32_e32 v20, -1
	s_delay_alu instid0(VALU_DEP_2)
	v_cmp_lt_u32_e64 s3, v21, v128
	v_mov_b32_e32 v21, -1
	s_and_saveexec_b32 s4, s3
	s_cbranch_execz .LBB1744_12
; %bb.11:
	flat_load_u16 v21, v[0:1] offset:256
.LBB1744_12:
	;; [unrolled: 22-line block ×3, first 2 shown]
	s_wait_alu 0xfffe
	s_or_b32 exec_lo, exec_lo, s6
	v_or_b32_e32 v25, 0xe0, v25
	s_delay_alu instid0(VALU_DEP_1)
	v_cmp_lt_u32_e64 s6, v25, v128
	s_and_saveexec_b32 s7, s6
	s_cbranch_execz .LBB1744_18
; %bb.17:
	flat_load_u16 v22, v[0:1] offset:448
.LBB1744_18:
	s_wait_alu 0xfffe
	s_or_b32 exec_lo, exec_lo, s7
	v_lshlrev_b64_e32 v[0:1], 3, v[8:9]
	v_lshlrev_b32_e32 v8, 3, v66
                                        ; implicit-def: $vgpr33_vgpr34
	s_delay_alu instid0(VALU_DEP_2) | instskip(SKIP_1) | instid1(VALU_DEP_3)
	v_add_co_u32 v9, s7, v4, v0
	s_wait_alu 0xf1ff
	v_add_co_ci_u32_e64 v25, null, v5, v1, s7
	v_lshlrev_b64_e32 v[4:5], 3, v[14:15]
	s_delay_alu instid0(VALU_DEP_3) | instskip(SKIP_1) | instid1(VALU_DEP_3)
	v_add_co_u32 v8, s7, v9, v8
	s_wait_alu 0xf1ff
	v_add_co_ci_u32_e64 v9, null, 0, v25, s7
	s_delay_alu instid0(VALU_DEP_2) | instskip(SKIP_1) | instid1(VALU_DEP_2)
	v_add_co_u32 v4, s7, v8, v4
	s_wait_alu 0xf1ff
	v_add_co_ci_u32_e64 v5, null, v9, v5, s7
	s_and_saveexec_b32 s7, vcc_lo
	s_cbranch_execnz .LBB1744_112
; %bb.19:
	s_wait_alu 0xfffe
	s_or_b32 exec_lo, exec_lo, s7
                                        ; implicit-def: $vgpr35_vgpr36
	s_and_saveexec_b32 s7, s0
	s_cbranch_execnz .LBB1744_113
.LBB1744_20:
	s_wait_alu 0xfffe
	s_or_b32 exec_lo, exec_lo, s7
                                        ; implicit-def: $vgpr37_vgpr38
	s_and_saveexec_b32 s0, s1
	s_cbranch_execnz .LBB1744_114
.LBB1744_21:
	s_wait_alu 0xfffe
	s_or_b32 exec_lo, exec_lo, s0
                                        ; implicit-def: $vgpr48_vgpr49
	s_and_saveexec_b32 s0, s2
	s_cbranch_execnz .LBB1744_115
.LBB1744_22:
	s_wait_alu 0xfffe
	s_or_b32 exec_lo, exec_lo, s0
                                        ; implicit-def: $vgpr50_vgpr51
	s_and_saveexec_b32 s0, s3
	s_cbranch_execnz .LBB1744_116
.LBB1744_23:
	s_wait_alu 0xfffe
	s_or_b32 exec_lo, exec_lo, s0
                                        ; implicit-def: $vgpr52_vgpr53
	s_and_saveexec_b32 s0, s4
	s_cbranch_execnz .LBB1744_117
.LBB1744_24:
	s_wait_alu 0xfffe
	s_or_b32 exec_lo, exec_lo, s0
                                        ; implicit-def: $vgpr54_vgpr55
	s_and_saveexec_b32 s0, s5
	s_cbranch_execnz .LBB1744_118
.LBB1744_25:
	s_wait_alu 0xfffe
	s_or_b32 exec_lo, exec_lo, s0
                                        ; implicit-def: $vgpr64_vgpr65
	s_and_saveexec_b32 s0, s6
	s_cbranch_execz .LBB1744_27
.LBB1744_26:
	flat_load_b64 v[64:65], v[4:5] offset:1792
.LBB1744_27:
	s_wait_alu 0xfffe
	s_or_b32 exec_lo, exec_lo, s0
	s_wait_loadcnt_dscnt 0x0
	v_cmp_gt_i16_e32 vcc_lo, 0, v17
	s_getpc_b64 s[0:1]
	s_wait_alu 0xfffe
	s_sext_i32_i16 s1, s1
	s_add_co_u32 s0, s0, _ZN7rocprim17ROCPRIM_400000_NS16block_radix_sortI6__halfLj256ELj8ElLj1ELj1ELj8ELNS0_26block_radix_rank_algorithmE2ELNS0_18block_padding_hintE2ELNS0_4arch9wavefront6targetE0EE19radix_bits_per_passE@rel32@lo+12
	s_wait_alu 0xfffe
	s_add_co_ci_u32 s1, s1, _ZN7rocprim17ROCPRIM_400000_NS16block_radix_sortI6__halfLj256ELj8ElLj1ELj1ELj8ELNS0_26block_radix_rank_algorithmE2ELNS0_18block_padding_hintE2ELNS0_4arch9wavefront6targetE0EE19radix_bits_per_passE@rel32@hi+24
	v_lshrrev_b32_e32 v135, 5, v24
	s_load_b32 s18, s[0:1], 0x0
	v_cmp_gt_u32_e64 s6, 8, v30
	v_cndmask_b32_e64 v4, 0x7fff, 0, vcc_lo
	v_cmp_gt_i16_e32 vcc_lo, 0, v16
	v_cmp_lt_u32_e64 s7, 31, v30
	v_cmp_eq_u32_e64 s10, 0, v30
	v_lshl_add_u32 v146, v30, 2, v12
	v_xor_b32_e32 v197, v4, v17
	s_wait_alu 0xfffd
	v_cndmask_b32_e64 v5, 0x7fff, 0, vcc_lo
	v_cmp_gt_i16_e32 vcc_lo, 0, v19
	v_sub_nc_u32_e32 v180, v11, v10
	s_mov_b32 s19, 0
	s_wait_storecnt 0x0
	v_xor_b32_e32 v69, v5, v16
	s_wait_alu 0xfffd
	v_cndmask_b32_e64 v8, 0x7fff, 0, vcc_lo
	v_cmp_gt_i16_e32 vcc_lo, 0, v18
	s_barrier_signal -1
	s_barrier_wait -1
	global_inv scope:SCOPE_SE
	v_xor_b32_e32 v71, v8, v19
	s_wait_alu 0xfffd
	v_cndmask_b32_e64 v9, 0x7fff, 0, vcc_lo
	v_cmp_gt_i16_e32 vcc_lo, 0, v21
	s_delay_alu instid0(VALU_DEP_2) | instskip(SKIP_4) | instid1(VALU_DEP_3)
	v_xor_b32_e32 v81, v9, v18
	s_wait_alu 0xfffd
	v_cndmask_b32_e64 v14, 0x7fff, 0, vcc_lo
	v_cmp_gt_i16_e32 vcc_lo, 0, v20
	v_and_b32_e32 v9, 16, v66
	v_xor_b32_e32 v83, v14, v21
	s_wait_alu 0xfffd
	v_cndmask_b32_e64 v4, 0x7fff, 0, vcc_lo
	v_cmp_gt_i16_e32 vcc_lo, 0, v23
	v_sub_co_u32 v14, s2, v66, 1
	v_cmp_eq_u32_e64 s4, 0, v9
	s_delay_alu instid0(VALU_DEP_4)
	v_xor_b32_e32 v85, v4, v20
	s_wait_alu 0xfffd
	v_cndmask_b32_e64 v5, 0x7fff, 0, vcc_lo
	v_cmp_gt_i16_e32 vcc_lo, 0, v22
	v_lshl_add_u32 v4, v30, 5, v12
	v_cmp_gt_i32_e64 s5, 0, v14
	s_delay_alu instid0(VALU_DEP_4)
	v_xor_b32_e32 v87, v5, v23
	s_wait_alu 0xfffd
	v_cndmask_b32_e64 v8, 0x7fff, 0, vcc_lo
	v_add_nc_u32_e32 v25, 32, v4
	v_add_nc_u32_e32 v39, 36, v4
	;; [unrolled: 1-line block ×8, first 2 shown]
	v_and_b32_e32 v4, 0x3e0, v30
	v_xor_b32_e32 v67, v8, v22
	v_and_b32_e32 v8, 15, v66
	v_lshlrev_b32_e32 v5, 3, v30
	s_wait_alu 0xf1ff
	v_cndmask_b32_e64 v9, v14, v66, s5
	v_min_u32_e32 v4, 0xe0, v4
	v_cmp_eq_u32_e32 vcc_lo, 0, v8
	v_cmp_lt_u32_e64 s0, 1, v8
	v_cmp_lt_u32_e64 s1, 3, v8
	;; [unrolled: 1-line block ×3, first 2 shown]
	v_or_b32_e32 v4, 31, v4
	v_lshrrev_b32_e32 v8, 3, v30
	v_lshlrev_b32_e32 v144, 2, v9
	v_and_or_b32 v9, 0x1f00, v5, v66
	v_mov_b32_e32 v5, 0
	v_cmp_eq_u32_e64 s5, v30, v4
	v_and_b32_e32 v4, 0x7c, v8
	v_and_b32_e32 v8, 7, v66
	v_lshl_add_u32 v147, v9, 1, v12
	s_delay_alu instid0(VALU_DEP_3) | instskip(SKIP_1) | instid1(VALU_DEP_4)
	v_add_nc_u32_e32 v145, v12, v4
	v_mul_u32_u24_e32 v4, 6, v9
	v_cmp_eq_u32_e64 s11, 0, v8
	v_cmp_lt_u32_e64 s12, 1, v8
	v_cmp_lt_u32_e64 s13, 3, v8
	v_add_nc_u32_e32 v148, -4, v145
	v_add_nc_u32_e32 v160, v147, v4
	v_add_nc_u32_e32 v149, 64, v147
	;; [unrolled: 1-line block ×15, first 2 shown]
	s_branch .LBB1744_29
.LBB1744_28:                            ;   in Loop: Header=BB1744_29 Depth=1
	s_wait_alu 0xfffe
	s_or_b32 exec_lo, exec_lo, s15
	s_delay_alu instid0(SALU_CYCLE_1)
	s_and_b32 s14, exec_lo, s20
	s_wait_alu 0xfffe
	s_or_b32 s19, s14, s19
	s_wait_alu 0xfffe
	s_and_not1_b32 exec_lo, exec_lo, s19
	s_cbranch_execz .LBB1744_53
.LBB1744_29:                            ; =>This Inner Loop Header: Depth=1
	v_mov_b32_e32 v181, v197
	v_dual_mov_b32 v31, v33 :: v_dual_mov_b32 v22, v35
	v_mov_b32_e32 v32, v34
	s_wait_kmcnt 0x0
	v_min_u32_e32 v4, s18, v180
	v_cmp_ne_u16_e64 s14, 0x8000, v181
	v_dual_mov_b32 v23, v36 :: v_dual_mov_b32 v20, v37
	v_dual_mov_b32 v14, v50 :: v_dual_mov_b32 v15, v51
	s_wait_alu 0xf1ff
	s_delay_alu instid0(VALU_DEP_3) | instskip(SKIP_3) | instid1(VALU_DEP_4)
	v_cndmask_b32_e64 v8, 0x7fff, v181, s14
	v_mov_b32_e32 v21, v38
	v_lshlrev_b32_e64 v4, v4, -1
	v_dual_mov_b32 v28, v48 :: v_dual_mov_b32 v29, v49
	v_and_b32_e32 v16, 0xffff, v8
	v_dual_mov_b32 v8, v52 :: v_dual_mov_b32 v9, v53
	s_delay_alu instid0(VALU_DEP_4) | instskip(SKIP_1) | instid1(VALU_DEP_4)
	v_not_b32_e32 v36, v4
	v_dual_mov_b32 v18, v54 :: v_dual_mov_b32 v19, v55
	v_lshrrev_b32_e32 v4, v10, v16
	v_dual_mov_b32 v16, v64 :: v_dual_mov_b32 v17, v65
	v_dual_mov_b32 v183, v69 :: v_dual_mov_b32 v182, v71
	s_delay_alu instid0(VALU_DEP_3) | instskip(SKIP_2) | instid1(VALU_DEP_3)
	v_dual_mov_b32 v195, v81 :: v_dual_and_b32 v4, v4, v36
	v_mov_b32_e32 v192, v87
	v_dual_mov_b32 v194, v83 :: v_dual_mov_b32 v193, v85
	v_and_b32_e32 v33, 1, v4
	v_lshlrev_b32_e32 v34, 30, v4
	v_dual_mov_b32 v196, v67 :: v_dual_lshlrev_b32 v35, 29, v4
	v_lshlrev_b32_e32 v37, 28, v4
	s_delay_alu instid0(VALU_DEP_4)
	v_add_co_u32 v33, s14, v33, -1
	s_wait_alu 0xf1ff
	v_cndmask_b32_e64 v38, 0, 1, s14
	v_not_b32_e32 v51, v34
	v_cmp_gt_i32_e64 s15, 0, v34
	v_not_b32_e32 v34, v35
	v_lshlrev_b32_e32 v48, 27, v4
	v_cmp_ne_u32_e64 s14, 0, v38
	v_ashrrev_i32_e32 v51, 31, v51
	v_lshlrev_b32_e32 v49, 26, v4
	v_ashrrev_i32_e32 v34, 31, v34
	v_lshlrev_b32_e32 v50, 25, v4
	s_wait_alu 0xf1ff
	v_xor_b32_e32 v33, s14, v33
	v_cmp_gt_i32_e64 s14, 0, v35
	v_not_b32_e32 v35, v37
	v_xor_b32_e32 v51, s15, v51
	v_cmp_gt_i32_e64 s15, 0, v37
	v_and_b32_e32 v33, exec_lo, v33
	v_not_b32_e32 v37, v48
	v_ashrrev_i32_e32 v35, 31, v35
	s_wait_alu 0xf1ff
	v_xor_b32_e32 v34, s14, v34
	v_cmp_gt_i32_e64 s14, 0, v48
	v_and_b32_e32 v33, v33, v51
	v_not_b32_e32 v48, v49
	v_ashrrev_i32_e32 v37, 31, v37
	v_xor_b32_e32 v35, s15, v35
	v_lshlrev_b32_e32 v38, 24, v4
	v_and_b32_e32 v33, v33, v34
	v_cmp_gt_i32_e64 s15, 0, v49
	v_not_b32_e32 v34, v50
	v_ashrrev_i32_e32 v48, 31, v48
	s_wait_alu 0xf1ff
	v_xor_b32_e32 v37, s14, v37
	v_and_b32_e32 v33, v33, v35
	v_cmp_gt_i32_e64 s14, 0, v50
	v_not_b32_e32 v35, v38
	v_ashrrev_i32_e32 v34, 31, v34
	v_xor_b32_e32 v48, s15, v48
	v_and_b32_e32 v33, v33, v37
	v_cmp_gt_i32_e64 s15, 0, v38
	v_ashrrev_i32_e32 v35, 31, v35
	s_wait_alu 0xf1ff
	v_xor_b32_e32 v34, s14, v34
	v_lshlrev_b32_e32 v4, 3, v4
	v_and_b32_e32 v33, v33, v48
	ds_store_b32 v25, v5
	ds_store_b32 v39, v5
	;; [unrolled: 1-line block ×3, first 2 shown]
	v_xor_b32_e32 v35, s15, v35
	ds_store_b32 v130, v5
	ds_store_b32 v131, v5
	;; [unrolled: 1-line block ×3, first 2 shown]
	v_and_b32_e32 v33, v33, v34
	ds_store_b32 v133, v5
	ds_store_b32 v134, v5
	s_wait_loadcnt_dscnt 0x0
	s_barrier_signal -1
	s_barrier_wait -1
	v_and_b32_e32 v34, v33, v35
	v_add_lshl_u32 v33, v4, v135, 2
	global_inv scope:SCOPE_SE
	; wave barrier
	v_mbcnt_lo_u32_b32 v4, v34, 0
	v_add_co_u32 v33, null, v12, v33
	v_cmp_ne_u32_e64 s15, 0, v34
	s_delay_alu instid0(VALU_DEP_3) | instskip(NEXT) | instid1(VALU_DEP_3)
	v_cmp_eq_u32_e64 s14, 0, v4
	v_add_co_u32 v33, null, v33, 32
	s_and_b32 s15, s15, s14
	s_wait_alu 0xfffe
	s_and_saveexec_b32 s14, s15
; %bb.30:                               ;   in Loop: Header=BB1744_29 Depth=1
	v_bcnt_u32_b32 v34, v34, 0
	ds_store_b32 v33, v34
; %bb.31:                               ;   in Loop: Header=BB1744_29 Depth=1
	s_wait_alu 0xfffe
	s_or_b32 exec_lo, exec_lo, s14
	v_cmp_ne_u16_e64 s14, 0x8000, v183
	; wave barrier
	s_wait_alu 0xf1ff
	s_delay_alu instid0(VALU_DEP_1) | instskip(NEXT) | instid1(VALU_DEP_1)
	v_cndmask_b32_e64 v34, 0x7fff, v183, s14
	v_and_b32_e32 v34, 0xffff, v34
	s_delay_alu instid0(VALU_DEP_1) | instskip(NEXT) | instid1(VALU_DEP_1)
	v_lshrrev_b32_e32 v34, v10, v34
	v_and_b32_e32 v34, v34, v36
	s_delay_alu instid0(VALU_DEP_1)
	v_and_b32_e32 v35, 1, v34
	v_lshlrev_b32_e32 v37, 30, v34
	v_lshlrev_b32_e32 v38, 29, v34
	;; [unrolled: 1-line block ×4, first 2 shown]
	v_add_co_u32 v35, s14, v35, -1
	s_wait_alu 0xf1ff
	v_cndmask_b32_e64 v49, 0, 1, s14
	v_not_b32_e32 v53, v37
	v_cmp_gt_i32_e64 s15, 0, v37
	v_not_b32_e32 v37, v38
	v_lshlrev_b32_e32 v51, 26, v34
	v_cmp_ne_u32_e64 s14, 0, v49
	v_ashrrev_i32_e32 v53, 31, v53
	v_lshlrev_b32_e32 v52, 25, v34
	v_ashrrev_i32_e32 v37, 31, v37
	v_lshlrev_b32_e32 v49, 24, v34
	s_wait_alu 0xf1ff
	v_xor_b32_e32 v35, s14, v35
	v_cmp_gt_i32_e64 s14, 0, v38
	v_not_b32_e32 v38, v48
	v_xor_b32_e32 v53, s15, v53
	v_cmp_gt_i32_e64 s15, 0, v48
	v_and_b32_e32 v35, exec_lo, v35
	v_not_b32_e32 v48, v50
	v_ashrrev_i32_e32 v38, 31, v38
	s_wait_alu 0xf1ff
	v_xor_b32_e32 v37, s14, v37
	v_cmp_gt_i32_e64 s14, 0, v50
	v_and_b32_e32 v35, v35, v53
	v_not_b32_e32 v50, v51
	v_ashrrev_i32_e32 v48, 31, v48
	v_xor_b32_e32 v38, s15, v38
	v_cmp_gt_i32_e64 s15, 0, v51
	v_and_b32_e32 v35, v35, v37
	v_not_b32_e32 v37, v52
	v_ashrrev_i32_e32 v50, 31, v50
	s_wait_alu 0xf1ff
	v_xor_b32_e32 v48, s14, v48
	v_cmp_gt_i32_e64 s14, 0, v52
	v_and_b32_e32 v35, v35, v38
	v_not_b32_e32 v38, v49
	v_ashrrev_i32_e32 v37, 31, v37
	v_xor_b32_e32 v50, s15, v50
	v_lshl_add_u32 v34, v34, 3, v135
	v_and_b32_e32 v35, v35, v48
	v_cmp_gt_i32_e64 s15, 0, v49
	v_ashrrev_i32_e32 v38, 31, v38
	s_wait_alu 0xf1ff
	v_xor_b32_e32 v37, s14, v37
	v_lshl_add_u32 v48, v34, 2, v12
	v_and_b32_e32 v35, v35, v50
	v_xor_b32_e32 v38, s15, v38
	ds_load_b32 v34, v48 offset:32
	v_and_b32_e32 v35, v35, v37
	v_add_nc_u32_e32 v37, 32, v48
	; wave barrier
	s_delay_alu instid0(VALU_DEP_2) | instskip(NEXT) | instid1(VALU_DEP_1)
	v_and_b32_e32 v38, v35, v38
	v_mbcnt_lo_u32_b32 v35, v38, 0
	v_cmp_ne_u32_e64 s15, 0, v38
	s_delay_alu instid0(VALU_DEP_2)
	v_cmp_eq_u32_e64 s14, 0, v35
	s_and_b32 s15, s15, s14
	s_wait_alu 0xfffe
	s_and_saveexec_b32 s14, s15
	s_cbranch_execz .LBB1744_33
; %bb.32:                               ;   in Loop: Header=BB1744_29 Depth=1
	s_wait_dscnt 0x0
	v_bcnt_u32_b32 v38, v38, v34
	ds_store_b32 v37, v38
.LBB1744_33:                            ;   in Loop: Header=BB1744_29 Depth=1
	s_wait_alu 0xfffe
	s_or_b32 exec_lo, exec_lo, s14
	v_cmp_ne_u16_e64 s14, 0x8000, v182
	; wave barrier
	s_wait_alu 0xf1ff
	s_delay_alu instid0(VALU_DEP_1) | instskip(NEXT) | instid1(VALU_DEP_1)
	v_cndmask_b32_e64 v38, 0x7fff, v182, s14
	v_and_b32_e32 v38, 0xffff, v38
	s_delay_alu instid0(VALU_DEP_1) | instskip(NEXT) | instid1(VALU_DEP_1)
	v_lshrrev_b32_e32 v38, v10, v38
	v_and_b32_e32 v38, v38, v36
	s_delay_alu instid0(VALU_DEP_1)
	v_and_b32_e32 v48, 1, v38
	v_lshlrev_b32_e32 v49, 30, v38
	v_lshlrev_b32_e32 v50, 29, v38
	;; [unrolled: 1-line block ×4, first 2 shown]
	v_add_co_u32 v48, s14, v48, -1
	s_wait_alu 0xf1ff
	v_cndmask_b32_e64 v52, 0, 1, s14
	v_not_b32_e32 v64, v49
	v_cmp_gt_i32_e64 s15, 0, v49
	v_not_b32_e32 v49, v50
	v_lshlrev_b32_e32 v54, 26, v38
	v_cmp_ne_u32_e64 s14, 0, v52
	v_ashrrev_i32_e32 v64, 31, v64
	v_lshlrev_b32_e32 v55, 25, v38
	v_ashrrev_i32_e32 v49, 31, v49
	v_lshlrev_b32_e32 v52, 24, v38
	s_wait_alu 0xf1ff
	v_xor_b32_e32 v48, s14, v48
	v_cmp_gt_i32_e64 s14, 0, v50
	v_not_b32_e32 v50, v51
	v_xor_b32_e32 v64, s15, v64
	v_cmp_gt_i32_e64 s15, 0, v51
	v_and_b32_e32 v48, exec_lo, v48
	v_not_b32_e32 v51, v53
	v_ashrrev_i32_e32 v50, 31, v50
	s_wait_alu 0xf1ff
	v_xor_b32_e32 v49, s14, v49
	v_cmp_gt_i32_e64 s14, 0, v53
	v_and_b32_e32 v48, v48, v64
	v_not_b32_e32 v53, v54
	v_ashrrev_i32_e32 v51, 31, v51
	v_xor_b32_e32 v50, s15, v50
	v_cmp_gt_i32_e64 s15, 0, v54
	v_and_b32_e32 v48, v48, v49
	v_not_b32_e32 v49, v55
	v_ashrrev_i32_e32 v53, 31, v53
	s_wait_alu 0xf1ff
	v_xor_b32_e32 v51, s14, v51
	v_cmp_gt_i32_e64 s14, 0, v55
	v_and_b32_e32 v48, v48, v50
	v_not_b32_e32 v50, v52
	v_ashrrev_i32_e32 v49, 31, v49
	v_xor_b32_e32 v53, s15, v53
	v_lshl_add_u32 v38, v38, 3, v135
	v_and_b32_e32 v48, v48, v51
	v_cmp_gt_i32_e64 s15, 0, v52
	v_ashrrev_i32_e32 v50, 31, v50
	s_wait_alu 0xf1ff
	v_xor_b32_e32 v49, s14, v49
	v_lshl_add_u32 v51, v38, 2, v12
	v_and_b32_e32 v48, v48, v53
	v_xor_b32_e32 v50, s15, v50
	ds_load_b32 v38, v51 offset:32
	v_and_b32_e32 v48, v48, v49
	v_add_nc_u32_e32 v49, 32, v51
	; wave barrier
	s_delay_alu instid0(VALU_DEP_2) | instskip(NEXT) | instid1(VALU_DEP_1)
	v_and_b32_e32 v50, v48, v50
	v_mbcnt_lo_u32_b32 v48, v50, 0
	v_cmp_ne_u32_e64 s15, 0, v50
	s_delay_alu instid0(VALU_DEP_2)
	v_cmp_eq_u32_e64 s14, 0, v48
	s_and_b32 s15, s15, s14
	s_wait_alu 0xfffe
	s_and_saveexec_b32 s14, s15
	s_cbranch_execz .LBB1744_35
; %bb.34:                               ;   in Loop: Header=BB1744_29 Depth=1
	s_wait_dscnt 0x0
	v_bcnt_u32_b32 v50, v50, v38
	ds_store_b32 v49, v50
.LBB1744_35:                            ;   in Loop: Header=BB1744_29 Depth=1
	s_wait_alu 0xfffe
	s_or_b32 exec_lo, exec_lo, s14
	v_cmp_ne_u16_e64 s14, 0x8000, v195
	; wave barrier
	s_wait_alu 0xf1ff
	s_delay_alu instid0(VALU_DEP_1) | instskip(NEXT) | instid1(VALU_DEP_1)
	v_cndmask_b32_e64 v50, 0x7fff, v195, s14
	v_and_b32_e32 v50, 0xffff, v50
	s_delay_alu instid0(VALU_DEP_1) | instskip(NEXT) | instid1(VALU_DEP_1)
	v_lshrrev_b32_e32 v50, v10, v50
	v_and_b32_e32 v50, v50, v36
	s_delay_alu instid0(VALU_DEP_1)
	v_and_b32_e32 v51, 1, v50
	v_lshlrev_b32_e32 v52, 30, v50
	v_lshlrev_b32_e32 v53, 29, v50
	;; [unrolled: 1-line block ×4, first 2 shown]
	v_add_co_u32 v51, s14, v51, -1
	s_wait_alu 0xf1ff
	v_cndmask_b32_e64 v55, 0, 1, s14
	v_not_b32_e32 v67, v52
	v_cmp_gt_i32_e64 s15, 0, v52
	v_not_b32_e32 v52, v53
	v_lshlrev_b32_e32 v65, 26, v50
	v_cmp_ne_u32_e64 s14, 0, v55
	v_ashrrev_i32_e32 v67, 31, v67
	v_lshlrev_b32_e32 v66, 25, v50
	v_ashrrev_i32_e32 v52, 31, v52
	v_lshlrev_b32_e32 v55, 24, v50
	s_wait_alu 0xf1ff
	v_xor_b32_e32 v51, s14, v51
	v_cmp_gt_i32_e64 s14, 0, v53
	v_not_b32_e32 v53, v54
	v_xor_b32_e32 v67, s15, v67
	v_cmp_gt_i32_e64 s15, 0, v54
	v_and_b32_e32 v51, exec_lo, v51
	v_not_b32_e32 v54, v64
	v_ashrrev_i32_e32 v53, 31, v53
	s_wait_alu 0xf1ff
	v_xor_b32_e32 v52, s14, v52
	v_cmp_gt_i32_e64 s14, 0, v64
	v_and_b32_e32 v51, v51, v67
	v_not_b32_e32 v64, v65
	v_ashrrev_i32_e32 v54, 31, v54
	v_xor_b32_e32 v53, s15, v53
	v_cmp_gt_i32_e64 s15, 0, v65
	v_and_b32_e32 v51, v51, v52
	v_not_b32_e32 v52, v66
	v_ashrrev_i32_e32 v64, 31, v64
	s_wait_alu 0xf1ff
	v_xor_b32_e32 v54, s14, v54
	v_cmp_gt_i32_e64 s14, 0, v66
	v_and_b32_e32 v51, v51, v53
	v_not_b32_e32 v53, v55
	v_ashrrev_i32_e32 v52, 31, v52
	v_xor_b32_e32 v64, s15, v64
	v_lshl_add_u32 v50, v50, 3, v135
	v_and_b32_e32 v51, v51, v54
	v_cmp_gt_i32_e64 s15, 0, v55
	v_ashrrev_i32_e32 v53, 31, v53
	s_wait_alu 0xf1ff
	v_xor_b32_e32 v52, s14, v52
	v_lshl_add_u32 v54, v50, 2, v12
	v_and_b32_e32 v51, v51, v64
	v_xor_b32_e32 v53, s15, v53
	ds_load_b32 v50, v54 offset:32
	v_and_b32_e32 v51, v51, v52
	v_add_nc_u32_e32 v52, 32, v54
	; wave barrier
	s_delay_alu instid0(VALU_DEP_2) | instskip(NEXT) | instid1(VALU_DEP_1)
	v_and_b32_e32 v53, v51, v53
	v_mbcnt_lo_u32_b32 v51, v53, 0
	v_cmp_ne_u32_e64 s15, 0, v53
	s_delay_alu instid0(VALU_DEP_2)
	v_cmp_eq_u32_e64 s14, 0, v51
	s_and_b32 s15, s15, s14
	s_wait_alu 0xfffe
	s_and_saveexec_b32 s14, s15
	s_cbranch_execz .LBB1744_37
; %bb.36:                               ;   in Loop: Header=BB1744_29 Depth=1
	s_wait_dscnt 0x0
	v_bcnt_u32_b32 v53, v53, v50
	ds_store_b32 v52, v53
.LBB1744_37:                            ;   in Loop: Header=BB1744_29 Depth=1
	s_wait_alu 0xfffe
	s_or_b32 exec_lo, exec_lo, s14
	v_cmp_ne_u16_e64 s14, 0x8000, v194
	; wave barrier
	s_wait_alu 0xf1ff
	s_delay_alu instid0(VALU_DEP_1) | instskip(NEXT) | instid1(VALU_DEP_1)
	v_cndmask_b32_e64 v53, 0x7fff, v194, s14
	v_and_b32_e32 v53, 0xffff, v53
	s_delay_alu instid0(VALU_DEP_1) | instskip(NEXT) | instid1(VALU_DEP_1)
	v_lshrrev_b32_e32 v53, v10, v53
	v_and_b32_e32 v53, v53, v36
	s_delay_alu instid0(VALU_DEP_1)
	v_and_b32_e32 v54, 1, v53
	v_lshlrev_b32_e32 v55, 30, v53
	v_lshlrev_b32_e32 v64, 29, v53
	;; [unrolled: 1-line block ×4, first 2 shown]
	v_add_co_u32 v54, s14, v54, -1
	s_wait_alu 0xf1ff
	v_cndmask_b32_e64 v66, 0, 1, s14
	v_not_b32_e32 v70, v55
	v_cmp_gt_i32_e64 s15, 0, v55
	v_not_b32_e32 v55, v64
	v_lshlrev_b32_e32 v68, 26, v53
	v_cmp_ne_u32_e64 s14, 0, v66
	v_ashrrev_i32_e32 v70, 31, v70
	v_lshlrev_b32_e32 v69, 25, v53
	v_ashrrev_i32_e32 v55, 31, v55
	v_lshlrev_b32_e32 v66, 24, v53
	s_wait_alu 0xf1ff
	v_xor_b32_e32 v54, s14, v54
	v_cmp_gt_i32_e64 s14, 0, v64
	v_not_b32_e32 v64, v65
	v_xor_b32_e32 v70, s15, v70
	v_cmp_gt_i32_e64 s15, 0, v65
	v_and_b32_e32 v54, exec_lo, v54
	v_not_b32_e32 v65, v67
	v_ashrrev_i32_e32 v64, 31, v64
	s_wait_alu 0xf1ff
	v_xor_b32_e32 v55, s14, v55
	v_cmp_gt_i32_e64 s14, 0, v67
	v_and_b32_e32 v54, v54, v70
	v_not_b32_e32 v67, v68
	v_ashrrev_i32_e32 v65, 31, v65
	v_xor_b32_e32 v64, s15, v64
	v_cmp_gt_i32_e64 s15, 0, v68
	v_and_b32_e32 v54, v54, v55
	v_not_b32_e32 v55, v69
	v_ashrrev_i32_e32 v67, 31, v67
	s_wait_alu 0xf1ff
	v_xor_b32_e32 v65, s14, v65
	v_cmp_gt_i32_e64 s14, 0, v69
	v_and_b32_e32 v54, v54, v64
	v_not_b32_e32 v64, v66
	v_ashrrev_i32_e32 v55, 31, v55
	v_xor_b32_e32 v67, s15, v67
	v_lshl_add_u32 v53, v53, 3, v135
	v_and_b32_e32 v54, v54, v65
	v_cmp_gt_i32_e64 s15, 0, v66
	v_ashrrev_i32_e32 v64, 31, v64
	s_wait_alu 0xf1ff
	v_xor_b32_e32 v55, s14, v55
	v_lshl_add_u32 v65, v53, 2, v12
	v_and_b32_e32 v54, v54, v67
	v_xor_b32_e32 v64, s15, v64
	ds_load_b32 v53, v65 offset:32
	v_and_b32_e32 v54, v54, v55
	v_add_nc_u32_e32 v55, 32, v65
	; wave barrier
	s_delay_alu instid0(VALU_DEP_2) | instskip(NEXT) | instid1(VALU_DEP_1)
	v_and_b32_e32 v64, v54, v64
	v_mbcnt_lo_u32_b32 v54, v64, 0
	v_cmp_ne_u32_e64 s15, 0, v64
	s_delay_alu instid0(VALU_DEP_2)
	v_cmp_eq_u32_e64 s14, 0, v54
	s_and_b32 s15, s15, s14
	s_wait_alu 0xfffe
	s_and_saveexec_b32 s14, s15
	s_cbranch_execz .LBB1744_39
; %bb.38:                               ;   in Loop: Header=BB1744_29 Depth=1
	s_wait_dscnt 0x0
	v_bcnt_u32_b32 v64, v64, v53
	ds_store_b32 v55, v64
.LBB1744_39:                            ;   in Loop: Header=BB1744_29 Depth=1
	s_wait_alu 0xfffe
	s_or_b32 exec_lo, exec_lo, s14
	v_cmp_ne_u16_e64 s14, 0x8000, v193
	; wave barrier
	s_wait_alu 0xf1ff
	s_delay_alu instid0(VALU_DEP_1) | instskip(NEXT) | instid1(VALU_DEP_1)
	v_cndmask_b32_e64 v64, 0x7fff, v193, s14
	v_and_b32_e32 v64, 0xffff, v64
	s_delay_alu instid0(VALU_DEP_1) | instskip(NEXT) | instid1(VALU_DEP_1)
	v_lshrrev_b32_e32 v64, v10, v64
	v_and_b32_e32 v64, v64, v36
	s_delay_alu instid0(VALU_DEP_1)
	v_and_b32_e32 v65, 1, v64
	v_lshlrev_b32_e32 v66, 30, v64
	v_lshlrev_b32_e32 v67, 29, v64
	v_lshlrev_b32_e32 v68, 28, v64
	v_lshlrev_b32_e32 v70, 27, v64
	v_add_co_u32 v65, s14, v65, -1
	s_wait_alu 0xf1ff
	v_cndmask_b32_e64 v69, 0, 1, s14
	v_not_b32_e32 v81, v66
	v_cmp_gt_i32_e64 s15, 0, v66
	v_not_b32_e32 v66, v67
	v_lshlrev_b32_e32 v71, 26, v64
	v_cmp_ne_u32_e64 s14, 0, v69
	v_ashrrev_i32_e32 v81, 31, v81
	v_lshlrev_b32_e32 v80, 25, v64
	v_ashrrev_i32_e32 v66, 31, v66
	v_lshlrev_b32_e32 v69, 24, v64
	s_wait_alu 0xf1ff
	v_xor_b32_e32 v65, s14, v65
	v_cmp_gt_i32_e64 s14, 0, v67
	v_not_b32_e32 v67, v68
	v_xor_b32_e32 v81, s15, v81
	v_cmp_gt_i32_e64 s15, 0, v68
	v_and_b32_e32 v65, exec_lo, v65
	v_not_b32_e32 v68, v70
	v_ashrrev_i32_e32 v67, 31, v67
	s_wait_alu 0xf1ff
	v_xor_b32_e32 v66, s14, v66
	v_cmp_gt_i32_e64 s14, 0, v70
	v_and_b32_e32 v65, v65, v81
	v_not_b32_e32 v70, v71
	v_ashrrev_i32_e32 v68, 31, v68
	v_xor_b32_e32 v67, s15, v67
	v_cmp_gt_i32_e64 s15, 0, v71
	v_and_b32_e32 v65, v65, v66
	v_not_b32_e32 v66, v80
	v_ashrrev_i32_e32 v70, 31, v70
	s_wait_alu 0xf1ff
	v_xor_b32_e32 v68, s14, v68
	v_cmp_gt_i32_e64 s14, 0, v80
	v_and_b32_e32 v65, v65, v67
	v_not_b32_e32 v67, v69
	v_ashrrev_i32_e32 v66, 31, v66
	v_xor_b32_e32 v70, s15, v70
	v_lshl_add_u32 v64, v64, 3, v135
	v_and_b32_e32 v65, v65, v68
	v_cmp_gt_i32_e64 s15, 0, v69
	v_ashrrev_i32_e32 v67, 31, v67
	s_wait_alu 0xf1ff
	v_xor_b32_e32 v66, s14, v66
	v_lshl_add_u32 v68, v64, 2, v12
	v_and_b32_e32 v65, v65, v70
	v_xor_b32_e32 v67, s15, v67
	ds_load_b32 v64, v68 offset:32
	v_and_b32_e32 v65, v65, v66
	v_add_nc_u32_e32 v66, 32, v68
	; wave barrier
	s_delay_alu instid0(VALU_DEP_2) | instskip(NEXT) | instid1(VALU_DEP_1)
	v_and_b32_e32 v67, v65, v67
	v_mbcnt_lo_u32_b32 v65, v67, 0
	v_cmp_ne_u32_e64 s15, 0, v67
	s_delay_alu instid0(VALU_DEP_2)
	v_cmp_eq_u32_e64 s14, 0, v65
	s_and_b32 s15, s15, s14
	s_wait_alu 0xfffe
	s_and_saveexec_b32 s14, s15
	s_cbranch_execz .LBB1744_41
; %bb.40:                               ;   in Loop: Header=BB1744_29 Depth=1
	s_wait_dscnt 0x0
	v_bcnt_u32_b32 v67, v67, v64
	ds_store_b32 v66, v67
.LBB1744_41:                            ;   in Loop: Header=BB1744_29 Depth=1
	s_wait_alu 0xfffe
	s_or_b32 exec_lo, exec_lo, s14
	v_cmp_ne_u16_e64 s14, 0x8000, v192
	; wave barrier
	s_wait_alu 0xf1ff
	s_delay_alu instid0(VALU_DEP_1) | instskip(NEXT) | instid1(VALU_DEP_1)
	v_cndmask_b32_e64 v67, 0x7fff, v192, s14
	v_and_b32_e32 v67, 0xffff, v67
	s_delay_alu instid0(VALU_DEP_1) | instskip(NEXT) | instid1(VALU_DEP_1)
	v_lshrrev_b32_e32 v67, v10, v67
	v_and_b32_e32 v67, v67, v36
	s_delay_alu instid0(VALU_DEP_1)
	v_and_b32_e32 v68, 1, v67
	v_lshlrev_b32_e32 v69, 30, v67
	v_lshlrev_b32_e32 v70, 29, v67
	;; [unrolled: 1-line block ×4, first 2 shown]
	v_add_co_u32 v68, s14, v68, -1
	s_wait_alu 0xf1ff
	v_cndmask_b32_e64 v80, 0, 1, s14
	v_not_b32_e32 v84, v69
	v_cmp_gt_i32_e64 s15, 0, v69
	v_not_b32_e32 v69, v70
	v_lshlrev_b32_e32 v82, 26, v67
	v_cmp_ne_u32_e64 s14, 0, v80
	v_ashrrev_i32_e32 v84, 31, v84
	v_lshlrev_b32_e32 v83, 25, v67
	v_ashrrev_i32_e32 v69, 31, v69
	v_lshlrev_b32_e32 v80, 24, v67
	s_wait_alu 0xf1ff
	v_xor_b32_e32 v68, s14, v68
	v_cmp_gt_i32_e64 s14, 0, v70
	v_not_b32_e32 v70, v71
	v_xor_b32_e32 v84, s15, v84
	v_cmp_gt_i32_e64 s15, 0, v71
	v_and_b32_e32 v68, exec_lo, v68
	v_not_b32_e32 v71, v81
	v_ashrrev_i32_e32 v70, 31, v70
	s_wait_alu 0xf1ff
	v_xor_b32_e32 v69, s14, v69
	v_cmp_gt_i32_e64 s14, 0, v81
	v_and_b32_e32 v68, v68, v84
	v_not_b32_e32 v81, v82
	v_ashrrev_i32_e32 v71, 31, v71
	v_xor_b32_e32 v70, s15, v70
	v_cmp_gt_i32_e64 s15, 0, v82
	v_and_b32_e32 v68, v68, v69
	v_not_b32_e32 v69, v83
	v_ashrrev_i32_e32 v81, 31, v81
	s_wait_alu 0xf1ff
	v_xor_b32_e32 v71, s14, v71
	v_cmp_gt_i32_e64 s14, 0, v83
	v_and_b32_e32 v68, v68, v70
	v_not_b32_e32 v70, v80
	v_ashrrev_i32_e32 v69, 31, v69
	v_xor_b32_e32 v81, s15, v81
	v_lshl_add_u32 v67, v67, 3, v135
	v_and_b32_e32 v68, v68, v71
	v_cmp_gt_i32_e64 s15, 0, v80
	v_ashrrev_i32_e32 v70, 31, v70
	s_wait_alu 0xf1ff
	v_xor_b32_e32 v69, s14, v69
	v_lshl_add_u32 v67, v67, 2, v12
	v_and_b32_e32 v68, v68, v81
	v_xor_b32_e32 v70, s15, v70
	ds_load_b32 v84, v67 offset:32
	v_and_b32_e32 v68, v68, v69
	v_add_nc_u32_e32 v67, 32, v67
	; wave barrier
	s_delay_alu instid0(VALU_DEP_2) | instskip(NEXT) | instid1(VALU_DEP_1)
	v_and_b32_e32 v68, v68, v70
	v_mbcnt_lo_u32_b32 v86, v68, 0
	v_cmp_ne_u32_e64 s15, 0, v68
	s_delay_alu instid0(VALU_DEP_2)
	v_cmp_eq_u32_e64 s14, 0, v86
	s_and_b32 s15, s15, s14
	s_wait_alu 0xfffe
	s_and_saveexec_b32 s14, s15
	s_cbranch_execz .LBB1744_43
; %bb.42:                               ;   in Loop: Header=BB1744_29 Depth=1
	s_wait_dscnt 0x0
	v_bcnt_u32_b32 v68, v68, v84
	ds_store_b32 v67, v68
.LBB1744_43:                            ;   in Loop: Header=BB1744_29 Depth=1
	s_wait_alu 0xfffe
	s_or_b32 exec_lo, exec_lo, s14
	v_cmp_ne_u16_e64 s14, 0x8000, v196
	; wave barrier
	s_wait_alu 0xf1ff
	s_delay_alu instid0(VALU_DEP_1) | instskip(NEXT) | instid1(VALU_DEP_1)
	v_cndmask_b32_e64 v68, 0x7fff, v196, s14
	v_and_b32_e32 v68, 0xffff, v68
	s_delay_alu instid0(VALU_DEP_1) | instskip(NEXT) | instid1(VALU_DEP_1)
	v_lshrrev_b32_e32 v68, v10, v68
	v_and_b32_e32 v36, v68, v36
	s_delay_alu instid0(VALU_DEP_1)
	v_and_b32_e32 v68, 1, v36
	v_lshlrev_b32_e32 v69, 30, v36
	v_lshlrev_b32_e32 v70, 29, v36
	;; [unrolled: 1-line block ×4, first 2 shown]
	v_add_co_u32 v68, s14, v68, -1
	s_wait_alu 0xf1ff
	v_cndmask_b32_e64 v80, 0, 1, s14
	v_not_b32_e32 v85, v69
	v_cmp_gt_i32_e64 s15, 0, v69
	v_not_b32_e32 v69, v70
	v_lshlrev_b32_e32 v82, 26, v36
	v_cmp_ne_u32_e64 s14, 0, v80
	v_ashrrev_i32_e32 v85, 31, v85
	v_lshlrev_b32_e32 v83, 25, v36
	v_ashrrev_i32_e32 v69, 31, v69
	v_lshlrev_b32_e32 v80, 24, v36
	s_wait_alu 0xf1ff
	v_xor_b32_e32 v68, s14, v68
	v_cmp_gt_i32_e64 s14, 0, v70
	v_not_b32_e32 v70, v71
	v_xor_b32_e32 v85, s15, v85
	v_cmp_gt_i32_e64 s15, 0, v71
	v_and_b32_e32 v68, exec_lo, v68
	v_not_b32_e32 v71, v81
	v_ashrrev_i32_e32 v70, 31, v70
	s_wait_alu 0xf1ff
	v_xor_b32_e32 v69, s14, v69
	v_cmp_gt_i32_e64 s14, 0, v81
	v_and_b32_e32 v68, v68, v85
	v_not_b32_e32 v81, v82
	v_ashrrev_i32_e32 v71, 31, v71
	v_xor_b32_e32 v70, s15, v70
	v_cmp_gt_i32_e64 s15, 0, v82
	v_and_b32_e32 v68, v68, v69
	v_not_b32_e32 v69, v83
	v_ashrrev_i32_e32 v81, 31, v81
	s_wait_alu 0xf1ff
	v_xor_b32_e32 v71, s14, v71
	v_cmp_gt_i32_e64 s14, 0, v83
	v_and_b32_e32 v68, v68, v70
	v_not_b32_e32 v70, v80
	v_ashrrev_i32_e32 v69, 31, v69
	v_xor_b32_e32 v81, s15, v81
	v_lshl_add_u32 v36, v36, 3, v135
	v_and_b32_e32 v68, v68, v71
	v_cmp_gt_i32_e64 s15, 0, v80
	v_ashrrev_i32_e32 v70, 31, v70
	s_wait_alu 0xf1ff
	v_xor_b32_e32 v69, s14, v69
	v_lshl_add_u32 v71, v36, 2, v12
	v_and_b32_e32 v68, v68, v81
	v_xor_b32_e32 v70, s15, v70
	ds_load_b32 v36, v71 offset:32
	v_and_b32_e32 v68, v68, v69
	; wave barrier
	s_delay_alu instid0(VALU_DEP_1) | instskip(SKIP_1) | instid1(VALU_DEP_2)
	v_and_b32_e32 v69, v68, v70
	v_add_nc_u32_e32 v68, 32, v71
	v_mbcnt_lo_u32_b32 v96, v69, 0
	v_cmp_ne_u32_e64 s15, 0, v69
	s_delay_alu instid0(VALU_DEP_2)
	v_cmp_eq_u32_e64 s14, 0, v96
	s_and_b32 s15, s15, s14
	s_wait_alu 0xfffe
	s_and_saveexec_b32 s14, s15
	s_cbranch_execz .LBB1744_45
; %bb.44:                               ;   in Loop: Header=BB1744_29 Depth=1
	s_wait_dscnt 0x0
	v_bcnt_u32_b32 v69, v69, v36
	ds_store_b32 v68, v69
.LBB1744_45:                            ;   in Loop: Header=BB1744_29 Depth=1
	s_wait_alu 0xfffe
	s_or_b32 exec_lo, exec_lo, s14
	; wave barrier
	s_wait_loadcnt_dscnt 0x0
	s_barrier_signal -1
	s_barrier_wait -1
	global_inv scope:SCOPE_SE
	ds_load_b32 v70, v25
	ds_load_b32 v71, v39
	;; [unrolled: 1-line block ×8, first 2 shown]
	s_wait_dscnt 0x6
	v_add_nc_u32_e32 v87, v71, v70
	s_wait_dscnt 0x4
	s_delay_alu instid0(VALU_DEP_1) | instskip(SKIP_1) | instid1(VALU_DEP_1)
	v_add3_u32 v87, v87, v80, v81
	s_wait_dscnt 0x2
	v_add3_u32 v87, v87, v82, v83
	s_wait_dscnt 0x0
	s_delay_alu instid0(VALU_DEP_1) | instskip(NEXT) | instid1(VALU_DEP_1)
	v_add3_u32 v85, v87, v69, v85
	v_mov_b32_dpp v87, v85 row_shr:1 row_mask:0xf bank_mask:0xf
	s_wait_alu 0xfffd
	s_delay_alu instid0(VALU_DEP_1) | instskip(NEXT) | instid1(VALU_DEP_1)
	v_cndmask_b32_e64 v87, v87, 0, vcc_lo
	v_add_nc_u32_e32 v85, v87, v85
	s_delay_alu instid0(VALU_DEP_1) | instskip(NEXT) | instid1(VALU_DEP_1)
	v_mov_b32_dpp v87, v85 row_shr:2 row_mask:0xf bank_mask:0xf
	v_cndmask_b32_e64 v87, 0, v87, s0
	s_delay_alu instid0(VALU_DEP_1) | instskip(NEXT) | instid1(VALU_DEP_1)
	v_add_nc_u32_e32 v85, v85, v87
	v_mov_b32_dpp v87, v85 row_shr:4 row_mask:0xf bank_mask:0xf
	s_delay_alu instid0(VALU_DEP_1) | instskip(NEXT) | instid1(VALU_DEP_1)
	v_cndmask_b32_e64 v87, 0, v87, s1
	v_add_nc_u32_e32 v85, v85, v87
	s_delay_alu instid0(VALU_DEP_1) | instskip(NEXT) | instid1(VALU_DEP_1)
	v_mov_b32_dpp v87, v85 row_shr:8 row_mask:0xf bank_mask:0xf
	v_cndmask_b32_e64 v87, 0, v87, s3
	s_delay_alu instid0(VALU_DEP_1) | instskip(SKIP_3) | instid1(VALU_DEP_1)
	v_add_nc_u32_e32 v85, v85, v87
	ds_swizzle_b32 v87, v85 offset:swizzle(BROADCAST,32,15)
	s_wait_dscnt 0x0
	v_cndmask_b32_e64 v87, v87, 0, s4
	v_add_nc_u32_e32 v85, v85, v87
	s_and_saveexec_b32 s14, s5
; %bb.46:                               ;   in Loop: Header=BB1744_29 Depth=1
	ds_store_b32 v145, v85
; %bb.47:                               ;   in Loop: Header=BB1744_29 Depth=1
	s_wait_alu 0xfffe
	s_or_b32 exec_lo, exec_lo, s14
	s_wait_loadcnt_dscnt 0x0
	s_barrier_signal -1
	s_barrier_wait -1
	global_inv scope:SCOPE_SE
	s_and_saveexec_b32 s14, s6
	s_cbranch_execz .LBB1744_49
; %bb.48:                               ;   in Loop: Header=BB1744_29 Depth=1
	ds_load_b32 v87, v146
	s_wait_dscnt 0x0
	v_mov_b32_dpp v97, v87 row_shr:1 row_mask:0xf bank_mask:0xf
	s_delay_alu instid0(VALU_DEP_1) | instskip(NEXT) | instid1(VALU_DEP_1)
	v_cndmask_b32_e64 v97, v97, 0, s11
	v_add_nc_u32_e32 v87, v97, v87
	s_delay_alu instid0(VALU_DEP_1) | instskip(NEXT) | instid1(VALU_DEP_1)
	v_mov_b32_dpp v97, v87 row_shr:2 row_mask:0xf bank_mask:0xf
	v_cndmask_b32_e64 v97, 0, v97, s12
	s_delay_alu instid0(VALU_DEP_1) | instskip(NEXT) | instid1(VALU_DEP_1)
	v_add_nc_u32_e32 v87, v87, v97
	v_mov_b32_dpp v97, v87 row_shr:4 row_mask:0xf bank_mask:0xf
	s_delay_alu instid0(VALU_DEP_1) | instskip(NEXT) | instid1(VALU_DEP_1)
	v_cndmask_b32_e64 v97, 0, v97, s13
	v_add_nc_u32_e32 v87, v87, v97
	ds_store_b32 v146, v87
.LBB1744_49:                            ;   in Loop: Header=BB1744_29 Depth=1
	s_wait_alu 0xfffe
	s_or_b32 exec_lo, exec_lo, s14
	v_mov_b32_e32 v87, 0
	s_wait_loadcnt_dscnt 0x0
	s_barrier_signal -1
	s_barrier_wait -1
	global_inv scope:SCOPE_SE
	s_and_saveexec_b32 s14, s7
; %bb.50:                               ;   in Loop: Header=BB1744_29 Depth=1
	ds_load_b32 v87, v148
; %bb.51:                               ;   in Loop: Header=BB1744_29 Depth=1
	s_wait_alu 0xfffe
	s_or_b32 exec_lo, exec_lo, s14
	s_wait_dscnt 0x0
	v_add_nc_u32_e32 v85, v87, v85
	v_add_nc_u32_e32 v10, 8, v10
	s_mov_b32 s20, -1
                                        ; implicit-def: $vgpr197
	ds_bpermute_b32 v85, v144, v85
	s_wait_dscnt 0x0
	v_cndmask_b32_e64 v85, v85, v87, s2
	v_mov_b32_e32 v87, v5
	s_delay_alu instid0(VALU_DEP_2) | instskip(NEXT) | instid1(VALU_DEP_1)
	v_cndmask_b32_e64 v85, v85, 0, s10
	v_add_nc_u32_e32 v70, v85, v70
	s_delay_alu instid0(VALU_DEP_1)
	v_add_nc_u32_e32 v71, v70, v71
	ds_store_b32 v25, v85
	ds_store_b32 v39, v70
	;; [unrolled: 1-line block ×3, first 2 shown]
	v_dual_mov_b32 v85, v5 :: v_dual_add_nc_u32 v80, v71, v80
	v_mov_b32_e32 v71, v5
	s_delay_alu instid0(VALU_DEP_2) | instskip(NEXT) | instid1(VALU_DEP_1)
	v_add_nc_u32_e32 v81, v80, v81
	v_add_nc_u32_e32 v82, v81, v82
	s_delay_alu instid0(VALU_DEP_1) | instskip(NEXT) | instid1(VALU_DEP_1)
	v_add_nc_u32_e32 v83, v82, v83
	v_add_nc_u32_e32 v69, v83, v69
	ds_store_b32 v130, v80
	ds_store_b32 v131, v81
	;; [unrolled: 1-line block ×5, first 2 shown]
	s_wait_loadcnt_dscnt 0x0
	s_barrier_signal -1
	s_barrier_wait -1
	global_inv scope:SCOPE_SE
	ds_load_b32 v33, v33
	ds_load_b32 v37, v37
	;; [unrolled: 1-line block ×8, first 2 shown]
	v_mov_b32_e32 v67, v5
	v_mov_b32_e32 v69, v5
	;; [unrolled: 1-line block ×4, first 2 shown]
	v_cmp_lt_u32_e64 s14, v10, v11
	s_wait_loadcnt_dscnt 0x0
	v_add_nc_u32_e32 v4, v33, v4
	v_add3_u32 v66, v35, v34, v37
	v_add3_u32 v68, v48, v38, v49
	;; [unrolled: 1-line block ×4, first 2 shown]
	v_lshlrev_b64_e32 v[33:34], 1, v[4:5]
	v_add3_u32 v84, v86, v84, v97
	v_add3_u32 v86, v96, v36, v98
	v_lshlrev_b64_e32 v[35:36], 1, v[66:67]
	v_lshlrev_b64_e32 v[37:38], 1, v[68:69]
	v_add3_u32 v82, v65, v64, v82
	v_lshlrev_b64_e32 v[48:49], 1, v[70:71]
	v_add_co_u32 v118, s15, v12, v33
	v_lshlrev_b64_e32 v[50:51], 1, v[80:81]
	s_wait_alu 0xf1ff
	v_add_co_ci_u32_e64 v119, null, v13, v34, s15
	v_add_co_u32 v96, s15, v12, v35
	v_lshlrev_b64_e32 v[52:53], 1, v[82:83]
	s_wait_alu 0xf1ff
	v_add_co_ci_u32_e64 v97, null, v13, v36, s15
	;; [unrolled: 4-line block ×4, first 2 shown]
	v_add_co_u32 v102, s15, v12, v50
	s_wait_alu 0xf1ff
	v_add_co_ci_u32_e64 v103, null, v13, v51, s15
	v_add_co_u32 v112, s15, v12, v52
	s_wait_alu 0xf1ff
	v_add_co_ci_u32_e64 v113, null, v13, v53, s15
	;; [unrolled: 3-line block ×4, first 2 shown]
                                        ; implicit-def: $vgpr33_vgpr34
                                        ; implicit-def: $vgpr35_vgpr36
                                        ; implicit-def: $vgpr37_vgpr38
                                        ; implicit-def: $vgpr48_vgpr49
                                        ; implicit-def: $vgpr50_vgpr51
                                        ; implicit-def: $vgpr52_vgpr53
                                        ; implicit-def: $vgpr54_vgpr55
                                        ; implicit-def: $vgpr64_vgpr65
                                        ; implicit-def: $vgpr69
                                        ; implicit-def: $vgpr71
                                        ; implicit-def: $vgpr81
                                        ; implicit-def: $vgpr83
                                        ; implicit-def: $vgpr85
                                        ; implicit-def: $vgpr87
                                        ; implicit-def: $vgpr67
	s_and_saveexec_b32 s15, s14
	s_cbranch_execz .LBB1744_28
; %bb.52:                               ;   in Loop: Header=BB1744_29 Depth=1
	v_mad_co_u64_u32 v[33:34], null, v4, 6, v[118:119]
	v_mad_co_u64_u32 v[34:35], null, v66, 6, v[96:97]
	;; [unrolled: 1-line block ×8, first 2 shown]
	s_barrier_signal -1
	s_barrier_wait -1
	global_inv scope:SCOPE_SE
	ds_store_b16 v118, v181
	ds_store_b16 v96, v183
	;; [unrolled: 1-line block ×8, first 2 shown]
	s_wait_loadcnt_dscnt 0x0
	s_barrier_signal -1
	s_barrier_wait -1
	global_inv scope:SCOPE_SE
	ds_load_u16 v197, v147
	ds_load_u16 v69, v149
	ds_load_u16 v71, v150
	ds_load_u16 v81, v151
	ds_load_u16 v83, v161
	ds_load_u16 v85, v162
	ds_load_u16 v87, v163
	ds_load_u16 v67, v164
	s_wait_loadcnt_dscnt 0x0
	s_barrier_signal -1
	s_barrier_wait -1
	global_inv scope:SCOPE_SE
	ds_store_b64 v33, v[31:32]
	ds_store_b64 v34, v[22:23]
	ds_store_b64 v35, v[20:21]
	ds_store_b64 v36, v[28:29]
	ds_store_b64 v37, v[14:15]
	ds_store_b64 v48, v[8:9]
	ds_store_b64 v49, v[18:19]
	ds_store_b64 v50, v[16:17]
	s_wait_loadcnt_dscnt 0x0
	s_barrier_signal -1
	s_barrier_wait -1
	global_inv scope:SCOPE_SE
	ds_load_b64 v[33:34], v160
	ds_load_b64 v[35:36], v165
	ds_load_b64 v[37:38], v166
	ds_load_b64 v[48:49], v167
	ds_load_b64 v[50:51], v176
	ds_load_b64 v[52:53], v177
	ds_load_b64 v[54:55], v178
	ds_load_b64 v[64:65], v179
	v_add_nc_u32_e32 v180, -8, v180
	s_xor_b32 s20, exec_lo, -1
	s_wait_loadcnt_dscnt 0x0
	s_barrier_signal -1
	s_barrier_wait -1
	global_inv scope:SCOPE_SE
	s_branch .LBB1744_28
.LBB1744_53:
	s_or_b32 exec_lo, exec_lo, s19
	v_mad_co_u64_u32 v[10:11], null, v4, 6, v[118:119]
	v_lshl_add_u32 v25, v30, 1, v12
	s_barrier_signal -1
	s_barrier_wait -1
	s_wait_loadcnt 0x0
	global_inv scope:SCOPE_SE
	ds_store_b16 v118, v181
	ds_store_b16 v96, v183
	;; [unrolled: 1-line block ×8, first 2 shown]
	s_wait_loadcnt_dscnt 0x0
	s_barrier_signal -1
	s_barrier_wait -1
	global_inv scope:SCOPE_SE
	ds_load_u16 v38, v25
	ds_load_u16 v37, v25 offset:512
	ds_load_u16 v36, v25 offset:1024
	;; [unrolled: 1-line block ×7, first 2 shown]
	s_wait_loadcnt_dscnt 0x0
	s_barrier_signal -1
	s_barrier_wait -1
	global_inv scope:SCOPE_SE
	ds_store_b64 v10, v[31:32]
	v_mad_co_u64_u32 v[10:11], null, v66, 6, v[96:97]
	v_mad_co_u64_u32 v[11:12], null, v68, 6, v[98:99]
	v_mad_co_u64_u32 v[12:13], null, v70, 6, v[100:101]
	v_mad_co_u64_u32 v[31:32], null, v80, 6, v[102:103]
	v_mad_co_u64_u32 v[48:49], null, v82, 6, v[112:113]
	v_mad_co_u64_u32 v[49:50], null, v84, 6, v[114:115]
	v_mad_co_u64_u32 v[50:51], null, v86, 6, v[116:117]
	ds_store_b64 v10, v[22:23]
	ds_store_b64 v11, v[20:21]
	;; [unrolled: 1-line block ×3, first 2 shown]
	v_mul_u32_u24_e32 v10, 6, v30
	ds_store_b64 v31, v[14:15]
	ds_store_b64 v48, v[8:9]
	;; [unrolled: 1-line block ×4, first 2 shown]
	s_wait_loadcnt_dscnt 0x0
	s_barrier_signal -1
	v_dual_mov_b32 v25, 0 :: v_dual_add_nc_u32 v8, v25, v10
	s_barrier_wait -1
	global_inv scope:SCOPE_SE
	ds_load_2addr_stride64_b64 v[20:23], v8 offset1:4
	ds_load_2addr_stride64_b64 v[16:19], v8 offset0:8 offset1:12
	ds_load_2addr_stride64_b64 v[12:15], v8 offset0:16 offset1:20
	;; [unrolled: 1-line block ×3, first 2 shown]
	v_lshlrev_b64_e32 v[28:29], 1, v[24:25]
	v_add_co_u32 v2, vcc_lo, v2, v26
	s_wait_alu 0xfffd
	v_add_co_ci_u32_e64 v3, null, v3, v27, vcc_lo
	s_wait_loadcnt_dscnt 0x0
	s_delay_alu instid0(VALU_DEP_2) | instskip(SKIP_1) | instid1(VALU_DEP_2)
	v_add_co_u32 v2, vcc_lo, v2, v28
	s_wait_alu 0xfffd
	v_add_co_ci_u32_e64 v3, null, v3, v29, vcc_lo
	v_cmp_lt_u32_e32 vcc_lo, v24, v128
	s_barrier_signal -1
	s_barrier_wait -1
	global_inv scope:SCOPE_SE
	s_and_saveexec_b32 s1, vcc_lo
	s_cbranch_execz .LBB1744_55
; %bb.54:
	v_cmp_gt_i16_e64 s0, 0, v38
	s_wait_alu 0xf1ff
	s_delay_alu instid0(VALU_DEP_1) | instskip(NEXT) | instid1(VALU_DEP_1)
	v_cndmask_b32_e64 v26, 0x7fff, 0, s0
	v_xor_b32_e32 v26, v26, v38
	flat_store_b16 v[2:3], v26
.LBB1744_55:
	s_wait_alu 0xfffe
	s_or_b32 exec_lo, exec_lo, s1
	v_add_nc_u32_e32 v26, 0x100, v24
	s_delay_alu instid0(VALU_DEP_1)
	v_cmp_lt_u32_e64 s0, v26, v128
	s_and_saveexec_b32 s2, s0
	s_cbranch_execz .LBB1744_57
; %bb.56:
	v_cmp_gt_i16_e64 s1, 0, v37
	s_wait_alu 0xf1ff
	s_delay_alu instid0(VALU_DEP_1) | instskip(NEXT) | instid1(VALU_DEP_1)
	v_cndmask_b32_e64 v26, 0x7fff, 0, s1
	v_xor_b32_e32 v26, v26, v37
	flat_store_b16 v[2:3], v26 offset:512
.LBB1744_57:
	s_wait_alu 0xfffe
	s_or_b32 exec_lo, exec_lo, s2
	v_add_nc_u32_e32 v26, 0x200, v24
	s_delay_alu instid0(VALU_DEP_1)
	v_cmp_lt_u32_e64 s1, v26, v128
	s_and_saveexec_b32 s3, s1
	s_cbranch_execz .LBB1744_59
; %bb.58:
	v_cmp_gt_i16_e64 s2, 0, v36
	s_wait_alu 0xf1ff
	s_delay_alu instid0(VALU_DEP_1) | instskip(NEXT) | instid1(VALU_DEP_1)
	v_cndmask_b32_e64 v26, 0x7fff, 0, s2
	v_xor_b32_e32 v26, v26, v36
	flat_store_b16 v[2:3], v26 offset:1024
.LBB1744_59:
	;; [unrolled: 15-line block ×7, first 2 shown]
	s_wait_alu 0xfffe
	s_or_b32 exec_lo, exec_lo, s10
	v_lshlrev_b64_e32 v[2:3], 3, v[24:25]
	v_add_co_u32 v0, s7, v6, v0
	s_wait_alu 0xf1ff
	v_add_co_ci_u32_e64 v1, null, v7, v1, s7
	s_delay_alu instid0(VALU_DEP_2) | instskip(SKIP_1) | instid1(VALU_DEP_2)
	v_add_co_u32 v0, s7, v0, v2
	s_wait_alu 0xf1ff
	v_add_co_ci_u32_e64 v1, null, v1, v3, s7
	s_and_saveexec_b32 s7, vcc_lo
	s_cbranch_execnz .LBB1744_119
; %bb.70:
	s_wait_alu 0xfffe
	s_or_b32 exec_lo, exec_lo, s7
	s_and_saveexec_b32 s7, s0
	s_cbranch_execnz .LBB1744_120
.LBB1744_71:
	s_wait_alu 0xfffe
	s_or_b32 exec_lo, exec_lo, s7
	s_and_saveexec_b32 s0, s1
	s_cbranch_execnz .LBB1744_121
.LBB1744_72:
	s_wait_alu 0xfffe
	s_or_b32 exec_lo, exec_lo, s0
	s_and_saveexec_b32 s0, s2
	s_cbranch_execnz .LBB1744_122
.LBB1744_73:
	s_wait_alu 0xfffe
	s_or_b32 exec_lo, exec_lo, s0
	s_and_saveexec_b32 s0, s3
	s_cbranch_execnz .LBB1744_123
.LBB1744_74:
	s_wait_alu 0xfffe
	s_or_b32 exec_lo, exec_lo, s0
	s_and_saveexec_b32 s0, s4
	s_cbranch_execnz .LBB1744_124
.LBB1744_75:
	s_wait_alu 0xfffe
	s_or_b32 exec_lo, exec_lo, s0
	s_and_saveexec_b32 s0, s5
	s_cbranch_execnz .LBB1744_125
.LBB1744_76:
	s_wait_alu 0xfffe
	s_or_b32 exec_lo, exec_lo, s0
	s_and_saveexec_b32 s0, s6
	s_cbranch_execz .LBB1744_78
.LBB1744_77:
	flat_store_b64 v[0:1], v[10:11] offset:14336
.LBB1744_78:
	s_wait_alu 0xfffe
	s_or_b32 exec_lo, exec_lo, s0
                                        ; implicit-def: $vgpr128
                                        ; implicit-def: $vgpr0
                                        ; implicit-def: $vgpr1
                                        ; implicit-def: $vgpr2
                                        ; implicit-def: $vgpr3
                                        ; implicit-def: $vgpr4
                                        ; implicit-def: $vgpr5
                                        ; implicit-def: $vgpr6
                                        ; implicit-def: $vgpr7
                                        ; implicit-def: $vgpr8
                                        ; implicit-def: $vgpr10
                                        ; implicit-def: $vgpr11
                                        ; implicit-def: $vgpr12
                                        ; implicit-def: $vgpr13
                                        ; implicit-def: $vgpr9
                                        ; implicit-def: $vgpr14
                                        ; implicit-def: $vgpr30
                                        ; implicit-def: $vgpr66
.LBB1744_79:
	s_wait_alu 0xfffe
	s_and_not1_saveexec_b32 s0, s17
	s_cbranch_execz .LBB1744_199
; %bb.80:
	s_mov_b32 s0, exec_lo
	v_cmpx_lt_u32_e32 0x200, v128
	s_wait_alu 0xfffe
	s_xor_b32 s17, exec_lo, s0
	s_cbranch_execz .LBB1744_140
; %bb.81:
	s_load_b64 s[0:1], s[8:9], 0x0
	s_and_b32 s2, ttmp7, 0xffff
	s_mov_b32 s3, 0
	v_dual_mov_b32 v16, -1 :: v_dual_lshlrev_b32 v17, 1, v66
	s_wait_kmcnt 0x0
	s_wait_alu 0xfffe
	s_cmp_lt_u32 s2, s1
	s_cselect_b32 s2, 14, 20
	s_cmp_lt_u32 ttmp9, s0
	s_wait_alu 0xfffe
	s_add_nc_u64 s[4:5], s[8:9], s[2:3]
	s_cselect_b32 s2, 12, 18
	s_load_u16 s4, s[4:5], 0x0
	s_add_nc_u64 s[0:1], s[8:9], s[2:3]
	s_load_u16 s0, s[0:1], 0x0
	s_wait_kmcnt 0x0
	v_mad_u32_u24 v9, v14, s4, v9
	s_delay_alu instid0(VALU_DEP_1) | instskip(NEXT) | instid1(VALU_DEP_1)
	v_mad_co_u64_u32 v[31:32], null, v9, s0, v[30:31]
	v_dual_mov_b32 v9, 0 :: v_dual_lshlrev_b32 v14, 2, v31
	s_delay_alu instid0(VALU_DEP_1) | instskip(NEXT) | instid1(VALU_DEP_2)
	v_lshlrev_b64_e32 v[33:34], 1, v[8:9]
	v_dual_mov_b32 v15, v9 :: v_dual_and_b32 v14, 0xffffff80, v14
	s_delay_alu instid0(VALU_DEP_2) | instskip(SKIP_1) | instid1(VALU_DEP_3)
	v_add_co_u32 v18, vcc_lo, v0, v33
	s_wait_alu 0xfffd
	v_add_co_ci_u32_e64 v19, null, v1, v34, vcc_lo
	s_delay_alu instid0(VALU_DEP_3) | instskip(NEXT) | instid1(VALU_DEP_3)
	v_lshlrev_b64_e32 v[0:1], 1, v[14:15]
	v_add_co_u32 v17, vcc_lo, v18, v17
	v_or_b32_e32 v20, v14, v66
	s_wait_alu 0xfffd
	v_add_co_ci_u32_e64 v18, null, 0, v19, vcc_lo
	s_delay_alu instid0(VALU_DEP_3) | instskip(NEXT) | instid1(VALU_DEP_3)
	v_add_co_u32 v0, vcc_lo, v17, v0
	v_cmp_lt_u32_e64 s2, v20, v128
	s_wait_alu 0xfffd
	s_delay_alu instid0(VALU_DEP_3) | instskip(SKIP_1) | instid1(VALU_DEP_3)
	v_add_co_ci_u32_e64 v1, null, v18, v1, vcc_lo
	v_mov_b32_e32 v17, -1
	s_and_saveexec_b32 s0, s2
	s_cbranch_execz .LBB1744_83
; %bb.82:
	flat_load_u16 v17, v[0:1]
.LBB1744_83:
	s_wait_alu 0xfffe
	s_or_b32 exec_lo, exec_lo, s0
	v_or_b32_e32 v18, 32, v20
	s_delay_alu instid0(VALU_DEP_1)
	v_cmp_lt_u32_e64 s0, v18, v128
	s_and_saveexec_b32 s1, s0
	s_cbranch_execz .LBB1744_85
; %bb.84:
	flat_load_u16 v16, v[0:1] offset:64
.LBB1744_85:
	s_wait_alu 0xfffe
	s_or_b32 exec_lo, exec_lo, s1
	v_or_b32_e32 v19, 64, v20
	v_mov_b32_e32 v18, -1
	s_delay_alu instid0(VALU_DEP_2)
	v_cmp_lt_u32_e64 s1, v19, v128
	v_mov_b32_e32 v19, -1
	s_and_saveexec_b32 s3, s1
	s_cbranch_execz .LBB1744_87
; %bb.86:
	flat_load_u16 v19, v[0:1] offset:128
.LBB1744_87:
	s_wait_alu 0xfffe
	s_or_b32 exec_lo, exec_lo, s3
	v_or_b32_e32 v20, 0x60, v20
	s_delay_alu instid0(VALU_DEP_1)
	v_cmp_lt_u32_e32 vcc_lo, v20, v128
	s_and_saveexec_b32 s3, vcc_lo
	s_cbranch_execz .LBB1744_89
; %bb.88:
	flat_load_u16 v18, v[0:1] offset:192
.LBB1744_89:
	s_wait_alu 0xfffe
	s_or_b32 exec_lo, exec_lo, s3
	v_lshlrev_b64_e32 v[0:1], 3, v[8:9]
	v_mov_b32_e32 v22, 0
	s_delay_alu instid0(VALU_DEP_1) | instskip(NEXT) | instid1(VALU_DEP_3)
	v_dual_mov_b32 v23, v22 :: v_dual_lshlrev_b32 v8, 3, v66
	v_add_co_u32 v9, s3, v4, v0
	s_wait_alu 0xf1ff
	s_delay_alu instid0(VALU_DEP_4) | instskip(SKIP_1) | instid1(VALU_DEP_3)
	v_add_co_ci_u32_e64 v20, null, v5, v1, s3
	v_lshlrev_b64_e32 v[4:5], 3, v[14:15]
	v_add_co_u32 v8, s3, v9, v8
	s_wait_alu 0xf1ff
	s_delay_alu instid0(VALU_DEP_3) | instskip(SKIP_1) | instid1(VALU_DEP_3)
	v_add_co_ci_u32_e64 v9, null, 0, v20, s3
	v_dual_mov_b32 v24, v22 :: v_dual_mov_b32 v25, v22
	v_add_co_u32 v4, s3, v8, v4
	s_wait_alu 0xf1ff
	s_delay_alu instid0(VALU_DEP_3)
	v_add_co_ci_u32_e64 v5, null, v9, v5, s3
	v_dual_mov_b32 v26, v22 :: v_dual_mov_b32 v27, v22
	v_dual_mov_b32 v28, v22 :: v_dual_mov_b32 v29, v22
	s_and_saveexec_b32 s3, s2
	s_cbranch_execnz .LBB1744_164
; %bb.90:
	s_wait_alu 0xfffe
	s_or_b32 exec_lo, exec_lo, s3
	s_and_saveexec_b32 s2, s0
	s_cbranch_execnz .LBB1744_165
.LBB1744_91:
	s_wait_alu 0xfffe
	s_or_b32 exec_lo, exec_lo, s2
	s_and_saveexec_b32 s0, s1
	s_cbranch_execnz .LBB1744_166
.LBB1744_92:
	s_wait_alu 0xfffe
	s_or_b32 exec_lo, exec_lo, s0
	s_and_saveexec_b32 s0, vcc_lo
	s_cbranch_execz .LBB1744_94
.LBB1744_93:
	flat_load_b64 v[28:29], v[4:5] offset:768
.LBB1744_94:
	s_wait_alu 0xfffe
	s_or_b32 exec_lo, exec_lo, s0
	s_wait_loadcnt_dscnt 0x0
	v_cmp_gt_i16_e32 vcc_lo, 0, v17
	v_lshl_add_u32 v14, v30, 5, v12
	s_getpc_b64 s[0:1]
	s_wait_alu 0xfffe
	s_sext_i32_i16 s1, s1
	s_add_co_u32 s0, s0, _ZN7rocprim17ROCPRIM_400000_NS16block_radix_sortI6__halfLj256ELj4ElLj1ELj1ELj8ELNS0_26block_radix_rank_algorithmE2ELNS0_18block_padding_hintE2ELNS0_4arch9wavefront6targetE0EE19radix_bits_per_passE@rel32@lo+12
	s_wait_alu 0xfffe
	s_add_co_ci_u32 s1, s1, _ZN7rocprim17ROCPRIM_400000_NS16block_radix_sortI6__halfLj256ELj4ElLj1ELj1ELj8ELNS0_26block_radix_rank_algorithmE2ELNS0_18block_padding_hintE2ELNS0_4arch9wavefront6targetE0EE19radix_bits_per_passE@rel32@hi+24
	v_lshrrev_b32_e32 v70, 5, v31
	s_load_b32 s18, s[0:1], 0x0
	v_cndmask_b32_e64 v4, 0x7fff, 0, vcc_lo
	v_cmp_gt_i16_e32 vcc_lo, 0, v16
	v_add_nc_u32_e32 v32, 32, v14
	v_add_nc_u32_e32 v54, 36, v14
	;; [unrolled: 1-line block ×3, first 2 shown]
	v_xor_b32_e32 v9, v4, v17
	s_wait_alu 0xfffd
	v_cndmask_b32_e64 v5, 0x7fff, 0, vcc_lo
	v_cmp_gt_i16_e32 vcc_lo, 0, v19
	v_add_nc_u32_e32 v64, 44, v14
	v_add_nc_u32_e32 v65, 48, v14
	;; [unrolled: 1-line block ×4, first 2 shown]
	s_wait_alu 0xfffd
	v_cndmask_b32_e64 v4, 0x7fff, 0, vcc_lo
	v_cmp_gt_i16_e32 vcc_lo, 0, v18
	v_add_nc_u32_e32 v69, 60, v14
	v_sub_co_u32 v14, s2, v66, 1
	s_delay_alu instid0(VALU_DEP_4)
	v_xor_b32_e32 v112, v4, v19
	v_and_b32_e32 v4, 0x3e0, v30
	s_wait_alu 0xfffd
	v_cndmask_b32_e64 v8, 0x7fff, 0, vcc_lo
	v_xor_b32_e32 v103, v5, v16
	v_and_b32_e32 v5, 15, v66
	v_cmp_gt_i32_e64 s6, 0, v14
	v_min_u32_e32 v4, 0xe0, v4
	v_xor_b32_e32 v36, v8, v18
	v_and_b32_e32 v8, 16, v66
	v_cmp_eq_u32_e32 vcc_lo, 0, v5
	v_cmp_lt_u32_e64 s0, 1, v5
	v_or_b32_e32 v4, 31, v4
	v_cmp_lt_u32_e64 s1, 3, v5
	v_cmp_eq_u32_e64 s4, 0, v8
	v_lshlrev_b32_e32 v8, 2, v30
	v_cmp_lt_u32_e64 s3, 7, v5
	v_cmp_eq_u32_e64 s5, v30, v4
	v_lshrrev_b32_e32 v4, 3, v30
	s_wait_alu 0xf1ff
	v_cndmask_b32_e64 v5, v14, v66, s6
	v_and_or_b32 v14, 0xf80, v8, v66
	v_cmp_gt_u32_e64 s6, 8, v30
	v_cmp_lt_u32_e64 s7, 31, v30
	v_and_b32_e32 v4, 0x7c, v4
	v_lshlrev_b32_e32 v71, 2, v5
	v_cmp_eq_u32_e64 s10, 0, v30
	v_mov_b32_e32 v5, 0
	v_add_nc_u32_e32 v81, v12, v8
	v_add_nc_u32_e32 v80, v12, v4
	v_and_b32_e32 v4, 7, v66
	v_lshl_add_u32 v66, v14, 1, v12
	v_mul_u32_u24_e32 v14, 6, v14
	v_sub_nc_u32_e32 v98, v11, v10
	v_add_nc_u32_e32 v83, -4, v80
	v_cmp_eq_u32_e64 s11, 0, v4
	v_cmp_lt_u32_e64 s12, 1, v4
	v_add_nc_u32_e32 v82, v66, v14
	v_cmp_lt_u32_e64 s13, 3, v4
	v_add_nc_u32_e32 v84, 64, v66
	v_add_nc_u32_e32 v85, 0x80, v66
	v_add_nc_u32_e32 v86, 0xc0, v66
	v_add_nc_u32_e32 v87, 0x100, v82
	v_add_nc_u32_e32 v96, 0x200, v82
	v_add_nc_u32_e32 v97, 0x300, v82
	s_mov_b32 s19, 0
	s_wait_storecnt 0x0
	s_barrier_signal -1
	s_barrier_wait -1
	global_inv scope:SCOPE_SE
	s_branch .LBB1744_96
.LBB1744_95:                            ;   in Loop: Header=BB1744_96 Depth=1
	s_wait_alu 0xfffe
	s_or_b32 exec_lo, exec_lo, s15
	s_delay_alu instid0(SALU_CYCLE_1)
	s_and_b32 s14, exec_lo, s20
	s_wait_alu 0xfffe
	s_or_b32 s19, s14, s19
	s_wait_alu 0xfffe
	s_and_not1_b32 exec_lo, exec_lo, s19
	s_cbranch_execz .LBB1744_126
.LBB1744_96:                            ; =>This Inner Loop Header: Depth=1
	v_mov_b32_e32 v99, v9
	s_wait_kmcnt 0x0
	v_min_u32_e32 v4, s18, v98
	v_dual_mov_b32 v14, v22 :: v_dual_mov_b32 v17, v25
	v_dual_mov_b32 v16, v24 :: v_dual_mov_b32 v19, v27
	v_cmp_ne_u16_e64 s14, 0x8000, v99
	s_delay_alu instid0(VALU_DEP_4)
	v_lshlrev_b32_e64 v4, v4, -1
	v_dual_mov_b32 v18, v26 :: v_dual_mov_b32 v21, v29
	v_dual_mov_b32 v20, v28 :: v_dual_mov_b32 v101, v103
	s_wait_alu 0xf1ff
	v_cndmask_b32_e64 v8, 0x7fff, v99, s14
	v_not_b32_e32 v9, v4
	ds_store_b32 v32, v5
	ds_store_b32 v54, v5
	ds_store_b32 v55, v5
	ds_store_b32 v64, v5
	ds_store_b32 v65, v5
	ds_store_b32 v67, v5
	v_and_b32_e32 v8, 0xffff, v8
	ds_store_b32 v68, v5
	ds_store_b32 v69, v5
	s_wait_loadcnt_dscnt 0x0
	s_barrier_signal -1
	s_barrier_wait -1
	v_lshrrev_b32_e32 v4, v10, v8
	global_inv scope:SCOPE_SE
	v_mov_b32_e32 v15, v23
	; wave barrier
	v_and_b32_e32 v4, v4, v9
	v_mov_b32_e32 v100, v112
	s_delay_alu instid0(VALU_DEP_2)
	v_dual_mov_b32 v102, v36 :: v_dual_lshlrev_b32 v27, 26, v4
	v_and_b32_e32 v8, 1, v4
	v_lshlrev_b32_e32 v22, 30, v4
	v_lshlrev_b32_e32 v23, 29, v4
	;; [unrolled: 1-line block ×4, first 2 shown]
	v_add_co_u32 v8, s14, v8, -1
	s_wait_alu 0xf1ff
	v_cndmask_b32_e64 v25, 0, 1, s14
	v_not_b32_e32 v29, v22
	v_cmp_gt_i32_e64 s15, 0, v22
	v_not_b32_e32 v22, v23
	v_lshlrev_b32_e32 v28, 25, v4
	v_cmp_ne_u32_e64 s14, 0, v25
	v_ashrrev_i32_e32 v29, 31, v29
	v_lshlrev_b32_e32 v25, 24, v4
	v_ashrrev_i32_e32 v22, 31, v22
	v_lshlrev_b32_e32 v4, 3, v4
	s_wait_alu 0xf1ff
	v_xor_b32_e32 v8, s14, v8
	v_cmp_gt_i32_e64 s14, 0, v23
	v_not_b32_e32 v23, v24
	v_xor_b32_e32 v29, s15, v29
	v_cmp_gt_i32_e64 s15, 0, v24
	v_and_b32_e32 v8, exec_lo, v8
	v_not_b32_e32 v24, v26
	v_ashrrev_i32_e32 v23, 31, v23
	s_wait_alu 0xf1ff
	v_xor_b32_e32 v22, s14, v22
	v_cmp_gt_i32_e64 s14, 0, v26
	v_and_b32_e32 v8, v8, v29
	v_not_b32_e32 v26, v27
	v_ashrrev_i32_e32 v24, 31, v24
	v_xor_b32_e32 v23, s15, v23
	v_cmp_gt_i32_e64 s15, 0, v27
	v_and_b32_e32 v8, v8, v22
	v_not_b32_e32 v22, v28
	v_ashrrev_i32_e32 v26, 31, v26
	s_wait_alu 0xf1ff
	v_xor_b32_e32 v24, s14, v24
	v_cmp_gt_i32_e64 s14, 0, v28
	v_and_b32_e32 v8, v8, v23
	v_not_b32_e32 v23, v25
	v_ashrrev_i32_e32 v22, 31, v22
	v_xor_b32_e32 v26, s15, v26
	v_cmp_gt_i32_e64 s15, 0, v25
	v_and_b32_e32 v8, v8, v24
	v_ashrrev_i32_e32 v23, 31, v23
	s_wait_alu 0xf1ff
	v_xor_b32_e32 v22, s14, v22
	s_delay_alu instid0(VALU_DEP_3) | instskip(NEXT) | instid1(VALU_DEP_3)
	v_and_b32_e32 v8, v8, v26
	v_xor_b32_e32 v23, s15, v23
	s_delay_alu instid0(VALU_DEP_2) | instskip(NEXT) | instid1(VALU_DEP_1)
	v_and_b32_e32 v8, v8, v22
	v_and_b32_e32 v22, v8, v23
	v_add_lshl_u32 v8, v4, v70, 2
	s_delay_alu instid0(VALU_DEP_2) | instskip(NEXT) | instid1(VALU_DEP_2)
	v_mbcnt_lo_u32_b32 v4, v22, 0
	v_add_co_u32 v8, null, v12, v8
	v_cmp_ne_u32_e64 s15, 0, v22
	s_delay_alu instid0(VALU_DEP_3) | instskip(NEXT) | instid1(VALU_DEP_3)
	v_cmp_eq_u32_e64 s14, 0, v4
	v_add_co_u32 v8, null, v8, 32
	s_and_b32 s15, s15, s14
	s_wait_alu 0xfffe
	s_and_saveexec_b32 s14, s15
; %bb.97:                               ;   in Loop: Header=BB1744_96 Depth=1
	v_bcnt_u32_b32 v22, v22, 0
	ds_store_b32 v8, v22
; %bb.98:                               ;   in Loop: Header=BB1744_96 Depth=1
	s_wait_alu 0xfffe
	s_or_b32 exec_lo, exec_lo, s14
	v_cmp_ne_u16_e64 s14, 0x8000, v101
	; wave barrier
	s_wait_alu 0xf1ff
	s_delay_alu instid0(VALU_DEP_1) | instskip(NEXT) | instid1(VALU_DEP_1)
	v_cndmask_b32_e64 v22, 0x7fff, v101, s14
	v_and_b32_e32 v22, 0xffff, v22
	s_delay_alu instid0(VALU_DEP_1) | instskip(NEXT) | instid1(VALU_DEP_1)
	v_lshrrev_b32_e32 v22, v10, v22
	v_and_b32_e32 v22, v22, v9
	s_delay_alu instid0(VALU_DEP_1)
	v_and_b32_e32 v23, 1, v22
	v_lshlrev_b32_e32 v24, 30, v22
	v_lshlrev_b32_e32 v25, 29, v22
	;; [unrolled: 1-line block ×4, first 2 shown]
	v_add_co_u32 v23, s14, v23, -1
	s_wait_alu 0xf1ff
	v_cndmask_b32_e64 v27, 0, 1, s14
	v_not_b32_e32 v36, v24
	v_cmp_gt_i32_e64 s15, 0, v24
	v_not_b32_e32 v24, v25
	v_lshlrev_b32_e32 v29, 26, v22
	v_cmp_ne_u32_e64 s14, 0, v27
	v_ashrrev_i32_e32 v36, 31, v36
	v_lshlrev_b32_e32 v35, 25, v22
	v_ashrrev_i32_e32 v24, 31, v24
	v_lshlrev_b32_e32 v27, 24, v22
	s_wait_alu 0xf1ff
	v_xor_b32_e32 v23, s14, v23
	v_cmp_gt_i32_e64 s14, 0, v25
	v_not_b32_e32 v25, v26
	v_xor_b32_e32 v36, s15, v36
	v_cmp_gt_i32_e64 s15, 0, v26
	v_and_b32_e32 v23, exec_lo, v23
	v_not_b32_e32 v26, v28
	v_ashrrev_i32_e32 v25, 31, v25
	s_wait_alu 0xf1ff
	v_xor_b32_e32 v24, s14, v24
	v_cmp_gt_i32_e64 s14, 0, v28
	v_and_b32_e32 v23, v23, v36
	v_not_b32_e32 v28, v29
	v_ashrrev_i32_e32 v26, 31, v26
	v_xor_b32_e32 v25, s15, v25
	v_cmp_gt_i32_e64 s15, 0, v29
	v_and_b32_e32 v23, v23, v24
	v_not_b32_e32 v24, v35
	v_ashrrev_i32_e32 v28, 31, v28
	s_wait_alu 0xf1ff
	v_xor_b32_e32 v26, s14, v26
	v_cmp_gt_i32_e64 s14, 0, v35
	v_and_b32_e32 v23, v23, v25
	v_not_b32_e32 v25, v27
	v_ashrrev_i32_e32 v24, 31, v24
	v_xor_b32_e32 v28, s15, v28
	v_lshl_add_u32 v22, v22, 3, v70
	v_and_b32_e32 v23, v23, v26
	v_cmp_gt_i32_e64 s15, 0, v27
	v_ashrrev_i32_e32 v25, 31, v25
	s_wait_alu 0xf1ff
	v_xor_b32_e32 v24, s14, v24
	v_lshl_add_u32 v26, v22, 2, v12
	v_and_b32_e32 v23, v23, v28
	v_xor_b32_e32 v25, s15, v25
	ds_load_b32 v22, v26 offset:32
	v_and_b32_e32 v23, v23, v24
	v_add_nc_u32_e32 v24, 32, v26
	; wave barrier
	s_delay_alu instid0(VALU_DEP_2) | instskip(NEXT) | instid1(VALU_DEP_1)
	v_and_b32_e32 v25, v23, v25
	v_mbcnt_lo_u32_b32 v23, v25, 0
	v_cmp_ne_u32_e64 s15, 0, v25
	s_delay_alu instid0(VALU_DEP_2)
	v_cmp_eq_u32_e64 s14, 0, v23
	s_and_b32 s15, s15, s14
	s_wait_alu 0xfffe
	s_and_saveexec_b32 s14, s15
	s_cbranch_execz .LBB1744_100
; %bb.99:                               ;   in Loop: Header=BB1744_96 Depth=1
	s_wait_dscnt 0x0
	v_bcnt_u32_b32 v25, v25, v22
	ds_store_b32 v24, v25
.LBB1744_100:                           ;   in Loop: Header=BB1744_96 Depth=1
	s_wait_alu 0xfffe
	s_or_b32 exec_lo, exec_lo, s14
	v_cmp_ne_u16_e64 s14, 0x8000, v100
	; wave barrier
	s_wait_alu 0xf1ff
	s_delay_alu instid0(VALU_DEP_1) | instskip(NEXT) | instid1(VALU_DEP_1)
	v_cndmask_b32_e64 v25, 0x7fff, v100, s14
	v_and_b32_e32 v25, 0xffff, v25
	s_delay_alu instid0(VALU_DEP_1) | instskip(NEXT) | instid1(VALU_DEP_1)
	v_lshrrev_b32_e32 v25, v10, v25
	v_and_b32_e32 v25, v25, v9
	s_delay_alu instid0(VALU_DEP_1)
	v_and_b32_e32 v26, 1, v25
	v_lshlrev_b32_e32 v27, 30, v25
	v_lshlrev_b32_e32 v28, 29, v25
	;; [unrolled: 1-line block ×4, first 2 shown]
	v_add_co_u32 v26, s14, v26, -1
	s_wait_alu 0xf1ff
	v_cndmask_b32_e64 v35, 0, 1, s14
	v_not_b32_e32 v39, v27
	v_cmp_gt_i32_e64 s15, 0, v27
	v_not_b32_e32 v27, v28
	v_lshlrev_b32_e32 v37, 26, v25
	v_cmp_ne_u32_e64 s14, 0, v35
	v_ashrrev_i32_e32 v39, 31, v39
	v_lshlrev_b32_e32 v38, 25, v25
	v_ashrrev_i32_e32 v27, 31, v27
	v_lshlrev_b32_e32 v35, 24, v25
	s_wait_alu 0xf1ff
	v_xor_b32_e32 v26, s14, v26
	v_cmp_gt_i32_e64 s14, 0, v28
	v_not_b32_e32 v28, v29
	v_xor_b32_e32 v39, s15, v39
	v_cmp_gt_i32_e64 s15, 0, v29
	v_and_b32_e32 v26, exec_lo, v26
	v_not_b32_e32 v29, v36
	v_ashrrev_i32_e32 v28, 31, v28
	s_wait_alu 0xf1ff
	v_xor_b32_e32 v27, s14, v27
	v_cmp_gt_i32_e64 s14, 0, v36
	v_and_b32_e32 v26, v26, v39
	v_not_b32_e32 v36, v37
	v_ashrrev_i32_e32 v29, 31, v29
	v_xor_b32_e32 v28, s15, v28
	v_cmp_gt_i32_e64 s15, 0, v37
	v_and_b32_e32 v26, v26, v27
	v_not_b32_e32 v27, v38
	v_ashrrev_i32_e32 v36, 31, v36
	s_wait_alu 0xf1ff
	v_xor_b32_e32 v29, s14, v29
	v_cmp_gt_i32_e64 s14, 0, v38
	v_and_b32_e32 v26, v26, v28
	v_not_b32_e32 v28, v35
	v_ashrrev_i32_e32 v27, 31, v27
	v_xor_b32_e32 v36, s15, v36
	v_lshl_add_u32 v25, v25, 3, v70
	v_and_b32_e32 v26, v26, v29
	v_cmp_gt_i32_e64 s15, 0, v35
	v_ashrrev_i32_e32 v28, 31, v28
	s_wait_alu 0xf1ff
	v_xor_b32_e32 v27, s14, v27
	v_lshl_add_u32 v29, v25, 2, v12
	v_and_b32_e32 v26, v26, v36
	v_xor_b32_e32 v28, s15, v28
	ds_load_b32 v25, v29 offset:32
	v_and_b32_e32 v26, v26, v27
	v_add_nc_u32_e32 v27, 32, v29
	; wave barrier
	s_delay_alu instid0(VALU_DEP_2) | instskip(NEXT) | instid1(VALU_DEP_1)
	v_and_b32_e32 v28, v26, v28
	v_mbcnt_lo_u32_b32 v26, v28, 0
	v_cmp_ne_u32_e64 s15, 0, v28
	s_delay_alu instid0(VALU_DEP_2)
	v_cmp_eq_u32_e64 s14, 0, v26
	s_and_b32 s15, s15, s14
	s_wait_alu 0xfffe
	s_and_saveexec_b32 s14, s15
	s_cbranch_execz .LBB1744_102
; %bb.101:                              ;   in Loop: Header=BB1744_96 Depth=1
	s_wait_dscnt 0x0
	v_bcnt_u32_b32 v28, v28, v25
	ds_store_b32 v27, v28
.LBB1744_102:                           ;   in Loop: Header=BB1744_96 Depth=1
	s_wait_alu 0xfffe
	s_or_b32 exec_lo, exec_lo, s14
	v_cmp_ne_u16_e64 s14, 0x8000, v102
	; wave barrier
	s_wait_alu 0xf1ff
	s_delay_alu instid0(VALU_DEP_1) | instskip(NEXT) | instid1(VALU_DEP_1)
	v_cndmask_b32_e64 v28, 0x7fff, v102, s14
	v_and_b32_e32 v28, 0xffff, v28
	s_delay_alu instid0(VALU_DEP_1) | instskip(NEXT) | instid1(VALU_DEP_1)
	v_lshrrev_b32_e32 v28, v10, v28
	v_and_b32_e32 v9, v28, v9
	s_delay_alu instid0(VALU_DEP_1)
	v_and_b32_e32 v28, 1, v9
	v_lshlrev_b32_e32 v29, 30, v9
	v_lshlrev_b32_e32 v35, 29, v9
	;; [unrolled: 1-line block ×4, first 2 shown]
	v_add_co_u32 v28, s14, v28, -1
	s_wait_alu 0xf1ff
	v_cndmask_b32_e64 v37, 0, 1, s14
	v_not_b32_e32 v49, v29
	v_cmp_gt_i32_e64 s15, 0, v29
	v_not_b32_e32 v29, v35
	v_lshlrev_b32_e32 v39, 26, v9
	v_cmp_ne_u32_e64 s14, 0, v37
	v_ashrrev_i32_e32 v49, 31, v49
	v_lshlrev_b32_e32 v48, 25, v9
	v_ashrrev_i32_e32 v29, 31, v29
	v_lshlrev_b32_e32 v37, 24, v9
	s_wait_alu 0xf1ff
	v_xor_b32_e32 v28, s14, v28
	v_cmp_gt_i32_e64 s14, 0, v35
	v_not_b32_e32 v35, v36
	v_xor_b32_e32 v49, s15, v49
	v_cmp_gt_i32_e64 s15, 0, v36
	v_and_b32_e32 v28, exec_lo, v28
	v_not_b32_e32 v36, v38
	v_ashrrev_i32_e32 v35, 31, v35
	s_wait_alu 0xf1ff
	v_xor_b32_e32 v29, s14, v29
	v_cmp_gt_i32_e64 s14, 0, v38
	v_and_b32_e32 v28, v28, v49
	v_not_b32_e32 v38, v39
	v_ashrrev_i32_e32 v36, 31, v36
	v_xor_b32_e32 v35, s15, v35
	v_cmp_gt_i32_e64 s15, 0, v39
	v_and_b32_e32 v28, v28, v29
	v_not_b32_e32 v29, v48
	v_ashrrev_i32_e32 v38, 31, v38
	s_wait_alu 0xf1ff
	v_xor_b32_e32 v36, s14, v36
	v_cmp_gt_i32_e64 s14, 0, v48
	v_and_b32_e32 v28, v28, v35
	v_not_b32_e32 v35, v37
	v_ashrrev_i32_e32 v29, 31, v29
	v_xor_b32_e32 v38, s15, v38
	v_lshl_add_u32 v9, v9, 3, v70
	v_and_b32_e32 v28, v28, v36
	v_cmp_gt_i32_e64 s15, 0, v37
	v_ashrrev_i32_e32 v35, 31, v35
	s_wait_alu 0xf1ff
	v_xor_b32_e32 v29, s14, v29
	v_lshl_add_u32 v9, v9, 2, v12
	v_and_b32_e32 v28, v28, v38
	v_xor_b32_e32 v35, s15, v35
	s_delay_alu instid0(VALU_DEP_2) | instskip(SKIP_3) | instid1(VALU_DEP_1)
	v_and_b32_e32 v29, v28, v29
	ds_load_b32 v28, v9 offset:32
	v_add_nc_u32_e32 v9, 32, v9
	; wave barrier
	v_and_b32_e32 v35, v29, v35
	v_mbcnt_lo_u32_b32 v29, v35, 0
	v_cmp_ne_u32_e64 s15, 0, v35
	s_delay_alu instid0(VALU_DEP_2)
	v_cmp_eq_u32_e64 s14, 0, v29
	s_and_b32 s15, s15, s14
	s_wait_alu 0xfffe
	s_and_saveexec_b32 s14, s15
	s_cbranch_execz .LBB1744_104
; %bb.103:                              ;   in Loop: Header=BB1744_96 Depth=1
	s_wait_dscnt 0x0
	v_bcnt_u32_b32 v35, v35, v28
	ds_store_b32 v9, v35
.LBB1744_104:                           ;   in Loop: Header=BB1744_96 Depth=1
	s_wait_alu 0xfffe
	s_or_b32 exec_lo, exec_lo, s14
	; wave barrier
	s_wait_loadcnt_dscnt 0x0
	s_barrier_signal -1
	s_barrier_wait -1
	global_inv scope:SCOPE_SE
	ds_load_b32 v36, v32
	ds_load_b32 v37, v54
	;; [unrolled: 1-line block ×8, first 2 shown]
	s_wait_dscnt 0x6
	v_add_nc_u32_e32 v51, v37, v36
	s_wait_dscnt 0x4
	s_delay_alu instid0(VALU_DEP_1) | instskip(SKIP_1) | instid1(VALU_DEP_1)
	v_add3_u32 v51, v51, v38, v39
	s_wait_dscnt 0x2
	v_add3_u32 v51, v51, v48, v49
	s_wait_dscnt 0x0
	s_delay_alu instid0(VALU_DEP_1) | instskip(NEXT) | instid1(VALU_DEP_1)
	v_add3_u32 v50, v51, v35, v50
	v_mov_b32_dpp v51, v50 row_shr:1 row_mask:0xf bank_mask:0xf
	s_wait_alu 0xfffd
	s_delay_alu instid0(VALU_DEP_1) | instskip(NEXT) | instid1(VALU_DEP_1)
	v_cndmask_b32_e64 v51, v51, 0, vcc_lo
	v_add_nc_u32_e32 v50, v51, v50
	s_delay_alu instid0(VALU_DEP_1) | instskip(NEXT) | instid1(VALU_DEP_1)
	v_mov_b32_dpp v51, v50 row_shr:2 row_mask:0xf bank_mask:0xf
	v_cndmask_b32_e64 v51, 0, v51, s0
	s_delay_alu instid0(VALU_DEP_1) | instskip(NEXT) | instid1(VALU_DEP_1)
	v_add_nc_u32_e32 v50, v50, v51
	v_mov_b32_dpp v51, v50 row_shr:4 row_mask:0xf bank_mask:0xf
	s_delay_alu instid0(VALU_DEP_1) | instskip(NEXT) | instid1(VALU_DEP_1)
	v_cndmask_b32_e64 v51, 0, v51, s1
	v_add_nc_u32_e32 v50, v50, v51
	s_delay_alu instid0(VALU_DEP_1) | instskip(NEXT) | instid1(VALU_DEP_1)
	v_mov_b32_dpp v51, v50 row_shr:8 row_mask:0xf bank_mask:0xf
	v_cndmask_b32_e64 v51, 0, v51, s3
	s_delay_alu instid0(VALU_DEP_1) | instskip(SKIP_3) | instid1(VALU_DEP_1)
	v_add_nc_u32_e32 v50, v50, v51
	ds_swizzle_b32 v51, v50 offset:swizzle(BROADCAST,32,15)
	s_wait_dscnt 0x0
	v_cndmask_b32_e64 v51, v51, 0, s4
	v_add_nc_u32_e32 v50, v50, v51
	s_and_saveexec_b32 s14, s5
; %bb.105:                              ;   in Loop: Header=BB1744_96 Depth=1
	ds_store_b32 v80, v50
; %bb.106:                              ;   in Loop: Header=BB1744_96 Depth=1
	s_wait_alu 0xfffe
	s_or_b32 exec_lo, exec_lo, s14
	s_wait_loadcnt_dscnt 0x0
	s_barrier_signal -1
	s_barrier_wait -1
	global_inv scope:SCOPE_SE
	s_and_saveexec_b32 s14, s6
	s_cbranch_execz .LBB1744_108
; %bb.107:                              ;   in Loop: Header=BB1744_96 Depth=1
	ds_load_b32 v51, v81
	s_wait_dscnt 0x0
	v_mov_b32_dpp v52, v51 row_shr:1 row_mask:0xf bank_mask:0xf
	s_delay_alu instid0(VALU_DEP_1) | instskip(NEXT) | instid1(VALU_DEP_1)
	v_cndmask_b32_e64 v52, v52, 0, s11
	v_add_nc_u32_e32 v51, v52, v51
	s_delay_alu instid0(VALU_DEP_1) | instskip(NEXT) | instid1(VALU_DEP_1)
	v_mov_b32_dpp v52, v51 row_shr:2 row_mask:0xf bank_mask:0xf
	v_cndmask_b32_e64 v52, 0, v52, s12
	s_delay_alu instid0(VALU_DEP_1) | instskip(NEXT) | instid1(VALU_DEP_1)
	v_add_nc_u32_e32 v51, v51, v52
	v_mov_b32_dpp v52, v51 row_shr:4 row_mask:0xf bank_mask:0xf
	s_delay_alu instid0(VALU_DEP_1) | instskip(NEXT) | instid1(VALU_DEP_1)
	v_cndmask_b32_e64 v52, 0, v52, s13
	v_add_nc_u32_e32 v51, v51, v52
	ds_store_b32 v81, v51
.LBB1744_108:                           ;   in Loop: Header=BB1744_96 Depth=1
	s_wait_alu 0xfffe
	s_or_b32 exec_lo, exec_lo, s14
	v_mov_b32_e32 v51, 0
	s_wait_loadcnt_dscnt 0x0
	s_barrier_signal -1
	s_barrier_wait -1
	global_inv scope:SCOPE_SE
	s_and_saveexec_b32 s14, s7
; %bb.109:                              ;   in Loop: Header=BB1744_96 Depth=1
	ds_load_b32 v51, v83
; %bb.110:                              ;   in Loop: Header=BB1744_96 Depth=1
	s_wait_alu 0xfffe
	s_or_b32 exec_lo, exec_lo, s14
	s_wait_dscnt 0x0
	v_add_nc_u32_e32 v50, v51, v50
	v_add_nc_u32_e32 v10, 8, v10
	s_mov_b32 s20, -1
                                        ; implicit-def: $vgpr103
                                        ; implicit-def: $vgpr112
	ds_bpermute_b32 v50, v71, v50
	s_wait_dscnt 0x0
	v_cndmask_b32_e64 v50, v50, v51, s2
	s_delay_alu instid0(VALU_DEP_1) | instskip(NEXT) | instid1(VALU_DEP_1)
	v_cndmask_b32_e64 v50, v50, 0, s10
	v_add_nc_u32_e32 v36, v50, v36
	s_delay_alu instid0(VALU_DEP_1)
	v_add_nc_u32_e32 v37, v36, v37
	ds_store_b32 v32, v50
	ds_store_b32 v54, v36
	;; [unrolled: 1-line block ×3, first 2 shown]
	v_mov_b32_e32 v36, v5
	v_add_nc_u32_e32 v38, v37, v38
	s_delay_alu instid0(VALU_DEP_1) | instskip(NEXT) | instid1(VALU_DEP_1)
	v_add_nc_u32_e32 v39, v38, v39
	v_add_nc_u32_e32 v48, v39, v48
	s_delay_alu instid0(VALU_DEP_1) | instskip(NEXT) | instid1(VALU_DEP_1)
	v_add_nc_u32_e32 v49, v48, v49
	v_add_nc_u32_e32 v35, v49, v35
	ds_store_b32 v64, v38
	ds_store_b32 v65, v39
	;; [unrolled: 1-line block ×5, first 2 shown]
	s_wait_loadcnt_dscnt 0x0
	s_barrier_signal -1
	s_barrier_wait -1
	global_inv scope:SCOPE_SE
	ds_load_b32 v8, v8
	ds_load_b32 v24, v24
	;; [unrolled: 1-line block ×4, first 2 shown]
	v_dual_mov_b32 v9, v5 :: v_dual_mov_b32 v38, v5
	s_wait_loadcnt_dscnt 0x0
	v_add_nc_u32_e32 v4, v8, v4
	v_add3_u32 v8, v23, v22, v24
	v_add3_u32 v35, v26, v25, v27
	v_add3_u32 v37, v29, v28, v37
	s_delay_alu instid0(VALU_DEP_4) | instskip(NEXT) | instid1(VALU_DEP_4)
	v_lshlrev_b64_e32 v[22:23], 1, v[4:5]
	v_lshlrev_b64_e32 v[24:25], 1, v[8:9]
	s_delay_alu instid0(VALU_DEP_4) | instskip(NEXT) | instid1(VALU_DEP_4)
	v_lshlrev_b64_e32 v[26:27], 1, v[35:36]
	v_lshlrev_b64_e32 v[28:29], 1, v[37:38]
                                        ; implicit-def: $vgpr9
                                        ; implicit-def: $vgpr36
	s_delay_alu instid0(VALU_DEP_4)
	v_add_co_u32 v52, s15, v12, v22
	s_wait_alu 0xf1ff
	v_add_co_ci_u32_e64 v53, null, v13, v23, s15
	v_add_co_u32 v50, s15, v12, v24
	s_wait_alu 0xf1ff
	v_add_co_ci_u32_e64 v51, null, v13, v25, s15
	;; [unrolled: 3-line block ×4, first 2 shown]
	s_mov_b32 s15, exec_lo
                                        ; implicit-def: $vgpr22_vgpr23_vgpr24_vgpr25_vgpr26_vgpr27_vgpr28_vgpr29
	v_cmpx_lt_u32_e64 v10, v11
	s_cbranch_execz .LBB1744_95
; %bb.111:                              ;   in Loop: Header=BB1744_96 Depth=1
	v_mad_co_u64_u32 v[22:23], null, v4, 6, v[52:53]
	v_mad_co_u64_u32 v[23:24], null, v8, 6, v[50:51]
	;; [unrolled: 1-line block ×4, first 2 shown]
	s_barrier_signal -1
	s_barrier_wait -1
	global_inv scope:SCOPE_SE
	ds_store_b16 v52, v99
	ds_store_b16 v50, v101
	;; [unrolled: 1-line block ×4, first 2 shown]
	s_wait_loadcnt_dscnt 0x0
	s_barrier_signal -1
	s_barrier_wait -1
	global_inv scope:SCOPE_SE
	ds_load_u16 v9, v66
	ds_load_u16 v103, v84
	;; [unrolled: 1-line block ×4, first 2 shown]
	s_wait_loadcnt_dscnt 0x0
	s_barrier_signal -1
	s_barrier_wait -1
	global_inv scope:SCOPE_SE
	ds_store_b64 v22, v[14:15]
	ds_store_b64 v23, v[16:17]
	;; [unrolled: 1-line block ×4, first 2 shown]
	s_wait_loadcnt_dscnt 0x0
	s_barrier_signal -1
	s_barrier_wait -1
	global_inv scope:SCOPE_SE
	ds_load_b64 v[22:23], v82
	ds_load_b64 v[24:25], v87
	;; [unrolled: 1-line block ×4, first 2 shown]
	v_add_nc_u32_e32 v98, -8, v98
	s_xor_b32 s20, exec_lo, -1
	s_wait_loadcnt_dscnt 0x0
	s_barrier_signal -1
	s_barrier_wait -1
	global_inv scope:SCOPE_SE
	s_branch .LBB1744_95
.LBB1744_112:
	flat_load_b64 v[33:34], v[4:5]
	s_wait_alu 0xfffe
	s_or_b32 exec_lo, exec_lo, s7
                                        ; implicit-def: $vgpr35_vgpr36
	s_and_saveexec_b32 s7, s0
	s_cbranch_execz .LBB1744_20
.LBB1744_113:
	flat_load_b64 v[35:36], v[4:5] offset:256
	s_wait_alu 0xfffe
	s_or_b32 exec_lo, exec_lo, s7
                                        ; implicit-def: $vgpr37_vgpr38
	s_and_saveexec_b32 s0, s1
	s_cbranch_execz .LBB1744_21
.LBB1744_114:
	flat_load_b64 v[37:38], v[4:5] offset:512
	s_wait_alu 0xfffe
	s_or_b32 exec_lo, exec_lo, s0
                                        ; implicit-def: $vgpr48_vgpr49
	s_and_saveexec_b32 s0, s2
	s_cbranch_execz .LBB1744_22
.LBB1744_115:
	flat_load_b64 v[48:49], v[4:5] offset:768
	s_wait_alu 0xfffe
	s_or_b32 exec_lo, exec_lo, s0
                                        ; implicit-def: $vgpr50_vgpr51
	s_and_saveexec_b32 s0, s3
	s_cbranch_execz .LBB1744_23
.LBB1744_116:
	flat_load_b64 v[50:51], v[4:5] offset:1024
	s_wait_alu 0xfffe
	s_or_b32 exec_lo, exec_lo, s0
                                        ; implicit-def: $vgpr52_vgpr53
	s_and_saveexec_b32 s0, s4
	s_cbranch_execz .LBB1744_24
.LBB1744_117:
	flat_load_b64 v[52:53], v[4:5] offset:1280
	s_wait_alu 0xfffe
	s_or_b32 exec_lo, exec_lo, s0
                                        ; implicit-def: $vgpr54_vgpr55
	s_and_saveexec_b32 s0, s5
	s_cbranch_execz .LBB1744_25
.LBB1744_118:
	flat_load_b64 v[54:55], v[4:5] offset:1536
	s_wait_alu 0xfffe
	s_or_b32 exec_lo, exec_lo, s0
                                        ; implicit-def: $vgpr64_vgpr65
	s_and_saveexec_b32 s0, s6
	s_cbranch_execnz .LBB1744_26
	s_branch .LBB1744_27
.LBB1744_119:
	flat_store_b64 v[0:1], v[20:21]
	s_wait_alu 0xfffe
	s_or_b32 exec_lo, exec_lo, s7
	s_and_saveexec_b32 s7, s0
	s_cbranch_execz .LBB1744_71
.LBB1744_120:
	flat_store_b64 v[0:1], v[22:23] offset:2048
	s_wait_alu 0xfffe
	s_or_b32 exec_lo, exec_lo, s7
	s_and_saveexec_b32 s0, s1
	s_cbranch_execz .LBB1744_72
.LBB1744_121:
	flat_store_b64 v[0:1], v[16:17] offset:4096
	s_wait_alu 0xfffe
	s_or_b32 exec_lo, exec_lo, s0
	s_and_saveexec_b32 s0, s2
	s_cbranch_execz .LBB1744_73
.LBB1744_122:
	flat_store_b64 v[0:1], v[18:19] offset:6144
	s_wait_alu 0xfffe
	s_or_b32 exec_lo, exec_lo, s0
	s_and_saveexec_b32 s0, s3
	s_cbranch_execz .LBB1744_74
.LBB1744_123:
	flat_store_b64 v[0:1], v[12:13] offset:8192
	s_wait_alu 0xfffe
	s_or_b32 exec_lo, exec_lo, s0
	s_and_saveexec_b32 s0, s4
	s_cbranch_execz .LBB1744_75
.LBB1744_124:
	flat_store_b64 v[0:1], v[14:15] offset:10240
	s_wait_alu 0xfffe
	s_or_b32 exec_lo, exec_lo, s0
	s_and_saveexec_b32 s0, s5
	s_cbranch_execz .LBB1744_76
.LBB1744_125:
	flat_store_b64 v[0:1], v[8:9] offset:12288
	s_wait_alu 0xfffe
	s_or_b32 exec_lo, exec_lo, s0
	s_and_saveexec_b32 s0, s6
	s_cbranch_execnz .LBB1744_77
	s_branch .LBB1744_78
.LBB1744_126:
	s_or_b32 exec_lo, exec_lo, s19
	v_lshl_add_u32 v25, v30, 1, v12
	v_mad_co_u64_u32 v[9:10], null, v4, 6, v[52:53]
	v_mul_u32_u24_e32 v4, 6, v30
	v_mad_co_u64_u32 v[10:11], null, v8, 6, v[50:51]
	v_mad_co_u64_u32 v[11:12], null, v35, 6, v[48:49]
	;; [unrolled: 1-line block ×3, first 2 shown]
	s_delay_alu instid0(VALU_DEP_4)
	v_add_nc_u32_e32 v4, v25, v4
	s_barrier_signal -1
	s_barrier_wait -1
	s_wait_loadcnt 0x0
	global_inv scope:SCOPE_SE
	ds_store_b16 v52, v99
	ds_store_b16 v50, v101
	;; [unrolled: 1-line block ×4, first 2 shown]
	s_wait_loadcnt_dscnt 0x0
	s_barrier_signal -1
	s_barrier_wait -1
	global_inv scope:SCOPE_SE
	ds_load_u16 v24, v25
	ds_load_u16 v23, v25 offset:512
	ds_load_u16 v22, v25 offset:1024
	;; [unrolled: 1-line block ×3, first 2 shown]
	s_wait_loadcnt_dscnt 0x0
	s_barrier_signal -1
	s_barrier_wait -1
	global_inv scope:SCOPE_SE
	ds_store_b64 v9, v[14:15]
	ds_store_b64 v10, v[16:17]
	;; [unrolled: 1-line block ×4, first 2 shown]
	s_wait_loadcnt_dscnt 0x0
	s_barrier_signal -1
	s_barrier_wait -1
	global_inv scope:SCOPE_SE
	ds_load_2addr_stride64_b64 v[12:15], v4 offset1:4
	ds_load_2addr_stride64_b64 v[8:11], v4 offset0:8 offset1:12
	v_mov_b32_e32 v32, 0
	v_add_co_u32 v2, vcc_lo, v2, v33
	s_wait_alu 0xfffd
	v_add_co_ci_u32_e64 v3, null, v3, v34, vcc_lo
	s_delay_alu instid0(VALU_DEP_3)
	v_lshlrev_b64_e32 v[16:17], 1, v[31:32]
	s_wait_loadcnt_dscnt 0x0
	s_barrier_signal -1
	s_barrier_wait -1
	global_inv scope:SCOPE_SE
	v_add_co_u32 v2, vcc_lo, v2, v16
	s_wait_alu 0xfffd
	v_add_co_ci_u32_e64 v3, null, v3, v17, vcc_lo
	v_cmp_lt_u32_e32 vcc_lo, v31, v128
	s_and_saveexec_b32 s1, vcc_lo
	s_cbranch_execz .LBB1744_128
; %bb.127:
	v_cmp_gt_i16_e64 s0, 0, v24
	s_wait_alu 0xf1ff
	s_delay_alu instid0(VALU_DEP_1) | instskip(NEXT) | instid1(VALU_DEP_1)
	v_cndmask_b32_e64 v4, 0x7fff, 0, s0
	v_xor_b32_e32 v4, v4, v24
	flat_store_b16 v[2:3], v4
.LBB1744_128:
	s_wait_alu 0xfffe
	s_or_b32 exec_lo, exec_lo, s1
	v_add_nc_u32_e32 v4, 0x100, v31
	s_delay_alu instid0(VALU_DEP_1)
	v_cmp_lt_u32_e64 s0, v4, v128
	s_and_saveexec_b32 s2, s0
	s_cbranch_execz .LBB1744_130
; %bb.129:
	v_cmp_gt_i16_e64 s1, 0, v23
	s_wait_alu 0xf1ff
	s_delay_alu instid0(VALU_DEP_1) | instskip(NEXT) | instid1(VALU_DEP_1)
	v_cndmask_b32_e64 v4, 0x7fff, 0, s1
	v_xor_b32_e32 v4, v4, v23
	flat_store_b16 v[2:3], v4 offset:512
.LBB1744_130:
	s_wait_alu 0xfffe
	s_or_b32 exec_lo, exec_lo, s2
	v_add_nc_u32_e32 v4, 0x200, v31
	s_delay_alu instid0(VALU_DEP_1)
	v_cmp_lt_u32_e64 s1, v4, v128
	s_and_saveexec_b32 s3, s1
	s_cbranch_execz .LBB1744_132
; %bb.131:
	v_cmp_gt_i16_e64 s2, 0, v22
	s_wait_alu 0xf1ff
	s_delay_alu instid0(VALU_DEP_1) | instskip(NEXT) | instid1(VALU_DEP_1)
	v_cndmask_b32_e64 v4, 0x7fff, 0, s2
	v_xor_b32_e32 v4, v4, v22
	flat_store_b16 v[2:3], v4 offset:1024
.LBB1744_132:
	;; [unrolled: 15-line block ×3, first 2 shown]
	s_wait_alu 0xfffe
	s_or_b32 exec_lo, exec_lo, s4
	v_lshlrev_b64_e32 v[2:3], 3, v[31:32]
	v_add_co_u32 v0, s3, v6, v0
	s_wait_alu 0xf1ff
	v_add_co_ci_u32_e64 v1, null, v7, v1, s3
	s_delay_alu instid0(VALU_DEP_2) | instskip(SKIP_1) | instid1(VALU_DEP_2)
	v_add_co_u32 v0, s3, v0, v2
	s_wait_alu 0xf1ff
	v_add_co_ci_u32_e64 v1, null, v1, v3, s3
	s_and_saveexec_b32 s3, vcc_lo
	s_cbranch_execnz .LBB1744_167
; %bb.135:
	s_wait_alu 0xfffe
	s_or_b32 exec_lo, exec_lo, s3
	s_and_saveexec_b32 s3, s0
	s_cbranch_execnz .LBB1744_168
.LBB1744_136:
	s_wait_alu 0xfffe
	s_or_b32 exec_lo, exec_lo, s3
	s_and_saveexec_b32 s0, s1
	s_cbranch_execnz .LBB1744_169
.LBB1744_137:
	s_wait_alu 0xfffe
	s_or_b32 exec_lo, exec_lo, s0
	s_and_saveexec_b32 s0, s2
	s_cbranch_execz .LBB1744_139
.LBB1744_138:
	flat_store_b64 v[0:1], v[10:11] offset:6144
.LBB1744_139:
	s_wait_alu 0xfffe
	s_or_b32 exec_lo, exec_lo, s0
                                        ; implicit-def: $vgpr128
                                        ; implicit-def: $vgpr0
                                        ; implicit-def: $vgpr1
                                        ; implicit-def: $vgpr2
                                        ; implicit-def: $vgpr3
                                        ; implicit-def: $vgpr4
                                        ; implicit-def: $vgpr5
                                        ; implicit-def: $vgpr6
                                        ; implicit-def: $vgpr7
                                        ; implicit-def: $vgpr8
                                        ; implicit-def: $vgpr10
                                        ; implicit-def: $vgpr11
                                        ; implicit-def: $vgpr12
                                        ; implicit-def: $vgpr13
                                        ; implicit-def: $vgpr9
                                        ; implicit-def: $vgpr14
                                        ; implicit-def: $vgpr30
                                        ; implicit-def: $vgpr66
.LBB1744_140:
	s_wait_alu 0xfffe
	s_and_not1_saveexec_b32 s0, s17
	s_cbranch_execz .LBB1744_199
; %bb.141:
	s_load_b64 s[0:1], s[8:9], 0x0
	s_and_b32 s2, ttmp7, 0xffff
	s_mov_b32 s3, 0
	s_wait_kmcnt 0x0
	s_wait_alu 0xfffe
	s_cmp_lt_u32 s2, s1
	s_cselect_b32 s2, 14, 20
	s_cmp_lt_u32 ttmp9, s0
	s_wait_alu 0xfffe
	s_add_nc_u64 s[4:5], s[8:9], s[2:3]
	s_cselect_b32 s2, 12, 18
	s_load_u16 s4, s[4:5], 0x0
	s_add_nc_u64 s[0:1], s[8:9], s[2:3]
	s_load_u16 s0, s[0:1], 0x0
	s_wait_kmcnt 0x0
	v_mad_u32_u24 v14, v14, s4, v9
	v_mov_b32_e32 v9, 0
	s_delay_alu instid0(VALU_DEP_2) | instskip(NEXT) | instid1(VALU_DEP_2)
	v_mad_co_u64_u32 v[14:15], null, v14, s0, v[30:31]
	v_lshlrev_b64_e32 v[16:17], 1, v[8:9]
	s_mov_b32 s0, exec_lo
	v_cmpx_lt_u32_e32 0x100, v128
	s_wait_alu 0xfffe
	s_xor_b32 s14, exec_lo, s0
	s_cbranch_execz .LBB1744_179
; %bb.142:
	s_delay_alu instid0(VALU_DEP_3) | instskip(SKIP_1) | instid1(VALU_DEP_2)
	v_dual_mov_b32 v24, -1 :: v_dual_lshlrev_b32 v15, 1, v14
	v_dual_mov_b32 v19, v9 :: v_dual_lshlrev_b32 v20, 1, v66
	v_and_b32_e32 v18, 0xffffffc0, v15
	v_add_co_u32 v15, vcc_lo, v0, v16
	s_wait_alu 0xfffd
	v_add_co_ci_u32_e64 v21, null, v1, v17, vcc_lo
	s_delay_alu instid0(VALU_DEP_3) | instskip(NEXT) | instid1(VALU_DEP_3)
	v_lshlrev_b64_e32 v[0:1], 1, v[18:19]
	v_add_co_u32 v15, vcc_lo, v15, v20
	s_wait_alu 0xfffd
	s_delay_alu instid0(VALU_DEP_3) | instskip(NEXT) | instid1(VALU_DEP_2)
	v_add_co_ci_u32_e64 v21, null, 0, v21, vcc_lo
	v_add_co_u32 v0, vcc_lo, v15, v0
	v_mov_b32_e32 v15, -1
	v_or_b32_e32 v20, v66, v18
	s_wait_alu 0xfffd
	v_add_co_ci_u32_e64 v1, null, v21, v1, vcc_lo
	s_delay_alu instid0(VALU_DEP_2)
	v_cmp_lt_u32_e32 vcc_lo, v20, v128
	s_and_saveexec_b32 s0, vcc_lo
	s_cbranch_execz .LBB1744_144
; %bb.143:
	flat_load_u16 v24, v[0:1]
.LBB1744_144:
	s_wait_alu 0xfffe
	s_or_b32 exec_lo, exec_lo, s0
	v_or_b32_e32 v20, 32, v20
	s_delay_alu instid0(VALU_DEP_1)
	v_cmp_lt_u32_e64 s0, v20, v128
	s_and_saveexec_b32 s1, s0
	s_cbranch_execz .LBB1744_146
; %bb.145:
	flat_load_u16 v15, v[0:1] offset:64
.LBB1744_146:
	s_wait_alu 0xfffe
	s_or_b32 exec_lo, exec_lo, s1
	v_lshlrev_b64_e32 v[0:1], 3, v[8:9]
	v_lshlrev_b32_e32 v22, 3, v66
	v_lshlrev_b64_e32 v[8:9], 3, v[18:19]
	v_mov_b32_e32 v20, 0
	v_mov_b32_e32 v21, 0
	v_add_co_u32 v4, s1, v4, v0
	s_wait_alu 0xf1ff
	v_add_co_ci_u32_e64 v5, null, v5, v1, s1
	s_delay_alu instid0(VALU_DEP_2) | instskip(SKIP_1) | instid1(VALU_DEP_2)
	v_add_co_u32 v4, s1, v4, v22
	s_wait_alu 0xf1ff
	v_add_co_ci_u32_e64 v5, null, 0, v5, s1
	v_mov_b32_e32 v22, 0
	s_delay_alu instid0(VALU_DEP_3)
	v_add_co_u32 v4, s1, v4, v8
	v_mov_b32_e32 v23, 0
	s_wait_alu 0xf1ff
	v_add_co_ci_u32_e64 v5, null, v5, v9, s1
	s_and_saveexec_b32 s1, vcc_lo
	s_cbranch_execz .LBB1744_148
; %bb.147:
	flat_load_b64 v[22:23], v[4:5]
.LBB1744_148:
	s_wait_alu 0xfffe
	s_or_b32 exec_lo, exec_lo, s1
	s_and_saveexec_b32 s1, s0
	s_cbranch_execz .LBB1744_150
; %bb.149:
	flat_load_b64 v[20:21], v[4:5] offset:256
.LBB1744_150:
	s_wait_alu 0xfffe
	s_or_b32 exec_lo, exec_lo, s1
	s_wait_loadcnt_dscnt 0x0
	v_cmp_gt_i16_e32 vcc_lo, 0, v24
	v_lshl_add_u32 v8, v30, 5, v12
	v_sub_co_u32 v9, s2, v66, 1
	s_getpc_b64 s[0:1]
	s_wait_alu 0xfffe
	s_sext_i32_i16 s1, s1
	s_add_co_u32 s0, s0, _ZN7rocprim17ROCPRIM_400000_NS16block_radix_sortI6__halfLj256ELj2ElLj1ELj1ELj8ELNS0_26block_radix_rank_algorithmE2ELNS0_18block_padding_hintE2ELNS0_4arch9wavefront6targetE0EE19radix_bits_per_passE@rel32@lo+12
	s_wait_alu 0xfffe
	s_add_co_ci_u32 s1, s1, _ZN7rocprim17ROCPRIM_400000_NS16block_radix_sortI6__halfLj256ELj2ElLj1ELj1ELj8ELNS0_26block_radix_rank_algorithmE2ELNS0_18block_padding_hintE2ELNS0_4arch9wavefront6targetE0EE19radix_bits_per_passE@rel32@hi+24
	s_wait_alu 0xfffd
	v_cndmask_b32_e64 v4, 0x7fff, 0, vcc_lo
	v_cmp_gt_i16_e32 vcc_lo, 0, v15
	v_add_nc_u32_e32 v29, 36, v8
	v_add_nc_u32_e32 v31, 40, v8
	;; [unrolled: 1-line block ×3, first 2 shown]
	v_xor_b32_e32 v67, v4, v24
	v_and_b32_e32 v4, 0x3e0, v30
	s_wait_alu 0xfffd
	v_cndmask_b32_e64 v5, 0x7fff, 0, vcc_lo
	v_add_nc_u32_e32 v33, 48, v8
	v_add_nc_u32_e32 v34, 52, v8
	;; [unrolled: 1-line block ×3, first 2 shown]
	v_min_u32_e32 v4, 0xe0, v4
	v_xor_b32_e32 v65, v5, v15
	v_add_nc_u32_e32 v15, 32, v8
	v_and_b32_e32 v5, 15, v66
	v_add_nc_u32_e32 v36, 60, v8
	v_or_b32_e32 v4, 31, v4
	v_and_b32_e32 v8, 16, v66
	v_cmp_gt_i32_e64 s6, 0, v9
	s_load_b32 s15, s[0:1], 0x0
	v_cmp_eq_u32_e32 vcc_lo, 0, v5
	v_cmp_eq_u32_e64 s5, v30, v4
	v_lshlrev_b32_e32 v4, 1, v30
	v_cmp_lt_u32_e64 s0, 1, v5
	v_cmp_lt_u32_e64 s1, 3, v5
	;; [unrolled: 1-line block ×3, first 2 shown]
	v_cmp_eq_u32_e64 s4, 0, v8
	v_cndmask_b32_e64 v5, v9, v66, s6
	v_lshrrev_b32_e32 v8, 3, v30
	v_and_or_b32 v4, 0x7c0, v4, v66
	v_lshrrev_b32_e32 v37, 5, v14
	v_cmp_gt_u32_e64 s6, 8, v30
	v_lshlrev_b32_e32 v38, 2, v5
	v_and_b32_e32 v5, 0x7c, v8
	v_lshl_add_u32 v39, v4, 1, v12
	v_mul_u32_u24_e32 v4, 6, v4
	v_and_b32_e32 v8, 7, v66
	v_cmp_lt_u32_e64 s7, 31, v30
	v_add_nc_u32_e32 v48, v12, v5
	v_cmp_eq_u32_e64 s8, 0, v30
	v_dual_mov_b32 v5, 0 :: v_dual_add_nc_u32 v50, v39, v4
	v_lshl_add_u32 v49, v30, 2, v12
	v_cmp_eq_u32_e64 s9, 0, v8
	v_cmp_lt_u32_e64 s10, 1, v8
	v_cmp_lt_u32_e64 s11, 3, v8
	v_add_nc_u32_e32 v51, -4, v48
	v_add_nc_u32_e32 v52, 64, v39
	v_add_nc_u32_e32 v53, 0x100, v50
	v_sub_nc_u32_e32 v54, v11, v10
	s_mov_b32 s17, 0
	s_wait_storecnt 0x0
	s_barrier_signal -1
	s_barrier_wait -1
	global_inv scope:SCOPE_SE
	s_branch .LBB1744_152
.LBB1744_151:                           ;   in Loop: Header=BB1744_152 Depth=1
	s_wait_alu 0xfffe
	s_or_b32 exec_lo, exec_lo, s13
	s_delay_alu instid0(SALU_CYCLE_1)
	s_and_b32 s12, exec_lo, s18
	s_wait_alu 0xfffe
	s_or_b32 s17, s12, s17
	s_wait_alu 0xfffe
	s_and_not1_b32 exec_lo, exec_lo, s17
	s_cbranch_execz .LBB1744_170
.LBB1744_152:                           ; =>This Inner Loop Header: Depth=1
	v_mov_b32_e32 v55, v67
	s_wait_kmcnt 0x0
	v_min_u32_e32 v4, s15, v54
	ds_store_b32 v15, v5
	ds_store_b32 v29, v5
	;; [unrolled: 1-line block ×6, first 2 shown]
	v_cmp_ne_u16_e64 s12, 0x8000, v55
	v_lshlrev_b32_e64 v4, v4, -1
	ds_store_b32 v35, v5
	ds_store_b32 v36, v5
	s_wait_loadcnt_dscnt 0x0
	s_barrier_signal -1
	s_wait_alu 0xf1ff
	v_cndmask_b32_e64 v8, 0x7fff, v55, s12
	v_not_b32_e32 v24, v4
	s_barrier_wait -1
	global_inv scope:SCOPE_SE
	v_and_b32_e32 v8, 0xffff, v8
	; wave barrier
	s_delay_alu instid0(VALU_DEP_1) | instskip(SKIP_1) | instid1(VALU_DEP_2)
	v_lshrrev_b32_e32 v4, v10, v8
	v_dual_mov_b32 v8, v20 :: v_dual_mov_b32 v9, v21
	v_and_b32_e32 v4, v4, v24
	v_dual_mov_b32 v18, v22 :: v_dual_mov_b32 v19, v23
	s_delay_alu instid0(VALU_DEP_2)
	v_and_b32_e32 v20, 1, v4
	v_lshlrev_b32_e32 v21, 30, v4
	v_lshlrev_b32_e32 v22, 29, v4
	;; [unrolled: 1-line block ×4, first 2 shown]
	v_add_co_u32 v20, s12, v20, -1
	s_wait_alu 0xf1ff
	v_cndmask_b32_e64 v25, 0, 1, s12
	v_not_b32_e32 v64, v21
	v_cmp_gt_i32_e64 s13, 0, v21
	v_not_b32_e32 v21, v22
	v_lshlrev_b32_e32 v27, 26, v4
	v_cmp_ne_u32_e64 s12, 0, v25
	v_ashrrev_i32_e32 v64, 31, v64
	v_lshlrev_b32_e32 v28, 25, v4
	v_ashrrev_i32_e32 v21, 31, v21
	v_lshlrev_b32_e32 v25, 24, v4
	s_wait_alu 0xf1ff
	v_xor_b32_e32 v20, s12, v20
	v_xor_b32_e32 v64, s13, v64
	v_cmp_gt_i32_e64 s12, 0, v22
	v_lshlrev_b32_e32 v4, 3, v4
	s_delay_alu instid0(VALU_DEP_4) | instskip(SKIP_1) | instid1(VALU_DEP_3)
	v_and_b32_e32 v20, exec_lo, v20
	s_wait_alu 0xf1ff
	v_xor_b32_e32 v21, s12, v21
	v_cmp_gt_i32_e64 s12, 0, v26
	s_delay_alu instid0(VALU_DEP_3)
	v_and_b32_e32 v20, v20, v64
	v_mov_b32_e32 v64, v65
	v_not_b32_e32 v22, v23
	v_cmp_gt_i32_e64 s13, 0, v23
	v_not_b32_e32 v23, v26
	v_not_b32_e32 v26, v27
	v_and_b32_e32 v20, v20, v21
	v_ashrrev_i32_e32 v22, 31, v22
	v_not_b32_e32 v21, v28
	v_ashrrev_i32_e32 v23, 31, v23
	v_ashrrev_i32_e32 v26, 31, v26
	s_wait_alu 0xf1ff
	v_xor_b32_e32 v22, s13, v22
	v_cmp_gt_i32_e64 s13, 0, v27
	v_xor_b32_e32 v23, s12, v23
	v_cmp_gt_i32_e64 s12, 0, v28
	v_ashrrev_i32_e32 v21, 31, v21
	v_and_b32_e32 v20, v20, v22
	v_not_b32_e32 v22, v25
	s_wait_alu 0xf1ff
	v_xor_b32_e32 v26, s13, v26
	v_cmp_gt_i32_e64 s13, 0, v25
	v_xor_b32_e32 v21, s12, v21
	v_and_b32_e32 v20, v20, v23
	v_ashrrev_i32_e32 v22, 31, v22
	s_delay_alu instid0(VALU_DEP_2) | instskip(SKIP_1) | instid1(VALU_DEP_2)
	v_and_b32_e32 v20, v20, v26
	s_wait_alu 0xf1ff
	v_xor_b32_e32 v22, s13, v22
	s_delay_alu instid0(VALU_DEP_2) | instskip(NEXT) | instid1(VALU_DEP_1)
	v_and_b32_e32 v20, v20, v21
	v_and_b32_e32 v21, v20, v22
	v_add_lshl_u32 v20, v4, v37, 2
	s_delay_alu instid0(VALU_DEP_2) | instskip(NEXT) | instid1(VALU_DEP_2)
	v_mbcnt_lo_u32_b32 v4, v21, 0
	v_add_co_u32 v20, null, v12, v20
	v_cmp_ne_u32_e64 s13, 0, v21
	s_delay_alu instid0(VALU_DEP_3) | instskip(NEXT) | instid1(VALU_DEP_3)
	v_cmp_eq_u32_e64 s12, 0, v4
	v_add_co_u32 v20, null, v20, 32
	s_and_b32 s13, s13, s12
	s_wait_alu 0xfffe
	s_and_saveexec_b32 s12, s13
; %bb.153:                              ;   in Loop: Header=BB1744_152 Depth=1
	v_bcnt_u32_b32 v21, v21, 0
	ds_store_b32 v20, v21
; %bb.154:                              ;   in Loop: Header=BB1744_152 Depth=1
	s_wait_alu 0xfffe
	s_or_b32 exec_lo, exec_lo, s12
	v_cmp_ne_u16_e64 s12, 0x8000, v64
	; wave barrier
	s_wait_alu 0xf1ff
	s_delay_alu instid0(VALU_DEP_1) | instskip(NEXT) | instid1(VALU_DEP_1)
	v_cndmask_b32_e64 v21, 0x7fff, v64, s12
	v_and_b32_e32 v21, 0xffff, v21
	s_delay_alu instid0(VALU_DEP_1) | instskip(NEXT) | instid1(VALU_DEP_1)
	v_lshrrev_b32_e32 v21, v10, v21
	v_and_b32_e32 v21, v21, v24
	s_delay_alu instid0(VALU_DEP_1)
	v_and_b32_e32 v22, 1, v21
	v_lshlrev_b32_e32 v23, 30, v21
	v_lshlrev_b32_e32 v24, 29, v21
	v_lshlrev_b32_e32 v25, 28, v21
	v_lshlrev_b32_e32 v27, 27, v21
	v_add_co_u32 v22, s12, v22, -1
	s_wait_alu 0xf1ff
	v_cndmask_b32_e64 v26, 0, 1, s12
	v_not_b32_e32 v66, v23
	v_cmp_gt_i32_e64 s13, 0, v23
	v_not_b32_e32 v23, v24
	v_lshlrev_b32_e32 v28, 26, v21
	v_cmp_ne_u32_e64 s12, 0, v26
	v_ashrrev_i32_e32 v66, 31, v66
	v_lshlrev_b32_e32 v65, 25, v21
	v_ashrrev_i32_e32 v23, 31, v23
	v_lshlrev_b32_e32 v26, 24, v21
	s_wait_alu 0xf1ff
	v_xor_b32_e32 v22, s12, v22
	v_cmp_gt_i32_e64 s12, 0, v24
	v_not_b32_e32 v24, v25
	v_xor_b32_e32 v66, s13, v66
	v_cmp_gt_i32_e64 s13, 0, v25
	v_and_b32_e32 v22, exec_lo, v22
	v_not_b32_e32 v25, v27
	v_ashrrev_i32_e32 v24, 31, v24
	s_wait_alu 0xf1ff
	v_xor_b32_e32 v23, s12, v23
	v_cmp_gt_i32_e64 s12, 0, v27
	v_and_b32_e32 v22, v22, v66
	v_not_b32_e32 v27, v28
	v_ashrrev_i32_e32 v25, 31, v25
	v_xor_b32_e32 v24, s13, v24
	v_cmp_gt_i32_e64 s13, 0, v28
	v_and_b32_e32 v22, v22, v23
	v_not_b32_e32 v23, v65
	v_ashrrev_i32_e32 v27, 31, v27
	s_wait_alu 0xf1ff
	v_xor_b32_e32 v25, s12, v25
	v_cmp_gt_i32_e64 s12, 0, v65
	v_and_b32_e32 v22, v22, v24
	v_not_b32_e32 v24, v26
	v_ashrrev_i32_e32 v23, 31, v23
	v_xor_b32_e32 v27, s13, v27
	v_lshl_add_u32 v21, v21, 3, v37
	v_and_b32_e32 v22, v22, v25
	v_cmp_gt_i32_e64 s13, 0, v26
	v_ashrrev_i32_e32 v24, 31, v24
	s_wait_alu 0xf1ff
	v_xor_b32_e32 v23, s12, v23
	v_lshl_add_u32 v25, v21, 2, v12
	v_and_b32_e32 v22, v22, v27
	v_xor_b32_e32 v24, s13, v24
	ds_load_b32 v21, v25 offset:32
	v_and_b32_e32 v22, v22, v23
	v_add_nc_u32_e32 v23, 32, v25
	; wave barrier
	s_delay_alu instid0(VALU_DEP_2) | instskip(NEXT) | instid1(VALU_DEP_1)
	v_and_b32_e32 v24, v22, v24
	v_mbcnt_lo_u32_b32 v22, v24, 0
	v_cmp_ne_u32_e64 s13, 0, v24
	s_delay_alu instid0(VALU_DEP_2)
	v_cmp_eq_u32_e64 s12, 0, v22
	s_and_b32 s13, s13, s12
	s_wait_alu 0xfffe
	s_and_saveexec_b32 s12, s13
	s_cbranch_execz .LBB1744_156
; %bb.155:                              ;   in Loop: Header=BB1744_152 Depth=1
	s_wait_dscnt 0x0
	v_bcnt_u32_b32 v24, v24, v21
	ds_store_b32 v23, v24
.LBB1744_156:                           ;   in Loop: Header=BB1744_152 Depth=1
	s_wait_alu 0xfffe
	s_or_b32 exec_lo, exec_lo, s12
	; wave barrier
	s_wait_loadcnt_dscnt 0x0
	s_barrier_signal -1
	s_barrier_wait -1
	global_inv scope:SCOPE_SE
	ds_load_b32 v25, v15
	ds_load_b32 v26, v29
	;; [unrolled: 1-line block ×8, first 2 shown]
	s_wait_dscnt 0x6
	v_add_nc_u32_e32 v68, v26, v25
	s_wait_dscnt 0x4
	s_delay_alu instid0(VALU_DEP_1) | instskip(SKIP_1) | instid1(VALU_DEP_1)
	v_add3_u32 v68, v68, v27, v28
	s_wait_dscnt 0x2
	v_add3_u32 v68, v68, v65, v66
	s_wait_dscnt 0x0
	s_delay_alu instid0(VALU_DEP_1) | instskip(NEXT) | instid1(VALU_DEP_1)
	v_add3_u32 v67, v68, v24, v67
	v_mov_b32_dpp v68, v67 row_shr:1 row_mask:0xf bank_mask:0xf
	s_wait_alu 0xfffd
	s_delay_alu instid0(VALU_DEP_1) | instskip(NEXT) | instid1(VALU_DEP_1)
	v_cndmask_b32_e64 v68, v68, 0, vcc_lo
	v_add_nc_u32_e32 v67, v68, v67
	s_delay_alu instid0(VALU_DEP_1) | instskip(NEXT) | instid1(VALU_DEP_1)
	v_mov_b32_dpp v68, v67 row_shr:2 row_mask:0xf bank_mask:0xf
	v_cndmask_b32_e64 v68, 0, v68, s0
	s_delay_alu instid0(VALU_DEP_1) | instskip(NEXT) | instid1(VALU_DEP_1)
	v_add_nc_u32_e32 v67, v67, v68
	v_mov_b32_dpp v68, v67 row_shr:4 row_mask:0xf bank_mask:0xf
	s_delay_alu instid0(VALU_DEP_1) | instskip(NEXT) | instid1(VALU_DEP_1)
	v_cndmask_b32_e64 v68, 0, v68, s1
	v_add_nc_u32_e32 v67, v67, v68
	s_delay_alu instid0(VALU_DEP_1) | instskip(NEXT) | instid1(VALU_DEP_1)
	v_mov_b32_dpp v68, v67 row_shr:8 row_mask:0xf bank_mask:0xf
	v_cndmask_b32_e64 v68, 0, v68, s3
	s_delay_alu instid0(VALU_DEP_1) | instskip(SKIP_3) | instid1(VALU_DEP_1)
	v_add_nc_u32_e32 v67, v67, v68
	ds_swizzle_b32 v68, v67 offset:swizzle(BROADCAST,32,15)
	s_wait_dscnt 0x0
	v_cndmask_b32_e64 v68, v68, 0, s4
	v_add_nc_u32_e32 v67, v67, v68
	s_and_saveexec_b32 s12, s5
; %bb.157:                              ;   in Loop: Header=BB1744_152 Depth=1
	ds_store_b32 v48, v67
; %bb.158:                              ;   in Loop: Header=BB1744_152 Depth=1
	s_wait_alu 0xfffe
	s_or_b32 exec_lo, exec_lo, s12
	s_wait_loadcnt_dscnt 0x0
	s_barrier_signal -1
	s_barrier_wait -1
	global_inv scope:SCOPE_SE
	s_and_saveexec_b32 s12, s6
	s_cbranch_execz .LBB1744_160
; %bb.159:                              ;   in Loop: Header=BB1744_152 Depth=1
	ds_load_b32 v68, v49
	s_wait_dscnt 0x0
	v_mov_b32_dpp v69, v68 row_shr:1 row_mask:0xf bank_mask:0xf
	s_delay_alu instid0(VALU_DEP_1) | instskip(NEXT) | instid1(VALU_DEP_1)
	v_cndmask_b32_e64 v69, v69, 0, s9
	v_add_nc_u32_e32 v68, v69, v68
	s_delay_alu instid0(VALU_DEP_1) | instskip(NEXT) | instid1(VALU_DEP_1)
	v_mov_b32_dpp v69, v68 row_shr:2 row_mask:0xf bank_mask:0xf
	v_cndmask_b32_e64 v69, 0, v69, s10
	s_delay_alu instid0(VALU_DEP_1) | instskip(NEXT) | instid1(VALU_DEP_1)
	v_add_nc_u32_e32 v68, v68, v69
	v_mov_b32_dpp v69, v68 row_shr:4 row_mask:0xf bank_mask:0xf
	s_delay_alu instid0(VALU_DEP_1) | instskip(NEXT) | instid1(VALU_DEP_1)
	v_cndmask_b32_e64 v69, 0, v69, s11
	v_add_nc_u32_e32 v68, v68, v69
	ds_store_b32 v49, v68
.LBB1744_160:                           ;   in Loop: Header=BB1744_152 Depth=1
	s_wait_alu 0xfffe
	s_or_b32 exec_lo, exec_lo, s12
	v_mov_b32_e32 v68, 0
	s_wait_loadcnt_dscnt 0x0
	s_barrier_signal -1
	s_barrier_wait -1
	global_inv scope:SCOPE_SE
	s_and_saveexec_b32 s12, s7
; %bb.161:                              ;   in Loop: Header=BB1744_152 Depth=1
	ds_load_b32 v68, v51
; %bb.162:                              ;   in Loop: Header=BB1744_152 Depth=1
	s_wait_alu 0xfffe
	s_or_b32 exec_lo, exec_lo, s12
	s_wait_dscnt 0x0
	v_add_nc_u32_e32 v67, v68, v67
	v_add_nc_u32_e32 v10, 8, v10
	s_mov_b32 s18, -1
	ds_bpermute_b32 v67, v38, v67
	s_wait_dscnt 0x0
	v_cndmask_b32_e64 v67, v67, v68, s2
	s_delay_alu instid0(VALU_DEP_1) | instskip(NEXT) | instid1(VALU_DEP_1)
	v_cndmask_b32_e64 v67, v67, 0, s8
	v_add_nc_u32_e32 v25, v67, v25
	s_delay_alu instid0(VALU_DEP_1)
	v_add_nc_u32_e32 v26, v25, v26
	ds_store_b32 v15, v67
	ds_store_b32 v29, v25
	;; [unrolled: 1-line block ×3, first 2 shown]
                                        ; implicit-def: $vgpr67
	v_mov_b32_e32 v25, v5
	v_add_nc_u32_e32 v27, v26, v27
	s_delay_alu instid0(VALU_DEP_1) | instskip(NEXT) | instid1(VALU_DEP_1)
	v_add_nc_u32_e32 v28, v27, v28
	v_add_nc_u32_e32 v65, v28, v65
	s_delay_alu instid0(VALU_DEP_1) | instskip(NEXT) | instid1(VALU_DEP_1)
	v_add_nc_u32_e32 v66, v65, v66
	v_add_nc_u32_e32 v24, v66, v24
	ds_store_b32 v32, v27
	ds_store_b32 v33, v28
	;; [unrolled: 1-line block ×5, first 2 shown]
	s_wait_loadcnt_dscnt 0x0
	s_barrier_signal -1
	s_barrier_wait -1
	global_inv scope:SCOPE_SE
	ds_load_b32 v20, v20
	ds_load_b32 v23, v23
                                        ; implicit-def: $vgpr65
	s_wait_loadcnt_dscnt 0x0
	v_add_nc_u32_e32 v4, v20, v4
	v_add3_u32 v24, v22, v21, v23
	s_delay_alu instid0(VALU_DEP_2) | instskip(NEXT) | instid1(VALU_DEP_2)
	v_lshlrev_b64_e32 v[20:21], 1, v[4:5]
	v_lshlrev_b64_e32 v[22:23], 1, v[24:25]
	s_delay_alu instid0(VALU_DEP_2) | instskip(SKIP_1) | instid1(VALU_DEP_3)
	v_add_co_u32 v25, s13, v12, v20
	s_wait_alu 0xf1ff
	v_add_co_ci_u32_e64 v26, null, v13, v21, s13
	s_delay_alu instid0(VALU_DEP_3)
	v_add_co_u32 v27, s13, v12, v22
	s_wait_alu 0xf1ff
	v_add_co_ci_u32_e64 v28, null, v13, v23, s13
	s_mov_b32 s13, exec_lo
                                        ; implicit-def: $vgpr20_vgpr21
                                        ; implicit-def: $vgpr22_vgpr23
	v_cmpx_lt_u32_e64 v10, v11
	s_cbranch_execz .LBB1744_151
; %bb.163:                              ;   in Loop: Header=BB1744_152 Depth=1
	v_mad_co_u64_u32 v[20:21], null, v4, 6, v[25:26]
	v_mad_co_u64_u32 v[21:22], null, v24, 6, v[27:28]
	s_barrier_signal -1
	s_barrier_wait -1
	global_inv scope:SCOPE_SE
	ds_store_b16 v25, v55
	ds_store_b16 v27, v64
	s_wait_loadcnt_dscnt 0x0
	s_barrier_signal -1
	s_barrier_wait -1
	global_inv scope:SCOPE_SE
	ds_load_u16 v67, v39
	ds_load_u16 v65, v52
	s_wait_loadcnt_dscnt 0x0
	s_barrier_signal -1
	s_barrier_wait -1
	global_inv scope:SCOPE_SE
	ds_store_b64 v20, v[18:19]
	ds_store_b64 v21, v[8:9]
	s_wait_loadcnt_dscnt 0x0
	s_barrier_signal -1
	s_barrier_wait -1
	global_inv scope:SCOPE_SE
	ds_load_b64 v[22:23], v50
	ds_load_b64 v[20:21], v53
	v_add_nc_u32_e32 v54, -8, v54
	s_xor_b32 s18, exec_lo, -1
	s_wait_loadcnt_dscnt 0x0
	s_barrier_signal -1
	s_barrier_wait -1
	global_inv scope:SCOPE_SE
	s_branch .LBB1744_151
.LBB1744_164:
	flat_load_b64 v[48:49], v[4:5]
	v_dual_mov_b32 v50, v22 :: v_dual_mov_b32 v51, v22
	v_dual_mov_b32 v52, v22 :: v_dual_mov_b32 v53, v22
	v_dual_mov_b32 v54, v22 :: v_dual_mov_b32 v55, v22
	s_wait_loadcnt_dscnt 0x0
	v_dual_mov_b32 v22, v48 :: v_dual_mov_b32 v23, v49
	v_dual_mov_b32 v24, v50 :: v_dual_mov_b32 v25, v51
	;; [unrolled: 1-line block ×4, first 2 shown]
	s_wait_alu 0xfffe
	s_or_b32 exec_lo, exec_lo, s3
	s_and_saveexec_b32 s2, s0
	s_cbranch_execz .LBB1744_91
.LBB1744_165:
	flat_load_b64 v[24:25], v[4:5] offset:256
	s_wait_alu 0xfffe
	s_or_b32 exec_lo, exec_lo, s2
	s_and_saveexec_b32 s0, s1
	s_cbranch_execz .LBB1744_92
.LBB1744_166:
	flat_load_b64 v[26:27], v[4:5] offset:512
	s_wait_alu 0xfffe
	s_or_b32 exec_lo, exec_lo, s0
	s_and_saveexec_b32 s0, vcc_lo
	s_cbranch_execnz .LBB1744_93
	s_branch .LBB1744_94
.LBB1744_167:
	flat_store_b64 v[0:1], v[12:13]
	s_wait_alu 0xfffe
	s_or_b32 exec_lo, exec_lo, s3
	s_and_saveexec_b32 s3, s0
	s_cbranch_execz .LBB1744_136
.LBB1744_168:
	flat_store_b64 v[0:1], v[14:15] offset:2048
	s_wait_alu 0xfffe
	s_or_b32 exec_lo, exec_lo, s3
	s_and_saveexec_b32 s0, s1
	s_cbranch_execz .LBB1744_137
.LBB1744_169:
	flat_store_b64 v[0:1], v[8:9] offset:4096
	s_wait_alu 0xfffe
	s_or_b32 exec_lo, exec_lo, s0
	s_and_saveexec_b32 s0, s2
	s_cbranch_execnz .LBB1744_138
	s_branch .LBB1744_139
.LBB1744_170:
	s_or_b32 exec_lo, exec_lo, s17
	v_mad_co_u64_u32 v[10:11], null, v4, 6, v[25:26]
	v_lshl_add_u32 v13, v30, 1, v12
	v_mad_co_u64_u32 v[11:12], null, v24, 6, v[27:28]
	v_mul_u32_u24_e32 v12, 6, v30
	s_barrier_signal -1
	s_barrier_wait -1
	s_wait_loadcnt 0x0
	global_inv scope:SCOPE_SE
	ds_store_b16 v25, v55
	ds_store_b16 v27, v64
	s_wait_loadcnt_dscnt 0x0
	s_barrier_signal -1
	s_barrier_wait -1
	global_inv scope:SCOPE_SE
	ds_load_u16 v5, v13
	ds_load_u16 v4, v13 offset:512
	s_wait_loadcnt_dscnt 0x0
	s_barrier_signal -1
	s_barrier_wait -1
	global_inv scope:SCOPE_SE
	ds_store_b64 v10, v[18:19]
	ds_store_b64 v11, v[8:9]
	v_dual_mov_b32 v15, 0 :: v_dual_add_nc_u32 v8, v13, v12
	s_wait_loadcnt_dscnt 0x0
	s_barrier_signal -1
	s_barrier_wait -1
	global_inv scope:SCOPE_SE
	ds_load_2addr_stride64_b64 v[8:11], v8 offset1:4
	v_lshlrev_b64_e32 v[12:13], 1, v[14:15]
	v_add_co_u32 v2, vcc_lo, v2, v16
	s_wait_alu 0xfffd
	v_add_co_ci_u32_e64 v3, null, v3, v17, vcc_lo
	s_wait_loadcnt_dscnt 0x0
	s_delay_alu instid0(VALU_DEP_2) | instskip(SKIP_1) | instid1(VALU_DEP_2)
	v_add_co_u32 v2, vcc_lo, v2, v12
	s_wait_alu 0xfffd
	v_add_co_ci_u32_e64 v3, null, v3, v13, vcc_lo
	v_cmp_lt_u32_e32 vcc_lo, v14, v128
	s_barrier_signal -1
	s_barrier_wait -1
	global_inv scope:SCOPE_SE
	s_and_saveexec_b32 s1, vcc_lo
	s_cbranch_execz .LBB1744_172
; %bb.171:
	v_cmp_gt_i16_e64 s0, 0, v5
	s_wait_alu 0xf1ff
	s_delay_alu instid0(VALU_DEP_1) | instskip(NEXT) | instid1(VALU_DEP_1)
	v_cndmask_b32_e64 v12, 0x7fff, 0, s0
	v_xor_b32_e32 v5, v12, v5
	flat_store_b16 v[2:3], v5
.LBB1744_172:
	s_wait_alu 0xfffe
	s_or_b32 exec_lo, exec_lo, s1
	v_add_nc_u32_e32 v5, 0x100, v14
	s_delay_alu instid0(VALU_DEP_1)
	v_cmp_lt_u32_e64 s0, v5, v128
	s_and_saveexec_b32 s2, s0
	s_cbranch_execz .LBB1744_174
; %bb.173:
	v_cmp_gt_i16_e64 s1, 0, v4
	s_wait_alu 0xf1ff
	s_delay_alu instid0(VALU_DEP_1) | instskip(NEXT) | instid1(VALU_DEP_1)
	v_cndmask_b32_e64 v5, 0x7fff, 0, s1
	v_xor_b32_e32 v4, v5, v4
	flat_store_b16 v[2:3], v4 offset:512
.LBB1744_174:
	s_wait_alu 0xfffe
	s_or_b32 exec_lo, exec_lo, s2
	v_lshlrev_b64_e32 v[2:3], 3, v[14:15]
	v_add_co_u32 v0, s1, v6, v0
	s_wait_alu 0xf1ff
	v_add_co_ci_u32_e64 v1, null, v7, v1, s1
	s_delay_alu instid0(VALU_DEP_2) | instskip(SKIP_1) | instid1(VALU_DEP_2)
	v_add_co_u32 v0, s1, v0, v2
	s_wait_alu 0xf1ff
	v_add_co_ci_u32_e64 v1, null, v1, v3, s1
	s_and_saveexec_b32 s1, vcc_lo
	s_cbranch_execz .LBB1744_176
; %bb.175:
	flat_store_b64 v[0:1], v[8:9]
.LBB1744_176:
	s_wait_alu 0xfffe
	s_or_b32 exec_lo, exec_lo, s1
	s_and_saveexec_b32 s1, s0
	s_cbranch_execz .LBB1744_178
; %bb.177:
	flat_store_b64 v[0:1], v[10:11] offset:2048
.LBB1744_178:
	s_wait_alu 0xfffe
	s_or_b32 exec_lo, exec_lo, s1
                                        ; implicit-def: $vgpr14_vgpr15
                                        ; implicit-def: $vgpr8_vgpr9
                                        ; implicit-def: $vgpr16_vgpr17
                                        ; implicit-def: $vgpr128
                                        ; implicit-def: $vgpr0
                                        ; implicit-def: $vgpr1
                                        ; implicit-def: $vgpr2
                                        ; implicit-def: $vgpr3
                                        ; implicit-def: $vgpr4
                                        ; implicit-def: $vgpr5
                                        ; implicit-def: $vgpr6
                                        ; implicit-def: $vgpr7
                                        ; implicit-def: $vgpr10
                                        ; implicit-def: $vgpr11
                                        ; implicit-def: $vgpr12
                                        ; implicit-def: $vgpr13
                                        ; implicit-def: $vgpr30
                                        ; implicit-def: $vgpr66
.LBB1744_179:
	s_wait_alu 0xfffe
	s_and_not1_saveexec_b32 s0, s14
	s_cbranch_execz .LBB1744_199
; %bb.180:
	v_and_b32_e32 v20, 0xffffffe0, v14
	s_delay_alu instid0(VALU_DEP_1) | instskip(NEXT) | instid1(VALU_DEP_1)
	v_or_b32_e32 v15, v66, v20
	v_cmp_lt_u32_e32 vcc_lo, v15, v128
	v_mov_b32_e32 v15, -1
	s_and_saveexec_b32 s1, vcc_lo
	s_cbranch_execz .LBB1744_182
; %bb.181:
	v_mov_b32_e32 v21, 0
	v_lshlrev_b32_e32 v15, 1, v66
	v_add_co_u32 v18, s0, v0, v16
	s_wait_alu 0xf1fe
	v_add_co_ci_u32_e64 v19, null, v1, v17, s0
	v_lshlrev_b64_e32 v[0:1], 1, v[20:21]
	s_delay_alu instid0(VALU_DEP_3) | instskip(SKIP_1) | instid1(VALU_DEP_3)
	v_add_co_u32 v15, s0, v18, v15
	s_wait_alu 0xf1ff
	v_add_co_ci_u32_e64 v18, null, 0, v19, s0
	s_delay_alu instid0(VALU_DEP_2) | instskip(SKIP_1) | instid1(VALU_DEP_2)
	v_add_co_u32 v0, s0, v15, v0
	s_wait_alu 0xf1ff
	v_add_co_ci_u32_e64 v1, null, v18, v1, s0
	flat_load_u16 v15, v[0:1]
.LBB1744_182:
	s_wait_alu 0xfffe
	s_or_b32 exec_lo, exec_lo, s1
	v_lshlrev_b64_e32 v[0:1], 3, v[8:9]
                                        ; implicit-def: $vgpr18_vgpr19
	s_and_saveexec_b32 s0, vcc_lo
	s_cbranch_execz .LBB1744_184
; %bb.183:
	v_dual_mov_b32 v21, 0 :: v_dual_lshlrev_b32 v8, 3, v66
	s_delay_alu instid0(VALU_DEP_2) | instskip(SKIP_2) | instid1(VALU_DEP_3)
	v_add_co_u32 v9, vcc_lo, v4, v0
	s_wait_alu 0xfffd
	v_add_co_ci_u32_e64 v18, null, v5, v1, vcc_lo
	v_lshlrev_b64_e32 v[4:5], 3, v[20:21]
	s_delay_alu instid0(VALU_DEP_3) | instskip(SKIP_1) | instid1(VALU_DEP_3)
	v_add_co_u32 v8, vcc_lo, v9, v8
	s_wait_alu 0xfffd
	v_add_co_ci_u32_e64 v9, null, 0, v18, vcc_lo
	s_delay_alu instid0(VALU_DEP_2) | instskip(SKIP_1) | instid1(VALU_DEP_2)
	v_add_co_u32 v4, vcc_lo, v8, v4
	s_wait_alu 0xfffd
	v_add_co_ci_u32_e64 v5, null, v9, v5, vcc_lo
	flat_load_b64 v[18:19], v[4:5]
.LBB1744_184:
	s_wait_alu 0xfffe
	s_or_b32 exec_lo, exec_lo, s0
	s_wait_loadcnt_dscnt 0x0
	v_cmp_gt_i16_e32 vcc_lo, 0, v15
	v_lshl_add_u32 v5, v30, 5, v12
	v_sub_co_u32 v20, s2, v66, 1
	s_getpc_b64 s[0:1]
	s_wait_alu 0xfffe
	s_sext_i32_i16 s1, s1
	s_add_co_u32 s0, s0, _ZN7rocprim17ROCPRIM_400000_NS16block_radix_sortI6__halfLj256ELj1ElLj1ELj1ELj8ELNS0_26block_radix_rank_algorithmE2ELNS0_18block_padding_hintE2ELNS0_4arch9wavefront6targetE0EE19radix_bits_per_passE@rel32@lo+12
	s_wait_alu 0xfffe
	s_add_co_ci_u32 s1, s1, _ZN7rocprim17ROCPRIM_400000_NS16block_radix_sortI6__halfLj256ELj1ElLj1ELj1ELj8ELNS0_26block_radix_rank_algorithmE2ELNS0_18block_padding_hintE2ELNS0_4arch9wavefront6targetE0EE19radix_bits_per_passE@rel32@hi+24
	s_wait_alu 0xfffd
	v_cndmask_b32_e64 v4, 0x7fff, 0, vcc_lo
	v_add_nc_u32_e32 v22, 36, v5
	v_add_nc_u32_e32 v23, 40, v5
	;; [unrolled: 1-line block ×4, first 2 shown]
	v_xor_b32_e32 v39, v4, v15
	v_add_nc_u32_e32 v15, 32, v5
	v_add_nc_u32_e32 v26, 52, v5
	;; [unrolled: 1-line block ×4, first 2 shown]
	v_and_b32_e32 v5, 0x3e0, v30
	v_and_b32_e32 v4, 15, v66
	s_load_b32 s14, s[0:1], 0x0
	v_and_b32_e32 v9, 16, v66
	v_cmp_gt_i32_e64 s5, 0, v20
	v_min_u32_e32 v8, 0xe0, v5
	v_cmp_eq_u32_e32 vcc_lo, 0, v4
	v_cmp_lt_u32_e64 s0, 1, v4
	v_cmp_lt_u32_e64 s1, 3, v4
	;; [unrolled: 1-line block ×3, first 2 shown]
	v_or_b32_e32 v4, 31, v8
	v_lshrrev_b32_e32 v8, 3, v30
	v_cmp_eq_u32_e64 s4, 0, v9
	s_wait_alu 0xf1ff
	v_cndmask_b32_e64 v9, v20, v66, s5
	v_lshrrev_b32_e32 v29, 5, v14
	v_cmp_eq_u32_e64 s5, v30, v4
	v_and_b32_e32 v4, 0x7c, v8
	v_or_b32_e32 v8, v66, v5
	v_cmp_gt_u32_e64 s6, 8, v30
	v_cmp_lt_u32_e64 s7, 31, v30
	v_lshlrev_b32_e32 v31, 2, v9
	v_add_nc_u32_e32 v32, v12, v4
	v_and_b32_e32 v4, 7, v66
	v_lshl_add_u32 v34, v8, 1, v12
	v_mul_u32_u24_e32 v8, 6, v8
	v_cmp_eq_u32_e64 s8, 0, v30
	v_mov_b32_e32 v5, 0
	v_lshl_add_u32 v33, v30, 2, v12
	v_cmp_eq_u32_e64 s9, 0, v4
	v_cmp_lt_u32_e64 s10, 1, v4
	v_cmp_lt_u32_e64 s11, 3, v4
	v_add_nc_u32_e32 v35, -4, v32
	v_add_nc_u32_e32 v36, v34, v8
	v_sub_nc_u32_e32 v37, v11, v10
	s_mov_b32 s15, 0
	s_wait_storecnt 0x0
	s_barrier_signal -1
	s_barrier_wait -1
	global_inv scope:SCOPE_SE
	s_branch .LBB1744_186
.LBB1744_185:                           ;   in Loop: Header=BB1744_186 Depth=1
	s_wait_alu 0xfffe
	s_or_b32 exec_lo, exec_lo, s13
	s_delay_alu instid0(SALU_CYCLE_1)
	s_and_b32 s12, exec_lo, s17
	s_wait_alu 0xfffe
	s_or_b32 s15, s12, s15
	s_wait_alu 0xfffe
	s_and_not1_b32 exec_lo, exec_lo, s15
	s_cbranch_execz .LBB1744_196
.LBB1744_186:                           ; =>This Inner Loop Header: Depth=1
	v_mov_b32_e32 v38, v39
	s_wait_kmcnt 0x0
	v_min_u32_e32 v8, s14, v37
	ds_store_b32 v15, v5
	ds_store_b32 v22, v5
	;; [unrolled: 1-line block ×6, first 2 shown]
	v_cmp_ne_u16_e64 s12, 0x8000, v38
	ds_store_b32 v27, v5
	ds_store_b32 v28, v5
	s_wait_loadcnt_dscnt 0x0
	s_barrier_signal -1
	s_barrier_wait -1
	s_wait_alu 0xf1ff
	v_cndmask_b32_e64 v4, 0x7fff, v38, s12
	global_inv scope:SCOPE_SE
	; wave barrier
	v_and_b32_e32 v4, 0xffff, v4
	s_delay_alu instid0(VALU_DEP_1) | instskip(NEXT) | instid1(VALU_DEP_1)
	v_lshrrev_b32_e32 v4, v10, v4
	v_bfe_u32 v4, v4, 0, v8
	s_delay_alu instid0(VALU_DEP_1)
	v_and_b32_e32 v8, 1, v4
	v_lshlrev_b32_e32 v9, 30, v4
	v_lshlrev_b32_e32 v20, 29, v4
	;; [unrolled: 1-line block ×4, first 2 shown]
	v_add_co_u32 v8, s12, v8, -1
	s_wait_alu 0xf1ff
	v_cndmask_b32_e64 v39, 0, 1, s12
	v_not_b32_e32 v51, v9
	v_cmp_gt_i32_e64 s13, 0, v9
	v_not_b32_e32 v9, v20
	v_lshlrev_b32_e32 v49, 26, v4
	v_cmp_ne_u32_e64 s12, 0, v39
	v_ashrrev_i32_e32 v51, 31, v51
	v_lshlrev_b32_e32 v50, 25, v4
	v_ashrrev_i32_e32 v9, 31, v9
	v_lshlrev_b32_e32 v39, 24, v4
	s_wait_alu 0xf1ff
	v_xor_b32_e32 v8, s12, v8
	v_cmp_gt_i32_e64 s12, 0, v20
	v_not_b32_e32 v20, v21
	v_xor_b32_e32 v51, s13, v51
	v_cmp_gt_i32_e64 s13, 0, v21
	v_and_b32_e32 v8, exec_lo, v8
	v_not_b32_e32 v21, v48
	v_ashrrev_i32_e32 v20, 31, v20
	s_wait_alu 0xf1ff
	v_xor_b32_e32 v9, s12, v9
	v_cmp_gt_i32_e64 s12, 0, v48
	v_and_b32_e32 v8, v8, v51
	v_not_b32_e32 v48, v49
	v_ashrrev_i32_e32 v21, 31, v21
	v_xor_b32_e32 v20, s13, v20
	v_cmp_gt_i32_e64 s13, 0, v49
	v_and_b32_e32 v8, v8, v9
	v_not_b32_e32 v9, v50
	v_ashrrev_i32_e32 v48, 31, v48
	s_wait_alu 0xf1ff
	v_xor_b32_e32 v21, s12, v21
	v_cmp_gt_i32_e64 s12, 0, v50
	v_and_b32_e32 v8, v8, v20
	v_not_b32_e32 v20, v39
	v_ashrrev_i32_e32 v49, 31, v9
	v_xor_b32_e32 v48, s13, v48
	v_cmp_gt_i32_e64 s13, 0, v39
	v_dual_mov_b32 v8, v18 :: v_dual_and_b32 v21, v8, v21
	v_mov_b32_e32 v9, v19
	v_ashrrev_i32_e32 v18, 31, v20
	s_wait_alu 0xf1ff
	v_xor_b32_e32 v19, s12, v49
	v_and_b32_e32 v20, v21, v48
	v_lshlrev_b32_e32 v4, 3, v4
	v_xor_b32_e32 v18, s13, v18
	s_delay_alu instid0(VALU_DEP_3) | instskip(NEXT) | instid1(VALU_DEP_1)
	v_and_b32_e32 v19, v20, v19
	v_and_b32_e32 v19, v19, v18
	s_delay_alu instid0(VALU_DEP_4) | instskip(NEXT) | instid1(VALU_DEP_2)
	v_add_lshl_u32 v18, v4, v29, 2
	v_mbcnt_lo_u32_b32 v4, v19, 0
	s_delay_alu instid0(VALU_DEP_2) | instskip(SKIP_1) | instid1(VALU_DEP_3)
	v_add_co_u32 v18, null, v12, v18
	v_cmp_ne_u32_e64 s13, 0, v19
	v_cmp_eq_u32_e64 s12, 0, v4
	s_delay_alu instid0(VALU_DEP_3)
	v_add_co_u32 v18, null, v18, 32
	s_and_b32 s13, s13, s12
	s_wait_alu 0xfffe
	s_and_saveexec_b32 s12, s13
; %bb.187:                              ;   in Loop: Header=BB1744_186 Depth=1
	v_bcnt_u32_b32 v19, v19, 0
	ds_store_b32 v18, v19
; %bb.188:                              ;   in Loop: Header=BB1744_186 Depth=1
	s_wait_alu 0xfffe
	s_or_b32 exec_lo, exec_lo, s12
	; wave barrier
	s_wait_loadcnt_dscnt 0x0
	s_barrier_signal -1
	s_barrier_wait -1
	global_inv scope:SCOPE_SE
	ds_load_b32 v20, v15
	ds_load_b32 v21, v22
	;; [unrolled: 1-line block ×8, first 2 shown]
	s_wait_dscnt 0x6
	v_add_nc_u32_e32 v52, v21, v20
	s_wait_dscnt 0x4
	s_delay_alu instid0(VALU_DEP_1) | instskip(SKIP_1) | instid1(VALU_DEP_1)
	v_add3_u32 v52, v52, v39, v48
	s_wait_dscnt 0x2
	v_add3_u32 v52, v52, v49, v50
	s_wait_dscnt 0x0
	s_delay_alu instid0(VALU_DEP_1) | instskip(NEXT) | instid1(VALU_DEP_1)
	v_add3_u32 v51, v52, v19, v51
	v_mov_b32_dpp v52, v51 row_shr:1 row_mask:0xf bank_mask:0xf
	s_wait_alu 0xfffd
	s_delay_alu instid0(VALU_DEP_1) | instskip(NEXT) | instid1(VALU_DEP_1)
	v_cndmask_b32_e64 v52, v52, 0, vcc_lo
	v_add_nc_u32_e32 v51, v52, v51
	s_delay_alu instid0(VALU_DEP_1) | instskip(NEXT) | instid1(VALU_DEP_1)
	v_mov_b32_dpp v52, v51 row_shr:2 row_mask:0xf bank_mask:0xf
	v_cndmask_b32_e64 v52, 0, v52, s0
	s_delay_alu instid0(VALU_DEP_1) | instskip(NEXT) | instid1(VALU_DEP_1)
	v_add_nc_u32_e32 v51, v51, v52
	v_mov_b32_dpp v52, v51 row_shr:4 row_mask:0xf bank_mask:0xf
	s_delay_alu instid0(VALU_DEP_1) | instskip(NEXT) | instid1(VALU_DEP_1)
	v_cndmask_b32_e64 v52, 0, v52, s1
	v_add_nc_u32_e32 v51, v51, v52
	s_delay_alu instid0(VALU_DEP_1) | instskip(NEXT) | instid1(VALU_DEP_1)
	v_mov_b32_dpp v52, v51 row_shr:8 row_mask:0xf bank_mask:0xf
	v_cndmask_b32_e64 v52, 0, v52, s3
	s_delay_alu instid0(VALU_DEP_1) | instskip(SKIP_3) | instid1(VALU_DEP_1)
	v_add_nc_u32_e32 v51, v51, v52
	ds_swizzle_b32 v52, v51 offset:swizzle(BROADCAST,32,15)
	s_wait_dscnt 0x0
	v_cndmask_b32_e64 v52, v52, 0, s4
	v_add_nc_u32_e32 v51, v51, v52
	s_and_saveexec_b32 s12, s5
; %bb.189:                              ;   in Loop: Header=BB1744_186 Depth=1
	ds_store_b32 v32, v51
; %bb.190:                              ;   in Loop: Header=BB1744_186 Depth=1
	s_wait_alu 0xfffe
	s_or_b32 exec_lo, exec_lo, s12
	s_wait_loadcnt_dscnt 0x0
	s_barrier_signal -1
	s_barrier_wait -1
	global_inv scope:SCOPE_SE
	s_and_saveexec_b32 s12, s6
	s_cbranch_execz .LBB1744_192
; %bb.191:                              ;   in Loop: Header=BB1744_186 Depth=1
	ds_load_b32 v52, v33
	s_wait_dscnt 0x0
	v_mov_b32_dpp v53, v52 row_shr:1 row_mask:0xf bank_mask:0xf
	s_delay_alu instid0(VALU_DEP_1) | instskip(NEXT) | instid1(VALU_DEP_1)
	v_cndmask_b32_e64 v53, v53, 0, s9
	v_add_nc_u32_e32 v52, v53, v52
	s_delay_alu instid0(VALU_DEP_1) | instskip(NEXT) | instid1(VALU_DEP_1)
	v_mov_b32_dpp v53, v52 row_shr:2 row_mask:0xf bank_mask:0xf
	v_cndmask_b32_e64 v53, 0, v53, s10
	s_delay_alu instid0(VALU_DEP_1) | instskip(NEXT) | instid1(VALU_DEP_1)
	v_add_nc_u32_e32 v52, v52, v53
	v_mov_b32_dpp v53, v52 row_shr:4 row_mask:0xf bank_mask:0xf
	s_delay_alu instid0(VALU_DEP_1) | instskip(NEXT) | instid1(VALU_DEP_1)
	v_cndmask_b32_e64 v53, 0, v53, s11
	v_add_nc_u32_e32 v52, v52, v53
	ds_store_b32 v33, v52
.LBB1744_192:                           ;   in Loop: Header=BB1744_186 Depth=1
	s_wait_alu 0xfffe
	s_or_b32 exec_lo, exec_lo, s12
	v_mov_b32_e32 v52, 0
	s_wait_loadcnt_dscnt 0x0
	s_barrier_signal -1
	s_barrier_wait -1
	global_inv scope:SCOPE_SE
	s_and_saveexec_b32 s12, s7
; %bb.193:                              ;   in Loop: Header=BB1744_186 Depth=1
	ds_load_b32 v52, v35
; %bb.194:                              ;   in Loop: Header=BB1744_186 Depth=1
	s_wait_alu 0xfffe
	s_or_b32 exec_lo, exec_lo, s12
	s_wait_dscnt 0x0
	v_add_nc_u32_e32 v51, v52, v51
	v_add_nc_u32_e32 v10, 8, v10
	s_mov_b32 s17, -1
	ds_bpermute_b32 v51, v31, v51
	s_wait_dscnt 0x0
	v_cndmask_b32_e64 v51, v51, v52, s2
	s_delay_alu instid0(VALU_DEP_1) | instskip(NEXT) | instid1(VALU_DEP_1)
	v_cndmask_b32_e64 v51, v51, 0, s8
	v_add_nc_u32_e32 v20, v51, v20
	s_delay_alu instid0(VALU_DEP_1) | instskip(SKIP_4) | instid1(VALU_DEP_1)
	v_add_nc_u32_e32 v21, v20, v21
	ds_store_b32 v15, v51
	ds_store_b32 v22, v20
	;; [unrolled: 1-line block ×3, first 2 shown]
	v_add_nc_u32_e32 v39, v21, v39
	v_add_nc_u32_e32 v48, v39, v48
	s_delay_alu instid0(VALU_DEP_1) | instskip(NEXT) | instid1(VALU_DEP_1)
	v_add_nc_u32_e32 v49, v48, v49
	v_add_nc_u32_e32 v50, v49, v50
	s_delay_alu instid0(VALU_DEP_1)
	v_add_nc_u32_e32 v19, v50, v19
	ds_store_b32 v24, v39
	ds_store_b32 v25, v48
	;; [unrolled: 1-line block ×5, first 2 shown]
	s_wait_loadcnt_dscnt 0x0
	s_barrier_signal -1
	s_barrier_wait -1
	global_inv scope:SCOPE_SE
	ds_load_b32 v18, v18
                                        ; implicit-def: $vgpr39
	s_wait_loadcnt_dscnt 0x0
	v_add_nc_u32_e32 v4, v18, v4
	s_delay_alu instid0(VALU_DEP_1) | instskip(NEXT) | instid1(VALU_DEP_1)
	v_lshlrev_b64_e32 v[18:19], 1, v[4:5]
	v_add_co_u32 v20, s13, v12, v18
	s_wait_alu 0xf1ff
	s_delay_alu instid0(VALU_DEP_2)
	v_add_co_ci_u32_e64 v21, null, v13, v19, s13
	s_mov_b32 s13, exec_lo
                                        ; implicit-def: $vgpr18_vgpr19
	v_cmpx_lt_u32_e64 v10, v11
	s_cbranch_execz .LBB1744_185
; %bb.195:                              ;   in Loop: Header=BB1744_186 Depth=1
	v_mad_co_u64_u32 v[18:19], null, v4, 6, v[20:21]
	s_barrier_signal -1
	s_barrier_wait -1
	global_inv scope:SCOPE_SE
	ds_store_b16 v20, v38
	s_wait_loadcnt_dscnt 0x0
	s_barrier_signal -1
	s_barrier_wait -1
	global_inv scope:SCOPE_SE
	ds_load_u16 v39, v34
	s_wait_loadcnt_dscnt 0x0
	s_barrier_signal -1
	s_barrier_wait -1
	global_inv scope:SCOPE_SE
	ds_store_b64 v18, v[8:9]
	s_wait_loadcnt_dscnt 0x0
	s_barrier_signal -1
	s_barrier_wait -1
	global_inv scope:SCOPE_SE
	ds_load_b64 v[18:19], v36
	v_add_nc_u32_e32 v37, -8, v37
	s_xor_b32 s17, exec_lo, -1
	s_wait_loadcnt_dscnt 0x0
	s_barrier_signal -1
	s_barrier_wait -1
	global_inv scope:SCOPE_SE
	s_branch .LBB1744_185
.LBB1744_196:
	s_or_b32 exec_lo, exec_lo, s15
	v_mad_co_u64_u32 v[4:5], null, v4, 6, v[20:21]
	v_lshl_add_u32 v11, v30, 1, v12
	v_mul_u32_u24_e32 v5, 6, v30
	s_barrier_signal -1
	s_barrier_wait -1
	s_wait_loadcnt 0x0
	global_inv scope:SCOPE_SE
	ds_store_b16 v20, v38
	s_wait_loadcnt_dscnt 0x0
	s_barrier_signal -1
	s_barrier_wait -1
	global_inv scope:SCOPE_SE
	ds_load_u16 v10, v11
	s_wait_loadcnt_dscnt 0x0
	s_barrier_signal -1
	s_barrier_wait -1
	global_inv scope:SCOPE_SE
	ds_store_b64 v4, v[8:9]
	v_add_nc_u32_e32 v4, v11, v5
	s_wait_loadcnt_dscnt 0x0
	s_barrier_signal -1
	s_barrier_wait -1
	global_inv scope:SCOPE_SE
	ds_load_b64 v[4:5], v4
	s_mov_b32 s0, exec_lo
	s_wait_loadcnt_dscnt 0x0
	s_barrier_signal -1
	s_barrier_wait -1
	global_inv scope:SCOPE_SE
	v_cmpx_lt_u32_e64 v14, v128
	s_cbranch_execz .LBB1744_198
; %bb.197:
	v_add_co_u32 v8, vcc_lo, v6, v0
	v_mov_b32_e32 v15, 0
	s_wait_alu 0xfffd
	v_add_co_ci_u32_e64 v9, null, v7, v1, vcc_lo
	v_cmp_gt_i16_e32 vcc_lo, 0, v10
	s_delay_alu instid0(VALU_DEP_3)
	v_lshlrev_b64_e32 v[6:7], 1, v[14:15]
	v_lshlrev_b64_e32 v[0:1], 3, v[14:15]
	s_wait_alu 0xfffd
	v_cndmask_b32_e64 v11, 0x7fff, 0, vcc_lo
	v_add_co_u32 v2, vcc_lo, v2, v16
	s_wait_alu 0xfffd
	v_add_co_ci_u32_e64 v3, null, v3, v17, vcc_lo
	s_delay_alu instid0(VALU_DEP_3) | instskip(NEXT) | instid1(VALU_DEP_3)
	v_xor_b32_e32 v10, v11, v10
	v_add_co_u32 v2, vcc_lo, v2, v6
	s_wait_alu 0xfffd
	s_delay_alu instid0(VALU_DEP_3)
	v_add_co_ci_u32_e64 v3, null, v3, v7, vcc_lo
	v_add_co_u32 v0, vcc_lo, v8, v0
	s_wait_alu 0xfffd
	v_add_co_ci_u32_e64 v1, null, v9, v1, vcc_lo
	flat_store_b16 v[2:3], v10
	flat_store_b64 v[0:1], v[4:5]
.LBB1744_198:
	s_wait_alu 0xfffe
	s_or_b32 exec_lo, exec_lo, s0
.LBB1744_199:
	s_wait_alu 0xfffe
	s_or_b32 exec_lo, exec_lo, s16
	s_wait_loadcnt_dscnt 0x0
	s_setpc_b64 s[30:31]
.Lfunc_end1744:
	.size	_ZN7rocprim17ROCPRIM_400000_NS6detail40segmented_radix_sort_single_block_helperI6__halflLj256ELj8ELb1EE4sortIPKS3_PS3_PKlPlEEbT_T0_T1_T2_jjjjRNS4_12storage_typeE, .Lfunc_end1744-_ZN7rocprim17ROCPRIM_400000_NS6detail40segmented_radix_sort_single_block_helperI6__halflLj256ELj8ELb1EE4sortIPKS3_PS3_PKlPlEEbT_T0_T1_T2_jjjjRNS4_12storage_typeE
                                        ; -- End function
	.set .L_ZN7rocprim17ROCPRIM_400000_NS6detail40segmented_radix_sort_single_block_helperI6__halflLj256ELj8ELb1EE4sortIPKS3_PS3_PKlPlEEbT_T0_T1_T2_jjjjRNS4_12storage_typeE.num_vgpr, 198
	.set .L_ZN7rocprim17ROCPRIM_400000_NS6detail40segmented_radix_sort_single_block_helperI6__halflLj256ELj8ELb1EE4sortIPKS3_PS3_PKlPlEEbT_T0_T1_T2_jjjjRNS4_12storage_typeE.num_agpr, 0
	.set .L_ZN7rocprim17ROCPRIM_400000_NS6detail40segmented_radix_sort_single_block_helperI6__halflLj256ELj8ELb1EE4sortIPKS3_PS3_PKlPlEEbT_T0_T1_T2_jjjjRNS4_12storage_typeE.numbered_sgpr, 32
	.set .L_ZN7rocprim17ROCPRIM_400000_NS6detail40segmented_radix_sort_single_block_helperI6__halflLj256ELj8ELb1EE4sortIPKS3_PS3_PKlPlEEbT_T0_T1_T2_jjjjRNS4_12storage_typeE.num_named_barrier, 0
	.set .L_ZN7rocprim17ROCPRIM_400000_NS6detail40segmented_radix_sort_single_block_helperI6__halflLj256ELj8ELb1EE4sortIPKS3_PS3_PKlPlEEbT_T0_T1_T2_jjjjRNS4_12storage_typeE.private_seg_size, 0
	.set .L_ZN7rocprim17ROCPRIM_400000_NS6detail40segmented_radix_sort_single_block_helperI6__halflLj256ELj8ELb1EE4sortIPKS3_PS3_PKlPlEEbT_T0_T1_T2_jjjjRNS4_12storage_typeE.uses_vcc, 1
	.set .L_ZN7rocprim17ROCPRIM_400000_NS6detail40segmented_radix_sort_single_block_helperI6__halflLj256ELj8ELb1EE4sortIPKS3_PS3_PKlPlEEbT_T0_T1_T2_jjjjRNS4_12storage_typeE.uses_flat_scratch, 0
	.set .L_ZN7rocprim17ROCPRIM_400000_NS6detail40segmented_radix_sort_single_block_helperI6__halflLj256ELj8ELb1EE4sortIPKS3_PS3_PKlPlEEbT_T0_T1_T2_jjjjRNS4_12storage_typeE.has_dyn_sized_stack, 0
	.set .L_ZN7rocprim17ROCPRIM_400000_NS6detail40segmented_radix_sort_single_block_helperI6__halflLj256ELj8ELb1EE4sortIPKS3_PS3_PKlPlEEbT_T0_T1_T2_jjjjRNS4_12storage_typeE.has_recursion, 0
	.set .L_ZN7rocprim17ROCPRIM_400000_NS6detail40segmented_radix_sort_single_block_helperI6__halflLj256ELj8ELb1EE4sortIPKS3_PS3_PKlPlEEbT_T0_T1_T2_jjjjRNS4_12storage_typeE.has_indirect_call, 0
	.section	.AMDGPU.csdata,"",@progbits
; Function info:
; codeLenInByte = 19148
; TotalNumSgprs: 34
; NumVgprs: 198
; ScratchSize: 0
; MemoryBound: 1
	.section	.text._ZN7rocprim17ROCPRIM_400000_NS6detail17trampoline_kernelINS0_14default_configENS1_36segmented_radix_sort_config_selectorI6__halflEEZNS1_25segmented_radix_sort_implIS3_Lb1EPKS5_PS5_PKlPlN2at6native12_GLOBAL__N_18offset_tEEE10hipError_tPvRmT1_PNSt15iterator_traitsISL_E10value_typeET2_T3_PNSM_ISR_E10value_typeET4_jRbjT5_SX_jjP12ihipStream_tbEUlT_E_NS1_11comp_targetILNS1_3genE10ELNS1_11target_archE1201ELNS1_3gpuE5ELNS1_3repE0EEENS1_30default_config_static_selectorELNS0_4arch9wavefront6targetE0EEEvSL_,"axG",@progbits,_ZN7rocprim17ROCPRIM_400000_NS6detail17trampoline_kernelINS0_14default_configENS1_36segmented_radix_sort_config_selectorI6__halflEEZNS1_25segmented_radix_sort_implIS3_Lb1EPKS5_PS5_PKlPlN2at6native12_GLOBAL__N_18offset_tEEE10hipError_tPvRmT1_PNSt15iterator_traitsISL_E10value_typeET2_T3_PNSM_ISR_E10value_typeET4_jRbjT5_SX_jjP12ihipStream_tbEUlT_E_NS1_11comp_targetILNS1_3genE10ELNS1_11target_archE1201ELNS1_3gpuE5ELNS1_3repE0EEENS1_30default_config_static_selectorELNS0_4arch9wavefront6targetE0EEEvSL_,comdat
	.globl	_ZN7rocprim17ROCPRIM_400000_NS6detail17trampoline_kernelINS0_14default_configENS1_36segmented_radix_sort_config_selectorI6__halflEEZNS1_25segmented_radix_sort_implIS3_Lb1EPKS5_PS5_PKlPlN2at6native12_GLOBAL__N_18offset_tEEE10hipError_tPvRmT1_PNSt15iterator_traitsISL_E10value_typeET2_T3_PNSM_ISR_E10value_typeET4_jRbjT5_SX_jjP12ihipStream_tbEUlT_E_NS1_11comp_targetILNS1_3genE10ELNS1_11target_archE1201ELNS1_3gpuE5ELNS1_3repE0EEENS1_30default_config_static_selectorELNS0_4arch9wavefront6targetE0EEEvSL_ ; -- Begin function _ZN7rocprim17ROCPRIM_400000_NS6detail17trampoline_kernelINS0_14default_configENS1_36segmented_radix_sort_config_selectorI6__halflEEZNS1_25segmented_radix_sort_implIS3_Lb1EPKS5_PS5_PKlPlN2at6native12_GLOBAL__N_18offset_tEEE10hipError_tPvRmT1_PNSt15iterator_traitsISL_E10value_typeET2_T3_PNSM_ISR_E10value_typeET4_jRbjT5_SX_jjP12ihipStream_tbEUlT_E_NS1_11comp_targetILNS1_3genE10ELNS1_11target_archE1201ELNS1_3gpuE5ELNS1_3repE0EEENS1_30default_config_static_selectorELNS0_4arch9wavefront6targetE0EEEvSL_
	.p2align	8
	.type	_ZN7rocprim17ROCPRIM_400000_NS6detail17trampoline_kernelINS0_14default_configENS1_36segmented_radix_sort_config_selectorI6__halflEEZNS1_25segmented_radix_sort_implIS3_Lb1EPKS5_PS5_PKlPlN2at6native12_GLOBAL__N_18offset_tEEE10hipError_tPvRmT1_PNSt15iterator_traitsISL_E10value_typeET2_T3_PNSM_ISR_E10value_typeET4_jRbjT5_SX_jjP12ihipStream_tbEUlT_E_NS1_11comp_targetILNS1_3genE10ELNS1_11target_archE1201ELNS1_3gpuE5ELNS1_3repE0EEENS1_30default_config_static_selectorELNS0_4arch9wavefront6targetE0EEEvSL_,@function
_ZN7rocprim17ROCPRIM_400000_NS6detail17trampoline_kernelINS0_14default_configENS1_36segmented_radix_sort_config_selectorI6__halflEEZNS1_25segmented_radix_sort_implIS3_Lb1EPKS5_PS5_PKlPlN2at6native12_GLOBAL__N_18offset_tEEE10hipError_tPvRmT1_PNSt15iterator_traitsISL_E10value_typeET2_T3_PNSM_ISR_E10value_typeET4_jRbjT5_SX_jjP12ihipStream_tbEUlT_E_NS1_11comp_targetILNS1_3genE10ELNS1_11target_archE1201ELNS1_3gpuE5ELNS1_3repE0EEENS1_30default_config_static_selectorELNS0_4arch9wavefront6targetE0EEEvSL_: ; @_ZN7rocprim17ROCPRIM_400000_NS6detail17trampoline_kernelINS0_14default_configENS1_36segmented_radix_sort_config_selectorI6__halflEEZNS1_25segmented_radix_sort_implIS3_Lb1EPKS5_PS5_PKlPlN2at6native12_GLOBAL__N_18offset_tEEE10hipError_tPvRmT1_PNSt15iterator_traitsISL_E10value_typeET2_T3_PNSM_ISR_E10value_typeET4_jRbjT5_SX_jjP12ihipStream_tbEUlT_E_NS1_11comp_targetILNS1_3genE10ELNS1_11target_archE1201ELNS1_3gpuE5ELNS1_3repE0EEENS1_30default_config_static_selectorELNS0_4arch9wavefront6targetE0EEEvSL_
; %bb.0:
	s_clause 0x1
	s_load_b64 s[8:9], s[0:1], 0x38
	s_load_b128 s[4:7], s[0:1], 0x40
	s_mov_b32 s2, ttmp9
	s_mov_b32 s3, 0
	s_mov_b32 s32, 0
	s_lshl_b64 s[2:3], s[2:3], 2
	s_wait_kmcnt 0x0
	s_add_nc_u64 s[2:3], s[8:9], s[2:3]
	s_load_b32 s2, s[2:3], 0x0
	s_wait_kmcnt 0x0
	s_add_co_i32 s33, s2, s5
	s_add_co_i32 s34, s2, s7
	s_mul_i32 s33, s33, s4
	s_mul_i32 s34, s34, s6
	s_delay_alu instid0(SALU_CYCLE_1)
	s_cmp_le_u32 s34, s33
	s_cbranch_scc1 .LBB1745_670
; %bb.1:
	s_clause 0x3
	s_load_b32 s2, s[0:1], 0x30
	s_load_b128 s[24:27], s[0:1], 0x20
	s_load_b96 s[44:46], s[0:1], 0x50
	s_load_b256 s[36:43], s[0:1], 0x0
	s_wait_kmcnt 0x0
	s_bitcmp1_b32 s2, 0
	s_mov_b32 s2, -1
	s_cselect_b32 s35, -1, 0
	s_sub_co_i32 s47, s34, s33
	s_delay_alu instid0(SALU_CYCLE_1)
	s_cmp_lt_u32 s47, 0x801
	s_cbranch_scc0 .LBB1745_7
; %bb.2:
	v_cndmask_b32_e64 v1, 0, 1, s35
	s_and_b32 s2, s44, 1
	s_delay_alu instid0(VALU_DEP_1) | instid1(SALU_CYCLE_1)
	v_cmp_ne_u32_e32 vcc_lo, s2, v1
	s_mov_b32 s2, -1
	s_cbranch_vccnz .LBB1745_4
; %bb.3:
	s_mov_b64 s[2:3], src_shared_base
	v_dual_mov_b32 v31, v0 :: v_dual_mov_b32 v40, v0
	v_dual_mov_b32 v0, s36 :: v_dual_mov_b32 v1, s37
	;; [unrolled: 1-line block ×7, first 2 shown]
	s_wait_alu 0xfffe
	v_dual_mov_b32 v12, 0 :: v_dual_mov_b32 v13, s3
	s_add_nc_u64 s[8:9], s[0:1], 0x60
	s_getpc_b64 s[4:5]
	s_sext_i32_i16 s5, s5
	s_add_co_u32 s4, s4, _ZN7rocprim17ROCPRIM_400000_NS6detail40segmented_radix_sort_single_block_helperI6__halflLj256ELj8ELb1EE4sortIPKS3_PS3_PKlPlEEbT_T0_T1_T2_jjjjRNS4_12storage_typeE@rel32@lo+8
	s_add_co_ci_u32 s5, s5, _ZN7rocprim17ROCPRIM_400000_NS6detail40segmented_radix_sort_single_block_helperI6__halflLj256ELj8ELb1EE4sortIPKS3_PS3_PKlPlEEbT_T0_T1_T2_jjjjRNS4_12storage_typeE@rel32@hi+16
	s_mov_b64 s[22:23], s[0:1]
	s_swappc_b64 s[30:31], s[4:5]
	v_mov_b32_e32 v0, v40
	s_mov_b64 s[0:1], s[22:23]
	s_mov_b32 s2, 0
.LBB1745_4:
	s_wait_alu 0xfffe
	s_and_not1_b32 vcc_lo, exec_lo, s2
	s_wait_alu 0xfffe
	s_cbranch_vccnz .LBB1745_6
; %bb.5:
	s_mov_b64 s[2:3], src_shared_base
	v_dual_mov_b32 v31, v0 :: v_dual_mov_b32 v40, v0
	v_dual_mov_b32 v0, s36 :: v_dual_mov_b32 v1, s37
	;; [unrolled: 1-line block ×7, first 2 shown]
	s_wait_alu 0xfffe
	v_dual_mov_b32 v12, 0 :: v_dual_mov_b32 v13, s3
	s_add_nc_u64 s[8:9], s[0:1], 0x60
	s_getpc_b64 s[4:5]
	s_wait_alu 0xfffe
	s_sext_i32_i16 s5, s5
	s_add_co_u32 s4, s4, _ZN7rocprim17ROCPRIM_400000_NS6detail40segmented_radix_sort_single_block_helperI6__halflLj256ELj8ELb1EE4sortIPKS3_PS3_PKlPlEEbT_T0_T1_T2_jjjjRNS4_12storage_typeE@rel32@lo+12
	s_wait_alu 0xfffe
	s_add_co_ci_u32 s5, s5, _ZN7rocprim17ROCPRIM_400000_NS6detail40segmented_radix_sort_single_block_helperI6__halflLj256ELj8ELb1EE4sortIPKS3_PS3_PKlPlEEbT_T0_T1_T2_jjjjRNS4_12storage_typeE@rel32@hi+24
	s_mov_b64 s[22:23], s[0:1]
	s_wait_alu 0xfffe
	s_swappc_b64 s[30:31], s[4:5]
	v_mov_b32_e32 v0, v40
	s_mov_b64 s[0:1], s[22:23]
.LBB1745_6:
	s_mov_b32 s2, 0
.LBB1745_7:
	s_wait_alu 0xfffe
	s_and_not1_b32 vcc_lo, exec_lo, s2
	s_wait_alu 0xfffe
	s_cbranch_vccnz .LBB1745_670
; %bb.8:
	s_cmp_ge_u32 s45, s46
	s_cbranch_scc1 .LBB1745_670
; %bb.9:
	v_dual_mov_b32 v62, 1 :: v_dual_and_b32 v1, 0x3ff, v0
	v_dual_mov_b32 v3, 0 :: v_dual_and_b32 v2, 3, v0
	v_lshrrev_b32_e32 v5, 3, v0
	s_delay_alu instid0(VALU_DEP_3)
	v_lshlrev_b32_e32 v28, 2, v1
	v_or_b32_e32 v6, 31, v1
	v_lshlrev_b32_e32 v4, 1, v1
	v_lshlrev_b32_e32 v39, 2, v2
	;; [unrolled: 1-line block ×3, first 2 shown]
	v_mad_u32_u24 v40, v1, 12, v28
	v_and_b32_e32 v38, 28, v5
	v_lshlrev_b32_e32 v5, 5, v1
	v_cmp_eq_u32_e64 s3, v1, v6
	v_and_b32_e32 v2, 0x700, v2
	v_mad_u32_u24 v43, v1, 20, v40
	v_mbcnt_lo_u32_b32 v59, -1, 0
	v_add_co_u32 v32, s2, s40, v4
	s_delay_alu instid0(VALU_DEP_4) | instskip(NEXT) | instid1(VALU_DEP_4)
	v_lshlrev_b32_e32 v6, 1, v2
	v_sub_nc_u32_e32 v46, v43, v5
	v_lshlrev_b32_e32 v5, 3, v2
	v_lshlrev_b32_e32 v69, 3, v59
	;; [unrolled: 1-line block ×3, first 2 shown]
	v_or_b32_e32 v66, v59, v2
	v_or_b32_e32 v29, 0x100, v1
	v_add_co_u32 v7, s8, s26, v5
	s_wait_alu 0xf1ff
	v_add_co_ci_u32_e64 v8, null, s27, 0, s8
	v_add_co_u32 v9, s8, s40, v6
	s_wait_alu 0xf1ff
	v_add_co_ci_u32_e64 v10, null, s41, 0, s8
	;; [unrolled: 3-line block ×6, first 2 shown]
	v_add_co_u32 v57, s8, s42, v5
	v_add_co_u32 v83, vcc_lo, v7, v69
	s_wait_alu 0xf1ff
	v_add_co_ci_u32_e64 v58, null, s43, 0, s8
	v_add_co_u32 v60, s8, s36, v6
	s_wait_alu 0xfffd
	v_add_co_ci_u32_e64 v84, null, 0, v8, vcc_lo
	v_add_co_u32 v85, vcc_lo, v9, v77
	v_or_b32_e32 v30, 0x200, v1
	v_or_b32_e32 v31, 0x300, v1
	v_add_co_ci_u32_e64 v33, null, s41, 0, s2
	v_or_b32_e32 v34, 0x400, v1
	v_or_b32_e32 v35, 0x500, v1
	;; [unrolled: 1-line block ×4, first 2 shown]
	v_cmp_gt_u32_e64 s2, 0x100, v1
	v_or_b32_e32 v41, 0x4400, v38
	v_cmp_gt_u32_e64 s4, 8, v1
	v_add_nc_u32_e32 v42, 0x4400, v28
	v_cmp_lt_u32_e64 s5, 31, v1
	v_add_nc_u32_e32 v44, 0x43fc, v38
	v_bfe_u32 v45, v0, 20, 10
	v_bfe_u32 v0, v0, 10, 10
	v_cmp_eq_u32_e64 s6, 0, v1
	v_cmp_ne_u32_e64 s7, 0xff, v1
	v_sub_nc_u32_e32 v47, v46, v4
	v_mul_u32_u24_e32 v48, 6, v1
	s_wait_alu 0xf1ff
	v_add_co_ci_u32_e64 v61, null, s37, 0, s8
	v_and_b32_e32 v63, 15, v59
	v_bfe_i32 v64, v59, 4, 1
	v_and_b32_e32 v65, 16, v59
	v_and_b32_e32 v67, 7, v59
	v_sub_co_u32 v68, s8, v59, 1
	v_or_b32_e32 v70, 32, v66
	v_or_b32_e32 v71, 64, v66
	;; [unrolled: 1-line block ×7, first 2 shown]
	v_add_nc_u32_e32 v78, 0x420, v43
	v_add_nc_u32_e32 v79, 0x428, v43
	;; [unrolled: 1-line block ×4, first 2 shown]
	v_lshlrev_b32_e32 v82, 1, v1
	s_wait_alu 0xfffd
	v_add_co_ci_u32_e64 v86, null, 0, v10, vcc_lo
	s_add_nc_u64 s[28:29], s[0:1], 0x60
	s_mov_b32 s31, 0
	s_mov_b32 s23, s45
	s_branch .LBB1745_12
.LBB1745_10:                            ;   in Loop: Header=BB1745_12 Depth=1
	s_wait_loadcnt_dscnt 0x0
	s_barrier_signal -1
	s_barrier_wait -1
.LBB1745_11:                            ;   in Loop: Header=BB1745_12 Depth=1
	s_add_co_i32 s23, s23, 8
	global_inv scope:SCOPE_SE
	s_wait_alu 0xfffe
	s_cmp_ge_u32 s23, s46
	s_cbranch_scc1 .LBB1745_670
.LBB1745_12:                            ; =>This Loop Header: Depth=1
                                        ;     Child Loop BB1745_16 Depth 2
                                        ;     Child Loop BB1745_64 Depth 2
	;; [unrolled: 1-line block ×8, first 2 shown]
	s_wait_alu 0xfffe
	s_sub_co_i32 s0, s46, s23
	s_xor_b32 s35, s35, -1
	s_wait_alu 0xfffe
	s_min_u32 s0, s0, 8
	ds_store_2addr_stride64_b32 v28, v3, v3 offset1:4
	s_wait_alu 0xfffe
	s_lshl_b32 s0, -1, s0
	ds_store_2addr_stride64_b32 v28, v3, v3 offset0:8 offset1:12
	s_wait_alu 0xfffe
	s_not_b32 s42, s0
	s_cmp_lg_u32 s23, s45
	s_mov_b32 s0, -1
	s_wait_storecnt_dscnt 0x0
	s_cbranch_scc0 .LBB1745_342
; %bb.13:                               ;   in Loop: Header=BB1745_12 Depth=1
	s_and_b32 vcc_lo, exec_lo, s35
	s_wait_alu 0xfffe
	s_cbranch_vccz .LBB1745_177
; %bb.14:                               ;   in Loop: Header=BB1745_12 Depth=1
	s_mov_b32 s9, s47
	s_mov_b32 s30, s33
	s_barrier_signal -1
	s_barrier_wait -1
	global_inv scope:SCOPE_SE
                                        ; implicit-def: $vgpr2
                                        ; implicit-def: $vgpr4
                                        ; implicit-def: $vgpr5
                                        ; implicit-def: $vgpr6
                                        ; implicit-def: $vgpr7
                                        ; implicit-def: $vgpr8
                                        ; implicit-def: $vgpr9
                                        ; implicit-def: $vgpr10
	s_branch .LBB1745_16
.LBB1745_15:                            ;   in Loop: Header=BB1745_16 Depth=2
	s_wait_alu 0xfffe
	s_or_b32 exec_lo, exec_lo, s0
	s_addk_co_i32 s9, 0xf800
	s_cmp_ge_u32 s10, s34
	s_mov_b32 s30, s10
	s_cbranch_scc1 .LBB1745_52
.LBB1745_16:                            ;   Parent Loop BB1745_12 Depth=1
                                        ; =>  This Inner Loop Header: Depth=2
	s_wait_alu 0xfffe
	s_add_co_i32 s10, s30, 0x800
	s_mov_b32 s0, -1
	s_wait_alu 0xfffe
	s_cmp_gt_u32 s10, s34
                                        ; implicit-def: $vgpr11
                                        ; implicit-def: $vgpr12
                                        ; implicit-def: $vgpr13
                                        ; implicit-def: $vgpr14
                                        ; implicit-def: $vgpr15
                                        ; implicit-def: $vgpr16
                                        ; implicit-def: $vgpr17
                                        ; implicit-def: $vgpr18
	s_cbranch_scc1 .LBB1745_18
; %bb.17:                               ;   in Loop: Header=BB1745_16 Depth=2
	s_lshl_b64 s[0:1], s[30:31], 1
	s_wait_alu 0xfffe
	v_add_co_u32 v18, vcc_lo, v32, s0
	s_wait_alu 0xfffd
	v_add_co_ci_u32_e64 v19, null, s1, v33, vcc_lo
	s_mov_b32 s0, 0
	s_clause 0x7
	global_load_u16 v11, v[18:19], off
	global_load_u16 v12, v[18:19], off offset:512
	global_load_u16 v13, v[18:19], off offset:1024
	;; [unrolled: 1-line block ×7, first 2 shown]
.LBB1745_18:                            ;   in Loop: Header=BB1745_16 Depth=2
	s_wait_alu 0xfffe
	s_and_not1_b32 vcc_lo, exec_lo, s0
	s_movk_i32 s0, 0x800
	s_wait_alu 0xfffe
	s_cbranch_vccnz .LBB1745_29
; %bb.19:                               ;   in Loop: Header=BB1745_16 Depth=2
	s_lshl_b64 s[0:1], s[30:31], 1
	s_mov_b32 s11, exec_lo
	s_wait_alu 0xfffe
	s_add_nc_u64 s[0:1], s[40:41], s[0:1]
	v_cmpx_gt_u32_e64 s9, v1
	s_cbranch_execnz .LBB1745_45
; %bb.20:                               ;   in Loop: Header=BB1745_16 Depth=2
	s_or_b32 exec_lo, exec_lo, s11
	s_delay_alu instid0(SALU_CYCLE_1)
	s_mov_b32 s11, exec_lo
	v_cmpx_gt_u32_e64 s9, v29
	s_cbranch_execnz .LBB1745_46
.LBB1745_21:                            ;   in Loop: Header=BB1745_16 Depth=2
	s_wait_alu 0xfffe
	s_or_b32 exec_lo, exec_lo, s11
	s_delay_alu instid0(SALU_CYCLE_1)
	s_mov_b32 s11, exec_lo
	v_cmpx_gt_u32_e64 s9, v30
	s_cbranch_execnz .LBB1745_47
.LBB1745_22:                            ;   in Loop: Header=BB1745_16 Depth=2
	s_wait_alu 0xfffe
	s_or_b32 exec_lo, exec_lo, s11
	s_delay_alu instid0(SALU_CYCLE_1)
	s_mov_b32 s11, exec_lo
	v_cmpx_gt_u32_e64 s9, v31
	s_cbranch_execnz .LBB1745_48
.LBB1745_23:                            ;   in Loop: Header=BB1745_16 Depth=2
	s_wait_alu 0xfffe
	s_or_b32 exec_lo, exec_lo, s11
	s_delay_alu instid0(SALU_CYCLE_1)
	s_mov_b32 s11, exec_lo
	v_cmpx_gt_u32_e64 s9, v34
	s_cbranch_execnz .LBB1745_49
.LBB1745_24:                            ;   in Loop: Header=BB1745_16 Depth=2
	s_wait_alu 0xfffe
	s_or_b32 exec_lo, exec_lo, s11
	s_delay_alu instid0(SALU_CYCLE_1)
	s_mov_b32 s11, exec_lo
	v_cmpx_gt_u32_e64 s9, v35
	s_cbranch_execnz .LBB1745_50
.LBB1745_25:                            ;   in Loop: Header=BB1745_16 Depth=2
	s_wait_alu 0xfffe
	s_or_b32 exec_lo, exec_lo, s11
	s_delay_alu instid0(SALU_CYCLE_1)
	s_mov_b32 s11, exec_lo
	v_cmpx_gt_u32_e64 s9, v36
	s_cbranch_execnz .LBB1745_51
.LBB1745_26:                            ;   in Loop: Header=BB1745_16 Depth=2
	s_wait_alu 0xfffe
	s_or_b32 exec_lo, exec_lo, s11
	s_delay_alu instid0(SALU_CYCLE_1)
	s_mov_b32 s11, exec_lo
	v_cmpx_gt_u32_e64 s9, v37
	s_cbranch_execz .LBB1745_28
.LBB1745_27:                            ;   in Loop: Header=BB1745_16 Depth=2
	global_load_u16 v2, v82, s[0:1] offset:3584
.LBB1745_28:                            ;   in Loop: Header=BB1745_16 Depth=2
	s_wait_alu 0xfffe
	s_or_b32 exec_lo, exec_lo, s11
	s_wait_loadcnt 0x0
	v_dual_mov_b32 v11, v10 :: v_dual_mov_b32 v12, v9
	v_dual_mov_b32 v13, v8 :: v_dual_mov_b32 v14, v7
	;; [unrolled: 1-line block ×4, first 2 shown]
	s_mov_b32 s0, s9
.LBB1745_29:                            ;   in Loop: Header=BB1745_16 Depth=2
	s_wait_loadcnt 0x0
	s_delay_alu instid0(VALU_DEP_1) | instskip(NEXT) | instid1(VALU_DEP_2)
	v_dual_mov_b32 v2, v18 :: v_dual_mov_b32 v5, v16
	v_dual_mov_b32 v4, v17 :: v_dual_mov_b32 v7, v14
	v_dual_mov_b32 v6, v15 :: v_dual_mov_b32 v9, v12
	v_mov_b32_e32 v8, v13
	v_mov_b32_e32 v10, v11
	s_mov_b32 s1, exec_lo
	s_wait_alu 0xfffe
	v_cmpx_gt_u32_e64 s0, v1
	s_cbranch_execnz .LBB1745_37
; %bb.30:                               ;   in Loop: Header=BB1745_16 Depth=2
	s_or_b32 exec_lo, exec_lo, s1
	s_delay_alu instid0(SALU_CYCLE_1)
	s_mov_b32 s1, exec_lo
	v_cmpx_gt_u32_e64 s0, v29
	s_cbranch_execnz .LBB1745_38
.LBB1745_31:                            ;   in Loop: Header=BB1745_16 Depth=2
	s_wait_alu 0xfffe
	s_or_b32 exec_lo, exec_lo, s1
	s_delay_alu instid0(SALU_CYCLE_1)
	s_mov_b32 s1, exec_lo
	v_cmpx_gt_u32_e64 s0, v30
	s_cbranch_execnz .LBB1745_39
.LBB1745_32:                            ;   in Loop: Header=BB1745_16 Depth=2
	s_wait_alu 0xfffe
	s_or_b32 exec_lo, exec_lo, s1
	s_delay_alu instid0(SALU_CYCLE_1)
	s_mov_b32 s1, exec_lo
	v_cmpx_gt_u32_e64 s0, v31
	s_cbranch_execnz .LBB1745_40
.LBB1745_33:                            ;   in Loop: Header=BB1745_16 Depth=2
	s_wait_alu 0xfffe
	s_or_b32 exec_lo, exec_lo, s1
	s_delay_alu instid0(SALU_CYCLE_1)
	s_mov_b32 s1, exec_lo
	v_cmpx_gt_u32_e64 s0, v34
	s_cbranch_execnz .LBB1745_41
.LBB1745_34:                            ;   in Loop: Header=BB1745_16 Depth=2
	s_wait_alu 0xfffe
	s_or_b32 exec_lo, exec_lo, s1
	s_delay_alu instid0(SALU_CYCLE_1)
	s_mov_b32 s1, exec_lo
	v_cmpx_gt_u32_e64 s0, v35
	s_cbranch_execnz .LBB1745_42
.LBB1745_35:                            ;   in Loop: Header=BB1745_16 Depth=2
	s_wait_alu 0xfffe
	s_or_b32 exec_lo, exec_lo, s1
	s_delay_alu instid0(SALU_CYCLE_1)
	s_mov_b32 s1, exec_lo
	v_cmpx_gt_u32_e64 s0, v36
	s_cbranch_execnz .LBB1745_43
.LBB1745_36:                            ;   in Loop: Header=BB1745_16 Depth=2
	s_wait_alu 0xfffe
	s_or_b32 exec_lo, exec_lo, s1
	v_cmp_gt_u32_e32 vcc_lo, s0, v37
	s_and_saveexec_b32 s0, vcc_lo
	s_cbranch_execz .LBB1745_15
	s_branch .LBB1745_44
.LBB1745_37:                            ;   in Loop: Header=BB1745_16 Depth=2
	v_cmp_gt_i16_e32 vcc_lo, 0, v10
	s_wait_alu 0xfffd
	v_cndmask_b32_e64 v11, 0x7fff, 0, vcc_lo
	s_delay_alu instid0(VALU_DEP_1) | instskip(NEXT) | instid1(VALU_DEP_1)
	v_xor_b32_e32 v11, v11, v10
	v_cmp_ne_u16_e32 vcc_lo, 0x8000, v11
	s_wait_alu 0xfffd
	v_cndmask_b32_e32 v11, 0x7fff, v11, vcc_lo
	s_delay_alu instid0(VALU_DEP_1) | instskip(NEXT) | instid1(VALU_DEP_1)
	v_and_b32_e32 v11, 0xffff, v11
	v_lshrrev_b32_e32 v11, s23, v11
	s_delay_alu instid0(VALU_DEP_1) | instskip(NEXT) | instid1(VALU_DEP_1)
	v_and_b32_e32 v11, s42, v11
	v_lshl_or_b32 v11, v11, 4, v39
	ds_add_u32 v11, v62
	s_or_b32 exec_lo, exec_lo, s1
	s_delay_alu instid0(SALU_CYCLE_1)
	s_mov_b32 s1, exec_lo
	v_cmpx_gt_u32_e64 s0, v29
	s_cbranch_execz .LBB1745_31
.LBB1745_38:                            ;   in Loop: Header=BB1745_16 Depth=2
	v_cmp_gt_i16_e32 vcc_lo, 0, v9
	s_wait_alu 0xfffd
	v_cndmask_b32_e64 v11, 0x7fff, 0, vcc_lo
	s_delay_alu instid0(VALU_DEP_1) | instskip(NEXT) | instid1(VALU_DEP_1)
	v_xor_b32_e32 v11, v11, v9
	v_cmp_ne_u16_e32 vcc_lo, 0x8000, v11
	s_wait_alu 0xfffd
	v_cndmask_b32_e32 v11, 0x7fff, v11, vcc_lo
	s_delay_alu instid0(VALU_DEP_1) | instskip(NEXT) | instid1(VALU_DEP_1)
	v_and_b32_e32 v11, 0xffff, v11
	v_lshrrev_b32_e32 v11, s23, v11
	s_delay_alu instid0(VALU_DEP_1) | instskip(NEXT) | instid1(VALU_DEP_1)
	v_and_b32_e32 v11, s42, v11
	v_lshl_or_b32 v11, v11, 4, v39
	ds_add_u32 v11, v62
	s_wait_alu 0xfffe
	s_or_b32 exec_lo, exec_lo, s1
	s_delay_alu instid0(SALU_CYCLE_1)
	s_mov_b32 s1, exec_lo
	v_cmpx_gt_u32_e64 s0, v30
	s_cbranch_execz .LBB1745_32
.LBB1745_39:                            ;   in Loop: Header=BB1745_16 Depth=2
	v_cmp_gt_i16_e32 vcc_lo, 0, v8
	s_wait_alu 0xfffd
	v_cndmask_b32_e64 v11, 0x7fff, 0, vcc_lo
	s_delay_alu instid0(VALU_DEP_1) | instskip(NEXT) | instid1(VALU_DEP_1)
	v_xor_b32_e32 v11, v11, v8
	v_cmp_ne_u16_e32 vcc_lo, 0x8000, v11
	s_wait_alu 0xfffd
	v_cndmask_b32_e32 v11, 0x7fff, v11, vcc_lo
	s_delay_alu instid0(VALU_DEP_1) | instskip(NEXT) | instid1(VALU_DEP_1)
	v_and_b32_e32 v11, 0xffff, v11
	v_lshrrev_b32_e32 v11, s23, v11
	s_delay_alu instid0(VALU_DEP_1) | instskip(NEXT) | instid1(VALU_DEP_1)
	v_and_b32_e32 v11, s42, v11
	v_lshl_or_b32 v11, v11, 4, v39
	ds_add_u32 v11, v62
	s_wait_alu 0xfffe
	s_or_b32 exec_lo, exec_lo, s1
	s_delay_alu instid0(SALU_CYCLE_1)
	s_mov_b32 s1, exec_lo
	v_cmpx_gt_u32_e64 s0, v31
	s_cbranch_execz .LBB1745_33
.LBB1745_40:                            ;   in Loop: Header=BB1745_16 Depth=2
	v_cmp_gt_i16_e32 vcc_lo, 0, v7
	s_wait_alu 0xfffd
	v_cndmask_b32_e64 v11, 0x7fff, 0, vcc_lo
	s_delay_alu instid0(VALU_DEP_1) | instskip(NEXT) | instid1(VALU_DEP_1)
	v_xor_b32_e32 v11, v11, v7
	v_cmp_ne_u16_e32 vcc_lo, 0x8000, v11
	s_wait_alu 0xfffd
	v_cndmask_b32_e32 v11, 0x7fff, v11, vcc_lo
	s_delay_alu instid0(VALU_DEP_1) | instskip(NEXT) | instid1(VALU_DEP_1)
	v_and_b32_e32 v11, 0xffff, v11
	v_lshrrev_b32_e32 v11, s23, v11
	s_delay_alu instid0(VALU_DEP_1) | instskip(NEXT) | instid1(VALU_DEP_1)
	v_and_b32_e32 v11, s42, v11
	v_lshl_or_b32 v11, v11, 4, v39
	ds_add_u32 v11, v62
	s_wait_alu 0xfffe
	s_or_b32 exec_lo, exec_lo, s1
	s_delay_alu instid0(SALU_CYCLE_1)
	s_mov_b32 s1, exec_lo
	v_cmpx_gt_u32_e64 s0, v34
	s_cbranch_execz .LBB1745_34
.LBB1745_41:                            ;   in Loop: Header=BB1745_16 Depth=2
	v_cmp_gt_i16_e32 vcc_lo, 0, v6
	s_wait_alu 0xfffd
	v_cndmask_b32_e64 v11, 0x7fff, 0, vcc_lo
	s_delay_alu instid0(VALU_DEP_1) | instskip(NEXT) | instid1(VALU_DEP_1)
	v_xor_b32_e32 v11, v11, v6
	v_cmp_ne_u16_e32 vcc_lo, 0x8000, v11
	s_wait_alu 0xfffd
	v_cndmask_b32_e32 v11, 0x7fff, v11, vcc_lo
	s_delay_alu instid0(VALU_DEP_1) | instskip(NEXT) | instid1(VALU_DEP_1)
	v_and_b32_e32 v11, 0xffff, v11
	v_lshrrev_b32_e32 v11, s23, v11
	s_delay_alu instid0(VALU_DEP_1) | instskip(NEXT) | instid1(VALU_DEP_1)
	v_and_b32_e32 v11, s42, v11
	v_lshl_or_b32 v11, v11, 4, v39
	ds_add_u32 v11, v62
	s_wait_alu 0xfffe
	s_or_b32 exec_lo, exec_lo, s1
	s_delay_alu instid0(SALU_CYCLE_1)
	s_mov_b32 s1, exec_lo
	v_cmpx_gt_u32_e64 s0, v35
	s_cbranch_execz .LBB1745_35
.LBB1745_42:                            ;   in Loop: Header=BB1745_16 Depth=2
	v_cmp_gt_i16_e32 vcc_lo, 0, v5
	s_wait_alu 0xfffd
	v_cndmask_b32_e64 v11, 0x7fff, 0, vcc_lo
	s_delay_alu instid0(VALU_DEP_1) | instskip(NEXT) | instid1(VALU_DEP_1)
	v_xor_b32_e32 v11, v11, v5
	v_cmp_ne_u16_e32 vcc_lo, 0x8000, v11
	s_wait_alu 0xfffd
	v_cndmask_b32_e32 v11, 0x7fff, v11, vcc_lo
	s_delay_alu instid0(VALU_DEP_1) | instskip(NEXT) | instid1(VALU_DEP_1)
	v_and_b32_e32 v11, 0xffff, v11
	v_lshrrev_b32_e32 v11, s23, v11
	s_delay_alu instid0(VALU_DEP_1) | instskip(NEXT) | instid1(VALU_DEP_1)
	v_and_b32_e32 v11, s42, v11
	v_lshl_or_b32 v11, v11, 4, v39
	ds_add_u32 v11, v62
	s_wait_alu 0xfffe
	s_or_b32 exec_lo, exec_lo, s1
	s_delay_alu instid0(SALU_CYCLE_1)
	s_mov_b32 s1, exec_lo
	v_cmpx_gt_u32_e64 s0, v36
	s_cbranch_execz .LBB1745_36
.LBB1745_43:                            ;   in Loop: Header=BB1745_16 Depth=2
	v_cmp_gt_i16_e32 vcc_lo, 0, v4
	s_wait_alu 0xfffd
	v_cndmask_b32_e64 v11, 0x7fff, 0, vcc_lo
	s_delay_alu instid0(VALU_DEP_1) | instskip(NEXT) | instid1(VALU_DEP_1)
	v_xor_b32_e32 v11, v11, v4
	v_cmp_ne_u16_e32 vcc_lo, 0x8000, v11
	s_wait_alu 0xfffd
	v_cndmask_b32_e32 v11, 0x7fff, v11, vcc_lo
	s_delay_alu instid0(VALU_DEP_1) | instskip(NEXT) | instid1(VALU_DEP_1)
	v_and_b32_e32 v11, 0xffff, v11
	v_lshrrev_b32_e32 v11, s23, v11
	s_delay_alu instid0(VALU_DEP_1) | instskip(NEXT) | instid1(VALU_DEP_1)
	v_and_b32_e32 v11, s42, v11
	v_lshl_or_b32 v11, v11, 4, v39
	ds_add_u32 v11, v62
	s_wait_alu 0xfffe
	s_or_b32 exec_lo, exec_lo, s1
	v_cmp_gt_u32_e32 vcc_lo, s0, v37
	s_and_saveexec_b32 s0, vcc_lo
	s_cbranch_execz .LBB1745_15
.LBB1745_44:                            ;   in Loop: Header=BB1745_16 Depth=2
	v_cmp_gt_i16_e32 vcc_lo, 0, v2
	s_wait_alu 0xfffd
	v_cndmask_b32_e64 v11, 0x7fff, 0, vcc_lo
	s_delay_alu instid0(VALU_DEP_1) | instskip(NEXT) | instid1(VALU_DEP_1)
	v_xor_b32_e32 v11, v11, v2
	v_cmp_ne_u16_e32 vcc_lo, 0x8000, v11
	s_wait_alu 0xfffd
	v_cndmask_b32_e32 v11, 0x7fff, v11, vcc_lo
	s_delay_alu instid0(VALU_DEP_1) | instskip(NEXT) | instid1(VALU_DEP_1)
	v_and_b32_e32 v11, 0xffff, v11
	v_lshrrev_b32_e32 v11, s23, v11
	s_delay_alu instid0(VALU_DEP_1) | instskip(NEXT) | instid1(VALU_DEP_1)
	v_and_b32_e32 v11, s42, v11
	v_lshl_or_b32 v11, v11, 4, v39
	ds_add_u32 v11, v62
	s_branch .LBB1745_15
.LBB1745_45:                            ;   in Loop: Header=BB1745_16 Depth=2
	global_load_u16 v10, v82, s[0:1]
	s_or_b32 exec_lo, exec_lo, s11
	s_delay_alu instid0(SALU_CYCLE_1)
	s_mov_b32 s11, exec_lo
	v_cmpx_gt_u32_e64 s9, v29
	s_cbranch_execz .LBB1745_21
.LBB1745_46:                            ;   in Loop: Header=BB1745_16 Depth=2
	global_load_u16 v9, v82, s[0:1] offset:512
	s_wait_alu 0xfffe
	s_or_b32 exec_lo, exec_lo, s11
	s_delay_alu instid0(SALU_CYCLE_1)
	s_mov_b32 s11, exec_lo
	v_cmpx_gt_u32_e64 s9, v30
	s_cbranch_execz .LBB1745_22
.LBB1745_47:                            ;   in Loop: Header=BB1745_16 Depth=2
	global_load_u16 v8, v82, s[0:1] offset:1024
	s_wait_alu 0xfffe
	s_or_b32 exec_lo, exec_lo, s11
	s_delay_alu instid0(SALU_CYCLE_1)
	s_mov_b32 s11, exec_lo
	v_cmpx_gt_u32_e64 s9, v31
	s_cbranch_execz .LBB1745_23
.LBB1745_48:                            ;   in Loop: Header=BB1745_16 Depth=2
	global_load_u16 v7, v82, s[0:1] offset:1536
	s_wait_alu 0xfffe
	s_or_b32 exec_lo, exec_lo, s11
	s_delay_alu instid0(SALU_CYCLE_1)
	s_mov_b32 s11, exec_lo
	v_cmpx_gt_u32_e64 s9, v34
	s_cbranch_execz .LBB1745_24
.LBB1745_49:                            ;   in Loop: Header=BB1745_16 Depth=2
	global_load_u16 v6, v82, s[0:1] offset:2048
	s_wait_alu 0xfffe
	s_or_b32 exec_lo, exec_lo, s11
	s_delay_alu instid0(SALU_CYCLE_1)
	s_mov_b32 s11, exec_lo
	v_cmpx_gt_u32_e64 s9, v35
	s_cbranch_execz .LBB1745_25
.LBB1745_50:                            ;   in Loop: Header=BB1745_16 Depth=2
	global_load_u16 v5, v82, s[0:1] offset:2560
	s_wait_alu 0xfffe
	s_or_b32 exec_lo, exec_lo, s11
	s_delay_alu instid0(SALU_CYCLE_1)
	s_mov_b32 s11, exec_lo
	v_cmpx_gt_u32_e64 s9, v36
	s_cbranch_execz .LBB1745_26
.LBB1745_51:                            ;   in Loop: Header=BB1745_16 Depth=2
	global_load_u16 v4, v82, s[0:1] offset:3072
	s_wait_alu 0xfffe
	s_or_b32 exec_lo, exec_lo, s11
	s_delay_alu instid0(SALU_CYCLE_1)
	s_mov_b32 s11, exec_lo
	v_cmpx_gt_u32_e64 s9, v37
	s_cbranch_execnz .LBB1745_27
	s_branch .LBB1745_28
.LBB1745_52:                            ;   in Loop: Header=BB1745_12 Depth=1
	v_mov_b32_e32 v2, 0
	s_wait_dscnt 0x0
	s_barrier_signal -1
	s_barrier_wait -1
	global_inv scope:SCOPE_SE
	s_and_saveexec_b32 s0, s2
	s_cbranch_execz .LBB1745_54
; %bb.53:                               ;   in Loop: Header=BB1745_12 Depth=1
	ds_load_2addr_b64 v[4:7], v40 offset1:1
	s_wait_dscnt 0x0
	v_add_nc_u32_e32 v2, v5, v4
	s_delay_alu instid0(VALU_DEP_1)
	v_add3_u32 v2, v2, v6, v7
.LBB1745_54:                            ;   in Loop: Header=BB1745_12 Depth=1
	s_wait_alu 0xfffe
	s_or_b32 exec_lo, exec_lo, s0
	s_delay_alu instid0(VALU_DEP_1)
	v_mov_b32_dpp v4, v2 row_shr:1 row_mask:0xf bank_mask:0xf
	v_cmp_eq_u32_e64 s0, 0, v63
	v_cmp_lt_u32_e64 s1, 1, v63
	v_cmp_lt_u32_e64 s9, 3, v63
	;; [unrolled: 1-line block ×3, first 2 shown]
	v_cmp_eq_u32_e64 s11, 0, v65
	s_wait_alu 0xf1ff
	v_cndmask_b32_e64 v4, v4, 0, s0
	s_delay_alu instid0(VALU_DEP_1) | instskip(NEXT) | instid1(VALU_DEP_1)
	v_add_nc_u32_e32 v2, v4, v2
	v_mov_b32_dpp v4, v2 row_shr:2 row_mask:0xf bank_mask:0xf
	s_delay_alu instid0(VALU_DEP_1) | instskip(NEXT) | instid1(VALU_DEP_1)
	v_cndmask_b32_e64 v4, 0, v4, s1
	v_add_nc_u32_e32 v2, v2, v4
	s_delay_alu instid0(VALU_DEP_1) | instskip(NEXT) | instid1(VALU_DEP_1)
	v_mov_b32_dpp v4, v2 row_shr:4 row_mask:0xf bank_mask:0xf
	v_cndmask_b32_e64 v4, 0, v4, s9
	s_delay_alu instid0(VALU_DEP_1) | instskip(NEXT) | instid1(VALU_DEP_1)
	v_add_nc_u32_e32 v2, v2, v4
	v_mov_b32_dpp v4, v2 row_shr:8 row_mask:0xf bank_mask:0xf
	s_delay_alu instid0(VALU_DEP_1) | instskip(NEXT) | instid1(VALU_DEP_1)
	v_cndmask_b32_e64 v4, 0, v4, s10
	v_add_nc_u32_e32 v2, v2, v4
	ds_swizzle_b32 v4, v2 offset:swizzle(BROADCAST,32,15)
	s_wait_dscnt 0x0
	v_and_b32_e32 v4, v64, v4
	s_delay_alu instid0(VALU_DEP_1)
	v_add_nc_u32_e32 v2, v2, v4
	s_and_saveexec_b32 s12, s3
; %bb.55:                               ;   in Loop: Header=BB1745_12 Depth=1
	ds_store_b32 v41, v2
; %bb.56:                               ;   in Loop: Header=BB1745_12 Depth=1
	s_wait_alu 0xfffe
	s_or_b32 exec_lo, exec_lo, s12
	s_wait_loadcnt_dscnt 0x0
	s_barrier_signal -1
	s_barrier_wait -1
	global_inv scope:SCOPE_SE
	s_and_saveexec_b32 s12, s4
	s_cbranch_execz .LBB1745_58
; %bb.57:                               ;   in Loop: Header=BB1745_12 Depth=1
	ds_load_b32 v4, v42
	v_cmp_ne_u32_e32 vcc_lo, 0, v67
	s_wait_dscnt 0x0
	v_mov_b32_dpp v5, v4 row_shr:1 row_mask:0xf bank_mask:0xf
	s_wait_alu 0xfffd
	s_delay_alu instid0(VALU_DEP_1) | instskip(SKIP_1) | instid1(VALU_DEP_2)
	v_cndmask_b32_e32 v5, 0, v5, vcc_lo
	v_cmp_lt_u32_e32 vcc_lo, 1, v67
	v_add_nc_u32_e32 v4, v5, v4
	s_delay_alu instid0(VALU_DEP_1) | instskip(SKIP_1) | instid1(VALU_DEP_1)
	v_mov_b32_dpp v5, v4 row_shr:2 row_mask:0xf bank_mask:0xf
	s_wait_alu 0xfffd
	v_cndmask_b32_e32 v5, 0, v5, vcc_lo
	v_cmp_lt_u32_e32 vcc_lo, 3, v67
	s_delay_alu instid0(VALU_DEP_2) | instskip(NEXT) | instid1(VALU_DEP_1)
	v_add_nc_u32_e32 v4, v4, v5
	v_mov_b32_dpp v5, v4 row_shr:4 row_mask:0xf bank_mask:0xf
	s_wait_alu 0xfffd
	s_delay_alu instid0(VALU_DEP_1) | instskip(NEXT) | instid1(VALU_DEP_1)
	v_cndmask_b32_e32 v5, 0, v5, vcc_lo
	v_add_nc_u32_e32 v4, v4, v5
	ds_store_b32 v42, v4
.LBB1745_58:                            ;   in Loop: Header=BB1745_12 Depth=1
	s_wait_alu 0xfffe
	s_or_b32 exec_lo, exec_lo, s12
	v_mov_b32_e32 v4, 0
	s_wait_loadcnt_dscnt 0x0
	s_barrier_signal -1
	s_barrier_wait -1
	global_inv scope:SCOPE_SE
	s_and_saveexec_b32 s12, s5
; %bb.59:                               ;   in Loop: Header=BB1745_12 Depth=1
	ds_load_b32 v4, v44
; %bb.60:                               ;   in Loop: Header=BB1745_12 Depth=1
	s_wait_alu 0xfffe
	s_or_b32 exec_lo, exec_lo, s12
	v_cmp_gt_i32_e32 vcc_lo, 0, v68
	s_wait_dscnt 0x0
	v_add_nc_u32_e32 v2, v4, v2
	s_wait_loadcnt 0x0
	s_barrier_signal -1
	s_barrier_wait -1
	s_wait_alu 0xfffd
	v_cndmask_b32_e32 v5, v68, v59, vcc_lo
	global_inv scope:SCOPE_SE
	v_lshlrev_b32_e32 v87, 2, v5
	ds_bpermute_b32 v2, v87, v2
	s_and_saveexec_b32 s12, s2
	s_cbranch_execz .LBB1745_62
; %bb.61:                               ;   in Loop: Header=BB1745_12 Depth=1
	s_wait_dscnt 0x0
	v_cndmask_b32_e64 v2, v2, v4, s8
	s_delay_alu instid0(VALU_DEP_1)
	v_add_nc_u32_e32 v2, s33, v2
	ds_store_b32 v28, v2
.LBB1745_62:                            ;   in Loop: Header=BB1745_12 Depth=1
	s_wait_alu 0xfffe
	s_or_b32 exec_lo, exec_lo, s12
	s_clause 0x1
	s_load_b32 s12, s[28:29], 0x4
	s_load_b32 s14, s[28:29], 0xc
	s_mov_b32 s43, s47
                                        ; implicit-def: $vgpr6_vgpr7
                                        ; implicit-def: $vgpr8_vgpr9
                                        ; implicit-def: $vgpr10_vgpr11
                                        ; implicit-def: $vgpr12_vgpr13
                                        ; implicit-def: $vgpr14_vgpr15
                                        ; implicit-def: $vgpr16_vgpr17
                                        ; implicit-def: $vgpr18_vgpr19
                                        ; implicit-def: $vgpr89
                                        ; implicit-def: $vgpr90
                                        ; implicit-def: $vgpr91
                                        ; implicit-def: $vgpr92
                                        ; implicit-def: $vgpr93
                                        ; implicit-def: $vgpr94
                                        ; implicit-def: $vgpr95
                                        ; implicit-def: $vgpr96
	s_wait_kmcnt 0x0
	s_cmp_lt_u32 ttmp7, s12
	s_cselect_b32 s30, 14, 20
	s_wait_alu 0xfffe
	s_add_nc_u64 s[12:13], s[28:29], s[30:31]
	s_mov_b32 s30, s33
	s_load_u16 s12, s[12:13], 0x0
	v_cmp_lt_u32_e64 s13, 1, v67
	s_wait_dscnt 0x0
	s_wait_kmcnt 0x0
	v_mad_u32_u24 v2, v45, s12, v0
	s_and_b32 s12, s14, 0xffff
	v_cmp_lt_u32_e64 s14, 3, v67
	s_wait_alu 0xfffe
	s_delay_alu instid0(VALU_DEP_2) | instskip(SKIP_1) | instid1(VALU_DEP_2)
	v_mad_co_u64_u32 v[4:5], null, v2, s12, v[1:2]
	v_cmp_eq_u32_e64 s12, 0, v67
	v_lshrrev_b32_e32 v2, 3, v4
                                        ; implicit-def: $vgpr4_vgpr5
	s_delay_alu instid0(VALU_DEP_1)
	v_and_b32_e32 v88, 0x1ffffffc, v2
	s_branch .LBB1745_64
.LBB1745_63:                            ;   in Loop: Header=BB1745_64 Depth=2
	s_wait_alu 0xfffe
	s_or_b32 exec_lo, exec_lo, s15
	s_addk_co_i32 s43, 0xf800
	s_cmp_lt_u32 s44, s34
	s_mov_b32 s30, s44
	s_cbranch_scc0 .LBB1745_176
.LBB1745_64:                            ;   Parent Loop BB1745_12 Depth=1
                                        ; =>  This Inner Loop Header: Depth=2
	s_wait_alu 0xfffe
	s_add_co_i32 s44, s30, 0x800
	s_wait_alu 0xfffe
	s_cmp_gt_u32 s44, s34
	s_cbranch_scc1 .LBB1745_66
; %bb.65:                               ;   in Loop: Header=BB1745_64 Depth=2
	s_lshl_b64 s[16:17], s[30:31], 1
	s_mov_b32 s15, -1
	s_wait_alu 0xfffe
	v_add_co_u32 v20, vcc_lo, v85, s16
	s_wait_alu 0xfffd
	v_add_co_ci_u32_e64 v21, null, s17, v86, vcc_lo
	s_clause 0x6
	global_load_u16 v2, v[20:21], off
	global_load_u16 v27, v[20:21], off offset:64
	global_load_u16 v26, v[20:21], off offset:128
	;; [unrolled: 1-line block ×6, first 2 shown]
	s_movk_i32 s16, 0x800
	s_cbranch_execz .LBB1745_67
	s_branch .LBB1745_82
.LBB1745_66:                            ;   in Loop: Header=BB1745_64 Depth=2
	s_mov_b32 s15, 0
                                        ; implicit-def: $vgpr2
                                        ; implicit-def: $vgpr27
                                        ; implicit-def: $vgpr26
                                        ; implicit-def: $vgpr25
                                        ; implicit-def: $vgpr24
                                        ; implicit-def: $vgpr23
                                        ; implicit-def: $vgpr22
	s_movk_i32 s16, 0x800
.LBB1745_67:                            ;   in Loop: Header=BB1745_64 Depth=2
	s_lshl_b64 s[16:17], s[30:31], 1
	s_wait_loadcnt 0x5
	v_dual_mov_b32 v27, -1 :: v_dual_mov_b32 v2, -1
	s_wait_alu 0xfffe
	v_add_co_u32 v20, vcc_lo, v85, s16
	s_wait_alu 0xfffd
	v_add_co_ci_u32_e64 v21, null, s17, v86, vcc_lo
	s_mov_b32 s15, exec_lo
	v_cmpx_gt_u32_e64 s43, v66
	s_cbranch_execz .LBB1745_69
; %bb.68:                               ;   in Loop: Header=BB1745_64 Depth=2
	global_load_u16 v2, v[20:21], off
.LBB1745_69:                            ;   in Loop: Header=BB1745_64 Depth=2
	s_wait_alu 0xfffe
	s_or_b32 exec_lo, exec_lo, s15
	s_delay_alu instid0(SALU_CYCLE_1)
	s_mov_b32 s15, exec_lo
	v_cmpx_gt_u32_e64 s43, v70
	s_cbranch_execz .LBB1745_71
; %bb.70:                               ;   in Loop: Header=BB1745_64 Depth=2
	global_load_u16 v27, v[20:21], off offset:64
.LBB1745_71:                            ;   in Loop: Header=BB1745_64 Depth=2
	s_wait_alu 0xfffe
	s_or_b32 exec_lo, exec_lo, s15
	s_wait_loadcnt 0x3
	v_dual_mov_b32 v25, -1 :: v_dual_mov_b32 v26, -1
	s_mov_b32 s15, exec_lo
	v_cmpx_gt_u32_e64 s43, v71
	s_cbranch_execz .LBB1745_73
; %bb.72:                               ;   in Loop: Header=BB1745_64 Depth=2
	global_load_u16 v26, v[20:21], off offset:128
.LBB1745_73:                            ;   in Loop: Header=BB1745_64 Depth=2
	s_wait_alu 0xfffe
	s_or_b32 exec_lo, exec_lo, s15
	s_delay_alu instid0(SALU_CYCLE_1)
	s_mov_b32 s15, exec_lo
	v_cmpx_gt_u32_e64 s43, v72
	s_cbranch_execz .LBB1745_75
; %bb.74:                               ;   in Loop: Header=BB1745_64 Depth=2
	global_load_u16 v25, v[20:21], off offset:192
.LBB1745_75:                            ;   in Loop: Header=BB1745_64 Depth=2
	s_wait_alu 0xfffe
	s_or_b32 exec_lo, exec_lo, s15
	s_wait_loadcnt 0x1
	v_dual_mov_b32 v23, -1 :: v_dual_mov_b32 v24, -1
	s_mov_b32 s15, exec_lo
	v_cmpx_gt_u32_e64 s43, v73
	s_cbranch_execz .LBB1745_77
; %bb.76:                               ;   in Loop: Header=BB1745_64 Depth=2
	global_load_u16 v24, v[20:21], off offset:256
.LBB1745_77:                            ;   in Loop: Header=BB1745_64 Depth=2
	s_wait_alu 0xfffe
	s_or_b32 exec_lo, exec_lo, s15
	s_delay_alu instid0(SALU_CYCLE_1)
	s_mov_b32 s15, exec_lo
	v_cmpx_gt_u32_e64 s43, v74
	s_cbranch_execz .LBB1745_79
; %bb.78:                               ;   in Loop: Header=BB1745_64 Depth=2
	global_load_u16 v23, v[20:21], off offset:320
.LBB1745_79:                            ;   in Loop: Header=BB1745_64 Depth=2
	s_wait_alu 0xfffe
	s_or_b32 exec_lo, exec_lo, s15
	s_wait_loadcnt 0x0
	v_mov_b32_e32 v22, -1
	s_mov_b32 s15, exec_lo
	v_cmpx_gt_u32_e64 s43, v75
	s_cbranch_execz .LBB1745_81
; %bb.80:                               ;   in Loop: Header=BB1745_64 Depth=2
	global_load_u16 v22, v[20:21], off offset:384
.LBB1745_81:                            ;   in Loop: Header=BB1745_64 Depth=2
	s_wait_alu 0xfffe
	s_or_b32 exec_lo, exec_lo, s15
	v_cmp_gt_u32_e64 s15, s43, v76
	s_sub_co_i32 s16, s34, s30
.LBB1745_82:                            ;   in Loop: Header=BB1745_64 Depth=2
	v_dual_mov_b32 v20, -1 :: v_dual_mov_b32 v97, s43
	s_and_saveexec_b32 s17, s15
	s_cbranch_execz .LBB1745_84
; %bb.83:                               ;   in Loop: Header=BB1745_64 Depth=2
	s_lshl_b64 s[18:19], s[30:31], 1
	s_wait_alu 0xfffe
	v_mov_b32_e32 v97, s16
	v_add_co_u32 v20, vcc_lo, v85, s18
	s_wait_alu 0xfffd
	v_add_co_ci_u32_e64 v21, null, s19, v86, vcc_lo
	global_load_u16 v20, v[20:21], off offset:448
.LBB1745_84:                            ;   in Loop: Header=BB1745_64 Depth=2
	s_wait_alu 0xfffe
	s_or_b32 exec_lo, exec_lo, s17
	s_wait_loadcnt 0x6
	v_cmp_gt_i16_e32 vcc_lo, 0, v2
	ds_store_2addr_b32 v81, v3, v3 offset1:1
	ds_store_2addr_b32 v78, v3, v3 offset1:1
	;; [unrolled: 1-line block ×4, first 2 shown]
	ds_store_b32 v43, v3 offset:1088
	s_wait_loadcnt_dscnt 0x0
	s_barrier_signal -1
	s_wait_alu 0xfffd
	v_cndmask_b32_e64 v21, 0x7fff, 0, vcc_lo
	s_barrier_wait -1
	global_inv scope:SCOPE_SE
	; wave barrier
	v_xor_b32_e32 v2, v21, v2
	s_delay_alu instid0(VALU_DEP_1) | instskip(SKIP_2) | instid1(VALU_DEP_1)
	v_cmp_ne_u16_e32 vcc_lo, 0x8000, v2
	s_wait_alu 0xfffd
	v_cndmask_b32_e32 v21, 0x7fff, v2, vcc_lo
	v_and_b32_e32 v21, 0xffff, v21
	s_delay_alu instid0(VALU_DEP_1) | instskip(NEXT) | instid1(VALU_DEP_1)
	v_lshrrev_b32_e32 v21, s23, v21
	v_and_b32_e32 v99, s42, v21
	s_delay_alu instid0(VALU_DEP_1)
	v_and_b32_e32 v21, 1, v99
	v_lshlrev_b32_e32 v98, 30, v99
	v_lshlrev_b32_e32 v100, 29, v99
	;; [unrolled: 1-line block ×4, first 2 shown]
	v_add_co_u32 v21, s15, v21, -1
	s_wait_alu 0xf1ff
	v_cndmask_b32_e64 v102, 0, 1, s15
	v_not_b32_e32 v106, v98
	v_cmp_gt_i32_e64 s15, 0, v98
	v_not_b32_e32 v98, v100
	v_lshlrev_b32_e32 v104, 26, v99
	v_cmp_ne_u32_e32 vcc_lo, 0, v102
	v_ashrrev_i32_e32 v106, 31, v106
	v_lshlrev_b32_e32 v105, 25, v99
	v_ashrrev_i32_e32 v98, 31, v98
	v_lshlrev_b32_e32 v102, 24, v99
	s_wait_alu 0xfffd
	v_xor_b32_e32 v21, vcc_lo, v21
	v_cmp_gt_i32_e32 vcc_lo, 0, v100
	v_not_b32_e32 v100, v101
	s_wait_alu 0xf1ff
	v_xor_b32_e32 v106, s15, v106
	v_cmp_gt_i32_e64 s15, 0, v101
	v_and_b32_e32 v21, exec_lo, v21
	v_not_b32_e32 v101, v103
	v_ashrrev_i32_e32 v100, 31, v100
	s_wait_alu 0xfffd
	v_xor_b32_e32 v98, vcc_lo, v98
	v_cmp_gt_i32_e32 vcc_lo, 0, v103
	v_and_b32_e32 v21, v21, v106
	v_not_b32_e32 v103, v104
	v_ashrrev_i32_e32 v101, 31, v101
	s_wait_alu 0xf1ff
	v_xor_b32_e32 v100, s15, v100
	v_cmp_gt_i32_e64 s15, 0, v104
	v_and_b32_e32 v21, v21, v98
	v_not_b32_e32 v98, v105
	v_ashrrev_i32_e32 v103, 31, v103
	s_wait_alu 0xfffd
	v_xor_b32_e32 v101, vcc_lo, v101
	v_cmp_gt_i32_e32 vcc_lo, 0, v105
	v_and_b32_e32 v21, v21, v100
	v_not_b32_e32 v100, v102
	v_ashrrev_i32_e32 v98, 31, v98
	s_wait_alu 0xf1ff
	v_xor_b32_e32 v103, s15, v103
	v_cmp_gt_i32_e64 s15, 0, v102
	v_and_b32_e32 v21, v21, v101
	v_ashrrev_i32_e32 v100, 31, v100
	s_wait_alu 0xfffd
	v_xor_b32_e32 v98, vcc_lo, v98
	v_mul_u32_u24_e32 v99, 36, v99
	v_and_b32_e32 v21, v21, v103
	s_wait_alu 0xf1ff
	v_xor_b32_e32 v100, s15, v100
	s_delay_alu instid0(VALU_DEP_2) | instskip(NEXT) | instid1(VALU_DEP_1)
	v_and_b32_e32 v21, v21, v98
	v_and_b32_e32 v21, v21, v100
	v_add_nc_u32_e32 v100, v88, v99
	s_delay_alu instid0(VALU_DEP_2) | instskip(SKIP_1) | instid1(VALU_DEP_2)
	v_mbcnt_lo_u32_b32 v98, v21, 0
	v_cmp_ne_u32_e64 s15, 0, v21
	v_cmp_eq_u32_e32 vcc_lo, 0, v98
	s_and_b32 s16, s15, vcc_lo
	s_wait_alu 0xfffe
	s_and_saveexec_b32 s15, s16
; %bb.85:                               ;   in Loop: Header=BB1745_64 Depth=2
	v_bcnt_u32_b32 v21, v21, 0
	ds_store_b32 v100, v21 offset:1056
; %bb.86:                               ;   in Loop: Header=BB1745_64 Depth=2
	s_wait_alu 0xfffe
	s_or_b32 exec_lo, exec_lo, s15
	v_cmp_gt_i16_e32 vcc_lo, 0, v27
	; wave barrier
	s_wait_alu 0xfffd
	v_cndmask_b32_e64 v21, 0x7fff, 0, vcc_lo
	s_delay_alu instid0(VALU_DEP_1) | instskip(NEXT) | instid1(VALU_DEP_1)
	v_xor_b32_e32 v99, v21, v27
	v_cmp_ne_u16_e32 vcc_lo, 0x8000, v99
	s_wait_alu 0xfffd
	v_cndmask_b32_e32 v21, 0x7fff, v99, vcc_lo
	s_delay_alu instid0(VALU_DEP_1) | instskip(NEXT) | instid1(VALU_DEP_1)
	v_and_b32_e32 v21, 0xffff, v21
	v_lshrrev_b32_e32 v21, s23, v21
	s_delay_alu instid0(VALU_DEP_1) | instskip(NEXT) | instid1(VALU_DEP_1)
	v_and_b32_e32 v27, s42, v21
	v_and_b32_e32 v21, 1, v27
	v_lshlrev_b32_e32 v101, 30, v27
	v_lshlrev_b32_e32 v102, 29, v27
	;; [unrolled: 1-line block ×4, first 2 shown]
	v_add_co_u32 v21, s15, v21, -1
	s_wait_alu 0xf1ff
	v_cndmask_b32_e64 v104, 0, 1, s15
	v_not_b32_e32 v108, v101
	v_cmp_gt_i32_e64 s15, 0, v101
	v_not_b32_e32 v101, v102
	v_lshlrev_b32_e32 v106, 26, v27
	v_cmp_ne_u32_e32 vcc_lo, 0, v104
	v_ashrrev_i32_e32 v108, 31, v108
	v_lshlrev_b32_e32 v107, 25, v27
	v_ashrrev_i32_e32 v101, 31, v101
	v_lshlrev_b32_e32 v104, 24, v27
	s_wait_alu 0xfffd
	v_xor_b32_e32 v21, vcc_lo, v21
	v_cmp_gt_i32_e32 vcc_lo, 0, v102
	v_not_b32_e32 v102, v103
	s_wait_alu 0xf1ff
	v_xor_b32_e32 v108, s15, v108
	v_cmp_gt_i32_e64 s15, 0, v103
	v_and_b32_e32 v21, exec_lo, v21
	v_not_b32_e32 v103, v105
	v_ashrrev_i32_e32 v102, 31, v102
	s_wait_alu 0xfffd
	v_xor_b32_e32 v101, vcc_lo, v101
	v_cmp_gt_i32_e32 vcc_lo, 0, v105
	v_and_b32_e32 v21, v21, v108
	v_not_b32_e32 v105, v106
	v_ashrrev_i32_e32 v103, 31, v103
	s_wait_alu 0xf1ff
	v_xor_b32_e32 v102, s15, v102
	v_cmp_gt_i32_e64 s15, 0, v106
	v_and_b32_e32 v21, v21, v101
	v_not_b32_e32 v101, v107
	v_ashrrev_i32_e32 v105, 31, v105
	s_wait_alu 0xfffd
	v_xor_b32_e32 v103, vcc_lo, v103
	v_cmp_gt_i32_e32 vcc_lo, 0, v107
	v_and_b32_e32 v21, v21, v102
	v_not_b32_e32 v102, v104
	v_ashrrev_i32_e32 v101, 31, v101
	s_wait_alu 0xf1ff
	v_xor_b32_e32 v105, s15, v105
	v_cmp_gt_i32_e64 s15, 0, v104
	v_and_b32_e32 v21, v21, v103
	v_ashrrev_i32_e32 v102, 31, v102
	s_wait_alu 0xfffd
	v_xor_b32_e32 v101, vcc_lo, v101
	v_mad_u32_u24 v103, v27, 36, v88
	v_mul_u32_u24_e32 v27, 36, v27
	v_and_b32_e32 v21, v21, v105
	s_wait_alu 0xf1ff
	v_xor_b32_e32 v102, s15, v102
	s_delay_alu instid0(VALU_DEP_3) | instskip(NEXT) | instid1(VALU_DEP_3)
	v_add_nc_u32_e32 v104, v88, v27
	v_and_b32_e32 v21, v21, v101
	ds_load_b32 v101, v103 offset:1056
	; wave barrier
	v_and_b32_e32 v21, v21, v102
	s_delay_alu instid0(VALU_DEP_1) | instskip(SKIP_1) | instid1(VALU_DEP_2)
	v_mbcnt_lo_u32_b32 v102, v21, 0
	v_cmp_ne_u32_e64 s15, 0, v21
	v_cmp_eq_u32_e32 vcc_lo, 0, v102
	s_and_b32 s16, s15, vcc_lo
	s_wait_alu 0xfffe
	s_and_saveexec_b32 s15, s16
	s_cbranch_execz .LBB1745_88
; %bb.87:                               ;   in Loop: Header=BB1745_64 Depth=2
	s_wait_dscnt 0x0
	v_bcnt_u32_b32 v21, v21, v101
	ds_store_b32 v104, v21 offset:1056
.LBB1745_88:                            ;   in Loop: Header=BB1745_64 Depth=2
	s_wait_alu 0xfffe
	s_or_b32 exec_lo, exec_lo, s15
	v_cmp_gt_i16_e32 vcc_lo, 0, v26
	; wave barrier
	s_wait_alu 0xfffd
	v_cndmask_b32_e64 v21, 0x7fff, 0, vcc_lo
	s_delay_alu instid0(VALU_DEP_1) | instskip(NEXT) | instid1(VALU_DEP_1)
	v_xor_b32_e32 v103, v21, v26
	v_cmp_ne_u16_e32 vcc_lo, 0x8000, v103
	s_wait_alu 0xfffd
	v_cndmask_b32_e32 v21, 0x7fff, v103, vcc_lo
	s_delay_alu instid0(VALU_DEP_1) | instskip(NEXT) | instid1(VALU_DEP_1)
	v_and_b32_e32 v21, 0xffff, v21
	v_lshrrev_b32_e32 v21, s23, v21
	s_delay_alu instid0(VALU_DEP_1) | instskip(NEXT) | instid1(VALU_DEP_1)
	v_and_b32_e32 v26, s42, v21
	v_and_b32_e32 v21, 1, v26
	v_lshlrev_b32_e32 v27, 30, v26
	v_lshlrev_b32_e32 v105, 29, v26
	;; [unrolled: 1-line block ×4, first 2 shown]
	v_add_co_u32 v21, s15, v21, -1
	s_wait_alu 0xf1ff
	v_cndmask_b32_e64 v107, 0, 1, s15
	v_not_b32_e32 v111, v27
	v_cmp_gt_i32_e64 s15, 0, v27
	v_not_b32_e32 v27, v105
	v_lshlrev_b32_e32 v109, 26, v26
	v_cmp_ne_u32_e32 vcc_lo, 0, v107
	v_ashrrev_i32_e32 v111, 31, v111
	v_lshlrev_b32_e32 v110, 25, v26
	v_ashrrev_i32_e32 v27, 31, v27
	v_lshlrev_b32_e32 v107, 24, v26
	s_wait_alu 0xfffd
	v_xor_b32_e32 v21, vcc_lo, v21
	v_cmp_gt_i32_e32 vcc_lo, 0, v105
	v_not_b32_e32 v105, v106
	s_wait_alu 0xf1ff
	v_xor_b32_e32 v111, s15, v111
	v_cmp_gt_i32_e64 s15, 0, v106
	v_and_b32_e32 v21, exec_lo, v21
	v_not_b32_e32 v106, v108
	v_ashrrev_i32_e32 v105, 31, v105
	s_wait_alu 0xfffd
	v_xor_b32_e32 v27, vcc_lo, v27
	v_cmp_gt_i32_e32 vcc_lo, 0, v108
	v_and_b32_e32 v21, v21, v111
	v_not_b32_e32 v108, v109
	v_ashrrev_i32_e32 v106, 31, v106
	s_wait_alu 0xf1ff
	v_xor_b32_e32 v105, s15, v105
	v_cmp_gt_i32_e64 s15, 0, v109
	v_and_b32_e32 v21, v21, v27
	v_not_b32_e32 v27, v110
	v_ashrrev_i32_e32 v108, 31, v108
	s_wait_alu 0xfffd
	v_xor_b32_e32 v106, vcc_lo, v106
	v_cmp_gt_i32_e32 vcc_lo, 0, v110
	v_and_b32_e32 v21, v21, v105
	v_not_b32_e32 v105, v107
	v_ashrrev_i32_e32 v27, 31, v27
	s_wait_alu 0xf1ff
	v_xor_b32_e32 v108, s15, v108
	v_cmp_gt_i32_e64 s15, 0, v107
	v_and_b32_e32 v21, v21, v106
	v_ashrrev_i32_e32 v105, 31, v105
	s_wait_alu 0xfffd
	v_xor_b32_e32 v27, vcc_lo, v27
	v_mad_u32_u24 v106, v26, 36, v88
	v_mul_u32_u24_e32 v26, 36, v26
	v_and_b32_e32 v21, v21, v108
	s_wait_alu 0xf1ff
	v_xor_b32_e32 v107, s15, v105
	ds_load_b32 v105, v106 offset:1056
	v_add_nc_u32_e32 v108, v88, v26
	v_and_b32_e32 v21, v21, v27
	; wave barrier
	s_delay_alu instid0(VALU_DEP_1) | instskip(NEXT) | instid1(VALU_DEP_1)
	v_and_b32_e32 v21, v21, v107
	v_mbcnt_lo_u32_b32 v107, v21, 0
	v_cmp_ne_u32_e64 s15, 0, v21
	s_delay_alu instid0(VALU_DEP_2)
	v_cmp_eq_u32_e32 vcc_lo, 0, v107
	s_and_b32 s16, s15, vcc_lo
	s_wait_alu 0xfffe
	s_and_saveexec_b32 s15, s16
	s_cbranch_execz .LBB1745_90
; %bb.89:                               ;   in Loop: Header=BB1745_64 Depth=2
	s_wait_dscnt 0x0
	v_bcnt_u32_b32 v21, v21, v105
	ds_store_b32 v108, v21 offset:1056
.LBB1745_90:                            ;   in Loop: Header=BB1745_64 Depth=2
	s_wait_alu 0xfffe
	s_or_b32 exec_lo, exec_lo, s15
	v_cmp_gt_i16_e32 vcc_lo, 0, v25
	; wave barrier
	s_wait_alu 0xfffd
	v_cndmask_b32_e64 v21, 0x7fff, 0, vcc_lo
	s_delay_alu instid0(VALU_DEP_1) | instskip(NEXT) | instid1(VALU_DEP_1)
	v_xor_b32_e32 v106, v21, v25
	v_cmp_ne_u16_e32 vcc_lo, 0x8000, v106
	s_wait_alu 0xfffd
	v_cndmask_b32_e32 v21, 0x7fff, v106, vcc_lo
	s_delay_alu instid0(VALU_DEP_1) | instskip(NEXT) | instid1(VALU_DEP_1)
	v_and_b32_e32 v21, 0xffff, v21
	v_lshrrev_b32_e32 v21, s23, v21
	s_delay_alu instid0(VALU_DEP_1) | instskip(NEXT) | instid1(VALU_DEP_1)
	v_and_b32_e32 v25, s42, v21
	v_and_b32_e32 v21, 1, v25
	v_lshlrev_b32_e32 v26, 30, v25
	v_lshlrev_b32_e32 v27, 29, v25
	;; [unrolled: 1-line block ×4, first 2 shown]
	v_add_co_u32 v21, s15, v21, -1
	s_wait_alu 0xf1ff
	v_cndmask_b32_e64 v110, 0, 1, s15
	v_not_b32_e32 v114, v26
	v_cmp_gt_i32_e64 s15, 0, v26
	v_not_b32_e32 v26, v27
	v_lshlrev_b32_e32 v112, 26, v25
	v_cmp_ne_u32_e32 vcc_lo, 0, v110
	v_ashrrev_i32_e32 v114, 31, v114
	v_lshlrev_b32_e32 v113, 25, v25
	v_ashrrev_i32_e32 v26, 31, v26
	v_lshlrev_b32_e32 v110, 24, v25
	s_wait_alu 0xfffd
	v_xor_b32_e32 v21, vcc_lo, v21
	v_cmp_gt_i32_e32 vcc_lo, 0, v27
	v_not_b32_e32 v27, v109
	s_wait_alu 0xf1ff
	v_xor_b32_e32 v114, s15, v114
	v_cmp_gt_i32_e64 s15, 0, v109
	v_and_b32_e32 v21, exec_lo, v21
	v_not_b32_e32 v109, v111
	v_ashrrev_i32_e32 v27, 31, v27
	s_wait_alu 0xfffd
	v_xor_b32_e32 v26, vcc_lo, v26
	v_cmp_gt_i32_e32 vcc_lo, 0, v111
	v_and_b32_e32 v21, v21, v114
	v_not_b32_e32 v111, v112
	v_ashrrev_i32_e32 v109, 31, v109
	s_wait_alu 0xf1ff
	v_xor_b32_e32 v27, s15, v27
	v_cmp_gt_i32_e64 s15, 0, v112
	v_and_b32_e32 v21, v21, v26
	v_not_b32_e32 v26, v113
	v_ashrrev_i32_e32 v111, 31, v111
	s_wait_alu 0xfffd
	v_xor_b32_e32 v109, vcc_lo, v109
	v_cmp_gt_i32_e32 vcc_lo, 0, v113
	v_and_b32_e32 v21, v21, v27
	v_not_b32_e32 v27, v110
	v_ashrrev_i32_e32 v26, 31, v26
	s_wait_alu 0xf1ff
	v_xor_b32_e32 v111, s15, v111
	v_cmp_gt_i32_e64 s15, 0, v110
	v_and_b32_e32 v21, v21, v109
	v_ashrrev_i32_e32 v27, 31, v27
	s_wait_alu 0xfffd
	v_xor_b32_e32 v26, vcc_lo, v26
	v_mad_u32_u24 v109, v25, 36, v88
	v_mul_u32_u24_e32 v25, 36, v25
	v_and_b32_e32 v21, v21, v111
	s_wait_alu 0xf1ff
	v_xor_b32_e32 v27, s15, v27
	ds_load_b32 v109, v109 offset:1056
	v_add_nc_u32_e32 v112, v88, v25
	v_and_b32_e32 v21, v21, v26
	; wave barrier
	s_delay_alu instid0(VALU_DEP_1) | instskip(NEXT) | instid1(VALU_DEP_1)
	v_and_b32_e32 v21, v21, v27
	v_mbcnt_lo_u32_b32 v111, v21, 0
	v_cmp_ne_u32_e64 s15, 0, v21
	s_delay_alu instid0(VALU_DEP_2)
	v_cmp_eq_u32_e32 vcc_lo, 0, v111
	s_and_b32 s16, s15, vcc_lo
	s_wait_alu 0xfffe
	s_and_saveexec_b32 s15, s16
	s_cbranch_execz .LBB1745_92
; %bb.91:                               ;   in Loop: Header=BB1745_64 Depth=2
	s_wait_dscnt 0x0
	v_bcnt_u32_b32 v21, v21, v109
	ds_store_b32 v112, v21 offset:1056
.LBB1745_92:                            ;   in Loop: Header=BB1745_64 Depth=2
	s_wait_alu 0xfffe
	s_or_b32 exec_lo, exec_lo, s15
	v_cmp_gt_i16_e32 vcc_lo, 0, v24
	; wave barrier
	s_wait_alu 0xfffd
	v_cndmask_b32_e64 v21, 0x7fff, 0, vcc_lo
	s_delay_alu instid0(VALU_DEP_1) | instskip(NEXT) | instid1(VALU_DEP_1)
	v_xor_b32_e32 v110, v21, v24
	v_cmp_ne_u16_e32 vcc_lo, 0x8000, v110
	s_wait_alu 0xfffd
	v_cndmask_b32_e32 v21, 0x7fff, v110, vcc_lo
	s_delay_alu instid0(VALU_DEP_1) | instskip(NEXT) | instid1(VALU_DEP_1)
	v_and_b32_e32 v21, 0xffff, v21
	v_lshrrev_b32_e32 v21, s23, v21
	s_delay_alu instid0(VALU_DEP_1) | instskip(NEXT) | instid1(VALU_DEP_1)
	v_and_b32_e32 v24, s42, v21
	v_and_b32_e32 v21, 1, v24
	v_lshlrev_b32_e32 v25, 30, v24
	v_lshlrev_b32_e32 v26, 29, v24
	;; [unrolled: 1-line block ×4, first 2 shown]
	v_add_co_u32 v21, s15, v21, -1
	s_wait_alu 0xf1ff
	v_cndmask_b32_e64 v113, 0, 1, s15
	v_not_b32_e32 v117, v25
	v_cmp_gt_i32_e64 s15, 0, v25
	v_not_b32_e32 v25, v26
	v_lshlrev_b32_e32 v115, 26, v24
	v_cmp_ne_u32_e32 vcc_lo, 0, v113
	v_ashrrev_i32_e32 v117, 31, v117
	v_lshlrev_b32_e32 v116, 25, v24
	v_ashrrev_i32_e32 v25, 31, v25
	v_lshlrev_b32_e32 v113, 24, v24
	s_wait_alu 0xfffd
	v_xor_b32_e32 v21, vcc_lo, v21
	v_cmp_gt_i32_e32 vcc_lo, 0, v26
	v_not_b32_e32 v26, v27
	s_wait_alu 0xf1ff
	v_xor_b32_e32 v117, s15, v117
	v_cmp_gt_i32_e64 s15, 0, v27
	v_and_b32_e32 v21, exec_lo, v21
	v_not_b32_e32 v27, v114
	v_ashrrev_i32_e32 v26, 31, v26
	s_wait_alu 0xfffd
	v_xor_b32_e32 v25, vcc_lo, v25
	v_cmp_gt_i32_e32 vcc_lo, 0, v114
	v_and_b32_e32 v21, v21, v117
	v_not_b32_e32 v114, v115
	v_ashrrev_i32_e32 v27, 31, v27
	s_wait_alu 0xf1ff
	v_xor_b32_e32 v26, s15, v26
	v_cmp_gt_i32_e64 s15, 0, v115
	v_and_b32_e32 v21, v21, v25
	v_not_b32_e32 v25, v116
	v_ashrrev_i32_e32 v114, 31, v114
	s_wait_alu 0xfffd
	v_xor_b32_e32 v27, vcc_lo, v27
	v_cmp_gt_i32_e32 vcc_lo, 0, v116
	v_and_b32_e32 v21, v21, v26
	v_not_b32_e32 v26, v113
	v_ashrrev_i32_e32 v25, 31, v25
	s_wait_alu 0xf1ff
	v_xor_b32_e32 v114, s15, v114
	v_cmp_gt_i32_e64 s15, 0, v113
	v_and_b32_e32 v21, v21, v27
	v_ashrrev_i32_e32 v26, 31, v26
	s_wait_alu 0xfffd
	v_xor_b32_e32 v25, vcc_lo, v25
	v_mad_u32_u24 v27, v24, 36, v88
	v_mul_u32_u24_e32 v24, 36, v24
	v_and_b32_e32 v21, v21, v114
	s_wait_alu 0xf1ff
	v_xor_b32_e32 v26, s15, v26
	ds_load_b32 v113, v27 offset:1056
	v_add_nc_u32_e32 v116, v88, v24
	v_and_b32_e32 v21, v21, v25
	; wave barrier
	s_delay_alu instid0(VALU_DEP_1) | instskip(NEXT) | instid1(VALU_DEP_1)
	v_and_b32_e32 v21, v21, v26
	v_mbcnt_lo_u32_b32 v115, v21, 0
	v_cmp_ne_u32_e64 s15, 0, v21
	s_delay_alu instid0(VALU_DEP_2)
	v_cmp_eq_u32_e32 vcc_lo, 0, v115
	s_and_b32 s16, s15, vcc_lo
	s_wait_alu 0xfffe
	s_and_saveexec_b32 s15, s16
	s_cbranch_execz .LBB1745_94
; %bb.93:                               ;   in Loop: Header=BB1745_64 Depth=2
	s_wait_dscnt 0x0
	v_bcnt_u32_b32 v21, v21, v113
	ds_store_b32 v116, v21 offset:1056
.LBB1745_94:                            ;   in Loop: Header=BB1745_64 Depth=2
	s_wait_alu 0xfffe
	s_or_b32 exec_lo, exec_lo, s15
	v_cmp_gt_i16_e32 vcc_lo, 0, v23
	; wave barrier
	s_wait_alu 0xfffd
	v_cndmask_b32_e64 v21, 0x7fff, 0, vcc_lo
	s_delay_alu instid0(VALU_DEP_1) | instskip(NEXT) | instid1(VALU_DEP_1)
	v_xor_b32_e32 v114, v21, v23
	v_cmp_ne_u16_e32 vcc_lo, 0x8000, v114
	s_wait_alu 0xfffd
	v_cndmask_b32_e32 v21, 0x7fff, v114, vcc_lo
	s_delay_alu instid0(VALU_DEP_1) | instskip(NEXT) | instid1(VALU_DEP_1)
	v_and_b32_e32 v21, 0xffff, v21
	v_lshrrev_b32_e32 v21, s23, v21
	s_delay_alu instid0(VALU_DEP_1) | instskip(NEXT) | instid1(VALU_DEP_1)
	v_and_b32_e32 v23, s42, v21
	v_and_b32_e32 v21, 1, v23
	v_lshlrev_b32_e32 v24, 30, v23
	v_lshlrev_b32_e32 v25, 29, v23
	;; [unrolled: 1-line block ×4, first 2 shown]
	v_add_co_u32 v21, s15, v21, -1
	s_wait_alu 0xf1ff
	v_cndmask_b32_e64 v27, 0, 1, s15
	v_not_b32_e32 v120, v24
	v_cmp_gt_i32_e64 s15, 0, v24
	v_not_b32_e32 v24, v25
	v_lshlrev_b32_e32 v118, 26, v23
	v_cmp_ne_u32_e32 vcc_lo, 0, v27
	v_ashrrev_i32_e32 v120, 31, v120
	v_lshlrev_b32_e32 v119, 25, v23
	v_ashrrev_i32_e32 v24, 31, v24
	v_lshlrev_b32_e32 v27, 24, v23
	s_wait_alu 0xfffd
	v_xor_b32_e32 v21, vcc_lo, v21
	v_cmp_gt_i32_e32 vcc_lo, 0, v25
	v_not_b32_e32 v25, v26
	s_wait_alu 0xf1ff
	v_xor_b32_e32 v120, s15, v120
	v_cmp_gt_i32_e64 s15, 0, v26
	v_and_b32_e32 v21, exec_lo, v21
	v_not_b32_e32 v26, v117
	v_ashrrev_i32_e32 v25, 31, v25
	s_wait_alu 0xfffd
	v_xor_b32_e32 v24, vcc_lo, v24
	v_cmp_gt_i32_e32 vcc_lo, 0, v117
	v_and_b32_e32 v21, v21, v120
	v_not_b32_e32 v117, v118
	v_ashrrev_i32_e32 v26, 31, v26
	s_wait_alu 0xf1ff
	v_xor_b32_e32 v25, s15, v25
	v_cmp_gt_i32_e64 s15, 0, v118
	v_and_b32_e32 v21, v21, v24
	v_not_b32_e32 v24, v119
	v_ashrrev_i32_e32 v117, 31, v117
	s_wait_alu 0xfffd
	v_xor_b32_e32 v26, vcc_lo, v26
	v_cmp_gt_i32_e32 vcc_lo, 0, v119
	v_and_b32_e32 v21, v21, v25
	v_not_b32_e32 v25, v27
	v_ashrrev_i32_e32 v24, 31, v24
	s_wait_alu 0xf1ff
	v_xor_b32_e32 v117, s15, v117
	v_cmp_gt_i32_e64 s15, 0, v27
	v_and_b32_e32 v21, v21, v26
	v_ashrrev_i32_e32 v25, 31, v25
	s_wait_alu 0xfffd
	v_xor_b32_e32 v24, vcc_lo, v24
	v_mad_u32_u24 v26, v23, 36, v88
	v_mul_u32_u24_e32 v23, 36, v23
	v_and_b32_e32 v21, v21, v117
	s_wait_alu 0xf1ff
	v_xor_b32_e32 v25, s15, v25
	ds_load_b32 v117, v26 offset:1056
	v_add_nc_u32_e32 v120, v88, v23
	v_and_b32_e32 v21, v21, v24
	; wave barrier
	s_delay_alu instid0(VALU_DEP_1) | instskip(NEXT) | instid1(VALU_DEP_1)
	v_and_b32_e32 v21, v21, v25
	v_mbcnt_lo_u32_b32 v119, v21, 0
	v_cmp_ne_u32_e64 s15, 0, v21
	s_delay_alu instid0(VALU_DEP_2)
	v_cmp_eq_u32_e32 vcc_lo, 0, v119
	s_and_b32 s16, s15, vcc_lo
	s_wait_alu 0xfffe
	s_and_saveexec_b32 s15, s16
	s_cbranch_execz .LBB1745_96
; %bb.95:                               ;   in Loop: Header=BB1745_64 Depth=2
	s_wait_dscnt 0x0
	v_bcnt_u32_b32 v21, v21, v117
	ds_store_b32 v120, v21 offset:1056
.LBB1745_96:                            ;   in Loop: Header=BB1745_64 Depth=2
	s_wait_alu 0xfffe
	s_or_b32 exec_lo, exec_lo, s15
	v_cmp_gt_i16_e32 vcc_lo, 0, v22
	; wave barrier
	s_wait_alu 0xfffd
	v_cndmask_b32_e64 v21, 0x7fff, 0, vcc_lo
	s_delay_alu instid0(VALU_DEP_1) | instskip(NEXT) | instid1(VALU_DEP_1)
	v_xor_b32_e32 v118, v21, v22
	v_cmp_ne_u16_e32 vcc_lo, 0x8000, v118
	s_wait_alu 0xfffd
	v_cndmask_b32_e32 v21, 0x7fff, v118, vcc_lo
	s_delay_alu instid0(VALU_DEP_1) | instskip(NEXT) | instid1(VALU_DEP_1)
	v_and_b32_e32 v21, 0xffff, v21
	v_lshrrev_b32_e32 v21, s23, v21
	s_delay_alu instid0(VALU_DEP_1) | instskip(NEXT) | instid1(VALU_DEP_1)
	v_and_b32_e32 v22, s42, v21
	v_and_b32_e32 v21, 1, v22
	v_lshlrev_b32_e32 v23, 30, v22
	v_lshlrev_b32_e32 v24, 29, v22
	;; [unrolled: 1-line block ×4, first 2 shown]
	v_add_co_u32 v21, s15, v21, -1
	s_wait_alu 0xf1ff
	v_cndmask_b32_e64 v26, 0, 1, s15
	v_not_b32_e32 v123, v23
	v_cmp_gt_i32_e64 s15, 0, v23
	v_not_b32_e32 v23, v24
	v_lshlrev_b32_e32 v121, 26, v22
	v_cmp_ne_u32_e32 vcc_lo, 0, v26
	v_ashrrev_i32_e32 v123, 31, v123
	v_lshlrev_b32_e32 v122, 25, v22
	v_ashrrev_i32_e32 v23, 31, v23
	v_lshlrev_b32_e32 v26, 24, v22
	s_wait_alu 0xfffd
	v_xor_b32_e32 v21, vcc_lo, v21
	v_cmp_gt_i32_e32 vcc_lo, 0, v24
	v_not_b32_e32 v24, v25
	s_wait_alu 0xf1ff
	v_xor_b32_e32 v123, s15, v123
	v_cmp_gt_i32_e64 s15, 0, v25
	v_and_b32_e32 v21, exec_lo, v21
	v_not_b32_e32 v25, v27
	v_ashrrev_i32_e32 v24, 31, v24
	s_wait_alu 0xfffd
	v_xor_b32_e32 v23, vcc_lo, v23
	v_cmp_gt_i32_e32 vcc_lo, 0, v27
	v_and_b32_e32 v21, v21, v123
	v_not_b32_e32 v27, v121
	v_ashrrev_i32_e32 v25, 31, v25
	s_wait_alu 0xf1ff
	v_xor_b32_e32 v24, s15, v24
	v_cmp_gt_i32_e64 s15, 0, v121
	v_and_b32_e32 v21, v21, v23
	v_not_b32_e32 v23, v122
	v_ashrrev_i32_e32 v27, 31, v27
	s_wait_alu 0xfffd
	v_xor_b32_e32 v25, vcc_lo, v25
	v_cmp_gt_i32_e32 vcc_lo, 0, v122
	v_and_b32_e32 v21, v21, v24
	v_not_b32_e32 v24, v26
	v_ashrrev_i32_e32 v23, 31, v23
	s_wait_alu 0xf1ff
	v_xor_b32_e32 v27, s15, v27
	v_cmp_gt_i32_e64 s15, 0, v26
	v_and_b32_e32 v21, v21, v25
	v_ashrrev_i32_e32 v24, 31, v24
	s_wait_alu 0xfffd
	v_xor_b32_e32 v23, vcc_lo, v23
	v_mad_u32_u24 v25, v22, 36, v88
	v_mul_u32_u24_e32 v22, 36, v22
	v_and_b32_e32 v21, v21, v27
	s_wait_alu 0xf1ff
	v_xor_b32_e32 v24, s15, v24
	ds_load_b32 v121, v25 offset:1056
	v_add_nc_u32_e32 v124, v88, v22
	v_and_b32_e32 v21, v21, v23
	; wave barrier
	s_delay_alu instid0(VALU_DEP_1) | instskip(NEXT) | instid1(VALU_DEP_1)
	v_and_b32_e32 v21, v21, v24
	v_mbcnt_lo_u32_b32 v122, v21, 0
	v_cmp_ne_u32_e64 s15, 0, v21
	s_delay_alu instid0(VALU_DEP_2)
	v_cmp_eq_u32_e32 vcc_lo, 0, v122
	s_and_b32 s16, s15, vcc_lo
	s_wait_alu 0xfffe
	s_and_saveexec_b32 s15, s16
	s_cbranch_execz .LBB1745_98
; %bb.97:                               ;   in Loop: Header=BB1745_64 Depth=2
	s_wait_dscnt 0x0
	v_bcnt_u32_b32 v21, v21, v121
	ds_store_b32 v124, v21 offset:1056
.LBB1745_98:                            ;   in Loop: Header=BB1745_64 Depth=2
	s_wait_alu 0xfffe
	s_or_b32 exec_lo, exec_lo, s15
	v_cmp_gt_i16_e32 vcc_lo, 0, v20
	; wave barrier
	s_wait_alu 0xfffd
	v_cndmask_b32_e64 v21, 0x7fff, 0, vcc_lo
	s_delay_alu instid0(VALU_DEP_1) | instskip(NEXT) | instid1(VALU_DEP_1)
	v_xor_b32_e32 v123, v21, v20
	v_cmp_ne_u16_e32 vcc_lo, 0x8000, v123
	s_wait_alu 0xfffd
	v_cndmask_b32_e32 v20, 0x7fff, v123, vcc_lo
	s_delay_alu instid0(VALU_DEP_1) | instskip(NEXT) | instid1(VALU_DEP_1)
	v_and_b32_e32 v20, 0xffff, v20
	v_lshrrev_b32_e32 v20, s23, v20
	s_delay_alu instid0(VALU_DEP_1) | instskip(NEXT) | instid1(VALU_DEP_1)
	v_and_b32_e32 v21, s42, v20
	v_and_b32_e32 v20, 1, v21
	v_lshlrev_b32_e32 v22, 30, v21
	v_lshlrev_b32_e32 v23, 29, v21
	v_lshlrev_b32_e32 v24, 28, v21
	v_lshlrev_b32_e32 v26, 27, v21
	v_add_co_u32 v20, s15, v20, -1
	s_wait_alu 0xf1ff
	v_cndmask_b32_e64 v25, 0, 1, s15
	v_not_b32_e32 v126, v22
	v_cmp_gt_i32_e64 s15, 0, v22
	v_not_b32_e32 v22, v23
	v_lshlrev_b32_e32 v27, 26, v21
	v_cmp_ne_u32_e32 vcc_lo, 0, v25
	v_ashrrev_i32_e32 v126, 31, v126
	v_lshlrev_b32_e32 v125, 25, v21
	v_ashrrev_i32_e32 v22, 31, v22
	v_lshlrev_b32_e32 v25, 24, v21
	s_wait_alu 0xfffd
	v_xor_b32_e32 v20, vcc_lo, v20
	v_cmp_gt_i32_e32 vcc_lo, 0, v23
	v_not_b32_e32 v23, v24
	s_wait_alu 0xf1ff
	v_xor_b32_e32 v126, s15, v126
	v_cmp_gt_i32_e64 s15, 0, v24
	v_and_b32_e32 v20, exec_lo, v20
	v_not_b32_e32 v24, v26
	v_ashrrev_i32_e32 v23, 31, v23
	s_wait_alu 0xfffd
	v_xor_b32_e32 v22, vcc_lo, v22
	v_cmp_gt_i32_e32 vcc_lo, 0, v26
	v_and_b32_e32 v20, v20, v126
	v_not_b32_e32 v26, v27
	v_ashrrev_i32_e32 v24, 31, v24
	s_wait_alu 0xf1ff
	v_xor_b32_e32 v23, s15, v23
	v_cmp_gt_i32_e64 s15, 0, v27
	v_and_b32_e32 v20, v20, v22
	v_not_b32_e32 v22, v125
	v_ashrrev_i32_e32 v26, 31, v26
	s_wait_alu 0xfffd
	v_xor_b32_e32 v24, vcc_lo, v24
	v_cmp_gt_i32_e32 vcc_lo, 0, v125
	v_and_b32_e32 v20, v20, v23
	v_not_b32_e32 v23, v25
	v_ashrrev_i32_e32 v22, 31, v22
	s_wait_alu 0xf1ff
	v_xor_b32_e32 v26, s15, v26
	v_cmp_gt_i32_e64 s15, 0, v25
	v_and_b32_e32 v20, v20, v24
	v_ashrrev_i32_e32 v23, 31, v23
	s_wait_alu 0xfffd
	v_xor_b32_e32 v22, vcc_lo, v22
	v_mad_u32_u24 v24, v21, 36, v88
	v_mul_u32_u24_e32 v21, 36, v21
	v_and_b32_e32 v20, v20, v26
	s_wait_alu 0xf1ff
	v_xor_b32_e32 v23, s15, v23
	ds_load_b32 v125, v24 offset:1056
	v_add_nc_u32_e32 v127, v88, v21
	v_and_b32_e32 v20, v20, v22
	; wave barrier
	s_delay_alu instid0(VALU_DEP_1) | instskip(NEXT) | instid1(VALU_DEP_1)
	v_and_b32_e32 v20, v20, v23
	v_mbcnt_lo_u32_b32 v126, v20, 0
	v_cmp_ne_u32_e64 s15, 0, v20
	s_delay_alu instid0(VALU_DEP_2)
	v_cmp_eq_u32_e32 vcc_lo, 0, v126
	s_and_b32 s16, s15, vcc_lo
	s_wait_alu 0xfffe
	s_and_saveexec_b32 s15, s16
	s_cbranch_execz .LBB1745_100
; %bb.99:                               ;   in Loop: Header=BB1745_64 Depth=2
	s_wait_dscnt 0x0
	v_bcnt_u32_b32 v20, v20, v125
	ds_store_b32 v127, v20 offset:1056
.LBB1745_100:                           ;   in Loop: Header=BB1745_64 Depth=2
	s_wait_alu 0xfffe
	s_or_b32 exec_lo, exec_lo, s15
	; wave barrier
	s_wait_loadcnt_dscnt 0x0
	s_barrier_signal -1
	s_barrier_wait -1
	global_inv scope:SCOPE_SE
	ds_load_2addr_b32 v[26:27], v78 offset1:1
	ds_load_2addr_b32 v[24:25], v79 offset1:1
	;; [unrolled: 1-line block ×4, first 2 shown]
	ds_load_b32 v128, v43 offset:1088
	s_wait_dscnt 0x3
	v_add3_u32 v129, v27, v26, v24
	s_wait_dscnt 0x2
	s_delay_alu instid0(VALU_DEP_1) | instskip(SKIP_1) | instid1(VALU_DEP_1)
	v_add3_u32 v129, v129, v25, v22
	s_wait_dscnt 0x1
	v_add3_u32 v129, v129, v23, v20
	s_wait_dscnt 0x0
	s_delay_alu instid0(VALU_DEP_1) | instskip(NEXT) | instid1(VALU_DEP_1)
	v_add3_u32 v128, v129, v21, v128
	v_mov_b32_dpp v129, v128 row_shr:1 row_mask:0xf bank_mask:0xf
	s_delay_alu instid0(VALU_DEP_1) | instskip(NEXT) | instid1(VALU_DEP_1)
	v_cndmask_b32_e64 v129, v129, 0, s0
	v_add_nc_u32_e32 v128, v129, v128
	s_delay_alu instid0(VALU_DEP_1) | instskip(NEXT) | instid1(VALU_DEP_1)
	v_mov_b32_dpp v129, v128 row_shr:2 row_mask:0xf bank_mask:0xf
	v_cndmask_b32_e64 v129, 0, v129, s1
	s_delay_alu instid0(VALU_DEP_1) | instskip(NEXT) | instid1(VALU_DEP_1)
	v_add_nc_u32_e32 v128, v128, v129
	v_mov_b32_dpp v129, v128 row_shr:4 row_mask:0xf bank_mask:0xf
	s_delay_alu instid0(VALU_DEP_1) | instskip(NEXT) | instid1(VALU_DEP_1)
	v_cndmask_b32_e64 v129, 0, v129, s9
	v_add_nc_u32_e32 v128, v128, v129
	s_delay_alu instid0(VALU_DEP_1) | instskip(NEXT) | instid1(VALU_DEP_1)
	v_mov_b32_dpp v129, v128 row_shr:8 row_mask:0xf bank_mask:0xf
	v_cndmask_b32_e64 v129, 0, v129, s10
	s_delay_alu instid0(VALU_DEP_1) | instskip(SKIP_3) | instid1(VALU_DEP_1)
	v_add_nc_u32_e32 v128, v128, v129
	ds_swizzle_b32 v129, v128 offset:swizzle(BROADCAST,32,15)
	s_wait_dscnt 0x0
	v_cndmask_b32_e64 v129, v129, 0, s11
	v_add_nc_u32_e32 v128, v128, v129
	s_and_saveexec_b32 s15, s3
; %bb.101:                              ;   in Loop: Header=BB1745_64 Depth=2
	ds_store_b32 v38, v128 offset:1024
; %bb.102:                              ;   in Loop: Header=BB1745_64 Depth=2
	s_wait_alu 0xfffe
	s_or_b32 exec_lo, exec_lo, s15
	s_wait_loadcnt_dscnt 0x0
	s_barrier_signal -1
	s_barrier_wait -1
	global_inv scope:SCOPE_SE
	s_and_saveexec_b32 s15, s4
	s_cbranch_execz .LBB1745_104
; %bb.103:                              ;   in Loop: Header=BB1745_64 Depth=2
	ds_load_b32 v129, v46 offset:1024
	s_wait_dscnt 0x0
	v_mov_b32_dpp v130, v129 row_shr:1 row_mask:0xf bank_mask:0xf
	s_delay_alu instid0(VALU_DEP_1) | instskip(NEXT) | instid1(VALU_DEP_1)
	v_cndmask_b32_e64 v130, v130, 0, s12
	v_add_nc_u32_e32 v129, v130, v129
	s_delay_alu instid0(VALU_DEP_1) | instskip(NEXT) | instid1(VALU_DEP_1)
	v_mov_b32_dpp v130, v129 row_shr:2 row_mask:0xf bank_mask:0xf
	v_cndmask_b32_e64 v130, 0, v130, s13
	s_delay_alu instid0(VALU_DEP_1) | instskip(NEXT) | instid1(VALU_DEP_1)
	v_add_nc_u32_e32 v129, v129, v130
	v_mov_b32_dpp v130, v129 row_shr:4 row_mask:0xf bank_mask:0xf
	s_delay_alu instid0(VALU_DEP_1) | instskip(NEXT) | instid1(VALU_DEP_1)
	v_cndmask_b32_e64 v130, 0, v130, s14
	v_add_nc_u32_e32 v129, v129, v130
	ds_store_b32 v46, v129 offset:1024
.LBB1745_104:                           ;   in Loop: Header=BB1745_64 Depth=2
	s_wait_alu 0xfffe
	s_or_b32 exec_lo, exec_lo, s15
	v_mov_b32_e32 v129, 0
	s_wait_loadcnt_dscnt 0x0
	s_barrier_signal -1
	s_barrier_wait -1
	global_inv scope:SCOPE_SE
	s_and_saveexec_b32 s15, s5
; %bb.105:                              ;   in Loop: Header=BB1745_64 Depth=2
	ds_load_b32 v129, v38 offset:1020
; %bb.106:                              ;   in Loop: Header=BB1745_64 Depth=2
	s_wait_alu 0xfffe
	s_or_b32 exec_lo, exec_lo, s15
	s_wait_dscnt 0x0
	v_add_nc_u32_e32 v128, v129, v128
	ds_bpermute_b32 v128, v87, v128
	s_wait_dscnt 0x0
	v_cndmask_b32_e64 v128, v128, v129, s8
	s_delay_alu instid0(VALU_DEP_1) | instskip(NEXT) | instid1(VALU_DEP_1)
	v_cndmask_b32_e64 v128, v128, 0, s6
	v_add_nc_u32_e32 v26, v128, v26
	s_delay_alu instid0(VALU_DEP_1) | instskip(NEXT) | instid1(VALU_DEP_1)
	v_add_nc_u32_e32 v27, v26, v27
	v_add_nc_u32_e32 v24, v27, v24
	s_delay_alu instid0(VALU_DEP_1) | instskip(NEXT) | instid1(VALU_DEP_1)
	v_add_nc_u32_e32 v25, v24, v25
	;; [unrolled: 3-line block ×3, first 2 shown]
	v_add_nc_u32_e32 v20, v23, v20
	s_delay_alu instid0(VALU_DEP_1)
	v_add_nc_u32_e32 v21, v20, v21
	ds_store_2addr_b32 v81, v23, v20 offset1:1
	ds_store_2addr_b32 v78, v128, v26 offset1:1
	;; [unrolled: 1-line block ×4, first 2 shown]
	ds_store_b32 v43, v21 offset:1088
	s_wait_loadcnt_dscnt 0x0
	s_barrier_signal -1
	s_barrier_wait -1
	global_inv scope:SCOPE_SE
	ds_load_b32 v23, v100 offset:1056
	ds_load_b32 v24, v104 offset:1056
	;; [unrolled: 1-line block ×9, first 2 shown]
	v_mov_b32_e32 v22, 0x800
	s_and_saveexec_b32 s15, s7
; %bb.107:                              ;   in Loop: Header=BB1745_64 Depth=2
	ds_load_b32 v22, v43 offset:1092
; %bb.108:                              ;   in Loop: Header=BB1745_64 Depth=2
	s_wait_alu 0xfffe
	s_or_b32 exec_lo, exec_lo, s15
	s_wait_loadcnt_dscnt 0x0
	s_barrier_signal -1
	s_barrier_wait -1
	global_inv scope:SCOPE_SE
	s_and_saveexec_b32 s15, s2
	s_cbranch_execz .LBB1745_110
; %bb.109:                              ;   in Loop: Header=BB1745_64 Depth=2
	ds_load_b32 v104, v28
	s_wait_dscnt 0x0
	v_sub_nc_u32_e32 v100, v104, v100
	ds_store_b32 v28, v100
.LBB1745_110:                           ;   in Loop: Header=BB1745_64 Depth=2
	s_wait_alu 0xfffe
	s_or_b32 exec_lo, exec_lo, s15
	v_add_nc_u32_e32 v104, v23, v98
	v_add3_u32 v100, v102, v101, v24
	v_add3_u32 v98, v107, v105, v25
	;; [unrolled: 1-line block ×4, first 2 shown]
	v_lshlrev_b32_e32 v101, 1, v104
	v_lshlrev_b32_e32 v102, 1, v100
	v_add3_u32 v23, v119, v117, v108
	v_lshlrev_b32_e32 v105, 1, v98
	v_add3_u32 v27, v122, v121, v20
	v_add3_u32 v26, v126, v125, v21
	ds_store_b16 v101, v2 offset:1024
	ds_store_b16 v102, v99 offset:1024
	;; [unrolled: 1-line block ×3, first 2 shown]
	v_lshlrev_b32_e32 v2, 1, v25
	v_cmp_lt_u32_e32 vcc_lo, v1, v97
	v_lshlrev_b32_e32 v20, 1, v24
	v_lshlrev_b32_e32 v21, 1, v23
	;; [unrolled: 1-line block ×4, first 2 shown]
	ds_store_b16 v2, v106 offset:1024
	ds_store_b16 v20, v110 offset:1024
	;; [unrolled: 1-line block ×5, first 2 shown]
	s_wait_loadcnt_dscnt 0x0
	s_barrier_signal -1
	s_barrier_wait -1
	global_inv scope:SCOPE_SE
	s_and_saveexec_b32 s16, vcc_lo
	s_cbranch_execnz .LBB1745_147
; %bb.111:                              ;   in Loop: Header=BB1745_64 Depth=2
	s_wait_alu 0xfffe
	s_or_b32 exec_lo, exec_lo, s16
	v_cmp_lt_u32_e64 s15, v29, v97
	s_and_saveexec_b32 s17, s15
	s_cbranch_execnz .LBB1745_148
.LBB1745_112:                           ;   in Loop: Header=BB1745_64 Depth=2
	s_wait_alu 0xfffe
	s_or_b32 exec_lo, exec_lo, s17
	v_cmp_lt_u32_e64 s16, v30, v97
	s_and_saveexec_b32 s18, s16
	s_cbranch_execnz .LBB1745_149
.LBB1745_113:                           ;   in Loop: Header=BB1745_64 Depth=2
	s_wait_alu 0xfffe
	s_or_b32 exec_lo, exec_lo, s18
	v_cmp_lt_u32_e64 s17, v31, v97
	s_and_saveexec_b32 s19, s17
	s_cbranch_execnz .LBB1745_150
.LBB1745_114:                           ;   in Loop: Header=BB1745_64 Depth=2
	s_wait_alu 0xfffe
	s_or_b32 exec_lo, exec_lo, s19
	v_cmp_lt_u32_e64 s18, v34, v97
	s_and_saveexec_b32 s20, s18
	s_cbranch_execnz .LBB1745_151
.LBB1745_115:                           ;   in Loop: Header=BB1745_64 Depth=2
	s_wait_alu 0xfffe
	s_or_b32 exec_lo, exec_lo, s20
	v_cmp_lt_u32_e64 s19, v35, v97
	s_and_saveexec_b32 s21, s19
	s_cbranch_execnz .LBB1745_152
.LBB1745_116:                           ;   in Loop: Header=BB1745_64 Depth=2
	s_wait_alu 0xfffe
	s_or_b32 exec_lo, exec_lo, s21
	v_cmp_lt_u32_e64 s20, v36, v97
	s_and_saveexec_b32 s22, s20
	s_cbranch_execnz .LBB1745_153
.LBB1745_117:                           ;   in Loop: Header=BB1745_64 Depth=2
	s_wait_alu 0xfffe
	s_or_b32 exec_lo, exec_lo, s22
	v_cmp_lt_u32_e64 s21, v37, v97
	s_and_saveexec_b32 s48, s21
	s_cbranch_execz .LBB1745_119
.LBB1745_118:                           ;   in Loop: Header=BB1745_64 Depth=2
	ds_load_u16 v99, v47 offset:4608
	s_wait_dscnt 0x0
	v_cmp_ne_u16_e64 s22, 0x8000, v99
	s_wait_alu 0xf1ff
	s_delay_alu instid0(VALU_DEP_1) | instskip(SKIP_1) | instid1(VALU_DEP_2)
	v_cndmask_b32_e64 v2, 0x7fff, v99, s22
	v_cmp_gt_i16_e64 s22, 0, v99
	v_and_b32_e32 v2, 0xffff, v2
	s_wait_alu 0xf1ff
	s_delay_alu instid0(VALU_DEP_2) | instskip(NEXT) | instid1(VALU_DEP_2)
	v_cndmask_b32_e64 v101, 0x7fff, 0, s22
	v_lshrrev_b32_e32 v2, s23, v2
	s_delay_alu instid0(VALU_DEP_1) | instskip(NEXT) | instid1(VALU_DEP_1)
	v_and_b32_e32 v2, s42, v2
	v_lshlrev_b32_e32 v2, 2, v2
	ds_load_b32 v2, v2
	s_wait_dscnt 0x0
	v_add_nc_u32_e32 v2, v2, v37
	s_delay_alu instid0(VALU_DEP_1) | instskip(SKIP_1) | instid1(VALU_DEP_2)
	v_lshlrev_b64_e32 v[20:21], 1, v[2:3]
	v_xor_b32_e32 v2, v101, v99
	v_add_co_u32 v20, s22, s38, v20
	s_wait_alu 0xf1ff
	s_delay_alu instid0(VALU_DEP_3)
	v_add_co_ci_u32_e64 v21, null, s39, v21, s22
	global_store_b16 v[20:21], v2, off
.LBB1745_119:                           ;   in Loop: Header=BB1745_64 Depth=2
	s_wait_alu 0xfffe
	s_or_b32 exec_lo, exec_lo, s48
	s_lshl_b64 s[48:49], s[30:31], 3
	s_wait_alu 0xfffe
	v_add_co_u32 v20, s22, v83, s48
	s_wait_alu 0xf1ff
	v_add_co_ci_u32_e64 v21, null, s49, v84, s22
	v_cmp_lt_u32_e64 s22, v66, v97
	s_and_saveexec_b32 s30, s22
	s_wait_alu 0xfffe
	s_xor_b32 s22, exec_lo, s30
	s_cbranch_execnz .LBB1745_154
; %bb.120:                              ;   in Loop: Header=BB1745_64 Depth=2
	s_wait_alu 0xfffe
	s_or_b32 exec_lo, exec_lo, s22
	s_delay_alu instid0(SALU_CYCLE_1)
	s_mov_b32 s30, exec_lo
	v_cmpx_lt_u32_e64 v70, v97
	s_cbranch_execnz .LBB1745_155
.LBB1745_121:                           ;   in Loop: Header=BB1745_64 Depth=2
	s_wait_alu 0xfffe
	s_or_b32 exec_lo, exec_lo, s30
	s_delay_alu instid0(SALU_CYCLE_1)
	s_mov_b32 s30, exec_lo
	v_cmpx_lt_u32_e64 v71, v97
	s_cbranch_execnz .LBB1745_156
.LBB1745_122:                           ;   in Loop: Header=BB1745_64 Depth=2
	s_wait_alu 0xfffe
	s_or_b32 exec_lo, exec_lo, s30
	s_delay_alu instid0(SALU_CYCLE_1)
	s_mov_b32 s30, exec_lo
	v_cmpx_lt_u32_e64 v72, v97
	s_cbranch_execnz .LBB1745_157
.LBB1745_123:                           ;   in Loop: Header=BB1745_64 Depth=2
	s_wait_alu 0xfffe
	s_or_b32 exec_lo, exec_lo, s30
	s_delay_alu instid0(SALU_CYCLE_1)
	s_mov_b32 s30, exec_lo
	v_cmpx_lt_u32_e64 v73, v97
	s_cbranch_execnz .LBB1745_158
.LBB1745_124:                           ;   in Loop: Header=BB1745_64 Depth=2
	s_wait_alu 0xfffe
	s_or_b32 exec_lo, exec_lo, s30
	s_delay_alu instid0(SALU_CYCLE_1)
	s_mov_b32 s30, exec_lo
	v_cmpx_lt_u32_e64 v74, v97
	s_cbranch_execnz .LBB1745_159
.LBB1745_125:                           ;   in Loop: Header=BB1745_64 Depth=2
	s_wait_alu 0xfffe
	s_or_b32 exec_lo, exec_lo, s30
	s_delay_alu instid0(SALU_CYCLE_1)
	s_mov_b32 s30, exec_lo
	v_cmpx_lt_u32_e64 v75, v97
	s_cbranch_execnz .LBB1745_160
.LBB1745_126:                           ;   in Loop: Header=BB1745_64 Depth=2
	s_wait_alu 0xfffe
	s_or_b32 exec_lo, exec_lo, s30
	s_delay_alu instid0(SALU_CYCLE_1)
	s_mov_b32 s30, exec_lo
	v_cmpx_lt_u32_e64 v76, v97
	s_cbranch_execnz .LBB1745_161
.LBB1745_127:                           ;   in Loop: Header=BB1745_64 Depth=2
	s_wait_alu 0xfffe
	s_or_b32 exec_lo, exec_lo, s30
	s_and_saveexec_b32 s30, vcc_lo
	s_cbranch_execnz .LBB1745_162
.LBB1745_128:                           ;   in Loop: Header=BB1745_64 Depth=2
	s_wait_alu 0xfffe
	s_or_b32 exec_lo, exec_lo, s30
	s_and_saveexec_b32 s30, s15
	s_cbranch_execnz .LBB1745_163
.LBB1745_129:                           ;   in Loop: Header=BB1745_64 Depth=2
	s_wait_alu 0xfffe
	s_or_b32 exec_lo, exec_lo, s30
	s_and_saveexec_b32 s30, s16
	s_cbranch_execnz .LBB1745_164
.LBB1745_130:                           ;   in Loop: Header=BB1745_64 Depth=2
	s_wait_alu 0xfffe
	s_or_b32 exec_lo, exec_lo, s30
	s_and_saveexec_b32 s30, s17
	s_cbranch_execnz .LBB1745_165
.LBB1745_131:                           ;   in Loop: Header=BB1745_64 Depth=2
	s_wait_alu 0xfffe
	s_or_b32 exec_lo, exec_lo, s30
	s_and_saveexec_b32 s30, s18
	s_cbranch_execnz .LBB1745_166
.LBB1745_132:                           ;   in Loop: Header=BB1745_64 Depth=2
	s_wait_alu 0xfffe
	s_or_b32 exec_lo, exec_lo, s30
	s_and_saveexec_b32 s30, s19
	s_cbranch_execnz .LBB1745_167
.LBB1745_133:                           ;   in Loop: Header=BB1745_64 Depth=2
	s_wait_alu 0xfffe
	s_or_b32 exec_lo, exec_lo, s30
	s_and_saveexec_b32 s30, s20
	s_cbranch_execnz .LBB1745_168
.LBB1745_134:                           ;   in Loop: Header=BB1745_64 Depth=2
	s_wait_alu 0xfffe
	s_or_b32 exec_lo, exec_lo, s30
	s_and_saveexec_b32 s30, s21
	s_cbranch_execz .LBB1745_136
.LBB1745_135:                           ;   in Loop: Header=BB1745_64 Depth=2
	ds_load_u16 v2, v47 offset:4608
	s_wait_dscnt 0x0
	v_cmp_ne_u16_e64 s22, 0x8000, v2
	s_wait_alu 0xf1ff
	s_delay_alu instid0(VALU_DEP_1) | instskip(NEXT) | instid1(VALU_DEP_1)
	v_cndmask_b32_e64 v2, 0x7fff, v2, s22
	v_and_b32_e32 v2, 0xffff, v2
	s_delay_alu instid0(VALU_DEP_1) | instskip(NEXT) | instid1(VALU_DEP_1)
	v_lshrrev_b32_e32 v2, s23, v2
	v_and_b32_e32 v89, s42, v2
.LBB1745_136:                           ;   in Loop: Header=BB1745_64 Depth=2
	s_wait_alu 0xfffe
	s_or_b32 exec_lo, exec_lo, s30
	v_lshlrev_b32_e32 v2, 3, v104
	v_lshlrev_b32_e32 v20, 3, v100
	;; [unrolled: 1-line block ×3, first 2 shown]
	s_wait_loadcnt 0x0
	s_wait_storecnt 0x0
	s_barrier_signal -1
	s_barrier_wait -1
	global_inv scope:SCOPE_SE
	ds_store_b64 v2, v[18:19] offset:1024
	ds_store_b64 v20, v[16:17] offset:1024
	;; [unrolled: 1-line block ×3, first 2 shown]
	v_lshlrev_b32_e32 v2, 3, v25
	v_lshlrev_b32_e32 v20, 3, v24
	;; [unrolled: 1-line block ×5, first 2 shown]
	ds_store_b64 v2, v[12:13] offset:1024
	ds_store_b64 v20, v[10:11] offset:1024
	;; [unrolled: 1-line block ×5, first 2 shown]
	s_wait_loadcnt_dscnt 0x0
	s_barrier_signal -1
	s_barrier_wait -1
	global_inv scope:SCOPE_SE
	s_and_saveexec_b32 s22, vcc_lo
	s_cbranch_execnz .LBB1745_169
; %bb.137:                              ;   in Loop: Header=BB1745_64 Depth=2
	s_wait_alu 0xfffe
	s_or_b32 exec_lo, exec_lo, s22
	s_and_saveexec_b32 s22, s15
	s_cbranch_execnz .LBB1745_170
.LBB1745_138:                           ;   in Loop: Header=BB1745_64 Depth=2
	s_wait_alu 0xfffe
	s_or_b32 exec_lo, exec_lo, s22
	s_and_saveexec_b32 s15, s16
	s_cbranch_execnz .LBB1745_171
.LBB1745_139:                           ;   in Loop: Header=BB1745_64 Depth=2
	s_wait_alu 0xfffe
	s_or_b32 exec_lo, exec_lo, s15
	s_and_saveexec_b32 s15, s17
	s_cbranch_execnz .LBB1745_172
.LBB1745_140:                           ;   in Loop: Header=BB1745_64 Depth=2
	s_wait_alu 0xfffe
	s_or_b32 exec_lo, exec_lo, s15
	s_and_saveexec_b32 s15, s18
	s_cbranch_execnz .LBB1745_173
.LBB1745_141:                           ;   in Loop: Header=BB1745_64 Depth=2
	s_wait_alu 0xfffe
	s_or_b32 exec_lo, exec_lo, s15
	s_and_saveexec_b32 s15, s19
	s_cbranch_execnz .LBB1745_174
.LBB1745_142:                           ;   in Loop: Header=BB1745_64 Depth=2
	s_wait_alu 0xfffe
	s_or_b32 exec_lo, exec_lo, s15
	s_and_saveexec_b32 s15, s20
	s_cbranch_execnz .LBB1745_175
.LBB1745_143:                           ;   in Loop: Header=BB1745_64 Depth=2
	s_wait_alu 0xfffe
	s_or_b32 exec_lo, exec_lo, s15
	s_and_saveexec_b32 s15, s21
	s_cbranch_execz .LBB1745_145
.LBB1745_144:                           ;   in Loop: Header=BB1745_64 Depth=2
	v_lshlrev_b32_e32 v2, 2, v89
	v_add_nc_u32_e32 v20, v47, v48
	ds_load_b32 v2, v2
	ds_load_b64 v[20:21], v20 offset:15360
	s_wait_dscnt 0x1
	v_add_nc_u32_e32 v2, v2, v37
	s_delay_alu instid0(VALU_DEP_1) | instskip(NEXT) | instid1(VALU_DEP_1)
	v_lshlrev_b64_e32 v[23:24], 3, v[2:3]
	v_add_co_u32 v23, vcc_lo, s24, v23
	s_wait_alu 0xfffd
	s_delay_alu instid0(VALU_DEP_2)
	v_add_co_ci_u32_e64 v24, null, s25, v24, vcc_lo
	s_wait_dscnt 0x0
	global_store_b64 v[23:24], v[20:21], off
.LBB1745_145:                           ;   in Loop: Header=BB1745_64 Depth=2
	s_wait_alu 0xfffe
	s_or_b32 exec_lo, exec_lo, s15
	s_wait_loadcnt 0x0
	s_wait_storecnt 0x0
	s_barrier_signal -1
	s_barrier_wait -1
	global_inv scope:SCOPE_SE
	s_and_saveexec_b32 s15, s2
	s_cbranch_execz .LBB1745_63
; %bb.146:                              ;   in Loop: Header=BB1745_64 Depth=2
	ds_load_b32 v2, v28
	s_wait_dscnt 0x0
	v_add_nc_u32_e32 v2, v2, v22
	ds_store_b32 v28, v2
	s_branch .LBB1745_63
.LBB1745_147:                           ;   in Loop: Header=BB1745_64 Depth=2
	ds_load_u16 v99, v47 offset:1024
	s_wait_dscnt 0x0
	v_cmp_ne_u16_e64 s15, 0x8000, v99
	s_wait_alu 0xf1ff
	s_delay_alu instid0(VALU_DEP_1) | instskip(SKIP_1) | instid1(VALU_DEP_2)
	v_cndmask_b32_e64 v2, 0x7fff, v99, s15
	v_cmp_gt_i16_e64 s15, 0, v99
	v_and_b32_e32 v2, 0xffff, v2
	s_wait_alu 0xf1ff
	s_delay_alu instid0(VALU_DEP_2) | instskip(NEXT) | instid1(VALU_DEP_2)
	v_cndmask_b32_e64 v101, 0x7fff, 0, s15
	v_lshrrev_b32_e32 v2, s23, v2
	s_delay_alu instid0(VALU_DEP_1) | instskip(NEXT) | instid1(VALU_DEP_1)
	v_and_b32_e32 v2, s42, v2
	v_lshlrev_b32_e32 v2, 2, v2
	ds_load_b32 v2, v2
	s_wait_dscnt 0x0
	v_add_nc_u32_e32 v2, v2, v1
	s_delay_alu instid0(VALU_DEP_1) | instskip(SKIP_1) | instid1(VALU_DEP_2)
	v_lshlrev_b64_e32 v[20:21], 1, v[2:3]
	v_xor_b32_e32 v2, v101, v99
	v_add_co_u32 v20, s15, s38, v20
	s_wait_alu 0xf1ff
	s_delay_alu instid0(VALU_DEP_3)
	v_add_co_ci_u32_e64 v21, null, s39, v21, s15
	global_store_b16 v[20:21], v2, off
	s_wait_alu 0xfffe
	s_or_b32 exec_lo, exec_lo, s16
	v_cmp_lt_u32_e64 s15, v29, v97
	s_and_saveexec_b32 s17, s15
	s_cbranch_execz .LBB1745_112
.LBB1745_148:                           ;   in Loop: Header=BB1745_64 Depth=2
	ds_load_u16 v99, v47 offset:1536
	s_wait_dscnt 0x0
	v_cmp_ne_u16_e64 s16, 0x8000, v99
	s_wait_alu 0xf1ff
	s_delay_alu instid0(VALU_DEP_1) | instskip(SKIP_1) | instid1(VALU_DEP_2)
	v_cndmask_b32_e64 v2, 0x7fff, v99, s16
	v_cmp_gt_i16_e64 s16, 0, v99
	v_and_b32_e32 v2, 0xffff, v2
	s_wait_alu 0xf1ff
	s_delay_alu instid0(VALU_DEP_2) | instskip(NEXT) | instid1(VALU_DEP_2)
	v_cndmask_b32_e64 v101, 0x7fff, 0, s16
	v_lshrrev_b32_e32 v2, s23, v2
	s_delay_alu instid0(VALU_DEP_1) | instskip(NEXT) | instid1(VALU_DEP_1)
	v_and_b32_e32 v2, s42, v2
	v_lshlrev_b32_e32 v2, 2, v2
	ds_load_b32 v2, v2
	s_wait_dscnt 0x0
	v_add_nc_u32_e32 v2, v2, v29
	s_delay_alu instid0(VALU_DEP_1) | instskip(SKIP_1) | instid1(VALU_DEP_2)
	v_lshlrev_b64_e32 v[20:21], 1, v[2:3]
	v_xor_b32_e32 v2, v101, v99
	v_add_co_u32 v20, s16, s38, v20
	s_wait_alu 0xf1ff
	s_delay_alu instid0(VALU_DEP_3)
	v_add_co_ci_u32_e64 v21, null, s39, v21, s16
	global_store_b16 v[20:21], v2, off
	s_wait_alu 0xfffe
	s_or_b32 exec_lo, exec_lo, s17
	v_cmp_lt_u32_e64 s16, v30, v97
	s_and_saveexec_b32 s18, s16
	s_cbranch_execz .LBB1745_113
.LBB1745_149:                           ;   in Loop: Header=BB1745_64 Depth=2
	ds_load_u16 v99, v47 offset:2048
	s_wait_dscnt 0x0
	v_cmp_ne_u16_e64 s17, 0x8000, v99
	s_wait_alu 0xf1ff
	s_delay_alu instid0(VALU_DEP_1) | instskip(SKIP_1) | instid1(VALU_DEP_2)
	v_cndmask_b32_e64 v2, 0x7fff, v99, s17
	v_cmp_gt_i16_e64 s17, 0, v99
	v_and_b32_e32 v2, 0xffff, v2
	s_wait_alu 0xf1ff
	s_delay_alu instid0(VALU_DEP_2) | instskip(NEXT) | instid1(VALU_DEP_2)
	v_cndmask_b32_e64 v101, 0x7fff, 0, s17
	v_lshrrev_b32_e32 v2, s23, v2
	s_delay_alu instid0(VALU_DEP_1) | instskip(NEXT) | instid1(VALU_DEP_1)
	v_and_b32_e32 v2, s42, v2
	v_lshlrev_b32_e32 v2, 2, v2
	ds_load_b32 v2, v2
	s_wait_dscnt 0x0
	v_add_nc_u32_e32 v2, v2, v30
	s_delay_alu instid0(VALU_DEP_1) | instskip(SKIP_1) | instid1(VALU_DEP_2)
	v_lshlrev_b64_e32 v[20:21], 1, v[2:3]
	v_xor_b32_e32 v2, v101, v99
	v_add_co_u32 v20, s17, s38, v20
	s_wait_alu 0xf1ff
	s_delay_alu instid0(VALU_DEP_3)
	v_add_co_ci_u32_e64 v21, null, s39, v21, s17
	global_store_b16 v[20:21], v2, off
	s_wait_alu 0xfffe
	s_or_b32 exec_lo, exec_lo, s18
	v_cmp_lt_u32_e64 s17, v31, v97
	s_and_saveexec_b32 s19, s17
	s_cbranch_execz .LBB1745_114
.LBB1745_150:                           ;   in Loop: Header=BB1745_64 Depth=2
	ds_load_u16 v99, v47 offset:2560
	s_wait_dscnt 0x0
	v_cmp_ne_u16_e64 s18, 0x8000, v99
	s_wait_alu 0xf1ff
	s_delay_alu instid0(VALU_DEP_1) | instskip(SKIP_1) | instid1(VALU_DEP_2)
	v_cndmask_b32_e64 v2, 0x7fff, v99, s18
	v_cmp_gt_i16_e64 s18, 0, v99
	v_and_b32_e32 v2, 0xffff, v2
	s_wait_alu 0xf1ff
	s_delay_alu instid0(VALU_DEP_2) | instskip(NEXT) | instid1(VALU_DEP_2)
	v_cndmask_b32_e64 v101, 0x7fff, 0, s18
	v_lshrrev_b32_e32 v2, s23, v2
	s_delay_alu instid0(VALU_DEP_1) | instskip(NEXT) | instid1(VALU_DEP_1)
	v_and_b32_e32 v2, s42, v2
	v_lshlrev_b32_e32 v2, 2, v2
	ds_load_b32 v2, v2
	s_wait_dscnt 0x0
	v_add_nc_u32_e32 v2, v2, v31
	s_delay_alu instid0(VALU_DEP_1) | instskip(SKIP_1) | instid1(VALU_DEP_2)
	v_lshlrev_b64_e32 v[20:21], 1, v[2:3]
	v_xor_b32_e32 v2, v101, v99
	v_add_co_u32 v20, s18, s38, v20
	s_wait_alu 0xf1ff
	s_delay_alu instid0(VALU_DEP_3)
	v_add_co_ci_u32_e64 v21, null, s39, v21, s18
	global_store_b16 v[20:21], v2, off
	s_wait_alu 0xfffe
	s_or_b32 exec_lo, exec_lo, s19
	v_cmp_lt_u32_e64 s18, v34, v97
	s_and_saveexec_b32 s20, s18
	s_cbranch_execz .LBB1745_115
.LBB1745_151:                           ;   in Loop: Header=BB1745_64 Depth=2
	ds_load_u16 v99, v47 offset:3072
	s_wait_dscnt 0x0
	v_cmp_ne_u16_e64 s19, 0x8000, v99
	s_wait_alu 0xf1ff
	s_delay_alu instid0(VALU_DEP_1) | instskip(SKIP_1) | instid1(VALU_DEP_2)
	v_cndmask_b32_e64 v2, 0x7fff, v99, s19
	v_cmp_gt_i16_e64 s19, 0, v99
	v_and_b32_e32 v2, 0xffff, v2
	s_wait_alu 0xf1ff
	s_delay_alu instid0(VALU_DEP_2) | instskip(NEXT) | instid1(VALU_DEP_2)
	v_cndmask_b32_e64 v101, 0x7fff, 0, s19
	v_lshrrev_b32_e32 v2, s23, v2
	s_delay_alu instid0(VALU_DEP_1) | instskip(NEXT) | instid1(VALU_DEP_1)
	v_and_b32_e32 v2, s42, v2
	v_lshlrev_b32_e32 v2, 2, v2
	ds_load_b32 v2, v2
	s_wait_dscnt 0x0
	v_add_nc_u32_e32 v2, v2, v34
	s_delay_alu instid0(VALU_DEP_1) | instskip(SKIP_1) | instid1(VALU_DEP_2)
	v_lshlrev_b64_e32 v[20:21], 1, v[2:3]
	v_xor_b32_e32 v2, v101, v99
	v_add_co_u32 v20, s19, s38, v20
	s_wait_alu 0xf1ff
	s_delay_alu instid0(VALU_DEP_3)
	v_add_co_ci_u32_e64 v21, null, s39, v21, s19
	global_store_b16 v[20:21], v2, off
	s_wait_alu 0xfffe
	s_or_b32 exec_lo, exec_lo, s20
	v_cmp_lt_u32_e64 s19, v35, v97
	s_and_saveexec_b32 s21, s19
	s_cbranch_execz .LBB1745_116
.LBB1745_152:                           ;   in Loop: Header=BB1745_64 Depth=2
	ds_load_u16 v99, v47 offset:3584
	s_wait_dscnt 0x0
	v_cmp_ne_u16_e64 s20, 0x8000, v99
	s_wait_alu 0xf1ff
	s_delay_alu instid0(VALU_DEP_1) | instskip(SKIP_1) | instid1(VALU_DEP_2)
	v_cndmask_b32_e64 v2, 0x7fff, v99, s20
	v_cmp_gt_i16_e64 s20, 0, v99
	v_and_b32_e32 v2, 0xffff, v2
	s_wait_alu 0xf1ff
	s_delay_alu instid0(VALU_DEP_2) | instskip(NEXT) | instid1(VALU_DEP_2)
	v_cndmask_b32_e64 v101, 0x7fff, 0, s20
	v_lshrrev_b32_e32 v2, s23, v2
	s_delay_alu instid0(VALU_DEP_1) | instskip(NEXT) | instid1(VALU_DEP_1)
	v_and_b32_e32 v2, s42, v2
	v_lshlrev_b32_e32 v2, 2, v2
	ds_load_b32 v2, v2
	s_wait_dscnt 0x0
	v_add_nc_u32_e32 v2, v2, v35
	s_delay_alu instid0(VALU_DEP_1) | instskip(SKIP_1) | instid1(VALU_DEP_2)
	v_lshlrev_b64_e32 v[20:21], 1, v[2:3]
	v_xor_b32_e32 v2, v101, v99
	v_add_co_u32 v20, s20, s38, v20
	s_wait_alu 0xf1ff
	s_delay_alu instid0(VALU_DEP_3)
	v_add_co_ci_u32_e64 v21, null, s39, v21, s20
	global_store_b16 v[20:21], v2, off
	s_wait_alu 0xfffe
	s_or_b32 exec_lo, exec_lo, s21
	v_cmp_lt_u32_e64 s20, v36, v97
	s_and_saveexec_b32 s22, s20
	s_cbranch_execz .LBB1745_117
.LBB1745_153:                           ;   in Loop: Header=BB1745_64 Depth=2
	ds_load_u16 v99, v47 offset:4096
	s_wait_dscnt 0x0
	v_cmp_ne_u16_e64 s21, 0x8000, v99
	s_wait_alu 0xf1ff
	s_delay_alu instid0(VALU_DEP_1) | instskip(SKIP_1) | instid1(VALU_DEP_2)
	v_cndmask_b32_e64 v2, 0x7fff, v99, s21
	v_cmp_gt_i16_e64 s21, 0, v99
	v_and_b32_e32 v2, 0xffff, v2
	s_wait_alu 0xf1ff
	s_delay_alu instid0(VALU_DEP_2) | instskip(NEXT) | instid1(VALU_DEP_2)
	v_cndmask_b32_e64 v101, 0x7fff, 0, s21
	v_lshrrev_b32_e32 v2, s23, v2
	s_delay_alu instid0(VALU_DEP_1) | instskip(NEXT) | instid1(VALU_DEP_1)
	v_and_b32_e32 v2, s42, v2
	v_lshlrev_b32_e32 v2, 2, v2
	ds_load_b32 v2, v2
	s_wait_dscnt 0x0
	v_add_nc_u32_e32 v2, v2, v36
	s_delay_alu instid0(VALU_DEP_1) | instskip(SKIP_1) | instid1(VALU_DEP_2)
	v_lshlrev_b64_e32 v[20:21], 1, v[2:3]
	v_xor_b32_e32 v2, v101, v99
	v_add_co_u32 v20, s21, s38, v20
	s_wait_alu 0xf1ff
	s_delay_alu instid0(VALU_DEP_3)
	v_add_co_ci_u32_e64 v21, null, s39, v21, s21
	global_store_b16 v[20:21], v2, off
	s_wait_alu 0xfffe
	s_or_b32 exec_lo, exec_lo, s22
	v_cmp_lt_u32_e64 s21, v37, v97
	s_and_saveexec_b32 s48, s21
	s_cbranch_execnz .LBB1745_118
	s_branch .LBB1745_119
.LBB1745_154:                           ;   in Loop: Header=BB1745_64 Depth=2
	global_load_b64 v[18:19], v[20:21], off
	s_wait_alu 0xfffe
	s_or_b32 exec_lo, exec_lo, s22
	s_delay_alu instid0(SALU_CYCLE_1)
	s_mov_b32 s30, exec_lo
	v_cmpx_lt_u32_e64 v70, v97
	s_cbranch_execz .LBB1745_121
.LBB1745_155:                           ;   in Loop: Header=BB1745_64 Depth=2
	global_load_b64 v[16:17], v[20:21], off offset:256
	s_wait_alu 0xfffe
	s_or_b32 exec_lo, exec_lo, s30
	s_delay_alu instid0(SALU_CYCLE_1)
	s_mov_b32 s30, exec_lo
	v_cmpx_lt_u32_e64 v71, v97
	s_cbranch_execz .LBB1745_122
.LBB1745_156:                           ;   in Loop: Header=BB1745_64 Depth=2
	global_load_b64 v[14:15], v[20:21], off offset:512
	s_wait_alu 0xfffe
	s_or_b32 exec_lo, exec_lo, s30
	s_delay_alu instid0(SALU_CYCLE_1)
	s_mov_b32 s30, exec_lo
	v_cmpx_lt_u32_e64 v72, v97
	s_cbranch_execz .LBB1745_123
.LBB1745_157:                           ;   in Loop: Header=BB1745_64 Depth=2
	global_load_b64 v[12:13], v[20:21], off offset:768
	s_wait_alu 0xfffe
	s_or_b32 exec_lo, exec_lo, s30
	s_delay_alu instid0(SALU_CYCLE_1)
	s_mov_b32 s30, exec_lo
	v_cmpx_lt_u32_e64 v73, v97
	s_cbranch_execz .LBB1745_124
.LBB1745_158:                           ;   in Loop: Header=BB1745_64 Depth=2
	global_load_b64 v[10:11], v[20:21], off offset:1024
	s_wait_alu 0xfffe
	s_or_b32 exec_lo, exec_lo, s30
	s_delay_alu instid0(SALU_CYCLE_1)
	s_mov_b32 s30, exec_lo
	v_cmpx_lt_u32_e64 v74, v97
	s_cbranch_execz .LBB1745_125
.LBB1745_159:                           ;   in Loop: Header=BB1745_64 Depth=2
	global_load_b64 v[8:9], v[20:21], off offset:1280
	s_wait_alu 0xfffe
	s_or_b32 exec_lo, exec_lo, s30
	s_delay_alu instid0(SALU_CYCLE_1)
	s_mov_b32 s30, exec_lo
	v_cmpx_lt_u32_e64 v75, v97
	s_cbranch_execz .LBB1745_126
.LBB1745_160:                           ;   in Loop: Header=BB1745_64 Depth=2
	global_load_b64 v[6:7], v[20:21], off offset:1536
	s_wait_alu 0xfffe
	s_or_b32 exec_lo, exec_lo, s30
	s_delay_alu instid0(SALU_CYCLE_1)
	s_mov_b32 s30, exec_lo
	v_cmpx_lt_u32_e64 v76, v97
	s_cbranch_execz .LBB1745_127
.LBB1745_161:                           ;   in Loop: Header=BB1745_64 Depth=2
	global_load_b64 v[4:5], v[20:21], off offset:1792
	s_wait_alu 0xfffe
	s_or_b32 exec_lo, exec_lo, s30
	s_and_saveexec_b32 s30, vcc_lo
	s_cbranch_execz .LBB1745_128
.LBB1745_162:                           ;   in Loop: Header=BB1745_64 Depth=2
	ds_load_u16 v2, v47 offset:1024
	s_wait_dscnt 0x0
	v_cmp_ne_u16_e64 s22, 0x8000, v2
	s_wait_alu 0xf1ff
	s_delay_alu instid0(VALU_DEP_1) | instskip(NEXT) | instid1(VALU_DEP_1)
	v_cndmask_b32_e64 v2, 0x7fff, v2, s22
	v_and_b32_e32 v2, 0xffff, v2
	s_delay_alu instid0(VALU_DEP_1) | instskip(NEXT) | instid1(VALU_DEP_1)
	v_lshrrev_b32_e32 v2, s23, v2
	v_and_b32_e32 v96, s42, v2
	s_wait_alu 0xfffe
	s_or_b32 exec_lo, exec_lo, s30
	s_and_saveexec_b32 s30, s15
	s_cbranch_execz .LBB1745_129
.LBB1745_163:                           ;   in Loop: Header=BB1745_64 Depth=2
	ds_load_u16 v2, v47 offset:1536
	s_wait_dscnt 0x0
	v_cmp_ne_u16_e64 s22, 0x8000, v2
	s_wait_alu 0xf1ff
	s_delay_alu instid0(VALU_DEP_1) | instskip(NEXT) | instid1(VALU_DEP_1)
	v_cndmask_b32_e64 v2, 0x7fff, v2, s22
	v_and_b32_e32 v2, 0xffff, v2
	s_delay_alu instid0(VALU_DEP_1) | instskip(NEXT) | instid1(VALU_DEP_1)
	v_lshrrev_b32_e32 v2, s23, v2
	v_and_b32_e32 v95, s42, v2
	s_wait_alu 0xfffe
	s_or_b32 exec_lo, exec_lo, s30
	s_and_saveexec_b32 s30, s16
	s_cbranch_execz .LBB1745_130
.LBB1745_164:                           ;   in Loop: Header=BB1745_64 Depth=2
	ds_load_u16 v2, v47 offset:2048
	s_wait_dscnt 0x0
	v_cmp_ne_u16_e64 s22, 0x8000, v2
	s_wait_alu 0xf1ff
	s_delay_alu instid0(VALU_DEP_1) | instskip(NEXT) | instid1(VALU_DEP_1)
	v_cndmask_b32_e64 v2, 0x7fff, v2, s22
	v_and_b32_e32 v2, 0xffff, v2
	s_delay_alu instid0(VALU_DEP_1) | instskip(NEXT) | instid1(VALU_DEP_1)
	v_lshrrev_b32_e32 v2, s23, v2
	v_and_b32_e32 v94, s42, v2
	s_wait_alu 0xfffe
	s_or_b32 exec_lo, exec_lo, s30
	s_and_saveexec_b32 s30, s17
	s_cbranch_execz .LBB1745_131
.LBB1745_165:                           ;   in Loop: Header=BB1745_64 Depth=2
	ds_load_u16 v2, v47 offset:2560
	s_wait_dscnt 0x0
	v_cmp_ne_u16_e64 s22, 0x8000, v2
	s_wait_alu 0xf1ff
	s_delay_alu instid0(VALU_DEP_1) | instskip(NEXT) | instid1(VALU_DEP_1)
	v_cndmask_b32_e64 v2, 0x7fff, v2, s22
	v_and_b32_e32 v2, 0xffff, v2
	s_delay_alu instid0(VALU_DEP_1) | instskip(NEXT) | instid1(VALU_DEP_1)
	v_lshrrev_b32_e32 v2, s23, v2
	v_and_b32_e32 v93, s42, v2
	s_wait_alu 0xfffe
	s_or_b32 exec_lo, exec_lo, s30
	s_and_saveexec_b32 s30, s18
	s_cbranch_execz .LBB1745_132
.LBB1745_166:                           ;   in Loop: Header=BB1745_64 Depth=2
	ds_load_u16 v2, v47 offset:3072
	s_wait_dscnt 0x0
	v_cmp_ne_u16_e64 s22, 0x8000, v2
	s_wait_alu 0xf1ff
	s_delay_alu instid0(VALU_DEP_1) | instskip(NEXT) | instid1(VALU_DEP_1)
	v_cndmask_b32_e64 v2, 0x7fff, v2, s22
	v_and_b32_e32 v2, 0xffff, v2
	s_delay_alu instid0(VALU_DEP_1) | instskip(NEXT) | instid1(VALU_DEP_1)
	v_lshrrev_b32_e32 v2, s23, v2
	v_and_b32_e32 v92, s42, v2
	s_wait_alu 0xfffe
	s_or_b32 exec_lo, exec_lo, s30
	s_and_saveexec_b32 s30, s19
	s_cbranch_execz .LBB1745_133
.LBB1745_167:                           ;   in Loop: Header=BB1745_64 Depth=2
	ds_load_u16 v2, v47 offset:3584
	s_wait_dscnt 0x0
	v_cmp_ne_u16_e64 s22, 0x8000, v2
	s_wait_alu 0xf1ff
	s_delay_alu instid0(VALU_DEP_1) | instskip(NEXT) | instid1(VALU_DEP_1)
	v_cndmask_b32_e64 v2, 0x7fff, v2, s22
	v_and_b32_e32 v2, 0xffff, v2
	s_delay_alu instid0(VALU_DEP_1) | instskip(NEXT) | instid1(VALU_DEP_1)
	v_lshrrev_b32_e32 v2, s23, v2
	v_and_b32_e32 v91, s42, v2
	s_wait_alu 0xfffe
	s_or_b32 exec_lo, exec_lo, s30
	s_and_saveexec_b32 s30, s20
	s_cbranch_execz .LBB1745_134
.LBB1745_168:                           ;   in Loop: Header=BB1745_64 Depth=2
	ds_load_u16 v2, v47 offset:4096
	s_wait_dscnt 0x0
	v_cmp_ne_u16_e64 s22, 0x8000, v2
	s_wait_alu 0xf1ff
	s_delay_alu instid0(VALU_DEP_1) | instskip(NEXT) | instid1(VALU_DEP_1)
	v_cndmask_b32_e64 v2, 0x7fff, v2, s22
	v_and_b32_e32 v2, 0xffff, v2
	s_delay_alu instid0(VALU_DEP_1) | instskip(NEXT) | instid1(VALU_DEP_1)
	v_lshrrev_b32_e32 v2, s23, v2
	v_and_b32_e32 v90, s42, v2
	s_wait_alu 0xfffe
	s_or_b32 exec_lo, exec_lo, s30
	s_and_saveexec_b32 s30, s21
	s_cbranch_execnz .LBB1745_135
	s_branch .LBB1745_136
.LBB1745_169:                           ;   in Loop: Header=BB1745_64 Depth=2
	v_lshlrev_b32_e32 v2, 2, v96
	v_add_nc_u32_e32 v20, v47, v48
	ds_load_b32 v2, v2
	ds_load_b64 v[20:21], v20 offset:1024
	s_wait_dscnt 0x1
	v_add_nc_u32_e32 v2, v2, v1
	s_delay_alu instid0(VALU_DEP_1) | instskip(NEXT) | instid1(VALU_DEP_1)
	v_lshlrev_b64_e32 v[23:24], 3, v[2:3]
	v_add_co_u32 v23, vcc_lo, s24, v23
	s_wait_alu 0xfffd
	s_delay_alu instid0(VALU_DEP_2)
	v_add_co_ci_u32_e64 v24, null, s25, v24, vcc_lo
	s_wait_dscnt 0x0
	global_store_b64 v[23:24], v[20:21], off
	s_wait_alu 0xfffe
	s_or_b32 exec_lo, exec_lo, s22
	s_and_saveexec_b32 s22, s15
	s_cbranch_execz .LBB1745_138
.LBB1745_170:                           ;   in Loop: Header=BB1745_64 Depth=2
	v_lshlrev_b32_e32 v2, 2, v95
	v_add_nc_u32_e32 v20, v47, v48
	ds_load_b32 v2, v2
	ds_load_b64 v[20:21], v20 offset:3072
	s_wait_dscnt 0x1
	v_add_nc_u32_e32 v2, v2, v29
	s_delay_alu instid0(VALU_DEP_1) | instskip(NEXT) | instid1(VALU_DEP_1)
	v_lshlrev_b64_e32 v[23:24], 3, v[2:3]
	v_add_co_u32 v23, vcc_lo, s24, v23
	s_wait_alu 0xfffd
	s_delay_alu instid0(VALU_DEP_2)
	v_add_co_ci_u32_e64 v24, null, s25, v24, vcc_lo
	s_wait_dscnt 0x0
	global_store_b64 v[23:24], v[20:21], off
	s_wait_alu 0xfffe
	s_or_b32 exec_lo, exec_lo, s22
	s_and_saveexec_b32 s15, s16
	s_cbranch_execz .LBB1745_139
.LBB1745_171:                           ;   in Loop: Header=BB1745_64 Depth=2
	v_lshlrev_b32_e32 v2, 2, v94
	v_add_nc_u32_e32 v20, v47, v48
	ds_load_b32 v2, v2
	ds_load_b64 v[20:21], v20 offset:5120
	s_wait_dscnt 0x1
	v_add_nc_u32_e32 v2, v2, v30
	s_delay_alu instid0(VALU_DEP_1) | instskip(NEXT) | instid1(VALU_DEP_1)
	v_lshlrev_b64_e32 v[23:24], 3, v[2:3]
	v_add_co_u32 v23, vcc_lo, s24, v23
	s_wait_alu 0xfffd
	s_delay_alu instid0(VALU_DEP_2)
	v_add_co_ci_u32_e64 v24, null, s25, v24, vcc_lo
	s_wait_dscnt 0x0
	global_store_b64 v[23:24], v[20:21], off
	s_wait_alu 0xfffe
	s_or_b32 exec_lo, exec_lo, s15
	s_and_saveexec_b32 s15, s17
	s_cbranch_execz .LBB1745_140
.LBB1745_172:                           ;   in Loop: Header=BB1745_64 Depth=2
	v_lshlrev_b32_e32 v2, 2, v93
	v_add_nc_u32_e32 v20, v47, v48
	ds_load_b32 v2, v2
	ds_load_b64 v[20:21], v20 offset:7168
	s_wait_dscnt 0x1
	v_add_nc_u32_e32 v2, v2, v31
	s_delay_alu instid0(VALU_DEP_1) | instskip(NEXT) | instid1(VALU_DEP_1)
	v_lshlrev_b64_e32 v[23:24], 3, v[2:3]
	v_add_co_u32 v23, vcc_lo, s24, v23
	s_wait_alu 0xfffd
	s_delay_alu instid0(VALU_DEP_2)
	v_add_co_ci_u32_e64 v24, null, s25, v24, vcc_lo
	s_wait_dscnt 0x0
	global_store_b64 v[23:24], v[20:21], off
	s_wait_alu 0xfffe
	s_or_b32 exec_lo, exec_lo, s15
	s_and_saveexec_b32 s15, s18
	s_cbranch_execz .LBB1745_141
.LBB1745_173:                           ;   in Loop: Header=BB1745_64 Depth=2
	v_lshlrev_b32_e32 v2, 2, v92
	v_add_nc_u32_e32 v20, v47, v48
	ds_load_b32 v2, v2
	ds_load_b64 v[20:21], v20 offset:9216
	s_wait_dscnt 0x1
	v_add_nc_u32_e32 v2, v2, v34
	s_delay_alu instid0(VALU_DEP_1) | instskip(NEXT) | instid1(VALU_DEP_1)
	v_lshlrev_b64_e32 v[23:24], 3, v[2:3]
	v_add_co_u32 v23, vcc_lo, s24, v23
	s_wait_alu 0xfffd
	s_delay_alu instid0(VALU_DEP_2)
	v_add_co_ci_u32_e64 v24, null, s25, v24, vcc_lo
	s_wait_dscnt 0x0
	global_store_b64 v[23:24], v[20:21], off
	s_wait_alu 0xfffe
	s_or_b32 exec_lo, exec_lo, s15
	s_and_saveexec_b32 s15, s19
	s_cbranch_execz .LBB1745_142
.LBB1745_174:                           ;   in Loop: Header=BB1745_64 Depth=2
	v_lshlrev_b32_e32 v2, 2, v91
	v_add_nc_u32_e32 v20, v47, v48
	ds_load_b32 v2, v2
	ds_load_b64 v[20:21], v20 offset:11264
	s_wait_dscnt 0x1
	v_add_nc_u32_e32 v2, v2, v35
	s_delay_alu instid0(VALU_DEP_1) | instskip(NEXT) | instid1(VALU_DEP_1)
	v_lshlrev_b64_e32 v[23:24], 3, v[2:3]
	v_add_co_u32 v23, vcc_lo, s24, v23
	s_wait_alu 0xfffd
	s_delay_alu instid0(VALU_DEP_2)
	v_add_co_ci_u32_e64 v24, null, s25, v24, vcc_lo
	s_wait_dscnt 0x0
	global_store_b64 v[23:24], v[20:21], off
	s_wait_alu 0xfffe
	s_or_b32 exec_lo, exec_lo, s15
	s_and_saveexec_b32 s15, s20
	s_cbranch_execz .LBB1745_143
.LBB1745_175:                           ;   in Loop: Header=BB1745_64 Depth=2
	v_lshlrev_b32_e32 v2, 2, v90
	v_add_nc_u32_e32 v20, v47, v48
	ds_load_b32 v2, v2
	ds_load_b64 v[20:21], v20 offset:13312
	s_wait_dscnt 0x1
	v_add_nc_u32_e32 v2, v2, v36
	s_delay_alu instid0(VALU_DEP_1) | instskip(NEXT) | instid1(VALU_DEP_1)
	v_lshlrev_b64_e32 v[23:24], 3, v[2:3]
	v_add_co_u32 v23, vcc_lo, s24, v23
	s_wait_alu 0xfffd
	s_delay_alu instid0(VALU_DEP_2)
	v_add_co_ci_u32_e64 v24, null, s25, v24, vcc_lo
	s_wait_dscnt 0x0
	global_store_b64 v[23:24], v[20:21], off
	s_wait_alu 0xfffe
	s_or_b32 exec_lo, exec_lo, s15
	s_and_saveexec_b32 s15, s21
	s_cbranch_execnz .LBB1745_144
	s_branch .LBB1745_145
.LBB1745_176:                           ;   in Loop: Header=BB1745_12 Depth=1
	s_wait_loadcnt_dscnt 0x0
	s_barrier_signal -1
	s_mov_b32 s0, 0
	s_barrier_wait -1
.LBB1745_177:                           ;   in Loop: Header=BB1745_12 Depth=1
	s_wait_alu 0xfffe
	s_and_b32 vcc_lo, exec_lo, s0
	s_wait_alu 0xfffe
	s_cbranch_vccz .LBB1745_341
; %bb.178:                              ;   in Loop: Header=BB1745_12 Depth=1
	s_mov_b32 s9, s47
	s_mov_b32 s30, s33
	s_barrier_signal -1
	s_barrier_wait -1
	global_inv scope:SCOPE_SE
                                        ; implicit-def: $vgpr2
                                        ; implicit-def: $vgpr4
                                        ; implicit-def: $vgpr5
                                        ; implicit-def: $vgpr6
                                        ; implicit-def: $vgpr7
                                        ; implicit-def: $vgpr8
                                        ; implicit-def: $vgpr9
                                        ; implicit-def: $vgpr10
	s_branch .LBB1745_180
.LBB1745_179:                           ;   in Loop: Header=BB1745_180 Depth=2
	s_wait_alu 0xfffe
	s_or_b32 exec_lo, exec_lo, s0
	s_addk_co_i32 s9, 0xf800
	s_cmp_ge_u32 s10, s34
	s_mov_b32 s30, s10
	s_cbranch_scc1 .LBB1745_216
.LBB1745_180:                           ;   Parent Loop BB1745_12 Depth=1
                                        ; =>  This Inner Loop Header: Depth=2
	s_wait_alu 0xfffe
	s_add_co_i32 s10, s30, 0x800
	s_mov_b32 s0, -1
	s_wait_alu 0xfffe
	s_cmp_gt_u32 s10, s34
                                        ; implicit-def: $vgpr11
                                        ; implicit-def: $vgpr12
                                        ; implicit-def: $vgpr13
                                        ; implicit-def: $vgpr14
                                        ; implicit-def: $vgpr15
                                        ; implicit-def: $vgpr16
                                        ; implicit-def: $vgpr17
                                        ; implicit-def: $vgpr18
	s_cbranch_scc1 .LBB1745_182
; %bb.181:                              ;   in Loop: Header=BB1745_180 Depth=2
	s_lshl_b64 s[0:1], s[30:31], 1
	s_wait_alu 0xfffe
	v_add_co_u32 v18, vcc_lo, v49, s0
	s_wait_alu 0xfffd
	v_add_co_ci_u32_e64 v19, null, s1, v50, vcc_lo
	s_mov_b32 s0, 0
	s_clause 0x7
	global_load_u16 v11, v[18:19], off
	global_load_u16 v12, v[18:19], off offset:512
	global_load_u16 v13, v[18:19], off offset:1024
	;; [unrolled: 1-line block ×7, first 2 shown]
.LBB1745_182:                           ;   in Loop: Header=BB1745_180 Depth=2
	s_wait_alu 0xfffe
	s_and_not1_b32 vcc_lo, exec_lo, s0
	s_movk_i32 s0, 0x800
	s_wait_alu 0xfffe
	s_cbranch_vccnz .LBB1745_193
; %bb.183:                              ;   in Loop: Header=BB1745_180 Depth=2
	s_lshl_b64 s[0:1], s[30:31], 1
	s_mov_b32 s11, exec_lo
	s_wait_alu 0xfffe
	s_add_nc_u64 s[0:1], s[38:39], s[0:1]
	v_cmpx_gt_u32_e64 s9, v1
	s_cbranch_execnz .LBB1745_209
; %bb.184:                              ;   in Loop: Header=BB1745_180 Depth=2
	s_or_b32 exec_lo, exec_lo, s11
	s_delay_alu instid0(SALU_CYCLE_1)
	s_mov_b32 s11, exec_lo
	v_cmpx_gt_u32_e64 s9, v29
	s_cbranch_execnz .LBB1745_210
.LBB1745_185:                           ;   in Loop: Header=BB1745_180 Depth=2
	s_wait_alu 0xfffe
	s_or_b32 exec_lo, exec_lo, s11
	s_delay_alu instid0(SALU_CYCLE_1)
	s_mov_b32 s11, exec_lo
	v_cmpx_gt_u32_e64 s9, v30
	s_cbranch_execnz .LBB1745_211
.LBB1745_186:                           ;   in Loop: Header=BB1745_180 Depth=2
	s_wait_alu 0xfffe
	s_or_b32 exec_lo, exec_lo, s11
	s_delay_alu instid0(SALU_CYCLE_1)
	s_mov_b32 s11, exec_lo
	v_cmpx_gt_u32_e64 s9, v31
	s_cbranch_execnz .LBB1745_212
.LBB1745_187:                           ;   in Loop: Header=BB1745_180 Depth=2
	s_wait_alu 0xfffe
	s_or_b32 exec_lo, exec_lo, s11
	s_delay_alu instid0(SALU_CYCLE_1)
	s_mov_b32 s11, exec_lo
	v_cmpx_gt_u32_e64 s9, v34
	s_cbranch_execnz .LBB1745_213
.LBB1745_188:                           ;   in Loop: Header=BB1745_180 Depth=2
	s_wait_alu 0xfffe
	s_or_b32 exec_lo, exec_lo, s11
	s_delay_alu instid0(SALU_CYCLE_1)
	s_mov_b32 s11, exec_lo
	v_cmpx_gt_u32_e64 s9, v35
	s_cbranch_execnz .LBB1745_214
.LBB1745_189:                           ;   in Loop: Header=BB1745_180 Depth=2
	s_wait_alu 0xfffe
	s_or_b32 exec_lo, exec_lo, s11
	s_delay_alu instid0(SALU_CYCLE_1)
	s_mov_b32 s11, exec_lo
	v_cmpx_gt_u32_e64 s9, v36
	s_cbranch_execnz .LBB1745_215
.LBB1745_190:                           ;   in Loop: Header=BB1745_180 Depth=2
	s_wait_alu 0xfffe
	s_or_b32 exec_lo, exec_lo, s11
	s_delay_alu instid0(SALU_CYCLE_1)
	s_mov_b32 s11, exec_lo
	v_cmpx_gt_u32_e64 s9, v37
	s_cbranch_execz .LBB1745_192
.LBB1745_191:                           ;   in Loop: Header=BB1745_180 Depth=2
	global_load_u16 v2, v82, s[0:1] offset:3584
.LBB1745_192:                           ;   in Loop: Header=BB1745_180 Depth=2
	s_wait_alu 0xfffe
	s_or_b32 exec_lo, exec_lo, s11
	s_wait_loadcnt 0x0
	v_dual_mov_b32 v11, v10 :: v_dual_mov_b32 v12, v9
	v_dual_mov_b32 v13, v8 :: v_dual_mov_b32 v14, v7
	;; [unrolled: 1-line block ×4, first 2 shown]
	s_mov_b32 s0, s9
.LBB1745_193:                           ;   in Loop: Header=BB1745_180 Depth=2
	s_wait_loadcnt 0x0
	s_delay_alu instid0(VALU_DEP_1) | instskip(NEXT) | instid1(VALU_DEP_2)
	v_dual_mov_b32 v2, v18 :: v_dual_mov_b32 v5, v16
	v_dual_mov_b32 v4, v17 :: v_dual_mov_b32 v7, v14
	;; [unrolled: 1-line block ×3, first 2 shown]
	v_mov_b32_e32 v8, v13
	v_mov_b32_e32 v10, v11
	s_mov_b32 s1, exec_lo
	s_wait_alu 0xfffe
	v_cmpx_gt_u32_e64 s0, v1
	s_cbranch_execnz .LBB1745_201
; %bb.194:                              ;   in Loop: Header=BB1745_180 Depth=2
	s_or_b32 exec_lo, exec_lo, s1
	s_delay_alu instid0(SALU_CYCLE_1)
	s_mov_b32 s1, exec_lo
	v_cmpx_gt_u32_e64 s0, v29
	s_cbranch_execnz .LBB1745_202
.LBB1745_195:                           ;   in Loop: Header=BB1745_180 Depth=2
	s_wait_alu 0xfffe
	s_or_b32 exec_lo, exec_lo, s1
	s_delay_alu instid0(SALU_CYCLE_1)
	s_mov_b32 s1, exec_lo
	v_cmpx_gt_u32_e64 s0, v30
	s_cbranch_execnz .LBB1745_203
.LBB1745_196:                           ;   in Loop: Header=BB1745_180 Depth=2
	s_wait_alu 0xfffe
	s_or_b32 exec_lo, exec_lo, s1
	s_delay_alu instid0(SALU_CYCLE_1)
	s_mov_b32 s1, exec_lo
	v_cmpx_gt_u32_e64 s0, v31
	s_cbranch_execnz .LBB1745_204
.LBB1745_197:                           ;   in Loop: Header=BB1745_180 Depth=2
	s_wait_alu 0xfffe
	s_or_b32 exec_lo, exec_lo, s1
	s_delay_alu instid0(SALU_CYCLE_1)
	s_mov_b32 s1, exec_lo
	v_cmpx_gt_u32_e64 s0, v34
	s_cbranch_execnz .LBB1745_205
.LBB1745_198:                           ;   in Loop: Header=BB1745_180 Depth=2
	s_wait_alu 0xfffe
	s_or_b32 exec_lo, exec_lo, s1
	s_delay_alu instid0(SALU_CYCLE_1)
	s_mov_b32 s1, exec_lo
	v_cmpx_gt_u32_e64 s0, v35
	s_cbranch_execnz .LBB1745_206
.LBB1745_199:                           ;   in Loop: Header=BB1745_180 Depth=2
	s_wait_alu 0xfffe
	s_or_b32 exec_lo, exec_lo, s1
	s_delay_alu instid0(SALU_CYCLE_1)
	s_mov_b32 s1, exec_lo
	v_cmpx_gt_u32_e64 s0, v36
	s_cbranch_execnz .LBB1745_207
.LBB1745_200:                           ;   in Loop: Header=BB1745_180 Depth=2
	s_wait_alu 0xfffe
	s_or_b32 exec_lo, exec_lo, s1
	v_cmp_gt_u32_e32 vcc_lo, s0, v37
	s_and_saveexec_b32 s0, vcc_lo
	s_cbranch_execz .LBB1745_179
	s_branch .LBB1745_208
.LBB1745_201:                           ;   in Loop: Header=BB1745_180 Depth=2
	v_cmp_gt_i16_e32 vcc_lo, 0, v10
	s_wait_alu 0xfffd
	v_cndmask_b32_e64 v11, 0x7fff, 0, vcc_lo
	s_delay_alu instid0(VALU_DEP_1) | instskip(NEXT) | instid1(VALU_DEP_1)
	v_xor_b32_e32 v11, v11, v10
	v_cmp_ne_u16_e32 vcc_lo, 0x8000, v11
	s_wait_alu 0xfffd
	v_cndmask_b32_e32 v11, 0x7fff, v11, vcc_lo
	s_delay_alu instid0(VALU_DEP_1) | instskip(NEXT) | instid1(VALU_DEP_1)
	v_and_b32_e32 v11, 0xffff, v11
	v_lshrrev_b32_e32 v11, s23, v11
	s_delay_alu instid0(VALU_DEP_1) | instskip(NEXT) | instid1(VALU_DEP_1)
	v_and_b32_e32 v11, s42, v11
	v_lshl_or_b32 v11, v11, 4, v39
	ds_add_u32 v11, v62
	s_or_b32 exec_lo, exec_lo, s1
	s_delay_alu instid0(SALU_CYCLE_1)
	s_mov_b32 s1, exec_lo
	v_cmpx_gt_u32_e64 s0, v29
	s_cbranch_execz .LBB1745_195
.LBB1745_202:                           ;   in Loop: Header=BB1745_180 Depth=2
	v_cmp_gt_i16_e32 vcc_lo, 0, v9
	s_wait_alu 0xfffd
	v_cndmask_b32_e64 v11, 0x7fff, 0, vcc_lo
	s_delay_alu instid0(VALU_DEP_1) | instskip(NEXT) | instid1(VALU_DEP_1)
	v_xor_b32_e32 v11, v11, v9
	v_cmp_ne_u16_e32 vcc_lo, 0x8000, v11
	s_wait_alu 0xfffd
	v_cndmask_b32_e32 v11, 0x7fff, v11, vcc_lo
	s_delay_alu instid0(VALU_DEP_1) | instskip(NEXT) | instid1(VALU_DEP_1)
	v_and_b32_e32 v11, 0xffff, v11
	v_lshrrev_b32_e32 v11, s23, v11
	s_delay_alu instid0(VALU_DEP_1) | instskip(NEXT) | instid1(VALU_DEP_1)
	v_and_b32_e32 v11, s42, v11
	v_lshl_or_b32 v11, v11, 4, v39
	ds_add_u32 v11, v62
	s_wait_alu 0xfffe
	s_or_b32 exec_lo, exec_lo, s1
	s_delay_alu instid0(SALU_CYCLE_1)
	s_mov_b32 s1, exec_lo
	v_cmpx_gt_u32_e64 s0, v30
	s_cbranch_execz .LBB1745_196
.LBB1745_203:                           ;   in Loop: Header=BB1745_180 Depth=2
	v_cmp_gt_i16_e32 vcc_lo, 0, v8
	s_wait_alu 0xfffd
	v_cndmask_b32_e64 v11, 0x7fff, 0, vcc_lo
	s_delay_alu instid0(VALU_DEP_1) | instskip(NEXT) | instid1(VALU_DEP_1)
	v_xor_b32_e32 v11, v11, v8
	v_cmp_ne_u16_e32 vcc_lo, 0x8000, v11
	s_wait_alu 0xfffd
	v_cndmask_b32_e32 v11, 0x7fff, v11, vcc_lo
	s_delay_alu instid0(VALU_DEP_1) | instskip(NEXT) | instid1(VALU_DEP_1)
	v_and_b32_e32 v11, 0xffff, v11
	v_lshrrev_b32_e32 v11, s23, v11
	s_delay_alu instid0(VALU_DEP_1) | instskip(NEXT) | instid1(VALU_DEP_1)
	v_and_b32_e32 v11, s42, v11
	v_lshl_or_b32 v11, v11, 4, v39
	ds_add_u32 v11, v62
	s_wait_alu 0xfffe
	s_or_b32 exec_lo, exec_lo, s1
	s_delay_alu instid0(SALU_CYCLE_1)
	s_mov_b32 s1, exec_lo
	v_cmpx_gt_u32_e64 s0, v31
	s_cbranch_execz .LBB1745_197
.LBB1745_204:                           ;   in Loop: Header=BB1745_180 Depth=2
	v_cmp_gt_i16_e32 vcc_lo, 0, v7
	s_wait_alu 0xfffd
	v_cndmask_b32_e64 v11, 0x7fff, 0, vcc_lo
	s_delay_alu instid0(VALU_DEP_1) | instskip(NEXT) | instid1(VALU_DEP_1)
	v_xor_b32_e32 v11, v11, v7
	v_cmp_ne_u16_e32 vcc_lo, 0x8000, v11
	s_wait_alu 0xfffd
	v_cndmask_b32_e32 v11, 0x7fff, v11, vcc_lo
	s_delay_alu instid0(VALU_DEP_1) | instskip(NEXT) | instid1(VALU_DEP_1)
	v_and_b32_e32 v11, 0xffff, v11
	v_lshrrev_b32_e32 v11, s23, v11
	s_delay_alu instid0(VALU_DEP_1) | instskip(NEXT) | instid1(VALU_DEP_1)
	v_and_b32_e32 v11, s42, v11
	v_lshl_or_b32 v11, v11, 4, v39
	ds_add_u32 v11, v62
	s_wait_alu 0xfffe
	s_or_b32 exec_lo, exec_lo, s1
	s_delay_alu instid0(SALU_CYCLE_1)
	s_mov_b32 s1, exec_lo
	v_cmpx_gt_u32_e64 s0, v34
	s_cbranch_execz .LBB1745_198
.LBB1745_205:                           ;   in Loop: Header=BB1745_180 Depth=2
	v_cmp_gt_i16_e32 vcc_lo, 0, v6
	s_wait_alu 0xfffd
	v_cndmask_b32_e64 v11, 0x7fff, 0, vcc_lo
	s_delay_alu instid0(VALU_DEP_1) | instskip(NEXT) | instid1(VALU_DEP_1)
	v_xor_b32_e32 v11, v11, v6
	v_cmp_ne_u16_e32 vcc_lo, 0x8000, v11
	s_wait_alu 0xfffd
	v_cndmask_b32_e32 v11, 0x7fff, v11, vcc_lo
	s_delay_alu instid0(VALU_DEP_1) | instskip(NEXT) | instid1(VALU_DEP_1)
	v_and_b32_e32 v11, 0xffff, v11
	v_lshrrev_b32_e32 v11, s23, v11
	s_delay_alu instid0(VALU_DEP_1) | instskip(NEXT) | instid1(VALU_DEP_1)
	v_and_b32_e32 v11, s42, v11
	v_lshl_or_b32 v11, v11, 4, v39
	ds_add_u32 v11, v62
	s_wait_alu 0xfffe
	s_or_b32 exec_lo, exec_lo, s1
	s_delay_alu instid0(SALU_CYCLE_1)
	s_mov_b32 s1, exec_lo
	v_cmpx_gt_u32_e64 s0, v35
	s_cbranch_execz .LBB1745_199
.LBB1745_206:                           ;   in Loop: Header=BB1745_180 Depth=2
	v_cmp_gt_i16_e32 vcc_lo, 0, v5
	s_wait_alu 0xfffd
	v_cndmask_b32_e64 v11, 0x7fff, 0, vcc_lo
	s_delay_alu instid0(VALU_DEP_1) | instskip(NEXT) | instid1(VALU_DEP_1)
	v_xor_b32_e32 v11, v11, v5
	v_cmp_ne_u16_e32 vcc_lo, 0x8000, v11
	s_wait_alu 0xfffd
	v_cndmask_b32_e32 v11, 0x7fff, v11, vcc_lo
	s_delay_alu instid0(VALU_DEP_1) | instskip(NEXT) | instid1(VALU_DEP_1)
	v_and_b32_e32 v11, 0xffff, v11
	v_lshrrev_b32_e32 v11, s23, v11
	s_delay_alu instid0(VALU_DEP_1) | instskip(NEXT) | instid1(VALU_DEP_1)
	v_and_b32_e32 v11, s42, v11
	v_lshl_or_b32 v11, v11, 4, v39
	ds_add_u32 v11, v62
	s_wait_alu 0xfffe
	s_or_b32 exec_lo, exec_lo, s1
	s_delay_alu instid0(SALU_CYCLE_1)
	s_mov_b32 s1, exec_lo
	v_cmpx_gt_u32_e64 s0, v36
	s_cbranch_execz .LBB1745_200
.LBB1745_207:                           ;   in Loop: Header=BB1745_180 Depth=2
	v_cmp_gt_i16_e32 vcc_lo, 0, v4
	s_wait_alu 0xfffd
	v_cndmask_b32_e64 v11, 0x7fff, 0, vcc_lo
	s_delay_alu instid0(VALU_DEP_1) | instskip(NEXT) | instid1(VALU_DEP_1)
	v_xor_b32_e32 v11, v11, v4
	v_cmp_ne_u16_e32 vcc_lo, 0x8000, v11
	s_wait_alu 0xfffd
	v_cndmask_b32_e32 v11, 0x7fff, v11, vcc_lo
	s_delay_alu instid0(VALU_DEP_1) | instskip(NEXT) | instid1(VALU_DEP_1)
	v_and_b32_e32 v11, 0xffff, v11
	v_lshrrev_b32_e32 v11, s23, v11
	s_delay_alu instid0(VALU_DEP_1) | instskip(NEXT) | instid1(VALU_DEP_1)
	v_and_b32_e32 v11, s42, v11
	v_lshl_or_b32 v11, v11, 4, v39
	ds_add_u32 v11, v62
	s_wait_alu 0xfffe
	s_or_b32 exec_lo, exec_lo, s1
	v_cmp_gt_u32_e32 vcc_lo, s0, v37
	s_and_saveexec_b32 s0, vcc_lo
	s_cbranch_execz .LBB1745_179
.LBB1745_208:                           ;   in Loop: Header=BB1745_180 Depth=2
	v_cmp_gt_i16_e32 vcc_lo, 0, v2
	s_wait_alu 0xfffd
	v_cndmask_b32_e64 v11, 0x7fff, 0, vcc_lo
	s_delay_alu instid0(VALU_DEP_1) | instskip(NEXT) | instid1(VALU_DEP_1)
	v_xor_b32_e32 v11, v11, v2
	v_cmp_ne_u16_e32 vcc_lo, 0x8000, v11
	s_wait_alu 0xfffd
	v_cndmask_b32_e32 v11, 0x7fff, v11, vcc_lo
	s_delay_alu instid0(VALU_DEP_1) | instskip(NEXT) | instid1(VALU_DEP_1)
	v_and_b32_e32 v11, 0xffff, v11
	v_lshrrev_b32_e32 v11, s23, v11
	s_delay_alu instid0(VALU_DEP_1) | instskip(NEXT) | instid1(VALU_DEP_1)
	v_and_b32_e32 v11, s42, v11
	v_lshl_or_b32 v11, v11, 4, v39
	ds_add_u32 v11, v62
	s_branch .LBB1745_179
.LBB1745_209:                           ;   in Loop: Header=BB1745_180 Depth=2
	global_load_u16 v10, v82, s[0:1]
	s_or_b32 exec_lo, exec_lo, s11
	s_delay_alu instid0(SALU_CYCLE_1)
	s_mov_b32 s11, exec_lo
	v_cmpx_gt_u32_e64 s9, v29
	s_cbranch_execz .LBB1745_185
.LBB1745_210:                           ;   in Loop: Header=BB1745_180 Depth=2
	global_load_u16 v9, v82, s[0:1] offset:512
	s_wait_alu 0xfffe
	s_or_b32 exec_lo, exec_lo, s11
	s_delay_alu instid0(SALU_CYCLE_1)
	s_mov_b32 s11, exec_lo
	v_cmpx_gt_u32_e64 s9, v30
	s_cbranch_execz .LBB1745_186
.LBB1745_211:                           ;   in Loop: Header=BB1745_180 Depth=2
	global_load_u16 v8, v82, s[0:1] offset:1024
	s_wait_alu 0xfffe
	s_or_b32 exec_lo, exec_lo, s11
	s_delay_alu instid0(SALU_CYCLE_1)
	s_mov_b32 s11, exec_lo
	v_cmpx_gt_u32_e64 s9, v31
	s_cbranch_execz .LBB1745_187
.LBB1745_212:                           ;   in Loop: Header=BB1745_180 Depth=2
	global_load_u16 v7, v82, s[0:1] offset:1536
	s_wait_alu 0xfffe
	s_or_b32 exec_lo, exec_lo, s11
	s_delay_alu instid0(SALU_CYCLE_1)
	s_mov_b32 s11, exec_lo
	v_cmpx_gt_u32_e64 s9, v34
	s_cbranch_execz .LBB1745_188
.LBB1745_213:                           ;   in Loop: Header=BB1745_180 Depth=2
	global_load_u16 v6, v82, s[0:1] offset:2048
	s_wait_alu 0xfffe
	s_or_b32 exec_lo, exec_lo, s11
	s_delay_alu instid0(SALU_CYCLE_1)
	s_mov_b32 s11, exec_lo
	v_cmpx_gt_u32_e64 s9, v35
	s_cbranch_execz .LBB1745_189
.LBB1745_214:                           ;   in Loop: Header=BB1745_180 Depth=2
	global_load_u16 v5, v82, s[0:1] offset:2560
	s_wait_alu 0xfffe
	s_or_b32 exec_lo, exec_lo, s11
	s_delay_alu instid0(SALU_CYCLE_1)
	s_mov_b32 s11, exec_lo
	v_cmpx_gt_u32_e64 s9, v36
	s_cbranch_execz .LBB1745_190
.LBB1745_215:                           ;   in Loop: Header=BB1745_180 Depth=2
	global_load_u16 v4, v82, s[0:1] offset:3072
	s_wait_alu 0xfffe
	s_or_b32 exec_lo, exec_lo, s11
	s_delay_alu instid0(SALU_CYCLE_1)
	s_mov_b32 s11, exec_lo
	v_cmpx_gt_u32_e64 s9, v37
	s_cbranch_execnz .LBB1745_191
	s_branch .LBB1745_192
.LBB1745_216:                           ;   in Loop: Header=BB1745_12 Depth=1
	v_mov_b32_e32 v2, 0
	s_wait_dscnt 0x0
	s_barrier_signal -1
	s_barrier_wait -1
	global_inv scope:SCOPE_SE
	s_and_saveexec_b32 s0, s2
	s_cbranch_execz .LBB1745_218
; %bb.217:                              ;   in Loop: Header=BB1745_12 Depth=1
	ds_load_2addr_b64 v[4:7], v40 offset1:1
	s_wait_dscnt 0x0
	v_add_nc_u32_e32 v2, v5, v4
	s_delay_alu instid0(VALU_DEP_1)
	v_add3_u32 v2, v2, v6, v7
.LBB1745_218:                           ;   in Loop: Header=BB1745_12 Depth=1
	s_wait_alu 0xfffe
	s_or_b32 exec_lo, exec_lo, s0
	s_delay_alu instid0(VALU_DEP_1)
	v_mov_b32_dpp v4, v2 row_shr:1 row_mask:0xf bank_mask:0xf
	v_cmp_eq_u32_e64 s0, 0, v63
	v_cmp_lt_u32_e64 s1, 1, v63
	v_cmp_lt_u32_e64 s9, 3, v63
	;; [unrolled: 1-line block ×3, first 2 shown]
	v_cmp_eq_u32_e64 s11, 0, v65
	s_wait_alu 0xf1ff
	v_cndmask_b32_e64 v4, v4, 0, s0
	s_delay_alu instid0(VALU_DEP_1) | instskip(NEXT) | instid1(VALU_DEP_1)
	v_add_nc_u32_e32 v2, v4, v2
	v_mov_b32_dpp v4, v2 row_shr:2 row_mask:0xf bank_mask:0xf
	s_delay_alu instid0(VALU_DEP_1) | instskip(NEXT) | instid1(VALU_DEP_1)
	v_cndmask_b32_e64 v4, 0, v4, s1
	v_add_nc_u32_e32 v2, v2, v4
	s_delay_alu instid0(VALU_DEP_1) | instskip(NEXT) | instid1(VALU_DEP_1)
	v_mov_b32_dpp v4, v2 row_shr:4 row_mask:0xf bank_mask:0xf
	v_cndmask_b32_e64 v4, 0, v4, s9
	s_delay_alu instid0(VALU_DEP_1) | instskip(NEXT) | instid1(VALU_DEP_1)
	v_add_nc_u32_e32 v2, v2, v4
	v_mov_b32_dpp v4, v2 row_shr:8 row_mask:0xf bank_mask:0xf
	s_delay_alu instid0(VALU_DEP_1) | instskip(NEXT) | instid1(VALU_DEP_1)
	v_cndmask_b32_e64 v4, 0, v4, s10
	v_add_nc_u32_e32 v2, v2, v4
	ds_swizzle_b32 v4, v2 offset:swizzle(BROADCAST,32,15)
	s_wait_dscnt 0x0
	v_and_b32_e32 v4, v64, v4
	s_delay_alu instid0(VALU_DEP_1)
	v_add_nc_u32_e32 v2, v2, v4
	s_and_saveexec_b32 s12, s3
; %bb.219:                              ;   in Loop: Header=BB1745_12 Depth=1
	ds_store_b32 v41, v2
; %bb.220:                              ;   in Loop: Header=BB1745_12 Depth=1
	s_wait_alu 0xfffe
	s_or_b32 exec_lo, exec_lo, s12
	s_wait_loadcnt_dscnt 0x0
	s_barrier_signal -1
	s_barrier_wait -1
	global_inv scope:SCOPE_SE
	s_and_saveexec_b32 s12, s4
	s_cbranch_execz .LBB1745_222
; %bb.221:                              ;   in Loop: Header=BB1745_12 Depth=1
	ds_load_b32 v4, v42
	v_cmp_ne_u32_e32 vcc_lo, 0, v67
	s_wait_dscnt 0x0
	v_mov_b32_dpp v5, v4 row_shr:1 row_mask:0xf bank_mask:0xf
	s_wait_alu 0xfffd
	s_delay_alu instid0(VALU_DEP_1) | instskip(SKIP_1) | instid1(VALU_DEP_2)
	v_cndmask_b32_e32 v5, 0, v5, vcc_lo
	v_cmp_lt_u32_e32 vcc_lo, 1, v67
	v_add_nc_u32_e32 v4, v5, v4
	s_delay_alu instid0(VALU_DEP_1) | instskip(SKIP_1) | instid1(VALU_DEP_1)
	v_mov_b32_dpp v5, v4 row_shr:2 row_mask:0xf bank_mask:0xf
	s_wait_alu 0xfffd
	v_cndmask_b32_e32 v5, 0, v5, vcc_lo
	v_cmp_lt_u32_e32 vcc_lo, 3, v67
	s_delay_alu instid0(VALU_DEP_2) | instskip(NEXT) | instid1(VALU_DEP_1)
	v_add_nc_u32_e32 v4, v4, v5
	v_mov_b32_dpp v5, v4 row_shr:4 row_mask:0xf bank_mask:0xf
	s_wait_alu 0xfffd
	s_delay_alu instid0(VALU_DEP_1) | instskip(NEXT) | instid1(VALU_DEP_1)
	v_cndmask_b32_e32 v5, 0, v5, vcc_lo
	v_add_nc_u32_e32 v4, v4, v5
	ds_store_b32 v42, v4
.LBB1745_222:                           ;   in Loop: Header=BB1745_12 Depth=1
	s_wait_alu 0xfffe
	s_or_b32 exec_lo, exec_lo, s12
	v_mov_b32_e32 v4, 0
	s_wait_loadcnt_dscnt 0x0
	s_barrier_signal -1
	s_barrier_wait -1
	global_inv scope:SCOPE_SE
	s_and_saveexec_b32 s12, s5
; %bb.223:                              ;   in Loop: Header=BB1745_12 Depth=1
	ds_load_b32 v4, v44
; %bb.224:                              ;   in Loop: Header=BB1745_12 Depth=1
	s_wait_alu 0xfffe
	s_or_b32 exec_lo, exec_lo, s12
	v_cmp_gt_i32_e32 vcc_lo, 0, v68
	s_wait_dscnt 0x0
	v_add_nc_u32_e32 v2, v4, v2
	s_wait_loadcnt 0x0
	s_barrier_signal -1
	s_barrier_wait -1
	s_wait_alu 0xfffd
	v_cndmask_b32_e32 v5, v68, v59, vcc_lo
	global_inv scope:SCOPE_SE
	v_lshlrev_b32_e32 v87, 2, v5
	ds_bpermute_b32 v2, v87, v2
	s_and_saveexec_b32 s12, s2
	s_cbranch_execz .LBB1745_226
; %bb.225:                              ;   in Loop: Header=BB1745_12 Depth=1
	s_wait_dscnt 0x0
	v_cndmask_b32_e64 v2, v2, v4, s8
	s_delay_alu instid0(VALU_DEP_1)
	v_add_nc_u32_e32 v2, s33, v2
	ds_store_b32 v28, v2
.LBB1745_226:                           ;   in Loop: Header=BB1745_12 Depth=1
	s_wait_alu 0xfffe
	s_or_b32 exec_lo, exec_lo, s12
	s_load_b64 s[12:13], s[28:29], 0x0
	v_add_co_u32 v88, vcc_lo, v51, v69
	s_wait_alu 0xfffd
	v_add_co_ci_u32_e64 v89, null, 0, v52, vcc_lo
	v_add_co_u32 v90, vcc_lo, v53, v77
	s_wait_alu 0xfffd
	v_add_co_ci_u32_e64 v91, null, 0, v54, vcc_lo
	s_mov_b32 s43, s47
                                        ; implicit-def: $vgpr6_vgpr7
                                        ; implicit-def: $vgpr8_vgpr9
                                        ; implicit-def: $vgpr10_vgpr11
                                        ; implicit-def: $vgpr12_vgpr13
                                        ; implicit-def: $vgpr14_vgpr15
                                        ; implicit-def: $vgpr16_vgpr17
                                        ; implicit-def: $vgpr18_vgpr19
                                        ; implicit-def: $vgpr93
                                        ; implicit-def: $vgpr94
                                        ; implicit-def: $vgpr95
                                        ; implicit-def: $vgpr96
                                        ; implicit-def: $vgpr97
                                        ; implicit-def: $vgpr98
                                        ; implicit-def: $vgpr99
                                        ; implicit-def: $vgpr100
	s_wait_kmcnt 0x0
	s_cmp_lt_u32 ttmp7, s13
	s_cselect_b32 s30, 14, 20
	s_cmp_lt_u32 ttmp9, s12
	s_wait_alu 0xfffe
	s_add_nc_u64 s[14:15], s[28:29], s[30:31]
	s_cselect_b32 s30, 12, 18
	s_load_u16 s14, s[14:15], 0x0
	s_add_nc_u64 s[12:13], s[28:29], s[30:31]
	s_mov_b32 s30, s33
	s_load_u16 s12, s[12:13], 0x0
	v_cmp_lt_u32_e64 s13, 1, v67
	s_wait_dscnt 0x0
	s_wait_kmcnt 0x0
	v_mad_u32_u24 v2, v45, s14, v0
	v_cmp_lt_u32_e64 s14, 3, v67
	s_delay_alu instid0(VALU_DEP_2) | instskip(SKIP_1) | instid1(VALU_DEP_2)
	v_mad_co_u64_u32 v[4:5], null, v2, s12, v[1:2]
	v_cmp_eq_u32_e64 s12, 0, v67
	v_lshrrev_b32_e32 v2, 3, v4
                                        ; implicit-def: $vgpr4_vgpr5
	s_delay_alu instid0(VALU_DEP_1)
	v_and_b32_e32 v92, 0x1ffffffc, v2
	s_branch .LBB1745_228
.LBB1745_227:                           ;   in Loop: Header=BB1745_228 Depth=2
	s_wait_alu 0xfffe
	s_or_b32 exec_lo, exec_lo, s15
	s_addk_co_i32 s43, 0xf800
	s_cmp_lt_u32 s44, s34
	s_mov_b32 s30, s44
	s_cbranch_scc0 .LBB1745_340
.LBB1745_228:                           ;   Parent Loop BB1745_12 Depth=1
                                        ; =>  This Inner Loop Header: Depth=2
	s_wait_alu 0xfffe
	s_add_co_i32 s44, s30, 0x800
	s_wait_alu 0xfffe
	s_cmp_gt_u32 s44, s34
	s_cbranch_scc1 .LBB1745_230
; %bb.229:                              ;   in Loop: Header=BB1745_228 Depth=2
	s_lshl_b64 s[16:17], s[30:31], 1
	s_mov_b32 s15, -1
	s_wait_alu 0xfffe
	v_add_co_u32 v20, vcc_lo, v90, s16
	s_wait_alu 0xfffd
	v_add_co_ci_u32_e64 v21, null, s17, v91, vcc_lo
	s_clause 0x6
	global_load_u16 v2, v[20:21], off
	global_load_u16 v27, v[20:21], off offset:64
	global_load_u16 v26, v[20:21], off offset:128
	;; [unrolled: 1-line block ×6, first 2 shown]
	s_movk_i32 s16, 0x800
	s_cbranch_execz .LBB1745_231
	s_branch .LBB1745_246
.LBB1745_230:                           ;   in Loop: Header=BB1745_228 Depth=2
	s_mov_b32 s15, 0
                                        ; implicit-def: $vgpr2
                                        ; implicit-def: $vgpr27
                                        ; implicit-def: $vgpr26
                                        ; implicit-def: $vgpr25
                                        ; implicit-def: $vgpr24
                                        ; implicit-def: $vgpr23
                                        ; implicit-def: $vgpr22
	s_movk_i32 s16, 0x800
.LBB1745_231:                           ;   in Loop: Header=BB1745_228 Depth=2
	s_lshl_b64 s[16:17], s[30:31], 1
	s_wait_loadcnt 0x5
	v_dual_mov_b32 v27, -1 :: v_dual_mov_b32 v2, -1
	s_wait_alu 0xfffe
	v_add_co_u32 v20, vcc_lo, v90, s16
	s_wait_alu 0xfffd
	v_add_co_ci_u32_e64 v21, null, s17, v91, vcc_lo
	s_mov_b32 s15, exec_lo
	v_cmpx_gt_u32_e64 s43, v66
	s_cbranch_execz .LBB1745_233
; %bb.232:                              ;   in Loop: Header=BB1745_228 Depth=2
	global_load_u16 v2, v[20:21], off
.LBB1745_233:                           ;   in Loop: Header=BB1745_228 Depth=2
	s_wait_alu 0xfffe
	s_or_b32 exec_lo, exec_lo, s15
	s_delay_alu instid0(SALU_CYCLE_1)
	s_mov_b32 s15, exec_lo
	v_cmpx_gt_u32_e64 s43, v70
	s_cbranch_execz .LBB1745_235
; %bb.234:                              ;   in Loop: Header=BB1745_228 Depth=2
	global_load_u16 v27, v[20:21], off offset:64
.LBB1745_235:                           ;   in Loop: Header=BB1745_228 Depth=2
	s_wait_alu 0xfffe
	s_or_b32 exec_lo, exec_lo, s15
	s_wait_loadcnt 0x3
	v_dual_mov_b32 v25, -1 :: v_dual_mov_b32 v26, -1
	s_mov_b32 s15, exec_lo
	v_cmpx_gt_u32_e64 s43, v71
	s_cbranch_execz .LBB1745_237
; %bb.236:                              ;   in Loop: Header=BB1745_228 Depth=2
	global_load_u16 v26, v[20:21], off offset:128
.LBB1745_237:                           ;   in Loop: Header=BB1745_228 Depth=2
	s_wait_alu 0xfffe
	s_or_b32 exec_lo, exec_lo, s15
	s_delay_alu instid0(SALU_CYCLE_1)
	s_mov_b32 s15, exec_lo
	v_cmpx_gt_u32_e64 s43, v72
	s_cbranch_execz .LBB1745_239
; %bb.238:                              ;   in Loop: Header=BB1745_228 Depth=2
	global_load_u16 v25, v[20:21], off offset:192
.LBB1745_239:                           ;   in Loop: Header=BB1745_228 Depth=2
	s_wait_alu 0xfffe
	s_or_b32 exec_lo, exec_lo, s15
	s_wait_loadcnt 0x1
	v_dual_mov_b32 v23, -1 :: v_dual_mov_b32 v24, -1
	s_mov_b32 s15, exec_lo
	v_cmpx_gt_u32_e64 s43, v73
	s_cbranch_execz .LBB1745_241
; %bb.240:                              ;   in Loop: Header=BB1745_228 Depth=2
	global_load_u16 v24, v[20:21], off offset:256
.LBB1745_241:                           ;   in Loop: Header=BB1745_228 Depth=2
	s_wait_alu 0xfffe
	s_or_b32 exec_lo, exec_lo, s15
	s_delay_alu instid0(SALU_CYCLE_1)
	s_mov_b32 s15, exec_lo
	v_cmpx_gt_u32_e64 s43, v74
	s_cbranch_execz .LBB1745_243
; %bb.242:                              ;   in Loop: Header=BB1745_228 Depth=2
	global_load_u16 v23, v[20:21], off offset:320
.LBB1745_243:                           ;   in Loop: Header=BB1745_228 Depth=2
	s_wait_alu 0xfffe
	s_or_b32 exec_lo, exec_lo, s15
	s_wait_loadcnt 0x0
	v_mov_b32_e32 v22, -1
	s_mov_b32 s15, exec_lo
	v_cmpx_gt_u32_e64 s43, v75
	s_cbranch_execz .LBB1745_245
; %bb.244:                              ;   in Loop: Header=BB1745_228 Depth=2
	global_load_u16 v22, v[20:21], off offset:384
.LBB1745_245:                           ;   in Loop: Header=BB1745_228 Depth=2
	s_wait_alu 0xfffe
	s_or_b32 exec_lo, exec_lo, s15
	v_cmp_gt_u32_e64 s15, s43, v76
	s_sub_co_i32 s16, s34, s30
.LBB1745_246:                           ;   in Loop: Header=BB1745_228 Depth=2
	v_dual_mov_b32 v20, -1 :: v_dual_mov_b32 v101, s43
	s_and_saveexec_b32 s17, s15
	s_cbranch_execz .LBB1745_248
; %bb.247:                              ;   in Loop: Header=BB1745_228 Depth=2
	s_lshl_b64 s[18:19], s[30:31], 1
	s_wait_alu 0xfffe
	v_mov_b32_e32 v101, s16
	v_add_co_u32 v20, vcc_lo, v90, s18
	s_wait_alu 0xfffd
	v_add_co_ci_u32_e64 v21, null, s19, v91, vcc_lo
	global_load_u16 v20, v[20:21], off offset:448
.LBB1745_248:                           ;   in Loop: Header=BB1745_228 Depth=2
	s_wait_alu 0xfffe
	s_or_b32 exec_lo, exec_lo, s17
	s_wait_loadcnt 0x6
	v_cmp_gt_i16_e32 vcc_lo, 0, v2
	ds_store_2addr_b32 v81, v3, v3 offset1:1
	ds_store_2addr_b32 v78, v3, v3 offset1:1
	;; [unrolled: 1-line block ×4, first 2 shown]
	ds_store_b32 v43, v3 offset:1088
	s_wait_loadcnt_dscnt 0x0
	s_barrier_signal -1
	s_wait_alu 0xfffd
	v_cndmask_b32_e64 v21, 0x7fff, 0, vcc_lo
	s_barrier_wait -1
	global_inv scope:SCOPE_SE
	; wave barrier
	v_xor_b32_e32 v2, v21, v2
	s_delay_alu instid0(VALU_DEP_1) | instskip(SKIP_2) | instid1(VALU_DEP_1)
	v_cmp_ne_u16_e32 vcc_lo, 0x8000, v2
	s_wait_alu 0xfffd
	v_cndmask_b32_e32 v21, 0x7fff, v2, vcc_lo
	v_and_b32_e32 v21, 0xffff, v21
	s_delay_alu instid0(VALU_DEP_1) | instskip(NEXT) | instid1(VALU_DEP_1)
	v_lshrrev_b32_e32 v21, s23, v21
	v_and_b32_e32 v103, s42, v21
	s_delay_alu instid0(VALU_DEP_1)
	v_and_b32_e32 v21, 1, v103
	v_lshlrev_b32_e32 v102, 30, v103
	v_lshlrev_b32_e32 v104, 29, v103
	;; [unrolled: 1-line block ×4, first 2 shown]
	v_add_co_u32 v21, s15, v21, -1
	s_wait_alu 0xf1ff
	v_cndmask_b32_e64 v106, 0, 1, s15
	v_not_b32_e32 v110, v102
	v_cmp_gt_i32_e64 s15, 0, v102
	v_not_b32_e32 v102, v104
	v_lshlrev_b32_e32 v108, 26, v103
	v_cmp_ne_u32_e32 vcc_lo, 0, v106
	v_ashrrev_i32_e32 v110, 31, v110
	v_lshlrev_b32_e32 v109, 25, v103
	v_ashrrev_i32_e32 v102, 31, v102
	v_lshlrev_b32_e32 v106, 24, v103
	s_wait_alu 0xfffd
	v_xor_b32_e32 v21, vcc_lo, v21
	v_cmp_gt_i32_e32 vcc_lo, 0, v104
	v_not_b32_e32 v104, v105
	s_wait_alu 0xf1ff
	v_xor_b32_e32 v110, s15, v110
	v_cmp_gt_i32_e64 s15, 0, v105
	v_and_b32_e32 v21, exec_lo, v21
	v_not_b32_e32 v105, v107
	v_ashrrev_i32_e32 v104, 31, v104
	s_wait_alu 0xfffd
	v_xor_b32_e32 v102, vcc_lo, v102
	v_cmp_gt_i32_e32 vcc_lo, 0, v107
	v_and_b32_e32 v21, v21, v110
	v_not_b32_e32 v107, v108
	v_ashrrev_i32_e32 v105, 31, v105
	s_wait_alu 0xf1ff
	v_xor_b32_e32 v104, s15, v104
	v_cmp_gt_i32_e64 s15, 0, v108
	v_and_b32_e32 v21, v21, v102
	v_not_b32_e32 v102, v109
	v_ashrrev_i32_e32 v107, 31, v107
	s_wait_alu 0xfffd
	v_xor_b32_e32 v105, vcc_lo, v105
	v_cmp_gt_i32_e32 vcc_lo, 0, v109
	v_and_b32_e32 v21, v21, v104
	v_not_b32_e32 v104, v106
	v_ashrrev_i32_e32 v102, 31, v102
	s_wait_alu 0xf1ff
	v_xor_b32_e32 v107, s15, v107
	v_cmp_gt_i32_e64 s15, 0, v106
	v_and_b32_e32 v21, v21, v105
	v_ashrrev_i32_e32 v104, 31, v104
	s_wait_alu 0xfffd
	v_xor_b32_e32 v102, vcc_lo, v102
	v_mul_u32_u24_e32 v103, 36, v103
	v_and_b32_e32 v21, v21, v107
	s_wait_alu 0xf1ff
	v_xor_b32_e32 v104, s15, v104
	s_delay_alu instid0(VALU_DEP_2) | instskip(NEXT) | instid1(VALU_DEP_1)
	v_and_b32_e32 v21, v21, v102
	v_and_b32_e32 v21, v21, v104
	v_add_nc_u32_e32 v104, v92, v103
	s_delay_alu instid0(VALU_DEP_2) | instskip(SKIP_1) | instid1(VALU_DEP_2)
	v_mbcnt_lo_u32_b32 v102, v21, 0
	v_cmp_ne_u32_e64 s15, 0, v21
	v_cmp_eq_u32_e32 vcc_lo, 0, v102
	s_and_b32 s16, s15, vcc_lo
	s_wait_alu 0xfffe
	s_and_saveexec_b32 s15, s16
; %bb.249:                              ;   in Loop: Header=BB1745_228 Depth=2
	v_bcnt_u32_b32 v21, v21, 0
	ds_store_b32 v104, v21 offset:1056
; %bb.250:                              ;   in Loop: Header=BB1745_228 Depth=2
	s_wait_alu 0xfffe
	s_or_b32 exec_lo, exec_lo, s15
	v_cmp_gt_i16_e32 vcc_lo, 0, v27
	; wave barrier
	s_wait_alu 0xfffd
	v_cndmask_b32_e64 v21, 0x7fff, 0, vcc_lo
	s_delay_alu instid0(VALU_DEP_1) | instskip(NEXT) | instid1(VALU_DEP_1)
	v_xor_b32_e32 v103, v21, v27
	v_cmp_ne_u16_e32 vcc_lo, 0x8000, v103
	s_wait_alu 0xfffd
	v_cndmask_b32_e32 v21, 0x7fff, v103, vcc_lo
	s_delay_alu instid0(VALU_DEP_1) | instskip(NEXT) | instid1(VALU_DEP_1)
	v_and_b32_e32 v21, 0xffff, v21
	v_lshrrev_b32_e32 v21, s23, v21
	s_delay_alu instid0(VALU_DEP_1) | instskip(NEXT) | instid1(VALU_DEP_1)
	v_and_b32_e32 v27, s42, v21
	v_and_b32_e32 v21, 1, v27
	v_lshlrev_b32_e32 v105, 30, v27
	v_lshlrev_b32_e32 v106, 29, v27
	;; [unrolled: 1-line block ×4, first 2 shown]
	v_add_co_u32 v21, s15, v21, -1
	s_wait_alu 0xf1ff
	v_cndmask_b32_e64 v108, 0, 1, s15
	v_not_b32_e32 v112, v105
	v_cmp_gt_i32_e64 s15, 0, v105
	v_not_b32_e32 v105, v106
	v_lshlrev_b32_e32 v110, 26, v27
	v_cmp_ne_u32_e32 vcc_lo, 0, v108
	v_ashrrev_i32_e32 v112, 31, v112
	v_lshlrev_b32_e32 v111, 25, v27
	v_ashrrev_i32_e32 v105, 31, v105
	v_lshlrev_b32_e32 v108, 24, v27
	s_wait_alu 0xfffd
	v_xor_b32_e32 v21, vcc_lo, v21
	v_cmp_gt_i32_e32 vcc_lo, 0, v106
	v_not_b32_e32 v106, v107
	s_wait_alu 0xf1ff
	v_xor_b32_e32 v112, s15, v112
	v_cmp_gt_i32_e64 s15, 0, v107
	v_and_b32_e32 v21, exec_lo, v21
	v_not_b32_e32 v107, v109
	v_ashrrev_i32_e32 v106, 31, v106
	s_wait_alu 0xfffd
	v_xor_b32_e32 v105, vcc_lo, v105
	v_cmp_gt_i32_e32 vcc_lo, 0, v109
	v_and_b32_e32 v21, v21, v112
	v_not_b32_e32 v109, v110
	v_ashrrev_i32_e32 v107, 31, v107
	s_wait_alu 0xf1ff
	v_xor_b32_e32 v106, s15, v106
	v_cmp_gt_i32_e64 s15, 0, v110
	v_and_b32_e32 v21, v21, v105
	v_not_b32_e32 v105, v111
	v_ashrrev_i32_e32 v109, 31, v109
	s_wait_alu 0xfffd
	v_xor_b32_e32 v107, vcc_lo, v107
	v_cmp_gt_i32_e32 vcc_lo, 0, v111
	v_and_b32_e32 v21, v21, v106
	v_not_b32_e32 v106, v108
	v_ashrrev_i32_e32 v105, 31, v105
	s_wait_alu 0xf1ff
	v_xor_b32_e32 v109, s15, v109
	v_cmp_gt_i32_e64 s15, 0, v108
	v_and_b32_e32 v21, v21, v107
	v_ashrrev_i32_e32 v106, 31, v106
	s_wait_alu 0xfffd
	v_xor_b32_e32 v105, vcc_lo, v105
	v_mad_u32_u24 v107, v27, 36, v92
	v_mul_u32_u24_e32 v27, 36, v27
	v_and_b32_e32 v21, v21, v109
	s_wait_alu 0xf1ff
	v_xor_b32_e32 v106, s15, v106
	s_delay_alu instid0(VALU_DEP_3) | instskip(NEXT) | instid1(VALU_DEP_3)
	v_add_nc_u32_e32 v108, v92, v27
	v_and_b32_e32 v21, v21, v105
	ds_load_b32 v105, v107 offset:1056
	; wave barrier
	v_and_b32_e32 v21, v21, v106
	s_delay_alu instid0(VALU_DEP_1) | instskip(SKIP_1) | instid1(VALU_DEP_2)
	v_mbcnt_lo_u32_b32 v106, v21, 0
	v_cmp_ne_u32_e64 s15, 0, v21
	v_cmp_eq_u32_e32 vcc_lo, 0, v106
	s_and_b32 s16, s15, vcc_lo
	s_wait_alu 0xfffe
	s_and_saveexec_b32 s15, s16
	s_cbranch_execz .LBB1745_252
; %bb.251:                              ;   in Loop: Header=BB1745_228 Depth=2
	s_wait_dscnt 0x0
	v_bcnt_u32_b32 v21, v21, v105
	ds_store_b32 v108, v21 offset:1056
.LBB1745_252:                           ;   in Loop: Header=BB1745_228 Depth=2
	s_wait_alu 0xfffe
	s_or_b32 exec_lo, exec_lo, s15
	v_cmp_gt_i16_e32 vcc_lo, 0, v26
	; wave barrier
	s_wait_alu 0xfffd
	v_cndmask_b32_e64 v21, 0x7fff, 0, vcc_lo
	s_delay_alu instid0(VALU_DEP_1) | instskip(NEXT) | instid1(VALU_DEP_1)
	v_xor_b32_e32 v107, v21, v26
	v_cmp_ne_u16_e32 vcc_lo, 0x8000, v107
	s_wait_alu 0xfffd
	v_cndmask_b32_e32 v21, 0x7fff, v107, vcc_lo
	s_delay_alu instid0(VALU_DEP_1) | instskip(NEXT) | instid1(VALU_DEP_1)
	v_and_b32_e32 v21, 0xffff, v21
	v_lshrrev_b32_e32 v21, s23, v21
	s_delay_alu instid0(VALU_DEP_1) | instskip(NEXT) | instid1(VALU_DEP_1)
	v_and_b32_e32 v26, s42, v21
	v_and_b32_e32 v21, 1, v26
	v_lshlrev_b32_e32 v27, 30, v26
	v_lshlrev_b32_e32 v109, 29, v26
	;; [unrolled: 1-line block ×4, first 2 shown]
	v_add_co_u32 v21, s15, v21, -1
	s_wait_alu 0xf1ff
	v_cndmask_b32_e64 v111, 0, 1, s15
	v_not_b32_e32 v115, v27
	v_cmp_gt_i32_e64 s15, 0, v27
	v_not_b32_e32 v27, v109
	v_lshlrev_b32_e32 v113, 26, v26
	v_cmp_ne_u32_e32 vcc_lo, 0, v111
	v_ashrrev_i32_e32 v115, 31, v115
	v_lshlrev_b32_e32 v114, 25, v26
	v_ashrrev_i32_e32 v27, 31, v27
	v_lshlrev_b32_e32 v111, 24, v26
	s_wait_alu 0xfffd
	v_xor_b32_e32 v21, vcc_lo, v21
	v_cmp_gt_i32_e32 vcc_lo, 0, v109
	v_not_b32_e32 v109, v110
	s_wait_alu 0xf1ff
	v_xor_b32_e32 v115, s15, v115
	v_cmp_gt_i32_e64 s15, 0, v110
	v_and_b32_e32 v21, exec_lo, v21
	v_not_b32_e32 v110, v112
	v_ashrrev_i32_e32 v109, 31, v109
	s_wait_alu 0xfffd
	v_xor_b32_e32 v27, vcc_lo, v27
	v_cmp_gt_i32_e32 vcc_lo, 0, v112
	v_and_b32_e32 v21, v21, v115
	v_not_b32_e32 v112, v113
	v_ashrrev_i32_e32 v110, 31, v110
	s_wait_alu 0xf1ff
	v_xor_b32_e32 v109, s15, v109
	v_cmp_gt_i32_e64 s15, 0, v113
	v_and_b32_e32 v21, v21, v27
	v_not_b32_e32 v27, v114
	v_ashrrev_i32_e32 v112, 31, v112
	s_wait_alu 0xfffd
	v_xor_b32_e32 v110, vcc_lo, v110
	v_cmp_gt_i32_e32 vcc_lo, 0, v114
	v_and_b32_e32 v21, v21, v109
	v_not_b32_e32 v109, v111
	v_ashrrev_i32_e32 v27, 31, v27
	s_wait_alu 0xf1ff
	v_xor_b32_e32 v112, s15, v112
	v_cmp_gt_i32_e64 s15, 0, v111
	v_and_b32_e32 v21, v21, v110
	v_ashrrev_i32_e32 v109, 31, v109
	s_wait_alu 0xfffd
	v_xor_b32_e32 v27, vcc_lo, v27
	v_mad_u32_u24 v110, v26, 36, v92
	v_mul_u32_u24_e32 v26, 36, v26
	v_and_b32_e32 v21, v21, v112
	s_wait_alu 0xf1ff
	v_xor_b32_e32 v111, s15, v109
	ds_load_b32 v109, v110 offset:1056
	v_add_nc_u32_e32 v112, v92, v26
	v_and_b32_e32 v21, v21, v27
	; wave barrier
	s_delay_alu instid0(VALU_DEP_1) | instskip(NEXT) | instid1(VALU_DEP_1)
	v_and_b32_e32 v21, v21, v111
	v_mbcnt_lo_u32_b32 v111, v21, 0
	v_cmp_ne_u32_e64 s15, 0, v21
	s_delay_alu instid0(VALU_DEP_2)
	v_cmp_eq_u32_e32 vcc_lo, 0, v111
	s_and_b32 s16, s15, vcc_lo
	s_wait_alu 0xfffe
	s_and_saveexec_b32 s15, s16
	s_cbranch_execz .LBB1745_254
; %bb.253:                              ;   in Loop: Header=BB1745_228 Depth=2
	s_wait_dscnt 0x0
	v_bcnt_u32_b32 v21, v21, v109
	ds_store_b32 v112, v21 offset:1056
.LBB1745_254:                           ;   in Loop: Header=BB1745_228 Depth=2
	s_wait_alu 0xfffe
	s_or_b32 exec_lo, exec_lo, s15
	v_cmp_gt_i16_e32 vcc_lo, 0, v25
	; wave barrier
	s_wait_alu 0xfffd
	v_cndmask_b32_e64 v21, 0x7fff, 0, vcc_lo
	s_delay_alu instid0(VALU_DEP_1) | instskip(NEXT) | instid1(VALU_DEP_1)
	v_xor_b32_e32 v110, v21, v25
	v_cmp_ne_u16_e32 vcc_lo, 0x8000, v110
	s_wait_alu 0xfffd
	v_cndmask_b32_e32 v21, 0x7fff, v110, vcc_lo
	s_delay_alu instid0(VALU_DEP_1) | instskip(NEXT) | instid1(VALU_DEP_1)
	v_and_b32_e32 v21, 0xffff, v21
	v_lshrrev_b32_e32 v21, s23, v21
	s_delay_alu instid0(VALU_DEP_1) | instskip(NEXT) | instid1(VALU_DEP_1)
	v_and_b32_e32 v25, s42, v21
	v_and_b32_e32 v21, 1, v25
	v_lshlrev_b32_e32 v26, 30, v25
	v_lshlrev_b32_e32 v27, 29, v25
	;; [unrolled: 1-line block ×4, first 2 shown]
	v_add_co_u32 v21, s15, v21, -1
	s_wait_alu 0xf1ff
	v_cndmask_b32_e64 v114, 0, 1, s15
	v_not_b32_e32 v118, v26
	v_cmp_gt_i32_e64 s15, 0, v26
	v_not_b32_e32 v26, v27
	v_lshlrev_b32_e32 v116, 26, v25
	v_cmp_ne_u32_e32 vcc_lo, 0, v114
	v_ashrrev_i32_e32 v118, 31, v118
	v_lshlrev_b32_e32 v117, 25, v25
	v_ashrrev_i32_e32 v26, 31, v26
	v_lshlrev_b32_e32 v114, 24, v25
	s_wait_alu 0xfffd
	v_xor_b32_e32 v21, vcc_lo, v21
	v_cmp_gt_i32_e32 vcc_lo, 0, v27
	v_not_b32_e32 v27, v113
	s_wait_alu 0xf1ff
	v_xor_b32_e32 v118, s15, v118
	v_cmp_gt_i32_e64 s15, 0, v113
	v_and_b32_e32 v21, exec_lo, v21
	v_not_b32_e32 v113, v115
	v_ashrrev_i32_e32 v27, 31, v27
	s_wait_alu 0xfffd
	v_xor_b32_e32 v26, vcc_lo, v26
	v_cmp_gt_i32_e32 vcc_lo, 0, v115
	v_and_b32_e32 v21, v21, v118
	v_not_b32_e32 v115, v116
	v_ashrrev_i32_e32 v113, 31, v113
	s_wait_alu 0xf1ff
	v_xor_b32_e32 v27, s15, v27
	v_cmp_gt_i32_e64 s15, 0, v116
	v_and_b32_e32 v21, v21, v26
	v_not_b32_e32 v26, v117
	v_ashrrev_i32_e32 v115, 31, v115
	s_wait_alu 0xfffd
	v_xor_b32_e32 v113, vcc_lo, v113
	v_cmp_gt_i32_e32 vcc_lo, 0, v117
	v_and_b32_e32 v21, v21, v27
	v_not_b32_e32 v27, v114
	v_ashrrev_i32_e32 v26, 31, v26
	s_wait_alu 0xf1ff
	v_xor_b32_e32 v115, s15, v115
	v_cmp_gt_i32_e64 s15, 0, v114
	v_and_b32_e32 v21, v21, v113
	v_ashrrev_i32_e32 v27, 31, v27
	s_wait_alu 0xfffd
	v_xor_b32_e32 v26, vcc_lo, v26
	v_mad_u32_u24 v113, v25, 36, v92
	v_mul_u32_u24_e32 v25, 36, v25
	v_and_b32_e32 v21, v21, v115
	s_wait_alu 0xf1ff
	v_xor_b32_e32 v27, s15, v27
	ds_load_b32 v113, v113 offset:1056
	v_add_nc_u32_e32 v116, v92, v25
	v_and_b32_e32 v21, v21, v26
	; wave barrier
	s_delay_alu instid0(VALU_DEP_1) | instskip(NEXT) | instid1(VALU_DEP_1)
	v_and_b32_e32 v21, v21, v27
	v_mbcnt_lo_u32_b32 v115, v21, 0
	v_cmp_ne_u32_e64 s15, 0, v21
	s_delay_alu instid0(VALU_DEP_2)
	v_cmp_eq_u32_e32 vcc_lo, 0, v115
	s_and_b32 s16, s15, vcc_lo
	s_wait_alu 0xfffe
	s_and_saveexec_b32 s15, s16
	s_cbranch_execz .LBB1745_256
; %bb.255:                              ;   in Loop: Header=BB1745_228 Depth=2
	s_wait_dscnt 0x0
	v_bcnt_u32_b32 v21, v21, v113
	ds_store_b32 v116, v21 offset:1056
.LBB1745_256:                           ;   in Loop: Header=BB1745_228 Depth=2
	s_wait_alu 0xfffe
	s_or_b32 exec_lo, exec_lo, s15
	v_cmp_gt_i16_e32 vcc_lo, 0, v24
	; wave barrier
	s_wait_alu 0xfffd
	v_cndmask_b32_e64 v21, 0x7fff, 0, vcc_lo
	s_delay_alu instid0(VALU_DEP_1) | instskip(NEXT) | instid1(VALU_DEP_1)
	v_xor_b32_e32 v114, v21, v24
	v_cmp_ne_u16_e32 vcc_lo, 0x8000, v114
	s_wait_alu 0xfffd
	v_cndmask_b32_e32 v21, 0x7fff, v114, vcc_lo
	s_delay_alu instid0(VALU_DEP_1) | instskip(NEXT) | instid1(VALU_DEP_1)
	v_and_b32_e32 v21, 0xffff, v21
	v_lshrrev_b32_e32 v21, s23, v21
	s_delay_alu instid0(VALU_DEP_1) | instskip(NEXT) | instid1(VALU_DEP_1)
	v_and_b32_e32 v24, s42, v21
	v_and_b32_e32 v21, 1, v24
	v_lshlrev_b32_e32 v25, 30, v24
	v_lshlrev_b32_e32 v26, 29, v24
	;; [unrolled: 1-line block ×4, first 2 shown]
	v_add_co_u32 v21, s15, v21, -1
	s_wait_alu 0xf1ff
	v_cndmask_b32_e64 v117, 0, 1, s15
	v_not_b32_e32 v121, v25
	v_cmp_gt_i32_e64 s15, 0, v25
	v_not_b32_e32 v25, v26
	v_lshlrev_b32_e32 v119, 26, v24
	v_cmp_ne_u32_e32 vcc_lo, 0, v117
	v_ashrrev_i32_e32 v121, 31, v121
	v_lshlrev_b32_e32 v120, 25, v24
	v_ashrrev_i32_e32 v25, 31, v25
	v_lshlrev_b32_e32 v117, 24, v24
	s_wait_alu 0xfffd
	v_xor_b32_e32 v21, vcc_lo, v21
	v_cmp_gt_i32_e32 vcc_lo, 0, v26
	v_not_b32_e32 v26, v27
	s_wait_alu 0xf1ff
	v_xor_b32_e32 v121, s15, v121
	v_cmp_gt_i32_e64 s15, 0, v27
	v_and_b32_e32 v21, exec_lo, v21
	v_not_b32_e32 v27, v118
	v_ashrrev_i32_e32 v26, 31, v26
	s_wait_alu 0xfffd
	v_xor_b32_e32 v25, vcc_lo, v25
	v_cmp_gt_i32_e32 vcc_lo, 0, v118
	v_and_b32_e32 v21, v21, v121
	v_not_b32_e32 v118, v119
	v_ashrrev_i32_e32 v27, 31, v27
	s_wait_alu 0xf1ff
	v_xor_b32_e32 v26, s15, v26
	v_cmp_gt_i32_e64 s15, 0, v119
	v_and_b32_e32 v21, v21, v25
	v_not_b32_e32 v25, v120
	v_ashrrev_i32_e32 v118, 31, v118
	s_wait_alu 0xfffd
	v_xor_b32_e32 v27, vcc_lo, v27
	v_cmp_gt_i32_e32 vcc_lo, 0, v120
	v_and_b32_e32 v21, v21, v26
	v_not_b32_e32 v26, v117
	v_ashrrev_i32_e32 v25, 31, v25
	s_wait_alu 0xf1ff
	v_xor_b32_e32 v118, s15, v118
	v_cmp_gt_i32_e64 s15, 0, v117
	v_and_b32_e32 v21, v21, v27
	v_ashrrev_i32_e32 v26, 31, v26
	s_wait_alu 0xfffd
	v_xor_b32_e32 v25, vcc_lo, v25
	v_mad_u32_u24 v27, v24, 36, v92
	v_mul_u32_u24_e32 v24, 36, v24
	v_and_b32_e32 v21, v21, v118
	s_wait_alu 0xf1ff
	v_xor_b32_e32 v26, s15, v26
	ds_load_b32 v117, v27 offset:1056
	v_add_nc_u32_e32 v120, v92, v24
	v_and_b32_e32 v21, v21, v25
	; wave barrier
	s_delay_alu instid0(VALU_DEP_1) | instskip(NEXT) | instid1(VALU_DEP_1)
	v_and_b32_e32 v21, v21, v26
	v_mbcnt_lo_u32_b32 v119, v21, 0
	v_cmp_ne_u32_e64 s15, 0, v21
	s_delay_alu instid0(VALU_DEP_2)
	v_cmp_eq_u32_e32 vcc_lo, 0, v119
	s_and_b32 s16, s15, vcc_lo
	s_wait_alu 0xfffe
	s_and_saveexec_b32 s15, s16
	s_cbranch_execz .LBB1745_258
; %bb.257:                              ;   in Loop: Header=BB1745_228 Depth=2
	s_wait_dscnt 0x0
	v_bcnt_u32_b32 v21, v21, v117
	ds_store_b32 v120, v21 offset:1056
.LBB1745_258:                           ;   in Loop: Header=BB1745_228 Depth=2
	s_wait_alu 0xfffe
	s_or_b32 exec_lo, exec_lo, s15
	v_cmp_gt_i16_e32 vcc_lo, 0, v23
	; wave barrier
	s_wait_alu 0xfffd
	v_cndmask_b32_e64 v21, 0x7fff, 0, vcc_lo
	s_delay_alu instid0(VALU_DEP_1) | instskip(NEXT) | instid1(VALU_DEP_1)
	v_xor_b32_e32 v118, v21, v23
	v_cmp_ne_u16_e32 vcc_lo, 0x8000, v118
	s_wait_alu 0xfffd
	v_cndmask_b32_e32 v21, 0x7fff, v118, vcc_lo
	s_delay_alu instid0(VALU_DEP_1) | instskip(NEXT) | instid1(VALU_DEP_1)
	v_and_b32_e32 v21, 0xffff, v21
	v_lshrrev_b32_e32 v21, s23, v21
	s_delay_alu instid0(VALU_DEP_1) | instskip(NEXT) | instid1(VALU_DEP_1)
	v_and_b32_e32 v23, s42, v21
	v_and_b32_e32 v21, 1, v23
	v_lshlrev_b32_e32 v24, 30, v23
	v_lshlrev_b32_e32 v25, 29, v23
	;; [unrolled: 1-line block ×4, first 2 shown]
	v_add_co_u32 v21, s15, v21, -1
	s_wait_alu 0xf1ff
	v_cndmask_b32_e64 v27, 0, 1, s15
	v_not_b32_e32 v124, v24
	v_cmp_gt_i32_e64 s15, 0, v24
	v_not_b32_e32 v24, v25
	v_lshlrev_b32_e32 v122, 26, v23
	v_cmp_ne_u32_e32 vcc_lo, 0, v27
	v_ashrrev_i32_e32 v124, 31, v124
	v_lshlrev_b32_e32 v123, 25, v23
	v_ashrrev_i32_e32 v24, 31, v24
	v_lshlrev_b32_e32 v27, 24, v23
	s_wait_alu 0xfffd
	v_xor_b32_e32 v21, vcc_lo, v21
	v_cmp_gt_i32_e32 vcc_lo, 0, v25
	v_not_b32_e32 v25, v26
	s_wait_alu 0xf1ff
	v_xor_b32_e32 v124, s15, v124
	v_cmp_gt_i32_e64 s15, 0, v26
	v_and_b32_e32 v21, exec_lo, v21
	v_not_b32_e32 v26, v121
	v_ashrrev_i32_e32 v25, 31, v25
	s_wait_alu 0xfffd
	v_xor_b32_e32 v24, vcc_lo, v24
	v_cmp_gt_i32_e32 vcc_lo, 0, v121
	v_and_b32_e32 v21, v21, v124
	v_not_b32_e32 v121, v122
	v_ashrrev_i32_e32 v26, 31, v26
	s_wait_alu 0xf1ff
	v_xor_b32_e32 v25, s15, v25
	v_cmp_gt_i32_e64 s15, 0, v122
	v_and_b32_e32 v21, v21, v24
	v_not_b32_e32 v24, v123
	v_ashrrev_i32_e32 v121, 31, v121
	s_wait_alu 0xfffd
	v_xor_b32_e32 v26, vcc_lo, v26
	v_cmp_gt_i32_e32 vcc_lo, 0, v123
	v_and_b32_e32 v21, v21, v25
	v_not_b32_e32 v25, v27
	v_ashrrev_i32_e32 v24, 31, v24
	s_wait_alu 0xf1ff
	v_xor_b32_e32 v121, s15, v121
	v_cmp_gt_i32_e64 s15, 0, v27
	v_and_b32_e32 v21, v21, v26
	v_ashrrev_i32_e32 v25, 31, v25
	s_wait_alu 0xfffd
	v_xor_b32_e32 v24, vcc_lo, v24
	v_mad_u32_u24 v26, v23, 36, v92
	v_mul_u32_u24_e32 v23, 36, v23
	v_and_b32_e32 v21, v21, v121
	s_wait_alu 0xf1ff
	v_xor_b32_e32 v25, s15, v25
	ds_load_b32 v121, v26 offset:1056
	v_add_nc_u32_e32 v124, v92, v23
	v_and_b32_e32 v21, v21, v24
	; wave barrier
	s_delay_alu instid0(VALU_DEP_1) | instskip(NEXT) | instid1(VALU_DEP_1)
	v_and_b32_e32 v21, v21, v25
	v_mbcnt_lo_u32_b32 v123, v21, 0
	v_cmp_ne_u32_e64 s15, 0, v21
	s_delay_alu instid0(VALU_DEP_2)
	v_cmp_eq_u32_e32 vcc_lo, 0, v123
	s_and_b32 s16, s15, vcc_lo
	s_wait_alu 0xfffe
	s_and_saveexec_b32 s15, s16
	s_cbranch_execz .LBB1745_260
; %bb.259:                              ;   in Loop: Header=BB1745_228 Depth=2
	s_wait_dscnt 0x0
	v_bcnt_u32_b32 v21, v21, v121
	ds_store_b32 v124, v21 offset:1056
.LBB1745_260:                           ;   in Loop: Header=BB1745_228 Depth=2
	s_wait_alu 0xfffe
	s_or_b32 exec_lo, exec_lo, s15
	v_cmp_gt_i16_e32 vcc_lo, 0, v22
	; wave barrier
	s_wait_alu 0xfffd
	v_cndmask_b32_e64 v21, 0x7fff, 0, vcc_lo
	s_delay_alu instid0(VALU_DEP_1) | instskip(NEXT) | instid1(VALU_DEP_1)
	v_xor_b32_e32 v122, v21, v22
	v_cmp_ne_u16_e32 vcc_lo, 0x8000, v122
	s_wait_alu 0xfffd
	v_cndmask_b32_e32 v21, 0x7fff, v122, vcc_lo
	s_delay_alu instid0(VALU_DEP_1) | instskip(NEXT) | instid1(VALU_DEP_1)
	v_and_b32_e32 v21, 0xffff, v21
	v_lshrrev_b32_e32 v21, s23, v21
	s_delay_alu instid0(VALU_DEP_1) | instskip(NEXT) | instid1(VALU_DEP_1)
	v_and_b32_e32 v22, s42, v21
	v_and_b32_e32 v21, 1, v22
	v_lshlrev_b32_e32 v23, 30, v22
	v_lshlrev_b32_e32 v24, 29, v22
	;; [unrolled: 1-line block ×4, first 2 shown]
	v_add_co_u32 v21, s15, v21, -1
	s_wait_alu 0xf1ff
	v_cndmask_b32_e64 v26, 0, 1, s15
	v_not_b32_e32 v127, v23
	v_cmp_gt_i32_e64 s15, 0, v23
	v_not_b32_e32 v23, v24
	v_lshlrev_b32_e32 v125, 26, v22
	v_cmp_ne_u32_e32 vcc_lo, 0, v26
	v_ashrrev_i32_e32 v127, 31, v127
	v_lshlrev_b32_e32 v126, 25, v22
	v_ashrrev_i32_e32 v23, 31, v23
	v_lshlrev_b32_e32 v26, 24, v22
	s_wait_alu 0xfffd
	v_xor_b32_e32 v21, vcc_lo, v21
	v_cmp_gt_i32_e32 vcc_lo, 0, v24
	v_not_b32_e32 v24, v25
	s_wait_alu 0xf1ff
	v_xor_b32_e32 v127, s15, v127
	v_cmp_gt_i32_e64 s15, 0, v25
	v_and_b32_e32 v21, exec_lo, v21
	v_not_b32_e32 v25, v27
	v_ashrrev_i32_e32 v24, 31, v24
	s_wait_alu 0xfffd
	v_xor_b32_e32 v23, vcc_lo, v23
	v_cmp_gt_i32_e32 vcc_lo, 0, v27
	v_and_b32_e32 v21, v21, v127
	v_not_b32_e32 v27, v125
	v_ashrrev_i32_e32 v25, 31, v25
	s_wait_alu 0xf1ff
	v_xor_b32_e32 v24, s15, v24
	v_cmp_gt_i32_e64 s15, 0, v125
	v_and_b32_e32 v21, v21, v23
	v_not_b32_e32 v23, v126
	v_ashrrev_i32_e32 v27, 31, v27
	s_wait_alu 0xfffd
	v_xor_b32_e32 v25, vcc_lo, v25
	v_cmp_gt_i32_e32 vcc_lo, 0, v126
	v_and_b32_e32 v21, v21, v24
	v_not_b32_e32 v24, v26
	v_ashrrev_i32_e32 v23, 31, v23
	s_wait_alu 0xf1ff
	v_xor_b32_e32 v27, s15, v27
	v_cmp_gt_i32_e64 s15, 0, v26
	v_and_b32_e32 v21, v21, v25
	v_ashrrev_i32_e32 v24, 31, v24
	s_wait_alu 0xfffd
	v_xor_b32_e32 v23, vcc_lo, v23
	v_mad_u32_u24 v25, v22, 36, v92
	v_mul_u32_u24_e32 v22, 36, v22
	v_and_b32_e32 v21, v21, v27
	s_wait_alu 0xf1ff
	v_xor_b32_e32 v24, s15, v24
	ds_load_b32 v125, v25 offset:1056
	v_add_nc_u32_e32 v128, v92, v22
	v_and_b32_e32 v21, v21, v23
	; wave barrier
	s_delay_alu instid0(VALU_DEP_1) | instskip(NEXT) | instid1(VALU_DEP_1)
	v_and_b32_e32 v21, v21, v24
	v_mbcnt_lo_u32_b32 v126, v21, 0
	v_cmp_ne_u32_e64 s15, 0, v21
	s_delay_alu instid0(VALU_DEP_2)
	v_cmp_eq_u32_e32 vcc_lo, 0, v126
	s_and_b32 s16, s15, vcc_lo
	s_wait_alu 0xfffe
	s_and_saveexec_b32 s15, s16
	s_cbranch_execz .LBB1745_262
; %bb.261:                              ;   in Loop: Header=BB1745_228 Depth=2
	s_wait_dscnt 0x0
	v_bcnt_u32_b32 v21, v21, v125
	ds_store_b32 v128, v21 offset:1056
.LBB1745_262:                           ;   in Loop: Header=BB1745_228 Depth=2
	s_wait_alu 0xfffe
	s_or_b32 exec_lo, exec_lo, s15
	v_cmp_gt_i16_e32 vcc_lo, 0, v20
	; wave barrier
	s_wait_alu 0xfffd
	v_cndmask_b32_e64 v21, 0x7fff, 0, vcc_lo
	s_delay_alu instid0(VALU_DEP_1) | instskip(NEXT) | instid1(VALU_DEP_1)
	v_xor_b32_e32 v127, v21, v20
	v_cmp_ne_u16_e32 vcc_lo, 0x8000, v127
	s_wait_alu 0xfffd
	v_cndmask_b32_e32 v20, 0x7fff, v127, vcc_lo
	s_delay_alu instid0(VALU_DEP_1) | instskip(NEXT) | instid1(VALU_DEP_1)
	v_and_b32_e32 v20, 0xffff, v20
	v_lshrrev_b32_e32 v20, s23, v20
	s_delay_alu instid0(VALU_DEP_1) | instskip(NEXT) | instid1(VALU_DEP_1)
	v_and_b32_e32 v21, s42, v20
	v_and_b32_e32 v20, 1, v21
	v_lshlrev_b32_e32 v22, 30, v21
	v_lshlrev_b32_e32 v23, 29, v21
	;; [unrolled: 1-line block ×4, first 2 shown]
	v_add_co_u32 v20, s15, v20, -1
	s_wait_alu 0xf1ff
	v_cndmask_b32_e64 v25, 0, 1, s15
	v_not_b32_e32 v130, v22
	v_cmp_gt_i32_e64 s15, 0, v22
	v_not_b32_e32 v22, v23
	v_lshlrev_b32_e32 v27, 26, v21
	v_cmp_ne_u32_e32 vcc_lo, 0, v25
	v_ashrrev_i32_e32 v130, 31, v130
	v_lshlrev_b32_e32 v129, 25, v21
	v_ashrrev_i32_e32 v22, 31, v22
	v_lshlrev_b32_e32 v25, 24, v21
	s_wait_alu 0xfffd
	v_xor_b32_e32 v20, vcc_lo, v20
	v_cmp_gt_i32_e32 vcc_lo, 0, v23
	v_not_b32_e32 v23, v24
	s_wait_alu 0xf1ff
	v_xor_b32_e32 v130, s15, v130
	v_cmp_gt_i32_e64 s15, 0, v24
	v_and_b32_e32 v20, exec_lo, v20
	v_not_b32_e32 v24, v26
	v_ashrrev_i32_e32 v23, 31, v23
	s_wait_alu 0xfffd
	v_xor_b32_e32 v22, vcc_lo, v22
	v_cmp_gt_i32_e32 vcc_lo, 0, v26
	v_and_b32_e32 v20, v20, v130
	v_not_b32_e32 v26, v27
	v_ashrrev_i32_e32 v24, 31, v24
	s_wait_alu 0xf1ff
	v_xor_b32_e32 v23, s15, v23
	v_cmp_gt_i32_e64 s15, 0, v27
	v_and_b32_e32 v20, v20, v22
	v_not_b32_e32 v22, v129
	v_ashrrev_i32_e32 v26, 31, v26
	s_wait_alu 0xfffd
	v_xor_b32_e32 v24, vcc_lo, v24
	v_cmp_gt_i32_e32 vcc_lo, 0, v129
	v_and_b32_e32 v20, v20, v23
	v_not_b32_e32 v23, v25
	v_ashrrev_i32_e32 v22, 31, v22
	s_wait_alu 0xf1ff
	v_xor_b32_e32 v26, s15, v26
	v_cmp_gt_i32_e64 s15, 0, v25
	v_and_b32_e32 v20, v20, v24
	v_ashrrev_i32_e32 v23, 31, v23
	s_wait_alu 0xfffd
	v_xor_b32_e32 v22, vcc_lo, v22
	v_mad_u32_u24 v24, v21, 36, v92
	v_mul_u32_u24_e32 v21, 36, v21
	v_and_b32_e32 v20, v20, v26
	s_wait_alu 0xf1ff
	v_xor_b32_e32 v23, s15, v23
	ds_load_b32 v129, v24 offset:1056
	v_add_nc_u32_e32 v131, v92, v21
	v_and_b32_e32 v20, v20, v22
	; wave barrier
	s_delay_alu instid0(VALU_DEP_1) | instskip(NEXT) | instid1(VALU_DEP_1)
	v_and_b32_e32 v20, v20, v23
	v_mbcnt_lo_u32_b32 v130, v20, 0
	v_cmp_ne_u32_e64 s15, 0, v20
	s_delay_alu instid0(VALU_DEP_2)
	v_cmp_eq_u32_e32 vcc_lo, 0, v130
	s_and_b32 s16, s15, vcc_lo
	s_wait_alu 0xfffe
	s_and_saveexec_b32 s15, s16
	s_cbranch_execz .LBB1745_264
; %bb.263:                              ;   in Loop: Header=BB1745_228 Depth=2
	s_wait_dscnt 0x0
	v_bcnt_u32_b32 v20, v20, v129
	ds_store_b32 v131, v20 offset:1056
.LBB1745_264:                           ;   in Loop: Header=BB1745_228 Depth=2
	s_wait_alu 0xfffe
	s_or_b32 exec_lo, exec_lo, s15
	; wave barrier
	s_wait_loadcnt_dscnt 0x0
	s_barrier_signal -1
	s_barrier_wait -1
	global_inv scope:SCOPE_SE
	ds_load_2addr_b32 v[26:27], v78 offset1:1
	ds_load_2addr_b32 v[24:25], v79 offset1:1
	;; [unrolled: 1-line block ×4, first 2 shown]
	ds_load_b32 v132, v43 offset:1088
	s_wait_dscnt 0x3
	v_add3_u32 v133, v27, v26, v24
	s_wait_dscnt 0x2
	s_delay_alu instid0(VALU_DEP_1) | instskip(SKIP_1) | instid1(VALU_DEP_1)
	v_add3_u32 v133, v133, v25, v22
	s_wait_dscnt 0x1
	v_add3_u32 v133, v133, v23, v20
	s_wait_dscnt 0x0
	s_delay_alu instid0(VALU_DEP_1) | instskip(NEXT) | instid1(VALU_DEP_1)
	v_add3_u32 v132, v133, v21, v132
	v_mov_b32_dpp v133, v132 row_shr:1 row_mask:0xf bank_mask:0xf
	s_delay_alu instid0(VALU_DEP_1) | instskip(NEXT) | instid1(VALU_DEP_1)
	v_cndmask_b32_e64 v133, v133, 0, s0
	v_add_nc_u32_e32 v132, v133, v132
	s_delay_alu instid0(VALU_DEP_1) | instskip(NEXT) | instid1(VALU_DEP_1)
	v_mov_b32_dpp v133, v132 row_shr:2 row_mask:0xf bank_mask:0xf
	v_cndmask_b32_e64 v133, 0, v133, s1
	s_delay_alu instid0(VALU_DEP_1) | instskip(NEXT) | instid1(VALU_DEP_1)
	v_add_nc_u32_e32 v132, v132, v133
	v_mov_b32_dpp v133, v132 row_shr:4 row_mask:0xf bank_mask:0xf
	s_delay_alu instid0(VALU_DEP_1) | instskip(NEXT) | instid1(VALU_DEP_1)
	v_cndmask_b32_e64 v133, 0, v133, s9
	v_add_nc_u32_e32 v132, v132, v133
	s_delay_alu instid0(VALU_DEP_1) | instskip(NEXT) | instid1(VALU_DEP_1)
	v_mov_b32_dpp v133, v132 row_shr:8 row_mask:0xf bank_mask:0xf
	v_cndmask_b32_e64 v133, 0, v133, s10
	s_delay_alu instid0(VALU_DEP_1) | instskip(SKIP_3) | instid1(VALU_DEP_1)
	v_add_nc_u32_e32 v132, v132, v133
	ds_swizzle_b32 v133, v132 offset:swizzle(BROADCAST,32,15)
	s_wait_dscnt 0x0
	v_cndmask_b32_e64 v133, v133, 0, s11
	v_add_nc_u32_e32 v132, v132, v133
	s_and_saveexec_b32 s15, s3
; %bb.265:                              ;   in Loop: Header=BB1745_228 Depth=2
	ds_store_b32 v38, v132 offset:1024
; %bb.266:                              ;   in Loop: Header=BB1745_228 Depth=2
	s_wait_alu 0xfffe
	s_or_b32 exec_lo, exec_lo, s15
	s_wait_loadcnt_dscnt 0x0
	s_barrier_signal -1
	s_barrier_wait -1
	global_inv scope:SCOPE_SE
	s_and_saveexec_b32 s15, s4
	s_cbranch_execz .LBB1745_268
; %bb.267:                              ;   in Loop: Header=BB1745_228 Depth=2
	ds_load_b32 v133, v46 offset:1024
	s_wait_dscnt 0x0
	v_mov_b32_dpp v134, v133 row_shr:1 row_mask:0xf bank_mask:0xf
	s_delay_alu instid0(VALU_DEP_1) | instskip(NEXT) | instid1(VALU_DEP_1)
	v_cndmask_b32_e64 v134, v134, 0, s12
	v_add_nc_u32_e32 v133, v134, v133
	s_delay_alu instid0(VALU_DEP_1) | instskip(NEXT) | instid1(VALU_DEP_1)
	v_mov_b32_dpp v134, v133 row_shr:2 row_mask:0xf bank_mask:0xf
	v_cndmask_b32_e64 v134, 0, v134, s13
	s_delay_alu instid0(VALU_DEP_1) | instskip(NEXT) | instid1(VALU_DEP_1)
	v_add_nc_u32_e32 v133, v133, v134
	v_mov_b32_dpp v134, v133 row_shr:4 row_mask:0xf bank_mask:0xf
	s_delay_alu instid0(VALU_DEP_1) | instskip(NEXT) | instid1(VALU_DEP_1)
	v_cndmask_b32_e64 v134, 0, v134, s14
	v_add_nc_u32_e32 v133, v133, v134
	ds_store_b32 v46, v133 offset:1024
.LBB1745_268:                           ;   in Loop: Header=BB1745_228 Depth=2
	s_wait_alu 0xfffe
	s_or_b32 exec_lo, exec_lo, s15
	v_mov_b32_e32 v133, 0
	s_wait_loadcnt_dscnt 0x0
	s_barrier_signal -1
	s_barrier_wait -1
	global_inv scope:SCOPE_SE
	s_and_saveexec_b32 s15, s5
; %bb.269:                              ;   in Loop: Header=BB1745_228 Depth=2
	ds_load_b32 v133, v38 offset:1020
; %bb.270:                              ;   in Loop: Header=BB1745_228 Depth=2
	s_wait_alu 0xfffe
	s_or_b32 exec_lo, exec_lo, s15
	s_wait_dscnt 0x0
	v_add_nc_u32_e32 v132, v133, v132
	ds_bpermute_b32 v132, v87, v132
	s_wait_dscnt 0x0
	v_cndmask_b32_e64 v132, v132, v133, s8
	s_delay_alu instid0(VALU_DEP_1) | instskip(NEXT) | instid1(VALU_DEP_1)
	v_cndmask_b32_e64 v132, v132, 0, s6
	v_add_nc_u32_e32 v26, v132, v26
	s_delay_alu instid0(VALU_DEP_1) | instskip(NEXT) | instid1(VALU_DEP_1)
	v_add_nc_u32_e32 v27, v26, v27
	v_add_nc_u32_e32 v24, v27, v24
	s_delay_alu instid0(VALU_DEP_1) | instskip(NEXT) | instid1(VALU_DEP_1)
	v_add_nc_u32_e32 v25, v24, v25
	;; [unrolled: 3-line block ×3, first 2 shown]
	v_add_nc_u32_e32 v20, v23, v20
	s_delay_alu instid0(VALU_DEP_1)
	v_add_nc_u32_e32 v21, v20, v21
	ds_store_2addr_b32 v81, v23, v20 offset1:1
	ds_store_2addr_b32 v78, v132, v26 offset1:1
	;; [unrolled: 1-line block ×4, first 2 shown]
	ds_store_b32 v43, v21 offset:1088
	s_wait_loadcnt_dscnt 0x0
	s_barrier_signal -1
	s_barrier_wait -1
	global_inv scope:SCOPE_SE
	ds_load_b32 v23, v104 offset:1056
	ds_load_b32 v24, v108 offset:1056
	;; [unrolled: 1-line block ×9, first 2 shown]
	v_mov_b32_e32 v22, 0x800
	s_and_saveexec_b32 s15, s7
; %bb.271:                              ;   in Loop: Header=BB1745_228 Depth=2
	ds_load_b32 v22, v43 offset:1092
; %bb.272:                              ;   in Loop: Header=BB1745_228 Depth=2
	s_wait_alu 0xfffe
	s_or_b32 exec_lo, exec_lo, s15
	s_wait_loadcnt_dscnt 0x0
	s_barrier_signal -1
	s_barrier_wait -1
	global_inv scope:SCOPE_SE
	s_and_saveexec_b32 s15, s2
	s_cbranch_execz .LBB1745_274
; %bb.273:                              ;   in Loop: Header=BB1745_228 Depth=2
	ds_load_b32 v108, v28
	s_wait_dscnt 0x0
	v_sub_nc_u32_e32 v104, v108, v104
	ds_store_b32 v28, v104
.LBB1745_274:                           ;   in Loop: Header=BB1745_228 Depth=2
	s_wait_alu 0xfffe
	s_or_b32 exec_lo, exec_lo, s15
	v_add_nc_u32_e32 v108, v23, v102
	v_add3_u32 v104, v106, v105, v24
	v_add3_u32 v102, v111, v109, v25
	;; [unrolled: 1-line block ×4, first 2 shown]
	v_lshlrev_b32_e32 v105, 1, v108
	v_lshlrev_b32_e32 v106, 1, v104
	v_add3_u32 v23, v123, v121, v112
	v_lshlrev_b32_e32 v109, 1, v102
	v_add3_u32 v27, v126, v125, v20
	v_add3_u32 v26, v130, v129, v21
	ds_store_b16 v105, v2 offset:1024
	ds_store_b16 v106, v103 offset:1024
	;; [unrolled: 1-line block ×3, first 2 shown]
	v_lshlrev_b32_e32 v2, 1, v25
	v_cmp_lt_u32_e32 vcc_lo, v1, v101
	v_lshlrev_b32_e32 v20, 1, v24
	v_lshlrev_b32_e32 v21, 1, v23
	;; [unrolled: 1-line block ×4, first 2 shown]
	ds_store_b16 v2, v110 offset:1024
	ds_store_b16 v20, v114 offset:1024
	;; [unrolled: 1-line block ×5, first 2 shown]
	s_wait_loadcnt_dscnt 0x0
	s_barrier_signal -1
	s_barrier_wait -1
	global_inv scope:SCOPE_SE
	s_and_saveexec_b32 s16, vcc_lo
	s_cbranch_execnz .LBB1745_311
; %bb.275:                              ;   in Loop: Header=BB1745_228 Depth=2
	s_wait_alu 0xfffe
	s_or_b32 exec_lo, exec_lo, s16
	v_cmp_lt_u32_e64 s15, v29, v101
	s_and_saveexec_b32 s17, s15
	s_cbranch_execnz .LBB1745_312
.LBB1745_276:                           ;   in Loop: Header=BB1745_228 Depth=2
	s_wait_alu 0xfffe
	s_or_b32 exec_lo, exec_lo, s17
	v_cmp_lt_u32_e64 s16, v30, v101
	s_and_saveexec_b32 s18, s16
	s_cbranch_execnz .LBB1745_313
.LBB1745_277:                           ;   in Loop: Header=BB1745_228 Depth=2
	s_wait_alu 0xfffe
	s_or_b32 exec_lo, exec_lo, s18
	v_cmp_lt_u32_e64 s17, v31, v101
	s_and_saveexec_b32 s19, s17
	s_cbranch_execnz .LBB1745_314
.LBB1745_278:                           ;   in Loop: Header=BB1745_228 Depth=2
	s_wait_alu 0xfffe
	s_or_b32 exec_lo, exec_lo, s19
	v_cmp_lt_u32_e64 s18, v34, v101
	s_and_saveexec_b32 s20, s18
	s_cbranch_execnz .LBB1745_315
.LBB1745_279:                           ;   in Loop: Header=BB1745_228 Depth=2
	s_wait_alu 0xfffe
	s_or_b32 exec_lo, exec_lo, s20
	v_cmp_lt_u32_e64 s19, v35, v101
	s_and_saveexec_b32 s21, s19
	s_cbranch_execnz .LBB1745_316
.LBB1745_280:                           ;   in Loop: Header=BB1745_228 Depth=2
	s_wait_alu 0xfffe
	s_or_b32 exec_lo, exec_lo, s21
	v_cmp_lt_u32_e64 s20, v36, v101
	s_and_saveexec_b32 s22, s20
	s_cbranch_execnz .LBB1745_317
.LBB1745_281:                           ;   in Loop: Header=BB1745_228 Depth=2
	s_wait_alu 0xfffe
	s_or_b32 exec_lo, exec_lo, s22
	v_cmp_lt_u32_e64 s21, v37, v101
	s_and_saveexec_b32 s48, s21
	s_cbranch_execz .LBB1745_283
.LBB1745_282:                           ;   in Loop: Header=BB1745_228 Depth=2
	ds_load_u16 v103, v47 offset:4608
	s_wait_dscnt 0x0
	v_cmp_ne_u16_e64 s22, 0x8000, v103
	s_wait_alu 0xf1ff
	s_delay_alu instid0(VALU_DEP_1) | instskip(SKIP_1) | instid1(VALU_DEP_2)
	v_cndmask_b32_e64 v2, 0x7fff, v103, s22
	v_cmp_gt_i16_e64 s22, 0, v103
	v_and_b32_e32 v2, 0xffff, v2
	s_wait_alu 0xf1ff
	s_delay_alu instid0(VALU_DEP_2) | instskip(NEXT) | instid1(VALU_DEP_2)
	v_cndmask_b32_e64 v105, 0x7fff, 0, s22
	v_lshrrev_b32_e32 v2, s23, v2
	s_delay_alu instid0(VALU_DEP_1) | instskip(NEXT) | instid1(VALU_DEP_1)
	v_and_b32_e32 v2, s42, v2
	v_lshlrev_b32_e32 v2, 2, v2
	ds_load_b32 v2, v2
	s_wait_dscnt 0x0
	v_add_nc_u32_e32 v2, v2, v37
	s_delay_alu instid0(VALU_DEP_1) | instskip(SKIP_1) | instid1(VALU_DEP_2)
	v_lshlrev_b64_e32 v[20:21], 1, v[2:3]
	v_xor_b32_e32 v2, v105, v103
	v_add_co_u32 v20, s22, s40, v20
	s_wait_alu 0xf1ff
	s_delay_alu instid0(VALU_DEP_3)
	v_add_co_ci_u32_e64 v21, null, s41, v21, s22
	global_store_b16 v[20:21], v2, off
.LBB1745_283:                           ;   in Loop: Header=BB1745_228 Depth=2
	s_wait_alu 0xfffe
	s_or_b32 exec_lo, exec_lo, s48
	s_lshl_b64 s[48:49], s[30:31], 3
	s_wait_alu 0xfffe
	v_add_co_u32 v20, s22, v88, s48
	s_wait_alu 0xf1ff
	v_add_co_ci_u32_e64 v21, null, s49, v89, s22
	v_cmp_lt_u32_e64 s22, v66, v101
	s_and_saveexec_b32 s30, s22
	s_wait_alu 0xfffe
	s_xor_b32 s22, exec_lo, s30
	s_cbranch_execnz .LBB1745_318
; %bb.284:                              ;   in Loop: Header=BB1745_228 Depth=2
	s_wait_alu 0xfffe
	s_or_b32 exec_lo, exec_lo, s22
	s_delay_alu instid0(SALU_CYCLE_1)
	s_mov_b32 s30, exec_lo
	v_cmpx_lt_u32_e64 v70, v101
	s_cbranch_execnz .LBB1745_319
.LBB1745_285:                           ;   in Loop: Header=BB1745_228 Depth=2
	s_wait_alu 0xfffe
	s_or_b32 exec_lo, exec_lo, s30
	s_delay_alu instid0(SALU_CYCLE_1)
	s_mov_b32 s30, exec_lo
	v_cmpx_lt_u32_e64 v71, v101
	s_cbranch_execnz .LBB1745_320
.LBB1745_286:                           ;   in Loop: Header=BB1745_228 Depth=2
	s_wait_alu 0xfffe
	s_or_b32 exec_lo, exec_lo, s30
	s_delay_alu instid0(SALU_CYCLE_1)
	s_mov_b32 s30, exec_lo
	v_cmpx_lt_u32_e64 v72, v101
	s_cbranch_execnz .LBB1745_321
.LBB1745_287:                           ;   in Loop: Header=BB1745_228 Depth=2
	s_wait_alu 0xfffe
	s_or_b32 exec_lo, exec_lo, s30
	s_delay_alu instid0(SALU_CYCLE_1)
	s_mov_b32 s30, exec_lo
	v_cmpx_lt_u32_e64 v73, v101
	s_cbranch_execnz .LBB1745_322
.LBB1745_288:                           ;   in Loop: Header=BB1745_228 Depth=2
	s_wait_alu 0xfffe
	s_or_b32 exec_lo, exec_lo, s30
	s_delay_alu instid0(SALU_CYCLE_1)
	s_mov_b32 s30, exec_lo
	v_cmpx_lt_u32_e64 v74, v101
	s_cbranch_execnz .LBB1745_323
.LBB1745_289:                           ;   in Loop: Header=BB1745_228 Depth=2
	s_wait_alu 0xfffe
	s_or_b32 exec_lo, exec_lo, s30
	s_delay_alu instid0(SALU_CYCLE_1)
	s_mov_b32 s30, exec_lo
	v_cmpx_lt_u32_e64 v75, v101
	s_cbranch_execnz .LBB1745_324
.LBB1745_290:                           ;   in Loop: Header=BB1745_228 Depth=2
	s_wait_alu 0xfffe
	s_or_b32 exec_lo, exec_lo, s30
	s_delay_alu instid0(SALU_CYCLE_1)
	s_mov_b32 s30, exec_lo
	v_cmpx_lt_u32_e64 v76, v101
	s_cbranch_execnz .LBB1745_325
.LBB1745_291:                           ;   in Loop: Header=BB1745_228 Depth=2
	s_wait_alu 0xfffe
	s_or_b32 exec_lo, exec_lo, s30
	s_and_saveexec_b32 s30, vcc_lo
	s_cbranch_execnz .LBB1745_326
.LBB1745_292:                           ;   in Loop: Header=BB1745_228 Depth=2
	s_wait_alu 0xfffe
	s_or_b32 exec_lo, exec_lo, s30
	s_and_saveexec_b32 s30, s15
	s_cbranch_execnz .LBB1745_327
.LBB1745_293:                           ;   in Loop: Header=BB1745_228 Depth=2
	s_wait_alu 0xfffe
	s_or_b32 exec_lo, exec_lo, s30
	s_and_saveexec_b32 s30, s16
	s_cbranch_execnz .LBB1745_328
.LBB1745_294:                           ;   in Loop: Header=BB1745_228 Depth=2
	s_wait_alu 0xfffe
	s_or_b32 exec_lo, exec_lo, s30
	s_and_saveexec_b32 s30, s17
	s_cbranch_execnz .LBB1745_329
.LBB1745_295:                           ;   in Loop: Header=BB1745_228 Depth=2
	s_wait_alu 0xfffe
	s_or_b32 exec_lo, exec_lo, s30
	s_and_saveexec_b32 s30, s18
	s_cbranch_execnz .LBB1745_330
.LBB1745_296:                           ;   in Loop: Header=BB1745_228 Depth=2
	s_wait_alu 0xfffe
	s_or_b32 exec_lo, exec_lo, s30
	s_and_saveexec_b32 s30, s19
	s_cbranch_execnz .LBB1745_331
.LBB1745_297:                           ;   in Loop: Header=BB1745_228 Depth=2
	s_wait_alu 0xfffe
	s_or_b32 exec_lo, exec_lo, s30
	s_and_saveexec_b32 s30, s20
	s_cbranch_execnz .LBB1745_332
.LBB1745_298:                           ;   in Loop: Header=BB1745_228 Depth=2
	s_wait_alu 0xfffe
	s_or_b32 exec_lo, exec_lo, s30
	s_and_saveexec_b32 s30, s21
	s_cbranch_execz .LBB1745_300
.LBB1745_299:                           ;   in Loop: Header=BB1745_228 Depth=2
	ds_load_u16 v2, v47 offset:4608
	s_wait_dscnt 0x0
	v_cmp_ne_u16_e64 s22, 0x8000, v2
	s_wait_alu 0xf1ff
	s_delay_alu instid0(VALU_DEP_1) | instskip(NEXT) | instid1(VALU_DEP_1)
	v_cndmask_b32_e64 v2, 0x7fff, v2, s22
	v_and_b32_e32 v2, 0xffff, v2
	s_delay_alu instid0(VALU_DEP_1) | instskip(NEXT) | instid1(VALU_DEP_1)
	v_lshrrev_b32_e32 v2, s23, v2
	v_and_b32_e32 v93, s42, v2
.LBB1745_300:                           ;   in Loop: Header=BB1745_228 Depth=2
	s_wait_alu 0xfffe
	s_or_b32 exec_lo, exec_lo, s30
	v_lshlrev_b32_e32 v2, 3, v108
	v_lshlrev_b32_e32 v20, 3, v104
	;; [unrolled: 1-line block ×3, first 2 shown]
	s_wait_loadcnt 0x0
	s_wait_storecnt 0x0
	s_barrier_signal -1
	s_barrier_wait -1
	global_inv scope:SCOPE_SE
	ds_store_b64 v2, v[18:19] offset:1024
	ds_store_b64 v20, v[16:17] offset:1024
	;; [unrolled: 1-line block ×3, first 2 shown]
	v_lshlrev_b32_e32 v2, 3, v25
	v_lshlrev_b32_e32 v20, 3, v24
	;; [unrolled: 1-line block ×5, first 2 shown]
	ds_store_b64 v2, v[12:13] offset:1024
	ds_store_b64 v20, v[10:11] offset:1024
	;; [unrolled: 1-line block ×5, first 2 shown]
	s_wait_loadcnt_dscnt 0x0
	s_barrier_signal -1
	s_barrier_wait -1
	global_inv scope:SCOPE_SE
	s_and_saveexec_b32 s22, vcc_lo
	s_cbranch_execnz .LBB1745_333
; %bb.301:                              ;   in Loop: Header=BB1745_228 Depth=2
	s_wait_alu 0xfffe
	s_or_b32 exec_lo, exec_lo, s22
	s_and_saveexec_b32 s22, s15
	s_cbranch_execnz .LBB1745_334
.LBB1745_302:                           ;   in Loop: Header=BB1745_228 Depth=2
	s_wait_alu 0xfffe
	s_or_b32 exec_lo, exec_lo, s22
	s_and_saveexec_b32 s15, s16
	s_cbranch_execnz .LBB1745_335
.LBB1745_303:                           ;   in Loop: Header=BB1745_228 Depth=2
	s_wait_alu 0xfffe
	s_or_b32 exec_lo, exec_lo, s15
	s_and_saveexec_b32 s15, s17
	s_cbranch_execnz .LBB1745_336
.LBB1745_304:                           ;   in Loop: Header=BB1745_228 Depth=2
	s_wait_alu 0xfffe
	s_or_b32 exec_lo, exec_lo, s15
	s_and_saveexec_b32 s15, s18
	s_cbranch_execnz .LBB1745_337
.LBB1745_305:                           ;   in Loop: Header=BB1745_228 Depth=2
	s_wait_alu 0xfffe
	s_or_b32 exec_lo, exec_lo, s15
	s_and_saveexec_b32 s15, s19
	s_cbranch_execnz .LBB1745_338
.LBB1745_306:                           ;   in Loop: Header=BB1745_228 Depth=2
	s_wait_alu 0xfffe
	s_or_b32 exec_lo, exec_lo, s15
	s_and_saveexec_b32 s15, s20
	s_cbranch_execnz .LBB1745_339
.LBB1745_307:                           ;   in Loop: Header=BB1745_228 Depth=2
	s_wait_alu 0xfffe
	s_or_b32 exec_lo, exec_lo, s15
	s_and_saveexec_b32 s15, s21
	s_cbranch_execz .LBB1745_309
.LBB1745_308:                           ;   in Loop: Header=BB1745_228 Depth=2
	v_lshlrev_b32_e32 v2, 2, v93
	v_add_nc_u32_e32 v20, v47, v48
	ds_load_b32 v2, v2
	ds_load_b64 v[20:21], v20 offset:15360
	s_wait_dscnt 0x1
	v_add_nc_u32_e32 v2, v2, v37
	s_delay_alu instid0(VALU_DEP_1) | instskip(NEXT) | instid1(VALU_DEP_1)
	v_lshlrev_b64_e32 v[23:24], 3, v[2:3]
	v_add_co_u32 v23, vcc_lo, s26, v23
	s_wait_alu 0xfffd
	s_delay_alu instid0(VALU_DEP_2)
	v_add_co_ci_u32_e64 v24, null, s27, v24, vcc_lo
	s_wait_dscnt 0x0
	global_store_b64 v[23:24], v[20:21], off
.LBB1745_309:                           ;   in Loop: Header=BB1745_228 Depth=2
	s_wait_alu 0xfffe
	s_or_b32 exec_lo, exec_lo, s15
	s_wait_loadcnt 0x0
	s_wait_storecnt 0x0
	s_barrier_signal -1
	s_barrier_wait -1
	global_inv scope:SCOPE_SE
	s_and_saveexec_b32 s15, s2
	s_cbranch_execz .LBB1745_227
; %bb.310:                              ;   in Loop: Header=BB1745_228 Depth=2
	ds_load_b32 v2, v28
	s_wait_dscnt 0x0
	v_add_nc_u32_e32 v2, v2, v22
	ds_store_b32 v28, v2
	s_branch .LBB1745_227
.LBB1745_311:                           ;   in Loop: Header=BB1745_228 Depth=2
	ds_load_u16 v103, v47 offset:1024
	s_wait_dscnt 0x0
	v_cmp_ne_u16_e64 s15, 0x8000, v103
	s_wait_alu 0xf1ff
	s_delay_alu instid0(VALU_DEP_1) | instskip(SKIP_1) | instid1(VALU_DEP_2)
	v_cndmask_b32_e64 v2, 0x7fff, v103, s15
	v_cmp_gt_i16_e64 s15, 0, v103
	v_and_b32_e32 v2, 0xffff, v2
	s_wait_alu 0xf1ff
	s_delay_alu instid0(VALU_DEP_2) | instskip(NEXT) | instid1(VALU_DEP_2)
	v_cndmask_b32_e64 v105, 0x7fff, 0, s15
	v_lshrrev_b32_e32 v2, s23, v2
	s_delay_alu instid0(VALU_DEP_1) | instskip(NEXT) | instid1(VALU_DEP_1)
	v_and_b32_e32 v2, s42, v2
	v_lshlrev_b32_e32 v2, 2, v2
	ds_load_b32 v2, v2
	s_wait_dscnt 0x0
	v_add_nc_u32_e32 v2, v2, v1
	s_delay_alu instid0(VALU_DEP_1) | instskip(SKIP_1) | instid1(VALU_DEP_2)
	v_lshlrev_b64_e32 v[20:21], 1, v[2:3]
	v_xor_b32_e32 v2, v105, v103
	v_add_co_u32 v20, s15, s40, v20
	s_wait_alu 0xf1ff
	s_delay_alu instid0(VALU_DEP_3)
	v_add_co_ci_u32_e64 v21, null, s41, v21, s15
	global_store_b16 v[20:21], v2, off
	s_wait_alu 0xfffe
	s_or_b32 exec_lo, exec_lo, s16
	v_cmp_lt_u32_e64 s15, v29, v101
	s_and_saveexec_b32 s17, s15
	s_cbranch_execz .LBB1745_276
.LBB1745_312:                           ;   in Loop: Header=BB1745_228 Depth=2
	ds_load_u16 v103, v47 offset:1536
	s_wait_dscnt 0x0
	v_cmp_ne_u16_e64 s16, 0x8000, v103
	s_wait_alu 0xf1ff
	s_delay_alu instid0(VALU_DEP_1) | instskip(SKIP_1) | instid1(VALU_DEP_2)
	v_cndmask_b32_e64 v2, 0x7fff, v103, s16
	v_cmp_gt_i16_e64 s16, 0, v103
	v_and_b32_e32 v2, 0xffff, v2
	s_wait_alu 0xf1ff
	s_delay_alu instid0(VALU_DEP_2) | instskip(NEXT) | instid1(VALU_DEP_2)
	v_cndmask_b32_e64 v105, 0x7fff, 0, s16
	v_lshrrev_b32_e32 v2, s23, v2
	s_delay_alu instid0(VALU_DEP_1) | instskip(NEXT) | instid1(VALU_DEP_1)
	v_and_b32_e32 v2, s42, v2
	v_lshlrev_b32_e32 v2, 2, v2
	ds_load_b32 v2, v2
	s_wait_dscnt 0x0
	v_add_nc_u32_e32 v2, v2, v29
	s_delay_alu instid0(VALU_DEP_1) | instskip(SKIP_1) | instid1(VALU_DEP_2)
	v_lshlrev_b64_e32 v[20:21], 1, v[2:3]
	v_xor_b32_e32 v2, v105, v103
	v_add_co_u32 v20, s16, s40, v20
	s_wait_alu 0xf1ff
	s_delay_alu instid0(VALU_DEP_3)
	v_add_co_ci_u32_e64 v21, null, s41, v21, s16
	global_store_b16 v[20:21], v2, off
	s_wait_alu 0xfffe
	s_or_b32 exec_lo, exec_lo, s17
	v_cmp_lt_u32_e64 s16, v30, v101
	s_and_saveexec_b32 s18, s16
	s_cbranch_execz .LBB1745_277
.LBB1745_313:                           ;   in Loop: Header=BB1745_228 Depth=2
	ds_load_u16 v103, v47 offset:2048
	s_wait_dscnt 0x0
	v_cmp_ne_u16_e64 s17, 0x8000, v103
	s_wait_alu 0xf1ff
	s_delay_alu instid0(VALU_DEP_1) | instskip(SKIP_1) | instid1(VALU_DEP_2)
	v_cndmask_b32_e64 v2, 0x7fff, v103, s17
	v_cmp_gt_i16_e64 s17, 0, v103
	v_and_b32_e32 v2, 0xffff, v2
	s_wait_alu 0xf1ff
	s_delay_alu instid0(VALU_DEP_2) | instskip(NEXT) | instid1(VALU_DEP_2)
	v_cndmask_b32_e64 v105, 0x7fff, 0, s17
	v_lshrrev_b32_e32 v2, s23, v2
	s_delay_alu instid0(VALU_DEP_1) | instskip(NEXT) | instid1(VALU_DEP_1)
	v_and_b32_e32 v2, s42, v2
	v_lshlrev_b32_e32 v2, 2, v2
	ds_load_b32 v2, v2
	s_wait_dscnt 0x0
	v_add_nc_u32_e32 v2, v2, v30
	s_delay_alu instid0(VALU_DEP_1) | instskip(SKIP_1) | instid1(VALU_DEP_2)
	v_lshlrev_b64_e32 v[20:21], 1, v[2:3]
	v_xor_b32_e32 v2, v105, v103
	v_add_co_u32 v20, s17, s40, v20
	s_wait_alu 0xf1ff
	s_delay_alu instid0(VALU_DEP_3)
	v_add_co_ci_u32_e64 v21, null, s41, v21, s17
	global_store_b16 v[20:21], v2, off
	s_wait_alu 0xfffe
	s_or_b32 exec_lo, exec_lo, s18
	v_cmp_lt_u32_e64 s17, v31, v101
	s_and_saveexec_b32 s19, s17
	s_cbranch_execz .LBB1745_278
.LBB1745_314:                           ;   in Loop: Header=BB1745_228 Depth=2
	ds_load_u16 v103, v47 offset:2560
	s_wait_dscnt 0x0
	v_cmp_ne_u16_e64 s18, 0x8000, v103
	s_wait_alu 0xf1ff
	s_delay_alu instid0(VALU_DEP_1) | instskip(SKIP_1) | instid1(VALU_DEP_2)
	v_cndmask_b32_e64 v2, 0x7fff, v103, s18
	v_cmp_gt_i16_e64 s18, 0, v103
	v_and_b32_e32 v2, 0xffff, v2
	s_wait_alu 0xf1ff
	s_delay_alu instid0(VALU_DEP_2) | instskip(NEXT) | instid1(VALU_DEP_2)
	v_cndmask_b32_e64 v105, 0x7fff, 0, s18
	v_lshrrev_b32_e32 v2, s23, v2
	s_delay_alu instid0(VALU_DEP_1) | instskip(NEXT) | instid1(VALU_DEP_1)
	v_and_b32_e32 v2, s42, v2
	v_lshlrev_b32_e32 v2, 2, v2
	ds_load_b32 v2, v2
	s_wait_dscnt 0x0
	v_add_nc_u32_e32 v2, v2, v31
	s_delay_alu instid0(VALU_DEP_1) | instskip(SKIP_1) | instid1(VALU_DEP_2)
	v_lshlrev_b64_e32 v[20:21], 1, v[2:3]
	v_xor_b32_e32 v2, v105, v103
	v_add_co_u32 v20, s18, s40, v20
	s_wait_alu 0xf1ff
	s_delay_alu instid0(VALU_DEP_3)
	v_add_co_ci_u32_e64 v21, null, s41, v21, s18
	global_store_b16 v[20:21], v2, off
	s_wait_alu 0xfffe
	s_or_b32 exec_lo, exec_lo, s19
	v_cmp_lt_u32_e64 s18, v34, v101
	s_and_saveexec_b32 s20, s18
	s_cbranch_execz .LBB1745_279
.LBB1745_315:                           ;   in Loop: Header=BB1745_228 Depth=2
	ds_load_u16 v103, v47 offset:3072
	s_wait_dscnt 0x0
	v_cmp_ne_u16_e64 s19, 0x8000, v103
	s_wait_alu 0xf1ff
	s_delay_alu instid0(VALU_DEP_1) | instskip(SKIP_1) | instid1(VALU_DEP_2)
	v_cndmask_b32_e64 v2, 0x7fff, v103, s19
	v_cmp_gt_i16_e64 s19, 0, v103
	v_and_b32_e32 v2, 0xffff, v2
	s_wait_alu 0xf1ff
	s_delay_alu instid0(VALU_DEP_2) | instskip(NEXT) | instid1(VALU_DEP_2)
	v_cndmask_b32_e64 v105, 0x7fff, 0, s19
	v_lshrrev_b32_e32 v2, s23, v2
	s_delay_alu instid0(VALU_DEP_1) | instskip(NEXT) | instid1(VALU_DEP_1)
	v_and_b32_e32 v2, s42, v2
	v_lshlrev_b32_e32 v2, 2, v2
	ds_load_b32 v2, v2
	s_wait_dscnt 0x0
	v_add_nc_u32_e32 v2, v2, v34
	s_delay_alu instid0(VALU_DEP_1) | instskip(SKIP_1) | instid1(VALU_DEP_2)
	v_lshlrev_b64_e32 v[20:21], 1, v[2:3]
	v_xor_b32_e32 v2, v105, v103
	v_add_co_u32 v20, s19, s40, v20
	s_wait_alu 0xf1ff
	s_delay_alu instid0(VALU_DEP_3)
	v_add_co_ci_u32_e64 v21, null, s41, v21, s19
	global_store_b16 v[20:21], v2, off
	s_wait_alu 0xfffe
	s_or_b32 exec_lo, exec_lo, s20
	v_cmp_lt_u32_e64 s19, v35, v101
	s_and_saveexec_b32 s21, s19
	s_cbranch_execz .LBB1745_280
.LBB1745_316:                           ;   in Loop: Header=BB1745_228 Depth=2
	ds_load_u16 v103, v47 offset:3584
	s_wait_dscnt 0x0
	v_cmp_ne_u16_e64 s20, 0x8000, v103
	s_wait_alu 0xf1ff
	s_delay_alu instid0(VALU_DEP_1) | instskip(SKIP_1) | instid1(VALU_DEP_2)
	v_cndmask_b32_e64 v2, 0x7fff, v103, s20
	v_cmp_gt_i16_e64 s20, 0, v103
	v_and_b32_e32 v2, 0xffff, v2
	s_wait_alu 0xf1ff
	s_delay_alu instid0(VALU_DEP_2) | instskip(NEXT) | instid1(VALU_DEP_2)
	v_cndmask_b32_e64 v105, 0x7fff, 0, s20
	v_lshrrev_b32_e32 v2, s23, v2
	s_delay_alu instid0(VALU_DEP_1) | instskip(NEXT) | instid1(VALU_DEP_1)
	v_and_b32_e32 v2, s42, v2
	v_lshlrev_b32_e32 v2, 2, v2
	ds_load_b32 v2, v2
	s_wait_dscnt 0x0
	v_add_nc_u32_e32 v2, v2, v35
	s_delay_alu instid0(VALU_DEP_1) | instskip(SKIP_1) | instid1(VALU_DEP_2)
	v_lshlrev_b64_e32 v[20:21], 1, v[2:3]
	v_xor_b32_e32 v2, v105, v103
	v_add_co_u32 v20, s20, s40, v20
	s_wait_alu 0xf1ff
	s_delay_alu instid0(VALU_DEP_3)
	v_add_co_ci_u32_e64 v21, null, s41, v21, s20
	global_store_b16 v[20:21], v2, off
	s_wait_alu 0xfffe
	s_or_b32 exec_lo, exec_lo, s21
	v_cmp_lt_u32_e64 s20, v36, v101
	s_and_saveexec_b32 s22, s20
	s_cbranch_execz .LBB1745_281
.LBB1745_317:                           ;   in Loop: Header=BB1745_228 Depth=2
	ds_load_u16 v103, v47 offset:4096
	s_wait_dscnt 0x0
	v_cmp_ne_u16_e64 s21, 0x8000, v103
	s_wait_alu 0xf1ff
	s_delay_alu instid0(VALU_DEP_1) | instskip(SKIP_1) | instid1(VALU_DEP_2)
	v_cndmask_b32_e64 v2, 0x7fff, v103, s21
	v_cmp_gt_i16_e64 s21, 0, v103
	v_and_b32_e32 v2, 0xffff, v2
	s_wait_alu 0xf1ff
	s_delay_alu instid0(VALU_DEP_2) | instskip(NEXT) | instid1(VALU_DEP_2)
	v_cndmask_b32_e64 v105, 0x7fff, 0, s21
	v_lshrrev_b32_e32 v2, s23, v2
	s_delay_alu instid0(VALU_DEP_1) | instskip(NEXT) | instid1(VALU_DEP_1)
	v_and_b32_e32 v2, s42, v2
	v_lshlrev_b32_e32 v2, 2, v2
	ds_load_b32 v2, v2
	s_wait_dscnt 0x0
	v_add_nc_u32_e32 v2, v2, v36
	s_delay_alu instid0(VALU_DEP_1) | instskip(SKIP_1) | instid1(VALU_DEP_2)
	v_lshlrev_b64_e32 v[20:21], 1, v[2:3]
	v_xor_b32_e32 v2, v105, v103
	v_add_co_u32 v20, s21, s40, v20
	s_wait_alu 0xf1ff
	s_delay_alu instid0(VALU_DEP_3)
	v_add_co_ci_u32_e64 v21, null, s41, v21, s21
	global_store_b16 v[20:21], v2, off
	s_wait_alu 0xfffe
	s_or_b32 exec_lo, exec_lo, s22
	v_cmp_lt_u32_e64 s21, v37, v101
	s_and_saveexec_b32 s48, s21
	s_cbranch_execnz .LBB1745_282
	s_branch .LBB1745_283
.LBB1745_318:                           ;   in Loop: Header=BB1745_228 Depth=2
	global_load_b64 v[18:19], v[20:21], off
	s_wait_alu 0xfffe
	s_or_b32 exec_lo, exec_lo, s22
	s_delay_alu instid0(SALU_CYCLE_1)
	s_mov_b32 s30, exec_lo
	v_cmpx_lt_u32_e64 v70, v101
	s_cbranch_execz .LBB1745_285
.LBB1745_319:                           ;   in Loop: Header=BB1745_228 Depth=2
	global_load_b64 v[16:17], v[20:21], off offset:256
	s_wait_alu 0xfffe
	s_or_b32 exec_lo, exec_lo, s30
	s_delay_alu instid0(SALU_CYCLE_1)
	s_mov_b32 s30, exec_lo
	v_cmpx_lt_u32_e64 v71, v101
	s_cbranch_execz .LBB1745_286
.LBB1745_320:                           ;   in Loop: Header=BB1745_228 Depth=2
	global_load_b64 v[14:15], v[20:21], off offset:512
	s_wait_alu 0xfffe
	s_or_b32 exec_lo, exec_lo, s30
	s_delay_alu instid0(SALU_CYCLE_1)
	s_mov_b32 s30, exec_lo
	v_cmpx_lt_u32_e64 v72, v101
	s_cbranch_execz .LBB1745_287
.LBB1745_321:                           ;   in Loop: Header=BB1745_228 Depth=2
	global_load_b64 v[12:13], v[20:21], off offset:768
	s_wait_alu 0xfffe
	s_or_b32 exec_lo, exec_lo, s30
	s_delay_alu instid0(SALU_CYCLE_1)
	s_mov_b32 s30, exec_lo
	v_cmpx_lt_u32_e64 v73, v101
	s_cbranch_execz .LBB1745_288
.LBB1745_322:                           ;   in Loop: Header=BB1745_228 Depth=2
	global_load_b64 v[10:11], v[20:21], off offset:1024
	s_wait_alu 0xfffe
	s_or_b32 exec_lo, exec_lo, s30
	s_delay_alu instid0(SALU_CYCLE_1)
	s_mov_b32 s30, exec_lo
	v_cmpx_lt_u32_e64 v74, v101
	s_cbranch_execz .LBB1745_289
.LBB1745_323:                           ;   in Loop: Header=BB1745_228 Depth=2
	global_load_b64 v[8:9], v[20:21], off offset:1280
	s_wait_alu 0xfffe
	s_or_b32 exec_lo, exec_lo, s30
	s_delay_alu instid0(SALU_CYCLE_1)
	s_mov_b32 s30, exec_lo
	v_cmpx_lt_u32_e64 v75, v101
	s_cbranch_execz .LBB1745_290
.LBB1745_324:                           ;   in Loop: Header=BB1745_228 Depth=2
	global_load_b64 v[6:7], v[20:21], off offset:1536
	s_wait_alu 0xfffe
	s_or_b32 exec_lo, exec_lo, s30
	s_delay_alu instid0(SALU_CYCLE_1)
	s_mov_b32 s30, exec_lo
	v_cmpx_lt_u32_e64 v76, v101
	s_cbranch_execz .LBB1745_291
.LBB1745_325:                           ;   in Loop: Header=BB1745_228 Depth=2
	global_load_b64 v[4:5], v[20:21], off offset:1792
	s_wait_alu 0xfffe
	s_or_b32 exec_lo, exec_lo, s30
	s_and_saveexec_b32 s30, vcc_lo
	s_cbranch_execz .LBB1745_292
.LBB1745_326:                           ;   in Loop: Header=BB1745_228 Depth=2
	ds_load_u16 v2, v47 offset:1024
	s_wait_dscnt 0x0
	v_cmp_ne_u16_e64 s22, 0x8000, v2
	s_wait_alu 0xf1ff
	s_delay_alu instid0(VALU_DEP_1) | instskip(NEXT) | instid1(VALU_DEP_1)
	v_cndmask_b32_e64 v2, 0x7fff, v2, s22
	v_and_b32_e32 v2, 0xffff, v2
	s_delay_alu instid0(VALU_DEP_1) | instskip(NEXT) | instid1(VALU_DEP_1)
	v_lshrrev_b32_e32 v2, s23, v2
	v_and_b32_e32 v100, s42, v2
	s_wait_alu 0xfffe
	s_or_b32 exec_lo, exec_lo, s30
	s_and_saveexec_b32 s30, s15
	s_cbranch_execz .LBB1745_293
.LBB1745_327:                           ;   in Loop: Header=BB1745_228 Depth=2
	ds_load_u16 v2, v47 offset:1536
	s_wait_dscnt 0x0
	v_cmp_ne_u16_e64 s22, 0x8000, v2
	s_wait_alu 0xf1ff
	s_delay_alu instid0(VALU_DEP_1) | instskip(NEXT) | instid1(VALU_DEP_1)
	v_cndmask_b32_e64 v2, 0x7fff, v2, s22
	v_and_b32_e32 v2, 0xffff, v2
	s_delay_alu instid0(VALU_DEP_1) | instskip(NEXT) | instid1(VALU_DEP_1)
	v_lshrrev_b32_e32 v2, s23, v2
	v_and_b32_e32 v99, s42, v2
	s_wait_alu 0xfffe
	s_or_b32 exec_lo, exec_lo, s30
	s_and_saveexec_b32 s30, s16
	s_cbranch_execz .LBB1745_294
.LBB1745_328:                           ;   in Loop: Header=BB1745_228 Depth=2
	ds_load_u16 v2, v47 offset:2048
	s_wait_dscnt 0x0
	v_cmp_ne_u16_e64 s22, 0x8000, v2
	s_wait_alu 0xf1ff
	s_delay_alu instid0(VALU_DEP_1) | instskip(NEXT) | instid1(VALU_DEP_1)
	v_cndmask_b32_e64 v2, 0x7fff, v2, s22
	v_and_b32_e32 v2, 0xffff, v2
	s_delay_alu instid0(VALU_DEP_1) | instskip(NEXT) | instid1(VALU_DEP_1)
	v_lshrrev_b32_e32 v2, s23, v2
	v_and_b32_e32 v98, s42, v2
	s_wait_alu 0xfffe
	s_or_b32 exec_lo, exec_lo, s30
	s_and_saveexec_b32 s30, s17
	s_cbranch_execz .LBB1745_295
.LBB1745_329:                           ;   in Loop: Header=BB1745_228 Depth=2
	ds_load_u16 v2, v47 offset:2560
	s_wait_dscnt 0x0
	v_cmp_ne_u16_e64 s22, 0x8000, v2
	s_wait_alu 0xf1ff
	s_delay_alu instid0(VALU_DEP_1) | instskip(NEXT) | instid1(VALU_DEP_1)
	v_cndmask_b32_e64 v2, 0x7fff, v2, s22
	v_and_b32_e32 v2, 0xffff, v2
	s_delay_alu instid0(VALU_DEP_1) | instskip(NEXT) | instid1(VALU_DEP_1)
	v_lshrrev_b32_e32 v2, s23, v2
	v_and_b32_e32 v97, s42, v2
	s_wait_alu 0xfffe
	s_or_b32 exec_lo, exec_lo, s30
	s_and_saveexec_b32 s30, s18
	s_cbranch_execz .LBB1745_296
.LBB1745_330:                           ;   in Loop: Header=BB1745_228 Depth=2
	ds_load_u16 v2, v47 offset:3072
	s_wait_dscnt 0x0
	v_cmp_ne_u16_e64 s22, 0x8000, v2
	s_wait_alu 0xf1ff
	s_delay_alu instid0(VALU_DEP_1) | instskip(NEXT) | instid1(VALU_DEP_1)
	v_cndmask_b32_e64 v2, 0x7fff, v2, s22
	v_and_b32_e32 v2, 0xffff, v2
	s_delay_alu instid0(VALU_DEP_1) | instskip(NEXT) | instid1(VALU_DEP_1)
	v_lshrrev_b32_e32 v2, s23, v2
	v_and_b32_e32 v96, s42, v2
	s_wait_alu 0xfffe
	s_or_b32 exec_lo, exec_lo, s30
	s_and_saveexec_b32 s30, s19
	s_cbranch_execz .LBB1745_297
.LBB1745_331:                           ;   in Loop: Header=BB1745_228 Depth=2
	ds_load_u16 v2, v47 offset:3584
	s_wait_dscnt 0x0
	v_cmp_ne_u16_e64 s22, 0x8000, v2
	s_wait_alu 0xf1ff
	s_delay_alu instid0(VALU_DEP_1) | instskip(NEXT) | instid1(VALU_DEP_1)
	v_cndmask_b32_e64 v2, 0x7fff, v2, s22
	v_and_b32_e32 v2, 0xffff, v2
	s_delay_alu instid0(VALU_DEP_1) | instskip(NEXT) | instid1(VALU_DEP_1)
	v_lshrrev_b32_e32 v2, s23, v2
	v_and_b32_e32 v95, s42, v2
	s_wait_alu 0xfffe
	s_or_b32 exec_lo, exec_lo, s30
	s_and_saveexec_b32 s30, s20
	s_cbranch_execz .LBB1745_298
.LBB1745_332:                           ;   in Loop: Header=BB1745_228 Depth=2
	ds_load_u16 v2, v47 offset:4096
	s_wait_dscnt 0x0
	v_cmp_ne_u16_e64 s22, 0x8000, v2
	s_wait_alu 0xf1ff
	s_delay_alu instid0(VALU_DEP_1) | instskip(NEXT) | instid1(VALU_DEP_1)
	v_cndmask_b32_e64 v2, 0x7fff, v2, s22
	v_and_b32_e32 v2, 0xffff, v2
	s_delay_alu instid0(VALU_DEP_1) | instskip(NEXT) | instid1(VALU_DEP_1)
	v_lshrrev_b32_e32 v2, s23, v2
	v_and_b32_e32 v94, s42, v2
	s_wait_alu 0xfffe
	s_or_b32 exec_lo, exec_lo, s30
	s_and_saveexec_b32 s30, s21
	s_cbranch_execnz .LBB1745_299
	s_branch .LBB1745_300
.LBB1745_333:                           ;   in Loop: Header=BB1745_228 Depth=2
	v_lshlrev_b32_e32 v2, 2, v100
	v_add_nc_u32_e32 v20, v47, v48
	ds_load_b32 v2, v2
	ds_load_b64 v[20:21], v20 offset:1024
	s_wait_dscnt 0x1
	v_add_nc_u32_e32 v2, v2, v1
	s_delay_alu instid0(VALU_DEP_1) | instskip(NEXT) | instid1(VALU_DEP_1)
	v_lshlrev_b64_e32 v[23:24], 3, v[2:3]
	v_add_co_u32 v23, vcc_lo, s26, v23
	s_wait_alu 0xfffd
	s_delay_alu instid0(VALU_DEP_2)
	v_add_co_ci_u32_e64 v24, null, s27, v24, vcc_lo
	s_wait_dscnt 0x0
	global_store_b64 v[23:24], v[20:21], off
	s_wait_alu 0xfffe
	s_or_b32 exec_lo, exec_lo, s22
	s_and_saveexec_b32 s22, s15
	s_cbranch_execz .LBB1745_302
.LBB1745_334:                           ;   in Loop: Header=BB1745_228 Depth=2
	v_lshlrev_b32_e32 v2, 2, v99
	v_add_nc_u32_e32 v20, v47, v48
	ds_load_b32 v2, v2
	ds_load_b64 v[20:21], v20 offset:3072
	s_wait_dscnt 0x1
	v_add_nc_u32_e32 v2, v2, v29
	s_delay_alu instid0(VALU_DEP_1) | instskip(NEXT) | instid1(VALU_DEP_1)
	v_lshlrev_b64_e32 v[23:24], 3, v[2:3]
	v_add_co_u32 v23, vcc_lo, s26, v23
	s_wait_alu 0xfffd
	s_delay_alu instid0(VALU_DEP_2)
	v_add_co_ci_u32_e64 v24, null, s27, v24, vcc_lo
	s_wait_dscnt 0x0
	global_store_b64 v[23:24], v[20:21], off
	s_wait_alu 0xfffe
	s_or_b32 exec_lo, exec_lo, s22
	s_and_saveexec_b32 s15, s16
	s_cbranch_execz .LBB1745_303
.LBB1745_335:                           ;   in Loop: Header=BB1745_228 Depth=2
	v_lshlrev_b32_e32 v2, 2, v98
	v_add_nc_u32_e32 v20, v47, v48
	ds_load_b32 v2, v2
	ds_load_b64 v[20:21], v20 offset:5120
	s_wait_dscnt 0x1
	v_add_nc_u32_e32 v2, v2, v30
	s_delay_alu instid0(VALU_DEP_1) | instskip(NEXT) | instid1(VALU_DEP_1)
	v_lshlrev_b64_e32 v[23:24], 3, v[2:3]
	v_add_co_u32 v23, vcc_lo, s26, v23
	s_wait_alu 0xfffd
	s_delay_alu instid0(VALU_DEP_2)
	v_add_co_ci_u32_e64 v24, null, s27, v24, vcc_lo
	s_wait_dscnt 0x0
	global_store_b64 v[23:24], v[20:21], off
	s_wait_alu 0xfffe
	s_or_b32 exec_lo, exec_lo, s15
	s_and_saveexec_b32 s15, s17
	s_cbranch_execz .LBB1745_304
.LBB1745_336:                           ;   in Loop: Header=BB1745_228 Depth=2
	v_lshlrev_b32_e32 v2, 2, v97
	v_add_nc_u32_e32 v20, v47, v48
	ds_load_b32 v2, v2
	ds_load_b64 v[20:21], v20 offset:7168
	s_wait_dscnt 0x1
	v_add_nc_u32_e32 v2, v2, v31
	s_delay_alu instid0(VALU_DEP_1) | instskip(NEXT) | instid1(VALU_DEP_1)
	v_lshlrev_b64_e32 v[23:24], 3, v[2:3]
	v_add_co_u32 v23, vcc_lo, s26, v23
	s_wait_alu 0xfffd
	s_delay_alu instid0(VALU_DEP_2)
	v_add_co_ci_u32_e64 v24, null, s27, v24, vcc_lo
	s_wait_dscnt 0x0
	global_store_b64 v[23:24], v[20:21], off
	s_wait_alu 0xfffe
	s_or_b32 exec_lo, exec_lo, s15
	s_and_saveexec_b32 s15, s18
	s_cbranch_execz .LBB1745_305
.LBB1745_337:                           ;   in Loop: Header=BB1745_228 Depth=2
	v_lshlrev_b32_e32 v2, 2, v96
	v_add_nc_u32_e32 v20, v47, v48
	ds_load_b32 v2, v2
	ds_load_b64 v[20:21], v20 offset:9216
	s_wait_dscnt 0x1
	v_add_nc_u32_e32 v2, v2, v34
	s_delay_alu instid0(VALU_DEP_1) | instskip(NEXT) | instid1(VALU_DEP_1)
	v_lshlrev_b64_e32 v[23:24], 3, v[2:3]
	v_add_co_u32 v23, vcc_lo, s26, v23
	s_wait_alu 0xfffd
	s_delay_alu instid0(VALU_DEP_2)
	v_add_co_ci_u32_e64 v24, null, s27, v24, vcc_lo
	s_wait_dscnt 0x0
	global_store_b64 v[23:24], v[20:21], off
	s_wait_alu 0xfffe
	s_or_b32 exec_lo, exec_lo, s15
	s_and_saveexec_b32 s15, s19
	s_cbranch_execz .LBB1745_306
.LBB1745_338:                           ;   in Loop: Header=BB1745_228 Depth=2
	v_lshlrev_b32_e32 v2, 2, v95
	v_add_nc_u32_e32 v20, v47, v48
	ds_load_b32 v2, v2
	ds_load_b64 v[20:21], v20 offset:11264
	s_wait_dscnt 0x1
	v_add_nc_u32_e32 v2, v2, v35
	s_delay_alu instid0(VALU_DEP_1) | instskip(NEXT) | instid1(VALU_DEP_1)
	v_lshlrev_b64_e32 v[23:24], 3, v[2:3]
	v_add_co_u32 v23, vcc_lo, s26, v23
	s_wait_alu 0xfffd
	s_delay_alu instid0(VALU_DEP_2)
	v_add_co_ci_u32_e64 v24, null, s27, v24, vcc_lo
	s_wait_dscnt 0x0
	global_store_b64 v[23:24], v[20:21], off
	s_wait_alu 0xfffe
	s_or_b32 exec_lo, exec_lo, s15
	s_and_saveexec_b32 s15, s20
	s_cbranch_execz .LBB1745_307
.LBB1745_339:                           ;   in Loop: Header=BB1745_228 Depth=2
	v_lshlrev_b32_e32 v2, 2, v94
	v_add_nc_u32_e32 v20, v47, v48
	ds_load_b32 v2, v2
	ds_load_b64 v[20:21], v20 offset:13312
	s_wait_dscnt 0x1
	v_add_nc_u32_e32 v2, v2, v36
	s_delay_alu instid0(VALU_DEP_1) | instskip(NEXT) | instid1(VALU_DEP_1)
	v_lshlrev_b64_e32 v[23:24], 3, v[2:3]
	v_add_co_u32 v23, vcc_lo, s26, v23
	s_wait_alu 0xfffd
	s_delay_alu instid0(VALU_DEP_2)
	v_add_co_ci_u32_e64 v24, null, s27, v24, vcc_lo
	s_wait_dscnt 0x0
	global_store_b64 v[23:24], v[20:21], off
	s_wait_alu 0xfffe
	s_or_b32 exec_lo, exec_lo, s15
	s_and_saveexec_b32 s15, s21
	s_cbranch_execnz .LBB1745_308
	s_branch .LBB1745_309
.LBB1745_340:                           ;   in Loop: Header=BB1745_12 Depth=1
	s_wait_loadcnt_dscnt 0x0
	s_barrier_signal -1
	s_barrier_wait -1
.LBB1745_341:                           ;   in Loop: Header=BB1745_12 Depth=1
	s_mov_b32 s0, 0
.LBB1745_342:                           ;   in Loop: Header=BB1745_12 Depth=1
	s_wait_alu 0xfffe
	s_and_not1_b32 vcc_lo, exec_lo, s0
	s_wait_alu 0xfffe
	s_cbranch_vccnz .LBB1745_11
; %bb.343:                              ;   in Loop: Header=BB1745_12 Depth=1
	s_and_b32 vcc_lo, exec_lo, s35
	s_mov_b32 s0, -1
	s_wait_alu 0xfffe
	s_cbranch_vccz .LBB1745_507
; %bb.344:                              ;   in Loop: Header=BB1745_12 Depth=1
	s_mov_b32 s9, s47
	s_mov_b32 s30, s33
	s_barrier_signal -1
	s_barrier_wait -1
	global_inv scope:SCOPE_SE
                                        ; implicit-def: $vgpr2
                                        ; implicit-def: $vgpr4
                                        ; implicit-def: $vgpr5
                                        ; implicit-def: $vgpr6
                                        ; implicit-def: $vgpr7
                                        ; implicit-def: $vgpr8
                                        ; implicit-def: $vgpr9
                                        ; implicit-def: $vgpr10
	s_branch .LBB1745_346
.LBB1745_345:                           ;   in Loop: Header=BB1745_346 Depth=2
	s_wait_alu 0xfffe
	s_or_b32 exec_lo, exec_lo, s0
	s_addk_co_i32 s9, 0xf800
	s_cmp_ge_u32 s10, s34
	s_mov_b32 s30, s10
	s_cbranch_scc1 .LBB1745_382
.LBB1745_346:                           ;   Parent Loop BB1745_12 Depth=1
                                        ; =>  This Inner Loop Header: Depth=2
	s_wait_alu 0xfffe
	s_add_co_i32 s10, s30, 0x800
	s_mov_b32 s0, -1
	s_wait_alu 0xfffe
	s_cmp_gt_u32 s10, s34
                                        ; implicit-def: $vgpr11
                                        ; implicit-def: $vgpr12
                                        ; implicit-def: $vgpr13
                                        ; implicit-def: $vgpr14
                                        ; implicit-def: $vgpr15
                                        ; implicit-def: $vgpr16
                                        ; implicit-def: $vgpr17
                                        ; implicit-def: $vgpr18
	s_cbranch_scc1 .LBB1745_348
; %bb.347:                              ;   in Loop: Header=BB1745_346 Depth=2
	s_lshl_b64 s[0:1], s[30:31], 1
	s_wait_alu 0xfffe
	v_add_co_u32 v18, vcc_lo, v55, s0
	s_wait_alu 0xfffd
	v_add_co_ci_u32_e64 v19, null, s1, v56, vcc_lo
	s_mov_b32 s0, 0
	s_clause 0x7
	global_load_u16 v11, v[18:19], off
	global_load_u16 v12, v[18:19], off offset:512
	global_load_u16 v13, v[18:19], off offset:1024
	;; [unrolled: 1-line block ×7, first 2 shown]
.LBB1745_348:                           ;   in Loop: Header=BB1745_346 Depth=2
	s_wait_alu 0xfffe
	s_and_not1_b32 vcc_lo, exec_lo, s0
	s_movk_i32 s0, 0x800
	s_wait_alu 0xfffe
	s_cbranch_vccnz .LBB1745_359
; %bb.349:                              ;   in Loop: Header=BB1745_346 Depth=2
	s_lshl_b64 s[0:1], s[30:31], 1
	s_mov_b32 s11, exec_lo
	s_wait_alu 0xfffe
	s_add_nc_u64 s[0:1], s[36:37], s[0:1]
	v_cmpx_gt_u32_e64 s9, v1
	s_cbranch_execnz .LBB1745_375
; %bb.350:                              ;   in Loop: Header=BB1745_346 Depth=2
	s_or_b32 exec_lo, exec_lo, s11
	s_delay_alu instid0(SALU_CYCLE_1)
	s_mov_b32 s11, exec_lo
	v_cmpx_gt_u32_e64 s9, v29
	s_cbranch_execnz .LBB1745_376
.LBB1745_351:                           ;   in Loop: Header=BB1745_346 Depth=2
	s_wait_alu 0xfffe
	s_or_b32 exec_lo, exec_lo, s11
	s_delay_alu instid0(SALU_CYCLE_1)
	s_mov_b32 s11, exec_lo
	v_cmpx_gt_u32_e64 s9, v30
	s_cbranch_execnz .LBB1745_377
.LBB1745_352:                           ;   in Loop: Header=BB1745_346 Depth=2
	s_wait_alu 0xfffe
	s_or_b32 exec_lo, exec_lo, s11
	s_delay_alu instid0(SALU_CYCLE_1)
	s_mov_b32 s11, exec_lo
	v_cmpx_gt_u32_e64 s9, v31
	s_cbranch_execnz .LBB1745_378
.LBB1745_353:                           ;   in Loop: Header=BB1745_346 Depth=2
	s_wait_alu 0xfffe
	s_or_b32 exec_lo, exec_lo, s11
	s_delay_alu instid0(SALU_CYCLE_1)
	s_mov_b32 s11, exec_lo
	v_cmpx_gt_u32_e64 s9, v34
	s_cbranch_execnz .LBB1745_379
.LBB1745_354:                           ;   in Loop: Header=BB1745_346 Depth=2
	s_wait_alu 0xfffe
	s_or_b32 exec_lo, exec_lo, s11
	s_delay_alu instid0(SALU_CYCLE_1)
	s_mov_b32 s11, exec_lo
	v_cmpx_gt_u32_e64 s9, v35
	s_cbranch_execnz .LBB1745_380
.LBB1745_355:                           ;   in Loop: Header=BB1745_346 Depth=2
	s_wait_alu 0xfffe
	s_or_b32 exec_lo, exec_lo, s11
	s_delay_alu instid0(SALU_CYCLE_1)
	s_mov_b32 s11, exec_lo
	v_cmpx_gt_u32_e64 s9, v36
	s_cbranch_execnz .LBB1745_381
.LBB1745_356:                           ;   in Loop: Header=BB1745_346 Depth=2
	s_wait_alu 0xfffe
	s_or_b32 exec_lo, exec_lo, s11
	s_delay_alu instid0(SALU_CYCLE_1)
	s_mov_b32 s11, exec_lo
	v_cmpx_gt_u32_e64 s9, v37
	s_cbranch_execz .LBB1745_358
.LBB1745_357:                           ;   in Loop: Header=BB1745_346 Depth=2
	global_load_u16 v2, v82, s[0:1] offset:3584
.LBB1745_358:                           ;   in Loop: Header=BB1745_346 Depth=2
	s_wait_alu 0xfffe
	s_or_b32 exec_lo, exec_lo, s11
	s_wait_loadcnt 0x0
	v_dual_mov_b32 v11, v10 :: v_dual_mov_b32 v12, v9
	v_dual_mov_b32 v13, v8 :: v_dual_mov_b32 v14, v7
	;; [unrolled: 1-line block ×4, first 2 shown]
	s_mov_b32 s0, s9
.LBB1745_359:                           ;   in Loop: Header=BB1745_346 Depth=2
	s_wait_loadcnt 0x0
	s_delay_alu instid0(VALU_DEP_1) | instskip(NEXT) | instid1(VALU_DEP_2)
	v_dual_mov_b32 v2, v18 :: v_dual_mov_b32 v5, v16
	v_dual_mov_b32 v4, v17 :: v_dual_mov_b32 v7, v14
	;; [unrolled: 1-line block ×3, first 2 shown]
	v_mov_b32_e32 v8, v13
	v_mov_b32_e32 v10, v11
	s_mov_b32 s1, exec_lo
	s_wait_alu 0xfffe
	v_cmpx_gt_u32_e64 s0, v1
	s_cbranch_execnz .LBB1745_367
; %bb.360:                              ;   in Loop: Header=BB1745_346 Depth=2
	s_or_b32 exec_lo, exec_lo, s1
	s_delay_alu instid0(SALU_CYCLE_1)
	s_mov_b32 s1, exec_lo
	v_cmpx_gt_u32_e64 s0, v29
	s_cbranch_execnz .LBB1745_368
.LBB1745_361:                           ;   in Loop: Header=BB1745_346 Depth=2
	s_wait_alu 0xfffe
	s_or_b32 exec_lo, exec_lo, s1
	s_delay_alu instid0(SALU_CYCLE_1)
	s_mov_b32 s1, exec_lo
	v_cmpx_gt_u32_e64 s0, v30
	s_cbranch_execnz .LBB1745_369
.LBB1745_362:                           ;   in Loop: Header=BB1745_346 Depth=2
	s_wait_alu 0xfffe
	s_or_b32 exec_lo, exec_lo, s1
	s_delay_alu instid0(SALU_CYCLE_1)
	s_mov_b32 s1, exec_lo
	v_cmpx_gt_u32_e64 s0, v31
	s_cbranch_execnz .LBB1745_370
.LBB1745_363:                           ;   in Loop: Header=BB1745_346 Depth=2
	s_wait_alu 0xfffe
	s_or_b32 exec_lo, exec_lo, s1
	s_delay_alu instid0(SALU_CYCLE_1)
	s_mov_b32 s1, exec_lo
	v_cmpx_gt_u32_e64 s0, v34
	s_cbranch_execnz .LBB1745_371
.LBB1745_364:                           ;   in Loop: Header=BB1745_346 Depth=2
	s_wait_alu 0xfffe
	s_or_b32 exec_lo, exec_lo, s1
	s_delay_alu instid0(SALU_CYCLE_1)
	s_mov_b32 s1, exec_lo
	v_cmpx_gt_u32_e64 s0, v35
	s_cbranch_execnz .LBB1745_372
.LBB1745_365:                           ;   in Loop: Header=BB1745_346 Depth=2
	s_wait_alu 0xfffe
	s_or_b32 exec_lo, exec_lo, s1
	s_delay_alu instid0(SALU_CYCLE_1)
	s_mov_b32 s1, exec_lo
	v_cmpx_gt_u32_e64 s0, v36
	s_cbranch_execnz .LBB1745_373
.LBB1745_366:                           ;   in Loop: Header=BB1745_346 Depth=2
	s_wait_alu 0xfffe
	s_or_b32 exec_lo, exec_lo, s1
	v_cmp_gt_u32_e32 vcc_lo, s0, v37
	s_and_saveexec_b32 s0, vcc_lo
	s_cbranch_execz .LBB1745_345
	s_branch .LBB1745_374
.LBB1745_367:                           ;   in Loop: Header=BB1745_346 Depth=2
	v_cmp_gt_i16_e32 vcc_lo, 0, v10
	s_wait_alu 0xfffd
	v_cndmask_b32_e64 v11, 0x7fff, 0, vcc_lo
	s_delay_alu instid0(VALU_DEP_1) | instskip(NEXT) | instid1(VALU_DEP_1)
	v_xor_b32_e32 v11, v11, v10
	v_cmp_ne_u16_e32 vcc_lo, 0x8000, v11
	s_wait_alu 0xfffd
	v_cndmask_b32_e32 v11, 0x7fff, v11, vcc_lo
	s_delay_alu instid0(VALU_DEP_1) | instskip(NEXT) | instid1(VALU_DEP_1)
	v_and_b32_e32 v11, 0xffff, v11
	v_lshrrev_b32_e32 v11, s45, v11
	s_delay_alu instid0(VALU_DEP_1) | instskip(NEXT) | instid1(VALU_DEP_1)
	v_and_b32_e32 v11, s42, v11
	v_lshl_or_b32 v11, v11, 4, v39
	ds_add_u32 v11, v62
	s_or_b32 exec_lo, exec_lo, s1
	s_delay_alu instid0(SALU_CYCLE_1)
	s_mov_b32 s1, exec_lo
	v_cmpx_gt_u32_e64 s0, v29
	s_cbranch_execz .LBB1745_361
.LBB1745_368:                           ;   in Loop: Header=BB1745_346 Depth=2
	v_cmp_gt_i16_e32 vcc_lo, 0, v9
	s_wait_alu 0xfffd
	v_cndmask_b32_e64 v11, 0x7fff, 0, vcc_lo
	s_delay_alu instid0(VALU_DEP_1) | instskip(NEXT) | instid1(VALU_DEP_1)
	v_xor_b32_e32 v11, v11, v9
	v_cmp_ne_u16_e32 vcc_lo, 0x8000, v11
	s_wait_alu 0xfffd
	v_cndmask_b32_e32 v11, 0x7fff, v11, vcc_lo
	s_delay_alu instid0(VALU_DEP_1) | instskip(NEXT) | instid1(VALU_DEP_1)
	v_and_b32_e32 v11, 0xffff, v11
	v_lshrrev_b32_e32 v11, s45, v11
	s_delay_alu instid0(VALU_DEP_1) | instskip(NEXT) | instid1(VALU_DEP_1)
	v_and_b32_e32 v11, s42, v11
	v_lshl_or_b32 v11, v11, 4, v39
	ds_add_u32 v11, v62
	s_wait_alu 0xfffe
	s_or_b32 exec_lo, exec_lo, s1
	s_delay_alu instid0(SALU_CYCLE_1)
	s_mov_b32 s1, exec_lo
	v_cmpx_gt_u32_e64 s0, v30
	s_cbranch_execz .LBB1745_362
.LBB1745_369:                           ;   in Loop: Header=BB1745_346 Depth=2
	v_cmp_gt_i16_e32 vcc_lo, 0, v8
	s_wait_alu 0xfffd
	v_cndmask_b32_e64 v11, 0x7fff, 0, vcc_lo
	s_delay_alu instid0(VALU_DEP_1) | instskip(NEXT) | instid1(VALU_DEP_1)
	v_xor_b32_e32 v11, v11, v8
	v_cmp_ne_u16_e32 vcc_lo, 0x8000, v11
	s_wait_alu 0xfffd
	v_cndmask_b32_e32 v11, 0x7fff, v11, vcc_lo
	s_delay_alu instid0(VALU_DEP_1) | instskip(NEXT) | instid1(VALU_DEP_1)
	v_and_b32_e32 v11, 0xffff, v11
	v_lshrrev_b32_e32 v11, s45, v11
	s_delay_alu instid0(VALU_DEP_1) | instskip(NEXT) | instid1(VALU_DEP_1)
	v_and_b32_e32 v11, s42, v11
	v_lshl_or_b32 v11, v11, 4, v39
	ds_add_u32 v11, v62
	s_wait_alu 0xfffe
	s_or_b32 exec_lo, exec_lo, s1
	s_delay_alu instid0(SALU_CYCLE_1)
	s_mov_b32 s1, exec_lo
	v_cmpx_gt_u32_e64 s0, v31
	s_cbranch_execz .LBB1745_363
.LBB1745_370:                           ;   in Loop: Header=BB1745_346 Depth=2
	v_cmp_gt_i16_e32 vcc_lo, 0, v7
	s_wait_alu 0xfffd
	v_cndmask_b32_e64 v11, 0x7fff, 0, vcc_lo
	s_delay_alu instid0(VALU_DEP_1) | instskip(NEXT) | instid1(VALU_DEP_1)
	v_xor_b32_e32 v11, v11, v7
	v_cmp_ne_u16_e32 vcc_lo, 0x8000, v11
	s_wait_alu 0xfffd
	v_cndmask_b32_e32 v11, 0x7fff, v11, vcc_lo
	s_delay_alu instid0(VALU_DEP_1) | instskip(NEXT) | instid1(VALU_DEP_1)
	v_and_b32_e32 v11, 0xffff, v11
	v_lshrrev_b32_e32 v11, s45, v11
	s_delay_alu instid0(VALU_DEP_1) | instskip(NEXT) | instid1(VALU_DEP_1)
	v_and_b32_e32 v11, s42, v11
	v_lshl_or_b32 v11, v11, 4, v39
	ds_add_u32 v11, v62
	s_wait_alu 0xfffe
	s_or_b32 exec_lo, exec_lo, s1
	s_delay_alu instid0(SALU_CYCLE_1)
	s_mov_b32 s1, exec_lo
	v_cmpx_gt_u32_e64 s0, v34
	s_cbranch_execz .LBB1745_364
.LBB1745_371:                           ;   in Loop: Header=BB1745_346 Depth=2
	v_cmp_gt_i16_e32 vcc_lo, 0, v6
	s_wait_alu 0xfffd
	v_cndmask_b32_e64 v11, 0x7fff, 0, vcc_lo
	s_delay_alu instid0(VALU_DEP_1) | instskip(NEXT) | instid1(VALU_DEP_1)
	v_xor_b32_e32 v11, v11, v6
	v_cmp_ne_u16_e32 vcc_lo, 0x8000, v11
	s_wait_alu 0xfffd
	v_cndmask_b32_e32 v11, 0x7fff, v11, vcc_lo
	s_delay_alu instid0(VALU_DEP_1) | instskip(NEXT) | instid1(VALU_DEP_1)
	v_and_b32_e32 v11, 0xffff, v11
	v_lshrrev_b32_e32 v11, s45, v11
	s_delay_alu instid0(VALU_DEP_1) | instskip(NEXT) | instid1(VALU_DEP_1)
	v_and_b32_e32 v11, s42, v11
	v_lshl_or_b32 v11, v11, 4, v39
	ds_add_u32 v11, v62
	s_wait_alu 0xfffe
	s_or_b32 exec_lo, exec_lo, s1
	s_delay_alu instid0(SALU_CYCLE_1)
	s_mov_b32 s1, exec_lo
	v_cmpx_gt_u32_e64 s0, v35
	s_cbranch_execz .LBB1745_365
.LBB1745_372:                           ;   in Loop: Header=BB1745_346 Depth=2
	v_cmp_gt_i16_e32 vcc_lo, 0, v5
	s_wait_alu 0xfffd
	v_cndmask_b32_e64 v11, 0x7fff, 0, vcc_lo
	s_delay_alu instid0(VALU_DEP_1) | instskip(NEXT) | instid1(VALU_DEP_1)
	v_xor_b32_e32 v11, v11, v5
	v_cmp_ne_u16_e32 vcc_lo, 0x8000, v11
	s_wait_alu 0xfffd
	v_cndmask_b32_e32 v11, 0x7fff, v11, vcc_lo
	s_delay_alu instid0(VALU_DEP_1) | instskip(NEXT) | instid1(VALU_DEP_1)
	v_and_b32_e32 v11, 0xffff, v11
	v_lshrrev_b32_e32 v11, s45, v11
	s_delay_alu instid0(VALU_DEP_1) | instskip(NEXT) | instid1(VALU_DEP_1)
	v_and_b32_e32 v11, s42, v11
	v_lshl_or_b32 v11, v11, 4, v39
	ds_add_u32 v11, v62
	s_wait_alu 0xfffe
	s_or_b32 exec_lo, exec_lo, s1
	s_delay_alu instid0(SALU_CYCLE_1)
	s_mov_b32 s1, exec_lo
	v_cmpx_gt_u32_e64 s0, v36
	s_cbranch_execz .LBB1745_366
.LBB1745_373:                           ;   in Loop: Header=BB1745_346 Depth=2
	v_cmp_gt_i16_e32 vcc_lo, 0, v4
	s_wait_alu 0xfffd
	v_cndmask_b32_e64 v11, 0x7fff, 0, vcc_lo
	s_delay_alu instid0(VALU_DEP_1) | instskip(NEXT) | instid1(VALU_DEP_1)
	v_xor_b32_e32 v11, v11, v4
	v_cmp_ne_u16_e32 vcc_lo, 0x8000, v11
	s_wait_alu 0xfffd
	v_cndmask_b32_e32 v11, 0x7fff, v11, vcc_lo
	s_delay_alu instid0(VALU_DEP_1) | instskip(NEXT) | instid1(VALU_DEP_1)
	v_and_b32_e32 v11, 0xffff, v11
	v_lshrrev_b32_e32 v11, s45, v11
	s_delay_alu instid0(VALU_DEP_1) | instskip(NEXT) | instid1(VALU_DEP_1)
	v_and_b32_e32 v11, s42, v11
	v_lshl_or_b32 v11, v11, 4, v39
	ds_add_u32 v11, v62
	s_wait_alu 0xfffe
	s_or_b32 exec_lo, exec_lo, s1
	v_cmp_gt_u32_e32 vcc_lo, s0, v37
	s_and_saveexec_b32 s0, vcc_lo
	s_cbranch_execz .LBB1745_345
.LBB1745_374:                           ;   in Loop: Header=BB1745_346 Depth=2
	v_cmp_gt_i16_e32 vcc_lo, 0, v2
	s_wait_alu 0xfffd
	v_cndmask_b32_e64 v11, 0x7fff, 0, vcc_lo
	s_delay_alu instid0(VALU_DEP_1) | instskip(NEXT) | instid1(VALU_DEP_1)
	v_xor_b32_e32 v11, v11, v2
	v_cmp_ne_u16_e32 vcc_lo, 0x8000, v11
	s_wait_alu 0xfffd
	v_cndmask_b32_e32 v11, 0x7fff, v11, vcc_lo
	s_delay_alu instid0(VALU_DEP_1) | instskip(NEXT) | instid1(VALU_DEP_1)
	v_and_b32_e32 v11, 0xffff, v11
	v_lshrrev_b32_e32 v11, s45, v11
	s_delay_alu instid0(VALU_DEP_1) | instskip(NEXT) | instid1(VALU_DEP_1)
	v_and_b32_e32 v11, s42, v11
	v_lshl_or_b32 v11, v11, 4, v39
	ds_add_u32 v11, v62
	s_branch .LBB1745_345
.LBB1745_375:                           ;   in Loop: Header=BB1745_346 Depth=2
	global_load_u16 v10, v82, s[0:1]
	s_or_b32 exec_lo, exec_lo, s11
	s_delay_alu instid0(SALU_CYCLE_1)
	s_mov_b32 s11, exec_lo
	v_cmpx_gt_u32_e64 s9, v29
	s_cbranch_execz .LBB1745_351
.LBB1745_376:                           ;   in Loop: Header=BB1745_346 Depth=2
	global_load_u16 v9, v82, s[0:1] offset:512
	s_wait_alu 0xfffe
	s_or_b32 exec_lo, exec_lo, s11
	s_delay_alu instid0(SALU_CYCLE_1)
	s_mov_b32 s11, exec_lo
	v_cmpx_gt_u32_e64 s9, v30
	s_cbranch_execz .LBB1745_352
.LBB1745_377:                           ;   in Loop: Header=BB1745_346 Depth=2
	global_load_u16 v8, v82, s[0:1] offset:1024
	s_wait_alu 0xfffe
	s_or_b32 exec_lo, exec_lo, s11
	s_delay_alu instid0(SALU_CYCLE_1)
	s_mov_b32 s11, exec_lo
	v_cmpx_gt_u32_e64 s9, v31
	s_cbranch_execz .LBB1745_353
.LBB1745_378:                           ;   in Loop: Header=BB1745_346 Depth=2
	global_load_u16 v7, v82, s[0:1] offset:1536
	s_wait_alu 0xfffe
	s_or_b32 exec_lo, exec_lo, s11
	s_delay_alu instid0(SALU_CYCLE_1)
	s_mov_b32 s11, exec_lo
	v_cmpx_gt_u32_e64 s9, v34
	s_cbranch_execz .LBB1745_354
.LBB1745_379:                           ;   in Loop: Header=BB1745_346 Depth=2
	global_load_u16 v6, v82, s[0:1] offset:2048
	s_wait_alu 0xfffe
	s_or_b32 exec_lo, exec_lo, s11
	s_delay_alu instid0(SALU_CYCLE_1)
	s_mov_b32 s11, exec_lo
	v_cmpx_gt_u32_e64 s9, v35
	s_cbranch_execz .LBB1745_355
.LBB1745_380:                           ;   in Loop: Header=BB1745_346 Depth=2
	global_load_u16 v5, v82, s[0:1] offset:2560
	s_wait_alu 0xfffe
	s_or_b32 exec_lo, exec_lo, s11
	s_delay_alu instid0(SALU_CYCLE_1)
	s_mov_b32 s11, exec_lo
	v_cmpx_gt_u32_e64 s9, v36
	s_cbranch_execz .LBB1745_356
.LBB1745_381:                           ;   in Loop: Header=BB1745_346 Depth=2
	global_load_u16 v4, v82, s[0:1] offset:3072
	s_wait_alu 0xfffe
	s_or_b32 exec_lo, exec_lo, s11
	s_delay_alu instid0(SALU_CYCLE_1)
	s_mov_b32 s11, exec_lo
	v_cmpx_gt_u32_e64 s9, v37
	s_cbranch_execnz .LBB1745_357
	s_branch .LBB1745_358
.LBB1745_382:                           ;   in Loop: Header=BB1745_12 Depth=1
	v_mov_b32_e32 v2, 0
	s_wait_dscnt 0x0
	s_barrier_signal -1
	s_barrier_wait -1
	global_inv scope:SCOPE_SE
	s_and_saveexec_b32 s0, s2
	s_cbranch_execz .LBB1745_384
; %bb.383:                              ;   in Loop: Header=BB1745_12 Depth=1
	ds_load_2addr_b64 v[4:7], v40 offset1:1
	s_wait_dscnt 0x0
	v_add_nc_u32_e32 v2, v5, v4
	s_delay_alu instid0(VALU_DEP_1)
	v_add3_u32 v2, v2, v6, v7
.LBB1745_384:                           ;   in Loop: Header=BB1745_12 Depth=1
	s_wait_alu 0xfffe
	s_or_b32 exec_lo, exec_lo, s0
	s_delay_alu instid0(VALU_DEP_1)
	v_mov_b32_dpp v4, v2 row_shr:1 row_mask:0xf bank_mask:0xf
	v_cmp_eq_u32_e64 s0, 0, v63
	v_cmp_lt_u32_e64 s1, 1, v63
	v_cmp_lt_u32_e64 s9, 3, v63
	;; [unrolled: 1-line block ×3, first 2 shown]
	v_cmp_eq_u32_e64 s11, 0, v65
	s_wait_alu 0xf1ff
	v_cndmask_b32_e64 v4, v4, 0, s0
	s_delay_alu instid0(VALU_DEP_1) | instskip(NEXT) | instid1(VALU_DEP_1)
	v_add_nc_u32_e32 v2, v4, v2
	v_mov_b32_dpp v4, v2 row_shr:2 row_mask:0xf bank_mask:0xf
	s_delay_alu instid0(VALU_DEP_1) | instskip(NEXT) | instid1(VALU_DEP_1)
	v_cndmask_b32_e64 v4, 0, v4, s1
	v_add_nc_u32_e32 v2, v2, v4
	s_delay_alu instid0(VALU_DEP_1) | instskip(NEXT) | instid1(VALU_DEP_1)
	v_mov_b32_dpp v4, v2 row_shr:4 row_mask:0xf bank_mask:0xf
	v_cndmask_b32_e64 v4, 0, v4, s9
	s_delay_alu instid0(VALU_DEP_1) | instskip(NEXT) | instid1(VALU_DEP_1)
	v_add_nc_u32_e32 v2, v2, v4
	v_mov_b32_dpp v4, v2 row_shr:8 row_mask:0xf bank_mask:0xf
	s_delay_alu instid0(VALU_DEP_1) | instskip(NEXT) | instid1(VALU_DEP_1)
	v_cndmask_b32_e64 v4, 0, v4, s10
	v_add_nc_u32_e32 v2, v2, v4
	ds_swizzle_b32 v4, v2 offset:swizzle(BROADCAST,32,15)
	s_wait_dscnt 0x0
	v_and_b32_e32 v4, v64, v4
	s_delay_alu instid0(VALU_DEP_1)
	v_add_nc_u32_e32 v2, v2, v4
	s_and_saveexec_b32 s12, s3
; %bb.385:                              ;   in Loop: Header=BB1745_12 Depth=1
	ds_store_b32 v41, v2
; %bb.386:                              ;   in Loop: Header=BB1745_12 Depth=1
	s_wait_alu 0xfffe
	s_or_b32 exec_lo, exec_lo, s12
	s_wait_loadcnt_dscnt 0x0
	s_barrier_signal -1
	s_barrier_wait -1
	global_inv scope:SCOPE_SE
	s_and_saveexec_b32 s12, s4
	s_cbranch_execz .LBB1745_388
; %bb.387:                              ;   in Loop: Header=BB1745_12 Depth=1
	ds_load_b32 v4, v42
	v_cmp_ne_u32_e32 vcc_lo, 0, v67
	s_wait_dscnt 0x0
	v_mov_b32_dpp v5, v4 row_shr:1 row_mask:0xf bank_mask:0xf
	s_wait_alu 0xfffd
	s_delay_alu instid0(VALU_DEP_1) | instskip(SKIP_1) | instid1(VALU_DEP_2)
	v_cndmask_b32_e32 v5, 0, v5, vcc_lo
	v_cmp_lt_u32_e32 vcc_lo, 1, v67
	v_add_nc_u32_e32 v4, v5, v4
	s_delay_alu instid0(VALU_DEP_1) | instskip(SKIP_1) | instid1(VALU_DEP_1)
	v_mov_b32_dpp v5, v4 row_shr:2 row_mask:0xf bank_mask:0xf
	s_wait_alu 0xfffd
	v_cndmask_b32_e32 v5, 0, v5, vcc_lo
	v_cmp_lt_u32_e32 vcc_lo, 3, v67
	s_delay_alu instid0(VALU_DEP_2) | instskip(NEXT) | instid1(VALU_DEP_1)
	v_add_nc_u32_e32 v4, v4, v5
	v_mov_b32_dpp v5, v4 row_shr:4 row_mask:0xf bank_mask:0xf
	s_wait_alu 0xfffd
	s_delay_alu instid0(VALU_DEP_1) | instskip(NEXT) | instid1(VALU_DEP_1)
	v_cndmask_b32_e32 v5, 0, v5, vcc_lo
	v_add_nc_u32_e32 v4, v4, v5
	ds_store_b32 v42, v4
.LBB1745_388:                           ;   in Loop: Header=BB1745_12 Depth=1
	s_wait_alu 0xfffe
	s_or_b32 exec_lo, exec_lo, s12
	v_mov_b32_e32 v4, 0
	s_wait_loadcnt_dscnt 0x0
	s_barrier_signal -1
	s_barrier_wait -1
	global_inv scope:SCOPE_SE
	s_and_saveexec_b32 s12, s5
; %bb.389:                              ;   in Loop: Header=BB1745_12 Depth=1
	ds_load_b32 v4, v44
; %bb.390:                              ;   in Loop: Header=BB1745_12 Depth=1
	s_wait_alu 0xfffe
	s_or_b32 exec_lo, exec_lo, s12
	v_cmp_gt_i32_e32 vcc_lo, 0, v68
	s_wait_dscnt 0x0
	v_add_nc_u32_e32 v2, v4, v2
	s_wait_loadcnt 0x0
	s_barrier_signal -1
	s_barrier_wait -1
	s_wait_alu 0xfffd
	v_cndmask_b32_e32 v5, v68, v59, vcc_lo
	global_inv scope:SCOPE_SE
	v_lshlrev_b32_e32 v87, 2, v5
	ds_bpermute_b32 v2, v87, v2
	s_and_saveexec_b32 s12, s2
	s_cbranch_execz .LBB1745_392
; %bb.391:                              ;   in Loop: Header=BB1745_12 Depth=1
	s_wait_dscnt 0x0
	v_cndmask_b32_e64 v2, v2, v4, s8
	s_delay_alu instid0(VALU_DEP_1)
	v_add_nc_u32_e32 v2, s33, v2
	ds_store_b32 v28, v2
.LBB1745_392:                           ;   in Loop: Header=BB1745_12 Depth=1
	s_wait_alu 0xfffe
	s_or_b32 exec_lo, exec_lo, s12
	s_load_b64 s[12:13], s[28:29], 0x0
	v_add_co_u32 v88, vcc_lo, v57, v69
	s_wait_alu 0xfffd
	v_add_co_ci_u32_e64 v89, null, 0, v58, vcc_lo
	v_add_co_u32 v90, vcc_lo, v60, v77
	s_wait_alu 0xfffd
	v_add_co_ci_u32_e64 v91, null, 0, v61, vcc_lo
	s_mov_b32 s43, s47
                                        ; implicit-def: $vgpr6_vgpr7
                                        ; implicit-def: $vgpr8_vgpr9
                                        ; implicit-def: $vgpr10_vgpr11
                                        ; implicit-def: $vgpr12_vgpr13
                                        ; implicit-def: $vgpr14_vgpr15
                                        ; implicit-def: $vgpr16_vgpr17
                                        ; implicit-def: $vgpr18_vgpr19
                                        ; implicit-def: $vgpr93
                                        ; implicit-def: $vgpr94
                                        ; implicit-def: $vgpr95
                                        ; implicit-def: $vgpr96
                                        ; implicit-def: $vgpr97
                                        ; implicit-def: $vgpr98
                                        ; implicit-def: $vgpr99
                                        ; implicit-def: $vgpr100
	s_wait_kmcnt 0x0
	s_cmp_lt_u32 ttmp7, s13
	s_cselect_b32 s30, 14, 20
	s_cmp_lt_u32 ttmp9, s12
	s_wait_alu 0xfffe
	s_add_nc_u64 s[14:15], s[28:29], s[30:31]
	s_cselect_b32 s30, 12, 18
	s_load_u16 s14, s[14:15], 0x0
	s_add_nc_u64 s[12:13], s[28:29], s[30:31]
	s_mov_b32 s30, s33
	s_load_u16 s12, s[12:13], 0x0
	v_cmp_lt_u32_e64 s13, 1, v67
	s_wait_dscnt 0x0
	s_wait_kmcnt 0x0
	v_mad_u32_u24 v2, v45, s14, v0
	v_cmp_lt_u32_e64 s14, 3, v67
	s_delay_alu instid0(VALU_DEP_2) | instskip(SKIP_1) | instid1(VALU_DEP_2)
	v_mad_co_u64_u32 v[4:5], null, v2, s12, v[1:2]
	v_cmp_eq_u32_e64 s12, 0, v67
	v_lshrrev_b32_e32 v2, 3, v4
                                        ; implicit-def: $vgpr4_vgpr5
	s_delay_alu instid0(VALU_DEP_1)
	v_and_b32_e32 v92, 0x1ffffffc, v2
	s_branch .LBB1745_394
.LBB1745_393:                           ;   in Loop: Header=BB1745_394 Depth=2
	s_wait_alu 0xfffe
	s_or_b32 exec_lo, exec_lo, s15
	s_addk_co_i32 s43, 0xf800
	s_cmp_lt_u32 s44, s34
	s_mov_b32 s30, s44
	s_cbranch_scc0 .LBB1745_506
.LBB1745_394:                           ;   Parent Loop BB1745_12 Depth=1
                                        ; =>  This Inner Loop Header: Depth=2
	s_wait_alu 0xfffe
	s_add_co_i32 s44, s30, 0x800
	s_wait_alu 0xfffe
	s_cmp_gt_u32 s44, s34
	s_cbranch_scc1 .LBB1745_396
; %bb.395:                              ;   in Loop: Header=BB1745_394 Depth=2
	s_lshl_b64 s[16:17], s[30:31], 1
	s_mov_b32 s15, -1
	s_wait_alu 0xfffe
	v_add_co_u32 v20, vcc_lo, v90, s16
	s_wait_alu 0xfffd
	v_add_co_ci_u32_e64 v21, null, s17, v91, vcc_lo
	s_clause 0x6
	global_load_u16 v2, v[20:21], off
	global_load_u16 v27, v[20:21], off offset:64
	global_load_u16 v26, v[20:21], off offset:128
	;; [unrolled: 1-line block ×6, first 2 shown]
	s_movk_i32 s16, 0x800
	s_cbranch_execz .LBB1745_397
	s_branch .LBB1745_412
.LBB1745_396:                           ;   in Loop: Header=BB1745_394 Depth=2
	s_mov_b32 s15, 0
                                        ; implicit-def: $vgpr2
                                        ; implicit-def: $vgpr27
                                        ; implicit-def: $vgpr26
                                        ; implicit-def: $vgpr25
                                        ; implicit-def: $vgpr24
                                        ; implicit-def: $vgpr23
                                        ; implicit-def: $vgpr22
	s_movk_i32 s16, 0x800
.LBB1745_397:                           ;   in Loop: Header=BB1745_394 Depth=2
	s_lshl_b64 s[16:17], s[30:31], 1
	s_wait_loadcnt 0x5
	v_dual_mov_b32 v27, -1 :: v_dual_mov_b32 v2, -1
	s_wait_alu 0xfffe
	v_add_co_u32 v20, vcc_lo, v90, s16
	s_wait_alu 0xfffd
	v_add_co_ci_u32_e64 v21, null, s17, v91, vcc_lo
	s_mov_b32 s15, exec_lo
	v_cmpx_gt_u32_e64 s43, v66
	s_cbranch_execz .LBB1745_399
; %bb.398:                              ;   in Loop: Header=BB1745_394 Depth=2
	global_load_u16 v2, v[20:21], off
.LBB1745_399:                           ;   in Loop: Header=BB1745_394 Depth=2
	s_wait_alu 0xfffe
	s_or_b32 exec_lo, exec_lo, s15
	s_delay_alu instid0(SALU_CYCLE_1)
	s_mov_b32 s15, exec_lo
	v_cmpx_gt_u32_e64 s43, v70
	s_cbranch_execz .LBB1745_401
; %bb.400:                              ;   in Loop: Header=BB1745_394 Depth=2
	global_load_u16 v27, v[20:21], off offset:64
.LBB1745_401:                           ;   in Loop: Header=BB1745_394 Depth=2
	s_wait_alu 0xfffe
	s_or_b32 exec_lo, exec_lo, s15
	s_wait_loadcnt 0x3
	v_dual_mov_b32 v25, -1 :: v_dual_mov_b32 v26, -1
	s_mov_b32 s15, exec_lo
	v_cmpx_gt_u32_e64 s43, v71
	s_cbranch_execz .LBB1745_403
; %bb.402:                              ;   in Loop: Header=BB1745_394 Depth=2
	global_load_u16 v26, v[20:21], off offset:128
.LBB1745_403:                           ;   in Loop: Header=BB1745_394 Depth=2
	s_wait_alu 0xfffe
	s_or_b32 exec_lo, exec_lo, s15
	s_delay_alu instid0(SALU_CYCLE_1)
	s_mov_b32 s15, exec_lo
	v_cmpx_gt_u32_e64 s43, v72
	s_cbranch_execz .LBB1745_405
; %bb.404:                              ;   in Loop: Header=BB1745_394 Depth=2
	global_load_u16 v25, v[20:21], off offset:192
.LBB1745_405:                           ;   in Loop: Header=BB1745_394 Depth=2
	s_wait_alu 0xfffe
	s_or_b32 exec_lo, exec_lo, s15
	s_wait_loadcnt 0x1
	v_dual_mov_b32 v23, -1 :: v_dual_mov_b32 v24, -1
	s_mov_b32 s15, exec_lo
	v_cmpx_gt_u32_e64 s43, v73
	s_cbranch_execz .LBB1745_407
; %bb.406:                              ;   in Loop: Header=BB1745_394 Depth=2
	global_load_u16 v24, v[20:21], off offset:256
.LBB1745_407:                           ;   in Loop: Header=BB1745_394 Depth=2
	s_wait_alu 0xfffe
	s_or_b32 exec_lo, exec_lo, s15
	s_delay_alu instid0(SALU_CYCLE_1)
	s_mov_b32 s15, exec_lo
	v_cmpx_gt_u32_e64 s43, v74
	s_cbranch_execz .LBB1745_409
; %bb.408:                              ;   in Loop: Header=BB1745_394 Depth=2
	global_load_u16 v23, v[20:21], off offset:320
.LBB1745_409:                           ;   in Loop: Header=BB1745_394 Depth=2
	s_wait_alu 0xfffe
	s_or_b32 exec_lo, exec_lo, s15
	s_wait_loadcnt 0x0
	v_mov_b32_e32 v22, -1
	s_mov_b32 s15, exec_lo
	v_cmpx_gt_u32_e64 s43, v75
	s_cbranch_execz .LBB1745_411
; %bb.410:                              ;   in Loop: Header=BB1745_394 Depth=2
	global_load_u16 v22, v[20:21], off offset:384
.LBB1745_411:                           ;   in Loop: Header=BB1745_394 Depth=2
	s_wait_alu 0xfffe
	s_or_b32 exec_lo, exec_lo, s15
	v_cmp_gt_u32_e64 s15, s43, v76
	s_sub_co_i32 s16, s34, s30
.LBB1745_412:                           ;   in Loop: Header=BB1745_394 Depth=2
	v_dual_mov_b32 v20, -1 :: v_dual_mov_b32 v101, s43
	s_and_saveexec_b32 s17, s15
	s_cbranch_execz .LBB1745_414
; %bb.413:                              ;   in Loop: Header=BB1745_394 Depth=2
	s_lshl_b64 s[18:19], s[30:31], 1
	s_wait_alu 0xfffe
	v_mov_b32_e32 v101, s16
	v_add_co_u32 v20, vcc_lo, v90, s18
	s_wait_alu 0xfffd
	v_add_co_ci_u32_e64 v21, null, s19, v91, vcc_lo
	global_load_u16 v20, v[20:21], off offset:448
.LBB1745_414:                           ;   in Loop: Header=BB1745_394 Depth=2
	s_wait_alu 0xfffe
	s_or_b32 exec_lo, exec_lo, s17
	s_wait_loadcnt 0x6
	v_cmp_gt_i16_e32 vcc_lo, 0, v2
	ds_store_2addr_b32 v81, v3, v3 offset1:1
	ds_store_2addr_b32 v78, v3, v3 offset1:1
	;; [unrolled: 1-line block ×4, first 2 shown]
	ds_store_b32 v43, v3 offset:1088
	s_wait_loadcnt_dscnt 0x0
	s_barrier_signal -1
	s_wait_alu 0xfffd
	v_cndmask_b32_e64 v21, 0x7fff, 0, vcc_lo
	s_barrier_wait -1
	global_inv scope:SCOPE_SE
	; wave barrier
	v_xor_b32_e32 v2, v21, v2
	s_delay_alu instid0(VALU_DEP_1) | instskip(SKIP_2) | instid1(VALU_DEP_1)
	v_cmp_ne_u16_e32 vcc_lo, 0x8000, v2
	s_wait_alu 0xfffd
	v_cndmask_b32_e32 v21, 0x7fff, v2, vcc_lo
	v_and_b32_e32 v21, 0xffff, v21
	s_delay_alu instid0(VALU_DEP_1) | instskip(NEXT) | instid1(VALU_DEP_1)
	v_lshrrev_b32_e32 v21, s45, v21
	v_and_b32_e32 v103, s42, v21
	s_delay_alu instid0(VALU_DEP_1)
	v_and_b32_e32 v21, 1, v103
	v_lshlrev_b32_e32 v102, 30, v103
	v_lshlrev_b32_e32 v104, 29, v103
	;; [unrolled: 1-line block ×4, first 2 shown]
	v_add_co_u32 v21, s15, v21, -1
	s_wait_alu 0xf1ff
	v_cndmask_b32_e64 v106, 0, 1, s15
	v_not_b32_e32 v110, v102
	v_cmp_gt_i32_e64 s15, 0, v102
	v_not_b32_e32 v102, v104
	v_lshlrev_b32_e32 v108, 26, v103
	v_cmp_ne_u32_e32 vcc_lo, 0, v106
	v_ashrrev_i32_e32 v110, 31, v110
	v_lshlrev_b32_e32 v109, 25, v103
	v_ashrrev_i32_e32 v102, 31, v102
	v_lshlrev_b32_e32 v106, 24, v103
	s_wait_alu 0xfffd
	v_xor_b32_e32 v21, vcc_lo, v21
	v_cmp_gt_i32_e32 vcc_lo, 0, v104
	v_not_b32_e32 v104, v105
	s_wait_alu 0xf1ff
	v_xor_b32_e32 v110, s15, v110
	v_cmp_gt_i32_e64 s15, 0, v105
	v_and_b32_e32 v21, exec_lo, v21
	v_not_b32_e32 v105, v107
	v_ashrrev_i32_e32 v104, 31, v104
	s_wait_alu 0xfffd
	v_xor_b32_e32 v102, vcc_lo, v102
	v_cmp_gt_i32_e32 vcc_lo, 0, v107
	v_and_b32_e32 v21, v21, v110
	v_not_b32_e32 v107, v108
	v_ashrrev_i32_e32 v105, 31, v105
	s_wait_alu 0xf1ff
	v_xor_b32_e32 v104, s15, v104
	v_cmp_gt_i32_e64 s15, 0, v108
	v_and_b32_e32 v21, v21, v102
	v_not_b32_e32 v102, v109
	v_ashrrev_i32_e32 v107, 31, v107
	s_wait_alu 0xfffd
	v_xor_b32_e32 v105, vcc_lo, v105
	v_cmp_gt_i32_e32 vcc_lo, 0, v109
	v_and_b32_e32 v21, v21, v104
	v_not_b32_e32 v104, v106
	v_ashrrev_i32_e32 v102, 31, v102
	s_wait_alu 0xf1ff
	v_xor_b32_e32 v107, s15, v107
	v_cmp_gt_i32_e64 s15, 0, v106
	v_and_b32_e32 v21, v21, v105
	v_ashrrev_i32_e32 v104, 31, v104
	s_wait_alu 0xfffd
	v_xor_b32_e32 v102, vcc_lo, v102
	v_mul_u32_u24_e32 v103, 36, v103
	v_and_b32_e32 v21, v21, v107
	s_wait_alu 0xf1ff
	v_xor_b32_e32 v104, s15, v104
	s_delay_alu instid0(VALU_DEP_2) | instskip(NEXT) | instid1(VALU_DEP_1)
	v_and_b32_e32 v21, v21, v102
	v_and_b32_e32 v21, v21, v104
	v_add_nc_u32_e32 v104, v92, v103
	s_delay_alu instid0(VALU_DEP_2) | instskip(SKIP_1) | instid1(VALU_DEP_2)
	v_mbcnt_lo_u32_b32 v102, v21, 0
	v_cmp_ne_u32_e64 s15, 0, v21
	v_cmp_eq_u32_e32 vcc_lo, 0, v102
	s_and_b32 s16, s15, vcc_lo
	s_wait_alu 0xfffe
	s_and_saveexec_b32 s15, s16
; %bb.415:                              ;   in Loop: Header=BB1745_394 Depth=2
	v_bcnt_u32_b32 v21, v21, 0
	ds_store_b32 v104, v21 offset:1056
; %bb.416:                              ;   in Loop: Header=BB1745_394 Depth=2
	s_wait_alu 0xfffe
	s_or_b32 exec_lo, exec_lo, s15
	v_cmp_gt_i16_e32 vcc_lo, 0, v27
	; wave barrier
	s_wait_alu 0xfffd
	v_cndmask_b32_e64 v21, 0x7fff, 0, vcc_lo
	s_delay_alu instid0(VALU_DEP_1) | instskip(NEXT) | instid1(VALU_DEP_1)
	v_xor_b32_e32 v103, v21, v27
	v_cmp_ne_u16_e32 vcc_lo, 0x8000, v103
	s_wait_alu 0xfffd
	v_cndmask_b32_e32 v21, 0x7fff, v103, vcc_lo
	s_delay_alu instid0(VALU_DEP_1) | instskip(NEXT) | instid1(VALU_DEP_1)
	v_and_b32_e32 v21, 0xffff, v21
	v_lshrrev_b32_e32 v21, s45, v21
	s_delay_alu instid0(VALU_DEP_1) | instskip(NEXT) | instid1(VALU_DEP_1)
	v_and_b32_e32 v27, s42, v21
	v_and_b32_e32 v21, 1, v27
	v_lshlrev_b32_e32 v105, 30, v27
	v_lshlrev_b32_e32 v106, 29, v27
	;; [unrolled: 1-line block ×4, first 2 shown]
	v_add_co_u32 v21, s15, v21, -1
	s_wait_alu 0xf1ff
	v_cndmask_b32_e64 v108, 0, 1, s15
	v_not_b32_e32 v112, v105
	v_cmp_gt_i32_e64 s15, 0, v105
	v_not_b32_e32 v105, v106
	v_lshlrev_b32_e32 v110, 26, v27
	v_cmp_ne_u32_e32 vcc_lo, 0, v108
	v_ashrrev_i32_e32 v112, 31, v112
	v_lshlrev_b32_e32 v111, 25, v27
	v_ashrrev_i32_e32 v105, 31, v105
	v_lshlrev_b32_e32 v108, 24, v27
	s_wait_alu 0xfffd
	v_xor_b32_e32 v21, vcc_lo, v21
	v_cmp_gt_i32_e32 vcc_lo, 0, v106
	v_not_b32_e32 v106, v107
	s_wait_alu 0xf1ff
	v_xor_b32_e32 v112, s15, v112
	v_cmp_gt_i32_e64 s15, 0, v107
	v_and_b32_e32 v21, exec_lo, v21
	v_not_b32_e32 v107, v109
	v_ashrrev_i32_e32 v106, 31, v106
	s_wait_alu 0xfffd
	v_xor_b32_e32 v105, vcc_lo, v105
	v_cmp_gt_i32_e32 vcc_lo, 0, v109
	v_and_b32_e32 v21, v21, v112
	v_not_b32_e32 v109, v110
	v_ashrrev_i32_e32 v107, 31, v107
	s_wait_alu 0xf1ff
	v_xor_b32_e32 v106, s15, v106
	v_cmp_gt_i32_e64 s15, 0, v110
	v_and_b32_e32 v21, v21, v105
	v_not_b32_e32 v105, v111
	v_ashrrev_i32_e32 v109, 31, v109
	s_wait_alu 0xfffd
	v_xor_b32_e32 v107, vcc_lo, v107
	v_cmp_gt_i32_e32 vcc_lo, 0, v111
	v_and_b32_e32 v21, v21, v106
	v_not_b32_e32 v106, v108
	v_ashrrev_i32_e32 v105, 31, v105
	s_wait_alu 0xf1ff
	v_xor_b32_e32 v109, s15, v109
	v_cmp_gt_i32_e64 s15, 0, v108
	v_and_b32_e32 v21, v21, v107
	v_ashrrev_i32_e32 v106, 31, v106
	s_wait_alu 0xfffd
	v_xor_b32_e32 v105, vcc_lo, v105
	v_mad_u32_u24 v107, v27, 36, v92
	v_mul_u32_u24_e32 v27, 36, v27
	v_and_b32_e32 v21, v21, v109
	s_wait_alu 0xf1ff
	v_xor_b32_e32 v106, s15, v106
	s_delay_alu instid0(VALU_DEP_3) | instskip(NEXT) | instid1(VALU_DEP_3)
	v_add_nc_u32_e32 v108, v92, v27
	v_and_b32_e32 v21, v21, v105
	ds_load_b32 v105, v107 offset:1056
	; wave barrier
	v_and_b32_e32 v21, v21, v106
	s_delay_alu instid0(VALU_DEP_1) | instskip(SKIP_1) | instid1(VALU_DEP_2)
	v_mbcnt_lo_u32_b32 v106, v21, 0
	v_cmp_ne_u32_e64 s15, 0, v21
	v_cmp_eq_u32_e32 vcc_lo, 0, v106
	s_and_b32 s16, s15, vcc_lo
	s_wait_alu 0xfffe
	s_and_saveexec_b32 s15, s16
	s_cbranch_execz .LBB1745_418
; %bb.417:                              ;   in Loop: Header=BB1745_394 Depth=2
	s_wait_dscnt 0x0
	v_bcnt_u32_b32 v21, v21, v105
	ds_store_b32 v108, v21 offset:1056
.LBB1745_418:                           ;   in Loop: Header=BB1745_394 Depth=2
	s_wait_alu 0xfffe
	s_or_b32 exec_lo, exec_lo, s15
	v_cmp_gt_i16_e32 vcc_lo, 0, v26
	; wave barrier
	s_wait_alu 0xfffd
	v_cndmask_b32_e64 v21, 0x7fff, 0, vcc_lo
	s_delay_alu instid0(VALU_DEP_1) | instskip(NEXT) | instid1(VALU_DEP_1)
	v_xor_b32_e32 v107, v21, v26
	v_cmp_ne_u16_e32 vcc_lo, 0x8000, v107
	s_wait_alu 0xfffd
	v_cndmask_b32_e32 v21, 0x7fff, v107, vcc_lo
	s_delay_alu instid0(VALU_DEP_1) | instskip(NEXT) | instid1(VALU_DEP_1)
	v_and_b32_e32 v21, 0xffff, v21
	v_lshrrev_b32_e32 v21, s45, v21
	s_delay_alu instid0(VALU_DEP_1) | instskip(NEXT) | instid1(VALU_DEP_1)
	v_and_b32_e32 v26, s42, v21
	v_and_b32_e32 v21, 1, v26
	v_lshlrev_b32_e32 v27, 30, v26
	v_lshlrev_b32_e32 v109, 29, v26
	;; [unrolled: 1-line block ×4, first 2 shown]
	v_add_co_u32 v21, s15, v21, -1
	s_wait_alu 0xf1ff
	v_cndmask_b32_e64 v111, 0, 1, s15
	v_not_b32_e32 v115, v27
	v_cmp_gt_i32_e64 s15, 0, v27
	v_not_b32_e32 v27, v109
	v_lshlrev_b32_e32 v113, 26, v26
	v_cmp_ne_u32_e32 vcc_lo, 0, v111
	v_ashrrev_i32_e32 v115, 31, v115
	v_lshlrev_b32_e32 v114, 25, v26
	v_ashrrev_i32_e32 v27, 31, v27
	v_lshlrev_b32_e32 v111, 24, v26
	s_wait_alu 0xfffd
	v_xor_b32_e32 v21, vcc_lo, v21
	v_cmp_gt_i32_e32 vcc_lo, 0, v109
	v_not_b32_e32 v109, v110
	s_wait_alu 0xf1ff
	v_xor_b32_e32 v115, s15, v115
	v_cmp_gt_i32_e64 s15, 0, v110
	v_and_b32_e32 v21, exec_lo, v21
	v_not_b32_e32 v110, v112
	v_ashrrev_i32_e32 v109, 31, v109
	s_wait_alu 0xfffd
	v_xor_b32_e32 v27, vcc_lo, v27
	v_cmp_gt_i32_e32 vcc_lo, 0, v112
	v_and_b32_e32 v21, v21, v115
	v_not_b32_e32 v112, v113
	v_ashrrev_i32_e32 v110, 31, v110
	s_wait_alu 0xf1ff
	v_xor_b32_e32 v109, s15, v109
	v_cmp_gt_i32_e64 s15, 0, v113
	v_and_b32_e32 v21, v21, v27
	v_not_b32_e32 v27, v114
	v_ashrrev_i32_e32 v112, 31, v112
	s_wait_alu 0xfffd
	v_xor_b32_e32 v110, vcc_lo, v110
	v_cmp_gt_i32_e32 vcc_lo, 0, v114
	v_and_b32_e32 v21, v21, v109
	v_not_b32_e32 v109, v111
	v_ashrrev_i32_e32 v27, 31, v27
	s_wait_alu 0xf1ff
	v_xor_b32_e32 v112, s15, v112
	v_cmp_gt_i32_e64 s15, 0, v111
	v_and_b32_e32 v21, v21, v110
	v_ashrrev_i32_e32 v109, 31, v109
	s_wait_alu 0xfffd
	v_xor_b32_e32 v27, vcc_lo, v27
	v_mad_u32_u24 v110, v26, 36, v92
	v_mul_u32_u24_e32 v26, 36, v26
	v_and_b32_e32 v21, v21, v112
	s_wait_alu 0xf1ff
	v_xor_b32_e32 v111, s15, v109
	ds_load_b32 v109, v110 offset:1056
	v_add_nc_u32_e32 v112, v92, v26
	v_and_b32_e32 v21, v21, v27
	; wave barrier
	s_delay_alu instid0(VALU_DEP_1) | instskip(NEXT) | instid1(VALU_DEP_1)
	v_and_b32_e32 v21, v21, v111
	v_mbcnt_lo_u32_b32 v111, v21, 0
	v_cmp_ne_u32_e64 s15, 0, v21
	s_delay_alu instid0(VALU_DEP_2)
	v_cmp_eq_u32_e32 vcc_lo, 0, v111
	s_and_b32 s16, s15, vcc_lo
	s_wait_alu 0xfffe
	s_and_saveexec_b32 s15, s16
	s_cbranch_execz .LBB1745_420
; %bb.419:                              ;   in Loop: Header=BB1745_394 Depth=2
	s_wait_dscnt 0x0
	v_bcnt_u32_b32 v21, v21, v109
	ds_store_b32 v112, v21 offset:1056
.LBB1745_420:                           ;   in Loop: Header=BB1745_394 Depth=2
	s_wait_alu 0xfffe
	s_or_b32 exec_lo, exec_lo, s15
	v_cmp_gt_i16_e32 vcc_lo, 0, v25
	; wave barrier
	s_wait_alu 0xfffd
	v_cndmask_b32_e64 v21, 0x7fff, 0, vcc_lo
	s_delay_alu instid0(VALU_DEP_1) | instskip(NEXT) | instid1(VALU_DEP_1)
	v_xor_b32_e32 v110, v21, v25
	v_cmp_ne_u16_e32 vcc_lo, 0x8000, v110
	s_wait_alu 0xfffd
	v_cndmask_b32_e32 v21, 0x7fff, v110, vcc_lo
	s_delay_alu instid0(VALU_DEP_1) | instskip(NEXT) | instid1(VALU_DEP_1)
	v_and_b32_e32 v21, 0xffff, v21
	v_lshrrev_b32_e32 v21, s45, v21
	s_delay_alu instid0(VALU_DEP_1) | instskip(NEXT) | instid1(VALU_DEP_1)
	v_and_b32_e32 v25, s42, v21
	v_and_b32_e32 v21, 1, v25
	v_lshlrev_b32_e32 v26, 30, v25
	v_lshlrev_b32_e32 v27, 29, v25
	;; [unrolled: 1-line block ×4, first 2 shown]
	v_add_co_u32 v21, s15, v21, -1
	s_wait_alu 0xf1ff
	v_cndmask_b32_e64 v114, 0, 1, s15
	v_not_b32_e32 v118, v26
	v_cmp_gt_i32_e64 s15, 0, v26
	v_not_b32_e32 v26, v27
	v_lshlrev_b32_e32 v116, 26, v25
	v_cmp_ne_u32_e32 vcc_lo, 0, v114
	v_ashrrev_i32_e32 v118, 31, v118
	v_lshlrev_b32_e32 v117, 25, v25
	v_ashrrev_i32_e32 v26, 31, v26
	v_lshlrev_b32_e32 v114, 24, v25
	s_wait_alu 0xfffd
	v_xor_b32_e32 v21, vcc_lo, v21
	v_cmp_gt_i32_e32 vcc_lo, 0, v27
	v_not_b32_e32 v27, v113
	s_wait_alu 0xf1ff
	v_xor_b32_e32 v118, s15, v118
	v_cmp_gt_i32_e64 s15, 0, v113
	v_and_b32_e32 v21, exec_lo, v21
	v_not_b32_e32 v113, v115
	v_ashrrev_i32_e32 v27, 31, v27
	s_wait_alu 0xfffd
	v_xor_b32_e32 v26, vcc_lo, v26
	v_cmp_gt_i32_e32 vcc_lo, 0, v115
	v_and_b32_e32 v21, v21, v118
	v_not_b32_e32 v115, v116
	v_ashrrev_i32_e32 v113, 31, v113
	s_wait_alu 0xf1ff
	v_xor_b32_e32 v27, s15, v27
	v_cmp_gt_i32_e64 s15, 0, v116
	v_and_b32_e32 v21, v21, v26
	v_not_b32_e32 v26, v117
	v_ashrrev_i32_e32 v115, 31, v115
	s_wait_alu 0xfffd
	v_xor_b32_e32 v113, vcc_lo, v113
	v_cmp_gt_i32_e32 vcc_lo, 0, v117
	v_and_b32_e32 v21, v21, v27
	v_not_b32_e32 v27, v114
	v_ashrrev_i32_e32 v26, 31, v26
	s_wait_alu 0xf1ff
	v_xor_b32_e32 v115, s15, v115
	v_cmp_gt_i32_e64 s15, 0, v114
	v_and_b32_e32 v21, v21, v113
	v_ashrrev_i32_e32 v27, 31, v27
	s_wait_alu 0xfffd
	v_xor_b32_e32 v26, vcc_lo, v26
	v_mad_u32_u24 v113, v25, 36, v92
	v_mul_u32_u24_e32 v25, 36, v25
	v_and_b32_e32 v21, v21, v115
	s_wait_alu 0xf1ff
	v_xor_b32_e32 v27, s15, v27
	ds_load_b32 v113, v113 offset:1056
	v_add_nc_u32_e32 v116, v92, v25
	v_and_b32_e32 v21, v21, v26
	; wave barrier
	s_delay_alu instid0(VALU_DEP_1) | instskip(NEXT) | instid1(VALU_DEP_1)
	v_and_b32_e32 v21, v21, v27
	v_mbcnt_lo_u32_b32 v115, v21, 0
	v_cmp_ne_u32_e64 s15, 0, v21
	s_delay_alu instid0(VALU_DEP_2)
	v_cmp_eq_u32_e32 vcc_lo, 0, v115
	s_and_b32 s16, s15, vcc_lo
	s_wait_alu 0xfffe
	s_and_saveexec_b32 s15, s16
	s_cbranch_execz .LBB1745_422
; %bb.421:                              ;   in Loop: Header=BB1745_394 Depth=2
	s_wait_dscnt 0x0
	v_bcnt_u32_b32 v21, v21, v113
	ds_store_b32 v116, v21 offset:1056
.LBB1745_422:                           ;   in Loop: Header=BB1745_394 Depth=2
	s_wait_alu 0xfffe
	s_or_b32 exec_lo, exec_lo, s15
	v_cmp_gt_i16_e32 vcc_lo, 0, v24
	; wave barrier
	s_wait_alu 0xfffd
	v_cndmask_b32_e64 v21, 0x7fff, 0, vcc_lo
	s_delay_alu instid0(VALU_DEP_1) | instskip(NEXT) | instid1(VALU_DEP_1)
	v_xor_b32_e32 v114, v21, v24
	v_cmp_ne_u16_e32 vcc_lo, 0x8000, v114
	s_wait_alu 0xfffd
	v_cndmask_b32_e32 v21, 0x7fff, v114, vcc_lo
	s_delay_alu instid0(VALU_DEP_1) | instskip(NEXT) | instid1(VALU_DEP_1)
	v_and_b32_e32 v21, 0xffff, v21
	v_lshrrev_b32_e32 v21, s45, v21
	s_delay_alu instid0(VALU_DEP_1) | instskip(NEXT) | instid1(VALU_DEP_1)
	v_and_b32_e32 v24, s42, v21
	v_and_b32_e32 v21, 1, v24
	v_lshlrev_b32_e32 v25, 30, v24
	v_lshlrev_b32_e32 v26, 29, v24
	;; [unrolled: 1-line block ×4, first 2 shown]
	v_add_co_u32 v21, s15, v21, -1
	s_wait_alu 0xf1ff
	v_cndmask_b32_e64 v117, 0, 1, s15
	v_not_b32_e32 v121, v25
	v_cmp_gt_i32_e64 s15, 0, v25
	v_not_b32_e32 v25, v26
	v_lshlrev_b32_e32 v119, 26, v24
	v_cmp_ne_u32_e32 vcc_lo, 0, v117
	v_ashrrev_i32_e32 v121, 31, v121
	v_lshlrev_b32_e32 v120, 25, v24
	v_ashrrev_i32_e32 v25, 31, v25
	v_lshlrev_b32_e32 v117, 24, v24
	s_wait_alu 0xfffd
	v_xor_b32_e32 v21, vcc_lo, v21
	v_cmp_gt_i32_e32 vcc_lo, 0, v26
	v_not_b32_e32 v26, v27
	s_wait_alu 0xf1ff
	v_xor_b32_e32 v121, s15, v121
	v_cmp_gt_i32_e64 s15, 0, v27
	v_and_b32_e32 v21, exec_lo, v21
	v_not_b32_e32 v27, v118
	v_ashrrev_i32_e32 v26, 31, v26
	s_wait_alu 0xfffd
	v_xor_b32_e32 v25, vcc_lo, v25
	v_cmp_gt_i32_e32 vcc_lo, 0, v118
	v_and_b32_e32 v21, v21, v121
	v_not_b32_e32 v118, v119
	v_ashrrev_i32_e32 v27, 31, v27
	s_wait_alu 0xf1ff
	v_xor_b32_e32 v26, s15, v26
	v_cmp_gt_i32_e64 s15, 0, v119
	v_and_b32_e32 v21, v21, v25
	v_not_b32_e32 v25, v120
	v_ashrrev_i32_e32 v118, 31, v118
	s_wait_alu 0xfffd
	v_xor_b32_e32 v27, vcc_lo, v27
	v_cmp_gt_i32_e32 vcc_lo, 0, v120
	v_and_b32_e32 v21, v21, v26
	v_not_b32_e32 v26, v117
	v_ashrrev_i32_e32 v25, 31, v25
	s_wait_alu 0xf1ff
	v_xor_b32_e32 v118, s15, v118
	v_cmp_gt_i32_e64 s15, 0, v117
	v_and_b32_e32 v21, v21, v27
	v_ashrrev_i32_e32 v26, 31, v26
	s_wait_alu 0xfffd
	v_xor_b32_e32 v25, vcc_lo, v25
	v_mad_u32_u24 v27, v24, 36, v92
	v_mul_u32_u24_e32 v24, 36, v24
	v_and_b32_e32 v21, v21, v118
	s_wait_alu 0xf1ff
	v_xor_b32_e32 v26, s15, v26
	ds_load_b32 v117, v27 offset:1056
	v_add_nc_u32_e32 v120, v92, v24
	v_and_b32_e32 v21, v21, v25
	; wave barrier
	s_delay_alu instid0(VALU_DEP_1) | instskip(NEXT) | instid1(VALU_DEP_1)
	v_and_b32_e32 v21, v21, v26
	v_mbcnt_lo_u32_b32 v119, v21, 0
	v_cmp_ne_u32_e64 s15, 0, v21
	s_delay_alu instid0(VALU_DEP_2)
	v_cmp_eq_u32_e32 vcc_lo, 0, v119
	s_and_b32 s16, s15, vcc_lo
	s_wait_alu 0xfffe
	s_and_saveexec_b32 s15, s16
	s_cbranch_execz .LBB1745_424
; %bb.423:                              ;   in Loop: Header=BB1745_394 Depth=2
	s_wait_dscnt 0x0
	v_bcnt_u32_b32 v21, v21, v117
	ds_store_b32 v120, v21 offset:1056
.LBB1745_424:                           ;   in Loop: Header=BB1745_394 Depth=2
	s_wait_alu 0xfffe
	s_or_b32 exec_lo, exec_lo, s15
	v_cmp_gt_i16_e32 vcc_lo, 0, v23
	; wave barrier
	s_wait_alu 0xfffd
	v_cndmask_b32_e64 v21, 0x7fff, 0, vcc_lo
	s_delay_alu instid0(VALU_DEP_1) | instskip(NEXT) | instid1(VALU_DEP_1)
	v_xor_b32_e32 v118, v21, v23
	v_cmp_ne_u16_e32 vcc_lo, 0x8000, v118
	s_wait_alu 0xfffd
	v_cndmask_b32_e32 v21, 0x7fff, v118, vcc_lo
	s_delay_alu instid0(VALU_DEP_1) | instskip(NEXT) | instid1(VALU_DEP_1)
	v_and_b32_e32 v21, 0xffff, v21
	v_lshrrev_b32_e32 v21, s45, v21
	s_delay_alu instid0(VALU_DEP_1) | instskip(NEXT) | instid1(VALU_DEP_1)
	v_and_b32_e32 v23, s42, v21
	v_and_b32_e32 v21, 1, v23
	v_lshlrev_b32_e32 v24, 30, v23
	v_lshlrev_b32_e32 v25, 29, v23
	;; [unrolled: 1-line block ×4, first 2 shown]
	v_add_co_u32 v21, s15, v21, -1
	s_wait_alu 0xf1ff
	v_cndmask_b32_e64 v27, 0, 1, s15
	v_not_b32_e32 v124, v24
	v_cmp_gt_i32_e64 s15, 0, v24
	v_not_b32_e32 v24, v25
	v_lshlrev_b32_e32 v122, 26, v23
	v_cmp_ne_u32_e32 vcc_lo, 0, v27
	v_ashrrev_i32_e32 v124, 31, v124
	v_lshlrev_b32_e32 v123, 25, v23
	v_ashrrev_i32_e32 v24, 31, v24
	v_lshlrev_b32_e32 v27, 24, v23
	s_wait_alu 0xfffd
	v_xor_b32_e32 v21, vcc_lo, v21
	v_cmp_gt_i32_e32 vcc_lo, 0, v25
	v_not_b32_e32 v25, v26
	s_wait_alu 0xf1ff
	v_xor_b32_e32 v124, s15, v124
	v_cmp_gt_i32_e64 s15, 0, v26
	v_and_b32_e32 v21, exec_lo, v21
	v_not_b32_e32 v26, v121
	v_ashrrev_i32_e32 v25, 31, v25
	s_wait_alu 0xfffd
	v_xor_b32_e32 v24, vcc_lo, v24
	v_cmp_gt_i32_e32 vcc_lo, 0, v121
	v_and_b32_e32 v21, v21, v124
	v_not_b32_e32 v121, v122
	v_ashrrev_i32_e32 v26, 31, v26
	s_wait_alu 0xf1ff
	v_xor_b32_e32 v25, s15, v25
	v_cmp_gt_i32_e64 s15, 0, v122
	v_and_b32_e32 v21, v21, v24
	v_not_b32_e32 v24, v123
	v_ashrrev_i32_e32 v121, 31, v121
	s_wait_alu 0xfffd
	v_xor_b32_e32 v26, vcc_lo, v26
	v_cmp_gt_i32_e32 vcc_lo, 0, v123
	v_and_b32_e32 v21, v21, v25
	v_not_b32_e32 v25, v27
	v_ashrrev_i32_e32 v24, 31, v24
	s_wait_alu 0xf1ff
	v_xor_b32_e32 v121, s15, v121
	v_cmp_gt_i32_e64 s15, 0, v27
	v_and_b32_e32 v21, v21, v26
	v_ashrrev_i32_e32 v25, 31, v25
	s_wait_alu 0xfffd
	v_xor_b32_e32 v24, vcc_lo, v24
	v_mad_u32_u24 v26, v23, 36, v92
	v_mul_u32_u24_e32 v23, 36, v23
	v_and_b32_e32 v21, v21, v121
	s_wait_alu 0xf1ff
	v_xor_b32_e32 v25, s15, v25
	ds_load_b32 v121, v26 offset:1056
	v_add_nc_u32_e32 v124, v92, v23
	v_and_b32_e32 v21, v21, v24
	; wave barrier
	s_delay_alu instid0(VALU_DEP_1) | instskip(NEXT) | instid1(VALU_DEP_1)
	v_and_b32_e32 v21, v21, v25
	v_mbcnt_lo_u32_b32 v123, v21, 0
	v_cmp_ne_u32_e64 s15, 0, v21
	s_delay_alu instid0(VALU_DEP_2)
	v_cmp_eq_u32_e32 vcc_lo, 0, v123
	s_and_b32 s16, s15, vcc_lo
	s_wait_alu 0xfffe
	s_and_saveexec_b32 s15, s16
	s_cbranch_execz .LBB1745_426
; %bb.425:                              ;   in Loop: Header=BB1745_394 Depth=2
	s_wait_dscnt 0x0
	v_bcnt_u32_b32 v21, v21, v121
	ds_store_b32 v124, v21 offset:1056
.LBB1745_426:                           ;   in Loop: Header=BB1745_394 Depth=2
	s_wait_alu 0xfffe
	s_or_b32 exec_lo, exec_lo, s15
	v_cmp_gt_i16_e32 vcc_lo, 0, v22
	; wave barrier
	s_wait_alu 0xfffd
	v_cndmask_b32_e64 v21, 0x7fff, 0, vcc_lo
	s_delay_alu instid0(VALU_DEP_1) | instskip(NEXT) | instid1(VALU_DEP_1)
	v_xor_b32_e32 v122, v21, v22
	v_cmp_ne_u16_e32 vcc_lo, 0x8000, v122
	s_wait_alu 0xfffd
	v_cndmask_b32_e32 v21, 0x7fff, v122, vcc_lo
	s_delay_alu instid0(VALU_DEP_1) | instskip(NEXT) | instid1(VALU_DEP_1)
	v_and_b32_e32 v21, 0xffff, v21
	v_lshrrev_b32_e32 v21, s45, v21
	s_delay_alu instid0(VALU_DEP_1) | instskip(NEXT) | instid1(VALU_DEP_1)
	v_and_b32_e32 v22, s42, v21
	v_and_b32_e32 v21, 1, v22
	v_lshlrev_b32_e32 v23, 30, v22
	v_lshlrev_b32_e32 v24, 29, v22
	;; [unrolled: 1-line block ×4, first 2 shown]
	v_add_co_u32 v21, s15, v21, -1
	s_wait_alu 0xf1ff
	v_cndmask_b32_e64 v26, 0, 1, s15
	v_not_b32_e32 v127, v23
	v_cmp_gt_i32_e64 s15, 0, v23
	v_not_b32_e32 v23, v24
	v_lshlrev_b32_e32 v125, 26, v22
	v_cmp_ne_u32_e32 vcc_lo, 0, v26
	v_ashrrev_i32_e32 v127, 31, v127
	v_lshlrev_b32_e32 v126, 25, v22
	v_ashrrev_i32_e32 v23, 31, v23
	v_lshlrev_b32_e32 v26, 24, v22
	s_wait_alu 0xfffd
	v_xor_b32_e32 v21, vcc_lo, v21
	v_cmp_gt_i32_e32 vcc_lo, 0, v24
	v_not_b32_e32 v24, v25
	s_wait_alu 0xf1ff
	v_xor_b32_e32 v127, s15, v127
	v_cmp_gt_i32_e64 s15, 0, v25
	v_and_b32_e32 v21, exec_lo, v21
	v_not_b32_e32 v25, v27
	v_ashrrev_i32_e32 v24, 31, v24
	s_wait_alu 0xfffd
	v_xor_b32_e32 v23, vcc_lo, v23
	v_cmp_gt_i32_e32 vcc_lo, 0, v27
	v_and_b32_e32 v21, v21, v127
	v_not_b32_e32 v27, v125
	v_ashrrev_i32_e32 v25, 31, v25
	s_wait_alu 0xf1ff
	v_xor_b32_e32 v24, s15, v24
	v_cmp_gt_i32_e64 s15, 0, v125
	v_and_b32_e32 v21, v21, v23
	v_not_b32_e32 v23, v126
	v_ashrrev_i32_e32 v27, 31, v27
	s_wait_alu 0xfffd
	v_xor_b32_e32 v25, vcc_lo, v25
	v_cmp_gt_i32_e32 vcc_lo, 0, v126
	v_and_b32_e32 v21, v21, v24
	v_not_b32_e32 v24, v26
	v_ashrrev_i32_e32 v23, 31, v23
	s_wait_alu 0xf1ff
	v_xor_b32_e32 v27, s15, v27
	v_cmp_gt_i32_e64 s15, 0, v26
	v_and_b32_e32 v21, v21, v25
	v_ashrrev_i32_e32 v24, 31, v24
	s_wait_alu 0xfffd
	v_xor_b32_e32 v23, vcc_lo, v23
	v_mad_u32_u24 v25, v22, 36, v92
	v_mul_u32_u24_e32 v22, 36, v22
	v_and_b32_e32 v21, v21, v27
	s_wait_alu 0xf1ff
	v_xor_b32_e32 v24, s15, v24
	ds_load_b32 v125, v25 offset:1056
	v_add_nc_u32_e32 v128, v92, v22
	v_and_b32_e32 v21, v21, v23
	; wave barrier
	s_delay_alu instid0(VALU_DEP_1) | instskip(NEXT) | instid1(VALU_DEP_1)
	v_and_b32_e32 v21, v21, v24
	v_mbcnt_lo_u32_b32 v126, v21, 0
	v_cmp_ne_u32_e64 s15, 0, v21
	s_delay_alu instid0(VALU_DEP_2)
	v_cmp_eq_u32_e32 vcc_lo, 0, v126
	s_and_b32 s16, s15, vcc_lo
	s_wait_alu 0xfffe
	s_and_saveexec_b32 s15, s16
	s_cbranch_execz .LBB1745_428
; %bb.427:                              ;   in Loop: Header=BB1745_394 Depth=2
	s_wait_dscnt 0x0
	v_bcnt_u32_b32 v21, v21, v125
	ds_store_b32 v128, v21 offset:1056
.LBB1745_428:                           ;   in Loop: Header=BB1745_394 Depth=2
	s_wait_alu 0xfffe
	s_or_b32 exec_lo, exec_lo, s15
	v_cmp_gt_i16_e32 vcc_lo, 0, v20
	; wave barrier
	s_wait_alu 0xfffd
	v_cndmask_b32_e64 v21, 0x7fff, 0, vcc_lo
	s_delay_alu instid0(VALU_DEP_1) | instskip(NEXT) | instid1(VALU_DEP_1)
	v_xor_b32_e32 v127, v21, v20
	v_cmp_ne_u16_e32 vcc_lo, 0x8000, v127
	s_wait_alu 0xfffd
	v_cndmask_b32_e32 v20, 0x7fff, v127, vcc_lo
	s_delay_alu instid0(VALU_DEP_1) | instskip(NEXT) | instid1(VALU_DEP_1)
	v_and_b32_e32 v20, 0xffff, v20
	v_lshrrev_b32_e32 v20, s45, v20
	s_delay_alu instid0(VALU_DEP_1) | instskip(NEXT) | instid1(VALU_DEP_1)
	v_and_b32_e32 v21, s42, v20
	v_and_b32_e32 v20, 1, v21
	v_lshlrev_b32_e32 v22, 30, v21
	v_lshlrev_b32_e32 v23, 29, v21
	;; [unrolled: 1-line block ×4, first 2 shown]
	v_add_co_u32 v20, s15, v20, -1
	s_wait_alu 0xf1ff
	v_cndmask_b32_e64 v25, 0, 1, s15
	v_not_b32_e32 v130, v22
	v_cmp_gt_i32_e64 s15, 0, v22
	v_not_b32_e32 v22, v23
	v_lshlrev_b32_e32 v27, 26, v21
	v_cmp_ne_u32_e32 vcc_lo, 0, v25
	v_ashrrev_i32_e32 v130, 31, v130
	v_lshlrev_b32_e32 v129, 25, v21
	v_ashrrev_i32_e32 v22, 31, v22
	v_lshlrev_b32_e32 v25, 24, v21
	s_wait_alu 0xfffd
	v_xor_b32_e32 v20, vcc_lo, v20
	v_cmp_gt_i32_e32 vcc_lo, 0, v23
	v_not_b32_e32 v23, v24
	s_wait_alu 0xf1ff
	v_xor_b32_e32 v130, s15, v130
	v_cmp_gt_i32_e64 s15, 0, v24
	v_and_b32_e32 v20, exec_lo, v20
	v_not_b32_e32 v24, v26
	v_ashrrev_i32_e32 v23, 31, v23
	s_wait_alu 0xfffd
	v_xor_b32_e32 v22, vcc_lo, v22
	v_cmp_gt_i32_e32 vcc_lo, 0, v26
	v_and_b32_e32 v20, v20, v130
	v_not_b32_e32 v26, v27
	v_ashrrev_i32_e32 v24, 31, v24
	s_wait_alu 0xf1ff
	v_xor_b32_e32 v23, s15, v23
	v_cmp_gt_i32_e64 s15, 0, v27
	v_and_b32_e32 v20, v20, v22
	v_not_b32_e32 v22, v129
	v_ashrrev_i32_e32 v26, 31, v26
	s_wait_alu 0xfffd
	v_xor_b32_e32 v24, vcc_lo, v24
	v_cmp_gt_i32_e32 vcc_lo, 0, v129
	v_and_b32_e32 v20, v20, v23
	v_not_b32_e32 v23, v25
	v_ashrrev_i32_e32 v22, 31, v22
	s_wait_alu 0xf1ff
	v_xor_b32_e32 v26, s15, v26
	v_cmp_gt_i32_e64 s15, 0, v25
	v_and_b32_e32 v20, v20, v24
	v_ashrrev_i32_e32 v23, 31, v23
	s_wait_alu 0xfffd
	v_xor_b32_e32 v22, vcc_lo, v22
	v_mad_u32_u24 v24, v21, 36, v92
	v_mul_u32_u24_e32 v21, 36, v21
	v_and_b32_e32 v20, v20, v26
	s_wait_alu 0xf1ff
	v_xor_b32_e32 v23, s15, v23
	ds_load_b32 v129, v24 offset:1056
	v_add_nc_u32_e32 v131, v92, v21
	v_and_b32_e32 v20, v20, v22
	; wave barrier
	s_delay_alu instid0(VALU_DEP_1) | instskip(NEXT) | instid1(VALU_DEP_1)
	v_and_b32_e32 v20, v20, v23
	v_mbcnt_lo_u32_b32 v130, v20, 0
	v_cmp_ne_u32_e64 s15, 0, v20
	s_delay_alu instid0(VALU_DEP_2)
	v_cmp_eq_u32_e32 vcc_lo, 0, v130
	s_and_b32 s16, s15, vcc_lo
	s_wait_alu 0xfffe
	s_and_saveexec_b32 s15, s16
	s_cbranch_execz .LBB1745_430
; %bb.429:                              ;   in Loop: Header=BB1745_394 Depth=2
	s_wait_dscnt 0x0
	v_bcnt_u32_b32 v20, v20, v129
	ds_store_b32 v131, v20 offset:1056
.LBB1745_430:                           ;   in Loop: Header=BB1745_394 Depth=2
	s_wait_alu 0xfffe
	s_or_b32 exec_lo, exec_lo, s15
	; wave barrier
	s_wait_loadcnt_dscnt 0x0
	s_barrier_signal -1
	s_barrier_wait -1
	global_inv scope:SCOPE_SE
	ds_load_2addr_b32 v[26:27], v78 offset1:1
	ds_load_2addr_b32 v[24:25], v79 offset1:1
	;; [unrolled: 1-line block ×4, first 2 shown]
	ds_load_b32 v132, v43 offset:1088
	s_wait_dscnt 0x3
	v_add3_u32 v133, v27, v26, v24
	s_wait_dscnt 0x2
	s_delay_alu instid0(VALU_DEP_1) | instskip(SKIP_1) | instid1(VALU_DEP_1)
	v_add3_u32 v133, v133, v25, v22
	s_wait_dscnt 0x1
	v_add3_u32 v133, v133, v23, v20
	s_wait_dscnt 0x0
	s_delay_alu instid0(VALU_DEP_1) | instskip(NEXT) | instid1(VALU_DEP_1)
	v_add3_u32 v132, v133, v21, v132
	v_mov_b32_dpp v133, v132 row_shr:1 row_mask:0xf bank_mask:0xf
	s_delay_alu instid0(VALU_DEP_1) | instskip(NEXT) | instid1(VALU_DEP_1)
	v_cndmask_b32_e64 v133, v133, 0, s0
	v_add_nc_u32_e32 v132, v133, v132
	s_delay_alu instid0(VALU_DEP_1) | instskip(NEXT) | instid1(VALU_DEP_1)
	v_mov_b32_dpp v133, v132 row_shr:2 row_mask:0xf bank_mask:0xf
	v_cndmask_b32_e64 v133, 0, v133, s1
	s_delay_alu instid0(VALU_DEP_1) | instskip(NEXT) | instid1(VALU_DEP_1)
	v_add_nc_u32_e32 v132, v132, v133
	v_mov_b32_dpp v133, v132 row_shr:4 row_mask:0xf bank_mask:0xf
	s_delay_alu instid0(VALU_DEP_1) | instskip(NEXT) | instid1(VALU_DEP_1)
	v_cndmask_b32_e64 v133, 0, v133, s9
	v_add_nc_u32_e32 v132, v132, v133
	s_delay_alu instid0(VALU_DEP_1) | instskip(NEXT) | instid1(VALU_DEP_1)
	v_mov_b32_dpp v133, v132 row_shr:8 row_mask:0xf bank_mask:0xf
	v_cndmask_b32_e64 v133, 0, v133, s10
	s_delay_alu instid0(VALU_DEP_1) | instskip(SKIP_3) | instid1(VALU_DEP_1)
	v_add_nc_u32_e32 v132, v132, v133
	ds_swizzle_b32 v133, v132 offset:swizzle(BROADCAST,32,15)
	s_wait_dscnt 0x0
	v_cndmask_b32_e64 v133, v133, 0, s11
	v_add_nc_u32_e32 v132, v132, v133
	s_and_saveexec_b32 s15, s3
; %bb.431:                              ;   in Loop: Header=BB1745_394 Depth=2
	ds_store_b32 v38, v132 offset:1024
; %bb.432:                              ;   in Loop: Header=BB1745_394 Depth=2
	s_wait_alu 0xfffe
	s_or_b32 exec_lo, exec_lo, s15
	s_wait_loadcnt_dscnt 0x0
	s_barrier_signal -1
	s_barrier_wait -1
	global_inv scope:SCOPE_SE
	s_and_saveexec_b32 s15, s4
	s_cbranch_execz .LBB1745_434
; %bb.433:                              ;   in Loop: Header=BB1745_394 Depth=2
	ds_load_b32 v133, v46 offset:1024
	s_wait_dscnt 0x0
	v_mov_b32_dpp v134, v133 row_shr:1 row_mask:0xf bank_mask:0xf
	s_delay_alu instid0(VALU_DEP_1) | instskip(NEXT) | instid1(VALU_DEP_1)
	v_cndmask_b32_e64 v134, v134, 0, s12
	v_add_nc_u32_e32 v133, v134, v133
	s_delay_alu instid0(VALU_DEP_1) | instskip(NEXT) | instid1(VALU_DEP_1)
	v_mov_b32_dpp v134, v133 row_shr:2 row_mask:0xf bank_mask:0xf
	v_cndmask_b32_e64 v134, 0, v134, s13
	s_delay_alu instid0(VALU_DEP_1) | instskip(NEXT) | instid1(VALU_DEP_1)
	v_add_nc_u32_e32 v133, v133, v134
	v_mov_b32_dpp v134, v133 row_shr:4 row_mask:0xf bank_mask:0xf
	s_delay_alu instid0(VALU_DEP_1) | instskip(NEXT) | instid1(VALU_DEP_1)
	v_cndmask_b32_e64 v134, 0, v134, s14
	v_add_nc_u32_e32 v133, v133, v134
	ds_store_b32 v46, v133 offset:1024
.LBB1745_434:                           ;   in Loop: Header=BB1745_394 Depth=2
	s_wait_alu 0xfffe
	s_or_b32 exec_lo, exec_lo, s15
	v_mov_b32_e32 v133, 0
	s_wait_loadcnt_dscnt 0x0
	s_barrier_signal -1
	s_barrier_wait -1
	global_inv scope:SCOPE_SE
	s_and_saveexec_b32 s15, s5
; %bb.435:                              ;   in Loop: Header=BB1745_394 Depth=2
	ds_load_b32 v133, v38 offset:1020
; %bb.436:                              ;   in Loop: Header=BB1745_394 Depth=2
	s_wait_alu 0xfffe
	s_or_b32 exec_lo, exec_lo, s15
	s_wait_dscnt 0x0
	v_add_nc_u32_e32 v132, v133, v132
	ds_bpermute_b32 v132, v87, v132
	s_wait_dscnt 0x0
	v_cndmask_b32_e64 v132, v132, v133, s8
	s_delay_alu instid0(VALU_DEP_1) | instskip(NEXT) | instid1(VALU_DEP_1)
	v_cndmask_b32_e64 v132, v132, 0, s6
	v_add_nc_u32_e32 v26, v132, v26
	s_delay_alu instid0(VALU_DEP_1) | instskip(NEXT) | instid1(VALU_DEP_1)
	v_add_nc_u32_e32 v27, v26, v27
	v_add_nc_u32_e32 v24, v27, v24
	s_delay_alu instid0(VALU_DEP_1) | instskip(NEXT) | instid1(VALU_DEP_1)
	v_add_nc_u32_e32 v25, v24, v25
	;; [unrolled: 3-line block ×3, first 2 shown]
	v_add_nc_u32_e32 v20, v23, v20
	s_delay_alu instid0(VALU_DEP_1)
	v_add_nc_u32_e32 v21, v20, v21
	ds_store_2addr_b32 v81, v23, v20 offset1:1
	ds_store_2addr_b32 v78, v132, v26 offset1:1
	;; [unrolled: 1-line block ×4, first 2 shown]
	ds_store_b32 v43, v21 offset:1088
	s_wait_loadcnt_dscnt 0x0
	s_barrier_signal -1
	s_barrier_wait -1
	global_inv scope:SCOPE_SE
	ds_load_b32 v23, v104 offset:1056
	ds_load_b32 v24, v108 offset:1056
	;; [unrolled: 1-line block ×9, first 2 shown]
	v_mov_b32_e32 v22, 0x800
	s_and_saveexec_b32 s15, s7
; %bb.437:                              ;   in Loop: Header=BB1745_394 Depth=2
	ds_load_b32 v22, v43 offset:1092
; %bb.438:                              ;   in Loop: Header=BB1745_394 Depth=2
	s_wait_alu 0xfffe
	s_or_b32 exec_lo, exec_lo, s15
	s_wait_loadcnt_dscnt 0x0
	s_barrier_signal -1
	s_barrier_wait -1
	global_inv scope:SCOPE_SE
	s_and_saveexec_b32 s15, s2
	s_cbranch_execz .LBB1745_440
; %bb.439:                              ;   in Loop: Header=BB1745_394 Depth=2
	ds_load_b32 v108, v28
	s_wait_dscnt 0x0
	v_sub_nc_u32_e32 v104, v108, v104
	ds_store_b32 v28, v104
.LBB1745_440:                           ;   in Loop: Header=BB1745_394 Depth=2
	s_wait_alu 0xfffe
	s_or_b32 exec_lo, exec_lo, s15
	v_add_nc_u32_e32 v108, v23, v102
	v_add3_u32 v104, v106, v105, v24
	v_add3_u32 v102, v111, v109, v25
	;; [unrolled: 1-line block ×4, first 2 shown]
	v_lshlrev_b32_e32 v105, 1, v108
	v_lshlrev_b32_e32 v106, 1, v104
	v_add3_u32 v23, v123, v121, v112
	v_lshlrev_b32_e32 v109, 1, v102
	v_add3_u32 v27, v126, v125, v20
	v_add3_u32 v26, v130, v129, v21
	ds_store_b16 v105, v2 offset:1024
	ds_store_b16 v106, v103 offset:1024
	;; [unrolled: 1-line block ×3, first 2 shown]
	v_lshlrev_b32_e32 v2, 1, v25
	v_cmp_lt_u32_e32 vcc_lo, v1, v101
	v_lshlrev_b32_e32 v20, 1, v24
	v_lshlrev_b32_e32 v21, 1, v23
	;; [unrolled: 1-line block ×4, first 2 shown]
	ds_store_b16 v2, v110 offset:1024
	ds_store_b16 v20, v114 offset:1024
	;; [unrolled: 1-line block ×5, first 2 shown]
	s_wait_loadcnt_dscnt 0x0
	s_barrier_signal -1
	s_barrier_wait -1
	global_inv scope:SCOPE_SE
	s_and_saveexec_b32 s16, vcc_lo
	s_cbranch_execnz .LBB1745_477
; %bb.441:                              ;   in Loop: Header=BB1745_394 Depth=2
	s_wait_alu 0xfffe
	s_or_b32 exec_lo, exec_lo, s16
	v_cmp_lt_u32_e64 s15, v29, v101
	s_and_saveexec_b32 s17, s15
	s_cbranch_execnz .LBB1745_478
.LBB1745_442:                           ;   in Loop: Header=BB1745_394 Depth=2
	s_wait_alu 0xfffe
	s_or_b32 exec_lo, exec_lo, s17
	v_cmp_lt_u32_e64 s16, v30, v101
	s_and_saveexec_b32 s18, s16
	s_cbranch_execnz .LBB1745_479
.LBB1745_443:                           ;   in Loop: Header=BB1745_394 Depth=2
	s_wait_alu 0xfffe
	s_or_b32 exec_lo, exec_lo, s18
	v_cmp_lt_u32_e64 s17, v31, v101
	s_and_saveexec_b32 s19, s17
	s_cbranch_execnz .LBB1745_480
.LBB1745_444:                           ;   in Loop: Header=BB1745_394 Depth=2
	s_wait_alu 0xfffe
	s_or_b32 exec_lo, exec_lo, s19
	v_cmp_lt_u32_e64 s18, v34, v101
	s_and_saveexec_b32 s20, s18
	s_cbranch_execnz .LBB1745_481
.LBB1745_445:                           ;   in Loop: Header=BB1745_394 Depth=2
	s_wait_alu 0xfffe
	s_or_b32 exec_lo, exec_lo, s20
	v_cmp_lt_u32_e64 s19, v35, v101
	s_and_saveexec_b32 s21, s19
	s_cbranch_execnz .LBB1745_482
.LBB1745_446:                           ;   in Loop: Header=BB1745_394 Depth=2
	s_wait_alu 0xfffe
	s_or_b32 exec_lo, exec_lo, s21
	v_cmp_lt_u32_e64 s20, v36, v101
	s_and_saveexec_b32 s22, s20
	s_cbranch_execnz .LBB1745_483
.LBB1745_447:                           ;   in Loop: Header=BB1745_394 Depth=2
	s_wait_alu 0xfffe
	s_or_b32 exec_lo, exec_lo, s22
	v_cmp_lt_u32_e64 s21, v37, v101
	s_and_saveexec_b32 s48, s21
	s_cbranch_execz .LBB1745_449
.LBB1745_448:                           ;   in Loop: Header=BB1745_394 Depth=2
	ds_load_u16 v103, v47 offset:4608
	s_wait_dscnt 0x0
	v_cmp_ne_u16_e64 s22, 0x8000, v103
	s_wait_alu 0xf1ff
	s_delay_alu instid0(VALU_DEP_1) | instskip(SKIP_1) | instid1(VALU_DEP_2)
	v_cndmask_b32_e64 v2, 0x7fff, v103, s22
	v_cmp_gt_i16_e64 s22, 0, v103
	v_and_b32_e32 v2, 0xffff, v2
	s_wait_alu 0xf1ff
	s_delay_alu instid0(VALU_DEP_2) | instskip(NEXT) | instid1(VALU_DEP_2)
	v_cndmask_b32_e64 v105, 0x7fff, 0, s22
	v_lshrrev_b32_e32 v2, s45, v2
	s_delay_alu instid0(VALU_DEP_1) | instskip(NEXT) | instid1(VALU_DEP_1)
	v_and_b32_e32 v2, s42, v2
	v_lshlrev_b32_e32 v2, 2, v2
	ds_load_b32 v2, v2
	s_wait_dscnt 0x0
	v_add_nc_u32_e32 v2, v2, v37
	s_delay_alu instid0(VALU_DEP_1) | instskip(SKIP_1) | instid1(VALU_DEP_2)
	v_lshlrev_b64_e32 v[20:21], 1, v[2:3]
	v_xor_b32_e32 v2, v105, v103
	v_add_co_u32 v20, s22, s38, v20
	s_wait_alu 0xf1ff
	s_delay_alu instid0(VALU_DEP_3)
	v_add_co_ci_u32_e64 v21, null, s39, v21, s22
	global_store_b16 v[20:21], v2, off
.LBB1745_449:                           ;   in Loop: Header=BB1745_394 Depth=2
	s_wait_alu 0xfffe
	s_or_b32 exec_lo, exec_lo, s48
	s_lshl_b64 s[48:49], s[30:31], 3
	s_wait_alu 0xfffe
	v_add_co_u32 v20, s22, v88, s48
	s_wait_alu 0xf1ff
	v_add_co_ci_u32_e64 v21, null, s49, v89, s22
	v_cmp_lt_u32_e64 s22, v66, v101
	s_and_saveexec_b32 s30, s22
	s_wait_alu 0xfffe
	s_xor_b32 s22, exec_lo, s30
	s_cbranch_execnz .LBB1745_484
; %bb.450:                              ;   in Loop: Header=BB1745_394 Depth=2
	s_wait_alu 0xfffe
	s_or_b32 exec_lo, exec_lo, s22
	s_delay_alu instid0(SALU_CYCLE_1)
	s_mov_b32 s30, exec_lo
	v_cmpx_lt_u32_e64 v70, v101
	s_cbranch_execnz .LBB1745_485
.LBB1745_451:                           ;   in Loop: Header=BB1745_394 Depth=2
	s_wait_alu 0xfffe
	s_or_b32 exec_lo, exec_lo, s30
	s_delay_alu instid0(SALU_CYCLE_1)
	s_mov_b32 s30, exec_lo
	v_cmpx_lt_u32_e64 v71, v101
	s_cbranch_execnz .LBB1745_486
.LBB1745_452:                           ;   in Loop: Header=BB1745_394 Depth=2
	s_wait_alu 0xfffe
	s_or_b32 exec_lo, exec_lo, s30
	s_delay_alu instid0(SALU_CYCLE_1)
	s_mov_b32 s30, exec_lo
	v_cmpx_lt_u32_e64 v72, v101
	s_cbranch_execnz .LBB1745_487
.LBB1745_453:                           ;   in Loop: Header=BB1745_394 Depth=2
	s_wait_alu 0xfffe
	s_or_b32 exec_lo, exec_lo, s30
	s_delay_alu instid0(SALU_CYCLE_1)
	s_mov_b32 s30, exec_lo
	v_cmpx_lt_u32_e64 v73, v101
	s_cbranch_execnz .LBB1745_488
.LBB1745_454:                           ;   in Loop: Header=BB1745_394 Depth=2
	s_wait_alu 0xfffe
	s_or_b32 exec_lo, exec_lo, s30
	s_delay_alu instid0(SALU_CYCLE_1)
	s_mov_b32 s30, exec_lo
	v_cmpx_lt_u32_e64 v74, v101
	s_cbranch_execnz .LBB1745_489
.LBB1745_455:                           ;   in Loop: Header=BB1745_394 Depth=2
	s_wait_alu 0xfffe
	s_or_b32 exec_lo, exec_lo, s30
	s_delay_alu instid0(SALU_CYCLE_1)
	s_mov_b32 s30, exec_lo
	v_cmpx_lt_u32_e64 v75, v101
	s_cbranch_execnz .LBB1745_490
.LBB1745_456:                           ;   in Loop: Header=BB1745_394 Depth=2
	s_wait_alu 0xfffe
	s_or_b32 exec_lo, exec_lo, s30
	s_delay_alu instid0(SALU_CYCLE_1)
	s_mov_b32 s30, exec_lo
	v_cmpx_lt_u32_e64 v76, v101
	s_cbranch_execnz .LBB1745_491
.LBB1745_457:                           ;   in Loop: Header=BB1745_394 Depth=2
	s_wait_alu 0xfffe
	s_or_b32 exec_lo, exec_lo, s30
	s_and_saveexec_b32 s30, vcc_lo
	s_cbranch_execnz .LBB1745_492
.LBB1745_458:                           ;   in Loop: Header=BB1745_394 Depth=2
	s_wait_alu 0xfffe
	s_or_b32 exec_lo, exec_lo, s30
	s_and_saveexec_b32 s30, s15
	s_cbranch_execnz .LBB1745_493
.LBB1745_459:                           ;   in Loop: Header=BB1745_394 Depth=2
	s_wait_alu 0xfffe
	s_or_b32 exec_lo, exec_lo, s30
	s_and_saveexec_b32 s30, s16
	s_cbranch_execnz .LBB1745_494
.LBB1745_460:                           ;   in Loop: Header=BB1745_394 Depth=2
	s_wait_alu 0xfffe
	s_or_b32 exec_lo, exec_lo, s30
	s_and_saveexec_b32 s30, s17
	s_cbranch_execnz .LBB1745_495
.LBB1745_461:                           ;   in Loop: Header=BB1745_394 Depth=2
	s_wait_alu 0xfffe
	s_or_b32 exec_lo, exec_lo, s30
	s_and_saveexec_b32 s30, s18
	s_cbranch_execnz .LBB1745_496
.LBB1745_462:                           ;   in Loop: Header=BB1745_394 Depth=2
	s_wait_alu 0xfffe
	s_or_b32 exec_lo, exec_lo, s30
	s_and_saveexec_b32 s30, s19
	s_cbranch_execnz .LBB1745_497
.LBB1745_463:                           ;   in Loop: Header=BB1745_394 Depth=2
	s_wait_alu 0xfffe
	s_or_b32 exec_lo, exec_lo, s30
	s_and_saveexec_b32 s30, s20
	s_cbranch_execnz .LBB1745_498
.LBB1745_464:                           ;   in Loop: Header=BB1745_394 Depth=2
	s_wait_alu 0xfffe
	s_or_b32 exec_lo, exec_lo, s30
	s_and_saveexec_b32 s30, s21
	s_cbranch_execz .LBB1745_466
.LBB1745_465:                           ;   in Loop: Header=BB1745_394 Depth=2
	ds_load_u16 v2, v47 offset:4608
	s_wait_dscnt 0x0
	v_cmp_ne_u16_e64 s22, 0x8000, v2
	s_wait_alu 0xf1ff
	s_delay_alu instid0(VALU_DEP_1) | instskip(NEXT) | instid1(VALU_DEP_1)
	v_cndmask_b32_e64 v2, 0x7fff, v2, s22
	v_and_b32_e32 v2, 0xffff, v2
	s_delay_alu instid0(VALU_DEP_1) | instskip(NEXT) | instid1(VALU_DEP_1)
	v_lshrrev_b32_e32 v2, s45, v2
	v_and_b32_e32 v93, s42, v2
.LBB1745_466:                           ;   in Loop: Header=BB1745_394 Depth=2
	s_wait_alu 0xfffe
	s_or_b32 exec_lo, exec_lo, s30
	v_lshlrev_b32_e32 v2, 3, v108
	v_lshlrev_b32_e32 v20, 3, v104
	;; [unrolled: 1-line block ×3, first 2 shown]
	s_wait_loadcnt 0x0
	s_wait_storecnt 0x0
	s_barrier_signal -1
	s_barrier_wait -1
	global_inv scope:SCOPE_SE
	ds_store_b64 v2, v[18:19] offset:1024
	ds_store_b64 v20, v[16:17] offset:1024
	;; [unrolled: 1-line block ×3, first 2 shown]
	v_lshlrev_b32_e32 v2, 3, v25
	v_lshlrev_b32_e32 v20, 3, v24
	;; [unrolled: 1-line block ×5, first 2 shown]
	ds_store_b64 v2, v[12:13] offset:1024
	ds_store_b64 v20, v[10:11] offset:1024
	;; [unrolled: 1-line block ×5, first 2 shown]
	s_wait_loadcnt_dscnt 0x0
	s_barrier_signal -1
	s_barrier_wait -1
	global_inv scope:SCOPE_SE
	s_and_saveexec_b32 s22, vcc_lo
	s_cbranch_execnz .LBB1745_499
; %bb.467:                              ;   in Loop: Header=BB1745_394 Depth=2
	s_wait_alu 0xfffe
	s_or_b32 exec_lo, exec_lo, s22
	s_and_saveexec_b32 s22, s15
	s_cbranch_execnz .LBB1745_500
.LBB1745_468:                           ;   in Loop: Header=BB1745_394 Depth=2
	s_wait_alu 0xfffe
	s_or_b32 exec_lo, exec_lo, s22
	s_and_saveexec_b32 s15, s16
	s_cbranch_execnz .LBB1745_501
.LBB1745_469:                           ;   in Loop: Header=BB1745_394 Depth=2
	s_wait_alu 0xfffe
	s_or_b32 exec_lo, exec_lo, s15
	s_and_saveexec_b32 s15, s17
	s_cbranch_execnz .LBB1745_502
.LBB1745_470:                           ;   in Loop: Header=BB1745_394 Depth=2
	s_wait_alu 0xfffe
	s_or_b32 exec_lo, exec_lo, s15
	s_and_saveexec_b32 s15, s18
	s_cbranch_execnz .LBB1745_503
.LBB1745_471:                           ;   in Loop: Header=BB1745_394 Depth=2
	s_wait_alu 0xfffe
	s_or_b32 exec_lo, exec_lo, s15
	s_and_saveexec_b32 s15, s19
	s_cbranch_execnz .LBB1745_504
.LBB1745_472:                           ;   in Loop: Header=BB1745_394 Depth=2
	s_wait_alu 0xfffe
	s_or_b32 exec_lo, exec_lo, s15
	s_and_saveexec_b32 s15, s20
	s_cbranch_execnz .LBB1745_505
.LBB1745_473:                           ;   in Loop: Header=BB1745_394 Depth=2
	s_wait_alu 0xfffe
	s_or_b32 exec_lo, exec_lo, s15
	s_and_saveexec_b32 s15, s21
	s_cbranch_execz .LBB1745_475
.LBB1745_474:                           ;   in Loop: Header=BB1745_394 Depth=2
	v_lshlrev_b32_e32 v2, 2, v93
	v_add_nc_u32_e32 v20, v47, v48
	ds_load_b32 v2, v2
	ds_load_b64 v[20:21], v20 offset:15360
	s_wait_dscnt 0x1
	v_add_nc_u32_e32 v2, v2, v37
	s_delay_alu instid0(VALU_DEP_1) | instskip(NEXT) | instid1(VALU_DEP_1)
	v_lshlrev_b64_e32 v[23:24], 3, v[2:3]
	v_add_co_u32 v23, vcc_lo, s24, v23
	s_wait_alu 0xfffd
	s_delay_alu instid0(VALU_DEP_2)
	v_add_co_ci_u32_e64 v24, null, s25, v24, vcc_lo
	s_wait_dscnt 0x0
	global_store_b64 v[23:24], v[20:21], off
.LBB1745_475:                           ;   in Loop: Header=BB1745_394 Depth=2
	s_wait_alu 0xfffe
	s_or_b32 exec_lo, exec_lo, s15
	s_wait_loadcnt 0x0
	s_wait_storecnt 0x0
	s_barrier_signal -1
	s_barrier_wait -1
	global_inv scope:SCOPE_SE
	s_and_saveexec_b32 s15, s2
	s_cbranch_execz .LBB1745_393
; %bb.476:                              ;   in Loop: Header=BB1745_394 Depth=2
	ds_load_b32 v2, v28
	s_wait_dscnt 0x0
	v_add_nc_u32_e32 v2, v2, v22
	ds_store_b32 v28, v2
	s_branch .LBB1745_393
.LBB1745_477:                           ;   in Loop: Header=BB1745_394 Depth=2
	ds_load_u16 v103, v47 offset:1024
	s_wait_dscnt 0x0
	v_cmp_ne_u16_e64 s15, 0x8000, v103
	s_wait_alu 0xf1ff
	s_delay_alu instid0(VALU_DEP_1) | instskip(SKIP_1) | instid1(VALU_DEP_2)
	v_cndmask_b32_e64 v2, 0x7fff, v103, s15
	v_cmp_gt_i16_e64 s15, 0, v103
	v_and_b32_e32 v2, 0xffff, v2
	s_wait_alu 0xf1ff
	s_delay_alu instid0(VALU_DEP_2) | instskip(NEXT) | instid1(VALU_DEP_2)
	v_cndmask_b32_e64 v105, 0x7fff, 0, s15
	v_lshrrev_b32_e32 v2, s45, v2
	s_delay_alu instid0(VALU_DEP_1) | instskip(NEXT) | instid1(VALU_DEP_1)
	v_and_b32_e32 v2, s42, v2
	v_lshlrev_b32_e32 v2, 2, v2
	ds_load_b32 v2, v2
	s_wait_dscnt 0x0
	v_add_nc_u32_e32 v2, v2, v1
	s_delay_alu instid0(VALU_DEP_1) | instskip(SKIP_1) | instid1(VALU_DEP_2)
	v_lshlrev_b64_e32 v[20:21], 1, v[2:3]
	v_xor_b32_e32 v2, v105, v103
	v_add_co_u32 v20, s15, s38, v20
	s_wait_alu 0xf1ff
	s_delay_alu instid0(VALU_DEP_3)
	v_add_co_ci_u32_e64 v21, null, s39, v21, s15
	global_store_b16 v[20:21], v2, off
	s_wait_alu 0xfffe
	s_or_b32 exec_lo, exec_lo, s16
	v_cmp_lt_u32_e64 s15, v29, v101
	s_and_saveexec_b32 s17, s15
	s_cbranch_execz .LBB1745_442
.LBB1745_478:                           ;   in Loop: Header=BB1745_394 Depth=2
	ds_load_u16 v103, v47 offset:1536
	s_wait_dscnt 0x0
	v_cmp_ne_u16_e64 s16, 0x8000, v103
	s_wait_alu 0xf1ff
	s_delay_alu instid0(VALU_DEP_1) | instskip(SKIP_1) | instid1(VALU_DEP_2)
	v_cndmask_b32_e64 v2, 0x7fff, v103, s16
	v_cmp_gt_i16_e64 s16, 0, v103
	v_and_b32_e32 v2, 0xffff, v2
	s_wait_alu 0xf1ff
	s_delay_alu instid0(VALU_DEP_2) | instskip(NEXT) | instid1(VALU_DEP_2)
	v_cndmask_b32_e64 v105, 0x7fff, 0, s16
	v_lshrrev_b32_e32 v2, s45, v2
	s_delay_alu instid0(VALU_DEP_1) | instskip(NEXT) | instid1(VALU_DEP_1)
	v_and_b32_e32 v2, s42, v2
	v_lshlrev_b32_e32 v2, 2, v2
	ds_load_b32 v2, v2
	s_wait_dscnt 0x0
	v_add_nc_u32_e32 v2, v2, v29
	s_delay_alu instid0(VALU_DEP_1) | instskip(SKIP_1) | instid1(VALU_DEP_2)
	v_lshlrev_b64_e32 v[20:21], 1, v[2:3]
	v_xor_b32_e32 v2, v105, v103
	v_add_co_u32 v20, s16, s38, v20
	s_wait_alu 0xf1ff
	s_delay_alu instid0(VALU_DEP_3)
	v_add_co_ci_u32_e64 v21, null, s39, v21, s16
	global_store_b16 v[20:21], v2, off
	s_wait_alu 0xfffe
	s_or_b32 exec_lo, exec_lo, s17
	v_cmp_lt_u32_e64 s16, v30, v101
	s_and_saveexec_b32 s18, s16
	s_cbranch_execz .LBB1745_443
.LBB1745_479:                           ;   in Loop: Header=BB1745_394 Depth=2
	ds_load_u16 v103, v47 offset:2048
	s_wait_dscnt 0x0
	v_cmp_ne_u16_e64 s17, 0x8000, v103
	s_wait_alu 0xf1ff
	s_delay_alu instid0(VALU_DEP_1) | instskip(SKIP_1) | instid1(VALU_DEP_2)
	v_cndmask_b32_e64 v2, 0x7fff, v103, s17
	v_cmp_gt_i16_e64 s17, 0, v103
	v_and_b32_e32 v2, 0xffff, v2
	s_wait_alu 0xf1ff
	s_delay_alu instid0(VALU_DEP_2) | instskip(NEXT) | instid1(VALU_DEP_2)
	v_cndmask_b32_e64 v105, 0x7fff, 0, s17
	v_lshrrev_b32_e32 v2, s45, v2
	s_delay_alu instid0(VALU_DEP_1) | instskip(NEXT) | instid1(VALU_DEP_1)
	v_and_b32_e32 v2, s42, v2
	v_lshlrev_b32_e32 v2, 2, v2
	ds_load_b32 v2, v2
	s_wait_dscnt 0x0
	v_add_nc_u32_e32 v2, v2, v30
	s_delay_alu instid0(VALU_DEP_1) | instskip(SKIP_1) | instid1(VALU_DEP_2)
	v_lshlrev_b64_e32 v[20:21], 1, v[2:3]
	v_xor_b32_e32 v2, v105, v103
	v_add_co_u32 v20, s17, s38, v20
	s_wait_alu 0xf1ff
	s_delay_alu instid0(VALU_DEP_3)
	v_add_co_ci_u32_e64 v21, null, s39, v21, s17
	global_store_b16 v[20:21], v2, off
	s_wait_alu 0xfffe
	s_or_b32 exec_lo, exec_lo, s18
	v_cmp_lt_u32_e64 s17, v31, v101
	s_and_saveexec_b32 s19, s17
	s_cbranch_execz .LBB1745_444
.LBB1745_480:                           ;   in Loop: Header=BB1745_394 Depth=2
	ds_load_u16 v103, v47 offset:2560
	s_wait_dscnt 0x0
	v_cmp_ne_u16_e64 s18, 0x8000, v103
	s_wait_alu 0xf1ff
	s_delay_alu instid0(VALU_DEP_1) | instskip(SKIP_1) | instid1(VALU_DEP_2)
	v_cndmask_b32_e64 v2, 0x7fff, v103, s18
	v_cmp_gt_i16_e64 s18, 0, v103
	v_and_b32_e32 v2, 0xffff, v2
	s_wait_alu 0xf1ff
	s_delay_alu instid0(VALU_DEP_2) | instskip(NEXT) | instid1(VALU_DEP_2)
	v_cndmask_b32_e64 v105, 0x7fff, 0, s18
	v_lshrrev_b32_e32 v2, s45, v2
	s_delay_alu instid0(VALU_DEP_1) | instskip(NEXT) | instid1(VALU_DEP_1)
	v_and_b32_e32 v2, s42, v2
	v_lshlrev_b32_e32 v2, 2, v2
	ds_load_b32 v2, v2
	s_wait_dscnt 0x0
	v_add_nc_u32_e32 v2, v2, v31
	s_delay_alu instid0(VALU_DEP_1) | instskip(SKIP_1) | instid1(VALU_DEP_2)
	v_lshlrev_b64_e32 v[20:21], 1, v[2:3]
	v_xor_b32_e32 v2, v105, v103
	v_add_co_u32 v20, s18, s38, v20
	s_wait_alu 0xf1ff
	s_delay_alu instid0(VALU_DEP_3)
	v_add_co_ci_u32_e64 v21, null, s39, v21, s18
	global_store_b16 v[20:21], v2, off
	s_wait_alu 0xfffe
	s_or_b32 exec_lo, exec_lo, s19
	v_cmp_lt_u32_e64 s18, v34, v101
	s_and_saveexec_b32 s20, s18
	s_cbranch_execz .LBB1745_445
.LBB1745_481:                           ;   in Loop: Header=BB1745_394 Depth=2
	ds_load_u16 v103, v47 offset:3072
	s_wait_dscnt 0x0
	v_cmp_ne_u16_e64 s19, 0x8000, v103
	s_wait_alu 0xf1ff
	s_delay_alu instid0(VALU_DEP_1) | instskip(SKIP_1) | instid1(VALU_DEP_2)
	v_cndmask_b32_e64 v2, 0x7fff, v103, s19
	v_cmp_gt_i16_e64 s19, 0, v103
	v_and_b32_e32 v2, 0xffff, v2
	s_wait_alu 0xf1ff
	s_delay_alu instid0(VALU_DEP_2) | instskip(NEXT) | instid1(VALU_DEP_2)
	v_cndmask_b32_e64 v105, 0x7fff, 0, s19
	v_lshrrev_b32_e32 v2, s45, v2
	s_delay_alu instid0(VALU_DEP_1) | instskip(NEXT) | instid1(VALU_DEP_1)
	v_and_b32_e32 v2, s42, v2
	v_lshlrev_b32_e32 v2, 2, v2
	ds_load_b32 v2, v2
	s_wait_dscnt 0x0
	v_add_nc_u32_e32 v2, v2, v34
	s_delay_alu instid0(VALU_DEP_1) | instskip(SKIP_1) | instid1(VALU_DEP_2)
	v_lshlrev_b64_e32 v[20:21], 1, v[2:3]
	v_xor_b32_e32 v2, v105, v103
	v_add_co_u32 v20, s19, s38, v20
	s_wait_alu 0xf1ff
	s_delay_alu instid0(VALU_DEP_3)
	v_add_co_ci_u32_e64 v21, null, s39, v21, s19
	global_store_b16 v[20:21], v2, off
	s_wait_alu 0xfffe
	s_or_b32 exec_lo, exec_lo, s20
	v_cmp_lt_u32_e64 s19, v35, v101
	s_and_saveexec_b32 s21, s19
	s_cbranch_execz .LBB1745_446
.LBB1745_482:                           ;   in Loop: Header=BB1745_394 Depth=2
	ds_load_u16 v103, v47 offset:3584
	s_wait_dscnt 0x0
	v_cmp_ne_u16_e64 s20, 0x8000, v103
	s_wait_alu 0xf1ff
	s_delay_alu instid0(VALU_DEP_1) | instskip(SKIP_1) | instid1(VALU_DEP_2)
	v_cndmask_b32_e64 v2, 0x7fff, v103, s20
	v_cmp_gt_i16_e64 s20, 0, v103
	v_and_b32_e32 v2, 0xffff, v2
	s_wait_alu 0xf1ff
	s_delay_alu instid0(VALU_DEP_2) | instskip(NEXT) | instid1(VALU_DEP_2)
	v_cndmask_b32_e64 v105, 0x7fff, 0, s20
	v_lshrrev_b32_e32 v2, s45, v2
	s_delay_alu instid0(VALU_DEP_1) | instskip(NEXT) | instid1(VALU_DEP_1)
	v_and_b32_e32 v2, s42, v2
	v_lshlrev_b32_e32 v2, 2, v2
	ds_load_b32 v2, v2
	s_wait_dscnt 0x0
	v_add_nc_u32_e32 v2, v2, v35
	s_delay_alu instid0(VALU_DEP_1) | instskip(SKIP_1) | instid1(VALU_DEP_2)
	v_lshlrev_b64_e32 v[20:21], 1, v[2:3]
	v_xor_b32_e32 v2, v105, v103
	v_add_co_u32 v20, s20, s38, v20
	s_wait_alu 0xf1ff
	s_delay_alu instid0(VALU_DEP_3)
	v_add_co_ci_u32_e64 v21, null, s39, v21, s20
	global_store_b16 v[20:21], v2, off
	s_wait_alu 0xfffe
	s_or_b32 exec_lo, exec_lo, s21
	v_cmp_lt_u32_e64 s20, v36, v101
	s_and_saveexec_b32 s22, s20
	s_cbranch_execz .LBB1745_447
.LBB1745_483:                           ;   in Loop: Header=BB1745_394 Depth=2
	ds_load_u16 v103, v47 offset:4096
	s_wait_dscnt 0x0
	v_cmp_ne_u16_e64 s21, 0x8000, v103
	s_wait_alu 0xf1ff
	s_delay_alu instid0(VALU_DEP_1) | instskip(SKIP_1) | instid1(VALU_DEP_2)
	v_cndmask_b32_e64 v2, 0x7fff, v103, s21
	v_cmp_gt_i16_e64 s21, 0, v103
	v_and_b32_e32 v2, 0xffff, v2
	s_wait_alu 0xf1ff
	s_delay_alu instid0(VALU_DEP_2) | instskip(NEXT) | instid1(VALU_DEP_2)
	v_cndmask_b32_e64 v105, 0x7fff, 0, s21
	v_lshrrev_b32_e32 v2, s45, v2
	s_delay_alu instid0(VALU_DEP_1) | instskip(NEXT) | instid1(VALU_DEP_1)
	v_and_b32_e32 v2, s42, v2
	v_lshlrev_b32_e32 v2, 2, v2
	ds_load_b32 v2, v2
	s_wait_dscnt 0x0
	v_add_nc_u32_e32 v2, v2, v36
	s_delay_alu instid0(VALU_DEP_1) | instskip(SKIP_1) | instid1(VALU_DEP_2)
	v_lshlrev_b64_e32 v[20:21], 1, v[2:3]
	v_xor_b32_e32 v2, v105, v103
	v_add_co_u32 v20, s21, s38, v20
	s_wait_alu 0xf1ff
	s_delay_alu instid0(VALU_DEP_3)
	v_add_co_ci_u32_e64 v21, null, s39, v21, s21
	global_store_b16 v[20:21], v2, off
	s_wait_alu 0xfffe
	s_or_b32 exec_lo, exec_lo, s22
	v_cmp_lt_u32_e64 s21, v37, v101
	s_and_saveexec_b32 s48, s21
	s_cbranch_execnz .LBB1745_448
	s_branch .LBB1745_449
.LBB1745_484:                           ;   in Loop: Header=BB1745_394 Depth=2
	global_load_b64 v[18:19], v[20:21], off
	s_wait_alu 0xfffe
	s_or_b32 exec_lo, exec_lo, s22
	s_delay_alu instid0(SALU_CYCLE_1)
	s_mov_b32 s30, exec_lo
	v_cmpx_lt_u32_e64 v70, v101
	s_cbranch_execz .LBB1745_451
.LBB1745_485:                           ;   in Loop: Header=BB1745_394 Depth=2
	global_load_b64 v[16:17], v[20:21], off offset:256
	s_wait_alu 0xfffe
	s_or_b32 exec_lo, exec_lo, s30
	s_delay_alu instid0(SALU_CYCLE_1)
	s_mov_b32 s30, exec_lo
	v_cmpx_lt_u32_e64 v71, v101
	s_cbranch_execz .LBB1745_452
.LBB1745_486:                           ;   in Loop: Header=BB1745_394 Depth=2
	global_load_b64 v[14:15], v[20:21], off offset:512
	s_wait_alu 0xfffe
	s_or_b32 exec_lo, exec_lo, s30
	s_delay_alu instid0(SALU_CYCLE_1)
	s_mov_b32 s30, exec_lo
	v_cmpx_lt_u32_e64 v72, v101
	s_cbranch_execz .LBB1745_453
.LBB1745_487:                           ;   in Loop: Header=BB1745_394 Depth=2
	global_load_b64 v[12:13], v[20:21], off offset:768
	s_wait_alu 0xfffe
	s_or_b32 exec_lo, exec_lo, s30
	s_delay_alu instid0(SALU_CYCLE_1)
	s_mov_b32 s30, exec_lo
	v_cmpx_lt_u32_e64 v73, v101
	s_cbranch_execz .LBB1745_454
.LBB1745_488:                           ;   in Loop: Header=BB1745_394 Depth=2
	global_load_b64 v[10:11], v[20:21], off offset:1024
	s_wait_alu 0xfffe
	s_or_b32 exec_lo, exec_lo, s30
	s_delay_alu instid0(SALU_CYCLE_1)
	s_mov_b32 s30, exec_lo
	v_cmpx_lt_u32_e64 v74, v101
	s_cbranch_execz .LBB1745_455
.LBB1745_489:                           ;   in Loop: Header=BB1745_394 Depth=2
	global_load_b64 v[8:9], v[20:21], off offset:1280
	s_wait_alu 0xfffe
	s_or_b32 exec_lo, exec_lo, s30
	s_delay_alu instid0(SALU_CYCLE_1)
	s_mov_b32 s30, exec_lo
	v_cmpx_lt_u32_e64 v75, v101
	s_cbranch_execz .LBB1745_456
.LBB1745_490:                           ;   in Loop: Header=BB1745_394 Depth=2
	global_load_b64 v[6:7], v[20:21], off offset:1536
	s_wait_alu 0xfffe
	s_or_b32 exec_lo, exec_lo, s30
	s_delay_alu instid0(SALU_CYCLE_1)
	s_mov_b32 s30, exec_lo
	v_cmpx_lt_u32_e64 v76, v101
	s_cbranch_execz .LBB1745_457
.LBB1745_491:                           ;   in Loop: Header=BB1745_394 Depth=2
	global_load_b64 v[4:5], v[20:21], off offset:1792
	s_wait_alu 0xfffe
	s_or_b32 exec_lo, exec_lo, s30
	s_and_saveexec_b32 s30, vcc_lo
	s_cbranch_execz .LBB1745_458
.LBB1745_492:                           ;   in Loop: Header=BB1745_394 Depth=2
	ds_load_u16 v2, v47 offset:1024
	s_wait_dscnt 0x0
	v_cmp_ne_u16_e64 s22, 0x8000, v2
	s_wait_alu 0xf1ff
	s_delay_alu instid0(VALU_DEP_1) | instskip(NEXT) | instid1(VALU_DEP_1)
	v_cndmask_b32_e64 v2, 0x7fff, v2, s22
	v_and_b32_e32 v2, 0xffff, v2
	s_delay_alu instid0(VALU_DEP_1) | instskip(NEXT) | instid1(VALU_DEP_1)
	v_lshrrev_b32_e32 v2, s45, v2
	v_and_b32_e32 v100, s42, v2
	s_wait_alu 0xfffe
	s_or_b32 exec_lo, exec_lo, s30
	s_and_saveexec_b32 s30, s15
	s_cbranch_execz .LBB1745_459
.LBB1745_493:                           ;   in Loop: Header=BB1745_394 Depth=2
	ds_load_u16 v2, v47 offset:1536
	s_wait_dscnt 0x0
	v_cmp_ne_u16_e64 s22, 0x8000, v2
	s_wait_alu 0xf1ff
	s_delay_alu instid0(VALU_DEP_1) | instskip(NEXT) | instid1(VALU_DEP_1)
	v_cndmask_b32_e64 v2, 0x7fff, v2, s22
	v_and_b32_e32 v2, 0xffff, v2
	s_delay_alu instid0(VALU_DEP_1) | instskip(NEXT) | instid1(VALU_DEP_1)
	v_lshrrev_b32_e32 v2, s45, v2
	v_and_b32_e32 v99, s42, v2
	s_wait_alu 0xfffe
	s_or_b32 exec_lo, exec_lo, s30
	s_and_saveexec_b32 s30, s16
	s_cbranch_execz .LBB1745_460
.LBB1745_494:                           ;   in Loop: Header=BB1745_394 Depth=2
	ds_load_u16 v2, v47 offset:2048
	s_wait_dscnt 0x0
	v_cmp_ne_u16_e64 s22, 0x8000, v2
	s_wait_alu 0xf1ff
	s_delay_alu instid0(VALU_DEP_1) | instskip(NEXT) | instid1(VALU_DEP_1)
	v_cndmask_b32_e64 v2, 0x7fff, v2, s22
	v_and_b32_e32 v2, 0xffff, v2
	s_delay_alu instid0(VALU_DEP_1) | instskip(NEXT) | instid1(VALU_DEP_1)
	v_lshrrev_b32_e32 v2, s45, v2
	v_and_b32_e32 v98, s42, v2
	s_wait_alu 0xfffe
	s_or_b32 exec_lo, exec_lo, s30
	s_and_saveexec_b32 s30, s17
	s_cbranch_execz .LBB1745_461
.LBB1745_495:                           ;   in Loop: Header=BB1745_394 Depth=2
	ds_load_u16 v2, v47 offset:2560
	s_wait_dscnt 0x0
	v_cmp_ne_u16_e64 s22, 0x8000, v2
	s_wait_alu 0xf1ff
	s_delay_alu instid0(VALU_DEP_1) | instskip(NEXT) | instid1(VALU_DEP_1)
	v_cndmask_b32_e64 v2, 0x7fff, v2, s22
	v_and_b32_e32 v2, 0xffff, v2
	s_delay_alu instid0(VALU_DEP_1) | instskip(NEXT) | instid1(VALU_DEP_1)
	v_lshrrev_b32_e32 v2, s45, v2
	v_and_b32_e32 v97, s42, v2
	s_wait_alu 0xfffe
	s_or_b32 exec_lo, exec_lo, s30
	s_and_saveexec_b32 s30, s18
	s_cbranch_execz .LBB1745_462
.LBB1745_496:                           ;   in Loop: Header=BB1745_394 Depth=2
	ds_load_u16 v2, v47 offset:3072
	s_wait_dscnt 0x0
	v_cmp_ne_u16_e64 s22, 0x8000, v2
	s_wait_alu 0xf1ff
	s_delay_alu instid0(VALU_DEP_1) | instskip(NEXT) | instid1(VALU_DEP_1)
	v_cndmask_b32_e64 v2, 0x7fff, v2, s22
	v_and_b32_e32 v2, 0xffff, v2
	s_delay_alu instid0(VALU_DEP_1) | instskip(NEXT) | instid1(VALU_DEP_1)
	v_lshrrev_b32_e32 v2, s45, v2
	v_and_b32_e32 v96, s42, v2
	s_wait_alu 0xfffe
	s_or_b32 exec_lo, exec_lo, s30
	s_and_saveexec_b32 s30, s19
	s_cbranch_execz .LBB1745_463
.LBB1745_497:                           ;   in Loop: Header=BB1745_394 Depth=2
	ds_load_u16 v2, v47 offset:3584
	s_wait_dscnt 0x0
	v_cmp_ne_u16_e64 s22, 0x8000, v2
	s_wait_alu 0xf1ff
	s_delay_alu instid0(VALU_DEP_1) | instskip(NEXT) | instid1(VALU_DEP_1)
	v_cndmask_b32_e64 v2, 0x7fff, v2, s22
	v_and_b32_e32 v2, 0xffff, v2
	s_delay_alu instid0(VALU_DEP_1) | instskip(NEXT) | instid1(VALU_DEP_1)
	v_lshrrev_b32_e32 v2, s45, v2
	v_and_b32_e32 v95, s42, v2
	s_wait_alu 0xfffe
	s_or_b32 exec_lo, exec_lo, s30
	s_and_saveexec_b32 s30, s20
	s_cbranch_execz .LBB1745_464
.LBB1745_498:                           ;   in Loop: Header=BB1745_394 Depth=2
	ds_load_u16 v2, v47 offset:4096
	s_wait_dscnt 0x0
	v_cmp_ne_u16_e64 s22, 0x8000, v2
	s_wait_alu 0xf1ff
	s_delay_alu instid0(VALU_DEP_1) | instskip(NEXT) | instid1(VALU_DEP_1)
	v_cndmask_b32_e64 v2, 0x7fff, v2, s22
	v_and_b32_e32 v2, 0xffff, v2
	s_delay_alu instid0(VALU_DEP_1) | instskip(NEXT) | instid1(VALU_DEP_1)
	v_lshrrev_b32_e32 v2, s45, v2
	v_and_b32_e32 v94, s42, v2
	s_wait_alu 0xfffe
	s_or_b32 exec_lo, exec_lo, s30
	s_and_saveexec_b32 s30, s21
	s_cbranch_execnz .LBB1745_465
	s_branch .LBB1745_466
.LBB1745_499:                           ;   in Loop: Header=BB1745_394 Depth=2
	v_lshlrev_b32_e32 v2, 2, v100
	v_add_nc_u32_e32 v20, v47, v48
	ds_load_b32 v2, v2
	ds_load_b64 v[20:21], v20 offset:1024
	s_wait_dscnt 0x1
	v_add_nc_u32_e32 v2, v2, v1
	s_delay_alu instid0(VALU_DEP_1) | instskip(NEXT) | instid1(VALU_DEP_1)
	v_lshlrev_b64_e32 v[23:24], 3, v[2:3]
	v_add_co_u32 v23, vcc_lo, s24, v23
	s_wait_alu 0xfffd
	s_delay_alu instid0(VALU_DEP_2)
	v_add_co_ci_u32_e64 v24, null, s25, v24, vcc_lo
	s_wait_dscnt 0x0
	global_store_b64 v[23:24], v[20:21], off
	s_wait_alu 0xfffe
	s_or_b32 exec_lo, exec_lo, s22
	s_and_saveexec_b32 s22, s15
	s_cbranch_execz .LBB1745_468
.LBB1745_500:                           ;   in Loop: Header=BB1745_394 Depth=2
	v_lshlrev_b32_e32 v2, 2, v99
	v_add_nc_u32_e32 v20, v47, v48
	ds_load_b32 v2, v2
	ds_load_b64 v[20:21], v20 offset:3072
	s_wait_dscnt 0x1
	v_add_nc_u32_e32 v2, v2, v29
	s_delay_alu instid0(VALU_DEP_1) | instskip(NEXT) | instid1(VALU_DEP_1)
	v_lshlrev_b64_e32 v[23:24], 3, v[2:3]
	v_add_co_u32 v23, vcc_lo, s24, v23
	s_wait_alu 0xfffd
	s_delay_alu instid0(VALU_DEP_2)
	v_add_co_ci_u32_e64 v24, null, s25, v24, vcc_lo
	s_wait_dscnt 0x0
	global_store_b64 v[23:24], v[20:21], off
	s_wait_alu 0xfffe
	s_or_b32 exec_lo, exec_lo, s22
	s_and_saveexec_b32 s15, s16
	s_cbranch_execz .LBB1745_469
.LBB1745_501:                           ;   in Loop: Header=BB1745_394 Depth=2
	v_lshlrev_b32_e32 v2, 2, v98
	v_add_nc_u32_e32 v20, v47, v48
	ds_load_b32 v2, v2
	ds_load_b64 v[20:21], v20 offset:5120
	s_wait_dscnt 0x1
	v_add_nc_u32_e32 v2, v2, v30
	s_delay_alu instid0(VALU_DEP_1) | instskip(NEXT) | instid1(VALU_DEP_1)
	v_lshlrev_b64_e32 v[23:24], 3, v[2:3]
	v_add_co_u32 v23, vcc_lo, s24, v23
	s_wait_alu 0xfffd
	s_delay_alu instid0(VALU_DEP_2)
	v_add_co_ci_u32_e64 v24, null, s25, v24, vcc_lo
	s_wait_dscnt 0x0
	global_store_b64 v[23:24], v[20:21], off
	s_wait_alu 0xfffe
	s_or_b32 exec_lo, exec_lo, s15
	s_and_saveexec_b32 s15, s17
	s_cbranch_execz .LBB1745_470
.LBB1745_502:                           ;   in Loop: Header=BB1745_394 Depth=2
	v_lshlrev_b32_e32 v2, 2, v97
	v_add_nc_u32_e32 v20, v47, v48
	ds_load_b32 v2, v2
	ds_load_b64 v[20:21], v20 offset:7168
	s_wait_dscnt 0x1
	v_add_nc_u32_e32 v2, v2, v31
	s_delay_alu instid0(VALU_DEP_1) | instskip(NEXT) | instid1(VALU_DEP_1)
	v_lshlrev_b64_e32 v[23:24], 3, v[2:3]
	v_add_co_u32 v23, vcc_lo, s24, v23
	s_wait_alu 0xfffd
	s_delay_alu instid0(VALU_DEP_2)
	v_add_co_ci_u32_e64 v24, null, s25, v24, vcc_lo
	s_wait_dscnt 0x0
	global_store_b64 v[23:24], v[20:21], off
	s_wait_alu 0xfffe
	s_or_b32 exec_lo, exec_lo, s15
	s_and_saveexec_b32 s15, s18
	s_cbranch_execz .LBB1745_471
.LBB1745_503:                           ;   in Loop: Header=BB1745_394 Depth=2
	v_lshlrev_b32_e32 v2, 2, v96
	v_add_nc_u32_e32 v20, v47, v48
	ds_load_b32 v2, v2
	ds_load_b64 v[20:21], v20 offset:9216
	s_wait_dscnt 0x1
	v_add_nc_u32_e32 v2, v2, v34
	s_delay_alu instid0(VALU_DEP_1) | instskip(NEXT) | instid1(VALU_DEP_1)
	v_lshlrev_b64_e32 v[23:24], 3, v[2:3]
	v_add_co_u32 v23, vcc_lo, s24, v23
	s_wait_alu 0xfffd
	s_delay_alu instid0(VALU_DEP_2)
	v_add_co_ci_u32_e64 v24, null, s25, v24, vcc_lo
	s_wait_dscnt 0x0
	global_store_b64 v[23:24], v[20:21], off
	s_wait_alu 0xfffe
	s_or_b32 exec_lo, exec_lo, s15
	s_and_saveexec_b32 s15, s19
	s_cbranch_execz .LBB1745_472
.LBB1745_504:                           ;   in Loop: Header=BB1745_394 Depth=2
	v_lshlrev_b32_e32 v2, 2, v95
	v_add_nc_u32_e32 v20, v47, v48
	ds_load_b32 v2, v2
	ds_load_b64 v[20:21], v20 offset:11264
	s_wait_dscnt 0x1
	v_add_nc_u32_e32 v2, v2, v35
	s_delay_alu instid0(VALU_DEP_1) | instskip(NEXT) | instid1(VALU_DEP_1)
	v_lshlrev_b64_e32 v[23:24], 3, v[2:3]
	v_add_co_u32 v23, vcc_lo, s24, v23
	s_wait_alu 0xfffd
	s_delay_alu instid0(VALU_DEP_2)
	v_add_co_ci_u32_e64 v24, null, s25, v24, vcc_lo
	s_wait_dscnt 0x0
	global_store_b64 v[23:24], v[20:21], off
	s_wait_alu 0xfffe
	s_or_b32 exec_lo, exec_lo, s15
	s_and_saveexec_b32 s15, s20
	s_cbranch_execz .LBB1745_473
.LBB1745_505:                           ;   in Loop: Header=BB1745_394 Depth=2
	v_lshlrev_b32_e32 v2, 2, v94
	v_add_nc_u32_e32 v20, v47, v48
	ds_load_b32 v2, v2
	ds_load_b64 v[20:21], v20 offset:13312
	s_wait_dscnt 0x1
	v_add_nc_u32_e32 v2, v2, v36
	s_delay_alu instid0(VALU_DEP_1) | instskip(NEXT) | instid1(VALU_DEP_1)
	v_lshlrev_b64_e32 v[23:24], 3, v[2:3]
	v_add_co_u32 v23, vcc_lo, s24, v23
	s_wait_alu 0xfffd
	s_delay_alu instid0(VALU_DEP_2)
	v_add_co_ci_u32_e64 v24, null, s25, v24, vcc_lo
	s_wait_dscnt 0x0
	global_store_b64 v[23:24], v[20:21], off
	s_wait_alu 0xfffe
	s_or_b32 exec_lo, exec_lo, s15
	s_and_saveexec_b32 s15, s21
	s_cbranch_execnz .LBB1745_474
	s_branch .LBB1745_475
.LBB1745_506:                           ;   in Loop: Header=BB1745_12 Depth=1
	s_wait_loadcnt_dscnt 0x0
	s_barrier_signal -1
	s_mov_b32 s0, 0
	s_barrier_wait -1
.LBB1745_507:                           ;   in Loop: Header=BB1745_12 Depth=1
	s_wait_alu 0xfffe
	s_and_b32 vcc_lo, exec_lo, s0
	s_wait_alu 0xfffe
	s_cbranch_vccz .LBB1745_11
; %bb.508:                              ;   in Loop: Header=BB1745_12 Depth=1
	s_mov_b32 s9, s47
	s_mov_b32 s30, s33
	s_barrier_signal -1
	s_barrier_wait -1
	global_inv scope:SCOPE_SE
                                        ; implicit-def: $vgpr2
                                        ; implicit-def: $vgpr4
                                        ; implicit-def: $vgpr5
                                        ; implicit-def: $vgpr6
                                        ; implicit-def: $vgpr7
                                        ; implicit-def: $vgpr8
                                        ; implicit-def: $vgpr9
                                        ; implicit-def: $vgpr10
	s_branch .LBB1745_510
.LBB1745_509:                           ;   in Loop: Header=BB1745_510 Depth=2
	s_wait_alu 0xfffe
	s_or_b32 exec_lo, exec_lo, s0
	s_addk_co_i32 s9, 0xf800
	s_cmp_ge_u32 s10, s34
	s_mov_b32 s30, s10
	s_cbranch_scc1 .LBB1745_546
.LBB1745_510:                           ;   Parent Loop BB1745_12 Depth=1
                                        ; =>  This Inner Loop Header: Depth=2
	s_wait_alu 0xfffe
	s_add_co_i32 s10, s30, 0x800
	s_mov_b32 s0, -1
	s_wait_alu 0xfffe
	s_cmp_gt_u32 s10, s34
                                        ; implicit-def: $vgpr11
                                        ; implicit-def: $vgpr12
                                        ; implicit-def: $vgpr13
                                        ; implicit-def: $vgpr14
                                        ; implicit-def: $vgpr15
                                        ; implicit-def: $vgpr16
                                        ; implicit-def: $vgpr17
                                        ; implicit-def: $vgpr18
	s_cbranch_scc1 .LBB1745_512
; %bb.511:                              ;   in Loop: Header=BB1745_510 Depth=2
	s_lshl_b64 s[0:1], s[30:31], 1
	s_wait_alu 0xfffe
	v_add_co_u32 v18, vcc_lo, v55, s0
	s_wait_alu 0xfffd
	v_add_co_ci_u32_e64 v19, null, s1, v56, vcc_lo
	s_mov_b32 s0, 0
	s_clause 0x7
	global_load_u16 v11, v[18:19], off
	global_load_u16 v12, v[18:19], off offset:512
	global_load_u16 v13, v[18:19], off offset:1024
	;; [unrolled: 1-line block ×7, first 2 shown]
.LBB1745_512:                           ;   in Loop: Header=BB1745_510 Depth=2
	s_wait_alu 0xfffe
	s_and_not1_b32 vcc_lo, exec_lo, s0
	s_movk_i32 s0, 0x800
	s_wait_alu 0xfffe
	s_cbranch_vccnz .LBB1745_523
; %bb.513:                              ;   in Loop: Header=BB1745_510 Depth=2
	s_lshl_b64 s[0:1], s[30:31], 1
	s_mov_b32 s11, exec_lo
	s_wait_alu 0xfffe
	s_add_nc_u64 s[0:1], s[36:37], s[0:1]
	v_cmpx_gt_u32_e64 s9, v1
	s_cbranch_execnz .LBB1745_539
; %bb.514:                              ;   in Loop: Header=BB1745_510 Depth=2
	s_or_b32 exec_lo, exec_lo, s11
	s_delay_alu instid0(SALU_CYCLE_1)
	s_mov_b32 s11, exec_lo
	v_cmpx_gt_u32_e64 s9, v29
	s_cbranch_execnz .LBB1745_540
.LBB1745_515:                           ;   in Loop: Header=BB1745_510 Depth=2
	s_wait_alu 0xfffe
	s_or_b32 exec_lo, exec_lo, s11
	s_delay_alu instid0(SALU_CYCLE_1)
	s_mov_b32 s11, exec_lo
	v_cmpx_gt_u32_e64 s9, v30
	s_cbranch_execnz .LBB1745_541
.LBB1745_516:                           ;   in Loop: Header=BB1745_510 Depth=2
	s_wait_alu 0xfffe
	s_or_b32 exec_lo, exec_lo, s11
	s_delay_alu instid0(SALU_CYCLE_1)
	s_mov_b32 s11, exec_lo
	v_cmpx_gt_u32_e64 s9, v31
	s_cbranch_execnz .LBB1745_542
.LBB1745_517:                           ;   in Loop: Header=BB1745_510 Depth=2
	s_wait_alu 0xfffe
	s_or_b32 exec_lo, exec_lo, s11
	s_delay_alu instid0(SALU_CYCLE_1)
	s_mov_b32 s11, exec_lo
	v_cmpx_gt_u32_e64 s9, v34
	s_cbranch_execnz .LBB1745_543
.LBB1745_518:                           ;   in Loop: Header=BB1745_510 Depth=2
	s_wait_alu 0xfffe
	s_or_b32 exec_lo, exec_lo, s11
	s_delay_alu instid0(SALU_CYCLE_1)
	s_mov_b32 s11, exec_lo
	v_cmpx_gt_u32_e64 s9, v35
	s_cbranch_execnz .LBB1745_544
.LBB1745_519:                           ;   in Loop: Header=BB1745_510 Depth=2
	s_wait_alu 0xfffe
	s_or_b32 exec_lo, exec_lo, s11
	s_delay_alu instid0(SALU_CYCLE_1)
	s_mov_b32 s11, exec_lo
	v_cmpx_gt_u32_e64 s9, v36
	s_cbranch_execnz .LBB1745_545
.LBB1745_520:                           ;   in Loop: Header=BB1745_510 Depth=2
	s_wait_alu 0xfffe
	s_or_b32 exec_lo, exec_lo, s11
	s_delay_alu instid0(SALU_CYCLE_1)
	s_mov_b32 s11, exec_lo
	v_cmpx_gt_u32_e64 s9, v37
	s_cbranch_execz .LBB1745_522
.LBB1745_521:                           ;   in Loop: Header=BB1745_510 Depth=2
	global_load_u16 v2, v82, s[0:1] offset:3584
.LBB1745_522:                           ;   in Loop: Header=BB1745_510 Depth=2
	s_wait_alu 0xfffe
	s_or_b32 exec_lo, exec_lo, s11
	s_wait_loadcnt 0x0
	v_dual_mov_b32 v11, v10 :: v_dual_mov_b32 v12, v9
	v_dual_mov_b32 v13, v8 :: v_dual_mov_b32 v14, v7
	;; [unrolled: 1-line block ×4, first 2 shown]
	s_mov_b32 s0, s9
.LBB1745_523:                           ;   in Loop: Header=BB1745_510 Depth=2
	s_wait_loadcnt 0x0
	s_delay_alu instid0(VALU_DEP_1) | instskip(NEXT) | instid1(VALU_DEP_2)
	v_dual_mov_b32 v2, v18 :: v_dual_mov_b32 v5, v16
	v_dual_mov_b32 v4, v17 :: v_dual_mov_b32 v7, v14
	;; [unrolled: 1-line block ×3, first 2 shown]
	v_mov_b32_e32 v8, v13
	v_mov_b32_e32 v10, v11
	s_mov_b32 s1, exec_lo
	s_wait_alu 0xfffe
	v_cmpx_gt_u32_e64 s0, v1
	s_cbranch_execnz .LBB1745_531
; %bb.524:                              ;   in Loop: Header=BB1745_510 Depth=2
	s_or_b32 exec_lo, exec_lo, s1
	s_delay_alu instid0(SALU_CYCLE_1)
	s_mov_b32 s1, exec_lo
	v_cmpx_gt_u32_e64 s0, v29
	s_cbranch_execnz .LBB1745_532
.LBB1745_525:                           ;   in Loop: Header=BB1745_510 Depth=2
	s_wait_alu 0xfffe
	s_or_b32 exec_lo, exec_lo, s1
	s_delay_alu instid0(SALU_CYCLE_1)
	s_mov_b32 s1, exec_lo
	v_cmpx_gt_u32_e64 s0, v30
	s_cbranch_execnz .LBB1745_533
.LBB1745_526:                           ;   in Loop: Header=BB1745_510 Depth=2
	s_wait_alu 0xfffe
	s_or_b32 exec_lo, exec_lo, s1
	s_delay_alu instid0(SALU_CYCLE_1)
	s_mov_b32 s1, exec_lo
	v_cmpx_gt_u32_e64 s0, v31
	s_cbranch_execnz .LBB1745_534
.LBB1745_527:                           ;   in Loop: Header=BB1745_510 Depth=2
	s_wait_alu 0xfffe
	s_or_b32 exec_lo, exec_lo, s1
	s_delay_alu instid0(SALU_CYCLE_1)
	s_mov_b32 s1, exec_lo
	v_cmpx_gt_u32_e64 s0, v34
	s_cbranch_execnz .LBB1745_535
.LBB1745_528:                           ;   in Loop: Header=BB1745_510 Depth=2
	s_wait_alu 0xfffe
	s_or_b32 exec_lo, exec_lo, s1
	s_delay_alu instid0(SALU_CYCLE_1)
	s_mov_b32 s1, exec_lo
	v_cmpx_gt_u32_e64 s0, v35
	s_cbranch_execnz .LBB1745_536
.LBB1745_529:                           ;   in Loop: Header=BB1745_510 Depth=2
	s_wait_alu 0xfffe
	s_or_b32 exec_lo, exec_lo, s1
	s_delay_alu instid0(SALU_CYCLE_1)
	s_mov_b32 s1, exec_lo
	v_cmpx_gt_u32_e64 s0, v36
	s_cbranch_execnz .LBB1745_537
.LBB1745_530:                           ;   in Loop: Header=BB1745_510 Depth=2
	s_wait_alu 0xfffe
	s_or_b32 exec_lo, exec_lo, s1
	v_cmp_gt_u32_e32 vcc_lo, s0, v37
	s_and_saveexec_b32 s0, vcc_lo
	s_cbranch_execz .LBB1745_509
	s_branch .LBB1745_538
.LBB1745_531:                           ;   in Loop: Header=BB1745_510 Depth=2
	v_cmp_gt_i16_e32 vcc_lo, 0, v10
	s_wait_alu 0xfffd
	v_cndmask_b32_e64 v11, 0x7fff, 0, vcc_lo
	s_delay_alu instid0(VALU_DEP_1) | instskip(NEXT) | instid1(VALU_DEP_1)
	v_xor_b32_e32 v11, v11, v10
	v_cmp_ne_u16_e32 vcc_lo, 0x8000, v11
	s_wait_alu 0xfffd
	v_cndmask_b32_e32 v11, 0x7fff, v11, vcc_lo
	s_delay_alu instid0(VALU_DEP_1) | instskip(NEXT) | instid1(VALU_DEP_1)
	v_and_b32_e32 v11, 0xffff, v11
	v_lshrrev_b32_e32 v11, s45, v11
	s_delay_alu instid0(VALU_DEP_1) | instskip(NEXT) | instid1(VALU_DEP_1)
	v_and_b32_e32 v11, s42, v11
	v_lshl_or_b32 v11, v11, 4, v39
	ds_add_u32 v11, v62
	s_or_b32 exec_lo, exec_lo, s1
	s_delay_alu instid0(SALU_CYCLE_1)
	s_mov_b32 s1, exec_lo
	v_cmpx_gt_u32_e64 s0, v29
	s_cbranch_execz .LBB1745_525
.LBB1745_532:                           ;   in Loop: Header=BB1745_510 Depth=2
	v_cmp_gt_i16_e32 vcc_lo, 0, v9
	s_wait_alu 0xfffd
	v_cndmask_b32_e64 v11, 0x7fff, 0, vcc_lo
	s_delay_alu instid0(VALU_DEP_1) | instskip(NEXT) | instid1(VALU_DEP_1)
	v_xor_b32_e32 v11, v11, v9
	v_cmp_ne_u16_e32 vcc_lo, 0x8000, v11
	s_wait_alu 0xfffd
	v_cndmask_b32_e32 v11, 0x7fff, v11, vcc_lo
	s_delay_alu instid0(VALU_DEP_1) | instskip(NEXT) | instid1(VALU_DEP_1)
	v_and_b32_e32 v11, 0xffff, v11
	v_lshrrev_b32_e32 v11, s45, v11
	s_delay_alu instid0(VALU_DEP_1) | instskip(NEXT) | instid1(VALU_DEP_1)
	v_and_b32_e32 v11, s42, v11
	v_lshl_or_b32 v11, v11, 4, v39
	ds_add_u32 v11, v62
	s_wait_alu 0xfffe
	s_or_b32 exec_lo, exec_lo, s1
	s_delay_alu instid0(SALU_CYCLE_1)
	s_mov_b32 s1, exec_lo
	v_cmpx_gt_u32_e64 s0, v30
	s_cbranch_execz .LBB1745_526
.LBB1745_533:                           ;   in Loop: Header=BB1745_510 Depth=2
	v_cmp_gt_i16_e32 vcc_lo, 0, v8
	s_wait_alu 0xfffd
	v_cndmask_b32_e64 v11, 0x7fff, 0, vcc_lo
	s_delay_alu instid0(VALU_DEP_1) | instskip(NEXT) | instid1(VALU_DEP_1)
	v_xor_b32_e32 v11, v11, v8
	v_cmp_ne_u16_e32 vcc_lo, 0x8000, v11
	s_wait_alu 0xfffd
	v_cndmask_b32_e32 v11, 0x7fff, v11, vcc_lo
	s_delay_alu instid0(VALU_DEP_1) | instskip(NEXT) | instid1(VALU_DEP_1)
	v_and_b32_e32 v11, 0xffff, v11
	v_lshrrev_b32_e32 v11, s45, v11
	s_delay_alu instid0(VALU_DEP_1) | instskip(NEXT) | instid1(VALU_DEP_1)
	v_and_b32_e32 v11, s42, v11
	v_lshl_or_b32 v11, v11, 4, v39
	ds_add_u32 v11, v62
	s_wait_alu 0xfffe
	s_or_b32 exec_lo, exec_lo, s1
	s_delay_alu instid0(SALU_CYCLE_1)
	s_mov_b32 s1, exec_lo
	v_cmpx_gt_u32_e64 s0, v31
	s_cbranch_execz .LBB1745_527
.LBB1745_534:                           ;   in Loop: Header=BB1745_510 Depth=2
	v_cmp_gt_i16_e32 vcc_lo, 0, v7
	s_wait_alu 0xfffd
	v_cndmask_b32_e64 v11, 0x7fff, 0, vcc_lo
	s_delay_alu instid0(VALU_DEP_1) | instskip(NEXT) | instid1(VALU_DEP_1)
	v_xor_b32_e32 v11, v11, v7
	v_cmp_ne_u16_e32 vcc_lo, 0x8000, v11
	s_wait_alu 0xfffd
	v_cndmask_b32_e32 v11, 0x7fff, v11, vcc_lo
	s_delay_alu instid0(VALU_DEP_1) | instskip(NEXT) | instid1(VALU_DEP_1)
	v_and_b32_e32 v11, 0xffff, v11
	v_lshrrev_b32_e32 v11, s45, v11
	s_delay_alu instid0(VALU_DEP_1) | instskip(NEXT) | instid1(VALU_DEP_1)
	v_and_b32_e32 v11, s42, v11
	v_lshl_or_b32 v11, v11, 4, v39
	ds_add_u32 v11, v62
	s_wait_alu 0xfffe
	s_or_b32 exec_lo, exec_lo, s1
	s_delay_alu instid0(SALU_CYCLE_1)
	s_mov_b32 s1, exec_lo
	v_cmpx_gt_u32_e64 s0, v34
	s_cbranch_execz .LBB1745_528
.LBB1745_535:                           ;   in Loop: Header=BB1745_510 Depth=2
	v_cmp_gt_i16_e32 vcc_lo, 0, v6
	s_wait_alu 0xfffd
	v_cndmask_b32_e64 v11, 0x7fff, 0, vcc_lo
	s_delay_alu instid0(VALU_DEP_1) | instskip(NEXT) | instid1(VALU_DEP_1)
	v_xor_b32_e32 v11, v11, v6
	v_cmp_ne_u16_e32 vcc_lo, 0x8000, v11
	s_wait_alu 0xfffd
	v_cndmask_b32_e32 v11, 0x7fff, v11, vcc_lo
	s_delay_alu instid0(VALU_DEP_1) | instskip(NEXT) | instid1(VALU_DEP_1)
	v_and_b32_e32 v11, 0xffff, v11
	v_lshrrev_b32_e32 v11, s45, v11
	s_delay_alu instid0(VALU_DEP_1) | instskip(NEXT) | instid1(VALU_DEP_1)
	v_and_b32_e32 v11, s42, v11
	v_lshl_or_b32 v11, v11, 4, v39
	ds_add_u32 v11, v62
	s_wait_alu 0xfffe
	s_or_b32 exec_lo, exec_lo, s1
	s_delay_alu instid0(SALU_CYCLE_1)
	s_mov_b32 s1, exec_lo
	v_cmpx_gt_u32_e64 s0, v35
	s_cbranch_execz .LBB1745_529
.LBB1745_536:                           ;   in Loop: Header=BB1745_510 Depth=2
	v_cmp_gt_i16_e32 vcc_lo, 0, v5
	s_wait_alu 0xfffd
	v_cndmask_b32_e64 v11, 0x7fff, 0, vcc_lo
	s_delay_alu instid0(VALU_DEP_1) | instskip(NEXT) | instid1(VALU_DEP_1)
	v_xor_b32_e32 v11, v11, v5
	v_cmp_ne_u16_e32 vcc_lo, 0x8000, v11
	s_wait_alu 0xfffd
	v_cndmask_b32_e32 v11, 0x7fff, v11, vcc_lo
	s_delay_alu instid0(VALU_DEP_1) | instskip(NEXT) | instid1(VALU_DEP_1)
	v_and_b32_e32 v11, 0xffff, v11
	v_lshrrev_b32_e32 v11, s45, v11
	s_delay_alu instid0(VALU_DEP_1) | instskip(NEXT) | instid1(VALU_DEP_1)
	v_and_b32_e32 v11, s42, v11
	v_lshl_or_b32 v11, v11, 4, v39
	ds_add_u32 v11, v62
	s_wait_alu 0xfffe
	s_or_b32 exec_lo, exec_lo, s1
	s_delay_alu instid0(SALU_CYCLE_1)
	s_mov_b32 s1, exec_lo
	v_cmpx_gt_u32_e64 s0, v36
	s_cbranch_execz .LBB1745_530
.LBB1745_537:                           ;   in Loop: Header=BB1745_510 Depth=2
	v_cmp_gt_i16_e32 vcc_lo, 0, v4
	s_wait_alu 0xfffd
	v_cndmask_b32_e64 v11, 0x7fff, 0, vcc_lo
	s_delay_alu instid0(VALU_DEP_1) | instskip(NEXT) | instid1(VALU_DEP_1)
	v_xor_b32_e32 v11, v11, v4
	v_cmp_ne_u16_e32 vcc_lo, 0x8000, v11
	s_wait_alu 0xfffd
	v_cndmask_b32_e32 v11, 0x7fff, v11, vcc_lo
	s_delay_alu instid0(VALU_DEP_1) | instskip(NEXT) | instid1(VALU_DEP_1)
	v_and_b32_e32 v11, 0xffff, v11
	v_lshrrev_b32_e32 v11, s45, v11
	s_delay_alu instid0(VALU_DEP_1) | instskip(NEXT) | instid1(VALU_DEP_1)
	v_and_b32_e32 v11, s42, v11
	v_lshl_or_b32 v11, v11, 4, v39
	ds_add_u32 v11, v62
	s_wait_alu 0xfffe
	s_or_b32 exec_lo, exec_lo, s1
	v_cmp_gt_u32_e32 vcc_lo, s0, v37
	s_and_saveexec_b32 s0, vcc_lo
	s_cbranch_execz .LBB1745_509
.LBB1745_538:                           ;   in Loop: Header=BB1745_510 Depth=2
	v_cmp_gt_i16_e32 vcc_lo, 0, v2
	s_wait_alu 0xfffd
	v_cndmask_b32_e64 v11, 0x7fff, 0, vcc_lo
	s_delay_alu instid0(VALU_DEP_1) | instskip(NEXT) | instid1(VALU_DEP_1)
	v_xor_b32_e32 v11, v11, v2
	v_cmp_ne_u16_e32 vcc_lo, 0x8000, v11
	s_wait_alu 0xfffd
	v_cndmask_b32_e32 v11, 0x7fff, v11, vcc_lo
	s_delay_alu instid0(VALU_DEP_1) | instskip(NEXT) | instid1(VALU_DEP_1)
	v_and_b32_e32 v11, 0xffff, v11
	v_lshrrev_b32_e32 v11, s45, v11
	s_delay_alu instid0(VALU_DEP_1) | instskip(NEXT) | instid1(VALU_DEP_1)
	v_and_b32_e32 v11, s42, v11
	v_lshl_or_b32 v11, v11, 4, v39
	ds_add_u32 v11, v62
	s_branch .LBB1745_509
.LBB1745_539:                           ;   in Loop: Header=BB1745_510 Depth=2
	global_load_u16 v10, v82, s[0:1]
	s_or_b32 exec_lo, exec_lo, s11
	s_delay_alu instid0(SALU_CYCLE_1)
	s_mov_b32 s11, exec_lo
	v_cmpx_gt_u32_e64 s9, v29
	s_cbranch_execz .LBB1745_515
.LBB1745_540:                           ;   in Loop: Header=BB1745_510 Depth=2
	global_load_u16 v9, v82, s[0:1] offset:512
	s_wait_alu 0xfffe
	s_or_b32 exec_lo, exec_lo, s11
	s_delay_alu instid0(SALU_CYCLE_1)
	s_mov_b32 s11, exec_lo
	v_cmpx_gt_u32_e64 s9, v30
	s_cbranch_execz .LBB1745_516
.LBB1745_541:                           ;   in Loop: Header=BB1745_510 Depth=2
	global_load_u16 v8, v82, s[0:1] offset:1024
	s_wait_alu 0xfffe
	s_or_b32 exec_lo, exec_lo, s11
	s_delay_alu instid0(SALU_CYCLE_1)
	s_mov_b32 s11, exec_lo
	v_cmpx_gt_u32_e64 s9, v31
	s_cbranch_execz .LBB1745_517
.LBB1745_542:                           ;   in Loop: Header=BB1745_510 Depth=2
	global_load_u16 v7, v82, s[0:1] offset:1536
	s_wait_alu 0xfffe
	s_or_b32 exec_lo, exec_lo, s11
	s_delay_alu instid0(SALU_CYCLE_1)
	s_mov_b32 s11, exec_lo
	v_cmpx_gt_u32_e64 s9, v34
	s_cbranch_execz .LBB1745_518
.LBB1745_543:                           ;   in Loop: Header=BB1745_510 Depth=2
	global_load_u16 v6, v82, s[0:1] offset:2048
	s_wait_alu 0xfffe
	s_or_b32 exec_lo, exec_lo, s11
	s_delay_alu instid0(SALU_CYCLE_1)
	s_mov_b32 s11, exec_lo
	v_cmpx_gt_u32_e64 s9, v35
	s_cbranch_execz .LBB1745_519
.LBB1745_544:                           ;   in Loop: Header=BB1745_510 Depth=2
	global_load_u16 v5, v82, s[0:1] offset:2560
	s_wait_alu 0xfffe
	s_or_b32 exec_lo, exec_lo, s11
	s_delay_alu instid0(SALU_CYCLE_1)
	s_mov_b32 s11, exec_lo
	v_cmpx_gt_u32_e64 s9, v36
	s_cbranch_execz .LBB1745_520
.LBB1745_545:                           ;   in Loop: Header=BB1745_510 Depth=2
	global_load_u16 v4, v82, s[0:1] offset:3072
	s_wait_alu 0xfffe
	s_or_b32 exec_lo, exec_lo, s11
	s_delay_alu instid0(SALU_CYCLE_1)
	s_mov_b32 s11, exec_lo
	v_cmpx_gt_u32_e64 s9, v37
	s_cbranch_execnz .LBB1745_521
	s_branch .LBB1745_522
.LBB1745_546:                           ;   in Loop: Header=BB1745_12 Depth=1
	v_mov_b32_e32 v2, 0
	s_wait_dscnt 0x0
	s_barrier_signal -1
	s_barrier_wait -1
	global_inv scope:SCOPE_SE
	s_and_saveexec_b32 s0, s2
	s_cbranch_execz .LBB1745_548
; %bb.547:                              ;   in Loop: Header=BB1745_12 Depth=1
	ds_load_2addr_b64 v[4:7], v40 offset1:1
	s_wait_dscnt 0x0
	v_add_nc_u32_e32 v2, v5, v4
	s_delay_alu instid0(VALU_DEP_1)
	v_add3_u32 v2, v2, v6, v7
.LBB1745_548:                           ;   in Loop: Header=BB1745_12 Depth=1
	s_wait_alu 0xfffe
	s_or_b32 exec_lo, exec_lo, s0
	s_delay_alu instid0(VALU_DEP_1)
	v_mov_b32_dpp v4, v2 row_shr:1 row_mask:0xf bank_mask:0xf
	v_cmp_eq_u32_e64 s0, 0, v63
	v_cmp_lt_u32_e64 s1, 1, v63
	v_cmp_lt_u32_e64 s9, 3, v63
	;; [unrolled: 1-line block ×3, first 2 shown]
	v_cmp_eq_u32_e64 s11, 0, v65
	s_wait_alu 0xf1ff
	v_cndmask_b32_e64 v4, v4, 0, s0
	s_delay_alu instid0(VALU_DEP_1) | instskip(NEXT) | instid1(VALU_DEP_1)
	v_add_nc_u32_e32 v2, v4, v2
	v_mov_b32_dpp v4, v2 row_shr:2 row_mask:0xf bank_mask:0xf
	s_delay_alu instid0(VALU_DEP_1) | instskip(NEXT) | instid1(VALU_DEP_1)
	v_cndmask_b32_e64 v4, 0, v4, s1
	v_add_nc_u32_e32 v2, v2, v4
	s_delay_alu instid0(VALU_DEP_1) | instskip(NEXT) | instid1(VALU_DEP_1)
	v_mov_b32_dpp v4, v2 row_shr:4 row_mask:0xf bank_mask:0xf
	v_cndmask_b32_e64 v4, 0, v4, s9
	s_delay_alu instid0(VALU_DEP_1) | instskip(NEXT) | instid1(VALU_DEP_1)
	v_add_nc_u32_e32 v2, v2, v4
	v_mov_b32_dpp v4, v2 row_shr:8 row_mask:0xf bank_mask:0xf
	s_delay_alu instid0(VALU_DEP_1) | instskip(NEXT) | instid1(VALU_DEP_1)
	v_cndmask_b32_e64 v4, 0, v4, s10
	v_add_nc_u32_e32 v2, v2, v4
	ds_swizzle_b32 v4, v2 offset:swizzle(BROADCAST,32,15)
	s_wait_dscnt 0x0
	v_and_b32_e32 v4, v64, v4
	s_delay_alu instid0(VALU_DEP_1)
	v_add_nc_u32_e32 v2, v2, v4
	s_and_saveexec_b32 s12, s3
; %bb.549:                              ;   in Loop: Header=BB1745_12 Depth=1
	ds_store_b32 v41, v2
; %bb.550:                              ;   in Loop: Header=BB1745_12 Depth=1
	s_wait_alu 0xfffe
	s_or_b32 exec_lo, exec_lo, s12
	s_wait_loadcnt_dscnt 0x0
	s_barrier_signal -1
	s_barrier_wait -1
	global_inv scope:SCOPE_SE
	s_and_saveexec_b32 s12, s4
	s_cbranch_execz .LBB1745_552
; %bb.551:                              ;   in Loop: Header=BB1745_12 Depth=1
	ds_load_b32 v4, v42
	v_cmp_ne_u32_e32 vcc_lo, 0, v67
	s_wait_dscnt 0x0
	v_mov_b32_dpp v5, v4 row_shr:1 row_mask:0xf bank_mask:0xf
	s_wait_alu 0xfffd
	s_delay_alu instid0(VALU_DEP_1) | instskip(SKIP_1) | instid1(VALU_DEP_2)
	v_cndmask_b32_e32 v5, 0, v5, vcc_lo
	v_cmp_lt_u32_e32 vcc_lo, 1, v67
	v_add_nc_u32_e32 v4, v5, v4
	s_delay_alu instid0(VALU_DEP_1) | instskip(SKIP_1) | instid1(VALU_DEP_1)
	v_mov_b32_dpp v5, v4 row_shr:2 row_mask:0xf bank_mask:0xf
	s_wait_alu 0xfffd
	v_cndmask_b32_e32 v5, 0, v5, vcc_lo
	v_cmp_lt_u32_e32 vcc_lo, 3, v67
	s_delay_alu instid0(VALU_DEP_2) | instskip(NEXT) | instid1(VALU_DEP_1)
	v_add_nc_u32_e32 v4, v4, v5
	v_mov_b32_dpp v5, v4 row_shr:4 row_mask:0xf bank_mask:0xf
	s_wait_alu 0xfffd
	s_delay_alu instid0(VALU_DEP_1) | instskip(NEXT) | instid1(VALU_DEP_1)
	v_cndmask_b32_e32 v5, 0, v5, vcc_lo
	v_add_nc_u32_e32 v4, v4, v5
	ds_store_b32 v42, v4
.LBB1745_552:                           ;   in Loop: Header=BB1745_12 Depth=1
	s_wait_alu 0xfffe
	s_or_b32 exec_lo, exec_lo, s12
	v_mov_b32_e32 v4, 0
	s_wait_loadcnt_dscnt 0x0
	s_barrier_signal -1
	s_barrier_wait -1
	global_inv scope:SCOPE_SE
	s_and_saveexec_b32 s12, s5
; %bb.553:                              ;   in Loop: Header=BB1745_12 Depth=1
	ds_load_b32 v4, v44
; %bb.554:                              ;   in Loop: Header=BB1745_12 Depth=1
	s_wait_alu 0xfffe
	s_or_b32 exec_lo, exec_lo, s12
	v_cmp_gt_i32_e32 vcc_lo, 0, v68
	s_wait_dscnt 0x0
	v_add_nc_u32_e32 v2, v4, v2
	s_wait_loadcnt 0x0
	s_barrier_signal -1
	s_barrier_wait -1
	s_wait_alu 0xfffd
	v_cndmask_b32_e32 v5, v68, v59, vcc_lo
	global_inv scope:SCOPE_SE
	v_lshlrev_b32_e32 v87, 2, v5
	ds_bpermute_b32 v2, v87, v2
	s_and_saveexec_b32 s12, s2
	s_cbranch_execz .LBB1745_556
; %bb.555:                              ;   in Loop: Header=BB1745_12 Depth=1
	s_wait_dscnt 0x0
	v_cndmask_b32_e64 v2, v2, v4, s8
	s_delay_alu instid0(VALU_DEP_1)
	v_add_nc_u32_e32 v2, s33, v2
	ds_store_b32 v28, v2
.LBB1745_556:                           ;   in Loop: Header=BB1745_12 Depth=1
	s_wait_alu 0xfffe
	s_or_b32 exec_lo, exec_lo, s12
	s_load_b64 s[12:13], s[28:29], 0x0
	v_add_co_u32 v88, vcc_lo, v57, v69
	s_wait_alu 0xfffd
	v_add_co_ci_u32_e64 v89, null, 0, v58, vcc_lo
	v_add_co_u32 v90, vcc_lo, v60, v77
	s_wait_alu 0xfffd
	v_add_co_ci_u32_e64 v91, null, 0, v61, vcc_lo
	s_mov_b32 s43, s47
                                        ; implicit-def: $vgpr6_vgpr7
                                        ; implicit-def: $vgpr8_vgpr9
                                        ; implicit-def: $vgpr10_vgpr11
                                        ; implicit-def: $vgpr12_vgpr13
                                        ; implicit-def: $vgpr14_vgpr15
                                        ; implicit-def: $vgpr16_vgpr17
                                        ; implicit-def: $vgpr18_vgpr19
                                        ; implicit-def: $vgpr93
                                        ; implicit-def: $vgpr94
                                        ; implicit-def: $vgpr95
                                        ; implicit-def: $vgpr96
                                        ; implicit-def: $vgpr97
                                        ; implicit-def: $vgpr98
                                        ; implicit-def: $vgpr99
                                        ; implicit-def: $vgpr100
	s_wait_kmcnt 0x0
	s_cmp_lt_u32 ttmp7, s13
	s_cselect_b32 s30, 14, 20
	s_cmp_lt_u32 ttmp9, s12
	s_wait_alu 0xfffe
	s_add_nc_u64 s[14:15], s[28:29], s[30:31]
	s_cselect_b32 s30, 12, 18
	s_load_u16 s14, s[14:15], 0x0
	s_add_nc_u64 s[12:13], s[28:29], s[30:31]
	s_mov_b32 s30, s33
	s_load_u16 s12, s[12:13], 0x0
	v_cmp_lt_u32_e64 s13, 1, v67
	s_wait_dscnt 0x0
	s_wait_kmcnt 0x0
	v_mad_u32_u24 v2, v45, s14, v0
	v_cmp_lt_u32_e64 s14, 3, v67
	s_delay_alu instid0(VALU_DEP_2) | instskip(SKIP_1) | instid1(VALU_DEP_2)
	v_mad_co_u64_u32 v[4:5], null, v2, s12, v[1:2]
	v_cmp_eq_u32_e64 s12, 0, v67
	v_lshrrev_b32_e32 v2, 3, v4
                                        ; implicit-def: $vgpr4_vgpr5
	s_delay_alu instid0(VALU_DEP_1)
	v_and_b32_e32 v92, 0x1ffffffc, v2
	s_branch .LBB1745_558
.LBB1745_557:                           ;   in Loop: Header=BB1745_558 Depth=2
	s_wait_alu 0xfffe
	s_or_b32 exec_lo, exec_lo, s15
	s_addk_co_i32 s43, 0xf800
	s_cmp_lt_u32 s44, s34
	s_mov_b32 s30, s44
	s_cbranch_scc0 .LBB1745_10
.LBB1745_558:                           ;   Parent Loop BB1745_12 Depth=1
                                        ; =>  This Inner Loop Header: Depth=2
	s_wait_alu 0xfffe
	s_add_co_i32 s44, s30, 0x800
	s_wait_alu 0xfffe
	s_cmp_gt_u32 s44, s34
	s_cbranch_scc1 .LBB1745_560
; %bb.559:                              ;   in Loop: Header=BB1745_558 Depth=2
	s_lshl_b64 s[16:17], s[30:31], 1
	s_mov_b32 s15, -1
	s_wait_alu 0xfffe
	v_add_co_u32 v20, vcc_lo, v90, s16
	s_wait_alu 0xfffd
	v_add_co_ci_u32_e64 v21, null, s17, v91, vcc_lo
	s_clause 0x6
	global_load_u16 v2, v[20:21], off
	global_load_u16 v27, v[20:21], off offset:64
	global_load_u16 v26, v[20:21], off offset:128
	;; [unrolled: 1-line block ×6, first 2 shown]
	s_movk_i32 s16, 0x800
	s_cbranch_execz .LBB1745_561
	s_branch .LBB1745_576
.LBB1745_560:                           ;   in Loop: Header=BB1745_558 Depth=2
	s_mov_b32 s15, 0
                                        ; implicit-def: $vgpr2
                                        ; implicit-def: $vgpr27
                                        ; implicit-def: $vgpr26
                                        ; implicit-def: $vgpr25
                                        ; implicit-def: $vgpr24
                                        ; implicit-def: $vgpr23
                                        ; implicit-def: $vgpr22
	s_movk_i32 s16, 0x800
.LBB1745_561:                           ;   in Loop: Header=BB1745_558 Depth=2
	s_lshl_b64 s[16:17], s[30:31], 1
	s_wait_loadcnt 0x5
	v_dual_mov_b32 v27, -1 :: v_dual_mov_b32 v2, -1
	s_wait_alu 0xfffe
	v_add_co_u32 v20, vcc_lo, v90, s16
	s_wait_alu 0xfffd
	v_add_co_ci_u32_e64 v21, null, s17, v91, vcc_lo
	s_mov_b32 s15, exec_lo
	v_cmpx_gt_u32_e64 s43, v66
	s_cbranch_execz .LBB1745_563
; %bb.562:                              ;   in Loop: Header=BB1745_558 Depth=2
	global_load_u16 v2, v[20:21], off
.LBB1745_563:                           ;   in Loop: Header=BB1745_558 Depth=2
	s_wait_alu 0xfffe
	s_or_b32 exec_lo, exec_lo, s15
	s_delay_alu instid0(SALU_CYCLE_1)
	s_mov_b32 s15, exec_lo
	v_cmpx_gt_u32_e64 s43, v70
	s_cbranch_execz .LBB1745_565
; %bb.564:                              ;   in Loop: Header=BB1745_558 Depth=2
	global_load_u16 v27, v[20:21], off offset:64
.LBB1745_565:                           ;   in Loop: Header=BB1745_558 Depth=2
	s_wait_alu 0xfffe
	s_or_b32 exec_lo, exec_lo, s15
	s_wait_loadcnt 0x3
	v_dual_mov_b32 v25, -1 :: v_dual_mov_b32 v26, -1
	s_mov_b32 s15, exec_lo
	v_cmpx_gt_u32_e64 s43, v71
	s_cbranch_execz .LBB1745_567
; %bb.566:                              ;   in Loop: Header=BB1745_558 Depth=2
	global_load_u16 v26, v[20:21], off offset:128
.LBB1745_567:                           ;   in Loop: Header=BB1745_558 Depth=2
	s_wait_alu 0xfffe
	s_or_b32 exec_lo, exec_lo, s15
	s_delay_alu instid0(SALU_CYCLE_1)
	s_mov_b32 s15, exec_lo
	v_cmpx_gt_u32_e64 s43, v72
	s_cbranch_execz .LBB1745_569
; %bb.568:                              ;   in Loop: Header=BB1745_558 Depth=2
	global_load_u16 v25, v[20:21], off offset:192
.LBB1745_569:                           ;   in Loop: Header=BB1745_558 Depth=2
	s_wait_alu 0xfffe
	s_or_b32 exec_lo, exec_lo, s15
	s_wait_loadcnt 0x1
	v_dual_mov_b32 v23, -1 :: v_dual_mov_b32 v24, -1
	s_mov_b32 s15, exec_lo
	v_cmpx_gt_u32_e64 s43, v73
	s_cbranch_execz .LBB1745_571
; %bb.570:                              ;   in Loop: Header=BB1745_558 Depth=2
	global_load_u16 v24, v[20:21], off offset:256
.LBB1745_571:                           ;   in Loop: Header=BB1745_558 Depth=2
	s_wait_alu 0xfffe
	s_or_b32 exec_lo, exec_lo, s15
	s_delay_alu instid0(SALU_CYCLE_1)
	s_mov_b32 s15, exec_lo
	v_cmpx_gt_u32_e64 s43, v74
	s_cbranch_execz .LBB1745_573
; %bb.572:                              ;   in Loop: Header=BB1745_558 Depth=2
	global_load_u16 v23, v[20:21], off offset:320
.LBB1745_573:                           ;   in Loop: Header=BB1745_558 Depth=2
	s_wait_alu 0xfffe
	s_or_b32 exec_lo, exec_lo, s15
	s_wait_loadcnt 0x0
	v_mov_b32_e32 v22, -1
	s_mov_b32 s15, exec_lo
	v_cmpx_gt_u32_e64 s43, v75
	s_cbranch_execz .LBB1745_575
; %bb.574:                              ;   in Loop: Header=BB1745_558 Depth=2
	global_load_u16 v22, v[20:21], off offset:384
.LBB1745_575:                           ;   in Loop: Header=BB1745_558 Depth=2
	s_wait_alu 0xfffe
	s_or_b32 exec_lo, exec_lo, s15
	v_cmp_gt_u32_e64 s15, s43, v76
	s_sub_co_i32 s16, s34, s30
.LBB1745_576:                           ;   in Loop: Header=BB1745_558 Depth=2
	v_dual_mov_b32 v20, -1 :: v_dual_mov_b32 v101, s43
	s_and_saveexec_b32 s17, s15
	s_cbranch_execz .LBB1745_578
; %bb.577:                              ;   in Loop: Header=BB1745_558 Depth=2
	s_lshl_b64 s[18:19], s[30:31], 1
	s_wait_alu 0xfffe
	v_mov_b32_e32 v101, s16
	v_add_co_u32 v20, vcc_lo, v90, s18
	s_wait_alu 0xfffd
	v_add_co_ci_u32_e64 v21, null, s19, v91, vcc_lo
	global_load_u16 v20, v[20:21], off offset:448
.LBB1745_578:                           ;   in Loop: Header=BB1745_558 Depth=2
	s_wait_alu 0xfffe
	s_or_b32 exec_lo, exec_lo, s17
	s_wait_loadcnt 0x6
	v_cmp_gt_i16_e32 vcc_lo, 0, v2
	ds_store_2addr_b32 v81, v3, v3 offset1:1
	ds_store_2addr_b32 v78, v3, v3 offset1:1
	;; [unrolled: 1-line block ×4, first 2 shown]
	ds_store_b32 v43, v3 offset:1088
	s_wait_loadcnt_dscnt 0x0
	s_barrier_signal -1
	s_wait_alu 0xfffd
	v_cndmask_b32_e64 v21, 0x7fff, 0, vcc_lo
	s_barrier_wait -1
	global_inv scope:SCOPE_SE
	; wave barrier
	v_xor_b32_e32 v2, v21, v2
	s_delay_alu instid0(VALU_DEP_1) | instskip(SKIP_2) | instid1(VALU_DEP_1)
	v_cmp_ne_u16_e32 vcc_lo, 0x8000, v2
	s_wait_alu 0xfffd
	v_cndmask_b32_e32 v21, 0x7fff, v2, vcc_lo
	v_and_b32_e32 v21, 0xffff, v21
	s_delay_alu instid0(VALU_DEP_1) | instskip(NEXT) | instid1(VALU_DEP_1)
	v_lshrrev_b32_e32 v21, s45, v21
	v_and_b32_e32 v103, s42, v21
	s_delay_alu instid0(VALU_DEP_1)
	v_and_b32_e32 v21, 1, v103
	v_lshlrev_b32_e32 v102, 30, v103
	v_lshlrev_b32_e32 v104, 29, v103
	;; [unrolled: 1-line block ×4, first 2 shown]
	v_add_co_u32 v21, s15, v21, -1
	s_wait_alu 0xf1ff
	v_cndmask_b32_e64 v106, 0, 1, s15
	v_not_b32_e32 v110, v102
	v_cmp_gt_i32_e64 s15, 0, v102
	v_not_b32_e32 v102, v104
	v_lshlrev_b32_e32 v108, 26, v103
	v_cmp_ne_u32_e32 vcc_lo, 0, v106
	v_ashrrev_i32_e32 v110, 31, v110
	v_lshlrev_b32_e32 v109, 25, v103
	v_ashrrev_i32_e32 v102, 31, v102
	v_lshlrev_b32_e32 v106, 24, v103
	s_wait_alu 0xfffd
	v_xor_b32_e32 v21, vcc_lo, v21
	v_cmp_gt_i32_e32 vcc_lo, 0, v104
	v_not_b32_e32 v104, v105
	s_wait_alu 0xf1ff
	v_xor_b32_e32 v110, s15, v110
	v_cmp_gt_i32_e64 s15, 0, v105
	v_and_b32_e32 v21, exec_lo, v21
	v_not_b32_e32 v105, v107
	v_ashrrev_i32_e32 v104, 31, v104
	s_wait_alu 0xfffd
	v_xor_b32_e32 v102, vcc_lo, v102
	v_cmp_gt_i32_e32 vcc_lo, 0, v107
	v_and_b32_e32 v21, v21, v110
	v_not_b32_e32 v107, v108
	v_ashrrev_i32_e32 v105, 31, v105
	s_wait_alu 0xf1ff
	v_xor_b32_e32 v104, s15, v104
	v_cmp_gt_i32_e64 s15, 0, v108
	v_and_b32_e32 v21, v21, v102
	v_not_b32_e32 v102, v109
	v_ashrrev_i32_e32 v107, 31, v107
	s_wait_alu 0xfffd
	v_xor_b32_e32 v105, vcc_lo, v105
	v_cmp_gt_i32_e32 vcc_lo, 0, v109
	v_and_b32_e32 v21, v21, v104
	v_not_b32_e32 v104, v106
	v_ashrrev_i32_e32 v102, 31, v102
	s_wait_alu 0xf1ff
	v_xor_b32_e32 v107, s15, v107
	v_cmp_gt_i32_e64 s15, 0, v106
	v_and_b32_e32 v21, v21, v105
	v_ashrrev_i32_e32 v104, 31, v104
	s_wait_alu 0xfffd
	v_xor_b32_e32 v102, vcc_lo, v102
	v_mul_u32_u24_e32 v103, 36, v103
	v_and_b32_e32 v21, v21, v107
	s_wait_alu 0xf1ff
	v_xor_b32_e32 v104, s15, v104
	s_delay_alu instid0(VALU_DEP_2) | instskip(NEXT) | instid1(VALU_DEP_1)
	v_and_b32_e32 v21, v21, v102
	v_and_b32_e32 v21, v21, v104
	v_add_nc_u32_e32 v104, v92, v103
	s_delay_alu instid0(VALU_DEP_2) | instskip(SKIP_1) | instid1(VALU_DEP_2)
	v_mbcnt_lo_u32_b32 v102, v21, 0
	v_cmp_ne_u32_e64 s15, 0, v21
	v_cmp_eq_u32_e32 vcc_lo, 0, v102
	s_and_b32 s16, s15, vcc_lo
	s_wait_alu 0xfffe
	s_and_saveexec_b32 s15, s16
; %bb.579:                              ;   in Loop: Header=BB1745_558 Depth=2
	v_bcnt_u32_b32 v21, v21, 0
	ds_store_b32 v104, v21 offset:1056
; %bb.580:                              ;   in Loop: Header=BB1745_558 Depth=2
	s_wait_alu 0xfffe
	s_or_b32 exec_lo, exec_lo, s15
	v_cmp_gt_i16_e32 vcc_lo, 0, v27
	; wave barrier
	s_wait_alu 0xfffd
	v_cndmask_b32_e64 v21, 0x7fff, 0, vcc_lo
	s_delay_alu instid0(VALU_DEP_1) | instskip(NEXT) | instid1(VALU_DEP_1)
	v_xor_b32_e32 v103, v21, v27
	v_cmp_ne_u16_e32 vcc_lo, 0x8000, v103
	s_wait_alu 0xfffd
	v_cndmask_b32_e32 v21, 0x7fff, v103, vcc_lo
	s_delay_alu instid0(VALU_DEP_1) | instskip(NEXT) | instid1(VALU_DEP_1)
	v_and_b32_e32 v21, 0xffff, v21
	v_lshrrev_b32_e32 v21, s45, v21
	s_delay_alu instid0(VALU_DEP_1) | instskip(NEXT) | instid1(VALU_DEP_1)
	v_and_b32_e32 v27, s42, v21
	v_and_b32_e32 v21, 1, v27
	v_lshlrev_b32_e32 v105, 30, v27
	v_lshlrev_b32_e32 v106, 29, v27
	;; [unrolled: 1-line block ×4, first 2 shown]
	v_add_co_u32 v21, s15, v21, -1
	s_wait_alu 0xf1ff
	v_cndmask_b32_e64 v108, 0, 1, s15
	v_not_b32_e32 v112, v105
	v_cmp_gt_i32_e64 s15, 0, v105
	v_not_b32_e32 v105, v106
	v_lshlrev_b32_e32 v110, 26, v27
	v_cmp_ne_u32_e32 vcc_lo, 0, v108
	v_ashrrev_i32_e32 v112, 31, v112
	v_lshlrev_b32_e32 v111, 25, v27
	v_ashrrev_i32_e32 v105, 31, v105
	v_lshlrev_b32_e32 v108, 24, v27
	s_wait_alu 0xfffd
	v_xor_b32_e32 v21, vcc_lo, v21
	v_cmp_gt_i32_e32 vcc_lo, 0, v106
	v_not_b32_e32 v106, v107
	s_wait_alu 0xf1ff
	v_xor_b32_e32 v112, s15, v112
	v_cmp_gt_i32_e64 s15, 0, v107
	v_and_b32_e32 v21, exec_lo, v21
	v_not_b32_e32 v107, v109
	v_ashrrev_i32_e32 v106, 31, v106
	s_wait_alu 0xfffd
	v_xor_b32_e32 v105, vcc_lo, v105
	v_cmp_gt_i32_e32 vcc_lo, 0, v109
	v_and_b32_e32 v21, v21, v112
	v_not_b32_e32 v109, v110
	v_ashrrev_i32_e32 v107, 31, v107
	s_wait_alu 0xf1ff
	v_xor_b32_e32 v106, s15, v106
	v_cmp_gt_i32_e64 s15, 0, v110
	v_and_b32_e32 v21, v21, v105
	v_not_b32_e32 v105, v111
	v_ashrrev_i32_e32 v109, 31, v109
	s_wait_alu 0xfffd
	v_xor_b32_e32 v107, vcc_lo, v107
	v_cmp_gt_i32_e32 vcc_lo, 0, v111
	v_and_b32_e32 v21, v21, v106
	v_not_b32_e32 v106, v108
	v_ashrrev_i32_e32 v105, 31, v105
	s_wait_alu 0xf1ff
	v_xor_b32_e32 v109, s15, v109
	v_cmp_gt_i32_e64 s15, 0, v108
	v_and_b32_e32 v21, v21, v107
	v_ashrrev_i32_e32 v106, 31, v106
	s_wait_alu 0xfffd
	v_xor_b32_e32 v105, vcc_lo, v105
	v_mad_u32_u24 v107, v27, 36, v92
	v_mul_u32_u24_e32 v27, 36, v27
	v_and_b32_e32 v21, v21, v109
	s_wait_alu 0xf1ff
	v_xor_b32_e32 v106, s15, v106
	s_delay_alu instid0(VALU_DEP_3) | instskip(NEXT) | instid1(VALU_DEP_3)
	v_add_nc_u32_e32 v108, v92, v27
	v_and_b32_e32 v21, v21, v105
	ds_load_b32 v105, v107 offset:1056
	; wave barrier
	v_and_b32_e32 v21, v21, v106
	s_delay_alu instid0(VALU_DEP_1) | instskip(SKIP_1) | instid1(VALU_DEP_2)
	v_mbcnt_lo_u32_b32 v106, v21, 0
	v_cmp_ne_u32_e64 s15, 0, v21
	v_cmp_eq_u32_e32 vcc_lo, 0, v106
	s_and_b32 s16, s15, vcc_lo
	s_wait_alu 0xfffe
	s_and_saveexec_b32 s15, s16
	s_cbranch_execz .LBB1745_582
; %bb.581:                              ;   in Loop: Header=BB1745_558 Depth=2
	s_wait_dscnt 0x0
	v_bcnt_u32_b32 v21, v21, v105
	ds_store_b32 v108, v21 offset:1056
.LBB1745_582:                           ;   in Loop: Header=BB1745_558 Depth=2
	s_wait_alu 0xfffe
	s_or_b32 exec_lo, exec_lo, s15
	v_cmp_gt_i16_e32 vcc_lo, 0, v26
	; wave barrier
	s_wait_alu 0xfffd
	v_cndmask_b32_e64 v21, 0x7fff, 0, vcc_lo
	s_delay_alu instid0(VALU_DEP_1) | instskip(NEXT) | instid1(VALU_DEP_1)
	v_xor_b32_e32 v107, v21, v26
	v_cmp_ne_u16_e32 vcc_lo, 0x8000, v107
	s_wait_alu 0xfffd
	v_cndmask_b32_e32 v21, 0x7fff, v107, vcc_lo
	s_delay_alu instid0(VALU_DEP_1) | instskip(NEXT) | instid1(VALU_DEP_1)
	v_and_b32_e32 v21, 0xffff, v21
	v_lshrrev_b32_e32 v21, s45, v21
	s_delay_alu instid0(VALU_DEP_1) | instskip(NEXT) | instid1(VALU_DEP_1)
	v_and_b32_e32 v26, s42, v21
	v_and_b32_e32 v21, 1, v26
	v_lshlrev_b32_e32 v27, 30, v26
	v_lshlrev_b32_e32 v109, 29, v26
	v_lshlrev_b32_e32 v110, 28, v26
	v_lshlrev_b32_e32 v112, 27, v26
	v_add_co_u32 v21, s15, v21, -1
	s_wait_alu 0xf1ff
	v_cndmask_b32_e64 v111, 0, 1, s15
	v_not_b32_e32 v115, v27
	v_cmp_gt_i32_e64 s15, 0, v27
	v_not_b32_e32 v27, v109
	v_lshlrev_b32_e32 v113, 26, v26
	v_cmp_ne_u32_e32 vcc_lo, 0, v111
	v_ashrrev_i32_e32 v115, 31, v115
	v_lshlrev_b32_e32 v114, 25, v26
	v_ashrrev_i32_e32 v27, 31, v27
	v_lshlrev_b32_e32 v111, 24, v26
	s_wait_alu 0xfffd
	v_xor_b32_e32 v21, vcc_lo, v21
	v_cmp_gt_i32_e32 vcc_lo, 0, v109
	v_not_b32_e32 v109, v110
	s_wait_alu 0xf1ff
	v_xor_b32_e32 v115, s15, v115
	v_cmp_gt_i32_e64 s15, 0, v110
	v_and_b32_e32 v21, exec_lo, v21
	v_not_b32_e32 v110, v112
	v_ashrrev_i32_e32 v109, 31, v109
	s_wait_alu 0xfffd
	v_xor_b32_e32 v27, vcc_lo, v27
	v_cmp_gt_i32_e32 vcc_lo, 0, v112
	v_and_b32_e32 v21, v21, v115
	v_not_b32_e32 v112, v113
	v_ashrrev_i32_e32 v110, 31, v110
	s_wait_alu 0xf1ff
	v_xor_b32_e32 v109, s15, v109
	v_cmp_gt_i32_e64 s15, 0, v113
	v_and_b32_e32 v21, v21, v27
	v_not_b32_e32 v27, v114
	v_ashrrev_i32_e32 v112, 31, v112
	s_wait_alu 0xfffd
	v_xor_b32_e32 v110, vcc_lo, v110
	v_cmp_gt_i32_e32 vcc_lo, 0, v114
	v_and_b32_e32 v21, v21, v109
	v_not_b32_e32 v109, v111
	v_ashrrev_i32_e32 v27, 31, v27
	s_wait_alu 0xf1ff
	v_xor_b32_e32 v112, s15, v112
	v_cmp_gt_i32_e64 s15, 0, v111
	v_and_b32_e32 v21, v21, v110
	v_ashrrev_i32_e32 v109, 31, v109
	s_wait_alu 0xfffd
	v_xor_b32_e32 v27, vcc_lo, v27
	v_mad_u32_u24 v110, v26, 36, v92
	v_mul_u32_u24_e32 v26, 36, v26
	v_and_b32_e32 v21, v21, v112
	s_wait_alu 0xf1ff
	v_xor_b32_e32 v111, s15, v109
	ds_load_b32 v109, v110 offset:1056
	v_add_nc_u32_e32 v112, v92, v26
	v_and_b32_e32 v21, v21, v27
	; wave barrier
	s_delay_alu instid0(VALU_DEP_1) | instskip(NEXT) | instid1(VALU_DEP_1)
	v_and_b32_e32 v21, v21, v111
	v_mbcnt_lo_u32_b32 v111, v21, 0
	v_cmp_ne_u32_e64 s15, 0, v21
	s_delay_alu instid0(VALU_DEP_2)
	v_cmp_eq_u32_e32 vcc_lo, 0, v111
	s_and_b32 s16, s15, vcc_lo
	s_wait_alu 0xfffe
	s_and_saveexec_b32 s15, s16
	s_cbranch_execz .LBB1745_584
; %bb.583:                              ;   in Loop: Header=BB1745_558 Depth=2
	s_wait_dscnt 0x0
	v_bcnt_u32_b32 v21, v21, v109
	ds_store_b32 v112, v21 offset:1056
.LBB1745_584:                           ;   in Loop: Header=BB1745_558 Depth=2
	s_wait_alu 0xfffe
	s_or_b32 exec_lo, exec_lo, s15
	v_cmp_gt_i16_e32 vcc_lo, 0, v25
	; wave barrier
	s_wait_alu 0xfffd
	v_cndmask_b32_e64 v21, 0x7fff, 0, vcc_lo
	s_delay_alu instid0(VALU_DEP_1) | instskip(NEXT) | instid1(VALU_DEP_1)
	v_xor_b32_e32 v110, v21, v25
	v_cmp_ne_u16_e32 vcc_lo, 0x8000, v110
	s_wait_alu 0xfffd
	v_cndmask_b32_e32 v21, 0x7fff, v110, vcc_lo
	s_delay_alu instid0(VALU_DEP_1) | instskip(NEXT) | instid1(VALU_DEP_1)
	v_and_b32_e32 v21, 0xffff, v21
	v_lshrrev_b32_e32 v21, s45, v21
	s_delay_alu instid0(VALU_DEP_1) | instskip(NEXT) | instid1(VALU_DEP_1)
	v_and_b32_e32 v25, s42, v21
	v_and_b32_e32 v21, 1, v25
	v_lshlrev_b32_e32 v26, 30, v25
	v_lshlrev_b32_e32 v27, 29, v25
	;; [unrolled: 1-line block ×4, first 2 shown]
	v_add_co_u32 v21, s15, v21, -1
	s_wait_alu 0xf1ff
	v_cndmask_b32_e64 v114, 0, 1, s15
	v_not_b32_e32 v118, v26
	v_cmp_gt_i32_e64 s15, 0, v26
	v_not_b32_e32 v26, v27
	v_lshlrev_b32_e32 v116, 26, v25
	v_cmp_ne_u32_e32 vcc_lo, 0, v114
	v_ashrrev_i32_e32 v118, 31, v118
	v_lshlrev_b32_e32 v117, 25, v25
	v_ashrrev_i32_e32 v26, 31, v26
	v_lshlrev_b32_e32 v114, 24, v25
	s_wait_alu 0xfffd
	v_xor_b32_e32 v21, vcc_lo, v21
	v_cmp_gt_i32_e32 vcc_lo, 0, v27
	v_not_b32_e32 v27, v113
	s_wait_alu 0xf1ff
	v_xor_b32_e32 v118, s15, v118
	v_cmp_gt_i32_e64 s15, 0, v113
	v_and_b32_e32 v21, exec_lo, v21
	v_not_b32_e32 v113, v115
	v_ashrrev_i32_e32 v27, 31, v27
	s_wait_alu 0xfffd
	v_xor_b32_e32 v26, vcc_lo, v26
	v_cmp_gt_i32_e32 vcc_lo, 0, v115
	v_and_b32_e32 v21, v21, v118
	v_not_b32_e32 v115, v116
	v_ashrrev_i32_e32 v113, 31, v113
	s_wait_alu 0xf1ff
	v_xor_b32_e32 v27, s15, v27
	v_cmp_gt_i32_e64 s15, 0, v116
	v_and_b32_e32 v21, v21, v26
	v_not_b32_e32 v26, v117
	v_ashrrev_i32_e32 v115, 31, v115
	s_wait_alu 0xfffd
	v_xor_b32_e32 v113, vcc_lo, v113
	v_cmp_gt_i32_e32 vcc_lo, 0, v117
	v_and_b32_e32 v21, v21, v27
	v_not_b32_e32 v27, v114
	v_ashrrev_i32_e32 v26, 31, v26
	s_wait_alu 0xf1ff
	v_xor_b32_e32 v115, s15, v115
	v_cmp_gt_i32_e64 s15, 0, v114
	v_and_b32_e32 v21, v21, v113
	v_ashrrev_i32_e32 v27, 31, v27
	s_wait_alu 0xfffd
	v_xor_b32_e32 v26, vcc_lo, v26
	v_mad_u32_u24 v113, v25, 36, v92
	v_mul_u32_u24_e32 v25, 36, v25
	v_and_b32_e32 v21, v21, v115
	s_wait_alu 0xf1ff
	v_xor_b32_e32 v27, s15, v27
	ds_load_b32 v113, v113 offset:1056
	v_add_nc_u32_e32 v116, v92, v25
	v_and_b32_e32 v21, v21, v26
	; wave barrier
	s_delay_alu instid0(VALU_DEP_1) | instskip(NEXT) | instid1(VALU_DEP_1)
	v_and_b32_e32 v21, v21, v27
	v_mbcnt_lo_u32_b32 v115, v21, 0
	v_cmp_ne_u32_e64 s15, 0, v21
	s_delay_alu instid0(VALU_DEP_2)
	v_cmp_eq_u32_e32 vcc_lo, 0, v115
	s_and_b32 s16, s15, vcc_lo
	s_wait_alu 0xfffe
	s_and_saveexec_b32 s15, s16
	s_cbranch_execz .LBB1745_586
; %bb.585:                              ;   in Loop: Header=BB1745_558 Depth=2
	s_wait_dscnt 0x0
	v_bcnt_u32_b32 v21, v21, v113
	ds_store_b32 v116, v21 offset:1056
.LBB1745_586:                           ;   in Loop: Header=BB1745_558 Depth=2
	s_wait_alu 0xfffe
	s_or_b32 exec_lo, exec_lo, s15
	v_cmp_gt_i16_e32 vcc_lo, 0, v24
	; wave barrier
	s_wait_alu 0xfffd
	v_cndmask_b32_e64 v21, 0x7fff, 0, vcc_lo
	s_delay_alu instid0(VALU_DEP_1) | instskip(NEXT) | instid1(VALU_DEP_1)
	v_xor_b32_e32 v114, v21, v24
	v_cmp_ne_u16_e32 vcc_lo, 0x8000, v114
	s_wait_alu 0xfffd
	v_cndmask_b32_e32 v21, 0x7fff, v114, vcc_lo
	s_delay_alu instid0(VALU_DEP_1) | instskip(NEXT) | instid1(VALU_DEP_1)
	v_and_b32_e32 v21, 0xffff, v21
	v_lshrrev_b32_e32 v21, s45, v21
	s_delay_alu instid0(VALU_DEP_1) | instskip(NEXT) | instid1(VALU_DEP_1)
	v_and_b32_e32 v24, s42, v21
	v_and_b32_e32 v21, 1, v24
	v_lshlrev_b32_e32 v25, 30, v24
	v_lshlrev_b32_e32 v26, 29, v24
	;; [unrolled: 1-line block ×4, first 2 shown]
	v_add_co_u32 v21, s15, v21, -1
	s_wait_alu 0xf1ff
	v_cndmask_b32_e64 v117, 0, 1, s15
	v_not_b32_e32 v121, v25
	v_cmp_gt_i32_e64 s15, 0, v25
	v_not_b32_e32 v25, v26
	v_lshlrev_b32_e32 v119, 26, v24
	v_cmp_ne_u32_e32 vcc_lo, 0, v117
	v_ashrrev_i32_e32 v121, 31, v121
	v_lshlrev_b32_e32 v120, 25, v24
	v_ashrrev_i32_e32 v25, 31, v25
	v_lshlrev_b32_e32 v117, 24, v24
	s_wait_alu 0xfffd
	v_xor_b32_e32 v21, vcc_lo, v21
	v_cmp_gt_i32_e32 vcc_lo, 0, v26
	v_not_b32_e32 v26, v27
	s_wait_alu 0xf1ff
	v_xor_b32_e32 v121, s15, v121
	v_cmp_gt_i32_e64 s15, 0, v27
	v_and_b32_e32 v21, exec_lo, v21
	v_not_b32_e32 v27, v118
	v_ashrrev_i32_e32 v26, 31, v26
	s_wait_alu 0xfffd
	v_xor_b32_e32 v25, vcc_lo, v25
	v_cmp_gt_i32_e32 vcc_lo, 0, v118
	v_and_b32_e32 v21, v21, v121
	v_not_b32_e32 v118, v119
	v_ashrrev_i32_e32 v27, 31, v27
	s_wait_alu 0xf1ff
	v_xor_b32_e32 v26, s15, v26
	v_cmp_gt_i32_e64 s15, 0, v119
	v_and_b32_e32 v21, v21, v25
	v_not_b32_e32 v25, v120
	v_ashrrev_i32_e32 v118, 31, v118
	s_wait_alu 0xfffd
	v_xor_b32_e32 v27, vcc_lo, v27
	v_cmp_gt_i32_e32 vcc_lo, 0, v120
	v_and_b32_e32 v21, v21, v26
	v_not_b32_e32 v26, v117
	v_ashrrev_i32_e32 v25, 31, v25
	s_wait_alu 0xf1ff
	v_xor_b32_e32 v118, s15, v118
	v_cmp_gt_i32_e64 s15, 0, v117
	v_and_b32_e32 v21, v21, v27
	v_ashrrev_i32_e32 v26, 31, v26
	s_wait_alu 0xfffd
	v_xor_b32_e32 v25, vcc_lo, v25
	v_mad_u32_u24 v27, v24, 36, v92
	v_mul_u32_u24_e32 v24, 36, v24
	v_and_b32_e32 v21, v21, v118
	s_wait_alu 0xf1ff
	v_xor_b32_e32 v26, s15, v26
	ds_load_b32 v117, v27 offset:1056
	v_add_nc_u32_e32 v120, v92, v24
	v_and_b32_e32 v21, v21, v25
	; wave barrier
	s_delay_alu instid0(VALU_DEP_1) | instskip(NEXT) | instid1(VALU_DEP_1)
	v_and_b32_e32 v21, v21, v26
	v_mbcnt_lo_u32_b32 v119, v21, 0
	v_cmp_ne_u32_e64 s15, 0, v21
	s_delay_alu instid0(VALU_DEP_2)
	v_cmp_eq_u32_e32 vcc_lo, 0, v119
	s_and_b32 s16, s15, vcc_lo
	s_wait_alu 0xfffe
	s_and_saveexec_b32 s15, s16
	s_cbranch_execz .LBB1745_588
; %bb.587:                              ;   in Loop: Header=BB1745_558 Depth=2
	s_wait_dscnt 0x0
	v_bcnt_u32_b32 v21, v21, v117
	ds_store_b32 v120, v21 offset:1056
.LBB1745_588:                           ;   in Loop: Header=BB1745_558 Depth=2
	s_wait_alu 0xfffe
	s_or_b32 exec_lo, exec_lo, s15
	v_cmp_gt_i16_e32 vcc_lo, 0, v23
	; wave barrier
	s_wait_alu 0xfffd
	v_cndmask_b32_e64 v21, 0x7fff, 0, vcc_lo
	s_delay_alu instid0(VALU_DEP_1) | instskip(NEXT) | instid1(VALU_DEP_1)
	v_xor_b32_e32 v118, v21, v23
	v_cmp_ne_u16_e32 vcc_lo, 0x8000, v118
	s_wait_alu 0xfffd
	v_cndmask_b32_e32 v21, 0x7fff, v118, vcc_lo
	s_delay_alu instid0(VALU_DEP_1) | instskip(NEXT) | instid1(VALU_DEP_1)
	v_and_b32_e32 v21, 0xffff, v21
	v_lshrrev_b32_e32 v21, s45, v21
	s_delay_alu instid0(VALU_DEP_1) | instskip(NEXT) | instid1(VALU_DEP_1)
	v_and_b32_e32 v23, s42, v21
	v_and_b32_e32 v21, 1, v23
	v_lshlrev_b32_e32 v24, 30, v23
	v_lshlrev_b32_e32 v25, 29, v23
	;; [unrolled: 1-line block ×4, first 2 shown]
	v_add_co_u32 v21, s15, v21, -1
	s_wait_alu 0xf1ff
	v_cndmask_b32_e64 v27, 0, 1, s15
	v_not_b32_e32 v124, v24
	v_cmp_gt_i32_e64 s15, 0, v24
	v_not_b32_e32 v24, v25
	v_lshlrev_b32_e32 v122, 26, v23
	v_cmp_ne_u32_e32 vcc_lo, 0, v27
	v_ashrrev_i32_e32 v124, 31, v124
	v_lshlrev_b32_e32 v123, 25, v23
	v_ashrrev_i32_e32 v24, 31, v24
	v_lshlrev_b32_e32 v27, 24, v23
	s_wait_alu 0xfffd
	v_xor_b32_e32 v21, vcc_lo, v21
	v_cmp_gt_i32_e32 vcc_lo, 0, v25
	v_not_b32_e32 v25, v26
	s_wait_alu 0xf1ff
	v_xor_b32_e32 v124, s15, v124
	v_cmp_gt_i32_e64 s15, 0, v26
	v_and_b32_e32 v21, exec_lo, v21
	v_not_b32_e32 v26, v121
	v_ashrrev_i32_e32 v25, 31, v25
	s_wait_alu 0xfffd
	v_xor_b32_e32 v24, vcc_lo, v24
	v_cmp_gt_i32_e32 vcc_lo, 0, v121
	v_and_b32_e32 v21, v21, v124
	v_not_b32_e32 v121, v122
	v_ashrrev_i32_e32 v26, 31, v26
	s_wait_alu 0xf1ff
	v_xor_b32_e32 v25, s15, v25
	v_cmp_gt_i32_e64 s15, 0, v122
	v_and_b32_e32 v21, v21, v24
	v_not_b32_e32 v24, v123
	v_ashrrev_i32_e32 v121, 31, v121
	s_wait_alu 0xfffd
	v_xor_b32_e32 v26, vcc_lo, v26
	v_cmp_gt_i32_e32 vcc_lo, 0, v123
	v_and_b32_e32 v21, v21, v25
	v_not_b32_e32 v25, v27
	v_ashrrev_i32_e32 v24, 31, v24
	s_wait_alu 0xf1ff
	v_xor_b32_e32 v121, s15, v121
	v_cmp_gt_i32_e64 s15, 0, v27
	v_and_b32_e32 v21, v21, v26
	v_ashrrev_i32_e32 v25, 31, v25
	s_wait_alu 0xfffd
	v_xor_b32_e32 v24, vcc_lo, v24
	v_mad_u32_u24 v26, v23, 36, v92
	v_mul_u32_u24_e32 v23, 36, v23
	v_and_b32_e32 v21, v21, v121
	s_wait_alu 0xf1ff
	v_xor_b32_e32 v25, s15, v25
	ds_load_b32 v121, v26 offset:1056
	v_add_nc_u32_e32 v124, v92, v23
	v_and_b32_e32 v21, v21, v24
	; wave barrier
	s_delay_alu instid0(VALU_DEP_1) | instskip(NEXT) | instid1(VALU_DEP_1)
	v_and_b32_e32 v21, v21, v25
	v_mbcnt_lo_u32_b32 v123, v21, 0
	v_cmp_ne_u32_e64 s15, 0, v21
	s_delay_alu instid0(VALU_DEP_2)
	v_cmp_eq_u32_e32 vcc_lo, 0, v123
	s_and_b32 s16, s15, vcc_lo
	s_wait_alu 0xfffe
	s_and_saveexec_b32 s15, s16
	s_cbranch_execz .LBB1745_590
; %bb.589:                              ;   in Loop: Header=BB1745_558 Depth=2
	s_wait_dscnt 0x0
	v_bcnt_u32_b32 v21, v21, v121
	ds_store_b32 v124, v21 offset:1056
.LBB1745_590:                           ;   in Loop: Header=BB1745_558 Depth=2
	s_wait_alu 0xfffe
	s_or_b32 exec_lo, exec_lo, s15
	v_cmp_gt_i16_e32 vcc_lo, 0, v22
	; wave barrier
	s_wait_alu 0xfffd
	v_cndmask_b32_e64 v21, 0x7fff, 0, vcc_lo
	s_delay_alu instid0(VALU_DEP_1) | instskip(NEXT) | instid1(VALU_DEP_1)
	v_xor_b32_e32 v122, v21, v22
	v_cmp_ne_u16_e32 vcc_lo, 0x8000, v122
	s_wait_alu 0xfffd
	v_cndmask_b32_e32 v21, 0x7fff, v122, vcc_lo
	s_delay_alu instid0(VALU_DEP_1) | instskip(NEXT) | instid1(VALU_DEP_1)
	v_and_b32_e32 v21, 0xffff, v21
	v_lshrrev_b32_e32 v21, s45, v21
	s_delay_alu instid0(VALU_DEP_1) | instskip(NEXT) | instid1(VALU_DEP_1)
	v_and_b32_e32 v22, s42, v21
	v_and_b32_e32 v21, 1, v22
	v_lshlrev_b32_e32 v23, 30, v22
	v_lshlrev_b32_e32 v24, 29, v22
	;; [unrolled: 1-line block ×4, first 2 shown]
	v_add_co_u32 v21, s15, v21, -1
	s_wait_alu 0xf1ff
	v_cndmask_b32_e64 v26, 0, 1, s15
	v_not_b32_e32 v127, v23
	v_cmp_gt_i32_e64 s15, 0, v23
	v_not_b32_e32 v23, v24
	v_lshlrev_b32_e32 v125, 26, v22
	v_cmp_ne_u32_e32 vcc_lo, 0, v26
	v_ashrrev_i32_e32 v127, 31, v127
	v_lshlrev_b32_e32 v126, 25, v22
	v_ashrrev_i32_e32 v23, 31, v23
	v_lshlrev_b32_e32 v26, 24, v22
	s_wait_alu 0xfffd
	v_xor_b32_e32 v21, vcc_lo, v21
	v_cmp_gt_i32_e32 vcc_lo, 0, v24
	v_not_b32_e32 v24, v25
	s_wait_alu 0xf1ff
	v_xor_b32_e32 v127, s15, v127
	v_cmp_gt_i32_e64 s15, 0, v25
	v_and_b32_e32 v21, exec_lo, v21
	v_not_b32_e32 v25, v27
	v_ashrrev_i32_e32 v24, 31, v24
	s_wait_alu 0xfffd
	v_xor_b32_e32 v23, vcc_lo, v23
	v_cmp_gt_i32_e32 vcc_lo, 0, v27
	v_and_b32_e32 v21, v21, v127
	v_not_b32_e32 v27, v125
	v_ashrrev_i32_e32 v25, 31, v25
	s_wait_alu 0xf1ff
	v_xor_b32_e32 v24, s15, v24
	v_cmp_gt_i32_e64 s15, 0, v125
	v_and_b32_e32 v21, v21, v23
	v_not_b32_e32 v23, v126
	v_ashrrev_i32_e32 v27, 31, v27
	s_wait_alu 0xfffd
	v_xor_b32_e32 v25, vcc_lo, v25
	v_cmp_gt_i32_e32 vcc_lo, 0, v126
	v_and_b32_e32 v21, v21, v24
	v_not_b32_e32 v24, v26
	v_ashrrev_i32_e32 v23, 31, v23
	s_wait_alu 0xf1ff
	v_xor_b32_e32 v27, s15, v27
	v_cmp_gt_i32_e64 s15, 0, v26
	v_and_b32_e32 v21, v21, v25
	v_ashrrev_i32_e32 v24, 31, v24
	s_wait_alu 0xfffd
	v_xor_b32_e32 v23, vcc_lo, v23
	v_mad_u32_u24 v25, v22, 36, v92
	v_mul_u32_u24_e32 v22, 36, v22
	v_and_b32_e32 v21, v21, v27
	s_wait_alu 0xf1ff
	v_xor_b32_e32 v24, s15, v24
	ds_load_b32 v125, v25 offset:1056
	v_add_nc_u32_e32 v128, v92, v22
	v_and_b32_e32 v21, v21, v23
	; wave barrier
	s_delay_alu instid0(VALU_DEP_1) | instskip(NEXT) | instid1(VALU_DEP_1)
	v_and_b32_e32 v21, v21, v24
	v_mbcnt_lo_u32_b32 v126, v21, 0
	v_cmp_ne_u32_e64 s15, 0, v21
	s_delay_alu instid0(VALU_DEP_2)
	v_cmp_eq_u32_e32 vcc_lo, 0, v126
	s_and_b32 s16, s15, vcc_lo
	s_wait_alu 0xfffe
	s_and_saveexec_b32 s15, s16
	s_cbranch_execz .LBB1745_592
; %bb.591:                              ;   in Loop: Header=BB1745_558 Depth=2
	s_wait_dscnt 0x0
	v_bcnt_u32_b32 v21, v21, v125
	ds_store_b32 v128, v21 offset:1056
.LBB1745_592:                           ;   in Loop: Header=BB1745_558 Depth=2
	s_wait_alu 0xfffe
	s_or_b32 exec_lo, exec_lo, s15
	v_cmp_gt_i16_e32 vcc_lo, 0, v20
	; wave barrier
	s_wait_alu 0xfffd
	v_cndmask_b32_e64 v21, 0x7fff, 0, vcc_lo
	s_delay_alu instid0(VALU_DEP_1) | instskip(NEXT) | instid1(VALU_DEP_1)
	v_xor_b32_e32 v127, v21, v20
	v_cmp_ne_u16_e32 vcc_lo, 0x8000, v127
	s_wait_alu 0xfffd
	v_cndmask_b32_e32 v20, 0x7fff, v127, vcc_lo
	s_delay_alu instid0(VALU_DEP_1) | instskip(NEXT) | instid1(VALU_DEP_1)
	v_and_b32_e32 v20, 0xffff, v20
	v_lshrrev_b32_e32 v20, s45, v20
	s_delay_alu instid0(VALU_DEP_1) | instskip(NEXT) | instid1(VALU_DEP_1)
	v_and_b32_e32 v21, s42, v20
	v_and_b32_e32 v20, 1, v21
	v_lshlrev_b32_e32 v22, 30, v21
	v_lshlrev_b32_e32 v23, 29, v21
	;; [unrolled: 1-line block ×4, first 2 shown]
	v_add_co_u32 v20, s15, v20, -1
	s_wait_alu 0xf1ff
	v_cndmask_b32_e64 v25, 0, 1, s15
	v_not_b32_e32 v130, v22
	v_cmp_gt_i32_e64 s15, 0, v22
	v_not_b32_e32 v22, v23
	v_lshlrev_b32_e32 v27, 26, v21
	v_cmp_ne_u32_e32 vcc_lo, 0, v25
	v_ashrrev_i32_e32 v130, 31, v130
	v_lshlrev_b32_e32 v129, 25, v21
	v_ashrrev_i32_e32 v22, 31, v22
	v_lshlrev_b32_e32 v25, 24, v21
	s_wait_alu 0xfffd
	v_xor_b32_e32 v20, vcc_lo, v20
	v_cmp_gt_i32_e32 vcc_lo, 0, v23
	v_not_b32_e32 v23, v24
	s_wait_alu 0xf1ff
	v_xor_b32_e32 v130, s15, v130
	v_cmp_gt_i32_e64 s15, 0, v24
	v_and_b32_e32 v20, exec_lo, v20
	v_not_b32_e32 v24, v26
	v_ashrrev_i32_e32 v23, 31, v23
	s_wait_alu 0xfffd
	v_xor_b32_e32 v22, vcc_lo, v22
	v_cmp_gt_i32_e32 vcc_lo, 0, v26
	v_and_b32_e32 v20, v20, v130
	v_not_b32_e32 v26, v27
	v_ashrrev_i32_e32 v24, 31, v24
	s_wait_alu 0xf1ff
	v_xor_b32_e32 v23, s15, v23
	v_cmp_gt_i32_e64 s15, 0, v27
	v_and_b32_e32 v20, v20, v22
	v_not_b32_e32 v22, v129
	v_ashrrev_i32_e32 v26, 31, v26
	s_wait_alu 0xfffd
	v_xor_b32_e32 v24, vcc_lo, v24
	v_cmp_gt_i32_e32 vcc_lo, 0, v129
	v_and_b32_e32 v20, v20, v23
	v_not_b32_e32 v23, v25
	v_ashrrev_i32_e32 v22, 31, v22
	s_wait_alu 0xf1ff
	v_xor_b32_e32 v26, s15, v26
	v_cmp_gt_i32_e64 s15, 0, v25
	v_and_b32_e32 v20, v20, v24
	v_ashrrev_i32_e32 v23, 31, v23
	s_wait_alu 0xfffd
	v_xor_b32_e32 v22, vcc_lo, v22
	v_mad_u32_u24 v24, v21, 36, v92
	v_mul_u32_u24_e32 v21, 36, v21
	v_and_b32_e32 v20, v20, v26
	s_wait_alu 0xf1ff
	v_xor_b32_e32 v23, s15, v23
	ds_load_b32 v129, v24 offset:1056
	v_add_nc_u32_e32 v131, v92, v21
	v_and_b32_e32 v20, v20, v22
	; wave barrier
	s_delay_alu instid0(VALU_DEP_1) | instskip(NEXT) | instid1(VALU_DEP_1)
	v_and_b32_e32 v20, v20, v23
	v_mbcnt_lo_u32_b32 v130, v20, 0
	v_cmp_ne_u32_e64 s15, 0, v20
	s_delay_alu instid0(VALU_DEP_2)
	v_cmp_eq_u32_e32 vcc_lo, 0, v130
	s_and_b32 s16, s15, vcc_lo
	s_wait_alu 0xfffe
	s_and_saveexec_b32 s15, s16
	s_cbranch_execz .LBB1745_594
; %bb.593:                              ;   in Loop: Header=BB1745_558 Depth=2
	s_wait_dscnt 0x0
	v_bcnt_u32_b32 v20, v20, v129
	ds_store_b32 v131, v20 offset:1056
.LBB1745_594:                           ;   in Loop: Header=BB1745_558 Depth=2
	s_wait_alu 0xfffe
	s_or_b32 exec_lo, exec_lo, s15
	; wave barrier
	s_wait_loadcnt_dscnt 0x0
	s_barrier_signal -1
	s_barrier_wait -1
	global_inv scope:SCOPE_SE
	ds_load_2addr_b32 v[26:27], v78 offset1:1
	ds_load_2addr_b32 v[24:25], v79 offset1:1
	;; [unrolled: 1-line block ×4, first 2 shown]
	ds_load_b32 v132, v43 offset:1088
	s_wait_dscnt 0x3
	v_add3_u32 v133, v27, v26, v24
	s_wait_dscnt 0x2
	s_delay_alu instid0(VALU_DEP_1) | instskip(SKIP_1) | instid1(VALU_DEP_1)
	v_add3_u32 v133, v133, v25, v22
	s_wait_dscnt 0x1
	v_add3_u32 v133, v133, v23, v20
	s_wait_dscnt 0x0
	s_delay_alu instid0(VALU_DEP_1) | instskip(NEXT) | instid1(VALU_DEP_1)
	v_add3_u32 v132, v133, v21, v132
	v_mov_b32_dpp v133, v132 row_shr:1 row_mask:0xf bank_mask:0xf
	s_delay_alu instid0(VALU_DEP_1) | instskip(NEXT) | instid1(VALU_DEP_1)
	v_cndmask_b32_e64 v133, v133, 0, s0
	v_add_nc_u32_e32 v132, v133, v132
	s_delay_alu instid0(VALU_DEP_1) | instskip(NEXT) | instid1(VALU_DEP_1)
	v_mov_b32_dpp v133, v132 row_shr:2 row_mask:0xf bank_mask:0xf
	v_cndmask_b32_e64 v133, 0, v133, s1
	s_delay_alu instid0(VALU_DEP_1) | instskip(NEXT) | instid1(VALU_DEP_1)
	v_add_nc_u32_e32 v132, v132, v133
	v_mov_b32_dpp v133, v132 row_shr:4 row_mask:0xf bank_mask:0xf
	s_delay_alu instid0(VALU_DEP_1) | instskip(NEXT) | instid1(VALU_DEP_1)
	v_cndmask_b32_e64 v133, 0, v133, s9
	v_add_nc_u32_e32 v132, v132, v133
	s_delay_alu instid0(VALU_DEP_1) | instskip(NEXT) | instid1(VALU_DEP_1)
	v_mov_b32_dpp v133, v132 row_shr:8 row_mask:0xf bank_mask:0xf
	v_cndmask_b32_e64 v133, 0, v133, s10
	s_delay_alu instid0(VALU_DEP_1) | instskip(SKIP_3) | instid1(VALU_DEP_1)
	v_add_nc_u32_e32 v132, v132, v133
	ds_swizzle_b32 v133, v132 offset:swizzle(BROADCAST,32,15)
	s_wait_dscnt 0x0
	v_cndmask_b32_e64 v133, v133, 0, s11
	v_add_nc_u32_e32 v132, v132, v133
	s_and_saveexec_b32 s15, s3
; %bb.595:                              ;   in Loop: Header=BB1745_558 Depth=2
	ds_store_b32 v38, v132 offset:1024
; %bb.596:                              ;   in Loop: Header=BB1745_558 Depth=2
	s_wait_alu 0xfffe
	s_or_b32 exec_lo, exec_lo, s15
	s_wait_loadcnt_dscnt 0x0
	s_barrier_signal -1
	s_barrier_wait -1
	global_inv scope:SCOPE_SE
	s_and_saveexec_b32 s15, s4
	s_cbranch_execz .LBB1745_598
; %bb.597:                              ;   in Loop: Header=BB1745_558 Depth=2
	ds_load_b32 v133, v46 offset:1024
	s_wait_dscnt 0x0
	v_mov_b32_dpp v134, v133 row_shr:1 row_mask:0xf bank_mask:0xf
	s_delay_alu instid0(VALU_DEP_1) | instskip(NEXT) | instid1(VALU_DEP_1)
	v_cndmask_b32_e64 v134, v134, 0, s12
	v_add_nc_u32_e32 v133, v134, v133
	s_delay_alu instid0(VALU_DEP_1) | instskip(NEXT) | instid1(VALU_DEP_1)
	v_mov_b32_dpp v134, v133 row_shr:2 row_mask:0xf bank_mask:0xf
	v_cndmask_b32_e64 v134, 0, v134, s13
	s_delay_alu instid0(VALU_DEP_1) | instskip(NEXT) | instid1(VALU_DEP_1)
	v_add_nc_u32_e32 v133, v133, v134
	v_mov_b32_dpp v134, v133 row_shr:4 row_mask:0xf bank_mask:0xf
	s_delay_alu instid0(VALU_DEP_1) | instskip(NEXT) | instid1(VALU_DEP_1)
	v_cndmask_b32_e64 v134, 0, v134, s14
	v_add_nc_u32_e32 v133, v133, v134
	ds_store_b32 v46, v133 offset:1024
.LBB1745_598:                           ;   in Loop: Header=BB1745_558 Depth=2
	s_wait_alu 0xfffe
	s_or_b32 exec_lo, exec_lo, s15
	v_mov_b32_e32 v133, 0
	s_wait_loadcnt_dscnt 0x0
	s_barrier_signal -1
	s_barrier_wait -1
	global_inv scope:SCOPE_SE
	s_and_saveexec_b32 s15, s5
; %bb.599:                              ;   in Loop: Header=BB1745_558 Depth=2
	ds_load_b32 v133, v38 offset:1020
; %bb.600:                              ;   in Loop: Header=BB1745_558 Depth=2
	s_wait_alu 0xfffe
	s_or_b32 exec_lo, exec_lo, s15
	s_wait_dscnt 0x0
	v_add_nc_u32_e32 v132, v133, v132
	ds_bpermute_b32 v132, v87, v132
	s_wait_dscnt 0x0
	v_cndmask_b32_e64 v132, v132, v133, s8
	s_delay_alu instid0(VALU_DEP_1) | instskip(NEXT) | instid1(VALU_DEP_1)
	v_cndmask_b32_e64 v132, v132, 0, s6
	v_add_nc_u32_e32 v26, v132, v26
	s_delay_alu instid0(VALU_DEP_1) | instskip(NEXT) | instid1(VALU_DEP_1)
	v_add_nc_u32_e32 v27, v26, v27
	v_add_nc_u32_e32 v24, v27, v24
	s_delay_alu instid0(VALU_DEP_1) | instskip(NEXT) | instid1(VALU_DEP_1)
	v_add_nc_u32_e32 v25, v24, v25
	;; [unrolled: 3-line block ×3, first 2 shown]
	v_add_nc_u32_e32 v20, v23, v20
	s_delay_alu instid0(VALU_DEP_1)
	v_add_nc_u32_e32 v21, v20, v21
	ds_store_2addr_b32 v81, v23, v20 offset1:1
	ds_store_2addr_b32 v78, v132, v26 offset1:1
	;; [unrolled: 1-line block ×4, first 2 shown]
	ds_store_b32 v43, v21 offset:1088
	s_wait_loadcnt_dscnt 0x0
	s_barrier_signal -1
	s_barrier_wait -1
	global_inv scope:SCOPE_SE
	ds_load_b32 v23, v104 offset:1056
	ds_load_b32 v24, v108 offset:1056
	ds_load_b32 v25, v112 offset:1056
	ds_load_b32 v26, v116 offset:1056
	ds_load_b32 v27, v120 offset:1056
	ds_load_b32 v112, v124 offset:1056
	ds_load_b32 v20, v128 offset:1056
	ds_load_b32 v21, v131 offset:1056
	ds_load_b32 v104, v43 offset:1056
	v_mov_b32_e32 v22, 0x800
	s_and_saveexec_b32 s15, s7
; %bb.601:                              ;   in Loop: Header=BB1745_558 Depth=2
	ds_load_b32 v22, v43 offset:1092
; %bb.602:                              ;   in Loop: Header=BB1745_558 Depth=2
	s_wait_alu 0xfffe
	s_or_b32 exec_lo, exec_lo, s15
	s_wait_loadcnt_dscnt 0x0
	s_barrier_signal -1
	s_barrier_wait -1
	global_inv scope:SCOPE_SE
	s_and_saveexec_b32 s15, s2
	s_cbranch_execz .LBB1745_604
; %bb.603:                              ;   in Loop: Header=BB1745_558 Depth=2
	ds_load_b32 v108, v28
	s_wait_dscnt 0x0
	v_sub_nc_u32_e32 v104, v108, v104
	ds_store_b32 v28, v104
.LBB1745_604:                           ;   in Loop: Header=BB1745_558 Depth=2
	s_wait_alu 0xfffe
	s_or_b32 exec_lo, exec_lo, s15
	v_add_nc_u32_e32 v108, v23, v102
	v_add3_u32 v104, v106, v105, v24
	v_add3_u32 v102, v111, v109, v25
	;; [unrolled: 1-line block ×4, first 2 shown]
	v_lshlrev_b32_e32 v105, 1, v108
	v_lshlrev_b32_e32 v106, 1, v104
	v_add3_u32 v23, v123, v121, v112
	v_lshlrev_b32_e32 v109, 1, v102
	v_add3_u32 v27, v126, v125, v20
	v_add3_u32 v26, v130, v129, v21
	ds_store_b16 v105, v2 offset:1024
	ds_store_b16 v106, v103 offset:1024
	ds_store_b16 v109, v107 offset:1024
	v_lshlrev_b32_e32 v2, 1, v25
	v_cmp_lt_u32_e32 vcc_lo, v1, v101
	v_lshlrev_b32_e32 v20, 1, v24
	v_lshlrev_b32_e32 v21, 1, v23
	;; [unrolled: 1-line block ×4, first 2 shown]
	ds_store_b16 v2, v110 offset:1024
	ds_store_b16 v20, v114 offset:1024
	;; [unrolled: 1-line block ×5, first 2 shown]
	s_wait_loadcnt_dscnt 0x0
	s_barrier_signal -1
	s_barrier_wait -1
	global_inv scope:SCOPE_SE
	s_and_saveexec_b32 s16, vcc_lo
	s_cbranch_execnz .LBB1745_641
; %bb.605:                              ;   in Loop: Header=BB1745_558 Depth=2
	s_wait_alu 0xfffe
	s_or_b32 exec_lo, exec_lo, s16
	v_cmp_lt_u32_e64 s15, v29, v101
	s_and_saveexec_b32 s17, s15
	s_cbranch_execnz .LBB1745_642
.LBB1745_606:                           ;   in Loop: Header=BB1745_558 Depth=2
	s_wait_alu 0xfffe
	s_or_b32 exec_lo, exec_lo, s17
	v_cmp_lt_u32_e64 s16, v30, v101
	s_and_saveexec_b32 s18, s16
	s_cbranch_execnz .LBB1745_643
.LBB1745_607:                           ;   in Loop: Header=BB1745_558 Depth=2
	s_wait_alu 0xfffe
	s_or_b32 exec_lo, exec_lo, s18
	v_cmp_lt_u32_e64 s17, v31, v101
	s_and_saveexec_b32 s19, s17
	s_cbranch_execnz .LBB1745_644
.LBB1745_608:                           ;   in Loop: Header=BB1745_558 Depth=2
	s_wait_alu 0xfffe
	s_or_b32 exec_lo, exec_lo, s19
	v_cmp_lt_u32_e64 s18, v34, v101
	s_and_saveexec_b32 s20, s18
	s_cbranch_execnz .LBB1745_645
.LBB1745_609:                           ;   in Loop: Header=BB1745_558 Depth=2
	s_wait_alu 0xfffe
	s_or_b32 exec_lo, exec_lo, s20
	v_cmp_lt_u32_e64 s19, v35, v101
	s_and_saveexec_b32 s21, s19
	s_cbranch_execnz .LBB1745_646
.LBB1745_610:                           ;   in Loop: Header=BB1745_558 Depth=2
	s_wait_alu 0xfffe
	s_or_b32 exec_lo, exec_lo, s21
	v_cmp_lt_u32_e64 s20, v36, v101
	s_and_saveexec_b32 s22, s20
	s_cbranch_execnz .LBB1745_647
.LBB1745_611:                           ;   in Loop: Header=BB1745_558 Depth=2
	s_wait_alu 0xfffe
	s_or_b32 exec_lo, exec_lo, s22
	v_cmp_lt_u32_e64 s21, v37, v101
	s_and_saveexec_b32 s48, s21
	s_cbranch_execz .LBB1745_613
.LBB1745_612:                           ;   in Loop: Header=BB1745_558 Depth=2
	ds_load_u16 v103, v47 offset:4608
	s_wait_dscnt 0x0
	v_cmp_ne_u16_e64 s22, 0x8000, v103
	s_wait_alu 0xf1ff
	s_delay_alu instid0(VALU_DEP_1) | instskip(SKIP_1) | instid1(VALU_DEP_2)
	v_cndmask_b32_e64 v2, 0x7fff, v103, s22
	v_cmp_gt_i16_e64 s22, 0, v103
	v_and_b32_e32 v2, 0xffff, v2
	s_wait_alu 0xf1ff
	s_delay_alu instid0(VALU_DEP_2) | instskip(NEXT) | instid1(VALU_DEP_2)
	v_cndmask_b32_e64 v105, 0x7fff, 0, s22
	v_lshrrev_b32_e32 v2, s45, v2
	s_delay_alu instid0(VALU_DEP_1) | instskip(NEXT) | instid1(VALU_DEP_1)
	v_and_b32_e32 v2, s42, v2
	v_lshlrev_b32_e32 v2, 2, v2
	ds_load_b32 v2, v2
	s_wait_dscnt 0x0
	v_add_nc_u32_e32 v2, v2, v37
	s_delay_alu instid0(VALU_DEP_1) | instskip(SKIP_1) | instid1(VALU_DEP_2)
	v_lshlrev_b64_e32 v[20:21], 1, v[2:3]
	v_xor_b32_e32 v2, v105, v103
	v_add_co_u32 v20, s22, s40, v20
	s_wait_alu 0xf1ff
	s_delay_alu instid0(VALU_DEP_3)
	v_add_co_ci_u32_e64 v21, null, s41, v21, s22
	global_store_b16 v[20:21], v2, off
.LBB1745_613:                           ;   in Loop: Header=BB1745_558 Depth=2
	s_wait_alu 0xfffe
	s_or_b32 exec_lo, exec_lo, s48
	s_lshl_b64 s[48:49], s[30:31], 3
	s_wait_alu 0xfffe
	v_add_co_u32 v20, s22, v88, s48
	s_wait_alu 0xf1ff
	v_add_co_ci_u32_e64 v21, null, s49, v89, s22
	v_cmp_lt_u32_e64 s22, v66, v101
	s_and_saveexec_b32 s30, s22
	s_wait_alu 0xfffe
	s_xor_b32 s22, exec_lo, s30
	s_cbranch_execnz .LBB1745_648
; %bb.614:                              ;   in Loop: Header=BB1745_558 Depth=2
	s_wait_alu 0xfffe
	s_or_b32 exec_lo, exec_lo, s22
	s_delay_alu instid0(SALU_CYCLE_1)
	s_mov_b32 s30, exec_lo
	v_cmpx_lt_u32_e64 v70, v101
	s_cbranch_execnz .LBB1745_649
.LBB1745_615:                           ;   in Loop: Header=BB1745_558 Depth=2
	s_wait_alu 0xfffe
	s_or_b32 exec_lo, exec_lo, s30
	s_delay_alu instid0(SALU_CYCLE_1)
	s_mov_b32 s30, exec_lo
	v_cmpx_lt_u32_e64 v71, v101
	s_cbranch_execnz .LBB1745_650
.LBB1745_616:                           ;   in Loop: Header=BB1745_558 Depth=2
	s_wait_alu 0xfffe
	s_or_b32 exec_lo, exec_lo, s30
	s_delay_alu instid0(SALU_CYCLE_1)
	s_mov_b32 s30, exec_lo
	v_cmpx_lt_u32_e64 v72, v101
	s_cbranch_execnz .LBB1745_651
.LBB1745_617:                           ;   in Loop: Header=BB1745_558 Depth=2
	s_wait_alu 0xfffe
	s_or_b32 exec_lo, exec_lo, s30
	s_delay_alu instid0(SALU_CYCLE_1)
	s_mov_b32 s30, exec_lo
	v_cmpx_lt_u32_e64 v73, v101
	s_cbranch_execnz .LBB1745_652
.LBB1745_618:                           ;   in Loop: Header=BB1745_558 Depth=2
	s_wait_alu 0xfffe
	s_or_b32 exec_lo, exec_lo, s30
	s_delay_alu instid0(SALU_CYCLE_1)
	s_mov_b32 s30, exec_lo
	v_cmpx_lt_u32_e64 v74, v101
	s_cbranch_execnz .LBB1745_653
.LBB1745_619:                           ;   in Loop: Header=BB1745_558 Depth=2
	s_wait_alu 0xfffe
	s_or_b32 exec_lo, exec_lo, s30
	s_delay_alu instid0(SALU_CYCLE_1)
	s_mov_b32 s30, exec_lo
	v_cmpx_lt_u32_e64 v75, v101
	s_cbranch_execnz .LBB1745_654
.LBB1745_620:                           ;   in Loop: Header=BB1745_558 Depth=2
	s_wait_alu 0xfffe
	s_or_b32 exec_lo, exec_lo, s30
	s_delay_alu instid0(SALU_CYCLE_1)
	s_mov_b32 s30, exec_lo
	v_cmpx_lt_u32_e64 v76, v101
	s_cbranch_execnz .LBB1745_655
.LBB1745_621:                           ;   in Loop: Header=BB1745_558 Depth=2
	s_wait_alu 0xfffe
	s_or_b32 exec_lo, exec_lo, s30
	s_and_saveexec_b32 s30, vcc_lo
	s_cbranch_execnz .LBB1745_656
.LBB1745_622:                           ;   in Loop: Header=BB1745_558 Depth=2
	s_wait_alu 0xfffe
	s_or_b32 exec_lo, exec_lo, s30
	s_and_saveexec_b32 s30, s15
	s_cbranch_execnz .LBB1745_657
.LBB1745_623:                           ;   in Loop: Header=BB1745_558 Depth=2
	s_wait_alu 0xfffe
	s_or_b32 exec_lo, exec_lo, s30
	s_and_saveexec_b32 s30, s16
	s_cbranch_execnz .LBB1745_658
.LBB1745_624:                           ;   in Loop: Header=BB1745_558 Depth=2
	s_wait_alu 0xfffe
	s_or_b32 exec_lo, exec_lo, s30
	s_and_saveexec_b32 s30, s17
	s_cbranch_execnz .LBB1745_659
.LBB1745_625:                           ;   in Loop: Header=BB1745_558 Depth=2
	s_wait_alu 0xfffe
	s_or_b32 exec_lo, exec_lo, s30
	s_and_saveexec_b32 s30, s18
	s_cbranch_execnz .LBB1745_660
.LBB1745_626:                           ;   in Loop: Header=BB1745_558 Depth=2
	s_wait_alu 0xfffe
	s_or_b32 exec_lo, exec_lo, s30
	s_and_saveexec_b32 s30, s19
	s_cbranch_execnz .LBB1745_661
.LBB1745_627:                           ;   in Loop: Header=BB1745_558 Depth=2
	s_wait_alu 0xfffe
	s_or_b32 exec_lo, exec_lo, s30
	s_and_saveexec_b32 s30, s20
	s_cbranch_execnz .LBB1745_662
.LBB1745_628:                           ;   in Loop: Header=BB1745_558 Depth=2
	s_wait_alu 0xfffe
	s_or_b32 exec_lo, exec_lo, s30
	s_and_saveexec_b32 s30, s21
	s_cbranch_execz .LBB1745_630
.LBB1745_629:                           ;   in Loop: Header=BB1745_558 Depth=2
	ds_load_u16 v2, v47 offset:4608
	s_wait_dscnt 0x0
	v_cmp_ne_u16_e64 s22, 0x8000, v2
	s_wait_alu 0xf1ff
	s_delay_alu instid0(VALU_DEP_1) | instskip(NEXT) | instid1(VALU_DEP_1)
	v_cndmask_b32_e64 v2, 0x7fff, v2, s22
	v_and_b32_e32 v2, 0xffff, v2
	s_delay_alu instid0(VALU_DEP_1) | instskip(NEXT) | instid1(VALU_DEP_1)
	v_lshrrev_b32_e32 v2, s45, v2
	v_and_b32_e32 v93, s42, v2
.LBB1745_630:                           ;   in Loop: Header=BB1745_558 Depth=2
	s_wait_alu 0xfffe
	s_or_b32 exec_lo, exec_lo, s30
	v_lshlrev_b32_e32 v2, 3, v108
	v_lshlrev_b32_e32 v20, 3, v104
	;; [unrolled: 1-line block ×3, first 2 shown]
	s_wait_loadcnt 0x0
	s_wait_storecnt 0x0
	s_barrier_signal -1
	s_barrier_wait -1
	global_inv scope:SCOPE_SE
	ds_store_b64 v2, v[18:19] offset:1024
	ds_store_b64 v20, v[16:17] offset:1024
	;; [unrolled: 1-line block ×3, first 2 shown]
	v_lshlrev_b32_e32 v2, 3, v25
	v_lshlrev_b32_e32 v20, 3, v24
	v_lshlrev_b32_e32 v21, 3, v23
	v_lshlrev_b32_e32 v23, 3, v27
	v_lshlrev_b32_e32 v24, 3, v26
	ds_store_b64 v2, v[12:13] offset:1024
	ds_store_b64 v20, v[10:11] offset:1024
	;; [unrolled: 1-line block ×5, first 2 shown]
	v_add_nc_u32_e32 v20, v47, v48
	s_wait_loadcnt_dscnt 0x0
	s_barrier_signal -1
	s_barrier_wait -1
	global_inv scope:SCOPE_SE
	s_and_saveexec_b32 s22, vcc_lo
	s_cbranch_execnz .LBB1745_663
; %bb.631:                              ;   in Loop: Header=BB1745_558 Depth=2
	s_wait_alu 0xfffe
	s_or_b32 exec_lo, exec_lo, s22
	s_and_saveexec_b32 s22, s15
	s_cbranch_execnz .LBB1745_664
.LBB1745_632:                           ;   in Loop: Header=BB1745_558 Depth=2
	s_wait_alu 0xfffe
	s_or_b32 exec_lo, exec_lo, s22
	s_and_saveexec_b32 s15, s16
	s_cbranch_execnz .LBB1745_665
.LBB1745_633:                           ;   in Loop: Header=BB1745_558 Depth=2
	s_wait_alu 0xfffe
	s_or_b32 exec_lo, exec_lo, s15
	s_and_saveexec_b32 s15, s17
	s_cbranch_execnz .LBB1745_666
.LBB1745_634:                           ;   in Loop: Header=BB1745_558 Depth=2
	s_wait_alu 0xfffe
	s_or_b32 exec_lo, exec_lo, s15
	s_and_saveexec_b32 s15, s18
	s_cbranch_execnz .LBB1745_667
.LBB1745_635:                           ;   in Loop: Header=BB1745_558 Depth=2
	s_wait_alu 0xfffe
	s_or_b32 exec_lo, exec_lo, s15
	s_and_saveexec_b32 s15, s19
	s_cbranch_execnz .LBB1745_668
.LBB1745_636:                           ;   in Loop: Header=BB1745_558 Depth=2
	s_wait_alu 0xfffe
	s_or_b32 exec_lo, exec_lo, s15
	s_and_saveexec_b32 s15, s20
	s_cbranch_execnz .LBB1745_669
.LBB1745_637:                           ;   in Loop: Header=BB1745_558 Depth=2
	s_wait_alu 0xfffe
	s_or_b32 exec_lo, exec_lo, s15
	s_and_saveexec_b32 s15, s21
	s_cbranch_execz .LBB1745_639
.LBB1745_638:                           ;   in Loop: Header=BB1745_558 Depth=2
	v_lshlrev_b32_e32 v2, 2, v93
	ds_load_b32 v2, v2
	ds_load_b64 v[20:21], v20 offset:15360
	s_wait_dscnt 0x1
	v_add_nc_u32_e32 v2, v2, v37
	s_delay_alu instid0(VALU_DEP_1) | instskip(NEXT) | instid1(VALU_DEP_1)
	v_lshlrev_b64_e32 v[23:24], 3, v[2:3]
	v_add_co_u32 v23, vcc_lo, s26, v23
	s_wait_alu 0xfffd
	s_delay_alu instid0(VALU_DEP_2)
	v_add_co_ci_u32_e64 v24, null, s27, v24, vcc_lo
	s_wait_dscnt 0x0
	global_store_b64 v[23:24], v[20:21], off
.LBB1745_639:                           ;   in Loop: Header=BB1745_558 Depth=2
	s_wait_alu 0xfffe
	s_or_b32 exec_lo, exec_lo, s15
	s_wait_loadcnt 0x0
	s_wait_storecnt 0x0
	s_barrier_signal -1
	s_barrier_wait -1
	global_inv scope:SCOPE_SE
	s_and_saveexec_b32 s15, s2
	s_cbranch_execz .LBB1745_557
; %bb.640:                              ;   in Loop: Header=BB1745_558 Depth=2
	ds_load_b32 v2, v28
	s_wait_dscnt 0x0
	v_add_nc_u32_e32 v2, v2, v22
	ds_store_b32 v28, v2
	s_branch .LBB1745_557
.LBB1745_641:                           ;   in Loop: Header=BB1745_558 Depth=2
	ds_load_u16 v103, v47 offset:1024
	s_wait_dscnt 0x0
	v_cmp_ne_u16_e64 s15, 0x8000, v103
	s_wait_alu 0xf1ff
	s_delay_alu instid0(VALU_DEP_1) | instskip(SKIP_1) | instid1(VALU_DEP_2)
	v_cndmask_b32_e64 v2, 0x7fff, v103, s15
	v_cmp_gt_i16_e64 s15, 0, v103
	v_and_b32_e32 v2, 0xffff, v2
	s_wait_alu 0xf1ff
	s_delay_alu instid0(VALU_DEP_2) | instskip(NEXT) | instid1(VALU_DEP_2)
	v_cndmask_b32_e64 v105, 0x7fff, 0, s15
	v_lshrrev_b32_e32 v2, s45, v2
	s_delay_alu instid0(VALU_DEP_1) | instskip(NEXT) | instid1(VALU_DEP_1)
	v_and_b32_e32 v2, s42, v2
	v_lshlrev_b32_e32 v2, 2, v2
	ds_load_b32 v2, v2
	s_wait_dscnt 0x0
	v_add_nc_u32_e32 v2, v2, v1
	s_delay_alu instid0(VALU_DEP_1) | instskip(SKIP_1) | instid1(VALU_DEP_2)
	v_lshlrev_b64_e32 v[20:21], 1, v[2:3]
	v_xor_b32_e32 v2, v105, v103
	v_add_co_u32 v20, s15, s40, v20
	s_wait_alu 0xf1ff
	s_delay_alu instid0(VALU_DEP_3)
	v_add_co_ci_u32_e64 v21, null, s41, v21, s15
	global_store_b16 v[20:21], v2, off
	s_wait_alu 0xfffe
	s_or_b32 exec_lo, exec_lo, s16
	v_cmp_lt_u32_e64 s15, v29, v101
	s_and_saveexec_b32 s17, s15
	s_cbranch_execz .LBB1745_606
.LBB1745_642:                           ;   in Loop: Header=BB1745_558 Depth=2
	ds_load_u16 v103, v47 offset:1536
	s_wait_dscnt 0x0
	v_cmp_ne_u16_e64 s16, 0x8000, v103
	s_wait_alu 0xf1ff
	s_delay_alu instid0(VALU_DEP_1) | instskip(SKIP_1) | instid1(VALU_DEP_2)
	v_cndmask_b32_e64 v2, 0x7fff, v103, s16
	v_cmp_gt_i16_e64 s16, 0, v103
	v_and_b32_e32 v2, 0xffff, v2
	s_wait_alu 0xf1ff
	s_delay_alu instid0(VALU_DEP_2) | instskip(NEXT) | instid1(VALU_DEP_2)
	v_cndmask_b32_e64 v105, 0x7fff, 0, s16
	v_lshrrev_b32_e32 v2, s45, v2
	s_delay_alu instid0(VALU_DEP_1) | instskip(NEXT) | instid1(VALU_DEP_1)
	v_and_b32_e32 v2, s42, v2
	v_lshlrev_b32_e32 v2, 2, v2
	ds_load_b32 v2, v2
	s_wait_dscnt 0x0
	v_add_nc_u32_e32 v2, v2, v29
	s_delay_alu instid0(VALU_DEP_1) | instskip(SKIP_1) | instid1(VALU_DEP_2)
	v_lshlrev_b64_e32 v[20:21], 1, v[2:3]
	v_xor_b32_e32 v2, v105, v103
	v_add_co_u32 v20, s16, s40, v20
	s_wait_alu 0xf1ff
	s_delay_alu instid0(VALU_DEP_3)
	v_add_co_ci_u32_e64 v21, null, s41, v21, s16
	global_store_b16 v[20:21], v2, off
	s_wait_alu 0xfffe
	s_or_b32 exec_lo, exec_lo, s17
	v_cmp_lt_u32_e64 s16, v30, v101
	s_and_saveexec_b32 s18, s16
	s_cbranch_execz .LBB1745_607
.LBB1745_643:                           ;   in Loop: Header=BB1745_558 Depth=2
	ds_load_u16 v103, v47 offset:2048
	s_wait_dscnt 0x0
	v_cmp_ne_u16_e64 s17, 0x8000, v103
	s_wait_alu 0xf1ff
	s_delay_alu instid0(VALU_DEP_1) | instskip(SKIP_1) | instid1(VALU_DEP_2)
	v_cndmask_b32_e64 v2, 0x7fff, v103, s17
	v_cmp_gt_i16_e64 s17, 0, v103
	v_and_b32_e32 v2, 0xffff, v2
	s_wait_alu 0xf1ff
	s_delay_alu instid0(VALU_DEP_2) | instskip(NEXT) | instid1(VALU_DEP_2)
	v_cndmask_b32_e64 v105, 0x7fff, 0, s17
	v_lshrrev_b32_e32 v2, s45, v2
	s_delay_alu instid0(VALU_DEP_1) | instskip(NEXT) | instid1(VALU_DEP_1)
	v_and_b32_e32 v2, s42, v2
	v_lshlrev_b32_e32 v2, 2, v2
	ds_load_b32 v2, v2
	s_wait_dscnt 0x0
	v_add_nc_u32_e32 v2, v2, v30
	s_delay_alu instid0(VALU_DEP_1) | instskip(SKIP_1) | instid1(VALU_DEP_2)
	v_lshlrev_b64_e32 v[20:21], 1, v[2:3]
	v_xor_b32_e32 v2, v105, v103
	v_add_co_u32 v20, s17, s40, v20
	s_wait_alu 0xf1ff
	s_delay_alu instid0(VALU_DEP_3)
	v_add_co_ci_u32_e64 v21, null, s41, v21, s17
	global_store_b16 v[20:21], v2, off
	s_wait_alu 0xfffe
	s_or_b32 exec_lo, exec_lo, s18
	v_cmp_lt_u32_e64 s17, v31, v101
	s_and_saveexec_b32 s19, s17
	s_cbranch_execz .LBB1745_608
.LBB1745_644:                           ;   in Loop: Header=BB1745_558 Depth=2
	ds_load_u16 v103, v47 offset:2560
	s_wait_dscnt 0x0
	v_cmp_ne_u16_e64 s18, 0x8000, v103
	s_wait_alu 0xf1ff
	s_delay_alu instid0(VALU_DEP_1) | instskip(SKIP_1) | instid1(VALU_DEP_2)
	v_cndmask_b32_e64 v2, 0x7fff, v103, s18
	v_cmp_gt_i16_e64 s18, 0, v103
	v_and_b32_e32 v2, 0xffff, v2
	s_wait_alu 0xf1ff
	s_delay_alu instid0(VALU_DEP_2) | instskip(NEXT) | instid1(VALU_DEP_2)
	v_cndmask_b32_e64 v105, 0x7fff, 0, s18
	v_lshrrev_b32_e32 v2, s45, v2
	s_delay_alu instid0(VALU_DEP_1) | instskip(NEXT) | instid1(VALU_DEP_1)
	v_and_b32_e32 v2, s42, v2
	v_lshlrev_b32_e32 v2, 2, v2
	ds_load_b32 v2, v2
	s_wait_dscnt 0x0
	v_add_nc_u32_e32 v2, v2, v31
	s_delay_alu instid0(VALU_DEP_1) | instskip(SKIP_1) | instid1(VALU_DEP_2)
	v_lshlrev_b64_e32 v[20:21], 1, v[2:3]
	v_xor_b32_e32 v2, v105, v103
	v_add_co_u32 v20, s18, s40, v20
	s_wait_alu 0xf1ff
	s_delay_alu instid0(VALU_DEP_3)
	v_add_co_ci_u32_e64 v21, null, s41, v21, s18
	global_store_b16 v[20:21], v2, off
	s_wait_alu 0xfffe
	s_or_b32 exec_lo, exec_lo, s19
	v_cmp_lt_u32_e64 s18, v34, v101
	s_and_saveexec_b32 s20, s18
	s_cbranch_execz .LBB1745_609
.LBB1745_645:                           ;   in Loop: Header=BB1745_558 Depth=2
	ds_load_u16 v103, v47 offset:3072
	s_wait_dscnt 0x0
	v_cmp_ne_u16_e64 s19, 0x8000, v103
	s_wait_alu 0xf1ff
	s_delay_alu instid0(VALU_DEP_1) | instskip(SKIP_1) | instid1(VALU_DEP_2)
	v_cndmask_b32_e64 v2, 0x7fff, v103, s19
	v_cmp_gt_i16_e64 s19, 0, v103
	v_and_b32_e32 v2, 0xffff, v2
	s_wait_alu 0xf1ff
	s_delay_alu instid0(VALU_DEP_2) | instskip(NEXT) | instid1(VALU_DEP_2)
	v_cndmask_b32_e64 v105, 0x7fff, 0, s19
	v_lshrrev_b32_e32 v2, s45, v2
	s_delay_alu instid0(VALU_DEP_1) | instskip(NEXT) | instid1(VALU_DEP_1)
	v_and_b32_e32 v2, s42, v2
	v_lshlrev_b32_e32 v2, 2, v2
	ds_load_b32 v2, v2
	s_wait_dscnt 0x0
	v_add_nc_u32_e32 v2, v2, v34
	s_delay_alu instid0(VALU_DEP_1) | instskip(SKIP_1) | instid1(VALU_DEP_2)
	v_lshlrev_b64_e32 v[20:21], 1, v[2:3]
	v_xor_b32_e32 v2, v105, v103
	v_add_co_u32 v20, s19, s40, v20
	s_wait_alu 0xf1ff
	s_delay_alu instid0(VALU_DEP_3)
	v_add_co_ci_u32_e64 v21, null, s41, v21, s19
	global_store_b16 v[20:21], v2, off
	s_wait_alu 0xfffe
	s_or_b32 exec_lo, exec_lo, s20
	v_cmp_lt_u32_e64 s19, v35, v101
	s_and_saveexec_b32 s21, s19
	s_cbranch_execz .LBB1745_610
.LBB1745_646:                           ;   in Loop: Header=BB1745_558 Depth=2
	ds_load_u16 v103, v47 offset:3584
	s_wait_dscnt 0x0
	v_cmp_ne_u16_e64 s20, 0x8000, v103
	s_wait_alu 0xf1ff
	s_delay_alu instid0(VALU_DEP_1) | instskip(SKIP_1) | instid1(VALU_DEP_2)
	v_cndmask_b32_e64 v2, 0x7fff, v103, s20
	v_cmp_gt_i16_e64 s20, 0, v103
	v_and_b32_e32 v2, 0xffff, v2
	s_wait_alu 0xf1ff
	s_delay_alu instid0(VALU_DEP_2) | instskip(NEXT) | instid1(VALU_DEP_2)
	v_cndmask_b32_e64 v105, 0x7fff, 0, s20
	v_lshrrev_b32_e32 v2, s45, v2
	s_delay_alu instid0(VALU_DEP_1) | instskip(NEXT) | instid1(VALU_DEP_1)
	v_and_b32_e32 v2, s42, v2
	v_lshlrev_b32_e32 v2, 2, v2
	ds_load_b32 v2, v2
	s_wait_dscnt 0x0
	v_add_nc_u32_e32 v2, v2, v35
	s_delay_alu instid0(VALU_DEP_1) | instskip(SKIP_1) | instid1(VALU_DEP_2)
	v_lshlrev_b64_e32 v[20:21], 1, v[2:3]
	v_xor_b32_e32 v2, v105, v103
	v_add_co_u32 v20, s20, s40, v20
	s_wait_alu 0xf1ff
	s_delay_alu instid0(VALU_DEP_3)
	v_add_co_ci_u32_e64 v21, null, s41, v21, s20
	global_store_b16 v[20:21], v2, off
	s_wait_alu 0xfffe
	s_or_b32 exec_lo, exec_lo, s21
	v_cmp_lt_u32_e64 s20, v36, v101
	s_and_saveexec_b32 s22, s20
	s_cbranch_execz .LBB1745_611
.LBB1745_647:                           ;   in Loop: Header=BB1745_558 Depth=2
	ds_load_u16 v103, v47 offset:4096
	s_wait_dscnt 0x0
	v_cmp_ne_u16_e64 s21, 0x8000, v103
	s_wait_alu 0xf1ff
	s_delay_alu instid0(VALU_DEP_1) | instskip(SKIP_1) | instid1(VALU_DEP_2)
	v_cndmask_b32_e64 v2, 0x7fff, v103, s21
	v_cmp_gt_i16_e64 s21, 0, v103
	v_and_b32_e32 v2, 0xffff, v2
	s_wait_alu 0xf1ff
	s_delay_alu instid0(VALU_DEP_2) | instskip(NEXT) | instid1(VALU_DEP_2)
	v_cndmask_b32_e64 v105, 0x7fff, 0, s21
	v_lshrrev_b32_e32 v2, s45, v2
	s_delay_alu instid0(VALU_DEP_1) | instskip(NEXT) | instid1(VALU_DEP_1)
	v_and_b32_e32 v2, s42, v2
	v_lshlrev_b32_e32 v2, 2, v2
	ds_load_b32 v2, v2
	s_wait_dscnt 0x0
	v_add_nc_u32_e32 v2, v2, v36
	s_delay_alu instid0(VALU_DEP_1) | instskip(SKIP_1) | instid1(VALU_DEP_2)
	v_lshlrev_b64_e32 v[20:21], 1, v[2:3]
	v_xor_b32_e32 v2, v105, v103
	v_add_co_u32 v20, s21, s40, v20
	s_wait_alu 0xf1ff
	s_delay_alu instid0(VALU_DEP_3)
	v_add_co_ci_u32_e64 v21, null, s41, v21, s21
	global_store_b16 v[20:21], v2, off
	s_wait_alu 0xfffe
	s_or_b32 exec_lo, exec_lo, s22
	v_cmp_lt_u32_e64 s21, v37, v101
	s_and_saveexec_b32 s48, s21
	s_cbranch_execnz .LBB1745_612
	s_branch .LBB1745_613
.LBB1745_648:                           ;   in Loop: Header=BB1745_558 Depth=2
	global_load_b64 v[18:19], v[20:21], off
	s_wait_alu 0xfffe
	s_or_b32 exec_lo, exec_lo, s22
	s_delay_alu instid0(SALU_CYCLE_1)
	s_mov_b32 s30, exec_lo
	v_cmpx_lt_u32_e64 v70, v101
	s_cbranch_execz .LBB1745_615
.LBB1745_649:                           ;   in Loop: Header=BB1745_558 Depth=2
	global_load_b64 v[16:17], v[20:21], off offset:256
	s_wait_alu 0xfffe
	s_or_b32 exec_lo, exec_lo, s30
	s_delay_alu instid0(SALU_CYCLE_1)
	s_mov_b32 s30, exec_lo
	v_cmpx_lt_u32_e64 v71, v101
	s_cbranch_execz .LBB1745_616
.LBB1745_650:                           ;   in Loop: Header=BB1745_558 Depth=2
	global_load_b64 v[14:15], v[20:21], off offset:512
	s_wait_alu 0xfffe
	s_or_b32 exec_lo, exec_lo, s30
	s_delay_alu instid0(SALU_CYCLE_1)
	s_mov_b32 s30, exec_lo
	v_cmpx_lt_u32_e64 v72, v101
	s_cbranch_execz .LBB1745_617
.LBB1745_651:                           ;   in Loop: Header=BB1745_558 Depth=2
	global_load_b64 v[12:13], v[20:21], off offset:768
	s_wait_alu 0xfffe
	s_or_b32 exec_lo, exec_lo, s30
	s_delay_alu instid0(SALU_CYCLE_1)
	s_mov_b32 s30, exec_lo
	v_cmpx_lt_u32_e64 v73, v101
	s_cbranch_execz .LBB1745_618
.LBB1745_652:                           ;   in Loop: Header=BB1745_558 Depth=2
	global_load_b64 v[10:11], v[20:21], off offset:1024
	s_wait_alu 0xfffe
	s_or_b32 exec_lo, exec_lo, s30
	s_delay_alu instid0(SALU_CYCLE_1)
	s_mov_b32 s30, exec_lo
	v_cmpx_lt_u32_e64 v74, v101
	s_cbranch_execz .LBB1745_619
.LBB1745_653:                           ;   in Loop: Header=BB1745_558 Depth=2
	global_load_b64 v[8:9], v[20:21], off offset:1280
	s_wait_alu 0xfffe
	s_or_b32 exec_lo, exec_lo, s30
	s_delay_alu instid0(SALU_CYCLE_1)
	s_mov_b32 s30, exec_lo
	v_cmpx_lt_u32_e64 v75, v101
	s_cbranch_execz .LBB1745_620
.LBB1745_654:                           ;   in Loop: Header=BB1745_558 Depth=2
	global_load_b64 v[6:7], v[20:21], off offset:1536
	s_wait_alu 0xfffe
	s_or_b32 exec_lo, exec_lo, s30
	s_delay_alu instid0(SALU_CYCLE_1)
	s_mov_b32 s30, exec_lo
	v_cmpx_lt_u32_e64 v76, v101
	s_cbranch_execz .LBB1745_621
.LBB1745_655:                           ;   in Loop: Header=BB1745_558 Depth=2
	global_load_b64 v[4:5], v[20:21], off offset:1792
	s_wait_alu 0xfffe
	s_or_b32 exec_lo, exec_lo, s30
	s_and_saveexec_b32 s30, vcc_lo
	s_cbranch_execz .LBB1745_622
.LBB1745_656:                           ;   in Loop: Header=BB1745_558 Depth=2
	ds_load_u16 v2, v47 offset:1024
	s_wait_dscnt 0x0
	v_cmp_ne_u16_e64 s22, 0x8000, v2
	s_wait_alu 0xf1ff
	s_delay_alu instid0(VALU_DEP_1) | instskip(NEXT) | instid1(VALU_DEP_1)
	v_cndmask_b32_e64 v2, 0x7fff, v2, s22
	v_and_b32_e32 v2, 0xffff, v2
	s_delay_alu instid0(VALU_DEP_1) | instskip(NEXT) | instid1(VALU_DEP_1)
	v_lshrrev_b32_e32 v2, s45, v2
	v_and_b32_e32 v100, s42, v2
	s_wait_alu 0xfffe
	s_or_b32 exec_lo, exec_lo, s30
	s_and_saveexec_b32 s30, s15
	s_cbranch_execz .LBB1745_623
.LBB1745_657:                           ;   in Loop: Header=BB1745_558 Depth=2
	ds_load_u16 v2, v47 offset:1536
	s_wait_dscnt 0x0
	v_cmp_ne_u16_e64 s22, 0x8000, v2
	s_wait_alu 0xf1ff
	s_delay_alu instid0(VALU_DEP_1) | instskip(NEXT) | instid1(VALU_DEP_1)
	v_cndmask_b32_e64 v2, 0x7fff, v2, s22
	v_and_b32_e32 v2, 0xffff, v2
	s_delay_alu instid0(VALU_DEP_1) | instskip(NEXT) | instid1(VALU_DEP_1)
	v_lshrrev_b32_e32 v2, s45, v2
	v_and_b32_e32 v99, s42, v2
	s_wait_alu 0xfffe
	s_or_b32 exec_lo, exec_lo, s30
	s_and_saveexec_b32 s30, s16
	s_cbranch_execz .LBB1745_624
.LBB1745_658:                           ;   in Loop: Header=BB1745_558 Depth=2
	ds_load_u16 v2, v47 offset:2048
	s_wait_dscnt 0x0
	v_cmp_ne_u16_e64 s22, 0x8000, v2
	s_wait_alu 0xf1ff
	s_delay_alu instid0(VALU_DEP_1) | instskip(NEXT) | instid1(VALU_DEP_1)
	v_cndmask_b32_e64 v2, 0x7fff, v2, s22
	v_and_b32_e32 v2, 0xffff, v2
	s_delay_alu instid0(VALU_DEP_1) | instskip(NEXT) | instid1(VALU_DEP_1)
	v_lshrrev_b32_e32 v2, s45, v2
	v_and_b32_e32 v98, s42, v2
	s_wait_alu 0xfffe
	s_or_b32 exec_lo, exec_lo, s30
	s_and_saveexec_b32 s30, s17
	s_cbranch_execz .LBB1745_625
.LBB1745_659:                           ;   in Loop: Header=BB1745_558 Depth=2
	ds_load_u16 v2, v47 offset:2560
	s_wait_dscnt 0x0
	v_cmp_ne_u16_e64 s22, 0x8000, v2
	s_wait_alu 0xf1ff
	s_delay_alu instid0(VALU_DEP_1) | instskip(NEXT) | instid1(VALU_DEP_1)
	v_cndmask_b32_e64 v2, 0x7fff, v2, s22
	v_and_b32_e32 v2, 0xffff, v2
	s_delay_alu instid0(VALU_DEP_1) | instskip(NEXT) | instid1(VALU_DEP_1)
	v_lshrrev_b32_e32 v2, s45, v2
	v_and_b32_e32 v97, s42, v2
	s_wait_alu 0xfffe
	s_or_b32 exec_lo, exec_lo, s30
	s_and_saveexec_b32 s30, s18
	s_cbranch_execz .LBB1745_626
.LBB1745_660:                           ;   in Loop: Header=BB1745_558 Depth=2
	ds_load_u16 v2, v47 offset:3072
	s_wait_dscnt 0x0
	v_cmp_ne_u16_e64 s22, 0x8000, v2
	s_wait_alu 0xf1ff
	s_delay_alu instid0(VALU_DEP_1) | instskip(NEXT) | instid1(VALU_DEP_1)
	v_cndmask_b32_e64 v2, 0x7fff, v2, s22
	v_and_b32_e32 v2, 0xffff, v2
	s_delay_alu instid0(VALU_DEP_1) | instskip(NEXT) | instid1(VALU_DEP_1)
	v_lshrrev_b32_e32 v2, s45, v2
	v_and_b32_e32 v96, s42, v2
	s_wait_alu 0xfffe
	s_or_b32 exec_lo, exec_lo, s30
	s_and_saveexec_b32 s30, s19
	s_cbranch_execz .LBB1745_627
.LBB1745_661:                           ;   in Loop: Header=BB1745_558 Depth=2
	ds_load_u16 v2, v47 offset:3584
	s_wait_dscnt 0x0
	v_cmp_ne_u16_e64 s22, 0x8000, v2
	s_wait_alu 0xf1ff
	s_delay_alu instid0(VALU_DEP_1) | instskip(NEXT) | instid1(VALU_DEP_1)
	v_cndmask_b32_e64 v2, 0x7fff, v2, s22
	v_and_b32_e32 v2, 0xffff, v2
	s_delay_alu instid0(VALU_DEP_1) | instskip(NEXT) | instid1(VALU_DEP_1)
	v_lshrrev_b32_e32 v2, s45, v2
	v_and_b32_e32 v95, s42, v2
	s_wait_alu 0xfffe
	s_or_b32 exec_lo, exec_lo, s30
	s_and_saveexec_b32 s30, s20
	s_cbranch_execz .LBB1745_628
.LBB1745_662:                           ;   in Loop: Header=BB1745_558 Depth=2
	ds_load_u16 v2, v47 offset:4096
	s_wait_dscnt 0x0
	v_cmp_ne_u16_e64 s22, 0x8000, v2
	s_wait_alu 0xf1ff
	s_delay_alu instid0(VALU_DEP_1) | instskip(NEXT) | instid1(VALU_DEP_1)
	v_cndmask_b32_e64 v2, 0x7fff, v2, s22
	v_and_b32_e32 v2, 0xffff, v2
	s_delay_alu instid0(VALU_DEP_1) | instskip(NEXT) | instid1(VALU_DEP_1)
	v_lshrrev_b32_e32 v2, s45, v2
	v_and_b32_e32 v94, s42, v2
	s_wait_alu 0xfffe
	s_or_b32 exec_lo, exec_lo, s30
	s_and_saveexec_b32 s30, s21
	s_cbranch_execnz .LBB1745_629
	s_branch .LBB1745_630
.LBB1745_663:                           ;   in Loop: Header=BB1745_558 Depth=2
	v_lshlrev_b32_e32 v2, 2, v100
	ds_load_b32 v2, v2
	ds_load_b64 v[23:24], v20 offset:1024
	s_wait_dscnt 0x1
	v_add_nc_u32_e32 v2, v2, v1
	s_delay_alu instid0(VALU_DEP_1) | instskip(NEXT) | instid1(VALU_DEP_1)
	v_lshlrev_b64_e32 v[25:26], 3, v[2:3]
	v_add_co_u32 v25, vcc_lo, s26, v25
	s_wait_alu 0xfffd
	s_delay_alu instid0(VALU_DEP_2)
	v_add_co_ci_u32_e64 v26, null, s27, v26, vcc_lo
	s_wait_dscnt 0x0
	global_store_b64 v[25:26], v[23:24], off
	s_wait_alu 0xfffe
	s_or_b32 exec_lo, exec_lo, s22
	s_and_saveexec_b32 s22, s15
	s_cbranch_execz .LBB1745_632
.LBB1745_664:                           ;   in Loop: Header=BB1745_558 Depth=2
	v_lshlrev_b32_e32 v2, 2, v99
	ds_load_b32 v2, v2
	ds_load_b64 v[23:24], v20 offset:3072
	s_wait_dscnt 0x1
	v_add_nc_u32_e32 v2, v2, v29
	s_delay_alu instid0(VALU_DEP_1) | instskip(NEXT) | instid1(VALU_DEP_1)
	v_lshlrev_b64_e32 v[25:26], 3, v[2:3]
	v_add_co_u32 v25, vcc_lo, s26, v25
	s_wait_alu 0xfffd
	s_delay_alu instid0(VALU_DEP_2)
	v_add_co_ci_u32_e64 v26, null, s27, v26, vcc_lo
	s_wait_dscnt 0x0
	global_store_b64 v[25:26], v[23:24], off
	s_wait_alu 0xfffe
	s_or_b32 exec_lo, exec_lo, s22
	s_and_saveexec_b32 s15, s16
	s_cbranch_execz .LBB1745_633
.LBB1745_665:                           ;   in Loop: Header=BB1745_558 Depth=2
	v_lshlrev_b32_e32 v2, 2, v98
	ds_load_b32 v2, v2
	ds_load_b64 v[23:24], v20 offset:5120
	s_wait_dscnt 0x1
	v_add_nc_u32_e32 v2, v2, v30
	s_delay_alu instid0(VALU_DEP_1) | instskip(NEXT) | instid1(VALU_DEP_1)
	v_lshlrev_b64_e32 v[25:26], 3, v[2:3]
	v_add_co_u32 v25, vcc_lo, s26, v25
	s_wait_alu 0xfffd
	s_delay_alu instid0(VALU_DEP_2)
	v_add_co_ci_u32_e64 v26, null, s27, v26, vcc_lo
	s_wait_dscnt 0x0
	global_store_b64 v[25:26], v[23:24], off
	s_wait_alu 0xfffe
	s_or_b32 exec_lo, exec_lo, s15
	s_and_saveexec_b32 s15, s17
	s_cbranch_execz .LBB1745_634
.LBB1745_666:                           ;   in Loop: Header=BB1745_558 Depth=2
	v_lshlrev_b32_e32 v2, 2, v97
	ds_load_b32 v2, v2
	ds_load_b64 v[23:24], v20 offset:7168
	s_wait_dscnt 0x1
	v_add_nc_u32_e32 v2, v2, v31
	s_delay_alu instid0(VALU_DEP_1) | instskip(NEXT) | instid1(VALU_DEP_1)
	v_lshlrev_b64_e32 v[25:26], 3, v[2:3]
	v_add_co_u32 v25, vcc_lo, s26, v25
	s_wait_alu 0xfffd
	s_delay_alu instid0(VALU_DEP_2)
	v_add_co_ci_u32_e64 v26, null, s27, v26, vcc_lo
	s_wait_dscnt 0x0
	global_store_b64 v[25:26], v[23:24], off
	s_wait_alu 0xfffe
	s_or_b32 exec_lo, exec_lo, s15
	s_and_saveexec_b32 s15, s18
	s_cbranch_execz .LBB1745_635
.LBB1745_667:                           ;   in Loop: Header=BB1745_558 Depth=2
	v_lshlrev_b32_e32 v2, 2, v96
	ds_load_b32 v2, v2
	ds_load_b64 v[23:24], v20 offset:9216
	s_wait_dscnt 0x1
	v_add_nc_u32_e32 v2, v2, v34
	s_delay_alu instid0(VALU_DEP_1) | instskip(NEXT) | instid1(VALU_DEP_1)
	v_lshlrev_b64_e32 v[25:26], 3, v[2:3]
	v_add_co_u32 v25, vcc_lo, s26, v25
	s_wait_alu 0xfffd
	s_delay_alu instid0(VALU_DEP_2)
	v_add_co_ci_u32_e64 v26, null, s27, v26, vcc_lo
	s_wait_dscnt 0x0
	global_store_b64 v[25:26], v[23:24], off
	s_wait_alu 0xfffe
	s_or_b32 exec_lo, exec_lo, s15
	s_and_saveexec_b32 s15, s19
	s_cbranch_execz .LBB1745_636
.LBB1745_668:                           ;   in Loop: Header=BB1745_558 Depth=2
	v_lshlrev_b32_e32 v2, 2, v95
	ds_load_b32 v2, v2
	ds_load_b64 v[23:24], v20 offset:11264
	s_wait_dscnt 0x1
	v_add_nc_u32_e32 v2, v2, v35
	s_delay_alu instid0(VALU_DEP_1) | instskip(NEXT) | instid1(VALU_DEP_1)
	v_lshlrev_b64_e32 v[25:26], 3, v[2:3]
	v_add_co_u32 v25, vcc_lo, s26, v25
	s_wait_alu 0xfffd
	s_delay_alu instid0(VALU_DEP_2)
	v_add_co_ci_u32_e64 v26, null, s27, v26, vcc_lo
	s_wait_dscnt 0x0
	global_store_b64 v[25:26], v[23:24], off
	s_wait_alu 0xfffe
	s_or_b32 exec_lo, exec_lo, s15
	s_and_saveexec_b32 s15, s20
	s_cbranch_execz .LBB1745_637
.LBB1745_669:                           ;   in Loop: Header=BB1745_558 Depth=2
	v_lshlrev_b32_e32 v2, 2, v94
	ds_load_b32 v2, v2
	ds_load_b64 v[23:24], v20 offset:13312
	s_wait_dscnt 0x1
	v_add_nc_u32_e32 v2, v2, v36
	s_delay_alu instid0(VALU_DEP_1) | instskip(NEXT) | instid1(VALU_DEP_1)
	v_lshlrev_b64_e32 v[25:26], 3, v[2:3]
	v_add_co_u32 v25, vcc_lo, s26, v25
	s_wait_alu 0xfffd
	s_delay_alu instid0(VALU_DEP_2)
	v_add_co_ci_u32_e64 v26, null, s27, v26, vcc_lo
	s_wait_dscnt 0x0
	global_store_b64 v[25:26], v[23:24], off
	s_wait_alu 0xfffe
	s_or_b32 exec_lo, exec_lo, s15
	s_and_saveexec_b32 s15, s21
	s_cbranch_execnz .LBB1745_638
	s_branch .LBB1745_639
.LBB1745_670:
	s_endpgm
	.section	.rodata,"a",@progbits
	.p2align	6, 0x0
	.amdhsa_kernel _ZN7rocprim17ROCPRIM_400000_NS6detail17trampoline_kernelINS0_14default_configENS1_36segmented_radix_sort_config_selectorI6__halflEEZNS1_25segmented_radix_sort_implIS3_Lb1EPKS5_PS5_PKlPlN2at6native12_GLOBAL__N_18offset_tEEE10hipError_tPvRmT1_PNSt15iterator_traitsISL_E10value_typeET2_T3_PNSM_ISR_E10value_typeET4_jRbjT5_SX_jjP12ihipStream_tbEUlT_E_NS1_11comp_targetILNS1_3genE10ELNS1_11target_archE1201ELNS1_3gpuE5ELNS1_3repE0EEENS1_30default_config_static_selectorELNS0_4arch9wavefront6targetE0EEEvSL_
		.amdhsa_group_segment_fixed_size 17440
		.amdhsa_private_segment_fixed_size 0
		.amdhsa_kernarg_size 352
		.amdhsa_user_sgpr_count 2
		.amdhsa_user_sgpr_dispatch_ptr 0
		.amdhsa_user_sgpr_queue_ptr 0
		.amdhsa_user_sgpr_kernarg_segment_ptr 1
		.amdhsa_user_sgpr_dispatch_id 0
		.amdhsa_user_sgpr_private_segment_size 0
		.amdhsa_wavefront_size32 1
		.amdhsa_uses_dynamic_stack 0
		.amdhsa_enable_private_segment 0
		.amdhsa_system_sgpr_workgroup_id_x 1
		.amdhsa_system_sgpr_workgroup_id_y 1
		.amdhsa_system_sgpr_workgroup_id_z 0
		.amdhsa_system_sgpr_workgroup_info 0
		.amdhsa_system_vgpr_workitem_id 2
		.amdhsa_next_free_vgpr 198
		.amdhsa_next_free_sgpr 50
		.amdhsa_reserve_vcc 1
		.amdhsa_float_round_mode_32 0
		.amdhsa_float_round_mode_16_64 0
		.amdhsa_float_denorm_mode_32 3
		.amdhsa_float_denorm_mode_16_64 3
		.amdhsa_fp16_overflow 0
		.amdhsa_workgroup_processor_mode 1
		.amdhsa_memory_ordered 1
		.amdhsa_forward_progress 1
		.amdhsa_inst_pref_size 255
		.amdhsa_round_robin_scheduling 0
		.amdhsa_exception_fp_ieee_invalid_op 0
		.amdhsa_exception_fp_denorm_src 0
		.amdhsa_exception_fp_ieee_div_zero 0
		.amdhsa_exception_fp_ieee_overflow 0
		.amdhsa_exception_fp_ieee_underflow 0
		.amdhsa_exception_fp_ieee_inexact 0
		.amdhsa_exception_int_div_zero 0
	.end_amdhsa_kernel
	.section	.text._ZN7rocprim17ROCPRIM_400000_NS6detail17trampoline_kernelINS0_14default_configENS1_36segmented_radix_sort_config_selectorI6__halflEEZNS1_25segmented_radix_sort_implIS3_Lb1EPKS5_PS5_PKlPlN2at6native12_GLOBAL__N_18offset_tEEE10hipError_tPvRmT1_PNSt15iterator_traitsISL_E10value_typeET2_T3_PNSM_ISR_E10value_typeET4_jRbjT5_SX_jjP12ihipStream_tbEUlT_E_NS1_11comp_targetILNS1_3genE10ELNS1_11target_archE1201ELNS1_3gpuE5ELNS1_3repE0EEENS1_30default_config_static_selectorELNS0_4arch9wavefront6targetE0EEEvSL_,"axG",@progbits,_ZN7rocprim17ROCPRIM_400000_NS6detail17trampoline_kernelINS0_14default_configENS1_36segmented_radix_sort_config_selectorI6__halflEEZNS1_25segmented_radix_sort_implIS3_Lb1EPKS5_PS5_PKlPlN2at6native12_GLOBAL__N_18offset_tEEE10hipError_tPvRmT1_PNSt15iterator_traitsISL_E10value_typeET2_T3_PNSM_ISR_E10value_typeET4_jRbjT5_SX_jjP12ihipStream_tbEUlT_E_NS1_11comp_targetILNS1_3genE10ELNS1_11target_archE1201ELNS1_3gpuE5ELNS1_3repE0EEENS1_30default_config_static_selectorELNS0_4arch9wavefront6targetE0EEEvSL_,comdat
.Lfunc_end1745:
	.size	_ZN7rocprim17ROCPRIM_400000_NS6detail17trampoline_kernelINS0_14default_configENS1_36segmented_radix_sort_config_selectorI6__halflEEZNS1_25segmented_radix_sort_implIS3_Lb1EPKS5_PS5_PKlPlN2at6native12_GLOBAL__N_18offset_tEEE10hipError_tPvRmT1_PNSt15iterator_traitsISL_E10value_typeET2_T3_PNSM_ISR_E10value_typeET4_jRbjT5_SX_jjP12ihipStream_tbEUlT_E_NS1_11comp_targetILNS1_3genE10ELNS1_11target_archE1201ELNS1_3gpuE5ELNS1_3repE0EEENS1_30default_config_static_selectorELNS0_4arch9wavefront6targetE0EEEvSL_, .Lfunc_end1745-_ZN7rocprim17ROCPRIM_400000_NS6detail17trampoline_kernelINS0_14default_configENS1_36segmented_radix_sort_config_selectorI6__halflEEZNS1_25segmented_radix_sort_implIS3_Lb1EPKS5_PS5_PKlPlN2at6native12_GLOBAL__N_18offset_tEEE10hipError_tPvRmT1_PNSt15iterator_traitsISL_E10value_typeET2_T3_PNSM_ISR_E10value_typeET4_jRbjT5_SX_jjP12ihipStream_tbEUlT_E_NS1_11comp_targetILNS1_3genE10ELNS1_11target_archE1201ELNS1_3gpuE5ELNS1_3repE0EEENS1_30default_config_static_selectorELNS0_4arch9wavefront6targetE0EEEvSL_
                                        ; -- End function
	.set _ZN7rocprim17ROCPRIM_400000_NS6detail17trampoline_kernelINS0_14default_configENS1_36segmented_radix_sort_config_selectorI6__halflEEZNS1_25segmented_radix_sort_implIS3_Lb1EPKS5_PS5_PKlPlN2at6native12_GLOBAL__N_18offset_tEEE10hipError_tPvRmT1_PNSt15iterator_traitsISL_E10value_typeET2_T3_PNSM_ISR_E10value_typeET4_jRbjT5_SX_jjP12ihipStream_tbEUlT_E_NS1_11comp_targetILNS1_3genE10ELNS1_11target_archE1201ELNS1_3gpuE5ELNS1_3repE0EEENS1_30default_config_static_selectorELNS0_4arch9wavefront6targetE0EEEvSL_.num_vgpr, max(135, .L_ZN7rocprim17ROCPRIM_400000_NS6detail40segmented_radix_sort_single_block_helperI6__halflLj256ELj8ELb1EE4sortIPKS3_PS3_PKlPlEEbT_T0_T1_T2_jjjjRNS4_12storage_typeE.num_vgpr)
	.set _ZN7rocprim17ROCPRIM_400000_NS6detail17trampoline_kernelINS0_14default_configENS1_36segmented_radix_sort_config_selectorI6__halflEEZNS1_25segmented_radix_sort_implIS3_Lb1EPKS5_PS5_PKlPlN2at6native12_GLOBAL__N_18offset_tEEE10hipError_tPvRmT1_PNSt15iterator_traitsISL_E10value_typeET2_T3_PNSM_ISR_E10value_typeET4_jRbjT5_SX_jjP12ihipStream_tbEUlT_E_NS1_11comp_targetILNS1_3genE10ELNS1_11target_archE1201ELNS1_3gpuE5ELNS1_3repE0EEENS1_30default_config_static_selectorELNS0_4arch9wavefront6targetE0EEEvSL_.num_agpr, max(0, .L_ZN7rocprim17ROCPRIM_400000_NS6detail40segmented_radix_sort_single_block_helperI6__halflLj256ELj8ELb1EE4sortIPKS3_PS3_PKlPlEEbT_T0_T1_T2_jjjjRNS4_12storage_typeE.num_agpr)
	.set _ZN7rocprim17ROCPRIM_400000_NS6detail17trampoline_kernelINS0_14default_configENS1_36segmented_radix_sort_config_selectorI6__halflEEZNS1_25segmented_radix_sort_implIS3_Lb1EPKS5_PS5_PKlPlN2at6native12_GLOBAL__N_18offset_tEEE10hipError_tPvRmT1_PNSt15iterator_traitsISL_E10value_typeET2_T3_PNSM_ISR_E10value_typeET4_jRbjT5_SX_jjP12ihipStream_tbEUlT_E_NS1_11comp_targetILNS1_3genE10ELNS1_11target_archE1201ELNS1_3gpuE5ELNS1_3repE0EEENS1_30default_config_static_selectorELNS0_4arch9wavefront6targetE0EEEvSL_.numbered_sgpr, max(50, .L_ZN7rocprim17ROCPRIM_400000_NS6detail40segmented_radix_sort_single_block_helperI6__halflLj256ELj8ELb1EE4sortIPKS3_PS3_PKlPlEEbT_T0_T1_T2_jjjjRNS4_12storage_typeE.numbered_sgpr)
	.set _ZN7rocprim17ROCPRIM_400000_NS6detail17trampoline_kernelINS0_14default_configENS1_36segmented_radix_sort_config_selectorI6__halflEEZNS1_25segmented_radix_sort_implIS3_Lb1EPKS5_PS5_PKlPlN2at6native12_GLOBAL__N_18offset_tEEE10hipError_tPvRmT1_PNSt15iterator_traitsISL_E10value_typeET2_T3_PNSM_ISR_E10value_typeET4_jRbjT5_SX_jjP12ihipStream_tbEUlT_E_NS1_11comp_targetILNS1_3genE10ELNS1_11target_archE1201ELNS1_3gpuE5ELNS1_3repE0EEENS1_30default_config_static_selectorELNS0_4arch9wavefront6targetE0EEEvSL_.num_named_barrier, max(0, .L_ZN7rocprim17ROCPRIM_400000_NS6detail40segmented_radix_sort_single_block_helperI6__halflLj256ELj8ELb1EE4sortIPKS3_PS3_PKlPlEEbT_T0_T1_T2_jjjjRNS4_12storage_typeE.num_named_barrier)
	.set _ZN7rocprim17ROCPRIM_400000_NS6detail17trampoline_kernelINS0_14default_configENS1_36segmented_radix_sort_config_selectorI6__halflEEZNS1_25segmented_radix_sort_implIS3_Lb1EPKS5_PS5_PKlPlN2at6native12_GLOBAL__N_18offset_tEEE10hipError_tPvRmT1_PNSt15iterator_traitsISL_E10value_typeET2_T3_PNSM_ISR_E10value_typeET4_jRbjT5_SX_jjP12ihipStream_tbEUlT_E_NS1_11comp_targetILNS1_3genE10ELNS1_11target_archE1201ELNS1_3gpuE5ELNS1_3repE0EEENS1_30default_config_static_selectorELNS0_4arch9wavefront6targetE0EEEvSL_.private_seg_size, 0+max(.L_ZN7rocprim17ROCPRIM_400000_NS6detail40segmented_radix_sort_single_block_helperI6__halflLj256ELj8ELb1EE4sortIPKS3_PS3_PKlPlEEbT_T0_T1_T2_jjjjRNS4_12storage_typeE.private_seg_size)
	.set _ZN7rocprim17ROCPRIM_400000_NS6detail17trampoline_kernelINS0_14default_configENS1_36segmented_radix_sort_config_selectorI6__halflEEZNS1_25segmented_radix_sort_implIS3_Lb1EPKS5_PS5_PKlPlN2at6native12_GLOBAL__N_18offset_tEEE10hipError_tPvRmT1_PNSt15iterator_traitsISL_E10value_typeET2_T3_PNSM_ISR_E10value_typeET4_jRbjT5_SX_jjP12ihipStream_tbEUlT_E_NS1_11comp_targetILNS1_3genE10ELNS1_11target_archE1201ELNS1_3gpuE5ELNS1_3repE0EEENS1_30default_config_static_selectorELNS0_4arch9wavefront6targetE0EEEvSL_.uses_vcc, or(1, .L_ZN7rocprim17ROCPRIM_400000_NS6detail40segmented_radix_sort_single_block_helperI6__halflLj256ELj8ELb1EE4sortIPKS3_PS3_PKlPlEEbT_T0_T1_T2_jjjjRNS4_12storage_typeE.uses_vcc)
	.set _ZN7rocprim17ROCPRIM_400000_NS6detail17trampoline_kernelINS0_14default_configENS1_36segmented_radix_sort_config_selectorI6__halflEEZNS1_25segmented_radix_sort_implIS3_Lb1EPKS5_PS5_PKlPlN2at6native12_GLOBAL__N_18offset_tEEE10hipError_tPvRmT1_PNSt15iterator_traitsISL_E10value_typeET2_T3_PNSM_ISR_E10value_typeET4_jRbjT5_SX_jjP12ihipStream_tbEUlT_E_NS1_11comp_targetILNS1_3genE10ELNS1_11target_archE1201ELNS1_3gpuE5ELNS1_3repE0EEENS1_30default_config_static_selectorELNS0_4arch9wavefront6targetE0EEEvSL_.uses_flat_scratch, or(0, .L_ZN7rocprim17ROCPRIM_400000_NS6detail40segmented_radix_sort_single_block_helperI6__halflLj256ELj8ELb1EE4sortIPKS3_PS3_PKlPlEEbT_T0_T1_T2_jjjjRNS4_12storage_typeE.uses_flat_scratch)
	.set _ZN7rocprim17ROCPRIM_400000_NS6detail17trampoline_kernelINS0_14default_configENS1_36segmented_radix_sort_config_selectorI6__halflEEZNS1_25segmented_radix_sort_implIS3_Lb1EPKS5_PS5_PKlPlN2at6native12_GLOBAL__N_18offset_tEEE10hipError_tPvRmT1_PNSt15iterator_traitsISL_E10value_typeET2_T3_PNSM_ISR_E10value_typeET4_jRbjT5_SX_jjP12ihipStream_tbEUlT_E_NS1_11comp_targetILNS1_3genE10ELNS1_11target_archE1201ELNS1_3gpuE5ELNS1_3repE0EEENS1_30default_config_static_selectorELNS0_4arch9wavefront6targetE0EEEvSL_.has_dyn_sized_stack, or(0, .L_ZN7rocprim17ROCPRIM_400000_NS6detail40segmented_radix_sort_single_block_helperI6__halflLj256ELj8ELb1EE4sortIPKS3_PS3_PKlPlEEbT_T0_T1_T2_jjjjRNS4_12storage_typeE.has_dyn_sized_stack)
	.set _ZN7rocprim17ROCPRIM_400000_NS6detail17trampoline_kernelINS0_14default_configENS1_36segmented_radix_sort_config_selectorI6__halflEEZNS1_25segmented_radix_sort_implIS3_Lb1EPKS5_PS5_PKlPlN2at6native12_GLOBAL__N_18offset_tEEE10hipError_tPvRmT1_PNSt15iterator_traitsISL_E10value_typeET2_T3_PNSM_ISR_E10value_typeET4_jRbjT5_SX_jjP12ihipStream_tbEUlT_E_NS1_11comp_targetILNS1_3genE10ELNS1_11target_archE1201ELNS1_3gpuE5ELNS1_3repE0EEENS1_30default_config_static_selectorELNS0_4arch9wavefront6targetE0EEEvSL_.has_recursion, or(0, .L_ZN7rocprim17ROCPRIM_400000_NS6detail40segmented_radix_sort_single_block_helperI6__halflLj256ELj8ELb1EE4sortIPKS3_PS3_PKlPlEEbT_T0_T1_T2_jjjjRNS4_12storage_typeE.has_recursion)
	.set _ZN7rocprim17ROCPRIM_400000_NS6detail17trampoline_kernelINS0_14default_configENS1_36segmented_radix_sort_config_selectorI6__halflEEZNS1_25segmented_radix_sort_implIS3_Lb1EPKS5_PS5_PKlPlN2at6native12_GLOBAL__N_18offset_tEEE10hipError_tPvRmT1_PNSt15iterator_traitsISL_E10value_typeET2_T3_PNSM_ISR_E10value_typeET4_jRbjT5_SX_jjP12ihipStream_tbEUlT_E_NS1_11comp_targetILNS1_3genE10ELNS1_11target_archE1201ELNS1_3gpuE5ELNS1_3repE0EEENS1_30default_config_static_selectorELNS0_4arch9wavefront6targetE0EEEvSL_.has_indirect_call, or(0, .L_ZN7rocprim17ROCPRIM_400000_NS6detail40segmented_radix_sort_single_block_helperI6__halflLj256ELj8ELb1EE4sortIPKS3_PS3_PKlPlEEbT_T0_T1_T2_jjjjRNS4_12storage_typeE.has_indirect_call)
	.section	.AMDGPU.csdata,"",@progbits
; Kernel info:
; codeLenInByte = 48016
; TotalNumSgprs: 52
; NumVgprs: 198
; ScratchSize: 0
; MemoryBound: 0
; FloatMode: 240
; IeeeMode: 1
; LDSByteSize: 17440 bytes/workgroup (compile time only)
; SGPRBlocks: 0
; VGPRBlocks: 24
; NumSGPRsForWavesPerEU: 52
; NumVGPRsForWavesPerEU: 198
; Occupancy: 7
; WaveLimiterHint : 1
; COMPUTE_PGM_RSRC2:SCRATCH_EN: 0
; COMPUTE_PGM_RSRC2:USER_SGPR: 2
; COMPUTE_PGM_RSRC2:TRAP_HANDLER: 0
; COMPUTE_PGM_RSRC2:TGID_X_EN: 1
; COMPUTE_PGM_RSRC2:TGID_Y_EN: 1
; COMPUTE_PGM_RSRC2:TGID_Z_EN: 0
; COMPUTE_PGM_RSRC2:TIDIG_COMP_CNT: 2
	.section	.text._ZN7rocprim17ROCPRIM_400000_NS6detail17trampoline_kernelINS0_14default_configENS1_36segmented_radix_sort_config_selectorI6__halflEEZNS1_25segmented_radix_sort_implIS3_Lb1EPKS5_PS5_PKlPlN2at6native12_GLOBAL__N_18offset_tEEE10hipError_tPvRmT1_PNSt15iterator_traitsISL_E10value_typeET2_T3_PNSM_ISR_E10value_typeET4_jRbjT5_SX_jjP12ihipStream_tbEUlT_E_NS1_11comp_targetILNS1_3genE10ELNS1_11target_archE1200ELNS1_3gpuE4ELNS1_3repE0EEENS1_30default_config_static_selectorELNS0_4arch9wavefront6targetE0EEEvSL_,"axG",@progbits,_ZN7rocprim17ROCPRIM_400000_NS6detail17trampoline_kernelINS0_14default_configENS1_36segmented_radix_sort_config_selectorI6__halflEEZNS1_25segmented_radix_sort_implIS3_Lb1EPKS5_PS5_PKlPlN2at6native12_GLOBAL__N_18offset_tEEE10hipError_tPvRmT1_PNSt15iterator_traitsISL_E10value_typeET2_T3_PNSM_ISR_E10value_typeET4_jRbjT5_SX_jjP12ihipStream_tbEUlT_E_NS1_11comp_targetILNS1_3genE10ELNS1_11target_archE1200ELNS1_3gpuE4ELNS1_3repE0EEENS1_30default_config_static_selectorELNS0_4arch9wavefront6targetE0EEEvSL_,comdat
	.globl	_ZN7rocprim17ROCPRIM_400000_NS6detail17trampoline_kernelINS0_14default_configENS1_36segmented_radix_sort_config_selectorI6__halflEEZNS1_25segmented_radix_sort_implIS3_Lb1EPKS5_PS5_PKlPlN2at6native12_GLOBAL__N_18offset_tEEE10hipError_tPvRmT1_PNSt15iterator_traitsISL_E10value_typeET2_T3_PNSM_ISR_E10value_typeET4_jRbjT5_SX_jjP12ihipStream_tbEUlT_E_NS1_11comp_targetILNS1_3genE10ELNS1_11target_archE1200ELNS1_3gpuE4ELNS1_3repE0EEENS1_30default_config_static_selectorELNS0_4arch9wavefront6targetE0EEEvSL_ ; -- Begin function _ZN7rocprim17ROCPRIM_400000_NS6detail17trampoline_kernelINS0_14default_configENS1_36segmented_radix_sort_config_selectorI6__halflEEZNS1_25segmented_radix_sort_implIS3_Lb1EPKS5_PS5_PKlPlN2at6native12_GLOBAL__N_18offset_tEEE10hipError_tPvRmT1_PNSt15iterator_traitsISL_E10value_typeET2_T3_PNSM_ISR_E10value_typeET4_jRbjT5_SX_jjP12ihipStream_tbEUlT_E_NS1_11comp_targetILNS1_3genE10ELNS1_11target_archE1200ELNS1_3gpuE4ELNS1_3repE0EEENS1_30default_config_static_selectorELNS0_4arch9wavefront6targetE0EEEvSL_
	.p2align	8
	.type	_ZN7rocprim17ROCPRIM_400000_NS6detail17trampoline_kernelINS0_14default_configENS1_36segmented_radix_sort_config_selectorI6__halflEEZNS1_25segmented_radix_sort_implIS3_Lb1EPKS5_PS5_PKlPlN2at6native12_GLOBAL__N_18offset_tEEE10hipError_tPvRmT1_PNSt15iterator_traitsISL_E10value_typeET2_T3_PNSM_ISR_E10value_typeET4_jRbjT5_SX_jjP12ihipStream_tbEUlT_E_NS1_11comp_targetILNS1_3genE10ELNS1_11target_archE1200ELNS1_3gpuE4ELNS1_3repE0EEENS1_30default_config_static_selectorELNS0_4arch9wavefront6targetE0EEEvSL_,@function
_ZN7rocprim17ROCPRIM_400000_NS6detail17trampoline_kernelINS0_14default_configENS1_36segmented_radix_sort_config_selectorI6__halflEEZNS1_25segmented_radix_sort_implIS3_Lb1EPKS5_PS5_PKlPlN2at6native12_GLOBAL__N_18offset_tEEE10hipError_tPvRmT1_PNSt15iterator_traitsISL_E10value_typeET2_T3_PNSM_ISR_E10value_typeET4_jRbjT5_SX_jjP12ihipStream_tbEUlT_E_NS1_11comp_targetILNS1_3genE10ELNS1_11target_archE1200ELNS1_3gpuE4ELNS1_3repE0EEENS1_30default_config_static_selectorELNS0_4arch9wavefront6targetE0EEEvSL_: ; @_ZN7rocprim17ROCPRIM_400000_NS6detail17trampoline_kernelINS0_14default_configENS1_36segmented_radix_sort_config_selectorI6__halflEEZNS1_25segmented_radix_sort_implIS3_Lb1EPKS5_PS5_PKlPlN2at6native12_GLOBAL__N_18offset_tEEE10hipError_tPvRmT1_PNSt15iterator_traitsISL_E10value_typeET2_T3_PNSM_ISR_E10value_typeET4_jRbjT5_SX_jjP12ihipStream_tbEUlT_E_NS1_11comp_targetILNS1_3genE10ELNS1_11target_archE1200ELNS1_3gpuE4ELNS1_3repE0EEENS1_30default_config_static_selectorELNS0_4arch9wavefront6targetE0EEEvSL_
; %bb.0:
	.section	.rodata,"a",@progbits
	.p2align	6, 0x0
	.amdhsa_kernel _ZN7rocprim17ROCPRIM_400000_NS6detail17trampoline_kernelINS0_14default_configENS1_36segmented_radix_sort_config_selectorI6__halflEEZNS1_25segmented_radix_sort_implIS3_Lb1EPKS5_PS5_PKlPlN2at6native12_GLOBAL__N_18offset_tEEE10hipError_tPvRmT1_PNSt15iterator_traitsISL_E10value_typeET2_T3_PNSM_ISR_E10value_typeET4_jRbjT5_SX_jjP12ihipStream_tbEUlT_E_NS1_11comp_targetILNS1_3genE10ELNS1_11target_archE1200ELNS1_3gpuE4ELNS1_3repE0EEENS1_30default_config_static_selectorELNS0_4arch9wavefront6targetE0EEEvSL_
		.amdhsa_group_segment_fixed_size 0
		.amdhsa_private_segment_fixed_size 0
		.amdhsa_kernarg_size 96
		.amdhsa_user_sgpr_count 2
		.amdhsa_user_sgpr_dispatch_ptr 0
		.amdhsa_user_sgpr_queue_ptr 0
		.amdhsa_user_sgpr_kernarg_segment_ptr 1
		.amdhsa_user_sgpr_dispatch_id 0
		.amdhsa_user_sgpr_private_segment_size 0
		.amdhsa_wavefront_size32 1
		.amdhsa_uses_dynamic_stack 0
		.amdhsa_enable_private_segment 0
		.amdhsa_system_sgpr_workgroup_id_x 1
		.amdhsa_system_sgpr_workgroup_id_y 0
		.amdhsa_system_sgpr_workgroup_id_z 0
		.amdhsa_system_sgpr_workgroup_info 0
		.amdhsa_system_vgpr_workitem_id 0
		.amdhsa_next_free_vgpr 1
		.amdhsa_next_free_sgpr 1
		.amdhsa_reserve_vcc 0
		.amdhsa_float_round_mode_32 0
		.amdhsa_float_round_mode_16_64 0
		.amdhsa_float_denorm_mode_32 3
		.amdhsa_float_denorm_mode_16_64 3
		.amdhsa_fp16_overflow 0
		.amdhsa_workgroup_processor_mode 1
		.amdhsa_memory_ordered 1
		.amdhsa_forward_progress 1
		.amdhsa_inst_pref_size 0
		.amdhsa_round_robin_scheduling 0
		.amdhsa_exception_fp_ieee_invalid_op 0
		.amdhsa_exception_fp_denorm_src 0
		.amdhsa_exception_fp_ieee_div_zero 0
		.amdhsa_exception_fp_ieee_overflow 0
		.amdhsa_exception_fp_ieee_underflow 0
		.amdhsa_exception_fp_ieee_inexact 0
		.amdhsa_exception_int_div_zero 0
	.end_amdhsa_kernel
	.section	.text._ZN7rocprim17ROCPRIM_400000_NS6detail17trampoline_kernelINS0_14default_configENS1_36segmented_radix_sort_config_selectorI6__halflEEZNS1_25segmented_radix_sort_implIS3_Lb1EPKS5_PS5_PKlPlN2at6native12_GLOBAL__N_18offset_tEEE10hipError_tPvRmT1_PNSt15iterator_traitsISL_E10value_typeET2_T3_PNSM_ISR_E10value_typeET4_jRbjT5_SX_jjP12ihipStream_tbEUlT_E_NS1_11comp_targetILNS1_3genE10ELNS1_11target_archE1200ELNS1_3gpuE4ELNS1_3repE0EEENS1_30default_config_static_selectorELNS0_4arch9wavefront6targetE0EEEvSL_,"axG",@progbits,_ZN7rocprim17ROCPRIM_400000_NS6detail17trampoline_kernelINS0_14default_configENS1_36segmented_radix_sort_config_selectorI6__halflEEZNS1_25segmented_radix_sort_implIS3_Lb1EPKS5_PS5_PKlPlN2at6native12_GLOBAL__N_18offset_tEEE10hipError_tPvRmT1_PNSt15iterator_traitsISL_E10value_typeET2_T3_PNSM_ISR_E10value_typeET4_jRbjT5_SX_jjP12ihipStream_tbEUlT_E_NS1_11comp_targetILNS1_3genE10ELNS1_11target_archE1200ELNS1_3gpuE4ELNS1_3repE0EEENS1_30default_config_static_selectorELNS0_4arch9wavefront6targetE0EEEvSL_,comdat
.Lfunc_end1746:
	.size	_ZN7rocprim17ROCPRIM_400000_NS6detail17trampoline_kernelINS0_14default_configENS1_36segmented_radix_sort_config_selectorI6__halflEEZNS1_25segmented_radix_sort_implIS3_Lb1EPKS5_PS5_PKlPlN2at6native12_GLOBAL__N_18offset_tEEE10hipError_tPvRmT1_PNSt15iterator_traitsISL_E10value_typeET2_T3_PNSM_ISR_E10value_typeET4_jRbjT5_SX_jjP12ihipStream_tbEUlT_E_NS1_11comp_targetILNS1_3genE10ELNS1_11target_archE1200ELNS1_3gpuE4ELNS1_3repE0EEENS1_30default_config_static_selectorELNS0_4arch9wavefront6targetE0EEEvSL_, .Lfunc_end1746-_ZN7rocprim17ROCPRIM_400000_NS6detail17trampoline_kernelINS0_14default_configENS1_36segmented_radix_sort_config_selectorI6__halflEEZNS1_25segmented_radix_sort_implIS3_Lb1EPKS5_PS5_PKlPlN2at6native12_GLOBAL__N_18offset_tEEE10hipError_tPvRmT1_PNSt15iterator_traitsISL_E10value_typeET2_T3_PNSM_ISR_E10value_typeET4_jRbjT5_SX_jjP12ihipStream_tbEUlT_E_NS1_11comp_targetILNS1_3genE10ELNS1_11target_archE1200ELNS1_3gpuE4ELNS1_3repE0EEENS1_30default_config_static_selectorELNS0_4arch9wavefront6targetE0EEEvSL_
                                        ; -- End function
	.set _ZN7rocprim17ROCPRIM_400000_NS6detail17trampoline_kernelINS0_14default_configENS1_36segmented_radix_sort_config_selectorI6__halflEEZNS1_25segmented_radix_sort_implIS3_Lb1EPKS5_PS5_PKlPlN2at6native12_GLOBAL__N_18offset_tEEE10hipError_tPvRmT1_PNSt15iterator_traitsISL_E10value_typeET2_T3_PNSM_ISR_E10value_typeET4_jRbjT5_SX_jjP12ihipStream_tbEUlT_E_NS1_11comp_targetILNS1_3genE10ELNS1_11target_archE1200ELNS1_3gpuE4ELNS1_3repE0EEENS1_30default_config_static_selectorELNS0_4arch9wavefront6targetE0EEEvSL_.num_vgpr, 0
	.set _ZN7rocprim17ROCPRIM_400000_NS6detail17trampoline_kernelINS0_14default_configENS1_36segmented_radix_sort_config_selectorI6__halflEEZNS1_25segmented_radix_sort_implIS3_Lb1EPKS5_PS5_PKlPlN2at6native12_GLOBAL__N_18offset_tEEE10hipError_tPvRmT1_PNSt15iterator_traitsISL_E10value_typeET2_T3_PNSM_ISR_E10value_typeET4_jRbjT5_SX_jjP12ihipStream_tbEUlT_E_NS1_11comp_targetILNS1_3genE10ELNS1_11target_archE1200ELNS1_3gpuE4ELNS1_3repE0EEENS1_30default_config_static_selectorELNS0_4arch9wavefront6targetE0EEEvSL_.num_agpr, 0
	.set _ZN7rocprim17ROCPRIM_400000_NS6detail17trampoline_kernelINS0_14default_configENS1_36segmented_radix_sort_config_selectorI6__halflEEZNS1_25segmented_radix_sort_implIS3_Lb1EPKS5_PS5_PKlPlN2at6native12_GLOBAL__N_18offset_tEEE10hipError_tPvRmT1_PNSt15iterator_traitsISL_E10value_typeET2_T3_PNSM_ISR_E10value_typeET4_jRbjT5_SX_jjP12ihipStream_tbEUlT_E_NS1_11comp_targetILNS1_3genE10ELNS1_11target_archE1200ELNS1_3gpuE4ELNS1_3repE0EEENS1_30default_config_static_selectorELNS0_4arch9wavefront6targetE0EEEvSL_.numbered_sgpr, 0
	.set _ZN7rocprim17ROCPRIM_400000_NS6detail17trampoline_kernelINS0_14default_configENS1_36segmented_radix_sort_config_selectorI6__halflEEZNS1_25segmented_radix_sort_implIS3_Lb1EPKS5_PS5_PKlPlN2at6native12_GLOBAL__N_18offset_tEEE10hipError_tPvRmT1_PNSt15iterator_traitsISL_E10value_typeET2_T3_PNSM_ISR_E10value_typeET4_jRbjT5_SX_jjP12ihipStream_tbEUlT_E_NS1_11comp_targetILNS1_3genE10ELNS1_11target_archE1200ELNS1_3gpuE4ELNS1_3repE0EEENS1_30default_config_static_selectorELNS0_4arch9wavefront6targetE0EEEvSL_.num_named_barrier, 0
	.set _ZN7rocprim17ROCPRIM_400000_NS6detail17trampoline_kernelINS0_14default_configENS1_36segmented_radix_sort_config_selectorI6__halflEEZNS1_25segmented_radix_sort_implIS3_Lb1EPKS5_PS5_PKlPlN2at6native12_GLOBAL__N_18offset_tEEE10hipError_tPvRmT1_PNSt15iterator_traitsISL_E10value_typeET2_T3_PNSM_ISR_E10value_typeET4_jRbjT5_SX_jjP12ihipStream_tbEUlT_E_NS1_11comp_targetILNS1_3genE10ELNS1_11target_archE1200ELNS1_3gpuE4ELNS1_3repE0EEENS1_30default_config_static_selectorELNS0_4arch9wavefront6targetE0EEEvSL_.private_seg_size, 0
	.set _ZN7rocprim17ROCPRIM_400000_NS6detail17trampoline_kernelINS0_14default_configENS1_36segmented_radix_sort_config_selectorI6__halflEEZNS1_25segmented_radix_sort_implIS3_Lb1EPKS5_PS5_PKlPlN2at6native12_GLOBAL__N_18offset_tEEE10hipError_tPvRmT1_PNSt15iterator_traitsISL_E10value_typeET2_T3_PNSM_ISR_E10value_typeET4_jRbjT5_SX_jjP12ihipStream_tbEUlT_E_NS1_11comp_targetILNS1_3genE10ELNS1_11target_archE1200ELNS1_3gpuE4ELNS1_3repE0EEENS1_30default_config_static_selectorELNS0_4arch9wavefront6targetE0EEEvSL_.uses_vcc, 0
	.set _ZN7rocprim17ROCPRIM_400000_NS6detail17trampoline_kernelINS0_14default_configENS1_36segmented_radix_sort_config_selectorI6__halflEEZNS1_25segmented_radix_sort_implIS3_Lb1EPKS5_PS5_PKlPlN2at6native12_GLOBAL__N_18offset_tEEE10hipError_tPvRmT1_PNSt15iterator_traitsISL_E10value_typeET2_T3_PNSM_ISR_E10value_typeET4_jRbjT5_SX_jjP12ihipStream_tbEUlT_E_NS1_11comp_targetILNS1_3genE10ELNS1_11target_archE1200ELNS1_3gpuE4ELNS1_3repE0EEENS1_30default_config_static_selectorELNS0_4arch9wavefront6targetE0EEEvSL_.uses_flat_scratch, 0
	.set _ZN7rocprim17ROCPRIM_400000_NS6detail17trampoline_kernelINS0_14default_configENS1_36segmented_radix_sort_config_selectorI6__halflEEZNS1_25segmented_radix_sort_implIS3_Lb1EPKS5_PS5_PKlPlN2at6native12_GLOBAL__N_18offset_tEEE10hipError_tPvRmT1_PNSt15iterator_traitsISL_E10value_typeET2_T3_PNSM_ISR_E10value_typeET4_jRbjT5_SX_jjP12ihipStream_tbEUlT_E_NS1_11comp_targetILNS1_3genE10ELNS1_11target_archE1200ELNS1_3gpuE4ELNS1_3repE0EEENS1_30default_config_static_selectorELNS0_4arch9wavefront6targetE0EEEvSL_.has_dyn_sized_stack, 0
	.set _ZN7rocprim17ROCPRIM_400000_NS6detail17trampoline_kernelINS0_14default_configENS1_36segmented_radix_sort_config_selectorI6__halflEEZNS1_25segmented_radix_sort_implIS3_Lb1EPKS5_PS5_PKlPlN2at6native12_GLOBAL__N_18offset_tEEE10hipError_tPvRmT1_PNSt15iterator_traitsISL_E10value_typeET2_T3_PNSM_ISR_E10value_typeET4_jRbjT5_SX_jjP12ihipStream_tbEUlT_E_NS1_11comp_targetILNS1_3genE10ELNS1_11target_archE1200ELNS1_3gpuE4ELNS1_3repE0EEENS1_30default_config_static_selectorELNS0_4arch9wavefront6targetE0EEEvSL_.has_recursion, 0
	.set _ZN7rocprim17ROCPRIM_400000_NS6detail17trampoline_kernelINS0_14default_configENS1_36segmented_radix_sort_config_selectorI6__halflEEZNS1_25segmented_radix_sort_implIS3_Lb1EPKS5_PS5_PKlPlN2at6native12_GLOBAL__N_18offset_tEEE10hipError_tPvRmT1_PNSt15iterator_traitsISL_E10value_typeET2_T3_PNSM_ISR_E10value_typeET4_jRbjT5_SX_jjP12ihipStream_tbEUlT_E_NS1_11comp_targetILNS1_3genE10ELNS1_11target_archE1200ELNS1_3gpuE4ELNS1_3repE0EEENS1_30default_config_static_selectorELNS0_4arch9wavefront6targetE0EEEvSL_.has_indirect_call, 0
	.section	.AMDGPU.csdata,"",@progbits
; Kernel info:
; codeLenInByte = 0
; TotalNumSgprs: 0
; NumVgprs: 0
; ScratchSize: 0
; MemoryBound: 0
; FloatMode: 240
; IeeeMode: 1
; LDSByteSize: 0 bytes/workgroup (compile time only)
; SGPRBlocks: 0
; VGPRBlocks: 0
; NumSGPRsForWavesPerEU: 1
; NumVGPRsForWavesPerEU: 1
; Occupancy: 16
; WaveLimiterHint : 0
; COMPUTE_PGM_RSRC2:SCRATCH_EN: 0
; COMPUTE_PGM_RSRC2:USER_SGPR: 2
; COMPUTE_PGM_RSRC2:TRAP_HANDLER: 0
; COMPUTE_PGM_RSRC2:TGID_X_EN: 1
; COMPUTE_PGM_RSRC2:TGID_Y_EN: 0
; COMPUTE_PGM_RSRC2:TGID_Z_EN: 0
; COMPUTE_PGM_RSRC2:TIDIG_COMP_CNT: 0
	.section	.text._ZN7rocprim17ROCPRIM_400000_NS6detail17trampoline_kernelINS0_14default_configENS1_36segmented_radix_sort_config_selectorI6__halflEEZNS1_25segmented_radix_sort_implIS3_Lb1EPKS5_PS5_PKlPlN2at6native12_GLOBAL__N_18offset_tEEE10hipError_tPvRmT1_PNSt15iterator_traitsISL_E10value_typeET2_T3_PNSM_ISR_E10value_typeET4_jRbjT5_SX_jjP12ihipStream_tbEUlT_E_NS1_11comp_targetILNS1_3genE9ELNS1_11target_archE1100ELNS1_3gpuE3ELNS1_3repE0EEENS1_30default_config_static_selectorELNS0_4arch9wavefront6targetE0EEEvSL_,"axG",@progbits,_ZN7rocprim17ROCPRIM_400000_NS6detail17trampoline_kernelINS0_14default_configENS1_36segmented_radix_sort_config_selectorI6__halflEEZNS1_25segmented_radix_sort_implIS3_Lb1EPKS5_PS5_PKlPlN2at6native12_GLOBAL__N_18offset_tEEE10hipError_tPvRmT1_PNSt15iterator_traitsISL_E10value_typeET2_T3_PNSM_ISR_E10value_typeET4_jRbjT5_SX_jjP12ihipStream_tbEUlT_E_NS1_11comp_targetILNS1_3genE9ELNS1_11target_archE1100ELNS1_3gpuE3ELNS1_3repE0EEENS1_30default_config_static_selectorELNS0_4arch9wavefront6targetE0EEEvSL_,comdat
	.globl	_ZN7rocprim17ROCPRIM_400000_NS6detail17trampoline_kernelINS0_14default_configENS1_36segmented_radix_sort_config_selectorI6__halflEEZNS1_25segmented_radix_sort_implIS3_Lb1EPKS5_PS5_PKlPlN2at6native12_GLOBAL__N_18offset_tEEE10hipError_tPvRmT1_PNSt15iterator_traitsISL_E10value_typeET2_T3_PNSM_ISR_E10value_typeET4_jRbjT5_SX_jjP12ihipStream_tbEUlT_E_NS1_11comp_targetILNS1_3genE9ELNS1_11target_archE1100ELNS1_3gpuE3ELNS1_3repE0EEENS1_30default_config_static_selectorELNS0_4arch9wavefront6targetE0EEEvSL_ ; -- Begin function _ZN7rocprim17ROCPRIM_400000_NS6detail17trampoline_kernelINS0_14default_configENS1_36segmented_radix_sort_config_selectorI6__halflEEZNS1_25segmented_radix_sort_implIS3_Lb1EPKS5_PS5_PKlPlN2at6native12_GLOBAL__N_18offset_tEEE10hipError_tPvRmT1_PNSt15iterator_traitsISL_E10value_typeET2_T3_PNSM_ISR_E10value_typeET4_jRbjT5_SX_jjP12ihipStream_tbEUlT_E_NS1_11comp_targetILNS1_3genE9ELNS1_11target_archE1100ELNS1_3gpuE3ELNS1_3repE0EEENS1_30default_config_static_selectorELNS0_4arch9wavefront6targetE0EEEvSL_
	.p2align	8
	.type	_ZN7rocprim17ROCPRIM_400000_NS6detail17trampoline_kernelINS0_14default_configENS1_36segmented_radix_sort_config_selectorI6__halflEEZNS1_25segmented_radix_sort_implIS3_Lb1EPKS5_PS5_PKlPlN2at6native12_GLOBAL__N_18offset_tEEE10hipError_tPvRmT1_PNSt15iterator_traitsISL_E10value_typeET2_T3_PNSM_ISR_E10value_typeET4_jRbjT5_SX_jjP12ihipStream_tbEUlT_E_NS1_11comp_targetILNS1_3genE9ELNS1_11target_archE1100ELNS1_3gpuE3ELNS1_3repE0EEENS1_30default_config_static_selectorELNS0_4arch9wavefront6targetE0EEEvSL_,@function
_ZN7rocprim17ROCPRIM_400000_NS6detail17trampoline_kernelINS0_14default_configENS1_36segmented_radix_sort_config_selectorI6__halflEEZNS1_25segmented_radix_sort_implIS3_Lb1EPKS5_PS5_PKlPlN2at6native12_GLOBAL__N_18offset_tEEE10hipError_tPvRmT1_PNSt15iterator_traitsISL_E10value_typeET2_T3_PNSM_ISR_E10value_typeET4_jRbjT5_SX_jjP12ihipStream_tbEUlT_E_NS1_11comp_targetILNS1_3genE9ELNS1_11target_archE1100ELNS1_3gpuE3ELNS1_3repE0EEENS1_30default_config_static_selectorELNS0_4arch9wavefront6targetE0EEEvSL_: ; @_ZN7rocprim17ROCPRIM_400000_NS6detail17trampoline_kernelINS0_14default_configENS1_36segmented_radix_sort_config_selectorI6__halflEEZNS1_25segmented_radix_sort_implIS3_Lb1EPKS5_PS5_PKlPlN2at6native12_GLOBAL__N_18offset_tEEE10hipError_tPvRmT1_PNSt15iterator_traitsISL_E10value_typeET2_T3_PNSM_ISR_E10value_typeET4_jRbjT5_SX_jjP12ihipStream_tbEUlT_E_NS1_11comp_targetILNS1_3genE9ELNS1_11target_archE1100ELNS1_3gpuE3ELNS1_3repE0EEENS1_30default_config_static_selectorELNS0_4arch9wavefront6targetE0EEEvSL_
; %bb.0:
	.section	.rodata,"a",@progbits
	.p2align	6, 0x0
	.amdhsa_kernel _ZN7rocprim17ROCPRIM_400000_NS6detail17trampoline_kernelINS0_14default_configENS1_36segmented_radix_sort_config_selectorI6__halflEEZNS1_25segmented_radix_sort_implIS3_Lb1EPKS5_PS5_PKlPlN2at6native12_GLOBAL__N_18offset_tEEE10hipError_tPvRmT1_PNSt15iterator_traitsISL_E10value_typeET2_T3_PNSM_ISR_E10value_typeET4_jRbjT5_SX_jjP12ihipStream_tbEUlT_E_NS1_11comp_targetILNS1_3genE9ELNS1_11target_archE1100ELNS1_3gpuE3ELNS1_3repE0EEENS1_30default_config_static_selectorELNS0_4arch9wavefront6targetE0EEEvSL_
		.amdhsa_group_segment_fixed_size 0
		.amdhsa_private_segment_fixed_size 0
		.amdhsa_kernarg_size 96
		.amdhsa_user_sgpr_count 2
		.amdhsa_user_sgpr_dispatch_ptr 0
		.amdhsa_user_sgpr_queue_ptr 0
		.amdhsa_user_sgpr_kernarg_segment_ptr 1
		.amdhsa_user_sgpr_dispatch_id 0
		.amdhsa_user_sgpr_private_segment_size 0
		.amdhsa_wavefront_size32 1
		.amdhsa_uses_dynamic_stack 0
		.amdhsa_enable_private_segment 0
		.amdhsa_system_sgpr_workgroup_id_x 1
		.amdhsa_system_sgpr_workgroup_id_y 0
		.amdhsa_system_sgpr_workgroup_id_z 0
		.amdhsa_system_sgpr_workgroup_info 0
		.amdhsa_system_vgpr_workitem_id 0
		.amdhsa_next_free_vgpr 1
		.amdhsa_next_free_sgpr 1
		.amdhsa_reserve_vcc 0
		.amdhsa_float_round_mode_32 0
		.amdhsa_float_round_mode_16_64 0
		.amdhsa_float_denorm_mode_32 3
		.amdhsa_float_denorm_mode_16_64 3
		.amdhsa_fp16_overflow 0
		.amdhsa_workgroup_processor_mode 1
		.amdhsa_memory_ordered 1
		.amdhsa_forward_progress 1
		.amdhsa_inst_pref_size 0
		.amdhsa_round_robin_scheduling 0
		.amdhsa_exception_fp_ieee_invalid_op 0
		.amdhsa_exception_fp_denorm_src 0
		.amdhsa_exception_fp_ieee_div_zero 0
		.amdhsa_exception_fp_ieee_overflow 0
		.amdhsa_exception_fp_ieee_underflow 0
		.amdhsa_exception_fp_ieee_inexact 0
		.amdhsa_exception_int_div_zero 0
	.end_amdhsa_kernel
	.section	.text._ZN7rocprim17ROCPRIM_400000_NS6detail17trampoline_kernelINS0_14default_configENS1_36segmented_radix_sort_config_selectorI6__halflEEZNS1_25segmented_radix_sort_implIS3_Lb1EPKS5_PS5_PKlPlN2at6native12_GLOBAL__N_18offset_tEEE10hipError_tPvRmT1_PNSt15iterator_traitsISL_E10value_typeET2_T3_PNSM_ISR_E10value_typeET4_jRbjT5_SX_jjP12ihipStream_tbEUlT_E_NS1_11comp_targetILNS1_3genE9ELNS1_11target_archE1100ELNS1_3gpuE3ELNS1_3repE0EEENS1_30default_config_static_selectorELNS0_4arch9wavefront6targetE0EEEvSL_,"axG",@progbits,_ZN7rocprim17ROCPRIM_400000_NS6detail17trampoline_kernelINS0_14default_configENS1_36segmented_radix_sort_config_selectorI6__halflEEZNS1_25segmented_radix_sort_implIS3_Lb1EPKS5_PS5_PKlPlN2at6native12_GLOBAL__N_18offset_tEEE10hipError_tPvRmT1_PNSt15iterator_traitsISL_E10value_typeET2_T3_PNSM_ISR_E10value_typeET4_jRbjT5_SX_jjP12ihipStream_tbEUlT_E_NS1_11comp_targetILNS1_3genE9ELNS1_11target_archE1100ELNS1_3gpuE3ELNS1_3repE0EEENS1_30default_config_static_selectorELNS0_4arch9wavefront6targetE0EEEvSL_,comdat
.Lfunc_end1747:
	.size	_ZN7rocprim17ROCPRIM_400000_NS6detail17trampoline_kernelINS0_14default_configENS1_36segmented_radix_sort_config_selectorI6__halflEEZNS1_25segmented_radix_sort_implIS3_Lb1EPKS5_PS5_PKlPlN2at6native12_GLOBAL__N_18offset_tEEE10hipError_tPvRmT1_PNSt15iterator_traitsISL_E10value_typeET2_T3_PNSM_ISR_E10value_typeET4_jRbjT5_SX_jjP12ihipStream_tbEUlT_E_NS1_11comp_targetILNS1_3genE9ELNS1_11target_archE1100ELNS1_3gpuE3ELNS1_3repE0EEENS1_30default_config_static_selectorELNS0_4arch9wavefront6targetE0EEEvSL_, .Lfunc_end1747-_ZN7rocprim17ROCPRIM_400000_NS6detail17trampoline_kernelINS0_14default_configENS1_36segmented_radix_sort_config_selectorI6__halflEEZNS1_25segmented_radix_sort_implIS3_Lb1EPKS5_PS5_PKlPlN2at6native12_GLOBAL__N_18offset_tEEE10hipError_tPvRmT1_PNSt15iterator_traitsISL_E10value_typeET2_T3_PNSM_ISR_E10value_typeET4_jRbjT5_SX_jjP12ihipStream_tbEUlT_E_NS1_11comp_targetILNS1_3genE9ELNS1_11target_archE1100ELNS1_3gpuE3ELNS1_3repE0EEENS1_30default_config_static_selectorELNS0_4arch9wavefront6targetE0EEEvSL_
                                        ; -- End function
	.set _ZN7rocprim17ROCPRIM_400000_NS6detail17trampoline_kernelINS0_14default_configENS1_36segmented_radix_sort_config_selectorI6__halflEEZNS1_25segmented_radix_sort_implIS3_Lb1EPKS5_PS5_PKlPlN2at6native12_GLOBAL__N_18offset_tEEE10hipError_tPvRmT1_PNSt15iterator_traitsISL_E10value_typeET2_T3_PNSM_ISR_E10value_typeET4_jRbjT5_SX_jjP12ihipStream_tbEUlT_E_NS1_11comp_targetILNS1_3genE9ELNS1_11target_archE1100ELNS1_3gpuE3ELNS1_3repE0EEENS1_30default_config_static_selectorELNS0_4arch9wavefront6targetE0EEEvSL_.num_vgpr, 0
	.set _ZN7rocprim17ROCPRIM_400000_NS6detail17trampoline_kernelINS0_14default_configENS1_36segmented_radix_sort_config_selectorI6__halflEEZNS1_25segmented_radix_sort_implIS3_Lb1EPKS5_PS5_PKlPlN2at6native12_GLOBAL__N_18offset_tEEE10hipError_tPvRmT1_PNSt15iterator_traitsISL_E10value_typeET2_T3_PNSM_ISR_E10value_typeET4_jRbjT5_SX_jjP12ihipStream_tbEUlT_E_NS1_11comp_targetILNS1_3genE9ELNS1_11target_archE1100ELNS1_3gpuE3ELNS1_3repE0EEENS1_30default_config_static_selectorELNS0_4arch9wavefront6targetE0EEEvSL_.num_agpr, 0
	.set _ZN7rocprim17ROCPRIM_400000_NS6detail17trampoline_kernelINS0_14default_configENS1_36segmented_radix_sort_config_selectorI6__halflEEZNS1_25segmented_radix_sort_implIS3_Lb1EPKS5_PS5_PKlPlN2at6native12_GLOBAL__N_18offset_tEEE10hipError_tPvRmT1_PNSt15iterator_traitsISL_E10value_typeET2_T3_PNSM_ISR_E10value_typeET4_jRbjT5_SX_jjP12ihipStream_tbEUlT_E_NS1_11comp_targetILNS1_3genE9ELNS1_11target_archE1100ELNS1_3gpuE3ELNS1_3repE0EEENS1_30default_config_static_selectorELNS0_4arch9wavefront6targetE0EEEvSL_.numbered_sgpr, 0
	.set _ZN7rocprim17ROCPRIM_400000_NS6detail17trampoline_kernelINS0_14default_configENS1_36segmented_radix_sort_config_selectorI6__halflEEZNS1_25segmented_radix_sort_implIS3_Lb1EPKS5_PS5_PKlPlN2at6native12_GLOBAL__N_18offset_tEEE10hipError_tPvRmT1_PNSt15iterator_traitsISL_E10value_typeET2_T3_PNSM_ISR_E10value_typeET4_jRbjT5_SX_jjP12ihipStream_tbEUlT_E_NS1_11comp_targetILNS1_3genE9ELNS1_11target_archE1100ELNS1_3gpuE3ELNS1_3repE0EEENS1_30default_config_static_selectorELNS0_4arch9wavefront6targetE0EEEvSL_.num_named_barrier, 0
	.set _ZN7rocprim17ROCPRIM_400000_NS6detail17trampoline_kernelINS0_14default_configENS1_36segmented_radix_sort_config_selectorI6__halflEEZNS1_25segmented_radix_sort_implIS3_Lb1EPKS5_PS5_PKlPlN2at6native12_GLOBAL__N_18offset_tEEE10hipError_tPvRmT1_PNSt15iterator_traitsISL_E10value_typeET2_T3_PNSM_ISR_E10value_typeET4_jRbjT5_SX_jjP12ihipStream_tbEUlT_E_NS1_11comp_targetILNS1_3genE9ELNS1_11target_archE1100ELNS1_3gpuE3ELNS1_3repE0EEENS1_30default_config_static_selectorELNS0_4arch9wavefront6targetE0EEEvSL_.private_seg_size, 0
	.set _ZN7rocprim17ROCPRIM_400000_NS6detail17trampoline_kernelINS0_14default_configENS1_36segmented_radix_sort_config_selectorI6__halflEEZNS1_25segmented_radix_sort_implIS3_Lb1EPKS5_PS5_PKlPlN2at6native12_GLOBAL__N_18offset_tEEE10hipError_tPvRmT1_PNSt15iterator_traitsISL_E10value_typeET2_T3_PNSM_ISR_E10value_typeET4_jRbjT5_SX_jjP12ihipStream_tbEUlT_E_NS1_11comp_targetILNS1_3genE9ELNS1_11target_archE1100ELNS1_3gpuE3ELNS1_3repE0EEENS1_30default_config_static_selectorELNS0_4arch9wavefront6targetE0EEEvSL_.uses_vcc, 0
	.set _ZN7rocprim17ROCPRIM_400000_NS6detail17trampoline_kernelINS0_14default_configENS1_36segmented_radix_sort_config_selectorI6__halflEEZNS1_25segmented_radix_sort_implIS3_Lb1EPKS5_PS5_PKlPlN2at6native12_GLOBAL__N_18offset_tEEE10hipError_tPvRmT1_PNSt15iterator_traitsISL_E10value_typeET2_T3_PNSM_ISR_E10value_typeET4_jRbjT5_SX_jjP12ihipStream_tbEUlT_E_NS1_11comp_targetILNS1_3genE9ELNS1_11target_archE1100ELNS1_3gpuE3ELNS1_3repE0EEENS1_30default_config_static_selectorELNS0_4arch9wavefront6targetE0EEEvSL_.uses_flat_scratch, 0
	.set _ZN7rocprim17ROCPRIM_400000_NS6detail17trampoline_kernelINS0_14default_configENS1_36segmented_radix_sort_config_selectorI6__halflEEZNS1_25segmented_radix_sort_implIS3_Lb1EPKS5_PS5_PKlPlN2at6native12_GLOBAL__N_18offset_tEEE10hipError_tPvRmT1_PNSt15iterator_traitsISL_E10value_typeET2_T3_PNSM_ISR_E10value_typeET4_jRbjT5_SX_jjP12ihipStream_tbEUlT_E_NS1_11comp_targetILNS1_3genE9ELNS1_11target_archE1100ELNS1_3gpuE3ELNS1_3repE0EEENS1_30default_config_static_selectorELNS0_4arch9wavefront6targetE0EEEvSL_.has_dyn_sized_stack, 0
	.set _ZN7rocprim17ROCPRIM_400000_NS6detail17trampoline_kernelINS0_14default_configENS1_36segmented_radix_sort_config_selectorI6__halflEEZNS1_25segmented_radix_sort_implIS3_Lb1EPKS5_PS5_PKlPlN2at6native12_GLOBAL__N_18offset_tEEE10hipError_tPvRmT1_PNSt15iterator_traitsISL_E10value_typeET2_T3_PNSM_ISR_E10value_typeET4_jRbjT5_SX_jjP12ihipStream_tbEUlT_E_NS1_11comp_targetILNS1_3genE9ELNS1_11target_archE1100ELNS1_3gpuE3ELNS1_3repE0EEENS1_30default_config_static_selectorELNS0_4arch9wavefront6targetE0EEEvSL_.has_recursion, 0
	.set _ZN7rocprim17ROCPRIM_400000_NS6detail17trampoline_kernelINS0_14default_configENS1_36segmented_radix_sort_config_selectorI6__halflEEZNS1_25segmented_radix_sort_implIS3_Lb1EPKS5_PS5_PKlPlN2at6native12_GLOBAL__N_18offset_tEEE10hipError_tPvRmT1_PNSt15iterator_traitsISL_E10value_typeET2_T3_PNSM_ISR_E10value_typeET4_jRbjT5_SX_jjP12ihipStream_tbEUlT_E_NS1_11comp_targetILNS1_3genE9ELNS1_11target_archE1100ELNS1_3gpuE3ELNS1_3repE0EEENS1_30default_config_static_selectorELNS0_4arch9wavefront6targetE0EEEvSL_.has_indirect_call, 0
	.section	.AMDGPU.csdata,"",@progbits
; Kernel info:
; codeLenInByte = 0
; TotalNumSgprs: 0
; NumVgprs: 0
; ScratchSize: 0
; MemoryBound: 0
; FloatMode: 240
; IeeeMode: 1
; LDSByteSize: 0 bytes/workgroup (compile time only)
; SGPRBlocks: 0
; VGPRBlocks: 0
; NumSGPRsForWavesPerEU: 1
; NumVGPRsForWavesPerEU: 1
; Occupancy: 16
; WaveLimiterHint : 0
; COMPUTE_PGM_RSRC2:SCRATCH_EN: 0
; COMPUTE_PGM_RSRC2:USER_SGPR: 2
; COMPUTE_PGM_RSRC2:TRAP_HANDLER: 0
; COMPUTE_PGM_RSRC2:TGID_X_EN: 1
; COMPUTE_PGM_RSRC2:TGID_Y_EN: 0
; COMPUTE_PGM_RSRC2:TGID_Z_EN: 0
; COMPUTE_PGM_RSRC2:TIDIG_COMP_CNT: 0
	.section	.text._ZN7rocprim17ROCPRIM_400000_NS6detail17trampoline_kernelINS0_14default_configENS1_36segmented_radix_sort_config_selectorI6__halflEEZNS1_25segmented_radix_sort_implIS3_Lb1EPKS5_PS5_PKlPlN2at6native12_GLOBAL__N_18offset_tEEE10hipError_tPvRmT1_PNSt15iterator_traitsISL_E10value_typeET2_T3_PNSM_ISR_E10value_typeET4_jRbjT5_SX_jjP12ihipStream_tbEUlT_E_NS1_11comp_targetILNS1_3genE8ELNS1_11target_archE1030ELNS1_3gpuE2ELNS1_3repE0EEENS1_30default_config_static_selectorELNS0_4arch9wavefront6targetE0EEEvSL_,"axG",@progbits,_ZN7rocprim17ROCPRIM_400000_NS6detail17trampoline_kernelINS0_14default_configENS1_36segmented_radix_sort_config_selectorI6__halflEEZNS1_25segmented_radix_sort_implIS3_Lb1EPKS5_PS5_PKlPlN2at6native12_GLOBAL__N_18offset_tEEE10hipError_tPvRmT1_PNSt15iterator_traitsISL_E10value_typeET2_T3_PNSM_ISR_E10value_typeET4_jRbjT5_SX_jjP12ihipStream_tbEUlT_E_NS1_11comp_targetILNS1_3genE8ELNS1_11target_archE1030ELNS1_3gpuE2ELNS1_3repE0EEENS1_30default_config_static_selectorELNS0_4arch9wavefront6targetE0EEEvSL_,comdat
	.globl	_ZN7rocprim17ROCPRIM_400000_NS6detail17trampoline_kernelINS0_14default_configENS1_36segmented_radix_sort_config_selectorI6__halflEEZNS1_25segmented_radix_sort_implIS3_Lb1EPKS5_PS5_PKlPlN2at6native12_GLOBAL__N_18offset_tEEE10hipError_tPvRmT1_PNSt15iterator_traitsISL_E10value_typeET2_T3_PNSM_ISR_E10value_typeET4_jRbjT5_SX_jjP12ihipStream_tbEUlT_E_NS1_11comp_targetILNS1_3genE8ELNS1_11target_archE1030ELNS1_3gpuE2ELNS1_3repE0EEENS1_30default_config_static_selectorELNS0_4arch9wavefront6targetE0EEEvSL_ ; -- Begin function _ZN7rocprim17ROCPRIM_400000_NS6detail17trampoline_kernelINS0_14default_configENS1_36segmented_radix_sort_config_selectorI6__halflEEZNS1_25segmented_radix_sort_implIS3_Lb1EPKS5_PS5_PKlPlN2at6native12_GLOBAL__N_18offset_tEEE10hipError_tPvRmT1_PNSt15iterator_traitsISL_E10value_typeET2_T3_PNSM_ISR_E10value_typeET4_jRbjT5_SX_jjP12ihipStream_tbEUlT_E_NS1_11comp_targetILNS1_3genE8ELNS1_11target_archE1030ELNS1_3gpuE2ELNS1_3repE0EEENS1_30default_config_static_selectorELNS0_4arch9wavefront6targetE0EEEvSL_
	.p2align	8
	.type	_ZN7rocprim17ROCPRIM_400000_NS6detail17trampoline_kernelINS0_14default_configENS1_36segmented_radix_sort_config_selectorI6__halflEEZNS1_25segmented_radix_sort_implIS3_Lb1EPKS5_PS5_PKlPlN2at6native12_GLOBAL__N_18offset_tEEE10hipError_tPvRmT1_PNSt15iterator_traitsISL_E10value_typeET2_T3_PNSM_ISR_E10value_typeET4_jRbjT5_SX_jjP12ihipStream_tbEUlT_E_NS1_11comp_targetILNS1_3genE8ELNS1_11target_archE1030ELNS1_3gpuE2ELNS1_3repE0EEENS1_30default_config_static_selectorELNS0_4arch9wavefront6targetE0EEEvSL_,@function
_ZN7rocprim17ROCPRIM_400000_NS6detail17trampoline_kernelINS0_14default_configENS1_36segmented_radix_sort_config_selectorI6__halflEEZNS1_25segmented_radix_sort_implIS3_Lb1EPKS5_PS5_PKlPlN2at6native12_GLOBAL__N_18offset_tEEE10hipError_tPvRmT1_PNSt15iterator_traitsISL_E10value_typeET2_T3_PNSM_ISR_E10value_typeET4_jRbjT5_SX_jjP12ihipStream_tbEUlT_E_NS1_11comp_targetILNS1_3genE8ELNS1_11target_archE1030ELNS1_3gpuE2ELNS1_3repE0EEENS1_30default_config_static_selectorELNS0_4arch9wavefront6targetE0EEEvSL_: ; @_ZN7rocprim17ROCPRIM_400000_NS6detail17trampoline_kernelINS0_14default_configENS1_36segmented_radix_sort_config_selectorI6__halflEEZNS1_25segmented_radix_sort_implIS3_Lb1EPKS5_PS5_PKlPlN2at6native12_GLOBAL__N_18offset_tEEE10hipError_tPvRmT1_PNSt15iterator_traitsISL_E10value_typeET2_T3_PNSM_ISR_E10value_typeET4_jRbjT5_SX_jjP12ihipStream_tbEUlT_E_NS1_11comp_targetILNS1_3genE8ELNS1_11target_archE1030ELNS1_3gpuE2ELNS1_3repE0EEENS1_30default_config_static_selectorELNS0_4arch9wavefront6targetE0EEEvSL_
; %bb.0:
	.section	.rodata,"a",@progbits
	.p2align	6, 0x0
	.amdhsa_kernel _ZN7rocprim17ROCPRIM_400000_NS6detail17trampoline_kernelINS0_14default_configENS1_36segmented_radix_sort_config_selectorI6__halflEEZNS1_25segmented_radix_sort_implIS3_Lb1EPKS5_PS5_PKlPlN2at6native12_GLOBAL__N_18offset_tEEE10hipError_tPvRmT1_PNSt15iterator_traitsISL_E10value_typeET2_T3_PNSM_ISR_E10value_typeET4_jRbjT5_SX_jjP12ihipStream_tbEUlT_E_NS1_11comp_targetILNS1_3genE8ELNS1_11target_archE1030ELNS1_3gpuE2ELNS1_3repE0EEENS1_30default_config_static_selectorELNS0_4arch9wavefront6targetE0EEEvSL_
		.amdhsa_group_segment_fixed_size 0
		.amdhsa_private_segment_fixed_size 0
		.amdhsa_kernarg_size 96
		.amdhsa_user_sgpr_count 2
		.amdhsa_user_sgpr_dispatch_ptr 0
		.amdhsa_user_sgpr_queue_ptr 0
		.amdhsa_user_sgpr_kernarg_segment_ptr 1
		.amdhsa_user_sgpr_dispatch_id 0
		.amdhsa_user_sgpr_private_segment_size 0
		.amdhsa_wavefront_size32 1
		.amdhsa_uses_dynamic_stack 0
		.amdhsa_enable_private_segment 0
		.amdhsa_system_sgpr_workgroup_id_x 1
		.amdhsa_system_sgpr_workgroup_id_y 0
		.amdhsa_system_sgpr_workgroup_id_z 0
		.amdhsa_system_sgpr_workgroup_info 0
		.amdhsa_system_vgpr_workitem_id 0
		.amdhsa_next_free_vgpr 1
		.amdhsa_next_free_sgpr 1
		.amdhsa_reserve_vcc 0
		.amdhsa_float_round_mode_32 0
		.amdhsa_float_round_mode_16_64 0
		.amdhsa_float_denorm_mode_32 3
		.amdhsa_float_denorm_mode_16_64 3
		.amdhsa_fp16_overflow 0
		.amdhsa_workgroup_processor_mode 1
		.amdhsa_memory_ordered 1
		.amdhsa_forward_progress 1
		.amdhsa_inst_pref_size 0
		.amdhsa_round_robin_scheduling 0
		.amdhsa_exception_fp_ieee_invalid_op 0
		.amdhsa_exception_fp_denorm_src 0
		.amdhsa_exception_fp_ieee_div_zero 0
		.amdhsa_exception_fp_ieee_overflow 0
		.amdhsa_exception_fp_ieee_underflow 0
		.amdhsa_exception_fp_ieee_inexact 0
		.amdhsa_exception_int_div_zero 0
	.end_amdhsa_kernel
	.section	.text._ZN7rocprim17ROCPRIM_400000_NS6detail17trampoline_kernelINS0_14default_configENS1_36segmented_radix_sort_config_selectorI6__halflEEZNS1_25segmented_radix_sort_implIS3_Lb1EPKS5_PS5_PKlPlN2at6native12_GLOBAL__N_18offset_tEEE10hipError_tPvRmT1_PNSt15iterator_traitsISL_E10value_typeET2_T3_PNSM_ISR_E10value_typeET4_jRbjT5_SX_jjP12ihipStream_tbEUlT_E_NS1_11comp_targetILNS1_3genE8ELNS1_11target_archE1030ELNS1_3gpuE2ELNS1_3repE0EEENS1_30default_config_static_selectorELNS0_4arch9wavefront6targetE0EEEvSL_,"axG",@progbits,_ZN7rocprim17ROCPRIM_400000_NS6detail17trampoline_kernelINS0_14default_configENS1_36segmented_radix_sort_config_selectorI6__halflEEZNS1_25segmented_radix_sort_implIS3_Lb1EPKS5_PS5_PKlPlN2at6native12_GLOBAL__N_18offset_tEEE10hipError_tPvRmT1_PNSt15iterator_traitsISL_E10value_typeET2_T3_PNSM_ISR_E10value_typeET4_jRbjT5_SX_jjP12ihipStream_tbEUlT_E_NS1_11comp_targetILNS1_3genE8ELNS1_11target_archE1030ELNS1_3gpuE2ELNS1_3repE0EEENS1_30default_config_static_selectorELNS0_4arch9wavefront6targetE0EEEvSL_,comdat
.Lfunc_end1748:
	.size	_ZN7rocprim17ROCPRIM_400000_NS6detail17trampoline_kernelINS0_14default_configENS1_36segmented_radix_sort_config_selectorI6__halflEEZNS1_25segmented_radix_sort_implIS3_Lb1EPKS5_PS5_PKlPlN2at6native12_GLOBAL__N_18offset_tEEE10hipError_tPvRmT1_PNSt15iterator_traitsISL_E10value_typeET2_T3_PNSM_ISR_E10value_typeET4_jRbjT5_SX_jjP12ihipStream_tbEUlT_E_NS1_11comp_targetILNS1_3genE8ELNS1_11target_archE1030ELNS1_3gpuE2ELNS1_3repE0EEENS1_30default_config_static_selectorELNS0_4arch9wavefront6targetE0EEEvSL_, .Lfunc_end1748-_ZN7rocprim17ROCPRIM_400000_NS6detail17trampoline_kernelINS0_14default_configENS1_36segmented_radix_sort_config_selectorI6__halflEEZNS1_25segmented_radix_sort_implIS3_Lb1EPKS5_PS5_PKlPlN2at6native12_GLOBAL__N_18offset_tEEE10hipError_tPvRmT1_PNSt15iterator_traitsISL_E10value_typeET2_T3_PNSM_ISR_E10value_typeET4_jRbjT5_SX_jjP12ihipStream_tbEUlT_E_NS1_11comp_targetILNS1_3genE8ELNS1_11target_archE1030ELNS1_3gpuE2ELNS1_3repE0EEENS1_30default_config_static_selectorELNS0_4arch9wavefront6targetE0EEEvSL_
                                        ; -- End function
	.set _ZN7rocprim17ROCPRIM_400000_NS6detail17trampoline_kernelINS0_14default_configENS1_36segmented_radix_sort_config_selectorI6__halflEEZNS1_25segmented_radix_sort_implIS3_Lb1EPKS5_PS5_PKlPlN2at6native12_GLOBAL__N_18offset_tEEE10hipError_tPvRmT1_PNSt15iterator_traitsISL_E10value_typeET2_T3_PNSM_ISR_E10value_typeET4_jRbjT5_SX_jjP12ihipStream_tbEUlT_E_NS1_11comp_targetILNS1_3genE8ELNS1_11target_archE1030ELNS1_3gpuE2ELNS1_3repE0EEENS1_30default_config_static_selectorELNS0_4arch9wavefront6targetE0EEEvSL_.num_vgpr, 0
	.set _ZN7rocprim17ROCPRIM_400000_NS6detail17trampoline_kernelINS0_14default_configENS1_36segmented_radix_sort_config_selectorI6__halflEEZNS1_25segmented_radix_sort_implIS3_Lb1EPKS5_PS5_PKlPlN2at6native12_GLOBAL__N_18offset_tEEE10hipError_tPvRmT1_PNSt15iterator_traitsISL_E10value_typeET2_T3_PNSM_ISR_E10value_typeET4_jRbjT5_SX_jjP12ihipStream_tbEUlT_E_NS1_11comp_targetILNS1_3genE8ELNS1_11target_archE1030ELNS1_3gpuE2ELNS1_3repE0EEENS1_30default_config_static_selectorELNS0_4arch9wavefront6targetE0EEEvSL_.num_agpr, 0
	.set _ZN7rocprim17ROCPRIM_400000_NS6detail17trampoline_kernelINS0_14default_configENS1_36segmented_radix_sort_config_selectorI6__halflEEZNS1_25segmented_radix_sort_implIS3_Lb1EPKS5_PS5_PKlPlN2at6native12_GLOBAL__N_18offset_tEEE10hipError_tPvRmT1_PNSt15iterator_traitsISL_E10value_typeET2_T3_PNSM_ISR_E10value_typeET4_jRbjT5_SX_jjP12ihipStream_tbEUlT_E_NS1_11comp_targetILNS1_3genE8ELNS1_11target_archE1030ELNS1_3gpuE2ELNS1_3repE0EEENS1_30default_config_static_selectorELNS0_4arch9wavefront6targetE0EEEvSL_.numbered_sgpr, 0
	.set _ZN7rocprim17ROCPRIM_400000_NS6detail17trampoline_kernelINS0_14default_configENS1_36segmented_radix_sort_config_selectorI6__halflEEZNS1_25segmented_radix_sort_implIS3_Lb1EPKS5_PS5_PKlPlN2at6native12_GLOBAL__N_18offset_tEEE10hipError_tPvRmT1_PNSt15iterator_traitsISL_E10value_typeET2_T3_PNSM_ISR_E10value_typeET4_jRbjT5_SX_jjP12ihipStream_tbEUlT_E_NS1_11comp_targetILNS1_3genE8ELNS1_11target_archE1030ELNS1_3gpuE2ELNS1_3repE0EEENS1_30default_config_static_selectorELNS0_4arch9wavefront6targetE0EEEvSL_.num_named_barrier, 0
	.set _ZN7rocprim17ROCPRIM_400000_NS6detail17trampoline_kernelINS0_14default_configENS1_36segmented_radix_sort_config_selectorI6__halflEEZNS1_25segmented_radix_sort_implIS3_Lb1EPKS5_PS5_PKlPlN2at6native12_GLOBAL__N_18offset_tEEE10hipError_tPvRmT1_PNSt15iterator_traitsISL_E10value_typeET2_T3_PNSM_ISR_E10value_typeET4_jRbjT5_SX_jjP12ihipStream_tbEUlT_E_NS1_11comp_targetILNS1_3genE8ELNS1_11target_archE1030ELNS1_3gpuE2ELNS1_3repE0EEENS1_30default_config_static_selectorELNS0_4arch9wavefront6targetE0EEEvSL_.private_seg_size, 0
	.set _ZN7rocprim17ROCPRIM_400000_NS6detail17trampoline_kernelINS0_14default_configENS1_36segmented_radix_sort_config_selectorI6__halflEEZNS1_25segmented_radix_sort_implIS3_Lb1EPKS5_PS5_PKlPlN2at6native12_GLOBAL__N_18offset_tEEE10hipError_tPvRmT1_PNSt15iterator_traitsISL_E10value_typeET2_T3_PNSM_ISR_E10value_typeET4_jRbjT5_SX_jjP12ihipStream_tbEUlT_E_NS1_11comp_targetILNS1_3genE8ELNS1_11target_archE1030ELNS1_3gpuE2ELNS1_3repE0EEENS1_30default_config_static_selectorELNS0_4arch9wavefront6targetE0EEEvSL_.uses_vcc, 0
	.set _ZN7rocprim17ROCPRIM_400000_NS6detail17trampoline_kernelINS0_14default_configENS1_36segmented_radix_sort_config_selectorI6__halflEEZNS1_25segmented_radix_sort_implIS3_Lb1EPKS5_PS5_PKlPlN2at6native12_GLOBAL__N_18offset_tEEE10hipError_tPvRmT1_PNSt15iterator_traitsISL_E10value_typeET2_T3_PNSM_ISR_E10value_typeET4_jRbjT5_SX_jjP12ihipStream_tbEUlT_E_NS1_11comp_targetILNS1_3genE8ELNS1_11target_archE1030ELNS1_3gpuE2ELNS1_3repE0EEENS1_30default_config_static_selectorELNS0_4arch9wavefront6targetE0EEEvSL_.uses_flat_scratch, 0
	.set _ZN7rocprim17ROCPRIM_400000_NS6detail17trampoline_kernelINS0_14default_configENS1_36segmented_radix_sort_config_selectorI6__halflEEZNS1_25segmented_radix_sort_implIS3_Lb1EPKS5_PS5_PKlPlN2at6native12_GLOBAL__N_18offset_tEEE10hipError_tPvRmT1_PNSt15iterator_traitsISL_E10value_typeET2_T3_PNSM_ISR_E10value_typeET4_jRbjT5_SX_jjP12ihipStream_tbEUlT_E_NS1_11comp_targetILNS1_3genE8ELNS1_11target_archE1030ELNS1_3gpuE2ELNS1_3repE0EEENS1_30default_config_static_selectorELNS0_4arch9wavefront6targetE0EEEvSL_.has_dyn_sized_stack, 0
	.set _ZN7rocprim17ROCPRIM_400000_NS6detail17trampoline_kernelINS0_14default_configENS1_36segmented_radix_sort_config_selectorI6__halflEEZNS1_25segmented_radix_sort_implIS3_Lb1EPKS5_PS5_PKlPlN2at6native12_GLOBAL__N_18offset_tEEE10hipError_tPvRmT1_PNSt15iterator_traitsISL_E10value_typeET2_T3_PNSM_ISR_E10value_typeET4_jRbjT5_SX_jjP12ihipStream_tbEUlT_E_NS1_11comp_targetILNS1_3genE8ELNS1_11target_archE1030ELNS1_3gpuE2ELNS1_3repE0EEENS1_30default_config_static_selectorELNS0_4arch9wavefront6targetE0EEEvSL_.has_recursion, 0
	.set _ZN7rocprim17ROCPRIM_400000_NS6detail17trampoline_kernelINS0_14default_configENS1_36segmented_radix_sort_config_selectorI6__halflEEZNS1_25segmented_radix_sort_implIS3_Lb1EPKS5_PS5_PKlPlN2at6native12_GLOBAL__N_18offset_tEEE10hipError_tPvRmT1_PNSt15iterator_traitsISL_E10value_typeET2_T3_PNSM_ISR_E10value_typeET4_jRbjT5_SX_jjP12ihipStream_tbEUlT_E_NS1_11comp_targetILNS1_3genE8ELNS1_11target_archE1030ELNS1_3gpuE2ELNS1_3repE0EEENS1_30default_config_static_selectorELNS0_4arch9wavefront6targetE0EEEvSL_.has_indirect_call, 0
	.section	.AMDGPU.csdata,"",@progbits
; Kernel info:
; codeLenInByte = 0
; TotalNumSgprs: 0
; NumVgprs: 0
; ScratchSize: 0
; MemoryBound: 0
; FloatMode: 240
; IeeeMode: 1
; LDSByteSize: 0 bytes/workgroup (compile time only)
; SGPRBlocks: 0
; VGPRBlocks: 0
; NumSGPRsForWavesPerEU: 1
; NumVGPRsForWavesPerEU: 1
; Occupancy: 16
; WaveLimiterHint : 0
; COMPUTE_PGM_RSRC2:SCRATCH_EN: 0
; COMPUTE_PGM_RSRC2:USER_SGPR: 2
; COMPUTE_PGM_RSRC2:TRAP_HANDLER: 0
; COMPUTE_PGM_RSRC2:TGID_X_EN: 1
; COMPUTE_PGM_RSRC2:TGID_Y_EN: 0
; COMPUTE_PGM_RSRC2:TGID_Z_EN: 0
; COMPUTE_PGM_RSRC2:TIDIG_COMP_CNT: 0
	.section	.text._ZN7rocprim17ROCPRIM_400000_NS6detail17trampoline_kernelINS0_14default_configENS1_36segmented_radix_sort_config_selectorI6__halflEEZNS1_25segmented_radix_sort_implIS3_Lb1EPKS5_PS5_PKlPlN2at6native12_GLOBAL__N_18offset_tEEE10hipError_tPvRmT1_PNSt15iterator_traitsISL_E10value_typeET2_T3_PNSM_ISR_E10value_typeET4_jRbjT5_SX_jjP12ihipStream_tbEUlT_E0_NS1_11comp_targetILNS1_3genE0ELNS1_11target_archE4294967295ELNS1_3gpuE0ELNS1_3repE0EEENS1_60segmented_radix_sort_warp_sort_medium_config_static_selectorELNS0_4arch9wavefront6targetE0EEEvSL_,"axG",@progbits,_ZN7rocprim17ROCPRIM_400000_NS6detail17trampoline_kernelINS0_14default_configENS1_36segmented_radix_sort_config_selectorI6__halflEEZNS1_25segmented_radix_sort_implIS3_Lb1EPKS5_PS5_PKlPlN2at6native12_GLOBAL__N_18offset_tEEE10hipError_tPvRmT1_PNSt15iterator_traitsISL_E10value_typeET2_T3_PNSM_ISR_E10value_typeET4_jRbjT5_SX_jjP12ihipStream_tbEUlT_E0_NS1_11comp_targetILNS1_3genE0ELNS1_11target_archE4294967295ELNS1_3gpuE0ELNS1_3repE0EEENS1_60segmented_radix_sort_warp_sort_medium_config_static_selectorELNS0_4arch9wavefront6targetE0EEEvSL_,comdat
	.globl	_ZN7rocprim17ROCPRIM_400000_NS6detail17trampoline_kernelINS0_14default_configENS1_36segmented_radix_sort_config_selectorI6__halflEEZNS1_25segmented_radix_sort_implIS3_Lb1EPKS5_PS5_PKlPlN2at6native12_GLOBAL__N_18offset_tEEE10hipError_tPvRmT1_PNSt15iterator_traitsISL_E10value_typeET2_T3_PNSM_ISR_E10value_typeET4_jRbjT5_SX_jjP12ihipStream_tbEUlT_E0_NS1_11comp_targetILNS1_3genE0ELNS1_11target_archE4294967295ELNS1_3gpuE0ELNS1_3repE0EEENS1_60segmented_radix_sort_warp_sort_medium_config_static_selectorELNS0_4arch9wavefront6targetE0EEEvSL_ ; -- Begin function _ZN7rocprim17ROCPRIM_400000_NS6detail17trampoline_kernelINS0_14default_configENS1_36segmented_radix_sort_config_selectorI6__halflEEZNS1_25segmented_radix_sort_implIS3_Lb1EPKS5_PS5_PKlPlN2at6native12_GLOBAL__N_18offset_tEEE10hipError_tPvRmT1_PNSt15iterator_traitsISL_E10value_typeET2_T3_PNSM_ISR_E10value_typeET4_jRbjT5_SX_jjP12ihipStream_tbEUlT_E0_NS1_11comp_targetILNS1_3genE0ELNS1_11target_archE4294967295ELNS1_3gpuE0ELNS1_3repE0EEENS1_60segmented_radix_sort_warp_sort_medium_config_static_selectorELNS0_4arch9wavefront6targetE0EEEvSL_
	.p2align	8
	.type	_ZN7rocprim17ROCPRIM_400000_NS6detail17trampoline_kernelINS0_14default_configENS1_36segmented_radix_sort_config_selectorI6__halflEEZNS1_25segmented_radix_sort_implIS3_Lb1EPKS5_PS5_PKlPlN2at6native12_GLOBAL__N_18offset_tEEE10hipError_tPvRmT1_PNSt15iterator_traitsISL_E10value_typeET2_T3_PNSM_ISR_E10value_typeET4_jRbjT5_SX_jjP12ihipStream_tbEUlT_E0_NS1_11comp_targetILNS1_3genE0ELNS1_11target_archE4294967295ELNS1_3gpuE0ELNS1_3repE0EEENS1_60segmented_radix_sort_warp_sort_medium_config_static_selectorELNS0_4arch9wavefront6targetE0EEEvSL_,@function
_ZN7rocprim17ROCPRIM_400000_NS6detail17trampoline_kernelINS0_14default_configENS1_36segmented_radix_sort_config_selectorI6__halflEEZNS1_25segmented_radix_sort_implIS3_Lb1EPKS5_PS5_PKlPlN2at6native12_GLOBAL__N_18offset_tEEE10hipError_tPvRmT1_PNSt15iterator_traitsISL_E10value_typeET2_T3_PNSM_ISR_E10value_typeET4_jRbjT5_SX_jjP12ihipStream_tbEUlT_E0_NS1_11comp_targetILNS1_3genE0ELNS1_11target_archE4294967295ELNS1_3gpuE0ELNS1_3repE0EEENS1_60segmented_radix_sort_warp_sort_medium_config_static_selectorELNS0_4arch9wavefront6targetE0EEEvSL_: ; @_ZN7rocprim17ROCPRIM_400000_NS6detail17trampoline_kernelINS0_14default_configENS1_36segmented_radix_sort_config_selectorI6__halflEEZNS1_25segmented_radix_sort_implIS3_Lb1EPKS5_PS5_PKlPlN2at6native12_GLOBAL__N_18offset_tEEE10hipError_tPvRmT1_PNSt15iterator_traitsISL_E10value_typeET2_T3_PNSM_ISR_E10value_typeET4_jRbjT5_SX_jjP12ihipStream_tbEUlT_E0_NS1_11comp_targetILNS1_3genE0ELNS1_11target_archE4294967295ELNS1_3gpuE0ELNS1_3repE0EEENS1_60segmented_radix_sort_warp_sort_medium_config_static_selectorELNS0_4arch9wavefront6targetE0EEEvSL_
; %bb.0:
	.section	.rodata,"a",@progbits
	.p2align	6, 0x0
	.amdhsa_kernel _ZN7rocprim17ROCPRIM_400000_NS6detail17trampoline_kernelINS0_14default_configENS1_36segmented_radix_sort_config_selectorI6__halflEEZNS1_25segmented_radix_sort_implIS3_Lb1EPKS5_PS5_PKlPlN2at6native12_GLOBAL__N_18offset_tEEE10hipError_tPvRmT1_PNSt15iterator_traitsISL_E10value_typeET2_T3_PNSM_ISR_E10value_typeET4_jRbjT5_SX_jjP12ihipStream_tbEUlT_E0_NS1_11comp_targetILNS1_3genE0ELNS1_11target_archE4294967295ELNS1_3gpuE0ELNS1_3repE0EEENS1_60segmented_radix_sort_warp_sort_medium_config_static_selectorELNS0_4arch9wavefront6targetE0EEEvSL_
		.amdhsa_group_segment_fixed_size 0
		.amdhsa_private_segment_fixed_size 0
		.amdhsa_kernarg_size 88
		.amdhsa_user_sgpr_count 2
		.amdhsa_user_sgpr_dispatch_ptr 0
		.amdhsa_user_sgpr_queue_ptr 0
		.amdhsa_user_sgpr_kernarg_segment_ptr 1
		.amdhsa_user_sgpr_dispatch_id 0
		.amdhsa_user_sgpr_private_segment_size 0
		.amdhsa_wavefront_size32 1
		.amdhsa_uses_dynamic_stack 0
		.amdhsa_enable_private_segment 0
		.amdhsa_system_sgpr_workgroup_id_x 1
		.amdhsa_system_sgpr_workgroup_id_y 0
		.amdhsa_system_sgpr_workgroup_id_z 0
		.amdhsa_system_sgpr_workgroup_info 0
		.amdhsa_system_vgpr_workitem_id 0
		.amdhsa_next_free_vgpr 1
		.amdhsa_next_free_sgpr 1
		.amdhsa_reserve_vcc 0
		.amdhsa_float_round_mode_32 0
		.amdhsa_float_round_mode_16_64 0
		.amdhsa_float_denorm_mode_32 3
		.amdhsa_float_denorm_mode_16_64 3
		.amdhsa_fp16_overflow 0
		.amdhsa_workgroup_processor_mode 1
		.amdhsa_memory_ordered 1
		.amdhsa_forward_progress 1
		.amdhsa_inst_pref_size 0
		.amdhsa_round_robin_scheduling 0
		.amdhsa_exception_fp_ieee_invalid_op 0
		.amdhsa_exception_fp_denorm_src 0
		.amdhsa_exception_fp_ieee_div_zero 0
		.amdhsa_exception_fp_ieee_overflow 0
		.amdhsa_exception_fp_ieee_underflow 0
		.amdhsa_exception_fp_ieee_inexact 0
		.amdhsa_exception_int_div_zero 0
	.end_amdhsa_kernel
	.section	.text._ZN7rocprim17ROCPRIM_400000_NS6detail17trampoline_kernelINS0_14default_configENS1_36segmented_radix_sort_config_selectorI6__halflEEZNS1_25segmented_radix_sort_implIS3_Lb1EPKS5_PS5_PKlPlN2at6native12_GLOBAL__N_18offset_tEEE10hipError_tPvRmT1_PNSt15iterator_traitsISL_E10value_typeET2_T3_PNSM_ISR_E10value_typeET4_jRbjT5_SX_jjP12ihipStream_tbEUlT_E0_NS1_11comp_targetILNS1_3genE0ELNS1_11target_archE4294967295ELNS1_3gpuE0ELNS1_3repE0EEENS1_60segmented_radix_sort_warp_sort_medium_config_static_selectorELNS0_4arch9wavefront6targetE0EEEvSL_,"axG",@progbits,_ZN7rocprim17ROCPRIM_400000_NS6detail17trampoline_kernelINS0_14default_configENS1_36segmented_radix_sort_config_selectorI6__halflEEZNS1_25segmented_radix_sort_implIS3_Lb1EPKS5_PS5_PKlPlN2at6native12_GLOBAL__N_18offset_tEEE10hipError_tPvRmT1_PNSt15iterator_traitsISL_E10value_typeET2_T3_PNSM_ISR_E10value_typeET4_jRbjT5_SX_jjP12ihipStream_tbEUlT_E0_NS1_11comp_targetILNS1_3genE0ELNS1_11target_archE4294967295ELNS1_3gpuE0ELNS1_3repE0EEENS1_60segmented_radix_sort_warp_sort_medium_config_static_selectorELNS0_4arch9wavefront6targetE0EEEvSL_,comdat
.Lfunc_end1749:
	.size	_ZN7rocprim17ROCPRIM_400000_NS6detail17trampoline_kernelINS0_14default_configENS1_36segmented_radix_sort_config_selectorI6__halflEEZNS1_25segmented_radix_sort_implIS3_Lb1EPKS5_PS5_PKlPlN2at6native12_GLOBAL__N_18offset_tEEE10hipError_tPvRmT1_PNSt15iterator_traitsISL_E10value_typeET2_T3_PNSM_ISR_E10value_typeET4_jRbjT5_SX_jjP12ihipStream_tbEUlT_E0_NS1_11comp_targetILNS1_3genE0ELNS1_11target_archE4294967295ELNS1_3gpuE0ELNS1_3repE0EEENS1_60segmented_radix_sort_warp_sort_medium_config_static_selectorELNS0_4arch9wavefront6targetE0EEEvSL_, .Lfunc_end1749-_ZN7rocprim17ROCPRIM_400000_NS6detail17trampoline_kernelINS0_14default_configENS1_36segmented_radix_sort_config_selectorI6__halflEEZNS1_25segmented_radix_sort_implIS3_Lb1EPKS5_PS5_PKlPlN2at6native12_GLOBAL__N_18offset_tEEE10hipError_tPvRmT1_PNSt15iterator_traitsISL_E10value_typeET2_T3_PNSM_ISR_E10value_typeET4_jRbjT5_SX_jjP12ihipStream_tbEUlT_E0_NS1_11comp_targetILNS1_3genE0ELNS1_11target_archE4294967295ELNS1_3gpuE0ELNS1_3repE0EEENS1_60segmented_radix_sort_warp_sort_medium_config_static_selectorELNS0_4arch9wavefront6targetE0EEEvSL_
                                        ; -- End function
	.set _ZN7rocprim17ROCPRIM_400000_NS6detail17trampoline_kernelINS0_14default_configENS1_36segmented_radix_sort_config_selectorI6__halflEEZNS1_25segmented_radix_sort_implIS3_Lb1EPKS5_PS5_PKlPlN2at6native12_GLOBAL__N_18offset_tEEE10hipError_tPvRmT1_PNSt15iterator_traitsISL_E10value_typeET2_T3_PNSM_ISR_E10value_typeET4_jRbjT5_SX_jjP12ihipStream_tbEUlT_E0_NS1_11comp_targetILNS1_3genE0ELNS1_11target_archE4294967295ELNS1_3gpuE0ELNS1_3repE0EEENS1_60segmented_radix_sort_warp_sort_medium_config_static_selectorELNS0_4arch9wavefront6targetE0EEEvSL_.num_vgpr, 0
	.set _ZN7rocprim17ROCPRIM_400000_NS6detail17trampoline_kernelINS0_14default_configENS1_36segmented_radix_sort_config_selectorI6__halflEEZNS1_25segmented_radix_sort_implIS3_Lb1EPKS5_PS5_PKlPlN2at6native12_GLOBAL__N_18offset_tEEE10hipError_tPvRmT1_PNSt15iterator_traitsISL_E10value_typeET2_T3_PNSM_ISR_E10value_typeET4_jRbjT5_SX_jjP12ihipStream_tbEUlT_E0_NS1_11comp_targetILNS1_3genE0ELNS1_11target_archE4294967295ELNS1_3gpuE0ELNS1_3repE0EEENS1_60segmented_radix_sort_warp_sort_medium_config_static_selectorELNS0_4arch9wavefront6targetE0EEEvSL_.num_agpr, 0
	.set _ZN7rocprim17ROCPRIM_400000_NS6detail17trampoline_kernelINS0_14default_configENS1_36segmented_radix_sort_config_selectorI6__halflEEZNS1_25segmented_radix_sort_implIS3_Lb1EPKS5_PS5_PKlPlN2at6native12_GLOBAL__N_18offset_tEEE10hipError_tPvRmT1_PNSt15iterator_traitsISL_E10value_typeET2_T3_PNSM_ISR_E10value_typeET4_jRbjT5_SX_jjP12ihipStream_tbEUlT_E0_NS1_11comp_targetILNS1_3genE0ELNS1_11target_archE4294967295ELNS1_3gpuE0ELNS1_3repE0EEENS1_60segmented_radix_sort_warp_sort_medium_config_static_selectorELNS0_4arch9wavefront6targetE0EEEvSL_.numbered_sgpr, 0
	.set _ZN7rocprim17ROCPRIM_400000_NS6detail17trampoline_kernelINS0_14default_configENS1_36segmented_radix_sort_config_selectorI6__halflEEZNS1_25segmented_radix_sort_implIS3_Lb1EPKS5_PS5_PKlPlN2at6native12_GLOBAL__N_18offset_tEEE10hipError_tPvRmT1_PNSt15iterator_traitsISL_E10value_typeET2_T3_PNSM_ISR_E10value_typeET4_jRbjT5_SX_jjP12ihipStream_tbEUlT_E0_NS1_11comp_targetILNS1_3genE0ELNS1_11target_archE4294967295ELNS1_3gpuE0ELNS1_3repE0EEENS1_60segmented_radix_sort_warp_sort_medium_config_static_selectorELNS0_4arch9wavefront6targetE0EEEvSL_.num_named_barrier, 0
	.set _ZN7rocprim17ROCPRIM_400000_NS6detail17trampoline_kernelINS0_14default_configENS1_36segmented_radix_sort_config_selectorI6__halflEEZNS1_25segmented_radix_sort_implIS3_Lb1EPKS5_PS5_PKlPlN2at6native12_GLOBAL__N_18offset_tEEE10hipError_tPvRmT1_PNSt15iterator_traitsISL_E10value_typeET2_T3_PNSM_ISR_E10value_typeET4_jRbjT5_SX_jjP12ihipStream_tbEUlT_E0_NS1_11comp_targetILNS1_3genE0ELNS1_11target_archE4294967295ELNS1_3gpuE0ELNS1_3repE0EEENS1_60segmented_radix_sort_warp_sort_medium_config_static_selectorELNS0_4arch9wavefront6targetE0EEEvSL_.private_seg_size, 0
	.set _ZN7rocprim17ROCPRIM_400000_NS6detail17trampoline_kernelINS0_14default_configENS1_36segmented_radix_sort_config_selectorI6__halflEEZNS1_25segmented_radix_sort_implIS3_Lb1EPKS5_PS5_PKlPlN2at6native12_GLOBAL__N_18offset_tEEE10hipError_tPvRmT1_PNSt15iterator_traitsISL_E10value_typeET2_T3_PNSM_ISR_E10value_typeET4_jRbjT5_SX_jjP12ihipStream_tbEUlT_E0_NS1_11comp_targetILNS1_3genE0ELNS1_11target_archE4294967295ELNS1_3gpuE0ELNS1_3repE0EEENS1_60segmented_radix_sort_warp_sort_medium_config_static_selectorELNS0_4arch9wavefront6targetE0EEEvSL_.uses_vcc, 0
	.set _ZN7rocprim17ROCPRIM_400000_NS6detail17trampoline_kernelINS0_14default_configENS1_36segmented_radix_sort_config_selectorI6__halflEEZNS1_25segmented_radix_sort_implIS3_Lb1EPKS5_PS5_PKlPlN2at6native12_GLOBAL__N_18offset_tEEE10hipError_tPvRmT1_PNSt15iterator_traitsISL_E10value_typeET2_T3_PNSM_ISR_E10value_typeET4_jRbjT5_SX_jjP12ihipStream_tbEUlT_E0_NS1_11comp_targetILNS1_3genE0ELNS1_11target_archE4294967295ELNS1_3gpuE0ELNS1_3repE0EEENS1_60segmented_radix_sort_warp_sort_medium_config_static_selectorELNS0_4arch9wavefront6targetE0EEEvSL_.uses_flat_scratch, 0
	.set _ZN7rocprim17ROCPRIM_400000_NS6detail17trampoline_kernelINS0_14default_configENS1_36segmented_radix_sort_config_selectorI6__halflEEZNS1_25segmented_radix_sort_implIS3_Lb1EPKS5_PS5_PKlPlN2at6native12_GLOBAL__N_18offset_tEEE10hipError_tPvRmT1_PNSt15iterator_traitsISL_E10value_typeET2_T3_PNSM_ISR_E10value_typeET4_jRbjT5_SX_jjP12ihipStream_tbEUlT_E0_NS1_11comp_targetILNS1_3genE0ELNS1_11target_archE4294967295ELNS1_3gpuE0ELNS1_3repE0EEENS1_60segmented_radix_sort_warp_sort_medium_config_static_selectorELNS0_4arch9wavefront6targetE0EEEvSL_.has_dyn_sized_stack, 0
	.set _ZN7rocprim17ROCPRIM_400000_NS6detail17trampoline_kernelINS0_14default_configENS1_36segmented_radix_sort_config_selectorI6__halflEEZNS1_25segmented_radix_sort_implIS3_Lb1EPKS5_PS5_PKlPlN2at6native12_GLOBAL__N_18offset_tEEE10hipError_tPvRmT1_PNSt15iterator_traitsISL_E10value_typeET2_T3_PNSM_ISR_E10value_typeET4_jRbjT5_SX_jjP12ihipStream_tbEUlT_E0_NS1_11comp_targetILNS1_3genE0ELNS1_11target_archE4294967295ELNS1_3gpuE0ELNS1_3repE0EEENS1_60segmented_radix_sort_warp_sort_medium_config_static_selectorELNS0_4arch9wavefront6targetE0EEEvSL_.has_recursion, 0
	.set _ZN7rocprim17ROCPRIM_400000_NS6detail17trampoline_kernelINS0_14default_configENS1_36segmented_radix_sort_config_selectorI6__halflEEZNS1_25segmented_radix_sort_implIS3_Lb1EPKS5_PS5_PKlPlN2at6native12_GLOBAL__N_18offset_tEEE10hipError_tPvRmT1_PNSt15iterator_traitsISL_E10value_typeET2_T3_PNSM_ISR_E10value_typeET4_jRbjT5_SX_jjP12ihipStream_tbEUlT_E0_NS1_11comp_targetILNS1_3genE0ELNS1_11target_archE4294967295ELNS1_3gpuE0ELNS1_3repE0EEENS1_60segmented_radix_sort_warp_sort_medium_config_static_selectorELNS0_4arch9wavefront6targetE0EEEvSL_.has_indirect_call, 0
	.section	.AMDGPU.csdata,"",@progbits
; Kernel info:
; codeLenInByte = 0
; TotalNumSgprs: 0
; NumVgprs: 0
; ScratchSize: 0
; MemoryBound: 0
; FloatMode: 240
; IeeeMode: 1
; LDSByteSize: 0 bytes/workgroup (compile time only)
; SGPRBlocks: 0
; VGPRBlocks: 0
; NumSGPRsForWavesPerEU: 1
; NumVGPRsForWavesPerEU: 1
; Occupancy: 16
; WaveLimiterHint : 0
; COMPUTE_PGM_RSRC2:SCRATCH_EN: 0
; COMPUTE_PGM_RSRC2:USER_SGPR: 2
; COMPUTE_PGM_RSRC2:TRAP_HANDLER: 0
; COMPUTE_PGM_RSRC2:TGID_X_EN: 1
; COMPUTE_PGM_RSRC2:TGID_Y_EN: 0
; COMPUTE_PGM_RSRC2:TGID_Z_EN: 0
; COMPUTE_PGM_RSRC2:TIDIG_COMP_CNT: 0
	.section	.text._ZN7rocprim17ROCPRIM_400000_NS6detail17trampoline_kernelINS0_14default_configENS1_36segmented_radix_sort_config_selectorI6__halflEEZNS1_25segmented_radix_sort_implIS3_Lb1EPKS5_PS5_PKlPlN2at6native12_GLOBAL__N_18offset_tEEE10hipError_tPvRmT1_PNSt15iterator_traitsISL_E10value_typeET2_T3_PNSM_ISR_E10value_typeET4_jRbjT5_SX_jjP12ihipStream_tbEUlT_E0_NS1_11comp_targetILNS1_3genE5ELNS1_11target_archE942ELNS1_3gpuE9ELNS1_3repE0EEENS1_60segmented_radix_sort_warp_sort_medium_config_static_selectorELNS0_4arch9wavefront6targetE0EEEvSL_,"axG",@progbits,_ZN7rocprim17ROCPRIM_400000_NS6detail17trampoline_kernelINS0_14default_configENS1_36segmented_radix_sort_config_selectorI6__halflEEZNS1_25segmented_radix_sort_implIS3_Lb1EPKS5_PS5_PKlPlN2at6native12_GLOBAL__N_18offset_tEEE10hipError_tPvRmT1_PNSt15iterator_traitsISL_E10value_typeET2_T3_PNSM_ISR_E10value_typeET4_jRbjT5_SX_jjP12ihipStream_tbEUlT_E0_NS1_11comp_targetILNS1_3genE5ELNS1_11target_archE942ELNS1_3gpuE9ELNS1_3repE0EEENS1_60segmented_radix_sort_warp_sort_medium_config_static_selectorELNS0_4arch9wavefront6targetE0EEEvSL_,comdat
	.globl	_ZN7rocprim17ROCPRIM_400000_NS6detail17trampoline_kernelINS0_14default_configENS1_36segmented_radix_sort_config_selectorI6__halflEEZNS1_25segmented_radix_sort_implIS3_Lb1EPKS5_PS5_PKlPlN2at6native12_GLOBAL__N_18offset_tEEE10hipError_tPvRmT1_PNSt15iterator_traitsISL_E10value_typeET2_T3_PNSM_ISR_E10value_typeET4_jRbjT5_SX_jjP12ihipStream_tbEUlT_E0_NS1_11comp_targetILNS1_3genE5ELNS1_11target_archE942ELNS1_3gpuE9ELNS1_3repE0EEENS1_60segmented_radix_sort_warp_sort_medium_config_static_selectorELNS0_4arch9wavefront6targetE0EEEvSL_ ; -- Begin function _ZN7rocprim17ROCPRIM_400000_NS6detail17trampoline_kernelINS0_14default_configENS1_36segmented_radix_sort_config_selectorI6__halflEEZNS1_25segmented_radix_sort_implIS3_Lb1EPKS5_PS5_PKlPlN2at6native12_GLOBAL__N_18offset_tEEE10hipError_tPvRmT1_PNSt15iterator_traitsISL_E10value_typeET2_T3_PNSM_ISR_E10value_typeET4_jRbjT5_SX_jjP12ihipStream_tbEUlT_E0_NS1_11comp_targetILNS1_3genE5ELNS1_11target_archE942ELNS1_3gpuE9ELNS1_3repE0EEENS1_60segmented_radix_sort_warp_sort_medium_config_static_selectorELNS0_4arch9wavefront6targetE0EEEvSL_
	.p2align	8
	.type	_ZN7rocprim17ROCPRIM_400000_NS6detail17trampoline_kernelINS0_14default_configENS1_36segmented_radix_sort_config_selectorI6__halflEEZNS1_25segmented_radix_sort_implIS3_Lb1EPKS5_PS5_PKlPlN2at6native12_GLOBAL__N_18offset_tEEE10hipError_tPvRmT1_PNSt15iterator_traitsISL_E10value_typeET2_T3_PNSM_ISR_E10value_typeET4_jRbjT5_SX_jjP12ihipStream_tbEUlT_E0_NS1_11comp_targetILNS1_3genE5ELNS1_11target_archE942ELNS1_3gpuE9ELNS1_3repE0EEENS1_60segmented_radix_sort_warp_sort_medium_config_static_selectorELNS0_4arch9wavefront6targetE0EEEvSL_,@function
_ZN7rocprim17ROCPRIM_400000_NS6detail17trampoline_kernelINS0_14default_configENS1_36segmented_radix_sort_config_selectorI6__halflEEZNS1_25segmented_radix_sort_implIS3_Lb1EPKS5_PS5_PKlPlN2at6native12_GLOBAL__N_18offset_tEEE10hipError_tPvRmT1_PNSt15iterator_traitsISL_E10value_typeET2_T3_PNSM_ISR_E10value_typeET4_jRbjT5_SX_jjP12ihipStream_tbEUlT_E0_NS1_11comp_targetILNS1_3genE5ELNS1_11target_archE942ELNS1_3gpuE9ELNS1_3repE0EEENS1_60segmented_radix_sort_warp_sort_medium_config_static_selectorELNS0_4arch9wavefront6targetE0EEEvSL_: ; @_ZN7rocprim17ROCPRIM_400000_NS6detail17trampoline_kernelINS0_14default_configENS1_36segmented_radix_sort_config_selectorI6__halflEEZNS1_25segmented_radix_sort_implIS3_Lb1EPKS5_PS5_PKlPlN2at6native12_GLOBAL__N_18offset_tEEE10hipError_tPvRmT1_PNSt15iterator_traitsISL_E10value_typeET2_T3_PNSM_ISR_E10value_typeET4_jRbjT5_SX_jjP12ihipStream_tbEUlT_E0_NS1_11comp_targetILNS1_3genE5ELNS1_11target_archE942ELNS1_3gpuE9ELNS1_3repE0EEENS1_60segmented_radix_sort_warp_sort_medium_config_static_selectorELNS0_4arch9wavefront6targetE0EEEvSL_
; %bb.0:
	.section	.rodata,"a",@progbits
	.p2align	6, 0x0
	.amdhsa_kernel _ZN7rocprim17ROCPRIM_400000_NS6detail17trampoline_kernelINS0_14default_configENS1_36segmented_radix_sort_config_selectorI6__halflEEZNS1_25segmented_radix_sort_implIS3_Lb1EPKS5_PS5_PKlPlN2at6native12_GLOBAL__N_18offset_tEEE10hipError_tPvRmT1_PNSt15iterator_traitsISL_E10value_typeET2_T3_PNSM_ISR_E10value_typeET4_jRbjT5_SX_jjP12ihipStream_tbEUlT_E0_NS1_11comp_targetILNS1_3genE5ELNS1_11target_archE942ELNS1_3gpuE9ELNS1_3repE0EEENS1_60segmented_radix_sort_warp_sort_medium_config_static_selectorELNS0_4arch9wavefront6targetE0EEEvSL_
		.amdhsa_group_segment_fixed_size 0
		.amdhsa_private_segment_fixed_size 0
		.amdhsa_kernarg_size 88
		.amdhsa_user_sgpr_count 2
		.amdhsa_user_sgpr_dispatch_ptr 0
		.amdhsa_user_sgpr_queue_ptr 0
		.amdhsa_user_sgpr_kernarg_segment_ptr 1
		.amdhsa_user_sgpr_dispatch_id 0
		.amdhsa_user_sgpr_private_segment_size 0
		.amdhsa_wavefront_size32 1
		.amdhsa_uses_dynamic_stack 0
		.amdhsa_enable_private_segment 0
		.amdhsa_system_sgpr_workgroup_id_x 1
		.amdhsa_system_sgpr_workgroup_id_y 0
		.amdhsa_system_sgpr_workgroup_id_z 0
		.amdhsa_system_sgpr_workgroup_info 0
		.amdhsa_system_vgpr_workitem_id 0
		.amdhsa_next_free_vgpr 1
		.amdhsa_next_free_sgpr 1
		.amdhsa_reserve_vcc 0
		.amdhsa_float_round_mode_32 0
		.amdhsa_float_round_mode_16_64 0
		.amdhsa_float_denorm_mode_32 3
		.amdhsa_float_denorm_mode_16_64 3
		.amdhsa_fp16_overflow 0
		.amdhsa_workgroup_processor_mode 1
		.amdhsa_memory_ordered 1
		.amdhsa_forward_progress 1
		.amdhsa_inst_pref_size 0
		.amdhsa_round_robin_scheduling 0
		.amdhsa_exception_fp_ieee_invalid_op 0
		.amdhsa_exception_fp_denorm_src 0
		.amdhsa_exception_fp_ieee_div_zero 0
		.amdhsa_exception_fp_ieee_overflow 0
		.amdhsa_exception_fp_ieee_underflow 0
		.amdhsa_exception_fp_ieee_inexact 0
		.amdhsa_exception_int_div_zero 0
	.end_amdhsa_kernel
	.section	.text._ZN7rocprim17ROCPRIM_400000_NS6detail17trampoline_kernelINS0_14default_configENS1_36segmented_radix_sort_config_selectorI6__halflEEZNS1_25segmented_radix_sort_implIS3_Lb1EPKS5_PS5_PKlPlN2at6native12_GLOBAL__N_18offset_tEEE10hipError_tPvRmT1_PNSt15iterator_traitsISL_E10value_typeET2_T3_PNSM_ISR_E10value_typeET4_jRbjT5_SX_jjP12ihipStream_tbEUlT_E0_NS1_11comp_targetILNS1_3genE5ELNS1_11target_archE942ELNS1_3gpuE9ELNS1_3repE0EEENS1_60segmented_radix_sort_warp_sort_medium_config_static_selectorELNS0_4arch9wavefront6targetE0EEEvSL_,"axG",@progbits,_ZN7rocprim17ROCPRIM_400000_NS6detail17trampoline_kernelINS0_14default_configENS1_36segmented_radix_sort_config_selectorI6__halflEEZNS1_25segmented_radix_sort_implIS3_Lb1EPKS5_PS5_PKlPlN2at6native12_GLOBAL__N_18offset_tEEE10hipError_tPvRmT1_PNSt15iterator_traitsISL_E10value_typeET2_T3_PNSM_ISR_E10value_typeET4_jRbjT5_SX_jjP12ihipStream_tbEUlT_E0_NS1_11comp_targetILNS1_3genE5ELNS1_11target_archE942ELNS1_3gpuE9ELNS1_3repE0EEENS1_60segmented_radix_sort_warp_sort_medium_config_static_selectorELNS0_4arch9wavefront6targetE0EEEvSL_,comdat
.Lfunc_end1750:
	.size	_ZN7rocprim17ROCPRIM_400000_NS6detail17trampoline_kernelINS0_14default_configENS1_36segmented_radix_sort_config_selectorI6__halflEEZNS1_25segmented_radix_sort_implIS3_Lb1EPKS5_PS5_PKlPlN2at6native12_GLOBAL__N_18offset_tEEE10hipError_tPvRmT1_PNSt15iterator_traitsISL_E10value_typeET2_T3_PNSM_ISR_E10value_typeET4_jRbjT5_SX_jjP12ihipStream_tbEUlT_E0_NS1_11comp_targetILNS1_3genE5ELNS1_11target_archE942ELNS1_3gpuE9ELNS1_3repE0EEENS1_60segmented_radix_sort_warp_sort_medium_config_static_selectorELNS0_4arch9wavefront6targetE0EEEvSL_, .Lfunc_end1750-_ZN7rocprim17ROCPRIM_400000_NS6detail17trampoline_kernelINS0_14default_configENS1_36segmented_radix_sort_config_selectorI6__halflEEZNS1_25segmented_radix_sort_implIS3_Lb1EPKS5_PS5_PKlPlN2at6native12_GLOBAL__N_18offset_tEEE10hipError_tPvRmT1_PNSt15iterator_traitsISL_E10value_typeET2_T3_PNSM_ISR_E10value_typeET4_jRbjT5_SX_jjP12ihipStream_tbEUlT_E0_NS1_11comp_targetILNS1_3genE5ELNS1_11target_archE942ELNS1_3gpuE9ELNS1_3repE0EEENS1_60segmented_radix_sort_warp_sort_medium_config_static_selectorELNS0_4arch9wavefront6targetE0EEEvSL_
                                        ; -- End function
	.set _ZN7rocprim17ROCPRIM_400000_NS6detail17trampoline_kernelINS0_14default_configENS1_36segmented_radix_sort_config_selectorI6__halflEEZNS1_25segmented_radix_sort_implIS3_Lb1EPKS5_PS5_PKlPlN2at6native12_GLOBAL__N_18offset_tEEE10hipError_tPvRmT1_PNSt15iterator_traitsISL_E10value_typeET2_T3_PNSM_ISR_E10value_typeET4_jRbjT5_SX_jjP12ihipStream_tbEUlT_E0_NS1_11comp_targetILNS1_3genE5ELNS1_11target_archE942ELNS1_3gpuE9ELNS1_3repE0EEENS1_60segmented_radix_sort_warp_sort_medium_config_static_selectorELNS0_4arch9wavefront6targetE0EEEvSL_.num_vgpr, 0
	.set _ZN7rocprim17ROCPRIM_400000_NS6detail17trampoline_kernelINS0_14default_configENS1_36segmented_radix_sort_config_selectorI6__halflEEZNS1_25segmented_radix_sort_implIS3_Lb1EPKS5_PS5_PKlPlN2at6native12_GLOBAL__N_18offset_tEEE10hipError_tPvRmT1_PNSt15iterator_traitsISL_E10value_typeET2_T3_PNSM_ISR_E10value_typeET4_jRbjT5_SX_jjP12ihipStream_tbEUlT_E0_NS1_11comp_targetILNS1_3genE5ELNS1_11target_archE942ELNS1_3gpuE9ELNS1_3repE0EEENS1_60segmented_radix_sort_warp_sort_medium_config_static_selectorELNS0_4arch9wavefront6targetE0EEEvSL_.num_agpr, 0
	.set _ZN7rocprim17ROCPRIM_400000_NS6detail17trampoline_kernelINS0_14default_configENS1_36segmented_radix_sort_config_selectorI6__halflEEZNS1_25segmented_radix_sort_implIS3_Lb1EPKS5_PS5_PKlPlN2at6native12_GLOBAL__N_18offset_tEEE10hipError_tPvRmT1_PNSt15iterator_traitsISL_E10value_typeET2_T3_PNSM_ISR_E10value_typeET4_jRbjT5_SX_jjP12ihipStream_tbEUlT_E0_NS1_11comp_targetILNS1_3genE5ELNS1_11target_archE942ELNS1_3gpuE9ELNS1_3repE0EEENS1_60segmented_radix_sort_warp_sort_medium_config_static_selectorELNS0_4arch9wavefront6targetE0EEEvSL_.numbered_sgpr, 0
	.set _ZN7rocprim17ROCPRIM_400000_NS6detail17trampoline_kernelINS0_14default_configENS1_36segmented_radix_sort_config_selectorI6__halflEEZNS1_25segmented_radix_sort_implIS3_Lb1EPKS5_PS5_PKlPlN2at6native12_GLOBAL__N_18offset_tEEE10hipError_tPvRmT1_PNSt15iterator_traitsISL_E10value_typeET2_T3_PNSM_ISR_E10value_typeET4_jRbjT5_SX_jjP12ihipStream_tbEUlT_E0_NS1_11comp_targetILNS1_3genE5ELNS1_11target_archE942ELNS1_3gpuE9ELNS1_3repE0EEENS1_60segmented_radix_sort_warp_sort_medium_config_static_selectorELNS0_4arch9wavefront6targetE0EEEvSL_.num_named_barrier, 0
	.set _ZN7rocprim17ROCPRIM_400000_NS6detail17trampoline_kernelINS0_14default_configENS1_36segmented_radix_sort_config_selectorI6__halflEEZNS1_25segmented_radix_sort_implIS3_Lb1EPKS5_PS5_PKlPlN2at6native12_GLOBAL__N_18offset_tEEE10hipError_tPvRmT1_PNSt15iterator_traitsISL_E10value_typeET2_T3_PNSM_ISR_E10value_typeET4_jRbjT5_SX_jjP12ihipStream_tbEUlT_E0_NS1_11comp_targetILNS1_3genE5ELNS1_11target_archE942ELNS1_3gpuE9ELNS1_3repE0EEENS1_60segmented_radix_sort_warp_sort_medium_config_static_selectorELNS0_4arch9wavefront6targetE0EEEvSL_.private_seg_size, 0
	.set _ZN7rocprim17ROCPRIM_400000_NS6detail17trampoline_kernelINS0_14default_configENS1_36segmented_radix_sort_config_selectorI6__halflEEZNS1_25segmented_radix_sort_implIS3_Lb1EPKS5_PS5_PKlPlN2at6native12_GLOBAL__N_18offset_tEEE10hipError_tPvRmT1_PNSt15iterator_traitsISL_E10value_typeET2_T3_PNSM_ISR_E10value_typeET4_jRbjT5_SX_jjP12ihipStream_tbEUlT_E0_NS1_11comp_targetILNS1_3genE5ELNS1_11target_archE942ELNS1_3gpuE9ELNS1_3repE0EEENS1_60segmented_radix_sort_warp_sort_medium_config_static_selectorELNS0_4arch9wavefront6targetE0EEEvSL_.uses_vcc, 0
	.set _ZN7rocprim17ROCPRIM_400000_NS6detail17trampoline_kernelINS0_14default_configENS1_36segmented_radix_sort_config_selectorI6__halflEEZNS1_25segmented_radix_sort_implIS3_Lb1EPKS5_PS5_PKlPlN2at6native12_GLOBAL__N_18offset_tEEE10hipError_tPvRmT1_PNSt15iterator_traitsISL_E10value_typeET2_T3_PNSM_ISR_E10value_typeET4_jRbjT5_SX_jjP12ihipStream_tbEUlT_E0_NS1_11comp_targetILNS1_3genE5ELNS1_11target_archE942ELNS1_3gpuE9ELNS1_3repE0EEENS1_60segmented_radix_sort_warp_sort_medium_config_static_selectorELNS0_4arch9wavefront6targetE0EEEvSL_.uses_flat_scratch, 0
	.set _ZN7rocprim17ROCPRIM_400000_NS6detail17trampoline_kernelINS0_14default_configENS1_36segmented_radix_sort_config_selectorI6__halflEEZNS1_25segmented_radix_sort_implIS3_Lb1EPKS5_PS5_PKlPlN2at6native12_GLOBAL__N_18offset_tEEE10hipError_tPvRmT1_PNSt15iterator_traitsISL_E10value_typeET2_T3_PNSM_ISR_E10value_typeET4_jRbjT5_SX_jjP12ihipStream_tbEUlT_E0_NS1_11comp_targetILNS1_3genE5ELNS1_11target_archE942ELNS1_3gpuE9ELNS1_3repE0EEENS1_60segmented_radix_sort_warp_sort_medium_config_static_selectorELNS0_4arch9wavefront6targetE0EEEvSL_.has_dyn_sized_stack, 0
	.set _ZN7rocprim17ROCPRIM_400000_NS6detail17trampoline_kernelINS0_14default_configENS1_36segmented_radix_sort_config_selectorI6__halflEEZNS1_25segmented_radix_sort_implIS3_Lb1EPKS5_PS5_PKlPlN2at6native12_GLOBAL__N_18offset_tEEE10hipError_tPvRmT1_PNSt15iterator_traitsISL_E10value_typeET2_T3_PNSM_ISR_E10value_typeET4_jRbjT5_SX_jjP12ihipStream_tbEUlT_E0_NS1_11comp_targetILNS1_3genE5ELNS1_11target_archE942ELNS1_3gpuE9ELNS1_3repE0EEENS1_60segmented_radix_sort_warp_sort_medium_config_static_selectorELNS0_4arch9wavefront6targetE0EEEvSL_.has_recursion, 0
	.set _ZN7rocprim17ROCPRIM_400000_NS6detail17trampoline_kernelINS0_14default_configENS1_36segmented_radix_sort_config_selectorI6__halflEEZNS1_25segmented_radix_sort_implIS3_Lb1EPKS5_PS5_PKlPlN2at6native12_GLOBAL__N_18offset_tEEE10hipError_tPvRmT1_PNSt15iterator_traitsISL_E10value_typeET2_T3_PNSM_ISR_E10value_typeET4_jRbjT5_SX_jjP12ihipStream_tbEUlT_E0_NS1_11comp_targetILNS1_3genE5ELNS1_11target_archE942ELNS1_3gpuE9ELNS1_3repE0EEENS1_60segmented_radix_sort_warp_sort_medium_config_static_selectorELNS0_4arch9wavefront6targetE0EEEvSL_.has_indirect_call, 0
	.section	.AMDGPU.csdata,"",@progbits
; Kernel info:
; codeLenInByte = 0
; TotalNumSgprs: 0
; NumVgprs: 0
; ScratchSize: 0
; MemoryBound: 0
; FloatMode: 240
; IeeeMode: 1
; LDSByteSize: 0 bytes/workgroup (compile time only)
; SGPRBlocks: 0
; VGPRBlocks: 0
; NumSGPRsForWavesPerEU: 1
; NumVGPRsForWavesPerEU: 1
; Occupancy: 16
; WaveLimiterHint : 0
; COMPUTE_PGM_RSRC2:SCRATCH_EN: 0
; COMPUTE_PGM_RSRC2:USER_SGPR: 2
; COMPUTE_PGM_RSRC2:TRAP_HANDLER: 0
; COMPUTE_PGM_RSRC2:TGID_X_EN: 1
; COMPUTE_PGM_RSRC2:TGID_Y_EN: 0
; COMPUTE_PGM_RSRC2:TGID_Z_EN: 0
; COMPUTE_PGM_RSRC2:TIDIG_COMP_CNT: 0
	.section	.text._ZN7rocprim17ROCPRIM_400000_NS6detail17trampoline_kernelINS0_14default_configENS1_36segmented_radix_sort_config_selectorI6__halflEEZNS1_25segmented_radix_sort_implIS3_Lb1EPKS5_PS5_PKlPlN2at6native12_GLOBAL__N_18offset_tEEE10hipError_tPvRmT1_PNSt15iterator_traitsISL_E10value_typeET2_T3_PNSM_ISR_E10value_typeET4_jRbjT5_SX_jjP12ihipStream_tbEUlT_E0_NS1_11comp_targetILNS1_3genE4ELNS1_11target_archE910ELNS1_3gpuE8ELNS1_3repE0EEENS1_60segmented_radix_sort_warp_sort_medium_config_static_selectorELNS0_4arch9wavefront6targetE0EEEvSL_,"axG",@progbits,_ZN7rocprim17ROCPRIM_400000_NS6detail17trampoline_kernelINS0_14default_configENS1_36segmented_radix_sort_config_selectorI6__halflEEZNS1_25segmented_radix_sort_implIS3_Lb1EPKS5_PS5_PKlPlN2at6native12_GLOBAL__N_18offset_tEEE10hipError_tPvRmT1_PNSt15iterator_traitsISL_E10value_typeET2_T3_PNSM_ISR_E10value_typeET4_jRbjT5_SX_jjP12ihipStream_tbEUlT_E0_NS1_11comp_targetILNS1_3genE4ELNS1_11target_archE910ELNS1_3gpuE8ELNS1_3repE0EEENS1_60segmented_radix_sort_warp_sort_medium_config_static_selectorELNS0_4arch9wavefront6targetE0EEEvSL_,comdat
	.globl	_ZN7rocprim17ROCPRIM_400000_NS6detail17trampoline_kernelINS0_14default_configENS1_36segmented_radix_sort_config_selectorI6__halflEEZNS1_25segmented_radix_sort_implIS3_Lb1EPKS5_PS5_PKlPlN2at6native12_GLOBAL__N_18offset_tEEE10hipError_tPvRmT1_PNSt15iterator_traitsISL_E10value_typeET2_T3_PNSM_ISR_E10value_typeET4_jRbjT5_SX_jjP12ihipStream_tbEUlT_E0_NS1_11comp_targetILNS1_3genE4ELNS1_11target_archE910ELNS1_3gpuE8ELNS1_3repE0EEENS1_60segmented_radix_sort_warp_sort_medium_config_static_selectorELNS0_4arch9wavefront6targetE0EEEvSL_ ; -- Begin function _ZN7rocprim17ROCPRIM_400000_NS6detail17trampoline_kernelINS0_14default_configENS1_36segmented_radix_sort_config_selectorI6__halflEEZNS1_25segmented_radix_sort_implIS3_Lb1EPKS5_PS5_PKlPlN2at6native12_GLOBAL__N_18offset_tEEE10hipError_tPvRmT1_PNSt15iterator_traitsISL_E10value_typeET2_T3_PNSM_ISR_E10value_typeET4_jRbjT5_SX_jjP12ihipStream_tbEUlT_E0_NS1_11comp_targetILNS1_3genE4ELNS1_11target_archE910ELNS1_3gpuE8ELNS1_3repE0EEENS1_60segmented_radix_sort_warp_sort_medium_config_static_selectorELNS0_4arch9wavefront6targetE0EEEvSL_
	.p2align	8
	.type	_ZN7rocprim17ROCPRIM_400000_NS6detail17trampoline_kernelINS0_14default_configENS1_36segmented_radix_sort_config_selectorI6__halflEEZNS1_25segmented_radix_sort_implIS3_Lb1EPKS5_PS5_PKlPlN2at6native12_GLOBAL__N_18offset_tEEE10hipError_tPvRmT1_PNSt15iterator_traitsISL_E10value_typeET2_T3_PNSM_ISR_E10value_typeET4_jRbjT5_SX_jjP12ihipStream_tbEUlT_E0_NS1_11comp_targetILNS1_3genE4ELNS1_11target_archE910ELNS1_3gpuE8ELNS1_3repE0EEENS1_60segmented_radix_sort_warp_sort_medium_config_static_selectorELNS0_4arch9wavefront6targetE0EEEvSL_,@function
_ZN7rocprim17ROCPRIM_400000_NS6detail17trampoline_kernelINS0_14default_configENS1_36segmented_radix_sort_config_selectorI6__halflEEZNS1_25segmented_radix_sort_implIS3_Lb1EPKS5_PS5_PKlPlN2at6native12_GLOBAL__N_18offset_tEEE10hipError_tPvRmT1_PNSt15iterator_traitsISL_E10value_typeET2_T3_PNSM_ISR_E10value_typeET4_jRbjT5_SX_jjP12ihipStream_tbEUlT_E0_NS1_11comp_targetILNS1_3genE4ELNS1_11target_archE910ELNS1_3gpuE8ELNS1_3repE0EEENS1_60segmented_radix_sort_warp_sort_medium_config_static_selectorELNS0_4arch9wavefront6targetE0EEEvSL_: ; @_ZN7rocprim17ROCPRIM_400000_NS6detail17trampoline_kernelINS0_14default_configENS1_36segmented_radix_sort_config_selectorI6__halflEEZNS1_25segmented_radix_sort_implIS3_Lb1EPKS5_PS5_PKlPlN2at6native12_GLOBAL__N_18offset_tEEE10hipError_tPvRmT1_PNSt15iterator_traitsISL_E10value_typeET2_T3_PNSM_ISR_E10value_typeET4_jRbjT5_SX_jjP12ihipStream_tbEUlT_E0_NS1_11comp_targetILNS1_3genE4ELNS1_11target_archE910ELNS1_3gpuE8ELNS1_3repE0EEENS1_60segmented_radix_sort_warp_sort_medium_config_static_selectorELNS0_4arch9wavefront6targetE0EEEvSL_
; %bb.0:
	.section	.rodata,"a",@progbits
	.p2align	6, 0x0
	.amdhsa_kernel _ZN7rocprim17ROCPRIM_400000_NS6detail17trampoline_kernelINS0_14default_configENS1_36segmented_radix_sort_config_selectorI6__halflEEZNS1_25segmented_radix_sort_implIS3_Lb1EPKS5_PS5_PKlPlN2at6native12_GLOBAL__N_18offset_tEEE10hipError_tPvRmT1_PNSt15iterator_traitsISL_E10value_typeET2_T3_PNSM_ISR_E10value_typeET4_jRbjT5_SX_jjP12ihipStream_tbEUlT_E0_NS1_11comp_targetILNS1_3genE4ELNS1_11target_archE910ELNS1_3gpuE8ELNS1_3repE0EEENS1_60segmented_radix_sort_warp_sort_medium_config_static_selectorELNS0_4arch9wavefront6targetE0EEEvSL_
		.amdhsa_group_segment_fixed_size 0
		.amdhsa_private_segment_fixed_size 0
		.amdhsa_kernarg_size 88
		.amdhsa_user_sgpr_count 2
		.amdhsa_user_sgpr_dispatch_ptr 0
		.amdhsa_user_sgpr_queue_ptr 0
		.amdhsa_user_sgpr_kernarg_segment_ptr 1
		.amdhsa_user_sgpr_dispatch_id 0
		.amdhsa_user_sgpr_private_segment_size 0
		.amdhsa_wavefront_size32 1
		.amdhsa_uses_dynamic_stack 0
		.amdhsa_enable_private_segment 0
		.amdhsa_system_sgpr_workgroup_id_x 1
		.amdhsa_system_sgpr_workgroup_id_y 0
		.amdhsa_system_sgpr_workgroup_id_z 0
		.amdhsa_system_sgpr_workgroup_info 0
		.amdhsa_system_vgpr_workitem_id 0
		.amdhsa_next_free_vgpr 1
		.amdhsa_next_free_sgpr 1
		.amdhsa_reserve_vcc 0
		.amdhsa_float_round_mode_32 0
		.amdhsa_float_round_mode_16_64 0
		.amdhsa_float_denorm_mode_32 3
		.amdhsa_float_denorm_mode_16_64 3
		.amdhsa_fp16_overflow 0
		.amdhsa_workgroup_processor_mode 1
		.amdhsa_memory_ordered 1
		.amdhsa_forward_progress 1
		.amdhsa_inst_pref_size 0
		.amdhsa_round_robin_scheduling 0
		.amdhsa_exception_fp_ieee_invalid_op 0
		.amdhsa_exception_fp_denorm_src 0
		.amdhsa_exception_fp_ieee_div_zero 0
		.amdhsa_exception_fp_ieee_overflow 0
		.amdhsa_exception_fp_ieee_underflow 0
		.amdhsa_exception_fp_ieee_inexact 0
		.amdhsa_exception_int_div_zero 0
	.end_amdhsa_kernel
	.section	.text._ZN7rocprim17ROCPRIM_400000_NS6detail17trampoline_kernelINS0_14default_configENS1_36segmented_radix_sort_config_selectorI6__halflEEZNS1_25segmented_radix_sort_implIS3_Lb1EPKS5_PS5_PKlPlN2at6native12_GLOBAL__N_18offset_tEEE10hipError_tPvRmT1_PNSt15iterator_traitsISL_E10value_typeET2_T3_PNSM_ISR_E10value_typeET4_jRbjT5_SX_jjP12ihipStream_tbEUlT_E0_NS1_11comp_targetILNS1_3genE4ELNS1_11target_archE910ELNS1_3gpuE8ELNS1_3repE0EEENS1_60segmented_radix_sort_warp_sort_medium_config_static_selectorELNS0_4arch9wavefront6targetE0EEEvSL_,"axG",@progbits,_ZN7rocprim17ROCPRIM_400000_NS6detail17trampoline_kernelINS0_14default_configENS1_36segmented_radix_sort_config_selectorI6__halflEEZNS1_25segmented_radix_sort_implIS3_Lb1EPKS5_PS5_PKlPlN2at6native12_GLOBAL__N_18offset_tEEE10hipError_tPvRmT1_PNSt15iterator_traitsISL_E10value_typeET2_T3_PNSM_ISR_E10value_typeET4_jRbjT5_SX_jjP12ihipStream_tbEUlT_E0_NS1_11comp_targetILNS1_3genE4ELNS1_11target_archE910ELNS1_3gpuE8ELNS1_3repE0EEENS1_60segmented_radix_sort_warp_sort_medium_config_static_selectorELNS0_4arch9wavefront6targetE0EEEvSL_,comdat
.Lfunc_end1751:
	.size	_ZN7rocprim17ROCPRIM_400000_NS6detail17trampoline_kernelINS0_14default_configENS1_36segmented_radix_sort_config_selectorI6__halflEEZNS1_25segmented_radix_sort_implIS3_Lb1EPKS5_PS5_PKlPlN2at6native12_GLOBAL__N_18offset_tEEE10hipError_tPvRmT1_PNSt15iterator_traitsISL_E10value_typeET2_T3_PNSM_ISR_E10value_typeET4_jRbjT5_SX_jjP12ihipStream_tbEUlT_E0_NS1_11comp_targetILNS1_3genE4ELNS1_11target_archE910ELNS1_3gpuE8ELNS1_3repE0EEENS1_60segmented_radix_sort_warp_sort_medium_config_static_selectorELNS0_4arch9wavefront6targetE0EEEvSL_, .Lfunc_end1751-_ZN7rocprim17ROCPRIM_400000_NS6detail17trampoline_kernelINS0_14default_configENS1_36segmented_radix_sort_config_selectorI6__halflEEZNS1_25segmented_radix_sort_implIS3_Lb1EPKS5_PS5_PKlPlN2at6native12_GLOBAL__N_18offset_tEEE10hipError_tPvRmT1_PNSt15iterator_traitsISL_E10value_typeET2_T3_PNSM_ISR_E10value_typeET4_jRbjT5_SX_jjP12ihipStream_tbEUlT_E0_NS1_11comp_targetILNS1_3genE4ELNS1_11target_archE910ELNS1_3gpuE8ELNS1_3repE0EEENS1_60segmented_radix_sort_warp_sort_medium_config_static_selectorELNS0_4arch9wavefront6targetE0EEEvSL_
                                        ; -- End function
	.set _ZN7rocprim17ROCPRIM_400000_NS6detail17trampoline_kernelINS0_14default_configENS1_36segmented_radix_sort_config_selectorI6__halflEEZNS1_25segmented_radix_sort_implIS3_Lb1EPKS5_PS5_PKlPlN2at6native12_GLOBAL__N_18offset_tEEE10hipError_tPvRmT1_PNSt15iterator_traitsISL_E10value_typeET2_T3_PNSM_ISR_E10value_typeET4_jRbjT5_SX_jjP12ihipStream_tbEUlT_E0_NS1_11comp_targetILNS1_3genE4ELNS1_11target_archE910ELNS1_3gpuE8ELNS1_3repE0EEENS1_60segmented_radix_sort_warp_sort_medium_config_static_selectorELNS0_4arch9wavefront6targetE0EEEvSL_.num_vgpr, 0
	.set _ZN7rocprim17ROCPRIM_400000_NS6detail17trampoline_kernelINS0_14default_configENS1_36segmented_radix_sort_config_selectorI6__halflEEZNS1_25segmented_radix_sort_implIS3_Lb1EPKS5_PS5_PKlPlN2at6native12_GLOBAL__N_18offset_tEEE10hipError_tPvRmT1_PNSt15iterator_traitsISL_E10value_typeET2_T3_PNSM_ISR_E10value_typeET4_jRbjT5_SX_jjP12ihipStream_tbEUlT_E0_NS1_11comp_targetILNS1_3genE4ELNS1_11target_archE910ELNS1_3gpuE8ELNS1_3repE0EEENS1_60segmented_radix_sort_warp_sort_medium_config_static_selectorELNS0_4arch9wavefront6targetE0EEEvSL_.num_agpr, 0
	.set _ZN7rocprim17ROCPRIM_400000_NS6detail17trampoline_kernelINS0_14default_configENS1_36segmented_radix_sort_config_selectorI6__halflEEZNS1_25segmented_radix_sort_implIS3_Lb1EPKS5_PS5_PKlPlN2at6native12_GLOBAL__N_18offset_tEEE10hipError_tPvRmT1_PNSt15iterator_traitsISL_E10value_typeET2_T3_PNSM_ISR_E10value_typeET4_jRbjT5_SX_jjP12ihipStream_tbEUlT_E0_NS1_11comp_targetILNS1_3genE4ELNS1_11target_archE910ELNS1_3gpuE8ELNS1_3repE0EEENS1_60segmented_radix_sort_warp_sort_medium_config_static_selectorELNS0_4arch9wavefront6targetE0EEEvSL_.numbered_sgpr, 0
	.set _ZN7rocprim17ROCPRIM_400000_NS6detail17trampoline_kernelINS0_14default_configENS1_36segmented_radix_sort_config_selectorI6__halflEEZNS1_25segmented_radix_sort_implIS3_Lb1EPKS5_PS5_PKlPlN2at6native12_GLOBAL__N_18offset_tEEE10hipError_tPvRmT1_PNSt15iterator_traitsISL_E10value_typeET2_T3_PNSM_ISR_E10value_typeET4_jRbjT5_SX_jjP12ihipStream_tbEUlT_E0_NS1_11comp_targetILNS1_3genE4ELNS1_11target_archE910ELNS1_3gpuE8ELNS1_3repE0EEENS1_60segmented_radix_sort_warp_sort_medium_config_static_selectorELNS0_4arch9wavefront6targetE0EEEvSL_.num_named_barrier, 0
	.set _ZN7rocprim17ROCPRIM_400000_NS6detail17trampoline_kernelINS0_14default_configENS1_36segmented_radix_sort_config_selectorI6__halflEEZNS1_25segmented_radix_sort_implIS3_Lb1EPKS5_PS5_PKlPlN2at6native12_GLOBAL__N_18offset_tEEE10hipError_tPvRmT1_PNSt15iterator_traitsISL_E10value_typeET2_T3_PNSM_ISR_E10value_typeET4_jRbjT5_SX_jjP12ihipStream_tbEUlT_E0_NS1_11comp_targetILNS1_3genE4ELNS1_11target_archE910ELNS1_3gpuE8ELNS1_3repE0EEENS1_60segmented_radix_sort_warp_sort_medium_config_static_selectorELNS0_4arch9wavefront6targetE0EEEvSL_.private_seg_size, 0
	.set _ZN7rocprim17ROCPRIM_400000_NS6detail17trampoline_kernelINS0_14default_configENS1_36segmented_radix_sort_config_selectorI6__halflEEZNS1_25segmented_radix_sort_implIS3_Lb1EPKS5_PS5_PKlPlN2at6native12_GLOBAL__N_18offset_tEEE10hipError_tPvRmT1_PNSt15iterator_traitsISL_E10value_typeET2_T3_PNSM_ISR_E10value_typeET4_jRbjT5_SX_jjP12ihipStream_tbEUlT_E0_NS1_11comp_targetILNS1_3genE4ELNS1_11target_archE910ELNS1_3gpuE8ELNS1_3repE0EEENS1_60segmented_radix_sort_warp_sort_medium_config_static_selectorELNS0_4arch9wavefront6targetE0EEEvSL_.uses_vcc, 0
	.set _ZN7rocprim17ROCPRIM_400000_NS6detail17trampoline_kernelINS0_14default_configENS1_36segmented_radix_sort_config_selectorI6__halflEEZNS1_25segmented_radix_sort_implIS3_Lb1EPKS5_PS5_PKlPlN2at6native12_GLOBAL__N_18offset_tEEE10hipError_tPvRmT1_PNSt15iterator_traitsISL_E10value_typeET2_T3_PNSM_ISR_E10value_typeET4_jRbjT5_SX_jjP12ihipStream_tbEUlT_E0_NS1_11comp_targetILNS1_3genE4ELNS1_11target_archE910ELNS1_3gpuE8ELNS1_3repE0EEENS1_60segmented_radix_sort_warp_sort_medium_config_static_selectorELNS0_4arch9wavefront6targetE0EEEvSL_.uses_flat_scratch, 0
	.set _ZN7rocprim17ROCPRIM_400000_NS6detail17trampoline_kernelINS0_14default_configENS1_36segmented_radix_sort_config_selectorI6__halflEEZNS1_25segmented_radix_sort_implIS3_Lb1EPKS5_PS5_PKlPlN2at6native12_GLOBAL__N_18offset_tEEE10hipError_tPvRmT1_PNSt15iterator_traitsISL_E10value_typeET2_T3_PNSM_ISR_E10value_typeET4_jRbjT5_SX_jjP12ihipStream_tbEUlT_E0_NS1_11comp_targetILNS1_3genE4ELNS1_11target_archE910ELNS1_3gpuE8ELNS1_3repE0EEENS1_60segmented_radix_sort_warp_sort_medium_config_static_selectorELNS0_4arch9wavefront6targetE0EEEvSL_.has_dyn_sized_stack, 0
	.set _ZN7rocprim17ROCPRIM_400000_NS6detail17trampoline_kernelINS0_14default_configENS1_36segmented_radix_sort_config_selectorI6__halflEEZNS1_25segmented_radix_sort_implIS3_Lb1EPKS5_PS5_PKlPlN2at6native12_GLOBAL__N_18offset_tEEE10hipError_tPvRmT1_PNSt15iterator_traitsISL_E10value_typeET2_T3_PNSM_ISR_E10value_typeET4_jRbjT5_SX_jjP12ihipStream_tbEUlT_E0_NS1_11comp_targetILNS1_3genE4ELNS1_11target_archE910ELNS1_3gpuE8ELNS1_3repE0EEENS1_60segmented_radix_sort_warp_sort_medium_config_static_selectorELNS0_4arch9wavefront6targetE0EEEvSL_.has_recursion, 0
	.set _ZN7rocprim17ROCPRIM_400000_NS6detail17trampoline_kernelINS0_14default_configENS1_36segmented_radix_sort_config_selectorI6__halflEEZNS1_25segmented_radix_sort_implIS3_Lb1EPKS5_PS5_PKlPlN2at6native12_GLOBAL__N_18offset_tEEE10hipError_tPvRmT1_PNSt15iterator_traitsISL_E10value_typeET2_T3_PNSM_ISR_E10value_typeET4_jRbjT5_SX_jjP12ihipStream_tbEUlT_E0_NS1_11comp_targetILNS1_3genE4ELNS1_11target_archE910ELNS1_3gpuE8ELNS1_3repE0EEENS1_60segmented_radix_sort_warp_sort_medium_config_static_selectorELNS0_4arch9wavefront6targetE0EEEvSL_.has_indirect_call, 0
	.section	.AMDGPU.csdata,"",@progbits
; Kernel info:
; codeLenInByte = 0
; TotalNumSgprs: 0
; NumVgprs: 0
; ScratchSize: 0
; MemoryBound: 0
; FloatMode: 240
; IeeeMode: 1
; LDSByteSize: 0 bytes/workgroup (compile time only)
; SGPRBlocks: 0
; VGPRBlocks: 0
; NumSGPRsForWavesPerEU: 1
; NumVGPRsForWavesPerEU: 1
; Occupancy: 16
; WaveLimiterHint : 0
; COMPUTE_PGM_RSRC2:SCRATCH_EN: 0
; COMPUTE_PGM_RSRC2:USER_SGPR: 2
; COMPUTE_PGM_RSRC2:TRAP_HANDLER: 0
; COMPUTE_PGM_RSRC2:TGID_X_EN: 1
; COMPUTE_PGM_RSRC2:TGID_Y_EN: 0
; COMPUTE_PGM_RSRC2:TGID_Z_EN: 0
; COMPUTE_PGM_RSRC2:TIDIG_COMP_CNT: 0
	.section	.text._ZN7rocprim17ROCPRIM_400000_NS6detail17trampoline_kernelINS0_14default_configENS1_36segmented_radix_sort_config_selectorI6__halflEEZNS1_25segmented_radix_sort_implIS3_Lb1EPKS5_PS5_PKlPlN2at6native12_GLOBAL__N_18offset_tEEE10hipError_tPvRmT1_PNSt15iterator_traitsISL_E10value_typeET2_T3_PNSM_ISR_E10value_typeET4_jRbjT5_SX_jjP12ihipStream_tbEUlT_E0_NS1_11comp_targetILNS1_3genE3ELNS1_11target_archE908ELNS1_3gpuE7ELNS1_3repE0EEENS1_60segmented_radix_sort_warp_sort_medium_config_static_selectorELNS0_4arch9wavefront6targetE0EEEvSL_,"axG",@progbits,_ZN7rocprim17ROCPRIM_400000_NS6detail17trampoline_kernelINS0_14default_configENS1_36segmented_radix_sort_config_selectorI6__halflEEZNS1_25segmented_radix_sort_implIS3_Lb1EPKS5_PS5_PKlPlN2at6native12_GLOBAL__N_18offset_tEEE10hipError_tPvRmT1_PNSt15iterator_traitsISL_E10value_typeET2_T3_PNSM_ISR_E10value_typeET4_jRbjT5_SX_jjP12ihipStream_tbEUlT_E0_NS1_11comp_targetILNS1_3genE3ELNS1_11target_archE908ELNS1_3gpuE7ELNS1_3repE0EEENS1_60segmented_radix_sort_warp_sort_medium_config_static_selectorELNS0_4arch9wavefront6targetE0EEEvSL_,comdat
	.globl	_ZN7rocprim17ROCPRIM_400000_NS6detail17trampoline_kernelINS0_14default_configENS1_36segmented_radix_sort_config_selectorI6__halflEEZNS1_25segmented_radix_sort_implIS3_Lb1EPKS5_PS5_PKlPlN2at6native12_GLOBAL__N_18offset_tEEE10hipError_tPvRmT1_PNSt15iterator_traitsISL_E10value_typeET2_T3_PNSM_ISR_E10value_typeET4_jRbjT5_SX_jjP12ihipStream_tbEUlT_E0_NS1_11comp_targetILNS1_3genE3ELNS1_11target_archE908ELNS1_3gpuE7ELNS1_3repE0EEENS1_60segmented_radix_sort_warp_sort_medium_config_static_selectorELNS0_4arch9wavefront6targetE0EEEvSL_ ; -- Begin function _ZN7rocprim17ROCPRIM_400000_NS6detail17trampoline_kernelINS0_14default_configENS1_36segmented_radix_sort_config_selectorI6__halflEEZNS1_25segmented_radix_sort_implIS3_Lb1EPKS5_PS5_PKlPlN2at6native12_GLOBAL__N_18offset_tEEE10hipError_tPvRmT1_PNSt15iterator_traitsISL_E10value_typeET2_T3_PNSM_ISR_E10value_typeET4_jRbjT5_SX_jjP12ihipStream_tbEUlT_E0_NS1_11comp_targetILNS1_3genE3ELNS1_11target_archE908ELNS1_3gpuE7ELNS1_3repE0EEENS1_60segmented_radix_sort_warp_sort_medium_config_static_selectorELNS0_4arch9wavefront6targetE0EEEvSL_
	.p2align	8
	.type	_ZN7rocprim17ROCPRIM_400000_NS6detail17trampoline_kernelINS0_14default_configENS1_36segmented_radix_sort_config_selectorI6__halflEEZNS1_25segmented_radix_sort_implIS3_Lb1EPKS5_PS5_PKlPlN2at6native12_GLOBAL__N_18offset_tEEE10hipError_tPvRmT1_PNSt15iterator_traitsISL_E10value_typeET2_T3_PNSM_ISR_E10value_typeET4_jRbjT5_SX_jjP12ihipStream_tbEUlT_E0_NS1_11comp_targetILNS1_3genE3ELNS1_11target_archE908ELNS1_3gpuE7ELNS1_3repE0EEENS1_60segmented_radix_sort_warp_sort_medium_config_static_selectorELNS0_4arch9wavefront6targetE0EEEvSL_,@function
_ZN7rocprim17ROCPRIM_400000_NS6detail17trampoline_kernelINS0_14default_configENS1_36segmented_radix_sort_config_selectorI6__halflEEZNS1_25segmented_radix_sort_implIS3_Lb1EPKS5_PS5_PKlPlN2at6native12_GLOBAL__N_18offset_tEEE10hipError_tPvRmT1_PNSt15iterator_traitsISL_E10value_typeET2_T3_PNSM_ISR_E10value_typeET4_jRbjT5_SX_jjP12ihipStream_tbEUlT_E0_NS1_11comp_targetILNS1_3genE3ELNS1_11target_archE908ELNS1_3gpuE7ELNS1_3repE0EEENS1_60segmented_radix_sort_warp_sort_medium_config_static_selectorELNS0_4arch9wavefront6targetE0EEEvSL_: ; @_ZN7rocprim17ROCPRIM_400000_NS6detail17trampoline_kernelINS0_14default_configENS1_36segmented_radix_sort_config_selectorI6__halflEEZNS1_25segmented_radix_sort_implIS3_Lb1EPKS5_PS5_PKlPlN2at6native12_GLOBAL__N_18offset_tEEE10hipError_tPvRmT1_PNSt15iterator_traitsISL_E10value_typeET2_T3_PNSM_ISR_E10value_typeET4_jRbjT5_SX_jjP12ihipStream_tbEUlT_E0_NS1_11comp_targetILNS1_3genE3ELNS1_11target_archE908ELNS1_3gpuE7ELNS1_3repE0EEENS1_60segmented_radix_sort_warp_sort_medium_config_static_selectorELNS0_4arch9wavefront6targetE0EEEvSL_
; %bb.0:
	.section	.rodata,"a",@progbits
	.p2align	6, 0x0
	.amdhsa_kernel _ZN7rocprim17ROCPRIM_400000_NS6detail17trampoline_kernelINS0_14default_configENS1_36segmented_radix_sort_config_selectorI6__halflEEZNS1_25segmented_radix_sort_implIS3_Lb1EPKS5_PS5_PKlPlN2at6native12_GLOBAL__N_18offset_tEEE10hipError_tPvRmT1_PNSt15iterator_traitsISL_E10value_typeET2_T3_PNSM_ISR_E10value_typeET4_jRbjT5_SX_jjP12ihipStream_tbEUlT_E0_NS1_11comp_targetILNS1_3genE3ELNS1_11target_archE908ELNS1_3gpuE7ELNS1_3repE0EEENS1_60segmented_radix_sort_warp_sort_medium_config_static_selectorELNS0_4arch9wavefront6targetE0EEEvSL_
		.amdhsa_group_segment_fixed_size 0
		.amdhsa_private_segment_fixed_size 0
		.amdhsa_kernarg_size 88
		.amdhsa_user_sgpr_count 2
		.amdhsa_user_sgpr_dispatch_ptr 0
		.amdhsa_user_sgpr_queue_ptr 0
		.amdhsa_user_sgpr_kernarg_segment_ptr 1
		.amdhsa_user_sgpr_dispatch_id 0
		.amdhsa_user_sgpr_private_segment_size 0
		.amdhsa_wavefront_size32 1
		.amdhsa_uses_dynamic_stack 0
		.amdhsa_enable_private_segment 0
		.amdhsa_system_sgpr_workgroup_id_x 1
		.amdhsa_system_sgpr_workgroup_id_y 0
		.amdhsa_system_sgpr_workgroup_id_z 0
		.amdhsa_system_sgpr_workgroup_info 0
		.amdhsa_system_vgpr_workitem_id 0
		.amdhsa_next_free_vgpr 1
		.amdhsa_next_free_sgpr 1
		.amdhsa_reserve_vcc 0
		.amdhsa_float_round_mode_32 0
		.amdhsa_float_round_mode_16_64 0
		.amdhsa_float_denorm_mode_32 3
		.amdhsa_float_denorm_mode_16_64 3
		.amdhsa_fp16_overflow 0
		.amdhsa_workgroup_processor_mode 1
		.amdhsa_memory_ordered 1
		.amdhsa_forward_progress 1
		.amdhsa_inst_pref_size 0
		.amdhsa_round_robin_scheduling 0
		.amdhsa_exception_fp_ieee_invalid_op 0
		.amdhsa_exception_fp_denorm_src 0
		.amdhsa_exception_fp_ieee_div_zero 0
		.amdhsa_exception_fp_ieee_overflow 0
		.amdhsa_exception_fp_ieee_underflow 0
		.amdhsa_exception_fp_ieee_inexact 0
		.amdhsa_exception_int_div_zero 0
	.end_amdhsa_kernel
	.section	.text._ZN7rocprim17ROCPRIM_400000_NS6detail17trampoline_kernelINS0_14default_configENS1_36segmented_radix_sort_config_selectorI6__halflEEZNS1_25segmented_radix_sort_implIS3_Lb1EPKS5_PS5_PKlPlN2at6native12_GLOBAL__N_18offset_tEEE10hipError_tPvRmT1_PNSt15iterator_traitsISL_E10value_typeET2_T3_PNSM_ISR_E10value_typeET4_jRbjT5_SX_jjP12ihipStream_tbEUlT_E0_NS1_11comp_targetILNS1_3genE3ELNS1_11target_archE908ELNS1_3gpuE7ELNS1_3repE0EEENS1_60segmented_radix_sort_warp_sort_medium_config_static_selectorELNS0_4arch9wavefront6targetE0EEEvSL_,"axG",@progbits,_ZN7rocprim17ROCPRIM_400000_NS6detail17trampoline_kernelINS0_14default_configENS1_36segmented_radix_sort_config_selectorI6__halflEEZNS1_25segmented_radix_sort_implIS3_Lb1EPKS5_PS5_PKlPlN2at6native12_GLOBAL__N_18offset_tEEE10hipError_tPvRmT1_PNSt15iterator_traitsISL_E10value_typeET2_T3_PNSM_ISR_E10value_typeET4_jRbjT5_SX_jjP12ihipStream_tbEUlT_E0_NS1_11comp_targetILNS1_3genE3ELNS1_11target_archE908ELNS1_3gpuE7ELNS1_3repE0EEENS1_60segmented_radix_sort_warp_sort_medium_config_static_selectorELNS0_4arch9wavefront6targetE0EEEvSL_,comdat
.Lfunc_end1752:
	.size	_ZN7rocprim17ROCPRIM_400000_NS6detail17trampoline_kernelINS0_14default_configENS1_36segmented_radix_sort_config_selectorI6__halflEEZNS1_25segmented_radix_sort_implIS3_Lb1EPKS5_PS5_PKlPlN2at6native12_GLOBAL__N_18offset_tEEE10hipError_tPvRmT1_PNSt15iterator_traitsISL_E10value_typeET2_T3_PNSM_ISR_E10value_typeET4_jRbjT5_SX_jjP12ihipStream_tbEUlT_E0_NS1_11comp_targetILNS1_3genE3ELNS1_11target_archE908ELNS1_3gpuE7ELNS1_3repE0EEENS1_60segmented_radix_sort_warp_sort_medium_config_static_selectorELNS0_4arch9wavefront6targetE0EEEvSL_, .Lfunc_end1752-_ZN7rocprim17ROCPRIM_400000_NS6detail17trampoline_kernelINS0_14default_configENS1_36segmented_radix_sort_config_selectorI6__halflEEZNS1_25segmented_radix_sort_implIS3_Lb1EPKS5_PS5_PKlPlN2at6native12_GLOBAL__N_18offset_tEEE10hipError_tPvRmT1_PNSt15iterator_traitsISL_E10value_typeET2_T3_PNSM_ISR_E10value_typeET4_jRbjT5_SX_jjP12ihipStream_tbEUlT_E0_NS1_11comp_targetILNS1_3genE3ELNS1_11target_archE908ELNS1_3gpuE7ELNS1_3repE0EEENS1_60segmented_radix_sort_warp_sort_medium_config_static_selectorELNS0_4arch9wavefront6targetE0EEEvSL_
                                        ; -- End function
	.set _ZN7rocprim17ROCPRIM_400000_NS6detail17trampoline_kernelINS0_14default_configENS1_36segmented_radix_sort_config_selectorI6__halflEEZNS1_25segmented_radix_sort_implIS3_Lb1EPKS5_PS5_PKlPlN2at6native12_GLOBAL__N_18offset_tEEE10hipError_tPvRmT1_PNSt15iterator_traitsISL_E10value_typeET2_T3_PNSM_ISR_E10value_typeET4_jRbjT5_SX_jjP12ihipStream_tbEUlT_E0_NS1_11comp_targetILNS1_3genE3ELNS1_11target_archE908ELNS1_3gpuE7ELNS1_3repE0EEENS1_60segmented_radix_sort_warp_sort_medium_config_static_selectorELNS0_4arch9wavefront6targetE0EEEvSL_.num_vgpr, 0
	.set _ZN7rocprim17ROCPRIM_400000_NS6detail17trampoline_kernelINS0_14default_configENS1_36segmented_radix_sort_config_selectorI6__halflEEZNS1_25segmented_radix_sort_implIS3_Lb1EPKS5_PS5_PKlPlN2at6native12_GLOBAL__N_18offset_tEEE10hipError_tPvRmT1_PNSt15iterator_traitsISL_E10value_typeET2_T3_PNSM_ISR_E10value_typeET4_jRbjT5_SX_jjP12ihipStream_tbEUlT_E0_NS1_11comp_targetILNS1_3genE3ELNS1_11target_archE908ELNS1_3gpuE7ELNS1_3repE0EEENS1_60segmented_radix_sort_warp_sort_medium_config_static_selectorELNS0_4arch9wavefront6targetE0EEEvSL_.num_agpr, 0
	.set _ZN7rocprim17ROCPRIM_400000_NS6detail17trampoline_kernelINS0_14default_configENS1_36segmented_radix_sort_config_selectorI6__halflEEZNS1_25segmented_radix_sort_implIS3_Lb1EPKS5_PS5_PKlPlN2at6native12_GLOBAL__N_18offset_tEEE10hipError_tPvRmT1_PNSt15iterator_traitsISL_E10value_typeET2_T3_PNSM_ISR_E10value_typeET4_jRbjT5_SX_jjP12ihipStream_tbEUlT_E0_NS1_11comp_targetILNS1_3genE3ELNS1_11target_archE908ELNS1_3gpuE7ELNS1_3repE0EEENS1_60segmented_radix_sort_warp_sort_medium_config_static_selectorELNS0_4arch9wavefront6targetE0EEEvSL_.numbered_sgpr, 0
	.set _ZN7rocprim17ROCPRIM_400000_NS6detail17trampoline_kernelINS0_14default_configENS1_36segmented_radix_sort_config_selectorI6__halflEEZNS1_25segmented_radix_sort_implIS3_Lb1EPKS5_PS5_PKlPlN2at6native12_GLOBAL__N_18offset_tEEE10hipError_tPvRmT1_PNSt15iterator_traitsISL_E10value_typeET2_T3_PNSM_ISR_E10value_typeET4_jRbjT5_SX_jjP12ihipStream_tbEUlT_E0_NS1_11comp_targetILNS1_3genE3ELNS1_11target_archE908ELNS1_3gpuE7ELNS1_3repE0EEENS1_60segmented_radix_sort_warp_sort_medium_config_static_selectorELNS0_4arch9wavefront6targetE0EEEvSL_.num_named_barrier, 0
	.set _ZN7rocprim17ROCPRIM_400000_NS6detail17trampoline_kernelINS0_14default_configENS1_36segmented_radix_sort_config_selectorI6__halflEEZNS1_25segmented_radix_sort_implIS3_Lb1EPKS5_PS5_PKlPlN2at6native12_GLOBAL__N_18offset_tEEE10hipError_tPvRmT1_PNSt15iterator_traitsISL_E10value_typeET2_T3_PNSM_ISR_E10value_typeET4_jRbjT5_SX_jjP12ihipStream_tbEUlT_E0_NS1_11comp_targetILNS1_3genE3ELNS1_11target_archE908ELNS1_3gpuE7ELNS1_3repE0EEENS1_60segmented_radix_sort_warp_sort_medium_config_static_selectorELNS0_4arch9wavefront6targetE0EEEvSL_.private_seg_size, 0
	.set _ZN7rocprim17ROCPRIM_400000_NS6detail17trampoline_kernelINS0_14default_configENS1_36segmented_radix_sort_config_selectorI6__halflEEZNS1_25segmented_radix_sort_implIS3_Lb1EPKS5_PS5_PKlPlN2at6native12_GLOBAL__N_18offset_tEEE10hipError_tPvRmT1_PNSt15iterator_traitsISL_E10value_typeET2_T3_PNSM_ISR_E10value_typeET4_jRbjT5_SX_jjP12ihipStream_tbEUlT_E0_NS1_11comp_targetILNS1_3genE3ELNS1_11target_archE908ELNS1_3gpuE7ELNS1_3repE0EEENS1_60segmented_radix_sort_warp_sort_medium_config_static_selectorELNS0_4arch9wavefront6targetE0EEEvSL_.uses_vcc, 0
	.set _ZN7rocprim17ROCPRIM_400000_NS6detail17trampoline_kernelINS0_14default_configENS1_36segmented_radix_sort_config_selectorI6__halflEEZNS1_25segmented_radix_sort_implIS3_Lb1EPKS5_PS5_PKlPlN2at6native12_GLOBAL__N_18offset_tEEE10hipError_tPvRmT1_PNSt15iterator_traitsISL_E10value_typeET2_T3_PNSM_ISR_E10value_typeET4_jRbjT5_SX_jjP12ihipStream_tbEUlT_E0_NS1_11comp_targetILNS1_3genE3ELNS1_11target_archE908ELNS1_3gpuE7ELNS1_3repE0EEENS1_60segmented_radix_sort_warp_sort_medium_config_static_selectorELNS0_4arch9wavefront6targetE0EEEvSL_.uses_flat_scratch, 0
	.set _ZN7rocprim17ROCPRIM_400000_NS6detail17trampoline_kernelINS0_14default_configENS1_36segmented_radix_sort_config_selectorI6__halflEEZNS1_25segmented_radix_sort_implIS3_Lb1EPKS5_PS5_PKlPlN2at6native12_GLOBAL__N_18offset_tEEE10hipError_tPvRmT1_PNSt15iterator_traitsISL_E10value_typeET2_T3_PNSM_ISR_E10value_typeET4_jRbjT5_SX_jjP12ihipStream_tbEUlT_E0_NS1_11comp_targetILNS1_3genE3ELNS1_11target_archE908ELNS1_3gpuE7ELNS1_3repE0EEENS1_60segmented_radix_sort_warp_sort_medium_config_static_selectorELNS0_4arch9wavefront6targetE0EEEvSL_.has_dyn_sized_stack, 0
	.set _ZN7rocprim17ROCPRIM_400000_NS6detail17trampoline_kernelINS0_14default_configENS1_36segmented_radix_sort_config_selectorI6__halflEEZNS1_25segmented_radix_sort_implIS3_Lb1EPKS5_PS5_PKlPlN2at6native12_GLOBAL__N_18offset_tEEE10hipError_tPvRmT1_PNSt15iterator_traitsISL_E10value_typeET2_T3_PNSM_ISR_E10value_typeET4_jRbjT5_SX_jjP12ihipStream_tbEUlT_E0_NS1_11comp_targetILNS1_3genE3ELNS1_11target_archE908ELNS1_3gpuE7ELNS1_3repE0EEENS1_60segmented_radix_sort_warp_sort_medium_config_static_selectorELNS0_4arch9wavefront6targetE0EEEvSL_.has_recursion, 0
	.set _ZN7rocprim17ROCPRIM_400000_NS6detail17trampoline_kernelINS0_14default_configENS1_36segmented_radix_sort_config_selectorI6__halflEEZNS1_25segmented_radix_sort_implIS3_Lb1EPKS5_PS5_PKlPlN2at6native12_GLOBAL__N_18offset_tEEE10hipError_tPvRmT1_PNSt15iterator_traitsISL_E10value_typeET2_T3_PNSM_ISR_E10value_typeET4_jRbjT5_SX_jjP12ihipStream_tbEUlT_E0_NS1_11comp_targetILNS1_3genE3ELNS1_11target_archE908ELNS1_3gpuE7ELNS1_3repE0EEENS1_60segmented_radix_sort_warp_sort_medium_config_static_selectorELNS0_4arch9wavefront6targetE0EEEvSL_.has_indirect_call, 0
	.section	.AMDGPU.csdata,"",@progbits
; Kernel info:
; codeLenInByte = 0
; TotalNumSgprs: 0
; NumVgprs: 0
; ScratchSize: 0
; MemoryBound: 0
; FloatMode: 240
; IeeeMode: 1
; LDSByteSize: 0 bytes/workgroup (compile time only)
; SGPRBlocks: 0
; VGPRBlocks: 0
; NumSGPRsForWavesPerEU: 1
; NumVGPRsForWavesPerEU: 1
; Occupancy: 16
; WaveLimiterHint : 0
; COMPUTE_PGM_RSRC2:SCRATCH_EN: 0
; COMPUTE_PGM_RSRC2:USER_SGPR: 2
; COMPUTE_PGM_RSRC2:TRAP_HANDLER: 0
; COMPUTE_PGM_RSRC2:TGID_X_EN: 1
; COMPUTE_PGM_RSRC2:TGID_Y_EN: 0
; COMPUTE_PGM_RSRC2:TGID_Z_EN: 0
; COMPUTE_PGM_RSRC2:TIDIG_COMP_CNT: 0
	.section	.text._ZN7rocprim17ROCPRIM_400000_NS6detail17trampoline_kernelINS0_14default_configENS1_36segmented_radix_sort_config_selectorI6__halflEEZNS1_25segmented_radix_sort_implIS3_Lb1EPKS5_PS5_PKlPlN2at6native12_GLOBAL__N_18offset_tEEE10hipError_tPvRmT1_PNSt15iterator_traitsISL_E10value_typeET2_T3_PNSM_ISR_E10value_typeET4_jRbjT5_SX_jjP12ihipStream_tbEUlT_E0_NS1_11comp_targetILNS1_3genE2ELNS1_11target_archE906ELNS1_3gpuE6ELNS1_3repE0EEENS1_60segmented_radix_sort_warp_sort_medium_config_static_selectorELNS0_4arch9wavefront6targetE0EEEvSL_,"axG",@progbits,_ZN7rocprim17ROCPRIM_400000_NS6detail17trampoline_kernelINS0_14default_configENS1_36segmented_radix_sort_config_selectorI6__halflEEZNS1_25segmented_radix_sort_implIS3_Lb1EPKS5_PS5_PKlPlN2at6native12_GLOBAL__N_18offset_tEEE10hipError_tPvRmT1_PNSt15iterator_traitsISL_E10value_typeET2_T3_PNSM_ISR_E10value_typeET4_jRbjT5_SX_jjP12ihipStream_tbEUlT_E0_NS1_11comp_targetILNS1_3genE2ELNS1_11target_archE906ELNS1_3gpuE6ELNS1_3repE0EEENS1_60segmented_radix_sort_warp_sort_medium_config_static_selectorELNS0_4arch9wavefront6targetE0EEEvSL_,comdat
	.globl	_ZN7rocprim17ROCPRIM_400000_NS6detail17trampoline_kernelINS0_14default_configENS1_36segmented_radix_sort_config_selectorI6__halflEEZNS1_25segmented_radix_sort_implIS3_Lb1EPKS5_PS5_PKlPlN2at6native12_GLOBAL__N_18offset_tEEE10hipError_tPvRmT1_PNSt15iterator_traitsISL_E10value_typeET2_T3_PNSM_ISR_E10value_typeET4_jRbjT5_SX_jjP12ihipStream_tbEUlT_E0_NS1_11comp_targetILNS1_3genE2ELNS1_11target_archE906ELNS1_3gpuE6ELNS1_3repE0EEENS1_60segmented_radix_sort_warp_sort_medium_config_static_selectorELNS0_4arch9wavefront6targetE0EEEvSL_ ; -- Begin function _ZN7rocprim17ROCPRIM_400000_NS6detail17trampoline_kernelINS0_14default_configENS1_36segmented_radix_sort_config_selectorI6__halflEEZNS1_25segmented_radix_sort_implIS3_Lb1EPKS5_PS5_PKlPlN2at6native12_GLOBAL__N_18offset_tEEE10hipError_tPvRmT1_PNSt15iterator_traitsISL_E10value_typeET2_T3_PNSM_ISR_E10value_typeET4_jRbjT5_SX_jjP12ihipStream_tbEUlT_E0_NS1_11comp_targetILNS1_3genE2ELNS1_11target_archE906ELNS1_3gpuE6ELNS1_3repE0EEENS1_60segmented_radix_sort_warp_sort_medium_config_static_selectorELNS0_4arch9wavefront6targetE0EEEvSL_
	.p2align	8
	.type	_ZN7rocprim17ROCPRIM_400000_NS6detail17trampoline_kernelINS0_14default_configENS1_36segmented_radix_sort_config_selectorI6__halflEEZNS1_25segmented_radix_sort_implIS3_Lb1EPKS5_PS5_PKlPlN2at6native12_GLOBAL__N_18offset_tEEE10hipError_tPvRmT1_PNSt15iterator_traitsISL_E10value_typeET2_T3_PNSM_ISR_E10value_typeET4_jRbjT5_SX_jjP12ihipStream_tbEUlT_E0_NS1_11comp_targetILNS1_3genE2ELNS1_11target_archE906ELNS1_3gpuE6ELNS1_3repE0EEENS1_60segmented_radix_sort_warp_sort_medium_config_static_selectorELNS0_4arch9wavefront6targetE0EEEvSL_,@function
_ZN7rocprim17ROCPRIM_400000_NS6detail17trampoline_kernelINS0_14default_configENS1_36segmented_radix_sort_config_selectorI6__halflEEZNS1_25segmented_radix_sort_implIS3_Lb1EPKS5_PS5_PKlPlN2at6native12_GLOBAL__N_18offset_tEEE10hipError_tPvRmT1_PNSt15iterator_traitsISL_E10value_typeET2_T3_PNSM_ISR_E10value_typeET4_jRbjT5_SX_jjP12ihipStream_tbEUlT_E0_NS1_11comp_targetILNS1_3genE2ELNS1_11target_archE906ELNS1_3gpuE6ELNS1_3repE0EEENS1_60segmented_radix_sort_warp_sort_medium_config_static_selectorELNS0_4arch9wavefront6targetE0EEEvSL_: ; @_ZN7rocprim17ROCPRIM_400000_NS6detail17trampoline_kernelINS0_14default_configENS1_36segmented_radix_sort_config_selectorI6__halflEEZNS1_25segmented_radix_sort_implIS3_Lb1EPKS5_PS5_PKlPlN2at6native12_GLOBAL__N_18offset_tEEE10hipError_tPvRmT1_PNSt15iterator_traitsISL_E10value_typeET2_T3_PNSM_ISR_E10value_typeET4_jRbjT5_SX_jjP12ihipStream_tbEUlT_E0_NS1_11comp_targetILNS1_3genE2ELNS1_11target_archE906ELNS1_3gpuE6ELNS1_3repE0EEENS1_60segmented_radix_sort_warp_sort_medium_config_static_selectorELNS0_4arch9wavefront6targetE0EEEvSL_
; %bb.0:
	.section	.rodata,"a",@progbits
	.p2align	6, 0x0
	.amdhsa_kernel _ZN7rocprim17ROCPRIM_400000_NS6detail17trampoline_kernelINS0_14default_configENS1_36segmented_radix_sort_config_selectorI6__halflEEZNS1_25segmented_radix_sort_implIS3_Lb1EPKS5_PS5_PKlPlN2at6native12_GLOBAL__N_18offset_tEEE10hipError_tPvRmT1_PNSt15iterator_traitsISL_E10value_typeET2_T3_PNSM_ISR_E10value_typeET4_jRbjT5_SX_jjP12ihipStream_tbEUlT_E0_NS1_11comp_targetILNS1_3genE2ELNS1_11target_archE906ELNS1_3gpuE6ELNS1_3repE0EEENS1_60segmented_radix_sort_warp_sort_medium_config_static_selectorELNS0_4arch9wavefront6targetE0EEEvSL_
		.amdhsa_group_segment_fixed_size 0
		.amdhsa_private_segment_fixed_size 0
		.amdhsa_kernarg_size 88
		.amdhsa_user_sgpr_count 2
		.amdhsa_user_sgpr_dispatch_ptr 0
		.amdhsa_user_sgpr_queue_ptr 0
		.amdhsa_user_sgpr_kernarg_segment_ptr 1
		.amdhsa_user_sgpr_dispatch_id 0
		.amdhsa_user_sgpr_private_segment_size 0
		.amdhsa_wavefront_size32 1
		.amdhsa_uses_dynamic_stack 0
		.amdhsa_enable_private_segment 0
		.amdhsa_system_sgpr_workgroup_id_x 1
		.amdhsa_system_sgpr_workgroup_id_y 0
		.amdhsa_system_sgpr_workgroup_id_z 0
		.amdhsa_system_sgpr_workgroup_info 0
		.amdhsa_system_vgpr_workitem_id 0
		.amdhsa_next_free_vgpr 1
		.amdhsa_next_free_sgpr 1
		.amdhsa_reserve_vcc 0
		.amdhsa_float_round_mode_32 0
		.amdhsa_float_round_mode_16_64 0
		.amdhsa_float_denorm_mode_32 3
		.amdhsa_float_denorm_mode_16_64 3
		.amdhsa_fp16_overflow 0
		.amdhsa_workgroup_processor_mode 1
		.amdhsa_memory_ordered 1
		.amdhsa_forward_progress 1
		.amdhsa_inst_pref_size 0
		.amdhsa_round_robin_scheduling 0
		.amdhsa_exception_fp_ieee_invalid_op 0
		.amdhsa_exception_fp_denorm_src 0
		.amdhsa_exception_fp_ieee_div_zero 0
		.amdhsa_exception_fp_ieee_overflow 0
		.amdhsa_exception_fp_ieee_underflow 0
		.amdhsa_exception_fp_ieee_inexact 0
		.amdhsa_exception_int_div_zero 0
	.end_amdhsa_kernel
	.section	.text._ZN7rocprim17ROCPRIM_400000_NS6detail17trampoline_kernelINS0_14default_configENS1_36segmented_radix_sort_config_selectorI6__halflEEZNS1_25segmented_radix_sort_implIS3_Lb1EPKS5_PS5_PKlPlN2at6native12_GLOBAL__N_18offset_tEEE10hipError_tPvRmT1_PNSt15iterator_traitsISL_E10value_typeET2_T3_PNSM_ISR_E10value_typeET4_jRbjT5_SX_jjP12ihipStream_tbEUlT_E0_NS1_11comp_targetILNS1_3genE2ELNS1_11target_archE906ELNS1_3gpuE6ELNS1_3repE0EEENS1_60segmented_radix_sort_warp_sort_medium_config_static_selectorELNS0_4arch9wavefront6targetE0EEEvSL_,"axG",@progbits,_ZN7rocprim17ROCPRIM_400000_NS6detail17trampoline_kernelINS0_14default_configENS1_36segmented_radix_sort_config_selectorI6__halflEEZNS1_25segmented_radix_sort_implIS3_Lb1EPKS5_PS5_PKlPlN2at6native12_GLOBAL__N_18offset_tEEE10hipError_tPvRmT1_PNSt15iterator_traitsISL_E10value_typeET2_T3_PNSM_ISR_E10value_typeET4_jRbjT5_SX_jjP12ihipStream_tbEUlT_E0_NS1_11comp_targetILNS1_3genE2ELNS1_11target_archE906ELNS1_3gpuE6ELNS1_3repE0EEENS1_60segmented_radix_sort_warp_sort_medium_config_static_selectorELNS0_4arch9wavefront6targetE0EEEvSL_,comdat
.Lfunc_end1753:
	.size	_ZN7rocprim17ROCPRIM_400000_NS6detail17trampoline_kernelINS0_14default_configENS1_36segmented_radix_sort_config_selectorI6__halflEEZNS1_25segmented_radix_sort_implIS3_Lb1EPKS5_PS5_PKlPlN2at6native12_GLOBAL__N_18offset_tEEE10hipError_tPvRmT1_PNSt15iterator_traitsISL_E10value_typeET2_T3_PNSM_ISR_E10value_typeET4_jRbjT5_SX_jjP12ihipStream_tbEUlT_E0_NS1_11comp_targetILNS1_3genE2ELNS1_11target_archE906ELNS1_3gpuE6ELNS1_3repE0EEENS1_60segmented_radix_sort_warp_sort_medium_config_static_selectorELNS0_4arch9wavefront6targetE0EEEvSL_, .Lfunc_end1753-_ZN7rocprim17ROCPRIM_400000_NS6detail17trampoline_kernelINS0_14default_configENS1_36segmented_radix_sort_config_selectorI6__halflEEZNS1_25segmented_radix_sort_implIS3_Lb1EPKS5_PS5_PKlPlN2at6native12_GLOBAL__N_18offset_tEEE10hipError_tPvRmT1_PNSt15iterator_traitsISL_E10value_typeET2_T3_PNSM_ISR_E10value_typeET4_jRbjT5_SX_jjP12ihipStream_tbEUlT_E0_NS1_11comp_targetILNS1_3genE2ELNS1_11target_archE906ELNS1_3gpuE6ELNS1_3repE0EEENS1_60segmented_radix_sort_warp_sort_medium_config_static_selectorELNS0_4arch9wavefront6targetE0EEEvSL_
                                        ; -- End function
	.set _ZN7rocprim17ROCPRIM_400000_NS6detail17trampoline_kernelINS0_14default_configENS1_36segmented_radix_sort_config_selectorI6__halflEEZNS1_25segmented_radix_sort_implIS3_Lb1EPKS5_PS5_PKlPlN2at6native12_GLOBAL__N_18offset_tEEE10hipError_tPvRmT1_PNSt15iterator_traitsISL_E10value_typeET2_T3_PNSM_ISR_E10value_typeET4_jRbjT5_SX_jjP12ihipStream_tbEUlT_E0_NS1_11comp_targetILNS1_3genE2ELNS1_11target_archE906ELNS1_3gpuE6ELNS1_3repE0EEENS1_60segmented_radix_sort_warp_sort_medium_config_static_selectorELNS0_4arch9wavefront6targetE0EEEvSL_.num_vgpr, 0
	.set _ZN7rocprim17ROCPRIM_400000_NS6detail17trampoline_kernelINS0_14default_configENS1_36segmented_radix_sort_config_selectorI6__halflEEZNS1_25segmented_radix_sort_implIS3_Lb1EPKS5_PS5_PKlPlN2at6native12_GLOBAL__N_18offset_tEEE10hipError_tPvRmT1_PNSt15iterator_traitsISL_E10value_typeET2_T3_PNSM_ISR_E10value_typeET4_jRbjT5_SX_jjP12ihipStream_tbEUlT_E0_NS1_11comp_targetILNS1_3genE2ELNS1_11target_archE906ELNS1_3gpuE6ELNS1_3repE0EEENS1_60segmented_radix_sort_warp_sort_medium_config_static_selectorELNS0_4arch9wavefront6targetE0EEEvSL_.num_agpr, 0
	.set _ZN7rocprim17ROCPRIM_400000_NS6detail17trampoline_kernelINS0_14default_configENS1_36segmented_radix_sort_config_selectorI6__halflEEZNS1_25segmented_radix_sort_implIS3_Lb1EPKS5_PS5_PKlPlN2at6native12_GLOBAL__N_18offset_tEEE10hipError_tPvRmT1_PNSt15iterator_traitsISL_E10value_typeET2_T3_PNSM_ISR_E10value_typeET4_jRbjT5_SX_jjP12ihipStream_tbEUlT_E0_NS1_11comp_targetILNS1_3genE2ELNS1_11target_archE906ELNS1_3gpuE6ELNS1_3repE0EEENS1_60segmented_radix_sort_warp_sort_medium_config_static_selectorELNS0_4arch9wavefront6targetE0EEEvSL_.numbered_sgpr, 0
	.set _ZN7rocprim17ROCPRIM_400000_NS6detail17trampoline_kernelINS0_14default_configENS1_36segmented_radix_sort_config_selectorI6__halflEEZNS1_25segmented_radix_sort_implIS3_Lb1EPKS5_PS5_PKlPlN2at6native12_GLOBAL__N_18offset_tEEE10hipError_tPvRmT1_PNSt15iterator_traitsISL_E10value_typeET2_T3_PNSM_ISR_E10value_typeET4_jRbjT5_SX_jjP12ihipStream_tbEUlT_E0_NS1_11comp_targetILNS1_3genE2ELNS1_11target_archE906ELNS1_3gpuE6ELNS1_3repE0EEENS1_60segmented_radix_sort_warp_sort_medium_config_static_selectorELNS0_4arch9wavefront6targetE0EEEvSL_.num_named_barrier, 0
	.set _ZN7rocprim17ROCPRIM_400000_NS6detail17trampoline_kernelINS0_14default_configENS1_36segmented_radix_sort_config_selectorI6__halflEEZNS1_25segmented_radix_sort_implIS3_Lb1EPKS5_PS5_PKlPlN2at6native12_GLOBAL__N_18offset_tEEE10hipError_tPvRmT1_PNSt15iterator_traitsISL_E10value_typeET2_T3_PNSM_ISR_E10value_typeET4_jRbjT5_SX_jjP12ihipStream_tbEUlT_E0_NS1_11comp_targetILNS1_3genE2ELNS1_11target_archE906ELNS1_3gpuE6ELNS1_3repE0EEENS1_60segmented_radix_sort_warp_sort_medium_config_static_selectorELNS0_4arch9wavefront6targetE0EEEvSL_.private_seg_size, 0
	.set _ZN7rocprim17ROCPRIM_400000_NS6detail17trampoline_kernelINS0_14default_configENS1_36segmented_radix_sort_config_selectorI6__halflEEZNS1_25segmented_radix_sort_implIS3_Lb1EPKS5_PS5_PKlPlN2at6native12_GLOBAL__N_18offset_tEEE10hipError_tPvRmT1_PNSt15iterator_traitsISL_E10value_typeET2_T3_PNSM_ISR_E10value_typeET4_jRbjT5_SX_jjP12ihipStream_tbEUlT_E0_NS1_11comp_targetILNS1_3genE2ELNS1_11target_archE906ELNS1_3gpuE6ELNS1_3repE0EEENS1_60segmented_radix_sort_warp_sort_medium_config_static_selectorELNS0_4arch9wavefront6targetE0EEEvSL_.uses_vcc, 0
	.set _ZN7rocprim17ROCPRIM_400000_NS6detail17trampoline_kernelINS0_14default_configENS1_36segmented_radix_sort_config_selectorI6__halflEEZNS1_25segmented_radix_sort_implIS3_Lb1EPKS5_PS5_PKlPlN2at6native12_GLOBAL__N_18offset_tEEE10hipError_tPvRmT1_PNSt15iterator_traitsISL_E10value_typeET2_T3_PNSM_ISR_E10value_typeET4_jRbjT5_SX_jjP12ihipStream_tbEUlT_E0_NS1_11comp_targetILNS1_3genE2ELNS1_11target_archE906ELNS1_3gpuE6ELNS1_3repE0EEENS1_60segmented_radix_sort_warp_sort_medium_config_static_selectorELNS0_4arch9wavefront6targetE0EEEvSL_.uses_flat_scratch, 0
	.set _ZN7rocprim17ROCPRIM_400000_NS6detail17trampoline_kernelINS0_14default_configENS1_36segmented_radix_sort_config_selectorI6__halflEEZNS1_25segmented_radix_sort_implIS3_Lb1EPKS5_PS5_PKlPlN2at6native12_GLOBAL__N_18offset_tEEE10hipError_tPvRmT1_PNSt15iterator_traitsISL_E10value_typeET2_T3_PNSM_ISR_E10value_typeET4_jRbjT5_SX_jjP12ihipStream_tbEUlT_E0_NS1_11comp_targetILNS1_3genE2ELNS1_11target_archE906ELNS1_3gpuE6ELNS1_3repE0EEENS1_60segmented_radix_sort_warp_sort_medium_config_static_selectorELNS0_4arch9wavefront6targetE0EEEvSL_.has_dyn_sized_stack, 0
	.set _ZN7rocprim17ROCPRIM_400000_NS6detail17trampoline_kernelINS0_14default_configENS1_36segmented_radix_sort_config_selectorI6__halflEEZNS1_25segmented_radix_sort_implIS3_Lb1EPKS5_PS5_PKlPlN2at6native12_GLOBAL__N_18offset_tEEE10hipError_tPvRmT1_PNSt15iterator_traitsISL_E10value_typeET2_T3_PNSM_ISR_E10value_typeET4_jRbjT5_SX_jjP12ihipStream_tbEUlT_E0_NS1_11comp_targetILNS1_3genE2ELNS1_11target_archE906ELNS1_3gpuE6ELNS1_3repE0EEENS1_60segmented_radix_sort_warp_sort_medium_config_static_selectorELNS0_4arch9wavefront6targetE0EEEvSL_.has_recursion, 0
	.set _ZN7rocprim17ROCPRIM_400000_NS6detail17trampoline_kernelINS0_14default_configENS1_36segmented_radix_sort_config_selectorI6__halflEEZNS1_25segmented_radix_sort_implIS3_Lb1EPKS5_PS5_PKlPlN2at6native12_GLOBAL__N_18offset_tEEE10hipError_tPvRmT1_PNSt15iterator_traitsISL_E10value_typeET2_T3_PNSM_ISR_E10value_typeET4_jRbjT5_SX_jjP12ihipStream_tbEUlT_E0_NS1_11comp_targetILNS1_3genE2ELNS1_11target_archE906ELNS1_3gpuE6ELNS1_3repE0EEENS1_60segmented_radix_sort_warp_sort_medium_config_static_selectorELNS0_4arch9wavefront6targetE0EEEvSL_.has_indirect_call, 0
	.section	.AMDGPU.csdata,"",@progbits
; Kernel info:
; codeLenInByte = 0
; TotalNumSgprs: 0
; NumVgprs: 0
; ScratchSize: 0
; MemoryBound: 0
; FloatMode: 240
; IeeeMode: 1
; LDSByteSize: 0 bytes/workgroup (compile time only)
; SGPRBlocks: 0
; VGPRBlocks: 0
; NumSGPRsForWavesPerEU: 1
; NumVGPRsForWavesPerEU: 1
; Occupancy: 16
; WaveLimiterHint : 0
; COMPUTE_PGM_RSRC2:SCRATCH_EN: 0
; COMPUTE_PGM_RSRC2:USER_SGPR: 2
; COMPUTE_PGM_RSRC2:TRAP_HANDLER: 0
; COMPUTE_PGM_RSRC2:TGID_X_EN: 1
; COMPUTE_PGM_RSRC2:TGID_Y_EN: 0
; COMPUTE_PGM_RSRC2:TGID_Z_EN: 0
; COMPUTE_PGM_RSRC2:TIDIG_COMP_CNT: 0
	.text
	.p2align	2                               ; -- Begin function _ZN7rocprim17ROCPRIM_400000_NS6detail26segmented_warp_sort_helperINS1_20WarpSortHelperConfigILj16ELj8ELj256EEE6__halflLi256ELb1EvE4sortIPKS5_PS5_PKlPlEEvT_T0_T1_T2_jjjjRNS6_12storage_typeE
	.type	_ZN7rocprim17ROCPRIM_400000_NS6detail26segmented_warp_sort_helperINS1_20WarpSortHelperConfigILj16ELj8ELj256EEE6__halflLi256ELb1EvE4sortIPKS5_PS5_PKlPlEEvT_T0_T1_T2_jjjjRNS6_12storage_typeE,@function
_ZN7rocprim17ROCPRIM_400000_NS6detail26segmented_warp_sort_helperINS1_20WarpSortHelperConfigILj16ELj8ELj256EEE6__halflLi256ELb1EvE4sortIPKS5_PS5_PKlPlEEvT_T0_T1_T2_jjjjRNS6_12storage_typeE: ; @_ZN7rocprim17ROCPRIM_400000_NS6detail26segmented_warp_sort_helperINS1_20WarpSortHelperConfigILj16ELj8ELj256EEE6__halflLi256ELb1EvE4sortIPKS5_PS5_PKlPlEEvT_T0_T1_T2_jjjjRNS6_12storage_typeE
; %bb.0:
	s_wait_loadcnt_dscnt 0x0
	s_wait_expcnt 0x0
	s_wait_samplecnt 0x0
	s_wait_bvhcnt 0x0
	s_wait_kmcnt 0x0
	v_mov_b32_e32 v10, v9
	v_mbcnt_lo_u32_b32 v9, -1, 0
	v_dual_mov_b32 v36, 0xffff :: v_dual_mov_b32 v39, 0xffff
	s_delay_alu instid0(VALU_DEP_2) | instskip(SKIP_2) | instid1(VALU_DEP_3)
	v_lshlrev_b32_e32 v35, 3, v9
	v_mov_b32_e32 v9, 0
	v_sub_nc_u32_e32 v10, v10, v8
	v_and_b32_e32 v34, 0x78, v35
	s_delay_alu instid0(VALU_DEP_3) | instskip(NEXT) | instid1(VALU_DEP_2)
	v_lshlrev_b64_e32 v[11:12], 1, v[8:9]
	v_lshlrev_b32_e32 v32, 1, v34
	s_delay_alu instid0(VALU_DEP_2) | instskip(SKIP_1) | instid1(VALU_DEP_3)
	v_add_co_u32 v0, vcc_lo, v0, v11
	s_wait_alu 0xfffd
	v_add_co_ci_u32_e64 v1, null, v1, v12, vcc_lo
	s_delay_alu instid0(VALU_DEP_2) | instskip(SKIP_1) | instid1(VALU_DEP_2)
	v_add_co_u32 v0, vcc_lo, v0, v32
	s_wait_alu 0xfffd
	v_add_co_ci_u32_e64 v1, null, 0, v1, vcc_lo
	v_cmp_lt_u32_e32 vcc_lo, v34, v10
	s_and_saveexec_b32 s0, vcc_lo
	s_cbranch_execz .LBB1754_2
; %bb.1:
	flat_load_u16 v36, v[0:1]
.LBB1754_2:
	s_wait_alu 0xfffe
	s_or_b32 exec_lo, exec_lo, s0
	v_or_b32_e32 v13, 1, v34
	s_delay_alu instid0(VALU_DEP_1)
	v_cmp_lt_u32_e64 s0, v13, v10
	s_and_saveexec_b32 s1, s0
	s_cbranch_execz .LBB1754_4
; %bb.3:
	flat_load_u16 v39, v[0:1] offset:2
.LBB1754_4:
	s_wait_alu 0xfffe
	s_or_b32 exec_lo, exec_lo, s1
	v_or_b32_e32 v13, 2, v34
	v_dual_mov_b32 v51, 0xffff :: v_dual_mov_b32 v48, 0xffff
	s_delay_alu instid0(VALU_DEP_2)
	v_cmp_lt_u32_e64 s1, v13, v10
	s_and_saveexec_b32 s2, s1
	s_cbranch_execz .LBB1754_6
; %bb.5:
	flat_load_u16 v48, v[0:1] offset:4
.LBB1754_6:
	s_wait_alu 0xfffe
	s_or_b32 exec_lo, exec_lo, s2
	v_or_b32_e32 v13, 3, v34
	s_delay_alu instid0(VALU_DEP_1)
	v_cmp_lt_u32_e64 s2, v13, v10
	s_and_saveexec_b32 s3, s2
	s_cbranch_execz .LBB1754_8
; %bb.7:
	flat_load_u16 v51, v[0:1] offset:6
.LBB1754_8:
	s_wait_alu 0xfffe
	s_or_b32 exec_lo, exec_lo, s3
	v_or_b32_e32 v13, 4, v34
	v_dual_mov_b32 v38, 0xffff :: v_dual_mov_b32 v49, 0xffff
	s_delay_alu instid0(VALU_DEP_2)
	v_cmp_lt_u32_e64 s3, v13, v10
	s_and_saveexec_b32 s4, s3
	s_cbranch_execz .LBB1754_10
; %bb.9:
	flat_load_u16 v49, v[0:1] offset:8
.LBB1754_10:
	;; [unrolled: 21-line block ×3, first 2 shown]
	s_wait_alu 0xfffe
	s_or_b32 exec_lo, exec_lo, s6
	v_or_b32_e32 v13, 7, v34
	s_delay_alu instid0(VALU_DEP_1)
	v_cmp_lt_u32_e64 s6, v13, v10
	s_and_saveexec_b32 s7, s6
	s_cbranch_execz .LBB1754_16
; %bb.15:
	flat_load_u16 v37, v[0:1] offset:14
.LBB1754_16:
	s_wait_alu 0xfffe
	s_or_b32 exec_lo, exec_lo, s7
	v_lshlrev_b64_e32 v[0:1], 3, v[8:9]
	v_lshlrev_b32_e32 v33, 3, v34
	; wave barrier
	s_delay_alu instid0(VALU_DEP_2) | instskip(SKIP_1) | instid1(VALU_DEP_3)
	v_add_co_u32 v4, s7, v4, v0
	s_wait_alu 0xf1ff
	v_add_co_ci_u32_e64 v5, null, v5, v1, s7
	s_delay_alu instid0(VALU_DEP_2) | instskip(SKIP_1) | instid1(VALU_DEP_2)
	v_add_co_u32 v13, s7, v4, v33
	s_wait_alu 0xf1ff
	v_add_co_ci_u32_e64 v14, null, 0, v5, s7
                                        ; implicit-def: $vgpr4_vgpr5
	s_and_saveexec_b32 s7, vcc_lo
	s_cbranch_execnz .LBB1754_261
; %bb.17:
	s_wait_alu 0xfffe
	s_or_b32 exec_lo, exec_lo, s7
                                        ; implicit-def: $vgpr8_vgpr9
	s_and_saveexec_b32 s7, s0
	s_cbranch_execnz .LBB1754_262
.LBB1754_18:
	s_wait_alu 0xfffe
	s_or_b32 exec_lo, exec_lo, s7
                                        ; implicit-def: $vgpr15_vgpr16
	s_and_saveexec_b32 s7, s1
	s_cbranch_execnz .LBB1754_263
.LBB1754_19:
	s_wait_alu 0xfffe
	s_or_b32 exec_lo, exec_lo, s7
                                        ; implicit-def: $vgpr17_vgpr18
	s_and_saveexec_b32 s7, s2
	s_cbranch_execnz .LBB1754_264
.LBB1754_20:
	s_wait_alu 0xfffe
	s_or_b32 exec_lo, exec_lo, s7
                                        ; implicit-def: $vgpr19_vgpr20
	s_and_saveexec_b32 s7, s3
	s_cbranch_execnz .LBB1754_265
.LBB1754_21:
	s_wait_alu 0xfffe
	s_or_b32 exec_lo, exec_lo, s7
                                        ; implicit-def: $vgpr23_vgpr24
	s_and_saveexec_b32 s7, s4
	s_cbranch_execnz .LBB1754_266
.LBB1754_22:
	s_wait_alu 0xfffe
	s_or_b32 exec_lo, exec_lo, s7
                                        ; implicit-def: $vgpr21_vgpr22
	s_and_saveexec_b32 s7, s5
	s_cbranch_execnz .LBB1754_267
.LBB1754_23:
	s_wait_alu 0xfffe
	s_or_b32 exec_lo, exec_lo, s7
                                        ; implicit-def: $vgpr25_vgpr26
	s_and_saveexec_b32 s7, s6
	s_cbranch_execz .LBB1754_25
.LBB1754_24:
	flat_load_b64 v[25:26], v[13:14] offset:56
.LBB1754_25:
	s_wait_alu 0xfffe
	s_or_b32 exec_lo, exec_lo, s7
	; wave barrier
	s_load_b64 s[10:11], s[8:9], 0x0
	s_and_b32 s7, ttmp7, 0xffff
	s_mov_b32 s13, 0
	v_bfe_u32 v10, v31, 10, 10
	v_bfe_u32 v13, v31, 20, 10
	s_wait_kmcnt 0x0
	s_wait_alu 0xfffe
	s_cmp_lt_u32 s7, s11
	s_cselect_b32 s12, 14, 20
	s_cmp_lt_u32 ttmp9, s10
	s_wait_alu 0xfffe
	s_add_nc_u64 s[14:15], s[8:9], s[12:13]
	s_cselect_b32 s12, 12, 18
	s_load_u16 s7, s[14:15], 0x0
	s_add_nc_u64 s[8:9], s[8:9], s[12:13]
	s_load_u16 s8, s[8:9], 0x0
	s_wait_kmcnt 0x0
	v_mad_u32_u24 v10, v13, s7, v10
	v_and_b32_e32 v13, 0x3ff, v31
	s_delay_alu instid0(VALU_DEP_2) | instskip(SKIP_1) | instid1(VALU_DEP_1)
	v_mul_lo_u32 v10, v10, s8
	s_mov_b32 s8, exec_lo
	v_add_lshl_u32 v10, v10, v13, 3
	s_delay_alu instid0(VALU_DEP_1)
	v_cmpx_gt_u32_e32 0x800, v10
	s_cbranch_execz .LBB1754_83
; %bb.26:
	s_wait_loadcnt_dscnt 0x0
	v_add_f16_e32 v13, 0, v39
	v_add_f16_e32 v14, 0, v36
	v_mov_b32_e32 v31, v39
	s_mov_b32 s9, exec_lo
	s_delay_alu instid0(VALU_DEP_3) | instskip(SKIP_1) | instid1(VALU_DEP_1)
	v_cmp_lt_i16_e64 s7, -1, v13
	s_wait_alu 0xf1ff
	v_cndmask_b32_e64 v27, -1, 0xffff8000, s7
	v_cmp_lt_i16_e64 s7, -1, v14
	s_delay_alu instid0(VALU_DEP_2) | instskip(SKIP_1) | instid1(VALU_DEP_2)
	v_xor_b32_e32 v13, v27, v13
	s_wait_alu 0xf1ff
	v_cndmask_b32_e64 v28, -1, 0xffff8000, s7
	s_delay_alu instid0(VALU_DEP_1) | instskip(SKIP_1) | instid1(VALU_DEP_2)
	v_xor_b32_e32 v14, v28, v14
	v_dual_mov_b32 v28, v9 :: v_dual_mov_b32 v27, v8
	v_cmpx_gt_u16_e64 v13, v14
; %bb.27:
	v_dual_mov_b32 v31, v36 :: v_dual_mov_b32 v36, v39
	v_dual_mov_b32 v28, v5 :: v_dual_mov_b32 v27, v4
	;; [unrolled: 1-line block ×3, first 2 shown]
; %bb.28:
	s_wait_alu 0xfffe
	s_or_b32 exec_lo, exec_lo, s9
	v_add_f16_e32 v8, 0, v51
	v_add_f16_e32 v9, 0, v48
	v_mov_b32_e32 v30, v18
	v_dual_mov_b32 v52, v51 :: v_dual_mov_b32 v29, v17
	s_delay_alu instid0(VALU_DEP_4) | instskip(SKIP_4) | instid1(VALU_DEP_2)
	v_cmp_lt_i16_e64 s7, -1, v8
	s_mov_b32 s9, exec_lo
	s_wait_alu 0xf1ff
	v_cndmask_b32_e64 v13, -1, 0xffff8000, s7
	v_cmp_lt_i16_e64 s7, -1, v9
	v_xor_b32_e32 v8, v13, v8
	s_wait_alu 0xf1ff
	s_delay_alu instid0(VALU_DEP_2) | instskip(NEXT) | instid1(VALU_DEP_1)
	v_cndmask_b32_e64 v14, -1, 0xffff8000, s7
	v_xor_b32_e32 v9, v14, v9
	s_delay_alu instid0(VALU_DEP_1)
	v_cmpx_gt_u16_e64 v8, v9
; %bb.29:
	v_mov_b32_e32 v30, v16
	v_dual_mov_b32 v52, v48 :: v_dual_mov_b32 v29, v15
	v_dual_mov_b32 v48, v51 :: v_dual_mov_b32 v15, v17
	v_mov_b32_e32 v16, v18
; %bb.30:
	s_wait_alu 0xfffe
	s_or_b32 exec_lo, exec_lo, s9
	v_add_f16_e32 v8, 0, v38
	v_add_f16_e32 v9, 0, v49
	v_mov_b32_e32 v51, v49
	s_mov_b32 s9, exec_lo
	s_delay_alu instid0(VALU_DEP_3) | instskip(SKIP_1) | instid1(VALU_DEP_1)
	v_cmp_lt_i16_e64 s7, -1, v8
	s_wait_alu 0xf1ff
	v_cndmask_b32_e64 v13, -1, 0xffff8000, s7
	v_cmp_lt_i16_e64 s7, -1, v9
	s_delay_alu instid0(VALU_DEP_2) | instskip(SKIP_1) | instid1(VALU_DEP_2)
	v_xor_b32_e32 v8, v13, v8
	s_wait_alu 0xf1ff
	v_cndmask_b32_e64 v14, -1, 0xffff8000, s7
	s_delay_alu instid0(VALU_DEP_1) | instskip(SKIP_1) | instid1(VALU_DEP_2)
	v_xor_b32_e32 v9, v14, v9
	v_dual_mov_b32 v13, v23 :: v_dual_mov_b32 v14, v24
	v_cmpx_gt_u16_e64 v8, v9
; %bb.31:
	v_dual_mov_b32 v13, v19 :: v_dual_mov_b32 v14, v20
	v_dual_mov_b32 v19, v23 :: v_dual_mov_b32 v20, v24
	;; [unrolled: 1-line block ×3, first 2 shown]
; %bb.32:
	s_wait_alu 0xfffe
	s_or_b32 exec_lo, exec_lo, s9
	v_add_f16_e32 v8, 0, v37
	v_add_f16_e32 v9, 0, v50
	v_mov_b32_e32 v49, v50
	s_mov_b32 s9, exec_lo
	s_delay_alu instid0(VALU_DEP_3) | instskip(SKIP_1) | instid1(VALU_DEP_1)
	v_cmp_lt_i16_e64 s7, -1, v8
	s_wait_alu 0xf1ff
	v_cndmask_b32_e64 v17, -1, 0xffff8000, s7
	v_cmp_lt_i16_e64 s7, -1, v9
	s_delay_alu instid0(VALU_DEP_2) | instskip(SKIP_1) | instid1(VALU_DEP_2)
	v_xor_b32_e32 v17, v17, v8
	s_wait_alu 0xf1ff
	v_cndmask_b32_e64 v18, -1, 0xffff8000, s7
	s_delay_alu instid0(VALU_DEP_1) | instskip(SKIP_1) | instid1(VALU_DEP_2)
	v_xor_b32_e32 v18, v18, v9
	v_dual_mov_b32 v8, v25 :: v_dual_mov_b32 v9, v26
	v_cmpx_gt_u16_e64 v17, v18
; %bb.33:
	v_dual_mov_b32 v8, v21 :: v_dual_mov_b32 v9, v22
	v_dual_mov_b32 v21, v25 :: v_dual_mov_b32 v22, v26
	v_mov_b32_e32 v49, v37
	v_mov_b32_e32 v37, v50
; %bb.34:
	s_wait_alu 0xfffe
	s_or_b32 exec_lo, exec_lo, s9
	v_add_f16_e32 v17, 0, v48
	v_add_f16_e32 v18, 0, v31
	v_mov_b32_e32 v39, v48
	s_delay_alu instid0(VALU_DEP_3) | instskip(SKIP_1) | instid1(VALU_DEP_1)
	v_cmp_lt_i16_e64 s7, -1, v17
	s_wait_alu 0xf1ff
	v_cndmask_b32_e64 v23, -1, 0xffff8000, s7
	v_cmp_lt_i16_e64 s7, -1, v18
	s_delay_alu instid0(VALU_DEP_2) | instskip(SKIP_1) | instid1(VALU_DEP_2)
	v_xor_b32_e32 v17, v23, v17
	s_wait_alu 0xf1ff
	v_cndmask_b32_e64 v24, -1, 0xffff8000, s7
	s_delay_alu instid0(VALU_DEP_1) | instskip(SKIP_1) | instid1(VALU_DEP_2)
	v_xor_b32_e32 v18, v24, v18
	v_dual_mov_b32 v24, v16 :: v_dual_mov_b32 v23, v15
	v_cmp_gt_u16_e64 s7, v17, v18
	s_and_saveexec_b32 s9, s7
	s_wait_alu 0xfffe
	s_xor_b32 s7, exec_lo, s9
; %bb.35:
	v_mov_b32_e32 v23, v27
	v_dual_mov_b32 v39, v31 :: v_dual_mov_b32 v24, v28
	v_dual_mov_b32 v31, v48 :: v_dual_mov_b32 v28, v16
	v_mov_b32_e32 v27, v15
; %bb.36:
	s_wait_alu 0xfffe
	s_or_b32 exec_lo, exec_lo, s7
	v_add_f16_e32 v15, 0, v51
	v_add_f16_e32 v16, 0, v52
	s_mov_b32 s9, exec_lo
	v_dual_mov_b32 v26, v20 :: v_dual_mov_b32 v25, v19
	s_delay_alu instid0(VALU_DEP_3) | instskip(SKIP_1) | instid1(VALU_DEP_1)
	v_cmp_lt_i16_e64 s7, -1, v15
	s_wait_alu 0xf1ff
	v_cndmask_b32_e64 v17, -1, 0xffff8000, s7
	v_cmp_lt_i16_e64 s7, -1, v16
	s_delay_alu instid0(VALU_DEP_2) | instskip(SKIP_1) | instid1(VALU_DEP_2)
	v_xor_b32_e32 v15, v17, v15
	s_wait_alu 0xf1ff
	v_cndmask_b32_e64 v18, -1, 0xffff8000, s7
	v_mov_b32_e32 v17, v52
	s_delay_alu instid0(VALU_DEP_2) | instskip(NEXT) | instid1(VALU_DEP_1)
	v_xor_b32_e32 v16, v18, v16
	v_cmpx_gt_u16_e64 v15, v16
; %bb.37:
	v_mov_b32_e32 v25, v29
	v_dual_mov_b32 v17, v51 :: v_dual_mov_b32 v26, v30
	v_dual_mov_b32 v30, v20 :: v_dual_mov_b32 v29, v19
	v_mov_b32_e32 v51, v52
; %bb.38:
	s_wait_alu 0xfffe
	s_or_b32 exec_lo, exec_lo, s9
	v_add_f16_e32 v15, 0, v49
	v_add_f16_e32 v16, 0, v38
	v_mov_b32_e32 v48, v38
	s_mov_b32 s9, exec_lo
	s_delay_alu instid0(VALU_DEP_3) | instskip(SKIP_1) | instid1(VALU_DEP_1)
	v_cmp_lt_i16_e64 s7, -1, v15
	s_wait_alu 0xf1ff
	v_cndmask_b32_e64 v18, -1, 0xffff8000, s7
	v_cmp_lt_i16_e64 s7, -1, v16
	s_delay_alu instid0(VALU_DEP_2) | instskip(SKIP_1) | instid1(VALU_DEP_2)
	v_xor_b32_e32 v18, v18, v15
	s_wait_alu 0xf1ff
	v_cndmask_b32_e64 v19, -1, 0xffff8000, s7
	s_delay_alu instid0(VALU_DEP_1) | instskip(SKIP_1) | instid1(VALU_DEP_2)
	v_xor_b32_e32 v19, v19, v16
	v_dual_mov_b32 v15, v21 :: v_dual_mov_b32 v16, v22
	v_cmpx_gt_u16_e64 v18, v19
; %bb.39:
	v_dual_mov_b32 v16, v14 :: v_dual_mov_b32 v15, v13
	v_dual_mov_b32 v13, v21 :: v_dual_mov_b32 v14, v22
	;; [unrolled: 1-line block ×3, first 2 shown]
; %bb.40:
	s_wait_alu 0xfffe
	s_or_b32 exec_lo, exec_lo, s9
	v_add_f16_e32 v18, 0, v31
	v_add_f16_e32 v19, 0, v36
	v_mov_b32_e32 v38, v31
	s_delay_alu instid0(VALU_DEP_3) | instskip(SKIP_1) | instid1(VALU_DEP_1)
	v_cmp_lt_i16_e64 s7, -1, v18
	s_wait_alu 0xf1ff
	v_cndmask_b32_e64 v20, -1, 0xffff8000, s7
	v_cmp_lt_i16_e64 s7, -1, v19
	s_delay_alu instid0(VALU_DEP_2) | instskip(SKIP_1) | instid1(VALU_DEP_2)
	v_xor_b32_e32 v18, v20, v18
	s_wait_alu 0xf1ff
	v_cndmask_b32_e64 v21, -1, 0xffff8000, s7
	s_delay_alu instid0(VALU_DEP_1) | instskip(NEXT) | instid1(VALU_DEP_1)
	v_xor_b32_e32 v19, v21, v19
	v_cmp_gt_u16_e64 s7, v18, v19
	v_dual_mov_b32 v19, v27 :: v_dual_mov_b32 v20, v28
	s_and_saveexec_b32 s9, s7
; %bb.41:
	v_mov_b32_e32 v20, v5
	v_dual_mov_b32 v38, v36 :: v_dual_mov_b32 v19, v4
	v_mov_b32_e32 v4, v27
	v_dual_mov_b32 v36, v31 :: v_dual_mov_b32 v5, v28
; %bb.42:
	s_wait_alu 0xfffe
	s_or_b32 exec_lo, exec_lo, s9
	v_add_f16_e32 v18, 0, v17
	v_add_f16_e32 v21, 0, v39
	v_mov_b32_e32 v53, v17
	s_mov_b32 s9, exec_lo
	s_delay_alu instid0(VALU_DEP_3) | instskip(SKIP_1) | instid1(VALU_DEP_1)
	v_cmp_lt_i16_e64 s7, -1, v18
	s_wait_alu 0xf1ff
	v_cndmask_b32_e64 v22, -1, 0xffff8000, s7
	v_cmp_lt_i16_e64 s7, -1, v21
	s_delay_alu instid0(VALU_DEP_2) | instskip(SKIP_1) | instid1(VALU_DEP_2)
	v_xor_b32_e32 v18, v22, v18
	s_wait_alu 0xf1ff
	v_cndmask_b32_e64 v27, -1, 0xffff8000, s7
	s_delay_alu instid0(VALU_DEP_1) | instskip(SKIP_1) | instid1(VALU_DEP_2)
	v_xor_b32_e32 v21, v27, v21
	v_dual_mov_b32 v27, v29 :: v_dual_mov_b32 v28, v30
	v_cmpx_gt_u16_e64 v18, v21
; %bb.43:
	v_dual_mov_b32 v53, v39 :: v_dual_mov_b32 v28, v24
	v_mov_b32_e32 v27, v23
	v_mov_b32_e32 v23, v29
	v_dual_mov_b32 v39, v17 :: v_dual_mov_b32 v24, v30
; %bb.44:
	s_wait_alu 0xfffe
	s_or_b32 exec_lo, exec_lo, s9
	v_add_f16_e32 v17, 0, v48
	v_add_f16_e32 v18, 0, v51
	v_mov_b32_e32 v52, v51
	s_mov_b32 s9, exec_lo
	s_delay_alu instid0(VALU_DEP_3) | instskip(SKIP_1) | instid1(VALU_DEP_1)
	v_cmp_lt_i16_e64 s7, -1, v17
	s_wait_alu 0xf1ff
	v_cndmask_b32_e64 v21, -1, 0xffff8000, s7
	v_cmp_lt_i16_e64 s7, -1, v18
	s_delay_alu instid0(VALU_DEP_2) | instskip(SKIP_1) | instid1(VALU_DEP_2)
	v_xor_b32_e32 v21, v21, v17
	s_wait_alu 0xf1ff
	v_cndmask_b32_e64 v22, -1, 0xffff8000, s7
	s_delay_alu instid0(VALU_DEP_1) | instskip(SKIP_1) | instid1(VALU_DEP_2)
	v_xor_b32_e32 v22, v22, v18
	v_dual_mov_b32 v18, v14 :: v_dual_mov_b32 v17, v13
	v_cmpx_gt_u16_e64 v21, v22
; %bb.45:
	v_dual_mov_b32 v17, v25 :: v_dual_mov_b32 v18, v26
	v_dual_mov_b32 v26, v14 :: v_dual_mov_b32 v25, v13
	v_mov_b32_e32 v52, v48
	v_mov_b32_e32 v48, v51
; %bb.46:
	s_wait_alu 0xfffe
	s_or_b32 exec_lo, exec_lo, s9
	v_add_f16_e32 v13, 0, v37
	v_add_f16_e32 v14, 0, v49
	v_mov_b32_e32 v50, v49
	s_mov_b32 s9, exec_lo
	s_delay_alu instid0(VALU_DEP_3) | instskip(SKIP_1) | instid1(VALU_DEP_1)
	v_cmp_lt_i16_e64 s7, -1, v13
	s_wait_alu 0xf1ff
	v_cndmask_b32_e64 v21, -1, 0xffff8000, s7
	v_cmp_lt_i16_e64 s7, -1, v14
	s_delay_alu instid0(VALU_DEP_2) | instskip(SKIP_1) | instid1(VALU_DEP_2)
	v_xor_b32_e32 v21, v21, v13
	s_wait_alu 0xf1ff
	v_cndmask_b32_e64 v22, -1, 0xffff8000, s7
	s_delay_alu instid0(VALU_DEP_1) | instskip(SKIP_1) | instid1(VALU_DEP_2)
	v_xor_b32_e32 v22, v22, v14
	v_dual_mov_b32 v14, v9 :: v_dual_mov_b32 v13, v8
	v_cmpx_gt_u16_e64 v21, v22
; %bb.47:
	v_dual_mov_b32 v13, v15 :: v_dual_mov_b32 v14, v16
	v_dual_mov_b32 v16, v9 :: v_dual_mov_b32 v15, v8
	v_dual_mov_b32 v50, v37 :: v_dual_mov_b32 v37, v49
; %bb.48:
	s_wait_alu 0xfffe
	s_or_b32 exec_lo, exec_lo, s9
	v_add_f16_e32 v8, 0, v39
	v_add_f16_e32 v9, 0, v38
	v_dual_mov_b32 v31, v39 :: v_dual_mov_b32 v30, v24
	v_mov_b32_e32 v29, v23
	s_delay_alu instid0(VALU_DEP_4) | instskip(SKIP_4) | instid1(VALU_DEP_2)
	v_cmp_lt_i16_e64 s7, -1, v8
	s_mov_b32 s9, exec_lo
	s_wait_alu 0xf1ff
	v_cndmask_b32_e64 v21, -1, 0xffff8000, s7
	v_cmp_lt_i16_e64 s7, -1, v9
	v_xor_b32_e32 v8, v21, v8
	s_wait_alu 0xf1ff
	s_delay_alu instid0(VALU_DEP_2) | instskip(NEXT) | instid1(VALU_DEP_1)
	v_cndmask_b32_e64 v22, -1, 0xffff8000, s7
	v_xor_b32_e32 v9, v22, v9
	s_delay_alu instid0(VALU_DEP_1)
	v_cmpx_gt_u16_e64 v8, v9
; %bb.49:
	v_dual_mov_b32 v31, v38 :: v_dual_mov_b32 v38, v39
	v_dual_mov_b32 v30, v20 :: v_dual_mov_b32 v29, v19
	;; [unrolled: 1-line block ×3, first 2 shown]
; %bb.50:
	s_wait_alu 0xfffe
	s_or_b32 exec_lo, exec_lo, s9
	v_add_f16_e32 v8, 0, v52
	v_add_f16_e32 v9, 0, v53
	v_mov_b32_e32 v49, v53
	s_mov_b32 s9, exec_lo
	s_delay_alu instid0(VALU_DEP_3) | instskip(SKIP_1) | instid1(VALU_DEP_1)
	v_cmp_lt_i16_e64 s7, -1, v8
	s_wait_alu 0xf1ff
	v_cndmask_b32_e64 v21, -1, 0xffff8000, s7
	v_cmp_lt_i16_e64 s7, -1, v9
	s_delay_alu instid0(VALU_DEP_2) | instskip(SKIP_1) | instid1(VALU_DEP_2)
	v_xor_b32_e32 v8, v21, v8
	s_wait_alu 0xf1ff
	v_cndmask_b32_e64 v22, -1, 0xffff8000, s7
	s_delay_alu instid0(VALU_DEP_1) | instskip(SKIP_1) | instid1(VALU_DEP_2)
	v_xor_b32_e32 v9, v22, v9
	v_dual_mov_b32 v21, v25 :: v_dual_mov_b32 v22, v26
	v_cmpx_gt_u16_e64 v8, v9
; %bb.51:
	v_mov_b32_e32 v21, v27
	v_dual_mov_b32 v49, v52 :: v_dual_mov_b32 v22, v28
	v_dual_mov_b32 v28, v26 :: v_dual_mov_b32 v27, v25
	v_mov_b32_e32 v52, v53
; %bb.52:
	s_wait_alu 0xfffe
	s_or_b32 exec_lo, exec_lo, s9
	v_add_f16_e32 v8, 0, v50
	v_add_f16_e32 v9, 0, v48
	v_mov_b32_e32 v39, v48
	s_mov_b32 s9, exec_lo
	s_delay_alu instid0(VALU_DEP_3) | instskip(SKIP_1) | instid1(VALU_DEP_1)
	v_cmp_lt_i16_e64 s7, -1, v8
	s_wait_alu 0xf1ff
	v_cndmask_b32_e64 v23, -1, 0xffff8000, s7
	v_cmp_lt_i16_e64 s7, -1, v9
	s_delay_alu instid0(VALU_DEP_2) | instskip(SKIP_1) | instid1(VALU_DEP_2)
	v_xor_b32_e32 v23, v23, v8
	s_wait_alu 0xf1ff
	v_cndmask_b32_e64 v24, -1, 0xffff8000, s7
	s_delay_alu instid0(VALU_DEP_1) | instskip(SKIP_1) | instid1(VALU_DEP_2)
	v_xor_b32_e32 v24, v24, v9
	v_dual_mov_b32 v8, v15 :: v_dual_mov_b32 v9, v16
	v_cmpx_gt_u16_e64 v23, v24
; %bb.53:
	v_dual_mov_b32 v8, v17 :: v_dual_mov_b32 v9, v18
	v_dual_mov_b32 v18, v16 :: v_dual_mov_b32 v17, v15
	;; [unrolled: 1-line block ×3, first 2 shown]
; %bb.54:
	s_wait_alu 0xfffe
	s_or_b32 exec_lo, exec_lo, s9
	v_add_f16_e32 v15, 0, v38
	v_add_f16_e32 v16, 0, v36
	v_mov_b32_e32 v48, v38
	s_mov_b32 s9, exec_lo
	s_delay_alu instid0(VALU_DEP_3) | instskip(SKIP_1) | instid1(VALU_DEP_1)
	v_cmp_lt_i16_e64 s7, -1, v15
	s_wait_alu 0xf1ff
	v_cndmask_b32_e64 v23, -1, 0xffff8000, s7
	v_cmp_lt_i16_e64 s7, -1, v16
	s_delay_alu instid0(VALU_DEP_2) | instskip(SKIP_1) | instid1(VALU_DEP_2)
	v_xor_b32_e32 v15, v23, v15
	s_wait_alu 0xf1ff
	v_cndmask_b32_e64 v24, -1, 0xffff8000, s7
	s_delay_alu instid0(VALU_DEP_1) | instskip(SKIP_1) | instid1(VALU_DEP_2)
	v_xor_b32_e32 v16, v24, v16
	v_dual_mov_b32 v24, v20 :: v_dual_mov_b32 v23, v19
	v_cmpx_gt_u16_e64 v15, v16
; %bb.55:
	v_mov_b32_e32 v24, v5
	v_dual_mov_b32 v48, v36 :: v_dual_mov_b32 v23, v4
	v_mov_b32_e32 v4, v19
	v_dual_mov_b32 v36, v38 :: v_dual_mov_b32 v5, v20
; %bb.56:
	s_wait_alu 0xfffe
	s_or_b32 exec_lo, exec_lo, s9
	v_add_f16_e32 v15, 0, v49
	v_add_f16_e32 v16, 0, v31
	v_dual_mov_b32 v38, v49 :: v_dual_mov_b32 v25, v27
	v_mov_b32_e32 v26, v28
	s_delay_alu instid0(VALU_DEP_4) | instskip(SKIP_4) | instid1(VALU_DEP_2)
	v_cmp_lt_i16_e64 s7, -1, v15
	s_mov_b32 s9, exec_lo
	s_wait_alu 0xf1ff
	v_cndmask_b32_e64 v19, -1, 0xffff8000, s7
	v_cmp_lt_i16_e64 s7, -1, v16
	v_xor_b32_e32 v15, v19, v15
	s_wait_alu 0xf1ff
	s_delay_alu instid0(VALU_DEP_2) | instskip(NEXT) | instid1(VALU_DEP_1)
	v_cndmask_b32_e64 v20, -1, 0xffff8000, s7
	v_xor_b32_e32 v16, v20, v16
	s_delay_alu instid0(VALU_DEP_1)
	v_cmpx_gt_u16_e64 v15, v16
; %bb.57:
	v_dual_mov_b32 v38, v31 :: v_dual_mov_b32 v31, v49
	v_dual_mov_b32 v25, v29 :: v_dual_mov_b32 v26, v30
	v_dual_mov_b32 v30, v28 :: v_dual_mov_b32 v29, v27
; %bb.58:
	s_wait_alu 0xfffe
	s_or_b32 exec_lo, exec_lo, s9
	v_add_f16_e32 v15, 0, v39
	v_add_f16_e32 v16, 0, v52
	v_mov_b32_e32 v53, v52
	s_mov_b32 s9, exec_lo
	s_delay_alu instid0(VALU_DEP_3) | instskip(SKIP_1) | instid1(VALU_DEP_1)
	v_cmp_lt_i16_e64 s7, -1, v15
	s_wait_alu 0xf1ff
	v_cndmask_b32_e64 v19, -1, 0xffff8000, s7
	v_cmp_lt_i16_e64 s7, -1, v16
	s_delay_alu instid0(VALU_DEP_2) | instskip(SKIP_1) | instid1(VALU_DEP_2)
	v_xor_b32_e32 v15, v19, v15
	s_wait_alu 0xf1ff
	v_cndmask_b32_e64 v20, -1, 0xffff8000, s7
	s_delay_alu instid0(VALU_DEP_1) | instskip(SKIP_1) | instid1(VALU_DEP_2)
	v_xor_b32_e32 v16, v20, v16
	v_dual_mov_b32 v20, v18 :: v_dual_mov_b32 v19, v17
	v_cmpx_gt_u16_e64 v15, v16
; %bb.59:
	v_dual_mov_b32 v19, v21 :: v_dual_mov_b32 v20, v22
	v_dual_mov_b32 v22, v18 :: v_dual_mov_b32 v21, v17
	v_mov_b32_e32 v53, v39
	v_mov_b32_e32 v39, v52
; %bb.60:
	s_wait_alu 0xfffe
	s_or_b32 exec_lo, exec_lo, s9
	v_add_f16_e32 v15, 0, v37
	v_add_f16_e32 v16, 0, v50
	v_mov_b32_e32 v51, v50
	s_mov_b32 s9, exec_lo
	s_delay_alu instid0(VALU_DEP_3) | instskip(SKIP_1) | instid1(VALU_DEP_1)
	v_cmp_lt_i16_e64 s7, -1, v15
	s_wait_alu 0xf1ff
	v_cndmask_b32_e64 v17, -1, 0xffff8000, s7
	v_cmp_lt_i16_e64 s7, -1, v16
	s_delay_alu instid0(VALU_DEP_2) | instskip(SKIP_1) | instid1(VALU_DEP_2)
	v_xor_b32_e32 v17, v17, v15
	s_wait_alu 0xf1ff
	v_cndmask_b32_e64 v18, -1, 0xffff8000, s7
	s_delay_alu instid0(VALU_DEP_1) | instskip(SKIP_1) | instid1(VALU_DEP_2)
	v_xor_b32_e32 v18, v18, v16
	v_dual_mov_b32 v16, v14 :: v_dual_mov_b32 v15, v13
	v_cmpx_gt_u16_e64 v17, v18
; %bb.61:
	v_dual_mov_b32 v16, v9 :: v_dual_mov_b32 v15, v8
	v_dual_mov_b32 v8, v13 :: v_dual_mov_b32 v9, v14
	v_mov_b32_e32 v51, v37
	v_mov_b32_e32 v37, v50
; %bb.62:
	s_wait_alu 0xfffe
	s_or_b32 exec_lo, exec_lo, s9
	v_add_f16_e32 v13, 0, v31
	v_add_f16_e32 v14, 0, v48
	v_dual_mov_b32 v50, v31 :: v_dual_mov_b32 v27, v29
	v_mov_b32_e32 v28, v30
	s_delay_alu instid0(VALU_DEP_4) | instskip(SKIP_4) | instid1(VALU_DEP_2)
	v_cmp_lt_i16_e64 s7, -1, v13
	s_mov_b32 s9, exec_lo
	s_wait_alu 0xf1ff
	v_cndmask_b32_e64 v17, -1, 0xffff8000, s7
	v_cmp_lt_i16_e64 s7, -1, v14
	v_xor_b32_e32 v13, v17, v13
	s_wait_alu 0xf1ff
	s_delay_alu instid0(VALU_DEP_2) | instskip(NEXT) | instid1(VALU_DEP_1)
	v_cndmask_b32_e64 v18, -1, 0xffff8000, s7
	v_xor_b32_e32 v14, v18, v14
	s_delay_alu instid0(VALU_DEP_1)
	v_cmpx_gt_u16_e64 v13, v14
; %bb.63:
	v_mov_b32_e32 v28, v24
	v_dual_mov_b32 v50, v48 :: v_dual_mov_b32 v27, v23
	v_dual_mov_b32 v48, v31 :: v_dual_mov_b32 v23, v29
	v_mov_b32_e32 v24, v30
; %bb.64:
	s_wait_alu 0xfffe
	s_or_b32 exec_lo, exec_lo, s9
	v_add_f16_e32 v13, 0, v53
	v_add_f16_e32 v14, 0, v38
	v_mov_b32_e32 v29, v38
	s_delay_alu instid0(VALU_DEP_3) | instskip(SKIP_1) | instid1(VALU_DEP_1)
	v_cmp_lt_i16_e64 s7, -1, v13
	s_wait_alu 0xf1ff
	v_cndmask_b32_e64 v17, -1, 0xffff8000, s7
	v_cmp_lt_i16_e64 s7, -1, v14
	s_delay_alu instid0(VALU_DEP_2) | instskip(SKIP_1) | instid1(VALU_DEP_2)
	v_xor_b32_e32 v13, v17, v13
	s_wait_alu 0xf1ff
	v_cndmask_b32_e64 v18, -1, 0xffff8000, s7
	s_delay_alu instid0(VALU_DEP_1) | instskip(NEXT) | instid1(VALU_DEP_1)
	v_xor_b32_e32 v14, v18, v14
	v_cmp_gt_u16_e64 s7, v13, v14
	v_dual_mov_b32 v13, v21 :: v_dual_mov_b32 v14, v22
	s_and_saveexec_b32 s9, s7
; %bb.65:
	v_mov_b32_e32 v13, v25
	v_dual_mov_b32 v29, v53 :: v_dual_mov_b32 v14, v26
	v_dual_mov_b32 v26, v22 :: v_dual_mov_b32 v25, v21
	v_mov_b32_e32 v53, v38
; %bb.66:
	s_wait_alu 0xfffe
	s_or_b32 exec_lo, exec_lo, s9
	v_add_f16_e32 v17, 0, v51
	v_add_f16_e32 v18, 0, v39
	v_mov_b32_e32 v38, v39
	s_mov_b32 s9, exec_lo
	s_delay_alu instid0(VALU_DEP_3) | instskip(SKIP_1) | instid1(VALU_DEP_1)
	v_cmp_lt_i16_e64 s7, -1, v17
	s_wait_alu 0xf1ff
	v_cndmask_b32_e64 v21, -1, 0xffff8000, s7
	v_cmp_lt_i16_e64 s7, -1, v18
	s_delay_alu instid0(VALU_DEP_2) | instskip(SKIP_1) | instid1(VALU_DEP_2)
	v_xor_b32_e32 v17, v21, v17
	s_wait_alu 0xf1ff
	v_cndmask_b32_e64 v22, -1, 0xffff8000, s7
	s_delay_alu instid0(VALU_DEP_1) | instskip(SKIP_1) | instid1(VALU_DEP_2)
	v_xor_b32_e32 v18, v22, v18
	v_dual_mov_b32 v22, v9 :: v_dual_mov_b32 v21, v8
	v_cmpx_gt_u16_e64 v17, v18
; %bb.67:
	v_dual_mov_b32 v22, v20 :: v_dual_mov_b32 v21, v19
	v_dual_mov_b32 v20, v9 :: v_dual_mov_b32 v19, v8
	;; [unrolled: 1-line block ×3, first 2 shown]
; %bb.68:
	s_wait_alu 0xfffe
	s_or_b32 exec_lo, exec_lo, s9
	v_add_f16_e32 v8, 0, v48
	v_add_f16_e32 v9, 0, v36
	v_mov_b32_e32 v39, v48
	s_delay_alu instid0(VALU_DEP_3) | instskip(SKIP_1) | instid1(VALU_DEP_1)
	v_cmp_lt_i16_e64 s7, -1, v8
	s_wait_alu 0xf1ff
	v_cndmask_b32_e64 v17, -1, 0xffff8000, s7
	v_cmp_lt_i16_e64 s7, -1, v9
	s_delay_alu instid0(VALU_DEP_2) | instskip(SKIP_1) | instid1(VALU_DEP_2)
	v_xor_b32_e32 v8, v17, v8
	s_wait_alu 0xf1ff
	v_cndmask_b32_e64 v18, -1, 0xffff8000, s7
	s_delay_alu instid0(VALU_DEP_1) | instskip(NEXT) | instid1(VALU_DEP_1)
	v_xor_b32_e32 v9, v18, v9
	v_cmp_gt_u16_e64 s7, v8, v9
	v_dual_mov_b32 v8, v23 :: v_dual_mov_b32 v9, v24
	s_and_saveexec_b32 s9, s7
; %bb.69:
	v_dual_mov_b32 v39, v36 :: v_dual_mov_b32 v36, v48
	v_dual_mov_b32 v9, v5 :: v_dual_mov_b32 v8, v4
	;; [unrolled: 1-line block ×3, first 2 shown]
; %bb.70:
	s_wait_alu 0xfffe
	s_or_b32 exec_lo, exec_lo, s9
	v_add_f16_e32 v17, 0, v29
	v_add_f16_e32 v18, 0, v50
	s_delay_alu instid0(VALU_DEP_2) | instskip(SKIP_1) | instid1(VALU_DEP_1)
	v_cmp_lt_i16_e64 s7, -1, v17
	s_wait_alu 0xf1ff
	v_cndmask_b32_e64 v23, -1, 0xffff8000, s7
	s_delay_alu instid0(VALU_DEP_3) | instskip(NEXT) | instid1(VALU_DEP_2)
	v_cmp_lt_i16_e64 s7, -1, v18
	v_xor_b32_e32 v17, v23, v17
	s_wait_alu 0xf1ff
	s_delay_alu instid0(VALU_DEP_2) | instskip(SKIP_1) | instid1(VALU_DEP_2)
	v_cndmask_b32_e64 v24, -1, 0xffff8000, s7
	v_mov_b32_e32 v23, v29
	v_xor_b32_e32 v18, v24, v18
	s_delay_alu instid0(VALU_DEP_1)
	v_cmp_gt_u16_e64 s7, v17, v18
	v_dual_mov_b32 v17, v25 :: v_dual_mov_b32 v18, v26
	s_and_saveexec_b32 s9, s7
; %bb.71:
	v_dual_mov_b32 v23, v50 :: v_dual_mov_b32 v50, v29
	v_dual_mov_b32 v17, v27 :: v_dual_mov_b32 v18, v28
	;; [unrolled: 1-line block ×3, first 2 shown]
; %bb.72:
	s_wait_alu 0xfffe
	s_or_b32 exec_lo, exec_lo, s9
	v_add_f16_e32 v24, 0, v38
	v_add_f16_e32 v25, 0, v53
	v_mov_b32_e32 v49, v53
	s_mov_b32 s9, exec_lo
	s_delay_alu instid0(VALU_DEP_3) | instskip(SKIP_1) | instid1(VALU_DEP_1)
	v_cmp_lt_i16_e64 s7, -1, v24
	s_wait_alu 0xf1ff
	v_cndmask_b32_e64 v26, -1, 0xffff8000, s7
	v_cmp_lt_i16_e64 s7, -1, v25
	s_delay_alu instid0(VALU_DEP_2) | instskip(SKIP_1) | instid1(VALU_DEP_2)
	v_xor_b32_e32 v24, v26, v24
	s_wait_alu 0xf1ff
	v_cndmask_b32_e64 v29, -1, 0xffff8000, s7
	s_delay_alu instid0(VALU_DEP_1) | instskip(SKIP_1) | instid1(VALU_DEP_2)
	v_xor_b32_e32 v25, v29, v25
	v_dual_mov_b32 v30, v20 :: v_dual_mov_b32 v29, v19
	v_cmpx_gt_u16_e64 v24, v25
; %bb.73:
	v_dual_mov_b32 v30, v14 :: v_dual_mov_b32 v29, v13
	v_dual_mov_b32 v13, v19 :: v_dual_mov_b32 v14, v20
	;; [unrolled: 1-line block ×3, first 2 shown]
; %bb.74:
	s_wait_alu 0xfffe
	s_or_b32 exec_lo, exec_lo, s9
	v_add_f16_e32 v19, 0, v37
	v_add_f16_e32 v20, 0, v51
	v_mov_b32_e32 v31, v51
	s_mov_b32 s9, exec_lo
	s_delay_alu instid0(VALU_DEP_3) | instskip(SKIP_1) | instid1(VALU_DEP_1)
	v_cmp_lt_i16_e64 s7, -1, v19
	s_wait_alu 0xf1ff
	v_cndmask_b32_e64 v24, -1, 0xffff8000, s7
	v_cmp_lt_i16_e64 s7, -1, v20
	s_delay_alu instid0(VALU_DEP_2) | instskip(SKIP_1) | instid1(VALU_DEP_2)
	v_xor_b32_e32 v19, v24, v19
	s_wait_alu 0xf1ff
	v_cndmask_b32_e64 v25, -1, 0xffff8000, s7
	s_delay_alu instid0(VALU_DEP_1) | instskip(SKIP_1) | instid1(VALU_DEP_2)
	v_xor_b32_e32 v20, v25, v20
	v_dual_mov_b32 v26, v16 :: v_dual_mov_b32 v25, v15
	v_cmpx_gt_u16_e64 v19, v20
; %bb.75:
	v_dual_mov_b32 v26, v22 :: v_dual_mov_b32 v25, v21
	v_dual_mov_b32 v22, v16 :: v_dual_mov_b32 v21, v15
	v_mov_b32_e32 v31, v37
	v_mov_b32_e32 v37, v51
; %bb.76:
	s_wait_alu 0xfffe
	s_or_b32 exec_lo, exec_lo, s9
	v_add_f16_e32 v15, 0, v50
	v_add_f16_e32 v16, 0, v39
	v_mov_b32_e32 v48, v50
	s_delay_alu instid0(VALU_DEP_3) | instskip(SKIP_1) | instid1(VALU_DEP_1)
	v_cmp_lt_i16_e64 s7, -1, v15
	s_wait_alu 0xf1ff
	v_cndmask_b32_e64 v19, -1, 0xffff8000, s7
	v_cmp_lt_i16_e64 s7, -1, v16
	s_delay_alu instid0(VALU_DEP_2) | instskip(SKIP_1) | instid1(VALU_DEP_2)
	v_xor_b32_e32 v15, v19, v15
	s_wait_alu 0xf1ff
	v_cndmask_b32_e64 v20, -1, 0xffff8000, s7
	s_delay_alu instid0(VALU_DEP_1) | instskip(NEXT) | instid1(VALU_DEP_1)
	v_xor_b32_e32 v16, v20, v16
	v_cmp_gt_u16_e64 s7, v15, v16
	v_dual_mov_b32 v15, v27 :: v_dual_mov_b32 v16, v28
	s_and_saveexec_b32 s9, s7
; %bb.77:
	v_dual_mov_b32 v48, v39 :: v_dual_mov_b32 v39, v50
	v_dual_mov_b32 v16, v9 :: v_dual_mov_b32 v15, v8
	;; [unrolled: 1-line block ×3, first 2 shown]
; %bb.78:
	s_wait_alu 0xfffe
	s_or_b32 exec_lo, exec_lo, s9
	v_add_f16_e32 v19, 0, v49
	v_add_f16_e32 v20, 0, v23
	v_mov_b32_e32 v51, v23
	s_delay_alu instid0(VALU_DEP_3) | instskip(SKIP_1) | instid1(VALU_DEP_1)
	v_cmp_lt_i16_e64 s7, -1, v19
	s_wait_alu 0xf1ff
	v_cndmask_b32_e64 v24, -1, 0xffff8000, s7
	v_cmp_lt_i16_e64 s7, -1, v20
	s_delay_alu instid0(VALU_DEP_2) | instskip(SKIP_1) | instid1(VALU_DEP_2)
	v_xor_b32_e32 v19, v24, v19
	s_wait_alu 0xf1ff
	v_cndmask_b32_e64 v27, -1, 0xffff8000, s7
	s_delay_alu instid0(VALU_DEP_1) | instskip(NEXT) | instid1(VALU_DEP_1)
	v_xor_b32_e32 v20, v27, v20
	v_cmp_gt_u16_e64 s7, v19, v20
	v_dual_mov_b32 v20, v14 :: v_dual_mov_b32 v19, v13
	s_and_saveexec_b32 s9, s7
; %bb.79:
	v_dual_mov_b32 v51, v49 :: v_dual_mov_b32 v20, v18
	v_dual_mov_b32 v19, v17 :: v_dual_mov_b32 v18, v14
	v_mov_b32_e32 v17, v13
	v_mov_b32_e32 v49, v23
; %bb.80:
	s_wait_alu 0xfffe
	s_or_b32 exec_lo, exec_lo, s9
	v_add_f16_e32 v13, 0, v31
	v_add_f16_e32 v14, 0, v38
	v_mov_b32_e32 v50, v31
	s_mov_b32 s9, exec_lo
	s_delay_alu instid0(VALU_DEP_3) | instskip(SKIP_1) | instid1(VALU_DEP_1)
	v_cmp_lt_i16_e64 s7, -1, v13
	s_wait_alu 0xf1ff
	v_cndmask_b32_e64 v23, -1, 0xffff8000, s7
	v_cmp_lt_i16_e64 s7, -1, v14
	s_delay_alu instid0(VALU_DEP_2) | instskip(SKIP_1) | instid1(VALU_DEP_2)
	v_xor_b32_e32 v13, v23, v13
	s_wait_alu 0xf1ff
	v_cndmask_b32_e64 v24, -1, 0xffff8000, s7
	s_delay_alu instid0(VALU_DEP_1) | instskip(SKIP_1) | instid1(VALU_DEP_2)
	v_xor_b32_e32 v14, v24, v14
	v_dual_mov_b32 v23, v29 :: v_dual_mov_b32 v24, v30
	v_cmpx_gt_u16_e64 v13, v14
; %bb.81:
	v_mov_b32_e32 v24, v22
	v_dual_mov_b32 v50, v38 :: v_dual_mov_b32 v23, v21
	v_dual_mov_b32 v38, v31 :: v_dual_mov_b32 v21, v29
	v_mov_b32_e32 v22, v30
; %bb.82:
	s_wait_alu 0xfffe
	s_or_b32 exec_lo, exec_lo, s9
.LBB1754_83:
	s_wait_alu 0xfffe
	s_or_b32 exec_lo, exec_lo, s8
	v_and_b32_e32 v13, 0xffffff00, v10
	v_or_b32_e32 v27, 8, v35
	v_and_b32_e32 v30, 8, v35
	v_and_b32_e32 v31, 0xf0, v35
	s_mov_b32 s8, exec_lo
	v_sub_nc_u32_e64 v28, 0x800, v13 clamp
	v_lshlrev_b32_e32 v10, 1, v13
	s_delay_alu instid0(VALU_DEP_2) | instskip(SKIP_1) | instid1(VALU_DEP_3)
	v_min_u32_e32 v29, v28, v27
	v_min_u32_e32 v54, v28, v30
	v_mad_co_u64_u32 v[13:14], null, v13, 6, v[10:11]
	v_lshl_or_b32 v14, v35, 1, v10
	s_delay_alu instid0(VALU_DEP_4)
	v_add_nc_u32_e32 v52, 8, v29
	v_sub_nc_u32_e32 v53, v29, v31
	s_wait_loadcnt_dscnt 0x0
	ds_store_b16 v14, v36
	v_min_u32_e32 v30, v28, v52
	v_lshl_add_u32 v27, v35, 3, v13
	v_min_u32_e32 v55, v54, v53
	v_lshl_or_b32 v53, v31, 1, v10
	ds_store_b64 v27, v[4:5] offset:4096
	ds_store_b16 v14, v39 offset:2
	ds_store_b64 v27, v[8:9] offset:4104
	ds_store_b16 v14, v48 offset:4
	;; [unrolled: 2-line block ×3, first 2 shown]
	v_sub_nc_u32_e32 v52, v30, v29
	ds_store_b64 v27, v[17:18] offset:4120
	ds_store_b16 v14, v49 offset:8
	ds_store_b64 v27, v[19:20] offset:4128
	ds_store_b16 v14, v38 offset:10
	;; [unrolled: 2-line block ×4, first 2 shown]
	ds_store_b64 v27, v[25:26] offset:4152
	v_sub_nc_u32_e64 v52, v54, v52 clamp
	; wave barrier
	s_delay_alu instid0(VALU_DEP_1)
	v_cmpx_lt_u32_e64 v52, v55
	s_cbranch_execz .LBB1754_87
; %bb.84:
	v_lshlrev_b32_e32 v64, 1, v29
	v_lshlrev_b32_e32 v65, 1, v54
	s_mov_b32 s9, 0
	s_delay_alu instid0(VALU_DEP_1)
	v_add3_u32 v64, v10, v64, v65
.LBB1754_85:                            ; =>This Inner Loop Header: Depth=1
	v_add_nc_u32_e32 v65, v55, v52
	s_delay_alu instid0(VALU_DEP_1) | instskip(SKIP_1) | instid1(VALU_DEP_2)
	v_lshrrev_b32_e32 v66, 1, v65
	v_and_b32_e32 v65, -2, v65
	v_not_b32_e32 v67, v66
	s_delay_alu instid0(VALU_DEP_2) | instskip(NEXT) | instid1(VALU_DEP_2)
	v_add_nc_u32_e32 v65, v53, v65
	v_lshl_add_u32 v67, v67, 1, v64
	ds_load_u16 v65, v65
	ds_load_u16 v67, v67
	s_wait_dscnt 0x1
	v_add_f16_e32 v65, 0, v65
	s_wait_dscnt 0x0
	v_add_f16_e32 v67, 0, v67
	s_delay_alu instid0(VALU_DEP_2) | instskip(SKIP_1) | instid1(VALU_DEP_1)
	v_cmp_lt_i16_e64 s7, -1, v65
	s_wait_alu 0xf1ff
	v_cndmask_b32_e64 v68, -1, 0xffff8000, s7
	s_delay_alu instid0(VALU_DEP_3) | instskip(NEXT) | instid1(VALU_DEP_2)
	v_cmp_lt_i16_e64 s7, -1, v67
	v_xor_b32_e32 v65, v68, v65
	s_wait_alu 0xf1ff
	s_delay_alu instid0(VALU_DEP_2) | instskip(SKIP_1) | instid1(VALU_DEP_2)
	v_cndmask_b32_e64 v69, -1, 0xffff8000, s7
	v_add_nc_u32_e32 v68, 1, v66
	v_xor_b32_e32 v67, v69, v67
	s_delay_alu instid0(VALU_DEP_1) | instskip(SKIP_1) | instid1(VALU_DEP_1)
	v_cmp_gt_u16_e64 s7, v67, v65
	s_wait_alu 0xf1ff
	v_cndmask_b32_e64 v55, v55, v66, s7
	v_cndmask_b32_e64 v52, v68, v52, s7
	s_delay_alu instid0(VALU_DEP_1)
	v_cmp_ge_u32_e64 s7, v52, v55
	s_wait_alu 0xfffe
	s_or_b32 s9, s7, s9
	s_wait_alu 0xfffe
	s_and_not1_b32 exec_lo, exec_lo, s9
	s_cbranch_execnz .LBB1754_85
; %bb.86:
	s_or_b32 exec_lo, exec_lo, s9
.LBB1754_87:
	s_wait_alu 0xfffe
	s_or_b32 exec_lo, exec_lo, s8
	v_add_nc_u32_e32 v55, v29, v54
	v_add_nc_u32_e32 v54, v52, v31
	s_delay_alu instid0(VALU_DEP_2) | instskip(NEXT) | instid1(VALU_DEP_2)
	v_sub_nc_u32_e32 v55, v55, v52
	v_cmp_le_u32_e64 s7, v54, v29
	s_delay_alu instid0(VALU_DEP_2)
	v_cmp_le_u32_e64 s8, v55, v30
	s_or_b32 s7, s7, s8
	s_wait_alu 0xfffe
	s_and_saveexec_b32 s9, s7
	s_cbranch_execz .LBB1754_123
; %bb.88:
	v_cmp_ge_u32_e64 s7, v54, v29
	s_mov_b32 s10, exec_lo
                                        ; implicit-def: $vgpr31
	v_cmpx_lt_u32_e64 v54, v29
; %bb.89:
	v_lshl_add_u32 v4, v52, 1, v53
	ds_load_u16 v31, v4
; %bb.90:
	s_wait_alu 0xfffe
	s_or_b32 exec_lo, exec_lo, s10
	v_cmp_ge_u32_e64 s10, v55, v30
	s_mov_b32 s11, exec_lo
                                        ; implicit-def: $vgpr36
	v_cmpx_lt_u32_e64 v55, v30
; %bb.91:
	v_lshl_add_u32 v4, v55, 1, v10
	ds_load_u16 v36, v4
; %bb.92:
	s_wait_alu 0xfffe
	s_or_b32 exec_lo, exec_lo, s11
	s_nor_b32 s7, s7, s10
	s_wait_alu 0xfffe
	s_and_saveexec_b32 s8, s7
	s_cbranch_execz .LBB1754_94
; %bb.93:
	s_wait_dscnt 0x0
	v_add_f16_e32 v4, 0, v36
	v_add_f16_e32 v5, 0, v31
	s_and_not1_b32 s10, s10, exec_lo
	s_delay_alu instid0(VALU_DEP_2) | instskip(SKIP_1) | instid1(VALU_DEP_1)
	v_cmp_lt_i16_e64 s7, -1, v4
	s_wait_alu 0xf1ff
	v_cndmask_b32_e64 v8, -1, 0xffff8000, s7
	v_cmp_lt_i16_e64 s7, -1, v5
	s_delay_alu instid0(VALU_DEP_2) | instskip(SKIP_1) | instid1(VALU_DEP_2)
	v_xor_b32_e32 v4, v8, v4
	s_wait_alu 0xf1ff
	v_cndmask_b32_e64 v9, -1, 0xffff8000, s7
	s_delay_alu instid0(VALU_DEP_1) | instskip(NEXT) | instid1(VALU_DEP_1)
	v_xor_b32_e32 v5, v9, v5
	v_cmp_le_u16_e64 s7, v4, v5
	s_and_b32 s7, s7, exec_lo
	s_wait_alu 0xfffe
	s_or_b32 s10, s10, s7
.LBB1754_94:
	s_wait_alu 0xfffe
	s_or_b32 exec_lo, exec_lo, s8
	v_cndmask_b32_e64 v4, v55, v54, s10
	v_cndmask_b32_e64 v5, v30, v29, s10
	s_mov_b32 s11, -1
	s_mov_b32 s8, -1
	s_mov_b32 s12, exec_lo
	v_add_nc_u32_e32 v8, 1, v4
	v_add_nc_u32_e32 v5, -1, v5
	v_lshl_add_u32 v4, v4, 3, v13
	s_delay_alu instid0(VALU_DEP_3) | instskip(NEXT) | instid1(VALU_DEP_3)
	v_cndmask_b32_e64 v15, v8, v55, s10
	v_min_u32_e32 v5, v8, v5
	v_cndmask_b32_e64 v16, v54, v8, s10
	s_delay_alu instid0(VALU_DEP_2)
	v_lshl_add_u32 v5, v5, 1, v10
	ds_load_u16 v9, v5
	ds_load_b64 v[4:5], v4 offset:4096
	s_wait_dscnt 0x1
	v_cndmask_b32_e64 v37, v9, v36, s10
	v_cndmask_b32_e64 v39, v31, v9, s10
	v_cmpx_lt_u32_e64 v15, v30
	s_cbranch_execz .LBB1754_98
; %bb.95:
	s_mov_b32 s13, 0
	s_mov_b32 s8, exec_lo
	v_cmpx_lt_u32_e64 v16, v29
	s_cbranch_execz .LBB1754_97
; %bb.96:
	v_add_f16_e32 v8, 0, v37
	v_add_f16_e32 v9, 0, v39
	s_delay_alu instid0(VALU_DEP_2) | instskip(SKIP_1) | instid1(VALU_DEP_1)
	v_cmp_lt_i16_e64 s7, -1, v8
	s_wait_alu 0xf1ff
	v_cndmask_b32_e64 v17, -1, 0xffff8000, s7
	s_delay_alu instid0(VALU_DEP_3) | instskip(NEXT) | instid1(VALU_DEP_2)
	v_cmp_lt_i16_e64 s7, -1, v9
	v_xor_b32_e32 v8, v17, v8
	s_wait_alu 0xf1ff
	s_delay_alu instid0(VALU_DEP_2) | instskip(NEXT) | instid1(VALU_DEP_1)
	v_cndmask_b32_e64 v18, -1, 0xffff8000, s7
	v_xor_b32_e32 v9, v18, v9
	s_delay_alu instid0(VALU_DEP_1)
	v_cmp_le_u16_e64 s7, v8, v9
	s_and_b32 s13, s7, exec_lo
.LBB1754_97:
	s_wait_alu 0xfffe
	s_or_b32 exec_lo, exec_lo, s8
	s_delay_alu instid0(SALU_CYCLE_1)
	s_or_not1_b32 s8, s13, exec_lo
.LBB1754_98:
	s_wait_alu 0xfffe
	s_or_b32 exec_lo, exec_lo, s12
	v_cndmask_b32_e64 v8, v15, v16, s8
	v_cndmask_b32_e64 v9, v30, v29, s8
	s_mov_b32 s12, exec_lo
	s_delay_alu instid0(VALU_DEP_2) | instskip(NEXT) | instid1(VALU_DEP_2)
	v_add_nc_u32_e32 v18, 1, v8
	v_add_nc_u32_e32 v9, -1, v9
	v_lshl_add_u32 v8, v8, 3, v13
	s_delay_alu instid0(VALU_DEP_3) | instskip(NEXT) | instid1(VALU_DEP_3)
	v_cndmask_b32_e64 v17, v18, v15, s8
	v_min_u32_e32 v9, v18, v9
	v_cndmask_b32_e64 v18, v16, v18, s8
	s_delay_alu instid0(VALU_DEP_2)
	v_lshl_add_u32 v9, v9, 1, v10
	ds_load_u16 v19, v9
	ds_load_b64 v[8:9], v8 offset:4096
	s_wait_dscnt 0x1
	v_cndmask_b32_e64 v48, v19, v37, s8
	v_cndmask_b32_e64 v52, v39, v19, s8
	v_cmpx_lt_u32_e64 v17, v30
	s_cbranch_execz .LBB1754_102
; %bb.99:
	s_mov_b32 s13, 0
	s_mov_b32 s11, exec_lo
	v_cmpx_lt_u32_e64 v18, v29
	s_cbranch_execz .LBB1754_101
; %bb.100:
	v_add_f16_e32 v15, 0, v48
	v_add_f16_e32 v16, 0, v52
	s_delay_alu instid0(VALU_DEP_2) | instskip(SKIP_1) | instid1(VALU_DEP_1)
	v_cmp_lt_i16_e64 s7, -1, v15
	s_wait_alu 0xf1ff
	v_cndmask_b32_e64 v19, -1, 0xffff8000, s7
	s_delay_alu instid0(VALU_DEP_3) | instskip(NEXT) | instid1(VALU_DEP_2)
	v_cmp_lt_i16_e64 s7, -1, v16
	v_xor_b32_e32 v15, v19, v15
	s_wait_alu 0xf1ff
	s_delay_alu instid0(VALU_DEP_2) | instskip(NEXT) | instid1(VALU_DEP_1)
	v_cndmask_b32_e64 v20, -1, 0xffff8000, s7
	v_xor_b32_e32 v16, v20, v16
	s_delay_alu instid0(VALU_DEP_1)
	v_cmp_le_u16_e64 s7, v15, v16
	s_and_b32 s13, s7, exec_lo
.LBB1754_101:
	s_wait_alu 0xfffe
	s_or_b32 exec_lo, exec_lo, s11
	s_delay_alu instid0(SALU_CYCLE_1)
	s_or_not1_b32 s11, s13, exec_lo
.LBB1754_102:
	s_wait_alu 0xfffe
	s_or_b32 exec_lo, exec_lo, s12
	v_cndmask_b32_e64 v15, v17, v18, s11
	v_cndmask_b32_e64 v16, v30, v29, s11
	s_mov_b32 s13, -1
	s_mov_b32 s12, -1
	s_mov_b32 s14, exec_lo
	v_add_nc_u32_e32 v20, 1, v15
	v_add_nc_u32_e32 v16, -1, v16
	v_lshl_add_u32 v15, v15, 3, v13
	s_delay_alu instid0(VALU_DEP_3) | instskip(NEXT) | instid1(VALU_DEP_3)
	v_cndmask_b32_e64 v19, v20, v17, s11
	v_min_u32_e32 v16, v20, v16
	v_cndmask_b32_e64 v20, v18, v20, s11
	s_delay_alu instid0(VALU_DEP_2)
	v_lshl_add_u32 v16, v16, 1, v10
	ds_load_u16 v21, v16
	ds_load_b64 v[15:16], v15 offset:4096
	s_wait_dscnt 0x1
	v_cndmask_b32_e64 v51, v21, v48, s11
	v_cndmask_b32_e64 v53, v52, v21, s11
	v_cmpx_lt_u32_e64 v19, v30
	s_cbranch_execz .LBB1754_106
; %bb.103:
	s_mov_b32 s15, 0
	s_mov_b32 s12, exec_lo
	v_cmpx_lt_u32_e64 v20, v29
	s_cbranch_execz .LBB1754_105
; %bb.104:
	v_add_f16_e32 v17, 0, v51
	v_add_f16_e32 v18, 0, v53
	s_delay_alu instid0(VALU_DEP_2) | instskip(SKIP_1) | instid1(VALU_DEP_1)
	v_cmp_lt_i16_e64 s7, -1, v17
	s_wait_alu 0xf1ff
	v_cndmask_b32_e64 v21, -1, 0xffff8000, s7
	s_delay_alu instid0(VALU_DEP_3) | instskip(NEXT) | instid1(VALU_DEP_2)
	v_cmp_lt_i16_e64 s7, -1, v18
	v_xor_b32_e32 v17, v21, v17
	s_wait_alu 0xf1ff
	s_delay_alu instid0(VALU_DEP_2) | instskip(NEXT) | instid1(VALU_DEP_1)
	v_cndmask_b32_e64 v22, -1, 0xffff8000, s7
	v_xor_b32_e32 v18, v22, v18
	s_delay_alu instid0(VALU_DEP_1)
	v_cmp_le_u16_e64 s7, v17, v18
	s_and_b32 s15, s7, exec_lo
.LBB1754_105:
	s_wait_alu 0xfffe
	s_or_b32 exec_lo, exec_lo, s12
	s_delay_alu instid0(SALU_CYCLE_1)
	s_or_not1_b32 s12, s15, exec_lo
.LBB1754_106:
	s_wait_alu 0xfffe
	s_or_b32 exec_lo, exec_lo, s14
	v_cndmask_b32_e64 v17, v19, v20, s12
	v_cndmask_b32_e64 v18, v30, v29, s12
	s_mov_b32 s14, exec_lo
	s_delay_alu instid0(VALU_DEP_2) | instskip(NEXT) | instid1(VALU_DEP_2)
	v_add_nc_u32_e32 v22, 1, v17
	v_add_nc_u32_e32 v18, -1, v18
	v_lshl_add_u32 v17, v17, 3, v13
	s_delay_alu instid0(VALU_DEP_3) | instskip(NEXT) | instid1(VALU_DEP_3)
	v_cndmask_b32_e64 v21, v22, v19, s12
	v_min_u32_e32 v18, v22, v18
	v_cndmask_b32_e64 v22, v20, v22, s12
	s_delay_alu instid0(VALU_DEP_2)
	v_lshl_add_u32 v18, v18, 1, v10
	ds_load_u16 v23, v18
	ds_load_b64 v[17:18], v17 offset:4096
	s_wait_dscnt 0x1
	v_cndmask_b32_e64 v49, v23, v51, s12
	v_cndmask_b32_e64 v54, v53, v23, s12
	v_cmpx_lt_u32_e64 v21, v30
	s_cbranch_execz .LBB1754_110
; %bb.107:
	s_mov_b32 s15, 0
	s_mov_b32 s13, exec_lo
	v_cmpx_lt_u32_e64 v22, v29
	s_cbranch_execz .LBB1754_109
; %bb.108:
	v_add_f16_e32 v19, 0, v49
	v_add_f16_e32 v20, 0, v54
	s_delay_alu instid0(VALU_DEP_2) | instskip(SKIP_1) | instid1(VALU_DEP_1)
	v_cmp_lt_i16_e64 s7, -1, v19
	s_wait_alu 0xf1ff
	v_cndmask_b32_e64 v23, -1, 0xffff8000, s7
	s_delay_alu instid0(VALU_DEP_3) | instskip(NEXT) | instid1(VALU_DEP_2)
	v_cmp_lt_i16_e64 s7, -1, v20
	v_xor_b32_e32 v19, v23, v19
	s_wait_alu 0xf1ff
	s_delay_alu instid0(VALU_DEP_2) | instskip(NEXT) | instid1(VALU_DEP_1)
	v_cndmask_b32_e64 v24, -1, 0xffff8000, s7
	v_xor_b32_e32 v20, v24, v20
	s_delay_alu instid0(VALU_DEP_1)
	v_cmp_le_u16_e64 s7, v19, v20
	s_and_b32 s15, s7, exec_lo
.LBB1754_109:
	s_wait_alu 0xfffe
	s_or_b32 exec_lo, exec_lo, s13
	s_delay_alu instid0(SALU_CYCLE_1)
	s_or_not1_b32 s13, s15, exec_lo
.LBB1754_110:
	s_wait_alu 0xfffe
	s_or_b32 exec_lo, exec_lo, s14
	v_cndmask_b32_e64 v19, v21, v22, s13
	v_cndmask_b32_e64 v20, v30, v29, s13
	s_mov_b32 s15, -1
	s_mov_b32 s14, -1
	s_mov_b32 s16, exec_lo
	v_add_nc_u32_e32 v23, 1, v19
	v_add_nc_u32_e32 v20, -1, v20
	v_lshl_add_u32 v19, v19, 3, v13
	s_delay_alu instid0(VALU_DEP_3) | instskip(NEXT) | instid1(VALU_DEP_3)
	v_cndmask_b32_e64 v21, v23, v21, s13
	v_min_u32_e32 v20, v23, v20
	v_cndmask_b32_e64 v22, v22, v23, s13
	s_delay_alu instid0(VALU_DEP_2)
	v_lshl_add_u32 v20, v20, 1, v10
	ds_load_u16 v24, v20
	ds_load_b64 v[19:20], v19 offset:4096
	s_wait_dscnt 0x1
	v_cndmask_b32_e64 v38, v24, v49, s13
	v_cndmask_b32_e64 v55, v54, v24, s13
	v_cmpx_lt_u32_e64 v21, v30
	s_cbranch_execz .LBB1754_114
; %bb.111:
	s_mov_b32 s17, 0
	s_mov_b32 s14, exec_lo
	v_cmpx_lt_u32_e64 v22, v29
	s_cbranch_execz .LBB1754_113
; %bb.112:
	v_add_f16_e32 v23, 0, v38
	v_add_f16_e32 v24, 0, v55
	s_delay_alu instid0(VALU_DEP_2) | instskip(SKIP_1) | instid1(VALU_DEP_1)
	v_cmp_lt_i16_e64 s7, -1, v23
	s_wait_alu 0xf1ff
	v_cndmask_b32_e64 v25, -1, 0xffff8000, s7
	s_delay_alu instid0(VALU_DEP_3) | instskip(NEXT) | instid1(VALU_DEP_2)
	v_cmp_lt_i16_e64 s7, -1, v24
	v_xor_b32_e32 v23, v25, v23
	s_wait_alu 0xf1ff
	s_delay_alu instid0(VALU_DEP_2) | instskip(NEXT) | instid1(VALU_DEP_1)
	v_cndmask_b32_e64 v26, -1, 0xffff8000, s7
	v_xor_b32_e32 v24, v26, v24
	s_delay_alu instid0(VALU_DEP_1)
	v_cmp_le_u16_e64 s7, v23, v24
	s_and_b32 s17, s7, exec_lo
.LBB1754_113:
	s_wait_alu 0xfffe
	s_or_b32 exec_lo, exec_lo, s14
	s_delay_alu instid0(SALU_CYCLE_1)
	s_or_not1_b32 s14, s17, exec_lo
.LBB1754_114:
	s_wait_alu 0xfffe
	s_or_b32 exec_lo, exec_lo, s16
	v_cndmask_b32_e64 v23, v21, v22, s14
	v_cndmask_b32_e64 v24, v30, v29, s14
	s_mov_b32 s16, exec_lo
	s_delay_alu instid0(VALU_DEP_2) | instskip(NEXT) | instid1(VALU_DEP_2)
	v_add_nc_u32_e32 v26, 1, v23
	v_add_nc_u32_e32 v24, -1, v24
	v_lshl_add_u32 v23, v23, 3, v13
	s_delay_alu instid0(VALU_DEP_3) | instskip(NEXT) | instid1(VALU_DEP_3)
	v_cndmask_b32_e64 v25, v26, v21, s14
	v_min_u32_e32 v24, v26, v24
	v_cndmask_b32_e64 v26, v22, v26, s14
	s_delay_alu instid0(VALU_DEP_2)
	v_lshl_add_u32 v24, v24, 1, v10
	ds_load_u16 v64, v24
	ds_load_b64 v[23:24], v23 offset:4096
	s_wait_dscnt 0x1
	v_cndmask_b32_e64 v50, v64, v38, s14
	v_cndmask_b32_e64 v64, v55, v64, s14
	v_cmpx_lt_u32_e64 v25, v30
	s_cbranch_execz .LBB1754_118
; %bb.115:
	s_mov_b32 s17, 0
	s_mov_b32 s15, exec_lo
	v_cmpx_lt_u32_e64 v26, v29
	s_cbranch_execz .LBB1754_117
; %bb.116:
	v_add_f16_e32 v21, 0, v50
	v_add_f16_e32 v22, 0, v64
	s_delay_alu instid0(VALU_DEP_2) | instskip(SKIP_1) | instid1(VALU_DEP_1)
	v_cmp_lt_i16_e64 s7, -1, v21
	s_wait_alu 0xf1ff
	v_cndmask_b32_e64 v65, -1, 0xffff8000, s7
	s_delay_alu instid0(VALU_DEP_3) | instskip(NEXT) | instid1(VALU_DEP_2)
	v_cmp_lt_i16_e64 s7, -1, v22
	v_xor_b32_e32 v21, v65, v21
	s_wait_alu 0xf1ff
	s_delay_alu instid0(VALU_DEP_2) | instskip(NEXT) | instid1(VALU_DEP_1)
	v_cndmask_b32_e64 v66, -1, 0xffff8000, s7
	v_xor_b32_e32 v22, v66, v22
	s_delay_alu instid0(VALU_DEP_1)
	v_cmp_le_u16_e64 s7, v21, v22
	s_and_b32 s17, s7, exec_lo
.LBB1754_117:
	s_wait_alu 0xfffe
	s_or_b32 exec_lo, exec_lo, s15
	s_delay_alu instid0(SALU_CYCLE_1)
	s_or_not1_b32 s15, s17, exec_lo
.LBB1754_118:
	s_wait_alu 0xfffe
	s_or_b32 exec_lo, exec_lo, s16
	v_cndmask_b32_e64 v21, v25, v26, s15
	v_cndmask_b32_e64 v22, v30, v29, s15
	s_mov_b32 s17, -1
	s_mov_b32 s16, exec_lo
	s_delay_alu instid0(VALU_DEP_2) | instskip(NEXT) | instid1(VALU_DEP_2)
	v_add_nc_u32_e32 v65, 1, v21
	v_add_nc_u32_e32 v22, -1, v22
	v_lshl_add_u32 v21, v21, 3, v13
	s_delay_alu instid0(VALU_DEP_3) | instskip(NEXT) | instid1(VALU_DEP_3)
	v_cndmask_b32_e64 v25, v65, v25, s15
	v_min_u32_e32 v22, v65, v22
	v_cndmask_b32_e64 v26, v26, v65, s15
	s_delay_alu instid0(VALU_DEP_2)
	v_lshl_add_u32 v22, v22, 1, v10
	ds_load_u16 v66, v22
	ds_load_b64 v[21:22], v21 offset:4096
	s_wait_dscnt 0x1
	v_cndmask_b32_e64 v65, v66, v50, s15
	v_cndmask_b32_e64 v66, v64, v66, s15
	v_cmpx_lt_u32_e64 v25, v30
	s_cbranch_execz .LBB1754_122
; %bb.119:
	s_mov_b32 s18, 0
	s_mov_b32 s17, exec_lo
	v_cmpx_lt_u32_e64 v26, v29
	s_cbranch_execz .LBB1754_121
; %bb.120:
	v_add_f16_e32 v29, 0, v65
	v_add_f16_e32 v30, 0, v66
	s_delay_alu instid0(VALU_DEP_2) | instskip(SKIP_1) | instid1(VALU_DEP_1)
	v_cmp_lt_i16_e64 s7, -1, v29
	s_wait_alu 0xf1ff
	v_cndmask_b32_e64 v67, -1, 0xffff8000, s7
	s_delay_alu instid0(VALU_DEP_3) | instskip(NEXT) | instid1(VALU_DEP_2)
	v_cmp_lt_i16_e64 s7, -1, v30
	v_xor_b32_e32 v29, v67, v29
	s_wait_alu 0xf1ff
	s_delay_alu instid0(VALU_DEP_2) | instskip(NEXT) | instid1(VALU_DEP_1)
	v_cndmask_b32_e64 v68, -1, 0xffff8000, s7
	v_xor_b32_e32 v30, v68, v30
	s_delay_alu instid0(VALU_DEP_1)
	v_cmp_le_u16_e64 s7, v29, v30
	s_and_b32 s18, s7, exec_lo
.LBB1754_121:
	s_wait_alu 0xfffe
	s_or_b32 exec_lo, exec_lo, s17
	s_delay_alu instid0(SALU_CYCLE_1)
	s_or_not1_b32 s17, s18, exec_lo
.LBB1754_122:
	s_wait_alu 0xfffe
	s_or_b32 exec_lo, exec_lo, s16
	v_cndmask_b32_e64 v25, v25, v26, s17
	v_cndmask_b32_e64 v50, v50, v64, s15
	;; [unrolled: 1-line block ×5, first 2 shown]
	v_lshl_add_u32 v25, v25, 3, v13
	v_cndmask_b32_e64 v48, v48, v52, s11
	v_cndmask_b32_e64 v39, v37, v39, s8
	;; [unrolled: 1-line block ×4, first 2 shown]
	ds_load_b64 v[25:26], v25 offset:4096
.LBB1754_123:
	s_wait_alu 0xfffe
	s_or_b32 exec_lo, exec_lo, s9
	v_and_b32_e32 v31, 0xe0, v35
	v_and_b32_e32 v52, 24, v35
	s_mov_b32 s8, exec_lo
	; wave barrier
	s_delay_alu instid0(VALU_DEP_2) | instskip(NEXT) | instid1(VALU_DEP_2)
	v_or_b32_e32 v29, 16, v31
	v_min_u32_e32 v54, v28, v52
	ds_store_b16 v14, v36
	ds_store_b64 v27, v[4:5] offset:4096
	ds_store_b16 v14, v39 offset:2
	ds_store_b64 v27, v[8:9] offset:4104
	ds_store_b16 v14, v48 offset:4
	;; [unrolled: 2-line block ×3, first 2 shown]
	ds_store_b64 v27, v[17:18] offset:4120
	v_min_u32_e32 v29, v28, v29
	ds_store_b16 v14, v49 offset:8
	ds_store_b64 v27, v[19:20] offset:4128
	ds_store_b16 v14, v38 offset:10
	ds_store_b64 v27, v[23:24] offset:4136
	ds_store_b16 v14, v50 offset:12
	s_wait_dscnt 0xe
	ds_store_b64 v27, v[21:22] offset:4144
	ds_store_b16 v14, v37 offset:14
	s_wait_dscnt 0xf
	ds_store_b64 v27, v[25:26] offset:4152
	v_add_nc_u32_e32 v30, 16, v29
	v_sub_nc_u32_e32 v53, v29, v31
	; wave barrier
	s_delay_alu instid0(VALU_DEP_2) | instskip(NEXT) | instid1(VALU_DEP_2)
	v_min_u32_e32 v30, v28, v30
	v_min_u32_e32 v55, v54, v53
	v_lshl_add_u32 v53, v31, 1, v10
	s_delay_alu instid0(VALU_DEP_3) | instskip(NEXT) | instid1(VALU_DEP_1)
	v_sub_nc_u32_e32 v52, v30, v29
	v_sub_nc_u32_e64 v52, v54, v52 clamp
	s_delay_alu instid0(VALU_DEP_1)
	v_cmpx_lt_u32_e64 v52, v55
	s_cbranch_execz .LBB1754_127
; %bb.124:
	v_lshlrev_b32_e32 v64, 1, v29
	v_lshlrev_b32_e32 v65, 1, v54
	s_mov_b32 s9, 0
	s_delay_alu instid0(VALU_DEP_1)
	v_add3_u32 v64, v10, v64, v65
.LBB1754_125:                           ; =>This Inner Loop Header: Depth=1
	v_add_nc_u32_e32 v65, v55, v52
	s_delay_alu instid0(VALU_DEP_1) | instskip(SKIP_1) | instid1(VALU_DEP_2)
	v_lshrrev_b32_e32 v66, 1, v65
	v_and_b32_e32 v65, -2, v65
	v_not_b32_e32 v67, v66
	s_delay_alu instid0(VALU_DEP_2) | instskip(NEXT) | instid1(VALU_DEP_2)
	v_add_nc_u32_e32 v65, v53, v65
	v_lshl_add_u32 v67, v67, 1, v64
	ds_load_u16 v65, v65
	ds_load_u16 v67, v67
	s_wait_dscnt 0x1
	v_add_f16_e32 v65, 0, v65
	s_wait_dscnt 0x0
	v_add_f16_e32 v67, 0, v67
	s_delay_alu instid0(VALU_DEP_2) | instskip(SKIP_1) | instid1(VALU_DEP_1)
	v_cmp_lt_i16_e64 s7, -1, v65
	s_wait_alu 0xf1ff
	v_cndmask_b32_e64 v68, -1, 0xffff8000, s7
	s_delay_alu instid0(VALU_DEP_3) | instskip(NEXT) | instid1(VALU_DEP_2)
	v_cmp_lt_i16_e64 s7, -1, v67
	v_xor_b32_e32 v65, v68, v65
	s_wait_alu 0xf1ff
	s_delay_alu instid0(VALU_DEP_2) | instskip(SKIP_1) | instid1(VALU_DEP_2)
	v_cndmask_b32_e64 v69, -1, 0xffff8000, s7
	v_add_nc_u32_e32 v68, 1, v66
	v_xor_b32_e32 v67, v69, v67
	s_delay_alu instid0(VALU_DEP_1) | instskip(SKIP_1) | instid1(VALU_DEP_1)
	v_cmp_gt_u16_e64 s7, v67, v65
	s_wait_alu 0xf1ff
	v_cndmask_b32_e64 v55, v55, v66, s7
	v_cndmask_b32_e64 v52, v68, v52, s7
	s_delay_alu instid0(VALU_DEP_1)
	v_cmp_ge_u32_e64 s7, v52, v55
	s_wait_alu 0xfffe
	s_or_b32 s9, s7, s9
	s_wait_alu 0xfffe
	s_and_not1_b32 exec_lo, exec_lo, s9
	s_cbranch_execnz .LBB1754_125
; %bb.126:
	s_or_b32 exec_lo, exec_lo, s9
.LBB1754_127:
	s_wait_alu 0xfffe
	s_or_b32 exec_lo, exec_lo, s8
	v_add_nc_u32_e32 v55, v29, v54
	v_add_nc_u32_e32 v54, v52, v31
	s_delay_alu instid0(VALU_DEP_2) | instskip(NEXT) | instid1(VALU_DEP_2)
	v_sub_nc_u32_e32 v55, v55, v52
	v_cmp_le_u32_e64 s7, v54, v29
	s_delay_alu instid0(VALU_DEP_2)
	v_cmp_le_u32_e64 s8, v55, v30
	s_or_b32 s7, s7, s8
	s_wait_alu 0xfffe
	s_and_saveexec_b32 s9, s7
	s_cbranch_execz .LBB1754_163
; %bb.128:
	v_cmp_ge_u32_e64 s7, v54, v29
	s_mov_b32 s10, exec_lo
                                        ; implicit-def: $vgpr31
	v_cmpx_lt_u32_e64 v54, v29
; %bb.129:
	v_lshl_add_u32 v4, v52, 1, v53
	ds_load_u16 v31, v4
; %bb.130:
	s_wait_alu 0xfffe
	s_or_b32 exec_lo, exec_lo, s10
	v_cmp_ge_u32_e64 s10, v55, v30
	s_mov_b32 s11, exec_lo
                                        ; implicit-def: $vgpr36
	v_cmpx_lt_u32_e64 v55, v30
; %bb.131:
	v_lshl_add_u32 v4, v55, 1, v10
	ds_load_u16 v36, v4
; %bb.132:
	s_wait_alu 0xfffe
	s_or_b32 exec_lo, exec_lo, s11
	s_nor_b32 s7, s7, s10
	s_wait_alu 0xfffe
	s_and_saveexec_b32 s8, s7
	s_cbranch_execz .LBB1754_134
; %bb.133:
	s_wait_dscnt 0x0
	v_add_f16_e32 v4, 0, v36
	v_add_f16_e32 v5, 0, v31
	s_and_not1_b32 s10, s10, exec_lo
	s_delay_alu instid0(VALU_DEP_2) | instskip(SKIP_1) | instid1(VALU_DEP_1)
	v_cmp_lt_i16_e64 s7, -1, v4
	s_wait_alu 0xf1ff
	v_cndmask_b32_e64 v8, -1, 0xffff8000, s7
	v_cmp_lt_i16_e64 s7, -1, v5
	s_delay_alu instid0(VALU_DEP_2) | instskip(SKIP_1) | instid1(VALU_DEP_2)
	v_xor_b32_e32 v4, v8, v4
	s_wait_alu 0xf1ff
	v_cndmask_b32_e64 v9, -1, 0xffff8000, s7
	s_delay_alu instid0(VALU_DEP_1) | instskip(NEXT) | instid1(VALU_DEP_1)
	v_xor_b32_e32 v5, v9, v5
	v_cmp_le_u16_e64 s7, v4, v5
	s_and_b32 s7, s7, exec_lo
	s_wait_alu 0xfffe
	s_or_b32 s10, s10, s7
.LBB1754_134:
	s_wait_alu 0xfffe
	s_or_b32 exec_lo, exec_lo, s8
	v_cndmask_b32_e64 v4, v55, v54, s10
	v_cndmask_b32_e64 v5, v30, v29, s10
	s_mov_b32 s11, -1
	s_mov_b32 s8, -1
	s_mov_b32 s12, exec_lo
	v_add_nc_u32_e32 v8, 1, v4
	v_add_nc_u32_e32 v5, -1, v5
	v_lshl_add_u32 v4, v4, 3, v13
	s_delay_alu instid0(VALU_DEP_3) | instskip(NEXT) | instid1(VALU_DEP_3)
	v_cndmask_b32_e64 v15, v8, v55, s10
	v_min_u32_e32 v5, v8, v5
	v_cndmask_b32_e64 v16, v54, v8, s10
	s_delay_alu instid0(VALU_DEP_2)
	v_lshl_add_u32 v5, v5, 1, v10
	ds_load_u16 v9, v5
	ds_load_b64 v[4:5], v4 offset:4096
	s_wait_dscnt 0x1
	v_cndmask_b32_e64 v37, v9, v36, s10
	v_cndmask_b32_e64 v39, v31, v9, s10
	v_cmpx_lt_u32_e64 v15, v30
	s_cbranch_execz .LBB1754_138
; %bb.135:
	s_mov_b32 s13, 0
	s_mov_b32 s8, exec_lo
	v_cmpx_lt_u32_e64 v16, v29
	s_cbranch_execz .LBB1754_137
; %bb.136:
	v_add_f16_e32 v8, 0, v37
	v_add_f16_e32 v9, 0, v39
	s_delay_alu instid0(VALU_DEP_2) | instskip(SKIP_1) | instid1(VALU_DEP_1)
	v_cmp_lt_i16_e64 s7, -1, v8
	s_wait_alu 0xf1ff
	v_cndmask_b32_e64 v17, -1, 0xffff8000, s7
	s_delay_alu instid0(VALU_DEP_3) | instskip(NEXT) | instid1(VALU_DEP_2)
	v_cmp_lt_i16_e64 s7, -1, v9
	v_xor_b32_e32 v8, v17, v8
	s_wait_alu 0xf1ff
	s_delay_alu instid0(VALU_DEP_2) | instskip(NEXT) | instid1(VALU_DEP_1)
	v_cndmask_b32_e64 v18, -1, 0xffff8000, s7
	v_xor_b32_e32 v9, v18, v9
	s_delay_alu instid0(VALU_DEP_1)
	v_cmp_le_u16_e64 s7, v8, v9
	s_and_b32 s13, s7, exec_lo
.LBB1754_137:
	s_wait_alu 0xfffe
	s_or_b32 exec_lo, exec_lo, s8
	s_delay_alu instid0(SALU_CYCLE_1)
	s_or_not1_b32 s8, s13, exec_lo
.LBB1754_138:
	s_wait_alu 0xfffe
	s_or_b32 exec_lo, exec_lo, s12
	v_cndmask_b32_e64 v8, v15, v16, s8
	v_cndmask_b32_e64 v9, v30, v29, s8
	s_mov_b32 s12, exec_lo
	s_delay_alu instid0(VALU_DEP_2) | instskip(NEXT) | instid1(VALU_DEP_2)
	v_add_nc_u32_e32 v18, 1, v8
	v_add_nc_u32_e32 v9, -1, v9
	v_lshl_add_u32 v8, v8, 3, v13
	s_delay_alu instid0(VALU_DEP_3) | instskip(NEXT) | instid1(VALU_DEP_3)
	v_cndmask_b32_e64 v17, v18, v15, s8
	v_min_u32_e32 v9, v18, v9
	v_cndmask_b32_e64 v18, v16, v18, s8
	s_delay_alu instid0(VALU_DEP_2)
	v_lshl_add_u32 v9, v9, 1, v10
	ds_load_u16 v19, v9
	ds_load_b64 v[8:9], v8 offset:4096
	s_wait_dscnt 0x1
	v_cndmask_b32_e64 v48, v19, v37, s8
	v_cndmask_b32_e64 v52, v39, v19, s8
	v_cmpx_lt_u32_e64 v17, v30
	s_cbranch_execz .LBB1754_142
; %bb.139:
	s_mov_b32 s13, 0
	s_mov_b32 s11, exec_lo
	v_cmpx_lt_u32_e64 v18, v29
	s_cbranch_execz .LBB1754_141
; %bb.140:
	v_add_f16_e32 v15, 0, v48
	v_add_f16_e32 v16, 0, v52
	s_delay_alu instid0(VALU_DEP_2) | instskip(SKIP_1) | instid1(VALU_DEP_1)
	v_cmp_lt_i16_e64 s7, -1, v15
	s_wait_alu 0xf1ff
	v_cndmask_b32_e64 v19, -1, 0xffff8000, s7
	s_delay_alu instid0(VALU_DEP_3) | instskip(NEXT) | instid1(VALU_DEP_2)
	v_cmp_lt_i16_e64 s7, -1, v16
	v_xor_b32_e32 v15, v19, v15
	s_wait_alu 0xf1ff
	s_delay_alu instid0(VALU_DEP_2) | instskip(NEXT) | instid1(VALU_DEP_1)
	v_cndmask_b32_e64 v20, -1, 0xffff8000, s7
	v_xor_b32_e32 v16, v20, v16
	s_delay_alu instid0(VALU_DEP_1)
	v_cmp_le_u16_e64 s7, v15, v16
	s_and_b32 s13, s7, exec_lo
.LBB1754_141:
	s_wait_alu 0xfffe
	s_or_b32 exec_lo, exec_lo, s11
	s_delay_alu instid0(SALU_CYCLE_1)
	s_or_not1_b32 s11, s13, exec_lo
.LBB1754_142:
	s_wait_alu 0xfffe
	s_or_b32 exec_lo, exec_lo, s12
	v_cndmask_b32_e64 v15, v17, v18, s11
	v_cndmask_b32_e64 v16, v30, v29, s11
	s_mov_b32 s13, -1
	s_mov_b32 s12, -1
	s_mov_b32 s14, exec_lo
	v_add_nc_u32_e32 v20, 1, v15
	v_add_nc_u32_e32 v16, -1, v16
	v_lshl_add_u32 v15, v15, 3, v13
	s_delay_alu instid0(VALU_DEP_3) | instskip(NEXT) | instid1(VALU_DEP_3)
	v_cndmask_b32_e64 v19, v20, v17, s11
	v_min_u32_e32 v16, v20, v16
	v_cndmask_b32_e64 v20, v18, v20, s11
	s_delay_alu instid0(VALU_DEP_2)
	v_lshl_add_u32 v16, v16, 1, v10
	ds_load_u16 v21, v16
	ds_load_b64 v[15:16], v15 offset:4096
	s_wait_dscnt 0x1
	v_cndmask_b32_e64 v51, v21, v48, s11
	v_cndmask_b32_e64 v53, v52, v21, s11
	v_cmpx_lt_u32_e64 v19, v30
	s_cbranch_execz .LBB1754_146
; %bb.143:
	s_mov_b32 s15, 0
	s_mov_b32 s12, exec_lo
	v_cmpx_lt_u32_e64 v20, v29
	s_cbranch_execz .LBB1754_145
; %bb.144:
	v_add_f16_e32 v17, 0, v51
	v_add_f16_e32 v18, 0, v53
	s_delay_alu instid0(VALU_DEP_2) | instskip(SKIP_1) | instid1(VALU_DEP_1)
	v_cmp_lt_i16_e64 s7, -1, v17
	s_wait_alu 0xf1ff
	v_cndmask_b32_e64 v21, -1, 0xffff8000, s7
	s_delay_alu instid0(VALU_DEP_3) | instskip(NEXT) | instid1(VALU_DEP_2)
	v_cmp_lt_i16_e64 s7, -1, v18
	v_xor_b32_e32 v17, v21, v17
	s_wait_alu 0xf1ff
	s_delay_alu instid0(VALU_DEP_2) | instskip(NEXT) | instid1(VALU_DEP_1)
	v_cndmask_b32_e64 v22, -1, 0xffff8000, s7
	v_xor_b32_e32 v18, v22, v18
	s_delay_alu instid0(VALU_DEP_1)
	v_cmp_le_u16_e64 s7, v17, v18
	s_and_b32 s15, s7, exec_lo
.LBB1754_145:
	s_wait_alu 0xfffe
	s_or_b32 exec_lo, exec_lo, s12
	s_delay_alu instid0(SALU_CYCLE_1)
	s_or_not1_b32 s12, s15, exec_lo
.LBB1754_146:
	s_wait_alu 0xfffe
	s_or_b32 exec_lo, exec_lo, s14
	v_cndmask_b32_e64 v17, v19, v20, s12
	v_cndmask_b32_e64 v18, v30, v29, s12
	s_mov_b32 s14, exec_lo
	s_delay_alu instid0(VALU_DEP_2) | instskip(NEXT) | instid1(VALU_DEP_2)
	v_add_nc_u32_e32 v22, 1, v17
	v_add_nc_u32_e32 v18, -1, v18
	v_lshl_add_u32 v17, v17, 3, v13
	s_delay_alu instid0(VALU_DEP_3) | instskip(NEXT) | instid1(VALU_DEP_3)
	v_cndmask_b32_e64 v21, v22, v19, s12
	v_min_u32_e32 v18, v22, v18
	v_cndmask_b32_e64 v22, v20, v22, s12
	s_delay_alu instid0(VALU_DEP_2)
	v_lshl_add_u32 v18, v18, 1, v10
	ds_load_u16 v23, v18
	ds_load_b64 v[17:18], v17 offset:4096
	s_wait_dscnt 0x1
	v_cndmask_b32_e64 v49, v23, v51, s12
	v_cndmask_b32_e64 v54, v53, v23, s12
	v_cmpx_lt_u32_e64 v21, v30
	s_cbranch_execz .LBB1754_150
; %bb.147:
	s_mov_b32 s15, 0
	s_mov_b32 s13, exec_lo
	v_cmpx_lt_u32_e64 v22, v29
	s_cbranch_execz .LBB1754_149
; %bb.148:
	v_add_f16_e32 v19, 0, v49
	v_add_f16_e32 v20, 0, v54
	s_delay_alu instid0(VALU_DEP_2) | instskip(SKIP_1) | instid1(VALU_DEP_1)
	v_cmp_lt_i16_e64 s7, -1, v19
	s_wait_alu 0xf1ff
	v_cndmask_b32_e64 v23, -1, 0xffff8000, s7
	s_delay_alu instid0(VALU_DEP_3) | instskip(NEXT) | instid1(VALU_DEP_2)
	v_cmp_lt_i16_e64 s7, -1, v20
	v_xor_b32_e32 v19, v23, v19
	s_wait_alu 0xf1ff
	s_delay_alu instid0(VALU_DEP_2) | instskip(NEXT) | instid1(VALU_DEP_1)
	v_cndmask_b32_e64 v24, -1, 0xffff8000, s7
	v_xor_b32_e32 v20, v24, v20
	s_delay_alu instid0(VALU_DEP_1)
	v_cmp_le_u16_e64 s7, v19, v20
	s_and_b32 s15, s7, exec_lo
.LBB1754_149:
	s_wait_alu 0xfffe
	s_or_b32 exec_lo, exec_lo, s13
	s_delay_alu instid0(SALU_CYCLE_1)
	s_or_not1_b32 s13, s15, exec_lo
.LBB1754_150:
	s_wait_alu 0xfffe
	s_or_b32 exec_lo, exec_lo, s14
	v_cndmask_b32_e64 v19, v21, v22, s13
	v_cndmask_b32_e64 v20, v30, v29, s13
	s_mov_b32 s15, -1
	s_mov_b32 s14, -1
	s_mov_b32 s16, exec_lo
	v_add_nc_u32_e32 v23, 1, v19
	v_add_nc_u32_e32 v20, -1, v20
	v_lshl_add_u32 v19, v19, 3, v13
	s_delay_alu instid0(VALU_DEP_3) | instskip(NEXT) | instid1(VALU_DEP_3)
	v_cndmask_b32_e64 v21, v23, v21, s13
	v_min_u32_e32 v20, v23, v20
	v_cndmask_b32_e64 v22, v22, v23, s13
	s_delay_alu instid0(VALU_DEP_2)
	v_lshl_add_u32 v20, v20, 1, v10
	ds_load_u16 v24, v20
	ds_load_b64 v[19:20], v19 offset:4096
	s_wait_dscnt 0x1
	v_cndmask_b32_e64 v38, v24, v49, s13
	v_cndmask_b32_e64 v55, v54, v24, s13
	v_cmpx_lt_u32_e64 v21, v30
	s_cbranch_execz .LBB1754_154
; %bb.151:
	s_mov_b32 s17, 0
	s_mov_b32 s14, exec_lo
	v_cmpx_lt_u32_e64 v22, v29
	s_cbranch_execz .LBB1754_153
; %bb.152:
	v_add_f16_e32 v23, 0, v38
	v_add_f16_e32 v24, 0, v55
	s_delay_alu instid0(VALU_DEP_2) | instskip(SKIP_1) | instid1(VALU_DEP_1)
	v_cmp_lt_i16_e64 s7, -1, v23
	s_wait_alu 0xf1ff
	v_cndmask_b32_e64 v25, -1, 0xffff8000, s7
	s_delay_alu instid0(VALU_DEP_3) | instskip(NEXT) | instid1(VALU_DEP_2)
	v_cmp_lt_i16_e64 s7, -1, v24
	v_xor_b32_e32 v23, v25, v23
	s_wait_alu 0xf1ff
	s_delay_alu instid0(VALU_DEP_2) | instskip(NEXT) | instid1(VALU_DEP_1)
	v_cndmask_b32_e64 v26, -1, 0xffff8000, s7
	v_xor_b32_e32 v24, v26, v24
	s_delay_alu instid0(VALU_DEP_1)
	v_cmp_le_u16_e64 s7, v23, v24
	s_and_b32 s17, s7, exec_lo
.LBB1754_153:
	s_wait_alu 0xfffe
	s_or_b32 exec_lo, exec_lo, s14
	s_delay_alu instid0(SALU_CYCLE_1)
	s_or_not1_b32 s14, s17, exec_lo
.LBB1754_154:
	s_wait_alu 0xfffe
	s_or_b32 exec_lo, exec_lo, s16
	v_cndmask_b32_e64 v23, v21, v22, s14
	v_cndmask_b32_e64 v24, v30, v29, s14
	s_mov_b32 s16, exec_lo
	s_delay_alu instid0(VALU_DEP_2) | instskip(NEXT) | instid1(VALU_DEP_2)
	v_add_nc_u32_e32 v26, 1, v23
	v_add_nc_u32_e32 v24, -1, v24
	v_lshl_add_u32 v23, v23, 3, v13
	s_delay_alu instid0(VALU_DEP_3) | instskip(NEXT) | instid1(VALU_DEP_3)
	v_cndmask_b32_e64 v25, v26, v21, s14
	v_min_u32_e32 v24, v26, v24
	v_cndmask_b32_e64 v26, v22, v26, s14
	s_delay_alu instid0(VALU_DEP_2)
	v_lshl_add_u32 v24, v24, 1, v10
	ds_load_u16 v64, v24
	ds_load_b64 v[23:24], v23 offset:4096
	s_wait_dscnt 0x1
	v_cndmask_b32_e64 v50, v64, v38, s14
	v_cndmask_b32_e64 v64, v55, v64, s14
	v_cmpx_lt_u32_e64 v25, v30
	s_cbranch_execz .LBB1754_158
; %bb.155:
	s_mov_b32 s17, 0
	s_mov_b32 s15, exec_lo
	v_cmpx_lt_u32_e64 v26, v29
	s_cbranch_execz .LBB1754_157
; %bb.156:
	v_add_f16_e32 v21, 0, v50
	v_add_f16_e32 v22, 0, v64
	s_delay_alu instid0(VALU_DEP_2) | instskip(SKIP_1) | instid1(VALU_DEP_1)
	v_cmp_lt_i16_e64 s7, -1, v21
	s_wait_alu 0xf1ff
	v_cndmask_b32_e64 v65, -1, 0xffff8000, s7
	s_delay_alu instid0(VALU_DEP_3) | instskip(NEXT) | instid1(VALU_DEP_2)
	v_cmp_lt_i16_e64 s7, -1, v22
	v_xor_b32_e32 v21, v65, v21
	s_wait_alu 0xf1ff
	s_delay_alu instid0(VALU_DEP_2) | instskip(NEXT) | instid1(VALU_DEP_1)
	v_cndmask_b32_e64 v66, -1, 0xffff8000, s7
	v_xor_b32_e32 v22, v66, v22
	s_delay_alu instid0(VALU_DEP_1)
	v_cmp_le_u16_e64 s7, v21, v22
	s_and_b32 s17, s7, exec_lo
.LBB1754_157:
	s_wait_alu 0xfffe
	s_or_b32 exec_lo, exec_lo, s15
	s_delay_alu instid0(SALU_CYCLE_1)
	s_or_not1_b32 s15, s17, exec_lo
.LBB1754_158:
	s_wait_alu 0xfffe
	s_or_b32 exec_lo, exec_lo, s16
	v_cndmask_b32_e64 v21, v25, v26, s15
	v_cndmask_b32_e64 v22, v30, v29, s15
	s_mov_b32 s17, -1
	s_mov_b32 s16, exec_lo
	s_delay_alu instid0(VALU_DEP_2) | instskip(NEXT) | instid1(VALU_DEP_2)
	v_add_nc_u32_e32 v65, 1, v21
	v_add_nc_u32_e32 v22, -1, v22
	v_lshl_add_u32 v21, v21, 3, v13
	s_delay_alu instid0(VALU_DEP_3) | instskip(NEXT) | instid1(VALU_DEP_3)
	v_cndmask_b32_e64 v25, v65, v25, s15
	v_min_u32_e32 v22, v65, v22
	v_cndmask_b32_e64 v26, v26, v65, s15
	s_delay_alu instid0(VALU_DEP_2)
	v_lshl_add_u32 v22, v22, 1, v10
	ds_load_u16 v66, v22
	ds_load_b64 v[21:22], v21 offset:4096
	s_wait_dscnt 0x1
	v_cndmask_b32_e64 v65, v66, v50, s15
	v_cndmask_b32_e64 v66, v64, v66, s15
	v_cmpx_lt_u32_e64 v25, v30
	s_cbranch_execz .LBB1754_162
; %bb.159:
	s_mov_b32 s18, 0
	s_mov_b32 s17, exec_lo
	v_cmpx_lt_u32_e64 v26, v29
	s_cbranch_execz .LBB1754_161
; %bb.160:
	v_add_f16_e32 v29, 0, v65
	v_add_f16_e32 v30, 0, v66
	s_delay_alu instid0(VALU_DEP_2) | instskip(SKIP_1) | instid1(VALU_DEP_1)
	v_cmp_lt_i16_e64 s7, -1, v29
	s_wait_alu 0xf1ff
	v_cndmask_b32_e64 v67, -1, 0xffff8000, s7
	s_delay_alu instid0(VALU_DEP_3) | instskip(NEXT) | instid1(VALU_DEP_2)
	v_cmp_lt_i16_e64 s7, -1, v30
	v_xor_b32_e32 v29, v67, v29
	s_wait_alu 0xf1ff
	s_delay_alu instid0(VALU_DEP_2) | instskip(NEXT) | instid1(VALU_DEP_1)
	v_cndmask_b32_e64 v68, -1, 0xffff8000, s7
	v_xor_b32_e32 v30, v68, v30
	s_delay_alu instid0(VALU_DEP_1)
	v_cmp_le_u16_e64 s7, v29, v30
	s_and_b32 s18, s7, exec_lo
.LBB1754_161:
	s_wait_alu 0xfffe
	s_or_b32 exec_lo, exec_lo, s17
	s_delay_alu instid0(SALU_CYCLE_1)
	s_or_not1_b32 s17, s18, exec_lo
.LBB1754_162:
	s_wait_alu 0xfffe
	s_or_b32 exec_lo, exec_lo, s16
	v_cndmask_b32_e64 v25, v25, v26, s17
	v_cndmask_b32_e64 v50, v50, v64, s15
	;; [unrolled: 1-line block ×5, first 2 shown]
	v_lshl_add_u32 v25, v25, 3, v13
	v_cndmask_b32_e64 v48, v48, v52, s11
	v_cndmask_b32_e64 v39, v37, v39, s8
	;; [unrolled: 1-line block ×4, first 2 shown]
	ds_load_b64 v[25:26], v25 offset:4096
.LBB1754_163:
	s_wait_alu 0xfffe
	s_or_b32 exec_lo, exec_lo, s9
	v_and_b32_e32 v31, 0xc0, v35
	v_and_b32_e32 v52, 56, v35
	s_mov_b32 s8, exec_lo
	; wave barrier
	s_delay_alu instid0(VALU_DEP_2) | instskip(NEXT) | instid1(VALU_DEP_2)
	v_or_b32_e32 v29, 32, v31
	v_min_u32_e32 v54, v28, v52
	ds_store_b16 v14, v36
	ds_store_b64 v27, v[4:5] offset:4096
	ds_store_b16 v14, v39 offset:2
	ds_store_b64 v27, v[8:9] offset:4104
	ds_store_b16 v14, v48 offset:4
	ds_store_b64 v27, v[15:16] offset:4112
	ds_store_b16 v14, v51 offset:6
	ds_store_b64 v27, v[17:18] offset:4120
	v_min_u32_e32 v29, v28, v29
	ds_store_b16 v14, v49 offset:8
	ds_store_b64 v27, v[19:20] offset:4128
	ds_store_b16 v14, v38 offset:10
	ds_store_b64 v27, v[23:24] offset:4136
	ds_store_b16 v14, v50 offset:12
	s_wait_dscnt 0xe
	ds_store_b64 v27, v[21:22] offset:4144
	ds_store_b16 v14, v37 offset:14
	s_wait_dscnt 0xf
	ds_store_b64 v27, v[25:26] offset:4152
	v_add_nc_u32_e32 v30, 32, v29
	v_sub_nc_u32_e32 v53, v29, v31
	; wave barrier
	s_delay_alu instid0(VALU_DEP_2) | instskip(NEXT) | instid1(VALU_DEP_2)
	v_min_u32_e32 v30, v28, v30
	v_min_u32_e32 v55, v54, v53
	v_lshl_add_u32 v53, v31, 1, v10
	s_delay_alu instid0(VALU_DEP_3) | instskip(NEXT) | instid1(VALU_DEP_1)
	v_sub_nc_u32_e32 v52, v30, v29
	v_sub_nc_u32_e64 v52, v54, v52 clamp
	s_delay_alu instid0(VALU_DEP_1)
	v_cmpx_lt_u32_e64 v52, v55
	s_cbranch_execz .LBB1754_167
; %bb.164:
	v_lshlrev_b32_e32 v64, 1, v29
	v_lshlrev_b32_e32 v65, 1, v54
	s_mov_b32 s9, 0
	s_delay_alu instid0(VALU_DEP_1)
	v_add3_u32 v64, v10, v64, v65
.LBB1754_165:                           ; =>This Inner Loop Header: Depth=1
	v_add_nc_u32_e32 v65, v55, v52
	s_delay_alu instid0(VALU_DEP_1) | instskip(SKIP_1) | instid1(VALU_DEP_2)
	v_lshrrev_b32_e32 v66, 1, v65
	v_and_b32_e32 v65, -2, v65
	v_not_b32_e32 v67, v66
	s_delay_alu instid0(VALU_DEP_2) | instskip(NEXT) | instid1(VALU_DEP_2)
	v_add_nc_u32_e32 v65, v53, v65
	v_lshl_add_u32 v67, v67, 1, v64
	ds_load_u16 v65, v65
	ds_load_u16 v67, v67
	s_wait_dscnt 0x1
	v_add_f16_e32 v65, 0, v65
	s_wait_dscnt 0x0
	v_add_f16_e32 v67, 0, v67
	s_delay_alu instid0(VALU_DEP_2) | instskip(SKIP_1) | instid1(VALU_DEP_1)
	v_cmp_lt_i16_e64 s7, -1, v65
	s_wait_alu 0xf1ff
	v_cndmask_b32_e64 v68, -1, 0xffff8000, s7
	s_delay_alu instid0(VALU_DEP_3) | instskip(NEXT) | instid1(VALU_DEP_2)
	v_cmp_lt_i16_e64 s7, -1, v67
	v_xor_b32_e32 v65, v68, v65
	s_wait_alu 0xf1ff
	s_delay_alu instid0(VALU_DEP_2) | instskip(SKIP_1) | instid1(VALU_DEP_2)
	v_cndmask_b32_e64 v69, -1, 0xffff8000, s7
	v_add_nc_u32_e32 v68, 1, v66
	v_xor_b32_e32 v67, v69, v67
	s_delay_alu instid0(VALU_DEP_1) | instskip(SKIP_1) | instid1(VALU_DEP_1)
	v_cmp_gt_u16_e64 s7, v67, v65
	s_wait_alu 0xf1ff
	v_cndmask_b32_e64 v55, v55, v66, s7
	v_cndmask_b32_e64 v52, v68, v52, s7
	s_delay_alu instid0(VALU_DEP_1)
	v_cmp_ge_u32_e64 s7, v52, v55
	s_wait_alu 0xfffe
	s_or_b32 s9, s7, s9
	s_wait_alu 0xfffe
	s_and_not1_b32 exec_lo, exec_lo, s9
	s_cbranch_execnz .LBB1754_165
; %bb.166:
	s_or_b32 exec_lo, exec_lo, s9
.LBB1754_167:
	s_wait_alu 0xfffe
	s_or_b32 exec_lo, exec_lo, s8
	v_add_nc_u32_e32 v55, v29, v54
	v_add_nc_u32_e32 v54, v52, v31
	s_delay_alu instid0(VALU_DEP_2) | instskip(NEXT) | instid1(VALU_DEP_2)
	v_sub_nc_u32_e32 v55, v55, v52
	v_cmp_le_u32_e64 s7, v54, v29
	s_delay_alu instid0(VALU_DEP_2)
	v_cmp_le_u32_e64 s8, v55, v30
	s_or_b32 s7, s7, s8
	s_wait_alu 0xfffe
	s_and_saveexec_b32 s9, s7
	s_cbranch_execz .LBB1754_203
; %bb.168:
	v_cmp_ge_u32_e64 s7, v54, v29
	s_mov_b32 s10, exec_lo
                                        ; implicit-def: $vgpr31
	v_cmpx_lt_u32_e64 v54, v29
; %bb.169:
	v_lshl_add_u32 v4, v52, 1, v53
	ds_load_u16 v31, v4
; %bb.170:
	s_wait_alu 0xfffe
	s_or_b32 exec_lo, exec_lo, s10
	v_cmp_ge_u32_e64 s10, v55, v30
	s_mov_b32 s11, exec_lo
                                        ; implicit-def: $vgpr36
	v_cmpx_lt_u32_e64 v55, v30
; %bb.171:
	v_lshl_add_u32 v4, v55, 1, v10
	ds_load_u16 v36, v4
; %bb.172:
	s_wait_alu 0xfffe
	s_or_b32 exec_lo, exec_lo, s11
	s_nor_b32 s7, s7, s10
	s_wait_alu 0xfffe
	s_and_saveexec_b32 s8, s7
	s_cbranch_execz .LBB1754_174
; %bb.173:
	s_wait_dscnt 0x0
	v_add_f16_e32 v4, 0, v36
	v_add_f16_e32 v5, 0, v31
	s_and_not1_b32 s10, s10, exec_lo
	s_delay_alu instid0(VALU_DEP_2) | instskip(SKIP_1) | instid1(VALU_DEP_1)
	v_cmp_lt_i16_e64 s7, -1, v4
	s_wait_alu 0xf1ff
	v_cndmask_b32_e64 v8, -1, 0xffff8000, s7
	v_cmp_lt_i16_e64 s7, -1, v5
	s_delay_alu instid0(VALU_DEP_2) | instskip(SKIP_1) | instid1(VALU_DEP_2)
	v_xor_b32_e32 v4, v8, v4
	s_wait_alu 0xf1ff
	v_cndmask_b32_e64 v9, -1, 0xffff8000, s7
	s_delay_alu instid0(VALU_DEP_1) | instskip(NEXT) | instid1(VALU_DEP_1)
	v_xor_b32_e32 v5, v9, v5
	v_cmp_le_u16_e64 s7, v4, v5
	s_and_b32 s7, s7, exec_lo
	s_wait_alu 0xfffe
	s_or_b32 s10, s10, s7
.LBB1754_174:
	s_wait_alu 0xfffe
	s_or_b32 exec_lo, exec_lo, s8
	v_cndmask_b32_e64 v4, v55, v54, s10
	v_cndmask_b32_e64 v5, v30, v29, s10
	s_mov_b32 s11, -1
	s_mov_b32 s8, -1
	s_mov_b32 s12, exec_lo
	v_add_nc_u32_e32 v8, 1, v4
	v_add_nc_u32_e32 v5, -1, v5
	v_lshl_add_u32 v4, v4, 3, v13
	s_delay_alu instid0(VALU_DEP_3) | instskip(NEXT) | instid1(VALU_DEP_3)
	v_cndmask_b32_e64 v15, v8, v55, s10
	v_min_u32_e32 v5, v8, v5
	v_cndmask_b32_e64 v16, v54, v8, s10
	s_delay_alu instid0(VALU_DEP_2)
	v_lshl_add_u32 v5, v5, 1, v10
	ds_load_u16 v9, v5
	ds_load_b64 v[4:5], v4 offset:4096
	s_wait_dscnt 0x1
	v_cndmask_b32_e64 v37, v9, v36, s10
	v_cndmask_b32_e64 v39, v31, v9, s10
	v_cmpx_lt_u32_e64 v15, v30
	s_cbranch_execz .LBB1754_178
; %bb.175:
	s_mov_b32 s13, 0
	s_mov_b32 s8, exec_lo
	v_cmpx_lt_u32_e64 v16, v29
	s_cbranch_execz .LBB1754_177
; %bb.176:
	v_add_f16_e32 v8, 0, v37
	v_add_f16_e32 v9, 0, v39
	s_delay_alu instid0(VALU_DEP_2) | instskip(SKIP_1) | instid1(VALU_DEP_1)
	v_cmp_lt_i16_e64 s7, -1, v8
	s_wait_alu 0xf1ff
	v_cndmask_b32_e64 v17, -1, 0xffff8000, s7
	s_delay_alu instid0(VALU_DEP_3) | instskip(NEXT) | instid1(VALU_DEP_2)
	v_cmp_lt_i16_e64 s7, -1, v9
	v_xor_b32_e32 v8, v17, v8
	s_wait_alu 0xf1ff
	s_delay_alu instid0(VALU_DEP_2) | instskip(NEXT) | instid1(VALU_DEP_1)
	v_cndmask_b32_e64 v18, -1, 0xffff8000, s7
	v_xor_b32_e32 v9, v18, v9
	s_delay_alu instid0(VALU_DEP_1)
	v_cmp_le_u16_e64 s7, v8, v9
	s_and_b32 s13, s7, exec_lo
.LBB1754_177:
	s_wait_alu 0xfffe
	s_or_b32 exec_lo, exec_lo, s8
	s_delay_alu instid0(SALU_CYCLE_1)
	s_or_not1_b32 s8, s13, exec_lo
.LBB1754_178:
	s_wait_alu 0xfffe
	s_or_b32 exec_lo, exec_lo, s12
	v_cndmask_b32_e64 v8, v15, v16, s8
	v_cndmask_b32_e64 v9, v30, v29, s8
	s_mov_b32 s12, exec_lo
	s_delay_alu instid0(VALU_DEP_2) | instskip(NEXT) | instid1(VALU_DEP_2)
	v_add_nc_u32_e32 v18, 1, v8
	v_add_nc_u32_e32 v9, -1, v9
	v_lshl_add_u32 v8, v8, 3, v13
	s_delay_alu instid0(VALU_DEP_3) | instskip(NEXT) | instid1(VALU_DEP_3)
	v_cndmask_b32_e64 v17, v18, v15, s8
	v_min_u32_e32 v9, v18, v9
	v_cndmask_b32_e64 v18, v16, v18, s8
	s_delay_alu instid0(VALU_DEP_2)
	v_lshl_add_u32 v9, v9, 1, v10
	ds_load_u16 v19, v9
	ds_load_b64 v[8:9], v8 offset:4096
	s_wait_dscnt 0x1
	v_cndmask_b32_e64 v48, v19, v37, s8
	v_cndmask_b32_e64 v52, v39, v19, s8
	v_cmpx_lt_u32_e64 v17, v30
	s_cbranch_execz .LBB1754_182
; %bb.179:
	s_mov_b32 s13, 0
	s_mov_b32 s11, exec_lo
	v_cmpx_lt_u32_e64 v18, v29
	s_cbranch_execz .LBB1754_181
; %bb.180:
	v_add_f16_e32 v15, 0, v48
	v_add_f16_e32 v16, 0, v52
	s_delay_alu instid0(VALU_DEP_2) | instskip(SKIP_1) | instid1(VALU_DEP_1)
	v_cmp_lt_i16_e64 s7, -1, v15
	s_wait_alu 0xf1ff
	v_cndmask_b32_e64 v19, -1, 0xffff8000, s7
	s_delay_alu instid0(VALU_DEP_3) | instskip(NEXT) | instid1(VALU_DEP_2)
	v_cmp_lt_i16_e64 s7, -1, v16
	v_xor_b32_e32 v15, v19, v15
	s_wait_alu 0xf1ff
	s_delay_alu instid0(VALU_DEP_2) | instskip(NEXT) | instid1(VALU_DEP_1)
	v_cndmask_b32_e64 v20, -1, 0xffff8000, s7
	v_xor_b32_e32 v16, v20, v16
	s_delay_alu instid0(VALU_DEP_1)
	v_cmp_le_u16_e64 s7, v15, v16
	s_and_b32 s13, s7, exec_lo
.LBB1754_181:
	s_wait_alu 0xfffe
	s_or_b32 exec_lo, exec_lo, s11
	s_delay_alu instid0(SALU_CYCLE_1)
	s_or_not1_b32 s11, s13, exec_lo
.LBB1754_182:
	s_wait_alu 0xfffe
	s_or_b32 exec_lo, exec_lo, s12
	v_cndmask_b32_e64 v15, v17, v18, s11
	v_cndmask_b32_e64 v16, v30, v29, s11
	s_mov_b32 s13, -1
	s_mov_b32 s12, -1
	s_mov_b32 s14, exec_lo
	v_add_nc_u32_e32 v20, 1, v15
	v_add_nc_u32_e32 v16, -1, v16
	v_lshl_add_u32 v15, v15, 3, v13
	s_delay_alu instid0(VALU_DEP_3) | instskip(NEXT) | instid1(VALU_DEP_3)
	v_cndmask_b32_e64 v19, v20, v17, s11
	v_min_u32_e32 v16, v20, v16
	v_cndmask_b32_e64 v20, v18, v20, s11
	s_delay_alu instid0(VALU_DEP_2)
	v_lshl_add_u32 v16, v16, 1, v10
	ds_load_u16 v21, v16
	ds_load_b64 v[15:16], v15 offset:4096
	s_wait_dscnt 0x1
	v_cndmask_b32_e64 v51, v21, v48, s11
	v_cndmask_b32_e64 v53, v52, v21, s11
	v_cmpx_lt_u32_e64 v19, v30
	s_cbranch_execz .LBB1754_186
; %bb.183:
	s_mov_b32 s15, 0
	s_mov_b32 s12, exec_lo
	v_cmpx_lt_u32_e64 v20, v29
	s_cbranch_execz .LBB1754_185
; %bb.184:
	v_add_f16_e32 v17, 0, v51
	v_add_f16_e32 v18, 0, v53
	s_delay_alu instid0(VALU_DEP_2) | instskip(SKIP_1) | instid1(VALU_DEP_1)
	v_cmp_lt_i16_e64 s7, -1, v17
	s_wait_alu 0xf1ff
	v_cndmask_b32_e64 v21, -1, 0xffff8000, s7
	s_delay_alu instid0(VALU_DEP_3) | instskip(NEXT) | instid1(VALU_DEP_2)
	v_cmp_lt_i16_e64 s7, -1, v18
	v_xor_b32_e32 v17, v21, v17
	s_wait_alu 0xf1ff
	s_delay_alu instid0(VALU_DEP_2) | instskip(NEXT) | instid1(VALU_DEP_1)
	v_cndmask_b32_e64 v22, -1, 0xffff8000, s7
	v_xor_b32_e32 v18, v22, v18
	s_delay_alu instid0(VALU_DEP_1)
	v_cmp_le_u16_e64 s7, v17, v18
	s_and_b32 s15, s7, exec_lo
.LBB1754_185:
	s_wait_alu 0xfffe
	s_or_b32 exec_lo, exec_lo, s12
	s_delay_alu instid0(SALU_CYCLE_1)
	s_or_not1_b32 s12, s15, exec_lo
.LBB1754_186:
	s_wait_alu 0xfffe
	s_or_b32 exec_lo, exec_lo, s14
	v_cndmask_b32_e64 v17, v19, v20, s12
	v_cndmask_b32_e64 v18, v30, v29, s12
	s_mov_b32 s14, exec_lo
	s_delay_alu instid0(VALU_DEP_2) | instskip(NEXT) | instid1(VALU_DEP_2)
	v_add_nc_u32_e32 v22, 1, v17
	v_add_nc_u32_e32 v18, -1, v18
	v_lshl_add_u32 v17, v17, 3, v13
	s_delay_alu instid0(VALU_DEP_3) | instskip(NEXT) | instid1(VALU_DEP_3)
	v_cndmask_b32_e64 v21, v22, v19, s12
	v_min_u32_e32 v18, v22, v18
	v_cndmask_b32_e64 v22, v20, v22, s12
	s_delay_alu instid0(VALU_DEP_2)
	v_lshl_add_u32 v18, v18, 1, v10
	ds_load_u16 v23, v18
	ds_load_b64 v[17:18], v17 offset:4096
	s_wait_dscnt 0x1
	v_cndmask_b32_e64 v49, v23, v51, s12
	v_cndmask_b32_e64 v54, v53, v23, s12
	v_cmpx_lt_u32_e64 v21, v30
	s_cbranch_execz .LBB1754_190
; %bb.187:
	s_mov_b32 s15, 0
	s_mov_b32 s13, exec_lo
	v_cmpx_lt_u32_e64 v22, v29
	s_cbranch_execz .LBB1754_189
; %bb.188:
	v_add_f16_e32 v19, 0, v49
	v_add_f16_e32 v20, 0, v54
	s_delay_alu instid0(VALU_DEP_2) | instskip(SKIP_1) | instid1(VALU_DEP_1)
	v_cmp_lt_i16_e64 s7, -1, v19
	s_wait_alu 0xf1ff
	v_cndmask_b32_e64 v23, -1, 0xffff8000, s7
	s_delay_alu instid0(VALU_DEP_3) | instskip(NEXT) | instid1(VALU_DEP_2)
	v_cmp_lt_i16_e64 s7, -1, v20
	v_xor_b32_e32 v19, v23, v19
	s_wait_alu 0xf1ff
	s_delay_alu instid0(VALU_DEP_2) | instskip(NEXT) | instid1(VALU_DEP_1)
	v_cndmask_b32_e64 v24, -1, 0xffff8000, s7
	v_xor_b32_e32 v20, v24, v20
	s_delay_alu instid0(VALU_DEP_1)
	v_cmp_le_u16_e64 s7, v19, v20
	s_and_b32 s15, s7, exec_lo
.LBB1754_189:
	s_wait_alu 0xfffe
	s_or_b32 exec_lo, exec_lo, s13
	s_delay_alu instid0(SALU_CYCLE_1)
	s_or_not1_b32 s13, s15, exec_lo
.LBB1754_190:
	s_wait_alu 0xfffe
	s_or_b32 exec_lo, exec_lo, s14
	v_cndmask_b32_e64 v19, v21, v22, s13
	v_cndmask_b32_e64 v20, v30, v29, s13
	s_mov_b32 s15, -1
	s_mov_b32 s14, -1
	s_mov_b32 s16, exec_lo
	v_add_nc_u32_e32 v23, 1, v19
	v_add_nc_u32_e32 v20, -1, v20
	v_lshl_add_u32 v19, v19, 3, v13
	s_delay_alu instid0(VALU_DEP_3) | instskip(NEXT) | instid1(VALU_DEP_3)
	v_cndmask_b32_e64 v21, v23, v21, s13
	v_min_u32_e32 v20, v23, v20
	v_cndmask_b32_e64 v22, v22, v23, s13
	s_delay_alu instid0(VALU_DEP_2)
	v_lshl_add_u32 v20, v20, 1, v10
	ds_load_u16 v24, v20
	ds_load_b64 v[19:20], v19 offset:4096
	s_wait_dscnt 0x1
	v_cndmask_b32_e64 v38, v24, v49, s13
	v_cndmask_b32_e64 v55, v54, v24, s13
	v_cmpx_lt_u32_e64 v21, v30
	s_cbranch_execz .LBB1754_194
; %bb.191:
	s_mov_b32 s17, 0
	s_mov_b32 s14, exec_lo
	v_cmpx_lt_u32_e64 v22, v29
	s_cbranch_execz .LBB1754_193
; %bb.192:
	v_add_f16_e32 v23, 0, v38
	v_add_f16_e32 v24, 0, v55
	s_delay_alu instid0(VALU_DEP_2) | instskip(SKIP_1) | instid1(VALU_DEP_1)
	v_cmp_lt_i16_e64 s7, -1, v23
	s_wait_alu 0xf1ff
	v_cndmask_b32_e64 v25, -1, 0xffff8000, s7
	s_delay_alu instid0(VALU_DEP_3) | instskip(NEXT) | instid1(VALU_DEP_2)
	v_cmp_lt_i16_e64 s7, -1, v24
	v_xor_b32_e32 v23, v25, v23
	s_wait_alu 0xf1ff
	s_delay_alu instid0(VALU_DEP_2) | instskip(NEXT) | instid1(VALU_DEP_1)
	v_cndmask_b32_e64 v26, -1, 0xffff8000, s7
	v_xor_b32_e32 v24, v26, v24
	s_delay_alu instid0(VALU_DEP_1)
	v_cmp_le_u16_e64 s7, v23, v24
	s_and_b32 s17, s7, exec_lo
.LBB1754_193:
	s_wait_alu 0xfffe
	s_or_b32 exec_lo, exec_lo, s14
	s_delay_alu instid0(SALU_CYCLE_1)
	s_or_not1_b32 s14, s17, exec_lo
.LBB1754_194:
	s_wait_alu 0xfffe
	s_or_b32 exec_lo, exec_lo, s16
	v_cndmask_b32_e64 v23, v21, v22, s14
	v_cndmask_b32_e64 v24, v30, v29, s14
	s_mov_b32 s16, exec_lo
	s_delay_alu instid0(VALU_DEP_2) | instskip(NEXT) | instid1(VALU_DEP_2)
	v_add_nc_u32_e32 v26, 1, v23
	v_add_nc_u32_e32 v24, -1, v24
	v_lshl_add_u32 v23, v23, 3, v13
	s_delay_alu instid0(VALU_DEP_3) | instskip(NEXT) | instid1(VALU_DEP_3)
	v_cndmask_b32_e64 v25, v26, v21, s14
	v_min_u32_e32 v24, v26, v24
	v_cndmask_b32_e64 v26, v22, v26, s14
	s_delay_alu instid0(VALU_DEP_2)
	v_lshl_add_u32 v24, v24, 1, v10
	ds_load_u16 v64, v24
	ds_load_b64 v[23:24], v23 offset:4096
	s_wait_dscnt 0x1
	v_cndmask_b32_e64 v50, v64, v38, s14
	v_cndmask_b32_e64 v64, v55, v64, s14
	v_cmpx_lt_u32_e64 v25, v30
	s_cbranch_execz .LBB1754_198
; %bb.195:
	s_mov_b32 s17, 0
	s_mov_b32 s15, exec_lo
	v_cmpx_lt_u32_e64 v26, v29
	s_cbranch_execz .LBB1754_197
; %bb.196:
	v_add_f16_e32 v21, 0, v50
	v_add_f16_e32 v22, 0, v64
	s_delay_alu instid0(VALU_DEP_2) | instskip(SKIP_1) | instid1(VALU_DEP_1)
	v_cmp_lt_i16_e64 s7, -1, v21
	s_wait_alu 0xf1ff
	v_cndmask_b32_e64 v65, -1, 0xffff8000, s7
	s_delay_alu instid0(VALU_DEP_3) | instskip(NEXT) | instid1(VALU_DEP_2)
	v_cmp_lt_i16_e64 s7, -1, v22
	v_xor_b32_e32 v21, v65, v21
	s_wait_alu 0xf1ff
	s_delay_alu instid0(VALU_DEP_2) | instskip(NEXT) | instid1(VALU_DEP_1)
	v_cndmask_b32_e64 v66, -1, 0xffff8000, s7
	v_xor_b32_e32 v22, v66, v22
	s_delay_alu instid0(VALU_DEP_1)
	v_cmp_le_u16_e64 s7, v21, v22
	s_and_b32 s17, s7, exec_lo
.LBB1754_197:
	s_wait_alu 0xfffe
	s_or_b32 exec_lo, exec_lo, s15
	s_delay_alu instid0(SALU_CYCLE_1)
	s_or_not1_b32 s15, s17, exec_lo
.LBB1754_198:
	s_wait_alu 0xfffe
	s_or_b32 exec_lo, exec_lo, s16
	v_cndmask_b32_e64 v21, v25, v26, s15
	v_cndmask_b32_e64 v22, v30, v29, s15
	s_mov_b32 s17, -1
	s_mov_b32 s16, exec_lo
	s_delay_alu instid0(VALU_DEP_2) | instskip(NEXT) | instid1(VALU_DEP_2)
	v_add_nc_u32_e32 v65, 1, v21
	v_add_nc_u32_e32 v22, -1, v22
	v_lshl_add_u32 v21, v21, 3, v13
	s_delay_alu instid0(VALU_DEP_3) | instskip(NEXT) | instid1(VALU_DEP_3)
	v_cndmask_b32_e64 v25, v65, v25, s15
	v_min_u32_e32 v22, v65, v22
	v_cndmask_b32_e64 v26, v26, v65, s15
	s_delay_alu instid0(VALU_DEP_2)
	v_lshl_add_u32 v22, v22, 1, v10
	ds_load_u16 v66, v22
	ds_load_b64 v[21:22], v21 offset:4096
	s_wait_dscnt 0x1
	v_cndmask_b32_e64 v65, v66, v50, s15
	v_cndmask_b32_e64 v66, v64, v66, s15
	v_cmpx_lt_u32_e64 v25, v30
	s_cbranch_execz .LBB1754_202
; %bb.199:
	s_mov_b32 s18, 0
	s_mov_b32 s17, exec_lo
	v_cmpx_lt_u32_e64 v26, v29
	s_cbranch_execz .LBB1754_201
; %bb.200:
	v_add_f16_e32 v29, 0, v65
	v_add_f16_e32 v30, 0, v66
	s_delay_alu instid0(VALU_DEP_2) | instskip(SKIP_1) | instid1(VALU_DEP_1)
	v_cmp_lt_i16_e64 s7, -1, v29
	s_wait_alu 0xf1ff
	v_cndmask_b32_e64 v67, -1, 0xffff8000, s7
	s_delay_alu instid0(VALU_DEP_3) | instskip(NEXT) | instid1(VALU_DEP_2)
	v_cmp_lt_i16_e64 s7, -1, v30
	v_xor_b32_e32 v29, v67, v29
	s_wait_alu 0xf1ff
	s_delay_alu instid0(VALU_DEP_2) | instskip(NEXT) | instid1(VALU_DEP_1)
	v_cndmask_b32_e64 v68, -1, 0xffff8000, s7
	v_xor_b32_e32 v30, v68, v30
	s_delay_alu instid0(VALU_DEP_1)
	v_cmp_le_u16_e64 s7, v29, v30
	s_and_b32 s18, s7, exec_lo
.LBB1754_201:
	s_wait_alu 0xfffe
	s_or_b32 exec_lo, exec_lo, s17
	s_delay_alu instid0(SALU_CYCLE_1)
	s_or_not1_b32 s17, s18, exec_lo
.LBB1754_202:
	s_wait_alu 0xfffe
	s_or_b32 exec_lo, exec_lo, s16
	v_cndmask_b32_e64 v25, v25, v26, s17
	v_cndmask_b32_e64 v50, v50, v64, s15
	;; [unrolled: 1-line block ×5, first 2 shown]
	v_lshl_add_u32 v25, v25, 3, v13
	v_cndmask_b32_e64 v48, v48, v52, s11
	v_cndmask_b32_e64 v39, v37, v39, s8
	;; [unrolled: 1-line block ×4, first 2 shown]
	ds_load_b64 v[25:26], v25 offset:4096
.LBB1754_203:
	s_wait_alu 0xfffe
	s_or_b32 exec_lo, exec_lo, s9
	v_and_b32_e32 v35, 0x80, v35
	v_min_u32_e32 v34, v28, v34
	s_mov_b32 s8, exec_lo
	; wave barrier
	s_delay_alu instid0(VALU_DEP_2)
	v_or_b32_e32 v29, 64, v35
	ds_store_b16 v14, v36
	ds_store_b64 v27, v[4:5] offset:4096
	ds_store_b16 v14, v39 offset:2
	ds_store_b64 v27, v[8:9] offset:4104
	ds_store_b16 v14, v48 offset:4
	;; [unrolled: 2-line block ×5, first 2 shown]
	v_min_u32_e32 v29, v28, v29
	ds_store_b64 v27, v[23:24] offset:4136
	ds_store_b16 v14, v50 offset:12
	s_wait_dscnt 0xe
	ds_store_b64 v27, v[21:22] offset:4144
	ds_store_b16 v14, v37 offset:14
	s_wait_dscnt 0xf
	ds_store_b64 v27, v[25:26] offset:4152
	; wave barrier
	v_add_nc_u32_e32 v30, 64, v29
	v_sub_nc_u32_e32 v31, v29, v35
	s_delay_alu instid0(VALU_DEP_2) | instskip(NEXT) | instid1(VALU_DEP_2)
	v_min_u32_e32 v30, v28, v30
	v_min_u32_e32 v52, v34, v31
	v_lshl_add_u32 v31, v35, 1, v10
	s_delay_alu instid0(VALU_DEP_3) | instskip(NEXT) | instid1(VALU_DEP_1)
	v_sub_nc_u32_e32 v28, v30, v29
	v_sub_nc_u32_e64 v28, v34, v28 clamp
	s_delay_alu instid0(VALU_DEP_1)
	v_cmpx_lt_u32_e64 v28, v52
	s_cbranch_execz .LBB1754_207
; %bb.204:
	v_lshlrev_b32_e32 v14, 1, v29
	v_lshlrev_b32_e32 v27, 1, v34
	s_mov_b32 s9, 0
	s_delay_alu instid0(VALU_DEP_1)
	v_add3_u32 v14, v10, v14, v27
.LBB1754_205:                           ; =>This Inner Loop Header: Depth=1
	v_add_nc_u32_e32 v27, v52, v28
	s_delay_alu instid0(VALU_DEP_1) | instskip(SKIP_1) | instid1(VALU_DEP_2)
	v_lshrrev_b32_e32 v53, 1, v27
	v_and_b32_e32 v27, -2, v27
	v_not_b32_e32 v54, v53
	s_delay_alu instid0(VALU_DEP_2) | instskip(NEXT) | instid1(VALU_DEP_2)
	v_add_nc_u32_e32 v27, v31, v27
	v_lshl_add_u32 v54, v54, 1, v14
	ds_load_u16 v27, v27
	ds_load_u16 v54, v54
	s_wait_dscnt 0x1
	v_add_f16_e32 v27, 0, v27
	s_wait_dscnt 0x0
	v_add_f16_e32 v54, 0, v54
	s_delay_alu instid0(VALU_DEP_2) | instskip(SKIP_1) | instid1(VALU_DEP_1)
	v_cmp_lt_i16_e64 s7, -1, v27
	s_wait_alu 0xf1ff
	v_cndmask_b32_e64 v55, -1, 0xffff8000, s7
	s_delay_alu instid0(VALU_DEP_3) | instskip(NEXT) | instid1(VALU_DEP_2)
	v_cmp_lt_i16_e64 s7, -1, v54
	v_xor_b32_e32 v27, v55, v27
	s_wait_alu 0xf1ff
	s_delay_alu instid0(VALU_DEP_2) | instskip(SKIP_1) | instid1(VALU_DEP_2)
	v_cndmask_b32_e64 v64, -1, 0xffff8000, s7
	v_add_nc_u32_e32 v55, 1, v53
	v_xor_b32_e32 v54, v64, v54
	s_delay_alu instid0(VALU_DEP_1) | instskip(SKIP_1) | instid1(VALU_DEP_1)
	v_cmp_gt_u16_e64 s7, v54, v27
	s_wait_alu 0xf1ff
	v_cndmask_b32_e64 v52, v52, v53, s7
	v_cndmask_b32_e64 v28, v55, v28, s7
	s_delay_alu instid0(VALU_DEP_1)
	v_cmp_ge_u32_e64 s7, v28, v52
	s_wait_alu 0xfffe
	s_or_b32 s9, s7, s9
	s_wait_alu 0xfffe
	s_and_not1_b32 exec_lo, exec_lo, s9
	s_cbranch_execnz .LBB1754_205
; %bb.206:
	s_or_b32 exec_lo, exec_lo, s9
.LBB1754_207:
	s_wait_alu 0xfffe
	s_or_b32 exec_lo, exec_lo, s8
	v_add_nc_u32_e32 v14, v29, v34
	v_add_nc_u32_e32 v34, v28, v35
	s_delay_alu instid0(VALU_DEP_2) | instskip(NEXT) | instid1(VALU_DEP_2)
	v_sub_nc_u32_e32 v35, v14, v28
	v_cmp_le_u32_e64 s7, v34, v29
	s_delay_alu instid0(VALU_DEP_2)
	v_cmp_le_u32_e64 s8, v35, v30
	s_or_b32 s7, s7, s8
	s_wait_alu 0xfffe
	s_and_saveexec_b32 s9, s7
	s_cbranch_execz .LBB1754_243
; %bb.208:
	v_cmp_ge_u32_e64 s7, v34, v29
	s_mov_b32 s10, exec_lo
                                        ; implicit-def: $vgpr14
	v_cmpx_lt_u32_e64 v34, v29
; %bb.209:
	v_lshl_add_u32 v4, v28, 1, v31
	ds_load_u16 v14, v4
; %bb.210:
	s_wait_alu 0xfffe
	s_or_b32 exec_lo, exec_lo, s10
	v_cmp_ge_u32_e64 s10, v35, v30
	s_mov_b32 s11, exec_lo
                                        ; implicit-def: $vgpr27
	v_cmpx_lt_u32_e64 v35, v30
; %bb.211:
	v_lshl_add_u32 v4, v35, 1, v10
	ds_load_u16 v27, v4
; %bb.212:
	s_wait_alu 0xfffe
	s_or_b32 exec_lo, exec_lo, s11
	s_nor_b32 s7, s7, s10
	s_wait_alu 0xfffe
	s_and_saveexec_b32 s8, s7
	s_cbranch_execz .LBB1754_214
; %bb.213:
	s_wait_dscnt 0x0
	v_add_f16_e32 v4, 0, v27
	v_add_f16_e32 v5, 0, v14
	s_and_not1_b32 s10, s10, exec_lo
	s_delay_alu instid0(VALU_DEP_2) | instskip(SKIP_1) | instid1(VALU_DEP_1)
	v_cmp_lt_i16_e64 s7, -1, v4
	s_wait_alu 0xf1ff
	v_cndmask_b32_e64 v8, -1, 0xffff8000, s7
	v_cmp_lt_i16_e64 s7, -1, v5
	s_delay_alu instid0(VALU_DEP_2) | instskip(SKIP_1) | instid1(VALU_DEP_2)
	v_xor_b32_e32 v4, v8, v4
	s_wait_alu 0xf1ff
	v_cndmask_b32_e64 v9, -1, 0xffff8000, s7
	s_delay_alu instid0(VALU_DEP_1) | instskip(NEXT) | instid1(VALU_DEP_1)
	v_xor_b32_e32 v5, v9, v5
	v_cmp_le_u16_e64 s7, v4, v5
	s_and_b32 s7, s7, exec_lo
	s_wait_alu 0xfffe
	s_or_b32 s10, s10, s7
.LBB1754_214:
	s_wait_alu 0xfffe
	s_or_b32 exec_lo, exec_lo, s8
	v_cndmask_b32_e64 v4, v35, v34, s10
	v_cndmask_b32_e64 v5, v30, v29, s10
	s_mov_b32 s11, -1
	s_mov_b32 s8, -1
	s_mov_b32 s12, exec_lo
	v_add_nc_u32_e32 v8, 1, v4
	v_add_nc_u32_e32 v5, -1, v5
	v_lshl_add_u32 v4, v4, 3, v13
	s_delay_alu instid0(VALU_DEP_3) | instskip(NEXT) | instid1(VALU_DEP_3)
	v_cndmask_b32_e64 v15, v8, v35, s10
	v_min_u32_e32 v5, v8, v5
	v_cndmask_b32_e64 v16, v34, v8, s10
	s_delay_alu instid0(VALU_DEP_2)
	v_lshl_add_u32 v5, v5, 1, v10
	ds_load_u16 v9, v5
	ds_load_b64 v[4:5], v4 offset:4096
	s_wait_dscnt 0x1
	v_cndmask_b32_e64 v28, v9, v27, s10
	v_cndmask_b32_e64 v31, v14, v9, s10
	v_cmpx_lt_u32_e64 v15, v30
	s_cbranch_execz .LBB1754_218
; %bb.215:
	s_mov_b32 s13, 0
	s_mov_b32 s8, exec_lo
	v_cmpx_lt_u32_e64 v16, v29
	s_cbranch_execz .LBB1754_217
; %bb.216:
	v_add_f16_e32 v8, 0, v28
	v_add_f16_e32 v9, 0, v31
	s_delay_alu instid0(VALU_DEP_2) | instskip(SKIP_1) | instid1(VALU_DEP_1)
	v_cmp_lt_i16_e64 s7, -1, v8
	s_wait_alu 0xf1ff
	v_cndmask_b32_e64 v17, -1, 0xffff8000, s7
	s_delay_alu instid0(VALU_DEP_3) | instskip(NEXT) | instid1(VALU_DEP_2)
	v_cmp_lt_i16_e64 s7, -1, v9
	v_xor_b32_e32 v8, v17, v8
	s_wait_alu 0xf1ff
	s_delay_alu instid0(VALU_DEP_2) | instskip(NEXT) | instid1(VALU_DEP_1)
	v_cndmask_b32_e64 v18, -1, 0xffff8000, s7
	v_xor_b32_e32 v9, v18, v9
	s_delay_alu instid0(VALU_DEP_1)
	v_cmp_le_u16_e64 s7, v8, v9
	s_and_b32 s13, s7, exec_lo
.LBB1754_217:
	s_wait_alu 0xfffe
	s_or_b32 exec_lo, exec_lo, s8
	s_delay_alu instid0(SALU_CYCLE_1)
	s_or_not1_b32 s8, s13, exec_lo
.LBB1754_218:
	s_wait_alu 0xfffe
	s_or_b32 exec_lo, exec_lo, s12
	v_cndmask_b32_e64 v8, v15, v16, s8
	v_cndmask_b32_e64 v9, v30, v29, s8
	s_mov_b32 s12, exec_lo
	s_delay_alu instid0(VALU_DEP_2) | instskip(NEXT) | instid1(VALU_DEP_2)
	v_add_nc_u32_e32 v18, 1, v8
	v_add_nc_u32_e32 v9, -1, v9
	v_lshl_add_u32 v8, v8, 3, v13
	s_delay_alu instid0(VALU_DEP_3) | instskip(NEXT) | instid1(VALU_DEP_3)
	v_cndmask_b32_e64 v17, v18, v15, s8
	v_min_u32_e32 v9, v18, v9
	v_cndmask_b32_e64 v18, v16, v18, s8
	s_delay_alu instid0(VALU_DEP_2)
	v_lshl_add_u32 v9, v9, 1, v10
	ds_load_u16 v19, v9
	ds_load_b64 v[8:9], v8 offset:4096
	s_wait_dscnt 0x1
	v_cndmask_b32_e64 v34, v19, v28, s8
	v_cndmask_b32_e64 v35, v31, v19, s8
	v_cmpx_lt_u32_e64 v17, v30
	s_cbranch_execz .LBB1754_222
; %bb.219:
	s_mov_b32 s13, 0
	s_mov_b32 s11, exec_lo
	v_cmpx_lt_u32_e64 v18, v29
	s_cbranch_execz .LBB1754_221
; %bb.220:
	v_add_f16_e32 v15, 0, v34
	v_add_f16_e32 v16, 0, v35
	s_delay_alu instid0(VALU_DEP_2) | instskip(SKIP_1) | instid1(VALU_DEP_1)
	v_cmp_lt_i16_e64 s7, -1, v15
	s_wait_alu 0xf1ff
	v_cndmask_b32_e64 v19, -1, 0xffff8000, s7
	s_delay_alu instid0(VALU_DEP_3) | instskip(NEXT) | instid1(VALU_DEP_2)
	v_cmp_lt_i16_e64 s7, -1, v16
	v_xor_b32_e32 v15, v19, v15
	s_wait_alu 0xf1ff
	s_delay_alu instid0(VALU_DEP_2) | instskip(NEXT) | instid1(VALU_DEP_1)
	v_cndmask_b32_e64 v20, -1, 0xffff8000, s7
	v_xor_b32_e32 v16, v20, v16
	s_delay_alu instid0(VALU_DEP_1)
	v_cmp_le_u16_e64 s7, v15, v16
	s_and_b32 s13, s7, exec_lo
.LBB1754_221:
	s_wait_alu 0xfffe
	s_or_b32 exec_lo, exec_lo, s11
	s_delay_alu instid0(SALU_CYCLE_1)
	s_or_not1_b32 s11, s13, exec_lo
.LBB1754_222:
	s_wait_alu 0xfffe
	s_or_b32 exec_lo, exec_lo, s12
	v_cndmask_b32_e64 v15, v17, v18, s11
	v_cndmask_b32_e64 v16, v30, v29, s11
	s_mov_b32 s13, -1
	s_mov_b32 s12, -1
	s_mov_b32 s14, exec_lo
	v_add_nc_u32_e32 v20, 1, v15
	v_add_nc_u32_e32 v16, -1, v16
	v_lshl_add_u32 v15, v15, 3, v13
	s_delay_alu instid0(VALU_DEP_3) | instskip(NEXT) | instid1(VALU_DEP_3)
	v_cndmask_b32_e64 v19, v20, v17, s11
	v_min_u32_e32 v16, v20, v16
	v_cndmask_b32_e64 v20, v18, v20, s11
	s_delay_alu instid0(VALU_DEP_2)
	v_lshl_add_u32 v16, v16, 1, v10
	ds_load_u16 v21, v16
	ds_load_b64 v[15:16], v15 offset:4096
	s_wait_dscnt 0x1
	v_cndmask_b32_e64 v36, v21, v34, s11
	v_cndmask_b32_e64 v37, v35, v21, s11
	v_cmpx_lt_u32_e64 v19, v30
	s_cbranch_execz .LBB1754_226
; %bb.223:
	s_mov_b32 s15, 0
	s_mov_b32 s12, exec_lo
	v_cmpx_lt_u32_e64 v20, v29
	s_cbranch_execz .LBB1754_225
; %bb.224:
	v_add_f16_e32 v17, 0, v36
	v_add_f16_e32 v18, 0, v37
	s_delay_alu instid0(VALU_DEP_2) | instskip(SKIP_1) | instid1(VALU_DEP_1)
	v_cmp_lt_i16_e64 s7, -1, v17
	s_wait_alu 0xf1ff
	v_cndmask_b32_e64 v21, -1, 0xffff8000, s7
	s_delay_alu instid0(VALU_DEP_3) | instskip(NEXT) | instid1(VALU_DEP_2)
	v_cmp_lt_i16_e64 s7, -1, v18
	v_xor_b32_e32 v17, v21, v17
	s_wait_alu 0xf1ff
	s_delay_alu instid0(VALU_DEP_2) | instskip(NEXT) | instid1(VALU_DEP_1)
	v_cndmask_b32_e64 v22, -1, 0xffff8000, s7
	v_xor_b32_e32 v18, v22, v18
	s_delay_alu instid0(VALU_DEP_1)
	v_cmp_le_u16_e64 s7, v17, v18
	s_and_b32 s15, s7, exec_lo
.LBB1754_225:
	s_wait_alu 0xfffe
	s_or_b32 exec_lo, exec_lo, s12
	s_delay_alu instid0(SALU_CYCLE_1)
	s_or_not1_b32 s12, s15, exec_lo
.LBB1754_226:
	s_wait_alu 0xfffe
	s_or_b32 exec_lo, exec_lo, s14
	v_cndmask_b32_e64 v17, v19, v20, s12
	v_cndmask_b32_e64 v18, v30, v29, s12
	s_mov_b32 s14, exec_lo
	s_delay_alu instid0(VALU_DEP_2) | instskip(NEXT) | instid1(VALU_DEP_2)
	v_add_nc_u32_e32 v22, 1, v17
	v_add_nc_u32_e32 v18, -1, v18
	v_lshl_add_u32 v17, v17, 3, v13
	s_delay_alu instid0(VALU_DEP_3) | instskip(NEXT) | instid1(VALU_DEP_3)
	v_cndmask_b32_e64 v21, v22, v19, s12
	v_min_u32_e32 v18, v22, v18
	v_cndmask_b32_e64 v22, v20, v22, s12
	s_delay_alu instid0(VALU_DEP_2)
	v_lshl_add_u32 v18, v18, 1, v10
	ds_load_u16 v23, v18
	ds_load_b64 v[17:18], v17 offset:4096
	s_wait_dscnt 0x1
	v_cndmask_b32_e64 v39, v23, v36, s12
	v_cndmask_b32_e64 v48, v37, v23, s12
	v_cmpx_lt_u32_e64 v21, v30
	s_cbranch_execz .LBB1754_230
; %bb.227:
	s_mov_b32 s15, 0
	s_mov_b32 s13, exec_lo
	v_cmpx_lt_u32_e64 v22, v29
	s_cbranch_execz .LBB1754_229
; %bb.228:
	v_add_f16_e32 v19, 0, v39
	v_add_f16_e32 v20, 0, v48
	s_delay_alu instid0(VALU_DEP_2) | instskip(SKIP_1) | instid1(VALU_DEP_1)
	v_cmp_lt_i16_e64 s7, -1, v19
	s_wait_alu 0xf1ff
	v_cndmask_b32_e64 v23, -1, 0xffff8000, s7
	s_delay_alu instid0(VALU_DEP_3) | instskip(NEXT) | instid1(VALU_DEP_2)
	v_cmp_lt_i16_e64 s7, -1, v20
	v_xor_b32_e32 v19, v23, v19
	s_wait_alu 0xf1ff
	s_delay_alu instid0(VALU_DEP_2) | instskip(NEXT) | instid1(VALU_DEP_1)
	v_cndmask_b32_e64 v24, -1, 0xffff8000, s7
	v_xor_b32_e32 v20, v24, v20
	s_delay_alu instid0(VALU_DEP_1)
	v_cmp_le_u16_e64 s7, v19, v20
	s_and_b32 s15, s7, exec_lo
.LBB1754_229:
	s_wait_alu 0xfffe
	s_or_b32 exec_lo, exec_lo, s13
	s_delay_alu instid0(SALU_CYCLE_1)
	s_or_not1_b32 s13, s15, exec_lo
.LBB1754_230:
	s_wait_alu 0xfffe
	s_or_b32 exec_lo, exec_lo, s14
	v_cndmask_b32_e64 v19, v21, v22, s13
	v_cndmask_b32_e64 v20, v30, v29, s13
	s_mov_b32 s15, -1
	s_mov_b32 s14, -1
	s_mov_b32 s16, exec_lo
	v_add_nc_u32_e32 v23, 1, v19
	v_add_nc_u32_e32 v20, -1, v20
	v_lshl_add_u32 v19, v19, 3, v13
	s_delay_alu instid0(VALU_DEP_3) | instskip(NEXT) | instid1(VALU_DEP_3)
	v_cndmask_b32_e64 v21, v23, v21, s13
	v_min_u32_e32 v20, v23, v20
	v_cndmask_b32_e64 v22, v22, v23, s13
	s_delay_alu instid0(VALU_DEP_2)
	v_lshl_add_u32 v20, v20, 1, v10
	ds_load_u16 v24, v20
	ds_load_b64 v[19:20], v19 offset:4096
	s_wait_dscnt 0x1
	v_cndmask_b32_e64 v38, v24, v39, s13
	v_cndmask_b32_e64 v49, v48, v24, s13
	v_cmpx_lt_u32_e64 v21, v30
	s_cbranch_execz .LBB1754_234
; %bb.231:
	s_mov_b32 s17, 0
	s_mov_b32 s14, exec_lo
	v_cmpx_lt_u32_e64 v22, v29
	s_cbranch_execz .LBB1754_233
; %bb.232:
	v_add_f16_e32 v23, 0, v38
	v_add_f16_e32 v24, 0, v49
	s_delay_alu instid0(VALU_DEP_2) | instskip(SKIP_1) | instid1(VALU_DEP_1)
	v_cmp_lt_i16_e64 s7, -1, v23
	s_wait_alu 0xf1ff
	v_cndmask_b32_e64 v25, -1, 0xffff8000, s7
	s_delay_alu instid0(VALU_DEP_3) | instskip(NEXT) | instid1(VALU_DEP_2)
	v_cmp_lt_i16_e64 s7, -1, v24
	v_xor_b32_e32 v23, v25, v23
	s_wait_alu 0xf1ff
	s_delay_alu instid0(VALU_DEP_2) | instskip(NEXT) | instid1(VALU_DEP_1)
	v_cndmask_b32_e64 v26, -1, 0xffff8000, s7
	v_xor_b32_e32 v24, v26, v24
	s_delay_alu instid0(VALU_DEP_1)
	v_cmp_le_u16_e64 s7, v23, v24
	s_and_b32 s17, s7, exec_lo
.LBB1754_233:
	s_wait_alu 0xfffe
	s_or_b32 exec_lo, exec_lo, s14
	s_delay_alu instid0(SALU_CYCLE_1)
	s_or_not1_b32 s14, s17, exec_lo
.LBB1754_234:
	s_wait_alu 0xfffe
	s_or_b32 exec_lo, exec_lo, s16
	v_cndmask_b32_e64 v23, v21, v22, s14
	v_cndmask_b32_e64 v24, v30, v29, s14
	s_mov_b32 s16, exec_lo
	s_delay_alu instid0(VALU_DEP_2) | instskip(NEXT) | instid1(VALU_DEP_2)
	v_add_nc_u32_e32 v26, 1, v23
	v_add_nc_u32_e32 v24, -1, v24
	v_lshl_add_u32 v23, v23, 3, v13
	s_delay_alu instid0(VALU_DEP_3) | instskip(NEXT) | instid1(VALU_DEP_3)
	v_cndmask_b32_e64 v25, v26, v21, s14
	v_min_u32_e32 v24, v26, v24
	v_cndmask_b32_e64 v26, v22, v26, s14
	s_delay_alu instid0(VALU_DEP_2)
	v_lshl_add_u32 v24, v24, 1, v10
	ds_load_u16 v51, v24
	ds_load_b64 v[23:24], v23 offset:4096
	s_wait_dscnt 0x1
	v_cndmask_b32_e64 v50, v51, v38, s14
	v_cndmask_b32_e64 v51, v49, v51, s14
	v_cmpx_lt_u32_e64 v25, v30
	s_cbranch_execz .LBB1754_238
; %bb.235:
	s_mov_b32 s17, 0
	s_mov_b32 s15, exec_lo
	v_cmpx_lt_u32_e64 v26, v29
	s_cbranch_execz .LBB1754_237
; %bb.236:
	v_add_f16_e32 v21, 0, v50
	v_add_f16_e32 v22, 0, v51
	s_delay_alu instid0(VALU_DEP_2) | instskip(SKIP_1) | instid1(VALU_DEP_1)
	v_cmp_lt_i16_e64 s7, -1, v21
	s_wait_alu 0xf1ff
	v_cndmask_b32_e64 v52, -1, 0xffff8000, s7
	s_delay_alu instid0(VALU_DEP_3) | instskip(NEXT) | instid1(VALU_DEP_2)
	v_cmp_lt_i16_e64 s7, -1, v22
	v_xor_b32_e32 v21, v52, v21
	s_wait_alu 0xf1ff
	s_delay_alu instid0(VALU_DEP_2) | instskip(NEXT) | instid1(VALU_DEP_1)
	v_cndmask_b32_e64 v53, -1, 0xffff8000, s7
	v_xor_b32_e32 v22, v53, v22
	s_delay_alu instid0(VALU_DEP_1)
	v_cmp_le_u16_e64 s7, v21, v22
	s_and_b32 s17, s7, exec_lo
.LBB1754_237:
	s_wait_alu 0xfffe
	s_or_b32 exec_lo, exec_lo, s15
	s_delay_alu instid0(SALU_CYCLE_1)
	s_or_not1_b32 s15, s17, exec_lo
.LBB1754_238:
	s_wait_alu 0xfffe
	s_or_b32 exec_lo, exec_lo, s16
	v_cndmask_b32_e64 v21, v25, v26, s15
	v_cndmask_b32_e64 v22, v30, v29, s15
	s_mov_b32 s17, -1
	s_mov_b32 s16, exec_lo
	s_delay_alu instid0(VALU_DEP_2) | instskip(NEXT) | instid1(VALU_DEP_2)
	v_add_nc_u32_e32 v52, 1, v21
	v_add_nc_u32_e32 v22, -1, v22
	s_delay_alu instid0(VALU_DEP_2) | instskip(NEXT) | instid1(VALU_DEP_2)
	v_cndmask_b32_e64 v25, v52, v25, s15
	v_min_u32_e32 v22, v52, v22
	v_cndmask_b32_e64 v26, v26, v52, s15
	s_delay_alu instid0(VALU_DEP_2)
	v_lshl_add_u32 v10, v22, 1, v10
	ds_load_u16 v53, v10
	v_lshl_add_u32 v10, v21, 3, v13
	ds_load_b64 v[21:22], v10 offset:4096
	s_wait_dscnt 0x1
	v_cndmask_b32_e64 v10, v53, v50, s15
	v_cndmask_b32_e64 v52, v51, v53, s15
	v_cmpx_lt_u32_e64 v25, v30
	s_cbranch_execz .LBB1754_242
; %bb.239:
	s_mov_b32 s18, 0
	s_mov_b32 s17, exec_lo
	v_cmpx_lt_u32_e64 v26, v29
	s_cbranch_execz .LBB1754_241
; %bb.240:
	v_add_f16_e32 v29, 0, v10
	v_add_f16_e32 v30, 0, v52
	s_delay_alu instid0(VALU_DEP_2) | instskip(SKIP_1) | instid1(VALU_DEP_1)
	v_cmp_lt_i16_e64 s7, -1, v29
	s_wait_alu 0xf1ff
	v_cndmask_b32_e64 v53, -1, 0xffff8000, s7
	s_delay_alu instid0(VALU_DEP_3) | instskip(NEXT) | instid1(VALU_DEP_2)
	v_cmp_lt_i16_e64 s7, -1, v30
	v_xor_b32_e32 v29, v53, v29
	s_wait_alu 0xf1ff
	s_delay_alu instid0(VALU_DEP_2) | instskip(NEXT) | instid1(VALU_DEP_1)
	v_cndmask_b32_e64 v54, -1, 0xffff8000, s7
	v_xor_b32_e32 v30, v54, v30
	s_delay_alu instid0(VALU_DEP_1)
	v_cmp_le_u16_e64 s7, v29, v30
	s_and_b32 s18, s7, exec_lo
.LBB1754_241:
	s_wait_alu 0xfffe
	s_or_b32 exec_lo, exec_lo, s17
	s_delay_alu instid0(SALU_CYCLE_1)
	s_or_not1_b32 s17, s18, exec_lo
.LBB1754_242:
	s_wait_alu 0xfffe
	s_or_b32 exec_lo, exec_lo, s16
	v_cndmask_b32_e64 v25, v25, v26, s17
	v_cndmask_b32_e64 v50, v50, v51, s15
	;; [unrolled: 1-line block ×5, first 2 shown]
	v_lshl_add_u32 v13, v25, 3, v13
	v_cndmask_b32_e64 v48, v34, v35, s11
	v_cndmask_b32_e64 v39, v28, v31, s8
	;; [unrolled: 1-line block ×4, first 2 shown]
	ds_load_b64 v[25:26], v13 offset:4096
.LBB1754_243:
	s_wait_alu 0xfffe
	s_or_b32 exec_lo, exec_lo, s9
	v_add_co_u32 v2, s7, v2, v11
	s_wait_alu 0xf1ff
	v_add_co_ci_u32_e64 v3, null, v3, v12, s7
	s_delay_alu instid0(VALU_DEP_2) | instskip(SKIP_1) | instid1(VALU_DEP_2)
	v_add_co_u32 v2, s7, v2, v32
	s_wait_alu 0xf1ff
	v_add_co_ci_u32_e64 v3, null, 0, v3, s7
	; wave barrier
	s_wait_storecnt_dscnt 0x0
	s_barrier_signal -1
	s_barrier_wait -1
	global_inv scope:SCOPE_SE
	; wave barrier
	s_and_saveexec_b32 s7, vcc_lo
	s_cbranch_execnz .LBB1754_268
; %bb.244:
	s_wait_alu 0xfffe
	s_or_b32 exec_lo, exec_lo, s7
	s_and_saveexec_b32 s7, s0
	s_cbranch_execnz .LBB1754_269
.LBB1754_245:
	s_wait_alu 0xfffe
	s_or_b32 exec_lo, exec_lo, s7
	s_and_saveexec_b32 s7, s1
	s_cbranch_execnz .LBB1754_270
.LBB1754_246:
	s_wait_alu 0xfffe
	s_or_b32 exec_lo, exec_lo, s7
	s_and_saveexec_b32 s7, s2
	s_cbranch_execnz .LBB1754_271
.LBB1754_247:
	s_wait_alu 0xfffe
	s_or_b32 exec_lo, exec_lo, s7
	s_and_saveexec_b32 s7, s3
	s_cbranch_execnz .LBB1754_272
.LBB1754_248:
	s_wait_alu 0xfffe
	s_or_b32 exec_lo, exec_lo, s7
	s_and_saveexec_b32 s7, s4
	s_cbranch_execnz .LBB1754_273
.LBB1754_249:
	s_wait_alu 0xfffe
	s_or_b32 exec_lo, exec_lo, s7
	s_and_saveexec_b32 s7, s5
	s_cbranch_execnz .LBB1754_274
.LBB1754_250:
	s_wait_alu 0xfffe
	s_or_b32 exec_lo, exec_lo, s7
	s_and_saveexec_b32 s7, s6
	s_cbranch_execz .LBB1754_252
.LBB1754_251:
	flat_store_b16 v[2:3], v37 offset:14
.LBB1754_252:
	s_wait_alu 0xfffe
	s_or_b32 exec_lo, exec_lo, s7
	v_add_co_u32 v0, s7, v6, v0
	s_wait_alu 0xf1ff
	v_add_co_ci_u32_e64 v1, null, v7, v1, s7
	s_delay_alu instid0(VALU_DEP_2) | instskip(SKIP_1) | instid1(VALU_DEP_2)
	v_add_co_u32 v0, s7, v0, v33
	s_wait_alu 0xf1ff
	v_add_co_ci_u32_e64 v1, null, 0, v1, s7
	; wave barrier
	s_and_saveexec_b32 s7, vcc_lo
	s_cbranch_execnz .LBB1754_275
; %bb.253:
	s_wait_alu 0xfffe
	s_or_b32 exec_lo, exec_lo, s7
	s_and_saveexec_b32 s7, s0
	s_cbranch_execnz .LBB1754_276
.LBB1754_254:
	s_wait_alu 0xfffe
	s_or_b32 exec_lo, exec_lo, s7
	s_and_saveexec_b32 s0, s1
	s_cbranch_execnz .LBB1754_277
.LBB1754_255:
	s_wait_alu 0xfffe
	s_or_b32 exec_lo, exec_lo, s0
	s_and_saveexec_b32 s0, s2
	s_cbranch_execnz .LBB1754_278
.LBB1754_256:
	s_wait_alu 0xfffe
	s_or_b32 exec_lo, exec_lo, s0
	s_and_saveexec_b32 s0, s3
	s_cbranch_execnz .LBB1754_279
.LBB1754_257:
	s_wait_alu 0xfffe
	s_or_b32 exec_lo, exec_lo, s0
	s_and_saveexec_b32 s0, s4
	s_cbranch_execnz .LBB1754_280
.LBB1754_258:
	s_wait_alu 0xfffe
	s_or_b32 exec_lo, exec_lo, s0
	s_and_saveexec_b32 s0, s5
	s_cbranch_execnz .LBB1754_281
.LBB1754_259:
	s_wait_alu 0xfffe
	s_or_b32 exec_lo, exec_lo, s0
	s_and_saveexec_b32 s0, s6
	s_cbranch_execnz .LBB1754_282
.LBB1754_260:
	s_wait_alu 0xfffe
	s_or_b32 exec_lo, exec_lo, s0
	s_wait_loadcnt_dscnt 0x0
	s_setpc_b64 s[30:31]
.LBB1754_261:
	flat_load_b64 v[4:5], v[13:14]
	s_wait_alu 0xfffe
	s_or_b32 exec_lo, exec_lo, s7
                                        ; implicit-def: $vgpr8_vgpr9
	s_and_saveexec_b32 s7, s0
	s_cbranch_execz .LBB1754_18
.LBB1754_262:
	flat_load_b64 v[8:9], v[13:14] offset:8
	s_wait_alu 0xfffe
	s_or_b32 exec_lo, exec_lo, s7
                                        ; implicit-def: $vgpr15_vgpr16
	s_and_saveexec_b32 s7, s1
	s_cbranch_execz .LBB1754_19
.LBB1754_263:
	flat_load_b64 v[15:16], v[13:14] offset:16
	s_wait_alu 0xfffe
	s_or_b32 exec_lo, exec_lo, s7
                                        ; implicit-def: $vgpr17_vgpr18
	s_and_saveexec_b32 s7, s2
	s_cbranch_execz .LBB1754_20
.LBB1754_264:
	flat_load_b64 v[17:18], v[13:14] offset:24
	s_wait_alu 0xfffe
	s_or_b32 exec_lo, exec_lo, s7
                                        ; implicit-def: $vgpr19_vgpr20
	s_and_saveexec_b32 s7, s3
	s_cbranch_execz .LBB1754_21
.LBB1754_265:
	flat_load_b64 v[19:20], v[13:14] offset:32
	s_wait_alu 0xfffe
	s_or_b32 exec_lo, exec_lo, s7
                                        ; implicit-def: $vgpr23_vgpr24
	s_and_saveexec_b32 s7, s4
	s_cbranch_execz .LBB1754_22
.LBB1754_266:
	flat_load_b64 v[23:24], v[13:14] offset:40
	s_wait_alu 0xfffe
	s_or_b32 exec_lo, exec_lo, s7
                                        ; implicit-def: $vgpr21_vgpr22
	s_and_saveexec_b32 s7, s5
	s_cbranch_execz .LBB1754_23
.LBB1754_267:
	flat_load_b64 v[21:22], v[13:14] offset:48
	s_wait_alu 0xfffe
	s_or_b32 exec_lo, exec_lo, s7
                                        ; implicit-def: $vgpr25_vgpr26
	s_and_saveexec_b32 s7, s6
	s_cbranch_execnz .LBB1754_24
	s_branch .LBB1754_25
.LBB1754_268:
	flat_store_b16 v[2:3], v36
	s_wait_alu 0xfffe
	s_or_b32 exec_lo, exec_lo, s7
	s_and_saveexec_b32 s7, s0
	s_cbranch_execz .LBB1754_245
.LBB1754_269:
	flat_store_b16 v[2:3], v39 offset:2
	s_wait_alu 0xfffe
	s_or_b32 exec_lo, exec_lo, s7
	s_and_saveexec_b32 s7, s1
	s_cbranch_execz .LBB1754_246
.LBB1754_270:
	flat_store_b16 v[2:3], v48 offset:4
	s_wait_alu 0xfffe
	s_or_b32 exec_lo, exec_lo, s7
	s_and_saveexec_b32 s7, s2
	s_cbranch_execz .LBB1754_247
.LBB1754_271:
	flat_store_b16 v[2:3], v51 offset:6
	s_wait_alu 0xfffe
	s_or_b32 exec_lo, exec_lo, s7
	s_and_saveexec_b32 s7, s3
	s_cbranch_execz .LBB1754_248
.LBB1754_272:
	flat_store_b16 v[2:3], v49 offset:8
	s_wait_alu 0xfffe
	s_or_b32 exec_lo, exec_lo, s7
	s_and_saveexec_b32 s7, s4
	s_cbranch_execz .LBB1754_249
.LBB1754_273:
	flat_store_b16 v[2:3], v38 offset:10
	s_wait_alu 0xfffe
	s_or_b32 exec_lo, exec_lo, s7
	s_and_saveexec_b32 s7, s5
	s_cbranch_execz .LBB1754_250
.LBB1754_274:
	flat_store_b16 v[2:3], v50 offset:12
	s_wait_alu 0xfffe
	s_or_b32 exec_lo, exec_lo, s7
	s_and_saveexec_b32 s7, s6
	s_cbranch_execnz .LBB1754_251
	s_branch .LBB1754_252
.LBB1754_275:
	flat_store_b64 v[0:1], v[4:5]
	s_wait_alu 0xfffe
	s_or_b32 exec_lo, exec_lo, s7
	s_and_saveexec_b32 s7, s0
	s_cbranch_execz .LBB1754_254
.LBB1754_276:
	flat_store_b64 v[0:1], v[8:9] offset:8
	s_wait_alu 0xfffe
	s_or_b32 exec_lo, exec_lo, s7
	s_and_saveexec_b32 s0, s1
	s_cbranch_execz .LBB1754_255
.LBB1754_277:
	flat_store_b64 v[0:1], v[15:16] offset:16
	s_wait_alu 0xfffe
	s_or_b32 exec_lo, exec_lo, s0
	s_and_saveexec_b32 s0, s2
	s_cbranch_execz .LBB1754_256
.LBB1754_278:
	flat_store_b64 v[0:1], v[17:18] offset:24
	s_wait_alu 0xfffe
	s_or_b32 exec_lo, exec_lo, s0
	s_and_saveexec_b32 s0, s3
	s_cbranch_execz .LBB1754_257
.LBB1754_279:
	flat_store_b64 v[0:1], v[19:20] offset:32
	s_wait_alu 0xfffe
	s_or_b32 exec_lo, exec_lo, s0
	s_and_saveexec_b32 s0, s4
	s_cbranch_execz .LBB1754_258
.LBB1754_280:
	flat_store_b64 v[0:1], v[23:24] offset:40
	s_wait_alu 0xfffe
	s_or_b32 exec_lo, exec_lo, s0
	s_and_saveexec_b32 s0, s5
	s_cbranch_execz .LBB1754_259
.LBB1754_281:
	flat_store_b64 v[0:1], v[21:22] offset:48
	s_wait_alu 0xfffe
	s_or_b32 exec_lo, exec_lo, s0
	s_and_saveexec_b32 s0, s6
	s_cbranch_execz .LBB1754_260
.LBB1754_282:
	flat_store_b64 v[0:1], v[25:26] offset:56
	s_wait_alu 0xfffe
	s_or_b32 exec_lo, exec_lo, s0
	s_wait_loadcnt_dscnt 0x0
	s_setpc_b64 s[30:31]
.Lfunc_end1754:
	.size	_ZN7rocprim17ROCPRIM_400000_NS6detail26segmented_warp_sort_helperINS1_20WarpSortHelperConfigILj16ELj8ELj256EEE6__halflLi256ELb1EvE4sortIPKS5_PS5_PKlPlEEvT_T0_T1_T2_jjjjRNS6_12storage_typeE, .Lfunc_end1754-_ZN7rocprim17ROCPRIM_400000_NS6detail26segmented_warp_sort_helperINS1_20WarpSortHelperConfigILj16ELj8ELj256EEE6__halflLi256ELb1EvE4sortIPKS5_PS5_PKlPlEEvT_T0_T1_T2_jjjjRNS6_12storage_typeE
                                        ; -- End function
	.set .L_ZN7rocprim17ROCPRIM_400000_NS6detail26segmented_warp_sort_helperINS1_20WarpSortHelperConfigILj16ELj8ELj256EEE6__halflLi256ELb1EvE4sortIPKS5_PS5_PKlPlEEvT_T0_T1_T2_jjjjRNS6_12storage_typeE.num_vgpr, 70
	.set .L_ZN7rocprim17ROCPRIM_400000_NS6detail26segmented_warp_sort_helperINS1_20WarpSortHelperConfigILj16ELj8ELj256EEE6__halflLi256ELb1EvE4sortIPKS5_PS5_PKlPlEEvT_T0_T1_T2_jjjjRNS6_12storage_typeE.num_agpr, 0
	.set .L_ZN7rocprim17ROCPRIM_400000_NS6detail26segmented_warp_sort_helperINS1_20WarpSortHelperConfigILj16ELj8ELj256EEE6__halflLi256ELb1EvE4sortIPKS5_PS5_PKlPlEEvT_T0_T1_T2_jjjjRNS6_12storage_typeE.numbered_sgpr, 32
	.set .L_ZN7rocprim17ROCPRIM_400000_NS6detail26segmented_warp_sort_helperINS1_20WarpSortHelperConfigILj16ELj8ELj256EEE6__halflLi256ELb1EvE4sortIPKS5_PS5_PKlPlEEvT_T0_T1_T2_jjjjRNS6_12storage_typeE.num_named_barrier, 0
	.set .L_ZN7rocprim17ROCPRIM_400000_NS6detail26segmented_warp_sort_helperINS1_20WarpSortHelperConfigILj16ELj8ELj256EEE6__halflLi256ELb1EvE4sortIPKS5_PS5_PKlPlEEvT_T0_T1_T2_jjjjRNS6_12storage_typeE.private_seg_size, 0
	.set .L_ZN7rocprim17ROCPRIM_400000_NS6detail26segmented_warp_sort_helperINS1_20WarpSortHelperConfigILj16ELj8ELj256EEE6__halflLi256ELb1EvE4sortIPKS5_PS5_PKlPlEEvT_T0_T1_T2_jjjjRNS6_12storage_typeE.uses_vcc, 1
	.set .L_ZN7rocprim17ROCPRIM_400000_NS6detail26segmented_warp_sort_helperINS1_20WarpSortHelperConfigILj16ELj8ELj256EEE6__halflLi256ELb1EvE4sortIPKS5_PS5_PKlPlEEvT_T0_T1_T2_jjjjRNS6_12storage_typeE.uses_flat_scratch, 0
	.set .L_ZN7rocprim17ROCPRIM_400000_NS6detail26segmented_warp_sort_helperINS1_20WarpSortHelperConfigILj16ELj8ELj256EEE6__halflLi256ELb1EvE4sortIPKS5_PS5_PKlPlEEvT_T0_T1_T2_jjjjRNS6_12storage_typeE.has_dyn_sized_stack, 0
	.set .L_ZN7rocprim17ROCPRIM_400000_NS6detail26segmented_warp_sort_helperINS1_20WarpSortHelperConfigILj16ELj8ELj256EEE6__halflLi256ELb1EvE4sortIPKS5_PS5_PKlPlEEvT_T0_T1_T2_jjjjRNS6_12storage_typeE.has_recursion, 0
	.set .L_ZN7rocprim17ROCPRIM_400000_NS6detail26segmented_warp_sort_helperINS1_20WarpSortHelperConfigILj16ELj8ELj256EEE6__halflLi256ELb1EvE4sortIPKS5_PS5_PKlPlEEvT_T0_T1_T2_jjjjRNS6_12storage_typeE.has_indirect_call, 0
	.section	.AMDGPU.csdata,"",@progbits
; Function info:
; codeLenInByte = 16288
; TotalNumSgprs: 34
; NumVgprs: 70
; ScratchSize: 0
; MemoryBound: 0
	.section	.text._ZN7rocprim17ROCPRIM_400000_NS6detail17trampoline_kernelINS0_14default_configENS1_36segmented_radix_sort_config_selectorI6__halflEEZNS1_25segmented_radix_sort_implIS3_Lb1EPKS5_PS5_PKlPlN2at6native12_GLOBAL__N_18offset_tEEE10hipError_tPvRmT1_PNSt15iterator_traitsISL_E10value_typeET2_T3_PNSM_ISR_E10value_typeET4_jRbjT5_SX_jjP12ihipStream_tbEUlT_E0_NS1_11comp_targetILNS1_3genE10ELNS1_11target_archE1201ELNS1_3gpuE5ELNS1_3repE0EEENS1_60segmented_radix_sort_warp_sort_medium_config_static_selectorELNS0_4arch9wavefront6targetE0EEEvSL_,"axG",@progbits,_ZN7rocprim17ROCPRIM_400000_NS6detail17trampoline_kernelINS0_14default_configENS1_36segmented_radix_sort_config_selectorI6__halflEEZNS1_25segmented_radix_sort_implIS3_Lb1EPKS5_PS5_PKlPlN2at6native12_GLOBAL__N_18offset_tEEE10hipError_tPvRmT1_PNSt15iterator_traitsISL_E10value_typeET2_T3_PNSM_ISR_E10value_typeET4_jRbjT5_SX_jjP12ihipStream_tbEUlT_E0_NS1_11comp_targetILNS1_3genE10ELNS1_11target_archE1201ELNS1_3gpuE5ELNS1_3repE0EEENS1_60segmented_radix_sort_warp_sort_medium_config_static_selectorELNS0_4arch9wavefront6targetE0EEEvSL_,comdat
	.globl	_ZN7rocprim17ROCPRIM_400000_NS6detail17trampoline_kernelINS0_14default_configENS1_36segmented_radix_sort_config_selectorI6__halflEEZNS1_25segmented_radix_sort_implIS3_Lb1EPKS5_PS5_PKlPlN2at6native12_GLOBAL__N_18offset_tEEE10hipError_tPvRmT1_PNSt15iterator_traitsISL_E10value_typeET2_T3_PNSM_ISR_E10value_typeET4_jRbjT5_SX_jjP12ihipStream_tbEUlT_E0_NS1_11comp_targetILNS1_3genE10ELNS1_11target_archE1201ELNS1_3gpuE5ELNS1_3repE0EEENS1_60segmented_radix_sort_warp_sort_medium_config_static_selectorELNS0_4arch9wavefront6targetE0EEEvSL_ ; -- Begin function _ZN7rocprim17ROCPRIM_400000_NS6detail17trampoline_kernelINS0_14default_configENS1_36segmented_radix_sort_config_selectorI6__halflEEZNS1_25segmented_radix_sort_implIS3_Lb1EPKS5_PS5_PKlPlN2at6native12_GLOBAL__N_18offset_tEEE10hipError_tPvRmT1_PNSt15iterator_traitsISL_E10value_typeET2_T3_PNSM_ISR_E10value_typeET4_jRbjT5_SX_jjP12ihipStream_tbEUlT_E0_NS1_11comp_targetILNS1_3genE10ELNS1_11target_archE1201ELNS1_3gpuE5ELNS1_3repE0EEENS1_60segmented_radix_sort_warp_sort_medium_config_static_selectorELNS0_4arch9wavefront6targetE0EEEvSL_
	.p2align	8
	.type	_ZN7rocprim17ROCPRIM_400000_NS6detail17trampoline_kernelINS0_14default_configENS1_36segmented_radix_sort_config_selectorI6__halflEEZNS1_25segmented_radix_sort_implIS3_Lb1EPKS5_PS5_PKlPlN2at6native12_GLOBAL__N_18offset_tEEE10hipError_tPvRmT1_PNSt15iterator_traitsISL_E10value_typeET2_T3_PNSM_ISR_E10value_typeET4_jRbjT5_SX_jjP12ihipStream_tbEUlT_E0_NS1_11comp_targetILNS1_3genE10ELNS1_11target_archE1201ELNS1_3gpuE5ELNS1_3repE0EEENS1_60segmented_radix_sort_warp_sort_medium_config_static_selectorELNS0_4arch9wavefront6targetE0EEEvSL_,@function
_ZN7rocprim17ROCPRIM_400000_NS6detail17trampoline_kernelINS0_14default_configENS1_36segmented_radix_sort_config_selectorI6__halflEEZNS1_25segmented_radix_sort_implIS3_Lb1EPKS5_PS5_PKlPlN2at6native12_GLOBAL__N_18offset_tEEE10hipError_tPvRmT1_PNSt15iterator_traitsISL_E10value_typeET2_T3_PNSM_ISR_E10value_typeET4_jRbjT5_SX_jjP12ihipStream_tbEUlT_E0_NS1_11comp_targetILNS1_3genE10ELNS1_11target_archE1201ELNS1_3gpuE5ELNS1_3repE0EEENS1_60segmented_radix_sort_warp_sort_medium_config_static_selectorELNS0_4arch9wavefront6targetE0EEEvSL_: ; @_ZN7rocprim17ROCPRIM_400000_NS6detail17trampoline_kernelINS0_14default_configENS1_36segmented_radix_sort_config_selectorI6__halflEEZNS1_25segmented_radix_sort_implIS3_Lb1EPKS5_PS5_PKlPlN2at6native12_GLOBAL__N_18offset_tEEE10hipError_tPvRmT1_PNSt15iterator_traitsISL_E10value_typeET2_T3_PNSM_ISR_E10value_typeET4_jRbjT5_SX_jjP12ihipStream_tbEUlT_E0_NS1_11comp_targetILNS1_3genE10ELNS1_11target_archE1201ELNS1_3gpuE5ELNS1_3repE0EEENS1_60segmented_radix_sort_warp_sort_medium_config_static_selectorELNS0_4arch9wavefront6targetE0EEEvSL_
; %bb.0:
	s_load_b32 s2, s[0:1], 0x64
	v_bfe_u32 v1, v0, 10, 10
	v_bfe_u32 v2, v0, 20, 10
	s_mov_b32 s32, 0
	s_wait_kmcnt 0x0
	s_lshr_b32 s3, s2, 16
	s_and_b32 s2, s2, 0xffff
	v_mad_u32_u24 v2, v2, s3, v1
	v_and_b32_e32 v1, 0x3ff, v0
	s_load_b32 s3, s[0:1], 0x34
	s_delay_alu instid0(VALU_DEP_1) | instskip(SKIP_2) | instid1(VALU_DEP_1)
	v_mad_co_u64_u32 v[1:2], null, v2, s2, v[1:2]
	s_mov_b32 s2, exec_lo
	v_lshrrev_b32_e32 v1, 4, v1
	v_lshl_add_u32 v1, ttmp9, 4, v1
	s_wait_kmcnt 0x0
	s_delay_alu instid0(VALU_DEP_1)
	v_cmpx_gt_u32_e64 s3, v1
	s_cbranch_execz .LBB1755_6
; %bb.1:
	s_clause 0x1
	s_load_b64 s[2:3], s[0:1], 0x38
	s_load_b128 s[4:7], s[0:1], 0x40
	v_mov_b32_e32 v2, 0
	s_delay_alu instid0(VALU_DEP_1) | instskip(SKIP_1) | instid1(VALU_DEP_1)
	v_lshlrev_b64_e32 v[1:2], 2, v[1:2]
	s_wait_kmcnt 0x0
	v_add_co_u32 v1, vcc_lo, s2, v1
	s_delay_alu instid0(VALU_DEP_1) | instskip(SKIP_4) | instid1(VALU_DEP_2)
	v_add_co_ci_u32_e64 v2, null, s3, v2, vcc_lo
	global_load_b32 v1, v[1:2], off
	s_wait_loadcnt 0x0
	v_add_nc_u32_e32 v2, s5, v1
	v_add_nc_u32_e32 v1, s7, v1
	v_mul_lo_u32 v40, v2, s4
	s_delay_alu instid0(VALU_DEP_2) | instskip(NEXT) | instid1(VALU_DEP_1)
	v_mul_lo_u32 v41, v1, s6
	v_cmp_gt_u32_e32 vcc_lo, v41, v40
	s_and_b32 exec_lo, exec_lo, vcc_lo
	s_cbranch_execz .LBB1755_6
; %bb.2:
	s_clause 0x2
	s_load_b32 s2, s[0:1], 0x30
	s_load_b128 s[24:27], s[0:1], 0x20
	s_load_b256 s[36:43], s[0:1], 0x0
	s_add_nc_u64 s[20:21], s[0:1], 0x58
	s_wait_kmcnt 0x0
	s_bitcmp0_b32 s2, 0
	s_mov_b32 s2, -1
	s_cbranch_scc0 .LBB1755_4
; %bb.3:
	v_dual_mov_b32 v31, v0 :: v_dual_mov_b32 v42, v0
	v_dual_mov_b32 v0, s36 :: v_dual_mov_b32 v1, s37
	;; [unrolled: 1-line block ×6, first 2 shown]
	s_getpc_b64 s[0:1]
	s_wait_alu 0xfffe
	s_sext_i32_i16 s1, s1
	s_add_co_u32 s0, s0, _ZN7rocprim17ROCPRIM_400000_NS6detail26segmented_warp_sort_helperINS1_20WarpSortHelperConfigILj16ELj8ELj256EEE6__halflLi256ELb1EvE4sortIPKS5_PS5_PKlPlEEvT_T0_T1_T2_jjjjRNS6_12storage_typeE@rel32@lo+12
	s_wait_alu 0xfffe
	s_add_co_ci_u32 s1, s1, _ZN7rocprim17ROCPRIM_400000_NS6detail26segmented_warp_sort_helperINS1_20WarpSortHelperConfigILj16ELj8ELj256EEE6__halflLi256ELb1EvE4sortIPKS5_PS5_PKlPlEEvT_T0_T1_T2_jjjjRNS6_12storage_typeE@rel32@hi+24
	s_mov_b64 s[8:9], s[20:21]
	s_wait_alu 0xfffe
	s_swappc_b64 s[30:31], s[0:1]
	v_mov_b32_e32 v0, v42
	s_mov_b32 s2, 0
.LBB1755_4:
	s_wait_alu 0xfffe
	s_and_not1_b32 vcc_lo, exec_lo, s2
	s_wait_alu 0xfffe
	s_cbranch_vccnz .LBB1755_6
; %bb.5:
	v_dual_mov_b32 v31, v0 :: v_dual_mov_b32 v0, s36
	v_dual_mov_b32 v1, s37 :: v_dual_mov_b32 v2, s40
	;; [unrolled: 1-line block ×5, first 2 shown]
	v_mov_b32_e32 v9, v41
	s_getpc_b64 s[0:1]
	s_wait_alu 0xfffe
	s_sext_i32_i16 s1, s1
	s_add_co_u32 s0, s0, _ZN7rocprim17ROCPRIM_400000_NS6detail26segmented_warp_sort_helperINS1_20WarpSortHelperConfigILj16ELj8ELj256EEE6__halflLi256ELb1EvE4sortIPKS5_PS5_PKlPlEEvT_T0_T1_T2_jjjjRNS6_12storage_typeE@rel32@lo+12
	s_wait_alu 0xfffe
	s_add_co_ci_u32 s1, s1, _ZN7rocprim17ROCPRIM_400000_NS6detail26segmented_warp_sort_helperINS1_20WarpSortHelperConfigILj16ELj8ELj256EEE6__halflLi256ELb1EvE4sortIPKS5_PS5_PKlPlEEvT_T0_T1_T2_jjjjRNS6_12storage_typeE@rel32@hi+24
	s_mov_b64 s[8:9], s[20:21]
	s_wait_alu 0xfffe
	s_swappc_b64 s[30:31], s[0:1]
.LBB1755_6:
	s_endpgm
	.section	.rodata,"a",@progbits
	.p2align	6, 0x0
	.amdhsa_kernel _ZN7rocprim17ROCPRIM_400000_NS6detail17trampoline_kernelINS0_14default_configENS1_36segmented_radix_sort_config_selectorI6__halflEEZNS1_25segmented_radix_sort_implIS3_Lb1EPKS5_PS5_PKlPlN2at6native12_GLOBAL__N_18offset_tEEE10hipError_tPvRmT1_PNSt15iterator_traitsISL_E10value_typeET2_T3_PNSM_ISR_E10value_typeET4_jRbjT5_SX_jjP12ihipStream_tbEUlT_E0_NS1_11comp_targetILNS1_3genE10ELNS1_11target_archE1201ELNS1_3gpuE5ELNS1_3repE0EEENS1_60segmented_radix_sort_warp_sort_medium_config_static_selectorELNS0_4arch9wavefront6targetE0EEEvSL_
		.amdhsa_group_segment_fixed_size 20480
		.amdhsa_private_segment_fixed_size 0
		.amdhsa_kernarg_size 344
		.amdhsa_user_sgpr_count 2
		.amdhsa_user_sgpr_dispatch_ptr 0
		.amdhsa_user_sgpr_queue_ptr 0
		.amdhsa_user_sgpr_kernarg_segment_ptr 1
		.amdhsa_user_sgpr_dispatch_id 0
		.amdhsa_user_sgpr_private_segment_size 0
		.amdhsa_wavefront_size32 1
		.amdhsa_uses_dynamic_stack 0
		.amdhsa_enable_private_segment 0
		.amdhsa_system_sgpr_workgroup_id_x 1
		.amdhsa_system_sgpr_workgroup_id_y 1
		.amdhsa_system_sgpr_workgroup_id_z 0
		.amdhsa_system_sgpr_workgroup_info 0
		.amdhsa_system_vgpr_workitem_id 2
		.amdhsa_next_free_vgpr 97
		.amdhsa_next_free_sgpr 44
		.amdhsa_reserve_vcc 1
		.amdhsa_float_round_mode_32 0
		.amdhsa_float_round_mode_16_64 0
		.amdhsa_float_denorm_mode_32 3
		.amdhsa_float_denorm_mode_16_64 3
		.amdhsa_fp16_overflow 0
		.amdhsa_workgroup_processor_mode 1
		.amdhsa_memory_ordered 1
		.amdhsa_forward_progress 1
		.amdhsa_inst_pref_size 4
		.amdhsa_round_robin_scheduling 0
		.amdhsa_exception_fp_ieee_invalid_op 0
		.amdhsa_exception_fp_denorm_src 0
		.amdhsa_exception_fp_ieee_div_zero 0
		.amdhsa_exception_fp_ieee_overflow 0
		.amdhsa_exception_fp_ieee_underflow 0
		.amdhsa_exception_fp_ieee_inexact 0
		.amdhsa_exception_int_div_zero 0
	.end_amdhsa_kernel
	.section	.text._ZN7rocprim17ROCPRIM_400000_NS6detail17trampoline_kernelINS0_14default_configENS1_36segmented_radix_sort_config_selectorI6__halflEEZNS1_25segmented_radix_sort_implIS3_Lb1EPKS5_PS5_PKlPlN2at6native12_GLOBAL__N_18offset_tEEE10hipError_tPvRmT1_PNSt15iterator_traitsISL_E10value_typeET2_T3_PNSM_ISR_E10value_typeET4_jRbjT5_SX_jjP12ihipStream_tbEUlT_E0_NS1_11comp_targetILNS1_3genE10ELNS1_11target_archE1201ELNS1_3gpuE5ELNS1_3repE0EEENS1_60segmented_radix_sort_warp_sort_medium_config_static_selectorELNS0_4arch9wavefront6targetE0EEEvSL_,"axG",@progbits,_ZN7rocprim17ROCPRIM_400000_NS6detail17trampoline_kernelINS0_14default_configENS1_36segmented_radix_sort_config_selectorI6__halflEEZNS1_25segmented_radix_sort_implIS3_Lb1EPKS5_PS5_PKlPlN2at6native12_GLOBAL__N_18offset_tEEE10hipError_tPvRmT1_PNSt15iterator_traitsISL_E10value_typeET2_T3_PNSM_ISR_E10value_typeET4_jRbjT5_SX_jjP12ihipStream_tbEUlT_E0_NS1_11comp_targetILNS1_3genE10ELNS1_11target_archE1201ELNS1_3gpuE5ELNS1_3repE0EEENS1_60segmented_radix_sort_warp_sort_medium_config_static_selectorELNS0_4arch9wavefront6targetE0EEEvSL_,comdat
.Lfunc_end1755:
	.size	_ZN7rocprim17ROCPRIM_400000_NS6detail17trampoline_kernelINS0_14default_configENS1_36segmented_radix_sort_config_selectorI6__halflEEZNS1_25segmented_radix_sort_implIS3_Lb1EPKS5_PS5_PKlPlN2at6native12_GLOBAL__N_18offset_tEEE10hipError_tPvRmT1_PNSt15iterator_traitsISL_E10value_typeET2_T3_PNSM_ISR_E10value_typeET4_jRbjT5_SX_jjP12ihipStream_tbEUlT_E0_NS1_11comp_targetILNS1_3genE10ELNS1_11target_archE1201ELNS1_3gpuE5ELNS1_3repE0EEENS1_60segmented_radix_sort_warp_sort_medium_config_static_selectorELNS0_4arch9wavefront6targetE0EEEvSL_, .Lfunc_end1755-_ZN7rocprim17ROCPRIM_400000_NS6detail17trampoline_kernelINS0_14default_configENS1_36segmented_radix_sort_config_selectorI6__halflEEZNS1_25segmented_radix_sort_implIS3_Lb1EPKS5_PS5_PKlPlN2at6native12_GLOBAL__N_18offset_tEEE10hipError_tPvRmT1_PNSt15iterator_traitsISL_E10value_typeET2_T3_PNSM_ISR_E10value_typeET4_jRbjT5_SX_jjP12ihipStream_tbEUlT_E0_NS1_11comp_targetILNS1_3genE10ELNS1_11target_archE1201ELNS1_3gpuE5ELNS1_3repE0EEENS1_60segmented_radix_sort_warp_sort_medium_config_static_selectorELNS0_4arch9wavefront6targetE0EEEvSL_
                                        ; -- End function
	.set _ZN7rocprim17ROCPRIM_400000_NS6detail17trampoline_kernelINS0_14default_configENS1_36segmented_radix_sort_config_selectorI6__halflEEZNS1_25segmented_radix_sort_implIS3_Lb1EPKS5_PS5_PKlPlN2at6native12_GLOBAL__N_18offset_tEEE10hipError_tPvRmT1_PNSt15iterator_traitsISL_E10value_typeET2_T3_PNSM_ISR_E10value_typeET4_jRbjT5_SX_jjP12ihipStream_tbEUlT_E0_NS1_11comp_targetILNS1_3genE10ELNS1_11target_archE1201ELNS1_3gpuE5ELNS1_3repE0EEENS1_60segmented_radix_sort_warp_sort_medium_config_static_selectorELNS0_4arch9wavefront6targetE0EEEvSL_.num_vgpr, max(43, .L_ZN7rocprim17ROCPRIM_400000_NS6detail26segmented_warp_sort_helperINS1_20WarpSortHelperConfigILj16ELj8ELj256EEE6__halflLi256ELb1EvE4sortIPKS5_PS5_PKlPlEEvT_T0_T1_T2_jjjjRNS6_12storage_typeE.num_vgpr)
	.set _ZN7rocprim17ROCPRIM_400000_NS6detail17trampoline_kernelINS0_14default_configENS1_36segmented_radix_sort_config_selectorI6__halflEEZNS1_25segmented_radix_sort_implIS3_Lb1EPKS5_PS5_PKlPlN2at6native12_GLOBAL__N_18offset_tEEE10hipError_tPvRmT1_PNSt15iterator_traitsISL_E10value_typeET2_T3_PNSM_ISR_E10value_typeET4_jRbjT5_SX_jjP12ihipStream_tbEUlT_E0_NS1_11comp_targetILNS1_3genE10ELNS1_11target_archE1201ELNS1_3gpuE5ELNS1_3repE0EEENS1_60segmented_radix_sort_warp_sort_medium_config_static_selectorELNS0_4arch9wavefront6targetE0EEEvSL_.num_agpr, max(0, .L_ZN7rocprim17ROCPRIM_400000_NS6detail26segmented_warp_sort_helperINS1_20WarpSortHelperConfigILj16ELj8ELj256EEE6__halflLi256ELb1EvE4sortIPKS5_PS5_PKlPlEEvT_T0_T1_T2_jjjjRNS6_12storage_typeE.num_agpr)
	.set _ZN7rocprim17ROCPRIM_400000_NS6detail17trampoline_kernelINS0_14default_configENS1_36segmented_radix_sort_config_selectorI6__halflEEZNS1_25segmented_radix_sort_implIS3_Lb1EPKS5_PS5_PKlPlN2at6native12_GLOBAL__N_18offset_tEEE10hipError_tPvRmT1_PNSt15iterator_traitsISL_E10value_typeET2_T3_PNSM_ISR_E10value_typeET4_jRbjT5_SX_jjP12ihipStream_tbEUlT_E0_NS1_11comp_targetILNS1_3genE10ELNS1_11target_archE1201ELNS1_3gpuE5ELNS1_3repE0EEENS1_60segmented_radix_sort_warp_sort_medium_config_static_selectorELNS0_4arch9wavefront6targetE0EEEvSL_.numbered_sgpr, max(44, .L_ZN7rocprim17ROCPRIM_400000_NS6detail26segmented_warp_sort_helperINS1_20WarpSortHelperConfigILj16ELj8ELj256EEE6__halflLi256ELb1EvE4sortIPKS5_PS5_PKlPlEEvT_T0_T1_T2_jjjjRNS6_12storage_typeE.numbered_sgpr)
	.set _ZN7rocprim17ROCPRIM_400000_NS6detail17trampoline_kernelINS0_14default_configENS1_36segmented_radix_sort_config_selectorI6__halflEEZNS1_25segmented_radix_sort_implIS3_Lb1EPKS5_PS5_PKlPlN2at6native12_GLOBAL__N_18offset_tEEE10hipError_tPvRmT1_PNSt15iterator_traitsISL_E10value_typeET2_T3_PNSM_ISR_E10value_typeET4_jRbjT5_SX_jjP12ihipStream_tbEUlT_E0_NS1_11comp_targetILNS1_3genE10ELNS1_11target_archE1201ELNS1_3gpuE5ELNS1_3repE0EEENS1_60segmented_radix_sort_warp_sort_medium_config_static_selectorELNS0_4arch9wavefront6targetE0EEEvSL_.num_named_barrier, max(0, .L_ZN7rocprim17ROCPRIM_400000_NS6detail26segmented_warp_sort_helperINS1_20WarpSortHelperConfigILj16ELj8ELj256EEE6__halflLi256ELb1EvE4sortIPKS5_PS5_PKlPlEEvT_T0_T1_T2_jjjjRNS6_12storage_typeE.num_named_barrier)
	.set _ZN7rocprim17ROCPRIM_400000_NS6detail17trampoline_kernelINS0_14default_configENS1_36segmented_radix_sort_config_selectorI6__halflEEZNS1_25segmented_radix_sort_implIS3_Lb1EPKS5_PS5_PKlPlN2at6native12_GLOBAL__N_18offset_tEEE10hipError_tPvRmT1_PNSt15iterator_traitsISL_E10value_typeET2_T3_PNSM_ISR_E10value_typeET4_jRbjT5_SX_jjP12ihipStream_tbEUlT_E0_NS1_11comp_targetILNS1_3genE10ELNS1_11target_archE1201ELNS1_3gpuE5ELNS1_3repE0EEENS1_60segmented_radix_sort_warp_sort_medium_config_static_selectorELNS0_4arch9wavefront6targetE0EEEvSL_.private_seg_size, 0+max(.L_ZN7rocprim17ROCPRIM_400000_NS6detail26segmented_warp_sort_helperINS1_20WarpSortHelperConfigILj16ELj8ELj256EEE6__halflLi256ELb1EvE4sortIPKS5_PS5_PKlPlEEvT_T0_T1_T2_jjjjRNS6_12storage_typeE.private_seg_size)
	.set _ZN7rocprim17ROCPRIM_400000_NS6detail17trampoline_kernelINS0_14default_configENS1_36segmented_radix_sort_config_selectorI6__halflEEZNS1_25segmented_radix_sort_implIS3_Lb1EPKS5_PS5_PKlPlN2at6native12_GLOBAL__N_18offset_tEEE10hipError_tPvRmT1_PNSt15iterator_traitsISL_E10value_typeET2_T3_PNSM_ISR_E10value_typeET4_jRbjT5_SX_jjP12ihipStream_tbEUlT_E0_NS1_11comp_targetILNS1_3genE10ELNS1_11target_archE1201ELNS1_3gpuE5ELNS1_3repE0EEENS1_60segmented_radix_sort_warp_sort_medium_config_static_selectorELNS0_4arch9wavefront6targetE0EEEvSL_.uses_vcc, or(1, .L_ZN7rocprim17ROCPRIM_400000_NS6detail26segmented_warp_sort_helperINS1_20WarpSortHelperConfigILj16ELj8ELj256EEE6__halflLi256ELb1EvE4sortIPKS5_PS5_PKlPlEEvT_T0_T1_T2_jjjjRNS6_12storage_typeE.uses_vcc)
	.set _ZN7rocprim17ROCPRIM_400000_NS6detail17trampoline_kernelINS0_14default_configENS1_36segmented_radix_sort_config_selectorI6__halflEEZNS1_25segmented_radix_sort_implIS3_Lb1EPKS5_PS5_PKlPlN2at6native12_GLOBAL__N_18offset_tEEE10hipError_tPvRmT1_PNSt15iterator_traitsISL_E10value_typeET2_T3_PNSM_ISR_E10value_typeET4_jRbjT5_SX_jjP12ihipStream_tbEUlT_E0_NS1_11comp_targetILNS1_3genE10ELNS1_11target_archE1201ELNS1_3gpuE5ELNS1_3repE0EEENS1_60segmented_radix_sort_warp_sort_medium_config_static_selectorELNS0_4arch9wavefront6targetE0EEEvSL_.uses_flat_scratch, or(0, .L_ZN7rocprim17ROCPRIM_400000_NS6detail26segmented_warp_sort_helperINS1_20WarpSortHelperConfigILj16ELj8ELj256EEE6__halflLi256ELb1EvE4sortIPKS5_PS5_PKlPlEEvT_T0_T1_T2_jjjjRNS6_12storage_typeE.uses_flat_scratch)
	.set _ZN7rocprim17ROCPRIM_400000_NS6detail17trampoline_kernelINS0_14default_configENS1_36segmented_radix_sort_config_selectorI6__halflEEZNS1_25segmented_radix_sort_implIS3_Lb1EPKS5_PS5_PKlPlN2at6native12_GLOBAL__N_18offset_tEEE10hipError_tPvRmT1_PNSt15iterator_traitsISL_E10value_typeET2_T3_PNSM_ISR_E10value_typeET4_jRbjT5_SX_jjP12ihipStream_tbEUlT_E0_NS1_11comp_targetILNS1_3genE10ELNS1_11target_archE1201ELNS1_3gpuE5ELNS1_3repE0EEENS1_60segmented_radix_sort_warp_sort_medium_config_static_selectorELNS0_4arch9wavefront6targetE0EEEvSL_.has_dyn_sized_stack, or(0, .L_ZN7rocprim17ROCPRIM_400000_NS6detail26segmented_warp_sort_helperINS1_20WarpSortHelperConfigILj16ELj8ELj256EEE6__halflLi256ELb1EvE4sortIPKS5_PS5_PKlPlEEvT_T0_T1_T2_jjjjRNS6_12storage_typeE.has_dyn_sized_stack)
	.set _ZN7rocprim17ROCPRIM_400000_NS6detail17trampoline_kernelINS0_14default_configENS1_36segmented_radix_sort_config_selectorI6__halflEEZNS1_25segmented_radix_sort_implIS3_Lb1EPKS5_PS5_PKlPlN2at6native12_GLOBAL__N_18offset_tEEE10hipError_tPvRmT1_PNSt15iterator_traitsISL_E10value_typeET2_T3_PNSM_ISR_E10value_typeET4_jRbjT5_SX_jjP12ihipStream_tbEUlT_E0_NS1_11comp_targetILNS1_3genE10ELNS1_11target_archE1201ELNS1_3gpuE5ELNS1_3repE0EEENS1_60segmented_radix_sort_warp_sort_medium_config_static_selectorELNS0_4arch9wavefront6targetE0EEEvSL_.has_recursion, or(0, .L_ZN7rocprim17ROCPRIM_400000_NS6detail26segmented_warp_sort_helperINS1_20WarpSortHelperConfigILj16ELj8ELj256EEE6__halflLi256ELb1EvE4sortIPKS5_PS5_PKlPlEEvT_T0_T1_T2_jjjjRNS6_12storage_typeE.has_recursion)
	.set _ZN7rocprim17ROCPRIM_400000_NS6detail17trampoline_kernelINS0_14default_configENS1_36segmented_radix_sort_config_selectorI6__halflEEZNS1_25segmented_radix_sort_implIS3_Lb1EPKS5_PS5_PKlPlN2at6native12_GLOBAL__N_18offset_tEEE10hipError_tPvRmT1_PNSt15iterator_traitsISL_E10value_typeET2_T3_PNSM_ISR_E10value_typeET4_jRbjT5_SX_jjP12ihipStream_tbEUlT_E0_NS1_11comp_targetILNS1_3genE10ELNS1_11target_archE1201ELNS1_3gpuE5ELNS1_3repE0EEENS1_60segmented_radix_sort_warp_sort_medium_config_static_selectorELNS0_4arch9wavefront6targetE0EEEvSL_.has_indirect_call, or(0, .L_ZN7rocprim17ROCPRIM_400000_NS6detail26segmented_warp_sort_helperINS1_20WarpSortHelperConfigILj16ELj8ELj256EEE6__halflLi256ELb1EvE4sortIPKS5_PS5_PKlPlEEvT_T0_T1_T2_jjjjRNS6_12storage_typeE.has_indirect_call)
	.section	.AMDGPU.csdata,"",@progbits
; Kernel info:
; codeLenInByte = 488
; TotalNumSgprs: 46
; NumVgprs: 70
; ScratchSize: 0
; MemoryBound: 0
; FloatMode: 240
; IeeeMode: 1
; LDSByteSize: 20480 bytes/workgroup (compile time only)
; SGPRBlocks: 0
; VGPRBlocks: 12
; NumSGPRsForWavesPerEU: 46
; NumVGPRsForWavesPerEU: 97
; Occupancy: 12
; WaveLimiterHint : 0
; COMPUTE_PGM_RSRC2:SCRATCH_EN: 0
; COMPUTE_PGM_RSRC2:USER_SGPR: 2
; COMPUTE_PGM_RSRC2:TRAP_HANDLER: 0
; COMPUTE_PGM_RSRC2:TGID_X_EN: 1
; COMPUTE_PGM_RSRC2:TGID_Y_EN: 1
; COMPUTE_PGM_RSRC2:TGID_Z_EN: 0
; COMPUTE_PGM_RSRC2:TIDIG_COMP_CNT: 2
	.section	.text._ZN7rocprim17ROCPRIM_400000_NS6detail17trampoline_kernelINS0_14default_configENS1_36segmented_radix_sort_config_selectorI6__halflEEZNS1_25segmented_radix_sort_implIS3_Lb1EPKS5_PS5_PKlPlN2at6native12_GLOBAL__N_18offset_tEEE10hipError_tPvRmT1_PNSt15iterator_traitsISL_E10value_typeET2_T3_PNSM_ISR_E10value_typeET4_jRbjT5_SX_jjP12ihipStream_tbEUlT_E0_NS1_11comp_targetILNS1_3genE10ELNS1_11target_archE1200ELNS1_3gpuE4ELNS1_3repE0EEENS1_60segmented_radix_sort_warp_sort_medium_config_static_selectorELNS0_4arch9wavefront6targetE0EEEvSL_,"axG",@progbits,_ZN7rocprim17ROCPRIM_400000_NS6detail17trampoline_kernelINS0_14default_configENS1_36segmented_radix_sort_config_selectorI6__halflEEZNS1_25segmented_radix_sort_implIS3_Lb1EPKS5_PS5_PKlPlN2at6native12_GLOBAL__N_18offset_tEEE10hipError_tPvRmT1_PNSt15iterator_traitsISL_E10value_typeET2_T3_PNSM_ISR_E10value_typeET4_jRbjT5_SX_jjP12ihipStream_tbEUlT_E0_NS1_11comp_targetILNS1_3genE10ELNS1_11target_archE1200ELNS1_3gpuE4ELNS1_3repE0EEENS1_60segmented_radix_sort_warp_sort_medium_config_static_selectorELNS0_4arch9wavefront6targetE0EEEvSL_,comdat
	.globl	_ZN7rocprim17ROCPRIM_400000_NS6detail17trampoline_kernelINS0_14default_configENS1_36segmented_radix_sort_config_selectorI6__halflEEZNS1_25segmented_radix_sort_implIS3_Lb1EPKS5_PS5_PKlPlN2at6native12_GLOBAL__N_18offset_tEEE10hipError_tPvRmT1_PNSt15iterator_traitsISL_E10value_typeET2_T3_PNSM_ISR_E10value_typeET4_jRbjT5_SX_jjP12ihipStream_tbEUlT_E0_NS1_11comp_targetILNS1_3genE10ELNS1_11target_archE1200ELNS1_3gpuE4ELNS1_3repE0EEENS1_60segmented_radix_sort_warp_sort_medium_config_static_selectorELNS0_4arch9wavefront6targetE0EEEvSL_ ; -- Begin function _ZN7rocprim17ROCPRIM_400000_NS6detail17trampoline_kernelINS0_14default_configENS1_36segmented_radix_sort_config_selectorI6__halflEEZNS1_25segmented_radix_sort_implIS3_Lb1EPKS5_PS5_PKlPlN2at6native12_GLOBAL__N_18offset_tEEE10hipError_tPvRmT1_PNSt15iterator_traitsISL_E10value_typeET2_T3_PNSM_ISR_E10value_typeET4_jRbjT5_SX_jjP12ihipStream_tbEUlT_E0_NS1_11comp_targetILNS1_3genE10ELNS1_11target_archE1200ELNS1_3gpuE4ELNS1_3repE0EEENS1_60segmented_radix_sort_warp_sort_medium_config_static_selectorELNS0_4arch9wavefront6targetE0EEEvSL_
	.p2align	8
	.type	_ZN7rocprim17ROCPRIM_400000_NS6detail17trampoline_kernelINS0_14default_configENS1_36segmented_radix_sort_config_selectorI6__halflEEZNS1_25segmented_radix_sort_implIS3_Lb1EPKS5_PS5_PKlPlN2at6native12_GLOBAL__N_18offset_tEEE10hipError_tPvRmT1_PNSt15iterator_traitsISL_E10value_typeET2_T3_PNSM_ISR_E10value_typeET4_jRbjT5_SX_jjP12ihipStream_tbEUlT_E0_NS1_11comp_targetILNS1_3genE10ELNS1_11target_archE1200ELNS1_3gpuE4ELNS1_3repE0EEENS1_60segmented_radix_sort_warp_sort_medium_config_static_selectorELNS0_4arch9wavefront6targetE0EEEvSL_,@function
_ZN7rocprim17ROCPRIM_400000_NS6detail17trampoline_kernelINS0_14default_configENS1_36segmented_radix_sort_config_selectorI6__halflEEZNS1_25segmented_radix_sort_implIS3_Lb1EPKS5_PS5_PKlPlN2at6native12_GLOBAL__N_18offset_tEEE10hipError_tPvRmT1_PNSt15iterator_traitsISL_E10value_typeET2_T3_PNSM_ISR_E10value_typeET4_jRbjT5_SX_jjP12ihipStream_tbEUlT_E0_NS1_11comp_targetILNS1_3genE10ELNS1_11target_archE1200ELNS1_3gpuE4ELNS1_3repE0EEENS1_60segmented_radix_sort_warp_sort_medium_config_static_selectorELNS0_4arch9wavefront6targetE0EEEvSL_: ; @_ZN7rocprim17ROCPRIM_400000_NS6detail17trampoline_kernelINS0_14default_configENS1_36segmented_radix_sort_config_selectorI6__halflEEZNS1_25segmented_radix_sort_implIS3_Lb1EPKS5_PS5_PKlPlN2at6native12_GLOBAL__N_18offset_tEEE10hipError_tPvRmT1_PNSt15iterator_traitsISL_E10value_typeET2_T3_PNSM_ISR_E10value_typeET4_jRbjT5_SX_jjP12ihipStream_tbEUlT_E0_NS1_11comp_targetILNS1_3genE10ELNS1_11target_archE1200ELNS1_3gpuE4ELNS1_3repE0EEENS1_60segmented_radix_sort_warp_sort_medium_config_static_selectorELNS0_4arch9wavefront6targetE0EEEvSL_
; %bb.0:
	.section	.rodata,"a",@progbits
	.p2align	6, 0x0
	.amdhsa_kernel _ZN7rocprim17ROCPRIM_400000_NS6detail17trampoline_kernelINS0_14default_configENS1_36segmented_radix_sort_config_selectorI6__halflEEZNS1_25segmented_radix_sort_implIS3_Lb1EPKS5_PS5_PKlPlN2at6native12_GLOBAL__N_18offset_tEEE10hipError_tPvRmT1_PNSt15iterator_traitsISL_E10value_typeET2_T3_PNSM_ISR_E10value_typeET4_jRbjT5_SX_jjP12ihipStream_tbEUlT_E0_NS1_11comp_targetILNS1_3genE10ELNS1_11target_archE1200ELNS1_3gpuE4ELNS1_3repE0EEENS1_60segmented_radix_sort_warp_sort_medium_config_static_selectorELNS0_4arch9wavefront6targetE0EEEvSL_
		.amdhsa_group_segment_fixed_size 0
		.amdhsa_private_segment_fixed_size 0
		.amdhsa_kernarg_size 88
		.amdhsa_user_sgpr_count 2
		.amdhsa_user_sgpr_dispatch_ptr 0
		.amdhsa_user_sgpr_queue_ptr 0
		.amdhsa_user_sgpr_kernarg_segment_ptr 1
		.amdhsa_user_sgpr_dispatch_id 0
		.amdhsa_user_sgpr_private_segment_size 0
		.amdhsa_wavefront_size32 1
		.amdhsa_uses_dynamic_stack 0
		.amdhsa_enable_private_segment 0
		.amdhsa_system_sgpr_workgroup_id_x 1
		.amdhsa_system_sgpr_workgroup_id_y 0
		.amdhsa_system_sgpr_workgroup_id_z 0
		.amdhsa_system_sgpr_workgroup_info 0
		.amdhsa_system_vgpr_workitem_id 0
		.amdhsa_next_free_vgpr 1
		.amdhsa_next_free_sgpr 1
		.amdhsa_reserve_vcc 0
		.amdhsa_float_round_mode_32 0
		.amdhsa_float_round_mode_16_64 0
		.amdhsa_float_denorm_mode_32 3
		.amdhsa_float_denorm_mode_16_64 3
		.amdhsa_fp16_overflow 0
		.amdhsa_workgroup_processor_mode 1
		.amdhsa_memory_ordered 1
		.amdhsa_forward_progress 1
		.amdhsa_inst_pref_size 0
		.amdhsa_round_robin_scheduling 0
		.amdhsa_exception_fp_ieee_invalid_op 0
		.amdhsa_exception_fp_denorm_src 0
		.amdhsa_exception_fp_ieee_div_zero 0
		.amdhsa_exception_fp_ieee_overflow 0
		.amdhsa_exception_fp_ieee_underflow 0
		.amdhsa_exception_fp_ieee_inexact 0
		.amdhsa_exception_int_div_zero 0
	.end_amdhsa_kernel
	.section	.text._ZN7rocprim17ROCPRIM_400000_NS6detail17trampoline_kernelINS0_14default_configENS1_36segmented_radix_sort_config_selectorI6__halflEEZNS1_25segmented_radix_sort_implIS3_Lb1EPKS5_PS5_PKlPlN2at6native12_GLOBAL__N_18offset_tEEE10hipError_tPvRmT1_PNSt15iterator_traitsISL_E10value_typeET2_T3_PNSM_ISR_E10value_typeET4_jRbjT5_SX_jjP12ihipStream_tbEUlT_E0_NS1_11comp_targetILNS1_3genE10ELNS1_11target_archE1200ELNS1_3gpuE4ELNS1_3repE0EEENS1_60segmented_radix_sort_warp_sort_medium_config_static_selectorELNS0_4arch9wavefront6targetE0EEEvSL_,"axG",@progbits,_ZN7rocprim17ROCPRIM_400000_NS6detail17trampoline_kernelINS0_14default_configENS1_36segmented_radix_sort_config_selectorI6__halflEEZNS1_25segmented_radix_sort_implIS3_Lb1EPKS5_PS5_PKlPlN2at6native12_GLOBAL__N_18offset_tEEE10hipError_tPvRmT1_PNSt15iterator_traitsISL_E10value_typeET2_T3_PNSM_ISR_E10value_typeET4_jRbjT5_SX_jjP12ihipStream_tbEUlT_E0_NS1_11comp_targetILNS1_3genE10ELNS1_11target_archE1200ELNS1_3gpuE4ELNS1_3repE0EEENS1_60segmented_radix_sort_warp_sort_medium_config_static_selectorELNS0_4arch9wavefront6targetE0EEEvSL_,comdat
.Lfunc_end1756:
	.size	_ZN7rocprim17ROCPRIM_400000_NS6detail17trampoline_kernelINS0_14default_configENS1_36segmented_radix_sort_config_selectorI6__halflEEZNS1_25segmented_radix_sort_implIS3_Lb1EPKS5_PS5_PKlPlN2at6native12_GLOBAL__N_18offset_tEEE10hipError_tPvRmT1_PNSt15iterator_traitsISL_E10value_typeET2_T3_PNSM_ISR_E10value_typeET4_jRbjT5_SX_jjP12ihipStream_tbEUlT_E0_NS1_11comp_targetILNS1_3genE10ELNS1_11target_archE1200ELNS1_3gpuE4ELNS1_3repE0EEENS1_60segmented_radix_sort_warp_sort_medium_config_static_selectorELNS0_4arch9wavefront6targetE0EEEvSL_, .Lfunc_end1756-_ZN7rocprim17ROCPRIM_400000_NS6detail17trampoline_kernelINS0_14default_configENS1_36segmented_radix_sort_config_selectorI6__halflEEZNS1_25segmented_radix_sort_implIS3_Lb1EPKS5_PS5_PKlPlN2at6native12_GLOBAL__N_18offset_tEEE10hipError_tPvRmT1_PNSt15iterator_traitsISL_E10value_typeET2_T3_PNSM_ISR_E10value_typeET4_jRbjT5_SX_jjP12ihipStream_tbEUlT_E0_NS1_11comp_targetILNS1_3genE10ELNS1_11target_archE1200ELNS1_3gpuE4ELNS1_3repE0EEENS1_60segmented_radix_sort_warp_sort_medium_config_static_selectorELNS0_4arch9wavefront6targetE0EEEvSL_
                                        ; -- End function
	.set _ZN7rocprim17ROCPRIM_400000_NS6detail17trampoline_kernelINS0_14default_configENS1_36segmented_radix_sort_config_selectorI6__halflEEZNS1_25segmented_radix_sort_implIS3_Lb1EPKS5_PS5_PKlPlN2at6native12_GLOBAL__N_18offset_tEEE10hipError_tPvRmT1_PNSt15iterator_traitsISL_E10value_typeET2_T3_PNSM_ISR_E10value_typeET4_jRbjT5_SX_jjP12ihipStream_tbEUlT_E0_NS1_11comp_targetILNS1_3genE10ELNS1_11target_archE1200ELNS1_3gpuE4ELNS1_3repE0EEENS1_60segmented_radix_sort_warp_sort_medium_config_static_selectorELNS0_4arch9wavefront6targetE0EEEvSL_.num_vgpr, 0
	.set _ZN7rocprim17ROCPRIM_400000_NS6detail17trampoline_kernelINS0_14default_configENS1_36segmented_radix_sort_config_selectorI6__halflEEZNS1_25segmented_radix_sort_implIS3_Lb1EPKS5_PS5_PKlPlN2at6native12_GLOBAL__N_18offset_tEEE10hipError_tPvRmT1_PNSt15iterator_traitsISL_E10value_typeET2_T3_PNSM_ISR_E10value_typeET4_jRbjT5_SX_jjP12ihipStream_tbEUlT_E0_NS1_11comp_targetILNS1_3genE10ELNS1_11target_archE1200ELNS1_3gpuE4ELNS1_3repE0EEENS1_60segmented_radix_sort_warp_sort_medium_config_static_selectorELNS0_4arch9wavefront6targetE0EEEvSL_.num_agpr, 0
	.set _ZN7rocprim17ROCPRIM_400000_NS6detail17trampoline_kernelINS0_14default_configENS1_36segmented_radix_sort_config_selectorI6__halflEEZNS1_25segmented_radix_sort_implIS3_Lb1EPKS5_PS5_PKlPlN2at6native12_GLOBAL__N_18offset_tEEE10hipError_tPvRmT1_PNSt15iterator_traitsISL_E10value_typeET2_T3_PNSM_ISR_E10value_typeET4_jRbjT5_SX_jjP12ihipStream_tbEUlT_E0_NS1_11comp_targetILNS1_3genE10ELNS1_11target_archE1200ELNS1_3gpuE4ELNS1_3repE0EEENS1_60segmented_radix_sort_warp_sort_medium_config_static_selectorELNS0_4arch9wavefront6targetE0EEEvSL_.numbered_sgpr, 0
	.set _ZN7rocprim17ROCPRIM_400000_NS6detail17trampoline_kernelINS0_14default_configENS1_36segmented_radix_sort_config_selectorI6__halflEEZNS1_25segmented_radix_sort_implIS3_Lb1EPKS5_PS5_PKlPlN2at6native12_GLOBAL__N_18offset_tEEE10hipError_tPvRmT1_PNSt15iterator_traitsISL_E10value_typeET2_T3_PNSM_ISR_E10value_typeET4_jRbjT5_SX_jjP12ihipStream_tbEUlT_E0_NS1_11comp_targetILNS1_3genE10ELNS1_11target_archE1200ELNS1_3gpuE4ELNS1_3repE0EEENS1_60segmented_radix_sort_warp_sort_medium_config_static_selectorELNS0_4arch9wavefront6targetE0EEEvSL_.num_named_barrier, 0
	.set _ZN7rocprim17ROCPRIM_400000_NS6detail17trampoline_kernelINS0_14default_configENS1_36segmented_radix_sort_config_selectorI6__halflEEZNS1_25segmented_radix_sort_implIS3_Lb1EPKS5_PS5_PKlPlN2at6native12_GLOBAL__N_18offset_tEEE10hipError_tPvRmT1_PNSt15iterator_traitsISL_E10value_typeET2_T3_PNSM_ISR_E10value_typeET4_jRbjT5_SX_jjP12ihipStream_tbEUlT_E0_NS1_11comp_targetILNS1_3genE10ELNS1_11target_archE1200ELNS1_3gpuE4ELNS1_3repE0EEENS1_60segmented_radix_sort_warp_sort_medium_config_static_selectorELNS0_4arch9wavefront6targetE0EEEvSL_.private_seg_size, 0
	.set _ZN7rocprim17ROCPRIM_400000_NS6detail17trampoline_kernelINS0_14default_configENS1_36segmented_radix_sort_config_selectorI6__halflEEZNS1_25segmented_radix_sort_implIS3_Lb1EPKS5_PS5_PKlPlN2at6native12_GLOBAL__N_18offset_tEEE10hipError_tPvRmT1_PNSt15iterator_traitsISL_E10value_typeET2_T3_PNSM_ISR_E10value_typeET4_jRbjT5_SX_jjP12ihipStream_tbEUlT_E0_NS1_11comp_targetILNS1_3genE10ELNS1_11target_archE1200ELNS1_3gpuE4ELNS1_3repE0EEENS1_60segmented_radix_sort_warp_sort_medium_config_static_selectorELNS0_4arch9wavefront6targetE0EEEvSL_.uses_vcc, 0
	.set _ZN7rocprim17ROCPRIM_400000_NS6detail17trampoline_kernelINS0_14default_configENS1_36segmented_radix_sort_config_selectorI6__halflEEZNS1_25segmented_radix_sort_implIS3_Lb1EPKS5_PS5_PKlPlN2at6native12_GLOBAL__N_18offset_tEEE10hipError_tPvRmT1_PNSt15iterator_traitsISL_E10value_typeET2_T3_PNSM_ISR_E10value_typeET4_jRbjT5_SX_jjP12ihipStream_tbEUlT_E0_NS1_11comp_targetILNS1_3genE10ELNS1_11target_archE1200ELNS1_3gpuE4ELNS1_3repE0EEENS1_60segmented_radix_sort_warp_sort_medium_config_static_selectorELNS0_4arch9wavefront6targetE0EEEvSL_.uses_flat_scratch, 0
	.set _ZN7rocprim17ROCPRIM_400000_NS6detail17trampoline_kernelINS0_14default_configENS1_36segmented_radix_sort_config_selectorI6__halflEEZNS1_25segmented_radix_sort_implIS3_Lb1EPKS5_PS5_PKlPlN2at6native12_GLOBAL__N_18offset_tEEE10hipError_tPvRmT1_PNSt15iterator_traitsISL_E10value_typeET2_T3_PNSM_ISR_E10value_typeET4_jRbjT5_SX_jjP12ihipStream_tbEUlT_E0_NS1_11comp_targetILNS1_3genE10ELNS1_11target_archE1200ELNS1_3gpuE4ELNS1_3repE0EEENS1_60segmented_radix_sort_warp_sort_medium_config_static_selectorELNS0_4arch9wavefront6targetE0EEEvSL_.has_dyn_sized_stack, 0
	.set _ZN7rocprim17ROCPRIM_400000_NS6detail17trampoline_kernelINS0_14default_configENS1_36segmented_radix_sort_config_selectorI6__halflEEZNS1_25segmented_radix_sort_implIS3_Lb1EPKS5_PS5_PKlPlN2at6native12_GLOBAL__N_18offset_tEEE10hipError_tPvRmT1_PNSt15iterator_traitsISL_E10value_typeET2_T3_PNSM_ISR_E10value_typeET4_jRbjT5_SX_jjP12ihipStream_tbEUlT_E0_NS1_11comp_targetILNS1_3genE10ELNS1_11target_archE1200ELNS1_3gpuE4ELNS1_3repE0EEENS1_60segmented_radix_sort_warp_sort_medium_config_static_selectorELNS0_4arch9wavefront6targetE0EEEvSL_.has_recursion, 0
	.set _ZN7rocprim17ROCPRIM_400000_NS6detail17trampoline_kernelINS0_14default_configENS1_36segmented_radix_sort_config_selectorI6__halflEEZNS1_25segmented_radix_sort_implIS3_Lb1EPKS5_PS5_PKlPlN2at6native12_GLOBAL__N_18offset_tEEE10hipError_tPvRmT1_PNSt15iterator_traitsISL_E10value_typeET2_T3_PNSM_ISR_E10value_typeET4_jRbjT5_SX_jjP12ihipStream_tbEUlT_E0_NS1_11comp_targetILNS1_3genE10ELNS1_11target_archE1200ELNS1_3gpuE4ELNS1_3repE0EEENS1_60segmented_radix_sort_warp_sort_medium_config_static_selectorELNS0_4arch9wavefront6targetE0EEEvSL_.has_indirect_call, 0
	.section	.AMDGPU.csdata,"",@progbits
; Kernel info:
; codeLenInByte = 0
; TotalNumSgprs: 0
; NumVgprs: 0
; ScratchSize: 0
; MemoryBound: 0
; FloatMode: 240
; IeeeMode: 1
; LDSByteSize: 0 bytes/workgroup (compile time only)
; SGPRBlocks: 0
; VGPRBlocks: 0
; NumSGPRsForWavesPerEU: 1
; NumVGPRsForWavesPerEU: 1
; Occupancy: 16
; WaveLimiterHint : 0
; COMPUTE_PGM_RSRC2:SCRATCH_EN: 0
; COMPUTE_PGM_RSRC2:USER_SGPR: 2
; COMPUTE_PGM_RSRC2:TRAP_HANDLER: 0
; COMPUTE_PGM_RSRC2:TGID_X_EN: 1
; COMPUTE_PGM_RSRC2:TGID_Y_EN: 0
; COMPUTE_PGM_RSRC2:TGID_Z_EN: 0
; COMPUTE_PGM_RSRC2:TIDIG_COMP_CNT: 0
	.section	.text._ZN7rocprim17ROCPRIM_400000_NS6detail17trampoline_kernelINS0_14default_configENS1_36segmented_radix_sort_config_selectorI6__halflEEZNS1_25segmented_radix_sort_implIS3_Lb1EPKS5_PS5_PKlPlN2at6native12_GLOBAL__N_18offset_tEEE10hipError_tPvRmT1_PNSt15iterator_traitsISL_E10value_typeET2_T3_PNSM_ISR_E10value_typeET4_jRbjT5_SX_jjP12ihipStream_tbEUlT_E0_NS1_11comp_targetILNS1_3genE9ELNS1_11target_archE1100ELNS1_3gpuE3ELNS1_3repE0EEENS1_60segmented_radix_sort_warp_sort_medium_config_static_selectorELNS0_4arch9wavefront6targetE0EEEvSL_,"axG",@progbits,_ZN7rocprim17ROCPRIM_400000_NS6detail17trampoline_kernelINS0_14default_configENS1_36segmented_radix_sort_config_selectorI6__halflEEZNS1_25segmented_radix_sort_implIS3_Lb1EPKS5_PS5_PKlPlN2at6native12_GLOBAL__N_18offset_tEEE10hipError_tPvRmT1_PNSt15iterator_traitsISL_E10value_typeET2_T3_PNSM_ISR_E10value_typeET4_jRbjT5_SX_jjP12ihipStream_tbEUlT_E0_NS1_11comp_targetILNS1_3genE9ELNS1_11target_archE1100ELNS1_3gpuE3ELNS1_3repE0EEENS1_60segmented_radix_sort_warp_sort_medium_config_static_selectorELNS0_4arch9wavefront6targetE0EEEvSL_,comdat
	.globl	_ZN7rocprim17ROCPRIM_400000_NS6detail17trampoline_kernelINS0_14default_configENS1_36segmented_radix_sort_config_selectorI6__halflEEZNS1_25segmented_radix_sort_implIS3_Lb1EPKS5_PS5_PKlPlN2at6native12_GLOBAL__N_18offset_tEEE10hipError_tPvRmT1_PNSt15iterator_traitsISL_E10value_typeET2_T3_PNSM_ISR_E10value_typeET4_jRbjT5_SX_jjP12ihipStream_tbEUlT_E0_NS1_11comp_targetILNS1_3genE9ELNS1_11target_archE1100ELNS1_3gpuE3ELNS1_3repE0EEENS1_60segmented_radix_sort_warp_sort_medium_config_static_selectorELNS0_4arch9wavefront6targetE0EEEvSL_ ; -- Begin function _ZN7rocprim17ROCPRIM_400000_NS6detail17trampoline_kernelINS0_14default_configENS1_36segmented_radix_sort_config_selectorI6__halflEEZNS1_25segmented_radix_sort_implIS3_Lb1EPKS5_PS5_PKlPlN2at6native12_GLOBAL__N_18offset_tEEE10hipError_tPvRmT1_PNSt15iterator_traitsISL_E10value_typeET2_T3_PNSM_ISR_E10value_typeET4_jRbjT5_SX_jjP12ihipStream_tbEUlT_E0_NS1_11comp_targetILNS1_3genE9ELNS1_11target_archE1100ELNS1_3gpuE3ELNS1_3repE0EEENS1_60segmented_radix_sort_warp_sort_medium_config_static_selectorELNS0_4arch9wavefront6targetE0EEEvSL_
	.p2align	8
	.type	_ZN7rocprim17ROCPRIM_400000_NS6detail17trampoline_kernelINS0_14default_configENS1_36segmented_radix_sort_config_selectorI6__halflEEZNS1_25segmented_radix_sort_implIS3_Lb1EPKS5_PS5_PKlPlN2at6native12_GLOBAL__N_18offset_tEEE10hipError_tPvRmT1_PNSt15iterator_traitsISL_E10value_typeET2_T3_PNSM_ISR_E10value_typeET4_jRbjT5_SX_jjP12ihipStream_tbEUlT_E0_NS1_11comp_targetILNS1_3genE9ELNS1_11target_archE1100ELNS1_3gpuE3ELNS1_3repE0EEENS1_60segmented_radix_sort_warp_sort_medium_config_static_selectorELNS0_4arch9wavefront6targetE0EEEvSL_,@function
_ZN7rocprim17ROCPRIM_400000_NS6detail17trampoline_kernelINS0_14default_configENS1_36segmented_radix_sort_config_selectorI6__halflEEZNS1_25segmented_radix_sort_implIS3_Lb1EPKS5_PS5_PKlPlN2at6native12_GLOBAL__N_18offset_tEEE10hipError_tPvRmT1_PNSt15iterator_traitsISL_E10value_typeET2_T3_PNSM_ISR_E10value_typeET4_jRbjT5_SX_jjP12ihipStream_tbEUlT_E0_NS1_11comp_targetILNS1_3genE9ELNS1_11target_archE1100ELNS1_3gpuE3ELNS1_3repE0EEENS1_60segmented_radix_sort_warp_sort_medium_config_static_selectorELNS0_4arch9wavefront6targetE0EEEvSL_: ; @_ZN7rocprim17ROCPRIM_400000_NS6detail17trampoline_kernelINS0_14default_configENS1_36segmented_radix_sort_config_selectorI6__halflEEZNS1_25segmented_radix_sort_implIS3_Lb1EPKS5_PS5_PKlPlN2at6native12_GLOBAL__N_18offset_tEEE10hipError_tPvRmT1_PNSt15iterator_traitsISL_E10value_typeET2_T3_PNSM_ISR_E10value_typeET4_jRbjT5_SX_jjP12ihipStream_tbEUlT_E0_NS1_11comp_targetILNS1_3genE9ELNS1_11target_archE1100ELNS1_3gpuE3ELNS1_3repE0EEENS1_60segmented_radix_sort_warp_sort_medium_config_static_selectorELNS0_4arch9wavefront6targetE0EEEvSL_
; %bb.0:
	.section	.rodata,"a",@progbits
	.p2align	6, 0x0
	.amdhsa_kernel _ZN7rocprim17ROCPRIM_400000_NS6detail17trampoline_kernelINS0_14default_configENS1_36segmented_radix_sort_config_selectorI6__halflEEZNS1_25segmented_radix_sort_implIS3_Lb1EPKS5_PS5_PKlPlN2at6native12_GLOBAL__N_18offset_tEEE10hipError_tPvRmT1_PNSt15iterator_traitsISL_E10value_typeET2_T3_PNSM_ISR_E10value_typeET4_jRbjT5_SX_jjP12ihipStream_tbEUlT_E0_NS1_11comp_targetILNS1_3genE9ELNS1_11target_archE1100ELNS1_3gpuE3ELNS1_3repE0EEENS1_60segmented_radix_sort_warp_sort_medium_config_static_selectorELNS0_4arch9wavefront6targetE0EEEvSL_
		.amdhsa_group_segment_fixed_size 0
		.amdhsa_private_segment_fixed_size 0
		.amdhsa_kernarg_size 88
		.amdhsa_user_sgpr_count 2
		.amdhsa_user_sgpr_dispatch_ptr 0
		.amdhsa_user_sgpr_queue_ptr 0
		.amdhsa_user_sgpr_kernarg_segment_ptr 1
		.amdhsa_user_sgpr_dispatch_id 0
		.amdhsa_user_sgpr_private_segment_size 0
		.amdhsa_wavefront_size32 1
		.amdhsa_uses_dynamic_stack 0
		.amdhsa_enable_private_segment 0
		.amdhsa_system_sgpr_workgroup_id_x 1
		.amdhsa_system_sgpr_workgroup_id_y 0
		.amdhsa_system_sgpr_workgroup_id_z 0
		.amdhsa_system_sgpr_workgroup_info 0
		.amdhsa_system_vgpr_workitem_id 0
		.amdhsa_next_free_vgpr 1
		.amdhsa_next_free_sgpr 1
		.amdhsa_reserve_vcc 0
		.amdhsa_float_round_mode_32 0
		.amdhsa_float_round_mode_16_64 0
		.amdhsa_float_denorm_mode_32 3
		.amdhsa_float_denorm_mode_16_64 3
		.amdhsa_fp16_overflow 0
		.amdhsa_workgroup_processor_mode 1
		.amdhsa_memory_ordered 1
		.amdhsa_forward_progress 1
		.amdhsa_inst_pref_size 0
		.amdhsa_round_robin_scheduling 0
		.amdhsa_exception_fp_ieee_invalid_op 0
		.amdhsa_exception_fp_denorm_src 0
		.amdhsa_exception_fp_ieee_div_zero 0
		.amdhsa_exception_fp_ieee_overflow 0
		.amdhsa_exception_fp_ieee_underflow 0
		.amdhsa_exception_fp_ieee_inexact 0
		.amdhsa_exception_int_div_zero 0
	.end_amdhsa_kernel
	.section	.text._ZN7rocprim17ROCPRIM_400000_NS6detail17trampoline_kernelINS0_14default_configENS1_36segmented_radix_sort_config_selectorI6__halflEEZNS1_25segmented_radix_sort_implIS3_Lb1EPKS5_PS5_PKlPlN2at6native12_GLOBAL__N_18offset_tEEE10hipError_tPvRmT1_PNSt15iterator_traitsISL_E10value_typeET2_T3_PNSM_ISR_E10value_typeET4_jRbjT5_SX_jjP12ihipStream_tbEUlT_E0_NS1_11comp_targetILNS1_3genE9ELNS1_11target_archE1100ELNS1_3gpuE3ELNS1_3repE0EEENS1_60segmented_radix_sort_warp_sort_medium_config_static_selectorELNS0_4arch9wavefront6targetE0EEEvSL_,"axG",@progbits,_ZN7rocprim17ROCPRIM_400000_NS6detail17trampoline_kernelINS0_14default_configENS1_36segmented_radix_sort_config_selectorI6__halflEEZNS1_25segmented_radix_sort_implIS3_Lb1EPKS5_PS5_PKlPlN2at6native12_GLOBAL__N_18offset_tEEE10hipError_tPvRmT1_PNSt15iterator_traitsISL_E10value_typeET2_T3_PNSM_ISR_E10value_typeET4_jRbjT5_SX_jjP12ihipStream_tbEUlT_E0_NS1_11comp_targetILNS1_3genE9ELNS1_11target_archE1100ELNS1_3gpuE3ELNS1_3repE0EEENS1_60segmented_radix_sort_warp_sort_medium_config_static_selectorELNS0_4arch9wavefront6targetE0EEEvSL_,comdat
.Lfunc_end1757:
	.size	_ZN7rocprim17ROCPRIM_400000_NS6detail17trampoline_kernelINS0_14default_configENS1_36segmented_radix_sort_config_selectorI6__halflEEZNS1_25segmented_radix_sort_implIS3_Lb1EPKS5_PS5_PKlPlN2at6native12_GLOBAL__N_18offset_tEEE10hipError_tPvRmT1_PNSt15iterator_traitsISL_E10value_typeET2_T3_PNSM_ISR_E10value_typeET4_jRbjT5_SX_jjP12ihipStream_tbEUlT_E0_NS1_11comp_targetILNS1_3genE9ELNS1_11target_archE1100ELNS1_3gpuE3ELNS1_3repE0EEENS1_60segmented_radix_sort_warp_sort_medium_config_static_selectorELNS0_4arch9wavefront6targetE0EEEvSL_, .Lfunc_end1757-_ZN7rocprim17ROCPRIM_400000_NS6detail17trampoline_kernelINS0_14default_configENS1_36segmented_radix_sort_config_selectorI6__halflEEZNS1_25segmented_radix_sort_implIS3_Lb1EPKS5_PS5_PKlPlN2at6native12_GLOBAL__N_18offset_tEEE10hipError_tPvRmT1_PNSt15iterator_traitsISL_E10value_typeET2_T3_PNSM_ISR_E10value_typeET4_jRbjT5_SX_jjP12ihipStream_tbEUlT_E0_NS1_11comp_targetILNS1_3genE9ELNS1_11target_archE1100ELNS1_3gpuE3ELNS1_3repE0EEENS1_60segmented_radix_sort_warp_sort_medium_config_static_selectorELNS0_4arch9wavefront6targetE0EEEvSL_
                                        ; -- End function
	.set _ZN7rocprim17ROCPRIM_400000_NS6detail17trampoline_kernelINS0_14default_configENS1_36segmented_radix_sort_config_selectorI6__halflEEZNS1_25segmented_radix_sort_implIS3_Lb1EPKS5_PS5_PKlPlN2at6native12_GLOBAL__N_18offset_tEEE10hipError_tPvRmT1_PNSt15iterator_traitsISL_E10value_typeET2_T3_PNSM_ISR_E10value_typeET4_jRbjT5_SX_jjP12ihipStream_tbEUlT_E0_NS1_11comp_targetILNS1_3genE9ELNS1_11target_archE1100ELNS1_3gpuE3ELNS1_3repE0EEENS1_60segmented_radix_sort_warp_sort_medium_config_static_selectorELNS0_4arch9wavefront6targetE0EEEvSL_.num_vgpr, 0
	.set _ZN7rocprim17ROCPRIM_400000_NS6detail17trampoline_kernelINS0_14default_configENS1_36segmented_radix_sort_config_selectorI6__halflEEZNS1_25segmented_radix_sort_implIS3_Lb1EPKS5_PS5_PKlPlN2at6native12_GLOBAL__N_18offset_tEEE10hipError_tPvRmT1_PNSt15iterator_traitsISL_E10value_typeET2_T3_PNSM_ISR_E10value_typeET4_jRbjT5_SX_jjP12ihipStream_tbEUlT_E0_NS1_11comp_targetILNS1_3genE9ELNS1_11target_archE1100ELNS1_3gpuE3ELNS1_3repE0EEENS1_60segmented_radix_sort_warp_sort_medium_config_static_selectorELNS0_4arch9wavefront6targetE0EEEvSL_.num_agpr, 0
	.set _ZN7rocprim17ROCPRIM_400000_NS6detail17trampoline_kernelINS0_14default_configENS1_36segmented_radix_sort_config_selectorI6__halflEEZNS1_25segmented_radix_sort_implIS3_Lb1EPKS5_PS5_PKlPlN2at6native12_GLOBAL__N_18offset_tEEE10hipError_tPvRmT1_PNSt15iterator_traitsISL_E10value_typeET2_T3_PNSM_ISR_E10value_typeET4_jRbjT5_SX_jjP12ihipStream_tbEUlT_E0_NS1_11comp_targetILNS1_3genE9ELNS1_11target_archE1100ELNS1_3gpuE3ELNS1_3repE0EEENS1_60segmented_radix_sort_warp_sort_medium_config_static_selectorELNS0_4arch9wavefront6targetE0EEEvSL_.numbered_sgpr, 0
	.set _ZN7rocprim17ROCPRIM_400000_NS6detail17trampoline_kernelINS0_14default_configENS1_36segmented_radix_sort_config_selectorI6__halflEEZNS1_25segmented_radix_sort_implIS3_Lb1EPKS5_PS5_PKlPlN2at6native12_GLOBAL__N_18offset_tEEE10hipError_tPvRmT1_PNSt15iterator_traitsISL_E10value_typeET2_T3_PNSM_ISR_E10value_typeET4_jRbjT5_SX_jjP12ihipStream_tbEUlT_E0_NS1_11comp_targetILNS1_3genE9ELNS1_11target_archE1100ELNS1_3gpuE3ELNS1_3repE0EEENS1_60segmented_radix_sort_warp_sort_medium_config_static_selectorELNS0_4arch9wavefront6targetE0EEEvSL_.num_named_barrier, 0
	.set _ZN7rocprim17ROCPRIM_400000_NS6detail17trampoline_kernelINS0_14default_configENS1_36segmented_radix_sort_config_selectorI6__halflEEZNS1_25segmented_radix_sort_implIS3_Lb1EPKS5_PS5_PKlPlN2at6native12_GLOBAL__N_18offset_tEEE10hipError_tPvRmT1_PNSt15iterator_traitsISL_E10value_typeET2_T3_PNSM_ISR_E10value_typeET4_jRbjT5_SX_jjP12ihipStream_tbEUlT_E0_NS1_11comp_targetILNS1_3genE9ELNS1_11target_archE1100ELNS1_3gpuE3ELNS1_3repE0EEENS1_60segmented_radix_sort_warp_sort_medium_config_static_selectorELNS0_4arch9wavefront6targetE0EEEvSL_.private_seg_size, 0
	.set _ZN7rocprim17ROCPRIM_400000_NS6detail17trampoline_kernelINS0_14default_configENS1_36segmented_radix_sort_config_selectorI6__halflEEZNS1_25segmented_radix_sort_implIS3_Lb1EPKS5_PS5_PKlPlN2at6native12_GLOBAL__N_18offset_tEEE10hipError_tPvRmT1_PNSt15iterator_traitsISL_E10value_typeET2_T3_PNSM_ISR_E10value_typeET4_jRbjT5_SX_jjP12ihipStream_tbEUlT_E0_NS1_11comp_targetILNS1_3genE9ELNS1_11target_archE1100ELNS1_3gpuE3ELNS1_3repE0EEENS1_60segmented_radix_sort_warp_sort_medium_config_static_selectorELNS0_4arch9wavefront6targetE0EEEvSL_.uses_vcc, 0
	.set _ZN7rocprim17ROCPRIM_400000_NS6detail17trampoline_kernelINS0_14default_configENS1_36segmented_radix_sort_config_selectorI6__halflEEZNS1_25segmented_radix_sort_implIS3_Lb1EPKS5_PS5_PKlPlN2at6native12_GLOBAL__N_18offset_tEEE10hipError_tPvRmT1_PNSt15iterator_traitsISL_E10value_typeET2_T3_PNSM_ISR_E10value_typeET4_jRbjT5_SX_jjP12ihipStream_tbEUlT_E0_NS1_11comp_targetILNS1_3genE9ELNS1_11target_archE1100ELNS1_3gpuE3ELNS1_3repE0EEENS1_60segmented_radix_sort_warp_sort_medium_config_static_selectorELNS0_4arch9wavefront6targetE0EEEvSL_.uses_flat_scratch, 0
	.set _ZN7rocprim17ROCPRIM_400000_NS6detail17trampoline_kernelINS0_14default_configENS1_36segmented_radix_sort_config_selectorI6__halflEEZNS1_25segmented_radix_sort_implIS3_Lb1EPKS5_PS5_PKlPlN2at6native12_GLOBAL__N_18offset_tEEE10hipError_tPvRmT1_PNSt15iterator_traitsISL_E10value_typeET2_T3_PNSM_ISR_E10value_typeET4_jRbjT5_SX_jjP12ihipStream_tbEUlT_E0_NS1_11comp_targetILNS1_3genE9ELNS1_11target_archE1100ELNS1_3gpuE3ELNS1_3repE0EEENS1_60segmented_radix_sort_warp_sort_medium_config_static_selectorELNS0_4arch9wavefront6targetE0EEEvSL_.has_dyn_sized_stack, 0
	.set _ZN7rocprim17ROCPRIM_400000_NS6detail17trampoline_kernelINS0_14default_configENS1_36segmented_radix_sort_config_selectorI6__halflEEZNS1_25segmented_radix_sort_implIS3_Lb1EPKS5_PS5_PKlPlN2at6native12_GLOBAL__N_18offset_tEEE10hipError_tPvRmT1_PNSt15iterator_traitsISL_E10value_typeET2_T3_PNSM_ISR_E10value_typeET4_jRbjT5_SX_jjP12ihipStream_tbEUlT_E0_NS1_11comp_targetILNS1_3genE9ELNS1_11target_archE1100ELNS1_3gpuE3ELNS1_3repE0EEENS1_60segmented_radix_sort_warp_sort_medium_config_static_selectorELNS0_4arch9wavefront6targetE0EEEvSL_.has_recursion, 0
	.set _ZN7rocprim17ROCPRIM_400000_NS6detail17trampoline_kernelINS0_14default_configENS1_36segmented_radix_sort_config_selectorI6__halflEEZNS1_25segmented_radix_sort_implIS3_Lb1EPKS5_PS5_PKlPlN2at6native12_GLOBAL__N_18offset_tEEE10hipError_tPvRmT1_PNSt15iterator_traitsISL_E10value_typeET2_T3_PNSM_ISR_E10value_typeET4_jRbjT5_SX_jjP12ihipStream_tbEUlT_E0_NS1_11comp_targetILNS1_3genE9ELNS1_11target_archE1100ELNS1_3gpuE3ELNS1_3repE0EEENS1_60segmented_radix_sort_warp_sort_medium_config_static_selectorELNS0_4arch9wavefront6targetE0EEEvSL_.has_indirect_call, 0
	.section	.AMDGPU.csdata,"",@progbits
; Kernel info:
; codeLenInByte = 0
; TotalNumSgprs: 0
; NumVgprs: 0
; ScratchSize: 0
; MemoryBound: 0
; FloatMode: 240
; IeeeMode: 1
; LDSByteSize: 0 bytes/workgroup (compile time only)
; SGPRBlocks: 0
; VGPRBlocks: 0
; NumSGPRsForWavesPerEU: 1
; NumVGPRsForWavesPerEU: 1
; Occupancy: 16
; WaveLimiterHint : 0
; COMPUTE_PGM_RSRC2:SCRATCH_EN: 0
; COMPUTE_PGM_RSRC2:USER_SGPR: 2
; COMPUTE_PGM_RSRC2:TRAP_HANDLER: 0
; COMPUTE_PGM_RSRC2:TGID_X_EN: 1
; COMPUTE_PGM_RSRC2:TGID_Y_EN: 0
; COMPUTE_PGM_RSRC2:TGID_Z_EN: 0
; COMPUTE_PGM_RSRC2:TIDIG_COMP_CNT: 0
	.section	.text._ZN7rocprim17ROCPRIM_400000_NS6detail17trampoline_kernelINS0_14default_configENS1_36segmented_radix_sort_config_selectorI6__halflEEZNS1_25segmented_radix_sort_implIS3_Lb1EPKS5_PS5_PKlPlN2at6native12_GLOBAL__N_18offset_tEEE10hipError_tPvRmT1_PNSt15iterator_traitsISL_E10value_typeET2_T3_PNSM_ISR_E10value_typeET4_jRbjT5_SX_jjP12ihipStream_tbEUlT_E0_NS1_11comp_targetILNS1_3genE8ELNS1_11target_archE1030ELNS1_3gpuE2ELNS1_3repE0EEENS1_60segmented_radix_sort_warp_sort_medium_config_static_selectorELNS0_4arch9wavefront6targetE0EEEvSL_,"axG",@progbits,_ZN7rocprim17ROCPRIM_400000_NS6detail17trampoline_kernelINS0_14default_configENS1_36segmented_radix_sort_config_selectorI6__halflEEZNS1_25segmented_radix_sort_implIS3_Lb1EPKS5_PS5_PKlPlN2at6native12_GLOBAL__N_18offset_tEEE10hipError_tPvRmT1_PNSt15iterator_traitsISL_E10value_typeET2_T3_PNSM_ISR_E10value_typeET4_jRbjT5_SX_jjP12ihipStream_tbEUlT_E0_NS1_11comp_targetILNS1_3genE8ELNS1_11target_archE1030ELNS1_3gpuE2ELNS1_3repE0EEENS1_60segmented_radix_sort_warp_sort_medium_config_static_selectorELNS0_4arch9wavefront6targetE0EEEvSL_,comdat
	.globl	_ZN7rocprim17ROCPRIM_400000_NS6detail17trampoline_kernelINS0_14default_configENS1_36segmented_radix_sort_config_selectorI6__halflEEZNS1_25segmented_radix_sort_implIS3_Lb1EPKS5_PS5_PKlPlN2at6native12_GLOBAL__N_18offset_tEEE10hipError_tPvRmT1_PNSt15iterator_traitsISL_E10value_typeET2_T3_PNSM_ISR_E10value_typeET4_jRbjT5_SX_jjP12ihipStream_tbEUlT_E0_NS1_11comp_targetILNS1_3genE8ELNS1_11target_archE1030ELNS1_3gpuE2ELNS1_3repE0EEENS1_60segmented_radix_sort_warp_sort_medium_config_static_selectorELNS0_4arch9wavefront6targetE0EEEvSL_ ; -- Begin function _ZN7rocprim17ROCPRIM_400000_NS6detail17trampoline_kernelINS0_14default_configENS1_36segmented_radix_sort_config_selectorI6__halflEEZNS1_25segmented_radix_sort_implIS3_Lb1EPKS5_PS5_PKlPlN2at6native12_GLOBAL__N_18offset_tEEE10hipError_tPvRmT1_PNSt15iterator_traitsISL_E10value_typeET2_T3_PNSM_ISR_E10value_typeET4_jRbjT5_SX_jjP12ihipStream_tbEUlT_E0_NS1_11comp_targetILNS1_3genE8ELNS1_11target_archE1030ELNS1_3gpuE2ELNS1_3repE0EEENS1_60segmented_radix_sort_warp_sort_medium_config_static_selectorELNS0_4arch9wavefront6targetE0EEEvSL_
	.p2align	8
	.type	_ZN7rocprim17ROCPRIM_400000_NS6detail17trampoline_kernelINS0_14default_configENS1_36segmented_radix_sort_config_selectorI6__halflEEZNS1_25segmented_radix_sort_implIS3_Lb1EPKS5_PS5_PKlPlN2at6native12_GLOBAL__N_18offset_tEEE10hipError_tPvRmT1_PNSt15iterator_traitsISL_E10value_typeET2_T3_PNSM_ISR_E10value_typeET4_jRbjT5_SX_jjP12ihipStream_tbEUlT_E0_NS1_11comp_targetILNS1_3genE8ELNS1_11target_archE1030ELNS1_3gpuE2ELNS1_3repE0EEENS1_60segmented_radix_sort_warp_sort_medium_config_static_selectorELNS0_4arch9wavefront6targetE0EEEvSL_,@function
_ZN7rocprim17ROCPRIM_400000_NS6detail17trampoline_kernelINS0_14default_configENS1_36segmented_radix_sort_config_selectorI6__halflEEZNS1_25segmented_radix_sort_implIS3_Lb1EPKS5_PS5_PKlPlN2at6native12_GLOBAL__N_18offset_tEEE10hipError_tPvRmT1_PNSt15iterator_traitsISL_E10value_typeET2_T3_PNSM_ISR_E10value_typeET4_jRbjT5_SX_jjP12ihipStream_tbEUlT_E0_NS1_11comp_targetILNS1_3genE8ELNS1_11target_archE1030ELNS1_3gpuE2ELNS1_3repE0EEENS1_60segmented_radix_sort_warp_sort_medium_config_static_selectorELNS0_4arch9wavefront6targetE0EEEvSL_: ; @_ZN7rocprim17ROCPRIM_400000_NS6detail17trampoline_kernelINS0_14default_configENS1_36segmented_radix_sort_config_selectorI6__halflEEZNS1_25segmented_radix_sort_implIS3_Lb1EPKS5_PS5_PKlPlN2at6native12_GLOBAL__N_18offset_tEEE10hipError_tPvRmT1_PNSt15iterator_traitsISL_E10value_typeET2_T3_PNSM_ISR_E10value_typeET4_jRbjT5_SX_jjP12ihipStream_tbEUlT_E0_NS1_11comp_targetILNS1_3genE8ELNS1_11target_archE1030ELNS1_3gpuE2ELNS1_3repE0EEENS1_60segmented_radix_sort_warp_sort_medium_config_static_selectorELNS0_4arch9wavefront6targetE0EEEvSL_
; %bb.0:
	.section	.rodata,"a",@progbits
	.p2align	6, 0x0
	.amdhsa_kernel _ZN7rocprim17ROCPRIM_400000_NS6detail17trampoline_kernelINS0_14default_configENS1_36segmented_radix_sort_config_selectorI6__halflEEZNS1_25segmented_radix_sort_implIS3_Lb1EPKS5_PS5_PKlPlN2at6native12_GLOBAL__N_18offset_tEEE10hipError_tPvRmT1_PNSt15iterator_traitsISL_E10value_typeET2_T3_PNSM_ISR_E10value_typeET4_jRbjT5_SX_jjP12ihipStream_tbEUlT_E0_NS1_11comp_targetILNS1_3genE8ELNS1_11target_archE1030ELNS1_3gpuE2ELNS1_3repE0EEENS1_60segmented_radix_sort_warp_sort_medium_config_static_selectorELNS0_4arch9wavefront6targetE0EEEvSL_
		.amdhsa_group_segment_fixed_size 0
		.amdhsa_private_segment_fixed_size 0
		.amdhsa_kernarg_size 88
		.amdhsa_user_sgpr_count 2
		.amdhsa_user_sgpr_dispatch_ptr 0
		.amdhsa_user_sgpr_queue_ptr 0
		.amdhsa_user_sgpr_kernarg_segment_ptr 1
		.amdhsa_user_sgpr_dispatch_id 0
		.amdhsa_user_sgpr_private_segment_size 0
		.amdhsa_wavefront_size32 1
		.amdhsa_uses_dynamic_stack 0
		.amdhsa_enable_private_segment 0
		.amdhsa_system_sgpr_workgroup_id_x 1
		.amdhsa_system_sgpr_workgroup_id_y 0
		.amdhsa_system_sgpr_workgroup_id_z 0
		.amdhsa_system_sgpr_workgroup_info 0
		.amdhsa_system_vgpr_workitem_id 0
		.amdhsa_next_free_vgpr 1
		.amdhsa_next_free_sgpr 1
		.amdhsa_reserve_vcc 0
		.amdhsa_float_round_mode_32 0
		.amdhsa_float_round_mode_16_64 0
		.amdhsa_float_denorm_mode_32 3
		.amdhsa_float_denorm_mode_16_64 3
		.amdhsa_fp16_overflow 0
		.amdhsa_workgroup_processor_mode 1
		.amdhsa_memory_ordered 1
		.amdhsa_forward_progress 1
		.amdhsa_inst_pref_size 0
		.amdhsa_round_robin_scheduling 0
		.amdhsa_exception_fp_ieee_invalid_op 0
		.amdhsa_exception_fp_denorm_src 0
		.amdhsa_exception_fp_ieee_div_zero 0
		.amdhsa_exception_fp_ieee_overflow 0
		.amdhsa_exception_fp_ieee_underflow 0
		.amdhsa_exception_fp_ieee_inexact 0
		.amdhsa_exception_int_div_zero 0
	.end_amdhsa_kernel
	.section	.text._ZN7rocprim17ROCPRIM_400000_NS6detail17trampoline_kernelINS0_14default_configENS1_36segmented_radix_sort_config_selectorI6__halflEEZNS1_25segmented_radix_sort_implIS3_Lb1EPKS5_PS5_PKlPlN2at6native12_GLOBAL__N_18offset_tEEE10hipError_tPvRmT1_PNSt15iterator_traitsISL_E10value_typeET2_T3_PNSM_ISR_E10value_typeET4_jRbjT5_SX_jjP12ihipStream_tbEUlT_E0_NS1_11comp_targetILNS1_3genE8ELNS1_11target_archE1030ELNS1_3gpuE2ELNS1_3repE0EEENS1_60segmented_radix_sort_warp_sort_medium_config_static_selectorELNS0_4arch9wavefront6targetE0EEEvSL_,"axG",@progbits,_ZN7rocprim17ROCPRIM_400000_NS6detail17trampoline_kernelINS0_14default_configENS1_36segmented_radix_sort_config_selectorI6__halflEEZNS1_25segmented_radix_sort_implIS3_Lb1EPKS5_PS5_PKlPlN2at6native12_GLOBAL__N_18offset_tEEE10hipError_tPvRmT1_PNSt15iterator_traitsISL_E10value_typeET2_T3_PNSM_ISR_E10value_typeET4_jRbjT5_SX_jjP12ihipStream_tbEUlT_E0_NS1_11comp_targetILNS1_3genE8ELNS1_11target_archE1030ELNS1_3gpuE2ELNS1_3repE0EEENS1_60segmented_radix_sort_warp_sort_medium_config_static_selectorELNS0_4arch9wavefront6targetE0EEEvSL_,comdat
.Lfunc_end1758:
	.size	_ZN7rocprim17ROCPRIM_400000_NS6detail17trampoline_kernelINS0_14default_configENS1_36segmented_radix_sort_config_selectorI6__halflEEZNS1_25segmented_radix_sort_implIS3_Lb1EPKS5_PS5_PKlPlN2at6native12_GLOBAL__N_18offset_tEEE10hipError_tPvRmT1_PNSt15iterator_traitsISL_E10value_typeET2_T3_PNSM_ISR_E10value_typeET4_jRbjT5_SX_jjP12ihipStream_tbEUlT_E0_NS1_11comp_targetILNS1_3genE8ELNS1_11target_archE1030ELNS1_3gpuE2ELNS1_3repE0EEENS1_60segmented_radix_sort_warp_sort_medium_config_static_selectorELNS0_4arch9wavefront6targetE0EEEvSL_, .Lfunc_end1758-_ZN7rocprim17ROCPRIM_400000_NS6detail17trampoline_kernelINS0_14default_configENS1_36segmented_radix_sort_config_selectorI6__halflEEZNS1_25segmented_radix_sort_implIS3_Lb1EPKS5_PS5_PKlPlN2at6native12_GLOBAL__N_18offset_tEEE10hipError_tPvRmT1_PNSt15iterator_traitsISL_E10value_typeET2_T3_PNSM_ISR_E10value_typeET4_jRbjT5_SX_jjP12ihipStream_tbEUlT_E0_NS1_11comp_targetILNS1_3genE8ELNS1_11target_archE1030ELNS1_3gpuE2ELNS1_3repE0EEENS1_60segmented_radix_sort_warp_sort_medium_config_static_selectorELNS0_4arch9wavefront6targetE0EEEvSL_
                                        ; -- End function
	.set _ZN7rocprim17ROCPRIM_400000_NS6detail17trampoline_kernelINS0_14default_configENS1_36segmented_radix_sort_config_selectorI6__halflEEZNS1_25segmented_radix_sort_implIS3_Lb1EPKS5_PS5_PKlPlN2at6native12_GLOBAL__N_18offset_tEEE10hipError_tPvRmT1_PNSt15iterator_traitsISL_E10value_typeET2_T3_PNSM_ISR_E10value_typeET4_jRbjT5_SX_jjP12ihipStream_tbEUlT_E0_NS1_11comp_targetILNS1_3genE8ELNS1_11target_archE1030ELNS1_3gpuE2ELNS1_3repE0EEENS1_60segmented_radix_sort_warp_sort_medium_config_static_selectorELNS0_4arch9wavefront6targetE0EEEvSL_.num_vgpr, 0
	.set _ZN7rocprim17ROCPRIM_400000_NS6detail17trampoline_kernelINS0_14default_configENS1_36segmented_radix_sort_config_selectorI6__halflEEZNS1_25segmented_radix_sort_implIS3_Lb1EPKS5_PS5_PKlPlN2at6native12_GLOBAL__N_18offset_tEEE10hipError_tPvRmT1_PNSt15iterator_traitsISL_E10value_typeET2_T3_PNSM_ISR_E10value_typeET4_jRbjT5_SX_jjP12ihipStream_tbEUlT_E0_NS1_11comp_targetILNS1_3genE8ELNS1_11target_archE1030ELNS1_3gpuE2ELNS1_3repE0EEENS1_60segmented_radix_sort_warp_sort_medium_config_static_selectorELNS0_4arch9wavefront6targetE0EEEvSL_.num_agpr, 0
	.set _ZN7rocprim17ROCPRIM_400000_NS6detail17trampoline_kernelINS0_14default_configENS1_36segmented_radix_sort_config_selectorI6__halflEEZNS1_25segmented_radix_sort_implIS3_Lb1EPKS5_PS5_PKlPlN2at6native12_GLOBAL__N_18offset_tEEE10hipError_tPvRmT1_PNSt15iterator_traitsISL_E10value_typeET2_T3_PNSM_ISR_E10value_typeET4_jRbjT5_SX_jjP12ihipStream_tbEUlT_E0_NS1_11comp_targetILNS1_3genE8ELNS1_11target_archE1030ELNS1_3gpuE2ELNS1_3repE0EEENS1_60segmented_radix_sort_warp_sort_medium_config_static_selectorELNS0_4arch9wavefront6targetE0EEEvSL_.numbered_sgpr, 0
	.set _ZN7rocprim17ROCPRIM_400000_NS6detail17trampoline_kernelINS0_14default_configENS1_36segmented_radix_sort_config_selectorI6__halflEEZNS1_25segmented_radix_sort_implIS3_Lb1EPKS5_PS5_PKlPlN2at6native12_GLOBAL__N_18offset_tEEE10hipError_tPvRmT1_PNSt15iterator_traitsISL_E10value_typeET2_T3_PNSM_ISR_E10value_typeET4_jRbjT5_SX_jjP12ihipStream_tbEUlT_E0_NS1_11comp_targetILNS1_3genE8ELNS1_11target_archE1030ELNS1_3gpuE2ELNS1_3repE0EEENS1_60segmented_radix_sort_warp_sort_medium_config_static_selectorELNS0_4arch9wavefront6targetE0EEEvSL_.num_named_barrier, 0
	.set _ZN7rocprim17ROCPRIM_400000_NS6detail17trampoline_kernelINS0_14default_configENS1_36segmented_radix_sort_config_selectorI6__halflEEZNS1_25segmented_radix_sort_implIS3_Lb1EPKS5_PS5_PKlPlN2at6native12_GLOBAL__N_18offset_tEEE10hipError_tPvRmT1_PNSt15iterator_traitsISL_E10value_typeET2_T3_PNSM_ISR_E10value_typeET4_jRbjT5_SX_jjP12ihipStream_tbEUlT_E0_NS1_11comp_targetILNS1_3genE8ELNS1_11target_archE1030ELNS1_3gpuE2ELNS1_3repE0EEENS1_60segmented_radix_sort_warp_sort_medium_config_static_selectorELNS0_4arch9wavefront6targetE0EEEvSL_.private_seg_size, 0
	.set _ZN7rocprim17ROCPRIM_400000_NS6detail17trampoline_kernelINS0_14default_configENS1_36segmented_radix_sort_config_selectorI6__halflEEZNS1_25segmented_radix_sort_implIS3_Lb1EPKS5_PS5_PKlPlN2at6native12_GLOBAL__N_18offset_tEEE10hipError_tPvRmT1_PNSt15iterator_traitsISL_E10value_typeET2_T3_PNSM_ISR_E10value_typeET4_jRbjT5_SX_jjP12ihipStream_tbEUlT_E0_NS1_11comp_targetILNS1_3genE8ELNS1_11target_archE1030ELNS1_3gpuE2ELNS1_3repE0EEENS1_60segmented_radix_sort_warp_sort_medium_config_static_selectorELNS0_4arch9wavefront6targetE0EEEvSL_.uses_vcc, 0
	.set _ZN7rocprim17ROCPRIM_400000_NS6detail17trampoline_kernelINS0_14default_configENS1_36segmented_radix_sort_config_selectorI6__halflEEZNS1_25segmented_radix_sort_implIS3_Lb1EPKS5_PS5_PKlPlN2at6native12_GLOBAL__N_18offset_tEEE10hipError_tPvRmT1_PNSt15iterator_traitsISL_E10value_typeET2_T3_PNSM_ISR_E10value_typeET4_jRbjT5_SX_jjP12ihipStream_tbEUlT_E0_NS1_11comp_targetILNS1_3genE8ELNS1_11target_archE1030ELNS1_3gpuE2ELNS1_3repE0EEENS1_60segmented_radix_sort_warp_sort_medium_config_static_selectorELNS0_4arch9wavefront6targetE0EEEvSL_.uses_flat_scratch, 0
	.set _ZN7rocprim17ROCPRIM_400000_NS6detail17trampoline_kernelINS0_14default_configENS1_36segmented_radix_sort_config_selectorI6__halflEEZNS1_25segmented_radix_sort_implIS3_Lb1EPKS5_PS5_PKlPlN2at6native12_GLOBAL__N_18offset_tEEE10hipError_tPvRmT1_PNSt15iterator_traitsISL_E10value_typeET2_T3_PNSM_ISR_E10value_typeET4_jRbjT5_SX_jjP12ihipStream_tbEUlT_E0_NS1_11comp_targetILNS1_3genE8ELNS1_11target_archE1030ELNS1_3gpuE2ELNS1_3repE0EEENS1_60segmented_radix_sort_warp_sort_medium_config_static_selectorELNS0_4arch9wavefront6targetE0EEEvSL_.has_dyn_sized_stack, 0
	.set _ZN7rocprim17ROCPRIM_400000_NS6detail17trampoline_kernelINS0_14default_configENS1_36segmented_radix_sort_config_selectorI6__halflEEZNS1_25segmented_radix_sort_implIS3_Lb1EPKS5_PS5_PKlPlN2at6native12_GLOBAL__N_18offset_tEEE10hipError_tPvRmT1_PNSt15iterator_traitsISL_E10value_typeET2_T3_PNSM_ISR_E10value_typeET4_jRbjT5_SX_jjP12ihipStream_tbEUlT_E0_NS1_11comp_targetILNS1_3genE8ELNS1_11target_archE1030ELNS1_3gpuE2ELNS1_3repE0EEENS1_60segmented_radix_sort_warp_sort_medium_config_static_selectorELNS0_4arch9wavefront6targetE0EEEvSL_.has_recursion, 0
	.set _ZN7rocprim17ROCPRIM_400000_NS6detail17trampoline_kernelINS0_14default_configENS1_36segmented_radix_sort_config_selectorI6__halflEEZNS1_25segmented_radix_sort_implIS3_Lb1EPKS5_PS5_PKlPlN2at6native12_GLOBAL__N_18offset_tEEE10hipError_tPvRmT1_PNSt15iterator_traitsISL_E10value_typeET2_T3_PNSM_ISR_E10value_typeET4_jRbjT5_SX_jjP12ihipStream_tbEUlT_E0_NS1_11comp_targetILNS1_3genE8ELNS1_11target_archE1030ELNS1_3gpuE2ELNS1_3repE0EEENS1_60segmented_radix_sort_warp_sort_medium_config_static_selectorELNS0_4arch9wavefront6targetE0EEEvSL_.has_indirect_call, 0
	.section	.AMDGPU.csdata,"",@progbits
; Kernel info:
; codeLenInByte = 0
; TotalNumSgprs: 0
; NumVgprs: 0
; ScratchSize: 0
; MemoryBound: 0
; FloatMode: 240
; IeeeMode: 1
; LDSByteSize: 0 bytes/workgroup (compile time only)
; SGPRBlocks: 0
; VGPRBlocks: 0
; NumSGPRsForWavesPerEU: 1
; NumVGPRsForWavesPerEU: 1
; Occupancy: 16
; WaveLimiterHint : 0
; COMPUTE_PGM_RSRC2:SCRATCH_EN: 0
; COMPUTE_PGM_RSRC2:USER_SGPR: 2
; COMPUTE_PGM_RSRC2:TRAP_HANDLER: 0
; COMPUTE_PGM_RSRC2:TGID_X_EN: 1
; COMPUTE_PGM_RSRC2:TGID_Y_EN: 0
; COMPUTE_PGM_RSRC2:TGID_Z_EN: 0
; COMPUTE_PGM_RSRC2:TIDIG_COMP_CNT: 0
	.section	.text._ZN7rocprim17ROCPRIM_400000_NS6detail17trampoline_kernelINS0_14default_configENS1_36segmented_radix_sort_config_selectorI6__halflEEZNS1_25segmented_radix_sort_implIS3_Lb1EPKS5_PS5_PKlPlN2at6native12_GLOBAL__N_18offset_tEEE10hipError_tPvRmT1_PNSt15iterator_traitsISL_E10value_typeET2_T3_PNSM_ISR_E10value_typeET4_jRbjT5_SX_jjP12ihipStream_tbEUlT_E1_NS1_11comp_targetILNS1_3genE0ELNS1_11target_archE4294967295ELNS1_3gpuE0ELNS1_3repE0EEENS1_59segmented_radix_sort_warp_sort_small_config_static_selectorELNS0_4arch9wavefront6targetE0EEEvSL_,"axG",@progbits,_ZN7rocprim17ROCPRIM_400000_NS6detail17trampoline_kernelINS0_14default_configENS1_36segmented_radix_sort_config_selectorI6__halflEEZNS1_25segmented_radix_sort_implIS3_Lb1EPKS5_PS5_PKlPlN2at6native12_GLOBAL__N_18offset_tEEE10hipError_tPvRmT1_PNSt15iterator_traitsISL_E10value_typeET2_T3_PNSM_ISR_E10value_typeET4_jRbjT5_SX_jjP12ihipStream_tbEUlT_E1_NS1_11comp_targetILNS1_3genE0ELNS1_11target_archE4294967295ELNS1_3gpuE0ELNS1_3repE0EEENS1_59segmented_radix_sort_warp_sort_small_config_static_selectorELNS0_4arch9wavefront6targetE0EEEvSL_,comdat
	.globl	_ZN7rocprim17ROCPRIM_400000_NS6detail17trampoline_kernelINS0_14default_configENS1_36segmented_radix_sort_config_selectorI6__halflEEZNS1_25segmented_radix_sort_implIS3_Lb1EPKS5_PS5_PKlPlN2at6native12_GLOBAL__N_18offset_tEEE10hipError_tPvRmT1_PNSt15iterator_traitsISL_E10value_typeET2_T3_PNSM_ISR_E10value_typeET4_jRbjT5_SX_jjP12ihipStream_tbEUlT_E1_NS1_11comp_targetILNS1_3genE0ELNS1_11target_archE4294967295ELNS1_3gpuE0ELNS1_3repE0EEENS1_59segmented_radix_sort_warp_sort_small_config_static_selectorELNS0_4arch9wavefront6targetE0EEEvSL_ ; -- Begin function _ZN7rocprim17ROCPRIM_400000_NS6detail17trampoline_kernelINS0_14default_configENS1_36segmented_radix_sort_config_selectorI6__halflEEZNS1_25segmented_radix_sort_implIS3_Lb1EPKS5_PS5_PKlPlN2at6native12_GLOBAL__N_18offset_tEEE10hipError_tPvRmT1_PNSt15iterator_traitsISL_E10value_typeET2_T3_PNSM_ISR_E10value_typeET4_jRbjT5_SX_jjP12ihipStream_tbEUlT_E1_NS1_11comp_targetILNS1_3genE0ELNS1_11target_archE4294967295ELNS1_3gpuE0ELNS1_3repE0EEENS1_59segmented_radix_sort_warp_sort_small_config_static_selectorELNS0_4arch9wavefront6targetE0EEEvSL_
	.p2align	8
	.type	_ZN7rocprim17ROCPRIM_400000_NS6detail17trampoline_kernelINS0_14default_configENS1_36segmented_radix_sort_config_selectorI6__halflEEZNS1_25segmented_radix_sort_implIS3_Lb1EPKS5_PS5_PKlPlN2at6native12_GLOBAL__N_18offset_tEEE10hipError_tPvRmT1_PNSt15iterator_traitsISL_E10value_typeET2_T3_PNSM_ISR_E10value_typeET4_jRbjT5_SX_jjP12ihipStream_tbEUlT_E1_NS1_11comp_targetILNS1_3genE0ELNS1_11target_archE4294967295ELNS1_3gpuE0ELNS1_3repE0EEENS1_59segmented_radix_sort_warp_sort_small_config_static_selectorELNS0_4arch9wavefront6targetE0EEEvSL_,@function
_ZN7rocprim17ROCPRIM_400000_NS6detail17trampoline_kernelINS0_14default_configENS1_36segmented_radix_sort_config_selectorI6__halflEEZNS1_25segmented_radix_sort_implIS3_Lb1EPKS5_PS5_PKlPlN2at6native12_GLOBAL__N_18offset_tEEE10hipError_tPvRmT1_PNSt15iterator_traitsISL_E10value_typeET2_T3_PNSM_ISR_E10value_typeET4_jRbjT5_SX_jjP12ihipStream_tbEUlT_E1_NS1_11comp_targetILNS1_3genE0ELNS1_11target_archE4294967295ELNS1_3gpuE0ELNS1_3repE0EEENS1_59segmented_radix_sort_warp_sort_small_config_static_selectorELNS0_4arch9wavefront6targetE0EEEvSL_: ; @_ZN7rocprim17ROCPRIM_400000_NS6detail17trampoline_kernelINS0_14default_configENS1_36segmented_radix_sort_config_selectorI6__halflEEZNS1_25segmented_radix_sort_implIS3_Lb1EPKS5_PS5_PKlPlN2at6native12_GLOBAL__N_18offset_tEEE10hipError_tPvRmT1_PNSt15iterator_traitsISL_E10value_typeET2_T3_PNSM_ISR_E10value_typeET4_jRbjT5_SX_jjP12ihipStream_tbEUlT_E1_NS1_11comp_targetILNS1_3genE0ELNS1_11target_archE4294967295ELNS1_3gpuE0ELNS1_3repE0EEENS1_59segmented_radix_sort_warp_sort_small_config_static_selectorELNS0_4arch9wavefront6targetE0EEEvSL_
; %bb.0:
	.section	.rodata,"a",@progbits
	.p2align	6, 0x0
	.amdhsa_kernel _ZN7rocprim17ROCPRIM_400000_NS6detail17trampoline_kernelINS0_14default_configENS1_36segmented_radix_sort_config_selectorI6__halflEEZNS1_25segmented_radix_sort_implIS3_Lb1EPKS5_PS5_PKlPlN2at6native12_GLOBAL__N_18offset_tEEE10hipError_tPvRmT1_PNSt15iterator_traitsISL_E10value_typeET2_T3_PNSM_ISR_E10value_typeET4_jRbjT5_SX_jjP12ihipStream_tbEUlT_E1_NS1_11comp_targetILNS1_3genE0ELNS1_11target_archE4294967295ELNS1_3gpuE0ELNS1_3repE0EEENS1_59segmented_radix_sort_warp_sort_small_config_static_selectorELNS0_4arch9wavefront6targetE0EEEvSL_
		.amdhsa_group_segment_fixed_size 0
		.amdhsa_private_segment_fixed_size 0
		.amdhsa_kernarg_size 88
		.amdhsa_user_sgpr_count 2
		.amdhsa_user_sgpr_dispatch_ptr 0
		.amdhsa_user_sgpr_queue_ptr 0
		.amdhsa_user_sgpr_kernarg_segment_ptr 1
		.amdhsa_user_sgpr_dispatch_id 0
		.amdhsa_user_sgpr_private_segment_size 0
		.amdhsa_wavefront_size32 1
		.amdhsa_uses_dynamic_stack 0
		.amdhsa_enable_private_segment 0
		.amdhsa_system_sgpr_workgroup_id_x 1
		.amdhsa_system_sgpr_workgroup_id_y 0
		.amdhsa_system_sgpr_workgroup_id_z 0
		.amdhsa_system_sgpr_workgroup_info 0
		.amdhsa_system_vgpr_workitem_id 0
		.amdhsa_next_free_vgpr 1
		.amdhsa_next_free_sgpr 1
		.amdhsa_reserve_vcc 0
		.amdhsa_float_round_mode_32 0
		.amdhsa_float_round_mode_16_64 0
		.amdhsa_float_denorm_mode_32 3
		.amdhsa_float_denorm_mode_16_64 3
		.amdhsa_fp16_overflow 0
		.amdhsa_workgroup_processor_mode 1
		.amdhsa_memory_ordered 1
		.amdhsa_forward_progress 1
		.amdhsa_inst_pref_size 0
		.amdhsa_round_robin_scheduling 0
		.amdhsa_exception_fp_ieee_invalid_op 0
		.amdhsa_exception_fp_denorm_src 0
		.amdhsa_exception_fp_ieee_div_zero 0
		.amdhsa_exception_fp_ieee_overflow 0
		.amdhsa_exception_fp_ieee_underflow 0
		.amdhsa_exception_fp_ieee_inexact 0
		.amdhsa_exception_int_div_zero 0
	.end_amdhsa_kernel
	.section	.text._ZN7rocprim17ROCPRIM_400000_NS6detail17trampoline_kernelINS0_14default_configENS1_36segmented_radix_sort_config_selectorI6__halflEEZNS1_25segmented_radix_sort_implIS3_Lb1EPKS5_PS5_PKlPlN2at6native12_GLOBAL__N_18offset_tEEE10hipError_tPvRmT1_PNSt15iterator_traitsISL_E10value_typeET2_T3_PNSM_ISR_E10value_typeET4_jRbjT5_SX_jjP12ihipStream_tbEUlT_E1_NS1_11comp_targetILNS1_3genE0ELNS1_11target_archE4294967295ELNS1_3gpuE0ELNS1_3repE0EEENS1_59segmented_radix_sort_warp_sort_small_config_static_selectorELNS0_4arch9wavefront6targetE0EEEvSL_,"axG",@progbits,_ZN7rocprim17ROCPRIM_400000_NS6detail17trampoline_kernelINS0_14default_configENS1_36segmented_radix_sort_config_selectorI6__halflEEZNS1_25segmented_radix_sort_implIS3_Lb1EPKS5_PS5_PKlPlN2at6native12_GLOBAL__N_18offset_tEEE10hipError_tPvRmT1_PNSt15iterator_traitsISL_E10value_typeET2_T3_PNSM_ISR_E10value_typeET4_jRbjT5_SX_jjP12ihipStream_tbEUlT_E1_NS1_11comp_targetILNS1_3genE0ELNS1_11target_archE4294967295ELNS1_3gpuE0ELNS1_3repE0EEENS1_59segmented_radix_sort_warp_sort_small_config_static_selectorELNS0_4arch9wavefront6targetE0EEEvSL_,comdat
.Lfunc_end1759:
	.size	_ZN7rocprim17ROCPRIM_400000_NS6detail17trampoline_kernelINS0_14default_configENS1_36segmented_radix_sort_config_selectorI6__halflEEZNS1_25segmented_radix_sort_implIS3_Lb1EPKS5_PS5_PKlPlN2at6native12_GLOBAL__N_18offset_tEEE10hipError_tPvRmT1_PNSt15iterator_traitsISL_E10value_typeET2_T3_PNSM_ISR_E10value_typeET4_jRbjT5_SX_jjP12ihipStream_tbEUlT_E1_NS1_11comp_targetILNS1_3genE0ELNS1_11target_archE4294967295ELNS1_3gpuE0ELNS1_3repE0EEENS1_59segmented_radix_sort_warp_sort_small_config_static_selectorELNS0_4arch9wavefront6targetE0EEEvSL_, .Lfunc_end1759-_ZN7rocprim17ROCPRIM_400000_NS6detail17trampoline_kernelINS0_14default_configENS1_36segmented_radix_sort_config_selectorI6__halflEEZNS1_25segmented_radix_sort_implIS3_Lb1EPKS5_PS5_PKlPlN2at6native12_GLOBAL__N_18offset_tEEE10hipError_tPvRmT1_PNSt15iterator_traitsISL_E10value_typeET2_T3_PNSM_ISR_E10value_typeET4_jRbjT5_SX_jjP12ihipStream_tbEUlT_E1_NS1_11comp_targetILNS1_3genE0ELNS1_11target_archE4294967295ELNS1_3gpuE0ELNS1_3repE0EEENS1_59segmented_radix_sort_warp_sort_small_config_static_selectorELNS0_4arch9wavefront6targetE0EEEvSL_
                                        ; -- End function
	.set _ZN7rocprim17ROCPRIM_400000_NS6detail17trampoline_kernelINS0_14default_configENS1_36segmented_radix_sort_config_selectorI6__halflEEZNS1_25segmented_radix_sort_implIS3_Lb1EPKS5_PS5_PKlPlN2at6native12_GLOBAL__N_18offset_tEEE10hipError_tPvRmT1_PNSt15iterator_traitsISL_E10value_typeET2_T3_PNSM_ISR_E10value_typeET4_jRbjT5_SX_jjP12ihipStream_tbEUlT_E1_NS1_11comp_targetILNS1_3genE0ELNS1_11target_archE4294967295ELNS1_3gpuE0ELNS1_3repE0EEENS1_59segmented_radix_sort_warp_sort_small_config_static_selectorELNS0_4arch9wavefront6targetE0EEEvSL_.num_vgpr, 0
	.set _ZN7rocprim17ROCPRIM_400000_NS6detail17trampoline_kernelINS0_14default_configENS1_36segmented_radix_sort_config_selectorI6__halflEEZNS1_25segmented_radix_sort_implIS3_Lb1EPKS5_PS5_PKlPlN2at6native12_GLOBAL__N_18offset_tEEE10hipError_tPvRmT1_PNSt15iterator_traitsISL_E10value_typeET2_T3_PNSM_ISR_E10value_typeET4_jRbjT5_SX_jjP12ihipStream_tbEUlT_E1_NS1_11comp_targetILNS1_3genE0ELNS1_11target_archE4294967295ELNS1_3gpuE0ELNS1_3repE0EEENS1_59segmented_radix_sort_warp_sort_small_config_static_selectorELNS0_4arch9wavefront6targetE0EEEvSL_.num_agpr, 0
	.set _ZN7rocprim17ROCPRIM_400000_NS6detail17trampoline_kernelINS0_14default_configENS1_36segmented_radix_sort_config_selectorI6__halflEEZNS1_25segmented_radix_sort_implIS3_Lb1EPKS5_PS5_PKlPlN2at6native12_GLOBAL__N_18offset_tEEE10hipError_tPvRmT1_PNSt15iterator_traitsISL_E10value_typeET2_T3_PNSM_ISR_E10value_typeET4_jRbjT5_SX_jjP12ihipStream_tbEUlT_E1_NS1_11comp_targetILNS1_3genE0ELNS1_11target_archE4294967295ELNS1_3gpuE0ELNS1_3repE0EEENS1_59segmented_radix_sort_warp_sort_small_config_static_selectorELNS0_4arch9wavefront6targetE0EEEvSL_.numbered_sgpr, 0
	.set _ZN7rocprim17ROCPRIM_400000_NS6detail17trampoline_kernelINS0_14default_configENS1_36segmented_radix_sort_config_selectorI6__halflEEZNS1_25segmented_radix_sort_implIS3_Lb1EPKS5_PS5_PKlPlN2at6native12_GLOBAL__N_18offset_tEEE10hipError_tPvRmT1_PNSt15iterator_traitsISL_E10value_typeET2_T3_PNSM_ISR_E10value_typeET4_jRbjT5_SX_jjP12ihipStream_tbEUlT_E1_NS1_11comp_targetILNS1_3genE0ELNS1_11target_archE4294967295ELNS1_3gpuE0ELNS1_3repE0EEENS1_59segmented_radix_sort_warp_sort_small_config_static_selectorELNS0_4arch9wavefront6targetE0EEEvSL_.num_named_barrier, 0
	.set _ZN7rocprim17ROCPRIM_400000_NS6detail17trampoline_kernelINS0_14default_configENS1_36segmented_radix_sort_config_selectorI6__halflEEZNS1_25segmented_radix_sort_implIS3_Lb1EPKS5_PS5_PKlPlN2at6native12_GLOBAL__N_18offset_tEEE10hipError_tPvRmT1_PNSt15iterator_traitsISL_E10value_typeET2_T3_PNSM_ISR_E10value_typeET4_jRbjT5_SX_jjP12ihipStream_tbEUlT_E1_NS1_11comp_targetILNS1_3genE0ELNS1_11target_archE4294967295ELNS1_3gpuE0ELNS1_3repE0EEENS1_59segmented_radix_sort_warp_sort_small_config_static_selectorELNS0_4arch9wavefront6targetE0EEEvSL_.private_seg_size, 0
	.set _ZN7rocprim17ROCPRIM_400000_NS6detail17trampoline_kernelINS0_14default_configENS1_36segmented_radix_sort_config_selectorI6__halflEEZNS1_25segmented_radix_sort_implIS3_Lb1EPKS5_PS5_PKlPlN2at6native12_GLOBAL__N_18offset_tEEE10hipError_tPvRmT1_PNSt15iterator_traitsISL_E10value_typeET2_T3_PNSM_ISR_E10value_typeET4_jRbjT5_SX_jjP12ihipStream_tbEUlT_E1_NS1_11comp_targetILNS1_3genE0ELNS1_11target_archE4294967295ELNS1_3gpuE0ELNS1_3repE0EEENS1_59segmented_radix_sort_warp_sort_small_config_static_selectorELNS0_4arch9wavefront6targetE0EEEvSL_.uses_vcc, 0
	.set _ZN7rocprim17ROCPRIM_400000_NS6detail17trampoline_kernelINS0_14default_configENS1_36segmented_radix_sort_config_selectorI6__halflEEZNS1_25segmented_radix_sort_implIS3_Lb1EPKS5_PS5_PKlPlN2at6native12_GLOBAL__N_18offset_tEEE10hipError_tPvRmT1_PNSt15iterator_traitsISL_E10value_typeET2_T3_PNSM_ISR_E10value_typeET4_jRbjT5_SX_jjP12ihipStream_tbEUlT_E1_NS1_11comp_targetILNS1_3genE0ELNS1_11target_archE4294967295ELNS1_3gpuE0ELNS1_3repE0EEENS1_59segmented_radix_sort_warp_sort_small_config_static_selectorELNS0_4arch9wavefront6targetE0EEEvSL_.uses_flat_scratch, 0
	.set _ZN7rocprim17ROCPRIM_400000_NS6detail17trampoline_kernelINS0_14default_configENS1_36segmented_radix_sort_config_selectorI6__halflEEZNS1_25segmented_radix_sort_implIS3_Lb1EPKS5_PS5_PKlPlN2at6native12_GLOBAL__N_18offset_tEEE10hipError_tPvRmT1_PNSt15iterator_traitsISL_E10value_typeET2_T3_PNSM_ISR_E10value_typeET4_jRbjT5_SX_jjP12ihipStream_tbEUlT_E1_NS1_11comp_targetILNS1_3genE0ELNS1_11target_archE4294967295ELNS1_3gpuE0ELNS1_3repE0EEENS1_59segmented_radix_sort_warp_sort_small_config_static_selectorELNS0_4arch9wavefront6targetE0EEEvSL_.has_dyn_sized_stack, 0
	.set _ZN7rocprim17ROCPRIM_400000_NS6detail17trampoline_kernelINS0_14default_configENS1_36segmented_radix_sort_config_selectorI6__halflEEZNS1_25segmented_radix_sort_implIS3_Lb1EPKS5_PS5_PKlPlN2at6native12_GLOBAL__N_18offset_tEEE10hipError_tPvRmT1_PNSt15iterator_traitsISL_E10value_typeET2_T3_PNSM_ISR_E10value_typeET4_jRbjT5_SX_jjP12ihipStream_tbEUlT_E1_NS1_11comp_targetILNS1_3genE0ELNS1_11target_archE4294967295ELNS1_3gpuE0ELNS1_3repE0EEENS1_59segmented_radix_sort_warp_sort_small_config_static_selectorELNS0_4arch9wavefront6targetE0EEEvSL_.has_recursion, 0
	.set _ZN7rocprim17ROCPRIM_400000_NS6detail17trampoline_kernelINS0_14default_configENS1_36segmented_radix_sort_config_selectorI6__halflEEZNS1_25segmented_radix_sort_implIS3_Lb1EPKS5_PS5_PKlPlN2at6native12_GLOBAL__N_18offset_tEEE10hipError_tPvRmT1_PNSt15iterator_traitsISL_E10value_typeET2_T3_PNSM_ISR_E10value_typeET4_jRbjT5_SX_jjP12ihipStream_tbEUlT_E1_NS1_11comp_targetILNS1_3genE0ELNS1_11target_archE4294967295ELNS1_3gpuE0ELNS1_3repE0EEENS1_59segmented_radix_sort_warp_sort_small_config_static_selectorELNS0_4arch9wavefront6targetE0EEEvSL_.has_indirect_call, 0
	.section	.AMDGPU.csdata,"",@progbits
; Kernel info:
; codeLenInByte = 0
; TotalNumSgprs: 0
; NumVgprs: 0
; ScratchSize: 0
; MemoryBound: 0
; FloatMode: 240
; IeeeMode: 1
; LDSByteSize: 0 bytes/workgroup (compile time only)
; SGPRBlocks: 0
; VGPRBlocks: 0
; NumSGPRsForWavesPerEU: 1
; NumVGPRsForWavesPerEU: 1
; Occupancy: 16
; WaveLimiterHint : 0
; COMPUTE_PGM_RSRC2:SCRATCH_EN: 0
; COMPUTE_PGM_RSRC2:USER_SGPR: 2
; COMPUTE_PGM_RSRC2:TRAP_HANDLER: 0
; COMPUTE_PGM_RSRC2:TGID_X_EN: 1
; COMPUTE_PGM_RSRC2:TGID_Y_EN: 0
; COMPUTE_PGM_RSRC2:TGID_Z_EN: 0
; COMPUTE_PGM_RSRC2:TIDIG_COMP_CNT: 0
	.section	.text._ZN7rocprim17ROCPRIM_400000_NS6detail17trampoline_kernelINS0_14default_configENS1_36segmented_radix_sort_config_selectorI6__halflEEZNS1_25segmented_radix_sort_implIS3_Lb1EPKS5_PS5_PKlPlN2at6native12_GLOBAL__N_18offset_tEEE10hipError_tPvRmT1_PNSt15iterator_traitsISL_E10value_typeET2_T3_PNSM_ISR_E10value_typeET4_jRbjT5_SX_jjP12ihipStream_tbEUlT_E1_NS1_11comp_targetILNS1_3genE5ELNS1_11target_archE942ELNS1_3gpuE9ELNS1_3repE0EEENS1_59segmented_radix_sort_warp_sort_small_config_static_selectorELNS0_4arch9wavefront6targetE0EEEvSL_,"axG",@progbits,_ZN7rocprim17ROCPRIM_400000_NS6detail17trampoline_kernelINS0_14default_configENS1_36segmented_radix_sort_config_selectorI6__halflEEZNS1_25segmented_radix_sort_implIS3_Lb1EPKS5_PS5_PKlPlN2at6native12_GLOBAL__N_18offset_tEEE10hipError_tPvRmT1_PNSt15iterator_traitsISL_E10value_typeET2_T3_PNSM_ISR_E10value_typeET4_jRbjT5_SX_jjP12ihipStream_tbEUlT_E1_NS1_11comp_targetILNS1_3genE5ELNS1_11target_archE942ELNS1_3gpuE9ELNS1_3repE0EEENS1_59segmented_radix_sort_warp_sort_small_config_static_selectorELNS0_4arch9wavefront6targetE0EEEvSL_,comdat
	.globl	_ZN7rocprim17ROCPRIM_400000_NS6detail17trampoline_kernelINS0_14default_configENS1_36segmented_radix_sort_config_selectorI6__halflEEZNS1_25segmented_radix_sort_implIS3_Lb1EPKS5_PS5_PKlPlN2at6native12_GLOBAL__N_18offset_tEEE10hipError_tPvRmT1_PNSt15iterator_traitsISL_E10value_typeET2_T3_PNSM_ISR_E10value_typeET4_jRbjT5_SX_jjP12ihipStream_tbEUlT_E1_NS1_11comp_targetILNS1_3genE5ELNS1_11target_archE942ELNS1_3gpuE9ELNS1_3repE0EEENS1_59segmented_radix_sort_warp_sort_small_config_static_selectorELNS0_4arch9wavefront6targetE0EEEvSL_ ; -- Begin function _ZN7rocprim17ROCPRIM_400000_NS6detail17trampoline_kernelINS0_14default_configENS1_36segmented_radix_sort_config_selectorI6__halflEEZNS1_25segmented_radix_sort_implIS3_Lb1EPKS5_PS5_PKlPlN2at6native12_GLOBAL__N_18offset_tEEE10hipError_tPvRmT1_PNSt15iterator_traitsISL_E10value_typeET2_T3_PNSM_ISR_E10value_typeET4_jRbjT5_SX_jjP12ihipStream_tbEUlT_E1_NS1_11comp_targetILNS1_3genE5ELNS1_11target_archE942ELNS1_3gpuE9ELNS1_3repE0EEENS1_59segmented_radix_sort_warp_sort_small_config_static_selectorELNS0_4arch9wavefront6targetE0EEEvSL_
	.p2align	8
	.type	_ZN7rocprim17ROCPRIM_400000_NS6detail17trampoline_kernelINS0_14default_configENS1_36segmented_radix_sort_config_selectorI6__halflEEZNS1_25segmented_radix_sort_implIS3_Lb1EPKS5_PS5_PKlPlN2at6native12_GLOBAL__N_18offset_tEEE10hipError_tPvRmT1_PNSt15iterator_traitsISL_E10value_typeET2_T3_PNSM_ISR_E10value_typeET4_jRbjT5_SX_jjP12ihipStream_tbEUlT_E1_NS1_11comp_targetILNS1_3genE5ELNS1_11target_archE942ELNS1_3gpuE9ELNS1_3repE0EEENS1_59segmented_radix_sort_warp_sort_small_config_static_selectorELNS0_4arch9wavefront6targetE0EEEvSL_,@function
_ZN7rocprim17ROCPRIM_400000_NS6detail17trampoline_kernelINS0_14default_configENS1_36segmented_radix_sort_config_selectorI6__halflEEZNS1_25segmented_radix_sort_implIS3_Lb1EPKS5_PS5_PKlPlN2at6native12_GLOBAL__N_18offset_tEEE10hipError_tPvRmT1_PNSt15iterator_traitsISL_E10value_typeET2_T3_PNSM_ISR_E10value_typeET4_jRbjT5_SX_jjP12ihipStream_tbEUlT_E1_NS1_11comp_targetILNS1_3genE5ELNS1_11target_archE942ELNS1_3gpuE9ELNS1_3repE0EEENS1_59segmented_radix_sort_warp_sort_small_config_static_selectorELNS0_4arch9wavefront6targetE0EEEvSL_: ; @_ZN7rocprim17ROCPRIM_400000_NS6detail17trampoline_kernelINS0_14default_configENS1_36segmented_radix_sort_config_selectorI6__halflEEZNS1_25segmented_radix_sort_implIS3_Lb1EPKS5_PS5_PKlPlN2at6native12_GLOBAL__N_18offset_tEEE10hipError_tPvRmT1_PNSt15iterator_traitsISL_E10value_typeET2_T3_PNSM_ISR_E10value_typeET4_jRbjT5_SX_jjP12ihipStream_tbEUlT_E1_NS1_11comp_targetILNS1_3genE5ELNS1_11target_archE942ELNS1_3gpuE9ELNS1_3repE0EEENS1_59segmented_radix_sort_warp_sort_small_config_static_selectorELNS0_4arch9wavefront6targetE0EEEvSL_
; %bb.0:
	.section	.rodata,"a",@progbits
	.p2align	6, 0x0
	.amdhsa_kernel _ZN7rocprim17ROCPRIM_400000_NS6detail17trampoline_kernelINS0_14default_configENS1_36segmented_radix_sort_config_selectorI6__halflEEZNS1_25segmented_radix_sort_implIS3_Lb1EPKS5_PS5_PKlPlN2at6native12_GLOBAL__N_18offset_tEEE10hipError_tPvRmT1_PNSt15iterator_traitsISL_E10value_typeET2_T3_PNSM_ISR_E10value_typeET4_jRbjT5_SX_jjP12ihipStream_tbEUlT_E1_NS1_11comp_targetILNS1_3genE5ELNS1_11target_archE942ELNS1_3gpuE9ELNS1_3repE0EEENS1_59segmented_radix_sort_warp_sort_small_config_static_selectorELNS0_4arch9wavefront6targetE0EEEvSL_
		.amdhsa_group_segment_fixed_size 0
		.amdhsa_private_segment_fixed_size 0
		.amdhsa_kernarg_size 88
		.amdhsa_user_sgpr_count 2
		.amdhsa_user_sgpr_dispatch_ptr 0
		.amdhsa_user_sgpr_queue_ptr 0
		.amdhsa_user_sgpr_kernarg_segment_ptr 1
		.amdhsa_user_sgpr_dispatch_id 0
		.amdhsa_user_sgpr_private_segment_size 0
		.amdhsa_wavefront_size32 1
		.amdhsa_uses_dynamic_stack 0
		.amdhsa_enable_private_segment 0
		.amdhsa_system_sgpr_workgroup_id_x 1
		.amdhsa_system_sgpr_workgroup_id_y 0
		.amdhsa_system_sgpr_workgroup_id_z 0
		.amdhsa_system_sgpr_workgroup_info 0
		.amdhsa_system_vgpr_workitem_id 0
		.amdhsa_next_free_vgpr 1
		.amdhsa_next_free_sgpr 1
		.amdhsa_reserve_vcc 0
		.amdhsa_float_round_mode_32 0
		.amdhsa_float_round_mode_16_64 0
		.amdhsa_float_denorm_mode_32 3
		.amdhsa_float_denorm_mode_16_64 3
		.amdhsa_fp16_overflow 0
		.amdhsa_workgroup_processor_mode 1
		.amdhsa_memory_ordered 1
		.amdhsa_forward_progress 1
		.amdhsa_inst_pref_size 0
		.amdhsa_round_robin_scheduling 0
		.amdhsa_exception_fp_ieee_invalid_op 0
		.amdhsa_exception_fp_denorm_src 0
		.amdhsa_exception_fp_ieee_div_zero 0
		.amdhsa_exception_fp_ieee_overflow 0
		.amdhsa_exception_fp_ieee_underflow 0
		.amdhsa_exception_fp_ieee_inexact 0
		.amdhsa_exception_int_div_zero 0
	.end_amdhsa_kernel
	.section	.text._ZN7rocprim17ROCPRIM_400000_NS6detail17trampoline_kernelINS0_14default_configENS1_36segmented_radix_sort_config_selectorI6__halflEEZNS1_25segmented_radix_sort_implIS3_Lb1EPKS5_PS5_PKlPlN2at6native12_GLOBAL__N_18offset_tEEE10hipError_tPvRmT1_PNSt15iterator_traitsISL_E10value_typeET2_T3_PNSM_ISR_E10value_typeET4_jRbjT5_SX_jjP12ihipStream_tbEUlT_E1_NS1_11comp_targetILNS1_3genE5ELNS1_11target_archE942ELNS1_3gpuE9ELNS1_3repE0EEENS1_59segmented_radix_sort_warp_sort_small_config_static_selectorELNS0_4arch9wavefront6targetE0EEEvSL_,"axG",@progbits,_ZN7rocprim17ROCPRIM_400000_NS6detail17trampoline_kernelINS0_14default_configENS1_36segmented_radix_sort_config_selectorI6__halflEEZNS1_25segmented_radix_sort_implIS3_Lb1EPKS5_PS5_PKlPlN2at6native12_GLOBAL__N_18offset_tEEE10hipError_tPvRmT1_PNSt15iterator_traitsISL_E10value_typeET2_T3_PNSM_ISR_E10value_typeET4_jRbjT5_SX_jjP12ihipStream_tbEUlT_E1_NS1_11comp_targetILNS1_3genE5ELNS1_11target_archE942ELNS1_3gpuE9ELNS1_3repE0EEENS1_59segmented_radix_sort_warp_sort_small_config_static_selectorELNS0_4arch9wavefront6targetE0EEEvSL_,comdat
.Lfunc_end1760:
	.size	_ZN7rocprim17ROCPRIM_400000_NS6detail17trampoline_kernelINS0_14default_configENS1_36segmented_radix_sort_config_selectorI6__halflEEZNS1_25segmented_radix_sort_implIS3_Lb1EPKS5_PS5_PKlPlN2at6native12_GLOBAL__N_18offset_tEEE10hipError_tPvRmT1_PNSt15iterator_traitsISL_E10value_typeET2_T3_PNSM_ISR_E10value_typeET4_jRbjT5_SX_jjP12ihipStream_tbEUlT_E1_NS1_11comp_targetILNS1_3genE5ELNS1_11target_archE942ELNS1_3gpuE9ELNS1_3repE0EEENS1_59segmented_radix_sort_warp_sort_small_config_static_selectorELNS0_4arch9wavefront6targetE0EEEvSL_, .Lfunc_end1760-_ZN7rocprim17ROCPRIM_400000_NS6detail17trampoline_kernelINS0_14default_configENS1_36segmented_radix_sort_config_selectorI6__halflEEZNS1_25segmented_radix_sort_implIS3_Lb1EPKS5_PS5_PKlPlN2at6native12_GLOBAL__N_18offset_tEEE10hipError_tPvRmT1_PNSt15iterator_traitsISL_E10value_typeET2_T3_PNSM_ISR_E10value_typeET4_jRbjT5_SX_jjP12ihipStream_tbEUlT_E1_NS1_11comp_targetILNS1_3genE5ELNS1_11target_archE942ELNS1_3gpuE9ELNS1_3repE0EEENS1_59segmented_radix_sort_warp_sort_small_config_static_selectorELNS0_4arch9wavefront6targetE0EEEvSL_
                                        ; -- End function
	.set _ZN7rocprim17ROCPRIM_400000_NS6detail17trampoline_kernelINS0_14default_configENS1_36segmented_radix_sort_config_selectorI6__halflEEZNS1_25segmented_radix_sort_implIS3_Lb1EPKS5_PS5_PKlPlN2at6native12_GLOBAL__N_18offset_tEEE10hipError_tPvRmT1_PNSt15iterator_traitsISL_E10value_typeET2_T3_PNSM_ISR_E10value_typeET4_jRbjT5_SX_jjP12ihipStream_tbEUlT_E1_NS1_11comp_targetILNS1_3genE5ELNS1_11target_archE942ELNS1_3gpuE9ELNS1_3repE0EEENS1_59segmented_radix_sort_warp_sort_small_config_static_selectorELNS0_4arch9wavefront6targetE0EEEvSL_.num_vgpr, 0
	.set _ZN7rocprim17ROCPRIM_400000_NS6detail17trampoline_kernelINS0_14default_configENS1_36segmented_radix_sort_config_selectorI6__halflEEZNS1_25segmented_radix_sort_implIS3_Lb1EPKS5_PS5_PKlPlN2at6native12_GLOBAL__N_18offset_tEEE10hipError_tPvRmT1_PNSt15iterator_traitsISL_E10value_typeET2_T3_PNSM_ISR_E10value_typeET4_jRbjT5_SX_jjP12ihipStream_tbEUlT_E1_NS1_11comp_targetILNS1_3genE5ELNS1_11target_archE942ELNS1_3gpuE9ELNS1_3repE0EEENS1_59segmented_radix_sort_warp_sort_small_config_static_selectorELNS0_4arch9wavefront6targetE0EEEvSL_.num_agpr, 0
	.set _ZN7rocprim17ROCPRIM_400000_NS6detail17trampoline_kernelINS0_14default_configENS1_36segmented_radix_sort_config_selectorI6__halflEEZNS1_25segmented_radix_sort_implIS3_Lb1EPKS5_PS5_PKlPlN2at6native12_GLOBAL__N_18offset_tEEE10hipError_tPvRmT1_PNSt15iterator_traitsISL_E10value_typeET2_T3_PNSM_ISR_E10value_typeET4_jRbjT5_SX_jjP12ihipStream_tbEUlT_E1_NS1_11comp_targetILNS1_3genE5ELNS1_11target_archE942ELNS1_3gpuE9ELNS1_3repE0EEENS1_59segmented_radix_sort_warp_sort_small_config_static_selectorELNS0_4arch9wavefront6targetE0EEEvSL_.numbered_sgpr, 0
	.set _ZN7rocprim17ROCPRIM_400000_NS6detail17trampoline_kernelINS0_14default_configENS1_36segmented_radix_sort_config_selectorI6__halflEEZNS1_25segmented_radix_sort_implIS3_Lb1EPKS5_PS5_PKlPlN2at6native12_GLOBAL__N_18offset_tEEE10hipError_tPvRmT1_PNSt15iterator_traitsISL_E10value_typeET2_T3_PNSM_ISR_E10value_typeET4_jRbjT5_SX_jjP12ihipStream_tbEUlT_E1_NS1_11comp_targetILNS1_3genE5ELNS1_11target_archE942ELNS1_3gpuE9ELNS1_3repE0EEENS1_59segmented_radix_sort_warp_sort_small_config_static_selectorELNS0_4arch9wavefront6targetE0EEEvSL_.num_named_barrier, 0
	.set _ZN7rocprim17ROCPRIM_400000_NS6detail17trampoline_kernelINS0_14default_configENS1_36segmented_radix_sort_config_selectorI6__halflEEZNS1_25segmented_radix_sort_implIS3_Lb1EPKS5_PS5_PKlPlN2at6native12_GLOBAL__N_18offset_tEEE10hipError_tPvRmT1_PNSt15iterator_traitsISL_E10value_typeET2_T3_PNSM_ISR_E10value_typeET4_jRbjT5_SX_jjP12ihipStream_tbEUlT_E1_NS1_11comp_targetILNS1_3genE5ELNS1_11target_archE942ELNS1_3gpuE9ELNS1_3repE0EEENS1_59segmented_radix_sort_warp_sort_small_config_static_selectorELNS0_4arch9wavefront6targetE0EEEvSL_.private_seg_size, 0
	.set _ZN7rocprim17ROCPRIM_400000_NS6detail17trampoline_kernelINS0_14default_configENS1_36segmented_radix_sort_config_selectorI6__halflEEZNS1_25segmented_radix_sort_implIS3_Lb1EPKS5_PS5_PKlPlN2at6native12_GLOBAL__N_18offset_tEEE10hipError_tPvRmT1_PNSt15iterator_traitsISL_E10value_typeET2_T3_PNSM_ISR_E10value_typeET4_jRbjT5_SX_jjP12ihipStream_tbEUlT_E1_NS1_11comp_targetILNS1_3genE5ELNS1_11target_archE942ELNS1_3gpuE9ELNS1_3repE0EEENS1_59segmented_radix_sort_warp_sort_small_config_static_selectorELNS0_4arch9wavefront6targetE0EEEvSL_.uses_vcc, 0
	.set _ZN7rocprim17ROCPRIM_400000_NS6detail17trampoline_kernelINS0_14default_configENS1_36segmented_radix_sort_config_selectorI6__halflEEZNS1_25segmented_radix_sort_implIS3_Lb1EPKS5_PS5_PKlPlN2at6native12_GLOBAL__N_18offset_tEEE10hipError_tPvRmT1_PNSt15iterator_traitsISL_E10value_typeET2_T3_PNSM_ISR_E10value_typeET4_jRbjT5_SX_jjP12ihipStream_tbEUlT_E1_NS1_11comp_targetILNS1_3genE5ELNS1_11target_archE942ELNS1_3gpuE9ELNS1_3repE0EEENS1_59segmented_radix_sort_warp_sort_small_config_static_selectorELNS0_4arch9wavefront6targetE0EEEvSL_.uses_flat_scratch, 0
	.set _ZN7rocprim17ROCPRIM_400000_NS6detail17trampoline_kernelINS0_14default_configENS1_36segmented_radix_sort_config_selectorI6__halflEEZNS1_25segmented_radix_sort_implIS3_Lb1EPKS5_PS5_PKlPlN2at6native12_GLOBAL__N_18offset_tEEE10hipError_tPvRmT1_PNSt15iterator_traitsISL_E10value_typeET2_T3_PNSM_ISR_E10value_typeET4_jRbjT5_SX_jjP12ihipStream_tbEUlT_E1_NS1_11comp_targetILNS1_3genE5ELNS1_11target_archE942ELNS1_3gpuE9ELNS1_3repE0EEENS1_59segmented_radix_sort_warp_sort_small_config_static_selectorELNS0_4arch9wavefront6targetE0EEEvSL_.has_dyn_sized_stack, 0
	.set _ZN7rocprim17ROCPRIM_400000_NS6detail17trampoline_kernelINS0_14default_configENS1_36segmented_radix_sort_config_selectorI6__halflEEZNS1_25segmented_radix_sort_implIS3_Lb1EPKS5_PS5_PKlPlN2at6native12_GLOBAL__N_18offset_tEEE10hipError_tPvRmT1_PNSt15iterator_traitsISL_E10value_typeET2_T3_PNSM_ISR_E10value_typeET4_jRbjT5_SX_jjP12ihipStream_tbEUlT_E1_NS1_11comp_targetILNS1_3genE5ELNS1_11target_archE942ELNS1_3gpuE9ELNS1_3repE0EEENS1_59segmented_radix_sort_warp_sort_small_config_static_selectorELNS0_4arch9wavefront6targetE0EEEvSL_.has_recursion, 0
	.set _ZN7rocprim17ROCPRIM_400000_NS6detail17trampoline_kernelINS0_14default_configENS1_36segmented_radix_sort_config_selectorI6__halflEEZNS1_25segmented_radix_sort_implIS3_Lb1EPKS5_PS5_PKlPlN2at6native12_GLOBAL__N_18offset_tEEE10hipError_tPvRmT1_PNSt15iterator_traitsISL_E10value_typeET2_T3_PNSM_ISR_E10value_typeET4_jRbjT5_SX_jjP12ihipStream_tbEUlT_E1_NS1_11comp_targetILNS1_3genE5ELNS1_11target_archE942ELNS1_3gpuE9ELNS1_3repE0EEENS1_59segmented_radix_sort_warp_sort_small_config_static_selectorELNS0_4arch9wavefront6targetE0EEEvSL_.has_indirect_call, 0
	.section	.AMDGPU.csdata,"",@progbits
; Kernel info:
; codeLenInByte = 0
; TotalNumSgprs: 0
; NumVgprs: 0
; ScratchSize: 0
; MemoryBound: 0
; FloatMode: 240
; IeeeMode: 1
; LDSByteSize: 0 bytes/workgroup (compile time only)
; SGPRBlocks: 0
; VGPRBlocks: 0
; NumSGPRsForWavesPerEU: 1
; NumVGPRsForWavesPerEU: 1
; Occupancy: 16
; WaveLimiterHint : 0
; COMPUTE_PGM_RSRC2:SCRATCH_EN: 0
; COMPUTE_PGM_RSRC2:USER_SGPR: 2
; COMPUTE_PGM_RSRC2:TRAP_HANDLER: 0
; COMPUTE_PGM_RSRC2:TGID_X_EN: 1
; COMPUTE_PGM_RSRC2:TGID_Y_EN: 0
; COMPUTE_PGM_RSRC2:TGID_Z_EN: 0
; COMPUTE_PGM_RSRC2:TIDIG_COMP_CNT: 0
	.section	.text._ZN7rocprim17ROCPRIM_400000_NS6detail17trampoline_kernelINS0_14default_configENS1_36segmented_radix_sort_config_selectorI6__halflEEZNS1_25segmented_radix_sort_implIS3_Lb1EPKS5_PS5_PKlPlN2at6native12_GLOBAL__N_18offset_tEEE10hipError_tPvRmT1_PNSt15iterator_traitsISL_E10value_typeET2_T3_PNSM_ISR_E10value_typeET4_jRbjT5_SX_jjP12ihipStream_tbEUlT_E1_NS1_11comp_targetILNS1_3genE4ELNS1_11target_archE910ELNS1_3gpuE8ELNS1_3repE0EEENS1_59segmented_radix_sort_warp_sort_small_config_static_selectorELNS0_4arch9wavefront6targetE0EEEvSL_,"axG",@progbits,_ZN7rocprim17ROCPRIM_400000_NS6detail17trampoline_kernelINS0_14default_configENS1_36segmented_radix_sort_config_selectorI6__halflEEZNS1_25segmented_radix_sort_implIS3_Lb1EPKS5_PS5_PKlPlN2at6native12_GLOBAL__N_18offset_tEEE10hipError_tPvRmT1_PNSt15iterator_traitsISL_E10value_typeET2_T3_PNSM_ISR_E10value_typeET4_jRbjT5_SX_jjP12ihipStream_tbEUlT_E1_NS1_11comp_targetILNS1_3genE4ELNS1_11target_archE910ELNS1_3gpuE8ELNS1_3repE0EEENS1_59segmented_radix_sort_warp_sort_small_config_static_selectorELNS0_4arch9wavefront6targetE0EEEvSL_,comdat
	.globl	_ZN7rocprim17ROCPRIM_400000_NS6detail17trampoline_kernelINS0_14default_configENS1_36segmented_radix_sort_config_selectorI6__halflEEZNS1_25segmented_radix_sort_implIS3_Lb1EPKS5_PS5_PKlPlN2at6native12_GLOBAL__N_18offset_tEEE10hipError_tPvRmT1_PNSt15iterator_traitsISL_E10value_typeET2_T3_PNSM_ISR_E10value_typeET4_jRbjT5_SX_jjP12ihipStream_tbEUlT_E1_NS1_11comp_targetILNS1_3genE4ELNS1_11target_archE910ELNS1_3gpuE8ELNS1_3repE0EEENS1_59segmented_radix_sort_warp_sort_small_config_static_selectorELNS0_4arch9wavefront6targetE0EEEvSL_ ; -- Begin function _ZN7rocprim17ROCPRIM_400000_NS6detail17trampoline_kernelINS0_14default_configENS1_36segmented_radix_sort_config_selectorI6__halflEEZNS1_25segmented_radix_sort_implIS3_Lb1EPKS5_PS5_PKlPlN2at6native12_GLOBAL__N_18offset_tEEE10hipError_tPvRmT1_PNSt15iterator_traitsISL_E10value_typeET2_T3_PNSM_ISR_E10value_typeET4_jRbjT5_SX_jjP12ihipStream_tbEUlT_E1_NS1_11comp_targetILNS1_3genE4ELNS1_11target_archE910ELNS1_3gpuE8ELNS1_3repE0EEENS1_59segmented_radix_sort_warp_sort_small_config_static_selectorELNS0_4arch9wavefront6targetE0EEEvSL_
	.p2align	8
	.type	_ZN7rocprim17ROCPRIM_400000_NS6detail17trampoline_kernelINS0_14default_configENS1_36segmented_radix_sort_config_selectorI6__halflEEZNS1_25segmented_radix_sort_implIS3_Lb1EPKS5_PS5_PKlPlN2at6native12_GLOBAL__N_18offset_tEEE10hipError_tPvRmT1_PNSt15iterator_traitsISL_E10value_typeET2_T3_PNSM_ISR_E10value_typeET4_jRbjT5_SX_jjP12ihipStream_tbEUlT_E1_NS1_11comp_targetILNS1_3genE4ELNS1_11target_archE910ELNS1_3gpuE8ELNS1_3repE0EEENS1_59segmented_radix_sort_warp_sort_small_config_static_selectorELNS0_4arch9wavefront6targetE0EEEvSL_,@function
_ZN7rocprim17ROCPRIM_400000_NS6detail17trampoline_kernelINS0_14default_configENS1_36segmented_radix_sort_config_selectorI6__halflEEZNS1_25segmented_radix_sort_implIS3_Lb1EPKS5_PS5_PKlPlN2at6native12_GLOBAL__N_18offset_tEEE10hipError_tPvRmT1_PNSt15iterator_traitsISL_E10value_typeET2_T3_PNSM_ISR_E10value_typeET4_jRbjT5_SX_jjP12ihipStream_tbEUlT_E1_NS1_11comp_targetILNS1_3genE4ELNS1_11target_archE910ELNS1_3gpuE8ELNS1_3repE0EEENS1_59segmented_radix_sort_warp_sort_small_config_static_selectorELNS0_4arch9wavefront6targetE0EEEvSL_: ; @_ZN7rocprim17ROCPRIM_400000_NS6detail17trampoline_kernelINS0_14default_configENS1_36segmented_radix_sort_config_selectorI6__halflEEZNS1_25segmented_radix_sort_implIS3_Lb1EPKS5_PS5_PKlPlN2at6native12_GLOBAL__N_18offset_tEEE10hipError_tPvRmT1_PNSt15iterator_traitsISL_E10value_typeET2_T3_PNSM_ISR_E10value_typeET4_jRbjT5_SX_jjP12ihipStream_tbEUlT_E1_NS1_11comp_targetILNS1_3genE4ELNS1_11target_archE910ELNS1_3gpuE8ELNS1_3repE0EEENS1_59segmented_radix_sort_warp_sort_small_config_static_selectorELNS0_4arch9wavefront6targetE0EEEvSL_
; %bb.0:
	.section	.rodata,"a",@progbits
	.p2align	6, 0x0
	.amdhsa_kernel _ZN7rocprim17ROCPRIM_400000_NS6detail17trampoline_kernelINS0_14default_configENS1_36segmented_radix_sort_config_selectorI6__halflEEZNS1_25segmented_radix_sort_implIS3_Lb1EPKS5_PS5_PKlPlN2at6native12_GLOBAL__N_18offset_tEEE10hipError_tPvRmT1_PNSt15iterator_traitsISL_E10value_typeET2_T3_PNSM_ISR_E10value_typeET4_jRbjT5_SX_jjP12ihipStream_tbEUlT_E1_NS1_11comp_targetILNS1_3genE4ELNS1_11target_archE910ELNS1_3gpuE8ELNS1_3repE0EEENS1_59segmented_radix_sort_warp_sort_small_config_static_selectorELNS0_4arch9wavefront6targetE0EEEvSL_
		.amdhsa_group_segment_fixed_size 0
		.amdhsa_private_segment_fixed_size 0
		.amdhsa_kernarg_size 88
		.amdhsa_user_sgpr_count 2
		.amdhsa_user_sgpr_dispatch_ptr 0
		.amdhsa_user_sgpr_queue_ptr 0
		.amdhsa_user_sgpr_kernarg_segment_ptr 1
		.amdhsa_user_sgpr_dispatch_id 0
		.amdhsa_user_sgpr_private_segment_size 0
		.amdhsa_wavefront_size32 1
		.amdhsa_uses_dynamic_stack 0
		.amdhsa_enable_private_segment 0
		.amdhsa_system_sgpr_workgroup_id_x 1
		.amdhsa_system_sgpr_workgroup_id_y 0
		.amdhsa_system_sgpr_workgroup_id_z 0
		.amdhsa_system_sgpr_workgroup_info 0
		.amdhsa_system_vgpr_workitem_id 0
		.amdhsa_next_free_vgpr 1
		.amdhsa_next_free_sgpr 1
		.amdhsa_reserve_vcc 0
		.amdhsa_float_round_mode_32 0
		.amdhsa_float_round_mode_16_64 0
		.amdhsa_float_denorm_mode_32 3
		.amdhsa_float_denorm_mode_16_64 3
		.amdhsa_fp16_overflow 0
		.amdhsa_workgroup_processor_mode 1
		.amdhsa_memory_ordered 1
		.amdhsa_forward_progress 1
		.amdhsa_inst_pref_size 0
		.amdhsa_round_robin_scheduling 0
		.amdhsa_exception_fp_ieee_invalid_op 0
		.amdhsa_exception_fp_denorm_src 0
		.amdhsa_exception_fp_ieee_div_zero 0
		.amdhsa_exception_fp_ieee_overflow 0
		.amdhsa_exception_fp_ieee_underflow 0
		.amdhsa_exception_fp_ieee_inexact 0
		.amdhsa_exception_int_div_zero 0
	.end_amdhsa_kernel
	.section	.text._ZN7rocprim17ROCPRIM_400000_NS6detail17trampoline_kernelINS0_14default_configENS1_36segmented_radix_sort_config_selectorI6__halflEEZNS1_25segmented_radix_sort_implIS3_Lb1EPKS5_PS5_PKlPlN2at6native12_GLOBAL__N_18offset_tEEE10hipError_tPvRmT1_PNSt15iterator_traitsISL_E10value_typeET2_T3_PNSM_ISR_E10value_typeET4_jRbjT5_SX_jjP12ihipStream_tbEUlT_E1_NS1_11comp_targetILNS1_3genE4ELNS1_11target_archE910ELNS1_3gpuE8ELNS1_3repE0EEENS1_59segmented_radix_sort_warp_sort_small_config_static_selectorELNS0_4arch9wavefront6targetE0EEEvSL_,"axG",@progbits,_ZN7rocprim17ROCPRIM_400000_NS6detail17trampoline_kernelINS0_14default_configENS1_36segmented_radix_sort_config_selectorI6__halflEEZNS1_25segmented_radix_sort_implIS3_Lb1EPKS5_PS5_PKlPlN2at6native12_GLOBAL__N_18offset_tEEE10hipError_tPvRmT1_PNSt15iterator_traitsISL_E10value_typeET2_T3_PNSM_ISR_E10value_typeET4_jRbjT5_SX_jjP12ihipStream_tbEUlT_E1_NS1_11comp_targetILNS1_3genE4ELNS1_11target_archE910ELNS1_3gpuE8ELNS1_3repE0EEENS1_59segmented_radix_sort_warp_sort_small_config_static_selectorELNS0_4arch9wavefront6targetE0EEEvSL_,comdat
.Lfunc_end1761:
	.size	_ZN7rocprim17ROCPRIM_400000_NS6detail17trampoline_kernelINS0_14default_configENS1_36segmented_radix_sort_config_selectorI6__halflEEZNS1_25segmented_radix_sort_implIS3_Lb1EPKS5_PS5_PKlPlN2at6native12_GLOBAL__N_18offset_tEEE10hipError_tPvRmT1_PNSt15iterator_traitsISL_E10value_typeET2_T3_PNSM_ISR_E10value_typeET4_jRbjT5_SX_jjP12ihipStream_tbEUlT_E1_NS1_11comp_targetILNS1_3genE4ELNS1_11target_archE910ELNS1_3gpuE8ELNS1_3repE0EEENS1_59segmented_radix_sort_warp_sort_small_config_static_selectorELNS0_4arch9wavefront6targetE0EEEvSL_, .Lfunc_end1761-_ZN7rocprim17ROCPRIM_400000_NS6detail17trampoline_kernelINS0_14default_configENS1_36segmented_radix_sort_config_selectorI6__halflEEZNS1_25segmented_radix_sort_implIS3_Lb1EPKS5_PS5_PKlPlN2at6native12_GLOBAL__N_18offset_tEEE10hipError_tPvRmT1_PNSt15iterator_traitsISL_E10value_typeET2_T3_PNSM_ISR_E10value_typeET4_jRbjT5_SX_jjP12ihipStream_tbEUlT_E1_NS1_11comp_targetILNS1_3genE4ELNS1_11target_archE910ELNS1_3gpuE8ELNS1_3repE0EEENS1_59segmented_radix_sort_warp_sort_small_config_static_selectorELNS0_4arch9wavefront6targetE0EEEvSL_
                                        ; -- End function
	.set _ZN7rocprim17ROCPRIM_400000_NS6detail17trampoline_kernelINS0_14default_configENS1_36segmented_radix_sort_config_selectorI6__halflEEZNS1_25segmented_radix_sort_implIS3_Lb1EPKS5_PS5_PKlPlN2at6native12_GLOBAL__N_18offset_tEEE10hipError_tPvRmT1_PNSt15iterator_traitsISL_E10value_typeET2_T3_PNSM_ISR_E10value_typeET4_jRbjT5_SX_jjP12ihipStream_tbEUlT_E1_NS1_11comp_targetILNS1_3genE4ELNS1_11target_archE910ELNS1_3gpuE8ELNS1_3repE0EEENS1_59segmented_radix_sort_warp_sort_small_config_static_selectorELNS0_4arch9wavefront6targetE0EEEvSL_.num_vgpr, 0
	.set _ZN7rocprim17ROCPRIM_400000_NS6detail17trampoline_kernelINS0_14default_configENS1_36segmented_radix_sort_config_selectorI6__halflEEZNS1_25segmented_radix_sort_implIS3_Lb1EPKS5_PS5_PKlPlN2at6native12_GLOBAL__N_18offset_tEEE10hipError_tPvRmT1_PNSt15iterator_traitsISL_E10value_typeET2_T3_PNSM_ISR_E10value_typeET4_jRbjT5_SX_jjP12ihipStream_tbEUlT_E1_NS1_11comp_targetILNS1_3genE4ELNS1_11target_archE910ELNS1_3gpuE8ELNS1_3repE0EEENS1_59segmented_radix_sort_warp_sort_small_config_static_selectorELNS0_4arch9wavefront6targetE0EEEvSL_.num_agpr, 0
	.set _ZN7rocprim17ROCPRIM_400000_NS6detail17trampoline_kernelINS0_14default_configENS1_36segmented_radix_sort_config_selectorI6__halflEEZNS1_25segmented_radix_sort_implIS3_Lb1EPKS5_PS5_PKlPlN2at6native12_GLOBAL__N_18offset_tEEE10hipError_tPvRmT1_PNSt15iterator_traitsISL_E10value_typeET2_T3_PNSM_ISR_E10value_typeET4_jRbjT5_SX_jjP12ihipStream_tbEUlT_E1_NS1_11comp_targetILNS1_3genE4ELNS1_11target_archE910ELNS1_3gpuE8ELNS1_3repE0EEENS1_59segmented_radix_sort_warp_sort_small_config_static_selectorELNS0_4arch9wavefront6targetE0EEEvSL_.numbered_sgpr, 0
	.set _ZN7rocprim17ROCPRIM_400000_NS6detail17trampoline_kernelINS0_14default_configENS1_36segmented_radix_sort_config_selectorI6__halflEEZNS1_25segmented_radix_sort_implIS3_Lb1EPKS5_PS5_PKlPlN2at6native12_GLOBAL__N_18offset_tEEE10hipError_tPvRmT1_PNSt15iterator_traitsISL_E10value_typeET2_T3_PNSM_ISR_E10value_typeET4_jRbjT5_SX_jjP12ihipStream_tbEUlT_E1_NS1_11comp_targetILNS1_3genE4ELNS1_11target_archE910ELNS1_3gpuE8ELNS1_3repE0EEENS1_59segmented_radix_sort_warp_sort_small_config_static_selectorELNS0_4arch9wavefront6targetE0EEEvSL_.num_named_barrier, 0
	.set _ZN7rocprim17ROCPRIM_400000_NS6detail17trampoline_kernelINS0_14default_configENS1_36segmented_radix_sort_config_selectorI6__halflEEZNS1_25segmented_radix_sort_implIS3_Lb1EPKS5_PS5_PKlPlN2at6native12_GLOBAL__N_18offset_tEEE10hipError_tPvRmT1_PNSt15iterator_traitsISL_E10value_typeET2_T3_PNSM_ISR_E10value_typeET4_jRbjT5_SX_jjP12ihipStream_tbEUlT_E1_NS1_11comp_targetILNS1_3genE4ELNS1_11target_archE910ELNS1_3gpuE8ELNS1_3repE0EEENS1_59segmented_radix_sort_warp_sort_small_config_static_selectorELNS0_4arch9wavefront6targetE0EEEvSL_.private_seg_size, 0
	.set _ZN7rocprim17ROCPRIM_400000_NS6detail17trampoline_kernelINS0_14default_configENS1_36segmented_radix_sort_config_selectorI6__halflEEZNS1_25segmented_radix_sort_implIS3_Lb1EPKS5_PS5_PKlPlN2at6native12_GLOBAL__N_18offset_tEEE10hipError_tPvRmT1_PNSt15iterator_traitsISL_E10value_typeET2_T3_PNSM_ISR_E10value_typeET4_jRbjT5_SX_jjP12ihipStream_tbEUlT_E1_NS1_11comp_targetILNS1_3genE4ELNS1_11target_archE910ELNS1_3gpuE8ELNS1_3repE0EEENS1_59segmented_radix_sort_warp_sort_small_config_static_selectorELNS0_4arch9wavefront6targetE0EEEvSL_.uses_vcc, 0
	.set _ZN7rocprim17ROCPRIM_400000_NS6detail17trampoline_kernelINS0_14default_configENS1_36segmented_radix_sort_config_selectorI6__halflEEZNS1_25segmented_radix_sort_implIS3_Lb1EPKS5_PS5_PKlPlN2at6native12_GLOBAL__N_18offset_tEEE10hipError_tPvRmT1_PNSt15iterator_traitsISL_E10value_typeET2_T3_PNSM_ISR_E10value_typeET4_jRbjT5_SX_jjP12ihipStream_tbEUlT_E1_NS1_11comp_targetILNS1_3genE4ELNS1_11target_archE910ELNS1_3gpuE8ELNS1_3repE0EEENS1_59segmented_radix_sort_warp_sort_small_config_static_selectorELNS0_4arch9wavefront6targetE0EEEvSL_.uses_flat_scratch, 0
	.set _ZN7rocprim17ROCPRIM_400000_NS6detail17trampoline_kernelINS0_14default_configENS1_36segmented_radix_sort_config_selectorI6__halflEEZNS1_25segmented_radix_sort_implIS3_Lb1EPKS5_PS5_PKlPlN2at6native12_GLOBAL__N_18offset_tEEE10hipError_tPvRmT1_PNSt15iterator_traitsISL_E10value_typeET2_T3_PNSM_ISR_E10value_typeET4_jRbjT5_SX_jjP12ihipStream_tbEUlT_E1_NS1_11comp_targetILNS1_3genE4ELNS1_11target_archE910ELNS1_3gpuE8ELNS1_3repE0EEENS1_59segmented_radix_sort_warp_sort_small_config_static_selectorELNS0_4arch9wavefront6targetE0EEEvSL_.has_dyn_sized_stack, 0
	.set _ZN7rocprim17ROCPRIM_400000_NS6detail17trampoline_kernelINS0_14default_configENS1_36segmented_radix_sort_config_selectorI6__halflEEZNS1_25segmented_radix_sort_implIS3_Lb1EPKS5_PS5_PKlPlN2at6native12_GLOBAL__N_18offset_tEEE10hipError_tPvRmT1_PNSt15iterator_traitsISL_E10value_typeET2_T3_PNSM_ISR_E10value_typeET4_jRbjT5_SX_jjP12ihipStream_tbEUlT_E1_NS1_11comp_targetILNS1_3genE4ELNS1_11target_archE910ELNS1_3gpuE8ELNS1_3repE0EEENS1_59segmented_radix_sort_warp_sort_small_config_static_selectorELNS0_4arch9wavefront6targetE0EEEvSL_.has_recursion, 0
	.set _ZN7rocprim17ROCPRIM_400000_NS6detail17trampoline_kernelINS0_14default_configENS1_36segmented_radix_sort_config_selectorI6__halflEEZNS1_25segmented_radix_sort_implIS3_Lb1EPKS5_PS5_PKlPlN2at6native12_GLOBAL__N_18offset_tEEE10hipError_tPvRmT1_PNSt15iterator_traitsISL_E10value_typeET2_T3_PNSM_ISR_E10value_typeET4_jRbjT5_SX_jjP12ihipStream_tbEUlT_E1_NS1_11comp_targetILNS1_3genE4ELNS1_11target_archE910ELNS1_3gpuE8ELNS1_3repE0EEENS1_59segmented_radix_sort_warp_sort_small_config_static_selectorELNS0_4arch9wavefront6targetE0EEEvSL_.has_indirect_call, 0
	.section	.AMDGPU.csdata,"",@progbits
; Kernel info:
; codeLenInByte = 0
; TotalNumSgprs: 0
; NumVgprs: 0
; ScratchSize: 0
; MemoryBound: 0
; FloatMode: 240
; IeeeMode: 1
; LDSByteSize: 0 bytes/workgroup (compile time only)
; SGPRBlocks: 0
; VGPRBlocks: 0
; NumSGPRsForWavesPerEU: 1
; NumVGPRsForWavesPerEU: 1
; Occupancy: 16
; WaveLimiterHint : 0
; COMPUTE_PGM_RSRC2:SCRATCH_EN: 0
; COMPUTE_PGM_RSRC2:USER_SGPR: 2
; COMPUTE_PGM_RSRC2:TRAP_HANDLER: 0
; COMPUTE_PGM_RSRC2:TGID_X_EN: 1
; COMPUTE_PGM_RSRC2:TGID_Y_EN: 0
; COMPUTE_PGM_RSRC2:TGID_Z_EN: 0
; COMPUTE_PGM_RSRC2:TIDIG_COMP_CNT: 0
	.section	.text._ZN7rocprim17ROCPRIM_400000_NS6detail17trampoline_kernelINS0_14default_configENS1_36segmented_radix_sort_config_selectorI6__halflEEZNS1_25segmented_radix_sort_implIS3_Lb1EPKS5_PS5_PKlPlN2at6native12_GLOBAL__N_18offset_tEEE10hipError_tPvRmT1_PNSt15iterator_traitsISL_E10value_typeET2_T3_PNSM_ISR_E10value_typeET4_jRbjT5_SX_jjP12ihipStream_tbEUlT_E1_NS1_11comp_targetILNS1_3genE3ELNS1_11target_archE908ELNS1_3gpuE7ELNS1_3repE0EEENS1_59segmented_radix_sort_warp_sort_small_config_static_selectorELNS0_4arch9wavefront6targetE0EEEvSL_,"axG",@progbits,_ZN7rocprim17ROCPRIM_400000_NS6detail17trampoline_kernelINS0_14default_configENS1_36segmented_radix_sort_config_selectorI6__halflEEZNS1_25segmented_radix_sort_implIS3_Lb1EPKS5_PS5_PKlPlN2at6native12_GLOBAL__N_18offset_tEEE10hipError_tPvRmT1_PNSt15iterator_traitsISL_E10value_typeET2_T3_PNSM_ISR_E10value_typeET4_jRbjT5_SX_jjP12ihipStream_tbEUlT_E1_NS1_11comp_targetILNS1_3genE3ELNS1_11target_archE908ELNS1_3gpuE7ELNS1_3repE0EEENS1_59segmented_radix_sort_warp_sort_small_config_static_selectorELNS0_4arch9wavefront6targetE0EEEvSL_,comdat
	.globl	_ZN7rocprim17ROCPRIM_400000_NS6detail17trampoline_kernelINS0_14default_configENS1_36segmented_radix_sort_config_selectorI6__halflEEZNS1_25segmented_radix_sort_implIS3_Lb1EPKS5_PS5_PKlPlN2at6native12_GLOBAL__N_18offset_tEEE10hipError_tPvRmT1_PNSt15iterator_traitsISL_E10value_typeET2_T3_PNSM_ISR_E10value_typeET4_jRbjT5_SX_jjP12ihipStream_tbEUlT_E1_NS1_11comp_targetILNS1_3genE3ELNS1_11target_archE908ELNS1_3gpuE7ELNS1_3repE0EEENS1_59segmented_radix_sort_warp_sort_small_config_static_selectorELNS0_4arch9wavefront6targetE0EEEvSL_ ; -- Begin function _ZN7rocprim17ROCPRIM_400000_NS6detail17trampoline_kernelINS0_14default_configENS1_36segmented_radix_sort_config_selectorI6__halflEEZNS1_25segmented_radix_sort_implIS3_Lb1EPKS5_PS5_PKlPlN2at6native12_GLOBAL__N_18offset_tEEE10hipError_tPvRmT1_PNSt15iterator_traitsISL_E10value_typeET2_T3_PNSM_ISR_E10value_typeET4_jRbjT5_SX_jjP12ihipStream_tbEUlT_E1_NS1_11comp_targetILNS1_3genE3ELNS1_11target_archE908ELNS1_3gpuE7ELNS1_3repE0EEENS1_59segmented_radix_sort_warp_sort_small_config_static_selectorELNS0_4arch9wavefront6targetE0EEEvSL_
	.p2align	8
	.type	_ZN7rocprim17ROCPRIM_400000_NS6detail17trampoline_kernelINS0_14default_configENS1_36segmented_radix_sort_config_selectorI6__halflEEZNS1_25segmented_radix_sort_implIS3_Lb1EPKS5_PS5_PKlPlN2at6native12_GLOBAL__N_18offset_tEEE10hipError_tPvRmT1_PNSt15iterator_traitsISL_E10value_typeET2_T3_PNSM_ISR_E10value_typeET4_jRbjT5_SX_jjP12ihipStream_tbEUlT_E1_NS1_11comp_targetILNS1_3genE3ELNS1_11target_archE908ELNS1_3gpuE7ELNS1_3repE0EEENS1_59segmented_radix_sort_warp_sort_small_config_static_selectorELNS0_4arch9wavefront6targetE0EEEvSL_,@function
_ZN7rocprim17ROCPRIM_400000_NS6detail17trampoline_kernelINS0_14default_configENS1_36segmented_radix_sort_config_selectorI6__halflEEZNS1_25segmented_radix_sort_implIS3_Lb1EPKS5_PS5_PKlPlN2at6native12_GLOBAL__N_18offset_tEEE10hipError_tPvRmT1_PNSt15iterator_traitsISL_E10value_typeET2_T3_PNSM_ISR_E10value_typeET4_jRbjT5_SX_jjP12ihipStream_tbEUlT_E1_NS1_11comp_targetILNS1_3genE3ELNS1_11target_archE908ELNS1_3gpuE7ELNS1_3repE0EEENS1_59segmented_radix_sort_warp_sort_small_config_static_selectorELNS0_4arch9wavefront6targetE0EEEvSL_: ; @_ZN7rocprim17ROCPRIM_400000_NS6detail17trampoline_kernelINS0_14default_configENS1_36segmented_radix_sort_config_selectorI6__halflEEZNS1_25segmented_radix_sort_implIS3_Lb1EPKS5_PS5_PKlPlN2at6native12_GLOBAL__N_18offset_tEEE10hipError_tPvRmT1_PNSt15iterator_traitsISL_E10value_typeET2_T3_PNSM_ISR_E10value_typeET4_jRbjT5_SX_jjP12ihipStream_tbEUlT_E1_NS1_11comp_targetILNS1_3genE3ELNS1_11target_archE908ELNS1_3gpuE7ELNS1_3repE0EEENS1_59segmented_radix_sort_warp_sort_small_config_static_selectorELNS0_4arch9wavefront6targetE0EEEvSL_
; %bb.0:
	.section	.rodata,"a",@progbits
	.p2align	6, 0x0
	.amdhsa_kernel _ZN7rocprim17ROCPRIM_400000_NS6detail17trampoline_kernelINS0_14default_configENS1_36segmented_radix_sort_config_selectorI6__halflEEZNS1_25segmented_radix_sort_implIS3_Lb1EPKS5_PS5_PKlPlN2at6native12_GLOBAL__N_18offset_tEEE10hipError_tPvRmT1_PNSt15iterator_traitsISL_E10value_typeET2_T3_PNSM_ISR_E10value_typeET4_jRbjT5_SX_jjP12ihipStream_tbEUlT_E1_NS1_11comp_targetILNS1_3genE3ELNS1_11target_archE908ELNS1_3gpuE7ELNS1_3repE0EEENS1_59segmented_radix_sort_warp_sort_small_config_static_selectorELNS0_4arch9wavefront6targetE0EEEvSL_
		.amdhsa_group_segment_fixed_size 0
		.amdhsa_private_segment_fixed_size 0
		.amdhsa_kernarg_size 88
		.amdhsa_user_sgpr_count 2
		.amdhsa_user_sgpr_dispatch_ptr 0
		.amdhsa_user_sgpr_queue_ptr 0
		.amdhsa_user_sgpr_kernarg_segment_ptr 1
		.amdhsa_user_sgpr_dispatch_id 0
		.amdhsa_user_sgpr_private_segment_size 0
		.amdhsa_wavefront_size32 1
		.amdhsa_uses_dynamic_stack 0
		.amdhsa_enable_private_segment 0
		.amdhsa_system_sgpr_workgroup_id_x 1
		.amdhsa_system_sgpr_workgroup_id_y 0
		.amdhsa_system_sgpr_workgroup_id_z 0
		.amdhsa_system_sgpr_workgroup_info 0
		.amdhsa_system_vgpr_workitem_id 0
		.amdhsa_next_free_vgpr 1
		.amdhsa_next_free_sgpr 1
		.amdhsa_reserve_vcc 0
		.amdhsa_float_round_mode_32 0
		.amdhsa_float_round_mode_16_64 0
		.amdhsa_float_denorm_mode_32 3
		.amdhsa_float_denorm_mode_16_64 3
		.amdhsa_fp16_overflow 0
		.amdhsa_workgroup_processor_mode 1
		.amdhsa_memory_ordered 1
		.amdhsa_forward_progress 1
		.amdhsa_inst_pref_size 0
		.amdhsa_round_robin_scheduling 0
		.amdhsa_exception_fp_ieee_invalid_op 0
		.amdhsa_exception_fp_denorm_src 0
		.amdhsa_exception_fp_ieee_div_zero 0
		.amdhsa_exception_fp_ieee_overflow 0
		.amdhsa_exception_fp_ieee_underflow 0
		.amdhsa_exception_fp_ieee_inexact 0
		.amdhsa_exception_int_div_zero 0
	.end_amdhsa_kernel
	.section	.text._ZN7rocprim17ROCPRIM_400000_NS6detail17trampoline_kernelINS0_14default_configENS1_36segmented_radix_sort_config_selectorI6__halflEEZNS1_25segmented_radix_sort_implIS3_Lb1EPKS5_PS5_PKlPlN2at6native12_GLOBAL__N_18offset_tEEE10hipError_tPvRmT1_PNSt15iterator_traitsISL_E10value_typeET2_T3_PNSM_ISR_E10value_typeET4_jRbjT5_SX_jjP12ihipStream_tbEUlT_E1_NS1_11comp_targetILNS1_3genE3ELNS1_11target_archE908ELNS1_3gpuE7ELNS1_3repE0EEENS1_59segmented_radix_sort_warp_sort_small_config_static_selectorELNS0_4arch9wavefront6targetE0EEEvSL_,"axG",@progbits,_ZN7rocprim17ROCPRIM_400000_NS6detail17trampoline_kernelINS0_14default_configENS1_36segmented_radix_sort_config_selectorI6__halflEEZNS1_25segmented_radix_sort_implIS3_Lb1EPKS5_PS5_PKlPlN2at6native12_GLOBAL__N_18offset_tEEE10hipError_tPvRmT1_PNSt15iterator_traitsISL_E10value_typeET2_T3_PNSM_ISR_E10value_typeET4_jRbjT5_SX_jjP12ihipStream_tbEUlT_E1_NS1_11comp_targetILNS1_3genE3ELNS1_11target_archE908ELNS1_3gpuE7ELNS1_3repE0EEENS1_59segmented_radix_sort_warp_sort_small_config_static_selectorELNS0_4arch9wavefront6targetE0EEEvSL_,comdat
.Lfunc_end1762:
	.size	_ZN7rocprim17ROCPRIM_400000_NS6detail17trampoline_kernelINS0_14default_configENS1_36segmented_radix_sort_config_selectorI6__halflEEZNS1_25segmented_radix_sort_implIS3_Lb1EPKS5_PS5_PKlPlN2at6native12_GLOBAL__N_18offset_tEEE10hipError_tPvRmT1_PNSt15iterator_traitsISL_E10value_typeET2_T3_PNSM_ISR_E10value_typeET4_jRbjT5_SX_jjP12ihipStream_tbEUlT_E1_NS1_11comp_targetILNS1_3genE3ELNS1_11target_archE908ELNS1_3gpuE7ELNS1_3repE0EEENS1_59segmented_radix_sort_warp_sort_small_config_static_selectorELNS0_4arch9wavefront6targetE0EEEvSL_, .Lfunc_end1762-_ZN7rocprim17ROCPRIM_400000_NS6detail17trampoline_kernelINS0_14default_configENS1_36segmented_radix_sort_config_selectorI6__halflEEZNS1_25segmented_radix_sort_implIS3_Lb1EPKS5_PS5_PKlPlN2at6native12_GLOBAL__N_18offset_tEEE10hipError_tPvRmT1_PNSt15iterator_traitsISL_E10value_typeET2_T3_PNSM_ISR_E10value_typeET4_jRbjT5_SX_jjP12ihipStream_tbEUlT_E1_NS1_11comp_targetILNS1_3genE3ELNS1_11target_archE908ELNS1_3gpuE7ELNS1_3repE0EEENS1_59segmented_radix_sort_warp_sort_small_config_static_selectorELNS0_4arch9wavefront6targetE0EEEvSL_
                                        ; -- End function
	.set _ZN7rocprim17ROCPRIM_400000_NS6detail17trampoline_kernelINS0_14default_configENS1_36segmented_radix_sort_config_selectorI6__halflEEZNS1_25segmented_radix_sort_implIS3_Lb1EPKS5_PS5_PKlPlN2at6native12_GLOBAL__N_18offset_tEEE10hipError_tPvRmT1_PNSt15iterator_traitsISL_E10value_typeET2_T3_PNSM_ISR_E10value_typeET4_jRbjT5_SX_jjP12ihipStream_tbEUlT_E1_NS1_11comp_targetILNS1_3genE3ELNS1_11target_archE908ELNS1_3gpuE7ELNS1_3repE0EEENS1_59segmented_radix_sort_warp_sort_small_config_static_selectorELNS0_4arch9wavefront6targetE0EEEvSL_.num_vgpr, 0
	.set _ZN7rocprim17ROCPRIM_400000_NS6detail17trampoline_kernelINS0_14default_configENS1_36segmented_radix_sort_config_selectorI6__halflEEZNS1_25segmented_radix_sort_implIS3_Lb1EPKS5_PS5_PKlPlN2at6native12_GLOBAL__N_18offset_tEEE10hipError_tPvRmT1_PNSt15iterator_traitsISL_E10value_typeET2_T3_PNSM_ISR_E10value_typeET4_jRbjT5_SX_jjP12ihipStream_tbEUlT_E1_NS1_11comp_targetILNS1_3genE3ELNS1_11target_archE908ELNS1_3gpuE7ELNS1_3repE0EEENS1_59segmented_radix_sort_warp_sort_small_config_static_selectorELNS0_4arch9wavefront6targetE0EEEvSL_.num_agpr, 0
	.set _ZN7rocprim17ROCPRIM_400000_NS6detail17trampoline_kernelINS0_14default_configENS1_36segmented_radix_sort_config_selectorI6__halflEEZNS1_25segmented_radix_sort_implIS3_Lb1EPKS5_PS5_PKlPlN2at6native12_GLOBAL__N_18offset_tEEE10hipError_tPvRmT1_PNSt15iterator_traitsISL_E10value_typeET2_T3_PNSM_ISR_E10value_typeET4_jRbjT5_SX_jjP12ihipStream_tbEUlT_E1_NS1_11comp_targetILNS1_3genE3ELNS1_11target_archE908ELNS1_3gpuE7ELNS1_3repE0EEENS1_59segmented_radix_sort_warp_sort_small_config_static_selectorELNS0_4arch9wavefront6targetE0EEEvSL_.numbered_sgpr, 0
	.set _ZN7rocprim17ROCPRIM_400000_NS6detail17trampoline_kernelINS0_14default_configENS1_36segmented_radix_sort_config_selectorI6__halflEEZNS1_25segmented_radix_sort_implIS3_Lb1EPKS5_PS5_PKlPlN2at6native12_GLOBAL__N_18offset_tEEE10hipError_tPvRmT1_PNSt15iterator_traitsISL_E10value_typeET2_T3_PNSM_ISR_E10value_typeET4_jRbjT5_SX_jjP12ihipStream_tbEUlT_E1_NS1_11comp_targetILNS1_3genE3ELNS1_11target_archE908ELNS1_3gpuE7ELNS1_3repE0EEENS1_59segmented_radix_sort_warp_sort_small_config_static_selectorELNS0_4arch9wavefront6targetE0EEEvSL_.num_named_barrier, 0
	.set _ZN7rocprim17ROCPRIM_400000_NS6detail17trampoline_kernelINS0_14default_configENS1_36segmented_radix_sort_config_selectorI6__halflEEZNS1_25segmented_radix_sort_implIS3_Lb1EPKS5_PS5_PKlPlN2at6native12_GLOBAL__N_18offset_tEEE10hipError_tPvRmT1_PNSt15iterator_traitsISL_E10value_typeET2_T3_PNSM_ISR_E10value_typeET4_jRbjT5_SX_jjP12ihipStream_tbEUlT_E1_NS1_11comp_targetILNS1_3genE3ELNS1_11target_archE908ELNS1_3gpuE7ELNS1_3repE0EEENS1_59segmented_radix_sort_warp_sort_small_config_static_selectorELNS0_4arch9wavefront6targetE0EEEvSL_.private_seg_size, 0
	.set _ZN7rocprim17ROCPRIM_400000_NS6detail17trampoline_kernelINS0_14default_configENS1_36segmented_radix_sort_config_selectorI6__halflEEZNS1_25segmented_radix_sort_implIS3_Lb1EPKS5_PS5_PKlPlN2at6native12_GLOBAL__N_18offset_tEEE10hipError_tPvRmT1_PNSt15iterator_traitsISL_E10value_typeET2_T3_PNSM_ISR_E10value_typeET4_jRbjT5_SX_jjP12ihipStream_tbEUlT_E1_NS1_11comp_targetILNS1_3genE3ELNS1_11target_archE908ELNS1_3gpuE7ELNS1_3repE0EEENS1_59segmented_radix_sort_warp_sort_small_config_static_selectorELNS0_4arch9wavefront6targetE0EEEvSL_.uses_vcc, 0
	.set _ZN7rocprim17ROCPRIM_400000_NS6detail17trampoline_kernelINS0_14default_configENS1_36segmented_radix_sort_config_selectorI6__halflEEZNS1_25segmented_radix_sort_implIS3_Lb1EPKS5_PS5_PKlPlN2at6native12_GLOBAL__N_18offset_tEEE10hipError_tPvRmT1_PNSt15iterator_traitsISL_E10value_typeET2_T3_PNSM_ISR_E10value_typeET4_jRbjT5_SX_jjP12ihipStream_tbEUlT_E1_NS1_11comp_targetILNS1_3genE3ELNS1_11target_archE908ELNS1_3gpuE7ELNS1_3repE0EEENS1_59segmented_radix_sort_warp_sort_small_config_static_selectorELNS0_4arch9wavefront6targetE0EEEvSL_.uses_flat_scratch, 0
	.set _ZN7rocprim17ROCPRIM_400000_NS6detail17trampoline_kernelINS0_14default_configENS1_36segmented_radix_sort_config_selectorI6__halflEEZNS1_25segmented_radix_sort_implIS3_Lb1EPKS5_PS5_PKlPlN2at6native12_GLOBAL__N_18offset_tEEE10hipError_tPvRmT1_PNSt15iterator_traitsISL_E10value_typeET2_T3_PNSM_ISR_E10value_typeET4_jRbjT5_SX_jjP12ihipStream_tbEUlT_E1_NS1_11comp_targetILNS1_3genE3ELNS1_11target_archE908ELNS1_3gpuE7ELNS1_3repE0EEENS1_59segmented_radix_sort_warp_sort_small_config_static_selectorELNS0_4arch9wavefront6targetE0EEEvSL_.has_dyn_sized_stack, 0
	.set _ZN7rocprim17ROCPRIM_400000_NS6detail17trampoline_kernelINS0_14default_configENS1_36segmented_radix_sort_config_selectorI6__halflEEZNS1_25segmented_radix_sort_implIS3_Lb1EPKS5_PS5_PKlPlN2at6native12_GLOBAL__N_18offset_tEEE10hipError_tPvRmT1_PNSt15iterator_traitsISL_E10value_typeET2_T3_PNSM_ISR_E10value_typeET4_jRbjT5_SX_jjP12ihipStream_tbEUlT_E1_NS1_11comp_targetILNS1_3genE3ELNS1_11target_archE908ELNS1_3gpuE7ELNS1_3repE0EEENS1_59segmented_radix_sort_warp_sort_small_config_static_selectorELNS0_4arch9wavefront6targetE0EEEvSL_.has_recursion, 0
	.set _ZN7rocprim17ROCPRIM_400000_NS6detail17trampoline_kernelINS0_14default_configENS1_36segmented_radix_sort_config_selectorI6__halflEEZNS1_25segmented_radix_sort_implIS3_Lb1EPKS5_PS5_PKlPlN2at6native12_GLOBAL__N_18offset_tEEE10hipError_tPvRmT1_PNSt15iterator_traitsISL_E10value_typeET2_T3_PNSM_ISR_E10value_typeET4_jRbjT5_SX_jjP12ihipStream_tbEUlT_E1_NS1_11comp_targetILNS1_3genE3ELNS1_11target_archE908ELNS1_3gpuE7ELNS1_3repE0EEENS1_59segmented_radix_sort_warp_sort_small_config_static_selectorELNS0_4arch9wavefront6targetE0EEEvSL_.has_indirect_call, 0
	.section	.AMDGPU.csdata,"",@progbits
; Kernel info:
; codeLenInByte = 0
; TotalNumSgprs: 0
; NumVgprs: 0
; ScratchSize: 0
; MemoryBound: 0
; FloatMode: 240
; IeeeMode: 1
; LDSByteSize: 0 bytes/workgroup (compile time only)
; SGPRBlocks: 0
; VGPRBlocks: 0
; NumSGPRsForWavesPerEU: 1
; NumVGPRsForWavesPerEU: 1
; Occupancy: 16
; WaveLimiterHint : 0
; COMPUTE_PGM_RSRC2:SCRATCH_EN: 0
; COMPUTE_PGM_RSRC2:USER_SGPR: 2
; COMPUTE_PGM_RSRC2:TRAP_HANDLER: 0
; COMPUTE_PGM_RSRC2:TGID_X_EN: 1
; COMPUTE_PGM_RSRC2:TGID_Y_EN: 0
; COMPUTE_PGM_RSRC2:TGID_Z_EN: 0
; COMPUTE_PGM_RSRC2:TIDIG_COMP_CNT: 0
	.section	.text._ZN7rocprim17ROCPRIM_400000_NS6detail17trampoline_kernelINS0_14default_configENS1_36segmented_radix_sort_config_selectorI6__halflEEZNS1_25segmented_radix_sort_implIS3_Lb1EPKS5_PS5_PKlPlN2at6native12_GLOBAL__N_18offset_tEEE10hipError_tPvRmT1_PNSt15iterator_traitsISL_E10value_typeET2_T3_PNSM_ISR_E10value_typeET4_jRbjT5_SX_jjP12ihipStream_tbEUlT_E1_NS1_11comp_targetILNS1_3genE2ELNS1_11target_archE906ELNS1_3gpuE6ELNS1_3repE0EEENS1_59segmented_radix_sort_warp_sort_small_config_static_selectorELNS0_4arch9wavefront6targetE0EEEvSL_,"axG",@progbits,_ZN7rocprim17ROCPRIM_400000_NS6detail17trampoline_kernelINS0_14default_configENS1_36segmented_radix_sort_config_selectorI6__halflEEZNS1_25segmented_radix_sort_implIS3_Lb1EPKS5_PS5_PKlPlN2at6native12_GLOBAL__N_18offset_tEEE10hipError_tPvRmT1_PNSt15iterator_traitsISL_E10value_typeET2_T3_PNSM_ISR_E10value_typeET4_jRbjT5_SX_jjP12ihipStream_tbEUlT_E1_NS1_11comp_targetILNS1_3genE2ELNS1_11target_archE906ELNS1_3gpuE6ELNS1_3repE0EEENS1_59segmented_radix_sort_warp_sort_small_config_static_selectorELNS0_4arch9wavefront6targetE0EEEvSL_,comdat
	.globl	_ZN7rocprim17ROCPRIM_400000_NS6detail17trampoline_kernelINS0_14default_configENS1_36segmented_radix_sort_config_selectorI6__halflEEZNS1_25segmented_radix_sort_implIS3_Lb1EPKS5_PS5_PKlPlN2at6native12_GLOBAL__N_18offset_tEEE10hipError_tPvRmT1_PNSt15iterator_traitsISL_E10value_typeET2_T3_PNSM_ISR_E10value_typeET4_jRbjT5_SX_jjP12ihipStream_tbEUlT_E1_NS1_11comp_targetILNS1_3genE2ELNS1_11target_archE906ELNS1_3gpuE6ELNS1_3repE0EEENS1_59segmented_radix_sort_warp_sort_small_config_static_selectorELNS0_4arch9wavefront6targetE0EEEvSL_ ; -- Begin function _ZN7rocprim17ROCPRIM_400000_NS6detail17trampoline_kernelINS0_14default_configENS1_36segmented_radix_sort_config_selectorI6__halflEEZNS1_25segmented_radix_sort_implIS3_Lb1EPKS5_PS5_PKlPlN2at6native12_GLOBAL__N_18offset_tEEE10hipError_tPvRmT1_PNSt15iterator_traitsISL_E10value_typeET2_T3_PNSM_ISR_E10value_typeET4_jRbjT5_SX_jjP12ihipStream_tbEUlT_E1_NS1_11comp_targetILNS1_3genE2ELNS1_11target_archE906ELNS1_3gpuE6ELNS1_3repE0EEENS1_59segmented_radix_sort_warp_sort_small_config_static_selectorELNS0_4arch9wavefront6targetE0EEEvSL_
	.p2align	8
	.type	_ZN7rocprim17ROCPRIM_400000_NS6detail17trampoline_kernelINS0_14default_configENS1_36segmented_radix_sort_config_selectorI6__halflEEZNS1_25segmented_radix_sort_implIS3_Lb1EPKS5_PS5_PKlPlN2at6native12_GLOBAL__N_18offset_tEEE10hipError_tPvRmT1_PNSt15iterator_traitsISL_E10value_typeET2_T3_PNSM_ISR_E10value_typeET4_jRbjT5_SX_jjP12ihipStream_tbEUlT_E1_NS1_11comp_targetILNS1_3genE2ELNS1_11target_archE906ELNS1_3gpuE6ELNS1_3repE0EEENS1_59segmented_radix_sort_warp_sort_small_config_static_selectorELNS0_4arch9wavefront6targetE0EEEvSL_,@function
_ZN7rocprim17ROCPRIM_400000_NS6detail17trampoline_kernelINS0_14default_configENS1_36segmented_radix_sort_config_selectorI6__halflEEZNS1_25segmented_radix_sort_implIS3_Lb1EPKS5_PS5_PKlPlN2at6native12_GLOBAL__N_18offset_tEEE10hipError_tPvRmT1_PNSt15iterator_traitsISL_E10value_typeET2_T3_PNSM_ISR_E10value_typeET4_jRbjT5_SX_jjP12ihipStream_tbEUlT_E1_NS1_11comp_targetILNS1_3genE2ELNS1_11target_archE906ELNS1_3gpuE6ELNS1_3repE0EEENS1_59segmented_radix_sort_warp_sort_small_config_static_selectorELNS0_4arch9wavefront6targetE0EEEvSL_: ; @_ZN7rocprim17ROCPRIM_400000_NS6detail17trampoline_kernelINS0_14default_configENS1_36segmented_radix_sort_config_selectorI6__halflEEZNS1_25segmented_radix_sort_implIS3_Lb1EPKS5_PS5_PKlPlN2at6native12_GLOBAL__N_18offset_tEEE10hipError_tPvRmT1_PNSt15iterator_traitsISL_E10value_typeET2_T3_PNSM_ISR_E10value_typeET4_jRbjT5_SX_jjP12ihipStream_tbEUlT_E1_NS1_11comp_targetILNS1_3genE2ELNS1_11target_archE906ELNS1_3gpuE6ELNS1_3repE0EEENS1_59segmented_radix_sort_warp_sort_small_config_static_selectorELNS0_4arch9wavefront6targetE0EEEvSL_
; %bb.0:
	.section	.rodata,"a",@progbits
	.p2align	6, 0x0
	.amdhsa_kernel _ZN7rocprim17ROCPRIM_400000_NS6detail17trampoline_kernelINS0_14default_configENS1_36segmented_radix_sort_config_selectorI6__halflEEZNS1_25segmented_radix_sort_implIS3_Lb1EPKS5_PS5_PKlPlN2at6native12_GLOBAL__N_18offset_tEEE10hipError_tPvRmT1_PNSt15iterator_traitsISL_E10value_typeET2_T3_PNSM_ISR_E10value_typeET4_jRbjT5_SX_jjP12ihipStream_tbEUlT_E1_NS1_11comp_targetILNS1_3genE2ELNS1_11target_archE906ELNS1_3gpuE6ELNS1_3repE0EEENS1_59segmented_radix_sort_warp_sort_small_config_static_selectorELNS0_4arch9wavefront6targetE0EEEvSL_
		.amdhsa_group_segment_fixed_size 0
		.amdhsa_private_segment_fixed_size 0
		.amdhsa_kernarg_size 88
		.amdhsa_user_sgpr_count 2
		.amdhsa_user_sgpr_dispatch_ptr 0
		.amdhsa_user_sgpr_queue_ptr 0
		.amdhsa_user_sgpr_kernarg_segment_ptr 1
		.amdhsa_user_sgpr_dispatch_id 0
		.amdhsa_user_sgpr_private_segment_size 0
		.amdhsa_wavefront_size32 1
		.amdhsa_uses_dynamic_stack 0
		.amdhsa_enable_private_segment 0
		.amdhsa_system_sgpr_workgroup_id_x 1
		.amdhsa_system_sgpr_workgroup_id_y 0
		.amdhsa_system_sgpr_workgroup_id_z 0
		.amdhsa_system_sgpr_workgroup_info 0
		.amdhsa_system_vgpr_workitem_id 0
		.amdhsa_next_free_vgpr 1
		.amdhsa_next_free_sgpr 1
		.amdhsa_reserve_vcc 0
		.amdhsa_float_round_mode_32 0
		.amdhsa_float_round_mode_16_64 0
		.amdhsa_float_denorm_mode_32 3
		.amdhsa_float_denorm_mode_16_64 3
		.amdhsa_fp16_overflow 0
		.amdhsa_workgroup_processor_mode 1
		.amdhsa_memory_ordered 1
		.amdhsa_forward_progress 1
		.amdhsa_inst_pref_size 0
		.amdhsa_round_robin_scheduling 0
		.amdhsa_exception_fp_ieee_invalid_op 0
		.amdhsa_exception_fp_denorm_src 0
		.amdhsa_exception_fp_ieee_div_zero 0
		.amdhsa_exception_fp_ieee_overflow 0
		.amdhsa_exception_fp_ieee_underflow 0
		.amdhsa_exception_fp_ieee_inexact 0
		.amdhsa_exception_int_div_zero 0
	.end_amdhsa_kernel
	.section	.text._ZN7rocprim17ROCPRIM_400000_NS6detail17trampoline_kernelINS0_14default_configENS1_36segmented_radix_sort_config_selectorI6__halflEEZNS1_25segmented_radix_sort_implIS3_Lb1EPKS5_PS5_PKlPlN2at6native12_GLOBAL__N_18offset_tEEE10hipError_tPvRmT1_PNSt15iterator_traitsISL_E10value_typeET2_T3_PNSM_ISR_E10value_typeET4_jRbjT5_SX_jjP12ihipStream_tbEUlT_E1_NS1_11comp_targetILNS1_3genE2ELNS1_11target_archE906ELNS1_3gpuE6ELNS1_3repE0EEENS1_59segmented_radix_sort_warp_sort_small_config_static_selectorELNS0_4arch9wavefront6targetE0EEEvSL_,"axG",@progbits,_ZN7rocprim17ROCPRIM_400000_NS6detail17trampoline_kernelINS0_14default_configENS1_36segmented_radix_sort_config_selectorI6__halflEEZNS1_25segmented_radix_sort_implIS3_Lb1EPKS5_PS5_PKlPlN2at6native12_GLOBAL__N_18offset_tEEE10hipError_tPvRmT1_PNSt15iterator_traitsISL_E10value_typeET2_T3_PNSM_ISR_E10value_typeET4_jRbjT5_SX_jjP12ihipStream_tbEUlT_E1_NS1_11comp_targetILNS1_3genE2ELNS1_11target_archE906ELNS1_3gpuE6ELNS1_3repE0EEENS1_59segmented_radix_sort_warp_sort_small_config_static_selectorELNS0_4arch9wavefront6targetE0EEEvSL_,comdat
.Lfunc_end1763:
	.size	_ZN7rocprim17ROCPRIM_400000_NS6detail17trampoline_kernelINS0_14default_configENS1_36segmented_radix_sort_config_selectorI6__halflEEZNS1_25segmented_radix_sort_implIS3_Lb1EPKS5_PS5_PKlPlN2at6native12_GLOBAL__N_18offset_tEEE10hipError_tPvRmT1_PNSt15iterator_traitsISL_E10value_typeET2_T3_PNSM_ISR_E10value_typeET4_jRbjT5_SX_jjP12ihipStream_tbEUlT_E1_NS1_11comp_targetILNS1_3genE2ELNS1_11target_archE906ELNS1_3gpuE6ELNS1_3repE0EEENS1_59segmented_radix_sort_warp_sort_small_config_static_selectorELNS0_4arch9wavefront6targetE0EEEvSL_, .Lfunc_end1763-_ZN7rocprim17ROCPRIM_400000_NS6detail17trampoline_kernelINS0_14default_configENS1_36segmented_radix_sort_config_selectorI6__halflEEZNS1_25segmented_radix_sort_implIS3_Lb1EPKS5_PS5_PKlPlN2at6native12_GLOBAL__N_18offset_tEEE10hipError_tPvRmT1_PNSt15iterator_traitsISL_E10value_typeET2_T3_PNSM_ISR_E10value_typeET4_jRbjT5_SX_jjP12ihipStream_tbEUlT_E1_NS1_11comp_targetILNS1_3genE2ELNS1_11target_archE906ELNS1_3gpuE6ELNS1_3repE0EEENS1_59segmented_radix_sort_warp_sort_small_config_static_selectorELNS0_4arch9wavefront6targetE0EEEvSL_
                                        ; -- End function
	.set _ZN7rocprim17ROCPRIM_400000_NS6detail17trampoline_kernelINS0_14default_configENS1_36segmented_radix_sort_config_selectorI6__halflEEZNS1_25segmented_radix_sort_implIS3_Lb1EPKS5_PS5_PKlPlN2at6native12_GLOBAL__N_18offset_tEEE10hipError_tPvRmT1_PNSt15iterator_traitsISL_E10value_typeET2_T3_PNSM_ISR_E10value_typeET4_jRbjT5_SX_jjP12ihipStream_tbEUlT_E1_NS1_11comp_targetILNS1_3genE2ELNS1_11target_archE906ELNS1_3gpuE6ELNS1_3repE0EEENS1_59segmented_radix_sort_warp_sort_small_config_static_selectorELNS0_4arch9wavefront6targetE0EEEvSL_.num_vgpr, 0
	.set _ZN7rocprim17ROCPRIM_400000_NS6detail17trampoline_kernelINS0_14default_configENS1_36segmented_radix_sort_config_selectorI6__halflEEZNS1_25segmented_radix_sort_implIS3_Lb1EPKS5_PS5_PKlPlN2at6native12_GLOBAL__N_18offset_tEEE10hipError_tPvRmT1_PNSt15iterator_traitsISL_E10value_typeET2_T3_PNSM_ISR_E10value_typeET4_jRbjT5_SX_jjP12ihipStream_tbEUlT_E1_NS1_11comp_targetILNS1_3genE2ELNS1_11target_archE906ELNS1_3gpuE6ELNS1_3repE0EEENS1_59segmented_radix_sort_warp_sort_small_config_static_selectorELNS0_4arch9wavefront6targetE0EEEvSL_.num_agpr, 0
	.set _ZN7rocprim17ROCPRIM_400000_NS6detail17trampoline_kernelINS0_14default_configENS1_36segmented_radix_sort_config_selectorI6__halflEEZNS1_25segmented_radix_sort_implIS3_Lb1EPKS5_PS5_PKlPlN2at6native12_GLOBAL__N_18offset_tEEE10hipError_tPvRmT1_PNSt15iterator_traitsISL_E10value_typeET2_T3_PNSM_ISR_E10value_typeET4_jRbjT5_SX_jjP12ihipStream_tbEUlT_E1_NS1_11comp_targetILNS1_3genE2ELNS1_11target_archE906ELNS1_3gpuE6ELNS1_3repE0EEENS1_59segmented_radix_sort_warp_sort_small_config_static_selectorELNS0_4arch9wavefront6targetE0EEEvSL_.numbered_sgpr, 0
	.set _ZN7rocprim17ROCPRIM_400000_NS6detail17trampoline_kernelINS0_14default_configENS1_36segmented_radix_sort_config_selectorI6__halflEEZNS1_25segmented_radix_sort_implIS3_Lb1EPKS5_PS5_PKlPlN2at6native12_GLOBAL__N_18offset_tEEE10hipError_tPvRmT1_PNSt15iterator_traitsISL_E10value_typeET2_T3_PNSM_ISR_E10value_typeET4_jRbjT5_SX_jjP12ihipStream_tbEUlT_E1_NS1_11comp_targetILNS1_3genE2ELNS1_11target_archE906ELNS1_3gpuE6ELNS1_3repE0EEENS1_59segmented_radix_sort_warp_sort_small_config_static_selectorELNS0_4arch9wavefront6targetE0EEEvSL_.num_named_barrier, 0
	.set _ZN7rocprim17ROCPRIM_400000_NS6detail17trampoline_kernelINS0_14default_configENS1_36segmented_radix_sort_config_selectorI6__halflEEZNS1_25segmented_radix_sort_implIS3_Lb1EPKS5_PS5_PKlPlN2at6native12_GLOBAL__N_18offset_tEEE10hipError_tPvRmT1_PNSt15iterator_traitsISL_E10value_typeET2_T3_PNSM_ISR_E10value_typeET4_jRbjT5_SX_jjP12ihipStream_tbEUlT_E1_NS1_11comp_targetILNS1_3genE2ELNS1_11target_archE906ELNS1_3gpuE6ELNS1_3repE0EEENS1_59segmented_radix_sort_warp_sort_small_config_static_selectorELNS0_4arch9wavefront6targetE0EEEvSL_.private_seg_size, 0
	.set _ZN7rocprim17ROCPRIM_400000_NS6detail17trampoline_kernelINS0_14default_configENS1_36segmented_radix_sort_config_selectorI6__halflEEZNS1_25segmented_radix_sort_implIS3_Lb1EPKS5_PS5_PKlPlN2at6native12_GLOBAL__N_18offset_tEEE10hipError_tPvRmT1_PNSt15iterator_traitsISL_E10value_typeET2_T3_PNSM_ISR_E10value_typeET4_jRbjT5_SX_jjP12ihipStream_tbEUlT_E1_NS1_11comp_targetILNS1_3genE2ELNS1_11target_archE906ELNS1_3gpuE6ELNS1_3repE0EEENS1_59segmented_radix_sort_warp_sort_small_config_static_selectorELNS0_4arch9wavefront6targetE0EEEvSL_.uses_vcc, 0
	.set _ZN7rocprim17ROCPRIM_400000_NS6detail17trampoline_kernelINS0_14default_configENS1_36segmented_radix_sort_config_selectorI6__halflEEZNS1_25segmented_radix_sort_implIS3_Lb1EPKS5_PS5_PKlPlN2at6native12_GLOBAL__N_18offset_tEEE10hipError_tPvRmT1_PNSt15iterator_traitsISL_E10value_typeET2_T3_PNSM_ISR_E10value_typeET4_jRbjT5_SX_jjP12ihipStream_tbEUlT_E1_NS1_11comp_targetILNS1_3genE2ELNS1_11target_archE906ELNS1_3gpuE6ELNS1_3repE0EEENS1_59segmented_radix_sort_warp_sort_small_config_static_selectorELNS0_4arch9wavefront6targetE0EEEvSL_.uses_flat_scratch, 0
	.set _ZN7rocprim17ROCPRIM_400000_NS6detail17trampoline_kernelINS0_14default_configENS1_36segmented_radix_sort_config_selectorI6__halflEEZNS1_25segmented_radix_sort_implIS3_Lb1EPKS5_PS5_PKlPlN2at6native12_GLOBAL__N_18offset_tEEE10hipError_tPvRmT1_PNSt15iterator_traitsISL_E10value_typeET2_T3_PNSM_ISR_E10value_typeET4_jRbjT5_SX_jjP12ihipStream_tbEUlT_E1_NS1_11comp_targetILNS1_3genE2ELNS1_11target_archE906ELNS1_3gpuE6ELNS1_3repE0EEENS1_59segmented_radix_sort_warp_sort_small_config_static_selectorELNS0_4arch9wavefront6targetE0EEEvSL_.has_dyn_sized_stack, 0
	.set _ZN7rocprim17ROCPRIM_400000_NS6detail17trampoline_kernelINS0_14default_configENS1_36segmented_radix_sort_config_selectorI6__halflEEZNS1_25segmented_radix_sort_implIS3_Lb1EPKS5_PS5_PKlPlN2at6native12_GLOBAL__N_18offset_tEEE10hipError_tPvRmT1_PNSt15iterator_traitsISL_E10value_typeET2_T3_PNSM_ISR_E10value_typeET4_jRbjT5_SX_jjP12ihipStream_tbEUlT_E1_NS1_11comp_targetILNS1_3genE2ELNS1_11target_archE906ELNS1_3gpuE6ELNS1_3repE0EEENS1_59segmented_radix_sort_warp_sort_small_config_static_selectorELNS0_4arch9wavefront6targetE0EEEvSL_.has_recursion, 0
	.set _ZN7rocprim17ROCPRIM_400000_NS6detail17trampoline_kernelINS0_14default_configENS1_36segmented_radix_sort_config_selectorI6__halflEEZNS1_25segmented_radix_sort_implIS3_Lb1EPKS5_PS5_PKlPlN2at6native12_GLOBAL__N_18offset_tEEE10hipError_tPvRmT1_PNSt15iterator_traitsISL_E10value_typeET2_T3_PNSM_ISR_E10value_typeET4_jRbjT5_SX_jjP12ihipStream_tbEUlT_E1_NS1_11comp_targetILNS1_3genE2ELNS1_11target_archE906ELNS1_3gpuE6ELNS1_3repE0EEENS1_59segmented_radix_sort_warp_sort_small_config_static_selectorELNS0_4arch9wavefront6targetE0EEEvSL_.has_indirect_call, 0
	.section	.AMDGPU.csdata,"",@progbits
; Kernel info:
; codeLenInByte = 0
; TotalNumSgprs: 0
; NumVgprs: 0
; ScratchSize: 0
; MemoryBound: 0
; FloatMode: 240
; IeeeMode: 1
; LDSByteSize: 0 bytes/workgroup (compile time only)
; SGPRBlocks: 0
; VGPRBlocks: 0
; NumSGPRsForWavesPerEU: 1
; NumVGPRsForWavesPerEU: 1
; Occupancy: 16
; WaveLimiterHint : 0
; COMPUTE_PGM_RSRC2:SCRATCH_EN: 0
; COMPUTE_PGM_RSRC2:USER_SGPR: 2
; COMPUTE_PGM_RSRC2:TRAP_HANDLER: 0
; COMPUTE_PGM_RSRC2:TGID_X_EN: 1
; COMPUTE_PGM_RSRC2:TGID_Y_EN: 0
; COMPUTE_PGM_RSRC2:TGID_Z_EN: 0
; COMPUTE_PGM_RSRC2:TIDIG_COMP_CNT: 0
	.text
	.p2align	2                               ; -- Begin function _ZN7rocprim17ROCPRIM_400000_NS6detail26segmented_warp_sort_helperINS1_20WarpSortHelperConfigILj8ELj4ELj256EEE6__halflLi256ELb1EvE4sortIPKS5_PS5_PKlPlEEvT_SA_T0_T1_SD_T2_bjjjjRNS6_12storage_typeE
	.type	_ZN7rocprim17ROCPRIM_400000_NS6detail26segmented_warp_sort_helperINS1_20WarpSortHelperConfigILj8ELj4ELj256EEE6__halflLi256ELb1EvE4sortIPKS5_PS5_PKlPlEEvT_SA_T0_T1_SD_T2_bjjjjRNS6_12storage_typeE,@function
_ZN7rocprim17ROCPRIM_400000_NS6detail26segmented_warp_sort_helperINS1_20WarpSortHelperConfigILj8ELj4ELj256EEE6__halflLi256ELb1EvE4sortIPKS5_PS5_PKlPlEEvT_SA_T0_T1_SD_T2_bjjjjRNS6_12storage_typeE: ; @_ZN7rocprim17ROCPRIM_400000_NS6detail26segmented_warp_sort_helperINS1_20WarpSortHelperConfigILj8ELj4ELj256EEE6__halflLi256ELb1EvE4sortIPKS5_PS5_PKlPlEEvT_SA_T0_T1_SD_T2_bjjjjRNS6_12storage_typeE
; %bb.0:
	s_wait_loadcnt_dscnt 0x0
	s_wait_expcnt 0x0
	s_wait_samplecnt 0x0
	s_wait_bvhcnt 0x0
	s_wait_kmcnt 0x0
	v_mov_b32_e32 v17, v14
	v_mbcnt_lo_u32_b32 v14, -1, 0
	v_and_b32_e32 v18, 1, v12
	s_mov_b32 s5, 0
	s_delay_alu instid0(VALU_DEP_2) | instskip(NEXT) | instid1(VALU_DEP_2)
	v_lshlrev_b32_e32 v36, 2, v14
	v_cmp_ne_u32_e64 s0, 1, v18
	v_sub_nc_u32_e32 v25, v17, v13
                                        ; implicit-def: $vgpr17_vgpr18_vgpr19_vgpr20_vgpr21_vgpr22_vgpr23_vgpr24
	s_delay_alu instid0(VALU_DEP_3) | instskip(NEXT) | instid1(VALU_DEP_1)
	v_and_b32_e32 v12, 28, v36
	v_dual_mov_b32 v14, 0 :: v_dual_lshlrev_b32 v35, 1, v12
	s_delay_alu instid0(VALU_DEP_1) | instskip(NEXT) | instid1(VALU_DEP_1)
	v_lshlrev_b64_e32 v[33:34], 1, v[13:14]
	v_add_co_u32 v0, vcc_lo, v0, v33
	s_wait_alu 0xfffd
	s_delay_alu instid0(VALU_DEP_2) | instskip(NEXT) | instid1(VALU_DEP_2)
	v_add_co_ci_u32_e64 v1, null, v1, v34, vcc_lo
	v_add_co_u32 v0, vcc_lo, v0, v35
	s_wait_alu 0xfffd
	s_delay_alu instid0(VALU_DEP_2)
	v_add_co_ci_u32_e64 v1, null, 0, v1, vcc_lo
	v_cmp_lt_u32_e32 vcc_lo, v12, v25
	s_and_saveexec_b32 s1, s0
	s_wait_alu 0xfffe
	s_xor_b32 s6, exec_lo, s1
	s_cbranch_execnz .LBB1764_4
; %bb.1:
	s_wait_alu 0xfffe
	s_and_not1_saveexec_b32 s6, s6
	s_cbranch_execnz .LBB1764_109
.LBB1764_2:
	s_wait_alu 0xfffe
	s_or_b32 exec_lo, exec_lo, s6
	s_and_saveexec_b32 s0, s5
	s_cbranch_execnz .LBB1764_214
.LBB1764_3:
	s_wait_alu 0xfffe
	s_or_b32 exec_lo, exec_lo, s0
	s_wait_loadcnt_dscnt 0x0
	s_wait_alu 0xfffd
	s_setpc_b64 s[30:31]
.LBB1764_4:
	v_dual_mov_b32 v37, 0xffff :: v_dual_mov_b32 v38, 0xffff
	s_and_saveexec_b32 s0, vcc_lo
	s_cbranch_execz .LBB1764_6
; %bb.5:
	flat_load_u16 v38, v[0:1]
.LBB1764_6:
	s_wait_alu 0xfffe
	s_or_b32 exec_lo, exec_lo, s0
	v_or_b32_e32 v4, 1, v12
	s_delay_alu instid0(VALU_DEP_1)
	v_cmp_lt_u32_e64 s0, v4, v25
	s_and_saveexec_b32 s1, s0
	s_cbranch_execz .LBB1764_8
; %bb.7:
	flat_load_u16 v37, v[0:1] offset:2
.LBB1764_8:
	s_wait_alu 0xfffe
	s_or_b32 exec_lo, exec_lo, s1
	v_or_b32_e32 v4, 2, v12
	v_mov_b32_e32 v11, 0xffff
	v_mov_b32_e32 v39, 0xffff
	s_delay_alu instid0(VALU_DEP_3)
	v_cmp_lt_u32_e64 s1, v4, v25
	s_and_saveexec_b32 s2, s1
	s_cbranch_execz .LBB1764_10
; %bb.9:
	flat_load_u16 v39, v[0:1] offset:4
.LBB1764_10:
	s_wait_alu 0xfffe
	s_or_b32 exec_lo, exec_lo, s2
	v_or_b32_e32 v4, 3, v12
	s_delay_alu instid0(VALU_DEP_1)
	v_cmp_lt_u32_e64 s2, v4, v25
	s_and_saveexec_b32 s3, s2
	s_cbranch_execz .LBB1764_12
; %bb.11:
	flat_load_u16 v11, v[0:1] offset:6
.LBB1764_12:
	s_wait_alu 0xfffe
	s_or_b32 exec_lo, exec_lo, s3
	v_lshlrev_b64_e32 v[0:1], 3, v[13:14]
	v_dual_mov_b32 v17, 0 :: v_dual_lshlrev_b32 v10, 3, v12
	; wave barrier
	s_delay_alu instid0(VALU_DEP_2) | instskip(SKIP_1) | instid1(VALU_DEP_3)
	v_add_co_u32 v4, s3, v6, v0
	s_wait_alu 0xf1ff
	v_add_co_ci_u32_e64 v5, null, v7, v1, s3
	s_delay_alu instid0(VALU_DEP_3) | instskip(NEXT) | instid1(VALU_DEP_3)
	v_dual_mov_b32 v18, v17 :: v_dual_mov_b32 v19, v17
	v_add_co_u32 v4, s3, v4, v10
	s_wait_alu 0xf1ff
	s_delay_alu instid0(VALU_DEP_3)
	v_add_co_ci_u32_e64 v5, null, 0, v5, s3
	v_dual_mov_b32 v20, v17 :: v_dual_mov_b32 v21, v17
	v_dual_mov_b32 v22, v17 :: v_dual_mov_b32 v23, v17
	v_mov_b32_e32 v24, v17
	s_and_saveexec_b32 s3, vcc_lo
	s_cbranch_execnz .LBB1764_215
; %bb.13:
	s_wait_alu 0xfffe
	s_or_b32 exec_lo, exec_lo, s3
	s_and_saveexec_b32 s3, s0
	s_cbranch_execnz .LBB1764_216
.LBB1764_14:
	s_wait_alu 0xfffe
	s_or_b32 exec_lo, exec_lo, s3
	s_and_saveexec_b32 s3, s1
	s_cbranch_execnz .LBB1764_217
.LBB1764_15:
	s_wait_alu 0xfffe
	s_or_b32 exec_lo, exec_lo, s3
	s_and_saveexec_b32 s3, s2
	s_cbranch_execz .LBB1764_17
.LBB1764_16:
	flat_load_b64 v[23:24], v[4:5] offset:24
.LBB1764_17:
	s_wait_alu 0xfffe
	s_or_b32 exec_lo, exec_lo, s3
	; wave barrier
	s_load_b64 s[4:5], s[8:9], 0x0
	s_and_b32 s3, ttmp7, 0xffff
	s_mov_b32 s11, 0
	v_bfe_u32 v4, v31, 10, 10
	v_bfe_u32 v5, v31, 20, 10
	s_wait_kmcnt 0x0
	s_wait_alu 0xfffe
	s_cmp_lt_u32 s3, s5
	s_cselect_b32 s10, 14, 20
	s_cmp_lt_u32 ttmp9, s4
	s_wait_alu 0xfffe
	s_add_nc_u64 s[12:13], s[8:9], s[10:11]
	s_cselect_b32 s10, 12, 18
	s_load_u16 s3, s[12:13], 0x0
	s_add_nc_u64 s[4:5], s[8:9], s[10:11]
	s_load_u16 s4, s[4:5], 0x0
	s_mov_b32 s5, exec_lo
	s_wait_kmcnt 0x0
	v_mad_u32_u24 v4, v5, s3, v4
	v_and_b32_e32 v5, 0x3ff, v31
	s_delay_alu instid0(VALU_DEP_2) | instskip(NEXT) | instid1(VALU_DEP_1)
	v_mul_lo_u32 v4, v4, s4
	v_add_lshl_u32 v4, v4, v5, 2
	s_delay_alu instid0(VALU_DEP_1)
	v_cmpx_gt_u32_e32 0x400, v4
	s_cbranch_execz .LBB1764_27
; %bb.18:
	s_wait_loadcnt_dscnt 0x0
	v_add_f16_e32 v5, 0, v37
	v_add_f16_e32 v6, 0, v38
	;; [unrolled: 1-line block ×4, first 2 shown]
	s_mov_b32 s7, exec_lo
	v_cmp_lt_i16_e64 s3, -1, v5
	v_dual_mov_b32 v30, v22 :: v_dual_mov_b32 v29, v21
	v_dual_mov_b32 v32, v24 :: v_dual_mov_b32 v31, v23
	s_wait_alu 0xf1ff
	s_delay_alu instid0(VALU_DEP_3) | instskip(SKIP_1) | instid1(VALU_DEP_2)
	v_cndmask_b32_e64 v25, -1, 0xffff8000, s3
	v_cmp_lt_i16_e64 s3, -1, v6
	v_xor_b32_e32 v5, v25, v5
	s_wait_alu 0xf1ff
	s_delay_alu instid0(VALU_DEP_2) | instskip(SKIP_1) | instid1(VALU_DEP_2)
	v_cndmask_b32_e64 v26, -1, 0xffff8000, s3
	v_cmp_lt_i16_e64 s3, -1, v48
	v_xor_b32_e32 v6, v26, v6
	s_wait_alu 0xf1ff
	s_delay_alu instid0(VALU_DEP_2) | instskip(SKIP_1) | instid1(VALU_DEP_2)
	v_cndmask_b32_e64 v25, -1, 0xffff8000, s3
	v_cmp_lt_i16_e64 s3, -1, v7
	v_xor_b32_e32 v49, v25, v48
	s_wait_alu 0xf1ff
	s_delay_alu instid0(VALU_DEP_2) | instskip(SKIP_2) | instid1(VALU_DEP_3)
	v_cndmask_b32_e64 v26, -1, 0xffff8000, s3
	v_cmp_gt_u16_e64 s3, v5, v6
	v_mov_b32_e32 v5, v39
	v_xor_b32_e32 v6, v26, v7
	s_wait_alu 0xf1ff
	s_delay_alu instid0(VALU_DEP_3)
	v_cndmask_b32_e64 v28, v20, v18, s3
	v_cndmask_b32_e64 v27, v19, v17, s3
	;; [unrolled: 1-line block ×4, first 2 shown]
	v_cmpx_gt_u16_e64 v49, v6
; %bb.19:
	v_dual_mov_b32 v5, v11 :: v_dual_mov_b32 v30, v24
	v_dual_mov_b32 v11, v39 :: v_dual_mov_b32 v32, v22
	v_dual_mov_b32 v7, v48 :: v_dual_mov_b32 v6, v49
	v_mov_b32_e32 v29, v23
	v_mov_b32_e32 v31, v21
; %bb.20:
	s_wait_alu 0xfffe
	s_or_b32 exec_lo, exec_lo, s7
	v_cndmask_b32_e64 v19, v37, v38, s3
	s_delay_alu instid0(VALU_DEP_1) | instskip(NEXT) | instid1(VALU_DEP_1)
	v_add_f16_e32 v17, 0, v19
	v_cmp_lt_i16_e64 s4, -1, v17
	s_wait_alu 0xf1ff
	s_delay_alu instid0(VALU_DEP_1) | instskip(NEXT) | instid1(VALU_DEP_1)
	v_cndmask_b32_e64 v18, -1, 0xffff8000, s4
	v_xor_b32_e32 v20, v18, v17
	v_mov_b32_e32 v18, v7
	s_delay_alu instid0(VALU_DEP_2)
	v_cmp_gt_u16_e64 s4, v6, v20
	v_mov_b32_e32 v6, v19
	s_and_saveexec_b32 s7, s4
	s_wait_alu 0xfffe
	s_xor_b32 s4, exec_lo, s7
	s_cbranch_execz .LBB1764_22
; %bb.21:
	v_dual_mov_b32 v55, v32 :: v_dual_mov_b32 v54, v31
	v_dual_mov_b32 v53, v30 :: v_dual_mov_b32 v52, v29
	;; [unrolled: 1-line block ×7, first 2 shown]
	s_delay_alu instid0(VALU_DEP_4) | instskip(NEXT) | instid1(VALU_DEP_4)
	v_dual_mov_b32 v25, v48 :: v_dual_mov_b32 v26, v49
	v_dual_mov_b32 v27, v50 :: v_dual_mov_b32 v28, v51
	s_delay_alu instid0(VALU_DEP_4) | instskip(NEXT) | instid1(VALU_DEP_4)
	v_dual_mov_b32 v29, v52 :: v_dual_mov_b32 v30, v53
	v_dual_mov_b32 v31, v54 :: v_dual_mov_b32 v32, v55
	v_mov_b32_e32 v18, v17
	v_dual_mov_b32 v6, v5 :: v_dual_mov_b32 v17, v7
	v_mov_b32_e32 v5, v19
.LBB1764_22:
	s_wait_alu 0xfffe
	s_or_b32 exec_lo, exec_lo, s4
	v_cndmask_b32_e64 v7, v38, v37, s3
	v_cmp_lt_i16_e64 s3, -1, v17
	v_add_f16_e32 v22, 0, v11
	s_mov_b32 s7, exec_lo
	v_add_f16_e32 v19, 0, v7
	s_wait_alu 0xf1ff
	v_cndmask_b32_e64 v20, -1, 0xffff8000, s3
	s_delay_alu instid0(VALU_DEP_2) | instskip(NEXT) | instid1(VALU_DEP_2)
	v_cmp_lt_i16_e64 s3, -1, v19
	v_xor_b32_e32 v17, v20, v17
	s_wait_alu 0xf1ff
	s_delay_alu instid0(VALU_DEP_2) | instskip(SKIP_1) | instid1(VALU_DEP_2)
	v_cndmask_b32_e64 v21, -1, 0xffff8000, s3
	v_cmp_lt_i16_e64 s3, -1, v18
	v_xor_b32_e32 v19, v21, v19
	s_wait_alu 0xf1ff
	s_delay_alu instid0(VALU_DEP_2) | instskip(SKIP_2) | instid1(VALU_DEP_3)
	v_cndmask_b32_e64 v23, -1, 0xffff8000, s3
	v_cmp_lt_i16_e64 s3, -1, v22
	v_mov_b32_e32 v21, v29
	v_xor_b32_e32 v38, v23, v18
	s_wait_alu 0xf1ff
	s_delay_alu instid0(VALU_DEP_3) | instskip(SKIP_2) | instid1(VALU_DEP_3)
	v_cndmask_b32_e64 v24, -1, 0xffff8000, s3
	v_cmp_gt_u16_e64 s3, v17, v19
	v_mov_b32_e32 v23, v31
	v_xor_b32_e32 v37, v24, v22
	v_mov_b32_e32 v22, v30
	v_mov_b32_e32 v24, v32
	s_wait_alu 0xf1ff
	v_cndmask_b32_e64 v20, v28, v26, s3
	v_cndmask_b32_e64 v19, v27, v25, s3
	;; [unrolled: 1-line block ×4, first 2 shown]
	v_mov_b32_e32 v25, v5
	v_cmpx_gt_u16_e64 v37, v38
; %bb.23:
	v_dual_mov_b32 v21, v31 :: v_dual_mov_b32 v22, v32
	v_dual_mov_b32 v23, v29 :: v_dual_mov_b32 v24, v30
	;; [unrolled: 1-line block ×3, first 2 shown]
	v_mov_b32_e32 v11, v5
; %bb.24:
	s_wait_alu 0xfffe
	s_or_b32 exec_lo, exec_lo, s7
	v_cndmask_b32_e64 v37, v6, v7, s3
	v_mov_b32_e32 v39, v25
	s_mov_b32 s7, exec_lo
	s_delay_alu instid0(VALU_DEP_2) | instskip(NEXT) | instid1(VALU_DEP_1)
	v_add_f16_e32 v5, 0, v37
	v_cmp_lt_i16_e64 s4, -1, v5
	s_wait_alu 0xf1ff
	s_delay_alu instid0(VALU_DEP_1) | instskip(NEXT) | instid1(VALU_DEP_1)
	v_cndmask_b32_e64 v26, -1, 0xffff8000, s4
	v_xor_b32_e32 v5, v26, v5
	s_delay_alu instid0(VALU_DEP_1)
	v_cmpx_gt_u16_e64 v38, v5
	s_cbranch_execz .LBB1764_26
; %bb.25:
	v_dual_mov_b32 v48, v17 :: v_dual_mov_b32 v49, v18
	v_dual_mov_b32 v50, v21 :: v_dual_mov_b32 v51, v22
	;; [unrolled: 1-line block ×4, first 2 shown]
	s_delay_alu instid0(VALU_DEP_4) | instskip(NEXT) | instid1(VALU_DEP_4)
	v_dual_mov_b32 v17, v48 :: v_dual_mov_b32 v18, v49
	v_dual_mov_b32 v19, v50 :: v_dual_mov_b32 v20, v51
	s_delay_alu instid0(VALU_DEP_4) | instskip(NEXT) | instid1(VALU_DEP_4)
	v_dual_mov_b32 v21, v52 :: v_dual_mov_b32 v22, v53
	v_dual_mov_b32 v23, v54 :: v_dual_mov_b32 v24, v55
	v_mov_b32_e32 v39, v37
	v_mov_b32_e32 v37, v25
.LBB1764_26:
	s_wait_alu 0xfffe
	s_or_b32 exec_lo, exec_lo, s7
	v_cndmask_b32_e64 v38, v7, v6, s3
.LBB1764_27:
	s_wait_alu 0xfffe
	s_or_b32 exec_lo, exec_lo, s5
	v_dual_mov_b32 v5, 0 :: v_dual_and_b32 v4, 0xffffff80, v4
	v_or_b32_e32 v26, 4, v36
	v_and_b32_e32 v32, 0x78, v36
	s_mov_b32 s4, exec_lo
	s_delay_alu instid0(VALU_DEP_3) | instskip(SKIP_1) | instid1(VALU_DEP_2)
	v_sub_nc_u32_e64 v25, 0x400, v4 clamp
	v_lshlrev_b64_e32 v[6:7], 1, v[4:5]
	v_min_u32_e32 v30, v25, v26
	s_delay_alu instid0(VALU_DEP_2) | instskip(SKIP_1) | instid1(VALU_DEP_3)
	v_add_co_u32 v6, s3, v15, v6
	s_wait_alu 0xf1ff
	v_add_co_ci_u32_e64 v7, null, v16, v7, s3
	s_delay_alu instid0(VALU_DEP_3) | instskip(NEXT) | instid1(VALU_DEP_2)
	v_add_nc_u32_e32 v15, 4, v30
	v_mad_co_u64_u32 v[4:5], null, v4, 6, v[6:7]
	v_and_b32_e32 v5, 4, v36
	s_delay_alu instid0(VALU_DEP_3) | instskip(SKIP_1) | instid1(VALU_DEP_3)
	v_min_u32_e32 v31, v25, v15
	v_sub_nc_u32_e32 v15, v30, v32
	v_min_u32_e32 v48, v25, v5
	s_delay_alu instid0(VALU_DEP_3)
	v_sub_nc_u32_e32 v7, v31, v30
	v_lshl_add_u32 v5, v36, 1, v6
	v_lshl_add_u32 v29, v36, 3, v4
	s_wait_loadcnt_dscnt 0x0
	ds_store_b16 v5, v38
	ds_store_b64 v29, v[17:18] offset:2048
	v_sub_nc_u32_e64 v49, v48, v7 clamp
	v_min_u32_e32 v7, v48, v15
	ds_store_b16 v5, v37 offset:2
	ds_store_b64 v29, v[19:20] offset:2056
	ds_store_b16 v5, v39 offset:4
	ds_store_b64 v29, v[21:22] offset:2064
	;; [unrolled: 2-line block ×3, first 2 shown]
	; wave barrier
	v_cmpx_lt_u32_e64 v49, v7
	s_cbranch_execz .LBB1764_31
; %bb.28:
	v_lshlrev_b32_e32 v15, 1, v32
	v_lshlrev_b32_e32 v16, 1, v30
	s_mov_b32 s5, 0
	s_delay_alu instid0(VALU_DEP_2) | instskip(NEXT) | instid1(VALU_DEP_2)
	v_add_co_u32 v15, null, v6, v15
	v_add_co_u32 v16, null, v6, v16
.LBB1764_29:                            ; =>This Inner Loop Header: Depth=1
	v_add_nc_u32_e32 v26, v7, v49
	s_delay_alu instid0(VALU_DEP_1) | instskip(SKIP_1) | instid1(VALU_DEP_2)
	v_lshrrev_b32_e32 v27, 1, v26
	v_and_b32_e32 v26, -2, v26
	v_xad_u32 v28, v27, -1, v48
	s_delay_alu instid0(VALU_DEP_2) | instskip(NEXT) | instid1(VALU_DEP_2)
	v_add_nc_u32_e32 v26, v15, v26
	v_lshl_add_u32 v28, v28, 1, v16
	ds_load_u16 v26, v26
	ds_load_u16 v28, v28
	s_wait_dscnt 0x1
	v_add_f16_e32 v26, 0, v26
	s_wait_dscnt 0x0
	v_add_f16_e32 v28, 0, v28
	s_delay_alu instid0(VALU_DEP_2) | instskip(SKIP_1) | instid1(VALU_DEP_1)
	v_cmp_lt_i16_e64 s3, -1, v26
	s_wait_alu 0xf1ff
	v_cndmask_b32_e64 v50, -1, 0xffff8000, s3
	s_delay_alu instid0(VALU_DEP_3) | instskip(NEXT) | instid1(VALU_DEP_2)
	v_cmp_lt_i16_e64 s3, -1, v28
	v_xor_b32_e32 v26, v50, v26
	s_wait_alu 0xf1ff
	s_delay_alu instid0(VALU_DEP_2) | instskip(SKIP_1) | instid1(VALU_DEP_2)
	v_cndmask_b32_e64 v51, -1, 0xffff8000, s3
	v_add_nc_u32_e32 v50, 1, v27
	v_xor_b32_e32 v28, v51, v28
	s_delay_alu instid0(VALU_DEP_1) | instskip(SKIP_1) | instid1(VALU_DEP_1)
	v_cmp_gt_u16_e64 s3, v28, v26
	s_wait_alu 0xf1ff
	v_cndmask_b32_e64 v7, v7, v27, s3
	v_cndmask_b32_e64 v49, v50, v49, s3
	s_delay_alu instid0(VALU_DEP_1)
	v_cmp_ge_u32_e64 s3, v49, v7
	s_wait_alu 0xfffe
	s_or_b32 s5, s3, s5
	s_wait_alu 0xfffe
	s_and_not1_b32 exec_lo, exec_lo, s5
	s_cbranch_execnz .LBB1764_29
; %bb.30:
	s_or_b32 exec_lo, exec_lo, s5
.LBB1764_31:
	s_wait_alu 0xfffe
	s_or_b32 exec_lo, exec_lo, s4
	v_add_nc_u32_e32 v50, v30, v48
	v_add_nc_u32_e32 v48, v49, v32
	;; [unrolled: 1-line block ×5, first 2 shown]
	v_sub_nc_u32_e32 v49, v50, v49
	v_cmp_le_u32_e64 s3, v48, v30
	v_add_nc_u32_e32 v16, 4, v5
	v_add_nc_u32_e32 v28, 0x810, v29
	v_add_nc_u32_e32 v26, 6, v5
	v_cmp_le_u32_e64 s4, v49, v31
	v_add_nc_u32_e32 v29, 0x818, v29
	s_or_b32 s3, s3, s4
	s_wait_alu 0xfffe
	s_and_saveexec_b32 s5, s3
	s_cbranch_execz .LBB1764_51
; %bb.32:
	v_cmp_ge_u32_e64 s3, v48, v30
	s_mov_b32 s7, exec_lo
                                        ; implicit-def: $vgpr11
	v_cmpx_lt_u32_e64 v48, v30
; %bb.33:
	v_lshl_add_u32 v11, v48, 1, v6
	ds_load_u16 v11, v11
; %bb.34:
	s_wait_alu 0xfffe
	s_or_b32 exec_lo, exec_lo, s7
	v_cmp_ge_u32_e64 s7, v49, v31
	s_mov_b32 s10, exec_lo
                                        ; implicit-def: $vgpr32
	v_cmpx_lt_u32_e64 v49, v31
; %bb.35:
	v_lshl_add_u32 v17, v49, 1, v6
	ds_load_u16 v32, v17
; %bb.36:
	s_wait_alu 0xfffe
	s_or_b32 exec_lo, exec_lo, s10
	s_nor_b32 s3, s3, s7
	s_wait_alu 0xfffe
	s_and_saveexec_b32 s4, s3
	s_cbranch_execz .LBB1764_38
; %bb.37:
	s_wait_dscnt 0x0
	v_add_f16_e32 v17, 0, v32
	v_add_f16_e32 v18, 0, v11
	s_and_not1_b32 s7, s7, exec_lo
	s_delay_alu instid0(VALU_DEP_2) | instskip(SKIP_1) | instid1(VALU_DEP_1)
	v_cmp_lt_i16_e64 s3, -1, v17
	s_wait_alu 0xf1ff
	v_cndmask_b32_e64 v19, -1, 0xffff8000, s3
	v_cmp_lt_i16_e64 s3, -1, v18
	s_delay_alu instid0(VALU_DEP_2) | instskip(SKIP_1) | instid1(VALU_DEP_2)
	v_xor_b32_e32 v17, v19, v17
	s_wait_alu 0xf1ff
	v_cndmask_b32_e64 v20, -1, 0xffff8000, s3
	s_delay_alu instid0(VALU_DEP_1) | instskip(NEXT) | instid1(VALU_DEP_1)
	v_xor_b32_e32 v18, v20, v18
	v_cmp_le_u16_e64 s3, v17, v18
	s_and_b32 s3, s3, exec_lo
	s_wait_alu 0xfffe
	s_or_b32 s7, s7, s3
.LBB1764_38:
	s_wait_alu 0xfffe
	s_or_b32 exec_lo, exec_lo, s4
	v_cndmask_b32_e64 v17, v49, v48, s7
	v_cndmask_b32_e64 v18, v31, v30, s7
	s_mov_b32 s10, -1
	s_mov_b32 s4, -1
	s_mov_b32 s11, exec_lo
	v_add_nc_u32_e32 v19, 1, v17
	v_add_nc_u32_e32 v18, -1, v18
	v_lshl_add_u32 v17, v17, 3, v4
	s_delay_alu instid0(VALU_DEP_3) | instskip(NEXT) | instid1(VALU_DEP_3)
	v_cndmask_b32_e64 v21, v19, v49, s7
	v_min_u32_e32 v18, v19, v18
	v_cndmask_b32_e64 v22, v48, v19, s7
	s_delay_alu instid0(VALU_DEP_2)
	v_lshl_add_u32 v18, v18, 1, v6
	ds_load_u16 v20, v18
	ds_load_b64 v[17:18], v17 offset:2048
	s_wait_dscnt 0x1
	v_cndmask_b32_e64 v37, v20, v32, s7
	v_cndmask_b32_e64 v38, v11, v20, s7
	v_cmpx_lt_u32_e64 v21, v31
	s_cbranch_execz .LBB1764_42
; %bb.39:
	s_mov_b32 s12, 0
	s_mov_b32 s4, exec_lo
	v_cmpx_lt_u32_e64 v22, v30
	s_cbranch_execz .LBB1764_41
; %bb.40:
	v_add_f16_e32 v19, 0, v37
	v_add_f16_e32 v20, 0, v38
	s_delay_alu instid0(VALU_DEP_2) | instskip(SKIP_1) | instid1(VALU_DEP_1)
	v_cmp_lt_i16_e64 s3, -1, v19
	s_wait_alu 0xf1ff
	v_cndmask_b32_e64 v23, -1, 0xffff8000, s3
	s_delay_alu instid0(VALU_DEP_3) | instskip(NEXT) | instid1(VALU_DEP_2)
	v_cmp_lt_i16_e64 s3, -1, v20
	v_xor_b32_e32 v19, v23, v19
	s_wait_alu 0xf1ff
	s_delay_alu instid0(VALU_DEP_2) | instskip(NEXT) | instid1(VALU_DEP_1)
	v_cndmask_b32_e64 v24, -1, 0xffff8000, s3
	v_xor_b32_e32 v20, v24, v20
	s_delay_alu instid0(VALU_DEP_1)
	v_cmp_le_u16_e64 s3, v19, v20
	s_and_b32 s12, s3, exec_lo
.LBB1764_41:
	s_wait_alu 0xfffe
	s_or_b32 exec_lo, exec_lo, s4
	s_delay_alu instid0(SALU_CYCLE_1)
	s_or_not1_b32 s4, s12, exec_lo
.LBB1764_42:
	s_wait_alu 0xfffe
	s_or_b32 exec_lo, exec_lo, s11
	v_cndmask_b32_e64 v19, v21, v22, s4
	v_cndmask_b32_e64 v20, v31, v30, s4
	s_mov_b32 s11, exec_lo
	s_delay_alu instid0(VALU_DEP_2) | instskip(NEXT) | instid1(VALU_DEP_2)
	v_add_nc_u32_e32 v24, 1, v19
	v_add_nc_u32_e32 v20, -1, v20
	v_lshl_add_u32 v19, v19, 3, v4
	s_delay_alu instid0(VALU_DEP_3) | instskip(NEXT) | instid1(VALU_DEP_3)
	v_cndmask_b32_e64 v23, v24, v21, s4
	v_min_u32_e32 v20, v24, v20
	v_cndmask_b32_e64 v24, v22, v24, s4
	s_delay_alu instid0(VALU_DEP_2)
	v_lshl_add_u32 v20, v20, 1, v6
	ds_load_u16 v48, v20
	ds_load_b64 v[19:20], v19 offset:2048
	s_wait_dscnt 0x1
	v_cndmask_b32_e64 v39, v48, v37, s4
	v_cndmask_b32_e64 v48, v38, v48, s4
	v_cmpx_lt_u32_e64 v23, v31
	s_cbranch_execz .LBB1764_46
; %bb.43:
	s_mov_b32 s12, 0
	s_mov_b32 s10, exec_lo
	v_cmpx_lt_u32_e64 v24, v30
	s_cbranch_execz .LBB1764_45
; %bb.44:
	v_add_f16_e32 v21, 0, v39
	v_add_f16_e32 v22, 0, v48
	s_delay_alu instid0(VALU_DEP_2) | instskip(SKIP_1) | instid1(VALU_DEP_1)
	v_cmp_lt_i16_e64 s3, -1, v21
	s_wait_alu 0xf1ff
	v_cndmask_b32_e64 v49, -1, 0xffff8000, s3
	s_delay_alu instid0(VALU_DEP_3) | instskip(NEXT) | instid1(VALU_DEP_2)
	v_cmp_lt_i16_e64 s3, -1, v22
	v_xor_b32_e32 v21, v49, v21
	s_wait_alu 0xf1ff
	s_delay_alu instid0(VALU_DEP_2) | instskip(NEXT) | instid1(VALU_DEP_1)
	v_cndmask_b32_e64 v50, -1, 0xffff8000, s3
	v_xor_b32_e32 v22, v50, v22
	s_delay_alu instid0(VALU_DEP_1)
	v_cmp_le_u16_e64 s3, v21, v22
	s_and_b32 s12, s3, exec_lo
.LBB1764_45:
	s_wait_alu 0xfffe
	s_or_b32 exec_lo, exec_lo, s10
	s_delay_alu instid0(SALU_CYCLE_1)
	s_or_not1_b32 s10, s12, exec_lo
.LBB1764_46:
	s_wait_alu 0xfffe
	s_or_b32 exec_lo, exec_lo, s11
	v_cndmask_b32_e64 v21, v23, v24, s10
	v_cndmask_b32_e64 v22, v31, v30, s10
	s_mov_b32 s12, -1
	s_mov_b32 s11, exec_lo
	s_delay_alu instid0(VALU_DEP_2) | instskip(NEXT) | instid1(VALU_DEP_2)
	v_add_nc_u32_e32 v49, 1, v21
	v_add_nc_u32_e32 v22, -1, v22
	v_lshl_add_u32 v21, v21, 3, v4
	s_delay_alu instid0(VALU_DEP_3) | instskip(NEXT) | instid1(VALU_DEP_3)
	v_cndmask_b32_e64 v23, v49, v23, s10
	v_min_u32_e32 v22, v49, v22
	v_cndmask_b32_e64 v24, v24, v49, s10
	s_delay_alu instid0(VALU_DEP_2)
	v_lshl_add_u32 v22, v22, 1, v6
	ds_load_u16 v50, v22
	ds_load_b64 v[21:22], v21 offset:2048
	s_wait_dscnt 0x1
	v_cndmask_b32_e64 v49, v50, v39, s10
	v_cndmask_b32_e64 v50, v48, v50, s10
	v_cmpx_lt_u32_e64 v23, v31
	s_cbranch_execz .LBB1764_50
; %bb.47:
	s_mov_b32 s13, 0
	s_mov_b32 s12, exec_lo
	v_cmpx_lt_u32_e64 v24, v30
	s_cbranch_execz .LBB1764_49
; %bb.48:
	v_add_f16_e32 v30, 0, v49
	v_add_f16_e32 v31, 0, v50
	s_delay_alu instid0(VALU_DEP_2) | instskip(SKIP_1) | instid1(VALU_DEP_1)
	v_cmp_lt_i16_e64 s3, -1, v30
	s_wait_alu 0xf1ff
	v_cndmask_b32_e64 v51, -1, 0xffff8000, s3
	s_delay_alu instid0(VALU_DEP_3) | instskip(NEXT) | instid1(VALU_DEP_2)
	v_cmp_lt_i16_e64 s3, -1, v31
	v_xor_b32_e32 v30, v51, v30
	s_wait_alu 0xf1ff
	s_delay_alu instid0(VALU_DEP_2) | instskip(NEXT) | instid1(VALU_DEP_1)
	v_cndmask_b32_e64 v52, -1, 0xffff8000, s3
	v_xor_b32_e32 v31, v52, v31
	s_delay_alu instid0(VALU_DEP_1)
	v_cmp_le_u16_e64 s3, v30, v31
	s_and_b32 s13, s3, exec_lo
.LBB1764_49:
	s_wait_alu 0xfffe
	s_or_b32 exec_lo, exec_lo, s12
	s_delay_alu instid0(SALU_CYCLE_1)
	s_or_not1_b32 s12, s13, exec_lo
.LBB1764_50:
	s_wait_alu 0xfffe
	s_or_b32 exec_lo, exec_lo, s11
	v_cndmask_b32_e64 v23, v23, v24, s12
	v_cndmask_b32_e64 v39, v39, v48, s10
	;; [unrolled: 1-line block ×5, first 2 shown]
	v_lshl_add_u32 v23, v23, 3, v4
	ds_load_b64 v[23:24], v23 offset:2048
.LBB1764_51:
	s_wait_alu 0xfffe
	s_or_b32 exec_lo, exec_lo, s5
	v_and_b32_e32 v32, 0x70, v36
	v_and_b32_e32 v48, 12, v36
	s_mov_b32 s4, exec_lo
	; wave barrier
	s_delay_alu instid0(VALU_DEP_2) | instskip(NEXT) | instid1(VALU_DEP_2)
	v_or_b32_e32 v30, 8, v32
	v_min_u32_e32 v48, v25, v48
	ds_store_b16 v5, v38
	ds_store_b64 v27, v[17:18]
	ds_store_b16 v7, v37
	ds_store_b64 v15, v[19:20]
	ds_store_b16 v16, v39
	s_wait_dscnt 0x6
	ds_store_b64 v28, v[21:22]
	ds_store_b16 v26, v11
	s_wait_dscnt 0x7
	ds_store_b64 v29, v[23:24]
	v_min_u32_e32 v30, v25, v30
	; wave barrier
	s_delay_alu instid0(VALU_DEP_1) | instskip(SKIP_1) | instid1(VALU_DEP_2)
	v_add_nc_u32_e32 v31, 8, v30
	v_sub_nc_u32_e32 v50, v30, v32
	v_min_u32_e32 v31, v25, v31
	s_delay_alu instid0(VALU_DEP_2) | instskip(NEXT) | instid1(VALU_DEP_2)
	v_min_u32_e32 v50, v48, v50
	v_sub_nc_u32_e32 v49, v31, v30
	s_delay_alu instid0(VALU_DEP_1) | instskip(NEXT) | instid1(VALU_DEP_1)
	v_sub_nc_u32_e64 v49, v48, v49 clamp
	v_cmpx_lt_u32_e64 v49, v50
	s_cbranch_execz .LBB1764_55
; %bb.52:
	v_lshlrev_b32_e32 v51, 1, v32
	v_lshlrev_b32_e32 v52, 1, v30
	s_mov_b32 s5, 0
	s_delay_alu instid0(VALU_DEP_2) | instskip(NEXT) | instid1(VALU_DEP_2)
	v_add_co_u32 v51, null, v6, v51
	v_add_co_u32 v52, null, v6, v52
.LBB1764_53:                            ; =>This Inner Loop Header: Depth=1
	v_add_nc_u32_e32 v53, v50, v49
	s_delay_alu instid0(VALU_DEP_1) | instskip(SKIP_1) | instid1(VALU_DEP_2)
	v_lshrrev_b32_e32 v54, 1, v53
	v_and_b32_e32 v53, -2, v53
	v_xad_u32 v55, v54, -1, v48
	s_delay_alu instid0(VALU_DEP_2) | instskip(NEXT) | instid1(VALU_DEP_2)
	v_add_nc_u32_e32 v53, v51, v53
	v_lshl_add_u32 v55, v55, 1, v52
	ds_load_u16 v53, v53
	ds_load_u16 v55, v55
	s_wait_dscnt 0x1
	v_add_f16_e32 v53, 0, v53
	s_wait_dscnt 0x0
	v_add_f16_e32 v55, 0, v55
	s_delay_alu instid0(VALU_DEP_2) | instskip(SKIP_1) | instid1(VALU_DEP_1)
	v_cmp_lt_i16_e64 s3, -1, v53
	s_wait_alu 0xf1ff
	v_cndmask_b32_e64 v64, -1, 0xffff8000, s3
	s_delay_alu instid0(VALU_DEP_3) | instskip(NEXT) | instid1(VALU_DEP_2)
	v_cmp_lt_i16_e64 s3, -1, v55
	v_xor_b32_e32 v53, v64, v53
	s_wait_alu 0xf1ff
	s_delay_alu instid0(VALU_DEP_2) | instskip(SKIP_1) | instid1(VALU_DEP_2)
	v_cndmask_b32_e64 v65, -1, 0xffff8000, s3
	v_add_nc_u32_e32 v64, 1, v54
	v_xor_b32_e32 v55, v65, v55
	s_delay_alu instid0(VALU_DEP_1) | instskip(SKIP_1) | instid1(VALU_DEP_1)
	v_cmp_gt_u16_e64 s3, v55, v53
	s_wait_alu 0xf1ff
	v_cndmask_b32_e64 v50, v50, v54, s3
	v_cndmask_b32_e64 v49, v64, v49, s3
	s_delay_alu instid0(VALU_DEP_1)
	v_cmp_ge_u32_e64 s3, v49, v50
	s_wait_alu 0xfffe
	s_or_b32 s5, s3, s5
	s_wait_alu 0xfffe
	s_and_not1_b32 exec_lo, exec_lo, s5
	s_cbranch_execnz .LBB1764_53
; %bb.54:
	s_or_b32 exec_lo, exec_lo, s5
.LBB1764_55:
	s_wait_alu 0xfffe
	s_or_b32 exec_lo, exec_lo, s4
	v_add_nc_u32_e32 v50, v30, v48
	v_add_nc_u32_e32 v48, v49, v32
	s_delay_alu instid0(VALU_DEP_2) | instskip(NEXT) | instid1(VALU_DEP_2)
	v_sub_nc_u32_e32 v49, v50, v49
	v_cmp_le_u32_e64 s3, v48, v30
	s_delay_alu instid0(VALU_DEP_2)
	v_cmp_le_u32_e64 s4, v49, v31
	s_or_b32 s3, s3, s4
	s_wait_alu 0xfffe
	s_and_saveexec_b32 s5, s3
	s_cbranch_execz .LBB1764_75
; %bb.56:
	v_cmp_ge_u32_e64 s3, v48, v30
	s_mov_b32 s7, exec_lo
                                        ; implicit-def: $vgpr11
	v_cmpx_lt_u32_e64 v48, v30
; %bb.57:
	v_lshl_add_u32 v11, v48, 1, v6
	ds_load_u16 v11, v11
; %bb.58:
	s_wait_alu 0xfffe
	s_or_b32 exec_lo, exec_lo, s7
	v_cmp_ge_u32_e64 s7, v49, v31
	s_mov_b32 s10, exec_lo
                                        ; implicit-def: $vgpr32
	v_cmpx_lt_u32_e64 v49, v31
; %bb.59:
	v_lshl_add_u32 v17, v49, 1, v6
	ds_load_u16 v32, v17
; %bb.60:
	s_wait_alu 0xfffe
	s_or_b32 exec_lo, exec_lo, s10
	s_nor_b32 s3, s3, s7
	s_wait_alu 0xfffe
	s_and_saveexec_b32 s4, s3
	s_cbranch_execz .LBB1764_62
; %bb.61:
	s_wait_dscnt 0x0
	v_add_f16_e32 v17, 0, v32
	v_add_f16_e32 v18, 0, v11
	s_and_not1_b32 s7, s7, exec_lo
	s_delay_alu instid0(VALU_DEP_2) | instskip(SKIP_1) | instid1(VALU_DEP_1)
	v_cmp_lt_i16_e64 s3, -1, v17
	s_wait_alu 0xf1ff
	v_cndmask_b32_e64 v19, -1, 0xffff8000, s3
	v_cmp_lt_i16_e64 s3, -1, v18
	s_delay_alu instid0(VALU_DEP_2) | instskip(SKIP_1) | instid1(VALU_DEP_2)
	v_xor_b32_e32 v17, v19, v17
	s_wait_alu 0xf1ff
	v_cndmask_b32_e64 v20, -1, 0xffff8000, s3
	s_delay_alu instid0(VALU_DEP_1) | instskip(NEXT) | instid1(VALU_DEP_1)
	v_xor_b32_e32 v18, v20, v18
	v_cmp_le_u16_e64 s3, v17, v18
	s_and_b32 s3, s3, exec_lo
	s_wait_alu 0xfffe
	s_or_b32 s7, s7, s3
.LBB1764_62:
	s_wait_alu 0xfffe
	s_or_b32 exec_lo, exec_lo, s4
	v_cndmask_b32_e64 v17, v49, v48, s7
	v_cndmask_b32_e64 v18, v31, v30, s7
	s_mov_b32 s10, -1
	s_mov_b32 s4, -1
	s_mov_b32 s11, exec_lo
	v_add_nc_u32_e32 v19, 1, v17
	v_add_nc_u32_e32 v18, -1, v18
	v_lshl_add_u32 v17, v17, 3, v4
	s_delay_alu instid0(VALU_DEP_3) | instskip(NEXT) | instid1(VALU_DEP_3)
	v_cndmask_b32_e64 v21, v19, v49, s7
	v_min_u32_e32 v18, v19, v18
	v_cndmask_b32_e64 v22, v48, v19, s7
	s_delay_alu instid0(VALU_DEP_2)
	v_lshl_add_u32 v18, v18, 1, v6
	ds_load_u16 v20, v18
	ds_load_b64 v[17:18], v17 offset:2048
	s_wait_dscnt 0x1
	v_cndmask_b32_e64 v37, v20, v32, s7
	v_cndmask_b32_e64 v38, v11, v20, s7
	v_cmpx_lt_u32_e64 v21, v31
	s_cbranch_execz .LBB1764_66
; %bb.63:
	s_mov_b32 s12, 0
	s_mov_b32 s4, exec_lo
	v_cmpx_lt_u32_e64 v22, v30
	s_cbranch_execz .LBB1764_65
; %bb.64:
	v_add_f16_e32 v19, 0, v37
	v_add_f16_e32 v20, 0, v38
	s_delay_alu instid0(VALU_DEP_2) | instskip(SKIP_1) | instid1(VALU_DEP_1)
	v_cmp_lt_i16_e64 s3, -1, v19
	s_wait_alu 0xf1ff
	v_cndmask_b32_e64 v23, -1, 0xffff8000, s3
	s_delay_alu instid0(VALU_DEP_3) | instskip(NEXT) | instid1(VALU_DEP_2)
	v_cmp_lt_i16_e64 s3, -1, v20
	v_xor_b32_e32 v19, v23, v19
	s_wait_alu 0xf1ff
	s_delay_alu instid0(VALU_DEP_2) | instskip(NEXT) | instid1(VALU_DEP_1)
	v_cndmask_b32_e64 v24, -1, 0xffff8000, s3
	v_xor_b32_e32 v20, v24, v20
	s_delay_alu instid0(VALU_DEP_1)
	v_cmp_le_u16_e64 s3, v19, v20
	s_and_b32 s12, s3, exec_lo
.LBB1764_65:
	s_wait_alu 0xfffe
	s_or_b32 exec_lo, exec_lo, s4
	s_delay_alu instid0(SALU_CYCLE_1)
	s_or_not1_b32 s4, s12, exec_lo
.LBB1764_66:
	s_wait_alu 0xfffe
	s_or_b32 exec_lo, exec_lo, s11
	v_cndmask_b32_e64 v19, v21, v22, s4
	v_cndmask_b32_e64 v20, v31, v30, s4
	s_mov_b32 s11, exec_lo
	s_delay_alu instid0(VALU_DEP_2) | instskip(NEXT) | instid1(VALU_DEP_2)
	v_add_nc_u32_e32 v24, 1, v19
	v_add_nc_u32_e32 v20, -1, v20
	v_lshl_add_u32 v19, v19, 3, v4
	s_delay_alu instid0(VALU_DEP_3) | instskip(NEXT) | instid1(VALU_DEP_3)
	v_cndmask_b32_e64 v23, v24, v21, s4
	v_min_u32_e32 v20, v24, v20
	v_cndmask_b32_e64 v24, v22, v24, s4
	s_delay_alu instid0(VALU_DEP_2)
	v_lshl_add_u32 v20, v20, 1, v6
	ds_load_u16 v48, v20
	ds_load_b64 v[19:20], v19 offset:2048
	s_wait_dscnt 0x1
	v_cndmask_b32_e64 v39, v48, v37, s4
	v_cndmask_b32_e64 v48, v38, v48, s4
	v_cmpx_lt_u32_e64 v23, v31
	s_cbranch_execz .LBB1764_70
; %bb.67:
	s_mov_b32 s12, 0
	s_mov_b32 s10, exec_lo
	v_cmpx_lt_u32_e64 v24, v30
	s_cbranch_execz .LBB1764_69
; %bb.68:
	v_add_f16_e32 v21, 0, v39
	v_add_f16_e32 v22, 0, v48
	s_delay_alu instid0(VALU_DEP_2) | instskip(SKIP_1) | instid1(VALU_DEP_1)
	v_cmp_lt_i16_e64 s3, -1, v21
	s_wait_alu 0xf1ff
	v_cndmask_b32_e64 v49, -1, 0xffff8000, s3
	s_delay_alu instid0(VALU_DEP_3) | instskip(NEXT) | instid1(VALU_DEP_2)
	v_cmp_lt_i16_e64 s3, -1, v22
	v_xor_b32_e32 v21, v49, v21
	s_wait_alu 0xf1ff
	s_delay_alu instid0(VALU_DEP_2) | instskip(NEXT) | instid1(VALU_DEP_1)
	v_cndmask_b32_e64 v50, -1, 0xffff8000, s3
	v_xor_b32_e32 v22, v50, v22
	s_delay_alu instid0(VALU_DEP_1)
	v_cmp_le_u16_e64 s3, v21, v22
	s_and_b32 s12, s3, exec_lo
.LBB1764_69:
	s_wait_alu 0xfffe
	s_or_b32 exec_lo, exec_lo, s10
	s_delay_alu instid0(SALU_CYCLE_1)
	s_or_not1_b32 s10, s12, exec_lo
.LBB1764_70:
	s_wait_alu 0xfffe
	s_or_b32 exec_lo, exec_lo, s11
	v_cndmask_b32_e64 v21, v23, v24, s10
	v_cndmask_b32_e64 v22, v31, v30, s10
	s_mov_b32 s12, -1
	s_mov_b32 s11, exec_lo
	s_delay_alu instid0(VALU_DEP_2) | instskip(NEXT) | instid1(VALU_DEP_2)
	v_add_nc_u32_e32 v49, 1, v21
	v_add_nc_u32_e32 v22, -1, v22
	v_lshl_add_u32 v21, v21, 3, v4
	s_delay_alu instid0(VALU_DEP_3) | instskip(NEXT) | instid1(VALU_DEP_3)
	v_cndmask_b32_e64 v23, v49, v23, s10
	v_min_u32_e32 v22, v49, v22
	v_cndmask_b32_e64 v24, v24, v49, s10
	s_delay_alu instid0(VALU_DEP_2)
	v_lshl_add_u32 v22, v22, 1, v6
	ds_load_u16 v50, v22
	ds_load_b64 v[21:22], v21 offset:2048
	s_wait_dscnt 0x1
	v_cndmask_b32_e64 v49, v50, v39, s10
	v_cndmask_b32_e64 v50, v48, v50, s10
	v_cmpx_lt_u32_e64 v23, v31
	s_cbranch_execz .LBB1764_74
; %bb.71:
	s_mov_b32 s13, 0
	s_mov_b32 s12, exec_lo
	v_cmpx_lt_u32_e64 v24, v30
	s_cbranch_execz .LBB1764_73
; %bb.72:
	v_add_f16_e32 v30, 0, v49
	v_add_f16_e32 v31, 0, v50
	s_delay_alu instid0(VALU_DEP_2) | instskip(SKIP_1) | instid1(VALU_DEP_1)
	v_cmp_lt_i16_e64 s3, -1, v30
	s_wait_alu 0xf1ff
	v_cndmask_b32_e64 v51, -1, 0xffff8000, s3
	s_delay_alu instid0(VALU_DEP_3) | instskip(NEXT) | instid1(VALU_DEP_2)
	v_cmp_lt_i16_e64 s3, -1, v31
	v_xor_b32_e32 v30, v51, v30
	s_wait_alu 0xf1ff
	s_delay_alu instid0(VALU_DEP_2) | instskip(NEXT) | instid1(VALU_DEP_1)
	v_cndmask_b32_e64 v52, -1, 0xffff8000, s3
	v_xor_b32_e32 v31, v52, v31
	s_delay_alu instid0(VALU_DEP_1)
	v_cmp_le_u16_e64 s3, v30, v31
	s_and_b32 s13, s3, exec_lo
.LBB1764_73:
	s_wait_alu 0xfffe
	s_or_b32 exec_lo, exec_lo, s12
	s_delay_alu instid0(SALU_CYCLE_1)
	s_or_not1_b32 s12, s13, exec_lo
.LBB1764_74:
	s_wait_alu 0xfffe
	s_or_b32 exec_lo, exec_lo, s11
	v_cndmask_b32_e64 v23, v23, v24, s12
	v_cndmask_b32_e64 v39, v39, v48, s10
	;; [unrolled: 1-line block ×5, first 2 shown]
	v_lshl_add_u32 v23, v23, 3, v4
	ds_load_b64 v[23:24], v23 offset:2048
.LBB1764_75:
	s_wait_alu 0xfffe
	s_or_b32 exec_lo, exec_lo, s5
	v_and_b32_e32 v32, 0x60, v36
	; wave barrier
	ds_store_b16 v5, v38
	ds_store_b64 v27, v[17:18]
	s_mov_b32 s4, exec_lo
	v_or_b32_e32 v30, 16, v32
	ds_store_b16 v7, v37
	ds_store_b64 v15, v[19:20]
	ds_store_b16 v16, v39
	s_wait_dscnt 0x6
	ds_store_b64 v28, v[21:22]
	ds_store_b16 v26, v11
	s_wait_dscnt 0x7
	ds_store_b64 v29, v[23:24]
	; wave barrier
	v_min_u32_e32 v30, v25, v30
	s_delay_alu instid0(VALU_DEP_1) | instskip(SKIP_1) | instid1(VALU_DEP_2)
	v_add_nc_u32_e32 v31, 16, v30
	v_sub_nc_u32_e32 v48, v30, v32
	v_min_u32_e32 v31, v25, v31
	v_min_u32_e32 v25, v25, v12
	s_delay_alu instid0(VALU_DEP_2) | instskip(NEXT) | instid1(VALU_DEP_2)
	v_sub_nc_u32_e32 v36, v31, v30
	v_min_u32_e32 v27, v25, v48
	s_delay_alu instid0(VALU_DEP_2) | instskip(NEXT) | instid1(VALU_DEP_1)
	v_sub_nc_u32_e64 v5, v25, v36 clamp
	v_cmpx_lt_u32_e64 v5, v27
	s_cbranch_execz .LBB1764_79
; %bb.76:
	v_lshlrev_b32_e32 v7, 1, v32
	v_lshlrev_b32_e32 v15, 1, v30
	s_mov_b32 s5, 0
	s_delay_alu instid0(VALU_DEP_2) | instskip(NEXT) | instid1(VALU_DEP_2)
	v_add_co_u32 v7, null, v6, v7
	v_add_co_u32 v15, null, v6, v15
.LBB1764_77:                            ; =>This Inner Loop Header: Depth=1
	v_add_nc_u32_e32 v16, v27, v5
	s_delay_alu instid0(VALU_DEP_1) | instskip(SKIP_1) | instid1(VALU_DEP_2)
	v_lshrrev_b32_e32 v26, 1, v16
	v_and_b32_e32 v16, -2, v16
	v_xad_u32 v28, v26, -1, v25
	s_delay_alu instid0(VALU_DEP_2) | instskip(NEXT) | instid1(VALU_DEP_2)
	v_add_nc_u32_e32 v16, v7, v16
	v_lshl_add_u32 v28, v28, 1, v15
	ds_load_u16 v16, v16
	ds_load_u16 v28, v28
	s_wait_dscnt 0x1
	v_add_f16_e32 v16, 0, v16
	s_wait_dscnt 0x0
	v_add_f16_e32 v28, 0, v28
	s_delay_alu instid0(VALU_DEP_2) | instskip(SKIP_1) | instid1(VALU_DEP_1)
	v_cmp_lt_i16_e64 s3, -1, v16
	s_wait_alu 0xf1ff
	v_cndmask_b32_e64 v29, -1, 0xffff8000, s3
	s_delay_alu instid0(VALU_DEP_3) | instskip(NEXT) | instid1(VALU_DEP_2)
	v_cmp_lt_i16_e64 s3, -1, v28
	v_xor_b32_e32 v16, v29, v16
	s_wait_alu 0xf1ff
	s_delay_alu instid0(VALU_DEP_2) | instskip(SKIP_1) | instid1(VALU_DEP_2)
	v_cndmask_b32_e64 v36, -1, 0xffff8000, s3
	v_add_nc_u32_e32 v29, 1, v26
	v_xor_b32_e32 v28, v36, v28
	s_delay_alu instid0(VALU_DEP_1) | instskip(SKIP_1) | instid1(VALU_DEP_1)
	v_cmp_gt_u16_e64 s3, v28, v16
	s_wait_alu 0xf1ff
	v_cndmask_b32_e64 v27, v27, v26, s3
	v_cndmask_b32_e64 v5, v29, v5, s3
	s_delay_alu instid0(VALU_DEP_1)
	v_cmp_ge_u32_e64 s3, v5, v27
	s_wait_alu 0xfffe
	s_or_b32 s5, s3, s5
	s_wait_alu 0xfffe
	s_and_not1_b32 exec_lo, exec_lo, s5
	s_cbranch_execnz .LBB1764_77
; %bb.78:
	s_or_b32 exec_lo, exec_lo, s5
.LBB1764_79:
	s_wait_alu 0xfffe
	s_or_b32 exec_lo, exec_lo, s4
	v_add_nc_u32_e32 v7, v30, v25
	v_add_nc_u32_e32 v15, v5, v32
	s_delay_alu instid0(VALU_DEP_2) | instskip(NEXT) | instid1(VALU_DEP_2)
	v_sub_nc_u32_e32 v16, v7, v5
	v_cmp_le_u32_e64 s3, v15, v30
	s_delay_alu instid0(VALU_DEP_2)
	v_cmp_le_u32_e64 s4, v16, v31
	s_or_b32 s3, s3, s4
	s_wait_alu 0xfffe
	s_and_saveexec_b32 s5, s3
	s_cbranch_execz .LBB1764_99
; %bb.80:
	v_cmp_ge_u32_e64 s3, v15, v30
	s_mov_b32 s7, exec_lo
                                        ; implicit-def: $vgpr5
	v_cmpx_lt_u32_e64 v15, v30
; %bb.81:
	v_lshl_add_u32 v5, v15, 1, v6
	ds_load_u16 v5, v5
; %bb.82:
	s_wait_alu 0xfffe
	s_or_b32 exec_lo, exec_lo, s7
	v_cmp_ge_u32_e64 s7, v16, v31
	s_mov_b32 s10, exec_lo
                                        ; implicit-def: $vgpr7
	v_cmpx_lt_u32_e64 v16, v31
; %bb.83:
	v_lshl_add_u32 v7, v16, 1, v6
	ds_load_u16 v7, v7
; %bb.84:
	s_wait_alu 0xfffe
	s_or_b32 exec_lo, exec_lo, s10
	s_nor_b32 s3, s3, s7
	s_wait_alu 0xfffe
	s_and_saveexec_b32 s4, s3
	s_cbranch_execz .LBB1764_86
; %bb.85:
	s_wait_dscnt 0x0
	v_add_f16_e32 v11, 0, v7
	v_add_f16_e32 v17, 0, v5
	s_and_not1_b32 s7, s7, exec_lo
	s_delay_alu instid0(VALU_DEP_2) | instskip(SKIP_1) | instid1(VALU_DEP_1)
	v_cmp_lt_i16_e64 s3, -1, v11
	s_wait_alu 0xf1ff
	v_cndmask_b32_e64 v18, -1, 0xffff8000, s3
	v_cmp_lt_i16_e64 s3, -1, v17
	s_delay_alu instid0(VALU_DEP_2) | instskip(SKIP_1) | instid1(VALU_DEP_2)
	v_xor_b32_e32 v11, v18, v11
	s_wait_alu 0xf1ff
	v_cndmask_b32_e64 v19, -1, 0xffff8000, s3
	s_delay_alu instid0(VALU_DEP_1) | instskip(NEXT) | instid1(VALU_DEP_1)
	v_xor_b32_e32 v17, v19, v17
	v_cmp_le_u16_e64 s3, v11, v17
	s_and_b32 s3, s3, exec_lo
	s_wait_alu 0xfffe
	s_or_b32 s7, s7, s3
.LBB1764_86:
	s_wait_alu 0xfffe
	s_or_b32 exec_lo, exec_lo, s4
	v_cndmask_b32_e64 v11, v16, v15, s7
	v_cndmask_b32_e64 v17, v31, v30, s7
	s_mov_b32 s10, -1
	s_mov_b32 s4, -1
	s_mov_b32 s11, exec_lo
	v_add_nc_u32_e32 v19, 1, v11
	v_add_nc_u32_e32 v17, -1, v17
	v_lshl_add_u32 v11, v11, 3, v4
	s_delay_alu instid0(VALU_DEP_3) | instskip(NEXT) | instid1(VALU_DEP_3)
	v_cndmask_b32_e64 v16, v19, v16, s7
	v_min_u32_e32 v17, v19, v17
	v_cndmask_b32_e64 v21, v15, v19, s7
	s_delay_alu instid0(VALU_DEP_2)
	v_lshl_add_u32 v17, v17, 1, v6
	ds_load_u16 v20, v17
	ds_load_b64 v[17:18], v11 offset:2048
	s_wait_dscnt 0x1
	v_cndmask_b32_e64 v11, v20, v7, s7
	v_cndmask_b32_e64 v15, v5, v20, s7
	v_cmpx_lt_u32_e64 v16, v31
	s_cbranch_execz .LBB1764_90
; %bb.87:
	s_mov_b32 s12, 0
	s_mov_b32 s4, exec_lo
	v_cmpx_lt_u32_e64 v21, v30
	s_cbranch_execz .LBB1764_89
; %bb.88:
	v_add_f16_e32 v19, 0, v11
	v_add_f16_e32 v20, 0, v15
	s_delay_alu instid0(VALU_DEP_2) | instskip(SKIP_1) | instid1(VALU_DEP_1)
	v_cmp_lt_i16_e64 s3, -1, v19
	s_wait_alu 0xf1ff
	v_cndmask_b32_e64 v22, -1, 0xffff8000, s3
	s_delay_alu instid0(VALU_DEP_3) | instskip(NEXT) | instid1(VALU_DEP_2)
	v_cmp_lt_i16_e64 s3, -1, v20
	v_xor_b32_e32 v19, v22, v19
	s_wait_alu 0xf1ff
	s_delay_alu instid0(VALU_DEP_2) | instskip(NEXT) | instid1(VALU_DEP_1)
	v_cndmask_b32_e64 v23, -1, 0xffff8000, s3
	v_xor_b32_e32 v20, v23, v20
	s_delay_alu instid0(VALU_DEP_1)
	v_cmp_le_u16_e64 s3, v19, v20
	s_and_b32 s12, s3, exec_lo
.LBB1764_89:
	s_wait_alu 0xfffe
	s_or_b32 exec_lo, exec_lo, s4
	s_delay_alu instid0(SALU_CYCLE_1)
	s_or_not1_b32 s4, s12, exec_lo
.LBB1764_90:
	s_wait_alu 0xfffe
	s_or_b32 exec_lo, exec_lo, s11
	v_cndmask_b32_e64 v19, v16, v21, s4
	v_cndmask_b32_e64 v20, v31, v30, s4
	s_mov_b32 s11, exec_lo
	s_delay_alu instid0(VALU_DEP_2) | instskip(NEXT) | instid1(VALU_DEP_2)
	v_add_nc_u32_e32 v22, 1, v19
	v_add_nc_u32_e32 v20, -1, v20
	v_lshl_add_u32 v19, v19, 3, v4
	s_delay_alu instid0(VALU_DEP_3) | instskip(NEXT) | instid1(VALU_DEP_3)
	v_cndmask_b32_e64 v23, v22, v16, s4
	v_min_u32_e32 v20, v22, v20
	v_cndmask_b32_e64 v24, v21, v22, s4
	s_delay_alu instid0(VALU_DEP_2)
	v_lshl_add_u32 v20, v20, 1, v6
	ds_load_u16 v25, v20
	ds_load_b64 v[19:20], v19 offset:2048
	s_wait_dscnt 0x1
	v_cndmask_b32_e64 v16, v25, v11, s4
	v_cndmask_b32_e64 v25, v15, v25, s4
	v_cmpx_lt_u32_e64 v23, v31
	s_cbranch_execz .LBB1764_94
; %bb.91:
	s_mov_b32 s12, 0
	s_mov_b32 s10, exec_lo
	v_cmpx_lt_u32_e64 v24, v30
	s_cbranch_execz .LBB1764_93
; %bb.92:
	v_add_f16_e32 v21, 0, v16
	v_add_f16_e32 v22, 0, v25
	s_delay_alu instid0(VALU_DEP_2) | instskip(SKIP_1) | instid1(VALU_DEP_1)
	v_cmp_lt_i16_e64 s3, -1, v21
	s_wait_alu 0xf1ff
	v_cndmask_b32_e64 v26, -1, 0xffff8000, s3
	s_delay_alu instid0(VALU_DEP_3) | instskip(NEXT) | instid1(VALU_DEP_2)
	v_cmp_lt_i16_e64 s3, -1, v22
	v_xor_b32_e32 v21, v26, v21
	s_wait_alu 0xf1ff
	s_delay_alu instid0(VALU_DEP_2) | instskip(NEXT) | instid1(VALU_DEP_1)
	v_cndmask_b32_e64 v27, -1, 0xffff8000, s3
	v_xor_b32_e32 v22, v27, v22
	s_delay_alu instid0(VALU_DEP_1)
	v_cmp_le_u16_e64 s3, v21, v22
	s_and_b32 s12, s3, exec_lo
.LBB1764_93:
	s_wait_alu 0xfffe
	s_or_b32 exec_lo, exec_lo, s10
	s_delay_alu instid0(SALU_CYCLE_1)
	s_or_not1_b32 s10, s12, exec_lo
.LBB1764_94:
	s_wait_alu 0xfffe
	s_or_b32 exec_lo, exec_lo, s11
	v_cndmask_b32_e64 v21, v23, v24, s10
	v_cndmask_b32_e64 v22, v31, v30, s10
	s_mov_b32 s12, -1
	s_mov_b32 s11, exec_lo
	s_delay_alu instid0(VALU_DEP_2) | instskip(NEXT) | instid1(VALU_DEP_2)
	v_add_nc_u32_e32 v26, 1, v21
	v_add_nc_u32_e32 v22, -1, v22
	s_delay_alu instid0(VALU_DEP_2) | instskip(NEXT) | instid1(VALU_DEP_2)
	v_cndmask_b32_e64 v23, v26, v23, s10
	v_min_u32_e32 v22, v26, v22
	v_cndmask_b32_e64 v24, v24, v26, s10
	s_delay_alu instid0(VALU_DEP_2)
	v_lshl_add_u32 v6, v22, 1, v6
	ds_load_u16 v27, v6
	v_lshl_add_u32 v6, v21, 3, v4
	ds_load_b64 v[21:22], v6 offset:2048
	s_wait_dscnt 0x1
	v_cndmask_b32_e64 v6, v27, v16, s10
	v_cndmask_b32_e64 v26, v25, v27, s10
	v_cmpx_lt_u32_e64 v23, v31
	s_cbranch_execz .LBB1764_98
; %bb.95:
	s_mov_b32 s13, 0
	s_mov_b32 s12, exec_lo
	v_cmpx_lt_u32_e64 v24, v30
	s_cbranch_execz .LBB1764_97
; %bb.96:
	v_add_f16_e32 v27, 0, v6
	v_add_f16_e32 v28, 0, v26
	s_delay_alu instid0(VALU_DEP_2) | instskip(SKIP_1) | instid1(VALU_DEP_1)
	v_cmp_lt_i16_e64 s3, -1, v27
	s_wait_alu 0xf1ff
	v_cndmask_b32_e64 v29, -1, 0xffff8000, s3
	s_delay_alu instid0(VALU_DEP_3) | instskip(NEXT) | instid1(VALU_DEP_2)
	v_cmp_lt_i16_e64 s3, -1, v28
	v_xor_b32_e32 v27, v29, v27
	s_wait_alu 0xf1ff
	s_delay_alu instid0(VALU_DEP_2) | instskip(NEXT) | instid1(VALU_DEP_1)
	v_cndmask_b32_e64 v30, -1, 0xffff8000, s3
	v_xor_b32_e32 v28, v30, v28
	s_delay_alu instid0(VALU_DEP_1)
	v_cmp_le_u16_e64 s3, v27, v28
	s_and_b32 s13, s3, exec_lo
.LBB1764_97:
	s_wait_alu 0xfffe
	s_or_b32 exec_lo, exec_lo, s12
	s_delay_alu instid0(SALU_CYCLE_1)
	s_or_not1_b32 s12, s13, exec_lo
.LBB1764_98:
	s_wait_alu 0xfffe
	s_or_b32 exec_lo, exec_lo, s11
	v_cndmask_b32_e64 v23, v23, v24, s12
	v_cndmask_b32_e64 v39, v16, v25, s10
	;; [unrolled: 1-line block ×5, first 2 shown]
	v_lshl_add_u32 v4, v23, 3, v4
	ds_load_b64 v[23:24], v4 offset:2048
.LBB1764_99:
	s_wait_alu 0xfffe
	s_or_b32 exec_lo, exec_lo, s5
	v_add_co_u32 v2, s3, v2, v33
	s_wait_alu 0xf1ff
	v_add_co_ci_u32_e64 v3, null, v3, v34, s3
	s_delay_alu instid0(VALU_DEP_2) | instskip(SKIP_1) | instid1(VALU_DEP_2)
	v_add_co_u32 v2, s3, v2, v35
	s_wait_alu 0xf1ff
	v_add_co_ci_u32_e64 v3, null, 0, v3, s3
	; wave barrier
	s_wait_storecnt_dscnt 0x0
	s_barrier_signal -1
	s_barrier_wait -1
	global_inv scope:SCOPE_SE
	; wave barrier
	s_and_saveexec_b32 s3, vcc_lo
	s_cbranch_execnz .LBB1764_218
; %bb.100:
	s_wait_alu 0xfffe
	s_or_b32 exec_lo, exec_lo, s3
	s_and_saveexec_b32 s3, s0
	s_cbranch_execnz .LBB1764_219
.LBB1764_101:
	s_wait_alu 0xfffe
	s_or_b32 exec_lo, exec_lo, s3
	s_and_saveexec_b32 s3, s1
	s_cbranch_execnz .LBB1764_220
.LBB1764_102:
	s_wait_alu 0xfffe
	s_or_b32 exec_lo, exec_lo, s3
	s_and_saveexec_b32 s3, s2
	s_cbranch_execz .LBB1764_104
.LBB1764_103:
	flat_store_b16 v[2:3], v11 offset:6
.LBB1764_104:
	s_wait_alu 0xfffe
	s_or_b32 exec_lo, exec_lo, s3
	v_add_co_u32 v0, s3, v8, v0
	s_wait_alu 0xf1ff
	v_add_co_ci_u32_e64 v1, null, v9, v1, s3
	s_delay_alu instid0(VALU_DEP_2) | instskip(SKIP_1) | instid1(VALU_DEP_2)
	v_add_co_u32 v0, s3, v0, v10
	s_wait_alu 0xf1ff
	v_add_co_ci_u32_e64 v1, null, 0, v1, s3
	; wave barrier
	s_and_saveexec_b32 s3, vcc_lo
	s_cbranch_execnz .LBB1764_221
; %bb.105:
	s_wait_alu 0xfffe
	s_or_b32 exec_lo, exec_lo, s3
	s_and_saveexec_b32 s3, s0
	s_cbranch_execnz .LBB1764_222
.LBB1764_106:
	s_wait_alu 0xfffe
	s_or_b32 exec_lo, exec_lo, s3
	s_and_saveexec_b32 s0, s1
	s_cbranch_execz .LBB1764_108
.LBB1764_107:
	flat_store_b64 v[0:1], v[21:22] offset:16
.LBB1764_108:
	s_wait_alu 0xfffe
	s_or_b32 exec_lo, exec_lo, s0
	s_delay_alu instid0(SALU_CYCLE_1)
	s_and_b32 s5, s2, exec_lo
                                        ; implicit-def: $vgpr25
                                        ; implicit-def: $vgpr36
                                        ; implicit-def: $vgpr0_vgpr1
                                        ; implicit-def: $vgpr4
                                        ; implicit-def: $vgpr5
                                        ; implicit-def: $vgpr6
                                        ; implicit-def: $vgpr7
                                        ; implicit-def: $vgpr10
                                        ; implicit-def: $vgpr15
                                        ; implicit-def: $vgpr16
                                        ; implicit-def: $vgpr33_vgpr34
                                        ; implicit-def: $vgpr35
                                        ; implicit-def: $vgpr31
	s_and_not1_saveexec_b32 s6, s6
	s_cbranch_execz .LBB1764_2
.LBB1764_109:
	v_dual_mov_b32 v37, 0xffff :: v_dual_mov_b32 v38, 0xffff
	s_and_saveexec_b32 s0, vcc_lo
	s_cbranch_execz .LBB1764_111
; %bb.110:
	flat_load_u16 v38, v[0:1]
.LBB1764_111:
	s_wait_alu 0xfffe
	s_or_b32 exec_lo, exec_lo, s0
	v_or_b32_e32 v2, 1, v12
	s_delay_alu instid0(VALU_DEP_1)
	v_cmp_lt_u32_e64 s0, v2, v25
	s_and_saveexec_b32 s1, s0
	s_cbranch_execz .LBB1764_113
; %bb.112:
	flat_load_u16 v37, v[0:1] offset:2
.LBB1764_113:
	s_wait_alu 0xfffe
	s_or_b32 exec_lo, exec_lo, s1
	v_or_b32_e32 v2, 2, v12
	v_mov_b32_e32 v9, 0xffff
	v_mov_b32_e32 v39, 0xffff
	s_delay_alu instid0(VALU_DEP_3)
	v_cmp_lt_u32_e64 s2, v2, v25
	s_and_saveexec_b32 s1, s2
	s_cbranch_execz .LBB1764_115
; %bb.114:
	flat_load_u16 v39, v[0:1] offset:4
.LBB1764_115:
	s_wait_alu 0xfffe
	s_or_b32 exec_lo, exec_lo, s1
	v_or_b32_e32 v2, 3, v12
	s_delay_alu instid0(VALU_DEP_1)
	v_cmp_lt_u32_e64 s1, v2, v25
	s_and_saveexec_b32 s3, s1
	s_cbranch_execz .LBB1764_117
; %bb.116:
	flat_load_u16 v9, v[0:1] offset:6
.LBB1764_117:
	s_wait_alu 0xfffe
	s_or_b32 exec_lo, exec_lo, s3
	v_lshlrev_b64_e32 v[0:1], 3, v[13:14]
	v_dual_mov_b32 v17, 0 :: v_dual_lshlrev_b32 v8, 3, v12
	; wave barrier
	s_delay_alu instid0(VALU_DEP_2) | instskip(SKIP_1) | instid1(VALU_DEP_3)
	v_add_co_u32 v2, s3, v6, v0
	s_wait_alu 0xf1ff
	v_add_co_ci_u32_e64 v3, null, v7, v1, s3
	s_delay_alu instid0(VALU_DEP_3) | instskip(NEXT) | instid1(VALU_DEP_3)
	v_dual_mov_b32 v18, v17 :: v_dual_mov_b32 v19, v17
	v_add_co_u32 v2, s3, v2, v8
	s_wait_alu 0xf1ff
	s_delay_alu instid0(VALU_DEP_3)
	v_add_co_ci_u32_e64 v3, null, 0, v3, s3
	v_dual_mov_b32 v20, v17 :: v_dual_mov_b32 v21, v17
	v_dual_mov_b32 v22, v17 :: v_dual_mov_b32 v23, v17
	v_mov_b32_e32 v24, v17
	s_and_saveexec_b32 s3, vcc_lo
	s_cbranch_execnz .LBB1764_223
; %bb.118:
	s_wait_alu 0xfffe
	s_or_b32 exec_lo, exec_lo, s3
	s_and_saveexec_b32 s3, s0
	s_cbranch_execnz .LBB1764_224
.LBB1764_119:
	s_wait_alu 0xfffe
	s_or_b32 exec_lo, exec_lo, s3
	s_and_saveexec_b32 s3, s2
	s_cbranch_execnz .LBB1764_225
.LBB1764_120:
	s_wait_alu 0xfffe
	s_or_b32 exec_lo, exec_lo, s3
	s_and_saveexec_b32 s3, s1
	s_cbranch_execz .LBB1764_122
.LBB1764_121:
	flat_load_b64 v[23:24], v[2:3] offset:24
.LBB1764_122:
	s_wait_alu 0xfffe
	s_or_b32 exec_lo, exec_lo, s3
	; wave barrier
	s_load_b64 s[10:11], s[8:9], 0x0
	s_and_b32 s3, ttmp7, 0xffff
	s_mov_b32 s13, 0
	v_bfe_u32 v2, v31, 10, 10
	v_bfe_u32 v3, v31, 20, 10
	s_mov_b32 s7, exec_lo
	s_wait_kmcnt 0x0
	s_wait_alu 0xfffe
	s_cmp_lt_u32 s3, s11
	s_cselect_b32 s12, 14, 20
	s_cmp_lt_u32 ttmp9, s10
	s_wait_alu 0xfffe
	s_add_nc_u64 s[14:15], s[8:9], s[12:13]
	s_cselect_b32 s12, 12, 18
	s_load_u16 s3, s[14:15], 0x0
	s_add_nc_u64 s[8:9], s[8:9], s[12:13]
	s_load_u16 s4, s[8:9], 0x0
	s_wait_kmcnt 0x0
	v_mad_u32_u24 v2, v3, s3, v2
	v_and_b32_e32 v3, 0x3ff, v31
	s_delay_alu instid0(VALU_DEP_2) | instskip(NEXT) | instid1(VALU_DEP_1)
	v_mul_lo_u32 v2, v2, s4
	v_add_lshl_u32 v2, v2, v3, 2
	s_delay_alu instid0(VALU_DEP_1)
	v_cmpx_gt_u32_e32 0x400, v2
	s_cbranch_execz .LBB1764_132
; %bb.123:
	s_wait_loadcnt_dscnt 0x0
	v_add_f16_e32 v3, 0, v37
	v_add_f16_e32 v6, 0, v38
	v_add_f16_e32 v48, 0, v9
	v_add_f16_e32 v7, 0, v39
	s_mov_b32 s8, exec_lo
	v_cmp_lt_i16_e64 s3, -1, v3
	v_dual_mov_b32 v30, v22 :: v_dual_mov_b32 v29, v21
	v_dual_mov_b32 v32, v24 :: v_dual_mov_b32 v31, v23
	s_wait_alu 0xf1ff
	s_delay_alu instid0(VALU_DEP_3) | instskip(SKIP_1) | instid1(VALU_DEP_2)
	v_cndmask_b32_e64 v25, -1, 0xffff8000, s3
	v_cmp_lt_i16_e64 s3, -1, v6
	v_xor_b32_e32 v3, v25, v3
	s_wait_alu 0xf1ff
	s_delay_alu instid0(VALU_DEP_2) | instskip(SKIP_1) | instid1(VALU_DEP_2)
	v_cndmask_b32_e64 v26, -1, 0xffff8000, s3
	v_cmp_lt_i16_e64 s3, -1, v48
	v_xor_b32_e32 v6, v26, v6
	s_wait_alu 0xf1ff
	s_delay_alu instid0(VALU_DEP_2) | instskip(SKIP_1) | instid1(VALU_DEP_2)
	v_cndmask_b32_e64 v25, -1, 0xffff8000, s3
	v_cmp_lt_i16_e64 s3, -1, v7
	v_xor_b32_e32 v49, v25, v48
	s_wait_alu 0xf1ff
	s_delay_alu instid0(VALU_DEP_2) | instskip(SKIP_2) | instid1(VALU_DEP_3)
	v_cndmask_b32_e64 v26, -1, 0xffff8000, s3
	v_cmp_gt_u16_e64 s3, v3, v6
	v_mov_b32_e32 v3, v39
	v_xor_b32_e32 v6, v26, v7
	s_wait_alu 0xf1ff
	s_delay_alu instid0(VALU_DEP_3)
	v_cndmask_b32_e64 v28, v20, v18, s3
	v_cndmask_b32_e64 v27, v19, v17, s3
	;; [unrolled: 1-line block ×4, first 2 shown]
	v_cmpx_gt_u16_e64 v49, v6
; %bb.124:
	v_dual_mov_b32 v3, v9 :: v_dual_mov_b32 v30, v24
	v_dual_mov_b32 v9, v39 :: v_dual_mov_b32 v32, v22
	;; [unrolled: 1-line block ×3, first 2 shown]
	v_mov_b32_e32 v29, v23
	v_mov_b32_e32 v31, v21
; %bb.125:
	s_wait_alu 0xfffe
	s_or_b32 exec_lo, exec_lo, s8
	v_cndmask_b32_e64 v19, v37, v38, s3
	s_delay_alu instid0(VALU_DEP_1) | instskip(NEXT) | instid1(VALU_DEP_1)
	v_add_f16_e32 v17, 0, v19
	v_cmp_lt_i16_e64 s4, -1, v17
	s_wait_alu 0xf1ff
	s_delay_alu instid0(VALU_DEP_1) | instskip(NEXT) | instid1(VALU_DEP_1)
	v_cndmask_b32_e64 v18, -1, 0xffff8000, s4
	v_xor_b32_e32 v20, v18, v17
	v_mov_b32_e32 v18, v7
	s_delay_alu instid0(VALU_DEP_2)
	v_cmp_gt_u16_e64 s4, v6, v20
	v_mov_b32_e32 v6, v19
	s_and_saveexec_b32 s8, s4
	s_wait_alu 0xfffe
	s_xor_b32 s4, exec_lo, s8
	s_cbranch_execz .LBB1764_127
; %bb.126:
	v_dual_mov_b32 v55, v32 :: v_dual_mov_b32 v54, v31
	v_dual_mov_b32 v53, v30 :: v_dual_mov_b32 v52, v29
	;; [unrolled: 1-line block ×7, first 2 shown]
	s_delay_alu instid0(VALU_DEP_4) | instskip(NEXT) | instid1(VALU_DEP_4)
	v_dual_mov_b32 v25, v48 :: v_dual_mov_b32 v26, v49
	v_dual_mov_b32 v27, v50 :: v_dual_mov_b32 v28, v51
	s_delay_alu instid0(VALU_DEP_4) | instskip(NEXT) | instid1(VALU_DEP_4)
	v_dual_mov_b32 v29, v52 :: v_dual_mov_b32 v30, v53
	v_dual_mov_b32 v31, v54 :: v_dual_mov_b32 v32, v55
	v_mov_b32_e32 v18, v17
	v_dual_mov_b32 v6, v3 :: v_dual_mov_b32 v17, v7
	v_mov_b32_e32 v3, v19
.LBB1764_127:
	s_wait_alu 0xfffe
	s_or_b32 exec_lo, exec_lo, s4
	v_cndmask_b32_e64 v7, v38, v37, s3
	v_cmp_lt_i16_e64 s3, -1, v17
	v_add_f16_e32 v22, 0, v9
	s_mov_b32 s8, exec_lo
	v_add_f16_e32 v19, 0, v7
	s_wait_alu 0xf1ff
	v_cndmask_b32_e64 v20, -1, 0xffff8000, s3
	s_delay_alu instid0(VALU_DEP_2) | instskip(NEXT) | instid1(VALU_DEP_2)
	v_cmp_lt_i16_e64 s3, -1, v19
	v_xor_b32_e32 v17, v20, v17
	s_wait_alu 0xf1ff
	s_delay_alu instid0(VALU_DEP_2) | instskip(SKIP_1) | instid1(VALU_DEP_2)
	v_cndmask_b32_e64 v21, -1, 0xffff8000, s3
	v_cmp_lt_i16_e64 s3, -1, v18
	v_xor_b32_e32 v19, v21, v19
	s_wait_alu 0xf1ff
	s_delay_alu instid0(VALU_DEP_2) | instskip(SKIP_2) | instid1(VALU_DEP_3)
	v_cndmask_b32_e64 v23, -1, 0xffff8000, s3
	v_cmp_lt_i16_e64 s3, -1, v22
	v_mov_b32_e32 v21, v29
	v_xor_b32_e32 v38, v23, v18
	s_wait_alu 0xf1ff
	s_delay_alu instid0(VALU_DEP_3) | instskip(SKIP_2) | instid1(VALU_DEP_3)
	v_cndmask_b32_e64 v24, -1, 0xffff8000, s3
	v_cmp_gt_u16_e64 s3, v17, v19
	v_mov_b32_e32 v23, v31
	v_xor_b32_e32 v37, v24, v22
	v_mov_b32_e32 v22, v30
	v_mov_b32_e32 v24, v32
	s_wait_alu 0xf1ff
	v_cndmask_b32_e64 v20, v28, v26, s3
	v_cndmask_b32_e64 v19, v27, v25, s3
	;; [unrolled: 1-line block ×4, first 2 shown]
	v_mov_b32_e32 v25, v3
	v_cmpx_gt_u16_e64 v37, v38
; %bb.128:
	v_dual_mov_b32 v21, v31 :: v_dual_mov_b32 v22, v32
	v_dual_mov_b32 v23, v29 :: v_dual_mov_b32 v24, v30
	;; [unrolled: 1-line block ×3, first 2 shown]
	v_mov_b32_e32 v9, v3
; %bb.129:
	s_wait_alu 0xfffe
	s_or_b32 exec_lo, exec_lo, s8
	v_cndmask_b32_e64 v37, v6, v7, s3
	v_mov_b32_e32 v39, v25
	s_mov_b32 s8, exec_lo
	s_delay_alu instid0(VALU_DEP_2) | instskip(NEXT) | instid1(VALU_DEP_1)
	v_add_f16_e32 v3, 0, v37
	v_cmp_lt_i16_e64 s4, -1, v3
	s_wait_alu 0xf1ff
	s_delay_alu instid0(VALU_DEP_1) | instskip(NEXT) | instid1(VALU_DEP_1)
	v_cndmask_b32_e64 v26, -1, 0xffff8000, s4
	v_xor_b32_e32 v3, v26, v3
	s_delay_alu instid0(VALU_DEP_1)
	v_cmpx_gt_u16_e64 v38, v3
	s_cbranch_execz .LBB1764_131
; %bb.130:
	v_dual_mov_b32 v48, v17 :: v_dual_mov_b32 v49, v18
	v_dual_mov_b32 v50, v21 :: v_dual_mov_b32 v51, v22
	;; [unrolled: 1-line block ×4, first 2 shown]
	s_delay_alu instid0(VALU_DEP_4) | instskip(NEXT) | instid1(VALU_DEP_4)
	v_dual_mov_b32 v17, v48 :: v_dual_mov_b32 v18, v49
	v_dual_mov_b32 v19, v50 :: v_dual_mov_b32 v20, v51
	s_delay_alu instid0(VALU_DEP_4) | instskip(NEXT) | instid1(VALU_DEP_4)
	v_dual_mov_b32 v21, v52 :: v_dual_mov_b32 v22, v53
	v_dual_mov_b32 v23, v54 :: v_dual_mov_b32 v24, v55
	v_mov_b32_e32 v39, v37
	v_mov_b32_e32 v37, v25
.LBB1764_131:
	s_wait_alu 0xfffe
	s_or_b32 exec_lo, exec_lo, s8
	v_cndmask_b32_e64 v38, v7, v6, s3
.LBB1764_132:
	s_or_b32 exec_lo, exec_lo, s7
	v_dual_mov_b32 v3, 0 :: v_dual_and_b32 v2, 0xffffff80, v2
	v_or_b32_e32 v26, 4, v36
	v_and_b32_e32 v32, 0x78, v36
	s_mov_b32 s4, exec_lo
	s_delay_alu instid0(VALU_DEP_3) | instskip(SKIP_1) | instid1(VALU_DEP_2)
	v_sub_nc_u32_e64 v25, 0x400, v2 clamp
	v_lshlrev_b64_e32 v[6:7], 1, v[2:3]
	v_min_u32_e32 v30, v25, v26
	s_delay_alu instid0(VALU_DEP_2) | instskip(SKIP_1) | instid1(VALU_DEP_3)
	v_add_co_u32 v6, s3, v15, v6
	s_wait_alu 0xf1ff
	v_add_co_ci_u32_e64 v7, null, v16, v7, s3
	s_delay_alu instid0(VALU_DEP_3) | instskip(NEXT) | instid1(VALU_DEP_2)
	v_add_nc_u32_e32 v15, 4, v30
	v_mad_co_u64_u32 v[2:3], null, v2, 6, v[6:7]
	v_and_b32_e32 v3, 4, v36
	s_delay_alu instid0(VALU_DEP_3) | instskip(SKIP_1) | instid1(VALU_DEP_3)
	v_min_u32_e32 v31, v25, v15
	v_sub_nc_u32_e32 v15, v30, v32
	v_min_u32_e32 v48, v25, v3
	s_delay_alu instid0(VALU_DEP_3)
	v_sub_nc_u32_e32 v7, v31, v30
	v_lshl_add_u32 v3, v36, 1, v6
	v_lshl_add_u32 v29, v36, 3, v2
	s_wait_loadcnt_dscnt 0x0
	ds_store_b16 v3, v38
	ds_store_b64 v29, v[17:18] offset:2048
	v_sub_nc_u32_e64 v49, v48, v7 clamp
	v_min_u32_e32 v7, v48, v15
	ds_store_b16 v3, v37 offset:2
	ds_store_b64 v29, v[19:20] offset:2056
	ds_store_b16 v3, v39 offset:4
	ds_store_b64 v29, v[21:22] offset:2064
	;; [unrolled: 2-line block ×3, first 2 shown]
	; wave barrier
	v_cmpx_lt_u32_e64 v49, v7
	s_cbranch_execz .LBB1764_136
; %bb.133:
	v_lshlrev_b32_e32 v15, 1, v32
	v_lshlrev_b32_e32 v16, 1, v30
	s_mov_b32 s7, 0
	s_delay_alu instid0(VALU_DEP_2) | instskip(NEXT) | instid1(VALU_DEP_2)
	v_add_co_u32 v15, null, v6, v15
	v_add_co_u32 v16, null, v6, v16
.LBB1764_134:                           ; =>This Inner Loop Header: Depth=1
	v_add_nc_u32_e32 v26, v7, v49
	s_delay_alu instid0(VALU_DEP_1) | instskip(SKIP_1) | instid1(VALU_DEP_2)
	v_lshrrev_b32_e32 v27, 1, v26
	v_and_b32_e32 v26, -2, v26
	v_xad_u32 v28, v27, -1, v48
	s_delay_alu instid0(VALU_DEP_2) | instskip(NEXT) | instid1(VALU_DEP_2)
	v_add_nc_u32_e32 v26, v15, v26
	v_lshl_add_u32 v28, v28, 1, v16
	ds_load_u16 v26, v26
	ds_load_u16 v28, v28
	s_wait_dscnt 0x1
	v_add_f16_e32 v26, 0, v26
	s_wait_dscnt 0x0
	v_add_f16_e32 v28, 0, v28
	s_delay_alu instid0(VALU_DEP_2) | instskip(SKIP_1) | instid1(VALU_DEP_1)
	v_cmp_lt_i16_e64 s3, -1, v26
	s_wait_alu 0xf1ff
	v_cndmask_b32_e64 v50, -1, 0xffff8000, s3
	s_delay_alu instid0(VALU_DEP_3) | instskip(NEXT) | instid1(VALU_DEP_2)
	v_cmp_lt_i16_e64 s3, -1, v28
	v_xor_b32_e32 v26, v50, v26
	s_wait_alu 0xf1ff
	s_delay_alu instid0(VALU_DEP_2) | instskip(SKIP_1) | instid1(VALU_DEP_2)
	v_cndmask_b32_e64 v51, -1, 0xffff8000, s3
	v_add_nc_u32_e32 v50, 1, v27
	v_xor_b32_e32 v28, v51, v28
	s_delay_alu instid0(VALU_DEP_1) | instskip(SKIP_1) | instid1(VALU_DEP_1)
	v_cmp_gt_u16_e64 s3, v28, v26
	s_wait_alu 0xf1ff
	v_cndmask_b32_e64 v7, v7, v27, s3
	v_cndmask_b32_e64 v49, v50, v49, s3
	s_delay_alu instid0(VALU_DEP_1)
	v_cmp_ge_u32_e64 s3, v49, v7
	s_wait_alu 0xfffe
	s_or_b32 s7, s3, s7
	s_wait_alu 0xfffe
	s_and_not1_b32 exec_lo, exec_lo, s7
	s_cbranch_execnz .LBB1764_134
; %bb.135:
	s_or_b32 exec_lo, exec_lo, s7
.LBB1764_136:
	s_wait_alu 0xfffe
	s_or_b32 exec_lo, exec_lo, s4
	v_add_nc_u32_e32 v50, v30, v48
	v_add_nc_u32_e32 v48, v49, v32
	;; [unrolled: 1-line block ×5, first 2 shown]
	v_sub_nc_u32_e32 v49, v50, v49
	v_cmp_le_u32_e64 s3, v48, v30
	v_add_nc_u32_e32 v16, 4, v3
	v_add_nc_u32_e32 v28, 0x810, v29
	;; [unrolled: 1-line block ×3, first 2 shown]
	v_cmp_le_u32_e64 s4, v49, v31
	v_add_nc_u32_e32 v29, 0x818, v29
	s_or_b32 s3, s3, s4
	s_wait_alu 0xfffe
	s_and_saveexec_b32 s7, s3
	s_cbranch_execz .LBB1764_156
; %bb.137:
	v_cmp_ge_u32_e64 s3, v48, v30
	s_mov_b32 s8, exec_lo
                                        ; implicit-def: $vgpr9
	v_cmpx_lt_u32_e64 v48, v30
; %bb.138:
	v_lshl_add_u32 v9, v48, 1, v6
	ds_load_u16 v9, v9
; %bb.139:
	s_wait_alu 0xfffe
	s_or_b32 exec_lo, exec_lo, s8
	v_cmp_ge_u32_e64 s8, v49, v31
	s_mov_b32 s9, exec_lo
                                        ; implicit-def: $vgpr32
	v_cmpx_lt_u32_e64 v49, v31
; %bb.140:
	v_lshl_add_u32 v17, v49, 1, v6
	ds_load_u16 v32, v17
; %bb.141:
	s_wait_alu 0xfffe
	s_or_b32 exec_lo, exec_lo, s9
	s_nor_b32 s3, s3, s8
	s_wait_alu 0xfffe
	s_and_saveexec_b32 s4, s3
	s_cbranch_execz .LBB1764_143
; %bb.142:
	s_wait_dscnt 0x0
	v_add_f16_e32 v17, 0, v32
	v_add_f16_e32 v18, 0, v9
	s_and_not1_b32 s8, s8, exec_lo
	s_delay_alu instid0(VALU_DEP_2) | instskip(SKIP_1) | instid1(VALU_DEP_1)
	v_cmp_lt_i16_e64 s3, -1, v17
	s_wait_alu 0xf1ff
	v_cndmask_b32_e64 v19, -1, 0xffff8000, s3
	v_cmp_lt_i16_e64 s3, -1, v18
	s_delay_alu instid0(VALU_DEP_2) | instskip(SKIP_1) | instid1(VALU_DEP_2)
	v_xor_b32_e32 v17, v19, v17
	s_wait_alu 0xf1ff
	v_cndmask_b32_e64 v20, -1, 0xffff8000, s3
	s_delay_alu instid0(VALU_DEP_1) | instskip(NEXT) | instid1(VALU_DEP_1)
	v_xor_b32_e32 v18, v20, v18
	v_cmp_le_u16_e64 s3, v17, v18
	s_and_b32 s3, s3, exec_lo
	s_wait_alu 0xfffe
	s_or_b32 s8, s8, s3
.LBB1764_143:
	s_wait_alu 0xfffe
	s_or_b32 exec_lo, exec_lo, s4
	v_cndmask_b32_e64 v17, v49, v48, s8
	v_cndmask_b32_e64 v18, v31, v30, s8
	s_mov_b32 s9, -1
	s_mov_b32 s4, -1
	s_mov_b32 s10, exec_lo
	v_add_nc_u32_e32 v19, 1, v17
	v_add_nc_u32_e32 v18, -1, v18
	v_lshl_add_u32 v17, v17, 3, v2
	s_delay_alu instid0(VALU_DEP_3) | instskip(NEXT) | instid1(VALU_DEP_3)
	v_cndmask_b32_e64 v21, v19, v49, s8
	v_min_u32_e32 v18, v19, v18
	v_cndmask_b32_e64 v22, v48, v19, s8
	s_delay_alu instid0(VALU_DEP_2)
	v_lshl_add_u32 v18, v18, 1, v6
	ds_load_u16 v20, v18
	ds_load_b64 v[17:18], v17 offset:2048
	s_wait_dscnt 0x1
	v_cndmask_b32_e64 v37, v20, v32, s8
	v_cndmask_b32_e64 v38, v9, v20, s8
	v_cmpx_lt_u32_e64 v21, v31
	s_cbranch_execz .LBB1764_147
; %bb.144:
	s_mov_b32 s11, 0
	s_mov_b32 s4, exec_lo
	v_cmpx_lt_u32_e64 v22, v30
	s_cbranch_execz .LBB1764_146
; %bb.145:
	v_add_f16_e32 v19, 0, v37
	v_add_f16_e32 v20, 0, v38
	s_delay_alu instid0(VALU_DEP_2) | instskip(SKIP_1) | instid1(VALU_DEP_1)
	v_cmp_lt_i16_e64 s3, -1, v19
	s_wait_alu 0xf1ff
	v_cndmask_b32_e64 v23, -1, 0xffff8000, s3
	s_delay_alu instid0(VALU_DEP_3) | instskip(NEXT) | instid1(VALU_DEP_2)
	v_cmp_lt_i16_e64 s3, -1, v20
	v_xor_b32_e32 v19, v23, v19
	s_wait_alu 0xf1ff
	s_delay_alu instid0(VALU_DEP_2) | instskip(NEXT) | instid1(VALU_DEP_1)
	v_cndmask_b32_e64 v24, -1, 0xffff8000, s3
	v_xor_b32_e32 v20, v24, v20
	s_delay_alu instid0(VALU_DEP_1)
	v_cmp_le_u16_e64 s3, v19, v20
	s_and_b32 s11, s3, exec_lo
.LBB1764_146:
	s_wait_alu 0xfffe
	s_or_b32 exec_lo, exec_lo, s4
	s_delay_alu instid0(SALU_CYCLE_1)
	s_or_not1_b32 s4, s11, exec_lo
.LBB1764_147:
	s_wait_alu 0xfffe
	s_or_b32 exec_lo, exec_lo, s10
	v_cndmask_b32_e64 v19, v21, v22, s4
	v_cndmask_b32_e64 v20, v31, v30, s4
	s_mov_b32 s10, exec_lo
	s_delay_alu instid0(VALU_DEP_2) | instskip(NEXT) | instid1(VALU_DEP_2)
	v_add_nc_u32_e32 v24, 1, v19
	v_add_nc_u32_e32 v20, -1, v20
	v_lshl_add_u32 v19, v19, 3, v2
	s_delay_alu instid0(VALU_DEP_3) | instskip(NEXT) | instid1(VALU_DEP_3)
	v_cndmask_b32_e64 v23, v24, v21, s4
	v_min_u32_e32 v20, v24, v20
	v_cndmask_b32_e64 v24, v22, v24, s4
	s_delay_alu instid0(VALU_DEP_2)
	v_lshl_add_u32 v20, v20, 1, v6
	ds_load_u16 v48, v20
	ds_load_b64 v[19:20], v19 offset:2048
	s_wait_dscnt 0x1
	v_cndmask_b32_e64 v39, v48, v37, s4
	v_cndmask_b32_e64 v48, v38, v48, s4
	v_cmpx_lt_u32_e64 v23, v31
	s_cbranch_execz .LBB1764_151
; %bb.148:
	s_mov_b32 s11, 0
	s_mov_b32 s9, exec_lo
	v_cmpx_lt_u32_e64 v24, v30
	s_cbranch_execz .LBB1764_150
; %bb.149:
	v_add_f16_e32 v21, 0, v39
	v_add_f16_e32 v22, 0, v48
	s_delay_alu instid0(VALU_DEP_2) | instskip(SKIP_1) | instid1(VALU_DEP_1)
	v_cmp_lt_i16_e64 s3, -1, v21
	s_wait_alu 0xf1ff
	v_cndmask_b32_e64 v49, -1, 0xffff8000, s3
	s_delay_alu instid0(VALU_DEP_3) | instskip(NEXT) | instid1(VALU_DEP_2)
	v_cmp_lt_i16_e64 s3, -1, v22
	v_xor_b32_e32 v21, v49, v21
	s_wait_alu 0xf1ff
	s_delay_alu instid0(VALU_DEP_2) | instskip(NEXT) | instid1(VALU_DEP_1)
	v_cndmask_b32_e64 v50, -1, 0xffff8000, s3
	v_xor_b32_e32 v22, v50, v22
	s_delay_alu instid0(VALU_DEP_1)
	v_cmp_le_u16_e64 s3, v21, v22
	s_and_b32 s11, s3, exec_lo
.LBB1764_150:
	s_wait_alu 0xfffe
	s_or_b32 exec_lo, exec_lo, s9
	s_delay_alu instid0(SALU_CYCLE_1)
	s_or_not1_b32 s9, s11, exec_lo
.LBB1764_151:
	s_wait_alu 0xfffe
	s_or_b32 exec_lo, exec_lo, s10
	v_cndmask_b32_e64 v21, v23, v24, s9
	v_cndmask_b32_e64 v22, v31, v30, s9
	s_mov_b32 s11, -1
	s_mov_b32 s10, exec_lo
	s_delay_alu instid0(VALU_DEP_2) | instskip(NEXT) | instid1(VALU_DEP_2)
	v_add_nc_u32_e32 v49, 1, v21
	v_add_nc_u32_e32 v22, -1, v22
	v_lshl_add_u32 v21, v21, 3, v2
	s_delay_alu instid0(VALU_DEP_3) | instskip(NEXT) | instid1(VALU_DEP_3)
	v_cndmask_b32_e64 v23, v49, v23, s9
	v_min_u32_e32 v22, v49, v22
	v_cndmask_b32_e64 v24, v24, v49, s9
	s_delay_alu instid0(VALU_DEP_2)
	v_lshl_add_u32 v22, v22, 1, v6
	ds_load_u16 v50, v22
	ds_load_b64 v[21:22], v21 offset:2048
	s_wait_dscnt 0x1
	v_cndmask_b32_e64 v49, v50, v39, s9
	v_cndmask_b32_e64 v50, v48, v50, s9
	v_cmpx_lt_u32_e64 v23, v31
	s_cbranch_execz .LBB1764_155
; %bb.152:
	s_mov_b32 s12, 0
	s_mov_b32 s11, exec_lo
	v_cmpx_lt_u32_e64 v24, v30
	s_cbranch_execz .LBB1764_154
; %bb.153:
	v_add_f16_e32 v30, 0, v49
	v_add_f16_e32 v31, 0, v50
	s_delay_alu instid0(VALU_DEP_2) | instskip(SKIP_1) | instid1(VALU_DEP_1)
	v_cmp_lt_i16_e64 s3, -1, v30
	s_wait_alu 0xf1ff
	v_cndmask_b32_e64 v51, -1, 0xffff8000, s3
	s_delay_alu instid0(VALU_DEP_3) | instskip(NEXT) | instid1(VALU_DEP_2)
	v_cmp_lt_i16_e64 s3, -1, v31
	v_xor_b32_e32 v30, v51, v30
	s_wait_alu 0xf1ff
	s_delay_alu instid0(VALU_DEP_2) | instskip(NEXT) | instid1(VALU_DEP_1)
	v_cndmask_b32_e64 v52, -1, 0xffff8000, s3
	v_xor_b32_e32 v31, v52, v31
	s_delay_alu instid0(VALU_DEP_1)
	v_cmp_le_u16_e64 s3, v30, v31
	s_and_b32 s12, s3, exec_lo
.LBB1764_154:
	s_wait_alu 0xfffe
	s_or_b32 exec_lo, exec_lo, s11
	s_delay_alu instid0(SALU_CYCLE_1)
	s_or_not1_b32 s11, s12, exec_lo
.LBB1764_155:
	s_wait_alu 0xfffe
	s_or_b32 exec_lo, exec_lo, s10
	v_cndmask_b32_e64 v23, v23, v24, s11
	v_cndmask_b32_e64 v39, v39, v48, s9
	;; [unrolled: 1-line block ×5, first 2 shown]
	v_lshl_add_u32 v23, v23, 3, v2
	ds_load_b64 v[23:24], v23 offset:2048
.LBB1764_156:
	s_wait_alu 0xfffe
	s_or_b32 exec_lo, exec_lo, s7
	v_and_b32_e32 v32, 0x70, v36
	v_and_b32_e32 v48, 12, v36
	s_mov_b32 s4, exec_lo
	; wave barrier
	s_delay_alu instid0(VALU_DEP_2) | instskip(NEXT) | instid1(VALU_DEP_2)
	v_or_b32_e32 v30, 8, v32
	v_min_u32_e32 v48, v25, v48
	ds_store_b16 v3, v38
	ds_store_b64 v27, v[17:18]
	ds_store_b16 v7, v37
	ds_store_b64 v15, v[19:20]
	ds_store_b16 v16, v39
	s_wait_dscnt 0x6
	ds_store_b64 v28, v[21:22]
	ds_store_b16 v26, v9
	s_wait_dscnt 0x7
	ds_store_b64 v29, v[23:24]
	v_min_u32_e32 v30, v25, v30
	; wave barrier
	s_delay_alu instid0(VALU_DEP_1) | instskip(SKIP_1) | instid1(VALU_DEP_2)
	v_add_nc_u32_e32 v31, 8, v30
	v_sub_nc_u32_e32 v50, v30, v32
	v_min_u32_e32 v31, v25, v31
	s_delay_alu instid0(VALU_DEP_2) | instskip(NEXT) | instid1(VALU_DEP_2)
	v_min_u32_e32 v50, v48, v50
	v_sub_nc_u32_e32 v49, v31, v30
	s_delay_alu instid0(VALU_DEP_1) | instskip(NEXT) | instid1(VALU_DEP_1)
	v_sub_nc_u32_e64 v49, v48, v49 clamp
	v_cmpx_lt_u32_e64 v49, v50
	s_cbranch_execz .LBB1764_160
; %bb.157:
	v_lshlrev_b32_e32 v51, 1, v32
	v_lshlrev_b32_e32 v52, 1, v30
	s_mov_b32 s7, 0
	s_delay_alu instid0(VALU_DEP_2) | instskip(NEXT) | instid1(VALU_DEP_2)
	v_add_co_u32 v51, null, v6, v51
	v_add_co_u32 v52, null, v6, v52
.LBB1764_158:                           ; =>This Inner Loop Header: Depth=1
	v_add_nc_u32_e32 v53, v50, v49
	s_delay_alu instid0(VALU_DEP_1) | instskip(SKIP_1) | instid1(VALU_DEP_2)
	v_lshrrev_b32_e32 v54, 1, v53
	v_and_b32_e32 v53, -2, v53
	v_xad_u32 v55, v54, -1, v48
	s_delay_alu instid0(VALU_DEP_2) | instskip(NEXT) | instid1(VALU_DEP_2)
	v_add_nc_u32_e32 v53, v51, v53
	v_lshl_add_u32 v55, v55, 1, v52
	ds_load_u16 v53, v53
	ds_load_u16 v55, v55
	s_wait_dscnt 0x1
	v_add_f16_e32 v53, 0, v53
	s_wait_dscnt 0x0
	v_add_f16_e32 v55, 0, v55
	s_delay_alu instid0(VALU_DEP_2) | instskip(SKIP_1) | instid1(VALU_DEP_1)
	v_cmp_lt_i16_e64 s3, -1, v53
	s_wait_alu 0xf1ff
	v_cndmask_b32_e64 v64, -1, 0xffff8000, s3
	s_delay_alu instid0(VALU_DEP_3) | instskip(NEXT) | instid1(VALU_DEP_2)
	v_cmp_lt_i16_e64 s3, -1, v55
	v_xor_b32_e32 v53, v64, v53
	s_wait_alu 0xf1ff
	s_delay_alu instid0(VALU_DEP_2) | instskip(SKIP_1) | instid1(VALU_DEP_2)
	v_cndmask_b32_e64 v65, -1, 0xffff8000, s3
	v_add_nc_u32_e32 v64, 1, v54
	v_xor_b32_e32 v55, v65, v55
	s_delay_alu instid0(VALU_DEP_1) | instskip(SKIP_1) | instid1(VALU_DEP_1)
	v_cmp_gt_u16_e64 s3, v55, v53
	s_wait_alu 0xf1ff
	v_cndmask_b32_e64 v50, v50, v54, s3
	v_cndmask_b32_e64 v49, v64, v49, s3
	s_delay_alu instid0(VALU_DEP_1)
	v_cmp_ge_u32_e64 s3, v49, v50
	s_wait_alu 0xfffe
	s_or_b32 s7, s3, s7
	s_wait_alu 0xfffe
	s_and_not1_b32 exec_lo, exec_lo, s7
	s_cbranch_execnz .LBB1764_158
; %bb.159:
	s_or_b32 exec_lo, exec_lo, s7
.LBB1764_160:
	s_wait_alu 0xfffe
	s_or_b32 exec_lo, exec_lo, s4
	v_add_nc_u32_e32 v50, v30, v48
	v_add_nc_u32_e32 v48, v49, v32
	s_delay_alu instid0(VALU_DEP_2) | instskip(NEXT) | instid1(VALU_DEP_2)
	v_sub_nc_u32_e32 v49, v50, v49
	v_cmp_le_u32_e64 s3, v48, v30
	s_delay_alu instid0(VALU_DEP_2)
	v_cmp_le_u32_e64 s4, v49, v31
	s_or_b32 s3, s3, s4
	s_wait_alu 0xfffe
	s_and_saveexec_b32 s7, s3
	s_cbranch_execz .LBB1764_180
; %bb.161:
	v_cmp_ge_u32_e64 s3, v48, v30
	s_mov_b32 s8, exec_lo
                                        ; implicit-def: $vgpr9
	v_cmpx_lt_u32_e64 v48, v30
; %bb.162:
	v_lshl_add_u32 v9, v48, 1, v6
	ds_load_u16 v9, v9
; %bb.163:
	s_wait_alu 0xfffe
	s_or_b32 exec_lo, exec_lo, s8
	v_cmp_ge_u32_e64 s8, v49, v31
	s_mov_b32 s9, exec_lo
                                        ; implicit-def: $vgpr32
	v_cmpx_lt_u32_e64 v49, v31
; %bb.164:
	v_lshl_add_u32 v17, v49, 1, v6
	ds_load_u16 v32, v17
; %bb.165:
	s_wait_alu 0xfffe
	s_or_b32 exec_lo, exec_lo, s9
	s_nor_b32 s3, s3, s8
	s_wait_alu 0xfffe
	s_and_saveexec_b32 s4, s3
	s_cbranch_execz .LBB1764_167
; %bb.166:
	s_wait_dscnt 0x0
	v_add_f16_e32 v17, 0, v32
	v_add_f16_e32 v18, 0, v9
	s_and_not1_b32 s8, s8, exec_lo
	s_delay_alu instid0(VALU_DEP_2) | instskip(SKIP_1) | instid1(VALU_DEP_1)
	v_cmp_lt_i16_e64 s3, -1, v17
	s_wait_alu 0xf1ff
	v_cndmask_b32_e64 v19, -1, 0xffff8000, s3
	v_cmp_lt_i16_e64 s3, -1, v18
	s_delay_alu instid0(VALU_DEP_2) | instskip(SKIP_1) | instid1(VALU_DEP_2)
	v_xor_b32_e32 v17, v19, v17
	s_wait_alu 0xf1ff
	v_cndmask_b32_e64 v20, -1, 0xffff8000, s3
	s_delay_alu instid0(VALU_DEP_1) | instskip(NEXT) | instid1(VALU_DEP_1)
	v_xor_b32_e32 v18, v20, v18
	v_cmp_le_u16_e64 s3, v17, v18
	s_and_b32 s3, s3, exec_lo
	s_wait_alu 0xfffe
	s_or_b32 s8, s8, s3
.LBB1764_167:
	s_wait_alu 0xfffe
	s_or_b32 exec_lo, exec_lo, s4
	v_cndmask_b32_e64 v17, v49, v48, s8
	v_cndmask_b32_e64 v18, v31, v30, s8
	s_mov_b32 s9, -1
	s_mov_b32 s4, -1
	s_mov_b32 s10, exec_lo
	v_add_nc_u32_e32 v19, 1, v17
	v_add_nc_u32_e32 v18, -1, v18
	v_lshl_add_u32 v17, v17, 3, v2
	s_delay_alu instid0(VALU_DEP_3) | instskip(NEXT) | instid1(VALU_DEP_3)
	v_cndmask_b32_e64 v21, v19, v49, s8
	v_min_u32_e32 v18, v19, v18
	v_cndmask_b32_e64 v22, v48, v19, s8
	s_delay_alu instid0(VALU_DEP_2)
	v_lshl_add_u32 v18, v18, 1, v6
	ds_load_u16 v20, v18
	ds_load_b64 v[17:18], v17 offset:2048
	s_wait_dscnt 0x1
	v_cndmask_b32_e64 v37, v20, v32, s8
	v_cndmask_b32_e64 v38, v9, v20, s8
	v_cmpx_lt_u32_e64 v21, v31
	s_cbranch_execz .LBB1764_171
; %bb.168:
	s_mov_b32 s11, 0
	s_mov_b32 s4, exec_lo
	v_cmpx_lt_u32_e64 v22, v30
	s_cbranch_execz .LBB1764_170
; %bb.169:
	v_add_f16_e32 v19, 0, v37
	v_add_f16_e32 v20, 0, v38
	s_delay_alu instid0(VALU_DEP_2) | instskip(SKIP_1) | instid1(VALU_DEP_1)
	v_cmp_lt_i16_e64 s3, -1, v19
	s_wait_alu 0xf1ff
	v_cndmask_b32_e64 v23, -1, 0xffff8000, s3
	s_delay_alu instid0(VALU_DEP_3) | instskip(NEXT) | instid1(VALU_DEP_2)
	v_cmp_lt_i16_e64 s3, -1, v20
	v_xor_b32_e32 v19, v23, v19
	s_wait_alu 0xf1ff
	s_delay_alu instid0(VALU_DEP_2) | instskip(NEXT) | instid1(VALU_DEP_1)
	v_cndmask_b32_e64 v24, -1, 0xffff8000, s3
	v_xor_b32_e32 v20, v24, v20
	s_delay_alu instid0(VALU_DEP_1)
	v_cmp_le_u16_e64 s3, v19, v20
	s_and_b32 s11, s3, exec_lo
.LBB1764_170:
	s_wait_alu 0xfffe
	s_or_b32 exec_lo, exec_lo, s4
	s_delay_alu instid0(SALU_CYCLE_1)
	s_or_not1_b32 s4, s11, exec_lo
.LBB1764_171:
	s_wait_alu 0xfffe
	s_or_b32 exec_lo, exec_lo, s10
	v_cndmask_b32_e64 v19, v21, v22, s4
	v_cndmask_b32_e64 v20, v31, v30, s4
	s_mov_b32 s10, exec_lo
	s_delay_alu instid0(VALU_DEP_2) | instskip(NEXT) | instid1(VALU_DEP_2)
	v_add_nc_u32_e32 v24, 1, v19
	v_add_nc_u32_e32 v20, -1, v20
	v_lshl_add_u32 v19, v19, 3, v2
	s_delay_alu instid0(VALU_DEP_3) | instskip(NEXT) | instid1(VALU_DEP_3)
	v_cndmask_b32_e64 v23, v24, v21, s4
	v_min_u32_e32 v20, v24, v20
	v_cndmask_b32_e64 v24, v22, v24, s4
	s_delay_alu instid0(VALU_DEP_2)
	v_lshl_add_u32 v20, v20, 1, v6
	ds_load_u16 v48, v20
	ds_load_b64 v[19:20], v19 offset:2048
	s_wait_dscnt 0x1
	v_cndmask_b32_e64 v39, v48, v37, s4
	v_cndmask_b32_e64 v48, v38, v48, s4
	v_cmpx_lt_u32_e64 v23, v31
	s_cbranch_execz .LBB1764_175
; %bb.172:
	s_mov_b32 s11, 0
	s_mov_b32 s9, exec_lo
	v_cmpx_lt_u32_e64 v24, v30
	s_cbranch_execz .LBB1764_174
; %bb.173:
	v_add_f16_e32 v21, 0, v39
	v_add_f16_e32 v22, 0, v48
	s_delay_alu instid0(VALU_DEP_2) | instskip(SKIP_1) | instid1(VALU_DEP_1)
	v_cmp_lt_i16_e64 s3, -1, v21
	s_wait_alu 0xf1ff
	v_cndmask_b32_e64 v49, -1, 0xffff8000, s3
	s_delay_alu instid0(VALU_DEP_3) | instskip(NEXT) | instid1(VALU_DEP_2)
	v_cmp_lt_i16_e64 s3, -1, v22
	v_xor_b32_e32 v21, v49, v21
	s_wait_alu 0xf1ff
	s_delay_alu instid0(VALU_DEP_2) | instskip(NEXT) | instid1(VALU_DEP_1)
	v_cndmask_b32_e64 v50, -1, 0xffff8000, s3
	v_xor_b32_e32 v22, v50, v22
	s_delay_alu instid0(VALU_DEP_1)
	v_cmp_le_u16_e64 s3, v21, v22
	s_and_b32 s11, s3, exec_lo
.LBB1764_174:
	s_wait_alu 0xfffe
	s_or_b32 exec_lo, exec_lo, s9
	s_delay_alu instid0(SALU_CYCLE_1)
	s_or_not1_b32 s9, s11, exec_lo
.LBB1764_175:
	s_wait_alu 0xfffe
	s_or_b32 exec_lo, exec_lo, s10
	v_cndmask_b32_e64 v21, v23, v24, s9
	v_cndmask_b32_e64 v22, v31, v30, s9
	s_mov_b32 s11, -1
	s_mov_b32 s10, exec_lo
	s_delay_alu instid0(VALU_DEP_2) | instskip(NEXT) | instid1(VALU_DEP_2)
	v_add_nc_u32_e32 v49, 1, v21
	v_add_nc_u32_e32 v22, -1, v22
	v_lshl_add_u32 v21, v21, 3, v2
	s_delay_alu instid0(VALU_DEP_3) | instskip(NEXT) | instid1(VALU_DEP_3)
	v_cndmask_b32_e64 v23, v49, v23, s9
	v_min_u32_e32 v22, v49, v22
	v_cndmask_b32_e64 v24, v24, v49, s9
	s_delay_alu instid0(VALU_DEP_2)
	v_lshl_add_u32 v22, v22, 1, v6
	ds_load_u16 v50, v22
	ds_load_b64 v[21:22], v21 offset:2048
	s_wait_dscnt 0x1
	v_cndmask_b32_e64 v49, v50, v39, s9
	v_cndmask_b32_e64 v50, v48, v50, s9
	v_cmpx_lt_u32_e64 v23, v31
	s_cbranch_execz .LBB1764_179
; %bb.176:
	s_mov_b32 s12, 0
	s_mov_b32 s11, exec_lo
	v_cmpx_lt_u32_e64 v24, v30
	s_cbranch_execz .LBB1764_178
; %bb.177:
	v_add_f16_e32 v30, 0, v49
	v_add_f16_e32 v31, 0, v50
	s_delay_alu instid0(VALU_DEP_2) | instskip(SKIP_1) | instid1(VALU_DEP_1)
	v_cmp_lt_i16_e64 s3, -1, v30
	s_wait_alu 0xf1ff
	v_cndmask_b32_e64 v51, -1, 0xffff8000, s3
	s_delay_alu instid0(VALU_DEP_3) | instskip(NEXT) | instid1(VALU_DEP_2)
	v_cmp_lt_i16_e64 s3, -1, v31
	v_xor_b32_e32 v30, v51, v30
	s_wait_alu 0xf1ff
	s_delay_alu instid0(VALU_DEP_2) | instskip(NEXT) | instid1(VALU_DEP_1)
	v_cndmask_b32_e64 v52, -1, 0xffff8000, s3
	v_xor_b32_e32 v31, v52, v31
	s_delay_alu instid0(VALU_DEP_1)
	v_cmp_le_u16_e64 s3, v30, v31
	s_and_b32 s12, s3, exec_lo
.LBB1764_178:
	s_wait_alu 0xfffe
	s_or_b32 exec_lo, exec_lo, s11
	s_delay_alu instid0(SALU_CYCLE_1)
	s_or_not1_b32 s11, s12, exec_lo
.LBB1764_179:
	s_wait_alu 0xfffe
	s_or_b32 exec_lo, exec_lo, s10
	v_cndmask_b32_e64 v23, v23, v24, s11
	v_cndmask_b32_e64 v39, v39, v48, s9
	;; [unrolled: 1-line block ×5, first 2 shown]
	v_lshl_add_u32 v23, v23, 3, v2
	ds_load_b64 v[23:24], v23 offset:2048
.LBB1764_180:
	s_wait_alu 0xfffe
	s_or_b32 exec_lo, exec_lo, s7
	v_and_b32_e32 v32, 0x60, v36
	; wave barrier
	ds_store_b16 v3, v38
	ds_store_b64 v27, v[17:18]
	s_mov_b32 s4, exec_lo
	v_or_b32_e32 v30, 16, v32
	ds_store_b16 v7, v37
	ds_store_b64 v15, v[19:20]
	ds_store_b16 v16, v39
	s_wait_dscnt 0x6
	ds_store_b64 v28, v[21:22]
	ds_store_b16 v26, v9
	s_wait_dscnt 0x7
	ds_store_b64 v29, v[23:24]
	; wave barrier
	v_min_u32_e32 v30, v25, v30
	s_delay_alu instid0(VALU_DEP_1) | instskip(SKIP_1) | instid1(VALU_DEP_2)
	v_add_nc_u32_e32 v31, 16, v30
	v_sub_nc_u32_e32 v48, v30, v32
	v_min_u32_e32 v31, v25, v31
	v_min_u32_e32 v25, v25, v12
	s_delay_alu instid0(VALU_DEP_2) | instskip(NEXT) | instid1(VALU_DEP_2)
	v_sub_nc_u32_e32 v36, v31, v30
	v_min_u32_e32 v27, v25, v48
	s_delay_alu instid0(VALU_DEP_2) | instskip(NEXT) | instid1(VALU_DEP_1)
	v_sub_nc_u32_e64 v3, v25, v36 clamp
	v_cmpx_lt_u32_e64 v3, v27
	s_cbranch_execz .LBB1764_184
; %bb.181:
	v_lshlrev_b32_e32 v7, 1, v32
	v_lshlrev_b32_e32 v15, 1, v30
	s_mov_b32 s7, 0
	s_delay_alu instid0(VALU_DEP_2) | instskip(NEXT) | instid1(VALU_DEP_2)
	v_add_co_u32 v7, null, v6, v7
	v_add_co_u32 v15, null, v6, v15
.LBB1764_182:                           ; =>This Inner Loop Header: Depth=1
	v_add_nc_u32_e32 v16, v27, v3
	s_delay_alu instid0(VALU_DEP_1) | instskip(SKIP_1) | instid1(VALU_DEP_2)
	v_lshrrev_b32_e32 v26, 1, v16
	v_and_b32_e32 v16, -2, v16
	v_xad_u32 v28, v26, -1, v25
	s_delay_alu instid0(VALU_DEP_2) | instskip(NEXT) | instid1(VALU_DEP_2)
	v_add_nc_u32_e32 v16, v7, v16
	v_lshl_add_u32 v28, v28, 1, v15
	ds_load_u16 v16, v16
	ds_load_u16 v28, v28
	s_wait_dscnt 0x1
	v_add_f16_e32 v16, 0, v16
	s_wait_dscnt 0x0
	v_add_f16_e32 v28, 0, v28
	s_delay_alu instid0(VALU_DEP_2) | instskip(SKIP_1) | instid1(VALU_DEP_1)
	v_cmp_lt_i16_e64 s3, -1, v16
	s_wait_alu 0xf1ff
	v_cndmask_b32_e64 v29, -1, 0xffff8000, s3
	s_delay_alu instid0(VALU_DEP_3) | instskip(NEXT) | instid1(VALU_DEP_2)
	v_cmp_lt_i16_e64 s3, -1, v28
	v_xor_b32_e32 v16, v29, v16
	s_wait_alu 0xf1ff
	s_delay_alu instid0(VALU_DEP_2) | instskip(SKIP_1) | instid1(VALU_DEP_2)
	v_cndmask_b32_e64 v36, -1, 0xffff8000, s3
	v_add_nc_u32_e32 v29, 1, v26
	v_xor_b32_e32 v28, v36, v28
	s_delay_alu instid0(VALU_DEP_1) | instskip(SKIP_1) | instid1(VALU_DEP_1)
	v_cmp_gt_u16_e64 s3, v28, v16
	s_wait_alu 0xf1ff
	v_cndmask_b32_e64 v27, v27, v26, s3
	v_cndmask_b32_e64 v3, v29, v3, s3
	s_delay_alu instid0(VALU_DEP_1)
	v_cmp_ge_u32_e64 s3, v3, v27
	s_wait_alu 0xfffe
	s_or_b32 s7, s3, s7
	s_wait_alu 0xfffe
	s_and_not1_b32 exec_lo, exec_lo, s7
	s_cbranch_execnz .LBB1764_182
; %bb.183:
	s_or_b32 exec_lo, exec_lo, s7
.LBB1764_184:
	s_wait_alu 0xfffe
	s_or_b32 exec_lo, exec_lo, s4
	v_add_nc_u32_e32 v7, v30, v25
	v_add_nc_u32_e32 v15, v3, v32
	s_delay_alu instid0(VALU_DEP_2) | instskip(NEXT) | instid1(VALU_DEP_2)
	v_sub_nc_u32_e32 v16, v7, v3
	v_cmp_le_u32_e64 s3, v15, v30
	s_delay_alu instid0(VALU_DEP_2)
	v_cmp_le_u32_e64 s4, v16, v31
	s_or_b32 s3, s3, s4
	s_wait_alu 0xfffe
	s_and_saveexec_b32 s7, s3
	s_cbranch_execz .LBB1764_204
; %bb.185:
	v_cmp_ge_u32_e64 s3, v15, v30
	s_mov_b32 s8, exec_lo
                                        ; implicit-def: $vgpr3
	v_cmpx_lt_u32_e64 v15, v30
; %bb.186:
	v_lshl_add_u32 v3, v15, 1, v6
	ds_load_u16 v3, v3
; %bb.187:
	s_wait_alu 0xfffe
	s_or_b32 exec_lo, exec_lo, s8
	v_cmp_ge_u32_e64 s8, v16, v31
	s_mov_b32 s9, exec_lo
                                        ; implicit-def: $vgpr7
	v_cmpx_lt_u32_e64 v16, v31
; %bb.188:
	v_lshl_add_u32 v7, v16, 1, v6
	ds_load_u16 v7, v7
; %bb.189:
	s_wait_alu 0xfffe
	s_or_b32 exec_lo, exec_lo, s9
	s_nor_b32 s3, s3, s8
	s_wait_alu 0xfffe
	s_and_saveexec_b32 s4, s3
	s_cbranch_execz .LBB1764_191
; %bb.190:
	s_wait_dscnt 0x0
	v_add_f16_e32 v9, 0, v7
	v_add_f16_e32 v17, 0, v3
	s_and_not1_b32 s8, s8, exec_lo
	s_delay_alu instid0(VALU_DEP_2) | instskip(SKIP_1) | instid1(VALU_DEP_1)
	v_cmp_lt_i16_e64 s3, -1, v9
	s_wait_alu 0xf1ff
	v_cndmask_b32_e64 v18, -1, 0xffff8000, s3
	v_cmp_lt_i16_e64 s3, -1, v17
	s_delay_alu instid0(VALU_DEP_2) | instskip(SKIP_1) | instid1(VALU_DEP_2)
	v_xor_b32_e32 v9, v18, v9
	s_wait_alu 0xf1ff
	v_cndmask_b32_e64 v19, -1, 0xffff8000, s3
	s_delay_alu instid0(VALU_DEP_1) | instskip(NEXT) | instid1(VALU_DEP_1)
	v_xor_b32_e32 v17, v19, v17
	v_cmp_le_u16_e64 s3, v9, v17
	s_and_b32 s3, s3, exec_lo
	s_wait_alu 0xfffe
	s_or_b32 s8, s8, s3
.LBB1764_191:
	s_wait_alu 0xfffe
	s_or_b32 exec_lo, exec_lo, s4
	v_cndmask_b32_e64 v9, v16, v15, s8
	v_cndmask_b32_e64 v17, v31, v30, s8
	s_mov_b32 s9, -1
	s_mov_b32 s4, -1
	s_mov_b32 s10, exec_lo
	v_add_nc_u32_e32 v19, 1, v9
	v_add_nc_u32_e32 v17, -1, v17
	v_lshl_add_u32 v9, v9, 3, v2
	s_delay_alu instid0(VALU_DEP_3) | instskip(NEXT) | instid1(VALU_DEP_3)
	v_cndmask_b32_e64 v16, v19, v16, s8
	v_min_u32_e32 v17, v19, v17
	v_cndmask_b32_e64 v21, v15, v19, s8
	s_delay_alu instid0(VALU_DEP_2)
	v_lshl_add_u32 v17, v17, 1, v6
	ds_load_u16 v20, v17
	ds_load_b64 v[17:18], v9 offset:2048
	s_wait_dscnt 0x1
	v_cndmask_b32_e64 v9, v20, v7, s8
	v_cndmask_b32_e64 v15, v3, v20, s8
	v_cmpx_lt_u32_e64 v16, v31
	s_cbranch_execz .LBB1764_195
; %bb.192:
	s_mov_b32 s11, 0
	s_mov_b32 s4, exec_lo
	v_cmpx_lt_u32_e64 v21, v30
	s_cbranch_execz .LBB1764_194
; %bb.193:
	v_add_f16_e32 v19, 0, v9
	v_add_f16_e32 v20, 0, v15
	s_delay_alu instid0(VALU_DEP_2) | instskip(SKIP_1) | instid1(VALU_DEP_1)
	v_cmp_lt_i16_e64 s3, -1, v19
	s_wait_alu 0xf1ff
	v_cndmask_b32_e64 v22, -1, 0xffff8000, s3
	s_delay_alu instid0(VALU_DEP_3) | instskip(NEXT) | instid1(VALU_DEP_2)
	v_cmp_lt_i16_e64 s3, -1, v20
	v_xor_b32_e32 v19, v22, v19
	s_wait_alu 0xf1ff
	s_delay_alu instid0(VALU_DEP_2) | instskip(NEXT) | instid1(VALU_DEP_1)
	v_cndmask_b32_e64 v23, -1, 0xffff8000, s3
	v_xor_b32_e32 v20, v23, v20
	s_delay_alu instid0(VALU_DEP_1)
	v_cmp_le_u16_e64 s3, v19, v20
	s_and_b32 s11, s3, exec_lo
.LBB1764_194:
	s_wait_alu 0xfffe
	s_or_b32 exec_lo, exec_lo, s4
	s_delay_alu instid0(SALU_CYCLE_1)
	s_or_not1_b32 s4, s11, exec_lo
.LBB1764_195:
	s_wait_alu 0xfffe
	s_or_b32 exec_lo, exec_lo, s10
	v_cndmask_b32_e64 v19, v16, v21, s4
	v_cndmask_b32_e64 v20, v31, v30, s4
	s_mov_b32 s10, exec_lo
	s_delay_alu instid0(VALU_DEP_2) | instskip(NEXT) | instid1(VALU_DEP_2)
	v_add_nc_u32_e32 v22, 1, v19
	v_add_nc_u32_e32 v20, -1, v20
	v_lshl_add_u32 v19, v19, 3, v2
	s_delay_alu instid0(VALU_DEP_3) | instskip(NEXT) | instid1(VALU_DEP_3)
	v_cndmask_b32_e64 v23, v22, v16, s4
	v_min_u32_e32 v20, v22, v20
	v_cndmask_b32_e64 v24, v21, v22, s4
	s_delay_alu instid0(VALU_DEP_2)
	v_lshl_add_u32 v20, v20, 1, v6
	ds_load_u16 v25, v20
	ds_load_b64 v[19:20], v19 offset:2048
	s_wait_dscnt 0x1
	v_cndmask_b32_e64 v16, v25, v9, s4
	v_cndmask_b32_e64 v25, v15, v25, s4
	v_cmpx_lt_u32_e64 v23, v31
	s_cbranch_execz .LBB1764_199
; %bb.196:
	s_mov_b32 s11, 0
	s_mov_b32 s9, exec_lo
	v_cmpx_lt_u32_e64 v24, v30
	s_cbranch_execz .LBB1764_198
; %bb.197:
	v_add_f16_e32 v21, 0, v16
	v_add_f16_e32 v22, 0, v25
	s_delay_alu instid0(VALU_DEP_2) | instskip(SKIP_1) | instid1(VALU_DEP_1)
	v_cmp_lt_i16_e64 s3, -1, v21
	s_wait_alu 0xf1ff
	v_cndmask_b32_e64 v26, -1, 0xffff8000, s3
	s_delay_alu instid0(VALU_DEP_3) | instskip(NEXT) | instid1(VALU_DEP_2)
	v_cmp_lt_i16_e64 s3, -1, v22
	v_xor_b32_e32 v21, v26, v21
	s_wait_alu 0xf1ff
	s_delay_alu instid0(VALU_DEP_2) | instskip(NEXT) | instid1(VALU_DEP_1)
	v_cndmask_b32_e64 v27, -1, 0xffff8000, s3
	v_xor_b32_e32 v22, v27, v22
	s_delay_alu instid0(VALU_DEP_1)
	v_cmp_le_u16_e64 s3, v21, v22
	s_and_b32 s11, s3, exec_lo
.LBB1764_198:
	s_wait_alu 0xfffe
	s_or_b32 exec_lo, exec_lo, s9
	s_delay_alu instid0(SALU_CYCLE_1)
	s_or_not1_b32 s9, s11, exec_lo
.LBB1764_199:
	s_wait_alu 0xfffe
	s_or_b32 exec_lo, exec_lo, s10
	v_cndmask_b32_e64 v21, v23, v24, s9
	v_cndmask_b32_e64 v22, v31, v30, s9
	s_mov_b32 s11, -1
	s_mov_b32 s10, exec_lo
	s_delay_alu instid0(VALU_DEP_2) | instskip(NEXT) | instid1(VALU_DEP_2)
	v_add_nc_u32_e32 v26, 1, v21
	v_add_nc_u32_e32 v22, -1, v22
	s_delay_alu instid0(VALU_DEP_2) | instskip(NEXT) | instid1(VALU_DEP_2)
	v_cndmask_b32_e64 v23, v26, v23, s9
	v_min_u32_e32 v22, v26, v22
	v_cndmask_b32_e64 v24, v24, v26, s9
	s_delay_alu instid0(VALU_DEP_2)
	v_lshl_add_u32 v6, v22, 1, v6
	ds_load_u16 v27, v6
	v_lshl_add_u32 v6, v21, 3, v2
	ds_load_b64 v[21:22], v6 offset:2048
	s_wait_dscnt 0x1
	v_cndmask_b32_e64 v6, v27, v16, s9
	v_cndmask_b32_e64 v26, v25, v27, s9
	v_cmpx_lt_u32_e64 v23, v31
	s_cbranch_execz .LBB1764_203
; %bb.200:
	s_mov_b32 s12, 0
	s_mov_b32 s11, exec_lo
	v_cmpx_lt_u32_e64 v24, v30
	s_cbranch_execz .LBB1764_202
; %bb.201:
	v_add_f16_e32 v27, 0, v6
	v_add_f16_e32 v28, 0, v26
	s_delay_alu instid0(VALU_DEP_2) | instskip(SKIP_1) | instid1(VALU_DEP_1)
	v_cmp_lt_i16_e64 s3, -1, v27
	s_wait_alu 0xf1ff
	v_cndmask_b32_e64 v29, -1, 0xffff8000, s3
	s_delay_alu instid0(VALU_DEP_3) | instskip(NEXT) | instid1(VALU_DEP_2)
	v_cmp_lt_i16_e64 s3, -1, v28
	v_xor_b32_e32 v27, v29, v27
	s_wait_alu 0xf1ff
	s_delay_alu instid0(VALU_DEP_2) | instskip(NEXT) | instid1(VALU_DEP_1)
	v_cndmask_b32_e64 v30, -1, 0xffff8000, s3
	v_xor_b32_e32 v28, v30, v28
	s_delay_alu instid0(VALU_DEP_1)
	v_cmp_le_u16_e64 s3, v27, v28
	s_and_b32 s12, s3, exec_lo
.LBB1764_202:
	s_wait_alu 0xfffe
	s_or_b32 exec_lo, exec_lo, s11
	s_delay_alu instid0(SALU_CYCLE_1)
	s_or_not1_b32 s11, s12, exec_lo
.LBB1764_203:
	s_wait_alu 0xfffe
	s_or_b32 exec_lo, exec_lo, s10
	v_cndmask_b32_e64 v23, v23, v24, s11
	v_cndmask_b32_e64 v39, v16, v25, s9
	;; [unrolled: 1-line block ×5, first 2 shown]
	v_lshl_add_u32 v2, v23, 3, v2
	ds_load_b64 v[23:24], v2 offset:2048
.LBB1764_204:
	s_wait_alu 0xfffe
	s_or_b32 exec_lo, exec_lo, s7
	v_add_co_u32 v2, s3, v4, v33
	s_wait_alu 0xf1ff
	v_add_co_ci_u32_e64 v3, null, v5, v34, s3
	s_delay_alu instid0(VALU_DEP_2) | instskip(SKIP_1) | instid1(VALU_DEP_2)
	v_add_co_u32 v2, s3, v2, v35
	s_wait_alu 0xf1ff
	v_add_co_ci_u32_e64 v3, null, 0, v3, s3
	; wave barrier
	s_wait_storecnt_dscnt 0x0
	s_barrier_signal -1
	s_barrier_wait -1
	global_inv scope:SCOPE_SE
	; wave barrier
	s_and_saveexec_b32 s3, vcc_lo
	s_cbranch_execnz .LBB1764_226
; %bb.205:
	s_wait_alu 0xfffe
	s_or_b32 exec_lo, exec_lo, s3
	s_and_saveexec_b32 s3, s0
	s_cbranch_execnz .LBB1764_227
.LBB1764_206:
	s_wait_alu 0xfffe
	s_or_b32 exec_lo, exec_lo, s3
	s_and_saveexec_b32 s3, s2
	s_cbranch_execnz .LBB1764_228
.LBB1764_207:
	s_wait_alu 0xfffe
	s_or_b32 exec_lo, exec_lo, s3
	s_and_saveexec_b32 s3, s1
	s_cbranch_execz .LBB1764_209
.LBB1764_208:
	flat_store_b16 v[2:3], v9 offset:6
.LBB1764_209:
	s_wait_alu 0xfffe
	s_or_b32 exec_lo, exec_lo, s3
	v_add_co_u32 v0, s3, v10, v0
	s_wait_alu 0xf1ff
	v_add_co_ci_u32_e64 v1, null, v11, v1, s3
	s_delay_alu instid0(VALU_DEP_2) | instskip(SKIP_1) | instid1(VALU_DEP_2)
	v_add_co_u32 v0, s3, v0, v8
	s_wait_alu 0xf1ff
	v_add_co_ci_u32_e64 v1, null, 0, v1, s3
	; wave barrier
	s_and_saveexec_b32 s3, vcc_lo
	s_cbranch_execnz .LBB1764_229
; %bb.210:
	s_wait_alu 0xfffe
	s_or_b32 exec_lo, exec_lo, s3
	s_and_saveexec_b32 s3, s0
	s_cbranch_execnz .LBB1764_230
.LBB1764_211:
	s_wait_alu 0xfffe
	s_or_b32 exec_lo, exec_lo, s3
	s_and_saveexec_b32 s0, s2
	s_cbranch_execz .LBB1764_213
.LBB1764_212:
	flat_store_b64 v[0:1], v[21:22] offset:16
.LBB1764_213:
	s_wait_alu 0xfffe
	s_or_b32 exec_lo, exec_lo, s0
	v_dual_mov_b32 v8, v10 :: v_dual_mov_b32 v9, v11
	s_and_not1_b32 s0, s5, exec_lo
	s_and_b32 s1, s1, exec_lo
	s_wait_alu 0xfffe
	s_or_b32 s5, s0, s1
	s_or_b32 exec_lo, exec_lo, s6
	s_wait_alu 0xfffe
	s_and_saveexec_b32 s0, s5
	s_cbranch_execz .LBB1764_3
.LBB1764_214:
	v_lshlrev_b64_e32 v[0:1], 3, v[13:14]
	v_lshlrev_b32_e32 v2, 3, v12
	s_delay_alu instid0(VALU_DEP_2) | instskip(SKIP_1) | instid1(VALU_DEP_3)
	v_add_co_u32 v0, vcc_lo, v8, v0
	s_wait_alu 0xfffd
	v_add_co_ci_u32_e64 v1, null, v9, v1, vcc_lo
	s_delay_alu instid0(VALU_DEP_2) | instskip(SKIP_1) | instid1(VALU_DEP_2)
	v_add_co_u32 v0, vcc_lo, v0, v2
	s_wait_alu 0xfffd
	v_add_co_ci_u32_e64 v1, null, 0, v1, vcc_lo
	flat_store_b64 v[0:1], v[23:24] offset:24
	s_wait_alu 0xfffe
	s_or_b32 exec_lo, exec_lo, s0
	s_wait_loadcnt_dscnt 0x0
	s_setpc_b64 s[30:31]
.LBB1764_215:
	flat_load_b64 v[18:19], v[4:5]
	v_dual_mov_b32 v24, v17 :: v_dual_mov_b32 v25, v17
	v_dual_mov_b32 v20, v17 :: v_dual_mov_b32 v21, v17
	;; [unrolled: 1-line block ×3, first 2 shown]
	s_wait_loadcnt_dscnt 0x0
	v_mov_b32_e32 v17, v18
	v_mov_b32_e32 v18, v19
	;; [unrolled: 1-line block ×8, first 2 shown]
	s_wait_alu 0xfffe
	s_or_b32 exec_lo, exec_lo, s3
	s_and_saveexec_b32 s3, s0
	s_cbranch_execz .LBB1764_14
.LBB1764_216:
	flat_load_b64 v[19:20], v[4:5] offset:8
	s_wait_alu 0xfffe
	s_or_b32 exec_lo, exec_lo, s3
	s_and_saveexec_b32 s3, s1
	s_cbranch_execz .LBB1764_15
.LBB1764_217:
	flat_load_b64 v[21:22], v[4:5] offset:16
	s_wait_alu 0xfffe
	s_or_b32 exec_lo, exec_lo, s3
	s_and_saveexec_b32 s3, s2
	s_cbranch_execnz .LBB1764_16
	s_branch .LBB1764_17
.LBB1764_218:
	flat_store_b16 v[2:3], v38
	s_wait_alu 0xfffe
	s_or_b32 exec_lo, exec_lo, s3
	s_and_saveexec_b32 s3, s0
	s_cbranch_execz .LBB1764_101
.LBB1764_219:
	flat_store_b16 v[2:3], v37 offset:2
	s_wait_alu 0xfffe
	s_or_b32 exec_lo, exec_lo, s3
	s_and_saveexec_b32 s3, s1
	s_cbranch_execz .LBB1764_102
.LBB1764_220:
	flat_store_b16 v[2:3], v39 offset:4
	s_wait_alu 0xfffe
	s_or_b32 exec_lo, exec_lo, s3
	s_and_saveexec_b32 s3, s2
	s_cbranch_execnz .LBB1764_103
	s_branch .LBB1764_104
.LBB1764_221:
	flat_store_b64 v[0:1], v[17:18]
	s_wait_alu 0xfffe
	s_or_b32 exec_lo, exec_lo, s3
	s_and_saveexec_b32 s3, s0
	s_cbranch_execz .LBB1764_106
.LBB1764_222:
	flat_store_b64 v[0:1], v[19:20] offset:8
	s_wait_alu 0xfffe
	s_or_b32 exec_lo, exec_lo, s3
	s_and_saveexec_b32 s0, s1
	s_cbranch_execnz .LBB1764_107
	s_branch .LBB1764_108
.LBB1764_223:
	flat_load_b64 v[18:19], v[2:3]
	v_dual_mov_b32 v24, v17 :: v_dual_mov_b32 v25, v17
	v_dual_mov_b32 v20, v17 :: v_dual_mov_b32 v21, v17
	;; [unrolled: 1-line block ×3, first 2 shown]
	s_wait_loadcnt_dscnt 0x0
	v_mov_b32_e32 v17, v18
	v_mov_b32_e32 v18, v19
	;; [unrolled: 1-line block ×8, first 2 shown]
	s_wait_alu 0xfffe
	s_or_b32 exec_lo, exec_lo, s3
	s_and_saveexec_b32 s3, s0
	s_cbranch_execz .LBB1764_119
.LBB1764_224:
	flat_load_b64 v[19:20], v[2:3] offset:8
	s_wait_alu 0xfffe
	s_or_b32 exec_lo, exec_lo, s3
	s_and_saveexec_b32 s3, s2
	s_cbranch_execz .LBB1764_120
.LBB1764_225:
	flat_load_b64 v[21:22], v[2:3] offset:16
	s_wait_alu 0xfffe
	s_or_b32 exec_lo, exec_lo, s3
	s_and_saveexec_b32 s3, s1
	s_cbranch_execnz .LBB1764_121
	s_branch .LBB1764_122
.LBB1764_226:
	flat_store_b16 v[2:3], v38
	s_wait_alu 0xfffe
	s_or_b32 exec_lo, exec_lo, s3
	s_and_saveexec_b32 s3, s0
	s_cbranch_execz .LBB1764_206
.LBB1764_227:
	flat_store_b16 v[2:3], v37 offset:2
	s_wait_alu 0xfffe
	s_or_b32 exec_lo, exec_lo, s3
	s_and_saveexec_b32 s3, s2
	s_cbranch_execz .LBB1764_207
.LBB1764_228:
	flat_store_b16 v[2:3], v39 offset:4
	s_wait_alu 0xfffe
	s_or_b32 exec_lo, exec_lo, s3
	s_and_saveexec_b32 s3, s1
	s_cbranch_execnz .LBB1764_208
	s_branch .LBB1764_209
.LBB1764_229:
	flat_store_b64 v[0:1], v[17:18]
	s_wait_alu 0xfffe
	s_or_b32 exec_lo, exec_lo, s3
	s_and_saveexec_b32 s3, s0
	s_cbranch_execz .LBB1764_211
.LBB1764_230:
	flat_store_b64 v[0:1], v[19:20] offset:8
	s_wait_alu 0xfffe
	s_or_b32 exec_lo, exec_lo, s3
	s_and_saveexec_b32 s0, s2
	s_cbranch_execnz .LBB1764_212
	s_branch .LBB1764_213
.Lfunc_end1764:
	.size	_ZN7rocprim17ROCPRIM_400000_NS6detail26segmented_warp_sort_helperINS1_20WarpSortHelperConfigILj8ELj4ELj256EEE6__halflLi256ELb1EvE4sortIPKS5_PS5_PKlPlEEvT_SA_T0_T1_SD_T2_bjjjjRNS6_12storage_typeE, .Lfunc_end1764-_ZN7rocprim17ROCPRIM_400000_NS6detail26segmented_warp_sort_helperINS1_20WarpSortHelperConfigILj8ELj4ELj256EEE6__halflLi256ELb1EvE4sortIPKS5_PS5_PKlPlEEvT_SA_T0_T1_SD_T2_bjjjjRNS6_12storage_typeE
                                        ; -- End function
	.set .L_ZN7rocprim17ROCPRIM_400000_NS6detail26segmented_warp_sort_helperINS1_20WarpSortHelperConfigILj8ELj4ELj256EEE6__halflLi256ELb1EvE4sortIPKS5_PS5_PKlPlEEvT_SA_T0_T1_SD_T2_bjjjjRNS6_12storage_typeE.num_vgpr, 66
	.set .L_ZN7rocprim17ROCPRIM_400000_NS6detail26segmented_warp_sort_helperINS1_20WarpSortHelperConfigILj8ELj4ELj256EEE6__halflLi256ELb1EvE4sortIPKS5_PS5_PKlPlEEvT_SA_T0_T1_SD_T2_bjjjjRNS6_12storage_typeE.num_agpr, 0
	.set .L_ZN7rocprim17ROCPRIM_400000_NS6detail26segmented_warp_sort_helperINS1_20WarpSortHelperConfigILj8ELj4ELj256EEE6__halflLi256ELb1EvE4sortIPKS5_PS5_PKlPlEEvT_SA_T0_T1_SD_T2_bjjjjRNS6_12storage_typeE.numbered_sgpr, 32
	.set .L_ZN7rocprim17ROCPRIM_400000_NS6detail26segmented_warp_sort_helperINS1_20WarpSortHelperConfigILj8ELj4ELj256EEE6__halflLi256ELb1EvE4sortIPKS5_PS5_PKlPlEEvT_SA_T0_T1_SD_T2_bjjjjRNS6_12storage_typeE.num_named_barrier, 0
	.set .L_ZN7rocprim17ROCPRIM_400000_NS6detail26segmented_warp_sort_helperINS1_20WarpSortHelperConfigILj8ELj4ELj256EEE6__halflLi256ELb1EvE4sortIPKS5_PS5_PKlPlEEvT_SA_T0_T1_SD_T2_bjjjjRNS6_12storage_typeE.private_seg_size, 0
	.set .L_ZN7rocprim17ROCPRIM_400000_NS6detail26segmented_warp_sort_helperINS1_20WarpSortHelperConfigILj8ELj4ELj256EEE6__halflLi256ELb1EvE4sortIPKS5_PS5_PKlPlEEvT_SA_T0_T1_SD_T2_bjjjjRNS6_12storage_typeE.uses_vcc, 1
	.set .L_ZN7rocprim17ROCPRIM_400000_NS6detail26segmented_warp_sort_helperINS1_20WarpSortHelperConfigILj8ELj4ELj256EEE6__halflLi256ELb1EvE4sortIPKS5_PS5_PKlPlEEvT_SA_T0_T1_SD_T2_bjjjjRNS6_12storage_typeE.uses_flat_scratch, 0
	.set .L_ZN7rocprim17ROCPRIM_400000_NS6detail26segmented_warp_sort_helperINS1_20WarpSortHelperConfigILj8ELj4ELj256EEE6__halflLi256ELb1EvE4sortIPKS5_PS5_PKlPlEEvT_SA_T0_T1_SD_T2_bjjjjRNS6_12storage_typeE.has_dyn_sized_stack, 0
	.set .L_ZN7rocprim17ROCPRIM_400000_NS6detail26segmented_warp_sort_helperINS1_20WarpSortHelperConfigILj8ELj4ELj256EEE6__halflLi256ELb1EvE4sortIPKS5_PS5_PKlPlEEvT_SA_T0_T1_SD_T2_bjjjjRNS6_12storage_typeE.has_recursion, 0
	.set .L_ZN7rocprim17ROCPRIM_400000_NS6detail26segmented_warp_sort_helperINS1_20WarpSortHelperConfigILj8ELj4ELj256EEE6__halflLi256ELb1EvE4sortIPKS5_PS5_PKlPlEEvT_SA_T0_T1_SD_T2_bjjjjRNS6_12storage_typeE.has_indirect_call, 0
	.section	.AMDGPU.csdata,"",@progbits
; Function info:
; codeLenInByte = 13608
; TotalNumSgprs: 34
; NumVgprs: 66
; ScratchSize: 0
; MemoryBound: 1
	.section	.text._ZN7rocprim17ROCPRIM_400000_NS6detail17trampoline_kernelINS0_14default_configENS1_36segmented_radix_sort_config_selectorI6__halflEEZNS1_25segmented_radix_sort_implIS3_Lb1EPKS5_PS5_PKlPlN2at6native12_GLOBAL__N_18offset_tEEE10hipError_tPvRmT1_PNSt15iterator_traitsISL_E10value_typeET2_T3_PNSM_ISR_E10value_typeET4_jRbjT5_SX_jjP12ihipStream_tbEUlT_E1_NS1_11comp_targetILNS1_3genE10ELNS1_11target_archE1201ELNS1_3gpuE5ELNS1_3repE0EEENS1_59segmented_radix_sort_warp_sort_small_config_static_selectorELNS0_4arch9wavefront6targetE0EEEvSL_,"axG",@progbits,_ZN7rocprim17ROCPRIM_400000_NS6detail17trampoline_kernelINS0_14default_configENS1_36segmented_radix_sort_config_selectorI6__halflEEZNS1_25segmented_radix_sort_implIS3_Lb1EPKS5_PS5_PKlPlN2at6native12_GLOBAL__N_18offset_tEEE10hipError_tPvRmT1_PNSt15iterator_traitsISL_E10value_typeET2_T3_PNSM_ISR_E10value_typeET4_jRbjT5_SX_jjP12ihipStream_tbEUlT_E1_NS1_11comp_targetILNS1_3genE10ELNS1_11target_archE1201ELNS1_3gpuE5ELNS1_3repE0EEENS1_59segmented_radix_sort_warp_sort_small_config_static_selectorELNS0_4arch9wavefront6targetE0EEEvSL_,comdat
	.globl	_ZN7rocprim17ROCPRIM_400000_NS6detail17trampoline_kernelINS0_14default_configENS1_36segmented_radix_sort_config_selectorI6__halflEEZNS1_25segmented_radix_sort_implIS3_Lb1EPKS5_PS5_PKlPlN2at6native12_GLOBAL__N_18offset_tEEE10hipError_tPvRmT1_PNSt15iterator_traitsISL_E10value_typeET2_T3_PNSM_ISR_E10value_typeET4_jRbjT5_SX_jjP12ihipStream_tbEUlT_E1_NS1_11comp_targetILNS1_3genE10ELNS1_11target_archE1201ELNS1_3gpuE5ELNS1_3repE0EEENS1_59segmented_radix_sort_warp_sort_small_config_static_selectorELNS0_4arch9wavefront6targetE0EEEvSL_ ; -- Begin function _ZN7rocprim17ROCPRIM_400000_NS6detail17trampoline_kernelINS0_14default_configENS1_36segmented_radix_sort_config_selectorI6__halflEEZNS1_25segmented_radix_sort_implIS3_Lb1EPKS5_PS5_PKlPlN2at6native12_GLOBAL__N_18offset_tEEE10hipError_tPvRmT1_PNSt15iterator_traitsISL_E10value_typeET2_T3_PNSM_ISR_E10value_typeET4_jRbjT5_SX_jjP12ihipStream_tbEUlT_E1_NS1_11comp_targetILNS1_3genE10ELNS1_11target_archE1201ELNS1_3gpuE5ELNS1_3repE0EEENS1_59segmented_radix_sort_warp_sort_small_config_static_selectorELNS0_4arch9wavefront6targetE0EEEvSL_
	.p2align	8
	.type	_ZN7rocprim17ROCPRIM_400000_NS6detail17trampoline_kernelINS0_14default_configENS1_36segmented_radix_sort_config_selectorI6__halflEEZNS1_25segmented_radix_sort_implIS3_Lb1EPKS5_PS5_PKlPlN2at6native12_GLOBAL__N_18offset_tEEE10hipError_tPvRmT1_PNSt15iterator_traitsISL_E10value_typeET2_T3_PNSM_ISR_E10value_typeET4_jRbjT5_SX_jjP12ihipStream_tbEUlT_E1_NS1_11comp_targetILNS1_3genE10ELNS1_11target_archE1201ELNS1_3gpuE5ELNS1_3repE0EEENS1_59segmented_radix_sort_warp_sort_small_config_static_selectorELNS0_4arch9wavefront6targetE0EEEvSL_,@function
_ZN7rocprim17ROCPRIM_400000_NS6detail17trampoline_kernelINS0_14default_configENS1_36segmented_radix_sort_config_selectorI6__halflEEZNS1_25segmented_radix_sort_implIS3_Lb1EPKS5_PS5_PKlPlN2at6native12_GLOBAL__N_18offset_tEEE10hipError_tPvRmT1_PNSt15iterator_traitsISL_E10value_typeET2_T3_PNSM_ISR_E10value_typeET4_jRbjT5_SX_jjP12ihipStream_tbEUlT_E1_NS1_11comp_targetILNS1_3genE10ELNS1_11target_archE1201ELNS1_3gpuE5ELNS1_3repE0EEENS1_59segmented_radix_sort_warp_sort_small_config_static_selectorELNS0_4arch9wavefront6targetE0EEEvSL_: ; @_ZN7rocprim17ROCPRIM_400000_NS6detail17trampoline_kernelINS0_14default_configENS1_36segmented_radix_sort_config_selectorI6__halflEEZNS1_25segmented_radix_sort_implIS3_Lb1EPKS5_PS5_PKlPlN2at6native12_GLOBAL__N_18offset_tEEE10hipError_tPvRmT1_PNSt15iterator_traitsISL_E10value_typeET2_T3_PNSM_ISR_E10value_typeET4_jRbjT5_SX_jjP12ihipStream_tbEUlT_E1_NS1_11comp_targetILNS1_3genE10ELNS1_11target_archE1201ELNS1_3gpuE5ELNS1_3repE0EEENS1_59segmented_radix_sort_warp_sort_small_config_static_selectorELNS0_4arch9wavefront6targetE0EEEvSL_
; %bb.0:
	s_load_b32 s2, s[0:1], 0x64
	v_bfe_u32 v1, v0, 10, 10
	v_bfe_u32 v2, v0, 20, 10
	s_mov_b32 s32, 0
	s_wait_kmcnt 0x0
	s_lshr_b32 s3, s2, 16
	s_and_b32 s2, s2, 0xffff
	v_mad_u32_u24 v2, v2, s3, v1
	v_and_b32_e32 v1, 0x3ff, v0
	s_load_b32 s3, s[0:1], 0x34
	s_delay_alu instid0(VALU_DEP_1) | instskip(SKIP_2) | instid1(VALU_DEP_1)
	v_mad_co_u64_u32 v[1:2], null, v2, s2, v[1:2]
	s_mov_b32 s2, exec_lo
	v_lshrrev_b32_e32 v1, 3, v1
	v_lshl_add_u32 v1, ttmp9, 5, v1
	s_wait_kmcnt 0x0
	s_delay_alu instid0(VALU_DEP_1)
	v_cmpx_gt_u32_e64 s3, v1
	s_cbranch_execz .LBB1765_3
; %bb.1:
	s_clause 0x1
	s_load_b64 s[2:3], s[0:1], 0x38
	s_load_b128 s[4:7], s[0:1], 0x40
	v_mov_b32_e32 v2, 0
	s_delay_alu instid0(VALU_DEP_1) | instskip(SKIP_1) | instid1(VALU_DEP_1)
	v_lshlrev_b64_e32 v[1:2], 2, v[1:2]
	s_wait_kmcnt 0x0
	v_sub_co_u32 v1, vcc_lo, s2, v1
	s_delay_alu instid0(VALU_DEP_1) | instskip(SKIP_4) | instid1(VALU_DEP_2)
	v_sub_co_ci_u32_e64 v2, null, s3, v2, vcc_lo
	global_load_b32 v1, v[1:2], off offset:-4
	s_wait_loadcnt 0x0
	v_add_nc_u32_e32 v2, s5, v1
	v_add_nc_u32_e32 v1, s7, v1
	v_mul_lo_u32 v13, v2, s4
	s_delay_alu instid0(VALU_DEP_2) | instskip(NEXT) | instid1(VALU_DEP_1)
	v_mul_lo_u32 v14, v1, s6
	v_cmp_gt_u32_e32 vcc_lo, v14, v13
	s_and_b32 exec_lo, exec_lo, vcc_lo
	s_cbranch_execz .LBB1765_3
; %bb.2:
	s_mov_b64 s[2:3], src_shared_base
	s_clause 0x2
	s_load_b32 s2, s[0:1], 0x30
	s_load_b256 s[12:19], s[0:1], 0x0
	s_load_b128 s[4:7], s[0:1], 0x20
	s_add_nc_u64 s[8:9], s[0:1], 0x58
	s_getpc_b64 s[0:1]
	s_wait_alu 0xfffe
	s_sext_i32_i16 s1, s1
	s_add_co_u32 s0, s0, _ZN7rocprim17ROCPRIM_400000_NS6detail26segmented_warp_sort_helperINS1_20WarpSortHelperConfigILj8ELj4ELj256EEE6__halflLi256ELb1EvE4sortIPKS5_PS5_PKlPlEEvT_SA_T0_T1_SD_T2_bjjjjRNS6_12storage_typeE@rel32@lo+12
	s_wait_alu 0xfffe
	s_add_co_ci_u32 s1, s1, _ZN7rocprim17ROCPRIM_400000_NS6detail26segmented_warp_sort_helperINS1_20WarpSortHelperConfigILj8ELj4ELj256EEE6__halflLi256ELb1EvE4sortIPKS5_PS5_PKlPlEEvT_SA_T0_T1_SD_T2_bjjjjRNS6_12storage_typeE@rel32@hi+24
	v_mov_b32_e32 v31, v0
	v_dual_mov_b32 v15, 0 :: v_dual_mov_b32 v16, s3
	s_wait_kmcnt 0x0
	s_and_b32 s2, s2, 0xff
	v_dual_mov_b32 v0, s12 :: v_dual_mov_b32 v1, s13
	v_dual_mov_b32 v2, s14 :: v_dual_mov_b32 v3, s15
	;; [unrolled: 1-line block ×6, first 2 shown]
	s_wait_alu 0xfffe
	v_mov_b32_e32 v12, s2
	s_swappc_b64 s[30:31], s[0:1]
.LBB1765_3:
	s_endpgm
	.section	.rodata,"a",@progbits
	.p2align	6, 0x0
	.amdhsa_kernel _ZN7rocprim17ROCPRIM_400000_NS6detail17trampoline_kernelINS0_14default_configENS1_36segmented_radix_sort_config_selectorI6__halflEEZNS1_25segmented_radix_sort_implIS3_Lb1EPKS5_PS5_PKlPlN2at6native12_GLOBAL__N_18offset_tEEE10hipError_tPvRmT1_PNSt15iterator_traitsISL_E10value_typeET2_T3_PNSM_ISR_E10value_typeET4_jRbjT5_SX_jjP12ihipStream_tbEUlT_E1_NS1_11comp_targetILNS1_3genE10ELNS1_11target_archE1201ELNS1_3gpuE5ELNS1_3repE0EEENS1_59segmented_radix_sort_warp_sort_small_config_static_selectorELNS0_4arch9wavefront6targetE0EEEvSL_
		.amdhsa_group_segment_fixed_size 10240
		.amdhsa_private_segment_fixed_size 0
		.amdhsa_kernarg_size 344
		.amdhsa_user_sgpr_count 2
		.amdhsa_user_sgpr_dispatch_ptr 0
		.amdhsa_user_sgpr_queue_ptr 0
		.amdhsa_user_sgpr_kernarg_segment_ptr 1
		.amdhsa_user_sgpr_dispatch_id 0
		.amdhsa_user_sgpr_private_segment_size 0
		.amdhsa_wavefront_size32 1
		.amdhsa_uses_dynamic_stack 0
		.amdhsa_enable_private_segment 0
		.amdhsa_system_sgpr_workgroup_id_x 1
		.amdhsa_system_sgpr_workgroup_id_y 1
		.amdhsa_system_sgpr_workgroup_id_z 0
		.amdhsa_system_sgpr_workgroup_info 0
		.amdhsa_system_vgpr_workitem_id 2
		.amdhsa_next_free_vgpr 66
		.amdhsa_next_free_sgpr 33
		.amdhsa_reserve_vcc 1
		.amdhsa_float_round_mode_32 0
		.amdhsa_float_round_mode_16_64 0
		.amdhsa_float_denorm_mode_32 3
		.amdhsa_float_denorm_mode_16_64 3
		.amdhsa_fp16_overflow 0
		.amdhsa_workgroup_processor_mode 1
		.amdhsa_memory_ordered 1
		.amdhsa_forward_progress 1
		.amdhsa_inst_pref_size 4
		.amdhsa_round_robin_scheduling 0
		.amdhsa_exception_fp_ieee_invalid_op 0
		.amdhsa_exception_fp_denorm_src 0
		.amdhsa_exception_fp_ieee_div_zero 0
		.amdhsa_exception_fp_ieee_overflow 0
		.amdhsa_exception_fp_ieee_underflow 0
		.amdhsa_exception_fp_ieee_inexact 0
		.amdhsa_exception_int_div_zero 0
	.end_amdhsa_kernel
	.section	.text._ZN7rocprim17ROCPRIM_400000_NS6detail17trampoline_kernelINS0_14default_configENS1_36segmented_radix_sort_config_selectorI6__halflEEZNS1_25segmented_radix_sort_implIS3_Lb1EPKS5_PS5_PKlPlN2at6native12_GLOBAL__N_18offset_tEEE10hipError_tPvRmT1_PNSt15iterator_traitsISL_E10value_typeET2_T3_PNSM_ISR_E10value_typeET4_jRbjT5_SX_jjP12ihipStream_tbEUlT_E1_NS1_11comp_targetILNS1_3genE10ELNS1_11target_archE1201ELNS1_3gpuE5ELNS1_3repE0EEENS1_59segmented_radix_sort_warp_sort_small_config_static_selectorELNS0_4arch9wavefront6targetE0EEEvSL_,"axG",@progbits,_ZN7rocprim17ROCPRIM_400000_NS6detail17trampoline_kernelINS0_14default_configENS1_36segmented_radix_sort_config_selectorI6__halflEEZNS1_25segmented_radix_sort_implIS3_Lb1EPKS5_PS5_PKlPlN2at6native12_GLOBAL__N_18offset_tEEE10hipError_tPvRmT1_PNSt15iterator_traitsISL_E10value_typeET2_T3_PNSM_ISR_E10value_typeET4_jRbjT5_SX_jjP12ihipStream_tbEUlT_E1_NS1_11comp_targetILNS1_3genE10ELNS1_11target_archE1201ELNS1_3gpuE5ELNS1_3repE0EEENS1_59segmented_radix_sort_warp_sort_small_config_static_selectorELNS0_4arch9wavefront6targetE0EEEvSL_,comdat
.Lfunc_end1765:
	.size	_ZN7rocprim17ROCPRIM_400000_NS6detail17trampoline_kernelINS0_14default_configENS1_36segmented_radix_sort_config_selectorI6__halflEEZNS1_25segmented_radix_sort_implIS3_Lb1EPKS5_PS5_PKlPlN2at6native12_GLOBAL__N_18offset_tEEE10hipError_tPvRmT1_PNSt15iterator_traitsISL_E10value_typeET2_T3_PNSM_ISR_E10value_typeET4_jRbjT5_SX_jjP12ihipStream_tbEUlT_E1_NS1_11comp_targetILNS1_3genE10ELNS1_11target_archE1201ELNS1_3gpuE5ELNS1_3repE0EEENS1_59segmented_radix_sort_warp_sort_small_config_static_selectorELNS0_4arch9wavefront6targetE0EEEvSL_, .Lfunc_end1765-_ZN7rocprim17ROCPRIM_400000_NS6detail17trampoline_kernelINS0_14default_configENS1_36segmented_radix_sort_config_selectorI6__halflEEZNS1_25segmented_radix_sort_implIS3_Lb1EPKS5_PS5_PKlPlN2at6native12_GLOBAL__N_18offset_tEEE10hipError_tPvRmT1_PNSt15iterator_traitsISL_E10value_typeET2_T3_PNSM_ISR_E10value_typeET4_jRbjT5_SX_jjP12ihipStream_tbEUlT_E1_NS1_11comp_targetILNS1_3genE10ELNS1_11target_archE1201ELNS1_3gpuE5ELNS1_3repE0EEENS1_59segmented_radix_sort_warp_sort_small_config_static_selectorELNS0_4arch9wavefront6targetE0EEEvSL_
                                        ; -- End function
	.set _ZN7rocprim17ROCPRIM_400000_NS6detail17trampoline_kernelINS0_14default_configENS1_36segmented_radix_sort_config_selectorI6__halflEEZNS1_25segmented_radix_sort_implIS3_Lb1EPKS5_PS5_PKlPlN2at6native12_GLOBAL__N_18offset_tEEE10hipError_tPvRmT1_PNSt15iterator_traitsISL_E10value_typeET2_T3_PNSM_ISR_E10value_typeET4_jRbjT5_SX_jjP12ihipStream_tbEUlT_E1_NS1_11comp_targetILNS1_3genE10ELNS1_11target_archE1201ELNS1_3gpuE5ELNS1_3repE0EEENS1_59segmented_radix_sort_warp_sort_small_config_static_selectorELNS0_4arch9wavefront6targetE0EEEvSL_.num_vgpr, max(32, .L_ZN7rocprim17ROCPRIM_400000_NS6detail26segmented_warp_sort_helperINS1_20WarpSortHelperConfigILj8ELj4ELj256EEE6__halflLi256ELb1EvE4sortIPKS5_PS5_PKlPlEEvT_SA_T0_T1_SD_T2_bjjjjRNS6_12storage_typeE.num_vgpr)
	.set _ZN7rocprim17ROCPRIM_400000_NS6detail17trampoline_kernelINS0_14default_configENS1_36segmented_radix_sort_config_selectorI6__halflEEZNS1_25segmented_radix_sort_implIS3_Lb1EPKS5_PS5_PKlPlN2at6native12_GLOBAL__N_18offset_tEEE10hipError_tPvRmT1_PNSt15iterator_traitsISL_E10value_typeET2_T3_PNSM_ISR_E10value_typeET4_jRbjT5_SX_jjP12ihipStream_tbEUlT_E1_NS1_11comp_targetILNS1_3genE10ELNS1_11target_archE1201ELNS1_3gpuE5ELNS1_3repE0EEENS1_59segmented_radix_sort_warp_sort_small_config_static_selectorELNS0_4arch9wavefront6targetE0EEEvSL_.num_agpr, max(0, .L_ZN7rocprim17ROCPRIM_400000_NS6detail26segmented_warp_sort_helperINS1_20WarpSortHelperConfigILj8ELj4ELj256EEE6__halflLi256ELb1EvE4sortIPKS5_PS5_PKlPlEEvT_SA_T0_T1_SD_T2_bjjjjRNS6_12storage_typeE.num_agpr)
	.set _ZN7rocprim17ROCPRIM_400000_NS6detail17trampoline_kernelINS0_14default_configENS1_36segmented_radix_sort_config_selectorI6__halflEEZNS1_25segmented_radix_sort_implIS3_Lb1EPKS5_PS5_PKlPlN2at6native12_GLOBAL__N_18offset_tEEE10hipError_tPvRmT1_PNSt15iterator_traitsISL_E10value_typeET2_T3_PNSM_ISR_E10value_typeET4_jRbjT5_SX_jjP12ihipStream_tbEUlT_E1_NS1_11comp_targetILNS1_3genE10ELNS1_11target_archE1201ELNS1_3gpuE5ELNS1_3repE0EEENS1_59segmented_radix_sort_warp_sort_small_config_static_selectorELNS0_4arch9wavefront6targetE0EEEvSL_.numbered_sgpr, max(33, .L_ZN7rocprim17ROCPRIM_400000_NS6detail26segmented_warp_sort_helperINS1_20WarpSortHelperConfigILj8ELj4ELj256EEE6__halflLi256ELb1EvE4sortIPKS5_PS5_PKlPlEEvT_SA_T0_T1_SD_T2_bjjjjRNS6_12storage_typeE.numbered_sgpr)
	.set _ZN7rocprim17ROCPRIM_400000_NS6detail17trampoline_kernelINS0_14default_configENS1_36segmented_radix_sort_config_selectorI6__halflEEZNS1_25segmented_radix_sort_implIS3_Lb1EPKS5_PS5_PKlPlN2at6native12_GLOBAL__N_18offset_tEEE10hipError_tPvRmT1_PNSt15iterator_traitsISL_E10value_typeET2_T3_PNSM_ISR_E10value_typeET4_jRbjT5_SX_jjP12ihipStream_tbEUlT_E1_NS1_11comp_targetILNS1_3genE10ELNS1_11target_archE1201ELNS1_3gpuE5ELNS1_3repE0EEENS1_59segmented_radix_sort_warp_sort_small_config_static_selectorELNS0_4arch9wavefront6targetE0EEEvSL_.num_named_barrier, max(0, .L_ZN7rocprim17ROCPRIM_400000_NS6detail26segmented_warp_sort_helperINS1_20WarpSortHelperConfigILj8ELj4ELj256EEE6__halflLi256ELb1EvE4sortIPKS5_PS5_PKlPlEEvT_SA_T0_T1_SD_T2_bjjjjRNS6_12storage_typeE.num_named_barrier)
	.set _ZN7rocprim17ROCPRIM_400000_NS6detail17trampoline_kernelINS0_14default_configENS1_36segmented_radix_sort_config_selectorI6__halflEEZNS1_25segmented_radix_sort_implIS3_Lb1EPKS5_PS5_PKlPlN2at6native12_GLOBAL__N_18offset_tEEE10hipError_tPvRmT1_PNSt15iterator_traitsISL_E10value_typeET2_T3_PNSM_ISR_E10value_typeET4_jRbjT5_SX_jjP12ihipStream_tbEUlT_E1_NS1_11comp_targetILNS1_3genE10ELNS1_11target_archE1201ELNS1_3gpuE5ELNS1_3repE0EEENS1_59segmented_radix_sort_warp_sort_small_config_static_selectorELNS0_4arch9wavefront6targetE0EEEvSL_.private_seg_size, 0+max(.L_ZN7rocprim17ROCPRIM_400000_NS6detail26segmented_warp_sort_helperINS1_20WarpSortHelperConfigILj8ELj4ELj256EEE6__halflLi256ELb1EvE4sortIPKS5_PS5_PKlPlEEvT_SA_T0_T1_SD_T2_bjjjjRNS6_12storage_typeE.private_seg_size)
	.set _ZN7rocprim17ROCPRIM_400000_NS6detail17trampoline_kernelINS0_14default_configENS1_36segmented_radix_sort_config_selectorI6__halflEEZNS1_25segmented_radix_sort_implIS3_Lb1EPKS5_PS5_PKlPlN2at6native12_GLOBAL__N_18offset_tEEE10hipError_tPvRmT1_PNSt15iterator_traitsISL_E10value_typeET2_T3_PNSM_ISR_E10value_typeET4_jRbjT5_SX_jjP12ihipStream_tbEUlT_E1_NS1_11comp_targetILNS1_3genE10ELNS1_11target_archE1201ELNS1_3gpuE5ELNS1_3repE0EEENS1_59segmented_radix_sort_warp_sort_small_config_static_selectorELNS0_4arch9wavefront6targetE0EEEvSL_.uses_vcc, or(1, .L_ZN7rocprim17ROCPRIM_400000_NS6detail26segmented_warp_sort_helperINS1_20WarpSortHelperConfigILj8ELj4ELj256EEE6__halflLi256ELb1EvE4sortIPKS5_PS5_PKlPlEEvT_SA_T0_T1_SD_T2_bjjjjRNS6_12storage_typeE.uses_vcc)
	.set _ZN7rocprim17ROCPRIM_400000_NS6detail17trampoline_kernelINS0_14default_configENS1_36segmented_radix_sort_config_selectorI6__halflEEZNS1_25segmented_radix_sort_implIS3_Lb1EPKS5_PS5_PKlPlN2at6native12_GLOBAL__N_18offset_tEEE10hipError_tPvRmT1_PNSt15iterator_traitsISL_E10value_typeET2_T3_PNSM_ISR_E10value_typeET4_jRbjT5_SX_jjP12ihipStream_tbEUlT_E1_NS1_11comp_targetILNS1_3genE10ELNS1_11target_archE1201ELNS1_3gpuE5ELNS1_3repE0EEENS1_59segmented_radix_sort_warp_sort_small_config_static_selectorELNS0_4arch9wavefront6targetE0EEEvSL_.uses_flat_scratch, or(0, .L_ZN7rocprim17ROCPRIM_400000_NS6detail26segmented_warp_sort_helperINS1_20WarpSortHelperConfigILj8ELj4ELj256EEE6__halflLi256ELb1EvE4sortIPKS5_PS5_PKlPlEEvT_SA_T0_T1_SD_T2_bjjjjRNS6_12storage_typeE.uses_flat_scratch)
	.set _ZN7rocprim17ROCPRIM_400000_NS6detail17trampoline_kernelINS0_14default_configENS1_36segmented_radix_sort_config_selectorI6__halflEEZNS1_25segmented_radix_sort_implIS3_Lb1EPKS5_PS5_PKlPlN2at6native12_GLOBAL__N_18offset_tEEE10hipError_tPvRmT1_PNSt15iterator_traitsISL_E10value_typeET2_T3_PNSM_ISR_E10value_typeET4_jRbjT5_SX_jjP12ihipStream_tbEUlT_E1_NS1_11comp_targetILNS1_3genE10ELNS1_11target_archE1201ELNS1_3gpuE5ELNS1_3repE0EEENS1_59segmented_radix_sort_warp_sort_small_config_static_selectorELNS0_4arch9wavefront6targetE0EEEvSL_.has_dyn_sized_stack, or(0, .L_ZN7rocprim17ROCPRIM_400000_NS6detail26segmented_warp_sort_helperINS1_20WarpSortHelperConfigILj8ELj4ELj256EEE6__halflLi256ELb1EvE4sortIPKS5_PS5_PKlPlEEvT_SA_T0_T1_SD_T2_bjjjjRNS6_12storage_typeE.has_dyn_sized_stack)
	.set _ZN7rocprim17ROCPRIM_400000_NS6detail17trampoline_kernelINS0_14default_configENS1_36segmented_radix_sort_config_selectorI6__halflEEZNS1_25segmented_radix_sort_implIS3_Lb1EPKS5_PS5_PKlPlN2at6native12_GLOBAL__N_18offset_tEEE10hipError_tPvRmT1_PNSt15iterator_traitsISL_E10value_typeET2_T3_PNSM_ISR_E10value_typeET4_jRbjT5_SX_jjP12ihipStream_tbEUlT_E1_NS1_11comp_targetILNS1_3genE10ELNS1_11target_archE1201ELNS1_3gpuE5ELNS1_3repE0EEENS1_59segmented_radix_sort_warp_sort_small_config_static_selectorELNS0_4arch9wavefront6targetE0EEEvSL_.has_recursion, or(0, .L_ZN7rocprim17ROCPRIM_400000_NS6detail26segmented_warp_sort_helperINS1_20WarpSortHelperConfigILj8ELj4ELj256EEE6__halflLi256ELb1EvE4sortIPKS5_PS5_PKlPlEEvT_SA_T0_T1_SD_T2_bjjjjRNS6_12storage_typeE.has_recursion)
	.set _ZN7rocprim17ROCPRIM_400000_NS6detail17trampoline_kernelINS0_14default_configENS1_36segmented_radix_sort_config_selectorI6__halflEEZNS1_25segmented_radix_sort_implIS3_Lb1EPKS5_PS5_PKlPlN2at6native12_GLOBAL__N_18offset_tEEE10hipError_tPvRmT1_PNSt15iterator_traitsISL_E10value_typeET2_T3_PNSM_ISR_E10value_typeET4_jRbjT5_SX_jjP12ihipStream_tbEUlT_E1_NS1_11comp_targetILNS1_3genE10ELNS1_11target_archE1201ELNS1_3gpuE5ELNS1_3repE0EEENS1_59segmented_radix_sort_warp_sort_small_config_static_selectorELNS0_4arch9wavefront6targetE0EEEvSL_.has_indirect_call, or(0, .L_ZN7rocprim17ROCPRIM_400000_NS6detail26segmented_warp_sort_helperINS1_20WarpSortHelperConfigILj8ELj4ELj256EEE6__halflLi256ELb1EvE4sortIPKS5_PS5_PKlPlEEvT_SA_T0_T1_SD_T2_bjjjjRNS6_12storage_typeE.has_indirect_call)
	.section	.AMDGPU.csdata,"",@progbits
; Kernel info:
; codeLenInByte = 388
; TotalNumSgprs: 35
; NumVgprs: 66
; ScratchSize: 0
; MemoryBound: 0
; FloatMode: 240
; IeeeMode: 1
; LDSByteSize: 10240 bytes/workgroup (compile time only)
; SGPRBlocks: 0
; VGPRBlocks: 8
; NumSGPRsForWavesPerEU: 35
; NumVGPRsForWavesPerEU: 66
; Occupancy: 16
; WaveLimiterHint : 0
; COMPUTE_PGM_RSRC2:SCRATCH_EN: 0
; COMPUTE_PGM_RSRC2:USER_SGPR: 2
; COMPUTE_PGM_RSRC2:TRAP_HANDLER: 0
; COMPUTE_PGM_RSRC2:TGID_X_EN: 1
; COMPUTE_PGM_RSRC2:TGID_Y_EN: 1
; COMPUTE_PGM_RSRC2:TGID_Z_EN: 0
; COMPUTE_PGM_RSRC2:TIDIG_COMP_CNT: 2
	.section	.text._ZN7rocprim17ROCPRIM_400000_NS6detail17trampoline_kernelINS0_14default_configENS1_36segmented_radix_sort_config_selectorI6__halflEEZNS1_25segmented_radix_sort_implIS3_Lb1EPKS5_PS5_PKlPlN2at6native12_GLOBAL__N_18offset_tEEE10hipError_tPvRmT1_PNSt15iterator_traitsISL_E10value_typeET2_T3_PNSM_ISR_E10value_typeET4_jRbjT5_SX_jjP12ihipStream_tbEUlT_E1_NS1_11comp_targetILNS1_3genE10ELNS1_11target_archE1200ELNS1_3gpuE4ELNS1_3repE0EEENS1_59segmented_radix_sort_warp_sort_small_config_static_selectorELNS0_4arch9wavefront6targetE0EEEvSL_,"axG",@progbits,_ZN7rocprim17ROCPRIM_400000_NS6detail17trampoline_kernelINS0_14default_configENS1_36segmented_radix_sort_config_selectorI6__halflEEZNS1_25segmented_radix_sort_implIS3_Lb1EPKS5_PS5_PKlPlN2at6native12_GLOBAL__N_18offset_tEEE10hipError_tPvRmT1_PNSt15iterator_traitsISL_E10value_typeET2_T3_PNSM_ISR_E10value_typeET4_jRbjT5_SX_jjP12ihipStream_tbEUlT_E1_NS1_11comp_targetILNS1_3genE10ELNS1_11target_archE1200ELNS1_3gpuE4ELNS1_3repE0EEENS1_59segmented_radix_sort_warp_sort_small_config_static_selectorELNS0_4arch9wavefront6targetE0EEEvSL_,comdat
	.globl	_ZN7rocprim17ROCPRIM_400000_NS6detail17trampoline_kernelINS0_14default_configENS1_36segmented_radix_sort_config_selectorI6__halflEEZNS1_25segmented_radix_sort_implIS3_Lb1EPKS5_PS5_PKlPlN2at6native12_GLOBAL__N_18offset_tEEE10hipError_tPvRmT1_PNSt15iterator_traitsISL_E10value_typeET2_T3_PNSM_ISR_E10value_typeET4_jRbjT5_SX_jjP12ihipStream_tbEUlT_E1_NS1_11comp_targetILNS1_3genE10ELNS1_11target_archE1200ELNS1_3gpuE4ELNS1_3repE0EEENS1_59segmented_radix_sort_warp_sort_small_config_static_selectorELNS0_4arch9wavefront6targetE0EEEvSL_ ; -- Begin function _ZN7rocprim17ROCPRIM_400000_NS6detail17trampoline_kernelINS0_14default_configENS1_36segmented_radix_sort_config_selectorI6__halflEEZNS1_25segmented_radix_sort_implIS3_Lb1EPKS5_PS5_PKlPlN2at6native12_GLOBAL__N_18offset_tEEE10hipError_tPvRmT1_PNSt15iterator_traitsISL_E10value_typeET2_T3_PNSM_ISR_E10value_typeET4_jRbjT5_SX_jjP12ihipStream_tbEUlT_E1_NS1_11comp_targetILNS1_3genE10ELNS1_11target_archE1200ELNS1_3gpuE4ELNS1_3repE0EEENS1_59segmented_radix_sort_warp_sort_small_config_static_selectorELNS0_4arch9wavefront6targetE0EEEvSL_
	.p2align	8
	.type	_ZN7rocprim17ROCPRIM_400000_NS6detail17trampoline_kernelINS0_14default_configENS1_36segmented_radix_sort_config_selectorI6__halflEEZNS1_25segmented_radix_sort_implIS3_Lb1EPKS5_PS5_PKlPlN2at6native12_GLOBAL__N_18offset_tEEE10hipError_tPvRmT1_PNSt15iterator_traitsISL_E10value_typeET2_T3_PNSM_ISR_E10value_typeET4_jRbjT5_SX_jjP12ihipStream_tbEUlT_E1_NS1_11comp_targetILNS1_3genE10ELNS1_11target_archE1200ELNS1_3gpuE4ELNS1_3repE0EEENS1_59segmented_radix_sort_warp_sort_small_config_static_selectorELNS0_4arch9wavefront6targetE0EEEvSL_,@function
_ZN7rocprim17ROCPRIM_400000_NS6detail17trampoline_kernelINS0_14default_configENS1_36segmented_radix_sort_config_selectorI6__halflEEZNS1_25segmented_radix_sort_implIS3_Lb1EPKS5_PS5_PKlPlN2at6native12_GLOBAL__N_18offset_tEEE10hipError_tPvRmT1_PNSt15iterator_traitsISL_E10value_typeET2_T3_PNSM_ISR_E10value_typeET4_jRbjT5_SX_jjP12ihipStream_tbEUlT_E1_NS1_11comp_targetILNS1_3genE10ELNS1_11target_archE1200ELNS1_3gpuE4ELNS1_3repE0EEENS1_59segmented_radix_sort_warp_sort_small_config_static_selectorELNS0_4arch9wavefront6targetE0EEEvSL_: ; @_ZN7rocprim17ROCPRIM_400000_NS6detail17trampoline_kernelINS0_14default_configENS1_36segmented_radix_sort_config_selectorI6__halflEEZNS1_25segmented_radix_sort_implIS3_Lb1EPKS5_PS5_PKlPlN2at6native12_GLOBAL__N_18offset_tEEE10hipError_tPvRmT1_PNSt15iterator_traitsISL_E10value_typeET2_T3_PNSM_ISR_E10value_typeET4_jRbjT5_SX_jjP12ihipStream_tbEUlT_E1_NS1_11comp_targetILNS1_3genE10ELNS1_11target_archE1200ELNS1_3gpuE4ELNS1_3repE0EEENS1_59segmented_radix_sort_warp_sort_small_config_static_selectorELNS0_4arch9wavefront6targetE0EEEvSL_
; %bb.0:
	.section	.rodata,"a",@progbits
	.p2align	6, 0x0
	.amdhsa_kernel _ZN7rocprim17ROCPRIM_400000_NS6detail17trampoline_kernelINS0_14default_configENS1_36segmented_radix_sort_config_selectorI6__halflEEZNS1_25segmented_radix_sort_implIS3_Lb1EPKS5_PS5_PKlPlN2at6native12_GLOBAL__N_18offset_tEEE10hipError_tPvRmT1_PNSt15iterator_traitsISL_E10value_typeET2_T3_PNSM_ISR_E10value_typeET4_jRbjT5_SX_jjP12ihipStream_tbEUlT_E1_NS1_11comp_targetILNS1_3genE10ELNS1_11target_archE1200ELNS1_3gpuE4ELNS1_3repE0EEENS1_59segmented_radix_sort_warp_sort_small_config_static_selectorELNS0_4arch9wavefront6targetE0EEEvSL_
		.amdhsa_group_segment_fixed_size 0
		.amdhsa_private_segment_fixed_size 0
		.amdhsa_kernarg_size 88
		.amdhsa_user_sgpr_count 2
		.amdhsa_user_sgpr_dispatch_ptr 0
		.amdhsa_user_sgpr_queue_ptr 0
		.amdhsa_user_sgpr_kernarg_segment_ptr 1
		.amdhsa_user_sgpr_dispatch_id 0
		.amdhsa_user_sgpr_private_segment_size 0
		.amdhsa_wavefront_size32 1
		.amdhsa_uses_dynamic_stack 0
		.amdhsa_enable_private_segment 0
		.amdhsa_system_sgpr_workgroup_id_x 1
		.amdhsa_system_sgpr_workgroup_id_y 0
		.amdhsa_system_sgpr_workgroup_id_z 0
		.amdhsa_system_sgpr_workgroup_info 0
		.amdhsa_system_vgpr_workitem_id 0
		.amdhsa_next_free_vgpr 1
		.amdhsa_next_free_sgpr 1
		.amdhsa_reserve_vcc 0
		.amdhsa_float_round_mode_32 0
		.amdhsa_float_round_mode_16_64 0
		.amdhsa_float_denorm_mode_32 3
		.amdhsa_float_denorm_mode_16_64 3
		.amdhsa_fp16_overflow 0
		.amdhsa_workgroup_processor_mode 1
		.amdhsa_memory_ordered 1
		.amdhsa_forward_progress 1
		.amdhsa_inst_pref_size 0
		.amdhsa_round_robin_scheduling 0
		.amdhsa_exception_fp_ieee_invalid_op 0
		.amdhsa_exception_fp_denorm_src 0
		.amdhsa_exception_fp_ieee_div_zero 0
		.amdhsa_exception_fp_ieee_overflow 0
		.amdhsa_exception_fp_ieee_underflow 0
		.amdhsa_exception_fp_ieee_inexact 0
		.amdhsa_exception_int_div_zero 0
	.end_amdhsa_kernel
	.section	.text._ZN7rocprim17ROCPRIM_400000_NS6detail17trampoline_kernelINS0_14default_configENS1_36segmented_radix_sort_config_selectorI6__halflEEZNS1_25segmented_radix_sort_implIS3_Lb1EPKS5_PS5_PKlPlN2at6native12_GLOBAL__N_18offset_tEEE10hipError_tPvRmT1_PNSt15iterator_traitsISL_E10value_typeET2_T3_PNSM_ISR_E10value_typeET4_jRbjT5_SX_jjP12ihipStream_tbEUlT_E1_NS1_11comp_targetILNS1_3genE10ELNS1_11target_archE1200ELNS1_3gpuE4ELNS1_3repE0EEENS1_59segmented_radix_sort_warp_sort_small_config_static_selectorELNS0_4arch9wavefront6targetE0EEEvSL_,"axG",@progbits,_ZN7rocprim17ROCPRIM_400000_NS6detail17trampoline_kernelINS0_14default_configENS1_36segmented_radix_sort_config_selectorI6__halflEEZNS1_25segmented_radix_sort_implIS3_Lb1EPKS5_PS5_PKlPlN2at6native12_GLOBAL__N_18offset_tEEE10hipError_tPvRmT1_PNSt15iterator_traitsISL_E10value_typeET2_T3_PNSM_ISR_E10value_typeET4_jRbjT5_SX_jjP12ihipStream_tbEUlT_E1_NS1_11comp_targetILNS1_3genE10ELNS1_11target_archE1200ELNS1_3gpuE4ELNS1_3repE0EEENS1_59segmented_radix_sort_warp_sort_small_config_static_selectorELNS0_4arch9wavefront6targetE0EEEvSL_,comdat
.Lfunc_end1766:
	.size	_ZN7rocprim17ROCPRIM_400000_NS6detail17trampoline_kernelINS0_14default_configENS1_36segmented_radix_sort_config_selectorI6__halflEEZNS1_25segmented_radix_sort_implIS3_Lb1EPKS5_PS5_PKlPlN2at6native12_GLOBAL__N_18offset_tEEE10hipError_tPvRmT1_PNSt15iterator_traitsISL_E10value_typeET2_T3_PNSM_ISR_E10value_typeET4_jRbjT5_SX_jjP12ihipStream_tbEUlT_E1_NS1_11comp_targetILNS1_3genE10ELNS1_11target_archE1200ELNS1_3gpuE4ELNS1_3repE0EEENS1_59segmented_radix_sort_warp_sort_small_config_static_selectorELNS0_4arch9wavefront6targetE0EEEvSL_, .Lfunc_end1766-_ZN7rocprim17ROCPRIM_400000_NS6detail17trampoline_kernelINS0_14default_configENS1_36segmented_radix_sort_config_selectorI6__halflEEZNS1_25segmented_radix_sort_implIS3_Lb1EPKS5_PS5_PKlPlN2at6native12_GLOBAL__N_18offset_tEEE10hipError_tPvRmT1_PNSt15iterator_traitsISL_E10value_typeET2_T3_PNSM_ISR_E10value_typeET4_jRbjT5_SX_jjP12ihipStream_tbEUlT_E1_NS1_11comp_targetILNS1_3genE10ELNS1_11target_archE1200ELNS1_3gpuE4ELNS1_3repE0EEENS1_59segmented_radix_sort_warp_sort_small_config_static_selectorELNS0_4arch9wavefront6targetE0EEEvSL_
                                        ; -- End function
	.set _ZN7rocprim17ROCPRIM_400000_NS6detail17trampoline_kernelINS0_14default_configENS1_36segmented_radix_sort_config_selectorI6__halflEEZNS1_25segmented_radix_sort_implIS3_Lb1EPKS5_PS5_PKlPlN2at6native12_GLOBAL__N_18offset_tEEE10hipError_tPvRmT1_PNSt15iterator_traitsISL_E10value_typeET2_T3_PNSM_ISR_E10value_typeET4_jRbjT5_SX_jjP12ihipStream_tbEUlT_E1_NS1_11comp_targetILNS1_3genE10ELNS1_11target_archE1200ELNS1_3gpuE4ELNS1_3repE0EEENS1_59segmented_radix_sort_warp_sort_small_config_static_selectorELNS0_4arch9wavefront6targetE0EEEvSL_.num_vgpr, 0
	.set _ZN7rocprim17ROCPRIM_400000_NS6detail17trampoline_kernelINS0_14default_configENS1_36segmented_radix_sort_config_selectorI6__halflEEZNS1_25segmented_radix_sort_implIS3_Lb1EPKS5_PS5_PKlPlN2at6native12_GLOBAL__N_18offset_tEEE10hipError_tPvRmT1_PNSt15iterator_traitsISL_E10value_typeET2_T3_PNSM_ISR_E10value_typeET4_jRbjT5_SX_jjP12ihipStream_tbEUlT_E1_NS1_11comp_targetILNS1_3genE10ELNS1_11target_archE1200ELNS1_3gpuE4ELNS1_3repE0EEENS1_59segmented_radix_sort_warp_sort_small_config_static_selectorELNS0_4arch9wavefront6targetE0EEEvSL_.num_agpr, 0
	.set _ZN7rocprim17ROCPRIM_400000_NS6detail17trampoline_kernelINS0_14default_configENS1_36segmented_radix_sort_config_selectorI6__halflEEZNS1_25segmented_radix_sort_implIS3_Lb1EPKS5_PS5_PKlPlN2at6native12_GLOBAL__N_18offset_tEEE10hipError_tPvRmT1_PNSt15iterator_traitsISL_E10value_typeET2_T3_PNSM_ISR_E10value_typeET4_jRbjT5_SX_jjP12ihipStream_tbEUlT_E1_NS1_11comp_targetILNS1_3genE10ELNS1_11target_archE1200ELNS1_3gpuE4ELNS1_3repE0EEENS1_59segmented_radix_sort_warp_sort_small_config_static_selectorELNS0_4arch9wavefront6targetE0EEEvSL_.numbered_sgpr, 0
	.set _ZN7rocprim17ROCPRIM_400000_NS6detail17trampoline_kernelINS0_14default_configENS1_36segmented_radix_sort_config_selectorI6__halflEEZNS1_25segmented_radix_sort_implIS3_Lb1EPKS5_PS5_PKlPlN2at6native12_GLOBAL__N_18offset_tEEE10hipError_tPvRmT1_PNSt15iterator_traitsISL_E10value_typeET2_T3_PNSM_ISR_E10value_typeET4_jRbjT5_SX_jjP12ihipStream_tbEUlT_E1_NS1_11comp_targetILNS1_3genE10ELNS1_11target_archE1200ELNS1_3gpuE4ELNS1_3repE0EEENS1_59segmented_radix_sort_warp_sort_small_config_static_selectorELNS0_4arch9wavefront6targetE0EEEvSL_.num_named_barrier, 0
	.set _ZN7rocprim17ROCPRIM_400000_NS6detail17trampoline_kernelINS0_14default_configENS1_36segmented_radix_sort_config_selectorI6__halflEEZNS1_25segmented_radix_sort_implIS3_Lb1EPKS5_PS5_PKlPlN2at6native12_GLOBAL__N_18offset_tEEE10hipError_tPvRmT1_PNSt15iterator_traitsISL_E10value_typeET2_T3_PNSM_ISR_E10value_typeET4_jRbjT5_SX_jjP12ihipStream_tbEUlT_E1_NS1_11comp_targetILNS1_3genE10ELNS1_11target_archE1200ELNS1_3gpuE4ELNS1_3repE0EEENS1_59segmented_radix_sort_warp_sort_small_config_static_selectorELNS0_4arch9wavefront6targetE0EEEvSL_.private_seg_size, 0
	.set _ZN7rocprim17ROCPRIM_400000_NS6detail17trampoline_kernelINS0_14default_configENS1_36segmented_radix_sort_config_selectorI6__halflEEZNS1_25segmented_radix_sort_implIS3_Lb1EPKS5_PS5_PKlPlN2at6native12_GLOBAL__N_18offset_tEEE10hipError_tPvRmT1_PNSt15iterator_traitsISL_E10value_typeET2_T3_PNSM_ISR_E10value_typeET4_jRbjT5_SX_jjP12ihipStream_tbEUlT_E1_NS1_11comp_targetILNS1_3genE10ELNS1_11target_archE1200ELNS1_3gpuE4ELNS1_3repE0EEENS1_59segmented_radix_sort_warp_sort_small_config_static_selectorELNS0_4arch9wavefront6targetE0EEEvSL_.uses_vcc, 0
	.set _ZN7rocprim17ROCPRIM_400000_NS6detail17trampoline_kernelINS0_14default_configENS1_36segmented_radix_sort_config_selectorI6__halflEEZNS1_25segmented_radix_sort_implIS3_Lb1EPKS5_PS5_PKlPlN2at6native12_GLOBAL__N_18offset_tEEE10hipError_tPvRmT1_PNSt15iterator_traitsISL_E10value_typeET2_T3_PNSM_ISR_E10value_typeET4_jRbjT5_SX_jjP12ihipStream_tbEUlT_E1_NS1_11comp_targetILNS1_3genE10ELNS1_11target_archE1200ELNS1_3gpuE4ELNS1_3repE0EEENS1_59segmented_radix_sort_warp_sort_small_config_static_selectorELNS0_4arch9wavefront6targetE0EEEvSL_.uses_flat_scratch, 0
	.set _ZN7rocprim17ROCPRIM_400000_NS6detail17trampoline_kernelINS0_14default_configENS1_36segmented_radix_sort_config_selectorI6__halflEEZNS1_25segmented_radix_sort_implIS3_Lb1EPKS5_PS5_PKlPlN2at6native12_GLOBAL__N_18offset_tEEE10hipError_tPvRmT1_PNSt15iterator_traitsISL_E10value_typeET2_T3_PNSM_ISR_E10value_typeET4_jRbjT5_SX_jjP12ihipStream_tbEUlT_E1_NS1_11comp_targetILNS1_3genE10ELNS1_11target_archE1200ELNS1_3gpuE4ELNS1_3repE0EEENS1_59segmented_radix_sort_warp_sort_small_config_static_selectorELNS0_4arch9wavefront6targetE0EEEvSL_.has_dyn_sized_stack, 0
	.set _ZN7rocprim17ROCPRIM_400000_NS6detail17trampoline_kernelINS0_14default_configENS1_36segmented_radix_sort_config_selectorI6__halflEEZNS1_25segmented_radix_sort_implIS3_Lb1EPKS5_PS5_PKlPlN2at6native12_GLOBAL__N_18offset_tEEE10hipError_tPvRmT1_PNSt15iterator_traitsISL_E10value_typeET2_T3_PNSM_ISR_E10value_typeET4_jRbjT5_SX_jjP12ihipStream_tbEUlT_E1_NS1_11comp_targetILNS1_3genE10ELNS1_11target_archE1200ELNS1_3gpuE4ELNS1_3repE0EEENS1_59segmented_radix_sort_warp_sort_small_config_static_selectorELNS0_4arch9wavefront6targetE0EEEvSL_.has_recursion, 0
	.set _ZN7rocprim17ROCPRIM_400000_NS6detail17trampoline_kernelINS0_14default_configENS1_36segmented_radix_sort_config_selectorI6__halflEEZNS1_25segmented_radix_sort_implIS3_Lb1EPKS5_PS5_PKlPlN2at6native12_GLOBAL__N_18offset_tEEE10hipError_tPvRmT1_PNSt15iterator_traitsISL_E10value_typeET2_T3_PNSM_ISR_E10value_typeET4_jRbjT5_SX_jjP12ihipStream_tbEUlT_E1_NS1_11comp_targetILNS1_3genE10ELNS1_11target_archE1200ELNS1_3gpuE4ELNS1_3repE0EEENS1_59segmented_radix_sort_warp_sort_small_config_static_selectorELNS0_4arch9wavefront6targetE0EEEvSL_.has_indirect_call, 0
	.section	.AMDGPU.csdata,"",@progbits
; Kernel info:
; codeLenInByte = 0
; TotalNumSgprs: 0
; NumVgprs: 0
; ScratchSize: 0
; MemoryBound: 0
; FloatMode: 240
; IeeeMode: 1
; LDSByteSize: 0 bytes/workgroup (compile time only)
; SGPRBlocks: 0
; VGPRBlocks: 0
; NumSGPRsForWavesPerEU: 1
; NumVGPRsForWavesPerEU: 1
; Occupancy: 16
; WaveLimiterHint : 0
; COMPUTE_PGM_RSRC2:SCRATCH_EN: 0
; COMPUTE_PGM_RSRC2:USER_SGPR: 2
; COMPUTE_PGM_RSRC2:TRAP_HANDLER: 0
; COMPUTE_PGM_RSRC2:TGID_X_EN: 1
; COMPUTE_PGM_RSRC2:TGID_Y_EN: 0
; COMPUTE_PGM_RSRC2:TGID_Z_EN: 0
; COMPUTE_PGM_RSRC2:TIDIG_COMP_CNT: 0
	.section	.text._ZN7rocprim17ROCPRIM_400000_NS6detail17trampoline_kernelINS0_14default_configENS1_36segmented_radix_sort_config_selectorI6__halflEEZNS1_25segmented_radix_sort_implIS3_Lb1EPKS5_PS5_PKlPlN2at6native12_GLOBAL__N_18offset_tEEE10hipError_tPvRmT1_PNSt15iterator_traitsISL_E10value_typeET2_T3_PNSM_ISR_E10value_typeET4_jRbjT5_SX_jjP12ihipStream_tbEUlT_E1_NS1_11comp_targetILNS1_3genE9ELNS1_11target_archE1100ELNS1_3gpuE3ELNS1_3repE0EEENS1_59segmented_radix_sort_warp_sort_small_config_static_selectorELNS0_4arch9wavefront6targetE0EEEvSL_,"axG",@progbits,_ZN7rocprim17ROCPRIM_400000_NS6detail17trampoline_kernelINS0_14default_configENS1_36segmented_radix_sort_config_selectorI6__halflEEZNS1_25segmented_radix_sort_implIS3_Lb1EPKS5_PS5_PKlPlN2at6native12_GLOBAL__N_18offset_tEEE10hipError_tPvRmT1_PNSt15iterator_traitsISL_E10value_typeET2_T3_PNSM_ISR_E10value_typeET4_jRbjT5_SX_jjP12ihipStream_tbEUlT_E1_NS1_11comp_targetILNS1_3genE9ELNS1_11target_archE1100ELNS1_3gpuE3ELNS1_3repE0EEENS1_59segmented_radix_sort_warp_sort_small_config_static_selectorELNS0_4arch9wavefront6targetE0EEEvSL_,comdat
	.globl	_ZN7rocprim17ROCPRIM_400000_NS6detail17trampoline_kernelINS0_14default_configENS1_36segmented_radix_sort_config_selectorI6__halflEEZNS1_25segmented_radix_sort_implIS3_Lb1EPKS5_PS5_PKlPlN2at6native12_GLOBAL__N_18offset_tEEE10hipError_tPvRmT1_PNSt15iterator_traitsISL_E10value_typeET2_T3_PNSM_ISR_E10value_typeET4_jRbjT5_SX_jjP12ihipStream_tbEUlT_E1_NS1_11comp_targetILNS1_3genE9ELNS1_11target_archE1100ELNS1_3gpuE3ELNS1_3repE0EEENS1_59segmented_radix_sort_warp_sort_small_config_static_selectorELNS0_4arch9wavefront6targetE0EEEvSL_ ; -- Begin function _ZN7rocprim17ROCPRIM_400000_NS6detail17trampoline_kernelINS0_14default_configENS1_36segmented_radix_sort_config_selectorI6__halflEEZNS1_25segmented_radix_sort_implIS3_Lb1EPKS5_PS5_PKlPlN2at6native12_GLOBAL__N_18offset_tEEE10hipError_tPvRmT1_PNSt15iterator_traitsISL_E10value_typeET2_T3_PNSM_ISR_E10value_typeET4_jRbjT5_SX_jjP12ihipStream_tbEUlT_E1_NS1_11comp_targetILNS1_3genE9ELNS1_11target_archE1100ELNS1_3gpuE3ELNS1_3repE0EEENS1_59segmented_radix_sort_warp_sort_small_config_static_selectorELNS0_4arch9wavefront6targetE0EEEvSL_
	.p2align	8
	.type	_ZN7rocprim17ROCPRIM_400000_NS6detail17trampoline_kernelINS0_14default_configENS1_36segmented_radix_sort_config_selectorI6__halflEEZNS1_25segmented_radix_sort_implIS3_Lb1EPKS5_PS5_PKlPlN2at6native12_GLOBAL__N_18offset_tEEE10hipError_tPvRmT1_PNSt15iterator_traitsISL_E10value_typeET2_T3_PNSM_ISR_E10value_typeET4_jRbjT5_SX_jjP12ihipStream_tbEUlT_E1_NS1_11comp_targetILNS1_3genE9ELNS1_11target_archE1100ELNS1_3gpuE3ELNS1_3repE0EEENS1_59segmented_radix_sort_warp_sort_small_config_static_selectorELNS0_4arch9wavefront6targetE0EEEvSL_,@function
_ZN7rocprim17ROCPRIM_400000_NS6detail17trampoline_kernelINS0_14default_configENS1_36segmented_radix_sort_config_selectorI6__halflEEZNS1_25segmented_radix_sort_implIS3_Lb1EPKS5_PS5_PKlPlN2at6native12_GLOBAL__N_18offset_tEEE10hipError_tPvRmT1_PNSt15iterator_traitsISL_E10value_typeET2_T3_PNSM_ISR_E10value_typeET4_jRbjT5_SX_jjP12ihipStream_tbEUlT_E1_NS1_11comp_targetILNS1_3genE9ELNS1_11target_archE1100ELNS1_3gpuE3ELNS1_3repE0EEENS1_59segmented_radix_sort_warp_sort_small_config_static_selectorELNS0_4arch9wavefront6targetE0EEEvSL_: ; @_ZN7rocprim17ROCPRIM_400000_NS6detail17trampoline_kernelINS0_14default_configENS1_36segmented_radix_sort_config_selectorI6__halflEEZNS1_25segmented_radix_sort_implIS3_Lb1EPKS5_PS5_PKlPlN2at6native12_GLOBAL__N_18offset_tEEE10hipError_tPvRmT1_PNSt15iterator_traitsISL_E10value_typeET2_T3_PNSM_ISR_E10value_typeET4_jRbjT5_SX_jjP12ihipStream_tbEUlT_E1_NS1_11comp_targetILNS1_3genE9ELNS1_11target_archE1100ELNS1_3gpuE3ELNS1_3repE0EEENS1_59segmented_radix_sort_warp_sort_small_config_static_selectorELNS0_4arch9wavefront6targetE0EEEvSL_
; %bb.0:
	.section	.rodata,"a",@progbits
	.p2align	6, 0x0
	.amdhsa_kernel _ZN7rocprim17ROCPRIM_400000_NS6detail17trampoline_kernelINS0_14default_configENS1_36segmented_radix_sort_config_selectorI6__halflEEZNS1_25segmented_radix_sort_implIS3_Lb1EPKS5_PS5_PKlPlN2at6native12_GLOBAL__N_18offset_tEEE10hipError_tPvRmT1_PNSt15iterator_traitsISL_E10value_typeET2_T3_PNSM_ISR_E10value_typeET4_jRbjT5_SX_jjP12ihipStream_tbEUlT_E1_NS1_11comp_targetILNS1_3genE9ELNS1_11target_archE1100ELNS1_3gpuE3ELNS1_3repE0EEENS1_59segmented_radix_sort_warp_sort_small_config_static_selectorELNS0_4arch9wavefront6targetE0EEEvSL_
		.amdhsa_group_segment_fixed_size 0
		.amdhsa_private_segment_fixed_size 0
		.amdhsa_kernarg_size 88
		.amdhsa_user_sgpr_count 2
		.amdhsa_user_sgpr_dispatch_ptr 0
		.amdhsa_user_sgpr_queue_ptr 0
		.amdhsa_user_sgpr_kernarg_segment_ptr 1
		.amdhsa_user_sgpr_dispatch_id 0
		.amdhsa_user_sgpr_private_segment_size 0
		.amdhsa_wavefront_size32 1
		.amdhsa_uses_dynamic_stack 0
		.amdhsa_enable_private_segment 0
		.amdhsa_system_sgpr_workgroup_id_x 1
		.amdhsa_system_sgpr_workgroup_id_y 0
		.amdhsa_system_sgpr_workgroup_id_z 0
		.amdhsa_system_sgpr_workgroup_info 0
		.amdhsa_system_vgpr_workitem_id 0
		.amdhsa_next_free_vgpr 1
		.amdhsa_next_free_sgpr 1
		.amdhsa_reserve_vcc 0
		.amdhsa_float_round_mode_32 0
		.amdhsa_float_round_mode_16_64 0
		.amdhsa_float_denorm_mode_32 3
		.amdhsa_float_denorm_mode_16_64 3
		.amdhsa_fp16_overflow 0
		.amdhsa_workgroup_processor_mode 1
		.amdhsa_memory_ordered 1
		.amdhsa_forward_progress 1
		.amdhsa_inst_pref_size 0
		.amdhsa_round_robin_scheduling 0
		.amdhsa_exception_fp_ieee_invalid_op 0
		.amdhsa_exception_fp_denorm_src 0
		.amdhsa_exception_fp_ieee_div_zero 0
		.amdhsa_exception_fp_ieee_overflow 0
		.amdhsa_exception_fp_ieee_underflow 0
		.amdhsa_exception_fp_ieee_inexact 0
		.amdhsa_exception_int_div_zero 0
	.end_amdhsa_kernel
	.section	.text._ZN7rocprim17ROCPRIM_400000_NS6detail17trampoline_kernelINS0_14default_configENS1_36segmented_radix_sort_config_selectorI6__halflEEZNS1_25segmented_radix_sort_implIS3_Lb1EPKS5_PS5_PKlPlN2at6native12_GLOBAL__N_18offset_tEEE10hipError_tPvRmT1_PNSt15iterator_traitsISL_E10value_typeET2_T3_PNSM_ISR_E10value_typeET4_jRbjT5_SX_jjP12ihipStream_tbEUlT_E1_NS1_11comp_targetILNS1_3genE9ELNS1_11target_archE1100ELNS1_3gpuE3ELNS1_3repE0EEENS1_59segmented_radix_sort_warp_sort_small_config_static_selectorELNS0_4arch9wavefront6targetE0EEEvSL_,"axG",@progbits,_ZN7rocprim17ROCPRIM_400000_NS6detail17trampoline_kernelINS0_14default_configENS1_36segmented_radix_sort_config_selectorI6__halflEEZNS1_25segmented_radix_sort_implIS3_Lb1EPKS5_PS5_PKlPlN2at6native12_GLOBAL__N_18offset_tEEE10hipError_tPvRmT1_PNSt15iterator_traitsISL_E10value_typeET2_T3_PNSM_ISR_E10value_typeET4_jRbjT5_SX_jjP12ihipStream_tbEUlT_E1_NS1_11comp_targetILNS1_3genE9ELNS1_11target_archE1100ELNS1_3gpuE3ELNS1_3repE0EEENS1_59segmented_radix_sort_warp_sort_small_config_static_selectorELNS0_4arch9wavefront6targetE0EEEvSL_,comdat
.Lfunc_end1767:
	.size	_ZN7rocprim17ROCPRIM_400000_NS6detail17trampoline_kernelINS0_14default_configENS1_36segmented_radix_sort_config_selectorI6__halflEEZNS1_25segmented_radix_sort_implIS3_Lb1EPKS5_PS5_PKlPlN2at6native12_GLOBAL__N_18offset_tEEE10hipError_tPvRmT1_PNSt15iterator_traitsISL_E10value_typeET2_T3_PNSM_ISR_E10value_typeET4_jRbjT5_SX_jjP12ihipStream_tbEUlT_E1_NS1_11comp_targetILNS1_3genE9ELNS1_11target_archE1100ELNS1_3gpuE3ELNS1_3repE0EEENS1_59segmented_radix_sort_warp_sort_small_config_static_selectorELNS0_4arch9wavefront6targetE0EEEvSL_, .Lfunc_end1767-_ZN7rocprim17ROCPRIM_400000_NS6detail17trampoline_kernelINS0_14default_configENS1_36segmented_radix_sort_config_selectorI6__halflEEZNS1_25segmented_radix_sort_implIS3_Lb1EPKS5_PS5_PKlPlN2at6native12_GLOBAL__N_18offset_tEEE10hipError_tPvRmT1_PNSt15iterator_traitsISL_E10value_typeET2_T3_PNSM_ISR_E10value_typeET4_jRbjT5_SX_jjP12ihipStream_tbEUlT_E1_NS1_11comp_targetILNS1_3genE9ELNS1_11target_archE1100ELNS1_3gpuE3ELNS1_3repE0EEENS1_59segmented_radix_sort_warp_sort_small_config_static_selectorELNS0_4arch9wavefront6targetE0EEEvSL_
                                        ; -- End function
	.set _ZN7rocprim17ROCPRIM_400000_NS6detail17trampoline_kernelINS0_14default_configENS1_36segmented_radix_sort_config_selectorI6__halflEEZNS1_25segmented_radix_sort_implIS3_Lb1EPKS5_PS5_PKlPlN2at6native12_GLOBAL__N_18offset_tEEE10hipError_tPvRmT1_PNSt15iterator_traitsISL_E10value_typeET2_T3_PNSM_ISR_E10value_typeET4_jRbjT5_SX_jjP12ihipStream_tbEUlT_E1_NS1_11comp_targetILNS1_3genE9ELNS1_11target_archE1100ELNS1_3gpuE3ELNS1_3repE0EEENS1_59segmented_radix_sort_warp_sort_small_config_static_selectorELNS0_4arch9wavefront6targetE0EEEvSL_.num_vgpr, 0
	.set _ZN7rocprim17ROCPRIM_400000_NS6detail17trampoline_kernelINS0_14default_configENS1_36segmented_radix_sort_config_selectorI6__halflEEZNS1_25segmented_radix_sort_implIS3_Lb1EPKS5_PS5_PKlPlN2at6native12_GLOBAL__N_18offset_tEEE10hipError_tPvRmT1_PNSt15iterator_traitsISL_E10value_typeET2_T3_PNSM_ISR_E10value_typeET4_jRbjT5_SX_jjP12ihipStream_tbEUlT_E1_NS1_11comp_targetILNS1_3genE9ELNS1_11target_archE1100ELNS1_3gpuE3ELNS1_3repE0EEENS1_59segmented_radix_sort_warp_sort_small_config_static_selectorELNS0_4arch9wavefront6targetE0EEEvSL_.num_agpr, 0
	.set _ZN7rocprim17ROCPRIM_400000_NS6detail17trampoline_kernelINS0_14default_configENS1_36segmented_radix_sort_config_selectorI6__halflEEZNS1_25segmented_radix_sort_implIS3_Lb1EPKS5_PS5_PKlPlN2at6native12_GLOBAL__N_18offset_tEEE10hipError_tPvRmT1_PNSt15iterator_traitsISL_E10value_typeET2_T3_PNSM_ISR_E10value_typeET4_jRbjT5_SX_jjP12ihipStream_tbEUlT_E1_NS1_11comp_targetILNS1_3genE9ELNS1_11target_archE1100ELNS1_3gpuE3ELNS1_3repE0EEENS1_59segmented_radix_sort_warp_sort_small_config_static_selectorELNS0_4arch9wavefront6targetE0EEEvSL_.numbered_sgpr, 0
	.set _ZN7rocprim17ROCPRIM_400000_NS6detail17trampoline_kernelINS0_14default_configENS1_36segmented_radix_sort_config_selectorI6__halflEEZNS1_25segmented_radix_sort_implIS3_Lb1EPKS5_PS5_PKlPlN2at6native12_GLOBAL__N_18offset_tEEE10hipError_tPvRmT1_PNSt15iterator_traitsISL_E10value_typeET2_T3_PNSM_ISR_E10value_typeET4_jRbjT5_SX_jjP12ihipStream_tbEUlT_E1_NS1_11comp_targetILNS1_3genE9ELNS1_11target_archE1100ELNS1_3gpuE3ELNS1_3repE0EEENS1_59segmented_radix_sort_warp_sort_small_config_static_selectorELNS0_4arch9wavefront6targetE0EEEvSL_.num_named_barrier, 0
	.set _ZN7rocprim17ROCPRIM_400000_NS6detail17trampoline_kernelINS0_14default_configENS1_36segmented_radix_sort_config_selectorI6__halflEEZNS1_25segmented_radix_sort_implIS3_Lb1EPKS5_PS5_PKlPlN2at6native12_GLOBAL__N_18offset_tEEE10hipError_tPvRmT1_PNSt15iterator_traitsISL_E10value_typeET2_T3_PNSM_ISR_E10value_typeET4_jRbjT5_SX_jjP12ihipStream_tbEUlT_E1_NS1_11comp_targetILNS1_3genE9ELNS1_11target_archE1100ELNS1_3gpuE3ELNS1_3repE0EEENS1_59segmented_radix_sort_warp_sort_small_config_static_selectorELNS0_4arch9wavefront6targetE0EEEvSL_.private_seg_size, 0
	.set _ZN7rocprim17ROCPRIM_400000_NS6detail17trampoline_kernelINS0_14default_configENS1_36segmented_radix_sort_config_selectorI6__halflEEZNS1_25segmented_radix_sort_implIS3_Lb1EPKS5_PS5_PKlPlN2at6native12_GLOBAL__N_18offset_tEEE10hipError_tPvRmT1_PNSt15iterator_traitsISL_E10value_typeET2_T3_PNSM_ISR_E10value_typeET4_jRbjT5_SX_jjP12ihipStream_tbEUlT_E1_NS1_11comp_targetILNS1_3genE9ELNS1_11target_archE1100ELNS1_3gpuE3ELNS1_3repE0EEENS1_59segmented_radix_sort_warp_sort_small_config_static_selectorELNS0_4arch9wavefront6targetE0EEEvSL_.uses_vcc, 0
	.set _ZN7rocprim17ROCPRIM_400000_NS6detail17trampoline_kernelINS0_14default_configENS1_36segmented_radix_sort_config_selectorI6__halflEEZNS1_25segmented_radix_sort_implIS3_Lb1EPKS5_PS5_PKlPlN2at6native12_GLOBAL__N_18offset_tEEE10hipError_tPvRmT1_PNSt15iterator_traitsISL_E10value_typeET2_T3_PNSM_ISR_E10value_typeET4_jRbjT5_SX_jjP12ihipStream_tbEUlT_E1_NS1_11comp_targetILNS1_3genE9ELNS1_11target_archE1100ELNS1_3gpuE3ELNS1_3repE0EEENS1_59segmented_radix_sort_warp_sort_small_config_static_selectorELNS0_4arch9wavefront6targetE0EEEvSL_.uses_flat_scratch, 0
	.set _ZN7rocprim17ROCPRIM_400000_NS6detail17trampoline_kernelINS0_14default_configENS1_36segmented_radix_sort_config_selectorI6__halflEEZNS1_25segmented_radix_sort_implIS3_Lb1EPKS5_PS5_PKlPlN2at6native12_GLOBAL__N_18offset_tEEE10hipError_tPvRmT1_PNSt15iterator_traitsISL_E10value_typeET2_T3_PNSM_ISR_E10value_typeET4_jRbjT5_SX_jjP12ihipStream_tbEUlT_E1_NS1_11comp_targetILNS1_3genE9ELNS1_11target_archE1100ELNS1_3gpuE3ELNS1_3repE0EEENS1_59segmented_radix_sort_warp_sort_small_config_static_selectorELNS0_4arch9wavefront6targetE0EEEvSL_.has_dyn_sized_stack, 0
	.set _ZN7rocprim17ROCPRIM_400000_NS6detail17trampoline_kernelINS0_14default_configENS1_36segmented_radix_sort_config_selectorI6__halflEEZNS1_25segmented_radix_sort_implIS3_Lb1EPKS5_PS5_PKlPlN2at6native12_GLOBAL__N_18offset_tEEE10hipError_tPvRmT1_PNSt15iterator_traitsISL_E10value_typeET2_T3_PNSM_ISR_E10value_typeET4_jRbjT5_SX_jjP12ihipStream_tbEUlT_E1_NS1_11comp_targetILNS1_3genE9ELNS1_11target_archE1100ELNS1_3gpuE3ELNS1_3repE0EEENS1_59segmented_radix_sort_warp_sort_small_config_static_selectorELNS0_4arch9wavefront6targetE0EEEvSL_.has_recursion, 0
	.set _ZN7rocprim17ROCPRIM_400000_NS6detail17trampoline_kernelINS0_14default_configENS1_36segmented_radix_sort_config_selectorI6__halflEEZNS1_25segmented_radix_sort_implIS3_Lb1EPKS5_PS5_PKlPlN2at6native12_GLOBAL__N_18offset_tEEE10hipError_tPvRmT1_PNSt15iterator_traitsISL_E10value_typeET2_T3_PNSM_ISR_E10value_typeET4_jRbjT5_SX_jjP12ihipStream_tbEUlT_E1_NS1_11comp_targetILNS1_3genE9ELNS1_11target_archE1100ELNS1_3gpuE3ELNS1_3repE0EEENS1_59segmented_radix_sort_warp_sort_small_config_static_selectorELNS0_4arch9wavefront6targetE0EEEvSL_.has_indirect_call, 0
	.section	.AMDGPU.csdata,"",@progbits
; Kernel info:
; codeLenInByte = 0
; TotalNumSgprs: 0
; NumVgprs: 0
; ScratchSize: 0
; MemoryBound: 0
; FloatMode: 240
; IeeeMode: 1
; LDSByteSize: 0 bytes/workgroup (compile time only)
; SGPRBlocks: 0
; VGPRBlocks: 0
; NumSGPRsForWavesPerEU: 1
; NumVGPRsForWavesPerEU: 1
; Occupancy: 16
; WaveLimiterHint : 0
; COMPUTE_PGM_RSRC2:SCRATCH_EN: 0
; COMPUTE_PGM_RSRC2:USER_SGPR: 2
; COMPUTE_PGM_RSRC2:TRAP_HANDLER: 0
; COMPUTE_PGM_RSRC2:TGID_X_EN: 1
; COMPUTE_PGM_RSRC2:TGID_Y_EN: 0
; COMPUTE_PGM_RSRC2:TGID_Z_EN: 0
; COMPUTE_PGM_RSRC2:TIDIG_COMP_CNT: 0
	.section	.text._ZN7rocprim17ROCPRIM_400000_NS6detail17trampoline_kernelINS0_14default_configENS1_36segmented_radix_sort_config_selectorI6__halflEEZNS1_25segmented_radix_sort_implIS3_Lb1EPKS5_PS5_PKlPlN2at6native12_GLOBAL__N_18offset_tEEE10hipError_tPvRmT1_PNSt15iterator_traitsISL_E10value_typeET2_T3_PNSM_ISR_E10value_typeET4_jRbjT5_SX_jjP12ihipStream_tbEUlT_E1_NS1_11comp_targetILNS1_3genE8ELNS1_11target_archE1030ELNS1_3gpuE2ELNS1_3repE0EEENS1_59segmented_radix_sort_warp_sort_small_config_static_selectorELNS0_4arch9wavefront6targetE0EEEvSL_,"axG",@progbits,_ZN7rocprim17ROCPRIM_400000_NS6detail17trampoline_kernelINS0_14default_configENS1_36segmented_radix_sort_config_selectorI6__halflEEZNS1_25segmented_radix_sort_implIS3_Lb1EPKS5_PS5_PKlPlN2at6native12_GLOBAL__N_18offset_tEEE10hipError_tPvRmT1_PNSt15iterator_traitsISL_E10value_typeET2_T3_PNSM_ISR_E10value_typeET4_jRbjT5_SX_jjP12ihipStream_tbEUlT_E1_NS1_11comp_targetILNS1_3genE8ELNS1_11target_archE1030ELNS1_3gpuE2ELNS1_3repE0EEENS1_59segmented_radix_sort_warp_sort_small_config_static_selectorELNS0_4arch9wavefront6targetE0EEEvSL_,comdat
	.globl	_ZN7rocprim17ROCPRIM_400000_NS6detail17trampoline_kernelINS0_14default_configENS1_36segmented_radix_sort_config_selectorI6__halflEEZNS1_25segmented_radix_sort_implIS3_Lb1EPKS5_PS5_PKlPlN2at6native12_GLOBAL__N_18offset_tEEE10hipError_tPvRmT1_PNSt15iterator_traitsISL_E10value_typeET2_T3_PNSM_ISR_E10value_typeET4_jRbjT5_SX_jjP12ihipStream_tbEUlT_E1_NS1_11comp_targetILNS1_3genE8ELNS1_11target_archE1030ELNS1_3gpuE2ELNS1_3repE0EEENS1_59segmented_radix_sort_warp_sort_small_config_static_selectorELNS0_4arch9wavefront6targetE0EEEvSL_ ; -- Begin function _ZN7rocprim17ROCPRIM_400000_NS6detail17trampoline_kernelINS0_14default_configENS1_36segmented_radix_sort_config_selectorI6__halflEEZNS1_25segmented_radix_sort_implIS3_Lb1EPKS5_PS5_PKlPlN2at6native12_GLOBAL__N_18offset_tEEE10hipError_tPvRmT1_PNSt15iterator_traitsISL_E10value_typeET2_T3_PNSM_ISR_E10value_typeET4_jRbjT5_SX_jjP12ihipStream_tbEUlT_E1_NS1_11comp_targetILNS1_3genE8ELNS1_11target_archE1030ELNS1_3gpuE2ELNS1_3repE0EEENS1_59segmented_radix_sort_warp_sort_small_config_static_selectorELNS0_4arch9wavefront6targetE0EEEvSL_
	.p2align	8
	.type	_ZN7rocprim17ROCPRIM_400000_NS6detail17trampoline_kernelINS0_14default_configENS1_36segmented_radix_sort_config_selectorI6__halflEEZNS1_25segmented_radix_sort_implIS3_Lb1EPKS5_PS5_PKlPlN2at6native12_GLOBAL__N_18offset_tEEE10hipError_tPvRmT1_PNSt15iterator_traitsISL_E10value_typeET2_T3_PNSM_ISR_E10value_typeET4_jRbjT5_SX_jjP12ihipStream_tbEUlT_E1_NS1_11comp_targetILNS1_3genE8ELNS1_11target_archE1030ELNS1_3gpuE2ELNS1_3repE0EEENS1_59segmented_radix_sort_warp_sort_small_config_static_selectorELNS0_4arch9wavefront6targetE0EEEvSL_,@function
_ZN7rocprim17ROCPRIM_400000_NS6detail17trampoline_kernelINS0_14default_configENS1_36segmented_radix_sort_config_selectorI6__halflEEZNS1_25segmented_radix_sort_implIS3_Lb1EPKS5_PS5_PKlPlN2at6native12_GLOBAL__N_18offset_tEEE10hipError_tPvRmT1_PNSt15iterator_traitsISL_E10value_typeET2_T3_PNSM_ISR_E10value_typeET4_jRbjT5_SX_jjP12ihipStream_tbEUlT_E1_NS1_11comp_targetILNS1_3genE8ELNS1_11target_archE1030ELNS1_3gpuE2ELNS1_3repE0EEENS1_59segmented_radix_sort_warp_sort_small_config_static_selectorELNS0_4arch9wavefront6targetE0EEEvSL_: ; @_ZN7rocprim17ROCPRIM_400000_NS6detail17trampoline_kernelINS0_14default_configENS1_36segmented_radix_sort_config_selectorI6__halflEEZNS1_25segmented_radix_sort_implIS3_Lb1EPKS5_PS5_PKlPlN2at6native12_GLOBAL__N_18offset_tEEE10hipError_tPvRmT1_PNSt15iterator_traitsISL_E10value_typeET2_T3_PNSM_ISR_E10value_typeET4_jRbjT5_SX_jjP12ihipStream_tbEUlT_E1_NS1_11comp_targetILNS1_3genE8ELNS1_11target_archE1030ELNS1_3gpuE2ELNS1_3repE0EEENS1_59segmented_radix_sort_warp_sort_small_config_static_selectorELNS0_4arch9wavefront6targetE0EEEvSL_
; %bb.0:
	.section	.rodata,"a",@progbits
	.p2align	6, 0x0
	.amdhsa_kernel _ZN7rocprim17ROCPRIM_400000_NS6detail17trampoline_kernelINS0_14default_configENS1_36segmented_radix_sort_config_selectorI6__halflEEZNS1_25segmented_radix_sort_implIS3_Lb1EPKS5_PS5_PKlPlN2at6native12_GLOBAL__N_18offset_tEEE10hipError_tPvRmT1_PNSt15iterator_traitsISL_E10value_typeET2_T3_PNSM_ISR_E10value_typeET4_jRbjT5_SX_jjP12ihipStream_tbEUlT_E1_NS1_11comp_targetILNS1_3genE8ELNS1_11target_archE1030ELNS1_3gpuE2ELNS1_3repE0EEENS1_59segmented_radix_sort_warp_sort_small_config_static_selectorELNS0_4arch9wavefront6targetE0EEEvSL_
		.amdhsa_group_segment_fixed_size 0
		.amdhsa_private_segment_fixed_size 0
		.amdhsa_kernarg_size 88
		.amdhsa_user_sgpr_count 2
		.amdhsa_user_sgpr_dispatch_ptr 0
		.amdhsa_user_sgpr_queue_ptr 0
		.amdhsa_user_sgpr_kernarg_segment_ptr 1
		.amdhsa_user_sgpr_dispatch_id 0
		.amdhsa_user_sgpr_private_segment_size 0
		.amdhsa_wavefront_size32 1
		.amdhsa_uses_dynamic_stack 0
		.amdhsa_enable_private_segment 0
		.amdhsa_system_sgpr_workgroup_id_x 1
		.amdhsa_system_sgpr_workgroup_id_y 0
		.amdhsa_system_sgpr_workgroup_id_z 0
		.amdhsa_system_sgpr_workgroup_info 0
		.amdhsa_system_vgpr_workitem_id 0
		.amdhsa_next_free_vgpr 1
		.amdhsa_next_free_sgpr 1
		.amdhsa_reserve_vcc 0
		.amdhsa_float_round_mode_32 0
		.amdhsa_float_round_mode_16_64 0
		.amdhsa_float_denorm_mode_32 3
		.amdhsa_float_denorm_mode_16_64 3
		.amdhsa_fp16_overflow 0
		.amdhsa_workgroup_processor_mode 1
		.amdhsa_memory_ordered 1
		.amdhsa_forward_progress 1
		.amdhsa_inst_pref_size 0
		.amdhsa_round_robin_scheduling 0
		.amdhsa_exception_fp_ieee_invalid_op 0
		.amdhsa_exception_fp_denorm_src 0
		.amdhsa_exception_fp_ieee_div_zero 0
		.amdhsa_exception_fp_ieee_overflow 0
		.amdhsa_exception_fp_ieee_underflow 0
		.amdhsa_exception_fp_ieee_inexact 0
		.amdhsa_exception_int_div_zero 0
	.end_amdhsa_kernel
	.section	.text._ZN7rocprim17ROCPRIM_400000_NS6detail17trampoline_kernelINS0_14default_configENS1_36segmented_radix_sort_config_selectorI6__halflEEZNS1_25segmented_radix_sort_implIS3_Lb1EPKS5_PS5_PKlPlN2at6native12_GLOBAL__N_18offset_tEEE10hipError_tPvRmT1_PNSt15iterator_traitsISL_E10value_typeET2_T3_PNSM_ISR_E10value_typeET4_jRbjT5_SX_jjP12ihipStream_tbEUlT_E1_NS1_11comp_targetILNS1_3genE8ELNS1_11target_archE1030ELNS1_3gpuE2ELNS1_3repE0EEENS1_59segmented_radix_sort_warp_sort_small_config_static_selectorELNS0_4arch9wavefront6targetE0EEEvSL_,"axG",@progbits,_ZN7rocprim17ROCPRIM_400000_NS6detail17trampoline_kernelINS0_14default_configENS1_36segmented_radix_sort_config_selectorI6__halflEEZNS1_25segmented_radix_sort_implIS3_Lb1EPKS5_PS5_PKlPlN2at6native12_GLOBAL__N_18offset_tEEE10hipError_tPvRmT1_PNSt15iterator_traitsISL_E10value_typeET2_T3_PNSM_ISR_E10value_typeET4_jRbjT5_SX_jjP12ihipStream_tbEUlT_E1_NS1_11comp_targetILNS1_3genE8ELNS1_11target_archE1030ELNS1_3gpuE2ELNS1_3repE0EEENS1_59segmented_radix_sort_warp_sort_small_config_static_selectorELNS0_4arch9wavefront6targetE0EEEvSL_,comdat
.Lfunc_end1768:
	.size	_ZN7rocprim17ROCPRIM_400000_NS6detail17trampoline_kernelINS0_14default_configENS1_36segmented_radix_sort_config_selectorI6__halflEEZNS1_25segmented_radix_sort_implIS3_Lb1EPKS5_PS5_PKlPlN2at6native12_GLOBAL__N_18offset_tEEE10hipError_tPvRmT1_PNSt15iterator_traitsISL_E10value_typeET2_T3_PNSM_ISR_E10value_typeET4_jRbjT5_SX_jjP12ihipStream_tbEUlT_E1_NS1_11comp_targetILNS1_3genE8ELNS1_11target_archE1030ELNS1_3gpuE2ELNS1_3repE0EEENS1_59segmented_radix_sort_warp_sort_small_config_static_selectorELNS0_4arch9wavefront6targetE0EEEvSL_, .Lfunc_end1768-_ZN7rocprim17ROCPRIM_400000_NS6detail17trampoline_kernelINS0_14default_configENS1_36segmented_radix_sort_config_selectorI6__halflEEZNS1_25segmented_radix_sort_implIS3_Lb1EPKS5_PS5_PKlPlN2at6native12_GLOBAL__N_18offset_tEEE10hipError_tPvRmT1_PNSt15iterator_traitsISL_E10value_typeET2_T3_PNSM_ISR_E10value_typeET4_jRbjT5_SX_jjP12ihipStream_tbEUlT_E1_NS1_11comp_targetILNS1_3genE8ELNS1_11target_archE1030ELNS1_3gpuE2ELNS1_3repE0EEENS1_59segmented_radix_sort_warp_sort_small_config_static_selectorELNS0_4arch9wavefront6targetE0EEEvSL_
                                        ; -- End function
	.set _ZN7rocprim17ROCPRIM_400000_NS6detail17trampoline_kernelINS0_14default_configENS1_36segmented_radix_sort_config_selectorI6__halflEEZNS1_25segmented_radix_sort_implIS3_Lb1EPKS5_PS5_PKlPlN2at6native12_GLOBAL__N_18offset_tEEE10hipError_tPvRmT1_PNSt15iterator_traitsISL_E10value_typeET2_T3_PNSM_ISR_E10value_typeET4_jRbjT5_SX_jjP12ihipStream_tbEUlT_E1_NS1_11comp_targetILNS1_3genE8ELNS1_11target_archE1030ELNS1_3gpuE2ELNS1_3repE0EEENS1_59segmented_radix_sort_warp_sort_small_config_static_selectorELNS0_4arch9wavefront6targetE0EEEvSL_.num_vgpr, 0
	.set _ZN7rocprim17ROCPRIM_400000_NS6detail17trampoline_kernelINS0_14default_configENS1_36segmented_radix_sort_config_selectorI6__halflEEZNS1_25segmented_radix_sort_implIS3_Lb1EPKS5_PS5_PKlPlN2at6native12_GLOBAL__N_18offset_tEEE10hipError_tPvRmT1_PNSt15iterator_traitsISL_E10value_typeET2_T3_PNSM_ISR_E10value_typeET4_jRbjT5_SX_jjP12ihipStream_tbEUlT_E1_NS1_11comp_targetILNS1_3genE8ELNS1_11target_archE1030ELNS1_3gpuE2ELNS1_3repE0EEENS1_59segmented_radix_sort_warp_sort_small_config_static_selectorELNS0_4arch9wavefront6targetE0EEEvSL_.num_agpr, 0
	.set _ZN7rocprim17ROCPRIM_400000_NS6detail17trampoline_kernelINS0_14default_configENS1_36segmented_radix_sort_config_selectorI6__halflEEZNS1_25segmented_radix_sort_implIS3_Lb1EPKS5_PS5_PKlPlN2at6native12_GLOBAL__N_18offset_tEEE10hipError_tPvRmT1_PNSt15iterator_traitsISL_E10value_typeET2_T3_PNSM_ISR_E10value_typeET4_jRbjT5_SX_jjP12ihipStream_tbEUlT_E1_NS1_11comp_targetILNS1_3genE8ELNS1_11target_archE1030ELNS1_3gpuE2ELNS1_3repE0EEENS1_59segmented_radix_sort_warp_sort_small_config_static_selectorELNS0_4arch9wavefront6targetE0EEEvSL_.numbered_sgpr, 0
	.set _ZN7rocprim17ROCPRIM_400000_NS6detail17trampoline_kernelINS0_14default_configENS1_36segmented_radix_sort_config_selectorI6__halflEEZNS1_25segmented_radix_sort_implIS3_Lb1EPKS5_PS5_PKlPlN2at6native12_GLOBAL__N_18offset_tEEE10hipError_tPvRmT1_PNSt15iterator_traitsISL_E10value_typeET2_T3_PNSM_ISR_E10value_typeET4_jRbjT5_SX_jjP12ihipStream_tbEUlT_E1_NS1_11comp_targetILNS1_3genE8ELNS1_11target_archE1030ELNS1_3gpuE2ELNS1_3repE0EEENS1_59segmented_radix_sort_warp_sort_small_config_static_selectorELNS0_4arch9wavefront6targetE0EEEvSL_.num_named_barrier, 0
	.set _ZN7rocprim17ROCPRIM_400000_NS6detail17trampoline_kernelINS0_14default_configENS1_36segmented_radix_sort_config_selectorI6__halflEEZNS1_25segmented_radix_sort_implIS3_Lb1EPKS5_PS5_PKlPlN2at6native12_GLOBAL__N_18offset_tEEE10hipError_tPvRmT1_PNSt15iterator_traitsISL_E10value_typeET2_T3_PNSM_ISR_E10value_typeET4_jRbjT5_SX_jjP12ihipStream_tbEUlT_E1_NS1_11comp_targetILNS1_3genE8ELNS1_11target_archE1030ELNS1_3gpuE2ELNS1_3repE0EEENS1_59segmented_radix_sort_warp_sort_small_config_static_selectorELNS0_4arch9wavefront6targetE0EEEvSL_.private_seg_size, 0
	.set _ZN7rocprim17ROCPRIM_400000_NS6detail17trampoline_kernelINS0_14default_configENS1_36segmented_radix_sort_config_selectorI6__halflEEZNS1_25segmented_radix_sort_implIS3_Lb1EPKS5_PS5_PKlPlN2at6native12_GLOBAL__N_18offset_tEEE10hipError_tPvRmT1_PNSt15iterator_traitsISL_E10value_typeET2_T3_PNSM_ISR_E10value_typeET4_jRbjT5_SX_jjP12ihipStream_tbEUlT_E1_NS1_11comp_targetILNS1_3genE8ELNS1_11target_archE1030ELNS1_3gpuE2ELNS1_3repE0EEENS1_59segmented_radix_sort_warp_sort_small_config_static_selectorELNS0_4arch9wavefront6targetE0EEEvSL_.uses_vcc, 0
	.set _ZN7rocprim17ROCPRIM_400000_NS6detail17trampoline_kernelINS0_14default_configENS1_36segmented_radix_sort_config_selectorI6__halflEEZNS1_25segmented_radix_sort_implIS3_Lb1EPKS5_PS5_PKlPlN2at6native12_GLOBAL__N_18offset_tEEE10hipError_tPvRmT1_PNSt15iterator_traitsISL_E10value_typeET2_T3_PNSM_ISR_E10value_typeET4_jRbjT5_SX_jjP12ihipStream_tbEUlT_E1_NS1_11comp_targetILNS1_3genE8ELNS1_11target_archE1030ELNS1_3gpuE2ELNS1_3repE0EEENS1_59segmented_radix_sort_warp_sort_small_config_static_selectorELNS0_4arch9wavefront6targetE0EEEvSL_.uses_flat_scratch, 0
	.set _ZN7rocprim17ROCPRIM_400000_NS6detail17trampoline_kernelINS0_14default_configENS1_36segmented_radix_sort_config_selectorI6__halflEEZNS1_25segmented_radix_sort_implIS3_Lb1EPKS5_PS5_PKlPlN2at6native12_GLOBAL__N_18offset_tEEE10hipError_tPvRmT1_PNSt15iterator_traitsISL_E10value_typeET2_T3_PNSM_ISR_E10value_typeET4_jRbjT5_SX_jjP12ihipStream_tbEUlT_E1_NS1_11comp_targetILNS1_3genE8ELNS1_11target_archE1030ELNS1_3gpuE2ELNS1_3repE0EEENS1_59segmented_radix_sort_warp_sort_small_config_static_selectorELNS0_4arch9wavefront6targetE0EEEvSL_.has_dyn_sized_stack, 0
	.set _ZN7rocprim17ROCPRIM_400000_NS6detail17trampoline_kernelINS0_14default_configENS1_36segmented_radix_sort_config_selectorI6__halflEEZNS1_25segmented_radix_sort_implIS3_Lb1EPKS5_PS5_PKlPlN2at6native12_GLOBAL__N_18offset_tEEE10hipError_tPvRmT1_PNSt15iterator_traitsISL_E10value_typeET2_T3_PNSM_ISR_E10value_typeET4_jRbjT5_SX_jjP12ihipStream_tbEUlT_E1_NS1_11comp_targetILNS1_3genE8ELNS1_11target_archE1030ELNS1_3gpuE2ELNS1_3repE0EEENS1_59segmented_radix_sort_warp_sort_small_config_static_selectorELNS0_4arch9wavefront6targetE0EEEvSL_.has_recursion, 0
	.set _ZN7rocprim17ROCPRIM_400000_NS6detail17trampoline_kernelINS0_14default_configENS1_36segmented_radix_sort_config_selectorI6__halflEEZNS1_25segmented_radix_sort_implIS3_Lb1EPKS5_PS5_PKlPlN2at6native12_GLOBAL__N_18offset_tEEE10hipError_tPvRmT1_PNSt15iterator_traitsISL_E10value_typeET2_T3_PNSM_ISR_E10value_typeET4_jRbjT5_SX_jjP12ihipStream_tbEUlT_E1_NS1_11comp_targetILNS1_3genE8ELNS1_11target_archE1030ELNS1_3gpuE2ELNS1_3repE0EEENS1_59segmented_radix_sort_warp_sort_small_config_static_selectorELNS0_4arch9wavefront6targetE0EEEvSL_.has_indirect_call, 0
	.section	.AMDGPU.csdata,"",@progbits
; Kernel info:
; codeLenInByte = 0
; TotalNumSgprs: 0
; NumVgprs: 0
; ScratchSize: 0
; MemoryBound: 0
; FloatMode: 240
; IeeeMode: 1
; LDSByteSize: 0 bytes/workgroup (compile time only)
; SGPRBlocks: 0
; VGPRBlocks: 0
; NumSGPRsForWavesPerEU: 1
; NumVGPRsForWavesPerEU: 1
; Occupancy: 16
; WaveLimiterHint : 0
; COMPUTE_PGM_RSRC2:SCRATCH_EN: 0
; COMPUTE_PGM_RSRC2:USER_SGPR: 2
; COMPUTE_PGM_RSRC2:TRAP_HANDLER: 0
; COMPUTE_PGM_RSRC2:TGID_X_EN: 1
; COMPUTE_PGM_RSRC2:TGID_Y_EN: 0
; COMPUTE_PGM_RSRC2:TGID_Z_EN: 0
; COMPUTE_PGM_RSRC2:TIDIG_COMP_CNT: 0
	.section	.text._ZN7rocprim17ROCPRIM_400000_NS6detail17trampoline_kernelINS0_14default_configENS1_36segmented_radix_sort_config_selectorI6__halflEEZNS1_25segmented_radix_sort_implIS3_Lb1EPKS5_PS5_PKlPlN2at6native12_GLOBAL__N_18offset_tEEE10hipError_tPvRmT1_PNSt15iterator_traitsISL_E10value_typeET2_T3_PNSM_ISR_E10value_typeET4_jRbjT5_SX_jjP12ihipStream_tbEUlT_E2_NS1_11comp_targetILNS1_3genE0ELNS1_11target_archE4294967295ELNS1_3gpuE0ELNS1_3repE0EEENS1_30default_config_static_selectorELNS0_4arch9wavefront6targetE0EEEvSL_,"axG",@progbits,_ZN7rocprim17ROCPRIM_400000_NS6detail17trampoline_kernelINS0_14default_configENS1_36segmented_radix_sort_config_selectorI6__halflEEZNS1_25segmented_radix_sort_implIS3_Lb1EPKS5_PS5_PKlPlN2at6native12_GLOBAL__N_18offset_tEEE10hipError_tPvRmT1_PNSt15iterator_traitsISL_E10value_typeET2_T3_PNSM_ISR_E10value_typeET4_jRbjT5_SX_jjP12ihipStream_tbEUlT_E2_NS1_11comp_targetILNS1_3genE0ELNS1_11target_archE4294967295ELNS1_3gpuE0ELNS1_3repE0EEENS1_30default_config_static_selectorELNS0_4arch9wavefront6targetE0EEEvSL_,comdat
	.globl	_ZN7rocprim17ROCPRIM_400000_NS6detail17trampoline_kernelINS0_14default_configENS1_36segmented_radix_sort_config_selectorI6__halflEEZNS1_25segmented_radix_sort_implIS3_Lb1EPKS5_PS5_PKlPlN2at6native12_GLOBAL__N_18offset_tEEE10hipError_tPvRmT1_PNSt15iterator_traitsISL_E10value_typeET2_T3_PNSM_ISR_E10value_typeET4_jRbjT5_SX_jjP12ihipStream_tbEUlT_E2_NS1_11comp_targetILNS1_3genE0ELNS1_11target_archE4294967295ELNS1_3gpuE0ELNS1_3repE0EEENS1_30default_config_static_selectorELNS0_4arch9wavefront6targetE0EEEvSL_ ; -- Begin function _ZN7rocprim17ROCPRIM_400000_NS6detail17trampoline_kernelINS0_14default_configENS1_36segmented_radix_sort_config_selectorI6__halflEEZNS1_25segmented_radix_sort_implIS3_Lb1EPKS5_PS5_PKlPlN2at6native12_GLOBAL__N_18offset_tEEE10hipError_tPvRmT1_PNSt15iterator_traitsISL_E10value_typeET2_T3_PNSM_ISR_E10value_typeET4_jRbjT5_SX_jjP12ihipStream_tbEUlT_E2_NS1_11comp_targetILNS1_3genE0ELNS1_11target_archE4294967295ELNS1_3gpuE0ELNS1_3repE0EEENS1_30default_config_static_selectorELNS0_4arch9wavefront6targetE0EEEvSL_
	.p2align	8
	.type	_ZN7rocprim17ROCPRIM_400000_NS6detail17trampoline_kernelINS0_14default_configENS1_36segmented_radix_sort_config_selectorI6__halflEEZNS1_25segmented_radix_sort_implIS3_Lb1EPKS5_PS5_PKlPlN2at6native12_GLOBAL__N_18offset_tEEE10hipError_tPvRmT1_PNSt15iterator_traitsISL_E10value_typeET2_T3_PNSM_ISR_E10value_typeET4_jRbjT5_SX_jjP12ihipStream_tbEUlT_E2_NS1_11comp_targetILNS1_3genE0ELNS1_11target_archE4294967295ELNS1_3gpuE0ELNS1_3repE0EEENS1_30default_config_static_selectorELNS0_4arch9wavefront6targetE0EEEvSL_,@function
_ZN7rocprim17ROCPRIM_400000_NS6detail17trampoline_kernelINS0_14default_configENS1_36segmented_radix_sort_config_selectorI6__halflEEZNS1_25segmented_radix_sort_implIS3_Lb1EPKS5_PS5_PKlPlN2at6native12_GLOBAL__N_18offset_tEEE10hipError_tPvRmT1_PNSt15iterator_traitsISL_E10value_typeET2_T3_PNSM_ISR_E10value_typeET4_jRbjT5_SX_jjP12ihipStream_tbEUlT_E2_NS1_11comp_targetILNS1_3genE0ELNS1_11target_archE4294967295ELNS1_3gpuE0ELNS1_3repE0EEENS1_30default_config_static_selectorELNS0_4arch9wavefront6targetE0EEEvSL_: ; @_ZN7rocprim17ROCPRIM_400000_NS6detail17trampoline_kernelINS0_14default_configENS1_36segmented_radix_sort_config_selectorI6__halflEEZNS1_25segmented_radix_sort_implIS3_Lb1EPKS5_PS5_PKlPlN2at6native12_GLOBAL__N_18offset_tEEE10hipError_tPvRmT1_PNSt15iterator_traitsISL_E10value_typeET2_T3_PNSM_ISR_E10value_typeET4_jRbjT5_SX_jjP12ihipStream_tbEUlT_E2_NS1_11comp_targetILNS1_3genE0ELNS1_11target_archE4294967295ELNS1_3gpuE0ELNS1_3repE0EEENS1_30default_config_static_selectorELNS0_4arch9wavefront6targetE0EEEvSL_
; %bb.0:
	.section	.rodata,"a",@progbits
	.p2align	6, 0x0
	.amdhsa_kernel _ZN7rocprim17ROCPRIM_400000_NS6detail17trampoline_kernelINS0_14default_configENS1_36segmented_radix_sort_config_selectorI6__halflEEZNS1_25segmented_radix_sort_implIS3_Lb1EPKS5_PS5_PKlPlN2at6native12_GLOBAL__N_18offset_tEEE10hipError_tPvRmT1_PNSt15iterator_traitsISL_E10value_typeET2_T3_PNSM_ISR_E10value_typeET4_jRbjT5_SX_jjP12ihipStream_tbEUlT_E2_NS1_11comp_targetILNS1_3genE0ELNS1_11target_archE4294967295ELNS1_3gpuE0ELNS1_3repE0EEENS1_30default_config_static_selectorELNS0_4arch9wavefront6targetE0EEEvSL_
		.amdhsa_group_segment_fixed_size 0
		.amdhsa_private_segment_fixed_size 0
		.amdhsa_kernarg_size 80
		.amdhsa_user_sgpr_count 2
		.amdhsa_user_sgpr_dispatch_ptr 0
		.amdhsa_user_sgpr_queue_ptr 0
		.amdhsa_user_sgpr_kernarg_segment_ptr 1
		.amdhsa_user_sgpr_dispatch_id 0
		.amdhsa_user_sgpr_private_segment_size 0
		.amdhsa_wavefront_size32 1
		.amdhsa_uses_dynamic_stack 0
		.amdhsa_enable_private_segment 0
		.amdhsa_system_sgpr_workgroup_id_x 1
		.amdhsa_system_sgpr_workgroup_id_y 0
		.amdhsa_system_sgpr_workgroup_id_z 0
		.amdhsa_system_sgpr_workgroup_info 0
		.amdhsa_system_vgpr_workitem_id 0
		.amdhsa_next_free_vgpr 1
		.amdhsa_next_free_sgpr 1
		.amdhsa_reserve_vcc 0
		.amdhsa_float_round_mode_32 0
		.amdhsa_float_round_mode_16_64 0
		.amdhsa_float_denorm_mode_32 3
		.amdhsa_float_denorm_mode_16_64 3
		.amdhsa_fp16_overflow 0
		.amdhsa_workgroup_processor_mode 1
		.amdhsa_memory_ordered 1
		.amdhsa_forward_progress 1
		.amdhsa_inst_pref_size 0
		.amdhsa_round_robin_scheduling 0
		.amdhsa_exception_fp_ieee_invalid_op 0
		.amdhsa_exception_fp_denorm_src 0
		.amdhsa_exception_fp_ieee_div_zero 0
		.amdhsa_exception_fp_ieee_overflow 0
		.amdhsa_exception_fp_ieee_underflow 0
		.amdhsa_exception_fp_ieee_inexact 0
		.amdhsa_exception_int_div_zero 0
	.end_amdhsa_kernel
	.section	.text._ZN7rocprim17ROCPRIM_400000_NS6detail17trampoline_kernelINS0_14default_configENS1_36segmented_radix_sort_config_selectorI6__halflEEZNS1_25segmented_radix_sort_implIS3_Lb1EPKS5_PS5_PKlPlN2at6native12_GLOBAL__N_18offset_tEEE10hipError_tPvRmT1_PNSt15iterator_traitsISL_E10value_typeET2_T3_PNSM_ISR_E10value_typeET4_jRbjT5_SX_jjP12ihipStream_tbEUlT_E2_NS1_11comp_targetILNS1_3genE0ELNS1_11target_archE4294967295ELNS1_3gpuE0ELNS1_3repE0EEENS1_30default_config_static_selectorELNS0_4arch9wavefront6targetE0EEEvSL_,"axG",@progbits,_ZN7rocprim17ROCPRIM_400000_NS6detail17trampoline_kernelINS0_14default_configENS1_36segmented_radix_sort_config_selectorI6__halflEEZNS1_25segmented_radix_sort_implIS3_Lb1EPKS5_PS5_PKlPlN2at6native12_GLOBAL__N_18offset_tEEE10hipError_tPvRmT1_PNSt15iterator_traitsISL_E10value_typeET2_T3_PNSM_ISR_E10value_typeET4_jRbjT5_SX_jjP12ihipStream_tbEUlT_E2_NS1_11comp_targetILNS1_3genE0ELNS1_11target_archE4294967295ELNS1_3gpuE0ELNS1_3repE0EEENS1_30default_config_static_selectorELNS0_4arch9wavefront6targetE0EEEvSL_,comdat
.Lfunc_end1769:
	.size	_ZN7rocprim17ROCPRIM_400000_NS6detail17trampoline_kernelINS0_14default_configENS1_36segmented_radix_sort_config_selectorI6__halflEEZNS1_25segmented_radix_sort_implIS3_Lb1EPKS5_PS5_PKlPlN2at6native12_GLOBAL__N_18offset_tEEE10hipError_tPvRmT1_PNSt15iterator_traitsISL_E10value_typeET2_T3_PNSM_ISR_E10value_typeET4_jRbjT5_SX_jjP12ihipStream_tbEUlT_E2_NS1_11comp_targetILNS1_3genE0ELNS1_11target_archE4294967295ELNS1_3gpuE0ELNS1_3repE0EEENS1_30default_config_static_selectorELNS0_4arch9wavefront6targetE0EEEvSL_, .Lfunc_end1769-_ZN7rocprim17ROCPRIM_400000_NS6detail17trampoline_kernelINS0_14default_configENS1_36segmented_radix_sort_config_selectorI6__halflEEZNS1_25segmented_radix_sort_implIS3_Lb1EPKS5_PS5_PKlPlN2at6native12_GLOBAL__N_18offset_tEEE10hipError_tPvRmT1_PNSt15iterator_traitsISL_E10value_typeET2_T3_PNSM_ISR_E10value_typeET4_jRbjT5_SX_jjP12ihipStream_tbEUlT_E2_NS1_11comp_targetILNS1_3genE0ELNS1_11target_archE4294967295ELNS1_3gpuE0ELNS1_3repE0EEENS1_30default_config_static_selectorELNS0_4arch9wavefront6targetE0EEEvSL_
                                        ; -- End function
	.set _ZN7rocprim17ROCPRIM_400000_NS6detail17trampoline_kernelINS0_14default_configENS1_36segmented_radix_sort_config_selectorI6__halflEEZNS1_25segmented_radix_sort_implIS3_Lb1EPKS5_PS5_PKlPlN2at6native12_GLOBAL__N_18offset_tEEE10hipError_tPvRmT1_PNSt15iterator_traitsISL_E10value_typeET2_T3_PNSM_ISR_E10value_typeET4_jRbjT5_SX_jjP12ihipStream_tbEUlT_E2_NS1_11comp_targetILNS1_3genE0ELNS1_11target_archE4294967295ELNS1_3gpuE0ELNS1_3repE0EEENS1_30default_config_static_selectorELNS0_4arch9wavefront6targetE0EEEvSL_.num_vgpr, 0
	.set _ZN7rocprim17ROCPRIM_400000_NS6detail17trampoline_kernelINS0_14default_configENS1_36segmented_radix_sort_config_selectorI6__halflEEZNS1_25segmented_radix_sort_implIS3_Lb1EPKS5_PS5_PKlPlN2at6native12_GLOBAL__N_18offset_tEEE10hipError_tPvRmT1_PNSt15iterator_traitsISL_E10value_typeET2_T3_PNSM_ISR_E10value_typeET4_jRbjT5_SX_jjP12ihipStream_tbEUlT_E2_NS1_11comp_targetILNS1_3genE0ELNS1_11target_archE4294967295ELNS1_3gpuE0ELNS1_3repE0EEENS1_30default_config_static_selectorELNS0_4arch9wavefront6targetE0EEEvSL_.num_agpr, 0
	.set _ZN7rocprim17ROCPRIM_400000_NS6detail17trampoline_kernelINS0_14default_configENS1_36segmented_radix_sort_config_selectorI6__halflEEZNS1_25segmented_radix_sort_implIS3_Lb1EPKS5_PS5_PKlPlN2at6native12_GLOBAL__N_18offset_tEEE10hipError_tPvRmT1_PNSt15iterator_traitsISL_E10value_typeET2_T3_PNSM_ISR_E10value_typeET4_jRbjT5_SX_jjP12ihipStream_tbEUlT_E2_NS1_11comp_targetILNS1_3genE0ELNS1_11target_archE4294967295ELNS1_3gpuE0ELNS1_3repE0EEENS1_30default_config_static_selectorELNS0_4arch9wavefront6targetE0EEEvSL_.numbered_sgpr, 0
	.set _ZN7rocprim17ROCPRIM_400000_NS6detail17trampoline_kernelINS0_14default_configENS1_36segmented_radix_sort_config_selectorI6__halflEEZNS1_25segmented_radix_sort_implIS3_Lb1EPKS5_PS5_PKlPlN2at6native12_GLOBAL__N_18offset_tEEE10hipError_tPvRmT1_PNSt15iterator_traitsISL_E10value_typeET2_T3_PNSM_ISR_E10value_typeET4_jRbjT5_SX_jjP12ihipStream_tbEUlT_E2_NS1_11comp_targetILNS1_3genE0ELNS1_11target_archE4294967295ELNS1_3gpuE0ELNS1_3repE0EEENS1_30default_config_static_selectorELNS0_4arch9wavefront6targetE0EEEvSL_.num_named_barrier, 0
	.set _ZN7rocprim17ROCPRIM_400000_NS6detail17trampoline_kernelINS0_14default_configENS1_36segmented_radix_sort_config_selectorI6__halflEEZNS1_25segmented_radix_sort_implIS3_Lb1EPKS5_PS5_PKlPlN2at6native12_GLOBAL__N_18offset_tEEE10hipError_tPvRmT1_PNSt15iterator_traitsISL_E10value_typeET2_T3_PNSM_ISR_E10value_typeET4_jRbjT5_SX_jjP12ihipStream_tbEUlT_E2_NS1_11comp_targetILNS1_3genE0ELNS1_11target_archE4294967295ELNS1_3gpuE0ELNS1_3repE0EEENS1_30default_config_static_selectorELNS0_4arch9wavefront6targetE0EEEvSL_.private_seg_size, 0
	.set _ZN7rocprim17ROCPRIM_400000_NS6detail17trampoline_kernelINS0_14default_configENS1_36segmented_radix_sort_config_selectorI6__halflEEZNS1_25segmented_radix_sort_implIS3_Lb1EPKS5_PS5_PKlPlN2at6native12_GLOBAL__N_18offset_tEEE10hipError_tPvRmT1_PNSt15iterator_traitsISL_E10value_typeET2_T3_PNSM_ISR_E10value_typeET4_jRbjT5_SX_jjP12ihipStream_tbEUlT_E2_NS1_11comp_targetILNS1_3genE0ELNS1_11target_archE4294967295ELNS1_3gpuE0ELNS1_3repE0EEENS1_30default_config_static_selectorELNS0_4arch9wavefront6targetE0EEEvSL_.uses_vcc, 0
	.set _ZN7rocprim17ROCPRIM_400000_NS6detail17trampoline_kernelINS0_14default_configENS1_36segmented_radix_sort_config_selectorI6__halflEEZNS1_25segmented_radix_sort_implIS3_Lb1EPKS5_PS5_PKlPlN2at6native12_GLOBAL__N_18offset_tEEE10hipError_tPvRmT1_PNSt15iterator_traitsISL_E10value_typeET2_T3_PNSM_ISR_E10value_typeET4_jRbjT5_SX_jjP12ihipStream_tbEUlT_E2_NS1_11comp_targetILNS1_3genE0ELNS1_11target_archE4294967295ELNS1_3gpuE0ELNS1_3repE0EEENS1_30default_config_static_selectorELNS0_4arch9wavefront6targetE0EEEvSL_.uses_flat_scratch, 0
	.set _ZN7rocprim17ROCPRIM_400000_NS6detail17trampoline_kernelINS0_14default_configENS1_36segmented_radix_sort_config_selectorI6__halflEEZNS1_25segmented_radix_sort_implIS3_Lb1EPKS5_PS5_PKlPlN2at6native12_GLOBAL__N_18offset_tEEE10hipError_tPvRmT1_PNSt15iterator_traitsISL_E10value_typeET2_T3_PNSM_ISR_E10value_typeET4_jRbjT5_SX_jjP12ihipStream_tbEUlT_E2_NS1_11comp_targetILNS1_3genE0ELNS1_11target_archE4294967295ELNS1_3gpuE0ELNS1_3repE0EEENS1_30default_config_static_selectorELNS0_4arch9wavefront6targetE0EEEvSL_.has_dyn_sized_stack, 0
	.set _ZN7rocprim17ROCPRIM_400000_NS6detail17trampoline_kernelINS0_14default_configENS1_36segmented_radix_sort_config_selectorI6__halflEEZNS1_25segmented_radix_sort_implIS3_Lb1EPKS5_PS5_PKlPlN2at6native12_GLOBAL__N_18offset_tEEE10hipError_tPvRmT1_PNSt15iterator_traitsISL_E10value_typeET2_T3_PNSM_ISR_E10value_typeET4_jRbjT5_SX_jjP12ihipStream_tbEUlT_E2_NS1_11comp_targetILNS1_3genE0ELNS1_11target_archE4294967295ELNS1_3gpuE0ELNS1_3repE0EEENS1_30default_config_static_selectorELNS0_4arch9wavefront6targetE0EEEvSL_.has_recursion, 0
	.set _ZN7rocprim17ROCPRIM_400000_NS6detail17trampoline_kernelINS0_14default_configENS1_36segmented_radix_sort_config_selectorI6__halflEEZNS1_25segmented_radix_sort_implIS3_Lb1EPKS5_PS5_PKlPlN2at6native12_GLOBAL__N_18offset_tEEE10hipError_tPvRmT1_PNSt15iterator_traitsISL_E10value_typeET2_T3_PNSM_ISR_E10value_typeET4_jRbjT5_SX_jjP12ihipStream_tbEUlT_E2_NS1_11comp_targetILNS1_3genE0ELNS1_11target_archE4294967295ELNS1_3gpuE0ELNS1_3repE0EEENS1_30default_config_static_selectorELNS0_4arch9wavefront6targetE0EEEvSL_.has_indirect_call, 0
	.section	.AMDGPU.csdata,"",@progbits
; Kernel info:
; codeLenInByte = 0
; TotalNumSgprs: 0
; NumVgprs: 0
; ScratchSize: 0
; MemoryBound: 0
; FloatMode: 240
; IeeeMode: 1
; LDSByteSize: 0 bytes/workgroup (compile time only)
; SGPRBlocks: 0
; VGPRBlocks: 0
; NumSGPRsForWavesPerEU: 1
; NumVGPRsForWavesPerEU: 1
; Occupancy: 16
; WaveLimiterHint : 0
; COMPUTE_PGM_RSRC2:SCRATCH_EN: 0
; COMPUTE_PGM_RSRC2:USER_SGPR: 2
; COMPUTE_PGM_RSRC2:TRAP_HANDLER: 0
; COMPUTE_PGM_RSRC2:TGID_X_EN: 1
; COMPUTE_PGM_RSRC2:TGID_Y_EN: 0
; COMPUTE_PGM_RSRC2:TGID_Z_EN: 0
; COMPUTE_PGM_RSRC2:TIDIG_COMP_CNT: 0
	.section	.text._ZN7rocprim17ROCPRIM_400000_NS6detail17trampoline_kernelINS0_14default_configENS1_36segmented_radix_sort_config_selectorI6__halflEEZNS1_25segmented_radix_sort_implIS3_Lb1EPKS5_PS5_PKlPlN2at6native12_GLOBAL__N_18offset_tEEE10hipError_tPvRmT1_PNSt15iterator_traitsISL_E10value_typeET2_T3_PNSM_ISR_E10value_typeET4_jRbjT5_SX_jjP12ihipStream_tbEUlT_E2_NS1_11comp_targetILNS1_3genE5ELNS1_11target_archE942ELNS1_3gpuE9ELNS1_3repE0EEENS1_30default_config_static_selectorELNS0_4arch9wavefront6targetE0EEEvSL_,"axG",@progbits,_ZN7rocprim17ROCPRIM_400000_NS6detail17trampoline_kernelINS0_14default_configENS1_36segmented_radix_sort_config_selectorI6__halflEEZNS1_25segmented_radix_sort_implIS3_Lb1EPKS5_PS5_PKlPlN2at6native12_GLOBAL__N_18offset_tEEE10hipError_tPvRmT1_PNSt15iterator_traitsISL_E10value_typeET2_T3_PNSM_ISR_E10value_typeET4_jRbjT5_SX_jjP12ihipStream_tbEUlT_E2_NS1_11comp_targetILNS1_3genE5ELNS1_11target_archE942ELNS1_3gpuE9ELNS1_3repE0EEENS1_30default_config_static_selectorELNS0_4arch9wavefront6targetE0EEEvSL_,comdat
	.globl	_ZN7rocprim17ROCPRIM_400000_NS6detail17trampoline_kernelINS0_14default_configENS1_36segmented_radix_sort_config_selectorI6__halflEEZNS1_25segmented_radix_sort_implIS3_Lb1EPKS5_PS5_PKlPlN2at6native12_GLOBAL__N_18offset_tEEE10hipError_tPvRmT1_PNSt15iterator_traitsISL_E10value_typeET2_T3_PNSM_ISR_E10value_typeET4_jRbjT5_SX_jjP12ihipStream_tbEUlT_E2_NS1_11comp_targetILNS1_3genE5ELNS1_11target_archE942ELNS1_3gpuE9ELNS1_3repE0EEENS1_30default_config_static_selectorELNS0_4arch9wavefront6targetE0EEEvSL_ ; -- Begin function _ZN7rocprim17ROCPRIM_400000_NS6detail17trampoline_kernelINS0_14default_configENS1_36segmented_radix_sort_config_selectorI6__halflEEZNS1_25segmented_radix_sort_implIS3_Lb1EPKS5_PS5_PKlPlN2at6native12_GLOBAL__N_18offset_tEEE10hipError_tPvRmT1_PNSt15iterator_traitsISL_E10value_typeET2_T3_PNSM_ISR_E10value_typeET4_jRbjT5_SX_jjP12ihipStream_tbEUlT_E2_NS1_11comp_targetILNS1_3genE5ELNS1_11target_archE942ELNS1_3gpuE9ELNS1_3repE0EEENS1_30default_config_static_selectorELNS0_4arch9wavefront6targetE0EEEvSL_
	.p2align	8
	.type	_ZN7rocprim17ROCPRIM_400000_NS6detail17trampoline_kernelINS0_14default_configENS1_36segmented_radix_sort_config_selectorI6__halflEEZNS1_25segmented_radix_sort_implIS3_Lb1EPKS5_PS5_PKlPlN2at6native12_GLOBAL__N_18offset_tEEE10hipError_tPvRmT1_PNSt15iterator_traitsISL_E10value_typeET2_T3_PNSM_ISR_E10value_typeET4_jRbjT5_SX_jjP12ihipStream_tbEUlT_E2_NS1_11comp_targetILNS1_3genE5ELNS1_11target_archE942ELNS1_3gpuE9ELNS1_3repE0EEENS1_30default_config_static_selectorELNS0_4arch9wavefront6targetE0EEEvSL_,@function
_ZN7rocprim17ROCPRIM_400000_NS6detail17trampoline_kernelINS0_14default_configENS1_36segmented_radix_sort_config_selectorI6__halflEEZNS1_25segmented_radix_sort_implIS3_Lb1EPKS5_PS5_PKlPlN2at6native12_GLOBAL__N_18offset_tEEE10hipError_tPvRmT1_PNSt15iterator_traitsISL_E10value_typeET2_T3_PNSM_ISR_E10value_typeET4_jRbjT5_SX_jjP12ihipStream_tbEUlT_E2_NS1_11comp_targetILNS1_3genE5ELNS1_11target_archE942ELNS1_3gpuE9ELNS1_3repE0EEENS1_30default_config_static_selectorELNS0_4arch9wavefront6targetE0EEEvSL_: ; @_ZN7rocprim17ROCPRIM_400000_NS6detail17trampoline_kernelINS0_14default_configENS1_36segmented_radix_sort_config_selectorI6__halflEEZNS1_25segmented_radix_sort_implIS3_Lb1EPKS5_PS5_PKlPlN2at6native12_GLOBAL__N_18offset_tEEE10hipError_tPvRmT1_PNSt15iterator_traitsISL_E10value_typeET2_T3_PNSM_ISR_E10value_typeET4_jRbjT5_SX_jjP12ihipStream_tbEUlT_E2_NS1_11comp_targetILNS1_3genE5ELNS1_11target_archE942ELNS1_3gpuE9ELNS1_3repE0EEENS1_30default_config_static_selectorELNS0_4arch9wavefront6targetE0EEEvSL_
; %bb.0:
	.section	.rodata,"a",@progbits
	.p2align	6, 0x0
	.amdhsa_kernel _ZN7rocprim17ROCPRIM_400000_NS6detail17trampoline_kernelINS0_14default_configENS1_36segmented_radix_sort_config_selectorI6__halflEEZNS1_25segmented_radix_sort_implIS3_Lb1EPKS5_PS5_PKlPlN2at6native12_GLOBAL__N_18offset_tEEE10hipError_tPvRmT1_PNSt15iterator_traitsISL_E10value_typeET2_T3_PNSM_ISR_E10value_typeET4_jRbjT5_SX_jjP12ihipStream_tbEUlT_E2_NS1_11comp_targetILNS1_3genE5ELNS1_11target_archE942ELNS1_3gpuE9ELNS1_3repE0EEENS1_30default_config_static_selectorELNS0_4arch9wavefront6targetE0EEEvSL_
		.amdhsa_group_segment_fixed_size 0
		.amdhsa_private_segment_fixed_size 0
		.amdhsa_kernarg_size 80
		.amdhsa_user_sgpr_count 2
		.amdhsa_user_sgpr_dispatch_ptr 0
		.amdhsa_user_sgpr_queue_ptr 0
		.amdhsa_user_sgpr_kernarg_segment_ptr 1
		.amdhsa_user_sgpr_dispatch_id 0
		.amdhsa_user_sgpr_private_segment_size 0
		.amdhsa_wavefront_size32 1
		.amdhsa_uses_dynamic_stack 0
		.amdhsa_enable_private_segment 0
		.amdhsa_system_sgpr_workgroup_id_x 1
		.amdhsa_system_sgpr_workgroup_id_y 0
		.amdhsa_system_sgpr_workgroup_id_z 0
		.amdhsa_system_sgpr_workgroup_info 0
		.amdhsa_system_vgpr_workitem_id 0
		.amdhsa_next_free_vgpr 1
		.amdhsa_next_free_sgpr 1
		.amdhsa_reserve_vcc 0
		.amdhsa_float_round_mode_32 0
		.amdhsa_float_round_mode_16_64 0
		.amdhsa_float_denorm_mode_32 3
		.amdhsa_float_denorm_mode_16_64 3
		.amdhsa_fp16_overflow 0
		.amdhsa_workgroup_processor_mode 1
		.amdhsa_memory_ordered 1
		.amdhsa_forward_progress 1
		.amdhsa_inst_pref_size 0
		.amdhsa_round_robin_scheduling 0
		.amdhsa_exception_fp_ieee_invalid_op 0
		.amdhsa_exception_fp_denorm_src 0
		.amdhsa_exception_fp_ieee_div_zero 0
		.amdhsa_exception_fp_ieee_overflow 0
		.amdhsa_exception_fp_ieee_underflow 0
		.amdhsa_exception_fp_ieee_inexact 0
		.amdhsa_exception_int_div_zero 0
	.end_amdhsa_kernel
	.section	.text._ZN7rocprim17ROCPRIM_400000_NS6detail17trampoline_kernelINS0_14default_configENS1_36segmented_radix_sort_config_selectorI6__halflEEZNS1_25segmented_radix_sort_implIS3_Lb1EPKS5_PS5_PKlPlN2at6native12_GLOBAL__N_18offset_tEEE10hipError_tPvRmT1_PNSt15iterator_traitsISL_E10value_typeET2_T3_PNSM_ISR_E10value_typeET4_jRbjT5_SX_jjP12ihipStream_tbEUlT_E2_NS1_11comp_targetILNS1_3genE5ELNS1_11target_archE942ELNS1_3gpuE9ELNS1_3repE0EEENS1_30default_config_static_selectorELNS0_4arch9wavefront6targetE0EEEvSL_,"axG",@progbits,_ZN7rocprim17ROCPRIM_400000_NS6detail17trampoline_kernelINS0_14default_configENS1_36segmented_radix_sort_config_selectorI6__halflEEZNS1_25segmented_radix_sort_implIS3_Lb1EPKS5_PS5_PKlPlN2at6native12_GLOBAL__N_18offset_tEEE10hipError_tPvRmT1_PNSt15iterator_traitsISL_E10value_typeET2_T3_PNSM_ISR_E10value_typeET4_jRbjT5_SX_jjP12ihipStream_tbEUlT_E2_NS1_11comp_targetILNS1_3genE5ELNS1_11target_archE942ELNS1_3gpuE9ELNS1_3repE0EEENS1_30default_config_static_selectorELNS0_4arch9wavefront6targetE0EEEvSL_,comdat
.Lfunc_end1770:
	.size	_ZN7rocprim17ROCPRIM_400000_NS6detail17trampoline_kernelINS0_14default_configENS1_36segmented_radix_sort_config_selectorI6__halflEEZNS1_25segmented_radix_sort_implIS3_Lb1EPKS5_PS5_PKlPlN2at6native12_GLOBAL__N_18offset_tEEE10hipError_tPvRmT1_PNSt15iterator_traitsISL_E10value_typeET2_T3_PNSM_ISR_E10value_typeET4_jRbjT5_SX_jjP12ihipStream_tbEUlT_E2_NS1_11comp_targetILNS1_3genE5ELNS1_11target_archE942ELNS1_3gpuE9ELNS1_3repE0EEENS1_30default_config_static_selectorELNS0_4arch9wavefront6targetE0EEEvSL_, .Lfunc_end1770-_ZN7rocprim17ROCPRIM_400000_NS6detail17trampoline_kernelINS0_14default_configENS1_36segmented_radix_sort_config_selectorI6__halflEEZNS1_25segmented_radix_sort_implIS3_Lb1EPKS5_PS5_PKlPlN2at6native12_GLOBAL__N_18offset_tEEE10hipError_tPvRmT1_PNSt15iterator_traitsISL_E10value_typeET2_T3_PNSM_ISR_E10value_typeET4_jRbjT5_SX_jjP12ihipStream_tbEUlT_E2_NS1_11comp_targetILNS1_3genE5ELNS1_11target_archE942ELNS1_3gpuE9ELNS1_3repE0EEENS1_30default_config_static_selectorELNS0_4arch9wavefront6targetE0EEEvSL_
                                        ; -- End function
	.set _ZN7rocprim17ROCPRIM_400000_NS6detail17trampoline_kernelINS0_14default_configENS1_36segmented_radix_sort_config_selectorI6__halflEEZNS1_25segmented_radix_sort_implIS3_Lb1EPKS5_PS5_PKlPlN2at6native12_GLOBAL__N_18offset_tEEE10hipError_tPvRmT1_PNSt15iterator_traitsISL_E10value_typeET2_T3_PNSM_ISR_E10value_typeET4_jRbjT5_SX_jjP12ihipStream_tbEUlT_E2_NS1_11comp_targetILNS1_3genE5ELNS1_11target_archE942ELNS1_3gpuE9ELNS1_3repE0EEENS1_30default_config_static_selectorELNS0_4arch9wavefront6targetE0EEEvSL_.num_vgpr, 0
	.set _ZN7rocprim17ROCPRIM_400000_NS6detail17trampoline_kernelINS0_14default_configENS1_36segmented_radix_sort_config_selectorI6__halflEEZNS1_25segmented_radix_sort_implIS3_Lb1EPKS5_PS5_PKlPlN2at6native12_GLOBAL__N_18offset_tEEE10hipError_tPvRmT1_PNSt15iterator_traitsISL_E10value_typeET2_T3_PNSM_ISR_E10value_typeET4_jRbjT5_SX_jjP12ihipStream_tbEUlT_E2_NS1_11comp_targetILNS1_3genE5ELNS1_11target_archE942ELNS1_3gpuE9ELNS1_3repE0EEENS1_30default_config_static_selectorELNS0_4arch9wavefront6targetE0EEEvSL_.num_agpr, 0
	.set _ZN7rocprim17ROCPRIM_400000_NS6detail17trampoline_kernelINS0_14default_configENS1_36segmented_radix_sort_config_selectorI6__halflEEZNS1_25segmented_radix_sort_implIS3_Lb1EPKS5_PS5_PKlPlN2at6native12_GLOBAL__N_18offset_tEEE10hipError_tPvRmT1_PNSt15iterator_traitsISL_E10value_typeET2_T3_PNSM_ISR_E10value_typeET4_jRbjT5_SX_jjP12ihipStream_tbEUlT_E2_NS1_11comp_targetILNS1_3genE5ELNS1_11target_archE942ELNS1_3gpuE9ELNS1_3repE0EEENS1_30default_config_static_selectorELNS0_4arch9wavefront6targetE0EEEvSL_.numbered_sgpr, 0
	.set _ZN7rocprim17ROCPRIM_400000_NS6detail17trampoline_kernelINS0_14default_configENS1_36segmented_radix_sort_config_selectorI6__halflEEZNS1_25segmented_radix_sort_implIS3_Lb1EPKS5_PS5_PKlPlN2at6native12_GLOBAL__N_18offset_tEEE10hipError_tPvRmT1_PNSt15iterator_traitsISL_E10value_typeET2_T3_PNSM_ISR_E10value_typeET4_jRbjT5_SX_jjP12ihipStream_tbEUlT_E2_NS1_11comp_targetILNS1_3genE5ELNS1_11target_archE942ELNS1_3gpuE9ELNS1_3repE0EEENS1_30default_config_static_selectorELNS0_4arch9wavefront6targetE0EEEvSL_.num_named_barrier, 0
	.set _ZN7rocprim17ROCPRIM_400000_NS6detail17trampoline_kernelINS0_14default_configENS1_36segmented_radix_sort_config_selectorI6__halflEEZNS1_25segmented_radix_sort_implIS3_Lb1EPKS5_PS5_PKlPlN2at6native12_GLOBAL__N_18offset_tEEE10hipError_tPvRmT1_PNSt15iterator_traitsISL_E10value_typeET2_T3_PNSM_ISR_E10value_typeET4_jRbjT5_SX_jjP12ihipStream_tbEUlT_E2_NS1_11comp_targetILNS1_3genE5ELNS1_11target_archE942ELNS1_3gpuE9ELNS1_3repE0EEENS1_30default_config_static_selectorELNS0_4arch9wavefront6targetE0EEEvSL_.private_seg_size, 0
	.set _ZN7rocprim17ROCPRIM_400000_NS6detail17trampoline_kernelINS0_14default_configENS1_36segmented_radix_sort_config_selectorI6__halflEEZNS1_25segmented_radix_sort_implIS3_Lb1EPKS5_PS5_PKlPlN2at6native12_GLOBAL__N_18offset_tEEE10hipError_tPvRmT1_PNSt15iterator_traitsISL_E10value_typeET2_T3_PNSM_ISR_E10value_typeET4_jRbjT5_SX_jjP12ihipStream_tbEUlT_E2_NS1_11comp_targetILNS1_3genE5ELNS1_11target_archE942ELNS1_3gpuE9ELNS1_3repE0EEENS1_30default_config_static_selectorELNS0_4arch9wavefront6targetE0EEEvSL_.uses_vcc, 0
	.set _ZN7rocprim17ROCPRIM_400000_NS6detail17trampoline_kernelINS0_14default_configENS1_36segmented_radix_sort_config_selectorI6__halflEEZNS1_25segmented_radix_sort_implIS3_Lb1EPKS5_PS5_PKlPlN2at6native12_GLOBAL__N_18offset_tEEE10hipError_tPvRmT1_PNSt15iterator_traitsISL_E10value_typeET2_T3_PNSM_ISR_E10value_typeET4_jRbjT5_SX_jjP12ihipStream_tbEUlT_E2_NS1_11comp_targetILNS1_3genE5ELNS1_11target_archE942ELNS1_3gpuE9ELNS1_3repE0EEENS1_30default_config_static_selectorELNS0_4arch9wavefront6targetE0EEEvSL_.uses_flat_scratch, 0
	.set _ZN7rocprim17ROCPRIM_400000_NS6detail17trampoline_kernelINS0_14default_configENS1_36segmented_radix_sort_config_selectorI6__halflEEZNS1_25segmented_radix_sort_implIS3_Lb1EPKS5_PS5_PKlPlN2at6native12_GLOBAL__N_18offset_tEEE10hipError_tPvRmT1_PNSt15iterator_traitsISL_E10value_typeET2_T3_PNSM_ISR_E10value_typeET4_jRbjT5_SX_jjP12ihipStream_tbEUlT_E2_NS1_11comp_targetILNS1_3genE5ELNS1_11target_archE942ELNS1_3gpuE9ELNS1_3repE0EEENS1_30default_config_static_selectorELNS0_4arch9wavefront6targetE0EEEvSL_.has_dyn_sized_stack, 0
	.set _ZN7rocprim17ROCPRIM_400000_NS6detail17trampoline_kernelINS0_14default_configENS1_36segmented_radix_sort_config_selectorI6__halflEEZNS1_25segmented_radix_sort_implIS3_Lb1EPKS5_PS5_PKlPlN2at6native12_GLOBAL__N_18offset_tEEE10hipError_tPvRmT1_PNSt15iterator_traitsISL_E10value_typeET2_T3_PNSM_ISR_E10value_typeET4_jRbjT5_SX_jjP12ihipStream_tbEUlT_E2_NS1_11comp_targetILNS1_3genE5ELNS1_11target_archE942ELNS1_3gpuE9ELNS1_3repE0EEENS1_30default_config_static_selectorELNS0_4arch9wavefront6targetE0EEEvSL_.has_recursion, 0
	.set _ZN7rocprim17ROCPRIM_400000_NS6detail17trampoline_kernelINS0_14default_configENS1_36segmented_radix_sort_config_selectorI6__halflEEZNS1_25segmented_radix_sort_implIS3_Lb1EPKS5_PS5_PKlPlN2at6native12_GLOBAL__N_18offset_tEEE10hipError_tPvRmT1_PNSt15iterator_traitsISL_E10value_typeET2_T3_PNSM_ISR_E10value_typeET4_jRbjT5_SX_jjP12ihipStream_tbEUlT_E2_NS1_11comp_targetILNS1_3genE5ELNS1_11target_archE942ELNS1_3gpuE9ELNS1_3repE0EEENS1_30default_config_static_selectorELNS0_4arch9wavefront6targetE0EEEvSL_.has_indirect_call, 0
	.section	.AMDGPU.csdata,"",@progbits
; Kernel info:
; codeLenInByte = 0
; TotalNumSgprs: 0
; NumVgprs: 0
; ScratchSize: 0
; MemoryBound: 0
; FloatMode: 240
; IeeeMode: 1
; LDSByteSize: 0 bytes/workgroup (compile time only)
; SGPRBlocks: 0
; VGPRBlocks: 0
; NumSGPRsForWavesPerEU: 1
; NumVGPRsForWavesPerEU: 1
; Occupancy: 16
; WaveLimiterHint : 0
; COMPUTE_PGM_RSRC2:SCRATCH_EN: 0
; COMPUTE_PGM_RSRC2:USER_SGPR: 2
; COMPUTE_PGM_RSRC2:TRAP_HANDLER: 0
; COMPUTE_PGM_RSRC2:TGID_X_EN: 1
; COMPUTE_PGM_RSRC2:TGID_Y_EN: 0
; COMPUTE_PGM_RSRC2:TGID_Z_EN: 0
; COMPUTE_PGM_RSRC2:TIDIG_COMP_CNT: 0
	.section	.text._ZN7rocprim17ROCPRIM_400000_NS6detail17trampoline_kernelINS0_14default_configENS1_36segmented_radix_sort_config_selectorI6__halflEEZNS1_25segmented_radix_sort_implIS3_Lb1EPKS5_PS5_PKlPlN2at6native12_GLOBAL__N_18offset_tEEE10hipError_tPvRmT1_PNSt15iterator_traitsISL_E10value_typeET2_T3_PNSM_ISR_E10value_typeET4_jRbjT5_SX_jjP12ihipStream_tbEUlT_E2_NS1_11comp_targetILNS1_3genE4ELNS1_11target_archE910ELNS1_3gpuE8ELNS1_3repE0EEENS1_30default_config_static_selectorELNS0_4arch9wavefront6targetE0EEEvSL_,"axG",@progbits,_ZN7rocprim17ROCPRIM_400000_NS6detail17trampoline_kernelINS0_14default_configENS1_36segmented_radix_sort_config_selectorI6__halflEEZNS1_25segmented_radix_sort_implIS3_Lb1EPKS5_PS5_PKlPlN2at6native12_GLOBAL__N_18offset_tEEE10hipError_tPvRmT1_PNSt15iterator_traitsISL_E10value_typeET2_T3_PNSM_ISR_E10value_typeET4_jRbjT5_SX_jjP12ihipStream_tbEUlT_E2_NS1_11comp_targetILNS1_3genE4ELNS1_11target_archE910ELNS1_3gpuE8ELNS1_3repE0EEENS1_30default_config_static_selectorELNS0_4arch9wavefront6targetE0EEEvSL_,comdat
	.globl	_ZN7rocprim17ROCPRIM_400000_NS6detail17trampoline_kernelINS0_14default_configENS1_36segmented_radix_sort_config_selectorI6__halflEEZNS1_25segmented_radix_sort_implIS3_Lb1EPKS5_PS5_PKlPlN2at6native12_GLOBAL__N_18offset_tEEE10hipError_tPvRmT1_PNSt15iterator_traitsISL_E10value_typeET2_T3_PNSM_ISR_E10value_typeET4_jRbjT5_SX_jjP12ihipStream_tbEUlT_E2_NS1_11comp_targetILNS1_3genE4ELNS1_11target_archE910ELNS1_3gpuE8ELNS1_3repE0EEENS1_30default_config_static_selectorELNS0_4arch9wavefront6targetE0EEEvSL_ ; -- Begin function _ZN7rocprim17ROCPRIM_400000_NS6detail17trampoline_kernelINS0_14default_configENS1_36segmented_radix_sort_config_selectorI6__halflEEZNS1_25segmented_radix_sort_implIS3_Lb1EPKS5_PS5_PKlPlN2at6native12_GLOBAL__N_18offset_tEEE10hipError_tPvRmT1_PNSt15iterator_traitsISL_E10value_typeET2_T3_PNSM_ISR_E10value_typeET4_jRbjT5_SX_jjP12ihipStream_tbEUlT_E2_NS1_11comp_targetILNS1_3genE4ELNS1_11target_archE910ELNS1_3gpuE8ELNS1_3repE0EEENS1_30default_config_static_selectorELNS0_4arch9wavefront6targetE0EEEvSL_
	.p2align	8
	.type	_ZN7rocprim17ROCPRIM_400000_NS6detail17trampoline_kernelINS0_14default_configENS1_36segmented_radix_sort_config_selectorI6__halflEEZNS1_25segmented_radix_sort_implIS3_Lb1EPKS5_PS5_PKlPlN2at6native12_GLOBAL__N_18offset_tEEE10hipError_tPvRmT1_PNSt15iterator_traitsISL_E10value_typeET2_T3_PNSM_ISR_E10value_typeET4_jRbjT5_SX_jjP12ihipStream_tbEUlT_E2_NS1_11comp_targetILNS1_3genE4ELNS1_11target_archE910ELNS1_3gpuE8ELNS1_3repE0EEENS1_30default_config_static_selectorELNS0_4arch9wavefront6targetE0EEEvSL_,@function
_ZN7rocprim17ROCPRIM_400000_NS6detail17trampoline_kernelINS0_14default_configENS1_36segmented_radix_sort_config_selectorI6__halflEEZNS1_25segmented_radix_sort_implIS3_Lb1EPKS5_PS5_PKlPlN2at6native12_GLOBAL__N_18offset_tEEE10hipError_tPvRmT1_PNSt15iterator_traitsISL_E10value_typeET2_T3_PNSM_ISR_E10value_typeET4_jRbjT5_SX_jjP12ihipStream_tbEUlT_E2_NS1_11comp_targetILNS1_3genE4ELNS1_11target_archE910ELNS1_3gpuE8ELNS1_3repE0EEENS1_30default_config_static_selectorELNS0_4arch9wavefront6targetE0EEEvSL_: ; @_ZN7rocprim17ROCPRIM_400000_NS6detail17trampoline_kernelINS0_14default_configENS1_36segmented_radix_sort_config_selectorI6__halflEEZNS1_25segmented_radix_sort_implIS3_Lb1EPKS5_PS5_PKlPlN2at6native12_GLOBAL__N_18offset_tEEE10hipError_tPvRmT1_PNSt15iterator_traitsISL_E10value_typeET2_T3_PNSM_ISR_E10value_typeET4_jRbjT5_SX_jjP12ihipStream_tbEUlT_E2_NS1_11comp_targetILNS1_3genE4ELNS1_11target_archE910ELNS1_3gpuE8ELNS1_3repE0EEENS1_30default_config_static_selectorELNS0_4arch9wavefront6targetE0EEEvSL_
; %bb.0:
	.section	.rodata,"a",@progbits
	.p2align	6, 0x0
	.amdhsa_kernel _ZN7rocprim17ROCPRIM_400000_NS6detail17trampoline_kernelINS0_14default_configENS1_36segmented_radix_sort_config_selectorI6__halflEEZNS1_25segmented_radix_sort_implIS3_Lb1EPKS5_PS5_PKlPlN2at6native12_GLOBAL__N_18offset_tEEE10hipError_tPvRmT1_PNSt15iterator_traitsISL_E10value_typeET2_T3_PNSM_ISR_E10value_typeET4_jRbjT5_SX_jjP12ihipStream_tbEUlT_E2_NS1_11comp_targetILNS1_3genE4ELNS1_11target_archE910ELNS1_3gpuE8ELNS1_3repE0EEENS1_30default_config_static_selectorELNS0_4arch9wavefront6targetE0EEEvSL_
		.amdhsa_group_segment_fixed_size 0
		.amdhsa_private_segment_fixed_size 0
		.amdhsa_kernarg_size 80
		.amdhsa_user_sgpr_count 2
		.amdhsa_user_sgpr_dispatch_ptr 0
		.amdhsa_user_sgpr_queue_ptr 0
		.amdhsa_user_sgpr_kernarg_segment_ptr 1
		.amdhsa_user_sgpr_dispatch_id 0
		.amdhsa_user_sgpr_private_segment_size 0
		.amdhsa_wavefront_size32 1
		.amdhsa_uses_dynamic_stack 0
		.amdhsa_enable_private_segment 0
		.amdhsa_system_sgpr_workgroup_id_x 1
		.amdhsa_system_sgpr_workgroup_id_y 0
		.amdhsa_system_sgpr_workgroup_id_z 0
		.amdhsa_system_sgpr_workgroup_info 0
		.amdhsa_system_vgpr_workitem_id 0
		.amdhsa_next_free_vgpr 1
		.amdhsa_next_free_sgpr 1
		.amdhsa_reserve_vcc 0
		.amdhsa_float_round_mode_32 0
		.amdhsa_float_round_mode_16_64 0
		.amdhsa_float_denorm_mode_32 3
		.amdhsa_float_denorm_mode_16_64 3
		.amdhsa_fp16_overflow 0
		.amdhsa_workgroup_processor_mode 1
		.amdhsa_memory_ordered 1
		.amdhsa_forward_progress 1
		.amdhsa_inst_pref_size 0
		.amdhsa_round_robin_scheduling 0
		.amdhsa_exception_fp_ieee_invalid_op 0
		.amdhsa_exception_fp_denorm_src 0
		.amdhsa_exception_fp_ieee_div_zero 0
		.amdhsa_exception_fp_ieee_overflow 0
		.amdhsa_exception_fp_ieee_underflow 0
		.amdhsa_exception_fp_ieee_inexact 0
		.amdhsa_exception_int_div_zero 0
	.end_amdhsa_kernel
	.section	.text._ZN7rocprim17ROCPRIM_400000_NS6detail17trampoline_kernelINS0_14default_configENS1_36segmented_radix_sort_config_selectorI6__halflEEZNS1_25segmented_radix_sort_implIS3_Lb1EPKS5_PS5_PKlPlN2at6native12_GLOBAL__N_18offset_tEEE10hipError_tPvRmT1_PNSt15iterator_traitsISL_E10value_typeET2_T3_PNSM_ISR_E10value_typeET4_jRbjT5_SX_jjP12ihipStream_tbEUlT_E2_NS1_11comp_targetILNS1_3genE4ELNS1_11target_archE910ELNS1_3gpuE8ELNS1_3repE0EEENS1_30default_config_static_selectorELNS0_4arch9wavefront6targetE0EEEvSL_,"axG",@progbits,_ZN7rocprim17ROCPRIM_400000_NS6detail17trampoline_kernelINS0_14default_configENS1_36segmented_radix_sort_config_selectorI6__halflEEZNS1_25segmented_radix_sort_implIS3_Lb1EPKS5_PS5_PKlPlN2at6native12_GLOBAL__N_18offset_tEEE10hipError_tPvRmT1_PNSt15iterator_traitsISL_E10value_typeET2_T3_PNSM_ISR_E10value_typeET4_jRbjT5_SX_jjP12ihipStream_tbEUlT_E2_NS1_11comp_targetILNS1_3genE4ELNS1_11target_archE910ELNS1_3gpuE8ELNS1_3repE0EEENS1_30default_config_static_selectorELNS0_4arch9wavefront6targetE0EEEvSL_,comdat
.Lfunc_end1771:
	.size	_ZN7rocprim17ROCPRIM_400000_NS6detail17trampoline_kernelINS0_14default_configENS1_36segmented_radix_sort_config_selectorI6__halflEEZNS1_25segmented_radix_sort_implIS3_Lb1EPKS5_PS5_PKlPlN2at6native12_GLOBAL__N_18offset_tEEE10hipError_tPvRmT1_PNSt15iterator_traitsISL_E10value_typeET2_T3_PNSM_ISR_E10value_typeET4_jRbjT5_SX_jjP12ihipStream_tbEUlT_E2_NS1_11comp_targetILNS1_3genE4ELNS1_11target_archE910ELNS1_3gpuE8ELNS1_3repE0EEENS1_30default_config_static_selectorELNS0_4arch9wavefront6targetE0EEEvSL_, .Lfunc_end1771-_ZN7rocprim17ROCPRIM_400000_NS6detail17trampoline_kernelINS0_14default_configENS1_36segmented_radix_sort_config_selectorI6__halflEEZNS1_25segmented_radix_sort_implIS3_Lb1EPKS5_PS5_PKlPlN2at6native12_GLOBAL__N_18offset_tEEE10hipError_tPvRmT1_PNSt15iterator_traitsISL_E10value_typeET2_T3_PNSM_ISR_E10value_typeET4_jRbjT5_SX_jjP12ihipStream_tbEUlT_E2_NS1_11comp_targetILNS1_3genE4ELNS1_11target_archE910ELNS1_3gpuE8ELNS1_3repE0EEENS1_30default_config_static_selectorELNS0_4arch9wavefront6targetE0EEEvSL_
                                        ; -- End function
	.set _ZN7rocprim17ROCPRIM_400000_NS6detail17trampoline_kernelINS0_14default_configENS1_36segmented_radix_sort_config_selectorI6__halflEEZNS1_25segmented_radix_sort_implIS3_Lb1EPKS5_PS5_PKlPlN2at6native12_GLOBAL__N_18offset_tEEE10hipError_tPvRmT1_PNSt15iterator_traitsISL_E10value_typeET2_T3_PNSM_ISR_E10value_typeET4_jRbjT5_SX_jjP12ihipStream_tbEUlT_E2_NS1_11comp_targetILNS1_3genE4ELNS1_11target_archE910ELNS1_3gpuE8ELNS1_3repE0EEENS1_30default_config_static_selectorELNS0_4arch9wavefront6targetE0EEEvSL_.num_vgpr, 0
	.set _ZN7rocprim17ROCPRIM_400000_NS6detail17trampoline_kernelINS0_14default_configENS1_36segmented_radix_sort_config_selectorI6__halflEEZNS1_25segmented_radix_sort_implIS3_Lb1EPKS5_PS5_PKlPlN2at6native12_GLOBAL__N_18offset_tEEE10hipError_tPvRmT1_PNSt15iterator_traitsISL_E10value_typeET2_T3_PNSM_ISR_E10value_typeET4_jRbjT5_SX_jjP12ihipStream_tbEUlT_E2_NS1_11comp_targetILNS1_3genE4ELNS1_11target_archE910ELNS1_3gpuE8ELNS1_3repE0EEENS1_30default_config_static_selectorELNS0_4arch9wavefront6targetE0EEEvSL_.num_agpr, 0
	.set _ZN7rocprim17ROCPRIM_400000_NS6detail17trampoline_kernelINS0_14default_configENS1_36segmented_radix_sort_config_selectorI6__halflEEZNS1_25segmented_radix_sort_implIS3_Lb1EPKS5_PS5_PKlPlN2at6native12_GLOBAL__N_18offset_tEEE10hipError_tPvRmT1_PNSt15iterator_traitsISL_E10value_typeET2_T3_PNSM_ISR_E10value_typeET4_jRbjT5_SX_jjP12ihipStream_tbEUlT_E2_NS1_11comp_targetILNS1_3genE4ELNS1_11target_archE910ELNS1_3gpuE8ELNS1_3repE0EEENS1_30default_config_static_selectorELNS0_4arch9wavefront6targetE0EEEvSL_.numbered_sgpr, 0
	.set _ZN7rocprim17ROCPRIM_400000_NS6detail17trampoline_kernelINS0_14default_configENS1_36segmented_radix_sort_config_selectorI6__halflEEZNS1_25segmented_radix_sort_implIS3_Lb1EPKS5_PS5_PKlPlN2at6native12_GLOBAL__N_18offset_tEEE10hipError_tPvRmT1_PNSt15iterator_traitsISL_E10value_typeET2_T3_PNSM_ISR_E10value_typeET4_jRbjT5_SX_jjP12ihipStream_tbEUlT_E2_NS1_11comp_targetILNS1_3genE4ELNS1_11target_archE910ELNS1_3gpuE8ELNS1_3repE0EEENS1_30default_config_static_selectorELNS0_4arch9wavefront6targetE0EEEvSL_.num_named_barrier, 0
	.set _ZN7rocprim17ROCPRIM_400000_NS6detail17trampoline_kernelINS0_14default_configENS1_36segmented_radix_sort_config_selectorI6__halflEEZNS1_25segmented_radix_sort_implIS3_Lb1EPKS5_PS5_PKlPlN2at6native12_GLOBAL__N_18offset_tEEE10hipError_tPvRmT1_PNSt15iterator_traitsISL_E10value_typeET2_T3_PNSM_ISR_E10value_typeET4_jRbjT5_SX_jjP12ihipStream_tbEUlT_E2_NS1_11comp_targetILNS1_3genE4ELNS1_11target_archE910ELNS1_3gpuE8ELNS1_3repE0EEENS1_30default_config_static_selectorELNS0_4arch9wavefront6targetE0EEEvSL_.private_seg_size, 0
	.set _ZN7rocprim17ROCPRIM_400000_NS6detail17trampoline_kernelINS0_14default_configENS1_36segmented_radix_sort_config_selectorI6__halflEEZNS1_25segmented_radix_sort_implIS3_Lb1EPKS5_PS5_PKlPlN2at6native12_GLOBAL__N_18offset_tEEE10hipError_tPvRmT1_PNSt15iterator_traitsISL_E10value_typeET2_T3_PNSM_ISR_E10value_typeET4_jRbjT5_SX_jjP12ihipStream_tbEUlT_E2_NS1_11comp_targetILNS1_3genE4ELNS1_11target_archE910ELNS1_3gpuE8ELNS1_3repE0EEENS1_30default_config_static_selectorELNS0_4arch9wavefront6targetE0EEEvSL_.uses_vcc, 0
	.set _ZN7rocprim17ROCPRIM_400000_NS6detail17trampoline_kernelINS0_14default_configENS1_36segmented_radix_sort_config_selectorI6__halflEEZNS1_25segmented_radix_sort_implIS3_Lb1EPKS5_PS5_PKlPlN2at6native12_GLOBAL__N_18offset_tEEE10hipError_tPvRmT1_PNSt15iterator_traitsISL_E10value_typeET2_T3_PNSM_ISR_E10value_typeET4_jRbjT5_SX_jjP12ihipStream_tbEUlT_E2_NS1_11comp_targetILNS1_3genE4ELNS1_11target_archE910ELNS1_3gpuE8ELNS1_3repE0EEENS1_30default_config_static_selectorELNS0_4arch9wavefront6targetE0EEEvSL_.uses_flat_scratch, 0
	.set _ZN7rocprim17ROCPRIM_400000_NS6detail17trampoline_kernelINS0_14default_configENS1_36segmented_radix_sort_config_selectorI6__halflEEZNS1_25segmented_radix_sort_implIS3_Lb1EPKS5_PS5_PKlPlN2at6native12_GLOBAL__N_18offset_tEEE10hipError_tPvRmT1_PNSt15iterator_traitsISL_E10value_typeET2_T3_PNSM_ISR_E10value_typeET4_jRbjT5_SX_jjP12ihipStream_tbEUlT_E2_NS1_11comp_targetILNS1_3genE4ELNS1_11target_archE910ELNS1_3gpuE8ELNS1_3repE0EEENS1_30default_config_static_selectorELNS0_4arch9wavefront6targetE0EEEvSL_.has_dyn_sized_stack, 0
	.set _ZN7rocprim17ROCPRIM_400000_NS6detail17trampoline_kernelINS0_14default_configENS1_36segmented_radix_sort_config_selectorI6__halflEEZNS1_25segmented_radix_sort_implIS3_Lb1EPKS5_PS5_PKlPlN2at6native12_GLOBAL__N_18offset_tEEE10hipError_tPvRmT1_PNSt15iterator_traitsISL_E10value_typeET2_T3_PNSM_ISR_E10value_typeET4_jRbjT5_SX_jjP12ihipStream_tbEUlT_E2_NS1_11comp_targetILNS1_3genE4ELNS1_11target_archE910ELNS1_3gpuE8ELNS1_3repE0EEENS1_30default_config_static_selectorELNS0_4arch9wavefront6targetE0EEEvSL_.has_recursion, 0
	.set _ZN7rocprim17ROCPRIM_400000_NS6detail17trampoline_kernelINS0_14default_configENS1_36segmented_radix_sort_config_selectorI6__halflEEZNS1_25segmented_radix_sort_implIS3_Lb1EPKS5_PS5_PKlPlN2at6native12_GLOBAL__N_18offset_tEEE10hipError_tPvRmT1_PNSt15iterator_traitsISL_E10value_typeET2_T3_PNSM_ISR_E10value_typeET4_jRbjT5_SX_jjP12ihipStream_tbEUlT_E2_NS1_11comp_targetILNS1_3genE4ELNS1_11target_archE910ELNS1_3gpuE8ELNS1_3repE0EEENS1_30default_config_static_selectorELNS0_4arch9wavefront6targetE0EEEvSL_.has_indirect_call, 0
	.section	.AMDGPU.csdata,"",@progbits
; Kernel info:
; codeLenInByte = 0
; TotalNumSgprs: 0
; NumVgprs: 0
; ScratchSize: 0
; MemoryBound: 0
; FloatMode: 240
; IeeeMode: 1
; LDSByteSize: 0 bytes/workgroup (compile time only)
; SGPRBlocks: 0
; VGPRBlocks: 0
; NumSGPRsForWavesPerEU: 1
; NumVGPRsForWavesPerEU: 1
; Occupancy: 16
; WaveLimiterHint : 0
; COMPUTE_PGM_RSRC2:SCRATCH_EN: 0
; COMPUTE_PGM_RSRC2:USER_SGPR: 2
; COMPUTE_PGM_RSRC2:TRAP_HANDLER: 0
; COMPUTE_PGM_RSRC2:TGID_X_EN: 1
; COMPUTE_PGM_RSRC2:TGID_Y_EN: 0
; COMPUTE_PGM_RSRC2:TGID_Z_EN: 0
; COMPUTE_PGM_RSRC2:TIDIG_COMP_CNT: 0
	.section	.text._ZN7rocprim17ROCPRIM_400000_NS6detail17trampoline_kernelINS0_14default_configENS1_36segmented_radix_sort_config_selectorI6__halflEEZNS1_25segmented_radix_sort_implIS3_Lb1EPKS5_PS5_PKlPlN2at6native12_GLOBAL__N_18offset_tEEE10hipError_tPvRmT1_PNSt15iterator_traitsISL_E10value_typeET2_T3_PNSM_ISR_E10value_typeET4_jRbjT5_SX_jjP12ihipStream_tbEUlT_E2_NS1_11comp_targetILNS1_3genE3ELNS1_11target_archE908ELNS1_3gpuE7ELNS1_3repE0EEENS1_30default_config_static_selectorELNS0_4arch9wavefront6targetE0EEEvSL_,"axG",@progbits,_ZN7rocprim17ROCPRIM_400000_NS6detail17trampoline_kernelINS0_14default_configENS1_36segmented_radix_sort_config_selectorI6__halflEEZNS1_25segmented_radix_sort_implIS3_Lb1EPKS5_PS5_PKlPlN2at6native12_GLOBAL__N_18offset_tEEE10hipError_tPvRmT1_PNSt15iterator_traitsISL_E10value_typeET2_T3_PNSM_ISR_E10value_typeET4_jRbjT5_SX_jjP12ihipStream_tbEUlT_E2_NS1_11comp_targetILNS1_3genE3ELNS1_11target_archE908ELNS1_3gpuE7ELNS1_3repE0EEENS1_30default_config_static_selectorELNS0_4arch9wavefront6targetE0EEEvSL_,comdat
	.globl	_ZN7rocprim17ROCPRIM_400000_NS6detail17trampoline_kernelINS0_14default_configENS1_36segmented_radix_sort_config_selectorI6__halflEEZNS1_25segmented_radix_sort_implIS3_Lb1EPKS5_PS5_PKlPlN2at6native12_GLOBAL__N_18offset_tEEE10hipError_tPvRmT1_PNSt15iterator_traitsISL_E10value_typeET2_T3_PNSM_ISR_E10value_typeET4_jRbjT5_SX_jjP12ihipStream_tbEUlT_E2_NS1_11comp_targetILNS1_3genE3ELNS1_11target_archE908ELNS1_3gpuE7ELNS1_3repE0EEENS1_30default_config_static_selectorELNS0_4arch9wavefront6targetE0EEEvSL_ ; -- Begin function _ZN7rocprim17ROCPRIM_400000_NS6detail17trampoline_kernelINS0_14default_configENS1_36segmented_radix_sort_config_selectorI6__halflEEZNS1_25segmented_radix_sort_implIS3_Lb1EPKS5_PS5_PKlPlN2at6native12_GLOBAL__N_18offset_tEEE10hipError_tPvRmT1_PNSt15iterator_traitsISL_E10value_typeET2_T3_PNSM_ISR_E10value_typeET4_jRbjT5_SX_jjP12ihipStream_tbEUlT_E2_NS1_11comp_targetILNS1_3genE3ELNS1_11target_archE908ELNS1_3gpuE7ELNS1_3repE0EEENS1_30default_config_static_selectorELNS0_4arch9wavefront6targetE0EEEvSL_
	.p2align	8
	.type	_ZN7rocprim17ROCPRIM_400000_NS6detail17trampoline_kernelINS0_14default_configENS1_36segmented_radix_sort_config_selectorI6__halflEEZNS1_25segmented_radix_sort_implIS3_Lb1EPKS5_PS5_PKlPlN2at6native12_GLOBAL__N_18offset_tEEE10hipError_tPvRmT1_PNSt15iterator_traitsISL_E10value_typeET2_T3_PNSM_ISR_E10value_typeET4_jRbjT5_SX_jjP12ihipStream_tbEUlT_E2_NS1_11comp_targetILNS1_3genE3ELNS1_11target_archE908ELNS1_3gpuE7ELNS1_3repE0EEENS1_30default_config_static_selectorELNS0_4arch9wavefront6targetE0EEEvSL_,@function
_ZN7rocprim17ROCPRIM_400000_NS6detail17trampoline_kernelINS0_14default_configENS1_36segmented_radix_sort_config_selectorI6__halflEEZNS1_25segmented_radix_sort_implIS3_Lb1EPKS5_PS5_PKlPlN2at6native12_GLOBAL__N_18offset_tEEE10hipError_tPvRmT1_PNSt15iterator_traitsISL_E10value_typeET2_T3_PNSM_ISR_E10value_typeET4_jRbjT5_SX_jjP12ihipStream_tbEUlT_E2_NS1_11comp_targetILNS1_3genE3ELNS1_11target_archE908ELNS1_3gpuE7ELNS1_3repE0EEENS1_30default_config_static_selectorELNS0_4arch9wavefront6targetE0EEEvSL_: ; @_ZN7rocprim17ROCPRIM_400000_NS6detail17trampoline_kernelINS0_14default_configENS1_36segmented_radix_sort_config_selectorI6__halflEEZNS1_25segmented_radix_sort_implIS3_Lb1EPKS5_PS5_PKlPlN2at6native12_GLOBAL__N_18offset_tEEE10hipError_tPvRmT1_PNSt15iterator_traitsISL_E10value_typeET2_T3_PNSM_ISR_E10value_typeET4_jRbjT5_SX_jjP12ihipStream_tbEUlT_E2_NS1_11comp_targetILNS1_3genE3ELNS1_11target_archE908ELNS1_3gpuE7ELNS1_3repE0EEENS1_30default_config_static_selectorELNS0_4arch9wavefront6targetE0EEEvSL_
; %bb.0:
	.section	.rodata,"a",@progbits
	.p2align	6, 0x0
	.amdhsa_kernel _ZN7rocprim17ROCPRIM_400000_NS6detail17trampoline_kernelINS0_14default_configENS1_36segmented_radix_sort_config_selectorI6__halflEEZNS1_25segmented_radix_sort_implIS3_Lb1EPKS5_PS5_PKlPlN2at6native12_GLOBAL__N_18offset_tEEE10hipError_tPvRmT1_PNSt15iterator_traitsISL_E10value_typeET2_T3_PNSM_ISR_E10value_typeET4_jRbjT5_SX_jjP12ihipStream_tbEUlT_E2_NS1_11comp_targetILNS1_3genE3ELNS1_11target_archE908ELNS1_3gpuE7ELNS1_3repE0EEENS1_30default_config_static_selectorELNS0_4arch9wavefront6targetE0EEEvSL_
		.amdhsa_group_segment_fixed_size 0
		.amdhsa_private_segment_fixed_size 0
		.amdhsa_kernarg_size 80
		.amdhsa_user_sgpr_count 2
		.amdhsa_user_sgpr_dispatch_ptr 0
		.amdhsa_user_sgpr_queue_ptr 0
		.amdhsa_user_sgpr_kernarg_segment_ptr 1
		.amdhsa_user_sgpr_dispatch_id 0
		.amdhsa_user_sgpr_private_segment_size 0
		.amdhsa_wavefront_size32 1
		.amdhsa_uses_dynamic_stack 0
		.amdhsa_enable_private_segment 0
		.amdhsa_system_sgpr_workgroup_id_x 1
		.amdhsa_system_sgpr_workgroup_id_y 0
		.amdhsa_system_sgpr_workgroup_id_z 0
		.amdhsa_system_sgpr_workgroup_info 0
		.amdhsa_system_vgpr_workitem_id 0
		.amdhsa_next_free_vgpr 1
		.amdhsa_next_free_sgpr 1
		.amdhsa_reserve_vcc 0
		.amdhsa_float_round_mode_32 0
		.amdhsa_float_round_mode_16_64 0
		.amdhsa_float_denorm_mode_32 3
		.amdhsa_float_denorm_mode_16_64 3
		.amdhsa_fp16_overflow 0
		.amdhsa_workgroup_processor_mode 1
		.amdhsa_memory_ordered 1
		.amdhsa_forward_progress 1
		.amdhsa_inst_pref_size 0
		.amdhsa_round_robin_scheduling 0
		.amdhsa_exception_fp_ieee_invalid_op 0
		.amdhsa_exception_fp_denorm_src 0
		.amdhsa_exception_fp_ieee_div_zero 0
		.amdhsa_exception_fp_ieee_overflow 0
		.amdhsa_exception_fp_ieee_underflow 0
		.amdhsa_exception_fp_ieee_inexact 0
		.amdhsa_exception_int_div_zero 0
	.end_amdhsa_kernel
	.section	.text._ZN7rocprim17ROCPRIM_400000_NS6detail17trampoline_kernelINS0_14default_configENS1_36segmented_radix_sort_config_selectorI6__halflEEZNS1_25segmented_radix_sort_implIS3_Lb1EPKS5_PS5_PKlPlN2at6native12_GLOBAL__N_18offset_tEEE10hipError_tPvRmT1_PNSt15iterator_traitsISL_E10value_typeET2_T3_PNSM_ISR_E10value_typeET4_jRbjT5_SX_jjP12ihipStream_tbEUlT_E2_NS1_11comp_targetILNS1_3genE3ELNS1_11target_archE908ELNS1_3gpuE7ELNS1_3repE0EEENS1_30default_config_static_selectorELNS0_4arch9wavefront6targetE0EEEvSL_,"axG",@progbits,_ZN7rocprim17ROCPRIM_400000_NS6detail17trampoline_kernelINS0_14default_configENS1_36segmented_radix_sort_config_selectorI6__halflEEZNS1_25segmented_radix_sort_implIS3_Lb1EPKS5_PS5_PKlPlN2at6native12_GLOBAL__N_18offset_tEEE10hipError_tPvRmT1_PNSt15iterator_traitsISL_E10value_typeET2_T3_PNSM_ISR_E10value_typeET4_jRbjT5_SX_jjP12ihipStream_tbEUlT_E2_NS1_11comp_targetILNS1_3genE3ELNS1_11target_archE908ELNS1_3gpuE7ELNS1_3repE0EEENS1_30default_config_static_selectorELNS0_4arch9wavefront6targetE0EEEvSL_,comdat
.Lfunc_end1772:
	.size	_ZN7rocprim17ROCPRIM_400000_NS6detail17trampoline_kernelINS0_14default_configENS1_36segmented_radix_sort_config_selectorI6__halflEEZNS1_25segmented_radix_sort_implIS3_Lb1EPKS5_PS5_PKlPlN2at6native12_GLOBAL__N_18offset_tEEE10hipError_tPvRmT1_PNSt15iterator_traitsISL_E10value_typeET2_T3_PNSM_ISR_E10value_typeET4_jRbjT5_SX_jjP12ihipStream_tbEUlT_E2_NS1_11comp_targetILNS1_3genE3ELNS1_11target_archE908ELNS1_3gpuE7ELNS1_3repE0EEENS1_30default_config_static_selectorELNS0_4arch9wavefront6targetE0EEEvSL_, .Lfunc_end1772-_ZN7rocprim17ROCPRIM_400000_NS6detail17trampoline_kernelINS0_14default_configENS1_36segmented_radix_sort_config_selectorI6__halflEEZNS1_25segmented_radix_sort_implIS3_Lb1EPKS5_PS5_PKlPlN2at6native12_GLOBAL__N_18offset_tEEE10hipError_tPvRmT1_PNSt15iterator_traitsISL_E10value_typeET2_T3_PNSM_ISR_E10value_typeET4_jRbjT5_SX_jjP12ihipStream_tbEUlT_E2_NS1_11comp_targetILNS1_3genE3ELNS1_11target_archE908ELNS1_3gpuE7ELNS1_3repE0EEENS1_30default_config_static_selectorELNS0_4arch9wavefront6targetE0EEEvSL_
                                        ; -- End function
	.set _ZN7rocprim17ROCPRIM_400000_NS6detail17trampoline_kernelINS0_14default_configENS1_36segmented_radix_sort_config_selectorI6__halflEEZNS1_25segmented_radix_sort_implIS3_Lb1EPKS5_PS5_PKlPlN2at6native12_GLOBAL__N_18offset_tEEE10hipError_tPvRmT1_PNSt15iterator_traitsISL_E10value_typeET2_T3_PNSM_ISR_E10value_typeET4_jRbjT5_SX_jjP12ihipStream_tbEUlT_E2_NS1_11comp_targetILNS1_3genE3ELNS1_11target_archE908ELNS1_3gpuE7ELNS1_3repE0EEENS1_30default_config_static_selectorELNS0_4arch9wavefront6targetE0EEEvSL_.num_vgpr, 0
	.set _ZN7rocprim17ROCPRIM_400000_NS6detail17trampoline_kernelINS0_14default_configENS1_36segmented_radix_sort_config_selectorI6__halflEEZNS1_25segmented_radix_sort_implIS3_Lb1EPKS5_PS5_PKlPlN2at6native12_GLOBAL__N_18offset_tEEE10hipError_tPvRmT1_PNSt15iterator_traitsISL_E10value_typeET2_T3_PNSM_ISR_E10value_typeET4_jRbjT5_SX_jjP12ihipStream_tbEUlT_E2_NS1_11comp_targetILNS1_3genE3ELNS1_11target_archE908ELNS1_3gpuE7ELNS1_3repE0EEENS1_30default_config_static_selectorELNS0_4arch9wavefront6targetE0EEEvSL_.num_agpr, 0
	.set _ZN7rocprim17ROCPRIM_400000_NS6detail17trampoline_kernelINS0_14default_configENS1_36segmented_radix_sort_config_selectorI6__halflEEZNS1_25segmented_radix_sort_implIS3_Lb1EPKS5_PS5_PKlPlN2at6native12_GLOBAL__N_18offset_tEEE10hipError_tPvRmT1_PNSt15iterator_traitsISL_E10value_typeET2_T3_PNSM_ISR_E10value_typeET4_jRbjT5_SX_jjP12ihipStream_tbEUlT_E2_NS1_11comp_targetILNS1_3genE3ELNS1_11target_archE908ELNS1_3gpuE7ELNS1_3repE0EEENS1_30default_config_static_selectorELNS0_4arch9wavefront6targetE0EEEvSL_.numbered_sgpr, 0
	.set _ZN7rocprim17ROCPRIM_400000_NS6detail17trampoline_kernelINS0_14default_configENS1_36segmented_radix_sort_config_selectorI6__halflEEZNS1_25segmented_radix_sort_implIS3_Lb1EPKS5_PS5_PKlPlN2at6native12_GLOBAL__N_18offset_tEEE10hipError_tPvRmT1_PNSt15iterator_traitsISL_E10value_typeET2_T3_PNSM_ISR_E10value_typeET4_jRbjT5_SX_jjP12ihipStream_tbEUlT_E2_NS1_11comp_targetILNS1_3genE3ELNS1_11target_archE908ELNS1_3gpuE7ELNS1_3repE0EEENS1_30default_config_static_selectorELNS0_4arch9wavefront6targetE0EEEvSL_.num_named_barrier, 0
	.set _ZN7rocprim17ROCPRIM_400000_NS6detail17trampoline_kernelINS0_14default_configENS1_36segmented_radix_sort_config_selectorI6__halflEEZNS1_25segmented_radix_sort_implIS3_Lb1EPKS5_PS5_PKlPlN2at6native12_GLOBAL__N_18offset_tEEE10hipError_tPvRmT1_PNSt15iterator_traitsISL_E10value_typeET2_T3_PNSM_ISR_E10value_typeET4_jRbjT5_SX_jjP12ihipStream_tbEUlT_E2_NS1_11comp_targetILNS1_3genE3ELNS1_11target_archE908ELNS1_3gpuE7ELNS1_3repE0EEENS1_30default_config_static_selectorELNS0_4arch9wavefront6targetE0EEEvSL_.private_seg_size, 0
	.set _ZN7rocprim17ROCPRIM_400000_NS6detail17trampoline_kernelINS0_14default_configENS1_36segmented_radix_sort_config_selectorI6__halflEEZNS1_25segmented_radix_sort_implIS3_Lb1EPKS5_PS5_PKlPlN2at6native12_GLOBAL__N_18offset_tEEE10hipError_tPvRmT1_PNSt15iterator_traitsISL_E10value_typeET2_T3_PNSM_ISR_E10value_typeET4_jRbjT5_SX_jjP12ihipStream_tbEUlT_E2_NS1_11comp_targetILNS1_3genE3ELNS1_11target_archE908ELNS1_3gpuE7ELNS1_3repE0EEENS1_30default_config_static_selectorELNS0_4arch9wavefront6targetE0EEEvSL_.uses_vcc, 0
	.set _ZN7rocprim17ROCPRIM_400000_NS6detail17trampoline_kernelINS0_14default_configENS1_36segmented_radix_sort_config_selectorI6__halflEEZNS1_25segmented_radix_sort_implIS3_Lb1EPKS5_PS5_PKlPlN2at6native12_GLOBAL__N_18offset_tEEE10hipError_tPvRmT1_PNSt15iterator_traitsISL_E10value_typeET2_T3_PNSM_ISR_E10value_typeET4_jRbjT5_SX_jjP12ihipStream_tbEUlT_E2_NS1_11comp_targetILNS1_3genE3ELNS1_11target_archE908ELNS1_3gpuE7ELNS1_3repE0EEENS1_30default_config_static_selectorELNS0_4arch9wavefront6targetE0EEEvSL_.uses_flat_scratch, 0
	.set _ZN7rocprim17ROCPRIM_400000_NS6detail17trampoline_kernelINS0_14default_configENS1_36segmented_radix_sort_config_selectorI6__halflEEZNS1_25segmented_radix_sort_implIS3_Lb1EPKS5_PS5_PKlPlN2at6native12_GLOBAL__N_18offset_tEEE10hipError_tPvRmT1_PNSt15iterator_traitsISL_E10value_typeET2_T3_PNSM_ISR_E10value_typeET4_jRbjT5_SX_jjP12ihipStream_tbEUlT_E2_NS1_11comp_targetILNS1_3genE3ELNS1_11target_archE908ELNS1_3gpuE7ELNS1_3repE0EEENS1_30default_config_static_selectorELNS0_4arch9wavefront6targetE0EEEvSL_.has_dyn_sized_stack, 0
	.set _ZN7rocprim17ROCPRIM_400000_NS6detail17trampoline_kernelINS0_14default_configENS1_36segmented_radix_sort_config_selectorI6__halflEEZNS1_25segmented_radix_sort_implIS3_Lb1EPKS5_PS5_PKlPlN2at6native12_GLOBAL__N_18offset_tEEE10hipError_tPvRmT1_PNSt15iterator_traitsISL_E10value_typeET2_T3_PNSM_ISR_E10value_typeET4_jRbjT5_SX_jjP12ihipStream_tbEUlT_E2_NS1_11comp_targetILNS1_3genE3ELNS1_11target_archE908ELNS1_3gpuE7ELNS1_3repE0EEENS1_30default_config_static_selectorELNS0_4arch9wavefront6targetE0EEEvSL_.has_recursion, 0
	.set _ZN7rocprim17ROCPRIM_400000_NS6detail17trampoline_kernelINS0_14default_configENS1_36segmented_radix_sort_config_selectorI6__halflEEZNS1_25segmented_radix_sort_implIS3_Lb1EPKS5_PS5_PKlPlN2at6native12_GLOBAL__N_18offset_tEEE10hipError_tPvRmT1_PNSt15iterator_traitsISL_E10value_typeET2_T3_PNSM_ISR_E10value_typeET4_jRbjT5_SX_jjP12ihipStream_tbEUlT_E2_NS1_11comp_targetILNS1_3genE3ELNS1_11target_archE908ELNS1_3gpuE7ELNS1_3repE0EEENS1_30default_config_static_selectorELNS0_4arch9wavefront6targetE0EEEvSL_.has_indirect_call, 0
	.section	.AMDGPU.csdata,"",@progbits
; Kernel info:
; codeLenInByte = 0
; TotalNumSgprs: 0
; NumVgprs: 0
; ScratchSize: 0
; MemoryBound: 0
; FloatMode: 240
; IeeeMode: 1
; LDSByteSize: 0 bytes/workgroup (compile time only)
; SGPRBlocks: 0
; VGPRBlocks: 0
; NumSGPRsForWavesPerEU: 1
; NumVGPRsForWavesPerEU: 1
; Occupancy: 16
; WaveLimiterHint : 0
; COMPUTE_PGM_RSRC2:SCRATCH_EN: 0
; COMPUTE_PGM_RSRC2:USER_SGPR: 2
; COMPUTE_PGM_RSRC2:TRAP_HANDLER: 0
; COMPUTE_PGM_RSRC2:TGID_X_EN: 1
; COMPUTE_PGM_RSRC2:TGID_Y_EN: 0
; COMPUTE_PGM_RSRC2:TGID_Z_EN: 0
; COMPUTE_PGM_RSRC2:TIDIG_COMP_CNT: 0
	.section	.text._ZN7rocprim17ROCPRIM_400000_NS6detail17trampoline_kernelINS0_14default_configENS1_36segmented_radix_sort_config_selectorI6__halflEEZNS1_25segmented_radix_sort_implIS3_Lb1EPKS5_PS5_PKlPlN2at6native12_GLOBAL__N_18offset_tEEE10hipError_tPvRmT1_PNSt15iterator_traitsISL_E10value_typeET2_T3_PNSM_ISR_E10value_typeET4_jRbjT5_SX_jjP12ihipStream_tbEUlT_E2_NS1_11comp_targetILNS1_3genE2ELNS1_11target_archE906ELNS1_3gpuE6ELNS1_3repE0EEENS1_30default_config_static_selectorELNS0_4arch9wavefront6targetE0EEEvSL_,"axG",@progbits,_ZN7rocprim17ROCPRIM_400000_NS6detail17trampoline_kernelINS0_14default_configENS1_36segmented_radix_sort_config_selectorI6__halflEEZNS1_25segmented_radix_sort_implIS3_Lb1EPKS5_PS5_PKlPlN2at6native12_GLOBAL__N_18offset_tEEE10hipError_tPvRmT1_PNSt15iterator_traitsISL_E10value_typeET2_T3_PNSM_ISR_E10value_typeET4_jRbjT5_SX_jjP12ihipStream_tbEUlT_E2_NS1_11comp_targetILNS1_3genE2ELNS1_11target_archE906ELNS1_3gpuE6ELNS1_3repE0EEENS1_30default_config_static_selectorELNS0_4arch9wavefront6targetE0EEEvSL_,comdat
	.globl	_ZN7rocprim17ROCPRIM_400000_NS6detail17trampoline_kernelINS0_14default_configENS1_36segmented_radix_sort_config_selectorI6__halflEEZNS1_25segmented_radix_sort_implIS3_Lb1EPKS5_PS5_PKlPlN2at6native12_GLOBAL__N_18offset_tEEE10hipError_tPvRmT1_PNSt15iterator_traitsISL_E10value_typeET2_T3_PNSM_ISR_E10value_typeET4_jRbjT5_SX_jjP12ihipStream_tbEUlT_E2_NS1_11comp_targetILNS1_3genE2ELNS1_11target_archE906ELNS1_3gpuE6ELNS1_3repE0EEENS1_30default_config_static_selectorELNS0_4arch9wavefront6targetE0EEEvSL_ ; -- Begin function _ZN7rocprim17ROCPRIM_400000_NS6detail17trampoline_kernelINS0_14default_configENS1_36segmented_radix_sort_config_selectorI6__halflEEZNS1_25segmented_radix_sort_implIS3_Lb1EPKS5_PS5_PKlPlN2at6native12_GLOBAL__N_18offset_tEEE10hipError_tPvRmT1_PNSt15iterator_traitsISL_E10value_typeET2_T3_PNSM_ISR_E10value_typeET4_jRbjT5_SX_jjP12ihipStream_tbEUlT_E2_NS1_11comp_targetILNS1_3genE2ELNS1_11target_archE906ELNS1_3gpuE6ELNS1_3repE0EEENS1_30default_config_static_selectorELNS0_4arch9wavefront6targetE0EEEvSL_
	.p2align	8
	.type	_ZN7rocprim17ROCPRIM_400000_NS6detail17trampoline_kernelINS0_14default_configENS1_36segmented_radix_sort_config_selectorI6__halflEEZNS1_25segmented_radix_sort_implIS3_Lb1EPKS5_PS5_PKlPlN2at6native12_GLOBAL__N_18offset_tEEE10hipError_tPvRmT1_PNSt15iterator_traitsISL_E10value_typeET2_T3_PNSM_ISR_E10value_typeET4_jRbjT5_SX_jjP12ihipStream_tbEUlT_E2_NS1_11comp_targetILNS1_3genE2ELNS1_11target_archE906ELNS1_3gpuE6ELNS1_3repE0EEENS1_30default_config_static_selectorELNS0_4arch9wavefront6targetE0EEEvSL_,@function
_ZN7rocprim17ROCPRIM_400000_NS6detail17trampoline_kernelINS0_14default_configENS1_36segmented_radix_sort_config_selectorI6__halflEEZNS1_25segmented_radix_sort_implIS3_Lb1EPKS5_PS5_PKlPlN2at6native12_GLOBAL__N_18offset_tEEE10hipError_tPvRmT1_PNSt15iterator_traitsISL_E10value_typeET2_T3_PNSM_ISR_E10value_typeET4_jRbjT5_SX_jjP12ihipStream_tbEUlT_E2_NS1_11comp_targetILNS1_3genE2ELNS1_11target_archE906ELNS1_3gpuE6ELNS1_3repE0EEENS1_30default_config_static_selectorELNS0_4arch9wavefront6targetE0EEEvSL_: ; @_ZN7rocprim17ROCPRIM_400000_NS6detail17trampoline_kernelINS0_14default_configENS1_36segmented_radix_sort_config_selectorI6__halflEEZNS1_25segmented_radix_sort_implIS3_Lb1EPKS5_PS5_PKlPlN2at6native12_GLOBAL__N_18offset_tEEE10hipError_tPvRmT1_PNSt15iterator_traitsISL_E10value_typeET2_T3_PNSM_ISR_E10value_typeET4_jRbjT5_SX_jjP12ihipStream_tbEUlT_E2_NS1_11comp_targetILNS1_3genE2ELNS1_11target_archE906ELNS1_3gpuE6ELNS1_3repE0EEENS1_30default_config_static_selectorELNS0_4arch9wavefront6targetE0EEEvSL_
; %bb.0:
	.section	.rodata,"a",@progbits
	.p2align	6, 0x0
	.amdhsa_kernel _ZN7rocprim17ROCPRIM_400000_NS6detail17trampoline_kernelINS0_14default_configENS1_36segmented_radix_sort_config_selectorI6__halflEEZNS1_25segmented_radix_sort_implIS3_Lb1EPKS5_PS5_PKlPlN2at6native12_GLOBAL__N_18offset_tEEE10hipError_tPvRmT1_PNSt15iterator_traitsISL_E10value_typeET2_T3_PNSM_ISR_E10value_typeET4_jRbjT5_SX_jjP12ihipStream_tbEUlT_E2_NS1_11comp_targetILNS1_3genE2ELNS1_11target_archE906ELNS1_3gpuE6ELNS1_3repE0EEENS1_30default_config_static_selectorELNS0_4arch9wavefront6targetE0EEEvSL_
		.amdhsa_group_segment_fixed_size 0
		.amdhsa_private_segment_fixed_size 0
		.amdhsa_kernarg_size 80
		.amdhsa_user_sgpr_count 2
		.amdhsa_user_sgpr_dispatch_ptr 0
		.amdhsa_user_sgpr_queue_ptr 0
		.amdhsa_user_sgpr_kernarg_segment_ptr 1
		.amdhsa_user_sgpr_dispatch_id 0
		.amdhsa_user_sgpr_private_segment_size 0
		.amdhsa_wavefront_size32 1
		.amdhsa_uses_dynamic_stack 0
		.amdhsa_enable_private_segment 0
		.amdhsa_system_sgpr_workgroup_id_x 1
		.amdhsa_system_sgpr_workgroup_id_y 0
		.amdhsa_system_sgpr_workgroup_id_z 0
		.amdhsa_system_sgpr_workgroup_info 0
		.amdhsa_system_vgpr_workitem_id 0
		.amdhsa_next_free_vgpr 1
		.amdhsa_next_free_sgpr 1
		.amdhsa_reserve_vcc 0
		.amdhsa_float_round_mode_32 0
		.amdhsa_float_round_mode_16_64 0
		.amdhsa_float_denorm_mode_32 3
		.amdhsa_float_denorm_mode_16_64 3
		.amdhsa_fp16_overflow 0
		.amdhsa_workgroup_processor_mode 1
		.amdhsa_memory_ordered 1
		.amdhsa_forward_progress 1
		.amdhsa_inst_pref_size 0
		.amdhsa_round_robin_scheduling 0
		.amdhsa_exception_fp_ieee_invalid_op 0
		.amdhsa_exception_fp_denorm_src 0
		.amdhsa_exception_fp_ieee_div_zero 0
		.amdhsa_exception_fp_ieee_overflow 0
		.amdhsa_exception_fp_ieee_underflow 0
		.amdhsa_exception_fp_ieee_inexact 0
		.amdhsa_exception_int_div_zero 0
	.end_amdhsa_kernel
	.section	.text._ZN7rocprim17ROCPRIM_400000_NS6detail17trampoline_kernelINS0_14default_configENS1_36segmented_radix_sort_config_selectorI6__halflEEZNS1_25segmented_radix_sort_implIS3_Lb1EPKS5_PS5_PKlPlN2at6native12_GLOBAL__N_18offset_tEEE10hipError_tPvRmT1_PNSt15iterator_traitsISL_E10value_typeET2_T3_PNSM_ISR_E10value_typeET4_jRbjT5_SX_jjP12ihipStream_tbEUlT_E2_NS1_11comp_targetILNS1_3genE2ELNS1_11target_archE906ELNS1_3gpuE6ELNS1_3repE0EEENS1_30default_config_static_selectorELNS0_4arch9wavefront6targetE0EEEvSL_,"axG",@progbits,_ZN7rocprim17ROCPRIM_400000_NS6detail17trampoline_kernelINS0_14default_configENS1_36segmented_radix_sort_config_selectorI6__halflEEZNS1_25segmented_radix_sort_implIS3_Lb1EPKS5_PS5_PKlPlN2at6native12_GLOBAL__N_18offset_tEEE10hipError_tPvRmT1_PNSt15iterator_traitsISL_E10value_typeET2_T3_PNSM_ISR_E10value_typeET4_jRbjT5_SX_jjP12ihipStream_tbEUlT_E2_NS1_11comp_targetILNS1_3genE2ELNS1_11target_archE906ELNS1_3gpuE6ELNS1_3repE0EEENS1_30default_config_static_selectorELNS0_4arch9wavefront6targetE0EEEvSL_,comdat
.Lfunc_end1773:
	.size	_ZN7rocprim17ROCPRIM_400000_NS6detail17trampoline_kernelINS0_14default_configENS1_36segmented_radix_sort_config_selectorI6__halflEEZNS1_25segmented_radix_sort_implIS3_Lb1EPKS5_PS5_PKlPlN2at6native12_GLOBAL__N_18offset_tEEE10hipError_tPvRmT1_PNSt15iterator_traitsISL_E10value_typeET2_T3_PNSM_ISR_E10value_typeET4_jRbjT5_SX_jjP12ihipStream_tbEUlT_E2_NS1_11comp_targetILNS1_3genE2ELNS1_11target_archE906ELNS1_3gpuE6ELNS1_3repE0EEENS1_30default_config_static_selectorELNS0_4arch9wavefront6targetE0EEEvSL_, .Lfunc_end1773-_ZN7rocprim17ROCPRIM_400000_NS6detail17trampoline_kernelINS0_14default_configENS1_36segmented_radix_sort_config_selectorI6__halflEEZNS1_25segmented_radix_sort_implIS3_Lb1EPKS5_PS5_PKlPlN2at6native12_GLOBAL__N_18offset_tEEE10hipError_tPvRmT1_PNSt15iterator_traitsISL_E10value_typeET2_T3_PNSM_ISR_E10value_typeET4_jRbjT5_SX_jjP12ihipStream_tbEUlT_E2_NS1_11comp_targetILNS1_3genE2ELNS1_11target_archE906ELNS1_3gpuE6ELNS1_3repE0EEENS1_30default_config_static_selectorELNS0_4arch9wavefront6targetE0EEEvSL_
                                        ; -- End function
	.set _ZN7rocprim17ROCPRIM_400000_NS6detail17trampoline_kernelINS0_14default_configENS1_36segmented_radix_sort_config_selectorI6__halflEEZNS1_25segmented_radix_sort_implIS3_Lb1EPKS5_PS5_PKlPlN2at6native12_GLOBAL__N_18offset_tEEE10hipError_tPvRmT1_PNSt15iterator_traitsISL_E10value_typeET2_T3_PNSM_ISR_E10value_typeET4_jRbjT5_SX_jjP12ihipStream_tbEUlT_E2_NS1_11comp_targetILNS1_3genE2ELNS1_11target_archE906ELNS1_3gpuE6ELNS1_3repE0EEENS1_30default_config_static_selectorELNS0_4arch9wavefront6targetE0EEEvSL_.num_vgpr, 0
	.set _ZN7rocprim17ROCPRIM_400000_NS6detail17trampoline_kernelINS0_14default_configENS1_36segmented_radix_sort_config_selectorI6__halflEEZNS1_25segmented_radix_sort_implIS3_Lb1EPKS5_PS5_PKlPlN2at6native12_GLOBAL__N_18offset_tEEE10hipError_tPvRmT1_PNSt15iterator_traitsISL_E10value_typeET2_T3_PNSM_ISR_E10value_typeET4_jRbjT5_SX_jjP12ihipStream_tbEUlT_E2_NS1_11comp_targetILNS1_3genE2ELNS1_11target_archE906ELNS1_3gpuE6ELNS1_3repE0EEENS1_30default_config_static_selectorELNS0_4arch9wavefront6targetE0EEEvSL_.num_agpr, 0
	.set _ZN7rocprim17ROCPRIM_400000_NS6detail17trampoline_kernelINS0_14default_configENS1_36segmented_radix_sort_config_selectorI6__halflEEZNS1_25segmented_radix_sort_implIS3_Lb1EPKS5_PS5_PKlPlN2at6native12_GLOBAL__N_18offset_tEEE10hipError_tPvRmT1_PNSt15iterator_traitsISL_E10value_typeET2_T3_PNSM_ISR_E10value_typeET4_jRbjT5_SX_jjP12ihipStream_tbEUlT_E2_NS1_11comp_targetILNS1_3genE2ELNS1_11target_archE906ELNS1_3gpuE6ELNS1_3repE0EEENS1_30default_config_static_selectorELNS0_4arch9wavefront6targetE0EEEvSL_.numbered_sgpr, 0
	.set _ZN7rocprim17ROCPRIM_400000_NS6detail17trampoline_kernelINS0_14default_configENS1_36segmented_radix_sort_config_selectorI6__halflEEZNS1_25segmented_radix_sort_implIS3_Lb1EPKS5_PS5_PKlPlN2at6native12_GLOBAL__N_18offset_tEEE10hipError_tPvRmT1_PNSt15iterator_traitsISL_E10value_typeET2_T3_PNSM_ISR_E10value_typeET4_jRbjT5_SX_jjP12ihipStream_tbEUlT_E2_NS1_11comp_targetILNS1_3genE2ELNS1_11target_archE906ELNS1_3gpuE6ELNS1_3repE0EEENS1_30default_config_static_selectorELNS0_4arch9wavefront6targetE0EEEvSL_.num_named_barrier, 0
	.set _ZN7rocprim17ROCPRIM_400000_NS6detail17trampoline_kernelINS0_14default_configENS1_36segmented_radix_sort_config_selectorI6__halflEEZNS1_25segmented_radix_sort_implIS3_Lb1EPKS5_PS5_PKlPlN2at6native12_GLOBAL__N_18offset_tEEE10hipError_tPvRmT1_PNSt15iterator_traitsISL_E10value_typeET2_T3_PNSM_ISR_E10value_typeET4_jRbjT5_SX_jjP12ihipStream_tbEUlT_E2_NS1_11comp_targetILNS1_3genE2ELNS1_11target_archE906ELNS1_3gpuE6ELNS1_3repE0EEENS1_30default_config_static_selectorELNS0_4arch9wavefront6targetE0EEEvSL_.private_seg_size, 0
	.set _ZN7rocprim17ROCPRIM_400000_NS6detail17trampoline_kernelINS0_14default_configENS1_36segmented_radix_sort_config_selectorI6__halflEEZNS1_25segmented_radix_sort_implIS3_Lb1EPKS5_PS5_PKlPlN2at6native12_GLOBAL__N_18offset_tEEE10hipError_tPvRmT1_PNSt15iterator_traitsISL_E10value_typeET2_T3_PNSM_ISR_E10value_typeET4_jRbjT5_SX_jjP12ihipStream_tbEUlT_E2_NS1_11comp_targetILNS1_3genE2ELNS1_11target_archE906ELNS1_3gpuE6ELNS1_3repE0EEENS1_30default_config_static_selectorELNS0_4arch9wavefront6targetE0EEEvSL_.uses_vcc, 0
	.set _ZN7rocprim17ROCPRIM_400000_NS6detail17trampoline_kernelINS0_14default_configENS1_36segmented_radix_sort_config_selectorI6__halflEEZNS1_25segmented_radix_sort_implIS3_Lb1EPKS5_PS5_PKlPlN2at6native12_GLOBAL__N_18offset_tEEE10hipError_tPvRmT1_PNSt15iterator_traitsISL_E10value_typeET2_T3_PNSM_ISR_E10value_typeET4_jRbjT5_SX_jjP12ihipStream_tbEUlT_E2_NS1_11comp_targetILNS1_3genE2ELNS1_11target_archE906ELNS1_3gpuE6ELNS1_3repE0EEENS1_30default_config_static_selectorELNS0_4arch9wavefront6targetE0EEEvSL_.uses_flat_scratch, 0
	.set _ZN7rocprim17ROCPRIM_400000_NS6detail17trampoline_kernelINS0_14default_configENS1_36segmented_radix_sort_config_selectorI6__halflEEZNS1_25segmented_radix_sort_implIS3_Lb1EPKS5_PS5_PKlPlN2at6native12_GLOBAL__N_18offset_tEEE10hipError_tPvRmT1_PNSt15iterator_traitsISL_E10value_typeET2_T3_PNSM_ISR_E10value_typeET4_jRbjT5_SX_jjP12ihipStream_tbEUlT_E2_NS1_11comp_targetILNS1_3genE2ELNS1_11target_archE906ELNS1_3gpuE6ELNS1_3repE0EEENS1_30default_config_static_selectorELNS0_4arch9wavefront6targetE0EEEvSL_.has_dyn_sized_stack, 0
	.set _ZN7rocprim17ROCPRIM_400000_NS6detail17trampoline_kernelINS0_14default_configENS1_36segmented_radix_sort_config_selectorI6__halflEEZNS1_25segmented_radix_sort_implIS3_Lb1EPKS5_PS5_PKlPlN2at6native12_GLOBAL__N_18offset_tEEE10hipError_tPvRmT1_PNSt15iterator_traitsISL_E10value_typeET2_T3_PNSM_ISR_E10value_typeET4_jRbjT5_SX_jjP12ihipStream_tbEUlT_E2_NS1_11comp_targetILNS1_3genE2ELNS1_11target_archE906ELNS1_3gpuE6ELNS1_3repE0EEENS1_30default_config_static_selectorELNS0_4arch9wavefront6targetE0EEEvSL_.has_recursion, 0
	.set _ZN7rocprim17ROCPRIM_400000_NS6detail17trampoline_kernelINS0_14default_configENS1_36segmented_radix_sort_config_selectorI6__halflEEZNS1_25segmented_radix_sort_implIS3_Lb1EPKS5_PS5_PKlPlN2at6native12_GLOBAL__N_18offset_tEEE10hipError_tPvRmT1_PNSt15iterator_traitsISL_E10value_typeET2_T3_PNSM_ISR_E10value_typeET4_jRbjT5_SX_jjP12ihipStream_tbEUlT_E2_NS1_11comp_targetILNS1_3genE2ELNS1_11target_archE906ELNS1_3gpuE6ELNS1_3repE0EEENS1_30default_config_static_selectorELNS0_4arch9wavefront6targetE0EEEvSL_.has_indirect_call, 0
	.section	.AMDGPU.csdata,"",@progbits
; Kernel info:
; codeLenInByte = 0
; TotalNumSgprs: 0
; NumVgprs: 0
; ScratchSize: 0
; MemoryBound: 0
; FloatMode: 240
; IeeeMode: 1
; LDSByteSize: 0 bytes/workgroup (compile time only)
; SGPRBlocks: 0
; VGPRBlocks: 0
; NumSGPRsForWavesPerEU: 1
; NumVGPRsForWavesPerEU: 1
; Occupancy: 16
; WaveLimiterHint : 0
; COMPUTE_PGM_RSRC2:SCRATCH_EN: 0
; COMPUTE_PGM_RSRC2:USER_SGPR: 2
; COMPUTE_PGM_RSRC2:TRAP_HANDLER: 0
; COMPUTE_PGM_RSRC2:TGID_X_EN: 1
; COMPUTE_PGM_RSRC2:TGID_Y_EN: 0
; COMPUTE_PGM_RSRC2:TGID_Z_EN: 0
; COMPUTE_PGM_RSRC2:TIDIG_COMP_CNT: 0
	.section	.text._ZN7rocprim17ROCPRIM_400000_NS6detail17trampoline_kernelINS0_14default_configENS1_36segmented_radix_sort_config_selectorI6__halflEEZNS1_25segmented_radix_sort_implIS3_Lb1EPKS5_PS5_PKlPlN2at6native12_GLOBAL__N_18offset_tEEE10hipError_tPvRmT1_PNSt15iterator_traitsISL_E10value_typeET2_T3_PNSM_ISR_E10value_typeET4_jRbjT5_SX_jjP12ihipStream_tbEUlT_E2_NS1_11comp_targetILNS1_3genE10ELNS1_11target_archE1201ELNS1_3gpuE5ELNS1_3repE0EEENS1_30default_config_static_selectorELNS0_4arch9wavefront6targetE0EEEvSL_,"axG",@progbits,_ZN7rocprim17ROCPRIM_400000_NS6detail17trampoline_kernelINS0_14default_configENS1_36segmented_radix_sort_config_selectorI6__halflEEZNS1_25segmented_radix_sort_implIS3_Lb1EPKS5_PS5_PKlPlN2at6native12_GLOBAL__N_18offset_tEEE10hipError_tPvRmT1_PNSt15iterator_traitsISL_E10value_typeET2_T3_PNSM_ISR_E10value_typeET4_jRbjT5_SX_jjP12ihipStream_tbEUlT_E2_NS1_11comp_targetILNS1_3genE10ELNS1_11target_archE1201ELNS1_3gpuE5ELNS1_3repE0EEENS1_30default_config_static_selectorELNS0_4arch9wavefront6targetE0EEEvSL_,comdat
	.globl	_ZN7rocprim17ROCPRIM_400000_NS6detail17trampoline_kernelINS0_14default_configENS1_36segmented_radix_sort_config_selectorI6__halflEEZNS1_25segmented_radix_sort_implIS3_Lb1EPKS5_PS5_PKlPlN2at6native12_GLOBAL__N_18offset_tEEE10hipError_tPvRmT1_PNSt15iterator_traitsISL_E10value_typeET2_T3_PNSM_ISR_E10value_typeET4_jRbjT5_SX_jjP12ihipStream_tbEUlT_E2_NS1_11comp_targetILNS1_3genE10ELNS1_11target_archE1201ELNS1_3gpuE5ELNS1_3repE0EEENS1_30default_config_static_selectorELNS0_4arch9wavefront6targetE0EEEvSL_ ; -- Begin function _ZN7rocprim17ROCPRIM_400000_NS6detail17trampoline_kernelINS0_14default_configENS1_36segmented_radix_sort_config_selectorI6__halflEEZNS1_25segmented_radix_sort_implIS3_Lb1EPKS5_PS5_PKlPlN2at6native12_GLOBAL__N_18offset_tEEE10hipError_tPvRmT1_PNSt15iterator_traitsISL_E10value_typeET2_T3_PNSM_ISR_E10value_typeET4_jRbjT5_SX_jjP12ihipStream_tbEUlT_E2_NS1_11comp_targetILNS1_3genE10ELNS1_11target_archE1201ELNS1_3gpuE5ELNS1_3repE0EEENS1_30default_config_static_selectorELNS0_4arch9wavefront6targetE0EEEvSL_
	.p2align	8
	.type	_ZN7rocprim17ROCPRIM_400000_NS6detail17trampoline_kernelINS0_14default_configENS1_36segmented_radix_sort_config_selectorI6__halflEEZNS1_25segmented_radix_sort_implIS3_Lb1EPKS5_PS5_PKlPlN2at6native12_GLOBAL__N_18offset_tEEE10hipError_tPvRmT1_PNSt15iterator_traitsISL_E10value_typeET2_T3_PNSM_ISR_E10value_typeET4_jRbjT5_SX_jjP12ihipStream_tbEUlT_E2_NS1_11comp_targetILNS1_3genE10ELNS1_11target_archE1201ELNS1_3gpuE5ELNS1_3repE0EEENS1_30default_config_static_selectorELNS0_4arch9wavefront6targetE0EEEvSL_,@function
_ZN7rocprim17ROCPRIM_400000_NS6detail17trampoline_kernelINS0_14default_configENS1_36segmented_radix_sort_config_selectorI6__halflEEZNS1_25segmented_radix_sort_implIS3_Lb1EPKS5_PS5_PKlPlN2at6native12_GLOBAL__N_18offset_tEEE10hipError_tPvRmT1_PNSt15iterator_traitsISL_E10value_typeET2_T3_PNSM_ISR_E10value_typeET4_jRbjT5_SX_jjP12ihipStream_tbEUlT_E2_NS1_11comp_targetILNS1_3genE10ELNS1_11target_archE1201ELNS1_3gpuE5ELNS1_3repE0EEENS1_30default_config_static_selectorELNS0_4arch9wavefront6targetE0EEEvSL_: ; @_ZN7rocprim17ROCPRIM_400000_NS6detail17trampoline_kernelINS0_14default_configENS1_36segmented_radix_sort_config_selectorI6__halflEEZNS1_25segmented_radix_sort_implIS3_Lb1EPKS5_PS5_PKlPlN2at6native12_GLOBAL__N_18offset_tEEE10hipError_tPvRmT1_PNSt15iterator_traitsISL_E10value_typeET2_T3_PNSM_ISR_E10value_typeET4_jRbjT5_SX_jjP12ihipStream_tbEUlT_E2_NS1_11comp_targetILNS1_3genE10ELNS1_11target_archE1201ELNS1_3gpuE5ELNS1_3repE0EEENS1_30default_config_static_selectorELNS0_4arch9wavefront6targetE0EEEvSL_
; %bb.0:
	s_load_b128 s[4:7], s[0:1], 0x34
	s_mov_b32 s32, 0
	s_wait_kmcnt 0x0
	s_add_co_i32 s33, s5, ttmp9
	s_add_co_i32 s34, s7, ttmp9
	s_mul_i32 s33, s33, s4
	s_mul_i32 s34, s34, s6
	s_delay_alu instid0(SALU_CYCLE_1)
	s_cmp_le_u32 s34, s33
	s_cbranch_scc1 .LBB1774_675
; %bb.1:
	s_clause 0x3
	s_load_b32 s2, s[0:1], 0x30
	s_load_b128 s[24:27], s[0:1], 0x20
	s_load_b96 s[44:46], s[0:1], 0x44
	s_load_b256 s[36:43], s[0:1], 0x0
	s_wait_kmcnt 0x0
	s_bitcmp1_b32 s2, 0
	s_mov_b32 s2, -1
	s_cselect_b32 s35, -1, 0
	s_sub_co_i32 s47, s34, s33
	s_delay_alu instid0(SALU_CYCLE_1)
	s_cmp_lt_u32 s47, 0x801
	s_cbranch_scc0 .LBB1774_12
; %bb.2:
	s_cmp_lt_u32 s47, 33
	s_cbranch_scc0 .LBB1774_6
; %bb.3:
	s_load_b32 s2, s[0:1], 0x5c
	v_bfe_u32 v1, v0, 10, 10
	v_bfe_u32 v2, v0, 20, 10
	s_mov_b32 s18, exec_lo
	s_wait_kmcnt 0x0
	s_lshr_b32 s3, s2, 16
	s_and_b32 s2, s2, 0xffff
	v_mad_u32_u24 v2, v2, s3, v1
	v_and_b32_e32 v1, 0x3ff, v0
	s_delay_alu instid0(VALU_DEP_1) | instskip(NEXT) | instid1(VALU_DEP_1)
	v_mad_co_u64_u32 v[1:2], null, v2, s2, v[1:2]
	v_cmpx_gt_u32_e32 8, v1
	s_cbranch_execz .LBB1774_5
; %bb.4:
	s_bitcmp1_b32 s44, 0
	s_mov_b64 s[2:3], src_shared_base
	s_cselect_b32 s2, -1, 0
	v_dual_mov_b32 v31, v0 :: v_dual_mov_b32 v40, v0
	s_wait_alu 0xfffe
	s_xor_b32 s2, s35, s2
	v_dual_mov_b32 v0, s36 :: v_dual_mov_b32 v1, s37
	s_wait_alu 0xfffe
	s_xor_b32 s2, s2, -1
	v_dual_mov_b32 v2, s38 :: v_dual_mov_b32 v3, s39
	s_wait_alu 0xfffe
	v_cndmask_b32_e64 v12, 0, 1, s2
	v_dual_mov_b32 v4, s40 :: v_dual_mov_b32 v5, s41
	v_dual_mov_b32 v6, s42 :: v_dual_mov_b32 v7, s43
	;; [unrolled: 1-line block ×6, first 2 shown]
	s_add_nc_u64 s[8:9], s[0:1], 0x50
	s_getpc_b64 s[4:5]
	s_sext_i32_i16 s5, s5
	s_add_co_u32 s4, s4, _ZN7rocprim17ROCPRIM_400000_NS6detail26segmented_warp_sort_helperINS1_20WarpSortHelperConfigILj8ELj4ELj256EEE6__halflLi256ELb1EvE4sortIPKS5_PS5_PKlPlEEvT_SA_T0_T1_SD_T2_bjjjjRNS6_12storage_typeE@rel32@lo+8
	s_add_co_ci_u32 s5, s5, _ZN7rocprim17ROCPRIM_400000_NS6detail26segmented_warp_sort_helperINS1_20WarpSortHelperConfigILj8ELj4ELj256EEE6__halflLi256ELb1EvE4sortIPKS5_PS5_PKlPlEEvT_SA_T0_T1_SD_T2_bjjjjRNS6_12storage_typeE@rel32@hi+16
	s_mov_b64 s[16:17], s[0:1]
	s_swappc_b64 s[30:31], s[4:5]
	v_mov_b32_e32 v0, v40
	s_mov_b64 s[0:1], s[16:17]
.LBB1774_5:
	s_or_b32 exec_lo, exec_lo, s18
	s_mov_b32 s2, 0
.LBB1774_6:
	s_wait_alu 0xfffe
	s_and_not1_b32 vcc_lo, exec_lo, s2
	s_wait_alu 0xfffe
	s_cbranch_vccnz .LBB1774_11
; %bb.7:
	v_cndmask_b32_e64 v1, 0, 1, s35
	s_and_b32 s2, s44, 1
	s_wait_alu 0xfffe
	s_delay_alu instid0(VALU_DEP_1)
	v_cmp_ne_u32_e32 vcc_lo, s2, v1
	s_mov_b32 s2, -1
	s_cbranch_vccnz .LBB1774_9
; %bb.8:
	s_mov_b64 s[2:3], src_shared_base
	v_dual_mov_b32 v31, v0 :: v_dual_mov_b32 v40, v0
	v_dual_mov_b32 v0, s36 :: v_dual_mov_b32 v1, s37
	;; [unrolled: 1-line block ×7, first 2 shown]
	s_wait_alu 0xfffe
	v_dual_mov_b32 v12, 0 :: v_dual_mov_b32 v13, s3
	s_add_nc_u64 s[8:9], s[0:1], 0x50
	s_getpc_b64 s[4:5]
	s_wait_alu 0xfffe
	s_sext_i32_i16 s5, s5
	s_add_co_u32 s4, s4, _ZN7rocprim17ROCPRIM_400000_NS6detail40segmented_radix_sort_single_block_helperI6__halflLj256ELj8ELb1EE4sortIPKS3_PS3_PKlPlEEbT_T0_T1_T2_jjjjRNS4_12storage_typeE@rel32@lo+12
	s_wait_alu 0xfffe
	s_add_co_ci_u32 s5, s5, _ZN7rocprim17ROCPRIM_400000_NS6detail40segmented_radix_sort_single_block_helperI6__halflLj256ELj8ELb1EE4sortIPKS3_PS3_PKlPlEEbT_T0_T1_T2_jjjjRNS4_12storage_typeE@rel32@hi+24
	s_mov_b64 s[22:23], s[0:1]
	s_wait_alu 0xfffe
	s_swappc_b64 s[30:31], s[4:5]
	v_mov_b32_e32 v0, v40
	s_mov_b64 s[0:1], s[22:23]
	s_mov_b32 s2, 0
.LBB1774_9:
	s_wait_alu 0xfffe
	s_and_not1_b32 vcc_lo, exec_lo, s2
	s_wait_alu 0xfffe
	s_cbranch_vccnz .LBB1774_11
; %bb.10:
	s_mov_b64 s[2:3], src_shared_base
	v_dual_mov_b32 v31, v0 :: v_dual_mov_b32 v40, v0
	v_dual_mov_b32 v0, s36 :: v_dual_mov_b32 v1, s37
	;; [unrolled: 1-line block ×7, first 2 shown]
	s_wait_alu 0xfffe
	v_dual_mov_b32 v12, 0 :: v_dual_mov_b32 v13, s3
	s_add_nc_u64 s[8:9], s[0:1], 0x50
	s_getpc_b64 s[4:5]
	s_wait_alu 0xfffe
	s_sext_i32_i16 s5, s5
	s_add_co_u32 s4, s4, _ZN7rocprim17ROCPRIM_400000_NS6detail40segmented_radix_sort_single_block_helperI6__halflLj256ELj8ELb1EE4sortIPKS3_PS3_PKlPlEEbT_T0_T1_T2_jjjjRNS4_12storage_typeE@rel32@lo+12
	s_wait_alu 0xfffe
	s_add_co_ci_u32 s5, s5, _ZN7rocprim17ROCPRIM_400000_NS6detail40segmented_radix_sort_single_block_helperI6__halflLj256ELj8ELb1EE4sortIPKS3_PS3_PKlPlEEbT_T0_T1_T2_jjjjRNS4_12storage_typeE@rel32@hi+24
	s_mov_b64 s[22:23], s[0:1]
	s_wait_alu 0xfffe
	s_swappc_b64 s[30:31], s[4:5]
	v_mov_b32_e32 v0, v40
	s_mov_b64 s[0:1], s[22:23]
.LBB1774_11:
	s_mov_b32 s2, 0
.LBB1774_12:
	s_wait_alu 0xfffe
	s_and_not1_b32 vcc_lo, exec_lo, s2
	s_wait_alu 0xfffe
	s_cbranch_vccnz .LBB1774_675
; %bb.13:
	s_cmp_ge_u32 s45, s46
	s_cbranch_scc1 .LBB1774_675
; %bb.14:
	v_dual_mov_b32 v62, 1 :: v_dual_and_b32 v1, 0x3ff, v0
	v_dual_mov_b32 v3, 0 :: v_dual_and_b32 v2, 3, v0
	v_lshrrev_b32_e32 v5, 3, v0
	s_delay_alu instid0(VALU_DEP_3)
	v_lshlrev_b32_e32 v28, 2, v1
	v_or_b32_e32 v6, 31, v1
	v_lshlrev_b32_e32 v4, 1, v1
	v_lshlrev_b32_e32 v39, 2, v2
	;; [unrolled: 1-line block ×3, first 2 shown]
	v_mad_u32_u24 v40, v1, 12, v28
	v_and_b32_e32 v38, 28, v5
	v_lshlrev_b32_e32 v5, 5, v1
	v_cmp_eq_u32_e64 s3, v1, v6
	v_and_b32_e32 v2, 0x700, v2
	v_mad_u32_u24 v43, v1, 20, v40
	v_mbcnt_lo_u32_b32 v59, -1, 0
	v_add_co_u32 v32, s2, s40, v4
	s_delay_alu instid0(VALU_DEP_4) | instskip(NEXT) | instid1(VALU_DEP_4)
	v_lshlrev_b32_e32 v6, 1, v2
	v_sub_nc_u32_e32 v46, v43, v5
	v_lshlrev_b32_e32 v5, 3, v2
	v_lshlrev_b32_e32 v69, 3, v59
	;; [unrolled: 1-line block ×3, first 2 shown]
	v_or_b32_e32 v66, v59, v2
	v_or_b32_e32 v29, 0x100, v1
	v_add_co_u32 v7, s8, s26, v5
	s_wait_alu 0xf1ff
	v_add_co_ci_u32_e64 v8, null, s27, 0, s8
	v_add_co_u32 v9, s8, s40, v6
	s_wait_alu 0xf1ff
	v_add_co_ci_u32_e64 v10, null, s41, 0, s8
	;; [unrolled: 3-line block ×6, first 2 shown]
	v_add_co_u32 v57, s8, s42, v5
	v_add_co_u32 v83, vcc_lo, v7, v69
	s_wait_alu 0xf1ff
	v_add_co_ci_u32_e64 v58, null, s43, 0, s8
	v_add_co_u32 v60, s8, s36, v6
	s_wait_alu 0xfffd
	v_add_co_ci_u32_e64 v84, null, 0, v8, vcc_lo
	v_add_co_u32 v85, vcc_lo, v9, v77
	v_or_b32_e32 v30, 0x200, v1
	v_or_b32_e32 v31, 0x300, v1
	v_add_co_ci_u32_e64 v33, null, s41, 0, s2
	v_or_b32_e32 v34, 0x400, v1
	v_or_b32_e32 v35, 0x500, v1
	;; [unrolled: 1-line block ×4, first 2 shown]
	v_cmp_gt_u32_e64 s2, 0x100, v1
	v_or_b32_e32 v41, 0x4400, v38
	v_cmp_gt_u32_e64 s4, 8, v1
	v_add_nc_u32_e32 v42, 0x4400, v28
	v_cmp_lt_u32_e64 s5, 31, v1
	v_add_nc_u32_e32 v44, 0x43fc, v38
	v_bfe_u32 v45, v0, 20, 10
	v_bfe_u32 v0, v0, 10, 10
	v_cmp_eq_u32_e64 s6, 0, v1
	v_cmp_ne_u32_e64 s7, 0xff, v1
	v_sub_nc_u32_e32 v47, v46, v4
	v_mul_u32_u24_e32 v48, 6, v1
	s_wait_alu 0xf1ff
	v_add_co_ci_u32_e64 v61, null, s37, 0, s8
	v_and_b32_e32 v63, 15, v59
	v_bfe_i32 v64, v59, 4, 1
	v_and_b32_e32 v65, 16, v59
	v_and_b32_e32 v67, 7, v59
	v_sub_co_u32 v68, s8, v59, 1
	v_or_b32_e32 v70, 32, v66
	v_or_b32_e32 v71, 64, v66
	;; [unrolled: 1-line block ×7, first 2 shown]
	v_add_nc_u32_e32 v78, 0x420, v43
	v_add_nc_u32_e32 v79, 0x428, v43
	;; [unrolled: 1-line block ×4, first 2 shown]
	v_lshlrev_b32_e32 v82, 1, v1
	s_wait_alu 0xfffd
	v_add_co_ci_u32_e64 v86, null, 0, v10, vcc_lo
	s_add_nc_u64 s[28:29], s[0:1], 0x50
	s_mov_b32 s31, 0
	s_mov_b32 s23, s45
	s_branch .LBB1774_17
.LBB1774_15:                            ;   in Loop: Header=BB1774_17 Depth=1
	s_wait_loadcnt_dscnt 0x0
	s_barrier_signal -1
	s_barrier_wait -1
.LBB1774_16:                            ;   in Loop: Header=BB1774_17 Depth=1
	s_add_co_i32 s23, s23, 8
	global_inv scope:SCOPE_SE
	s_wait_alu 0xfffe
	s_cmp_ge_u32 s23, s46
	s_cbranch_scc1 .LBB1774_675
.LBB1774_17:                            ; =>This Loop Header: Depth=1
                                        ;     Child Loop BB1774_21 Depth 2
                                        ;     Child Loop BB1774_69 Depth 2
	;; [unrolled: 1-line block ×8, first 2 shown]
	s_wait_alu 0xfffe
	s_sub_co_i32 s0, s46, s23
	s_xor_b32 s35, s35, -1
	s_wait_alu 0xfffe
	s_min_u32 s0, s0, 8
	ds_store_2addr_stride64_b32 v28, v3, v3 offset1:4
	s_wait_alu 0xfffe
	s_lshl_b32 s0, -1, s0
	ds_store_2addr_stride64_b32 v28, v3, v3 offset0:8 offset1:12
	s_wait_alu 0xfffe
	s_not_b32 s42, s0
	s_cmp_lg_u32 s23, s45
	s_mov_b32 s0, -1
	s_wait_storecnt_dscnt 0x0
	s_cbranch_scc0 .LBB1774_347
; %bb.18:                               ;   in Loop: Header=BB1774_17 Depth=1
	s_and_b32 vcc_lo, exec_lo, s35
	s_wait_alu 0xfffe
	s_cbranch_vccz .LBB1774_182
; %bb.19:                               ;   in Loop: Header=BB1774_17 Depth=1
	s_mov_b32 s9, s47
	s_mov_b32 s30, s33
	s_barrier_signal -1
	s_barrier_wait -1
	global_inv scope:SCOPE_SE
                                        ; implicit-def: $vgpr2
                                        ; implicit-def: $vgpr4
                                        ; implicit-def: $vgpr5
                                        ; implicit-def: $vgpr6
                                        ; implicit-def: $vgpr7
                                        ; implicit-def: $vgpr8
                                        ; implicit-def: $vgpr9
                                        ; implicit-def: $vgpr10
	s_branch .LBB1774_21
.LBB1774_20:                            ;   in Loop: Header=BB1774_21 Depth=2
	s_wait_alu 0xfffe
	s_or_b32 exec_lo, exec_lo, s0
	s_addk_co_i32 s9, 0xf800
	s_cmp_ge_u32 s10, s34
	s_mov_b32 s30, s10
	s_cbranch_scc1 .LBB1774_57
.LBB1774_21:                            ;   Parent Loop BB1774_17 Depth=1
                                        ; =>  This Inner Loop Header: Depth=2
	s_wait_alu 0xfffe
	s_add_co_i32 s10, s30, 0x800
	s_mov_b32 s0, -1
	s_wait_alu 0xfffe
	s_cmp_gt_u32 s10, s34
                                        ; implicit-def: $vgpr11
                                        ; implicit-def: $vgpr12
                                        ; implicit-def: $vgpr13
                                        ; implicit-def: $vgpr14
                                        ; implicit-def: $vgpr15
                                        ; implicit-def: $vgpr16
                                        ; implicit-def: $vgpr17
                                        ; implicit-def: $vgpr18
	s_cbranch_scc1 .LBB1774_23
; %bb.22:                               ;   in Loop: Header=BB1774_21 Depth=2
	s_lshl_b64 s[0:1], s[30:31], 1
	s_wait_alu 0xfffe
	v_add_co_u32 v18, vcc_lo, v32, s0
	s_wait_alu 0xfffd
	v_add_co_ci_u32_e64 v19, null, s1, v33, vcc_lo
	s_mov_b32 s0, 0
	s_clause 0x7
	global_load_u16 v11, v[18:19], off
	global_load_u16 v12, v[18:19], off offset:512
	global_load_u16 v13, v[18:19], off offset:1024
	;; [unrolled: 1-line block ×7, first 2 shown]
.LBB1774_23:                            ;   in Loop: Header=BB1774_21 Depth=2
	s_wait_alu 0xfffe
	s_and_not1_b32 vcc_lo, exec_lo, s0
	s_movk_i32 s0, 0x800
	s_wait_alu 0xfffe
	s_cbranch_vccnz .LBB1774_34
; %bb.24:                               ;   in Loop: Header=BB1774_21 Depth=2
	s_lshl_b64 s[0:1], s[30:31], 1
	s_mov_b32 s11, exec_lo
	s_wait_alu 0xfffe
	s_add_nc_u64 s[0:1], s[40:41], s[0:1]
	v_cmpx_gt_u32_e64 s9, v1
	s_cbranch_execnz .LBB1774_50
; %bb.25:                               ;   in Loop: Header=BB1774_21 Depth=2
	s_or_b32 exec_lo, exec_lo, s11
	s_delay_alu instid0(SALU_CYCLE_1)
	s_mov_b32 s11, exec_lo
	v_cmpx_gt_u32_e64 s9, v29
	s_cbranch_execnz .LBB1774_51
.LBB1774_26:                            ;   in Loop: Header=BB1774_21 Depth=2
	s_wait_alu 0xfffe
	s_or_b32 exec_lo, exec_lo, s11
	s_delay_alu instid0(SALU_CYCLE_1)
	s_mov_b32 s11, exec_lo
	v_cmpx_gt_u32_e64 s9, v30
	s_cbranch_execnz .LBB1774_52
.LBB1774_27:                            ;   in Loop: Header=BB1774_21 Depth=2
	s_wait_alu 0xfffe
	s_or_b32 exec_lo, exec_lo, s11
	s_delay_alu instid0(SALU_CYCLE_1)
	s_mov_b32 s11, exec_lo
	v_cmpx_gt_u32_e64 s9, v31
	s_cbranch_execnz .LBB1774_53
.LBB1774_28:                            ;   in Loop: Header=BB1774_21 Depth=2
	s_wait_alu 0xfffe
	s_or_b32 exec_lo, exec_lo, s11
	s_delay_alu instid0(SALU_CYCLE_1)
	s_mov_b32 s11, exec_lo
	v_cmpx_gt_u32_e64 s9, v34
	s_cbranch_execnz .LBB1774_54
.LBB1774_29:                            ;   in Loop: Header=BB1774_21 Depth=2
	s_wait_alu 0xfffe
	s_or_b32 exec_lo, exec_lo, s11
	s_delay_alu instid0(SALU_CYCLE_1)
	s_mov_b32 s11, exec_lo
	v_cmpx_gt_u32_e64 s9, v35
	s_cbranch_execnz .LBB1774_55
.LBB1774_30:                            ;   in Loop: Header=BB1774_21 Depth=2
	s_wait_alu 0xfffe
	s_or_b32 exec_lo, exec_lo, s11
	s_delay_alu instid0(SALU_CYCLE_1)
	s_mov_b32 s11, exec_lo
	v_cmpx_gt_u32_e64 s9, v36
	s_cbranch_execnz .LBB1774_56
.LBB1774_31:                            ;   in Loop: Header=BB1774_21 Depth=2
	s_wait_alu 0xfffe
	s_or_b32 exec_lo, exec_lo, s11
	s_delay_alu instid0(SALU_CYCLE_1)
	s_mov_b32 s11, exec_lo
	v_cmpx_gt_u32_e64 s9, v37
	s_cbranch_execz .LBB1774_33
.LBB1774_32:                            ;   in Loop: Header=BB1774_21 Depth=2
	global_load_u16 v2, v82, s[0:1] offset:3584
.LBB1774_33:                            ;   in Loop: Header=BB1774_21 Depth=2
	s_wait_alu 0xfffe
	s_or_b32 exec_lo, exec_lo, s11
	s_wait_loadcnt 0x0
	v_dual_mov_b32 v11, v10 :: v_dual_mov_b32 v12, v9
	v_dual_mov_b32 v13, v8 :: v_dual_mov_b32 v14, v7
	;; [unrolled: 1-line block ×4, first 2 shown]
	s_mov_b32 s0, s9
.LBB1774_34:                            ;   in Loop: Header=BB1774_21 Depth=2
	s_wait_loadcnt 0x0
	s_delay_alu instid0(VALU_DEP_1) | instskip(NEXT) | instid1(VALU_DEP_2)
	v_dual_mov_b32 v2, v18 :: v_dual_mov_b32 v5, v16
	v_dual_mov_b32 v4, v17 :: v_dual_mov_b32 v7, v14
	v_dual_mov_b32 v6, v15 :: v_dual_mov_b32 v9, v12
	v_mov_b32_e32 v8, v13
	v_mov_b32_e32 v10, v11
	s_mov_b32 s1, exec_lo
	s_wait_alu 0xfffe
	v_cmpx_gt_u32_e64 s0, v1
	s_cbranch_execnz .LBB1774_42
; %bb.35:                               ;   in Loop: Header=BB1774_21 Depth=2
	s_or_b32 exec_lo, exec_lo, s1
	s_delay_alu instid0(SALU_CYCLE_1)
	s_mov_b32 s1, exec_lo
	v_cmpx_gt_u32_e64 s0, v29
	s_cbranch_execnz .LBB1774_43
.LBB1774_36:                            ;   in Loop: Header=BB1774_21 Depth=2
	s_wait_alu 0xfffe
	s_or_b32 exec_lo, exec_lo, s1
	s_delay_alu instid0(SALU_CYCLE_1)
	s_mov_b32 s1, exec_lo
	v_cmpx_gt_u32_e64 s0, v30
	s_cbranch_execnz .LBB1774_44
.LBB1774_37:                            ;   in Loop: Header=BB1774_21 Depth=2
	s_wait_alu 0xfffe
	s_or_b32 exec_lo, exec_lo, s1
	s_delay_alu instid0(SALU_CYCLE_1)
	s_mov_b32 s1, exec_lo
	v_cmpx_gt_u32_e64 s0, v31
	s_cbranch_execnz .LBB1774_45
.LBB1774_38:                            ;   in Loop: Header=BB1774_21 Depth=2
	s_wait_alu 0xfffe
	s_or_b32 exec_lo, exec_lo, s1
	s_delay_alu instid0(SALU_CYCLE_1)
	s_mov_b32 s1, exec_lo
	v_cmpx_gt_u32_e64 s0, v34
	s_cbranch_execnz .LBB1774_46
.LBB1774_39:                            ;   in Loop: Header=BB1774_21 Depth=2
	s_wait_alu 0xfffe
	s_or_b32 exec_lo, exec_lo, s1
	s_delay_alu instid0(SALU_CYCLE_1)
	s_mov_b32 s1, exec_lo
	v_cmpx_gt_u32_e64 s0, v35
	s_cbranch_execnz .LBB1774_47
.LBB1774_40:                            ;   in Loop: Header=BB1774_21 Depth=2
	s_wait_alu 0xfffe
	s_or_b32 exec_lo, exec_lo, s1
	s_delay_alu instid0(SALU_CYCLE_1)
	s_mov_b32 s1, exec_lo
	v_cmpx_gt_u32_e64 s0, v36
	s_cbranch_execnz .LBB1774_48
.LBB1774_41:                            ;   in Loop: Header=BB1774_21 Depth=2
	s_wait_alu 0xfffe
	s_or_b32 exec_lo, exec_lo, s1
	v_cmp_gt_u32_e32 vcc_lo, s0, v37
	s_and_saveexec_b32 s0, vcc_lo
	s_cbranch_execz .LBB1774_20
	s_branch .LBB1774_49
.LBB1774_42:                            ;   in Loop: Header=BB1774_21 Depth=2
	v_cmp_gt_i16_e32 vcc_lo, 0, v10
	s_wait_alu 0xfffd
	v_cndmask_b32_e64 v11, 0x7fff, 0, vcc_lo
	s_delay_alu instid0(VALU_DEP_1) | instskip(NEXT) | instid1(VALU_DEP_1)
	v_xor_b32_e32 v11, v11, v10
	v_cmp_ne_u16_e32 vcc_lo, 0x8000, v11
	s_wait_alu 0xfffd
	v_cndmask_b32_e32 v11, 0x7fff, v11, vcc_lo
	s_delay_alu instid0(VALU_DEP_1) | instskip(NEXT) | instid1(VALU_DEP_1)
	v_and_b32_e32 v11, 0xffff, v11
	v_lshrrev_b32_e32 v11, s23, v11
	s_delay_alu instid0(VALU_DEP_1) | instskip(NEXT) | instid1(VALU_DEP_1)
	v_and_b32_e32 v11, s42, v11
	v_lshl_or_b32 v11, v11, 4, v39
	ds_add_u32 v11, v62
	s_or_b32 exec_lo, exec_lo, s1
	s_delay_alu instid0(SALU_CYCLE_1)
	s_mov_b32 s1, exec_lo
	v_cmpx_gt_u32_e64 s0, v29
	s_cbranch_execz .LBB1774_36
.LBB1774_43:                            ;   in Loop: Header=BB1774_21 Depth=2
	v_cmp_gt_i16_e32 vcc_lo, 0, v9
	s_wait_alu 0xfffd
	v_cndmask_b32_e64 v11, 0x7fff, 0, vcc_lo
	s_delay_alu instid0(VALU_DEP_1) | instskip(NEXT) | instid1(VALU_DEP_1)
	v_xor_b32_e32 v11, v11, v9
	v_cmp_ne_u16_e32 vcc_lo, 0x8000, v11
	s_wait_alu 0xfffd
	v_cndmask_b32_e32 v11, 0x7fff, v11, vcc_lo
	s_delay_alu instid0(VALU_DEP_1) | instskip(NEXT) | instid1(VALU_DEP_1)
	v_and_b32_e32 v11, 0xffff, v11
	v_lshrrev_b32_e32 v11, s23, v11
	s_delay_alu instid0(VALU_DEP_1) | instskip(NEXT) | instid1(VALU_DEP_1)
	v_and_b32_e32 v11, s42, v11
	v_lshl_or_b32 v11, v11, 4, v39
	ds_add_u32 v11, v62
	s_wait_alu 0xfffe
	s_or_b32 exec_lo, exec_lo, s1
	s_delay_alu instid0(SALU_CYCLE_1)
	s_mov_b32 s1, exec_lo
	v_cmpx_gt_u32_e64 s0, v30
	s_cbranch_execz .LBB1774_37
.LBB1774_44:                            ;   in Loop: Header=BB1774_21 Depth=2
	v_cmp_gt_i16_e32 vcc_lo, 0, v8
	s_wait_alu 0xfffd
	v_cndmask_b32_e64 v11, 0x7fff, 0, vcc_lo
	s_delay_alu instid0(VALU_DEP_1) | instskip(NEXT) | instid1(VALU_DEP_1)
	v_xor_b32_e32 v11, v11, v8
	v_cmp_ne_u16_e32 vcc_lo, 0x8000, v11
	s_wait_alu 0xfffd
	v_cndmask_b32_e32 v11, 0x7fff, v11, vcc_lo
	s_delay_alu instid0(VALU_DEP_1) | instskip(NEXT) | instid1(VALU_DEP_1)
	v_and_b32_e32 v11, 0xffff, v11
	v_lshrrev_b32_e32 v11, s23, v11
	s_delay_alu instid0(VALU_DEP_1) | instskip(NEXT) | instid1(VALU_DEP_1)
	v_and_b32_e32 v11, s42, v11
	v_lshl_or_b32 v11, v11, 4, v39
	ds_add_u32 v11, v62
	s_wait_alu 0xfffe
	s_or_b32 exec_lo, exec_lo, s1
	s_delay_alu instid0(SALU_CYCLE_1)
	s_mov_b32 s1, exec_lo
	v_cmpx_gt_u32_e64 s0, v31
	s_cbranch_execz .LBB1774_38
.LBB1774_45:                            ;   in Loop: Header=BB1774_21 Depth=2
	v_cmp_gt_i16_e32 vcc_lo, 0, v7
	s_wait_alu 0xfffd
	v_cndmask_b32_e64 v11, 0x7fff, 0, vcc_lo
	s_delay_alu instid0(VALU_DEP_1) | instskip(NEXT) | instid1(VALU_DEP_1)
	v_xor_b32_e32 v11, v11, v7
	v_cmp_ne_u16_e32 vcc_lo, 0x8000, v11
	s_wait_alu 0xfffd
	v_cndmask_b32_e32 v11, 0x7fff, v11, vcc_lo
	s_delay_alu instid0(VALU_DEP_1) | instskip(NEXT) | instid1(VALU_DEP_1)
	v_and_b32_e32 v11, 0xffff, v11
	v_lshrrev_b32_e32 v11, s23, v11
	s_delay_alu instid0(VALU_DEP_1) | instskip(NEXT) | instid1(VALU_DEP_1)
	v_and_b32_e32 v11, s42, v11
	v_lshl_or_b32 v11, v11, 4, v39
	ds_add_u32 v11, v62
	s_wait_alu 0xfffe
	s_or_b32 exec_lo, exec_lo, s1
	s_delay_alu instid0(SALU_CYCLE_1)
	s_mov_b32 s1, exec_lo
	v_cmpx_gt_u32_e64 s0, v34
	s_cbranch_execz .LBB1774_39
.LBB1774_46:                            ;   in Loop: Header=BB1774_21 Depth=2
	v_cmp_gt_i16_e32 vcc_lo, 0, v6
	s_wait_alu 0xfffd
	v_cndmask_b32_e64 v11, 0x7fff, 0, vcc_lo
	s_delay_alu instid0(VALU_DEP_1) | instskip(NEXT) | instid1(VALU_DEP_1)
	v_xor_b32_e32 v11, v11, v6
	v_cmp_ne_u16_e32 vcc_lo, 0x8000, v11
	s_wait_alu 0xfffd
	v_cndmask_b32_e32 v11, 0x7fff, v11, vcc_lo
	s_delay_alu instid0(VALU_DEP_1) | instskip(NEXT) | instid1(VALU_DEP_1)
	v_and_b32_e32 v11, 0xffff, v11
	v_lshrrev_b32_e32 v11, s23, v11
	s_delay_alu instid0(VALU_DEP_1) | instskip(NEXT) | instid1(VALU_DEP_1)
	v_and_b32_e32 v11, s42, v11
	v_lshl_or_b32 v11, v11, 4, v39
	ds_add_u32 v11, v62
	s_wait_alu 0xfffe
	s_or_b32 exec_lo, exec_lo, s1
	s_delay_alu instid0(SALU_CYCLE_1)
	s_mov_b32 s1, exec_lo
	v_cmpx_gt_u32_e64 s0, v35
	s_cbranch_execz .LBB1774_40
.LBB1774_47:                            ;   in Loop: Header=BB1774_21 Depth=2
	v_cmp_gt_i16_e32 vcc_lo, 0, v5
	s_wait_alu 0xfffd
	v_cndmask_b32_e64 v11, 0x7fff, 0, vcc_lo
	s_delay_alu instid0(VALU_DEP_1) | instskip(NEXT) | instid1(VALU_DEP_1)
	v_xor_b32_e32 v11, v11, v5
	v_cmp_ne_u16_e32 vcc_lo, 0x8000, v11
	s_wait_alu 0xfffd
	v_cndmask_b32_e32 v11, 0x7fff, v11, vcc_lo
	s_delay_alu instid0(VALU_DEP_1) | instskip(NEXT) | instid1(VALU_DEP_1)
	v_and_b32_e32 v11, 0xffff, v11
	v_lshrrev_b32_e32 v11, s23, v11
	s_delay_alu instid0(VALU_DEP_1) | instskip(NEXT) | instid1(VALU_DEP_1)
	v_and_b32_e32 v11, s42, v11
	v_lshl_or_b32 v11, v11, 4, v39
	ds_add_u32 v11, v62
	s_wait_alu 0xfffe
	s_or_b32 exec_lo, exec_lo, s1
	s_delay_alu instid0(SALU_CYCLE_1)
	s_mov_b32 s1, exec_lo
	v_cmpx_gt_u32_e64 s0, v36
	s_cbranch_execz .LBB1774_41
.LBB1774_48:                            ;   in Loop: Header=BB1774_21 Depth=2
	v_cmp_gt_i16_e32 vcc_lo, 0, v4
	s_wait_alu 0xfffd
	v_cndmask_b32_e64 v11, 0x7fff, 0, vcc_lo
	s_delay_alu instid0(VALU_DEP_1) | instskip(NEXT) | instid1(VALU_DEP_1)
	v_xor_b32_e32 v11, v11, v4
	v_cmp_ne_u16_e32 vcc_lo, 0x8000, v11
	s_wait_alu 0xfffd
	v_cndmask_b32_e32 v11, 0x7fff, v11, vcc_lo
	s_delay_alu instid0(VALU_DEP_1) | instskip(NEXT) | instid1(VALU_DEP_1)
	v_and_b32_e32 v11, 0xffff, v11
	v_lshrrev_b32_e32 v11, s23, v11
	s_delay_alu instid0(VALU_DEP_1) | instskip(NEXT) | instid1(VALU_DEP_1)
	v_and_b32_e32 v11, s42, v11
	v_lshl_or_b32 v11, v11, 4, v39
	ds_add_u32 v11, v62
	s_wait_alu 0xfffe
	s_or_b32 exec_lo, exec_lo, s1
	v_cmp_gt_u32_e32 vcc_lo, s0, v37
	s_and_saveexec_b32 s0, vcc_lo
	s_cbranch_execz .LBB1774_20
.LBB1774_49:                            ;   in Loop: Header=BB1774_21 Depth=2
	v_cmp_gt_i16_e32 vcc_lo, 0, v2
	s_wait_alu 0xfffd
	v_cndmask_b32_e64 v11, 0x7fff, 0, vcc_lo
	s_delay_alu instid0(VALU_DEP_1) | instskip(NEXT) | instid1(VALU_DEP_1)
	v_xor_b32_e32 v11, v11, v2
	v_cmp_ne_u16_e32 vcc_lo, 0x8000, v11
	s_wait_alu 0xfffd
	v_cndmask_b32_e32 v11, 0x7fff, v11, vcc_lo
	s_delay_alu instid0(VALU_DEP_1) | instskip(NEXT) | instid1(VALU_DEP_1)
	v_and_b32_e32 v11, 0xffff, v11
	v_lshrrev_b32_e32 v11, s23, v11
	s_delay_alu instid0(VALU_DEP_1) | instskip(NEXT) | instid1(VALU_DEP_1)
	v_and_b32_e32 v11, s42, v11
	v_lshl_or_b32 v11, v11, 4, v39
	ds_add_u32 v11, v62
	s_branch .LBB1774_20
.LBB1774_50:                            ;   in Loop: Header=BB1774_21 Depth=2
	global_load_u16 v10, v82, s[0:1]
	s_or_b32 exec_lo, exec_lo, s11
	s_delay_alu instid0(SALU_CYCLE_1)
	s_mov_b32 s11, exec_lo
	v_cmpx_gt_u32_e64 s9, v29
	s_cbranch_execz .LBB1774_26
.LBB1774_51:                            ;   in Loop: Header=BB1774_21 Depth=2
	global_load_u16 v9, v82, s[0:1] offset:512
	s_wait_alu 0xfffe
	s_or_b32 exec_lo, exec_lo, s11
	s_delay_alu instid0(SALU_CYCLE_1)
	s_mov_b32 s11, exec_lo
	v_cmpx_gt_u32_e64 s9, v30
	s_cbranch_execz .LBB1774_27
.LBB1774_52:                            ;   in Loop: Header=BB1774_21 Depth=2
	global_load_u16 v8, v82, s[0:1] offset:1024
	s_wait_alu 0xfffe
	s_or_b32 exec_lo, exec_lo, s11
	s_delay_alu instid0(SALU_CYCLE_1)
	s_mov_b32 s11, exec_lo
	v_cmpx_gt_u32_e64 s9, v31
	s_cbranch_execz .LBB1774_28
.LBB1774_53:                            ;   in Loop: Header=BB1774_21 Depth=2
	global_load_u16 v7, v82, s[0:1] offset:1536
	s_wait_alu 0xfffe
	s_or_b32 exec_lo, exec_lo, s11
	s_delay_alu instid0(SALU_CYCLE_1)
	s_mov_b32 s11, exec_lo
	v_cmpx_gt_u32_e64 s9, v34
	s_cbranch_execz .LBB1774_29
.LBB1774_54:                            ;   in Loop: Header=BB1774_21 Depth=2
	global_load_u16 v6, v82, s[0:1] offset:2048
	s_wait_alu 0xfffe
	s_or_b32 exec_lo, exec_lo, s11
	s_delay_alu instid0(SALU_CYCLE_1)
	s_mov_b32 s11, exec_lo
	v_cmpx_gt_u32_e64 s9, v35
	s_cbranch_execz .LBB1774_30
.LBB1774_55:                            ;   in Loop: Header=BB1774_21 Depth=2
	global_load_u16 v5, v82, s[0:1] offset:2560
	s_wait_alu 0xfffe
	s_or_b32 exec_lo, exec_lo, s11
	s_delay_alu instid0(SALU_CYCLE_1)
	s_mov_b32 s11, exec_lo
	v_cmpx_gt_u32_e64 s9, v36
	s_cbranch_execz .LBB1774_31
.LBB1774_56:                            ;   in Loop: Header=BB1774_21 Depth=2
	global_load_u16 v4, v82, s[0:1] offset:3072
	s_wait_alu 0xfffe
	s_or_b32 exec_lo, exec_lo, s11
	s_delay_alu instid0(SALU_CYCLE_1)
	s_mov_b32 s11, exec_lo
	v_cmpx_gt_u32_e64 s9, v37
	s_cbranch_execnz .LBB1774_32
	s_branch .LBB1774_33
.LBB1774_57:                            ;   in Loop: Header=BB1774_17 Depth=1
	v_mov_b32_e32 v2, 0
	s_wait_dscnt 0x0
	s_barrier_signal -1
	s_barrier_wait -1
	global_inv scope:SCOPE_SE
	s_and_saveexec_b32 s0, s2
	s_cbranch_execz .LBB1774_59
; %bb.58:                               ;   in Loop: Header=BB1774_17 Depth=1
	ds_load_2addr_b64 v[4:7], v40 offset1:1
	s_wait_dscnt 0x0
	v_add_nc_u32_e32 v2, v5, v4
	s_delay_alu instid0(VALU_DEP_1)
	v_add3_u32 v2, v2, v6, v7
.LBB1774_59:                            ;   in Loop: Header=BB1774_17 Depth=1
	s_wait_alu 0xfffe
	s_or_b32 exec_lo, exec_lo, s0
	s_delay_alu instid0(VALU_DEP_1)
	v_mov_b32_dpp v4, v2 row_shr:1 row_mask:0xf bank_mask:0xf
	v_cmp_eq_u32_e64 s0, 0, v63
	v_cmp_lt_u32_e64 s1, 1, v63
	v_cmp_lt_u32_e64 s9, 3, v63
	;; [unrolled: 1-line block ×3, first 2 shown]
	v_cmp_eq_u32_e64 s11, 0, v65
	s_wait_alu 0xf1ff
	v_cndmask_b32_e64 v4, v4, 0, s0
	s_delay_alu instid0(VALU_DEP_1) | instskip(NEXT) | instid1(VALU_DEP_1)
	v_add_nc_u32_e32 v2, v4, v2
	v_mov_b32_dpp v4, v2 row_shr:2 row_mask:0xf bank_mask:0xf
	s_delay_alu instid0(VALU_DEP_1) | instskip(NEXT) | instid1(VALU_DEP_1)
	v_cndmask_b32_e64 v4, 0, v4, s1
	v_add_nc_u32_e32 v2, v2, v4
	s_delay_alu instid0(VALU_DEP_1) | instskip(NEXT) | instid1(VALU_DEP_1)
	v_mov_b32_dpp v4, v2 row_shr:4 row_mask:0xf bank_mask:0xf
	v_cndmask_b32_e64 v4, 0, v4, s9
	s_delay_alu instid0(VALU_DEP_1) | instskip(NEXT) | instid1(VALU_DEP_1)
	v_add_nc_u32_e32 v2, v2, v4
	v_mov_b32_dpp v4, v2 row_shr:8 row_mask:0xf bank_mask:0xf
	s_delay_alu instid0(VALU_DEP_1) | instskip(NEXT) | instid1(VALU_DEP_1)
	v_cndmask_b32_e64 v4, 0, v4, s10
	v_add_nc_u32_e32 v2, v2, v4
	ds_swizzle_b32 v4, v2 offset:swizzle(BROADCAST,32,15)
	s_wait_dscnt 0x0
	v_and_b32_e32 v4, v64, v4
	s_delay_alu instid0(VALU_DEP_1)
	v_add_nc_u32_e32 v2, v2, v4
	s_and_saveexec_b32 s12, s3
; %bb.60:                               ;   in Loop: Header=BB1774_17 Depth=1
	ds_store_b32 v41, v2
; %bb.61:                               ;   in Loop: Header=BB1774_17 Depth=1
	s_wait_alu 0xfffe
	s_or_b32 exec_lo, exec_lo, s12
	s_wait_loadcnt_dscnt 0x0
	s_barrier_signal -1
	s_barrier_wait -1
	global_inv scope:SCOPE_SE
	s_and_saveexec_b32 s12, s4
	s_cbranch_execz .LBB1774_63
; %bb.62:                               ;   in Loop: Header=BB1774_17 Depth=1
	ds_load_b32 v4, v42
	v_cmp_ne_u32_e32 vcc_lo, 0, v67
	s_wait_dscnt 0x0
	v_mov_b32_dpp v5, v4 row_shr:1 row_mask:0xf bank_mask:0xf
	s_wait_alu 0xfffd
	s_delay_alu instid0(VALU_DEP_1) | instskip(SKIP_1) | instid1(VALU_DEP_2)
	v_cndmask_b32_e32 v5, 0, v5, vcc_lo
	v_cmp_lt_u32_e32 vcc_lo, 1, v67
	v_add_nc_u32_e32 v4, v5, v4
	s_delay_alu instid0(VALU_DEP_1) | instskip(SKIP_1) | instid1(VALU_DEP_1)
	v_mov_b32_dpp v5, v4 row_shr:2 row_mask:0xf bank_mask:0xf
	s_wait_alu 0xfffd
	v_cndmask_b32_e32 v5, 0, v5, vcc_lo
	v_cmp_lt_u32_e32 vcc_lo, 3, v67
	s_delay_alu instid0(VALU_DEP_2) | instskip(NEXT) | instid1(VALU_DEP_1)
	v_add_nc_u32_e32 v4, v4, v5
	v_mov_b32_dpp v5, v4 row_shr:4 row_mask:0xf bank_mask:0xf
	s_wait_alu 0xfffd
	s_delay_alu instid0(VALU_DEP_1) | instskip(NEXT) | instid1(VALU_DEP_1)
	v_cndmask_b32_e32 v5, 0, v5, vcc_lo
	v_add_nc_u32_e32 v4, v4, v5
	ds_store_b32 v42, v4
.LBB1774_63:                            ;   in Loop: Header=BB1774_17 Depth=1
	s_wait_alu 0xfffe
	s_or_b32 exec_lo, exec_lo, s12
	v_mov_b32_e32 v4, 0
	s_wait_loadcnt_dscnt 0x0
	s_barrier_signal -1
	s_barrier_wait -1
	global_inv scope:SCOPE_SE
	s_and_saveexec_b32 s12, s5
; %bb.64:                               ;   in Loop: Header=BB1774_17 Depth=1
	ds_load_b32 v4, v44
; %bb.65:                               ;   in Loop: Header=BB1774_17 Depth=1
	s_wait_alu 0xfffe
	s_or_b32 exec_lo, exec_lo, s12
	v_cmp_gt_i32_e32 vcc_lo, 0, v68
	s_wait_dscnt 0x0
	v_add_nc_u32_e32 v2, v4, v2
	s_wait_loadcnt 0x0
	s_barrier_signal -1
	s_barrier_wait -1
	s_wait_alu 0xfffd
	v_cndmask_b32_e32 v5, v68, v59, vcc_lo
	global_inv scope:SCOPE_SE
	v_lshlrev_b32_e32 v87, 2, v5
	ds_bpermute_b32 v2, v87, v2
	s_and_saveexec_b32 s12, s2
	s_cbranch_execz .LBB1774_67
; %bb.66:                               ;   in Loop: Header=BB1774_17 Depth=1
	s_wait_dscnt 0x0
	v_cndmask_b32_e64 v2, v2, v4, s8
	s_delay_alu instid0(VALU_DEP_1)
	v_add_nc_u32_e32 v2, s33, v2
	ds_store_b32 v28, v2
.LBB1774_67:                            ;   in Loop: Header=BB1774_17 Depth=1
	s_wait_alu 0xfffe
	s_or_b32 exec_lo, exec_lo, s12
	s_clause 0x1
	s_load_b32 s12, s[28:29], 0x4
	s_load_b32 s14, s[28:29], 0xc
	s_mov_b32 s43, s47
                                        ; implicit-def: $vgpr6_vgpr7
                                        ; implicit-def: $vgpr8_vgpr9
                                        ; implicit-def: $vgpr10_vgpr11
                                        ; implicit-def: $vgpr12_vgpr13
                                        ; implicit-def: $vgpr14_vgpr15
                                        ; implicit-def: $vgpr16_vgpr17
                                        ; implicit-def: $vgpr18_vgpr19
                                        ; implicit-def: $vgpr89
                                        ; implicit-def: $vgpr90
                                        ; implicit-def: $vgpr91
                                        ; implicit-def: $vgpr92
                                        ; implicit-def: $vgpr93
                                        ; implicit-def: $vgpr94
                                        ; implicit-def: $vgpr95
                                        ; implicit-def: $vgpr96
	s_wait_kmcnt 0x0
	s_cmp_lt_u32 ttmp7, s12
	s_cselect_b32 s30, 14, 20
	s_wait_alu 0xfffe
	s_add_nc_u64 s[12:13], s[28:29], s[30:31]
	s_mov_b32 s30, s33
	s_load_u16 s12, s[12:13], 0x0
	v_cmp_lt_u32_e64 s13, 1, v67
	s_wait_dscnt 0x0
	s_wait_kmcnt 0x0
	v_mad_u32_u24 v2, v45, s12, v0
	s_and_b32 s12, s14, 0xffff
	v_cmp_lt_u32_e64 s14, 3, v67
	s_wait_alu 0xfffe
	s_delay_alu instid0(VALU_DEP_2) | instskip(SKIP_1) | instid1(VALU_DEP_2)
	v_mad_co_u64_u32 v[4:5], null, v2, s12, v[1:2]
	v_cmp_eq_u32_e64 s12, 0, v67
	v_lshrrev_b32_e32 v2, 3, v4
                                        ; implicit-def: $vgpr4_vgpr5
	s_delay_alu instid0(VALU_DEP_1)
	v_and_b32_e32 v88, 0x1ffffffc, v2
	s_branch .LBB1774_69
.LBB1774_68:                            ;   in Loop: Header=BB1774_69 Depth=2
	s_wait_alu 0xfffe
	s_or_b32 exec_lo, exec_lo, s15
	s_addk_co_i32 s43, 0xf800
	s_cmp_lt_u32 s44, s34
	s_mov_b32 s30, s44
	s_cbranch_scc0 .LBB1774_181
.LBB1774_69:                            ;   Parent Loop BB1774_17 Depth=1
                                        ; =>  This Inner Loop Header: Depth=2
	s_wait_alu 0xfffe
	s_add_co_i32 s44, s30, 0x800
	s_wait_alu 0xfffe
	s_cmp_gt_u32 s44, s34
	s_cbranch_scc1 .LBB1774_71
; %bb.70:                               ;   in Loop: Header=BB1774_69 Depth=2
	s_lshl_b64 s[16:17], s[30:31], 1
	s_mov_b32 s15, -1
	s_wait_alu 0xfffe
	v_add_co_u32 v20, vcc_lo, v85, s16
	s_wait_alu 0xfffd
	v_add_co_ci_u32_e64 v21, null, s17, v86, vcc_lo
	s_clause 0x6
	global_load_u16 v2, v[20:21], off
	global_load_u16 v27, v[20:21], off offset:64
	global_load_u16 v26, v[20:21], off offset:128
	;; [unrolled: 1-line block ×6, first 2 shown]
	s_movk_i32 s16, 0x800
	s_cbranch_execz .LBB1774_72
	s_branch .LBB1774_87
.LBB1774_71:                            ;   in Loop: Header=BB1774_69 Depth=2
	s_mov_b32 s15, 0
                                        ; implicit-def: $vgpr2
                                        ; implicit-def: $vgpr27
                                        ; implicit-def: $vgpr26
                                        ; implicit-def: $vgpr25
                                        ; implicit-def: $vgpr24
                                        ; implicit-def: $vgpr23
                                        ; implicit-def: $vgpr22
	s_movk_i32 s16, 0x800
.LBB1774_72:                            ;   in Loop: Header=BB1774_69 Depth=2
	s_lshl_b64 s[16:17], s[30:31], 1
	s_wait_loadcnt 0x5
	v_dual_mov_b32 v27, -1 :: v_dual_mov_b32 v2, -1
	s_wait_alu 0xfffe
	v_add_co_u32 v20, vcc_lo, v85, s16
	s_wait_alu 0xfffd
	v_add_co_ci_u32_e64 v21, null, s17, v86, vcc_lo
	s_mov_b32 s15, exec_lo
	v_cmpx_gt_u32_e64 s43, v66
	s_cbranch_execz .LBB1774_74
; %bb.73:                               ;   in Loop: Header=BB1774_69 Depth=2
	global_load_u16 v2, v[20:21], off
.LBB1774_74:                            ;   in Loop: Header=BB1774_69 Depth=2
	s_wait_alu 0xfffe
	s_or_b32 exec_lo, exec_lo, s15
	s_delay_alu instid0(SALU_CYCLE_1)
	s_mov_b32 s15, exec_lo
	v_cmpx_gt_u32_e64 s43, v70
	s_cbranch_execz .LBB1774_76
; %bb.75:                               ;   in Loop: Header=BB1774_69 Depth=2
	global_load_u16 v27, v[20:21], off offset:64
.LBB1774_76:                            ;   in Loop: Header=BB1774_69 Depth=2
	s_wait_alu 0xfffe
	s_or_b32 exec_lo, exec_lo, s15
	s_wait_loadcnt 0x3
	v_dual_mov_b32 v25, -1 :: v_dual_mov_b32 v26, -1
	s_mov_b32 s15, exec_lo
	v_cmpx_gt_u32_e64 s43, v71
	s_cbranch_execz .LBB1774_78
; %bb.77:                               ;   in Loop: Header=BB1774_69 Depth=2
	global_load_u16 v26, v[20:21], off offset:128
.LBB1774_78:                            ;   in Loop: Header=BB1774_69 Depth=2
	s_wait_alu 0xfffe
	s_or_b32 exec_lo, exec_lo, s15
	s_delay_alu instid0(SALU_CYCLE_1)
	s_mov_b32 s15, exec_lo
	v_cmpx_gt_u32_e64 s43, v72
	s_cbranch_execz .LBB1774_80
; %bb.79:                               ;   in Loop: Header=BB1774_69 Depth=2
	global_load_u16 v25, v[20:21], off offset:192
.LBB1774_80:                            ;   in Loop: Header=BB1774_69 Depth=2
	s_wait_alu 0xfffe
	s_or_b32 exec_lo, exec_lo, s15
	s_wait_loadcnt 0x1
	v_dual_mov_b32 v23, -1 :: v_dual_mov_b32 v24, -1
	s_mov_b32 s15, exec_lo
	v_cmpx_gt_u32_e64 s43, v73
	s_cbranch_execz .LBB1774_82
; %bb.81:                               ;   in Loop: Header=BB1774_69 Depth=2
	global_load_u16 v24, v[20:21], off offset:256
.LBB1774_82:                            ;   in Loop: Header=BB1774_69 Depth=2
	s_wait_alu 0xfffe
	s_or_b32 exec_lo, exec_lo, s15
	s_delay_alu instid0(SALU_CYCLE_1)
	s_mov_b32 s15, exec_lo
	v_cmpx_gt_u32_e64 s43, v74
	s_cbranch_execz .LBB1774_84
; %bb.83:                               ;   in Loop: Header=BB1774_69 Depth=2
	global_load_u16 v23, v[20:21], off offset:320
.LBB1774_84:                            ;   in Loop: Header=BB1774_69 Depth=2
	s_wait_alu 0xfffe
	s_or_b32 exec_lo, exec_lo, s15
	s_wait_loadcnt 0x0
	v_mov_b32_e32 v22, -1
	s_mov_b32 s15, exec_lo
	v_cmpx_gt_u32_e64 s43, v75
	s_cbranch_execz .LBB1774_86
; %bb.85:                               ;   in Loop: Header=BB1774_69 Depth=2
	global_load_u16 v22, v[20:21], off offset:384
.LBB1774_86:                            ;   in Loop: Header=BB1774_69 Depth=2
	s_wait_alu 0xfffe
	s_or_b32 exec_lo, exec_lo, s15
	v_cmp_gt_u32_e64 s15, s43, v76
	s_sub_co_i32 s16, s34, s30
.LBB1774_87:                            ;   in Loop: Header=BB1774_69 Depth=2
	v_dual_mov_b32 v20, -1 :: v_dual_mov_b32 v97, s43
	s_and_saveexec_b32 s17, s15
	s_cbranch_execz .LBB1774_89
; %bb.88:                               ;   in Loop: Header=BB1774_69 Depth=2
	s_lshl_b64 s[18:19], s[30:31], 1
	s_wait_alu 0xfffe
	v_mov_b32_e32 v97, s16
	v_add_co_u32 v20, vcc_lo, v85, s18
	s_wait_alu 0xfffd
	v_add_co_ci_u32_e64 v21, null, s19, v86, vcc_lo
	global_load_u16 v20, v[20:21], off offset:448
.LBB1774_89:                            ;   in Loop: Header=BB1774_69 Depth=2
	s_wait_alu 0xfffe
	s_or_b32 exec_lo, exec_lo, s17
	s_wait_loadcnt 0x6
	v_cmp_gt_i16_e32 vcc_lo, 0, v2
	ds_store_2addr_b32 v81, v3, v3 offset1:1
	ds_store_2addr_b32 v78, v3, v3 offset1:1
	;; [unrolled: 1-line block ×4, first 2 shown]
	ds_store_b32 v43, v3 offset:1088
	s_wait_loadcnt_dscnt 0x0
	s_barrier_signal -1
	s_wait_alu 0xfffd
	v_cndmask_b32_e64 v21, 0x7fff, 0, vcc_lo
	s_barrier_wait -1
	global_inv scope:SCOPE_SE
	; wave barrier
	v_xor_b32_e32 v2, v21, v2
	s_delay_alu instid0(VALU_DEP_1) | instskip(SKIP_2) | instid1(VALU_DEP_1)
	v_cmp_ne_u16_e32 vcc_lo, 0x8000, v2
	s_wait_alu 0xfffd
	v_cndmask_b32_e32 v21, 0x7fff, v2, vcc_lo
	v_and_b32_e32 v21, 0xffff, v21
	s_delay_alu instid0(VALU_DEP_1) | instskip(NEXT) | instid1(VALU_DEP_1)
	v_lshrrev_b32_e32 v21, s23, v21
	v_and_b32_e32 v99, s42, v21
	s_delay_alu instid0(VALU_DEP_1)
	v_and_b32_e32 v21, 1, v99
	v_lshlrev_b32_e32 v98, 30, v99
	v_lshlrev_b32_e32 v100, 29, v99
	;; [unrolled: 1-line block ×4, first 2 shown]
	v_add_co_u32 v21, s15, v21, -1
	s_wait_alu 0xf1ff
	v_cndmask_b32_e64 v102, 0, 1, s15
	v_not_b32_e32 v106, v98
	v_cmp_gt_i32_e64 s15, 0, v98
	v_not_b32_e32 v98, v100
	v_lshlrev_b32_e32 v104, 26, v99
	v_cmp_ne_u32_e32 vcc_lo, 0, v102
	v_ashrrev_i32_e32 v106, 31, v106
	v_lshlrev_b32_e32 v105, 25, v99
	v_ashrrev_i32_e32 v98, 31, v98
	v_lshlrev_b32_e32 v102, 24, v99
	s_wait_alu 0xfffd
	v_xor_b32_e32 v21, vcc_lo, v21
	v_cmp_gt_i32_e32 vcc_lo, 0, v100
	v_not_b32_e32 v100, v101
	s_wait_alu 0xf1ff
	v_xor_b32_e32 v106, s15, v106
	v_cmp_gt_i32_e64 s15, 0, v101
	v_and_b32_e32 v21, exec_lo, v21
	v_not_b32_e32 v101, v103
	v_ashrrev_i32_e32 v100, 31, v100
	s_wait_alu 0xfffd
	v_xor_b32_e32 v98, vcc_lo, v98
	v_cmp_gt_i32_e32 vcc_lo, 0, v103
	v_and_b32_e32 v21, v21, v106
	v_not_b32_e32 v103, v104
	v_ashrrev_i32_e32 v101, 31, v101
	s_wait_alu 0xf1ff
	v_xor_b32_e32 v100, s15, v100
	v_cmp_gt_i32_e64 s15, 0, v104
	v_and_b32_e32 v21, v21, v98
	v_not_b32_e32 v98, v105
	v_ashrrev_i32_e32 v103, 31, v103
	s_wait_alu 0xfffd
	v_xor_b32_e32 v101, vcc_lo, v101
	v_cmp_gt_i32_e32 vcc_lo, 0, v105
	v_and_b32_e32 v21, v21, v100
	v_not_b32_e32 v100, v102
	v_ashrrev_i32_e32 v98, 31, v98
	s_wait_alu 0xf1ff
	v_xor_b32_e32 v103, s15, v103
	v_cmp_gt_i32_e64 s15, 0, v102
	v_and_b32_e32 v21, v21, v101
	v_ashrrev_i32_e32 v100, 31, v100
	s_wait_alu 0xfffd
	v_xor_b32_e32 v98, vcc_lo, v98
	v_mul_u32_u24_e32 v99, 36, v99
	v_and_b32_e32 v21, v21, v103
	s_wait_alu 0xf1ff
	v_xor_b32_e32 v100, s15, v100
	s_delay_alu instid0(VALU_DEP_2) | instskip(NEXT) | instid1(VALU_DEP_1)
	v_and_b32_e32 v21, v21, v98
	v_and_b32_e32 v21, v21, v100
	v_add_nc_u32_e32 v100, v88, v99
	s_delay_alu instid0(VALU_DEP_2) | instskip(SKIP_1) | instid1(VALU_DEP_2)
	v_mbcnt_lo_u32_b32 v98, v21, 0
	v_cmp_ne_u32_e64 s15, 0, v21
	v_cmp_eq_u32_e32 vcc_lo, 0, v98
	s_and_b32 s16, s15, vcc_lo
	s_wait_alu 0xfffe
	s_and_saveexec_b32 s15, s16
; %bb.90:                               ;   in Loop: Header=BB1774_69 Depth=2
	v_bcnt_u32_b32 v21, v21, 0
	ds_store_b32 v100, v21 offset:1056
; %bb.91:                               ;   in Loop: Header=BB1774_69 Depth=2
	s_wait_alu 0xfffe
	s_or_b32 exec_lo, exec_lo, s15
	v_cmp_gt_i16_e32 vcc_lo, 0, v27
	; wave barrier
	s_wait_alu 0xfffd
	v_cndmask_b32_e64 v21, 0x7fff, 0, vcc_lo
	s_delay_alu instid0(VALU_DEP_1) | instskip(NEXT) | instid1(VALU_DEP_1)
	v_xor_b32_e32 v99, v21, v27
	v_cmp_ne_u16_e32 vcc_lo, 0x8000, v99
	s_wait_alu 0xfffd
	v_cndmask_b32_e32 v21, 0x7fff, v99, vcc_lo
	s_delay_alu instid0(VALU_DEP_1) | instskip(NEXT) | instid1(VALU_DEP_1)
	v_and_b32_e32 v21, 0xffff, v21
	v_lshrrev_b32_e32 v21, s23, v21
	s_delay_alu instid0(VALU_DEP_1) | instskip(NEXT) | instid1(VALU_DEP_1)
	v_and_b32_e32 v27, s42, v21
	v_and_b32_e32 v21, 1, v27
	v_lshlrev_b32_e32 v101, 30, v27
	v_lshlrev_b32_e32 v102, 29, v27
	;; [unrolled: 1-line block ×4, first 2 shown]
	v_add_co_u32 v21, s15, v21, -1
	s_wait_alu 0xf1ff
	v_cndmask_b32_e64 v104, 0, 1, s15
	v_not_b32_e32 v108, v101
	v_cmp_gt_i32_e64 s15, 0, v101
	v_not_b32_e32 v101, v102
	v_lshlrev_b32_e32 v106, 26, v27
	v_cmp_ne_u32_e32 vcc_lo, 0, v104
	v_ashrrev_i32_e32 v108, 31, v108
	v_lshlrev_b32_e32 v107, 25, v27
	v_ashrrev_i32_e32 v101, 31, v101
	v_lshlrev_b32_e32 v104, 24, v27
	s_wait_alu 0xfffd
	v_xor_b32_e32 v21, vcc_lo, v21
	v_cmp_gt_i32_e32 vcc_lo, 0, v102
	v_not_b32_e32 v102, v103
	s_wait_alu 0xf1ff
	v_xor_b32_e32 v108, s15, v108
	v_cmp_gt_i32_e64 s15, 0, v103
	v_and_b32_e32 v21, exec_lo, v21
	v_not_b32_e32 v103, v105
	v_ashrrev_i32_e32 v102, 31, v102
	s_wait_alu 0xfffd
	v_xor_b32_e32 v101, vcc_lo, v101
	v_cmp_gt_i32_e32 vcc_lo, 0, v105
	v_and_b32_e32 v21, v21, v108
	v_not_b32_e32 v105, v106
	v_ashrrev_i32_e32 v103, 31, v103
	s_wait_alu 0xf1ff
	v_xor_b32_e32 v102, s15, v102
	v_cmp_gt_i32_e64 s15, 0, v106
	v_and_b32_e32 v21, v21, v101
	v_not_b32_e32 v101, v107
	v_ashrrev_i32_e32 v105, 31, v105
	s_wait_alu 0xfffd
	v_xor_b32_e32 v103, vcc_lo, v103
	v_cmp_gt_i32_e32 vcc_lo, 0, v107
	v_and_b32_e32 v21, v21, v102
	v_not_b32_e32 v102, v104
	v_ashrrev_i32_e32 v101, 31, v101
	s_wait_alu 0xf1ff
	v_xor_b32_e32 v105, s15, v105
	v_cmp_gt_i32_e64 s15, 0, v104
	v_and_b32_e32 v21, v21, v103
	v_ashrrev_i32_e32 v102, 31, v102
	s_wait_alu 0xfffd
	v_xor_b32_e32 v101, vcc_lo, v101
	v_mad_u32_u24 v103, v27, 36, v88
	v_mul_u32_u24_e32 v27, 36, v27
	v_and_b32_e32 v21, v21, v105
	s_wait_alu 0xf1ff
	v_xor_b32_e32 v102, s15, v102
	s_delay_alu instid0(VALU_DEP_3) | instskip(NEXT) | instid1(VALU_DEP_3)
	v_add_nc_u32_e32 v104, v88, v27
	v_and_b32_e32 v21, v21, v101
	ds_load_b32 v101, v103 offset:1056
	; wave barrier
	v_and_b32_e32 v21, v21, v102
	s_delay_alu instid0(VALU_DEP_1) | instskip(SKIP_1) | instid1(VALU_DEP_2)
	v_mbcnt_lo_u32_b32 v102, v21, 0
	v_cmp_ne_u32_e64 s15, 0, v21
	v_cmp_eq_u32_e32 vcc_lo, 0, v102
	s_and_b32 s16, s15, vcc_lo
	s_wait_alu 0xfffe
	s_and_saveexec_b32 s15, s16
	s_cbranch_execz .LBB1774_93
; %bb.92:                               ;   in Loop: Header=BB1774_69 Depth=2
	s_wait_dscnt 0x0
	v_bcnt_u32_b32 v21, v21, v101
	ds_store_b32 v104, v21 offset:1056
.LBB1774_93:                            ;   in Loop: Header=BB1774_69 Depth=2
	s_wait_alu 0xfffe
	s_or_b32 exec_lo, exec_lo, s15
	v_cmp_gt_i16_e32 vcc_lo, 0, v26
	; wave barrier
	s_wait_alu 0xfffd
	v_cndmask_b32_e64 v21, 0x7fff, 0, vcc_lo
	s_delay_alu instid0(VALU_DEP_1) | instskip(NEXT) | instid1(VALU_DEP_1)
	v_xor_b32_e32 v103, v21, v26
	v_cmp_ne_u16_e32 vcc_lo, 0x8000, v103
	s_wait_alu 0xfffd
	v_cndmask_b32_e32 v21, 0x7fff, v103, vcc_lo
	s_delay_alu instid0(VALU_DEP_1) | instskip(NEXT) | instid1(VALU_DEP_1)
	v_and_b32_e32 v21, 0xffff, v21
	v_lshrrev_b32_e32 v21, s23, v21
	s_delay_alu instid0(VALU_DEP_1) | instskip(NEXT) | instid1(VALU_DEP_1)
	v_and_b32_e32 v26, s42, v21
	v_and_b32_e32 v21, 1, v26
	v_lshlrev_b32_e32 v27, 30, v26
	v_lshlrev_b32_e32 v105, 29, v26
	;; [unrolled: 1-line block ×4, first 2 shown]
	v_add_co_u32 v21, s15, v21, -1
	s_wait_alu 0xf1ff
	v_cndmask_b32_e64 v107, 0, 1, s15
	v_not_b32_e32 v111, v27
	v_cmp_gt_i32_e64 s15, 0, v27
	v_not_b32_e32 v27, v105
	v_lshlrev_b32_e32 v109, 26, v26
	v_cmp_ne_u32_e32 vcc_lo, 0, v107
	v_ashrrev_i32_e32 v111, 31, v111
	v_lshlrev_b32_e32 v110, 25, v26
	v_ashrrev_i32_e32 v27, 31, v27
	v_lshlrev_b32_e32 v107, 24, v26
	s_wait_alu 0xfffd
	v_xor_b32_e32 v21, vcc_lo, v21
	v_cmp_gt_i32_e32 vcc_lo, 0, v105
	v_not_b32_e32 v105, v106
	s_wait_alu 0xf1ff
	v_xor_b32_e32 v111, s15, v111
	v_cmp_gt_i32_e64 s15, 0, v106
	v_and_b32_e32 v21, exec_lo, v21
	v_not_b32_e32 v106, v108
	v_ashrrev_i32_e32 v105, 31, v105
	s_wait_alu 0xfffd
	v_xor_b32_e32 v27, vcc_lo, v27
	v_cmp_gt_i32_e32 vcc_lo, 0, v108
	v_and_b32_e32 v21, v21, v111
	v_not_b32_e32 v108, v109
	v_ashrrev_i32_e32 v106, 31, v106
	s_wait_alu 0xf1ff
	v_xor_b32_e32 v105, s15, v105
	v_cmp_gt_i32_e64 s15, 0, v109
	v_and_b32_e32 v21, v21, v27
	v_not_b32_e32 v27, v110
	v_ashrrev_i32_e32 v108, 31, v108
	s_wait_alu 0xfffd
	v_xor_b32_e32 v106, vcc_lo, v106
	v_cmp_gt_i32_e32 vcc_lo, 0, v110
	v_and_b32_e32 v21, v21, v105
	v_not_b32_e32 v105, v107
	v_ashrrev_i32_e32 v27, 31, v27
	s_wait_alu 0xf1ff
	v_xor_b32_e32 v108, s15, v108
	v_cmp_gt_i32_e64 s15, 0, v107
	v_and_b32_e32 v21, v21, v106
	v_ashrrev_i32_e32 v105, 31, v105
	s_wait_alu 0xfffd
	v_xor_b32_e32 v27, vcc_lo, v27
	v_mad_u32_u24 v106, v26, 36, v88
	v_mul_u32_u24_e32 v26, 36, v26
	v_and_b32_e32 v21, v21, v108
	s_wait_alu 0xf1ff
	v_xor_b32_e32 v107, s15, v105
	ds_load_b32 v105, v106 offset:1056
	v_add_nc_u32_e32 v108, v88, v26
	v_and_b32_e32 v21, v21, v27
	; wave barrier
	s_delay_alu instid0(VALU_DEP_1) | instskip(NEXT) | instid1(VALU_DEP_1)
	v_and_b32_e32 v21, v21, v107
	v_mbcnt_lo_u32_b32 v107, v21, 0
	v_cmp_ne_u32_e64 s15, 0, v21
	s_delay_alu instid0(VALU_DEP_2)
	v_cmp_eq_u32_e32 vcc_lo, 0, v107
	s_and_b32 s16, s15, vcc_lo
	s_wait_alu 0xfffe
	s_and_saveexec_b32 s15, s16
	s_cbranch_execz .LBB1774_95
; %bb.94:                               ;   in Loop: Header=BB1774_69 Depth=2
	s_wait_dscnt 0x0
	v_bcnt_u32_b32 v21, v21, v105
	ds_store_b32 v108, v21 offset:1056
.LBB1774_95:                            ;   in Loop: Header=BB1774_69 Depth=2
	s_wait_alu 0xfffe
	s_or_b32 exec_lo, exec_lo, s15
	v_cmp_gt_i16_e32 vcc_lo, 0, v25
	; wave barrier
	s_wait_alu 0xfffd
	v_cndmask_b32_e64 v21, 0x7fff, 0, vcc_lo
	s_delay_alu instid0(VALU_DEP_1) | instskip(NEXT) | instid1(VALU_DEP_1)
	v_xor_b32_e32 v106, v21, v25
	v_cmp_ne_u16_e32 vcc_lo, 0x8000, v106
	s_wait_alu 0xfffd
	v_cndmask_b32_e32 v21, 0x7fff, v106, vcc_lo
	s_delay_alu instid0(VALU_DEP_1) | instskip(NEXT) | instid1(VALU_DEP_1)
	v_and_b32_e32 v21, 0xffff, v21
	v_lshrrev_b32_e32 v21, s23, v21
	s_delay_alu instid0(VALU_DEP_1) | instskip(NEXT) | instid1(VALU_DEP_1)
	v_and_b32_e32 v25, s42, v21
	v_and_b32_e32 v21, 1, v25
	v_lshlrev_b32_e32 v26, 30, v25
	v_lshlrev_b32_e32 v27, 29, v25
	;; [unrolled: 1-line block ×4, first 2 shown]
	v_add_co_u32 v21, s15, v21, -1
	s_wait_alu 0xf1ff
	v_cndmask_b32_e64 v110, 0, 1, s15
	v_not_b32_e32 v114, v26
	v_cmp_gt_i32_e64 s15, 0, v26
	v_not_b32_e32 v26, v27
	v_lshlrev_b32_e32 v112, 26, v25
	v_cmp_ne_u32_e32 vcc_lo, 0, v110
	v_ashrrev_i32_e32 v114, 31, v114
	v_lshlrev_b32_e32 v113, 25, v25
	v_ashrrev_i32_e32 v26, 31, v26
	v_lshlrev_b32_e32 v110, 24, v25
	s_wait_alu 0xfffd
	v_xor_b32_e32 v21, vcc_lo, v21
	v_cmp_gt_i32_e32 vcc_lo, 0, v27
	v_not_b32_e32 v27, v109
	s_wait_alu 0xf1ff
	v_xor_b32_e32 v114, s15, v114
	v_cmp_gt_i32_e64 s15, 0, v109
	v_and_b32_e32 v21, exec_lo, v21
	v_not_b32_e32 v109, v111
	v_ashrrev_i32_e32 v27, 31, v27
	s_wait_alu 0xfffd
	v_xor_b32_e32 v26, vcc_lo, v26
	v_cmp_gt_i32_e32 vcc_lo, 0, v111
	v_and_b32_e32 v21, v21, v114
	v_not_b32_e32 v111, v112
	v_ashrrev_i32_e32 v109, 31, v109
	s_wait_alu 0xf1ff
	v_xor_b32_e32 v27, s15, v27
	v_cmp_gt_i32_e64 s15, 0, v112
	v_and_b32_e32 v21, v21, v26
	v_not_b32_e32 v26, v113
	v_ashrrev_i32_e32 v111, 31, v111
	s_wait_alu 0xfffd
	v_xor_b32_e32 v109, vcc_lo, v109
	v_cmp_gt_i32_e32 vcc_lo, 0, v113
	v_and_b32_e32 v21, v21, v27
	v_not_b32_e32 v27, v110
	v_ashrrev_i32_e32 v26, 31, v26
	s_wait_alu 0xf1ff
	v_xor_b32_e32 v111, s15, v111
	v_cmp_gt_i32_e64 s15, 0, v110
	v_and_b32_e32 v21, v21, v109
	v_ashrrev_i32_e32 v27, 31, v27
	s_wait_alu 0xfffd
	v_xor_b32_e32 v26, vcc_lo, v26
	v_mad_u32_u24 v109, v25, 36, v88
	v_mul_u32_u24_e32 v25, 36, v25
	v_and_b32_e32 v21, v21, v111
	s_wait_alu 0xf1ff
	v_xor_b32_e32 v27, s15, v27
	ds_load_b32 v109, v109 offset:1056
	v_add_nc_u32_e32 v112, v88, v25
	v_and_b32_e32 v21, v21, v26
	; wave barrier
	s_delay_alu instid0(VALU_DEP_1) | instskip(NEXT) | instid1(VALU_DEP_1)
	v_and_b32_e32 v21, v21, v27
	v_mbcnt_lo_u32_b32 v111, v21, 0
	v_cmp_ne_u32_e64 s15, 0, v21
	s_delay_alu instid0(VALU_DEP_2)
	v_cmp_eq_u32_e32 vcc_lo, 0, v111
	s_and_b32 s16, s15, vcc_lo
	s_wait_alu 0xfffe
	s_and_saveexec_b32 s15, s16
	s_cbranch_execz .LBB1774_97
; %bb.96:                               ;   in Loop: Header=BB1774_69 Depth=2
	s_wait_dscnt 0x0
	v_bcnt_u32_b32 v21, v21, v109
	ds_store_b32 v112, v21 offset:1056
.LBB1774_97:                            ;   in Loop: Header=BB1774_69 Depth=2
	s_wait_alu 0xfffe
	s_or_b32 exec_lo, exec_lo, s15
	v_cmp_gt_i16_e32 vcc_lo, 0, v24
	; wave barrier
	s_wait_alu 0xfffd
	v_cndmask_b32_e64 v21, 0x7fff, 0, vcc_lo
	s_delay_alu instid0(VALU_DEP_1) | instskip(NEXT) | instid1(VALU_DEP_1)
	v_xor_b32_e32 v110, v21, v24
	v_cmp_ne_u16_e32 vcc_lo, 0x8000, v110
	s_wait_alu 0xfffd
	v_cndmask_b32_e32 v21, 0x7fff, v110, vcc_lo
	s_delay_alu instid0(VALU_DEP_1) | instskip(NEXT) | instid1(VALU_DEP_1)
	v_and_b32_e32 v21, 0xffff, v21
	v_lshrrev_b32_e32 v21, s23, v21
	s_delay_alu instid0(VALU_DEP_1) | instskip(NEXT) | instid1(VALU_DEP_1)
	v_and_b32_e32 v24, s42, v21
	v_and_b32_e32 v21, 1, v24
	v_lshlrev_b32_e32 v25, 30, v24
	v_lshlrev_b32_e32 v26, 29, v24
	;; [unrolled: 1-line block ×4, first 2 shown]
	v_add_co_u32 v21, s15, v21, -1
	s_wait_alu 0xf1ff
	v_cndmask_b32_e64 v113, 0, 1, s15
	v_not_b32_e32 v117, v25
	v_cmp_gt_i32_e64 s15, 0, v25
	v_not_b32_e32 v25, v26
	v_lshlrev_b32_e32 v115, 26, v24
	v_cmp_ne_u32_e32 vcc_lo, 0, v113
	v_ashrrev_i32_e32 v117, 31, v117
	v_lshlrev_b32_e32 v116, 25, v24
	v_ashrrev_i32_e32 v25, 31, v25
	v_lshlrev_b32_e32 v113, 24, v24
	s_wait_alu 0xfffd
	v_xor_b32_e32 v21, vcc_lo, v21
	v_cmp_gt_i32_e32 vcc_lo, 0, v26
	v_not_b32_e32 v26, v27
	s_wait_alu 0xf1ff
	v_xor_b32_e32 v117, s15, v117
	v_cmp_gt_i32_e64 s15, 0, v27
	v_and_b32_e32 v21, exec_lo, v21
	v_not_b32_e32 v27, v114
	v_ashrrev_i32_e32 v26, 31, v26
	s_wait_alu 0xfffd
	v_xor_b32_e32 v25, vcc_lo, v25
	v_cmp_gt_i32_e32 vcc_lo, 0, v114
	v_and_b32_e32 v21, v21, v117
	v_not_b32_e32 v114, v115
	v_ashrrev_i32_e32 v27, 31, v27
	s_wait_alu 0xf1ff
	v_xor_b32_e32 v26, s15, v26
	v_cmp_gt_i32_e64 s15, 0, v115
	v_and_b32_e32 v21, v21, v25
	v_not_b32_e32 v25, v116
	v_ashrrev_i32_e32 v114, 31, v114
	s_wait_alu 0xfffd
	v_xor_b32_e32 v27, vcc_lo, v27
	v_cmp_gt_i32_e32 vcc_lo, 0, v116
	v_and_b32_e32 v21, v21, v26
	v_not_b32_e32 v26, v113
	v_ashrrev_i32_e32 v25, 31, v25
	s_wait_alu 0xf1ff
	v_xor_b32_e32 v114, s15, v114
	v_cmp_gt_i32_e64 s15, 0, v113
	v_and_b32_e32 v21, v21, v27
	v_ashrrev_i32_e32 v26, 31, v26
	s_wait_alu 0xfffd
	v_xor_b32_e32 v25, vcc_lo, v25
	v_mad_u32_u24 v27, v24, 36, v88
	v_mul_u32_u24_e32 v24, 36, v24
	v_and_b32_e32 v21, v21, v114
	s_wait_alu 0xf1ff
	v_xor_b32_e32 v26, s15, v26
	ds_load_b32 v113, v27 offset:1056
	v_add_nc_u32_e32 v116, v88, v24
	v_and_b32_e32 v21, v21, v25
	; wave barrier
	s_delay_alu instid0(VALU_DEP_1) | instskip(NEXT) | instid1(VALU_DEP_1)
	v_and_b32_e32 v21, v21, v26
	v_mbcnt_lo_u32_b32 v115, v21, 0
	v_cmp_ne_u32_e64 s15, 0, v21
	s_delay_alu instid0(VALU_DEP_2)
	v_cmp_eq_u32_e32 vcc_lo, 0, v115
	s_and_b32 s16, s15, vcc_lo
	s_wait_alu 0xfffe
	s_and_saveexec_b32 s15, s16
	s_cbranch_execz .LBB1774_99
; %bb.98:                               ;   in Loop: Header=BB1774_69 Depth=2
	s_wait_dscnt 0x0
	v_bcnt_u32_b32 v21, v21, v113
	ds_store_b32 v116, v21 offset:1056
.LBB1774_99:                            ;   in Loop: Header=BB1774_69 Depth=2
	s_wait_alu 0xfffe
	s_or_b32 exec_lo, exec_lo, s15
	v_cmp_gt_i16_e32 vcc_lo, 0, v23
	; wave barrier
	s_wait_alu 0xfffd
	v_cndmask_b32_e64 v21, 0x7fff, 0, vcc_lo
	s_delay_alu instid0(VALU_DEP_1) | instskip(NEXT) | instid1(VALU_DEP_1)
	v_xor_b32_e32 v114, v21, v23
	v_cmp_ne_u16_e32 vcc_lo, 0x8000, v114
	s_wait_alu 0xfffd
	v_cndmask_b32_e32 v21, 0x7fff, v114, vcc_lo
	s_delay_alu instid0(VALU_DEP_1) | instskip(NEXT) | instid1(VALU_DEP_1)
	v_and_b32_e32 v21, 0xffff, v21
	v_lshrrev_b32_e32 v21, s23, v21
	s_delay_alu instid0(VALU_DEP_1) | instskip(NEXT) | instid1(VALU_DEP_1)
	v_and_b32_e32 v23, s42, v21
	v_and_b32_e32 v21, 1, v23
	v_lshlrev_b32_e32 v24, 30, v23
	v_lshlrev_b32_e32 v25, 29, v23
	v_lshlrev_b32_e32 v26, 28, v23
	v_lshlrev_b32_e32 v117, 27, v23
	v_add_co_u32 v21, s15, v21, -1
	s_wait_alu 0xf1ff
	v_cndmask_b32_e64 v27, 0, 1, s15
	v_not_b32_e32 v120, v24
	v_cmp_gt_i32_e64 s15, 0, v24
	v_not_b32_e32 v24, v25
	v_lshlrev_b32_e32 v118, 26, v23
	v_cmp_ne_u32_e32 vcc_lo, 0, v27
	v_ashrrev_i32_e32 v120, 31, v120
	v_lshlrev_b32_e32 v119, 25, v23
	v_ashrrev_i32_e32 v24, 31, v24
	v_lshlrev_b32_e32 v27, 24, v23
	s_wait_alu 0xfffd
	v_xor_b32_e32 v21, vcc_lo, v21
	v_cmp_gt_i32_e32 vcc_lo, 0, v25
	v_not_b32_e32 v25, v26
	s_wait_alu 0xf1ff
	v_xor_b32_e32 v120, s15, v120
	v_cmp_gt_i32_e64 s15, 0, v26
	v_and_b32_e32 v21, exec_lo, v21
	v_not_b32_e32 v26, v117
	v_ashrrev_i32_e32 v25, 31, v25
	s_wait_alu 0xfffd
	v_xor_b32_e32 v24, vcc_lo, v24
	v_cmp_gt_i32_e32 vcc_lo, 0, v117
	v_and_b32_e32 v21, v21, v120
	v_not_b32_e32 v117, v118
	v_ashrrev_i32_e32 v26, 31, v26
	s_wait_alu 0xf1ff
	v_xor_b32_e32 v25, s15, v25
	v_cmp_gt_i32_e64 s15, 0, v118
	v_and_b32_e32 v21, v21, v24
	v_not_b32_e32 v24, v119
	v_ashrrev_i32_e32 v117, 31, v117
	s_wait_alu 0xfffd
	v_xor_b32_e32 v26, vcc_lo, v26
	v_cmp_gt_i32_e32 vcc_lo, 0, v119
	v_and_b32_e32 v21, v21, v25
	v_not_b32_e32 v25, v27
	v_ashrrev_i32_e32 v24, 31, v24
	s_wait_alu 0xf1ff
	v_xor_b32_e32 v117, s15, v117
	v_cmp_gt_i32_e64 s15, 0, v27
	v_and_b32_e32 v21, v21, v26
	v_ashrrev_i32_e32 v25, 31, v25
	s_wait_alu 0xfffd
	v_xor_b32_e32 v24, vcc_lo, v24
	v_mad_u32_u24 v26, v23, 36, v88
	v_mul_u32_u24_e32 v23, 36, v23
	v_and_b32_e32 v21, v21, v117
	s_wait_alu 0xf1ff
	v_xor_b32_e32 v25, s15, v25
	ds_load_b32 v117, v26 offset:1056
	v_add_nc_u32_e32 v120, v88, v23
	v_and_b32_e32 v21, v21, v24
	; wave barrier
	s_delay_alu instid0(VALU_DEP_1) | instskip(NEXT) | instid1(VALU_DEP_1)
	v_and_b32_e32 v21, v21, v25
	v_mbcnt_lo_u32_b32 v119, v21, 0
	v_cmp_ne_u32_e64 s15, 0, v21
	s_delay_alu instid0(VALU_DEP_2)
	v_cmp_eq_u32_e32 vcc_lo, 0, v119
	s_and_b32 s16, s15, vcc_lo
	s_wait_alu 0xfffe
	s_and_saveexec_b32 s15, s16
	s_cbranch_execz .LBB1774_101
; %bb.100:                              ;   in Loop: Header=BB1774_69 Depth=2
	s_wait_dscnt 0x0
	v_bcnt_u32_b32 v21, v21, v117
	ds_store_b32 v120, v21 offset:1056
.LBB1774_101:                           ;   in Loop: Header=BB1774_69 Depth=2
	s_wait_alu 0xfffe
	s_or_b32 exec_lo, exec_lo, s15
	v_cmp_gt_i16_e32 vcc_lo, 0, v22
	; wave barrier
	s_wait_alu 0xfffd
	v_cndmask_b32_e64 v21, 0x7fff, 0, vcc_lo
	s_delay_alu instid0(VALU_DEP_1) | instskip(NEXT) | instid1(VALU_DEP_1)
	v_xor_b32_e32 v118, v21, v22
	v_cmp_ne_u16_e32 vcc_lo, 0x8000, v118
	s_wait_alu 0xfffd
	v_cndmask_b32_e32 v21, 0x7fff, v118, vcc_lo
	s_delay_alu instid0(VALU_DEP_1) | instskip(NEXT) | instid1(VALU_DEP_1)
	v_and_b32_e32 v21, 0xffff, v21
	v_lshrrev_b32_e32 v21, s23, v21
	s_delay_alu instid0(VALU_DEP_1) | instskip(NEXT) | instid1(VALU_DEP_1)
	v_and_b32_e32 v22, s42, v21
	v_and_b32_e32 v21, 1, v22
	v_lshlrev_b32_e32 v23, 30, v22
	v_lshlrev_b32_e32 v24, 29, v22
	;; [unrolled: 1-line block ×4, first 2 shown]
	v_add_co_u32 v21, s15, v21, -1
	s_wait_alu 0xf1ff
	v_cndmask_b32_e64 v26, 0, 1, s15
	v_not_b32_e32 v123, v23
	v_cmp_gt_i32_e64 s15, 0, v23
	v_not_b32_e32 v23, v24
	v_lshlrev_b32_e32 v121, 26, v22
	v_cmp_ne_u32_e32 vcc_lo, 0, v26
	v_ashrrev_i32_e32 v123, 31, v123
	v_lshlrev_b32_e32 v122, 25, v22
	v_ashrrev_i32_e32 v23, 31, v23
	v_lshlrev_b32_e32 v26, 24, v22
	s_wait_alu 0xfffd
	v_xor_b32_e32 v21, vcc_lo, v21
	v_cmp_gt_i32_e32 vcc_lo, 0, v24
	v_not_b32_e32 v24, v25
	s_wait_alu 0xf1ff
	v_xor_b32_e32 v123, s15, v123
	v_cmp_gt_i32_e64 s15, 0, v25
	v_and_b32_e32 v21, exec_lo, v21
	v_not_b32_e32 v25, v27
	v_ashrrev_i32_e32 v24, 31, v24
	s_wait_alu 0xfffd
	v_xor_b32_e32 v23, vcc_lo, v23
	v_cmp_gt_i32_e32 vcc_lo, 0, v27
	v_and_b32_e32 v21, v21, v123
	v_not_b32_e32 v27, v121
	v_ashrrev_i32_e32 v25, 31, v25
	s_wait_alu 0xf1ff
	v_xor_b32_e32 v24, s15, v24
	v_cmp_gt_i32_e64 s15, 0, v121
	v_and_b32_e32 v21, v21, v23
	v_not_b32_e32 v23, v122
	v_ashrrev_i32_e32 v27, 31, v27
	s_wait_alu 0xfffd
	v_xor_b32_e32 v25, vcc_lo, v25
	v_cmp_gt_i32_e32 vcc_lo, 0, v122
	v_and_b32_e32 v21, v21, v24
	v_not_b32_e32 v24, v26
	v_ashrrev_i32_e32 v23, 31, v23
	s_wait_alu 0xf1ff
	v_xor_b32_e32 v27, s15, v27
	v_cmp_gt_i32_e64 s15, 0, v26
	v_and_b32_e32 v21, v21, v25
	v_ashrrev_i32_e32 v24, 31, v24
	s_wait_alu 0xfffd
	v_xor_b32_e32 v23, vcc_lo, v23
	v_mad_u32_u24 v25, v22, 36, v88
	v_mul_u32_u24_e32 v22, 36, v22
	v_and_b32_e32 v21, v21, v27
	s_wait_alu 0xf1ff
	v_xor_b32_e32 v24, s15, v24
	ds_load_b32 v121, v25 offset:1056
	v_add_nc_u32_e32 v124, v88, v22
	v_and_b32_e32 v21, v21, v23
	; wave barrier
	s_delay_alu instid0(VALU_DEP_1) | instskip(NEXT) | instid1(VALU_DEP_1)
	v_and_b32_e32 v21, v21, v24
	v_mbcnt_lo_u32_b32 v122, v21, 0
	v_cmp_ne_u32_e64 s15, 0, v21
	s_delay_alu instid0(VALU_DEP_2)
	v_cmp_eq_u32_e32 vcc_lo, 0, v122
	s_and_b32 s16, s15, vcc_lo
	s_wait_alu 0xfffe
	s_and_saveexec_b32 s15, s16
	s_cbranch_execz .LBB1774_103
; %bb.102:                              ;   in Loop: Header=BB1774_69 Depth=2
	s_wait_dscnt 0x0
	v_bcnt_u32_b32 v21, v21, v121
	ds_store_b32 v124, v21 offset:1056
.LBB1774_103:                           ;   in Loop: Header=BB1774_69 Depth=2
	s_wait_alu 0xfffe
	s_or_b32 exec_lo, exec_lo, s15
	v_cmp_gt_i16_e32 vcc_lo, 0, v20
	; wave barrier
	s_wait_alu 0xfffd
	v_cndmask_b32_e64 v21, 0x7fff, 0, vcc_lo
	s_delay_alu instid0(VALU_DEP_1) | instskip(NEXT) | instid1(VALU_DEP_1)
	v_xor_b32_e32 v123, v21, v20
	v_cmp_ne_u16_e32 vcc_lo, 0x8000, v123
	s_wait_alu 0xfffd
	v_cndmask_b32_e32 v20, 0x7fff, v123, vcc_lo
	s_delay_alu instid0(VALU_DEP_1) | instskip(NEXT) | instid1(VALU_DEP_1)
	v_and_b32_e32 v20, 0xffff, v20
	v_lshrrev_b32_e32 v20, s23, v20
	s_delay_alu instid0(VALU_DEP_1) | instskip(NEXT) | instid1(VALU_DEP_1)
	v_and_b32_e32 v21, s42, v20
	v_and_b32_e32 v20, 1, v21
	v_lshlrev_b32_e32 v22, 30, v21
	v_lshlrev_b32_e32 v23, 29, v21
	;; [unrolled: 1-line block ×4, first 2 shown]
	v_add_co_u32 v20, s15, v20, -1
	s_wait_alu 0xf1ff
	v_cndmask_b32_e64 v25, 0, 1, s15
	v_not_b32_e32 v126, v22
	v_cmp_gt_i32_e64 s15, 0, v22
	v_not_b32_e32 v22, v23
	v_lshlrev_b32_e32 v27, 26, v21
	v_cmp_ne_u32_e32 vcc_lo, 0, v25
	v_ashrrev_i32_e32 v126, 31, v126
	v_lshlrev_b32_e32 v125, 25, v21
	v_ashrrev_i32_e32 v22, 31, v22
	v_lshlrev_b32_e32 v25, 24, v21
	s_wait_alu 0xfffd
	v_xor_b32_e32 v20, vcc_lo, v20
	v_cmp_gt_i32_e32 vcc_lo, 0, v23
	v_not_b32_e32 v23, v24
	s_wait_alu 0xf1ff
	v_xor_b32_e32 v126, s15, v126
	v_cmp_gt_i32_e64 s15, 0, v24
	v_and_b32_e32 v20, exec_lo, v20
	v_not_b32_e32 v24, v26
	v_ashrrev_i32_e32 v23, 31, v23
	s_wait_alu 0xfffd
	v_xor_b32_e32 v22, vcc_lo, v22
	v_cmp_gt_i32_e32 vcc_lo, 0, v26
	v_and_b32_e32 v20, v20, v126
	v_not_b32_e32 v26, v27
	v_ashrrev_i32_e32 v24, 31, v24
	s_wait_alu 0xf1ff
	v_xor_b32_e32 v23, s15, v23
	v_cmp_gt_i32_e64 s15, 0, v27
	v_and_b32_e32 v20, v20, v22
	v_not_b32_e32 v22, v125
	v_ashrrev_i32_e32 v26, 31, v26
	s_wait_alu 0xfffd
	v_xor_b32_e32 v24, vcc_lo, v24
	v_cmp_gt_i32_e32 vcc_lo, 0, v125
	v_and_b32_e32 v20, v20, v23
	v_not_b32_e32 v23, v25
	v_ashrrev_i32_e32 v22, 31, v22
	s_wait_alu 0xf1ff
	v_xor_b32_e32 v26, s15, v26
	v_cmp_gt_i32_e64 s15, 0, v25
	v_and_b32_e32 v20, v20, v24
	v_ashrrev_i32_e32 v23, 31, v23
	s_wait_alu 0xfffd
	v_xor_b32_e32 v22, vcc_lo, v22
	v_mad_u32_u24 v24, v21, 36, v88
	v_mul_u32_u24_e32 v21, 36, v21
	v_and_b32_e32 v20, v20, v26
	s_wait_alu 0xf1ff
	v_xor_b32_e32 v23, s15, v23
	ds_load_b32 v125, v24 offset:1056
	v_add_nc_u32_e32 v127, v88, v21
	v_and_b32_e32 v20, v20, v22
	; wave barrier
	s_delay_alu instid0(VALU_DEP_1) | instskip(NEXT) | instid1(VALU_DEP_1)
	v_and_b32_e32 v20, v20, v23
	v_mbcnt_lo_u32_b32 v126, v20, 0
	v_cmp_ne_u32_e64 s15, 0, v20
	s_delay_alu instid0(VALU_DEP_2)
	v_cmp_eq_u32_e32 vcc_lo, 0, v126
	s_and_b32 s16, s15, vcc_lo
	s_wait_alu 0xfffe
	s_and_saveexec_b32 s15, s16
	s_cbranch_execz .LBB1774_105
; %bb.104:                              ;   in Loop: Header=BB1774_69 Depth=2
	s_wait_dscnt 0x0
	v_bcnt_u32_b32 v20, v20, v125
	ds_store_b32 v127, v20 offset:1056
.LBB1774_105:                           ;   in Loop: Header=BB1774_69 Depth=2
	s_wait_alu 0xfffe
	s_or_b32 exec_lo, exec_lo, s15
	; wave barrier
	s_wait_loadcnt_dscnt 0x0
	s_barrier_signal -1
	s_barrier_wait -1
	global_inv scope:SCOPE_SE
	ds_load_2addr_b32 v[26:27], v78 offset1:1
	ds_load_2addr_b32 v[24:25], v79 offset1:1
	;; [unrolled: 1-line block ×4, first 2 shown]
	ds_load_b32 v128, v43 offset:1088
	s_wait_dscnt 0x3
	v_add3_u32 v129, v27, v26, v24
	s_wait_dscnt 0x2
	s_delay_alu instid0(VALU_DEP_1) | instskip(SKIP_1) | instid1(VALU_DEP_1)
	v_add3_u32 v129, v129, v25, v22
	s_wait_dscnt 0x1
	v_add3_u32 v129, v129, v23, v20
	s_wait_dscnt 0x0
	s_delay_alu instid0(VALU_DEP_1) | instskip(NEXT) | instid1(VALU_DEP_1)
	v_add3_u32 v128, v129, v21, v128
	v_mov_b32_dpp v129, v128 row_shr:1 row_mask:0xf bank_mask:0xf
	s_delay_alu instid0(VALU_DEP_1) | instskip(NEXT) | instid1(VALU_DEP_1)
	v_cndmask_b32_e64 v129, v129, 0, s0
	v_add_nc_u32_e32 v128, v129, v128
	s_delay_alu instid0(VALU_DEP_1) | instskip(NEXT) | instid1(VALU_DEP_1)
	v_mov_b32_dpp v129, v128 row_shr:2 row_mask:0xf bank_mask:0xf
	v_cndmask_b32_e64 v129, 0, v129, s1
	s_delay_alu instid0(VALU_DEP_1) | instskip(NEXT) | instid1(VALU_DEP_1)
	v_add_nc_u32_e32 v128, v128, v129
	v_mov_b32_dpp v129, v128 row_shr:4 row_mask:0xf bank_mask:0xf
	s_delay_alu instid0(VALU_DEP_1) | instskip(NEXT) | instid1(VALU_DEP_1)
	v_cndmask_b32_e64 v129, 0, v129, s9
	v_add_nc_u32_e32 v128, v128, v129
	s_delay_alu instid0(VALU_DEP_1) | instskip(NEXT) | instid1(VALU_DEP_1)
	v_mov_b32_dpp v129, v128 row_shr:8 row_mask:0xf bank_mask:0xf
	v_cndmask_b32_e64 v129, 0, v129, s10
	s_delay_alu instid0(VALU_DEP_1) | instskip(SKIP_3) | instid1(VALU_DEP_1)
	v_add_nc_u32_e32 v128, v128, v129
	ds_swizzle_b32 v129, v128 offset:swizzle(BROADCAST,32,15)
	s_wait_dscnt 0x0
	v_cndmask_b32_e64 v129, v129, 0, s11
	v_add_nc_u32_e32 v128, v128, v129
	s_and_saveexec_b32 s15, s3
; %bb.106:                              ;   in Loop: Header=BB1774_69 Depth=2
	ds_store_b32 v38, v128 offset:1024
; %bb.107:                              ;   in Loop: Header=BB1774_69 Depth=2
	s_wait_alu 0xfffe
	s_or_b32 exec_lo, exec_lo, s15
	s_wait_loadcnt_dscnt 0x0
	s_barrier_signal -1
	s_barrier_wait -1
	global_inv scope:SCOPE_SE
	s_and_saveexec_b32 s15, s4
	s_cbranch_execz .LBB1774_109
; %bb.108:                              ;   in Loop: Header=BB1774_69 Depth=2
	ds_load_b32 v129, v46 offset:1024
	s_wait_dscnt 0x0
	v_mov_b32_dpp v130, v129 row_shr:1 row_mask:0xf bank_mask:0xf
	s_delay_alu instid0(VALU_DEP_1) | instskip(NEXT) | instid1(VALU_DEP_1)
	v_cndmask_b32_e64 v130, v130, 0, s12
	v_add_nc_u32_e32 v129, v130, v129
	s_delay_alu instid0(VALU_DEP_1) | instskip(NEXT) | instid1(VALU_DEP_1)
	v_mov_b32_dpp v130, v129 row_shr:2 row_mask:0xf bank_mask:0xf
	v_cndmask_b32_e64 v130, 0, v130, s13
	s_delay_alu instid0(VALU_DEP_1) | instskip(NEXT) | instid1(VALU_DEP_1)
	v_add_nc_u32_e32 v129, v129, v130
	v_mov_b32_dpp v130, v129 row_shr:4 row_mask:0xf bank_mask:0xf
	s_delay_alu instid0(VALU_DEP_1) | instskip(NEXT) | instid1(VALU_DEP_1)
	v_cndmask_b32_e64 v130, 0, v130, s14
	v_add_nc_u32_e32 v129, v129, v130
	ds_store_b32 v46, v129 offset:1024
.LBB1774_109:                           ;   in Loop: Header=BB1774_69 Depth=2
	s_wait_alu 0xfffe
	s_or_b32 exec_lo, exec_lo, s15
	v_mov_b32_e32 v129, 0
	s_wait_loadcnt_dscnt 0x0
	s_barrier_signal -1
	s_barrier_wait -1
	global_inv scope:SCOPE_SE
	s_and_saveexec_b32 s15, s5
; %bb.110:                              ;   in Loop: Header=BB1774_69 Depth=2
	ds_load_b32 v129, v38 offset:1020
; %bb.111:                              ;   in Loop: Header=BB1774_69 Depth=2
	s_wait_alu 0xfffe
	s_or_b32 exec_lo, exec_lo, s15
	s_wait_dscnt 0x0
	v_add_nc_u32_e32 v128, v129, v128
	ds_bpermute_b32 v128, v87, v128
	s_wait_dscnt 0x0
	v_cndmask_b32_e64 v128, v128, v129, s8
	s_delay_alu instid0(VALU_DEP_1) | instskip(NEXT) | instid1(VALU_DEP_1)
	v_cndmask_b32_e64 v128, v128, 0, s6
	v_add_nc_u32_e32 v26, v128, v26
	s_delay_alu instid0(VALU_DEP_1) | instskip(NEXT) | instid1(VALU_DEP_1)
	v_add_nc_u32_e32 v27, v26, v27
	v_add_nc_u32_e32 v24, v27, v24
	s_delay_alu instid0(VALU_DEP_1) | instskip(NEXT) | instid1(VALU_DEP_1)
	v_add_nc_u32_e32 v25, v24, v25
	;; [unrolled: 3-line block ×3, first 2 shown]
	v_add_nc_u32_e32 v20, v23, v20
	s_delay_alu instid0(VALU_DEP_1)
	v_add_nc_u32_e32 v21, v20, v21
	ds_store_2addr_b32 v81, v23, v20 offset1:1
	ds_store_2addr_b32 v78, v128, v26 offset1:1
	;; [unrolled: 1-line block ×4, first 2 shown]
	ds_store_b32 v43, v21 offset:1088
	s_wait_loadcnt_dscnt 0x0
	s_barrier_signal -1
	s_barrier_wait -1
	global_inv scope:SCOPE_SE
	ds_load_b32 v23, v100 offset:1056
	ds_load_b32 v24, v104 offset:1056
	;; [unrolled: 1-line block ×9, first 2 shown]
	v_mov_b32_e32 v22, 0x800
	s_and_saveexec_b32 s15, s7
; %bb.112:                              ;   in Loop: Header=BB1774_69 Depth=2
	ds_load_b32 v22, v43 offset:1092
; %bb.113:                              ;   in Loop: Header=BB1774_69 Depth=2
	s_wait_alu 0xfffe
	s_or_b32 exec_lo, exec_lo, s15
	s_wait_loadcnt_dscnt 0x0
	s_barrier_signal -1
	s_barrier_wait -1
	global_inv scope:SCOPE_SE
	s_and_saveexec_b32 s15, s2
	s_cbranch_execz .LBB1774_115
; %bb.114:                              ;   in Loop: Header=BB1774_69 Depth=2
	ds_load_b32 v104, v28
	s_wait_dscnt 0x0
	v_sub_nc_u32_e32 v100, v104, v100
	ds_store_b32 v28, v100
.LBB1774_115:                           ;   in Loop: Header=BB1774_69 Depth=2
	s_wait_alu 0xfffe
	s_or_b32 exec_lo, exec_lo, s15
	v_add_nc_u32_e32 v104, v23, v98
	v_add3_u32 v100, v102, v101, v24
	v_add3_u32 v98, v107, v105, v25
	;; [unrolled: 1-line block ×4, first 2 shown]
	v_lshlrev_b32_e32 v101, 1, v104
	v_lshlrev_b32_e32 v102, 1, v100
	v_add3_u32 v23, v119, v117, v108
	v_lshlrev_b32_e32 v105, 1, v98
	v_add3_u32 v27, v122, v121, v20
	v_add3_u32 v26, v126, v125, v21
	ds_store_b16 v101, v2 offset:1024
	ds_store_b16 v102, v99 offset:1024
	;; [unrolled: 1-line block ×3, first 2 shown]
	v_lshlrev_b32_e32 v2, 1, v25
	v_cmp_lt_u32_e32 vcc_lo, v1, v97
	v_lshlrev_b32_e32 v20, 1, v24
	v_lshlrev_b32_e32 v21, 1, v23
	;; [unrolled: 1-line block ×4, first 2 shown]
	ds_store_b16 v2, v106 offset:1024
	ds_store_b16 v20, v110 offset:1024
	;; [unrolled: 1-line block ×5, first 2 shown]
	s_wait_loadcnt_dscnt 0x0
	s_barrier_signal -1
	s_barrier_wait -1
	global_inv scope:SCOPE_SE
	s_and_saveexec_b32 s16, vcc_lo
	s_cbranch_execnz .LBB1774_152
; %bb.116:                              ;   in Loop: Header=BB1774_69 Depth=2
	s_wait_alu 0xfffe
	s_or_b32 exec_lo, exec_lo, s16
	v_cmp_lt_u32_e64 s15, v29, v97
	s_and_saveexec_b32 s17, s15
	s_cbranch_execnz .LBB1774_153
.LBB1774_117:                           ;   in Loop: Header=BB1774_69 Depth=2
	s_wait_alu 0xfffe
	s_or_b32 exec_lo, exec_lo, s17
	v_cmp_lt_u32_e64 s16, v30, v97
	s_and_saveexec_b32 s18, s16
	s_cbranch_execnz .LBB1774_154
.LBB1774_118:                           ;   in Loop: Header=BB1774_69 Depth=2
	s_wait_alu 0xfffe
	s_or_b32 exec_lo, exec_lo, s18
	v_cmp_lt_u32_e64 s17, v31, v97
	s_and_saveexec_b32 s19, s17
	s_cbranch_execnz .LBB1774_155
.LBB1774_119:                           ;   in Loop: Header=BB1774_69 Depth=2
	s_wait_alu 0xfffe
	s_or_b32 exec_lo, exec_lo, s19
	v_cmp_lt_u32_e64 s18, v34, v97
	s_and_saveexec_b32 s20, s18
	s_cbranch_execnz .LBB1774_156
.LBB1774_120:                           ;   in Loop: Header=BB1774_69 Depth=2
	s_wait_alu 0xfffe
	s_or_b32 exec_lo, exec_lo, s20
	v_cmp_lt_u32_e64 s19, v35, v97
	s_and_saveexec_b32 s21, s19
	s_cbranch_execnz .LBB1774_157
.LBB1774_121:                           ;   in Loop: Header=BB1774_69 Depth=2
	s_wait_alu 0xfffe
	s_or_b32 exec_lo, exec_lo, s21
	v_cmp_lt_u32_e64 s20, v36, v97
	s_and_saveexec_b32 s22, s20
	s_cbranch_execnz .LBB1774_158
.LBB1774_122:                           ;   in Loop: Header=BB1774_69 Depth=2
	s_wait_alu 0xfffe
	s_or_b32 exec_lo, exec_lo, s22
	v_cmp_lt_u32_e64 s21, v37, v97
	s_and_saveexec_b32 s48, s21
	s_cbranch_execz .LBB1774_124
.LBB1774_123:                           ;   in Loop: Header=BB1774_69 Depth=2
	ds_load_u16 v99, v47 offset:4608
	s_wait_dscnt 0x0
	v_cmp_ne_u16_e64 s22, 0x8000, v99
	s_wait_alu 0xf1ff
	s_delay_alu instid0(VALU_DEP_1) | instskip(SKIP_1) | instid1(VALU_DEP_2)
	v_cndmask_b32_e64 v2, 0x7fff, v99, s22
	v_cmp_gt_i16_e64 s22, 0, v99
	v_and_b32_e32 v2, 0xffff, v2
	s_wait_alu 0xf1ff
	s_delay_alu instid0(VALU_DEP_2) | instskip(NEXT) | instid1(VALU_DEP_2)
	v_cndmask_b32_e64 v101, 0x7fff, 0, s22
	v_lshrrev_b32_e32 v2, s23, v2
	s_delay_alu instid0(VALU_DEP_1) | instskip(NEXT) | instid1(VALU_DEP_1)
	v_and_b32_e32 v2, s42, v2
	v_lshlrev_b32_e32 v2, 2, v2
	ds_load_b32 v2, v2
	s_wait_dscnt 0x0
	v_add_nc_u32_e32 v2, v2, v37
	s_delay_alu instid0(VALU_DEP_1) | instskip(SKIP_1) | instid1(VALU_DEP_2)
	v_lshlrev_b64_e32 v[20:21], 1, v[2:3]
	v_xor_b32_e32 v2, v101, v99
	v_add_co_u32 v20, s22, s38, v20
	s_wait_alu 0xf1ff
	s_delay_alu instid0(VALU_DEP_3)
	v_add_co_ci_u32_e64 v21, null, s39, v21, s22
	global_store_b16 v[20:21], v2, off
.LBB1774_124:                           ;   in Loop: Header=BB1774_69 Depth=2
	s_wait_alu 0xfffe
	s_or_b32 exec_lo, exec_lo, s48
	s_lshl_b64 s[48:49], s[30:31], 3
	s_wait_alu 0xfffe
	v_add_co_u32 v20, s22, v83, s48
	s_wait_alu 0xf1ff
	v_add_co_ci_u32_e64 v21, null, s49, v84, s22
	v_cmp_lt_u32_e64 s22, v66, v97
	s_and_saveexec_b32 s30, s22
	s_wait_alu 0xfffe
	s_xor_b32 s22, exec_lo, s30
	s_cbranch_execnz .LBB1774_159
; %bb.125:                              ;   in Loop: Header=BB1774_69 Depth=2
	s_wait_alu 0xfffe
	s_or_b32 exec_lo, exec_lo, s22
	s_delay_alu instid0(SALU_CYCLE_1)
	s_mov_b32 s30, exec_lo
	v_cmpx_lt_u32_e64 v70, v97
	s_cbranch_execnz .LBB1774_160
.LBB1774_126:                           ;   in Loop: Header=BB1774_69 Depth=2
	s_wait_alu 0xfffe
	s_or_b32 exec_lo, exec_lo, s30
	s_delay_alu instid0(SALU_CYCLE_1)
	s_mov_b32 s30, exec_lo
	v_cmpx_lt_u32_e64 v71, v97
	s_cbranch_execnz .LBB1774_161
.LBB1774_127:                           ;   in Loop: Header=BB1774_69 Depth=2
	s_wait_alu 0xfffe
	s_or_b32 exec_lo, exec_lo, s30
	s_delay_alu instid0(SALU_CYCLE_1)
	s_mov_b32 s30, exec_lo
	v_cmpx_lt_u32_e64 v72, v97
	s_cbranch_execnz .LBB1774_162
.LBB1774_128:                           ;   in Loop: Header=BB1774_69 Depth=2
	s_wait_alu 0xfffe
	s_or_b32 exec_lo, exec_lo, s30
	s_delay_alu instid0(SALU_CYCLE_1)
	s_mov_b32 s30, exec_lo
	v_cmpx_lt_u32_e64 v73, v97
	s_cbranch_execnz .LBB1774_163
.LBB1774_129:                           ;   in Loop: Header=BB1774_69 Depth=2
	s_wait_alu 0xfffe
	s_or_b32 exec_lo, exec_lo, s30
	s_delay_alu instid0(SALU_CYCLE_1)
	s_mov_b32 s30, exec_lo
	v_cmpx_lt_u32_e64 v74, v97
	s_cbranch_execnz .LBB1774_164
.LBB1774_130:                           ;   in Loop: Header=BB1774_69 Depth=2
	s_wait_alu 0xfffe
	s_or_b32 exec_lo, exec_lo, s30
	s_delay_alu instid0(SALU_CYCLE_1)
	s_mov_b32 s30, exec_lo
	v_cmpx_lt_u32_e64 v75, v97
	s_cbranch_execnz .LBB1774_165
.LBB1774_131:                           ;   in Loop: Header=BB1774_69 Depth=2
	s_wait_alu 0xfffe
	s_or_b32 exec_lo, exec_lo, s30
	s_delay_alu instid0(SALU_CYCLE_1)
	s_mov_b32 s30, exec_lo
	v_cmpx_lt_u32_e64 v76, v97
	s_cbranch_execnz .LBB1774_166
.LBB1774_132:                           ;   in Loop: Header=BB1774_69 Depth=2
	s_wait_alu 0xfffe
	s_or_b32 exec_lo, exec_lo, s30
	s_and_saveexec_b32 s30, vcc_lo
	s_cbranch_execnz .LBB1774_167
.LBB1774_133:                           ;   in Loop: Header=BB1774_69 Depth=2
	s_wait_alu 0xfffe
	s_or_b32 exec_lo, exec_lo, s30
	s_and_saveexec_b32 s30, s15
	s_cbranch_execnz .LBB1774_168
.LBB1774_134:                           ;   in Loop: Header=BB1774_69 Depth=2
	s_wait_alu 0xfffe
	s_or_b32 exec_lo, exec_lo, s30
	s_and_saveexec_b32 s30, s16
	s_cbranch_execnz .LBB1774_169
.LBB1774_135:                           ;   in Loop: Header=BB1774_69 Depth=2
	s_wait_alu 0xfffe
	s_or_b32 exec_lo, exec_lo, s30
	s_and_saveexec_b32 s30, s17
	s_cbranch_execnz .LBB1774_170
.LBB1774_136:                           ;   in Loop: Header=BB1774_69 Depth=2
	s_wait_alu 0xfffe
	s_or_b32 exec_lo, exec_lo, s30
	s_and_saveexec_b32 s30, s18
	s_cbranch_execnz .LBB1774_171
.LBB1774_137:                           ;   in Loop: Header=BB1774_69 Depth=2
	s_wait_alu 0xfffe
	s_or_b32 exec_lo, exec_lo, s30
	s_and_saveexec_b32 s30, s19
	s_cbranch_execnz .LBB1774_172
.LBB1774_138:                           ;   in Loop: Header=BB1774_69 Depth=2
	s_wait_alu 0xfffe
	s_or_b32 exec_lo, exec_lo, s30
	s_and_saveexec_b32 s30, s20
	s_cbranch_execnz .LBB1774_173
.LBB1774_139:                           ;   in Loop: Header=BB1774_69 Depth=2
	s_wait_alu 0xfffe
	s_or_b32 exec_lo, exec_lo, s30
	s_and_saveexec_b32 s30, s21
	s_cbranch_execz .LBB1774_141
.LBB1774_140:                           ;   in Loop: Header=BB1774_69 Depth=2
	ds_load_u16 v2, v47 offset:4608
	s_wait_dscnt 0x0
	v_cmp_ne_u16_e64 s22, 0x8000, v2
	s_wait_alu 0xf1ff
	s_delay_alu instid0(VALU_DEP_1) | instskip(NEXT) | instid1(VALU_DEP_1)
	v_cndmask_b32_e64 v2, 0x7fff, v2, s22
	v_and_b32_e32 v2, 0xffff, v2
	s_delay_alu instid0(VALU_DEP_1) | instskip(NEXT) | instid1(VALU_DEP_1)
	v_lshrrev_b32_e32 v2, s23, v2
	v_and_b32_e32 v89, s42, v2
.LBB1774_141:                           ;   in Loop: Header=BB1774_69 Depth=2
	s_wait_alu 0xfffe
	s_or_b32 exec_lo, exec_lo, s30
	v_lshlrev_b32_e32 v2, 3, v104
	v_lshlrev_b32_e32 v20, 3, v100
	;; [unrolled: 1-line block ×3, first 2 shown]
	s_wait_loadcnt 0x0
	s_wait_storecnt 0x0
	s_barrier_signal -1
	s_barrier_wait -1
	global_inv scope:SCOPE_SE
	ds_store_b64 v2, v[18:19] offset:1024
	ds_store_b64 v20, v[16:17] offset:1024
	;; [unrolled: 1-line block ×3, first 2 shown]
	v_lshlrev_b32_e32 v2, 3, v25
	v_lshlrev_b32_e32 v20, 3, v24
	;; [unrolled: 1-line block ×5, first 2 shown]
	ds_store_b64 v2, v[12:13] offset:1024
	ds_store_b64 v20, v[10:11] offset:1024
	;; [unrolled: 1-line block ×5, first 2 shown]
	s_wait_loadcnt_dscnt 0x0
	s_barrier_signal -1
	s_barrier_wait -1
	global_inv scope:SCOPE_SE
	s_and_saveexec_b32 s22, vcc_lo
	s_cbranch_execnz .LBB1774_174
; %bb.142:                              ;   in Loop: Header=BB1774_69 Depth=2
	s_wait_alu 0xfffe
	s_or_b32 exec_lo, exec_lo, s22
	s_and_saveexec_b32 s22, s15
	s_cbranch_execnz .LBB1774_175
.LBB1774_143:                           ;   in Loop: Header=BB1774_69 Depth=2
	s_wait_alu 0xfffe
	s_or_b32 exec_lo, exec_lo, s22
	s_and_saveexec_b32 s15, s16
	s_cbranch_execnz .LBB1774_176
.LBB1774_144:                           ;   in Loop: Header=BB1774_69 Depth=2
	s_wait_alu 0xfffe
	s_or_b32 exec_lo, exec_lo, s15
	s_and_saveexec_b32 s15, s17
	s_cbranch_execnz .LBB1774_177
.LBB1774_145:                           ;   in Loop: Header=BB1774_69 Depth=2
	s_wait_alu 0xfffe
	s_or_b32 exec_lo, exec_lo, s15
	s_and_saveexec_b32 s15, s18
	s_cbranch_execnz .LBB1774_178
.LBB1774_146:                           ;   in Loop: Header=BB1774_69 Depth=2
	s_wait_alu 0xfffe
	s_or_b32 exec_lo, exec_lo, s15
	s_and_saveexec_b32 s15, s19
	s_cbranch_execnz .LBB1774_179
.LBB1774_147:                           ;   in Loop: Header=BB1774_69 Depth=2
	s_wait_alu 0xfffe
	s_or_b32 exec_lo, exec_lo, s15
	s_and_saveexec_b32 s15, s20
	s_cbranch_execnz .LBB1774_180
.LBB1774_148:                           ;   in Loop: Header=BB1774_69 Depth=2
	s_wait_alu 0xfffe
	s_or_b32 exec_lo, exec_lo, s15
	s_and_saveexec_b32 s15, s21
	s_cbranch_execz .LBB1774_150
.LBB1774_149:                           ;   in Loop: Header=BB1774_69 Depth=2
	v_lshlrev_b32_e32 v2, 2, v89
	v_add_nc_u32_e32 v20, v47, v48
	ds_load_b32 v2, v2
	ds_load_b64 v[20:21], v20 offset:15360
	s_wait_dscnt 0x1
	v_add_nc_u32_e32 v2, v2, v37
	s_delay_alu instid0(VALU_DEP_1) | instskip(NEXT) | instid1(VALU_DEP_1)
	v_lshlrev_b64_e32 v[23:24], 3, v[2:3]
	v_add_co_u32 v23, vcc_lo, s24, v23
	s_wait_alu 0xfffd
	s_delay_alu instid0(VALU_DEP_2)
	v_add_co_ci_u32_e64 v24, null, s25, v24, vcc_lo
	s_wait_dscnt 0x0
	global_store_b64 v[23:24], v[20:21], off
.LBB1774_150:                           ;   in Loop: Header=BB1774_69 Depth=2
	s_wait_alu 0xfffe
	s_or_b32 exec_lo, exec_lo, s15
	s_wait_loadcnt 0x0
	s_wait_storecnt 0x0
	s_barrier_signal -1
	s_barrier_wait -1
	global_inv scope:SCOPE_SE
	s_and_saveexec_b32 s15, s2
	s_cbranch_execz .LBB1774_68
; %bb.151:                              ;   in Loop: Header=BB1774_69 Depth=2
	ds_load_b32 v2, v28
	s_wait_dscnt 0x0
	v_add_nc_u32_e32 v2, v2, v22
	ds_store_b32 v28, v2
	s_branch .LBB1774_68
.LBB1774_152:                           ;   in Loop: Header=BB1774_69 Depth=2
	ds_load_u16 v99, v47 offset:1024
	s_wait_dscnt 0x0
	v_cmp_ne_u16_e64 s15, 0x8000, v99
	s_wait_alu 0xf1ff
	s_delay_alu instid0(VALU_DEP_1) | instskip(SKIP_1) | instid1(VALU_DEP_2)
	v_cndmask_b32_e64 v2, 0x7fff, v99, s15
	v_cmp_gt_i16_e64 s15, 0, v99
	v_and_b32_e32 v2, 0xffff, v2
	s_wait_alu 0xf1ff
	s_delay_alu instid0(VALU_DEP_2) | instskip(NEXT) | instid1(VALU_DEP_2)
	v_cndmask_b32_e64 v101, 0x7fff, 0, s15
	v_lshrrev_b32_e32 v2, s23, v2
	s_delay_alu instid0(VALU_DEP_1) | instskip(NEXT) | instid1(VALU_DEP_1)
	v_and_b32_e32 v2, s42, v2
	v_lshlrev_b32_e32 v2, 2, v2
	ds_load_b32 v2, v2
	s_wait_dscnt 0x0
	v_add_nc_u32_e32 v2, v2, v1
	s_delay_alu instid0(VALU_DEP_1) | instskip(SKIP_1) | instid1(VALU_DEP_2)
	v_lshlrev_b64_e32 v[20:21], 1, v[2:3]
	v_xor_b32_e32 v2, v101, v99
	v_add_co_u32 v20, s15, s38, v20
	s_wait_alu 0xf1ff
	s_delay_alu instid0(VALU_DEP_3)
	v_add_co_ci_u32_e64 v21, null, s39, v21, s15
	global_store_b16 v[20:21], v2, off
	s_wait_alu 0xfffe
	s_or_b32 exec_lo, exec_lo, s16
	v_cmp_lt_u32_e64 s15, v29, v97
	s_and_saveexec_b32 s17, s15
	s_cbranch_execz .LBB1774_117
.LBB1774_153:                           ;   in Loop: Header=BB1774_69 Depth=2
	ds_load_u16 v99, v47 offset:1536
	s_wait_dscnt 0x0
	v_cmp_ne_u16_e64 s16, 0x8000, v99
	s_wait_alu 0xf1ff
	s_delay_alu instid0(VALU_DEP_1) | instskip(SKIP_1) | instid1(VALU_DEP_2)
	v_cndmask_b32_e64 v2, 0x7fff, v99, s16
	v_cmp_gt_i16_e64 s16, 0, v99
	v_and_b32_e32 v2, 0xffff, v2
	s_wait_alu 0xf1ff
	s_delay_alu instid0(VALU_DEP_2) | instskip(NEXT) | instid1(VALU_DEP_2)
	v_cndmask_b32_e64 v101, 0x7fff, 0, s16
	v_lshrrev_b32_e32 v2, s23, v2
	s_delay_alu instid0(VALU_DEP_1) | instskip(NEXT) | instid1(VALU_DEP_1)
	v_and_b32_e32 v2, s42, v2
	v_lshlrev_b32_e32 v2, 2, v2
	ds_load_b32 v2, v2
	s_wait_dscnt 0x0
	v_add_nc_u32_e32 v2, v2, v29
	s_delay_alu instid0(VALU_DEP_1) | instskip(SKIP_1) | instid1(VALU_DEP_2)
	v_lshlrev_b64_e32 v[20:21], 1, v[2:3]
	v_xor_b32_e32 v2, v101, v99
	v_add_co_u32 v20, s16, s38, v20
	s_wait_alu 0xf1ff
	s_delay_alu instid0(VALU_DEP_3)
	v_add_co_ci_u32_e64 v21, null, s39, v21, s16
	global_store_b16 v[20:21], v2, off
	s_wait_alu 0xfffe
	s_or_b32 exec_lo, exec_lo, s17
	v_cmp_lt_u32_e64 s16, v30, v97
	s_and_saveexec_b32 s18, s16
	s_cbranch_execz .LBB1774_118
.LBB1774_154:                           ;   in Loop: Header=BB1774_69 Depth=2
	ds_load_u16 v99, v47 offset:2048
	s_wait_dscnt 0x0
	v_cmp_ne_u16_e64 s17, 0x8000, v99
	s_wait_alu 0xf1ff
	s_delay_alu instid0(VALU_DEP_1) | instskip(SKIP_1) | instid1(VALU_DEP_2)
	v_cndmask_b32_e64 v2, 0x7fff, v99, s17
	v_cmp_gt_i16_e64 s17, 0, v99
	v_and_b32_e32 v2, 0xffff, v2
	s_wait_alu 0xf1ff
	s_delay_alu instid0(VALU_DEP_2) | instskip(NEXT) | instid1(VALU_DEP_2)
	v_cndmask_b32_e64 v101, 0x7fff, 0, s17
	v_lshrrev_b32_e32 v2, s23, v2
	s_delay_alu instid0(VALU_DEP_1) | instskip(NEXT) | instid1(VALU_DEP_1)
	v_and_b32_e32 v2, s42, v2
	v_lshlrev_b32_e32 v2, 2, v2
	ds_load_b32 v2, v2
	s_wait_dscnt 0x0
	v_add_nc_u32_e32 v2, v2, v30
	s_delay_alu instid0(VALU_DEP_1) | instskip(SKIP_1) | instid1(VALU_DEP_2)
	v_lshlrev_b64_e32 v[20:21], 1, v[2:3]
	v_xor_b32_e32 v2, v101, v99
	v_add_co_u32 v20, s17, s38, v20
	s_wait_alu 0xf1ff
	s_delay_alu instid0(VALU_DEP_3)
	v_add_co_ci_u32_e64 v21, null, s39, v21, s17
	global_store_b16 v[20:21], v2, off
	s_wait_alu 0xfffe
	s_or_b32 exec_lo, exec_lo, s18
	v_cmp_lt_u32_e64 s17, v31, v97
	s_and_saveexec_b32 s19, s17
	s_cbranch_execz .LBB1774_119
.LBB1774_155:                           ;   in Loop: Header=BB1774_69 Depth=2
	ds_load_u16 v99, v47 offset:2560
	s_wait_dscnt 0x0
	v_cmp_ne_u16_e64 s18, 0x8000, v99
	s_wait_alu 0xf1ff
	s_delay_alu instid0(VALU_DEP_1) | instskip(SKIP_1) | instid1(VALU_DEP_2)
	v_cndmask_b32_e64 v2, 0x7fff, v99, s18
	v_cmp_gt_i16_e64 s18, 0, v99
	v_and_b32_e32 v2, 0xffff, v2
	s_wait_alu 0xf1ff
	s_delay_alu instid0(VALU_DEP_2) | instskip(NEXT) | instid1(VALU_DEP_2)
	v_cndmask_b32_e64 v101, 0x7fff, 0, s18
	v_lshrrev_b32_e32 v2, s23, v2
	s_delay_alu instid0(VALU_DEP_1) | instskip(NEXT) | instid1(VALU_DEP_1)
	v_and_b32_e32 v2, s42, v2
	v_lshlrev_b32_e32 v2, 2, v2
	ds_load_b32 v2, v2
	s_wait_dscnt 0x0
	v_add_nc_u32_e32 v2, v2, v31
	s_delay_alu instid0(VALU_DEP_1) | instskip(SKIP_1) | instid1(VALU_DEP_2)
	v_lshlrev_b64_e32 v[20:21], 1, v[2:3]
	v_xor_b32_e32 v2, v101, v99
	v_add_co_u32 v20, s18, s38, v20
	s_wait_alu 0xf1ff
	s_delay_alu instid0(VALU_DEP_3)
	v_add_co_ci_u32_e64 v21, null, s39, v21, s18
	global_store_b16 v[20:21], v2, off
	s_wait_alu 0xfffe
	s_or_b32 exec_lo, exec_lo, s19
	v_cmp_lt_u32_e64 s18, v34, v97
	s_and_saveexec_b32 s20, s18
	s_cbranch_execz .LBB1774_120
.LBB1774_156:                           ;   in Loop: Header=BB1774_69 Depth=2
	ds_load_u16 v99, v47 offset:3072
	s_wait_dscnt 0x0
	v_cmp_ne_u16_e64 s19, 0x8000, v99
	s_wait_alu 0xf1ff
	s_delay_alu instid0(VALU_DEP_1) | instskip(SKIP_1) | instid1(VALU_DEP_2)
	v_cndmask_b32_e64 v2, 0x7fff, v99, s19
	v_cmp_gt_i16_e64 s19, 0, v99
	v_and_b32_e32 v2, 0xffff, v2
	s_wait_alu 0xf1ff
	s_delay_alu instid0(VALU_DEP_2) | instskip(NEXT) | instid1(VALU_DEP_2)
	v_cndmask_b32_e64 v101, 0x7fff, 0, s19
	v_lshrrev_b32_e32 v2, s23, v2
	s_delay_alu instid0(VALU_DEP_1) | instskip(NEXT) | instid1(VALU_DEP_1)
	v_and_b32_e32 v2, s42, v2
	v_lshlrev_b32_e32 v2, 2, v2
	ds_load_b32 v2, v2
	s_wait_dscnt 0x0
	v_add_nc_u32_e32 v2, v2, v34
	s_delay_alu instid0(VALU_DEP_1) | instskip(SKIP_1) | instid1(VALU_DEP_2)
	v_lshlrev_b64_e32 v[20:21], 1, v[2:3]
	v_xor_b32_e32 v2, v101, v99
	v_add_co_u32 v20, s19, s38, v20
	s_wait_alu 0xf1ff
	s_delay_alu instid0(VALU_DEP_3)
	v_add_co_ci_u32_e64 v21, null, s39, v21, s19
	global_store_b16 v[20:21], v2, off
	s_wait_alu 0xfffe
	s_or_b32 exec_lo, exec_lo, s20
	v_cmp_lt_u32_e64 s19, v35, v97
	s_and_saveexec_b32 s21, s19
	s_cbranch_execz .LBB1774_121
.LBB1774_157:                           ;   in Loop: Header=BB1774_69 Depth=2
	ds_load_u16 v99, v47 offset:3584
	s_wait_dscnt 0x0
	v_cmp_ne_u16_e64 s20, 0x8000, v99
	s_wait_alu 0xf1ff
	s_delay_alu instid0(VALU_DEP_1) | instskip(SKIP_1) | instid1(VALU_DEP_2)
	v_cndmask_b32_e64 v2, 0x7fff, v99, s20
	v_cmp_gt_i16_e64 s20, 0, v99
	v_and_b32_e32 v2, 0xffff, v2
	s_wait_alu 0xf1ff
	s_delay_alu instid0(VALU_DEP_2) | instskip(NEXT) | instid1(VALU_DEP_2)
	v_cndmask_b32_e64 v101, 0x7fff, 0, s20
	v_lshrrev_b32_e32 v2, s23, v2
	s_delay_alu instid0(VALU_DEP_1) | instskip(NEXT) | instid1(VALU_DEP_1)
	v_and_b32_e32 v2, s42, v2
	v_lshlrev_b32_e32 v2, 2, v2
	ds_load_b32 v2, v2
	s_wait_dscnt 0x0
	v_add_nc_u32_e32 v2, v2, v35
	s_delay_alu instid0(VALU_DEP_1) | instskip(SKIP_1) | instid1(VALU_DEP_2)
	v_lshlrev_b64_e32 v[20:21], 1, v[2:3]
	v_xor_b32_e32 v2, v101, v99
	v_add_co_u32 v20, s20, s38, v20
	s_wait_alu 0xf1ff
	s_delay_alu instid0(VALU_DEP_3)
	v_add_co_ci_u32_e64 v21, null, s39, v21, s20
	global_store_b16 v[20:21], v2, off
	s_wait_alu 0xfffe
	s_or_b32 exec_lo, exec_lo, s21
	v_cmp_lt_u32_e64 s20, v36, v97
	s_and_saveexec_b32 s22, s20
	s_cbranch_execz .LBB1774_122
.LBB1774_158:                           ;   in Loop: Header=BB1774_69 Depth=2
	ds_load_u16 v99, v47 offset:4096
	s_wait_dscnt 0x0
	v_cmp_ne_u16_e64 s21, 0x8000, v99
	s_wait_alu 0xf1ff
	s_delay_alu instid0(VALU_DEP_1) | instskip(SKIP_1) | instid1(VALU_DEP_2)
	v_cndmask_b32_e64 v2, 0x7fff, v99, s21
	v_cmp_gt_i16_e64 s21, 0, v99
	v_and_b32_e32 v2, 0xffff, v2
	s_wait_alu 0xf1ff
	s_delay_alu instid0(VALU_DEP_2) | instskip(NEXT) | instid1(VALU_DEP_2)
	v_cndmask_b32_e64 v101, 0x7fff, 0, s21
	v_lshrrev_b32_e32 v2, s23, v2
	s_delay_alu instid0(VALU_DEP_1) | instskip(NEXT) | instid1(VALU_DEP_1)
	v_and_b32_e32 v2, s42, v2
	v_lshlrev_b32_e32 v2, 2, v2
	ds_load_b32 v2, v2
	s_wait_dscnt 0x0
	v_add_nc_u32_e32 v2, v2, v36
	s_delay_alu instid0(VALU_DEP_1) | instskip(SKIP_1) | instid1(VALU_DEP_2)
	v_lshlrev_b64_e32 v[20:21], 1, v[2:3]
	v_xor_b32_e32 v2, v101, v99
	v_add_co_u32 v20, s21, s38, v20
	s_wait_alu 0xf1ff
	s_delay_alu instid0(VALU_DEP_3)
	v_add_co_ci_u32_e64 v21, null, s39, v21, s21
	global_store_b16 v[20:21], v2, off
	s_wait_alu 0xfffe
	s_or_b32 exec_lo, exec_lo, s22
	v_cmp_lt_u32_e64 s21, v37, v97
	s_and_saveexec_b32 s48, s21
	s_cbranch_execnz .LBB1774_123
	s_branch .LBB1774_124
.LBB1774_159:                           ;   in Loop: Header=BB1774_69 Depth=2
	global_load_b64 v[18:19], v[20:21], off
	s_wait_alu 0xfffe
	s_or_b32 exec_lo, exec_lo, s22
	s_delay_alu instid0(SALU_CYCLE_1)
	s_mov_b32 s30, exec_lo
	v_cmpx_lt_u32_e64 v70, v97
	s_cbranch_execz .LBB1774_126
.LBB1774_160:                           ;   in Loop: Header=BB1774_69 Depth=2
	global_load_b64 v[16:17], v[20:21], off offset:256
	s_wait_alu 0xfffe
	s_or_b32 exec_lo, exec_lo, s30
	s_delay_alu instid0(SALU_CYCLE_1)
	s_mov_b32 s30, exec_lo
	v_cmpx_lt_u32_e64 v71, v97
	s_cbranch_execz .LBB1774_127
.LBB1774_161:                           ;   in Loop: Header=BB1774_69 Depth=2
	global_load_b64 v[14:15], v[20:21], off offset:512
	s_wait_alu 0xfffe
	s_or_b32 exec_lo, exec_lo, s30
	s_delay_alu instid0(SALU_CYCLE_1)
	s_mov_b32 s30, exec_lo
	v_cmpx_lt_u32_e64 v72, v97
	s_cbranch_execz .LBB1774_128
.LBB1774_162:                           ;   in Loop: Header=BB1774_69 Depth=2
	global_load_b64 v[12:13], v[20:21], off offset:768
	s_wait_alu 0xfffe
	s_or_b32 exec_lo, exec_lo, s30
	s_delay_alu instid0(SALU_CYCLE_1)
	s_mov_b32 s30, exec_lo
	v_cmpx_lt_u32_e64 v73, v97
	s_cbranch_execz .LBB1774_129
.LBB1774_163:                           ;   in Loop: Header=BB1774_69 Depth=2
	global_load_b64 v[10:11], v[20:21], off offset:1024
	s_wait_alu 0xfffe
	s_or_b32 exec_lo, exec_lo, s30
	s_delay_alu instid0(SALU_CYCLE_1)
	s_mov_b32 s30, exec_lo
	v_cmpx_lt_u32_e64 v74, v97
	s_cbranch_execz .LBB1774_130
.LBB1774_164:                           ;   in Loop: Header=BB1774_69 Depth=2
	global_load_b64 v[8:9], v[20:21], off offset:1280
	s_wait_alu 0xfffe
	s_or_b32 exec_lo, exec_lo, s30
	s_delay_alu instid0(SALU_CYCLE_1)
	s_mov_b32 s30, exec_lo
	v_cmpx_lt_u32_e64 v75, v97
	s_cbranch_execz .LBB1774_131
.LBB1774_165:                           ;   in Loop: Header=BB1774_69 Depth=2
	global_load_b64 v[6:7], v[20:21], off offset:1536
	s_wait_alu 0xfffe
	s_or_b32 exec_lo, exec_lo, s30
	s_delay_alu instid0(SALU_CYCLE_1)
	s_mov_b32 s30, exec_lo
	v_cmpx_lt_u32_e64 v76, v97
	s_cbranch_execz .LBB1774_132
.LBB1774_166:                           ;   in Loop: Header=BB1774_69 Depth=2
	global_load_b64 v[4:5], v[20:21], off offset:1792
	s_wait_alu 0xfffe
	s_or_b32 exec_lo, exec_lo, s30
	s_and_saveexec_b32 s30, vcc_lo
	s_cbranch_execz .LBB1774_133
.LBB1774_167:                           ;   in Loop: Header=BB1774_69 Depth=2
	ds_load_u16 v2, v47 offset:1024
	s_wait_dscnt 0x0
	v_cmp_ne_u16_e64 s22, 0x8000, v2
	s_wait_alu 0xf1ff
	s_delay_alu instid0(VALU_DEP_1) | instskip(NEXT) | instid1(VALU_DEP_1)
	v_cndmask_b32_e64 v2, 0x7fff, v2, s22
	v_and_b32_e32 v2, 0xffff, v2
	s_delay_alu instid0(VALU_DEP_1) | instskip(NEXT) | instid1(VALU_DEP_1)
	v_lshrrev_b32_e32 v2, s23, v2
	v_and_b32_e32 v96, s42, v2
	s_wait_alu 0xfffe
	s_or_b32 exec_lo, exec_lo, s30
	s_and_saveexec_b32 s30, s15
	s_cbranch_execz .LBB1774_134
.LBB1774_168:                           ;   in Loop: Header=BB1774_69 Depth=2
	ds_load_u16 v2, v47 offset:1536
	s_wait_dscnt 0x0
	v_cmp_ne_u16_e64 s22, 0x8000, v2
	s_wait_alu 0xf1ff
	s_delay_alu instid0(VALU_DEP_1) | instskip(NEXT) | instid1(VALU_DEP_1)
	v_cndmask_b32_e64 v2, 0x7fff, v2, s22
	v_and_b32_e32 v2, 0xffff, v2
	s_delay_alu instid0(VALU_DEP_1) | instskip(NEXT) | instid1(VALU_DEP_1)
	v_lshrrev_b32_e32 v2, s23, v2
	v_and_b32_e32 v95, s42, v2
	s_wait_alu 0xfffe
	s_or_b32 exec_lo, exec_lo, s30
	s_and_saveexec_b32 s30, s16
	s_cbranch_execz .LBB1774_135
.LBB1774_169:                           ;   in Loop: Header=BB1774_69 Depth=2
	ds_load_u16 v2, v47 offset:2048
	s_wait_dscnt 0x0
	v_cmp_ne_u16_e64 s22, 0x8000, v2
	s_wait_alu 0xf1ff
	s_delay_alu instid0(VALU_DEP_1) | instskip(NEXT) | instid1(VALU_DEP_1)
	v_cndmask_b32_e64 v2, 0x7fff, v2, s22
	v_and_b32_e32 v2, 0xffff, v2
	s_delay_alu instid0(VALU_DEP_1) | instskip(NEXT) | instid1(VALU_DEP_1)
	v_lshrrev_b32_e32 v2, s23, v2
	v_and_b32_e32 v94, s42, v2
	s_wait_alu 0xfffe
	s_or_b32 exec_lo, exec_lo, s30
	s_and_saveexec_b32 s30, s17
	s_cbranch_execz .LBB1774_136
.LBB1774_170:                           ;   in Loop: Header=BB1774_69 Depth=2
	ds_load_u16 v2, v47 offset:2560
	s_wait_dscnt 0x0
	v_cmp_ne_u16_e64 s22, 0x8000, v2
	s_wait_alu 0xf1ff
	s_delay_alu instid0(VALU_DEP_1) | instskip(NEXT) | instid1(VALU_DEP_1)
	v_cndmask_b32_e64 v2, 0x7fff, v2, s22
	v_and_b32_e32 v2, 0xffff, v2
	s_delay_alu instid0(VALU_DEP_1) | instskip(NEXT) | instid1(VALU_DEP_1)
	v_lshrrev_b32_e32 v2, s23, v2
	v_and_b32_e32 v93, s42, v2
	s_wait_alu 0xfffe
	s_or_b32 exec_lo, exec_lo, s30
	s_and_saveexec_b32 s30, s18
	s_cbranch_execz .LBB1774_137
.LBB1774_171:                           ;   in Loop: Header=BB1774_69 Depth=2
	ds_load_u16 v2, v47 offset:3072
	s_wait_dscnt 0x0
	v_cmp_ne_u16_e64 s22, 0x8000, v2
	s_wait_alu 0xf1ff
	s_delay_alu instid0(VALU_DEP_1) | instskip(NEXT) | instid1(VALU_DEP_1)
	v_cndmask_b32_e64 v2, 0x7fff, v2, s22
	v_and_b32_e32 v2, 0xffff, v2
	s_delay_alu instid0(VALU_DEP_1) | instskip(NEXT) | instid1(VALU_DEP_1)
	v_lshrrev_b32_e32 v2, s23, v2
	v_and_b32_e32 v92, s42, v2
	s_wait_alu 0xfffe
	s_or_b32 exec_lo, exec_lo, s30
	s_and_saveexec_b32 s30, s19
	s_cbranch_execz .LBB1774_138
.LBB1774_172:                           ;   in Loop: Header=BB1774_69 Depth=2
	ds_load_u16 v2, v47 offset:3584
	s_wait_dscnt 0x0
	v_cmp_ne_u16_e64 s22, 0x8000, v2
	s_wait_alu 0xf1ff
	s_delay_alu instid0(VALU_DEP_1) | instskip(NEXT) | instid1(VALU_DEP_1)
	v_cndmask_b32_e64 v2, 0x7fff, v2, s22
	v_and_b32_e32 v2, 0xffff, v2
	s_delay_alu instid0(VALU_DEP_1) | instskip(NEXT) | instid1(VALU_DEP_1)
	v_lshrrev_b32_e32 v2, s23, v2
	v_and_b32_e32 v91, s42, v2
	s_wait_alu 0xfffe
	s_or_b32 exec_lo, exec_lo, s30
	s_and_saveexec_b32 s30, s20
	s_cbranch_execz .LBB1774_139
.LBB1774_173:                           ;   in Loop: Header=BB1774_69 Depth=2
	ds_load_u16 v2, v47 offset:4096
	s_wait_dscnt 0x0
	v_cmp_ne_u16_e64 s22, 0x8000, v2
	s_wait_alu 0xf1ff
	s_delay_alu instid0(VALU_DEP_1) | instskip(NEXT) | instid1(VALU_DEP_1)
	v_cndmask_b32_e64 v2, 0x7fff, v2, s22
	v_and_b32_e32 v2, 0xffff, v2
	s_delay_alu instid0(VALU_DEP_1) | instskip(NEXT) | instid1(VALU_DEP_1)
	v_lshrrev_b32_e32 v2, s23, v2
	v_and_b32_e32 v90, s42, v2
	s_wait_alu 0xfffe
	s_or_b32 exec_lo, exec_lo, s30
	s_and_saveexec_b32 s30, s21
	s_cbranch_execnz .LBB1774_140
	s_branch .LBB1774_141
.LBB1774_174:                           ;   in Loop: Header=BB1774_69 Depth=2
	v_lshlrev_b32_e32 v2, 2, v96
	v_add_nc_u32_e32 v20, v47, v48
	ds_load_b32 v2, v2
	ds_load_b64 v[20:21], v20 offset:1024
	s_wait_dscnt 0x1
	v_add_nc_u32_e32 v2, v2, v1
	s_delay_alu instid0(VALU_DEP_1) | instskip(NEXT) | instid1(VALU_DEP_1)
	v_lshlrev_b64_e32 v[23:24], 3, v[2:3]
	v_add_co_u32 v23, vcc_lo, s24, v23
	s_wait_alu 0xfffd
	s_delay_alu instid0(VALU_DEP_2)
	v_add_co_ci_u32_e64 v24, null, s25, v24, vcc_lo
	s_wait_dscnt 0x0
	global_store_b64 v[23:24], v[20:21], off
	s_wait_alu 0xfffe
	s_or_b32 exec_lo, exec_lo, s22
	s_and_saveexec_b32 s22, s15
	s_cbranch_execz .LBB1774_143
.LBB1774_175:                           ;   in Loop: Header=BB1774_69 Depth=2
	v_lshlrev_b32_e32 v2, 2, v95
	v_add_nc_u32_e32 v20, v47, v48
	ds_load_b32 v2, v2
	ds_load_b64 v[20:21], v20 offset:3072
	s_wait_dscnt 0x1
	v_add_nc_u32_e32 v2, v2, v29
	s_delay_alu instid0(VALU_DEP_1) | instskip(NEXT) | instid1(VALU_DEP_1)
	v_lshlrev_b64_e32 v[23:24], 3, v[2:3]
	v_add_co_u32 v23, vcc_lo, s24, v23
	s_wait_alu 0xfffd
	s_delay_alu instid0(VALU_DEP_2)
	v_add_co_ci_u32_e64 v24, null, s25, v24, vcc_lo
	s_wait_dscnt 0x0
	global_store_b64 v[23:24], v[20:21], off
	s_wait_alu 0xfffe
	s_or_b32 exec_lo, exec_lo, s22
	s_and_saveexec_b32 s15, s16
	s_cbranch_execz .LBB1774_144
.LBB1774_176:                           ;   in Loop: Header=BB1774_69 Depth=2
	v_lshlrev_b32_e32 v2, 2, v94
	v_add_nc_u32_e32 v20, v47, v48
	ds_load_b32 v2, v2
	ds_load_b64 v[20:21], v20 offset:5120
	s_wait_dscnt 0x1
	v_add_nc_u32_e32 v2, v2, v30
	s_delay_alu instid0(VALU_DEP_1) | instskip(NEXT) | instid1(VALU_DEP_1)
	v_lshlrev_b64_e32 v[23:24], 3, v[2:3]
	v_add_co_u32 v23, vcc_lo, s24, v23
	s_wait_alu 0xfffd
	s_delay_alu instid0(VALU_DEP_2)
	v_add_co_ci_u32_e64 v24, null, s25, v24, vcc_lo
	s_wait_dscnt 0x0
	global_store_b64 v[23:24], v[20:21], off
	s_wait_alu 0xfffe
	s_or_b32 exec_lo, exec_lo, s15
	s_and_saveexec_b32 s15, s17
	s_cbranch_execz .LBB1774_145
.LBB1774_177:                           ;   in Loop: Header=BB1774_69 Depth=2
	v_lshlrev_b32_e32 v2, 2, v93
	v_add_nc_u32_e32 v20, v47, v48
	ds_load_b32 v2, v2
	ds_load_b64 v[20:21], v20 offset:7168
	s_wait_dscnt 0x1
	v_add_nc_u32_e32 v2, v2, v31
	s_delay_alu instid0(VALU_DEP_1) | instskip(NEXT) | instid1(VALU_DEP_1)
	v_lshlrev_b64_e32 v[23:24], 3, v[2:3]
	v_add_co_u32 v23, vcc_lo, s24, v23
	s_wait_alu 0xfffd
	s_delay_alu instid0(VALU_DEP_2)
	v_add_co_ci_u32_e64 v24, null, s25, v24, vcc_lo
	s_wait_dscnt 0x0
	global_store_b64 v[23:24], v[20:21], off
	s_wait_alu 0xfffe
	s_or_b32 exec_lo, exec_lo, s15
	s_and_saveexec_b32 s15, s18
	s_cbranch_execz .LBB1774_146
.LBB1774_178:                           ;   in Loop: Header=BB1774_69 Depth=2
	v_lshlrev_b32_e32 v2, 2, v92
	v_add_nc_u32_e32 v20, v47, v48
	ds_load_b32 v2, v2
	ds_load_b64 v[20:21], v20 offset:9216
	s_wait_dscnt 0x1
	v_add_nc_u32_e32 v2, v2, v34
	s_delay_alu instid0(VALU_DEP_1) | instskip(NEXT) | instid1(VALU_DEP_1)
	v_lshlrev_b64_e32 v[23:24], 3, v[2:3]
	v_add_co_u32 v23, vcc_lo, s24, v23
	s_wait_alu 0xfffd
	s_delay_alu instid0(VALU_DEP_2)
	v_add_co_ci_u32_e64 v24, null, s25, v24, vcc_lo
	s_wait_dscnt 0x0
	global_store_b64 v[23:24], v[20:21], off
	s_wait_alu 0xfffe
	s_or_b32 exec_lo, exec_lo, s15
	s_and_saveexec_b32 s15, s19
	s_cbranch_execz .LBB1774_147
.LBB1774_179:                           ;   in Loop: Header=BB1774_69 Depth=2
	v_lshlrev_b32_e32 v2, 2, v91
	v_add_nc_u32_e32 v20, v47, v48
	ds_load_b32 v2, v2
	ds_load_b64 v[20:21], v20 offset:11264
	s_wait_dscnt 0x1
	v_add_nc_u32_e32 v2, v2, v35
	s_delay_alu instid0(VALU_DEP_1) | instskip(NEXT) | instid1(VALU_DEP_1)
	v_lshlrev_b64_e32 v[23:24], 3, v[2:3]
	v_add_co_u32 v23, vcc_lo, s24, v23
	s_wait_alu 0xfffd
	s_delay_alu instid0(VALU_DEP_2)
	v_add_co_ci_u32_e64 v24, null, s25, v24, vcc_lo
	s_wait_dscnt 0x0
	global_store_b64 v[23:24], v[20:21], off
	s_wait_alu 0xfffe
	s_or_b32 exec_lo, exec_lo, s15
	s_and_saveexec_b32 s15, s20
	s_cbranch_execz .LBB1774_148
.LBB1774_180:                           ;   in Loop: Header=BB1774_69 Depth=2
	v_lshlrev_b32_e32 v2, 2, v90
	v_add_nc_u32_e32 v20, v47, v48
	ds_load_b32 v2, v2
	ds_load_b64 v[20:21], v20 offset:13312
	s_wait_dscnt 0x1
	v_add_nc_u32_e32 v2, v2, v36
	s_delay_alu instid0(VALU_DEP_1) | instskip(NEXT) | instid1(VALU_DEP_1)
	v_lshlrev_b64_e32 v[23:24], 3, v[2:3]
	v_add_co_u32 v23, vcc_lo, s24, v23
	s_wait_alu 0xfffd
	s_delay_alu instid0(VALU_DEP_2)
	v_add_co_ci_u32_e64 v24, null, s25, v24, vcc_lo
	s_wait_dscnt 0x0
	global_store_b64 v[23:24], v[20:21], off
	s_wait_alu 0xfffe
	s_or_b32 exec_lo, exec_lo, s15
	s_and_saveexec_b32 s15, s21
	s_cbranch_execnz .LBB1774_149
	s_branch .LBB1774_150
.LBB1774_181:                           ;   in Loop: Header=BB1774_17 Depth=1
	s_wait_loadcnt_dscnt 0x0
	s_barrier_signal -1
	s_mov_b32 s0, 0
	s_barrier_wait -1
.LBB1774_182:                           ;   in Loop: Header=BB1774_17 Depth=1
	s_wait_alu 0xfffe
	s_and_b32 vcc_lo, exec_lo, s0
	s_wait_alu 0xfffe
	s_cbranch_vccz .LBB1774_346
; %bb.183:                              ;   in Loop: Header=BB1774_17 Depth=1
	s_mov_b32 s9, s47
	s_mov_b32 s30, s33
	s_barrier_signal -1
	s_barrier_wait -1
	global_inv scope:SCOPE_SE
                                        ; implicit-def: $vgpr2
                                        ; implicit-def: $vgpr4
                                        ; implicit-def: $vgpr5
                                        ; implicit-def: $vgpr6
                                        ; implicit-def: $vgpr7
                                        ; implicit-def: $vgpr8
                                        ; implicit-def: $vgpr9
                                        ; implicit-def: $vgpr10
	s_branch .LBB1774_185
.LBB1774_184:                           ;   in Loop: Header=BB1774_185 Depth=2
	s_wait_alu 0xfffe
	s_or_b32 exec_lo, exec_lo, s0
	s_addk_co_i32 s9, 0xf800
	s_cmp_ge_u32 s10, s34
	s_mov_b32 s30, s10
	s_cbranch_scc1 .LBB1774_221
.LBB1774_185:                           ;   Parent Loop BB1774_17 Depth=1
                                        ; =>  This Inner Loop Header: Depth=2
	s_wait_alu 0xfffe
	s_add_co_i32 s10, s30, 0x800
	s_mov_b32 s0, -1
	s_wait_alu 0xfffe
	s_cmp_gt_u32 s10, s34
                                        ; implicit-def: $vgpr11
                                        ; implicit-def: $vgpr12
                                        ; implicit-def: $vgpr13
                                        ; implicit-def: $vgpr14
                                        ; implicit-def: $vgpr15
                                        ; implicit-def: $vgpr16
                                        ; implicit-def: $vgpr17
                                        ; implicit-def: $vgpr18
	s_cbranch_scc1 .LBB1774_187
; %bb.186:                              ;   in Loop: Header=BB1774_185 Depth=2
	s_lshl_b64 s[0:1], s[30:31], 1
	s_wait_alu 0xfffe
	v_add_co_u32 v18, vcc_lo, v49, s0
	s_wait_alu 0xfffd
	v_add_co_ci_u32_e64 v19, null, s1, v50, vcc_lo
	s_mov_b32 s0, 0
	s_clause 0x7
	global_load_u16 v11, v[18:19], off
	global_load_u16 v12, v[18:19], off offset:512
	global_load_u16 v13, v[18:19], off offset:1024
	;; [unrolled: 1-line block ×7, first 2 shown]
.LBB1774_187:                           ;   in Loop: Header=BB1774_185 Depth=2
	s_wait_alu 0xfffe
	s_and_not1_b32 vcc_lo, exec_lo, s0
	s_movk_i32 s0, 0x800
	s_wait_alu 0xfffe
	s_cbranch_vccnz .LBB1774_198
; %bb.188:                              ;   in Loop: Header=BB1774_185 Depth=2
	s_lshl_b64 s[0:1], s[30:31], 1
	s_mov_b32 s11, exec_lo
	s_wait_alu 0xfffe
	s_add_nc_u64 s[0:1], s[38:39], s[0:1]
	v_cmpx_gt_u32_e64 s9, v1
	s_cbranch_execnz .LBB1774_214
; %bb.189:                              ;   in Loop: Header=BB1774_185 Depth=2
	s_or_b32 exec_lo, exec_lo, s11
	s_delay_alu instid0(SALU_CYCLE_1)
	s_mov_b32 s11, exec_lo
	v_cmpx_gt_u32_e64 s9, v29
	s_cbranch_execnz .LBB1774_215
.LBB1774_190:                           ;   in Loop: Header=BB1774_185 Depth=2
	s_wait_alu 0xfffe
	s_or_b32 exec_lo, exec_lo, s11
	s_delay_alu instid0(SALU_CYCLE_1)
	s_mov_b32 s11, exec_lo
	v_cmpx_gt_u32_e64 s9, v30
	s_cbranch_execnz .LBB1774_216
.LBB1774_191:                           ;   in Loop: Header=BB1774_185 Depth=2
	s_wait_alu 0xfffe
	s_or_b32 exec_lo, exec_lo, s11
	s_delay_alu instid0(SALU_CYCLE_1)
	s_mov_b32 s11, exec_lo
	v_cmpx_gt_u32_e64 s9, v31
	s_cbranch_execnz .LBB1774_217
.LBB1774_192:                           ;   in Loop: Header=BB1774_185 Depth=2
	s_wait_alu 0xfffe
	s_or_b32 exec_lo, exec_lo, s11
	s_delay_alu instid0(SALU_CYCLE_1)
	s_mov_b32 s11, exec_lo
	v_cmpx_gt_u32_e64 s9, v34
	s_cbranch_execnz .LBB1774_218
.LBB1774_193:                           ;   in Loop: Header=BB1774_185 Depth=2
	s_wait_alu 0xfffe
	s_or_b32 exec_lo, exec_lo, s11
	s_delay_alu instid0(SALU_CYCLE_1)
	s_mov_b32 s11, exec_lo
	v_cmpx_gt_u32_e64 s9, v35
	s_cbranch_execnz .LBB1774_219
.LBB1774_194:                           ;   in Loop: Header=BB1774_185 Depth=2
	s_wait_alu 0xfffe
	s_or_b32 exec_lo, exec_lo, s11
	s_delay_alu instid0(SALU_CYCLE_1)
	s_mov_b32 s11, exec_lo
	v_cmpx_gt_u32_e64 s9, v36
	s_cbranch_execnz .LBB1774_220
.LBB1774_195:                           ;   in Loop: Header=BB1774_185 Depth=2
	s_wait_alu 0xfffe
	s_or_b32 exec_lo, exec_lo, s11
	s_delay_alu instid0(SALU_CYCLE_1)
	s_mov_b32 s11, exec_lo
	v_cmpx_gt_u32_e64 s9, v37
	s_cbranch_execz .LBB1774_197
.LBB1774_196:                           ;   in Loop: Header=BB1774_185 Depth=2
	global_load_u16 v2, v82, s[0:1] offset:3584
.LBB1774_197:                           ;   in Loop: Header=BB1774_185 Depth=2
	s_wait_alu 0xfffe
	s_or_b32 exec_lo, exec_lo, s11
	s_wait_loadcnt 0x0
	v_dual_mov_b32 v11, v10 :: v_dual_mov_b32 v12, v9
	v_dual_mov_b32 v13, v8 :: v_dual_mov_b32 v14, v7
	;; [unrolled: 1-line block ×4, first 2 shown]
	s_mov_b32 s0, s9
.LBB1774_198:                           ;   in Loop: Header=BB1774_185 Depth=2
	s_wait_loadcnt 0x0
	s_delay_alu instid0(VALU_DEP_1) | instskip(NEXT) | instid1(VALU_DEP_2)
	v_dual_mov_b32 v2, v18 :: v_dual_mov_b32 v5, v16
	v_dual_mov_b32 v4, v17 :: v_dual_mov_b32 v7, v14
	;; [unrolled: 1-line block ×3, first 2 shown]
	v_mov_b32_e32 v8, v13
	v_mov_b32_e32 v10, v11
	s_mov_b32 s1, exec_lo
	s_wait_alu 0xfffe
	v_cmpx_gt_u32_e64 s0, v1
	s_cbranch_execnz .LBB1774_206
; %bb.199:                              ;   in Loop: Header=BB1774_185 Depth=2
	s_or_b32 exec_lo, exec_lo, s1
	s_delay_alu instid0(SALU_CYCLE_1)
	s_mov_b32 s1, exec_lo
	v_cmpx_gt_u32_e64 s0, v29
	s_cbranch_execnz .LBB1774_207
.LBB1774_200:                           ;   in Loop: Header=BB1774_185 Depth=2
	s_wait_alu 0xfffe
	s_or_b32 exec_lo, exec_lo, s1
	s_delay_alu instid0(SALU_CYCLE_1)
	s_mov_b32 s1, exec_lo
	v_cmpx_gt_u32_e64 s0, v30
	s_cbranch_execnz .LBB1774_208
.LBB1774_201:                           ;   in Loop: Header=BB1774_185 Depth=2
	s_wait_alu 0xfffe
	s_or_b32 exec_lo, exec_lo, s1
	s_delay_alu instid0(SALU_CYCLE_1)
	s_mov_b32 s1, exec_lo
	v_cmpx_gt_u32_e64 s0, v31
	s_cbranch_execnz .LBB1774_209
.LBB1774_202:                           ;   in Loop: Header=BB1774_185 Depth=2
	s_wait_alu 0xfffe
	s_or_b32 exec_lo, exec_lo, s1
	s_delay_alu instid0(SALU_CYCLE_1)
	s_mov_b32 s1, exec_lo
	v_cmpx_gt_u32_e64 s0, v34
	s_cbranch_execnz .LBB1774_210
.LBB1774_203:                           ;   in Loop: Header=BB1774_185 Depth=2
	s_wait_alu 0xfffe
	s_or_b32 exec_lo, exec_lo, s1
	s_delay_alu instid0(SALU_CYCLE_1)
	s_mov_b32 s1, exec_lo
	v_cmpx_gt_u32_e64 s0, v35
	s_cbranch_execnz .LBB1774_211
.LBB1774_204:                           ;   in Loop: Header=BB1774_185 Depth=2
	s_wait_alu 0xfffe
	s_or_b32 exec_lo, exec_lo, s1
	s_delay_alu instid0(SALU_CYCLE_1)
	s_mov_b32 s1, exec_lo
	v_cmpx_gt_u32_e64 s0, v36
	s_cbranch_execnz .LBB1774_212
.LBB1774_205:                           ;   in Loop: Header=BB1774_185 Depth=2
	s_wait_alu 0xfffe
	s_or_b32 exec_lo, exec_lo, s1
	v_cmp_gt_u32_e32 vcc_lo, s0, v37
	s_and_saveexec_b32 s0, vcc_lo
	s_cbranch_execz .LBB1774_184
	s_branch .LBB1774_213
.LBB1774_206:                           ;   in Loop: Header=BB1774_185 Depth=2
	v_cmp_gt_i16_e32 vcc_lo, 0, v10
	s_wait_alu 0xfffd
	v_cndmask_b32_e64 v11, 0x7fff, 0, vcc_lo
	s_delay_alu instid0(VALU_DEP_1) | instskip(NEXT) | instid1(VALU_DEP_1)
	v_xor_b32_e32 v11, v11, v10
	v_cmp_ne_u16_e32 vcc_lo, 0x8000, v11
	s_wait_alu 0xfffd
	v_cndmask_b32_e32 v11, 0x7fff, v11, vcc_lo
	s_delay_alu instid0(VALU_DEP_1) | instskip(NEXT) | instid1(VALU_DEP_1)
	v_and_b32_e32 v11, 0xffff, v11
	v_lshrrev_b32_e32 v11, s23, v11
	s_delay_alu instid0(VALU_DEP_1) | instskip(NEXT) | instid1(VALU_DEP_1)
	v_and_b32_e32 v11, s42, v11
	v_lshl_or_b32 v11, v11, 4, v39
	ds_add_u32 v11, v62
	s_or_b32 exec_lo, exec_lo, s1
	s_delay_alu instid0(SALU_CYCLE_1)
	s_mov_b32 s1, exec_lo
	v_cmpx_gt_u32_e64 s0, v29
	s_cbranch_execz .LBB1774_200
.LBB1774_207:                           ;   in Loop: Header=BB1774_185 Depth=2
	v_cmp_gt_i16_e32 vcc_lo, 0, v9
	s_wait_alu 0xfffd
	v_cndmask_b32_e64 v11, 0x7fff, 0, vcc_lo
	s_delay_alu instid0(VALU_DEP_1) | instskip(NEXT) | instid1(VALU_DEP_1)
	v_xor_b32_e32 v11, v11, v9
	v_cmp_ne_u16_e32 vcc_lo, 0x8000, v11
	s_wait_alu 0xfffd
	v_cndmask_b32_e32 v11, 0x7fff, v11, vcc_lo
	s_delay_alu instid0(VALU_DEP_1) | instskip(NEXT) | instid1(VALU_DEP_1)
	v_and_b32_e32 v11, 0xffff, v11
	v_lshrrev_b32_e32 v11, s23, v11
	s_delay_alu instid0(VALU_DEP_1) | instskip(NEXT) | instid1(VALU_DEP_1)
	v_and_b32_e32 v11, s42, v11
	v_lshl_or_b32 v11, v11, 4, v39
	ds_add_u32 v11, v62
	s_wait_alu 0xfffe
	s_or_b32 exec_lo, exec_lo, s1
	s_delay_alu instid0(SALU_CYCLE_1)
	s_mov_b32 s1, exec_lo
	v_cmpx_gt_u32_e64 s0, v30
	s_cbranch_execz .LBB1774_201
.LBB1774_208:                           ;   in Loop: Header=BB1774_185 Depth=2
	v_cmp_gt_i16_e32 vcc_lo, 0, v8
	s_wait_alu 0xfffd
	v_cndmask_b32_e64 v11, 0x7fff, 0, vcc_lo
	s_delay_alu instid0(VALU_DEP_1) | instskip(NEXT) | instid1(VALU_DEP_1)
	v_xor_b32_e32 v11, v11, v8
	v_cmp_ne_u16_e32 vcc_lo, 0x8000, v11
	s_wait_alu 0xfffd
	v_cndmask_b32_e32 v11, 0x7fff, v11, vcc_lo
	s_delay_alu instid0(VALU_DEP_1) | instskip(NEXT) | instid1(VALU_DEP_1)
	v_and_b32_e32 v11, 0xffff, v11
	v_lshrrev_b32_e32 v11, s23, v11
	s_delay_alu instid0(VALU_DEP_1) | instskip(NEXT) | instid1(VALU_DEP_1)
	v_and_b32_e32 v11, s42, v11
	v_lshl_or_b32 v11, v11, 4, v39
	ds_add_u32 v11, v62
	s_wait_alu 0xfffe
	s_or_b32 exec_lo, exec_lo, s1
	s_delay_alu instid0(SALU_CYCLE_1)
	s_mov_b32 s1, exec_lo
	v_cmpx_gt_u32_e64 s0, v31
	s_cbranch_execz .LBB1774_202
.LBB1774_209:                           ;   in Loop: Header=BB1774_185 Depth=2
	v_cmp_gt_i16_e32 vcc_lo, 0, v7
	s_wait_alu 0xfffd
	v_cndmask_b32_e64 v11, 0x7fff, 0, vcc_lo
	s_delay_alu instid0(VALU_DEP_1) | instskip(NEXT) | instid1(VALU_DEP_1)
	v_xor_b32_e32 v11, v11, v7
	v_cmp_ne_u16_e32 vcc_lo, 0x8000, v11
	s_wait_alu 0xfffd
	v_cndmask_b32_e32 v11, 0x7fff, v11, vcc_lo
	s_delay_alu instid0(VALU_DEP_1) | instskip(NEXT) | instid1(VALU_DEP_1)
	v_and_b32_e32 v11, 0xffff, v11
	v_lshrrev_b32_e32 v11, s23, v11
	s_delay_alu instid0(VALU_DEP_1) | instskip(NEXT) | instid1(VALU_DEP_1)
	v_and_b32_e32 v11, s42, v11
	v_lshl_or_b32 v11, v11, 4, v39
	ds_add_u32 v11, v62
	s_wait_alu 0xfffe
	s_or_b32 exec_lo, exec_lo, s1
	s_delay_alu instid0(SALU_CYCLE_1)
	s_mov_b32 s1, exec_lo
	v_cmpx_gt_u32_e64 s0, v34
	s_cbranch_execz .LBB1774_203
.LBB1774_210:                           ;   in Loop: Header=BB1774_185 Depth=2
	v_cmp_gt_i16_e32 vcc_lo, 0, v6
	s_wait_alu 0xfffd
	v_cndmask_b32_e64 v11, 0x7fff, 0, vcc_lo
	s_delay_alu instid0(VALU_DEP_1) | instskip(NEXT) | instid1(VALU_DEP_1)
	v_xor_b32_e32 v11, v11, v6
	v_cmp_ne_u16_e32 vcc_lo, 0x8000, v11
	s_wait_alu 0xfffd
	v_cndmask_b32_e32 v11, 0x7fff, v11, vcc_lo
	s_delay_alu instid0(VALU_DEP_1) | instskip(NEXT) | instid1(VALU_DEP_1)
	v_and_b32_e32 v11, 0xffff, v11
	v_lshrrev_b32_e32 v11, s23, v11
	s_delay_alu instid0(VALU_DEP_1) | instskip(NEXT) | instid1(VALU_DEP_1)
	v_and_b32_e32 v11, s42, v11
	v_lshl_or_b32 v11, v11, 4, v39
	ds_add_u32 v11, v62
	s_wait_alu 0xfffe
	s_or_b32 exec_lo, exec_lo, s1
	s_delay_alu instid0(SALU_CYCLE_1)
	s_mov_b32 s1, exec_lo
	v_cmpx_gt_u32_e64 s0, v35
	s_cbranch_execz .LBB1774_204
.LBB1774_211:                           ;   in Loop: Header=BB1774_185 Depth=2
	v_cmp_gt_i16_e32 vcc_lo, 0, v5
	s_wait_alu 0xfffd
	v_cndmask_b32_e64 v11, 0x7fff, 0, vcc_lo
	s_delay_alu instid0(VALU_DEP_1) | instskip(NEXT) | instid1(VALU_DEP_1)
	v_xor_b32_e32 v11, v11, v5
	v_cmp_ne_u16_e32 vcc_lo, 0x8000, v11
	s_wait_alu 0xfffd
	v_cndmask_b32_e32 v11, 0x7fff, v11, vcc_lo
	s_delay_alu instid0(VALU_DEP_1) | instskip(NEXT) | instid1(VALU_DEP_1)
	v_and_b32_e32 v11, 0xffff, v11
	v_lshrrev_b32_e32 v11, s23, v11
	s_delay_alu instid0(VALU_DEP_1) | instskip(NEXT) | instid1(VALU_DEP_1)
	v_and_b32_e32 v11, s42, v11
	v_lshl_or_b32 v11, v11, 4, v39
	ds_add_u32 v11, v62
	s_wait_alu 0xfffe
	s_or_b32 exec_lo, exec_lo, s1
	s_delay_alu instid0(SALU_CYCLE_1)
	s_mov_b32 s1, exec_lo
	v_cmpx_gt_u32_e64 s0, v36
	s_cbranch_execz .LBB1774_205
.LBB1774_212:                           ;   in Loop: Header=BB1774_185 Depth=2
	v_cmp_gt_i16_e32 vcc_lo, 0, v4
	s_wait_alu 0xfffd
	v_cndmask_b32_e64 v11, 0x7fff, 0, vcc_lo
	s_delay_alu instid0(VALU_DEP_1) | instskip(NEXT) | instid1(VALU_DEP_1)
	v_xor_b32_e32 v11, v11, v4
	v_cmp_ne_u16_e32 vcc_lo, 0x8000, v11
	s_wait_alu 0xfffd
	v_cndmask_b32_e32 v11, 0x7fff, v11, vcc_lo
	s_delay_alu instid0(VALU_DEP_1) | instskip(NEXT) | instid1(VALU_DEP_1)
	v_and_b32_e32 v11, 0xffff, v11
	v_lshrrev_b32_e32 v11, s23, v11
	s_delay_alu instid0(VALU_DEP_1) | instskip(NEXT) | instid1(VALU_DEP_1)
	v_and_b32_e32 v11, s42, v11
	v_lshl_or_b32 v11, v11, 4, v39
	ds_add_u32 v11, v62
	s_wait_alu 0xfffe
	s_or_b32 exec_lo, exec_lo, s1
	v_cmp_gt_u32_e32 vcc_lo, s0, v37
	s_and_saveexec_b32 s0, vcc_lo
	s_cbranch_execz .LBB1774_184
.LBB1774_213:                           ;   in Loop: Header=BB1774_185 Depth=2
	v_cmp_gt_i16_e32 vcc_lo, 0, v2
	s_wait_alu 0xfffd
	v_cndmask_b32_e64 v11, 0x7fff, 0, vcc_lo
	s_delay_alu instid0(VALU_DEP_1) | instskip(NEXT) | instid1(VALU_DEP_1)
	v_xor_b32_e32 v11, v11, v2
	v_cmp_ne_u16_e32 vcc_lo, 0x8000, v11
	s_wait_alu 0xfffd
	v_cndmask_b32_e32 v11, 0x7fff, v11, vcc_lo
	s_delay_alu instid0(VALU_DEP_1) | instskip(NEXT) | instid1(VALU_DEP_1)
	v_and_b32_e32 v11, 0xffff, v11
	v_lshrrev_b32_e32 v11, s23, v11
	s_delay_alu instid0(VALU_DEP_1) | instskip(NEXT) | instid1(VALU_DEP_1)
	v_and_b32_e32 v11, s42, v11
	v_lshl_or_b32 v11, v11, 4, v39
	ds_add_u32 v11, v62
	s_branch .LBB1774_184
.LBB1774_214:                           ;   in Loop: Header=BB1774_185 Depth=2
	global_load_u16 v10, v82, s[0:1]
	s_or_b32 exec_lo, exec_lo, s11
	s_delay_alu instid0(SALU_CYCLE_1)
	s_mov_b32 s11, exec_lo
	v_cmpx_gt_u32_e64 s9, v29
	s_cbranch_execz .LBB1774_190
.LBB1774_215:                           ;   in Loop: Header=BB1774_185 Depth=2
	global_load_u16 v9, v82, s[0:1] offset:512
	s_wait_alu 0xfffe
	s_or_b32 exec_lo, exec_lo, s11
	s_delay_alu instid0(SALU_CYCLE_1)
	s_mov_b32 s11, exec_lo
	v_cmpx_gt_u32_e64 s9, v30
	s_cbranch_execz .LBB1774_191
.LBB1774_216:                           ;   in Loop: Header=BB1774_185 Depth=2
	global_load_u16 v8, v82, s[0:1] offset:1024
	s_wait_alu 0xfffe
	s_or_b32 exec_lo, exec_lo, s11
	s_delay_alu instid0(SALU_CYCLE_1)
	s_mov_b32 s11, exec_lo
	v_cmpx_gt_u32_e64 s9, v31
	s_cbranch_execz .LBB1774_192
.LBB1774_217:                           ;   in Loop: Header=BB1774_185 Depth=2
	global_load_u16 v7, v82, s[0:1] offset:1536
	s_wait_alu 0xfffe
	s_or_b32 exec_lo, exec_lo, s11
	s_delay_alu instid0(SALU_CYCLE_1)
	s_mov_b32 s11, exec_lo
	v_cmpx_gt_u32_e64 s9, v34
	s_cbranch_execz .LBB1774_193
.LBB1774_218:                           ;   in Loop: Header=BB1774_185 Depth=2
	global_load_u16 v6, v82, s[0:1] offset:2048
	s_wait_alu 0xfffe
	s_or_b32 exec_lo, exec_lo, s11
	s_delay_alu instid0(SALU_CYCLE_1)
	s_mov_b32 s11, exec_lo
	v_cmpx_gt_u32_e64 s9, v35
	s_cbranch_execz .LBB1774_194
.LBB1774_219:                           ;   in Loop: Header=BB1774_185 Depth=2
	global_load_u16 v5, v82, s[0:1] offset:2560
	s_wait_alu 0xfffe
	s_or_b32 exec_lo, exec_lo, s11
	s_delay_alu instid0(SALU_CYCLE_1)
	s_mov_b32 s11, exec_lo
	v_cmpx_gt_u32_e64 s9, v36
	s_cbranch_execz .LBB1774_195
.LBB1774_220:                           ;   in Loop: Header=BB1774_185 Depth=2
	global_load_u16 v4, v82, s[0:1] offset:3072
	s_wait_alu 0xfffe
	s_or_b32 exec_lo, exec_lo, s11
	s_delay_alu instid0(SALU_CYCLE_1)
	s_mov_b32 s11, exec_lo
	v_cmpx_gt_u32_e64 s9, v37
	s_cbranch_execnz .LBB1774_196
	s_branch .LBB1774_197
.LBB1774_221:                           ;   in Loop: Header=BB1774_17 Depth=1
	v_mov_b32_e32 v2, 0
	s_wait_dscnt 0x0
	s_barrier_signal -1
	s_barrier_wait -1
	global_inv scope:SCOPE_SE
	s_and_saveexec_b32 s0, s2
	s_cbranch_execz .LBB1774_223
; %bb.222:                              ;   in Loop: Header=BB1774_17 Depth=1
	ds_load_2addr_b64 v[4:7], v40 offset1:1
	s_wait_dscnt 0x0
	v_add_nc_u32_e32 v2, v5, v4
	s_delay_alu instid0(VALU_DEP_1)
	v_add3_u32 v2, v2, v6, v7
.LBB1774_223:                           ;   in Loop: Header=BB1774_17 Depth=1
	s_wait_alu 0xfffe
	s_or_b32 exec_lo, exec_lo, s0
	s_delay_alu instid0(VALU_DEP_1)
	v_mov_b32_dpp v4, v2 row_shr:1 row_mask:0xf bank_mask:0xf
	v_cmp_eq_u32_e64 s0, 0, v63
	v_cmp_lt_u32_e64 s1, 1, v63
	v_cmp_lt_u32_e64 s9, 3, v63
	;; [unrolled: 1-line block ×3, first 2 shown]
	v_cmp_eq_u32_e64 s11, 0, v65
	s_wait_alu 0xf1ff
	v_cndmask_b32_e64 v4, v4, 0, s0
	s_delay_alu instid0(VALU_DEP_1) | instskip(NEXT) | instid1(VALU_DEP_1)
	v_add_nc_u32_e32 v2, v4, v2
	v_mov_b32_dpp v4, v2 row_shr:2 row_mask:0xf bank_mask:0xf
	s_delay_alu instid0(VALU_DEP_1) | instskip(NEXT) | instid1(VALU_DEP_1)
	v_cndmask_b32_e64 v4, 0, v4, s1
	v_add_nc_u32_e32 v2, v2, v4
	s_delay_alu instid0(VALU_DEP_1) | instskip(NEXT) | instid1(VALU_DEP_1)
	v_mov_b32_dpp v4, v2 row_shr:4 row_mask:0xf bank_mask:0xf
	v_cndmask_b32_e64 v4, 0, v4, s9
	s_delay_alu instid0(VALU_DEP_1) | instskip(NEXT) | instid1(VALU_DEP_1)
	v_add_nc_u32_e32 v2, v2, v4
	v_mov_b32_dpp v4, v2 row_shr:8 row_mask:0xf bank_mask:0xf
	s_delay_alu instid0(VALU_DEP_1) | instskip(NEXT) | instid1(VALU_DEP_1)
	v_cndmask_b32_e64 v4, 0, v4, s10
	v_add_nc_u32_e32 v2, v2, v4
	ds_swizzle_b32 v4, v2 offset:swizzle(BROADCAST,32,15)
	s_wait_dscnt 0x0
	v_and_b32_e32 v4, v64, v4
	s_delay_alu instid0(VALU_DEP_1)
	v_add_nc_u32_e32 v2, v2, v4
	s_and_saveexec_b32 s12, s3
; %bb.224:                              ;   in Loop: Header=BB1774_17 Depth=1
	ds_store_b32 v41, v2
; %bb.225:                              ;   in Loop: Header=BB1774_17 Depth=1
	s_wait_alu 0xfffe
	s_or_b32 exec_lo, exec_lo, s12
	s_wait_loadcnt_dscnt 0x0
	s_barrier_signal -1
	s_barrier_wait -1
	global_inv scope:SCOPE_SE
	s_and_saveexec_b32 s12, s4
	s_cbranch_execz .LBB1774_227
; %bb.226:                              ;   in Loop: Header=BB1774_17 Depth=1
	ds_load_b32 v4, v42
	v_cmp_ne_u32_e32 vcc_lo, 0, v67
	s_wait_dscnt 0x0
	v_mov_b32_dpp v5, v4 row_shr:1 row_mask:0xf bank_mask:0xf
	s_wait_alu 0xfffd
	s_delay_alu instid0(VALU_DEP_1) | instskip(SKIP_1) | instid1(VALU_DEP_2)
	v_cndmask_b32_e32 v5, 0, v5, vcc_lo
	v_cmp_lt_u32_e32 vcc_lo, 1, v67
	v_add_nc_u32_e32 v4, v5, v4
	s_delay_alu instid0(VALU_DEP_1) | instskip(SKIP_1) | instid1(VALU_DEP_1)
	v_mov_b32_dpp v5, v4 row_shr:2 row_mask:0xf bank_mask:0xf
	s_wait_alu 0xfffd
	v_cndmask_b32_e32 v5, 0, v5, vcc_lo
	v_cmp_lt_u32_e32 vcc_lo, 3, v67
	s_delay_alu instid0(VALU_DEP_2) | instskip(NEXT) | instid1(VALU_DEP_1)
	v_add_nc_u32_e32 v4, v4, v5
	v_mov_b32_dpp v5, v4 row_shr:4 row_mask:0xf bank_mask:0xf
	s_wait_alu 0xfffd
	s_delay_alu instid0(VALU_DEP_1) | instskip(NEXT) | instid1(VALU_DEP_1)
	v_cndmask_b32_e32 v5, 0, v5, vcc_lo
	v_add_nc_u32_e32 v4, v4, v5
	ds_store_b32 v42, v4
.LBB1774_227:                           ;   in Loop: Header=BB1774_17 Depth=1
	s_wait_alu 0xfffe
	s_or_b32 exec_lo, exec_lo, s12
	v_mov_b32_e32 v4, 0
	s_wait_loadcnt_dscnt 0x0
	s_barrier_signal -1
	s_barrier_wait -1
	global_inv scope:SCOPE_SE
	s_and_saveexec_b32 s12, s5
; %bb.228:                              ;   in Loop: Header=BB1774_17 Depth=1
	ds_load_b32 v4, v44
; %bb.229:                              ;   in Loop: Header=BB1774_17 Depth=1
	s_wait_alu 0xfffe
	s_or_b32 exec_lo, exec_lo, s12
	v_cmp_gt_i32_e32 vcc_lo, 0, v68
	s_wait_dscnt 0x0
	v_add_nc_u32_e32 v2, v4, v2
	s_wait_loadcnt 0x0
	s_barrier_signal -1
	s_barrier_wait -1
	s_wait_alu 0xfffd
	v_cndmask_b32_e32 v5, v68, v59, vcc_lo
	global_inv scope:SCOPE_SE
	v_lshlrev_b32_e32 v87, 2, v5
	ds_bpermute_b32 v2, v87, v2
	s_and_saveexec_b32 s12, s2
	s_cbranch_execz .LBB1774_231
; %bb.230:                              ;   in Loop: Header=BB1774_17 Depth=1
	s_wait_dscnt 0x0
	v_cndmask_b32_e64 v2, v2, v4, s8
	s_delay_alu instid0(VALU_DEP_1)
	v_add_nc_u32_e32 v2, s33, v2
	ds_store_b32 v28, v2
.LBB1774_231:                           ;   in Loop: Header=BB1774_17 Depth=1
	s_wait_alu 0xfffe
	s_or_b32 exec_lo, exec_lo, s12
	s_load_b64 s[12:13], s[28:29], 0x0
	v_add_co_u32 v88, vcc_lo, v51, v69
	s_wait_alu 0xfffd
	v_add_co_ci_u32_e64 v89, null, 0, v52, vcc_lo
	v_add_co_u32 v90, vcc_lo, v53, v77
	s_wait_alu 0xfffd
	v_add_co_ci_u32_e64 v91, null, 0, v54, vcc_lo
	s_mov_b32 s43, s47
                                        ; implicit-def: $vgpr6_vgpr7
                                        ; implicit-def: $vgpr8_vgpr9
                                        ; implicit-def: $vgpr10_vgpr11
                                        ; implicit-def: $vgpr12_vgpr13
                                        ; implicit-def: $vgpr14_vgpr15
                                        ; implicit-def: $vgpr16_vgpr17
                                        ; implicit-def: $vgpr18_vgpr19
                                        ; implicit-def: $vgpr93
                                        ; implicit-def: $vgpr94
                                        ; implicit-def: $vgpr95
                                        ; implicit-def: $vgpr96
                                        ; implicit-def: $vgpr97
                                        ; implicit-def: $vgpr98
                                        ; implicit-def: $vgpr99
                                        ; implicit-def: $vgpr100
	s_wait_kmcnt 0x0
	s_cmp_lt_u32 ttmp7, s13
	s_cselect_b32 s30, 14, 20
	s_cmp_lt_u32 ttmp9, s12
	s_wait_alu 0xfffe
	s_add_nc_u64 s[14:15], s[28:29], s[30:31]
	s_cselect_b32 s30, 12, 18
	s_load_u16 s14, s[14:15], 0x0
	s_add_nc_u64 s[12:13], s[28:29], s[30:31]
	s_mov_b32 s30, s33
	s_load_u16 s12, s[12:13], 0x0
	v_cmp_lt_u32_e64 s13, 1, v67
	s_wait_dscnt 0x0
	s_wait_kmcnt 0x0
	v_mad_u32_u24 v2, v45, s14, v0
	v_cmp_lt_u32_e64 s14, 3, v67
	s_delay_alu instid0(VALU_DEP_2) | instskip(SKIP_1) | instid1(VALU_DEP_2)
	v_mad_co_u64_u32 v[4:5], null, v2, s12, v[1:2]
	v_cmp_eq_u32_e64 s12, 0, v67
	v_lshrrev_b32_e32 v2, 3, v4
                                        ; implicit-def: $vgpr4_vgpr5
	s_delay_alu instid0(VALU_DEP_1)
	v_and_b32_e32 v92, 0x1ffffffc, v2
	s_branch .LBB1774_233
.LBB1774_232:                           ;   in Loop: Header=BB1774_233 Depth=2
	s_wait_alu 0xfffe
	s_or_b32 exec_lo, exec_lo, s15
	s_addk_co_i32 s43, 0xf800
	s_cmp_lt_u32 s44, s34
	s_mov_b32 s30, s44
	s_cbranch_scc0 .LBB1774_345
.LBB1774_233:                           ;   Parent Loop BB1774_17 Depth=1
                                        ; =>  This Inner Loop Header: Depth=2
	s_wait_alu 0xfffe
	s_add_co_i32 s44, s30, 0x800
	s_wait_alu 0xfffe
	s_cmp_gt_u32 s44, s34
	s_cbranch_scc1 .LBB1774_235
; %bb.234:                              ;   in Loop: Header=BB1774_233 Depth=2
	s_lshl_b64 s[16:17], s[30:31], 1
	s_mov_b32 s15, -1
	s_wait_alu 0xfffe
	v_add_co_u32 v20, vcc_lo, v90, s16
	s_wait_alu 0xfffd
	v_add_co_ci_u32_e64 v21, null, s17, v91, vcc_lo
	s_clause 0x6
	global_load_u16 v2, v[20:21], off
	global_load_u16 v27, v[20:21], off offset:64
	global_load_u16 v26, v[20:21], off offset:128
	;; [unrolled: 1-line block ×6, first 2 shown]
	s_movk_i32 s16, 0x800
	s_cbranch_execz .LBB1774_236
	s_branch .LBB1774_251
.LBB1774_235:                           ;   in Loop: Header=BB1774_233 Depth=2
	s_mov_b32 s15, 0
                                        ; implicit-def: $vgpr2
                                        ; implicit-def: $vgpr27
                                        ; implicit-def: $vgpr26
                                        ; implicit-def: $vgpr25
                                        ; implicit-def: $vgpr24
                                        ; implicit-def: $vgpr23
                                        ; implicit-def: $vgpr22
	s_movk_i32 s16, 0x800
.LBB1774_236:                           ;   in Loop: Header=BB1774_233 Depth=2
	s_lshl_b64 s[16:17], s[30:31], 1
	s_wait_loadcnt 0x5
	v_dual_mov_b32 v27, -1 :: v_dual_mov_b32 v2, -1
	s_wait_alu 0xfffe
	v_add_co_u32 v20, vcc_lo, v90, s16
	s_wait_alu 0xfffd
	v_add_co_ci_u32_e64 v21, null, s17, v91, vcc_lo
	s_mov_b32 s15, exec_lo
	v_cmpx_gt_u32_e64 s43, v66
	s_cbranch_execz .LBB1774_238
; %bb.237:                              ;   in Loop: Header=BB1774_233 Depth=2
	global_load_u16 v2, v[20:21], off
.LBB1774_238:                           ;   in Loop: Header=BB1774_233 Depth=2
	s_wait_alu 0xfffe
	s_or_b32 exec_lo, exec_lo, s15
	s_delay_alu instid0(SALU_CYCLE_1)
	s_mov_b32 s15, exec_lo
	v_cmpx_gt_u32_e64 s43, v70
	s_cbranch_execz .LBB1774_240
; %bb.239:                              ;   in Loop: Header=BB1774_233 Depth=2
	global_load_u16 v27, v[20:21], off offset:64
.LBB1774_240:                           ;   in Loop: Header=BB1774_233 Depth=2
	s_wait_alu 0xfffe
	s_or_b32 exec_lo, exec_lo, s15
	s_wait_loadcnt 0x3
	v_dual_mov_b32 v25, -1 :: v_dual_mov_b32 v26, -1
	s_mov_b32 s15, exec_lo
	v_cmpx_gt_u32_e64 s43, v71
	s_cbranch_execz .LBB1774_242
; %bb.241:                              ;   in Loop: Header=BB1774_233 Depth=2
	global_load_u16 v26, v[20:21], off offset:128
.LBB1774_242:                           ;   in Loop: Header=BB1774_233 Depth=2
	s_wait_alu 0xfffe
	s_or_b32 exec_lo, exec_lo, s15
	s_delay_alu instid0(SALU_CYCLE_1)
	s_mov_b32 s15, exec_lo
	v_cmpx_gt_u32_e64 s43, v72
	s_cbranch_execz .LBB1774_244
; %bb.243:                              ;   in Loop: Header=BB1774_233 Depth=2
	global_load_u16 v25, v[20:21], off offset:192
.LBB1774_244:                           ;   in Loop: Header=BB1774_233 Depth=2
	s_wait_alu 0xfffe
	s_or_b32 exec_lo, exec_lo, s15
	s_wait_loadcnt 0x1
	v_dual_mov_b32 v23, -1 :: v_dual_mov_b32 v24, -1
	s_mov_b32 s15, exec_lo
	v_cmpx_gt_u32_e64 s43, v73
	s_cbranch_execz .LBB1774_246
; %bb.245:                              ;   in Loop: Header=BB1774_233 Depth=2
	global_load_u16 v24, v[20:21], off offset:256
.LBB1774_246:                           ;   in Loop: Header=BB1774_233 Depth=2
	s_wait_alu 0xfffe
	s_or_b32 exec_lo, exec_lo, s15
	s_delay_alu instid0(SALU_CYCLE_1)
	s_mov_b32 s15, exec_lo
	v_cmpx_gt_u32_e64 s43, v74
	s_cbranch_execz .LBB1774_248
; %bb.247:                              ;   in Loop: Header=BB1774_233 Depth=2
	global_load_u16 v23, v[20:21], off offset:320
.LBB1774_248:                           ;   in Loop: Header=BB1774_233 Depth=2
	s_wait_alu 0xfffe
	s_or_b32 exec_lo, exec_lo, s15
	s_wait_loadcnt 0x0
	v_mov_b32_e32 v22, -1
	s_mov_b32 s15, exec_lo
	v_cmpx_gt_u32_e64 s43, v75
	s_cbranch_execz .LBB1774_250
; %bb.249:                              ;   in Loop: Header=BB1774_233 Depth=2
	global_load_u16 v22, v[20:21], off offset:384
.LBB1774_250:                           ;   in Loop: Header=BB1774_233 Depth=2
	s_wait_alu 0xfffe
	s_or_b32 exec_lo, exec_lo, s15
	v_cmp_gt_u32_e64 s15, s43, v76
	s_sub_co_i32 s16, s34, s30
.LBB1774_251:                           ;   in Loop: Header=BB1774_233 Depth=2
	v_dual_mov_b32 v20, -1 :: v_dual_mov_b32 v101, s43
	s_and_saveexec_b32 s17, s15
	s_cbranch_execz .LBB1774_253
; %bb.252:                              ;   in Loop: Header=BB1774_233 Depth=2
	s_lshl_b64 s[18:19], s[30:31], 1
	s_wait_alu 0xfffe
	v_mov_b32_e32 v101, s16
	v_add_co_u32 v20, vcc_lo, v90, s18
	s_wait_alu 0xfffd
	v_add_co_ci_u32_e64 v21, null, s19, v91, vcc_lo
	global_load_u16 v20, v[20:21], off offset:448
.LBB1774_253:                           ;   in Loop: Header=BB1774_233 Depth=2
	s_wait_alu 0xfffe
	s_or_b32 exec_lo, exec_lo, s17
	s_wait_loadcnt 0x6
	v_cmp_gt_i16_e32 vcc_lo, 0, v2
	ds_store_2addr_b32 v81, v3, v3 offset1:1
	ds_store_2addr_b32 v78, v3, v3 offset1:1
	;; [unrolled: 1-line block ×4, first 2 shown]
	ds_store_b32 v43, v3 offset:1088
	s_wait_loadcnt_dscnt 0x0
	s_barrier_signal -1
	s_wait_alu 0xfffd
	v_cndmask_b32_e64 v21, 0x7fff, 0, vcc_lo
	s_barrier_wait -1
	global_inv scope:SCOPE_SE
	; wave barrier
	v_xor_b32_e32 v2, v21, v2
	s_delay_alu instid0(VALU_DEP_1) | instskip(SKIP_2) | instid1(VALU_DEP_1)
	v_cmp_ne_u16_e32 vcc_lo, 0x8000, v2
	s_wait_alu 0xfffd
	v_cndmask_b32_e32 v21, 0x7fff, v2, vcc_lo
	v_and_b32_e32 v21, 0xffff, v21
	s_delay_alu instid0(VALU_DEP_1) | instskip(NEXT) | instid1(VALU_DEP_1)
	v_lshrrev_b32_e32 v21, s23, v21
	v_and_b32_e32 v103, s42, v21
	s_delay_alu instid0(VALU_DEP_1)
	v_and_b32_e32 v21, 1, v103
	v_lshlrev_b32_e32 v102, 30, v103
	v_lshlrev_b32_e32 v104, 29, v103
	;; [unrolled: 1-line block ×4, first 2 shown]
	v_add_co_u32 v21, s15, v21, -1
	s_wait_alu 0xf1ff
	v_cndmask_b32_e64 v106, 0, 1, s15
	v_not_b32_e32 v110, v102
	v_cmp_gt_i32_e64 s15, 0, v102
	v_not_b32_e32 v102, v104
	v_lshlrev_b32_e32 v108, 26, v103
	v_cmp_ne_u32_e32 vcc_lo, 0, v106
	v_ashrrev_i32_e32 v110, 31, v110
	v_lshlrev_b32_e32 v109, 25, v103
	v_ashrrev_i32_e32 v102, 31, v102
	v_lshlrev_b32_e32 v106, 24, v103
	s_wait_alu 0xfffd
	v_xor_b32_e32 v21, vcc_lo, v21
	v_cmp_gt_i32_e32 vcc_lo, 0, v104
	v_not_b32_e32 v104, v105
	s_wait_alu 0xf1ff
	v_xor_b32_e32 v110, s15, v110
	v_cmp_gt_i32_e64 s15, 0, v105
	v_and_b32_e32 v21, exec_lo, v21
	v_not_b32_e32 v105, v107
	v_ashrrev_i32_e32 v104, 31, v104
	s_wait_alu 0xfffd
	v_xor_b32_e32 v102, vcc_lo, v102
	v_cmp_gt_i32_e32 vcc_lo, 0, v107
	v_and_b32_e32 v21, v21, v110
	v_not_b32_e32 v107, v108
	v_ashrrev_i32_e32 v105, 31, v105
	s_wait_alu 0xf1ff
	v_xor_b32_e32 v104, s15, v104
	v_cmp_gt_i32_e64 s15, 0, v108
	v_and_b32_e32 v21, v21, v102
	v_not_b32_e32 v102, v109
	v_ashrrev_i32_e32 v107, 31, v107
	s_wait_alu 0xfffd
	v_xor_b32_e32 v105, vcc_lo, v105
	v_cmp_gt_i32_e32 vcc_lo, 0, v109
	v_and_b32_e32 v21, v21, v104
	v_not_b32_e32 v104, v106
	v_ashrrev_i32_e32 v102, 31, v102
	s_wait_alu 0xf1ff
	v_xor_b32_e32 v107, s15, v107
	v_cmp_gt_i32_e64 s15, 0, v106
	v_and_b32_e32 v21, v21, v105
	v_ashrrev_i32_e32 v104, 31, v104
	s_wait_alu 0xfffd
	v_xor_b32_e32 v102, vcc_lo, v102
	v_mul_u32_u24_e32 v103, 36, v103
	v_and_b32_e32 v21, v21, v107
	s_wait_alu 0xf1ff
	v_xor_b32_e32 v104, s15, v104
	s_delay_alu instid0(VALU_DEP_2) | instskip(NEXT) | instid1(VALU_DEP_1)
	v_and_b32_e32 v21, v21, v102
	v_and_b32_e32 v21, v21, v104
	v_add_nc_u32_e32 v104, v92, v103
	s_delay_alu instid0(VALU_DEP_2) | instskip(SKIP_1) | instid1(VALU_DEP_2)
	v_mbcnt_lo_u32_b32 v102, v21, 0
	v_cmp_ne_u32_e64 s15, 0, v21
	v_cmp_eq_u32_e32 vcc_lo, 0, v102
	s_and_b32 s16, s15, vcc_lo
	s_wait_alu 0xfffe
	s_and_saveexec_b32 s15, s16
; %bb.254:                              ;   in Loop: Header=BB1774_233 Depth=2
	v_bcnt_u32_b32 v21, v21, 0
	ds_store_b32 v104, v21 offset:1056
; %bb.255:                              ;   in Loop: Header=BB1774_233 Depth=2
	s_wait_alu 0xfffe
	s_or_b32 exec_lo, exec_lo, s15
	v_cmp_gt_i16_e32 vcc_lo, 0, v27
	; wave barrier
	s_wait_alu 0xfffd
	v_cndmask_b32_e64 v21, 0x7fff, 0, vcc_lo
	s_delay_alu instid0(VALU_DEP_1) | instskip(NEXT) | instid1(VALU_DEP_1)
	v_xor_b32_e32 v103, v21, v27
	v_cmp_ne_u16_e32 vcc_lo, 0x8000, v103
	s_wait_alu 0xfffd
	v_cndmask_b32_e32 v21, 0x7fff, v103, vcc_lo
	s_delay_alu instid0(VALU_DEP_1) | instskip(NEXT) | instid1(VALU_DEP_1)
	v_and_b32_e32 v21, 0xffff, v21
	v_lshrrev_b32_e32 v21, s23, v21
	s_delay_alu instid0(VALU_DEP_1) | instskip(NEXT) | instid1(VALU_DEP_1)
	v_and_b32_e32 v27, s42, v21
	v_and_b32_e32 v21, 1, v27
	v_lshlrev_b32_e32 v105, 30, v27
	v_lshlrev_b32_e32 v106, 29, v27
	;; [unrolled: 1-line block ×4, first 2 shown]
	v_add_co_u32 v21, s15, v21, -1
	s_wait_alu 0xf1ff
	v_cndmask_b32_e64 v108, 0, 1, s15
	v_not_b32_e32 v112, v105
	v_cmp_gt_i32_e64 s15, 0, v105
	v_not_b32_e32 v105, v106
	v_lshlrev_b32_e32 v110, 26, v27
	v_cmp_ne_u32_e32 vcc_lo, 0, v108
	v_ashrrev_i32_e32 v112, 31, v112
	v_lshlrev_b32_e32 v111, 25, v27
	v_ashrrev_i32_e32 v105, 31, v105
	v_lshlrev_b32_e32 v108, 24, v27
	s_wait_alu 0xfffd
	v_xor_b32_e32 v21, vcc_lo, v21
	v_cmp_gt_i32_e32 vcc_lo, 0, v106
	v_not_b32_e32 v106, v107
	s_wait_alu 0xf1ff
	v_xor_b32_e32 v112, s15, v112
	v_cmp_gt_i32_e64 s15, 0, v107
	v_and_b32_e32 v21, exec_lo, v21
	v_not_b32_e32 v107, v109
	v_ashrrev_i32_e32 v106, 31, v106
	s_wait_alu 0xfffd
	v_xor_b32_e32 v105, vcc_lo, v105
	v_cmp_gt_i32_e32 vcc_lo, 0, v109
	v_and_b32_e32 v21, v21, v112
	v_not_b32_e32 v109, v110
	v_ashrrev_i32_e32 v107, 31, v107
	s_wait_alu 0xf1ff
	v_xor_b32_e32 v106, s15, v106
	v_cmp_gt_i32_e64 s15, 0, v110
	v_and_b32_e32 v21, v21, v105
	v_not_b32_e32 v105, v111
	v_ashrrev_i32_e32 v109, 31, v109
	s_wait_alu 0xfffd
	v_xor_b32_e32 v107, vcc_lo, v107
	v_cmp_gt_i32_e32 vcc_lo, 0, v111
	v_and_b32_e32 v21, v21, v106
	v_not_b32_e32 v106, v108
	v_ashrrev_i32_e32 v105, 31, v105
	s_wait_alu 0xf1ff
	v_xor_b32_e32 v109, s15, v109
	v_cmp_gt_i32_e64 s15, 0, v108
	v_and_b32_e32 v21, v21, v107
	v_ashrrev_i32_e32 v106, 31, v106
	s_wait_alu 0xfffd
	v_xor_b32_e32 v105, vcc_lo, v105
	v_mad_u32_u24 v107, v27, 36, v92
	v_mul_u32_u24_e32 v27, 36, v27
	v_and_b32_e32 v21, v21, v109
	s_wait_alu 0xf1ff
	v_xor_b32_e32 v106, s15, v106
	s_delay_alu instid0(VALU_DEP_3) | instskip(NEXT) | instid1(VALU_DEP_3)
	v_add_nc_u32_e32 v108, v92, v27
	v_and_b32_e32 v21, v21, v105
	ds_load_b32 v105, v107 offset:1056
	; wave barrier
	v_and_b32_e32 v21, v21, v106
	s_delay_alu instid0(VALU_DEP_1) | instskip(SKIP_1) | instid1(VALU_DEP_2)
	v_mbcnt_lo_u32_b32 v106, v21, 0
	v_cmp_ne_u32_e64 s15, 0, v21
	v_cmp_eq_u32_e32 vcc_lo, 0, v106
	s_and_b32 s16, s15, vcc_lo
	s_wait_alu 0xfffe
	s_and_saveexec_b32 s15, s16
	s_cbranch_execz .LBB1774_257
; %bb.256:                              ;   in Loop: Header=BB1774_233 Depth=2
	s_wait_dscnt 0x0
	v_bcnt_u32_b32 v21, v21, v105
	ds_store_b32 v108, v21 offset:1056
.LBB1774_257:                           ;   in Loop: Header=BB1774_233 Depth=2
	s_wait_alu 0xfffe
	s_or_b32 exec_lo, exec_lo, s15
	v_cmp_gt_i16_e32 vcc_lo, 0, v26
	; wave barrier
	s_wait_alu 0xfffd
	v_cndmask_b32_e64 v21, 0x7fff, 0, vcc_lo
	s_delay_alu instid0(VALU_DEP_1) | instskip(NEXT) | instid1(VALU_DEP_1)
	v_xor_b32_e32 v107, v21, v26
	v_cmp_ne_u16_e32 vcc_lo, 0x8000, v107
	s_wait_alu 0xfffd
	v_cndmask_b32_e32 v21, 0x7fff, v107, vcc_lo
	s_delay_alu instid0(VALU_DEP_1) | instskip(NEXT) | instid1(VALU_DEP_1)
	v_and_b32_e32 v21, 0xffff, v21
	v_lshrrev_b32_e32 v21, s23, v21
	s_delay_alu instid0(VALU_DEP_1) | instskip(NEXT) | instid1(VALU_DEP_1)
	v_and_b32_e32 v26, s42, v21
	v_and_b32_e32 v21, 1, v26
	v_lshlrev_b32_e32 v27, 30, v26
	v_lshlrev_b32_e32 v109, 29, v26
	;; [unrolled: 1-line block ×4, first 2 shown]
	v_add_co_u32 v21, s15, v21, -1
	s_wait_alu 0xf1ff
	v_cndmask_b32_e64 v111, 0, 1, s15
	v_not_b32_e32 v115, v27
	v_cmp_gt_i32_e64 s15, 0, v27
	v_not_b32_e32 v27, v109
	v_lshlrev_b32_e32 v113, 26, v26
	v_cmp_ne_u32_e32 vcc_lo, 0, v111
	v_ashrrev_i32_e32 v115, 31, v115
	v_lshlrev_b32_e32 v114, 25, v26
	v_ashrrev_i32_e32 v27, 31, v27
	v_lshlrev_b32_e32 v111, 24, v26
	s_wait_alu 0xfffd
	v_xor_b32_e32 v21, vcc_lo, v21
	v_cmp_gt_i32_e32 vcc_lo, 0, v109
	v_not_b32_e32 v109, v110
	s_wait_alu 0xf1ff
	v_xor_b32_e32 v115, s15, v115
	v_cmp_gt_i32_e64 s15, 0, v110
	v_and_b32_e32 v21, exec_lo, v21
	v_not_b32_e32 v110, v112
	v_ashrrev_i32_e32 v109, 31, v109
	s_wait_alu 0xfffd
	v_xor_b32_e32 v27, vcc_lo, v27
	v_cmp_gt_i32_e32 vcc_lo, 0, v112
	v_and_b32_e32 v21, v21, v115
	v_not_b32_e32 v112, v113
	v_ashrrev_i32_e32 v110, 31, v110
	s_wait_alu 0xf1ff
	v_xor_b32_e32 v109, s15, v109
	v_cmp_gt_i32_e64 s15, 0, v113
	v_and_b32_e32 v21, v21, v27
	v_not_b32_e32 v27, v114
	v_ashrrev_i32_e32 v112, 31, v112
	s_wait_alu 0xfffd
	v_xor_b32_e32 v110, vcc_lo, v110
	v_cmp_gt_i32_e32 vcc_lo, 0, v114
	v_and_b32_e32 v21, v21, v109
	v_not_b32_e32 v109, v111
	v_ashrrev_i32_e32 v27, 31, v27
	s_wait_alu 0xf1ff
	v_xor_b32_e32 v112, s15, v112
	v_cmp_gt_i32_e64 s15, 0, v111
	v_and_b32_e32 v21, v21, v110
	v_ashrrev_i32_e32 v109, 31, v109
	s_wait_alu 0xfffd
	v_xor_b32_e32 v27, vcc_lo, v27
	v_mad_u32_u24 v110, v26, 36, v92
	v_mul_u32_u24_e32 v26, 36, v26
	v_and_b32_e32 v21, v21, v112
	s_wait_alu 0xf1ff
	v_xor_b32_e32 v111, s15, v109
	ds_load_b32 v109, v110 offset:1056
	v_add_nc_u32_e32 v112, v92, v26
	v_and_b32_e32 v21, v21, v27
	; wave barrier
	s_delay_alu instid0(VALU_DEP_1) | instskip(NEXT) | instid1(VALU_DEP_1)
	v_and_b32_e32 v21, v21, v111
	v_mbcnt_lo_u32_b32 v111, v21, 0
	v_cmp_ne_u32_e64 s15, 0, v21
	s_delay_alu instid0(VALU_DEP_2)
	v_cmp_eq_u32_e32 vcc_lo, 0, v111
	s_and_b32 s16, s15, vcc_lo
	s_wait_alu 0xfffe
	s_and_saveexec_b32 s15, s16
	s_cbranch_execz .LBB1774_259
; %bb.258:                              ;   in Loop: Header=BB1774_233 Depth=2
	s_wait_dscnt 0x0
	v_bcnt_u32_b32 v21, v21, v109
	ds_store_b32 v112, v21 offset:1056
.LBB1774_259:                           ;   in Loop: Header=BB1774_233 Depth=2
	s_wait_alu 0xfffe
	s_or_b32 exec_lo, exec_lo, s15
	v_cmp_gt_i16_e32 vcc_lo, 0, v25
	; wave barrier
	s_wait_alu 0xfffd
	v_cndmask_b32_e64 v21, 0x7fff, 0, vcc_lo
	s_delay_alu instid0(VALU_DEP_1) | instskip(NEXT) | instid1(VALU_DEP_1)
	v_xor_b32_e32 v110, v21, v25
	v_cmp_ne_u16_e32 vcc_lo, 0x8000, v110
	s_wait_alu 0xfffd
	v_cndmask_b32_e32 v21, 0x7fff, v110, vcc_lo
	s_delay_alu instid0(VALU_DEP_1) | instskip(NEXT) | instid1(VALU_DEP_1)
	v_and_b32_e32 v21, 0xffff, v21
	v_lshrrev_b32_e32 v21, s23, v21
	s_delay_alu instid0(VALU_DEP_1) | instskip(NEXT) | instid1(VALU_DEP_1)
	v_and_b32_e32 v25, s42, v21
	v_and_b32_e32 v21, 1, v25
	v_lshlrev_b32_e32 v26, 30, v25
	v_lshlrev_b32_e32 v27, 29, v25
	v_lshlrev_b32_e32 v113, 28, v25
	v_lshlrev_b32_e32 v115, 27, v25
	v_add_co_u32 v21, s15, v21, -1
	s_wait_alu 0xf1ff
	v_cndmask_b32_e64 v114, 0, 1, s15
	v_not_b32_e32 v118, v26
	v_cmp_gt_i32_e64 s15, 0, v26
	v_not_b32_e32 v26, v27
	v_lshlrev_b32_e32 v116, 26, v25
	v_cmp_ne_u32_e32 vcc_lo, 0, v114
	v_ashrrev_i32_e32 v118, 31, v118
	v_lshlrev_b32_e32 v117, 25, v25
	v_ashrrev_i32_e32 v26, 31, v26
	v_lshlrev_b32_e32 v114, 24, v25
	s_wait_alu 0xfffd
	v_xor_b32_e32 v21, vcc_lo, v21
	v_cmp_gt_i32_e32 vcc_lo, 0, v27
	v_not_b32_e32 v27, v113
	s_wait_alu 0xf1ff
	v_xor_b32_e32 v118, s15, v118
	v_cmp_gt_i32_e64 s15, 0, v113
	v_and_b32_e32 v21, exec_lo, v21
	v_not_b32_e32 v113, v115
	v_ashrrev_i32_e32 v27, 31, v27
	s_wait_alu 0xfffd
	v_xor_b32_e32 v26, vcc_lo, v26
	v_cmp_gt_i32_e32 vcc_lo, 0, v115
	v_and_b32_e32 v21, v21, v118
	v_not_b32_e32 v115, v116
	v_ashrrev_i32_e32 v113, 31, v113
	s_wait_alu 0xf1ff
	v_xor_b32_e32 v27, s15, v27
	v_cmp_gt_i32_e64 s15, 0, v116
	v_and_b32_e32 v21, v21, v26
	v_not_b32_e32 v26, v117
	v_ashrrev_i32_e32 v115, 31, v115
	s_wait_alu 0xfffd
	v_xor_b32_e32 v113, vcc_lo, v113
	v_cmp_gt_i32_e32 vcc_lo, 0, v117
	v_and_b32_e32 v21, v21, v27
	v_not_b32_e32 v27, v114
	v_ashrrev_i32_e32 v26, 31, v26
	s_wait_alu 0xf1ff
	v_xor_b32_e32 v115, s15, v115
	v_cmp_gt_i32_e64 s15, 0, v114
	v_and_b32_e32 v21, v21, v113
	v_ashrrev_i32_e32 v27, 31, v27
	s_wait_alu 0xfffd
	v_xor_b32_e32 v26, vcc_lo, v26
	v_mad_u32_u24 v113, v25, 36, v92
	v_mul_u32_u24_e32 v25, 36, v25
	v_and_b32_e32 v21, v21, v115
	s_wait_alu 0xf1ff
	v_xor_b32_e32 v27, s15, v27
	ds_load_b32 v113, v113 offset:1056
	v_add_nc_u32_e32 v116, v92, v25
	v_and_b32_e32 v21, v21, v26
	; wave barrier
	s_delay_alu instid0(VALU_DEP_1) | instskip(NEXT) | instid1(VALU_DEP_1)
	v_and_b32_e32 v21, v21, v27
	v_mbcnt_lo_u32_b32 v115, v21, 0
	v_cmp_ne_u32_e64 s15, 0, v21
	s_delay_alu instid0(VALU_DEP_2)
	v_cmp_eq_u32_e32 vcc_lo, 0, v115
	s_and_b32 s16, s15, vcc_lo
	s_wait_alu 0xfffe
	s_and_saveexec_b32 s15, s16
	s_cbranch_execz .LBB1774_261
; %bb.260:                              ;   in Loop: Header=BB1774_233 Depth=2
	s_wait_dscnt 0x0
	v_bcnt_u32_b32 v21, v21, v113
	ds_store_b32 v116, v21 offset:1056
.LBB1774_261:                           ;   in Loop: Header=BB1774_233 Depth=2
	s_wait_alu 0xfffe
	s_or_b32 exec_lo, exec_lo, s15
	v_cmp_gt_i16_e32 vcc_lo, 0, v24
	; wave barrier
	s_wait_alu 0xfffd
	v_cndmask_b32_e64 v21, 0x7fff, 0, vcc_lo
	s_delay_alu instid0(VALU_DEP_1) | instskip(NEXT) | instid1(VALU_DEP_1)
	v_xor_b32_e32 v114, v21, v24
	v_cmp_ne_u16_e32 vcc_lo, 0x8000, v114
	s_wait_alu 0xfffd
	v_cndmask_b32_e32 v21, 0x7fff, v114, vcc_lo
	s_delay_alu instid0(VALU_DEP_1) | instskip(NEXT) | instid1(VALU_DEP_1)
	v_and_b32_e32 v21, 0xffff, v21
	v_lshrrev_b32_e32 v21, s23, v21
	s_delay_alu instid0(VALU_DEP_1) | instskip(NEXT) | instid1(VALU_DEP_1)
	v_and_b32_e32 v24, s42, v21
	v_and_b32_e32 v21, 1, v24
	v_lshlrev_b32_e32 v25, 30, v24
	v_lshlrev_b32_e32 v26, 29, v24
	;; [unrolled: 1-line block ×4, first 2 shown]
	v_add_co_u32 v21, s15, v21, -1
	s_wait_alu 0xf1ff
	v_cndmask_b32_e64 v117, 0, 1, s15
	v_not_b32_e32 v121, v25
	v_cmp_gt_i32_e64 s15, 0, v25
	v_not_b32_e32 v25, v26
	v_lshlrev_b32_e32 v119, 26, v24
	v_cmp_ne_u32_e32 vcc_lo, 0, v117
	v_ashrrev_i32_e32 v121, 31, v121
	v_lshlrev_b32_e32 v120, 25, v24
	v_ashrrev_i32_e32 v25, 31, v25
	v_lshlrev_b32_e32 v117, 24, v24
	s_wait_alu 0xfffd
	v_xor_b32_e32 v21, vcc_lo, v21
	v_cmp_gt_i32_e32 vcc_lo, 0, v26
	v_not_b32_e32 v26, v27
	s_wait_alu 0xf1ff
	v_xor_b32_e32 v121, s15, v121
	v_cmp_gt_i32_e64 s15, 0, v27
	v_and_b32_e32 v21, exec_lo, v21
	v_not_b32_e32 v27, v118
	v_ashrrev_i32_e32 v26, 31, v26
	s_wait_alu 0xfffd
	v_xor_b32_e32 v25, vcc_lo, v25
	v_cmp_gt_i32_e32 vcc_lo, 0, v118
	v_and_b32_e32 v21, v21, v121
	v_not_b32_e32 v118, v119
	v_ashrrev_i32_e32 v27, 31, v27
	s_wait_alu 0xf1ff
	v_xor_b32_e32 v26, s15, v26
	v_cmp_gt_i32_e64 s15, 0, v119
	v_and_b32_e32 v21, v21, v25
	v_not_b32_e32 v25, v120
	v_ashrrev_i32_e32 v118, 31, v118
	s_wait_alu 0xfffd
	v_xor_b32_e32 v27, vcc_lo, v27
	v_cmp_gt_i32_e32 vcc_lo, 0, v120
	v_and_b32_e32 v21, v21, v26
	v_not_b32_e32 v26, v117
	v_ashrrev_i32_e32 v25, 31, v25
	s_wait_alu 0xf1ff
	v_xor_b32_e32 v118, s15, v118
	v_cmp_gt_i32_e64 s15, 0, v117
	v_and_b32_e32 v21, v21, v27
	v_ashrrev_i32_e32 v26, 31, v26
	s_wait_alu 0xfffd
	v_xor_b32_e32 v25, vcc_lo, v25
	v_mad_u32_u24 v27, v24, 36, v92
	v_mul_u32_u24_e32 v24, 36, v24
	v_and_b32_e32 v21, v21, v118
	s_wait_alu 0xf1ff
	v_xor_b32_e32 v26, s15, v26
	ds_load_b32 v117, v27 offset:1056
	v_add_nc_u32_e32 v120, v92, v24
	v_and_b32_e32 v21, v21, v25
	; wave barrier
	s_delay_alu instid0(VALU_DEP_1) | instskip(NEXT) | instid1(VALU_DEP_1)
	v_and_b32_e32 v21, v21, v26
	v_mbcnt_lo_u32_b32 v119, v21, 0
	v_cmp_ne_u32_e64 s15, 0, v21
	s_delay_alu instid0(VALU_DEP_2)
	v_cmp_eq_u32_e32 vcc_lo, 0, v119
	s_and_b32 s16, s15, vcc_lo
	s_wait_alu 0xfffe
	s_and_saveexec_b32 s15, s16
	s_cbranch_execz .LBB1774_263
; %bb.262:                              ;   in Loop: Header=BB1774_233 Depth=2
	s_wait_dscnt 0x0
	v_bcnt_u32_b32 v21, v21, v117
	ds_store_b32 v120, v21 offset:1056
.LBB1774_263:                           ;   in Loop: Header=BB1774_233 Depth=2
	s_wait_alu 0xfffe
	s_or_b32 exec_lo, exec_lo, s15
	v_cmp_gt_i16_e32 vcc_lo, 0, v23
	; wave barrier
	s_wait_alu 0xfffd
	v_cndmask_b32_e64 v21, 0x7fff, 0, vcc_lo
	s_delay_alu instid0(VALU_DEP_1) | instskip(NEXT) | instid1(VALU_DEP_1)
	v_xor_b32_e32 v118, v21, v23
	v_cmp_ne_u16_e32 vcc_lo, 0x8000, v118
	s_wait_alu 0xfffd
	v_cndmask_b32_e32 v21, 0x7fff, v118, vcc_lo
	s_delay_alu instid0(VALU_DEP_1) | instskip(NEXT) | instid1(VALU_DEP_1)
	v_and_b32_e32 v21, 0xffff, v21
	v_lshrrev_b32_e32 v21, s23, v21
	s_delay_alu instid0(VALU_DEP_1) | instskip(NEXT) | instid1(VALU_DEP_1)
	v_and_b32_e32 v23, s42, v21
	v_and_b32_e32 v21, 1, v23
	v_lshlrev_b32_e32 v24, 30, v23
	v_lshlrev_b32_e32 v25, 29, v23
	;; [unrolled: 1-line block ×4, first 2 shown]
	v_add_co_u32 v21, s15, v21, -1
	s_wait_alu 0xf1ff
	v_cndmask_b32_e64 v27, 0, 1, s15
	v_not_b32_e32 v124, v24
	v_cmp_gt_i32_e64 s15, 0, v24
	v_not_b32_e32 v24, v25
	v_lshlrev_b32_e32 v122, 26, v23
	v_cmp_ne_u32_e32 vcc_lo, 0, v27
	v_ashrrev_i32_e32 v124, 31, v124
	v_lshlrev_b32_e32 v123, 25, v23
	v_ashrrev_i32_e32 v24, 31, v24
	v_lshlrev_b32_e32 v27, 24, v23
	s_wait_alu 0xfffd
	v_xor_b32_e32 v21, vcc_lo, v21
	v_cmp_gt_i32_e32 vcc_lo, 0, v25
	v_not_b32_e32 v25, v26
	s_wait_alu 0xf1ff
	v_xor_b32_e32 v124, s15, v124
	v_cmp_gt_i32_e64 s15, 0, v26
	v_and_b32_e32 v21, exec_lo, v21
	v_not_b32_e32 v26, v121
	v_ashrrev_i32_e32 v25, 31, v25
	s_wait_alu 0xfffd
	v_xor_b32_e32 v24, vcc_lo, v24
	v_cmp_gt_i32_e32 vcc_lo, 0, v121
	v_and_b32_e32 v21, v21, v124
	v_not_b32_e32 v121, v122
	v_ashrrev_i32_e32 v26, 31, v26
	s_wait_alu 0xf1ff
	v_xor_b32_e32 v25, s15, v25
	v_cmp_gt_i32_e64 s15, 0, v122
	v_and_b32_e32 v21, v21, v24
	v_not_b32_e32 v24, v123
	v_ashrrev_i32_e32 v121, 31, v121
	s_wait_alu 0xfffd
	v_xor_b32_e32 v26, vcc_lo, v26
	v_cmp_gt_i32_e32 vcc_lo, 0, v123
	v_and_b32_e32 v21, v21, v25
	v_not_b32_e32 v25, v27
	v_ashrrev_i32_e32 v24, 31, v24
	s_wait_alu 0xf1ff
	v_xor_b32_e32 v121, s15, v121
	v_cmp_gt_i32_e64 s15, 0, v27
	v_and_b32_e32 v21, v21, v26
	v_ashrrev_i32_e32 v25, 31, v25
	s_wait_alu 0xfffd
	v_xor_b32_e32 v24, vcc_lo, v24
	v_mad_u32_u24 v26, v23, 36, v92
	v_mul_u32_u24_e32 v23, 36, v23
	v_and_b32_e32 v21, v21, v121
	s_wait_alu 0xf1ff
	v_xor_b32_e32 v25, s15, v25
	ds_load_b32 v121, v26 offset:1056
	v_add_nc_u32_e32 v124, v92, v23
	v_and_b32_e32 v21, v21, v24
	; wave barrier
	s_delay_alu instid0(VALU_DEP_1) | instskip(NEXT) | instid1(VALU_DEP_1)
	v_and_b32_e32 v21, v21, v25
	v_mbcnt_lo_u32_b32 v123, v21, 0
	v_cmp_ne_u32_e64 s15, 0, v21
	s_delay_alu instid0(VALU_DEP_2)
	v_cmp_eq_u32_e32 vcc_lo, 0, v123
	s_and_b32 s16, s15, vcc_lo
	s_wait_alu 0xfffe
	s_and_saveexec_b32 s15, s16
	s_cbranch_execz .LBB1774_265
; %bb.264:                              ;   in Loop: Header=BB1774_233 Depth=2
	s_wait_dscnt 0x0
	v_bcnt_u32_b32 v21, v21, v121
	ds_store_b32 v124, v21 offset:1056
.LBB1774_265:                           ;   in Loop: Header=BB1774_233 Depth=2
	s_wait_alu 0xfffe
	s_or_b32 exec_lo, exec_lo, s15
	v_cmp_gt_i16_e32 vcc_lo, 0, v22
	; wave barrier
	s_wait_alu 0xfffd
	v_cndmask_b32_e64 v21, 0x7fff, 0, vcc_lo
	s_delay_alu instid0(VALU_DEP_1) | instskip(NEXT) | instid1(VALU_DEP_1)
	v_xor_b32_e32 v122, v21, v22
	v_cmp_ne_u16_e32 vcc_lo, 0x8000, v122
	s_wait_alu 0xfffd
	v_cndmask_b32_e32 v21, 0x7fff, v122, vcc_lo
	s_delay_alu instid0(VALU_DEP_1) | instskip(NEXT) | instid1(VALU_DEP_1)
	v_and_b32_e32 v21, 0xffff, v21
	v_lshrrev_b32_e32 v21, s23, v21
	s_delay_alu instid0(VALU_DEP_1) | instskip(NEXT) | instid1(VALU_DEP_1)
	v_and_b32_e32 v22, s42, v21
	v_and_b32_e32 v21, 1, v22
	v_lshlrev_b32_e32 v23, 30, v22
	v_lshlrev_b32_e32 v24, 29, v22
	;; [unrolled: 1-line block ×4, first 2 shown]
	v_add_co_u32 v21, s15, v21, -1
	s_wait_alu 0xf1ff
	v_cndmask_b32_e64 v26, 0, 1, s15
	v_not_b32_e32 v127, v23
	v_cmp_gt_i32_e64 s15, 0, v23
	v_not_b32_e32 v23, v24
	v_lshlrev_b32_e32 v125, 26, v22
	v_cmp_ne_u32_e32 vcc_lo, 0, v26
	v_ashrrev_i32_e32 v127, 31, v127
	v_lshlrev_b32_e32 v126, 25, v22
	v_ashrrev_i32_e32 v23, 31, v23
	v_lshlrev_b32_e32 v26, 24, v22
	s_wait_alu 0xfffd
	v_xor_b32_e32 v21, vcc_lo, v21
	v_cmp_gt_i32_e32 vcc_lo, 0, v24
	v_not_b32_e32 v24, v25
	s_wait_alu 0xf1ff
	v_xor_b32_e32 v127, s15, v127
	v_cmp_gt_i32_e64 s15, 0, v25
	v_and_b32_e32 v21, exec_lo, v21
	v_not_b32_e32 v25, v27
	v_ashrrev_i32_e32 v24, 31, v24
	s_wait_alu 0xfffd
	v_xor_b32_e32 v23, vcc_lo, v23
	v_cmp_gt_i32_e32 vcc_lo, 0, v27
	v_and_b32_e32 v21, v21, v127
	v_not_b32_e32 v27, v125
	v_ashrrev_i32_e32 v25, 31, v25
	s_wait_alu 0xf1ff
	v_xor_b32_e32 v24, s15, v24
	v_cmp_gt_i32_e64 s15, 0, v125
	v_and_b32_e32 v21, v21, v23
	v_not_b32_e32 v23, v126
	v_ashrrev_i32_e32 v27, 31, v27
	s_wait_alu 0xfffd
	v_xor_b32_e32 v25, vcc_lo, v25
	v_cmp_gt_i32_e32 vcc_lo, 0, v126
	v_and_b32_e32 v21, v21, v24
	v_not_b32_e32 v24, v26
	v_ashrrev_i32_e32 v23, 31, v23
	s_wait_alu 0xf1ff
	v_xor_b32_e32 v27, s15, v27
	v_cmp_gt_i32_e64 s15, 0, v26
	v_and_b32_e32 v21, v21, v25
	v_ashrrev_i32_e32 v24, 31, v24
	s_wait_alu 0xfffd
	v_xor_b32_e32 v23, vcc_lo, v23
	v_mad_u32_u24 v25, v22, 36, v92
	v_mul_u32_u24_e32 v22, 36, v22
	v_and_b32_e32 v21, v21, v27
	s_wait_alu 0xf1ff
	v_xor_b32_e32 v24, s15, v24
	ds_load_b32 v125, v25 offset:1056
	v_add_nc_u32_e32 v128, v92, v22
	v_and_b32_e32 v21, v21, v23
	; wave barrier
	s_delay_alu instid0(VALU_DEP_1) | instskip(NEXT) | instid1(VALU_DEP_1)
	v_and_b32_e32 v21, v21, v24
	v_mbcnt_lo_u32_b32 v126, v21, 0
	v_cmp_ne_u32_e64 s15, 0, v21
	s_delay_alu instid0(VALU_DEP_2)
	v_cmp_eq_u32_e32 vcc_lo, 0, v126
	s_and_b32 s16, s15, vcc_lo
	s_wait_alu 0xfffe
	s_and_saveexec_b32 s15, s16
	s_cbranch_execz .LBB1774_267
; %bb.266:                              ;   in Loop: Header=BB1774_233 Depth=2
	s_wait_dscnt 0x0
	v_bcnt_u32_b32 v21, v21, v125
	ds_store_b32 v128, v21 offset:1056
.LBB1774_267:                           ;   in Loop: Header=BB1774_233 Depth=2
	s_wait_alu 0xfffe
	s_or_b32 exec_lo, exec_lo, s15
	v_cmp_gt_i16_e32 vcc_lo, 0, v20
	; wave barrier
	s_wait_alu 0xfffd
	v_cndmask_b32_e64 v21, 0x7fff, 0, vcc_lo
	s_delay_alu instid0(VALU_DEP_1) | instskip(NEXT) | instid1(VALU_DEP_1)
	v_xor_b32_e32 v127, v21, v20
	v_cmp_ne_u16_e32 vcc_lo, 0x8000, v127
	s_wait_alu 0xfffd
	v_cndmask_b32_e32 v20, 0x7fff, v127, vcc_lo
	s_delay_alu instid0(VALU_DEP_1) | instskip(NEXT) | instid1(VALU_DEP_1)
	v_and_b32_e32 v20, 0xffff, v20
	v_lshrrev_b32_e32 v20, s23, v20
	s_delay_alu instid0(VALU_DEP_1) | instskip(NEXT) | instid1(VALU_DEP_1)
	v_and_b32_e32 v21, s42, v20
	v_and_b32_e32 v20, 1, v21
	v_lshlrev_b32_e32 v22, 30, v21
	v_lshlrev_b32_e32 v23, 29, v21
	;; [unrolled: 1-line block ×4, first 2 shown]
	v_add_co_u32 v20, s15, v20, -1
	s_wait_alu 0xf1ff
	v_cndmask_b32_e64 v25, 0, 1, s15
	v_not_b32_e32 v130, v22
	v_cmp_gt_i32_e64 s15, 0, v22
	v_not_b32_e32 v22, v23
	v_lshlrev_b32_e32 v27, 26, v21
	v_cmp_ne_u32_e32 vcc_lo, 0, v25
	v_ashrrev_i32_e32 v130, 31, v130
	v_lshlrev_b32_e32 v129, 25, v21
	v_ashrrev_i32_e32 v22, 31, v22
	v_lshlrev_b32_e32 v25, 24, v21
	s_wait_alu 0xfffd
	v_xor_b32_e32 v20, vcc_lo, v20
	v_cmp_gt_i32_e32 vcc_lo, 0, v23
	v_not_b32_e32 v23, v24
	s_wait_alu 0xf1ff
	v_xor_b32_e32 v130, s15, v130
	v_cmp_gt_i32_e64 s15, 0, v24
	v_and_b32_e32 v20, exec_lo, v20
	v_not_b32_e32 v24, v26
	v_ashrrev_i32_e32 v23, 31, v23
	s_wait_alu 0xfffd
	v_xor_b32_e32 v22, vcc_lo, v22
	v_cmp_gt_i32_e32 vcc_lo, 0, v26
	v_and_b32_e32 v20, v20, v130
	v_not_b32_e32 v26, v27
	v_ashrrev_i32_e32 v24, 31, v24
	s_wait_alu 0xf1ff
	v_xor_b32_e32 v23, s15, v23
	v_cmp_gt_i32_e64 s15, 0, v27
	v_and_b32_e32 v20, v20, v22
	v_not_b32_e32 v22, v129
	v_ashrrev_i32_e32 v26, 31, v26
	s_wait_alu 0xfffd
	v_xor_b32_e32 v24, vcc_lo, v24
	v_cmp_gt_i32_e32 vcc_lo, 0, v129
	v_and_b32_e32 v20, v20, v23
	v_not_b32_e32 v23, v25
	v_ashrrev_i32_e32 v22, 31, v22
	s_wait_alu 0xf1ff
	v_xor_b32_e32 v26, s15, v26
	v_cmp_gt_i32_e64 s15, 0, v25
	v_and_b32_e32 v20, v20, v24
	v_ashrrev_i32_e32 v23, 31, v23
	s_wait_alu 0xfffd
	v_xor_b32_e32 v22, vcc_lo, v22
	v_mad_u32_u24 v24, v21, 36, v92
	v_mul_u32_u24_e32 v21, 36, v21
	v_and_b32_e32 v20, v20, v26
	s_wait_alu 0xf1ff
	v_xor_b32_e32 v23, s15, v23
	ds_load_b32 v129, v24 offset:1056
	v_add_nc_u32_e32 v131, v92, v21
	v_and_b32_e32 v20, v20, v22
	; wave barrier
	s_delay_alu instid0(VALU_DEP_1) | instskip(NEXT) | instid1(VALU_DEP_1)
	v_and_b32_e32 v20, v20, v23
	v_mbcnt_lo_u32_b32 v130, v20, 0
	v_cmp_ne_u32_e64 s15, 0, v20
	s_delay_alu instid0(VALU_DEP_2)
	v_cmp_eq_u32_e32 vcc_lo, 0, v130
	s_and_b32 s16, s15, vcc_lo
	s_wait_alu 0xfffe
	s_and_saveexec_b32 s15, s16
	s_cbranch_execz .LBB1774_269
; %bb.268:                              ;   in Loop: Header=BB1774_233 Depth=2
	s_wait_dscnt 0x0
	v_bcnt_u32_b32 v20, v20, v129
	ds_store_b32 v131, v20 offset:1056
.LBB1774_269:                           ;   in Loop: Header=BB1774_233 Depth=2
	s_wait_alu 0xfffe
	s_or_b32 exec_lo, exec_lo, s15
	; wave barrier
	s_wait_loadcnt_dscnt 0x0
	s_barrier_signal -1
	s_barrier_wait -1
	global_inv scope:SCOPE_SE
	ds_load_2addr_b32 v[26:27], v78 offset1:1
	ds_load_2addr_b32 v[24:25], v79 offset1:1
	;; [unrolled: 1-line block ×4, first 2 shown]
	ds_load_b32 v132, v43 offset:1088
	s_wait_dscnt 0x3
	v_add3_u32 v133, v27, v26, v24
	s_wait_dscnt 0x2
	s_delay_alu instid0(VALU_DEP_1) | instskip(SKIP_1) | instid1(VALU_DEP_1)
	v_add3_u32 v133, v133, v25, v22
	s_wait_dscnt 0x1
	v_add3_u32 v133, v133, v23, v20
	s_wait_dscnt 0x0
	s_delay_alu instid0(VALU_DEP_1) | instskip(NEXT) | instid1(VALU_DEP_1)
	v_add3_u32 v132, v133, v21, v132
	v_mov_b32_dpp v133, v132 row_shr:1 row_mask:0xf bank_mask:0xf
	s_delay_alu instid0(VALU_DEP_1) | instskip(NEXT) | instid1(VALU_DEP_1)
	v_cndmask_b32_e64 v133, v133, 0, s0
	v_add_nc_u32_e32 v132, v133, v132
	s_delay_alu instid0(VALU_DEP_1) | instskip(NEXT) | instid1(VALU_DEP_1)
	v_mov_b32_dpp v133, v132 row_shr:2 row_mask:0xf bank_mask:0xf
	v_cndmask_b32_e64 v133, 0, v133, s1
	s_delay_alu instid0(VALU_DEP_1) | instskip(NEXT) | instid1(VALU_DEP_1)
	v_add_nc_u32_e32 v132, v132, v133
	v_mov_b32_dpp v133, v132 row_shr:4 row_mask:0xf bank_mask:0xf
	s_delay_alu instid0(VALU_DEP_1) | instskip(NEXT) | instid1(VALU_DEP_1)
	v_cndmask_b32_e64 v133, 0, v133, s9
	v_add_nc_u32_e32 v132, v132, v133
	s_delay_alu instid0(VALU_DEP_1) | instskip(NEXT) | instid1(VALU_DEP_1)
	v_mov_b32_dpp v133, v132 row_shr:8 row_mask:0xf bank_mask:0xf
	v_cndmask_b32_e64 v133, 0, v133, s10
	s_delay_alu instid0(VALU_DEP_1) | instskip(SKIP_3) | instid1(VALU_DEP_1)
	v_add_nc_u32_e32 v132, v132, v133
	ds_swizzle_b32 v133, v132 offset:swizzle(BROADCAST,32,15)
	s_wait_dscnt 0x0
	v_cndmask_b32_e64 v133, v133, 0, s11
	v_add_nc_u32_e32 v132, v132, v133
	s_and_saveexec_b32 s15, s3
; %bb.270:                              ;   in Loop: Header=BB1774_233 Depth=2
	ds_store_b32 v38, v132 offset:1024
; %bb.271:                              ;   in Loop: Header=BB1774_233 Depth=2
	s_wait_alu 0xfffe
	s_or_b32 exec_lo, exec_lo, s15
	s_wait_loadcnt_dscnt 0x0
	s_barrier_signal -1
	s_barrier_wait -1
	global_inv scope:SCOPE_SE
	s_and_saveexec_b32 s15, s4
	s_cbranch_execz .LBB1774_273
; %bb.272:                              ;   in Loop: Header=BB1774_233 Depth=2
	ds_load_b32 v133, v46 offset:1024
	s_wait_dscnt 0x0
	v_mov_b32_dpp v134, v133 row_shr:1 row_mask:0xf bank_mask:0xf
	s_delay_alu instid0(VALU_DEP_1) | instskip(NEXT) | instid1(VALU_DEP_1)
	v_cndmask_b32_e64 v134, v134, 0, s12
	v_add_nc_u32_e32 v133, v134, v133
	s_delay_alu instid0(VALU_DEP_1) | instskip(NEXT) | instid1(VALU_DEP_1)
	v_mov_b32_dpp v134, v133 row_shr:2 row_mask:0xf bank_mask:0xf
	v_cndmask_b32_e64 v134, 0, v134, s13
	s_delay_alu instid0(VALU_DEP_1) | instskip(NEXT) | instid1(VALU_DEP_1)
	v_add_nc_u32_e32 v133, v133, v134
	v_mov_b32_dpp v134, v133 row_shr:4 row_mask:0xf bank_mask:0xf
	s_delay_alu instid0(VALU_DEP_1) | instskip(NEXT) | instid1(VALU_DEP_1)
	v_cndmask_b32_e64 v134, 0, v134, s14
	v_add_nc_u32_e32 v133, v133, v134
	ds_store_b32 v46, v133 offset:1024
.LBB1774_273:                           ;   in Loop: Header=BB1774_233 Depth=2
	s_wait_alu 0xfffe
	s_or_b32 exec_lo, exec_lo, s15
	v_mov_b32_e32 v133, 0
	s_wait_loadcnt_dscnt 0x0
	s_barrier_signal -1
	s_barrier_wait -1
	global_inv scope:SCOPE_SE
	s_and_saveexec_b32 s15, s5
; %bb.274:                              ;   in Loop: Header=BB1774_233 Depth=2
	ds_load_b32 v133, v38 offset:1020
; %bb.275:                              ;   in Loop: Header=BB1774_233 Depth=2
	s_wait_alu 0xfffe
	s_or_b32 exec_lo, exec_lo, s15
	s_wait_dscnt 0x0
	v_add_nc_u32_e32 v132, v133, v132
	ds_bpermute_b32 v132, v87, v132
	s_wait_dscnt 0x0
	v_cndmask_b32_e64 v132, v132, v133, s8
	s_delay_alu instid0(VALU_DEP_1) | instskip(NEXT) | instid1(VALU_DEP_1)
	v_cndmask_b32_e64 v132, v132, 0, s6
	v_add_nc_u32_e32 v26, v132, v26
	s_delay_alu instid0(VALU_DEP_1) | instskip(NEXT) | instid1(VALU_DEP_1)
	v_add_nc_u32_e32 v27, v26, v27
	v_add_nc_u32_e32 v24, v27, v24
	s_delay_alu instid0(VALU_DEP_1) | instskip(NEXT) | instid1(VALU_DEP_1)
	v_add_nc_u32_e32 v25, v24, v25
	;; [unrolled: 3-line block ×3, first 2 shown]
	v_add_nc_u32_e32 v20, v23, v20
	s_delay_alu instid0(VALU_DEP_1)
	v_add_nc_u32_e32 v21, v20, v21
	ds_store_2addr_b32 v81, v23, v20 offset1:1
	ds_store_2addr_b32 v78, v132, v26 offset1:1
	;; [unrolled: 1-line block ×4, first 2 shown]
	ds_store_b32 v43, v21 offset:1088
	s_wait_loadcnt_dscnt 0x0
	s_barrier_signal -1
	s_barrier_wait -1
	global_inv scope:SCOPE_SE
	ds_load_b32 v23, v104 offset:1056
	ds_load_b32 v24, v108 offset:1056
	;; [unrolled: 1-line block ×9, first 2 shown]
	v_mov_b32_e32 v22, 0x800
	s_and_saveexec_b32 s15, s7
; %bb.276:                              ;   in Loop: Header=BB1774_233 Depth=2
	ds_load_b32 v22, v43 offset:1092
; %bb.277:                              ;   in Loop: Header=BB1774_233 Depth=2
	s_wait_alu 0xfffe
	s_or_b32 exec_lo, exec_lo, s15
	s_wait_loadcnt_dscnt 0x0
	s_barrier_signal -1
	s_barrier_wait -1
	global_inv scope:SCOPE_SE
	s_and_saveexec_b32 s15, s2
	s_cbranch_execz .LBB1774_279
; %bb.278:                              ;   in Loop: Header=BB1774_233 Depth=2
	ds_load_b32 v108, v28
	s_wait_dscnt 0x0
	v_sub_nc_u32_e32 v104, v108, v104
	ds_store_b32 v28, v104
.LBB1774_279:                           ;   in Loop: Header=BB1774_233 Depth=2
	s_wait_alu 0xfffe
	s_or_b32 exec_lo, exec_lo, s15
	v_add_nc_u32_e32 v108, v23, v102
	v_add3_u32 v104, v106, v105, v24
	v_add3_u32 v102, v111, v109, v25
	;; [unrolled: 1-line block ×4, first 2 shown]
	v_lshlrev_b32_e32 v105, 1, v108
	v_lshlrev_b32_e32 v106, 1, v104
	v_add3_u32 v23, v123, v121, v112
	v_lshlrev_b32_e32 v109, 1, v102
	v_add3_u32 v27, v126, v125, v20
	v_add3_u32 v26, v130, v129, v21
	ds_store_b16 v105, v2 offset:1024
	ds_store_b16 v106, v103 offset:1024
	;; [unrolled: 1-line block ×3, first 2 shown]
	v_lshlrev_b32_e32 v2, 1, v25
	v_cmp_lt_u32_e32 vcc_lo, v1, v101
	v_lshlrev_b32_e32 v20, 1, v24
	v_lshlrev_b32_e32 v21, 1, v23
	;; [unrolled: 1-line block ×4, first 2 shown]
	ds_store_b16 v2, v110 offset:1024
	ds_store_b16 v20, v114 offset:1024
	;; [unrolled: 1-line block ×5, first 2 shown]
	s_wait_loadcnt_dscnt 0x0
	s_barrier_signal -1
	s_barrier_wait -1
	global_inv scope:SCOPE_SE
	s_and_saveexec_b32 s16, vcc_lo
	s_cbranch_execnz .LBB1774_316
; %bb.280:                              ;   in Loop: Header=BB1774_233 Depth=2
	s_wait_alu 0xfffe
	s_or_b32 exec_lo, exec_lo, s16
	v_cmp_lt_u32_e64 s15, v29, v101
	s_and_saveexec_b32 s17, s15
	s_cbranch_execnz .LBB1774_317
.LBB1774_281:                           ;   in Loop: Header=BB1774_233 Depth=2
	s_wait_alu 0xfffe
	s_or_b32 exec_lo, exec_lo, s17
	v_cmp_lt_u32_e64 s16, v30, v101
	s_and_saveexec_b32 s18, s16
	s_cbranch_execnz .LBB1774_318
.LBB1774_282:                           ;   in Loop: Header=BB1774_233 Depth=2
	s_wait_alu 0xfffe
	s_or_b32 exec_lo, exec_lo, s18
	v_cmp_lt_u32_e64 s17, v31, v101
	s_and_saveexec_b32 s19, s17
	s_cbranch_execnz .LBB1774_319
.LBB1774_283:                           ;   in Loop: Header=BB1774_233 Depth=2
	s_wait_alu 0xfffe
	s_or_b32 exec_lo, exec_lo, s19
	v_cmp_lt_u32_e64 s18, v34, v101
	s_and_saveexec_b32 s20, s18
	s_cbranch_execnz .LBB1774_320
.LBB1774_284:                           ;   in Loop: Header=BB1774_233 Depth=2
	s_wait_alu 0xfffe
	s_or_b32 exec_lo, exec_lo, s20
	v_cmp_lt_u32_e64 s19, v35, v101
	s_and_saveexec_b32 s21, s19
	s_cbranch_execnz .LBB1774_321
.LBB1774_285:                           ;   in Loop: Header=BB1774_233 Depth=2
	s_wait_alu 0xfffe
	s_or_b32 exec_lo, exec_lo, s21
	v_cmp_lt_u32_e64 s20, v36, v101
	s_and_saveexec_b32 s22, s20
	s_cbranch_execnz .LBB1774_322
.LBB1774_286:                           ;   in Loop: Header=BB1774_233 Depth=2
	s_wait_alu 0xfffe
	s_or_b32 exec_lo, exec_lo, s22
	v_cmp_lt_u32_e64 s21, v37, v101
	s_and_saveexec_b32 s48, s21
	s_cbranch_execz .LBB1774_288
.LBB1774_287:                           ;   in Loop: Header=BB1774_233 Depth=2
	ds_load_u16 v103, v47 offset:4608
	s_wait_dscnt 0x0
	v_cmp_ne_u16_e64 s22, 0x8000, v103
	s_wait_alu 0xf1ff
	s_delay_alu instid0(VALU_DEP_1) | instskip(SKIP_1) | instid1(VALU_DEP_2)
	v_cndmask_b32_e64 v2, 0x7fff, v103, s22
	v_cmp_gt_i16_e64 s22, 0, v103
	v_and_b32_e32 v2, 0xffff, v2
	s_wait_alu 0xf1ff
	s_delay_alu instid0(VALU_DEP_2) | instskip(NEXT) | instid1(VALU_DEP_2)
	v_cndmask_b32_e64 v105, 0x7fff, 0, s22
	v_lshrrev_b32_e32 v2, s23, v2
	s_delay_alu instid0(VALU_DEP_1) | instskip(NEXT) | instid1(VALU_DEP_1)
	v_and_b32_e32 v2, s42, v2
	v_lshlrev_b32_e32 v2, 2, v2
	ds_load_b32 v2, v2
	s_wait_dscnt 0x0
	v_add_nc_u32_e32 v2, v2, v37
	s_delay_alu instid0(VALU_DEP_1) | instskip(SKIP_1) | instid1(VALU_DEP_2)
	v_lshlrev_b64_e32 v[20:21], 1, v[2:3]
	v_xor_b32_e32 v2, v105, v103
	v_add_co_u32 v20, s22, s40, v20
	s_wait_alu 0xf1ff
	s_delay_alu instid0(VALU_DEP_3)
	v_add_co_ci_u32_e64 v21, null, s41, v21, s22
	global_store_b16 v[20:21], v2, off
.LBB1774_288:                           ;   in Loop: Header=BB1774_233 Depth=2
	s_wait_alu 0xfffe
	s_or_b32 exec_lo, exec_lo, s48
	s_lshl_b64 s[48:49], s[30:31], 3
	s_wait_alu 0xfffe
	v_add_co_u32 v20, s22, v88, s48
	s_wait_alu 0xf1ff
	v_add_co_ci_u32_e64 v21, null, s49, v89, s22
	v_cmp_lt_u32_e64 s22, v66, v101
	s_and_saveexec_b32 s30, s22
	s_wait_alu 0xfffe
	s_xor_b32 s22, exec_lo, s30
	s_cbranch_execnz .LBB1774_323
; %bb.289:                              ;   in Loop: Header=BB1774_233 Depth=2
	s_wait_alu 0xfffe
	s_or_b32 exec_lo, exec_lo, s22
	s_delay_alu instid0(SALU_CYCLE_1)
	s_mov_b32 s30, exec_lo
	v_cmpx_lt_u32_e64 v70, v101
	s_cbranch_execnz .LBB1774_324
.LBB1774_290:                           ;   in Loop: Header=BB1774_233 Depth=2
	s_wait_alu 0xfffe
	s_or_b32 exec_lo, exec_lo, s30
	s_delay_alu instid0(SALU_CYCLE_1)
	s_mov_b32 s30, exec_lo
	v_cmpx_lt_u32_e64 v71, v101
	s_cbranch_execnz .LBB1774_325
.LBB1774_291:                           ;   in Loop: Header=BB1774_233 Depth=2
	s_wait_alu 0xfffe
	s_or_b32 exec_lo, exec_lo, s30
	s_delay_alu instid0(SALU_CYCLE_1)
	s_mov_b32 s30, exec_lo
	v_cmpx_lt_u32_e64 v72, v101
	s_cbranch_execnz .LBB1774_326
.LBB1774_292:                           ;   in Loop: Header=BB1774_233 Depth=2
	s_wait_alu 0xfffe
	s_or_b32 exec_lo, exec_lo, s30
	s_delay_alu instid0(SALU_CYCLE_1)
	s_mov_b32 s30, exec_lo
	v_cmpx_lt_u32_e64 v73, v101
	s_cbranch_execnz .LBB1774_327
.LBB1774_293:                           ;   in Loop: Header=BB1774_233 Depth=2
	s_wait_alu 0xfffe
	s_or_b32 exec_lo, exec_lo, s30
	s_delay_alu instid0(SALU_CYCLE_1)
	s_mov_b32 s30, exec_lo
	v_cmpx_lt_u32_e64 v74, v101
	s_cbranch_execnz .LBB1774_328
.LBB1774_294:                           ;   in Loop: Header=BB1774_233 Depth=2
	s_wait_alu 0xfffe
	s_or_b32 exec_lo, exec_lo, s30
	s_delay_alu instid0(SALU_CYCLE_1)
	s_mov_b32 s30, exec_lo
	v_cmpx_lt_u32_e64 v75, v101
	s_cbranch_execnz .LBB1774_329
.LBB1774_295:                           ;   in Loop: Header=BB1774_233 Depth=2
	s_wait_alu 0xfffe
	s_or_b32 exec_lo, exec_lo, s30
	s_delay_alu instid0(SALU_CYCLE_1)
	s_mov_b32 s30, exec_lo
	v_cmpx_lt_u32_e64 v76, v101
	s_cbranch_execnz .LBB1774_330
.LBB1774_296:                           ;   in Loop: Header=BB1774_233 Depth=2
	s_wait_alu 0xfffe
	s_or_b32 exec_lo, exec_lo, s30
	s_and_saveexec_b32 s30, vcc_lo
	s_cbranch_execnz .LBB1774_331
.LBB1774_297:                           ;   in Loop: Header=BB1774_233 Depth=2
	s_wait_alu 0xfffe
	s_or_b32 exec_lo, exec_lo, s30
	s_and_saveexec_b32 s30, s15
	s_cbranch_execnz .LBB1774_332
.LBB1774_298:                           ;   in Loop: Header=BB1774_233 Depth=2
	s_wait_alu 0xfffe
	s_or_b32 exec_lo, exec_lo, s30
	s_and_saveexec_b32 s30, s16
	s_cbranch_execnz .LBB1774_333
.LBB1774_299:                           ;   in Loop: Header=BB1774_233 Depth=2
	s_wait_alu 0xfffe
	s_or_b32 exec_lo, exec_lo, s30
	s_and_saveexec_b32 s30, s17
	s_cbranch_execnz .LBB1774_334
.LBB1774_300:                           ;   in Loop: Header=BB1774_233 Depth=2
	s_wait_alu 0xfffe
	s_or_b32 exec_lo, exec_lo, s30
	s_and_saveexec_b32 s30, s18
	s_cbranch_execnz .LBB1774_335
.LBB1774_301:                           ;   in Loop: Header=BB1774_233 Depth=2
	s_wait_alu 0xfffe
	s_or_b32 exec_lo, exec_lo, s30
	s_and_saveexec_b32 s30, s19
	s_cbranch_execnz .LBB1774_336
.LBB1774_302:                           ;   in Loop: Header=BB1774_233 Depth=2
	s_wait_alu 0xfffe
	s_or_b32 exec_lo, exec_lo, s30
	s_and_saveexec_b32 s30, s20
	s_cbranch_execnz .LBB1774_337
.LBB1774_303:                           ;   in Loop: Header=BB1774_233 Depth=2
	s_wait_alu 0xfffe
	s_or_b32 exec_lo, exec_lo, s30
	s_and_saveexec_b32 s30, s21
	s_cbranch_execz .LBB1774_305
.LBB1774_304:                           ;   in Loop: Header=BB1774_233 Depth=2
	ds_load_u16 v2, v47 offset:4608
	s_wait_dscnt 0x0
	v_cmp_ne_u16_e64 s22, 0x8000, v2
	s_wait_alu 0xf1ff
	s_delay_alu instid0(VALU_DEP_1) | instskip(NEXT) | instid1(VALU_DEP_1)
	v_cndmask_b32_e64 v2, 0x7fff, v2, s22
	v_and_b32_e32 v2, 0xffff, v2
	s_delay_alu instid0(VALU_DEP_1) | instskip(NEXT) | instid1(VALU_DEP_1)
	v_lshrrev_b32_e32 v2, s23, v2
	v_and_b32_e32 v93, s42, v2
.LBB1774_305:                           ;   in Loop: Header=BB1774_233 Depth=2
	s_wait_alu 0xfffe
	s_or_b32 exec_lo, exec_lo, s30
	v_lshlrev_b32_e32 v2, 3, v108
	v_lshlrev_b32_e32 v20, 3, v104
	;; [unrolled: 1-line block ×3, first 2 shown]
	s_wait_loadcnt 0x0
	s_wait_storecnt 0x0
	s_barrier_signal -1
	s_barrier_wait -1
	global_inv scope:SCOPE_SE
	ds_store_b64 v2, v[18:19] offset:1024
	ds_store_b64 v20, v[16:17] offset:1024
	ds_store_b64 v21, v[14:15] offset:1024
	v_lshlrev_b32_e32 v2, 3, v25
	v_lshlrev_b32_e32 v20, 3, v24
	;; [unrolled: 1-line block ×5, first 2 shown]
	ds_store_b64 v2, v[12:13] offset:1024
	ds_store_b64 v20, v[10:11] offset:1024
	;; [unrolled: 1-line block ×5, first 2 shown]
	s_wait_loadcnt_dscnt 0x0
	s_barrier_signal -1
	s_barrier_wait -1
	global_inv scope:SCOPE_SE
	s_and_saveexec_b32 s22, vcc_lo
	s_cbranch_execnz .LBB1774_338
; %bb.306:                              ;   in Loop: Header=BB1774_233 Depth=2
	s_wait_alu 0xfffe
	s_or_b32 exec_lo, exec_lo, s22
	s_and_saveexec_b32 s22, s15
	s_cbranch_execnz .LBB1774_339
.LBB1774_307:                           ;   in Loop: Header=BB1774_233 Depth=2
	s_wait_alu 0xfffe
	s_or_b32 exec_lo, exec_lo, s22
	s_and_saveexec_b32 s15, s16
	s_cbranch_execnz .LBB1774_340
.LBB1774_308:                           ;   in Loop: Header=BB1774_233 Depth=2
	s_wait_alu 0xfffe
	s_or_b32 exec_lo, exec_lo, s15
	s_and_saveexec_b32 s15, s17
	s_cbranch_execnz .LBB1774_341
.LBB1774_309:                           ;   in Loop: Header=BB1774_233 Depth=2
	s_wait_alu 0xfffe
	s_or_b32 exec_lo, exec_lo, s15
	s_and_saveexec_b32 s15, s18
	s_cbranch_execnz .LBB1774_342
.LBB1774_310:                           ;   in Loop: Header=BB1774_233 Depth=2
	s_wait_alu 0xfffe
	s_or_b32 exec_lo, exec_lo, s15
	s_and_saveexec_b32 s15, s19
	s_cbranch_execnz .LBB1774_343
.LBB1774_311:                           ;   in Loop: Header=BB1774_233 Depth=2
	s_wait_alu 0xfffe
	s_or_b32 exec_lo, exec_lo, s15
	s_and_saveexec_b32 s15, s20
	s_cbranch_execnz .LBB1774_344
.LBB1774_312:                           ;   in Loop: Header=BB1774_233 Depth=2
	s_wait_alu 0xfffe
	s_or_b32 exec_lo, exec_lo, s15
	s_and_saveexec_b32 s15, s21
	s_cbranch_execz .LBB1774_314
.LBB1774_313:                           ;   in Loop: Header=BB1774_233 Depth=2
	v_lshlrev_b32_e32 v2, 2, v93
	v_add_nc_u32_e32 v20, v47, v48
	ds_load_b32 v2, v2
	ds_load_b64 v[20:21], v20 offset:15360
	s_wait_dscnt 0x1
	v_add_nc_u32_e32 v2, v2, v37
	s_delay_alu instid0(VALU_DEP_1) | instskip(NEXT) | instid1(VALU_DEP_1)
	v_lshlrev_b64_e32 v[23:24], 3, v[2:3]
	v_add_co_u32 v23, vcc_lo, s26, v23
	s_wait_alu 0xfffd
	s_delay_alu instid0(VALU_DEP_2)
	v_add_co_ci_u32_e64 v24, null, s27, v24, vcc_lo
	s_wait_dscnt 0x0
	global_store_b64 v[23:24], v[20:21], off
.LBB1774_314:                           ;   in Loop: Header=BB1774_233 Depth=2
	s_wait_alu 0xfffe
	s_or_b32 exec_lo, exec_lo, s15
	s_wait_loadcnt 0x0
	s_wait_storecnt 0x0
	s_barrier_signal -1
	s_barrier_wait -1
	global_inv scope:SCOPE_SE
	s_and_saveexec_b32 s15, s2
	s_cbranch_execz .LBB1774_232
; %bb.315:                              ;   in Loop: Header=BB1774_233 Depth=2
	ds_load_b32 v2, v28
	s_wait_dscnt 0x0
	v_add_nc_u32_e32 v2, v2, v22
	ds_store_b32 v28, v2
	s_branch .LBB1774_232
.LBB1774_316:                           ;   in Loop: Header=BB1774_233 Depth=2
	ds_load_u16 v103, v47 offset:1024
	s_wait_dscnt 0x0
	v_cmp_ne_u16_e64 s15, 0x8000, v103
	s_wait_alu 0xf1ff
	s_delay_alu instid0(VALU_DEP_1) | instskip(SKIP_1) | instid1(VALU_DEP_2)
	v_cndmask_b32_e64 v2, 0x7fff, v103, s15
	v_cmp_gt_i16_e64 s15, 0, v103
	v_and_b32_e32 v2, 0xffff, v2
	s_wait_alu 0xf1ff
	s_delay_alu instid0(VALU_DEP_2) | instskip(NEXT) | instid1(VALU_DEP_2)
	v_cndmask_b32_e64 v105, 0x7fff, 0, s15
	v_lshrrev_b32_e32 v2, s23, v2
	s_delay_alu instid0(VALU_DEP_1) | instskip(NEXT) | instid1(VALU_DEP_1)
	v_and_b32_e32 v2, s42, v2
	v_lshlrev_b32_e32 v2, 2, v2
	ds_load_b32 v2, v2
	s_wait_dscnt 0x0
	v_add_nc_u32_e32 v2, v2, v1
	s_delay_alu instid0(VALU_DEP_1) | instskip(SKIP_1) | instid1(VALU_DEP_2)
	v_lshlrev_b64_e32 v[20:21], 1, v[2:3]
	v_xor_b32_e32 v2, v105, v103
	v_add_co_u32 v20, s15, s40, v20
	s_wait_alu 0xf1ff
	s_delay_alu instid0(VALU_DEP_3)
	v_add_co_ci_u32_e64 v21, null, s41, v21, s15
	global_store_b16 v[20:21], v2, off
	s_wait_alu 0xfffe
	s_or_b32 exec_lo, exec_lo, s16
	v_cmp_lt_u32_e64 s15, v29, v101
	s_and_saveexec_b32 s17, s15
	s_cbranch_execz .LBB1774_281
.LBB1774_317:                           ;   in Loop: Header=BB1774_233 Depth=2
	ds_load_u16 v103, v47 offset:1536
	s_wait_dscnt 0x0
	v_cmp_ne_u16_e64 s16, 0x8000, v103
	s_wait_alu 0xf1ff
	s_delay_alu instid0(VALU_DEP_1) | instskip(SKIP_1) | instid1(VALU_DEP_2)
	v_cndmask_b32_e64 v2, 0x7fff, v103, s16
	v_cmp_gt_i16_e64 s16, 0, v103
	v_and_b32_e32 v2, 0xffff, v2
	s_wait_alu 0xf1ff
	s_delay_alu instid0(VALU_DEP_2) | instskip(NEXT) | instid1(VALU_DEP_2)
	v_cndmask_b32_e64 v105, 0x7fff, 0, s16
	v_lshrrev_b32_e32 v2, s23, v2
	s_delay_alu instid0(VALU_DEP_1) | instskip(NEXT) | instid1(VALU_DEP_1)
	v_and_b32_e32 v2, s42, v2
	v_lshlrev_b32_e32 v2, 2, v2
	ds_load_b32 v2, v2
	s_wait_dscnt 0x0
	v_add_nc_u32_e32 v2, v2, v29
	s_delay_alu instid0(VALU_DEP_1) | instskip(SKIP_1) | instid1(VALU_DEP_2)
	v_lshlrev_b64_e32 v[20:21], 1, v[2:3]
	v_xor_b32_e32 v2, v105, v103
	v_add_co_u32 v20, s16, s40, v20
	s_wait_alu 0xf1ff
	s_delay_alu instid0(VALU_DEP_3)
	v_add_co_ci_u32_e64 v21, null, s41, v21, s16
	global_store_b16 v[20:21], v2, off
	s_wait_alu 0xfffe
	s_or_b32 exec_lo, exec_lo, s17
	v_cmp_lt_u32_e64 s16, v30, v101
	s_and_saveexec_b32 s18, s16
	s_cbranch_execz .LBB1774_282
.LBB1774_318:                           ;   in Loop: Header=BB1774_233 Depth=2
	ds_load_u16 v103, v47 offset:2048
	s_wait_dscnt 0x0
	v_cmp_ne_u16_e64 s17, 0x8000, v103
	s_wait_alu 0xf1ff
	s_delay_alu instid0(VALU_DEP_1) | instskip(SKIP_1) | instid1(VALU_DEP_2)
	v_cndmask_b32_e64 v2, 0x7fff, v103, s17
	v_cmp_gt_i16_e64 s17, 0, v103
	v_and_b32_e32 v2, 0xffff, v2
	s_wait_alu 0xf1ff
	s_delay_alu instid0(VALU_DEP_2) | instskip(NEXT) | instid1(VALU_DEP_2)
	v_cndmask_b32_e64 v105, 0x7fff, 0, s17
	v_lshrrev_b32_e32 v2, s23, v2
	s_delay_alu instid0(VALU_DEP_1) | instskip(NEXT) | instid1(VALU_DEP_1)
	v_and_b32_e32 v2, s42, v2
	v_lshlrev_b32_e32 v2, 2, v2
	ds_load_b32 v2, v2
	s_wait_dscnt 0x0
	v_add_nc_u32_e32 v2, v2, v30
	s_delay_alu instid0(VALU_DEP_1) | instskip(SKIP_1) | instid1(VALU_DEP_2)
	v_lshlrev_b64_e32 v[20:21], 1, v[2:3]
	v_xor_b32_e32 v2, v105, v103
	v_add_co_u32 v20, s17, s40, v20
	s_wait_alu 0xf1ff
	s_delay_alu instid0(VALU_DEP_3)
	v_add_co_ci_u32_e64 v21, null, s41, v21, s17
	global_store_b16 v[20:21], v2, off
	s_wait_alu 0xfffe
	s_or_b32 exec_lo, exec_lo, s18
	v_cmp_lt_u32_e64 s17, v31, v101
	s_and_saveexec_b32 s19, s17
	s_cbranch_execz .LBB1774_283
.LBB1774_319:                           ;   in Loop: Header=BB1774_233 Depth=2
	ds_load_u16 v103, v47 offset:2560
	s_wait_dscnt 0x0
	v_cmp_ne_u16_e64 s18, 0x8000, v103
	s_wait_alu 0xf1ff
	s_delay_alu instid0(VALU_DEP_1) | instskip(SKIP_1) | instid1(VALU_DEP_2)
	v_cndmask_b32_e64 v2, 0x7fff, v103, s18
	v_cmp_gt_i16_e64 s18, 0, v103
	v_and_b32_e32 v2, 0xffff, v2
	s_wait_alu 0xf1ff
	s_delay_alu instid0(VALU_DEP_2) | instskip(NEXT) | instid1(VALU_DEP_2)
	v_cndmask_b32_e64 v105, 0x7fff, 0, s18
	v_lshrrev_b32_e32 v2, s23, v2
	s_delay_alu instid0(VALU_DEP_1) | instskip(NEXT) | instid1(VALU_DEP_1)
	v_and_b32_e32 v2, s42, v2
	v_lshlrev_b32_e32 v2, 2, v2
	ds_load_b32 v2, v2
	s_wait_dscnt 0x0
	v_add_nc_u32_e32 v2, v2, v31
	s_delay_alu instid0(VALU_DEP_1) | instskip(SKIP_1) | instid1(VALU_DEP_2)
	v_lshlrev_b64_e32 v[20:21], 1, v[2:3]
	v_xor_b32_e32 v2, v105, v103
	v_add_co_u32 v20, s18, s40, v20
	s_wait_alu 0xf1ff
	s_delay_alu instid0(VALU_DEP_3)
	v_add_co_ci_u32_e64 v21, null, s41, v21, s18
	global_store_b16 v[20:21], v2, off
	s_wait_alu 0xfffe
	s_or_b32 exec_lo, exec_lo, s19
	v_cmp_lt_u32_e64 s18, v34, v101
	s_and_saveexec_b32 s20, s18
	s_cbranch_execz .LBB1774_284
.LBB1774_320:                           ;   in Loop: Header=BB1774_233 Depth=2
	ds_load_u16 v103, v47 offset:3072
	s_wait_dscnt 0x0
	v_cmp_ne_u16_e64 s19, 0x8000, v103
	s_wait_alu 0xf1ff
	s_delay_alu instid0(VALU_DEP_1) | instskip(SKIP_1) | instid1(VALU_DEP_2)
	v_cndmask_b32_e64 v2, 0x7fff, v103, s19
	v_cmp_gt_i16_e64 s19, 0, v103
	v_and_b32_e32 v2, 0xffff, v2
	s_wait_alu 0xf1ff
	s_delay_alu instid0(VALU_DEP_2) | instskip(NEXT) | instid1(VALU_DEP_2)
	v_cndmask_b32_e64 v105, 0x7fff, 0, s19
	v_lshrrev_b32_e32 v2, s23, v2
	s_delay_alu instid0(VALU_DEP_1) | instskip(NEXT) | instid1(VALU_DEP_1)
	v_and_b32_e32 v2, s42, v2
	v_lshlrev_b32_e32 v2, 2, v2
	ds_load_b32 v2, v2
	s_wait_dscnt 0x0
	v_add_nc_u32_e32 v2, v2, v34
	s_delay_alu instid0(VALU_DEP_1) | instskip(SKIP_1) | instid1(VALU_DEP_2)
	v_lshlrev_b64_e32 v[20:21], 1, v[2:3]
	v_xor_b32_e32 v2, v105, v103
	v_add_co_u32 v20, s19, s40, v20
	s_wait_alu 0xf1ff
	s_delay_alu instid0(VALU_DEP_3)
	v_add_co_ci_u32_e64 v21, null, s41, v21, s19
	global_store_b16 v[20:21], v2, off
	s_wait_alu 0xfffe
	s_or_b32 exec_lo, exec_lo, s20
	v_cmp_lt_u32_e64 s19, v35, v101
	s_and_saveexec_b32 s21, s19
	s_cbranch_execz .LBB1774_285
.LBB1774_321:                           ;   in Loop: Header=BB1774_233 Depth=2
	ds_load_u16 v103, v47 offset:3584
	s_wait_dscnt 0x0
	v_cmp_ne_u16_e64 s20, 0x8000, v103
	s_wait_alu 0xf1ff
	s_delay_alu instid0(VALU_DEP_1) | instskip(SKIP_1) | instid1(VALU_DEP_2)
	v_cndmask_b32_e64 v2, 0x7fff, v103, s20
	v_cmp_gt_i16_e64 s20, 0, v103
	v_and_b32_e32 v2, 0xffff, v2
	s_wait_alu 0xf1ff
	s_delay_alu instid0(VALU_DEP_2) | instskip(NEXT) | instid1(VALU_DEP_2)
	v_cndmask_b32_e64 v105, 0x7fff, 0, s20
	v_lshrrev_b32_e32 v2, s23, v2
	s_delay_alu instid0(VALU_DEP_1) | instskip(NEXT) | instid1(VALU_DEP_1)
	v_and_b32_e32 v2, s42, v2
	v_lshlrev_b32_e32 v2, 2, v2
	ds_load_b32 v2, v2
	s_wait_dscnt 0x0
	v_add_nc_u32_e32 v2, v2, v35
	s_delay_alu instid0(VALU_DEP_1) | instskip(SKIP_1) | instid1(VALU_DEP_2)
	v_lshlrev_b64_e32 v[20:21], 1, v[2:3]
	v_xor_b32_e32 v2, v105, v103
	v_add_co_u32 v20, s20, s40, v20
	s_wait_alu 0xf1ff
	s_delay_alu instid0(VALU_DEP_3)
	v_add_co_ci_u32_e64 v21, null, s41, v21, s20
	global_store_b16 v[20:21], v2, off
	s_wait_alu 0xfffe
	s_or_b32 exec_lo, exec_lo, s21
	v_cmp_lt_u32_e64 s20, v36, v101
	s_and_saveexec_b32 s22, s20
	s_cbranch_execz .LBB1774_286
.LBB1774_322:                           ;   in Loop: Header=BB1774_233 Depth=2
	ds_load_u16 v103, v47 offset:4096
	s_wait_dscnt 0x0
	v_cmp_ne_u16_e64 s21, 0x8000, v103
	s_wait_alu 0xf1ff
	s_delay_alu instid0(VALU_DEP_1) | instskip(SKIP_1) | instid1(VALU_DEP_2)
	v_cndmask_b32_e64 v2, 0x7fff, v103, s21
	v_cmp_gt_i16_e64 s21, 0, v103
	v_and_b32_e32 v2, 0xffff, v2
	s_wait_alu 0xf1ff
	s_delay_alu instid0(VALU_DEP_2) | instskip(NEXT) | instid1(VALU_DEP_2)
	v_cndmask_b32_e64 v105, 0x7fff, 0, s21
	v_lshrrev_b32_e32 v2, s23, v2
	s_delay_alu instid0(VALU_DEP_1) | instskip(NEXT) | instid1(VALU_DEP_1)
	v_and_b32_e32 v2, s42, v2
	v_lshlrev_b32_e32 v2, 2, v2
	ds_load_b32 v2, v2
	s_wait_dscnt 0x0
	v_add_nc_u32_e32 v2, v2, v36
	s_delay_alu instid0(VALU_DEP_1) | instskip(SKIP_1) | instid1(VALU_DEP_2)
	v_lshlrev_b64_e32 v[20:21], 1, v[2:3]
	v_xor_b32_e32 v2, v105, v103
	v_add_co_u32 v20, s21, s40, v20
	s_wait_alu 0xf1ff
	s_delay_alu instid0(VALU_DEP_3)
	v_add_co_ci_u32_e64 v21, null, s41, v21, s21
	global_store_b16 v[20:21], v2, off
	s_wait_alu 0xfffe
	s_or_b32 exec_lo, exec_lo, s22
	v_cmp_lt_u32_e64 s21, v37, v101
	s_and_saveexec_b32 s48, s21
	s_cbranch_execnz .LBB1774_287
	s_branch .LBB1774_288
.LBB1774_323:                           ;   in Loop: Header=BB1774_233 Depth=2
	global_load_b64 v[18:19], v[20:21], off
	s_wait_alu 0xfffe
	s_or_b32 exec_lo, exec_lo, s22
	s_delay_alu instid0(SALU_CYCLE_1)
	s_mov_b32 s30, exec_lo
	v_cmpx_lt_u32_e64 v70, v101
	s_cbranch_execz .LBB1774_290
.LBB1774_324:                           ;   in Loop: Header=BB1774_233 Depth=2
	global_load_b64 v[16:17], v[20:21], off offset:256
	s_wait_alu 0xfffe
	s_or_b32 exec_lo, exec_lo, s30
	s_delay_alu instid0(SALU_CYCLE_1)
	s_mov_b32 s30, exec_lo
	v_cmpx_lt_u32_e64 v71, v101
	s_cbranch_execz .LBB1774_291
.LBB1774_325:                           ;   in Loop: Header=BB1774_233 Depth=2
	global_load_b64 v[14:15], v[20:21], off offset:512
	s_wait_alu 0xfffe
	s_or_b32 exec_lo, exec_lo, s30
	s_delay_alu instid0(SALU_CYCLE_1)
	s_mov_b32 s30, exec_lo
	v_cmpx_lt_u32_e64 v72, v101
	s_cbranch_execz .LBB1774_292
.LBB1774_326:                           ;   in Loop: Header=BB1774_233 Depth=2
	global_load_b64 v[12:13], v[20:21], off offset:768
	s_wait_alu 0xfffe
	s_or_b32 exec_lo, exec_lo, s30
	s_delay_alu instid0(SALU_CYCLE_1)
	s_mov_b32 s30, exec_lo
	v_cmpx_lt_u32_e64 v73, v101
	s_cbranch_execz .LBB1774_293
.LBB1774_327:                           ;   in Loop: Header=BB1774_233 Depth=2
	global_load_b64 v[10:11], v[20:21], off offset:1024
	s_wait_alu 0xfffe
	s_or_b32 exec_lo, exec_lo, s30
	s_delay_alu instid0(SALU_CYCLE_1)
	s_mov_b32 s30, exec_lo
	v_cmpx_lt_u32_e64 v74, v101
	s_cbranch_execz .LBB1774_294
.LBB1774_328:                           ;   in Loop: Header=BB1774_233 Depth=2
	global_load_b64 v[8:9], v[20:21], off offset:1280
	s_wait_alu 0xfffe
	s_or_b32 exec_lo, exec_lo, s30
	s_delay_alu instid0(SALU_CYCLE_1)
	s_mov_b32 s30, exec_lo
	v_cmpx_lt_u32_e64 v75, v101
	s_cbranch_execz .LBB1774_295
.LBB1774_329:                           ;   in Loop: Header=BB1774_233 Depth=2
	global_load_b64 v[6:7], v[20:21], off offset:1536
	s_wait_alu 0xfffe
	s_or_b32 exec_lo, exec_lo, s30
	s_delay_alu instid0(SALU_CYCLE_1)
	s_mov_b32 s30, exec_lo
	v_cmpx_lt_u32_e64 v76, v101
	s_cbranch_execz .LBB1774_296
.LBB1774_330:                           ;   in Loop: Header=BB1774_233 Depth=2
	global_load_b64 v[4:5], v[20:21], off offset:1792
	s_wait_alu 0xfffe
	s_or_b32 exec_lo, exec_lo, s30
	s_and_saveexec_b32 s30, vcc_lo
	s_cbranch_execz .LBB1774_297
.LBB1774_331:                           ;   in Loop: Header=BB1774_233 Depth=2
	ds_load_u16 v2, v47 offset:1024
	s_wait_dscnt 0x0
	v_cmp_ne_u16_e64 s22, 0x8000, v2
	s_wait_alu 0xf1ff
	s_delay_alu instid0(VALU_DEP_1) | instskip(NEXT) | instid1(VALU_DEP_1)
	v_cndmask_b32_e64 v2, 0x7fff, v2, s22
	v_and_b32_e32 v2, 0xffff, v2
	s_delay_alu instid0(VALU_DEP_1) | instskip(NEXT) | instid1(VALU_DEP_1)
	v_lshrrev_b32_e32 v2, s23, v2
	v_and_b32_e32 v100, s42, v2
	s_wait_alu 0xfffe
	s_or_b32 exec_lo, exec_lo, s30
	s_and_saveexec_b32 s30, s15
	s_cbranch_execz .LBB1774_298
.LBB1774_332:                           ;   in Loop: Header=BB1774_233 Depth=2
	ds_load_u16 v2, v47 offset:1536
	s_wait_dscnt 0x0
	v_cmp_ne_u16_e64 s22, 0x8000, v2
	s_wait_alu 0xf1ff
	s_delay_alu instid0(VALU_DEP_1) | instskip(NEXT) | instid1(VALU_DEP_1)
	v_cndmask_b32_e64 v2, 0x7fff, v2, s22
	v_and_b32_e32 v2, 0xffff, v2
	s_delay_alu instid0(VALU_DEP_1) | instskip(NEXT) | instid1(VALU_DEP_1)
	v_lshrrev_b32_e32 v2, s23, v2
	v_and_b32_e32 v99, s42, v2
	s_wait_alu 0xfffe
	s_or_b32 exec_lo, exec_lo, s30
	s_and_saveexec_b32 s30, s16
	s_cbranch_execz .LBB1774_299
.LBB1774_333:                           ;   in Loop: Header=BB1774_233 Depth=2
	ds_load_u16 v2, v47 offset:2048
	s_wait_dscnt 0x0
	v_cmp_ne_u16_e64 s22, 0x8000, v2
	s_wait_alu 0xf1ff
	s_delay_alu instid0(VALU_DEP_1) | instskip(NEXT) | instid1(VALU_DEP_1)
	v_cndmask_b32_e64 v2, 0x7fff, v2, s22
	v_and_b32_e32 v2, 0xffff, v2
	s_delay_alu instid0(VALU_DEP_1) | instskip(NEXT) | instid1(VALU_DEP_1)
	v_lshrrev_b32_e32 v2, s23, v2
	v_and_b32_e32 v98, s42, v2
	s_wait_alu 0xfffe
	s_or_b32 exec_lo, exec_lo, s30
	s_and_saveexec_b32 s30, s17
	s_cbranch_execz .LBB1774_300
.LBB1774_334:                           ;   in Loop: Header=BB1774_233 Depth=2
	ds_load_u16 v2, v47 offset:2560
	s_wait_dscnt 0x0
	v_cmp_ne_u16_e64 s22, 0x8000, v2
	s_wait_alu 0xf1ff
	s_delay_alu instid0(VALU_DEP_1) | instskip(NEXT) | instid1(VALU_DEP_1)
	v_cndmask_b32_e64 v2, 0x7fff, v2, s22
	v_and_b32_e32 v2, 0xffff, v2
	s_delay_alu instid0(VALU_DEP_1) | instskip(NEXT) | instid1(VALU_DEP_1)
	v_lshrrev_b32_e32 v2, s23, v2
	v_and_b32_e32 v97, s42, v2
	s_wait_alu 0xfffe
	s_or_b32 exec_lo, exec_lo, s30
	s_and_saveexec_b32 s30, s18
	s_cbranch_execz .LBB1774_301
.LBB1774_335:                           ;   in Loop: Header=BB1774_233 Depth=2
	ds_load_u16 v2, v47 offset:3072
	s_wait_dscnt 0x0
	v_cmp_ne_u16_e64 s22, 0x8000, v2
	s_wait_alu 0xf1ff
	s_delay_alu instid0(VALU_DEP_1) | instskip(NEXT) | instid1(VALU_DEP_1)
	v_cndmask_b32_e64 v2, 0x7fff, v2, s22
	v_and_b32_e32 v2, 0xffff, v2
	s_delay_alu instid0(VALU_DEP_1) | instskip(NEXT) | instid1(VALU_DEP_1)
	v_lshrrev_b32_e32 v2, s23, v2
	v_and_b32_e32 v96, s42, v2
	s_wait_alu 0xfffe
	s_or_b32 exec_lo, exec_lo, s30
	s_and_saveexec_b32 s30, s19
	s_cbranch_execz .LBB1774_302
.LBB1774_336:                           ;   in Loop: Header=BB1774_233 Depth=2
	ds_load_u16 v2, v47 offset:3584
	s_wait_dscnt 0x0
	v_cmp_ne_u16_e64 s22, 0x8000, v2
	s_wait_alu 0xf1ff
	s_delay_alu instid0(VALU_DEP_1) | instskip(NEXT) | instid1(VALU_DEP_1)
	v_cndmask_b32_e64 v2, 0x7fff, v2, s22
	v_and_b32_e32 v2, 0xffff, v2
	s_delay_alu instid0(VALU_DEP_1) | instskip(NEXT) | instid1(VALU_DEP_1)
	v_lshrrev_b32_e32 v2, s23, v2
	v_and_b32_e32 v95, s42, v2
	s_wait_alu 0xfffe
	s_or_b32 exec_lo, exec_lo, s30
	s_and_saveexec_b32 s30, s20
	s_cbranch_execz .LBB1774_303
.LBB1774_337:                           ;   in Loop: Header=BB1774_233 Depth=2
	ds_load_u16 v2, v47 offset:4096
	s_wait_dscnt 0x0
	v_cmp_ne_u16_e64 s22, 0x8000, v2
	s_wait_alu 0xf1ff
	s_delay_alu instid0(VALU_DEP_1) | instskip(NEXT) | instid1(VALU_DEP_1)
	v_cndmask_b32_e64 v2, 0x7fff, v2, s22
	v_and_b32_e32 v2, 0xffff, v2
	s_delay_alu instid0(VALU_DEP_1) | instskip(NEXT) | instid1(VALU_DEP_1)
	v_lshrrev_b32_e32 v2, s23, v2
	v_and_b32_e32 v94, s42, v2
	s_wait_alu 0xfffe
	s_or_b32 exec_lo, exec_lo, s30
	s_and_saveexec_b32 s30, s21
	s_cbranch_execnz .LBB1774_304
	s_branch .LBB1774_305
.LBB1774_338:                           ;   in Loop: Header=BB1774_233 Depth=2
	v_lshlrev_b32_e32 v2, 2, v100
	v_add_nc_u32_e32 v20, v47, v48
	ds_load_b32 v2, v2
	ds_load_b64 v[20:21], v20 offset:1024
	s_wait_dscnt 0x1
	v_add_nc_u32_e32 v2, v2, v1
	s_delay_alu instid0(VALU_DEP_1) | instskip(NEXT) | instid1(VALU_DEP_1)
	v_lshlrev_b64_e32 v[23:24], 3, v[2:3]
	v_add_co_u32 v23, vcc_lo, s26, v23
	s_wait_alu 0xfffd
	s_delay_alu instid0(VALU_DEP_2)
	v_add_co_ci_u32_e64 v24, null, s27, v24, vcc_lo
	s_wait_dscnt 0x0
	global_store_b64 v[23:24], v[20:21], off
	s_wait_alu 0xfffe
	s_or_b32 exec_lo, exec_lo, s22
	s_and_saveexec_b32 s22, s15
	s_cbranch_execz .LBB1774_307
.LBB1774_339:                           ;   in Loop: Header=BB1774_233 Depth=2
	v_lshlrev_b32_e32 v2, 2, v99
	v_add_nc_u32_e32 v20, v47, v48
	ds_load_b32 v2, v2
	ds_load_b64 v[20:21], v20 offset:3072
	s_wait_dscnt 0x1
	v_add_nc_u32_e32 v2, v2, v29
	s_delay_alu instid0(VALU_DEP_1) | instskip(NEXT) | instid1(VALU_DEP_1)
	v_lshlrev_b64_e32 v[23:24], 3, v[2:3]
	v_add_co_u32 v23, vcc_lo, s26, v23
	s_wait_alu 0xfffd
	s_delay_alu instid0(VALU_DEP_2)
	v_add_co_ci_u32_e64 v24, null, s27, v24, vcc_lo
	s_wait_dscnt 0x0
	global_store_b64 v[23:24], v[20:21], off
	s_wait_alu 0xfffe
	s_or_b32 exec_lo, exec_lo, s22
	s_and_saveexec_b32 s15, s16
	s_cbranch_execz .LBB1774_308
.LBB1774_340:                           ;   in Loop: Header=BB1774_233 Depth=2
	v_lshlrev_b32_e32 v2, 2, v98
	v_add_nc_u32_e32 v20, v47, v48
	ds_load_b32 v2, v2
	ds_load_b64 v[20:21], v20 offset:5120
	s_wait_dscnt 0x1
	v_add_nc_u32_e32 v2, v2, v30
	s_delay_alu instid0(VALU_DEP_1) | instskip(NEXT) | instid1(VALU_DEP_1)
	v_lshlrev_b64_e32 v[23:24], 3, v[2:3]
	v_add_co_u32 v23, vcc_lo, s26, v23
	s_wait_alu 0xfffd
	s_delay_alu instid0(VALU_DEP_2)
	v_add_co_ci_u32_e64 v24, null, s27, v24, vcc_lo
	s_wait_dscnt 0x0
	global_store_b64 v[23:24], v[20:21], off
	s_wait_alu 0xfffe
	s_or_b32 exec_lo, exec_lo, s15
	s_and_saveexec_b32 s15, s17
	s_cbranch_execz .LBB1774_309
.LBB1774_341:                           ;   in Loop: Header=BB1774_233 Depth=2
	v_lshlrev_b32_e32 v2, 2, v97
	v_add_nc_u32_e32 v20, v47, v48
	ds_load_b32 v2, v2
	ds_load_b64 v[20:21], v20 offset:7168
	s_wait_dscnt 0x1
	v_add_nc_u32_e32 v2, v2, v31
	s_delay_alu instid0(VALU_DEP_1) | instskip(NEXT) | instid1(VALU_DEP_1)
	v_lshlrev_b64_e32 v[23:24], 3, v[2:3]
	v_add_co_u32 v23, vcc_lo, s26, v23
	s_wait_alu 0xfffd
	s_delay_alu instid0(VALU_DEP_2)
	v_add_co_ci_u32_e64 v24, null, s27, v24, vcc_lo
	s_wait_dscnt 0x0
	global_store_b64 v[23:24], v[20:21], off
	s_wait_alu 0xfffe
	s_or_b32 exec_lo, exec_lo, s15
	s_and_saveexec_b32 s15, s18
	s_cbranch_execz .LBB1774_310
.LBB1774_342:                           ;   in Loop: Header=BB1774_233 Depth=2
	v_lshlrev_b32_e32 v2, 2, v96
	v_add_nc_u32_e32 v20, v47, v48
	ds_load_b32 v2, v2
	ds_load_b64 v[20:21], v20 offset:9216
	s_wait_dscnt 0x1
	v_add_nc_u32_e32 v2, v2, v34
	s_delay_alu instid0(VALU_DEP_1) | instskip(NEXT) | instid1(VALU_DEP_1)
	v_lshlrev_b64_e32 v[23:24], 3, v[2:3]
	v_add_co_u32 v23, vcc_lo, s26, v23
	s_wait_alu 0xfffd
	s_delay_alu instid0(VALU_DEP_2)
	v_add_co_ci_u32_e64 v24, null, s27, v24, vcc_lo
	s_wait_dscnt 0x0
	global_store_b64 v[23:24], v[20:21], off
	s_wait_alu 0xfffe
	s_or_b32 exec_lo, exec_lo, s15
	s_and_saveexec_b32 s15, s19
	s_cbranch_execz .LBB1774_311
.LBB1774_343:                           ;   in Loop: Header=BB1774_233 Depth=2
	v_lshlrev_b32_e32 v2, 2, v95
	v_add_nc_u32_e32 v20, v47, v48
	ds_load_b32 v2, v2
	ds_load_b64 v[20:21], v20 offset:11264
	s_wait_dscnt 0x1
	v_add_nc_u32_e32 v2, v2, v35
	s_delay_alu instid0(VALU_DEP_1) | instskip(NEXT) | instid1(VALU_DEP_1)
	v_lshlrev_b64_e32 v[23:24], 3, v[2:3]
	v_add_co_u32 v23, vcc_lo, s26, v23
	s_wait_alu 0xfffd
	s_delay_alu instid0(VALU_DEP_2)
	v_add_co_ci_u32_e64 v24, null, s27, v24, vcc_lo
	s_wait_dscnt 0x0
	global_store_b64 v[23:24], v[20:21], off
	s_wait_alu 0xfffe
	s_or_b32 exec_lo, exec_lo, s15
	s_and_saveexec_b32 s15, s20
	s_cbranch_execz .LBB1774_312
.LBB1774_344:                           ;   in Loop: Header=BB1774_233 Depth=2
	v_lshlrev_b32_e32 v2, 2, v94
	v_add_nc_u32_e32 v20, v47, v48
	ds_load_b32 v2, v2
	ds_load_b64 v[20:21], v20 offset:13312
	s_wait_dscnt 0x1
	v_add_nc_u32_e32 v2, v2, v36
	s_delay_alu instid0(VALU_DEP_1) | instskip(NEXT) | instid1(VALU_DEP_1)
	v_lshlrev_b64_e32 v[23:24], 3, v[2:3]
	v_add_co_u32 v23, vcc_lo, s26, v23
	s_wait_alu 0xfffd
	s_delay_alu instid0(VALU_DEP_2)
	v_add_co_ci_u32_e64 v24, null, s27, v24, vcc_lo
	s_wait_dscnt 0x0
	global_store_b64 v[23:24], v[20:21], off
	s_wait_alu 0xfffe
	s_or_b32 exec_lo, exec_lo, s15
	s_and_saveexec_b32 s15, s21
	s_cbranch_execnz .LBB1774_313
	s_branch .LBB1774_314
.LBB1774_345:                           ;   in Loop: Header=BB1774_17 Depth=1
	s_wait_loadcnt_dscnt 0x0
	s_barrier_signal -1
	s_barrier_wait -1
.LBB1774_346:                           ;   in Loop: Header=BB1774_17 Depth=1
	s_mov_b32 s0, 0
.LBB1774_347:                           ;   in Loop: Header=BB1774_17 Depth=1
	s_wait_alu 0xfffe
	s_and_not1_b32 vcc_lo, exec_lo, s0
	s_wait_alu 0xfffe
	s_cbranch_vccnz .LBB1774_16
; %bb.348:                              ;   in Loop: Header=BB1774_17 Depth=1
	s_and_b32 vcc_lo, exec_lo, s35
	s_mov_b32 s0, -1
	s_wait_alu 0xfffe
	s_cbranch_vccz .LBB1774_512
; %bb.349:                              ;   in Loop: Header=BB1774_17 Depth=1
	s_mov_b32 s9, s47
	s_mov_b32 s30, s33
	s_barrier_signal -1
	s_barrier_wait -1
	global_inv scope:SCOPE_SE
                                        ; implicit-def: $vgpr2
                                        ; implicit-def: $vgpr4
                                        ; implicit-def: $vgpr5
                                        ; implicit-def: $vgpr6
                                        ; implicit-def: $vgpr7
                                        ; implicit-def: $vgpr8
                                        ; implicit-def: $vgpr9
                                        ; implicit-def: $vgpr10
	s_branch .LBB1774_351
.LBB1774_350:                           ;   in Loop: Header=BB1774_351 Depth=2
	s_wait_alu 0xfffe
	s_or_b32 exec_lo, exec_lo, s0
	s_addk_co_i32 s9, 0xf800
	s_cmp_ge_u32 s10, s34
	s_mov_b32 s30, s10
	s_cbranch_scc1 .LBB1774_387
.LBB1774_351:                           ;   Parent Loop BB1774_17 Depth=1
                                        ; =>  This Inner Loop Header: Depth=2
	s_wait_alu 0xfffe
	s_add_co_i32 s10, s30, 0x800
	s_mov_b32 s0, -1
	s_wait_alu 0xfffe
	s_cmp_gt_u32 s10, s34
                                        ; implicit-def: $vgpr11
                                        ; implicit-def: $vgpr12
                                        ; implicit-def: $vgpr13
                                        ; implicit-def: $vgpr14
                                        ; implicit-def: $vgpr15
                                        ; implicit-def: $vgpr16
                                        ; implicit-def: $vgpr17
                                        ; implicit-def: $vgpr18
	s_cbranch_scc1 .LBB1774_353
; %bb.352:                              ;   in Loop: Header=BB1774_351 Depth=2
	s_lshl_b64 s[0:1], s[30:31], 1
	s_wait_alu 0xfffe
	v_add_co_u32 v18, vcc_lo, v55, s0
	s_wait_alu 0xfffd
	v_add_co_ci_u32_e64 v19, null, s1, v56, vcc_lo
	s_mov_b32 s0, 0
	s_clause 0x7
	global_load_u16 v11, v[18:19], off
	global_load_u16 v12, v[18:19], off offset:512
	global_load_u16 v13, v[18:19], off offset:1024
	;; [unrolled: 1-line block ×7, first 2 shown]
.LBB1774_353:                           ;   in Loop: Header=BB1774_351 Depth=2
	s_wait_alu 0xfffe
	s_and_not1_b32 vcc_lo, exec_lo, s0
	s_movk_i32 s0, 0x800
	s_wait_alu 0xfffe
	s_cbranch_vccnz .LBB1774_364
; %bb.354:                              ;   in Loop: Header=BB1774_351 Depth=2
	s_lshl_b64 s[0:1], s[30:31], 1
	s_mov_b32 s11, exec_lo
	s_wait_alu 0xfffe
	s_add_nc_u64 s[0:1], s[36:37], s[0:1]
	v_cmpx_gt_u32_e64 s9, v1
	s_cbranch_execnz .LBB1774_380
; %bb.355:                              ;   in Loop: Header=BB1774_351 Depth=2
	s_or_b32 exec_lo, exec_lo, s11
	s_delay_alu instid0(SALU_CYCLE_1)
	s_mov_b32 s11, exec_lo
	v_cmpx_gt_u32_e64 s9, v29
	s_cbranch_execnz .LBB1774_381
.LBB1774_356:                           ;   in Loop: Header=BB1774_351 Depth=2
	s_wait_alu 0xfffe
	s_or_b32 exec_lo, exec_lo, s11
	s_delay_alu instid0(SALU_CYCLE_1)
	s_mov_b32 s11, exec_lo
	v_cmpx_gt_u32_e64 s9, v30
	s_cbranch_execnz .LBB1774_382
.LBB1774_357:                           ;   in Loop: Header=BB1774_351 Depth=2
	s_wait_alu 0xfffe
	s_or_b32 exec_lo, exec_lo, s11
	s_delay_alu instid0(SALU_CYCLE_1)
	s_mov_b32 s11, exec_lo
	v_cmpx_gt_u32_e64 s9, v31
	s_cbranch_execnz .LBB1774_383
.LBB1774_358:                           ;   in Loop: Header=BB1774_351 Depth=2
	s_wait_alu 0xfffe
	s_or_b32 exec_lo, exec_lo, s11
	s_delay_alu instid0(SALU_CYCLE_1)
	s_mov_b32 s11, exec_lo
	v_cmpx_gt_u32_e64 s9, v34
	s_cbranch_execnz .LBB1774_384
.LBB1774_359:                           ;   in Loop: Header=BB1774_351 Depth=2
	s_wait_alu 0xfffe
	s_or_b32 exec_lo, exec_lo, s11
	s_delay_alu instid0(SALU_CYCLE_1)
	s_mov_b32 s11, exec_lo
	v_cmpx_gt_u32_e64 s9, v35
	s_cbranch_execnz .LBB1774_385
.LBB1774_360:                           ;   in Loop: Header=BB1774_351 Depth=2
	s_wait_alu 0xfffe
	s_or_b32 exec_lo, exec_lo, s11
	s_delay_alu instid0(SALU_CYCLE_1)
	s_mov_b32 s11, exec_lo
	v_cmpx_gt_u32_e64 s9, v36
	s_cbranch_execnz .LBB1774_386
.LBB1774_361:                           ;   in Loop: Header=BB1774_351 Depth=2
	s_wait_alu 0xfffe
	s_or_b32 exec_lo, exec_lo, s11
	s_delay_alu instid0(SALU_CYCLE_1)
	s_mov_b32 s11, exec_lo
	v_cmpx_gt_u32_e64 s9, v37
	s_cbranch_execz .LBB1774_363
.LBB1774_362:                           ;   in Loop: Header=BB1774_351 Depth=2
	global_load_u16 v2, v82, s[0:1] offset:3584
.LBB1774_363:                           ;   in Loop: Header=BB1774_351 Depth=2
	s_wait_alu 0xfffe
	s_or_b32 exec_lo, exec_lo, s11
	s_wait_loadcnt 0x0
	v_dual_mov_b32 v11, v10 :: v_dual_mov_b32 v12, v9
	v_dual_mov_b32 v13, v8 :: v_dual_mov_b32 v14, v7
	;; [unrolled: 1-line block ×4, first 2 shown]
	s_mov_b32 s0, s9
.LBB1774_364:                           ;   in Loop: Header=BB1774_351 Depth=2
	s_wait_loadcnt 0x0
	s_delay_alu instid0(VALU_DEP_1) | instskip(NEXT) | instid1(VALU_DEP_2)
	v_dual_mov_b32 v2, v18 :: v_dual_mov_b32 v5, v16
	v_dual_mov_b32 v4, v17 :: v_dual_mov_b32 v7, v14
	;; [unrolled: 1-line block ×3, first 2 shown]
	v_mov_b32_e32 v8, v13
	v_mov_b32_e32 v10, v11
	s_mov_b32 s1, exec_lo
	s_wait_alu 0xfffe
	v_cmpx_gt_u32_e64 s0, v1
	s_cbranch_execnz .LBB1774_372
; %bb.365:                              ;   in Loop: Header=BB1774_351 Depth=2
	s_or_b32 exec_lo, exec_lo, s1
	s_delay_alu instid0(SALU_CYCLE_1)
	s_mov_b32 s1, exec_lo
	v_cmpx_gt_u32_e64 s0, v29
	s_cbranch_execnz .LBB1774_373
.LBB1774_366:                           ;   in Loop: Header=BB1774_351 Depth=2
	s_wait_alu 0xfffe
	s_or_b32 exec_lo, exec_lo, s1
	s_delay_alu instid0(SALU_CYCLE_1)
	s_mov_b32 s1, exec_lo
	v_cmpx_gt_u32_e64 s0, v30
	s_cbranch_execnz .LBB1774_374
.LBB1774_367:                           ;   in Loop: Header=BB1774_351 Depth=2
	s_wait_alu 0xfffe
	s_or_b32 exec_lo, exec_lo, s1
	s_delay_alu instid0(SALU_CYCLE_1)
	s_mov_b32 s1, exec_lo
	v_cmpx_gt_u32_e64 s0, v31
	s_cbranch_execnz .LBB1774_375
.LBB1774_368:                           ;   in Loop: Header=BB1774_351 Depth=2
	s_wait_alu 0xfffe
	s_or_b32 exec_lo, exec_lo, s1
	s_delay_alu instid0(SALU_CYCLE_1)
	s_mov_b32 s1, exec_lo
	v_cmpx_gt_u32_e64 s0, v34
	s_cbranch_execnz .LBB1774_376
.LBB1774_369:                           ;   in Loop: Header=BB1774_351 Depth=2
	s_wait_alu 0xfffe
	s_or_b32 exec_lo, exec_lo, s1
	s_delay_alu instid0(SALU_CYCLE_1)
	s_mov_b32 s1, exec_lo
	v_cmpx_gt_u32_e64 s0, v35
	s_cbranch_execnz .LBB1774_377
.LBB1774_370:                           ;   in Loop: Header=BB1774_351 Depth=2
	s_wait_alu 0xfffe
	s_or_b32 exec_lo, exec_lo, s1
	s_delay_alu instid0(SALU_CYCLE_1)
	s_mov_b32 s1, exec_lo
	v_cmpx_gt_u32_e64 s0, v36
	s_cbranch_execnz .LBB1774_378
.LBB1774_371:                           ;   in Loop: Header=BB1774_351 Depth=2
	s_wait_alu 0xfffe
	s_or_b32 exec_lo, exec_lo, s1
	v_cmp_gt_u32_e32 vcc_lo, s0, v37
	s_and_saveexec_b32 s0, vcc_lo
	s_cbranch_execz .LBB1774_350
	s_branch .LBB1774_379
.LBB1774_372:                           ;   in Loop: Header=BB1774_351 Depth=2
	v_cmp_gt_i16_e32 vcc_lo, 0, v10
	s_wait_alu 0xfffd
	v_cndmask_b32_e64 v11, 0x7fff, 0, vcc_lo
	s_delay_alu instid0(VALU_DEP_1) | instskip(NEXT) | instid1(VALU_DEP_1)
	v_xor_b32_e32 v11, v11, v10
	v_cmp_ne_u16_e32 vcc_lo, 0x8000, v11
	s_wait_alu 0xfffd
	v_cndmask_b32_e32 v11, 0x7fff, v11, vcc_lo
	s_delay_alu instid0(VALU_DEP_1) | instskip(NEXT) | instid1(VALU_DEP_1)
	v_and_b32_e32 v11, 0xffff, v11
	v_lshrrev_b32_e32 v11, s45, v11
	s_delay_alu instid0(VALU_DEP_1) | instskip(NEXT) | instid1(VALU_DEP_1)
	v_and_b32_e32 v11, s42, v11
	v_lshl_or_b32 v11, v11, 4, v39
	ds_add_u32 v11, v62
	s_or_b32 exec_lo, exec_lo, s1
	s_delay_alu instid0(SALU_CYCLE_1)
	s_mov_b32 s1, exec_lo
	v_cmpx_gt_u32_e64 s0, v29
	s_cbranch_execz .LBB1774_366
.LBB1774_373:                           ;   in Loop: Header=BB1774_351 Depth=2
	v_cmp_gt_i16_e32 vcc_lo, 0, v9
	s_wait_alu 0xfffd
	v_cndmask_b32_e64 v11, 0x7fff, 0, vcc_lo
	s_delay_alu instid0(VALU_DEP_1) | instskip(NEXT) | instid1(VALU_DEP_1)
	v_xor_b32_e32 v11, v11, v9
	v_cmp_ne_u16_e32 vcc_lo, 0x8000, v11
	s_wait_alu 0xfffd
	v_cndmask_b32_e32 v11, 0x7fff, v11, vcc_lo
	s_delay_alu instid0(VALU_DEP_1) | instskip(NEXT) | instid1(VALU_DEP_1)
	v_and_b32_e32 v11, 0xffff, v11
	v_lshrrev_b32_e32 v11, s45, v11
	s_delay_alu instid0(VALU_DEP_1) | instskip(NEXT) | instid1(VALU_DEP_1)
	v_and_b32_e32 v11, s42, v11
	v_lshl_or_b32 v11, v11, 4, v39
	ds_add_u32 v11, v62
	s_wait_alu 0xfffe
	s_or_b32 exec_lo, exec_lo, s1
	s_delay_alu instid0(SALU_CYCLE_1)
	s_mov_b32 s1, exec_lo
	v_cmpx_gt_u32_e64 s0, v30
	s_cbranch_execz .LBB1774_367
.LBB1774_374:                           ;   in Loop: Header=BB1774_351 Depth=2
	v_cmp_gt_i16_e32 vcc_lo, 0, v8
	s_wait_alu 0xfffd
	v_cndmask_b32_e64 v11, 0x7fff, 0, vcc_lo
	s_delay_alu instid0(VALU_DEP_1) | instskip(NEXT) | instid1(VALU_DEP_1)
	v_xor_b32_e32 v11, v11, v8
	v_cmp_ne_u16_e32 vcc_lo, 0x8000, v11
	s_wait_alu 0xfffd
	v_cndmask_b32_e32 v11, 0x7fff, v11, vcc_lo
	s_delay_alu instid0(VALU_DEP_1) | instskip(NEXT) | instid1(VALU_DEP_1)
	v_and_b32_e32 v11, 0xffff, v11
	v_lshrrev_b32_e32 v11, s45, v11
	s_delay_alu instid0(VALU_DEP_1) | instskip(NEXT) | instid1(VALU_DEP_1)
	v_and_b32_e32 v11, s42, v11
	v_lshl_or_b32 v11, v11, 4, v39
	ds_add_u32 v11, v62
	s_wait_alu 0xfffe
	s_or_b32 exec_lo, exec_lo, s1
	s_delay_alu instid0(SALU_CYCLE_1)
	s_mov_b32 s1, exec_lo
	v_cmpx_gt_u32_e64 s0, v31
	s_cbranch_execz .LBB1774_368
.LBB1774_375:                           ;   in Loop: Header=BB1774_351 Depth=2
	v_cmp_gt_i16_e32 vcc_lo, 0, v7
	s_wait_alu 0xfffd
	v_cndmask_b32_e64 v11, 0x7fff, 0, vcc_lo
	s_delay_alu instid0(VALU_DEP_1) | instskip(NEXT) | instid1(VALU_DEP_1)
	v_xor_b32_e32 v11, v11, v7
	v_cmp_ne_u16_e32 vcc_lo, 0x8000, v11
	s_wait_alu 0xfffd
	v_cndmask_b32_e32 v11, 0x7fff, v11, vcc_lo
	s_delay_alu instid0(VALU_DEP_1) | instskip(NEXT) | instid1(VALU_DEP_1)
	v_and_b32_e32 v11, 0xffff, v11
	v_lshrrev_b32_e32 v11, s45, v11
	s_delay_alu instid0(VALU_DEP_1) | instskip(NEXT) | instid1(VALU_DEP_1)
	v_and_b32_e32 v11, s42, v11
	v_lshl_or_b32 v11, v11, 4, v39
	ds_add_u32 v11, v62
	s_wait_alu 0xfffe
	s_or_b32 exec_lo, exec_lo, s1
	s_delay_alu instid0(SALU_CYCLE_1)
	s_mov_b32 s1, exec_lo
	v_cmpx_gt_u32_e64 s0, v34
	s_cbranch_execz .LBB1774_369
.LBB1774_376:                           ;   in Loop: Header=BB1774_351 Depth=2
	v_cmp_gt_i16_e32 vcc_lo, 0, v6
	s_wait_alu 0xfffd
	v_cndmask_b32_e64 v11, 0x7fff, 0, vcc_lo
	s_delay_alu instid0(VALU_DEP_1) | instskip(NEXT) | instid1(VALU_DEP_1)
	v_xor_b32_e32 v11, v11, v6
	v_cmp_ne_u16_e32 vcc_lo, 0x8000, v11
	s_wait_alu 0xfffd
	v_cndmask_b32_e32 v11, 0x7fff, v11, vcc_lo
	s_delay_alu instid0(VALU_DEP_1) | instskip(NEXT) | instid1(VALU_DEP_1)
	v_and_b32_e32 v11, 0xffff, v11
	v_lshrrev_b32_e32 v11, s45, v11
	s_delay_alu instid0(VALU_DEP_1) | instskip(NEXT) | instid1(VALU_DEP_1)
	v_and_b32_e32 v11, s42, v11
	v_lshl_or_b32 v11, v11, 4, v39
	ds_add_u32 v11, v62
	s_wait_alu 0xfffe
	s_or_b32 exec_lo, exec_lo, s1
	s_delay_alu instid0(SALU_CYCLE_1)
	s_mov_b32 s1, exec_lo
	v_cmpx_gt_u32_e64 s0, v35
	s_cbranch_execz .LBB1774_370
.LBB1774_377:                           ;   in Loop: Header=BB1774_351 Depth=2
	v_cmp_gt_i16_e32 vcc_lo, 0, v5
	s_wait_alu 0xfffd
	v_cndmask_b32_e64 v11, 0x7fff, 0, vcc_lo
	s_delay_alu instid0(VALU_DEP_1) | instskip(NEXT) | instid1(VALU_DEP_1)
	v_xor_b32_e32 v11, v11, v5
	v_cmp_ne_u16_e32 vcc_lo, 0x8000, v11
	s_wait_alu 0xfffd
	v_cndmask_b32_e32 v11, 0x7fff, v11, vcc_lo
	s_delay_alu instid0(VALU_DEP_1) | instskip(NEXT) | instid1(VALU_DEP_1)
	v_and_b32_e32 v11, 0xffff, v11
	v_lshrrev_b32_e32 v11, s45, v11
	s_delay_alu instid0(VALU_DEP_1) | instskip(NEXT) | instid1(VALU_DEP_1)
	v_and_b32_e32 v11, s42, v11
	v_lshl_or_b32 v11, v11, 4, v39
	ds_add_u32 v11, v62
	s_wait_alu 0xfffe
	s_or_b32 exec_lo, exec_lo, s1
	s_delay_alu instid0(SALU_CYCLE_1)
	s_mov_b32 s1, exec_lo
	v_cmpx_gt_u32_e64 s0, v36
	s_cbranch_execz .LBB1774_371
.LBB1774_378:                           ;   in Loop: Header=BB1774_351 Depth=2
	v_cmp_gt_i16_e32 vcc_lo, 0, v4
	s_wait_alu 0xfffd
	v_cndmask_b32_e64 v11, 0x7fff, 0, vcc_lo
	s_delay_alu instid0(VALU_DEP_1) | instskip(NEXT) | instid1(VALU_DEP_1)
	v_xor_b32_e32 v11, v11, v4
	v_cmp_ne_u16_e32 vcc_lo, 0x8000, v11
	s_wait_alu 0xfffd
	v_cndmask_b32_e32 v11, 0x7fff, v11, vcc_lo
	s_delay_alu instid0(VALU_DEP_1) | instskip(NEXT) | instid1(VALU_DEP_1)
	v_and_b32_e32 v11, 0xffff, v11
	v_lshrrev_b32_e32 v11, s45, v11
	s_delay_alu instid0(VALU_DEP_1) | instskip(NEXT) | instid1(VALU_DEP_1)
	v_and_b32_e32 v11, s42, v11
	v_lshl_or_b32 v11, v11, 4, v39
	ds_add_u32 v11, v62
	s_wait_alu 0xfffe
	s_or_b32 exec_lo, exec_lo, s1
	v_cmp_gt_u32_e32 vcc_lo, s0, v37
	s_and_saveexec_b32 s0, vcc_lo
	s_cbranch_execz .LBB1774_350
.LBB1774_379:                           ;   in Loop: Header=BB1774_351 Depth=2
	v_cmp_gt_i16_e32 vcc_lo, 0, v2
	s_wait_alu 0xfffd
	v_cndmask_b32_e64 v11, 0x7fff, 0, vcc_lo
	s_delay_alu instid0(VALU_DEP_1) | instskip(NEXT) | instid1(VALU_DEP_1)
	v_xor_b32_e32 v11, v11, v2
	v_cmp_ne_u16_e32 vcc_lo, 0x8000, v11
	s_wait_alu 0xfffd
	v_cndmask_b32_e32 v11, 0x7fff, v11, vcc_lo
	s_delay_alu instid0(VALU_DEP_1) | instskip(NEXT) | instid1(VALU_DEP_1)
	v_and_b32_e32 v11, 0xffff, v11
	v_lshrrev_b32_e32 v11, s45, v11
	s_delay_alu instid0(VALU_DEP_1) | instskip(NEXT) | instid1(VALU_DEP_1)
	v_and_b32_e32 v11, s42, v11
	v_lshl_or_b32 v11, v11, 4, v39
	ds_add_u32 v11, v62
	s_branch .LBB1774_350
.LBB1774_380:                           ;   in Loop: Header=BB1774_351 Depth=2
	global_load_u16 v10, v82, s[0:1]
	s_or_b32 exec_lo, exec_lo, s11
	s_delay_alu instid0(SALU_CYCLE_1)
	s_mov_b32 s11, exec_lo
	v_cmpx_gt_u32_e64 s9, v29
	s_cbranch_execz .LBB1774_356
.LBB1774_381:                           ;   in Loop: Header=BB1774_351 Depth=2
	global_load_u16 v9, v82, s[0:1] offset:512
	s_wait_alu 0xfffe
	s_or_b32 exec_lo, exec_lo, s11
	s_delay_alu instid0(SALU_CYCLE_1)
	s_mov_b32 s11, exec_lo
	v_cmpx_gt_u32_e64 s9, v30
	s_cbranch_execz .LBB1774_357
.LBB1774_382:                           ;   in Loop: Header=BB1774_351 Depth=2
	global_load_u16 v8, v82, s[0:1] offset:1024
	s_wait_alu 0xfffe
	s_or_b32 exec_lo, exec_lo, s11
	s_delay_alu instid0(SALU_CYCLE_1)
	s_mov_b32 s11, exec_lo
	v_cmpx_gt_u32_e64 s9, v31
	s_cbranch_execz .LBB1774_358
.LBB1774_383:                           ;   in Loop: Header=BB1774_351 Depth=2
	global_load_u16 v7, v82, s[0:1] offset:1536
	s_wait_alu 0xfffe
	s_or_b32 exec_lo, exec_lo, s11
	s_delay_alu instid0(SALU_CYCLE_1)
	s_mov_b32 s11, exec_lo
	v_cmpx_gt_u32_e64 s9, v34
	s_cbranch_execz .LBB1774_359
.LBB1774_384:                           ;   in Loop: Header=BB1774_351 Depth=2
	global_load_u16 v6, v82, s[0:1] offset:2048
	s_wait_alu 0xfffe
	s_or_b32 exec_lo, exec_lo, s11
	s_delay_alu instid0(SALU_CYCLE_1)
	s_mov_b32 s11, exec_lo
	v_cmpx_gt_u32_e64 s9, v35
	s_cbranch_execz .LBB1774_360
.LBB1774_385:                           ;   in Loop: Header=BB1774_351 Depth=2
	global_load_u16 v5, v82, s[0:1] offset:2560
	s_wait_alu 0xfffe
	s_or_b32 exec_lo, exec_lo, s11
	s_delay_alu instid0(SALU_CYCLE_1)
	s_mov_b32 s11, exec_lo
	v_cmpx_gt_u32_e64 s9, v36
	s_cbranch_execz .LBB1774_361
.LBB1774_386:                           ;   in Loop: Header=BB1774_351 Depth=2
	global_load_u16 v4, v82, s[0:1] offset:3072
	s_wait_alu 0xfffe
	s_or_b32 exec_lo, exec_lo, s11
	s_delay_alu instid0(SALU_CYCLE_1)
	s_mov_b32 s11, exec_lo
	v_cmpx_gt_u32_e64 s9, v37
	s_cbranch_execnz .LBB1774_362
	s_branch .LBB1774_363
.LBB1774_387:                           ;   in Loop: Header=BB1774_17 Depth=1
	v_mov_b32_e32 v2, 0
	s_wait_dscnt 0x0
	s_barrier_signal -1
	s_barrier_wait -1
	global_inv scope:SCOPE_SE
	s_and_saveexec_b32 s0, s2
	s_cbranch_execz .LBB1774_389
; %bb.388:                              ;   in Loop: Header=BB1774_17 Depth=1
	ds_load_2addr_b64 v[4:7], v40 offset1:1
	s_wait_dscnt 0x0
	v_add_nc_u32_e32 v2, v5, v4
	s_delay_alu instid0(VALU_DEP_1)
	v_add3_u32 v2, v2, v6, v7
.LBB1774_389:                           ;   in Loop: Header=BB1774_17 Depth=1
	s_wait_alu 0xfffe
	s_or_b32 exec_lo, exec_lo, s0
	s_delay_alu instid0(VALU_DEP_1)
	v_mov_b32_dpp v4, v2 row_shr:1 row_mask:0xf bank_mask:0xf
	v_cmp_eq_u32_e64 s0, 0, v63
	v_cmp_lt_u32_e64 s1, 1, v63
	v_cmp_lt_u32_e64 s9, 3, v63
	;; [unrolled: 1-line block ×3, first 2 shown]
	v_cmp_eq_u32_e64 s11, 0, v65
	s_wait_alu 0xf1ff
	v_cndmask_b32_e64 v4, v4, 0, s0
	s_delay_alu instid0(VALU_DEP_1) | instskip(NEXT) | instid1(VALU_DEP_1)
	v_add_nc_u32_e32 v2, v4, v2
	v_mov_b32_dpp v4, v2 row_shr:2 row_mask:0xf bank_mask:0xf
	s_delay_alu instid0(VALU_DEP_1) | instskip(NEXT) | instid1(VALU_DEP_1)
	v_cndmask_b32_e64 v4, 0, v4, s1
	v_add_nc_u32_e32 v2, v2, v4
	s_delay_alu instid0(VALU_DEP_1) | instskip(NEXT) | instid1(VALU_DEP_1)
	v_mov_b32_dpp v4, v2 row_shr:4 row_mask:0xf bank_mask:0xf
	v_cndmask_b32_e64 v4, 0, v4, s9
	s_delay_alu instid0(VALU_DEP_1) | instskip(NEXT) | instid1(VALU_DEP_1)
	v_add_nc_u32_e32 v2, v2, v4
	v_mov_b32_dpp v4, v2 row_shr:8 row_mask:0xf bank_mask:0xf
	s_delay_alu instid0(VALU_DEP_1) | instskip(NEXT) | instid1(VALU_DEP_1)
	v_cndmask_b32_e64 v4, 0, v4, s10
	v_add_nc_u32_e32 v2, v2, v4
	ds_swizzle_b32 v4, v2 offset:swizzle(BROADCAST,32,15)
	s_wait_dscnt 0x0
	v_and_b32_e32 v4, v64, v4
	s_delay_alu instid0(VALU_DEP_1)
	v_add_nc_u32_e32 v2, v2, v4
	s_and_saveexec_b32 s12, s3
; %bb.390:                              ;   in Loop: Header=BB1774_17 Depth=1
	ds_store_b32 v41, v2
; %bb.391:                              ;   in Loop: Header=BB1774_17 Depth=1
	s_wait_alu 0xfffe
	s_or_b32 exec_lo, exec_lo, s12
	s_wait_loadcnt_dscnt 0x0
	s_barrier_signal -1
	s_barrier_wait -1
	global_inv scope:SCOPE_SE
	s_and_saveexec_b32 s12, s4
	s_cbranch_execz .LBB1774_393
; %bb.392:                              ;   in Loop: Header=BB1774_17 Depth=1
	ds_load_b32 v4, v42
	v_cmp_ne_u32_e32 vcc_lo, 0, v67
	s_wait_dscnt 0x0
	v_mov_b32_dpp v5, v4 row_shr:1 row_mask:0xf bank_mask:0xf
	s_wait_alu 0xfffd
	s_delay_alu instid0(VALU_DEP_1) | instskip(SKIP_1) | instid1(VALU_DEP_2)
	v_cndmask_b32_e32 v5, 0, v5, vcc_lo
	v_cmp_lt_u32_e32 vcc_lo, 1, v67
	v_add_nc_u32_e32 v4, v5, v4
	s_delay_alu instid0(VALU_DEP_1) | instskip(SKIP_1) | instid1(VALU_DEP_1)
	v_mov_b32_dpp v5, v4 row_shr:2 row_mask:0xf bank_mask:0xf
	s_wait_alu 0xfffd
	v_cndmask_b32_e32 v5, 0, v5, vcc_lo
	v_cmp_lt_u32_e32 vcc_lo, 3, v67
	s_delay_alu instid0(VALU_DEP_2) | instskip(NEXT) | instid1(VALU_DEP_1)
	v_add_nc_u32_e32 v4, v4, v5
	v_mov_b32_dpp v5, v4 row_shr:4 row_mask:0xf bank_mask:0xf
	s_wait_alu 0xfffd
	s_delay_alu instid0(VALU_DEP_1) | instskip(NEXT) | instid1(VALU_DEP_1)
	v_cndmask_b32_e32 v5, 0, v5, vcc_lo
	v_add_nc_u32_e32 v4, v4, v5
	ds_store_b32 v42, v4
.LBB1774_393:                           ;   in Loop: Header=BB1774_17 Depth=1
	s_wait_alu 0xfffe
	s_or_b32 exec_lo, exec_lo, s12
	v_mov_b32_e32 v4, 0
	s_wait_loadcnt_dscnt 0x0
	s_barrier_signal -1
	s_barrier_wait -1
	global_inv scope:SCOPE_SE
	s_and_saveexec_b32 s12, s5
; %bb.394:                              ;   in Loop: Header=BB1774_17 Depth=1
	ds_load_b32 v4, v44
; %bb.395:                              ;   in Loop: Header=BB1774_17 Depth=1
	s_wait_alu 0xfffe
	s_or_b32 exec_lo, exec_lo, s12
	v_cmp_gt_i32_e32 vcc_lo, 0, v68
	s_wait_dscnt 0x0
	v_add_nc_u32_e32 v2, v4, v2
	s_wait_loadcnt 0x0
	s_barrier_signal -1
	s_barrier_wait -1
	s_wait_alu 0xfffd
	v_cndmask_b32_e32 v5, v68, v59, vcc_lo
	global_inv scope:SCOPE_SE
	v_lshlrev_b32_e32 v87, 2, v5
	ds_bpermute_b32 v2, v87, v2
	s_and_saveexec_b32 s12, s2
	s_cbranch_execz .LBB1774_397
; %bb.396:                              ;   in Loop: Header=BB1774_17 Depth=1
	s_wait_dscnt 0x0
	v_cndmask_b32_e64 v2, v2, v4, s8
	s_delay_alu instid0(VALU_DEP_1)
	v_add_nc_u32_e32 v2, s33, v2
	ds_store_b32 v28, v2
.LBB1774_397:                           ;   in Loop: Header=BB1774_17 Depth=1
	s_wait_alu 0xfffe
	s_or_b32 exec_lo, exec_lo, s12
	s_load_b64 s[12:13], s[28:29], 0x0
	v_add_co_u32 v88, vcc_lo, v57, v69
	s_wait_alu 0xfffd
	v_add_co_ci_u32_e64 v89, null, 0, v58, vcc_lo
	v_add_co_u32 v90, vcc_lo, v60, v77
	s_wait_alu 0xfffd
	v_add_co_ci_u32_e64 v91, null, 0, v61, vcc_lo
	s_mov_b32 s43, s47
                                        ; implicit-def: $vgpr6_vgpr7
                                        ; implicit-def: $vgpr8_vgpr9
                                        ; implicit-def: $vgpr10_vgpr11
                                        ; implicit-def: $vgpr12_vgpr13
                                        ; implicit-def: $vgpr14_vgpr15
                                        ; implicit-def: $vgpr16_vgpr17
                                        ; implicit-def: $vgpr18_vgpr19
                                        ; implicit-def: $vgpr93
                                        ; implicit-def: $vgpr94
                                        ; implicit-def: $vgpr95
                                        ; implicit-def: $vgpr96
                                        ; implicit-def: $vgpr97
                                        ; implicit-def: $vgpr98
                                        ; implicit-def: $vgpr99
                                        ; implicit-def: $vgpr100
	s_wait_kmcnt 0x0
	s_cmp_lt_u32 ttmp7, s13
	s_cselect_b32 s30, 14, 20
	s_cmp_lt_u32 ttmp9, s12
	s_wait_alu 0xfffe
	s_add_nc_u64 s[14:15], s[28:29], s[30:31]
	s_cselect_b32 s30, 12, 18
	s_load_u16 s14, s[14:15], 0x0
	s_add_nc_u64 s[12:13], s[28:29], s[30:31]
	s_mov_b32 s30, s33
	s_load_u16 s12, s[12:13], 0x0
	v_cmp_lt_u32_e64 s13, 1, v67
	s_wait_dscnt 0x0
	s_wait_kmcnt 0x0
	v_mad_u32_u24 v2, v45, s14, v0
	v_cmp_lt_u32_e64 s14, 3, v67
	s_delay_alu instid0(VALU_DEP_2) | instskip(SKIP_1) | instid1(VALU_DEP_2)
	v_mad_co_u64_u32 v[4:5], null, v2, s12, v[1:2]
	v_cmp_eq_u32_e64 s12, 0, v67
	v_lshrrev_b32_e32 v2, 3, v4
                                        ; implicit-def: $vgpr4_vgpr5
	s_delay_alu instid0(VALU_DEP_1)
	v_and_b32_e32 v92, 0x1ffffffc, v2
	s_branch .LBB1774_399
.LBB1774_398:                           ;   in Loop: Header=BB1774_399 Depth=2
	s_wait_alu 0xfffe
	s_or_b32 exec_lo, exec_lo, s15
	s_addk_co_i32 s43, 0xf800
	s_cmp_lt_u32 s44, s34
	s_mov_b32 s30, s44
	s_cbranch_scc0 .LBB1774_511
.LBB1774_399:                           ;   Parent Loop BB1774_17 Depth=1
                                        ; =>  This Inner Loop Header: Depth=2
	s_wait_alu 0xfffe
	s_add_co_i32 s44, s30, 0x800
	s_wait_alu 0xfffe
	s_cmp_gt_u32 s44, s34
	s_cbranch_scc1 .LBB1774_401
; %bb.400:                              ;   in Loop: Header=BB1774_399 Depth=2
	s_lshl_b64 s[16:17], s[30:31], 1
	s_mov_b32 s15, -1
	s_wait_alu 0xfffe
	v_add_co_u32 v20, vcc_lo, v90, s16
	s_wait_alu 0xfffd
	v_add_co_ci_u32_e64 v21, null, s17, v91, vcc_lo
	s_clause 0x6
	global_load_u16 v2, v[20:21], off
	global_load_u16 v27, v[20:21], off offset:64
	global_load_u16 v26, v[20:21], off offset:128
	;; [unrolled: 1-line block ×6, first 2 shown]
	s_movk_i32 s16, 0x800
	s_cbranch_execz .LBB1774_402
	s_branch .LBB1774_417
.LBB1774_401:                           ;   in Loop: Header=BB1774_399 Depth=2
	s_mov_b32 s15, 0
                                        ; implicit-def: $vgpr2
                                        ; implicit-def: $vgpr27
                                        ; implicit-def: $vgpr26
                                        ; implicit-def: $vgpr25
                                        ; implicit-def: $vgpr24
                                        ; implicit-def: $vgpr23
                                        ; implicit-def: $vgpr22
	s_movk_i32 s16, 0x800
.LBB1774_402:                           ;   in Loop: Header=BB1774_399 Depth=2
	s_lshl_b64 s[16:17], s[30:31], 1
	s_wait_loadcnt 0x5
	v_dual_mov_b32 v27, -1 :: v_dual_mov_b32 v2, -1
	s_wait_alu 0xfffe
	v_add_co_u32 v20, vcc_lo, v90, s16
	s_wait_alu 0xfffd
	v_add_co_ci_u32_e64 v21, null, s17, v91, vcc_lo
	s_mov_b32 s15, exec_lo
	v_cmpx_gt_u32_e64 s43, v66
	s_cbranch_execz .LBB1774_404
; %bb.403:                              ;   in Loop: Header=BB1774_399 Depth=2
	global_load_u16 v2, v[20:21], off
.LBB1774_404:                           ;   in Loop: Header=BB1774_399 Depth=2
	s_wait_alu 0xfffe
	s_or_b32 exec_lo, exec_lo, s15
	s_delay_alu instid0(SALU_CYCLE_1)
	s_mov_b32 s15, exec_lo
	v_cmpx_gt_u32_e64 s43, v70
	s_cbranch_execz .LBB1774_406
; %bb.405:                              ;   in Loop: Header=BB1774_399 Depth=2
	global_load_u16 v27, v[20:21], off offset:64
.LBB1774_406:                           ;   in Loop: Header=BB1774_399 Depth=2
	s_wait_alu 0xfffe
	s_or_b32 exec_lo, exec_lo, s15
	s_wait_loadcnt 0x3
	v_dual_mov_b32 v25, -1 :: v_dual_mov_b32 v26, -1
	s_mov_b32 s15, exec_lo
	v_cmpx_gt_u32_e64 s43, v71
	s_cbranch_execz .LBB1774_408
; %bb.407:                              ;   in Loop: Header=BB1774_399 Depth=2
	global_load_u16 v26, v[20:21], off offset:128
.LBB1774_408:                           ;   in Loop: Header=BB1774_399 Depth=2
	s_wait_alu 0xfffe
	s_or_b32 exec_lo, exec_lo, s15
	s_delay_alu instid0(SALU_CYCLE_1)
	s_mov_b32 s15, exec_lo
	v_cmpx_gt_u32_e64 s43, v72
	s_cbranch_execz .LBB1774_410
; %bb.409:                              ;   in Loop: Header=BB1774_399 Depth=2
	global_load_u16 v25, v[20:21], off offset:192
.LBB1774_410:                           ;   in Loop: Header=BB1774_399 Depth=2
	s_wait_alu 0xfffe
	s_or_b32 exec_lo, exec_lo, s15
	s_wait_loadcnt 0x1
	v_dual_mov_b32 v23, -1 :: v_dual_mov_b32 v24, -1
	s_mov_b32 s15, exec_lo
	v_cmpx_gt_u32_e64 s43, v73
	s_cbranch_execz .LBB1774_412
; %bb.411:                              ;   in Loop: Header=BB1774_399 Depth=2
	global_load_u16 v24, v[20:21], off offset:256
.LBB1774_412:                           ;   in Loop: Header=BB1774_399 Depth=2
	s_wait_alu 0xfffe
	s_or_b32 exec_lo, exec_lo, s15
	s_delay_alu instid0(SALU_CYCLE_1)
	s_mov_b32 s15, exec_lo
	v_cmpx_gt_u32_e64 s43, v74
	s_cbranch_execz .LBB1774_414
; %bb.413:                              ;   in Loop: Header=BB1774_399 Depth=2
	global_load_u16 v23, v[20:21], off offset:320
.LBB1774_414:                           ;   in Loop: Header=BB1774_399 Depth=2
	s_wait_alu 0xfffe
	s_or_b32 exec_lo, exec_lo, s15
	s_wait_loadcnt 0x0
	v_mov_b32_e32 v22, -1
	s_mov_b32 s15, exec_lo
	v_cmpx_gt_u32_e64 s43, v75
	s_cbranch_execz .LBB1774_416
; %bb.415:                              ;   in Loop: Header=BB1774_399 Depth=2
	global_load_u16 v22, v[20:21], off offset:384
.LBB1774_416:                           ;   in Loop: Header=BB1774_399 Depth=2
	s_wait_alu 0xfffe
	s_or_b32 exec_lo, exec_lo, s15
	v_cmp_gt_u32_e64 s15, s43, v76
	s_sub_co_i32 s16, s34, s30
.LBB1774_417:                           ;   in Loop: Header=BB1774_399 Depth=2
	v_dual_mov_b32 v20, -1 :: v_dual_mov_b32 v101, s43
	s_and_saveexec_b32 s17, s15
	s_cbranch_execz .LBB1774_419
; %bb.418:                              ;   in Loop: Header=BB1774_399 Depth=2
	s_lshl_b64 s[18:19], s[30:31], 1
	s_wait_alu 0xfffe
	v_mov_b32_e32 v101, s16
	v_add_co_u32 v20, vcc_lo, v90, s18
	s_wait_alu 0xfffd
	v_add_co_ci_u32_e64 v21, null, s19, v91, vcc_lo
	global_load_u16 v20, v[20:21], off offset:448
.LBB1774_419:                           ;   in Loop: Header=BB1774_399 Depth=2
	s_wait_alu 0xfffe
	s_or_b32 exec_lo, exec_lo, s17
	s_wait_loadcnt 0x6
	v_cmp_gt_i16_e32 vcc_lo, 0, v2
	ds_store_2addr_b32 v81, v3, v3 offset1:1
	ds_store_2addr_b32 v78, v3, v3 offset1:1
	;; [unrolled: 1-line block ×4, first 2 shown]
	ds_store_b32 v43, v3 offset:1088
	s_wait_loadcnt_dscnt 0x0
	s_barrier_signal -1
	s_wait_alu 0xfffd
	v_cndmask_b32_e64 v21, 0x7fff, 0, vcc_lo
	s_barrier_wait -1
	global_inv scope:SCOPE_SE
	; wave barrier
	v_xor_b32_e32 v2, v21, v2
	s_delay_alu instid0(VALU_DEP_1) | instskip(SKIP_2) | instid1(VALU_DEP_1)
	v_cmp_ne_u16_e32 vcc_lo, 0x8000, v2
	s_wait_alu 0xfffd
	v_cndmask_b32_e32 v21, 0x7fff, v2, vcc_lo
	v_and_b32_e32 v21, 0xffff, v21
	s_delay_alu instid0(VALU_DEP_1) | instskip(NEXT) | instid1(VALU_DEP_1)
	v_lshrrev_b32_e32 v21, s45, v21
	v_and_b32_e32 v103, s42, v21
	s_delay_alu instid0(VALU_DEP_1)
	v_and_b32_e32 v21, 1, v103
	v_lshlrev_b32_e32 v102, 30, v103
	v_lshlrev_b32_e32 v104, 29, v103
	;; [unrolled: 1-line block ×4, first 2 shown]
	v_add_co_u32 v21, s15, v21, -1
	s_wait_alu 0xf1ff
	v_cndmask_b32_e64 v106, 0, 1, s15
	v_not_b32_e32 v110, v102
	v_cmp_gt_i32_e64 s15, 0, v102
	v_not_b32_e32 v102, v104
	v_lshlrev_b32_e32 v108, 26, v103
	v_cmp_ne_u32_e32 vcc_lo, 0, v106
	v_ashrrev_i32_e32 v110, 31, v110
	v_lshlrev_b32_e32 v109, 25, v103
	v_ashrrev_i32_e32 v102, 31, v102
	v_lshlrev_b32_e32 v106, 24, v103
	s_wait_alu 0xfffd
	v_xor_b32_e32 v21, vcc_lo, v21
	v_cmp_gt_i32_e32 vcc_lo, 0, v104
	v_not_b32_e32 v104, v105
	s_wait_alu 0xf1ff
	v_xor_b32_e32 v110, s15, v110
	v_cmp_gt_i32_e64 s15, 0, v105
	v_and_b32_e32 v21, exec_lo, v21
	v_not_b32_e32 v105, v107
	v_ashrrev_i32_e32 v104, 31, v104
	s_wait_alu 0xfffd
	v_xor_b32_e32 v102, vcc_lo, v102
	v_cmp_gt_i32_e32 vcc_lo, 0, v107
	v_and_b32_e32 v21, v21, v110
	v_not_b32_e32 v107, v108
	v_ashrrev_i32_e32 v105, 31, v105
	s_wait_alu 0xf1ff
	v_xor_b32_e32 v104, s15, v104
	v_cmp_gt_i32_e64 s15, 0, v108
	v_and_b32_e32 v21, v21, v102
	v_not_b32_e32 v102, v109
	v_ashrrev_i32_e32 v107, 31, v107
	s_wait_alu 0xfffd
	v_xor_b32_e32 v105, vcc_lo, v105
	v_cmp_gt_i32_e32 vcc_lo, 0, v109
	v_and_b32_e32 v21, v21, v104
	v_not_b32_e32 v104, v106
	v_ashrrev_i32_e32 v102, 31, v102
	s_wait_alu 0xf1ff
	v_xor_b32_e32 v107, s15, v107
	v_cmp_gt_i32_e64 s15, 0, v106
	v_and_b32_e32 v21, v21, v105
	v_ashrrev_i32_e32 v104, 31, v104
	s_wait_alu 0xfffd
	v_xor_b32_e32 v102, vcc_lo, v102
	v_mul_u32_u24_e32 v103, 36, v103
	v_and_b32_e32 v21, v21, v107
	s_wait_alu 0xf1ff
	v_xor_b32_e32 v104, s15, v104
	s_delay_alu instid0(VALU_DEP_2) | instskip(NEXT) | instid1(VALU_DEP_1)
	v_and_b32_e32 v21, v21, v102
	v_and_b32_e32 v21, v21, v104
	v_add_nc_u32_e32 v104, v92, v103
	s_delay_alu instid0(VALU_DEP_2) | instskip(SKIP_1) | instid1(VALU_DEP_2)
	v_mbcnt_lo_u32_b32 v102, v21, 0
	v_cmp_ne_u32_e64 s15, 0, v21
	v_cmp_eq_u32_e32 vcc_lo, 0, v102
	s_and_b32 s16, s15, vcc_lo
	s_wait_alu 0xfffe
	s_and_saveexec_b32 s15, s16
; %bb.420:                              ;   in Loop: Header=BB1774_399 Depth=2
	v_bcnt_u32_b32 v21, v21, 0
	ds_store_b32 v104, v21 offset:1056
; %bb.421:                              ;   in Loop: Header=BB1774_399 Depth=2
	s_wait_alu 0xfffe
	s_or_b32 exec_lo, exec_lo, s15
	v_cmp_gt_i16_e32 vcc_lo, 0, v27
	; wave barrier
	s_wait_alu 0xfffd
	v_cndmask_b32_e64 v21, 0x7fff, 0, vcc_lo
	s_delay_alu instid0(VALU_DEP_1) | instskip(NEXT) | instid1(VALU_DEP_1)
	v_xor_b32_e32 v103, v21, v27
	v_cmp_ne_u16_e32 vcc_lo, 0x8000, v103
	s_wait_alu 0xfffd
	v_cndmask_b32_e32 v21, 0x7fff, v103, vcc_lo
	s_delay_alu instid0(VALU_DEP_1) | instskip(NEXT) | instid1(VALU_DEP_1)
	v_and_b32_e32 v21, 0xffff, v21
	v_lshrrev_b32_e32 v21, s45, v21
	s_delay_alu instid0(VALU_DEP_1) | instskip(NEXT) | instid1(VALU_DEP_1)
	v_and_b32_e32 v27, s42, v21
	v_and_b32_e32 v21, 1, v27
	v_lshlrev_b32_e32 v105, 30, v27
	v_lshlrev_b32_e32 v106, 29, v27
	;; [unrolled: 1-line block ×4, first 2 shown]
	v_add_co_u32 v21, s15, v21, -1
	s_wait_alu 0xf1ff
	v_cndmask_b32_e64 v108, 0, 1, s15
	v_not_b32_e32 v112, v105
	v_cmp_gt_i32_e64 s15, 0, v105
	v_not_b32_e32 v105, v106
	v_lshlrev_b32_e32 v110, 26, v27
	v_cmp_ne_u32_e32 vcc_lo, 0, v108
	v_ashrrev_i32_e32 v112, 31, v112
	v_lshlrev_b32_e32 v111, 25, v27
	v_ashrrev_i32_e32 v105, 31, v105
	v_lshlrev_b32_e32 v108, 24, v27
	s_wait_alu 0xfffd
	v_xor_b32_e32 v21, vcc_lo, v21
	v_cmp_gt_i32_e32 vcc_lo, 0, v106
	v_not_b32_e32 v106, v107
	s_wait_alu 0xf1ff
	v_xor_b32_e32 v112, s15, v112
	v_cmp_gt_i32_e64 s15, 0, v107
	v_and_b32_e32 v21, exec_lo, v21
	v_not_b32_e32 v107, v109
	v_ashrrev_i32_e32 v106, 31, v106
	s_wait_alu 0xfffd
	v_xor_b32_e32 v105, vcc_lo, v105
	v_cmp_gt_i32_e32 vcc_lo, 0, v109
	v_and_b32_e32 v21, v21, v112
	v_not_b32_e32 v109, v110
	v_ashrrev_i32_e32 v107, 31, v107
	s_wait_alu 0xf1ff
	v_xor_b32_e32 v106, s15, v106
	v_cmp_gt_i32_e64 s15, 0, v110
	v_and_b32_e32 v21, v21, v105
	v_not_b32_e32 v105, v111
	v_ashrrev_i32_e32 v109, 31, v109
	s_wait_alu 0xfffd
	v_xor_b32_e32 v107, vcc_lo, v107
	v_cmp_gt_i32_e32 vcc_lo, 0, v111
	v_and_b32_e32 v21, v21, v106
	v_not_b32_e32 v106, v108
	v_ashrrev_i32_e32 v105, 31, v105
	s_wait_alu 0xf1ff
	v_xor_b32_e32 v109, s15, v109
	v_cmp_gt_i32_e64 s15, 0, v108
	v_and_b32_e32 v21, v21, v107
	v_ashrrev_i32_e32 v106, 31, v106
	s_wait_alu 0xfffd
	v_xor_b32_e32 v105, vcc_lo, v105
	v_mad_u32_u24 v107, v27, 36, v92
	v_mul_u32_u24_e32 v27, 36, v27
	v_and_b32_e32 v21, v21, v109
	s_wait_alu 0xf1ff
	v_xor_b32_e32 v106, s15, v106
	s_delay_alu instid0(VALU_DEP_3) | instskip(NEXT) | instid1(VALU_DEP_3)
	v_add_nc_u32_e32 v108, v92, v27
	v_and_b32_e32 v21, v21, v105
	ds_load_b32 v105, v107 offset:1056
	; wave barrier
	v_and_b32_e32 v21, v21, v106
	s_delay_alu instid0(VALU_DEP_1) | instskip(SKIP_1) | instid1(VALU_DEP_2)
	v_mbcnt_lo_u32_b32 v106, v21, 0
	v_cmp_ne_u32_e64 s15, 0, v21
	v_cmp_eq_u32_e32 vcc_lo, 0, v106
	s_and_b32 s16, s15, vcc_lo
	s_wait_alu 0xfffe
	s_and_saveexec_b32 s15, s16
	s_cbranch_execz .LBB1774_423
; %bb.422:                              ;   in Loop: Header=BB1774_399 Depth=2
	s_wait_dscnt 0x0
	v_bcnt_u32_b32 v21, v21, v105
	ds_store_b32 v108, v21 offset:1056
.LBB1774_423:                           ;   in Loop: Header=BB1774_399 Depth=2
	s_wait_alu 0xfffe
	s_or_b32 exec_lo, exec_lo, s15
	v_cmp_gt_i16_e32 vcc_lo, 0, v26
	; wave barrier
	s_wait_alu 0xfffd
	v_cndmask_b32_e64 v21, 0x7fff, 0, vcc_lo
	s_delay_alu instid0(VALU_DEP_1) | instskip(NEXT) | instid1(VALU_DEP_1)
	v_xor_b32_e32 v107, v21, v26
	v_cmp_ne_u16_e32 vcc_lo, 0x8000, v107
	s_wait_alu 0xfffd
	v_cndmask_b32_e32 v21, 0x7fff, v107, vcc_lo
	s_delay_alu instid0(VALU_DEP_1) | instskip(NEXT) | instid1(VALU_DEP_1)
	v_and_b32_e32 v21, 0xffff, v21
	v_lshrrev_b32_e32 v21, s45, v21
	s_delay_alu instid0(VALU_DEP_1) | instskip(NEXT) | instid1(VALU_DEP_1)
	v_and_b32_e32 v26, s42, v21
	v_and_b32_e32 v21, 1, v26
	v_lshlrev_b32_e32 v27, 30, v26
	v_lshlrev_b32_e32 v109, 29, v26
	;; [unrolled: 1-line block ×4, first 2 shown]
	v_add_co_u32 v21, s15, v21, -1
	s_wait_alu 0xf1ff
	v_cndmask_b32_e64 v111, 0, 1, s15
	v_not_b32_e32 v115, v27
	v_cmp_gt_i32_e64 s15, 0, v27
	v_not_b32_e32 v27, v109
	v_lshlrev_b32_e32 v113, 26, v26
	v_cmp_ne_u32_e32 vcc_lo, 0, v111
	v_ashrrev_i32_e32 v115, 31, v115
	v_lshlrev_b32_e32 v114, 25, v26
	v_ashrrev_i32_e32 v27, 31, v27
	v_lshlrev_b32_e32 v111, 24, v26
	s_wait_alu 0xfffd
	v_xor_b32_e32 v21, vcc_lo, v21
	v_cmp_gt_i32_e32 vcc_lo, 0, v109
	v_not_b32_e32 v109, v110
	s_wait_alu 0xf1ff
	v_xor_b32_e32 v115, s15, v115
	v_cmp_gt_i32_e64 s15, 0, v110
	v_and_b32_e32 v21, exec_lo, v21
	v_not_b32_e32 v110, v112
	v_ashrrev_i32_e32 v109, 31, v109
	s_wait_alu 0xfffd
	v_xor_b32_e32 v27, vcc_lo, v27
	v_cmp_gt_i32_e32 vcc_lo, 0, v112
	v_and_b32_e32 v21, v21, v115
	v_not_b32_e32 v112, v113
	v_ashrrev_i32_e32 v110, 31, v110
	s_wait_alu 0xf1ff
	v_xor_b32_e32 v109, s15, v109
	v_cmp_gt_i32_e64 s15, 0, v113
	v_and_b32_e32 v21, v21, v27
	v_not_b32_e32 v27, v114
	v_ashrrev_i32_e32 v112, 31, v112
	s_wait_alu 0xfffd
	v_xor_b32_e32 v110, vcc_lo, v110
	v_cmp_gt_i32_e32 vcc_lo, 0, v114
	v_and_b32_e32 v21, v21, v109
	v_not_b32_e32 v109, v111
	v_ashrrev_i32_e32 v27, 31, v27
	s_wait_alu 0xf1ff
	v_xor_b32_e32 v112, s15, v112
	v_cmp_gt_i32_e64 s15, 0, v111
	v_and_b32_e32 v21, v21, v110
	v_ashrrev_i32_e32 v109, 31, v109
	s_wait_alu 0xfffd
	v_xor_b32_e32 v27, vcc_lo, v27
	v_mad_u32_u24 v110, v26, 36, v92
	v_mul_u32_u24_e32 v26, 36, v26
	v_and_b32_e32 v21, v21, v112
	s_wait_alu 0xf1ff
	v_xor_b32_e32 v111, s15, v109
	ds_load_b32 v109, v110 offset:1056
	v_add_nc_u32_e32 v112, v92, v26
	v_and_b32_e32 v21, v21, v27
	; wave barrier
	s_delay_alu instid0(VALU_DEP_1) | instskip(NEXT) | instid1(VALU_DEP_1)
	v_and_b32_e32 v21, v21, v111
	v_mbcnt_lo_u32_b32 v111, v21, 0
	v_cmp_ne_u32_e64 s15, 0, v21
	s_delay_alu instid0(VALU_DEP_2)
	v_cmp_eq_u32_e32 vcc_lo, 0, v111
	s_and_b32 s16, s15, vcc_lo
	s_wait_alu 0xfffe
	s_and_saveexec_b32 s15, s16
	s_cbranch_execz .LBB1774_425
; %bb.424:                              ;   in Loop: Header=BB1774_399 Depth=2
	s_wait_dscnt 0x0
	v_bcnt_u32_b32 v21, v21, v109
	ds_store_b32 v112, v21 offset:1056
.LBB1774_425:                           ;   in Loop: Header=BB1774_399 Depth=2
	s_wait_alu 0xfffe
	s_or_b32 exec_lo, exec_lo, s15
	v_cmp_gt_i16_e32 vcc_lo, 0, v25
	; wave barrier
	s_wait_alu 0xfffd
	v_cndmask_b32_e64 v21, 0x7fff, 0, vcc_lo
	s_delay_alu instid0(VALU_DEP_1) | instskip(NEXT) | instid1(VALU_DEP_1)
	v_xor_b32_e32 v110, v21, v25
	v_cmp_ne_u16_e32 vcc_lo, 0x8000, v110
	s_wait_alu 0xfffd
	v_cndmask_b32_e32 v21, 0x7fff, v110, vcc_lo
	s_delay_alu instid0(VALU_DEP_1) | instskip(NEXT) | instid1(VALU_DEP_1)
	v_and_b32_e32 v21, 0xffff, v21
	v_lshrrev_b32_e32 v21, s45, v21
	s_delay_alu instid0(VALU_DEP_1) | instskip(NEXT) | instid1(VALU_DEP_1)
	v_and_b32_e32 v25, s42, v21
	v_and_b32_e32 v21, 1, v25
	v_lshlrev_b32_e32 v26, 30, v25
	v_lshlrev_b32_e32 v27, 29, v25
	;; [unrolled: 1-line block ×4, first 2 shown]
	v_add_co_u32 v21, s15, v21, -1
	s_wait_alu 0xf1ff
	v_cndmask_b32_e64 v114, 0, 1, s15
	v_not_b32_e32 v118, v26
	v_cmp_gt_i32_e64 s15, 0, v26
	v_not_b32_e32 v26, v27
	v_lshlrev_b32_e32 v116, 26, v25
	v_cmp_ne_u32_e32 vcc_lo, 0, v114
	v_ashrrev_i32_e32 v118, 31, v118
	v_lshlrev_b32_e32 v117, 25, v25
	v_ashrrev_i32_e32 v26, 31, v26
	v_lshlrev_b32_e32 v114, 24, v25
	s_wait_alu 0xfffd
	v_xor_b32_e32 v21, vcc_lo, v21
	v_cmp_gt_i32_e32 vcc_lo, 0, v27
	v_not_b32_e32 v27, v113
	s_wait_alu 0xf1ff
	v_xor_b32_e32 v118, s15, v118
	v_cmp_gt_i32_e64 s15, 0, v113
	v_and_b32_e32 v21, exec_lo, v21
	v_not_b32_e32 v113, v115
	v_ashrrev_i32_e32 v27, 31, v27
	s_wait_alu 0xfffd
	v_xor_b32_e32 v26, vcc_lo, v26
	v_cmp_gt_i32_e32 vcc_lo, 0, v115
	v_and_b32_e32 v21, v21, v118
	v_not_b32_e32 v115, v116
	v_ashrrev_i32_e32 v113, 31, v113
	s_wait_alu 0xf1ff
	v_xor_b32_e32 v27, s15, v27
	v_cmp_gt_i32_e64 s15, 0, v116
	v_and_b32_e32 v21, v21, v26
	v_not_b32_e32 v26, v117
	v_ashrrev_i32_e32 v115, 31, v115
	s_wait_alu 0xfffd
	v_xor_b32_e32 v113, vcc_lo, v113
	v_cmp_gt_i32_e32 vcc_lo, 0, v117
	v_and_b32_e32 v21, v21, v27
	v_not_b32_e32 v27, v114
	v_ashrrev_i32_e32 v26, 31, v26
	s_wait_alu 0xf1ff
	v_xor_b32_e32 v115, s15, v115
	v_cmp_gt_i32_e64 s15, 0, v114
	v_and_b32_e32 v21, v21, v113
	v_ashrrev_i32_e32 v27, 31, v27
	s_wait_alu 0xfffd
	v_xor_b32_e32 v26, vcc_lo, v26
	v_mad_u32_u24 v113, v25, 36, v92
	v_mul_u32_u24_e32 v25, 36, v25
	v_and_b32_e32 v21, v21, v115
	s_wait_alu 0xf1ff
	v_xor_b32_e32 v27, s15, v27
	ds_load_b32 v113, v113 offset:1056
	v_add_nc_u32_e32 v116, v92, v25
	v_and_b32_e32 v21, v21, v26
	; wave barrier
	s_delay_alu instid0(VALU_DEP_1) | instskip(NEXT) | instid1(VALU_DEP_1)
	v_and_b32_e32 v21, v21, v27
	v_mbcnt_lo_u32_b32 v115, v21, 0
	v_cmp_ne_u32_e64 s15, 0, v21
	s_delay_alu instid0(VALU_DEP_2)
	v_cmp_eq_u32_e32 vcc_lo, 0, v115
	s_and_b32 s16, s15, vcc_lo
	s_wait_alu 0xfffe
	s_and_saveexec_b32 s15, s16
	s_cbranch_execz .LBB1774_427
; %bb.426:                              ;   in Loop: Header=BB1774_399 Depth=2
	s_wait_dscnt 0x0
	v_bcnt_u32_b32 v21, v21, v113
	ds_store_b32 v116, v21 offset:1056
.LBB1774_427:                           ;   in Loop: Header=BB1774_399 Depth=2
	s_wait_alu 0xfffe
	s_or_b32 exec_lo, exec_lo, s15
	v_cmp_gt_i16_e32 vcc_lo, 0, v24
	; wave barrier
	s_wait_alu 0xfffd
	v_cndmask_b32_e64 v21, 0x7fff, 0, vcc_lo
	s_delay_alu instid0(VALU_DEP_1) | instskip(NEXT) | instid1(VALU_DEP_1)
	v_xor_b32_e32 v114, v21, v24
	v_cmp_ne_u16_e32 vcc_lo, 0x8000, v114
	s_wait_alu 0xfffd
	v_cndmask_b32_e32 v21, 0x7fff, v114, vcc_lo
	s_delay_alu instid0(VALU_DEP_1) | instskip(NEXT) | instid1(VALU_DEP_1)
	v_and_b32_e32 v21, 0xffff, v21
	v_lshrrev_b32_e32 v21, s45, v21
	s_delay_alu instid0(VALU_DEP_1) | instskip(NEXT) | instid1(VALU_DEP_1)
	v_and_b32_e32 v24, s42, v21
	v_and_b32_e32 v21, 1, v24
	v_lshlrev_b32_e32 v25, 30, v24
	v_lshlrev_b32_e32 v26, 29, v24
	;; [unrolled: 1-line block ×4, first 2 shown]
	v_add_co_u32 v21, s15, v21, -1
	s_wait_alu 0xf1ff
	v_cndmask_b32_e64 v117, 0, 1, s15
	v_not_b32_e32 v121, v25
	v_cmp_gt_i32_e64 s15, 0, v25
	v_not_b32_e32 v25, v26
	v_lshlrev_b32_e32 v119, 26, v24
	v_cmp_ne_u32_e32 vcc_lo, 0, v117
	v_ashrrev_i32_e32 v121, 31, v121
	v_lshlrev_b32_e32 v120, 25, v24
	v_ashrrev_i32_e32 v25, 31, v25
	v_lshlrev_b32_e32 v117, 24, v24
	s_wait_alu 0xfffd
	v_xor_b32_e32 v21, vcc_lo, v21
	v_cmp_gt_i32_e32 vcc_lo, 0, v26
	v_not_b32_e32 v26, v27
	s_wait_alu 0xf1ff
	v_xor_b32_e32 v121, s15, v121
	v_cmp_gt_i32_e64 s15, 0, v27
	v_and_b32_e32 v21, exec_lo, v21
	v_not_b32_e32 v27, v118
	v_ashrrev_i32_e32 v26, 31, v26
	s_wait_alu 0xfffd
	v_xor_b32_e32 v25, vcc_lo, v25
	v_cmp_gt_i32_e32 vcc_lo, 0, v118
	v_and_b32_e32 v21, v21, v121
	v_not_b32_e32 v118, v119
	v_ashrrev_i32_e32 v27, 31, v27
	s_wait_alu 0xf1ff
	v_xor_b32_e32 v26, s15, v26
	v_cmp_gt_i32_e64 s15, 0, v119
	v_and_b32_e32 v21, v21, v25
	v_not_b32_e32 v25, v120
	v_ashrrev_i32_e32 v118, 31, v118
	s_wait_alu 0xfffd
	v_xor_b32_e32 v27, vcc_lo, v27
	v_cmp_gt_i32_e32 vcc_lo, 0, v120
	v_and_b32_e32 v21, v21, v26
	v_not_b32_e32 v26, v117
	v_ashrrev_i32_e32 v25, 31, v25
	s_wait_alu 0xf1ff
	v_xor_b32_e32 v118, s15, v118
	v_cmp_gt_i32_e64 s15, 0, v117
	v_and_b32_e32 v21, v21, v27
	v_ashrrev_i32_e32 v26, 31, v26
	s_wait_alu 0xfffd
	v_xor_b32_e32 v25, vcc_lo, v25
	v_mad_u32_u24 v27, v24, 36, v92
	v_mul_u32_u24_e32 v24, 36, v24
	v_and_b32_e32 v21, v21, v118
	s_wait_alu 0xf1ff
	v_xor_b32_e32 v26, s15, v26
	ds_load_b32 v117, v27 offset:1056
	v_add_nc_u32_e32 v120, v92, v24
	v_and_b32_e32 v21, v21, v25
	; wave barrier
	s_delay_alu instid0(VALU_DEP_1) | instskip(NEXT) | instid1(VALU_DEP_1)
	v_and_b32_e32 v21, v21, v26
	v_mbcnt_lo_u32_b32 v119, v21, 0
	v_cmp_ne_u32_e64 s15, 0, v21
	s_delay_alu instid0(VALU_DEP_2)
	v_cmp_eq_u32_e32 vcc_lo, 0, v119
	s_and_b32 s16, s15, vcc_lo
	s_wait_alu 0xfffe
	s_and_saveexec_b32 s15, s16
	s_cbranch_execz .LBB1774_429
; %bb.428:                              ;   in Loop: Header=BB1774_399 Depth=2
	s_wait_dscnt 0x0
	v_bcnt_u32_b32 v21, v21, v117
	ds_store_b32 v120, v21 offset:1056
.LBB1774_429:                           ;   in Loop: Header=BB1774_399 Depth=2
	s_wait_alu 0xfffe
	s_or_b32 exec_lo, exec_lo, s15
	v_cmp_gt_i16_e32 vcc_lo, 0, v23
	; wave barrier
	s_wait_alu 0xfffd
	v_cndmask_b32_e64 v21, 0x7fff, 0, vcc_lo
	s_delay_alu instid0(VALU_DEP_1) | instskip(NEXT) | instid1(VALU_DEP_1)
	v_xor_b32_e32 v118, v21, v23
	v_cmp_ne_u16_e32 vcc_lo, 0x8000, v118
	s_wait_alu 0xfffd
	v_cndmask_b32_e32 v21, 0x7fff, v118, vcc_lo
	s_delay_alu instid0(VALU_DEP_1) | instskip(NEXT) | instid1(VALU_DEP_1)
	v_and_b32_e32 v21, 0xffff, v21
	v_lshrrev_b32_e32 v21, s45, v21
	s_delay_alu instid0(VALU_DEP_1) | instskip(NEXT) | instid1(VALU_DEP_1)
	v_and_b32_e32 v23, s42, v21
	v_and_b32_e32 v21, 1, v23
	v_lshlrev_b32_e32 v24, 30, v23
	v_lshlrev_b32_e32 v25, 29, v23
	;; [unrolled: 1-line block ×4, first 2 shown]
	v_add_co_u32 v21, s15, v21, -1
	s_wait_alu 0xf1ff
	v_cndmask_b32_e64 v27, 0, 1, s15
	v_not_b32_e32 v124, v24
	v_cmp_gt_i32_e64 s15, 0, v24
	v_not_b32_e32 v24, v25
	v_lshlrev_b32_e32 v122, 26, v23
	v_cmp_ne_u32_e32 vcc_lo, 0, v27
	v_ashrrev_i32_e32 v124, 31, v124
	v_lshlrev_b32_e32 v123, 25, v23
	v_ashrrev_i32_e32 v24, 31, v24
	v_lshlrev_b32_e32 v27, 24, v23
	s_wait_alu 0xfffd
	v_xor_b32_e32 v21, vcc_lo, v21
	v_cmp_gt_i32_e32 vcc_lo, 0, v25
	v_not_b32_e32 v25, v26
	s_wait_alu 0xf1ff
	v_xor_b32_e32 v124, s15, v124
	v_cmp_gt_i32_e64 s15, 0, v26
	v_and_b32_e32 v21, exec_lo, v21
	v_not_b32_e32 v26, v121
	v_ashrrev_i32_e32 v25, 31, v25
	s_wait_alu 0xfffd
	v_xor_b32_e32 v24, vcc_lo, v24
	v_cmp_gt_i32_e32 vcc_lo, 0, v121
	v_and_b32_e32 v21, v21, v124
	v_not_b32_e32 v121, v122
	v_ashrrev_i32_e32 v26, 31, v26
	s_wait_alu 0xf1ff
	v_xor_b32_e32 v25, s15, v25
	v_cmp_gt_i32_e64 s15, 0, v122
	v_and_b32_e32 v21, v21, v24
	v_not_b32_e32 v24, v123
	v_ashrrev_i32_e32 v121, 31, v121
	s_wait_alu 0xfffd
	v_xor_b32_e32 v26, vcc_lo, v26
	v_cmp_gt_i32_e32 vcc_lo, 0, v123
	v_and_b32_e32 v21, v21, v25
	v_not_b32_e32 v25, v27
	v_ashrrev_i32_e32 v24, 31, v24
	s_wait_alu 0xf1ff
	v_xor_b32_e32 v121, s15, v121
	v_cmp_gt_i32_e64 s15, 0, v27
	v_and_b32_e32 v21, v21, v26
	v_ashrrev_i32_e32 v25, 31, v25
	s_wait_alu 0xfffd
	v_xor_b32_e32 v24, vcc_lo, v24
	v_mad_u32_u24 v26, v23, 36, v92
	v_mul_u32_u24_e32 v23, 36, v23
	v_and_b32_e32 v21, v21, v121
	s_wait_alu 0xf1ff
	v_xor_b32_e32 v25, s15, v25
	ds_load_b32 v121, v26 offset:1056
	v_add_nc_u32_e32 v124, v92, v23
	v_and_b32_e32 v21, v21, v24
	; wave barrier
	s_delay_alu instid0(VALU_DEP_1) | instskip(NEXT) | instid1(VALU_DEP_1)
	v_and_b32_e32 v21, v21, v25
	v_mbcnt_lo_u32_b32 v123, v21, 0
	v_cmp_ne_u32_e64 s15, 0, v21
	s_delay_alu instid0(VALU_DEP_2)
	v_cmp_eq_u32_e32 vcc_lo, 0, v123
	s_and_b32 s16, s15, vcc_lo
	s_wait_alu 0xfffe
	s_and_saveexec_b32 s15, s16
	s_cbranch_execz .LBB1774_431
; %bb.430:                              ;   in Loop: Header=BB1774_399 Depth=2
	s_wait_dscnt 0x0
	v_bcnt_u32_b32 v21, v21, v121
	ds_store_b32 v124, v21 offset:1056
.LBB1774_431:                           ;   in Loop: Header=BB1774_399 Depth=2
	s_wait_alu 0xfffe
	s_or_b32 exec_lo, exec_lo, s15
	v_cmp_gt_i16_e32 vcc_lo, 0, v22
	; wave barrier
	s_wait_alu 0xfffd
	v_cndmask_b32_e64 v21, 0x7fff, 0, vcc_lo
	s_delay_alu instid0(VALU_DEP_1) | instskip(NEXT) | instid1(VALU_DEP_1)
	v_xor_b32_e32 v122, v21, v22
	v_cmp_ne_u16_e32 vcc_lo, 0x8000, v122
	s_wait_alu 0xfffd
	v_cndmask_b32_e32 v21, 0x7fff, v122, vcc_lo
	s_delay_alu instid0(VALU_DEP_1) | instskip(NEXT) | instid1(VALU_DEP_1)
	v_and_b32_e32 v21, 0xffff, v21
	v_lshrrev_b32_e32 v21, s45, v21
	s_delay_alu instid0(VALU_DEP_1) | instskip(NEXT) | instid1(VALU_DEP_1)
	v_and_b32_e32 v22, s42, v21
	v_and_b32_e32 v21, 1, v22
	v_lshlrev_b32_e32 v23, 30, v22
	v_lshlrev_b32_e32 v24, 29, v22
	;; [unrolled: 1-line block ×4, first 2 shown]
	v_add_co_u32 v21, s15, v21, -1
	s_wait_alu 0xf1ff
	v_cndmask_b32_e64 v26, 0, 1, s15
	v_not_b32_e32 v127, v23
	v_cmp_gt_i32_e64 s15, 0, v23
	v_not_b32_e32 v23, v24
	v_lshlrev_b32_e32 v125, 26, v22
	v_cmp_ne_u32_e32 vcc_lo, 0, v26
	v_ashrrev_i32_e32 v127, 31, v127
	v_lshlrev_b32_e32 v126, 25, v22
	v_ashrrev_i32_e32 v23, 31, v23
	v_lshlrev_b32_e32 v26, 24, v22
	s_wait_alu 0xfffd
	v_xor_b32_e32 v21, vcc_lo, v21
	v_cmp_gt_i32_e32 vcc_lo, 0, v24
	v_not_b32_e32 v24, v25
	s_wait_alu 0xf1ff
	v_xor_b32_e32 v127, s15, v127
	v_cmp_gt_i32_e64 s15, 0, v25
	v_and_b32_e32 v21, exec_lo, v21
	v_not_b32_e32 v25, v27
	v_ashrrev_i32_e32 v24, 31, v24
	s_wait_alu 0xfffd
	v_xor_b32_e32 v23, vcc_lo, v23
	v_cmp_gt_i32_e32 vcc_lo, 0, v27
	v_and_b32_e32 v21, v21, v127
	v_not_b32_e32 v27, v125
	v_ashrrev_i32_e32 v25, 31, v25
	s_wait_alu 0xf1ff
	v_xor_b32_e32 v24, s15, v24
	v_cmp_gt_i32_e64 s15, 0, v125
	v_and_b32_e32 v21, v21, v23
	v_not_b32_e32 v23, v126
	v_ashrrev_i32_e32 v27, 31, v27
	s_wait_alu 0xfffd
	v_xor_b32_e32 v25, vcc_lo, v25
	v_cmp_gt_i32_e32 vcc_lo, 0, v126
	v_and_b32_e32 v21, v21, v24
	v_not_b32_e32 v24, v26
	v_ashrrev_i32_e32 v23, 31, v23
	s_wait_alu 0xf1ff
	v_xor_b32_e32 v27, s15, v27
	v_cmp_gt_i32_e64 s15, 0, v26
	v_and_b32_e32 v21, v21, v25
	v_ashrrev_i32_e32 v24, 31, v24
	s_wait_alu 0xfffd
	v_xor_b32_e32 v23, vcc_lo, v23
	v_mad_u32_u24 v25, v22, 36, v92
	v_mul_u32_u24_e32 v22, 36, v22
	v_and_b32_e32 v21, v21, v27
	s_wait_alu 0xf1ff
	v_xor_b32_e32 v24, s15, v24
	ds_load_b32 v125, v25 offset:1056
	v_add_nc_u32_e32 v128, v92, v22
	v_and_b32_e32 v21, v21, v23
	; wave barrier
	s_delay_alu instid0(VALU_DEP_1) | instskip(NEXT) | instid1(VALU_DEP_1)
	v_and_b32_e32 v21, v21, v24
	v_mbcnt_lo_u32_b32 v126, v21, 0
	v_cmp_ne_u32_e64 s15, 0, v21
	s_delay_alu instid0(VALU_DEP_2)
	v_cmp_eq_u32_e32 vcc_lo, 0, v126
	s_and_b32 s16, s15, vcc_lo
	s_wait_alu 0xfffe
	s_and_saveexec_b32 s15, s16
	s_cbranch_execz .LBB1774_433
; %bb.432:                              ;   in Loop: Header=BB1774_399 Depth=2
	s_wait_dscnt 0x0
	v_bcnt_u32_b32 v21, v21, v125
	ds_store_b32 v128, v21 offset:1056
.LBB1774_433:                           ;   in Loop: Header=BB1774_399 Depth=2
	s_wait_alu 0xfffe
	s_or_b32 exec_lo, exec_lo, s15
	v_cmp_gt_i16_e32 vcc_lo, 0, v20
	; wave barrier
	s_wait_alu 0xfffd
	v_cndmask_b32_e64 v21, 0x7fff, 0, vcc_lo
	s_delay_alu instid0(VALU_DEP_1) | instskip(NEXT) | instid1(VALU_DEP_1)
	v_xor_b32_e32 v127, v21, v20
	v_cmp_ne_u16_e32 vcc_lo, 0x8000, v127
	s_wait_alu 0xfffd
	v_cndmask_b32_e32 v20, 0x7fff, v127, vcc_lo
	s_delay_alu instid0(VALU_DEP_1) | instskip(NEXT) | instid1(VALU_DEP_1)
	v_and_b32_e32 v20, 0xffff, v20
	v_lshrrev_b32_e32 v20, s45, v20
	s_delay_alu instid0(VALU_DEP_1) | instskip(NEXT) | instid1(VALU_DEP_1)
	v_and_b32_e32 v21, s42, v20
	v_and_b32_e32 v20, 1, v21
	v_lshlrev_b32_e32 v22, 30, v21
	v_lshlrev_b32_e32 v23, 29, v21
	;; [unrolled: 1-line block ×4, first 2 shown]
	v_add_co_u32 v20, s15, v20, -1
	s_wait_alu 0xf1ff
	v_cndmask_b32_e64 v25, 0, 1, s15
	v_not_b32_e32 v130, v22
	v_cmp_gt_i32_e64 s15, 0, v22
	v_not_b32_e32 v22, v23
	v_lshlrev_b32_e32 v27, 26, v21
	v_cmp_ne_u32_e32 vcc_lo, 0, v25
	v_ashrrev_i32_e32 v130, 31, v130
	v_lshlrev_b32_e32 v129, 25, v21
	v_ashrrev_i32_e32 v22, 31, v22
	v_lshlrev_b32_e32 v25, 24, v21
	s_wait_alu 0xfffd
	v_xor_b32_e32 v20, vcc_lo, v20
	v_cmp_gt_i32_e32 vcc_lo, 0, v23
	v_not_b32_e32 v23, v24
	s_wait_alu 0xf1ff
	v_xor_b32_e32 v130, s15, v130
	v_cmp_gt_i32_e64 s15, 0, v24
	v_and_b32_e32 v20, exec_lo, v20
	v_not_b32_e32 v24, v26
	v_ashrrev_i32_e32 v23, 31, v23
	s_wait_alu 0xfffd
	v_xor_b32_e32 v22, vcc_lo, v22
	v_cmp_gt_i32_e32 vcc_lo, 0, v26
	v_and_b32_e32 v20, v20, v130
	v_not_b32_e32 v26, v27
	v_ashrrev_i32_e32 v24, 31, v24
	s_wait_alu 0xf1ff
	v_xor_b32_e32 v23, s15, v23
	v_cmp_gt_i32_e64 s15, 0, v27
	v_and_b32_e32 v20, v20, v22
	v_not_b32_e32 v22, v129
	v_ashrrev_i32_e32 v26, 31, v26
	s_wait_alu 0xfffd
	v_xor_b32_e32 v24, vcc_lo, v24
	v_cmp_gt_i32_e32 vcc_lo, 0, v129
	v_and_b32_e32 v20, v20, v23
	v_not_b32_e32 v23, v25
	v_ashrrev_i32_e32 v22, 31, v22
	s_wait_alu 0xf1ff
	v_xor_b32_e32 v26, s15, v26
	v_cmp_gt_i32_e64 s15, 0, v25
	v_and_b32_e32 v20, v20, v24
	v_ashrrev_i32_e32 v23, 31, v23
	s_wait_alu 0xfffd
	v_xor_b32_e32 v22, vcc_lo, v22
	v_mad_u32_u24 v24, v21, 36, v92
	v_mul_u32_u24_e32 v21, 36, v21
	v_and_b32_e32 v20, v20, v26
	s_wait_alu 0xf1ff
	v_xor_b32_e32 v23, s15, v23
	ds_load_b32 v129, v24 offset:1056
	v_add_nc_u32_e32 v131, v92, v21
	v_and_b32_e32 v20, v20, v22
	; wave barrier
	s_delay_alu instid0(VALU_DEP_1) | instskip(NEXT) | instid1(VALU_DEP_1)
	v_and_b32_e32 v20, v20, v23
	v_mbcnt_lo_u32_b32 v130, v20, 0
	v_cmp_ne_u32_e64 s15, 0, v20
	s_delay_alu instid0(VALU_DEP_2)
	v_cmp_eq_u32_e32 vcc_lo, 0, v130
	s_and_b32 s16, s15, vcc_lo
	s_wait_alu 0xfffe
	s_and_saveexec_b32 s15, s16
	s_cbranch_execz .LBB1774_435
; %bb.434:                              ;   in Loop: Header=BB1774_399 Depth=2
	s_wait_dscnt 0x0
	v_bcnt_u32_b32 v20, v20, v129
	ds_store_b32 v131, v20 offset:1056
.LBB1774_435:                           ;   in Loop: Header=BB1774_399 Depth=2
	s_wait_alu 0xfffe
	s_or_b32 exec_lo, exec_lo, s15
	; wave barrier
	s_wait_loadcnt_dscnt 0x0
	s_barrier_signal -1
	s_barrier_wait -1
	global_inv scope:SCOPE_SE
	ds_load_2addr_b32 v[26:27], v78 offset1:1
	ds_load_2addr_b32 v[24:25], v79 offset1:1
	ds_load_2addr_b32 v[22:23], v80 offset1:1
	ds_load_2addr_b32 v[20:21], v81 offset1:1
	ds_load_b32 v132, v43 offset:1088
	s_wait_dscnt 0x3
	v_add3_u32 v133, v27, v26, v24
	s_wait_dscnt 0x2
	s_delay_alu instid0(VALU_DEP_1) | instskip(SKIP_1) | instid1(VALU_DEP_1)
	v_add3_u32 v133, v133, v25, v22
	s_wait_dscnt 0x1
	v_add3_u32 v133, v133, v23, v20
	s_wait_dscnt 0x0
	s_delay_alu instid0(VALU_DEP_1) | instskip(NEXT) | instid1(VALU_DEP_1)
	v_add3_u32 v132, v133, v21, v132
	v_mov_b32_dpp v133, v132 row_shr:1 row_mask:0xf bank_mask:0xf
	s_delay_alu instid0(VALU_DEP_1) | instskip(NEXT) | instid1(VALU_DEP_1)
	v_cndmask_b32_e64 v133, v133, 0, s0
	v_add_nc_u32_e32 v132, v133, v132
	s_delay_alu instid0(VALU_DEP_1) | instskip(NEXT) | instid1(VALU_DEP_1)
	v_mov_b32_dpp v133, v132 row_shr:2 row_mask:0xf bank_mask:0xf
	v_cndmask_b32_e64 v133, 0, v133, s1
	s_delay_alu instid0(VALU_DEP_1) | instskip(NEXT) | instid1(VALU_DEP_1)
	v_add_nc_u32_e32 v132, v132, v133
	v_mov_b32_dpp v133, v132 row_shr:4 row_mask:0xf bank_mask:0xf
	s_delay_alu instid0(VALU_DEP_1) | instskip(NEXT) | instid1(VALU_DEP_1)
	v_cndmask_b32_e64 v133, 0, v133, s9
	v_add_nc_u32_e32 v132, v132, v133
	s_delay_alu instid0(VALU_DEP_1) | instskip(NEXT) | instid1(VALU_DEP_1)
	v_mov_b32_dpp v133, v132 row_shr:8 row_mask:0xf bank_mask:0xf
	v_cndmask_b32_e64 v133, 0, v133, s10
	s_delay_alu instid0(VALU_DEP_1) | instskip(SKIP_3) | instid1(VALU_DEP_1)
	v_add_nc_u32_e32 v132, v132, v133
	ds_swizzle_b32 v133, v132 offset:swizzle(BROADCAST,32,15)
	s_wait_dscnt 0x0
	v_cndmask_b32_e64 v133, v133, 0, s11
	v_add_nc_u32_e32 v132, v132, v133
	s_and_saveexec_b32 s15, s3
; %bb.436:                              ;   in Loop: Header=BB1774_399 Depth=2
	ds_store_b32 v38, v132 offset:1024
; %bb.437:                              ;   in Loop: Header=BB1774_399 Depth=2
	s_wait_alu 0xfffe
	s_or_b32 exec_lo, exec_lo, s15
	s_wait_loadcnt_dscnt 0x0
	s_barrier_signal -1
	s_barrier_wait -1
	global_inv scope:SCOPE_SE
	s_and_saveexec_b32 s15, s4
	s_cbranch_execz .LBB1774_439
; %bb.438:                              ;   in Loop: Header=BB1774_399 Depth=2
	ds_load_b32 v133, v46 offset:1024
	s_wait_dscnt 0x0
	v_mov_b32_dpp v134, v133 row_shr:1 row_mask:0xf bank_mask:0xf
	s_delay_alu instid0(VALU_DEP_1) | instskip(NEXT) | instid1(VALU_DEP_1)
	v_cndmask_b32_e64 v134, v134, 0, s12
	v_add_nc_u32_e32 v133, v134, v133
	s_delay_alu instid0(VALU_DEP_1) | instskip(NEXT) | instid1(VALU_DEP_1)
	v_mov_b32_dpp v134, v133 row_shr:2 row_mask:0xf bank_mask:0xf
	v_cndmask_b32_e64 v134, 0, v134, s13
	s_delay_alu instid0(VALU_DEP_1) | instskip(NEXT) | instid1(VALU_DEP_1)
	v_add_nc_u32_e32 v133, v133, v134
	v_mov_b32_dpp v134, v133 row_shr:4 row_mask:0xf bank_mask:0xf
	s_delay_alu instid0(VALU_DEP_1) | instskip(NEXT) | instid1(VALU_DEP_1)
	v_cndmask_b32_e64 v134, 0, v134, s14
	v_add_nc_u32_e32 v133, v133, v134
	ds_store_b32 v46, v133 offset:1024
.LBB1774_439:                           ;   in Loop: Header=BB1774_399 Depth=2
	s_wait_alu 0xfffe
	s_or_b32 exec_lo, exec_lo, s15
	v_mov_b32_e32 v133, 0
	s_wait_loadcnt_dscnt 0x0
	s_barrier_signal -1
	s_barrier_wait -1
	global_inv scope:SCOPE_SE
	s_and_saveexec_b32 s15, s5
; %bb.440:                              ;   in Loop: Header=BB1774_399 Depth=2
	ds_load_b32 v133, v38 offset:1020
; %bb.441:                              ;   in Loop: Header=BB1774_399 Depth=2
	s_wait_alu 0xfffe
	s_or_b32 exec_lo, exec_lo, s15
	s_wait_dscnt 0x0
	v_add_nc_u32_e32 v132, v133, v132
	ds_bpermute_b32 v132, v87, v132
	s_wait_dscnt 0x0
	v_cndmask_b32_e64 v132, v132, v133, s8
	s_delay_alu instid0(VALU_DEP_1) | instskip(NEXT) | instid1(VALU_DEP_1)
	v_cndmask_b32_e64 v132, v132, 0, s6
	v_add_nc_u32_e32 v26, v132, v26
	s_delay_alu instid0(VALU_DEP_1) | instskip(NEXT) | instid1(VALU_DEP_1)
	v_add_nc_u32_e32 v27, v26, v27
	v_add_nc_u32_e32 v24, v27, v24
	s_delay_alu instid0(VALU_DEP_1) | instskip(NEXT) | instid1(VALU_DEP_1)
	v_add_nc_u32_e32 v25, v24, v25
	;; [unrolled: 3-line block ×3, first 2 shown]
	v_add_nc_u32_e32 v20, v23, v20
	s_delay_alu instid0(VALU_DEP_1)
	v_add_nc_u32_e32 v21, v20, v21
	ds_store_2addr_b32 v81, v23, v20 offset1:1
	ds_store_2addr_b32 v78, v132, v26 offset1:1
	;; [unrolled: 1-line block ×4, first 2 shown]
	ds_store_b32 v43, v21 offset:1088
	s_wait_loadcnt_dscnt 0x0
	s_barrier_signal -1
	s_barrier_wait -1
	global_inv scope:SCOPE_SE
	ds_load_b32 v23, v104 offset:1056
	ds_load_b32 v24, v108 offset:1056
	;; [unrolled: 1-line block ×9, first 2 shown]
	v_mov_b32_e32 v22, 0x800
	s_and_saveexec_b32 s15, s7
; %bb.442:                              ;   in Loop: Header=BB1774_399 Depth=2
	ds_load_b32 v22, v43 offset:1092
; %bb.443:                              ;   in Loop: Header=BB1774_399 Depth=2
	s_wait_alu 0xfffe
	s_or_b32 exec_lo, exec_lo, s15
	s_wait_loadcnt_dscnt 0x0
	s_barrier_signal -1
	s_barrier_wait -1
	global_inv scope:SCOPE_SE
	s_and_saveexec_b32 s15, s2
	s_cbranch_execz .LBB1774_445
; %bb.444:                              ;   in Loop: Header=BB1774_399 Depth=2
	ds_load_b32 v108, v28
	s_wait_dscnt 0x0
	v_sub_nc_u32_e32 v104, v108, v104
	ds_store_b32 v28, v104
.LBB1774_445:                           ;   in Loop: Header=BB1774_399 Depth=2
	s_wait_alu 0xfffe
	s_or_b32 exec_lo, exec_lo, s15
	v_add_nc_u32_e32 v108, v23, v102
	v_add3_u32 v104, v106, v105, v24
	v_add3_u32 v102, v111, v109, v25
	;; [unrolled: 1-line block ×4, first 2 shown]
	v_lshlrev_b32_e32 v105, 1, v108
	v_lshlrev_b32_e32 v106, 1, v104
	v_add3_u32 v23, v123, v121, v112
	v_lshlrev_b32_e32 v109, 1, v102
	v_add3_u32 v27, v126, v125, v20
	v_add3_u32 v26, v130, v129, v21
	ds_store_b16 v105, v2 offset:1024
	ds_store_b16 v106, v103 offset:1024
	;; [unrolled: 1-line block ×3, first 2 shown]
	v_lshlrev_b32_e32 v2, 1, v25
	v_cmp_lt_u32_e32 vcc_lo, v1, v101
	v_lshlrev_b32_e32 v20, 1, v24
	v_lshlrev_b32_e32 v21, 1, v23
	;; [unrolled: 1-line block ×4, first 2 shown]
	ds_store_b16 v2, v110 offset:1024
	ds_store_b16 v20, v114 offset:1024
	;; [unrolled: 1-line block ×5, first 2 shown]
	s_wait_loadcnt_dscnt 0x0
	s_barrier_signal -1
	s_barrier_wait -1
	global_inv scope:SCOPE_SE
	s_and_saveexec_b32 s16, vcc_lo
	s_cbranch_execnz .LBB1774_482
; %bb.446:                              ;   in Loop: Header=BB1774_399 Depth=2
	s_wait_alu 0xfffe
	s_or_b32 exec_lo, exec_lo, s16
	v_cmp_lt_u32_e64 s15, v29, v101
	s_and_saveexec_b32 s17, s15
	s_cbranch_execnz .LBB1774_483
.LBB1774_447:                           ;   in Loop: Header=BB1774_399 Depth=2
	s_wait_alu 0xfffe
	s_or_b32 exec_lo, exec_lo, s17
	v_cmp_lt_u32_e64 s16, v30, v101
	s_and_saveexec_b32 s18, s16
	s_cbranch_execnz .LBB1774_484
.LBB1774_448:                           ;   in Loop: Header=BB1774_399 Depth=2
	s_wait_alu 0xfffe
	s_or_b32 exec_lo, exec_lo, s18
	v_cmp_lt_u32_e64 s17, v31, v101
	s_and_saveexec_b32 s19, s17
	s_cbranch_execnz .LBB1774_485
.LBB1774_449:                           ;   in Loop: Header=BB1774_399 Depth=2
	s_wait_alu 0xfffe
	s_or_b32 exec_lo, exec_lo, s19
	v_cmp_lt_u32_e64 s18, v34, v101
	s_and_saveexec_b32 s20, s18
	s_cbranch_execnz .LBB1774_486
.LBB1774_450:                           ;   in Loop: Header=BB1774_399 Depth=2
	s_wait_alu 0xfffe
	s_or_b32 exec_lo, exec_lo, s20
	v_cmp_lt_u32_e64 s19, v35, v101
	s_and_saveexec_b32 s21, s19
	s_cbranch_execnz .LBB1774_487
.LBB1774_451:                           ;   in Loop: Header=BB1774_399 Depth=2
	s_wait_alu 0xfffe
	s_or_b32 exec_lo, exec_lo, s21
	v_cmp_lt_u32_e64 s20, v36, v101
	s_and_saveexec_b32 s22, s20
	s_cbranch_execnz .LBB1774_488
.LBB1774_452:                           ;   in Loop: Header=BB1774_399 Depth=2
	s_wait_alu 0xfffe
	s_or_b32 exec_lo, exec_lo, s22
	v_cmp_lt_u32_e64 s21, v37, v101
	s_and_saveexec_b32 s48, s21
	s_cbranch_execz .LBB1774_454
.LBB1774_453:                           ;   in Loop: Header=BB1774_399 Depth=2
	ds_load_u16 v103, v47 offset:4608
	s_wait_dscnt 0x0
	v_cmp_ne_u16_e64 s22, 0x8000, v103
	s_wait_alu 0xf1ff
	s_delay_alu instid0(VALU_DEP_1) | instskip(SKIP_1) | instid1(VALU_DEP_2)
	v_cndmask_b32_e64 v2, 0x7fff, v103, s22
	v_cmp_gt_i16_e64 s22, 0, v103
	v_and_b32_e32 v2, 0xffff, v2
	s_wait_alu 0xf1ff
	s_delay_alu instid0(VALU_DEP_2) | instskip(NEXT) | instid1(VALU_DEP_2)
	v_cndmask_b32_e64 v105, 0x7fff, 0, s22
	v_lshrrev_b32_e32 v2, s45, v2
	s_delay_alu instid0(VALU_DEP_1) | instskip(NEXT) | instid1(VALU_DEP_1)
	v_and_b32_e32 v2, s42, v2
	v_lshlrev_b32_e32 v2, 2, v2
	ds_load_b32 v2, v2
	s_wait_dscnt 0x0
	v_add_nc_u32_e32 v2, v2, v37
	s_delay_alu instid0(VALU_DEP_1) | instskip(SKIP_1) | instid1(VALU_DEP_2)
	v_lshlrev_b64_e32 v[20:21], 1, v[2:3]
	v_xor_b32_e32 v2, v105, v103
	v_add_co_u32 v20, s22, s38, v20
	s_wait_alu 0xf1ff
	s_delay_alu instid0(VALU_DEP_3)
	v_add_co_ci_u32_e64 v21, null, s39, v21, s22
	global_store_b16 v[20:21], v2, off
.LBB1774_454:                           ;   in Loop: Header=BB1774_399 Depth=2
	s_wait_alu 0xfffe
	s_or_b32 exec_lo, exec_lo, s48
	s_lshl_b64 s[48:49], s[30:31], 3
	s_wait_alu 0xfffe
	v_add_co_u32 v20, s22, v88, s48
	s_wait_alu 0xf1ff
	v_add_co_ci_u32_e64 v21, null, s49, v89, s22
	v_cmp_lt_u32_e64 s22, v66, v101
	s_and_saveexec_b32 s30, s22
	s_wait_alu 0xfffe
	s_xor_b32 s22, exec_lo, s30
	s_cbranch_execnz .LBB1774_489
; %bb.455:                              ;   in Loop: Header=BB1774_399 Depth=2
	s_wait_alu 0xfffe
	s_or_b32 exec_lo, exec_lo, s22
	s_delay_alu instid0(SALU_CYCLE_1)
	s_mov_b32 s30, exec_lo
	v_cmpx_lt_u32_e64 v70, v101
	s_cbranch_execnz .LBB1774_490
.LBB1774_456:                           ;   in Loop: Header=BB1774_399 Depth=2
	s_wait_alu 0xfffe
	s_or_b32 exec_lo, exec_lo, s30
	s_delay_alu instid0(SALU_CYCLE_1)
	s_mov_b32 s30, exec_lo
	v_cmpx_lt_u32_e64 v71, v101
	s_cbranch_execnz .LBB1774_491
.LBB1774_457:                           ;   in Loop: Header=BB1774_399 Depth=2
	s_wait_alu 0xfffe
	s_or_b32 exec_lo, exec_lo, s30
	s_delay_alu instid0(SALU_CYCLE_1)
	s_mov_b32 s30, exec_lo
	v_cmpx_lt_u32_e64 v72, v101
	s_cbranch_execnz .LBB1774_492
.LBB1774_458:                           ;   in Loop: Header=BB1774_399 Depth=2
	s_wait_alu 0xfffe
	s_or_b32 exec_lo, exec_lo, s30
	s_delay_alu instid0(SALU_CYCLE_1)
	s_mov_b32 s30, exec_lo
	v_cmpx_lt_u32_e64 v73, v101
	s_cbranch_execnz .LBB1774_493
.LBB1774_459:                           ;   in Loop: Header=BB1774_399 Depth=2
	s_wait_alu 0xfffe
	s_or_b32 exec_lo, exec_lo, s30
	s_delay_alu instid0(SALU_CYCLE_1)
	s_mov_b32 s30, exec_lo
	v_cmpx_lt_u32_e64 v74, v101
	s_cbranch_execnz .LBB1774_494
.LBB1774_460:                           ;   in Loop: Header=BB1774_399 Depth=2
	s_wait_alu 0xfffe
	s_or_b32 exec_lo, exec_lo, s30
	s_delay_alu instid0(SALU_CYCLE_1)
	s_mov_b32 s30, exec_lo
	v_cmpx_lt_u32_e64 v75, v101
	s_cbranch_execnz .LBB1774_495
.LBB1774_461:                           ;   in Loop: Header=BB1774_399 Depth=2
	s_wait_alu 0xfffe
	s_or_b32 exec_lo, exec_lo, s30
	s_delay_alu instid0(SALU_CYCLE_1)
	s_mov_b32 s30, exec_lo
	v_cmpx_lt_u32_e64 v76, v101
	s_cbranch_execnz .LBB1774_496
.LBB1774_462:                           ;   in Loop: Header=BB1774_399 Depth=2
	s_wait_alu 0xfffe
	s_or_b32 exec_lo, exec_lo, s30
	s_and_saveexec_b32 s30, vcc_lo
	s_cbranch_execnz .LBB1774_497
.LBB1774_463:                           ;   in Loop: Header=BB1774_399 Depth=2
	s_wait_alu 0xfffe
	s_or_b32 exec_lo, exec_lo, s30
	s_and_saveexec_b32 s30, s15
	s_cbranch_execnz .LBB1774_498
.LBB1774_464:                           ;   in Loop: Header=BB1774_399 Depth=2
	s_wait_alu 0xfffe
	s_or_b32 exec_lo, exec_lo, s30
	s_and_saveexec_b32 s30, s16
	s_cbranch_execnz .LBB1774_499
.LBB1774_465:                           ;   in Loop: Header=BB1774_399 Depth=2
	s_wait_alu 0xfffe
	s_or_b32 exec_lo, exec_lo, s30
	s_and_saveexec_b32 s30, s17
	s_cbranch_execnz .LBB1774_500
.LBB1774_466:                           ;   in Loop: Header=BB1774_399 Depth=2
	s_wait_alu 0xfffe
	s_or_b32 exec_lo, exec_lo, s30
	s_and_saveexec_b32 s30, s18
	s_cbranch_execnz .LBB1774_501
.LBB1774_467:                           ;   in Loop: Header=BB1774_399 Depth=2
	s_wait_alu 0xfffe
	s_or_b32 exec_lo, exec_lo, s30
	s_and_saveexec_b32 s30, s19
	s_cbranch_execnz .LBB1774_502
.LBB1774_468:                           ;   in Loop: Header=BB1774_399 Depth=2
	s_wait_alu 0xfffe
	s_or_b32 exec_lo, exec_lo, s30
	s_and_saveexec_b32 s30, s20
	s_cbranch_execnz .LBB1774_503
.LBB1774_469:                           ;   in Loop: Header=BB1774_399 Depth=2
	s_wait_alu 0xfffe
	s_or_b32 exec_lo, exec_lo, s30
	s_and_saveexec_b32 s30, s21
	s_cbranch_execz .LBB1774_471
.LBB1774_470:                           ;   in Loop: Header=BB1774_399 Depth=2
	ds_load_u16 v2, v47 offset:4608
	s_wait_dscnt 0x0
	v_cmp_ne_u16_e64 s22, 0x8000, v2
	s_wait_alu 0xf1ff
	s_delay_alu instid0(VALU_DEP_1) | instskip(NEXT) | instid1(VALU_DEP_1)
	v_cndmask_b32_e64 v2, 0x7fff, v2, s22
	v_and_b32_e32 v2, 0xffff, v2
	s_delay_alu instid0(VALU_DEP_1) | instskip(NEXT) | instid1(VALU_DEP_1)
	v_lshrrev_b32_e32 v2, s45, v2
	v_and_b32_e32 v93, s42, v2
.LBB1774_471:                           ;   in Loop: Header=BB1774_399 Depth=2
	s_wait_alu 0xfffe
	s_or_b32 exec_lo, exec_lo, s30
	v_lshlrev_b32_e32 v2, 3, v108
	v_lshlrev_b32_e32 v20, 3, v104
	;; [unrolled: 1-line block ×3, first 2 shown]
	s_wait_loadcnt 0x0
	s_wait_storecnt 0x0
	s_barrier_signal -1
	s_barrier_wait -1
	global_inv scope:SCOPE_SE
	ds_store_b64 v2, v[18:19] offset:1024
	ds_store_b64 v20, v[16:17] offset:1024
	;; [unrolled: 1-line block ×3, first 2 shown]
	v_lshlrev_b32_e32 v2, 3, v25
	v_lshlrev_b32_e32 v20, 3, v24
	;; [unrolled: 1-line block ×5, first 2 shown]
	ds_store_b64 v2, v[12:13] offset:1024
	ds_store_b64 v20, v[10:11] offset:1024
	;; [unrolled: 1-line block ×5, first 2 shown]
	s_wait_loadcnt_dscnt 0x0
	s_barrier_signal -1
	s_barrier_wait -1
	global_inv scope:SCOPE_SE
	s_and_saveexec_b32 s22, vcc_lo
	s_cbranch_execnz .LBB1774_504
; %bb.472:                              ;   in Loop: Header=BB1774_399 Depth=2
	s_wait_alu 0xfffe
	s_or_b32 exec_lo, exec_lo, s22
	s_and_saveexec_b32 s22, s15
	s_cbranch_execnz .LBB1774_505
.LBB1774_473:                           ;   in Loop: Header=BB1774_399 Depth=2
	s_wait_alu 0xfffe
	s_or_b32 exec_lo, exec_lo, s22
	s_and_saveexec_b32 s15, s16
	s_cbranch_execnz .LBB1774_506
.LBB1774_474:                           ;   in Loop: Header=BB1774_399 Depth=2
	s_wait_alu 0xfffe
	s_or_b32 exec_lo, exec_lo, s15
	s_and_saveexec_b32 s15, s17
	s_cbranch_execnz .LBB1774_507
.LBB1774_475:                           ;   in Loop: Header=BB1774_399 Depth=2
	s_wait_alu 0xfffe
	s_or_b32 exec_lo, exec_lo, s15
	s_and_saveexec_b32 s15, s18
	s_cbranch_execnz .LBB1774_508
.LBB1774_476:                           ;   in Loop: Header=BB1774_399 Depth=2
	s_wait_alu 0xfffe
	s_or_b32 exec_lo, exec_lo, s15
	s_and_saveexec_b32 s15, s19
	s_cbranch_execnz .LBB1774_509
.LBB1774_477:                           ;   in Loop: Header=BB1774_399 Depth=2
	s_wait_alu 0xfffe
	s_or_b32 exec_lo, exec_lo, s15
	s_and_saveexec_b32 s15, s20
	s_cbranch_execnz .LBB1774_510
.LBB1774_478:                           ;   in Loop: Header=BB1774_399 Depth=2
	s_wait_alu 0xfffe
	s_or_b32 exec_lo, exec_lo, s15
	s_and_saveexec_b32 s15, s21
	s_cbranch_execz .LBB1774_480
.LBB1774_479:                           ;   in Loop: Header=BB1774_399 Depth=2
	v_lshlrev_b32_e32 v2, 2, v93
	v_add_nc_u32_e32 v20, v47, v48
	ds_load_b32 v2, v2
	ds_load_b64 v[20:21], v20 offset:15360
	s_wait_dscnt 0x1
	v_add_nc_u32_e32 v2, v2, v37
	s_delay_alu instid0(VALU_DEP_1) | instskip(NEXT) | instid1(VALU_DEP_1)
	v_lshlrev_b64_e32 v[23:24], 3, v[2:3]
	v_add_co_u32 v23, vcc_lo, s24, v23
	s_wait_alu 0xfffd
	s_delay_alu instid0(VALU_DEP_2)
	v_add_co_ci_u32_e64 v24, null, s25, v24, vcc_lo
	s_wait_dscnt 0x0
	global_store_b64 v[23:24], v[20:21], off
.LBB1774_480:                           ;   in Loop: Header=BB1774_399 Depth=2
	s_wait_alu 0xfffe
	s_or_b32 exec_lo, exec_lo, s15
	s_wait_loadcnt 0x0
	s_wait_storecnt 0x0
	s_barrier_signal -1
	s_barrier_wait -1
	global_inv scope:SCOPE_SE
	s_and_saveexec_b32 s15, s2
	s_cbranch_execz .LBB1774_398
; %bb.481:                              ;   in Loop: Header=BB1774_399 Depth=2
	ds_load_b32 v2, v28
	s_wait_dscnt 0x0
	v_add_nc_u32_e32 v2, v2, v22
	ds_store_b32 v28, v2
	s_branch .LBB1774_398
.LBB1774_482:                           ;   in Loop: Header=BB1774_399 Depth=2
	ds_load_u16 v103, v47 offset:1024
	s_wait_dscnt 0x0
	v_cmp_ne_u16_e64 s15, 0x8000, v103
	s_wait_alu 0xf1ff
	s_delay_alu instid0(VALU_DEP_1) | instskip(SKIP_1) | instid1(VALU_DEP_2)
	v_cndmask_b32_e64 v2, 0x7fff, v103, s15
	v_cmp_gt_i16_e64 s15, 0, v103
	v_and_b32_e32 v2, 0xffff, v2
	s_wait_alu 0xf1ff
	s_delay_alu instid0(VALU_DEP_2) | instskip(NEXT) | instid1(VALU_DEP_2)
	v_cndmask_b32_e64 v105, 0x7fff, 0, s15
	v_lshrrev_b32_e32 v2, s45, v2
	s_delay_alu instid0(VALU_DEP_1) | instskip(NEXT) | instid1(VALU_DEP_1)
	v_and_b32_e32 v2, s42, v2
	v_lshlrev_b32_e32 v2, 2, v2
	ds_load_b32 v2, v2
	s_wait_dscnt 0x0
	v_add_nc_u32_e32 v2, v2, v1
	s_delay_alu instid0(VALU_DEP_1) | instskip(SKIP_1) | instid1(VALU_DEP_2)
	v_lshlrev_b64_e32 v[20:21], 1, v[2:3]
	v_xor_b32_e32 v2, v105, v103
	v_add_co_u32 v20, s15, s38, v20
	s_wait_alu 0xf1ff
	s_delay_alu instid0(VALU_DEP_3)
	v_add_co_ci_u32_e64 v21, null, s39, v21, s15
	global_store_b16 v[20:21], v2, off
	s_wait_alu 0xfffe
	s_or_b32 exec_lo, exec_lo, s16
	v_cmp_lt_u32_e64 s15, v29, v101
	s_and_saveexec_b32 s17, s15
	s_cbranch_execz .LBB1774_447
.LBB1774_483:                           ;   in Loop: Header=BB1774_399 Depth=2
	ds_load_u16 v103, v47 offset:1536
	s_wait_dscnt 0x0
	v_cmp_ne_u16_e64 s16, 0x8000, v103
	s_wait_alu 0xf1ff
	s_delay_alu instid0(VALU_DEP_1) | instskip(SKIP_1) | instid1(VALU_DEP_2)
	v_cndmask_b32_e64 v2, 0x7fff, v103, s16
	v_cmp_gt_i16_e64 s16, 0, v103
	v_and_b32_e32 v2, 0xffff, v2
	s_wait_alu 0xf1ff
	s_delay_alu instid0(VALU_DEP_2) | instskip(NEXT) | instid1(VALU_DEP_2)
	v_cndmask_b32_e64 v105, 0x7fff, 0, s16
	v_lshrrev_b32_e32 v2, s45, v2
	s_delay_alu instid0(VALU_DEP_1) | instskip(NEXT) | instid1(VALU_DEP_1)
	v_and_b32_e32 v2, s42, v2
	v_lshlrev_b32_e32 v2, 2, v2
	ds_load_b32 v2, v2
	s_wait_dscnt 0x0
	v_add_nc_u32_e32 v2, v2, v29
	s_delay_alu instid0(VALU_DEP_1) | instskip(SKIP_1) | instid1(VALU_DEP_2)
	v_lshlrev_b64_e32 v[20:21], 1, v[2:3]
	v_xor_b32_e32 v2, v105, v103
	v_add_co_u32 v20, s16, s38, v20
	s_wait_alu 0xf1ff
	s_delay_alu instid0(VALU_DEP_3)
	v_add_co_ci_u32_e64 v21, null, s39, v21, s16
	global_store_b16 v[20:21], v2, off
	s_wait_alu 0xfffe
	s_or_b32 exec_lo, exec_lo, s17
	v_cmp_lt_u32_e64 s16, v30, v101
	s_and_saveexec_b32 s18, s16
	s_cbranch_execz .LBB1774_448
.LBB1774_484:                           ;   in Loop: Header=BB1774_399 Depth=2
	ds_load_u16 v103, v47 offset:2048
	s_wait_dscnt 0x0
	v_cmp_ne_u16_e64 s17, 0x8000, v103
	s_wait_alu 0xf1ff
	s_delay_alu instid0(VALU_DEP_1) | instskip(SKIP_1) | instid1(VALU_DEP_2)
	v_cndmask_b32_e64 v2, 0x7fff, v103, s17
	v_cmp_gt_i16_e64 s17, 0, v103
	v_and_b32_e32 v2, 0xffff, v2
	s_wait_alu 0xf1ff
	s_delay_alu instid0(VALU_DEP_2) | instskip(NEXT) | instid1(VALU_DEP_2)
	v_cndmask_b32_e64 v105, 0x7fff, 0, s17
	v_lshrrev_b32_e32 v2, s45, v2
	s_delay_alu instid0(VALU_DEP_1) | instskip(NEXT) | instid1(VALU_DEP_1)
	v_and_b32_e32 v2, s42, v2
	v_lshlrev_b32_e32 v2, 2, v2
	ds_load_b32 v2, v2
	s_wait_dscnt 0x0
	v_add_nc_u32_e32 v2, v2, v30
	s_delay_alu instid0(VALU_DEP_1) | instskip(SKIP_1) | instid1(VALU_DEP_2)
	v_lshlrev_b64_e32 v[20:21], 1, v[2:3]
	v_xor_b32_e32 v2, v105, v103
	v_add_co_u32 v20, s17, s38, v20
	s_wait_alu 0xf1ff
	s_delay_alu instid0(VALU_DEP_3)
	v_add_co_ci_u32_e64 v21, null, s39, v21, s17
	global_store_b16 v[20:21], v2, off
	s_wait_alu 0xfffe
	s_or_b32 exec_lo, exec_lo, s18
	v_cmp_lt_u32_e64 s17, v31, v101
	s_and_saveexec_b32 s19, s17
	s_cbranch_execz .LBB1774_449
.LBB1774_485:                           ;   in Loop: Header=BB1774_399 Depth=2
	ds_load_u16 v103, v47 offset:2560
	s_wait_dscnt 0x0
	v_cmp_ne_u16_e64 s18, 0x8000, v103
	s_wait_alu 0xf1ff
	s_delay_alu instid0(VALU_DEP_1) | instskip(SKIP_1) | instid1(VALU_DEP_2)
	v_cndmask_b32_e64 v2, 0x7fff, v103, s18
	v_cmp_gt_i16_e64 s18, 0, v103
	v_and_b32_e32 v2, 0xffff, v2
	s_wait_alu 0xf1ff
	s_delay_alu instid0(VALU_DEP_2) | instskip(NEXT) | instid1(VALU_DEP_2)
	v_cndmask_b32_e64 v105, 0x7fff, 0, s18
	v_lshrrev_b32_e32 v2, s45, v2
	s_delay_alu instid0(VALU_DEP_1) | instskip(NEXT) | instid1(VALU_DEP_1)
	v_and_b32_e32 v2, s42, v2
	v_lshlrev_b32_e32 v2, 2, v2
	ds_load_b32 v2, v2
	s_wait_dscnt 0x0
	v_add_nc_u32_e32 v2, v2, v31
	s_delay_alu instid0(VALU_DEP_1) | instskip(SKIP_1) | instid1(VALU_DEP_2)
	v_lshlrev_b64_e32 v[20:21], 1, v[2:3]
	v_xor_b32_e32 v2, v105, v103
	v_add_co_u32 v20, s18, s38, v20
	s_wait_alu 0xf1ff
	s_delay_alu instid0(VALU_DEP_3)
	v_add_co_ci_u32_e64 v21, null, s39, v21, s18
	global_store_b16 v[20:21], v2, off
	s_wait_alu 0xfffe
	s_or_b32 exec_lo, exec_lo, s19
	v_cmp_lt_u32_e64 s18, v34, v101
	s_and_saveexec_b32 s20, s18
	s_cbranch_execz .LBB1774_450
.LBB1774_486:                           ;   in Loop: Header=BB1774_399 Depth=2
	ds_load_u16 v103, v47 offset:3072
	s_wait_dscnt 0x0
	v_cmp_ne_u16_e64 s19, 0x8000, v103
	s_wait_alu 0xf1ff
	s_delay_alu instid0(VALU_DEP_1) | instskip(SKIP_1) | instid1(VALU_DEP_2)
	v_cndmask_b32_e64 v2, 0x7fff, v103, s19
	v_cmp_gt_i16_e64 s19, 0, v103
	v_and_b32_e32 v2, 0xffff, v2
	s_wait_alu 0xf1ff
	s_delay_alu instid0(VALU_DEP_2) | instskip(NEXT) | instid1(VALU_DEP_2)
	v_cndmask_b32_e64 v105, 0x7fff, 0, s19
	v_lshrrev_b32_e32 v2, s45, v2
	s_delay_alu instid0(VALU_DEP_1) | instskip(NEXT) | instid1(VALU_DEP_1)
	v_and_b32_e32 v2, s42, v2
	v_lshlrev_b32_e32 v2, 2, v2
	ds_load_b32 v2, v2
	s_wait_dscnt 0x0
	v_add_nc_u32_e32 v2, v2, v34
	s_delay_alu instid0(VALU_DEP_1) | instskip(SKIP_1) | instid1(VALU_DEP_2)
	v_lshlrev_b64_e32 v[20:21], 1, v[2:3]
	v_xor_b32_e32 v2, v105, v103
	v_add_co_u32 v20, s19, s38, v20
	s_wait_alu 0xf1ff
	s_delay_alu instid0(VALU_DEP_3)
	v_add_co_ci_u32_e64 v21, null, s39, v21, s19
	global_store_b16 v[20:21], v2, off
	s_wait_alu 0xfffe
	s_or_b32 exec_lo, exec_lo, s20
	v_cmp_lt_u32_e64 s19, v35, v101
	s_and_saveexec_b32 s21, s19
	s_cbranch_execz .LBB1774_451
.LBB1774_487:                           ;   in Loop: Header=BB1774_399 Depth=2
	ds_load_u16 v103, v47 offset:3584
	s_wait_dscnt 0x0
	v_cmp_ne_u16_e64 s20, 0x8000, v103
	s_wait_alu 0xf1ff
	s_delay_alu instid0(VALU_DEP_1) | instskip(SKIP_1) | instid1(VALU_DEP_2)
	v_cndmask_b32_e64 v2, 0x7fff, v103, s20
	v_cmp_gt_i16_e64 s20, 0, v103
	v_and_b32_e32 v2, 0xffff, v2
	s_wait_alu 0xf1ff
	s_delay_alu instid0(VALU_DEP_2) | instskip(NEXT) | instid1(VALU_DEP_2)
	v_cndmask_b32_e64 v105, 0x7fff, 0, s20
	v_lshrrev_b32_e32 v2, s45, v2
	s_delay_alu instid0(VALU_DEP_1) | instskip(NEXT) | instid1(VALU_DEP_1)
	v_and_b32_e32 v2, s42, v2
	v_lshlrev_b32_e32 v2, 2, v2
	ds_load_b32 v2, v2
	s_wait_dscnt 0x0
	v_add_nc_u32_e32 v2, v2, v35
	s_delay_alu instid0(VALU_DEP_1) | instskip(SKIP_1) | instid1(VALU_DEP_2)
	v_lshlrev_b64_e32 v[20:21], 1, v[2:3]
	v_xor_b32_e32 v2, v105, v103
	v_add_co_u32 v20, s20, s38, v20
	s_wait_alu 0xf1ff
	s_delay_alu instid0(VALU_DEP_3)
	v_add_co_ci_u32_e64 v21, null, s39, v21, s20
	global_store_b16 v[20:21], v2, off
	s_wait_alu 0xfffe
	s_or_b32 exec_lo, exec_lo, s21
	v_cmp_lt_u32_e64 s20, v36, v101
	s_and_saveexec_b32 s22, s20
	s_cbranch_execz .LBB1774_452
.LBB1774_488:                           ;   in Loop: Header=BB1774_399 Depth=2
	ds_load_u16 v103, v47 offset:4096
	s_wait_dscnt 0x0
	v_cmp_ne_u16_e64 s21, 0x8000, v103
	s_wait_alu 0xf1ff
	s_delay_alu instid0(VALU_DEP_1) | instskip(SKIP_1) | instid1(VALU_DEP_2)
	v_cndmask_b32_e64 v2, 0x7fff, v103, s21
	v_cmp_gt_i16_e64 s21, 0, v103
	v_and_b32_e32 v2, 0xffff, v2
	s_wait_alu 0xf1ff
	s_delay_alu instid0(VALU_DEP_2) | instskip(NEXT) | instid1(VALU_DEP_2)
	v_cndmask_b32_e64 v105, 0x7fff, 0, s21
	v_lshrrev_b32_e32 v2, s45, v2
	s_delay_alu instid0(VALU_DEP_1) | instskip(NEXT) | instid1(VALU_DEP_1)
	v_and_b32_e32 v2, s42, v2
	v_lshlrev_b32_e32 v2, 2, v2
	ds_load_b32 v2, v2
	s_wait_dscnt 0x0
	v_add_nc_u32_e32 v2, v2, v36
	s_delay_alu instid0(VALU_DEP_1) | instskip(SKIP_1) | instid1(VALU_DEP_2)
	v_lshlrev_b64_e32 v[20:21], 1, v[2:3]
	v_xor_b32_e32 v2, v105, v103
	v_add_co_u32 v20, s21, s38, v20
	s_wait_alu 0xf1ff
	s_delay_alu instid0(VALU_DEP_3)
	v_add_co_ci_u32_e64 v21, null, s39, v21, s21
	global_store_b16 v[20:21], v2, off
	s_wait_alu 0xfffe
	s_or_b32 exec_lo, exec_lo, s22
	v_cmp_lt_u32_e64 s21, v37, v101
	s_and_saveexec_b32 s48, s21
	s_cbranch_execnz .LBB1774_453
	s_branch .LBB1774_454
.LBB1774_489:                           ;   in Loop: Header=BB1774_399 Depth=2
	global_load_b64 v[18:19], v[20:21], off
	s_wait_alu 0xfffe
	s_or_b32 exec_lo, exec_lo, s22
	s_delay_alu instid0(SALU_CYCLE_1)
	s_mov_b32 s30, exec_lo
	v_cmpx_lt_u32_e64 v70, v101
	s_cbranch_execz .LBB1774_456
.LBB1774_490:                           ;   in Loop: Header=BB1774_399 Depth=2
	global_load_b64 v[16:17], v[20:21], off offset:256
	s_wait_alu 0xfffe
	s_or_b32 exec_lo, exec_lo, s30
	s_delay_alu instid0(SALU_CYCLE_1)
	s_mov_b32 s30, exec_lo
	v_cmpx_lt_u32_e64 v71, v101
	s_cbranch_execz .LBB1774_457
.LBB1774_491:                           ;   in Loop: Header=BB1774_399 Depth=2
	global_load_b64 v[14:15], v[20:21], off offset:512
	s_wait_alu 0xfffe
	s_or_b32 exec_lo, exec_lo, s30
	s_delay_alu instid0(SALU_CYCLE_1)
	s_mov_b32 s30, exec_lo
	v_cmpx_lt_u32_e64 v72, v101
	s_cbranch_execz .LBB1774_458
.LBB1774_492:                           ;   in Loop: Header=BB1774_399 Depth=2
	global_load_b64 v[12:13], v[20:21], off offset:768
	s_wait_alu 0xfffe
	s_or_b32 exec_lo, exec_lo, s30
	s_delay_alu instid0(SALU_CYCLE_1)
	s_mov_b32 s30, exec_lo
	v_cmpx_lt_u32_e64 v73, v101
	s_cbranch_execz .LBB1774_459
.LBB1774_493:                           ;   in Loop: Header=BB1774_399 Depth=2
	global_load_b64 v[10:11], v[20:21], off offset:1024
	s_wait_alu 0xfffe
	s_or_b32 exec_lo, exec_lo, s30
	s_delay_alu instid0(SALU_CYCLE_1)
	s_mov_b32 s30, exec_lo
	v_cmpx_lt_u32_e64 v74, v101
	s_cbranch_execz .LBB1774_460
.LBB1774_494:                           ;   in Loop: Header=BB1774_399 Depth=2
	global_load_b64 v[8:9], v[20:21], off offset:1280
	s_wait_alu 0xfffe
	s_or_b32 exec_lo, exec_lo, s30
	s_delay_alu instid0(SALU_CYCLE_1)
	s_mov_b32 s30, exec_lo
	v_cmpx_lt_u32_e64 v75, v101
	s_cbranch_execz .LBB1774_461
.LBB1774_495:                           ;   in Loop: Header=BB1774_399 Depth=2
	global_load_b64 v[6:7], v[20:21], off offset:1536
	s_wait_alu 0xfffe
	s_or_b32 exec_lo, exec_lo, s30
	s_delay_alu instid0(SALU_CYCLE_1)
	s_mov_b32 s30, exec_lo
	v_cmpx_lt_u32_e64 v76, v101
	s_cbranch_execz .LBB1774_462
.LBB1774_496:                           ;   in Loop: Header=BB1774_399 Depth=2
	global_load_b64 v[4:5], v[20:21], off offset:1792
	s_wait_alu 0xfffe
	s_or_b32 exec_lo, exec_lo, s30
	s_and_saveexec_b32 s30, vcc_lo
	s_cbranch_execz .LBB1774_463
.LBB1774_497:                           ;   in Loop: Header=BB1774_399 Depth=2
	ds_load_u16 v2, v47 offset:1024
	s_wait_dscnt 0x0
	v_cmp_ne_u16_e64 s22, 0x8000, v2
	s_wait_alu 0xf1ff
	s_delay_alu instid0(VALU_DEP_1) | instskip(NEXT) | instid1(VALU_DEP_1)
	v_cndmask_b32_e64 v2, 0x7fff, v2, s22
	v_and_b32_e32 v2, 0xffff, v2
	s_delay_alu instid0(VALU_DEP_1) | instskip(NEXT) | instid1(VALU_DEP_1)
	v_lshrrev_b32_e32 v2, s45, v2
	v_and_b32_e32 v100, s42, v2
	s_wait_alu 0xfffe
	s_or_b32 exec_lo, exec_lo, s30
	s_and_saveexec_b32 s30, s15
	s_cbranch_execz .LBB1774_464
.LBB1774_498:                           ;   in Loop: Header=BB1774_399 Depth=2
	ds_load_u16 v2, v47 offset:1536
	s_wait_dscnt 0x0
	v_cmp_ne_u16_e64 s22, 0x8000, v2
	s_wait_alu 0xf1ff
	s_delay_alu instid0(VALU_DEP_1) | instskip(NEXT) | instid1(VALU_DEP_1)
	v_cndmask_b32_e64 v2, 0x7fff, v2, s22
	v_and_b32_e32 v2, 0xffff, v2
	s_delay_alu instid0(VALU_DEP_1) | instskip(NEXT) | instid1(VALU_DEP_1)
	v_lshrrev_b32_e32 v2, s45, v2
	v_and_b32_e32 v99, s42, v2
	s_wait_alu 0xfffe
	s_or_b32 exec_lo, exec_lo, s30
	s_and_saveexec_b32 s30, s16
	s_cbranch_execz .LBB1774_465
.LBB1774_499:                           ;   in Loop: Header=BB1774_399 Depth=2
	ds_load_u16 v2, v47 offset:2048
	s_wait_dscnt 0x0
	v_cmp_ne_u16_e64 s22, 0x8000, v2
	s_wait_alu 0xf1ff
	s_delay_alu instid0(VALU_DEP_1) | instskip(NEXT) | instid1(VALU_DEP_1)
	v_cndmask_b32_e64 v2, 0x7fff, v2, s22
	v_and_b32_e32 v2, 0xffff, v2
	s_delay_alu instid0(VALU_DEP_1) | instskip(NEXT) | instid1(VALU_DEP_1)
	v_lshrrev_b32_e32 v2, s45, v2
	v_and_b32_e32 v98, s42, v2
	s_wait_alu 0xfffe
	s_or_b32 exec_lo, exec_lo, s30
	s_and_saveexec_b32 s30, s17
	s_cbranch_execz .LBB1774_466
.LBB1774_500:                           ;   in Loop: Header=BB1774_399 Depth=2
	ds_load_u16 v2, v47 offset:2560
	s_wait_dscnt 0x0
	v_cmp_ne_u16_e64 s22, 0x8000, v2
	s_wait_alu 0xf1ff
	s_delay_alu instid0(VALU_DEP_1) | instskip(NEXT) | instid1(VALU_DEP_1)
	v_cndmask_b32_e64 v2, 0x7fff, v2, s22
	v_and_b32_e32 v2, 0xffff, v2
	s_delay_alu instid0(VALU_DEP_1) | instskip(NEXT) | instid1(VALU_DEP_1)
	v_lshrrev_b32_e32 v2, s45, v2
	v_and_b32_e32 v97, s42, v2
	s_wait_alu 0xfffe
	s_or_b32 exec_lo, exec_lo, s30
	s_and_saveexec_b32 s30, s18
	s_cbranch_execz .LBB1774_467
.LBB1774_501:                           ;   in Loop: Header=BB1774_399 Depth=2
	ds_load_u16 v2, v47 offset:3072
	s_wait_dscnt 0x0
	v_cmp_ne_u16_e64 s22, 0x8000, v2
	s_wait_alu 0xf1ff
	s_delay_alu instid0(VALU_DEP_1) | instskip(NEXT) | instid1(VALU_DEP_1)
	v_cndmask_b32_e64 v2, 0x7fff, v2, s22
	v_and_b32_e32 v2, 0xffff, v2
	s_delay_alu instid0(VALU_DEP_1) | instskip(NEXT) | instid1(VALU_DEP_1)
	v_lshrrev_b32_e32 v2, s45, v2
	v_and_b32_e32 v96, s42, v2
	s_wait_alu 0xfffe
	s_or_b32 exec_lo, exec_lo, s30
	s_and_saveexec_b32 s30, s19
	s_cbranch_execz .LBB1774_468
.LBB1774_502:                           ;   in Loop: Header=BB1774_399 Depth=2
	ds_load_u16 v2, v47 offset:3584
	s_wait_dscnt 0x0
	v_cmp_ne_u16_e64 s22, 0x8000, v2
	s_wait_alu 0xf1ff
	s_delay_alu instid0(VALU_DEP_1) | instskip(NEXT) | instid1(VALU_DEP_1)
	v_cndmask_b32_e64 v2, 0x7fff, v2, s22
	v_and_b32_e32 v2, 0xffff, v2
	s_delay_alu instid0(VALU_DEP_1) | instskip(NEXT) | instid1(VALU_DEP_1)
	v_lshrrev_b32_e32 v2, s45, v2
	v_and_b32_e32 v95, s42, v2
	s_wait_alu 0xfffe
	s_or_b32 exec_lo, exec_lo, s30
	s_and_saveexec_b32 s30, s20
	s_cbranch_execz .LBB1774_469
.LBB1774_503:                           ;   in Loop: Header=BB1774_399 Depth=2
	ds_load_u16 v2, v47 offset:4096
	s_wait_dscnt 0x0
	v_cmp_ne_u16_e64 s22, 0x8000, v2
	s_wait_alu 0xf1ff
	s_delay_alu instid0(VALU_DEP_1) | instskip(NEXT) | instid1(VALU_DEP_1)
	v_cndmask_b32_e64 v2, 0x7fff, v2, s22
	v_and_b32_e32 v2, 0xffff, v2
	s_delay_alu instid0(VALU_DEP_1) | instskip(NEXT) | instid1(VALU_DEP_1)
	v_lshrrev_b32_e32 v2, s45, v2
	v_and_b32_e32 v94, s42, v2
	s_wait_alu 0xfffe
	s_or_b32 exec_lo, exec_lo, s30
	s_and_saveexec_b32 s30, s21
	s_cbranch_execnz .LBB1774_470
	s_branch .LBB1774_471
.LBB1774_504:                           ;   in Loop: Header=BB1774_399 Depth=2
	v_lshlrev_b32_e32 v2, 2, v100
	v_add_nc_u32_e32 v20, v47, v48
	ds_load_b32 v2, v2
	ds_load_b64 v[20:21], v20 offset:1024
	s_wait_dscnt 0x1
	v_add_nc_u32_e32 v2, v2, v1
	s_delay_alu instid0(VALU_DEP_1) | instskip(NEXT) | instid1(VALU_DEP_1)
	v_lshlrev_b64_e32 v[23:24], 3, v[2:3]
	v_add_co_u32 v23, vcc_lo, s24, v23
	s_wait_alu 0xfffd
	s_delay_alu instid0(VALU_DEP_2)
	v_add_co_ci_u32_e64 v24, null, s25, v24, vcc_lo
	s_wait_dscnt 0x0
	global_store_b64 v[23:24], v[20:21], off
	s_wait_alu 0xfffe
	s_or_b32 exec_lo, exec_lo, s22
	s_and_saveexec_b32 s22, s15
	s_cbranch_execz .LBB1774_473
.LBB1774_505:                           ;   in Loop: Header=BB1774_399 Depth=2
	v_lshlrev_b32_e32 v2, 2, v99
	v_add_nc_u32_e32 v20, v47, v48
	ds_load_b32 v2, v2
	ds_load_b64 v[20:21], v20 offset:3072
	s_wait_dscnt 0x1
	v_add_nc_u32_e32 v2, v2, v29
	s_delay_alu instid0(VALU_DEP_1) | instskip(NEXT) | instid1(VALU_DEP_1)
	v_lshlrev_b64_e32 v[23:24], 3, v[2:3]
	v_add_co_u32 v23, vcc_lo, s24, v23
	s_wait_alu 0xfffd
	s_delay_alu instid0(VALU_DEP_2)
	v_add_co_ci_u32_e64 v24, null, s25, v24, vcc_lo
	s_wait_dscnt 0x0
	global_store_b64 v[23:24], v[20:21], off
	s_wait_alu 0xfffe
	s_or_b32 exec_lo, exec_lo, s22
	s_and_saveexec_b32 s15, s16
	s_cbranch_execz .LBB1774_474
.LBB1774_506:                           ;   in Loop: Header=BB1774_399 Depth=2
	v_lshlrev_b32_e32 v2, 2, v98
	v_add_nc_u32_e32 v20, v47, v48
	ds_load_b32 v2, v2
	ds_load_b64 v[20:21], v20 offset:5120
	s_wait_dscnt 0x1
	v_add_nc_u32_e32 v2, v2, v30
	s_delay_alu instid0(VALU_DEP_1) | instskip(NEXT) | instid1(VALU_DEP_1)
	v_lshlrev_b64_e32 v[23:24], 3, v[2:3]
	v_add_co_u32 v23, vcc_lo, s24, v23
	s_wait_alu 0xfffd
	s_delay_alu instid0(VALU_DEP_2)
	v_add_co_ci_u32_e64 v24, null, s25, v24, vcc_lo
	s_wait_dscnt 0x0
	global_store_b64 v[23:24], v[20:21], off
	s_wait_alu 0xfffe
	s_or_b32 exec_lo, exec_lo, s15
	s_and_saveexec_b32 s15, s17
	s_cbranch_execz .LBB1774_475
.LBB1774_507:                           ;   in Loop: Header=BB1774_399 Depth=2
	v_lshlrev_b32_e32 v2, 2, v97
	v_add_nc_u32_e32 v20, v47, v48
	ds_load_b32 v2, v2
	ds_load_b64 v[20:21], v20 offset:7168
	s_wait_dscnt 0x1
	v_add_nc_u32_e32 v2, v2, v31
	s_delay_alu instid0(VALU_DEP_1) | instskip(NEXT) | instid1(VALU_DEP_1)
	v_lshlrev_b64_e32 v[23:24], 3, v[2:3]
	v_add_co_u32 v23, vcc_lo, s24, v23
	s_wait_alu 0xfffd
	s_delay_alu instid0(VALU_DEP_2)
	v_add_co_ci_u32_e64 v24, null, s25, v24, vcc_lo
	s_wait_dscnt 0x0
	global_store_b64 v[23:24], v[20:21], off
	s_wait_alu 0xfffe
	s_or_b32 exec_lo, exec_lo, s15
	s_and_saveexec_b32 s15, s18
	s_cbranch_execz .LBB1774_476
.LBB1774_508:                           ;   in Loop: Header=BB1774_399 Depth=2
	v_lshlrev_b32_e32 v2, 2, v96
	v_add_nc_u32_e32 v20, v47, v48
	ds_load_b32 v2, v2
	ds_load_b64 v[20:21], v20 offset:9216
	s_wait_dscnt 0x1
	v_add_nc_u32_e32 v2, v2, v34
	s_delay_alu instid0(VALU_DEP_1) | instskip(NEXT) | instid1(VALU_DEP_1)
	v_lshlrev_b64_e32 v[23:24], 3, v[2:3]
	v_add_co_u32 v23, vcc_lo, s24, v23
	s_wait_alu 0xfffd
	s_delay_alu instid0(VALU_DEP_2)
	v_add_co_ci_u32_e64 v24, null, s25, v24, vcc_lo
	s_wait_dscnt 0x0
	global_store_b64 v[23:24], v[20:21], off
	s_wait_alu 0xfffe
	s_or_b32 exec_lo, exec_lo, s15
	s_and_saveexec_b32 s15, s19
	s_cbranch_execz .LBB1774_477
.LBB1774_509:                           ;   in Loop: Header=BB1774_399 Depth=2
	v_lshlrev_b32_e32 v2, 2, v95
	v_add_nc_u32_e32 v20, v47, v48
	ds_load_b32 v2, v2
	ds_load_b64 v[20:21], v20 offset:11264
	s_wait_dscnt 0x1
	v_add_nc_u32_e32 v2, v2, v35
	s_delay_alu instid0(VALU_DEP_1) | instskip(NEXT) | instid1(VALU_DEP_1)
	v_lshlrev_b64_e32 v[23:24], 3, v[2:3]
	v_add_co_u32 v23, vcc_lo, s24, v23
	s_wait_alu 0xfffd
	s_delay_alu instid0(VALU_DEP_2)
	v_add_co_ci_u32_e64 v24, null, s25, v24, vcc_lo
	s_wait_dscnt 0x0
	global_store_b64 v[23:24], v[20:21], off
	s_wait_alu 0xfffe
	s_or_b32 exec_lo, exec_lo, s15
	s_and_saveexec_b32 s15, s20
	s_cbranch_execz .LBB1774_478
.LBB1774_510:                           ;   in Loop: Header=BB1774_399 Depth=2
	v_lshlrev_b32_e32 v2, 2, v94
	v_add_nc_u32_e32 v20, v47, v48
	ds_load_b32 v2, v2
	ds_load_b64 v[20:21], v20 offset:13312
	s_wait_dscnt 0x1
	v_add_nc_u32_e32 v2, v2, v36
	s_delay_alu instid0(VALU_DEP_1) | instskip(NEXT) | instid1(VALU_DEP_1)
	v_lshlrev_b64_e32 v[23:24], 3, v[2:3]
	v_add_co_u32 v23, vcc_lo, s24, v23
	s_wait_alu 0xfffd
	s_delay_alu instid0(VALU_DEP_2)
	v_add_co_ci_u32_e64 v24, null, s25, v24, vcc_lo
	s_wait_dscnt 0x0
	global_store_b64 v[23:24], v[20:21], off
	s_wait_alu 0xfffe
	s_or_b32 exec_lo, exec_lo, s15
	s_and_saveexec_b32 s15, s21
	s_cbranch_execnz .LBB1774_479
	s_branch .LBB1774_480
.LBB1774_511:                           ;   in Loop: Header=BB1774_17 Depth=1
	s_wait_loadcnt_dscnt 0x0
	s_barrier_signal -1
	s_mov_b32 s0, 0
	s_barrier_wait -1
.LBB1774_512:                           ;   in Loop: Header=BB1774_17 Depth=1
	s_wait_alu 0xfffe
	s_and_b32 vcc_lo, exec_lo, s0
	s_wait_alu 0xfffe
	s_cbranch_vccz .LBB1774_16
; %bb.513:                              ;   in Loop: Header=BB1774_17 Depth=1
	s_mov_b32 s9, s47
	s_mov_b32 s30, s33
	s_barrier_signal -1
	s_barrier_wait -1
	global_inv scope:SCOPE_SE
                                        ; implicit-def: $vgpr2
                                        ; implicit-def: $vgpr4
                                        ; implicit-def: $vgpr5
                                        ; implicit-def: $vgpr6
                                        ; implicit-def: $vgpr7
                                        ; implicit-def: $vgpr8
                                        ; implicit-def: $vgpr9
                                        ; implicit-def: $vgpr10
	s_branch .LBB1774_515
.LBB1774_514:                           ;   in Loop: Header=BB1774_515 Depth=2
	s_wait_alu 0xfffe
	s_or_b32 exec_lo, exec_lo, s0
	s_addk_co_i32 s9, 0xf800
	s_cmp_ge_u32 s10, s34
	s_mov_b32 s30, s10
	s_cbranch_scc1 .LBB1774_551
.LBB1774_515:                           ;   Parent Loop BB1774_17 Depth=1
                                        ; =>  This Inner Loop Header: Depth=2
	s_wait_alu 0xfffe
	s_add_co_i32 s10, s30, 0x800
	s_mov_b32 s0, -1
	s_wait_alu 0xfffe
	s_cmp_gt_u32 s10, s34
                                        ; implicit-def: $vgpr11
                                        ; implicit-def: $vgpr12
                                        ; implicit-def: $vgpr13
                                        ; implicit-def: $vgpr14
                                        ; implicit-def: $vgpr15
                                        ; implicit-def: $vgpr16
                                        ; implicit-def: $vgpr17
                                        ; implicit-def: $vgpr18
	s_cbranch_scc1 .LBB1774_517
; %bb.516:                              ;   in Loop: Header=BB1774_515 Depth=2
	s_lshl_b64 s[0:1], s[30:31], 1
	s_wait_alu 0xfffe
	v_add_co_u32 v18, vcc_lo, v55, s0
	s_wait_alu 0xfffd
	v_add_co_ci_u32_e64 v19, null, s1, v56, vcc_lo
	s_mov_b32 s0, 0
	s_clause 0x7
	global_load_u16 v11, v[18:19], off
	global_load_u16 v12, v[18:19], off offset:512
	global_load_u16 v13, v[18:19], off offset:1024
	;; [unrolled: 1-line block ×7, first 2 shown]
.LBB1774_517:                           ;   in Loop: Header=BB1774_515 Depth=2
	s_wait_alu 0xfffe
	s_and_not1_b32 vcc_lo, exec_lo, s0
	s_movk_i32 s0, 0x800
	s_wait_alu 0xfffe
	s_cbranch_vccnz .LBB1774_528
; %bb.518:                              ;   in Loop: Header=BB1774_515 Depth=2
	s_lshl_b64 s[0:1], s[30:31], 1
	s_mov_b32 s11, exec_lo
	s_wait_alu 0xfffe
	s_add_nc_u64 s[0:1], s[36:37], s[0:1]
	v_cmpx_gt_u32_e64 s9, v1
	s_cbranch_execnz .LBB1774_544
; %bb.519:                              ;   in Loop: Header=BB1774_515 Depth=2
	s_or_b32 exec_lo, exec_lo, s11
	s_delay_alu instid0(SALU_CYCLE_1)
	s_mov_b32 s11, exec_lo
	v_cmpx_gt_u32_e64 s9, v29
	s_cbranch_execnz .LBB1774_545
.LBB1774_520:                           ;   in Loop: Header=BB1774_515 Depth=2
	s_wait_alu 0xfffe
	s_or_b32 exec_lo, exec_lo, s11
	s_delay_alu instid0(SALU_CYCLE_1)
	s_mov_b32 s11, exec_lo
	v_cmpx_gt_u32_e64 s9, v30
	s_cbranch_execnz .LBB1774_546
.LBB1774_521:                           ;   in Loop: Header=BB1774_515 Depth=2
	s_wait_alu 0xfffe
	s_or_b32 exec_lo, exec_lo, s11
	s_delay_alu instid0(SALU_CYCLE_1)
	s_mov_b32 s11, exec_lo
	v_cmpx_gt_u32_e64 s9, v31
	s_cbranch_execnz .LBB1774_547
.LBB1774_522:                           ;   in Loop: Header=BB1774_515 Depth=2
	s_wait_alu 0xfffe
	s_or_b32 exec_lo, exec_lo, s11
	s_delay_alu instid0(SALU_CYCLE_1)
	s_mov_b32 s11, exec_lo
	v_cmpx_gt_u32_e64 s9, v34
	s_cbranch_execnz .LBB1774_548
.LBB1774_523:                           ;   in Loop: Header=BB1774_515 Depth=2
	s_wait_alu 0xfffe
	s_or_b32 exec_lo, exec_lo, s11
	s_delay_alu instid0(SALU_CYCLE_1)
	s_mov_b32 s11, exec_lo
	v_cmpx_gt_u32_e64 s9, v35
	s_cbranch_execnz .LBB1774_549
.LBB1774_524:                           ;   in Loop: Header=BB1774_515 Depth=2
	s_wait_alu 0xfffe
	s_or_b32 exec_lo, exec_lo, s11
	s_delay_alu instid0(SALU_CYCLE_1)
	s_mov_b32 s11, exec_lo
	v_cmpx_gt_u32_e64 s9, v36
	s_cbranch_execnz .LBB1774_550
.LBB1774_525:                           ;   in Loop: Header=BB1774_515 Depth=2
	s_wait_alu 0xfffe
	s_or_b32 exec_lo, exec_lo, s11
	s_delay_alu instid0(SALU_CYCLE_1)
	s_mov_b32 s11, exec_lo
	v_cmpx_gt_u32_e64 s9, v37
	s_cbranch_execz .LBB1774_527
.LBB1774_526:                           ;   in Loop: Header=BB1774_515 Depth=2
	global_load_u16 v2, v82, s[0:1] offset:3584
.LBB1774_527:                           ;   in Loop: Header=BB1774_515 Depth=2
	s_wait_alu 0xfffe
	s_or_b32 exec_lo, exec_lo, s11
	s_wait_loadcnt 0x0
	v_dual_mov_b32 v11, v10 :: v_dual_mov_b32 v12, v9
	v_dual_mov_b32 v13, v8 :: v_dual_mov_b32 v14, v7
	;; [unrolled: 1-line block ×4, first 2 shown]
	s_mov_b32 s0, s9
.LBB1774_528:                           ;   in Loop: Header=BB1774_515 Depth=2
	s_wait_loadcnt 0x0
	s_delay_alu instid0(VALU_DEP_1) | instskip(NEXT) | instid1(VALU_DEP_2)
	v_dual_mov_b32 v2, v18 :: v_dual_mov_b32 v5, v16
	v_dual_mov_b32 v4, v17 :: v_dual_mov_b32 v7, v14
	;; [unrolled: 1-line block ×3, first 2 shown]
	v_mov_b32_e32 v8, v13
	v_mov_b32_e32 v10, v11
	s_mov_b32 s1, exec_lo
	s_wait_alu 0xfffe
	v_cmpx_gt_u32_e64 s0, v1
	s_cbranch_execnz .LBB1774_536
; %bb.529:                              ;   in Loop: Header=BB1774_515 Depth=2
	s_or_b32 exec_lo, exec_lo, s1
	s_delay_alu instid0(SALU_CYCLE_1)
	s_mov_b32 s1, exec_lo
	v_cmpx_gt_u32_e64 s0, v29
	s_cbranch_execnz .LBB1774_537
.LBB1774_530:                           ;   in Loop: Header=BB1774_515 Depth=2
	s_wait_alu 0xfffe
	s_or_b32 exec_lo, exec_lo, s1
	s_delay_alu instid0(SALU_CYCLE_1)
	s_mov_b32 s1, exec_lo
	v_cmpx_gt_u32_e64 s0, v30
	s_cbranch_execnz .LBB1774_538
.LBB1774_531:                           ;   in Loop: Header=BB1774_515 Depth=2
	s_wait_alu 0xfffe
	s_or_b32 exec_lo, exec_lo, s1
	s_delay_alu instid0(SALU_CYCLE_1)
	s_mov_b32 s1, exec_lo
	v_cmpx_gt_u32_e64 s0, v31
	s_cbranch_execnz .LBB1774_539
.LBB1774_532:                           ;   in Loop: Header=BB1774_515 Depth=2
	s_wait_alu 0xfffe
	s_or_b32 exec_lo, exec_lo, s1
	s_delay_alu instid0(SALU_CYCLE_1)
	s_mov_b32 s1, exec_lo
	v_cmpx_gt_u32_e64 s0, v34
	s_cbranch_execnz .LBB1774_540
.LBB1774_533:                           ;   in Loop: Header=BB1774_515 Depth=2
	s_wait_alu 0xfffe
	s_or_b32 exec_lo, exec_lo, s1
	s_delay_alu instid0(SALU_CYCLE_1)
	s_mov_b32 s1, exec_lo
	v_cmpx_gt_u32_e64 s0, v35
	s_cbranch_execnz .LBB1774_541
.LBB1774_534:                           ;   in Loop: Header=BB1774_515 Depth=2
	s_wait_alu 0xfffe
	s_or_b32 exec_lo, exec_lo, s1
	s_delay_alu instid0(SALU_CYCLE_1)
	s_mov_b32 s1, exec_lo
	v_cmpx_gt_u32_e64 s0, v36
	s_cbranch_execnz .LBB1774_542
.LBB1774_535:                           ;   in Loop: Header=BB1774_515 Depth=2
	s_wait_alu 0xfffe
	s_or_b32 exec_lo, exec_lo, s1
	v_cmp_gt_u32_e32 vcc_lo, s0, v37
	s_and_saveexec_b32 s0, vcc_lo
	s_cbranch_execz .LBB1774_514
	s_branch .LBB1774_543
.LBB1774_536:                           ;   in Loop: Header=BB1774_515 Depth=2
	v_cmp_gt_i16_e32 vcc_lo, 0, v10
	s_wait_alu 0xfffd
	v_cndmask_b32_e64 v11, 0x7fff, 0, vcc_lo
	s_delay_alu instid0(VALU_DEP_1) | instskip(NEXT) | instid1(VALU_DEP_1)
	v_xor_b32_e32 v11, v11, v10
	v_cmp_ne_u16_e32 vcc_lo, 0x8000, v11
	s_wait_alu 0xfffd
	v_cndmask_b32_e32 v11, 0x7fff, v11, vcc_lo
	s_delay_alu instid0(VALU_DEP_1) | instskip(NEXT) | instid1(VALU_DEP_1)
	v_and_b32_e32 v11, 0xffff, v11
	v_lshrrev_b32_e32 v11, s45, v11
	s_delay_alu instid0(VALU_DEP_1) | instskip(NEXT) | instid1(VALU_DEP_1)
	v_and_b32_e32 v11, s42, v11
	v_lshl_or_b32 v11, v11, 4, v39
	ds_add_u32 v11, v62
	s_or_b32 exec_lo, exec_lo, s1
	s_delay_alu instid0(SALU_CYCLE_1)
	s_mov_b32 s1, exec_lo
	v_cmpx_gt_u32_e64 s0, v29
	s_cbranch_execz .LBB1774_530
.LBB1774_537:                           ;   in Loop: Header=BB1774_515 Depth=2
	v_cmp_gt_i16_e32 vcc_lo, 0, v9
	s_wait_alu 0xfffd
	v_cndmask_b32_e64 v11, 0x7fff, 0, vcc_lo
	s_delay_alu instid0(VALU_DEP_1) | instskip(NEXT) | instid1(VALU_DEP_1)
	v_xor_b32_e32 v11, v11, v9
	v_cmp_ne_u16_e32 vcc_lo, 0x8000, v11
	s_wait_alu 0xfffd
	v_cndmask_b32_e32 v11, 0x7fff, v11, vcc_lo
	s_delay_alu instid0(VALU_DEP_1) | instskip(NEXT) | instid1(VALU_DEP_1)
	v_and_b32_e32 v11, 0xffff, v11
	v_lshrrev_b32_e32 v11, s45, v11
	s_delay_alu instid0(VALU_DEP_1) | instskip(NEXT) | instid1(VALU_DEP_1)
	v_and_b32_e32 v11, s42, v11
	v_lshl_or_b32 v11, v11, 4, v39
	ds_add_u32 v11, v62
	s_wait_alu 0xfffe
	s_or_b32 exec_lo, exec_lo, s1
	s_delay_alu instid0(SALU_CYCLE_1)
	s_mov_b32 s1, exec_lo
	v_cmpx_gt_u32_e64 s0, v30
	s_cbranch_execz .LBB1774_531
.LBB1774_538:                           ;   in Loop: Header=BB1774_515 Depth=2
	v_cmp_gt_i16_e32 vcc_lo, 0, v8
	s_wait_alu 0xfffd
	v_cndmask_b32_e64 v11, 0x7fff, 0, vcc_lo
	s_delay_alu instid0(VALU_DEP_1) | instskip(NEXT) | instid1(VALU_DEP_1)
	v_xor_b32_e32 v11, v11, v8
	v_cmp_ne_u16_e32 vcc_lo, 0x8000, v11
	s_wait_alu 0xfffd
	v_cndmask_b32_e32 v11, 0x7fff, v11, vcc_lo
	s_delay_alu instid0(VALU_DEP_1) | instskip(NEXT) | instid1(VALU_DEP_1)
	v_and_b32_e32 v11, 0xffff, v11
	v_lshrrev_b32_e32 v11, s45, v11
	s_delay_alu instid0(VALU_DEP_1) | instskip(NEXT) | instid1(VALU_DEP_1)
	v_and_b32_e32 v11, s42, v11
	v_lshl_or_b32 v11, v11, 4, v39
	ds_add_u32 v11, v62
	s_wait_alu 0xfffe
	s_or_b32 exec_lo, exec_lo, s1
	s_delay_alu instid0(SALU_CYCLE_1)
	s_mov_b32 s1, exec_lo
	v_cmpx_gt_u32_e64 s0, v31
	s_cbranch_execz .LBB1774_532
.LBB1774_539:                           ;   in Loop: Header=BB1774_515 Depth=2
	v_cmp_gt_i16_e32 vcc_lo, 0, v7
	s_wait_alu 0xfffd
	v_cndmask_b32_e64 v11, 0x7fff, 0, vcc_lo
	s_delay_alu instid0(VALU_DEP_1) | instskip(NEXT) | instid1(VALU_DEP_1)
	v_xor_b32_e32 v11, v11, v7
	v_cmp_ne_u16_e32 vcc_lo, 0x8000, v11
	s_wait_alu 0xfffd
	v_cndmask_b32_e32 v11, 0x7fff, v11, vcc_lo
	s_delay_alu instid0(VALU_DEP_1) | instskip(NEXT) | instid1(VALU_DEP_1)
	v_and_b32_e32 v11, 0xffff, v11
	v_lshrrev_b32_e32 v11, s45, v11
	s_delay_alu instid0(VALU_DEP_1) | instskip(NEXT) | instid1(VALU_DEP_1)
	v_and_b32_e32 v11, s42, v11
	v_lshl_or_b32 v11, v11, 4, v39
	ds_add_u32 v11, v62
	s_wait_alu 0xfffe
	s_or_b32 exec_lo, exec_lo, s1
	s_delay_alu instid0(SALU_CYCLE_1)
	s_mov_b32 s1, exec_lo
	v_cmpx_gt_u32_e64 s0, v34
	s_cbranch_execz .LBB1774_533
.LBB1774_540:                           ;   in Loop: Header=BB1774_515 Depth=2
	v_cmp_gt_i16_e32 vcc_lo, 0, v6
	s_wait_alu 0xfffd
	v_cndmask_b32_e64 v11, 0x7fff, 0, vcc_lo
	s_delay_alu instid0(VALU_DEP_1) | instskip(NEXT) | instid1(VALU_DEP_1)
	v_xor_b32_e32 v11, v11, v6
	v_cmp_ne_u16_e32 vcc_lo, 0x8000, v11
	s_wait_alu 0xfffd
	v_cndmask_b32_e32 v11, 0x7fff, v11, vcc_lo
	s_delay_alu instid0(VALU_DEP_1) | instskip(NEXT) | instid1(VALU_DEP_1)
	v_and_b32_e32 v11, 0xffff, v11
	v_lshrrev_b32_e32 v11, s45, v11
	s_delay_alu instid0(VALU_DEP_1) | instskip(NEXT) | instid1(VALU_DEP_1)
	v_and_b32_e32 v11, s42, v11
	v_lshl_or_b32 v11, v11, 4, v39
	ds_add_u32 v11, v62
	s_wait_alu 0xfffe
	s_or_b32 exec_lo, exec_lo, s1
	s_delay_alu instid0(SALU_CYCLE_1)
	s_mov_b32 s1, exec_lo
	v_cmpx_gt_u32_e64 s0, v35
	s_cbranch_execz .LBB1774_534
.LBB1774_541:                           ;   in Loop: Header=BB1774_515 Depth=2
	v_cmp_gt_i16_e32 vcc_lo, 0, v5
	s_wait_alu 0xfffd
	v_cndmask_b32_e64 v11, 0x7fff, 0, vcc_lo
	s_delay_alu instid0(VALU_DEP_1) | instskip(NEXT) | instid1(VALU_DEP_1)
	v_xor_b32_e32 v11, v11, v5
	v_cmp_ne_u16_e32 vcc_lo, 0x8000, v11
	s_wait_alu 0xfffd
	v_cndmask_b32_e32 v11, 0x7fff, v11, vcc_lo
	s_delay_alu instid0(VALU_DEP_1) | instskip(NEXT) | instid1(VALU_DEP_1)
	v_and_b32_e32 v11, 0xffff, v11
	v_lshrrev_b32_e32 v11, s45, v11
	s_delay_alu instid0(VALU_DEP_1) | instskip(NEXT) | instid1(VALU_DEP_1)
	v_and_b32_e32 v11, s42, v11
	v_lshl_or_b32 v11, v11, 4, v39
	ds_add_u32 v11, v62
	s_wait_alu 0xfffe
	s_or_b32 exec_lo, exec_lo, s1
	s_delay_alu instid0(SALU_CYCLE_1)
	s_mov_b32 s1, exec_lo
	v_cmpx_gt_u32_e64 s0, v36
	s_cbranch_execz .LBB1774_535
.LBB1774_542:                           ;   in Loop: Header=BB1774_515 Depth=2
	v_cmp_gt_i16_e32 vcc_lo, 0, v4
	s_wait_alu 0xfffd
	v_cndmask_b32_e64 v11, 0x7fff, 0, vcc_lo
	s_delay_alu instid0(VALU_DEP_1) | instskip(NEXT) | instid1(VALU_DEP_1)
	v_xor_b32_e32 v11, v11, v4
	v_cmp_ne_u16_e32 vcc_lo, 0x8000, v11
	s_wait_alu 0xfffd
	v_cndmask_b32_e32 v11, 0x7fff, v11, vcc_lo
	s_delay_alu instid0(VALU_DEP_1) | instskip(NEXT) | instid1(VALU_DEP_1)
	v_and_b32_e32 v11, 0xffff, v11
	v_lshrrev_b32_e32 v11, s45, v11
	s_delay_alu instid0(VALU_DEP_1) | instskip(NEXT) | instid1(VALU_DEP_1)
	v_and_b32_e32 v11, s42, v11
	v_lshl_or_b32 v11, v11, 4, v39
	ds_add_u32 v11, v62
	s_wait_alu 0xfffe
	s_or_b32 exec_lo, exec_lo, s1
	v_cmp_gt_u32_e32 vcc_lo, s0, v37
	s_and_saveexec_b32 s0, vcc_lo
	s_cbranch_execz .LBB1774_514
.LBB1774_543:                           ;   in Loop: Header=BB1774_515 Depth=2
	v_cmp_gt_i16_e32 vcc_lo, 0, v2
	s_wait_alu 0xfffd
	v_cndmask_b32_e64 v11, 0x7fff, 0, vcc_lo
	s_delay_alu instid0(VALU_DEP_1) | instskip(NEXT) | instid1(VALU_DEP_1)
	v_xor_b32_e32 v11, v11, v2
	v_cmp_ne_u16_e32 vcc_lo, 0x8000, v11
	s_wait_alu 0xfffd
	v_cndmask_b32_e32 v11, 0x7fff, v11, vcc_lo
	s_delay_alu instid0(VALU_DEP_1) | instskip(NEXT) | instid1(VALU_DEP_1)
	v_and_b32_e32 v11, 0xffff, v11
	v_lshrrev_b32_e32 v11, s45, v11
	s_delay_alu instid0(VALU_DEP_1) | instskip(NEXT) | instid1(VALU_DEP_1)
	v_and_b32_e32 v11, s42, v11
	v_lshl_or_b32 v11, v11, 4, v39
	ds_add_u32 v11, v62
	s_branch .LBB1774_514
.LBB1774_544:                           ;   in Loop: Header=BB1774_515 Depth=2
	global_load_u16 v10, v82, s[0:1]
	s_or_b32 exec_lo, exec_lo, s11
	s_delay_alu instid0(SALU_CYCLE_1)
	s_mov_b32 s11, exec_lo
	v_cmpx_gt_u32_e64 s9, v29
	s_cbranch_execz .LBB1774_520
.LBB1774_545:                           ;   in Loop: Header=BB1774_515 Depth=2
	global_load_u16 v9, v82, s[0:1] offset:512
	s_wait_alu 0xfffe
	s_or_b32 exec_lo, exec_lo, s11
	s_delay_alu instid0(SALU_CYCLE_1)
	s_mov_b32 s11, exec_lo
	v_cmpx_gt_u32_e64 s9, v30
	s_cbranch_execz .LBB1774_521
.LBB1774_546:                           ;   in Loop: Header=BB1774_515 Depth=2
	global_load_u16 v8, v82, s[0:1] offset:1024
	s_wait_alu 0xfffe
	s_or_b32 exec_lo, exec_lo, s11
	s_delay_alu instid0(SALU_CYCLE_1)
	s_mov_b32 s11, exec_lo
	v_cmpx_gt_u32_e64 s9, v31
	s_cbranch_execz .LBB1774_522
.LBB1774_547:                           ;   in Loop: Header=BB1774_515 Depth=2
	global_load_u16 v7, v82, s[0:1] offset:1536
	s_wait_alu 0xfffe
	s_or_b32 exec_lo, exec_lo, s11
	s_delay_alu instid0(SALU_CYCLE_1)
	s_mov_b32 s11, exec_lo
	v_cmpx_gt_u32_e64 s9, v34
	s_cbranch_execz .LBB1774_523
.LBB1774_548:                           ;   in Loop: Header=BB1774_515 Depth=2
	global_load_u16 v6, v82, s[0:1] offset:2048
	s_wait_alu 0xfffe
	s_or_b32 exec_lo, exec_lo, s11
	s_delay_alu instid0(SALU_CYCLE_1)
	s_mov_b32 s11, exec_lo
	v_cmpx_gt_u32_e64 s9, v35
	s_cbranch_execz .LBB1774_524
.LBB1774_549:                           ;   in Loop: Header=BB1774_515 Depth=2
	global_load_u16 v5, v82, s[0:1] offset:2560
	s_wait_alu 0xfffe
	s_or_b32 exec_lo, exec_lo, s11
	s_delay_alu instid0(SALU_CYCLE_1)
	s_mov_b32 s11, exec_lo
	v_cmpx_gt_u32_e64 s9, v36
	s_cbranch_execz .LBB1774_525
.LBB1774_550:                           ;   in Loop: Header=BB1774_515 Depth=2
	global_load_u16 v4, v82, s[0:1] offset:3072
	s_wait_alu 0xfffe
	s_or_b32 exec_lo, exec_lo, s11
	s_delay_alu instid0(SALU_CYCLE_1)
	s_mov_b32 s11, exec_lo
	v_cmpx_gt_u32_e64 s9, v37
	s_cbranch_execnz .LBB1774_526
	s_branch .LBB1774_527
.LBB1774_551:                           ;   in Loop: Header=BB1774_17 Depth=1
	v_mov_b32_e32 v2, 0
	s_wait_dscnt 0x0
	s_barrier_signal -1
	s_barrier_wait -1
	global_inv scope:SCOPE_SE
	s_and_saveexec_b32 s0, s2
	s_cbranch_execz .LBB1774_553
; %bb.552:                              ;   in Loop: Header=BB1774_17 Depth=1
	ds_load_2addr_b64 v[4:7], v40 offset1:1
	s_wait_dscnt 0x0
	v_add_nc_u32_e32 v2, v5, v4
	s_delay_alu instid0(VALU_DEP_1)
	v_add3_u32 v2, v2, v6, v7
.LBB1774_553:                           ;   in Loop: Header=BB1774_17 Depth=1
	s_wait_alu 0xfffe
	s_or_b32 exec_lo, exec_lo, s0
	s_delay_alu instid0(VALU_DEP_1)
	v_mov_b32_dpp v4, v2 row_shr:1 row_mask:0xf bank_mask:0xf
	v_cmp_eq_u32_e64 s0, 0, v63
	v_cmp_lt_u32_e64 s1, 1, v63
	v_cmp_lt_u32_e64 s9, 3, v63
	;; [unrolled: 1-line block ×3, first 2 shown]
	v_cmp_eq_u32_e64 s11, 0, v65
	s_wait_alu 0xf1ff
	v_cndmask_b32_e64 v4, v4, 0, s0
	s_delay_alu instid0(VALU_DEP_1) | instskip(NEXT) | instid1(VALU_DEP_1)
	v_add_nc_u32_e32 v2, v4, v2
	v_mov_b32_dpp v4, v2 row_shr:2 row_mask:0xf bank_mask:0xf
	s_delay_alu instid0(VALU_DEP_1) | instskip(NEXT) | instid1(VALU_DEP_1)
	v_cndmask_b32_e64 v4, 0, v4, s1
	v_add_nc_u32_e32 v2, v2, v4
	s_delay_alu instid0(VALU_DEP_1) | instskip(NEXT) | instid1(VALU_DEP_1)
	v_mov_b32_dpp v4, v2 row_shr:4 row_mask:0xf bank_mask:0xf
	v_cndmask_b32_e64 v4, 0, v4, s9
	s_delay_alu instid0(VALU_DEP_1) | instskip(NEXT) | instid1(VALU_DEP_1)
	v_add_nc_u32_e32 v2, v2, v4
	v_mov_b32_dpp v4, v2 row_shr:8 row_mask:0xf bank_mask:0xf
	s_delay_alu instid0(VALU_DEP_1) | instskip(NEXT) | instid1(VALU_DEP_1)
	v_cndmask_b32_e64 v4, 0, v4, s10
	v_add_nc_u32_e32 v2, v2, v4
	ds_swizzle_b32 v4, v2 offset:swizzle(BROADCAST,32,15)
	s_wait_dscnt 0x0
	v_and_b32_e32 v4, v64, v4
	s_delay_alu instid0(VALU_DEP_1)
	v_add_nc_u32_e32 v2, v2, v4
	s_and_saveexec_b32 s12, s3
; %bb.554:                              ;   in Loop: Header=BB1774_17 Depth=1
	ds_store_b32 v41, v2
; %bb.555:                              ;   in Loop: Header=BB1774_17 Depth=1
	s_wait_alu 0xfffe
	s_or_b32 exec_lo, exec_lo, s12
	s_wait_loadcnt_dscnt 0x0
	s_barrier_signal -1
	s_barrier_wait -1
	global_inv scope:SCOPE_SE
	s_and_saveexec_b32 s12, s4
	s_cbranch_execz .LBB1774_557
; %bb.556:                              ;   in Loop: Header=BB1774_17 Depth=1
	ds_load_b32 v4, v42
	v_cmp_ne_u32_e32 vcc_lo, 0, v67
	s_wait_dscnt 0x0
	v_mov_b32_dpp v5, v4 row_shr:1 row_mask:0xf bank_mask:0xf
	s_wait_alu 0xfffd
	s_delay_alu instid0(VALU_DEP_1) | instskip(SKIP_1) | instid1(VALU_DEP_2)
	v_cndmask_b32_e32 v5, 0, v5, vcc_lo
	v_cmp_lt_u32_e32 vcc_lo, 1, v67
	v_add_nc_u32_e32 v4, v5, v4
	s_delay_alu instid0(VALU_DEP_1) | instskip(SKIP_1) | instid1(VALU_DEP_1)
	v_mov_b32_dpp v5, v4 row_shr:2 row_mask:0xf bank_mask:0xf
	s_wait_alu 0xfffd
	v_cndmask_b32_e32 v5, 0, v5, vcc_lo
	v_cmp_lt_u32_e32 vcc_lo, 3, v67
	s_delay_alu instid0(VALU_DEP_2) | instskip(NEXT) | instid1(VALU_DEP_1)
	v_add_nc_u32_e32 v4, v4, v5
	v_mov_b32_dpp v5, v4 row_shr:4 row_mask:0xf bank_mask:0xf
	s_wait_alu 0xfffd
	s_delay_alu instid0(VALU_DEP_1) | instskip(NEXT) | instid1(VALU_DEP_1)
	v_cndmask_b32_e32 v5, 0, v5, vcc_lo
	v_add_nc_u32_e32 v4, v4, v5
	ds_store_b32 v42, v4
.LBB1774_557:                           ;   in Loop: Header=BB1774_17 Depth=1
	s_wait_alu 0xfffe
	s_or_b32 exec_lo, exec_lo, s12
	v_mov_b32_e32 v4, 0
	s_wait_loadcnt_dscnt 0x0
	s_barrier_signal -1
	s_barrier_wait -1
	global_inv scope:SCOPE_SE
	s_and_saveexec_b32 s12, s5
; %bb.558:                              ;   in Loop: Header=BB1774_17 Depth=1
	ds_load_b32 v4, v44
; %bb.559:                              ;   in Loop: Header=BB1774_17 Depth=1
	s_wait_alu 0xfffe
	s_or_b32 exec_lo, exec_lo, s12
	v_cmp_gt_i32_e32 vcc_lo, 0, v68
	s_wait_dscnt 0x0
	v_add_nc_u32_e32 v2, v4, v2
	s_wait_loadcnt 0x0
	s_barrier_signal -1
	s_barrier_wait -1
	s_wait_alu 0xfffd
	v_cndmask_b32_e32 v5, v68, v59, vcc_lo
	global_inv scope:SCOPE_SE
	v_lshlrev_b32_e32 v87, 2, v5
	ds_bpermute_b32 v2, v87, v2
	s_and_saveexec_b32 s12, s2
	s_cbranch_execz .LBB1774_561
; %bb.560:                              ;   in Loop: Header=BB1774_17 Depth=1
	s_wait_dscnt 0x0
	v_cndmask_b32_e64 v2, v2, v4, s8
	s_delay_alu instid0(VALU_DEP_1)
	v_add_nc_u32_e32 v2, s33, v2
	ds_store_b32 v28, v2
.LBB1774_561:                           ;   in Loop: Header=BB1774_17 Depth=1
	s_wait_alu 0xfffe
	s_or_b32 exec_lo, exec_lo, s12
	s_load_b64 s[12:13], s[28:29], 0x0
	v_add_co_u32 v88, vcc_lo, v57, v69
	s_wait_alu 0xfffd
	v_add_co_ci_u32_e64 v89, null, 0, v58, vcc_lo
	v_add_co_u32 v90, vcc_lo, v60, v77
	s_wait_alu 0xfffd
	v_add_co_ci_u32_e64 v91, null, 0, v61, vcc_lo
	s_mov_b32 s43, s47
                                        ; implicit-def: $vgpr6_vgpr7
                                        ; implicit-def: $vgpr8_vgpr9
                                        ; implicit-def: $vgpr10_vgpr11
                                        ; implicit-def: $vgpr12_vgpr13
                                        ; implicit-def: $vgpr14_vgpr15
                                        ; implicit-def: $vgpr16_vgpr17
                                        ; implicit-def: $vgpr18_vgpr19
                                        ; implicit-def: $vgpr93
                                        ; implicit-def: $vgpr94
                                        ; implicit-def: $vgpr95
                                        ; implicit-def: $vgpr96
                                        ; implicit-def: $vgpr97
                                        ; implicit-def: $vgpr98
                                        ; implicit-def: $vgpr99
                                        ; implicit-def: $vgpr100
	s_wait_kmcnt 0x0
	s_cmp_lt_u32 ttmp7, s13
	s_cselect_b32 s30, 14, 20
	s_cmp_lt_u32 ttmp9, s12
	s_wait_alu 0xfffe
	s_add_nc_u64 s[14:15], s[28:29], s[30:31]
	s_cselect_b32 s30, 12, 18
	s_load_u16 s14, s[14:15], 0x0
	s_add_nc_u64 s[12:13], s[28:29], s[30:31]
	s_mov_b32 s30, s33
	s_load_u16 s12, s[12:13], 0x0
	v_cmp_lt_u32_e64 s13, 1, v67
	s_wait_dscnt 0x0
	s_wait_kmcnt 0x0
	v_mad_u32_u24 v2, v45, s14, v0
	v_cmp_lt_u32_e64 s14, 3, v67
	s_delay_alu instid0(VALU_DEP_2) | instskip(SKIP_1) | instid1(VALU_DEP_2)
	v_mad_co_u64_u32 v[4:5], null, v2, s12, v[1:2]
	v_cmp_eq_u32_e64 s12, 0, v67
	v_lshrrev_b32_e32 v2, 3, v4
                                        ; implicit-def: $vgpr4_vgpr5
	s_delay_alu instid0(VALU_DEP_1)
	v_and_b32_e32 v92, 0x1ffffffc, v2
	s_branch .LBB1774_563
.LBB1774_562:                           ;   in Loop: Header=BB1774_563 Depth=2
	s_wait_alu 0xfffe
	s_or_b32 exec_lo, exec_lo, s15
	s_addk_co_i32 s43, 0xf800
	s_cmp_lt_u32 s44, s34
	s_mov_b32 s30, s44
	s_cbranch_scc0 .LBB1774_15
.LBB1774_563:                           ;   Parent Loop BB1774_17 Depth=1
                                        ; =>  This Inner Loop Header: Depth=2
	s_wait_alu 0xfffe
	s_add_co_i32 s44, s30, 0x800
	s_wait_alu 0xfffe
	s_cmp_gt_u32 s44, s34
	s_cbranch_scc1 .LBB1774_565
; %bb.564:                              ;   in Loop: Header=BB1774_563 Depth=2
	s_lshl_b64 s[16:17], s[30:31], 1
	s_mov_b32 s15, -1
	s_wait_alu 0xfffe
	v_add_co_u32 v20, vcc_lo, v90, s16
	s_wait_alu 0xfffd
	v_add_co_ci_u32_e64 v21, null, s17, v91, vcc_lo
	s_clause 0x6
	global_load_u16 v2, v[20:21], off
	global_load_u16 v27, v[20:21], off offset:64
	global_load_u16 v26, v[20:21], off offset:128
	;; [unrolled: 1-line block ×6, first 2 shown]
	s_movk_i32 s16, 0x800
	s_cbranch_execz .LBB1774_566
	s_branch .LBB1774_581
.LBB1774_565:                           ;   in Loop: Header=BB1774_563 Depth=2
	s_mov_b32 s15, 0
                                        ; implicit-def: $vgpr2
                                        ; implicit-def: $vgpr27
                                        ; implicit-def: $vgpr26
                                        ; implicit-def: $vgpr25
                                        ; implicit-def: $vgpr24
                                        ; implicit-def: $vgpr23
                                        ; implicit-def: $vgpr22
	s_movk_i32 s16, 0x800
.LBB1774_566:                           ;   in Loop: Header=BB1774_563 Depth=2
	s_lshl_b64 s[16:17], s[30:31], 1
	s_wait_loadcnt 0x5
	v_dual_mov_b32 v27, -1 :: v_dual_mov_b32 v2, -1
	s_wait_alu 0xfffe
	v_add_co_u32 v20, vcc_lo, v90, s16
	s_wait_alu 0xfffd
	v_add_co_ci_u32_e64 v21, null, s17, v91, vcc_lo
	s_mov_b32 s15, exec_lo
	v_cmpx_gt_u32_e64 s43, v66
	s_cbranch_execz .LBB1774_568
; %bb.567:                              ;   in Loop: Header=BB1774_563 Depth=2
	global_load_u16 v2, v[20:21], off
.LBB1774_568:                           ;   in Loop: Header=BB1774_563 Depth=2
	s_wait_alu 0xfffe
	s_or_b32 exec_lo, exec_lo, s15
	s_delay_alu instid0(SALU_CYCLE_1)
	s_mov_b32 s15, exec_lo
	v_cmpx_gt_u32_e64 s43, v70
	s_cbranch_execz .LBB1774_570
; %bb.569:                              ;   in Loop: Header=BB1774_563 Depth=2
	global_load_u16 v27, v[20:21], off offset:64
.LBB1774_570:                           ;   in Loop: Header=BB1774_563 Depth=2
	s_wait_alu 0xfffe
	s_or_b32 exec_lo, exec_lo, s15
	s_wait_loadcnt 0x3
	v_dual_mov_b32 v25, -1 :: v_dual_mov_b32 v26, -1
	s_mov_b32 s15, exec_lo
	v_cmpx_gt_u32_e64 s43, v71
	s_cbranch_execz .LBB1774_572
; %bb.571:                              ;   in Loop: Header=BB1774_563 Depth=2
	global_load_u16 v26, v[20:21], off offset:128
.LBB1774_572:                           ;   in Loop: Header=BB1774_563 Depth=2
	s_wait_alu 0xfffe
	s_or_b32 exec_lo, exec_lo, s15
	s_delay_alu instid0(SALU_CYCLE_1)
	s_mov_b32 s15, exec_lo
	v_cmpx_gt_u32_e64 s43, v72
	s_cbranch_execz .LBB1774_574
; %bb.573:                              ;   in Loop: Header=BB1774_563 Depth=2
	global_load_u16 v25, v[20:21], off offset:192
.LBB1774_574:                           ;   in Loop: Header=BB1774_563 Depth=2
	s_wait_alu 0xfffe
	s_or_b32 exec_lo, exec_lo, s15
	s_wait_loadcnt 0x1
	v_dual_mov_b32 v23, -1 :: v_dual_mov_b32 v24, -1
	s_mov_b32 s15, exec_lo
	v_cmpx_gt_u32_e64 s43, v73
	s_cbranch_execz .LBB1774_576
; %bb.575:                              ;   in Loop: Header=BB1774_563 Depth=2
	global_load_u16 v24, v[20:21], off offset:256
.LBB1774_576:                           ;   in Loop: Header=BB1774_563 Depth=2
	s_wait_alu 0xfffe
	s_or_b32 exec_lo, exec_lo, s15
	s_delay_alu instid0(SALU_CYCLE_1)
	s_mov_b32 s15, exec_lo
	v_cmpx_gt_u32_e64 s43, v74
	s_cbranch_execz .LBB1774_578
; %bb.577:                              ;   in Loop: Header=BB1774_563 Depth=2
	global_load_u16 v23, v[20:21], off offset:320
.LBB1774_578:                           ;   in Loop: Header=BB1774_563 Depth=2
	s_wait_alu 0xfffe
	s_or_b32 exec_lo, exec_lo, s15
	s_wait_loadcnt 0x0
	v_mov_b32_e32 v22, -1
	s_mov_b32 s15, exec_lo
	v_cmpx_gt_u32_e64 s43, v75
	s_cbranch_execz .LBB1774_580
; %bb.579:                              ;   in Loop: Header=BB1774_563 Depth=2
	global_load_u16 v22, v[20:21], off offset:384
.LBB1774_580:                           ;   in Loop: Header=BB1774_563 Depth=2
	s_wait_alu 0xfffe
	s_or_b32 exec_lo, exec_lo, s15
	v_cmp_gt_u32_e64 s15, s43, v76
	s_sub_co_i32 s16, s34, s30
.LBB1774_581:                           ;   in Loop: Header=BB1774_563 Depth=2
	v_dual_mov_b32 v20, -1 :: v_dual_mov_b32 v101, s43
	s_and_saveexec_b32 s17, s15
	s_cbranch_execz .LBB1774_583
; %bb.582:                              ;   in Loop: Header=BB1774_563 Depth=2
	s_lshl_b64 s[18:19], s[30:31], 1
	s_wait_alu 0xfffe
	v_mov_b32_e32 v101, s16
	v_add_co_u32 v20, vcc_lo, v90, s18
	s_wait_alu 0xfffd
	v_add_co_ci_u32_e64 v21, null, s19, v91, vcc_lo
	global_load_u16 v20, v[20:21], off offset:448
.LBB1774_583:                           ;   in Loop: Header=BB1774_563 Depth=2
	s_wait_alu 0xfffe
	s_or_b32 exec_lo, exec_lo, s17
	s_wait_loadcnt 0x6
	v_cmp_gt_i16_e32 vcc_lo, 0, v2
	ds_store_2addr_b32 v81, v3, v3 offset1:1
	ds_store_2addr_b32 v78, v3, v3 offset1:1
	ds_store_2addr_b32 v79, v3, v3 offset1:1
	ds_store_2addr_b32 v80, v3, v3 offset1:1
	ds_store_b32 v43, v3 offset:1088
	s_wait_loadcnt_dscnt 0x0
	s_barrier_signal -1
	s_wait_alu 0xfffd
	v_cndmask_b32_e64 v21, 0x7fff, 0, vcc_lo
	s_barrier_wait -1
	global_inv scope:SCOPE_SE
	; wave barrier
	v_xor_b32_e32 v2, v21, v2
	s_delay_alu instid0(VALU_DEP_1) | instskip(SKIP_2) | instid1(VALU_DEP_1)
	v_cmp_ne_u16_e32 vcc_lo, 0x8000, v2
	s_wait_alu 0xfffd
	v_cndmask_b32_e32 v21, 0x7fff, v2, vcc_lo
	v_and_b32_e32 v21, 0xffff, v21
	s_delay_alu instid0(VALU_DEP_1) | instskip(NEXT) | instid1(VALU_DEP_1)
	v_lshrrev_b32_e32 v21, s45, v21
	v_and_b32_e32 v103, s42, v21
	s_delay_alu instid0(VALU_DEP_1)
	v_and_b32_e32 v21, 1, v103
	v_lshlrev_b32_e32 v102, 30, v103
	v_lshlrev_b32_e32 v104, 29, v103
	;; [unrolled: 1-line block ×4, first 2 shown]
	v_add_co_u32 v21, s15, v21, -1
	s_wait_alu 0xf1ff
	v_cndmask_b32_e64 v106, 0, 1, s15
	v_not_b32_e32 v110, v102
	v_cmp_gt_i32_e64 s15, 0, v102
	v_not_b32_e32 v102, v104
	v_lshlrev_b32_e32 v108, 26, v103
	v_cmp_ne_u32_e32 vcc_lo, 0, v106
	v_ashrrev_i32_e32 v110, 31, v110
	v_lshlrev_b32_e32 v109, 25, v103
	v_ashrrev_i32_e32 v102, 31, v102
	v_lshlrev_b32_e32 v106, 24, v103
	s_wait_alu 0xfffd
	v_xor_b32_e32 v21, vcc_lo, v21
	v_cmp_gt_i32_e32 vcc_lo, 0, v104
	v_not_b32_e32 v104, v105
	s_wait_alu 0xf1ff
	v_xor_b32_e32 v110, s15, v110
	v_cmp_gt_i32_e64 s15, 0, v105
	v_and_b32_e32 v21, exec_lo, v21
	v_not_b32_e32 v105, v107
	v_ashrrev_i32_e32 v104, 31, v104
	s_wait_alu 0xfffd
	v_xor_b32_e32 v102, vcc_lo, v102
	v_cmp_gt_i32_e32 vcc_lo, 0, v107
	v_and_b32_e32 v21, v21, v110
	v_not_b32_e32 v107, v108
	v_ashrrev_i32_e32 v105, 31, v105
	s_wait_alu 0xf1ff
	v_xor_b32_e32 v104, s15, v104
	v_cmp_gt_i32_e64 s15, 0, v108
	v_and_b32_e32 v21, v21, v102
	v_not_b32_e32 v102, v109
	v_ashrrev_i32_e32 v107, 31, v107
	s_wait_alu 0xfffd
	v_xor_b32_e32 v105, vcc_lo, v105
	v_cmp_gt_i32_e32 vcc_lo, 0, v109
	v_and_b32_e32 v21, v21, v104
	v_not_b32_e32 v104, v106
	v_ashrrev_i32_e32 v102, 31, v102
	s_wait_alu 0xf1ff
	v_xor_b32_e32 v107, s15, v107
	v_cmp_gt_i32_e64 s15, 0, v106
	v_and_b32_e32 v21, v21, v105
	v_ashrrev_i32_e32 v104, 31, v104
	s_wait_alu 0xfffd
	v_xor_b32_e32 v102, vcc_lo, v102
	v_mul_u32_u24_e32 v103, 36, v103
	v_and_b32_e32 v21, v21, v107
	s_wait_alu 0xf1ff
	v_xor_b32_e32 v104, s15, v104
	s_delay_alu instid0(VALU_DEP_2) | instskip(NEXT) | instid1(VALU_DEP_1)
	v_and_b32_e32 v21, v21, v102
	v_and_b32_e32 v21, v21, v104
	v_add_nc_u32_e32 v104, v92, v103
	s_delay_alu instid0(VALU_DEP_2) | instskip(SKIP_1) | instid1(VALU_DEP_2)
	v_mbcnt_lo_u32_b32 v102, v21, 0
	v_cmp_ne_u32_e64 s15, 0, v21
	v_cmp_eq_u32_e32 vcc_lo, 0, v102
	s_and_b32 s16, s15, vcc_lo
	s_wait_alu 0xfffe
	s_and_saveexec_b32 s15, s16
; %bb.584:                              ;   in Loop: Header=BB1774_563 Depth=2
	v_bcnt_u32_b32 v21, v21, 0
	ds_store_b32 v104, v21 offset:1056
; %bb.585:                              ;   in Loop: Header=BB1774_563 Depth=2
	s_wait_alu 0xfffe
	s_or_b32 exec_lo, exec_lo, s15
	v_cmp_gt_i16_e32 vcc_lo, 0, v27
	; wave barrier
	s_wait_alu 0xfffd
	v_cndmask_b32_e64 v21, 0x7fff, 0, vcc_lo
	s_delay_alu instid0(VALU_DEP_1) | instskip(NEXT) | instid1(VALU_DEP_1)
	v_xor_b32_e32 v103, v21, v27
	v_cmp_ne_u16_e32 vcc_lo, 0x8000, v103
	s_wait_alu 0xfffd
	v_cndmask_b32_e32 v21, 0x7fff, v103, vcc_lo
	s_delay_alu instid0(VALU_DEP_1) | instskip(NEXT) | instid1(VALU_DEP_1)
	v_and_b32_e32 v21, 0xffff, v21
	v_lshrrev_b32_e32 v21, s45, v21
	s_delay_alu instid0(VALU_DEP_1) | instskip(NEXT) | instid1(VALU_DEP_1)
	v_and_b32_e32 v27, s42, v21
	v_and_b32_e32 v21, 1, v27
	v_lshlrev_b32_e32 v105, 30, v27
	v_lshlrev_b32_e32 v106, 29, v27
	;; [unrolled: 1-line block ×4, first 2 shown]
	v_add_co_u32 v21, s15, v21, -1
	s_wait_alu 0xf1ff
	v_cndmask_b32_e64 v108, 0, 1, s15
	v_not_b32_e32 v112, v105
	v_cmp_gt_i32_e64 s15, 0, v105
	v_not_b32_e32 v105, v106
	v_lshlrev_b32_e32 v110, 26, v27
	v_cmp_ne_u32_e32 vcc_lo, 0, v108
	v_ashrrev_i32_e32 v112, 31, v112
	v_lshlrev_b32_e32 v111, 25, v27
	v_ashrrev_i32_e32 v105, 31, v105
	v_lshlrev_b32_e32 v108, 24, v27
	s_wait_alu 0xfffd
	v_xor_b32_e32 v21, vcc_lo, v21
	v_cmp_gt_i32_e32 vcc_lo, 0, v106
	v_not_b32_e32 v106, v107
	s_wait_alu 0xf1ff
	v_xor_b32_e32 v112, s15, v112
	v_cmp_gt_i32_e64 s15, 0, v107
	v_and_b32_e32 v21, exec_lo, v21
	v_not_b32_e32 v107, v109
	v_ashrrev_i32_e32 v106, 31, v106
	s_wait_alu 0xfffd
	v_xor_b32_e32 v105, vcc_lo, v105
	v_cmp_gt_i32_e32 vcc_lo, 0, v109
	v_and_b32_e32 v21, v21, v112
	v_not_b32_e32 v109, v110
	v_ashrrev_i32_e32 v107, 31, v107
	s_wait_alu 0xf1ff
	v_xor_b32_e32 v106, s15, v106
	v_cmp_gt_i32_e64 s15, 0, v110
	v_and_b32_e32 v21, v21, v105
	v_not_b32_e32 v105, v111
	v_ashrrev_i32_e32 v109, 31, v109
	s_wait_alu 0xfffd
	v_xor_b32_e32 v107, vcc_lo, v107
	v_cmp_gt_i32_e32 vcc_lo, 0, v111
	v_and_b32_e32 v21, v21, v106
	v_not_b32_e32 v106, v108
	v_ashrrev_i32_e32 v105, 31, v105
	s_wait_alu 0xf1ff
	v_xor_b32_e32 v109, s15, v109
	v_cmp_gt_i32_e64 s15, 0, v108
	v_and_b32_e32 v21, v21, v107
	v_ashrrev_i32_e32 v106, 31, v106
	s_wait_alu 0xfffd
	v_xor_b32_e32 v105, vcc_lo, v105
	v_mad_u32_u24 v107, v27, 36, v92
	v_mul_u32_u24_e32 v27, 36, v27
	v_and_b32_e32 v21, v21, v109
	s_wait_alu 0xf1ff
	v_xor_b32_e32 v106, s15, v106
	s_delay_alu instid0(VALU_DEP_3) | instskip(NEXT) | instid1(VALU_DEP_3)
	v_add_nc_u32_e32 v108, v92, v27
	v_and_b32_e32 v21, v21, v105
	ds_load_b32 v105, v107 offset:1056
	; wave barrier
	v_and_b32_e32 v21, v21, v106
	s_delay_alu instid0(VALU_DEP_1) | instskip(SKIP_1) | instid1(VALU_DEP_2)
	v_mbcnt_lo_u32_b32 v106, v21, 0
	v_cmp_ne_u32_e64 s15, 0, v21
	v_cmp_eq_u32_e32 vcc_lo, 0, v106
	s_and_b32 s16, s15, vcc_lo
	s_wait_alu 0xfffe
	s_and_saveexec_b32 s15, s16
	s_cbranch_execz .LBB1774_587
; %bb.586:                              ;   in Loop: Header=BB1774_563 Depth=2
	s_wait_dscnt 0x0
	v_bcnt_u32_b32 v21, v21, v105
	ds_store_b32 v108, v21 offset:1056
.LBB1774_587:                           ;   in Loop: Header=BB1774_563 Depth=2
	s_wait_alu 0xfffe
	s_or_b32 exec_lo, exec_lo, s15
	v_cmp_gt_i16_e32 vcc_lo, 0, v26
	; wave barrier
	s_wait_alu 0xfffd
	v_cndmask_b32_e64 v21, 0x7fff, 0, vcc_lo
	s_delay_alu instid0(VALU_DEP_1) | instskip(NEXT) | instid1(VALU_DEP_1)
	v_xor_b32_e32 v107, v21, v26
	v_cmp_ne_u16_e32 vcc_lo, 0x8000, v107
	s_wait_alu 0xfffd
	v_cndmask_b32_e32 v21, 0x7fff, v107, vcc_lo
	s_delay_alu instid0(VALU_DEP_1) | instskip(NEXT) | instid1(VALU_DEP_1)
	v_and_b32_e32 v21, 0xffff, v21
	v_lshrrev_b32_e32 v21, s45, v21
	s_delay_alu instid0(VALU_DEP_1) | instskip(NEXT) | instid1(VALU_DEP_1)
	v_and_b32_e32 v26, s42, v21
	v_and_b32_e32 v21, 1, v26
	v_lshlrev_b32_e32 v27, 30, v26
	v_lshlrev_b32_e32 v109, 29, v26
	;; [unrolled: 1-line block ×4, first 2 shown]
	v_add_co_u32 v21, s15, v21, -1
	s_wait_alu 0xf1ff
	v_cndmask_b32_e64 v111, 0, 1, s15
	v_not_b32_e32 v115, v27
	v_cmp_gt_i32_e64 s15, 0, v27
	v_not_b32_e32 v27, v109
	v_lshlrev_b32_e32 v113, 26, v26
	v_cmp_ne_u32_e32 vcc_lo, 0, v111
	v_ashrrev_i32_e32 v115, 31, v115
	v_lshlrev_b32_e32 v114, 25, v26
	v_ashrrev_i32_e32 v27, 31, v27
	v_lshlrev_b32_e32 v111, 24, v26
	s_wait_alu 0xfffd
	v_xor_b32_e32 v21, vcc_lo, v21
	v_cmp_gt_i32_e32 vcc_lo, 0, v109
	v_not_b32_e32 v109, v110
	s_wait_alu 0xf1ff
	v_xor_b32_e32 v115, s15, v115
	v_cmp_gt_i32_e64 s15, 0, v110
	v_and_b32_e32 v21, exec_lo, v21
	v_not_b32_e32 v110, v112
	v_ashrrev_i32_e32 v109, 31, v109
	s_wait_alu 0xfffd
	v_xor_b32_e32 v27, vcc_lo, v27
	v_cmp_gt_i32_e32 vcc_lo, 0, v112
	v_and_b32_e32 v21, v21, v115
	v_not_b32_e32 v112, v113
	v_ashrrev_i32_e32 v110, 31, v110
	s_wait_alu 0xf1ff
	v_xor_b32_e32 v109, s15, v109
	v_cmp_gt_i32_e64 s15, 0, v113
	v_and_b32_e32 v21, v21, v27
	v_not_b32_e32 v27, v114
	v_ashrrev_i32_e32 v112, 31, v112
	s_wait_alu 0xfffd
	v_xor_b32_e32 v110, vcc_lo, v110
	v_cmp_gt_i32_e32 vcc_lo, 0, v114
	v_and_b32_e32 v21, v21, v109
	v_not_b32_e32 v109, v111
	v_ashrrev_i32_e32 v27, 31, v27
	s_wait_alu 0xf1ff
	v_xor_b32_e32 v112, s15, v112
	v_cmp_gt_i32_e64 s15, 0, v111
	v_and_b32_e32 v21, v21, v110
	v_ashrrev_i32_e32 v109, 31, v109
	s_wait_alu 0xfffd
	v_xor_b32_e32 v27, vcc_lo, v27
	v_mad_u32_u24 v110, v26, 36, v92
	v_mul_u32_u24_e32 v26, 36, v26
	v_and_b32_e32 v21, v21, v112
	s_wait_alu 0xf1ff
	v_xor_b32_e32 v111, s15, v109
	ds_load_b32 v109, v110 offset:1056
	v_add_nc_u32_e32 v112, v92, v26
	v_and_b32_e32 v21, v21, v27
	; wave barrier
	s_delay_alu instid0(VALU_DEP_1) | instskip(NEXT) | instid1(VALU_DEP_1)
	v_and_b32_e32 v21, v21, v111
	v_mbcnt_lo_u32_b32 v111, v21, 0
	v_cmp_ne_u32_e64 s15, 0, v21
	s_delay_alu instid0(VALU_DEP_2)
	v_cmp_eq_u32_e32 vcc_lo, 0, v111
	s_and_b32 s16, s15, vcc_lo
	s_wait_alu 0xfffe
	s_and_saveexec_b32 s15, s16
	s_cbranch_execz .LBB1774_589
; %bb.588:                              ;   in Loop: Header=BB1774_563 Depth=2
	s_wait_dscnt 0x0
	v_bcnt_u32_b32 v21, v21, v109
	ds_store_b32 v112, v21 offset:1056
.LBB1774_589:                           ;   in Loop: Header=BB1774_563 Depth=2
	s_wait_alu 0xfffe
	s_or_b32 exec_lo, exec_lo, s15
	v_cmp_gt_i16_e32 vcc_lo, 0, v25
	; wave barrier
	s_wait_alu 0xfffd
	v_cndmask_b32_e64 v21, 0x7fff, 0, vcc_lo
	s_delay_alu instid0(VALU_DEP_1) | instskip(NEXT) | instid1(VALU_DEP_1)
	v_xor_b32_e32 v110, v21, v25
	v_cmp_ne_u16_e32 vcc_lo, 0x8000, v110
	s_wait_alu 0xfffd
	v_cndmask_b32_e32 v21, 0x7fff, v110, vcc_lo
	s_delay_alu instid0(VALU_DEP_1) | instskip(NEXT) | instid1(VALU_DEP_1)
	v_and_b32_e32 v21, 0xffff, v21
	v_lshrrev_b32_e32 v21, s45, v21
	s_delay_alu instid0(VALU_DEP_1) | instskip(NEXT) | instid1(VALU_DEP_1)
	v_and_b32_e32 v25, s42, v21
	v_and_b32_e32 v21, 1, v25
	v_lshlrev_b32_e32 v26, 30, v25
	v_lshlrev_b32_e32 v27, 29, v25
	;; [unrolled: 1-line block ×4, first 2 shown]
	v_add_co_u32 v21, s15, v21, -1
	s_wait_alu 0xf1ff
	v_cndmask_b32_e64 v114, 0, 1, s15
	v_not_b32_e32 v118, v26
	v_cmp_gt_i32_e64 s15, 0, v26
	v_not_b32_e32 v26, v27
	v_lshlrev_b32_e32 v116, 26, v25
	v_cmp_ne_u32_e32 vcc_lo, 0, v114
	v_ashrrev_i32_e32 v118, 31, v118
	v_lshlrev_b32_e32 v117, 25, v25
	v_ashrrev_i32_e32 v26, 31, v26
	v_lshlrev_b32_e32 v114, 24, v25
	s_wait_alu 0xfffd
	v_xor_b32_e32 v21, vcc_lo, v21
	v_cmp_gt_i32_e32 vcc_lo, 0, v27
	v_not_b32_e32 v27, v113
	s_wait_alu 0xf1ff
	v_xor_b32_e32 v118, s15, v118
	v_cmp_gt_i32_e64 s15, 0, v113
	v_and_b32_e32 v21, exec_lo, v21
	v_not_b32_e32 v113, v115
	v_ashrrev_i32_e32 v27, 31, v27
	s_wait_alu 0xfffd
	v_xor_b32_e32 v26, vcc_lo, v26
	v_cmp_gt_i32_e32 vcc_lo, 0, v115
	v_and_b32_e32 v21, v21, v118
	v_not_b32_e32 v115, v116
	v_ashrrev_i32_e32 v113, 31, v113
	s_wait_alu 0xf1ff
	v_xor_b32_e32 v27, s15, v27
	v_cmp_gt_i32_e64 s15, 0, v116
	v_and_b32_e32 v21, v21, v26
	v_not_b32_e32 v26, v117
	v_ashrrev_i32_e32 v115, 31, v115
	s_wait_alu 0xfffd
	v_xor_b32_e32 v113, vcc_lo, v113
	v_cmp_gt_i32_e32 vcc_lo, 0, v117
	v_and_b32_e32 v21, v21, v27
	v_not_b32_e32 v27, v114
	v_ashrrev_i32_e32 v26, 31, v26
	s_wait_alu 0xf1ff
	v_xor_b32_e32 v115, s15, v115
	v_cmp_gt_i32_e64 s15, 0, v114
	v_and_b32_e32 v21, v21, v113
	v_ashrrev_i32_e32 v27, 31, v27
	s_wait_alu 0xfffd
	v_xor_b32_e32 v26, vcc_lo, v26
	v_mad_u32_u24 v113, v25, 36, v92
	v_mul_u32_u24_e32 v25, 36, v25
	v_and_b32_e32 v21, v21, v115
	s_wait_alu 0xf1ff
	v_xor_b32_e32 v27, s15, v27
	ds_load_b32 v113, v113 offset:1056
	v_add_nc_u32_e32 v116, v92, v25
	v_and_b32_e32 v21, v21, v26
	; wave barrier
	s_delay_alu instid0(VALU_DEP_1) | instskip(NEXT) | instid1(VALU_DEP_1)
	v_and_b32_e32 v21, v21, v27
	v_mbcnt_lo_u32_b32 v115, v21, 0
	v_cmp_ne_u32_e64 s15, 0, v21
	s_delay_alu instid0(VALU_DEP_2)
	v_cmp_eq_u32_e32 vcc_lo, 0, v115
	s_and_b32 s16, s15, vcc_lo
	s_wait_alu 0xfffe
	s_and_saveexec_b32 s15, s16
	s_cbranch_execz .LBB1774_591
; %bb.590:                              ;   in Loop: Header=BB1774_563 Depth=2
	s_wait_dscnt 0x0
	v_bcnt_u32_b32 v21, v21, v113
	ds_store_b32 v116, v21 offset:1056
.LBB1774_591:                           ;   in Loop: Header=BB1774_563 Depth=2
	s_wait_alu 0xfffe
	s_or_b32 exec_lo, exec_lo, s15
	v_cmp_gt_i16_e32 vcc_lo, 0, v24
	; wave barrier
	s_wait_alu 0xfffd
	v_cndmask_b32_e64 v21, 0x7fff, 0, vcc_lo
	s_delay_alu instid0(VALU_DEP_1) | instskip(NEXT) | instid1(VALU_DEP_1)
	v_xor_b32_e32 v114, v21, v24
	v_cmp_ne_u16_e32 vcc_lo, 0x8000, v114
	s_wait_alu 0xfffd
	v_cndmask_b32_e32 v21, 0x7fff, v114, vcc_lo
	s_delay_alu instid0(VALU_DEP_1) | instskip(NEXT) | instid1(VALU_DEP_1)
	v_and_b32_e32 v21, 0xffff, v21
	v_lshrrev_b32_e32 v21, s45, v21
	s_delay_alu instid0(VALU_DEP_1) | instskip(NEXT) | instid1(VALU_DEP_1)
	v_and_b32_e32 v24, s42, v21
	v_and_b32_e32 v21, 1, v24
	v_lshlrev_b32_e32 v25, 30, v24
	v_lshlrev_b32_e32 v26, 29, v24
	;; [unrolled: 1-line block ×4, first 2 shown]
	v_add_co_u32 v21, s15, v21, -1
	s_wait_alu 0xf1ff
	v_cndmask_b32_e64 v117, 0, 1, s15
	v_not_b32_e32 v121, v25
	v_cmp_gt_i32_e64 s15, 0, v25
	v_not_b32_e32 v25, v26
	v_lshlrev_b32_e32 v119, 26, v24
	v_cmp_ne_u32_e32 vcc_lo, 0, v117
	v_ashrrev_i32_e32 v121, 31, v121
	v_lshlrev_b32_e32 v120, 25, v24
	v_ashrrev_i32_e32 v25, 31, v25
	v_lshlrev_b32_e32 v117, 24, v24
	s_wait_alu 0xfffd
	v_xor_b32_e32 v21, vcc_lo, v21
	v_cmp_gt_i32_e32 vcc_lo, 0, v26
	v_not_b32_e32 v26, v27
	s_wait_alu 0xf1ff
	v_xor_b32_e32 v121, s15, v121
	v_cmp_gt_i32_e64 s15, 0, v27
	v_and_b32_e32 v21, exec_lo, v21
	v_not_b32_e32 v27, v118
	v_ashrrev_i32_e32 v26, 31, v26
	s_wait_alu 0xfffd
	v_xor_b32_e32 v25, vcc_lo, v25
	v_cmp_gt_i32_e32 vcc_lo, 0, v118
	v_and_b32_e32 v21, v21, v121
	v_not_b32_e32 v118, v119
	v_ashrrev_i32_e32 v27, 31, v27
	s_wait_alu 0xf1ff
	v_xor_b32_e32 v26, s15, v26
	v_cmp_gt_i32_e64 s15, 0, v119
	v_and_b32_e32 v21, v21, v25
	v_not_b32_e32 v25, v120
	v_ashrrev_i32_e32 v118, 31, v118
	s_wait_alu 0xfffd
	v_xor_b32_e32 v27, vcc_lo, v27
	v_cmp_gt_i32_e32 vcc_lo, 0, v120
	v_and_b32_e32 v21, v21, v26
	v_not_b32_e32 v26, v117
	v_ashrrev_i32_e32 v25, 31, v25
	s_wait_alu 0xf1ff
	v_xor_b32_e32 v118, s15, v118
	v_cmp_gt_i32_e64 s15, 0, v117
	v_and_b32_e32 v21, v21, v27
	v_ashrrev_i32_e32 v26, 31, v26
	s_wait_alu 0xfffd
	v_xor_b32_e32 v25, vcc_lo, v25
	v_mad_u32_u24 v27, v24, 36, v92
	v_mul_u32_u24_e32 v24, 36, v24
	v_and_b32_e32 v21, v21, v118
	s_wait_alu 0xf1ff
	v_xor_b32_e32 v26, s15, v26
	ds_load_b32 v117, v27 offset:1056
	v_add_nc_u32_e32 v120, v92, v24
	v_and_b32_e32 v21, v21, v25
	; wave barrier
	s_delay_alu instid0(VALU_DEP_1) | instskip(NEXT) | instid1(VALU_DEP_1)
	v_and_b32_e32 v21, v21, v26
	v_mbcnt_lo_u32_b32 v119, v21, 0
	v_cmp_ne_u32_e64 s15, 0, v21
	s_delay_alu instid0(VALU_DEP_2)
	v_cmp_eq_u32_e32 vcc_lo, 0, v119
	s_and_b32 s16, s15, vcc_lo
	s_wait_alu 0xfffe
	s_and_saveexec_b32 s15, s16
	s_cbranch_execz .LBB1774_593
; %bb.592:                              ;   in Loop: Header=BB1774_563 Depth=2
	s_wait_dscnt 0x0
	v_bcnt_u32_b32 v21, v21, v117
	ds_store_b32 v120, v21 offset:1056
.LBB1774_593:                           ;   in Loop: Header=BB1774_563 Depth=2
	s_wait_alu 0xfffe
	s_or_b32 exec_lo, exec_lo, s15
	v_cmp_gt_i16_e32 vcc_lo, 0, v23
	; wave barrier
	s_wait_alu 0xfffd
	v_cndmask_b32_e64 v21, 0x7fff, 0, vcc_lo
	s_delay_alu instid0(VALU_DEP_1) | instskip(NEXT) | instid1(VALU_DEP_1)
	v_xor_b32_e32 v118, v21, v23
	v_cmp_ne_u16_e32 vcc_lo, 0x8000, v118
	s_wait_alu 0xfffd
	v_cndmask_b32_e32 v21, 0x7fff, v118, vcc_lo
	s_delay_alu instid0(VALU_DEP_1) | instskip(NEXT) | instid1(VALU_DEP_1)
	v_and_b32_e32 v21, 0xffff, v21
	v_lshrrev_b32_e32 v21, s45, v21
	s_delay_alu instid0(VALU_DEP_1) | instskip(NEXT) | instid1(VALU_DEP_1)
	v_and_b32_e32 v23, s42, v21
	v_and_b32_e32 v21, 1, v23
	v_lshlrev_b32_e32 v24, 30, v23
	v_lshlrev_b32_e32 v25, 29, v23
	;; [unrolled: 1-line block ×4, first 2 shown]
	v_add_co_u32 v21, s15, v21, -1
	s_wait_alu 0xf1ff
	v_cndmask_b32_e64 v27, 0, 1, s15
	v_not_b32_e32 v124, v24
	v_cmp_gt_i32_e64 s15, 0, v24
	v_not_b32_e32 v24, v25
	v_lshlrev_b32_e32 v122, 26, v23
	v_cmp_ne_u32_e32 vcc_lo, 0, v27
	v_ashrrev_i32_e32 v124, 31, v124
	v_lshlrev_b32_e32 v123, 25, v23
	v_ashrrev_i32_e32 v24, 31, v24
	v_lshlrev_b32_e32 v27, 24, v23
	s_wait_alu 0xfffd
	v_xor_b32_e32 v21, vcc_lo, v21
	v_cmp_gt_i32_e32 vcc_lo, 0, v25
	v_not_b32_e32 v25, v26
	s_wait_alu 0xf1ff
	v_xor_b32_e32 v124, s15, v124
	v_cmp_gt_i32_e64 s15, 0, v26
	v_and_b32_e32 v21, exec_lo, v21
	v_not_b32_e32 v26, v121
	v_ashrrev_i32_e32 v25, 31, v25
	s_wait_alu 0xfffd
	v_xor_b32_e32 v24, vcc_lo, v24
	v_cmp_gt_i32_e32 vcc_lo, 0, v121
	v_and_b32_e32 v21, v21, v124
	v_not_b32_e32 v121, v122
	v_ashrrev_i32_e32 v26, 31, v26
	s_wait_alu 0xf1ff
	v_xor_b32_e32 v25, s15, v25
	v_cmp_gt_i32_e64 s15, 0, v122
	v_and_b32_e32 v21, v21, v24
	v_not_b32_e32 v24, v123
	v_ashrrev_i32_e32 v121, 31, v121
	s_wait_alu 0xfffd
	v_xor_b32_e32 v26, vcc_lo, v26
	v_cmp_gt_i32_e32 vcc_lo, 0, v123
	v_and_b32_e32 v21, v21, v25
	v_not_b32_e32 v25, v27
	v_ashrrev_i32_e32 v24, 31, v24
	s_wait_alu 0xf1ff
	v_xor_b32_e32 v121, s15, v121
	v_cmp_gt_i32_e64 s15, 0, v27
	v_and_b32_e32 v21, v21, v26
	v_ashrrev_i32_e32 v25, 31, v25
	s_wait_alu 0xfffd
	v_xor_b32_e32 v24, vcc_lo, v24
	v_mad_u32_u24 v26, v23, 36, v92
	v_mul_u32_u24_e32 v23, 36, v23
	v_and_b32_e32 v21, v21, v121
	s_wait_alu 0xf1ff
	v_xor_b32_e32 v25, s15, v25
	ds_load_b32 v121, v26 offset:1056
	v_add_nc_u32_e32 v124, v92, v23
	v_and_b32_e32 v21, v21, v24
	; wave barrier
	s_delay_alu instid0(VALU_DEP_1) | instskip(NEXT) | instid1(VALU_DEP_1)
	v_and_b32_e32 v21, v21, v25
	v_mbcnt_lo_u32_b32 v123, v21, 0
	v_cmp_ne_u32_e64 s15, 0, v21
	s_delay_alu instid0(VALU_DEP_2)
	v_cmp_eq_u32_e32 vcc_lo, 0, v123
	s_and_b32 s16, s15, vcc_lo
	s_wait_alu 0xfffe
	s_and_saveexec_b32 s15, s16
	s_cbranch_execz .LBB1774_595
; %bb.594:                              ;   in Loop: Header=BB1774_563 Depth=2
	s_wait_dscnt 0x0
	v_bcnt_u32_b32 v21, v21, v121
	ds_store_b32 v124, v21 offset:1056
.LBB1774_595:                           ;   in Loop: Header=BB1774_563 Depth=2
	s_wait_alu 0xfffe
	s_or_b32 exec_lo, exec_lo, s15
	v_cmp_gt_i16_e32 vcc_lo, 0, v22
	; wave barrier
	s_wait_alu 0xfffd
	v_cndmask_b32_e64 v21, 0x7fff, 0, vcc_lo
	s_delay_alu instid0(VALU_DEP_1) | instskip(NEXT) | instid1(VALU_DEP_1)
	v_xor_b32_e32 v122, v21, v22
	v_cmp_ne_u16_e32 vcc_lo, 0x8000, v122
	s_wait_alu 0xfffd
	v_cndmask_b32_e32 v21, 0x7fff, v122, vcc_lo
	s_delay_alu instid0(VALU_DEP_1) | instskip(NEXT) | instid1(VALU_DEP_1)
	v_and_b32_e32 v21, 0xffff, v21
	v_lshrrev_b32_e32 v21, s45, v21
	s_delay_alu instid0(VALU_DEP_1) | instskip(NEXT) | instid1(VALU_DEP_1)
	v_and_b32_e32 v22, s42, v21
	v_and_b32_e32 v21, 1, v22
	v_lshlrev_b32_e32 v23, 30, v22
	v_lshlrev_b32_e32 v24, 29, v22
	;; [unrolled: 1-line block ×4, first 2 shown]
	v_add_co_u32 v21, s15, v21, -1
	s_wait_alu 0xf1ff
	v_cndmask_b32_e64 v26, 0, 1, s15
	v_not_b32_e32 v127, v23
	v_cmp_gt_i32_e64 s15, 0, v23
	v_not_b32_e32 v23, v24
	v_lshlrev_b32_e32 v125, 26, v22
	v_cmp_ne_u32_e32 vcc_lo, 0, v26
	v_ashrrev_i32_e32 v127, 31, v127
	v_lshlrev_b32_e32 v126, 25, v22
	v_ashrrev_i32_e32 v23, 31, v23
	v_lshlrev_b32_e32 v26, 24, v22
	s_wait_alu 0xfffd
	v_xor_b32_e32 v21, vcc_lo, v21
	v_cmp_gt_i32_e32 vcc_lo, 0, v24
	v_not_b32_e32 v24, v25
	s_wait_alu 0xf1ff
	v_xor_b32_e32 v127, s15, v127
	v_cmp_gt_i32_e64 s15, 0, v25
	v_and_b32_e32 v21, exec_lo, v21
	v_not_b32_e32 v25, v27
	v_ashrrev_i32_e32 v24, 31, v24
	s_wait_alu 0xfffd
	v_xor_b32_e32 v23, vcc_lo, v23
	v_cmp_gt_i32_e32 vcc_lo, 0, v27
	v_and_b32_e32 v21, v21, v127
	v_not_b32_e32 v27, v125
	v_ashrrev_i32_e32 v25, 31, v25
	s_wait_alu 0xf1ff
	v_xor_b32_e32 v24, s15, v24
	v_cmp_gt_i32_e64 s15, 0, v125
	v_and_b32_e32 v21, v21, v23
	v_not_b32_e32 v23, v126
	v_ashrrev_i32_e32 v27, 31, v27
	s_wait_alu 0xfffd
	v_xor_b32_e32 v25, vcc_lo, v25
	v_cmp_gt_i32_e32 vcc_lo, 0, v126
	v_and_b32_e32 v21, v21, v24
	v_not_b32_e32 v24, v26
	v_ashrrev_i32_e32 v23, 31, v23
	s_wait_alu 0xf1ff
	v_xor_b32_e32 v27, s15, v27
	v_cmp_gt_i32_e64 s15, 0, v26
	v_and_b32_e32 v21, v21, v25
	v_ashrrev_i32_e32 v24, 31, v24
	s_wait_alu 0xfffd
	v_xor_b32_e32 v23, vcc_lo, v23
	v_mad_u32_u24 v25, v22, 36, v92
	v_mul_u32_u24_e32 v22, 36, v22
	v_and_b32_e32 v21, v21, v27
	s_wait_alu 0xf1ff
	v_xor_b32_e32 v24, s15, v24
	ds_load_b32 v125, v25 offset:1056
	v_add_nc_u32_e32 v128, v92, v22
	v_and_b32_e32 v21, v21, v23
	; wave barrier
	s_delay_alu instid0(VALU_DEP_1) | instskip(NEXT) | instid1(VALU_DEP_1)
	v_and_b32_e32 v21, v21, v24
	v_mbcnt_lo_u32_b32 v126, v21, 0
	v_cmp_ne_u32_e64 s15, 0, v21
	s_delay_alu instid0(VALU_DEP_2)
	v_cmp_eq_u32_e32 vcc_lo, 0, v126
	s_and_b32 s16, s15, vcc_lo
	s_wait_alu 0xfffe
	s_and_saveexec_b32 s15, s16
	s_cbranch_execz .LBB1774_597
; %bb.596:                              ;   in Loop: Header=BB1774_563 Depth=2
	s_wait_dscnt 0x0
	v_bcnt_u32_b32 v21, v21, v125
	ds_store_b32 v128, v21 offset:1056
.LBB1774_597:                           ;   in Loop: Header=BB1774_563 Depth=2
	s_wait_alu 0xfffe
	s_or_b32 exec_lo, exec_lo, s15
	v_cmp_gt_i16_e32 vcc_lo, 0, v20
	; wave barrier
	s_wait_alu 0xfffd
	v_cndmask_b32_e64 v21, 0x7fff, 0, vcc_lo
	s_delay_alu instid0(VALU_DEP_1) | instskip(NEXT) | instid1(VALU_DEP_1)
	v_xor_b32_e32 v127, v21, v20
	v_cmp_ne_u16_e32 vcc_lo, 0x8000, v127
	s_wait_alu 0xfffd
	v_cndmask_b32_e32 v20, 0x7fff, v127, vcc_lo
	s_delay_alu instid0(VALU_DEP_1) | instskip(NEXT) | instid1(VALU_DEP_1)
	v_and_b32_e32 v20, 0xffff, v20
	v_lshrrev_b32_e32 v20, s45, v20
	s_delay_alu instid0(VALU_DEP_1) | instskip(NEXT) | instid1(VALU_DEP_1)
	v_and_b32_e32 v21, s42, v20
	v_and_b32_e32 v20, 1, v21
	v_lshlrev_b32_e32 v22, 30, v21
	v_lshlrev_b32_e32 v23, 29, v21
	;; [unrolled: 1-line block ×4, first 2 shown]
	v_add_co_u32 v20, s15, v20, -1
	s_wait_alu 0xf1ff
	v_cndmask_b32_e64 v25, 0, 1, s15
	v_not_b32_e32 v130, v22
	v_cmp_gt_i32_e64 s15, 0, v22
	v_not_b32_e32 v22, v23
	v_lshlrev_b32_e32 v27, 26, v21
	v_cmp_ne_u32_e32 vcc_lo, 0, v25
	v_ashrrev_i32_e32 v130, 31, v130
	v_lshlrev_b32_e32 v129, 25, v21
	v_ashrrev_i32_e32 v22, 31, v22
	v_lshlrev_b32_e32 v25, 24, v21
	s_wait_alu 0xfffd
	v_xor_b32_e32 v20, vcc_lo, v20
	v_cmp_gt_i32_e32 vcc_lo, 0, v23
	v_not_b32_e32 v23, v24
	s_wait_alu 0xf1ff
	v_xor_b32_e32 v130, s15, v130
	v_cmp_gt_i32_e64 s15, 0, v24
	v_and_b32_e32 v20, exec_lo, v20
	v_not_b32_e32 v24, v26
	v_ashrrev_i32_e32 v23, 31, v23
	s_wait_alu 0xfffd
	v_xor_b32_e32 v22, vcc_lo, v22
	v_cmp_gt_i32_e32 vcc_lo, 0, v26
	v_and_b32_e32 v20, v20, v130
	v_not_b32_e32 v26, v27
	v_ashrrev_i32_e32 v24, 31, v24
	s_wait_alu 0xf1ff
	v_xor_b32_e32 v23, s15, v23
	v_cmp_gt_i32_e64 s15, 0, v27
	v_and_b32_e32 v20, v20, v22
	v_not_b32_e32 v22, v129
	v_ashrrev_i32_e32 v26, 31, v26
	s_wait_alu 0xfffd
	v_xor_b32_e32 v24, vcc_lo, v24
	v_cmp_gt_i32_e32 vcc_lo, 0, v129
	v_and_b32_e32 v20, v20, v23
	v_not_b32_e32 v23, v25
	v_ashrrev_i32_e32 v22, 31, v22
	s_wait_alu 0xf1ff
	v_xor_b32_e32 v26, s15, v26
	v_cmp_gt_i32_e64 s15, 0, v25
	v_and_b32_e32 v20, v20, v24
	v_ashrrev_i32_e32 v23, 31, v23
	s_wait_alu 0xfffd
	v_xor_b32_e32 v22, vcc_lo, v22
	v_mad_u32_u24 v24, v21, 36, v92
	v_mul_u32_u24_e32 v21, 36, v21
	v_and_b32_e32 v20, v20, v26
	s_wait_alu 0xf1ff
	v_xor_b32_e32 v23, s15, v23
	ds_load_b32 v129, v24 offset:1056
	v_add_nc_u32_e32 v131, v92, v21
	v_and_b32_e32 v20, v20, v22
	; wave barrier
	s_delay_alu instid0(VALU_DEP_1) | instskip(NEXT) | instid1(VALU_DEP_1)
	v_and_b32_e32 v20, v20, v23
	v_mbcnt_lo_u32_b32 v130, v20, 0
	v_cmp_ne_u32_e64 s15, 0, v20
	s_delay_alu instid0(VALU_DEP_2)
	v_cmp_eq_u32_e32 vcc_lo, 0, v130
	s_and_b32 s16, s15, vcc_lo
	s_wait_alu 0xfffe
	s_and_saveexec_b32 s15, s16
	s_cbranch_execz .LBB1774_599
; %bb.598:                              ;   in Loop: Header=BB1774_563 Depth=2
	s_wait_dscnt 0x0
	v_bcnt_u32_b32 v20, v20, v129
	ds_store_b32 v131, v20 offset:1056
.LBB1774_599:                           ;   in Loop: Header=BB1774_563 Depth=2
	s_wait_alu 0xfffe
	s_or_b32 exec_lo, exec_lo, s15
	; wave barrier
	s_wait_loadcnt_dscnt 0x0
	s_barrier_signal -1
	s_barrier_wait -1
	global_inv scope:SCOPE_SE
	ds_load_2addr_b32 v[26:27], v78 offset1:1
	ds_load_2addr_b32 v[24:25], v79 offset1:1
	;; [unrolled: 1-line block ×4, first 2 shown]
	ds_load_b32 v132, v43 offset:1088
	s_wait_dscnt 0x3
	v_add3_u32 v133, v27, v26, v24
	s_wait_dscnt 0x2
	s_delay_alu instid0(VALU_DEP_1) | instskip(SKIP_1) | instid1(VALU_DEP_1)
	v_add3_u32 v133, v133, v25, v22
	s_wait_dscnt 0x1
	v_add3_u32 v133, v133, v23, v20
	s_wait_dscnt 0x0
	s_delay_alu instid0(VALU_DEP_1) | instskip(NEXT) | instid1(VALU_DEP_1)
	v_add3_u32 v132, v133, v21, v132
	v_mov_b32_dpp v133, v132 row_shr:1 row_mask:0xf bank_mask:0xf
	s_delay_alu instid0(VALU_DEP_1) | instskip(NEXT) | instid1(VALU_DEP_1)
	v_cndmask_b32_e64 v133, v133, 0, s0
	v_add_nc_u32_e32 v132, v133, v132
	s_delay_alu instid0(VALU_DEP_1) | instskip(NEXT) | instid1(VALU_DEP_1)
	v_mov_b32_dpp v133, v132 row_shr:2 row_mask:0xf bank_mask:0xf
	v_cndmask_b32_e64 v133, 0, v133, s1
	s_delay_alu instid0(VALU_DEP_1) | instskip(NEXT) | instid1(VALU_DEP_1)
	v_add_nc_u32_e32 v132, v132, v133
	v_mov_b32_dpp v133, v132 row_shr:4 row_mask:0xf bank_mask:0xf
	s_delay_alu instid0(VALU_DEP_1) | instskip(NEXT) | instid1(VALU_DEP_1)
	v_cndmask_b32_e64 v133, 0, v133, s9
	v_add_nc_u32_e32 v132, v132, v133
	s_delay_alu instid0(VALU_DEP_1) | instskip(NEXT) | instid1(VALU_DEP_1)
	v_mov_b32_dpp v133, v132 row_shr:8 row_mask:0xf bank_mask:0xf
	v_cndmask_b32_e64 v133, 0, v133, s10
	s_delay_alu instid0(VALU_DEP_1) | instskip(SKIP_3) | instid1(VALU_DEP_1)
	v_add_nc_u32_e32 v132, v132, v133
	ds_swizzle_b32 v133, v132 offset:swizzle(BROADCAST,32,15)
	s_wait_dscnt 0x0
	v_cndmask_b32_e64 v133, v133, 0, s11
	v_add_nc_u32_e32 v132, v132, v133
	s_and_saveexec_b32 s15, s3
; %bb.600:                              ;   in Loop: Header=BB1774_563 Depth=2
	ds_store_b32 v38, v132 offset:1024
; %bb.601:                              ;   in Loop: Header=BB1774_563 Depth=2
	s_wait_alu 0xfffe
	s_or_b32 exec_lo, exec_lo, s15
	s_wait_loadcnt_dscnt 0x0
	s_barrier_signal -1
	s_barrier_wait -1
	global_inv scope:SCOPE_SE
	s_and_saveexec_b32 s15, s4
	s_cbranch_execz .LBB1774_603
; %bb.602:                              ;   in Loop: Header=BB1774_563 Depth=2
	ds_load_b32 v133, v46 offset:1024
	s_wait_dscnt 0x0
	v_mov_b32_dpp v134, v133 row_shr:1 row_mask:0xf bank_mask:0xf
	s_delay_alu instid0(VALU_DEP_1) | instskip(NEXT) | instid1(VALU_DEP_1)
	v_cndmask_b32_e64 v134, v134, 0, s12
	v_add_nc_u32_e32 v133, v134, v133
	s_delay_alu instid0(VALU_DEP_1) | instskip(NEXT) | instid1(VALU_DEP_1)
	v_mov_b32_dpp v134, v133 row_shr:2 row_mask:0xf bank_mask:0xf
	v_cndmask_b32_e64 v134, 0, v134, s13
	s_delay_alu instid0(VALU_DEP_1) | instskip(NEXT) | instid1(VALU_DEP_1)
	v_add_nc_u32_e32 v133, v133, v134
	v_mov_b32_dpp v134, v133 row_shr:4 row_mask:0xf bank_mask:0xf
	s_delay_alu instid0(VALU_DEP_1) | instskip(NEXT) | instid1(VALU_DEP_1)
	v_cndmask_b32_e64 v134, 0, v134, s14
	v_add_nc_u32_e32 v133, v133, v134
	ds_store_b32 v46, v133 offset:1024
.LBB1774_603:                           ;   in Loop: Header=BB1774_563 Depth=2
	s_wait_alu 0xfffe
	s_or_b32 exec_lo, exec_lo, s15
	v_mov_b32_e32 v133, 0
	s_wait_loadcnt_dscnt 0x0
	s_barrier_signal -1
	s_barrier_wait -1
	global_inv scope:SCOPE_SE
	s_and_saveexec_b32 s15, s5
; %bb.604:                              ;   in Loop: Header=BB1774_563 Depth=2
	ds_load_b32 v133, v38 offset:1020
; %bb.605:                              ;   in Loop: Header=BB1774_563 Depth=2
	s_wait_alu 0xfffe
	s_or_b32 exec_lo, exec_lo, s15
	s_wait_dscnt 0x0
	v_add_nc_u32_e32 v132, v133, v132
	ds_bpermute_b32 v132, v87, v132
	s_wait_dscnt 0x0
	v_cndmask_b32_e64 v132, v132, v133, s8
	s_delay_alu instid0(VALU_DEP_1) | instskip(NEXT) | instid1(VALU_DEP_1)
	v_cndmask_b32_e64 v132, v132, 0, s6
	v_add_nc_u32_e32 v26, v132, v26
	s_delay_alu instid0(VALU_DEP_1) | instskip(NEXT) | instid1(VALU_DEP_1)
	v_add_nc_u32_e32 v27, v26, v27
	v_add_nc_u32_e32 v24, v27, v24
	s_delay_alu instid0(VALU_DEP_1) | instskip(NEXT) | instid1(VALU_DEP_1)
	v_add_nc_u32_e32 v25, v24, v25
	;; [unrolled: 3-line block ×3, first 2 shown]
	v_add_nc_u32_e32 v20, v23, v20
	s_delay_alu instid0(VALU_DEP_1)
	v_add_nc_u32_e32 v21, v20, v21
	ds_store_2addr_b32 v81, v23, v20 offset1:1
	ds_store_2addr_b32 v78, v132, v26 offset1:1
	;; [unrolled: 1-line block ×4, first 2 shown]
	ds_store_b32 v43, v21 offset:1088
	s_wait_loadcnt_dscnt 0x0
	s_barrier_signal -1
	s_barrier_wait -1
	global_inv scope:SCOPE_SE
	ds_load_b32 v23, v104 offset:1056
	ds_load_b32 v24, v108 offset:1056
	;; [unrolled: 1-line block ×9, first 2 shown]
	v_mov_b32_e32 v22, 0x800
	s_and_saveexec_b32 s15, s7
; %bb.606:                              ;   in Loop: Header=BB1774_563 Depth=2
	ds_load_b32 v22, v43 offset:1092
; %bb.607:                              ;   in Loop: Header=BB1774_563 Depth=2
	s_wait_alu 0xfffe
	s_or_b32 exec_lo, exec_lo, s15
	s_wait_loadcnt_dscnt 0x0
	s_barrier_signal -1
	s_barrier_wait -1
	global_inv scope:SCOPE_SE
	s_and_saveexec_b32 s15, s2
	s_cbranch_execz .LBB1774_609
; %bb.608:                              ;   in Loop: Header=BB1774_563 Depth=2
	ds_load_b32 v108, v28
	s_wait_dscnt 0x0
	v_sub_nc_u32_e32 v104, v108, v104
	ds_store_b32 v28, v104
.LBB1774_609:                           ;   in Loop: Header=BB1774_563 Depth=2
	s_wait_alu 0xfffe
	s_or_b32 exec_lo, exec_lo, s15
	v_add_nc_u32_e32 v108, v23, v102
	v_add3_u32 v104, v106, v105, v24
	v_add3_u32 v102, v111, v109, v25
	;; [unrolled: 1-line block ×4, first 2 shown]
	v_lshlrev_b32_e32 v105, 1, v108
	v_lshlrev_b32_e32 v106, 1, v104
	v_add3_u32 v23, v123, v121, v112
	v_lshlrev_b32_e32 v109, 1, v102
	v_add3_u32 v27, v126, v125, v20
	v_add3_u32 v26, v130, v129, v21
	ds_store_b16 v105, v2 offset:1024
	ds_store_b16 v106, v103 offset:1024
	;; [unrolled: 1-line block ×3, first 2 shown]
	v_lshlrev_b32_e32 v2, 1, v25
	v_cmp_lt_u32_e32 vcc_lo, v1, v101
	v_lshlrev_b32_e32 v20, 1, v24
	v_lshlrev_b32_e32 v21, 1, v23
	;; [unrolled: 1-line block ×4, first 2 shown]
	ds_store_b16 v2, v110 offset:1024
	ds_store_b16 v20, v114 offset:1024
	;; [unrolled: 1-line block ×5, first 2 shown]
	s_wait_loadcnt_dscnt 0x0
	s_barrier_signal -1
	s_barrier_wait -1
	global_inv scope:SCOPE_SE
	s_and_saveexec_b32 s16, vcc_lo
	s_cbranch_execnz .LBB1774_646
; %bb.610:                              ;   in Loop: Header=BB1774_563 Depth=2
	s_wait_alu 0xfffe
	s_or_b32 exec_lo, exec_lo, s16
	v_cmp_lt_u32_e64 s15, v29, v101
	s_and_saveexec_b32 s17, s15
	s_cbranch_execnz .LBB1774_647
.LBB1774_611:                           ;   in Loop: Header=BB1774_563 Depth=2
	s_wait_alu 0xfffe
	s_or_b32 exec_lo, exec_lo, s17
	v_cmp_lt_u32_e64 s16, v30, v101
	s_and_saveexec_b32 s18, s16
	s_cbranch_execnz .LBB1774_648
.LBB1774_612:                           ;   in Loop: Header=BB1774_563 Depth=2
	s_wait_alu 0xfffe
	s_or_b32 exec_lo, exec_lo, s18
	v_cmp_lt_u32_e64 s17, v31, v101
	s_and_saveexec_b32 s19, s17
	s_cbranch_execnz .LBB1774_649
.LBB1774_613:                           ;   in Loop: Header=BB1774_563 Depth=2
	s_wait_alu 0xfffe
	s_or_b32 exec_lo, exec_lo, s19
	v_cmp_lt_u32_e64 s18, v34, v101
	s_and_saveexec_b32 s20, s18
	s_cbranch_execnz .LBB1774_650
.LBB1774_614:                           ;   in Loop: Header=BB1774_563 Depth=2
	s_wait_alu 0xfffe
	s_or_b32 exec_lo, exec_lo, s20
	v_cmp_lt_u32_e64 s19, v35, v101
	s_and_saveexec_b32 s21, s19
	s_cbranch_execnz .LBB1774_651
.LBB1774_615:                           ;   in Loop: Header=BB1774_563 Depth=2
	s_wait_alu 0xfffe
	s_or_b32 exec_lo, exec_lo, s21
	v_cmp_lt_u32_e64 s20, v36, v101
	s_and_saveexec_b32 s22, s20
	s_cbranch_execnz .LBB1774_652
.LBB1774_616:                           ;   in Loop: Header=BB1774_563 Depth=2
	s_wait_alu 0xfffe
	s_or_b32 exec_lo, exec_lo, s22
	v_cmp_lt_u32_e64 s21, v37, v101
	s_and_saveexec_b32 s48, s21
	s_cbranch_execz .LBB1774_618
.LBB1774_617:                           ;   in Loop: Header=BB1774_563 Depth=2
	ds_load_u16 v103, v47 offset:4608
	s_wait_dscnt 0x0
	v_cmp_ne_u16_e64 s22, 0x8000, v103
	s_wait_alu 0xf1ff
	s_delay_alu instid0(VALU_DEP_1) | instskip(SKIP_1) | instid1(VALU_DEP_2)
	v_cndmask_b32_e64 v2, 0x7fff, v103, s22
	v_cmp_gt_i16_e64 s22, 0, v103
	v_and_b32_e32 v2, 0xffff, v2
	s_wait_alu 0xf1ff
	s_delay_alu instid0(VALU_DEP_2) | instskip(NEXT) | instid1(VALU_DEP_2)
	v_cndmask_b32_e64 v105, 0x7fff, 0, s22
	v_lshrrev_b32_e32 v2, s45, v2
	s_delay_alu instid0(VALU_DEP_1) | instskip(NEXT) | instid1(VALU_DEP_1)
	v_and_b32_e32 v2, s42, v2
	v_lshlrev_b32_e32 v2, 2, v2
	ds_load_b32 v2, v2
	s_wait_dscnt 0x0
	v_add_nc_u32_e32 v2, v2, v37
	s_delay_alu instid0(VALU_DEP_1) | instskip(SKIP_1) | instid1(VALU_DEP_2)
	v_lshlrev_b64_e32 v[20:21], 1, v[2:3]
	v_xor_b32_e32 v2, v105, v103
	v_add_co_u32 v20, s22, s40, v20
	s_wait_alu 0xf1ff
	s_delay_alu instid0(VALU_DEP_3)
	v_add_co_ci_u32_e64 v21, null, s41, v21, s22
	global_store_b16 v[20:21], v2, off
.LBB1774_618:                           ;   in Loop: Header=BB1774_563 Depth=2
	s_wait_alu 0xfffe
	s_or_b32 exec_lo, exec_lo, s48
	s_lshl_b64 s[48:49], s[30:31], 3
	s_wait_alu 0xfffe
	v_add_co_u32 v20, s22, v88, s48
	s_wait_alu 0xf1ff
	v_add_co_ci_u32_e64 v21, null, s49, v89, s22
	v_cmp_lt_u32_e64 s22, v66, v101
	s_and_saveexec_b32 s30, s22
	s_wait_alu 0xfffe
	s_xor_b32 s22, exec_lo, s30
	s_cbranch_execnz .LBB1774_653
; %bb.619:                              ;   in Loop: Header=BB1774_563 Depth=2
	s_wait_alu 0xfffe
	s_or_b32 exec_lo, exec_lo, s22
	s_delay_alu instid0(SALU_CYCLE_1)
	s_mov_b32 s30, exec_lo
	v_cmpx_lt_u32_e64 v70, v101
	s_cbranch_execnz .LBB1774_654
.LBB1774_620:                           ;   in Loop: Header=BB1774_563 Depth=2
	s_wait_alu 0xfffe
	s_or_b32 exec_lo, exec_lo, s30
	s_delay_alu instid0(SALU_CYCLE_1)
	s_mov_b32 s30, exec_lo
	v_cmpx_lt_u32_e64 v71, v101
	s_cbranch_execnz .LBB1774_655
.LBB1774_621:                           ;   in Loop: Header=BB1774_563 Depth=2
	s_wait_alu 0xfffe
	s_or_b32 exec_lo, exec_lo, s30
	s_delay_alu instid0(SALU_CYCLE_1)
	s_mov_b32 s30, exec_lo
	v_cmpx_lt_u32_e64 v72, v101
	s_cbranch_execnz .LBB1774_656
.LBB1774_622:                           ;   in Loop: Header=BB1774_563 Depth=2
	s_wait_alu 0xfffe
	s_or_b32 exec_lo, exec_lo, s30
	s_delay_alu instid0(SALU_CYCLE_1)
	s_mov_b32 s30, exec_lo
	v_cmpx_lt_u32_e64 v73, v101
	s_cbranch_execnz .LBB1774_657
.LBB1774_623:                           ;   in Loop: Header=BB1774_563 Depth=2
	s_wait_alu 0xfffe
	s_or_b32 exec_lo, exec_lo, s30
	s_delay_alu instid0(SALU_CYCLE_1)
	s_mov_b32 s30, exec_lo
	v_cmpx_lt_u32_e64 v74, v101
	s_cbranch_execnz .LBB1774_658
.LBB1774_624:                           ;   in Loop: Header=BB1774_563 Depth=2
	s_wait_alu 0xfffe
	s_or_b32 exec_lo, exec_lo, s30
	s_delay_alu instid0(SALU_CYCLE_1)
	s_mov_b32 s30, exec_lo
	v_cmpx_lt_u32_e64 v75, v101
	s_cbranch_execnz .LBB1774_659
.LBB1774_625:                           ;   in Loop: Header=BB1774_563 Depth=2
	s_wait_alu 0xfffe
	s_or_b32 exec_lo, exec_lo, s30
	s_delay_alu instid0(SALU_CYCLE_1)
	s_mov_b32 s30, exec_lo
	v_cmpx_lt_u32_e64 v76, v101
	s_cbranch_execnz .LBB1774_660
.LBB1774_626:                           ;   in Loop: Header=BB1774_563 Depth=2
	s_wait_alu 0xfffe
	s_or_b32 exec_lo, exec_lo, s30
	s_and_saveexec_b32 s30, vcc_lo
	s_cbranch_execnz .LBB1774_661
.LBB1774_627:                           ;   in Loop: Header=BB1774_563 Depth=2
	s_wait_alu 0xfffe
	s_or_b32 exec_lo, exec_lo, s30
	s_and_saveexec_b32 s30, s15
	s_cbranch_execnz .LBB1774_662
.LBB1774_628:                           ;   in Loop: Header=BB1774_563 Depth=2
	s_wait_alu 0xfffe
	s_or_b32 exec_lo, exec_lo, s30
	s_and_saveexec_b32 s30, s16
	s_cbranch_execnz .LBB1774_663
.LBB1774_629:                           ;   in Loop: Header=BB1774_563 Depth=2
	s_wait_alu 0xfffe
	s_or_b32 exec_lo, exec_lo, s30
	s_and_saveexec_b32 s30, s17
	s_cbranch_execnz .LBB1774_664
.LBB1774_630:                           ;   in Loop: Header=BB1774_563 Depth=2
	s_wait_alu 0xfffe
	s_or_b32 exec_lo, exec_lo, s30
	s_and_saveexec_b32 s30, s18
	s_cbranch_execnz .LBB1774_665
.LBB1774_631:                           ;   in Loop: Header=BB1774_563 Depth=2
	s_wait_alu 0xfffe
	s_or_b32 exec_lo, exec_lo, s30
	s_and_saveexec_b32 s30, s19
	s_cbranch_execnz .LBB1774_666
.LBB1774_632:                           ;   in Loop: Header=BB1774_563 Depth=2
	s_wait_alu 0xfffe
	s_or_b32 exec_lo, exec_lo, s30
	s_and_saveexec_b32 s30, s20
	s_cbranch_execnz .LBB1774_667
.LBB1774_633:                           ;   in Loop: Header=BB1774_563 Depth=2
	s_wait_alu 0xfffe
	s_or_b32 exec_lo, exec_lo, s30
	s_and_saveexec_b32 s30, s21
	s_cbranch_execz .LBB1774_635
.LBB1774_634:                           ;   in Loop: Header=BB1774_563 Depth=2
	ds_load_u16 v2, v47 offset:4608
	s_wait_dscnt 0x0
	v_cmp_ne_u16_e64 s22, 0x8000, v2
	s_wait_alu 0xf1ff
	s_delay_alu instid0(VALU_DEP_1) | instskip(NEXT) | instid1(VALU_DEP_1)
	v_cndmask_b32_e64 v2, 0x7fff, v2, s22
	v_and_b32_e32 v2, 0xffff, v2
	s_delay_alu instid0(VALU_DEP_1) | instskip(NEXT) | instid1(VALU_DEP_1)
	v_lshrrev_b32_e32 v2, s45, v2
	v_and_b32_e32 v93, s42, v2
.LBB1774_635:                           ;   in Loop: Header=BB1774_563 Depth=2
	s_wait_alu 0xfffe
	s_or_b32 exec_lo, exec_lo, s30
	v_lshlrev_b32_e32 v2, 3, v108
	v_lshlrev_b32_e32 v20, 3, v104
	;; [unrolled: 1-line block ×3, first 2 shown]
	s_wait_loadcnt 0x0
	s_wait_storecnt 0x0
	s_barrier_signal -1
	s_barrier_wait -1
	global_inv scope:SCOPE_SE
	ds_store_b64 v2, v[18:19] offset:1024
	ds_store_b64 v20, v[16:17] offset:1024
	;; [unrolled: 1-line block ×3, first 2 shown]
	v_lshlrev_b32_e32 v2, 3, v25
	v_lshlrev_b32_e32 v20, 3, v24
	v_lshlrev_b32_e32 v21, 3, v23
	v_lshlrev_b32_e32 v23, 3, v27
	v_lshlrev_b32_e32 v24, 3, v26
	ds_store_b64 v2, v[12:13] offset:1024
	ds_store_b64 v20, v[10:11] offset:1024
	;; [unrolled: 1-line block ×5, first 2 shown]
	v_add_nc_u32_e32 v20, v47, v48
	s_wait_loadcnt_dscnt 0x0
	s_barrier_signal -1
	s_barrier_wait -1
	global_inv scope:SCOPE_SE
	s_and_saveexec_b32 s22, vcc_lo
	s_cbranch_execnz .LBB1774_668
; %bb.636:                              ;   in Loop: Header=BB1774_563 Depth=2
	s_wait_alu 0xfffe
	s_or_b32 exec_lo, exec_lo, s22
	s_and_saveexec_b32 s22, s15
	s_cbranch_execnz .LBB1774_669
.LBB1774_637:                           ;   in Loop: Header=BB1774_563 Depth=2
	s_wait_alu 0xfffe
	s_or_b32 exec_lo, exec_lo, s22
	s_and_saveexec_b32 s15, s16
	s_cbranch_execnz .LBB1774_670
.LBB1774_638:                           ;   in Loop: Header=BB1774_563 Depth=2
	s_wait_alu 0xfffe
	s_or_b32 exec_lo, exec_lo, s15
	s_and_saveexec_b32 s15, s17
	s_cbranch_execnz .LBB1774_671
.LBB1774_639:                           ;   in Loop: Header=BB1774_563 Depth=2
	s_wait_alu 0xfffe
	s_or_b32 exec_lo, exec_lo, s15
	s_and_saveexec_b32 s15, s18
	s_cbranch_execnz .LBB1774_672
.LBB1774_640:                           ;   in Loop: Header=BB1774_563 Depth=2
	s_wait_alu 0xfffe
	s_or_b32 exec_lo, exec_lo, s15
	s_and_saveexec_b32 s15, s19
	s_cbranch_execnz .LBB1774_673
.LBB1774_641:                           ;   in Loop: Header=BB1774_563 Depth=2
	s_wait_alu 0xfffe
	s_or_b32 exec_lo, exec_lo, s15
	s_and_saveexec_b32 s15, s20
	s_cbranch_execnz .LBB1774_674
.LBB1774_642:                           ;   in Loop: Header=BB1774_563 Depth=2
	s_wait_alu 0xfffe
	s_or_b32 exec_lo, exec_lo, s15
	s_and_saveexec_b32 s15, s21
	s_cbranch_execz .LBB1774_644
.LBB1774_643:                           ;   in Loop: Header=BB1774_563 Depth=2
	v_lshlrev_b32_e32 v2, 2, v93
	ds_load_b32 v2, v2
	ds_load_b64 v[20:21], v20 offset:15360
	s_wait_dscnt 0x1
	v_add_nc_u32_e32 v2, v2, v37
	s_delay_alu instid0(VALU_DEP_1) | instskip(NEXT) | instid1(VALU_DEP_1)
	v_lshlrev_b64_e32 v[23:24], 3, v[2:3]
	v_add_co_u32 v23, vcc_lo, s26, v23
	s_wait_alu 0xfffd
	s_delay_alu instid0(VALU_DEP_2)
	v_add_co_ci_u32_e64 v24, null, s27, v24, vcc_lo
	s_wait_dscnt 0x0
	global_store_b64 v[23:24], v[20:21], off
.LBB1774_644:                           ;   in Loop: Header=BB1774_563 Depth=2
	s_wait_alu 0xfffe
	s_or_b32 exec_lo, exec_lo, s15
	s_wait_loadcnt 0x0
	s_wait_storecnt 0x0
	s_barrier_signal -1
	s_barrier_wait -1
	global_inv scope:SCOPE_SE
	s_and_saveexec_b32 s15, s2
	s_cbranch_execz .LBB1774_562
; %bb.645:                              ;   in Loop: Header=BB1774_563 Depth=2
	ds_load_b32 v2, v28
	s_wait_dscnt 0x0
	v_add_nc_u32_e32 v2, v2, v22
	ds_store_b32 v28, v2
	s_branch .LBB1774_562
.LBB1774_646:                           ;   in Loop: Header=BB1774_563 Depth=2
	ds_load_u16 v103, v47 offset:1024
	s_wait_dscnt 0x0
	v_cmp_ne_u16_e64 s15, 0x8000, v103
	s_wait_alu 0xf1ff
	s_delay_alu instid0(VALU_DEP_1) | instskip(SKIP_1) | instid1(VALU_DEP_2)
	v_cndmask_b32_e64 v2, 0x7fff, v103, s15
	v_cmp_gt_i16_e64 s15, 0, v103
	v_and_b32_e32 v2, 0xffff, v2
	s_wait_alu 0xf1ff
	s_delay_alu instid0(VALU_DEP_2) | instskip(NEXT) | instid1(VALU_DEP_2)
	v_cndmask_b32_e64 v105, 0x7fff, 0, s15
	v_lshrrev_b32_e32 v2, s45, v2
	s_delay_alu instid0(VALU_DEP_1) | instskip(NEXT) | instid1(VALU_DEP_1)
	v_and_b32_e32 v2, s42, v2
	v_lshlrev_b32_e32 v2, 2, v2
	ds_load_b32 v2, v2
	s_wait_dscnt 0x0
	v_add_nc_u32_e32 v2, v2, v1
	s_delay_alu instid0(VALU_DEP_1) | instskip(SKIP_1) | instid1(VALU_DEP_2)
	v_lshlrev_b64_e32 v[20:21], 1, v[2:3]
	v_xor_b32_e32 v2, v105, v103
	v_add_co_u32 v20, s15, s40, v20
	s_wait_alu 0xf1ff
	s_delay_alu instid0(VALU_DEP_3)
	v_add_co_ci_u32_e64 v21, null, s41, v21, s15
	global_store_b16 v[20:21], v2, off
	s_wait_alu 0xfffe
	s_or_b32 exec_lo, exec_lo, s16
	v_cmp_lt_u32_e64 s15, v29, v101
	s_and_saveexec_b32 s17, s15
	s_cbranch_execz .LBB1774_611
.LBB1774_647:                           ;   in Loop: Header=BB1774_563 Depth=2
	ds_load_u16 v103, v47 offset:1536
	s_wait_dscnt 0x0
	v_cmp_ne_u16_e64 s16, 0x8000, v103
	s_wait_alu 0xf1ff
	s_delay_alu instid0(VALU_DEP_1) | instskip(SKIP_1) | instid1(VALU_DEP_2)
	v_cndmask_b32_e64 v2, 0x7fff, v103, s16
	v_cmp_gt_i16_e64 s16, 0, v103
	v_and_b32_e32 v2, 0xffff, v2
	s_wait_alu 0xf1ff
	s_delay_alu instid0(VALU_DEP_2) | instskip(NEXT) | instid1(VALU_DEP_2)
	v_cndmask_b32_e64 v105, 0x7fff, 0, s16
	v_lshrrev_b32_e32 v2, s45, v2
	s_delay_alu instid0(VALU_DEP_1) | instskip(NEXT) | instid1(VALU_DEP_1)
	v_and_b32_e32 v2, s42, v2
	v_lshlrev_b32_e32 v2, 2, v2
	ds_load_b32 v2, v2
	s_wait_dscnt 0x0
	v_add_nc_u32_e32 v2, v2, v29
	s_delay_alu instid0(VALU_DEP_1) | instskip(SKIP_1) | instid1(VALU_DEP_2)
	v_lshlrev_b64_e32 v[20:21], 1, v[2:3]
	v_xor_b32_e32 v2, v105, v103
	v_add_co_u32 v20, s16, s40, v20
	s_wait_alu 0xf1ff
	s_delay_alu instid0(VALU_DEP_3)
	v_add_co_ci_u32_e64 v21, null, s41, v21, s16
	global_store_b16 v[20:21], v2, off
	s_wait_alu 0xfffe
	s_or_b32 exec_lo, exec_lo, s17
	v_cmp_lt_u32_e64 s16, v30, v101
	s_and_saveexec_b32 s18, s16
	s_cbranch_execz .LBB1774_612
.LBB1774_648:                           ;   in Loop: Header=BB1774_563 Depth=2
	ds_load_u16 v103, v47 offset:2048
	s_wait_dscnt 0x0
	v_cmp_ne_u16_e64 s17, 0x8000, v103
	s_wait_alu 0xf1ff
	s_delay_alu instid0(VALU_DEP_1) | instskip(SKIP_1) | instid1(VALU_DEP_2)
	v_cndmask_b32_e64 v2, 0x7fff, v103, s17
	v_cmp_gt_i16_e64 s17, 0, v103
	v_and_b32_e32 v2, 0xffff, v2
	s_wait_alu 0xf1ff
	s_delay_alu instid0(VALU_DEP_2) | instskip(NEXT) | instid1(VALU_DEP_2)
	v_cndmask_b32_e64 v105, 0x7fff, 0, s17
	v_lshrrev_b32_e32 v2, s45, v2
	s_delay_alu instid0(VALU_DEP_1) | instskip(NEXT) | instid1(VALU_DEP_1)
	v_and_b32_e32 v2, s42, v2
	v_lshlrev_b32_e32 v2, 2, v2
	ds_load_b32 v2, v2
	s_wait_dscnt 0x0
	v_add_nc_u32_e32 v2, v2, v30
	s_delay_alu instid0(VALU_DEP_1) | instskip(SKIP_1) | instid1(VALU_DEP_2)
	v_lshlrev_b64_e32 v[20:21], 1, v[2:3]
	v_xor_b32_e32 v2, v105, v103
	v_add_co_u32 v20, s17, s40, v20
	s_wait_alu 0xf1ff
	s_delay_alu instid0(VALU_DEP_3)
	v_add_co_ci_u32_e64 v21, null, s41, v21, s17
	global_store_b16 v[20:21], v2, off
	s_wait_alu 0xfffe
	s_or_b32 exec_lo, exec_lo, s18
	v_cmp_lt_u32_e64 s17, v31, v101
	s_and_saveexec_b32 s19, s17
	s_cbranch_execz .LBB1774_613
.LBB1774_649:                           ;   in Loop: Header=BB1774_563 Depth=2
	ds_load_u16 v103, v47 offset:2560
	s_wait_dscnt 0x0
	v_cmp_ne_u16_e64 s18, 0x8000, v103
	s_wait_alu 0xf1ff
	s_delay_alu instid0(VALU_DEP_1) | instskip(SKIP_1) | instid1(VALU_DEP_2)
	v_cndmask_b32_e64 v2, 0x7fff, v103, s18
	v_cmp_gt_i16_e64 s18, 0, v103
	v_and_b32_e32 v2, 0xffff, v2
	s_wait_alu 0xf1ff
	s_delay_alu instid0(VALU_DEP_2) | instskip(NEXT) | instid1(VALU_DEP_2)
	v_cndmask_b32_e64 v105, 0x7fff, 0, s18
	v_lshrrev_b32_e32 v2, s45, v2
	s_delay_alu instid0(VALU_DEP_1) | instskip(NEXT) | instid1(VALU_DEP_1)
	v_and_b32_e32 v2, s42, v2
	v_lshlrev_b32_e32 v2, 2, v2
	ds_load_b32 v2, v2
	s_wait_dscnt 0x0
	v_add_nc_u32_e32 v2, v2, v31
	s_delay_alu instid0(VALU_DEP_1) | instskip(SKIP_1) | instid1(VALU_DEP_2)
	v_lshlrev_b64_e32 v[20:21], 1, v[2:3]
	v_xor_b32_e32 v2, v105, v103
	v_add_co_u32 v20, s18, s40, v20
	s_wait_alu 0xf1ff
	s_delay_alu instid0(VALU_DEP_3)
	v_add_co_ci_u32_e64 v21, null, s41, v21, s18
	global_store_b16 v[20:21], v2, off
	s_wait_alu 0xfffe
	s_or_b32 exec_lo, exec_lo, s19
	v_cmp_lt_u32_e64 s18, v34, v101
	s_and_saveexec_b32 s20, s18
	s_cbranch_execz .LBB1774_614
.LBB1774_650:                           ;   in Loop: Header=BB1774_563 Depth=2
	ds_load_u16 v103, v47 offset:3072
	s_wait_dscnt 0x0
	v_cmp_ne_u16_e64 s19, 0x8000, v103
	s_wait_alu 0xf1ff
	s_delay_alu instid0(VALU_DEP_1) | instskip(SKIP_1) | instid1(VALU_DEP_2)
	v_cndmask_b32_e64 v2, 0x7fff, v103, s19
	v_cmp_gt_i16_e64 s19, 0, v103
	v_and_b32_e32 v2, 0xffff, v2
	s_wait_alu 0xf1ff
	s_delay_alu instid0(VALU_DEP_2) | instskip(NEXT) | instid1(VALU_DEP_2)
	v_cndmask_b32_e64 v105, 0x7fff, 0, s19
	v_lshrrev_b32_e32 v2, s45, v2
	s_delay_alu instid0(VALU_DEP_1) | instskip(NEXT) | instid1(VALU_DEP_1)
	v_and_b32_e32 v2, s42, v2
	v_lshlrev_b32_e32 v2, 2, v2
	ds_load_b32 v2, v2
	s_wait_dscnt 0x0
	v_add_nc_u32_e32 v2, v2, v34
	s_delay_alu instid0(VALU_DEP_1) | instskip(SKIP_1) | instid1(VALU_DEP_2)
	v_lshlrev_b64_e32 v[20:21], 1, v[2:3]
	v_xor_b32_e32 v2, v105, v103
	v_add_co_u32 v20, s19, s40, v20
	s_wait_alu 0xf1ff
	s_delay_alu instid0(VALU_DEP_3)
	v_add_co_ci_u32_e64 v21, null, s41, v21, s19
	global_store_b16 v[20:21], v2, off
	s_wait_alu 0xfffe
	s_or_b32 exec_lo, exec_lo, s20
	v_cmp_lt_u32_e64 s19, v35, v101
	s_and_saveexec_b32 s21, s19
	s_cbranch_execz .LBB1774_615
.LBB1774_651:                           ;   in Loop: Header=BB1774_563 Depth=2
	ds_load_u16 v103, v47 offset:3584
	s_wait_dscnt 0x0
	v_cmp_ne_u16_e64 s20, 0x8000, v103
	s_wait_alu 0xf1ff
	s_delay_alu instid0(VALU_DEP_1) | instskip(SKIP_1) | instid1(VALU_DEP_2)
	v_cndmask_b32_e64 v2, 0x7fff, v103, s20
	v_cmp_gt_i16_e64 s20, 0, v103
	v_and_b32_e32 v2, 0xffff, v2
	s_wait_alu 0xf1ff
	s_delay_alu instid0(VALU_DEP_2) | instskip(NEXT) | instid1(VALU_DEP_2)
	v_cndmask_b32_e64 v105, 0x7fff, 0, s20
	v_lshrrev_b32_e32 v2, s45, v2
	s_delay_alu instid0(VALU_DEP_1) | instskip(NEXT) | instid1(VALU_DEP_1)
	v_and_b32_e32 v2, s42, v2
	v_lshlrev_b32_e32 v2, 2, v2
	ds_load_b32 v2, v2
	s_wait_dscnt 0x0
	v_add_nc_u32_e32 v2, v2, v35
	s_delay_alu instid0(VALU_DEP_1) | instskip(SKIP_1) | instid1(VALU_DEP_2)
	v_lshlrev_b64_e32 v[20:21], 1, v[2:3]
	v_xor_b32_e32 v2, v105, v103
	v_add_co_u32 v20, s20, s40, v20
	s_wait_alu 0xf1ff
	s_delay_alu instid0(VALU_DEP_3)
	v_add_co_ci_u32_e64 v21, null, s41, v21, s20
	global_store_b16 v[20:21], v2, off
	s_wait_alu 0xfffe
	s_or_b32 exec_lo, exec_lo, s21
	v_cmp_lt_u32_e64 s20, v36, v101
	s_and_saveexec_b32 s22, s20
	s_cbranch_execz .LBB1774_616
.LBB1774_652:                           ;   in Loop: Header=BB1774_563 Depth=2
	ds_load_u16 v103, v47 offset:4096
	s_wait_dscnt 0x0
	v_cmp_ne_u16_e64 s21, 0x8000, v103
	s_wait_alu 0xf1ff
	s_delay_alu instid0(VALU_DEP_1) | instskip(SKIP_1) | instid1(VALU_DEP_2)
	v_cndmask_b32_e64 v2, 0x7fff, v103, s21
	v_cmp_gt_i16_e64 s21, 0, v103
	v_and_b32_e32 v2, 0xffff, v2
	s_wait_alu 0xf1ff
	s_delay_alu instid0(VALU_DEP_2) | instskip(NEXT) | instid1(VALU_DEP_2)
	v_cndmask_b32_e64 v105, 0x7fff, 0, s21
	v_lshrrev_b32_e32 v2, s45, v2
	s_delay_alu instid0(VALU_DEP_1) | instskip(NEXT) | instid1(VALU_DEP_1)
	v_and_b32_e32 v2, s42, v2
	v_lshlrev_b32_e32 v2, 2, v2
	ds_load_b32 v2, v2
	s_wait_dscnt 0x0
	v_add_nc_u32_e32 v2, v2, v36
	s_delay_alu instid0(VALU_DEP_1) | instskip(SKIP_1) | instid1(VALU_DEP_2)
	v_lshlrev_b64_e32 v[20:21], 1, v[2:3]
	v_xor_b32_e32 v2, v105, v103
	v_add_co_u32 v20, s21, s40, v20
	s_wait_alu 0xf1ff
	s_delay_alu instid0(VALU_DEP_3)
	v_add_co_ci_u32_e64 v21, null, s41, v21, s21
	global_store_b16 v[20:21], v2, off
	s_wait_alu 0xfffe
	s_or_b32 exec_lo, exec_lo, s22
	v_cmp_lt_u32_e64 s21, v37, v101
	s_and_saveexec_b32 s48, s21
	s_cbranch_execnz .LBB1774_617
	s_branch .LBB1774_618
.LBB1774_653:                           ;   in Loop: Header=BB1774_563 Depth=2
	global_load_b64 v[18:19], v[20:21], off
	s_wait_alu 0xfffe
	s_or_b32 exec_lo, exec_lo, s22
	s_delay_alu instid0(SALU_CYCLE_1)
	s_mov_b32 s30, exec_lo
	v_cmpx_lt_u32_e64 v70, v101
	s_cbranch_execz .LBB1774_620
.LBB1774_654:                           ;   in Loop: Header=BB1774_563 Depth=2
	global_load_b64 v[16:17], v[20:21], off offset:256
	s_wait_alu 0xfffe
	s_or_b32 exec_lo, exec_lo, s30
	s_delay_alu instid0(SALU_CYCLE_1)
	s_mov_b32 s30, exec_lo
	v_cmpx_lt_u32_e64 v71, v101
	s_cbranch_execz .LBB1774_621
.LBB1774_655:                           ;   in Loop: Header=BB1774_563 Depth=2
	global_load_b64 v[14:15], v[20:21], off offset:512
	s_wait_alu 0xfffe
	s_or_b32 exec_lo, exec_lo, s30
	s_delay_alu instid0(SALU_CYCLE_1)
	s_mov_b32 s30, exec_lo
	v_cmpx_lt_u32_e64 v72, v101
	s_cbranch_execz .LBB1774_622
.LBB1774_656:                           ;   in Loop: Header=BB1774_563 Depth=2
	global_load_b64 v[12:13], v[20:21], off offset:768
	s_wait_alu 0xfffe
	s_or_b32 exec_lo, exec_lo, s30
	s_delay_alu instid0(SALU_CYCLE_1)
	s_mov_b32 s30, exec_lo
	v_cmpx_lt_u32_e64 v73, v101
	s_cbranch_execz .LBB1774_623
.LBB1774_657:                           ;   in Loop: Header=BB1774_563 Depth=2
	global_load_b64 v[10:11], v[20:21], off offset:1024
	s_wait_alu 0xfffe
	s_or_b32 exec_lo, exec_lo, s30
	s_delay_alu instid0(SALU_CYCLE_1)
	s_mov_b32 s30, exec_lo
	v_cmpx_lt_u32_e64 v74, v101
	s_cbranch_execz .LBB1774_624
.LBB1774_658:                           ;   in Loop: Header=BB1774_563 Depth=2
	global_load_b64 v[8:9], v[20:21], off offset:1280
	s_wait_alu 0xfffe
	s_or_b32 exec_lo, exec_lo, s30
	s_delay_alu instid0(SALU_CYCLE_1)
	s_mov_b32 s30, exec_lo
	v_cmpx_lt_u32_e64 v75, v101
	s_cbranch_execz .LBB1774_625
.LBB1774_659:                           ;   in Loop: Header=BB1774_563 Depth=2
	global_load_b64 v[6:7], v[20:21], off offset:1536
	s_wait_alu 0xfffe
	s_or_b32 exec_lo, exec_lo, s30
	s_delay_alu instid0(SALU_CYCLE_1)
	s_mov_b32 s30, exec_lo
	v_cmpx_lt_u32_e64 v76, v101
	s_cbranch_execz .LBB1774_626
.LBB1774_660:                           ;   in Loop: Header=BB1774_563 Depth=2
	global_load_b64 v[4:5], v[20:21], off offset:1792
	s_wait_alu 0xfffe
	s_or_b32 exec_lo, exec_lo, s30
	s_and_saveexec_b32 s30, vcc_lo
	s_cbranch_execz .LBB1774_627
.LBB1774_661:                           ;   in Loop: Header=BB1774_563 Depth=2
	ds_load_u16 v2, v47 offset:1024
	s_wait_dscnt 0x0
	v_cmp_ne_u16_e64 s22, 0x8000, v2
	s_wait_alu 0xf1ff
	s_delay_alu instid0(VALU_DEP_1) | instskip(NEXT) | instid1(VALU_DEP_1)
	v_cndmask_b32_e64 v2, 0x7fff, v2, s22
	v_and_b32_e32 v2, 0xffff, v2
	s_delay_alu instid0(VALU_DEP_1) | instskip(NEXT) | instid1(VALU_DEP_1)
	v_lshrrev_b32_e32 v2, s45, v2
	v_and_b32_e32 v100, s42, v2
	s_wait_alu 0xfffe
	s_or_b32 exec_lo, exec_lo, s30
	s_and_saveexec_b32 s30, s15
	s_cbranch_execz .LBB1774_628
.LBB1774_662:                           ;   in Loop: Header=BB1774_563 Depth=2
	ds_load_u16 v2, v47 offset:1536
	s_wait_dscnt 0x0
	v_cmp_ne_u16_e64 s22, 0x8000, v2
	s_wait_alu 0xf1ff
	s_delay_alu instid0(VALU_DEP_1) | instskip(NEXT) | instid1(VALU_DEP_1)
	v_cndmask_b32_e64 v2, 0x7fff, v2, s22
	v_and_b32_e32 v2, 0xffff, v2
	s_delay_alu instid0(VALU_DEP_1) | instskip(NEXT) | instid1(VALU_DEP_1)
	v_lshrrev_b32_e32 v2, s45, v2
	v_and_b32_e32 v99, s42, v2
	s_wait_alu 0xfffe
	s_or_b32 exec_lo, exec_lo, s30
	s_and_saveexec_b32 s30, s16
	s_cbranch_execz .LBB1774_629
.LBB1774_663:                           ;   in Loop: Header=BB1774_563 Depth=2
	ds_load_u16 v2, v47 offset:2048
	s_wait_dscnt 0x0
	v_cmp_ne_u16_e64 s22, 0x8000, v2
	s_wait_alu 0xf1ff
	s_delay_alu instid0(VALU_DEP_1) | instskip(NEXT) | instid1(VALU_DEP_1)
	v_cndmask_b32_e64 v2, 0x7fff, v2, s22
	v_and_b32_e32 v2, 0xffff, v2
	s_delay_alu instid0(VALU_DEP_1) | instskip(NEXT) | instid1(VALU_DEP_1)
	v_lshrrev_b32_e32 v2, s45, v2
	v_and_b32_e32 v98, s42, v2
	s_wait_alu 0xfffe
	s_or_b32 exec_lo, exec_lo, s30
	s_and_saveexec_b32 s30, s17
	s_cbranch_execz .LBB1774_630
.LBB1774_664:                           ;   in Loop: Header=BB1774_563 Depth=2
	ds_load_u16 v2, v47 offset:2560
	s_wait_dscnt 0x0
	v_cmp_ne_u16_e64 s22, 0x8000, v2
	s_wait_alu 0xf1ff
	s_delay_alu instid0(VALU_DEP_1) | instskip(NEXT) | instid1(VALU_DEP_1)
	v_cndmask_b32_e64 v2, 0x7fff, v2, s22
	v_and_b32_e32 v2, 0xffff, v2
	s_delay_alu instid0(VALU_DEP_1) | instskip(NEXT) | instid1(VALU_DEP_1)
	v_lshrrev_b32_e32 v2, s45, v2
	v_and_b32_e32 v97, s42, v2
	s_wait_alu 0xfffe
	s_or_b32 exec_lo, exec_lo, s30
	s_and_saveexec_b32 s30, s18
	s_cbranch_execz .LBB1774_631
.LBB1774_665:                           ;   in Loop: Header=BB1774_563 Depth=2
	ds_load_u16 v2, v47 offset:3072
	s_wait_dscnt 0x0
	v_cmp_ne_u16_e64 s22, 0x8000, v2
	s_wait_alu 0xf1ff
	s_delay_alu instid0(VALU_DEP_1) | instskip(NEXT) | instid1(VALU_DEP_1)
	v_cndmask_b32_e64 v2, 0x7fff, v2, s22
	v_and_b32_e32 v2, 0xffff, v2
	s_delay_alu instid0(VALU_DEP_1) | instskip(NEXT) | instid1(VALU_DEP_1)
	v_lshrrev_b32_e32 v2, s45, v2
	v_and_b32_e32 v96, s42, v2
	s_wait_alu 0xfffe
	s_or_b32 exec_lo, exec_lo, s30
	s_and_saveexec_b32 s30, s19
	s_cbranch_execz .LBB1774_632
.LBB1774_666:                           ;   in Loop: Header=BB1774_563 Depth=2
	ds_load_u16 v2, v47 offset:3584
	s_wait_dscnt 0x0
	v_cmp_ne_u16_e64 s22, 0x8000, v2
	s_wait_alu 0xf1ff
	s_delay_alu instid0(VALU_DEP_1) | instskip(NEXT) | instid1(VALU_DEP_1)
	v_cndmask_b32_e64 v2, 0x7fff, v2, s22
	v_and_b32_e32 v2, 0xffff, v2
	s_delay_alu instid0(VALU_DEP_1) | instskip(NEXT) | instid1(VALU_DEP_1)
	v_lshrrev_b32_e32 v2, s45, v2
	v_and_b32_e32 v95, s42, v2
	s_wait_alu 0xfffe
	s_or_b32 exec_lo, exec_lo, s30
	s_and_saveexec_b32 s30, s20
	s_cbranch_execz .LBB1774_633
.LBB1774_667:                           ;   in Loop: Header=BB1774_563 Depth=2
	ds_load_u16 v2, v47 offset:4096
	s_wait_dscnt 0x0
	v_cmp_ne_u16_e64 s22, 0x8000, v2
	s_wait_alu 0xf1ff
	s_delay_alu instid0(VALU_DEP_1) | instskip(NEXT) | instid1(VALU_DEP_1)
	v_cndmask_b32_e64 v2, 0x7fff, v2, s22
	v_and_b32_e32 v2, 0xffff, v2
	s_delay_alu instid0(VALU_DEP_1) | instskip(NEXT) | instid1(VALU_DEP_1)
	v_lshrrev_b32_e32 v2, s45, v2
	v_and_b32_e32 v94, s42, v2
	s_wait_alu 0xfffe
	s_or_b32 exec_lo, exec_lo, s30
	s_and_saveexec_b32 s30, s21
	s_cbranch_execnz .LBB1774_634
	s_branch .LBB1774_635
.LBB1774_668:                           ;   in Loop: Header=BB1774_563 Depth=2
	v_lshlrev_b32_e32 v2, 2, v100
	ds_load_b32 v2, v2
	ds_load_b64 v[23:24], v20 offset:1024
	s_wait_dscnt 0x1
	v_add_nc_u32_e32 v2, v2, v1
	s_delay_alu instid0(VALU_DEP_1) | instskip(NEXT) | instid1(VALU_DEP_1)
	v_lshlrev_b64_e32 v[25:26], 3, v[2:3]
	v_add_co_u32 v25, vcc_lo, s26, v25
	s_wait_alu 0xfffd
	s_delay_alu instid0(VALU_DEP_2)
	v_add_co_ci_u32_e64 v26, null, s27, v26, vcc_lo
	s_wait_dscnt 0x0
	global_store_b64 v[25:26], v[23:24], off
	s_wait_alu 0xfffe
	s_or_b32 exec_lo, exec_lo, s22
	s_and_saveexec_b32 s22, s15
	s_cbranch_execz .LBB1774_637
.LBB1774_669:                           ;   in Loop: Header=BB1774_563 Depth=2
	v_lshlrev_b32_e32 v2, 2, v99
	ds_load_b32 v2, v2
	ds_load_b64 v[23:24], v20 offset:3072
	s_wait_dscnt 0x1
	v_add_nc_u32_e32 v2, v2, v29
	s_delay_alu instid0(VALU_DEP_1) | instskip(NEXT) | instid1(VALU_DEP_1)
	v_lshlrev_b64_e32 v[25:26], 3, v[2:3]
	v_add_co_u32 v25, vcc_lo, s26, v25
	s_wait_alu 0xfffd
	s_delay_alu instid0(VALU_DEP_2)
	v_add_co_ci_u32_e64 v26, null, s27, v26, vcc_lo
	s_wait_dscnt 0x0
	global_store_b64 v[25:26], v[23:24], off
	s_wait_alu 0xfffe
	s_or_b32 exec_lo, exec_lo, s22
	s_and_saveexec_b32 s15, s16
	s_cbranch_execz .LBB1774_638
.LBB1774_670:                           ;   in Loop: Header=BB1774_563 Depth=2
	v_lshlrev_b32_e32 v2, 2, v98
	ds_load_b32 v2, v2
	ds_load_b64 v[23:24], v20 offset:5120
	s_wait_dscnt 0x1
	v_add_nc_u32_e32 v2, v2, v30
	s_delay_alu instid0(VALU_DEP_1) | instskip(NEXT) | instid1(VALU_DEP_1)
	v_lshlrev_b64_e32 v[25:26], 3, v[2:3]
	v_add_co_u32 v25, vcc_lo, s26, v25
	s_wait_alu 0xfffd
	s_delay_alu instid0(VALU_DEP_2)
	v_add_co_ci_u32_e64 v26, null, s27, v26, vcc_lo
	s_wait_dscnt 0x0
	global_store_b64 v[25:26], v[23:24], off
	s_wait_alu 0xfffe
	s_or_b32 exec_lo, exec_lo, s15
	s_and_saveexec_b32 s15, s17
	s_cbranch_execz .LBB1774_639
.LBB1774_671:                           ;   in Loop: Header=BB1774_563 Depth=2
	v_lshlrev_b32_e32 v2, 2, v97
	ds_load_b32 v2, v2
	ds_load_b64 v[23:24], v20 offset:7168
	s_wait_dscnt 0x1
	v_add_nc_u32_e32 v2, v2, v31
	s_delay_alu instid0(VALU_DEP_1) | instskip(NEXT) | instid1(VALU_DEP_1)
	v_lshlrev_b64_e32 v[25:26], 3, v[2:3]
	v_add_co_u32 v25, vcc_lo, s26, v25
	s_wait_alu 0xfffd
	s_delay_alu instid0(VALU_DEP_2)
	v_add_co_ci_u32_e64 v26, null, s27, v26, vcc_lo
	s_wait_dscnt 0x0
	global_store_b64 v[25:26], v[23:24], off
	s_wait_alu 0xfffe
	s_or_b32 exec_lo, exec_lo, s15
	s_and_saveexec_b32 s15, s18
	s_cbranch_execz .LBB1774_640
.LBB1774_672:                           ;   in Loop: Header=BB1774_563 Depth=2
	v_lshlrev_b32_e32 v2, 2, v96
	ds_load_b32 v2, v2
	ds_load_b64 v[23:24], v20 offset:9216
	s_wait_dscnt 0x1
	v_add_nc_u32_e32 v2, v2, v34
	s_delay_alu instid0(VALU_DEP_1) | instskip(NEXT) | instid1(VALU_DEP_1)
	v_lshlrev_b64_e32 v[25:26], 3, v[2:3]
	v_add_co_u32 v25, vcc_lo, s26, v25
	s_wait_alu 0xfffd
	s_delay_alu instid0(VALU_DEP_2)
	v_add_co_ci_u32_e64 v26, null, s27, v26, vcc_lo
	s_wait_dscnt 0x0
	global_store_b64 v[25:26], v[23:24], off
	s_wait_alu 0xfffe
	s_or_b32 exec_lo, exec_lo, s15
	s_and_saveexec_b32 s15, s19
	s_cbranch_execz .LBB1774_641
.LBB1774_673:                           ;   in Loop: Header=BB1774_563 Depth=2
	v_lshlrev_b32_e32 v2, 2, v95
	ds_load_b32 v2, v2
	ds_load_b64 v[23:24], v20 offset:11264
	s_wait_dscnt 0x1
	v_add_nc_u32_e32 v2, v2, v35
	s_delay_alu instid0(VALU_DEP_1) | instskip(NEXT) | instid1(VALU_DEP_1)
	v_lshlrev_b64_e32 v[25:26], 3, v[2:3]
	v_add_co_u32 v25, vcc_lo, s26, v25
	s_wait_alu 0xfffd
	s_delay_alu instid0(VALU_DEP_2)
	v_add_co_ci_u32_e64 v26, null, s27, v26, vcc_lo
	s_wait_dscnt 0x0
	global_store_b64 v[25:26], v[23:24], off
	s_wait_alu 0xfffe
	s_or_b32 exec_lo, exec_lo, s15
	s_and_saveexec_b32 s15, s20
	s_cbranch_execz .LBB1774_642
.LBB1774_674:                           ;   in Loop: Header=BB1774_563 Depth=2
	v_lshlrev_b32_e32 v2, 2, v94
	ds_load_b32 v2, v2
	ds_load_b64 v[23:24], v20 offset:13312
	s_wait_dscnt 0x1
	v_add_nc_u32_e32 v2, v2, v36
	s_delay_alu instid0(VALU_DEP_1) | instskip(NEXT) | instid1(VALU_DEP_1)
	v_lshlrev_b64_e32 v[25:26], 3, v[2:3]
	v_add_co_u32 v25, vcc_lo, s26, v25
	s_wait_alu 0xfffd
	s_delay_alu instid0(VALU_DEP_2)
	v_add_co_ci_u32_e64 v26, null, s27, v26, vcc_lo
	s_wait_dscnt 0x0
	global_store_b64 v[25:26], v[23:24], off
	s_wait_alu 0xfffe
	s_or_b32 exec_lo, exec_lo, s15
	s_and_saveexec_b32 s15, s21
	s_cbranch_execnz .LBB1774_643
	s_branch .LBB1774_644
.LBB1774_675:
	s_endpgm
	.section	.rodata,"a",@progbits
	.p2align	6, 0x0
	.amdhsa_kernel _ZN7rocprim17ROCPRIM_400000_NS6detail17trampoline_kernelINS0_14default_configENS1_36segmented_radix_sort_config_selectorI6__halflEEZNS1_25segmented_radix_sort_implIS3_Lb1EPKS5_PS5_PKlPlN2at6native12_GLOBAL__N_18offset_tEEE10hipError_tPvRmT1_PNSt15iterator_traitsISL_E10value_typeET2_T3_PNSM_ISR_E10value_typeET4_jRbjT5_SX_jjP12ihipStream_tbEUlT_E2_NS1_11comp_targetILNS1_3genE10ELNS1_11target_archE1201ELNS1_3gpuE5ELNS1_3repE0EEENS1_30default_config_static_selectorELNS0_4arch9wavefront6targetE0EEEvSL_
		.amdhsa_group_segment_fixed_size 17440
		.amdhsa_private_segment_fixed_size 0
		.amdhsa_kernarg_size 336
		.amdhsa_user_sgpr_count 2
		.amdhsa_user_sgpr_dispatch_ptr 0
		.amdhsa_user_sgpr_queue_ptr 0
		.amdhsa_user_sgpr_kernarg_segment_ptr 1
		.amdhsa_user_sgpr_dispatch_id 0
		.amdhsa_user_sgpr_private_segment_size 0
		.amdhsa_wavefront_size32 1
		.amdhsa_uses_dynamic_stack 0
		.amdhsa_enable_private_segment 0
		.amdhsa_system_sgpr_workgroup_id_x 1
		.amdhsa_system_sgpr_workgroup_id_y 1
		.amdhsa_system_sgpr_workgroup_id_z 0
		.amdhsa_system_sgpr_workgroup_info 0
		.amdhsa_system_vgpr_workitem_id 2
		.amdhsa_next_free_vgpr 198
		.amdhsa_next_free_sgpr 50
		.amdhsa_reserve_vcc 1
		.amdhsa_float_round_mode_32 0
		.amdhsa_float_round_mode_16_64 0
		.amdhsa_float_denorm_mode_32 3
		.amdhsa_float_denorm_mode_16_64 3
		.amdhsa_fp16_overflow 0
		.amdhsa_workgroup_processor_mode 1
		.amdhsa_memory_ordered 1
		.amdhsa_forward_progress 1
		.amdhsa_inst_pref_size 255
		.amdhsa_round_robin_scheduling 0
		.amdhsa_exception_fp_ieee_invalid_op 0
		.amdhsa_exception_fp_denorm_src 0
		.amdhsa_exception_fp_ieee_div_zero 0
		.amdhsa_exception_fp_ieee_overflow 0
		.amdhsa_exception_fp_ieee_underflow 0
		.amdhsa_exception_fp_ieee_inexact 0
		.amdhsa_exception_int_div_zero 0
	.end_amdhsa_kernel
	.section	.text._ZN7rocprim17ROCPRIM_400000_NS6detail17trampoline_kernelINS0_14default_configENS1_36segmented_radix_sort_config_selectorI6__halflEEZNS1_25segmented_radix_sort_implIS3_Lb1EPKS5_PS5_PKlPlN2at6native12_GLOBAL__N_18offset_tEEE10hipError_tPvRmT1_PNSt15iterator_traitsISL_E10value_typeET2_T3_PNSM_ISR_E10value_typeET4_jRbjT5_SX_jjP12ihipStream_tbEUlT_E2_NS1_11comp_targetILNS1_3genE10ELNS1_11target_archE1201ELNS1_3gpuE5ELNS1_3repE0EEENS1_30default_config_static_selectorELNS0_4arch9wavefront6targetE0EEEvSL_,"axG",@progbits,_ZN7rocprim17ROCPRIM_400000_NS6detail17trampoline_kernelINS0_14default_configENS1_36segmented_radix_sort_config_selectorI6__halflEEZNS1_25segmented_radix_sort_implIS3_Lb1EPKS5_PS5_PKlPlN2at6native12_GLOBAL__N_18offset_tEEE10hipError_tPvRmT1_PNSt15iterator_traitsISL_E10value_typeET2_T3_PNSM_ISR_E10value_typeET4_jRbjT5_SX_jjP12ihipStream_tbEUlT_E2_NS1_11comp_targetILNS1_3genE10ELNS1_11target_archE1201ELNS1_3gpuE5ELNS1_3repE0EEENS1_30default_config_static_selectorELNS0_4arch9wavefront6targetE0EEEvSL_,comdat
.Lfunc_end1774:
	.size	_ZN7rocprim17ROCPRIM_400000_NS6detail17trampoline_kernelINS0_14default_configENS1_36segmented_radix_sort_config_selectorI6__halflEEZNS1_25segmented_radix_sort_implIS3_Lb1EPKS5_PS5_PKlPlN2at6native12_GLOBAL__N_18offset_tEEE10hipError_tPvRmT1_PNSt15iterator_traitsISL_E10value_typeET2_T3_PNSM_ISR_E10value_typeET4_jRbjT5_SX_jjP12ihipStream_tbEUlT_E2_NS1_11comp_targetILNS1_3genE10ELNS1_11target_archE1201ELNS1_3gpuE5ELNS1_3repE0EEENS1_30default_config_static_selectorELNS0_4arch9wavefront6targetE0EEEvSL_, .Lfunc_end1774-_ZN7rocprim17ROCPRIM_400000_NS6detail17trampoline_kernelINS0_14default_configENS1_36segmented_radix_sort_config_selectorI6__halflEEZNS1_25segmented_radix_sort_implIS3_Lb1EPKS5_PS5_PKlPlN2at6native12_GLOBAL__N_18offset_tEEE10hipError_tPvRmT1_PNSt15iterator_traitsISL_E10value_typeET2_T3_PNSM_ISR_E10value_typeET4_jRbjT5_SX_jjP12ihipStream_tbEUlT_E2_NS1_11comp_targetILNS1_3genE10ELNS1_11target_archE1201ELNS1_3gpuE5ELNS1_3repE0EEENS1_30default_config_static_selectorELNS0_4arch9wavefront6targetE0EEEvSL_
                                        ; -- End function
	.set _ZN7rocprim17ROCPRIM_400000_NS6detail17trampoline_kernelINS0_14default_configENS1_36segmented_radix_sort_config_selectorI6__halflEEZNS1_25segmented_radix_sort_implIS3_Lb1EPKS5_PS5_PKlPlN2at6native12_GLOBAL__N_18offset_tEEE10hipError_tPvRmT1_PNSt15iterator_traitsISL_E10value_typeET2_T3_PNSM_ISR_E10value_typeET4_jRbjT5_SX_jjP12ihipStream_tbEUlT_E2_NS1_11comp_targetILNS1_3genE10ELNS1_11target_archE1201ELNS1_3gpuE5ELNS1_3repE0EEENS1_30default_config_static_selectorELNS0_4arch9wavefront6targetE0EEEvSL_.num_vgpr, max(135, .L_ZN7rocprim17ROCPRIM_400000_NS6detail26segmented_warp_sort_helperINS1_20WarpSortHelperConfigILj8ELj4ELj256EEE6__halflLi256ELb1EvE4sortIPKS5_PS5_PKlPlEEvT_SA_T0_T1_SD_T2_bjjjjRNS6_12storage_typeE.num_vgpr, .L_ZN7rocprim17ROCPRIM_400000_NS6detail40segmented_radix_sort_single_block_helperI6__halflLj256ELj8ELb1EE4sortIPKS3_PS3_PKlPlEEbT_T0_T1_T2_jjjjRNS4_12storage_typeE.num_vgpr)
	.set _ZN7rocprim17ROCPRIM_400000_NS6detail17trampoline_kernelINS0_14default_configENS1_36segmented_radix_sort_config_selectorI6__halflEEZNS1_25segmented_radix_sort_implIS3_Lb1EPKS5_PS5_PKlPlN2at6native12_GLOBAL__N_18offset_tEEE10hipError_tPvRmT1_PNSt15iterator_traitsISL_E10value_typeET2_T3_PNSM_ISR_E10value_typeET4_jRbjT5_SX_jjP12ihipStream_tbEUlT_E2_NS1_11comp_targetILNS1_3genE10ELNS1_11target_archE1201ELNS1_3gpuE5ELNS1_3repE0EEENS1_30default_config_static_selectorELNS0_4arch9wavefront6targetE0EEEvSL_.num_agpr, max(0, .L_ZN7rocprim17ROCPRIM_400000_NS6detail26segmented_warp_sort_helperINS1_20WarpSortHelperConfigILj8ELj4ELj256EEE6__halflLi256ELb1EvE4sortIPKS5_PS5_PKlPlEEvT_SA_T0_T1_SD_T2_bjjjjRNS6_12storage_typeE.num_agpr, .L_ZN7rocprim17ROCPRIM_400000_NS6detail40segmented_radix_sort_single_block_helperI6__halflLj256ELj8ELb1EE4sortIPKS3_PS3_PKlPlEEbT_T0_T1_T2_jjjjRNS4_12storage_typeE.num_agpr)
	.set _ZN7rocprim17ROCPRIM_400000_NS6detail17trampoline_kernelINS0_14default_configENS1_36segmented_radix_sort_config_selectorI6__halflEEZNS1_25segmented_radix_sort_implIS3_Lb1EPKS5_PS5_PKlPlN2at6native12_GLOBAL__N_18offset_tEEE10hipError_tPvRmT1_PNSt15iterator_traitsISL_E10value_typeET2_T3_PNSM_ISR_E10value_typeET4_jRbjT5_SX_jjP12ihipStream_tbEUlT_E2_NS1_11comp_targetILNS1_3genE10ELNS1_11target_archE1201ELNS1_3gpuE5ELNS1_3repE0EEENS1_30default_config_static_selectorELNS0_4arch9wavefront6targetE0EEEvSL_.numbered_sgpr, max(50, .L_ZN7rocprim17ROCPRIM_400000_NS6detail26segmented_warp_sort_helperINS1_20WarpSortHelperConfigILj8ELj4ELj256EEE6__halflLi256ELb1EvE4sortIPKS5_PS5_PKlPlEEvT_SA_T0_T1_SD_T2_bjjjjRNS6_12storage_typeE.numbered_sgpr, .L_ZN7rocprim17ROCPRIM_400000_NS6detail40segmented_radix_sort_single_block_helperI6__halflLj256ELj8ELb1EE4sortIPKS3_PS3_PKlPlEEbT_T0_T1_T2_jjjjRNS4_12storage_typeE.numbered_sgpr)
	.set _ZN7rocprim17ROCPRIM_400000_NS6detail17trampoline_kernelINS0_14default_configENS1_36segmented_radix_sort_config_selectorI6__halflEEZNS1_25segmented_radix_sort_implIS3_Lb1EPKS5_PS5_PKlPlN2at6native12_GLOBAL__N_18offset_tEEE10hipError_tPvRmT1_PNSt15iterator_traitsISL_E10value_typeET2_T3_PNSM_ISR_E10value_typeET4_jRbjT5_SX_jjP12ihipStream_tbEUlT_E2_NS1_11comp_targetILNS1_3genE10ELNS1_11target_archE1201ELNS1_3gpuE5ELNS1_3repE0EEENS1_30default_config_static_selectorELNS0_4arch9wavefront6targetE0EEEvSL_.num_named_barrier, max(0, .L_ZN7rocprim17ROCPRIM_400000_NS6detail26segmented_warp_sort_helperINS1_20WarpSortHelperConfigILj8ELj4ELj256EEE6__halflLi256ELb1EvE4sortIPKS5_PS5_PKlPlEEvT_SA_T0_T1_SD_T2_bjjjjRNS6_12storage_typeE.num_named_barrier, .L_ZN7rocprim17ROCPRIM_400000_NS6detail40segmented_radix_sort_single_block_helperI6__halflLj256ELj8ELb1EE4sortIPKS3_PS3_PKlPlEEbT_T0_T1_T2_jjjjRNS4_12storage_typeE.num_named_barrier)
	.set _ZN7rocprim17ROCPRIM_400000_NS6detail17trampoline_kernelINS0_14default_configENS1_36segmented_radix_sort_config_selectorI6__halflEEZNS1_25segmented_radix_sort_implIS3_Lb1EPKS5_PS5_PKlPlN2at6native12_GLOBAL__N_18offset_tEEE10hipError_tPvRmT1_PNSt15iterator_traitsISL_E10value_typeET2_T3_PNSM_ISR_E10value_typeET4_jRbjT5_SX_jjP12ihipStream_tbEUlT_E2_NS1_11comp_targetILNS1_3genE10ELNS1_11target_archE1201ELNS1_3gpuE5ELNS1_3repE0EEENS1_30default_config_static_selectorELNS0_4arch9wavefront6targetE0EEEvSL_.private_seg_size, 0+max(.L_ZN7rocprim17ROCPRIM_400000_NS6detail26segmented_warp_sort_helperINS1_20WarpSortHelperConfigILj8ELj4ELj256EEE6__halflLi256ELb1EvE4sortIPKS5_PS5_PKlPlEEvT_SA_T0_T1_SD_T2_bjjjjRNS6_12storage_typeE.private_seg_size, .L_ZN7rocprim17ROCPRIM_400000_NS6detail40segmented_radix_sort_single_block_helperI6__halflLj256ELj8ELb1EE4sortIPKS3_PS3_PKlPlEEbT_T0_T1_T2_jjjjRNS4_12storage_typeE.private_seg_size)
	.set _ZN7rocprim17ROCPRIM_400000_NS6detail17trampoline_kernelINS0_14default_configENS1_36segmented_radix_sort_config_selectorI6__halflEEZNS1_25segmented_radix_sort_implIS3_Lb1EPKS5_PS5_PKlPlN2at6native12_GLOBAL__N_18offset_tEEE10hipError_tPvRmT1_PNSt15iterator_traitsISL_E10value_typeET2_T3_PNSM_ISR_E10value_typeET4_jRbjT5_SX_jjP12ihipStream_tbEUlT_E2_NS1_11comp_targetILNS1_3genE10ELNS1_11target_archE1201ELNS1_3gpuE5ELNS1_3repE0EEENS1_30default_config_static_selectorELNS0_4arch9wavefront6targetE0EEEvSL_.uses_vcc, or(1, .L_ZN7rocprim17ROCPRIM_400000_NS6detail26segmented_warp_sort_helperINS1_20WarpSortHelperConfigILj8ELj4ELj256EEE6__halflLi256ELb1EvE4sortIPKS5_PS5_PKlPlEEvT_SA_T0_T1_SD_T2_bjjjjRNS6_12storage_typeE.uses_vcc, .L_ZN7rocprim17ROCPRIM_400000_NS6detail40segmented_radix_sort_single_block_helperI6__halflLj256ELj8ELb1EE4sortIPKS3_PS3_PKlPlEEbT_T0_T1_T2_jjjjRNS4_12storage_typeE.uses_vcc)
	.set _ZN7rocprim17ROCPRIM_400000_NS6detail17trampoline_kernelINS0_14default_configENS1_36segmented_radix_sort_config_selectorI6__halflEEZNS1_25segmented_radix_sort_implIS3_Lb1EPKS5_PS5_PKlPlN2at6native12_GLOBAL__N_18offset_tEEE10hipError_tPvRmT1_PNSt15iterator_traitsISL_E10value_typeET2_T3_PNSM_ISR_E10value_typeET4_jRbjT5_SX_jjP12ihipStream_tbEUlT_E2_NS1_11comp_targetILNS1_3genE10ELNS1_11target_archE1201ELNS1_3gpuE5ELNS1_3repE0EEENS1_30default_config_static_selectorELNS0_4arch9wavefront6targetE0EEEvSL_.uses_flat_scratch, or(0, .L_ZN7rocprim17ROCPRIM_400000_NS6detail26segmented_warp_sort_helperINS1_20WarpSortHelperConfigILj8ELj4ELj256EEE6__halflLi256ELb1EvE4sortIPKS5_PS5_PKlPlEEvT_SA_T0_T1_SD_T2_bjjjjRNS6_12storage_typeE.uses_flat_scratch, .L_ZN7rocprim17ROCPRIM_400000_NS6detail40segmented_radix_sort_single_block_helperI6__halflLj256ELj8ELb1EE4sortIPKS3_PS3_PKlPlEEbT_T0_T1_T2_jjjjRNS4_12storage_typeE.uses_flat_scratch)
	.set _ZN7rocprim17ROCPRIM_400000_NS6detail17trampoline_kernelINS0_14default_configENS1_36segmented_radix_sort_config_selectorI6__halflEEZNS1_25segmented_radix_sort_implIS3_Lb1EPKS5_PS5_PKlPlN2at6native12_GLOBAL__N_18offset_tEEE10hipError_tPvRmT1_PNSt15iterator_traitsISL_E10value_typeET2_T3_PNSM_ISR_E10value_typeET4_jRbjT5_SX_jjP12ihipStream_tbEUlT_E2_NS1_11comp_targetILNS1_3genE10ELNS1_11target_archE1201ELNS1_3gpuE5ELNS1_3repE0EEENS1_30default_config_static_selectorELNS0_4arch9wavefront6targetE0EEEvSL_.has_dyn_sized_stack, or(0, .L_ZN7rocprim17ROCPRIM_400000_NS6detail26segmented_warp_sort_helperINS1_20WarpSortHelperConfigILj8ELj4ELj256EEE6__halflLi256ELb1EvE4sortIPKS5_PS5_PKlPlEEvT_SA_T0_T1_SD_T2_bjjjjRNS6_12storage_typeE.has_dyn_sized_stack, .L_ZN7rocprim17ROCPRIM_400000_NS6detail40segmented_radix_sort_single_block_helperI6__halflLj256ELj8ELb1EE4sortIPKS3_PS3_PKlPlEEbT_T0_T1_T2_jjjjRNS4_12storage_typeE.has_dyn_sized_stack)
	.set _ZN7rocprim17ROCPRIM_400000_NS6detail17trampoline_kernelINS0_14default_configENS1_36segmented_radix_sort_config_selectorI6__halflEEZNS1_25segmented_radix_sort_implIS3_Lb1EPKS5_PS5_PKlPlN2at6native12_GLOBAL__N_18offset_tEEE10hipError_tPvRmT1_PNSt15iterator_traitsISL_E10value_typeET2_T3_PNSM_ISR_E10value_typeET4_jRbjT5_SX_jjP12ihipStream_tbEUlT_E2_NS1_11comp_targetILNS1_3genE10ELNS1_11target_archE1201ELNS1_3gpuE5ELNS1_3repE0EEENS1_30default_config_static_selectorELNS0_4arch9wavefront6targetE0EEEvSL_.has_recursion, or(0, .L_ZN7rocprim17ROCPRIM_400000_NS6detail26segmented_warp_sort_helperINS1_20WarpSortHelperConfigILj8ELj4ELj256EEE6__halflLi256ELb1EvE4sortIPKS5_PS5_PKlPlEEvT_SA_T0_T1_SD_T2_bjjjjRNS6_12storage_typeE.has_recursion, .L_ZN7rocprim17ROCPRIM_400000_NS6detail40segmented_radix_sort_single_block_helperI6__halflLj256ELj8ELb1EE4sortIPKS3_PS3_PKlPlEEbT_T0_T1_T2_jjjjRNS4_12storage_typeE.has_recursion)
	.set _ZN7rocprim17ROCPRIM_400000_NS6detail17trampoline_kernelINS0_14default_configENS1_36segmented_radix_sort_config_selectorI6__halflEEZNS1_25segmented_radix_sort_implIS3_Lb1EPKS5_PS5_PKlPlN2at6native12_GLOBAL__N_18offset_tEEE10hipError_tPvRmT1_PNSt15iterator_traitsISL_E10value_typeET2_T3_PNSM_ISR_E10value_typeET4_jRbjT5_SX_jjP12ihipStream_tbEUlT_E2_NS1_11comp_targetILNS1_3genE10ELNS1_11target_archE1201ELNS1_3gpuE5ELNS1_3repE0EEENS1_30default_config_static_selectorELNS0_4arch9wavefront6targetE0EEEvSL_.has_indirect_call, or(0, .L_ZN7rocprim17ROCPRIM_400000_NS6detail26segmented_warp_sort_helperINS1_20WarpSortHelperConfigILj8ELj4ELj256EEE6__halflLi256ELb1EvE4sortIPKS5_PS5_PKlPlEEvT_SA_T0_T1_SD_T2_bjjjjRNS6_12storage_typeE.has_indirect_call, .L_ZN7rocprim17ROCPRIM_400000_NS6detail40segmented_radix_sort_single_block_helperI6__halflLj256ELj8ELb1EE4sortIPKS3_PS3_PKlPlEEbT_T0_T1_T2_jjjjRNS4_12storage_typeE.has_indirect_call)
	.section	.AMDGPU.csdata,"",@progbits
; Kernel info:
; codeLenInByte = 48264
; TotalNumSgprs: 52
; NumVgprs: 198
; ScratchSize: 0
; MemoryBound: 0
; FloatMode: 240
; IeeeMode: 1
; LDSByteSize: 17440 bytes/workgroup (compile time only)
; SGPRBlocks: 0
; VGPRBlocks: 24
; NumSGPRsForWavesPerEU: 52
; NumVGPRsForWavesPerEU: 198
; Occupancy: 7
; WaveLimiterHint : 1
; COMPUTE_PGM_RSRC2:SCRATCH_EN: 0
; COMPUTE_PGM_RSRC2:USER_SGPR: 2
; COMPUTE_PGM_RSRC2:TRAP_HANDLER: 0
; COMPUTE_PGM_RSRC2:TGID_X_EN: 1
; COMPUTE_PGM_RSRC2:TGID_Y_EN: 1
; COMPUTE_PGM_RSRC2:TGID_Z_EN: 0
; COMPUTE_PGM_RSRC2:TIDIG_COMP_CNT: 2
	.section	.text._ZN7rocprim17ROCPRIM_400000_NS6detail17trampoline_kernelINS0_14default_configENS1_36segmented_radix_sort_config_selectorI6__halflEEZNS1_25segmented_radix_sort_implIS3_Lb1EPKS5_PS5_PKlPlN2at6native12_GLOBAL__N_18offset_tEEE10hipError_tPvRmT1_PNSt15iterator_traitsISL_E10value_typeET2_T3_PNSM_ISR_E10value_typeET4_jRbjT5_SX_jjP12ihipStream_tbEUlT_E2_NS1_11comp_targetILNS1_3genE10ELNS1_11target_archE1200ELNS1_3gpuE4ELNS1_3repE0EEENS1_30default_config_static_selectorELNS0_4arch9wavefront6targetE0EEEvSL_,"axG",@progbits,_ZN7rocprim17ROCPRIM_400000_NS6detail17trampoline_kernelINS0_14default_configENS1_36segmented_radix_sort_config_selectorI6__halflEEZNS1_25segmented_radix_sort_implIS3_Lb1EPKS5_PS5_PKlPlN2at6native12_GLOBAL__N_18offset_tEEE10hipError_tPvRmT1_PNSt15iterator_traitsISL_E10value_typeET2_T3_PNSM_ISR_E10value_typeET4_jRbjT5_SX_jjP12ihipStream_tbEUlT_E2_NS1_11comp_targetILNS1_3genE10ELNS1_11target_archE1200ELNS1_3gpuE4ELNS1_3repE0EEENS1_30default_config_static_selectorELNS0_4arch9wavefront6targetE0EEEvSL_,comdat
	.globl	_ZN7rocprim17ROCPRIM_400000_NS6detail17trampoline_kernelINS0_14default_configENS1_36segmented_radix_sort_config_selectorI6__halflEEZNS1_25segmented_radix_sort_implIS3_Lb1EPKS5_PS5_PKlPlN2at6native12_GLOBAL__N_18offset_tEEE10hipError_tPvRmT1_PNSt15iterator_traitsISL_E10value_typeET2_T3_PNSM_ISR_E10value_typeET4_jRbjT5_SX_jjP12ihipStream_tbEUlT_E2_NS1_11comp_targetILNS1_3genE10ELNS1_11target_archE1200ELNS1_3gpuE4ELNS1_3repE0EEENS1_30default_config_static_selectorELNS0_4arch9wavefront6targetE0EEEvSL_ ; -- Begin function _ZN7rocprim17ROCPRIM_400000_NS6detail17trampoline_kernelINS0_14default_configENS1_36segmented_radix_sort_config_selectorI6__halflEEZNS1_25segmented_radix_sort_implIS3_Lb1EPKS5_PS5_PKlPlN2at6native12_GLOBAL__N_18offset_tEEE10hipError_tPvRmT1_PNSt15iterator_traitsISL_E10value_typeET2_T3_PNSM_ISR_E10value_typeET4_jRbjT5_SX_jjP12ihipStream_tbEUlT_E2_NS1_11comp_targetILNS1_3genE10ELNS1_11target_archE1200ELNS1_3gpuE4ELNS1_3repE0EEENS1_30default_config_static_selectorELNS0_4arch9wavefront6targetE0EEEvSL_
	.p2align	8
	.type	_ZN7rocprim17ROCPRIM_400000_NS6detail17trampoline_kernelINS0_14default_configENS1_36segmented_radix_sort_config_selectorI6__halflEEZNS1_25segmented_radix_sort_implIS3_Lb1EPKS5_PS5_PKlPlN2at6native12_GLOBAL__N_18offset_tEEE10hipError_tPvRmT1_PNSt15iterator_traitsISL_E10value_typeET2_T3_PNSM_ISR_E10value_typeET4_jRbjT5_SX_jjP12ihipStream_tbEUlT_E2_NS1_11comp_targetILNS1_3genE10ELNS1_11target_archE1200ELNS1_3gpuE4ELNS1_3repE0EEENS1_30default_config_static_selectorELNS0_4arch9wavefront6targetE0EEEvSL_,@function
_ZN7rocprim17ROCPRIM_400000_NS6detail17trampoline_kernelINS0_14default_configENS1_36segmented_radix_sort_config_selectorI6__halflEEZNS1_25segmented_radix_sort_implIS3_Lb1EPKS5_PS5_PKlPlN2at6native12_GLOBAL__N_18offset_tEEE10hipError_tPvRmT1_PNSt15iterator_traitsISL_E10value_typeET2_T3_PNSM_ISR_E10value_typeET4_jRbjT5_SX_jjP12ihipStream_tbEUlT_E2_NS1_11comp_targetILNS1_3genE10ELNS1_11target_archE1200ELNS1_3gpuE4ELNS1_3repE0EEENS1_30default_config_static_selectorELNS0_4arch9wavefront6targetE0EEEvSL_: ; @_ZN7rocprim17ROCPRIM_400000_NS6detail17trampoline_kernelINS0_14default_configENS1_36segmented_radix_sort_config_selectorI6__halflEEZNS1_25segmented_radix_sort_implIS3_Lb1EPKS5_PS5_PKlPlN2at6native12_GLOBAL__N_18offset_tEEE10hipError_tPvRmT1_PNSt15iterator_traitsISL_E10value_typeET2_T3_PNSM_ISR_E10value_typeET4_jRbjT5_SX_jjP12ihipStream_tbEUlT_E2_NS1_11comp_targetILNS1_3genE10ELNS1_11target_archE1200ELNS1_3gpuE4ELNS1_3repE0EEENS1_30default_config_static_selectorELNS0_4arch9wavefront6targetE0EEEvSL_
; %bb.0:
	.section	.rodata,"a",@progbits
	.p2align	6, 0x0
	.amdhsa_kernel _ZN7rocprim17ROCPRIM_400000_NS6detail17trampoline_kernelINS0_14default_configENS1_36segmented_radix_sort_config_selectorI6__halflEEZNS1_25segmented_radix_sort_implIS3_Lb1EPKS5_PS5_PKlPlN2at6native12_GLOBAL__N_18offset_tEEE10hipError_tPvRmT1_PNSt15iterator_traitsISL_E10value_typeET2_T3_PNSM_ISR_E10value_typeET4_jRbjT5_SX_jjP12ihipStream_tbEUlT_E2_NS1_11comp_targetILNS1_3genE10ELNS1_11target_archE1200ELNS1_3gpuE4ELNS1_3repE0EEENS1_30default_config_static_selectorELNS0_4arch9wavefront6targetE0EEEvSL_
		.amdhsa_group_segment_fixed_size 0
		.amdhsa_private_segment_fixed_size 0
		.amdhsa_kernarg_size 80
		.amdhsa_user_sgpr_count 2
		.amdhsa_user_sgpr_dispatch_ptr 0
		.amdhsa_user_sgpr_queue_ptr 0
		.amdhsa_user_sgpr_kernarg_segment_ptr 1
		.amdhsa_user_sgpr_dispatch_id 0
		.amdhsa_user_sgpr_private_segment_size 0
		.amdhsa_wavefront_size32 1
		.amdhsa_uses_dynamic_stack 0
		.amdhsa_enable_private_segment 0
		.amdhsa_system_sgpr_workgroup_id_x 1
		.amdhsa_system_sgpr_workgroup_id_y 0
		.amdhsa_system_sgpr_workgroup_id_z 0
		.amdhsa_system_sgpr_workgroup_info 0
		.amdhsa_system_vgpr_workitem_id 0
		.amdhsa_next_free_vgpr 1
		.amdhsa_next_free_sgpr 1
		.amdhsa_reserve_vcc 0
		.amdhsa_float_round_mode_32 0
		.amdhsa_float_round_mode_16_64 0
		.amdhsa_float_denorm_mode_32 3
		.amdhsa_float_denorm_mode_16_64 3
		.amdhsa_fp16_overflow 0
		.amdhsa_workgroup_processor_mode 1
		.amdhsa_memory_ordered 1
		.amdhsa_forward_progress 1
		.amdhsa_inst_pref_size 0
		.amdhsa_round_robin_scheduling 0
		.amdhsa_exception_fp_ieee_invalid_op 0
		.amdhsa_exception_fp_denorm_src 0
		.amdhsa_exception_fp_ieee_div_zero 0
		.amdhsa_exception_fp_ieee_overflow 0
		.amdhsa_exception_fp_ieee_underflow 0
		.amdhsa_exception_fp_ieee_inexact 0
		.amdhsa_exception_int_div_zero 0
	.end_amdhsa_kernel
	.section	.text._ZN7rocprim17ROCPRIM_400000_NS6detail17trampoline_kernelINS0_14default_configENS1_36segmented_radix_sort_config_selectorI6__halflEEZNS1_25segmented_radix_sort_implIS3_Lb1EPKS5_PS5_PKlPlN2at6native12_GLOBAL__N_18offset_tEEE10hipError_tPvRmT1_PNSt15iterator_traitsISL_E10value_typeET2_T3_PNSM_ISR_E10value_typeET4_jRbjT5_SX_jjP12ihipStream_tbEUlT_E2_NS1_11comp_targetILNS1_3genE10ELNS1_11target_archE1200ELNS1_3gpuE4ELNS1_3repE0EEENS1_30default_config_static_selectorELNS0_4arch9wavefront6targetE0EEEvSL_,"axG",@progbits,_ZN7rocprim17ROCPRIM_400000_NS6detail17trampoline_kernelINS0_14default_configENS1_36segmented_radix_sort_config_selectorI6__halflEEZNS1_25segmented_radix_sort_implIS3_Lb1EPKS5_PS5_PKlPlN2at6native12_GLOBAL__N_18offset_tEEE10hipError_tPvRmT1_PNSt15iterator_traitsISL_E10value_typeET2_T3_PNSM_ISR_E10value_typeET4_jRbjT5_SX_jjP12ihipStream_tbEUlT_E2_NS1_11comp_targetILNS1_3genE10ELNS1_11target_archE1200ELNS1_3gpuE4ELNS1_3repE0EEENS1_30default_config_static_selectorELNS0_4arch9wavefront6targetE0EEEvSL_,comdat
.Lfunc_end1775:
	.size	_ZN7rocprim17ROCPRIM_400000_NS6detail17trampoline_kernelINS0_14default_configENS1_36segmented_radix_sort_config_selectorI6__halflEEZNS1_25segmented_radix_sort_implIS3_Lb1EPKS5_PS5_PKlPlN2at6native12_GLOBAL__N_18offset_tEEE10hipError_tPvRmT1_PNSt15iterator_traitsISL_E10value_typeET2_T3_PNSM_ISR_E10value_typeET4_jRbjT5_SX_jjP12ihipStream_tbEUlT_E2_NS1_11comp_targetILNS1_3genE10ELNS1_11target_archE1200ELNS1_3gpuE4ELNS1_3repE0EEENS1_30default_config_static_selectorELNS0_4arch9wavefront6targetE0EEEvSL_, .Lfunc_end1775-_ZN7rocprim17ROCPRIM_400000_NS6detail17trampoline_kernelINS0_14default_configENS1_36segmented_radix_sort_config_selectorI6__halflEEZNS1_25segmented_radix_sort_implIS3_Lb1EPKS5_PS5_PKlPlN2at6native12_GLOBAL__N_18offset_tEEE10hipError_tPvRmT1_PNSt15iterator_traitsISL_E10value_typeET2_T3_PNSM_ISR_E10value_typeET4_jRbjT5_SX_jjP12ihipStream_tbEUlT_E2_NS1_11comp_targetILNS1_3genE10ELNS1_11target_archE1200ELNS1_3gpuE4ELNS1_3repE0EEENS1_30default_config_static_selectorELNS0_4arch9wavefront6targetE0EEEvSL_
                                        ; -- End function
	.set _ZN7rocprim17ROCPRIM_400000_NS6detail17trampoline_kernelINS0_14default_configENS1_36segmented_radix_sort_config_selectorI6__halflEEZNS1_25segmented_radix_sort_implIS3_Lb1EPKS5_PS5_PKlPlN2at6native12_GLOBAL__N_18offset_tEEE10hipError_tPvRmT1_PNSt15iterator_traitsISL_E10value_typeET2_T3_PNSM_ISR_E10value_typeET4_jRbjT5_SX_jjP12ihipStream_tbEUlT_E2_NS1_11comp_targetILNS1_3genE10ELNS1_11target_archE1200ELNS1_3gpuE4ELNS1_3repE0EEENS1_30default_config_static_selectorELNS0_4arch9wavefront6targetE0EEEvSL_.num_vgpr, 0
	.set _ZN7rocprim17ROCPRIM_400000_NS6detail17trampoline_kernelINS0_14default_configENS1_36segmented_radix_sort_config_selectorI6__halflEEZNS1_25segmented_radix_sort_implIS3_Lb1EPKS5_PS5_PKlPlN2at6native12_GLOBAL__N_18offset_tEEE10hipError_tPvRmT1_PNSt15iterator_traitsISL_E10value_typeET2_T3_PNSM_ISR_E10value_typeET4_jRbjT5_SX_jjP12ihipStream_tbEUlT_E2_NS1_11comp_targetILNS1_3genE10ELNS1_11target_archE1200ELNS1_3gpuE4ELNS1_3repE0EEENS1_30default_config_static_selectorELNS0_4arch9wavefront6targetE0EEEvSL_.num_agpr, 0
	.set _ZN7rocprim17ROCPRIM_400000_NS6detail17trampoline_kernelINS0_14default_configENS1_36segmented_radix_sort_config_selectorI6__halflEEZNS1_25segmented_radix_sort_implIS3_Lb1EPKS5_PS5_PKlPlN2at6native12_GLOBAL__N_18offset_tEEE10hipError_tPvRmT1_PNSt15iterator_traitsISL_E10value_typeET2_T3_PNSM_ISR_E10value_typeET4_jRbjT5_SX_jjP12ihipStream_tbEUlT_E2_NS1_11comp_targetILNS1_3genE10ELNS1_11target_archE1200ELNS1_3gpuE4ELNS1_3repE0EEENS1_30default_config_static_selectorELNS0_4arch9wavefront6targetE0EEEvSL_.numbered_sgpr, 0
	.set _ZN7rocprim17ROCPRIM_400000_NS6detail17trampoline_kernelINS0_14default_configENS1_36segmented_radix_sort_config_selectorI6__halflEEZNS1_25segmented_radix_sort_implIS3_Lb1EPKS5_PS5_PKlPlN2at6native12_GLOBAL__N_18offset_tEEE10hipError_tPvRmT1_PNSt15iterator_traitsISL_E10value_typeET2_T3_PNSM_ISR_E10value_typeET4_jRbjT5_SX_jjP12ihipStream_tbEUlT_E2_NS1_11comp_targetILNS1_3genE10ELNS1_11target_archE1200ELNS1_3gpuE4ELNS1_3repE0EEENS1_30default_config_static_selectorELNS0_4arch9wavefront6targetE0EEEvSL_.num_named_barrier, 0
	.set _ZN7rocprim17ROCPRIM_400000_NS6detail17trampoline_kernelINS0_14default_configENS1_36segmented_radix_sort_config_selectorI6__halflEEZNS1_25segmented_radix_sort_implIS3_Lb1EPKS5_PS5_PKlPlN2at6native12_GLOBAL__N_18offset_tEEE10hipError_tPvRmT1_PNSt15iterator_traitsISL_E10value_typeET2_T3_PNSM_ISR_E10value_typeET4_jRbjT5_SX_jjP12ihipStream_tbEUlT_E2_NS1_11comp_targetILNS1_3genE10ELNS1_11target_archE1200ELNS1_3gpuE4ELNS1_3repE0EEENS1_30default_config_static_selectorELNS0_4arch9wavefront6targetE0EEEvSL_.private_seg_size, 0
	.set _ZN7rocprim17ROCPRIM_400000_NS6detail17trampoline_kernelINS0_14default_configENS1_36segmented_radix_sort_config_selectorI6__halflEEZNS1_25segmented_radix_sort_implIS3_Lb1EPKS5_PS5_PKlPlN2at6native12_GLOBAL__N_18offset_tEEE10hipError_tPvRmT1_PNSt15iterator_traitsISL_E10value_typeET2_T3_PNSM_ISR_E10value_typeET4_jRbjT5_SX_jjP12ihipStream_tbEUlT_E2_NS1_11comp_targetILNS1_3genE10ELNS1_11target_archE1200ELNS1_3gpuE4ELNS1_3repE0EEENS1_30default_config_static_selectorELNS0_4arch9wavefront6targetE0EEEvSL_.uses_vcc, 0
	.set _ZN7rocprim17ROCPRIM_400000_NS6detail17trampoline_kernelINS0_14default_configENS1_36segmented_radix_sort_config_selectorI6__halflEEZNS1_25segmented_radix_sort_implIS3_Lb1EPKS5_PS5_PKlPlN2at6native12_GLOBAL__N_18offset_tEEE10hipError_tPvRmT1_PNSt15iterator_traitsISL_E10value_typeET2_T3_PNSM_ISR_E10value_typeET4_jRbjT5_SX_jjP12ihipStream_tbEUlT_E2_NS1_11comp_targetILNS1_3genE10ELNS1_11target_archE1200ELNS1_3gpuE4ELNS1_3repE0EEENS1_30default_config_static_selectorELNS0_4arch9wavefront6targetE0EEEvSL_.uses_flat_scratch, 0
	.set _ZN7rocprim17ROCPRIM_400000_NS6detail17trampoline_kernelINS0_14default_configENS1_36segmented_radix_sort_config_selectorI6__halflEEZNS1_25segmented_radix_sort_implIS3_Lb1EPKS5_PS5_PKlPlN2at6native12_GLOBAL__N_18offset_tEEE10hipError_tPvRmT1_PNSt15iterator_traitsISL_E10value_typeET2_T3_PNSM_ISR_E10value_typeET4_jRbjT5_SX_jjP12ihipStream_tbEUlT_E2_NS1_11comp_targetILNS1_3genE10ELNS1_11target_archE1200ELNS1_3gpuE4ELNS1_3repE0EEENS1_30default_config_static_selectorELNS0_4arch9wavefront6targetE0EEEvSL_.has_dyn_sized_stack, 0
	.set _ZN7rocprim17ROCPRIM_400000_NS6detail17trampoline_kernelINS0_14default_configENS1_36segmented_radix_sort_config_selectorI6__halflEEZNS1_25segmented_radix_sort_implIS3_Lb1EPKS5_PS5_PKlPlN2at6native12_GLOBAL__N_18offset_tEEE10hipError_tPvRmT1_PNSt15iterator_traitsISL_E10value_typeET2_T3_PNSM_ISR_E10value_typeET4_jRbjT5_SX_jjP12ihipStream_tbEUlT_E2_NS1_11comp_targetILNS1_3genE10ELNS1_11target_archE1200ELNS1_3gpuE4ELNS1_3repE0EEENS1_30default_config_static_selectorELNS0_4arch9wavefront6targetE0EEEvSL_.has_recursion, 0
	.set _ZN7rocprim17ROCPRIM_400000_NS6detail17trampoline_kernelINS0_14default_configENS1_36segmented_radix_sort_config_selectorI6__halflEEZNS1_25segmented_radix_sort_implIS3_Lb1EPKS5_PS5_PKlPlN2at6native12_GLOBAL__N_18offset_tEEE10hipError_tPvRmT1_PNSt15iterator_traitsISL_E10value_typeET2_T3_PNSM_ISR_E10value_typeET4_jRbjT5_SX_jjP12ihipStream_tbEUlT_E2_NS1_11comp_targetILNS1_3genE10ELNS1_11target_archE1200ELNS1_3gpuE4ELNS1_3repE0EEENS1_30default_config_static_selectorELNS0_4arch9wavefront6targetE0EEEvSL_.has_indirect_call, 0
	.section	.AMDGPU.csdata,"",@progbits
; Kernel info:
; codeLenInByte = 0
; TotalNumSgprs: 0
; NumVgprs: 0
; ScratchSize: 0
; MemoryBound: 0
; FloatMode: 240
; IeeeMode: 1
; LDSByteSize: 0 bytes/workgroup (compile time only)
; SGPRBlocks: 0
; VGPRBlocks: 0
; NumSGPRsForWavesPerEU: 1
; NumVGPRsForWavesPerEU: 1
; Occupancy: 16
; WaveLimiterHint : 0
; COMPUTE_PGM_RSRC2:SCRATCH_EN: 0
; COMPUTE_PGM_RSRC2:USER_SGPR: 2
; COMPUTE_PGM_RSRC2:TRAP_HANDLER: 0
; COMPUTE_PGM_RSRC2:TGID_X_EN: 1
; COMPUTE_PGM_RSRC2:TGID_Y_EN: 0
; COMPUTE_PGM_RSRC2:TGID_Z_EN: 0
; COMPUTE_PGM_RSRC2:TIDIG_COMP_CNT: 0
	.section	.text._ZN7rocprim17ROCPRIM_400000_NS6detail17trampoline_kernelINS0_14default_configENS1_36segmented_radix_sort_config_selectorI6__halflEEZNS1_25segmented_radix_sort_implIS3_Lb1EPKS5_PS5_PKlPlN2at6native12_GLOBAL__N_18offset_tEEE10hipError_tPvRmT1_PNSt15iterator_traitsISL_E10value_typeET2_T3_PNSM_ISR_E10value_typeET4_jRbjT5_SX_jjP12ihipStream_tbEUlT_E2_NS1_11comp_targetILNS1_3genE9ELNS1_11target_archE1100ELNS1_3gpuE3ELNS1_3repE0EEENS1_30default_config_static_selectorELNS0_4arch9wavefront6targetE0EEEvSL_,"axG",@progbits,_ZN7rocprim17ROCPRIM_400000_NS6detail17trampoline_kernelINS0_14default_configENS1_36segmented_radix_sort_config_selectorI6__halflEEZNS1_25segmented_radix_sort_implIS3_Lb1EPKS5_PS5_PKlPlN2at6native12_GLOBAL__N_18offset_tEEE10hipError_tPvRmT1_PNSt15iterator_traitsISL_E10value_typeET2_T3_PNSM_ISR_E10value_typeET4_jRbjT5_SX_jjP12ihipStream_tbEUlT_E2_NS1_11comp_targetILNS1_3genE9ELNS1_11target_archE1100ELNS1_3gpuE3ELNS1_3repE0EEENS1_30default_config_static_selectorELNS0_4arch9wavefront6targetE0EEEvSL_,comdat
	.globl	_ZN7rocprim17ROCPRIM_400000_NS6detail17trampoline_kernelINS0_14default_configENS1_36segmented_radix_sort_config_selectorI6__halflEEZNS1_25segmented_radix_sort_implIS3_Lb1EPKS5_PS5_PKlPlN2at6native12_GLOBAL__N_18offset_tEEE10hipError_tPvRmT1_PNSt15iterator_traitsISL_E10value_typeET2_T3_PNSM_ISR_E10value_typeET4_jRbjT5_SX_jjP12ihipStream_tbEUlT_E2_NS1_11comp_targetILNS1_3genE9ELNS1_11target_archE1100ELNS1_3gpuE3ELNS1_3repE0EEENS1_30default_config_static_selectorELNS0_4arch9wavefront6targetE0EEEvSL_ ; -- Begin function _ZN7rocprim17ROCPRIM_400000_NS6detail17trampoline_kernelINS0_14default_configENS1_36segmented_radix_sort_config_selectorI6__halflEEZNS1_25segmented_radix_sort_implIS3_Lb1EPKS5_PS5_PKlPlN2at6native12_GLOBAL__N_18offset_tEEE10hipError_tPvRmT1_PNSt15iterator_traitsISL_E10value_typeET2_T3_PNSM_ISR_E10value_typeET4_jRbjT5_SX_jjP12ihipStream_tbEUlT_E2_NS1_11comp_targetILNS1_3genE9ELNS1_11target_archE1100ELNS1_3gpuE3ELNS1_3repE0EEENS1_30default_config_static_selectorELNS0_4arch9wavefront6targetE0EEEvSL_
	.p2align	8
	.type	_ZN7rocprim17ROCPRIM_400000_NS6detail17trampoline_kernelINS0_14default_configENS1_36segmented_radix_sort_config_selectorI6__halflEEZNS1_25segmented_radix_sort_implIS3_Lb1EPKS5_PS5_PKlPlN2at6native12_GLOBAL__N_18offset_tEEE10hipError_tPvRmT1_PNSt15iterator_traitsISL_E10value_typeET2_T3_PNSM_ISR_E10value_typeET4_jRbjT5_SX_jjP12ihipStream_tbEUlT_E2_NS1_11comp_targetILNS1_3genE9ELNS1_11target_archE1100ELNS1_3gpuE3ELNS1_3repE0EEENS1_30default_config_static_selectorELNS0_4arch9wavefront6targetE0EEEvSL_,@function
_ZN7rocprim17ROCPRIM_400000_NS6detail17trampoline_kernelINS0_14default_configENS1_36segmented_radix_sort_config_selectorI6__halflEEZNS1_25segmented_radix_sort_implIS3_Lb1EPKS5_PS5_PKlPlN2at6native12_GLOBAL__N_18offset_tEEE10hipError_tPvRmT1_PNSt15iterator_traitsISL_E10value_typeET2_T3_PNSM_ISR_E10value_typeET4_jRbjT5_SX_jjP12ihipStream_tbEUlT_E2_NS1_11comp_targetILNS1_3genE9ELNS1_11target_archE1100ELNS1_3gpuE3ELNS1_3repE0EEENS1_30default_config_static_selectorELNS0_4arch9wavefront6targetE0EEEvSL_: ; @_ZN7rocprim17ROCPRIM_400000_NS6detail17trampoline_kernelINS0_14default_configENS1_36segmented_radix_sort_config_selectorI6__halflEEZNS1_25segmented_radix_sort_implIS3_Lb1EPKS5_PS5_PKlPlN2at6native12_GLOBAL__N_18offset_tEEE10hipError_tPvRmT1_PNSt15iterator_traitsISL_E10value_typeET2_T3_PNSM_ISR_E10value_typeET4_jRbjT5_SX_jjP12ihipStream_tbEUlT_E2_NS1_11comp_targetILNS1_3genE9ELNS1_11target_archE1100ELNS1_3gpuE3ELNS1_3repE0EEENS1_30default_config_static_selectorELNS0_4arch9wavefront6targetE0EEEvSL_
; %bb.0:
	.section	.rodata,"a",@progbits
	.p2align	6, 0x0
	.amdhsa_kernel _ZN7rocprim17ROCPRIM_400000_NS6detail17trampoline_kernelINS0_14default_configENS1_36segmented_radix_sort_config_selectorI6__halflEEZNS1_25segmented_radix_sort_implIS3_Lb1EPKS5_PS5_PKlPlN2at6native12_GLOBAL__N_18offset_tEEE10hipError_tPvRmT1_PNSt15iterator_traitsISL_E10value_typeET2_T3_PNSM_ISR_E10value_typeET4_jRbjT5_SX_jjP12ihipStream_tbEUlT_E2_NS1_11comp_targetILNS1_3genE9ELNS1_11target_archE1100ELNS1_3gpuE3ELNS1_3repE0EEENS1_30default_config_static_selectorELNS0_4arch9wavefront6targetE0EEEvSL_
		.amdhsa_group_segment_fixed_size 0
		.amdhsa_private_segment_fixed_size 0
		.amdhsa_kernarg_size 80
		.amdhsa_user_sgpr_count 2
		.amdhsa_user_sgpr_dispatch_ptr 0
		.amdhsa_user_sgpr_queue_ptr 0
		.amdhsa_user_sgpr_kernarg_segment_ptr 1
		.amdhsa_user_sgpr_dispatch_id 0
		.amdhsa_user_sgpr_private_segment_size 0
		.amdhsa_wavefront_size32 1
		.amdhsa_uses_dynamic_stack 0
		.amdhsa_enable_private_segment 0
		.amdhsa_system_sgpr_workgroup_id_x 1
		.amdhsa_system_sgpr_workgroup_id_y 0
		.amdhsa_system_sgpr_workgroup_id_z 0
		.amdhsa_system_sgpr_workgroup_info 0
		.amdhsa_system_vgpr_workitem_id 0
		.amdhsa_next_free_vgpr 1
		.amdhsa_next_free_sgpr 1
		.amdhsa_reserve_vcc 0
		.amdhsa_float_round_mode_32 0
		.amdhsa_float_round_mode_16_64 0
		.amdhsa_float_denorm_mode_32 3
		.amdhsa_float_denorm_mode_16_64 3
		.amdhsa_fp16_overflow 0
		.amdhsa_workgroup_processor_mode 1
		.amdhsa_memory_ordered 1
		.amdhsa_forward_progress 1
		.amdhsa_inst_pref_size 0
		.amdhsa_round_robin_scheduling 0
		.amdhsa_exception_fp_ieee_invalid_op 0
		.amdhsa_exception_fp_denorm_src 0
		.amdhsa_exception_fp_ieee_div_zero 0
		.amdhsa_exception_fp_ieee_overflow 0
		.amdhsa_exception_fp_ieee_underflow 0
		.amdhsa_exception_fp_ieee_inexact 0
		.amdhsa_exception_int_div_zero 0
	.end_amdhsa_kernel
	.section	.text._ZN7rocprim17ROCPRIM_400000_NS6detail17trampoline_kernelINS0_14default_configENS1_36segmented_radix_sort_config_selectorI6__halflEEZNS1_25segmented_radix_sort_implIS3_Lb1EPKS5_PS5_PKlPlN2at6native12_GLOBAL__N_18offset_tEEE10hipError_tPvRmT1_PNSt15iterator_traitsISL_E10value_typeET2_T3_PNSM_ISR_E10value_typeET4_jRbjT5_SX_jjP12ihipStream_tbEUlT_E2_NS1_11comp_targetILNS1_3genE9ELNS1_11target_archE1100ELNS1_3gpuE3ELNS1_3repE0EEENS1_30default_config_static_selectorELNS0_4arch9wavefront6targetE0EEEvSL_,"axG",@progbits,_ZN7rocprim17ROCPRIM_400000_NS6detail17trampoline_kernelINS0_14default_configENS1_36segmented_radix_sort_config_selectorI6__halflEEZNS1_25segmented_radix_sort_implIS3_Lb1EPKS5_PS5_PKlPlN2at6native12_GLOBAL__N_18offset_tEEE10hipError_tPvRmT1_PNSt15iterator_traitsISL_E10value_typeET2_T3_PNSM_ISR_E10value_typeET4_jRbjT5_SX_jjP12ihipStream_tbEUlT_E2_NS1_11comp_targetILNS1_3genE9ELNS1_11target_archE1100ELNS1_3gpuE3ELNS1_3repE0EEENS1_30default_config_static_selectorELNS0_4arch9wavefront6targetE0EEEvSL_,comdat
.Lfunc_end1776:
	.size	_ZN7rocprim17ROCPRIM_400000_NS6detail17trampoline_kernelINS0_14default_configENS1_36segmented_radix_sort_config_selectorI6__halflEEZNS1_25segmented_radix_sort_implIS3_Lb1EPKS5_PS5_PKlPlN2at6native12_GLOBAL__N_18offset_tEEE10hipError_tPvRmT1_PNSt15iterator_traitsISL_E10value_typeET2_T3_PNSM_ISR_E10value_typeET4_jRbjT5_SX_jjP12ihipStream_tbEUlT_E2_NS1_11comp_targetILNS1_3genE9ELNS1_11target_archE1100ELNS1_3gpuE3ELNS1_3repE0EEENS1_30default_config_static_selectorELNS0_4arch9wavefront6targetE0EEEvSL_, .Lfunc_end1776-_ZN7rocprim17ROCPRIM_400000_NS6detail17trampoline_kernelINS0_14default_configENS1_36segmented_radix_sort_config_selectorI6__halflEEZNS1_25segmented_radix_sort_implIS3_Lb1EPKS5_PS5_PKlPlN2at6native12_GLOBAL__N_18offset_tEEE10hipError_tPvRmT1_PNSt15iterator_traitsISL_E10value_typeET2_T3_PNSM_ISR_E10value_typeET4_jRbjT5_SX_jjP12ihipStream_tbEUlT_E2_NS1_11comp_targetILNS1_3genE9ELNS1_11target_archE1100ELNS1_3gpuE3ELNS1_3repE0EEENS1_30default_config_static_selectorELNS0_4arch9wavefront6targetE0EEEvSL_
                                        ; -- End function
	.set _ZN7rocprim17ROCPRIM_400000_NS6detail17trampoline_kernelINS0_14default_configENS1_36segmented_radix_sort_config_selectorI6__halflEEZNS1_25segmented_radix_sort_implIS3_Lb1EPKS5_PS5_PKlPlN2at6native12_GLOBAL__N_18offset_tEEE10hipError_tPvRmT1_PNSt15iterator_traitsISL_E10value_typeET2_T3_PNSM_ISR_E10value_typeET4_jRbjT5_SX_jjP12ihipStream_tbEUlT_E2_NS1_11comp_targetILNS1_3genE9ELNS1_11target_archE1100ELNS1_3gpuE3ELNS1_3repE0EEENS1_30default_config_static_selectorELNS0_4arch9wavefront6targetE0EEEvSL_.num_vgpr, 0
	.set _ZN7rocprim17ROCPRIM_400000_NS6detail17trampoline_kernelINS0_14default_configENS1_36segmented_radix_sort_config_selectorI6__halflEEZNS1_25segmented_radix_sort_implIS3_Lb1EPKS5_PS5_PKlPlN2at6native12_GLOBAL__N_18offset_tEEE10hipError_tPvRmT1_PNSt15iterator_traitsISL_E10value_typeET2_T3_PNSM_ISR_E10value_typeET4_jRbjT5_SX_jjP12ihipStream_tbEUlT_E2_NS1_11comp_targetILNS1_3genE9ELNS1_11target_archE1100ELNS1_3gpuE3ELNS1_3repE0EEENS1_30default_config_static_selectorELNS0_4arch9wavefront6targetE0EEEvSL_.num_agpr, 0
	.set _ZN7rocprim17ROCPRIM_400000_NS6detail17trampoline_kernelINS0_14default_configENS1_36segmented_radix_sort_config_selectorI6__halflEEZNS1_25segmented_radix_sort_implIS3_Lb1EPKS5_PS5_PKlPlN2at6native12_GLOBAL__N_18offset_tEEE10hipError_tPvRmT1_PNSt15iterator_traitsISL_E10value_typeET2_T3_PNSM_ISR_E10value_typeET4_jRbjT5_SX_jjP12ihipStream_tbEUlT_E2_NS1_11comp_targetILNS1_3genE9ELNS1_11target_archE1100ELNS1_3gpuE3ELNS1_3repE0EEENS1_30default_config_static_selectorELNS0_4arch9wavefront6targetE0EEEvSL_.numbered_sgpr, 0
	.set _ZN7rocprim17ROCPRIM_400000_NS6detail17trampoline_kernelINS0_14default_configENS1_36segmented_radix_sort_config_selectorI6__halflEEZNS1_25segmented_radix_sort_implIS3_Lb1EPKS5_PS5_PKlPlN2at6native12_GLOBAL__N_18offset_tEEE10hipError_tPvRmT1_PNSt15iterator_traitsISL_E10value_typeET2_T3_PNSM_ISR_E10value_typeET4_jRbjT5_SX_jjP12ihipStream_tbEUlT_E2_NS1_11comp_targetILNS1_3genE9ELNS1_11target_archE1100ELNS1_3gpuE3ELNS1_3repE0EEENS1_30default_config_static_selectorELNS0_4arch9wavefront6targetE0EEEvSL_.num_named_barrier, 0
	.set _ZN7rocprim17ROCPRIM_400000_NS6detail17trampoline_kernelINS0_14default_configENS1_36segmented_radix_sort_config_selectorI6__halflEEZNS1_25segmented_radix_sort_implIS3_Lb1EPKS5_PS5_PKlPlN2at6native12_GLOBAL__N_18offset_tEEE10hipError_tPvRmT1_PNSt15iterator_traitsISL_E10value_typeET2_T3_PNSM_ISR_E10value_typeET4_jRbjT5_SX_jjP12ihipStream_tbEUlT_E2_NS1_11comp_targetILNS1_3genE9ELNS1_11target_archE1100ELNS1_3gpuE3ELNS1_3repE0EEENS1_30default_config_static_selectorELNS0_4arch9wavefront6targetE0EEEvSL_.private_seg_size, 0
	.set _ZN7rocprim17ROCPRIM_400000_NS6detail17trampoline_kernelINS0_14default_configENS1_36segmented_radix_sort_config_selectorI6__halflEEZNS1_25segmented_radix_sort_implIS3_Lb1EPKS5_PS5_PKlPlN2at6native12_GLOBAL__N_18offset_tEEE10hipError_tPvRmT1_PNSt15iterator_traitsISL_E10value_typeET2_T3_PNSM_ISR_E10value_typeET4_jRbjT5_SX_jjP12ihipStream_tbEUlT_E2_NS1_11comp_targetILNS1_3genE9ELNS1_11target_archE1100ELNS1_3gpuE3ELNS1_3repE0EEENS1_30default_config_static_selectorELNS0_4arch9wavefront6targetE0EEEvSL_.uses_vcc, 0
	.set _ZN7rocprim17ROCPRIM_400000_NS6detail17trampoline_kernelINS0_14default_configENS1_36segmented_radix_sort_config_selectorI6__halflEEZNS1_25segmented_radix_sort_implIS3_Lb1EPKS5_PS5_PKlPlN2at6native12_GLOBAL__N_18offset_tEEE10hipError_tPvRmT1_PNSt15iterator_traitsISL_E10value_typeET2_T3_PNSM_ISR_E10value_typeET4_jRbjT5_SX_jjP12ihipStream_tbEUlT_E2_NS1_11comp_targetILNS1_3genE9ELNS1_11target_archE1100ELNS1_3gpuE3ELNS1_3repE0EEENS1_30default_config_static_selectorELNS0_4arch9wavefront6targetE0EEEvSL_.uses_flat_scratch, 0
	.set _ZN7rocprim17ROCPRIM_400000_NS6detail17trampoline_kernelINS0_14default_configENS1_36segmented_radix_sort_config_selectorI6__halflEEZNS1_25segmented_radix_sort_implIS3_Lb1EPKS5_PS5_PKlPlN2at6native12_GLOBAL__N_18offset_tEEE10hipError_tPvRmT1_PNSt15iterator_traitsISL_E10value_typeET2_T3_PNSM_ISR_E10value_typeET4_jRbjT5_SX_jjP12ihipStream_tbEUlT_E2_NS1_11comp_targetILNS1_3genE9ELNS1_11target_archE1100ELNS1_3gpuE3ELNS1_3repE0EEENS1_30default_config_static_selectorELNS0_4arch9wavefront6targetE0EEEvSL_.has_dyn_sized_stack, 0
	.set _ZN7rocprim17ROCPRIM_400000_NS6detail17trampoline_kernelINS0_14default_configENS1_36segmented_radix_sort_config_selectorI6__halflEEZNS1_25segmented_radix_sort_implIS3_Lb1EPKS5_PS5_PKlPlN2at6native12_GLOBAL__N_18offset_tEEE10hipError_tPvRmT1_PNSt15iterator_traitsISL_E10value_typeET2_T3_PNSM_ISR_E10value_typeET4_jRbjT5_SX_jjP12ihipStream_tbEUlT_E2_NS1_11comp_targetILNS1_3genE9ELNS1_11target_archE1100ELNS1_3gpuE3ELNS1_3repE0EEENS1_30default_config_static_selectorELNS0_4arch9wavefront6targetE0EEEvSL_.has_recursion, 0
	.set _ZN7rocprim17ROCPRIM_400000_NS6detail17trampoline_kernelINS0_14default_configENS1_36segmented_radix_sort_config_selectorI6__halflEEZNS1_25segmented_radix_sort_implIS3_Lb1EPKS5_PS5_PKlPlN2at6native12_GLOBAL__N_18offset_tEEE10hipError_tPvRmT1_PNSt15iterator_traitsISL_E10value_typeET2_T3_PNSM_ISR_E10value_typeET4_jRbjT5_SX_jjP12ihipStream_tbEUlT_E2_NS1_11comp_targetILNS1_3genE9ELNS1_11target_archE1100ELNS1_3gpuE3ELNS1_3repE0EEENS1_30default_config_static_selectorELNS0_4arch9wavefront6targetE0EEEvSL_.has_indirect_call, 0
	.section	.AMDGPU.csdata,"",@progbits
; Kernel info:
; codeLenInByte = 0
; TotalNumSgprs: 0
; NumVgprs: 0
; ScratchSize: 0
; MemoryBound: 0
; FloatMode: 240
; IeeeMode: 1
; LDSByteSize: 0 bytes/workgroup (compile time only)
; SGPRBlocks: 0
; VGPRBlocks: 0
; NumSGPRsForWavesPerEU: 1
; NumVGPRsForWavesPerEU: 1
; Occupancy: 16
; WaveLimiterHint : 0
; COMPUTE_PGM_RSRC2:SCRATCH_EN: 0
; COMPUTE_PGM_RSRC2:USER_SGPR: 2
; COMPUTE_PGM_RSRC2:TRAP_HANDLER: 0
; COMPUTE_PGM_RSRC2:TGID_X_EN: 1
; COMPUTE_PGM_RSRC2:TGID_Y_EN: 0
; COMPUTE_PGM_RSRC2:TGID_Z_EN: 0
; COMPUTE_PGM_RSRC2:TIDIG_COMP_CNT: 0
	.section	.text._ZN7rocprim17ROCPRIM_400000_NS6detail17trampoline_kernelINS0_14default_configENS1_36segmented_radix_sort_config_selectorI6__halflEEZNS1_25segmented_radix_sort_implIS3_Lb1EPKS5_PS5_PKlPlN2at6native12_GLOBAL__N_18offset_tEEE10hipError_tPvRmT1_PNSt15iterator_traitsISL_E10value_typeET2_T3_PNSM_ISR_E10value_typeET4_jRbjT5_SX_jjP12ihipStream_tbEUlT_E2_NS1_11comp_targetILNS1_3genE8ELNS1_11target_archE1030ELNS1_3gpuE2ELNS1_3repE0EEENS1_30default_config_static_selectorELNS0_4arch9wavefront6targetE0EEEvSL_,"axG",@progbits,_ZN7rocprim17ROCPRIM_400000_NS6detail17trampoline_kernelINS0_14default_configENS1_36segmented_radix_sort_config_selectorI6__halflEEZNS1_25segmented_radix_sort_implIS3_Lb1EPKS5_PS5_PKlPlN2at6native12_GLOBAL__N_18offset_tEEE10hipError_tPvRmT1_PNSt15iterator_traitsISL_E10value_typeET2_T3_PNSM_ISR_E10value_typeET4_jRbjT5_SX_jjP12ihipStream_tbEUlT_E2_NS1_11comp_targetILNS1_3genE8ELNS1_11target_archE1030ELNS1_3gpuE2ELNS1_3repE0EEENS1_30default_config_static_selectorELNS0_4arch9wavefront6targetE0EEEvSL_,comdat
	.globl	_ZN7rocprim17ROCPRIM_400000_NS6detail17trampoline_kernelINS0_14default_configENS1_36segmented_radix_sort_config_selectorI6__halflEEZNS1_25segmented_radix_sort_implIS3_Lb1EPKS5_PS5_PKlPlN2at6native12_GLOBAL__N_18offset_tEEE10hipError_tPvRmT1_PNSt15iterator_traitsISL_E10value_typeET2_T3_PNSM_ISR_E10value_typeET4_jRbjT5_SX_jjP12ihipStream_tbEUlT_E2_NS1_11comp_targetILNS1_3genE8ELNS1_11target_archE1030ELNS1_3gpuE2ELNS1_3repE0EEENS1_30default_config_static_selectorELNS0_4arch9wavefront6targetE0EEEvSL_ ; -- Begin function _ZN7rocprim17ROCPRIM_400000_NS6detail17trampoline_kernelINS0_14default_configENS1_36segmented_radix_sort_config_selectorI6__halflEEZNS1_25segmented_radix_sort_implIS3_Lb1EPKS5_PS5_PKlPlN2at6native12_GLOBAL__N_18offset_tEEE10hipError_tPvRmT1_PNSt15iterator_traitsISL_E10value_typeET2_T3_PNSM_ISR_E10value_typeET4_jRbjT5_SX_jjP12ihipStream_tbEUlT_E2_NS1_11comp_targetILNS1_3genE8ELNS1_11target_archE1030ELNS1_3gpuE2ELNS1_3repE0EEENS1_30default_config_static_selectorELNS0_4arch9wavefront6targetE0EEEvSL_
	.p2align	8
	.type	_ZN7rocprim17ROCPRIM_400000_NS6detail17trampoline_kernelINS0_14default_configENS1_36segmented_radix_sort_config_selectorI6__halflEEZNS1_25segmented_radix_sort_implIS3_Lb1EPKS5_PS5_PKlPlN2at6native12_GLOBAL__N_18offset_tEEE10hipError_tPvRmT1_PNSt15iterator_traitsISL_E10value_typeET2_T3_PNSM_ISR_E10value_typeET4_jRbjT5_SX_jjP12ihipStream_tbEUlT_E2_NS1_11comp_targetILNS1_3genE8ELNS1_11target_archE1030ELNS1_3gpuE2ELNS1_3repE0EEENS1_30default_config_static_selectorELNS0_4arch9wavefront6targetE0EEEvSL_,@function
_ZN7rocprim17ROCPRIM_400000_NS6detail17trampoline_kernelINS0_14default_configENS1_36segmented_radix_sort_config_selectorI6__halflEEZNS1_25segmented_radix_sort_implIS3_Lb1EPKS5_PS5_PKlPlN2at6native12_GLOBAL__N_18offset_tEEE10hipError_tPvRmT1_PNSt15iterator_traitsISL_E10value_typeET2_T3_PNSM_ISR_E10value_typeET4_jRbjT5_SX_jjP12ihipStream_tbEUlT_E2_NS1_11comp_targetILNS1_3genE8ELNS1_11target_archE1030ELNS1_3gpuE2ELNS1_3repE0EEENS1_30default_config_static_selectorELNS0_4arch9wavefront6targetE0EEEvSL_: ; @_ZN7rocprim17ROCPRIM_400000_NS6detail17trampoline_kernelINS0_14default_configENS1_36segmented_radix_sort_config_selectorI6__halflEEZNS1_25segmented_radix_sort_implIS3_Lb1EPKS5_PS5_PKlPlN2at6native12_GLOBAL__N_18offset_tEEE10hipError_tPvRmT1_PNSt15iterator_traitsISL_E10value_typeET2_T3_PNSM_ISR_E10value_typeET4_jRbjT5_SX_jjP12ihipStream_tbEUlT_E2_NS1_11comp_targetILNS1_3genE8ELNS1_11target_archE1030ELNS1_3gpuE2ELNS1_3repE0EEENS1_30default_config_static_selectorELNS0_4arch9wavefront6targetE0EEEvSL_
; %bb.0:
	.section	.rodata,"a",@progbits
	.p2align	6, 0x0
	.amdhsa_kernel _ZN7rocprim17ROCPRIM_400000_NS6detail17trampoline_kernelINS0_14default_configENS1_36segmented_radix_sort_config_selectorI6__halflEEZNS1_25segmented_radix_sort_implIS3_Lb1EPKS5_PS5_PKlPlN2at6native12_GLOBAL__N_18offset_tEEE10hipError_tPvRmT1_PNSt15iterator_traitsISL_E10value_typeET2_T3_PNSM_ISR_E10value_typeET4_jRbjT5_SX_jjP12ihipStream_tbEUlT_E2_NS1_11comp_targetILNS1_3genE8ELNS1_11target_archE1030ELNS1_3gpuE2ELNS1_3repE0EEENS1_30default_config_static_selectorELNS0_4arch9wavefront6targetE0EEEvSL_
		.amdhsa_group_segment_fixed_size 0
		.amdhsa_private_segment_fixed_size 0
		.amdhsa_kernarg_size 80
		.amdhsa_user_sgpr_count 2
		.amdhsa_user_sgpr_dispatch_ptr 0
		.amdhsa_user_sgpr_queue_ptr 0
		.amdhsa_user_sgpr_kernarg_segment_ptr 1
		.amdhsa_user_sgpr_dispatch_id 0
		.amdhsa_user_sgpr_private_segment_size 0
		.amdhsa_wavefront_size32 1
		.amdhsa_uses_dynamic_stack 0
		.amdhsa_enable_private_segment 0
		.amdhsa_system_sgpr_workgroup_id_x 1
		.amdhsa_system_sgpr_workgroup_id_y 0
		.amdhsa_system_sgpr_workgroup_id_z 0
		.amdhsa_system_sgpr_workgroup_info 0
		.amdhsa_system_vgpr_workitem_id 0
		.amdhsa_next_free_vgpr 1
		.amdhsa_next_free_sgpr 1
		.amdhsa_reserve_vcc 0
		.amdhsa_float_round_mode_32 0
		.amdhsa_float_round_mode_16_64 0
		.amdhsa_float_denorm_mode_32 3
		.amdhsa_float_denorm_mode_16_64 3
		.amdhsa_fp16_overflow 0
		.amdhsa_workgroup_processor_mode 1
		.amdhsa_memory_ordered 1
		.amdhsa_forward_progress 1
		.amdhsa_inst_pref_size 0
		.amdhsa_round_robin_scheduling 0
		.amdhsa_exception_fp_ieee_invalid_op 0
		.amdhsa_exception_fp_denorm_src 0
		.amdhsa_exception_fp_ieee_div_zero 0
		.amdhsa_exception_fp_ieee_overflow 0
		.amdhsa_exception_fp_ieee_underflow 0
		.amdhsa_exception_fp_ieee_inexact 0
		.amdhsa_exception_int_div_zero 0
	.end_amdhsa_kernel
	.section	.text._ZN7rocprim17ROCPRIM_400000_NS6detail17trampoline_kernelINS0_14default_configENS1_36segmented_radix_sort_config_selectorI6__halflEEZNS1_25segmented_radix_sort_implIS3_Lb1EPKS5_PS5_PKlPlN2at6native12_GLOBAL__N_18offset_tEEE10hipError_tPvRmT1_PNSt15iterator_traitsISL_E10value_typeET2_T3_PNSM_ISR_E10value_typeET4_jRbjT5_SX_jjP12ihipStream_tbEUlT_E2_NS1_11comp_targetILNS1_3genE8ELNS1_11target_archE1030ELNS1_3gpuE2ELNS1_3repE0EEENS1_30default_config_static_selectorELNS0_4arch9wavefront6targetE0EEEvSL_,"axG",@progbits,_ZN7rocprim17ROCPRIM_400000_NS6detail17trampoline_kernelINS0_14default_configENS1_36segmented_radix_sort_config_selectorI6__halflEEZNS1_25segmented_radix_sort_implIS3_Lb1EPKS5_PS5_PKlPlN2at6native12_GLOBAL__N_18offset_tEEE10hipError_tPvRmT1_PNSt15iterator_traitsISL_E10value_typeET2_T3_PNSM_ISR_E10value_typeET4_jRbjT5_SX_jjP12ihipStream_tbEUlT_E2_NS1_11comp_targetILNS1_3genE8ELNS1_11target_archE1030ELNS1_3gpuE2ELNS1_3repE0EEENS1_30default_config_static_selectorELNS0_4arch9wavefront6targetE0EEEvSL_,comdat
.Lfunc_end1777:
	.size	_ZN7rocprim17ROCPRIM_400000_NS6detail17trampoline_kernelINS0_14default_configENS1_36segmented_radix_sort_config_selectorI6__halflEEZNS1_25segmented_radix_sort_implIS3_Lb1EPKS5_PS5_PKlPlN2at6native12_GLOBAL__N_18offset_tEEE10hipError_tPvRmT1_PNSt15iterator_traitsISL_E10value_typeET2_T3_PNSM_ISR_E10value_typeET4_jRbjT5_SX_jjP12ihipStream_tbEUlT_E2_NS1_11comp_targetILNS1_3genE8ELNS1_11target_archE1030ELNS1_3gpuE2ELNS1_3repE0EEENS1_30default_config_static_selectorELNS0_4arch9wavefront6targetE0EEEvSL_, .Lfunc_end1777-_ZN7rocprim17ROCPRIM_400000_NS6detail17trampoline_kernelINS0_14default_configENS1_36segmented_radix_sort_config_selectorI6__halflEEZNS1_25segmented_radix_sort_implIS3_Lb1EPKS5_PS5_PKlPlN2at6native12_GLOBAL__N_18offset_tEEE10hipError_tPvRmT1_PNSt15iterator_traitsISL_E10value_typeET2_T3_PNSM_ISR_E10value_typeET4_jRbjT5_SX_jjP12ihipStream_tbEUlT_E2_NS1_11comp_targetILNS1_3genE8ELNS1_11target_archE1030ELNS1_3gpuE2ELNS1_3repE0EEENS1_30default_config_static_selectorELNS0_4arch9wavefront6targetE0EEEvSL_
                                        ; -- End function
	.set _ZN7rocprim17ROCPRIM_400000_NS6detail17trampoline_kernelINS0_14default_configENS1_36segmented_radix_sort_config_selectorI6__halflEEZNS1_25segmented_radix_sort_implIS3_Lb1EPKS5_PS5_PKlPlN2at6native12_GLOBAL__N_18offset_tEEE10hipError_tPvRmT1_PNSt15iterator_traitsISL_E10value_typeET2_T3_PNSM_ISR_E10value_typeET4_jRbjT5_SX_jjP12ihipStream_tbEUlT_E2_NS1_11comp_targetILNS1_3genE8ELNS1_11target_archE1030ELNS1_3gpuE2ELNS1_3repE0EEENS1_30default_config_static_selectorELNS0_4arch9wavefront6targetE0EEEvSL_.num_vgpr, 0
	.set _ZN7rocprim17ROCPRIM_400000_NS6detail17trampoline_kernelINS0_14default_configENS1_36segmented_radix_sort_config_selectorI6__halflEEZNS1_25segmented_radix_sort_implIS3_Lb1EPKS5_PS5_PKlPlN2at6native12_GLOBAL__N_18offset_tEEE10hipError_tPvRmT1_PNSt15iterator_traitsISL_E10value_typeET2_T3_PNSM_ISR_E10value_typeET4_jRbjT5_SX_jjP12ihipStream_tbEUlT_E2_NS1_11comp_targetILNS1_3genE8ELNS1_11target_archE1030ELNS1_3gpuE2ELNS1_3repE0EEENS1_30default_config_static_selectorELNS0_4arch9wavefront6targetE0EEEvSL_.num_agpr, 0
	.set _ZN7rocprim17ROCPRIM_400000_NS6detail17trampoline_kernelINS0_14default_configENS1_36segmented_radix_sort_config_selectorI6__halflEEZNS1_25segmented_radix_sort_implIS3_Lb1EPKS5_PS5_PKlPlN2at6native12_GLOBAL__N_18offset_tEEE10hipError_tPvRmT1_PNSt15iterator_traitsISL_E10value_typeET2_T3_PNSM_ISR_E10value_typeET4_jRbjT5_SX_jjP12ihipStream_tbEUlT_E2_NS1_11comp_targetILNS1_3genE8ELNS1_11target_archE1030ELNS1_3gpuE2ELNS1_3repE0EEENS1_30default_config_static_selectorELNS0_4arch9wavefront6targetE0EEEvSL_.numbered_sgpr, 0
	.set _ZN7rocprim17ROCPRIM_400000_NS6detail17trampoline_kernelINS0_14default_configENS1_36segmented_radix_sort_config_selectorI6__halflEEZNS1_25segmented_radix_sort_implIS3_Lb1EPKS5_PS5_PKlPlN2at6native12_GLOBAL__N_18offset_tEEE10hipError_tPvRmT1_PNSt15iterator_traitsISL_E10value_typeET2_T3_PNSM_ISR_E10value_typeET4_jRbjT5_SX_jjP12ihipStream_tbEUlT_E2_NS1_11comp_targetILNS1_3genE8ELNS1_11target_archE1030ELNS1_3gpuE2ELNS1_3repE0EEENS1_30default_config_static_selectorELNS0_4arch9wavefront6targetE0EEEvSL_.num_named_barrier, 0
	.set _ZN7rocprim17ROCPRIM_400000_NS6detail17trampoline_kernelINS0_14default_configENS1_36segmented_radix_sort_config_selectorI6__halflEEZNS1_25segmented_radix_sort_implIS3_Lb1EPKS5_PS5_PKlPlN2at6native12_GLOBAL__N_18offset_tEEE10hipError_tPvRmT1_PNSt15iterator_traitsISL_E10value_typeET2_T3_PNSM_ISR_E10value_typeET4_jRbjT5_SX_jjP12ihipStream_tbEUlT_E2_NS1_11comp_targetILNS1_3genE8ELNS1_11target_archE1030ELNS1_3gpuE2ELNS1_3repE0EEENS1_30default_config_static_selectorELNS0_4arch9wavefront6targetE0EEEvSL_.private_seg_size, 0
	.set _ZN7rocprim17ROCPRIM_400000_NS6detail17trampoline_kernelINS0_14default_configENS1_36segmented_radix_sort_config_selectorI6__halflEEZNS1_25segmented_radix_sort_implIS3_Lb1EPKS5_PS5_PKlPlN2at6native12_GLOBAL__N_18offset_tEEE10hipError_tPvRmT1_PNSt15iterator_traitsISL_E10value_typeET2_T3_PNSM_ISR_E10value_typeET4_jRbjT5_SX_jjP12ihipStream_tbEUlT_E2_NS1_11comp_targetILNS1_3genE8ELNS1_11target_archE1030ELNS1_3gpuE2ELNS1_3repE0EEENS1_30default_config_static_selectorELNS0_4arch9wavefront6targetE0EEEvSL_.uses_vcc, 0
	.set _ZN7rocprim17ROCPRIM_400000_NS6detail17trampoline_kernelINS0_14default_configENS1_36segmented_radix_sort_config_selectorI6__halflEEZNS1_25segmented_radix_sort_implIS3_Lb1EPKS5_PS5_PKlPlN2at6native12_GLOBAL__N_18offset_tEEE10hipError_tPvRmT1_PNSt15iterator_traitsISL_E10value_typeET2_T3_PNSM_ISR_E10value_typeET4_jRbjT5_SX_jjP12ihipStream_tbEUlT_E2_NS1_11comp_targetILNS1_3genE8ELNS1_11target_archE1030ELNS1_3gpuE2ELNS1_3repE0EEENS1_30default_config_static_selectorELNS0_4arch9wavefront6targetE0EEEvSL_.uses_flat_scratch, 0
	.set _ZN7rocprim17ROCPRIM_400000_NS6detail17trampoline_kernelINS0_14default_configENS1_36segmented_radix_sort_config_selectorI6__halflEEZNS1_25segmented_radix_sort_implIS3_Lb1EPKS5_PS5_PKlPlN2at6native12_GLOBAL__N_18offset_tEEE10hipError_tPvRmT1_PNSt15iterator_traitsISL_E10value_typeET2_T3_PNSM_ISR_E10value_typeET4_jRbjT5_SX_jjP12ihipStream_tbEUlT_E2_NS1_11comp_targetILNS1_3genE8ELNS1_11target_archE1030ELNS1_3gpuE2ELNS1_3repE0EEENS1_30default_config_static_selectorELNS0_4arch9wavefront6targetE0EEEvSL_.has_dyn_sized_stack, 0
	.set _ZN7rocprim17ROCPRIM_400000_NS6detail17trampoline_kernelINS0_14default_configENS1_36segmented_radix_sort_config_selectorI6__halflEEZNS1_25segmented_radix_sort_implIS3_Lb1EPKS5_PS5_PKlPlN2at6native12_GLOBAL__N_18offset_tEEE10hipError_tPvRmT1_PNSt15iterator_traitsISL_E10value_typeET2_T3_PNSM_ISR_E10value_typeET4_jRbjT5_SX_jjP12ihipStream_tbEUlT_E2_NS1_11comp_targetILNS1_3genE8ELNS1_11target_archE1030ELNS1_3gpuE2ELNS1_3repE0EEENS1_30default_config_static_selectorELNS0_4arch9wavefront6targetE0EEEvSL_.has_recursion, 0
	.set _ZN7rocprim17ROCPRIM_400000_NS6detail17trampoline_kernelINS0_14default_configENS1_36segmented_radix_sort_config_selectorI6__halflEEZNS1_25segmented_radix_sort_implIS3_Lb1EPKS5_PS5_PKlPlN2at6native12_GLOBAL__N_18offset_tEEE10hipError_tPvRmT1_PNSt15iterator_traitsISL_E10value_typeET2_T3_PNSM_ISR_E10value_typeET4_jRbjT5_SX_jjP12ihipStream_tbEUlT_E2_NS1_11comp_targetILNS1_3genE8ELNS1_11target_archE1030ELNS1_3gpuE2ELNS1_3repE0EEENS1_30default_config_static_selectorELNS0_4arch9wavefront6targetE0EEEvSL_.has_indirect_call, 0
	.section	.AMDGPU.csdata,"",@progbits
; Kernel info:
; codeLenInByte = 0
; TotalNumSgprs: 0
; NumVgprs: 0
; ScratchSize: 0
; MemoryBound: 0
; FloatMode: 240
; IeeeMode: 1
; LDSByteSize: 0 bytes/workgroup (compile time only)
; SGPRBlocks: 0
; VGPRBlocks: 0
; NumSGPRsForWavesPerEU: 1
; NumVGPRsForWavesPerEU: 1
; Occupancy: 16
; WaveLimiterHint : 0
; COMPUTE_PGM_RSRC2:SCRATCH_EN: 0
; COMPUTE_PGM_RSRC2:USER_SGPR: 2
; COMPUTE_PGM_RSRC2:TRAP_HANDLER: 0
; COMPUTE_PGM_RSRC2:TGID_X_EN: 1
; COMPUTE_PGM_RSRC2:TGID_Y_EN: 0
; COMPUTE_PGM_RSRC2:TGID_Z_EN: 0
; COMPUTE_PGM_RSRC2:TIDIG_COMP_CNT: 0
	.section	.text._ZN7rocprim17ROCPRIM_400000_NS6detail17trampoline_kernelINS0_13select_configILj256ELj13ELNS0_17block_load_methodE3ELS4_3ELS4_3ELNS0_20block_scan_algorithmE0ELj4294967295EEENS1_25partition_config_selectorILNS1_17partition_subalgoE4EjNS0_10empty_typeEbEEZZNS1_14partition_implILS8_4ELb0ES6_15HIP_vector_typeIjLj2EENS0_17counting_iteratorIjlEEPS9_SG_NS0_5tupleIJPjSI_NS0_16reverse_iteratorISI_EEEEENSH_IJSG_SG_SG_EEES9_SI_JZNS1_25segmented_radix_sort_implINS0_14default_configELb0EPK6__halfPSP_PKlPlN2at6native12_GLOBAL__N_18offset_tEEE10hipError_tPvRmT1_PNSt15iterator_traitsIS13_E10value_typeET2_T3_PNS14_IS19_E10value_typeET4_jRbjT5_S1F_jjP12ihipStream_tbEUljE_ZNSN_ISO_Lb0ESR_SS_SU_SV_SZ_EES10_S11_S12_S13_S17_S18_S19_S1C_S1D_jS1E_jS1F_S1F_jjS1H_bEUljE0_EEES10_S11_S12_S19_S1D_S1F_T6_T7_T9_mT8_S1H_bDpT10_ENKUlT_T0_E_clISt17integral_constantIbLb0EES1V_EEDaS1Q_S1R_EUlS1Q_E_NS1_11comp_targetILNS1_3genE0ELNS1_11target_archE4294967295ELNS1_3gpuE0ELNS1_3repE0EEENS1_30default_config_static_selectorELNS0_4arch9wavefront6targetE0EEEvS13_,"axG",@progbits,_ZN7rocprim17ROCPRIM_400000_NS6detail17trampoline_kernelINS0_13select_configILj256ELj13ELNS0_17block_load_methodE3ELS4_3ELS4_3ELNS0_20block_scan_algorithmE0ELj4294967295EEENS1_25partition_config_selectorILNS1_17partition_subalgoE4EjNS0_10empty_typeEbEEZZNS1_14partition_implILS8_4ELb0ES6_15HIP_vector_typeIjLj2EENS0_17counting_iteratorIjlEEPS9_SG_NS0_5tupleIJPjSI_NS0_16reverse_iteratorISI_EEEEENSH_IJSG_SG_SG_EEES9_SI_JZNS1_25segmented_radix_sort_implINS0_14default_configELb0EPK6__halfPSP_PKlPlN2at6native12_GLOBAL__N_18offset_tEEE10hipError_tPvRmT1_PNSt15iterator_traitsIS13_E10value_typeET2_T3_PNS14_IS19_E10value_typeET4_jRbjT5_S1F_jjP12ihipStream_tbEUljE_ZNSN_ISO_Lb0ESR_SS_SU_SV_SZ_EES10_S11_S12_S13_S17_S18_S19_S1C_S1D_jS1E_jS1F_S1F_jjS1H_bEUljE0_EEES10_S11_S12_S19_S1D_S1F_T6_T7_T9_mT8_S1H_bDpT10_ENKUlT_T0_E_clISt17integral_constantIbLb0EES1V_EEDaS1Q_S1R_EUlS1Q_E_NS1_11comp_targetILNS1_3genE0ELNS1_11target_archE4294967295ELNS1_3gpuE0ELNS1_3repE0EEENS1_30default_config_static_selectorELNS0_4arch9wavefront6targetE0EEEvS13_,comdat
	.globl	_ZN7rocprim17ROCPRIM_400000_NS6detail17trampoline_kernelINS0_13select_configILj256ELj13ELNS0_17block_load_methodE3ELS4_3ELS4_3ELNS0_20block_scan_algorithmE0ELj4294967295EEENS1_25partition_config_selectorILNS1_17partition_subalgoE4EjNS0_10empty_typeEbEEZZNS1_14partition_implILS8_4ELb0ES6_15HIP_vector_typeIjLj2EENS0_17counting_iteratorIjlEEPS9_SG_NS0_5tupleIJPjSI_NS0_16reverse_iteratorISI_EEEEENSH_IJSG_SG_SG_EEES9_SI_JZNS1_25segmented_radix_sort_implINS0_14default_configELb0EPK6__halfPSP_PKlPlN2at6native12_GLOBAL__N_18offset_tEEE10hipError_tPvRmT1_PNSt15iterator_traitsIS13_E10value_typeET2_T3_PNS14_IS19_E10value_typeET4_jRbjT5_S1F_jjP12ihipStream_tbEUljE_ZNSN_ISO_Lb0ESR_SS_SU_SV_SZ_EES10_S11_S12_S13_S17_S18_S19_S1C_S1D_jS1E_jS1F_S1F_jjS1H_bEUljE0_EEES10_S11_S12_S19_S1D_S1F_T6_T7_T9_mT8_S1H_bDpT10_ENKUlT_T0_E_clISt17integral_constantIbLb0EES1V_EEDaS1Q_S1R_EUlS1Q_E_NS1_11comp_targetILNS1_3genE0ELNS1_11target_archE4294967295ELNS1_3gpuE0ELNS1_3repE0EEENS1_30default_config_static_selectorELNS0_4arch9wavefront6targetE0EEEvS13_ ; -- Begin function _ZN7rocprim17ROCPRIM_400000_NS6detail17trampoline_kernelINS0_13select_configILj256ELj13ELNS0_17block_load_methodE3ELS4_3ELS4_3ELNS0_20block_scan_algorithmE0ELj4294967295EEENS1_25partition_config_selectorILNS1_17partition_subalgoE4EjNS0_10empty_typeEbEEZZNS1_14partition_implILS8_4ELb0ES6_15HIP_vector_typeIjLj2EENS0_17counting_iteratorIjlEEPS9_SG_NS0_5tupleIJPjSI_NS0_16reverse_iteratorISI_EEEEENSH_IJSG_SG_SG_EEES9_SI_JZNS1_25segmented_radix_sort_implINS0_14default_configELb0EPK6__halfPSP_PKlPlN2at6native12_GLOBAL__N_18offset_tEEE10hipError_tPvRmT1_PNSt15iterator_traitsIS13_E10value_typeET2_T3_PNS14_IS19_E10value_typeET4_jRbjT5_S1F_jjP12ihipStream_tbEUljE_ZNSN_ISO_Lb0ESR_SS_SU_SV_SZ_EES10_S11_S12_S13_S17_S18_S19_S1C_S1D_jS1E_jS1F_S1F_jjS1H_bEUljE0_EEES10_S11_S12_S19_S1D_S1F_T6_T7_T9_mT8_S1H_bDpT10_ENKUlT_T0_E_clISt17integral_constantIbLb0EES1V_EEDaS1Q_S1R_EUlS1Q_E_NS1_11comp_targetILNS1_3genE0ELNS1_11target_archE4294967295ELNS1_3gpuE0ELNS1_3repE0EEENS1_30default_config_static_selectorELNS0_4arch9wavefront6targetE0EEEvS13_
	.p2align	8
	.type	_ZN7rocprim17ROCPRIM_400000_NS6detail17trampoline_kernelINS0_13select_configILj256ELj13ELNS0_17block_load_methodE3ELS4_3ELS4_3ELNS0_20block_scan_algorithmE0ELj4294967295EEENS1_25partition_config_selectorILNS1_17partition_subalgoE4EjNS0_10empty_typeEbEEZZNS1_14partition_implILS8_4ELb0ES6_15HIP_vector_typeIjLj2EENS0_17counting_iteratorIjlEEPS9_SG_NS0_5tupleIJPjSI_NS0_16reverse_iteratorISI_EEEEENSH_IJSG_SG_SG_EEES9_SI_JZNS1_25segmented_radix_sort_implINS0_14default_configELb0EPK6__halfPSP_PKlPlN2at6native12_GLOBAL__N_18offset_tEEE10hipError_tPvRmT1_PNSt15iterator_traitsIS13_E10value_typeET2_T3_PNS14_IS19_E10value_typeET4_jRbjT5_S1F_jjP12ihipStream_tbEUljE_ZNSN_ISO_Lb0ESR_SS_SU_SV_SZ_EES10_S11_S12_S13_S17_S18_S19_S1C_S1D_jS1E_jS1F_S1F_jjS1H_bEUljE0_EEES10_S11_S12_S19_S1D_S1F_T6_T7_T9_mT8_S1H_bDpT10_ENKUlT_T0_E_clISt17integral_constantIbLb0EES1V_EEDaS1Q_S1R_EUlS1Q_E_NS1_11comp_targetILNS1_3genE0ELNS1_11target_archE4294967295ELNS1_3gpuE0ELNS1_3repE0EEENS1_30default_config_static_selectorELNS0_4arch9wavefront6targetE0EEEvS13_,@function
_ZN7rocprim17ROCPRIM_400000_NS6detail17trampoline_kernelINS0_13select_configILj256ELj13ELNS0_17block_load_methodE3ELS4_3ELS4_3ELNS0_20block_scan_algorithmE0ELj4294967295EEENS1_25partition_config_selectorILNS1_17partition_subalgoE4EjNS0_10empty_typeEbEEZZNS1_14partition_implILS8_4ELb0ES6_15HIP_vector_typeIjLj2EENS0_17counting_iteratorIjlEEPS9_SG_NS0_5tupleIJPjSI_NS0_16reverse_iteratorISI_EEEEENSH_IJSG_SG_SG_EEES9_SI_JZNS1_25segmented_radix_sort_implINS0_14default_configELb0EPK6__halfPSP_PKlPlN2at6native12_GLOBAL__N_18offset_tEEE10hipError_tPvRmT1_PNSt15iterator_traitsIS13_E10value_typeET2_T3_PNS14_IS19_E10value_typeET4_jRbjT5_S1F_jjP12ihipStream_tbEUljE_ZNSN_ISO_Lb0ESR_SS_SU_SV_SZ_EES10_S11_S12_S13_S17_S18_S19_S1C_S1D_jS1E_jS1F_S1F_jjS1H_bEUljE0_EEES10_S11_S12_S19_S1D_S1F_T6_T7_T9_mT8_S1H_bDpT10_ENKUlT_T0_E_clISt17integral_constantIbLb0EES1V_EEDaS1Q_S1R_EUlS1Q_E_NS1_11comp_targetILNS1_3genE0ELNS1_11target_archE4294967295ELNS1_3gpuE0ELNS1_3repE0EEENS1_30default_config_static_selectorELNS0_4arch9wavefront6targetE0EEEvS13_: ; @_ZN7rocprim17ROCPRIM_400000_NS6detail17trampoline_kernelINS0_13select_configILj256ELj13ELNS0_17block_load_methodE3ELS4_3ELS4_3ELNS0_20block_scan_algorithmE0ELj4294967295EEENS1_25partition_config_selectorILNS1_17partition_subalgoE4EjNS0_10empty_typeEbEEZZNS1_14partition_implILS8_4ELb0ES6_15HIP_vector_typeIjLj2EENS0_17counting_iteratorIjlEEPS9_SG_NS0_5tupleIJPjSI_NS0_16reverse_iteratorISI_EEEEENSH_IJSG_SG_SG_EEES9_SI_JZNS1_25segmented_radix_sort_implINS0_14default_configELb0EPK6__halfPSP_PKlPlN2at6native12_GLOBAL__N_18offset_tEEE10hipError_tPvRmT1_PNSt15iterator_traitsIS13_E10value_typeET2_T3_PNS14_IS19_E10value_typeET4_jRbjT5_S1F_jjP12ihipStream_tbEUljE_ZNSN_ISO_Lb0ESR_SS_SU_SV_SZ_EES10_S11_S12_S13_S17_S18_S19_S1C_S1D_jS1E_jS1F_S1F_jjS1H_bEUljE0_EEES10_S11_S12_S19_S1D_S1F_T6_T7_T9_mT8_S1H_bDpT10_ENKUlT_T0_E_clISt17integral_constantIbLb0EES1V_EEDaS1Q_S1R_EUlS1Q_E_NS1_11comp_targetILNS1_3genE0ELNS1_11target_archE4294967295ELNS1_3gpuE0ELNS1_3repE0EEENS1_30default_config_static_selectorELNS0_4arch9wavefront6targetE0EEEvS13_
; %bb.0:
	.section	.rodata,"a",@progbits
	.p2align	6, 0x0
	.amdhsa_kernel _ZN7rocprim17ROCPRIM_400000_NS6detail17trampoline_kernelINS0_13select_configILj256ELj13ELNS0_17block_load_methodE3ELS4_3ELS4_3ELNS0_20block_scan_algorithmE0ELj4294967295EEENS1_25partition_config_selectorILNS1_17partition_subalgoE4EjNS0_10empty_typeEbEEZZNS1_14partition_implILS8_4ELb0ES6_15HIP_vector_typeIjLj2EENS0_17counting_iteratorIjlEEPS9_SG_NS0_5tupleIJPjSI_NS0_16reverse_iteratorISI_EEEEENSH_IJSG_SG_SG_EEES9_SI_JZNS1_25segmented_radix_sort_implINS0_14default_configELb0EPK6__halfPSP_PKlPlN2at6native12_GLOBAL__N_18offset_tEEE10hipError_tPvRmT1_PNSt15iterator_traitsIS13_E10value_typeET2_T3_PNS14_IS19_E10value_typeET4_jRbjT5_S1F_jjP12ihipStream_tbEUljE_ZNSN_ISO_Lb0ESR_SS_SU_SV_SZ_EES10_S11_S12_S13_S17_S18_S19_S1C_S1D_jS1E_jS1F_S1F_jjS1H_bEUljE0_EEES10_S11_S12_S19_S1D_S1F_T6_T7_T9_mT8_S1H_bDpT10_ENKUlT_T0_E_clISt17integral_constantIbLb0EES1V_EEDaS1Q_S1R_EUlS1Q_E_NS1_11comp_targetILNS1_3genE0ELNS1_11target_archE4294967295ELNS1_3gpuE0ELNS1_3repE0EEENS1_30default_config_static_selectorELNS0_4arch9wavefront6targetE0EEEvS13_
		.amdhsa_group_segment_fixed_size 0
		.amdhsa_private_segment_fixed_size 0
		.amdhsa_kernarg_size 176
		.amdhsa_user_sgpr_count 2
		.amdhsa_user_sgpr_dispatch_ptr 0
		.amdhsa_user_sgpr_queue_ptr 0
		.amdhsa_user_sgpr_kernarg_segment_ptr 1
		.amdhsa_user_sgpr_dispatch_id 0
		.amdhsa_user_sgpr_private_segment_size 0
		.amdhsa_wavefront_size32 1
		.amdhsa_uses_dynamic_stack 0
		.amdhsa_enable_private_segment 0
		.amdhsa_system_sgpr_workgroup_id_x 1
		.amdhsa_system_sgpr_workgroup_id_y 0
		.amdhsa_system_sgpr_workgroup_id_z 0
		.amdhsa_system_sgpr_workgroup_info 0
		.amdhsa_system_vgpr_workitem_id 0
		.amdhsa_next_free_vgpr 1
		.amdhsa_next_free_sgpr 1
		.amdhsa_reserve_vcc 0
		.amdhsa_float_round_mode_32 0
		.amdhsa_float_round_mode_16_64 0
		.amdhsa_float_denorm_mode_32 3
		.amdhsa_float_denorm_mode_16_64 3
		.amdhsa_fp16_overflow 0
		.amdhsa_workgroup_processor_mode 1
		.amdhsa_memory_ordered 1
		.amdhsa_forward_progress 1
		.amdhsa_inst_pref_size 0
		.amdhsa_round_robin_scheduling 0
		.amdhsa_exception_fp_ieee_invalid_op 0
		.amdhsa_exception_fp_denorm_src 0
		.amdhsa_exception_fp_ieee_div_zero 0
		.amdhsa_exception_fp_ieee_overflow 0
		.amdhsa_exception_fp_ieee_underflow 0
		.amdhsa_exception_fp_ieee_inexact 0
		.amdhsa_exception_int_div_zero 0
	.end_amdhsa_kernel
	.section	.text._ZN7rocprim17ROCPRIM_400000_NS6detail17trampoline_kernelINS0_13select_configILj256ELj13ELNS0_17block_load_methodE3ELS4_3ELS4_3ELNS0_20block_scan_algorithmE0ELj4294967295EEENS1_25partition_config_selectorILNS1_17partition_subalgoE4EjNS0_10empty_typeEbEEZZNS1_14partition_implILS8_4ELb0ES6_15HIP_vector_typeIjLj2EENS0_17counting_iteratorIjlEEPS9_SG_NS0_5tupleIJPjSI_NS0_16reverse_iteratorISI_EEEEENSH_IJSG_SG_SG_EEES9_SI_JZNS1_25segmented_radix_sort_implINS0_14default_configELb0EPK6__halfPSP_PKlPlN2at6native12_GLOBAL__N_18offset_tEEE10hipError_tPvRmT1_PNSt15iterator_traitsIS13_E10value_typeET2_T3_PNS14_IS19_E10value_typeET4_jRbjT5_S1F_jjP12ihipStream_tbEUljE_ZNSN_ISO_Lb0ESR_SS_SU_SV_SZ_EES10_S11_S12_S13_S17_S18_S19_S1C_S1D_jS1E_jS1F_S1F_jjS1H_bEUljE0_EEES10_S11_S12_S19_S1D_S1F_T6_T7_T9_mT8_S1H_bDpT10_ENKUlT_T0_E_clISt17integral_constantIbLb0EES1V_EEDaS1Q_S1R_EUlS1Q_E_NS1_11comp_targetILNS1_3genE0ELNS1_11target_archE4294967295ELNS1_3gpuE0ELNS1_3repE0EEENS1_30default_config_static_selectorELNS0_4arch9wavefront6targetE0EEEvS13_,"axG",@progbits,_ZN7rocprim17ROCPRIM_400000_NS6detail17trampoline_kernelINS0_13select_configILj256ELj13ELNS0_17block_load_methodE3ELS4_3ELS4_3ELNS0_20block_scan_algorithmE0ELj4294967295EEENS1_25partition_config_selectorILNS1_17partition_subalgoE4EjNS0_10empty_typeEbEEZZNS1_14partition_implILS8_4ELb0ES6_15HIP_vector_typeIjLj2EENS0_17counting_iteratorIjlEEPS9_SG_NS0_5tupleIJPjSI_NS0_16reverse_iteratorISI_EEEEENSH_IJSG_SG_SG_EEES9_SI_JZNS1_25segmented_radix_sort_implINS0_14default_configELb0EPK6__halfPSP_PKlPlN2at6native12_GLOBAL__N_18offset_tEEE10hipError_tPvRmT1_PNSt15iterator_traitsIS13_E10value_typeET2_T3_PNS14_IS19_E10value_typeET4_jRbjT5_S1F_jjP12ihipStream_tbEUljE_ZNSN_ISO_Lb0ESR_SS_SU_SV_SZ_EES10_S11_S12_S13_S17_S18_S19_S1C_S1D_jS1E_jS1F_S1F_jjS1H_bEUljE0_EEES10_S11_S12_S19_S1D_S1F_T6_T7_T9_mT8_S1H_bDpT10_ENKUlT_T0_E_clISt17integral_constantIbLb0EES1V_EEDaS1Q_S1R_EUlS1Q_E_NS1_11comp_targetILNS1_3genE0ELNS1_11target_archE4294967295ELNS1_3gpuE0ELNS1_3repE0EEENS1_30default_config_static_selectorELNS0_4arch9wavefront6targetE0EEEvS13_,comdat
.Lfunc_end1778:
	.size	_ZN7rocprim17ROCPRIM_400000_NS6detail17trampoline_kernelINS0_13select_configILj256ELj13ELNS0_17block_load_methodE3ELS4_3ELS4_3ELNS0_20block_scan_algorithmE0ELj4294967295EEENS1_25partition_config_selectorILNS1_17partition_subalgoE4EjNS0_10empty_typeEbEEZZNS1_14partition_implILS8_4ELb0ES6_15HIP_vector_typeIjLj2EENS0_17counting_iteratorIjlEEPS9_SG_NS0_5tupleIJPjSI_NS0_16reverse_iteratorISI_EEEEENSH_IJSG_SG_SG_EEES9_SI_JZNS1_25segmented_radix_sort_implINS0_14default_configELb0EPK6__halfPSP_PKlPlN2at6native12_GLOBAL__N_18offset_tEEE10hipError_tPvRmT1_PNSt15iterator_traitsIS13_E10value_typeET2_T3_PNS14_IS19_E10value_typeET4_jRbjT5_S1F_jjP12ihipStream_tbEUljE_ZNSN_ISO_Lb0ESR_SS_SU_SV_SZ_EES10_S11_S12_S13_S17_S18_S19_S1C_S1D_jS1E_jS1F_S1F_jjS1H_bEUljE0_EEES10_S11_S12_S19_S1D_S1F_T6_T7_T9_mT8_S1H_bDpT10_ENKUlT_T0_E_clISt17integral_constantIbLb0EES1V_EEDaS1Q_S1R_EUlS1Q_E_NS1_11comp_targetILNS1_3genE0ELNS1_11target_archE4294967295ELNS1_3gpuE0ELNS1_3repE0EEENS1_30default_config_static_selectorELNS0_4arch9wavefront6targetE0EEEvS13_, .Lfunc_end1778-_ZN7rocprim17ROCPRIM_400000_NS6detail17trampoline_kernelINS0_13select_configILj256ELj13ELNS0_17block_load_methodE3ELS4_3ELS4_3ELNS0_20block_scan_algorithmE0ELj4294967295EEENS1_25partition_config_selectorILNS1_17partition_subalgoE4EjNS0_10empty_typeEbEEZZNS1_14partition_implILS8_4ELb0ES6_15HIP_vector_typeIjLj2EENS0_17counting_iteratorIjlEEPS9_SG_NS0_5tupleIJPjSI_NS0_16reverse_iteratorISI_EEEEENSH_IJSG_SG_SG_EEES9_SI_JZNS1_25segmented_radix_sort_implINS0_14default_configELb0EPK6__halfPSP_PKlPlN2at6native12_GLOBAL__N_18offset_tEEE10hipError_tPvRmT1_PNSt15iterator_traitsIS13_E10value_typeET2_T3_PNS14_IS19_E10value_typeET4_jRbjT5_S1F_jjP12ihipStream_tbEUljE_ZNSN_ISO_Lb0ESR_SS_SU_SV_SZ_EES10_S11_S12_S13_S17_S18_S19_S1C_S1D_jS1E_jS1F_S1F_jjS1H_bEUljE0_EEES10_S11_S12_S19_S1D_S1F_T6_T7_T9_mT8_S1H_bDpT10_ENKUlT_T0_E_clISt17integral_constantIbLb0EES1V_EEDaS1Q_S1R_EUlS1Q_E_NS1_11comp_targetILNS1_3genE0ELNS1_11target_archE4294967295ELNS1_3gpuE0ELNS1_3repE0EEENS1_30default_config_static_selectorELNS0_4arch9wavefront6targetE0EEEvS13_
                                        ; -- End function
	.set _ZN7rocprim17ROCPRIM_400000_NS6detail17trampoline_kernelINS0_13select_configILj256ELj13ELNS0_17block_load_methodE3ELS4_3ELS4_3ELNS0_20block_scan_algorithmE0ELj4294967295EEENS1_25partition_config_selectorILNS1_17partition_subalgoE4EjNS0_10empty_typeEbEEZZNS1_14partition_implILS8_4ELb0ES6_15HIP_vector_typeIjLj2EENS0_17counting_iteratorIjlEEPS9_SG_NS0_5tupleIJPjSI_NS0_16reverse_iteratorISI_EEEEENSH_IJSG_SG_SG_EEES9_SI_JZNS1_25segmented_radix_sort_implINS0_14default_configELb0EPK6__halfPSP_PKlPlN2at6native12_GLOBAL__N_18offset_tEEE10hipError_tPvRmT1_PNSt15iterator_traitsIS13_E10value_typeET2_T3_PNS14_IS19_E10value_typeET4_jRbjT5_S1F_jjP12ihipStream_tbEUljE_ZNSN_ISO_Lb0ESR_SS_SU_SV_SZ_EES10_S11_S12_S13_S17_S18_S19_S1C_S1D_jS1E_jS1F_S1F_jjS1H_bEUljE0_EEES10_S11_S12_S19_S1D_S1F_T6_T7_T9_mT8_S1H_bDpT10_ENKUlT_T0_E_clISt17integral_constantIbLb0EES1V_EEDaS1Q_S1R_EUlS1Q_E_NS1_11comp_targetILNS1_3genE0ELNS1_11target_archE4294967295ELNS1_3gpuE0ELNS1_3repE0EEENS1_30default_config_static_selectorELNS0_4arch9wavefront6targetE0EEEvS13_.num_vgpr, 0
	.set _ZN7rocprim17ROCPRIM_400000_NS6detail17trampoline_kernelINS0_13select_configILj256ELj13ELNS0_17block_load_methodE3ELS4_3ELS4_3ELNS0_20block_scan_algorithmE0ELj4294967295EEENS1_25partition_config_selectorILNS1_17partition_subalgoE4EjNS0_10empty_typeEbEEZZNS1_14partition_implILS8_4ELb0ES6_15HIP_vector_typeIjLj2EENS0_17counting_iteratorIjlEEPS9_SG_NS0_5tupleIJPjSI_NS0_16reverse_iteratorISI_EEEEENSH_IJSG_SG_SG_EEES9_SI_JZNS1_25segmented_radix_sort_implINS0_14default_configELb0EPK6__halfPSP_PKlPlN2at6native12_GLOBAL__N_18offset_tEEE10hipError_tPvRmT1_PNSt15iterator_traitsIS13_E10value_typeET2_T3_PNS14_IS19_E10value_typeET4_jRbjT5_S1F_jjP12ihipStream_tbEUljE_ZNSN_ISO_Lb0ESR_SS_SU_SV_SZ_EES10_S11_S12_S13_S17_S18_S19_S1C_S1D_jS1E_jS1F_S1F_jjS1H_bEUljE0_EEES10_S11_S12_S19_S1D_S1F_T6_T7_T9_mT8_S1H_bDpT10_ENKUlT_T0_E_clISt17integral_constantIbLb0EES1V_EEDaS1Q_S1R_EUlS1Q_E_NS1_11comp_targetILNS1_3genE0ELNS1_11target_archE4294967295ELNS1_3gpuE0ELNS1_3repE0EEENS1_30default_config_static_selectorELNS0_4arch9wavefront6targetE0EEEvS13_.num_agpr, 0
	.set _ZN7rocprim17ROCPRIM_400000_NS6detail17trampoline_kernelINS0_13select_configILj256ELj13ELNS0_17block_load_methodE3ELS4_3ELS4_3ELNS0_20block_scan_algorithmE0ELj4294967295EEENS1_25partition_config_selectorILNS1_17partition_subalgoE4EjNS0_10empty_typeEbEEZZNS1_14partition_implILS8_4ELb0ES6_15HIP_vector_typeIjLj2EENS0_17counting_iteratorIjlEEPS9_SG_NS0_5tupleIJPjSI_NS0_16reverse_iteratorISI_EEEEENSH_IJSG_SG_SG_EEES9_SI_JZNS1_25segmented_radix_sort_implINS0_14default_configELb0EPK6__halfPSP_PKlPlN2at6native12_GLOBAL__N_18offset_tEEE10hipError_tPvRmT1_PNSt15iterator_traitsIS13_E10value_typeET2_T3_PNS14_IS19_E10value_typeET4_jRbjT5_S1F_jjP12ihipStream_tbEUljE_ZNSN_ISO_Lb0ESR_SS_SU_SV_SZ_EES10_S11_S12_S13_S17_S18_S19_S1C_S1D_jS1E_jS1F_S1F_jjS1H_bEUljE0_EEES10_S11_S12_S19_S1D_S1F_T6_T7_T9_mT8_S1H_bDpT10_ENKUlT_T0_E_clISt17integral_constantIbLb0EES1V_EEDaS1Q_S1R_EUlS1Q_E_NS1_11comp_targetILNS1_3genE0ELNS1_11target_archE4294967295ELNS1_3gpuE0ELNS1_3repE0EEENS1_30default_config_static_selectorELNS0_4arch9wavefront6targetE0EEEvS13_.numbered_sgpr, 0
	.set _ZN7rocprim17ROCPRIM_400000_NS6detail17trampoline_kernelINS0_13select_configILj256ELj13ELNS0_17block_load_methodE3ELS4_3ELS4_3ELNS0_20block_scan_algorithmE0ELj4294967295EEENS1_25partition_config_selectorILNS1_17partition_subalgoE4EjNS0_10empty_typeEbEEZZNS1_14partition_implILS8_4ELb0ES6_15HIP_vector_typeIjLj2EENS0_17counting_iteratorIjlEEPS9_SG_NS0_5tupleIJPjSI_NS0_16reverse_iteratorISI_EEEEENSH_IJSG_SG_SG_EEES9_SI_JZNS1_25segmented_radix_sort_implINS0_14default_configELb0EPK6__halfPSP_PKlPlN2at6native12_GLOBAL__N_18offset_tEEE10hipError_tPvRmT1_PNSt15iterator_traitsIS13_E10value_typeET2_T3_PNS14_IS19_E10value_typeET4_jRbjT5_S1F_jjP12ihipStream_tbEUljE_ZNSN_ISO_Lb0ESR_SS_SU_SV_SZ_EES10_S11_S12_S13_S17_S18_S19_S1C_S1D_jS1E_jS1F_S1F_jjS1H_bEUljE0_EEES10_S11_S12_S19_S1D_S1F_T6_T7_T9_mT8_S1H_bDpT10_ENKUlT_T0_E_clISt17integral_constantIbLb0EES1V_EEDaS1Q_S1R_EUlS1Q_E_NS1_11comp_targetILNS1_3genE0ELNS1_11target_archE4294967295ELNS1_3gpuE0ELNS1_3repE0EEENS1_30default_config_static_selectorELNS0_4arch9wavefront6targetE0EEEvS13_.num_named_barrier, 0
	.set _ZN7rocprim17ROCPRIM_400000_NS6detail17trampoline_kernelINS0_13select_configILj256ELj13ELNS0_17block_load_methodE3ELS4_3ELS4_3ELNS0_20block_scan_algorithmE0ELj4294967295EEENS1_25partition_config_selectorILNS1_17partition_subalgoE4EjNS0_10empty_typeEbEEZZNS1_14partition_implILS8_4ELb0ES6_15HIP_vector_typeIjLj2EENS0_17counting_iteratorIjlEEPS9_SG_NS0_5tupleIJPjSI_NS0_16reverse_iteratorISI_EEEEENSH_IJSG_SG_SG_EEES9_SI_JZNS1_25segmented_radix_sort_implINS0_14default_configELb0EPK6__halfPSP_PKlPlN2at6native12_GLOBAL__N_18offset_tEEE10hipError_tPvRmT1_PNSt15iterator_traitsIS13_E10value_typeET2_T3_PNS14_IS19_E10value_typeET4_jRbjT5_S1F_jjP12ihipStream_tbEUljE_ZNSN_ISO_Lb0ESR_SS_SU_SV_SZ_EES10_S11_S12_S13_S17_S18_S19_S1C_S1D_jS1E_jS1F_S1F_jjS1H_bEUljE0_EEES10_S11_S12_S19_S1D_S1F_T6_T7_T9_mT8_S1H_bDpT10_ENKUlT_T0_E_clISt17integral_constantIbLb0EES1V_EEDaS1Q_S1R_EUlS1Q_E_NS1_11comp_targetILNS1_3genE0ELNS1_11target_archE4294967295ELNS1_3gpuE0ELNS1_3repE0EEENS1_30default_config_static_selectorELNS0_4arch9wavefront6targetE0EEEvS13_.private_seg_size, 0
	.set _ZN7rocprim17ROCPRIM_400000_NS6detail17trampoline_kernelINS0_13select_configILj256ELj13ELNS0_17block_load_methodE3ELS4_3ELS4_3ELNS0_20block_scan_algorithmE0ELj4294967295EEENS1_25partition_config_selectorILNS1_17partition_subalgoE4EjNS0_10empty_typeEbEEZZNS1_14partition_implILS8_4ELb0ES6_15HIP_vector_typeIjLj2EENS0_17counting_iteratorIjlEEPS9_SG_NS0_5tupleIJPjSI_NS0_16reverse_iteratorISI_EEEEENSH_IJSG_SG_SG_EEES9_SI_JZNS1_25segmented_radix_sort_implINS0_14default_configELb0EPK6__halfPSP_PKlPlN2at6native12_GLOBAL__N_18offset_tEEE10hipError_tPvRmT1_PNSt15iterator_traitsIS13_E10value_typeET2_T3_PNS14_IS19_E10value_typeET4_jRbjT5_S1F_jjP12ihipStream_tbEUljE_ZNSN_ISO_Lb0ESR_SS_SU_SV_SZ_EES10_S11_S12_S13_S17_S18_S19_S1C_S1D_jS1E_jS1F_S1F_jjS1H_bEUljE0_EEES10_S11_S12_S19_S1D_S1F_T6_T7_T9_mT8_S1H_bDpT10_ENKUlT_T0_E_clISt17integral_constantIbLb0EES1V_EEDaS1Q_S1R_EUlS1Q_E_NS1_11comp_targetILNS1_3genE0ELNS1_11target_archE4294967295ELNS1_3gpuE0ELNS1_3repE0EEENS1_30default_config_static_selectorELNS0_4arch9wavefront6targetE0EEEvS13_.uses_vcc, 0
	.set _ZN7rocprim17ROCPRIM_400000_NS6detail17trampoline_kernelINS0_13select_configILj256ELj13ELNS0_17block_load_methodE3ELS4_3ELS4_3ELNS0_20block_scan_algorithmE0ELj4294967295EEENS1_25partition_config_selectorILNS1_17partition_subalgoE4EjNS0_10empty_typeEbEEZZNS1_14partition_implILS8_4ELb0ES6_15HIP_vector_typeIjLj2EENS0_17counting_iteratorIjlEEPS9_SG_NS0_5tupleIJPjSI_NS0_16reverse_iteratorISI_EEEEENSH_IJSG_SG_SG_EEES9_SI_JZNS1_25segmented_radix_sort_implINS0_14default_configELb0EPK6__halfPSP_PKlPlN2at6native12_GLOBAL__N_18offset_tEEE10hipError_tPvRmT1_PNSt15iterator_traitsIS13_E10value_typeET2_T3_PNS14_IS19_E10value_typeET4_jRbjT5_S1F_jjP12ihipStream_tbEUljE_ZNSN_ISO_Lb0ESR_SS_SU_SV_SZ_EES10_S11_S12_S13_S17_S18_S19_S1C_S1D_jS1E_jS1F_S1F_jjS1H_bEUljE0_EEES10_S11_S12_S19_S1D_S1F_T6_T7_T9_mT8_S1H_bDpT10_ENKUlT_T0_E_clISt17integral_constantIbLb0EES1V_EEDaS1Q_S1R_EUlS1Q_E_NS1_11comp_targetILNS1_3genE0ELNS1_11target_archE4294967295ELNS1_3gpuE0ELNS1_3repE0EEENS1_30default_config_static_selectorELNS0_4arch9wavefront6targetE0EEEvS13_.uses_flat_scratch, 0
	.set _ZN7rocprim17ROCPRIM_400000_NS6detail17trampoline_kernelINS0_13select_configILj256ELj13ELNS0_17block_load_methodE3ELS4_3ELS4_3ELNS0_20block_scan_algorithmE0ELj4294967295EEENS1_25partition_config_selectorILNS1_17partition_subalgoE4EjNS0_10empty_typeEbEEZZNS1_14partition_implILS8_4ELb0ES6_15HIP_vector_typeIjLj2EENS0_17counting_iteratorIjlEEPS9_SG_NS0_5tupleIJPjSI_NS0_16reverse_iteratorISI_EEEEENSH_IJSG_SG_SG_EEES9_SI_JZNS1_25segmented_radix_sort_implINS0_14default_configELb0EPK6__halfPSP_PKlPlN2at6native12_GLOBAL__N_18offset_tEEE10hipError_tPvRmT1_PNSt15iterator_traitsIS13_E10value_typeET2_T3_PNS14_IS19_E10value_typeET4_jRbjT5_S1F_jjP12ihipStream_tbEUljE_ZNSN_ISO_Lb0ESR_SS_SU_SV_SZ_EES10_S11_S12_S13_S17_S18_S19_S1C_S1D_jS1E_jS1F_S1F_jjS1H_bEUljE0_EEES10_S11_S12_S19_S1D_S1F_T6_T7_T9_mT8_S1H_bDpT10_ENKUlT_T0_E_clISt17integral_constantIbLb0EES1V_EEDaS1Q_S1R_EUlS1Q_E_NS1_11comp_targetILNS1_3genE0ELNS1_11target_archE4294967295ELNS1_3gpuE0ELNS1_3repE0EEENS1_30default_config_static_selectorELNS0_4arch9wavefront6targetE0EEEvS13_.has_dyn_sized_stack, 0
	.set _ZN7rocprim17ROCPRIM_400000_NS6detail17trampoline_kernelINS0_13select_configILj256ELj13ELNS0_17block_load_methodE3ELS4_3ELS4_3ELNS0_20block_scan_algorithmE0ELj4294967295EEENS1_25partition_config_selectorILNS1_17partition_subalgoE4EjNS0_10empty_typeEbEEZZNS1_14partition_implILS8_4ELb0ES6_15HIP_vector_typeIjLj2EENS0_17counting_iteratorIjlEEPS9_SG_NS0_5tupleIJPjSI_NS0_16reverse_iteratorISI_EEEEENSH_IJSG_SG_SG_EEES9_SI_JZNS1_25segmented_radix_sort_implINS0_14default_configELb0EPK6__halfPSP_PKlPlN2at6native12_GLOBAL__N_18offset_tEEE10hipError_tPvRmT1_PNSt15iterator_traitsIS13_E10value_typeET2_T3_PNS14_IS19_E10value_typeET4_jRbjT5_S1F_jjP12ihipStream_tbEUljE_ZNSN_ISO_Lb0ESR_SS_SU_SV_SZ_EES10_S11_S12_S13_S17_S18_S19_S1C_S1D_jS1E_jS1F_S1F_jjS1H_bEUljE0_EEES10_S11_S12_S19_S1D_S1F_T6_T7_T9_mT8_S1H_bDpT10_ENKUlT_T0_E_clISt17integral_constantIbLb0EES1V_EEDaS1Q_S1R_EUlS1Q_E_NS1_11comp_targetILNS1_3genE0ELNS1_11target_archE4294967295ELNS1_3gpuE0ELNS1_3repE0EEENS1_30default_config_static_selectorELNS0_4arch9wavefront6targetE0EEEvS13_.has_recursion, 0
	.set _ZN7rocprim17ROCPRIM_400000_NS6detail17trampoline_kernelINS0_13select_configILj256ELj13ELNS0_17block_load_methodE3ELS4_3ELS4_3ELNS0_20block_scan_algorithmE0ELj4294967295EEENS1_25partition_config_selectorILNS1_17partition_subalgoE4EjNS0_10empty_typeEbEEZZNS1_14partition_implILS8_4ELb0ES6_15HIP_vector_typeIjLj2EENS0_17counting_iteratorIjlEEPS9_SG_NS0_5tupleIJPjSI_NS0_16reverse_iteratorISI_EEEEENSH_IJSG_SG_SG_EEES9_SI_JZNS1_25segmented_radix_sort_implINS0_14default_configELb0EPK6__halfPSP_PKlPlN2at6native12_GLOBAL__N_18offset_tEEE10hipError_tPvRmT1_PNSt15iterator_traitsIS13_E10value_typeET2_T3_PNS14_IS19_E10value_typeET4_jRbjT5_S1F_jjP12ihipStream_tbEUljE_ZNSN_ISO_Lb0ESR_SS_SU_SV_SZ_EES10_S11_S12_S13_S17_S18_S19_S1C_S1D_jS1E_jS1F_S1F_jjS1H_bEUljE0_EEES10_S11_S12_S19_S1D_S1F_T6_T7_T9_mT8_S1H_bDpT10_ENKUlT_T0_E_clISt17integral_constantIbLb0EES1V_EEDaS1Q_S1R_EUlS1Q_E_NS1_11comp_targetILNS1_3genE0ELNS1_11target_archE4294967295ELNS1_3gpuE0ELNS1_3repE0EEENS1_30default_config_static_selectorELNS0_4arch9wavefront6targetE0EEEvS13_.has_indirect_call, 0
	.section	.AMDGPU.csdata,"",@progbits
; Kernel info:
; codeLenInByte = 0
; TotalNumSgprs: 0
; NumVgprs: 0
; ScratchSize: 0
; MemoryBound: 0
; FloatMode: 240
; IeeeMode: 1
; LDSByteSize: 0 bytes/workgroup (compile time only)
; SGPRBlocks: 0
; VGPRBlocks: 0
; NumSGPRsForWavesPerEU: 1
; NumVGPRsForWavesPerEU: 1
; Occupancy: 16
; WaveLimiterHint : 0
; COMPUTE_PGM_RSRC2:SCRATCH_EN: 0
; COMPUTE_PGM_RSRC2:USER_SGPR: 2
; COMPUTE_PGM_RSRC2:TRAP_HANDLER: 0
; COMPUTE_PGM_RSRC2:TGID_X_EN: 1
; COMPUTE_PGM_RSRC2:TGID_Y_EN: 0
; COMPUTE_PGM_RSRC2:TGID_Z_EN: 0
; COMPUTE_PGM_RSRC2:TIDIG_COMP_CNT: 0
	.section	.text._ZN7rocprim17ROCPRIM_400000_NS6detail17trampoline_kernelINS0_13select_configILj256ELj13ELNS0_17block_load_methodE3ELS4_3ELS4_3ELNS0_20block_scan_algorithmE0ELj4294967295EEENS1_25partition_config_selectorILNS1_17partition_subalgoE4EjNS0_10empty_typeEbEEZZNS1_14partition_implILS8_4ELb0ES6_15HIP_vector_typeIjLj2EENS0_17counting_iteratorIjlEEPS9_SG_NS0_5tupleIJPjSI_NS0_16reverse_iteratorISI_EEEEENSH_IJSG_SG_SG_EEES9_SI_JZNS1_25segmented_radix_sort_implINS0_14default_configELb0EPK6__halfPSP_PKlPlN2at6native12_GLOBAL__N_18offset_tEEE10hipError_tPvRmT1_PNSt15iterator_traitsIS13_E10value_typeET2_T3_PNS14_IS19_E10value_typeET4_jRbjT5_S1F_jjP12ihipStream_tbEUljE_ZNSN_ISO_Lb0ESR_SS_SU_SV_SZ_EES10_S11_S12_S13_S17_S18_S19_S1C_S1D_jS1E_jS1F_S1F_jjS1H_bEUljE0_EEES10_S11_S12_S19_S1D_S1F_T6_T7_T9_mT8_S1H_bDpT10_ENKUlT_T0_E_clISt17integral_constantIbLb0EES1V_EEDaS1Q_S1R_EUlS1Q_E_NS1_11comp_targetILNS1_3genE5ELNS1_11target_archE942ELNS1_3gpuE9ELNS1_3repE0EEENS1_30default_config_static_selectorELNS0_4arch9wavefront6targetE0EEEvS13_,"axG",@progbits,_ZN7rocprim17ROCPRIM_400000_NS6detail17trampoline_kernelINS0_13select_configILj256ELj13ELNS0_17block_load_methodE3ELS4_3ELS4_3ELNS0_20block_scan_algorithmE0ELj4294967295EEENS1_25partition_config_selectorILNS1_17partition_subalgoE4EjNS0_10empty_typeEbEEZZNS1_14partition_implILS8_4ELb0ES6_15HIP_vector_typeIjLj2EENS0_17counting_iteratorIjlEEPS9_SG_NS0_5tupleIJPjSI_NS0_16reverse_iteratorISI_EEEEENSH_IJSG_SG_SG_EEES9_SI_JZNS1_25segmented_radix_sort_implINS0_14default_configELb0EPK6__halfPSP_PKlPlN2at6native12_GLOBAL__N_18offset_tEEE10hipError_tPvRmT1_PNSt15iterator_traitsIS13_E10value_typeET2_T3_PNS14_IS19_E10value_typeET4_jRbjT5_S1F_jjP12ihipStream_tbEUljE_ZNSN_ISO_Lb0ESR_SS_SU_SV_SZ_EES10_S11_S12_S13_S17_S18_S19_S1C_S1D_jS1E_jS1F_S1F_jjS1H_bEUljE0_EEES10_S11_S12_S19_S1D_S1F_T6_T7_T9_mT8_S1H_bDpT10_ENKUlT_T0_E_clISt17integral_constantIbLb0EES1V_EEDaS1Q_S1R_EUlS1Q_E_NS1_11comp_targetILNS1_3genE5ELNS1_11target_archE942ELNS1_3gpuE9ELNS1_3repE0EEENS1_30default_config_static_selectorELNS0_4arch9wavefront6targetE0EEEvS13_,comdat
	.globl	_ZN7rocprim17ROCPRIM_400000_NS6detail17trampoline_kernelINS0_13select_configILj256ELj13ELNS0_17block_load_methodE3ELS4_3ELS4_3ELNS0_20block_scan_algorithmE0ELj4294967295EEENS1_25partition_config_selectorILNS1_17partition_subalgoE4EjNS0_10empty_typeEbEEZZNS1_14partition_implILS8_4ELb0ES6_15HIP_vector_typeIjLj2EENS0_17counting_iteratorIjlEEPS9_SG_NS0_5tupleIJPjSI_NS0_16reverse_iteratorISI_EEEEENSH_IJSG_SG_SG_EEES9_SI_JZNS1_25segmented_radix_sort_implINS0_14default_configELb0EPK6__halfPSP_PKlPlN2at6native12_GLOBAL__N_18offset_tEEE10hipError_tPvRmT1_PNSt15iterator_traitsIS13_E10value_typeET2_T3_PNS14_IS19_E10value_typeET4_jRbjT5_S1F_jjP12ihipStream_tbEUljE_ZNSN_ISO_Lb0ESR_SS_SU_SV_SZ_EES10_S11_S12_S13_S17_S18_S19_S1C_S1D_jS1E_jS1F_S1F_jjS1H_bEUljE0_EEES10_S11_S12_S19_S1D_S1F_T6_T7_T9_mT8_S1H_bDpT10_ENKUlT_T0_E_clISt17integral_constantIbLb0EES1V_EEDaS1Q_S1R_EUlS1Q_E_NS1_11comp_targetILNS1_3genE5ELNS1_11target_archE942ELNS1_3gpuE9ELNS1_3repE0EEENS1_30default_config_static_selectorELNS0_4arch9wavefront6targetE0EEEvS13_ ; -- Begin function _ZN7rocprim17ROCPRIM_400000_NS6detail17trampoline_kernelINS0_13select_configILj256ELj13ELNS0_17block_load_methodE3ELS4_3ELS4_3ELNS0_20block_scan_algorithmE0ELj4294967295EEENS1_25partition_config_selectorILNS1_17partition_subalgoE4EjNS0_10empty_typeEbEEZZNS1_14partition_implILS8_4ELb0ES6_15HIP_vector_typeIjLj2EENS0_17counting_iteratorIjlEEPS9_SG_NS0_5tupleIJPjSI_NS0_16reverse_iteratorISI_EEEEENSH_IJSG_SG_SG_EEES9_SI_JZNS1_25segmented_radix_sort_implINS0_14default_configELb0EPK6__halfPSP_PKlPlN2at6native12_GLOBAL__N_18offset_tEEE10hipError_tPvRmT1_PNSt15iterator_traitsIS13_E10value_typeET2_T3_PNS14_IS19_E10value_typeET4_jRbjT5_S1F_jjP12ihipStream_tbEUljE_ZNSN_ISO_Lb0ESR_SS_SU_SV_SZ_EES10_S11_S12_S13_S17_S18_S19_S1C_S1D_jS1E_jS1F_S1F_jjS1H_bEUljE0_EEES10_S11_S12_S19_S1D_S1F_T6_T7_T9_mT8_S1H_bDpT10_ENKUlT_T0_E_clISt17integral_constantIbLb0EES1V_EEDaS1Q_S1R_EUlS1Q_E_NS1_11comp_targetILNS1_3genE5ELNS1_11target_archE942ELNS1_3gpuE9ELNS1_3repE0EEENS1_30default_config_static_selectorELNS0_4arch9wavefront6targetE0EEEvS13_
	.p2align	8
	.type	_ZN7rocprim17ROCPRIM_400000_NS6detail17trampoline_kernelINS0_13select_configILj256ELj13ELNS0_17block_load_methodE3ELS4_3ELS4_3ELNS0_20block_scan_algorithmE0ELj4294967295EEENS1_25partition_config_selectorILNS1_17partition_subalgoE4EjNS0_10empty_typeEbEEZZNS1_14partition_implILS8_4ELb0ES6_15HIP_vector_typeIjLj2EENS0_17counting_iteratorIjlEEPS9_SG_NS0_5tupleIJPjSI_NS0_16reverse_iteratorISI_EEEEENSH_IJSG_SG_SG_EEES9_SI_JZNS1_25segmented_radix_sort_implINS0_14default_configELb0EPK6__halfPSP_PKlPlN2at6native12_GLOBAL__N_18offset_tEEE10hipError_tPvRmT1_PNSt15iterator_traitsIS13_E10value_typeET2_T3_PNS14_IS19_E10value_typeET4_jRbjT5_S1F_jjP12ihipStream_tbEUljE_ZNSN_ISO_Lb0ESR_SS_SU_SV_SZ_EES10_S11_S12_S13_S17_S18_S19_S1C_S1D_jS1E_jS1F_S1F_jjS1H_bEUljE0_EEES10_S11_S12_S19_S1D_S1F_T6_T7_T9_mT8_S1H_bDpT10_ENKUlT_T0_E_clISt17integral_constantIbLb0EES1V_EEDaS1Q_S1R_EUlS1Q_E_NS1_11comp_targetILNS1_3genE5ELNS1_11target_archE942ELNS1_3gpuE9ELNS1_3repE0EEENS1_30default_config_static_selectorELNS0_4arch9wavefront6targetE0EEEvS13_,@function
_ZN7rocprim17ROCPRIM_400000_NS6detail17trampoline_kernelINS0_13select_configILj256ELj13ELNS0_17block_load_methodE3ELS4_3ELS4_3ELNS0_20block_scan_algorithmE0ELj4294967295EEENS1_25partition_config_selectorILNS1_17partition_subalgoE4EjNS0_10empty_typeEbEEZZNS1_14partition_implILS8_4ELb0ES6_15HIP_vector_typeIjLj2EENS0_17counting_iteratorIjlEEPS9_SG_NS0_5tupleIJPjSI_NS0_16reverse_iteratorISI_EEEEENSH_IJSG_SG_SG_EEES9_SI_JZNS1_25segmented_radix_sort_implINS0_14default_configELb0EPK6__halfPSP_PKlPlN2at6native12_GLOBAL__N_18offset_tEEE10hipError_tPvRmT1_PNSt15iterator_traitsIS13_E10value_typeET2_T3_PNS14_IS19_E10value_typeET4_jRbjT5_S1F_jjP12ihipStream_tbEUljE_ZNSN_ISO_Lb0ESR_SS_SU_SV_SZ_EES10_S11_S12_S13_S17_S18_S19_S1C_S1D_jS1E_jS1F_S1F_jjS1H_bEUljE0_EEES10_S11_S12_S19_S1D_S1F_T6_T7_T9_mT8_S1H_bDpT10_ENKUlT_T0_E_clISt17integral_constantIbLb0EES1V_EEDaS1Q_S1R_EUlS1Q_E_NS1_11comp_targetILNS1_3genE5ELNS1_11target_archE942ELNS1_3gpuE9ELNS1_3repE0EEENS1_30default_config_static_selectorELNS0_4arch9wavefront6targetE0EEEvS13_: ; @_ZN7rocprim17ROCPRIM_400000_NS6detail17trampoline_kernelINS0_13select_configILj256ELj13ELNS0_17block_load_methodE3ELS4_3ELS4_3ELNS0_20block_scan_algorithmE0ELj4294967295EEENS1_25partition_config_selectorILNS1_17partition_subalgoE4EjNS0_10empty_typeEbEEZZNS1_14partition_implILS8_4ELb0ES6_15HIP_vector_typeIjLj2EENS0_17counting_iteratorIjlEEPS9_SG_NS0_5tupleIJPjSI_NS0_16reverse_iteratorISI_EEEEENSH_IJSG_SG_SG_EEES9_SI_JZNS1_25segmented_radix_sort_implINS0_14default_configELb0EPK6__halfPSP_PKlPlN2at6native12_GLOBAL__N_18offset_tEEE10hipError_tPvRmT1_PNSt15iterator_traitsIS13_E10value_typeET2_T3_PNS14_IS19_E10value_typeET4_jRbjT5_S1F_jjP12ihipStream_tbEUljE_ZNSN_ISO_Lb0ESR_SS_SU_SV_SZ_EES10_S11_S12_S13_S17_S18_S19_S1C_S1D_jS1E_jS1F_S1F_jjS1H_bEUljE0_EEES10_S11_S12_S19_S1D_S1F_T6_T7_T9_mT8_S1H_bDpT10_ENKUlT_T0_E_clISt17integral_constantIbLb0EES1V_EEDaS1Q_S1R_EUlS1Q_E_NS1_11comp_targetILNS1_3genE5ELNS1_11target_archE942ELNS1_3gpuE9ELNS1_3repE0EEENS1_30default_config_static_selectorELNS0_4arch9wavefront6targetE0EEEvS13_
; %bb.0:
	.section	.rodata,"a",@progbits
	.p2align	6, 0x0
	.amdhsa_kernel _ZN7rocprim17ROCPRIM_400000_NS6detail17trampoline_kernelINS0_13select_configILj256ELj13ELNS0_17block_load_methodE3ELS4_3ELS4_3ELNS0_20block_scan_algorithmE0ELj4294967295EEENS1_25partition_config_selectorILNS1_17partition_subalgoE4EjNS0_10empty_typeEbEEZZNS1_14partition_implILS8_4ELb0ES6_15HIP_vector_typeIjLj2EENS0_17counting_iteratorIjlEEPS9_SG_NS0_5tupleIJPjSI_NS0_16reverse_iteratorISI_EEEEENSH_IJSG_SG_SG_EEES9_SI_JZNS1_25segmented_radix_sort_implINS0_14default_configELb0EPK6__halfPSP_PKlPlN2at6native12_GLOBAL__N_18offset_tEEE10hipError_tPvRmT1_PNSt15iterator_traitsIS13_E10value_typeET2_T3_PNS14_IS19_E10value_typeET4_jRbjT5_S1F_jjP12ihipStream_tbEUljE_ZNSN_ISO_Lb0ESR_SS_SU_SV_SZ_EES10_S11_S12_S13_S17_S18_S19_S1C_S1D_jS1E_jS1F_S1F_jjS1H_bEUljE0_EEES10_S11_S12_S19_S1D_S1F_T6_T7_T9_mT8_S1H_bDpT10_ENKUlT_T0_E_clISt17integral_constantIbLb0EES1V_EEDaS1Q_S1R_EUlS1Q_E_NS1_11comp_targetILNS1_3genE5ELNS1_11target_archE942ELNS1_3gpuE9ELNS1_3repE0EEENS1_30default_config_static_selectorELNS0_4arch9wavefront6targetE0EEEvS13_
		.amdhsa_group_segment_fixed_size 0
		.amdhsa_private_segment_fixed_size 0
		.amdhsa_kernarg_size 176
		.amdhsa_user_sgpr_count 2
		.amdhsa_user_sgpr_dispatch_ptr 0
		.amdhsa_user_sgpr_queue_ptr 0
		.amdhsa_user_sgpr_kernarg_segment_ptr 1
		.amdhsa_user_sgpr_dispatch_id 0
		.amdhsa_user_sgpr_private_segment_size 0
		.amdhsa_wavefront_size32 1
		.amdhsa_uses_dynamic_stack 0
		.amdhsa_enable_private_segment 0
		.amdhsa_system_sgpr_workgroup_id_x 1
		.amdhsa_system_sgpr_workgroup_id_y 0
		.amdhsa_system_sgpr_workgroup_id_z 0
		.amdhsa_system_sgpr_workgroup_info 0
		.amdhsa_system_vgpr_workitem_id 0
		.amdhsa_next_free_vgpr 1
		.amdhsa_next_free_sgpr 1
		.amdhsa_reserve_vcc 0
		.amdhsa_float_round_mode_32 0
		.amdhsa_float_round_mode_16_64 0
		.amdhsa_float_denorm_mode_32 3
		.amdhsa_float_denorm_mode_16_64 3
		.amdhsa_fp16_overflow 0
		.amdhsa_workgroup_processor_mode 1
		.amdhsa_memory_ordered 1
		.amdhsa_forward_progress 1
		.amdhsa_inst_pref_size 0
		.amdhsa_round_robin_scheduling 0
		.amdhsa_exception_fp_ieee_invalid_op 0
		.amdhsa_exception_fp_denorm_src 0
		.amdhsa_exception_fp_ieee_div_zero 0
		.amdhsa_exception_fp_ieee_overflow 0
		.amdhsa_exception_fp_ieee_underflow 0
		.amdhsa_exception_fp_ieee_inexact 0
		.amdhsa_exception_int_div_zero 0
	.end_amdhsa_kernel
	.section	.text._ZN7rocprim17ROCPRIM_400000_NS6detail17trampoline_kernelINS0_13select_configILj256ELj13ELNS0_17block_load_methodE3ELS4_3ELS4_3ELNS0_20block_scan_algorithmE0ELj4294967295EEENS1_25partition_config_selectorILNS1_17partition_subalgoE4EjNS0_10empty_typeEbEEZZNS1_14partition_implILS8_4ELb0ES6_15HIP_vector_typeIjLj2EENS0_17counting_iteratorIjlEEPS9_SG_NS0_5tupleIJPjSI_NS0_16reverse_iteratorISI_EEEEENSH_IJSG_SG_SG_EEES9_SI_JZNS1_25segmented_radix_sort_implINS0_14default_configELb0EPK6__halfPSP_PKlPlN2at6native12_GLOBAL__N_18offset_tEEE10hipError_tPvRmT1_PNSt15iterator_traitsIS13_E10value_typeET2_T3_PNS14_IS19_E10value_typeET4_jRbjT5_S1F_jjP12ihipStream_tbEUljE_ZNSN_ISO_Lb0ESR_SS_SU_SV_SZ_EES10_S11_S12_S13_S17_S18_S19_S1C_S1D_jS1E_jS1F_S1F_jjS1H_bEUljE0_EEES10_S11_S12_S19_S1D_S1F_T6_T7_T9_mT8_S1H_bDpT10_ENKUlT_T0_E_clISt17integral_constantIbLb0EES1V_EEDaS1Q_S1R_EUlS1Q_E_NS1_11comp_targetILNS1_3genE5ELNS1_11target_archE942ELNS1_3gpuE9ELNS1_3repE0EEENS1_30default_config_static_selectorELNS0_4arch9wavefront6targetE0EEEvS13_,"axG",@progbits,_ZN7rocprim17ROCPRIM_400000_NS6detail17trampoline_kernelINS0_13select_configILj256ELj13ELNS0_17block_load_methodE3ELS4_3ELS4_3ELNS0_20block_scan_algorithmE0ELj4294967295EEENS1_25partition_config_selectorILNS1_17partition_subalgoE4EjNS0_10empty_typeEbEEZZNS1_14partition_implILS8_4ELb0ES6_15HIP_vector_typeIjLj2EENS0_17counting_iteratorIjlEEPS9_SG_NS0_5tupleIJPjSI_NS0_16reverse_iteratorISI_EEEEENSH_IJSG_SG_SG_EEES9_SI_JZNS1_25segmented_radix_sort_implINS0_14default_configELb0EPK6__halfPSP_PKlPlN2at6native12_GLOBAL__N_18offset_tEEE10hipError_tPvRmT1_PNSt15iterator_traitsIS13_E10value_typeET2_T3_PNS14_IS19_E10value_typeET4_jRbjT5_S1F_jjP12ihipStream_tbEUljE_ZNSN_ISO_Lb0ESR_SS_SU_SV_SZ_EES10_S11_S12_S13_S17_S18_S19_S1C_S1D_jS1E_jS1F_S1F_jjS1H_bEUljE0_EEES10_S11_S12_S19_S1D_S1F_T6_T7_T9_mT8_S1H_bDpT10_ENKUlT_T0_E_clISt17integral_constantIbLb0EES1V_EEDaS1Q_S1R_EUlS1Q_E_NS1_11comp_targetILNS1_3genE5ELNS1_11target_archE942ELNS1_3gpuE9ELNS1_3repE0EEENS1_30default_config_static_selectorELNS0_4arch9wavefront6targetE0EEEvS13_,comdat
.Lfunc_end1779:
	.size	_ZN7rocprim17ROCPRIM_400000_NS6detail17trampoline_kernelINS0_13select_configILj256ELj13ELNS0_17block_load_methodE3ELS4_3ELS4_3ELNS0_20block_scan_algorithmE0ELj4294967295EEENS1_25partition_config_selectorILNS1_17partition_subalgoE4EjNS0_10empty_typeEbEEZZNS1_14partition_implILS8_4ELb0ES6_15HIP_vector_typeIjLj2EENS0_17counting_iteratorIjlEEPS9_SG_NS0_5tupleIJPjSI_NS0_16reverse_iteratorISI_EEEEENSH_IJSG_SG_SG_EEES9_SI_JZNS1_25segmented_radix_sort_implINS0_14default_configELb0EPK6__halfPSP_PKlPlN2at6native12_GLOBAL__N_18offset_tEEE10hipError_tPvRmT1_PNSt15iterator_traitsIS13_E10value_typeET2_T3_PNS14_IS19_E10value_typeET4_jRbjT5_S1F_jjP12ihipStream_tbEUljE_ZNSN_ISO_Lb0ESR_SS_SU_SV_SZ_EES10_S11_S12_S13_S17_S18_S19_S1C_S1D_jS1E_jS1F_S1F_jjS1H_bEUljE0_EEES10_S11_S12_S19_S1D_S1F_T6_T7_T9_mT8_S1H_bDpT10_ENKUlT_T0_E_clISt17integral_constantIbLb0EES1V_EEDaS1Q_S1R_EUlS1Q_E_NS1_11comp_targetILNS1_3genE5ELNS1_11target_archE942ELNS1_3gpuE9ELNS1_3repE0EEENS1_30default_config_static_selectorELNS0_4arch9wavefront6targetE0EEEvS13_, .Lfunc_end1779-_ZN7rocprim17ROCPRIM_400000_NS6detail17trampoline_kernelINS0_13select_configILj256ELj13ELNS0_17block_load_methodE3ELS4_3ELS4_3ELNS0_20block_scan_algorithmE0ELj4294967295EEENS1_25partition_config_selectorILNS1_17partition_subalgoE4EjNS0_10empty_typeEbEEZZNS1_14partition_implILS8_4ELb0ES6_15HIP_vector_typeIjLj2EENS0_17counting_iteratorIjlEEPS9_SG_NS0_5tupleIJPjSI_NS0_16reverse_iteratorISI_EEEEENSH_IJSG_SG_SG_EEES9_SI_JZNS1_25segmented_radix_sort_implINS0_14default_configELb0EPK6__halfPSP_PKlPlN2at6native12_GLOBAL__N_18offset_tEEE10hipError_tPvRmT1_PNSt15iterator_traitsIS13_E10value_typeET2_T3_PNS14_IS19_E10value_typeET4_jRbjT5_S1F_jjP12ihipStream_tbEUljE_ZNSN_ISO_Lb0ESR_SS_SU_SV_SZ_EES10_S11_S12_S13_S17_S18_S19_S1C_S1D_jS1E_jS1F_S1F_jjS1H_bEUljE0_EEES10_S11_S12_S19_S1D_S1F_T6_T7_T9_mT8_S1H_bDpT10_ENKUlT_T0_E_clISt17integral_constantIbLb0EES1V_EEDaS1Q_S1R_EUlS1Q_E_NS1_11comp_targetILNS1_3genE5ELNS1_11target_archE942ELNS1_3gpuE9ELNS1_3repE0EEENS1_30default_config_static_selectorELNS0_4arch9wavefront6targetE0EEEvS13_
                                        ; -- End function
	.set _ZN7rocprim17ROCPRIM_400000_NS6detail17trampoline_kernelINS0_13select_configILj256ELj13ELNS0_17block_load_methodE3ELS4_3ELS4_3ELNS0_20block_scan_algorithmE0ELj4294967295EEENS1_25partition_config_selectorILNS1_17partition_subalgoE4EjNS0_10empty_typeEbEEZZNS1_14partition_implILS8_4ELb0ES6_15HIP_vector_typeIjLj2EENS0_17counting_iteratorIjlEEPS9_SG_NS0_5tupleIJPjSI_NS0_16reverse_iteratorISI_EEEEENSH_IJSG_SG_SG_EEES9_SI_JZNS1_25segmented_radix_sort_implINS0_14default_configELb0EPK6__halfPSP_PKlPlN2at6native12_GLOBAL__N_18offset_tEEE10hipError_tPvRmT1_PNSt15iterator_traitsIS13_E10value_typeET2_T3_PNS14_IS19_E10value_typeET4_jRbjT5_S1F_jjP12ihipStream_tbEUljE_ZNSN_ISO_Lb0ESR_SS_SU_SV_SZ_EES10_S11_S12_S13_S17_S18_S19_S1C_S1D_jS1E_jS1F_S1F_jjS1H_bEUljE0_EEES10_S11_S12_S19_S1D_S1F_T6_T7_T9_mT8_S1H_bDpT10_ENKUlT_T0_E_clISt17integral_constantIbLb0EES1V_EEDaS1Q_S1R_EUlS1Q_E_NS1_11comp_targetILNS1_3genE5ELNS1_11target_archE942ELNS1_3gpuE9ELNS1_3repE0EEENS1_30default_config_static_selectorELNS0_4arch9wavefront6targetE0EEEvS13_.num_vgpr, 0
	.set _ZN7rocprim17ROCPRIM_400000_NS6detail17trampoline_kernelINS0_13select_configILj256ELj13ELNS0_17block_load_methodE3ELS4_3ELS4_3ELNS0_20block_scan_algorithmE0ELj4294967295EEENS1_25partition_config_selectorILNS1_17partition_subalgoE4EjNS0_10empty_typeEbEEZZNS1_14partition_implILS8_4ELb0ES6_15HIP_vector_typeIjLj2EENS0_17counting_iteratorIjlEEPS9_SG_NS0_5tupleIJPjSI_NS0_16reverse_iteratorISI_EEEEENSH_IJSG_SG_SG_EEES9_SI_JZNS1_25segmented_radix_sort_implINS0_14default_configELb0EPK6__halfPSP_PKlPlN2at6native12_GLOBAL__N_18offset_tEEE10hipError_tPvRmT1_PNSt15iterator_traitsIS13_E10value_typeET2_T3_PNS14_IS19_E10value_typeET4_jRbjT5_S1F_jjP12ihipStream_tbEUljE_ZNSN_ISO_Lb0ESR_SS_SU_SV_SZ_EES10_S11_S12_S13_S17_S18_S19_S1C_S1D_jS1E_jS1F_S1F_jjS1H_bEUljE0_EEES10_S11_S12_S19_S1D_S1F_T6_T7_T9_mT8_S1H_bDpT10_ENKUlT_T0_E_clISt17integral_constantIbLb0EES1V_EEDaS1Q_S1R_EUlS1Q_E_NS1_11comp_targetILNS1_3genE5ELNS1_11target_archE942ELNS1_3gpuE9ELNS1_3repE0EEENS1_30default_config_static_selectorELNS0_4arch9wavefront6targetE0EEEvS13_.num_agpr, 0
	.set _ZN7rocprim17ROCPRIM_400000_NS6detail17trampoline_kernelINS0_13select_configILj256ELj13ELNS0_17block_load_methodE3ELS4_3ELS4_3ELNS0_20block_scan_algorithmE0ELj4294967295EEENS1_25partition_config_selectorILNS1_17partition_subalgoE4EjNS0_10empty_typeEbEEZZNS1_14partition_implILS8_4ELb0ES6_15HIP_vector_typeIjLj2EENS0_17counting_iteratorIjlEEPS9_SG_NS0_5tupleIJPjSI_NS0_16reverse_iteratorISI_EEEEENSH_IJSG_SG_SG_EEES9_SI_JZNS1_25segmented_radix_sort_implINS0_14default_configELb0EPK6__halfPSP_PKlPlN2at6native12_GLOBAL__N_18offset_tEEE10hipError_tPvRmT1_PNSt15iterator_traitsIS13_E10value_typeET2_T3_PNS14_IS19_E10value_typeET4_jRbjT5_S1F_jjP12ihipStream_tbEUljE_ZNSN_ISO_Lb0ESR_SS_SU_SV_SZ_EES10_S11_S12_S13_S17_S18_S19_S1C_S1D_jS1E_jS1F_S1F_jjS1H_bEUljE0_EEES10_S11_S12_S19_S1D_S1F_T6_T7_T9_mT8_S1H_bDpT10_ENKUlT_T0_E_clISt17integral_constantIbLb0EES1V_EEDaS1Q_S1R_EUlS1Q_E_NS1_11comp_targetILNS1_3genE5ELNS1_11target_archE942ELNS1_3gpuE9ELNS1_3repE0EEENS1_30default_config_static_selectorELNS0_4arch9wavefront6targetE0EEEvS13_.numbered_sgpr, 0
	.set _ZN7rocprim17ROCPRIM_400000_NS6detail17trampoline_kernelINS0_13select_configILj256ELj13ELNS0_17block_load_methodE3ELS4_3ELS4_3ELNS0_20block_scan_algorithmE0ELj4294967295EEENS1_25partition_config_selectorILNS1_17partition_subalgoE4EjNS0_10empty_typeEbEEZZNS1_14partition_implILS8_4ELb0ES6_15HIP_vector_typeIjLj2EENS0_17counting_iteratorIjlEEPS9_SG_NS0_5tupleIJPjSI_NS0_16reverse_iteratorISI_EEEEENSH_IJSG_SG_SG_EEES9_SI_JZNS1_25segmented_radix_sort_implINS0_14default_configELb0EPK6__halfPSP_PKlPlN2at6native12_GLOBAL__N_18offset_tEEE10hipError_tPvRmT1_PNSt15iterator_traitsIS13_E10value_typeET2_T3_PNS14_IS19_E10value_typeET4_jRbjT5_S1F_jjP12ihipStream_tbEUljE_ZNSN_ISO_Lb0ESR_SS_SU_SV_SZ_EES10_S11_S12_S13_S17_S18_S19_S1C_S1D_jS1E_jS1F_S1F_jjS1H_bEUljE0_EEES10_S11_S12_S19_S1D_S1F_T6_T7_T9_mT8_S1H_bDpT10_ENKUlT_T0_E_clISt17integral_constantIbLb0EES1V_EEDaS1Q_S1R_EUlS1Q_E_NS1_11comp_targetILNS1_3genE5ELNS1_11target_archE942ELNS1_3gpuE9ELNS1_3repE0EEENS1_30default_config_static_selectorELNS0_4arch9wavefront6targetE0EEEvS13_.num_named_barrier, 0
	.set _ZN7rocprim17ROCPRIM_400000_NS6detail17trampoline_kernelINS0_13select_configILj256ELj13ELNS0_17block_load_methodE3ELS4_3ELS4_3ELNS0_20block_scan_algorithmE0ELj4294967295EEENS1_25partition_config_selectorILNS1_17partition_subalgoE4EjNS0_10empty_typeEbEEZZNS1_14partition_implILS8_4ELb0ES6_15HIP_vector_typeIjLj2EENS0_17counting_iteratorIjlEEPS9_SG_NS0_5tupleIJPjSI_NS0_16reverse_iteratorISI_EEEEENSH_IJSG_SG_SG_EEES9_SI_JZNS1_25segmented_radix_sort_implINS0_14default_configELb0EPK6__halfPSP_PKlPlN2at6native12_GLOBAL__N_18offset_tEEE10hipError_tPvRmT1_PNSt15iterator_traitsIS13_E10value_typeET2_T3_PNS14_IS19_E10value_typeET4_jRbjT5_S1F_jjP12ihipStream_tbEUljE_ZNSN_ISO_Lb0ESR_SS_SU_SV_SZ_EES10_S11_S12_S13_S17_S18_S19_S1C_S1D_jS1E_jS1F_S1F_jjS1H_bEUljE0_EEES10_S11_S12_S19_S1D_S1F_T6_T7_T9_mT8_S1H_bDpT10_ENKUlT_T0_E_clISt17integral_constantIbLb0EES1V_EEDaS1Q_S1R_EUlS1Q_E_NS1_11comp_targetILNS1_3genE5ELNS1_11target_archE942ELNS1_3gpuE9ELNS1_3repE0EEENS1_30default_config_static_selectorELNS0_4arch9wavefront6targetE0EEEvS13_.private_seg_size, 0
	.set _ZN7rocprim17ROCPRIM_400000_NS6detail17trampoline_kernelINS0_13select_configILj256ELj13ELNS0_17block_load_methodE3ELS4_3ELS4_3ELNS0_20block_scan_algorithmE0ELj4294967295EEENS1_25partition_config_selectorILNS1_17partition_subalgoE4EjNS0_10empty_typeEbEEZZNS1_14partition_implILS8_4ELb0ES6_15HIP_vector_typeIjLj2EENS0_17counting_iteratorIjlEEPS9_SG_NS0_5tupleIJPjSI_NS0_16reverse_iteratorISI_EEEEENSH_IJSG_SG_SG_EEES9_SI_JZNS1_25segmented_radix_sort_implINS0_14default_configELb0EPK6__halfPSP_PKlPlN2at6native12_GLOBAL__N_18offset_tEEE10hipError_tPvRmT1_PNSt15iterator_traitsIS13_E10value_typeET2_T3_PNS14_IS19_E10value_typeET4_jRbjT5_S1F_jjP12ihipStream_tbEUljE_ZNSN_ISO_Lb0ESR_SS_SU_SV_SZ_EES10_S11_S12_S13_S17_S18_S19_S1C_S1D_jS1E_jS1F_S1F_jjS1H_bEUljE0_EEES10_S11_S12_S19_S1D_S1F_T6_T7_T9_mT8_S1H_bDpT10_ENKUlT_T0_E_clISt17integral_constantIbLb0EES1V_EEDaS1Q_S1R_EUlS1Q_E_NS1_11comp_targetILNS1_3genE5ELNS1_11target_archE942ELNS1_3gpuE9ELNS1_3repE0EEENS1_30default_config_static_selectorELNS0_4arch9wavefront6targetE0EEEvS13_.uses_vcc, 0
	.set _ZN7rocprim17ROCPRIM_400000_NS6detail17trampoline_kernelINS0_13select_configILj256ELj13ELNS0_17block_load_methodE3ELS4_3ELS4_3ELNS0_20block_scan_algorithmE0ELj4294967295EEENS1_25partition_config_selectorILNS1_17partition_subalgoE4EjNS0_10empty_typeEbEEZZNS1_14partition_implILS8_4ELb0ES6_15HIP_vector_typeIjLj2EENS0_17counting_iteratorIjlEEPS9_SG_NS0_5tupleIJPjSI_NS0_16reverse_iteratorISI_EEEEENSH_IJSG_SG_SG_EEES9_SI_JZNS1_25segmented_radix_sort_implINS0_14default_configELb0EPK6__halfPSP_PKlPlN2at6native12_GLOBAL__N_18offset_tEEE10hipError_tPvRmT1_PNSt15iterator_traitsIS13_E10value_typeET2_T3_PNS14_IS19_E10value_typeET4_jRbjT5_S1F_jjP12ihipStream_tbEUljE_ZNSN_ISO_Lb0ESR_SS_SU_SV_SZ_EES10_S11_S12_S13_S17_S18_S19_S1C_S1D_jS1E_jS1F_S1F_jjS1H_bEUljE0_EEES10_S11_S12_S19_S1D_S1F_T6_T7_T9_mT8_S1H_bDpT10_ENKUlT_T0_E_clISt17integral_constantIbLb0EES1V_EEDaS1Q_S1R_EUlS1Q_E_NS1_11comp_targetILNS1_3genE5ELNS1_11target_archE942ELNS1_3gpuE9ELNS1_3repE0EEENS1_30default_config_static_selectorELNS0_4arch9wavefront6targetE0EEEvS13_.uses_flat_scratch, 0
	.set _ZN7rocprim17ROCPRIM_400000_NS6detail17trampoline_kernelINS0_13select_configILj256ELj13ELNS0_17block_load_methodE3ELS4_3ELS4_3ELNS0_20block_scan_algorithmE0ELj4294967295EEENS1_25partition_config_selectorILNS1_17partition_subalgoE4EjNS0_10empty_typeEbEEZZNS1_14partition_implILS8_4ELb0ES6_15HIP_vector_typeIjLj2EENS0_17counting_iteratorIjlEEPS9_SG_NS0_5tupleIJPjSI_NS0_16reverse_iteratorISI_EEEEENSH_IJSG_SG_SG_EEES9_SI_JZNS1_25segmented_radix_sort_implINS0_14default_configELb0EPK6__halfPSP_PKlPlN2at6native12_GLOBAL__N_18offset_tEEE10hipError_tPvRmT1_PNSt15iterator_traitsIS13_E10value_typeET2_T3_PNS14_IS19_E10value_typeET4_jRbjT5_S1F_jjP12ihipStream_tbEUljE_ZNSN_ISO_Lb0ESR_SS_SU_SV_SZ_EES10_S11_S12_S13_S17_S18_S19_S1C_S1D_jS1E_jS1F_S1F_jjS1H_bEUljE0_EEES10_S11_S12_S19_S1D_S1F_T6_T7_T9_mT8_S1H_bDpT10_ENKUlT_T0_E_clISt17integral_constantIbLb0EES1V_EEDaS1Q_S1R_EUlS1Q_E_NS1_11comp_targetILNS1_3genE5ELNS1_11target_archE942ELNS1_3gpuE9ELNS1_3repE0EEENS1_30default_config_static_selectorELNS0_4arch9wavefront6targetE0EEEvS13_.has_dyn_sized_stack, 0
	.set _ZN7rocprim17ROCPRIM_400000_NS6detail17trampoline_kernelINS0_13select_configILj256ELj13ELNS0_17block_load_methodE3ELS4_3ELS4_3ELNS0_20block_scan_algorithmE0ELj4294967295EEENS1_25partition_config_selectorILNS1_17partition_subalgoE4EjNS0_10empty_typeEbEEZZNS1_14partition_implILS8_4ELb0ES6_15HIP_vector_typeIjLj2EENS0_17counting_iteratorIjlEEPS9_SG_NS0_5tupleIJPjSI_NS0_16reverse_iteratorISI_EEEEENSH_IJSG_SG_SG_EEES9_SI_JZNS1_25segmented_radix_sort_implINS0_14default_configELb0EPK6__halfPSP_PKlPlN2at6native12_GLOBAL__N_18offset_tEEE10hipError_tPvRmT1_PNSt15iterator_traitsIS13_E10value_typeET2_T3_PNS14_IS19_E10value_typeET4_jRbjT5_S1F_jjP12ihipStream_tbEUljE_ZNSN_ISO_Lb0ESR_SS_SU_SV_SZ_EES10_S11_S12_S13_S17_S18_S19_S1C_S1D_jS1E_jS1F_S1F_jjS1H_bEUljE0_EEES10_S11_S12_S19_S1D_S1F_T6_T7_T9_mT8_S1H_bDpT10_ENKUlT_T0_E_clISt17integral_constantIbLb0EES1V_EEDaS1Q_S1R_EUlS1Q_E_NS1_11comp_targetILNS1_3genE5ELNS1_11target_archE942ELNS1_3gpuE9ELNS1_3repE0EEENS1_30default_config_static_selectorELNS0_4arch9wavefront6targetE0EEEvS13_.has_recursion, 0
	.set _ZN7rocprim17ROCPRIM_400000_NS6detail17trampoline_kernelINS0_13select_configILj256ELj13ELNS0_17block_load_methodE3ELS4_3ELS4_3ELNS0_20block_scan_algorithmE0ELj4294967295EEENS1_25partition_config_selectorILNS1_17partition_subalgoE4EjNS0_10empty_typeEbEEZZNS1_14partition_implILS8_4ELb0ES6_15HIP_vector_typeIjLj2EENS0_17counting_iteratorIjlEEPS9_SG_NS0_5tupleIJPjSI_NS0_16reverse_iteratorISI_EEEEENSH_IJSG_SG_SG_EEES9_SI_JZNS1_25segmented_radix_sort_implINS0_14default_configELb0EPK6__halfPSP_PKlPlN2at6native12_GLOBAL__N_18offset_tEEE10hipError_tPvRmT1_PNSt15iterator_traitsIS13_E10value_typeET2_T3_PNS14_IS19_E10value_typeET4_jRbjT5_S1F_jjP12ihipStream_tbEUljE_ZNSN_ISO_Lb0ESR_SS_SU_SV_SZ_EES10_S11_S12_S13_S17_S18_S19_S1C_S1D_jS1E_jS1F_S1F_jjS1H_bEUljE0_EEES10_S11_S12_S19_S1D_S1F_T6_T7_T9_mT8_S1H_bDpT10_ENKUlT_T0_E_clISt17integral_constantIbLb0EES1V_EEDaS1Q_S1R_EUlS1Q_E_NS1_11comp_targetILNS1_3genE5ELNS1_11target_archE942ELNS1_3gpuE9ELNS1_3repE0EEENS1_30default_config_static_selectorELNS0_4arch9wavefront6targetE0EEEvS13_.has_indirect_call, 0
	.section	.AMDGPU.csdata,"",@progbits
; Kernel info:
; codeLenInByte = 0
; TotalNumSgprs: 0
; NumVgprs: 0
; ScratchSize: 0
; MemoryBound: 0
; FloatMode: 240
; IeeeMode: 1
; LDSByteSize: 0 bytes/workgroup (compile time only)
; SGPRBlocks: 0
; VGPRBlocks: 0
; NumSGPRsForWavesPerEU: 1
; NumVGPRsForWavesPerEU: 1
; Occupancy: 16
; WaveLimiterHint : 0
; COMPUTE_PGM_RSRC2:SCRATCH_EN: 0
; COMPUTE_PGM_RSRC2:USER_SGPR: 2
; COMPUTE_PGM_RSRC2:TRAP_HANDLER: 0
; COMPUTE_PGM_RSRC2:TGID_X_EN: 1
; COMPUTE_PGM_RSRC2:TGID_Y_EN: 0
; COMPUTE_PGM_RSRC2:TGID_Z_EN: 0
; COMPUTE_PGM_RSRC2:TIDIG_COMP_CNT: 0
	.section	.text._ZN7rocprim17ROCPRIM_400000_NS6detail17trampoline_kernelINS0_13select_configILj256ELj13ELNS0_17block_load_methodE3ELS4_3ELS4_3ELNS0_20block_scan_algorithmE0ELj4294967295EEENS1_25partition_config_selectorILNS1_17partition_subalgoE4EjNS0_10empty_typeEbEEZZNS1_14partition_implILS8_4ELb0ES6_15HIP_vector_typeIjLj2EENS0_17counting_iteratorIjlEEPS9_SG_NS0_5tupleIJPjSI_NS0_16reverse_iteratorISI_EEEEENSH_IJSG_SG_SG_EEES9_SI_JZNS1_25segmented_radix_sort_implINS0_14default_configELb0EPK6__halfPSP_PKlPlN2at6native12_GLOBAL__N_18offset_tEEE10hipError_tPvRmT1_PNSt15iterator_traitsIS13_E10value_typeET2_T3_PNS14_IS19_E10value_typeET4_jRbjT5_S1F_jjP12ihipStream_tbEUljE_ZNSN_ISO_Lb0ESR_SS_SU_SV_SZ_EES10_S11_S12_S13_S17_S18_S19_S1C_S1D_jS1E_jS1F_S1F_jjS1H_bEUljE0_EEES10_S11_S12_S19_S1D_S1F_T6_T7_T9_mT8_S1H_bDpT10_ENKUlT_T0_E_clISt17integral_constantIbLb0EES1V_EEDaS1Q_S1R_EUlS1Q_E_NS1_11comp_targetILNS1_3genE4ELNS1_11target_archE910ELNS1_3gpuE8ELNS1_3repE0EEENS1_30default_config_static_selectorELNS0_4arch9wavefront6targetE0EEEvS13_,"axG",@progbits,_ZN7rocprim17ROCPRIM_400000_NS6detail17trampoline_kernelINS0_13select_configILj256ELj13ELNS0_17block_load_methodE3ELS4_3ELS4_3ELNS0_20block_scan_algorithmE0ELj4294967295EEENS1_25partition_config_selectorILNS1_17partition_subalgoE4EjNS0_10empty_typeEbEEZZNS1_14partition_implILS8_4ELb0ES6_15HIP_vector_typeIjLj2EENS0_17counting_iteratorIjlEEPS9_SG_NS0_5tupleIJPjSI_NS0_16reverse_iteratorISI_EEEEENSH_IJSG_SG_SG_EEES9_SI_JZNS1_25segmented_radix_sort_implINS0_14default_configELb0EPK6__halfPSP_PKlPlN2at6native12_GLOBAL__N_18offset_tEEE10hipError_tPvRmT1_PNSt15iterator_traitsIS13_E10value_typeET2_T3_PNS14_IS19_E10value_typeET4_jRbjT5_S1F_jjP12ihipStream_tbEUljE_ZNSN_ISO_Lb0ESR_SS_SU_SV_SZ_EES10_S11_S12_S13_S17_S18_S19_S1C_S1D_jS1E_jS1F_S1F_jjS1H_bEUljE0_EEES10_S11_S12_S19_S1D_S1F_T6_T7_T9_mT8_S1H_bDpT10_ENKUlT_T0_E_clISt17integral_constantIbLb0EES1V_EEDaS1Q_S1R_EUlS1Q_E_NS1_11comp_targetILNS1_3genE4ELNS1_11target_archE910ELNS1_3gpuE8ELNS1_3repE0EEENS1_30default_config_static_selectorELNS0_4arch9wavefront6targetE0EEEvS13_,comdat
	.globl	_ZN7rocprim17ROCPRIM_400000_NS6detail17trampoline_kernelINS0_13select_configILj256ELj13ELNS0_17block_load_methodE3ELS4_3ELS4_3ELNS0_20block_scan_algorithmE0ELj4294967295EEENS1_25partition_config_selectorILNS1_17partition_subalgoE4EjNS0_10empty_typeEbEEZZNS1_14partition_implILS8_4ELb0ES6_15HIP_vector_typeIjLj2EENS0_17counting_iteratorIjlEEPS9_SG_NS0_5tupleIJPjSI_NS0_16reverse_iteratorISI_EEEEENSH_IJSG_SG_SG_EEES9_SI_JZNS1_25segmented_radix_sort_implINS0_14default_configELb0EPK6__halfPSP_PKlPlN2at6native12_GLOBAL__N_18offset_tEEE10hipError_tPvRmT1_PNSt15iterator_traitsIS13_E10value_typeET2_T3_PNS14_IS19_E10value_typeET4_jRbjT5_S1F_jjP12ihipStream_tbEUljE_ZNSN_ISO_Lb0ESR_SS_SU_SV_SZ_EES10_S11_S12_S13_S17_S18_S19_S1C_S1D_jS1E_jS1F_S1F_jjS1H_bEUljE0_EEES10_S11_S12_S19_S1D_S1F_T6_T7_T9_mT8_S1H_bDpT10_ENKUlT_T0_E_clISt17integral_constantIbLb0EES1V_EEDaS1Q_S1R_EUlS1Q_E_NS1_11comp_targetILNS1_3genE4ELNS1_11target_archE910ELNS1_3gpuE8ELNS1_3repE0EEENS1_30default_config_static_selectorELNS0_4arch9wavefront6targetE0EEEvS13_ ; -- Begin function _ZN7rocprim17ROCPRIM_400000_NS6detail17trampoline_kernelINS0_13select_configILj256ELj13ELNS0_17block_load_methodE3ELS4_3ELS4_3ELNS0_20block_scan_algorithmE0ELj4294967295EEENS1_25partition_config_selectorILNS1_17partition_subalgoE4EjNS0_10empty_typeEbEEZZNS1_14partition_implILS8_4ELb0ES6_15HIP_vector_typeIjLj2EENS0_17counting_iteratorIjlEEPS9_SG_NS0_5tupleIJPjSI_NS0_16reverse_iteratorISI_EEEEENSH_IJSG_SG_SG_EEES9_SI_JZNS1_25segmented_radix_sort_implINS0_14default_configELb0EPK6__halfPSP_PKlPlN2at6native12_GLOBAL__N_18offset_tEEE10hipError_tPvRmT1_PNSt15iterator_traitsIS13_E10value_typeET2_T3_PNS14_IS19_E10value_typeET4_jRbjT5_S1F_jjP12ihipStream_tbEUljE_ZNSN_ISO_Lb0ESR_SS_SU_SV_SZ_EES10_S11_S12_S13_S17_S18_S19_S1C_S1D_jS1E_jS1F_S1F_jjS1H_bEUljE0_EEES10_S11_S12_S19_S1D_S1F_T6_T7_T9_mT8_S1H_bDpT10_ENKUlT_T0_E_clISt17integral_constantIbLb0EES1V_EEDaS1Q_S1R_EUlS1Q_E_NS1_11comp_targetILNS1_3genE4ELNS1_11target_archE910ELNS1_3gpuE8ELNS1_3repE0EEENS1_30default_config_static_selectorELNS0_4arch9wavefront6targetE0EEEvS13_
	.p2align	8
	.type	_ZN7rocprim17ROCPRIM_400000_NS6detail17trampoline_kernelINS0_13select_configILj256ELj13ELNS0_17block_load_methodE3ELS4_3ELS4_3ELNS0_20block_scan_algorithmE0ELj4294967295EEENS1_25partition_config_selectorILNS1_17partition_subalgoE4EjNS0_10empty_typeEbEEZZNS1_14partition_implILS8_4ELb0ES6_15HIP_vector_typeIjLj2EENS0_17counting_iteratorIjlEEPS9_SG_NS0_5tupleIJPjSI_NS0_16reverse_iteratorISI_EEEEENSH_IJSG_SG_SG_EEES9_SI_JZNS1_25segmented_radix_sort_implINS0_14default_configELb0EPK6__halfPSP_PKlPlN2at6native12_GLOBAL__N_18offset_tEEE10hipError_tPvRmT1_PNSt15iterator_traitsIS13_E10value_typeET2_T3_PNS14_IS19_E10value_typeET4_jRbjT5_S1F_jjP12ihipStream_tbEUljE_ZNSN_ISO_Lb0ESR_SS_SU_SV_SZ_EES10_S11_S12_S13_S17_S18_S19_S1C_S1D_jS1E_jS1F_S1F_jjS1H_bEUljE0_EEES10_S11_S12_S19_S1D_S1F_T6_T7_T9_mT8_S1H_bDpT10_ENKUlT_T0_E_clISt17integral_constantIbLb0EES1V_EEDaS1Q_S1R_EUlS1Q_E_NS1_11comp_targetILNS1_3genE4ELNS1_11target_archE910ELNS1_3gpuE8ELNS1_3repE0EEENS1_30default_config_static_selectorELNS0_4arch9wavefront6targetE0EEEvS13_,@function
_ZN7rocprim17ROCPRIM_400000_NS6detail17trampoline_kernelINS0_13select_configILj256ELj13ELNS0_17block_load_methodE3ELS4_3ELS4_3ELNS0_20block_scan_algorithmE0ELj4294967295EEENS1_25partition_config_selectorILNS1_17partition_subalgoE4EjNS0_10empty_typeEbEEZZNS1_14partition_implILS8_4ELb0ES6_15HIP_vector_typeIjLj2EENS0_17counting_iteratorIjlEEPS9_SG_NS0_5tupleIJPjSI_NS0_16reverse_iteratorISI_EEEEENSH_IJSG_SG_SG_EEES9_SI_JZNS1_25segmented_radix_sort_implINS0_14default_configELb0EPK6__halfPSP_PKlPlN2at6native12_GLOBAL__N_18offset_tEEE10hipError_tPvRmT1_PNSt15iterator_traitsIS13_E10value_typeET2_T3_PNS14_IS19_E10value_typeET4_jRbjT5_S1F_jjP12ihipStream_tbEUljE_ZNSN_ISO_Lb0ESR_SS_SU_SV_SZ_EES10_S11_S12_S13_S17_S18_S19_S1C_S1D_jS1E_jS1F_S1F_jjS1H_bEUljE0_EEES10_S11_S12_S19_S1D_S1F_T6_T7_T9_mT8_S1H_bDpT10_ENKUlT_T0_E_clISt17integral_constantIbLb0EES1V_EEDaS1Q_S1R_EUlS1Q_E_NS1_11comp_targetILNS1_3genE4ELNS1_11target_archE910ELNS1_3gpuE8ELNS1_3repE0EEENS1_30default_config_static_selectorELNS0_4arch9wavefront6targetE0EEEvS13_: ; @_ZN7rocprim17ROCPRIM_400000_NS6detail17trampoline_kernelINS0_13select_configILj256ELj13ELNS0_17block_load_methodE3ELS4_3ELS4_3ELNS0_20block_scan_algorithmE0ELj4294967295EEENS1_25partition_config_selectorILNS1_17partition_subalgoE4EjNS0_10empty_typeEbEEZZNS1_14partition_implILS8_4ELb0ES6_15HIP_vector_typeIjLj2EENS0_17counting_iteratorIjlEEPS9_SG_NS0_5tupleIJPjSI_NS0_16reverse_iteratorISI_EEEEENSH_IJSG_SG_SG_EEES9_SI_JZNS1_25segmented_radix_sort_implINS0_14default_configELb0EPK6__halfPSP_PKlPlN2at6native12_GLOBAL__N_18offset_tEEE10hipError_tPvRmT1_PNSt15iterator_traitsIS13_E10value_typeET2_T3_PNS14_IS19_E10value_typeET4_jRbjT5_S1F_jjP12ihipStream_tbEUljE_ZNSN_ISO_Lb0ESR_SS_SU_SV_SZ_EES10_S11_S12_S13_S17_S18_S19_S1C_S1D_jS1E_jS1F_S1F_jjS1H_bEUljE0_EEES10_S11_S12_S19_S1D_S1F_T6_T7_T9_mT8_S1H_bDpT10_ENKUlT_T0_E_clISt17integral_constantIbLb0EES1V_EEDaS1Q_S1R_EUlS1Q_E_NS1_11comp_targetILNS1_3genE4ELNS1_11target_archE910ELNS1_3gpuE8ELNS1_3repE0EEENS1_30default_config_static_selectorELNS0_4arch9wavefront6targetE0EEEvS13_
; %bb.0:
	.section	.rodata,"a",@progbits
	.p2align	6, 0x0
	.amdhsa_kernel _ZN7rocprim17ROCPRIM_400000_NS6detail17trampoline_kernelINS0_13select_configILj256ELj13ELNS0_17block_load_methodE3ELS4_3ELS4_3ELNS0_20block_scan_algorithmE0ELj4294967295EEENS1_25partition_config_selectorILNS1_17partition_subalgoE4EjNS0_10empty_typeEbEEZZNS1_14partition_implILS8_4ELb0ES6_15HIP_vector_typeIjLj2EENS0_17counting_iteratorIjlEEPS9_SG_NS0_5tupleIJPjSI_NS0_16reverse_iteratorISI_EEEEENSH_IJSG_SG_SG_EEES9_SI_JZNS1_25segmented_radix_sort_implINS0_14default_configELb0EPK6__halfPSP_PKlPlN2at6native12_GLOBAL__N_18offset_tEEE10hipError_tPvRmT1_PNSt15iterator_traitsIS13_E10value_typeET2_T3_PNS14_IS19_E10value_typeET4_jRbjT5_S1F_jjP12ihipStream_tbEUljE_ZNSN_ISO_Lb0ESR_SS_SU_SV_SZ_EES10_S11_S12_S13_S17_S18_S19_S1C_S1D_jS1E_jS1F_S1F_jjS1H_bEUljE0_EEES10_S11_S12_S19_S1D_S1F_T6_T7_T9_mT8_S1H_bDpT10_ENKUlT_T0_E_clISt17integral_constantIbLb0EES1V_EEDaS1Q_S1R_EUlS1Q_E_NS1_11comp_targetILNS1_3genE4ELNS1_11target_archE910ELNS1_3gpuE8ELNS1_3repE0EEENS1_30default_config_static_selectorELNS0_4arch9wavefront6targetE0EEEvS13_
		.amdhsa_group_segment_fixed_size 0
		.amdhsa_private_segment_fixed_size 0
		.amdhsa_kernarg_size 176
		.amdhsa_user_sgpr_count 2
		.amdhsa_user_sgpr_dispatch_ptr 0
		.amdhsa_user_sgpr_queue_ptr 0
		.amdhsa_user_sgpr_kernarg_segment_ptr 1
		.amdhsa_user_sgpr_dispatch_id 0
		.amdhsa_user_sgpr_private_segment_size 0
		.amdhsa_wavefront_size32 1
		.amdhsa_uses_dynamic_stack 0
		.amdhsa_enable_private_segment 0
		.amdhsa_system_sgpr_workgroup_id_x 1
		.amdhsa_system_sgpr_workgroup_id_y 0
		.amdhsa_system_sgpr_workgroup_id_z 0
		.amdhsa_system_sgpr_workgroup_info 0
		.amdhsa_system_vgpr_workitem_id 0
		.amdhsa_next_free_vgpr 1
		.amdhsa_next_free_sgpr 1
		.amdhsa_reserve_vcc 0
		.amdhsa_float_round_mode_32 0
		.amdhsa_float_round_mode_16_64 0
		.amdhsa_float_denorm_mode_32 3
		.amdhsa_float_denorm_mode_16_64 3
		.amdhsa_fp16_overflow 0
		.amdhsa_workgroup_processor_mode 1
		.amdhsa_memory_ordered 1
		.amdhsa_forward_progress 1
		.amdhsa_inst_pref_size 0
		.amdhsa_round_robin_scheduling 0
		.amdhsa_exception_fp_ieee_invalid_op 0
		.amdhsa_exception_fp_denorm_src 0
		.amdhsa_exception_fp_ieee_div_zero 0
		.amdhsa_exception_fp_ieee_overflow 0
		.amdhsa_exception_fp_ieee_underflow 0
		.amdhsa_exception_fp_ieee_inexact 0
		.amdhsa_exception_int_div_zero 0
	.end_amdhsa_kernel
	.section	.text._ZN7rocprim17ROCPRIM_400000_NS6detail17trampoline_kernelINS0_13select_configILj256ELj13ELNS0_17block_load_methodE3ELS4_3ELS4_3ELNS0_20block_scan_algorithmE0ELj4294967295EEENS1_25partition_config_selectorILNS1_17partition_subalgoE4EjNS0_10empty_typeEbEEZZNS1_14partition_implILS8_4ELb0ES6_15HIP_vector_typeIjLj2EENS0_17counting_iteratorIjlEEPS9_SG_NS0_5tupleIJPjSI_NS0_16reverse_iteratorISI_EEEEENSH_IJSG_SG_SG_EEES9_SI_JZNS1_25segmented_radix_sort_implINS0_14default_configELb0EPK6__halfPSP_PKlPlN2at6native12_GLOBAL__N_18offset_tEEE10hipError_tPvRmT1_PNSt15iterator_traitsIS13_E10value_typeET2_T3_PNS14_IS19_E10value_typeET4_jRbjT5_S1F_jjP12ihipStream_tbEUljE_ZNSN_ISO_Lb0ESR_SS_SU_SV_SZ_EES10_S11_S12_S13_S17_S18_S19_S1C_S1D_jS1E_jS1F_S1F_jjS1H_bEUljE0_EEES10_S11_S12_S19_S1D_S1F_T6_T7_T9_mT8_S1H_bDpT10_ENKUlT_T0_E_clISt17integral_constantIbLb0EES1V_EEDaS1Q_S1R_EUlS1Q_E_NS1_11comp_targetILNS1_3genE4ELNS1_11target_archE910ELNS1_3gpuE8ELNS1_3repE0EEENS1_30default_config_static_selectorELNS0_4arch9wavefront6targetE0EEEvS13_,"axG",@progbits,_ZN7rocprim17ROCPRIM_400000_NS6detail17trampoline_kernelINS0_13select_configILj256ELj13ELNS0_17block_load_methodE3ELS4_3ELS4_3ELNS0_20block_scan_algorithmE0ELj4294967295EEENS1_25partition_config_selectorILNS1_17partition_subalgoE4EjNS0_10empty_typeEbEEZZNS1_14partition_implILS8_4ELb0ES6_15HIP_vector_typeIjLj2EENS0_17counting_iteratorIjlEEPS9_SG_NS0_5tupleIJPjSI_NS0_16reverse_iteratorISI_EEEEENSH_IJSG_SG_SG_EEES9_SI_JZNS1_25segmented_radix_sort_implINS0_14default_configELb0EPK6__halfPSP_PKlPlN2at6native12_GLOBAL__N_18offset_tEEE10hipError_tPvRmT1_PNSt15iterator_traitsIS13_E10value_typeET2_T3_PNS14_IS19_E10value_typeET4_jRbjT5_S1F_jjP12ihipStream_tbEUljE_ZNSN_ISO_Lb0ESR_SS_SU_SV_SZ_EES10_S11_S12_S13_S17_S18_S19_S1C_S1D_jS1E_jS1F_S1F_jjS1H_bEUljE0_EEES10_S11_S12_S19_S1D_S1F_T6_T7_T9_mT8_S1H_bDpT10_ENKUlT_T0_E_clISt17integral_constantIbLb0EES1V_EEDaS1Q_S1R_EUlS1Q_E_NS1_11comp_targetILNS1_3genE4ELNS1_11target_archE910ELNS1_3gpuE8ELNS1_3repE0EEENS1_30default_config_static_selectorELNS0_4arch9wavefront6targetE0EEEvS13_,comdat
.Lfunc_end1780:
	.size	_ZN7rocprim17ROCPRIM_400000_NS6detail17trampoline_kernelINS0_13select_configILj256ELj13ELNS0_17block_load_methodE3ELS4_3ELS4_3ELNS0_20block_scan_algorithmE0ELj4294967295EEENS1_25partition_config_selectorILNS1_17partition_subalgoE4EjNS0_10empty_typeEbEEZZNS1_14partition_implILS8_4ELb0ES6_15HIP_vector_typeIjLj2EENS0_17counting_iteratorIjlEEPS9_SG_NS0_5tupleIJPjSI_NS0_16reverse_iteratorISI_EEEEENSH_IJSG_SG_SG_EEES9_SI_JZNS1_25segmented_radix_sort_implINS0_14default_configELb0EPK6__halfPSP_PKlPlN2at6native12_GLOBAL__N_18offset_tEEE10hipError_tPvRmT1_PNSt15iterator_traitsIS13_E10value_typeET2_T3_PNS14_IS19_E10value_typeET4_jRbjT5_S1F_jjP12ihipStream_tbEUljE_ZNSN_ISO_Lb0ESR_SS_SU_SV_SZ_EES10_S11_S12_S13_S17_S18_S19_S1C_S1D_jS1E_jS1F_S1F_jjS1H_bEUljE0_EEES10_S11_S12_S19_S1D_S1F_T6_T7_T9_mT8_S1H_bDpT10_ENKUlT_T0_E_clISt17integral_constantIbLb0EES1V_EEDaS1Q_S1R_EUlS1Q_E_NS1_11comp_targetILNS1_3genE4ELNS1_11target_archE910ELNS1_3gpuE8ELNS1_3repE0EEENS1_30default_config_static_selectorELNS0_4arch9wavefront6targetE0EEEvS13_, .Lfunc_end1780-_ZN7rocprim17ROCPRIM_400000_NS6detail17trampoline_kernelINS0_13select_configILj256ELj13ELNS0_17block_load_methodE3ELS4_3ELS4_3ELNS0_20block_scan_algorithmE0ELj4294967295EEENS1_25partition_config_selectorILNS1_17partition_subalgoE4EjNS0_10empty_typeEbEEZZNS1_14partition_implILS8_4ELb0ES6_15HIP_vector_typeIjLj2EENS0_17counting_iteratorIjlEEPS9_SG_NS0_5tupleIJPjSI_NS0_16reverse_iteratorISI_EEEEENSH_IJSG_SG_SG_EEES9_SI_JZNS1_25segmented_radix_sort_implINS0_14default_configELb0EPK6__halfPSP_PKlPlN2at6native12_GLOBAL__N_18offset_tEEE10hipError_tPvRmT1_PNSt15iterator_traitsIS13_E10value_typeET2_T3_PNS14_IS19_E10value_typeET4_jRbjT5_S1F_jjP12ihipStream_tbEUljE_ZNSN_ISO_Lb0ESR_SS_SU_SV_SZ_EES10_S11_S12_S13_S17_S18_S19_S1C_S1D_jS1E_jS1F_S1F_jjS1H_bEUljE0_EEES10_S11_S12_S19_S1D_S1F_T6_T7_T9_mT8_S1H_bDpT10_ENKUlT_T0_E_clISt17integral_constantIbLb0EES1V_EEDaS1Q_S1R_EUlS1Q_E_NS1_11comp_targetILNS1_3genE4ELNS1_11target_archE910ELNS1_3gpuE8ELNS1_3repE0EEENS1_30default_config_static_selectorELNS0_4arch9wavefront6targetE0EEEvS13_
                                        ; -- End function
	.set _ZN7rocprim17ROCPRIM_400000_NS6detail17trampoline_kernelINS0_13select_configILj256ELj13ELNS0_17block_load_methodE3ELS4_3ELS4_3ELNS0_20block_scan_algorithmE0ELj4294967295EEENS1_25partition_config_selectorILNS1_17partition_subalgoE4EjNS0_10empty_typeEbEEZZNS1_14partition_implILS8_4ELb0ES6_15HIP_vector_typeIjLj2EENS0_17counting_iteratorIjlEEPS9_SG_NS0_5tupleIJPjSI_NS0_16reverse_iteratorISI_EEEEENSH_IJSG_SG_SG_EEES9_SI_JZNS1_25segmented_radix_sort_implINS0_14default_configELb0EPK6__halfPSP_PKlPlN2at6native12_GLOBAL__N_18offset_tEEE10hipError_tPvRmT1_PNSt15iterator_traitsIS13_E10value_typeET2_T3_PNS14_IS19_E10value_typeET4_jRbjT5_S1F_jjP12ihipStream_tbEUljE_ZNSN_ISO_Lb0ESR_SS_SU_SV_SZ_EES10_S11_S12_S13_S17_S18_S19_S1C_S1D_jS1E_jS1F_S1F_jjS1H_bEUljE0_EEES10_S11_S12_S19_S1D_S1F_T6_T7_T9_mT8_S1H_bDpT10_ENKUlT_T0_E_clISt17integral_constantIbLb0EES1V_EEDaS1Q_S1R_EUlS1Q_E_NS1_11comp_targetILNS1_3genE4ELNS1_11target_archE910ELNS1_3gpuE8ELNS1_3repE0EEENS1_30default_config_static_selectorELNS0_4arch9wavefront6targetE0EEEvS13_.num_vgpr, 0
	.set _ZN7rocprim17ROCPRIM_400000_NS6detail17trampoline_kernelINS0_13select_configILj256ELj13ELNS0_17block_load_methodE3ELS4_3ELS4_3ELNS0_20block_scan_algorithmE0ELj4294967295EEENS1_25partition_config_selectorILNS1_17partition_subalgoE4EjNS0_10empty_typeEbEEZZNS1_14partition_implILS8_4ELb0ES6_15HIP_vector_typeIjLj2EENS0_17counting_iteratorIjlEEPS9_SG_NS0_5tupleIJPjSI_NS0_16reverse_iteratorISI_EEEEENSH_IJSG_SG_SG_EEES9_SI_JZNS1_25segmented_radix_sort_implINS0_14default_configELb0EPK6__halfPSP_PKlPlN2at6native12_GLOBAL__N_18offset_tEEE10hipError_tPvRmT1_PNSt15iterator_traitsIS13_E10value_typeET2_T3_PNS14_IS19_E10value_typeET4_jRbjT5_S1F_jjP12ihipStream_tbEUljE_ZNSN_ISO_Lb0ESR_SS_SU_SV_SZ_EES10_S11_S12_S13_S17_S18_S19_S1C_S1D_jS1E_jS1F_S1F_jjS1H_bEUljE0_EEES10_S11_S12_S19_S1D_S1F_T6_T7_T9_mT8_S1H_bDpT10_ENKUlT_T0_E_clISt17integral_constantIbLb0EES1V_EEDaS1Q_S1R_EUlS1Q_E_NS1_11comp_targetILNS1_3genE4ELNS1_11target_archE910ELNS1_3gpuE8ELNS1_3repE0EEENS1_30default_config_static_selectorELNS0_4arch9wavefront6targetE0EEEvS13_.num_agpr, 0
	.set _ZN7rocprim17ROCPRIM_400000_NS6detail17trampoline_kernelINS0_13select_configILj256ELj13ELNS0_17block_load_methodE3ELS4_3ELS4_3ELNS0_20block_scan_algorithmE0ELj4294967295EEENS1_25partition_config_selectorILNS1_17partition_subalgoE4EjNS0_10empty_typeEbEEZZNS1_14partition_implILS8_4ELb0ES6_15HIP_vector_typeIjLj2EENS0_17counting_iteratorIjlEEPS9_SG_NS0_5tupleIJPjSI_NS0_16reverse_iteratorISI_EEEEENSH_IJSG_SG_SG_EEES9_SI_JZNS1_25segmented_radix_sort_implINS0_14default_configELb0EPK6__halfPSP_PKlPlN2at6native12_GLOBAL__N_18offset_tEEE10hipError_tPvRmT1_PNSt15iterator_traitsIS13_E10value_typeET2_T3_PNS14_IS19_E10value_typeET4_jRbjT5_S1F_jjP12ihipStream_tbEUljE_ZNSN_ISO_Lb0ESR_SS_SU_SV_SZ_EES10_S11_S12_S13_S17_S18_S19_S1C_S1D_jS1E_jS1F_S1F_jjS1H_bEUljE0_EEES10_S11_S12_S19_S1D_S1F_T6_T7_T9_mT8_S1H_bDpT10_ENKUlT_T0_E_clISt17integral_constantIbLb0EES1V_EEDaS1Q_S1R_EUlS1Q_E_NS1_11comp_targetILNS1_3genE4ELNS1_11target_archE910ELNS1_3gpuE8ELNS1_3repE0EEENS1_30default_config_static_selectorELNS0_4arch9wavefront6targetE0EEEvS13_.numbered_sgpr, 0
	.set _ZN7rocprim17ROCPRIM_400000_NS6detail17trampoline_kernelINS0_13select_configILj256ELj13ELNS0_17block_load_methodE3ELS4_3ELS4_3ELNS0_20block_scan_algorithmE0ELj4294967295EEENS1_25partition_config_selectorILNS1_17partition_subalgoE4EjNS0_10empty_typeEbEEZZNS1_14partition_implILS8_4ELb0ES6_15HIP_vector_typeIjLj2EENS0_17counting_iteratorIjlEEPS9_SG_NS0_5tupleIJPjSI_NS0_16reverse_iteratorISI_EEEEENSH_IJSG_SG_SG_EEES9_SI_JZNS1_25segmented_radix_sort_implINS0_14default_configELb0EPK6__halfPSP_PKlPlN2at6native12_GLOBAL__N_18offset_tEEE10hipError_tPvRmT1_PNSt15iterator_traitsIS13_E10value_typeET2_T3_PNS14_IS19_E10value_typeET4_jRbjT5_S1F_jjP12ihipStream_tbEUljE_ZNSN_ISO_Lb0ESR_SS_SU_SV_SZ_EES10_S11_S12_S13_S17_S18_S19_S1C_S1D_jS1E_jS1F_S1F_jjS1H_bEUljE0_EEES10_S11_S12_S19_S1D_S1F_T6_T7_T9_mT8_S1H_bDpT10_ENKUlT_T0_E_clISt17integral_constantIbLb0EES1V_EEDaS1Q_S1R_EUlS1Q_E_NS1_11comp_targetILNS1_3genE4ELNS1_11target_archE910ELNS1_3gpuE8ELNS1_3repE0EEENS1_30default_config_static_selectorELNS0_4arch9wavefront6targetE0EEEvS13_.num_named_barrier, 0
	.set _ZN7rocprim17ROCPRIM_400000_NS6detail17trampoline_kernelINS0_13select_configILj256ELj13ELNS0_17block_load_methodE3ELS4_3ELS4_3ELNS0_20block_scan_algorithmE0ELj4294967295EEENS1_25partition_config_selectorILNS1_17partition_subalgoE4EjNS0_10empty_typeEbEEZZNS1_14partition_implILS8_4ELb0ES6_15HIP_vector_typeIjLj2EENS0_17counting_iteratorIjlEEPS9_SG_NS0_5tupleIJPjSI_NS0_16reverse_iteratorISI_EEEEENSH_IJSG_SG_SG_EEES9_SI_JZNS1_25segmented_radix_sort_implINS0_14default_configELb0EPK6__halfPSP_PKlPlN2at6native12_GLOBAL__N_18offset_tEEE10hipError_tPvRmT1_PNSt15iterator_traitsIS13_E10value_typeET2_T3_PNS14_IS19_E10value_typeET4_jRbjT5_S1F_jjP12ihipStream_tbEUljE_ZNSN_ISO_Lb0ESR_SS_SU_SV_SZ_EES10_S11_S12_S13_S17_S18_S19_S1C_S1D_jS1E_jS1F_S1F_jjS1H_bEUljE0_EEES10_S11_S12_S19_S1D_S1F_T6_T7_T9_mT8_S1H_bDpT10_ENKUlT_T0_E_clISt17integral_constantIbLb0EES1V_EEDaS1Q_S1R_EUlS1Q_E_NS1_11comp_targetILNS1_3genE4ELNS1_11target_archE910ELNS1_3gpuE8ELNS1_3repE0EEENS1_30default_config_static_selectorELNS0_4arch9wavefront6targetE0EEEvS13_.private_seg_size, 0
	.set _ZN7rocprim17ROCPRIM_400000_NS6detail17trampoline_kernelINS0_13select_configILj256ELj13ELNS0_17block_load_methodE3ELS4_3ELS4_3ELNS0_20block_scan_algorithmE0ELj4294967295EEENS1_25partition_config_selectorILNS1_17partition_subalgoE4EjNS0_10empty_typeEbEEZZNS1_14partition_implILS8_4ELb0ES6_15HIP_vector_typeIjLj2EENS0_17counting_iteratorIjlEEPS9_SG_NS0_5tupleIJPjSI_NS0_16reverse_iteratorISI_EEEEENSH_IJSG_SG_SG_EEES9_SI_JZNS1_25segmented_radix_sort_implINS0_14default_configELb0EPK6__halfPSP_PKlPlN2at6native12_GLOBAL__N_18offset_tEEE10hipError_tPvRmT1_PNSt15iterator_traitsIS13_E10value_typeET2_T3_PNS14_IS19_E10value_typeET4_jRbjT5_S1F_jjP12ihipStream_tbEUljE_ZNSN_ISO_Lb0ESR_SS_SU_SV_SZ_EES10_S11_S12_S13_S17_S18_S19_S1C_S1D_jS1E_jS1F_S1F_jjS1H_bEUljE0_EEES10_S11_S12_S19_S1D_S1F_T6_T7_T9_mT8_S1H_bDpT10_ENKUlT_T0_E_clISt17integral_constantIbLb0EES1V_EEDaS1Q_S1R_EUlS1Q_E_NS1_11comp_targetILNS1_3genE4ELNS1_11target_archE910ELNS1_3gpuE8ELNS1_3repE0EEENS1_30default_config_static_selectorELNS0_4arch9wavefront6targetE0EEEvS13_.uses_vcc, 0
	.set _ZN7rocprim17ROCPRIM_400000_NS6detail17trampoline_kernelINS0_13select_configILj256ELj13ELNS0_17block_load_methodE3ELS4_3ELS4_3ELNS0_20block_scan_algorithmE0ELj4294967295EEENS1_25partition_config_selectorILNS1_17partition_subalgoE4EjNS0_10empty_typeEbEEZZNS1_14partition_implILS8_4ELb0ES6_15HIP_vector_typeIjLj2EENS0_17counting_iteratorIjlEEPS9_SG_NS0_5tupleIJPjSI_NS0_16reverse_iteratorISI_EEEEENSH_IJSG_SG_SG_EEES9_SI_JZNS1_25segmented_radix_sort_implINS0_14default_configELb0EPK6__halfPSP_PKlPlN2at6native12_GLOBAL__N_18offset_tEEE10hipError_tPvRmT1_PNSt15iterator_traitsIS13_E10value_typeET2_T3_PNS14_IS19_E10value_typeET4_jRbjT5_S1F_jjP12ihipStream_tbEUljE_ZNSN_ISO_Lb0ESR_SS_SU_SV_SZ_EES10_S11_S12_S13_S17_S18_S19_S1C_S1D_jS1E_jS1F_S1F_jjS1H_bEUljE0_EEES10_S11_S12_S19_S1D_S1F_T6_T7_T9_mT8_S1H_bDpT10_ENKUlT_T0_E_clISt17integral_constantIbLb0EES1V_EEDaS1Q_S1R_EUlS1Q_E_NS1_11comp_targetILNS1_3genE4ELNS1_11target_archE910ELNS1_3gpuE8ELNS1_3repE0EEENS1_30default_config_static_selectorELNS0_4arch9wavefront6targetE0EEEvS13_.uses_flat_scratch, 0
	.set _ZN7rocprim17ROCPRIM_400000_NS6detail17trampoline_kernelINS0_13select_configILj256ELj13ELNS0_17block_load_methodE3ELS4_3ELS4_3ELNS0_20block_scan_algorithmE0ELj4294967295EEENS1_25partition_config_selectorILNS1_17partition_subalgoE4EjNS0_10empty_typeEbEEZZNS1_14partition_implILS8_4ELb0ES6_15HIP_vector_typeIjLj2EENS0_17counting_iteratorIjlEEPS9_SG_NS0_5tupleIJPjSI_NS0_16reverse_iteratorISI_EEEEENSH_IJSG_SG_SG_EEES9_SI_JZNS1_25segmented_radix_sort_implINS0_14default_configELb0EPK6__halfPSP_PKlPlN2at6native12_GLOBAL__N_18offset_tEEE10hipError_tPvRmT1_PNSt15iterator_traitsIS13_E10value_typeET2_T3_PNS14_IS19_E10value_typeET4_jRbjT5_S1F_jjP12ihipStream_tbEUljE_ZNSN_ISO_Lb0ESR_SS_SU_SV_SZ_EES10_S11_S12_S13_S17_S18_S19_S1C_S1D_jS1E_jS1F_S1F_jjS1H_bEUljE0_EEES10_S11_S12_S19_S1D_S1F_T6_T7_T9_mT8_S1H_bDpT10_ENKUlT_T0_E_clISt17integral_constantIbLb0EES1V_EEDaS1Q_S1R_EUlS1Q_E_NS1_11comp_targetILNS1_3genE4ELNS1_11target_archE910ELNS1_3gpuE8ELNS1_3repE0EEENS1_30default_config_static_selectorELNS0_4arch9wavefront6targetE0EEEvS13_.has_dyn_sized_stack, 0
	.set _ZN7rocprim17ROCPRIM_400000_NS6detail17trampoline_kernelINS0_13select_configILj256ELj13ELNS0_17block_load_methodE3ELS4_3ELS4_3ELNS0_20block_scan_algorithmE0ELj4294967295EEENS1_25partition_config_selectorILNS1_17partition_subalgoE4EjNS0_10empty_typeEbEEZZNS1_14partition_implILS8_4ELb0ES6_15HIP_vector_typeIjLj2EENS0_17counting_iteratorIjlEEPS9_SG_NS0_5tupleIJPjSI_NS0_16reverse_iteratorISI_EEEEENSH_IJSG_SG_SG_EEES9_SI_JZNS1_25segmented_radix_sort_implINS0_14default_configELb0EPK6__halfPSP_PKlPlN2at6native12_GLOBAL__N_18offset_tEEE10hipError_tPvRmT1_PNSt15iterator_traitsIS13_E10value_typeET2_T3_PNS14_IS19_E10value_typeET4_jRbjT5_S1F_jjP12ihipStream_tbEUljE_ZNSN_ISO_Lb0ESR_SS_SU_SV_SZ_EES10_S11_S12_S13_S17_S18_S19_S1C_S1D_jS1E_jS1F_S1F_jjS1H_bEUljE0_EEES10_S11_S12_S19_S1D_S1F_T6_T7_T9_mT8_S1H_bDpT10_ENKUlT_T0_E_clISt17integral_constantIbLb0EES1V_EEDaS1Q_S1R_EUlS1Q_E_NS1_11comp_targetILNS1_3genE4ELNS1_11target_archE910ELNS1_3gpuE8ELNS1_3repE0EEENS1_30default_config_static_selectorELNS0_4arch9wavefront6targetE0EEEvS13_.has_recursion, 0
	.set _ZN7rocprim17ROCPRIM_400000_NS6detail17trampoline_kernelINS0_13select_configILj256ELj13ELNS0_17block_load_methodE3ELS4_3ELS4_3ELNS0_20block_scan_algorithmE0ELj4294967295EEENS1_25partition_config_selectorILNS1_17partition_subalgoE4EjNS0_10empty_typeEbEEZZNS1_14partition_implILS8_4ELb0ES6_15HIP_vector_typeIjLj2EENS0_17counting_iteratorIjlEEPS9_SG_NS0_5tupleIJPjSI_NS0_16reverse_iteratorISI_EEEEENSH_IJSG_SG_SG_EEES9_SI_JZNS1_25segmented_radix_sort_implINS0_14default_configELb0EPK6__halfPSP_PKlPlN2at6native12_GLOBAL__N_18offset_tEEE10hipError_tPvRmT1_PNSt15iterator_traitsIS13_E10value_typeET2_T3_PNS14_IS19_E10value_typeET4_jRbjT5_S1F_jjP12ihipStream_tbEUljE_ZNSN_ISO_Lb0ESR_SS_SU_SV_SZ_EES10_S11_S12_S13_S17_S18_S19_S1C_S1D_jS1E_jS1F_S1F_jjS1H_bEUljE0_EEES10_S11_S12_S19_S1D_S1F_T6_T7_T9_mT8_S1H_bDpT10_ENKUlT_T0_E_clISt17integral_constantIbLb0EES1V_EEDaS1Q_S1R_EUlS1Q_E_NS1_11comp_targetILNS1_3genE4ELNS1_11target_archE910ELNS1_3gpuE8ELNS1_3repE0EEENS1_30default_config_static_selectorELNS0_4arch9wavefront6targetE0EEEvS13_.has_indirect_call, 0
	.section	.AMDGPU.csdata,"",@progbits
; Kernel info:
; codeLenInByte = 0
; TotalNumSgprs: 0
; NumVgprs: 0
; ScratchSize: 0
; MemoryBound: 0
; FloatMode: 240
; IeeeMode: 1
; LDSByteSize: 0 bytes/workgroup (compile time only)
; SGPRBlocks: 0
; VGPRBlocks: 0
; NumSGPRsForWavesPerEU: 1
; NumVGPRsForWavesPerEU: 1
; Occupancy: 16
; WaveLimiterHint : 0
; COMPUTE_PGM_RSRC2:SCRATCH_EN: 0
; COMPUTE_PGM_RSRC2:USER_SGPR: 2
; COMPUTE_PGM_RSRC2:TRAP_HANDLER: 0
; COMPUTE_PGM_RSRC2:TGID_X_EN: 1
; COMPUTE_PGM_RSRC2:TGID_Y_EN: 0
; COMPUTE_PGM_RSRC2:TGID_Z_EN: 0
; COMPUTE_PGM_RSRC2:TIDIG_COMP_CNT: 0
	.section	.text._ZN7rocprim17ROCPRIM_400000_NS6detail17trampoline_kernelINS0_13select_configILj256ELj13ELNS0_17block_load_methodE3ELS4_3ELS4_3ELNS0_20block_scan_algorithmE0ELj4294967295EEENS1_25partition_config_selectorILNS1_17partition_subalgoE4EjNS0_10empty_typeEbEEZZNS1_14partition_implILS8_4ELb0ES6_15HIP_vector_typeIjLj2EENS0_17counting_iteratorIjlEEPS9_SG_NS0_5tupleIJPjSI_NS0_16reverse_iteratorISI_EEEEENSH_IJSG_SG_SG_EEES9_SI_JZNS1_25segmented_radix_sort_implINS0_14default_configELb0EPK6__halfPSP_PKlPlN2at6native12_GLOBAL__N_18offset_tEEE10hipError_tPvRmT1_PNSt15iterator_traitsIS13_E10value_typeET2_T3_PNS14_IS19_E10value_typeET4_jRbjT5_S1F_jjP12ihipStream_tbEUljE_ZNSN_ISO_Lb0ESR_SS_SU_SV_SZ_EES10_S11_S12_S13_S17_S18_S19_S1C_S1D_jS1E_jS1F_S1F_jjS1H_bEUljE0_EEES10_S11_S12_S19_S1D_S1F_T6_T7_T9_mT8_S1H_bDpT10_ENKUlT_T0_E_clISt17integral_constantIbLb0EES1V_EEDaS1Q_S1R_EUlS1Q_E_NS1_11comp_targetILNS1_3genE3ELNS1_11target_archE908ELNS1_3gpuE7ELNS1_3repE0EEENS1_30default_config_static_selectorELNS0_4arch9wavefront6targetE0EEEvS13_,"axG",@progbits,_ZN7rocprim17ROCPRIM_400000_NS6detail17trampoline_kernelINS0_13select_configILj256ELj13ELNS0_17block_load_methodE3ELS4_3ELS4_3ELNS0_20block_scan_algorithmE0ELj4294967295EEENS1_25partition_config_selectorILNS1_17partition_subalgoE4EjNS0_10empty_typeEbEEZZNS1_14partition_implILS8_4ELb0ES6_15HIP_vector_typeIjLj2EENS0_17counting_iteratorIjlEEPS9_SG_NS0_5tupleIJPjSI_NS0_16reverse_iteratorISI_EEEEENSH_IJSG_SG_SG_EEES9_SI_JZNS1_25segmented_radix_sort_implINS0_14default_configELb0EPK6__halfPSP_PKlPlN2at6native12_GLOBAL__N_18offset_tEEE10hipError_tPvRmT1_PNSt15iterator_traitsIS13_E10value_typeET2_T3_PNS14_IS19_E10value_typeET4_jRbjT5_S1F_jjP12ihipStream_tbEUljE_ZNSN_ISO_Lb0ESR_SS_SU_SV_SZ_EES10_S11_S12_S13_S17_S18_S19_S1C_S1D_jS1E_jS1F_S1F_jjS1H_bEUljE0_EEES10_S11_S12_S19_S1D_S1F_T6_T7_T9_mT8_S1H_bDpT10_ENKUlT_T0_E_clISt17integral_constantIbLb0EES1V_EEDaS1Q_S1R_EUlS1Q_E_NS1_11comp_targetILNS1_3genE3ELNS1_11target_archE908ELNS1_3gpuE7ELNS1_3repE0EEENS1_30default_config_static_selectorELNS0_4arch9wavefront6targetE0EEEvS13_,comdat
	.globl	_ZN7rocprim17ROCPRIM_400000_NS6detail17trampoline_kernelINS0_13select_configILj256ELj13ELNS0_17block_load_methodE3ELS4_3ELS4_3ELNS0_20block_scan_algorithmE0ELj4294967295EEENS1_25partition_config_selectorILNS1_17partition_subalgoE4EjNS0_10empty_typeEbEEZZNS1_14partition_implILS8_4ELb0ES6_15HIP_vector_typeIjLj2EENS0_17counting_iteratorIjlEEPS9_SG_NS0_5tupleIJPjSI_NS0_16reverse_iteratorISI_EEEEENSH_IJSG_SG_SG_EEES9_SI_JZNS1_25segmented_radix_sort_implINS0_14default_configELb0EPK6__halfPSP_PKlPlN2at6native12_GLOBAL__N_18offset_tEEE10hipError_tPvRmT1_PNSt15iterator_traitsIS13_E10value_typeET2_T3_PNS14_IS19_E10value_typeET4_jRbjT5_S1F_jjP12ihipStream_tbEUljE_ZNSN_ISO_Lb0ESR_SS_SU_SV_SZ_EES10_S11_S12_S13_S17_S18_S19_S1C_S1D_jS1E_jS1F_S1F_jjS1H_bEUljE0_EEES10_S11_S12_S19_S1D_S1F_T6_T7_T9_mT8_S1H_bDpT10_ENKUlT_T0_E_clISt17integral_constantIbLb0EES1V_EEDaS1Q_S1R_EUlS1Q_E_NS1_11comp_targetILNS1_3genE3ELNS1_11target_archE908ELNS1_3gpuE7ELNS1_3repE0EEENS1_30default_config_static_selectorELNS0_4arch9wavefront6targetE0EEEvS13_ ; -- Begin function _ZN7rocprim17ROCPRIM_400000_NS6detail17trampoline_kernelINS0_13select_configILj256ELj13ELNS0_17block_load_methodE3ELS4_3ELS4_3ELNS0_20block_scan_algorithmE0ELj4294967295EEENS1_25partition_config_selectorILNS1_17partition_subalgoE4EjNS0_10empty_typeEbEEZZNS1_14partition_implILS8_4ELb0ES6_15HIP_vector_typeIjLj2EENS0_17counting_iteratorIjlEEPS9_SG_NS0_5tupleIJPjSI_NS0_16reverse_iteratorISI_EEEEENSH_IJSG_SG_SG_EEES9_SI_JZNS1_25segmented_radix_sort_implINS0_14default_configELb0EPK6__halfPSP_PKlPlN2at6native12_GLOBAL__N_18offset_tEEE10hipError_tPvRmT1_PNSt15iterator_traitsIS13_E10value_typeET2_T3_PNS14_IS19_E10value_typeET4_jRbjT5_S1F_jjP12ihipStream_tbEUljE_ZNSN_ISO_Lb0ESR_SS_SU_SV_SZ_EES10_S11_S12_S13_S17_S18_S19_S1C_S1D_jS1E_jS1F_S1F_jjS1H_bEUljE0_EEES10_S11_S12_S19_S1D_S1F_T6_T7_T9_mT8_S1H_bDpT10_ENKUlT_T0_E_clISt17integral_constantIbLb0EES1V_EEDaS1Q_S1R_EUlS1Q_E_NS1_11comp_targetILNS1_3genE3ELNS1_11target_archE908ELNS1_3gpuE7ELNS1_3repE0EEENS1_30default_config_static_selectorELNS0_4arch9wavefront6targetE0EEEvS13_
	.p2align	8
	.type	_ZN7rocprim17ROCPRIM_400000_NS6detail17trampoline_kernelINS0_13select_configILj256ELj13ELNS0_17block_load_methodE3ELS4_3ELS4_3ELNS0_20block_scan_algorithmE0ELj4294967295EEENS1_25partition_config_selectorILNS1_17partition_subalgoE4EjNS0_10empty_typeEbEEZZNS1_14partition_implILS8_4ELb0ES6_15HIP_vector_typeIjLj2EENS0_17counting_iteratorIjlEEPS9_SG_NS0_5tupleIJPjSI_NS0_16reverse_iteratorISI_EEEEENSH_IJSG_SG_SG_EEES9_SI_JZNS1_25segmented_radix_sort_implINS0_14default_configELb0EPK6__halfPSP_PKlPlN2at6native12_GLOBAL__N_18offset_tEEE10hipError_tPvRmT1_PNSt15iterator_traitsIS13_E10value_typeET2_T3_PNS14_IS19_E10value_typeET4_jRbjT5_S1F_jjP12ihipStream_tbEUljE_ZNSN_ISO_Lb0ESR_SS_SU_SV_SZ_EES10_S11_S12_S13_S17_S18_S19_S1C_S1D_jS1E_jS1F_S1F_jjS1H_bEUljE0_EEES10_S11_S12_S19_S1D_S1F_T6_T7_T9_mT8_S1H_bDpT10_ENKUlT_T0_E_clISt17integral_constantIbLb0EES1V_EEDaS1Q_S1R_EUlS1Q_E_NS1_11comp_targetILNS1_3genE3ELNS1_11target_archE908ELNS1_3gpuE7ELNS1_3repE0EEENS1_30default_config_static_selectorELNS0_4arch9wavefront6targetE0EEEvS13_,@function
_ZN7rocprim17ROCPRIM_400000_NS6detail17trampoline_kernelINS0_13select_configILj256ELj13ELNS0_17block_load_methodE3ELS4_3ELS4_3ELNS0_20block_scan_algorithmE0ELj4294967295EEENS1_25partition_config_selectorILNS1_17partition_subalgoE4EjNS0_10empty_typeEbEEZZNS1_14partition_implILS8_4ELb0ES6_15HIP_vector_typeIjLj2EENS0_17counting_iteratorIjlEEPS9_SG_NS0_5tupleIJPjSI_NS0_16reverse_iteratorISI_EEEEENSH_IJSG_SG_SG_EEES9_SI_JZNS1_25segmented_radix_sort_implINS0_14default_configELb0EPK6__halfPSP_PKlPlN2at6native12_GLOBAL__N_18offset_tEEE10hipError_tPvRmT1_PNSt15iterator_traitsIS13_E10value_typeET2_T3_PNS14_IS19_E10value_typeET4_jRbjT5_S1F_jjP12ihipStream_tbEUljE_ZNSN_ISO_Lb0ESR_SS_SU_SV_SZ_EES10_S11_S12_S13_S17_S18_S19_S1C_S1D_jS1E_jS1F_S1F_jjS1H_bEUljE0_EEES10_S11_S12_S19_S1D_S1F_T6_T7_T9_mT8_S1H_bDpT10_ENKUlT_T0_E_clISt17integral_constantIbLb0EES1V_EEDaS1Q_S1R_EUlS1Q_E_NS1_11comp_targetILNS1_3genE3ELNS1_11target_archE908ELNS1_3gpuE7ELNS1_3repE0EEENS1_30default_config_static_selectorELNS0_4arch9wavefront6targetE0EEEvS13_: ; @_ZN7rocprim17ROCPRIM_400000_NS6detail17trampoline_kernelINS0_13select_configILj256ELj13ELNS0_17block_load_methodE3ELS4_3ELS4_3ELNS0_20block_scan_algorithmE0ELj4294967295EEENS1_25partition_config_selectorILNS1_17partition_subalgoE4EjNS0_10empty_typeEbEEZZNS1_14partition_implILS8_4ELb0ES6_15HIP_vector_typeIjLj2EENS0_17counting_iteratorIjlEEPS9_SG_NS0_5tupleIJPjSI_NS0_16reverse_iteratorISI_EEEEENSH_IJSG_SG_SG_EEES9_SI_JZNS1_25segmented_radix_sort_implINS0_14default_configELb0EPK6__halfPSP_PKlPlN2at6native12_GLOBAL__N_18offset_tEEE10hipError_tPvRmT1_PNSt15iterator_traitsIS13_E10value_typeET2_T3_PNS14_IS19_E10value_typeET4_jRbjT5_S1F_jjP12ihipStream_tbEUljE_ZNSN_ISO_Lb0ESR_SS_SU_SV_SZ_EES10_S11_S12_S13_S17_S18_S19_S1C_S1D_jS1E_jS1F_S1F_jjS1H_bEUljE0_EEES10_S11_S12_S19_S1D_S1F_T6_T7_T9_mT8_S1H_bDpT10_ENKUlT_T0_E_clISt17integral_constantIbLb0EES1V_EEDaS1Q_S1R_EUlS1Q_E_NS1_11comp_targetILNS1_3genE3ELNS1_11target_archE908ELNS1_3gpuE7ELNS1_3repE0EEENS1_30default_config_static_selectorELNS0_4arch9wavefront6targetE0EEEvS13_
; %bb.0:
	.section	.rodata,"a",@progbits
	.p2align	6, 0x0
	.amdhsa_kernel _ZN7rocprim17ROCPRIM_400000_NS6detail17trampoline_kernelINS0_13select_configILj256ELj13ELNS0_17block_load_methodE3ELS4_3ELS4_3ELNS0_20block_scan_algorithmE0ELj4294967295EEENS1_25partition_config_selectorILNS1_17partition_subalgoE4EjNS0_10empty_typeEbEEZZNS1_14partition_implILS8_4ELb0ES6_15HIP_vector_typeIjLj2EENS0_17counting_iteratorIjlEEPS9_SG_NS0_5tupleIJPjSI_NS0_16reverse_iteratorISI_EEEEENSH_IJSG_SG_SG_EEES9_SI_JZNS1_25segmented_radix_sort_implINS0_14default_configELb0EPK6__halfPSP_PKlPlN2at6native12_GLOBAL__N_18offset_tEEE10hipError_tPvRmT1_PNSt15iterator_traitsIS13_E10value_typeET2_T3_PNS14_IS19_E10value_typeET4_jRbjT5_S1F_jjP12ihipStream_tbEUljE_ZNSN_ISO_Lb0ESR_SS_SU_SV_SZ_EES10_S11_S12_S13_S17_S18_S19_S1C_S1D_jS1E_jS1F_S1F_jjS1H_bEUljE0_EEES10_S11_S12_S19_S1D_S1F_T6_T7_T9_mT8_S1H_bDpT10_ENKUlT_T0_E_clISt17integral_constantIbLb0EES1V_EEDaS1Q_S1R_EUlS1Q_E_NS1_11comp_targetILNS1_3genE3ELNS1_11target_archE908ELNS1_3gpuE7ELNS1_3repE0EEENS1_30default_config_static_selectorELNS0_4arch9wavefront6targetE0EEEvS13_
		.amdhsa_group_segment_fixed_size 0
		.amdhsa_private_segment_fixed_size 0
		.amdhsa_kernarg_size 176
		.amdhsa_user_sgpr_count 2
		.amdhsa_user_sgpr_dispatch_ptr 0
		.amdhsa_user_sgpr_queue_ptr 0
		.amdhsa_user_sgpr_kernarg_segment_ptr 1
		.amdhsa_user_sgpr_dispatch_id 0
		.amdhsa_user_sgpr_private_segment_size 0
		.amdhsa_wavefront_size32 1
		.amdhsa_uses_dynamic_stack 0
		.amdhsa_enable_private_segment 0
		.amdhsa_system_sgpr_workgroup_id_x 1
		.amdhsa_system_sgpr_workgroup_id_y 0
		.amdhsa_system_sgpr_workgroup_id_z 0
		.amdhsa_system_sgpr_workgroup_info 0
		.amdhsa_system_vgpr_workitem_id 0
		.amdhsa_next_free_vgpr 1
		.amdhsa_next_free_sgpr 1
		.amdhsa_reserve_vcc 0
		.amdhsa_float_round_mode_32 0
		.amdhsa_float_round_mode_16_64 0
		.amdhsa_float_denorm_mode_32 3
		.amdhsa_float_denorm_mode_16_64 3
		.amdhsa_fp16_overflow 0
		.amdhsa_workgroup_processor_mode 1
		.amdhsa_memory_ordered 1
		.amdhsa_forward_progress 1
		.amdhsa_inst_pref_size 0
		.amdhsa_round_robin_scheduling 0
		.amdhsa_exception_fp_ieee_invalid_op 0
		.amdhsa_exception_fp_denorm_src 0
		.amdhsa_exception_fp_ieee_div_zero 0
		.amdhsa_exception_fp_ieee_overflow 0
		.amdhsa_exception_fp_ieee_underflow 0
		.amdhsa_exception_fp_ieee_inexact 0
		.amdhsa_exception_int_div_zero 0
	.end_amdhsa_kernel
	.section	.text._ZN7rocprim17ROCPRIM_400000_NS6detail17trampoline_kernelINS0_13select_configILj256ELj13ELNS0_17block_load_methodE3ELS4_3ELS4_3ELNS0_20block_scan_algorithmE0ELj4294967295EEENS1_25partition_config_selectorILNS1_17partition_subalgoE4EjNS0_10empty_typeEbEEZZNS1_14partition_implILS8_4ELb0ES6_15HIP_vector_typeIjLj2EENS0_17counting_iteratorIjlEEPS9_SG_NS0_5tupleIJPjSI_NS0_16reverse_iteratorISI_EEEEENSH_IJSG_SG_SG_EEES9_SI_JZNS1_25segmented_radix_sort_implINS0_14default_configELb0EPK6__halfPSP_PKlPlN2at6native12_GLOBAL__N_18offset_tEEE10hipError_tPvRmT1_PNSt15iterator_traitsIS13_E10value_typeET2_T3_PNS14_IS19_E10value_typeET4_jRbjT5_S1F_jjP12ihipStream_tbEUljE_ZNSN_ISO_Lb0ESR_SS_SU_SV_SZ_EES10_S11_S12_S13_S17_S18_S19_S1C_S1D_jS1E_jS1F_S1F_jjS1H_bEUljE0_EEES10_S11_S12_S19_S1D_S1F_T6_T7_T9_mT8_S1H_bDpT10_ENKUlT_T0_E_clISt17integral_constantIbLb0EES1V_EEDaS1Q_S1R_EUlS1Q_E_NS1_11comp_targetILNS1_3genE3ELNS1_11target_archE908ELNS1_3gpuE7ELNS1_3repE0EEENS1_30default_config_static_selectorELNS0_4arch9wavefront6targetE0EEEvS13_,"axG",@progbits,_ZN7rocprim17ROCPRIM_400000_NS6detail17trampoline_kernelINS0_13select_configILj256ELj13ELNS0_17block_load_methodE3ELS4_3ELS4_3ELNS0_20block_scan_algorithmE0ELj4294967295EEENS1_25partition_config_selectorILNS1_17partition_subalgoE4EjNS0_10empty_typeEbEEZZNS1_14partition_implILS8_4ELb0ES6_15HIP_vector_typeIjLj2EENS0_17counting_iteratorIjlEEPS9_SG_NS0_5tupleIJPjSI_NS0_16reverse_iteratorISI_EEEEENSH_IJSG_SG_SG_EEES9_SI_JZNS1_25segmented_radix_sort_implINS0_14default_configELb0EPK6__halfPSP_PKlPlN2at6native12_GLOBAL__N_18offset_tEEE10hipError_tPvRmT1_PNSt15iterator_traitsIS13_E10value_typeET2_T3_PNS14_IS19_E10value_typeET4_jRbjT5_S1F_jjP12ihipStream_tbEUljE_ZNSN_ISO_Lb0ESR_SS_SU_SV_SZ_EES10_S11_S12_S13_S17_S18_S19_S1C_S1D_jS1E_jS1F_S1F_jjS1H_bEUljE0_EEES10_S11_S12_S19_S1D_S1F_T6_T7_T9_mT8_S1H_bDpT10_ENKUlT_T0_E_clISt17integral_constantIbLb0EES1V_EEDaS1Q_S1R_EUlS1Q_E_NS1_11comp_targetILNS1_3genE3ELNS1_11target_archE908ELNS1_3gpuE7ELNS1_3repE0EEENS1_30default_config_static_selectorELNS0_4arch9wavefront6targetE0EEEvS13_,comdat
.Lfunc_end1781:
	.size	_ZN7rocprim17ROCPRIM_400000_NS6detail17trampoline_kernelINS0_13select_configILj256ELj13ELNS0_17block_load_methodE3ELS4_3ELS4_3ELNS0_20block_scan_algorithmE0ELj4294967295EEENS1_25partition_config_selectorILNS1_17partition_subalgoE4EjNS0_10empty_typeEbEEZZNS1_14partition_implILS8_4ELb0ES6_15HIP_vector_typeIjLj2EENS0_17counting_iteratorIjlEEPS9_SG_NS0_5tupleIJPjSI_NS0_16reverse_iteratorISI_EEEEENSH_IJSG_SG_SG_EEES9_SI_JZNS1_25segmented_radix_sort_implINS0_14default_configELb0EPK6__halfPSP_PKlPlN2at6native12_GLOBAL__N_18offset_tEEE10hipError_tPvRmT1_PNSt15iterator_traitsIS13_E10value_typeET2_T3_PNS14_IS19_E10value_typeET4_jRbjT5_S1F_jjP12ihipStream_tbEUljE_ZNSN_ISO_Lb0ESR_SS_SU_SV_SZ_EES10_S11_S12_S13_S17_S18_S19_S1C_S1D_jS1E_jS1F_S1F_jjS1H_bEUljE0_EEES10_S11_S12_S19_S1D_S1F_T6_T7_T9_mT8_S1H_bDpT10_ENKUlT_T0_E_clISt17integral_constantIbLb0EES1V_EEDaS1Q_S1R_EUlS1Q_E_NS1_11comp_targetILNS1_3genE3ELNS1_11target_archE908ELNS1_3gpuE7ELNS1_3repE0EEENS1_30default_config_static_selectorELNS0_4arch9wavefront6targetE0EEEvS13_, .Lfunc_end1781-_ZN7rocprim17ROCPRIM_400000_NS6detail17trampoline_kernelINS0_13select_configILj256ELj13ELNS0_17block_load_methodE3ELS4_3ELS4_3ELNS0_20block_scan_algorithmE0ELj4294967295EEENS1_25partition_config_selectorILNS1_17partition_subalgoE4EjNS0_10empty_typeEbEEZZNS1_14partition_implILS8_4ELb0ES6_15HIP_vector_typeIjLj2EENS0_17counting_iteratorIjlEEPS9_SG_NS0_5tupleIJPjSI_NS0_16reverse_iteratorISI_EEEEENSH_IJSG_SG_SG_EEES9_SI_JZNS1_25segmented_radix_sort_implINS0_14default_configELb0EPK6__halfPSP_PKlPlN2at6native12_GLOBAL__N_18offset_tEEE10hipError_tPvRmT1_PNSt15iterator_traitsIS13_E10value_typeET2_T3_PNS14_IS19_E10value_typeET4_jRbjT5_S1F_jjP12ihipStream_tbEUljE_ZNSN_ISO_Lb0ESR_SS_SU_SV_SZ_EES10_S11_S12_S13_S17_S18_S19_S1C_S1D_jS1E_jS1F_S1F_jjS1H_bEUljE0_EEES10_S11_S12_S19_S1D_S1F_T6_T7_T9_mT8_S1H_bDpT10_ENKUlT_T0_E_clISt17integral_constantIbLb0EES1V_EEDaS1Q_S1R_EUlS1Q_E_NS1_11comp_targetILNS1_3genE3ELNS1_11target_archE908ELNS1_3gpuE7ELNS1_3repE0EEENS1_30default_config_static_selectorELNS0_4arch9wavefront6targetE0EEEvS13_
                                        ; -- End function
	.set _ZN7rocprim17ROCPRIM_400000_NS6detail17trampoline_kernelINS0_13select_configILj256ELj13ELNS0_17block_load_methodE3ELS4_3ELS4_3ELNS0_20block_scan_algorithmE0ELj4294967295EEENS1_25partition_config_selectorILNS1_17partition_subalgoE4EjNS0_10empty_typeEbEEZZNS1_14partition_implILS8_4ELb0ES6_15HIP_vector_typeIjLj2EENS0_17counting_iteratorIjlEEPS9_SG_NS0_5tupleIJPjSI_NS0_16reverse_iteratorISI_EEEEENSH_IJSG_SG_SG_EEES9_SI_JZNS1_25segmented_radix_sort_implINS0_14default_configELb0EPK6__halfPSP_PKlPlN2at6native12_GLOBAL__N_18offset_tEEE10hipError_tPvRmT1_PNSt15iterator_traitsIS13_E10value_typeET2_T3_PNS14_IS19_E10value_typeET4_jRbjT5_S1F_jjP12ihipStream_tbEUljE_ZNSN_ISO_Lb0ESR_SS_SU_SV_SZ_EES10_S11_S12_S13_S17_S18_S19_S1C_S1D_jS1E_jS1F_S1F_jjS1H_bEUljE0_EEES10_S11_S12_S19_S1D_S1F_T6_T7_T9_mT8_S1H_bDpT10_ENKUlT_T0_E_clISt17integral_constantIbLb0EES1V_EEDaS1Q_S1R_EUlS1Q_E_NS1_11comp_targetILNS1_3genE3ELNS1_11target_archE908ELNS1_3gpuE7ELNS1_3repE0EEENS1_30default_config_static_selectorELNS0_4arch9wavefront6targetE0EEEvS13_.num_vgpr, 0
	.set _ZN7rocprim17ROCPRIM_400000_NS6detail17trampoline_kernelINS0_13select_configILj256ELj13ELNS0_17block_load_methodE3ELS4_3ELS4_3ELNS0_20block_scan_algorithmE0ELj4294967295EEENS1_25partition_config_selectorILNS1_17partition_subalgoE4EjNS0_10empty_typeEbEEZZNS1_14partition_implILS8_4ELb0ES6_15HIP_vector_typeIjLj2EENS0_17counting_iteratorIjlEEPS9_SG_NS0_5tupleIJPjSI_NS0_16reverse_iteratorISI_EEEEENSH_IJSG_SG_SG_EEES9_SI_JZNS1_25segmented_radix_sort_implINS0_14default_configELb0EPK6__halfPSP_PKlPlN2at6native12_GLOBAL__N_18offset_tEEE10hipError_tPvRmT1_PNSt15iterator_traitsIS13_E10value_typeET2_T3_PNS14_IS19_E10value_typeET4_jRbjT5_S1F_jjP12ihipStream_tbEUljE_ZNSN_ISO_Lb0ESR_SS_SU_SV_SZ_EES10_S11_S12_S13_S17_S18_S19_S1C_S1D_jS1E_jS1F_S1F_jjS1H_bEUljE0_EEES10_S11_S12_S19_S1D_S1F_T6_T7_T9_mT8_S1H_bDpT10_ENKUlT_T0_E_clISt17integral_constantIbLb0EES1V_EEDaS1Q_S1R_EUlS1Q_E_NS1_11comp_targetILNS1_3genE3ELNS1_11target_archE908ELNS1_3gpuE7ELNS1_3repE0EEENS1_30default_config_static_selectorELNS0_4arch9wavefront6targetE0EEEvS13_.num_agpr, 0
	.set _ZN7rocprim17ROCPRIM_400000_NS6detail17trampoline_kernelINS0_13select_configILj256ELj13ELNS0_17block_load_methodE3ELS4_3ELS4_3ELNS0_20block_scan_algorithmE0ELj4294967295EEENS1_25partition_config_selectorILNS1_17partition_subalgoE4EjNS0_10empty_typeEbEEZZNS1_14partition_implILS8_4ELb0ES6_15HIP_vector_typeIjLj2EENS0_17counting_iteratorIjlEEPS9_SG_NS0_5tupleIJPjSI_NS0_16reverse_iteratorISI_EEEEENSH_IJSG_SG_SG_EEES9_SI_JZNS1_25segmented_radix_sort_implINS0_14default_configELb0EPK6__halfPSP_PKlPlN2at6native12_GLOBAL__N_18offset_tEEE10hipError_tPvRmT1_PNSt15iterator_traitsIS13_E10value_typeET2_T3_PNS14_IS19_E10value_typeET4_jRbjT5_S1F_jjP12ihipStream_tbEUljE_ZNSN_ISO_Lb0ESR_SS_SU_SV_SZ_EES10_S11_S12_S13_S17_S18_S19_S1C_S1D_jS1E_jS1F_S1F_jjS1H_bEUljE0_EEES10_S11_S12_S19_S1D_S1F_T6_T7_T9_mT8_S1H_bDpT10_ENKUlT_T0_E_clISt17integral_constantIbLb0EES1V_EEDaS1Q_S1R_EUlS1Q_E_NS1_11comp_targetILNS1_3genE3ELNS1_11target_archE908ELNS1_3gpuE7ELNS1_3repE0EEENS1_30default_config_static_selectorELNS0_4arch9wavefront6targetE0EEEvS13_.numbered_sgpr, 0
	.set _ZN7rocprim17ROCPRIM_400000_NS6detail17trampoline_kernelINS0_13select_configILj256ELj13ELNS0_17block_load_methodE3ELS4_3ELS4_3ELNS0_20block_scan_algorithmE0ELj4294967295EEENS1_25partition_config_selectorILNS1_17partition_subalgoE4EjNS0_10empty_typeEbEEZZNS1_14partition_implILS8_4ELb0ES6_15HIP_vector_typeIjLj2EENS0_17counting_iteratorIjlEEPS9_SG_NS0_5tupleIJPjSI_NS0_16reverse_iteratorISI_EEEEENSH_IJSG_SG_SG_EEES9_SI_JZNS1_25segmented_radix_sort_implINS0_14default_configELb0EPK6__halfPSP_PKlPlN2at6native12_GLOBAL__N_18offset_tEEE10hipError_tPvRmT1_PNSt15iterator_traitsIS13_E10value_typeET2_T3_PNS14_IS19_E10value_typeET4_jRbjT5_S1F_jjP12ihipStream_tbEUljE_ZNSN_ISO_Lb0ESR_SS_SU_SV_SZ_EES10_S11_S12_S13_S17_S18_S19_S1C_S1D_jS1E_jS1F_S1F_jjS1H_bEUljE0_EEES10_S11_S12_S19_S1D_S1F_T6_T7_T9_mT8_S1H_bDpT10_ENKUlT_T0_E_clISt17integral_constantIbLb0EES1V_EEDaS1Q_S1R_EUlS1Q_E_NS1_11comp_targetILNS1_3genE3ELNS1_11target_archE908ELNS1_3gpuE7ELNS1_3repE0EEENS1_30default_config_static_selectorELNS0_4arch9wavefront6targetE0EEEvS13_.num_named_barrier, 0
	.set _ZN7rocprim17ROCPRIM_400000_NS6detail17trampoline_kernelINS0_13select_configILj256ELj13ELNS0_17block_load_methodE3ELS4_3ELS4_3ELNS0_20block_scan_algorithmE0ELj4294967295EEENS1_25partition_config_selectorILNS1_17partition_subalgoE4EjNS0_10empty_typeEbEEZZNS1_14partition_implILS8_4ELb0ES6_15HIP_vector_typeIjLj2EENS0_17counting_iteratorIjlEEPS9_SG_NS0_5tupleIJPjSI_NS0_16reverse_iteratorISI_EEEEENSH_IJSG_SG_SG_EEES9_SI_JZNS1_25segmented_radix_sort_implINS0_14default_configELb0EPK6__halfPSP_PKlPlN2at6native12_GLOBAL__N_18offset_tEEE10hipError_tPvRmT1_PNSt15iterator_traitsIS13_E10value_typeET2_T3_PNS14_IS19_E10value_typeET4_jRbjT5_S1F_jjP12ihipStream_tbEUljE_ZNSN_ISO_Lb0ESR_SS_SU_SV_SZ_EES10_S11_S12_S13_S17_S18_S19_S1C_S1D_jS1E_jS1F_S1F_jjS1H_bEUljE0_EEES10_S11_S12_S19_S1D_S1F_T6_T7_T9_mT8_S1H_bDpT10_ENKUlT_T0_E_clISt17integral_constantIbLb0EES1V_EEDaS1Q_S1R_EUlS1Q_E_NS1_11comp_targetILNS1_3genE3ELNS1_11target_archE908ELNS1_3gpuE7ELNS1_3repE0EEENS1_30default_config_static_selectorELNS0_4arch9wavefront6targetE0EEEvS13_.private_seg_size, 0
	.set _ZN7rocprim17ROCPRIM_400000_NS6detail17trampoline_kernelINS0_13select_configILj256ELj13ELNS0_17block_load_methodE3ELS4_3ELS4_3ELNS0_20block_scan_algorithmE0ELj4294967295EEENS1_25partition_config_selectorILNS1_17partition_subalgoE4EjNS0_10empty_typeEbEEZZNS1_14partition_implILS8_4ELb0ES6_15HIP_vector_typeIjLj2EENS0_17counting_iteratorIjlEEPS9_SG_NS0_5tupleIJPjSI_NS0_16reverse_iteratorISI_EEEEENSH_IJSG_SG_SG_EEES9_SI_JZNS1_25segmented_radix_sort_implINS0_14default_configELb0EPK6__halfPSP_PKlPlN2at6native12_GLOBAL__N_18offset_tEEE10hipError_tPvRmT1_PNSt15iterator_traitsIS13_E10value_typeET2_T3_PNS14_IS19_E10value_typeET4_jRbjT5_S1F_jjP12ihipStream_tbEUljE_ZNSN_ISO_Lb0ESR_SS_SU_SV_SZ_EES10_S11_S12_S13_S17_S18_S19_S1C_S1D_jS1E_jS1F_S1F_jjS1H_bEUljE0_EEES10_S11_S12_S19_S1D_S1F_T6_T7_T9_mT8_S1H_bDpT10_ENKUlT_T0_E_clISt17integral_constantIbLb0EES1V_EEDaS1Q_S1R_EUlS1Q_E_NS1_11comp_targetILNS1_3genE3ELNS1_11target_archE908ELNS1_3gpuE7ELNS1_3repE0EEENS1_30default_config_static_selectorELNS0_4arch9wavefront6targetE0EEEvS13_.uses_vcc, 0
	.set _ZN7rocprim17ROCPRIM_400000_NS6detail17trampoline_kernelINS0_13select_configILj256ELj13ELNS0_17block_load_methodE3ELS4_3ELS4_3ELNS0_20block_scan_algorithmE0ELj4294967295EEENS1_25partition_config_selectorILNS1_17partition_subalgoE4EjNS0_10empty_typeEbEEZZNS1_14partition_implILS8_4ELb0ES6_15HIP_vector_typeIjLj2EENS0_17counting_iteratorIjlEEPS9_SG_NS0_5tupleIJPjSI_NS0_16reverse_iteratorISI_EEEEENSH_IJSG_SG_SG_EEES9_SI_JZNS1_25segmented_radix_sort_implINS0_14default_configELb0EPK6__halfPSP_PKlPlN2at6native12_GLOBAL__N_18offset_tEEE10hipError_tPvRmT1_PNSt15iterator_traitsIS13_E10value_typeET2_T3_PNS14_IS19_E10value_typeET4_jRbjT5_S1F_jjP12ihipStream_tbEUljE_ZNSN_ISO_Lb0ESR_SS_SU_SV_SZ_EES10_S11_S12_S13_S17_S18_S19_S1C_S1D_jS1E_jS1F_S1F_jjS1H_bEUljE0_EEES10_S11_S12_S19_S1D_S1F_T6_T7_T9_mT8_S1H_bDpT10_ENKUlT_T0_E_clISt17integral_constantIbLb0EES1V_EEDaS1Q_S1R_EUlS1Q_E_NS1_11comp_targetILNS1_3genE3ELNS1_11target_archE908ELNS1_3gpuE7ELNS1_3repE0EEENS1_30default_config_static_selectorELNS0_4arch9wavefront6targetE0EEEvS13_.uses_flat_scratch, 0
	.set _ZN7rocprim17ROCPRIM_400000_NS6detail17trampoline_kernelINS0_13select_configILj256ELj13ELNS0_17block_load_methodE3ELS4_3ELS4_3ELNS0_20block_scan_algorithmE0ELj4294967295EEENS1_25partition_config_selectorILNS1_17partition_subalgoE4EjNS0_10empty_typeEbEEZZNS1_14partition_implILS8_4ELb0ES6_15HIP_vector_typeIjLj2EENS0_17counting_iteratorIjlEEPS9_SG_NS0_5tupleIJPjSI_NS0_16reverse_iteratorISI_EEEEENSH_IJSG_SG_SG_EEES9_SI_JZNS1_25segmented_radix_sort_implINS0_14default_configELb0EPK6__halfPSP_PKlPlN2at6native12_GLOBAL__N_18offset_tEEE10hipError_tPvRmT1_PNSt15iterator_traitsIS13_E10value_typeET2_T3_PNS14_IS19_E10value_typeET4_jRbjT5_S1F_jjP12ihipStream_tbEUljE_ZNSN_ISO_Lb0ESR_SS_SU_SV_SZ_EES10_S11_S12_S13_S17_S18_S19_S1C_S1D_jS1E_jS1F_S1F_jjS1H_bEUljE0_EEES10_S11_S12_S19_S1D_S1F_T6_T7_T9_mT8_S1H_bDpT10_ENKUlT_T0_E_clISt17integral_constantIbLb0EES1V_EEDaS1Q_S1R_EUlS1Q_E_NS1_11comp_targetILNS1_3genE3ELNS1_11target_archE908ELNS1_3gpuE7ELNS1_3repE0EEENS1_30default_config_static_selectorELNS0_4arch9wavefront6targetE0EEEvS13_.has_dyn_sized_stack, 0
	.set _ZN7rocprim17ROCPRIM_400000_NS6detail17trampoline_kernelINS0_13select_configILj256ELj13ELNS0_17block_load_methodE3ELS4_3ELS4_3ELNS0_20block_scan_algorithmE0ELj4294967295EEENS1_25partition_config_selectorILNS1_17partition_subalgoE4EjNS0_10empty_typeEbEEZZNS1_14partition_implILS8_4ELb0ES6_15HIP_vector_typeIjLj2EENS0_17counting_iteratorIjlEEPS9_SG_NS0_5tupleIJPjSI_NS0_16reverse_iteratorISI_EEEEENSH_IJSG_SG_SG_EEES9_SI_JZNS1_25segmented_radix_sort_implINS0_14default_configELb0EPK6__halfPSP_PKlPlN2at6native12_GLOBAL__N_18offset_tEEE10hipError_tPvRmT1_PNSt15iterator_traitsIS13_E10value_typeET2_T3_PNS14_IS19_E10value_typeET4_jRbjT5_S1F_jjP12ihipStream_tbEUljE_ZNSN_ISO_Lb0ESR_SS_SU_SV_SZ_EES10_S11_S12_S13_S17_S18_S19_S1C_S1D_jS1E_jS1F_S1F_jjS1H_bEUljE0_EEES10_S11_S12_S19_S1D_S1F_T6_T7_T9_mT8_S1H_bDpT10_ENKUlT_T0_E_clISt17integral_constantIbLb0EES1V_EEDaS1Q_S1R_EUlS1Q_E_NS1_11comp_targetILNS1_3genE3ELNS1_11target_archE908ELNS1_3gpuE7ELNS1_3repE0EEENS1_30default_config_static_selectorELNS0_4arch9wavefront6targetE0EEEvS13_.has_recursion, 0
	.set _ZN7rocprim17ROCPRIM_400000_NS6detail17trampoline_kernelINS0_13select_configILj256ELj13ELNS0_17block_load_methodE3ELS4_3ELS4_3ELNS0_20block_scan_algorithmE0ELj4294967295EEENS1_25partition_config_selectorILNS1_17partition_subalgoE4EjNS0_10empty_typeEbEEZZNS1_14partition_implILS8_4ELb0ES6_15HIP_vector_typeIjLj2EENS0_17counting_iteratorIjlEEPS9_SG_NS0_5tupleIJPjSI_NS0_16reverse_iteratorISI_EEEEENSH_IJSG_SG_SG_EEES9_SI_JZNS1_25segmented_radix_sort_implINS0_14default_configELb0EPK6__halfPSP_PKlPlN2at6native12_GLOBAL__N_18offset_tEEE10hipError_tPvRmT1_PNSt15iterator_traitsIS13_E10value_typeET2_T3_PNS14_IS19_E10value_typeET4_jRbjT5_S1F_jjP12ihipStream_tbEUljE_ZNSN_ISO_Lb0ESR_SS_SU_SV_SZ_EES10_S11_S12_S13_S17_S18_S19_S1C_S1D_jS1E_jS1F_S1F_jjS1H_bEUljE0_EEES10_S11_S12_S19_S1D_S1F_T6_T7_T9_mT8_S1H_bDpT10_ENKUlT_T0_E_clISt17integral_constantIbLb0EES1V_EEDaS1Q_S1R_EUlS1Q_E_NS1_11comp_targetILNS1_3genE3ELNS1_11target_archE908ELNS1_3gpuE7ELNS1_3repE0EEENS1_30default_config_static_selectorELNS0_4arch9wavefront6targetE0EEEvS13_.has_indirect_call, 0
	.section	.AMDGPU.csdata,"",@progbits
; Kernel info:
; codeLenInByte = 0
; TotalNumSgprs: 0
; NumVgprs: 0
; ScratchSize: 0
; MemoryBound: 0
; FloatMode: 240
; IeeeMode: 1
; LDSByteSize: 0 bytes/workgroup (compile time only)
; SGPRBlocks: 0
; VGPRBlocks: 0
; NumSGPRsForWavesPerEU: 1
; NumVGPRsForWavesPerEU: 1
; Occupancy: 16
; WaveLimiterHint : 0
; COMPUTE_PGM_RSRC2:SCRATCH_EN: 0
; COMPUTE_PGM_RSRC2:USER_SGPR: 2
; COMPUTE_PGM_RSRC2:TRAP_HANDLER: 0
; COMPUTE_PGM_RSRC2:TGID_X_EN: 1
; COMPUTE_PGM_RSRC2:TGID_Y_EN: 0
; COMPUTE_PGM_RSRC2:TGID_Z_EN: 0
; COMPUTE_PGM_RSRC2:TIDIG_COMP_CNT: 0
	.section	.text._ZN7rocprim17ROCPRIM_400000_NS6detail17trampoline_kernelINS0_13select_configILj256ELj13ELNS0_17block_load_methodE3ELS4_3ELS4_3ELNS0_20block_scan_algorithmE0ELj4294967295EEENS1_25partition_config_selectorILNS1_17partition_subalgoE4EjNS0_10empty_typeEbEEZZNS1_14partition_implILS8_4ELb0ES6_15HIP_vector_typeIjLj2EENS0_17counting_iteratorIjlEEPS9_SG_NS0_5tupleIJPjSI_NS0_16reverse_iteratorISI_EEEEENSH_IJSG_SG_SG_EEES9_SI_JZNS1_25segmented_radix_sort_implINS0_14default_configELb0EPK6__halfPSP_PKlPlN2at6native12_GLOBAL__N_18offset_tEEE10hipError_tPvRmT1_PNSt15iterator_traitsIS13_E10value_typeET2_T3_PNS14_IS19_E10value_typeET4_jRbjT5_S1F_jjP12ihipStream_tbEUljE_ZNSN_ISO_Lb0ESR_SS_SU_SV_SZ_EES10_S11_S12_S13_S17_S18_S19_S1C_S1D_jS1E_jS1F_S1F_jjS1H_bEUljE0_EEES10_S11_S12_S19_S1D_S1F_T6_T7_T9_mT8_S1H_bDpT10_ENKUlT_T0_E_clISt17integral_constantIbLb0EES1V_EEDaS1Q_S1R_EUlS1Q_E_NS1_11comp_targetILNS1_3genE2ELNS1_11target_archE906ELNS1_3gpuE6ELNS1_3repE0EEENS1_30default_config_static_selectorELNS0_4arch9wavefront6targetE0EEEvS13_,"axG",@progbits,_ZN7rocprim17ROCPRIM_400000_NS6detail17trampoline_kernelINS0_13select_configILj256ELj13ELNS0_17block_load_methodE3ELS4_3ELS4_3ELNS0_20block_scan_algorithmE0ELj4294967295EEENS1_25partition_config_selectorILNS1_17partition_subalgoE4EjNS0_10empty_typeEbEEZZNS1_14partition_implILS8_4ELb0ES6_15HIP_vector_typeIjLj2EENS0_17counting_iteratorIjlEEPS9_SG_NS0_5tupleIJPjSI_NS0_16reverse_iteratorISI_EEEEENSH_IJSG_SG_SG_EEES9_SI_JZNS1_25segmented_radix_sort_implINS0_14default_configELb0EPK6__halfPSP_PKlPlN2at6native12_GLOBAL__N_18offset_tEEE10hipError_tPvRmT1_PNSt15iterator_traitsIS13_E10value_typeET2_T3_PNS14_IS19_E10value_typeET4_jRbjT5_S1F_jjP12ihipStream_tbEUljE_ZNSN_ISO_Lb0ESR_SS_SU_SV_SZ_EES10_S11_S12_S13_S17_S18_S19_S1C_S1D_jS1E_jS1F_S1F_jjS1H_bEUljE0_EEES10_S11_S12_S19_S1D_S1F_T6_T7_T9_mT8_S1H_bDpT10_ENKUlT_T0_E_clISt17integral_constantIbLb0EES1V_EEDaS1Q_S1R_EUlS1Q_E_NS1_11comp_targetILNS1_3genE2ELNS1_11target_archE906ELNS1_3gpuE6ELNS1_3repE0EEENS1_30default_config_static_selectorELNS0_4arch9wavefront6targetE0EEEvS13_,comdat
	.globl	_ZN7rocprim17ROCPRIM_400000_NS6detail17trampoline_kernelINS0_13select_configILj256ELj13ELNS0_17block_load_methodE3ELS4_3ELS4_3ELNS0_20block_scan_algorithmE0ELj4294967295EEENS1_25partition_config_selectorILNS1_17partition_subalgoE4EjNS0_10empty_typeEbEEZZNS1_14partition_implILS8_4ELb0ES6_15HIP_vector_typeIjLj2EENS0_17counting_iteratorIjlEEPS9_SG_NS0_5tupleIJPjSI_NS0_16reverse_iteratorISI_EEEEENSH_IJSG_SG_SG_EEES9_SI_JZNS1_25segmented_radix_sort_implINS0_14default_configELb0EPK6__halfPSP_PKlPlN2at6native12_GLOBAL__N_18offset_tEEE10hipError_tPvRmT1_PNSt15iterator_traitsIS13_E10value_typeET2_T3_PNS14_IS19_E10value_typeET4_jRbjT5_S1F_jjP12ihipStream_tbEUljE_ZNSN_ISO_Lb0ESR_SS_SU_SV_SZ_EES10_S11_S12_S13_S17_S18_S19_S1C_S1D_jS1E_jS1F_S1F_jjS1H_bEUljE0_EEES10_S11_S12_S19_S1D_S1F_T6_T7_T9_mT8_S1H_bDpT10_ENKUlT_T0_E_clISt17integral_constantIbLb0EES1V_EEDaS1Q_S1R_EUlS1Q_E_NS1_11comp_targetILNS1_3genE2ELNS1_11target_archE906ELNS1_3gpuE6ELNS1_3repE0EEENS1_30default_config_static_selectorELNS0_4arch9wavefront6targetE0EEEvS13_ ; -- Begin function _ZN7rocprim17ROCPRIM_400000_NS6detail17trampoline_kernelINS0_13select_configILj256ELj13ELNS0_17block_load_methodE3ELS4_3ELS4_3ELNS0_20block_scan_algorithmE0ELj4294967295EEENS1_25partition_config_selectorILNS1_17partition_subalgoE4EjNS0_10empty_typeEbEEZZNS1_14partition_implILS8_4ELb0ES6_15HIP_vector_typeIjLj2EENS0_17counting_iteratorIjlEEPS9_SG_NS0_5tupleIJPjSI_NS0_16reverse_iteratorISI_EEEEENSH_IJSG_SG_SG_EEES9_SI_JZNS1_25segmented_radix_sort_implINS0_14default_configELb0EPK6__halfPSP_PKlPlN2at6native12_GLOBAL__N_18offset_tEEE10hipError_tPvRmT1_PNSt15iterator_traitsIS13_E10value_typeET2_T3_PNS14_IS19_E10value_typeET4_jRbjT5_S1F_jjP12ihipStream_tbEUljE_ZNSN_ISO_Lb0ESR_SS_SU_SV_SZ_EES10_S11_S12_S13_S17_S18_S19_S1C_S1D_jS1E_jS1F_S1F_jjS1H_bEUljE0_EEES10_S11_S12_S19_S1D_S1F_T6_T7_T9_mT8_S1H_bDpT10_ENKUlT_T0_E_clISt17integral_constantIbLb0EES1V_EEDaS1Q_S1R_EUlS1Q_E_NS1_11comp_targetILNS1_3genE2ELNS1_11target_archE906ELNS1_3gpuE6ELNS1_3repE0EEENS1_30default_config_static_selectorELNS0_4arch9wavefront6targetE0EEEvS13_
	.p2align	8
	.type	_ZN7rocprim17ROCPRIM_400000_NS6detail17trampoline_kernelINS0_13select_configILj256ELj13ELNS0_17block_load_methodE3ELS4_3ELS4_3ELNS0_20block_scan_algorithmE0ELj4294967295EEENS1_25partition_config_selectorILNS1_17partition_subalgoE4EjNS0_10empty_typeEbEEZZNS1_14partition_implILS8_4ELb0ES6_15HIP_vector_typeIjLj2EENS0_17counting_iteratorIjlEEPS9_SG_NS0_5tupleIJPjSI_NS0_16reverse_iteratorISI_EEEEENSH_IJSG_SG_SG_EEES9_SI_JZNS1_25segmented_radix_sort_implINS0_14default_configELb0EPK6__halfPSP_PKlPlN2at6native12_GLOBAL__N_18offset_tEEE10hipError_tPvRmT1_PNSt15iterator_traitsIS13_E10value_typeET2_T3_PNS14_IS19_E10value_typeET4_jRbjT5_S1F_jjP12ihipStream_tbEUljE_ZNSN_ISO_Lb0ESR_SS_SU_SV_SZ_EES10_S11_S12_S13_S17_S18_S19_S1C_S1D_jS1E_jS1F_S1F_jjS1H_bEUljE0_EEES10_S11_S12_S19_S1D_S1F_T6_T7_T9_mT8_S1H_bDpT10_ENKUlT_T0_E_clISt17integral_constantIbLb0EES1V_EEDaS1Q_S1R_EUlS1Q_E_NS1_11comp_targetILNS1_3genE2ELNS1_11target_archE906ELNS1_3gpuE6ELNS1_3repE0EEENS1_30default_config_static_selectorELNS0_4arch9wavefront6targetE0EEEvS13_,@function
_ZN7rocprim17ROCPRIM_400000_NS6detail17trampoline_kernelINS0_13select_configILj256ELj13ELNS0_17block_load_methodE3ELS4_3ELS4_3ELNS0_20block_scan_algorithmE0ELj4294967295EEENS1_25partition_config_selectorILNS1_17partition_subalgoE4EjNS0_10empty_typeEbEEZZNS1_14partition_implILS8_4ELb0ES6_15HIP_vector_typeIjLj2EENS0_17counting_iteratorIjlEEPS9_SG_NS0_5tupleIJPjSI_NS0_16reverse_iteratorISI_EEEEENSH_IJSG_SG_SG_EEES9_SI_JZNS1_25segmented_radix_sort_implINS0_14default_configELb0EPK6__halfPSP_PKlPlN2at6native12_GLOBAL__N_18offset_tEEE10hipError_tPvRmT1_PNSt15iterator_traitsIS13_E10value_typeET2_T3_PNS14_IS19_E10value_typeET4_jRbjT5_S1F_jjP12ihipStream_tbEUljE_ZNSN_ISO_Lb0ESR_SS_SU_SV_SZ_EES10_S11_S12_S13_S17_S18_S19_S1C_S1D_jS1E_jS1F_S1F_jjS1H_bEUljE0_EEES10_S11_S12_S19_S1D_S1F_T6_T7_T9_mT8_S1H_bDpT10_ENKUlT_T0_E_clISt17integral_constantIbLb0EES1V_EEDaS1Q_S1R_EUlS1Q_E_NS1_11comp_targetILNS1_3genE2ELNS1_11target_archE906ELNS1_3gpuE6ELNS1_3repE0EEENS1_30default_config_static_selectorELNS0_4arch9wavefront6targetE0EEEvS13_: ; @_ZN7rocprim17ROCPRIM_400000_NS6detail17trampoline_kernelINS0_13select_configILj256ELj13ELNS0_17block_load_methodE3ELS4_3ELS4_3ELNS0_20block_scan_algorithmE0ELj4294967295EEENS1_25partition_config_selectorILNS1_17partition_subalgoE4EjNS0_10empty_typeEbEEZZNS1_14partition_implILS8_4ELb0ES6_15HIP_vector_typeIjLj2EENS0_17counting_iteratorIjlEEPS9_SG_NS0_5tupleIJPjSI_NS0_16reverse_iteratorISI_EEEEENSH_IJSG_SG_SG_EEES9_SI_JZNS1_25segmented_radix_sort_implINS0_14default_configELb0EPK6__halfPSP_PKlPlN2at6native12_GLOBAL__N_18offset_tEEE10hipError_tPvRmT1_PNSt15iterator_traitsIS13_E10value_typeET2_T3_PNS14_IS19_E10value_typeET4_jRbjT5_S1F_jjP12ihipStream_tbEUljE_ZNSN_ISO_Lb0ESR_SS_SU_SV_SZ_EES10_S11_S12_S13_S17_S18_S19_S1C_S1D_jS1E_jS1F_S1F_jjS1H_bEUljE0_EEES10_S11_S12_S19_S1D_S1F_T6_T7_T9_mT8_S1H_bDpT10_ENKUlT_T0_E_clISt17integral_constantIbLb0EES1V_EEDaS1Q_S1R_EUlS1Q_E_NS1_11comp_targetILNS1_3genE2ELNS1_11target_archE906ELNS1_3gpuE6ELNS1_3repE0EEENS1_30default_config_static_selectorELNS0_4arch9wavefront6targetE0EEEvS13_
; %bb.0:
	.section	.rodata,"a",@progbits
	.p2align	6, 0x0
	.amdhsa_kernel _ZN7rocprim17ROCPRIM_400000_NS6detail17trampoline_kernelINS0_13select_configILj256ELj13ELNS0_17block_load_methodE3ELS4_3ELS4_3ELNS0_20block_scan_algorithmE0ELj4294967295EEENS1_25partition_config_selectorILNS1_17partition_subalgoE4EjNS0_10empty_typeEbEEZZNS1_14partition_implILS8_4ELb0ES6_15HIP_vector_typeIjLj2EENS0_17counting_iteratorIjlEEPS9_SG_NS0_5tupleIJPjSI_NS0_16reverse_iteratorISI_EEEEENSH_IJSG_SG_SG_EEES9_SI_JZNS1_25segmented_radix_sort_implINS0_14default_configELb0EPK6__halfPSP_PKlPlN2at6native12_GLOBAL__N_18offset_tEEE10hipError_tPvRmT1_PNSt15iterator_traitsIS13_E10value_typeET2_T3_PNS14_IS19_E10value_typeET4_jRbjT5_S1F_jjP12ihipStream_tbEUljE_ZNSN_ISO_Lb0ESR_SS_SU_SV_SZ_EES10_S11_S12_S13_S17_S18_S19_S1C_S1D_jS1E_jS1F_S1F_jjS1H_bEUljE0_EEES10_S11_S12_S19_S1D_S1F_T6_T7_T9_mT8_S1H_bDpT10_ENKUlT_T0_E_clISt17integral_constantIbLb0EES1V_EEDaS1Q_S1R_EUlS1Q_E_NS1_11comp_targetILNS1_3genE2ELNS1_11target_archE906ELNS1_3gpuE6ELNS1_3repE0EEENS1_30default_config_static_selectorELNS0_4arch9wavefront6targetE0EEEvS13_
		.amdhsa_group_segment_fixed_size 0
		.amdhsa_private_segment_fixed_size 0
		.amdhsa_kernarg_size 176
		.amdhsa_user_sgpr_count 2
		.amdhsa_user_sgpr_dispatch_ptr 0
		.amdhsa_user_sgpr_queue_ptr 0
		.amdhsa_user_sgpr_kernarg_segment_ptr 1
		.amdhsa_user_sgpr_dispatch_id 0
		.amdhsa_user_sgpr_private_segment_size 0
		.amdhsa_wavefront_size32 1
		.amdhsa_uses_dynamic_stack 0
		.amdhsa_enable_private_segment 0
		.amdhsa_system_sgpr_workgroup_id_x 1
		.amdhsa_system_sgpr_workgroup_id_y 0
		.amdhsa_system_sgpr_workgroup_id_z 0
		.amdhsa_system_sgpr_workgroup_info 0
		.amdhsa_system_vgpr_workitem_id 0
		.amdhsa_next_free_vgpr 1
		.amdhsa_next_free_sgpr 1
		.amdhsa_reserve_vcc 0
		.amdhsa_float_round_mode_32 0
		.amdhsa_float_round_mode_16_64 0
		.amdhsa_float_denorm_mode_32 3
		.amdhsa_float_denorm_mode_16_64 3
		.amdhsa_fp16_overflow 0
		.amdhsa_workgroup_processor_mode 1
		.amdhsa_memory_ordered 1
		.amdhsa_forward_progress 1
		.amdhsa_inst_pref_size 0
		.amdhsa_round_robin_scheduling 0
		.amdhsa_exception_fp_ieee_invalid_op 0
		.amdhsa_exception_fp_denorm_src 0
		.amdhsa_exception_fp_ieee_div_zero 0
		.amdhsa_exception_fp_ieee_overflow 0
		.amdhsa_exception_fp_ieee_underflow 0
		.amdhsa_exception_fp_ieee_inexact 0
		.amdhsa_exception_int_div_zero 0
	.end_amdhsa_kernel
	.section	.text._ZN7rocprim17ROCPRIM_400000_NS6detail17trampoline_kernelINS0_13select_configILj256ELj13ELNS0_17block_load_methodE3ELS4_3ELS4_3ELNS0_20block_scan_algorithmE0ELj4294967295EEENS1_25partition_config_selectorILNS1_17partition_subalgoE4EjNS0_10empty_typeEbEEZZNS1_14partition_implILS8_4ELb0ES6_15HIP_vector_typeIjLj2EENS0_17counting_iteratorIjlEEPS9_SG_NS0_5tupleIJPjSI_NS0_16reverse_iteratorISI_EEEEENSH_IJSG_SG_SG_EEES9_SI_JZNS1_25segmented_radix_sort_implINS0_14default_configELb0EPK6__halfPSP_PKlPlN2at6native12_GLOBAL__N_18offset_tEEE10hipError_tPvRmT1_PNSt15iterator_traitsIS13_E10value_typeET2_T3_PNS14_IS19_E10value_typeET4_jRbjT5_S1F_jjP12ihipStream_tbEUljE_ZNSN_ISO_Lb0ESR_SS_SU_SV_SZ_EES10_S11_S12_S13_S17_S18_S19_S1C_S1D_jS1E_jS1F_S1F_jjS1H_bEUljE0_EEES10_S11_S12_S19_S1D_S1F_T6_T7_T9_mT8_S1H_bDpT10_ENKUlT_T0_E_clISt17integral_constantIbLb0EES1V_EEDaS1Q_S1R_EUlS1Q_E_NS1_11comp_targetILNS1_3genE2ELNS1_11target_archE906ELNS1_3gpuE6ELNS1_3repE0EEENS1_30default_config_static_selectorELNS0_4arch9wavefront6targetE0EEEvS13_,"axG",@progbits,_ZN7rocprim17ROCPRIM_400000_NS6detail17trampoline_kernelINS0_13select_configILj256ELj13ELNS0_17block_load_methodE3ELS4_3ELS4_3ELNS0_20block_scan_algorithmE0ELj4294967295EEENS1_25partition_config_selectorILNS1_17partition_subalgoE4EjNS0_10empty_typeEbEEZZNS1_14partition_implILS8_4ELb0ES6_15HIP_vector_typeIjLj2EENS0_17counting_iteratorIjlEEPS9_SG_NS0_5tupleIJPjSI_NS0_16reverse_iteratorISI_EEEEENSH_IJSG_SG_SG_EEES9_SI_JZNS1_25segmented_radix_sort_implINS0_14default_configELb0EPK6__halfPSP_PKlPlN2at6native12_GLOBAL__N_18offset_tEEE10hipError_tPvRmT1_PNSt15iterator_traitsIS13_E10value_typeET2_T3_PNS14_IS19_E10value_typeET4_jRbjT5_S1F_jjP12ihipStream_tbEUljE_ZNSN_ISO_Lb0ESR_SS_SU_SV_SZ_EES10_S11_S12_S13_S17_S18_S19_S1C_S1D_jS1E_jS1F_S1F_jjS1H_bEUljE0_EEES10_S11_S12_S19_S1D_S1F_T6_T7_T9_mT8_S1H_bDpT10_ENKUlT_T0_E_clISt17integral_constantIbLb0EES1V_EEDaS1Q_S1R_EUlS1Q_E_NS1_11comp_targetILNS1_3genE2ELNS1_11target_archE906ELNS1_3gpuE6ELNS1_3repE0EEENS1_30default_config_static_selectorELNS0_4arch9wavefront6targetE0EEEvS13_,comdat
.Lfunc_end1782:
	.size	_ZN7rocprim17ROCPRIM_400000_NS6detail17trampoline_kernelINS0_13select_configILj256ELj13ELNS0_17block_load_methodE3ELS4_3ELS4_3ELNS0_20block_scan_algorithmE0ELj4294967295EEENS1_25partition_config_selectorILNS1_17partition_subalgoE4EjNS0_10empty_typeEbEEZZNS1_14partition_implILS8_4ELb0ES6_15HIP_vector_typeIjLj2EENS0_17counting_iteratorIjlEEPS9_SG_NS0_5tupleIJPjSI_NS0_16reverse_iteratorISI_EEEEENSH_IJSG_SG_SG_EEES9_SI_JZNS1_25segmented_radix_sort_implINS0_14default_configELb0EPK6__halfPSP_PKlPlN2at6native12_GLOBAL__N_18offset_tEEE10hipError_tPvRmT1_PNSt15iterator_traitsIS13_E10value_typeET2_T3_PNS14_IS19_E10value_typeET4_jRbjT5_S1F_jjP12ihipStream_tbEUljE_ZNSN_ISO_Lb0ESR_SS_SU_SV_SZ_EES10_S11_S12_S13_S17_S18_S19_S1C_S1D_jS1E_jS1F_S1F_jjS1H_bEUljE0_EEES10_S11_S12_S19_S1D_S1F_T6_T7_T9_mT8_S1H_bDpT10_ENKUlT_T0_E_clISt17integral_constantIbLb0EES1V_EEDaS1Q_S1R_EUlS1Q_E_NS1_11comp_targetILNS1_3genE2ELNS1_11target_archE906ELNS1_3gpuE6ELNS1_3repE0EEENS1_30default_config_static_selectorELNS0_4arch9wavefront6targetE0EEEvS13_, .Lfunc_end1782-_ZN7rocprim17ROCPRIM_400000_NS6detail17trampoline_kernelINS0_13select_configILj256ELj13ELNS0_17block_load_methodE3ELS4_3ELS4_3ELNS0_20block_scan_algorithmE0ELj4294967295EEENS1_25partition_config_selectorILNS1_17partition_subalgoE4EjNS0_10empty_typeEbEEZZNS1_14partition_implILS8_4ELb0ES6_15HIP_vector_typeIjLj2EENS0_17counting_iteratorIjlEEPS9_SG_NS0_5tupleIJPjSI_NS0_16reverse_iteratorISI_EEEEENSH_IJSG_SG_SG_EEES9_SI_JZNS1_25segmented_radix_sort_implINS0_14default_configELb0EPK6__halfPSP_PKlPlN2at6native12_GLOBAL__N_18offset_tEEE10hipError_tPvRmT1_PNSt15iterator_traitsIS13_E10value_typeET2_T3_PNS14_IS19_E10value_typeET4_jRbjT5_S1F_jjP12ihipStream_tbEUljE_ZNSN_ISO_Lb0ESR_SS_SU_SV_SZ_EES10_S11_S12_S13_S17_S18_S19_S1C_S1D_jS1E_jS1F_S1F_jjS1H_bEUljE0_EEES10_S11_S12_S19_S1D_S1F_T6_T7_T9_mT8_S1H_bDpT10_ENKUlT_T0_E_clISt17integral_constantIbLb0EES1V_EEDaS1Q_S1R_EUlS1Q_E_NS1_11comp_targetILNS1_3genE2ELNS1_11target_archE906ELNS1_3gpuE6ELNS1_3repE0EEENS1_30default_config_static_selectorELNS0_4arch9wavefront6targetE0EEEvS13_
                                        ; -- End function
	.set _ZN7rocprim17ROCPRIM_400000_NS6detail17trampoline_kernelINS0_13select_configILj256ELj13ELNS0_17block_load_methodE3ELS4_3ELS4_3ELNS0_20block_scan_algorithmE0ELj4294967295EEENS1_25partition_config_selectorILNS1_17partition_subalgoE4EjNS0_10empty_typeEbEEZZNS1_14partition_implILS8_4ELb0ES6_15HIP_vector_typeIjLj2EENS0_17counting_iteratorIjlEEPS9_SG_NS0_5tupleIJPjSI_NS0_16reverse_iteratorISI_EEEEENSH_IJSG_SG_SG_EEES9_SI_JZNS1_25segmented_radix_sort_implINS0_14default_configELb0EPK6__halfPSP_PKlPlN2at6native12_GLOBAL__N_18offset_tEEE10hipError_tPvRmT1_PNSt15iterator_traitsIS13_E10value_typeET2_T3_PNS14_IS19_E10value_typeET4_jRbjT5_S1F_jjP12ihipStream_tbEUljE_ZNSN_ISO_Lb0ESR_SS_SU_SV_SZ_EES10_S11_S12_S13_S17_S18_S19_S1C_S1D_jS1E_jS1F_S1F_jjS1H_bEUljE0_EEES10_S11_S12_S19_S1D_S1F_T6_T7_T9_mT8_S1H_bDpT10_ENKUlT_T0_E_clISt17integral_constantIbLb0EES1V_EEDaS1Q_S1R_EUlS1Q_E_NS1_11comp_targetILNS1_3genE2ELNS1_11target_archE906ELNS1_3gpuE6ELNS1_3repE0EEENS1_30default_config_static_selectorELNS0_4arch9wavefront6targetE0EEEvS13_.num_vgpr, 0
	.set _ZN7rocprim17ROCPRIM_400000_NS6detail17trampoline_kernelINS0_13select_configILj256ELj13ELNS0_17block_load_methodE3ELS4_3ELS4_3ELNS0_20block_scan_algorithmE0ELj4294967295EEENS1_25partition_config_selectorILNS1_17partition_subalgoE4EjNS0_10empty_typeEbEEZZNS1_14partition_implILS8_4ELb0ES6_15HIP_vector_typeIjLj2EENS0_17counting_iteratorIjlEEPS9_SG_NS0_5tupleIJPjSI_NS0_16reverse_iteratorISI_EEEEENSH_IJSG_SG_SG_EEES9_SI_JZNS1_25segmented_radix_sort_implINS0_14default_configELb0EPK6__halfPSP_PKlPlN2at6native12_GLOBAL__N_18offset_tEEE10hipError_tPvRmT1_PNSt15iterator_traitsIS13_E10value_typeET2_T3_PNS14_IS19_E10value_typeET4_jRbjT5_S1F_jjP12ihipStream_tbEUljE_ZNSN_ISO_Lb0ESR_SS_SU_SV_SZ_EES10_S11_S12_S13_S17_S18_S19_S1C_S1D_jS1E_jS1F_S1F_jjS1H_bEUljE0_EEES10_S11_S12_S19_S1D_S1F_T6_T7_T9_mT8_S1H_bDpT10_ENKUlT_T0_E_clISt17integral_constantIbLb0EES1V_EEDaS1Q_S1R_EUlS1Q_E_NS1_11comp_targetILNS1_3genE2ELNS1_11target_archE906ELNS1_3gpuE6ELNS1_3repE0EEENS1_30default_config_static_selectorELNS0_4arch9wavefront6targetE0EEEvS13_.num_agpr, 0
	.set _ZN7rocprim17ROCPRIM_400000_NS6detail17trampoline_kernelINS0_13select_configILj256ELj13ELNS0_17block_load_methodE3ELS4_3ELS4_3ELNS0_20block_scan_algorithmE0ELj4294967295EEENS1_25partition_config_selectorILNS1_17partition_subalgoE4EjNS0_10empty_typeEbEEZZNS1_14partition_implILS8_4ELb0ES6_15HIP_vector_typeIjLj2EENS0_17counting_iteratorIjlEEPS9_SG_NS0_5tupleIJPjSI_NS0_16reverse_iteratorISI_EEEEENSH_IJSG_SG_SG_EEES9_SI_JZNS1_25segmented_radix_sort_implINS0_14default_configELb0EPK6__halfPSP_PKlPlN2at6native12_GLOBAL__N_18offset_tEEE10hipError_tPvRmT1_PNSt15iterator_traitsIS13_E10value_typeET2_T3_PNS14_IS19_E10value_typeET4_jRbjT5_S1F_jjP12ihipStream_tbEUljE_ZNSN_ISO_Lb0ESR_SS_SU_SV_SZ_EES10_S11_S12_S13_S17_S18_S19_S1C_S1D_jS1E_jS1F_S1F_jjS1H_bEUljE0_EEES10_S11_S12_S19_S1D_S1F_T6_T7_T9_mT8_S1H_bDpT10_ENKUlT_T0_E_clISt17integral_constantIbLb0EES1V_EEDaS1Q_S1R_EUlS1Q_E_NS1_11comp_targetILNS1_3genE2ELNS1_11target_archE906ELNS1_3gpuE6ELNS1_3repE0EEENS1_30default_config_static_selectorELNS0_4arch9wavefront6targetE0EEEvS13_.numbered_sgpr, 0
	.set _ZN7rocprim17ROCPRIM_400000_NS6detail17trampoline_kernelINS0_13select_configILj256ELj13ELNS0_17block_load_methodE3ELS4_3ELS4_3ELNS0_20block_scan_algorithmE0ELj4294967295EEENS1_25partition_config_selectorILNS1_17partition_subalgoE4EjNS0_10empty_typeEbEEZZNS1_14partition_implILS8_4ELb0ES6_15HIP_vector_typeIjLj2EENS0_17counting_iteratorIjlEEPS9_SG_NS0_5tupleIJPjSI_NS0_16reverse_iteratorISI_EEEEENSH_IJSG_SG_SG_EEES9_SI_JZNS1_25segmented_radix_sort_implINS0_14default_configELb0EPK6__halfPSP_PKlPlN2at6native12_GLOBAL__N_18offset_tEEE10hipError_tPvRmT1_PNSt15iterator_traitsIS13_E10value_typeET2_T3_PNS14_IS19_E10value_typeET4_jRbjT5_S1F_jjP12ihipStream_tbEUljE_ZNSN_ISO_Lb0ESR_SS_SU_SV_SZ_EES10_S11_S12_S13_S17_S18_S19_S1C_S1D_jS1E_jS1F_S1F_jjS1H_bEUljE0_EEES10_S11_S12_S19_S1D_S1F_T6_T7_T9_mT8_S1H_bDpT10_ENKUlT_T0_E_clISt17integral_constantIbLb0EES1V_EEDaS1Q_S1R_EUlS1Q_E_NS1_11comp_targetILNS1_3genE2ELNS1_11target_archE906ELNS1_3gpuE6ELNS1_3repE0EEENS1_30default_config_static_selectorELNS0_4arch9wavefront6targetE0EEEvS13_.num_named_barrier, 0
	.set _ZN7rocprim17ROCPRIM_400000_NS6detail17trampoline_kernelINS0_13select_configILj256ELj13ELNS0_17block_load_methodE3ELS4_3ELS4_3ELNS0_20block_scan_algorithmE0ELj4294967295EEENS1_25partition_config_selectorILNS1_17partition_subalgoE4EjNS0_10empty_typeEbEEZZNS1_14partition_implILS8_4ELb0ES6_15HIP_vector_typeIjLj2EENS0_17counting_iteratorIjlEEPS9_SG_NS0_5tupleIJPjSI_NS0_16reverse_iteratorISI_EEEEENSH_IJSG_SG_SG_EEES9_SI_JZNS1_25segmented_radix_sort_implINS0_14default_configELb0EPK6__halfPSP_PKlPlN2at6native12_GLOBAL__N_18offset_tEEE10hipError_tPvRmT1_PNSt15iterator_traitsIS13_E10value_typeET2_T3_PNS14_IS19_E10value_typeET4_jRbjT5_S1F_jjP12ihipStream_tbEUljE_ZNSN_ISO_Lb0ESR_SS_SU_SV_SZ_EES10_S11_S12_S13_S17_S18_S19_S1C_S1D_jS1E_jS1F_S1F_jjS1H_bEUljE0_EEES10_S11_S12_S19_S1D_S1F_T6_T7_T9_mT8_S1H_bDpT10_ENKUlT_T0_E_clISt17integral_constantIbLb0EES1V_EEDaS1Q_S1R_EUlS1Q_E_NS1_11comp_targetILNS1_3genE2ELNS1_11target_archE906ELNS1_3gpuE6ELNS1_3repE0EEENS1_30default_config_static_selectorELNS0_4arch9wavefront6targetE0EEEvS13_.private_seg_size, 0
	.set _ZN7rocprim17ROCPRIM_400000_NS6detail17trampoline_kernelINS0_13select_configILj256ELj13ELNS0_17block_load_methodE3ELS4_3ELS4_3ELNS0_20block_scan_algorithmE0ELj4294967295EEENS1_25partition_config_selectorILNS1_17partition_subalgoE4EjNS0_10empty_typeEbEEZZNS1_14partition_implILS8_4ELb0ES6_15HIP_vector_typeIjLj2EENS0_17counting_iteratorIjlEEPS9_SG_NS0_5tupleIJPjSI_NS0_16reverse_iteratorISI_EEEEENSH_IJSG_SG_SG_EEES9_SI_JZNS1_25segmented_radix_sort_implINS0_14default_configELb0EPK6__halfPSP_PKlPlN2at6native12_GLOBAL__N_18offset_tEEE10hipError_tPvRmT1_PNSt15iterator_traitsIS13_E10value_typeET2_T3_PNS14_IS19_E10value_typeET4_jRbjT5_S1F_jjP12ihipStream_tbEUljE_ZNSN_ISO_Lb0ESR_SS_SU_SV_SZ_EES10_S11_S12_S13_S17_S18_S19_S1C_S1D_jS1E_jS1F_S1F_jjS1H_bEUljE0_EEES10_S11_S12_S19_S1D_S1F_T6_T7_T9_mT8_S1H_bDpT10_ENKUlT_T0_E_clISt17integral_constantIbLb0EES1V_EEDaS1Q_S1R_EUlS1Q_E_NS1_11comp_targetILNS1_3genE2ELNS1_11target_archE906ELNS1_3gpuE6ELNS1_3repE0EEENS1_30default_config_static_selectorELNS0_4arch9wavefront6targetE0EEEvS13_.uses_vcc, 0
	.set _ZN7rocprim17ROCPRIM_400000_NS6detail17trampoline_kernelINS0_13select_configILj256ELj13ELNS0_17block_load_methodE3ELS4_3ELS4_3ELNS0_20block_scan_algorithmE0ELj4294967295EEENS1_25partition_config_selectorILNS1_17partition_subalgoE4EjNS0_10empty_typeEbEEZZNS1_14partition_implILS8_4ELb0ES6_15HIP_vector_typeIjLj2EENS0_17counting_iteratorIjlEEPS9_SG_NS0_5tupleIJPjSI_NS0_16reverse_iteratorISI_EEEEENSH_IJSG_SG_SG_EEES9_SI_JZNS1_25segmented_radix_sort_implINS0_14default_configELb0EPK6__halfPSP_PKlPlN2at6native12_GLOBAL__N_18offset_tEEE10hipError_tPvRmT1_PNSt15iterator_traitsIS13_E10value_typeET2_T3_PNS14_IS19_E10value_typeET4_jRbjT5_S1F_jjP12ihipStream_tbEUljE_ZNSN_ISO_Lb0ESR_SS_SU_SV_SZ_EES10_S11_S12_S13_S17_S18_S19_S1C_S1D_jS1E_jS1F_S1F_jjS1H_bEUljE0_EEES10_S11_S12_S19_S1D_S1F_T6_T7_T9_mT8_S1H_bDpT10_ENKUlT_T0_E_clISt17integral_constantIbLb0EES1V_EEDaS1Q_S1R_EUlS1Q_E_NS1_11comp_targetILNS1_3genE2ELNS1_11target_archE906ELNS1_3gpuE6ELNS1_3repE0EEENS1_30default_config_static_selectorELNS0_4arch9wavefront6targetE0EEEvS13_.uses_flat_scratch, 0
	.set _ZN7rocprim17ROCPRIM_400000_NS6detail17trampoline_kernelINS0_13select_configILj256ELj13ELNS0_17block_load_methodE3ELS4_3ELS4_3ELNS0_20block_scan_algorithmE0ELj4294967295EEENS1_25partition_config_selectorILNS1_17partition_subalgoE4EjNS0_10empty_typeEbEEZZNS1_14partition_implILS8_4ELb0ES6_15HIP_vector_typeIjLj2EENS0_17counting_iteratorIjlEEPS9_SG_NS0_5tupleIJPjSI_NS0_16reverse_iteratorISI_EEEEENSH_IJSG_SG_SG_EEES9_SI_JZNS1_25segmented_radix_sort_implINS0_14default_configELb0EPK6__halfPSP_PKlPlN2at6native12_GLOBAL__N_18offset_tEEE10hipError_tPvRmT1_PNSt15iterator_traitsIS13_E10value_typeET2_T3_PNS14_IS19_E10value_typeET4_jRbjT5_S1F_jjP12ihipStream_tbEUljE_ZNSN_ISO_Lb0ESR_SS_SU_SV_SZ_EES10_S11_S12_S13_S17_S18_S19_S1C_S1D_jS1E_jS1F_S1F_jjS1H_bEUljE0_EEES10_S11_S12_S19_S1D_S1F_T6_T7_T9_mT8_S1H_bDpT10_ENKUlT_T0_E_clISt17integral_constantIbLb0EES1V_EEDaS1Q_S1R_EUlS1Q_E_NS1_11comp_targetILNS1_3genE2ELNS1_11target_archE906ELNS1_3gpuE6ELNS1_3repE0EEENS1_30default_config_static_selectorELNS0_4arch9wavefront6targetE0EEEvS13_.has_dyn_sized_stack, 0
	.set _ZN7rocprim17ROCPRIM_400000_NS6detail17trampoline_kernelINS0_13select_configILj256ELj13ELNS0_17block_load_methodE3ELS4_3ELS4_3ELNS0_20block_scan_algorithmE0ELj4294967295EEENS1_25partition_config_selectorILNS1_17partition_subalgoE4EjNS0_10empty_typeEbEEZZNS1_14partition_implILS8_4ELb0ES6_15HIP_vector_typeIjLj2EENS0_17counting_iteratorIjlEEPS9_SG_NS0_5tupleIJPjSI_NS0_16reverse_iteratorISI_EEEEENSH_IJSG_SG_SG_EEES9_SI_JZNS1_25segmented_radix_sort_implINS0_14default_configELb0EPK6__halfPSP_PKlPlN2at6native12_GLOBAL__N_18offset_tEEE10hipError_tPvRmT1_PNSt15iterator_traitsIS13_E10value_typeET2_T3_PNS14_IS19_E10value_typeET4_jRbjT5_S1F_jjP12ihipStream_tbEUljE_ZNSN_ISO_Lb0ESR_SS_SU_SV_SZ_EES10_S11_S12_S13_S17_S18_S19_S1C_S1D_jS1E_jS1F_S1F_jjS1H_bEUljE0_EEES10_S11_S12_S19_S1D_S1F_T6_T7_T9_mT8_S1H_bDpT10_ENKUlT_T0_E_clISt17integral_constantIbLb0EES1V_EEDaS1Q_S1R_EUlS1Q_E_NS1_11comp_targetILNS1_3genE2ELNS1_11target_archE906ELNS1_3gpuE6ELNS1_3repE0EEENS1_30default_config_static_selectorELNS0_4arch9wavefront6targetE0EEEvS13_.has_recursion, 0
	.set _ZN7rocprim17ROCPRIM_400000_NS6detail17trampoline_kernelINS0_13select_configILj256ELj13ELNS0_17block_load_methodE3ELS4_3ELS4_3ELNS0_20block_scan_algorithmE0ELj4294967295EEENS1_25partition_config_selectorILNS1_17partition_subalgoE4EjNS0_10empty_typeEbEEZZNS1_14partition_implILS8_4ELb0ES6_15HIP_vector_typeIjLj2EENS0_17counting_iteratorIjlEEPS9_SG_NS0_5tupleIJPjSI_NS0_16reverse_iteratorISI_EEEEENSH_IJSG_SG_SG_EEES9_SI_JZNS1_25segmented_radix_sort_implINS0_14default_configELb0EPK6__halfPSP_PKlPlN2at6native12_GLOBAL__N_18offset_tEEE10hipError_tPvRmT1_PNSt15iterator_traitsIS13_E10value_typeET2_T3_PNS14_IS19_E10value_typeET4_jRbjT5_S1F_jjP12ihipStream_tbEUljE_ZNSN_ISO_Lb0ESR_SS_SU_SV_SZ_EES10_S11_S12_S13_S17_S18_S19_S1C_S1D_jS1E_jS1F_S1F_jjS1H_bEUljE0_EEES10_S11_S12_S19_S1D_S1F_T6_T7_T9_mT8_S1H_bDpT10_ENKUlT_T0_E_clISt17integral_constantIbLb0EES1V_EEDaS1Q_S1R_EUlS1Q_E_NS1_11comp_targetILNS1_3genE2ELNS1_11target_archE906ELNS1_3gpuE6ELNS1_3repE0EEENS1_30default_config_static_selectorELNS0_4arch9wavefront6targetE0EEEvS13_.has_indirect_call, 0
	.section	.AMDGPU.csdata,"",@progbits
; Kernel info:
; codeLenInByte = 0
; TotalNumSgprs: 0
; NumVgprs: 0
; ScratchSize: 0
; MemoryBound: 0
; FloatMode: 240
; IeeeMode: 1
; LDSByteSize: 0 bytes/workgroup (compile time only)
; SGPRBlocks: 0
; VGPRBlocks: 0
; NumSGPRsForWavesPerEU: 1
; NumVGPRsForWavesPerEU: 1
; Occupancy: 16
; WaveLimiterHint : 0
; COMPUTE_PGM_RSRC2:SCRATCH_EN: 0
; COMPUTE_PGM_RSRC2:USER_SGPR: 2
; COMPUTE_PGM_RSRC2:TRAP_HANDLER: 0
; COMPUTE_PGM_RSRC2:TGID_X_EN: 1
; COMPUTE_PGM_RSRC2:TGID_Y_EN: 0
; COMPUTE_PGM_RSRC2:TGID_Z_EN: 0
; COMPUTE_PGM_RSRC2:TIDIG_COMP_CNT: 0
	.section	.text._ZN7rocprim17ROCPRIM_400000_NS6detail17trampoline_kernelINS0_13select_configILj256ELj13ELNS0_17block_load_methodE3ELS4_3ELS4_3ELNS0_20block_scan_algorithmE0ELj4294967295EEENS1_25partition_config_selectorILNS1_17partition_subalgoE4EjNS0_10empty_typeEbEEZZNS1_14partition_implILS8_4ELb0ES6_15HIP_vector_typeIjLj2EENS0_17counting_iteratorIjlEEPS9_SG_NS0_5tupleIJPjSI_NS0_16reverse_iteratorISI_EEEEENSH_IJSG_SG_SG_EEES9_SI_JZNS1_25segmented_radix_sort_implINS0_14default_configELb0EPK6__halfPSP_PKlPlN2at6native12_GLOBAL__N_18offset_tEEE10hipError_tPvRmT1_PNSt15iterator_traitsIS13_E10value_typeET2_T3_PNS14_IS19_E10value_typeET4_jRbjT5_S1F_jjP12ihipStream_tbEUljE_ZNSN_ISO_Lb0ESR_SS_SU_SV_SZ_EES10_S11_S12_S13_S17_S18_S19_S1C_S1D_jS1E_jS1F_S1F_jjS1H_bEUljE0_EEES10_S11_S12_S19_S1D_S1F_T6_T7_T9_mT8_S1H_bDpT10_ENKUlT_T0_E_clISt17integral_constantIbLb0EES1V_EEDaS1Q_S1R_EUlS1Q_E_NS1_11comp_targetILNS1_3genE10ELNS1_11target_archE1200ELNS1_3gpuE4ELNS1_3repE0EEENS1_30default_config_static_selectorELNS0_4arch9wavefront6targetE0EEEvS13_,"axG",@progbits,_ZN7rocprim17ROCPRIM_400000_NS6detail17trampoline_kernelINS0_13select_configILj256ELj13ELNS0_17block_load_methodE3ELS4_3ELS4_3ELNS0_20block_scan_algorithmE0ELj4294967295EEENS1_25partition_config_selectorILNS1_17partition_subalgoE4EjNS0_10empty_typeEbEEZZNS1_14partition_implILS8_4ELb0ES6_15HIP_vector_typeIjLj2EENS0_17counting_iteratorIjlEEPS9_SG_NS0_5tupleIJPjSI_NS0_16reverse_iteratorISI_EEEEENSH_IJSG_SG_SG_EEES9_SI_JZNS1_25segmented_radix_sort_implINS0_14default_configELb0EPK6__halfPSP_PKlPlN2at6native12_GLOBAL__N_18offset_tEEE10hipError_tPvRmT1_PNSt15iterator_traitsIS13_E10value_typeET2_T3_PNS14_IS19_E10value_typeET4_jRbjT5_S1F_jjP12ihipStream_tbEUljE_ZNSN_ISO_Lb0ESR_SS_SU_SV_SZ_EES10_S11_S12_S13_S17_S18_S19_S1C_S1D_jS1E_jS1F_S1F_jjS1H_bEUljE0_EEES10_S11_S12_S19_S1D_S1F_T6_T7_T9_mT8_S1H_bDpT10_ENKUlT_T0_E_clISt17integral_constantIbLb0EES1V_EEDaS1Q_S1R_EUlS1Q_E_NS1_11comp_targetILNS1_3genE10ELNS1_11target_archE1200ELNS1_3gpuE4ELNS1_3repE0EEENS1_30default_config_static_selectorELNS0_4arch9wavefront6targetE0EEEvS13_,comdat
	.globl	_ZN7rocprim17ROCPRIM_400000_NS6detail17trampoline_kernelINS0_13select_configILj256ELj13ELNS0_17block_load_methodE3ELS4_3ELS4_3ELNS0_20block_scan_algorithmE0ELj4294967295EEENS1_25partition_config_selectorILNS1_17partition_subalgoE4EjNS0_10empty_typeEbEEZZNS1_14partition_implILS8_4ELb0ES6_15HIP_vector_typeIjLj2EENS0_17counting_iteratorIjlEEPS9_SG_NS0_5tupleIJPjSI_NS0_16reverse_iteratorISI_EEEEENSH_IJSG_SG_SG_EEES9_SI_JZNS1_25segmented_radix_sort_implINS0_14default_configELb0EPK6__halfPSP_PKlPlN2at6native12_GLOBAL__N_18offset_tEEE10hipError_tPvRmT1_PNSt15iterator_traitsIS13_E10value_typeET2_T3_PNS14_IS19_E10value_typeET4_jRbjT5_S1F_jjP12ihipStream_tbEUljE_ZNSN_ISO_Lb0ESR_SS_SU_SV_SZ_EES10_S11_S12_S13_S17_S18_S19_S1C_S1D_jS1E_jS1F_S1F_jjS1H_bEUljE0_EEES10_S11_S12_S19_S1D_S1F_T6_T7_T9_mT8_S1H_bDpT10_ENKUlT_T0_E_clISt17integral_constantIbLb0EES1V_EEDaS1Q_S1R_EUlS1Q_E_NS1_11comp_targetILNS1_3genE10ELNS1_11target_archE1200ELNS1_3gpuE4ELNS1_3repE0EEENS1_30default_config_static_selectorELNS0_4arch9wavefront6targetE0EEEvS13_ ; -- Begin function _ZN7rocprim17ROCPRIM_400000_NS6detail17trampoline_kernelINS0_13select_configILj256ELj13ELNS0_17block_load_methodE3ELS4_3ELS4_3ELNS0_20block_scan_algorithmE0ELj4294967295EEENS1_25partition_config_selectorILNS1_17partition_subalgoE4EjNS0_10empty_typeEbEEZZNS1_14partition_implILS8_4ELb0ES6_15HIP_vector_typeIjLj2EENS0_17counting_iteratorIjlEEPS9_SG_NS0_5tupleIJPjSI_NS0_16reverse_iteratorISI_EEEEENSH_IJSG_SG_SG_EEES9_SI_JZNS1_25segmented_radix_sort_implINS0_14default_configELb0EPK6__halfPSP_PKlPlN2at6native12_GLOBAL__N_18offset_tEEE10hipError_tPvRmT1_PNSt15iterator_traitsIS13_E10value_typeET2_T3_PNS14_IS19_E10value_typeET4_jRbjT5_S1F_jjP12ihipStream_tbEUljE_ZNSN_ISO_Lb0ESR_SS_SU_SV_SZ_EES10_S11_S12_S13_S17_S18_S19_S1C_S1D_jS1E_jS1F_S1F_jjS1H_bEUljE0_EEES10_S11_S12_S19_S1D_S1F_T6_T7_T9_mT8_S1H_bDpT10_ENKUlT_T0_E_clISt17integral_constantIbLb0EES1V_EEDaS1Q_S1R_EUlS1Q_E_NS1_11comp_targetILNS1_3genE10ELNS1_11target_archE1200ELNS1_3gpuE4ELNS1_3repE0EEENS1_30default_config_static_selectorELNS0_4arch9wavefront6targetE0EEEvS13_
	.p2align	8
	.type	_ZN7rocprim17ROCPRIM_400000_NS6detail17trampoline_kernelINS0_13select_configILj256ELj13ELNS0_17block_load_methodE3ELS4_3ELS4_3ELNS0_20block_scan_algorithmE0ELj4294967295EEENS1_25partition_config_selectorILNS1_17partition_subalgoE4EjNS0_10empty_typeEbEEZZNS1_14partition_implILS8_4ELb0ES6_15HIP_vector_typeIjLj2EENS0_17counting_iteratorIjlEEPS9_SG_NS0_5tupleIJPjSI_NS0_16reverse_iteratorISI_EEEEENSH_IJSG_SG_SG_EEES9_SI_JZNS1_25segmented_radix_sort_implINS0_14default_configELb0EPK6__halfPSP_PKlPlN2at6native12_GLOBAL__N_18offset_tEEE10hipError_tPvRmT1_PNSt15iterator_traitsIS13_E10value_typeET2_T3_PNS14_IS19_E10value_typeET4_jRbjT5_S1F_jjP12ihipStream_tbEUljE_ZNSN_ISO_Lb0ESR_SS_SU_SV_SZ_EES10_S11_S12_S13_S17_S18_S19_S1C_S1D_jS1E_jS1F_S1F_jjS1H_bEUljE0_EEES10_S11_S12_S19_S1D_S1F_T6_T7_T9_mT8_S1H_bDpT10_ENKUlT_T0_E_clISt17integral_constantIbLb0EES1V_EEDaS1Q_S1R_EUlS1Q_E_NS1_11comp_targetILNS1_3genE10ELNS1_11target_archE1200ELNS1_3gpuE4ELNS1_3repE0EEENS1_30default_config_static_selectorELNS0_4arch9wavefront6targetE0EEEvS13_,@function
_ZN7rocprim17ROCPRIM_400000_NS6detail17trampoline_kernelINS0_13select_configILj256ELj13ELNS0_17block_load_methodE3ELS4_3ELS4_3ELNS0_20block_scan_algorithmE0ELj4294967295EEENS1_25partition_config_selectorILNS1_17partition_subalgoE4EjNS0_10empty_typeEbEEZZNS1_14partition_implILS8_4ELb0ES6_15HIP_vector_typeIjLj2EENS0_17counting_iteratorIjlEEPS9_SG_NS0_5tupleIJPjSI_NS0_16reverse_iteratorISI_EEEEENSH_IJSG_SG_SG_EEES9_SI_JZNS1_25segmented_radix_sort_implINS0_14default_configELb0EPK6__halfPSP_PKlPlN2at6native12_GLOBAL__N_18offset_tEEE10hipError_tPvRmT1_PNSt15iterator_traitsIS13_E10value_typeET2_T3_PNS14_IS19_E10value_typeET4_jRbjT5_S1F_jjP12ihipStream_tbEUljE_ZNSN_ISO_Lb0ESR_SS_SU_SV_SZ_EES10_S11_S12_S13_S17_S18_S19_S1C_S1D_jS1E_jS1F_S1F_jjS1H_bEUljE0_EEES10_S11_S12_S19_S1D_S1F_T6_T7_T9_mT8_S1H_bDpT10_ENKUlT_T0_E_clISt17integral_constantIbLb0EES1V_EEDaS1Q_S1R_EUlS1Q_E_NS1_11comp_targetILNS1_3genE10ELNS1_11target_archE1200ELNS1_3gpuE4ELNS1_3repE0EEENS1_30default_config_static_selectorELNS0_4arch9wavefront6targetE0EEEvS13_: ; @_ZN7rocprim17ROCPRIM_400000_NS6detail17trampoline_kernelINS0_13select_configILj256ELj13ELNS0_17block_load_methodE3ELS4_3ELS4_3ELNS0_20block_scan_algorithmE0ELj4294967295EEENS1_25partition_config_selectorILNS1_17partition_subalgoE4EjNS0_10empty_typeEbEEZZNS1_14partition_implILS8_4ELb0ES6_15HIP_vector_typeIjLj2EENS0_17counting_iteratorIjlEEPS9_SG_NS0_5tupleIJPjSI_NS0_16reverse_iteratorISI_EEEEENSH_IJSG_SG_SG_EEES9_SI_JZNS1_25segmented_radix_sort_implINS0_14default_configELb0EPK6__halfPSP_PKlPlN2at6native12_GLOBAL__N_18offset_tEEE10hipError_tPvRmT1_PNSt15iterator_traitsIS13_E10value_typeET2_T3_PNS14_IS19_E10value_typeET4_jRbjT5_S1F_jjP12ihipStream_tbEUljE_ZNSN_ISO_Lb0ESR_SS_SU_SV_SZ_EES10_S11_S12_S13_S17_S18_S19_S1C_S1D_jS1E_jS1F_S1F_jjS1H_bEUljE0_EEES10_S11_S12_S19_S1D_S1F_T6_T7_T9_mT8_S1H_bDpT10_ENKUlT_T0_E_clISt17integral_constantIbLb0EES1V_EEDaS1Q_S1R_EUlS1Q_E_NS1_11comp_targetILNS1_3genE10ELNS1_11target_archE1200ELNS1_3gpuE4ELNS1_3repE0EEENS1_30default_config_static_selectorELNS0_4arch9wavefront6targetE0EEEvS13_
; %bb.0:
	s_clause 0x6
	s_load_b32 s6, s[0:1], 0x80
	s_load_b128 s[24:27], s[0:1], 0x58
	s_load_b64 s[34:35], s[0:1], 0x10
	s_load_b64 s[2:3], s[0:1], 0x68
	s_load_b32 s7, s[0:1], 0x8
	s_load_b64 s[42:43], s[0:1], 0xa8
	s_load_b256 s[16:23], s[0:1], 0x88
	s_mov_b32 s5, 0
	s_mul_i32 s40, ttmp9, 0xd00
	s_wait_kmcnt 0x0
	s_mul_i32 s4, s6, 0xd00
	s_load_b128 s[28:31], s[26:27], 0x0
	s_add_co_i32 s8, s4, s34
	s_add_co_i32 s6, s6, -1
	s_sub_co_i32 s33, s2, s8
	s_add_nc_u64 s[4:5], s[34:35], s[4:5]
	s_addk_co_i32 s33, 0xd00
	s_cmp_eq_u32 ttmp9, s6
	v_cmp_gt_u64_e64 s2, s[2:3], s[4:5]
	s_cselect_b32 s15, -1, 0
	s_cmp_lg_u32 ttmp9, s6
	s_mov_b32 s5, -1
	s_cselect_b32 s3, -1, 0
	s_add_co_i32 s4, s7, s40
	s_wait_alu 0xfffe
	s_or_b32 s3, s3, s2
	s_add_co_i32 s4, s4, s34
	s_wait_alu 0xfffe
	s_and_b32 vcc_lo, exec_lo, s3
	v_add_nc_u32_e32 v1, s4, v0
	s_cbranch_vccz .LBB1783_2
; %bb.1:
	s_delay_alu instid0(VALU_DEP_1)
	v_add_nc_u32_e32 v2, 0x100, v1
	v_lshlrev_b32_e32 v10, 2, v0
	v_add_nc_u32_e32 v3, 0x200, v1
	v_add_nc_u32_e32 v4, 0x300, v1
	v_add_nc_u32_e32 v5, 0x400, v1
	v_add_nc_u32_e32 v6, 0x500, v1
	v_add_nc_u32_e32 v7, 0x600, v1
	v_add_nc_u32_e32 v8, 0x700, v1
	v_add_nc_u32_e32 v9, 0x800, v1
	v_add_nc_u32_e32 v11, 0x900, v1
	v_add_nc_u32_e32 v12, 0xa00, v1
	v_add_nc_u32_e32 v13, 0xb00, v1
	v_add_nc_u32_e32 v14, 0xc00, v1
	ds_store_2addr_stride64_b32 v10, v1, v2 offset1:4
	ds_store_2addr_stride64_b32 v10, v3, v4 offset0:8 offset1:12
	ds_store_2addr_stride64_b32 v10, v5, v6 offset0:16 offset1:20
	;; [unrolled: 1-line block ×5, first 2 shown]
	ds_store_b32 v10, v14 offset:12288
	s_wait_dscnt 0x0
	s_barrier_signal -1
	s_mov_b32 s5, 0
	s_barrier_wait -1
.LBB1783_2:
	v_cmp_gt_u32_e64 s2, s33, v0
	v_or_b32_e32 v38, 0x100, v0
	v_or_b32_e32 v37, 0x200, v0
	;; [unrolled: 1-line block ×12, first 2 shown]
	s_wait_alu 0xfffe
	s_and_not1_b32 vcc_lo, exec_lo, s5
	s_cbranch_vccnz .LBB1783_4
; %bb.3:
	v_cmp_gt_u32_e32 vcc_lo, s33, v38
	v_add_nc_u32_e32 v3, s4, v37
	v_add_nc_u32_e32 v2, s4, v38
	v_cndmask_b32_e64 v1, 0, v1, s2
	v_lshlrev_b32_e32 v14, 2, v0
	s_delay_alu instid0(VALU_DEP_3)
	v_cndmask_b32_e32 v2, 0, v2, vcc_lo
	v_cmp_gt_u32_e32 vcc_lo, s33, v37
	s_wait_alu 0xfffd
	v_cndmask_b32_e32 v3, 0, v3, vcc_lo
	v_cmp_gt_u32_e32 vcc_lo, s33, v36
	v_add_nc_u32_e32 v5, s4, v35
	v_add_nc_u32_e32 v4, s4, v36
	s_wait_alu 0xfffd
	s_delay_alu instid0(VALU_DEP_1)
	v_cndmask_b32_e32 v4, 0, v4, vcc_lo
	v_cmp_gt_u32_e32 vcc_lo, s33, v35
	s_wait_alu 0xfffd
	v_cndmask_b32_e32 v5, 0, v5, vcc_lo
	v_cmp_gt_u32_e32 vcc_lo, s33, v34
	v_add_nc_u32_e32 v7, s4, v33
	v_add_nc_u32_e32 v6, s4, v34
	s_wait_alu 0xfffd
	s_delay_alu instid0(VALU_DEP_1)
	;; [unrolled: 9-line block ×5, first 2 shown]
	v_cndmask_b32_e32 v12, 0, v12, vcc_lo
	v_cmp_gt_u32_e32 vcc_lo, s33, v27
	s_wait_alu 0xfffd
	v_cndmask_b32_e32 v13, 0, v13, vcc_lo
	ds_store_2addr_stride64_b32 v14, v1, v2 offset1:4
	ds_store_2addr_stride64_b32 v14, v3, v4 offset0:8 offset1:12
	ds_store_2addr_stride64_b32 v14, v5, v6 offset0:16 offset1:20
	;; [unrolled: 1-line block ×5, first 2 shown]
	ds_store_b32 v14, v13 offset:12288
	s_wait_dscnt 0x0
	s_barrier_signal -1
	s_barrier_wait -1
.LBB1783_4:
	v_mul_u32_u24_e32 v41, 13, v0
	s_clause 0x1
	s_load_b128 s[36:39], s[0:1], 0x28
	s_load_b64 s[26:27], s[0:1], 0x38
	global_inv scope:SCOPE_SE
	v_cndmask_b32_e64 v39, 0, 1, s3
	s_and_not1_b32 vcc_lo, exec_lo, s3
	v_lshlrev_b32_e32 v1, 2, v41
	ds_load_2addr_b32 v[19:20], v1 offset1:1
	ds_load_2addr_b32 v[17:18], v1 offset0:2 offset1:3
	ds_load_2addr_b32 v[15:16], v1 offset0:4 offset1:5
	;; [unrolled: 1-line block ×5, first 2 shown]
	ds_load_b32 v40, v1 offset:48
	s_wait_loadcnt_dscnt 0x0
	s_barrier_signal -1
	s_barrier_wait -1
	global_inv scope:SCOPE_SE
	s_wait_alu 0xfffe
	s_cbranch_vccnz .LBB1783_32
; %bb.5:
	v_add_nc_u32_e32 v1, s17, v19
	v_add_nc_u32_e32 v2, s19, v19
	s_mov_b32 s44, 0
	s_mov_b32 s41, 0
	s_mov_b32 s3, exec_lo
	v_mul_lo_u32 v1, v1, s16
	v_mul_lo_u32 v2, v2, s18
	s_delay_alu instid0(VALU_DEP_1) | instskip(NEXT) | instid1(VALU_DEP_1)
	v_sub_nc_u32_e32 v1, v1, v2
	v_cmp_lt_u32_e32 vcc_lo, s20, v1
	v_cmpx_ge_u32_e64 s20, v1
	s_cbranch_execz .LBB1783_7
; %bb.6:
	v_add_nc_u32_e32 v1, s22, v19
	v_add_nc_u32_e32 v2, s42, v19
	s_delay_alu instid0(VALU_DEP_2) | instskip(NEXT) | instid1(VALU_DEP_2)
	v_mul_lo_u32 v1, v1, s21
	v_mul_lo_u32 v2, v2, s23
	s_delay_alu instid0(VALU_DEP_1) | instskip(NEXT) | instid1(VALU_DEP_1)
	v_sub_nc_u32_e32 v1, v1, v2
	v_cmp_lt_u32_e64 s2, s43, v1
	s_and_b32 s41, s2, exec_lo
.LBB1783_7:
	s_wait_alu 0xfffe
	s_or_b32 exec_lo, exec_lo, s3
	v_add_nc_u32_e32 v1, s17, v20
	v_add_nc_u32_e32 v2, s19, v20
	s_mov_b32 s4, exec_lo
	s_delay_alu instid0(VALU_DEP_2) | instskip(NEXT) | instid1(VALU_DEP_2)
	v_mul_lo_u32 v1, v1, s16
	v_mul_lo_u32 v2, v2, s18
	s_delay_alu instid0(VALU_DEP_1) | instskip(NEXT) | instid1(VALU_DEP_1)
	v_sub_nc_u32_e32 v1, v1, v2
	v_cmp_lt_u32_e64 s2, s20, v1
	v_cmpx_ge_u32_e64 s20, v1
	s_cbranch_execz .LBB1783_9
; %bb.8:
	v_add_nc_u32_e32 v1, s22, v20
	v_add_nc_u32_e32 v2, s42, v20
	s_delay_alu instid0(VALU_DEP_2) | instskip(NEXT) | instid1(VALU_DEP_2)
	v_mul_lo_u32 v1, v1, s21
	v_mul_lo_u32 v2, v2, s23
	s_delay_alu instid0(VALU_DEP_1) | instskip(NEXT) | instid1(VALU_DEP_1)
	v_sub_nc_u32_e32 v1, v1, v2
	v_cmp_lt_u32_e64 s3, s43, v1
	s_and_b32 s44, s3, exec_lo
.LBB1783_9:
	s_wait_alu 0xfffe
	s_or_b32 exec_lo, exec_lo, s4
	v_add_nc_u32_e32 v1, s17, v17
	v_add_nc_u32_e32 v2, s19, v17
	s_mov_b32 s46, 0
	s_mov_b32 s45, 0
	s_mov_b32 s5, exec_lo
	v_mul_lo_u32 v1, v1, s16
	v_mul_lo_u32 v2, v2, s18
	s_delay_alu instid0(VALU_DEP_1) | instskip(NEXT) | instid1(VALU_DEP_1)
	v_sub_nc_u32_e32 v1, v1, v2
	v_cmp_lt_u32_e64 s3, s20, v1
	v_cmpx_ge_u32_e64 s20, v1
	s_cbranch_execz .LBB1783_11
; %bb.10:
	v_add_nc_u32_e32 v1, s22, v17
	v_add_nc_u32_e32 v2, s42, v17
	s_delay_alu instid0(VALU_DEP_2) | instskip(NEXT) | instid1(VALU_DEP_2)
	v_mul_lo_u32 v1, v1, s21
	v_mul_lo_u32 v2, v2, s23
	s_delay_alu instid0(VALU_DEP_1) | instskip(NEXT) | instid1(VALU_DEP_1)
	v_sub_nc_u32_e32 v1, v1, v2
	v_cmp_lt_u32_e64 s4, s43, v1
	s_and_b32 s45, s4, exec_lo
.LBB1783_11:
	s_wait_alu 0xfffe
	s_or_b32 exec_lo, exec_lo, s5
	v_add_nc_u32_e32 v1, s17, v18
	v_add_nc_u32_e32 v2, s19, v18
	s_mov_b32 s6, exec_lo
	s_delay_alu instid0(VALU_DEP_2) | instskip(NEXT) | instid1(VALU_DEP_2)
	v_mul_lo_u32 v1, v1, s16
	v_mul_lo_u32 v2, v2, s18
	s_delay_alu instid0(VALU_DEP_1) | instskip(NEXT) | instid1(VALU_DEP_1)
	v_sub_nc_u32_e32 v1, v1, v2
	v_cmp_lt_u32_e64 s4, s20, v1
	v_cmpx_ge_u32_e64 s20, v1
	s_cbranch_execz .LBB1783_13
; %bb.12:
	v_add_nc_u32_e32 v1, s22, v18
	v_add_nc_u32_e32 v2, s42, v18
	s_delay_alu instid0(VALU_DEP_2) | instskip(NEXT) | instid1(VALU_DEP_2)
	v_mul_lo_u32 v1, v1, s21
	v_mul_lo_u32 v2, v2, s23
	s_delay_alu instid0(VALU_DEP_1) | instskip(NEXT) | instid1(VALU_DEP_1)
	v_sub_nc_u32_e32 v1, v1, v2
	v_cmp_lt_u32_e64 s5, s43, v1
	s_and_b32 s46, s5, exec_lo
.LBB1783_13:
	s_or_b32 exec_lo, exec_lo, s6
	v_add_nc_u32_e32 v1, s17, v15
	v_add_nc_u32_e32 v2, s19, v15
	s_mov_b32 s48, 0
	s_mov_b32 s47, 0
	s_mov_b32 s7, exec_lo
	v_mul_lo_u32 v1, v1, s16
	v_mul_lo_u32 v2, v2, s18
	s_delay_alu instid0(VALU_DEP_1) | instskip(NEXT) | instid1(VALU_DEP_1)
	v_sub_nc_u32_e32 v1, v1, v2
	v_cmp_lt_u32_e64 s5, s20, v1
	v_cmpx_ge_u32_e64 s20, v1
	s_cbranch_execz .LBB1783_15
; %bb.14:
	v_add_nc_u32_e32 v1, s22, v15
	v_add_nc_u32_e32 v2, s42, v15
	s_delay_alu instid0(VALU_DEP_2) | instskip(NEXT) | instid1(VALU_DEP_2)
	v_mul_lo_u32 v1, v1, s21
	v_mul_lo_u32 v2, v2, s23
	s_delay_alu instid0(VALU_DEP_1) | instskip(NEXT) | instid1(VALU_DEP_1)
	v_sub_nc_u32_e32 v1, v1, v2
	v_cmp_lt_u32_e64 s6, s43, v1
	s_and_b32 s47, s6, exec_lo
.LBB1783_15:
	s_or_b32 exec_lo, exec_lo, s7
	v_add_nc_u32_e32 v1, s17, v16
	v_add_nc_u32_e32 v2, s19, v16
	s_mov_b32 s8, exec_lo
	s_delay_alu instid0(VALU_DEP_2) | instskip(NEXT) | instid1(VALU_DEP_2)
	v_mul_lo_u32 v1, v1, s16
	v_mul_lo_u32 v2, v2, s18
	s_delay_alu instid0(VALU_DEP_1) | instskip(NEXT) | instid1(VALU_DEP_1)
	v_sub_nc_u32_e32 v1, v1, v2
	v_cmp_lt_u32_e64 s6, s20, v1
	v_cmpx_ge_u32_e64 s20, v1
	s_cbranch_execz .LBB1783_17
; %bb.16:
	v_add_nc_u32_e32 v1, s22, v16
	v_add_nc_u32_e32 v2, s42, v16
	s_delay_alu instid0(VALU_DEP_2) | instskip(NEXT) | instid1(VALU_DEP_2)
	v_mul_lo_u32 v1, v1, s21
	v_mul_lo_u32 v2, v2, s23
	s_delay_alu instid0(VALU_DEP_1) | instskip(NEXT) | instid1(VALU_DEP_1)
	v_sub_nc_u32_e32 v1, v1, v2
	v_cmp_lt_u32_e64 s7, s43, v1
	s_and_b32 s48, s7, exec_lo
.LBB1783_17:
	s_or_b32 exec_lo, exec_lo, s8
	v_add_nc_u32_e32 v1, s17, v13
	v_add_nc_u32_e32 v2, s19, v13
	s_mov_b32 s50, 0
	s_mov_b32 s49, 0
	s_mov_b32 s9, exec_lo
	v_mul_lo_u32 v1, v1, s16
	v_mul_lo_u32 v2, v2, s18
	s_delay_alu instid0(VALU_DEP_1) | instskip(NEXT) | instid1(VALU_DEP_1)
	v_sub_nc_u32_e32 v1, v1, v2
	v_cmp_lt_u32_e64 s7, s20, v1
	v_cmpx_ge_u32_e64 s20, v1
	s_cbranch_execz .LBB1783_19
; %bb.18:
	v_add_nc_u32_e32 v1, s22, v13
	v_add_nc_u32_e32 v2, s42, v13
	s_delay_alu instid0(VALU_DEP_2) | instskip(NEXT) | instid1(VALU_DEP_2)
	v_mul_lo_u32 v1, v1, s21
	v_mul_lo_u32 v2, v2, s23
	s_delay_alu instid0(VALU_DEP_1) | instskip(NEXT) | instid1(VALU_DEP_1)
	v_sub_nc_u32_e32 v1, v1, v2
	v_cmp_lt_u32_e64 s8, s43, v1
	s_and_b32 s49, s8, exec_lo
.LBB1783_19:
	;; [unrolled: 47-line block ×5, first 2 shown]
	s_or_b32 exec_lo, exec_lo, s57
	v_cndmask_b32_e64 v2, 0, 1, s2
	s_wait_alu 0xf1ff
	v_cndmask_b32_e64 v4, 0, 1, s4
	s_wait_alu 0xfffd
	v_cndmask_b32_e64 v1, 0, 1, vcc_lo
	v_cndmask_b32_e64 v3, 0, 1, s3
	v_cndmask_b32_e64 v6, 0, 1, s6
	v_lshlrev_b16 v2, 8, v2
	v_lshlrev_b16 v4, 8, v4
	v_cndmask_b32_e64 v8, 0, 1, s8
	v_cndmask_b32_e64 v22, 0, 1, s10
	;; [unrolled: 1-line block ×3, first 2 shown]
	v_or_b32_e32 v1, v1, v2
	v_or_b32_e32 v2, v3, v4
	v_cndmask_b32_e64 v51, 0, 1, s41
	v_cndmask_b32_e64 v5, 0, 1, s5
	;; [unrolled: 1-line block ×3, first 2 shown]
	v_and_b32_e32 v1, 0xffff, v1
	v_lshlrev_b32_e32 v2, 16, v2
	v_cndmask_b32_e64 v21, 0, 1, s9
	v_cndmask_b32_e64 v23, 0, 1, s11
	;; [unrolled: 1-line block ×8, first 2 shown]
	v_or_b32_e32 v42, v1, v2
	v_lshlrev_b16 v1, 8, v6
	v_lshlrev_b16 v2, 8, v8
	;; [unrolled: 1-line block ×5, first 2 shown]
	v_cndmask_b32_e64 v26, 0, 1, s53
	v_cndmask_b32_e64 v44, 0, 1, s50
	;; [unrolled: 1-line block ×5, first 2 shown]
	v_or_b32_e32 v1, v5, v1
	v_or_b32_e32 v2, v7, v2
	;; [unrolled: 1-line block ×5, first 2 shown]
	v_lshlrev_b16 v4, 8, v4
	v_lshlrev_b16 v8, 8, v49
	;; [unrolled: 1-line block ×5, first 2 shown]
	v_or_b32_e32 v4, v50, v4
	v_or_b32_e32 v3, v3, v8
	;; [unrolled: 1-line block ×5, first 2 shown]
	v_and_b32_e32 v1, 0xffff, v1
	v_lshlrev_b32_e32 v2, 16, v2
	v_and_b32_e32 v5, 0xffff, v5
	v_lshlrev_b32_e32 v6, 16, v6
	;; [unrolled: 2-line block ×5, first 2 shown]
	v_cndmask_b32_e64 v45, 0, 1, s54
	v_cndmask_b32_e64 v48, 0, 1, s56
	v_or_b32_e32 v44, v1, v2
	v_or_b32_e32 v47, v5, v6
	;; [unrolled: 1-line block ×5, first 2 shown]
	s_load_b64 s[4:5], s[0:1], 0x78
	s_and_b32 vcc_lo, exec_lo, s51
	s_wait_alu 0xfffe
	s_cbranch_vccnz .LBB1783_33
	s_branch .LBB1783_110
.LBB1783_32:
                                        ; implicit-def: $vgpr48
                                        ; implicit-def: $vgpr45
                                        ; implicit-def: $vgpr46
                                        ; implicit-def: $vgpr43
                                        ; implicit-def: $vgpr49
                                        ; implicit-def: $vgpr47
                                        ; implicit-def: $vgpr44
                                        ; implicit-def: $vgpr42
	s_load_b64 s[4:5], s[0:1], 0x78
	s_cbranch_execz .LBB1783_110
.LBB1783_33:
	v_dual_mov_b32 v2, 0 :: v_dual_mov_b32 v1, 0
	s_mov_b32 s1, exec_lo
	v_cmpx_gt_u32_e64 s33, v41
	s_cbranch_execz .LBB1783_37
; %bb.34:
	v_add_nc_u32_e32 v1, s17, v19
	v_add_nc_u32_e32 v2, s19, v19
	s_mov_b32 s3, 0
	s_mov_b32 s2, exec_lo
	s_delay_alu instid0(VALU_DEP_2) | instskip(NEXT) | instid1(VALU_DEP_2)
	v_mul_lo_u32 v1, v1, s16
	v_mul_lo_u32 v2, v2, s18
	s_delay_alu instid0(VALU_DEP_1) | instskip(NEXT) | instid1(VALU_DEP_1)
	v_sub_nc_u32_e32 v1, v1, v2
	v_cmp_lt_u32_e32 vcc_lo, s20, v1
	v_cmpx_ge_u32_e64 s20, v1
	s_cbranch_execz .LBB1783_36
; %bb.35:
	v_add_nc_u32_e32 v1, s22, v19
	v_add_nc_u32_e32 v2, s42, v19
	s_delay_alu instid0(VALU_DEP_2) | instskip(NEXT) | instid1(VALU_DEP_2)
	v_mul_lo_u32 v1, v1, s21
	v_mul_lo_u32 v2, v2, s23
	s_delay_alu instid0(VALU_DEP_1) | instskip(NEXT) | instid1(VALU_DEP_1)
	v_sub_nc_u32_e32 v1, v1, v2
	v_cmp_lt_u32_e64 s0, s43, v1
	s_and_b32 s3, s0, exec_lo
.LBB1783_36:
	s_wait_alu 0xfffe
	s_or_b32 exec_lo, exec_lo, s2
	v_cndmask_b32_e64 v2, 0, 1, s3
	s_wait_alu 0xfffd
	v_cndmask_b32_e64 v1, 0, 1, vcc_lo
.LBB1783_37:
	s_or_b32 exec_lo, exec_lo, s1
	s_delay_alu instid0(VALU_DEP_2) | instskip(SKIP_1) | instid1(VALU_DEP_3)
	v_lshlrev_b16 v2, 8, v2
	v_add_nc_u32_e32 v3, 1, v41
	v_and_b32_e32 v6, 0xff, v1
	v_lshlrev_b16 v1, 8, 0
                                        ; implicit-def: $vgpr5
                                        ; implicit-def: $vgpr8
                                        ; implicit-def: $vgpr4
	s_delay_alu instid0(VALU_DEP_4) | instskip(NEXT) | instid1(VALU_DEP_4)
	v_and_b32_e32 v2, 0xffff, v2
	v_cmp_le_u32_e32 vcc_lo, s33, v3
                                        ; implicit-def: $vgpr3
	s_delay_alu instid0(VALU_DEP_2) | instskip(SKIP_2) | instid1(SALU_CYCLE_1)
	v_lshrrev_b32_e32 v21, 8, v2
	v_and_b32_e32 v7, 0xff, v2
                                        ; implicit-def: $vgpr2
	s_and_saveexec_b32 s0, vcc_lo
	s_xor_b32 s0, exec_lo, s0
	s_cbranch_execz .LBB1783_39
; %bb.38:
	v_lshlrev_b16 v2, 8, v21
	v_and_b32_e32 v4, 0xffff, v1
                                        ; implicit-def: $vgpr21
	v_mov_b32_e32 v5, 0
	s_delay_alu instid0(VALU_DEP_3) | instskip(SKIP_1) | instid1(VALU_DEP_2)
	v_or_b32_e32 v3, v7, v2
	v_mov_b32_e32 v2, 0
                                        ; implicit-def: $vgpr7
	v_and_b32_e32 v8, 0xffff, v3
	v_and_b32_e32 v3, 0xffff, v1
                                        ; implicit-def: $vgpr1
.LBB1783_39:
	s_and_not1_saveexec_b32 s1, s0
	s_cbranch_execz .LBB1783_43
; %bb.40:
	v_add_nc_u32_e32 v2, s17, v20
	v_add_nc_u32_e32 v3, s19, v20
	s_mov_b32 s2, 0
	s_mov_b32 s3, exec_lo
	s_delay_alu instid0(VALU_DEP_2) | instskip(NEXT) | instid1(VALU_DEP_2)
	v_mul_lo_u32 v2, v2, s16
	v_mul_lo_u32 v3, v3, s18
	s_delay_alu instid0(VALU_DEP_1) | instskip(NEXT) | instid1(VALU_DEP_1)
	v_sub_nc_u32_e32 v2, v2, v3
	v_cmp_lt_u32_e32 vcc_lo, s20, v2
	v_cmpx_ge_u32_e64 s20, v2
	s_cbranch_execz .LBB1783_42
; %bb.41:
	v_add_nc_u32_e32 v2, s22, v20
	v_add_nc_u32_e32 v3, s42, v20
	s_delay_alu instid0(VALU_DEP_2) | instskip(NEXT) | instid1(VALU_DEP_2)
	v_mul_lo_u32 v2, v2, s21
	v_mul_lo_u32 v3, v3, s23
	s_delay_alu instid0(VALU_DEP_1) | instskip(NEXT) | instid1(VALU_DEP_1)
	v_sub_nc_u32_e32 v2, v2, v3
	v_cmp_lt_u32_e64 s0, s43, v2
	s_and_b32 s2, s0, exec_lo
.LBB1783_42:
	s_wait_alu 0xfffe
	s_or_b32 exec_lo, exec_lo, s3
	s_wait_alu 0xfffd
	v_cndmask_b32_e64 v2, 0, 1, vcc_lo
	v_lshlrev_b16 v3, 8, v21
	v_dual_mov_b32 v5, 0 :: v_dual_and_b32 v4, 0xffff, v1
	s_delay_alu instid0(VALU_DEP_3) | instskip(NEXT) | instid1(VALU_DEP_3)
	v_lshlrev_b16 v2, 8, v2
	v_or_b32_e32 v3, v7, v3
	v_cndmask_b32_e64 v7, 0, 1, s2
	s_delay_alu instid0(VALU_DEP_3) | instskip(NEXT) | instid1(VALU_DEP_3)
	v_or_b32_e32 v6, v6, v2
	v_dual_mov_b32 v2, 0 :: v_dual_and_b32 v3, 0xffff, v3
	s_delay_alu instid0(VALU_DEP_2) | instskip(NEXT) | instid1(VALU_DEP_2)
	v_and_b32_e32 v6, 0xffff, v6
	v_lshl_or_b32 v8, v7, 16, v3
	v_and_b32_e32 v3, 0xffff, v1
.LBB1783_43:
	s_or_b32 exec_lo, exec_lo, s1
	v_add_nc_u32_e32 v1, 2, v41
	v_and_b32_e32 v21, 0xff, v6
	v_lshrrev_b32_e32 v22, 8, v6
                                        ; implicit-def: $vgpr7
	s_delay_alu instid0(VALU_DEP_3) | instskip(SKIP_1) | instid1(SALU_CYCLE_1)
	v_cmp_le_u32_e32 vcc_lo, s33, v1
                                        ; implicit-def: $vgpr1
	s_and_saveexec_b32 s0, vcc_lo
	s_xor_b32 s0, exec_lo, s0
	s_cbranch_execz .LBB1783_45
; %bb.44:
	v_lshlrev_b16 v1, 8, v22
	v_perm_b32 v4, v4, v4, 0x3060504
                                        ; implicit-def: $vgpr22
	s_delay_alu instid0(VALU_DEP_2) | instskip(SKIP_1) | instid1(VALU_DEP_2)
	v_or_b32_e32 v1, v21, v1
	v_and_b32_e32 v21, 0xff0000, v8
	v_and_b32_e32 v1, 0xffff, v1
	s_delay_alu instid0(VALU_DEP_1) | instskip(NEXT) | instid1(VALU_DEP_3)
	v_and_or_b32 v7, 0xff000000, v6, v1
	v_perm_b32 v1, v8, v21, 0x3020504
                                        ; implicit-def: $vgpr21
                                        ; implicit-def: $vgpr6
                                        ; implicit-def: $vgpr8
.LBB1783_45:
	s_and_not1_saveexec_b32 s1, s0
	s_cbranch_execz .LBB1783_49
; %bb.46:
	v_add_nc_u32_e32 v1, s17, v17
	v_add_nc_u32_e32 v7, s19, v17
	s_mov_b32 s2, 0
	s_mov_b32 s3, exec_lo
	s_delay_alu instid0(VALU_DEP_2) | instskip(NEXT) | instid1(VALU_DEP_2)
	v_mul_lo_u32 v1, v1, s16
	v_mul_lo_u32 v7, v7, s18
	s_delay_alu instid0(VALU_DEP_1) | instskip(NEXT) | instid1(VALU_DEP_1)
	v_sub_nc_u32_e32 v1, v1, v7
	v_cmp_lt_u32_e32 vcc_lo, s20, v1
	v_cmpx_ge_u32_e64 s20, v1
	s_cbranch_execz .LBB1783_48
; %bb.47:
	v_add_nc_u32_e32 v1, s22, v17
	v_add_nc_u32_e32 v7, s42, v17
	s_delay_alu instid0(VALU_DEP_2) | instskip(NEXT) | instid1(VALU_DEP_2)
	v_mul_lo_u32 v1, v1, s21
	v_mul_lo_u32 v7, v7, s23
	s_delay_alu instid0(VALU_DEP_1) | instskip(NEXT) | instid1(VALU_DEP_1)
	v_sub_nc_u32_e32 v1, v1, v7
	v_cmp_lt_u32_e64 s0, s43, v1
	s_and_b32 s2, s0, exec_lo
.LBB1783_48:
	s_wait_alu 0xfffe
	s_or_b32 exec_lo, exec_lo, s3
	v_lshrrev_b32_e32 v6, 24, v6
	v_cndmask_b32_e64 v7, 0, 1, s2
	v_lshrrev_b32_e32 v23, 8, v8
	v_lshrrev_b32_e32 v24, 16, v8
	s_wait_alu 0xfffd
	v_cndmask_b32_e64 v1, 0, 1, vcc_lo
	v_lshlrev_b16 v22, 8, v22
	v_lshlrev_b16 v6, 8, v6
	v_and_b32_e32 v8, 0xff, v8
	v_lshlrev_b16 v23, 8, v23
	v_lshlrev_b16 v7, 8, v7
	v_and_b32_e32 v24, 0xff, v24
	v_or_b32_e32 v21, v21, v22
	v_or_b32_e32 v1, v1, v6
	;; [unrolled: 1-line block ×3, first 2 shown]
	s_delay_alu instid0(VALU_DEP_4) | instskip(NEXT) | instid1(VALU_DEP_4)
	v_or_b32_e32 v7, v24, v7
	v_and_b32_e32 v8, 0xffff, v21
	s_delay_alu instid0(VALU_DEP_4) | instskip(NEXT) | instid1(VALU_DEP_4)
	v_lshlrev_b32_e32 v1, 16, v1
	v_and_b32_e32 v6, 0xffff, v6
	s_delay_alu instid0(VALU_DEP_4) | instskip(NEXT) | instid1(VALU_DEP_3)
	v_lshlrev_b32_e32 v21, 16, v7
	v_or_b32_e32 v7, v8, v1
	s_delay_alu instid0(VALU_DEP_2)
	v_or_b32_e32 v1, v6, v21
.LBB1783_49:
	s_or_b32 exec_lo, exec_lo, s1
	v_add_nc_u32_e32 v6, 3, v41
	v_lshrrev_b32_e32 v8, 24, v5
	v_lshrrev_b32_e32 v21, 16, v5
	v_lshrrev_b32_e32 v5, 8, v5
                                        ; implicit-def: $vgpr42
	s_delay_alu instid0(VALU_DEP_4) | instskip(SKIP_1) | instid1(SALU_CYCLE_1)
	v_cmp_le_u32_e32 vcc_lo, s33, v6
                                        ; implicit-def: $vgpr6
	s_and_saveexec_b32 s0, vcc_lo
	s_xor_b32 s0, exec_lo, s0
	s_cbranch_execz .LBB1783_51
; %bb.50:
	v_lshlrev_b16 v6, 8, v8
	v_and_b32_e32 v8, 0xff, v21
	v_lshlrev_b16 v5, 8, v5
	v_perm_b32 v4, v4, v4, 0x3060504
	v_perm_b32 v3, v3, v3, 0x3060504
                                        ; implicit-def: $vgpr21
	s_delay_alu instid0(VALU_DEP_4) | instskip(SKIP_2) | instid1(VALU_DEP_3)
	v_or_b32_e32 v6, v8, v6
	v_and_b32_e32 v8, 0xff0000, v7
	v_and_b32_e32 v5, 0xffff, v5
	v_lshlrev_b32_e32 v6, 16, v6
	s_delay_alu instid0(VALU_DEP_3) | instskip(NEXT) | instid1(VALU_DEP_2)
	v_perm_b32 v42, v7, v8, 0x3020504
                                        ; implicit-def: $vgpr7
                                        ; implicit-def: $vgpr8
	v_or_b32_e32 v6, v5, v6
                                        ; implicit-def: $vgpr5
.LBB1783_51:
	s_and_not1_saveexec_b32 s1, s0
	s_cbranch_execz .LBB1783_55
; %bb.52:
	v_add_nc_u32_e32 v6, s17, v18
	v_add_nc_u32_e32 v22, s19, v18
	s_mov_b32 s2, 0
	s_mov_b32 s3, exec_lo
	s_delay_alu instid0(VALU_DEP_2) | instskip(NEXT) | instid1(VALU_DEP_2)
	v_mul_lo_u32 v6, v6, s16
	v_mul_lo_u32 v22, v22, s18
	s_delay_alu instid0(VALU_DEP_1) | instskip(NEXT) | instid1(VALU_DEP_1)
	v_sub_nc_u32_e32 v6, v6, v22
	v_cmp_lt_u32_e32 vcc_lo, s20, v6
	v_cmpx_ge_u32_e64 s20, v6
	s_cbranch_execz .LBB1783_54
; %bb.53:
	v_add_nc_u32_e32 v6, s22, v18
	v_add_nc_u32_e32 v22, s42, v18
	s_delay_alu instid0(VALU_DEP_2) | instskip(NEXT) | instid1(VALU_DEP_2)
	v_mul_lo_u32 v6, v6, s21
	v_mul_lo_u32 v22, v22, s23
	s_delay_alu instid0(VALU_DEP_1) | instskip(NEXT) | instid1(VALU_DEP_1)
	v_sub_nc_u32_e32 v6, v6, v22
	v_cmp_lt_u32_e64 s0, s43, v6
	s_and_b32 s2, s0, exec_lo
.LBB1783_54:
	s_wait_alu 0xfffe
	s_or_b32 exec_lo, exec_lo, s3
	v_lshrrev_b32_e32 v6, 8, v7
	s_wait_alu 0xfffd
	v_cndmask_b32_e64 v22, 0, 1, vcc_lo
	v_lshrrev_b32_e32 v23, 16, v7
	v_cndmask_b32_e64 v24, 0, 1, s2
	v_and_b32_e32 v7, 0xff, v7
	v_lshlrev_b16 v6, 8, v6
	v_lshlrev_b16 v22, 8, v22
	v_and_b32_e32 v23, 0xff, v23
	v_lshlrev_b16 v8, 8, v8
	v_and_b32_e32 v21, 0xff, v21
	v_lshlrev_b16 v5, 8, v5
	v_or_b32_e32 v6, v7, v6
	v_or_b32_e32 v7, v23, v22
	s_delay_alu instid0(VALU_DEP_4) | instskip(NEXT) | instid1(VALU_DEP_4)
	v_or_b32_e32 v8, v21, v8
	v_or_b32_e32 v5, v24, v5
	s_delay_alu instid0(VALU_DEP_4) | instskip(NEXT) | instid1(VALU_DEP_4)
	v_and_b32_e32 v6, 0xffff, v6
	v_lshlrev_b32_e32 v7, 16, v7
	s_delay_alu instid0(VALU_DEP_4) | instskip(NEXT) | instid1(VALU_DEP_4)
	v_lshlrev_b32_e32 v8, 16, v8
	v_and_b32_e32 v5, 0xffff, v5
	s_delay_alu instid0(VALU_DEP_3) | instskip(NEXT) | instid1(VALU_DEP_2)
	v_or_b32_e32 v42, v6, v7
	v_or_b32_e32 v6, v5, v8
.LBB1783_55:
	s_or_b32 exec_lo, exec_lo, s1
	v_add_nc_u32_e32 v5, 4, v41
	v_lshrrev_b32_e32 v21, 8, v4
	v_lshrrev_b32_e32 v22, 16, v4
	;; [unrolled: 1-line block ×4, first 2 shown]
	v_cmp_le_u32_e32 vcc_lo, s33, v5
	v_lshrrev_b32_e32 v8, 16, v6
                                        ; implicit-def: $vgpr4
                                        ; implicit-def: $vgpr5
	s_and_saveexec_b32 s0, vcc_lo
	s_delay_alu instid0(SALU_CYCLE_1)
	s_xor_b32 s0, exec_lo, s0
	s_cbranch_execz .LBB1783_57
; %bb.56:
	v_lshlrev_b16 v4, 8, v23
	v_and_b32_e32 v5, 0xff, v22
	v_lshlrev_b16 v21, 8, v21
	v_lshlrev_b16 v7, 8, v7
	v_and_b32_e32 v8, 0xff, v8
	v_perm_b32 v3, v3, v3, 0x3060504
	v_or_b32_e32 v4, v5, v4
	v_and_b32_e32 v5, 0xffff, v21
                                        ; implicit-def: $vgpr21
                                        ; implicit-def: $vgpr22
                                        ; implicit-def: $vgpr23
	s_delay_alu instid0(VALU_DEP_4) | instskip(NEXT) | instid1(VALU_DEP_3)
	v_or_b32_e32 v7, v8, v7
	v_lshlrev_b32_e32 v8, 16, v4
	s_delay_alu instid0(VALU_DEP_2) | instskip(NEXT) | instid1(VALU_DEP_2)
	v_perm_b32 v4, v7, v6, 0x5040c00
                                        ; implicit-def: $vgpr6
                                        ; implicit-def: $vgpr7
	v_or_b32_e32 v5, v5, v8
                                        ; implicit-def: $vgpr8
.LBB1783_57:
	s_and_not1_saveexec_b32 s1, s0
	s_cbranch_execz .LBB1783_61
; %bb.58:
	v_add_nc_u32_e32 v4, s17, v15
	v_add_nc_u32_e32 v5, s19, v15
	s_mov_b32 s2, 0
	s_mov_b32 s3, exec_lo
	s_delay_alu instid0(VALU_DEP_2) | instskip(NEXT) | instid1(VALU_DEP_2)
	v_mul_lo_u32 v4, v4, s16
	v_mul_lo_u32 v5, v5, s18
	s_delay_alu instid0(VALU_DEP_1) | instskip(NEXT) | instid1(VALU_DEP_1)
	v_sub_nc_u32_e32 v4, v4, v5
	v_cmp_lt_u32_e32 vcc_lo, s20, v4
	v_cmpx_ge_u32_e64 s20, v4
	s_cbranch_execz .LBB1783_60
; %bb.59:
	v_add_nc_u32_e32 v4, s22, v15
	v_add_nc_u32_e32 v5, s42, v15
	s_delay_alu instid0(VALU_DEP_2) | instskip(NEXT) | instid1(VALU_DEP_2)
	v_mul_lo_u32 v4, v4, s21
	v_mul_lo_u32 v5, v5, s23
	s_delay_alu instid0(VALU_DEP_1) | instskip(NEXT) | instid1(VALU_DEP_1)
	v_sub_nc_u32_e32 v4, v4, v5
	v_cmp_lt_u32_e64 s0, s43, v4
	s_and_b32 s2, s0, exec_lo
.LBB1783_60:
	s_wait_alu 0xfffe
	s_or_b32 exec_lo, exec_lo, s3
	v_cndmask_b32_e64 v4, 0, 1, s2
	s_wait_alu 0xfffd
	v_cndmask_b32_e64 v5, 0, 1, vcc_lo
	v_lshlrev_b16 v23, 8, v23
	v_and_b32_e32 v22, 0xff, v22
	v_lshlrev_b16 v21, 8, v21
	v_lshlrev_b16 v4, 8, v4
	v_and_b32_e32 v6, 0xff, v6
	v_lshlrev_b16 v7, 8, v7
	v_and_b32_e32 v8, 0xff, v8
	v_or_b32_e32 v22, v22, v23
	v_or_b32_e32 v5, v5, v21
	;; [unrolled: 1-line block ×3, first 2 shown]
	s_delay_alu instid0(VALU_DEP_4) | instskip(NEXT) | instid1(VALU_DEP_4)
	v_or_b32_e32 v6, v8, v7
	v_lshlrev_b32_e32 v7, 16, v22
	s_delay_alu instid0(VALU_DEP_4) | instskip(NEXT) | instid1(VALU_DEP_4)
	v_and_b32_e32 v5, 0xffff, v5
	v_and_b32_e32 v4, 0xffff, v4
	s_delay_alu instid0(VALU_DEP_4) | instskip(NEXT) | instid1(VALU_DEP_3)
	v_lshlrev_b32_e32 v6, 16, v6
	v_or_b32_e32 v5, v5, v7
	s_delay_alu instid0(VALU_DEP_2)
	v_or_b32_e32 v4, v4, v6
.LBB1783_61:
	s_or_b32 exec_lo, exec_lo, s1
	v_add_nc_u32_e32 v6, 5, v41
	s_delay_alu instid0(VALU_DEP_2)
	v_lshrrev_b32_e32 v21, 16, v5
	v_lshrrev_b32_e32 v23, 24, v5
	v_and_b32_e32 v8, 0xff, v4
	v_lshrrev_b32_e32 v22, 8, v4
	v_cmp_le_u32_e32 vcc_lo, s33, v6
                                        ; implicit-def: $vgpr6
                                        ; implicit-def: $vgpr7
	s_and_saveexec_b32 s0, vcc_lo
	s_delay_alu instid0(SALU_CYCLE_1)
	s_xor_b32 s0, exec_lo, s0
	s_cbranch_execz .LBB1783_63
; %bb.62:
	v_lshlrev_b16 v6, 8, v22
	v_lshlrev_b16 v7, 8, v23
	v_and_b32_e32 v21, 0xff, v21
	v_perm_b32 v3, v3, v3, 0x3060504
                                        ; implicit-def: $vgpr23
                                        ; implicit-def: $vgpr22
	s_delay_alu instid0(VALU_DEP_4) | instskip(NEXT) | instid1(VALU_DEP_3)
	v_or_b32_e32 v6, v8, v6
                                        ; implicit-def: $vgpr8
	v_or_b32_e32 v7, v21, v7
                                        ; implicit-def: $vgpr21
	s_delay_alu instid0(VALU_DEP_2) | instskip(NEXT) | instid1(VALU_DEP_2)
	v_and_b32_e32 v6, 0xffff, v6
	v_perm_b32 v7, v7, v5, 0x5040c00
                                        ; implicit-def: $vgpr5
	s_delay_alu instid0(VALU_DEP_2)
	v_and_or_b32 v6, 0xff000000, v4, v6
                                        ; implicit-def: $vgpr4
.LBB1783_63:
	s_and_not1_saveexec_b32 s1, s0
	s_cbranch_execz .LBB1783_67
; %bb.64:
	v_add_nc_u32_e32 v6, s17, v16
	v_add_nc_u32_e32 v7, s19, v16
	s_mov_b32 s2, 0
	s_mov_b32 s3, exec_lo
	s_delay_alu instid0(VALU_DEP_2) | instskip(NEXT) | instid1(VALU_DEP_2)
	v_mul_lo_u32 v6, v6, s16
	v_mul_lo_u32 v7, v7, s18
	s_delay_alu instid0(VALU_DEP_1) | instskip(NEXT) | instid1(VALU_DEP_1)
	v_sub_nc_u32_e32 v6, v6, v7
	v_cmp_lt_u32_e32 vcc_lo, s20, v6
	v_cmpx_ge_u32_e64 s20, v6
	s_cbranch_execz .LBB1783_66
; %bb.65:
	v_add_nc_u32_e32 v6, s22, v16
	v_add_nc_u32_e32 v7, s42, v16
	s_delay_alu instid0(VALU_DEP_2) | instskip(NEXT) | instid1(VALU_DEP_2)
	v_mul_lo_u32 v6, v6, s21
	v_mul_lo_u32 v7, v7, s23
	s_delay_alu instid0(VALU_DEP_1) | instskip(NEXT) | instid1(VALU_DEP_1)
	v_sub_nc_u32_e32 v6, v6, v7
	v_cmp_lt_u32_e64 s0, s43, v6
	s_and_b32 s2, s0, exec_lo
.LBB1783_66:
	s_wait_alu 0xfffe
	s_or_b32 exec_lo, exec_lo, s3
	s_wait_alu 0xfffd
	v_cndmask_b32_e64 v6, 0, 1, vcc_lo
	v_lshrrev_b32_e32 v4, 24, v4
	v_cndmask_b32_e64 v7, 0, 1, s2
	v_lshlrev_b16 v23, 8, v23
	v_and_b32_e32 v21, 0xff, v21
	v_lshlrev_b16 v6, 8, v6
	v_lshlrev_b16 v22, 8, v22
	v_and_b32_e32 v5, 0xff, v5
	v_lshlrev_b16 v4, 8, v4
	v_or_b32_e32 v21, v21, v23
	s_delay_alu instid0(VALU_DEP_4) | instskip(NEXT) | instid1(VALU_DEP_4)
	v_or_b32_e32 v8, v8, v22
	v_or_b32_e32 v5, v5, v6
	s_delay_alu instid0(VALU_DEP_4) | instskip(NEXT) | instid1(VALU_DEP_4)
	v_or_b32_e32 v4, v7, v4
	v_lshlrev_b32_e32 v6, 16, v21
	s_delay_alu instid0(VALU_DEP_4) | instskip(NEXT) | instid1(VALU_DEP_4)
	v_and_b32_e32 v8, 0xffff, v8
	v_and_b32_e32 v5, 0xffff, v5
	s_delay_alu instid0(VALU_DEP_4) | instskip(NEXT) | instid1(VALU_DEP_2)
	v_lshlrev_b32_e32 v4, 16, v4
	v_or_b32_e32 v7, v5, v6
	s_delay_alu instid0(VALU_DEP_2)
	v_or_b32_e32 v6, v8, v4
.LBB1783_67:
	s_or_b32 exec_lo, exec_lo, s1
	v_add_nc_u32_e32 v4, 6, v41
	s_delay_alu instid0(VALU_DEP_3) | instskip(NEXT) | instid1(VALU_DEP_2)
	v_lshrrev_b32_e32 v8, 8, v7
                                        ; implicit-def: $vgpr43
                                        ; implicit-def: $vgpr5
	v_cmp_le_u32_e32 vcc_lo, s33, v4
	v_and_b32_e32 v4, 0xff, v7
	s_and_saveexec_b32 s0, vcc_lo
	s_delay_alu instid0(SALU_CYCLE_1)
	s_xor_b32 s0, exec_lo, s0
	s_cbranch_execz .LBB1783_69
; %bb.68:
	v_lshlrev_b16 v5, 8, v8
	v_perm_b32 v3, v3, v3, 0x3060504
                                        ; implicit-def: $vgpr8
	s_delay_alu instid0(VALU_DEP_2) | instskip(SKIP_1) | instid1(VALU_DEP_2)
	v_or_b32_e32 v4, v4, v5
	v_and_b32_e32 v5, 0xff0000, v6
	v_and_b32_e32 v4, 0xffff, v4
	s_delay_alu instid0(VALU_DEP_2) | instskip(NEXT) | instid1(VALU_DEP_2)
	v_perm_b32 v43, v6, v5, 0x3020504
                                        ; implicit-def: $vgpr6
	v_and_or_b32 v5, 0xff000000, v7, v4
                                        ; implicit-def: $vgpr4
                                        ; implicit-def: $vgpr7
.LBB1783_69:
	s_and_not1_saveexec_b32 s1, s0
	s_cbranch_execz .LBB1783_73
; %bb.70:
	v_add_nc_u32_e32 v5, s17, v13
	v_add_nc_u32_e32 v21, s19, v13
	s_mov_b32 s2, 0
	s_mov_b32 s3, exec_lo
	s_delay_alu instid0(VALU_DEP_2) | instskip(NEXT) | instid1(VALU_DEP_2)
	v_mul_lo_u32 v5, v5, s16
	v_mul_lo_u32 v21, v21, s18
	s_delay_alu instid0(VALU_DEP_1) | instskip(NEXT) | instid1(VALU_DEP_1)
	v_sub_nc_u32_e32 v5, v5, v21
	v_cmp_lt_u32_e32 vcc_lo, s20, v5
	v_cmpx_ge_u32_e64 s20, v5
	s_cbranch_execz .LBB1783_72
; %bb.71:
	v_add_nc_u32_e32 v5, s22, v13
	v_add_nc_u32_e32 v21, s42, v13
	s_delay_alu instid0(VALU_DEP_2) | instskip(NEXT) | instid1(VALU_DEP_2)
	v_mul_lo_u32 v5, v5, s21
	v_mul_lo_u32 v21, v21, s23
	s_delay_alu instid0(VALU_DEP_1) | instskip(NEXT) | instid1(VALU_DEP_1)
	v_sub_nc_u32_e32 v5, v5, v21
	v_cmp_lt_u32_e64 s0, s43, v5
	s_and_b32 s2, s0, exec_lo
.LBB1783_72:
	s_wait_alu 0xfffe
	s_or_b32 exec_lo, exec_lo, s3
	v_lshrrev_b32_e32 v7, 24, v7
	v_cndmask_b32_e64 v21, 0, 1, s2
	v_lshrrev_b32_e32 v22, 8, v6
	v_lshrrev_b32_e32 v23, 16, v6
	s_wait_alu 0xfffd
	v_cndmask_b32_e64 v5, 0, 1, vcc_lo
	v_lshlrev_b16 v8, 8, v8
	v_lshlrev_b16 v7, 8, v7
	v_and_b32_e32 v6, 0xff, v6
	v_lshlrev_b16 v22, 8, v22
	v_lshlrev_b16 v21, 8, v21
	v_and_b32_e32 v23, 0xff, v23
	v_or_b32_e32 v4, v4, v8
	v_or_b32_e32 v5, v5, v7
	;; [unrolled: 1-line block ×3, first 2 shown]
	s_delay_alu instid0(VALU_DEP_4) | instskip(NEXT) | instid1(VALU_DEP_4)
	v_or_b32_e32 v7, v23, v21
	v_and_b32_e32 v4, 0xffff, v4
	s_delay_alu instid0(VALU_DEP_4) | instskip(NEXT) | instid1(VALU_DEP_4)
	v_lshlrev_b32_e32 v5, 16, v5
	v_and_b32_e32 v6, 0xffff, v6
	s_delay_alu instid0(VALU_DEP_4) | instskip(NEXT) | instid1(VALU_DEP_3)
	v_lshlrev_b32_e32 v7, 16, v7
	v_or_b32_e32 v5, v4, v5
	s_delay_alu instid0(VALU_DEP_2)
	v_or_b32_e32 v43, v6, v7
.LBB1783_73:
	s_or_b32 exec_lo, exec_lo, s1
	v_add_nc_u32_e32 v4, 7, v41
	v_lshrrev_b32_e32 v6, 8, v3
	v_lshrrev_b32_e32 v7, 16, v3
	;; [unrolled: 1-line block ×3, first 2 shown]
                                        ; implicit-def: $vgpr44
	s_delay_alu instid0(VALU_DEP_4) | instskip(SKIP_1) | instid1(SALU_CYCLE_1)
	v_cmp_le_u32_e32 vcc_lo, s33, v4
                                        ; implicit-def: $vgpr4
	s_and_saveexec_b32 s0, vcc_lo
	s_xor_b32 s0, exec_lo, s0
	s_cbranch_execz .LBB1783_75
; %bb.74:
	v_lshlrev_b16 v3, 8, v3
	v_and_b32_e32 v4, 0xff, v7
                                        ; implicit-def: $vgpr7
	s_delay_alu instid0(VALU_DEP_1) | instskip(SKIP_2) | instid1(VALU_DEP_3)
	v_or_b32_e32 v3, v4, v3
	v_lshlrev_b16 v4, 8, v6
	v_and_b32_e32 v6, 0xff0000, v5
	v_lshlrev_b32_e32 v3, 16, v3
	s_delay_alu instid0(VALU_DEP_3) | instskip(NEXT) | instid1(VALU_DEP_3)
	v_and_b32_e32 v4, 0xffff, v4
	v_perm_b32 v44, v5, v6, 0x3020504
                                        ; implicit-def: $vgpr5
                                        ; implicit-def: $vgpr6
	s_delay_alu instid0(VALU_DEP_2)
	v_or_b32_e32 v4, v4, v3
                                        ; implicit-def: $vgpr3
.LBB1783_75:
	s_and_not1_saveexec_b32 s1, s0
	s_cbranch_execz .LBB1783_79
; %bb.76:
	v_add_nc_u32_e32 v4, s17, v14
	v_add_nc_u32_e32 v8, s19, v14
	s_mov_b32 s2, 0
	s_mov_b32 s3, exec_lo
	s_delay_alu instid0(VALU_DEP_2) | instskip(NEXT) | instid1(VALU_DEP_2)
	v_mul_lo_u32 v4, v4, s16
	v_mul_lo_u32 v8, v8, s18
	s_delay_alu instid0(VALU_DEP_1) | instskip(NEXT) | instid1(VALU_DEP_1)
	v_sub_nc_u32_e32 v4, v4, v8
	v_cmp_lt_u32_e32 vcc_lo, s20, v4
	v_cmpx_ge_u32_e64 s20, v4
	s_cbranch_execz .LBB1783_78
; %bb.77:
	v_add_nc_u32_e32 v4, s22, v14
	v_add_nc_u32_e32 v8, s42, v14
	s_delay_alu instid0(VALU_DEP_2) | instskip(NEXT) | instid1(VALU_DEP_2)
	v_mul_lo_u32 v4, v4, s21
	v_mul_lo_u32 v8, v8, s23
	s_delay_alu instid0(VALU_DEP_1) | instskip(NEXT) | instid1(VALU_DEP_1)
	v_sub_nc_u32_e32 v4, v4, v8
	v_cmp_lt_u32_e64 s0, s43, v4
	s_and_b32 s2, s0, exec_lo
.LBB1783_78:
	s_wait_alu 0xfffe
	s_or_b32 exec_lo, exec_lo, s3
	v_lshrrev_b32_e32 v4, 8, v5
	s_wait_alu 0xfffd
	v_cndmask_b32_e64 v8, 0, 1, vcc_lo
	v_lshrrev_b32_e32 v21, 16, v5
	v_cndmask_b32_e64 v22, 0, 1, s2
	v_and_b32_e32 v5, 0xff, v5
	v_lshlrev_b16 v4, 8, v4
	v_lshlrev_b16 v8, 8, v8
	v_and_b32_e32 v21, 0xff, v21
	v_lshlrev_b16 v3, 8, v3
	v_and_b32_e32 v7, 0xff, v7
	v_lshlrev_b16 v6, 8, v6
	v_or_b32_e32 v4, v5, v4
	v_or_b32_e32 v5, v21, v8
	s_delay_alu instid0(VALU_DEP_4) | instskip(NEXT) | instid1(VALU_DEP_4)
	v_or_b32_e32 v3, v7, v3
	v_or_b32_e32 v6, v22, v6
	s_delay_alu instid0(VALU_DEP_4) | instskip(NEXT) | instid1(VALU_DEP_4)
	v_and_b32_e32 v4, 0xffff, v4
	v_lshlrev_b32_e32 v5, 16, v5
	s_delay_alu instid0(VALU_DEP_4) | instskip(NEXT) | instid1(VALU_DEP_4)
	v_lshlrev_b32_e32 v3, 16, v3
	v_and_b32_e32 v6, 0xffff, v6
	s_delay_alu instid0(VALU_DEP_3) | instskip(NEXT) | instid1(VALU_DEP_2)
	v_or_b32_e32 v44, v4, v5
	v_or_b32_e32 v4, v6, v3
.LBB1783_79:
	s_or_b32 exec_lo, exec_lo, s1
	v_add_nc_u32_e32 v3, 8, v41
	s_delay_alu instid0(VALU_DEP_2)
	v_lshrrev_b32_e32 v5, 16, v4
	v_lshrrev_b32_e32 v6, 24, v4
	;; [unrolled: 1-line block ×4, first 2 shown]
	v_cmp_le_u32_e32 vcc_lo, s33, v3
	v_lshrrev_b32_e32 v7, 8, v2
                                        ; implicit-def: $vgpr2
                                        ; implicit-def: $vgpr3
	s_and_saveexec_b32 s0, vcc_lo
	s_delay_alu instid0(SALU_CYCLE_1)
	s_xor_b32 s0, exec_lo, s0
	s_cbranch_execz .LBB1783_81
; %bb.80:
	v_lshlrev_b16 v2, 8, v8
	v_and_b32_e32 v3, 0xff, v21
	v_lshlrev_b16 v7, 8, v7
	v_lshlrev_b16 v6, 8, v6
	v_perm_b32 v1, v1, v1, 0x3060504
                                        ; implicit-def: $vgpr8
                                        ; implicit-def: $vgpr21
	s_delay_alu instid0(VALU_DEP_4) | instskip(SKIP_2) | instid1(VALU_DEP_3)
	v_or_b32_e32 v2, v3, v2
	v_and_b32_e32 v3, 0xff, v5
	v_and_b32_e32 v5, 0xffff, v7
                                        ; implicit-def: $vgpr7
	v_lshlrev_b32_e32 v2, 16, v2
	s_delay_alu instid0(VALU_DEP_3) | instskip(NEXT) | instid1(VALU_DEP_2)
	v_or_b32_e32 v6, v3, v6
	v_or_b32_e32 v3, v5, v2
	s_delay_alu instid0(VALU_DEP_2)
	v_perm_b32 v2, v6, v4, 0x5040c00
                                        ; implicit-def: $vgpr4
                                        ; implicit-def: $vgpr5
                                        ; implicit-def: $vgpr6
.LBB1783_81:
	s_and_not1_saveexec_b32 s1, s0
	s_cbranch_execz .LBB1783_85
; %bb.82:
	v_add_nc_u32_e32 v2, s17, v11
	v_add_nc_u32_e32 v3, s19, v11
	s_mov_b32 s2, 0
	s_mov_b32 s3, exec_lo
	s_delay_alu instid0(VALU_DEP_2) | instskip(NEXT) | instid1(VALU_DEP_2)
	v_mul_lo_u32 v2, v2, s16
	v_mul_lo_u32 v3, v3, s18
	s_delay_alu instid0(VALU_DEP_1) | instskip(NEXT) | instid1(VALU_DEP_1)
	v_sub_nc_u32_e32 v2, v2, v3
	v_cmp_lt_u32_e32 vcc_lo, s20, v2
	v_cmpx_ge_u32_e64 s20, v2
	s_cbranch_execz .LBB1783_84
; %bb.83:
	v_add_nc_u32_e32 v2, s22, v11
	v_add_nc_u32_e32 v3, s42, v11
	s_delay_alu instid0(VALU_DEP_2) | instskip(NEXT) | instid1(VALU_DEP_2)
	v_mul_lo_u32 v2, v2, s21
	v_mul_lo_u32 v3, v3, s23
	s_delay_alu instid0(VALU_DEP_1) | instskip(NEXT) | instid1(VALU_DEP_1)
	v_sub_nc_u32_e32 v2, v2, v3
	v_cmp_lt_u32_e64 s0, s43, v2
	s_and_b32 s2, s0, exec_lo
.LBB1783_84:
	s_wait_alu 0xfffe
	s_or_b32 exec_lo, exec_lo, s3
	v_cndmask_b32_e64 v2, 0, 1, s2
	s_wait_alu 0xfffd
	v_cndmask_b32_e64 v3, 0, 1, vcc_lo
	v_lshlrev_b16 v8, 8, v8
	v_and_b32_e32 v21, 0xff, v21
	v_lshlrev_b16 v7, 8, v7
	v_lshlrev_b16 v2, 8, v2
	v_and_b32_e32 v4, 0xff, v4
	v_lshlrev_b16 v6, 8, v6
	v_and_b32_e32 v5, 0xff, v5
	v_or_b32_e32 v8, v21, v8
	v_or_b32_e32 v3, v3, v7
	;; [unrolled: 1-line block ×3, first 2 shown]
	s_delay_alu instid0(VALU_DEP_4) | instskip(NEXT) | instid1(VALU_DEP_4)
	v_or_b32_e32 v4, v5, v6
	v_lshlrev_b32_e32 v5, 16, v8
	s_delay_alu instid0(VALU_DEP_4) | instskip(NEXT) | instid1(VALU_DEP_4)
	v_and_b32_e32 v3, 0xffff, v3
	v_and_b32_e32 v2, 0xffff, v2
	s_delay_alu instid0(VALU_DEP_4) | instskip(NEXT) | instid1(VALU_DEP_3)
	v_lshlrev_b32_e32 v4, 16, v4
	v_or_b32_e32 v3, v3, v5
	s_delay_alu instid0(VALU_DEP_2)
	v_or_b32_e32 v2, v2, v4
.LBB1783_85:
	s_or_b32 exec_lo, exec_lo, s1
	v_add_nc_u32_e32 v4, 9, v41
	s_delay_alu instid0(VALU_DEP_2)
	v_lshrrev_b32_e32 v6, 8, v2
	v_lshrrev_b32_e32 v21, 24, v3
	;; [unrolled: 1-line block ×3, first 2 shown]
	v_and_b32_e32 v7, 0xff, v2
	v_cmp_le_u32_e32 vcc_lo, s33, v4
                                        ; implicit-def: $vgpr4
                                        ; implicit-def: $vgpr5
	s_and_saveexec_b32 s0, vcc_lo
	s_delay_alu instid0(SALU_CYCLE_1)
	s_xor_b32 s0, exec_lo, s0
	s_cbranch_execz .LBB1783_87
; %bb.86:
	v_lshlrev_b16 v4, 8, v6
	v_lshlrev_b16 v5, 8, v21
	v_and_b32_e32 v6, 0xff, v8
	v_perm_b32 v1, v1, v1, 0x3060504
                                        ; implicit-def: $vgpr21
                                        ; implicit-def: $vgpr8
	s_delay_alu instid0(VALU_DEP_4) | instskip(NEXT) | instid1(VALU_DEP_3)
	v_or_b32_e32 v4, v7, v4
                                        ; implicit-def: $vgpr7
	v_or_b32_e32 v5, v6, v5
                                        ; implicit-def: $vgpr6
	s_delay_alu instid0(VALU_DEP_2) | instskip(NEXT) | instid1(VALU_DEP_2)
	v_and_b32_e32 v4, 0xffff, v4
	v_perm_b32 v5, v5, v3, 0x5040c00
                                        ; implicit-def: $vgpr3
	s_delay_alu instid0(VALU_DEP_2)
	v_and_or_b32 v4, 0xff000000, v2, v4
                                        ; implicit-def: $vgpr2
.LBB1783_87:
	s_and_not1_saveexec_b32 s1, s0
	s_cbranch_execz .LBB1783_91
; %bb.88:
	v_add_nc_u32_e32 v4, s17, v12
	v_add_nc_u32_e32 v5, s19, v12
	s_mov_b32 s2, 0
	s_mov_b32 s3, exec_lo
	s_delay_alu instid0(VALU_DEP_2) | instskip(NEXT) | instid1(VALU_DEP_2)
	v_mul_lo_u32 v4, v4, s16
	v_mul_lo_u32 v5, v5, s18
	s_delay_alu instid0(VALU_DEP_1) | instskip(NEXT) | instid1(VALU_DEP_1)
	v_sub_nc_u32_e32 v4, v4, v5
	v_cmp_lt_u32_e32 vcc_lo, s20, v4
	v_cmpx_ge_u32_e64 s20, v4
	s_cbranch_execz .LBB1783_90
; %bb.89:
	v_add_nc_u32_e32 v4, s22, v12
	v_add_nc_u32_e32 v5, s42, v12
	s_delay_alu instid0(VALU_DEP_2) | instskip(NEXT) | instid1(VALU_DEP_2)
	v_mul_lo_u32 v4, v4, s21
	v_mul_lo_u32 v5, v5, s23
	s_delay_alu instid0(VALU_DEP_1) | instskip(NEXT) | instid1(VALU_DEP_1)
	v_sub_nc_u32_e32 v4, v4, v5
	v_cmp_lt_u32_e64 s0, s43, v4
	s_and_b32 s2, s0, exec_lo
.LBB1783_90:
	s_wait_alu 0xfffe
	s_or_b32 exec_lo, exec_lo, s3
	s_wait_alu 0xfffd
	v_cndmask_b32_e64 v4, 0, 1, vcc_lo
	v_lshrrev_b32_e32 v2, 24, v2
	v_cndmask_b32_e64 v5, 0, 1, s2
	v_lshlrev_b16 v21, 8, v21
	v_and_b32_e32 v8, 0xff, v8
	v_lshlrev_b16 v4, 8, v4
	v_lshlrev_b16 v6, 8, v6
	v_and_b32_e32 v3, 0xff, v3
	v_lshlrev_b16 v2, 8, v2
	v_or_b32_e32 v8, v8, v21
	s_delay_alu instid0(VALU_DEP_4) | instskip(NEXT) | instid1(VALU_DEP_4)
	v_or_b32_e32 v6, v7, v6
	v_or_b32_e32 v3, v3, v4
	s_delay_alu instid0(VALU_DEP_4) | instskip(NEXT) | instid1(VALU_DEP_4)
	v_or_b32_e32 v2, v5, v2
	v_lshlrev_b32_e32 v4, 16, v8
	s_delay_alu instid0(VALU_DEP_4) | instskip(NEXT) | instid1(VALU_DEP_4)
	v_and_b32_e32 v6, 0xffff, v6
	v_and_b32_e32 v3, 0xffff, v3
	s_delay_alu instid0(VALU_DEP_4) | instskip(NEXT) | instid1(VALU_DEP_2)
	v_lshlrev_b32_e32 v2, 16, v2
	v_or_b32_e32 v5, v3, v4
	s_delay_alu instid0(VALU_DEP_2)
	v_or_b32_e32 v4, v6, v2
.LBB1783_91:
	s_or_b32 exec_lo, exec_lo, s1
	v_add_nc_u32_e32 v2, 10, v41
	s_delay_alu instid0(VALU_DEP_3) | instskip(SKIP_1) | instid1(VALU_DEP_3)
	v_and_b32_e32 v3, 0xff, v5
	v_lshrrev_b32_e32 v6, 8, v5
                                        ; implicit-def: $vgpr46
	v_cmp_le_u32_e32 vcc_lo, s33, v2
                                        ; implicit-def: $vgpr2
	s_and_saveexec_b32 s0, vcc_lo
	s_delay_alu instid0(SALU_CYCLE_1)
	s_xor_b32 s0, exec_lo, s0
	s_cbranch_execz .LBB1783_93
; %bb.92:
	v_lshlrev_b16 v2, 8, v6
	v_perm_b32 v1, v1, v1, 0x3060504
                                        ; implicit-def: $vgpr6
	s_delay_alu instid0(VALU_DEP_2) | instskip(SKIP_1) | instid1(VALU_DEP_2)
	v_or_b32_e32 v2, v3, v2
	v_and_b32_e32 v3, 0xff0000, v4
	v_and_b32_e32 v2, 0xffff, v2
	s_delay_alu instid0(VALU_DEP_2) | instskip(NEXT) | instid1(VALU_DEP_2)
	v_perm_b32 v46, v4, v3, 0x3020504
                                        ; implicit-def: $vgpr3
                                        ; implicit-def: $vgpr4
	v_and_or_b32 v2, 0xff000000, v5, v2
                                        ; implicit-def: $vgpr5
.LBB1783_93:
	s_and_not1_saveexec_b32 s1, s0
	s_cbranch_execz .LBB1783_97
; %bb.94:
	v_add_nc_u32_e32 v2, s17, v9
	v_add_nc_u32_e32 v7, s19, v9
	s_mov_b32 s2, 0
	s_mov_b32 s3, exec_lo
	s_delay_alu instid0(VALU_DEP_2) | instskip(NEXT) | instid1(VALU_DEP_2)
	v_mul_lo_u32 v2, v2, s16
	v_mul_lo_u32 v7, v7, s18
	s_delay_alu instid0(VALU_DEP_1) | instskip(NEXT) | instid1(VALU_DEP_1)
	v_sub_nc_u32_e32 v2, v2, v7
	v_cmp_lt_u32_e32 vcc_lo, s20, v2
	v_cmpx_ge_u32_e64 s20, v2
	s_cbranch_execz .LBB1783_96
; %bb.95:
	v_add_nc_u32_e32 v2, s22, v9
	v_add_nc_u32_e32 v7, s42, v9
	s_delay_alu instid0(VALU_DEP_2) | instskip(NEXT) | instid1(VALU_DEP_2)
	v_mul_lo_u32 v2, v2, s21
	v_mul_lo_u32 v7, v7, s23
	s_delay_alu instid0(VALU_DEP_1) | instskip(NEXT) | instid1(VALU_DEP_1)
	v_sub_nc_u32_e32 v2, v2, v7
	v_cmp_lt_u32_e64 s0, s43, v2
	s_and_b32 s2, s0, exec_lo
.LBB1783_96:
	s_wait_alu 0xfffe
	s_or_b32 exec_lo, exec_lo, s3
	v_lshrrev_b32_e32 v5, 24, v5
	v_cndmask_b32_e64 v7, 0, 1, s2
	v_lshrrev_b32_e32 v8, 8, v4
	v_lshrrev_b32_e32 v21, 16, v4
	s_wait_alu 0xfffd
	v_cndmask_b32_e64 v2, 0, 1, vcc_lo
	v_lshlrev_b16 v6, 8, v6
	v_lshlrev_b16 v5, 8, v5
	v_and_b32_e32 v4, 0xff, v4
	v_lshlrev_b16 v8, 8, v8
	v_lshlrev_b16 v7, 8, v7
	v_and_b32_e32 v21, 0xff, v21
	v_or_b32_e32 v3, v3, v6
	v_or_b32_e32 v2, v2, v5
	v_or_b32_e32 v4, v4, v8
	s_delay_alu instid0(VALU_DEP_4) | instskip(NEXT) | instid1(VALU_DEP_4)
	v_or_b32_e32 v5, v21, v7
	v_and_b32_e32 v3, 0xffff, v3
	s_delay_alu instid0(VALU_DEP_4) | instskip(NEXT) | instid1(VALU_DEP_4)
	v_lshlrev_b32_e32 v2, 16, v2
	v_and_b32_e32 v4, 0xffff, v4
	s_delay_alu instid0(VALU_DEP_4) | instskip(NEXT) | instid1(VALU_DEP_3)
	v_lshlrev_b32_e32 v5, 16, v5
	v_or_b32_e32 v2, v3, v2
	s_delay_alu instid0(VALU_DEP_2)
	v_or_b32_e32 v46, v4, v5
.LBB1783_97:
	s_or_b32 exec_lo, exec_lo, s1
	v_add_nc_u32_e32 v3, 11, v41
	v_mov_b32_e32 v45, 0
	s_mov_b32 s0, exec_lo
                                        ; implicit-def: $vgpr47
	s_delay_alu instid0(VALU_DEP_2)
	v_cmpx_le_u32_e64 s33, v3
	s_xor_b32 s0, exec_lo, s0
; %bb.98:
	v_and_b32_e32 v3, 0xff0000, v2
	v_perm_b32 v1, v1, v1, 0x3060504
	s_delay_alu instid0(VALU_DEP_2)
	v_perm_b32 v47, v2, v3, 0x3020504
                                        ; implicit-def: $vgpr2
; %bb.99:
	s_and_not1_saveexec_b32 s1, s0
	s_cbranch_execz .LBB1783_103
; %bb.100:
	v_add_nc_u32_e32 v3, s17, v10
	v_add_nc_u32_e32 v4, s19, v10
	s_mov_b32 s2, 0
	s_mov_b32 s3, exec_lo
	s_delay_alu instid0(VALU_DEP_2) | instskip(NEXT) | instid1(VALU_DEP_2)
	v_mul_lo_u32 v3, v3, s16
	v_mul_lo_u32 v4, v4, s18
	s_delay_alu instid0(VALU_DEP_1) | instskip(NEXT) | instid1(VALU_DEP_1)
	v_sub_nc_u32_e32 v3, v3, v4
	v_cmp_lt_u32_e32 vcc_lo, s20, v3
	v_cmpx_ge_u32_e64 s20, v3
	s_cbranch_execz .LBB1783_102
; %bb.101:
	v_add_nc_u32_e32 v3, s22, v10
	v_add_nc_u32_e32 v4, s42, v10
	s_delay_alu instid0(VALU_DEP_2) | instskip(NEXT) | instid1(VALU_DEP_2)
	v_mul_lo_u32 v3, v3, s21
	v_mul_lo_u32 v4, v4, s23
	s_delay_alu instid0(VALU_DEP_1) | instskip(NEXT) | instid1(VALU_DEP_1)
	v_sub_nc_u32_e32 v3, v3, v4
	v_cmp_lt_u32_e64 s0, s43, v3
	s_and_b32 s2, s0, exec_lo
.LBB1783_102:
	s_wait_alu 0xfffe
	s_or_b32 exec_lo, exec_lo, s3
	v_lshrrev_b32_e32 v3, 8, v2
	s_wait_alu 0xfffd
	v_cndmask_b32_e64 v4, 0, 1, vcc_lo
	v_lshrrev_b32_e32 v5, 16, v2
	v_and_b32_e32 v2, 0xff, v2
	v_cndmask_b32_e64 v45, 0, 1, s2
	v_lshlrev_b16 v3, 8, v3
	v_lshlrev_b16 v4, 8, v4
	v_and_b32_e32 v5, 0xff, v5
	s_delay_alu instid0(VALU_DEP_3) | instskip(NEXT) | instid1(VALU_DEP_2)
	v_or_b32_e32 v2, v2, v3
	v_or_b32_e32 v3, v5, v4
	s_delay_alu instid0(VALU_DEP_2) | instskip(NEXT) | instid1(VALU_DEP_2)
	v_and_b32_e32 v2, 0xffff, v2
	v_lshlrev_b32_e32 v3, 16, v3
	s_delay_alu instid0(VALU_DEP_1)
	v_or_b32_e32 v47, v2, v3
.LBB1783_103:
	s_or_b32 exec_lo, exec_lo, s1
	v_add_nc_u32_e32 v4, 12, v41
	v_lshrrev_b32_e32 v2, 8, v1
	v_lshrrev_b32_e32 v3, 16, v1
	;; [unrolled: 1-line block ×3, first 2 shown]
	s_mov_b32 s0, exec_lo
                                        ; implicit-def: $vgpr49
	v_cmpx_le_u32_e64 s33, v4
	s_xor_b32 s0, exec_lo, s0
	s_cbranch_execz .LBB1783_105
; %bb.104:
	v_lshlrev_b16 v1, 8, v1
	v_and_b32_e32 v3, 0xff, v3
	v_lshlrev_b16 v2, 8, v2
	s_delay_alu instid0(VALU_DEP_2) | instskip(NEXT) | instid1(VALU_DEP_2)
	v_or_b32_e32 v1, v3, v1
	v_and_b32_e32 v2, 0xffff, v2
                                        ; implicit-def: $vgpr3
	s_delay_alu instid0(VALU_DEP_2) | instskip(NEXT) | instid1(VALU_DEP_1)
	v_lshlrev_b32_e32 v1, 16, v1
	v_or_b32_e32 v49, v2, v1
                                        ; implicit-def: $vgpr1
                                        ; implicit-def: $vgpr2
.LBB1783_105:
	s_or_saveexec_b32 s1, s0
	v_mov_b32_e32 v48, 0
	s_xor_b32 exec_lo, exec_lo, s1
	s_cbranch_execz .LBB1783_109
; %bb.106:
	v_add_nc_u32_e32 v4, s17, v40
	v_add_nc_u32_e32 v5, s19, v40
	s_mov_b32 s2, 0
	s_mov_b32 s3, exec_lo
	s_delay_alu instid0(VALU_DEP_2) | instskip(NEXT) | instid1(VALU_DEP_2)
	v_mul_lo_u32 v4, v4, s16
	v_mul_lo_u32 v5, v5, s18
	s_delay_alu instid0(VALU_DEP_1) | instskip(NEXT) | instid1(VALU_DEP_1)
	v_sub_nc_u32_e32 v4, v4, v5
	v_cmp_lt_u32_e32 vcc_lo, s20, v4
	v_cmpx_ge_u32_e64 s20, v4
	s_cbranch_execz .LBB1783_108
; %bb.107:
	v_add_nc_u32_e32 v4, s22, v40
	v_add_nc_u32_e32 v5, s42, v40
	s_delay_alu instid0(VALU_DEP_2) | instskip(NEXT) | instid1(VALU_DEP_2)
	v_mul_lo_u32 v4, v4, s21
	v_mul_lo_u32 v5, v5, s23
	s_delay_alu instid0(VALU_DEP_1) | instskip(NEXT) | instid1(VALU_DEP_1)
	v_sub_nc_u32_e32 v4, v4, v5
	v_cmp_lt_u32_e64 s0, s43, v4
	s_and_b32 s2, s0, exec_lo
.LBB1783_108:
	s_wait_alu 0xfffe
	s_or_b32 exec_lo, exec_lo, s3
	s_wait_alu 0xfffd
	v_cndmask_b32_e64 v4, 0, 1, vcc_lo
	v_lshlrev_b16 v1, 8, v1
	v_and_b32_e32 v3, 0xff, v3
	v_lshlrev_b16 v2, 8, v2
	v_cndmask_b32_e64 v48, 0, 1, s2
	s_delay_alu instid0(VALU_DEP_3) | instskip(NEXT) | instid1(VALU_DEP_3)
	v_or_b32_e32 v1, v3, v1
	v_or_b32_e32 v2, v4, v2
	s_delay_alu instid0(VALU_DEP_2) | instskip(NEXT) | instid1(VALU_DEP_2)
	v_lshlrev_b32_e32 v1, 16, v1
	v_and_b32_e32 v2, 0xffff, v2
	s_delay_alu instid0(VALU_DEP_1)
	v_or_b32_e32 v49, v2, v1
.LBB1783_109:
	s_or_b32 exec_lo, exec_lo, s1
.LBB1783_110:
	v_and_b32_e32 v72, 0xff, v42
	s_delay_alu instid0(VALU_DEP_2)
	v_bfe_u32 v73, v49, 8, 8
	v_bfe_u32 v70, v42, 8, 8
	v_bfe_u32 v71, v49, 16, 8
	v_bfe_u32 v69, v42, 16, 8
	v_lshrrev_b32_e32 v55, 24, v49
	v_lshrrev_b32_e32 v54, 24, v42
	v_and_b32_e32 v68, 0xff, v43
	v_and_b32_e32 v66, 0xff, v44
	v_bfe_u32 v67, v43, 8, 8
	v_add3_u32 v1, v70, v72, v69
	v_add3_u32 v2, v71, v73, v55
	v_bfe_u32 v64, v44, 8, 8
	v_bfe_u32 v65, v43, 16, 8
	;; [unrolled: 1-line block ×3, first 2 shown]
	v_lshrrev_b32_e32 v53, 24, v43
	v_add3_u32 v1, v1, v54, v66
	v_add3_u32 v2, v2, v68, v67
	v_lshrrev_b32_e32 v52, 24, v44
	v_and_b32_e32 v63, 0xff, v46
	v_and_b32_e32 v61, 0xff, v47
	v_bfe_u32 v62, v46, 8, 8
	v_add3_u32 v1, v1, v64, v59
	v_add3_u32 v2, v2, v65, v53
	v_bfe_u32 v58, v47, 8, 8
	v_bfe_u32 v60, v46, 16, 8
	;; [unrolled: 1-line block ×3, first 2 shown]
	v_lshrrev_b32_e32 v51, 24, v46
	v_add3_u32 v1, v1, v52, v61
	v_add3_u32 v2, v2, v63, v62
	v_mbcnt_lo_u32_b32 v74, -1, 0
	v_lshrrev_b32_e32 v50, 24, v47
	v_and_b32_e32 v57, 0xff, v45
	v_and_b32_e32 v3, 0xff, v49
	;; [unrolled: 1-line block ×3, first 2 shown]
	v_add3_u32 v1, v1, v58, v56
	v_add3_u32 v2, v2, v60, v51
	v_and_b32_e32 v76, 15, v74
	v_and_b32_e32 v78, 16, v74
	v_lshrrev_b32_e32 v75, 5, v0
	v_add3_u32 v79, v1, v50, v3
	v_add3_u32 v80, v2, v57, v4
	v_cmp_eq_u32_e64 s1, 0, v76
	v_cmp_lt_u32_e64 s0, 1, v76
	v_cmp_lt_u32_e64 s2, 3, v76
	v_or_b32_e32 v77, 31, v0
	s_cmp_lg_u32 ttmp9, 0
	s_mov_b32 s3, -1
	v_cmp_lt_u32_e32 vcc_lo, 7, v76
	s_cbranch_scc0 .LBB1783_131
; %bb.111:
	v_mov_b32_dpp v2, v79 row_shr:1 row_mask:0xf bank_mask:0xf
	v_mov_b32_dpp v1, v80 row_shr:1 row_mask:0xf bank_mask:0xf
	s_mov_b32 s3, exec_lo
	s_delay_alu instid0(VALU_DEP_2) | instskip(NEXT) | instid1(VALU_DEP_2)
	v_add_nc_u32_e32 v2, v2, v79
	v_add_nc_u32_e32 v1, v1, v80
	s_delay_alu instid0(VALU_DEP_2) | instskip(NEXT) | instid1(VALU_DEP_2)
	v_cndmask_b32_e64 v2, v2, v79, s1
	v_cndmask_b32_e64 v1, v1, v80, s1
	s_delay_alu instid0(VALU_DEP_2) | instskip(NEXT) | instid1(VALU_DEP_2)
	v_mov_b32_dpp v4, v2 row_shr:2 row_mask:0xf bank_mask:0xf
	v_mov_b32_dpp v3, v1 row_shr:2 row_mask:0xf bank_mask:0xf
	s_delay_alu instid0(VALU_DEP_2) | instskip(NEXT) | instid1(VALU_DEP_1)
	v_add_nc_u32_e32 v4, v2, v4
	v_cndmask_b32_e64 v2, v2, v4, s0
	s_delay_alu instid0(VALU_DEP_1) | instskip(NEXT) | instid1(VALU_DEP_1)
	v_mov_b32_dpp v4, v2 row_shr:4 row_mask:0xf bank_mask:0xf
	v_add_nc_u32_e32 v4, v2, v4
	s_wait_alu 0xf1ff
	s_delay_alu instid0(VALU_DEP_1) | instskip(NEXT) | instid1(VALU_DEP_1)
	v_cndmask_b32_e64 v2, v2, v4, s2
	v_mov_b32_dpp v4, v2 row_shr:8 row_mask:0xf bank_mask:0xf
	s_delay_alu instid0(VALU_DEP_1) | instskip(SKIP_1) | instid1(VALU_DEP_1)
	v_add_nc_u32_e32 v4, v2, v4
	s_wait_alu 0xfffd
	v_dual_cndmask_b32 v2, v2, v4 :: v_dual_add_nc_u32 v3, v1, v3
	s_delay_alu instid0(VALU_DEP_1) | instskip(SKIP_2) | instid1(VALU_DEP_1)
	v_cndmask_b32_e64 v1, v1, v3, s0
	ds_swizzle_b32 v4, v2 offset:swizzle(BROADCAST,32,15)
	v_mov_b32_dpp v3, v1 row_shr:4 row_mask:0xf bank_mask:0xf
	v_add_nc_u32_e32 v3, v1, v3
	s_delay_alu instid0(VALU_DEP_1) | instskip(NEXT) | instid1(VALU_DEP_1)
	v_cndmask_b32_e64 v1, v1, v3, s2
	v_mov_b32_dpp v3, v1 row_shr:8 row_mask:0xf bank_mask:0xf
	s_wait_dscnt 0x0
	v_add_nc_u32_e32 v4, v2, v4
	s_delay_alu instid0(VALU_DEP_2) | instskip(NEXT) | instid1(VALU_DEP_1)
	v_add_nc_u32_e32 v3, v1, v3
	v_cndmask_b32_e32 v1, v1, v3, vcc_lo
	v_cmp_eq_u32_e32 vcc_lo, 0, v78
	ds_swizzle_b32 v3, v1 offset:swizzle(BROADCAST,32,15)
	s_wait_dscnt 0x0
	v_add_nc_u32_e32 v3, v1, v3
	v_cmpx_eq_u32_e64 v0, v77
; %bb.112:
	s_wait_alu 0xfffd
	s_delay_alu instid0(VALU_DEP_2)
	v_dual_cndmask_b32 v6, v3, v1 :: v_dual_lshlrev_b32 v7, 3, v75
	v_cndmask_b32_e32 v5, v4, v2, vcc_lo
	ds_store_b64 v7, v[5:6]
; %bb.113:
	s_wait_alu 0xfffe
	s_or_b32 exec_lo, exec_lo, s3
	s_delay_alu instid0(SALU_CYCLE_1)
	s_mov_b32 s3, exec_lo
	s_wait_loadcnt_dscnt 0x0
	s_barrier_signal -1
	s_barrier_wait -1
	global_inv scope:SCOPE_SE
	v_cmpx_gt_u32_e32 8, v0
	s_cbranch_execz .LBB1783_115
; %bb.114:
	v_lshlrev_b32_e32 v7, 3, v0
	v_and_b32_e32 v22, 7, v74
	ds_load_b64 v[5:6], v7
	v_cmp_eq_u32_e64 s2, 0, v22
	s_wait_dscnt 0x0
	v_mov_b32_dpp v8, v5 row_shr:1 row_mask:0xf bank_mask:0xf
	v_mov_b32_dpp v21, v6 row_shr:1 row_mask:0xf bank_mask:0xf
	s_delay_alu instid0(VALU_DEP_2) | instskip(NEXT) | instid1(VALU_DEP_2)
	v_add_nc_u32_e32 v8, v8, v5
	v_add_nc_u32_e32 v21, v21, v6
	s_wait_alu 0xf1ff
	s_delay_alu instid0(VALU_DEP_2) | instskip(NEXT) | instid1(VALU_DEP_2)
	v_cndmask_b32_e64 v5, v8, v5, s2
	v_cndmask_b32_e64 v6, v21, v6, s2
	v_cmp_lt_u32_e64 s2, 1, v22
	s_delay_alu instid0(VALU_DEP_3) | instskip(NEXT) | instid1(VALU_DEP_3)
	v_mov_b32_dpp v8, v5 row_shr:2 row_mask:0xf bank_mask:0xf
	v_mov_b32_dpp v21, v6 row_shr:2 row_mask:0xf bank_mask:0xf
	s_delay_alu instid0(VALU_DEP_2) | instskip(NEXT) | instid1(VALU_DEP_2)
	v_add_nc_u32_e32 v8, v5, v8
	v_add_nc_u32_e32 v21, v6, v21
	s_wait_alu 0xf1ff
	s_delay_alu instid0(VALU_DEP_2) | instskip(NEXT) | instid1(VALU_DEP_2)
	v_cndmask_b32_e64 v5, v5, v8, s2
	v_cndmask_b32_e64 v6, v6, v21, s2
	v_cmp_lt_u32_e64 s2, 3, v22
	s_delay_alu instid0(VALU_DEP_3) | instskip(NEXT) | instid1(VALU_DEP_3)
	v_mov_b32_dpp v8, v5 row_shr:4 row_mask:0xf bank_mask:0xf
	v_mov_b32_dpp v21, v6 row_shr:4 row_mask:0xf bank_mask:0xf
	s_wait_alu 0xf1ff
	s_delay_alu instid0(VALU_DEP_2) | instskip(NEXT) | instid1(VALU_DEP_2)
	v_cndmask_b32_e64 v8, 0, v8, s2
	v_cndmask_b32_e64 v21, 0, v21, s2
	s_delay_alu instid0(VALU_DEP_2) | instskip(NEXT) | instid1(VALU_DEP_2)
	v_add_nc_u32_e32 v5, v8, v5
	v_add_nc_u32_e32 v6, v21, v6
	ds_store_b64 v7, v[5:6]
.LBB1783_115:
	s_wait_alu 0xfffe
	s_or_b32 exec_lo, exec_lo, s3
	v_dual_cndmask_b32 v1, v3, v1 :: v_dual_cndmask_b32 v2, v4, v2
	s_mov_b32 s3, exec_lo
	v_cmp_gt_u32_e32 vcc_lo, 32, v0
	s_wait_loadcnt_dscnt 0x0
	s_barrier_signal -1
	s_barrier_wait -1
	global_inv scope:SCOPE_SE
                                        ; implicit-def: $vgpr21
	v_cmpx_lt_u32_e32 31, v0
	s_cbranch_execz .LBB1783_117
; %bb.116:
	v_lshl_add_u32 v3, v75, 3, -8
	ds_load_b64 v[21:22], v3
	s_wait_dscnt 0x0
	v_add_nc_u32_e32 v1, v22, v1
	v_add_nc_u32_e32 v2, v21, v2
.LBB1783_117:
	s_wait_alu 0xfffe
	s_or_b32 exec_lo, exec_lo, s3
	v_sub_co_u32 v3, s2, v74, 1
	s_delay_alu instid0(VALU_DEP_1) | instskip(SKIP_1) | instid1(VALU_DEP_1)
	v_cmp_gt_i32_e64 s3, 0, v3
	s_wait_alu 0xf1ff
	v_cndmask_b32_e64 v3, v3, v74, s3
	s_delay_alu instid0(VALU_DEP_1)
	v_lshlrev_b32_e32 v3, 2, v3
	ds_bpermute_b32 v81, v3, v2
	ds_bpermute_b32 v82, v3, v1
	s_and_saveexec_b32 s3, vcc_lo
	s_cbranch_execz .LBB1783_136
; %bb.118:
	v_mov_b32_e32 v4, 0
	ds_load_b64 v[1:2], v4 offset:56
	s_and_saveexec_b32 s6, s2
	s_cbranch_execz .LBB1783_120
; %bb.119:
	s_add_co_i32 s8, ttmp9, 32
	s_mov_b32 s9, 0
	s_wait_alu 0xfffe
	s_lshl_b64 s[8:9], s[8:9], 4
	s_wait_kmcnt 0x0
	s_wait_alu 0xfffe
	s_add_nc_u64 s[8:9], s[4:5], s[8:9]
	v_mov_b32_e32 v3, 1
	s_wait_alu 0xfffe
	v_dual_mov_b32 v5, s8 :: v_dual_mov_b32 v6, s9
	s_wait_dscnt 0x0
	;;#ASMSTART
	global_store_b128 v[5:6], v[1:4] off scope:SCOPE_DEV	
s_wait_storecnt 0x0
	;;#ASMEND
.LBB1783_120:
	s_wait_alu 0xfffe
	s_or_b32 exec_lo, exec_lo, s6
	v_xad_u32 v23, v74, -1, ttmp9
	s_mov_b32 s7, 0
	s_mov_b32 s6, exec_lo
	s_delay_alu instid0(VALU_DEP_1) | instskip(NEXT) | instid1(VALU_DEP_1)
	v_add_nc_u32_e32 v3, 32, v23
	v_lshlrev_b64_e32 v[3:4], 4, v[3:4]
	s_wait_kmcnt 0x0
	s_delay_alu instid0(VALU_DEP_1) | instskip(SKIP_1) | instid1(VALU_DEP_2)
	v_add_co_u32 v3, vcc_lo, s4, v3
	s_wait_alu 0xfffd
	v_add_co_ci_u32_e64 v4, null, s5, v4, vcc_lo
	;;#ASMSTART
	global_load_b128 v[5:8], v[3:4] off scope:SCOPE_DEV	
s_wait_loadcnt 0x0
	;;#ASMEND
	v_and_b32_e32 v8, 0xff, v7
	s_delay_alu instid0(VALU_DEP_1)
	v_cmpx_eq_u16_e32 0, v8
	s_cbranch_execz .LBB1783_123
.LBB1783_121:                           ; =>This Inner Loop Header: Depth=1
	;;#ASMSTART
	global_load_b128 v[5:8], v[3:4] off scope:SCOPE_DEV	
s_wait_loadcnt 0x0
	;;#ASMEND
	v_and_b32_e32 v8, 0xff, v7
	s_delay_alu instid0(VALU_DEP_1)
	v_cmp_ne_u16_e32 vcc_lo, 0, v8
	s_wait_alu 0xfffe
	s_or_b32 s7, vcc_lo, s7
	s_wait_alu 0xfffe
	s_and_not1_b32 exec_lo, exec_lo, s7
	s_cbranch_execnz .LBB1783_121
; %bb.122:
	s_or_b32 exec_lo, exec_lo, s7
.LBB1783_123:
	s_wait_alu 0xfffe
	s_or_b32 exec_lo, exec_lo, s6
	v_cmp_ne_u32_e32 vcc_lo, 31, v74
	v_lshlrev_b32_e64 v84, v74, -1
	v_add_nc_u32_e32 v86, 2, v74
	v_add_nc_u32_e32 v88, 4, v74
	;; [unrolled: 1-line block ×3, first 2 shown]
	s_wait_alu 0xfffd
	v_add_co_ci_u32_e64 v3, null, 0, v74, vcc_lo
	v_lshl_or_b32 v91, v74, 2, 64
	v_add_nc_u32_e32 v92, 16, v74
	s_delay_alu instid0(VALU_DEP_3)
	v_lshlrev_b32_e32 v83, 2, v3
	v_and_b32_e32 v3, 0xff, v7
	ds_bpermute_b32 v4, v83, v6
	v_cmp_eq_u16_e32 vcc_lo, 2, v3
	s_wait_alu 0xfffd
	v_and_b32_e32 v8, vcc_lo, v84
	v_cmp_gt_u32_e32 vcc_lo, 30, v74
	s_delay_alu instid0(VALU_DEP_2) | instskip(SKIP_2) | instid1(VALU_DEP_2)
	v_or_b32_e32 v8, 0x80000000, v8
	s_wait_alu 0xfffd
	v_cndmask_b32_e64 v24, 0, 2, vcc_lo
	v_ctz_i32_b32_e32 v8, v8
	s_delay_alu instid0(VALU_DEP_2) | instskip(SKIP_2) | instid1(VALU_DEP_3)
	v_add_lshl_u32 v85, v24, v74, 2
	s_wait_dscnt 0x0
	v_add_nc_u32_e32 v4, v4, v6
	v_cmp_lt_u32_e32 vcc_lo, v74, v8
	s_wait_alu 0xfffd
	s_delay_alu instid0(VALU_DEP_2) | instskip(SKIP_3) | instid1(VALU_DEP_1)
	v_cndmask_b32_e32 v4, v6, v4, vcc_lo
	ds_bpermute_b32 v3, v83, v5
	s_wait_dscnt 0x0
	v_add_nc_u32_e32 v3, v3, v5
	v_cndmask_b32_e32 v3, v5, v3, vcc_lo
	ds_bpermute_b32 v5, v85, v4
	v_cmp_gt_u32_e32 vcc_lo, 28, v74
	ds_bpermute_b32 v6, v85, v3
	s_wait_alu 0xfffd
	v_cndmask_b32_e64 v24, 0, 4, vcc_lo
	v_cmp_gt_u32_e32 vcc_lo, v86, v8
	s_delay_alu instid0(VALU_DEP_2)
	v_add_lshl_u32 v87, v24, v74, 2
	s_wait_dscnt 0x1
	v_add_nc_u32_e32 v5, v4, v5
	s_wait_dscnt 0x0
	v_add_nc_u32_e32 v6, v3, v6
	s_wait_alu 0xfffd
	s_delay_alu instid0(VALU_DEP_1)
	v_dual_cndmask_b32 v4, v5, v4 :: v_dual_cndmask_b32 v3, v6, v3
	ds_bpermute_b32 v5, v87, v4
	v_cmp_gt_u32_e32 vcc_lo, 24, v74
	ds_bpermute_b32 v6, v87, v3
	s_wait_alu 0xfffd
	v_cndmask_b32_e64 v24, 0, 8, vcc_lo
	v_cmp_gt_u32_e32 vcc_lo, v88, v8
	s_delay_alu instid0(VALU_DEP_2)
	v_add_lshl_u32 v89, v24, v74, 2
	s_wait_dscnt 0x1
	v_dual_mov_b32 v24, 0 :: v_dual_add_nc_u32 v5, v4, v5
	s_wait_dscnt 0x0
	v_add_nc_u32_e32 v6, v3, v6
	s_wait_alu 0xfffd
	s_delay_alu instid0(VALU_DEP_1)
	v_dual_cndmask_b32 v4, v5, v4 :: v_dual_cndmask_b32 v3, v6, v3
	ds_bpermute_b32 v5, v89, v4
	v_cmp_gt_u32_e32 vcc_lo, v90, v8
	ds_bpermute_b32 v6, v89, v3
	s_wait_dscnt 0x1
	v_add_nc_u32_e32 v5, v4, v5
	s_wait_dscnt 0x0
	v_add_nc_u32_e32 v6, v3, v6
	s_wait_alu 0xfffd
	s_delay_alu instid0(VALU_DEP_1)
	v_dual_cndmask_b32 v4, v5, v4 :: v_dual_cndmask_b32 v3, v6, v3
	ds_bpermute_b32 v6, v91, v4
	v_cmp_le_u32_e32 vcc_lo, v92, v8
	ds_bpermute_b32 v5, v91, v3
	s_wait_dscnt 0x0
	s_wait_alu 0xfffd
	v_dual_cndmask_b32 v6, 0, v6 :: v_dual_cndmask_b32 v5, 0, v5
	s_delay_alu instid0(VALU_DEP_1) | instskip(NEXT) | instid1(VALU_DEP_2)
	v_add_nc_u32_e32 v6, v6, v4
	v_add_nc_u32_e32 v5, v5, v3
	s_branch .LBB1783_127
.LBB1783_124:                           ;   in Loop: Header=BB1783_127 Depth=1
	s_or_b32 exec_lo, exec_lo, s7
.LBB1783_125:                           ;   in Loop: Header=BB1783_127 Depth=1
	s_wait_alu 0xfffe
	s_or_b32 exec_lo, exec_lo, s6
	ds_bpermute_b32 v8, v83, v5
	ds_bpermute_b32 v25, v83, v6
	v_subrev_nc_u32_e32 v23, 32, v23
	s_mov_b32 s6, 0
	s_wait_dscnt 0x1
	v_add_nc_u32_e32 v8, v8, v5
	v_and_b32_e32 v26, 0xff, v7
	s_wait_dscnt 0x0
	v_add_nc_u32_e32 v25, v25, v6
	s_delay_alu instid0(VALU_DEP_2) | instskip(SKIP_2) | instid1(VALU_DEP_1)
	v_cmp_eq_u16_e32 vcc_lo, 2, v26
	s_wait_alu 0xfffd
	v_and_or_b32 v26, vcc_lo, v84, 0x80000000
	v_ctz_i32_b32_e32 v26, v26
	s_delay_alu instid0(VALU_DEP_1)
	v_cmp_lt_u32_e32 vcc_lo, v74, v26
	s_wait_alu 0xfffd
	v_dual_cndmask_b32 v6, v6, v25 :: v_dual_cndmask_b32 v5, v5, v8
	v_cmp_gt_u32_e32 vcc_lo, v86, v26
	ds_bpermute_b32 v25, v85, v6
	ds_bpermute_b32 v8, v85, v5
	s_wait_dscnt 0x1
	v_add_nc_u32_e32 v25, v6, v25
	s_wait_dscnt 0x0
	v_add_nc_u32_e32 v8, v5, v8
	s_wait_alu 0xfffd
	s_delay_alu instid0(VALU_DEP_1)
	v_dual_cndmask_b32 v6, v25, v6 :: v_dual_cndmask_b32 v5, v8, v5
	v_cmp_gt_u32_e32 vcc_lo, v88, v26
	ds_bpermute_b32 v25, v87, v6
	ds_bpermute_b32 v8, v87, v5
	s_wait_dscnt 0x1
	v_add_nc_u32_e32 v25, v6, v25
	s_wait_dscnt 0x0
	v_add_nc_u32_e32 v8, v5, v8
	s_wait_alu 0xfffd
	s_delay_alu instid0(VALU_DEP_1)
	v_dual_cndmask_b32 v6, v25, v6 :: v_dual_cndmask_b32 v5, v8, v5
	v_cmp_gt_u32_e32 vcc_lo, v90, v26
	ds_bpermute_b32 v25, v89, v6
	ds_bpermute_b32 v8, v89, v5
	s_wait_dscnt 0x1
	v_add_nc_u32_e32 v25, v6, v25
	s_wait_dscnt 0x0
	v_add_nc_u32_e32 v8, v5, v8
	s_wait_alu 0xfffd
	s_delay_alu instid0(VALU_DEP_1)
	v_dual_cndmask_b32 v6, v25, v6 :: v_dual_cndmask_b32 v5, v8, v5
	v_cmp_le_u32_e32 vcc_lo, v92, v26
	ds_bpermute_b32 v25, v91, v6
	ds_bpermute_b32 v8, v91, v5
	s_wait_dscnt 0x0
	s_wait_alu 0xfffd
	v_dual_cndmask_b32 v25, 0, v25 :: v_dual_cndmask_b32 v8, 0, v8
	s_delay_alu instid0(VALU_DEP_1) | instskip(NEXT) | instid1(VALU_DEP_2)
	v_add3_u32 v6, v6, v4, v25
	v_add3_u32 v5, v5, v3, v8
.LBB1783_126:                           ;   in Loop: Header=BB1783_127 Depth=1
	s_wait_alu 0xfffe
	s_and_b32 vcc_lo, exec_lo, s6
	s_wait_alu 0xfffe
	s_cbranch_vccnz .LBB1783_132
.LBB1783_127:                           ; =>This Loop Header: Depth=1
                                        ;     Child Loop BB1783_130 Depth 2
	v_and_b32_e32 v3, 0xff, v7
	s_mov_b32 s6, -1
                                        ; implicit-def: $vgpr7
	s_delay_alu instid0(VALU_DEP_1)
	v_cmp_ne_u16_e32 vcc_lo, 2, v3
	v_dual_mov_b32 v3, v5 :: v_dual_mov_b32 v4, v6
                                        ; implicit-def: $vgpr5_vgpr6
	s_cmp_lg_u32 vcc_lo, exec_lo
	s_cbranch_scc1 .LBB1783_126
; %bb.128:                              ;   in Loop: Header=BB1783_127 Depth=1
	v_lshlrev_b64_e32 v[5:6], 4, v[23:24]
	s_mov_b32 s6, exec_lo
	s_delay_alu instid0(VALU_DEP_1) | instskip(SKIP_1) | instid1(VALU_DEP_2)
	v_add_co_u32 v25, vcc_lo, s4, v5
	s_wait_alu 0xfffd
	v_add_co_ci_u32_e64 v26, null, s5, v6, vcc_lo
	;;#ASMSTART
	global_load_b128 v[5:8], v[25:26] off scope:SCOPE_DEV	
s_wait_loadcnt 0x0
	;;#ASMEND
	v_and_b32_e32 v8, 0xff, v7
	s_delay_alu instid0(VALU_DEP_1)
	v_cmpx_eq_u16_e32 0, v8
	s_cbranch_execz .LBB1783_125
; %bb.129:                              ;   in Loop: Header=BB1783_127 Depth=1
	s_mov_b32 s7, 0
.LBB1783_130:                           ;   Parent Loop BB1783_127 Depth=1
                                        ; =>  This Inner Loop Header: Depth=2
	;;#ASMSTART
	global_load_b128 v[5:8], v[25:26] off scope:SCOPE_DEV	
s_wait_loadcnt 0x0
	;;#ASMEND
	v_and_b32_e32 v8, 0xff, v7
	s_delay_alu instid0(VALU_DEP_1)
	v_cmp_ne_u16_e32 vcc_lo, 0, v8
	s_wait_alu 0xfffe
	s_or_b32 s7, vcc_lo, s7
	s_wait_alu 0xfffe
	s_and_not1_b32 exec_lo, exec_lo, s7
	s_cbranch_execnz .LBB1783_130
	s_branch .LBB1783_124
.LBB1783_131:
                                        ; implicit-def: $vgpr81
                                        ; implicit-def: $vgpr3
                                        ; implicit-def: $vgpr82
	s_wait_alu 0xfffe
	s_and_b32 vcc_lo, exec_lo, s3
	s_wait_alu 0xfffe
	s_cbranch_vccnz .LBB1783_137
	s_branch .LBB1783_146
.LBB1783_132:
	s_and_saveexec_b32 s6, s2
	s_cbranch_execnz .LBB1783_374
; %bb.133:
	s_wait_alu 0xfffe
	s_or_b32 exec_lo, exec_lo, s6
	s_and_saveexec_b32 s6, s2
	s_cbranch_execnz .LBB1783_375
.LBB1783_134:
	s_wait_alu 0xfffe
	s_or_b32 exec_lo, exec_lo, s6
	v_cmp_eq_u32_e32 vcc_lo, 0, v0
	s_and_b32 exec_lo, exec_lo, vcc_lo
.LBB1783_135:
	v_mov_b32_e32 v1, 0
	ds_store_b64 v1, v[3:4] offset:56
.LBB1783_136:
	s_wait_alu 0xfffe
	s_or_b32 exec_lo, exec_lo, s3
	s_wait_dscnt 0x0
	v_cndmask_b32_e64 v8, v82, v22, s2
	v_mov_b32_e32 v1, 0
	s_wait_loadcnt 0x0
	s_barrier_signal -1
	s_barrier_wait -1
	global_inv scope:SCOPE_SE
	ds_load_b64 v[5:6], v1 offset:56
	s_wait_loadcnt_dscnt 0x0
	s_barrier_signal -1
	s_barrier_wait -1
	global_inv scope:SCOPE_SE
	v_cndmask_b32_e64 v7, v81, v21, s2
	v_cmp_eq_u32_e32 vcc_lo, 0, v0
	v_add_nc_u32_e32 v8, v6, v8
	ds_load_b128 v[1:4], v1 offset:13312
	v_add_nc_u32_e32 v7, v5, v7
	s_wait_alu 0xfffd
	s_delay_alu instid0(VALU_DEP_1)
	v_dual_cndmask_b32 v81, v8, v6 :: v_dual_cndmask_b32 v82, v7, v5
	s_branch .LBB1783_146
.LBB1783_137:
	s_wait_dscnt 0x0
	v_mov_b32_dpp v2, v80 row_shr:1 row_mask:0xf bank_mask:0xf
	v_cmp_lt_u32_e32 vcc_lo, 3, v76
	v_mov_b32_dpp v1, v79 row_shr:1 row_mask:0xf bank_mask:0xf
	s_delay_alu instid0(VALU_DEP_3) | instskip(NEXT) | instid1(VALU_DEP_1)
	v_add_nc_u32_e32 v2, v2, v80
	v_cndmask_b32_e64 v2, v2, v80, s1
	s_delay_alu instid0(VALU_DEP_1) | instskip(NEXT) | instid1(VALU_DEP_1)
	v_mov_b32_dpp v4, v2 row_shr:2 row_mask:0xf bank_mask:0xf
	v_add_nc_u32_e32 v4, v2, v4
	s_delay_alu instid0(VALU_DEP_1) | instskip(NEXT) | instid1(VALU_DEP_1)
	v_cndmask_b32_e64 v2, v2, v4, s0
	v_mov_b32_dpp v4, v2 row_shr:4 row_mask:0xf bank_mask:0xf
	s_delay_alu instid0(VALU_DEP_1) | instskip(SKIP_1) | instid1(VALU_DEP_1)
	v_add_nc_u32_e32 v4, v2, v4
	s_wait_alu 0xfffd
	v_dual_cndmask_b32 v2, v2, v4 :: v_dual_add_nc_u32 v1, v1, v79
	s_delay_alu instid0(VALU_DEP_1) | instskip(SKIP_1) | instid1(VALU_DEP_2)
	v_cndmask_b32_e64 v1, v1, v79, s1
	s_mov_b32 s1, exec_lo
	v_mov_b32_dpp v4, v2 row_shr:8 row_mask:0xf bank_mask:0xf
	s_delay_alu instid0(VALU_DEP_2) | instskip(NEXT) | instid1(VALU_DEP_1)
	v_mov_b32_dpp v3, v1 row_shr:2 row_mask:0xf bank_mask:0xf
	v_add_nc_u32_e32 v3, v1, v3
	s_delay_alu instid0(VALU_DEP_1) | instskip(NEXT) | instid1(VALU_DEP_1)
	v_cndmask_b32_e64 v1, v1, v3, s0
	v_mov_b32_dpp v3, v1 row_shr:4 row_mask:0xf bank_mask:0xf
	s_delay_alu instid0(VALU_DEP_1) | instskip(NEXT) | instid1(VALU_DEP_1)
	v_add_nc_u32_e32 v3, v1, v3
	v_cndmask_b32_e32 v3, v1, v3, vcc_lo
	v_cmp_lt_u32_e32 vcc_lo, 7, v76
	s_delay_alu instid0(VALU_DEP_2) | instskip(NEXT) | instid1(VALU_DEP_1)
	v_mov_b32_dpp v1, v3 row_shr:8 row_mask:0xf bank_mask:0xf
	v_add_nc_u32_e32 v5, v3, v1
	v_add_nc_u32_e32 v1, v2, v4
	s_wait_alu 0xfffd
	s_delay_alu instid0(VALU_DEP_1) | instskip(NEXT) | instid1(VALU_DEP_3)
	v_cndmask_b32_e32 v1, v2, v1, vcc_lo
	v_cndmask_b32_e32 v2, v3, v5, vcc_lo
	v_cmp_eq_u32_e32 vcc_lo, 0, v78
	ds_swizzle_b32 v3, v1 offset:swizzle(BROADCAST,32,15)
	ds_swizzle_b32 v4, v2 offset:swizzle(BROADCAST,32,15)
	s_wait_dscnt 0x1
	v_add_nc_u32_e32 v3, v1, v3
	s_wait_dscnt 0x0
	v_add_nc_u32_e32 v4, v2, v4
	v_cmpx_eq_u32_e64 v0, v77
; %bb.138:
	s_wait_alu 0xfffd
	s_delay_alu instid0(VALU_DEP_2)
	v_dual_cndmask_b32 v5, v4, v2 :: v_dual_cndmask_b32 v6, v3, v1
	v_lshlrev_b32_e32 v7, 3, v75
	ds_store_b64 v7, v[5:6]
; %bb.139:
	s_wait_alu 0xfffe
	s_or_b32 exec_lo, exec_lo, s1
	s_delay_alu instid0(SALU_CYCLE_1)
	s_mov_b32 s1, exec_lo
	s_wait_loadcnt_dscnt 0x0
	s_barrier_signal -1
	s_barrier_wait -1
	global_inv scope:SCOPE_SE
	v_cmpx_gt_u32_e32 8, v0
	s_cbranch_execz .LBB1783_141
; %bb.140:
	v_lshlrev_b32_e32 v7, 3, v0
	v_and_b32_e32 v22, 7, v74
	ds_load_b64 v[5:6], v7
	v_cmp_eq_u32_e64 s0, 0, v22
	s_wait_dscnt 0x0
	v_mov_b32_dpp v8, v5 row_shr:1 row_mask:0xf bank_mask:0xf
	v_mov_b32_dpp v21, v6 row_shr:1 row_mask:0xf bank_mask:0xf
	s_delay_alu instid0(VALU_DEP_2) | instskip(NEXT) | instid1(VALU_DEP_2)
	v_add_nc_u32_e32 v8, v8, v5
	v_add_nc_u32_e32 v21, v21, v6
	s_wait_alu 0xf1ff
	s_delay_alu instid0(VALU_DEP_2) | instskip(NEXT) | instid1(VALU_DEP_2)
	v_cndmask_b32_e64 v5, v8, v5, s0
	v_cndmask_b32_e64 v6, v21, v6, s0
	v_cmp_lt_u32_e64 s0, 1, v22
	s_delay_alu instid0(VALU_DEP_3) | instskip(NEXT) | instid1(VALU_DEP_3)
	v_mov_b32_dpp v8, v5 row_shr:2 row_mask:0xf bank_mask:0xf
	v_mov_b32_dpp v21, v6 row_shr:2 row_mask:0xf bank_mask:0xf
	s_delay_alu instid0(VALU_DEP_2) | instskip(NEXT) | instid1(VALU_DEP_2)
	v_add_nc_u32_e32 v8, v5, v8
	v_add_nc_u32_e32 v21, v6, v21
	s_wait_alu 0xf1ff
	s_delay_alu instid0(VALU_DEP_2) | instskip(NEXT) | instid1(VALU_DEP_2)
	v_cndmask_b32_e64 v5, v5, v8, s0
	v_cndmask_b32_e64 v6, v6, v21, s0
	v_cmp_lt_u32_e64 s0, 3, v22
	s_delay_alu instid0(VALU_DEP_3) | instskip(NEXT) | instid1(VALU_DEP_3)
	v_mov_b32_dpp v8, v5 row_shr:4 row_mask:0xf bank_mask:0xf
	v_mov_b32_dpp v21, v6 row_shr:4 row_mask:0xf bank_mask:0xf
	s_wait_alu 0xf1ff
	s_delay_alu instid0(VALU_DEP_2) | instskip(NEXT) | instid1(VALU_DEP_2)
	v_cndmask_b32_e64 v8, 0, v8, s0
	v_cndmask_b32_e64 v21, 0, v21, s0
	s_delay_alu instid0(VALU_DEP_2) | instskip(NEXT) | instid1(VALU_DEP_2)
	v_add_nc_u32_e32 v5, v8, v5
	v_add_nc_u32_e32 v6, v21, v6
	ds_store_b64 v7, v[5:6]
.LBB1783_141:
	s_wait_alu 0xfffe
	s_or_b32 exec_lo, exec_lo, s1
	v_dual_mov_b32 v7, 0 :: v_dual_mov_b32 v6, 0
	v_mov_b32_e32 v5, 0
	s_mov_b32 s1, exec_lo
	s_wait_loadcnt_dscnt 0x0
	s_barrier_signal -1
	s_barrier_wait -1
	global_inv scope:SCOPE_SE
	v_cmpx_lt_u32_e32 31, v0
; %bb.142:
	v_lshl_add_u32 v5, v75, 3, -8
	ds_load_b64 v[5:6], v5
; %bb.143:
	s_wait_alu 0xfffe
	s_or_b32 exec_lo, exec_lo, s1
	v_sub_co_u32 v8, s0, v74, 1
	v_dual_cndmask_b32 v2, v4, v2 :: v_dual_cndmask_b32 v1, v3, v1
	v_cmp_eq_u32_e32 vcc_lo, 0, v0
	s_delay_alu instid0(VALU_DEP_3) | instskip(SKIP_1) | instid1(VALU_DEP_3)
	v_cmp_gt_i32_e64 s1, 0, v8
	s_wait_dscnt 0x0
	v_add_nc_u32_e32 v2, v5, v2
	v_add_nc_u32_e32 v1, v6, v1
	s_wait_alu 0xf1ff
	v_cndmask_b32_e64 v4, v8, v74, s1
	s_delay_alu instid0(VALU_DEP_1)
	v_lshlrev_b32_e32 v3, 2, v4
	ds_bpermute_b32 v8, v3, v2
	ds_bpermute_b32 v21, v3, v1
	ds_load_b64 v[1:2], v7 offset:56
	s_and_saveexec_b32 s1, vcc_lo
	s_cbranch_execz .LBB1783_145
; %bb.144:
	s_wait_kmcnt 0x0
	s_add_nc_u64 s[2:3], s[4:5], 0x200
	v_dual_mov_b32 v3, 2 :: v_dual_mov_b32 v4, 0
	s_wait_alu 0xfffe
	v_dual_mov_b32 v23, s3 :: v_dual_mov_b32 v22, s2
	s_wait_dscnt 0x0
	;;#ASMSTART
	global_store_b128 v[22:23], v[1:4] off scope:SCOPE_DEV	
s_wait_storecnt 0x0
	;;#ASMEND
.LBB1783_145:
	s_wait_alu 0xfffe
	s_or_b32 exec_lo, exec_lo, s1
	s_wait_dscnt 0x1
	v_cndmask_b32_e64 v3, v21, v6, s0
	v_cndmask_b32_e64 v5, v8, v5, s0
	v_mov_b32_e32 v4, 0
	s_wait_loadcnt_dscnt 0x0
	s_barrier_signal -1
	v_cndmask_b32_e64 v81, v3, 0, vcc_lo
	v_cndmask_b32_e64 v82, v5, 0, vcc_lo
	v_mov_b32_e32 v3, 0
	s_barrier_wait -1
	global_inv scope:SCOPE_SE
.LBB1783_146:
	v_lshrrev_b32_e32 v77, 8, v49
	s_delay_alu instid0(VALU_DEP_2)
	v_add_nc_u32_e32 v73, v81, v73
	s_wait_dscnt 0x0
	v_sub_nc_u32_e32 v81, v81, v4
	v_lshlrev_b32_e32 v84, 1, v1
	v_lshrrev_b32_e32 v75, 16, v49
	v_and_b32_e32 v77, 1, v77
	v_add_nc_u32_e32 v71, v73, v71
	v_add_nc_u32_e32 v81, v81, v1
	v_add3_u32 v87, v84, v2, v41
	v_and_b32_e32 v75, 1, v75
	v_cmp_eq_u32_e32 vcc_lo, 1, v77
	v_add_nc_u32_e32 v72, v82, v72
	v_sub_nc_u32_e32 v82, v82, v3
	v_sub_nc_u32_e32 v73, v73, v4
	v_lshrrev_b32_e32 v76, 8, v42
	v_lshrrev_b32_e32 v74, 16, v42
	v_and_b32_e32 v42, 1, v42
	v_add_nc_u32_e32 v41, v82, v81
	v_add_nc_u32_e32 v73, v73, v1
	v_and_b32_e32 v76, 1, v76
	s_wait_kmcnt 0x0
	v_add_co_u32 v5, s0, s28, v3
	v_sub_nc_u32_e32 v41, v87, v41
	s_wait_alu 0xf1ff
	v_add_co_ci_u32_e64 v6, null, s29, 0, s0
	v_sub_co_u32 v80, s0, s30, v1
	s_wait_alu 0xfffd
	v_cndmask_b32_e32 v41, v41, v81, vcc_lo
	v_cmp_eq_u32_e32 vcc_lo, 1, v75
	v_add_nc_u32_e32 v78, v71, v55
	v_sub_nc_u32_e32 v71, v71, v4
	s_wait_alu 0xf1ff
	v_sub_co_ci_u32_e64 v83, null, s31, 0, s0
	v_and_b32_e32 v55, 1, v55
	v_and_b32_e32 v74, 1, v74
	v_add_nc_u32_e32 v71, v71, v1
	v_add_nc_u32_e32 v70, v72, v70
	v_sub_nc_u32_e32 v72, v72, v3
	v_lshrrev_b32_e32 v26, 8, v43
	v_lshrrev_b32_e32 v25, 16, v43
	v_and_b32_e32 v43, 1, v43
	v_lshrrev_b32_e32 v23, 16, v44
	v_add_nc_u32_e32 v88, v73, v72
	v_and_b32_e32 v26, 1, v26
	v_lshrrev_b32_e32 v24, 8, v44
	v_and_b32_e32 v44, 1, v44
	v_lshrrev_b32_e32 v8, 16, v46
	v_sub_nc_u32_e32 v88, v87, v88
	v_lshrrev_b32_e32 v22, 8, v46
	v_and_b32_e32 v24, 1, v24
	v_lshrrev_b32_e32 v21, 8, v47
	v_and_b32_e32 v8, 1, v8
	v_add_nc_u32_e32 v88, 1, v88
	v_and_b32_e32 v22, 1, v22
	v_lshrrev_b32_e32 v7, 16, v47
	s_mov_b32 s41, 0
	s_wait_alu 0xfffd
	v_cndmask_b32_e32 v73, v88, v73, vcc_lo
	v_cmp_eq_u32_e32 vcc_lo, 1, v42
	v_add_nc_u32_e32 v68, v78, v68
	v_and_b32_e32 v7, 1, v7
	s_wait_alu 0xfffd
	v_cndmask_b32_e32 v81, v41, v82, vcc_lo
	v_cmp_eq_u32_e32 vcc_lo, 1, v76
	v_add_nc_u32_e32 v69, v70, v69
	v_sub_nc_u32_e32 v70, v70, v3
	v_sub_nc_u32_e32 v76, v78, v4
	s_wait_alu 0xfffd
	v_dual_cndmask_b32 v72, v73, v72 :: v_dual_add_nc_u32 v67, v68, v67
	v_add_co_u32 v41, vcc_lo, v80, v4
	v_add_nc_u32_e32 v75, v71, v70
	s_wait_alu 0xfffd
	v_add_co_ci_u32_e64 v42, null, 0, v83, vcc_lo
	v_cmp_eq_u32_e32 vcc_lo, 1, v55
	v_add_nc_u32_e32 v79, v69, v54
	v_sub_nc_u32_e32 v73, v87, v75
	v_sub_nc_u32_e32 v69, v69, v3
	;; [unrolled: 1-line block ×3, first 2 shown]
	v_lshlrev_b32_e32 v75, 2, v81
	v_lshlrev_b32_e32 v72, 2, v72
	v_add_nc_u32_e32 v73, 2, v73
	ds_store_b32 v75, v19
	ds_store_b32 v72, v20
	s_wait_alu 0xfffd
	v_dual_cndmask_b32 v55, v73, v71 :: v_dual_add_nc_u32 v68, v68, v1
	v_add_nc_u32_e32 v71, v76, v1
	v_cmp_eq_u32_e32 vcc_lo, 1, v74
	v_and_b32_e32 v54, 1, v54
	s_delay_alu instid0(VALU_DEP_3) | instskip(SKIP_4) | instid1(VALU_DEP_3)
	v_add_nc_u32_e32 v73, v69, v71
	s_wait_alu 0xfffd
	v_cndmask_b32_e32 v55, v55, v70, vcc_lo
	v_sub_nc_u32_e32 v70, v79, v3
	v_cmp_eq_u32_e32 vcc_lo, 1, v43
	v_lshlrev_b32_e32 v19, 2, v55
	s_delay_alu instid0(VALU_DEP_3)
	v_add_nc_u32_e32 v20, v70, v68
	v_sub_nc_u32_e32 v55, v87, v73
	ds_store_b32 v19, v17
	v_sub_nc_u32_e32 v20, v87, v20
	v_add_nc_u32_e32 v55, 3, v55
	v_and_b32_e32 v19, 1, v25
	s_wait_alu 0xfffd
	s_delay_alu instid0(VALU_DEP_2) | instskip(SKIP_2) | instid1(VALU_DEP_2)
	v_dual_cndmask_b32 v43, v55, v71 :: v_dual_add_nc_u32 v20, 4, v20
	v_cmp_eq_u32_e32 vcc_lo, 1, v26
	s_wait_alu 0xfffd
	v_cndmask_b32_e32 v20, v20, v68, vcc_lo
	v_cmp_eq_u32_e32 vcc_lo, 1, v54
	s_wait_alu 0xfffd
	v_cndmask_b32_e32 v26, v43, v69, vcc_lo
	v_cmp_eq_u32_e32 vcc_lo, 1, v44
	v_add_nc_u32_e32 v65, v67, v65
	v_sub_nc_u32_e32 v67, v67, v4
	s_delay_alu instid0(VALU_DEP_4)
	v_lshlrev_b32_e32 v17, 2, v26
	s_wait_alu 0xfffd
	v_cndmask_b32_e32 v20, v20, v70, vcc_lo
	v_cmp_eq_u32_e32 vcc_lo, 1, v19
	v_add_nc_u32_e32 v67, v67, v1
	v_add_nc_u32_e32 v66, v79, v66
	;; [unrolled: 1-line block ×3, first 2 shown]
	v_sub_nc_u32_e32 v26, v65, v4
	v_lshlrev_b32_e32 v20, 2, v20
	ds_store_b32 v17, v18
	ds_store_b32 v20, v15
	v_add_nc_u32_e32 v64, v66, v64
	v_sub_nc_u32_e32 v66, v66, v3
	v_add_nc_u32_e32 v26, v26, v1
	v_add_nc_u32_e32 v63, v85, v63
	v_and_b32_e32 v20, 1, v53
	s_delay_alu instid0(VALU_DEP_4) | instskip(NEXT) | instid1(VALU_DEP_1)
	v_add_nc_u32_e32 v55, v66, v67
	v_sub_nc_u32_e32 v43, v87, v55
	s_delay_alu instid0(VALU_DEP_1) | instskip(SKIP_2) | instid1(VALU_DEP_2)
	v_add_nc_u32_e32 v25, 5, v43
	v_sub_nc_u32_e32 v43, v85, v4
	s_wait_alu 0xfffd
	v_cndmask_b32_e32 v19, v25, v67, vcc_lo
	v_cmp_eq_u32_e32 vcc_lo, 1, v24
	s_delay_alu instid0(VALU_DEP_3) | instskip(SKIP_1) | instid1(VALU_DEP_3)
	v_add_nc_u32_e32 v43, v43, v1
	s_wait_alu 0xfffd
	v_cndmask_b32_e32 v19, v19, v66, vcc_lo
	v_add_nc_u32_e32 v59, v64, v59
	v_sub_nc_u32_e32 v25, v64, v3
	v_cmp_eq_u32_e32 vcc_lo, 1, v20
	v_and_b32_e32 v20, 1, v52
	v_lshlrev_b32_e32 v15, 2, v19
	v_sub_nc_u32_e32 v24, v59, v3
	v_add_nc_u32_e32 v44, v25, v26
	v_add_nc_u32_e32 v86, v59, v52
	v_and_b32_e32 v19, 1, v23
	v_sub_nc_u32_e32 v23, v63, v4
	v_add_nc_u32_e32 v17, v24, v43
	v_sub_nc_u32_e32 v18, v87, v44
	v_and_b32_e32 v44, 1, v46
	v_sub_nc_u32_e32 v46, v86, v3
	v_add_nc_u32_e32 v23, v23, v1
	v_sub_nc_u32_e32 v17, v87, v17
	v_add_nc_u32_e32 v18, 6, v18
	v_add_nc_u32_e32 v61, v86, v61
	s_wait_alu 0xfffd
	s_delay_alu instid0(VALU_DEP_2)
	v_dual_cndmask_b32 v18, v18, v26 :: v_dual_add_nc_u32 v17, 7, v17
	v_cmp_eq_u32_e32 vcc_lo, 1, v44
	v_add_nc_u32_e32 v26, v46, v23
	v_add_nc_u32_e32 v58, v61, v58
	s_wait_alu 0xfffd
	v_cndmask_b32_e32 v17, v17, v43, vcc_lo
	v_cmp_eq_u32_e32 vcc_lo, 1, v19
	v_sub_nc_u32_e32 v19, v87, v26
	s_wait_alu 0xfffd
	v_cndmask_b32_e32 v18, v18, v25, vcc_lo
	v_cmp_eq_u32_e32 vcc_lo, 1, v20
	v_add_nc_u32_e32 v62, v63, v62
	v_add_nc_u32_e32 v19, 8, v19
	v_sub_nc_u32_e32 v25, v61, v3
	s_wait_alu 0xfffd
	v_dual_cndmask_b32 v17, v17, v24 :: v_dual_lshlrev_b32 v18, 2, v18
	v_sub_nc_u32_e32 v20, v62, v4
	v_and_b32_e32 v24, 1, v47
	v_cmp_eq_u32_e32 vcc_lo, 1, v22
	s_delay_alu instid0(VALU_DEP_4) | instskip(NEXT) | instid1(VALU_DEP_4)
	v_lshlrev_b32_e32 v17, 2, v17
	v_add_nc_u32_e32 v20, v20, v1
	ds_store_b32 v15, v16
	ds_store_b32 v18, v13
	;; [unrolled: 1-line block ×3, first 2 shown]
	s_wait_alu 0xfffd
	v_cndmask_b32_e32 v19, v19, v23, vcc_lo
	v_cmp_eq_u32_e32 vcc_lo, 1, v24
	v_add_nc_u32_e32 v60, v62, v60
	v_add_nc_u32_e32 v22, v25, v20
	v_sub_nc_u32_e32 v17, v58, v3
	v_and_b32_e32 v15, 1, v21
	s_wait_alu 0xfffd
	v_cndmask_b32_e32 v19, v19, v46, vcc_lo
	v_sub_nc_u32_e32 v16, v60, v4
	v_sub_nc_u32_e32 v13, v87, v22
	v_cmp_eq_u32_e32 vcc_lo, 1, v8
	v_add_nc_u32_e32 v89, v60, v51
	v_lshlrev_b32_e32 v14, 2, v19
	v_add_nc_u32_e32 v16, v16, v1
	v_add_nc_u32_e32 v13, 9, v13
	s_delay_alu instid0(VALU_DEP_4)
	v_sub_nc_u32_e32 v18, v89, v4
	ds_store_b32 v14, v11
	v_add_nc_u32_e32 v19, v17, v16
	s_wait_alu 0xfffd
	v_cndmask_b32_e32 v8, v13, v20, vcc_lo
	v_cmp_eq_u32_e32 vcc_lo, 1, v15
	v_and_b32_e32 v15, 1, v51
	v_and_b32_e32 v20, 1, v45
	v_sub_nc_u32_e32 v14, v87, v19
	v_add_nc_u32_e32 v18, v18, v1
	s_wait_alu 0xfffd
	v_cndmask_b32_e32 v8, v8, v25, vcc_lo
	v_cmp_eq_u32_e32 vcc_lo, 1, v15
	v_add_nc_u32_e32 v57, v89, v57
	v_add_nc_u32_e32 v14, 10, v14
	v_and_b32_e32 v15, 1, v50
	v_lshlrev_b32_e32 v8, 2, v8
	s_delay_alu instid0(VALU_DEP_4)
	v_sub_nc_u32_e32 v19, v57, v4
	s_wait_alu 0xfffd
	v_cndmask_b32_e32 v14, v14, v16, vcc_lo
	v_cmp_eq_u32_e32 vcc_lo, 1, v20
	v_add_nc_u32_e32 v56, v58, v56
	v_add_nc_u32_e32 v19, v19, v1
	s_delay_alu instid0(VALU_DEP_2) | instskip(NEXT) | instid1(VALU_DEP_1)
	v_sub_nc_u32_e32 v13, v56, v3
	v_add_nc_u32_e32 v11, v13, v18
	s_delay_alu instid0(VALU_DEP_1) | instskip(NEXT) | instid1(VALU_DEP_1)
	v_sub_nc_u32_e32 v11, v87, v11
	v_add_nc_u32_e32 v11, 11, v11
	s_wait_alu 0xfffd
	s_delay_alu instid0(VALU_DEP_1) | instskip(SKIP_2) | instid1(VALU_DEP_2)
	v_cndmask_b32_e32 v11, v11, v18, vcc_lo
	v_add_nc_u32_e32 v77, v56, v50
	v_cmp_eq_u32_e32 vcc_lo, 1, v7
	v_sub_nc_u32_e32 v3, v77, v3
	s_wait_alu 0xfffd
	v_cndmask_b32_e32 v7, v14, v17, vcc_lo
	v_cmp_eq_u32_e32 vcc_lo, 1, v15
	v_and_b32_e32 v15, 1, v49
	v_add_nc_u32_e32 v16, v3, v19
	s_delay_alu instid0(VALU_DEP_4) | instskip(SKIP_4) | instid1(VALU_DEP_3)
	v_lshlrev_b32_e32 v7, 2, v7
	s_wait_alu 0xfffd
	v_cndmask_b32_e32 v11, v11, v13, vcc_lo
	v_and_b32_e32 v13, 1, v48
	v_sub_nc_u32_e32 v14, v87, v16
	v_lshlrev_b32_e32 v11, 2, v11
	s_delay_alu instid0(VALU_DEP_3)
	v_cmp_eq_u32_e32 vcc_lo, 1, v13
	ds_store_b32 v8, v12
	ds_store_b32 v7, v9
	;; [unrolled: 1-line block ×3, first 2 shown]
	v_add_nc_u32_e32 v14, 12, v14
	v_add_co_u32 v7, s0, v2, v84
	s_wait_alu 0xf1ff
	v_add_co_ci_u32_e64 v8, null, 0, 0, s0
	s_wait_alu 0xfffd
	v_cndmask_b32_e32 v13, v14, v19, vcc_lo
	v_cmp_eq_u32_e32 vcc_lo, 1, v15
	s_wait_alu 0xfffe
	s_add_nc_u64 s[0:1], s[34:35], s[40:41]
	v_lshlrev_b64_e32 v[9:10], 2, v[5:6]
	v_add_nc_u32_e32 v12, v1, v2
	s_wait_alu 0xfffd
	v_cndmask_b32_e32 v3, v13, v3, vcc_lo
	v_add_co_u32 v7, vcc_lo, v7, v41
	s_wait_alu 0xfffd
	v_add_co_ci_u32_e64 v8, null, v8, v42, vcc_lo
	s_delay_alu instid0(VALU_DEP_3)
	v_lshlrev_b32_e32 v3, 2, v3
	ds_store_b32 v3, v40
	v_add_co_u32 v3, vcc_lo, v7, v5
	s_wait_alu 0xfffd
	v_add_co_ci_u32_e64 v7, null, v8, v6, vcc_lo
	s_wait_loadcnt_dscnt 0x0
	s_wait_alu 0xfffe
	v_sub_co_u32 v3, vcc_lo, s0, v3
	s_wait_alu 0xfffd
	v_sub_co_ci_u32_e64 v11, null, s1, v7, vcc_lo
	v_lshlrev_b64_e32 v[7:8], 2, v[41:42]
	v_add_co_u32 v9, s0, s36, v9
	s_wait_alu 0xf1ff
	v_add_co_ci_u32_e64 v10, null, s37, v10, s0
	s_mov_b32 s0, -1
	v_add_co_u32 v7, vcc_lo, s38, v7
	s_wait_alu 0xfffd
	v_add_co_ci_u32_e64 v8, null, s39, v8, vcc_lo
	v_cmp_ne_u32_e32 vcc_lo, 1, v39
	s_barrier_signal -1
	s_barrier_wait -1
	global_inv scope:SCOPE_SE
	s_cbranch_vccz .LBB1783_150
; %bb.147:
	s_wait_alu 0xfffe
	s_and_b32 vcc_lo, exec_lo, s0
	s_wait_alu 0xfffe
	s_cbranch_vccnz .LBB1783_255
.LBB1783_148:
	v_cmp_eq_u32_e32 vcc_lo, 0, v0
	s_and_b32 s0, vcc_lo, s15
	s_wait_alu 0xfffe
	s_and_saveexec_b32 s1, s0
	s_cbranch_execnz .LBB1783_373
.LBB1783_149:
	s_endpgm
.LBB1783_150:
	s_mov_b32 s0, exec_lo
	v_cmpx_ge_u32_e64 v0, v1
	s_wait_alu 0xfffe
	s_xor_b32 s0, exec_lo, s0
	s_cbranch_execz .LBB1783_156
; %bb.151:
	s_mov_b32 s1, exec_lo
	v_cmpx_ge_u32_e64 v0, v12
	s_wait_alu 0xfffe
	s_xor_b32 s1, exec_lo, s1
	s_cbranch_execz .LBB1783_153
; %bb.152:
	v_lshlrev_b32_e32 v13, 2, v0
	ds_load_b32 v15, v13
	v_add_co_u32 v13, vcc_lo, v3, v0
	s_wait_alu 0xfffd
	v_add_co_ci_u32_e64 v14, null, 0, v11, vcc_lo
	s_delay_alu instid0(VALU_DEP_1) | instskip(NEXT) | instid1(VALU_DEP_1)
	v_lshlrev_b64_e32 v[13:14], 2, v[13:14]
	v_sub_co_u32 v13, vcc_lo, s26, v13
	s_wait_alu 0xfffd
	s_delay_alu instid0(VALU_DEP_2)
	v_sub_co_ci_u32_e64 v14, null, s27, v14, vcc_lo
	s_wait_dscnt 0x0
	global_store_b32 v[13:14], v15, off offset:-4
.LBB1783_153:
	s_wait_alu 0xfffe
	s_and_not1_saveexec_b32 s1, s1
	s_cbranch_execz .LBB1783_155
; %bb.154:
	v_lshlrev_b32_e32 v13, 2, v0
	v_readfirstlane_b32 s2, v7
	v_readfirstlane_b32 s3, v8
	ds_load_b32 v14, v13
	s_wait_dscnt 0x0
	global_store_b32 v13, v14, s[2:3]
.LBB1783_155:
	s_wait_alu 0xfffe
	s_or_b32 exec_lo, exec_lo, s1
.LBB1783_156:
	s_wait_alu 0xfffe
	s_and_not1_saveexec_b32 s0, s0
	s_cbranch_execz .LBB1783_158
; %bb.157:
	v_lshlrev_b32_e32 v13, 2, v0
	v_readfirstlane_b32 s2, v9
	v_readfirstlane_b32 s3, v10
	ds_load_b32 v14, v13
	s_wait_dscnt 0x0
	global_store_b32 v13, v14, s[2:3]
.LBB1783_158:
	s_wait_alu 0xfffe
	s_or_b32 exec_lo, exec_lo, s0
	s_delay_alu instid0(SALU_CYCLE_1)
	s_mov_b32 s0, exec_lo
	v_cmpx_ge_u32_e64 v38, v1
	s_wait_alu 0xfffe
	s_xor_b32 s0, exec_lo, s0
	s_cbranch_execz .LBB1783_164
; %bb.159:
	s_mov_b32 s1, exec_lo
	v_cmpx_ge_u32_e64 v38, v12
	s_wait_alu 0xfffe
	s_xor_b32 s1, exec_lo, s1
	s_cbranch_execz .LBB1783_161
; %bb.160:
	v_lshlrev_b32_e32 v13, 2, v0
	ds_load_b32 v15, v13 offset:1024
	v_add_co_u32 v13, vcc_lo, v3, v0
	s_wait_alu 0xfffd
	v_add_co_ci_u32_e64 v14, null, 0, v11, vcc_lo
	s_delay_alu instid0(VALU_DEP_1) | instskip(NEXT) | instid1(VALU_DEP_1)
	v_lshlrev_b64_e32 v[13:14], 2, v[13:14]
	v_sub_co_u32 v13, vcc_lo, s26, v13
	s_wait_alu 0xfffd
	s_delay_alu instid0(VALU_DEP_2)
	v_sub_co_ci_u32_e64 v14, null, s27, v14, vcc_lo
	s_wait_dscnt 0x0
	global_store_b32 v[13:14], v15, off offset:-1028
.LBB1783_161:
	s_wait_alu 0xfffe
	s_and_not1_saveexec_b32 s1, s1
	s_cbranch_execz .LBB1783_163
; %bb.162:
	v_lshlrev_b32_e32 v13, 2, v0
	v_readfirstlane_b32 s2, v7
	v_readfirstlane_b32 s3, v8
	ds_load_b32 v14, v13 offset:1024
	s_wait_dscnt 0x0
	global_store_b32 v13, v14, s[2:3] offset:1024
.LBB1783_163:
	s_wait_alu 0xfffe
	s_or_b32 exec_lo, exec_lo, s1
.LBB1783_164:
	s_wait_alu 0xfffe
	s_and_not1_saveexec_b32 s0, s0
	s_cbranch_execz .LBB1783_166
; %bb.165:
	v_lshlrev_b32_e32 v13, 2, v0
	v_readfirstlane_b32 s2, v9
	v_readfirstlane_b32 s3, v10
	ds_load_b32 v14, v13 offset:1024
	s_wait_dscnt 0x0
	global_store_b32 v13, v14, s[2:3] offset:1024
.LBB1783_166:
	s_wait_alu 0xfffe
	s_or_b32 exec_lo, exec_lo, s0
	s_delay_alu instid0(SALU_CYCLE_1)
	s_mov_b32 s0, exec_lo
	v_cmpx_ge_u32_e64 v37, v1
	s_wait_alu 0xfffe
	s_xor_b32 s0, exec_lo, s0
	s_cbranch_execz .LBB1783_172
; %bb.167:
	s_mov_b32 s1, exec_lo
	v_cmpx_ge_u32_e64 v37, v12
	s_wait_alu 0xfffe
	s_xor_b32 s1, exec_lo, s1
	s_cbranch_execz .LBB1783_169
; %bb.168:
	v_lshlrev_b32_e32 v13, 2, v0
	ds_load_b32 v15, v13 offset:2048
	v_add_co_u32 v13, vcc_lo, v3, v0
	s_wait_alu 0xfffd
	v_add_co_ci_u32_e64 v14, null, 0, v11, vcc_lo
	s_delay_alu instid0(VALU_DEP_1) | instskip(NEXT) | instid1(VALU_DEP_1)
	v_lshlrev_b64_e32 v[13:14], 2, v[13:14]
	v_sub_co_u32 v13, vcc_lo, s26, v13
	s_wait_alu 0xfffd
	s_delay_alu instid0(VALU_DEP_2)
	v_sub_co_ci_u32_e64 v14, null, s27, v14, vcc_lo
	s_wait_dscnt 0x0
	global_store_b32 v[13:14], v15, off offset:-2052
.LBB1783_169:
	s_wait_alu 0xfffe
	s_and_not1_saveexec_b32 s1, s1
	s_cbranch_execz .LBB1783_171
; %bb.170:
	v_lshlrev_b32_e32 v13, 2, v0
	v_readfirstlane_b32 s2, v7
	v_readfirstlane_b32 s3, v8
	ds_load_b32 v14, v13 offset:2048
	s_wait_dscnt 0x0
	global_store_b32 v13, v14, s[2:3] offset:2048
.LBB1783_171:
	s_wait_alu 0xfffe
	s_or_b32 exec_lo, exec_lo, s1
.LBB1783_172:
	s_wait_alu 0xfffe
	s_and_not1_saveexec_b32 s0, s0
	s_cbranch_execz .LBB1783_174
; %bb.173:
	v_lshlrev_b32_e32 v13, 2, v0
	v_readfirstlane_b32 s2, v9
	v_readfirstlane_b32 s3, v10
	ds_load_b32 v14, v13 offset:2048
	s_wait_dscnt 0x0
	global_store_b32 v13, v14, s[2:3] offset:2048
.LBB1783_174:
	;; [unrolled: 54-line block ×12, first 2 shown]
	s_wait_alu 0xfffe
	s_or_b32 exec_lo, exec_lo, s0
	s_branch .LBB1783_148
.LBB1783_255:
	s_mov_b32 s0, exec_lo
	v_cmpx_gt_u32_e64 s33, v0
	s_cbranch_execz .LBB1783_264
; %bb.256:
	s_mov_b32 s1, exec_lo
	v_cmpx_ge_u32_e64 v0, v1
	s_wait_alu 0xfffe
	s_xor_b32 s1, exec_lo, s1
	s_cbranch_execz .LBB1783_262
; %bb.257:
	s_mov_b32 s2, exec_lo
	v_cmpx_ge_u32_e64 v0, v12
	s_wait_alu 0xfffe
	s_xor_b32 s2, exec_lo, s2
	s_cbranch_execz .LBB1783_259
; %bb.258:
	v_lshlrev_b32_e32 v13, 2, v0
	ds_load_b32 v15, v13
	v_add_co_u32 v13, vcc_lo, v3, v0
	s_wait_alu 0xfffd
	v_add_co_ci_u32_e64 v14, null, 0, v11, vcc_lo
	s_delay_alu instid0(VALU_DEP_1) | instskip(NEXT) | instid1(VALU_DEP_1)
	v_lshlrev_b64_e32 v[13:14], 2, v[13:14]
	v_sub_co_u32 v13, vcc_lo, s26, v13
	s_wait_alu 0xfffd
	s_delay_alu instid0(VALU_DEP_2)
	v_sub_co_ci_u32_e64 v14, null, s27, v14, vcc_lo
	s_wait_dscnt 0x0
	global_store_b32 v[13:14], v15, off offset:-4
.LBB1783_259:
	s_wait_alu 0xfffe
	s_and_not1_saveexec_b32 s2, s2
	s_cbranch_execz .LBB1783_261
; %bb.260:
	v_lshlrev_b32_e32 v13, 2, v0
	v_readfirstlane_b32 s4, v7
	v_readfirstlane_b32 s5, v8
	ds_load_b32 v14, v13
	s_wait_dscnt 0x0
	global_store_b32 v13, v14, s[4:5]
.LBB1783_261:
	s_wait_alu 0xfffe
	s_or_b32 exec_lo, exec_lo, s2
.LBB1783_262:
	s_wait_alu 0xfffe
	s_and_not1_saveexec_b32 s1, s1
	s_cbranch_execz .LBB1783_264
; %bb.263:
	v_lshlrev_b32_e32 v13, 2, v0
	v_readfirstlane_b32 s2, v9
	v_readfirstlane_b32 s3, v10
	ds_load_b32 v14, v13
	s_wait_dscnt 0x0
	global_store_b32 v13, v14, s[2:3]
.LBB1783_264:
	s_wait_alu 0xfffe
	s_or_b32 exec_lo, exec_lo, s0
	s_delay_alu instid0(SALU_CYCLE_1)
	s_mov_b32 s0, exec_lo
	v_cmpx_gt_u32_e64 s33, v38
	s_cbranch_execz .LBB1783_273
; %bb.265:
	s_mov_b32 s1, exec_lo
	v_cmpx_ge_u32_e64 v38, v1
	s_wait_alu 0xfffe
	s_xor_b32 s1, exec_lo, s1
	s_cbranch_execz .LBB1783_271
; %bb.266:
	s_mov_b32 s2, exec_lo
	v_cmpx_ge_u32_e64 v38, v12
	s_wait_alu 0xfffe
	s_xor_b32 s2, exec_lo, s2
	s_cbranch_execz .LBB1783_268
; %bb.267:
	v_lshlrev_b32_e32 v13, 2, v0
	ds_load_b32 v15, v13 offset:1024
	v_add_co_u32 v13, vcc_lo, v3, v0
	s_wait_alu 0xfffd
	v_add_co_ci_u32_e64 v14, null, 0, v11, vcc_lo
	s_delay_alu instid0(VALU_DEP_1) | instskip(NEXT) | instid1(VALU_DEP_1)
	v_lshlrev_b64_e32 v[13:14], 2, v[13:14]
	v_sub_co_u32 v13, vcc_lo, s26, v13
	s_wait_alu 0xfffd
	s_delay_alu instid0(VALU_DEP_2)
	v_sub_co_ci_u32_e64 v14, null, s27, v14, vcc_lo
	s_wait_dscnt 0x0
	global_store_b32 v[13:14], v15, off offset:-1028
.LBB1783_268:
	s_wait_alu 0xfffe
	s_and_not1_saveexec_b32 s2, s2
	s_cbranch_execz .LBB1783_270
; %bb.269:
	v_lshlrev_b32_e32 v13, 2, v0
	v_readfirstlane_b32 s4, v7
	v_readfirstlane_b32 s5, v8
	ds_load_b32 v14, v13 offset:1024
	s_wait_dscnt 0x0
	global_store_b32 v13, v14, s[4:5] offset:1024
.LBB1783_270:
	s_wait_alu 0xfffe
	s_or_b32 exec_lo, exec_lo, s2
.LBB1783_271:
	s_wait_alu 0xfffe
	s_and_not1_saveexec_b32 s1, s1
	s_cbranch_execz .LBB1783_273
; %bb.272:
	v_lshlrev_b32_e32 v13, 2, v0
	v_readfirstlane_b32 s2, v9
	v_readfirstlane_b32 s3, v10
	ds_load_b32 v14, v13 offset:1024
	s_wait_dscnt 0x0
	global_store_b32 v13, v14, s[2:3] offset:1024
.LBB1783_273:
	s_wait_alu 0xfffe
	s_or_b32 exec_lo, exec_lo, s0
	s_delay_alu instid0(SALU_CYCLE_1)
	s_mov_b32 s0, exec_lo
	v_cmpx_gt_u32_e64 s33, v37
	s_cbranch_execz .LBB1783_282
; %bb.274:
	s_mov_b32 s1, exec_lo
	v_cmpx_ge_u32_e64 v37, v1
	s_wait_alu 0xfffe
	s_xor_b32 s1, exec_lo, s1
	s_cbranch_execz .LBB1783_280
; %bb.275:
	s_mov_b32 s2, exec_lo
	v_cmpx_ge_u32_e64 v37, v12
	s_wait_alu 0xfffe
	s_xor_b32 s2, exec_lo, s2
	s_cbranch_execz .LBB1783_277
; %bb.276:
	v_lshlrev_b32_e32 v13, 2, v0
	ds_load_b32 v15, v13 offset:2048
	v_add_co_u32 v13, vcc_lo, v3, v0
	s_wait_alu 0xfffd
	v_add_co_ci_u32_e64 v14, null, 0, v11, vcc_lo
	s_delay_alu instid0(VALU_DEP_1) | instskip(NEXT) | instid1(VALU_DEP_1)
	v_lshlrev_b64_e32 v[13:14], 2, v[13:14]
	v_sub_co_u32 v13, vcc_lo, s26, v13
	s_wait_alu 0xfffd
	s_delay_alu instid0(VALU_DEP_2)
	v_sub_co_ci_u32_e64 v14, null, s27, v14, vcc_lo
	s_wait_dscnt 0x0
	global_store_b32 v[13:14], v15, off offset:-2052
.LBB1783_277:
	s_wait_alu 0xfffe
	s_and_not1_saveexec_b32 s2, s2
	s_cbranch_execz .LBB1783_279
; %bb.278:
	v_lshlrev_b32_e32 v13, 2, v0
	v_readfirstlane_b32 s4, v7
	v_readfirstlane_b32 s5, v8
	ds_load_b32 v14, v13 offset:2048
	s_wait_dscnt 0x0
	global_store_b32 v13, v14, s[4:5] offset:2048
.LBB1783_279:
	s_wait_alu 0xfffe
	s_or_b32 exec_lo, exec_lo, s2
.LBB1783_280:
	s_wait_alu 0xfffe
	s_and_not1_saveexec_b32 s1, s1
	s_cbranch_execz .LBB1783_282
; %bb.281:
	v_lshlrev_b32_e32 v13, 2, v0
	v_readfirstlane_b32 s2, v9
	v_readfirstlane_b32 s3, v10
	ds_load_b32 v14, v13 offset:2048
	s_wait_dscnt 0x0
	global_store_b32 v13, v14, s[2:3] offset:2048
.LBB1783_282:
	;; [unrolled: 58-line block ×11, first 2 shown]
	s_wait_alu 0xfffe
	s_or_b32 exec_lo, exec_lo, s0
	s_delay_alu instid0(SALU_CYCLE_1)
	s_mov_b32 s0, exec_lo
	v_cmpx_gt_u32_e64 s33, v27
	s_cbranch_execz .LBB1783_372
; %bb.364:
	s_mov_b32 s1, exec_lo
	v_cmpx_ge_u32_e64 v27, v1
	s_wait_alu 0xfffe
	s_xor_b32 s1, exec_lo, s1
	s_cbranch_execz .LBB1783_370
; %bb.365:
	s_mov_b32 s2, exec_lo
	v_cmpx_ge_u32_e64 v27, v12
	s_wait_alu 0xfffe
	s_xor_b32 s2, exec_lo, s2
	s_cbranch_execz .LBB1783_367
; %bb.366:
	v_lshlrev_b32_e32 v7, 2, v0
	ds_load_b32 v9, v7 offset:12288
	v_add_co_u32 v7, vcc_lo, v3, v0
	s_wait_alu 0xfffd
	v_add_co_ci_u32_e64 v8, null, 0, v11, vcc_lo
	s_delay_alu instid0(VALU_DEP_1) | instskip(NEXT) | instid1(VALU_DEP_1)
	v_lshlrev_b64_e32 v[7:8], 2, v[7:8]
	v_sub_co_u32 v7, vcc_lo, s26, v7
	s_wait_alu 0xfffd
	s_delay_alu instid0(VALU_DEP_2)
	v_sub_co_ci_u32_e64 v8, null, s27, v8, vcc_lo
	s_wait_dscnt 0x0
	global_store_b32 v[7:8], v9, off offset:-12292
                                        ; implicit-def: $vgpr7_vgpr8
.LBB1783_367:
	s_wait_alu 0xfffe
	s_and_not1_saveexec_b32 s2, s2
	s_cbranch_execz .LBB1783_369
; %bb.368:
	v_lshlrev_b32_e32 v3, 2, v0
	v_readfirstlane_b32 s4, v7
	v_readfirstlane_b32 s5, v8
	ds_load_b32 v9, v3 offset:12288
	s_wait_dscnt 0x0
	global_store_b32 v3, v9, s[4:5] offset:12288
.LBB1783_369:
	s_wait_alu 0xfffe
	s_or_b32 exec_lo, exec_lo, s2
                                        ; implicit-def: $vgpr9_vgpr10
.LBB1783_370:
	s_wait_alu 0xfffe
	s_and_not1_saveexec_b32 s1, s1
	s_cbranch_execz .LBB1783_372
; %bb.371:
	v_lshlrev_b32_e32 v3, 2, v0
	v_readfirstlane_b32 s2, v9
	v_readfirstlane_b32 s3, v10
	ds_load_b32 v7, v3 offset:12288
	s_wait_dscnt 0x0
	global_store_b32 v3, v7, s[2:3] offset:12288
.LBB1783_372:
	s_wait_alu 0xfffe
	s_or_b32 exec_lo, exec_lo, s0
	v_cmp_eq_u32_e32 vcc_lo, 0, v0
	s_and_b32 s0, vcc_lo, s15
	s_wait_alu 0xfffe
	s_and_saveexec_b32 s1, s0
	s_cbranch_execz .LBB1783_149
.LBB1783_373:
	v_add_co_u32 v0, s0, s30, v2
	s_wait_alu 0xf1ff
	v_add_co_ci_u32_e64 v3, null, s31, 0, s0
	v_mov_b32_e32 v7, 0
	s_delay_alu instid0(VALU_DEP_3) | instskip(SKIP_1) | instid1(VALU_DEP_3)
	v_add_co_u32 v2, vcc_lo, v0, v4
	s_wait_alu 0xfffd
	v_add_co_ci_u32_e64 v3, null, 0, v3, vcc_lo
	v_add_co_u32 v0, vcc_lo, v5, v1
	s_wait_alu 0xfffd
	v_add_co_ci_u32_e64 v1, null, 0, v6, vcc_lo
	global_store_b128 v7, v[0:3], s[24:25]
	s_endpgm
.LBB1783_374:
	s_add_co_i32 s8, ttmp9, 32
	s_mov_b32 s9, 0
	v_dual_mov_b32 v7, 2 :: v_dual_add_nc_u32 v6, v4, v2
	s_wait_alu 0xfffe
	s_lshl_b64 s[8:9], s[8:9], 4
	v_dual_mov_b32 v8, 0 :: v_dual_add_nc_u32 v5, v3, v1
	s_wait_alu 0xfffe
	s_add_nc_u64 s[8:9], s[4:5], s[8:9]
	s_wait_alu 0xfffe
	v_dual_mov_b32 v24, s9 :: v_dual_mov_b32 v23, s8
	;;#ASMSTART
	global_store_b128 v[23:24], v[5:8] off scope:SCOPE_DEV	
s_wait_storecnt 0x0
	;;#ASMEND
	s_or_b32 exec_lo, exec_lo, s6
	s_and_saveexec_b32 s6, s2
	s_cbranch_execz .LBB1783_134
.LBB1783_375:
	v_mov_b32_e32 v5, 0
	ds_store_b128 v5, v[1:4] offset:13312
	s_wait_alu 0xfffe
	s_or_b32 exec_lo, exec_lo, s6
	v_cmp_eq_u32_e32 vcc_lo, 0, v0
	s_and_b32 exec_lo, exec_lo, vcc_lo
	s_cbranch_execnz .LBB1783_135
	s_branch .LBB1783_136
	.section	.rodata,"a",@progbits
	.p2align	6, 0x0
	.amdhsa_kernel _ZN7rocprim17ROCPRIM_400000_NS6detail17trampoline_kernelINS0_13select_configILj256ELj13ELNS0_17block_load_methodE3ELS4_3ELS4_3ELNS0_20block_scan_algorithmE0ELj4294967295EEENS1_25partition_config_selectorILNS1_17partition_subalgoE4EjNS0_10empty_typeEbEEZZNS1_14partition_implILS8_4ELb0ES6_15HIP_vector_typeIjLj2EENS0_17counting_iteratorIjlEEPS9_SG_NS0_5tupleIJPjSI_NS0_16reverse_iteratorISI_EEEEENSH_IJSG_SG_SG_EEES9_SI_JZNS1_25segmented_radix_sort_implINS0_14default_configELb0EPK6__halfPSP_PKlPlN2at6native12_GLOBAL__N_18offset_tEEE10hipError_tPvRmT1_PNSt15iterator_traitsIS13_E10value_typeET2_T3_PNS14_IS19_E10value_typeET4_jRbjT5_S1F_jjP12ihipStream_tbEUljE_ZNSN_ISO_Lb0ESR_SS_SU_SV_SZ_EES10_S11_S12_S13_S17_S18_S19_S1C_S1D_jS1E_jS1F_S1F_jjS1H_bEUljE0_EEES10_S11_S12_S19_S1D_S1F_T6_T7_T9_mT8_S1H_bDpT10_ENKUlT_T0_E_clISt17integral_constantIbLb0EES1V_EEDaS1Q_S1R_EUlS1Q_E_NS1_11comp_targetILNS1_3genE10ELNS1_11target_archE1200ELNS1_3gpuE4ELNS1_3repE0EEENS1_30default_config_static_selectorELNS0_4arch9wavefront6targetE0EEEvS13_
		.amdhsa_group_segment_fixed_size 13328
		.amdhsa_private_segment_fixed_size 0
		.amdhsa_kernarg_size 176
		.amdhsa_user_sgpr_count 2
		.amdhsa_user_sgpr_dispatch_ptr 0
		.amdhsa_user_sgpr_queue_ptr 0
		.amdhsa_user_sgpr_kernarg_segment_ptr 1
		.amdhsa_user_sgpr_dispatch_id 0
		.amdhsa_user_sgpr_private_segment_size 0
		.amdhsa_wavefront_size32 1
		.amdhsa_uses_dynamic_stack 0
		.amdhsa_enable_private_segment 0
		.amdhsa_system_sgpr_workgroup_id_x 1
		.amdhsa_system_sgpr_workgroup_id_y 0
		.amdhsa_system_sgpr_workgroup_id_z 0
		.amdhsa_system_sgpr_workgroup_info 0
		.amdhsa_system_vgpr_workitem_id 0
		.amdhsa_next_free_vgpr 93
		.amdhsa_next_free_sgpr 58
		.amdhsa_reserve_vcc 1
		.amdhsa_float_round_mode_32 0
		.amdhsa_float_round_mode_16_64 0
		.amdhsa_float_denorm_mode_32 3
		.amdhsa_float_denorm_mode_16_64 3
		.amdhsa_fp16_overflow 0
		.amdhsa_workgroup_processor_mode 1
		.amdhsa_memory_ordered 1
		.amdhsa_forward_progress 1
		.amdhsa_inst_pref_size 148
		.amdhsa_round_robin_scheduling 0
		.amdhsa_exception_fp_ieee_invalid_op 0
		.amdhsa_exception_fp_denorm_src 0
		.amdhsa_exception_fp_ieee_div_zero 0
		.amdhsa_exception_fp_ieee_overflow 0
		.amdhsa_exception_fp_ieee_underflow 0
		.amdhsa_exception_fp_ieee_inexact 0
		.amdhsa_exception_int_div_zero 0
	.end_amdhsa_kernel
	.section	.text._ZN7rocprim17ROCPRIM_400000_NS6detail17trampoline_kernelINS0_13select_configILj256ELj13ELNS0_17block_load_methodE3ELS4_3ELS4_3ELNS0_20block_scan_algorithmE0ELj4294967295EEENS1_25partition_config_selectorILNS1_17partition_subalgoE4EjNS0_10empty_typeEbEEZZNS1_14partition_implILS8_4ELb0ES6_15HIP_vector_typeIjLj2EENS0_17counting_iteratorIjlEEPS9_SG_NS0_5tupleIJPjSI_NS0_16reverse_iteratorISI_EEEEENSH_IJSG_SG_SG_EEES9_SI_JZNS1_25segmented_radix_sort_implINS0_14default_configELb0EPK6__halfPSP_PKlPlN2at6native12_GLOBAL__N_18offset_tEEE10hipError_tPvRmT1_PNSt15iterator_traitsIS13_E10value_typeET2_T3_PNS14_IS19_E10value_typeET4_jRbjT5_S1F_jjP12ihipStream_tbEUljE_ZNSN_ISO_Lb0ESR_SS_SU_SV_SZ_EES10_S11_S12_S13_S17_S18_S19_S1C_S1D_jS1E_jS1F_S1F_jjS1H_bEUljE0_EEES10_S11_S12_S19_S1D_S1F_T6_T7_T9_mT8_S1H_bDpT10_ENKUlT_T0_E_clISt17integral_constantIbLb0EES1V_EEDaS1Q_S1R_EUlS1Q_E_NS1_11comp_targetILNS1_3genE10ELNS1_11target_archE1200ELNS1_3gpuE4ELNS1_3repE0EEENS1_30default_config_static_selectorELNS0_4arch9wavefront6targetE0EEEvS13_,"axG",@progbits,_ZN7rocprim17ROCPRIM_400000_NS6detail17trampoline_kernelINS0_13select_configILj256ELj13ELNS0_17block_load_methodE3ELS4_3ELS4_3ELNS0_20block_scan_algorithmE0ELj4294967295EEENS1_25partition_config_selectorILNS1_17partition_subalgoE4EjNS0_10empty_typeEbEEZZNS1_14partition_implILS8_4ELb0ES6_15HIP_vector_typeIjLj2EENS0_17counting_iteratorIjlEEPS9_SG_NS0_5tupleIJPjSI_NS0_16reverse_iteratorISI_EEEEENSH_IJSG_SG_SG_EEES9_SI_JZNS1_25segmented_radix_sort_implINS0_14default_configELb0EPK6__halfPSP_PKlPlN2at6native12_GLOBAL__N_18offset_tEEE10hipError_tPvRmT1_PNSt15iterator_traitsIS13_E10value_typeET2_T3_PNS14_IS19_E10value_typeET4_jRbjT5_S1F_jjP12ihipStream_tbEUljE_ZNSN_ISO_Lb0ESR_SS_SU_SV_SZ_EES10_S11_S12_S13_S17_S18_S19_S1C_S1D_jS1E_jS1F_S1F_jjS1H_bEUljE0_EEES10_S11_S12_S19_S1D_S1F_T6_T7_T9_mT8_S1H_bDpT10_ENKUlT_T0_E_clISt17integral_constantIbLb0EES1V_EEDaS1Q_S1R_EUlS1Q_E_NS1_11comp_targetILNS1_3genE10ELNS1_11target_archE1200ELNS1_3gpuE4ELNS1_3repE0EEENS1_30default_config_static_selectorELNS0_4arch9wavefront6targetE0EEEvS13_,comdat
.Lfunc_end1783:
	.size	_ZN7rocprim17ROCPRIM_400000_NS6detail17trampoline_kernelINS0_13select_configILj256ELj13ELNS0_17block_load_methodE3ELS4_3ELS4_3ELNS0_20block_scan_algorithmE0ELj4294967295EEENS1_25partition_config_selectorILNS1_17partition_subalgoE4EjNS0_10empty_typeEbEEZZNS1_14partition_implILS8_4ELb0ES6_15HIP_vector_typeIjLj2EENS0_17counting_iteratorIjlEEPS9_SG_NS0_5tupleIJPjSI_NS0_16reverse_iteratorISI_EEEEENSH_IJSG_SG_SG_EEES9_SI_JZNS1_25segmented_radix_sort_implINS0_14default_configELb0EPK6__halfPSP_PKlPlN2at6native12_GLOBAL__N_18offset_tEEE10hipError_tPvRmT1_PNSt15iterator_traitsIS13_E10value_typeET2_T3_PNS14_IS19_E10value_typeET4_jRbjT5_S1F_jjP12ihipStream_tbEUljE_ZNSN_ISO_Lb0ESR_SS_SU_SV_SZ_EES10_S11_S12_S13_S17_S18_S19_S1C_S1D_jS1E_jS1F_S1F_jjS1H_bEUljE0_EEES10_S11_S12_S19_S1D_S1F_T6_T7_T9_mT8_S1H_bDpT10_ENKUlT_T0_E_clISt17integral_constantIbLb0EES1V_EEDaS1Q_S1R_EUlS1Q_E_NS1_11comp_targetILNS1_3genE10ELNS1_11target_archE1200ELNS1_3gpuE4ELNS1_3repE0EEENS1_30default_config_static_selectorELNS0_4arch9wavefront6targetE0EEEvS13_, .Lfunc_end1783-_ZN7rocprim17ROCPRIM_400000_NS6detail17trampoline_kernelINS0_13select_configILj256ELj13ELNS0_17block_load_methodE3ELS4_3ELS4_3ELNS0_20block_scan_algorithmE0ELj4294967295EEENS1_25partition_config_selectorILNS1_17partition_subalgoE4EjNS0_10empty_typeEbEEZZNS1_14partition_implILS8_4ELb0ES6_15HIP_vector_typeIjLj2EENS0_17counting_iteratorIjlEEPS9_SG_NS0_5tupleIJPjSI_NS0_16reverse_iteratorISI_EEEEENSH_IJSG_SG_SG_EEES9_SI_JZNS1_25segmented_radix_sort_implINS0_14default_configELb0EPK6__halfPSP_PKlPlN2at6native12_GLOBAL__N_18offset_tEEE10hipError_tPvRmT1_PNSt15iterator_traitsIS13_E10value_typeET2_T3_PNS14_IS19_E10value_typeET4_jRbjT5_S1F_jjP12ihipStream_tbEUljE_ZNSN_ISO_Lb0ESR_SS_SU_SV_SZ_EES10_S11_S12_S13_S17_S18_S19_S1C_S1D_jS1E_jS1F_S1F_jjS1H_bEUljE0_EEES10_S11_S12_S19_S1D_S1F_T6_T7_T9_mT8_S1H_bDpT10_ENKUlT_T0_E_clISt17integral_constantIbLb0EES1V_EEDaS1Q_S1R_EUlS1Q_E_NS1_11comp_targetILNS1_3genE10ELNS1_11target_archE1200ELNS1_3gpuE4ELNS1_3repE0EEENS1_30default_config_static_selectorELNS0_4arch9wavefront6targetE0EEEvS13_
                                        ; -- End function
	.set _ZN7rocprim17ROCPRIM_400000_NS6detail17trampoline_kernelINS0_13select_configILj256ELj13ELNS0_17block_load_methodE3ELS4_3ELS4_3ELNS0_20block_scan_algorithmE0ELj4294967295EEENS1_25partition_config_selectorILNS1_17partition_subalgoE4EjNS0_10empty_typeEbEEZZNS1_14partition_implILS8_4ELb0ES6_15HIP_vector_typeIjLj2EENS0_17counting_iteratorIjlEEPS9_SG_NS0_5tupleIJPjSI_NS0_16reverse_iteratorISI_EEEEENSH_IJSG_SG_SG_EEES9_SI_JZNS1_25segmented_radix_sort_implINS0_14default_configELb0EPK6__halfPSP_PKlPlN2at6native12_GLOBAL__N_18offset_tEEE10hipError_tPvRmT1_PNSt15iterator_traitsIS13_E10value_typeET2_T3_PNS14_IS19_E10value_typeET4_jRbjT5_S1F_jjP12ihipStream_tbEUljE_ZNSN_ISO_Lb0ESR_SS_SU_SV_SZ_EES10_S11_S12_S13_S17_S18_S19_S1C_S1D_jS1E_jS1F_S1F_jjS1H_bEUljE0_EEES10_S11_S12_S19_S1D_S1F_T6_T7_T9_mT8_S1H_bDpT10_ENKUlT_T0_E_clISt17integral_constantIbLb0EES1V_EEDaS1Q_S1R_EUlS1Q_E_NS1_11comp_targetILNS1_3genE10ELNS1_11target_archE1200ELNS1_3gpuE4ELNS1_3repE0EEENS1_30default_config_static_selectorELNS0_4arch9wavefront6targetE0EEEvS13_.num_vgpr, 93
	.set _ZN7rocprim17ROCPRIM_400000_NS6detail17trampoline_kernelINS0_13select_configILj256ELj13ELNS0_17block_load_methodE3ELS4_3ELS4_3ELNS0_20block_scan_algorithmE0ELj4294967295EEENS1_25partition_config_selectorILNS1_17partition_subalgoE4EjNS0_10empty_typeEbEEZZNS1_14partition_implILS8_4ELb0ES6_15HIP_vector_typeIjLj2EENS0_17counting_iteratorIjlEEPS9_SG_NS0_5tupleIJPjSI_NS0_16reverse_iteratorISI_EEEEENSH_IJSG_SG_SG_EEES9_SI_JZNS1_25segmented_radix_sort_implINS0_14default_configELb0EPK6__halfPSP_PKlPlN2at6native12_GLOBAL__N_18offset_tEEE10hipError_tPvRmT1_PNSt15iterator_traitsIS13_E10value_typeET2_T3_PNS14_IS19_E10value_typeET4_jRbjT5_S1F_jjP12ihipStream_tbEUljE_ZNSN_ISO_Lb0ESR_SS_SU_SV_SZ_EES10_S11_S12_S13_S17_S18_S19_S1C_S1D_jS1E_jS1F_S1F_jjS1H_bEUljE0_EEES10_S11_S12_S19_S1D_S1F_T6_T7_T9_mT8_S1H_bDpT10_ENKUlT_T0_E_clISt17integral_constantIbLb0EES1V_EEDaS1Q_S1R_EUlS1Q_E_NS1_11comp_targetILNS1_3genE10ELNS1_11target_archE1200ELNS1_3gpuE4ELNS1_3repE0EEENS1_30default_config_static_selectorELNS0_4arch9wavefront6targetE0EEEvS13_.num_agpr, 0
	.set _ZN7rocprim17ROCPRIM_400000_NS6detail17trampoline_kernelINS0_13select_configILj256ELj13ELNS0_17block_load_methodE3ELS4_3ELS4_3ELNS0_20block_scan_algorithmE0ELj4294967295EEENS1_25partition_config_selectorILNS1_17partition_subalgoE4EjNS0_10empty_typeEbEEZZNS1_14partition_implILS8_4ELb0ES6_15HIP_vector_typeIjLj2EENS0_17counting_iteratorIjlEEPS9_SG_NS0_5tupleIJPjSI_NS0_16reverse_iteratorISI_EEEEENSH_IJSG_SG_SG_EEES9_SI_JZNS1_25segmented_radix_sort_implINS0_14default_configELb0EPK6__halfPSP_PKlPlN2at6native12_GLOBAL__N_18offset_tEEE10hipError_tPvRmT1_PNSt15iterator_traitsIS13_E10value_typeET2_T3_PNS14_IS19_E10value_typeET4_jRbjT5_S1F_jjP12ihipStream_tbEUljE_ZNSN_ISO_Lb0ESR_SS_SU_SV_SZ_EES10_S11_S12_S13_S17_S18_S19_S1C_S1D_jS1E_jS1F_S1F_jjS1H_bEUljE0_EEES10_S11_S12_S19_S1D_S1F_T6_T7_T9_mT8_S1H_bDpT10_ENKUlT_T0_E_clISt17integral_constantIbLb0EES1V_EEDaS1Q_S1R_EUlS1Q_E_NS1_11comp_targetILNS1_3genE10ELNS1_11target_archE1200ELNS1_3gpuE4ELNS1_3repE0EEENS1_30default_config_static_selectorELNS0_4arch9wavefront6targetE0EEEvS13_.numbered_sgpr, 58
	.set _ZN7rocprim17ROCPRIM_400000_NS6detail17trampoline_kernelINS0_13select_configILj256ELj13ELNS0_17block_load_methodE3ELS4_3ELS4_3ELNS0_20block_scan_algorithmE0ELj4294967295EEENS1_25partition_config_selectorILNS1_17partition_subalgoE4EjNS0_10empty_typeEbEEZZNS1_14partition_implILS8_4ELb0ES6_15HIP_vector_typeIjLj2EENS0_17counting_iteratorIjlEEPS9_SG_NS0_5tupleIJPjSI_NS0_16reverse_iteratorISI_EEEEENSH_IJSG_SG_SG_EEES9_SI_JZNS1_25segmented_radix_sort_implINS0_14default_configELb0EPK6__halfPSP_PKlPlN2at6native12_GLOBAL__N_18offset_tEEE10hipError_tPvRmT1_PNSt15iterator_traitsIS13_E10value_typeET2_T3_PNS14_IS19_E10value_typeET4_jRbjT5_S1F_jjP12ihipStream_tbEUljE_ZNSN_ISO_Lb0ESR_SS_SU_SV_SZ_EES10_S11_S12_S13_S17_S18_S19_S1C_S1D_jS1E_jS1F_S1F_jjS1H_bEUljE0_EEES10_S11_S12_S19_S1D_S1F_T6_T7_T9_mT8_S1H_bDpT10_ENKUlT_T0_E_clISt17integral_constantIbLb0EES1V_EEDaS1Q_S1R_EUlS1Q_E_NS1_11comp_targetILNS1_3genE10ELNS1_11target_archE1200ELNS1_3gpuE4ELNS1_3repE0EEENS1_30default_config_static_selectorELNS0_4arch9wavefront6targetE0EEEvS13_.num_named_barrier, 0
	.set _ZN7rocprim17ROCPRIM_400000_NS6detail17trampoline_kernelINS0_13select_configILj256ELj13ELNS0_17block_load_methodE3ELS4_3ELS4_3ELNS0_20block_scan_algorithmE0ELj4294967295EEENS1_25partition_config_selectorILNS1_17partition_subalgoE4EjNS0_10empty_typeEbEEZZNS1_14partition_implILS8_4ELb0ES6_15HIP_vector_typeIjLj2EENS0_17counting_iteratorIjlEEPS9_SG_NS0_5tupleIJPjSI_NS0_16reverse_iteratorISI_EEEEENSH_IJSG_SG_SG_EEES9_SI_JZNS1_25segmented_radix_sort_implINS0_14default_configELb0EPK6__halfPSP_PKlPlN2at6native12_GLOBAL__N_18offset_tEEE10hipError_tPvRmT1_PNSt15iterator_traitsIS13_E10value_typeET2_T3_PNS14_IS19_E10value_typeET4_jRbjT5_S1F_jjP12ihipStream_tbEUljE_ZNSN_ISO_Lb0ESR_SS_SU_SV_SZ_EES10_S11_S12_S13_S17_S18_S19_S1C_S1D_jS1E_jS1F_S1F_jjS1H_bEUljE0_EEES10_S11_S12_S19_S1D_S1F_T6_T7_T9_mT8_S1H_bDpT10_ENKUlT_T0_E_clISt17integral_constantIbLb0EES1V_EEDaS1Q_S1R_EUlS1Q_E_NS1_11comp_targetILNS1_3genE10ELNS1_11target_archE1200ELNS1_3gpuE4ELNS1_3repE0EEENS1_30default_config_static_selectorELNS0_4arch9wavefront6targetE0EEEvS13_.private_seg_size, 0
	.set _ZN7rocprim17ROCPRIM_400000_NS6detail17trampoline_kernelINS0_13select_configILj256ELj13ELNS0_17block_load_methodE3ELS4_3ELS4_3ELNS0_20block_scan_algorithmE0ELj4294967295EEENS1_25partition_config_selectorILNS1_17partition_subalgoE4EjNS0_10empty_typeEbEEZZNS1_14partition_implILS8_4ELb0ES6_15HIP_vector_typeIjLj2EENS0_17counting_iteratorIjlEEPS9_SG_NS0_5tupleIJPjSI_NS0_16reverse_iteratorISI_EEEEENSH_IJSG_SG_SG_EEES9_SI_JZNS1_25segmented_radix_sort_implINS0_14default_configELb0EPK6__halfPSP_PKlPlN2at6native12_GLOBAL__N_18offset_tEEE10hipError_tPvRmT1_PNSt15iterator_traitsIS13_E10value_typeET2_T3_PNS14_IS19_E10value_typeET4_jRbjT5_S1F_jjP12ihipStream_tbEUljE_ZNSN_ISO_Lb0ESR_SS_SU_SV_SZ_EES10_S11_S12_S13_S17_S18_S19_S1C_S1D_jS1E_jS1F_S1F_jjS1H_bEUljE0_EEES10_S11_S12_S19_S1D_S1F_T6_T7_T9_mT8_S1H_bDpT10_ENKUlT_T0_E_clISt17integral_constantIbLb0EES1V_EEDaS1Q_S1R_EUlS1Q_E_NS1_11comp_targetILNS1_3genE10ELNS1_11target_archE1200ELNS1_3gpuE4ELNS1_3repE0EEENS1_30default_config_static_selectorELNS0_4arch9wavefront6targetE0EEEvS13_.uses_vcc, 1
	.set _ZN7rocprim17ROCPRIM_400000_NS6detail17trampoline_kernelINS0_13select_configILj256ELj13ELNS0_17block_load_methodE3ELS4_3ELS4_3ELNS0_20block_scan_algorithmE0ELj4294967295EEENS1_25partition_config_selectorILNS1_17partition_subalgoE4EjNS0_10empty_typeEbEEZZNS1_14partition_implILS8_4ELb0ES6_15HIP_vector_typeIjLj2EENS0_17counting_iteratorIjlEEPS9_SG_NS0_5tupleIJPjSI_NS0_16reverse_iteratorISI_EEEEENSH_IJSG_SG_SG_EEES9_SI_JZNS1_25segmented_radix_sort_implINS0_14default_configELb0EPK6__halfPSP_PKlPlN2at6native12_GLOBAL__N_18offset_tEEE10hipError_tPvRmT1_PNSt15iterator_traitsIS13_E10value_typeET2_T3_PNS14_IS19_E10value_typeET4_jRbjT5_S1F_jjP12ihipStream_tbEUljE_ZNSN_ISO_Lb0ESR_SS_SU_SV_SZ_EES10_S11_S12_S13_S17_S18_S19_S1C_S1D_jS1E_jS1F_S1F_jjS1H_bEUljE0_EEES10_S11_S12_S19_S1D_S1F_T6_T7_T9_mT8_S1H_bDpT10_ENKUlT_T0_E_clISt17integral_constantIbLb0EES1V_EEDaS1Q_S1R_EUlS1Q_E_NS1_11comp_targetILNS1_3genE10ELNS1_11target_archE1200ELNS1_3gpuE4ELNS1_3repE0EEENS1_30default_config_static_selectorELNS0_4arch9wavefront6targetE0EEEvS13_.uses_flat_scratch, 0
	.set _ZN7rocprim17ROCPRIM_400000_NS6detail17trampoline_kernelINS0_13select_configILj256ELj13ELNS0_17block_load_methodE3ELS4_3ELS4_3ELNS0_20block_scan_algorithmE0ELj4294967295EEENS1_25partition_config_selectorILNS1_17partition_subalgoE4EjNS0_10empty_typeEbEEZZNS1_14partition_implILS8_4ELb0ES6_15HIP_vector_typeIjLj2EENS0_17counting_iteratorIjlEEPS9_SG_NS0_5tupleIJPjSI_NS0_16reverse_iteratorISI_EEEEENSH_IJSG_SG_SG_EEES9_SI_JZNS1_25segmented_radix_sort_implINS0_14default_configELb0EPK6__halfPSP_PKlPlN2at6native12_GLOBAL__N_18offset_tEEE10hipError_tPvRmT1_PNSt15iterator_traitsIS13_E10value_typeET2_T3_PNS14_IS19_E10value_typeET4_jRbjT5_S1F_jjP12ihipStream_tbEUljE_ZNSN_ISO_Lb0ESR_SS_SU_SV_SZ_EES10_S11_S12_S13_S17_S18_S19_S1C_S1D_jS1E_jS1F_S1F_jjS1H_bEUljE0_EEES10_S11_S12_S19_S1D_S1F_T6_T7_T9_mT8_S1H_bDpT10_ENKUlT_T0_E_clISt17integral_constantIbLb0EES1V_EEDaS1Q_S1R_EUlS1Q_E_NS1_11comp_targetILNS1_3genE10ELNS1_11target_archE1200ELNS1_3gpuE4ELNS1_3repE0EEENS1_30default_config_static_selectorELNS0_4arch9wavefront6targetE0EEEvS13_.has_dyn_sized_stack, 0
	.set _ZN7rocprim17ROCPRIM_400000_NS6detail17trampoline_kernelINS0_13select_configILj256ELj13ELNS0_17block_load_methodE3ELS4_3ELS4_3ELNS0_20block_scan_algorithmE0ELj4294967295EEENS1_25partition_config_selectorILNS1_17partition_subalgoE4EjNS0_10empty_typeEbEEZZNS1_14partition_implILS8_4ELb0ES6_15HIP_vector_typeIjLj2EENS0_17counting_iteratorIjlEEPS9_SG_NS0_5tupleIJPjSI_NS0_16reverse_iteratorISI_EEEEENSH_IJSG_SG_SG_EEES9_SI_JZNS1_25segmented_radix_sort_implINS0_14default_configELb0EPK6__halfPSP_PKlPlN2at6native12_GLOBAL__N_18offset_tEEE10hipError_tPvRmT1_PNSt15iterator_traitsIS13_E10value_typeET2_T3_PNS14_IS19_E10value_typeET4_jRbjT5_S1F_jjP12ihipStream_tbEUljE_ZNSN_ISO_Lb0ESR_SS_SU_SV_SZ_EES10_S11_S12_S13_S17_S18_S19_S1C_S1D_jS1E_jS1F_S1F_jjS1H_bEUljE0_EEES10_S11_S12_S19_S1D_S1F_T6_T7_T9_mT8_S1H_bDpT10_ENKUlT_T0_E_clISt17integral_constantIbLb0EES1V_EEDaS1Q_S1R_EUlS1Q_E_NS1_11comp_targetILNS1_3genE10ELNS1_11target_archE1200ELNS1_3gpuE4ELNS1_3repE0EEENS1_30default_config_static_selectorELNS0_4arch9wavefront6targetE0EEEvS13_.has_recursion, 0
	.set _ZN7rocprim17ROCPRIM_400000_NS6detail17trampoline_kernelINS0_13select_configILj256ELj13ELNS0_17block_load_methodE3ELS4_3ELS4_3ELNS0_20block_scan_algorithmE0ELj4294967295EEENS1_25partition_config_selectorILNS1_17partition_subalgoE4EjNS0_10empty_typeEbEEZZNS1_14partition_implILS8_4ELb0ES6_15HIP_vector_typeIjLj2EENS0_17counting_iteratorIjlEEPS9_SG_NS0_5tupleIJPjSI_NS0_16reverse_iteratorISI_EEEEENSH_IJSG_SG_SG_EEES9_SI_JZNS1_25segmented_radix_sort_implINS0_14default_configELb0EPK6__halfPSP_PKlPlN2at6native12_GLOBAL__N_18offset_tEEE10hipError_tPvRmT1_PNSt15iterator_traitsIS13_E10value_typeET2_T3_PNS14_IS19_E10value_typeET4_jRbjT5_S1F_jjP12ihipStream_tbEUljE_ZNSN_ISO_Lb0ESR_SS_SU_SV_SZ_EES10_S11_S12_S13_S17_S18_S19_S1C_S1D_jS1E_jS1F_S1F_jjS1H_bEUljE0_EEES10_S11_S12_S19_S1D_S1F_T6_T7_T9_mT8_S1H_bDpT10_ENKUlT_T0_E_clISt17integral_constantIbLb0EES1V_EEDaS1Q_S1R_EUlS1Q_E_NS1_11comp_targetILNS1_3genE10ELNS1_11target_archE1200ELNS1_3gpuE4ELNS1_3repE0EEENS1_30default_config_static_selectorELNS0_4arch9wavefront6targetE0EEEvS13_.has_indirect_call, 0
	.section	.AMDGPU.csdata,"",@progbits
; Kernel info:
; codeLenInByte = 18900
; TotalNumSgprs: 60
; NumVgprs: 93
; ScratchSize: 0
; MemoryBound: 0
; FloatMode: 240
; IeeeMode: 1
; LDSByteSize: 13328 bytes/workgroup (compile time only)
; SGPRBlocks: 0
; VGPRBlocks: 11
; NumSGPRsForWavesPerEU: 60
; NumVGPRsForWavesPerEU: 93
; Occupancy: 16
; WaveLimiterHint : 1
; COMPUTE_PGM_RSRC2:SCRATCH_EN: 0
; COMPUTE_PGM_RSRC2:USER_SGPR: 2
; COMPUTE_PGM_RSRC2:TRAP_HANDLER: 0
; COMPUTE_PGM_RSRC2:TGID_X_EN: 1
; COMPUTE_PGM_RSRC2:TGID_Y_EN: 0
; COMPUTE_PGM_RSRC2:TGID_Z_EN: 0
; COMPUTE_PGM_RSRC2:TIDIG_COMP_CNT: 0
	.section	.text._ZN7rocprim17ROCPRIM_400000_NS6detail17trampoline_kernelINS0_13select_configILj256ELj13ELNS0_17block_load_methodE3ELS4_3ELS4_3ELNS0_20block_scan_algorithmE0ELj4294967295EEENS1_25partition_config_selectorILNS1_17partition_subalgoE4EjNS0_10empty_typeEbEEZZNS1_14partition_implILS8_4ELb0ES6_15HIP_vector_typeIjLj2EENS0_17counting_iteratorIjlEEPS9_SG_NS0_5tupleIJPjSI_NS0_16reverse_iteratorISI_EEEEENSH_IJSG_SG_SG_EEES9_SI_JZNS1_25segmented_radix_sort_implINS0_14default_configELb0EPK6__halfPSP_PKlPlN2at6native12_GLOBAL__N_18offset_tEEE10hipError_tPvRmT1_PNSt15iterator_traitsIS13_E10value_typeET2_T3_PNS14_IS19_E10value_typeET4_jRbjT5_S1F_jjP12ihipStream_tbEUljE_ZNSN_ISO_Lb0ESR_SS_SU_SV_SZ_EES10_S11_S12_S13_S17_S18_S19_S1C_S1D_jS1E_jS1F_S1F_jjS1H_bEUljE0_EEES10_S11_S12_S19_S1D_S1F_T6_T7_T9_mT8_S1H_bDpT10_ENKUlT_T0_E_clISt17integral_constantIbLb0EES1V_EEDaS1Q_S1R_EUlS1Q_E_NS1_11comp_targetILNS1_3genE9ELNS1_11target_archE1100ELNS1_3gpuE3ELNS1_3repE0EEENS1_30default_config_static_selectorELNS0_4arch9wavefront6targetE0EEEvS13_,"axG",@progbits,_ZN7rocprim17ROCPRIM_400000_NS6detail17trampoline_kernelINS0_13select_configILj256ELj13ELNS0_17block_load_methodE3ELS4_3ELS4_3ELNS0_20block_scan_algorithmE0ELj4294967295EEENS1_25partition_config_selectorILNS1_17partition_subalgoE4EjNS0_10empty_typeEbEEZZNS1_14partition_implILS8_4ELb0ES6_15HIP_vector_typeIjLj2EENS0_17counting_iteratorIjlEEPS9_SG_NS0_5tupleIJPjSI_NS0_16reverse_iteratorISI_EEEEENSH_IJSG_SG_SG_EEES9_SI_JZNS1_25segmented_radix_sort_implINS0_14default_configELb0EPK6__halfPSP_PKlPlN2at6native12_GLOBAL__N_18offset_tEEE10hipError_tPvRmT1_PNSt15iterator_traitsIS13_E10value_typeET2_T3_PNS14_IS19_E10value_typeET4_jRbjT5_S1F_jjP12ihipStream_tbEUljE_ZNSN_ISO_Lb0ESR_SS_SU_SV_SZ_EES10_S11_S12_S13_S17_S18_S19_S1C_S1D_jS1E_jS1F_S1F_jjS1H_bEUljE0_EEES10_S11_S12_S19_S1D_S1F_T6_T7_T9_mT8_S1H_bDpT10_ENKUlT_T0_E_clISt17integral_constantIbLb0EES1V_EEDaS1Q_S1R_EUlS1Q_E_NS1_11comp_targetILNS1_3genE9ELNS1_11target_archE1100ELNS1_3gpuE3ELNS1_3repE0EEENS1_30default_config_static_selectorELNS0_4arch9wavefront6targetE0EEEvS13_,comdat
	.globl	_ZN7rocprim17ROCPRIM_400000_NS6detail17trampoline_kernelINS0_13select_configILj256ELj13ELNS0_17block_load_methodE3ELS4_3ELS4_3ELNS0_20block_scan_algorithmE0ELj4294967295EEENS1_25partition_config_selectorILNS1_17partition_subalgoE4EjNS0_10empty_typeEbEEZZNS1_14partition_implILS8_4ELb0ES6_15HIP_vector_typeIjLj2EENS0_17counting_iteratorIjlEEPS9_SG_NS0_5tupleIJPjSI_NS0_16reverse_iteratorISI_EEEEENSH_IJSG_SG_SG_EEES9_SI_JZNS1_25segmented_radix_sort_implINS0_14default_configELb0EPK6__halfPSP_PKlPlN2at6native12_GLOBAL__N_18offset_tEEE10hipError_tPvRmT1_PNSt15iterator_traitsIS13_E10value_typeET2_T3_PNS14_IS19_E10value_typeET4_jRbjT5_S1F_jjP12ihipStream_tbEUljE_ZNSN_ISO_Lb0ESR_SS_SU_SV_SZ_EES10_S11_S12_S13_S17_S18_S19_S1C_S1D_jS1E_jS1F_S1F_jjS1H_bEUljE0_EEES10_S11_S12_S19_S1D_S1F_T6_T7_T9_mT8_S1H_bDpT10_ENKUlT_T0_E_clISt17integral_constantIbLb0EES1V_EEDaS1Q_S1R_EUlS1Q_E_NS1_11comp_targetILNS1_3genE9ELNS1_11target_archE1100ELNS1_3gpuE3ELNS1_3repE0EEENS1_30default_config_static_selectorELNS0_4arch9wavefront6targetE0EEEvS13_ ; -- Begin function _ZN7rocprim17ROCPRIM_400000_NS6detail17trampoline_kernelINS0_13select_configILj256ELj13ELNS0_17block_load_methodE3ELS4_3ELS4_3ELNS0_20block_scan_algorithmE0ELj4294967295EEENS1_25partition_config_selectorILNS1_17partition_subalgoE4EjNS0_10empty_typeEbEEZZNS1_14partition_implILS8_4ELb0ES6_15HIP_vector_typeIjLj2EENS0_17counting_iteratorIjlEEPS9_SG_NS0_5tupleIJPjSI_NS0_16reverse_iteratorISI_EEEEENSH_IJSG_SG_SG_EEES9_SI_JZNS1_25segmented_radix_sort_implINS0_14default_configELb0EPK6__halfPSP_PKlPlN2at6native12_GLOBAL__N_18offset_tEEE10hipError_tPvRmT1_PNSt15iterator_traitsIS13_E10value_typeET2_T3_PNS14_IS19_E10value_typeET4_jRbjT5_S1F_jjP12ihipStream_tbEUljE_ZNSN_ISO_Lb0ESR_SS_SU_SV_SZ_EES10_S11_S12_S13_S17_S18_S19_S1C_S1D_jS1E_jS1F_S1F_jjS1H_bEUljE0_EEES10_S11_S12_S19_S1D_S1F_T6_T7_T9_mT8_S1H_bDpT10_ENKUlT_T0_E_clISt17integral_constantIbLb0EES1V_EEDaS1Q_S1R_EUlS1Q_E_NS1_11comp_targetILNS1_3genE9ELNS1_11target_archE1100ELNS1_3gpuE3ELNS1_3repE0EEENS1_30default_config_static_selectorELNS0_4arch9wavefront6targetE0EEEvS13_
	.p2align	8
	.type	_ZN7rocprim17ROCPRIM_400000_NS6detail17trampoline_kernelINS0_13select_configILj256ELj13ELNS0_17block_load_methodE3ELS4_3ELS4_3ELNS0_20block_scan_algorithmE0ELj4294967295EEENS1_25partition_config_selectorILNS1_17partition_subalgoE4EjNS0_10empty_typeEbEEZZNS1_14partition_implILS8_4ELb0ES6_15HIP_vector_typeIjLj2EENS0_17counting_iteratorIjlEEPS9_SG_NS0_5tupleIJPjSI_NS0_16reverse_iteratorISI_EEEEENSH_IJSG_SG_SG_EEES9_SI_JZNS1_25segmented_radix_sort_implINS0_14default_configELb0EPK6__halfPSP_PKlPlN2at6native12_GLOBAL__N_18offset_tEEE10hipError_tPvRmT1_PNSt15iterator_traitsIS13_E10value_typeET2_T3_PNS14_IS19_E10value_typeET4_jRbjT5_S1F_jjP12ihipStream_tbEUljE_ZNSN_ISO_Lb0ESR_SS_SU_SV_SZ_EES10_S11_S12_S13_S17_S18_S19_S1C_S1D_jS1E_jS1F_S1F_jjS1H_bEUljE0_EEES10_S11_S12_S19_S1D_S1F_T6_T7_T9_mT8_S1H_bDpT10_ENKUlT_T0_E_clISt17integral_constantIbLb0EES1V_EEDaS1Q_S1R_EUlS1Q_E_NS1_11comp_targetILNS1_3genE9ELNS1_11target_archE1100ELNS1_3gpuE3ELNS1_3repE0EEENS1_30default_config_static_selectorELNS0_4arch9wavefront6targetE0EEEvS13_,@function
_ZN7rocprim17ROCPRIM_400000_NS6detail17trampoline_kernelINS0_13select_configILj256ELj13ELNS0_17block_load_methodE3ELS4_3ELS4_3ELNS0_20block_scan_algorithmE0ELj4294967295EEENS1_25partition_config_selectorILNS1_17partition_subalgoE4EjNS0_10empty_typeEbEEZZNS1_14partition_implILS8_4ELb0ES6_15HIP_vector_typeIjLj2EENS0_17counting_iteratorIjlEEPS9_SG_NS0_5tupleIJPjSI_NS0_16reverse_iteratorISI_EEEEENSH_IJSG_SG_SG_EEES9_SI_JZNS1_25segmented_radix_sort_implINS0_14default_configELb0EPK6__halfPSP_PKlPlN2at6native12_GLOBAL__N_18offset_tEEE10hipError_tPvRmT1_PNSt15iterator_traitsIS13_E10value_typeET2_T3_PNS14_IS19_E10value_typeET4_jRbjT5_S1F_jjP12ihipStream_tbEUljE_ZNSN_ISO_Lb0ESR_SS_SU_SV_SZ_EES10_S11_S12_S13_S17_S18_S19_S1C_S1D_jS1E_jS1F_S1F_jjS1H_bEUljE0_EEES10_S11_S12_S19_S1D_S1F_T6_T7_T9_mT8_S1H_bDpT10_ENKUlT_T0_E_clISt17integral_constantIbLb0EES1V_EEDaS1Q_S1R_EUlS1Q_E_NS1_11comp_targetILNS1_3genE9ELNS1_11target_archE1100ELNS1_3gpuE3ELNS1_3repE0EEENS1_30default_config_static_selectorELNS0_4arch9wavefront6targetE0EEEvS13_: ; @_ZN7rocprim17ROCPRIM_400000_NS6detail17trampoline_kernelINS0_13select_configILj256ELj13ELNS0_17block_load_methodE3ELS4_3ELS4_3ELNS0_20block_scan_algorithmE0ELj4294967295EEENS1_25partition_config_selectorILNS1_17partition_subalgoE4EjNS0_10empty_typeEbEEZZNS1_14partition_implILS8_4ELb0ES6_15HIP_vector_typeIjLj2EENS0_17counting_iteratorIjlEEPS9_SG_NS0_5tupleIJPjSI_NS0_16reverse_iteratorISI_EEEEENSH_IJSG_SG_SG_EEES9_SI_JZNS1_25segmented_radix_sort_implINS0_14default_configELb0EPK6__halfPSP_PKlPlN2at6native12_GLOBAL__N_18offset_tEEE10hipError_tPvRmT1_PNSt15iterator_traitsIS13_E10value_typeET2_T3_PNS14_IS19_E10value_typeET4_jRbjT5_S1F_jjP12ihipStream_tbEUljE_ZNSN_ISO_Lb0ESR_SS_SU_SV_SZ_EES10_S11_S12_S13_S17_S18_S19_S1C_S1D_jS1E_jS1F_S1F_jjS1H_bEUljE0_EEES10_S11_S12_S19_S1D_S1F_T6_T7_T9_mT8_S1H_bDpT10_ENKUlT_T0_E_clISt17integral_constantIbLb0EES1V_EEDaS1Q_S1R_EUlS1Q_E_NS1_11comp_targetILNS1_3genE9ELNS1_11target_archE1100ELNS1_3gpuE3ELNS1_3repE0EEENS1_30default_config_static_selectorELNS0_4arch9wavefront6targetE0EEEvS13_
; %bb.0:
	.section	.rodata,"a",@progbits
	.p2align	6, 0x0
	.amdhsa_kernel _ZN7rocprim17ROCPRIM_400000_NS6detail17trampoline_kernelINS0_13select_configILj256ELj13ELNS0_17block_load_methodE3ELS4_3ELS4_3ELNS0_20block_scan_algorithmE0ELj4294967295EEENS1_25partition_config_selectorILNS1_17partition_subalgoE4EjNS0_10empty_typeEbEEZZNS1_14partition_implILS8_4ELb0ES6_15HIP_vector_typeIjLj2EENS0_17counting_iteratorIjlEEPS9_SG_NS0_5tupleIJPjSI_NS0_16reverse_iteratorISI_EEEEENSH_IJSG_SG_SG_EEES9_SI_JZNS1_25segmented_radix_sort_implINS0_14default_configELb0EPK6__halfPSP_PKlPlN2at6native12_GLOBAL__N_18offset_tEEE10hipError_tPvRmT1_PNSt15iterator_traitsIS13_E10value_typeET2_T3_PNS14_IS19_E10value_typeET4_jRbjT5_S1F_jjP12ihipStream_tbEUljE_ZNSN_ISO_Lb0ESR_SS_SU_SV_SZ_EES10_S11_S12_S13_S17_S18_S19_S1C_S1D_jS1E_jS1F_S1F_jjS1H_bEUljE0_EEES10_S11_S12_S19_S1D_S1F_T6_T7_T9_mT8_S1H_bDpT10_ENKUlT_T0_E_clISt17integral_constantIbLb0EES1V_EEDaS1Q_S1R_EUlS1Q_E_NS1_11comp_targetILNS1_3genE9ELNS1_11target_archE1100ELNS1_3gpuE3ELNS1_3repE0EEENS1_30default_config_static_selectorELNS0_4arch9wavefront6targetE0EEEvS13_
		.amdhsa_group_segment_fixed_size 0
		.amdhsa_private_segment_fixed_size 0
		.amdhsa_kernarg_size 176
		.amdhsa_user_sgpr_count 2
		.amdhsa_user_sgpr_dispatch_ptr 0
		.amdhsa_user_sgpr_queue_ptr 0
		.amdhsa_user_sgpr_kernarg_segment_ptr 1
		.amdhsa_user_sgpr_dispatch_id 0
		.amdhsa_user_sgpr_private_segment_size 0
		.amdhsa_wavefront_size32 1
		.amdhsa_uses_dynamic_stack 0
		.amdhsa_enable_private_segment 0
		.amdhsa_system_sgpr_workgroup_id_x 1
		.amdhsa_system_sgpr_workgroup_id_y 0
		.amdhsa_system_sgpr_workgroup_id_z 0
		.amdhsa_system_sgpr_workgroup_info 0
		.amdhsa_system_vgpr_workitem_id 0
		.amdhsa_next_free_vgpr 1
		.amdhsa_next_free_sgpr 1
		.amdhsa_reserve_vcc 0
		.amdhsa_float_round_mode_32 0
		.amdhsa_float_round_mode_16_64 0
		.amdhsa_float_denorm_mode_32 3
		.amdhsa_float_denorm_mode_16_64 3
		.amdhsa_fp16_overflow 0
		.amdhsa_workgroup_processor_mode 1
		.amdhsa_memory_ordered 1
		.amdhsa_forward_progress 1
		.amdhsa_inst_pref_size 0
		.amdhsa_round_robin_scheduling 0
		.amdhsa_exception_fp_ieee_invalid_op 0
		.amdhsa_exception_fp_denorm_src 0
		.amdhsa_exception_fp_ieee_div_zero 0
		.amdhsa_exception_fp_ieee_overflow 0
		.amdhsa_exception_fp_ieee_underflow 0
		.amdhsa_exception_fp_ieee_inexact 0
		.amdhsa_exception_int_div_zero 0
	.end_amdhsa_kernel
	.section	.text._ZN7rocprim17ROCPRIM_400000_NS6detail17trampoline_kernelINS0_13select_configILj256ELj13ELNS0_17block_load_methodE3ELS4_3ELS4_3ELNS0_20block_scan_algorithmE0ELj4294967295EEENS1_25partition_config_selectorILNS1_17partition_subalgoE4EjNS0_10empty_typeEbEEZZNS1_14partition_implILS8_4ELb0ES6_15HIP_vector_typeIjLj2EENS0_17counting_iteratorIjlEEPS9_SG_NS0_5tupleIJPjSI_NS0_16reverse_iteratorISI_EEEEENSH_IJSG_SG_SG_EEES9_SI_JZNS1_25segmented_radix_sort_implINS0_14default_configELb0EPK6__halfPSP_PKlPlN2at6native12_GLOBAL__N_18offset_tEEE10hipError_tPvRmT1_PNSt15iterator_traitsIS13_E10value_typeET2_T3_PNS14_IS19_E10value_typeET4_jRbjT5_S1F_jjP12ihipStream_tbEUljE_ZNSN_ISO_Lb0ESR_SS_SU_SV_SZ_EES10_S11_S12_S13_S17_S18_S19_S1C_S1D_jS1E_jS1F_S1F_jjS1H_bEUljE0_EEES10_S11_S12_S19_S1D_S1F_T6_T7_T9_mT8_S1H_bDpT10_ENKUlT_T0_E_clISt17integral_constantIbLb0EES1V_EEDaS1Q_S1R_EUlS1Q_E_NS1_11comp_targetILNS1_3genE9ELNS1_11target_archE1100ELNS1_3gpuE3ELNS1_3repE0EEENS1_30default_config_static_selectorELNS0_4arch9wavefront6targetE0EEEvS13_,"axG",@progbits,_ZN7rocprim17ROCPRIM_400000_NS6detail17trampoline_kernelINS0_13select_configILj256ELj13ELNS0_17block_load_methodE3ELS4_3ELS4_3ELNS0_20block_scan_algorithmE0ELj4294967295EEENS1_25partition_config_selectorILNS1_17partition_subalgoE4EjNS0_10empty_typeEbEEZZNS1_14partition_implILS8_4ELb0ES6_15HIP_vector_typeIjLj2EENS0_17counting_iteratorIjlEEPS9_SG_NS0_5tupleIJPjSI_NS0_16reverse_iteratorISI_EEEEENSH_IJSG_SG_SG_EEES9_SI_JZNS1_25segmented_radix_sort_implINS0_14default_configELb0EPK6__halfPSP_PKlPlN2at6native12_GLOBAL__N_18offset_tEEE10hipError_tPvRmT1_PNSt15iterator_traitsIS13_E10value_typeET2_T3_PNS14_IS19_E10value_typeET4_jRbjT5_S1F_jjP12ihipStream_tbEUljE_ZNSN_ISO_Lb0ESR_SS_SU_SV_SZ_EES10_S11_S12_S13_S17_S18_S19_S1C_S1D_jS1E_jS1F_S1F_jjS1H_bEUljE0_EEES10_S11_S12_S19_S1D_S1F_T6_T7_T9_mT8_S1H_bDpT10_ENKUlT_T0_E_clISt17integral_constantIbLb0EES1V_EEDaS1Q_S1R_EUlS1Q_E_NS1_11comp_targetILNS1_3genE9ELNS1_11target_archE1100ELNS1_3gpuE3ELNS1_3repE0EEENS1_30default_config_static_selectorELNS0_4arch9wavefront6targetE0EEEvS13_,comdat
.Lfunc_end1784:
	.size	_ZN7rocprim17ROCPRIM_400000_NS6detail17trampoline_kernelINS0_13select_configILj256ELj13ELNS0_17block_load_methodE3ELS4_3ELS4_3ELNS0_20block_scan_algorithmE0ELj4294967295EEENS1_25partition_config_selectorILNS1_17partition_subalgoE4EjNS0_10empty_typeEbEEZZNS1_14partition_implILS8_4ELb0ES6_15HIP_vector_typeIjLj2EENS0_17counting_iteratorIjlEEPS9_SG_NS0_5tupleIJPjSI_NS0_16reverse_iteratorISI_EEEEENSH_IJSG_SG_SG_EEES9_SI_JZNS1_25segmented_radix_sort_implINS0_14default_configELb0EPK6__halfPSP_PKlPlN2at6native12_GLOBAL__N_18offset_tEEE10hipError_tPvRmT1_PNSt15iterator_traitsIS13_E10value_typeET2_T3_PNS14_IS19_E10value_typeET4_jRbjT5_S1F_jjP12ihipStream_tbEUljE_ZNSN_ISO_Lb0ESR_SS_SU_SV_SZ_EES10_S11_S12_S13_S17_S18_S19_S1C_S1D_jS1E_jS1F_S1F_jjS1H_bEUljE0_EEES10_S11_S12_S19_S1D_S1F_T6_T7_T9_mT8_S1H_bDpT10_ENKUlT_T0_E_clISt17integral_constantIbLb0EES1V_EEDaS1Q_S1R_EUlS1Q_E_NS1_11comp_targetILNS1_3genE9ELNS1_11target_archE1100ELNS1_3gpuE3ELNS1_3repE0EEENS1_30default_config_static_selectorELNS0_4arch9wavefront6targetE0EEEvS13_, .Lfunc_end1784-_ZN7rocprim17ROCPRIM_400000_NS6detail17trampoline_kernelINS0_13select_configILj256ELj13ELNS0_17block_load_methodE3ELS4_3ELS4_3ELNS0_20block_scan_algorithmE0ELj4294967295EEENS1_25partition_config_selectorILNS1_17partition_subalgoE4EjNS0_10empty_typeEbEEZZNS1_14partition_implILS8_4ELb0ES6_15HIP_vector_typeIjLj2EENS0_17counting_iteratorIjlEEPS9_SG_NS0_5tupleIJPjSI_NS0_16reverse_iteratorISI_EEEEENSH_IJSG_SG_SG_EEES9_SI_JZNS1_25segmented_radix_sort_implINS0_14default_configELb0EPK6__halfPSP_PKlPlN2at6native12_GLOBAL__N_18offset_tEEE10hipError_tPvRmT1_PNSt15iterator_traitsIS13_E10value_typeET2_T3_PNS14_IS19_E10value_typeET4_jRbjT5_S1F_jjP12ihipStream_tbEUljE_ZNSN_ISO_Lb0ESR_SS_SU_SV_SZ_EES10_S11_S12_S13_S17_S18_S19_S1C_S1D_jS1E_jS1F_S1F_jjS1H_bEUljE0_EEES10_S11_S12_S19_S1D_S1F_T6_T7_T9_mT8_S1H_bDpT10_ENKUlT_T0_E_clISt17integral_constantIbLb0EES1V_EEDaS1Q_S1R_EUlS1Q_E_NS1_11comp_targetILNS1_3genE9ELNS1_11target_archE1100ELNS1_3gpuE3ELNS1_3repE0EEENS1_30default_config_static_selectorELNS0_4arch9wavefront6targetE0EEEvS13_
                                        ; -- End function
	.set _ZN7rocprim17ROCPRIM_400000_NS6detail17trampoline_kernelINS0_13select_configILj256ELj13ELNS0_17block_load_methodE3ELS4_3ELS4_3ELNS0_20block_scan_algorithmE0ELj4294967295EEENS1_25partition_config_selectorILNS1_17partition_subalgoE4EjNS0_10empty_typeEbEEZZNS1_14partition_implILS8_4ELb0ES6_15HIP_vector_typeIjLj2EENS0_17counting_iteratorIjlEEPS9_SG_NS0_5tupleIJPjSI_NS0_16reverse_iteratorISI_EEEEENSH_IJSG_SG_SG_EEES9_SI_JZNS1_25segmented_radix_sort_implINS0_14default_configELb0EPK6__halfPSP_PKlPlN2at6native12_GLOBAL__N_18offset_tEEE10hipError_tPvRmT1_PNSt15iterator_traitsIS13_E10value_typeET2_T3_PNS14_IS19_E10value_typeET4_jRbjT5_S1F_jjP12ihipStream_tbEUljE_ZNSN_ISO_Lb0ESR_SS_SU_SV_SZ_EES10_S11_S12_S13_S17_S18_S19_S1C_S1D_jS1E_jS1F_S1F_jjS1H_bEUljE0_EEES10_S11_S12_S19_S1D_S1F_T6_T7_T9_mT8_S1H_bDpT10_ENKUlT_T0_E_clISt17integral_constantIbLb0EES1V_EEDaS1Q_S1R_EUlS1Q_E_NS1_11comp_targetILNS1_3genE9ELNS1_11target_archE1100ELNS1_3gpuE3ELNS1_3repE0EEENS1_30default_config_static_selectorELNS0_4arch9wavefront6targetE0EEEvS13_.num_vgpr, 0
	.set _ZN7rocprim17ROCPRIM_400000_NS6detail17trampoline_kernelINS0_13select_configILj256ELj13ELNS0_17block_load_methodE3ELS4_3ELS4_3ELNS0_20block_scan_algorithmE0ELj4294967295EEENS1_25partition_config_selectorILNS1_17partition_subalgoE4EjNS0_10empty_typeEbEEZZNS1_14partition_implILS8_4ELb0ES6_15HIP_vector_typeIjLj2EENS0_17counting_iteratorIjlEEPS9_SG_NS0_5tupleIJPjSI_NS0_16reverse_iteratorISI_EEEEENSH_IJSG_SG_SG_EEES9_SI_JZNS1_25segmented_radix_sort_implINS0_14default_configELb0EPK6__halfPSP_PKlPlN2at6native12_GLOBAL__N_18offset_tEEE10hipError_tPvRmT1_PNSt15iterator_traitsIS13_E10value_typeET2_T3_PNS14_IS19_E10value_typeET4_jRbjT5_S1F_jjP12ihipStream_tbEUljE_ZNSN_ISO_Lb0ESR_SS_SU_SV_SZ_EES10_S11_S12_S13_S17_S18_S19_S1C_S1D_jS1E_jS1F_S1F_jjS1H_bEUljE0_EEES10_S11_S12_S19_S1D_S1F_T6_T7_T9_mT8_S1H_bDpT10_ENKUlT_T0_E_clISt17integral_constantIbLb0EES1V_EEDaS1Q_S1R_EUlS1Q_E_NS1_11comp_targetILNS1_3genE9ELNS1_11target_archE1100ELNS1_3gpuE3ELNS1_3repE0EEENS1_30default_config_static_selectorELNS0_4arch9wavefront6targetE0EEEvS13_.num_agpr, 0
	.set _ZN7rocprim17ROCPRIM_400000_NS6detail17trampoline_kernelINS0_13select_configILj256ELj13ELNS0_17block_load_methodE3ELS4_3ELS4_3ELNS0_20block_scan_algorithmE0ELj4294967295EEENS1_25partition_config_selectorILNS1_17partition_subalgoE4EjNS0_10empty_typeEbEEZZNS1_14partition_implILS8_4ELb0ES6_15HIP_vector_typeIjLj2EENS0_17counting_iteratorIjlEEPS9_SG_NS0_5tupleIJPjSI_NS0_16reverse_iteratorISI_EEEEENSH_IJSG_SG_SG_EEES9_SI_JZNS1_25segmented_radix_sort_implINS0_14default_configELb0EPK6__halfPSP_PKlPlN2at6native12_GLOBAL__N_18offset_tEEE10hipError_tPvRmT1_PNSt15iterator_traitsIS13_E10value_typeET2_T3_PNS14_IS19_E10value_typeET4_jRbjT5_S1F_jjP12ihipStream_tbEUljE_ZNSN_ISO_Lb0ESR_SS_SU_SV_SZ_EES10_S11_S12_S13_S17_S18_S19_S1C_S1D_jS1E_jS1F_S1F_jjS1H_bEUljE0_EEES10_S11_S12_S19_S1D_S1F_T6_T7_T9_mT8_S1H_bDpT10_ENKUlT_T0_E_clISt17integral_constantIbLb0EES1V_EEDaS1Q_S1R_EUlS1Q_E_NS1_11comp_targetILNS1_3genE9ELNS1_11target_archE1100ELNS1_3gpuE3ELNS1_3repE0EEENS1_30default_config_static_selectorELNS0_4arch9wavefront6targetE0EEEvS13_.numbered_sgpr, 0
	.set _ZN7rocprim17ROCPRIM_400000_NS6detail17trampoline_kernelINS0_13select_configILj256ELj13ELNS0_17block_load_methodE3ELS4_3ELS4_3ELNS0_20block_scan_algorithmE0ELj4294967295EEENS1_25partition_config_selectorILNS1_17partition_subalgoE4EjNS0_10empty_typeEbEEZZNS1_14partition_implILS8_4ELb0ES6_15HIP_vector_typeIjLj2EENS0_17counting_iteratorIjlEEPS9_SG_NS0_5tupleIJPjSI_NS0_16reverse_iteratorISI_EEEEENSH_IJSG_SG_SG_EEES9_SI_JZNS1_25segmented_radix_sort_implINS0_14default_configELb0EPK6__halfPSP_PKlPlN2at6native12_GLOBAL__N_18offset_tEEE10hipError_tPvRmT1_PNSt15iterator_traitsIS13_E10value_typeET2_T3_PNS14_IS19_E10value_typeET4_jRbjT5_S1F_jjP12ihipStream_tbEUljE_ZNSN_ISO_Lb0ESR_SS_SU_SV_SZ_EES10_S11_S12_S13_S17_S18_S19_S1C_S1D_jS1E_jS1F_S1F_jjS1H_bEUljE0_EEES10_S11_S12_S19_S1D_S1F_T6_T7_T9_mT8_S1H_bDpT10_ENKUlT_T0_E_clISt17integral_constantIbLb0EES1V_EEDaS1Q_S1R_EUlS1Q_E_NS1_11comp_targetILNS1_3genE9ELNS1_11target_archE1100ELNS1_3gpuE3ELNS1_3repE0EEENS1_30default_config_static_selectorELNS0_4arch9wavefront6targetE0EEEvS13_.num_named_barrier, 0
	.set _ZN7rocprim17ROCPRIM_400000_NS6detail17trampoline_kernelINS0_13select_configILj256ELj13ELNS0_17block_load_methodE3ELS4_3ELS4_3ELNS0_20block_scan_algorithmE0ELj4294967295EEENS1_25partition_config_selectorILNS1_17partition_subalgoE4EjNS0_10empty_typeEbEEZZNS1_14partition_implILS8_4ELb0ES6_15HIP_vector_typeIjLj2EENS0_17counting_iteratorIjlEEPS9_SG_NS0_5tupleIJPjSI_NS0_16reverse_iteratorISI_EEEEENSH_IJSG_SG_SG_EEES9_SI_JZNS1_25segmented_radix_sort_implINS0_14default_configELb0EPK6__halfPSP_PKlPlN2at6native12_GLOBAL__N_18offset_tEEE10hipError_tPvRmT1_PNSt15iterator_traitsIS13_E10value_typeET2_T3_PNS14_IS19_E10value_typeET4_jRbjT5_S1F_jjP12ihipStream_tbEUljE_ZNSN_ISO_Lb0ESR_SS_SU_SV_SZ_EES10_S11_S12_S13_S17_S18_S19_S1C_S1D_jS1E_jS1F_S1F_jjS1H_bEUljE0_EEES10_S11_S12_S19_S1D_S1F_T6_T7_T9_mT8_S1H_bDpT10_ENKUlT_T0_E_clISt17integral_constantIbLb0EES1V_EEDaS1Q_S1R_EUlS1Q_E_NS1_11comp_targetILNS1_3genE9ELNS1_11target_archE1100ELNS1_3gpuE3ELNS1_3repE0EEENS1_30default_config_static_selectorELNS0_4arch9wavefront6targetE0EEEvS13_.private_seg_size, 0
	.set _ZN7rocprim17ROCPRIM_400000_NS6detail17trampoline_kernelINS0_13select_configILj256ELj13ELNS0_17block_load_methodE3ELS4_3ELS4_3ELNS0_20block_scan_algorithmE0ELj4294967295EEENS1_25partition_config_selectorILNS1_17partition_subalgoE4EjNS0_10empty_typeEbEEZZNS1_14partition_implILS8_4ELb0ES6_15HIP_vector_typeIjLj2EENS0_17counting_iteratorIjlEEPS9_SG_NS0_5tupleIJPjSI_NS0_16reverse_iteratorISI_EEEEENSH_IJSG_SG_SG_EEES9_SI_JZNS1_25segmented_radix_sort_implINS0_14default_configELb0EPK6__halfPSP_PKlPlN2at6native12_GLOBAL__N_18offset_tEEE10hipError_tPvRmT1_PNSt15iterator_traitsIS13_E10value_typeET2_T3_PNS14_IS19_E10value_typeET4_jRbjT5_S1F_jjP12ihipStream_tbEUljE_ZNSN_ISO_Lb0ESR_SS_SU_SV_SZ_EES10_S11_S12_S13_S17_S18_S19_S1C_S1D_jS1E_jS1F_S1F_jjS1H_bEUljE0_EEES10_S11_S12_S19_S1D_S1F_T6_T7_T9_mT8_S1H_bDpT10_ENKUlT_T0_E_clISt17integral_constantIbLb0EES1V_EEDaS1Q_S1R_EUlS1Q_E_NS1_11comp_targetILNS1_3genE9ELNS1_11target_archE1100ELNS1_3gpuE3ELNS1_3repE0EEENS1_30default_config_static_selectorELNS0_4arch9wavefront6targetE0EEEvS13_.uses_vcc, 0
	.set _ZN7rocprim17ROCPRIM_400000_NS6detail17trampoline_kernelINS0_13select_configILj256ELj13ELNS0_17block_load_methodE3ELS4_3ELS4_3ELNS0_20block_scan_algorithmE0ELj4294967295EEENS1_25partition_config_selectorILNS1_17partition_subalgoE4EjNS0_10empty_typeEbEEZZNS1_14partition_implILS8_4ELb0ES6_15HIP_vector_typeIjLj2EENS0_17counting_iteratorIjlEEPS9_SG_NS0_5tupleIJPjSI_NS0_16reverse_iteratorISI_EEEEENSH_IJSG_SG_SG_EEES9_SI_JZNS1_25segmented_radix_sort_implINS0_14default_configELb0EPK6__halfPSP_PKlPlN2at6native12_GLOBAL__N_18offset_tEEE10hipError_tPvRmT1_PNSt15iterator_traitsIS13_E10value_typeET2_T3_PNS14_IS19_E10value_typeET4_jRbjT5_S1F_jjP12ihipStream_tbEUljE_ZNSN_ISO_Lb0ESR_SS_SU_SV_SZ_EES10_S11_S12_S13_S17_S18_S19_S1C_S1D_jS1E_jS1F_S1F_jjS1H_bEUljE0_EEES10_S11_S12_S19_S1D_S1F_T6_T7_T9_mT8_S1H_bDpT10_ENKUlT_T0_E_clISt17integral_constantIbLb0EES1V_EEDaS1Q_S1R_EUlS1Q_E_NS1_11comp_targetILNS1_3genE9ELNS1_11target_archE1100ELNS1_3gpuE3ELNS1_3repE0EEENS1_30default_config_static_selectorELNS0_4arch9wavefront6targetE0EEEvS13_.uses_flat_scratch, 0
	.set _ZN7rocprim17ROCPRIM_400000_NS6detail17trampoline_kernelINS0_13select_configILj256ELj13ELNS0_17block_load_methodE3ELS4_3ELS4_3ELNS0_20block_scan_algorithmE0ELj4294967295EEENS1_25partition_config_selectorILNS1_17partition_subalgoE4EjNS0_10empty_typeEbEEZZNS1_14partition_implILS8_4ELb0ES6_15HIP_vector_typeIjLj2EENS0_17counting_iteratorIjlEEPS9_SG_NS0_5tupleIJPjSI_NS0_16reverse_iteratorISI_EEEEENSH_IJSG_SG_SG_EEES9_SI_JZNS1_25segmented_radix_sort_implINS0_14default_configELb0EPK6__halfPSP_PKlPlN2at6native12_GLOBAL__N_18offset_tEEE10hipError_tPvRmT1_PNSt15iterator_traitsIS13_E10value_typeET2_T3_PNS14_IS19_E10value_typeET4_jRbjT5_S1F_jjP12ihipStream_tbEUljE_ZNSN_ISO_Lb0ESR_SS_SU_SV_SZ_EES10_S11_S12_S13_S17_S18_S19_S1C_S1D_jS1E_jS1F_S1F_jjS1H_bEUljE0_EEES10_S11_S12_S19_S1D_S1F_T6_T7_T9_mT8_S1H_bDpT10_ENKUlT_T0_E_clISt17integral_constantIbLb0EES1V_EEDaS1Q_S1R_EUlS1Q_E_NS1_11comp_targetILNS1_3genE9ELNS1_11target_archE1100ELNS1_3gpuE3ELNS1_3repE0EEENS1_30default_config_static_selectorELNS0_4arch9wavefront6targetE0EEEvS13_.has_dyn_sized_stack, 0
	.set _ZN7rocprim17ROCPRIM_400000_NS6detail17trampoline_kernelINS0_13select_configILj256ELj13ELNS0_17block_load_methodE3ELS4_3ELS4_3ELNS0_20block_scan_algorithmE0ELj4294967295EEENS1_25partition_config_selectorILNS1_17partition_subalgoE4EjNS0_10empty_typeEbEEZZNS1_14partition_implILS8_4ELb0ES6_15HIP_vector_typeIjLj2EENS0_17counting_iteratorIjlEEPS9_SG_NS0_5tupleIJPjSI_NS0_16reverse_iteratorISI_EEEEENSH_IJSG_SG_SG_EEES9_SI_JZNS1_25segmented_radix_sort_implINS0_14default_configELb0EPK6__halfPSP_PKlPlN2at6native12_GLOBAL__N_18offset_tEEE10hipError_tPvRmT1_PNSt15iterator_traitsIS13_E10value_typeET2_T3_PNS14_IS19_E10value_typeET4_jRbjT5_S1F_jjP12ihipStream_tbEUljE_ZNSN_ISO_Lb0ESR_SS_SU_SV_SZ_EES10_S11_S12_S13_S17_S18_S19_S1C_S1D_jS1E_jS1F_S1F_jjS1H_bEUljE0_EEES10_S11_S12_S19_S1D_S1F_T6_T7_T9_mT8_S1H_bDpT10_ENKUlT_T0_E_clISt17integral_constantIbLb0EES1V_EEDaS1Q_S1R_EUlS1Q_E_NS1_11comp_targetILNS1_3genE9ELNS1_11target_archE1100ELNS1_3gpuE3ELNS1_3repE0EEENS1_30default_config_static_selectorELNS0_4arch9wavefront6targetE0EEEvS13_.has_recursion, 0
	.set _ZN7rocprim17ROCPRIM_400000_NS6detail17trampoline_kernelINS0_13select_configILj256ELj13ELNS0_17block_load_methodE3ELS4_3ELS4_3ELNS0_20block_scan_algorithmE0ELj4294967295EEENS1_25partition_config_selectorILNS1_17partition_subalgoE4EjNS0_10empty_typeEbEEZZNS1_14partition_implILS8_4ELb0ES6_15HIP_vector_typeIjLj2EENS0_17counting_iteratorIjlEEPS9_SG_NS0_5tupleIJPjSI_NS0_16reverse_iteratorISI_EEEEENSH_IJSG_SG_SG_EEES9_SI_JZNS1_25segmented_radix_sort_implINS0_14default_configELb0EPK6__halfPSP_PKlPlN2at6native12_GLOBAL__N_18offset_tEEE10hipError_tPvRmT1_PNSt15iterator_traitsIS13_E10value_typeET2_T3_PNS14_IS19_E10value_typeET4_jRbjT5_S1F_jjP12ihipStream_tbEUljE_ZNSN_ISO_Lb0ESR_SS_SU_SV_SZ_EES10_S11_S12_S13_S17_S18_S19_S1C_S1D_jS1E_jS1F_S1F_jjS1H_bEUljE0_EEES10_S11_S12_S19_S1D_S1F_T6_T7_T9_mT8_S1H_bDpT10_ENKUlT_T0_E_clISt17integral_constantIbLb0EES1V_EEDaS1Q_S1R_EUlS1Q_E_NS1_11comp_targetILNS1_3genE9ELNS1_11target_archE1100ELNS1_3gpuE3ELNS1_3repE0EEENS1_30default_config_static_selectorELNS0_4arch9wavefront6targetE0EEEvS13_.has_indirect_call, 0
	.section	.AMDGPU.csdata,"",@progbits
; Kernel info:
; codeLenInByte = 0
; TotalNumSgprs: 0
; NumVgprs: 0
; ScratchSize: 0
; MemoryBound: 0
; FloatMode: 240
; IeeeMode: 1
; LDSByteSize: 0 bytes/workgroup (compile time only)
; SGPRBlocks: 0
; VGPRBlocks: 0
; NumSGPRsForWavesPerEU: 1
; NumVGPRsForWavesPerEU: 1
; Occupancy: 16
; WaveLimiterHint : 0
; COMPUTE_PGM_RSRC2:SCRATCH_EN: 0
; COMPUTE_PGM_RSRC2:USER_SGPR: 2
; COMPUTE_PGM_RSRC2:TRAP_HANDLER: 0
; COMPUTE_PGM_RSRC2:TGID_X_EN: 1
; COMPUTE_PGM_RSRC2:TGID_Y_EN: 0
; COMPUTE_PGM_RSRC2:TGID_Z_EN: 0
; COMPUTE_PGM_RSRC2:TIDIG_COMP_CNT: 0
	.section	.text._ZN7rocprim17ROCPRIM_400000_NS6detail17trampoline_kernelINS0_13select_configILj256ELj13ELNS0_17block_load_methodE3ELS4_3ELS4_3ELNS0_20block_scan_algorithmE0ELj4294967295EEENS1_25partition_config_selectorILNS1_17partition_subalgoE4EjNS0_10empty_typeEbEEZZNS1_14partition_implILS8_4ELb0ES6_15HIP_vector_typeIjLj2EENS0_17counting_iteratorIjlEEPS9_SG_NS0_5tupleIJPjSI_NS0_16reverse_iteratorISI_EEEEENSH_IJSG_SG_SG_EEES9_SI_JZNS1_25segmented_radix_sort_implINS0_14default_configELb0EPK6__halfPSP_PKlPlN2at6native12_GLOBAL__N_18offset_tEEE10hipError_tPvRmT1_PNSt15iterator_traitsIS13_E10value_typeET2_T3_PNS14_IS19_E10value_typeET4_jRbjT5_S1F_jjP12ihipStream_tbEUljE_ZNSN_ISO_Lb0ESR_SS_SU_SV_SZ_EES10_S11_S12_S13_S17_S18_S19_S1C_S1D_jS1E_jS1F_S1F_jjS1H_bEUljE0_EEES10_S11_S12_S19_S1D_S1F_T6_T7_T9_mT8_S1H_bDpT10_ENKUlT_T0_E_clISt17integral_constantIbLb0EES1V_EEDaS1Q_S1R_EUlS1Q_E_NS1_11comp_targetILNS1_3genE8ELNS1_11target_archE1030ELNS1_3gpuE2ELNS1_3repE0EEENS1_30default_config_static_selectorELNS0_4arch9wavefront6targetE0EEEvS13_,"axG",@progbits,_ZN7rocprim17ROCPRIM_400000_NS6detail17trampoline_kernelINS0_13select_configILj256ELj13ELNS0_17block_load_methodE3ELS4_3ELS4_3ELNS0_20block_scan_algorithmE0ELj4294967295EEENS1_25partition_config_selectorILNS1_17partition_subalgoE4EjNS0_10empty_typeEbEEZZNS1_14partition_implILS8_4ELb0ES6_15HIP_vector_typeIjLj2EENS0_17counting_iteratorIjlEEPS9_SG_NS0_5tupleIJPjSI_NS0_16reverse_iteratorISI_EEEEENSH_IJSG_SG_SG_EEES9_SI_JZNS1_25segmented_radix_sort_implINS0_14default_configELb0EPK6__halfPSP_PKlPlN2at6native12_GLOBAL__N_18offset_tEEE10hipError_tPvRmT1_PNSt15iterator_traitsIS13_E10value_typeET2_T3_PNS14_IS19_E10value_typeET4_jRbjT5_S1F_jjP12ihipStream_tbEUljE_ZNSN_ISO_Lb0ESR_SS_SU_SV_SZ_EES10_S11_S12_S13_S17_S18_S19_S1C_S1D_jS1E_jS1F_S1F_jjS1H_bEUljE0_EEES10_S11_S12_S19_S1D_S1F_T6_T7_T9_mT8_S1H_bDpT10_ENKUlT_T0_E_clISt17integral_constantIbLb0EES1V_EEDaS1Q_S1R_EUlS1Q_E_NS1_11comp_targetILNS1_3genE8ELNS1_11target_archE1030ELNS1_3gpuE2ELNS1_3repE0EEENS1_30default_config_static_selectorELNS0_4arch9wavefront6targetE0EEEvS13_,comdat
	.globl	_ZN7rocprim17ROCPRIM_400000_NS6detail17trampoline_kernelINS0_13select_configILj256ELj13ELNS0_17block_load_methodE3ELS4_3ELS4_3ELNS0_20block_scan_algorithmE0ELj4294967295EEENS1_25partition_config_selectorILNS1_17partition_subalgoE4EjNS0_10empty_typeEbEEZZNS1_14partition_implILS8_4ELb0ES6_15HIP_vector_typeIjLj2EENS0_17counting_iteratorIjlEEPS9_SG_NS0_5tupleIJPjSI_NS0_16reverse_iteratorISI_EEEEENSH_IJSG_SG_SG_EEES9_SI_JZNS1_25segmented_radix_sort_implINS0_14default_configELb0EPK6__halfPSP_PKlPlN2at6native12_GLOBAL__N_18offset_tEEE10hipError_tPvRmT1_PNSt15iterator_traitsIS13_E10value_typeET2_T3_PNS14_IS19_E10value_typeET4_jRbjT5_S1F_jjP12ihipStream_tbEUljE_ZNSN_ISO_Lb0ESR_SS_SU_SV_SZ_EES10_S11_S12_S13_S17_S18_S19_S1C_S1D_jS1E_jS1F_S1F_jjS1H_bEUljE0_EEES10_S11_S12_S19_S1D_S1F_T6_T7_T9_mT8_S1H_bDpT10_ENKUlT_T0_E_clISt17integral_constantIbLb0EES1V_EEDaS1Q_S1R_EUlS1Q_E_NS1_11comp_targetILNS1_3genE8ELNS1_11target_archE1030ELNS1_3gpuE2ELNS1_3repE0EEENS1_30default_config_static_selectorELNS0_4arch9wavefront6targetE0EEEvS13_ ; -- Begin function _ZN7rocprim17ROCPRIM_400000_NS6detail17trampoline_kernelINS0_13select_configILj256ELj13ELNS0_17block_load_methodE3ELS4_3ELS4_3ELNS0_20block_scan_algorithmE0ELj4294967295EEENS1_25partition_config_selectorILNS1_17partition_subalgoE4EjNS0_10empty_typeEbEEZZNS1_14partition_implILS8_4ELb0ES6_15HIP_vector_typeIjLj2EENS0_17counting_iteratorIjlEEPS9_SG_NS0_5tupleIJPjSI_NS0_16reverse_iteratorISI_EEEEENSH_IJSG_SG_SG_EEES9_SI_JZNS1_25segmented_radix_sort_implINS0_14default_configELb0EPK6__halfPSP_PKlPlN2at6native12_GLOBAL__N_18offset_tEEE10hipError_tPvRmT1_PNSt15iterator_traitsIS13_E10value_typeET2_T3_PNS14_IS19_E10value_typeET4_jRbjT5_S1F_jjP12ihipStream_tbEUljE_ZNSN_ISO_Lb0ESR_SS_SU_SV_SZ_EES10_S11_S12_S13_S17_S18_S19_S1C_S1D_jS1E_jS1F_S1F_jjS1H_bEUljE0_EEES10_S11_S12_S19_S1D_S1F_T6_T7_T9_mT8_S1H_bDpT10_ENKUlT_T0_E_clISt17integral_constantIbLb0EES1V_EEDaS1Q_S1R_EUlS1Q_E_NS1_11comp_targetILNS1_3genE8ELNS1_11target_archE1030ELNS1_3gpuE2ELNS1_3repE0EEENS1_30default_config_static_selectorELNS0_4arch9wavefront6targetE0EEEvS13_
	.p2align	8
	.type	_ZN7rocprim17ROCPRIM_400000_NS6detail17trampoline_kernelINS0_13select_configILj256ELj13ELNS0_17block_load_methodE3ELS4_3ELS4_3ELNS0_20block_scan_algorithmE0ELj4294967295EEENS1_25partition_config_selectorILNS1_17partition_subalgoE4EjNS0_10empty_typeEbEEZZNS1_14partition_implILS8_4ELb0ES6_15HIP_vector_typeIjLj2EENS0_17counting_iteratorIjlEEPS9_SG_NS0_5tupleIJPjSI_NS0_16reverse_iteratorISI_EEEEENSH_IJSG_SG_SG_EEES9_SI_JZNS1_25segmented_radix_sort_implINS0_14default_configELb0EPK6__halfPSP_PKlPlN2at6native12_GLOBAL__N_18offset_tEEE10hipError_tPvRmT1_PNSt15iterator_traitsIS13_E10value_typeET2_T3_PNS14_IS19_E10value_typeET4_jRbjT5_S1F_jjP12ihipStream_tbEUljE_ZNSN_ISO_Lb0ESR_SS_SU_SV_SZ_EES10_S11_S12_S13_S17_S18_S19_S1C_S1D_jS1E_jS1F_S1F_jjS1H_bEUljE0_EEES10_S11_S12_S19_S1D_S1F_T6_T7_T9_mT8_S1H_bDpT10_ENKUlT_T0_E_clISt17integral_constantIbLb0EES1V_EEDaS1Q_S1R_EUlS1Q_E_NS1_11comp_targetILNS1_3genE8ELNS1_11target_archE1030ELNS1_3gpuE2ELNS1_3repE0EEENS1_30default_config_static_selectorELNS0_4arch9wavefront6targetE0EEEvS13_,@function
_ZN7rocprim17ROCPRIM_400000_NS6detail17trampoline_kernelINS0_13select_configILj256ELj13ELNS0_17block_load_methodE3ELS4_3ELS4_3ELNS0_20block_scan_algorithmE0ELj4294967295EEENS1_25partition_config_selectorILNS1_17partition_subalgoE4EjNS0_10empty_typeEbEEZZNS1_14partition_implILS8_4ELb0ES6_15HIP_vector_typeIjLj2EENS0_17counting_iteratorIjlEEPS9_SG_NS0_5tupleIJPjSI_NS0_16reverse_iteratorISI_EEEEENSH_IJSG_SG_SG_EEES9_SI_JZNS1_25segmented_radix_sort_implINS0_14default_configELb0EPK6__halfPSP_PKlPlN2at6native12_GLOBAL__N_18offset_tEEE10hipError_tPvRmT1_PNSt15iterator_traitsIS13_E10value_typeET2_T3_PNS14_IS19_E10value_typeET4_jRbjT5_S1F_jjP12ihipStream_tbEUljE_ZNSN_ISO_Lb0ESR_SS_SU_SV_SZ_EES10_S11_S12_S13_S17_S18_S19_S1C_S1D_jS1E_jS1F_S1F_jjS1H_bEUljE0_EEES10_S11_S12_S19_S1D_S1F_T6_T7_T9_mT8_S1H_bDpT10_ENKUlT_T0_E_clISt17integral_constantIbLb0EES1V_EEDaS1Q_S1R_EUlS1Q_E_NS1_11comp_targetILNS1_3genE8ELNS1_11target_archE1030ELNS1_3gpuE2ELNS1_3repE0EEENS1_30default_config_static_selectorELNS0_4arch9wavefront6targetE0EEEvS13_: ; @_ZN7rocprim17ROCPRIM_400000_NS6detail17trampoline_kernelINS0_13select_configILj256ELj13ELNS0_17block_load_methodE3ELS4_3ELS4_3ELNS0_20block_scan_algorithmE0ELj4294967295EEENS1_25partition_config_selectorILNS1_17partition_subalgoE4EjNS0_10empty_typeEbEEZZNS1_14partition_implILS8_4ELb0ES6_15HIP_vector_typeIjLj2EENS0_17counting_iteratorIjlEEPS9_SG_NS0_5tupleIJPjSI_NS0_16reverse_iteratorISI_EEEEENSH_IJSG_SG_SG_EEES9_SI_JZNS1_25segmented_radix_sort_implINS0_14default_configELb0EPK6__halfPSP_PKlPlN2at6native12_GLOBAL__N_18offset_tEEE10hipError_tPvRmT1_PNSt15iterator_traitsIS13_E10value_typeET2_T3_PNS14_IS19_E10value_typeET4_jRbjT5_S1F_jjP12ihipStream_tbEUljE_ZNSN_ISO_Lb0ESR_SS_SU_SV_SZ_EES10_S11_S12_S13_S17_S18_S19_S1C_S1D_jS1E_jS1F_S1F_jjS1H_bEUljE0_EEES10_S11_S12_S19_S1D_S1F_T6_T7_T9_mT8_S1H_bDpT10_ENKUlT_T0_E_clISt17integral_constantIbLb0EES1V_EEDaS1Q_S1R_EUlS1Q_E_NS1_11comp_targetILNS1_3genE8ELNS1_11target_archE1030ELNS1_3gpuE2ELNS1_3repE0EEENS1_30default_config_static_selectorELNS0_4arch9wavefront6targetE0EEEvS13_
; %bb.0:
	.section	.rodata,"a",@progbits
	.p2align	6, 0x0
	.amdhsa_kernel _ZN7rocprim17ROCPRIM_400000_NS6detail17trampoline_kernelINS0_13select_configILj256ELj13ELNS0_17block_load_methodE3ELS4_3ELS4_3ELNS0_20block_scan_algorithmE0ELj4294967295EEENS1_25partition_config_selectorILNS1_17partition_subalgoE4EjNS0_10empty_typeEbEEZZNS1_14partition_implILS8_4ELb0ES6_15HIP_vector_typeIjLj2EENS0_17counting_iteratorIjlEEPS9_SG_NS0_5tupleIJPjSI_NS0_16reverse_iteratorISI_EEEEENSH_IJSG_SG_SG_EEES9_SI_JZNS1_25segmented_radix_sort_implINS0_14default_configELb0EPK6__halfPSP_PKlPlN2at6native12_GLOBAL__N_18offset_tEEE10hipError_tPvRmT1_PNSt15iterator_traitsIS13_E10value_typeET2_T3_PNS14_IS19_E10value_typeET4_jRbjT5_S1F_jjP12ihipStream_tbEUljE_ZNSN_ISO_Lb0ESR_SS_SU_SV_SZ_EES10_S11_S12_S13_S17_S18_S19_S1C_S1D_jS1E_jS1F_S1F_jjS1H_bEUljE0_EEES10_S11_S12_S19_S1D_S1F_T6_T7_T9_mT8_S1H_bDpT10_ENKUlT_T0_E_clISt17integral_constantIbLb0EES1V_EEDaS1Q_S1R_EUlS1Q_E_NS1_11comp_targetILNS1_3genE8ELNS1_11target_archE1030ELNS1_3gpuE2ELNS1_3repE0EEENS1_30default_config_static_selectorELNS0_4arch9wavefront6targetE0EEEvS13_
		.amdhsa_group_segment_fixed_size 0
		.amdhsa_private_segment_fixed_size 0
		.amdhsa_kernarg_size 176
		.amdhsa_user_sgpr_count 2
		.amdhsa_user_sgpr_dispatch_ptr 0
		.amdhsa_user_sgpr_queue_ptr 0
		.amdhsa_user_sgpr_kernarg_segment_ptr 1
		.amdhsa_user_sgpr_dispatch_id 0
		.amdhsa_user_sgpr_private_segment_size 0
		.amdhsa_wavefront_size32 1
		.amdhsa_uses_dynamic_stack 0
		.amdhsa_enable_private_segment 0
		.amdhsa_system_sgpr_workgroup_id_x 1
		.amdhsa_system_sgpr_workgroup_id_y 0
		.amdhsa_system_sgpr_workgroup_id_z 0
		.amdhsa_system_sgpr_workgroup_info 0
		.amdhsa_system_vgpr_workitem_id 0
		.amdhsa_next_free_vgpr 1
		.amdhsa_next_free_sgpr 1
		.amdhsa_reserve_vcc 0
		.amdhsa_float_round_mode_32 0
		.amdhsa_float_round_mode_16_64 0
		.amdhsa_float_denorm_mode_32 3
		.amdhsa_float_denorm_mode_16_64 3
		.amdhsa_fp16_overflow 0
		.amdhsa_workgroup_processor_mode 1
		.amdhsa_memory_ordered 1
		.amdhsa_forward_progress 1
		.amdhsa_inst_pref_size 0
		.amdhsa_round_robin_scheduling 0
		.amdhsa_exception_fp_ieee_invalid_op 0
		.amdhsa_exception_fp_denorm_src 0
		.amdhsa_exception_fp_ieee_div_zero 0
		.amdhsa_exception_fp_ieee_overflow 0
		.amdhsa_exception_fp_ieee_underflow 0
		.amdhsa_exception_fp_ieee_inexact 0
		.amdhsa_exception_int_div_zero 0
	.end_amdhsa_kernel
	.section	.text._ZN7rocprim17ROCPRIM_400000_NS6detail17trampoline_kernelINS0_13select_configILj256ELj13ELNS0_17block_load_methodE3ELS4_3ELS4_3ELNS0_20block_scan_algorithmE0ELj4294967295EEENS1_25partition_config_selectorILNS1_17partition_subalgoE4EjNS0_10empty_typeEbEEZZNS1_14partition_implILS8_4ELb0ES6_15HIP_vector_typeIjLj2EENS0_17counting_iteratorIjlEEPS9_SG_NS0_5tupleIJPjSI_NS0_16reverse_iteratorISI_EEEEENSH_IJSG_SG_SG_EEES9_SI_JZNS1_25segmented_radix_sort_implINS0_14default_configELb0EPK6__halfPSP_PKlPlN2at6native12_GLOBAL__N_18offset_tEEE10hipError_tPvRmT1_PNSt15iterator_traitsIS13_E10value_typeET2_T3_PNS14_IS19_E10value_typeET4_jRbjT5_S1F_jjP12ihipStream_tbEUljE_ZNSN_ISO_Lb0ESR_SS_SU_SV_SZ_EES10_S11_S12_S13_S17_S18_S19_S1C_S1D_jS1E_jS1F_S1F_jjS1H_bEUljE0_EEES10_S11_S12_S19_S1D_S1F_T6_T7_T9_mT8_S1H_bDpT10_ENKUlT_T0_E_clISt17integral_constantIbLb0EES1V_EEDaS1Q_S1R_EUlS1Q_E_NS1_11comp_targetILNS1_3genE8ELNS1_11target_archE1030ELNS1_3gpuE2ELNS1_3repE0EEENS1_30default_config_static_selectorELNS0_4arch9wavefront6targetE0EEEvS13_,"axG",@progbits,_ZN7rocprim17ROCPRIM_400000_NS6detail17trampoline_kernelINS0_13select_configILj256ELj13ELNS0_17block_load_methodE3ELS4_3ELS4_3ELNS0_20block_scan_algorithmE0ELj4294967295EEENS1_25partition_config_selectorILNS1_17partition_subalgoE4EjNS0_10empty_typeEbEEZZNS1_14partition_implILS8_4ELb0ES6_15HIP_vector_typeIjLj2EENS0_17counting_iteratorIjlEEPS9_SG_NS0_5tupleIJPjSI_NS0_16reverse_iteratorISI_EEEEENSH_IJSG_SG_SG_EEES9_SI_JZNS1_25segmented_radix_sort_implINS0_14default_configELb0EPK6__halfPSP_PKlPlN2at6native12_GLOBAL__N_18offset_tEEE10hipError_tPvRmT1_PNSt15iterator_traitsIS13_E10value_typeET2_T3_PNS14_IS19_E10value_typeET4_jRbjT5_S1F_jjP12ihipStream_tbEUljE_ZNSN_ISO_Lb0ESR_SS_SU_SV_SZ_EES10_S11_S12_S13_S17_S18_S19_S1C_S1D_jS1E_jS1F_S1F_jjS1H_bEUljE0_EEES10_S11_S12_S19_S1D_S1F_T6_T7_T9_mT8_S1H_bDpT10_ENKUlT_T0_E_clISt17integral_constantIbLb0EES1V_EEDaS1Q_S1R_EUlS1Q_E_NS1_11comp_targetILNS1_3genE8ELNS1_11target_archE1030ELNS1_3gpuE2ELNS1_3repE0EEENS1_30default_config_static_selectorELNS0_4arch9wavefront6targetE0EEEvS13_,comdat
.Lfunc_end1785:
	.size	_ZN7rocprim17ROCPRIM_400000_NS6detail17trampoline_kernelINS0_13select_configILj256ELj13ELNS0_17block_load_methodE3ELS4_3ELS4_3ELNS0_20block_scan_algorithmE0ELj4294967295EEENS1_25partition_config_selectorILNS1_17partition_subalgoE4EjNS0_10empty_typeEbEEZZNS1_14partition_implILS8_4ELb0ES6_15HIP_vector_typeIjLj2EENS0_17counting_iteratorIjlEEPS9_SG_NS0_5tupleIJPjSI_NS0_16reverse_iteratorISI_EEEEENSH_IJSG_SG_SG_EEES9_SI_JZNS1_25segmented_radix_sort_implINS0_14default_configELb0EPK6__halfPSP_PKlPlN2at6native12_GLOBAL__N_18offset_tEEE10hipError_tPvRmT1_PNSt15iterator_traitsIS13_E10value_typeET2_T3_PNS14_IS19_E10value_typeET4_jRbjT5_S1F_jjP12ihipStream_tbEUljE_ZNSN_ISO_Lb0ESR_SS_SU_SV_SZ_EES10_S11_S12_S13_S17_S18_S19_S1C_S1D_jS1E_jS1F_S1F_jjS1H_bEUljE0_EEES10_S11_S12_S19_S1D_S1F_T6_T7_T9_mT8_S1H_bDpT10_ENKUlT_T0_E_clISt17integral_constantIbLb0EES1V_EEDaS1Q_S1R_EUlS1Q_E_NS1_11comp_targetILNS1_3genE8ELNS1_11target_archE1030ELNS1_3gpuE2ELNS1_3repE0EEENS1_30default_config_static_selectorELNS0_4arch9wavefront6targetE0EEEvS13_, .Lfunc_end1785-_ZN7rocprim17ROCPRIM_400000_NS6detail17trampoline_kernelINS0_13select_configILj256ELj13ELNS0_17block_load_methodE3ELS4_3ELS4_3ELNS0_20block_scan_algorithmE0ELj4294967295EEENS1_25partition_config_selectorILNS1_17partition_subalgoE4EjNS0_10empty_typeEbEEZZNS1_14partition_implILS8_4ELb0ES6_15HIP_vector_typeIjLj2EENS0_17counting_iteratorIjlEEPS9_SG_NS0_5tupleIJPjSI_NS0_16reverse_iteratorISI_EEEEENSH_IJSG_SG_SG_EEES9_SI_JZNS1_25segmented_radix_sort_implINS0_14default_configELb0EPK6__halfPSP_PKlPlN2at6native12_GLOBAL__N_18offset_tEEE10hipError_tPvRmT1_PNSt15iterator_traitsIS13_E10value_typeET2_T3_PNS14_IS19_E10value_typeET4_jRbjT5_S1F_jjP12ihipStream_tbEUljE_ZNSN_ISO_Lb0ESR_SS_SU_SV_SZ_EES10_S11_S12_S13_S17_S18_S19_S1C_S1D_jS1E_jS1F_S1F_jjS1H_bEUljE0_EEES10_S11_S12_S19_S1D_S1F_T6_T7_T9_mT8_S1H_bDpT10_ENKUlT_T0_E_clISt17integral_constantIbLb0EES1V_EEDaS1Q_S1R_EUlS1Q_E_NS1_11comp_targetILNS1_3genE8ELNS1_11target_archE1030ELNS1_3gpuE2ELNS1_3repE0EEENS1_30default_config_static_selectorELNS0_4arch9wavefront6targetE0EEEvS13_
                                        ; -- End function
	.set _ZN7rocprim17ROCPRIM_400000_NS6detail17trampoline_kernelINS0_13select_configILj256ELj13ELNS0_17block_load_methodE3ELS4_3ELS4_3ELNS0_20block_scan_algorithmE0ELj4294967295EEENS1_25partition_config_selectorILNS1_17partition_subalgoE4EjNS0_10empty_typeEbEEZZNS1_14partition_implILS8_4ELb0ES6_15HIP_vector_typeIjLj2EENS0_17counting_iteratorIjlEEPS9_SG_NS0_5tupleIJPjSI_NS0_16reverse_iteratorISI_EEEEENSH_IJSG_SG_SG_EEES9_SI_JZNS1_25segmented_radix_sort_implINS0_14default_configELb0EPK6__halfPSP_PKlPlN2at6native12_GLOBAL__N_18offset_tEEE10hipError_tPvRmT1_PNSt15iterator_traitsIS13_E10value_typeET2_T3_PNS14_IS19_E10value_typeET4_jRbjT5_S1F_jjP12ihipStream_tbEUljE_ZNSN_ISO_Lb0ESR_SS_SU_SV_SZ_EES10_S11_S12_S13_S17_S18_S19_S1C_S1D_jS1E_jS1F_S1F_jjS1H_bEUljE0_EEES10_S11_S12_S19_S1D_S1F_T6_T7_T9_mT8_S1H_bDpT10_ENKUlT_T0_E_clISt17integral_constantIbLb0EES1V_EEDaS1Q_S1R_EUlS1Q_E_NS1_11comp_targetILNS1_3genE8ELNS1_11target_archE1030ELNS1_3gpuE2ELNS1_3repE0EEENS1_30default_config_static_selectorELNS0_4arch9wavefront6targetE0EEEvS13_.num_vgpr, 0
	.set _ZN7rocprim17ROCPRIM_400000_NS6detail17trampoline_kernelINS0_13select_configILj256ELj13ELNS0_17block_load_methodE3ELS4_3ELS4_3ELNS0_20block_scan_algorithmE0ELj4294967295EEENS1_25partition_config_selectorILNS1_17partition_subalgoE4EjNS0_10empty_typeEbEEZZNS1_14partition_implILS8_4ELb0ES6_15HIP_vector_typeIjLj2EENS0_17counting_iteratorIjlEEPS9_SG_NS0_5tupleIJPjSI_NS0_16reverse_iteratorISI_EEEEENSH_IJSG_SG_SG_EEES9_SI_JZNS1_25segmented_radix_sort_implINS0_14default_configELb0EPK6__halfPSP_PKlPlN2at6native12_GLOBAL__N_18offset_tEEE10hipError_tPvRmT1_PNSt15iterator_traitsIS13_E10value_typeET2_T3_PNS14_IS19_E10value_typeET4_jRbjT5_S1F_jjP12ihipStream_tbEUljE_ZNSN_ISO_Lb0ESR_SS_SU_SV_SZ_EES10_S11_S12_S13_S17_S18_S19_S1C_S1D_jS1E_jS1F_S1F_jjS1H_bEUljE0_EEES10_S11_S12_S19_S1D_S1F_T6_T7_T9_mT8_S1H_bDpT10_ENKUlT_T0_E_clISt17integral_constantIbLb0EES1V_EEDaS1Q_S1R_EUlS1Q_E_NS1_11comp_targetILNS1_3genE8ELNS1_11target_archE1030ELNS1_3gpuE2ELNS1_3repE0EEENS1_30default_config_static_selectorELNS0_4arch9wavefront6targetE0EEEvS13_.num_agpr, 0
	.set _ZN7rocprim17ROCPRIM_400000_NS6detail17trampoline_kernelINS0_13select_configILj256ELj13ELNS0_17block_load_methodE3ELS4_3ELS4_3ELNS0_20block_scan_algorithmE0ELj4294967295EEENS1_25partition_config_selectorILNS1_17partition_subalgoE4EjNS0_10empty_typeEbEEZZNS1_14partition_implILS8_4ELb0ES6_15HIP_vector_typeIjLj2EENS0_17counting_iteratorIjlEEPS9_SG_NS0_5tupleIJPjSI_NS0_16reverse_iteratorISI_EEEEENSH_IJSG_SG_SG_EEES9_SI_JZNS1_25segmented_radix_sort_implINS0_14default_configELb0EPK6__halfPSP_PKlPlN2at6native12_GLOBAL__N_18offset_tEEE10hipError_tPvRmT1_PNSt15iterator_traitsIS13_E10value_typeET2_T3_PNS14_IS19_E10value_typeET4_jRbjT5_S1F_jjP12ihipStream_tbEUljE_ZNSN_ISO_Lb0ESR_SS_SU_SV_SZ_EES10_S11_S12_S13_S17_S18_S19_S1C_S1D_jS1E_jS1F_S1F_jjS1H_bEUljE0_EEES10_S11_S12_S19_S1D_S1F_T6_T7_T9_mT8_S1H_bDpT10_ENKUlT_T0_E_clISt17integral_constantIbLb0EES1V_EEDaS1Q_S1R_EUlS1Q_E_NS1_11comp_targetILNS1_3genE8ELNS1_11target_archE1030ELNS1_3gpuE2ELNS1_3repE0EEENS1_30default_config_static_selectorELNS0_4arch9wavefront6targetE0EEEvS13_.numbered_sgpr, 0
	.set _ZN7rocprim17ROCPRIM_400000_NS6detail17trampoline_kernelINS0_13select_configILj256ELj13ELNS0_17block_load_methodE3ELS4_3ELS4_3ELNS0_20block_scan_algorithmE0ELj4294967295EEENS1_25partition_config_selectorILNS1_17partition_subalgoE4EjNS0_10empty_typeEbEEZZNS1_14partition_implILS8_4ELb0ES6_15HIP_vector_typeIjLj2EENS0_17counting_iteratorIjlEEPS9_SG_NS0_5tupleIJPjSI_NS0_16reverse_iteratorISI_EEEEENSH_IJSG_SG_SG_EEES9_SI_JZNS1_25segmented_radix_sort_implINS0_14default_configELb0EPK6__halfPSP_PKlPlN2at6native12_GLOBAL__N_18offset_tEEE10hipError_tPvRmT1_PNSt15iterator_traitsIS13_E10value_typeET2_T3_PNS14_IS19_E10value_typeET4_jRbjT5_S1F_jjP12ihipStream_tbEUljE_ZNSN_ISO_Lb0ESR_SS_SU_SV_SZ_EES10_S11_S12_S13_S17_S18_S19_S1C_S1D_jS1E_jS1F_S1F_jjS1H_bEUljE0_EEES10_S11_S12_S19_S1D_S1F_T6_T7_T9_mT8_S1H_bDpT10_ENKUlT_T0_E_clISt17integral_constantIbLb0EES1V_EEDaS1Q_S1R_EUlS1Q_E_NS1_11comp_targetILNS1_3genE8ELNS1_11target_archE1030ELNS1_3gpuE2ELNS1_3repE0EEENS1_30default_config_static_selectorELNS0_4arch9wavefront6targetE0EEEvS13_.num_named_barrier, 0
	.set _ZN7rocprim17ROCPRIM_400000_NS6detail17trampoline_kernelINS0_13select_configILj256ELj13ELNS0_17block_load_methodE3ELS4_3ELS4_3ELNS0_20block_scan_algorithmE0ELj4294967295EEENS1_25partition_config_selectorILNS1_17partition_subalgoE4EjNS0_10empty_typeEbEEZZNS1_14partition_implILS8_4ELb0ES6_15HIP_vector_typeIjLj2EENS0_17counting_iteratorIjlEEPS9_SG_NS0_5tupleIJPjSI_NS0_16reverse_iteratorISI_EEEEENSH_IJSG_SG_SG_EEES9_SI_JZNS1_25segmented_radix_sort_implINS0_14default_configELb0EPK6__halfPSP_PKlPlN2at6native12_GLOBAL__N_18offset_tEEE10hipError_tPvRmT1_PNSt15iterator_traitsIS13_E10value_typeET2_T3_PNS14_IS19_E10value_typeET4_jRbjT5_S1F_jjP12ihipStream_tbEUljE_ZNSN_ISO_Lb0ESR_SS_SU_SV_SZ_EES10_S11_S12_S13_S17_S18_S19_S1C_S1D_jS1E_jS1F_S1F_jjS1H_bEUljE0_EEES10_S11_S12_S19_S1D_S1F_T6_T7_T9_mT8_S1H_bDpT10_ENKUlT_T0_E_clISt17integral_constantIbLb0EES1V_EEDaS1Q_S1R_EUlS1Q_E_NS1_11comp_targetILNS1_3genE8ELNS1_11target_archE1030ELNS1_3gpuE2ELNS1_3repE0EEENS1_30default_config_static_selectorELNS0_4arch9wavefront6targetE0EEEvS13_.private_seg_size, 0
	.set _ZN7rocprim17ROCPRIM_400000_NS6detail17trampoline_kernelINS0_13select_configILj256ELj13ELNS0_17block_load_methodE3ELS4_3ELS4_3ELNS0_20block_scan_algorithmE0ELj4294967295EEENS1_25partition_config_selectorILNS1_17partition_subalgoE4EjNS0_10empty_typeEbEEZZNS1_14partition_implILS8_4ELb0ES6_15HIP_vector_typeIjLj2EENS0_17counting_iteratorIjlEEPS9_SG_NS0_5tupleIJPjSI_NS0_16reverse_iteratorISI_EEEEENSH_IJSG_SG_SG_EEES9_SI_JZNS1_25segmented_radix_sort_implINS0_14default_configELb0EPK6__halfPSP_PKlPlN2at6native12_GLOBAL__N_18offset_tEEE10hipError_tPvRmT1_PNSt15iterator_traitsIS13_E10value_typeET2_T3_PNS14_IS19_E10value_typeET4_jRbjT5_S1F_jjP12ihipStream_tbEUljE_ZNSN_ISO_Lb0ESR_SS_SU_SV_SZ_EES10_S11_S12_S13_S17_S18_S19_S1C_S1D_jS1E_jS1F_S1F_jjS1H_bEUljE0_EEES10_S11_S12_S19_S1D_S1F_T6_T7_T9_mT8_S1H_bDpT10_ENKUlT_T0_E_clISt17integral_constantIbLb0EES1V_EEDaS1Q_S1R_EUlS1Q_E_NS1_11comp_targetILNS1_3genE8ELNS1_11target_archE1030ELNS1_3gpuE2ELNS1_3repE0EEENS1_30default_config_static_selectorELNS0_4arch9wavefront6targetE0EEEvS13_.uses_vcc, 0
	.set _ZN7rocprim17ROCPRIM_400000_NS6detail17trampoline_kernelINS0_13select_configILj256ELj13ELNS0_17block_load_methodE3ELS4_3ELS4_3ELNS0_20block_scan_algorithmE0ELj4294967295EEENS1_25partition_config_selectorILNS1_17partition_subalgoE4EjNS0_10empty_typeEbEEZZNS1_14partition_implILS8_4ELb0ES6_15HIP_vector_typeIjLj2EENS0_17counting_iteratorIjlEEPS9_SG_NS0_5tupleIJPjSI_NS0_16reverse_iteratorISI_EEEEENSH_IJSG_SG_SG_EEES9_SI_JZNS1_25segmented_radix_sort_implINS0_14default_configELb0EPK6__halfPSP_PKlPlN2at6native12_GLOBAL__N_18offset_tEEE10hipError_tPvRmT1_PNSt15iterator_traitsIS13_E10value_typeET2_T3_PNS14_IS19_E10value_typeET4_jRbjT5_S1F_jjP12ihipStream_tbEUljE_ZNSN_ISO_Lb0ESR_SS_SU_SV_SZ_EES10_S11_S12_S13_S17_S18_S19_S1C_S1D_jS1E_jS1F_S1F_jjS1H_bEUljE0_EEES10_S11_S12_S19_S1D_S1F_T6_T7_T9_mT8_S1H_bDpT10_ENKUlT_T0_E_clISt17integral_constantIbLb0EES1V_EEDaS1Q_S1R_EUlS1Q_E_NS1_11comp_targetILNS1_3genE8ELNS1_11target_archE1030ELNS1_3gpuE2ELNS1_3repE0EEENS1_30default_config_static_selectorELNS0_4arch9wavefront6targetE0EEEvS13_.uses_flat_scratch, 0
	.set _ZN7rocprim17ROCPRIM_400000_NS6detail17trampoline_kernelINS0_13select_configILj256ELj13ELNS0_17block_load_methodE3ELS4_3ELS4_3ELNS0_20block_scan_algorithmE0ELj4294967295EEENS1_25partition_config_selectorILNS1_17partition_subalgoE4EjNS0_10empty_typeEbEEZZNS1_14partition_implILS8_4ELb0ES6_15HIP_vector_typeIjLj2EENS0_17counting_iteratorIjlEEPS9_SG_NS0_5tupleIJPjSI_NS0_16reverse_iteratorISI_EEEEENSH_IJSG_SG_SG_EEES9_SI_JZNS1_25segmented_radix_sort_implINS0_14default_configELb0EPK6__halfPSP_PKlPlN2at6native12_GLOBAL__N_18offset_tEEE10hipError_tPvRmT1_PNSt15iterator_traitsIS13_E10value_typeET2_T3_PNS14_IS19_E10value_typeET4_jRbjT5_S1F_jjP12ihipStream_tbEUljE_ZNSN_ISO_Lb0ESR_SS_SU_SV_SZ_EES10_S11_S12_S13_S17_S18_S19_S1C_S1D_jS1E_jS1F_S1F_jjS1H_bEUljE0_EEES10_S11_S12_S19_S1D_S1F_T6_T7_T9_mT8_S1H_bDpT10_ENKUlT_T0_E_clISt17integral_constantIbLb0EES1V_EEDaS1Q_S1R_EUlS1Q_E_NS1_11comp_targetILNS1_3genE8ELNS1_11target_archE1030ELNS1_3gpuE2ELNS1_3repE0EEENS1_30default_config_static_selectorELNS0_4arch9wavefront6targetE0EEEvS13_.has_dyn_sized_stack, 0
	.set _ZN7rocprim17ROCPRIM_400000_NS6detail17trampoline_kernelINS0_13select_configILj256ELj13ELNS0_17block_load_methodE3ELS4_3ELS4_3ELNS0_20block_scan_algorithmE0ELj4294967295EEENS1_25partition_config_selectorILNS1_17partition_subalgoE4EjNS0_10empty_typeEbEEZZNS1_14partition_implILS8_4ELb0ES6_15HIP_vector_typeIjLj2EENS0_17counting_iteratorIjlEEPS9_SG_NS0_5tupleIJPjSI_NS0_16reverse_iteratorISI_EEEEENSH_IJSG_SG_SG_EEES9_SI_JZNS1_25segmented_radix_sort_implINS0_14default_configELb0EPK6__halfPSP_PKlPlN2at6native12_GLOBAL__N_18offset_tEEE10hipError_tPvRmT1_PNSt15iterator_traitsIS13_E10value_typeET2_T3_PNS14_IS19_E10value_typeET4_jRbjT5_S1F_jjP12ihipStream_tbEUljE_ZNSN_ISO_Lb0ESR_SS_SU_SV_SZ_EES10_S11_S12_S13_S17_S18_S19_S1C_S1D_jS1E_jS1F_S1F_jjS1H_bEUljE0_EEES10_S11_S12_S19_S1D_S1F_T6_T7_T9_mT8_S1H_bDpT10_ENKUlT_T0_E_clISt17integral_constantIbLb0EES1V_EEDaS1Q_S1R_EUlS1Q_E_NS1_11comp_targetILNS1_3genE8ELNS1_11target_archE1030ELNS1_3gpuE2ELNS1_3repE0EEENS1_30default_config_static_selectorELNS0_4arch9wavefront6targetE0EEEvS13_.has_recursion, 0
	.set _ZN7rocprim17ROCPRIM_400000_NS6detail17trampoline_kernelINS0_13select_configILj256ELj13ELNS0_17block_load_methodE3ELS4_3ELS4_3ELNS0_20block_scan_algorithmE0ELj4294967295EEENS1_25partition_config_selectorILNS1_17partition_subalgoE4EjNS0_10empty_typeEbEEZZNS1_14partition_implILS8_4ELb0ES6_15HIP_vector_typeIjLj2EENS0_17counting_iteratorIjlEEPS9_SG_NS0_5tupleIJPjSI_NS0_16reverse_iteratorISI_EEEEENSH_IJSG_SG_SG_EEES9_SI_JZNS1_25segmented_radix_sort_implINS0_14default_configELb0EPK6__halfPSP_PKlPlN2at6native12_GLOBAL__N_18offset_tEEE10hipError_tPvRmT1_PNSt15iterator_traitsIS13_E10value_typeET2_T3_PNS14_IS19_E10value_typeET4_jRbjT5_S1F_jjP12ihipStream_tbEUljE_ZNSN_ISO_Lb0ESR_SS_SU_SV_SZ_EES10_S11_S12_S13_S17_S18_S19_S1C_S1D_jS1E_jS1F_S1F_jjS1H_bEUljE0_EEES10_S11_S12_S19_S1D_S1F_T6_T7_T9_mT8_S1H_bDpT10_ENKUlT_T0_E_clISt17integral_constantIbLb0EES1V_EEDaS1Q_S1R_EUlS1Q_E_NS1_11comp_targetILNS1_3genE8ELNS1_11target_archE1030ELNS1_3gpuE2ELNS1_3repE0EEENS1_30default_config_static_selectorELNS0_4arch9wavefront6targetE0EEEvS13_.has_indirect_call, 0
	.section	.AMDGPU.csdata,"",@progbits
; Kernel info:
; codeLenInByte = 0
; TotalNumSgprs: 0
; NumVgprs: 0
; ScratchSize: 0
; MemoryBound: 0
; FloatMode: 240
; IeeeMode: 1
; LDSByteSize: 0 bytes/workgroup (compile time only)
; SGPRBlocks: 0
; VGPRBlocks: 0
; NumSGPRsForWavesPerEU: 1
; NumVGPRsForWavesPerEU: 1
; Occupancy: 16
; WaveLimiterHint : 0
; COMPUTE_PGM_RSRC2:SCRATCH_EN: 0
; COMPUTE_PGM_RSRC2:USER_SGPR: 2
; COMPUTE_PGM_RSRC2:TRAP_HANDLER: 0
; COMPUTE_PGM_RSRC2:TGID_X_EN: 1
; COMPUTE_PGM_RSRC2:TGID_Y_EN: 0
; COMPUTE_PGM_RSRC2:TGID_Z_EN: 0
; COMPUTE_PGM_RSRC2:TIDIG_COMP_CNT: 0
	.section	.text._ZN7rocprim17ROCPRIM_400000_NS6detail17trampoline_kernelINS0_13select_configILj256ELj13ELNS0_17block_load_methodE3ELS4_3ELS4_3ELNS0_20block_scan_algorithmE0ELj4294967295EEENS1_25partition_config_selectorILNS1_17partition_subalgoE4EjNS0_10empty_typeEbEEZZNS1_14partition_implILS8_4ELb0ES6_15HIP_vector_typeIjLj2EENS0_17counting_iteratorIjlEEPS9_SG_NS0_5tupleIJPjSI_NS0_16reverse_iteratorISI_EEEEENSH_IJSG_SG_SG_EEES9_SI_JZNS1_25segmented_radix_sort_implINS0_14default_configELb0EPK6__halfPSP_PKlPlN2at6native12_GLOBAL__N_18offset_tEEE10hipError_tPvRmT1_PNSt15iterator_traitsIS13_E10value_typeET2_T3_PNS14_IS19_E10value_typeET4_jRbjT5_S1F_jjP12ihipStream_tbEUljE_ZNSN_ISO_Lb0ESR_SS_SU_SV_SZ_EES10_S11_S12_S13_S17_S18_S19_S1C_S1D_jS1E_jS1F_S1F_jjS1H_bEUljE0_EEES10_S11_S12_S19_S1D_S1F_T6_T7_T9_mT8_S1H_bDpT10_ENKUlT_T0_E_clISt17integral_constantIbLb1EES1V_EEDaS1Q_S1R_EUlS1Q_E_NS1_11comp_targetILNS1_3genE0ELNS1_11target_archE4294967295ELNS1_3gpuE0ELNS1_3repE0EEENS1_30default_config_static_selectorELNS0_4arch9wavefront6targetE0EEEvS13_,"axG",@progbits,_ZN7rocprim17ROCPRIM_400000_NS6detail17trampoline_kernelINS0_13select_configILj256ELj13ELNS0_17block_load_methodE3ELS4_3ELS4_3ELNS0_20block_scan_algorithmE0ELj4294967295EEENS1_25partition_config_selectorILNS1_17partition_subalgoE4EjNS0_10empty_typeEbEEZZNS1_14partition_implILS8_4ELb0ES6_15HIP_vector_typeIjLj2EENS0_17counting_iteratorIjlEEPS9_SG_NS0_5tupleIJPjSI_NS0_16reverse_iteratorISI_EEEEENSH_IJSG_SG_SG_EEES9_SI_JZNS1_25segmented_radix_sort_implINS0_14default_configELb0EPK6__halfPSP_PKlPlN2at6native12_GLOBAL__N_18offset_tEEE10hipError_tPvRmT1_PNSt15iterator_traitsIS13_E10value_typeET2_T3_PNS14_IS19_E10value_typeET4_jRbjT5_S1F_jjP12ihipStream_tbEUljE_ZNSN_ISO_Lb0ESR_SS_SU_SV_SZ_EES10_S11_S12_S13_S17_S18_S19_S1C_S1D_jS1E_jS1F_S1F_jjS1H_bEUljE0_EEES10_S11_S12_S19_S1D_S1F_T6_T7_T9_mT8_S1H_bDpT10_ENKUlT_T0_E_clISt17integral_constantIbLb1EES1V_EEDaS1Q_S1R_EUlS1Q_E_NS1_11comp_targetILNS1_3genE0ELNS1_11target_archE4294967295ELNS1_3gpuE0ELNS1_3repE0EEENS1_30default_config_static_selectorELNS0_4arch9wavefront6targetE0EEEvS13_,comdat
	.globl	_ZN7rocprim17ROCPRIM_400000_NS6detail17trampoline_kernelINS0_13select_configILj256ELj13ELNS0_17block_load_methodE3ELS4_3ELS4_3ELNS0_20block_scan_algorithmE0ELj4294967295EEENS1_25partition_config_selectorILNS1_17partition_subalgoE4EjNS0_10empty_typeEbEEZZNS1_14partition_implILS8_4ELb0ES6_15HIP_vector_typeIjLj2EENS0_17counting_iteratorIjlEEPS9_SG_NS0_5tupleIJPjSI_NS0_16reverse_iteratorISI_EEEEENSH_IJSG_SG_SG_EEES9_SI_JZNS1_25segmented_radix_sort_implINS0_14default_configELb0EPK6__halfPSP_PKlPlN2at6native12_GLOBAL__N_18offset_tEEE10hipError_tPvRmT1_PNSt15iterator_traitsIS13_E10value_typeET2_T3_PNS14_IS19_E10value_typeET4_jRbjT5_S1F_jjP12ihipStream_tbEUljE_ZNSN_ISO_Lb0ESR_SS_SU_SV_SZ_EES10_S11_S12_S13_S17_S18_S19_S1C_S1D_jS1E_jS1F_S1F_jjS1H_bEUljE0_EEES10_S11_S12_S19_S1D_S1F_T6_T7_T9_mT8_S1H_bDpT10_ENKUlT_T0_E_clISt17integral_constantIbLb1EES1V_EEDaS1Q_S1R_EUlS1Q_E_NS1_11comp_targetILNS1_3genE0ELNS1_11target_archE4294967295ELNS1_3gpuE0ELNS1_3repE0EEENS1_30default_config_static_selectorELNS0_4arch9wavefront6targetE0EEEvS13_ ; -- Begin function _ZN7rocprim17ROCPRIM_400000_NS6detail17trampoline_kernelINS0_13select_configILj256ELj13ELNS0_17block_load_methodE3ELS4_3ELS4_3ELNS0_20block_scan_algorithmE0ELj4294967295EEENS1_25partition_config_selectorILNS1_17partition_subalgoE4EjNS0_10empty_typeEbEEZZNS1_14partition_implILS8_4ELb0ES6_15HIP_vector_typeIjLj2EENS0_17counting_iteratorIjlEEPS9_SG_NS0_5tupleIJPjSI_NS0_16reverse_iteratorISI_EEEEENSH_IJSG_SG_SG_EEES9_SI_JZNS1_25segmented_radix_sort_implINS0_14default_configELb0EPK6__halfPSP_PKlPlN2at6native12_GLOBAL__N_18offset_tEEE10hipError_tPvRmT1_PNSt15iterator_traitsIS13_E10value_typeET2_T3_PNS14_IS19_E10value_typeET4_jRbjT5_S1F_jjP12ihipStream_tbEUljE_ZNSN_ISO_Lb0ESR_SS_SU_SV_SZ_EES10_S11_S12_S13_S17_S18_S19_S1C_S1D_jS1E_jS1F_S1F_jjS1H_bEUljE0_EEES10_S11_S12_S19_S1D_S1F_T6_T7_T9_mT8_S1H_bDpT10_ENKUlT_T0_E_clISt17integral_constantIbLb1EES1V_EEDaS1Q_S1R_EUlS1Q_E_NS1_11comp_targetILNS1_3genE0ELNS1_11target_archE4294967295ELNS1_3gpuE0ELNS1_3repE0EEENS1_30default_config_static_selectorELNS0_4arch9wavefront6targetE0EEEvS13_
	.p2align	8
	.type	_ZN7rocprim17ROCPRIM_400000_NS6detail17trampoline_kernelINS0_13select_configILj256ELj13ELNS0_17block_load_methodE3ELS4_3ELS4_3ELNS0_20block_scan_algorithmE0ELj4294967295EEENS1_25partition_config_selectorILNS1_17partition_subalgoE4EjNS0_10empty_typeEbEEZZNS1_14partition_implILS8_4ELb0ES6_15HIP_vector_typeIjLj2EENS0_17counting_iteratorIjlEEPS9_SG_NS0_5tupleIJPjSI_NS0_16reverse_iteratorISI_EEEEENSH_IJSG_SG_SG_EEES9_SI_JZNS1_25segmented_radix_sort_implINS0_14default_configELb0EPK6__halfPSP_PKlPlN2at6native12_GLOBAL__N_18offset_tEEE10hipError_tPvRmT1_PNSt15iterator_traitsIS13_E10value_typeET2_T3_PNS14_IS19_E10value_typeET4_jRbjT5_S1F_jjP12ihipStream_tbEUljE_ZNSN_ISO_Lb0ESR_SS_SU_SV_SZ_EES10_S11_S12_S13_S17_S18_S19_S1C_S1D_jS1E_jS1F_S1F_jjS1H_bEUljE0_EEES10_S11_S12_S19_S1D_S1F_T6_T7_T9_mT8_S1H_bDpT10_ENKUlT_T0_E_clISt17integral_constantIbLb1EES1V_EEDaS1Q_S1R_EUlS1Q_E_NS1_11comp_targetILNS1_3genE0ELNS1_11target_archE4294967295ELNS1_3gpuE0ELNS1_3repE0EEENS1_30default_config_static_selectorELNS0_4arch9wavefront6targetE0EEEvS13_,@function
_ZN7rocprim17ROCPRIM_400000_NS6detail17trampoline_kernelINS0_13select_configILj256ELj13ELNS0_17block_load_methodE3ELS4_3ELS4_3ELNS0_20block_scan_algorithmE0ELj4294967295EEENS1_25partition_config_selectorILNS1_17partition_subalgoE4EjNS0_10empty_typeEbEEZZNS1_14partition_implILS8_4ELb0ES6_15HIP_vector_typeIjLj2EENS0_17counting_iteratorIjlEEPS9_SG_NS0_5tupleIJPjSI_NS0_16reverse_iteratorISI_EEEEENSH_IJSG_SG_SG_EEES9_SI_JZNS1_25segmented_radix_sort_implINS0_14default_configELb0EPK6__halfPSP_PKlPlN2at6native12_GLOBAL__N_18offset_tEEE10hipError_tPvRmT1_PNSt15iterator_traitsIS13_E10value_typeET2_T3_PNS14_IS19_E10value_typeET4_jRbjT5_S1F_jjP12ihipStream_tbEUljE_ZNSN_ISO_Lb0ESR_SS_SU_SV_SZ_EES10_S11_S12_S13_S17_S18_S19_S1C_S1D_jS1E_jS1F_S1F_jjS1H_bEUljE0_EEES10_S11_S12_S19_S1D_S1F_T6_T7_T9_mT8_S1H_bDpT10_ENKUlT_T0_E_clISt17integral_constantIbLb1EES1V_EEDaS1Q_S1R_EUlS1Q_E_NS1_11comp_targetILNS1_3genE0ELNS1_11target_archE4294967295ELNS1_3gpuE0ELNS1_3repE0EEENS1_30default_config_static_selectorELNS0_4arch9wavefront6targetE0EEEvS13_: ; @_ZN7rocprim17ROCPRIM_400000_NS6detail17trampoline_kernelINS0_13select_configILj256ELj13ELNS0_17block_load_methodE3ELS4_3ELS4_3ELNS0_20block_scan_algorithmE0ELj4294967295EEENS1_25partition_config_selectorILNS1_17partition_subalgoE4EjNS0_10empty_typeEbEEZZNS1_14partition_implILS8_4ELb0ES6_15HIP_vector_typeIjLj2EENS0_17counting_iteratorIjlEEPS9_SG_NS0_5tupleIJPjSI_NS0_16reverse_iteratorISI_EEEEENSH_IJSG_SG_SG_EEES9_SI_JZNS1_25segmented_radix_sort_implINS0_14default_configELb0EPK6__halfPSP_PKlPlN2at6native12_GLOBAL__N_18offset_tEEE10hipError_tPvRmT1_PNSt15iterator_traitsIS13_E10value_typeET2_T3_PNS14_IS19_E10value_typeET4_jRbjT5_S1F_jjP12ihipStream_tbEUljE_ZNSN_ISO_Lb0ESR_SS_SU_SV_SZ_EES10_S11_S12_S13_S17_S18_S19_S1C_S1D_jS1E_jS1F_S1F_jjS1H_bEUljE0_EEES10_S11_S12_S19_S1D_S1F_T6_T7_T9_mT8_S1H_bDpT10_ENKUlT_T0_E_clISt17integral_constantIbLb1EES1V_EEDaS1Q_S1R_EUlS1Q_E_NS1_11comp_targetILNS1_3genE0ELNS1_11target_archE4294967295ELNS1_3gpuE0ELNS1_3repE0EEENS1_30default_config_static_selectorELNS0_4arch9wavefront6targetE0EEEvS13_
; %bb.0:
	.section	.rodata,"a",@progbits
	.p2align	6, 0x0
	.amdhsa_kernel _ZN7rocprim17ROCPRIM_400000_NS6detail17trampoline_kernelINS0_13select_configILj256ELj13ELNS0_17block_load_methodE3ELS4_3ELS4_3ELNS0_20block_scan_algorithmE0ELj4294967295EEENS1_25partition_config_selectorILNS1_17partition_subalgoE4EjNS0_10empty_typeEbEEZZNS1_14partition_implILS8_4ELb0ES6_15HIP_vector_typeIjLj2EENS0_17counting_iteratorIjlEEPS9_SG_NS0_5tupleIJPjSI_NS0_16reverse_iteratorISI_EEEEENSH_IJSG_SG_SG_EEES9_SI_JZNS1_25segmented_radix_sort_implINS0_14default_configELb0EPK6__halfPSP_PKlPlN2at6native12_GLOBAL__N_18offset_tEEE10hipError_tPvRmT1_PNSt15iterator_traitsIS13_E10value_typeET2_T3_PNS14_IS19_E10value_typeET4_jRbjT5_S1F_jjP12ihipStream_tbEUljE_ZNSN_ISO_Lb0ESR_SS_SU_SV_SZ_EES10_S11_S12_S13_S17_S18_S19_S1C_S1D_jS1E_jS1F_S1F_jjS1H_bEUljE0_EEES10_S11_S12_S19_S1D_S1F_T6_T7_T9_mT8_S1H_bDpT10_ENKUlT_T0_E_clISt17integral_constantIbLb1EES1V_EEDaS1Q_S1R_EUlS1Q_E_NS1_11comp_targetILNS1_3genE0ELNS1_11target_archE4294967295ELNS1_3gpuE0ELNS1_3repE0EEENS1_30default_config_static_selectorELNS0_4arch9wavefront6targetE0EEEvS13_
		.amdhsa_group_segment_fixed_size 0
		.amdhsa_private_segment_fixed_size 0
		.amdhsa_kernarg_size 184
		.amdhsa_user_sgpr_count 2
		.amdhsa_user_sgpr_dispatch_ptr 0
		.amdhsa_user_sgpr_queue_ptr 0
		.amdhsa_user_sgpr_kernarg_segment_ptr 1
		.amdhsa_user_sgpr_dispatch_id 0
		.amdhsa_user_sgpr_private_segment_size 0
		.amdhsa_wavefront_size32 1
		.amdhsa_uses_dynamic_stack 0
		.amdhsa_enable_private_segment 0
		.amdhsa_system_sgpr_workgroup_id_x 1
		.amdhsa_system_sgpr_workgroup_id_y 0
		.amdhsa_system_sgpr_workgroup_id_z 0
		.amdhsa_system_sgpr_workgroup_info 0
		.amdhsa_system_vgpr_workitem_id 0
		.amdhsa_next_free_vgpr 1
		.amdhsa_next_free_sgpr 1
		.amdhsa_reserve_vcc 0
		.amdhsa_float_round_mode_32 0
		.amdhsa_float_round_mode_16_64 0
		.amdhsa_float_denorm_mode_32 3
		.amdhsa_float_denorm_mode_16_64 3
		.amdhsa_fp16_overflow 0
		.amdhsa_workgroup_processor_mode 1
		.amdhsa_memory_ordered 1
		.amdhsa_forward_progress 1
		.amdhsa_inst_pref_size 0
		.amdhsa_round_robin_scheduling 0
		.amdhsa_exception_fp_ieee_invalid_op 0
		.amdhsa_exception_fp_denorm_src 0
		.amdhsa_exception_fp_ieee_div_zero 0
		.amdhsa_exception_fp_ieee_overflow 0
		.amdhsa_exception_fp_ieee_underflow 0
		.amdhsa_exception_fp_ieee_inexact 0
		.amdhsa_exception_int_div_zero 0
	.end_amdhsa_kernel
	.section	.text._ZN7rocprim17ROCPRIM_400000_NS6detail17trampoline_kernelINS0_13select_configILj256ELj13ELNS0_17block_load_methodE3ELS4_3ELS4_3ELNS0_20block_scan_algorithmE0ELj4294967295EEENS1_25partition_config_selectorILNS1_17partition_subalgoE4EjNS0_10empty_typeEbEEZZNS1_14partition_implILS8_4ELb0ES6_15HIP_vector_typeIjLj2EENS0_17counting_iteratorIjlEEPS9_SG_NS0_5tupleIJPjSI_NS0_16reverse_iteratorISI_EEEEENSH_IJSG_SG_SG_EEES9_SI_JZNS1_25segmented_radix_sort_implINS0_14default_configELb0EPK6__halfPSP_PKlPlN2at6native12_GLOBAL__N_18offset_tEEE10hipError_tPvRmT1_PNSt15iterator_traitsIS13_E10value_typeET2_T3_PNS14_IS19_E10value_typeET4_jRbjT5_S1F_jjP12ihipStream_tbEUljE_ZNSN_ISO_Lb0ESR_SS_SU_SV_SZ_EES10_S11_S12_S13_S17_S18_S19_S1C_S1D_jS1E_jS1F_S1F_jjS1H_bEUljE0_EEES10_S11_S12_S19_S1D_S1F_T6_T7_T9_mT8_S1H_bDpT10_ENKUlT_T0_E_clISt17integral_constantIbLb1EES1V_EEDaS1Q_S1R_EUlS1Q_E_NS1_11comp_targetILNS1_3genE0ELNS1_11target_archE4294967295ELNS1_3gpuE0ELNS1_3repE0EEENS1_30default_config_static_selectorELNS0_4arch9wavefront6targetE0EEEvS13_,"axG",@progbits,_ZN7rocprim17ROCPRIM_400000_NS6detail17trampoline_kernelINS0_13select_configILj256ELj13ELNS0_17block_load_methodE3ELS4_3ELS4_3ELNS0_20block_scan_algorithmE0ELj4294967295EEENS1_25partition_config_selectorILNS1_17partition_subalgoE4EjNS0_10empty_typeEbEEZZNS1_14partition_implILS8_4ELb0ES6_15HIP_vector_typeIjLj2EENS0_17counting_iteratorIjlEEPS9_SG_NS0_5tupleIJPjSI_NS0_16reverse_iteratorISI_EEEEENSH_IJSG_SG_SG_EEES9_SI_JZNS1_25segmented_radix_sort_implINS0_14default_configELb0EPK6__halfPSP_PKlPlN2at6native12_GLOBAL__N_18offset_tEEE10hipError_tPvRmT1_PNSt15iterator_traitsIS13_E10value_typeET2_T3_PNS14_IS19_E10value_typeET4_jRbjT5_S1F_jjP12ihipStream_tbEUljE_ZNSN_ISO_Lb0ESR_SS_SU_SV_SZ_EES10_S11_S12_S13_S17_S18_S19_S1C_S1D_jS1E_jS1F_S1F_jjS1H_bEUljE0_EEES10_S11_S12_S19_S1D_S1F_T6_T7_T9_mT8_S1H_bDpT10_ENKUlT_T0_E_clISt17integral_constantIbLb1EES1V_EEDaS1Q_S1R_EUlS1Q_E_NS1_11comp_targetILNS1_3genE0ELNS1_11target_archE4294967295ELNS1_3gpuE0ELNS1_3repE0EEENS1_30default_config_static_selectorELNS0_4arch9wavefront6targetE0EEEvS13_,comdat
.Lfunc_end1786:
	.size	_ZN7rocprim17ROCPRIM_400000_NS6detail17trampoline_kernelINS0_13select_configILj256ELj13ELNS0_17block_load_methodE3ELS4_3ELS4_3ELNS0_20block_scan_algorithmE0ELj4294967295EEENS1_25partition_config_selectorILNS1_17partition_subalgoE4EjNS0_10empty_typeEbEEZZNS1_14partition_implILS8_4ELb0ES6_15HIP_vector_typeIjLj2EENS0_17counting_iteratorIjlEEPS9_SG_NS0_5tupleIJPjSI_NS0_16reverse_iteratorISI_EEEEENSH_IJSG_SG_SG_EEES9_SI_JZNS1_25segmented_radix_sort_implINS0_14default_configELb0EPK6__halfPSP_PKlPlN2at6native12_GLOBAL__N_18offset_tEEE10hipError_tPvRmT1_PNSt15iterator_traitsIS13_E10value_typeET2_T3_PNS14_IS19_E10value_typeET4_jRbjT5_S1F_jjP12ihipStream_tbEUljE_ZNSN_ISO_Lb0ESR_SS_SU_SV_SZ_EES10_S11_S12_S13_S17_S18_S19_S1C_S1D_jS1E_jS1F_S1F_jjS1H_bEUljE0_EEES10_S11_S12_S19_S1D_S1F_T6_T7_T9_mT8_S1H_bDpT10_ENKUlT_T0_E_clISt17integral_constantIbLb1EES1V_EEDaS1Q_S1R_EUlS1Q_E_NS1_11comp_targetILNS1_3genE0ELNS1_11target_archE4294967295ELNS1_3gpuE0ELNS1_3repE0EEENS1_30default_config_static_selectorELNS0_4arch9wavefront6targetE0EEEvS13_, .Lfunc_end1786-_ZN7rocprim17ROCPRIM_400000_NS6detail17trampoline_kernelINS0_13select_configILj256ELj13ELNS0_17block_load_methodE3ELS4_3ELS4_3ELNS0_20block_scan_algorithmE0ELj4294967295EEENS1_25partition_config_selectorILNS1_17partition_subalgoE4EjNS0_10empty_typeEbEEZZNS1_14partition_implILS8_4ELb0ES6_15HIP_vector_typeIjLj2EENS0_17counting_iteratorIjlEEPS9_SG_NS0_5tupleIJPjSI_NS0_16reverse_iteratorISI_EEEEENSH_IJSG_SG_SG_EEES9_SI_JZNS1_25segmented_radix_sort_implINS0_14default_configELb0EPK6__halfPSP_PKlPlN2at6native12_GLOBAL__N_18offset_tEEE10hipError_tPvRmT1_PNSt15iterator_traitsIS13_E10value_typeET2_T3_PNS14_IS19_E10value_typeET4_jRbjT5_S1F_jjP12ihipStream_tbEUljE_ZNSN_ISO_Lb0ESR_SS_SU_SV_SZ_EES10_S11_S12_S13_S17_S18_S19_S1C_S1D_jS1E_jS1F_S1F_jjS1H_bEUljE0_EEES10_S11_S12_S19_S1D_S1F_T6_T7_T9_mT8_S1H_bDpT10_ENKUlT_T0_E_clISt17integral_constantIbLb1EES1V_EEDaS1Q_S1R_EUlS1Q_E_NS1_11comp_targetILNS1_3genE0ELNS1_11target_archE4294967295ELNS1_3gpuE0ELNS1_3repE0EEENS1_30default_config_static_selectorELNS0_4arch9wavefront6targetE0EEEvS13_
                                        ; -- End function
	.set _ZN7rocprim17ROCPRIM_400000_NS6detail17trampoline_kernelINS0_13select_configILj256ELj13ELNS0_17block_load_methodE3ELS4_3ELS4_3ELNS0_20block_scan_algorithmE0ELj4294967295EEENS1_25partition_config_selectorILNS1_17partition_subalgoE4EjNS0_10empty_typeEbEEZZNS1_14partition_implILS8_4ELb0ES6_15HIP_vector_typeIjLj2EENS0_17counting_iteratorIjlEEPS9_SG_NS0_5tupleIJPjSI_NS0_16reverse_iteratorISI_EEEEENSH_IJSG_SG_SG_EEES9_SI_JZNS1_25segmented_radix_sort_implINS0_14default_configELb0EPK6__halfPSP_PKlPlN2at6native12_GLOBAL__N_18offset_tEEE10hipError_tPvRmT1_PNSt15iterator_traitsIS13_E10value_typeET2_T3_PNS14_IS19_E10value_typeET4_jRbjT5_S1F_jjP12ihipStream_tbEUljE_ZNSN_ISO_Lb0ESR_SS_SU_SV_SZ_EES10_S11_S12_S13_S17_S18_S19_S1C_S1D_jS1E_jS1F_S1F_jjS1H_bEUljE0_EEES10_S11_S12_S19_S1D_S1F_T6_T7_T9_mT8_S1H_bDpT10_ENKUlT_T0_E_clISt17integral_constantIbLb1EES1V_EEDaS1Q_S1R_EUlS1Q_E_NS1_11comp_targetILNS1_3genE0ELNS1_11target_archE4294967295ELNS1_3gpuE0ELNS1_3repE0EEENS1_30default_config_static_selectorELNS0_4arch9wavefront6targetE0EEEvS13_.num_vgpr, 0
	.set _ZN7rocprim17ROCPRIM_400000_NS6detail17trampoline_kernelINS0_13select_configILj256ELj13ELNS0_17block_load_methodE3ELS4_3ELS4_3ELNS0_20block_scan_algorithmE0ELj4294967295EEENS1_25partition_config_selectorILNS1_17partition_subalgoE4EjNS0_10empty_typeEbEEZZNS1_14partition_implILS8_4ELb0ES6_15HIP_vector_typeIjLj2EENS0_17counting_iteratorIjlEEPS9_SG_NS0_5tupleIJPjSI_NS0_16reverse_iteratorISI_EEEEENSH_IJSG_SG_SG_EEES9_SI_JZNS1_25segmented_radix_sort_implINS0_14default_configELb0EPK6__halfPSP_PKlPlN2at6native12_GLOBAL__N_18offset_tEEE10hipError_tPvRmT1_PNSt15iterator_traitsIS13_E10value_typeET2_T3_PNS14_IS19_E10value_typeET4_jRbjT5_S1F_jjP12ihipStream_tbEUljE_ZNSN_ISO_Lb0ESR_SS_SU_SV_SZ_EES10_S11_S12_S13_S17_S18_S19_S1C_S1D_jS1E_jS1F_S1F_jjS1H_bEUljE0_EEES10_S11_S12_S19_S1D_S1F_T6_T7_T9_mT8_S1H_bDpT10_ENKUlT_T0_E_clISt17integral_constantIbLb1EES1V_EEDaS1Q_S1R_EUlS1Q_E_NS1_11comp_targetILNS1_3genE0ELNS1_11target_archE4294967295ELNS1_3gpuE0ELNS1_3repE0EEENS1_30default_config_static_selectorELNS0_4arch9wavefront6targetE0EEEvS13_.num_agpr, 0
	.set _ZN7rocprim17ROCPRIM_400000_NS6detail17trampoline_kernelINS0_13select_configILj256ELj13ELNS0_17block_load_methodE3ELS4_3ELS4_3ELNS0_20block_scan_algorithmE0ELj4294967295EEENS1_25partition_config_selectorILNS1_17partition_subalgoE4EjNS0_10empty_typeEbEEZZNS1_14partition_implILS8_4ELb0ES6_15HIP_vector_typeIjLj2EENS0_17counting_iteratorIjlEEPS9_SG_NS0_5tupleIJPjSI_NS0_16reverse_iteratorISI_EEEEENSH_IJSG_SG_SG_EEES9_SI_JZNS1_25segmented_radix_sort_implINS0_14default_configELb0EPK6__halfPSP_PKlPlN2at6native12_GLOBAL__N_18offset_tEEE10hipError_tPvRmT1_PNSt15iterator_traitsIS13_E10value_typeET2_T3_PNS14_IS19_E10value_typeET4_jRbjT5_S1F_jjP12ihipStream_tbEUljE_ZNSN_ISO_Lb0ESR_SS_SU_SV_SZ_EES10_S11_S12_S13_S17_S18_S19_S1C_S1D_jS1E_jS1F_S1F_jjS1H_bEUljE0_EEES10_S11_S12_S19_S1D_S1F_T6_T7_T9_mT8_S1H_bDpT10_ENKUlT_T0_E_clISt17integral_constantIbLb1EES1V_EEDaS1Q_S1R_EUlS1Q_E_NS1_11comp_targetILNS1_3genE0ELNS1_11target_archE4294967295ELNS1_3gpuE0ELNS1_3repE0EEENS1_30default_config_static_selectorELNS0_4arch9wavefront6targetE0EEEvS13_.numbered_sgpr, 0
	.set _ZN7rocprim17ROCPRIM_400000_NS6detail17trampoline_kernelINS0_13select_configILj256ELj13ELNS0_17block_load_methodE3ELS4_3ELS4_3ELNS0_20block_scan_algorithmE0ELj4294967295EEENS1_25partition_config_selectorILNS1_17partition_subalgoE4EjNS0_10empty_typeEbEEZZNS1_14partition_implILS8_4ELb0ES6_15HIP_vector_typeIjLj2EENS0_17counting_iteratorIjlEEPS9_SG_NS0_5tupleIJPjSI_NS0_16reverse_iteratorISI_EEEEENSH_IJSG_SG_SG_EEES9_SI_JZNS1_25segmented_radix_sort_implINS0_14default_configELb0EPK6__halfPSP_PKlPlN2at6native12_GLOBAL__N_18offset_tEEE10hipError_tPvRmT1_PNSt15iterator_traitsIS13_E10value_typeET2_T3_PNS14_IS19_E10value_typeET4_jRbjT5_S1F_jjP12ihipStream_tbEUljE_ZNSN_ISO_Lb0ESR_SS_SU_SV_SZ_EES10_S11_S12_S13_S17_S18_S19_S1C_S1D_jS1E_jS1F_S1F_jjS1H_bEUljE0_EEES10_S11_S12_S19_S1D_S1F_T6_T7_T9_mT8_S1H_bDpT10_ENKUlT_T0_E_clISt17integral_constantIbLb1EES1V_EEDaS1Q_S1R_EUlS1Q_E_NS1_11comp_targetILNS1_3genE0ELNS1_11target_archE4294967295ELNS1_3gpuE0ELNS1_3repE0EEENS1_30default_config_static_selectorELNS0_4arch9wavefront6targetE0EEEvS13_.num_named_barrier, 0
	.set _ZN7rocprim17ROCPRIM_400000_NS6detail17trampoline_kernelINS0_13select_configILj256ELj13ELNS0_17block_load_methodE3ELS4_3ELS4_3ELNS0_20block_scan_algorithmE0ELj4294967295EEENS1_25partition_config_selectorILNS1_17partition_subalgoE4EjNS0_10empty_typeEbEEZZNS1_14partition_implILS8_4ELb0ES6_15HIP_vector_typeIjLj2EENS0_17counting_iteratorIjlEEPS9_SG_NS0_5tupleIJPjSI_NS0_16reverse_iteratorISI_EEEEENSH_IJSG_SG_SG_EEES9_SI_JZNS1_25segmented_radix_sort_implINS0_14default_configELb0EPK6__halfPSP_PKlPlN2at6native12_GLOBAL__N_18offset_tEEE10hipError_tPvRmT1_PNSt15iterator_traitsIS13_E10value_typeET2_T3_PNS14_IS19_E10value_typeET4_jRbjT5_S1F_jjP12ihipStream_tbEUljE_ZNSN_ISO_Lb0ESR_SS_SU_SV_SZ_EES10_S11_S12_S13_S17_S18_S19_S1C_S1D_jS1E_jS1F_S1F_jjS1H_bEUljE0_EEES10_S11_S12_S19_S1D_S1F_T6_T7_T9_mT8_S1H_bDpT10_ENKUlT_T0_E_clISt17integral_constantIbLb1EES1V_EEDaS1Q_S1R_EUlS1Q_E_NS1_11comp_targetILNS1_3genE0ELNS1_11target_archE4294967295ELNS1_3gpuE0ELNS1_3repE0EEENS1_30default_config_static_selectorELNS0_4arch9wavefront6targetE0EEEvS13_.private_seg_size, 0
	.set _ZN7rocprim17ROCPRIM_400000_NS6detail17trampoline_kernelINS0_13select_configILj256ELj13ELNS0_17block_load_methodE3ELS4_3ELS4_3ELNS0_20block_scan_algorithmE0ELj4294967295EEENS1_25partition_config_selectorILNS1_17partition_subalgoE4EjNS0_10empty_typeEbEEZZNS1_14partition_implILS8_4ELb0ES6_15HIP_vector_typeIjLj2EENS0_17counting_iteratorIjlEEPS9_SG_NS0_5tupleIJPjSI_NS0_16reverse_iteratorISI_EEEEENSH_IJSG_SG_SG_EEES9_SI_JZNS1_25segmented_radix_sort_implINS0_14default_configELb0EPK6__halfPSP_PKlPlN2at6native12_GLOBAL__N_18offset_tEEE10hipError_tPvRmT1_PNSt15iterator_traitsIS13_E10value_typeET2_T3_PNS14_IS19_E10value_typeET4_jRbjT5_S1F_jjP12ihipStream_tbEUljE_ZNSN_ISO_Lb0ESR_SS_SU_SV_SZ_EES10_S11_S12_S13_S17_S18_S19_S1C_S1D_jS1E_jS1F_S1F_jjS1H_bEUljE0_EEES10_S11_S12_S19_S1D_S1F_T6_T7_T9_mT8_S1H_bDpT10_ENKUlT_T0_E_clISt17integral_constantIbLb1EES1V_EEDaS1Q_S1R_EUlS1Q_E_NS1_11comp_targetILNS1_3genE0ELNS1_11target_archE4294967295ELNS1_3gpuE0ELNS1_3repE0EEENS1_30default_config_static_selectorELNS0_4arch9wavefront6targetE0EEEvS13_.uses_vcc, 0
	.set _ZN7rocprim17ROCPRIM_400000_NS6detail17trampoline_kernelINS0_13select_configILj256ELj13ELNS0_17block_load_methodE3ELS4_3ELS4_3ELNS0_20block_scan_algorithmE0ELj4294967295EEENS1_25partition_config_selectorILNS1_17partition_subalgoE4EjNS0_10empty_typeEbEEZZNS1_14partition_implILS8_4ELb0ES6_15HIP_vector_typeIjLj2EENS0_17counting_iteratorIjlEEPS9_SG_NS0_5tupleIJPjSI_NS0_16reverse_iteratorISI_EEEEENSH_IJSG_SG_SG_EEES9_SI_JZNS1_25segmented_radix_sort_implINS0_14default_configELb0EPK6__halfPSP_PKlPlN2at6native12_GLOBAL__N_18offset_tEEE10hipError_tPvRmT1_PNSt15iterator_traitsIS13_E10value_typeET2_T3_PNS14_IS19_E10value_typeET4_jRbjT5_S1F_jjP12ihipStream_tbEUljE_ZNSN_ISO_Lb0ESR_SS_SU_SV_SZ_EES10_S11_S12_S13_S17_S18_S19_S1C_S1D_jS1E_jS1F_S1F_jjS1H_bEUljE0_EEES10_S11_S12_S19_S1D_S1F_T6_T7_T9_mT8_S1H_bDpT10_ENKUlT_T0_E_clISt17integral_constantIbLb1EES1V_EEDaS1Q_S1R_EUlS1Q_E_NS1_11comp_targetILNS1_3genE0ELNS1_11target_archE4294967295ELNS1_3gpuE0ELNS1_3repE0EEENS1_30default_config_static_selectorELNS0_4arch9wavefront6targetE0EEEvS13_.uses_flat_scratch, 0
	.set _ZN7rocprim17ROCPRIM_400000_NS6detail17trampoline_kernelINS0_13select_configILj256ELj13ELNS0_17block_load_methodE3ELS4_3ELS4_3ELNS0_20block_scan_algorithmE0ELj4294967295EEENS1_25partition_config_selectorILNS1_17partition_subalgoE4EjNS0_10empty_typeEbEEZZNS1_14partition_implILS8_4ELb0ES6_15HIP_vector_typeIjLj2EENS0_17counting_iteratorIjlEEPS9_SG_NS0_5tupleIJPjSI_NS0_16reverse_iteratorISI_EEEEENSH_IJSG_SG_SG_EEES9_SI_JZNS1_25segmented_radix_sort_implINS0_14default_configELb0EPK6__halfPSP_PKlPlN2at6native12_GLOBAL__N_18offset_tEEE10hipError_tPvRmT1_PNSt15iterator_traitsIS13_E10value_typeET2_T3_PNS14_IS19_E10value_typeET4_jRbjT5_S1F_jjP12ihipStream_tbEUljE_ZNSN_ISO_Lb0ESR_SS_SU_SV_SZ_EES10_S11_S12_S13_S17_S18_S19_S1C_S1D_jS1E_jS1F_S1F_jjS1H_bEUljE0_EEES10_S11_S12_S19_S1D_S1F_T6_T7_T9_mT8_S1H_bDpT10_ENKUlT_T0_E_clISt17integral_constantIbLb1EES1V_EEDaS1Q_S1R_EUlS1Q_E_NS1_11comp_targetILNS1_3genE0ELNS1_11target_archE4294967295ELNS1_3gpuE0ELNS1_3repE0EEENS1_30default_config_static_selectorELNS0_4arch9wavefront6targetE0EEEvS13_.has_dyn_sized_stack, 0
	.set _ZN7rocprim17ROCPRIM_400000_NS6detail17trampoline_kernelINS0_13select_configILj256ELj13ELNS0_17block_load_methodE3ELS4_3ELS4_3ELNS0_20block_scan_algorithmE0ELj4294967295EEENS1_25partition_config_selectorILNS1_17partition_subalgoE4EjNS0_10empty_typeEbEEZZNS1_14partition_implILS8_4ELb0ES6_15HIP_vector_typeIjLj2EENS0_17counting_iteratorIjlEEPS9_SG_NS0_5tupleIJPjSI_NS0_16reverse_iteratorISI_EEEEENSH_IJSG_SG_SG_EEES9_SI_JZNS1_25segmented_radix_sort_implINS0_14default_configELb0EPK6__halfPSP_PKlPlN2at6native12_GLOBAL__N_18offset_tEEE10hipError_tPvRmT1_PNSt15iterator_traitsIS13_E10value_typeET2_T3_PNS14_IS19_E10value_typeET4_jRbjT5_S1F_jjP12ihipStream_tbEUljE_ZNSN_ISO_Lb0ESR_SS_SU_SV_SZ_EES10_S11_S12_S13_S17_S18_S19_S1C_S1D_jS1E_jS1F_S1F_jjS1H_bEUljE0_EEES10_S11_S12_S19_S1D_S1F_T6_T7_T9_mT8_S1H_bDpT10_ENKUlT_T0_E_clISt17integral_constantIbLb1EES1V_EEDaS1Q_S1R_EUlS1Q_E_NS1_11comp_targetILNS1_3genE0ELNS1_11target_archE4294967295ELNS1_3gpuE0ELNS1_3repE0EEENS1_30default_config_static_selectorELNS0_4arch9wavefront6targetE0EEEvS13_.has_recursion, 0
	.set _ZN7rocprim17ROCPRIM_400000_NS6detail17trampoline_kernelINS0_13select_configILj256ELj13ELNS0_17block_load_methodE3ELS4_3ELS4_3ELNS0_20block_scan_algorithmE0ELj4294967295EEENS1_25partition_config_selectorILNS1_17partition_subalgoE4EjNS0_10empty_typeEbEEZZNS1_14partition_implILS8_4ELb0ES6_15HIP_vector_typeIjLj2EENS0_17counting_iteratorIjlEEPS9_SG_NS0_5tupleIJPjSI_NS0_16reverse_iteratorISI_EEEEENSH_IJSG_SG_SG_EEES9_SI_JZNS1_25segmented_radix_sort_implINS0_14default_configELb0EPK6__halfPSP_PKlPlN2at6native12_GLOBAL__N_18offset_tEEE10hipError_tPvRmT1_PNSt15iterator_traitsIS13_E10value_typeET2_T3_PNS14_IS19_E10value_typeET4_jRbjT5_S1F_jjP12ihipStream_tbEUljE_ZNSN_ISO_Lb0ESR_SS_SU_SV_SZ_EES10_S11_S12_S13_S17_S18_S19_S1C_S1D_jS1E_jS1F_S1F_jjS1H_bEUljE0_EEES10_S11_S12_S19_S1D_S1F_T6_T7_T9_mT8_S1H_bDpT10_ENKUlT_T0_E_clISt17integral_constantIbLb1EES1V_EEDaS1Q_S1R_EUlS1Q_E_NS1_11comp_targetILNS1_3genE0ELNS1_11target_archE4294967295ELNS1_3gpuE0ELNS1_3repE0EEENS1_30default_config_static_selectorELNS0_4arch9wavefront6targetE0EEEvS13_.has_indirect_call, 0
	.section	.AMDGPU.csdata,"",@progbits
; Kernel info:
; codeLenInByte = 0
; TotalNumSgprs: 0
; NumVgprs: 0
; ScratchSize: 0
; MemoryBound: 0
; FloatMode: 240
; IeeeMode: 1
; LDSByteSize: 0 bytes/workgroup (compile time only)
; SGPRBlocks: 0
; VGPRBlocks: 0
; NumSGPRsForWavesPerEU: 1
; NumVGPRsForWavesPerEU: 1
; Occupancy: 16
; WaveLimiterHint : 0
; COMPUTE_PGM_RSRC2:SCRATCH_EN: 0
; COMPUTE_PGM_RSRC2:USER_SGPR: 2
; COMPUTE_PGM_RSRC2:TRAP_HANDLER: 0
; COMPUTE_PGM_RSRC2:TGID_X_EN: 1
; COMPUTE_PGM_RSRC2:TGID_Y_EN: 0
; COMPUTE_PGM_RSRC2:TGID_Z_EN: 0
; COMPUTE_PGM_RSRC2:TIDIG_COMP_CNT: 0
	.section	.text._ZN7rocprim17ROCPRIM_400000_NS6detail17trampoline_kernelINS0_13select_configILj256ELj13ELNS0_17block_load_methodE3ELS4_3ELS4_3ELNS0_20block_scan_algorithmE0ELj4294967295EEENS1_25partition_config_selectorILNS1_17partition_subalgoE4EjNS0_10empty_typeEbEEZZNS1_14partition_implILS8_4ELb0ES6_15HIP_vector_typeIjLj2EENS0_17counting_iteratorIjlEEPS9_SG_NS0_5tupleIJPjSI_NS0_16reverse_iteratorISI_EEEEENSH_IJSG_SG_SG_EEES9_SI_JZNS1_25segmented_radix_sort_implINS0_14default_configELb0EPK6__halfPSP_PKlPlN2at6native12_GLOBAL__N_18offset_tEEE10hipError_tPvRmT1_PNSt15iterator_traitsIS13_E10value_typeET2_T3_PNS14_IS19_E10value_typeET4_jRbjT5_S1F_jjP12ihipStream_tbEUljE_ZNSN_ISO_Lb0ESR_SS_SU_SV_SZ_EES10_S11_S12_S13_S17_S18_S19_S1C_S1D_jS1E_jS1F_S1F_jjS1H_bEUljE0_EEES10_S11_S12_S19_S1D_S1F_T6_T7_T9_mT8_S1H_bDpT10_ENKUlT_T0_E_clISt17integral_constantIbLb1EES1V_EEDaS1Q_S1R_EUlS1Q_E_NS1_11comp_targetILNS1_3genE5ELNS1_11target_archE942ELNS1_3gpuE9ELNS1_3repE0EEENS1_30default_config_static_selectorELNS0_4arch9wavefront6targetE0EEEvS13_,"axG",@progbits,_ZN7rocprim17ROCPRIM_400000_NS6detail17trampoline_kernelINS0_13select_configILj256ELj13ELNS0_17block_load_methodE3ELS4_3ELS4_3ELNS0_20block_scan_algorithmE0ELj4294967295EEENS1_25partition_config_selectorILNS1_17partition_subalgoE4EjNS0_10empty_typeEbEEZZNS1_14partition_implILS8_4ELb0ES6_15HIP_vector_typeIjLj2EENS0_17counting_iteratorIjlEEPS9_SG_NS0_5tupleIJPjSI_NS0_16reverse_iteratorISI_EEEEENSH_IJSG_SG_SG_EEES9_SI_JZNS1_25segmented_radix_sort_implINS0_14default_configELb0EPK6__halfPSP_PKlPlN2at6native12_GLOBAL__N_18offset_tEEE10hipError_tPvRmT1_PNSt15iterator_traitsIS13_E10value_typeET2_T3_PNS14_IS19_E10value_typeET4_jRbjT5_S1F_jjP12ihipStream_tbEUljE_ZNSN_ISO_Lb0ESR_SS_SU_SV_SZ_EES10_S11_S12_S13_S17_S18_S19_S1C_S1D_jS1E_jS1F_S1F_jjS1H_bEUljE0_EEES10_S11_S12_S19_S1D_S1F_T6_T7_T9_mT8_S1H_bDpT10_ENKUlT_T0_E_clISt17integral_constantIbLb1EES1V_EEDaS1Q_S1R_EUlS1Q_E_NS1_11comp_targetILNS1_3genE5ELNS1_11target_archE942ELNS1_3gpuE9ELNS1_3repE0EEENS1_30default_config_static_selectorELNS0_4arch9wavefront6targetE0EEEvS13_,comdat
	.globl	_ZN7rocprim17ROCPRIM_400000_NS6detail17trampoline_kernelINS0_13select_configILj256ELj13ELNS0_17block_load_methodE3ELS4_3ELS4_3ELNS0_20block_scan_algorithmE0ELj4294967295EEENS1_25partition_config_selectorILNS1_17partition_subalgoE4EjNS0_10empty_typeEbEEZZNS1_14partition_implILS8_4ELb0ES6_15HIP_vector_typeIjLj2EENS0_17counting_iteratorIjlEEPS9_SG_NS0_5tupleIJPjSI_NS0_16reverse_iteratorISI_EEEEENSH_IJSG_SG_SG_EEES9_SI_JZNS1_25segmented_radix_sort_implINS0_14default_configELb0EPK6__halfPSP_PKlPlN2at6native12_GLOBAL__N_18offset_tEEE10hipError_tPvRmT1_PNSt15iterator_traitsIS13_E10value_typeET2_T3_PNS14_IS19_E10value_typeET4_jRbjT5_S1F_jjP12ihipStream_tbEUljE_ZNSN_ISO_Lb0ESR_SS_SU_SV_SZ_EES10_S11_S12_S13_S17_S18_S19_S1C_S1D_jS1E_jS1F_S1F_jjS1H_bEUljE0_EEES10_S11_S12_S19_S1D_S1F_T6_T7_T9_mT8_S1H_bDpT10_ENKUlT_T0_E_clISt17integral_constantIbLb1EES1V_EEDaS1Q_S1R_EUlS1Q_E_NS1_11comp_targetILNS1_3genE5ELNS1_11target_archE942ELNS1_3gpuE9ELNS1_3repE0EEENS1_30default_config_static_selectorELNS0_4arch9wavefront6targetE0EEEvS13_ ; -- Begin function _ZN7rocprim17ROCPRIM_400000_NS6detail17trampoline_kernelINS0_13select_configILj256ELj13ELNS0_17block_load_methodE3ELS4_3ELS4_3ELNS0_20block_scan_algorithmE0ELj4294967295EEENS1_25partition_config_selectorILNS1_17partition_subalgoE4EjNS0_10empty_typeEbEEZZNS1_14partition_implILS8_4ELb0ES6_15HIP_vector_typeIjLj2EENS0_17counting_iteratorIjlEEPS9_SG_NS0_5tupleIJPjSI_NS0_16reverse_iteratorISI_EEEEENSH_IJSG_SG_SG_EEES9_SI_JZNS1_25segmented_radix_sort_implINS0_14default_configELb0EPK6__halfPSP_PKlPlN2at6native12_GLOBAL__N_18offset_tEEE10hipError_tPvRmT1_PNSt15iterator_traitsIS13_E10value_typeET2_T3_PNS14_IS19_E10value_typeET4_jRbjT5_S1F_jjP12ihipStream_tbEUljE_ZNSN_ISO_Lb0ESR_SS_SU_SV_SZ_EES10_S11_S12_S13_S17_S18_S19_S1C_S1D_jS1E_jS1F_S1F_jjS1H_bEUljE0_EEES10_S11_S12_S19_S1D_S1F_T6_T7_T9_mT8_S1H_bDpT10_ENKUlT_T0_E_clISt17integral_constantIbLb1EES1V_EEDaS1Q_S1R_EUlS1Q_E_NS1_11comp_targetILNS1_3genE5ELNS1_11target_archE942ELNS1_3gpuE9ELNS1_3repE0EEENS1_30default_config_static_selectorELNS0_4arch9wavefront6targetE0EEEvS13_
	.p2align	8
	.type	_ZN7rocprim17ROCPRIM_400000_NS6detail17trampoline_kernelINS0_13select_configILj256ELj13ELNS0_17block_load_methodE3ELS4_3ELS4_3ELNS0_20block_scan_algorithmE0ELj4294967295EEENS1_25partition_config_selectorILNS1_17partition_subalgoE4EjNS0_10empty_typeEbEEZZNS1_14partition_implILS8_4ELb0ES6_15HIP_vector_typeIjLj2EENS0_17counting_iteratorIjlEEPS9_SG_NS0_5tupleIJPjSI_NS0_16reverse_iteratorISI_EEEEENSH_IJSG_SG_SG_EEES9_SI_JZNS1_25segmented_radix_sort_implINS0_14default_configELb0EPK6__halfPSP_PKlPlN2at6native12_GLOBAL__N_18offset_tEEE10hipError_tPvRmT1_PNSt15iterator_traitsIS13_E10value_typeET2_T3_PNS14_IS19_E10value_typeET4_jRbjT5_S1F_jjP12ihipStream_tbEUljE_ZNSN_ISO_Lb0ESR_SS_SU_SV_SZ_EES10_S11_S12_S13_S17_S18_S19_S1C_S1D_jS1E_jS1F_S1F_jjS1H_bEUljE0_EEES10_S11_S12_S19_S1D_S1F_T6_T7_T9_mT8_S1H_bDpT10_ENKUlT_T0_E_clISt17integral_constantIbLb1EES1V_EEDaS1Q_S1R_EUlS1Q_E_NS1_11comp_targetILNS1_3genE5ELNS1_11target_archE942ELNS1_3gpuE9ELNS1_3repE0EEENS1_30default_config_static_selectorELNS0_4arch9wavefront6targetE0EEEvS13_,@function
_ZN7rocprim17ROCPRIM_400000_NS6detail17trampoline_kernelINS0_13select_configILj256ELj13ELNS0_17block_load_methodE3ELS4_3ELS4_3ELNS0_20block_scan_algorithmE0ELj4294967295EEENS1_25partition_config_selectorILNS1_17partition_subalgoE4EjNS0_10empty_typeEbEEZZNS1_14partition_implILS8_4ELb0ES6_15HIP_vector_typeIjLj2EENS0_17counting_iteratorIjlEEPS9_SG_NS0_5tupleIJPjSI_NS0_16reverse_iteratorISI_EEEEENSH_IJSG_SG_SG_EEES9_SI_JZNS1_25segmented_radix_sort_implINS0_14default_configELb0EPK6__halfPSP_PKlPlN2at6native12_GLOBAL__N_18offset_tEEE10hipError_tPvRmT1_PNSt15iterator_traitsIS13_E10value_typeET2_T3_PNS14_IS19_E10value_typeET4_jRbjT5_S1F_jjP12ihipStream_tbEUljE_ZNSN_ISO_Lb0ESR_SS_SU_SV_SZ_EES10_S11_S12_S13_S17_S18_S19_S1C_S1D_jS1E_jS1F_S1F_jjS1H_bEUljE0_EEES10_S11_S12_S19_S1D_S1F_T6_T7_T9_mT8_S1H_bDpT10_ENKUlT_T0_E_clISt17integral_constantIbLb1EES1V_EEDaS1Q_S1R_EUlS1Q_E_NS1_11comp_targetILNS1_3genE5ELNS1_11target_archE942ELNS1_3gpuE9ELNS1_3repE0EEENS1_30default_config_static_selectorELNS0_4arch9wavefront6targetE0EEEvS13_: ; @_ZN7rocprim17ROCPRIM_400000_NS6detail17trampoline_kernelINS0_13select_configILj256ELj13ELNS0_17block_load_methodE3ELS4_3ELS4_3ELNS0_20block_scan_algorithmE0ELj4294967295EEENS1_25partition_config_selectorILNS1_17partition_subalgoE4EjNS0_10empty_typeEbEEZZNS1_14partition_implILS8_4ELb0ES6_15HIP_vector_typeIjLj2EENS0_17counting_iteratorIjlEEPS9_SG_NS0_5tupleIJPjSI_NS0_16reverse_iteratorISI_EEEEENSH_IJSG_SG_SG_EEES9_SI_JZNS1_25segmented_radix_sort_implINS0_14default_configELb0EPK6__halfPSP_PKlPlN2at6native12_GLOBAL__N_18offset_tEEE10hipError_tPvRmT1_PNSt15iterator_traitsIS13_E10value_typeET2_T3_PNS14_IS19_E10value_typeET4_jRbjT5_S1F_jjP12ihipStream_tbEUljE_ZNSN_ISO_Lb0ESR_SS_SU_SV_SZ_EES10_S11_S12_S13_S17_S18_S19_S1C_S1D_jS1E_jS1F_S1F_jjS1H_bEUljE0_EEES10_S11_S12_S19_S1D_S1F_T6_T7_T9_mT8_S1H_bDpT10_ENKUlT_T0_E_clISt17integral_constantIbLb1EES1V_EEDaS1Q_S1R_EUlS1Q_E_NS1_11comp_targetILNS1_3genE5ELNS1_11target_archE942ELNS1_3gpuE9ELNS1_3repE0EEENS1_30default_config_static_selectorELNS0_4arch9wavefront6targetE0EEEvS13_
; %bb.0:
	.section	.rodata,"a",@progbits
	.p2align	6, 0x0
	.amdhsa_kernel _ZN7rocprim17ROCPRIM_400000_NS6detail17trampoline_kernelINS0_13select_configILj256ELj13ELNS0_17block_load_methodE3ELS4_3ELS4_3ELNS0_20block_scan_algorithmE0ELj4294967295EEENS1_25partition_config_selectorILNS1_17partition_subalgoE4EjNS0_10empty_typeEbEEZZNS1_14partition_implILS8_4ELb0ES6_15HIP_vector_typeIjLj2EENS0_17counting_iteratorIjlEEPS9_SG_NS0_5tupleIJPjSI_NS0_16reverse_iteratorISI_EEEEENSH_IJSG_SG_SG_EEES9_SI_JZNS1_25segmented_radix_sort_implINS0_14default_configELb0EPK6__halfPSP_PKlPlN2at6native12_GLOBAL__N_18offset_tEEE10hipError_tPvRmT1_PNSt15iterator_traitsIS13_E10value_typeET2_T3_PNS14_IS19_E10value_typeET4_jRbjT5_S1F_jjP12ihipStream_tbEUljE_ZNSN_ISO_Lb0ESR_SS_SU_SV_SZ_EES10_S11_S12_S13_S17_S18_S19_S1C_S1D_jS1E_jS1F_S1F_jjS1H_bEUljE0_EEES10_S11_S12_S19_S1D_S1F_T6_T7_T9_mT8_S1H_bDpT10_ENKUlT_T0_E_clISt17integral_constantIbLb1EES1V_EEDaS1Q_S1R_EUlS1Q_E_NS1_11comp_targetILNS1_3genE5ELNS1_11target_archE942ELNS1_3gpuE9ELNS1_3repE0EEENS1_30default_config_static_selectorELNS0_4arch9wavefront6targetE0EEEvS13_
		.amdhsa_group_segment_fixed_size 0
		.amdhsa_private_segment_fixed_size 0
		.amdhsa_kernarg_size 184
		.amdhsa_user_sgpr_count 2
		.amdhsa_user_sgpr_dispatch_ptr 0
		.amdhsa_user_sgpr_queue_ptr 0
		.amdhsa_user_sgpr_kernarg_segment_ptr 1
		.amdhsa_user_sgpr_dispatch_id 0
		.amdhsa_user_sgpr_private_segment_size 0
		.amdhsa_wavefront_size32 1
		.amdhsa_uses_dynamic_stack 0
		.amdhsa_enable_private_segment 0
		.amdhsa_system_sgpr_workgroup_id_x 1
		.amdhsa_system_sgpr_workgroup_id_y 0
		.amdhsa_system_sgpr_workgroup_id_z 0
		.amdhsa_system_sgpr_workgroup_info 0
		.amdhsa_system_vgpr_workitem_id 0
		.amdhsa_next_free_vgpr 1
		.amdhsa_next_free_sgpr 1
		.amdhsa_reserve_vcc 0
		.amdhsa_float_round_mode_32 0
		.amdhsa_float_round_mode_16_64 0
		.amdhsa_float_denorm_mode_32 3
		.amdhsa_float_denorm_mode_16_64 3
		.amdhsa_fp16_overflow 0
		.amdhsa_workgroup_processor_mode 1
		.amdhsa_memory_ordered 1
		.amdhsa_forward_progress 1
		.amdhsa_inst_pref_size 0
		.amdhsa_round_robin_scheduling 0
		.amdhsa_exception_fp_ieee_invalid_op 0
		.amdhsa_exception_fp_denorm_src 0
		.amdhsa_exception_fp_ieee_div_zero 0
		.amdhsa_exception_fp_ieee_overflow 0
		.amdhsa_exception_fp_ieee_underflow 0
		.amdhsa_exception_fp_ieee_inexact 0
		.amdhsa_exception_int_div_zero 0
	.end_amdhsa_kernel
	.section	.text._ZN7rocprim17ROCPRIM_400000_NS6detail17trampoline_kernelINS0_13select_configILj256ELj13ELNS0_17block_load_methodE3ELS4_3ELS4_3ELNS0_20block_scan_algorithmE0ELj4294967295EEENS1_25partition_config_selectorILNS1_17partition_subalgoE4EjNS0_10empty_typeEbEEZZNS1_14partition_implILS8_4ELb0ES6_15HIP_vector_typeIjLj2EENS0_17counting_iteratorIjlEEPS9_SG_NS0_5tupleIJPjSI_NS0_16reverse_iteratorISI_EEEEENSH_IJSG_SG_SG_EEES9_SI_JZNS1_25segmented_radix_sort_implINS0_14default_configELb0EPK6__halfPSP_PKlPlN2at6native12_GLOBAL__N_18offset_tEEE10hipError_tPvRmT1_PNSt15iterator_traitsIS13_E10value_typeET2_T3_PNS14_IS19_E10value_typeET4_jRbjT5_S1F_jjP12ihipStream_tbEUljE_ZNSN_ISO_Lb0ESR_SS_SU_SV_SZ_EES10_S11_S12_S13_S17_S18_S19_S1C_S1D_jS1E_jS1F_S1F_jjS1H_bEUljE0_EEES10_S11_S12_S19_S1D_S1F_T6_T7_T9_mT8_S1H_bDpT10_ENKUlT_T0_E_clISt17integral_constantIbLb1EES1V_EEDaS1Q_S1R_EUlS1Q_E_NS1_11comp_targetILNS1_3genE5ELNS1_11target_archE942ELNS1_3gpuE9ELNS1_3repE0EEENS1_30default_config_static_selectorELNS0_4arch9wavefront6targetE0EEEvS13_,"axG",@progbits,_ZN7rocprim17ROCPRIM_400000_NS6detail17trampoline_kernelINS0_13select_configILj256ELj13ELNS0_17block_load_methodE3ELS4_3ELS4_3ELNS0_20block_scan_algorithmE0ELj4294967295EEENS1_25partition_config_selectorILNS1_17partition_subalgoE4EjNS0_10empty_typeEbEEZZNS1_14partition_implILS8_4ELb0ES6_15HIP_vector_typeIjLj2EENS0_17counting_iteratorIjlEEPS9_SG_NS0_5tupleIJPjSI_NS0_16reverse_iteratorISI_EEEEENSH_IJSG_SG_SG_EEES9_SI_JZNS1_25segmented_radix_sort_implINS0_14default_configELb0EPK6__halfPSP_PKlPlN2at6native12_GLOBAL__N_18offset_tEEE10hipError_tPvRmT1_PNSt15iterator_traitsIS13_E10value_typeET2_T3_PNS14_IS19_E10value_typeET4_jRbjT5_S1F_jjP12ihipStream_tbEUljE_ZNSN_ISO_Lb0ESR_SS_SU_SV_SZ_EES10_S11_S12_S13_S17_S18_S19_S1C_S1D_jS1E_jS1F_S1F_jjS1H_bEUljE0_EEES10_S11_S12_S19_S1D_S1F_T6_T7_T9_mT8_S1H_bDpT10_ENKUlT_T0_E_clISt17integral_constantIbLb1EES1V_EEDaS1Q_S1R_EUlS1Q_E_NS1_11comp_targetILNS1_3genE5ELNS1_11target_archE942ELNS1_3gpuE9ELNS1_3repE0EEENS1_30default_config_static_selectorELNS0_4arch9wavefront6targetE0EEEvS13_,comdat
.Lfunc_end1787:
	.size	_ZN7rocprim17ROCPRIM_400000_NS6detail17trampoline_kernelINS0_13select_configILj256ELj13ELNS0_17block_load_methodE3ELS4_3ELS4_3ELNS0_20block_scan_algorithmE0ELj4294967295EEENS1_25partition_config_selectorILNS1_17partition_subalgoE4EjNS0_10empty_typeEbEEZZNS1_14partition_implILS8_4ELb0ES6_15HIP_vector_typeIjLj2EENS0_17counting_iteratorIjlEEPS9_SG_NS0_5tupleIJPjSI_NS0_16reverse_iteratorISI_EEEEENSH_IJSG_SG_SG_EEES9_SI_JZNS1_25segmented_radix_sort_implINS0_14default_configELb0EPK6__halfPSP_PKlPlN2at6native12_GLOBAL__N_18offset_tEEE10hipError_tPvRmT1_PNSt15iterator_traitsIS13_E10value_typeET2_T3_PNS14_IS19_E10value_typeET4_jRbjT5_S1F_jjP12ihipStream_tbEUljE_ZNSN_ISO_Lb0ESR_SS_SU_SV_SZ_EES10_S11_S12_S13_S17_S18_S19_S1C_S1D_jS1E_jS1F_S1F_jjS1H_bEUljE0_EEES10_S11_S12_S19_S1D_S1F_T6_T7_T9_mT8_S1H_bDpT10_ENKUlT_T0_E_clISt17integral_constantIbLb1EES1V_EEDaS1Q_S1R_EUlS1Q_E_NS1_11comp_targetILNS1_3genE5ELNS1_11target_archE942ELNS1_3gpuE9ELNS1_3repE0EEENS1_30default_config_static_selectorELNS0_4arch9wavefront6targetE0EEEvS13_, .Lfunc_end1787-_ZN7rocprim17ROCPRIM_400000_NS6detail17trampoline_kernelINS0_13select_configILj256ELj13ELNS0_17block_load_methodE3ELS4_3ELS4_3ELNS0_20block_scan_algorithmE0ELj4294967295EEENS1_25partition_config_selectorILNS1_17partition_subalgoE4EjNS0_10empty_typeEbEEZZNS1_14partition_implILS8_4ELb0ES6_15HIP_vector_typeIjLj2EENS0_17counting_iteratorIjlEEPS9_SG_NS0_5tupleIJPjSI_NS0_16reverse_iteratorISI_EEEEENSH_IJSG_SG_SG_EEES9_SI_JZNS1_25segmented_radix_sort_implINS0_14default_configELb0EPK6__halfPSP_PKlPlN2at6native12_GLOBAL__N_18offset_tEEE10hipError_tPvRmT1_PNSt15iterator_traitsIS13_E10value_typeET2_T3_PNS14_IS19_E10value_typeET4_jRbjT5_S1F_jjP12ihipStream_tbEUljE_ZNSN_ISO_Lb0ESR_SS_SU_SV_SZ_EES10_S11_S12_S13_S17_S18_S19_S1C_S1D_jS1E_jS1F_S1F_jjS1H_bEUljE0_EEES10_S11_S12_S19_S1D_S1F_T6_T7_T9_mT8_S1H_bDpT10_ENKUlT_T0_E_clISt17integral_constantIbLb1EES1V_EEDaS1Q_S1R_EUlS1Q_E_NS1_11comp_targetILNS1_3genE5ELNS1_11target_archE942ELNS1_3gpuE9ELNS1_3repE0EEENS1_30default_config_static_selectorELNS0_4arch9wavefront6targetE0EEEvS13_
                                        ; -- End function
	.set _ZN7rocprim17ROCPRIM_400000_NS6detail17trampoline_kernelINS0_13select_configILj256ELj13ELNS0_17block_load_methodE3ELS4_3ELS4_3ELNS0_20block_scan_algorithmE0ELj4294967295EEENS1_25partition_config_selectorILNS1_17partition_subalgoE4EjNS0_10empty_typeEbEEZZNS1_14partition_implILS8_4ELb0ES6_15HIP_vector_typeIjLj2EENS0_17counting_iteratorIjlEEPS9_SG_NS0_5tupleIJPjSI_NS0_16reverse_iteratorISI_EEEEENSH_IJSG_SG_SG_EEES9_SI_JZNS1_25segmented_radix_sort_implINS0_14default_configELb0EPK6__halfPSP_PKlPlN2at6native12_GLOBAL__N_18offset_tEEE10hipError_tPvRmT1_PNSt15iterator_traitsIS13_E10value_typeET2_T3_PNS14_IS19_E10value_typeET4_jRbjT5_S1F_jjP12ihipStream_tbEUljE_ZNSN_ISO_Lb0ESR_SS_SU_SV_SZ_EES10_S11_S12_S13_S17_S18_S19_S1C_S1D_jS1E_jS1F_S1F_jjS1H_bEUljE0_EEES10_S11_S12_S19_S1D_S1F_T6_T7_T9_mT8_S1H_bDpT10_ENKUlT_T0_E_clISt17integral_constantIbLb1EES1V_EEDaS1Q_S1R_EUlS1Q_E_NS1_11comp_targetILNS1_3genE5ELNS1_11target_archE942ELNS1_3gpuE9ELNS1_3repE0EEENS1_30default_config_static_selectorELNS0_4arch9wavefront6targetE0EEEvS13_.num_vgpr, 0
	.set _ZN7rocprim17ROCPRIM_400000_NS6detail17trampoline_kernelINS0_13select_configILj256ELj13ELNS0_17block_load_methodE3ELS4_3ELS4_3ELNS0_20block_scan_algorithmE0ELj4294967295EEENS1_25partition_config_selectorILNS1_17partition_subalgoE4EjNS0_10empty_typeEbEEZZNS1_14partition_implILS8_4ELb0ES6_15HIP_vector_typeIjLj2EENS0_17counting_iteratorIjlEEPS9_SG_NS0_5tupleIJPjSI_NS0_16reverse_iteratorISI_EEEEENSH_IJSG_SG_SG_EEES9_SI_JZNS1_25segmented_radix_sort_implINS0_14default_configELb0EPK6__halfPSP_PKlPlN2at6native12_GLOBAL__N_18offset_tEEE10hipError_tPvRmT1_PNSt15iterator_traitsIS13_E10value_typeET2_T3_PNS14_IS19_E10value_typeET4_jRbjT5_S1F_jjP12ihipStream_tbEUljE_ZNSN_ISO_Lb0ESR_SS_SU_SV_SZ_EES10_S11_S12_S13_S17_S18_S19_S1C_S1D_jS1E_jS1F_S1F_jjS1H_bEUljE0_EEES10_S11_S12_S19_S1D_S1F_T6_T7_T9_mT8_S1H_bDpT10_ENKUlT_T0_E_clISt17integral_constantIbLb1EES1V_EEDaS1Q_S1R_EUlS1Q_E_NS1_11comp_targetILNS1_3genE5ELNS1_11target_archE942ELNS1_3gpuE9ELNS1_3repE0EEENS1_30default_config_static_selectorELNS0_4arch9wavefront6targetE0EEEvS13_.num_agpr, 0
	.set _ZN7rocprim17ROCPRIM_400000_NS6detail17trampoline_kernelINS0_13select_configILj256ELj13ELNS0_17block_load_methodE3ELS4_3ELS4_3ELNS0_20block_scan_algorithmE0ELj4294967295EEENS1_25partition_config_selectorILNS1_17partition_subalgoE4EjNS0_10empty_typeEbEEZZNS1_14partition_implILS8_4ELb0ES6_15HIP_vector_typeIjLj2EENS0_17counting_iteratorIjlEEPS9_SG_NS0_5tupleIJPjSI_NS0_16reverse_iteratorISI_EEEEENSH_IJSG_SG_SG_EEES9_SI_JZNS1_25segmented_radix_sort_implINS0_14default_configELb0EPK6__halfPSP_PKlPlN2at6native12_GLOBAL__N_18offset_tEEE10hipError_tPvRmT1_PNSt15iterator_traitsIS13_E10value_typeET2_T3_PNS14_IS19_E10value_typeET4_jRbjT5_S1F_jjP12ihipStream_tbEUljE_ZNSN_ISO_Lb0ESR_SS_SU_SV_SZ_EES10_S11_S12_S13_S17_S18_S19_S1C_S1D_jS1E_jS1F_S1F_jjS1H_bEUljE0_EEES10_S11_S12_S19_S1D_S1F_T6_T7_T9_mT8_S1H_bDpT10_ENKUlT_T0_E_clISt17integral_constantIbLb1EES1V_EEDaS1Q_S1R_EUlS1Q_E_NS1_11comp_targetILNS1_3genE5ELNS1_11target_archE942ELNS1_3gpuE9ELNS1_3repE0EEENS1_30default_config_static_selectorELNS0_4arch9wavefront6targetE0EEEvS13_.numbered_sgpr, 0
	.set _ZN7rocprim17ROCPRIM_400000_NS6detail17trampoline_kernelINS0_13select_configILj256ELj13ELNS0_17block_load_methodE3ELS4_3ELS4_3ELNS0_20block_scan_algorithmE0ELj4294967295EEENS1_25partition_config_selectorILNS1_17partition_subalgoE4EjNS0_10empty_typeEbEEZZNS1_14partition_implILS8_4ELb0ES6_15HIP_vector_typeIjLj2EENS0_17counting_iteratorIjlEEPS9_SG_NS0_5tupleIJPjSI_NS0_16reverse_iteratorISI_EEEEENSH_IJSG_SG_SG_EEES9_SI_JZNS1_25segmented_radix_sort_implINS0_14default_configELb0EPK6__halfPSP_PKlPlN2at6native12_GLOBAL__N_18offset_tEEE10hipError_tPvRmT1_PNSt15iterator_traitsIS13_E10value_typeET2_T3_PNS14_IS19_E10value_typeET4_jRbjT5_S1F_jjP12ihipStream_tbEUljE_ZNSN_ISO_Lb0ESR_SS_SU_SV_SZ_EES10_S11_S12_S13_S17_S18_S19_S1C_S1D_jS1E_jS1F_S1F_jjS1H_bEUljE0_EEES10_S11_S12_S19_S1D_S1F_T6_T7_T9_mT8_S1H_bDpT10_ENKUlT_T0_E_clISt17integral_constantIbLb1EES1V_EEDaS1Q_S1R_EUlS1Q_E_NS1_11comp_targetILNS1_3genE5ELNS1_11target_archE942ELNS1_3gpuE9ELNS1_3repE0EEENS1_30default_config_static_selectorELNS0_4arch9wavefront6targetE0EEEvS13_.num_named_barrier, 0
	.set _ZN7rocprim17ROCPRIM_400000_NS6detail17trampoline_kernelINS0_13select_configILj256ELj13ELNS0_17block_load_methodE3ELS4_3ELS4_3ELNS0_20block_scan_algorithmE0ELj4294967295EEENS1_25partition_config_selectorILNS1_17partition_subalgoE4EjNS0_10empty_typeEbEEZZNS1_14partition_implILS8_4ELb0ES6_15HIP_vector_typeIjLj2EENS0_17counting_iteratorIjlEEPS9_SG_NS0_5tupleIJPjSI_NS0_16reverse_iteratorISI_EEEEENSH_IJSG_SG_SG_EEES9_SI_JZNS1_25segmented_radix_sort_implINS0_14default_configELb0EPK6__halfPSP_PKlPlN2at6native12_GLOBAL__N_18offset_tEEE10hipError_tPvRmT1_PNSt15iterator_traitsIS13_E10value_typeET2_T3_PNS14_IS19_E10value_typeET4_jRbjT5_S1F_jjP12ihipStream_tbEUljE_ZNSN_ISO_Lb0ESR_SS_SU_SV_SZ_EES10_S11_S12_S13_S17_S18_S19_S1C_S1D_jS1E_jS1F_S1F_jjS1H_bEUljE0_EEES10_S11_S12_S19_S1D_S1F_T6_T7_T9_mT8_S1H_bDpT10_ENKUlT_T0_E_clISt17integral_constantIbLb1EES1V_EEDaS1Q_S1R_EUlS1Q_E_NS1_11comp_targetILNS1_3genE5ELNS1_11target_archE942ELNS1_3gpuE9ELNS1_3repE0EEENS1_30default_config_static_selectorELNS0_4arch9wavefront6targetE0EEEvS13_.private_seg_size, 0
	.set _ZN7rocprim17ROCPRIM_400000_NS6detail17trampoline_kernelINS0_13select_configILj256ELj13ELNS0_17block_load_methodE3ELS4_3ELS4_3ELNS0_20block_scan_algorithmE0ELj4294967295EEENS1_25partition_config_selectorILNS1_17partition_subalgoE4EjNS0_10empty_typeEbEEZZNS1_14partition_implILS8_4ELb0ES6_15HIP_vector_typeIjLj2EENS0_17counting_iteratorIjlEEPS9_SG_NS0_5tupleIJPjSI_NS0_16reverse_iteratorISI_EEEEENSH_IJSG_SG_SG_EEES9_SI_JZNS1_25segmented_radix_sort_implINS0_14default_configELb0EPK6__halfPSP_PKlPlN2at6native12_GLOBAL__N_18offset_tEEE10hipError_tPvRmT1_PNSt15iterator_traitsIS13_E10value_typeET2_T3_PNS14_IS19_E10value_typeET4_jRbjT5_S1F_jjP12ihipStream_tbEUljE_ZNSN_ISO_Lb0ESR_SS_SU_SV_SZ_EES10_S11_S12_S13_S17_S18_S19_S1C_S1D_jS1E_jS1F_S1F_jjS1H_bEUljE0_EEES10_S11_S12_S19_S1D_S1F_T6_T7_T9_mT8_S1H_bDpT10_ENKUlT_T0_E_clISt17integral_constantIbLb1EES1V_EEDaS1Q_S1R_EUlS1Q_E_NS1_11comp_targetILNS1_3genE5ELNS1_11target_archE942ELNS1_3gpuE9ELNS1_3repE0EEENS1_30default_config_static_selectorELNS0_4arch9wavefront6targetE0EEEvS13_.uses_vcc, 0
	.set _ZN7rocprim17ROCPRIM_400000_NS6detail17trampoline_kernelINS0_13select_configILj256ELj13ELNS0_17block_load_methodE3ELS4_3ELS4_3ELNS0_20block_scan_algorithmE0ELj4294967295EEENS1_25partition_config_selectorILNS1_17partition_subalgoE4EjNS0_10empty_typeEbEEZZNS1_14partition_implILS8_4ELb0ES6_15HIP_vector_typeIjLj2EENS0_17counting_iteratorIjlEEPS9_SG_NS0_5tupleIJPjSI_NS0_16reverse_iteratorISI_EEEEENSH_IJSG_SG_SG_EEES9_SI_JZNS1_25segmented_radix_sort_implINS0_14default_configELb0EPK6__halfPSP_PKlPlN2at6native12_GLOBAL__N_18offset_tEEE10hipError_tPvRmT1_PNSt15iterator_traitsIS13_E10value_typeET2_T3_PNS14_IS19_E10value_typeET4_jRbjT5_S1F_jjP12ihipStream_tbEUljE_ZNSN_ISO_Lb0ESR_SS_SU_SV_SZ_EES10_S11_S12_S13_S17_S18_S19_S1C_S1D_jS1E_jS1F_S1F_jjS1H_bEUljE0_EEES10_S11_S12_S19_S1D_S1F_T6_T7_T9_mT8_S1H_bDpT10_ENKUlT_T0_E_clISt17integral_constantIbLb1EES1V_EEDaS1Q_S1R_EUlS1Q_E_NS1_11comp_targetILNS1_3genE5ELNS1_11target_archE942ELNS1_3gpuE9ELNS1_3repE0EEENS1_30default_config_static_selectorELNS0_4arch9wavefront6targetE0EEEvS13_.uses_flat_scratch, 0
	.set _ZN7rocprim17ROCPRIM_400000_NS6detail17trampoline_kernelINS0_13select_configILj256ELj13ELNS0_17block_load_methodE3ELS4_3ELS4_3ELNS0_20block_scan_algorithmE0ELj4294967295EEENS1_25partition_config_selectorILNS1_17partition_subalgoE4EjNS0_10empty_typeEbEEZZNS1_14partition_implILS8_4ELb0ES6_15HIP_vector_typeIjLj2EENS0_17counting_iteratorIjlEEPS9_SG_NS0_5tupleIJPjSI_NS0_16reverse_iteratorISI_EEEEENSH_IJSG_SG_SG_EEES9_SI_JZNS1_25segmented_radix_sort_implINS0_14default_configELb0EPK6__halfPSP_PKlPlN2at6native12_GLOBAL__N_18offset_tEEE10hipError_tPvRmT1_PNSt15iterator_traitsIS13_E10value_typeET2_T3_PNS14_IS19_E10value_typeET4_jRbjT5_S1F_jjP12ihipStream_tbEUljE_ZNSN_ISO_Lb0ESR_SS_SU_SV_SZ_EES10_S11_S12_S13_S17_S18_S19_S1C_S1D_jS1E_jS1F_S1F_jjS1H_bEUljE0_EEES10_S11_S12_S19_S1D_S1F_T6_T7_T9_mT8_S1H_bDpT10_ENKUlT_T0_E_clISt17integral_constantIbLb1EES1V_EEDaS1Q_S1R_EUlS1Q_E_NS1_11comp_targetILNS1_3genE5ELNS1_11target_archE942ELNS1_3gpuE9ELNS1_3repE0EEENS1_30default_config_static_selectorELNS0_4arch9wavefront6targetE0EEEvS13_.has_dyn_sized_stack, 0
	.set _ZN7rocprim17ROCPRIM_400000_NS6detail17trampoline_kernelINS0_13select_configILj256ELj13ELNS0_17block_load_methodE3ELS4_3ELS4_3ELNS0_20block_scan_algorithmE0ELj4294967295EEENS1_25partition_config_selectorILNS1_17partition_subalgoE4EjNS0_10empty_typeEbEEZZNS1_14partition_implILS8_4ELb0ES6_15HIP_vector_typeIjLj2EENS0_17counting_iteratorIjlEEPS9_SG_NS0_5tupleIJPjSI_NS0_16reverse_iteratorISI_EEEEENSH_IJSG_SG_SG_EEES9_SI_JZNS1_25segmented_radix_sort_implINS0_14default_configELb0EPK6__halfPSP_PKlPlN2at6native12_GLOBAL__N_18offset_tEEE10hipError_tPvRmT1_PNSt15iterator_traitsIS13_E10value_typeET2_T3_PNS14_IS19_E10value_typeET4_jRbjT5_S1F_jjP12ihipStream_tbEUljE_ZNSN_ISO_Lb0ESR_SS_SU_SV_SZ_EES10_S11_S12_S13_S17_S18_S19_S1C_S1D_jS1E_jS1F_S1F_jjS1H_bEUljE0_EEES10_S11_S12_S19_S1D_S1F_T6_T7_T9_mT8_S1H_bDpT10_ENKUlT_T0_E_clISt17integral_constantIbLb1EES1V_EEDaS1Q_S1R_EUlS1Q_E_NS1_11comp_targetILNS1_3genE5ELNS1_11target_archE942ELNS1_3gpuE9ELNS1_3repE0EEENS1_30default_config_static_selectorELNS0_4arch9wavefront6targetE0EEEvS13_.has_recursion, 0
	.set _ZN7rocprim17ROCPRIM_400000_NS6detail17trampoline_kernelINS0_13select_configILj256ELj13ELNS0_17block_load_methodE3ELS4_3ELS4_3ELNS0_20block_scan_algorithmE0ELj4294967295EEENS1_25partition_config_selectorILNS1_17partition_subalgoE4EjNS0_10empty_typeEbEEZZNS1_14partition_implILS8_4ELb0ES6_15HIP_vector_typeIjLj2EENS0_17counting_iteratorIjlEEPS9_SG_NS0_5tupleIJPjSI_NS0_16reverse_iteratorISI_EEEEENSH_IJSG_SG_SG_EEES9_SI_JZNS1_25segmented_radix_sort_implINS0_14default_configELb0EPK6__halfPSP_PKlPlN2at6native12_GLOBAL__N_18offset_tEEE10hipError_tPvRmT1_PNSt15iterator_traitsIS13_E10value_typeET2_T3_PNS14_IS19_E10value_typeET4_jRbjT5_S1F_jjP12ihipStream_tbEUljE_ZNSN_ISO_Lb0ESR_SS_SU_SV_SZ_EES10_S11_S12_S13_S17_S18_S19_S1C_S1D_jS1E_jS1F_S1F_jjS1H_bEUljE0_EEES10_S11_S12_S19_S1D_S1F_T6_T7_T9_mT8_S1H_bDpT10_ENKUlT_T0_E_clISt17integral_constantIbLb1EES1V_EEDaS1Q_S1R_EUlS1Q_E_NS1_11comp_targetILNS1_3genE5ELNS1_11target_archE942ELNS1_3gpuE9ELNS1_3repE0EEENS1_30default_config_static_selectorELNS0_4arch9wavefront6targetE0EEEvS13_.has_indirect_call, 0
	.section	.AMDGPU.csdata,"",@progbits
; Kernel info:
; codeLenInByte = 0
; TotalNumSgprs: 0
; NumVgprs: 0
; ScratchSize: 0
; MemoryBound: 0
; FloatMode: 240
; IeeeMode: 1
; LDSByteSize: 0 bytes/workgroup (compile time only)
; SGPRBlocks: 0
; VGPRBlocks: 0
; NumSGPRsForWavesPerEU: 1
; NumVGPRsForWavesPerEU: 1
; Occupancy: 16
; WaveLimiterHint : 0
; COMPUTE_PGM_RSRC2:SCRATCH_EN: 0
; COMPUTE_PGM_RSRC2:USER_SGPR: 2
; COMPUTE_PGM_RSRC2:TRAP_HANDLER: 0
; COMPUTE_PGM_RSRC2:TGID_X_EN: 1
; COMPUTE_PGM_RSRC2:TGID_Y_EN: 0
; COMPUTE_PGM_RSRC2:TGID_Z_EN: 0
; COMPUTE_PGM_RSRC2:TIDIG_COMP_CNT: 0
	.section	.text._ZN7rocprim17ROCPRIM_400000_NS6detail17trampoline_kernelINS0_13select_configILj256ELj13ELNS0_17block_load_methodE3ELS4_3ELS4_3ELNS0_20block_scan_algorithmE0ELj4294967295EEENS1_25partition_config_selectorILNS1_17partition_subalgoE4EjNS0_10empty_typeEbEEZZNS1_14partition_implILS8_4ELb0ES6_15HIP_vector_typeIjLj2EENS0_17counting_iteratorIjlEEPS9_SG_NS0_5tupleIJPjSI_NS0_16reverse_iteratorISI_EEEEENSH_IJSG_SG_SG_EEES9_SI_JZNS1_25segmented_radix_sort_implINS0_14default_configELb0EPK6__halfPSP_PKlPlN2at6native12_GLOBAL__N_18offset_tEEE10hipError_tPvRmT1_PNSt15iterator_traitsIS13_E10value_typeET2_T3_PNS14_IS19_E10value_typeET4_jRbjT5_S1F_jjP12ihipStream_tbEUljE_ZNSN_ISO_Lb0ESR_SS_SU_SV_SZ_EES10_S11_S12_S13_S17_S18_S19_S1C_S1D_jS1E_jS1F_S1F_jjS1H_bEUljE0_EEES10_S11_S12_S19_S1D_S1F_T6_T7_T9_mT8_S1H_bDpT10_ENKUlT_T0_E_clISt17integral_constantIbLb1EES1V_EEDaS1Q_S1R_EUlS1Q_E_NS1_11comp_targetILNS1_3genE4ELNS1_11target_archE910ELNS1_3gpuE8ELNS1_3repE0EEENS1_30default_config_static_selectorELNS0_4arch9wavefront6targetE0EEEvS13_,"axG",@progbits,_ZN7rocprim17ROCPRIM_400000_NS6detail17trampoline_kernelINS0_13select_configILj256ELj13ELNS0_17block_load_methodE3ELS4_3ELS4_3ELNS0_20block_scan_algorithmE0ELj4294967295EEENS1_25partition_config_selectorILNS1_17partition_subalgoE4EjNS0_10empty_typeEbEEZZNS1_14partition_implILS8_4ELb0ES6_15HIP_vector_typeIjLj2EENS0_17counting_iteratorIjlEEPS9_SG_NS0_5tupleIJPjSI_NS0_16reverse_iteratorISI_EEEEENSH_IJSG_SG_SG_EEES9_SI_JZNS1_25segmented_radix_sort_implINS0_14default_configELb0EPK6__halfPSP_PKlPlN2at6native12_GLOBAL__N_18offset_tEEE10hipError_tPvRmT1_PNSt15iterator_traitsIS13_E10value_typeET2_T3_PNS14_IS19_E10value_typeET4_jRbjT5_S1F_jjP12ihipStream_tbEUljE_ZNSN_ISO_Lb0ESR_SS_SU_SV_SZ_EES10_S11_S12_S13_S17_S18_S19_S1C_S1D_jS1E_jS1F_S1F_jjS1H_bEUljE0_EEES10_S11_S12_S19_S1D_S1F_T6_T7_T9_mT8_S1H_bDpT10_ENKUlT_T0_E_clISt17integral_constantIbLb1EES1V_EEDaS1Q_S1R_EUlS1Q_E_NS1_11comp_targetILNS1_3genE4ELNS1_11target_archE910ELNS1_3gpuE8ELNS1_3repE0EEENS1_30default_config_static_selectorELNS0_4arch9wavefront6targetE0EEEvS13_,comdat
	.globl	_ZN7rocprim17ROCPRIM_400000_NS6detail17trampoline_kernelINS0_13select_configILj256ELj13ELNS0_17block_load_methodE3ELS4_3ELS4_3ELNS0_20block_scan_algorithmE0ELj4294967295EEENS1_25partition_config_selectorILNS1_17partition_subalgoE4EjNS0_10empty_typeEbEEZZNS1_14partition_implILS8_4ELb0ES6_15HIP_vector_typeIjLj2EENS0_17counting_iteratorIjlEEPS9_SG_NS0_5tupleIJPjSI_NS0_16reverse_iteratorISI_EEEEENSH_IJSG_SG_SG_EEES9_SI_JZNS1_25segmented_radix_sort_implINS0_14default_configELb0EPK6__halfPSP_PKlPlN2at6native12_GLOBAL__N_18offset_tEEE10hipError_tPvRmT1_PNSt15iterator_traitsIS13_E10value_typeET2_T3_PNS14_IS19_E10value_typeET4_jRbjT5_S1F_jjP12ihipStream_tbEUljE_ZNSN_ISO_Lb0ESR_SS_SU_SV_SZ_EES10_S11_S12_S13_S17_S18_S19_S1C_S1D_jS1E_jS1F_S1F_jjS1H_bEUljE0_EEES10_S11_S12_S19_S1D_S1F_T6_T7_T9_mT8_S1H_bDpT10_ENKUlT_T0_E_clISt17integral_constantIbLb1EES1V_EEDaS1Q_S1R_EUlS1Q_E_NS1_11comp_targetILNS1_3genE4ELNS1_11target_archE910ELNS1_3gpuE8ELNS1_3repE0EEENS1_30default_config_static_selectorELNS0_4arch9wavefront6targetE0EEEvS13_ ; -- Begin function _ZN7rocprim17ROCPRIM_400000_NS6detail17trampoline_kernelINS0_13select_configILj256ELj13ELNS0_17block_load_methodE3ELS4_3ELS4_3ELNS0_20block_scan_algorithmE0ELj4294967295EEENS1_25partition_config_selectorILNS1_17partition_subalgoE4EjNS0_10empty_typeEbEEZZNS1_14partition_implILS8_4ELb0ES6_15HIP_vector_typeIjLj2EENS0_17counting_iteratorIjlEEPS9_SG_NS0_5tupleIJPjSI_NS0_16reverse_iteratorISI_EEEEENSH_IJSG_SG_SG_EEES9_SI_JZNS1_25segmented_radix_sort_implINS0_14default_configELb0EPK6__halfPSP_PKlPlN2at6native12_GLOBAL__N_18offset_tEEE10hipError_tPvRmT1_PNSt15iterator_traitsIS13_E10value_typeET2_T3_PNS14_IS19_E10value_typeET4_jRbjT5_S1F_jjP12ihipStream_tbEUljE_ZNSN_ISO_Lb0ESR_SS_SU_SV_SZ_EES10_S11_S12_S13_S17_S18_S19_S1C_S1D_jS1E_jS1F_S1F_jjS1H_bEUljE0_EEES10_S11_S12_S19_S1D_S1F_T6_T7_T9_mT8_S1H_bDpT10_ENKUlT_T0_E_clISt17integral_constantIbLb1EES1V_EEDaS1Q_S1R_EUlS1Q_E_NS1_11comp_targetILNS1_3genE4ELNS1_11target_archE910ELNS1_3gpuE8ELNS1_3repE0EEENS1_30default_config_static_selectorELNS0_4arch9wavefront6targetE0EEEvS13_
	.p2align	8
	.type	_ZN7rocprim17ROCPRIM_400000_NS6detail17trampoline_kernelINS0_13select_configILj256ELj13ELNS0_17block_load_methodE3ELS4_3ELS4_3ELNS0_20block_scan_algorithmE0ELj4294967295EEENS1_25partition_config_selectorILNS1_17partition_subalgoE4EjNS0_10empty_typeEbEEZZNS1_14partition_implILS8_4ELb0ES6_15HIP_vector_typeIjLj2EENS0_17counting_iteratorIjlEEPS9_SG_NS0_5tupleIJPjSI_NS0_16reverse_iteratorISI_EEEEENSH_IJSG_SG_SG_EEES9_SI_JZNS1_25segmented_radix_sort_implINS0_14default_configELb0EPK6__halfPSP_PKlPlN2at6native12_GLOBAL__N_18offset_tEEE10hipError_tPvRmT1_PNSt15iterator_traitsIS13_E10value_typeET2_T3_PNS14_IS19_E10value_typeET4_jRbjT5_S1F_jjP12ihipStream_tbEUljE_ZNSN_ISO_Lb0ESR_SS_SU_SV_SZ_EES10_S11_S12_S13_S17_S18_S19_S1C_S1D_jS1E_jS1F_S1F_jjS1H_bEUljE0_EEES10_S11_S12_S19_S1D_S1F_T6_T7_T9_mT8_S1H_bDpT10_ENKUlT_T0_E_clISt17integral_constantIbLb1EES1V_EEDaS1Q_S1R_EUlS1Q_E_NS1_11comp_targetILNS1_3genE4ELNS1_11target_archE910ELNS1_3gpuE8ELNS1_3repE0EEENS1_30default_config_static_selectorELNS0_4arch9wavefront6targetE0EEEvS13_,@function
_ZN7rocprim17ROCPRIM_400000_NS6detail17trampoline_kernelINS0_13select_configILj256ELj13ELNS0_17block_load_methodE3ELS4_3ELS4_3ELNS0_20block_scan_algorithmE0ELj4294967295EEENS1_25partition_config_selectorILNS1_17partition_subalgoE4EjNS0_10empty_typeEbEEZZNS1_14partition_implILS8_4ELb0ES6_15HIP_vector_typeIjLj2EENS0_17counting_iteratorIjlEEPS9_SG_NS0_5tupleIJPjSI_NS0_16reverse_iteratorISI_EEEEENSH_IJSG_SG_SG_EEES9_SI_JZNS1_25segmented_radix_sort_implINS0_14default_configELb0EPK6__halfPSP_PKlPlN2at6native12_GLOBAL__N_18offset_tEEE10hipError_tPvRmT1_PNSt15iterator_traitsIS13_E10value_typeET2_T3_PNS14_IS19_E10value_typeET4_jRbjT5_S1F_jjP12ihipStream_tbEUljE_ZNSN_ISO_Lb0ESR_SS_SU_SV_SZ_EES10_S11_S12_S13_S17_S18_S19_S1C_S1D_jS1E_jS1F_S1F_jjS1H_bEUljE0_EEES10_S11_S12_S19_S1D_S1F_T6_T7_T9_mT8_S1H_bDpT10_ENKUlT_T0_E_clISt17integral_constantIbLb1EES1V_EEDaS1Q_S1R_EUlS1Q_E_NS1_11comp_targetILNS1_3genE4ELNS1_11target_archE910ELNS1_3gpuE8ELNS1_3repE0EEENS1_30default_config_static_selectorELNS0_4arch9wavefront6targetE0EEEvS13_: ; @_ZN7rocprim17ROCPRIM_400000_NS6detail17trampoline_kernelINS0_13select_configILj256ELj13ELNS0_17block_load_methodE3ELS4_3ELS4_3ELNS0_20block_scan_algorithmE0ELj4294967295EEENS1_25partition_config_selectorILNS1_17partition_subalgoE4EjNS0_10empty_typeEbEEZZNS1_14partition_implILS8_4ELb0ES6_15HIP_vector_typeIjLj2EENS0_17counting_iteratorIjlEEPS9_SG_NS0_5tupleIJPjSI_NS0_16reverse_iteratorISI_EEEEENSH_IJSG_SG_SG_EEES9_SI_JZNS1_25segmented_radix_sort_implINS0_14default_configELb0EPK6__halfPSP_PKlPlN2at6native12_GLOBAL__N_18offset_tEEE10hipError_tPvRmT1_PNSt15iterator_traitsIS13_E10value_typeET2_T3_PNS14_IS19_E10value_typeET4_jRbjT5_S1F_jjP12ihipStream_tbEUljE_ZNSN_ISO_Lb0ESR_SS_SU_SV_SZ_EES10_S11_S12_S13_S17_S18_S19_S1C_S1D_jS1E_jS1F_S1F_jjS1H_bEUljE0_EEES10_S11_S12_S19_S1D_S1F_T6_T7_T9_mT8_S1H_bDpT10_ENKUlT_T0_E_clISt17integral_constantIbLb1EES1V_EEDaS1Q_S1R_EUlS1Q_E_NS1_11comp_targetILNS1_3genE4ELNS1_11target_archE910ELNS1_3gpuE8ELNS1_3repE0EEENS1_30default_config_static_selectorELNS0_4arch9wavefront6targetE0EEEvS13_
; %bb.0:
	.section	.rodata,"a",@progbits
	.p2align	6, 0x0
	.amdhsa_kernel _ZN7rocprim17ROCPRIM_400000_NS6detail17trampoline_kernelINS0_13select_configILj256ELj13ELNS0_17block_load_methodE3ELS4_3ELS4_3ELNS0_20block_scan_algorithmE0ELj4294967295EEENS1_25partition_config_selectorILNS1_17partition_subalgoE4EjNS0_10empty_typeEbEEZZNS1_14partition_implILS8_4ELb0ES6_15HIP_vector_typeIjLj2EENS0_17counting_iteratorIjlEEPS9_SG_NS0_5tupleIJPjSI_NS0_16reverse_iteratorISI_EEEEENSH_IJSG_SG_SG_EEES9_SI_JZNS1_25segmented_radix_sort_implINS0_14default_configELb0EPK6__halfPSP_PKlPlN2at6native12_GLOBAL__N_18offset_tEEE10hipError_tPvRmT1_PNSt15iterator_traitsIS13_E10value_typeET2_T3_PNS14_IS19_E10value_typeET4_jRbjT5_S1F_jjP12ihipStream_tbEUljE_ZNSN_ISO_Lb0ESR_SS_SU_SV_SZ_EES10_S11_S12_S13_S17_S18_S19_S1C_S1D_jS1E_jS1F_S1F_jjS1H_bEUljE0_EEES10_S11_S12_S19_S1D_S1F_T6_T7_T9_mT8_S1H_bDpT10_ENKUlT_T0_E_clISt17integral_constantIbLb1EES1V_EEDaS1Q_S1R_EUlS1Q_E_NS1_11comp_targetILNS1_3genE4ELNS1_11target_archE910ELNS1_3gpuE8ELNS1_3repE0EEENS1_30default_config_static_selectorELNS0_4arch9wavefront6targetE0EEEvS13_
		.amdhsa_group_segment_fixed_size 0
		.amdhsa_private_segment_fixed_size 0
		.amdhsa_kernarg_size 184
		.amdhsa_user_sgpr_count 2
		.amdhsa_user_sgpr_dispatch_ptr 0
		.amdhsa_user_sgpr_queue_ptr 0
		.amdhsa_user_sgpr_kernarg_segment_ptr 1
		.amdhsa_user_sgpr_dispatch_id 0
		.amdhsa_user_sgpr_private_segment_size 0
		.amdhsa_wavefront_size32 1
		.amdhsa_uses_dynamic_stack 0
		.amdhsa_enable_private_segment 0
		.amdhsa_system_sgpr_workgroup_id_x 1
		.amdhsa_system_sgpr_workgroup_id_y 0
		.amdhsa_system_sgpr_workgroup_id_z 0
		.amdhsa_system_sgpr_workgroup_info 0
		.amdhsa_system_vgpr_workitem_id 0
		.amdhsa_next_free_vgpr 1
		.amdhsa_next_free_sgpr 1
		.amdhsa_reserve_vcc 0
		.amdhsa_float_round_mode_32 0
		.amdhsa_float_round_mode_16_64 0
		.amdhsa_float_denorm_mode_32 3
		.amdhsa_float_denorm_mode_16_64 3
		.amdhsa_fp16_overflow 0
		.amdhsa_workgroup_processor_mode 1
		.amdhsa_memory_ordered 1
		.amdhsa_forward_progress 1
		.amdhsa_inst_pref_size 0
		.amdhsa_round_robin_scheduling 0
		.amdhsa_exception_fp_ieee_invalid_op 0
		.amdhsa_exception_fp_denorm_src 0
		.amdhsa_exception_fp_ieee_div_zero 0
		.amdhsa_exception_fp_ieee_overflow 0
		.amdhsa_exception_fp_ieee_underflow 0
		.amdhsa_exception_fp_ieee_inexact 0
		.amdhsa_exception_int_div_zero 0
	.end_amdhsa_kernel
	.section	.text._ZN7rocprim17ROCPRIM_400000_NS6detail17trampoline_kernelINS0_13select_configILj256ELj13ELNS0_17block_load_methodE3ELS4_3ELS4_3ELNS0_20block_scan_algorithmE0ELj4294967295EEENS1_25partition_config_selectorILNS1_17partition_subalgoE4EjNS0_10empty_typeEbEEZZNS1_14partition_implILS8_4ELb0ES6_15HIP_vector_typeIjLj2EENS0_17counting_iteratorIjlEEPS9_SG_NS0_5tupleIJPjSI_NS0_16reverse_iteratorISI_EEEEENSH_IJSG_SG_SG_EEES9_SI_JZNS1_25segmented_radix_sort_implINS0_14default_configELb0EPK6__halfPSP_PKlPlN2at6native12_GLOBAL__N_18offset_tEEE10hipError_tPvRmT1_PNSt15iterator_traitsIS13_E10value_typeET2_T3_PNS14_IS19_E10value_typeET4_jRbjT5_S1F_jjP12ihipStream_tbEUljE_ZNSN_ISO_Lb0ESR_SS_SU_SV_SZ_EES10_S11_S12_S13_S17_S18_S19_S1C_S1D_jS1E_jS1F_S1F_jjS1H_bEUljE0_EEES10_S11_S12_S19_S1D_S1F_T6_T7_T9_mT8_S1H_bDpT10_ENKUlT_T0_E_clISt17integral_constantIbLb1EES1V_EEDaS1Q_S1R_EUlS1Q_E_NS1_11comp_targetILNS1_3genE4ELNS1_11target_archE910ELNS1_3gpuE8ELNS1_3repE0EEENS1_30default_config_static_selectorELNS0_4arch9wavefront6targetE0EEEvS13_,"axG",@progbits,_ZN7rocprim17ROCPRIM_400000_NS6detail17trampoline_kernelINS0_13select_configILj256ELj13ELNS0_17block_load_methodE3ELS4_3ELS4_3ELNS0_20block_scan_algorithmE0ELj4294967295EEENS1_25partition_config_selectorILNS1_17partition_subalgoE4EjNS0_10empty_typeEbEEZZNS1_14partition_implILS8_4ELb0ES6_15HIP_vector_typeIjLj2EENS0_17counting_iteratorIjlEEPS9_SG_NS0_5tupleIJPjSI_NS0_16reverse_iteratorISI_EEEEENSH_IJSG_SG_SG_EEES9_SI_JZNS1_25segmented_radix_sort_implINS0_14default_configELb0EPK6__halfPSP_PKlPlN2at6native12_GLOBAL__N_18offset_tEEE10hipError_tPvRmT1_PNSt15iterator_traitsIS13_E10value_typeET2_T3_PNS14_IS19_E10value_typeET4_jRbjT5_S1F_jjP12ihipStream_tbEUljE_ZNSN_ISO_Lb0ESR_SS_SU_SV_SZ_EES10_S11_S12_S13_S17_S18_S19_S1C_S1D_jS1E_jS1F_S1F_jjS1H_bEUljE0_EEES10_S11_S12_S19_S1D_S1F_T6_T7_T9_mT8_S1H_bDpT10_ENKUlT_T0_E_clISt17integral_constantIbLb1EES1V_EEDaS1Q_S1R_EUlS1Q_E_NS1_11comp_targetILNS1_3genE4ELNS1_11target_archE910ELNS1_3gpuE8ELNS1_3repE0EEENS1_30default_config_static_selectorELNS0_4arch9wavefront6targetE0EEEvS13_,comdat
.Lfunc_end1788:
	.size	_ZN7rocprim17ROCPRIM_400000_NS6detail17trampoline_kernelINS0_13select_configILj256ELj13ELNS0_17block_load_methodE3ELS4_3ELS4_3ELNS0_20block_scan_algorithmE0ELj4294967295EEENS1_25partition_config_selectorILNS1_17partition_subalgoE4EjNS0_10empty_typeEbEEZZNS1_14partition_implILS8_4ELb0ES6_15HIP_vector_typeIjLj2EENS0_17counting_iteratorIjlEEPS9_SG_NS0_5tupleIJPjSI_NS0_16reverse_iteratorISI_EEEEENSH_IJSG_SG_SG_EEES9_SI_JZNS1_25segmented_radix_sort_implINS0_14default_configELb0EPK6__halfPSP_PKlPlN2at6native12_GLOBAL__N_18offset_tEEE10hipError_tPvRmT1_PNSt15iterator_traitsIS13_E10value_typeET2_T3_PNS14_IS19_E10value_typeET4_jRbjT5_S1F_jjP12ihipStream_tbEUljE_ZNSN_ISO_Lb0ESR_SS_SU_SV_SZ_EES10_S11_S12_S13_S17_S18_S19_S1C_S1D_jS1E_jS1F_S1F_jjS1H_bEUljE0_EEES10_S11_S12_S19_S1D_S1F_T6_T7_T9_mT8_S1H_bDpT10_ENKUlT_T0_E_clISt17integral_constantIbLb1EES1V_EEDaS1Q_S1R_EUlS1Q_E_NS1_11comp_targetILNS1_3genE4ELNS1_11target_archE910ELNS1_3gpuE8ELNS1_3repE0EEENS1_30default_config_static_selectorELNS0_4arch9wavefront6targetE0EEEvS13_, .Lfunc_end1788-_ZN7rocprim17ROCPRIM_400000_NS6detail17trampoline_kernelINS0_13select_configILj256ELj13ELNS0_17block_load_methodE3ELS4_3ELS4_3ELNS0_20block_scan_algorithmE0ELj4294967295EEENS1_25partition_config_selectorILNS1_17partition_subalgoE4EjNS0_10empty_typeEbEEZZNS1_14partition_implILS8_4ELb0ES6_15HIP_vector_typeIjLj2EENS0_17counting_iteratorIjlEEPS9_SG_NS0_5tupleIJPjSI_NS0_16reverse_iteratorISI_EEEEENSH_IJSG_SG_SG_EEES9_SI_JZNS1_25segmented_radix_sort_implINS0_14default_configELb0EPK6__halfPSP_PKlPlN2at6native12_GLOBAL__N_18offset_tEEE10hipError_tPvRmT1_PNSt15iterator_traitsIS13_E10value_typeET2_T3_PNS14_IS19_E10value_typeET4_jRbjT5_S1F_jjP12ihipStream_tbEUljE_ZNSN_ISO_Lb0ESR_SS_SU_SV_SZ_EES10_S11_S12_S13_S17_S18_S19_S1C_S1D_jS1E_jS1F_S1F_jjS1H_bEUljE0_EEES10_S11_S12_S19_S1D_S1F_T6_T7_T9_mT8_S1H_bDpT10_ENKUlT_T0_E_clISt17integral_constantIbLb1EES1V_EEDaS1Q_S1R_EUlS1Q_E_NS1_11comp_targetILNS1_3genE4ELNS1_11target_archE910ELNS1_3gpuE8ELNS1_3repE0EEENS1_30default_config_static_selectorELNS0_4arch9wavefront6targetE0EEEvS13_
                                        ; -- End function
	.set _ZN7rocprim17ROCPRIM_400000_NS6detail17trampoline_kernelINS0_13select_configILj256ELj13ELNS0_17block_load_methodE3ELS4_3ELS4_3ELNS0_20block_scan_algorithmE0ELj4294967295EEENS1_25partition_config_selectorILNS1_17partition_subalgoE4EjNS0_10empty_typeEbEEZZNS1_14partition_implILS8_4ELb0ES6_15HIP_vector_typeIjLj2EENS0_17counting_iteratorIjlEEPS9_SG_NS0_5tupleIJPjSI_NS0_16reverse_iteratorISI_EEEEENSH_IJSG_SG_SG_EEES9_SI_JZNS1_25segmented_radix_sort_implINS0_14default_configELb0EPK6__halfPSP_PKlPlN2at6native12_GLOBAL__N_18offset_tEEE10hipError_tPvRmT1_PNSt15iterator_traitsIS13_E10value_typeET2_T3_PNS14_IS19_E10value_typeET4_jRbjT5_S1F_jjP12ihipStream_tbEUljE_ZNSN_ISO_Lb0ESR_SS_SU_SV_SZ_EES10_S11_S12_S13_S17_S18_S19_S1C_S1D_jS1E_jS1F_S1F_jjS1H_bEUljE0_EEES10_S11_S12_S19_S1D_S1F_T6_T7_T9_mT8_S1H_bDpT10_ENKUlT_T0_E_clISt17integral_constantIbLb1EES1V_EEDaS1Q_S1R_EUlS1Q_E_NS1_11comp_targetILNS1_3genE4ELNS1_11target_archE910ELNS1_3gpuE8ELNS1_3repE0EEENS1_30default_config_static_selectorELNS0_4arch9wavefront6targetE0EEEvS13_.num_vgpr, 0
	.set _ZN7rocprim17ROCPRIM_400000_NS6detail17trampoline_kernelINS0_13select_configILj256ELj13ELNS0_17block_load_methodE3ELS4_3ELS4_3ELNS0_20block_scan_algorithmE0ELj4294967295EEENS1_25partition_config_selectorILNS1_17partition_subalgoE4EjNS0_10empty_typeEbEEZZNS1_14partition_implILS8_4ELb0ES6_15HIP_vector_typeIjLj2EENS0_17counting_iteratorIjlEEPS9_SG_NS0_5tupleIJPjSI_NS0_16reverse_iteratorISI_EEEEENSH_IJSG_SG_SG_EEES9_SI_JZNS1_25segmented_radix_sort_implINS0_14default_configELb0EPK6__halfPSP_PKlPlN2at6native12_GLOBAL__N_18offset_tEEE10hipError_tPvRmT1_PNSt15iterator_traitsIS13_E10value_typeET2_T3_PNS14_IS19_E10value_typeET4_jRbjT5_S1F_jjP12ihipStream_tbEUljE_ZNSN_ISO_Lb0ESR_SS_SU_SV_SZ_EES10_S11_S12_S13_S17_S18_S19_S1C_S1D_jS1E_jS1F_S1F_jjS1H_bEUljE0_EEES10_S11_S12_S19_S1D_S1F_T6_T7_T9_mT8_S1H_bDpT10_ENKUlT_T0_E_clISt17integral_constantIbLb1EES1V_EEDaS1Q_S1R_EUlS1Q_E_NS1_11comp_targetILNS1_3genE4ELNS1_11target_archE910ELNS1_3gpuE8ELNS1_3repE0EEENS1_30default_config_static_selectorELNS0_4arch9wavefront6targetE0EEEvS13_.num_agpr, 0
	.set _ZN7rocprim17ROCPRIM_400000_NS6detail17trampoline_kernelINS0_13select_configILj256ELj13ELNS0_17block_load_methodE3ELS4_3ELS4_3ELNS0_20block_scan_algorithmE0ELj4294967295EEENS1_25partition_config_selectorILNS1_17partition_subalgoE4EjNS0_10empty_typeEbEEZZNS1_14partition_implILS8_4ELb0ES6_15HIP_vector_typeIjLj2EENS0_17counting_iteratorIjlEEPS9_SG_NS0_5tupleIJPjSI_NS0_16reverse_iteratorISI_EEEEENSH_IJSG_SG_SG_EEES9_SI_JZNS1_25segmented_radix_sort_implINS0_14default_configELb0EPK6__halfPSP_PKlPlN2at6native12_GLOBAL__N_18offset_tEEE10hipError_tPvRmT1_PNSt15iterator_traitsIS13_E10value_typeET2_T3_PNS14_IS19_E10value_typeET4_jRbjT5_S1F_jjP12ihipStream_tbEUljE_ZNSN_ISO_Lb0ESR_SS_SU_SV_SZ_EES10_S11_S12_S13_S17_S18_S19_S1C_S1D_jS1E_jS1F_S1F_jjS1H_bEUljE0_EEES10_S11_S12_S19_S1D_S1F_T6_T7_T9_mT8_S1H_bDpT10_ENKUlT_T0_E_clISt17integral_constantIbLb1EES1V_EEDaS1Q_S1R_EUlS1Q_E_NS1_11comp_targetILNS1_3genE4ELNS1_11target_archE910ELNS1_3gpuE8ELNS1_3repE0EEENS1_30default_config_static_selectorELNS0_4arch9wavefront6targetE0EEEvS13_.numbered_sgpr, 0
	.set _ZN7rocprim17ROCPRIM_400000_NS6detail17trampoline_kernelINS0_13select_configILj256ELj13ELNS0_17block_load_methodE3ELS4_3ELS4_3ELNS0_20block_scan_algorithmE0ELj4294967295EEENS1_25partition_config_selectorILNS1_17partition_subalgoE4EjNS0_10empty_typeEbEEZZNS1_14partition_implILS8_4ELb0ES6_15HIP_vector_typeIjLj2EENS0_17counting_iteratorIjlEEPS9_SG_NS0_5tupleIJPjSI_NS0_16reverse_iteratorISI_EEEEENSH_IJSG_SG_SG_EEES9_SI_JZNS1_25segmented_radix_sort_implINS0_14default_configELb0EPK6__halfPSP_PKlPlN2at6native12_GLOBAL__N_18offset_tEEE10hipError_tPvRmT1_PNSt15iterator_traitsIS13_E10value_typeET2_T3_PNS14_IS19_E10value_typeET4_jRbjT5_S1F_jjP12ihipStream_tbEUljE_ZNSN_ISO_Lb0ESR_SS_SU_SV_SZ_EES10_S11_S12_S13_S17_S18_S19_S1C_S1D_jS1E_jS1F_S1F_jjS1H_bEUljE0_EEES10_S11_S12_S19_S1D_S1F_T6_T7_T9_mT8_S1H_bDpT10_ENKUlT_T0_E_clISt17integral_constantIbLb1EES1V_EEDaS1Q_S1R_EUlS1Q_E_NS1_11comp_targetILNS1_3genE4ELNS1_11target_archE910ELNS1_3gpuE8ELNS1_3repE0EEENS1_30default_config_static_selectorELNS0_4arch9wavefront6targetE0EEEvS13_.num_named_barrier, 0
	.set _ZN7rocprim17ROCPRIM_400000_NS6detail17trampoline_kernelINS0_13select_configILj256ELj13ELNS0_17block_load_methodE3ELS4_3ELS4_3ELNS0_20block_scan_algorithmE0ELj4294967295EEENS1_25partition_config_selectorILNS1_17partition_subalgoE4EjNS0_10empty_typeEbEEZZNS1_14partition_implILS8_4ELb0ES6_15HIP_vector_typeIjLj2EENS0_17counting_iteratorIjlEEPS9_SG_NS0_5tupleIJPjSI_NS0_16reverse_iteratorISI_EEEEENSH_IJSG_SG_SG_EEES9_SI_JZNS1_25segmented_radix_sort_implINS0_14default_configELb0EPK6__halfPSP_PKlPlN2at6native12_GLOBAL__N_18offset_tEEE10hipError_tPvRmT1_PNSt15iterator_traitsIS13_E10value_typeET2_T3_PNS14_IS19_E10value_typeET4_jRbjT5_S1F_jjP12ihipStream_tbEUljE_ZNSN_ISO_Lb0ESR_SS_SU_SV_SZ_EES10_S11_S12_S13_S17_S18_S19_S1C_S1D_jS1E_jS1F_S1F_jjS1H_bEUljE0_EEES10_S11_S12_S19_S1D_S1F_T6_T7_T9_mT8_S1H_bDpT10_ENKUlT_T0_E_clISt17integral_constantIbLb1EES1V_EEDaS1Q_S1R_EUlS1Q_E_NS1_11comp_targetILNS1_3genE4ELNS1_11target_archE910ELNS1_3gpuE8ELNS1_3repE0EEENS1_30default_config_static_selectorELNS0_4arch9wavefront6targetE0EEEvS13_.private_seg_size, 0
	.set _ZN7rocprim17ROCPRIM_400000_NS6detail17trampoline_kernelINS0_13select_configILj256ELj13ELNS0_17block_load_methodE3ELS4_3ELS4_3ELNS0_20block_scan_algorithmE0ELj4294967295EEENS1_25partition_config_selectorILNS1_17partition_subalgoE4EjNS0_10empty_typeEbEEZZNS1_14partition_implILS8_4ELb0ES6_15HIP_vector_typeIjLj2EENS0_17counting_iteratorIjlEEPS9_SG_NS0_5tupleIJPjSI_NS0_16reverse_iteratorISI_EEEEENSH_IJSG_SG_SG_EEES9_SI_JZNS1_25segmented_radix_sort_implINS0_14default_configELb0EPK6__halfPSP_PKlPlN2at6native12_GLOBAL__N_18offset_tEEE10hipError_tPvRmT1_PNSt15iterator_traitsIS13_E10value_typeET2_T3_PNS14_IS19_E10value_typeET4_jRbjT5_S1F_jjP12ihipStream_tbEUljE_ZNSN_ISO_Lb0ESR_SS_SU_SV_SZ_EES10_S11_S12_S13_S17_S18_S19_S1C_S1D_jS1E_jS1F_S1F_jjS1H_bEUljE0_EEES10_S11_S12_S19_S1D_S1F_T6_T7_T9_mT8_S1H_bDpT10_ENKUlT_T0_E_clISt17integral_constantIbLb1EES1V_EEDaS1Q_S1R_EUlS1Q_E_NS1_11comp_targetILNS1_3genE4ELNS1_11target_archE910ELNS1_3gpuE8ELNS1_3repE0EEENS1_30default_config_static_selectorELNS0_4arch9wavefront6targetE0EEEvS13_.uses_vcc, 0
	.set _ZN7rocprim17ROCPRIM_400000_NS6detail17trampoline_kernelINS0_13select_configILj256ELj13ELNS0_17block_load_methodE3ELS4_3ELS4_3ELNS0_20block_scan_algorithmE0ELj4294967295EEENS1_25partition_config_selectorILNS1_17partition_subalgoE4EjNS0_10empty_typeEbEEZZNS1_14partition_implILS8_4ELb0ES6_15HIP_vector_typeIjLj2EENS0_17counting_iteratorIjlEEPS9_SG_NS0_5tupleIJPjSI_NS0_16reverse_iteratorISI_EEEEENSH_IJSG_SG_SG_EEES9_SI_JZNS1_25segmented_radix_sort_implINS0_14default_configELb0EPK6__halfPSP_PKlPlN2at6native12_GLOBAL__N_18offset_tEEE10hipError_tPvRmT1_PNSt15iterator_traitsIS13_E10value_typeET2_T3_PNS14_IS19_E10value_typeET4_jRbjT5_S1F_jjP12ihipStream_tbEUljE_ZNSN_ISO_Lb0ESR_SS_SU_SV_SZ_EES10_S11_S12_S13_S17_S18_S19_S1C_S1D_jS1E_jS1F_S1F_jjS1H_bEUljE0_EEES10_S11_S12_S19_S1D_S1F_T6_T7_T9_mT8_S1H_bDpT10_ENKUlT_T0_E_clISt17integral_constantIbLb1EES1V_EEDaS1Q_S1R_EUlS1Q_E_NS1_11comp_targetILNS1_3genE4ELNS1_11target_archE910ELNS1_3gpuE8ELNS1_3repE0EEENS1_30default_config_static_selectorELNS0_4arch9wavefront6targetE0EEEvS13_.uses_flat_scratch, 0
	.set _ZN7rocprim17ROCPRIM_400000_NS6detail17trampoline_kernelINS0_13select_configILj256ELj13ELNS0_17block_load_methodE3ELS4_3ELS4_3ELNS0_20block_scan_algorithmE0ELj4294967295EEENS1_25partition_config_selectorILNS1_17partition_subalgoE4EjNS0_10empty_typeEbEEZZNS1_14partition_implILS8_4ELb0ES6_15HIP_vector_typeIjLj2EENS0_17counting_iteratorIjlEEPS9_SG_NS0_5tupleIJPjSI_NS0_16reverse_iteratorISI_EEEEENSH_IJSG_SG_SG_EEES9_SI_JZNS1_25segmented_radix_sort_implINS0_14default_configELb0EPK6__halfPSP_PKlPlN2at6native12_GLOBAL__N_18offset_tEEE10hipError_tPvRmT1_PNSt15iterator_traitsIS13_E10value_typeET2_T3_PNS14_IS19_E10value_typeET4_jRbjT5_S1F_jjP12ihipStream_tbEUljE_ZNSN_ISO_Lb0ESR_SS_SU_SV_SZ_EES10_S11_S12_S13_S17_S18_S19_S1C_S1D_jS1E_jS1F_S1F_jjS1H_bEUljE0_EEES10_S11_S12_S19_S1D_S1F_T6_T7_T9_mT8_S1H_bDpT10_ENKUlT_T0_E_clISt17integral_constantIbLb1EES1V_EEDaS1Q_S1R_EUlS1Q_E_NS1_11comp_targetILNS1_3genE4ELNS1_11target_archE910ELNS1_3gpuE8ELNS1_3repE0EEENS1_30default_config_static_selectorELNS0_4arch9wavefront6targetE0EEEvS13_.has_dyn_sized_stack, 0
	.set _ZN7rocprim17ROCPRIM_400000_NS6detail17trampoline_kernelINS0_13select_configILj256ELj13ELNS0_17block_load_methodE3ELS4_3ELS4_3ELNS0_20block_scan_algorithmE0ELj4294967295EEENS1_25partition_config_selectorILNS1_17partition_subalgoE4EjNS0_10empty_typeEbEEZZNS1_14partition_implILS8_4ELb0ES6_15HIP_vector_typeIjLj2EENS0_17counting_iteratorIjlEEPS9_SG_NS0_5tupleIJPjSI_NS0_16reverse_iteratorISI_EEEEENSH_IJSG_SG_SG_EEES9_SI_JZNS1_25segmented_radix_sort_implINS0_14default_configELb0EPK6__halfPSP_PKlPlN2at6native12_GLOBAL__N_18offset_tEEE10hipError_tPvRmT1_PNSt15iterator_traitsIS13_E10value_typeET2_T3_PNS14_IS19_E10value_typeET4_jRbjT5_S1F_jjP12ihipStream_tbEUljE_ZNSN_ISO_Lb0ESR_SS_SU_SV_SZ_EES10_S11_S12_S13_S17_S18_S19_S1C_S1D_jS1E_jS1F_S1F_jjS1H_bEUljE0_EEES10_S11_S12_S19_S1D_S1F_T6_T7_T9_mT8_S1H_bDpT10_ENKUlT_T0_E_clISt17integral_constantIbLb1EES1V_EEDaS1Q_S1R_EUlS1Q_E_NS1_11comp_targetILNS1_3genE4ELNS1_11target_archE910ELNS1_3gpuE8ELNS1_3repE0EEENS1_30default_config_static_selectorELNS0_4arch9wavefront6targetE0EEEvS13_.has_recursion, 0
	.set _ZN7rocprim17ROCPRIM_400000_NS6detail17trampoline_kernelINS0_13select_configILj256ELj13ELNS0_17block_load_methodE3ELS4_3ELS4_3ELNS0_20block_scan_algorithmE0ELj4294967295EEENS1_25partition_config_selectorILNS1_17partition_subalgoE4EjNS0_10empty_typeEbEEZZNS1_14partition_implILS8_4ELb0ES6_15HIP_vector_typeIjLj2EENS0_17counting_iteratorIjlEEPS9_SG_NS0_5tupleIJPjSI_NS0_16reverse_iteratorISI_EEEEENSH_IJSG_SG_SG_EEES9_SI_JZNS1_25segmented_radix_sort_implINS0_14default_configELb0EPK6__halfPSP_PKlPlN2at6native12_GLOBAL__N_18offset_tEEE10hipError_tPvRmT1_PNSt15iterator_traitsIS13_E10value_typeET2_T3_PNS14_IS19_E10value_typeET4_jRbjT5_S1F_jjP12ihipStream_tbEUljE_ZNSN_ISO_Lb0ESR_SS_SU_SV_SZ_EES10_S11_S12_S13_S17_S18_S19_S1C_S1D_jS1E_jS1F_S1F_jjS1H_bEUljE0_EEES10_S11_S12_S19_S1D_S1F_T6_T7_T9_mT8_S1H_bDpT10_ENKUlT_T0_E_clISt17integral_constantIbLb1EES1V_EEDaS1Q_S1R_EUlS1Q_E_NS1_11comp_targetILNS1_3genE4ELNS1_11target_archE910ELNS1_3gpuE8ELNS1_3repE0EEENS1_30default_config_static_selectorELNS0_4arch9wavefront6targetE0EEEvS13_.has_indirect_call, 0
	.section	.AMDGPU.csdata,"",@progbits
; Kernel info:
; codeLenInByte = 0
; TotalNumSgprs: 0
; NumVgprs: 0
; ScratchSize: 0
; MemoryBound: 0
; FloatMode: 240
; IeeeMode: 1
; LDSByteSize: 0 bytes/workgroup (compile time only)
; SGPRBlocks: 0
; VGPRBlocks: 0
; NumSGPRsForWavesPerEU: 1
; NumVGPRsForWavesPerEU: 1
; Occupancy: 16
; WaveLimiterHint : 0
; COMPUTE_PGM_RSRC2:SCRATCH_EN: 0
; COMPUTE_PGM_RSRC2:USER_SGPR: 2
; COMPUTE_PGM_RSRC2:TRAP_HANDLER: 0
; COMPUTE_PGM_RSRC2:TGID_X_EN: 1
; COMPUTE_PGM_RSRC2:TGID_Y_EN: 0
; COMPUTE_PGM_RSRC2:TGID_Z_EN: 0
; COMPUTE_PGM_RSRC2:TIDIG_COMP_CNT: 0
	.section	.text._ZN7rocprim17ROCPRIM_400000_NS6detail17trampoline_kernelINS0_13select_configILj256ELj13ELNS0_17block_load_methodE3ELS4_3ELS4_3ELNS0_20block_scan_algorithmE0ELj4294967295EEENS1_25partition_config_selectorILNS1_17partition_subalgoE4EjNS0_10empty_typeEbEEZZNS1_14partition_implILS8_4ELb0ES6_15HIP_vector_typeIjLj2EENS0_17counting_iteratorIjlEEPS9_SG_NS0_5tupleIJPjSI_NS0_16reverse_iteratorISI_EEEEENSH_IJSG_SG_SG_EEES9_SI_JZNS1_25segmented_radix_sort_implINS0_14default_configELb0EPK6__halfPSP_PKlPlN2at6native12_GLOBAL__N_18offset_tEEE10hipError_tPvRmT1_PNSt15iterator_traitsIS13_E10value_typeET2_T3_PNS14_IS19_E10value_typeET4_jRbjT5_S1F_jjP12ihipStream_tbEUljE_ZNSN_ISO_Lb0ESR_SS_SU_SV_SZ_EES10_S11_S12_S13_S17_S18_S19_S1C_S1D_jS1E_jS1F_S1F_jjS1H_bEUljE0_EEES10_S11_S12_S19_S1D_S1F_T6_T7_T9_mT8_S1H_bDpT10_ENKUlT_T0_E_clISt17integral_constantIbLb1EES1V_EEDaS1Q_S1R_EUlS1Q_E_NS1_11comp_targetILNS1_3genE3ELNS1_11target_archE908ELNS1_3gpuE7ELNS1_3repE0EEENS1_30default_config_static_selectorELNS0_4arch9wavefront6targetE0EEEvS13_,"axG",@progbits,_ZN7rocprim17ROCPRIM_400000_NS6detail17trampoline_kernelINS0_13select_configILj256ELj13ELNS0_17block_load_methodE3ELS4_3ELS4_3ELNS0_20block_scan_algorithmE0ELj4294967295EEENS1_25partition_config_selectorILNS1_17partition_subalgoE4EjNS0_10empty_typeEbEEZZNS1_14partition_implILS8_4ELb0ES6_15HIP_vector_typeIjLj2EENS0_17counting_iteratorIjlEEPS9_SG_NS0_5tupleIJPjSI_NS0_16reverse_iteratorISI_EEEEENSH_IJSG_SG_SG_EEES9_SI_JZNS1_25segmented_radix_sort_implINS0_14default_configELb0EPK6__halfPSP_PKlPlN2at6native12_GLOBAL__N_18offset_tEEE10hipError_tPvRmT1_PNSt15iterator_traitsIS13_E10value_typeET2_T3_PNS14_IS19_E10value_typeET4_jRbjT5_S1F_jjP12ihipStream_tbEUljE_ZNSN_ISO_Lb0ESR_SS_SU_SV_SZ_EES10_S11_S12_S13_S17_S18_S19_S1C_S1D_jS1E_jS1F_S1F_jjS1H_bEUljE0_EEES10_S11_S12_S19_S1D_S1F_T6_T7_T9_mT8_S1H_bDpT10_ENKUlT_T0_E_clISt17integral_constantIbLb1EES1V_EEDaS1Q_S1R_EUlS1Q_E_NS1_11comp_targetILNS1_3genE3ELNS1_11target_archE908ELNS1_3gpuE7ELNS1_3repE0EEENS1_30default_config_static_selectorELNS0_4arch9wavefront6targetE0EEEvS13_,comdat
	.globl	_ZN7rocprim17ROCPRIM_400000_NS6detail17trampoline_kernelINS0_13select_configILj256ELj13ELNS0_17block_load_methodE3ELS4_3ELS4_3ELNS0_20block_scan_algorithmE0ELj4294967295EEENS1_25partition_config_selectorILNS1_17partition_subalgoE4EjNS0_10empty_typeEbEEZZNS1_14partition_implILS8_4ELb0ES6_15HIP_vector_typeIjLj2EENS0_17counting_iteratorIjlEEPS9_SG_NS0_5tupleIJPjSI_NS0_16reverse_iteratorISI_EEEEENSH_IJSG_SG_SG_EEES9_SI_JZNS1_25segmented_radix_sort_implINS0_14default_configELb0EPK6__halfPSP_PKlPlN2at6native12_GLOBAL__N_18offset_tEEE10hipError_tPvRmT1_PNSt15iterator_traitsIS13_E10value_typeET2_T3_PNS14_IS19_E10value_typeET4_jRbjT5_S1F_jjP12ihipStream_tbEUljE_ZNSN_ISO_Lb0ESR_SS_SU_SV_SZ_EES10_S11_S12_S13_S17_S18_S19_S1C_S1D_jS1E_jS1F_S1F_jjS1H_bEUljE0_EEES10_S11_S12_S19_S1D_S1F_T6_T7_T9_mT8_S1H_bDpT10_ENKUlT_T0_E_clISt17integral_constantIbLb1EES1V_EEDaS1Q_S1R_EUlS1Q_E_NS1_11comp_targetILNS1_3genE3ELNS1_11target_archE908ELNS1_3gpuE7ELNS1_3repE0EEENS1_30default_config_static_selectorELNS0_4arch9wavefront6targetE0EEEvS13_ ; -- Begin function _ZN7rocprim17ROCPRIM_400000_NS6detail17trampoline_kernelINS0_13select_configILj256ELj13ELNS0_17block_load_methodE3ELS4_3ELS4_3ELNS0_20block_scan_algorithmE0ELj4294967295EEENS1_25partition_config_selectorILNS1_17partition_subalgoE4EjNS0_10empty_typeEbEEZZNS1_14partition_implILS8_4ELb0ES6_15HIP_vector_typeIjLj2EENS0_17counting_iteratorIjlEEPS9_SG_NS0_5tupleIJPjSI_NS0_16reverse_iteratorISI_EEEEENSH_IJSG_SG_SG_EEES9_SI_JZNS1_25segmented_radix_sort_implINS0_14default_configELb0EPK6__halfPSP_PKlPlN2at6native12_GLOBAL__N_18offset_tEEE10hipError_tPvRmT1_PNSt15iterator_traitsIS13_E10value_typeET2_T3_PNS14_IS19_E10value_typeET4_jRbjT5_S1F_jjP12ihipStream_tbEUljE_ZNSN_ISO_Lb0ESR_SS_SU_SV_SZ_EES10_S11_S12_S13_S17_S18_S19_S1C_S1D_jS1E_jS1F_S1F_jjS1H_bEUljE0_EEES10_S11_S12_S19_S1D_S1F_T6_T7_T9_mT8_S1H_bDpT10_ENKUlT_T0_E_clISt17integral_constantIbLb1EES1V_EEDaS1Q_S1R_EUlS1Q_E_NS1_11comp_targetILNS1_3genE3ELNS1_11target_archE908ELNS1_3gpuE7ELNS1_3repE0EEENS1_30default_config_static_selectorELNS0_4arch9wavefront6targetE0EEEvS13_
	.p2align	8
	.type	_ZN7rocprim17ROCPRIM_400000_NS6detail17trampoline_kernelINS0_13select_configILj256ELj13ELNS0_17block_load_methodE3ELS4_3ELS4_3ELNS0_20block_scan_algorithmE0ELj4294967295EEENS1_25partition_config_selectorILNS1_17partition_subalgoE4EjNS0_10empty_typeEbEEZZNS1_14partition_implILS8_4ELb0ES6_15HIP_vector_typeIjLj2EENS0_17counting_iteratorIjlEEPS9_SG_NS0_5tupleIJPjSI_NS0_16reverse_iteratorISI_EEEEENSH_IJSG_SG_SG_EEES9_SI_JZNS1_25segmented_radix_sort_implINS0_14default_configELb0EPK6__halfPSP_PKlPlN2at6native12_GLOBAL__N_18offset_tEEE10hipError_tPvRmT1_PNSt15iterator_traitsIS13_E10value_typeET2_T3_PNS14_IS19_E10value_typeET4_jRbjT5_S1F_jjP12ihipStream_tbEUljE_ZNSN_ISO_Lb0ESR_SS_SU_SV_SZ_EES10_S11_S12_S13_S17_S18_S19_S1C_S1D_jS1E_jS1F_S1F_jjS1H_bEUljE0_EEES10_S11_S12_S19_S1D_S1F_T6_T7_T9_mT8_S1H_bDpT10_ENKUlT_T0_E_clISt17integral_constantIbLb1EES1V_EEDaS1Q_S1R_EUlS1Q_E_NS1_11comp_targetILNS1_3genE3ELNS1_11target_archE908ELNS1_3gpuE7ELNS1_3repE0EEENS1_30default_config_static_selectorELNS0_4arch9wavefront6targetE0EEEvS13_,@function
_ZN7rocprim17ROCPRIM_400000_NS6detail17trampoline_kernelINS0_13select_configILj256ELj13ELNS0_17block_load_methodE3ELS4_3ELS4_3ELNS0_20block_scan_algorithmE0ELj4294967295EEENS1_25partition_config_selectorILNS1_17partition_subalgoE4EjNS0_10empty_typeEbEEZZNS1_14partition_implILS8_4ELb0ES6_15HIP_vector_typeIjLj2EENS0_17counting_iteratorIjlEEPS9_SG_NS0_5tupleIJPjSI_NS0_16reverse_iteratorISI_EEEEENSH_IJSG_SG_SG_EEES9_SI_JZNS1_25segmented_radix_sort_implINS0_14default_configELb0EPK6__halfPSP_PKlPlN2at6native12_GLOBAL__N_18offset_tEEE10hipError_tPvRmT1_PNSt15iterator_traitsIS13_E10value_typeET2_T3_PNS14_IS19_E10value_typeET4_jRbjT5_S1F_jjP12ihipStream_tbEUljE_ZNSN_ISO_Lb0ESR_SS_SU_SV_SZ_EES10_S11_S12_S13_S17_S18_S19_S1C_S1D_jS1E_jS1F_S1F_jjS1H_bEUljE0_EEES10_S11_S12_S19_S1D_S1F_T6_T7_T9_mT8_S1H_bDpT10_ENKUlT_T0_E_clISt17integral_constantIbLb1EES1V_EEDaS1Q_S1R_EUlS1Q_E_NS1_11comp_targetILNS1_3genE3ELNS1_11target_archE908ELNS1_3gpuE7ELNS1_3repE0EEENS1_30default_config_static_selectorELNS0_4arch9wavefront6targetE0EEEvS13_: ; @_ZN7rocprim17ROCPRIM_400000_NS6detail17trampoline_kernelINS0_13select_configILj256ELj13ELNS0_17block_load_methodE3ELS4_3ELS4_3ELNS0_20block_scan_algorithmE0ELj4294967295EEENS1_25partition_config_selectorILNS1_17partition_subalgoE4EjNS0_10empty_typeEbEEZZNS1_14partition_implILS8_4ELb0ES6_15HIP_vector_typeIjLj2EENS0_17counting_iteratorIjlEEPS9_SG_NS0_5tupleIJPjSI_NS0_16reverse_iteratorISI_EEEEENSH_IJSG_SG_SG_EEES9_SI_JZNS1_25segmented_radix_sort_implINS0_14default_configELb0EPK6__halfPSP_PKlPlN2at6native12_GLOBAL__N_18offset_tEEE10hipError_tPvRmT1_PNSt15iterator_traitsIS13_E10value_typeET2_T3_PNS14_IS19_E10value_typeET4_jRbjT5_S1F_jjP12ihipStream_tbEUljE_ZNSN_ISO_Lb0ESR_SS_SU_SV_SZ_EES10_S11_S12_S13_S17_S18_S19_S1C_S1D_jS1E_jS1F_S1F_jjS1H_bEUljE0_EEES10_S11_S12_S19_S1D_S1F_T6_T7_T9_mT8_S1H_bDpT10_ENKUlT_T0_E_clISt17integral_constantIbLb1EES1V_EEDaS1Q_S1R_EUlS1Q_E_NS1_11comp_targetILNS1_3genE3ELNS1_11target_archE908ELNS1_3gpuE7ELNS1_3repE0EEENS1_30default_config_static_selectorELNS0_4arch9wavefront6targetE0EEEvS13_
; %bb.0:
	.section	.rodata,"a",@progbits
	.p2align	6, 0x0
	.amdhsa_kernel _ZN7rocprim17ROCPRIM_400000_NS6detail17trampoline_kernelINS0_13select_configILj256ELj13ELNS0_17block_load_methodE3ELS4_3ELS4_3ELNS0_20block_scan_algorithmE0ELj4294967295EEENS1_25partition_config_selectorILNS1_17partition_subalgoE4EjNS0_10empty_typeEbEEZZNS1_14partition_implILS8_4ELb0ES6_15HIP_vector_typeIjLj2EENS0_17counting_iteratorIjlEEPS9_SG_NS0_5tupleIJPjSI_NS0_16reverse_iteratorISI_EEEEENSH_IJSG_SG_SG_EEES9_SI_JZNS1_25segmented_radix_sort_implINS0_14default_configELb0EPK6__halfPSP_PKlPlN2at6native12_GLOBAL__N_18offset_tEEE10hipError_tPvRmT1_PNSt15iterator_traitsIS13_E10value_typeET2_T3_PNS14_IS19_E10value_typeET4_jRbjT5_S1F_jjP12ihipStream_tbEUljE_ZNSN_ISO_Lb0ESR_SS_SU_SV_SZ_EES10_S11_S12_S13_S17_S18_S19_S1C_S1D_jS1E_jS1F_S1F_jjS1H_bEUljE0_EEES10_S11_S12_S19_S1D_S1F_T6_T7_T9_mT8_S1H_bDpT10_ENKUlT_T0_E_clISt17integral_constantIbLb1EES1V_EEDaS1Q_S1R_EUlS1Q_E_NS1_11comp_targetILNS1_3genE3ELNS1_11target_archE908ELNS1_3gpuE7ELNS1_3repE0EEENS1_30default_config_static_selectorELNS0_4arch9wavefront6targetE0EEEvS13_
		.amdhsa_group_segment_fixed_size 0
		.amdhsa_private_segment_fixed_size 0
		.amdhsa_kernarg_size 184
		.amdhsa_user_sgpr_count 2
		.amdhsa_user_sgpr_dispatch_ptr 0
		.amdhsa_user_sgpr_queue_ptr 0
		.amdhsa_user_sgpr_kernarg_segment_ptr 1
		.amdhsa_user_sgpr_dispatch_id 0
		.amdhsa_user_sgpr_private_segment_size 0
		.amdhsa_wavefront_size32 1
		.amdhsa_uses_dynamic_stack 0
		.amdhsa_enable_private_segment 0
		.amdhsa_system_sgpr_workgroup_id_x 1
		.amdhsa_system_sgpr_workgroup_id_y 0
		.amdhsa_system_sgpr_workgroup_id_z 0
		.amdhsa_system_sgpr_workgroup_info 0
		.amdhsa_system_vgpr_workitem_id 0
		.amdhsa_next_free_vgpr 1
		.amdhsa_next_free_sgpr 1
		.amdhsa_reserve_vcc 0
		.amdhsa_float_round_mode_32 0
		.amdhsa_float_round_mode_16_64 0
		.amdhsa_float_denorm_mode_32 3
		.amdhsa_float_denorm_mode_16_64 3
		.amdhsa_fp16_overflow 0
		.amdhsa_workgroup_processor_mode 1
		.amdhsa_memory_ordered 1
		.amdhsa_forward_progress 1
		.amdhsa_inst_pref_size 0
		.amdhsa_round_robin_scheduling 0
		.amdhsa_exception_fp_ieee_invalid_op 0
		.amdhsa_exception_fp_denorm_src 0
		.amdhsa_exception_fp_ieee_div_zero 0
		.amdhsa_exception_fp_ieee_overflow 0
		.amdhsa_exception_fp_ieee_underflow 0
		.amdhsa_exception_fp_ieee_inexact 0
		.amdhsa_exception_int_div_zero 0
	.end_amdhsa_kernel
	.section	.text._ZN7rocprim17ROCPRIM_400000_NS6detail17trampoline_kernelINS0_13select_configILj256ELj13ELNS0_17block_load_methodE3ELS4_3ELS4_3ELNS0_20block_scan_algorithmE0ELj4294967295EEENS1_25partition_config_selectorILNS1_17partition_subalgoE4EjNS0_10empty_typeEbEEZZNS1_14partition_implILS8_4ELb0ES6_15HIP_vector_typeIjLj2EENS0_17counting_iteratorIjlEEPS9_SG_NS0_5tupleIJPjSI_NS0_16reverse_iteratorISI_EEEEENSH_IJSG_SG_SG_EEES9_SI_JZNS1_25segmented_radix_sort_implINS0_14default_configELb0EPK6__halfPSP_PKlPlN2at6native12_GLOBAL__N_18offset_tEEE10hipError_tPvRmT1_PNSt15iterator_traitsIS13_E10value_typeET2_T3_PNS14_IS19_E10value_typeET4_jRbjT5_S1F_jjP12ihipStream_tbEUljE_ZNSN_ISO_Lb0ESR_SS_SU_SV_SZ_EES10_S11_S12_S13_S17_S18_S19_S1C_S1D_jS1E_jS1F_S1F_jjS1H_bEUljE0_EEES10_S11_S12_S19_S1D_S1F_T6_T7_T9_mT8_S1H_bDpT10_ENKUlT_T0_E_clISt17integral_constantIbLb1EES1V_EEDaS1Q_S1R_EUlS1Q_E_NS1_11comp_targetILNS1_3genE3ELNS1_11target_archE908ELNS1_3gpuE7ELNS1_3repE0EEENS1_30default_config_static_selectorELNS0_4arch9wavefront6targetE0EEEvS13_,"axG",@progbits,_ZN7rocprim17ROCPRIM_400000_NS6detail17trampoline_kernelINS0_13select_configILj256ELj13ELNS0_17block_load_methodE3ELS4_3ELS4_3ELNS0_20block_scan_algorithmE0ELj4294967295EEENS1_25partition_config_selectorILNS1_17partition_subalgoE4EjNS0_10empty_typeEbEEZZNS1_14partition_implILS8_4ELb0ES6_15HIP_vector_typeIjLj2EENS0_17counting_iteratorIjlEEPS9_SG_NS0_5tupleIJPjSI_NS0_16reverse_iteratorISI_EEEEENSH_IJSG_SG_SG_EEES9_SI_JZNS1_25segmented_radix_sort_implINS0_14default_configELb0EPK6__halfPSP_PKlPlN2at6native12_GLOBAL__N_18offset_tEEE10hipError_tPvRmT1_PNSt15iterator_traitsIS13_E10value_typeET2_T3_PNS14_IS19_E10value_typeET4_jRbjT5_S1F_jjP12ihipStream_tbEUljE_ZNSN_ISO_Lb0ESR_SS_SU_SV_SZ_EES10_S11_S12_S13_S17_S18_S19_S1C_S1D_jS1E_jS1F_S1F_jjS1H_bEUljE0_EEES10_S11_S12_S19_S1D_S1F_T6_T7_T9_mT8_S1H_bDpT10_ENKUlT_T0_E_clISt17integral_constantIbLb1EES1V_EEDaS1Q_S1R_EUlS1Q_E_NS1_11comp_targetILNS1_3genE3ELNS1_11target_archE908ELNS1_3gpuE7ELNS1_3repE0EEENS1_30default_config_static_selectorELNS0_4arch9wavefront6targetE0EEEvS13_,comdat
.Lfunc_end1789:
	.size	_ZN7rocprim17ROCPRIM_400000_NS6detail17trampoline_kernelINS0_13select_configILj256ELj13ELNS0_17block_load_methodE3ELS4_3ELS4_3ELNS0_20block_scan_algorithmE0ELj4294967295EEENS1_25partition_config_selectorILNS1_17partition_subalgoE4EjNS0_10empty_typeEbEEZZNS1_14partition_implILS8_4ELb0ES6_15HIP_vector_typeIjLj2EENS0_17counting_iteratorIjlEEPS9_SG_NS0_5tupleIJPjSI_NS0_16reverse_iteratorISI_EEEEENSH_IJSG_SG_SG_EEES9_SI_JZNS1_25segmented_radix_sort_implINS0_14default_configELb0EPK6__halfPSP_PKlPlN2at6native12_GLOBAL__N_18offset_tEEE10hipError_tPvRmT1_PNSt15iterator_traitsIS13_E10value_typeET2_T3_PNS14_IS19_E10value_typeET4_jRbjT5_S1F_jjP12ihipStream_tbEUljE_ZNSN_ISO_Lb0ESR_SS_SU_SV_SZ_EES10_S11_S12_S13_S17_S18_S19_S1C_S1D_jS1E_jS1F_S1F_jjS1H_bEUljE0_EEES10_S11_S12_S19_S1D_S1F_T6_T7_T9_mT8_S1H_bDpT10_ENKUlT_T0_E_clISt17integral_constantIbLb1EES1V_EEDaS1Q_S1R_EUlS1Q_E_NS1_11comp_targetILNS1_3genE3ELNS1_11target_archE908ELNS1_3gpuE7ELNS1_3repE0EEENS1_30default_config_static_selectorELNS0_4arch9wavefront6targetE0EEEvS13_, .Lfunc_end1789-_ZN7rocprim17ROCPRIM_400000_NS6detail17trampoline_kernelINS0_13select_configILj256ELj13ELNS0_17block_load_methodE3ELS4_3ELS4_3ELNS0_20block_scan_algorithmE0ELj4294967295EEENS1_25partition_config_selectorILNS1_17partition_subalgoE4EjNS0_10empty_typeEbEEZZNS1_14partition_implILS8_4ELb0ES6_15HIP_vector_typeIjLj2EENS0_17counting_iteratorIjlEEPS9_SG_NS0_5tupleIJPjSI_NS0_16reverse_iteratorISI_EEEEENSH_IJSG_SG_SG_EEES9_SI_JZNS1_25segmented_radix_sort_implINS0_14default_configELb0EPK6__halfPSP_PKlPlN2at6native12_GLOBAL__N_18offset_tEEE10hipError_tPvRmT1_PNSt15iterator_traitsIS13_E10value_typeET2_T3_PNS14_IS19_E10value_typeET4_jRbjT5_S1F_jjP12ihipStream_tbEUljE_ZNSN_ISO_Lb0ESR_SS_SU_SV_SZ_EES10_S11_S12_S13_S17_S18_S19_S1C_S1D_jS1E_jS1F_S1F_jjS1H_bEUljE0_EEES10_S11_S12_S19_S1D_S1F_T6_T7_T9_mT8_S1H_bDpT10_ENKUlT_T0_E_clISt17integral_constantIbLb1EES1V_EEDaS1Q_S1R_EUlS1Q_E_NS1_11comp_targetILNS1_3genE3ELNS1_11target_archE908ELNS1_3gpuE7ELNS1_3repE0EEENS1_30default_config_static_selectorELNS0_4arch9wavefront6targetE0EEEvS13_
                                        ; -- End function
	.set _ZN7rocprim17ROCPRIM_400000_NS6detail17trampoline_kernelINS0_13select_configILj256ELj13ELNS0_17block_load_methodE3ELS4_3ELS4_3ELNS0_20block_scan_algorithmE0ELj4294967295EEENS1_25partition_config_selectorILNS1_17partition_subalgoE4EjNS0_10empty_typeEbEEZZNS1_14partition_implILS8_4ELb0ES6_15HIP_vector_typeIjLj2EENS0_17counting_iteratorIjlEEPS9_SG_NS0_5tupleIJPjSI_NS0_16reverse_iteratorISI_EEEEENSH_IJSG_SG_SG_EEES9_SI_JZNS1_25segmented_radix_sort_implINS0_14default_configELb0EPK6__halfPSP_PKlPlN2at6native12_GLOBAL__N_18offset_tEEE10hipError_tPvRmT1_PNSt15iterator_traitsIS13_E10value_typeET2_T3_PNS14_IS19_E10value_typeET4_jRbjT5_S1F_jjP12ihipStream_tbEUljE_ZNSN_ISO_Lb0ESR_SS_SU_SV_SZ_EES10_S11_S12_S13_S17_S18_S19_S1C_S1D_jS1E_jS1F_S1F_jjS1H_bEUljE0_EEES10_S11_S12_S19_S1D_S1F_T6_T7_T9_mT8_S1H_bDpT10_ENKUlT_T0_E_clISt17integral_constantIbLb1EES1V_EEDaS1Q_S1R_EUlS1Q_E_NS1_11comp_targetILNS1_3genE3ELNS1_11target_archE908ELNS1_3gpuE7ELNS1_3repE0EEENS1_30default_config_static_selectorELNS0_4arch9wavefront6targetE0EEEvS13_.num_vgpr, 0
	.set _ZN7rocprim17ROCPRIM_400000_NS6detail17trampoline_kernelINS0_13select_configILj256ELj13ELNS0_17block_load_methodE3ELS4_3ELS4_3ELNS0_20block_scan_algorithmE0ELj4294967295EEENS1_25partition_config_selectorILNS1_17partition_subalgoE4EjNS0_10empty_typeEbEEZZNS1_14partition_implILS8_4ELb0ES6_15HIP_vector_typeIjLj2EENS0_17counting_iteratorIjlEEPS9_SG_NS0_5tupleIJPjSI_NS0_16reverse_iteratorISI_EEEEENSH_IJSG_SG_SG_EEES9_SI_JZNS1_25segmented_radix_sort_implINS0_14default_configELb0EPK6__halfPSP_PKlPlN2at6native12_GLOBAL__N_18offset_tEEE10hipError_tPvRmT1_PNSt15iterator_traitsIS13_E10value_typeET2_T3_PNS14_IS19_E10value_typeET4_jRbjT5_S1F_jjP12ihipStream_tbEUljE_ZNSN_ISO_Lb0ESR_SS_SU_SV_SZ_EES10_S11_S12_S13_S17_S18_S19_S1C_S1D_jS1E_jS1F_S1F_jjS1H_bEUljE0_EEES10_S11_S12_S19_S1D_S1F_T6_T7_T9_mT8_S1H_bDpT10_ENKUlT_T0_E_clISt17integral_constantIbLb1EES1V_EEDaS1Q_S1R_EUlS1Q_E_NS1_11comp_targetILNS1_3genE3ELNS1_11target_archE908ELNS1_3gpuE7ELNS1_3repE0EEENS1_30default_config_static_selectorELNS0_4arch9wavefront6targetE0EEEvS13_.num_agpr, 0
	.set _ZN7rocprim17ROCPRIM_400000_NS6detail17trampoline_kernelINS0_13select_configILj256ELj13ELNS0_17block_load_methodE3ELS4_3ELS4_3ELNS0_20block_scan_algorithmE0ELj4294967295EEENS1_25partition_config_selectorILNS1_17partition_subalgoE4EjNS0_10empty_typeEbEEZZNS1_14partition_implILS8_4ELb0ES6_15HIP_vector_typeIjLj2EENS0_17counting_iteratorIjlEEPS9_SG_NS0_5tupleIJPjSI_NS0_16reverse_iteratorISI_EEEEENSH_IJSG_SG_SG_EEES9_SI_JZNS1_25segmented_radix_sort_implINS0_14default_configELb0EPK6__halfPSP_PKlPlN2at6native12_GLOBAL__N_18offset_tEEE10hipError_tPvRmT1_PNSt15iterator_traitsIS13_E10value_typeET2_T3_PNS14_IS19_E10value_typeET4_jRbjT5_S1F_jjP12ihipStream_tbEUljE_ZNSN_ISO_Lb0ESR_SS_SU_SV_SZ_EES10_S11_S12_S13_S17_S18_S19_S1C_S1D_jS1E_jS1F_S1F_jjS1H_bEUljE0_EEES10_S11_S12_S19_S1D_S1F_T6_T7_T9_mT8_S1H_bDpT10_ENKUlT_T0_E_clISt17integral_constantIbLb1EES1V_EEDaS1Q_S1R_EUlS1Q_E_NS1_11comp_targetILNS1_3genE3ELNS1_11target_archE908ELNS1_3gpuE7ELNS1_3repE0EEENS1_30default_config_static_selectorELNS0_4arch9wavefront6targetE0EEEvS13_.numbered_sgpr, 0
	.set _ZN7rocprim17ROCPRIM_400000_NS6detail17trampoline_kernelINS0_13select_configILj256ELj13ELNS0_17block_load_methodE3ELS4_3ELS4_3ELNS0_20block_scan_algorithmE0ELj4294967295EEENS1_25partition_config_selectorILNS1_17partition_subalgoE4EjNS0_10empty_typeEbEEZZNS1_14partition_implILS8_4ELb0ES6_15HIP_vector_typeIjLj2EENS0_17counting_iteratorIjlEEPS9_SG_NS0_5tupleIJPjSI_NS0_16reverse_iteratorISI_EEEEENSH_IJSG_SG_SG_EEES9_SI_JZNS1_25segmented_radix_sort_implINS0_14default_configELb0EPK6__halfPSP_PKlPlN2at6native12_GLOBAL__N_18offset_tEEE10hipError_tPvRmT1_PNSt15iterator_traitsIS13_E10value_typeET2_T3_PNS14_IS19_E10value_typeET4_jRbjT5_S1F_jjP12ihipStream_tbEUljE_ZNSN_ISO_Lb0ESR_SS_SU_SV_SZ_EES10_S11_S12_S13_S17_S18_S19_S1C_S1D_jS1E_jS1F_S1F_jjS1H_bEUljE0_EEES10_S11_S12_S19_S1D_S1F_T6_T7_T9_mT8_S1H_bDpT10_ENKUlT_T0_E_clISt17integral_constantIbLb1EES1V_EEDaS1Q_S1R_EUlS1Q_E_NS1_11comp_targetILNS1_3genE3ELNS1_11target_archE908ELNS1_3gpuE7ELNS1_3repE0EEENS1_30default_config_static_selectorELNS0_4arch9wavefront6targetE0EEEvS13_.num_named_barrier, 0
	.set _ZN7rocprim17ROCPRIM_400000_NS6detail17trampoline_kernelINS0_13select_configILj256ELj13ELNS0_17block_load_methodE3ELS4_3ELS4_3ELNS0_20block_scan_algorithmE0ELj4294967295EEENS1_25partition_config_selectorILNS1_17partition_subalgoE4EjNS0_10empty_typeEbEEZZNS1_14partition_implILS8_4ELb0ES6_15HIP_vector_typeIjLj2EENS0_17counting_iteratorIjlEEPS9_SG_NS0_5tupleIJPjSI_NS0_16reverse_iteratorISI_EEEEENSH_IJSG_SG_SG_EEES9_SI_JZNS1_25segmented_radix_sort_implINS0_14default_configELb0EPK6__halfPSP_PKlPlN2at6native12_GLOBAL__N_18offset_tEEE10hipError_tPvRmT1_PNSt15iterator_traitsIS13_E10value_typeET2_T3_PNS14_IS19_E10value_typeET4_jRbjT5_S1F_jjP12ihipStream_tbEUljE_ZNSN_ISO_Lb0ESR_SS_SU_SV_SZ_EES10_S11_S12_S13_S17_S18_S19_S1C_S1D_jS1E_jS1F_S1F_jjS1H_bEUljE0_EEES10_S11_S12_S19_S1D_S1F_T6_T7_T9_mT8_S1H_bDpT10_ENKUlT_T0_E_clISt17integral_constantIbLb1EES1V_EEDaS1Q_S1R_EUlS1Q_E_NS1_11comp_targetILNS1_3genE3ELNS1_11target_archE908ELNS1_3gpuE7ELNS1_3repE0EEENS1_30default_config_static_selectorELNS0_4arch9wavefront6targetE0EEEvS13_.private_seg_size, 0
	.set _ZN7rocprim17ROCPRIM_400000_NS6detail17trampoline_kernelINS0_13select_configILj256ELj13ELNS0_17block_load_methodE3ELS4_3ELS4_3ELNS0_20block_scan_algorithmE0ELj4294967295EEENS1_25partition_config_selectorILNS1_17partition_subalgoE4EjNS0_10empty_typeEbEEZZNS1_14partition_implILS8_4ELb0ES6_15HIP_vector_typeIjLj2EENS0_17counting_iteratorIjlEEPS9_SG_NS0_5tupleIJPjSI_NS0_16reverse_iteratorISI_EEEEENSH_IJSG_SG_SG_EEES9_SI_JZNS1_25segmented_radix_sort_implINS0_14default_configELb0EPK6__halfPSP_PKlPlN2at6native12_GLOBAL__N_18offset_tEEE10hipError_tPvRmT1_PNSt15iterator_traitsIS13_E10value_typeET2_T3_PNS14_IS19_E10value_typeET4_jRbjT5_S1F_jjP12ihipStream_tbEUljE_ZNSN_ISO_Lb0ESR_SS_SU_SV_SZ_EES10_S11_S12_S13_S17_S18_S19_S1C_S1D_jS1E_jS1F_S1F_jjS1H_bEUljE0_EEES10_S11_S12_S19_S1D_S1F_T6_T7_T9_mT8_S1H_bDpT10_ENKUlT_T0_E_clISt17integral_constantIbLb1EES1V_EEDaS1Q_S1R_EUlS1Q_E_NS1_11comp_targetILNS1_3genE3ELNS1_11target_archE908ELNS1_3gpuE7ELNS1_3repE0EEENS1_30default_config_static_selectorELNS0_4arch9wavefront6targetE0EEEvS13_.uses_vcc, 0
	.set _ZN7rocprim17ROCPRIM_400000_NS6detail17trampoline_kernelINS0_13select_configILj256ELj13ELNS0_17block_load_methodE3ELS4_3ELS4_3ELNS0_20block_scan_algorithmE0ELj4294967295EEENS1_25partition_config_selectorILNS1_17partition_subalgoE4EjNS0_10empty_typeEbEEZZNS1_14partition_implILS8_4ELb0ES6_15HIP_vector_typeIjLj2EENS0_17counting_iteratorIjlEEPS9_SG_NS0_5tupleIJPjSI_NS0_16reverse_iteratorISI_EEEEENSH_IJSG_SG_SG_EEES9_SI_JZNS1_25segmented_radix_sort_implINS0_14default_configELb0EPK6__halfPSP_PKlPlN2at6native12_GLOBAL__N_18offset_tEEE10hipError_tPvRmT1_PNSt15iterator_traitsIS13_E10value_typeET2_T3_PNS14_IS19_E10value_typeET4_jRbjT5_S1F_jjP12ihipStream_tbEUljE_ZNSN_ISO_Lb0ESR_SS_SU_SV_SZ_EES10_S11_S12_S13_S17_S18_S19_S1C_S1D_jS1E_jS1F_S1F_jjS1H_bEUljE0_EEES10_S11_S12_S19_S1D_S1F_T6_T7_T9_mT8_S1H_bDpT10_ENKUlT_T0_E_clISt17integral_constantIbLb1EES1V_EEDaS1Q_S1R_EUlS1Q_E_NS1_11comp_targetILNS1_3genE3ELNS1_11target_archE908ELNS1_3gpuE7ELNS1_3repE0EEENS1_30default_config_static_selectorELNS0_4arch9wavefront6targetE0EEEvS13_.uses_flat_scratch, 0
	.set _ZN7rocprim17ROCPRIM_400000_NS6detail17trampoline_kernelINS0_13select_configILj256ELj13ELNS0_17block_load_methodE3ELS4_3ELS4_3ELNS0_20block_scan_algorithmE0ELj4294967295EEENS1_25partition_config_selectorILNS1_17partition_subalgoE4EjNS0_10empty_typeEbEEZZNS1_14partition_implILS8_4ELb0ES6_15HIP_vector_typeIjLj2EENS0_17counting_iteratorIjlEEPS9_SG_NS0_5tupleIJPjSI_NS0_16reverse_iteratorISI_EEEEENSH_IJSG_SG_SG_EEES9_SI_JZNS1_25segmented_radix_sort_implINS0_14default_configELb0EPK6__halfPSP_PKlPlN2at6native12_GLOBAL__N_18offset_tEEE10hipError_tPvRmT1_PNSt15iterator_traitsIS13_E10value_typeET2_T3_PNS14_IS19_E10value_typeET4_jRbjT5_S1F_jjP12ihipStream_tbEUljE_ZNSN_ISO_Lb0ESR_SS_SU_SV_SZ_EES10_S11_S12_S13_S17_S18_S19_S1C_S1D_jS1E_jS1F_S1F_jjS1H_bEUljE0_EEES10_S11_S12_S19_S1D_S1F_T6_T7_T9_mT8_S1H_bDpT10_ENKUlT_T0_E_clISt17integral_constantIbLb1EES1V_EEDaS1Q_S1R_EUlS1Q_E_NS1_11comp_targetILNS1_3genE3ELNS1_11target_archE908ELNS1_3gpuE7ELNS1_3repE0EEENS1_30default_config_static_selectorELNS0_4arch9wavefront6targetE0EEEvS13_.has_dyn_sized_stack, 0
	.set _ZN7rocprim17ROCPRIM_400000_NS6detail17trampoline_kernelINS0_13select_configILj256ELj13ELNS0_17block_load_methodE3ELS4_3ELS4_3ELNS0_20block_scan_algorithmE0ELj4294967295EEENS1_25partition_config_selectorILNS1_17partition_subalgoE4EjNS0_10empty_typeEbEEZZNS1_14partition_implILS8_4ELb0ES6_15HIP_vector_typeIjLj2EENS0_17counting_iteratorIjlEEPS9_SG_NS0_5tupleIJPjSI_NS0_16reverse_iteratorISI_EEEEENSH_IJSG_SG_SG_EEES9_SI_JZNS1_25segmented_radix_sort_implINS0_14default_configELb0EPK6__halfPSP_PKlPlN2at6native12_GLOBAL__N_18offset_tEEE10hipError_tPvRmT1_PNSt15iterator_traitsIS13_E10value_typeET2_T3_PNS14_IS19_E10value_typeET4_jRbjT5_S1F_jjP12ihipStream_tbEUljE_ZNSN_ISO_Lb0ESR_SS_SU_SV_SZ_EES10_S11_S12_S13_S17_S18_S19_S1C_S1D_jS1E_jS1F_S1F_jjS1H_bEUljE0_EEES10_S11_S12_S19_S1D_S1F_T6_T7_T9_mT8_S1H_bDpT10_ENKUlT_T0_E_clISt17integral_constantIbLb1EES1V_EEDaS1Q_S1R_EUlS1Q_E_NS1_11comp_targetILNS1_3genE3ELNS1_11target_archE908ELNS1_3gpuE7ELNS1_3repE0EEENS1_30default_config_static_selectorELNS0_4arch9wavefront6targetE0EEEvS13_.has_recursion, 0
	.set _ZN7rocprim17ROCPRIM_400000_NS6detail17trampoline_kernelINS0_13select_configILj256ELj13ELNS0_17block_load_methodE3ELS4_3ELS4_3ELNS0_20block_scan_algorithmE0ELj4294967295EEENS1_25partition_config_selectorILNS1_17partition_subalgoE4EjNS0_10empty_typeEbEEZZNS1_14partition_implILS8_4ELb0ES6_15HIP_vector_typeIjLj2EENS0_17counting_iteratorIjlEEPS9_SG_NS0_5tupleIJPjSI_NS0_16reverse_iteratorISI_EEEEENSH_IJSG_SG_SG_EEES9_SI_JZNS1_25segmented_radix_sort_implINS0_14default_configELb0EPK6__halfPSP_PKlPlN2at6native12_GLOBAL__N_18offset_tEEE10hipError_tPvRmT1_PNSt15iterator_traitsIS13_E10value_typeET2_T3_PNS14_IS19_E10value_typeET4_jRbjT5_S1F_jjP12ihipStream_tbEUljE_ZNSN_ISO_Lb0ESR_SS_SU_SV_SZ_EES10_S11_S12_S13_S17_S18_S19_S1C_S1D_jS1E_jS1F_S1F_jjS1H_bEUljE0_EEES10_S11_S12_S19_S1D_S1F_T6_T7_T9_mT8_S1H_bDpT10_ENKUlT_T0_E_clISt17integral_constantIbLb1EES1V_EEDaS1Q_S1R_EUlS1Q_E_NS1_11comp_targetILNS1_3genE3ELNS1_11target_archE908ELNS1_3gpuE7ELNS1_3repE0EEENS1_30default_config_static_selectorELNS0_4arch9wavefront6targetE0EEEvS13_.has_indirect_call, 0
	.section	.AMDGPU.csdata,"",@progbits
; Kernel info:
; codeLenInByte = 0
; TotalNumSgprs: 0
; NumVgprs: 0
; ScratchSize: 0
; MemoryBound: 0
; FloatMode: 240
; IeeeMode: 1
; LDSByteSize: 0 bytes/workgroup (compile time only)
; SGPRBlocks: 0
; VGPRBlocks: 0
; NumSGPRsForWavesPerEU: 1
; NumVGPRsForWavesPerEU: 1
; Occupancy: 16
; WaveLimiterHint : 0
; COMPUTE_PGM_RSRC2:SCRATCH_EN: 0
; COMPUTE_PGM_RSRC2:USER_SGPR: 2
; COMPUTE_PGM_RSRC2:TRAP_HANDLER: 0
; COMPUTE_PGM_RSRC2:TGID_X_EN: 1
; COMPUTE_PGM_RSRC2:TGID_Y_EN: 0
; COMPUTE_PGM_RSRC2:TGID_Z_EN: 0
; COMPUTE_PGM_RSRC2:TIDIG_COMP_CNT: 0
	.section	.text._ZN7rocprim17ROCPRIM_400000_NS6detail17trampoline_kernelINS0_13select_configILj256ELj13ELNS0_17block_load_methodE3ELS4_3ELS4_3ELNS0_20block_scan_algorithmE0ELj4294967295EEENS1_25partition_config_selectorILNS1_17partition_subalgoE4EjNS0_10empty_typeEbEEZZNS1_14partition_implILS8_4ELb0ES6_15HIP_vector_typeIjLj2EENS0_17counting_iteratorIjlEEPS9_SG_NS0_5tupleIJPjSI_NS0_16reverse_iteratorISI_EEEEENSH_IJSG_SG_SG_EEES9_SI_JZNS1_25segmented_radix_sort_implINS0_14default_configELb0EPK6__halfPSP_PKlPlN2at6native12_GLOBAL__N_18offset_tEEE10hipError_tPvRmT1_PNSt15iterator_traitsIS13_E10value_typeET2_T3_PNS14_IS19_E10value_typeET4_jRbjT5_S1F_jjP12ihipStream_tbEUljE_ZNSN_ISO_Lb0ESR_SS_SU_SV_SZ_EES10_S11_S12_S13_S17_S18_S19_S1C_S1D_jS1E_jS1F_S1F_jjS1H_bEUljE0_EEES10_S11_S12_S19_S1D_S1F_T6_T7_T9_mT8_S1H_bDpT10_ENKUlT_T0_E_clISt17integral_constantIbLb1EES1V_EEDaS1Q_S1R_EUlS1Q_E_NS1_11comp_targetILNS1_3genE2ELNS1_11target_archE906ELNS1_3gpuE6ELNS1_3repE0EEENS1_30default_config_static_selectorELNS0_4arch9wavefront6targetE0EEEvS13_,"axG",@progbits,_ZN7rocprim17ROCPRIM_400000_NS6detail17trampoline_kernelINS0_13select_configILj256ELj13ELNS0_17block_load_methodE3ELS4_3ELS4_3ELNS0_20block_scan_algorithmE0ELj4294967295EEENS1_25partition_config_selectorILNS1_17partition_subalgoE4EjNS0_10empty_typeEbEEZZNS1_14partition_implILS8_4ELb0ES6_15HIP_vector_typeIjLj2EENS0_17counting_iteratorIjlEEPS9_SG_NS0_5tupleIJPjSI_NS0_16reverse_iteratorISI_EEEEENSH_IJSG_SG_SG_EEES9_SI_JZNS1_25segmented_radix_sort_implINS0_14default_configELb0EPK6__halfPSP_PKlPlN2at6native12_GLOBAL__N_18offset_tEEE10hipError_tPvRmT1_PNSt15iterator_traitsIS13_E10value_typeET2_T3_PNS14_IS19_E10value_typeET4_jRbjT5_S1F_jjP12ihipStream_tbEUljE_ZNSN_ISO_Lb0ESR_SS_SU_SV_SZ_EES10_S11_S12_S13_S17_S18_S19_S1C_S1D_jS1E_jS1F_S1F_jjS1H_bEUljE0_EEES10_S11_S12_S19_S1D_S1F_T6_T7_T9_mT8_S1H_bDpT10_ENKUlT_T0_E_clISt17integral_constantIbLb1EES1V_EEDaS1Q_S1R_EUlS1Q_E_NS1_11comp_targetILNS1_3genE2ELNS1_11target_archE906ELNS1_3gpuE6ELNS1_3repE0EEENS1_30default_config_static_selectorELNS0_4arch9wavefront6targetE0EEEvS13_,comdat
	.globl	_ZN7rocprim17ROCPRIM_400000_NS6detail17trampoline_kernelINS0_13select_configILj256ELj13ELNS0_17block_load_methodE3ELS4_3ELS4_3ELNS0_20block_scan_algorithmE0ELj4294967295EEENS1_25partition_config_selectorILNS1_17partition_subalgoE4EjNS0_10empty_typeEbEEZZNS1_14partition_implILS8_4ELb0ES6_15HIP_vector_typeIjLj2EENS0_17counting_iteratorIjlEEPS9_SG_NS0_5tupleIJPjSI_NS0_16reverse_iteratorISI_EEEEENSH_IJSG_SG_SG_EEES9_SI_JZNS1_25segmented_radix_sort_implINS0_14default_configELb0EPK6__halfPSP_PKlPlN2at6native12_GLOBAL__N_18offset_tEEE10hipError_tPvRmT1_PNSt15iterator_traitsIS13_E10value_typeET2_T3_PNS14_IS19_E10value_typeET4_jRbjT5_S1F_jjP12ihipStream_tbEUljE_ZNSN_ISO_Lb0ESR_SS_SU_SV_SZ_EES10_S11_S12_S13_S17_S18_S19_S1C_S1D_jS1E_jS1F_S1F_jjS1H_bEUljE0_EEES10_S11_S12_S19_S1D_S1F_T6_T7_T9_mT8_S1H_bDpT10_ENKUlT_T0_E_clISt17integral_constantIbLb1EES1V_EEDaS1Q_S1R_EUlS1Q_E_NS1_11comp_targetILNS1_3genE2ELNS1_11target_archE906ELNS1_3gpuE6ELNS1_3repE0EEENS1_30default_config_static_selectorELNS0_4arch9wavefront6targetE0EEEvS13_ ; -- Begin function _ZN7rocprim17ROCPRIM_400000_NS6detail17trampoline_kernelINS0_13select_configILj256ELj13ELNS0_17block_load_methodE3ELS4_3ELS4_3ELNS0_20block_scan_algorithmE0ELj4294967295EEENS1_25partition_config_selectorILNS1_17partition_subalgoE4EjNS0_10empty_typeEbEEZZNS1_14partition_implILS8_4ELb0ES6_15HIP_vector_typeIjLj2EENS0_17counting_iteratorIjlEEPS9_SG_NS0_5tupleIJPjSI_NS0_16reverse_iteratorISI_EEEEENSH_IJSG_SG_SG_EEES9_SI_JZNS1_25segmented_radix_sort_implINS0_14default_configELb0EPK6__halfPSP_PKlPlN2at6native12_GLOBAL__N_18offset_tEEE10hipError_tPvRmT1_PNSt15iterator_traitsIS13_E10value_typeET2_T3_PNS14_IS19_E10value_typeET4_jRbjT5_S1F_jjP12ihipStream_tbEUljE_ZNSN_ISO_Lb0ESR_SS_SU_SV_SZ_EES10_S11_S12_S13_S17_S18_S19_S1C_S1D_jS1E_jS1F_S1F_jjS1H_bEUljE0_EEES10_S11_S12_S19_S1D_S1F_T6_T7_T9_mT8_S1H_bDpT10_ENKUlT_T0_E_clISt17integral_constantIbLb1EES1V_EEDaS1Q_S1R_EUlS1Q_E_NS1_11comp_targetILNS1_3genE2ELNS1_11target_archE906ELNS1_3gpuE6ELNS1_3repE0EEENS1_30default_config_static_selectorELNS0_4arch9wavefront6targetE0EEEvS13_
	.p2align	8
	.type	_ZN7rocprim17ROCPRIM_400000_NS6detail17trampoline_kernelINS0_13select_configILj256ELj13ELNS0_17block_load_methodE3ELS4_3ELS4_3ELNS0_20block_scan_algorithmE0ELj4294967295EEENS1_25partition_config_selectorILNS1_17partition_subalgoE4EjNS0_10empty_typeEbEEZZNS1_14partition_implILS8_4ELb0ES6_15HIP_vector_typeIjLj2EENS0_17counting_iteratorIjlEEPS9_SG_NS0_5tupleIJPjSI_NS0_16reverse_iteratorISI_EEEEENSH_IJSG_SG_SG_EEES9_SI_JZNS1_25segmented_radix_sort_implINS0_14default_configELb0EPK6__halfPSP_PKlPlN2at6native12_GLOBAL__N_18offset_tEEE10hipError_tPvRmT1_PNSt15iterator_traitsIS13_E10value_typeET2_T3_PNS14_IS19_E10value_typeET4_jRbjT5_S1F_jjP12ihipStream_tbEUljE_ZNSN_ISO_Lb0ESR_SS_SU_SV_SZ_EES10_S11_S12_S13_S17_S18_S19_S1C_S1D_jS1E_jS1F_S1F_jjS1H_bEUljE0_EEES10_S11_S12_S19_S1D_S1F_T6_T7_T9_mT8_S1H_bDpT10_ENKUlT_T0_E_clISt17integral_constantIbLb1EES1V_EEDaS1Q_S1R_EUlS1Q_E_NS1_11comp_targetILNS1_3genE2ELNS1_11target_archE906ELNS1_3gpuE6ELNS1_3repE0EEENS1_30default_config_static_selectorELNS0_4arch9wavefront6targetE0EEEvS13_,@function
_ZN7rocprim17ROCPRIM_400000_NS6detail17trampoline_kernelINS0_13select_configILj256ELj13ELNS0_17block_load_methodE3ELS4_3ELS4_3ELNS0_20block_scan_algorithmE0ELj4294967295EEENS1_25partition_config_selectorILNS1_17partition_subalgoE4EjNS0_10empty_typeEbEEZZNS1_14partition_implILS8_4ELb0ES6_15HIP_vector_typeIjLj2EENS0_17counting_iteratorIjlEEPS9_SG_NS0_5tupleIJPjSI_NS0_16reverse_iteratorISI_EEEEENSH_IJSG_SG_SG_EEES9_SI_JZNS1_25segmented_radix_sort_implINS0_14default_configELb0EPK6__halfPSP_PKlPlN2at6native12_GLOBAL__N_18offset_tEEE10hipError_tPvRmT1_PNSt15iterator_traitsIS13_E10value_typeET2_T3_PNS14_IS19_E10value_typeET4_jRbjT5_S1F_jjP12ihipStream_tbEUljE_ZNSN_ISO_Lb0ESR_SS_SU_SV_SZ_EES10_S11_S12_S13_S17_S18_S19_S1C_S1D_jS1E_jS1F_S1F_jjS1H_bEUljE0_EEES10_S11_S12_S19_S1D_S1F_T6_T7_T9_mT8_S1H_bDpT10_ENKUlT_T0_E_clISt17integral_constantIbLb1EES1V_EEDaS1Q_S1R_EUlS1Q_E_NS1_11comp_targetILNS1_3genE2ELNS1_11target_archE906ELNS1_3gpuE6ELNS1_3repE0EEENS1_30default_config_static_selectorELNS0_4arch9wavefront6targetE0EEEvS13_: ; @_ZN7rocprim17ROCPRIM_400000_NS6detail17trampoline_kernelINS0_13select_configILj256ELj13ELNS0_17block_load_methodE3ELS4_3ELS4_3ELNS0_20block_scan_algorithmE0ELj4294967295EEENS1_25partition_config_selectorILNS1_17partition_subalgoE4EjNS0_10empty_typeEbEEZZNS1_14partition_implILS8_4ELb0ES6_15HIP_vector_typeIjLj2EENS0_17counting_iteratorIjlEEPS9_SG_NS0_5tupleIJPjSI_NS0_16reverse_iteratorISI_EEEEENSH_IJSG_SG_SG_EEES9_SI_JZNS1_25segmented_radix_sort_implINS0_14default_configELb0EPK6__halfPSP_PKlPlN2at6native12_GLOBAL__N_18offset_tEEE10hipError_tPvRmT1_PNSt15iterator_traitsIS13_E10value_typeET2_T3_PNS14_IS19_E10value_typeET4_jRbjT5_S1F_jjP12ihipStream_tbEUljE_ZNSN_ISO_Lb0ESR_SS_SU_SV_SZ_EES10_S11_S12_S13_S17_S18_S19_S1C_S1D_jS1E_jS1F_S1F_jjS1H_bEUljE0_EEES10_S11_S12_S19_S1D_S1F_T6_T7_T9_mT8_S1H_bDpT10_ENKUlT_T0_E_clISt17integral_constantIbLb1EES1V_EEDaS1Q_S1R_EUlS1Q_E_NS1_11comp_targetILNS1_3genE2ELNS1_11target_archE906ELNS1_3gpuE6ELNS1_3repE0EEENS1_30default_config_static_selectorELNS0_4arch9wavefront6targetE0EEEvS13_
; %bb.0:
	.section	.rodata,"a",@progbits
	.p2align	6, 0x0
	.amdhsa_kernel _ZN7rocprim17ROCPRIM_400000_NS6detail17trampoline_kernelINS0_13select_configILj256ELj13ELNS0_17block_load_methodE3ELS4_3ELS4_3ELNS0_20block_scan_algorithmE0ELj4294967295EEENS1_25partition_config_selectorILNS1_17partition_subalgoE4EjNS0_10empty_typeEbEEZZNS1_14partition_implILS8_4ELb0ES6_15HIP_vector_typeIjLj2EENS0_17counting_iteratorIjlEEPS9_SG_NS0_5tupleIJPjSI_NS0_16reverse_iteratorISI_EEEEENSH_IJSG_SG_SG_EEES9_SI_JZNS1_25segmented_radix_sort_implINS0_14default_configELb0EPK6__halfPSP_PKlPlN2at6native12_GLOBAL__N_18offset_tEEE10hipError_tPvRmT1_PNSt15iterator_traitsIS13_E10value_typeET2_T3_PNS14_IS19_E10value_typeET4_jRbjT5_S1F_jjP12ihipStream_tbEUljE_ZNSN_ISO_Lb0ESR_SS_SU_SV_SZ_EES10_S11_S12_S13_S17_S18_S19_S1C_S1D_jS1E_jS1F_S1F_jjS1H_bEUljE0_EEES10_S11_S12_S19_S1D_S1F_T6_T7_T9_mT8_S1H_bDpT10_ENKUlT_T0_E_clISt17integral_constantIbLb1EES1V_EEDaS1Q_S1R_EUlS1Q_E_NS1_11comp_targetILNS1_3genE2ELNS1_11target_archE906ELNS1_3gpuE6ELNS1_3repE0EEENS1_30default_config_static_selectorELNS0_4arch9wavefront6targetE0EEEvS13_
		.amdhsa_group_segment_fixed_size 0
		.amdhsa_private_segment_fixed_size 0
		.amdhsa_kernarg_size 184
		.amdhsa_user_sgpr_count 2
		.amdhsa_user_sgpr_dispatch_ptr 0
		.amdhsa_user_sgpr_queue_ptr 0
		.amdhsa_user_sgpr_kernarg_segment_ptr 1
		.amdhsa_user_sgpr_dispatch_id 0
		.amdhsa_user_sgpr_private_segment_size 0
		.amdhsa_wavefront_size32 1
		.amdhsa_uses_dynamic_stack 0
		.amdhsa_enable_private_segment 0
		.amdhsa_system_sgpr_workgroup_id_x 1
		.amdhsa_system_sgpr_workgroup_id_y 0
		.amdhsa_system_sgpr_workgroup_id_z 0
		.amdhsa_system_sgpr_workgroup_info 0
		.amdhsa_system_vgpr_workitem_id 0
		.amdhsa_next_free_vgpr 1
		.amdhsa_next_free_sgpr 1
		.amdhsa_reserve_vcc 0
		.amdhsa_float_round_mode_32 0
		.amdhsa_float_round_mode_16_64 0
		.amdhsa_float_denorm_mode_32 3
		.amdhsa_float_denorm_mode_16_64 3
		.amdhsa_fp16_overflow 0
		.amdhsa_workgroup_processor_mode 1
		.amdhsa_memory_ordered 1
		.amdhsa_forward_progress 1
		.amdhsa_inst_pref_size 0
		.amdhsa_round_robin_scheduling 0
		.amdhsa_exception_fp_ieee_invalid_op 0
		.amdhsa_exception_fp_denorm_src 0
		.amdhsa_exception_fp_ieee_div_zero 0
		.amdhsa_exception_fp_ieee_overflow 0
		.amdhsa_exception_fp_ieee_underflow 0
		.amdhsa_exception_fp_ieee_inexact 0
		.amdhsa_exception_int_div_zero 0
	.end_amdhsa_kernel
	.section	.text._ZN7rocprim17ROCPRIM_400000_NS6detail17trampoline_kernelINS0_13select_configILj256ELj13ELNS0_17block_load_methodE3ELS4_3ELS4_3ELNS0_20block_scan_algorithmE0ELj4294967295EEENS1_25partition_config_selectorILNS1_17partition_subalgoE4EjNS0_10empty_typeEbEEZZNS1_14partition_implILS8_4ELb0ES6_15HIP_vector_typeIjLj2EENS0_17counting_iteratorIjlEEPS9_SG_NS0_5tupleIJPjSI_NS0_16reverse_iteratorISI_EEEEENSH_IJSG_SG_SG_EEES9_SI_JZNS1_25segmented_radix_sort_implINS0_14default_configELb0EPK6__halfPSP_PKlPlN2at6native12_GLOBAL__N_18offset_tEEE10hipError_tPvRmT1_PNSt15iterator_traitsIS13_E10value_typeET2_T3_PNS14_IS19_E10value_typeET4_jRbjT5_S1F_jjP12ihipStream_tbEUljE_ZNSN_ISO_Lb0ESR_SS_SU_SV_SZ_EES10_S11_S12_S13_S17_S18_S19_S1C_S1D_jS1E_jS1F_S1F_jjS1H_bEUljE0_EEES10_S11_S12_S19_S1D_S1F_T6_T7_T9_mT8_S1H_bDpT10_ENKUlT_T0_E_clISt17integral_constantIbLb1EES1V_EEDaS1Q_S1R_EUlS1Q_E_NS1_11comp_targetILNS1_3genE2ELNS1_11target_archE906ELNS1_3gpuE6ELNS1_3repE0EEENS1_30default_config_static_selectorELNS0_4arch9wavefront6targetE0EEEvS13_,"axG",@progbits,_ZN7rocprim17ROCPRIM_400000_NS6detail17trampoline_kernelINS0_13select_configILj256ELj13ELNS0_17block_load_methodE3ELS4_3ELS4_3ELNS0_20block_scan_algorithmE0ELj4294967295EEENS1_25partition_config_selectorILNS1_17partition_subalgoE4EjNS0_10empty_typeEbEEZZNS1_14partition_implILS8_4ELb0ES6_15HIP_vector_typeIjLj2EENS0_17counting_iteratorIjlEEPS9_SG_NS0_5tupleIJPjSI_NS0_16reverse_iteratorISI_EEEEENSH_IJSG_SG_SG_EEES9_SI_JZNS1_25segmented_radix_sort_implINS0_14default_configELb0EPK6__halfPSP_PKlPlN2at6native12_GLOBAL__N_18offset_tEEE10hipError_tPvRmT1_PNSt15iterator_traitsIS13_E10value_typeET2_T3_PNS14_IS19_E10value_typeET4_jRbjT5_S1F_jjP12ihipStream_tbEUljE_ZNSN_ISO_Lb0ESR_SS_SU_SV_SZ_EES10_S11_S12_S13_S17_S18_S19_S1C_S1D_jS1E_jS1F_S1F_jjS1H_bEUljE0_EEES10_S11_S12_S19_S1D_S1F_T6_T7_T9_mT8_S1H_bDpT10_ENKUlT_T0_E_clISt17integral_constantIbLb1EES1V_EEDaS1Q_S1R_EUlS1Q_E_NS1_11comp_targetILNS1_3genE2ELNS1_11target_archE906ELNS1_3gpuE6ELNS1_3repE0EEENS1_30default_config_static_selectorELNS0_4arch9wavefront6targetE0EEEvS13_,comdat
.Lfunc_end1790:
	.size	_ZN7rocprim17ROCPRIM_400000_NS6detail17trampoline_kernelINS0_13select_configILj256ELj13ELNS0_17block_load_methodE3ELS4_3ELS4_3ELNS0_20block_scan_algorithmE0ELj4294967295EEENS1_25partition_config_selectorILNS1_17partition_subalgoE4EjNS0_10empty_typeEbEEZZNS1_14partition_implILS8_4ELb0ES6_15HIP_vector_typeIjLj2EENS0_17counting_iteratorIjlEEPS9_SG_NS0_5tupleIJPjSI_NS0_16reverse_iteratorISI_EEEEENSH_IJSG_SG_SG_EEES9_SI_JZNS1_25segmented_radix_sort_implINS0_14default_configELb0EPK6__halfPSP_PKlPlN2at6native12_GLOBAL__N_18offset_tEEE10hipError_tPvRmT1_PNSt15iterator_traitsIS13_E10value_typeET2_T3_PNS14_IS19_E10value_typeET4_jRbjT5_S1F_jjP12ihipStream_tbEUljE_ZNSN_ISO_Lb0ESR_SS_SU_SV_SZ_EES10_S11_S12_S13_S17_S18_S19_S1C_S1D_jS1E_jS1F_S1F_jjS1H_bEUljE0_EEES10_S11_S12_S19_S1D_S1F_T6_T7_T9_mT8_S1H_bDpT10_ENKUlT_T0_E_clISt17integral_constantIbLb1EES1V_EEDaS1Q_S1R_EUlS1Q_E_NS1_11comp_targetILNS1_3genE2ELNS1_11target_archE906ELNS1_3gpuE6ELNS1_3repE0EEENS1_30default_config_static_selectorELNS0_4arch9wavefront6targetE0EEEvS13_, .Lfunc_end1790-_ZN7rocprim17ROCPRIM_400000_NS6detail17trampoline_kernelINS0_13select_configILj256ELj13ELNS0_17block_load_methodE3ELS4_3ELS4_3ELNS0_20block_scan_algorithmE0ELj4294967295EEENS1_25partition_config_selectorILNS1_17partition_subalgoE4EjNS0_10empty_typeEbEEZZNS1_14partition_implILS8_4ELb0ES6_15HIP_vector_typeIjLj2EENS0_17counting_iteratorIjlEEPS9_SG_NS0_5tupleIJPjSI_NS0_16reverse_iteratorISI_EEEEENSH_IJSG_SG_SG_EEES9_SI_JZNS1_25segmented_radix_sort_implINS0_14default_configELb0EPK6__halfPSP_PKlPlN2at6native12_GLOBAL__N_18offset_tEEE10hipError_tPvRmT1_PNSt15iterator_traitsIS13_E10value_typeET2_T3_PNS14_IS19_E10value_typeET4_jRbjT5_S1F_jjP12ihipStream_tbEUljE_ZNSN_ISO_Lb0ESR_SS_SU_SV_SZ_EES10_S11_S12_S13_S17_S18_S19_S1C_S1D_jS1E_jS1F_S1F_jjS1H_bEUljE0_EEES10_S11_S12_S19_S1D_S1F_T6_T7_T9_mT8_S1H_bDpT10_ENKUlT_T0_E_clISt17integral_constantIbLb1EES1V_EEDaS1Q_S1R_EUlS1Q_E_NS1_11comp_targetILNS1_3genE2ELNS1_11target_archE906ELNS1_3gpuE6ELNS1_3repE0EEENS1_30default_config_static_selectorELNS0_4arch9wavefront6targetE0EEEvS13_
                                        ; -- End function
	.set _ZN7rocprim17ROCPRIM_400000_NS6detail17trampoline_kernelINS0_13select_configILj256ELj13ELNS0_17block_load_methodE3ELS4_3ELS4_3ELNS0_20block_scan_algorithmE0ELj4294967295EEENS1_25partition_config_selectorILNS1_17partition_subalgoE4EjNS0_10empty_typeEbEEZZNS1_14partition_implILS8_4ELb0ES6_15HIP_vector_typeIjLj2EENS0_17counting_iteratorIjlEEPS9_SG_NS0_5tupleIJPjSI_NS0_16reverse_iteratorISI_EEEEENSH_IJSG_SG_SG_EEES9_SI_JZNS1_25segmented_radix_sort_implINS0_14default_configELb0EPK6__halfPSP_PKlPlN2at6native12_GLOBAL__N_18offset_tEEE10hipError_tPvRmT1_PNSt15iterator_traitsIS13_E10value_typeET2_T3_PNS14_IS19_E10value_typeET4_jRbjT5_S1F_jjP12ihipStream_tbEUljE_ZNSN_ISO_Lb0ESR_SS_SU_SV_SZ_EES10_S11_S12_S13_S17_S18_S19_S1C_S1D_jS1E_jS1F_S1F_jjS1H_bEUljE0_EEES10_S11_S12_S19_S1D_S1F_T6_T7_T9_mT8_S1H_bDpT10_ENKUlT_T0_E_clISt17integral_constantIbLb1EES1V_EEDaS1Q_S1R_EUlS1Q_E_NS1_11comp_targetILNS1_3genE2ELNS1_11target_archE906ELNS1_3gpuE6ELNS1_3repE0EEENS1_30default_config_static_selectorELNS0_4arch9wavefront6targetE0EEEvS13_.num_vgpr, 0
	.set _ZN7rocprim17ROCPRIM_400000_NS6detail17trampoline_kernelINS0_13select_configILj256ELj13ELNS0_17block_load_methodE3ELS4_3ELS4_3ELNS0_20block_scan_algorithmE0ELj4294967295EEENS1_25partition_config_selectorILNS1_17partition_subalgoE4EjNS0_10empty_typeEbEEZZNS1_14partition_implILS8_4ELb0ES6_15HIP_vector_typeIjLj2EENS0_17counting_iteratorIjlEEPS9_SG_NS0_5tupleIJPjSI_NS0_16reverse_iteratorISI_EEEEENSH_IJSG_SG_SG_EEES9_SI_JZNS1_25segmented_radix_sort_implINS0_14default_configELb0EPK6__halfPSP_PKlPlN2at6native12_GLOBAL__N_18offset_tEEE10hipError_tPvRmT1_PNSt15iterator_traitsIS13_E10value_typeET2_T3_PNS14_IS19_E10value_typeET4_jRbjT5_S1F_jjP12ihipStream_tbEUljE_ZNSN_ISO_Lb0ESR_SS_SU_SV_SZ_EES10_S11_S12_S13_S17_S18_S19_S1C_S1D_jS1E_jS1F_S1F_jjS1H_bEUljE0_EEES10_S11_S12_S19_S1D_S1F_T6_T7_T9_mT8_S1H_bDpT10_ENKUlT_T0_E_clISt17integral_constantIbLb1EES1V_EEDaS1Q_S1R_EUlS1Q_E_NS1_11comp_targetILNS1_3genE2ELNS1_11target_archE906ELNS1_3gpuE6ELNS1_3repE0EEENS1_30default_config_static_selectorELNS0_4arch9wavefront6targetE0EEEvS13_.num_agpr, 0
	.set _ZN7rocprim17ROCPRIM_400000_NS6detail17trampoline_kernelINS0_13select_configILj256ELj13ELNS0_17block_load_methodE3ELS4_3ELS4_3ELNS0_20block_scan_algorithmE0ELj4294967295EEENS1_25partition_config_selectorILNS1_17partition_subalgoE4EjNS0_10empty_typeEbEEZZNS1_14partition_implILS8_4ELb0ES6_15HIP_vector_typeIjLj2EENS0_17counting_iteratorIjlEEPS9_SG_NS0_5tupleIJPjSI_NS0_16reverse_iteratorISI_EEEEENSH_IJSG_SG_SG_EEES9_SI_JZNS1_25segmented_radix_sort_implINS0_14default_configELb0EPK6__halfPSP_PKlPlN2at6native12_GLOBAL__N_18offset_tEEE10hipError_tPvRmT1_PNSt15iterator_traitsIS13_E10value_typeET2_T3_PNS14_IS19_E10value_typeET4_jRbjT5_S1F_jjP12ihipStream_tbEUljE_ZNSN_ISO_Lb0ESR_SS_SU_SV_SZ_EES10_S11_S12_S13_S17_S18_S19_S1C_S1D_jS1E_jS1F_S1F_jjS1H_bEUljE0_EEES10_S11_S12_S19_S1D_S1F_T6_T7_T9_mT8_S1H_bDpT10_ENKUlT_T0_E_clISt17integral_constantIbLb1EES1V_EEDaS1Q_S1R_EUlS1Q_E_NS1_11comp_targetILNS1_3genE2ELNS1_11target_archE906ELNS1_3gpuE6ELNS1_3repE0EEENS1_30default_config_static_selectorELNS0_4arch9wavefront6targetE0EEEvS13_.numbered_sgpr, 0
	.set _ZN7rocprim17ROCPRIM_400000_NS6detail17trampoline_kernelINS0_13select_configILj256ELj13ELNS0_17block_load_methodE3ELS4_3ELS4_3ELNS0_20block_scan_algorithmE0ELj4294967295EEENS1_25partition_config_selectorILNS1_17partition_subalgoE4EjNS0_10empty_typeEbEEZZNS1_14partition_implILS8_4ELb0ES6_15HIP_vector_typeIjLj2EENS0_17counting_iteratorIjlEEPS9_SG_NS0_5tupleIJPjSI_NS0_16reverse_iteratorISI_EEEEENSH_IJSG_SG_SG_EEES9_SI_JZNS1_25segmented_radix_sort_implINS0_14default_configELb0EPK6__halfPSP_PKlPlN2at6native12_GLOBAL__N_18offset_tEEE10hipError_tPvRmT1_PNSt15iterator_traitsIS13_E10value_typeET2_T3_PNS14_IS19_E10value_typeET4_jRbjT5_S1F_jjP12ihipStream_tbEUljE_ZNSN_ISO_Lb0ESR_SS_SU_SV_SZ_EES10_S11_S12_S13_S17_S18_S19_S1C_S1D_jS1E_jS1F_S1F_jjS1H_bEUljE0_EEES10_S11_S12_S19_S1D_S1F_T6_T7_T9_mT8_S1H_bDpT10_ENKUlT_T0_E_clISt17integral_constantIbLb1EES1V_EEDaS1Q_S1R_EUlS1Q_E_NS1_11comp_targetILNS1_3genE2ELNS1_11target_archE906ELNS1_3gpuE6ELNS1_3repE0EEENS1_30default_config_static_selectorELNS0_4arch9wavefront6targetE0EEEvS13_.num_named_barrier, 0
	.set _ZN7rocprim17ROCPRIM_400000_NS6detail17trampoline_kernelINS0_13select_configILj256ELj13ELNS0_17block_load_methodE3ELS4_3ELS4_3ELNS0_20block_scan_algorithmE0ELj4294967295EEENS1_25partition_config_selectorILNS1_17partition_subalgoE4EjNS0_10empty_typeEbEEZZNS1_14partition_implILS8_4ELb0ES6_15HIP_vector_typeIjLj2EENS0_17counting_iteratorIjlEEPS9_SG_NS0_5tupleIJPjSI_NS0_16reverse_iteratorISI_EEEEENSH_IJSG_SG_SG_EEES9_SI_JZNS1_25segmented_radix_sort_implINS0_14default_configELb0EPK6__halfPSP_PKlPlN2at6native12_GLOBAL__N_18offset_tEEE10hipError_tPvRmT1_PNSt15iterator_traitsIS13_E10value_typeET2_T3_PNS14_IS19_E10value_typeET4_jRbjT5_S1F_jjP12ihipStream_tbEUljE_ZNSN_ISO_Lb0ESR_SS_SU_SV_SZ_EES10_S11_S12_S13_S17_S18_S19_S1C_S1D_jS1E_jS1F_S1F_jjS1H_bEUljE0_EEES10_S11_S12_S19_S1D_S1F_T6_T7_T9_mT8_S1H_bDpT10_ENKUlT_T0_E_clISt17integral_constantIbLb1EES1V_EEDaS1Q_S1R_EUlS1Q_E_NS1_11comp_targetILNS1_3genE2ELNS1_11target_archE906ELNS1_3gpuE6ELNS1_3repE0EEENS1_30default_config_static_selectorELNS0_4arch9wavefront6targetE0EEEvS13_.private_seg_size, 0
	.set _ZN7rocprim17ROCPRIM_400000_NS6detail17trampoline_kernelINS0_13select_configILj256ELj13ELNS0_17block_load_methodE3ELS4_3ELS4_3ELNS0_20block_scan_algorithmE0ELj4294967295EEENS1_25partition_config_selectorILNS1_17partition_subalgoE4EjNS0_10empty_typeEbEEZZNS1_14partition_implILS8_4ELb0ES6_15HIP_vector_typeIjLj2EENS0_17counting_iteratorIjlEEPS9_SG_NS0_5tupleIJPjSI_NS0_16reverse_iteratorISI_EEEEENSH_IJSG_SG_SG_EEES9_SI_JZNS1_25segmented_radix_sort_implINS0_14default_configELb0EPK6__halfPSP_PKlPlN2at6native12_GLOBAL__N_18offset_tEEE10hipError_tPvRmT1_PNSt15iterator_traitsIS13_E10value_typeET2_T3_PNS14_IS19_E10value_typeET4_jRbjT5_S1F_jjP12ihipStream_tbEUljE_ZNSN_ISO_Lb0ESR_SS_SU_SV_SZ_EES10_S11_S12_S13_S17_S18_S19_S1C_S1D_jS1E_jS1F_S1F_jjS1H_bEUljE0_EEES10_S11_S12_S19_S1D_S1F_T6_T7_T9_mT8_S1H_bDpT10_ENKUlT_T0_E_clISt17integral_constantIbLb1EES1V_EEDaS1Q_S1R_EUlS1Q_E_NS1_11comp_targetILNS1_3genE2ELNS1_11target_archE906ELNS1_3gpuE6ELNS1_3repE0EEENS1_30default_config_static_selectorELNS0_4arch9wavefront6targetE0EEEvS13_.uses_vcc, 0
	.set _ZN7rocprim17ROCPRIM_400000_NS6detail17trampoline_kernelINS0_13select_configILj256ELj13ELNS0_17block_load_methodE3ELS4_3ELS4_3ELNS0_20block_scan_algorithmE0ELj4294967295EEENS1_25partition_config_selectorILNS1_17partition_subalgoE4EjNS0_10empty_typeEbEEZZNS1_14partition_implILS8_4ELb0ES6_15HIP_vector_typeIjLj2EENS0_17counting_iteratorIjlEEPS9_SG_NS0_5tupleIJPjSI_NS0_16reverse_iteratorISI_EEEEENSH_IJSG_SG_SG_EEES9_SI_JZNS1_25segmented_radix_sort_implINS0_14default_configELb0EPK6__halfPSP_PKlPlN2at6native12_GLOBAL__N_18offset_tEEE10hipError_tPvRmT1_PNSt15iterator_traitsIS13_E10value_typeET2_T3_PNS14_IS19_E10value_typeET4_jRbjT5_S1F_jjP12ihipStream_tbEUljE_ZNSN_ISO_Lb0ESR_SS_SU_SV_SZ_EES10_S11_S12_S13_S17_S18_S19_S1C_S1D_jS1E_jS1F_S1F_jjS1H_bEUljE0_EEES10_S11_S12_S19_S1D_S1F_T6_T7_T9_mT8_S1H_bDpT10_ENKUlT_T0_E_clISt17integral_constantIbLb1EES1V_EEDaS1Q_S1R_EUlS1Q_E_NS1_11comp_targetILNS1_3genE2ELNS1_11target_archE906ELNS1_3gpuE6ELNS1_3repE0EEENS1_30default_config_static_selectorELNS0_4arch9wavefront6targetE0EEEvS13_.uses_flat_scratch, 0
	.set _ZN7rocprim17ROCPRIM_400000_NS6detail17trampoline_kernelINS0_13select_configILj256ELj13ELNS0_17block_load_methodE3ELS4_3ELS4_3ELNS0_20block_scan_algorithmE0ELj4294967295EEENS1_25partition_config_selectorILNS1_17partition_subalgoE4EjNS0_10empty_typeEbEEZZNS1_14partition_implILS8_4ELb0ES6_15HIP_vector_typeIjLj2EENS0_17counting_iteratorIjlEEPS9_SG_NS0_5tupleIJPjSI_NS0_16reverse_iteratorISI_EEEEENSH_IJSG_SG_SG_EEES9_SI_JZNS1_25segmented_radix_sort_implINS0_14default_configELb0EPK6__halfPSP_PKlPlN2at6native12_GLOBAL__N_18offset_tEEE10hipError_tPvRmT1_PNSt15iterator_traitsIS13_E10value_typeET2_T3_PNS14_IS19_E10value_typeET4_jRbjT5_S1F_jjP12ihipStream_tbEUljE_ZNSN_ISO_Lb0ESR_SS_SU_SV_SZ_EES10_S11_S12_S13_S17_S18_S19_S1C_S1D_jS1E_jS1F_S1F_jjS1H_bEUljE0_EEES10_S11_S12_S19_S1D_S1F_T6_T7_T9_mT8_S1H_bDpT10_ENKUlT_T0_E_clISt17integral_constantIbLb1EES1V_EEDaS1Q_S1R_EUlS1Q_E_NS1_11comp_targetILNS1_3genE2ELNS1_11target_archE906ELNS1_3gpuE6ELNS1_3repE0EEENS1_30default_config_static_selectorELNS0_4arch9wavefront6targetE0EEEvS13_.has_dyn_sized_stack, 0
	.set _ZN7rocprim17ROCPRIM_400000_NS6detail17trampoline_kernelINS0_13select_configILj256ELj13ELNS0_17block_load_methodE3ELS4_3ELS4_3ELNS0_20block_scan_algorithmE0ELj4294967295EEENS1_25partition_config_selectorILNS1_17partition_subalgoE4EjNS0_10empty_typeEbEEZZNS1_14partition_implILS8_4ELb0ES6_15HIP_vector_typeIjLj2EENS0_17counting_iteratorIjlEEPS9_SG_NS0_5tupleIJPjSI_NS0_16reverse_iteratorISI_EEEEENSH_IJSG_SG_SG_EEES9_SI_JZNS1_25segmented_radix_sort_implINS0_14default_configELb0EPK6__halfPSP_PKlPlN2at6native12_GLOBAL__N_18offset_tEEE10hipError_tPvRmT1_PNSt15iterator_traitsIS13_E10value_typeET2_T3_PNS14_IS19_E10value_typeET4_jRbjT5_S1F_jjP12ihipStream_tbEUljE_ZNSN_ISO_Lb0ESR_SS_SU_SV_SZ_EES10_S11_S12_S13_S17_S18_S19_S1C_S1D_jS1E_jS1F_S1F_jjS1H_bEUljE0_EEES10_S11_S12_S19_S1D_S1F_T6_T7_T9_mT8_S1H_bDpT10_ENKUlT_T0_E_clISt17integral_constantIbLb1EES1V_EEDaS1Q_S1R_EUlS1Q_E_NS1_11comp_targetILNS1_3genE2ELNS1_11target_archE906ELNS1_3gpuE6ELNS1_3repE0EEENS1_30default_config_static_selectorELNS0_4arch9wavefront6targetE0EEEvS13_.has_recursion, 0
	.set _ZN7rocprim17ROCPRIM_400000_NS6detail17trampoline_kernelINS0_13select_configILj256ELj13ELNS0_17block_load_methodE3ELS4_3ELS4_3ELNS0_20block_scan_algorithmE0ELj4294967295EEENS1_25partition_config_selectorILNS1_17partition_subalgoE4EjNS0_10empty_typeEbEEZZNS1_14partition_implILS8_4ELb0ES6_15HIP_vector_typeIjLj2EENS0_17counting_iteratorIjlEEPS9_SG_NS0_5tupleIJPjSI_NS0_16reverse_iteratorISI_EEEEENSH_IJSG_SG_SG_EEES9_SI_JZNS1_25segmented_radix_sort_implINS0_14default_configELb0EPK6__halfPSP_PKlPlN2at6native12_GLOBAL__N_18offset_tEEE10hipError_tPvRmT1_PNSt15iterator_traitsIS13_E10value_typeET2_T3_PNS14_IS19_E10value_typeET4_jRbjT5_S1F_jjP12ihipStream_tbEUljE_ZNSN_ISO_Lb0ESR_SS_SU_SV_SZ_EES10_S11_S12_S13_S17_S18_S19_S1C_S1D_jS1E_jS1F_S1F_jjS1H_bEUljE0_EEES10_S11_S12_S19_S1D_S1F_T6_T7_T9_mT8_S1H_bDpT10_ENKUlT_T0_E_clISt17integral_constantIbLb1EES1V_EEDaS1Q_S1R_EUlS1Q_E_NS1_11comp_targetILNS1_3genE2ELNS1_11target_archE906ELNS1_3gpuE6ELNS1_3repE0EEENS1_30default_config_static_selectorELNS0_4arch9wavefront6targetE0EEEvS13_.has_indirect_call, 0
	.section	.AMDGPU.csdata,"",@progbits
; Kernel info:
; codeLenInByte = 0
; TotalNumSgprs: 0
; NumVgprs: 0
; ScratchSize: 0
; MemoryBound: 0
; FloatMode: 240
; IeeeMode: 1
; LDSByteSize: 0 bytes/workgroup (compile time only)
; SGPRBlocks: 0
; VGPRBlocks: 0
; NumSGPRsForWavesPerEU: 1
; NumVGPRsForWavesPerEU: 1
; Occupancy: 16
; WaveLimiterHint : 0
; COMPUTE_PGM_RSRC2:SCRATCH_EN: 0
; COMPUTE_PGM_RSRC2:USER_SGPR: 2
; COMPUTE_PGM_RSRC2:TRAP_HANDLER: 0
; COMPUTE_PGM_RSRC2:TGID_X_EN: 1
; COMPUTE_PGM_RSRC2:TGID_Y_EN: 0
; COMPUTE_PGM_RSRC2:TGID_Z_EN: 0
; COMPUTE_PGM_RSRC2:TIDIG_COMP_CNT: 0
	.section	.text._ZN7rocprim17ROCPRIM_400000_NS6detail17trampoline_kernelINS0_13select_configILj256ELj13ELNS0_17block_load_methodE3ELS4_3ELS4_3ELNS0_20block_scan_algorithmE0ELj4294967295EEENS1_25partition_config_selectorILNS1_17partition_subalgoE4EjNS0_10empty_typeEbEEZZNS1_14partition_implILS8_4ELb0ES6_15HIP_vector_typeIjLj2EENS0_17counting_iteratorIjlEEPS9_SG_NS0_5tupleIJPjSI_NS0_16reverse_iteratorISI_EEEEENSH_IJSG_SG_SG_EEES9_SI_JZNS1_25segmented_radix_sort_implINS0_14default_configELb0EPK6__halfPSP_PKlPlN2at6native12_GLOBAL__N_18offset_tEEE10hipError_tPvRmT1_PNSt15iterator_traitsIS13_E10value_typeET2_T3_PNS14_IS19_E10value_typeET4_jRbjT5_S1F_jjP12ihipStream_tbEUljE_ZNSN_ISO_Lb0ESR_SS_SU_SV_SZ_EES10_S11_S12_S13_S17_S18_S19_S1C_S1D_jS1E_jS1F_S1F_jjS1H_bEUljE0_EEES10_S11_S12_S19_S1D_S1F_T6_T7_T9_mT8_S1H_bDpT10_ENKUlT_T0_E_clISt17integral_constantIbLb1EES1V_EEDaS1Q_S1R_EUlS1Q_E_NS1_11comp_targetILNS1_3genE10ELNS1_11target_archE1200ELNS1_3gpuE4ELNS1_3repE0EEENS1_30default_config_static_selectorELNS0_4arch9wavefront6targetE0EEEvS13_,"axG",@progbits,_ZN7rocprim17ROCPRIM_400000_NS6detail17trampoline_kernelINS0_13select_configILj256ELj13ELNS0_17block_load_methodE3ELS4_3ELS4_3ELNS0_20block_scan_algorithmE0ELj4294967295EEENS1_25partition_config_selectorILNS1_17partition_subalgoE4EjNS0_10empty_typeEbEEZZNS1_14partition_implILS8_4ELb0ES6_15HIP_vector_typeIjLj2EENS0_17counting_iteratorIjlEEPS9_SG_NS0_5tupleIJPjSI_NS0_16reverse_iteratorISI_EEEEENSH_IJSG_SG_SG_EEES9_SI_JZNS1_25segmented_radix_sort_implINS0_14default_configELb0EPK6__halfPSP_PKlPlN2at6native12_GLOBAL__N_18offset_tEEE10hipError_tPvRmT1_PNSt15iterator_traitsIS13_E10value_typeET2_T3_PNS14_IS19_E10value_typeET4_jRbjT5_S1F_jjP12ihipStream_tbEUljE_ZNSN_ISO_Lb0ESR_SS_SU_SV_SZ_EES10_S11_S12_S13_S17_S18_S19_S1C_S1D_jS1E_jS1F_S1F_jjS1H_bEUljE0_EEES10_S11_S12_S19_S1D_S1F_T6_T7_T9_mT8_S1H_bDpT10_ENKUlT_T0_E_clISt17integral_constantIbLb1EES1V_EEDaS1Q_S1R_EUlS1Q_E_NS1_11comp_targetILNS1_3genE10ELNS1_11target_archE1200ELNS1_3gpuE4ELNS1_3repE0EEENS1_30default_config_static_selectorELNS0_4arch9wavefront6targetE0EEEvS13_,comdat
	.globl	_ZN7rocprim17ROCPRIM_400000_NS6detail17trampoline_kernelINS0_13select_configILj256ELj13ELNS0_17block_load_methodE3ELS4_3ELS4_3ELNS0_20block_scan_algorithmE0ELj4294967295EEENS1_25partition_config_selectorILNS1_17partition_subalgoE4EjNS0_10empty_typeEbEEZZNS1_14partition_implILS8_4ELb0ES6_15HIP_vector_typeIjLj2EENS0_17counting_iteratorIjlEEPS9_SG_NS0_5tupleIJPjSI_NS0_16reverse_iteratorISI_EEEEENSH_IJSG_SG_SG_EEES9_SI_JZNS1_25segmented_radix_sort_implINS0_14default_configELb0EPK6__halfPSP_PKlPlN2at6native12_GLOBAL__N_18offset_tEEE10hipError_tPvRmT1_PNSt15iterator_traitsIS13_E10value_typeET2_T3_PNS14_IS19_E10value_typeET4_jRbjT5_S1F_jjP12ihipStream_tbEUljE_ZNSN_ISO_Lb0ESR_SS_SU_SV_SZ_EES10_S11_S12_S13_S17_S18_S19_S1C_S1D_jS1E_jS1F_S1F_jjS1H_bEUljE0_EEES10_S11_S12_S19_S1D_S1F_T6_T7_T9_mT8_S1H_bDpT10_ENKUlT_T0_E_clISt17integral_constantIbLb1EES1V_EEDaS1Q_S1R_EUlS1Q_E_NS1_11comp_targetILNS1_3genE10ELNS1_11target_archE1200ELNS1_3gpuE4ELNS1_3repE0EEENS1_30default_config_static_selectorELNS0_4arch9wavefront6targetE0EEEvS13_ ; -- Begin function _ZN7rocprim17ROCPRIM_400000_NS6detail17trampoline_kernelINS0_13select_configILj256ELj13ELNS0_17block_load_methodE3ELS4_3ELS4_3ELNS0_20block_scan_algorithmE0ELj4294967295EEENS1_25partition_config_selectorILNS1_17partition_subalgoE4EjNS0_10empty_typeEbEEZZNS1_14partition_implILS8_4ELb0ES6_15HIP_vector_typeIjLj2EENS0_17counting_iteratorIjlEEPS9_SG_NS0_5tupleIJPjSI_NS0_16reverse_iteratorISI_EEEEENSH_IJSG_SG_SG_EEES9_SI_JZNS1_25segmented_radix_sort_implINS0_14default_configELb0EPK6__halfPSP_PKlPlN2at6native12_GLOBAL__N_18offset_tEEE10hipError_tPvRmT1_PNSt15iterator_traitsIS13_E10value_typeET2_T3_PNS14_IS19_E10value_typeET4_jRbjT5_S1F_jjP12ihipStream_tbEUljE_ZNSN_ISO_Lb0ESR_SS_SU_SV_SZ_EES10_S11_S12_S13_S17_S18_S19_S1C_S1D_jS1E_jS1F_S1F_jjS1H_bEUljE0_EEES10_S11_S12_S19_S1D_S1F_T6_T7_T9_mT8_S1H_bDpT10_ENKUlT_T0_E_clISt17integral_constantIbLb1EES1V_EEDaS1Q_S1R_EUlS1Q_E_NS1_11comp_targetILNS1_3genE10ELNS1_11target_archE1200ELNS1_3gpuE4ELNS1_3repE0EEENS1_30default_config_static_selectorELNS0_4arch9wavefront6targetE0EEEvS13_
	.p2align	8
	.type	_ZN7rocprim17ROCPRIM_400000_NS6detail17trampoline_kernelINS0_13select_configILj256ELj13ELNS0_17block_load_methodE3ELS4_3ELS4_3ELNS0_20block_scan_algorithmE0ELj4294967295EEENS1_25partition_config_selectorILNS1_17partition_subalgoE4EjNS0_10empty_typeEbEEZZNS1_14partition_implILS8_4ELb0ES6_15HIP_vector_typeIjLj2EENS0_17counting_iteratorIjlEEPS9_SG_NS0_5tupleIJPjSI_NS0_16reverse_iteratorISI_EEEEENSH_IJSG_SG_SG_EEES9_SI_JZNS1_25segmented_radix_sort_implINS0_14default_configELb0EPK6__halfPSP_PKlPlN2at6native12_GLOBAL__N_18offset_tEEE10hipError_tPvRmT1_PNSt15iterator_traitsIS13_E10value_typeET2_T3_PNS14_IS19_E10value_typeET4_jRbjT5_S1F_jjP12ihipStream_tbEUljE_ZNSN_ISO_Lb0ESR_SS_SU_SV_SZ_EES10_S11_S12_S13_S17_S18_S19_S1C_S1D_jS1E_jS1F_S1F_jjS1H_bEUljE0_EEES10_S11_S12_S19_S1D_S1F_T6_T7_T9_mT8_S1H_bDpT10_ENKUlT_T0_E_clISt17integral_constantIbLb1EES1V_EEDaS1Q_S1R_EUlS1Q_E_NS1_11comp_targetILNS1_3genE10ELNS1_11target_archE1200ELNS1_3gpuE4ELNS1_3repE0EEENS1_30default_config_static_selectorELNS0_4arch9wavefront6targetE0EEEvS13_,@function
_ZN7rocprim17ROCPRIM_400000_NS6detail17trampoline_kernelINS0_13select_configILj256ELj13ELNS0_17block_load_methodE3ELS4_3ELS4_3ELNS0_20block_scan_algorithmE0ELj4294967295EEENS1_25partition_config_selectorILNS1_17partition_subalgoE4EjNS0_10empty_typeEbEEZZNS1_14partition_implILS8_4ELb0ES6_15HIP_vector_typeIjLj2EENS0_17counting_iteratorIjlEEPS9_SG_NS0_5tupleIJPjSI_NS0_16reverse_iteratorISI_EEEEENSH_IJSG_SG_SG_EEES9_SI_JZNS1_25segmented_radix_sort_implINS0_14default_configELb0EPK6__halfPSP_PKlPlN2at6native12_GLOBAL__N_18offset_tEEE10hipError_tPvRmT1_PNSt15iterator_traitsIS13_E10value_typeET2_T3_PNS14_IS19_E10value_typeET4_jRbjT5_S1F_jjP12ihipStream_tbEUljE_ZNSN_ISO_Lb0ESR_SS_SU_SV_SZ_EES10_S11_S12_S13_S17_S18_S19_S1C_S1D_jS1E_jS1F_S1F_jjS1H_bEUljE0_EEES10_S11_S12_S19_S1D_S1F_T6_T7_T9_mT8_S1H_bDpT10_ENKUlT_T0_E_clISt17integral_constantIbLb1EES1V_EEDaS1Q_S1R_EUlS1Q_E_NS1_11comp_targetILNS1_3genE10ELNS1_11target_archE1200ELNS1_3gpuE4ELNS1_3repE0EEENS1_30default_config_static_selectorELNS0_4arch9wavefront6targetE0EEEvS13_: ; @_ZN7rocprim17ROCPRIM_400000_NS6detail17trampoline_kernelINS0_13select_configILj256ELj13ELNS0_17block_load_methodE3ELS4_3ELS4_3ELNS0_20block_scan_algorithmE0ELj4294967295EEENS1_25partition_config_selectorILNS1_17partition_subalgoE4EjNS0_10empty_typeEbEEZZNS1_14partition_implILS8_4ELb0ES6_15HIP_vector_typeIjLj2EENS0_17counting_iteratorIjlEEPS9_SG_NS0_5tupleIJPjSI_NS0_16reverse_iteratorISI_EEEEENSH_IJSG_SG_SG_EEES9_SI_JZNS1_25segmented_radix_sort_implINS0_14default_configELb0EPK6__halfPSP_PKlPlN2at6native12_GLOBAL__N_18offset_tEEE10hipError_tPvRmT1_PNSt15iterator_traitsIS13_E10value_typeET2_T3_PNS14_IS19_E10value_typeET4_jRbjT5_S1F_jjP12ihipStream_tbEUljE_ZNSN_ISO_Lb0ESR_SS_SU_SV_SZ_EES10_S11_S12_S13_S17_S18_S19_S1C_S1D_jS1E_jS1F_S1F_jjS1H_bEUljE0_EEES10_S11_S12_S19_S1D_S1F_T6_T7_T9_mT8_S1H_bDpT10_ENKUlT_T0_E_clISt17integral_constantIbLb1EES1V_EEDaS1Q_S1R_EUlS1Q_E_NS1_11comp_targetILNS1_3genE10ELNS1_11target_archE1200ELNS1_3gpuE4ELNS1_3repE0EEENS1_30default_config_static_selectorELNS0_4arch9wavefront6targetE0EEEvS13_
; %bb.0:
	s_endpgm
	.section	.rodata,"a",@progbits
	.p2align	6, 0x0
	.amdhsa_kernel _ZN7rocprim17ROCPRIM_400000_NS6detail17trampoline_kernelINS0_13select_configILj256ELj13ELNS0_17block_load_methodE3ELS4_3ELS4_3ELNS0_20block_scan_algorithmE0ELj4294967295EEENS1_25partition_config_selectorILNS1_17partition_subalgoE4EjNS0_10empty_typeEbEEZZNS1_14partition_implILS8_4ELb0ES6_15HIP_vector_typeIjLj2EENS0_17counting_iteratorIjlEEPS9_SG_NS0_5tupleIJPjSI_NS0_16reverse_iteratorISI_EEEEENSH_IJSG_SG_SG_EEES9_SI_JZNS1_25segmented_radix_sort_implINS0_14default_configELb0EPK6__halfPSP_PKlPlN2at6native12_GLOBAL__N_18offset_tEEE10hipError_tPvRmT1_PNSt15iterator_traitsIS13_E10value_typeET2_T3_PNS14_IS19_E10value_typeET4_jRbjT5_S1F_jjP12ihipStream_tbEUljE_ZNSN_ISO_Lb0ESR_SS_SU_SV_SZ_EES10_S11_S12_S13_S17_S18_S19_S1C_S1D_jS1E_jS1F_S1F_jjS1H_bEUljE0_EEES10_S11_S12_S19_S1D_S1F_T6_T7_T9_mT8_S1H_bDpT10_ENKUlT_T0_E_clISt17integral_constantIbLb1EES1V_EEDaS1Q_S1R_EUlS1Q_E_NS1_11comp_targetILNS1_3genE10ELNS1_11target_archE1200ELNS1_3gpuE4ELNS1_3repE0EEENS1_30default_config_static_selectorELNS0_4arch9wavefront6targetE0EEEvS13_
		.amdhsa_group_segment_fixed_size 0
		.amdhsa_private_segment_fixed_size 0
		.amdhsa_kernarg_size 184
		.amdhsa_user_sgpr_count 2
		.amdhsa_user_sgpr_dispatch_ptr 0
		.amdhsa_user_sgpr_queue_ptr 0
		.amdhsa_user_sgpr_kernarg_segment_ptr 1
		.amdhsa_user_sgpr_dispatch_id 0
		.amdhsa_user_sgpr_private_segment_size 0
		.amdhsa_wavefront_size32 1
		.amdhsa_uses_dynamic_stack 0
		.amdhsa_enable_private_segment 0
		.amdhsa_system_sgpr_workgroup_id_x 1
		.amdhsa_system_sgpr_workgroup_id_y 0
		.amdhsa_system_sgpr_workgroup_id_z 0
		.amdhsa_system_sgpr_workgroup_info 0
		.amdhsa_system_vgpr_workitem_id 0
		.amdhsa_next_free_vgpr 1
		.amdhsa_next_free_sgpr 1
		.amdhsa_reserve_vcc 0
		.amdhsa_float_round_mode_32 0
		.amdhsa_float_round_mode_16_64 0
		.amdhsa_float_denorm_mode_32 3
		.amdhsa_float_denorm_mode_16_64 3
		.amdhsa_fp16_overflow 0
		.amdhsa_workgroup_processor_mode 1
		.amdhsa_memory_ordered 1
		.amdhsa_forward_progress 1
		.amdhsa_inst_pref_size 1
		.amdhsa_round_robin_scheduling 0
		.amdhsa_exception_fp_ieee_invalid_op 0
		.amdhsa_exception_fp_denorm_src 0
		.amdhsa_exception_fp_ieee_div_zero 0
		.amdhsa_exception_fp_ieee_overflow 0
		.amdhsa_exception_fp_ieee_underflow 0
		.amdhsa_exception_fp_ieee_inexact 0
		.amdhsa_exception_int_div_zero 0
	.end_amdhsa_kernel
	.section	.text._ZN7rocprim17ROCPRIM_400000_NS6detail17trampoline_kernelINS0_13select_configILj256ELj13ELNS0_17block_load_methodE3ELS4_3ELS4_3ELNS0_20block_scan_algorithmE0ELj4294967295EEENS1_25partition_config_selectorILNS1_17partition_subalgoE4EjNS0_10empty_typeEbEEZZNS1_14partition_implILS8_4ELb0ES6_15HIP_vector_typeIjLj2EENS0_17counting_iteratorIjlEEPS9_SG_NS0_5tupleIJPjSI_NS0_16reverse_iteratorISI_EEEEENSH_IJSG_SG_SG_EEES9_SI_JZNS1_25segmented_radix_sort_implINS0_14default_configELb0EPK6__halfPSP_PKlPlN2at6native12_GLOBAL__N_18offset_tEEE10hipError_tPvRmT1_PNSt15iterator_traitsIS13_E10value_typeET2_T3_PNS14_IS19_E10value_typeET4_jRbjT5_S1F_jjP12ihipStream_tbEUljE_ZNSN_ISO_Lb0ESR_SS_SU_SV_SZ_EES10_S11_S12_S13_S17_S18_S19_S1C_S1D_jS1E_jS1F_S1F_jjS1H_bEUljE0_EEES10_S11_S12_S19_S1D_S1F_T6_T7_T9_mT8_S1H_bDpT10_ENKUlT_T0_E_clISt17integral_constantIbLb1EES1V_EEDaS1Q_S1R_EUlS1Q_E_NS1_11comp_targetILNS1_3genE10ELNS1_11target_archE1200ELNS1_3gpuE4ELNS1_3repE0EEENS1_30default_config_static_selectorELNS0_4arch9wavefront6targetE0EEEvS13_,"axG",@progbits,_ZN7rocprim17ROCPRIM_400000_NS6detail17trampoline_kernelINS0_13select_configILj256ELj13ELNS0_17block_load_methodE3ELS4_3ELS4_3ELNS0_20block_scan_algorithmE0ELj4294967295EEENS1_25partition_config_selectorILNS1_17partition_subalgoE4EjNS0_10empty_typeEbEEZZNS1_14partition_implILS8_4ELb0ES6_15HIP_vector_typeIjLj2EENS0_17counting_iteratorIjlEEPS9_SG_NS0_5tupleIJPjSI_NS0_16reverse_iteratorISI_EEEEENSH_IJSG_SG_SG_EEES9_SI_JZNS1_25segmented_radix_sort_implINS0_14default_configELb0EPK6__halfPSP_PKlPlN2at6native12_GLOBAL__N_18offset_tEEE10hipError_tPvRmT1_PNSt15iterator_traitsIS13_E10value_typeET2_T3_PNS14_IS19_E10value_typeET4_jRbjT5_S1F_jjP12ihipStream_tbEUljE_ZNSN_ISO_Lb0ESR_SS_SU_SV_SZ_EES10_S11_S12_S13_S17_S18_S19_S1C_S1D_jS1E_jS1F_S1F_jjS1H_bEUljE0_EEES10_S11_S12_S19_S1D_S1F_T6_T7_T9_mT8_S1H_bDpT10_ENKUlT_T0_E_clISt17integral_constantIbLb1EES1V_EEDaS1Q_S1R_EUlS1Q_E_NS1_11comp_targetILNS1_3genE10ELNS1_11target_archE1200ELNS1_3gpuE4ELNS1_3repE0EEENS1_30default_config_static_selectorELNS0_4arch9wavefront6targetE0EEEvS13_,comdat
.Lfunc_end1791:
	.size	_ZN7rocprim17ROCPRIM_400000_NS6detail17trampoline_kernelINS0_13select_configILj256ELj13ELNS0_17block_load_methodE3ELS4_3ELS4_3ELNS0_20block_scan_algorithmE0ELj4294967295EEENS1_25partition_config_selectorILNS1_17partition_subalgoE4EjNS0_10empty_typeEbEEZZNS1_14partition_implILS8_4ELb0ES6_15HIP_vector_typeIjLj2EENS0_17counting_iteratorIjlEEPS9_SG_NS0_5tupleIJPjSI_NS0_16reverse_iteratorISI_EEEEENSH_IJSG_SG_SG_EEES9_SI_JZNS1_25segmented_radix_sort_implINS0_14default_configELb0EPK6__halfPSP_PKlPlN2at6native12_GLOBAL__N_18offset_tEEE10hipError_tPvRmT1_PNSt15iterator_traitsIS13_E10value_typeET2_T3_PNS14_IS19_E10value_typeET4_jRbjT5_S1F_jjP12ihipStream_tbEUljE_ZNSN_ISO_Lb0ESR_SS_SU_SV_SZ_EES10_S11_S12_S13_S17_S18_S19_S1C_S1D_jS1E_jS1F_S1F_jjS1H_bEUljE0_EEES10_S11_S12_S19_S1D_S1F_T6_T7_T9_mT8_S1H_bDpT10_ENKUlT_T0_E_clISt17integral_constantIbLb1EES1V_EEDaS1Q_S1R_EUlS1Q_E_NS1_11comp_targetILNS1_3genE10ELNS1_11target_archE1200ELNS1_3gpuE4ELNS1_3repE0EEENS1_30default_config_static_selectorELNS0_4arch9wavefront6targetE0EEEvS13_, .Lfunc_end1791-_ZN7rocprim17ROCPRIM_400000_NS6detail17trampoline_kernelINS0_13select_configILj256ELj13ELNS0_17block_load_methodE3ELS4_3ELS4_3ELNS0_20block_scan_algorithmE0ELj4294967295EEENS1_25partition_config_selectorILNS1_17partition_subalgoE4EjNS0_10empty_typeEbEEZZNS1_14partition_implILS8_4ELb0ES6_15HIP_vector_typeIjLj2EENS0_17counting_iteratorIjlEEPS9_SG_NS0_5tupleIJPjSI_NS0_16reverse_iteratorISI_EEEEENSH_IJSG_SG_SG_EEES9_SI_JZNS1_25segmented_radix_sort_implINS0_14default_configELb0EPK6__halfPSP_PKlPlN2at6native12_GLOBAL__N_18offset_tEEE10hipError_tPvRmT1_PNSt15iterator_traitsIS13_E10value_typeET2_T3_PNS14_IS19_E10value_typeET4_jRbjT5_S1F_jjP12ihipStream_tbEUljE_ZNSN_ISO_Lb0ESR_SS_SU_SV_SZ_EES10_S11_S12_S13_S17_S18_S19_S1C_S1D_jS1E_jS1F_S1F_jjS1H_bEUljE0_EEES10_S11_S12_S19_S1D_S1F_T6_T7_T9_mT8_S1H_bDpT10_ENKUlT_T0_E_clISt17integral_constantIbLb1EES1V_EEDaS1Q_S1R_EUlS1Q_E_NS1_11comp_targetILNS1_3genE10ELNS1_11target_archE1200ELNS1_3gpuE4ELNS1_3repE0EEENS1_30default_config_static_selectorELNS0_4arch9wavefront6targetE0EEEvS13_
                                        ; -- End function
	.set _ZN7rocprim17ROCPRIM_400000_NS6detail17trampoline_kernelINS0_13select_configILj256ELj13ELNS0_17block_load_methodE3ELS4_3ELS4_3ELNS0_20block_scan_algorithmE0ELj4294967295EEENS1_25partition_config_selectorILNS1_17partition_subalgoE4EjNS0_10empty_typeEbEEZZNS1_14partition_implILS8_4ELb0ES6_15HIP_vector_typeIjLj2EENS0_17counting_iteratorIjlEEPS9_SG_NS0_5tupleIJPjSI_NS0_16reverse_iteratorISI_EEEEENSH_IJSG_SG_SG_EEES9_SI_JZNS1_25segmented_radix_sort_implINS0_14default_configELb0EPK6__halfPSP_PKlPlN2at6native12_GLOBAL__N_18offset_tEEE10hipError_tPvRmT1_PNSt15iterator_traitsIS13_E10value_typeET2_T3_PNS14_IS19_E10value_typeET4_jRbjT5_S1F_jjP12ihipStream_tbEUljE_ZNSN_ISO_Lb0ESR_SS_SU_SV_SZ_EES10_S11_S12_S13_S17_S18_S19_S1C_S1D_jS1E_jS1F_S1F_jjS1H_bEUljE0_EEES10_S11_S12_S19_S1D_S1F_T6_T7_T9_mT8_S1H_bDpT10_ENKUlT_T0_E_clISt17integral_constantIbLb1EES1V_EEDaS1Q_S1R_EUlS1Q_E_NS1_11comp_targetILNS1_3genE10ELNS1_11target_archE1200ELNS1_3gpuE4ELNS1_3repE0EEENS1_30default_config_static_selectorELNS0_4arch9wavefront6targetE0EEEvS13_.num_vgpr, 0
	.set _ZN7rocprim17ROCPRIM_400000_NS6detail17trampoline_kernelINS0_13select_configILj256ELj13ELNS0_17block_load_methodE3ELS4_3ELS4_3ELNS0_20block_scan_algorithmE0ELj4294967295EEENS1_25partition_config_selectorILNS1_17partition_subalgoE4EjNS0_10empty_typeEbEEZZNS1_14partition_implILS8_4ELb0ES6_15HIP_vector_typeIjLj2EENS0_17counting_iteratorIjlEEPS9_SG_NS0_5tupleIJPjSI_NS0_16reverse_iteratorISI_EEEEENSH_IJSG_SG_SG_EEES9_SI_JZNS1_25segmented_radix_sort_implINS0_14default_configELb0EPK6__halfPSP_PKlPlN2at6native12_GLOBAL__N_18offset_tEEE10hipError_tPvRmT1_PNSt15iterator_traitsIS13_E10value_typeET2_T3_PNS14_IS19_E10value_typeET4_jRbjT5_S1F_jjP12ihipStream_tbEUljE_ZNSN_ISO_Lb0ESR_SS_SU_SV_SZ_EES10_S11_S12_S13_S17_S18_S19_S1C_S1D_jS1E_jS1F_S1F_jjS1H_bEUljE0_EEES10_S11_S12_S19_S1D_S1F_T6_T7_T9_mT8_S1H_bDpT10_ENKUlT_T0_E_clISt17integral_constantIbLb1EES1V_EEDaS1Q_S1R_EUlS1Q_E_NS1_11comp_targetILNS1_3genE10ELNS1_11target_archE1200ELNS1_3gpuE4ELNS1_3repE0EEENS1_30default_config_static_selectorELNS0_4arch9wavefront6targetE0EEEvS13_.num_agpr, 0
	.set _ZN7rocprim17ROCPRIM_400000_NS6detail17trampoline_kernelINS0_13select_configILj256ELj13ELNS0_17block_load_methodE3ELS4_3ELS4_3ELNS0_20block_scan_algorithmE0ELj4294967295EEENS1_25partition_config_selectorILNS1_17partition_subalgoE4EjNS0_10empty_typeEbEEZZNS1_14partition_implILS8_4ELb0ES6_15HIP_vector_typeIjLj2EENS0_17counting_iteratorIjlEEPS9_SG_NS0_5tupleIJPjSI_NS0_16reverse_iteratorISI_EEEEENSH_IJSG_SG_SG_EEES9_SI_JZNS1_25segmented_radix_sort_implINS0_14default_configELb0EPK6__halfPSP_PKlPlN2at6native12_GLOBAL__N_18offset_tEEE10hipError_tPvRmT1_PNSt15iterator_traitsIS13_E10value_typeET2_T3_PNS14_IS19_E10value_typeET4_jRbjT5_S1F_jjP12ihipStream_tbEUljE_ZNSN_ISO_Lb0ESR_SS_SU_SV_SZ_EES10_S11_S12_S13_S17_S18_S19_S1C_S1D_jS1E_jS1F_S1F_jjS1H_bEUljE0_EEES10_S11_S12_S19_S1D_S1F_T6_T7_T9_mT8_S1H_bDpT10_ENKUlT_T0_E_clISt17integral_constantIbLb1EES1V_EEDaS1Q_S1R_EUlS1Q_E_NS1_11comp_targetILNS1_3genE10ELNS1_11target_archE1200ELNS1_3gpuE4ELNS1_3repE0EEENS1_30default_config_static_selectorELNS0_4arch9wavefront6targetE0EEEvS13_.numbered_sgpr, 0
	.set _ZN7rocprim17ROCPRIM_400000_NS6detail17trampoline_kernelINS0_13select_configILj256ELj13ELNS0_17block_load_methodE3ELS4_3ELS4_3ELNS0_20block_scan_algorithmE0ELj4294967295EEENS1_25partition_config_selectorILNS1_17partition_subalgoE4EjNS0_10empty_typeEbEEZZNS1_14partition_implILS8_4ELb0ES6_15HIP_vector_typeIjLj2EENS0_17counting_iteratorIjlEEPS9_SG_NS0_5tupleIJPjSI_NS0_16reverse_iteratorISI_EEEEENSH_IJSG_SG_SG_EEES9_SI_JZNS1_25segmented_radix_sort_implINS0_14default_configELb0EPK6__halfPSP_PKlPlN2at6native12_GLOBAL__N_18offset_tEEE10hipError_tPvRmT1_PNSt15iterator_traitsIS13_E10value_typeET2_T3_PNS14_IS19_E10value_typeET4_jRbjT5_S1F_jjP12ihipStream_tbEUljE_ZNSN_ISO_Lb0ESR_SS_SU_SV_SZ_EES10_S11_S12_S13_S17_S18_S19_S1C_S1D_jS1E_jS1F_S1F_jjS1H_bEUljE0_EEES10_S11_S12_S19_S1D_S1F_T6_T7_T9_mT8_S1H_bDpT10_ENKUlT_T0_E_clISt17integral_constantIbLb1EES1V_EEDaS1Q_S1R_EUlS1Q_E_NS1_11comp_targetILNS1_3genE10ELNS1_11target_archE1200ELNS1_3gpuE4ELNS1_3repE0EEENS1_30default_config_static_selectorELNS0_4arch9wavefront6targetE0EEEvS13_.num_named_barrier, 0
	.set _ZN7rocprim17ROCPRIM_400000_NS6detail17trampoline_kernelINS0_13select_configILj256ELj13ELNS0_17block_load_methodE3ELS4_3ELS4_3ELNS0_20block_scan_algorithmE0ELj4294967295EEENS1_25partition_config_selectorILNS1_17partition_subalgoE4EjNS0_10empty_typeEbEEZZNS1_14partition_implILS8_4ELb0ES6_15HIP_vector_typeIjLj2EENS0_17counting_iteratorIjlEEPS9_SG_NS0_5tupleIJPjSI_NS0_16reverse_iteratorISI_EEEEENSH_IJSG_SG_SG_EEES9_SI_JZNS1_25segmented_radix_sort_implINS0_14default_configELb0EPK6__halfPSP_PKlPlN2at6native12_GLOBAL__N_18offset_tEEE10hipError_tPvRmT1_PNSt15iterator_traitsIS13_E10value_typeET2_T3_PNS14_IS19_E10value_typeET4_jRbjT5_S1F_jjP12ihipStream_tbEUljE_ZNSN_ISO_Lb0ESR_SS_SU_SV_SZ_EES10_S11_S12_S13_S17_S18_S19_S1C_S1D_jS1E_jS1F_S1F_jjS1H_bEUljE0_EEES10_S11_S12_S19_S1D_S1F_T6_T7_T9_mT8_S1H_bDpT10_ENKUlT_T0_E_clISt17integral_constantIbLb1EES1V_EEDaS1Q_S1R_EUlS1Q_E_NS1_11comp_targetILNS1_3genE10ELNS1_11target_archE1200ELNS1_3gpuE4ELNS1_3repE0EEENS1_30default_config_static_selectorELNS0_4arch9wavefront6targetE0EEEvS13_.private_seg_size, 0
	.set _ZN7rocprim17ROCPRIM_400000_NS6detail17trampoline_kernelINS0_13select_configILj256ELj13ELNS0_17block_load_methodE3ELS4_3ELS4_3ELNS0_20block_scan_algorithmE0ELj4294967295EEENS1_25partition_config_selectorILNS1_17partition_subalgoE4EjNS0_10empty_typeEbEEZZNS1_14partition_implILS8_4ELb0ES6_15HIP_vector_typeIjLj2EENS0_17counting_iteratorIjlEEPS9_SG_NS0_5tupleIJPjSI_NS0_16reverse_iteratorISI_EEEEENSH_IJSG_SG_SG_EEES9_SI_JZNS1_25segmented_radix_sort_implINS0_14default_configELb0EPK6__halfPSP_PKlPlN2at6native12_GLOBAL__N_18offset_tEEE10hipError_tPvRmT1_PNSt15iterator_traitsIS13_E10value_typeET2_T3_PNS14_IS19_E10value_typeET4_jRbjT5_S1F_jjP12ihipStream_tbEUljE_ZNSN_ISO_Lb0ESR_SS_SU_SV_SZ_EES10_S11_S12_S13_S17_S18_S19_S1C_S1D_jS1E_jS1F_S1F_jjS1H_bEUljE0_EEES10_S11_S12_S19_S1D_S1F_T6_T7_T9_mT8_S1H_bDpT10_ENKUlT_T0_E_clISt17integral_constantIbLb1EES1V_EEDaS1Q_S1R_EUlS1Q_E_NS1_11comp_targetILNS1_3genE10ELNS1_11target_archE1200ELNS1_3gpuE4ELNS1_3repE0EEENS1_30default_config_static_selectorELNS0_4arch9wavefront6targetE0EEEvS13_.uses_vcc, 0
	.set _ZN7rocprim17ROCPRIM_400000_NS6detail17trampoline_kernelINS0_13select_configILj256ELj13ELNS0_17block_load_methodE3ELS4_3ELS4_3ELNS0_20block_scan_algorithmE0ELj4294967295EEENS1_25partition_config_selectorILNS1_17partition_subalgoE4EjNS0_10empty_typeEbEEZZNS1_14partition_implILS8_4ELb0ES6_15HIP_vector_typeIjLj2EENS0_17counting_iteratorIjlEEPS9_SG_NS0_5tupleIJPjSI_NS0_16reverse_iteratorISI_EEEEENSH_IJSG_SG_SG_EEES9_SI_JZNS1_25segmented_radix_sort_implINS0_14default_configELb0EPK6__halfPSP_PKlPlN2at6native12_GLOBAL__N_18offset_tEEE10hipError_tPvRmT1_PNSt15iterator_traitsIS13_E10value_typeET2_T3_PNS14_IS19_E10value_typeET4_jRbjT5_S1F_jjP12ihipStream_tbEUljE_ZNSN_ISO_Lb0ESR_SS_SU_SV_SZ_EES10_S11_S12_S13_S17_S18_S19_S1C_S1D_jS1E_jS1F_S1F_jjS1H_bEUljE0_EEES10_S11_S12_S19_S1D_S1F_T6_T7_T9_mT8_S1H_bDpT10_ENKUlT_T0_E_clISt17integral_constantIbLb1EES1V_EEDaS1Q_S1R_EUlS1Q_E_NS1_11comp_targetILNS1_3genE10ELNS1_11target_archE1200ELNS1_3gpuE4ELNS1_3repE0EEENS1_30default_config_static_selectorELNS0_4arch9wavefront6targetE0EEEvS13_.uses_flat_scratch, 0
	.set _ZN7rocprim17ROCPRIM_400000_NS6detail17trampoline_kernelINS0_13select_configILj256ELj13ELNS0_17block_load_methodE3ELS4_3ELS4_3ELNS0_20block_scan_algorithmE0ELj4294967295EEENS1_25partition_config_selectorILNS1_17partition_subalgoE4EjNS0_10empty_typeEbEEZZNS1_14partition_implILS8_4ELb0ES6_15HIP_vector_typeIjLj2EENS0_17counting_iteratorIjlEEPS9_SG_NS0_5tupleIJPjSI_NS0_16reverse_iteratorISI_EEEEENSH_IJSG_SG_SG_EEES9_SI_JZNS1_25segmented_radix_sort_implINS0_14default_configELb0EPK6__halfPSP_PKlPlN2at6native12_GLOBAL__N_18offset_tEEE10hipError_tPvRmT1_PNSt15iterator_traitsIS13_E10value_typeET2_T3_PNS14_IS19_E10value_typeET4_jRbjT5_S1F_jjP12ihipStream_tbEUljE_ZNSN_ISO_Lb0ESR_SS_SU_SV_SZ_EES10_S11_S12_S13_S17_S18_S19_S1C_S1D_jS1E_jS1F_S1F_jjS1H_bEUljE0_EEES10_S11_S12_S19_S1D_S1F_T6_T7_T9_mT8_S1H_bDpT10_ENKUlT_T0_E_clISt17integral_constantIbLb1EES1V_EEDaS1Q_S1R_EUlS1Q_E_NS1_11comp_targetILNS1_3genE10ELNS1_11target_archE1200ELNS1_3gpuE4ELNS1_3repE0EEENS1_30default_config_static_selectorELNS0_4arch9wavefront6targetE0EEEvS13_.has_dyn_sized_stack, 0
	.set _ZN7rocprim17ROCPRIM_400000_NS6detail17trampoline_kernelINS0_13select_configILj256ELj13ELNS0_17block_load_methodE3ELS4_3ELS4_3ELNS0_20block_scan_algorithmE0ELj4294967295EEENS1_25partition_config_selectorILNS1_17partition_subalgoE4EjNS0_10empty_typeEbEEZZNS1_14partition_implILS8_4ELb0ES6_15HIP_vector_typeIjLj2EENS0_17counting_iteratorIjlEEPS9_SG_NS0_5tupleIJPjSI_NS0_16reverse_iteratorISI_EEEEENSH_IJSG_SG_SG_EEES9_SI_JZNS1_25segmented_radix_sort_implINS0_14default_configELb0EPK6__halfPSP_PKlPlN2at6native12_GLOBAL__N_18offset_tEEE10hipError_tPvRmT1_PNSt15iterator_traitsIS13_E10value_typeET2_T3_PNS14_IS19_E10value_typeET4_jRbjT5_S1F_jjP12ihipStream_tbEUljE_ZNSN_ISO_Lb0ESR_SS_SU_SV_SZ_EES10_S11_S12_S13_S17_S18_S19_S1C_S1D_jS1E_jS1F_S1F_jjS1H_bEUljE0_EEES10_S11_S12_S19_S1D_S1F_T6_T7_T9_mT8_S1H_bDpT10_ENKUlT_T0_E_clISt17integral_constantIbLb1EES1V_EEDaS1Q_S1R_EUlS1Q_E_NS1_11comp_targetILNS1_3genE10ELNS1_11target_archE1200ELNS1_3gpuE4ELNS1_3repE0EEENS1_30default_config_static_selectorELNS0_4arch9wavefront6targetE0EEEvS13_.has_recursion, 0
	.set _ZN7rocprim17ROCPRIM_400000_NS6detail17trampoline_kernelINS0_13select_configILj256ELj13ELNS0_17block_load_methodE3ELS4_3ELS4_3ELNS0_20block_scan_algorithmE0ELj4294967295EEENS1_25partition_config_selectorILNS1_17partition_subalgoE4EjNS0_10empty_typeEbEEZZNS1_14partition_implILS8_4ELb0ES6_15HIP_vector_typeIjLj2EENS0_17counting_iteratorIjlEEPS9_SG_NS0_5tupleIJPjSI_NS0_16reverse_iteratorISI_EEEEENSH_IJSG_SG_SG_EEES9_SI_JZNS1_25segmented_radix_sort_implINS0_14default_configELb0EPK6__halfPSP_PKlPlN2at6native12_GLOBAL__N_18offset_tEEE10hipError_tPvRmT1_PNSt15iterator_traitsIS13_E10value_typeET2_T3_PNS14_IS19_E10value_typeET4_jRbjT5_S1F_jjP12ihipStream_tbEUljE_ZNSN_ISO_Lb0ESR_SS_SU_SV_SZ_EES10_S11_S12_S13_S17_S18_S19_S1C_S1D_jS1E_jS1F_S1F_jjS1H_bEUljE0_EEES10_S11_S12_S19_S1D_S1F_T6_T7_T9_mT8_S1H_bDpT10_ENKUlT_T0_E_clISt17integral_constantIbLb1EES1V_EEDaS1Q_S1R_EUlS1Q_E_NS1_11comp_targetILNS1_3genE10ELNS1_11target_archE1200ELNS1_3gpuE4ELNS1_3repE0EEENS1_30default_config_static_selectorELNS0_4arch9wavefront6targetE0EEEvS13_.has_indirect_call, 0
	.section	.AMDGPU.csdata,"",@progbits
; Kernel info:
; codeLenInByte = 4
; TotalNumSgprs: 0
; NumVgprs: 0
; ScratchSize: 0
; MemoryBound: 0
; FloatMode: 240
; IeeeMode: 1
; LDSByteSize: 0 bytes/workgroup (compile time only)
; SGPRBlocks: 0
; VGPRBlocks: 0
; NumSGPRsForWavesPerEU: 1
; NumVGPRsForWavesPerEU: 1
; Occupancy: 16
; WaveLimiterHint : 0
; COMPUTE_PGM_RSRC2:SCRATCH_EN: 0
; COMPUTE_PGM_RSRC2:USER_SGPR: 2
; COMPUTE_PGM_RSRC2:TRAP_HANDLER: 0
; COMPUTE_PGM_RSRC2:TGID_X_EN: 1
; COMPUTE_PGM_RSRC2:TGID_Y_EN: 0
; COMPUTE_PGM_RSRC2:TGID_Z_EN: 0
; COMPUTE_PGM_RSRC2:TIDIG_COMP_CNT: 0
	.section	.text._ZN7rocprim17ROCPRIM_400000_NS6detail17trampoline_kernelINS0_13select_configILj256ELj13ELNS0_17block_load_methodE3ELS4_3ELS4_3ELNS0_20block_scan_algorithmE0ELj4294967295EEENS1_25partition_config_selectorILNS1_17partition_subalgoE4EjNS0_10empty_typeEbEEZZNS1_14partition_implILS8_4ELb0ES6_15HIP_vector_typeIjLj2EENS0_17counting_iteratorIjlEEPS9_SG_NS0_5tupleIJPjSI_NS0_16reverse_iteratorISI_EEEEENSH_IJSG_SG_SG_EEES9_SI_JZNS1_25segmented_radix_sort_implINS0_14default_configELb0EPK6__halfPSP_PKlPlN2at6native12_GLOBAL__N_18offset_tEEE10hipError_tPvRmT1_PNSt15iterator_traitsIS13_E10value_typeET2_T3_PNS14_IS19_E10value_typeET4_jRbjT5_S1F_jjP12ihipStream_tbEUljE_ZNSN_ISO_Lb0ESR_SS_SU_SV_SZ_EES10_S11_S12_S13_S17_S18_S19_S1C_S1D_jS1E_jS1F_S1F_jjS1H_bEUljE0_EEES10_S11_S12_S19_S1D_S1F_T6_T7_T9_mT8_S1H_bDpT10_ENKUlT_T0_E_clISt17integral_constantIbLb1EES1V_EEDaS1Q_S1R_EUlS1Q_E_NS1_11comp_targetILNS1_3genE9ELNS1_11target_archE1100ELNS1_3gpuE3ELNS1_3repE0EEENS1_30default_config_static_selectorELNS0_4arch9wavefront6targetE0EEEvS13_,"axG",@progbits,_ZN7rocprim17ROCPRIM_400000_NS6detail17trampoline_kernelINS0_13select_configILj256ELj13ELNS0_17block_load_methodE3ELS4_3ELS4_3ELNS0_20block_scan_algorithmE0ELj4294967295EEENS1_25partition_config_selectorILNS1_17partition_subalgoE4EjNS0_10empty_typeEbEEZZNS1_14partition_implILS8_4ELb0ES6_15HIP_vector_typeIjLj2EENS0_17counting_iteratorIjlEEPS9_SG_NS0_5tupleIJPjSI_NS0_16reverse_iteratorISI_EEEEENSH_IJSG_SG_SG_EEES9_SI_JZNS1_25segmented_radix_sort_implINS0_14default_configELb0EPK6__halfPSP_PKlPlN2at6native12_GLOBAL__N_18offset_tEEE10hipError_tPvRmT1_PNSt15iterator_traitsIS13_E10value_typeET2_T3_PNS14_IS19_E10value_typeET4_jRbjT5_S1F_jjP12ihipStream_tbEUljE_ZNSN_ISO_Lb0ESR_SS_SU_SV_SZ_EES10_S11_S12_S13_S17_S18_S19_S1C_S1D_jS1E_jS1F_S1F_jjS1H_bEUljE0_EEES10_S11_S12_S19_S1D_S1F_T6_T7_T9_mT8_S1H_bDpT10_ENKUlT_T0_E_clISt17integral_constantIbLb1EES1V_EEDaS1Q_S1R_EUlS1Q_E_NS1_11comp_targetILNS1_3genE9ELNS1_11target_archE1100ELNS1_3gpuE3ELNS1_3repE0EEENS1_30default_config_static_selectorELNS0_4arch9wavefront6targetE0EEEvS13_,comdat
	.globl	_ZN7rocprim17ROCPRIM_400000_NS6detail17trampoline_kernelINS0_13select_configILj256ELj13ELNS0_17block_load_methodE3ELS4_3ELS4_3ELNS0_20block_scan_algorithmE0ELj4294967295EEENS1_25partition_config_selectorILNS1_17partition_subalgoE4EjNS0_10empty_typeEbEEZZNS1_14partition_implILS8_4ELb0ES6_15HIP_vector_typeIjLj2EENS0_17counting_iteratorIjlEEPS9_SG_NS0_5tupleIJPjSI_NS0_16reverse_iteratorISI_EEEEENSH_IJSG_SG_SG_EEES9_SI_JZNS1_25segmented_radix_sort_implINS0_14default_configELb0EPK6__halfPSP_PKlPlN2at6native12_GLOBAL__N_18offset_tEEE10hipError_tPvRmT1_PNSt15iterator_traitsIS13_E10value_typeET2_T3_PNS14_IS19_E10value_typeET4_jRbjT5_S1F_jjP12ihipStream_tbEUljE_ZNSN_ISO_Lb0ESR_SS_SU_SV_SZ_EES10_S11_S12_S13_S17_S18_S19_S1C_S1D_jS1E_jS1F_S1F_jjS1H_bEUljE0_EEES10_S11_S12_S19_S1D_S1F_T6_T7_T9_mT8_S1H_bDpT10_ENKUlT_T0_E_clISt17integral_constantIbLb1EES1V_EEDaS1Q_S1R_EUlS1Q_E_NS1_11comp_targetILNS1_3genE9ELNS1_11target_archE1100ELNS1_3gpuE3ELNS1_3repE0EEENS1_30default_config_static_selectorELNS0_4arch9wavefront6targetE0EEEvS13_ ; -- Begin function _ZN7rocprim17ROCPRIM_400000_NS6detail17trampoline_kernelINS0_13select_configILj256ELj13ELNS0_17block_load_methodE3ELS4_3ELS4_3ELNS0_20block_scan_algorithmE0ELj4294967295EEENS1_25partition_config_selectorILNS1_17partition_subalgoE4EjNS0_10empty_typeEbEEZZNS1_14partition_implILS8_4ELb0ES6_15HIP_vector_typeIjLj2EENS0_17counting_iteratorIjlEEPS9_SG_NS0_5tupleIJPjSI_NS0_16reverse_iteratorISI_EEEEENSH_IJSG_SG_SG_EEES9_SI_JZNS1_25segmented_radix_sort_implINS0_14default_configELb0EPK6__halfPSP_PKlPlN2at6native12_GLOBAL__N_18offset_tEEE10hipError_tPvRmT1_PNSt15iterator_traitsIS13_E10value_typeET2_T3_PNS14_IS19_E10value_typeET4_jRbjT5_S1F_jjP12ihipStream_tbEUljE_ZNSN_ISO_Lb0ESR_SS_SU_SV_SZ_EES10_S11_S12_S13_S17_S18_S19_S1C_S1D_jS1E_jS1F_S1F_jjS1H_bEUljE0_EEES10_S11_S12_S19_S1D_S1F_T6_T7_T9_mT8_S1H_bDpT10_ENKUlT_T0_E_clISt17integral_constantIbLb1EES1V_EEDaS1Q_S1R_EUlS1Q_E_NS1_11comp_targetILNS1_3genE9ELNS1_11target_archE1100ELNS1_3gpuE3ELNS1_3repE0EEENS1_30default_config_static_selectorELNS0_4arch9wavefront6targetE0EEEvS13_
	.p2align	8
	.type	_ZN7rocprim17ROCPRIM_400000_NS6detail17trampoline_kernelINS0_13select_configILj256ELj13ELNS0_17block_load_methodE3ELS4_3ELS4_3ELNS0_20block_scan_algorithmE0ELj4294967295EEENS1_25partition_config_selectorILNS1_17partition_subalgoE4EjNS0_10empty_typeEbEEZZNS1_14partition_implILS8_4ELb0ES6_15HIP_vector_typeIjLj2EENS0_17counting_iteratorIjlEEPS9_SG_NS0_5tupleIJPjSI_NS0_16reverse_iteratorISI_EEEEENSH_IJSG_SG_SG_EEES9_SI_JZNS1_25segmented_radix_sort_implINS0_14default_configELb0EPK6__halfPSP_PKlPlN2at6native12_GLOBAL__N_18offset_tEEE10hipError_tPvRmT1_PNSt15iterator_traitsIS13_E10value_typeET2_T3_PNS14_IS19_E10value_typeET4_jRbjT5_S1F_jjP12ihipStream_tbEUljE_ZNSN_ISO_Lb0ESR_SS_SU_SV_SZ_EES10_S11_S12_S13_S17_S18_S19_S1C_S1D_jS1E_jS1F_S1F_jjS1H_bEUljE0_EEES10_S11_S12_S19_S1D_S1F_T6_T7_T9_mT8_S1H_bDpT10_ENKUlT_T0_E_clISt17integral_constantIbLb1EES1V_EEDaS1Q_S1R_EUlS1Q_E_NS1_11comp_targetILNS1_3genE9ELNS1_11target_archE1100ELNS1_3gpuE3ELNS1_3repE0EEENS1_30default_config_static_selectorELNS0_4arch9wavefront6targetE0EEEvS13_,@function
_ZN7rocprim17ROCPRIM_400000_NS6detail17trampoline_kernelINS0_13select_configILj256ELj13ELNS0_17block_load_methodE3ELS4_3ELS4_3ELNS0_20block_scan_algorithmE0ELj4294967295EEENS1_25partition_config_selectorILNS1_17partition_subalgoE4EjNS0_10empty_typeEbEEZZNS1_14partition_implILS8_4ELb0ES6_15HIP_vector_typeIjLj2EENS0_17counting_iteratorIjlEEPS9_SG_NS0_5tupleIJPjSI_NS0_16reverse_iteratorISI_EEEEENSH_IJSG_SG_SG_EEES9_SI_JZNS1_25segmented_radix_sort_implINS0_14default_configELb0EPK6__halfPSP_PKlPlN2at6native12_GLOBAL__N_18offset_tEEE10hipError_tPvRmT1_PNSt15iterator_traitsIS13_E10value_typeET2_T3_PNS14_IS19_E10value_typeET4_jRbjT5_S1F_jjP12ihipStream_tbEUljE_ZNSN_ISO_Lb0ESR_SS_SU_SV_SZ_EES10_S11_S12_S13_S17_S18_S19_S1C_S1D_jS1E_jS1F_S1F_jjS1H_bEUljE0_EEES10_S11_S12_S19_S1D_S1F_T6_T7_T9_mT8_S1H_bDpT10_ENKUlT_T0_E_clISt17integral_constantIbLb1EES1V_EEDaS1Q_S1R_EUlS1Q_E_NS1_11comp_targetILNS1_3genE9ELNS1_11target_archE1100ELNS1_3gpuE3ELNS1_3repE0EEENS1_30default_config_static_selectorELNS0_4arch9wavefront6targetE0EEEvS13_: ; @_ZN7rocprim17ROCPRIM_400000_NS6detail17trampoline_kernelINS0_13select_configILj256ELj13ELNS0_17block_load_methodE3ELS4_3ELS4_3ELNS0_20block_scan_algorithmE0ELj4294967295EEENS1_25partition_config_selectorILNS1_17partition_subalgoE4EjNS0_10empty_typeEbEEZZNS1_14partition_implILS8_4ELb0ES6_15HIP_vector_typeIjLj2EENS0_17counting_iteratorIjlEEPS9_SG_NS0_5tupleIJPjSI_NS0_16reverse_iteratorISI_EEEEENSH_IJSG_SG_SG_EEES9_SI_JZNS1_25segmented_radix_sort_implINS0_14default_configELb0EPK6__halfPSP_PKlPlN2at6native12_GLOBAL__N_18offset_tEEE10hipError_tPvRmT1_PNSt15iterator_traitsIS13_E10value_typeET2_T3_PNS14_IS19_E10value_typeET4_jRbjT5_S1F_jjP12ihipStream_tbEUljE_ZNSN_ISO_Lb0ESR_SS_SU_SV_SZ_EES10_S11_S12_S13_S17_S18_S19_S1C_S1D_jS1E_jS1F_S1F_jjS1H_bEUljE0_EEES10_S11_S12_S19_S1D_S1F_T6_T7_T9_mT8_S1H_bDpT10_ENKUlT_T0_E_clISt17integral_constantIbLb1EES1V_EEDaS1Q_S1R_EUlS1Q_E_NS1_11comp_targetILNS1_3genE9ELNS1_11target_archE1100ELNS1_3gpuE3ELNS1_3repE0EEENS1_30default_config_static_selectorELNS0_4arch9wavefront6targetE0EEEvS13_
; %bb.0:
	.section	.rodata,"a",@progbits
	.p2align	6, 0x0
	.amdhsa_kernel _ZN7rocprim17ROCPRIM_400000_NS6detail17trampoline_kernelINS0_13select_configILj256ELj13ELNS0_17block_load_methodE3ELS4_3ELS4_3ELNS0_20block_scan_algorithmE0ELj4294967295EEENS1_25partition_config_selectorILNS1_17partition_subalgoE4EjNS0_10empty_typeEbEEZZNS1_14partition_implILS8_4ELb0ES6_15HIP_vector_typeIjLj2EENS0_17counting_iteratorIjlEEPS9_SG_NS0_5tupleIJPjSI_NS0_16reverse_iteratorISI_EEEEENSH_IJSG_SG_SG_EEES9_SI_JZNS1_25segmented_radix_sort_implINS0_14default_configELb0EPK6__halfPSP_PKlPlN2at6native12_GLOBAL__N_18offset_tEEE10hipError_tPvRmT1_PNSt15iterator_traitsIS13_E10value_typeET2_T3_PNS14_IS19_E10value_typeET4_jRbjT5_S1F_jjP12ihipStream_tbEUljE_ZNSN_ISO_Lb0ESR_SS_SU_SV_SZ_EES10_S11_S12_S13_S17_S18_S19_S1C_S1D_jS1E_jS1F_S1F_jjS1H_bEUljE0_EEES10_S11_S12_S19_S1D_S1F_T6_T7_T9_mT8_S1H_bDpT10_ENKUlT_T0_E_clISt17integral_constantIbLb1EES1V_EEDaS1Q_S1R_EUlS1Q_E_NS1_11comp_targetILNS1_3genE9ELNS1_11target_archE1100ELNS1_3gpuE3ELNS1_3repE0EEENS1_30default_config_static_selectorELNS0_4arch9wavefront6targetE0EEEvS13_
		.amdhsa_group_segment_fixed_size 0
		.amdhsa_private_segment_fixed_size 0
		.amdhsa_kernarg_size 184
		.amdhsa_user_sgpr_count 2
		.amdhsa_user_sgpr_dispatch_ptr 0
		.amdhsa_user_sgpr_queue_ptr 0
		.amdhsa_user_sgpr_kernarg_segment_ptr 1
		.amdhsa_user_sgpr_dispatch_id 0
		.amdhsa_user_sgpr_private_segment_size 0
		.amdhsa_wavefront_size32 1
		.amdhsa_uses_dynamic_stack 0
		.amdhsa_enable_private_segment 0
		.amdhsa_system_sgpr_workgroup_id_x 1
		.amdhsa_system_sgpr_workgroup_id_y 0
		.amdhsa_system_sgpr_workgroup_id_z 0
		.amdhsa_system_sgpr_workgroup_info 0
		.amdhsa_system_vgpr_workitem_id 0
		.amdhsa_next_free_vgpr 1
		.amdhsa_next_free_sgpr 1
		.amdhsa_reserve_vcc 0
		.amdhsa_float_round_mode_32 0
		.amdhsa_float_round_mode_16_64 0
		.amdhsa_float_denorm_mode_32 3
		.amdhsa_float_denorm_mode_16_64 3
		.amdhsa_fp16_overflow 0
		.amdhsa_workgroup_processor_mode 1
		.amdhsa_memory_ordered 1
		.amdhsa_forward_progress 1
		.amdhsa_inst_pref_size 0
		.amdhsa_round_robin_scheduling 0
		.amdhsa_exception_fp_ieee_invalid_op 0
		.amdhsa_exception_fp_denorm_src 0
		.amdhsa_exception_fp_ieee_div_zero 0
		.amdhsa_exception_fp_ieee_overflow 0
		.amdhsa_exception_fp_ieee_underflow 0
		.amdhsa_exception_fp_ieee_inexact 0
		.amdhsa_exception_int_div_zero 0
	.end_amdhsa_kernel
	.section	.text._ZN7rocprim17ROCPRIM_400000_NS6detail17trampoline_kernelINS0_13select_configILj256ELj13ELNS0_17block_load_methodE3ELS4_3ELS4_3ELNS0_20block_scan_algorithmE0ELj4294967295EEENS1_25partition_config_selectorILNS1_17partition_subalgoE4EjNS0_10empty_typeEbEEZZNS1_14partition_implILS8_4ELb0ES6_15HIP_vector_typeIjLj2EENS0_17counting_iteratorIjlEEPS9_SG_NS0_5tupleIJPjSI_NS0_16reverse_iteratorISI_EEEEENSH_IJSG_SG_SG_EEES9_SI_JZNS1_25segmented_radix_sort_implINS0_14default_configELb0EPK6__halfPSP_PKlPlN2at6native12_GLOBAL__N_18offset_tEEE10hipError_tPvRmT1_PNSt15iterator_traitsIS13_E10value_typeET2_T3_PNS14_IS19_E10value_typeET4_jRbjT5_S1F_jjP12ihipStream_tbEUljE_ZNSN_ISO_Lb0ESR_SS_SU_SV_SZ_EES10_S11_S12_S13_S17_S18_S19_S1C_S1D_jS1E_jS1F_S1F_jjS1H_bEUljE0_EEES10_S11_S12_S19_S1D_S1F_T6_T7_T9_mT8_S1H_bDpT10_ENKUlT_T0_E_clISt17integral_constantIbLb1EES1V_EEDaS1Q_S1R_EUlS1Q_E_NS1_11comp_targetILNS1_3genE9ELNS1_11target_archE1100ELNS1_3gpuE3ELNS1_3repE0EEENS1_30default_config_static_selectorELNS0_4arch9wavefront6targetE0EEEvS13_,"axG",@progbits,_ZN7rocprim17ROCPRIM_400000_NS6detail17trampoline_kernelINS0_13select_configILj256ELj13ELNS0_17block_load_methodE3ELS4_3ELS4_3ELNS0_20block_scan_algorithmE0ELj4294967295EEENS1_25partition_config_selectorILNS1_17partition_subalgoE4EjNS0_10empty_typeEbEEZZNS1_14partition_implILS8_4ELb0ES6_15HIP_vector_typeIjLj2EENS0_17counting_iteratorIjlEEPS9_SG_NS0_5tupleIJPjSI_NS0_16reverse_iteratorISI_EEEEENSH_IJSG_SG_SG_EEES9_SI_JZNS1_25segmented_radix_sort_implINS0_14default_configELb0EPK6__halfPSP_PKlPlN2at6native12_GLOBAL__N_18offset_tEEE10hipError_tPvRmT1_PNSt15iterator_traitsIS13_E10value_typeET2_T3_PNS14_IS19_E10value_typeET4_jRbjT5_S1F_jjP12ihipStream_tbEUljE_ZNSN_ISO_Lb0ESR_SS_SU_SV_SZ_EES10_S11_S12_S13_S17_S18_S19_S1C_S1D_jS1E_jS1F_S1F_jjS1H_bEUljE0_EEES10_S11_S12_S19_S1D_S1F_T6_T7_T9_mT8_S1H_bDpT10_ENKUlT_T0_E_clISt17integral_constantIbLb1EES1V_EEDaS1Q_S1R_EUlS1Q_E_NS1_11comp_targetILNS1_3genE9ELNS1_11target_archE1100ELNS1_3gpuE3ELNS1_3repE0EEENS1_30default_config_static_selectorELNS0_4arch9wavefront6targetE0EEEvS13_,comdat
.Lfunc_end1792:
	.size	_ZN7rocprim17ROCPRIM_400000_NS6detail17trampoline_kernelINS0_13select_configILj256ELj13ELNS0_17block_load_methodE3ELS4_3ELS4_3ELNS0_20block_scan_algorithmE0ELj4294967295EEENS1_25partition_config_selectorILNS1_17partition_subalgoE4EjNS0_10empty_typeEbEEZZNS1_14partition_implILS8_4ELb0ES6_15HIP_vector_typeIjLj2EENS0_17counting_iteratorIjlEEPS9_SG_NS0_5tupleIJPjSI_NS0_16reverse_iteratorISI_EEEEENSH_IJSG_SG_SG_EEES9_SI_JZNS1_25segmented_radix_sort_implINS0_14default_configELb0EPK6__halfPSP_PKlPlN2at6native12_GLOBAL__N_18offset_tEEE10hipError_tPvRmT1_PNSt15iterator_traitsIS13_E10value_typeET2_T3_PNS14_IS19_E10value_typeET4_jRbjT5_S1F_jjP12ihipStream_tbEUljE_ZNSN_ISO_Lb0ESR_SS_SU_SV_SZ_EES10_S11_S12_S13_S17_S18_S19_S1C_S1D_jS1E_jS1F_S1F_jjS1H_bEUljE0_EEES10_S11_S12_S19_S1D_S1F_T6_T7_T9_mT8_S1H_bDpT10_ENKUlT_T0_E_clISt17integral_constantIbLb1EES1V_EEDaS1Q_S1R_EUlS1Q_E_NS1_11comp_targetILNS1_3genE9ELNS1_11target_archE1100ELNS1_3gpuE3ELNS1_3repE0EEENS1_30default_config_static_selectorELNS0_4arch9wavefront6targetE0EEEvS13_, .Lfunc_end1792-_ZN7rocprim17ROCPRIM_400000_NS6detail17trampoline_kernelINS0_13select_configILj256ELj13ELNS0_17block_load_methodE3ELS4_3ELS4_3ELNS0_20block_scan_algorithmE0ELj4294967295EEENS1_25partition_config_selectorILNS1_17partition_subalgoE4EjNS0_10empty_typeEbEEZZNS1_14partition_implILS8_4ELb0ES6_15HIP_vector_typeIjLj2EENS0_17counting_iteratorIjlEEPS9_SG_NS0_5tupleIJPjSI_NS0_16reverse_iteratorISI_EEEEENSH_IJSG_SG_SG_EEES9_SI_JZNS1_25segmented_radix_sort_implINS0_14default_configELb0EPK6__halfPSP_PKlPlN2at6native12_GLOBAL__N_18offset_tEEE10hipError_tPvRmT1_PNSt15iterator_traitsIS13_E10value_typeET2_T3_PNS14_IS19_E10value_typeET4_jRbjT5_S1F_jjP12ihipStream_tbEUljE_ZNSN_ISO_Lb0ESR_SS_SU_SV_SZ_EES10_S11_S12_S13_S17_S18_S19_S1C_S1D_jS1E_jS1F_S1F_jjS1H_bEUljE0_EEES10_S11_S12_S19_S1D_S1F_T6_T7_T9_mT8_S1H_bDpT10_ENKUlT_T0_E_clISt17integral_constantIbLb1EES1V_EEDaS1Q_S1R_EUlS1Q_E_NS1_11comp_targetILNS1_3genE9ELNS1_11target_archE1100ELNS1_3gpuE3ELNS1_3repE0EEENS1_30default_config_static_selectorELNS0_4arch9wavefront6targetE0EEEvS13_
                                        ; -- End function
	.set _ZN7rocprim17ROCPRIM_400000_NS6detail17trampoline_kernelINS0_13select_configILj256ELj13ELNS0_17block_load_methodE3ELS4_3ELS4_3ELNS0_20block_scan_algorithmE0ELj4294967295EEENS1_25partition_config_selectorILNS1_17partition_subalgoE4EjNS0_10empty_typeEbEEZZNS1_14partition_implILS8_4ELb0ES6_15HIP_vector_typeIjLj2EENS0_17counting_iteratorIjlEEPS9_SG_NS0_5tupleIJPjSI_NS0_16reverse_iteratorISI_EEEEENSH_IJSG_SG_SG_EEES9_SI_JZNS1_25segmented_radix_sort_implINS0_14default_configELb0EPK6__halfPSP_PKlPlN2at6native12_GLOBAL__N_18offset_tEEE10hipError_tPvRmT1_PNSt15iterator_traitsIS13_E10value_typeET2_T3_PNS14_IS19_E10value_typeET4_jRbjT5_S1F_jjP12ihipStream_tbEUljE_ZNSN_ISO_Lb0ESR_SS_SU_SV_SZ_EES10_S11_S12_S13_S17_S18_S19_S1C_S1D_jS1E_jS1F_S1F_jjS1H_bEUljE0_EEES10_S11_S12_S19_S1D_S1F_T6_T7_T9_mT8_S1H_bDpT10_ENKUlT_T0_E_clISt17integral_constantIbLb1EES1V_EEDaS1Q_S1R_EUlS1Q_E_NS1_11comp_targetILNS1_3genE9ELNS1_11target_archE1100ELNS1_3gpuE3ELNS1_3repE0EEENS1_30default_config_static_selectorELNS0_4arch9wavefront6targetE0EEEvS13_.num_vgpr, 0
	.set _ZN7rocprim17ROCPRIM_400000_NS6detail17trampoline_kernelINS0_13select_configILj256ELj13ELNS0_17block_load_methodE3ELS4_3ELS4_3ELNS0_20block_scan_algorithmE0ELj4294967295EEENS1_25partition_config_selectorILNS1_17partition_subalgoE4EjNS0_10empty_typeEbEEZZNS1_14partition_implILS8_4ELb0ES6_15HIP_vector_typeIjLj2EENS0_17counting_iteratorIjlEEPS9_SG_NS0_5tupleIJPjSI_NS0_16reverse_iteratorISI_EEEEENSH_IJSG_SG_SG_EEES9_SI_JZNS1_25segmented_radix_sort_implINS0_14default_configELb0EPK6__halfPSP_PKlPlN2at6native12_GLOBAL__N_18offset_tEEE10hipError_tPvRmT1_PNSt15iterator_traitsIS13_E10value_typeET2_T3_PNS14_IS19_E10value_typeET4_jRbjT5_S1F_jjP12ihipStream_tbEUljE_ZNSN_ISO_Lb0ESR_SS_SU_SV_SZ_EES10_S11_S12_S13_S17_S18_S19_S1C_S1D_jS1E_jS1F_S1F_jjS1H_bEUljE0_EEES10_S11_S12_S19_S1D_S1F_T6_T7_T9_mT8_S1H_bDpT10_ENKUlT_T0_E_clISt17integral_constantIbLb1EES1V_EEDaS1Q_S1R_EUlS1Q_E_NS1_11comp_targetILNS1_3genE9ELNS1_11target_archE1100ELNS1_3gpuE3ELNS1_3repE0EEENS1_30default_config_static_selectorELNS0_4arch9wavefront6targetE0EEEvS13_.num_agpr, 0
	.set _ZN7rocprim17ROCPRIM_400000_NS6detail17trampoline_kernelINS0_13select_configILj256ELj13ELNS0_17block_load_methodE3ELS4_3ELS4_3ELNS0_20block_scan_algorithmE0ELj4294967295EEENS1_25partition_config_selectorILNS1_17partition_subalgoE4EjNS0_10empty_typeEbEEZZNS1_14partition_implILS8_4ELb0ES6_15HIP_vector_typeIjLj2EENS0_17counting_iteratorIjlEEPS9_SG_NS0_5tupleIJPjSI_NS0_16reverse_iteratorISI_EEEEENSH_IJSG_SG_SG_EEES9_SI_JZNS1_25segmented_radix_sort_implINS0_14default_configELb0EPK6__halfPSP_PKlPlN2at6native12_GLOBAL__N_18offset_tEEE10hipError_tPvRmT1_PNSt15iterator_traitsIS13_E10value_typeET2_T3_PNS14_IS19_E10value_typeET4_jRbjT5_S1F_jjP12ihipStream_tbEUljE_ZNSN_ISO_Lb0ESR_SS_SU_SV_SZ_EES10_S11_S12_S13_S17_S18_S19_S1C_S1D_jS1E_jS1F_S1F_jjS1H_bEUljE0_EEES10_S11_S12_S19_S1D_S1F_T6_T7_T9_mT8_S1H_bDpT10_ENKUlT_T0_E_clISt17integral_constantIbLb1EES1V_EEDaS1Q_S1R_EUlS1Q_E_NS1_11comp_targetILNS1_3genE9ELNS1_11target_archE1100ELNS1_3gpuE3ELNS1_3repE0EEENS1_30default_config_static_selectorELNS0_4arch9wavefront6targetE0EEEvS13_.numbered_sgpr, 0
	.set _ZN7rocprim17ROCPRIM_400000_NS6detail17trampoline_kernelINS0_13select_configILj256ELj13ELNS0_17block_load_methodE3ELS4_3ELS4_3ELNS0_20block_scan_algorithmE0ELj4294967295EEENS1_25partition_config_selectorILNS1_17partition_subalgoE4EjNS0_10empty_typeEbEEZZNS1_14partition_implILS8_4ELb0ES6_15HIP_vector_typeIjLj2EENS0_17counting_iteratorIjlEEPS9_SG_NS0_5tupleIJPjSI_NS0_16reverse_iteratorISI_EEEEENSH_IJSG_SG_SG_EEES9_SI_JZNS1_25segmented_radix_sort_implINS0_14default_configELb0EPK6__halfPSP_PKlPlN2at6native12_GLOBAL__N_18offset_tEEE10hipError_tPvRmT1_PNSt15iterator_traitsIS13_E10value_typeET2_T3_PNS14_IS19_E10value_typeET4_jRbjT5_S1F_jjP12ihipStream_tbEUljE_ZNSN_ISO_Lb0ESR_SS_SU_SV_SZ_EES10_S11_S12_S13_S17_S18_S19_S1C_S1D_jS1E_jS1F_S1F_jjS1H_bEUljE0_EEES10_S11_S12_S19_S1D_S1F_T6_T7_T9_mT8_S1H_bDpT10_ENKUlT_T0_E_clISt17integral_constantIbLb1EES1V_EEDaS1Q_S1R_EUlS1Q_E_NS1_11comp_targetILNS1_3genE9ELNS1_11target_archE1100ELNS1_3gpuE3ELNS1_3repE0EEENS1_30default_config_static_selectorELNS0_4arch9wavefront6targetE0EEEvS13_.num_named_barrier, 0
	.set _ZN7rocprim17ROCPRIM_400000_NS6detail17trampoline_kernelINS0_13select_configILj256ELj13ELNS0_17block_load_methodE3ELS4_3ELS4_3ELNS0_20block_scan_algorithmE0ELj4294967295EEENS1_25partition_config_selectorILNS1_17partition_subalgoE4EjNS0_10empty_typeEbEEZZNS1_14partition_implILS8_4ELb0ES6_15HIP_vector_typeIjLj2EENS0_17counting_iteratorIjlEEPS9_SG_NS0_5tupleIJPjSI_NS0_16reverse_iteratorISI_EEEEENSH_IJSG_SG_SG_EEES9_SI_JZNS1_25segmented_radix_sort_implINS0_14default_configELb0EPK6__halfPSP_PKlPlN2at6native12_GLOBAL__N_18offset_tEEE10hipError_tPvRmT1_PNSt15iterator_traitsIS13_E10value_typeET2_T3_PNS14_IS19_E10value_typeET4_jRbjT5_S1F_jjP12ihipStream_tbEUljE_ZNSN_ISO_Lb0ESR_SS_SU_SV_SZ_EES10_S11_S12_S13_S17_S18_S19_S1C_S1D_jS1E_jS1F_S1F_jjS1H_bEUljE0_EEES10_S11_S12_S19_S1D_S1F_T6_T7_T9_mT8_S1H_bDpT10_ENKUlT_T0_E_clISt17integral_constantIbLb1EES1V_EEDaS1Q_S1R_EUlS1Q_E_NS1_11comp_targetILNS1_3genE9ELNS1_11target_archE1100ELNS1_3gpuE3ELNS1_3repE0EEENS1_30default_config_static_selectorELNS0_4arch9wavefront6targetE0EEEvS13_.private_seg_size, 0
	.set _ZN7rocprim17ROCPRIM_400000_NS6detail17trampoline_kernelINS0_13select_configILj256ELj13ELNS0_17block_load_methodE3ELS4_3ELS4_3ELNS0_20block_scan_algorithmE0ELj4294967295EEENS1_25partition_config_selectorILNS1_17partition_subalgoE4EjNS0_10empty_typeEbEEZZNS1_14partition_implILS8_4ELb0ES6_15HIP_vector_typeIjLj2EENS0_17counting_iteratorIjlEEPS9_SG_NS0_5tupleIJPjSI_NS0_16reverse_iteratorISI_EEEEENSH_IJSG_SG_SG_EEES9_SI_JZNS1_25segmented_radix_sort_implINS0_14default_configELb0EPK6__halfPSP_PKlPlN2at6native12_GLOBAL__N_18offset_tEEE10hipError_tPvRmT1_PNSt15iterator_traitsIS13_E10value_typeET2_T3_PNS14_IS19_E10value_typeET4_jRbjT5_S1F_jjP12ihipStream_tbEUljE_ZNSN_ISO_Lb0ESR_SS_SU_SV_SZ_EES10_S11_S12_S13_S17_S18_S19_S1C_S1D_jS1E_jS1F_S1F_jjS1H_bEUljE0_EEES10_S11_S12_S19_S1D_S1F_T6_T7_T9_mT8_S1H_bDpT10_ENKUlT_T0_E_clISt17integral_constantIbLb1EES1V_EEDaS1Q_S1R_EUlS1Q_E_NS1_11comp_targetILNS1_3genE9ELNS1_11target_archE1100ELNS1_3gpuE3ELNS1_3repE0EEENS1_30default_config_static_selectorELNS0_4arch9wavefront6targetE0EEEvS13_.uses_vcc, 0
	.set _ZN7rocprim17ROCPRIM_400000_NS6detail17trampoline_kernelINS0_13select_configILj256ELj13ELNS0_17block_load_methodE3ELS4_3ELS4_3ELNS0_20block_scan_algorithmE0ELj4294967295EEENS1_25partition_config_selectorILNS1_17partition_subalgoE4EjNS0_10empty_typeEbEEZZNS1_14partition_implILS8_4ELb0ES6_15HIP_vector_typeIjLj2EENS0_17counting_iteratorIjlEEPS9_SG_NS0_5tupleIJPjSI_NS0_16reverse_iteratorISI_EEEEENSH_IJSG_SG_SG_EEES9_SI_JZNS1_25segmented_radix_sort_implINS0_14default_configELb0EPK6__halfPSP_PKlPlN2at6native12_GLOBAL__N_18offset_tEEE10hipError_tPvRmT1_PNSt15iterator_traitsIS13_E10value_typeET2_T3_PNS14_IS19_E10value_typeET4_jRbjT5_S1F_jjP12ihipStream_tbEUljE_ZNSN_ISO_Lb0ESR_SS_SU_SV_SZ_EES10_S11_S12_S13_S17_S18_S19_S1C_S1D_jS1E_jS1F_S1F_jjS1H_bEUljE0_EEES10_S11_S12_S19_S1D_S1F_T6_T7_T9_mT8_S1H_bDpT10_ENKUlT_T0_E_clISt17integral_constantIbLb1EES1V_EEDaS1Q_S1R_EUlS1Q_E_NS1_11comp_targetILNS1_3genE9ELNS1_11target_archE1100ELNS1_3gpuE3ELNS1_3repE0EEENS1_30default_config_static_selectorELNS0_4arch9wavefront6targetE0EEEvS13_.uses_flat_scratch, 0
	.set _ZN7rocprim17ROCPRIM_400000_NS6detail17trampoline_kernelINS0_13select_configILj256ELj13ELNS0_17block_load_methodE3ELS4_3ELS4_3ELNS0_20block_scan_algorithmE0ELj4294967295EEENS1_25partition_config_selectorILNS1_17partition_subalgoE4EjNS0_10empty_typeEbEEZZNS1_14partition_implILS8_4ELb0ES6_15HIP_vector_typeIjLj2EENS0_17counting_iteratorIjlEEPS9_SG_NS0_5tupleIJPjSI_NS0_16reverse_iteratorISI_EEEEENSH_IJSG_SG_SG_EEES9_SI_JZNS1_25segmented_radix_sort_implINS0_14default_configELb0EPK6__halfPSP_PKlPlN2at6native12_GLOBAL__N_18offset_tEEE10hipError_tPvRmT1_PNSt15iterator_traitsIS13_E10value_typeET2_T3_PNS14_IS19_E10value_typeET4_jRbjT5_S1F_jjP12ihipStream_tbEUljE_ZNSN_ISO_Lb0ESR_SS_SU_SV_SZ_EES10_S11_S12_S13_S17_S18_S19_S1C_S1D_jS1E_jS1F_S1F_jjS1H_bEUljE0_EEES10_S11_S12_S19_S1D_S1F_T6_T7_T9_mT8_S1H_bDpT10_ENKUlT_T0_E_clISt17integral_constantIbLb1EES1V_EEDaS1Q_S1R_EUlS1Q_E_NS1_11comp_targetILNS1_3genE9ELNS1_11target_archE1100ELNS1_3gpuE3ELNS1_3repE0EEENS1_30default_config_static_selectorELNS0_4arch9wavefront6targetE0EEEvS13_.has_dyn_sized_stack, 0
	.set _ZN7rocprim17ROCPRIM_400000_NS6detail17trampoline_kernelINS0_13select_configILj256ELj13ELNS0_17block_load_methodE3ELS4_3ELS4_3ELNS0_20block_scan_algorithmE0ELj4294967295EEENS1_25partition_config_selectorILNS1_17partition_subalgoE4EjNS0_10empty_typeEbEEZZNS1_14partition_implILS8_4ELb0ES6_15HIP_vector_typeIjLj2EENS0_17counting_iteratorIjlEEPS9_SG_NS0_5tupleIJPjSI_NS0_16reverse_iteratorISI_EEEEENSH_IJSG_SG_SG_EEES9_SI_JZNS1_25segmented_radix_sort_implINS0_14default_configELb0EPK6__halfPSP_PKlPlN2at6native12_GLOBAL__N_18offset_tEEE10hipError_tPvRmT1_PNSt15iterator_traitsIS13_E10value_typeET2_T3_PNS14_IS19_E10value_typeET4_jRbjT5_S1F_jjP12ihipStream_tbEUljE_ZNSN_ISO_Lb0ESR_SS_SU_SV_SZ_EES10_S11_S12_S13_S17_S18_S19_S1C_S1D_jS1E_jS1F_S1F_jjS1H_bEUljE0_EEES10_S11_S12_S19_S1D_S1F_T6_T7_T9_mT8_S1H_bDpT10_ENKUlT_T0_E_clISt17integral_constantIbLb1EES1V_EEDaS1Q_S1R_EUlS1Q_E_NS1_11comp_targetILNS1_3genE9ELNS1_11target_archE1100ELNS1_3gpuE3ELNS1_3repE0EEENS1_30default_config_static_selectorELNS0_4arch9wavefront6targetE0EEEvS13_.has_recursion, 0
	.set _ZN7rocprim17ROCPRIM_400000_NS6detail17trampoline_kernelINS0_13select_configILj256ELj13ELNS0_17block_load_methodE3ELS4_3ELS4_3ELNS0_20block_scan_algorithmE0ELj4294967295EEENS1_25partition_config_selectorILNS1_17partition_subalgoE4EjNS0_10empty_typeEbEEZZNS1_14partition_implILS8_4ELb0ES6_15HIP_vector_typeIjLj2EENS0_17counting_iteratorIjlEEPS9_SG_NS0_5tupleIJPjSI_NS0_16reverse_iteratorISI_EEEEENSH_IJSG_SG_SG_EEES9_SI_JZNS1_25segmented_radix_sort_implINS0_14default_configELb0EPK6__halfPSP_PKlPlN2at6native12_GLOBAL__N_18offset_tEEE10hipError_tPvRmT1_PNSt15iterator_traitsIS13_E10value_typeET2_T3_PNS14_IS19_E10value_typeET4_jRbjT5_S1F_jjP12ihipStream_tbEUljE_ZNSN_ISO_Lb0ESR_SS_SU_SV_SZ_EES10_S11_S12_S13_S17_S18_S19_S1C_S1D_jS1E_jS1F_S1F_jjS1H_bEUljE0_EEES10_S11_S12_S19_S1D_S1F_T6_T7_T9_mT8_S1H_bDpT10_ENKUlT_T0_E_clISt17integral_constantIbLb1EES1V_EEDaS1Q_S1R_EUlS1Q_E_NS1_11comp_targetILNS1_3genE9ELNS1_11target_archE1100ELNS1_3gpuE3ELNS1_3repE0EEENS1_30default_config_static_selectorELNS0_4arch9wavefront6targetE0EEEvS13_.has_indirect_call, 0
	.section	.AMDGPU.csdata,"",@progbits
; Kernel info:
; codeLenInByte = 0
; TotalNumSgprs: 0
; NumVgprs: 0
; ScratchSize: 0
; MemoryBound: 0
; FloatMode: 240
; IeeeMode: 1
; LDSByteSize: 0 bytes/workgroup (compile time only)
; SGPRBlocks: 0
; VGPRBlocks: 0
; NumSGPRsForWavesPerEU: 1
; NumVGPRsForWavesPerEU: 1
; Occupancy: 16
; WaveLimiterHint : 0
; COMPUTE_PGM_RSRC2:SCRATCH_EN: 0
; COMPUTE_PGM_RSRC2:USER_SGPR: 2
; COMPUTE_PGM_RSRC2:TRAP_HANDLER: 0
; COMPUTE_PGM_RSRC2:TGID_X_EN: 1
; COMPUTE_PGM_RSRC2:TGID_Y_EN: 0
; COMPUTE_PGM_RSRC2:TGID_Z_EN: 0
; COMPUTE_PGM_RSRC2:TIDIG_COMP_CNT: 0
	.section	.text._ZN7rocprim17ROCPRIM_400000_NS6detail17trampoline_kernelINS0_13select_configILj256ELj13ELNS0_17block_load_methodE3ELS4_3ELS4_3ELNS0_20block_scan_algorithmE0ELj4294967295EEENS1_25partition_config_selectorILNS1_17partition_subalgoE4EjNS0_10empty_typeEbEEZZNS1_14partition_implILS8_4ELb0ES6_15HIP_vector_typeIjLj2EENS0_17counting_iteratorIjlEEPS9_SG_NS0_5tupleIJPjSI_NS0_16reverse_iteratorISI_EEEEENSH_IJSG_SG_SG_EEES9_SI_JZNS1_25segmented_radix_sort_implINS0_14default_configELb0EPK6__halfPSP_PKlPlN2at6native12_GLOBAL__N_18offset_tEEE10hipError_tPvRmT1_PNSt15iterator_traitsIS13_E10value_typeET2_T3_PNS14_IS19_E10value_typeET4_jRbjT5_S1F_jjP12ihipStream_tbEUljE_ZNSN_ISO_Lb0ESR_SS_SU_SV_SZ_EES10_S11_S12_S13_S17_S18_S19_S1C_S1D_jS1E_jS1F_S1F_jjS1H_bEUljE0_EEES10_S11_S12_S19_S1D_S1F_T6_T7_T9_mT8_S1H_bDpT10_ENKUlT_T0_E_clISt17integral_constantIbLb1EES1V_EEDaS1Q_S1R_EUlS1Q_E_NS1_11comp_targetILNS1_3genE8ELNS1_11target_archE1030ELNS1_3gpuE2ELNS1_3repE0EEENS1_30default_config_static_selectorELNS0_4arch9wavefront6targetE0EEEvS13_,"axG",@progbits,_ZN7rocprim17ROCPRIM_400000_NS6detail17trampoline_kernelINS0_13select_configILj256ELj13ELNS0_17block_load_methodE3ELS4_3ELS4_3ELNS0_20block_scan_algorithmE0ELj4294967295EEENS1_25partition_config_selectorILNS1_17partition_subalgoE4EjNS0_10empty_typeEbEEZZNS1_14partition_implILS8_4ELb0ES6_15HIP_vector_typeIjLj2EENS0_17counting_iteratorIjlEEPS9_SG_NS0_5tupleIJPjSI_NS0_16reverse_iteratorISI_EEEEENSH_IJSG_SG_SG_EEES9_SI_JZNS1_25segmented_radix_sort_implINS0_14default_configELb0EPK6__halfPSP_PKlPlN2at6native12_GLOBAL__N_18offset_tEEE10hipError_tPvRmT1_PNSt15iterator_traitsIS13_E10value_typeET2_T3_PNS14_IS19_E10value_typeET4_jRbjT5_S1F_jjP12ihipStream_tbEUljE_ZNSN_ISO_Lb0ESR_SS_SU_SV_SZ_EES10_S11_S12_S13_S17_S18_S19_S1C_S1D_jS1E_jS1F_S1F_jjS1H_bEUljE0_EEES10_S11_S12_S19_S1D_S1F_T6_T7_T9_mT8_S1H_bDpT10_ENKUlT_T0_E_clISt17integral_constantIbLb1EES1V_EEDaS1Q_S1R_EUlS1Q_E_NS1_11comp_targetILNS1_3genE8ELNS1_11target_archE1030ELNS1_3gpuE2ELNS1_3repE0EEENS1_30default_config_static_selectorELNS0_4arch9wavefront6targetE0EEEvS13_,comdat
	.globl	_ZN7rocprim17ROCPRIM_400000_NS6detail17trampoline_kernelINS0_13select_configILj256ELj13ELNS0_17block_load_methodE3ELS4_3ELS4_3ELNS0_20block_scan_algorithmE0ELj4294967295EEENS1_25partition_config_selectorILNS1_17partition_subalgoE4EjNS0_10empty_typeEbEEZZNS1_14partition_implILS8_4ELb0ES6_15HIP_vector_typeIjLj2EENS0_17counting_iteratorIjlEEPS9_SG_NS0_5tupleIJPjSI_NS0_16reverse_iteratorISI_EEEEENSH_IJSG_SG_SG_EEES9_SI_JZNS1_25segmented_radix_sort_implINS0_14default_configELb0EPK6__halfPSP_PKlPlN2at6native12_GLOBAL__N_18offset_tEEE10hipError_tPvRmT1_PNSt15iterator_traitsIS13_E10value_typeET2_T3_PNS14_IS19_E10value_typeET4_jRbjT5_S1F_jjP12ihipStream_tbEUljE_ZNSN_ISO_Lb0ESR_SS_SU_SV_SZ_EES10_S11_S12_S13_S17_S18_S19_S1C_S1D_jS1E_jS1F_S1F_jjS1H_bEUljE0_EEES10_S11_S12_S19_S1D_S1F_T6_T7_T9_mT8_S1H_bDpT10_ENKUlT_T0_E_clISt17integral_constantIbLb1EES1V_EEDaS1Q_S1R_EUlS1Q_E_NS1_11comp_targetILNS1_3genE8ELNS1_11target_archE1030ELNS1_3gpuE2ELNS1_3repE0EEENS1_30default_config_static_selectorELNS0_4arch9wavefront6targetE0EEEvS13_ ; -- Begin function _ZN7rocprim17ROCPRIM_400000_NS6detail17trampoline_kernelINS0_13select_configILj256ELj13ELNS0_17block_load_methodE3ELS4_3ELS4_3ELNS0_20block_scan_algorithmE0ELj4294967295EEENS1_25partition_config_selectorILNS1_17partition_subalgoE4EjNS0_10empty_typeEbEEZZNS1_14partition_implILS8_4ELb0ES6_15HIP_vector_typeIjLj2EENS0_17counting_iteratorIjlEEPS9_SG_NS0_5tupleIJPjSI_NS0_16reverse_iteratorISI_EEEEENSH_IJSG_SG_SG_EEES9_SI_JZNS1_25segmented_radix_sort_implINS0_14default_configELb0EPK6__halfPSP_PKlPlN2at6native12_GLOBAL__N_18offset_tEEE10hipError_tPvRmT1_PNSt15iterator_traitsIS13_E10value_typeET2_T3_PNS14_IS19_E10value_typeET4_jRbjT5_S1F_jjP12ihipStream_tbEUljE_ZNSN_ISO_Lb0ESR_SS_SU_SV_SZ_EES10_S11_S12_S13_S17_S18_S19_S1C_S1D_jS1E_jS1F_S1F_jjS1H_bEUljE0_EEES10_S11_S12_S19_S1D_S1F_T6_T7_T9_mT8_S1H_bDpT10_ENKUlT_T0_E_clISt17integral_constantIbLb1EES1V_EEDaS1Q_S1R_EUlS1Q_E_NS1_11comp_targetILNS1_3genE8ELNS1_11target_archE1030ELNS1_3gpuE2ELNS1_3repE0EEENS1_30default_config_static_selectorELNS0_4arch9wavefront6targetE0EEEvS13_
	.p2align	8
	.type	_ZN7rocprim17ROCPRIM_400000_NS6detail17trampoline_kernelINS0_13select_configILj256ELj13ELNS0_17block_load_methodE3ELS4_3ELS4_3ELNS0_20block_scan_algorithmE0ELj4294967295EEENS1_25partition_config_selectorILNS1_17partition_subalgoE4EjNS0_10empty_typeEbEEZZNS1_14partition_implILS8_4ELb0ES6_15HIP_vector_typeIjLj2EENS0_17counting_iteratorIjlEEPS9_SG_NS0_5tupleIJPjSI_NS0_16reverse_iteratorISI_EEEEENSH_IJSG_SG_SG_EEES9_SI_JZNS1_25segmented_radix_sort_implINS0_14default_configELb0EPK6__halfPSP_PKlPlN2at6native12_GLOBAL__N_18offset_tEEE10hipError_tPvRmT1_PNSt15iterator_traitsIS13_E10value_typeET2_T3_PNS14_IS19_E10value_typeET4_jRbjT5_S1F_jjP12ihipStream_tbEUljE_ZNSN_ISO_Lb0ESR_SS_SU_SV_SZ_EES10_S11_S12_S13_S17_S18_S19_S1C_S1D_jS1E_jS1F_S1F_jjS1H_bEUljE0_EEES10_S11_S12_S19_S1D_S1F_T6_T7_T9_mT8_S1H_bDpT10_ENKUlT_T0_E_clISt17integral_constantIbLb1EES1V_EEDaS1Q_S1R_EUlS1Q_E_NS1_11comp_targetILNS1_3genE8ELNS1_11target_archE1030ELNS1_3gpuE2ELNS1_3repE0EEENS1_30default_config_static_selectorELNS0_4arch9wavefront6targetE0EEEvS13_,@function
_ZN7rocprim17ROCPRIM_400000_NS6detail17trampoline_kernelINS0_13select_configILj256ELj13ELNS0_17block_load_methodE3ELS4_3ELS4_3ELNS0_20block_scan_algorithmE0ELj4294967295EEENS1_25partition_config_selectorILNS1_17partition_subalgoE4EjNS0_10empty_typeEbEEZZNS1_14partition_implILS8_4ELb0ES6_15HIP_vector_typeIjLj2EENS0_17counting_iteratorIjlEEPS9_SG_NS0_5tupleIJPjSI_NS0_16reverse_iteratorISI_EEEEENSH_IJSG_SG_SG_EEES9_SI_JZNS1_25segmented_radix_sort_implINS0_14default_configELb0EPK6__halfPSP_PKlPlN2at6native12_GLOBAL__N_18offset_tEEE10hipError_tPvRmT1_PNSt15iterator_traitsIS13_E10value_typeET2_T3_PNS14_IS19_E10value_typeET4_jRbjT5_S1F_jjP12ihipStream_tbEUljE_ZNSN_ISO_Lb0ESR_SS_SU_SV_SZ_EES10_S11_S12_S13_S17_S18_S19_S1C_S1D_jS1E_jS1F_S1F_jjS1H_bEUljE0_EEES10_S11_S12_S19_S1D_S1F_T6_T7_T9_mT8_S1H_bDpT10_ENKUlT_T0_E_clISt17integral_constantIbLb1EES1V_EEDaS1Q_S1R_EUlS1Q_E_NS1_11comp_targetILNS1_3genE8ELNS1_11target_archE1030ELNS1_3gpuE2ELNS1_3repE0EEENS1_30default_config_static_selectorELNS0_4arch9wavefront6targetE0EEEvS13_: ; @_ZN7rocprim17ROCPRIM_400000_NS6detail17trampoline_kernelINS0_13select_configILj256ELj13ELNS0_17block_load_methodE3ELS4_3ELS4_3ELNS0_20block_scan_algorithmE0ELj4294967295EEENS1_25partition_config_selectorILNS1_17partition_subalgoE4EjNS0_10empty_typeEbEEZZNS1_14partition_implILS8_4ELb0ES6_15HIP_vector_typeIjLj2EENS0_17counting_iteratorIjlEEPS9_SG_NS0_5tupleIJPjSI_NS0_16reverse_iteratorISI_EEEEENSH_IJSG_SG_SG_EEES9_SI_JZNS1_25segmented_radix_sort_implINS0_14default_configELb0EPK6__halfPSP_PKlPlN2at6native12_GLOBAL__N_18offset_tEEE10hipError_tPvRmT1_PNSt15iterator_traitsIS13_E10value_typeET2_T3_PNS14_IS19_E10value_typeET4_jRbjT5_S1F_jjP12ihipStream_tbEUljE_ZNSN_ISO_Lb0ESR_SS_SU_SV_SZ_EES10_S11_S12_S13_S17_S18_S19_S1C_S1D_jS1E_jS1F_S1F_jjS1H_bEUljE0_EEES10_S11_S12_S19_S1D_S1F_T6_T7_T9_mT8_S1H_bDpT10_ENKUlT_T0_E_clISt17integral_constantIbLb1EES1V_EEDaS1Q_S1R_EUlS1Q_E_NS1_11comp_targetILNS1_3genE8ELNS1_11target_archE1030ELNS1_3gpuE2ELNS1_3repE0EEENS1_30default_config_static_selectorELNS0_4arch9wavefront6targetE0EEEvS13_
; %bb.0:
	.section	.rodata,"a",@progbits
	.p2align	6, 0x0
	.amdhsa_kernel _ZN7rocprim17ROCPRIM_400000_NS6detail17trampoline_kernelINS0_13select_configILj256ELj13ELNS0_17block_load_methodE3ELS4_3ELS4_3ELNS0_20block_scan_algorithmE0ELj4294967295EEENS1_25partition_config_selectorILNS1_17partition_subalgoE4EjNS0_10empty_typeEbEEZZNS1_14partition_implILS8_4ELb0ES6_15HIP_vector_typeIjLj2EENS0_17counting_iteratorIjlEEPS9_SG_NS0_5tupleIJPjSI_NS0_16reverse_iteratorISI_EEEEENSH_IJSG_SG_SG_EEES9_SI_JZNS1_25segmented_radix_sort_implINS0_14default_configELb0EPK6__halfPSP_PKlPlN2at6native12_GLOBAL__N_18offset_tEEE10hipError_tPvRmT1_PNSt15iterator_traitsIS13_E10value_typeET2_T3_PNS14_IS19_E10value_typeET4_jRbjT5_S1F_jjP12ihipStream_tbEUljE_ZNSN_ISO_Lb0ESR_SS_SU_SV_SZ_EES10_S11_S12_S13_S17_S18_S19_S1C_S1D_jS1E_jS1F_S1F_jjS1H_bEUljE0_EEES10_S11_S12_S19_S1D_S1F_T6_T7_T9_mT8_S1H_bDpT10_ENKUlT_T0_E_clISt17integral_constantIbLb1EES1V_EEDaS1Q_S1R_EUlS1Q_E_NS1_11comp_targetILNS1_3genE8ELNS1_11target_archE1030ELNS1_3gpuE2ELNS1_3repE0EEENS1_30default_config_static_selectorELNS0_4arch9wavefront6targetE0EEEvS13_
		.amdhsa_group_segment_fixed_size 0
		.amdhsa_private_segment_fixed_size 0
		.amdhsa_kernarg_size 184
		.amdhsa_user_sgpr_count 2
		.amdhsa_user_sgpr_dispatch_ptr 0
		.amdhsa_user_sgpr_queue_ptr 0
		.amdhsa_user_sgpr_kernarg_segment_ptr 1
		.amdhsa_user_sgpr_dispatch_id 0
		.amdhsa_user_sgpr_private_segment_size 0
		.amdhsa_wavefront_size32 1
		.amdhsa_uses_dynamic_stack 0
		.amdhsa_enable_private_segment 0
		.amdhsa_system_sgpr_workgroup_id_x 1
		.amdhsa_system_sgpr_workgroup_id_y 0
		.amdhsa_system_sgpr_workgroup_id_z 0
		.amdhsa_system_sgpr_workgroup_info 0
		.amdhsa_system_vgpr_workitem_id 0
		.amdhsa_next_free_vgpr 1
		.amdhsa_next_free_sgpr 1
		.amdhsa_reserve_vcc 0
		.amdhsa_float_round_mode_32 0
		.amdhsa_float_round_mode_16_64 0
		.amdhsa_float_denorm_mode_32 3
		.amdhsa_float_denorm_mode_16_64 3
		.amdhsa_fp16_overflow 0
		.amdhsa_workgroup_processor_mode 1
		.amdhsa_memory_ordered 1
		.amdhsa_forward_progress 1
		.amdhsa_inst_pref_size 0
		.amdhsa_round_robin_scheduling 0
		.amdhsa_exception_fp_ieee_invalid_op 0
		.amdhsa_exception_fp_denorm_src 0
		.amdhsa_exception_fp_ieee_div_zero 0
		.amdhsa_exception_fp_ieee_overflow 0
		.amdhsa_exception_fp_ieee_underflow 0
		.amdhsa_exception_fp_ieee_inexact 0
		.amdhsa_exception_int_div_zero 0
	.end_amdhsa_kernel
	.section	.text._ZN7rocprim17ROCPRIM_400000_NS6detail17trampoline_kernelINS0_13select_configILj256ELj13ELNS0_17block_load_methodE3ELS4_3ELS4_3ELNS0_20block_scan_algorithmE0ELj4294967295EEENS1_25partition_config_selectorILNS1_17partition_subalgoE4EjNS0_10empty_typeEbEEZZNS1_14partition_implILS8_4ELb0ES6_15HIP_vector_typeIjLj2EENS0_17counting_iteratorIjlEEPS9_SG_NS0_5tupleIJPjSI_NS0_16reverse_iteratorISI_EEEEENSH_IJSG_SG_SG_EEES9_SI_JZNS1_25segmented_radix_sort_implINS0_14default_configELb0EPK6__halfPSP_PKlPlN2at6native12_GLOBAL__N_18offset_tEEE10hipError_tPvRmT1_PNSt15iterator_traitsIS13_E10value_typeET2_T3_PNS14_IS19_E10value_typeET4_jRbjT5_S1F_jjP12ihipStream_tbEUljE_ZNSN_ISO_Lb0ESR_SS_SU_SV_SZ_EES10_S11_S12_S13_S17_S18_S19_S1C_S1D_jS1E_jS1F_S1F_jjS1H_bEUljE0_EEES10_S11_S12_S19_S1D_S1F_T6_T7_T9_mT8_S1H_bDpT10_ENKUlT_T0_E_clISt17integral_constantIbLb1EES1V_EEDaS1Q_S1R_EUlS1Q_E_NS1_11comp_targetILNS1_3genE8ELNS1_11target_archE1030ELNS1_3gpuE2ELNS1_3repE0EEENS1_30default_config_static_selectorELNS0_4arch9wavefront6targetE0EEEvS13_,"axG",@progbits,_ZN7rocprim17ROCPRIM_400000_NS6detail17trampoline_kernelINS0_13select_configILj256ELj13ELNS0_17block_load_methodE3ELS4_3ELS4_3ELNS0_20block_scan_algorithmE0ELj4294967295EEENS1_25partition_config_selectorILNS1_17partition_subalgoE4EjNS0_10empty_typeEbEEZZNS1_14partition_implILS8_4ELb0ES6_15HIP_vector_typeIjLj2EENS0_17counting_iteratorIjlEEPS9_SG_NS0_5tupleIJPjSI_NS0_16reverse_iteratorISI_EEEEENSH_IJSG_SG_SG_EEES9_SI_JZNS1_25segmented_radix_sort_implINS0_14default_configELb0EPK6__halfPSP_PKlPlN2at6native12_GLOBAL__N_18offset_tEEE10hipError_tPvRmT1_PNSt15iterator_traitsIS13_E10value_typeET2_T3_PNS14_IS19_E10value_typeET4_jRbjT5_S1F_jjP12ihipStream_tbEUljE_ZNSN_ISO_Lb0ESR_SS_SU_SV_SZ_EES10_S11_S12_S13_S17_S18_S19_S1C_S1D_jS1E_jS1F_S1F_jjS1H_bEUljE0_EEES10_S11_S12_S19_S1D_S1F_T6_T7_T9_mT8_S1H_bDpT10_ENKUlT_T0_E_clISt17integral_constantIbLb1EES1V_EEDaS1Q_S1R_EUlS1Q_E_NS1_11comp_targetILNS1_3genE8ELNS1_11target_archE1030ELNS1_3gpuE2ELNS1_3repE0EEENS1_30default_config_static_selectorELNS0_4arch9wavefront6targetE0EEEvS13_,comdat
.Lfunc_end1793:
	.size	_ZN7rocprim17ROCPRIM_400000_NS6detail17trampoline_kernelINS0_13select_configILj256ELj13ELNS0_17block_load_methodE3ELS4_3ELS4_3ELNS0_20block_scan_algorithmE0ELj4294967295EEENS1_25partition_config_selectorILNS1_17partition_subalgoE4EjNS0_10empty_typeEbEEZZNS1_14partition_implILS8_4ELb0ES6_15HIP_vector_typeIjLj2EENS0_17counting_iteratorIjlEEPS9_SG_NS0_5tupleIJPjSI_NS0_16reverse_iteratorISI_EEEEENSH_IJSG_SG_SG_EEES9_SI_JZNS1_25segmented_radix_sort_implINS0_14default_configELb0EPK6__halfPSP_PKlPlN2at6native12_GLOBAL__N_18offset_tEEE10hipError_tPvRmT1_PNSt15iterator_traitsIS13_E10value_typeET2_T3_PNS14_IS19_E10value_typeET4_jRbjT5_S1F_jjP12ihipStream_tbEUljE_ZNSN_ISO_Lb0ESR_SS_SU_SV_SZ_EES10_S11_S12_S13_S17_S18_S19_S1C_S1D_jS1E_jS1F_S1F_jjS1H_bEUljE0_EEES10_S11_S12_S19_S1D_S1F_T6_T7_T9_mT8_S1H_bDpT10_ENKUlT_T0_E_clISt17integral_constantIbLb1EES1V_EEDaS1Q_S1R_EUlS1Q_E_NS1_11comp_targetILNS1_3genE8ELNS1_11target_archE1030ELNS1_3gpuE2ELNS1_3repE0EEENS1_30default_config_static_selectorELNS0_4arch9wavefront6targetE0EEEvS13_, .Lfunc_end1793-_ZN7rocprim17ROCPRIM_400000_NS6detail17trampoline_kernelINS0_13select_configILj256ELj13ELNS0_17block_load_methodE3ELS4_3ELS4_3ELNS0_20block_scan_algorithmE0ELj4294967295EEENS1_25partition_config_selectorILNS1_17partition_subalgoE4EjNS0_10empty_typeEbEEZZNS1_14partition_implILS8_4ELb0ES6_15HIP_vector_typeIjLj2EENS0_17counting_iteratorIjlEEPS9_SG_NS0_5tupleIJPjSI_NS0_16reverse_iteratorISI_EEEEENSH_IJSG_SG_SG_EEES9_SI_JZNS1_25segmented_radix_sort_implINS0_14default_configELb0EPK6__halfPSP_PKlPlN2at6native12_GLOBAL__N_18offset_tEEE10hipError_tPvRmT1_PNSt15iterator_traitsIS13_E10value_typeET2_T3_PNS14_IS19_E10value_typeET4_jRbjT5_S1F_jjP12ihipStream_tbEUljE_ZNSN_ISO_Lb0ESR_SS_SU_SV_SZ_EES10_S11_S12_S13_S17_S18_S19_S1C_S1D_jS1E_jS1F_S1F_jjS1H_bEUljE0_EEES10_S11_S12_S19_S1D_S1F_T6_T7_T9_mT8_S1H_bDpT10_ENKUlT_T0_E_clISt17integral_constantIbLb1EES1V_EEDaS1Q_S1R_EUlS1Q_E_NS1_11comp_targetILNS1_3genE8ELNS1_11target_archE1030ELNS1_3gpuE2ELNS1_3repE0EEENS1_30default_config_static_selectorELNS0_4arch9wavefront6targetE0EEEvS13_
                                        ; -- End function
	.set _ZN7rocprim17ROCPRIM_400000_NS6detail17trampoline_kernelINS0_13select_configILj256ELj13ELNS0_17block_load_methodE3ELS4_3ELS4_3ELNS0_20block_scan_algorithmE0ELj4294967295EEENS1_25partition_config_selectorILNS1_17partition_subalgoE4EjNS0_10empty_typeEbEEZZNS1_14partition_implILS8_4ELb0ES6_15HIP_vector_typeIjLj2EENS0_17counting_iteratorIjlEEPS9_SG_NS0_5tupleIJPjSI_NS0_16reverse_iteratorISI_EEEEENSH_IJSG_SG_SG_EEES9_SI_JZNS1_25segmented_radix_sort_implINS0_14default_configELb0EPK6__halfPSP_PKlPlN2at6native12_GLOBAL__N_18offset_tEEE10hipError_tPvRmT1_PNSt15iterator_traitsIS13_E10value_typeET2_T3_PNS14_IS19_E10value_typeET4_jRbjT5_S1F_jjP12ihipStream_tbEUljE_ZNSN_ISO_Lb0ESR_SS_SU_SV_SZ_EES10_S11_S12_S13_S17_S18_S19_S1C_S1D_jS1E_jS1F_S1F_jjS1H_bEUljE0_EEES10_S11_S12_S19_S1D_S1F_T6_T7_T9_mT8_S1H_bDpT10_ENKUlT_T0_E_clISt17integral_constantIbLb1EES1V_EEDaS1Q_S1R_EUlS1Q_E_NS1_11comp_targetILNS1_3genE8ELNS1_11target_archE1030ELNS1_3gpuE2ELNS1_3repE0EEENS1_30default_config_static_selectorELNS0_4arch9wavefront6targetE0EEEvS13_.num_vgpr, 0
	.set _ZN7rocprim17ROCPRIM_400000_NS6detail17trampoline_kernelINS0_13select_configILj256ELj13ELNS0_17block_load_methodE3ELS4_3ELS4_3ELNS0_20block_scan_algorithmE0ELj4294967295EEENS1_25partition_config_selectorILNS1_17partition_subalgoE4EjNS0_10empty_typeEbEEZZNS1_14partition_implILS8_4ELb0ES6_15HIP_vector_typeIjLj2EENS0_17counting_iteratorIjlEEPS9_SG_NS0_5tupleIJPjSI_NS0_16reverse_iteratorISI_EEEEENSH_IJSG_SG_SG_EEES9_SI_JZNS1_25segmented_radix_sort_implINS0_14default_configELb0EPK6__halfPSP_PKlPlN2at6native12_GLOBAL__N_18offset_tEEE10hipError_tPvRmT1_PNSt15iterator_traitsIS13_E10value_typeET2_T3_PNS14_IS19_E10value_typeET4_jRbjT5_S1F_jjP12ihipStream_tbEUljE_ZNSN_ISO_Lb0ESR_SS_SU_SV_SZ_EES10_S11_S12_S13_S17_S18_S19_S1C_S1D_jS1E_jS1F_S1F_jjS1H_bEUljE0_EEES10_S11_S12_S19_S1D_S1F_T6_T7_T9_mT8_S1H_bDpT10_ENKUlT_T0_E_clISt17integral_constantIbLb1EES1V_EEDaS1Q_S1R_EUlS1Q_E_NS1_11comp_targetILNS1_3genE8ELNS1_11target_archE1030ELNS1_3gpuE2ELNS1_3repE0EEENS1_30default_config_static_selectorELNS0_4arch9wavefront6targetE0EEEvS13_.num_agpr, 0
	.set _ZN7rocprim17ROCPRIM_400000_NS6detail17trampoline_kernelINS0_13select_configILj256ELj13ELNS0_17block_load_methodE3ELS4_3ELS4_3ELNS0_20block_scan_algorithmE0ELj4294967295EEENS1_25partition_config_selectorILNS1_17partition_subalgoE4EjNS0_10empty_typeEbEEZZNS1_14partition_implILS8_4ELb0ES6_15HIP_vector_typeIjLj2EENS0_17counting_iteratorIjlEEPS9_SG_NS0_5tupleIJPjSI_NS0_16reverse_iteratorISI_EEEEENSH_IJSG_SG_SG_EEES9_SI_JZNS1_25segmented_radix_sort_implINS0_14default_configELb0EPK6__halfPSP_PKlPlN2at6native12_GLOBAL__N_18offset_tEEE10hipError_tPvRmT1_PNSt15iterator_traitsIS13_E10value_typeET2_T3_PNS14_IS19_E10value_typeET4_jRbjT5_S1F_jjP12ihipStream_tbEUljE_ZNSN_ISO_Lb0ESR_SS_SU_SV_SZ_EES10_S11_S12_S13_S17_S18_S19_S1C_S1D_jS1E_jS1F_S1F_jjS1H_bEUljE0_EEES10_S11_S12_S19_S1D_S1F_T6_T7_T9_mT8_S1H_bDpT10_ENKUlT_T0_E_clISt17integral_constantIbLb1EES1V_EEDaS1Q_S1R_EUlS1Q_E_NS1_11comp_targetILNS1_3genE8ELNS1_11target_archE1030ELNS1_3gpuE2ELNS1_3repE0EEENS1_30default_config_static_selectorELNS0_4arch9wavefront6targetE0EEEvS13_.numbered_sgpr, 0
	.set _ZN7rocprim17ROCPRIM_400000_NS6detail17trampoline_kernelINS0_13select_configILj256ELj13ELNS0_17block_load_methodE3ELS4_3ELS4_3ELNS0_20block_scan_algorithmE0ELj4294967295EEENS1_25partition_config_selectorILNS1_17partition_subalgoE4EjNS0_10empty_typeEbEEZZNS1_14partition_implILS8_4ELb0ES6_15HIP_vector_typeIjLj2EENS0_17counting_iteratorIjlEEPS9_SG_NS0_5tupleIJPjSI_NS0_16reverse_iteratorISI_EEEEENSH_IJSG_SG_SG_EEES9_SI_JZNS1_25segmented_radix_sort_implINS0_14default_configELb0EPK6__halfPSP_PKlPlN2at6native12_GLOBAL__N_18offset_tEEE10hipError_tPvRmT1_PNSt15iterator_traitsIS13_E10value_typeET2_T3_PNS14_IS19_E10value_typeET4_jRbjT5_S1F_jjP12ihipStream_tbEUljE_ZNSN_ISO_Lb0ESR_SS_SU_SV_SZ_EES10_S11_S12_S13_S17_S18_S19_S1C_S1D_jS1E_jS1F_S1F_jjS1H_bEUljE0_EEES10_S11_S12_S19_S1D_S1F_T6_T7_T9_mT8_S1H_bDpT10_ENKUlT_T0_E_clISt17integral_constantIbLb1EES1V_EEDaS1Q_S1R_EUlS1Q_E_NS1_11comp_targetILNS1_3genE8ELNS1_11target_archE1030ELNS1_3gpuE2ELNS1_3repE0EEENS1_30default_config_static_selectorELNS0_4arch9wavefront6targetE0EEEvS13_.num_named_barrier, 0
	.set _ZN7rocprim17ROCPRIM_400000_NS6detail17trampoline_kernelINS0_13select_configILj256ELj13ELNS0_17block_load_methodE3ELS4_3ELS4_3ELNS0_20block_scan_algorithmE0ELj4294967295EEENS1_25partition_config_selectorILNS1_17partition_subalgoE4EjNS0_10empty_typeEbEEZZNS1_14partition_implILS8_4ELb0ES6_15HIP_vector_typeIjLj2EENS0_17counting_iteratorIjlEEPS9_SG_NS0_5tupleIJPjSI_NS0_16reverse_iteratorISI_EEEEENSH_IJSG_SG_SG_EEES9_SI_JZNS1_25segmented_radix_sort_implINS0_14default_configELb0EPK6__halfPSP_PKlPlN2at6native12_GLOBAL__N_18offset_tEEE10hipError_tPvRmT1_PNSt15iterator_traitsIS13_E10value_typeET2_T3_PNS14_IS19_E10value_typeET4_jRbjT5_S1F_jjP12ihipStream_tbEUljE_ZNSN_ISO_Lb0ESR_SS_SU_SV_SZ_EES10_S11_S12_S13_S17_S18_S19_S1C_S1D_jS1E_jS1F_S1F_jjS1H_bEUljE0_EEES10_S11_S12_S19_S1D_S1F_T6_T7_T9_mT8_S1H_bDpT10_ENKUlT_T0_E_clISt17integral_constantIbLb1EES1V_EEDaS1Q_S1R_EUlS1Q_E_NS1_11comp_targetILNS1_3genE8ELNS1_11target_archE1030ELNS1_3gpuE2ELNS1_3repE0EEENS1_30default_config_static_selectorELNS0_4arch9wavefront6targetE0EEEvS13_.private_seg_size, 0
	.set _ZN7rocprim17ROCPRIM_400000_NS6detail17trampoline_kernelINS0_13select_configILj256ELj13ELNS0_17block_load_methodE3ELS4_3ELS4_3ELNS0_20block_scan_algorithmE0ELj4294967295EEENS1_25partition_config_selectorILNS1_17partition_subalgoE4EjNS0_10empty_typeEbEEZZNS1_14partition_implILS8_4ELb0ES6_15HIP_vector_typeIjLj2EENS0_17counting_iteratorIjlEEPS9_SG_NS0_5tupleIJPjSI_NS0_16reverse_iteratorISI_EEEEENSH_IJSG_SG_SG_EEES9_SI_JZNS1_25segmented_radix_sort_implINS0_14default_configELb0EPK6__halfPSP_PKlPlN2at6native12_GLOBAL__N_18offset_tEEE10hipError_tPvRmT1_PNSt15iterator_traitsIS13_E10value_typeET2_T3_PNS14_IS19_E10value_typeET4_jRbjT5_S1F_jjP12ihipStream_tbEUljE_ZNSN_ISO_Lb0ESR_SS_SU_SV_SZ_EES10_S11_S12_S13_S17_S18_S19_S1C_S1D_jS1E_jS1F_S1F_jjS1H_bEUljE0_EEES10_S11_S12_S19_S1D_S1F_T6_T7_T9_mT8_S1H_bDpT10_ENKUlT_T0_E_clISt17integral_constantIbLb1EES1V_EEDaS1Q_S1R_EUlS1Q_E_NS1_11comp_targetILNS1_3genE8ELNS1_11target_archE1030ELNS1_3gpuE2ELNS1_3repE0EEENS1_30default_config_static_selectorELNS0_4arch9wavefront6targetE0EEEvS13_.uses_vcc, 0
	.set _ZN7rocprim17ROCPRIM_400000_NS6detail17trampoline_kernelINS0_13select_configILj256ELj13ELNS0_17block_load_methodE3ELS4_3ELS4_3ELNS0_20block_scan_algorithmE0ELj4294967295EEENS1_25partition_config_selectorILNS1_17partition_subalgoE4EjNS0_10empty_typeEbEEZZNS1_14partition_implILS8_4ELb0ES6_15HIP_vector_typeIjLj2EENS0_17counting_iteratorIjlEEPS9_SG_NS0_5tupleIJPjSI_NS0_16reverse_iteratorISI_EEEEENSH_IJSG_SG_SG_EEES9_SI_JZNS1_25segmented_radix_sort_implINS0_14default_configELb0EPK6__halfPSP_PKlPlN2at6native12_GLOBAL__N_18offset_tEEE10hipError_tPvRmT1_PNSt15iterator_traitsIS13_E10value_typeET2_T3_PNS14_IS19_E10value_typeET4_jRbjT5_S1F_jjP12ihipStream_tbEUljE_ZNSN_ISO_Lb0ESR_SS_SU_SV_SZ_EES10_S11_S12_S13_S17_S18_S19_S1C_S1D_jS1E_jS1F_S1F_jjS1H_bEUljE0_EEES10_S11_S12_S19_S1D_S1F_T6_T7_T9_mT8_S1H_bDpT10_ENKUlT_T0_E_clISt17integral_constantIbLb1EES1V_EEDaS1Q_S1R_EUlS1Q_E_NS1_11comp_targetILNS1_3genE8ELNS1_11target_archE1030ELNS1_3gpuE2ELNS1_3repE0EEENS1_30default_config_static_selectorELNS0_4arch9wavefront6targetE0EEEvS13_.uses_flat_scratch, 0
	.set _ZN7rocprim17ROCPRIM_400000_NS6detail17trampoline_kernelINS0_13select_configILj256ELj13ELNS0_17block_load_methodE3ELS4_3ELS4_3ELNS0_20block_scan_algorithmE0ELj4294967295EEENS1_25partition_config_selectorILNS1_17partition_subalgoE4EjNS0_10empty_typeEbEEZZNS1_14partition_implILS8_4ELb0ES6_15HIP_vector_typeIjLj2EENS0_17counting_iteratorIjlEEPS9_SG_NS0_5tupleIJPjSI_NS0_16reverse_iteratorISI_EEEEENSH_IJSG_SG_SG_EEES9_SI_JZNS1_25segmented_radix_sort_implINS0_14default_configELb0EPK6__halfPSP_PKlPlN2at6native12_GLOBAL__N_18offset_tEEE10hipError_tPvRmT1_PNSt15iterator_traitsIS13_E10value_typeET2_T3_PNS14_IS19_E10value_typeET4_jRbjT5_S1F_jjP12ihipStream_tbEUljE_ZNSN_ISO_Lb0ESR_SS_SU_SV_SZ_EES10_S11_S12_S13_S17_S18_S19_S1C_S1D_jS1E_jS1F_S1F_jjS1H_bEUljE0_EEES10_S11_S12_S19_S1D_S1F_T6_T7_T9_mT8_S1H_bDpT10_ENKUlT_T0_E_clISt17integral_constantIbLb1EES1V_EEDaS1Q_S1R_EUlS1Q_E_NS1_11comp_targetILNS1_3genE8ELNS1_11target_archE1030ELNS1_3gpuE2ELNS1_3repE0EEENS1_30default_config_static_selectorELNS0_4arch9wavefront6targetE0EEEvS13_.has_dyn_sized_stack, 0
	.set _ZN7rocprim17ROCPRIM_400000_NS6detail17trampoline_kernelINS0_13select_configILj256ELj13ELNS0_17block_load_methodE3ELS4_3ELS4_3ELNS0_20block_scan_algorithmE0ELj4294967295EEENS1_25partition_config_selectorILNS1_17partition_subalgoE4EjNS0_10empty_typeEbEEZZNS1_14partition_implILS8_4ELb0ES6_15HIP_vector_typeIjLj2EENS0_17counting_iteratorIjlEEPS9_SG_NS0_5tupleIJPjSI_NS0_16reverse_iteratorISI_EEEEENSH_IJSG_SG_SG_EEES9_SI_JZNS1_25segmented_radix_sort_implINS0_14default_configELb0EPK6__halfPSP_PKlPlN2at6native12_GLOBAL__N_18offset_tEEE10hipError_tPvRmT1_PNSt15iterator_traitsIS13_E10value_typeET2_T3_PNS14_IS19_E10value_typeET4_jRbjT5_S1F_jjP12ihipStream_tbEUljE_ZNSN_ISO_Lb0ESR_SS_SU_SV_SZ_EES10_S11_S12_S13_S17_S18_S19_S1C_S1D_jS1E_jS1F_S1F_jjS1H_bEUljE0_EEES10_S11_S12_S19_S1D_S1F_T6_T7_T9_mT8_S1H_bDpT10_ENKUlT_T0_E_clISt17integral_constantIbLb1EES1V_EEDaS1Q_S1R_EUlS1Q_E_NS1_11comp_targetILNS1_3genE8ELNS1_11target_archE1030ELNS1_3gpuE2ELNS1_3repE0EEENS1_30default_config_static_selectorELNS0_4arch9wavefront6targetE0EEEvS13_.has_recursion, 0
	.set _ZN7rocprim17ROCPRIM_400000_NS6detail17trampoline_kernelINS0_13select_configILj256ELj13ELNS0_17block_load_methodE3ELS4_3ELS4_3ELNS0_20block_scan_algorithmE0ELj4294967295EEENS1_25partition_config_selectorILNS1_17partition_subalgoE4EjNS0_10empty_typeEbEEZZNS1_14partition_implILS8_4ELb0ES6_15HIP_vector_typeIjLj2EENS0_17counting_iteratorIjlEEPS9_SG_NS0_5tupleIJPjSI_NS0_16reverse_iteratorISI_EEEEENSH_IJSG_SG_SG_EEES9_SI_JZNS1_25segmented_radix_sort_implINS0_14default_configELb0EPK6__halfPSP_PKlPlN2at6native12_GLOBAL__N_18offset_tEEE10hipError_tPvRmT1_PNSt15iterator_traitsIS13_E10value_typeET2_T3_PNS14_IS19_E10value_typeET4_jRbjT5_S1F_jjP12ihipStream_tbEUljE_ZNSN_ISO_Lb0ESR_SS_SU_SV_SZ_EES10_S11_S12_S13_S17_S18_S19_S1C_S1D_jS1E_jS1F_S1F_jjS1H_bEUljE0_EEES10_S11_S12_S19_S1D_S1F_T6_T7_T9_mT8_S1H_bDpT10_ENKUlT_T0_E_clISt17integral_constantIbLb1EES1V_EEDaS1Q_S1R_EUlS1Q_E_NS1_11comp_targetILNS1_3genE8ELNS1_11target_archE1030ELNS1_3gpuE2ELNS1_3repE0EEENS1_30default_config_static_selectorELNS0_4arch9wavefront6targetE0EEEvS13_.has_indirect_call, 0
	.section	.AMDGPU.csdata,"",@progbits
; Kernel info:
; codeLenInByte = 0
; TotalNumSgprs: 0
; NumVgprs: 0
; ScratchSize: 0
; MemoryBound: 0
; FloatMode: 240
; IeeeMode: 1
; LDSByteSize: 0 bytes/workgroup (compile time only)
; SGPRBlocks: 0
; VGPRBlocks: 0
; NumSGPRsForWavesPerEU: 1
; NumVGPRsForWavesPerEU: 1
; Occupancy: 16
; WaveLimiterHint : 0
; COMPUTE_PGM_RSRC2:SCRATCH_EN: 0
; COMPUTE_PGM_RSRC2:USER_SGPR: 2
; COMPUTE_PGM_RSRC2:TRAP_HANDLER: 0
; COMPUTE_PGM_RSRC2:TGID_X_EN: 1
; COMPUTE_PGM_RSRC2:TGID_Y_EN: 0
; COMPUTE_PGM_RSRC2:TGID_Z_EN: 0
; COMPUTE_PGM_RSRC2:TIDIG_COMP_CNT: 0
	.section	.text._ZN7rocprim17ROCPRIM_400000_NS6detail17trampoline_kernelINS0_13select_configILj256ELj13ELNS0_17block_load_methodE3ELS4_3ELS4_3ELNS0_20block_scan_algorithmE0ELj4294967295EEENS1_25partition_config_selectorILNS1_17partition_subalgoE4EjNS0_10empty_typeEbEEZZNS1_14partition_implILS8_4ELb0ES6_15HIP_vector_typeIjLj2EENS0_17counting_iteratorIjlEEPS9_SG_NS0_5tupleIJPjSI_NS0_16reverse_iteratorISI_EEEEENSH_IJSG_SG_SG_EEES9_SI_JZNS1_25segmented_radix_sort_implINS0_14default_configELb0EPK6__halfPSP_PKlPlN2at6native12_GLOBAL__N_18offset_tEEE10hipError_tPvRmT1_PNSt15iterator_traitsIS13_E10value_typeET2_T3_PNS14_IS19_E10value_typeET4_jRbjT5_S1F_jjP12ihipStream_tbEUljE_ZNSN_ISO_Lb0ESR_SS_SU_SV_SZ_EES10_S11_S12_S13_S17_S18_S19_S1C_S1D_jS1E_jS1F_S1F_jjS1H_bEUljE0_EEES10_S11_S12_S19_S1D_S1F_T6_T7_T9_mT8_S1H_bDpT10_ENKUlT_T0_E_clISt17integral_constantIbLb1EES1U_IbLb0EEEEDaS1Q_S1R_EUlS1Q_E_NS1_11comp_targetILNS1_3genE0ELNS1_11target_archE4294967295ELNS1_3gpuE0ELNS1_3repE0EEENS1_30default_config_static_selectorELNS0_4arch9wavefront6targetE0EEEvS13_,"axG",@progbits,_ZN7rocprim17ROCPRIM_400000_NS6detail17trampoline_kernelINS0_13select_configILj256ELj13ELNS0_17block_load_methodE3ELS4_3ELS4_3ELNS0_20block_scan_algorithmE0ELj4294967295EEENS1_25partition_config_selectorILNS1_17partition_subalgoE4EjNS0_10empty_typeEbEEZZNS1_14partition_implILS8_4ELb0ES6_15HIP_vector_typeIjLj2EENS0_17counting_iteratorIjlEEPS9_SG_NS0_5tupleIJPjSI_NS0_16reverse_iteratorISI_EEEEENSH_IJSG_SG_SG_EEES9_SI_JZNS1_25segmented_radix_sort_implINS0_14default_configELb0EPK6__halfPSP_PKlPlN2at6native12_GLOBAL__N_18offset_tEEE10hipError_tPvRmT1_PNSt15iterator_traitsIS13_E10value_typeET2_T3_PNS14_IS19_E10value_typeET4_jRbjT5_S1F_jjP12ihipStream_tbEUljE_ZNSN_ISO_Lb0ESR_SS_SU_SV_SZ_EES10_S11_S12_S13_S17_S18_S19_S1C_S1D_jS1E_jS1F_S1F_jjS1H_bEUljE0_EEES10_S11_S12_S19_S1D_S1F_T6_T7_T9_mT8_S1H_bDpT10_ENKUlT_T0_E_clISt17integral_constantIbLb1EES1U_IbLb0EEEEDaS1Q_S1R_EUlS1Q_E_NS1_11comp_targetILNS1_3genE0ELNS1_11target_archE4294967295ELNS1_3gpuE0ELNS1_3repE0EEENS1_30default_config_static_selectorELNS0_4arch9wavefront6targetE0EEEvS13_,comdat
	.globl	_ZN7rocprim17ROCPRIM_400000_NS6detail17trampoline_kernelINS0_13select_configILj256ELj13ELNS0_17block_load_methodE3ELS4_3ELS4_3ELNS0_20block_scan_algorithmE0ELj4294967295EEENS1_25partition_config_selectorILNS1_17partition_subalgoE4EjNS0_10empty_typeEbEEZZNS1_14partition_implILS8_4ELb0ES6_15HIP_vector_typeIjLj2EENS0_17counting_iteratorIjlEEPS9_SG_NS0_5tupleIJPjSI_NS0_16reverse_iteratorISI_EEEEENSH_IJSG_SG_SG_EEES9_SI_JZNS1_25segmented_radix_sort_implINS0_14default_configELb0EPK6__halfPSP_PKlPlN2at6native12_GLOBAL__N_18offset_tEEE10hipError_tPvRmT1_PNSt15iterator_traitsIS13_E10value_typeET2_T3_PNS14_IS19_E10value_typeET4_jRbjT5_S1F_jjP12ihipStream_tbEUljE_ZNSN_ISO_Lb0ESR_SS_SU_SV_SZ_EES10_S11_S12_S13_S17_S18_S19_S1C_S1D_jS1E_jS1F_S1F_jjS1H_bEUljE0_EEES10_S11_S12_S19_S1D_S1F_T6_T7_T9_mT8_S1H_bDpT10_ENKUlT_T0_E_clISt17integral_constantIbLb1EES1U_IbLb0EEEEDaS1Q_S1R_EUlS1Q_E_NS1_11comp_targetILNS1_3genE0ELNS1_11target_archE4294967295ELNS1_3gpuE0ELNS1_3repE0EEENS1_30default_config_static_selectorELNS0_4arch9wavefront6targetE0EEEvS13_ ; -- Begin function _ZN7rocprim17ROCPRIM_400000_NS6detail17trampoline_kernelINS0_13select_configILj256ELj13ELNS0_17block_load_methodE3ELS4_3ELS4_3ELNS0_20block_scan_algorithmE0ELj4294967295EEENS1_25partition_config_selectorILNS1_17partition_subalgoE4EjNS0_10empty_typeEbEEZZNS1_14partition_implILS8_4ELb0ES6_15HIP_vector_typeIjLj2EENS0_17counting_iteratorIjlEEPS9_SG_NS0_5tupleIJPjSI_NS0_16reverse_iteratorISI_EEEEENSH_IJSG_SG_SG_EEES9_SI_JZNS1_25segmented_radix_sort_implINS0_14default_configELb0EPK6__halfPSP_PKlPlN2at6native12_GLOBAL__N_18offset_tEEE10hipError_tPvRmT1_PNSt15iterator_traitsIS13_E10value_typeET2_T3_PNS14_IS19_E10value_typeET4_jRbjT5_S1F_jjP12ihipStream_tbEUljE_ZNSN_ISO_Lb0ESR_SS_SU_SV_SZ_EES10_S11_S12_S13_S17_S18_S19_S1C_S1D_jS1E_jS1F_S1F_jjS1H_bEUljE0_EEES10_S11_S12_S19_S1D_S1F_T6_T7_T9_mT8_S1H_bDpT10_ENKUlT_T0_E_clISt17integral_constantIbLb1EES1U_IbLb0EEEEDaS1Q_S1R_EUlS1Q_E_NS1_11comp_targetILNS1_3genE0ELNS1_11target_archE4294967295ELNS1_3gpuE0ELNS1_3repE0EEENS1_30default_config_static_selectorELNS0_4arch9wavefront6targetE0EEEvS13_
	.p2align	8
	.type	_ZN7rocprim17ROCPRIM_400000_NS6detail17trampoline_kernelINS0_13select_configILj256ELj13ELNS0_17block_load_methodE3ELS4_3ELS4_3ELNS0_20block_scan_algorithmE0ELj4294967295EEENS1_25partition_config_selectorILNS1_17partition_subalgoE4EjNS0_10empty_typeEbEEZZNS1_14partition_implILS8_4ELb0ES6_15HIP_vector_typeIjLj2EENS0_17counting_iteratorIjlEEPS9_SG_NS0_5tupleIJPjSI_NS0_16reverse_iteratorISI_EEEEENSH_IJSG_SG_SG_EEES9_SI_JZNS1_25segmented_radix_sort_implINS0_14default_configELb0EPK6__halfPSP_PKlPlN2at6native12_GLOBAL__N_18offset_tEEE10hipError_tPvRmT1_PNSt15iterator_traitsIS13_E10value_typeET2_T3_PNS14_IS19_E10value_typeET4_jRbjT5_S1F_jjP12ihipStream_tbEUljE_ZNSN_ISO_Lb0ESR_SS_SU_SV_SZ_EES10_S11_S12_S13_S17_S18_S19_S1C_S1D_jS1E_jS1F_S1F_jjS1H_bEUljE0_EEES10_S11_S12_S19_S1D_S1F_T6_T7_T9_mT8_S1H_bDpT10_ENKUlT_T0_E_clISt17integral_constantIbLb1EES1U_IbLb0EEEEDaS1Q_S1R_EUlS1Q_E_NS1_11comp_targetILNS1_3genE0ELNS1_11target_archE4294967295ELNS1_3gpuE0ELNS1_3repE0EEENS1_30default_config_static_selectorELNS0_4arch9wavefront6targetE0EEEvS13_,@function
_ZN7rocprim17ROCPRIM_400000_NS6detail17trampoline_kernelINS0_13select_configILj256ELj13ELNS0_17block_load_methodE3ELS4_3ELS4_3ELNS0_20block_scan_algorithmE0ELj4294967295EEENS1_25partition_config_selectorILNS1_17partition_subalgoE4EjNS0_10empty_typeEbEEZZNS1_14partition_implILS8_4ELb0ES6_15HIP_vector_typeIjLj2EENS0_17counting_iteratorIjlEEPS9_SG_NS0_5tupleIJPjSI_NS0_16reverse_iteratorISI_EEEEENSH_IJSG_SG_SG_EEES9_SI_JZNS1_25segmented_radix_sort_implINS0_14default_configELb0EPK6__halfPSP_PKlPlN2at6native12_GLOBAL__N_18offset_tEEE10hipError_tPvRmT1_PNSt15iterator_traitsIS13_E10value_typeET2_T3_PNS14_IS19_E10value_typeET4_jRbjT5_S1F_jjP12ihipStream_tbEUljE_ZNSN_ISO_Lb0ESR_SS_SU_SV_SZ_EES10_S11_S12_S13_S17_S18_S19_S1C_S1D_jS1E_jS1F_S1F_jjS1H_bEUljE0_EEES10_S11_S12_S19_S1D_S1F_T6_T7_T9_mT8_S1H_bDpT10_ENKUlT_T0_E_clISt17integral_constantIbLb1EES1U_IbLb0EEEEDaS1Q_S1R_EUlS1Q_E_NS1_11comp_targetILNS1_3genE0ELNS1_11target_archE4294967295ELNS1_3gpuE0ELNS1_3repE0EEENS1_30default_config_static_selectorELNS0_4arch9wavefront6targetE0EEEvS13_: ; @_ZN7rocprim17ROCPRIM_400000_NS6detail17trampoline_kernelINS0_13select_configILj256ELj13ELNS0_17block_load_methodE3ELS4_3ELS4_3ELNS0_20block_scan_algorithmE0ELj4294967295EEENS1_25partition_config_selectorILNS1_17partition_subalgoE4EjNS0_10empty_typeEbEEZZNS1_14partition_implILS8_4ELb0ES6_15HIP_vector_typeIjLj2EENS0_17counting_iteratorIjlEEPS9_SG_NS0_5tupleIJPjSI_NS0_16reverse_iteratorISI_EEEEENSH_IJSG_SG_SG_EEES9_SI_JZNS1_25segmented_radix_sort_implINS0_14default_configELb0EPK6__halfPSP_PKlPlN2at6native12_GLOBAL__N_18offset_tEEE10hipError_tPvRmT1_PNSt15iterator_traitsIS13_E10value_typeET2_T3_PNS14_IS19_E10value_typeET4_jRbjT5_S1F_jjP12ihipStream_tbEUljE_ZNSN_ISO_Lb0ESR_SS_SU_SV_SZ_EES10_S11_S12_S13_S17_S18_S19_S1C_S1D_jS1E_jS1F_S1F_jjS1H_bEUljE0_EEES10_S11_S12_S19_S1D_S1F_T6_T7_T9_mT8_S1H_bDpT10_ENKUlT_T0_E_clISt17integral_constantIbLb1EES1U_IbLb0EEEEDaS1Q_S1R_EUlS1Q_E_NS1_11comp_targetILNS1_3genE0ELNS1_11target_archE4294967295ELNS1_3gpuE0ELNS1_3repE0EEENS1_30default_config_static_selectorELNS0_4arch9wavefront6targetE0EEEvS13_
; %bb.0:
	.section	.rodata,"a",@progbits
	.p2align	6, 0x0
	.amdhsa_kernel _ZN7rocprim17ROCPRIM_400000_NS6detail17trampoline_kernelINS0_13select_configILj256ELj13ELNS0_17block_load_methodE3ELS4_3ELS4_3ELNS0_20block_scan_algorithmE0ELj4294967295EEENS1_25partition_config_selectorILNS1_17partition_subalgoE4EjNS0_10empty_typeEbEEZZNS1_14partition_implILS8_4ELb0ES6_15HIP_vector_typeIjLj2EENS0_17counting_iteratorIjlEEPS9_SG_NS0_5tupleIJPjSI_NS0_16reverse_iteratorISI_EEEEENSH_IJSG_SG_SG_EEES9_SI_JZNS1_25segmented_radix_sort_implINS0_14default_configELb0EPK6__halfPSP_PKlPlN2at6native12_GLOBAL__N_18offset_tEEE10hipError_tPvRmT1_PNSt15iterator_traitsIS13_E10value_typeET2_T3_PNS14_IS19_E10value_typeET4_jRbjT5_S1F_jjP12ihipStream_tbEUljE_ZNSN_ISO_Lb0ESR_SS_SU_SV_SZ_EES10_S11_S12_S13_S17_S18_S19_S1C_S1D_jS1E_jS1F_S1F_jjS1H_bEUljE0_EEES10_S11_S12_S19_S1D_S1F_T6_T7_T9_mT8_S1H_bDpT10_ENKUlT_T0_E_clISt17integral_constantIbLb1EES1U_IbLb0EEEEDaS1Q_S1R_EUlS1Q_E_NS1_11comp_targetILNS1_3genE0ELNS1_11target_archE4294967295ELNS1_3gpuE0ELNS1_3repE0EEENS1_30default_config_static_selectorELNS0_4arch9wavefront6targetE0EEEvS13_
		.amdhsa_group_segment_fixed_size 0
		.amdhsa_private_segment_fixed_size 0
		.amdhsa_kernarg_size 176
		.amdhsa_user_sgpr_count 2
		.amdhsa_user_sgpr_dispatch_ptr 0
		.amdhsa_user_sgpr_queue_ptr 0
		.amdhsa_user_sgpr_kernarg_segment_ptr 1
		.amdhsa_user_sgpr_dispatch_id 0
		.amdhsa_user_sgpr_private_segment_size 0
		.amdhsa_wavefront_size32 1
		.amdhsa_uses_dynamic_stack 0
		.amdhsa_enable_private_segment 0
		.amdhsa_system_sgpr_workgroup_id_x 1
		.amdhsa_system_sgpr_workgroup_id_y 0
		.amdhsa_system_sgpr_workgroup_id_z 0
		.amdhsa_system_sgpr_workgroup_info 0
		.amdhsa_system_vgpr_workitem_id 0
		.amdhsa_next_free_vgpr 1
		.amdhsa_next_free_sgpr 1
		.amdhsa_reserve_vcc 0
		.amdhsa_float_round_mode_32 0
		.amdhsa_float_round_mode_16_64 0
		.amdhsa_float_denorm_mode_32 3
		.amdhsa_float_denorm_mode_16_64 3
		.amdhsa_fp16_overflow 0
		.amdhsa_workgroup_processor_mode 1
		.amdhsa_memory_ordered 1
		.amdhsa_forward_progress 1
		.amdhsa_inst_pref_size 0
		.amdhsa_round_robin_scheduling 0
		.amdhsa_exception_fp_ieee_invalid_op 0
		.amdhsa_exception_fp_denorm_src 0
		.amdhsa_exception_fp_ieee_div_zero 0
		.amdhsa_exception_fp_ieee_overflow 0
		.amdhsa_exception_fp_ieee_underflow 0
		.amdhsa_exception_fp_ieee_inexact 0
		.amdhsa_exception_int_div_zero 0
	.end_amdhsa_kernel
	.section	.text._ZN7rocprim17ROCPRIM_400000_NS6detail17trampoline_kernelINS0_13select_configILj256ELj13ELNS0_17block_load_methodE3ELS4_3ELS4_3ELNS0_20block_scan_algorithmE0ELj4294967295EEENS1_25partition_config_selectorILNS1_17partition_subalgoE4EjNS0_10empty_typeEbEEZZNS1_14partition_implILS8_4ELb0ES6_15HIP_vector_typeIjLj2EENS0_17counting_iteratorIjlEEPS9_SG_NS0_5tupleIJPjSI_NS0_16reverse_iteratorISI_EEEEENSH_IJSG_SG_SG_EEES9_SI_JZNS1_25segmented_radix_sort_implINS0_14default_configELb0EPK6__halfPSP_PKlPlN2at6native12_GLOBAL__N_18offset_tEEE10hipError_tPvRmT1_PNSt15iterator_traitsIS13_E10value_typeET2_T3_PNS14_IS19_E10value_typeET4_jRbjT5_S1F_jjP12ihipStream_tbEUljE_ZNSN_ISO_Lb0ESR_SS_SU_SV_SZ_EES10_S11_S12_S13_S17_S18_S19_S1C_S1D_jS1E_jS1F_S1F_jjS1H_bEUljE0_EEES10_S11_S12_S19_S1D_S1F_T6_T7_T9_mT8_S1H_bDpT10_ENKUlT_T0_E_clISt17integral_constantIbLb1EES1U_IbLb0EEEEDaS1Q_S1R_EUlS1Q_E_NS1_11comp_targetILNS1_3genE0ELNS1_11target_archE4294967295ELNS1_3gpuE0ELNS1_3repE0EEENS1_30default_config_static_selectorELNS0_4arch9wavefront6targetE0EEEvS13_,"axG",@progbits,_ZN7rocprim17ROCPRIM_400000_NS6detail17trampoline_kernelINS0_13select_configILj256ELj13ELNS0_17block_load_methodE3ELS4_3ELS4_3ELNS0_20block_scan_algorithmE0ELj4294967295EEENS1_25partition_config_selectorILNS1_17partition_subalgoE4EjNS0_10empty_typeEbEEZZNS1_14partition_implILS8_4ELb0ES6_15HIP_vector_typeIjLj2EENS0_17counting_iteratorIjlEEPS9_SG_NS0_5tupleIJPjSI_NS0_16reverse_iteratorISI_EEEEENSH_IJSG_SG_SG_EEES9_SI_JZNS1_25segmented_radix_sort_implINS0_14default_configELb0EPK6__halfPSP_PKlPlN2at6native12_GLOBAL__N_18offset_tEEE10hipError_tPvRmT1_PNSt15iterator_traitsIS13_E10value_typeET2_T3_PNS14_IS19_E10value_typeET4_jRbjT5_S1F_jjP12ihipStream_tbEUljE_ZNSN_ISO_Lb0ESR_SS_SU_SV_SZ_EES10_S11_S12_S13_S17_S18_S19_S1C_S1D_jS1E_jS1F_S1F_jjS1H_bEUljE0_EEES10_S11_S12_S19_S1D_S1F_T6_T7_T9_mT8_S1H_bDpT10_ENKUlT_T0_E_clISt17integral_constantIbLb1EES1U_IbLb0EEEEDaS1Q_S1R_EUlS1Q_E_NS1_11comp_targetILNS1_3genE0ELNS1_11target_archE4294967295ELNS1_3gpuE0ELNS1_3repE0EEENS1_30default_config_static_selectorELNS0_4arch9wavefront6targetE0EEEvS13_,comdat
.Lfunc_end1794:
	.size	_ZN7rocprim17ROCPRIM_400000_NS6detail17trampoline_kernelINS0_13select_configILj256ELj13ELNS0_17block_load_methodE3ELS4_3ELS4_3ELNS0_20block_scan_algorithmE0ELj4294967295EEENS1_25partition_config_selectorILNS1_17partition_subalgoE4EjNS0_10empty_typeEbEEZZNS1_14partition_implILS8_4ELb0ES6_15HIP_vector_typeIjLj2EENS0_17counting_iteratorIjlEEPS9_SG_NS0_5tupleIJPjSI_NS0_16reverse_iteratorISI_EEEEENSH_IJSG_SG_SG_EEES9_SI_JZNS1_25segmented_radix_sort_implINS0_14default_configELb0EPK6__halfPSP_PKlPlN2at6native12_GLOBAL__N_18offset_tEEE10hipError_tPvRmT1_PNSt15iterator_traitsIS13_E10value_typeET2_T3_PNS14_IS19_E10value_typeET4_jRbjT5_S1F_jjP12ihipStream_tbEUljE_ZNSN_ISO_Lb0ESR_SS_SU_SV_SZ_EES10_S11_S12_S13_S17_S18_S19_S1C_S1D_jS1E_jS1F_S1F_jjS1H_bEUljE0_EEES10_S11_S12_S19_S1D_S1F_T6_T7_T9_mT8_S1H_bDpT10_ENKUlT_T0_E_clISt17integral_constantIbLb1EES1U_IbLb0EEEEDaS1Q_S1R_EUlS1Q_E_NS1_11comp_targetILNS1_3genE0ELNS1_11target_archE4294967295ELNS1_3gpuE0ELNS1_3repE0EEENS1_30default_config_static_selectorELNS0_4arch9wavefront6targetE0EEEvS13_, .Lfunc_end1794-_ZN7rocprim17ROCPRIM_400000_NS6detail17trampoline_kernelINS0_13select_configILj256ELj13ELNS0_17block_load_methodE3ELS4_3ELS4_3ELNS0_20block_scan_algorithmE0ELj4294967295EEENS1_25partition_config_selectorILNS1_17partition_subalgoE4EjNS0_10empty_typeEbEEZZNS1_14partition_implILS8_4ELb0ES6_15HIP_vector_typeIjLj2EENS0_17counting_iteratorIjlEEPS9_SG_NS0_5tupleIJPjSI_NS0_16reverse_iteratorISI_EEEEENSH_IJSG_SG_SG_EEES9_SI_JZNS1_25segmented_radix_sort_implINS0_14default_configELb0EPK6__halfPSP_PKlPlN2at6native12_GLOBAL__N_18offset_tEEE10hipError_tPvRmT1_PNSt15iterator_traitsIS13_E10value_typeET2_T3_PNS14_IS19_E10value_typeET4_jRbjT5_S1F_jjP12ihipStream_tbEUljE_ZNSN_ISO_Lb0ESR_SS_SU_SV_SZ_EES10_S11_S12_S13_S17_S18_S19_S1C_S1D_jS1E_jS1F_S1F_jjS1H_bEUljE0_EEES10_S11_S12_S19_S1D_S1F_T6_T7_T9_mT8_S1H_bDpT10_ENKUlT_T0_E_clISt17integral_constantIbLb1EES1U_IbLb0EEEEDaS1Q_S1R_EUlS1Q_E_NS1_11comp_targetILNS1_3genE0ELNS1_11target_archE4294967295ELNS1_3gpuE0ELNS1_3repE0EEENS1_30default_config_static_selectorELNS0_4arch9wavefront6targetE0EEEvS13_
                                        ; -- End function
	.set _ZN7rocprim17ROCPRIM_400000_NS6detail17trampoline_kernelINS0_13select_configILj256ELj13ELNS0_17block_load_methodE3ELS4_3ELS4_3ELNS0_20block_scan_algorithmE0ELj4294967295EEENS1_25partition_config_selectorILNS1_17partition_subalgoE4EjNS0_10empty_typeEbEEZZNS1_14partition_implILS8_4ELb0ES6_15HIP_vector_typeIjLj2EENS0_17counting_iteratorIjlEEPS9_SG_NS0_5tupleIJPjSI_NS0_16reverse_iteratorISI_EEEEENSH_IJSG_SG_SG_EEES9_SI_JZNS1_25segmented_radix_sort_implINS0_14default_configELb0EPK6__halfPSP_PKlPlN2at6native12_GLOBAL__N_18offset_tEEE10hipError_tPvRmT1_PNSt15iterator_traitsIS13_E10value_typeET2_T3_PNS14_IS19_E10value_typeET4_jRbjT5_S1F_jjP12ihipStream_tbEUljE_ZNSN_ISO_Lb0ESR_SS_SU_SV_SZ_EES10_S11_S12_S13_S17_S18_S19_S1C_S1D_jS1E_jS1F_S1F_jjS1H_bEUljE0_EEES10_S11_S12_S19_S1D_S1F_T6_T7_T9_mT8_S1H_bDpT10_ENKUlT_T0_E_clISt17integral_constantIbLb1EES1U_IbLb0EEEEDaS1Q_S1R_EUlS1Q_E_NS1_11comp_targetILNS1_3genE0ELNS1_11target_archE4294967295ELNS1_3gpuE0ELNS1_3repE0EEENS1_30default_config_static_selectorELNS0_4arch9wavefront6targetE0EEEvS13_.num_vgpr, 0
	.set _ZN7rocprim17ROCPRIM_400000_NS6detail17trampoline_kernelINS0_13select_configILj256ELj13ELNS0_17block_load_methodE3ELS4_3ELS4_3ELNS0_20block_scan_algorithmE0ELj4294967295EEENS1_25partition_config_selectorILNS1_17partition_subalgoE4EjNS0_10empty_typeEbEEZZNS1_14partition_implILS8_4ELb0ES6_15HIP_vector_typeIjLj2EENS0_17counting_iteratorIjlEEPS9_SG_NS0_5tupleIJPjSI_NS0_16reverse_iteratorISI_EEEEENSH_IJSG_SG_SG_EEES9_SI_JZNS1_25segmented_radix_sort_implINS0_14default_configELb0EPK6__halfPSP_PKlPlN2at6native12_GLOBAL__N_18offset_tEEE10hipError_tPvRmT1_PNSt15iterator_traitsIS13_E10value_typeET2_T3_PNS14_IS19_E10value_typeET4_jRbjT5_S1F_jjP12ihipStream_tbEUljE_ZNSN_ISO_Lb0ESR_SS_SU_SV_SZ_EES10_S11_S12_S13_S17_S18_S19_S1C_S1D_jS1E_jS1F_S1F_jjS1H_bEUljE0_EEES10_S11_S12_S19_S1D_S1F_T6_T7_T9_mT8_S1H_bDpT10_ENKUlT_T0_E_clISt17integral_constantIbLb1EES1U_IbLb0EEEEDaS1Q_S1R_EUlS1Q_E_NS1_11comp_targetILNS1_3genE0ELNS1_11target_archE4294967295ELNS1_3gpuE0ELNS1_3repE0EEENS1_30default_config_static_selectorELNS0_4arch9wavefront6targetE0EEEvS13_.num_agpr, 0
	.set _ZN7rocprim17ROCPRIM_400000_NS6detail17trampoline_kernelINS0_13select_configILj256ELj13ELNS0_17block_load_methodE3ELS4_3ELS4_3ELNS0_20block_scan_algorithmE0ELj4294967295EEENS1_25partition_config_selectorILNS1_17partition_subalgoE4EjNS0_10empty_typeEbEEZZNS1_14partition_implILS8_4ELb0ES6_15HIP_vector_typeIjLj2EENS0_17counting_iteratorIjlEEPS9_SG_NS0_5tupleIJPjSI_NS0_16reverse_iteratorISI_EEEEENSH_IJSG_SG_SG_EEES9_SI_JZNS1_25segmented_radix_sort_implINS0_14default_configELb0EPK6__halfPSP_PKlPlN2at6native12_GLOBAL__N_18offset_tEEE10hipError_tPvRmT1_PNSt15iterator_traitsIS13_E10value_typeET2_T3_PNS14_IS19_E10value_typeET4_jRbjT5_S1F_jjP12ihipStream_tbEUljE_ZNSN_ISO_Lb0ESR_SS_SU_SV_SZ_EES10_S11_S12_S13_S17_S18_S19_S1C_S1D_jS1E_jS1F_S1F_jjS1H_bEUljE0_EEES10_S11_S12_S19_S1D_S1F_T6_T7_T9_mT8_S1H_bDpT10_ENKUlT_T0_E_clISt17integral_constantIbLb1EES1U_IbLb0EEEEDaS1Q_S1R_EUlS1Q_E_NS1_11comp_targetILNS1_3genE0ELNS1_11target_archE4294967295ELNS1_3gpuE0ELNS1_3repE0EEENS1_30default_config_static_selectorELNS0_4arch9wavefront6targetE0EEEvS13_.numbered_sgpr, 0
	.set _ZN7rocprim17ROCPRIM_400000_NS6detail17trampoline_kernelINS0_13select_configILj256ELj13ELNS0_17block_load_methodE3ELS4_3ELS4_3ELNS0_20block_scan_algorithmE0ELj4294967295EEENS1_25partition_config_selectorILNS1_17partition_subalgoE4EjNS0_10empty_typeEbEEZZNS1_14partition_implILS8_4ELb0ES6_15HIP_vector_typeIjLj2EENS0_17counting_iteratorIjlEEPS9_SG_NS0_5tupleIJPjSI_NS0_16reverse_iteratorISI_EEEEENSH_IJSG_SG_SG_EEES9_SI_JZNS1_25segmented_radix_sort_implINS0_14default_configELb0EPK6__halfPSP_PKlPlN2at6native12_GLOBAL__N_18offset_tEEE10hipError_tPvRmT1_PNSt15iterator_traitsIS13_E10value_typeET2_T3_PNS14_IS19_E10value_typeET4_jRbjT5_S1F_jjP12ihipStream_tbEUljE_ZNSN_ISO_Lb0ESR_SS_SU_SV_SZ_EES10_S11_S12_S13_S17_S18_S19_S1C_S1D_jS1E_jS1F_S1F_jjS1H_bEUljE0_EEES10_S11_S12_S19_S1D_S1F_T6_T7_T9_mT8_S1H_bDpT10_ENKUlT_T0_E_clISt17integral_constantIbLb1EES1U_IbLb0EEEEDaS1Q_S1R_EUlS1Q_E_NS1_11comp_targetILNS1_3genE0ELNS1_11target_archE4294967295ELNS1_3gpuE0ELNS1_3repE0EEENS1_30default_config_static_selectorELNS0_4arch9wavefront6targetE0EEEvS13_.num_named_barrier, 0
	.set _ZN7rocprim17ROCPRIM_400000_NS6detail17trampoline_kernelINS0_13select_configILj256ELj13ELNS0_17block_load_methodE3ELS4_3ELS4_3ELNS0_20block_scan_algorithmE0ELj4294967295EEENS1_25partition_config_selectorILNS1_17partition_subalgoE4EjNS0_10empty_typeEbEEZZNS1_14partition_implILS8_4ELb0ES6_15HIP_vector_typeIjLj2EENS0_17counting_iteratorIjlEEPS9_SG_NS0_5tupleIJPjSI_NS0_16reverse_iteratorISI_EEEEENSH_IJSG_SG_SG_EEES9_SI_JZNS1_25segmented_radix_sort_implINS0_14default_configELb0EPK6__halfPSP_PKlPlN2at6native12_GLOBAL__N_18offset_tEEE10hipError_tPvRmT1_PNSt15iterator_traitsIS13_E10value_typeET2_T3_PNS14_IS19_E10value_typeET4_jRbjT5_S1F_jjP12ihipStream_tbEUljE_ZNSN_ISO_Lb0ESR_SS_SU_SV_SZ_EES10_S11_S12_S13_S17_S18_S19_S1C_S1D_jS1E_jS1F_S1F_jjS1H_bEUljE0_EEES10_S11_S12_S19_S1D_S1F_T6_T7_T9_mT8_S1H_bDpT10_ENKUlT_T0_E_clISt17integral_constantIbLb1EES1U_IbLb0EEEEDaS1Q_S1R_EUlS1Q_E_NS1_11comp_targetILNS1_3genE0ELNS1_11target_archE4294967295ELNS1_3gpuE0ELNS1_3repE0EEENS1_30default_config_static_selectorELNS0_4arch9wavefront6targetE0EEEvS13_.private_seg_size, 0
	.set _ZN7rocprim17ROCPRIM_400000_NS6detail17trampoline_kernelINS0_13select_configILj256ELj13ELNS0_17block_load_methodE3ELS4_3ELS4_3ELNS0_20block_scan_algorithmE0ELj4294967295EEENS1_25partition_config_selectorILNS1_17partition_subalgoE4EjNS0_10empty_typeEbEEZZNS1_14partition_implILS8_4ELb0ES6_15HIP_vector_typeIjLj2EENS0_17counting_iteratorIjlEEPS9_SG_NS0_5tupleIJPjSI_NS0_16reverse_iteratorISI_EEEEENSH_IJSG_SG_SG_EEES9_SI_JZNS1_25segmented_radix_sort_implINS0_14default_configELb0EPK6__halfPSP_PKlPlN2at6native12_GLOBAL__N_18offset_tEEE10hipError_tPvRmT1_PNSt15iterator_traitsIS13_E10value_typeET2_T3_PNS14_IS19_E10value_typeET4_jRbjT5_S1F_jjP12ihipStream_tbEUljE_ZNSN_ISO_Lb0ESR_SS_SU_SV_SZ_EES10_S11_S12_S13_S17_S18_S19_S1C_S1D_jS1E_jS1F_S1F_jjS1H_bEUljE0_EEES10_S11_S12_S19_S1D_S1F_T6_T7_T9_mT8_S1H_bDpT10_ENKUlT_T0_E_clISt17integral_constantIbLb1EES1U_IbLb0EEEEDaS1Q_S1R_EUlS1Q_E_NS1_11comp_targetILNS1_3genE0ELNS1_11target_archE4294967295ELNS1_3gpuE0ELNS1_3repE0EEENS1_30default_config_static_selectorELNS0_4arch9wavefront6targetE0EEEvS13_.uses_vcc, 0
	.set _ZN7rocprim17ROCPRIM_400000_NS6detail17trampoline_kernelINS0_13select_configILj256ELj13ELNS0_17block_load_methodE3ELS4_3ELS4_3ELNS0_20block_scan_algorithmE0ELj4294967295EEENS1_25partition_config_selectorILNS1_17partition_subalgoE4EjNS0_10empty_typeEbEEZZNS1_14partition_implILS8_4ELb0ES6_15HIP_vector_typeIjLj2EENS0_17counting_iteratorIjlEEPS9_SG_NS0_5tupleIJPjSI_NS0_16reverse_iteratorISI_EEEEENSH_IJSG_SG_SG_EEES9_SI_JZNS1_25segmented_radix_sort_implINS0_14default_configELb0EPK6__halfPSP_PKlPlN2at6native12_GLOBAL__N_18offset_tEEE10hipError_tPvRmT1_PNSt15iterator_traitsIS13_E10value_typeET2_T3_PNS14_IS19_E10value_typeET4_jRbjT5_S1F_jjP12ihipStream_tbEUljE_ZNSN_ISO_Lb0ESR_SS_SU_SV_SZ_EES10_S11_S12_S13_S17_S18_S19_S1C_S1D_jS1E_jS1F_S1F_jjS1H_bEUljE0_EEES10_S11_S12_S19_S1D_S1F_T6_T7_T9_mT8_S1H_bDpT10_ENKUlT_T0_E_clISt17integral_constantIbLb1EES1U_IbLb0EEEEDaS1Q_S1R_EUlS1Q_E_NS1_11comp_targetILNS1_3genE0ELNS1_11target_archE4294967295ELNS1_3gpuE0ELNS1_3repE0EEENS1_30default_config_static_selectorELNS0_4arch9wavefront6targetE0EEEvS13_.uses_flat_scratch, 0
	.set _ZN7rocprim17ROCPRIM_400000_NS6detail17trampoline_kernelINS0_13select_configILj256ELj13ELNS0_17block_load_methodE3ELS4_3ELS4_3ELNS0_20block_scan_algorithmE0ELj4294967295EEENS1_25partition_config_selectorILNS1_17partition_subalgoE4EjNS0_10empty_typeEbEEZZNS1_14partition_implILS8_4ELb0ES6_15HIP_vector_typeIjLj2EENS0_17counting_iteratorIjlEEPS9_SG_NS0_5tupleIJPjSI_NS0_16reverse_iteratorISI_EEEEENSH_IJSG_SG_SG_EEES9_SI_JZNS1_25segmented_radix_sort_implINS0_14default_configELb0EPK6__halfPSP_PKlPlN2at6native12_GLOBAL__N_18offset_tEEE10hipError_tPvRmT1_PNSt15iterator_traitsIS13_E10value_typeET2_T3_PNS14_IS19_E10value_typeET4_jRbjT5_S1F_jjP12ihipStream_tbEUljE_ZNSN_ISO_Lb0ESR_SS_SU_SV_SZ_EES10_S11_S12_S13_S17_S18_S19_S1C_S1D_jS1E_jS1F_S1F_jjS1H_bEUljE0_EEES10_S11_S12_S19_S1D_S1F_T6_T7_T9_mT8_S1H_bDpT10_ENKUlT_T0_E_clISt17integral_constantIbLb1EES1U_IbLb0EEEEDaS1Q_S1R_EUlS1Q_E_NS1_11comp_targetILNS1_3genE0ELNS1_11target_archE4294967295ELNS1_3gpuE0ELNS1_3repE0EEENS1_30default_config_static_selectorELNS0_4arch9wavefront6targetE0EEEvS13_.has_dyn_sized_stack, 0
	.set _ZN7rocprim17ROCPRIM_400000_NS6detail17trampoline_kernelINS0_13select_configILj256ELj13ELNS0_17block_load_methodE3ELS4_3ELS4_3ELNS0_20block_scan_algorithmE0ELj4294967295EEENS1_25partition_config_selectorILNS1_17partition_subalgoE4EjNS0_10empty_typeEbEEZZNS1_14partition_implILS8_4ELb0ES6_15HIP_vector_typeIjLj2EENS0_17counting_iteratorIjlEEPS9_SG_NS0_5tupleIJPjSI_NS0_16reverse_iteratorISI_EEEEENSH_IJSG_SG_SG_EEES9_SI_JZNS1_25segmented_radix_sort_implINS0_14default_configELb0EPK6__halfPSP_PKlPlN2at6native12_GLOBAL__N_18offset_tEEE10hipError_tPvRmT1_PNSt15iterator_traitsIS13_E10value_typeET2_T3_PNS14_IS19_E10value_typeET4_jRbjT5_S1F_jjP12ihipStream_tbEUljE_ZNSN_ISO_Lb0ESR_SS_SU_SV_SZ_EES10_S11_S12_S13_S17_S18_S19_S1C_S1D_jS1E_jS1F_S1F_jjS1H_bEUljE0_EEES10_S11_S12_S19_S1D_S1F_T6_T7_T9_mT8_S1H_bDpT10_ENKUlT_T0_E_clISt17integral_constantIbLb1EES1U_IbLb0EEEEDaS1Q_S1R_EUlS1Q_E_NS1_11comp_targetILNS1_3genE0ELNS1_11target_archE4294967295ELNS1_3gpuE0ELNS1_3repE0EEENS1_30default_config_static_selectorELNS0_4arch9wavefront6targetE0EEEvS13_.has_recursion, 0
	.set _ZN7rocprim17ROCPRIM_400000_NS6detail17trampoline_kernelINS0_13select_configILj256ELj13ELNS0_17block_load_methodE3ELS4_3ELS4_3ELNS0_20block_scan_algorithmE0ELj4294967295EEENS1_25partition_config_selectorILNS1_17partition_subalgoE4EjNS0_10empty_typeEbEEZZNS1_14partition_implILS8_4ELb0ES6_15HIP_vector_typeIjLj2EENS0_17counting_iteratorIjlEEPS9_SG_NS0_5tupleIJPjSI_NS0_16reverse_iteratorISI_EEEEENSH_IJSG_SG_SG_EEES9_SI_JZNS1_25segmented_radix_sort_implINS0_14default_configELb0EPK6__halfPSP_PKlPlN2at6native12_GLOBAL__N_18offset_tEEE10hipError_tPvRmT1_PNSt15iterator_traitsIS13_E10value_typeET2_T3_PNS14_IS19_E10value_typeET4_jRbjT5_S1F_jjP12ihipStream_tbEUljE_ZNSN_ISO_Lb0ESR_SS_SU_SV_SZ_EES10_S11_S12_S13_S17_S18_S19_S1C_S1D_jS1E_jS1F_S1F_jjS1H_bEUljE0_EEES10_S11_S12_S19_S1D_S1F_T6_T7_T9_mT8_S1H_bDpT10_ENKUlT_T0_E_clISt17integral_constantIbLb1EES1U_IbLb0EEEEDaS1Q_S1R_EUlS1Q_E_NS1_11comp_targetILNS1_3genE0ELNS1_11target_archE4294967295ELNS1_3gpuE0ELNS1_3repE0EEENS1_30default_config_static_selectorELNS0_4arch9wavefront6targetE0EEEvS13_.has_indirect_call, 0
	.section	.AMDGPU.csdata,"",@progbits
; Kernel info:
; codeLenInByte = 0
; TotalNumSgprs: 0
; NumVgprs: 0
; ScratchSize: 0
; MemoryBound: 0
; FloatMode: 240
; IeeeMode: 1
; LDSByteSize: 0 bytes/workgroup (compile time only)
; SGPRBlocks: 0
; VGPRBlocks: 0
; NumSGPRsForWavesPerEU: 1
; NumVGPRsForWavesPerEU: 1
; Occupancy: 16
; WaveLimiterHint : 0
; COMPUTE_PGM_RSRC2:SCRATCH_EN: 0
; COMPUTE_PGM_RSRC2:USER_SGPR: 2
; COMPUTE_PGM_RSRC2:TRAP_HANDLER: 0
; COMPUTE_PGM_RSRC2:TGID_X_EN: 1
; COMPUTE_PGM_RSRC2:TGID_Y_EN: 0
; COMPUTE_PGM_RSRC2:TGID_Z_EN: 0
; COMPUTE_PGM_RSRC2:TIDIG_COMP_CNT: 0
	.section	.text._ZN7rocprim17ROCPRIM_400000_NS6detail17trampoline_kernelINS0_13select_configILj256ELj13ELNS0_17block_load_methodE3ELS4_3ELS4_3ELNS0_20block_scan_algorithmE0ELj4294967295EEENS1_25partition_config_selectorILNS1_17partition_subalgoE4EjNS0_10empty_typeEbEEZZNS1_14partition_implILS8_4ELb0ES6_15HIP_vector_typeIjLj2EENS0_17counting_iteratorIjlEEPS9_SG_NS0_5tupleIJPjSI_NS0_16reverse_iteratorISI_EEEEENSH_IJSG_SG_SG_EEES9_SI_JZNS1_25segmented_radix_sort_implINS0_14default_configELb0EPK6__halfPSP_PKlPlN2at6native12_GLOBAL__N_18offset_tEEE10hipError_tPvRmT1_PNSt15iterator_traitsIS13_E10value_typeET2_T3_PNS14_IS19_E10value_typeET4_jRbjT5_S1F_jjP12ihipStream_tbEUljE_ZNSN_ISO_Lb0ESR_SS_SU_SV_SZ_EES10_S11_S12_S13_S17_S18_S19_S1C_S1D_jS1E_jS1F_S1F_jjS1H_bEUljE0_EEES10_S11_S12_S19_S1D_S1F_T6_T7_T9_mT8_S1H_bDpT10_ENKUlT_T0_E_clISt17integral_constantIbLb1EES1U_IbLb0EEEEDaS1Q_S1R_EUlS1Q_E_NS1_11comp_targetILNS1_3genE5ELNS1_11target_archE942ELNS1_3gpuE9ELNS1_3repE0EEENS1_30default_config_static_selectorELNS0_4arch9wavefront6targetE0EEEvS13_,"axG",@progbits,_ZN7rocprim17ROCPRIM_400000_NS6detail17trampoline_kernelINS0_13select_configILj256ELj13ELNS0_17block_load_methodE3ELS4_3ELS4_3ELNS0_20block_scan_algorithmE0ELj4294967295EEENS1_25partition_config_selectorILNS1_17partition_subalgoE4EjNS0_10empty_typeEbEEZZNS1_14partition_implILS8_4ELb0ES6_15HIP_vector_typeIjLj2EENS0_17counting_iteratorIjlEEPS9_SG_NS0_5tupleIJPjSI_NS0_16reverse_iteratorISI_EEEEENSH_IJSG_SG_SG_EEES9_SI_JZNS1_25segmented_radix_sort_implINS0_14default_configELb0EPK6__halfPSP_PKlPlN2at6native12_GLOBAL__N_18offset_tEEE10hipError_tPvRmT1_PNSt15iterator_traitsIS13_E10value_typeET2_T3_PNS14_IS19_E10value_typeET4_jRbjT5_S1F_jjP12ihipStream_tbEUljE_ZNSN_ISO_Lb0ESR_SS_SU_SV_SZ_EES10_S11_S12_S13_S17_S18_S19_S1C_S1D_jS1E_jS1F_S1F_jjS1H_bEUljE0_EEES10_S11_S12_S19_S1D_S1F_T6_T7_T9_mT8_S1H_bDpT10_ENKUlT_T0_E_clISt17integral_constantIbLb1EES1U_IbLb0EEEEDaS1Q_S1R_EUlS1Q_E_NS1_11comp_targetILNS1_3genE5ELNS1_11target_archE942ELNS1_3gpuE9ELNS1_3repE0EEENS1_30default_config_static_selectorELNS0_4arch9wavefront6targetE0EEEvS13_,comdat
	.globl	_ZN7rocprim17ROCPRIM_400000_NS6detail17trampoline_kernelINS0_13select_configILj256ELj13ELNS0_17block_load_methodE3ELS4_3ELS4_3ELNS0_20block_scan_algorithmE0ELj4294967295EEENS1_25partition_config_selectorILNS1_17partition_subalgoE4EjNS0_10empty_typeEbEEZZNS1_14partition_implILS8_4ELb0ES6_15HIP_vector_typeIjLj2EENS0_17counting_iteratorIjlEEPS9_SG_NS0_5tupleIJPjSI_NS0_16reverse_iteratorISI_EEEEENSH_IJSG_SG_SG_EEES9_SI_JZNS1_25segmented_radix_sort_implINS0_14default_configELb0EPK6__halfPSP_PKlPlN2at6native12_GLOBAL__N_18offset_tEEE10hipError_tPvRmT1_PNSt15iterator_traitsIS13_E10value_typeET2_T3_PNS14_IS19_E10value_typeET4_jRbjT5_S1F_jjP12ihipStream_tbEUljE_ZNSN_ISO_Lb0ESR_SS_SU_SV_SZ_EES10_S11_S12_S13_S17_S18_S19_S1C_S1D_jS1E_jS1F_S1F_jjS1H_bEUljE0_EEES10_S11_S12_S19_S1D_S1F_T6_T7_T9_mT8_S1H_bDpT10_ENKUlT_T0_E_clISt17integral_constantIbLb1EES1U_IbLb0EEEEDaS1Q_S1R_EUlS1Q_E_NS1_11comp_targetILNS1_3genE5ELNS1_11target_archE942ELNS1_3gpuE9ELNS1_3repE0EEENS1_30default_config_static_selectorELNS0_4arch9wavefront6targetE0EEEvS13_ ; -- Begin function _ZN7rocprim17ROCPRIM_400000_NS6detail17trampoline_kernelINS0_13select_configILj256ELj13ELNS0_17block_load_methodE3ELS4_3ELS4_3ELNS0_20block_scan_algorithmE0ELj4294967295EEENS1_25partition_config_selectorILNS1_17partition_subalgoE4EjNS0_10empty_typeEbEEZZNS1_14partition_implILS8_4ELb0ES6_15HIP_vector_typeIjLj2EENS0_17counting_iteratorIjlEEPS9_SG_NS0_5tupleIJPjSI_NS0_16reverse_iteratorISI_EEEEENSH_IJSG_SG_SG_EEES9_SI_JZNS1_25segmented_radix_sort_implINS0_14default_configELb0EPK6__halfPSP_PKlPlN2at6native12_GLOBAL__N_18offset_tEEE10hipError_tPvRmT1_PNSt15iterator_traitsIS13_E10value_typeET2_T3_PNS14_IS19_E10value_typeET4_jRbjT5_S1F_jjP12ihipStream_tbEUljE_ZNSN_ISO_Lb0ESR_SS_SU_SV_SZ_EES10_S11_S12_S13_S17_S18_S19_S1C_S1D_jS1E_jS1F_S1F_jjS1H_bEUljE0_EEES10_S11_S12_S19_S1D_S1F_T6_T7_T9_mT8_S1H_bDpT10_ENKUlT_T0_E_clISt17integral_constantIbLb1EES1U_IbLb0EEEEDaS1Q_S1R_EUlS1Q_E_NS1_11comp_targetILNS1_3genE5ELNS1_11target_archE942ELNS1_3gpuE9ELNS1_3repE0EEENS1_30default_config_static_selectorELNS0_4arch9wavefront6targetE0EEEvS13_
	.p2align	8
	.type	_ZN7rocprim17ROCPRIM_400000_NS6detail17trampoline_kernelINS0_13select_configILj256ELj13ELNS0_17block_load_methodE3ELS4_3ELS4_3ELNS0_20block_scan_algorithmE0ELj4294967295EEENS1_25partition_config_selectorILNS1_17partition_subalgoE4EjNS0_10empty_typeEbEEZZNS1_14partition_implILS8_4ELb0ES6_15HIP_vector_typeIjLj2EENS0_17counting_iteratorIjlEEPS9_SG_NS0_5tupleIJPjSI_NS0_16reverse_iteratorISI_EEEEENSH_IJSG_SG_SG_EEES9_SI_JZNS1_25segmented_radix_sort_implINS0_14default_configELb0EPK6__halfPSP_PKlPlN2at6native12_GLOBAL__N_18offset_tEEE10hipError_tPvRmT1_PNSt15iterator_traitsIS13_E10value_typeET2_T3_PNS14_IS19_E10value_typeET4_jRbjT5_S1F_jjP12ihipStream_tbEUljE_ZNSN_ISO_Lb0ESR_SS_SU_SV_SZ_EES10_S11_S12_S13_S17_S18_S19_S1C_S1D_jS1E_jS1F_S1F_jjS1H_bEUljE0_EEES10_S11_S12_S19_S1D_S1F_T6_T7_T9_mT8_S1H_bDpT10_ENKUlT_T0_E_clISt17integral_constantIbLb1EES1U_IbLb0EEEEDaS1Q_S1R_EUlS1Q_E_NS1_11comp_targetILNS1_3genE5ELNS1_11target_archE942ELNS1_3gpuE9ELNS1_3repE0EEENS1_30default_config_static_selectorELNS0_4arch9wavefront6targetE0EEEvS13_,@function
_ZN7rocprim17ROCPRIM_400000_NS6detail17trampoline_kernelINS0_13select_configILj256ELj13ELNS0_17block_load_methodE3ELS4_3ELS4_3ELNS0_20block_scan_algorithmE0ELj4294967295EEENS1_25partition_config_selectorILNS1_17partition_subalgoE4EjNS0_10empty_typeEbEEZZNS1_14partition_implILS8_4ELb0ES6_15HIP_vector_typeIjLj2EENS0_17counting_iteratorIjlEEPS9_SG_NS0_5tupleIJPjSI_NS0_16reverse_iteratorISI_EEEEENSH_IJSG_SG_SG_EEES9_SI_JZNS1_25segmented_radix_sort_implINS0_14default_configELb0EPK6__halfPSP_PKlPlN2at6native12_GLOBAL__N_18offset_tEEE10hipError_tPvRmT1_PNSt15iterator_traitsIS13_E10value_typeET2_T3_PNS14_IS19_E10value_typeET4_jRbjT5_S1F_jjP12ihipStream_tbEUljE_ZNSN_ISO_Lb0ESR_SS_SU_SV_SZ_EES10_S11_S12_S13_S17_S18_S19_S1C_S1D_jS1E_jS1F_S1F_jjS1H_bEUljE0_EEES10_S11_S12_S19_S1D_S1F_T6_T7_T9_mT8_S1H_bDpT10_ENKUlT_T0_E_clISt17integral_constantIbLb1EES1U_IbLb0EEEEDaS1Q_S1R_EUlS1Q_E_NS1_11comp_targetILNS1_3genE5ELNS1_11target_archE942ELNS1_3gpuE9ELNS1_3repE0EEENS1_30default_config_static_selectorELNS0_4arch9wavefront6targetE0EEEvS13_: ; @_ZN7rocprim17ROCPRIM_400000_NS6detail17trampoline_kernelINS0_13select_configILj256ELj13ELNS0_17block_load_methodE3ELS4_3ELS4_3ELNS0_20block_scan_algorithmE0ELj4294967295EEENS1_25partition_config_selectorILNS1_17partition_subalgoE4EjNS0_10empty_typeEbEEZZNS1_14partition_implILS8_4ELb0ES6_15HIP_vector_typeIjLj2EENS0_17counting_iteratorIjlEEPS9_SG_NS0_5tupleIJPjSI_NS0_16reverse_iteratorISI_EEEEENSH_IJSG_SG_SG_EEES9_SI_JZNS1_25segmented_radix_sort_implINS0_14default_configELb0EPK6__halfPSP_PKlPlN2at6native12_GLOBAL__N_18offset_tEEE10hipError_tPvRmT1_PNSt15iterator_traitsIS13_E10value_typeET2_T3_PNS14_IS19_E10value_typeET4_jRbjT5_S1F_jjP12ihipStream_tbEUljE_ZNSN_ISO_Lb0ESR_SS_SU_SV_SZ_EES10_S11_S12_S13_S17_S18_S19_S1C_S1D_jS1E_jS1F_S1F_jjS1H_bEUljE0_EEES10_S11_S12_S19_S1D_S1F_T6_T7_T9_mT8_S1H_bDpT10_ENKUlT_T0_E_clISt17integral_constantIbLb1EES1U_IbLb0EEEEDaS1Q_S1R_EUlS1Q_E_NS1_11comp_targetILNS1_3genE5ELNS1_11target_archE942ELNS1_3gpuE9ELNS1_3repE0EEENS1_30default_config_static_selectorELNS0_4arch9wavefront6targetE0EEEvS13_
; %bb.0:
	.section	.rodata,"a",@progbits
	.p2align	6, 0x0
	.amdhsa_kernel _ZN7rocprim17ROCPRIM_400000_NS6detail17trampoline_kernelINS0_13select_configILj256ELj13ELNS0_17block_load_methodE3ELS4_3ELS4_3ELNS0_20block_scan_algorithmE0ELj4294967295EEENS1_25partition_config_selectorILNS1_17partition_subalgoE4EjNS0_10empty_typeEbEEZZNS1_14partition_implILS8_4ELb0ES6_15HIP_vector_typeIjLj2EENS0_17counting_iteratorIjlEEPS9_SG_NS0_5tupleIJPjSI_NS0_16reverse_iteratorISI_EEEEENSH_IJSG_SG_SG_EEES9_SI_JZNS1_25segmented_radix_sort_implINS0_14default_configELb0EPK6__halfPSP_PKlPlN2at6native12_GLOBAL__N_18offset_tEEE10hipError_tPvRmT1_PNSt15iterator_traitsIS13_E10value_typeET2_T3_PNS14_IS19_E10value_typeET4_jRbjT5_S1F_jjP12ihipStream_tbEUljE_ZNSN_ISO_Lb0ESR_SS_SU_SV_SZ_EES10_S11_S12_S13_S17_S18_S19_S1C_S1D_jS1E_jS1F_S1F_jjS1H_bEUljE0_EEES10_S11_S12_S19_S1D_S1F_T6_T7_T9_mT8_S1H_bDpT10_ENKUlT_T0_E_clISt17integral_constantIbLb1EES1U_IbLb0EEEEDaS1Q_S1R_EUlS1Q_E_NS1_11comp_targetILNS1_3genE5ELNS1_11target_archE942ELNS1_3gpuE9ELNS1_3repE0EEENS1_30default_config_static_selectorELNS0_4arch9wavefront6targetE0EEEvS13_
		.amdhsa_group_segment_fixed_size 0
		.amdhsa_private_segment_fixed_size 0
		.amdhsa_kernarg_size 176
		.amdhsa_user_sgpr_count 2
		.amdhsa_user_sgpr_dispatch_ptr 0
		.amdhsa_user_sgpr_queue_ptr 0
		.amdhsa_user_sgpr_kernarg_segment_ptr 1
		.amdhsa_user_sgpr_dispatch_id 0
		.amdhsa_user_sgpr_private_segment_size 0
		.amdhsa_wavefront_size32 1
		.amdhsa_uses_dynamic_stack 0
		.amdhsa_enable_private_segment 0
		.amdhsa_system_sgpr_workgroup_id_x 1
		.amdhsa_system_sgpr_workgroup_id_y 0
		.amdhsa_system_sgpr_workgroup_id_z 0
		.amdhsa_system_sgpr_workgroup_info 0
		.amdhsa_system_vgpr_workitem_id 0
		.amdhsa_next_free_vgpr 1
		.amdhsa_next_free_sgpr 1
		.amdhsa_reserve_vcc 0
		.amdhsa_float_round_mode_32 0
		.amdhsa_float_round_mode_16_64 0
		.amdhsa_float_denorm_mode_32 3
		.amdhsa_float_denorm_mode_16_64 3
		.amdhsa_fp16_overflow 0
		.amdhsa_workgroup_processor_mode 1
		.amdhsa_memory_ordered 1
		.amdhsa_forward_progress 1
		.amdhsa_inst_pref_size 0
		.amdhsa_round_robin_scheduling 0
		.amdhsa_exception_fp_ieee_invalid_op 0
		.amdhsa_exception_fp_denorm_src 0
		.amdhsa_exception_fp_ieee_div_zero 0
		.amdhsa_exception_fp_ieee_overflow 0
		.amdhsa_exception_fp_ieee_underflow 0
		.amdhsa_exception_fp_ieee_inexact 0
		.amdhsa_exception_int_div_zero 0
	.end_amdhsa_kernel
	.section	.text._ZN7rocprim17ROCPRIM_400000_NS6detail17trampoline_kernelINS0_13select_configILj256ELj13ELNS0_17block_load_methodE3ELS4_3ELS4_3ELNS0_20block_scan_algorithmE0ELj4294967295EEENS1_25partition_config_selectorILNS1_17partition_subalgoE4EjNS0_10empty_typeEbEEZZNS1_14partition_implILS8_4ELb0ES6_15HIP_vector_typeIjLj2EENS0_17counting_iteratorIjlEEPS9_SG_NS0_5tupleIJPjSI_NS0_16reverse_iteratorISI_EEEEENSH_IJSG_SG_SG_EEES9_SI_JZNS1_25segmented_radix_sort_implINS0_14default_configELb0EPK6__halfPSP_PKlPlN2at6native12_GLOBAL__N_18offset_tEEE10hipError_tPvRmT1_PNSt15iterator_traitsIS13_E10value_typeET2_T3_PNS14_IS19_E10value_typeET4_jRbjT5_S1F_jjP12ihipStream_tbEUljE_ZNSN_ISO_Lb0ESR_SS_SU_SV_SZ_EES10_S11_S12_S13_S17_S18_S19_S1C_S1D_jS1E_jS1F_S1F_jjS1H_bEUljE0_EEES10_S11_S12_S19_S1D_S1F_T6_T7_T9_mT8_S1H_bDpT10_ENKUlT_T0_E_clISt17integral_constantIbLb1EES1U_IbLb0EEEEDaS1Q_S1R_EUlS1Q_E_NS1_11comp_targetILNS1_3genE5ELNS1_11target_archE942ELNS1_3gpuE9ELNS1_3repE0EEENS1_30default_config_static_selectorELNS0_4arch9wavefront6targetE0EEEvS13_,"axG",@progbits,_ZN7rocprim17ROCPRIM_400000_NS6detail17trampoline_kernelINS0_13select_configILj256ELj13ELNS0_17block_load_methodE3ELS4_3ELS4_3ELNS0_20block_scan_algorithmE0ELj4294967295EEENS1_25partition_config_selectorILNS1_17partition_subalgoE4EjNS0_10empty_typeEbEEZZNS1_14partition_implILS8_4ELb0ES6_15HIP_vector_typeIjLj2EENS0_17counting_iteratorIjlEEPS9_SG_NS0_5tupleIJPjSI_NS0_16reverse_iteratorISI_EEEEENSH_IJSG_SG_SG_EEES9_SI_JZNS1_25segmented_radix_sort_implINS0_14default_configELb0EPK6__halfPSP_PKlPlN2at6native12_GLOBAL__N_18offset_tEEE10hipError_tPvRmT1_PNSt15iterator_traitsIS13_E10value_typeET2_T3_PNS14_IS19_E10value_typeET4_jRbjT5_S1F_jjP12ihipStream_tbEUljE_ZNSN_ISO_Lb0ESR_SS_SU_SV_SZ_EES10_S11_S12_S13_S17_S18_S19_S1C_S1D_jS1E_jS1F_S1F_jjS1H_bEUljE0_EEES10_S11_S12_S19_S1D_S1F_T6_T7_T9_mT8_S1H_bDpT10_ENKUlT_T0_E_clISt17integral_constantIbLb1EES1U_IbLb0EEEEDaS1Q_S1R_EUlS1Q_E_NS1_11comp_targetILNS1_3genE5ELNS1_11target_archE942ELNS1_3gpuE9ELNS1_3repE0EEENS1_30default_config_static_selectorELNS0_4arch9wavefront6targetE0EEEvS13_,comdat
.Lfunc_end1795:
	.size	_ZN7rocprim17ROCPRIM_400000_NS6detail17trampoline_kernelINS0_13select_configILj256ELj13ELNS0_17block_load_methodE3ELS4_3ELS4_3ELNS0_20block_scan_algorithmE0ELj4294967295EEENS1_25partition_config_selectorILNS1_17partition_subalgoE4EjNS0_10empty_typeEbEEZZNS1_14partition_implILS8_4ELb0ES6_15HIP_vector_typeIjLj2EENS0_17counting_iteratorIjlEEPS9_SG_NS0_5tupleIJPjSI_NS0_16reverse_iteratorISI_EEEEENSH_IJSG_SG_SG_EEES9_SI_JZNS1_25segmented_radix_sort_implINS0_14default_configELb0EPK6__halfPSP_PKlPlN2at6native12_GLOBAL__N_18offset_tEEE10hipError_tPvRmT1_PNSt15iterator_traitsIS13_E10value_typeET2_T3_PNS14_IS19_E10value_typeET4_jRbjT5_S1F_jjP12ihipStream_tbEUljE_ZNSN_ISO_Lb0ESR_SS_SU_SV_SZ_EES10_S11_S12_S13_S17_S18_S19_S1C_S1D_jS1E_jS1F_S1F_jjS1H_bEUljE0_EEES10_S11_S12_S19_S1D_S1F_T6_T7_T9_mT8_S1H_bDpT10_ENKUlT_T0_E_clISt17integral_constantIbLb1EES1U_IbLb0EEEEDaS1Q_S1R_EUlS1Q_E_NS1_11comp_targetILNS1_3genE5ELNS1_11target_archE942ELNS1_3gpuE9ELNS1_3repE0EEENS1_30default_config_static_selectorELNS0_4arch9wavefront6targetE0EEEvS13_, .Lfunc_end1795-_ZN7rocprim17ROCPRIM_400000_NS6detail17trampoline_kernelINS0_13select_configILj256ELj13ELNS0_17block_load_methodE3ELS4_3ELS4_3ELNS0_20block_scan_algorithmE0ELj4294967295EEENS1_25partition_config_selectorILNS1_17partition_subalgoE4EjNS0_10empty_typeEbEEZZNS1_14partition_implILS8_4ELb0ES6_15HIP_vector_typeIjLj2EENS0_17counting_iteratorIjlEEPS9_SG_NS0_5tupleIJPjSI_NS0_16reverse_iteratorISI_EEEEENSH_IJSG_SG_SG_EEES9_SI_JZNS1_25segmented_radix_sort_implINS0_14default_configELb0EPK6__halfPSP_PKlPlN2at6native12_GLOBAL__N_18offset_tEEE10hipError_tPvRmT1_PNSt15iterator_traitsIS13_E10value_typeET2_T3_PNS14_IS19_E10value_typeET4_jRbjT5_S1F_jjP12ihipStream_tbEUljE_ZNSN_ISO_Lb0ESR_SS_SU_SV_SZ_EES10_S11_S12_S13_S17_S18_S19_S1C_S1D_jS1E_jS1F_S1F_jjS1H_bEUljE0_EEES10_S11_S12_S19_S1D_S1F_T6_T7_T9_mT8_S1H_bDpT10_ENKUlT_T0_E_clISt17integral_constantIbLb1EES1U_IbLb0EEEEDaS1Q_S1R_EUlS1Q_E_NS1_11comp_targetILNS1_3genE5ELNS1_11target_archE942ELNS1_3gpuE9ELNS1_3repE0EEENS1_30default_config_static_selectorELNS0_4arch9wavefront6targetE0EEEvS13_
                                        ; -- End function
	.set _ZN7rocprim17ROCPRIM_400000_NS6detail17trampoline_kernelINS0_13select_configILj256ELj13ELNS0_17block_load_methodE3ELS4_3ELS4_3ELNS0_20block_scan_algorithmE0ELj4294967295EEENS1_25partition_config_selectorILNS1_17partition_subalgoE4EjNS0_10empty_typeEbEEZZNS1_14partition_implILS8_4ELb0ES6_15HIP_vector_typeIjLj2EENS0_17counting_iteratorIjlEEPS9_SG_NS0_5tupleIJPjSI_NS0_16reverse_iteratorISI_EEEEENSH_IJSG_SG_SG_EEES9_SI_JZNS1_25segmented_radix_sort_implINS0_14default_configELb0EPK6__halfPSP_PKlPlN2at6native12_GLOBAL__N_18offset_tEEE10hipError_tPvRmT1_PNSt15iterator_traitsIS13_E10value_typeET2_T3_PNS14_IS19_E10value_typeET4_jRbjT5_S1F_jjP12ihipStream_tbEUljE_ZNSN_ISO_Lb0ESR_SS_SU_SV_SZ_EES10_S11_S12_S13_S17_S18_S19_S1C_S1D_jS1E_jS1F_S1F_jjS1H_bEUljE0_EEES10_S11_S12_S19_S1D_S1F_T6_T7_T9_mT8_S1H_bDpT10_ENKUlT_T0_E_clISt17integral_constantIbLb1EES1U_IbLb0EEEEDaS1Q_S1R_EUlS1Q_E_NS1_11comp_targetILNS1_3genE5ELNS1_11target_archE942ELNS1_3gpuE9ELNS1_3repE0EEENS1_30default_config_static_selectorELNS0_4arch9wavefront6targetE0EEEvS13_.num_vgpr, 0
	.set _ZN7rocprim17ROCPRIM_400000_NS6detail17trampoline_kernelINS0_13select_configILj256ELj13ELNS0_17block_load_methodE3ELS4_3ELS4_3ELNS0_20block_scan_algorithmE0ELj4294967295EEENS1_25partition_config_selectorILNS1_17partition_subalgoE4EjNS0_10empty_typeEbEEZZNS1_14partition_implILS8_4ELb0ES6_15HIP_vector_typeIjLj2EENS0_17counting_iteratorIjlEEPS9_SG_NS0_5tupleIJPjSI_NS0_16reverse_iteratorISI_EEEEENSH_IJSG_SG_SG_EEES9_SI_JZNS1_25segmented_radix_sort_implINS0_14default_configELb0EPK6__halfPSP_PKlPlN2at6native12_GLOBAL__N_18offset_tEEE10hipError_tPvRmT1_PNSt15iterator_traitsIS13_E10value_typeET2_T3_PNS14_IS19_E10value_typeET4_jRbjT5_S1F_jjP12ihipStream_tbEUljE_ZNSN_ISO_Lb0ESR_SS_SU_SV_SZ_EES10_S11_S12_S13_S17_S18_S19_S1C_S1D_jS1E_jS1F_S1F_jjS1H_bEUljE0_EEES10_S11_S12_S19_S1D_S1F_T6_T7_T9_mT8_S1H_bDpT10_ENKUlT_T0_E_clISt17integral_constantIbLb1EES1U_IbLb0EEEEDaS1Q_S1R_EUlS1Q_E_NS1_11comp_targetILNS1_3genE5ELNS1_11target_archE942ELNS1_3gpuE9ELNS1_3repE0EEENS1_30default_config_static_selectorELNS0_4arch9wavefront6targetE0EEEvS13_.num_agpr, 0
	.set _ZN7rocprim17ROCPRIM_400000_NS6detail17trampoline_kernelINS0_13select_configILj256ELj13ELNS0_17block_load_methodE3ELS4_3ELS4_3ELNS0_20block_scan_algorithmE0ELj4294967295EEENS1_25partition_config_selectorILNS1_17partition_subalgoE4EjNS0_10empty_typeEbEEZZNS1_14partition_implILS8_4ELb0ES6_15HIP_vector_typeIjLj2EENS0_17counting_iteratorIjlEEPS9_SG_NS0_5tupleIJPjSI_NS0_16reverse_iteratorISI_EEEEENSH_IJSG_SG_SG_EEES9_SI_JZNS1_25segmented_radix_sort_implINS0_14default_configELb0EPK6__halfPSP_PKlPlN2at6native12_GLOBAL__N_18offset_tEEE10hipError_tPvRmT1_PNSt15iterator_traitsIS13_E10value_typeET2_T3_PNS14_IS19_E10value_typeET4_jRbjT5_S1F_jjP12ihipStream_tbEUljE_ZNSN_ISO_Lb0ESR_SS_SU_SV_SZ_EES10_S11_S12_S13_S17_S18_S19_S1C_S1D_jS1E_jS1F_S1F_jjS1H_bEUljE0_EEES10_S11_S12_S19_S1D_S1F_T6_T7_T9_mT8_S1H_bDpT10_ENKUlT_T0_E_clISt17integral_constantIbLb1EES1U_IbLb0EEEEDaS1Q_S1R_EUlS1Q_E_NS1_11comp_targetILNS1_3genE5ELNS1_11target_archE942ELNS1_3gpuE9ELNS1_3repE0EEENS1_30default_config_static_selectorELNS0_4arch9wavefront6targetE0EEEvS13_.numbered_sgpr, 0
	.set _ZN7rocprim17ROCPRIM_400000_NS6detail17trampoline_kernelINS0_13select_configILj256ELj13ELNS0_17block_load_methodE3ELS4_3ELS4_3ELNS0_20block_scan_algorithmE0ELj4294967295EEENS1_25partition_config_selectorILNS1_17partition_subalgoE4EjNS0_10empty_typeEbEEZZNS1_14partition_implILS8_4ELb0ES6_15HIP_vector_typeIjLj2EENS0_17counting_iteratorIjlEEPS9_SG_NS0_5tupleIJPjSI_NS0_16reverse_iteratorISI_EEEEENSH_IJSG_SG_SG_EEES9_SI_JZNS1_25segmented_radix_sort_implINS0_14default_configELb0EPK6__halfPSP_PKlPlN2at6native12_GLOBAL__N_18offset_tEEE10hipError_tPvRmT1_PNSt15iterator_traitsIS13_E10value_typeET2_T3_PNS14_IS19_E10value_typeET4_jRbjT5_S1F_jjP12ihipStream_tbEUljE_ZNSN_ISO_Lb0ESR_SS_SU_SV_SZ_EES10_S11_S12_S13_S17_S18_S19_S1C_S1D_jS1E_jS1F_S1F_jjS1H_bEUljE0_EEES10_S11_S12_S19_S1D_S1F_T6_T7_T9_mT8_S1H_bDpT10_ENKUlT_T0_E_clISt17integral_constantIbLb1EES1U_IbLb0EEEEDaS1Q_S1R_EUlS1Q_E_NS1_11comp_targetILNS1_3genE5ELNS1_11target_archE942ELNS1_3gpuE9ELNS1_3repE0EEENS1_30default_config_static_selectorELNS0_4arch9wavefront6targetE0EEEvS13_.num_named_barrier, 0
	.set _ZN7rocprim17ROCPRIM_400000_NS6detail17trampoline_kernelINS0_13select_configILj256ELj13ELNS0_17block_load_methodE3ELS4_3ELS4_3ELNS0_20block_scan_algorithmE0ELj4294967295EEENS1_25partition_config_selectorILNS1_17partition_subalgoE4EjNS0_10empty_typeEbEEZZNS1_14partition_implILS8_4ELb0ES6_15HIP_vector_typeIjLj2EENS0_17counting_iteratorIjlEEPS9_SG_NS0_5tupleIJPjSI_NS0_16reverse_iteratorISI_EEEEENSH_IJSG_SG_SG_EEES9_SI_JZNS1_25segmented_radix_sort_implINS0_14default_configELb0EPK6__halfPSP_PKlPlN2at6native12_GLOBAL__N_18offset_tEEE10hipError_tPvRmT1_PNSt15iterator_traitsIS13_E10value_typeET2_T3_PNS14_IS19_E10value_typeET4_jRbjT5_S1F_jjP12ihipStream_tbEUljE_ZNSN_ISO_Lb0ESR_SS_SU_SV_SZ_EES10_S11_S12_S13_S17_S18_S19_S1C_S1D_jS1E_jS1F_S1F_jjS1H_bEUljE0_EEES10_S11_S12_S19_S1D_S1F_T6_T7_T9_mT8_S1H_bDpT10_ENKUlT_T0_E_clISt17integral_constantIbLb1EES1U_IbLb0EEEEDaS1Q_S1R_EUlS1Q_E_NS1_11comp_targetILNS1_3genE5ELNS1_11target_archE942ELNS1_3gpuE9ELNS1_3repE0EEENS1_30default_config_static_selectorELNS0_4arch9wavefront6targetE0EEEvS13_.private_seg_size, 0
	.set _ZN7rocprim17ROCPRIM_400000_NS6detail17trampoline_kernelINS0_13select_configILj256ELj13ELNS0_17block_load_methodE3ELS4_3ELS4_3ELNS0_20block_scan_algorithmE0ELj4294967295EEENS1_25partition_config_selectorILNS1_17partition_subalgoE4EjNS0_10empty_typeEbEEZZNS1_14partition_implILS8_4ELb0ES6_15HIP_vector_typeIjLj2EENS0_17counting_iteratorIjlEEPS9_SG_NS0_5tupleIJPjSI_NS0_16reverse_iteratorISI_EEEEENSH_IJSG_SG_SG_EEES9_SI_JZNS1_25segmented_radix_sort_implINS0_14default_configELb0EPK6__halfPSP_PKlPlN2at6native12_GLOBAL__N_18offset_tEEE10hipError_tPvRmT1_PNSt15iterator_traitsIS13_E10value_typeET2_T3_PNS14_IS19_E10value_typeET4_jRbjT5_S1F_jjP12ihipStream_tbEUljE_ZNSN_ISO_Lb0ESR_SS_SU_SV_SZ_EES10_S11_S12_S13_S17_S18_S19_S1C_S1D_jS1E_jS1F_S1F_jjS1H_bEUljE0_EEES10_S11_S12_S19_S1D_S1F_T6_T7_T9_mT8_S1H_bDpT10_ENKUlT_T0_E_clISt17integral_constantIbLb1EES1U_IbLb0EEEEDaS1Q_S1R_EUlS1Q_E_NS1_11comp_targetILNS1_3genE5ELNS1_11target_archE942ELNS1_3gpuE9ELNS1_3repE0EEENS1_30default_config_static_selectorELNS0_4arch9wavefront6targetE0EEEvS13_.uses_vcc, 0
	.set _ZN7rocprim17ROCPRIM_400000_NS6detail17trampoline_kernelINS0_13select_configILj256ELj13ELNS0_17block_load_methodE3ELS4_3ELS4_3ELNS0_20block_scan_algorithmE0ELj4294967295EEENS1_25partition_config_selectorILNS1_17partition_subalgoE4EjNS0_10empty_typeEbEEZZNS1_14partition_implILS8_4ELb0ES6_15HIP_vector_typeIjLj2EENS0_17counting_iteratorIjlEEPS9_SG_NS0_5tupleIJPjSI_NS0_16reverse_iteratorISI_EEEEENSH_IJSG_SG_SG_EEES9_SI_JZNS1_25segmented_radix_sort_implINS0_14default_configELb0EPK6__halfPSP_PKlPlN2at6native12_GLOBAL__N_18offset_tEEE10hipError_tPvRmT1_PNSt15iterator_traitsIS13_E10value_typeET2_T3_PNS14_IS19_E10value_typeET4_jRbjT5_S1F_jjP12ihipStream_tbEUljE_ZNSN_ISO_Lb0ESR_SS_SU_SV_SZ_EES10_S11_S12_S13_S17_S18_S19_S1C_S1D_jS1E_jS1F_S1F_jjS1H_bEUljE0_EEES10_S11_S12_S19_S1D_S1F_T6_T7_T9_mT8_S1H_bDpT10_ENKUlT_T0_E_clISt17integral_constantIbLb1EES1U_IbLb0EEEEDaS1Q_S1R_EUlS1Q_E_NS1_11comp_targetILNS1_3genE5ELNS1_11target_archE942ELNS1_3gpuE9ELNS1_3repE0EEENS1_30default_config_static_selectorELNS0_4arch9wavefront6targetE0EEEvS13_.uses_flat_scratch, 0
	.set _ZN7rocprim17ROCPRIM_400000_NS6detail17trampoline_kernelINS0_13select_configILj256ELj13ELNS0_17block_load_methodE3ELS4_3ELS4_3ELNS0_20block_scan_algorithmE0ELj4294967295EEENS1_25partition_config_selectorILNS1_17partition_subalgoE4EjNS0_10empty_typeEbEEZZNS1_14partition_implILS8_4ELb0ES6_15HIP_vector_typeIjLj2EENS0_17counting_iteratorIjlEEPS9_SG_NS0_5tupleIJPjSI_NS0_16reverse_iteratorISI_EEEEENSH_IJSG_SG_SG_EEES9_SI_JZNS1_25segmented_radix_sort_implINS0_14default_configELb0EPK6__halfPSP_PKlPlN2at6native12_GLOBAL__N_18offset_tEEE10hipError_tPvRmT1_PNSt15iterator_traitsIS13_E10value_typeET2_T3_PNS14_IS19_E10value_typeET4_jRbjT5_S1F_jjP12ihipStream_tbEUljE_ZNSN_ISO_Lb0ESR_SS_SU_SV_SZ_EES10_S11_S12_S13_S17_S18_S19_S1C_S1D_jS1E_jS1F_S1F_jjS1H_bEUljE0_EEES10_S11_S12_S19_S1D_S1F_T6_T7_T9_mT8_S1H_bDpT10_ENKUlT_T0_E_clISt17integral_constantIbLb1EES1U_IbLb0EEEEDaS1Q_S1R_EUlS1Q_E_NS1_11comp_targetILNS1_3genE5ELNS1_11target_archE942ELNS1_3gpuE9ELNS1_3repE0EEENS1_30default_config_static_selectorELNS0_4arch9wavefront6targetE0EEEvS13_.has_dyn_sized_stack, 0
	.set _ZN7rocprim17ROCPRIM_400000_NS6detail17trampoline_kernelINS0_13select_configILj256ELj13ELNS0_17block_load_methodE3ELS4_3ELS4_3ELNS0_20block_scan_algorithmE0ELj4294967295EEENS1_25partition_config_selectorILNS1_17partition_subalgoE4EjNS0_10empty_typeEbEEZZNS1_14partition_implILS8_4ELb0ES6_15HIP_vector_typeIjLj2EENS0_17counting_iteratorIjlEEPS9_SG_NS0_5tupleIJPjSI_NS0_16reverse_iteratorISI_EEEEENSH_IJSG_SG_SG_EEES9_SI_JZNS1_25segmented_radix_sort_implINS0_14default_configELb0EPK6__halfPSP_PKlPlN2at6native12_GLOBAL__N_18offset_tEEE10hipError_tPvRmT1_PNSt15iterator_traitsIS13_E10value_typeET2_T3_PNS14_IS19_E10value_typeET4_jRbjT5_S1F_jjP12ihipStream_tbEUljE_ZNSN_ISO_Lb0ESR_SS_SU_SV_SZ_EES10_S11_S12_S13_S17_S18_S19_S1C_S1D_jS1E_jS1F_S1F_jjS1H_bEUljE0_EEES10_S11_S12_S19_S1D_S1F_T6_T7_T9_mT8_S1H_bDpT10_ENKUlT_T0_E_clISt17integral_constantIbLb1EES1U_IbLb0EEEEDaS1Q_S1R_EUlS1Q_E_NS1_11comp_targetILNS1_3genE5ELNS1_11target_archE942ELNS1_3gpuE9ELNS1_3repE0EEENS1_30default_config_static_selectorELNS0_4arch9wavefront6targetE0EEEvS13_.has_recursion, 0
	.set _ZN7rocprim17ROCPRIM_400000_NS6detail17trampoline_kernelINS0_13select_configILj256ELj13ELNS0_17block_load_methodE3ELS4_3ELS4_3ELNS0_20block_scan_algorithmE0ELj4294967295EEENS1_25partition_config_selectorILNS1_17partition_subalgoE4EjNS0_10empty_typeEbEEZZNS1_14partition_implILS8_4ELb0ES6_15HIP_vector_typeIjLj2EENS0_17counting_iteratorIjlEEPS9_SG_NS0_5tupleIJPjSI_NS0_16reverse_iteratorISI_EEEEENSH_IJSG_SG_SG_EEES9_SI_JZNS1_25segmented_radix_sort_implINS0_14default_configELb0EPK6__halfPSP_PKlPlN2at6native12_GLOBAL__N_18offset_tEEE10hipError_tPvRmT1_PNSt15iterator_traitsIS13_E10value_typeET2_T3_PNS14_IS19_E10value_typeET4_jRbjT5_S1F_jjP12ihipStream_tbEUljE_ZNSN_ISO_Lb0ESR_SS_SU_SV_SZ_EES10_S11_S12_S13_S17_S18_S19_S1C_S1D_jS1E_jS1F_S1F_jjS1H_bEUljE0_EEES10_S11_S12_S19_S1D_S1F_T6_T7_T9_mT8_S1H_bDpT10_ENKUlT_T0_E_clISt17integral_constantIbLb1EES1U_IbLb0EEEEDaS1Q_S1R_EUlS1Q_E_NS1_11comp_targetILNS1_3genE5ELNS1_11target_archE942ELNS1_3gpuE9ELNS1_3repE0EEENS1_30default_config_static_selectorELNS0_4arch9wavefront6targetE0EEEvS13_.has_indirect_call, 0
	.section	.AMDGPU.csdata,"",@progbits
; Kernel info:
; codeLenInByte = 0
; TotalNumSgprs: 0
; NumVgprs: 0
; ScratchSize: 0
; MemoryBound: 0
; FloatMode: 240
; IeeeMode: 1
; LDSByteSize: 0 bytes/workgroup (compile time only)
; SGPRBlocks: 0
; VGPRBlocks: 0
; NumSGPRsForWavesPerEU: 1
; NumVGPRsForWavesPerEU: 1
; Occupancy: 16
; WaveLimiterHint : 0
; COMPUTE_PGM_RSRC2:SCRATCH_EN: 0
; COMPUTE_PGM_RSRC2:USER_SGPR: 2
; COMPUTE_PGM_RSRC2:TRAP_HANDLER: 0
; COMPUTE_PGM_RSRC2:TGID_X_EN: 1
; COMPUTE_PGM_RSRC2:TGID_Y_EN: 0
; COMPUTE_PGM_RSRC2:TGID_Z_EN: 0
; COMPUTE_PGM_RSRC2:TIDIG_COMP_CNT: 0
	.section	.text._ZN7rocprim17ROCPRIM_400000_NS6detail17trampoline_kernelINS0_13select_configILj256ELj13ELNS0_17block_load_methodE3ELS4_3ELS4_3ELNS0_20block_scan_algorithmE0ELj4294967295EEENS1_25partition_config_selectorILNS1_17partition_subalgoE4EjNS0_10empty_typeEbEEZZNS1_14partition_implILS8_4ELb0ES6_15HIP_vector_typeIjLj2EENS0_17counting_iteratorIjlEEPS9_SG_NS0_5tupleIJPjSI_NS0_16reverse_iteratorISI_EEEEENSH_IJSG_SG_SG_EEES9_SI_JZNS1_25segmented_radix_sort_implINS0_14default_configELb0EPK6__halfPSP_PKlPlN2at6native12_GLOBAL__N_18offset_tEEE10hipError_tPvRmT1_PNSt15iterator_traitsIS13_E10value_typeET2_T3_PNS14_IS19_E10value_typeET4_jRbjT5_S1F_jjP12ihipStream_tbEUljE_ZNSN_ISO_Lb0ESR_SS_SU_SV_SZ_EES10_S11_S12_S13_S17_S18_S19_S1C_S1D_jS1E_jS1F_S1F_jjS1H_bEUljE0_EEES10_S11_S12_S19_S1D_S1F_T6_T7_T9_mT8_S1H_bDpT10_ENKUlT_T0_E_clISt17integral_constantIbLb1EES1U_IbLb0EEEEDaS1Q_S1R_EUlS1Q_E_NS1_11comp_targetILNS1_3genE4ELNS1_11target_archE910ELNS1_3gpuE8ELNS1_3repE0EEENS1_30default_config_static_selectorELNS0_4arch9wavefront6targetE0EEEvS13_,"axG",@progbits,_ZN7rocprim17ROCPRIM_400000_NS6detail17trampoline_kernelINS0_13select_configILj256ELj13ELNS0_17block_load_methodE3ELS4_3ELS4_3ELNS0_20block_scan_algorithmE0ELj4294967295EEENS1_25partition_config_selectorILNS1_17partition_subalgoE4EjNS0_10empty_typeEbEEZZNS1_14partition_implILS8_4ELb0ES6_15HIP_vector_typeIjLj2EENS0_17counting_iteratorIjlEEPS9_SG_NS0_5tupleIJPjSI_NS0_16reverse_iteratorISI_EEEEENSH_IJSG_SG_SG_EEES9_SI_JZNS1_25segmented_radix_sort_implINS0_14default_configELb0EPK6__halfPSP_PKlPlN2at6native12_GLOBAL__N_18offset_tEEE10hipError_tPvRmT1_PNSt15iterator_traitsIS13_E10value_typeET2_T3_PNS14_IS19_E10value_typeET4_jRbjT5_S1F_jjP12ihipStream_tbEUljE_ZNSN_ISO_Lb0ESR_SS_SU_SV_SZ_EES10_S11_S12_S13_S17_S18_S19_S1C_S1D_jS1E_jS1F_S1F_jjS1H_bEUljE0_EEES10_S11_S12_S19_S1D_S1F_T6_T7_T9_mT8_S1H_bDpT10_ENKUlT_T0_E_clISt17integral_constantIbLb1EES1U_IbLb0EEEEDaS1Q_S1R_EUlS1Q_E_NS1_11comp_targetILNS1_3genE4ELNS1_11target_archE910ELNS1_3gpuE8ELNS1_3repE0EEENS1_30default_config_static_selectorELNS0_4arch9wavefront6targetE0EEEvS13_,comdat
	.globl	_ZN7rocprim17ROCPRIM_400000_NS6detail17trampoline_kernelINS0_13select_configILj256ELj13ELNS0_17block_load_methodE3ELS4_3ELS4_3ELNS0_20block_scan_algorithmE0ELj4294967295EEENS1_25partition_config_selectorILNS1_17partition_subalgoE4EjNS0_10empty_typeEbEEZZNS1_14partition_implILS8_4ELb0ES6_15HIP_vector_typeIjLj2EENS0_17counting_iteratorIjlEEPS9_SG_NS0_5tupleIJPjSI_NS0_16reverse_iteratorISI_EEEEENSH_IJSG_SG_SG_EEES9_SI_JZNS1_25segmented_radix_sort_implINS0_14default_configELb0EPK6__halfPSP_PKlPlN2at6native12_GLOBAL__N_18offset_tEEE10hipError_tPvRmT1_PNSt15iterator_traitsIS13_E10value_typeET2_T3_PNS14_IS19_E10value_typeET4_jRbjT5_S1F_jjP12ihipStream_tbEUljE_ZNSN_ISO_Lb0ESR_SS_SU_SV_SZ_EES10_S11_S12_S13_S17_S18_S19_S1C_S1D_jS1E_jS1F_S1F_jjS1H_bEUljE0_EEES10_S11_S12_S19_S1D_S1F_T6_T7_T9_mT8_S1H_bDpT10_ENKUlT_T0_E_clISt17integral_constantIbLb1EES1U_IbLb0EEEEDaS1Q_S1R_EUlS1Q_E_NS1_11comp_targetILNS1_3genE4ELNS1_11target_archE910ELNS1_3gpuE8ELNS1_3repE0EEENS1_30default_config_static_selectorELNS0_4arch9wavefront6targetE0EEEvS13_ ; -- Begin function _ZN7rocprim17ROCPRIM_400000_NS6detail17trampoline_kernelINS0_13select_configILj256ELj13ELNS0_17block_load_methodE3ELS4_3ELS4_3ELNS0_20block_scan_algorithmE0ELj4294967295EEENS1_25partition_config_selectorILNS1_17partition_subalgoE4EjNS0_10empty_typeEbEEZZNS1_14partition_implILS8_4ELb0ES6_15HIP_vector_typeIjLj2EENS0_17counting_iteratorIjlEEPS9_SG_NS0_5tupleIJPjSI_NS0_16reverse_iteratorISI_EEEEENSH_IJSG_SG_SG_EEES9_SI_JZNS1_25segmented_radix_sort_implINS0_14default_configELb0EPK6__halfPSP_PKlPlN2at6native12_GLOBAL__N_18offset_tEEE10hipError_tPvRmT1_PNSt15iterator_traitsIS13_E10value_typeET2_T3_PNS14_IS19_E10value_typeET4_jRbjT5_S1F_jjP12ihipStream_tbEUljE_ZNSN_ISO_Lb0ESR_SS_SU_SV_SZ_EES10_S11_S12_S13_S17_S18_S19_S1C_S1D_jS1E_jS1F_S1F_jjS1H_bEUljE0_EEES10_S11_S12_S19_S1D_S1F_T6_T7_T9_mT8_S1H_bDpT10_ENKUlT_T0_E_clISt17integral_constantIbLb1EES1U_IbLb0EEEEDaS1Q_S1R_EUlS1Q_E_NS1_11comp_targetILNS1_3genE4ELNS1_11target_archE910ELNS1_3gpuE8ELNS1_3repE0EEENS1_30default_config_static_selectorELNS0_4arch9wavefront6targetE0EEEvS13_
	.p2align	8
	.type	_ZN7rocprim17ROCPRIM_400000_NS6detail17trampoline_kernelINS0_13select_configILj256ELj13ELNS0_17block_load_methodE3ELS4_3ELS4_3ELNS0_20block_scan_algorithmE0ELj4294967295EEENS1_25partition_config_selectorILNS1_17partition_subalgoE4EjNS0_10empty_typeEbEEZZNS1_14partition_implILS8_4ELb0ES6_15HIP_vector_typeIjLj2EENS0_17counting_iteratorIjlEEPS9_SG_NS0_5tupleIJPjSI_NS0_16reverse_iteratorISI_EEEEENSH_IJSG_SG_SG_EEES9_SI_JZNS1_25segmented_radix_sort_implINS0_14default_configELb0EPK6__halfPSP_PKlPlN2at6native12_GLOBAL__N_18offset_tEEE10hipError_tPvRmT1_PNSt15iterator_traitsIS13_E10value_typeET2_T3_PNS14_IS19_E10value_typeET4_jRbjT5_S1F_jjP12ihipStream_tbEUljE_ZNSN_ISO_Lb0ESR_SS_SU_SV_SZ_EES10_S11_S12_S13_S17_S18_S19_S1C_S1D_jS1E_jS1F_S1F_jjS1H_bEUljE0_EEES10_S11_S12_S19_S1D_S1F_T6_T7_T9_mT8_S1H_bDpT10_ENKUlT_T0_E_clISt17integral_constantIbLb1EES1U_IbLb0EEEEDaS1Q_S1R_EUlS1Q_E_NS1_11comp_targetILNS1_3genE4ELNS1_11target_archE910ELNS1_3gpuE8ELNS1_3repE0EEENS1_30default_config_static_selectorELNS0_4arch9wavefront6targetE0EEEvS13_,@function
_ZN7rocprim17ROCPRIM_400000_NS6detail17trampoline_kernelINS0_13select_configILj256ELj13ELNS0_17block_load_methodE3ELS4_3ELS4_3ELNS0_20block_scan_algorithmE0ELj4294967295EEENS1_25partition_config_selectorILNS1_17partition_subalgoE4EjNS0_10empty_typeEbEEZZNS1_14partition_implILS8_4ELb0ES6_15HIP_vector_typeIjLj2EENS0_17counting_iteratorIjlEEPS9_SG_NS0_5tupleIJPjSI_NS0_16reverse_iteratorISI_EEEEENSH_IJSG_SG_SG_EEES9_SI_JZNS1_25segmented_radix_sort_implINS0_14default_configELb0EPK6__halfPSP_PKlPlN2at6native12_GLOBAL__N_18offset_tEEE10hipError_tPvRmT1_PNSt15iterator_traitsIS13_E10value_typeET2_T3_PNS14_IS19_E10value_typeET4_jRbjT5_S1F_jjP12ihipStream_tbEUljE_ZNSN_ISO_Lb0ESR_SS_SU_SV_SZ_EES10_S11_S12_S13_S17_S18_S19_S1C_S1D_jS1E_jS1F_S1F_jjS1H_bEUljE0_EEES10_S11_S12_S19_S1D_S1F_T6_T7_T9_mT8_S1H_bDpT10_ENKUlT_T0_E_clISt17integral_constantIbLb1EES1U_IbLb0EEEEDaS1Q_S1R_EUlS1Q_E_NS1_11comp_targetILNS1_3genE4ELNS1_11target_archE910ELNS1_3gpuE8ELNS1_3repE0EEENS1_30default_config_static_selectorELNS0_4arch9wavefront6targetE0EEEvS13_: ; @_ZN7rocprim17ROCPRIM_400000_NS6detail17trampoline_kernelINS0_13select_configILj256ELj13ELNS0_17block_load_methodE3ELS4_3ELS4_3ELNS0_20block_scan_algorithmE0ELj4294967295EEENS1_25partition_config_selectorILNS1_17partition_subalgoE4EjNS0_10empty_typeEbEEZZNS1_14partition_implILS8_4ELb0ES6_15HIP_vector_typeIjLj2EENS0_17counting_iteratorIjlEEPS9_SG_NS0_5tupleIJPjSI_NS0_16reverse_iteratorISI_EEEEENSH_IJSG_SG_SG_EEES9_SI_JZNS1_25segmented_radix_sort_implINS0_14default_configELb0EPK6__halfPSP_PKlPlN2at6native12_GLOBAL__N_18offset_tEEE10hipError_tPvRmT1_PNSt15iterator_traitsIS13_E10value_typeET2_T3_PNS14_IS19_E10value_typeET4_jRbjT5_S1F_jjP12ihipStream_tbEUljE_ZNSN_ISO_Lb0ESR_SS_SU_SV_SZ_EES10_S11_S12_S13_S17_S18_S19_S1C_S1D_jS1E_jS1F_S1F_jjS1H_bEUljE0_EEES10_S11_S12_S19_S1D_S1F_T6_T7_T9_mT8_S1H_bDpT10_ENKUlT_T0_E_clISt17integral_constantIbLb1EES1U_IbLb0EEEEDaS1Q_S1R_EUlS1Q_E_NS1_11comp_targetILNS1_3genE4ELNS1_11target_archE910ELNS1_3gpuE8ELNS1_3repE0EEENS1_30default_config_static_selectorELNS0_4arch9wavefront6targetE0EEEvS13_
; %bb.0:
	.section	.rodata,"a",@progbits
	.p2align	6, 0x0
	.amdhsa_kernel _ZN7rocprim17ROCPRIM_400000_NS6detail17trampoline_kernelINS0_13select_configILj256ELj13ELNS0_17block_load_methodE3ELS4_3ELS4_3ELNS0_20block_scan_algorithmE0ELj4294967295EEENS1_25partition_config_selectorILNS1_17partition_subalgoE4EjNS0_10empty_typeEbEEZZNS1_14partition_implILS8_4ELb0ES6_15HIP_vector_typeIjLj2EENS0_17counting_iteratorIjlEEPS9_SG_NS0_5tupleIJPjSI_NS0_16reverse_iteratorISI_EEEEENSH_IJSG_SG_SG_EEES9_SI_JZNS1_25segmented_radix_sort_implINS0_14default_configELb0EPK6__halfPSP_PKlPlN2at6native12_GLOBAL__N_18offset_tEEE10hipError_tPvRmT1_PNSt15iterator_traitsIS13_E10value_typeET2_T3_PNS14_IS19_E10value_typeET4_jRbjT5_S1F_jjP12ihipStream_tbEUljE_ZNSN_ISO_Lb0ESR_SS_SU_SV_SZ_EES10_S11_S12_S13_S17_S18_S19_S1C_S1D_jS1E_jS1F_S1F_jjS1H_bEUljE0_EEES10_S11_S12_S19_S1D_S1F_T6_T7_T9_mT8_S1H_bDpT10_ENKUlT_T0_E_clISt17integral_constantIbLb1EES1U_IbLb0EEEEDaS1Q_S1R_EUlS1Q_E_NS1_11comp_targetILNS1_3genE4ELNS1_11target_archE910ELNS1_3gpuE8ELNS1_3repE0EEENS1_30default_config_static_selectorELNS0_4arch9wavefront6targetE0EEEvS13_
		.amdhsa_group_segment_fixed_size 0
		.amdhsa_private_segment_fixed_size 0
		.amdhsa_kernarg_size 176
		.amdhsa_user_sgpr_count 2
		.amdhsa_user_sgpr_dispatch_ptr 0
		.amdhsa_user_sgpr_queue_ptr 0
		.amdhsa_user_sgpr_kernarg_segment_ptr 1
		.amdhsa_user_sgpr_dispatch_id 0
		.amdhsa_user_sgpr_private_segment_size 0
		.amdhsa_wavefront_size32 1
		.amdhsa_uses_dynamic_stack 0
		.amdhsa_enable_private_segment 0
		.amdhsa_system_sgpr_workgroup_id_x 1
		.amdhsa_system_sgpr_workgroup_id_y 0
		.amdhsa_system_sgpr_workgroup_id_z 0
		.amdhsa_system_sgpr_workgroup_info 0
		.amdhsa_system_vgpr_workitem_id 0
		.amdhsa_next_free_vgpr 1
		.amdhsa_next_free_sgpr 1
		.amdhsa_reserve_vcc 0
		.amdhsa_float_round_mode_32 0
		.amdhsa_float_round_mode_16_64 0
		.amdhsa_float_denorm_mode_32 3
		.amdhsa_float_denorm_mode_16_64 3
		.amdhsa_fp16_overflow 0
		.amdhsa_workgroup_processor_mode 1
		.amdhsa_memory_ordered 1
		.amdhsa_forward_progress 1
		.amdhsa_inst_pref_size 0
		.amdhsa_round_robin_scheduling 0
		.amdhsa_exception_fp_ieee_invalid_op 0
		.amdhsa_exception_fp_denorm_src 0
		.amdhsa_exception_fp_ieee_div_zero 0
		.amdhsa_exception_fp_ieee_overflow 0
		.amdhsa_exception_fp_ieee_underflow 0
		.amdhsa_exception_fp_ieee_inexact 0
		.amdhsa_exception_int_div_zero 0
	.end_amdhsa_kernel
	.section	.text._ZN7rocprim17ROCPRIM_400000_NS6detail17trampoline_kernelINS0_13select_configILj256ELj13ELNS0_17block_load_methodE3ELS4_3ELS4_3ELNS0_20block_scan_algorithmE0ELj4294967295EEENS1_25partition_config_selectorILNS1_17partition_subalgoE4EjNS0_10empty_typeEbEEZZNS1_14partition_implILS8_4ELb0ES6_15HIP_vector_typeIjLj2EENS0_17counting_iteratorIjlEEPS9_SG_NS0_5tupleIJPjSI_NS0_16reverse_iteratorISI_EEEEENSH_IJSG_SG_SG_EEES9_SI_JZNS1_25segmented_radix_sort_implINS0_14default_configELb0EPK6__halfPSP_PKlPlN2at6native12_GLOBAL__N_18offset_tEEE10hipError_tPvRmT1_PNSt15iterator_traitsIS13_E10value_typeET2_T3_PNS14_IS19_E10value_typeET4_jRbjT5_S1F_jjP12ihipStream_tbEUljE_ZNSN_ISO_Lb0ESR_SS_SU_SV_SZ_EES10_S11_S12_S13_S17_S18_S19_S1C_S1D_jS1E_jS1F_S1F_jjS1H_bEUljE0_EEES10_S11_S12_S19_S1D_S1F_T6_T7_T9_mT8_S1H_bDpT10_ENKUlT_T0_E_clISt17integral_constantIbLb1EES1U_IbLb0EEEEDaS1Q_S1R_EUlS1Q_E_NS1_11comp_targetILNS1_3genE4ELNS1_11target_archE910ELNS1_3gpuE8ELNS1_3repE0EEENS1_30default_config_static_selectorELNS0_4arch9wavefront6targetE0EEEvS13_,"axG",@progbits,_ZN7rocprim17ROCPRIM_400000_NS6detail17trampoline_kernelINS0_13select_configILj256ELj13ELNS0_17block_load_methodE3ELS4_3ELS4_3ELNS0_20block_scan_algorithmE0ELj4294967295EEENS1_25partition_config_selectorILNS1_17partition_subalgoE4EjNS0_10empty_typeEbEEZZNS1_14partition_implILS8_4ELb0ES6_15HIP_vector_typeIjLj2EENS0_17counting_iteratorIjlEEPS9_SG_NS0_5tupleIJPjSI_NS0_16reverse_iteratorISI_EEEEENSH_IJSG_SG_SG_EEES9_SI_JZNS1_25segmented_radix_sort_implINS0_14default_configELb0EPK6__halfPSP_PKlPlN2at6native12_GLOBAL__N_18offset_tEEE10hipError_tPvRmT1_PNSt15iterator_traitsIS13_E10value_typeET2_T3_PNS14_IS19_E10value_typeET4_jRbjT5_S1F_jjP12ihipStream_tbEUljE_ZNSN_ISO_Lb0ESR_SS_SU_SV_SZ_EES10_S11_S12_S13_S17_S18_S19_S1C_S1D_jS1E_jS1F_S1F_jjS1H_bEUljE0_EEES10_S11_S12_S19_S1D_S1F_T6_T7_T9_mT8_S1H_bDpT10_ENKUlT_T0_E_clISt17integral_constantIbLb1EES1U_IbLb0EEEEDaS1Q_S1R_EUlS1Q_E_NS1_11comp_targetILNS1_3genE4ELNS1_11target_archE910ELNS1_3gpuE8ELNS1_3repE0EEENS1_30default_config_static_selectorELNS0_4arch9wavefront6targetE0EEEvS13_,comdat
.Lfunc_end1796:
	.size	_ZN7rocprim17ROCPRIM_400000_NS6detail17trampoline_kernelINS0_13select_configILj256ELj13ELNS0_17block_load_methodE3ELS4_3ELS4_3ELNS0_20block_scan_algorithmE0ELj4294967295EEENS1_25partition_config_selectorILNS1_17partition_subalgoE4EjNS0_10empty_typeEbEEZZNS1_14partition_implILS8_4ELb0ES6_15HIP_vector_typeIjLj2EENS0_17counting_iteratorIjlEEPS9_SG_NS0_5tupleIJPjSI_NS0_16reverse_iteratorISI_EEEEENSH_IJSG_SG_SG_EEES9_SI_JZNS1_25segmented_radix_sort_implINS0_14default_configELb0EPK6__halfPSP_PKlPlN2at6native12_GLOBAL__N_18offset_tEEE10hipError_tPvRmT1_PNSt15iterator_traitsIS13_E10value_typeET2_T3_PNS14_IS19_E10value_typeET4_jRbjT5_S1F_jjP12ihipStream_tbEUljE_ZNSN_ISO_Lb0ESR_SS_SU_SV_SZ_EES10_S11_S12_S13_S17_S18_S19_S1C_S1D_jS1E_jS1F_S1F_jjS1H_bEUljE0_EEES10_S11_S12_S19_S1D_S1F_T6_T7_T9_mT8_S1H_bDpT10_ENKUlT_T0_E_clISt17integral_constantIbLb1EES1U_IbLb0EEEEDaS1Q_S1R_EUlS1Q_E_NS1_11comp_targetILNS1_3genE4ELNS1_11target_archE910ELNS1_3gpuE8ELNS1_3repE0EEENS1_30default_config_static_selectorELNS0_4arch9wavefront6targetE0EEEvS13_, .Lfunc_end1796-_ZN7rocprim17ROCPRIM_400000_NS6detail17trampoline_kernelINS0_13select_configILj256ELj13ELNS0_17block_load_methodE3ELS4_3ELS4_3ELNS0_20block_scan_algorithmE0ELj4294967295EEENS1_25partition_config_selectorILNS1_17partition_subalgoE4EjNS0_10empty_typeEbEEZZNS1_14partition_implILS8_4ELb0ES6_15HIP_vector_typeIjLj2EENS0_17counting_iteratorIjlEEPS9_SG_NS0_5tupleIJPjSI_NS0_16reverse_iteratorISI_EEEEENSH_IJSG_SG_SG_EEES9_SI_JZNS1_25segmented_radix_sort_implINS0_14default_configELb0EPK6__halfPSP_PKlPlN2at6native12_GLOBAL__N_18offset_tEEE10hipError_tPvRmT1_PNSt15iterator_traitsIS13_E10value_typeET2_T3_PNS14_IS19_E10value_typeET4_jRbjT5_S1F_jjP12ihipStream_tbEUljE_ZNSN_ISO_Lb0ESR_SS_SU_SV_SZ_EES10_S11_S12_S13_S17_S18_S19_S1C_S1D_jS1E_jS1F_S1F_jjS1H_bEUljE0_EEES10_S11_S12_S19_S1D_S1F_T6_T7_T9_mT8_S1H_bDpT10_ENKUlT_T0_E_clISt17integral_constantIbLb1EES1U_IbLb0EEEEDaS1Q_S1R_EUlS1Q_E_NS1_11comp_targetILNS1_3genE4ELNS1_11target_archE910ELNS1_3gpuE8ELNS1_3repE0EEENS1_30default_config_static_selectorELNS0_4arch9wavefront6targetE0EEEvS13_
                                        ; -- End function
	.set _ZN7rocprim17ROCPRIM_400000_NS6detail17trampoline_kernelINS0_13select_configILj256ELj13ELNS0_17block_load_methodE3ELS4_3ELS4_3ELNS0_20block_scan_algorithmE0ELj4294967295EEENS1_25partition_config_selectorILNS1_17partition_subalgoE4EjNS0_10empty_typeEbEEZZNS1_14partition_implILS8_4ELb0ES6_15HIP_vector_typeIjLj2EENS0_17counting_iteratorIjlEEPS9_SG_NS0_5tupleIJPjSI_NS0_16reverse_iteratorISI_EEEEENSH_IJSG_SG_SG_EEES9_SI_JZNS1_25segmented_radix_sort_implINS0_14default_configELb0EPK6__halfPSP_PKlPlN2at6native12_GLOBAL__N_18offset_tEEE10hipError_tPvRmT1_PNSt15iterator_traitsIS13_E10value_typeET2_T3_PNS14_IS19_E10value_typeET4_jRbjT5_S1F_jjP12ihipStream_tbEUljE_ZNSN_ISO_Lb0ESR_SS_SU_SV_SZ_EES10_S11_S12_S13_S17_S18_S19_S1C_S1D_jS1E_jS1F_S1F_jjS1H_bEUljE0_EEES10_S11_S12_S19_S1D_S1F_T6_T7_T9_mT8_S1H_bDpT10_ENKUlT_T0_E_clISt17integral_constantIbLb1EES1U_IbLb0EEEEDaS1Q_S1R_EUlS1Q_E_NS1_11comp_targetILNS1_3genE4ELNS1_11target_archE910ELNS1_3gpuE8ELNS1_3repE0EEENS1_30default_config_static_selectorELNS0_4arch9wavefront6targetE0EEEvS13_.num_vgpr, 0
	.set _ZN7rocprim17ROCPRIM_400000_NS6detail17trampoline_kernelINS0_13select_configILj256ELj13ELNS0_17block_load_methodE3ELS4_3ELS4_3ELNS0_20block_scan_algorithmE0ELj4294967295EEENS1_25partition_config_selectorILNS1_17partition_subalgoE4EjNS0_10empty_typeEbEEZZNS1_14partition_implILS8_4ELb0ES6_15HIP_vector_typeIjLj2EENS0_17counting_iteratorIjlEEPS9_SG_NS0_5tupleIJPjSI_NS0_16reverse_iteratorISI_EEEEENSH_IJSG_SG_SG_EEES9_SI_JZNS1_25segmented_radix_sort_implINS0_14default_configELb0EPK6__halfPSP_PKlPlN2at6native12_GLOBAL__N_18offset_tEEE10hipError_tPvRmT1_PNSt15iterator_traitsIS13_E10value_typeET2_T3_PNS14_IS19_E10value_typeET4_jRbjT5_S1F_jjP12ihipStream_tbEUljE_ZNSN_ISO_Lb0ESR_SS_SU_SV_SZ_EES10_S11_S12_S13_S17_S18_S19_S1C_S1D_jS1E_jS1F_S1F_jjS1H_bEUljE0_EEES10_S11_S12_S19_S1D_S1F_T6_T7_T9_mT8_S1H_bDpT10_ENKUlT_T0_E_clISt17integral_constantIbLb1EES1U_IbLb0EEEEDaS1Q_S1R_EUlS1Q_E_NS1_11comp_targetILNS1_3genE4ELNS1_11target_archE910ELNS1_3gpuE8ELNS1_3repE0EEENS1_30default_config_static_selectorELNS0_4arch9wavefront6targetE0EEEvS13_.num_agpr, 0
	.set _ZN7rocprim17ROCPRIM_400000_NS6detail17trampoline_kernelINS0_13select_configILj256ELj13ELNS0_17block_load_methodE3ELS4_3ELS4_3ELNS0_20block_scan_algorithmE0ELj4294967295EEENS1_25partition_config_selectorILNS1_17partition_subalgoE4EjNS0_10empty_typeEbEEZZNS1_14partition_implILS8_4ELb0ES6_15HIP_vector_typeIjLj2EENS0_17counting_iteratorIjlEEPS9_SG_NS0_5tupleIJPjSI_NS0_16reverse_iteratorISI_EEEEENSH_IJSG_SG_SG_EEES9_SI_JZNS1_25segmented_radix_sort_implINS0_14default_configELb0EPK6__halfPSP_PKlPlN2at6native12_GLOBAL__N_18offset_tEEE10hipError_tPvRmT1_PNSt15iterator_traitsIS13_E10value_typeET2_T3_PNS14_IS19_E10value_typeET4_jRbjT5_S1F_jjP12ihipStream_tbEUljE_ZNSN_ISO_Lb0ESR_SS_SU_SV_SZ_EES10_S11_S12_S13_S17_S18_S19_S1C_S1D_jS1E_jS1F_S1F_jjS1H_bEUljE0_EEES10_S11_S12_S19_S1D_S1F_T6_T7_T9_mT8_S1H_bDpT10_ENKUlT_T0_E_clISt17integral_constantIbLb1EES1U_IbLb0EEEEDaS1Q_S1R_EUlS1Q_E_NS1_11comp_targetILNS1_3genE4ELNS1_11target_archE910ELNS1_3gpuE8ELNS1_3repE0EEENS1_30default_config_static_selectorELNS0_4arch9wavefront6targetE0EEEvS13_.numbered_sgpr, 0
	.set _ZN7rocprim17ROCPRIM_400000_NS6detail17trampoline_kernelINS0_13select_configILj256ELj13ELNS0_17block_load_methodE3ELS4_3ELS4_3ELNS0_20block_scan_algorithmE0ELj4294967295EEENS1_25partition_config_selectorILNS1_17partition_subalgoE4EjNS0_10empty_typeEbEEZZNS1_14partition_implILS8_4ELb0ES6_15HIP_vector_typeIjLj2EENS0_17counting_iteratorIjlEEPS9_SG_NS0_5tupleIJPjSI_NS0_16reverse_iteratorISI_EEEEENSH_IJSG_SG_SG_EEES9_SI_JZNS1_25segmented_radix_sort_implINS0_14default_configELb0EPK6__halfPSP_PKlPlN2at6native12_GLOBAL__N_18offset_tEEE10hipError_tPvRmT1_PNSt15iterator_traitsIS13_E10value_typeET2_T3_PNS14_IS19_E10value_typeET4_jRbjT5_S1F_jjP12ihipStream_tbEUljE_ZNSN_ISO_Lb0ESR_SS_SU_SV_SZ_EES10_S11_S12_S13_S17_S18_S19_S1C_S1D_jS1E_jS1F_S1F_jjS1H_bEUljE0_EEES10_S11_S12_S19_S1D_S1F_T6_T7_T9_mT8_S1H_bDpT10_ENKUlT_T0_E_clISt17integral_constantIbLb1EES1U_IbLb0EEEEDaS1Q_S1R_EUlS1Q_E_NS1_11comp_targetILNS1_3genE4ELNS1_11target_archE910ELNS1_3gpuE8ELNS1_3repE0EEENS1_30default_config_static_selectorELNS0_4arch9wavefront6targetE0EEEvS13_.num_named_barrier, 0
	.set _ZN7rocprim17ROCPRIM_400000_NS6detail17trampoline_kernelINS0_13select_configILj256ELj13ELNS0_17block_load_methodE3ELS4_3ELS4_3ELNS0_20block_scan_algorithmE0ELj4294967295EEENS1_25partition_config_selectorILNS1_17partition_subalgoE4EjNS0_10empty_typeEbEEZZNS1_14partition_implILS8_4ELb0ES6_15HIP_vector_typeIjLj2EENS0_17counting_iteratorIjlEEPS9_SG_NS0_5tupleIJPjSI_NS0_16reverse_iteratorISI_EEEEENSH_IJSG_SG_SG_EEES9_SI_JZNS1_25segmented_radix_sort_implINS0_14default_configELb0EPK6__halfPSP_PKlPlN2at6native12_GLOBAL__N_18offset_tEEE10hipError_tPvRmT1_PNSt15iterator_traitsIS13_E10value_typeET2_T3_PNS14_IS19_E10value_typeET4_jRbjT5_S1F_jjP12ihipStream_tbEUljE_ZNSN_ISO_Lb0ESR_SS_SU_SV_SZ_EES10_S11_S12_S13_S17_S18_S19_S1C_S1D_jS1E_jS1F_S1F_jjS1H_bEUljE0_EEES10_S11_S12_S19_S1D_S1F_T6_T7_T9_mT8_S1H_bDpT10_ENKUlT_T0_E_clISt17integral_constantIbLb1EES1U_IbLb0EEEEDaS1Q_S1R_EUlS1Q_E_NS1_11comp_targetILNS1_3genE4ELNS1_11target_archE910ELNS1_3gpuE8ELNS1_3repE0EEENS1_30default_config_static_selectorELNS0_4arch9wavefront6targetE0EEEvS13_.private_seg_size, 0
	.set _ZN7rocprim17ROCPRIM_400000_NS6detail17trampoline_kernelINS0_13select_configILj256ELj13ELNS0_17block_load_methodE3ELS4_3ELS4_3ELNS0_20block_scan_algorithmE0ELj4294967295EEENS1_25partition_config_selectorILNS1_17partition_subalgoE4EjNS0_10empty_typeEbEEZZNS1_14partition_implILS8_4ELb0ES6_15HIP_vector_typeIjLj2EENS0_17counting_iteratorIjlEEPS9_SG_NS0_5tupleIJPjSI_NS0_16reverse_iteratorISI_EEEEENSH_IJSG_SG_SG_EEES9_SI_JZNS1_25segmented_radix_sort_implINS0_14default_configELb0EPK6__halfPSP_PKlPlN2at6native12_GLOBAL__N_18offset_tEEE10hipError_tPvRmT1_PNSt15iterator_traitsIS13_E10value_typeET2_T3_PNS14_IS19_E10value_typeET4_jRbjT5_S1F_jjP12ihipStream_tbEUljE_ZNSN_ISO_Lb0ESR_SS_SU_SV_SZ_EES10_S11_S12_S13_S17_S18_S19_S1C_S1D_jS1E_jS1F_S1F_jjS1H_bEUljE0_EEES10_S11_S12_S19_S1D_S1F_T6_T7_T9_mT8_S1H_bDpT10_ENKUlT_T0_E_clISt17integral_constantIbLb1EES1U_IbLb0EEEEDaS1Q_S1R_EUlS1Q_E_NS1_11comp_targetILNS1_3genE4ELNS1_11target_archE910ELNS1_3gpuE8ELNS1_3repE0EEENS1_30default_config_static_selectorELNS0_4arch9wavefront6targetE0EEEvS13_.uses_vcc, 0
	.set _ZN7rocprim17ROCPRIM_400000_NS6detail17trampoline_kernelINS0_13select_configILj256ELj13ELNS0_17block_load_methodE3ELS4_3ELS4_3ELNS0_20block_scan_algorithmE0ELj4294967295EEENS1_25partition_config_selectorILNS1_17partition_subalgoE4EjNS0_10empty_typeEbEEZZNS1_14partition_implILS8_4ELb0ES6_15HIP_vector_typeIjLj2EENS0_17counting_iteratorIjlEEPS9_SG_NS0_5tupleIJPjSI_NS0_16reverse_iteratorISI_EEEEENSH_IJSG_SG_SG_EEES9_SI_JZNS1_25segmented_radix_sort_implINS0_14default_configELb0EPK6__halfPSP_PKlPlN2at6native12_GLOBAL__N_18offset_tEEE10hipError_tPvRmT1_PNSt15iterator_traitsIS13_E10value_typeET2_T3_PNS14_IS19_E10value_typeET4_jRbjT5_S1F_jjP12ihipStream_tbEUljE_ZNSN_ISO_Lb0ESR_SS_SU_SV_SZ_EES10_S11_S12_S13_S17_S18_S19_S1C_S1D_jS1E_jS1F_S1F_jjS1H_bEUljE0_EEES10_S11_S12_S19_S1D_S1F_T6_T7_T9_mT8_S1H_bDpT10_ENKUlT_T0_E_clISt17integral_constantIbLb1EES1U_IbLb0EEEEDaS1Q_S1R_EUlS1Q_E_NS1_11comp_targetILNS1_3genE4ELNS1_11target_archE910ELNS1_3gpuE8ELNS1_3repE0EEENS1_30default_config_static_selectorELNS0_4arch9wavefront6targetE0EEEvS13_.uses_flat_scratch, 0
	.set _ZN7rocprim17ROCPRIM_400000_NS6detail17trampoline_kernelINS0_13select_configILj256ELj13ELNS0_17block_load_methodE3ELS4_3ELS4_3ELNS0_20block_scan_algorithmE0ELj4294967295EEENS1_25partition_config_selectorILNS1_17partition_subalgoE4EjNS0_10empty_typeEbEEZZNS1_14partition_implILS8_4ELb0ES6_15HIP_vector_typeIjLj2EENS0_17counting_iteratorIjlEEPS9_SG_NS0_5tupleIJPjSI_NS0_16reverse_iteratorISI_EEEEENSH_IJSG_SG_SG_EEES9_SI_JZNS1_25segmented_radix_sort_implINS0_14default_configELb0EPK6__halfPSP_PKlPlN2at6native12_GLOBAL__N_18offset_tEEE10hipError_tPvRmT1_PNSt15iterator_traitsIS13_E10value_typeET2_T3_PNS14_IS19_E10value_typeET4_jRbjT5_S1F_jjP12ihipStream_tbEUljE_ZNSN_ISO_Lb0ESR_SS_SU_SV_SZ_EES10_S11_S12_S13_S17_S18_S19_S1C_S1D_jS1E_jS1F_S1F_jjS1H_bEUljE0_EEES10_S11_S12_S19_S1D_S1F_T6_T7_T9_mT8_S1H_bDpT10_ENKUlT_T0_E_clISt17integral_constantIbLb1EES1U_IbLb0EEEEDaS1Q_S1R_EUlS1Q_E_NS1_11comp_targetILNS1_3genE4ELNS1_11target_archE910ELNS1_3gpuE8ELNS1_3repE0EEENS1_30default_config_static_selectorELNS0_4arch9wavefront6targetE0EEEvS13_.has_dyn_sized_stack, 0
	.set _ZN7rocprim17ROCPRIM_400000_NS6detail17trampoline_kernelINS0_13select_configILj256ELj13ELNS0_17block_load_methodE3ELS4_3ELS4_3ELNS0_20block_scan_algorithmE0ELj4294967295EEENS1_25partition_config_selectorILNS1_17partition_subalgoE4EjNS0_10empty_typeEbEEZZNS1_14partition_implILS8_4ELb0ES6_15HIP_vector_typeIjLj2EENS0_17counting_iteratorIjlEEPS9_SG_NS0_5tupleIJPjSI_NS0_16reverse_iteratorISI_EEEEENSH_IJSG_SG_SG_EEES9_SI_JZNS1_25segmented_radix_sort_implINS0_14default_configELb0EPK6__halfPSP_PKlPlN2at6native12_GLOBAL__N_18offset_tEEE10hipError_tPvRmT1_PNSt15iterator_traitsIS13_E10value_typeET2_T3_PNS14_IS19_E10value_typeET4_jRbjT5_S1F_jjP12ihipStream_tbEUljE_ZNSN_ISO_Lb0ESR_SS_SU_SV_SZ_EES10_S11_S12_S13_S17_S18_S19_S1C_S1D_jS1E_jS1F_S1F_jjS1H_bEUljE0_EEES10_S11_S12_S19_S1D_S1F_T6_T7_T9_mT8_S1H_bDpT10_ENKUlT_T0_E_clISt17integral_constantIbLb1EES1U_IbLb0EEEEDaS1Q_S1R_EUlS1Q_E_NS1_11comp_targetILNS1_3genE4ELNS1_11target_archE910ELNS1_3gpuE8ELNS1_3repE0EEENS1_30default_config_static_selectorELNS0_4arch9wavefront6targetE0EEEvS13_.has_recursion, 0
	.set _ZN7rocprim17ROCPRIM_400000_NS6detail17trampoline_kernelINS0_13select_configILj256ELj13ELNS0_17block_load_methodE3ELS4_3ELS4_3ELNS0_20block_scan_algorithmE0ELj4294967295EEENS1_25partition_config_selectorILNS1_17partition_subalgoE4EjNS0_10empty_typeEbEEZZNS1_14partition_implILS8_4ELb0ES6_15HIP_vector_typeIjLj2EENS0_17counting_iteratorIjlEEPS9_SG_NS0_5tupleIJPjSI_NS0_16reverse_iteratorISI_EEEEENSH_IJSG_SG_SG_EEES9_SI_JZNS1_25segmented_radix_sort_implINS0_14default_configELb0EPK6__halfPSP_PKlPlN2at6native12_GLOBAL__N_18offset_tEEE10hipError_tPvRmT1_PNSt15iterator_traitsIS13_E10value_typeET2_T3_PNS14_IS19_E10value_typeET4_jRbjT5_S1F_jjP12ihipStream_tbEUljE_ZNSN_ISO_Lb0ESR_SS_SU_SV_SZ_EES10_S11_S12_S13_S17_S18_S19_S1C_S1D_jS1E_jS1F_S1F_jjS1H_bEUljE0_EEES10_S11_S12_S19_S1D_S1F_T6_T7_T9_mT8_S1H_bDpT10_ENKUlT_T0_E_clISt17integral_constantIbLb1EES1U_IbLb0EEEEDaS1Q_S1R_EUlS1Q_E_NS1_11comp_targetILNS1_3genE4ELNS1_11target_archE910ELNS1_3gpuE8ELNS1_3repE0EEENS1_30default_config_static_selectorELNS0_4arch9wavefront6targetE0EEEvS13_.has_indirect_call, 0
	.section	.AMDGPU.csdata,"",@progbits
; Kernel info:
; codeLenInByte = 0
; TotalNumSgprs: 0
; NumVgprs: 0
; ScratchSize: 0
; MemoryBound: 0
; FloatMode: 240
; IeeeMode: 1
; LDSByteSize: 0 bytes/workgroup (compile time only)
; SGPRBlocks: 0
; VGPRBlocks: 0
; NumSGPRsForWavesPerEU: 1
; NumVGPRsForWavesPerEU: 1
; Occupancy: 16
; WaveLimiterHint : 0
; COMPUTE_PGM_RSRC2:SCRATCH_EN: 0
; COMPUTE_PGM_RSRC2:USER_SGPR: 2
; COMPUTE_PGM_RSRC2:TRAP_HANDLER: 0
; COMPUTE_PGM_RSRC2:TGID_X_EN: 1
; COMPUTE_PGM_RSRC2:TGID_Y_EN: 0
; COMPUTE_PGM_RSRC2:TGID_Z_EN: 0
; COMPUTE_PGM_RSRC2:TIDIG_COMP_CNT: 0
	.section	.text._ZN7rocprim17ROCPRIM_400000_NS6detail17trampoline_kernelINS0_13select_configILj256ELj13ELNS0_17block_load_methodE3ELS4_3ELS4_3ELNS0_20block_scan_algorithmE0ELj4294967295EEENS1_25partition_config_selectorILNS1_17partition_subalgoE4EjNS0_10empty_typeEbEEZZNS1_14partition_implILS8_4ELb0ES6_15HIP_vector_typeIjLj2EENS0_17counting_iteratorIjlEEPS9_SG_NS0_5tupleIJPjSI_NS0_16reverse_iteratorISI_EEEEENSH_IJSG_SG_SG_EEES9_SI_JZNS1_25segmented_radix_sort_implINS0_14default_configELb0EPK6__halfPSP_PKlPlN2at6native12_GLOBAL__N_18offset_tEEE10hipError_tPvRmT1_PNSt15iterator_traitsIS13_E10value_typeET2_T3_PNS14_IS19_E10value_typeET4_jRbjT5_S1F_jjP12ihipStream_tbEUljE_ZNSN_ISO_Lb0ESR_SS_SU_SV_SZ_EES10_S11_S12_S13_S17_S18_S19_S1C_S1D_jS1E_jS1F_S1F_jjS1H_bEUljE0_EEES10_S11_S12_S19_S1D_S1F_T6_T7_T9_mT8_S1H_bDpT10_ENKUlT_T0_E_clISt17integral_constantIbLb1EES1U_IbLb0EEEEDaS1Q_S1R_EUlS1Q_E_NS1_11comp_targetILNS1_3genE3ELNS1_11target_archE908ELNS1_3gpuE7ELNS1_3repE0EEENS1_30default_config_static_selectorELNS0_4arch9wavefront6targetE0EEEvS13_,"axG",@progbits,_ZN7rocprim17ROCPRIM_400000_NS6detail17trampoline_kernelINS0_13select_configILj256ELj13ELNS0_17block_load_methodE3ELS4_3ELS4_3ELNS0_20block_scan_algorithmE0ELj4294967295EEENS1_25partition_config_selectorILNS1_17partition_subalgoE4EjNS0_10empty_typeEbEEZZNS1_14partition_implILS8_4ELb0ES6_15HIP_vector_typeIjLj2EENS0_17counting_iteratorIjlEEPS9_SG_NS0_5tupleIJPjSI_NS0_16reverse_iteratorISI_EEEEENSH_IJSG_SG_SG_EEES9_SI_JZNS1_25segmented_radix_sort_implINS0_14default_configELb0EPK6__halfPSP_PKlPlN2at6native12_GLOBAL__N_18offset_tEEE10hipError_tPvRmT1_PNSt15iterator_traitsIS13_E10value_typeET2_T3_PNS14_IS19_E10value_typeET4_jRbjT5_S1F_jjP12ihipStream_tbEUljE_ZNSN_ISO_Lb0ESR_SS_SU_SV_SZ_EES10_S11_S12_S13_S17_S18_S19_S1C_S1D_jS1E_jS1F_S1F_jjS1H_bEUljE0_EEES10_S11_S12_S19_S1D_S1F_T6_T7_T9_mT8_S1H_bDpT10_ENKUlT_T0_E_clISt17integral_constantIbLb1EES1U_IbLb0EEEEDaS1Q_S1R_EUlS1Q_E_NS1_11comp_targetILNS1_3genE3ELNS1_11target_archE908ELNS1_3gpuE7ELNS1_3repE0EEENS1_30default_config_static_selectorELNS0_4arch9wavefront6targetE0EEEvS13_,comdat
	.globl	_ZN7rocprim17ROCPRIM_400000_NS6detail17trampoline_kernelINS0_13select_configILj256ELj13ELNS0_17block_load_methodE3ELS4_3ELS4_3ELNS0_20block_scan_algorithmE0ELj4294967295EEENS1_25partition_config_selectorILNS1_17partition_subalgoE4EjNS0_10empty_typeEbEEZZNS1_14partition_implILS8_4ELb0ES6_15HIP_vector_typeIjLj2EENS0_17counting_iteratorIjlEEPS9_SG_NS0_5tupleIJPjSI_NS0_16reverse_iteratorISI_EEEEENSH_IJSG_SG_SG_EEES9_SI_JZNS1_25segmented_radix_sort_implINS0_14default_configELb0EPK6__halfPSP_PKlPlN2at6native12_GLOBAL__N_18offset_tEEE10hipError_tPvRmT1_PNSt15iterator_traitsIS13_E10value_typeET2_T3_PNS14_IS19_E10value_typeET4_jRbjT5_S1F_jjP12ihipStream_tbEUljE_ZNSN_ISO_Lb0ESR_SS_SU_SV_SZ_EES10_S11_S12_S13_S17_S18_S19_S1C_S1D_jS1E_jS1F_S1F_jjS1H_bEUljE0_EEES10_S11_S12_S19_S1D_S1F_T6_T7_T9_mT8_S1H_bDpT10_ENKUlT_T0_E_clISt17integral_constantIbLb1EES1U_IbLb0EEEEDaS1Q_S1R_EUlS1Q_E_NS1_11comp_targetILNS1_3genE3ELNS1_11target_archE908ELNS1_3gpuE7ELNS1_3repE0EEENS1_30default_config_static_selectorELNS0_4arch9wavefront6targetE0EEEvS13_ ; -- Begin function _ZN7rocprim17ROCPRIM_400000_NS6detail17trampoline_kernelINS0_13select_configILj256ELj13ELNS0_17block_load_methodE3ELS4_3ELS4_3ELNS0_20block_scan_algorithmE0ELj4294967295EEENS1_25partition_config_selectorILNS1_17partition_subalgoE4EjNS0_10empty_typeEbEEZZNS1_14partition_implILS8_4ELb0ES6_15HIP_vector_typeIjLj2EENS0_17counting_iteratorIjlEEPS9_SG_NS0_5tupleIJPjSI_NS0_16reverse_iteratorISI_EEEEENSH_IJSG_SG_SG_EEES9_SI_JZNS1_25segmented_radix_sort_implINS0_14default_configELb0EPK6__halfPSP_PKlPlN2at6native12_GLOBAL__N_18offset_tEEE10hipError_tPvRmT1_PNSt15iterator_traitsIS13_E10value_typeET2_T3_PNS14_IS19_E10value_typeET4_jRbjT5_S1F_jjP12ihipStream_tbEUljE_ZNSN_ISO_Lb0ESR_SS_SU_SV_SZ_EES10_S11_S12_S13_S17_S18_S19_S1C_S1D_jS1E_jS1F_S1F_jjS1H_bEUljE0_EEES10_S11_S12_S19_S1D_S1F_T6_T7_T9_mT8_S1H_bDpT10_ENKUlT_T0_E_clISt17integral_constantIbLb1EES1U_IbLb0EEEEDaS1Q_S1R_EUlS1Q_E_NS1_11comp_targetILNS1_3genE3ELNS1_11target_archE908ELNS1_3gpuE7ELNS1_3repE0EEENS1_30default_config_static_selectorELNS0_4arch9wavefront6targetE0EEEvS13_
	.p2align	8
	.type	_ZN7rocprim17ROCPRIM_400000_NS6detail17trampoline_kernelINS0_13select_configILj256ELj13ELNS0_17block_load_methodE3ELS4_3ELS4_3ELNS0_20block_scan_algorithmE0ELj4294967295EEENS1_25partition_config_selectorILNS1_17partition_subalgoE4EjNS0_10empty_typeEbEEZZNS1_14partition_implILS8_4ELb0ES6_15HIP_vector_typeIjLj2EENS0_17counting_iteratorIjlEEPS9_SG_NS0_5tupleIJPjSI_NS0_16reverse_iteratorISI_EEEEENSH_IJSG_SG_SG_EEES9_SI_JZNS1_25segmented_radix_sort_implINS0_14default_configELb0EPK6__halfPSP_PKlPlN2at6native12_GLOBAL__N_18offset_tEEE10hipError_tPvRmT1_PNSt15iterator_traitsIS13_E10value_typeET2_T3_PNS14_IS19_E10value_typeET4_jRbjT5_S1F_jjP12ihipStream_tbEUljE_ZNSN_ISO_Lb0ESR_SS_SU_SV_SZ_EES10_S11_S12_S13_S17_S18_S19_S1C_S1D_jS1E_jS1F_S1F_jjS1H_bEUljE0_EEES10_S11_S12_S19_S1D_S1F_T6_T7_T9_mT8_S1H_bDpT10_ENKUlT_T0_E_clISt17integral_constantIbLb1EES1U_IbLb0EEEEDaS1Q_S1R_EUlS1Q_E_NS1_11comp_targetILNS1_3genE3ELNS1_11target_archE908ELNS1_3gpuE7ELNS1_3repE0EEENS1_30default_config_static_selectorELNS0_4arch9wavefront6targetE0EEEvS13_,@function
_ZN7rocprim17ROCPRIM_400000_NS6detail17trampoline_kernelINS0_13select_configILj256ELj13ELNS0_17block_load_methodE3ELS4_3ELS4_3ELNS0_20block_scan_algorithmE0ELj4294967295EEENS1_25partition_config_selectorILNS1_17partition_subalgoE4EjNS0_10empty_typeEbEEZZNS1_14partition_implILS8_4ELb0ES6_15HIP_vector_typeIjLj2EENS0_17counting_iteratorIjlEEPS9_SG_NS0_5tupleIJPjSI_NS0_16reverse_iteratorISI_EEEEENSH_IJSG_SG_SG_EEES9_SI_JZNS1_25segmented_radix_sort_implINS0_14default_configELb0EPK6__halfPSP_PKlPlN2at6native12_GLOBAL__N_18offset_tEEE10hipError_tPvRmT1_PNSt15iterator_traitsIS13_E10value_typeET2_T3_PNS14_IS19_E10value_typeET4_jRbjT5_S1F_jjP12ihipStream_tbEUljE_ZNSN_ISO_Lb0ESR_SS_SU_SV_SZ_EES10_S11_S12_S13_S17_S18_S19_S1C_S1D_jS1E_jS1F_S1F_jjS1H_bEUljE0_EEES10_S11_S12_S19_S1D_S1F_T6_T7_T9_mT8_S1H_bDpT10_ENKUlT_T0_E_clISt17integral_constantIbLb1EES1U_IbLb0EEEEDaS1Q_S1R_EUlS1Q_E_NS1_11comp_targetILNS1_3genE3ELNS1_11target_archE908ELNS1_3gpuE7ELNS1_3repE0EEENS1_30default_config_static_selectorELNS0_4arch9wavefront6targetE0EEEvS13_: ; @_ZN7rocprim17ROCPRIM_400000_NS6detail17trampoline_kernelINS0_13select_configILj256ELj13ELNS0_17block_load_methodE3ELS4_3ELS4_3ELNS0_20block_scan_algorithmE0ELj4294967295EEENS1_25partition_config_selectorILNS1_17partition_subalgoE4EjNS0_10empty_typeEbEEZZNS1_14partition_implILS8_4ELb0ES6_15HIP_vector_typeIjLj2EENS0_17counting_iteratorIjlEEPS9_SG_NS0_5tupleIJPjSI_NS0_16reverse_iteratorISI_EEEEENSH_IJSG_SG_SG_EEES9_SI_JZNS1_25segmented_radix_sort_implINS0_14default_configELb0EPK6__halfPSP_PKlPlN2at6native12_GLOBAL__N_18offset_tEEE10hipError_tPvRmT1_PNSt15iterator_traitsIS13_E10value_typeET2_T3_PNS14_IS19_E10value_typeET4_jRbjT5_S1F_jjP12ihipStream_tbEUljE_ZNSN_ISO_Lb0ESR_SS_SU_SV_SZ_EES10_S11_S12_S13_S17_S18_S19_S1C_S1D_jS1E_jS1F_S1F_jjS1H_bEUljE0_EEES10_S11_S12_S19_S1D_S1F_T6_T7_T9_mT8_S1H_bDpT10_ENKUlT_T0_E_clISt17integral_constantIbLb1EES1U_IbLb0EEEEDaS1Q_S1R_EUlS1Q_E_NS1_11comp_targetILNS1_3genE3ELNS1_11target_archE908ELNS1_3gpuE7ELNS1_3repE0EEENS1_30default_config_static_selectorELNS0_4arch9wavefront6targetE0EEEvS13_
; %bb.0:
	.section	.rodata,"a",@progbits
	.p2align	6, 0x0
	.amdhsa_kernel _ZN7rocprim17ROCPRIM_400000_NS6detail17trampoline_kernelINS0_13select_configILj256ELj13ELNS0_17block_load_methodE3ELS4_3ELS4_3ELNS0_20block_scan_algorithmE0ELj4294967295EEENS1_25partition_config_selectorILNS1_17partition_subalgoE4EjNS0_10empty_typeEbEEZZNS1_14partition_implILS8_4ELb0ES6_15HIP_vector_typeIjLj2EENS0_17counting_iteratorIjlEEPS9_SG_NS0_5tupleIJPjSI_NS0_16reverse_iteratorISI_EEEEENSH_IJSG_SG_SG_EEES9_SI_JZNS1_25segmented_radix_sort_implINS0_14default_configELb0EPK6__halfPSP_PKlPlN2at6native12_GLOBAL__N_18offset_tEEE10hipError_tPvRmT1_PNSt15iterator_traitsIS13_E10value_typeET2_T3_PNS14_IS19_E10value_typeET4_jRbjT5_S1F_jjP12ihipStream_tbEUljE_ZNSN_ISO_Lb0ESR_SS_SU_SV_SZ_EES10_S11_S12_S13_S17_S18_S19_S1C_S1D_jS1E_jS1F_S1F_jjS1H_bEUljE0_EEES10_S11_S12_S19_S1D_S1F_T6_T7_T9_mT8_S1H_bDpT10_ENKUlT_T0_E_clISt17integral_constantIbLb1EES1U_IbLb0EEEEDaS1Q_S1R_EUlS1Q_E_NS1_11comp_targetILNS1_3genE3ELNS1_11target_archE908ELNS1_3gpuE7ELNS1_3repE0EEENS1_30default_config_static_selectorELNS0_4arch9wavefront6targetE0EEEvS13_
		.amdhsa_group_segment_fixed_size 0
		.amdhsa_private_segment_fixed_size 0
		.amdhsa_kernarg_size 176
		.amdhsa_user_sgpr_count 2
		.amdhsa_user_sgpr_dispatch_ptr 0
		.amdhsa_user_sgpr_queue_ptr 0
		.amdhsa_user_sgpr_kernarg_segment_ptr 1
		.amdhsa_user_sgpr_dispatch_id 0
		.amdhsa_user_sgpr_private_segment_size 0
		.amdhsa_wavefront_size32 1
		.amdhsa_uses_dynamic_stack 0
		.amdhsa_enable_private_segment 0
		.amdhsa_system_sgpr_workgroup_id_x 1
		.amdhsa_system_sgpr_workgroup_id_y 0
		.amdhsa_system_sgpr_workgroup_id_z 0
		.amdhsa_system_sgpr_workgroup_info 0
		.amdhsa_system_vgpr_workitem_id 0
		.amdhsa_next_free_vgpr 1
		.amdhsa_next_free_sgpr 1
		.amdhsa_reserve_vcc 0
		.amdhsa_float_round_mode_32 0
		.amdhsa_float_round_mode_16_64 0
		.amdhsa_float_denorm_mode_32 3
		.amdhsa_float_denorm_mode_16_64 3
		.amdhsa_fp16_overflow 0
		.amdhsa_workgroup_processor_mode 1
		.amdhsa_memory_ordered 1
		.amdhsa_forward_progress 1
		.amdhsa_inst_pref_size 0
		.amdhsa_round_robin_scheduling 0
		.amdhsa_exception_fp_ieee_invalid_op 0
		.amdhsa_exception_fp_denorm_src 0
		.amdhsa_exception_fp_ieee_div_zero 0
		.amdhsa_exception_fp_ieee_overflow 0
		.amdhsa_exception_fp_ieee_underflow 0
		.amdhsa_exception_fp_ieee_inexact 0
		.amdhsa_exception_int_div_zero 0
	.end_amdhsa_kernel
	.section	.text._ZN7rocprim17ROCPRIM_400000_NS6detail17trampoline_kernelINS0_13select_configILj256ELj13ELNS0_17block_load_methodE3ELS4_3ELS4_3ELNS0_20block_scan_algorithmE0ELj4294967295EEENS1_25partition_config_selectorILNS1_17partition_subalgoE4EjNS0_10empty_typeEbEEZZNS1_14partition_implILS8_4ELb0ES6_15HIP_vector_typeIjLj2EENS0_17counting_iteratorIjlEEPS9_SG_NS0_5tupleIJPjSI_NS0_16reverse_iteratorISI_EEEEENSH_IJSG_SG_SG_EEES9_SI_JZNS1_25segmented_radix_sort_implINS0_14default_configELb0EPK6__halfPSP_PKlPlN2at6native12_GLOBAL__N_18offset_tEEE10hipError_tPvRmT1_PNSt15iterator_traitsIS13_E10value_typeET2_T3_PNS14_IS19_E10value_typeET4_jRbjT5_S1F_jjP12ihipStream_tbEUljE_ZNSN_ISO_Lb0ESR_SS_SU_SV_SZ_EES10_S11_S12_S13_S17_S18_S19_S1C_S1D_jS1E_jS1F_S1F_jjS1H_bEUljE0_EEES10_S11_S12_S19_S1D_S1F_T6_T7_T9_mT8_S1H_bDpT10_ENKUlT_T0_E_clISt17integral_constantIbLb1EES1U_IbLb0EEEEDaS1Q_S1R_EUlS1Q_E_NS1_11comp_targetILNS1_3genE3ELNS1_11target_archE908ELNS1_3gpuE7ELNS1_3repE0EEENS1_30default_config_static_selectorELNS0_4arch9wavefront6targetE0EEEvS13_,"axG",@progbits,_ZN7rocprim17ROCPRIM_400000_NS6detail17trampoline_kernelINS0_13select_configILj256ELj13ELNS0_17block_load_methodE3ELS4_3ELS4_3ELNS0_20block_scan_algorithmE0ELj4294967295EEENS1_25partition_config_selectorILNS1_17partition_subalgoE4EjNS0_10empty_typeEbEEZZNS1_14partition_implILS8_4ELb0ES6_15HIP_vector_typeIjLj2EENS0_17counting_iteratorIjlEEPS9_SG_NS0_5tupleIJPjSI_NS0_16reverse_iteratorISI_EEEEENSH_IJSG_SG_SG_EEES9_SI_JZNS1_25segmented_radix_sort_implINS0_14default_configELb0EPK6__halfPSP_PKlPlN2at6native12_GLOBAL__N_18offset_tEEE10hipError_tPvRmT1_PNSt15iterator_traitsIS13_E10value_typeET2_T3_PNS14_IS19_E10value_typeET4_jRbjT5_S1F_jjP12ihipStream_tbEUljE_ZNSN_ISO_Lb0ESR_SS_SU_SV_SZ_EES10_S11_S12_S13_S17_S18_S19_S1C_S1D_jS1E_jS1F_S1F_jjS1H_bEUljE0_EEES10_S11_S12_S19_S1D_S1F_T6_T7_T9_mT8_S1H_bDpT10_ENKUlT_T0_E_clISt17integral_constantIbLb1EES1U_IbLb0EEEEDaS1Q_S1R_EUlS1Q_E_NS1_11comp_targetILNS1_3genE3ELNS1_11target_archE908ELNS1_3gpuE7ELNS1_3repE0EEENS1_30default_config_static_selectorELNS0_4arch9wavefront6targetE0EEEvS13_,comdat
.Lfunc_end1797:
	.size	_ZN7rocprim17ROCPRIM_400000_NS6detail17trampoline_kernelINS0_13select_configILj256ELj13ELNS0_17block_load_methodE3ELS4_3ELS4_3ELNS0_20block_scan_algorithmE0ELj4294967295EEENS1_25partition_config_selectorILNS1_17partition_subalgoE4EjNS0_10empty_typeEbEEZZNS1_14partition_implILS8_4ELb0ES6_15HIP_vector_typeIjLj2EENS0_17counting_iteratorIjlEEPS9_SG_NS0_5tupleIJPjSI_NS0_16reverse_iteratorISI_EEEEENSH_IJSG_SG_SG_EEES9_SI_JZNS1_25segmented_radix_sort_implINS0_14default_configELb0EPK6__halfPSP_PKlPlN2at6native12_GLOBAL__N_18offset_tEEE10hipError_tPvRmT1_PNSt15iterator_traitsIS13_E10value_typeET2_T3_PNS14_IS19_E10value_typeET4_jRbjT5_S1F_jjP12ihipStream_tbEUljE_ZNSN_ISO_Lb0ESR_SS_SU_SV_SZ_EES10_S11_S12_S13_S17_S18_S19_S1C_S1D_jS1E_jS1F_S1F_jjS1H_bEUljE0_EEES10_S11_S12_S19_S1D_S1F_T6_T7_T9_mT8_S1H_bDpT10_ENKUlT_T0_E_clISt17integral_constantIbLb1EES1U_IbLb0EEEEDaS1Q_S1R_EUlS1Q_E_NS1_11comp_targetILNS1_3genE3ELNS1_11target_archE908ELNS1_3gpuE7ELNS1_3repE0EEENS1_30default_config_static_selectorELNS0_4arch9wavefront6targetE0EEEvS13_, .Lfunc_end1797-_ZN7rocprim17ROCPRIM_400000_NS6detail17trampoline_kernelINS0_13select_configILj256ELj13ELNS0_17block_load_methodE3ELS4_3ELS4_3ELNS0_20block_scan_algorithmE0ELj4294967295EEENS1_25partition_config_selectorILNS1_17partition_subalgoE4EjNS0_10empty_typeEbEEZZNS1_14partition_implILS8_4ELb0ES6_15HIP_vector_typeIjLj2EENS0_17counting_iteratorIjlEEPS9_SG_NS0_5tupleIJPjSI_NS0_16reverse_iteratorISI_EEEEENSH_IJSG_SG_SG_EEES9_SI_JZNS1_25segmented_radix_sort_implINS0_14default_configELb0EPK6__halfPSP_PKlPlN2at6native12_GLOBAL__N_18offset_tEEE10hipError_tPvRmT1_PNSt15iterator_traitsIS13_E10value_typeET2_T3_PNS14_IS19_E10value_typeET4_jRbjT5_S1F_jjP12ihipStream_tbEUljE_ZNSN_ISO_Lb0ESR_SS_SU_SV_SZ_EES10_S11_S12_S13_S17_S18_S19_S1C_S1D_jS1E_jS1F_S1F_jjS1H_bEUljE0_EEES10_S11_S12_S19_S1D_S1F_T6_T7_T9_mT8_S1H_bDpT10_ENKUlT_T0_E_clISt17integral_constantIbLb1EES1U_IbLb0EEEEDaS1Q_S1R_EUlS1Q_E_NS1_11comp_targetILNS1_3genE3ELNS1_11target_archE908ELNS1_3gpuE7ELNS1_3repE0EEENS1_30default_config_static_selectorELNS0_4arch9wavefront6targetE0EEEvS13_
                                        ; -- End function
	.set _ZN7rocprim17ROCPRIM_400000_NS6detail17trampoline_kernelINS0_13select_configILj256ELj13ELNS0_17block_load_methodE3ELS4_3ELS4_3ELNS0_20block_scan_algorithmE0ELj4294967295EEENS1_25partition_config_selectorILNS1_17partition_subalgoE4EjNS0_10empty_typeEbEEZZNS1_14partition_implILS8_4ELb0ES6_15HIP_vector_typeIjLj2EENS0_17counting_iteratorIjlEEPS9_SG_NS0_5tupleIJPjSI_NS0_16reverse_iteratorISI_EEEEENSH_IJSG_SG_SG_EEES9_SI_JZNS1_25segmented_radix_sort_implINS0_14default_configELb0EPK6__halfPSP_PKlPlN2at6native12_GLOBAL__N_18offset_tEEE10hipError_tPvRmT1_PNSt15iterator_traitsIS13_E10value_typeET2_T3_PNS14_IS19_E10value_typeET4_jRbjT5_S1F_jjP12ihipStream_tbEUljE_ZNSN_ISO_Lb0ESR_SS_SU_SV_SZ_EES10_S11_S12_S13_S17_S18_S19_S1C_S1D_jS1E_jS1F_S1F_jjS1H_bEUljE0_EEES10_S11_S12_S19_S1D_S1F_T6_T7_T9_mT8_S1H_bDpT10_ENKUlT_T0_E_clISt17integral_constantIbLb1EES1U_IbLb0EEEEDaS1Q_S1R_EUlS1Q_E_NS1_11comp_targetILNS1_3genE3ELNS1_11target_archE908ELNS1_3gpuE7ELNS1_3repE0EEENS1_30default_config_static_selectorELNS0_4arch9wavefront6targetE0EEEvS13_.num_vgpr, 0
	.set _ZN7rocprim17ROCPRIM_400000_NS6detail17trampoline_kernelINS0_13select_configILj256ELj13ELNS0_17block_load_methodE3ELS4_3ELS4_3ELNS0_20block_scan_algorithmE0ELj4294967295EEENS1_25partition_config_selectorILNS1_17partition_subalgoE4EjNS0_10empty_typeEbEEZZNS1_14partition_implILS8_4ELb0ES6_15HIP_vector_typeIjLj2EENS0_17counting_iteratorIjlEEPS9_SG_NS0_5tupleIJPjSI_NS0_16reverse_iteratorISI_EEEEENSH_IJSG_SG_SG_EEES9_SI_JZNS1_25segmented_radix_sort_implINS0_14default_configELb0EPK6__halfPSP_PKlPlN2at6native12_GLOBAL__N_18offset_tEEE10hipError_tPvRmT1_PNSt15iterator_traitsIS13_E10value_typeET2_T3_PNS14_IS19_E10value_typeET4_jRbjT5_S1F_jjP12ihipStream_tbEUljE_ZNSN_ISO_Lb0ESR_SS_SU_SV_SZ_EES10_S11_S12_S13_S17_S18_S19_S1C_S1D_jS1E_jS1F_S1F_jjS1H_bEUljE0_EEES10_S11_S12_S19_S1D_S1F_T6_T7_T9_mT8_S1H_bDpT10_ENKUlT_T0_E_clISt17integral_constantIbLb1EES1U_IbLb0EEEEDaS1Q_S1R_EUlS1Q_E_NS1_11comp_targetILNS1_3genE3ELNS1_11target_archE908ELNS1_3gpuE7ELNS1_3repE0EEENS1_30default_config_static_selectorELNS0_4arch9wavefront6targetE0EEEvS13_.num_agpr, 0
	.set _ZN7rocprim17ROCPRIM_400000_NS6detail17trampoline_kernelINS0_13select_configILj256ELj13ELNS0_17block_load_methodE3ELS4_3ELS4_3ELNS0_20block_scan_algorithmE0ELj4294967295EEENS1_25partition_config_selectorILNS1_17partition_subalgoE4EjNS0_10empty_typeEbEEZZNS1_14partition_implILS8_4ELb0ES6_15HIP_vector_typeIjLj2EENS0_17counting_iteratorIjlEEPS9_SG_NS0_5tupleIJPjSI_NS0_16reverse_iteratorISI_EEEEENSH_IJSG_SG_SG_EEES9_SI_JZNS1_25segmented_radix_sort_implINS0_14default_configELb0EPK6__halfPSP_PKlPlN2at6native12_GLOBAL__N_18offset_tEEE10hipError_tPvRmT1_PNSt15iterator_traitsIS13_E10value_typeET2_T3_PNS14_IS19_E10value_typeET4_jRbjT5_S1F_jjP12ihipStream_tbEUljE_ZNSN_ISO_Lb0ESR_SS_SU_SV_SZ_EES10_S11_S12_S13_S17_S18_S19_S1C_S1D_jS1E_jS1F_S1F_jjS1H_bEUljE0_EEES10_S11_S12_S19_S1D_S1F_T6_T7_T9_mT8_S1H_bDpT10_ENKUlT_T0_E_clISt17integral_constantIbLb1EES1U_IbLb0EEEEDaS1Q_S1R_EUlS1Q_E_NS1_11comp_targetILNS1_3genE3ELNS1_11target_archE908ELNS1_3gpuE7ELNS1_3repE0EEENS1_30default_config_static_selectorELNS0_4arch9wavefront6targetE0EEEvS13_.numbered_sgpr, 0
	.set _ZN7rocprim17ROCPRIM_400000_NS6detail17trampoline_kernelINS0_13select_configILj256ELj13ELNS0_17block_load_methodE3ELS4_3ELS4_3ELNS0_20block_scan_algorithmE0ELj4294967295EEENS1_25partition_config_selectorILNS1_17partition_subalgoE4EjNS0_10empty_typeEbEEZZNS1_14partition_implILS8_4ELb0ES6_15HIP_vector_typeIjLj2EENS0_17counting_iteratorIjlEEPS9_SG_NS0_5tupleIJPjSI_NS0_16reverse_iteratorISI_EEEEENSH_IJSG_SG_SG_EEES9_SI_JZNS1_25segmented_radix_sort_implINS0_14default_configELb0EPK6__halfPSP_PKlPlN2at6native12_GLOBAL__N_18offset_tEEE10hipError_tPvRmT1_PNSt15iterator_traitsIS13_E10value_typeET2_T3_PNS14_IS19_E10value_typeET4_jRbjT5_S1F_jjP12ihipStream_tbEUljE_ZNSN_ISO_Lb0ESR_SS_SU_SV_SZ_EES10_S11_S12_S13_S17_S18_S19_S1C_S1D_jS1E_jS1F_S1F_jjS1H_bEUljE0_EEES10_S11_S12_S19_S1D_S1F_T6_T7_T9_mT8_S1H_bDpT10_ENKUlT_T0_E_clISt17integral_constantIbLb1EES1U_IbLb0EEEEDaS1Q_S1R_EUlS1Q_E_NS1_11comp_targetILNS1_3genE3ELNS1_11target_archE908ELNS1_3gpuE7ELNS1_3repE0EEENS1_30default_config_static_selectorELNS0_4arch9wavefront6targetE0EEEvS13_.num_named_barrier, 0
	.set _ZN7rocprim17ROCPRIM_400000_NS6detail17trampoline_kernelINS0_13select_configILj256ELj13ELNS0_17block_load_methodE3ELS4_3ELS4_3ELNS0_20block_scan_algorithmE0ELj4294967295EEENS1_25partition_config_selectorILNS1_17partition_subalgoE4EjNS0_10empty_typeEbEEZZNS1_14partition_implILS8_4ELb0ES6_15HIP_vector_typeIjLj2EENS0_17counting_iteratorIjlEEPS9_SG_NS0_5tupleIJPjSI_NS0_16reverse_iteratorISI_EEEEENSH_IJSG_SG_SG_EEES9_SI_JZNS1_25segmented_radix_sort_implINS0_14default_configELb0EPK6__halfPSP_PKlPlN2at6native12_GLOBAL__N_18offset_tEEE10hipError_tPvRmT1_PNSt15iterator_traitsIS13_E10value_typeET2_T3_PNS14_IS19_E10value_typeET4_jRbjT5_S1F_jjP12ihipStream_tbEUljE_ZNSN_ISO_Lb0ESR_SS_SU_SV_SZ_EES10_S11_S12_S13_S17_S18_S19_S1C_S1D_jS1E_jS1F_S1F_jjS1H_bEUljE0_EEES10_S11_S12_S19_S1D_S1F_T6_T7_T9_mT8_S1H_bDpT10_ENKUlT_T0_E_clISt17integral_constantIbLb1EES1U_IbLb0EEEEDaS1Q_S1R_EUlS1Q_E_NS1_11comp_targetILNS1_3genE3ELNS1_11target_archE908ELNS1_3gpuE7ELNS1_3repE0EEENS1_30default_config_static_selectorELNS0_4arch9wavefront6targetE0EEEvS13_.private_seg_size, 0
	.set _ZN7rocprim17ROCPRIM_400000_NS6detail17trampoline_kernelINS0_13select_configILj256ELj13ELNS0_17block_load_methodE3ELS4_3ELS4_3ELNS0_20block_scan_algorithmE0ELj4294967295EEENS1_25partition_config_selectorILNS1_17partition_subalgoE4EjNS0_10empty_typeEbEEZZNS1_14partition_implILS8_4ELb0ES6_15HIP_vector_typeIjLj2EENS0_17counting_iteratorIjlEEPS9_SG_NS0_5tupleIJPjSI_NS0_16reverse_iteratorISI_EEEEENSH_IJSG_SG_SG_EEES9_SI_JZNS1_25segmented_radix_sort_implINS0_14default_configELb0EPK6__halfPSP_PKlPlN2at6native12_GLOBAL__N_18offset_tEEE10hipError_tPvRmT1_PNSt15iterator_traitsIS13_E10value_typeET2_T3_PNS14_IS19_E10value_typeET4_jRbjT5_S1F_jjP12ihipStream_tbEUljE_ZNSN_ISO_Lb0ESR_SS_SU_SV_SZ_EES10_S11_S12_S13_S17_S18_S19_S1C_S1D_jS1E_jS1F_S1F_jjS1H_bEUljE0_EEES10_S11_S12_S19_S1D_S1F_T6_T7_T9_mT8_S1H_bDpT10_ENKUlT_T0_E_clISt17integral_constantIbLb1EES1U_IbLb0EEEEDaS1Q_S1R_EUlS1Q_E_NS1_11comp_targetILNS1_3genE3ELNS1_11target_archE908ELNS1_3gpuE7ELNS1_3repE0EEENS1_30default_config_static_selectorELNS0_4arch9wavefront6targetE0EEEvS13_.uses_vcc, 0
	.set _ZN7rocprim17ROCPRIM_400000_NS6detail17trampoline_kernelINS0_13select_configILj256ELj13ELNS0_17block_load_methodE3ELS4_3ELS4_3ELNS0_20block_scan_algorithmE0ELj4294967295EEENS1_25partition_config_selectorILNS1_17partition_subalgoE4EjNS0_10empty_typeEbEEZZNS1_14partition_implILS8_4ELb0ES6_15HIP_vector_typeIjLj2EENS0_17counting_iteratorIjlEEPS9_SG_NS0_5tupleIJPjSI_NS0_16reverse_iteratorISI_EEEEENSH_IJSG_SG_SG_EEES9_SI_JZNS1_25segmented_radix_sort_implINS0_14default_configELb0EPK6__halfPSP_PKlPlN2at6native12_GLOBAL__N_18offset_tEEE10hipError_tPvRmT1_PNSt15iterator_traitsIS13_E10value_typeET2_T3_PNS14_IS19_E10value_typeET4_jRbjT5_S1F_jjP12ihipStream_tbEUljE_ZNSN_ISO_Lb0ESR_SS_SU_SV_SZ_EES10_S11_S12_S13_S17_S18_S19_S1C_S1D_jS1E_jS1F_S1F_jjS1H_bEUljE0_EEES10_S11_S12_S19_S1D_S1F_T6_T7_T9_mT8_S1H_bDpT10_ENKUlT_T0_E_clISt17integral_constantIbLb1EES1U_IbLb0EEEEDaS1Q_S1R_EUlS1Q_E_NS1_11comp_targetILNS1_3genE3ELNS1_11target_archE908ELNS1_3gpuE7ELNS1_3repE0EEENS1_30default_config_static_selectorELNS0_4arch9wavefront6targetE0EEEvS13_.uses_flat_scratch, 0
	.set _ZN7rocprim17ROCPRIM_400000_NS6detail17trampoline_kernelINS0_13select_configILj256ELj13ELNS0_17block_load_methodE3ELS4_3ELS4_3ELNS0_20block_scan_algorithmE0ELj4294967295EEENS1_25partition_config_selectorILNS1_17partition_subalgoE4EjNS0_10empty_typeEbEEZZNS1_14partition_implILS8_4ELb0ES6_15HIP_vector_typeIjLj2EENS0_17counting_iteratorIjlEEPS9_SG_NS0_5tupleIJPjSI_NS0_16reverse_iteratorISI_EEEEENSH_IJSG_SG_SG_EEES9_SI_JZNS1_25segmented_radix_sort_implINS0_14default_configELb0EPK6__halfPSP_PKlPlN2at6native12_GLOBAL__N_18offset_tEEE10hipError_tPvRmT1_PNSt15iterator_traitsIS13_E10value_typeET2_T3_PNS14_IS19_E10value_typeET4_jRbjT5_S1F_jjP12ihipStream_tbEUljE_ZNSN_ISO_Lb0ESR_SS_SU_SV_SZ_EES10_S11_S12_S13_S17_S18_S19_S1C_S1D_jS1E_jS1F_S1F_jjS1H_bEUljE0_EEES10_S11_S12_S19_S1D_S1F_T6_T7_T9_mT8_S1H_bDpT10_ENKUlT_T0_E_clISt17integral_constantIbLb1EES1U_IbLb0EEEEDaS1Q_S1R_EUlS1Q_E_NS1_11comp_targetILNS1_3genE3ELNS1_11target_archE908ELNS1_3gpuE7ELNS1_3repE0EEENS1_30default_config_static_selectorELNS0_4arch9wavefront6targetE0EEEvS13_.has_dyn_sized_stack, 0
	.set _ZN7rocprim17ROCPRIM_400000_NS6detail17trampoline_kernelINS0_13select_configILj256ELj13ELNS0_17block_load_methodE3ELS4_3ELS4_3ELNS0_20block_scan_algorithmE0ELj4294967295EEENS1_25partition_config_selectorILNS1_17partition_subalgoE4EjNS0_10empty_typeEbEEZZNS1_14partition_implILS8_4ELb0ES6_15HIP_vector_typeIjLj2EENS0_17counting_iteratorIjlEEPS9_SG_NS0_5tupleIJPjSI_NS0_16reverse_iteratorISI_EEEEENSH_IJSG_SG_SG_EEES9_SI_JZNS1_25segmented_radix_sort_implINS0_14default_configELb0EPK6__halfPSP_PKlPlN2at6native12_GLOBAL__N_18offset_tEEE10hipError_tPvRmT1_PNSt15iterator_traitsIS13_E10value_typeET2_T3_PNS14_IS19_E10value_typeET4_jRbjT5_S1F_jjP12ihipStream_tbEUljE_ZNSN_ISO_Lb0ESR_SS_SU_SV_SZ_EES10_S11_S12_S13_S17_S18_S19_S1C_S1D_jS1E_jS1F_S1F_jjS1H_bEUljE0_EEES10_S11_S12_S19_S1D_S1F_T6_T7_T9_mT8_S1H_bDpT10_ENKUlT_T0_E_clISt17integral_constantIbLb1EES1U_IbLb0EEEEDaS1Q_S1R_EUlS1Q_E_NS1_11comp_targetILNS1_3genE3ELNS1_11target_archE908ELNS1_3gpuE7ELNS1_3repE0EEENS1_30default_config_static_selectorELNS0_4arch9wavefront6targetE0EEEvS13_.has_recursion, 0
	.set _ZN7rocprim17ROCPRIM_400000_NS6detail17trampoline_kernelINS0_13select_configILj256ELj13ELNS0_17block_load_methodE3ELS4_3ELS4_3ELNS0_20block_scan_algorithmE0ELj4294967295EEENS1_25partition_config_selectorILNS1_17partition_subalgoE4EjNS0_10empty_typeEbEEZZNS1_14partition_implILS8_4ELb0ES6_15HIP_vector_typeIjLj2EENS0_17counting_iteratorIjlEEPS9_SG_NS0_5tupleIJPjSI_NS0_16reverse_iteratorISI_EEEEENSH_IJSG_SG_SG_EEES9_SI_JZNS1_25segmented_radix_sort_implINS0_14default_configELb0EPK6__halfPSP_PKlPlN2at6native12_GLOBAL__N_18offset_tEEE10hipError_tPvRmT1_PNSt15iterator_traitsIS13_E10value_typeET2_T3_PNS14_IS19_E10value_typeET4_jRbjT5_S1F_jjP12ihipStream_tbEUljE_ZNSN_ISO_Lb0ESR_SS_SU_SV_SZ_EES10_S11_S12_S13_S17_S18_S19_S1C_S1D_jS1E_jS1F_S1F_jjS1H_bEUljE0_EEES10_S11_S12_S19_S1D_S1F_T6_T7_T9_mT8_S1H_bDpT10_ENKUlT_T0_E_clISt17integral_constantIbLb1EES1U_IbLb0EEEEDaS1Q_S1R_EUlS1Q_E_NS1_11comp_targetILNS1_3genE3ELNS1_11target_archE908ELNS1_3gpuE7ELNS1_3repE0EEENS1_30default_config_static_selectorELNS0_4arch9wavefront6targetE0EEEvS13_.has_indirect_call, 0
	.section	.AMDGPU.csdata,"",@progbits
; Kernel info:
; codeLenInByte = 0
; TotalNumSgprs: 0
; NumVgprs: 0
; ScratchSize: 0
; MemoryBound: 0
; FloatMode: 240
; IeeeMode: 1
; LDSByteSize: 0 bytes/workgroup (compile time only)
; SGPRBlocks: 0
; VGPRBlocks: 0
; NumSGPRsForWavesPerEU: 1
; NumVGPRsForWavesPerEU: 1
; Occupancy: 16
; WaveLimiterHint : 0
; COMPUTE_PGM_RSRC2:SCRATCH_EN: 0
; COMPUTE_PGM_RSRC2:USER_SGPR: 2
; COMPUTE_PGM_RSRC2:TRAP_HANDLER: 0
; COMPUTE_PGM_RSRC2:TGID_X_EN: 1
; COMPUTE_PGM_RSRC2:TGID_Y_EN: 0
; COMPUTE_PGM_RSRC2:TGID_Z_EN: 0
; COMPUTE_PGM_RSRC2:TIDIG_COMP_CNT: 0
	.section	.text._ZN7rocprim17ROCPRIM_400000_NS6detail17trampoline_kernelINS0_13select_configILj256ELj13ELNS0_17block_load_methodE3ELS4_3ELS4_3ELNS0_20block_scan_algorithmE0ELj4294967295EEENS1_25partition_config_selectorILNS1_17partition_subalgoE4EjNS0_10empty_typeEbEEZZNS1_14partition_implILS8_4ELb0ES6_15HIP_vector_typeIjLj2EENS0_17counting_iteratorIjlEEPS9_SG_NS0_5tupleIJPjSI_NS0_16reverse_iteratorISI_EEEEENSH_IJSG_SG_SG_EEES9_SI_JZNS1_25segmented_radix_sort_implINS0_14default_configELb0EPK6__halfPSP_PKlPlN2at6native12_GLOBAL__N_18offset_tEEE10hipError_tPvRmT1_PNSt15iterator_traitsIS13_E10value_typeET2_T3_PNS14_IS19_E10value_typeET4_jRbjT5_S1F_jjP12ihipStream_tbEUljE_ZNSN_ISO_Lb0ESR_SS_SU_SV_SZ_EES10_S11_S12_S13_S17_S18_S19_S1C_S1D_jS1E_jS1F_S1F_jjS1H_bEUljE0_EEES10_S11_S12_S19_S1D_S1F_T6_T7_T9_mT8_S1H_bDpT10_ENKUlT_T0_E_clISt17integral_constantIbLb1EES1U_IbLb0EEEEDaS1Q_S1R_EUlS1Q_E_NS1_11comp_targetILNS1_3genE2ELNS1_11target_archE906ELNS1_3gpuE6ELNS1_3repE0EEENS1_30default_config_static_selectorELNS0_4arch9wavefront6targetE0EEEvS13_,"axG",@progbits,_ZN7rocprim17ROCPRIM_400000_NS6detail17trampoline_kernelINS0_13select_configILj256ELj13ELNS0_17block_load_methodE3ELS4_3ELS4_3ELNS0_20block_scan_algorithmE0ELj4294967295EEENS1_25partition_config_selectorILNS1_17partition_subalgoE4EjNS0_10empty_typeEbEEZZNS1_14partition_implILS8_4ELb0ES6_15HIP_vector_typeIjLj2EENS0_17counting_iteratorIjlEEPS9_SG_NS0_5tupleIJPjSI_NS0_16reverse_iteratorISI_EEEEENSH_IJSG_SG_SG_EEES9_SI_JZNS1_25segmented_radix_sort_implINS0_14default_configELb0EPK6__halfPSP_PKlPlN2at6native12_GLOBAL__N_18offset_tEEE10hipError_tPvRmT1_PNSt15iterator_traitsIS13_E10value_typeET2_T3_PNS14_IS19_E10value_typeET4_jRbjT5_S1F_jjP12ihipStream_tbEUljE_ZNSN_ISO_Lb0ESR_SS_SU_SV_SZ_EES10_S11_S12_S13_S17_S18_S19_S1C_S1D_jS1E_jS1F_S1F_jjS1H_bEUljE0_EEES10_S11_S12_S19_S1D_S1F_T6_T7_T9_mT8_S1H_bDpT10_ENKUlT_T0_E_clISt17integral_constantIbLb1EES1U_IbLb0EEEEDaS1Q_S1R_EUlS1Q_E_NS1_11comp_targetILNS1_3genE2ELNS1_11target_archE906ELNS1_3gpuE6ELNS1_3repE0EEENS1_30default_config_static_selectorELNS0_4arch9wavefront6targetE0EEEvS13_,comdat
	.globl	_ZN7rocprim17ROCPRIM_400000_NS6detail17trampoline_kernelINS0_13select_configILj256ELj13ELNS0_17block_load_methodE3ELS4_3ELS4_3ELNS0_20block_scan_algorithmE0ELj4294967295EEENS1_25partition_config_selectorILNS1_17partition_subalgoE4EjNS0_10empty_typeEbEEZZNS1_14partition_implILS8_4ELb0ES6_15HIP_vector_typeIjLj2EENS0_17counting_iteratorIjlEEPS9_SG_NS0_5tupleIJPjSI_NS0_16reverse_iteratorISI_EEEEENSH_IJSG_SG_SG_EEES9_SI_JZNS1_25segmented_radix_sort_implINS0_14default_configELb0EPK6__halfPSP_PKlPlN2at6native12_GLOBAL__N_18offset_tEEE10hipError_tPvRmT1_PNSt15iterator_traitsIS13_E10value_typeET2_T3_PNS14_IS19_E10value_typeET4_jRbjT5_S1F_jjP12ihipStream_tbEUljE_ZNSN_ISO_Lb0ESR_SS_SU_SV_SZ_EES10_S11_S12_S13_S17_S18_S19_S1C_S1D_jS1E_jS1F_S1F_jjS1H_bEUljE0_EEES10_S11_S12_S19_S1D_S1F_T6_T7_T9_mT8_S1H_bDpT10_ENKUlT_T0_E_clISt17integral_constantIbLb1EES1U_IbLb0EEEEDaS1Q_S1R_EUlS1Q_E_NS1_11comp_targetILNS1_3genE2ELNS1_11target_archE906ELNS1_3gpuE6ELNS1_3repE0EEENS1_30default_config_static_selectorELNS0_4arch9wavefront6targetE0EEEvS13_ ; -- Begin function _ZN7rocprim17ROCPRIM_400000_NS6detail17trampoline_kernelINS0_13select_configILj256ELj13ELNS0_17block_load_methodE3ELS4_3ELS4_3ELNS0_20block_scan_algorithmE0ELj4294967295EEENS1_25partition_config_selectorILNS1_17partition_subalgoE4EjNS0_10empty_typeEbEEZZNS1_14partition_implILS8_4ELb0ES6_15HIP_vector_typeIjLj2EENS0_17counting_iteratorIjlEEPS9_SG_NS0_5tupleIJPjSI_NS0_16reverse_iteratorISI_EEEEENSH_IJSG_SG_SG_EEES9_SI_JZNS1_25segmented_radix_sort_implINS0_14default_configELb0EPK6__halfPSP_PKlPlN2at6native12_GLOBAL__N_18offset_tEEE10hipError_tPvRmT1_PNSt15iterator_traitsIS13_E10value_typeET2_T3_PNS14_IS19_E10value_typeET4_jRbjT5_S1F_jjP12ihipStream_tbEUljE_ZNSN_ISO_Lb0ESR_SS_SU_SV_SZ_EES10_S11_S12_S13_S17_S18_S19_S1C_S1D_jS1E_jS1F_S1F_jjS1H_bEUljE0_EEES10_S11_S12_S19_S1D_S1F_T6_T7_T9_mT8_S1H_bDpT10_ENKUlT_T0_E_clISt17integral_constantIbLb1EES1U_IbLb0EEEEDaS1Q_S1R_EUlS1Q_E_NS1_11comp_targetILNS1_3genE2ELNS1_11target_archE906ELNS1_3gpuE6ELNS1_3repE0EEENS1_30default_config_static_selectorELNS0_4arch9wavefront6targetE0EEEvS13_
	.p2align	8
	.type	_ZN7rocprim17ROCPRIM_400000_NS6detail17trampoline_kernelINS0_13select_configILj256ELj13ELNS0_17block_load_methodE3ELS4_3ELS4_3ELNS0_20block_scan_algorithmE0ELj4294967295EEENS1_25partition_config_selectorILNS1_17partition_subalgoE4EjNS0_10empty_typeEbEEZZNS1_14partition_implILS8_4ELb0ES6_15HIP_vector_typeIjLj2EENS0_17counting_iteratorIjlEEPS9_SG_NS0_5tupleIJPjSI_NS0_16reverse_iteratorISI_EEEEENSH_IJSG_SG_SG_EEES9_SI_JZNS1_25segmented_radix_sort_implINS0_14default_configELb0EPK6__halfPSP_PKlPlN2at6native12_GLOBAL__N_18offset_tEEE10hipError_tPvRmT1_PNSt15iterator_traitsIS13_E10value_typeET2_T3_PNS14_IS19_E10value_typeET4_jRbjT5_S1F_jjP12ihipStream_tbEUljE_ZNSN_ISO_Lb0ESR_SS_SU_SV_SZ_EES10_S11_S12_S13_S17_S18_S19_S1C_S1D_jS1E_jS1F_S1F_jjS1H_bEUljE0_EEES10_S11_S12_S19_S1D_S1F_T6_T7_T9_mT8_S1H_bDpT10_ENKUlT_T0_E_clISt17integral_constantIbLb1EES1U_IbLb0EEEEDaS1Q_S1R_EUlS1Q_E_NS1_11comp_targetILNS1_3genE2ELNS1_11target_archE906ELNS1_3gpuE6ELNS1_3repE0EEENS1_30default_config_static_selectorELNS0_4arch9wavefront6targetE0EEEvS13_,@function
_ZN7rocprim17ROCPRIM_400000_NS6detail17trampoline_kernelINS0_13select_configILj256ELj13ELNS0_17block_load_methodE3ELS4_3ELS4_3ELNS0_20block_scan_algorithmE0ELj4294967295EEENS1_25partition_config_selectorILNS1_17partition_subalgoE4EjNS0_10empty_typeEbEEZZNS1_14partition_implILS8_4ELb0ES6_15HIP_vector_typeIjLj2EENS0_17counting_iteratorIjlEEPS9_SG_NS0_5tupleIJPjSI_NS0_16reverse_iteratorISI_EEEEENSH_IJSG_SG_SG_EEES9_SI_JZNS1_25segmented_radix_sort_implINS0_14default_configELb0EPK6__halfPSP_PKlPlN2at6native12_GLOBAL__N_18offset_tEEE10hipError_tPvRmT1_PNSt15iterator_traitsIS13_E10value_typeET2_T3_PNS14_IS19_E10value_typeET4_jRbjT5_S1F_jjP12ihipStream_tbEUljE_ZNSN_ISO_Lb0ESR_SS_SU_SV_SZ_EES10_S11_S12_S13_S17_S18_S19_S1C_S1D_jS1E_jS1F_S1F_jjS1H_bEUljE0_EEES10_S11_S12_S19_S1D_S1F_T6_T7_T9_mT8_S1H_bDpT10_ENKUlT_T0_E_clISt17integral_constantIbLb1EES1U_IbLb0EEEEDaS1Q_S1R_EUlS1Q_E_NS1_11comp_targetILNS1_3genE2ELNS1_11target_archE906ELNS1_3gpuE6ELNS1_3repE0EEENS1_30default_config_static_selectorELNS0_4arch9wavefront6targetE0EEEvS13_: ; @_ZN7rocprim17ROCPRIM_400000_NS6detail17trampoline_kernelINS0_13select_configILj256ELj13ELNS0_17block_load_methodE3ELS4_3ELS4_3ELNS0_20block_scan_algorithmE0ELj4294967295EEENS1_25partition_config_selectorILNS1_17partition_subalgoE4EjNS0_10empty_typeEbEEZZNS1_14partition_implILS8_4ELb0ES6_15HIP_vector_typeIjLj2EENS0_17counting_iteratorIjlEEPS9_SG_NS0_5tupleIJPjSI_NS0_16reverse_iteratorISI_EEEEENSH_IJSG_SG_SG_EEES9_SI_JZNS1_25segmented_radix_sort_implINS0_14default_configELb0EPK6__halfPSP_PKlPlN2at6native12_GLOBAL__N_18offset_tEEE10hipError_tPvRmT1_PNSt15iterator_traitsIS13_E10value_typeET2_T3_PNS14_IS19_E10value_typeET4_jRbjT5_S1F_jjP12ihipStream_tbEUljE_ZNSN_ISO_Lb0ESR_SS_SU_SV_SZ_EES10_S11_S12_S13_S17_S18_S19_S1C_S1D_jS1E_jS1F_S1F_jjS1H_bEUljE0_EEES10_S11_S12_S19_S1D_S1F_T6_T7_T9_mT8_S1H_bDpT10_ENKUlT_T0_E_clISt17integral_constantIbLb1EES1U_IbLb0EEEEDaS1Q_S1R_EUlS1Q_E_NS1_11comp_targetILNS1_3genE2ELNS1_11target_archE906ELNS1_3gpuE6ELNS1_3repE0EEENS1_30default_config_static_selectorELNS0_4arch9wavefront6targetE0EEEvS13_
; %bb.0:
	.section	.rodata,"a",@progbits
	.p2align	6, 0x0
	.amdhsa_kernel _ZN7rocprim17ROCPRIM_400000_NS6detail17trampoline_kernelINS0_13select_configILj256ELj13ELNS0_17block_load_methodE3ELS4_3ELS4_3ELNS0_20block_scan_algorithmE0ELj4294967295EEENS1_25partition_config_selectorILNS1_17partition_subalgoE4EjNS0_10empty_typeEbEEZZNS1_14partition_implILS8_4ELb0ES6_15HIP_vector_typeIjLj2EENS0_17counting_iteratorIjlEEPS9_SG_NS0_5tupleIJPjSI_NS0_16reverse_iteratorISI_EEEEENSH_IJSG_SG_SG_EEES9_SI_JZNS1_25segmented_radix_sort_implINS0_14default_configELb0EPK6__halfPSP_PKlPlN2at6native12_GLOBAL__N_18offset_tEEE10hipError_tPvRmT1_PNSt15iterator_traitsIS13_E10value_typeET2_T3_PNS14_IS19_E10value_typeET4_jRbjT5_S1F_jjP12ihipStream_tbEUljE_ZNSN_ISO_Lb0ESR_SS_SU_SV_SZ_EES10_S11_S12_S13_S17_S18_S19_S1C_S1D_jS1E_jS1F_S1F_jjS1H_bEUljE0_EEES10_S11_S12_S19_S1D_S1F_T6_T7_T9_mT8_S1H_bDpT10_ENKUlT_T0_E_clISt17integral_constantIbLb1EES1U_IbLb0EEEEDaS1Q_S1R_EUlS1Q_E_NS1_11comp_targetILNS1_3genE2ELNS1_11target_archE906ELNS1_3gpuE6ELNS1_3repE0EEENS1_30default_config_static_selectorELNS0_4arch9wavefront6targetE0EEEvS13_
		.amdhsa_group_segment_fixed_size 0
		.amdhsa_private_segment_fixed_size 0
		.amdhsa_kernarg_size 176
		.amdhsa_user_sgpr_count 2
		.amdhsa_user_sgpr_dispatch_ptr 0
		.amdhsa_user_sgpr_queue_ptr 0
		.amdhsa_user_sgpr_kernarg_segment_ptr 1
		.amdhsa_user_sgpr_dispatch_id 0
		.amdhsa_user_sgpr_private_segment_size 0
		.amdhsa_wavefront_size32 1
		.amdhsa_uses_dynamic_stack 0
		.amdhsa_enable_private_segment 0
		.amdhsa_system_sgpr_workgroup_id_x 1
		.amdhsa_system_sgpr_workgroup_id_y 0
		.amdhsa_system_sgpr_workgroup_id_z 0
		.amdhsa_system_sgpr_workgroup_info 0
		.amdhsa_system_vgpr_workitem_id 0
		.amdhsa_next_free_vgpr 1
		.amdhsa_next_free_sgpr 1
		.amdhsa_reserve_vcc 0
		.amdhsa_float_round_mode_32 0
		.amdhsa_float_round_mode_16_64 0
		.amdhsa_float_denorm_mode_32 3
		.amdhsa_float_denorm_mode_16_64 3
		.amdhsa_fp16_overflow 0
		.amdhsa_workgroup_processor_mode 1
		.amdhsa_memory_ordered 1
		.amdhsa_forward_progress 1
		.amdhsa_inst_pref_size 0
		.amdhsa_round_robin_scheduling 0
		.amdhsa_exception_fp_ieee_invalid_op 0
		.amdhsa_exception_fp_denorm_src 0
		.amdhsa_exception_fp_ieee_div_zero 0
		.amdhsa_exception_fp_ieee_overflow 0
		.amdhsa_exception_fp_ieee_underflow 0
		.amdhsa_exception_fp_ieee_inexact 0
		.amdhsa_exception_int_div_zero 0
	.end_amdhsa_kernel
	.section	.text._ZN7rocprim17ROCPRIM_400000_NS6detail17trampoline_kernelINS0_13select_configILj256ELj13ELNS0_17block_load_methodE3ELS4_3ELS4_3ELNS0_20block_scan_algorithmE0ELj4294967295EEENS1_25partition_config_selectorILNS1_17partition_subalgoE4EjNS0_10empty_typeEbEEZZNS1_14partition_implILS8_4ELb0ES6_15HIP_vector_typeIjLj2EENS0_17counting_iteratorIjlEEPS9_SG_NS0_5tupleIJPjSI_NS0_16reverse_iteratorISI_EEEEENSH_IJSG_SG_SG_EEES9_SI_JZNS1_25segmented_radix_sort_implINS0_14default_configELb0EPK6__halfPSP_PKlPlN2at6native12_GLOBAL__N_18offset_tEEE10hipError_tPvRmT1_PNSt15iterator_traitsIS13_E10value_typeET2_T3_PNS14_IS19_E10value_typeET4_jRbjT5_S1F_jjP12ihipStream_tbEUljE_ZNSN_ISO_Lb0ESR_SS_SU_SV_SZ_EES10_S11_S12_S13_S17_S18_S19_S1C_S1D_jS1E_jS1F_S1F_jjS1H_bEUljE0_EEES10_S11_S12_S19_S1D_S1F_T6_T7_T9_mT8_S1H_bDpT10_ENKUlT_T0_E_clISt17integral_constantIbLb1EES1U_IbLb0EEEEDaS1Q_S1R_EUlS1Q_E_NS1_11comp_targetILNS1_3genE2ELNS1_11target_archE906ELNS1_3gpuE6ELNS1_3repE0EEENS1_30default_config_static_selectorELNS0_4arch9wavefront6targetE0EEEvS13_,"axG",@progbits,_ZN7rocprim17ROCPRIM_400000_NS6detail17trampoline_kernelINS0_13select_configILj256ELj13ELNS0_17block_load_methodE3ELS4_3ELS4_3ELNS0_20block_scan_algorithmE0ELj4294967295EEENS1_25partition_config_selectorILNS1_17partition_subalgoE4EjNS0_10empty_typeEbEEZZNS1_14partition_implILS8_4ELb0ES6_15HIP_vector_typeIjLj2EENS0_17counting_iteratorIjlEEPS9_SG_NS0_5tupleIJPjSI_NS0_16reverse_iteratorISI_EEEEENSH_IJSG_SG_SG_EEES9_SI_JZNS1_25segmented_radix_sort_implINS0_14default_configELb0EPK6__halfPSP_PKlPlN2at6native12_GLOBAL__N_18offset_tEEE10hipError_tPvRmT1_PNSt15iterator_traitsIS13_E10value_typeET2_T3_PNS14_IS19_E10value_typeET4_jRbjT5_S1F_jjP12ihipStream_tbEUljE_ZNSN_ISO_Lb0ESR_SS_SU_SV_SZ_EES10_S11_S12_S13_S17_S18_S19_S1C_S1D_jS1E_jS1F_S1F_jjS1H_bEUljE0_EEES10_S11_S12_S19_S1D_S1F_T6_T7_T9_mT8_S1H_bDpT10_ENKUlT_T0_E_clISt17integral_constantIbLb1EES1U_IbLb0EEEEDaS1Q_S1R_EUlS1Q_E_NS1_11comp_targetILNS1_3genE2ELNS1_11target_archE906ELNS1_3gpuE6ELNS1_3repE0EEENS1_30default_config_static_selectorELNS0_4arch9wavefront6targetE0EEEvS13_,comdat
.Lfunc_end1798:
	.size	_ZN7rocprim17ROCPRIM_400000_NS6detail17trampoline_kernelINS0_13select_configILj256ELj13ELNS0_17block_load_methodE3ELS4_3ELS4_3ELNS0_20block_scan_algorithmE0ELj4294967295EEENS1_25partition_config_selectorILNS1_17partition_subalgoE4EjNS0_10empty_typeEbEEZZNS1_14partition_implILS8_4ELb0ES6_15HIP_vector_typeIjLj2EENS0_17counting_iteratorIjlEEPS9_SG_NS0_5tupleIJPjSI_NS0_16reverse_iteratorISI_EEEEENSH_IJSG_SG_SG_EEES9_SI_JZNS1_25segmented_radix_sort_implINS0_14default_configELb0EPK6__halfPSP_PKlPlN2at6native12_GLOBAL__N_18offset_tEEE10hipError_tPvRmT1_PNSt15iterator_traitsIS13_E10value_typeET2_T3_PNS14_IS19_E10value_typeET4_jRbjT5_S1F_jjP12ihipStream_tbEUljE_ZNSN_ISO_Lb0ESR_SS_SU_SV_SZ_EES10_S11_S12_S13_S17_S18_S19_S1C_S1D_jS1E_jS1F_S1F_jjS1H_bEUljE0_EEES10_S11_S12_S19_S1D_S1F_T6_T7_T9_mT8_S1H_bDpT10_ENKUlT_T0_E_clISt17integral_constantIbLb1EES1U_IbLb0EEEEDaS1Q_S1R_EUlS1Q_E_NS1_11comp_targetILNS1_3genE2ELNS1_11target_archE906ELNS1_3gpuE6ELNS1_3repE0EEENS1_30default_config_static_selectorELNS0_4arch9wavefront6targetE0EEEvS13_, .Lfunc_end1798-_ZN7rocprim17ROCPRIM_400000_NS6detail17trampoline_kernelINS0_13select_configILj256ELj13ELNS0_17block_load_methodE3ELS4_3ELS4_3ELNS0_20block_scan_algorithmE0ELj4294967295EEENS1_25partition_config_selectorILNS1_17partition_subalgoE4EjNS0_10empty_typeEbEEZZNS1_14partition_implILS8_4ELb0ES6_15HIP_vector_typeIjLj2EENS0_17counting_iteratorIjlEEPS9_SG_NS0_5tupleIJPjSI_NS0_16reverse_iteratorISI_EEEEENSH_IJSG_SG_SG_EEES9_SI_JZNS1_25segmented_radix_sort_implINS0_14default_configELb0EPK6__halfPSP_PKlPlN2at6native12_GLOBAL__N_18offset_tEEE10hipError_tPvRmT1_PNSt15iterator_traitsIS13_E10value_typeET2_T3_PNS14_IS19_E10value_typeET4_jRbjT5_S1F_jjP12ihipStream_tbEUljE_ZNSN_ISO_Lb0ESR_SS_SU_SV_SZ_EES10_S11_S12_S13_S17_S18_S19_S1C_S1D_jS1E_jS1F_S1F_jjS1H_bEUljE0_EEES10_S11_S12_S19_S1D_S1F_T6_T7_T9_mT8_S1H_bDpT10_ENKUlT_T0_E_clISt17integral_constantIbLb1EES1U_IbLb0EEEEDaS1Q_S1R_EUlS1Q_E_NS1_11comp_targetILNS1_3genE2ELNS1_11target_archE906ELNS1_3gpuE6ELNS1_3repE0EEENS1_30default_config_static_selectorELNS0_4arch9wavefront6targetE0EEEvS13_
                                        ; -- End function
	.set _ZN7rocprim17ROCPRIM_400000_NS6detail17trampoline_kernelINS0_13select_configILj256ELj13ELNS0_17block_load_methodE3ELS4_3ELS4_3ELNS0_20block_scan_algorithmE0ELj4294967295EEENS1_25partition_config_selectorILNS1_17partition_subalgoE4EjNS0_10empty_typeEbEEZZNS1_14partition_implILS8_4ELb0ES6_15HIP_vector_typeIjLj2EENS0_17counting_iteratorIjlEEPS9_SG_NS0_5tupleIJPjSI_NS0_16reverse_iteratorISI_EEEEENSH_IJSG_SG_SG_EEES9_SI_JZNS1_25segmented_radix_sort_implINS0_14default_configELb0EPK6__halfPSP_PKlPlN2at6native12_GLOBAL__N_18offset_tEEE10hipError_tPvRmT1_PNSt15iterator_traitsIS13_E10value_typeET2_T3_PNS14_IS19_E10value_typeET4_jRbjT5_S1F_jjP12ihipStream_tbEUljE_ZNSN_ISO_Lb0ESR_SS_SU_SV_SZ_EES10_S11_S12_S13_S17_S18_S19_S1C_S1D_jS1E_jS1F_S1F_jjS1H_bEUljE0_EEES10_S11_S12_S19_S1D_S1F_T6_T7_T9_mT8_S1H_bDpT10_ENKUlT_T0_E_clISt17integral_constantIbLb1EES1U_IbLb0EEEEDaS1Q_S1R_EUlS1Q_E_NS1_11comp_targetILNS1_3genE2ELNS1_11target_archE906ELNS1_3gpuE6ELNS1_3repE0EEENS1_30default_config_static_selectorELNS0_4arch9wavefront6targetE0EEEvS13_.num_vgpr, 0
	.set _ZN7rocprim17ROCPRIM_400000_NS6detail17trampoline_kernelINS0_13select_configILj256ELj13ELNS0_17block_load_methodE3ELS4_3ELS4_3ELNS0_20block_scan_algorithmE0ELj4294967295EEENS1_25partition_config_selectorILNS1_17partition_subalgoE4EjNS0_10empty_typeEbEEZZNS1_14partition_implILS8_4ELb0ES6_15HIP_vector_typeIjLj2EENS0_17counting_iteratorIjlEEPS9_SG_NS0_5tupleIJPjSI_NS0_16reverse_iteratorISI_EEEEENSH_IJSG_SG_SG_EEES9_SI_JZNS1_25segmented_radix_sort_implINS0_14default_configELb0EPK6__halfPSP_PKlPlN2at6native12_GLOBAL__N_18offset_tEEE10hipError_tPvRmT1_PNSt15iterator_traitsIS13_E10value_typeET2_T3_PNS14_IS19_E10value_typeET4_jRbjT5_S1F_jjP12ihipStream_tbEUljE_ZNSN_ISO_Lb0ESR_SS_SU_SV_SZ_EES10_S11_S12_S13_S17_S18_S19_S1C_S1D_jS1E_jS1F_S1F_jjS1H_bEUljE0_EEES10_S11_S12_S19_S1D_S1F_T6_T7_T9_mT8_S1H_bDpT10_ENKUlT_T0_E_clISt17integral_constantIbLb1EES1U_IbLb0EEEEDaS1Q_S1R_EUlS1Q_E_NS1_11comp_targetILNS1_3genE2ELNS1_11target_archE906ELNS1_3gpuE6ELNS1_3repE0EEENS1_30default_config_static_selectorELNS0_4arch9wavefront6targetE0EEEvS13_.num_agpr, 0
	.set _ZN7rocprim17ROCPRIM_400000_NS6detail17trampoline_kernelINS0_13select_configILj256ELj13ELNS0_17block_load_methodE3ELS4_3ELS4_3ELNS0_20block_scan_algorithmE0ELj4294967295EEENS1_25partition_config_selectorILNS1_17partition_subalgoE4EjNS0_10empty_typeEbEEZZNS1_14partition_implILS8_4ELb0ES6_15HIP_vector_typeIjLj2EENS0_17counting_iteratorIjlEEPS9_SG_NS0_5tupleIJPjSI_NS0_16reverse_iteratorISI_EEEEENSH_IJSG_SG_SG_EEES9_SI_JZNS1_25segmented_radix_sort_implINS0_14default_configELb0EPK6__halfPSP_PKlPlN2at6native12_GLOBAL__N_18offset_tEEE10hipError_tPvRmT1_PNSt15iterator_traitsIS13_E10value_typeET2_T3_PNS14_IS19_E10value_typeET4_jRbjT5_S1F_jjP12ihipStream_tbEUljE_ZNSN_ISO_Lb0ESR_SS_SU_SV_SZ_EES10_S11_S12_S13_S17_S18_S19_S1C_S1D_jS1E_jS1F_S1F_jjS1H_bEUljE0_EEES10_S11_S12_S19_S1D_S1F_T6_T7_T9_mT8_S1H_bDpT10_ENKUlT_T0_E_clISt17integral_constantIbLb1EES1U_IbLb0EEEEDaS1Q_S1R_EUlS1Q_E_NS1_11comp_targetILNS1_3genE2ELNS1_11target_archE906ELNS1_3gpuE6ELNS1_3repE0EEENS1_30default_config_static_selectorELNS0_4arch9wavefront6targetE0EEEvS13_.numbered_sgpr, 0
	.set _ZN7rocprim17ROCPRIM_400000_NS6detail17trampoline_kernelINS0_13select_configILj256ELj13ELNS0_17block_load_methodE3ELS4_3ELS4_3ELNS0_20block_scan_algorithmE0ELj4294967295EEENS1_25partition_config_selectorILNS1_17partition_subalgoE4EjNS0_10empty_typeEbEEZZNS1_14partition_implILS8_4ELb0ES6_15HIP_vector_typeIjLj2EENS0_17counting_iteratorIjlEEPS9_SG_NS0_5tupleIJPjSI_NS0_16reverse_iteratorISI_EEEEENSH_IJSG_SG_SG_EEES9_SI_JZNS1_25segmented_radix_sort_implINS0_14default_configELb0EPK6__halfPSP_PKlPlN2at6native12_GLOBAL__N_18offset_tEEE10hipError_tPvRmT1_PNSt15iterator_traitsIS13_E10value_typeET2_T3_PNS14_IS19_E10value_typeET4_jRbjT5_S1F_jjP12ihipStream_tbEUljE_ZNSN_ISO_Lb0ESR_SS_SU_SV_SZ_EES10_S11_S12_S13_S17_S18_S19_S1C_S1D_jS1E_jS1F_S1F_jjS1H_bEUljE0_EEES10_S11_S12_S19_S1D_S1F_T6_T7_T9_mT8_S1H_bDpT10_ENKUlT_T0_E_clISt17integral_constantIbLb1EES1U_IbLb0EEEEDaS1Q_S1R_EUlS1Q_E_NS1_11comp_targetILNS1_3genE2ELNS1_11target_archE906ELNS1_3gpuE6ELNS1_3repE0EEENS1_30default_config_static_selectorELNS0_4arch9wavefront6targetE0EEEvS13_.num_named_barrier, 0
	.set _ZN7rocprim17ROCPRIM_400000_NS6detail17trampoline_kernelINS0_13select_configILj256ELj13ELNS0_17block_load_methodE3ELS4_3ELS4_3ELNS0_20block_scan_algorithmE0ELj4294967295EEENS1_25partition_config_selectorILNS1_17partition_subalgoE4EjNS0_10empty_typeEbEEZZNS1_14partition_implILS8_4ELb0ES6_15HIP_vector_typeIjLj2EENS0_17counting_iteratorIjlEEPS9_SG_NS0_5tupleIJPjSI_NS0_16reverse_iteratorISI_EEEEENSH_IJSG_SG_SG_EEES9_SI_JZNS1_25segmented_radix_sort_implINS0_14default_configELb0EPK6__halfPSP_PKlPlN2at6native12_GLOBAL__N_18offset_tEEE10hipError_tPvRmT1_PNSt15iterator_traitsIS13_E10value_typeET2_T3_PNS14_IS19_E10value_typeET4_jRbjT5_S1F_jjP12ihipStream_tbEUljE_ZNSN_ISO_Lb0ESR_SS_SU_SV_SZ_EES10_S11_S12_S13_S17_S18_S19_S1C_S1D_jS1E_jS1F_S1F_jjS1H_bEUljE0_EEES10_S11_S12_S19_S1D_S1F_T6_T7_T9_mT8_S1H_bDpT10_ENKUlT_T0_E_clISt17integral_constantIbLb1EES1U_IbLb0EEEEDaS1Q_S1R_EUlS1Q_E_NS1_11comp_targetILNS1_3genE2ELNS1_11target_archE906ELNS1_3gpuE6ELNS1_3repE0EEENS1_30default_config_static_selectorELNS0_4arch9wavefront6targetE0EEEvS13_.private_seg_size, 0
	.set _ZN7rocprim17ROCPRIM_400000_NS6detail17trampoline_kernelINS0_13select_configILj256ELj13ELNS0_17block_load_methodE3ELS4_3ELS4_3ELNS0_20block_scan_algorithmE0ELj4294967295EEENS1_25partition_config_selectorILNS1_17partition_subalgoE4EjNS0_10empty_typeEbEEZZNS1_14partition_implILS8_4ELb0ES6_15HIP_vector_typeIjLj2EENS0_17counting_iteratorIjlEEPS9_SG_NS0_5tupleIJPjSI_NS0_16reverse_iteratorISI_EEEEENSH_IJSG_SG_SG_EEES9_SI_JZNS1_25segmented_radix_sort_implINS0_14default_configELb0EPK6__halfPSP_PKlPlN2at6native12_GLOBAL__N_18offset_tEEE10hipError_tPvRmT1_PNSt15iterator_traitsIS13_E10value_typeET2_T3_PNS14_IS19_E10value_typeET4_jRbjT5_S1F_jjP12ihipStream_tbEUljE_ZNSN_ISO_Lb0ESR_SS_SU_SV_SZ_EES10_S11_S12_S13_S17_S18_S19_S1C_S1D_jS1E_jS1F_S1F_jjS1H_bEUljE0_EEES10_S11_S12_S19_S1D_S1F_T6_T7_T9_mT8_S1H_bDpT10_ENKUlT_T0_E_clISt17integral_constantIbLb1EES1U_IbLb0EEEEDaS1Q_S1R_EUlS1Q_E_NS1_11comp_targetILNS1_3genE2ELNS1_11target_archE906ELNS1_3gpuE6ELNS1_3repE0EEENS1_30default_config_static_selectorELNS0_4arch9wavefront6targetE0EEEvS13_.uses_vcc, 0
	.set _ZN7rocprim17ROCPRIM_400000_NS6detail17trampoline_kernelINS0_13select_configILj256ELj13ELNS0_17block_load_methodE3ELS4_3ELS4_3ELNS0_20block_scan_algorithmE0ELj4294967295EEENS1_25partition_config_selectorILNS1_17partition_subalgoE4EjNS0_10empty_typeEbEEZZNS1_14partition_implILS8_4ELb0ES6_15HIP_vector_typeIjLj2EENS0_17counting_iteratorIjlEEPS9_SG_NS0_5tupleIJPjSI_NS0_16reverse_iteratorISI_EEEEENSH_IJSG_SG_SG_EEES9_SI_JZNS1_25segmented_radix_sort_implINS0_14default_configELb0EPK6__halfPSP_PKlPlN2at6native12_GLOBAL__N_18offset_tEEE10hipError_tPvRmT1_PNSt15iterator_traitsIS13_E10value_typeET2_T3_PNS14_IS19_E10value_typeET4_jRbjT5_S1F_jjP12ihipStream_tbEUljE_ZNSN_ISO_Lb0ESR_SS_SU_SV_SZ_EES10_S11_S12_S13_S17_S18_S19_S1C_S1D_jS1E_jS1F_S1F_jjS1H_bEUljE0_EEES10_S11_S12_S19_S1D_S1F_T6_T7_T9_mT8_S1H_bDpT10_ENKUlT_T0_E_clISt17integral_constantIbLb1EES1U_IbLb0EEEEDaS1Q_S1R_EUlS1Q_E_NS1_11comp_targetILNS1_3genE2ELNS1_11target_archE906ELNS1_3gpuE6ELNS1_3repE0EEENS1_30default_config_static_selectorELNS0_4arch9wavefront6targetE0EEEvS13_.uses_flat_scratch, 0
	.set _ZN7rocprim17ROCPRIM_400000_NS6detail17trampoline_kernelINS0_13select_configILj256ELj13ELNS0_17block_load_methodE3ELS4_3ELS4_3ELNS0_20block_scan_algorithmE0ELj4294967295EEENS1_25partition_config_selectorILNS1_17partition_subalgoE4EjNS0_10empty_typeEbEEZZNS1_14partition_implILS8_4ELb0ES6_15HIP_vector_typeIjLj2EENS0_17counting_iteratorIjlEEPS9_SG_NS0_5tupleIJPjSI_NS0_16reverse_iteratorISI_EEEEENSH_IJSG_SG_SG_EEES9_SI_JZNS1_25segmented_radix_sort_implINS0_14default_configELb0EPK6__halfPSP_PKlPlN2at6native12_GLOBAL__N_18offset_tEEE10hipError_tPvRmT1_PNSt15iterator_traitsIS13_E10value_typeET2_T3_PNS14_IS19_E10value_typeET4_jRbjT5_S1F_jjP12ihipStream_tbEUljE_ZNSN_ISO_Lb0ESR_SS_SU_SV_SZ_EES10_S11_S12_S13_S17_S18_S19_S1C_S1D_jS1E_jS1F_S1F_jjS1H_bEUljE0_EEES10_S11_S12_S19_S1D_S1F_T6_T7_T9_mT8_S1H_bDpT10_ENKUlT_T0_E_clISt17integral_constantIbLb1EES1U_IbLb0EEEEDaS1Q_S1R_EUlS1Q_E_NS1_11comp_targetILNS1_3genE2ELNS1_11target_archE906ELNS1_3gpuE6ELNS1_3repE0EEENS1_30default_config_static_selectorELNS0_4arch9wavefront6targetE0EEEvS13_.has_dyn_sized_stack, 0
	.set _ZN7rocprim17ROCPRIM_400000_NS6detail17trampoline_kernelINS0_13select_configILj256ELj13ELNS0_17block_load_methodE3ELS4_3ELS4_3ELNS0_20block_scan_algorithmE0ELj4294967295EEENS1_25partition_config_selectorILNS1_17partition_subalgoE4EjNS0_10empty_typeEbEEZZNS1_14partition_implILS8_4ELb0ES6_15HIP_vector_typeIjLj2EENS0_17counting_iteratorIjlEEPS9_SG_NS0_5tupleIJPjSI_NS0_16reverse_iteratorISI_EEEEENSH_IJSG_SG_SG_EEES9_SI_JZNS1_25segmented_radix_sort_implINS0_14default_configELb0EPK6__halfPSP_PKlPlN2at6native12_GLOBAL__N_18offset_tEEE10hipError_tPvRmT1_PNSt15iterator_traitsIS13_E10value_typeET2_T3_PNS14_IS19_E10value_typeET4_jRbjT5_S1F_jjP12ihipStream_tbEUljE_ZNSN_ISO_Lb0ESR_SS_SU_SV_SZ_EES10_S11_S12_S13_S17_S18_S19_S1C_S1D_jS1E_jS1F_S1F_jjS1H_bEUljE0_EEES10_S11_S12_S19_S1D_S1F_T6_T7_T9_mT8_S1H_bDpT10_ENKUlT_T0_E_clISt17integral_constantIbLb1EES1U_IbLb0EEEEDaS1Q_S1R_EUlS1Q_E_NS1_11comp_targetILNS1_3genE2ELNS1_11target_archE906ELNS1_3gpuE6ELNS1_3repE0EEENS1_30default_config_static_selectorELNS0_4arch9wavefront6targetE0EEEvS13_.has_recursion, 0
	.set _ZN7rocprim17ROCPRIM_400000_NS6detail17trampoline_kernelINS0_13select_configILj256ELj13ELNS0_17block_load_methodE3ELS4_3ELS4_3ELNS0_20block_scan_algorithmE0ELj4294967295EEENS1_25partition_config_selectorILNS1_17partition_subalgoE4EjNS0_10empty_typeEbEEZZNS1_14partition_implILS8_4ELb0ES6_15HIP_vector_typeIjLj2EENS0_17counting_iteratorIjlEEPS9_SG_NS0_5tupleIJPjSI_NS0_16reverse_iteratorISI_EEEEENSH_IJSG_SG_SG_EEES9_SI_JZNS1_25segmented_radix_sort_implINS0_14default_configELb0EPK6__halfPSP_PKlPlN2at6native12_GLOBAL__N_18offset_tEEE10hipError_tPvRmT1_PNSt15iterator_traitsIS13_E10value_typeET2_T3_PNS14_IS19_E10value_typeET4_jRbjT5_S1F_jjP12ihipStream_tbEUljE_ZNSN_ISO_Lb0ESR_SS_SU_SV_SZ_EES10_S11_S12_S13_S17_S18_S19_S1C_S1D_jS1E_jS1F_S1F_jjS1H_bEUljE0_EEES10_S11_S12_S19_S1D_S1F_T6_T7_T9_mT8_S1H_bDpT10_ENKUlT_T0_E_clISt17integral_constantIbLb1EES1U_IbLb0EEEEDaS1Q_S1R_EUlS1Q_E_NS1_11comp_targetILNS1_3genE2ELNS1_11target_archE906ELNS1_3gpuE6ELNS1_3repE0EEENS1_30default_config_static_selectorELNS0_4arch9wavefront6targetE0EEEvS13_.has_indirect_call, 0
	.section	.AMDGPU.csdata,"",@progbits
; Kernel info:
; codeLenInByte = 0
; TotalNumSgprs: 0
; NumVgprs: 0
; ScratchSize: 0
; MemoryBound: 0
; FloatMode: 240
; IeeeMode: 1
; LDSByteSize: 0 bytes/workgroup (compile time only)
; SGPRBlocks: 0
; VGPRBlocks: 0
; NumSGPRsForWavesPerEU: 1
; NumVGPRsForWavesPerEU: 1
; Occupancy: 16
; WaveLimiterHint : 0
; COMPUTE_PGM_RSRC2:SCRATCH_EN: 0
; COMPUTE_PGM_RSRC2:USER_SGPR: 2
; COMPUTE_PGM_RSRC2:TRAP_HANDLER: 0
; COMPUTE_PGM_RSRC2:TGID_X_EN: 1
; COMPUTE_PGM_RSRC2:TGID_Y_EN: 0
; COMPUTE_PGM_RSRC2:TGID_Z_EN: 0
; COMPUTE_PGM_RSRC2:TIDIG_COMP_CNT: 0
	.section	.text._ZN7rocprim17ROCPRIM_400000_NS6detail17trampoline_kernelINS0_13select_configILj256ELj13ELNS0_17block_load_methodE3ELS4_3ELS4_3ELNS0_20block_scan_algorithmE0ELj4294967295EEENS1_25partition_config_selectorILNS1_17partition_subalgoE4EjNS0_10empty_typeEbEEZZNS1_14partition_implILS8_4ELb0ES6_15HIP_vector_typeIjLj2EENS0_17counting_iteratorIjlEEPS9_SG_NS0_5tupleIJPjSI_NS0_16reverse_iteratorISI_EEEEENSH_IJSG_SG_SG_EEES9_SI_JZNS1_25segmented_radix_sort_implINS0_14default_configELb0EPK6__halfPSP_PKlPlN2at6native12_GLOBAL__N_18offset_tEEE10hipError_tPvRmT1_PNSt15iterator_traitsIS13_E10value_typeET2_T3_PNS14_IS19_E10value_typeET4_jRbjT5_S1F_jjP12ihipStream_tbEUljE_ZNSN_ISO_Lb0ESR_SS_SU_SV_SZ_EES10_S11_S12_S13_S17_S18_S19_S1C_S1D_jS1E_jS1F_S1F_jjS1H_bEUljE0_EEES10_S11_S12_S19_S1D_S1F_T6_T7_T9_mT8_S1H_bDpT10_ENKUlT_T0_E_clISt17integral_constantIbLb1EES1U_IbLb0EEEEDaS1Q_S1R_EUlS1Q_E_NS1_11comp_targetILNS1_3genE10ELNS1_11target_archE1200ELNS1_3gpuE4ELNS1_3repE0EEENS1_30default_config_static_selectorELNS0_4arch9wavefront6targetE0EEEvS13_,"axG",@progbits,_ZN7rocprim17ROCPRIM_400000_NS6detail17trampoline_kernelINS0_13select_configILj256ELj13ELNS0_17block_load_methodE3ELS4_3ELS4_3ELNS0_20block_scan_algorithmE0ELj4294967295EEENS1_25partition_config_selectorILNS1_17partition_subalgoE4EjNS0_10empty_typeEbEEZZNS1_14partition_implILS8_4ELb0ES6_15HIP_vector_typeIjLj2EENS0_17counting_iteratorIjlEEPS9_SG_NS0_5tupleIJPjSI_NS0_16reverse_iteratorISI_EEEEENSH_IJSG_SG_SG_EEES9_SI_JZNS1_25segmented_radix_sort_implINS0_14default_configELb0EPK6__halfPSP_PKlPlN2at6native12_GLOBAL__N_18offset_tEEE10hipError_tPvRmT1_PNSt15iterator_traitsIS13_E10value_typeET2_T3_PNS14_IS19_E10value_typeET4_jRbjT5_S1F_jjP12ihipStream_tbEUljE_ZNSN_ISO_Lb0ESR_SS_SU_SV_SZ_EES10_S11_S12_S13_S17_S18_S19_S1C_S1D_jS1E_jS1F_S1F_jjS1H_bEUljE0_EEES10_S11_S12_S19_S1D_S1F_T6_T7_T9_mT8_S1H_bDpT10_ENKUlT_T0_E_clISt17integral_constantIbLb1EES1U_IbLb0EEEEDaS1Q_S1R_EUlS1Q_E_NS1_11comp_targetILNS1_3genE10ELNS1_11target_archE1200ELNS1_3gpuE4ELNS1_3repE0EEENS1_30default_config_static_selectorELNS0_4arch9wavefront6targetE0EEEvS13_,comdat
	.globl	_ZN7rocprim17ROCPRIM_400000_NS6detail17trampoline_kernelINS0_13select_configILj256ELj13ELNS0_17block_load_methodE3ELS4_3ELS4_3ELNS0_20block_scan_algorithmE0ELj4294967295EEENS1_25partition_config_selectorILNS1_17partition_subalgoE4EjNS0_10empty_typeEbEEZZNS1_14partition_implILS8_4ELb0ES6_15HIP_vector_typeIjLj2EENS0_17counting_iteratorIjlEEPS9_SG_NS0_5tupleIJPjSI_NS0_16reverse_iteratorISI_EEEEENSH_IJSG_SG_SG_EEES9_SI_JZNS1_25segmented_radix_sort_implINS0_14default_configELb0EPK6__halfPSP_PKlPlN2at6native12_GLOBAL__N_18offset_tEEE10hipError_tPvRmT1_PNSt15iterator_traitsIS13_E10value_typeET2_T3_PNS14_IS19_E10value_typeET4_jRbjT5_S1F_jjP12ihipStream_tbEUljE_ZNSN_ISO_Lb0ESR_SS_SU_SV_SZ_EES10_S11_S12_S13_S17_S18_S19_S1C_S1D_jS1E_jS1F_S1F_jjS1H_bEUljE0_EEES10_S11_S12_S19_S1D_S1F_T6_T7_T9_mT8_S1H_bDpT10_ENKUlT_T0_E_clISt17integral_constantIbLb1EES1U_IbLb0EEEEDaS1Q_S1R_EUlS1Q_E_NS1_11comp_targetILNS1_3genE10ELNS1_11target_archE1200ELNS1_3gpuE4ELNS1_3repE0EEENS1_30default_config_static_selectorELNS0_4arch9wavefront6targetE0EEEvS13_ ; -- Begin function _ZN7rocprim17ROCPRIM_400000_NS6detail17trampoline_kernelINS0_13select_configILj256ELj13ELNS0_17block_load_methodE3ELS4_3ELS4_3ELNS0_20block_scan_algorithmE0ELj4294967295EEENS1_25partition_config_selectorILNS1_17partition_subalgoE4EjNS0_10empty_typeEbEEZZNS1_14partition_implILS8_4ELb0ES6_15HIP_vector_typeIjLj2EENS0_17counting_iteratorIjlEEPS9_SG_NS0_5tupleIJPjSI_NS0_16reverse_iteratorISI_EEEEENSH_IJSG_SG_SG_EEES9_SI_JZNS1_25segmented_radix_sort_implINS0_14default_configELb0EPK6__halfPSP_PKlPlN2at6native12_GLOBAL__N_18offset_tEEE10hipError_tPvRmT1_PNSt15iterator_traitsIS13_E10value_typeET2_T3_PNS14_IS19_E10value_typeET4_jRbjT5_S1F_jjP12ihipStream_tbEUljE_ZNSN_ISO_Lb0ESR_SS_SU_SV_SZ_EES10_S11_S12_S13_S17_S18_S19_S1C_S1D_jS1E_jS1F_S1F_jjS1H_bEUljE0_EEES10_S11_S12_S19_S1D_S1F_T6_T7_T9_mT8_S1H_bDpT10_ENKUlT_T0_E_clISt17integral_constantIbLb1EES1U_IbLb0EEEEDaS1Q_S1R_EUlS1Q_E_NS1_11comp_targetILNS1_3genE10ELNS1_11target_archE1200ELNS1_3gpuE4ELNS1_3repE0EEENS1_30default_config_static_selectorELNS0_4arch9wavefront6targetE0EEEvS13_
	.p2align	8
	.type	_ZN7rocprim17ROCPRIM_400000_NS6detail17trampoline_kernelINS0_13select_configILj256ELj13ELNS0_17block_load_methodE3ELS4_3ELS4_3ELNS0_20block_scan_algorithmE0ELj4294967295EEENS1_25partition_config_selectorILNS1_17partition_subalgoE4EjNS0_10empty_typeEbEEZZNS1_14partition_implILS8_4ELb0ES6_15HIP_vector_typeIjLj2EENS0_17counting_iteratorIjlEEPS9_SG_NS0_5tupleIJPjSI_NS0_16reverse_iteratorISI_EEEEENSH_IJSG_SG_SG_EEES9_SI_JZNS1_25segmented_radix_sort_implINS0_14default_configELb0EPK6__halfPSP_PKlPlN2at6native12_GLOBAL__N_18offset_tEEE10hipError_tPvRmT1_PNSt15iterator_traitsIS13_E10value_typeET2_T3_PNS14_IS19_E10value_typeET4_jRbjT5_S1F_jjP12ihipStream_tbEUljE_ZNSN_ISO_Lb0ESR_SS_SU_SV_SZ_EES10_S11_S12_S13_S17_S18_S19_S1C_S1D_jS1E_jS1F_S1F_jjS1H_bEUljE0_EEES10_S11_S12_S19_S1D_S1F_T6_T7_T9_mT8_S1H_bDpT10_ENKUlT_T0_E_clISt17integral_constantIbLb1EES1U_IbLb0EEEEDaS1Q_S1R_EUlS1Q_E_NS1_11comp_targetILNS1_3genE10ELNS1_11target_archE1200ELNS1_3gpuE4ELNS1_3repE0EEENS1_30default_config_static_selectorELNS0_4arch9wavefront6targetE0EEEvS13_,@function
_ZN7rocprim17ROCPRIM_400000_NS6detail17trampoline_kernelINS0_13select_configILj256ELj13ELNS0_17block_load_methodE3ELS4_3ELS4_3ELNS0_20block_scan_algorithmE0ELj4294967295EEENS1_25partition_config_selectorILNS1_17partition_subalgoE4EjNS0_10empty_typeEbEEZZNS1_14partition_implILS8_4ELb0ES6_15HIP_vector_typeIjLj2EENS0_17counting_iteratorIjlEEPS9_SG_NS0_5tupleIJPjSI_NS0_16reverse_iteratorISI_EEEEENSH_IJSG_SG_SG_EEES9_SI_JZNS1_25segmented_radix_sort_implINS0_14default_configELb0EPK6__halfPSP_PKlPlN2at6native12_GLOBAL__N_18offset_tEEE10hipError_tPvRmT1_PNSt15iterator_traitsIS13_E10value_typeET2_T3_PNS14_IS19_E10value_typeET4_jRbjT5_S1F_jjP12ihipStream_tbEUljE_ZNSN_ISO_Lb0ESR_SS_SU_SV_SZ_EES10_S11_S12_S13_S17_S18_S19_S1C_S1D_jS1E_jS1F_S1F_jjS1H_bEUljE0_EEES10_S11_S12_S19_S1D_S1F_T6_T7_T9_mT8_S1H_bDpT10_ENKUlT_T0_E_clISt17integral_constantIbLb1EES1U_IbLb0EEEEDaS1Q_S1R_EUlS1Q_E_NS1_11comp_targetILNS1_3genE10ELNS1_11target_archE1200ELNS1_3gpuE4ELNS1_3repE0EEENS1_30default_config_static_selectorELNS0_4arch9wavefront6targetE0EEEvS13_: ; @_ZN7rocprim17ROCPRIM_400000_NS6detail17trampoline_kernelINS0_13select_configILj256ELj13ELNS0_17block_load_methodE3ELS4_3ELS4_3ELNS0_20block_scan_algorithmE0ELj4294967295EEENS1_25partition_config_selectorILNS1_17partition_subalgoE4EjNS0_10empty_typeEbEEZZNS1_14partition_implILS8_4ELb0ES6_15HIP_vector_typeIjLj2EENS0_17counting_iteratorIjlEEPS9_SG_NS0_5tupleIJPjSI_NS0_16reverse_iteratorISI_EEEEENSH_IJSG_SG_SG_EEES9_SI_JZNS1_25segmented_radix_sort_implINS0_14default_configELb0EPK6__halfPSP_PKlPlN2at6native12_GLOBAL__N_18offset_tEEE10hipError_tPvRmT1_PNSt15iterator_traitsIS13_E10value_typeET2_T3_PNS14_IS19_E10value_typeET4_jRbjT5_S1F_jjP12ihipStream_tbEUljE_ZNSN_ISO_Lb0ESR_SS_SU_SV_SZ_EES10_S11_S12_S13_S17_S18_S19_S1C_S1D_jS1E_jS1F_S1F_jjS1H_bEUljE0_EEES10_S11_S12_S19_S1D_S1F_T6_T7_T9_mT8_S1H_bDpT10_ENKUlT_T0_E_clISt17integral_constantIbLb1EES1U_IbLb0EEEEDaS1Q_S1R_EUlS1Q_E_NS1_11comp_targetILNS1_3genE10ELNS1_11target_archE1200ELNS1_3gpuE4ELNS1_3repE0EEENS1_30default_config_static_selectorELNS0_4arch9wavefront6targetE0EEEvS13_
; %bb.0:
	s_endpgm
	.section	.rodata,"a",@progbits
	.p2align	6, 0x0
	.amdhsa_kernel _ZN7rocprim17ROCPRIM_400000_NS6detail17trampoline_kernelINS0_13select_configILj256ELj13ELNS0_17block_load_methodE3ELS4_3ELS4_3ELNS0_20block_scan_algorithmE0ELj4294967295EEENS1_25partition_config_selectorILNS1_17partition_subalgoE4EjNS0_10empty_typeEbEEZZNS1_14partition_implILS8_4ELb0ES6_15HIP_vector_typeIjLj2EENS0_17counting_iteratorIjlEEPS9_SG_NS0_5tupleIJPjSI_NS0_16reverse_iteratorISI_EEEEENSH_IJSG_SG_SG_EEES9_SI_JZNS1_25segmented_radix_sort_implINS0_14default_configELb0EPK6__halfPSP_PKlPlN2at6native12_GLOBAL__N_18offset_tEEE10hipError_tPvRmT1_PNSt15iterator_traitsIS13_E10value_typeET2_T3_PNS14_IS19_E10value_typeET4_jRbjT5_S1F_jjP12ihipStream_tbEUljE_ZNSN_ISO_Lb0ESR_SS_SU_SV_SZ_EES10_S11_S12_S13_S17_S18_S19_S1C_S1D_jS1E_jS1F_S1F_jjS1H_bEUljE0_EEES10_S11_S12_S19_S1D_S1F_T6_T7_T9_mT8_S1H_bDpT10_ENKUlT_T0_E_clISt17integral_constantIbLb1EES1U_IbLb0EEEEDaS1Q_S1R_EUlS1Q_E_NS1_11comp_targetILNS1_3genE10ELNS1_11target_archE1200ELNS1_3gpuE4ELNS1_3repE0EEENS1_30default_config_static_selectorELNS0_4arch9wavefront6targetE0EEEvS13_
		.amdhsa_group_segment_fixed_size 0
		.amdhsa_private_segment_fixed_size 0
		.amdhsa_kernarg_size 176
		.amdhsa_user_sgpr_count 2
		.amdhsa_user_sgpr_dispatch_ptr 0
		.amdhsa_user_sgpr_queue_ptr 0
		.amdhsa_user_sgpr_kernarg_segment_ptr 1
		.amdhsa_user_sgpr_dispatch_id 0
		.amdhsa_user_sgpr_private_segment_size 0
		.amdhsa_wavefront_size32 1
		.amdhsa_uses_dynamic_stack 0
		.amdhsa_enable_private_segment 0
		.amdhsa_system_sgpr_workgroup_id_x 1
		.amdhsa_system_sgpr_workgroup_id_y 0
		.amdhsa_system_sgpr_workgroup_id_z 0
		.amdhsa_system_sgpr_workgroup_info 0
		.amdhsa_system_vgpr_workitem_id 0
		.amdhsa_next_free_vgpr 1
		.amdhsa_next_free_sgpr 1
		.amdhsa_reserve_vcc 0
		.amdhsa_float_round_mode_32 0
		.amdhsa_float_round_mode_16_64 0
		.amdhsa_float_denorm_mode_32 3
		.amdhsa_float_denorm_mode_16_64 3
		.amdhsa_fp16_overflow 0
		.amdhsa_workgroup_processor_mode 1
		.amdhsa_memory_ordered 1
		.amdhsa_forward_progress 1
		.amdhsa_inst_pref_size 1
		.amdhsa_round_robin_scheduling 0
		.amdhsa_exception_fp_ieee_invalid_op 0
		.amdhsa_exception_fp_denorm_src 0
		.amdhsa_exception_fp_ieee_div_zero 0
		.amdhsa_exception_fp_ieee_overflow 0
		.amdhsa_exception_fp_ieee_underflow 0
		.amdhsa_exception_fp_ieee_inexact 0
		.amdhsa_exception_int_div_zero 0
	.end_amdhsa_kernel
	.section	.text._ZN7rocprim17ROCPRIM_400000_NS6detail17trampoline_kernelINS0_13select_configILj256ELj13ELNS0_17block_load_methodE3ELS4_3ELS4_3ELNS0_20block_scan_algorithmE0ELj4294967295EEENS1_25partition_config_selectorILNS1_17partition_subalgoE4EjNS0_10empty_typeEbEEZZNS1_14partition_implILS8_4ELb0ES6_15HIP_vector_typeIjLj2EENS0_17counting_iteratorIjlEEPS9_SG_NS0_5tupleIJPjSI_NS0_16reverse_iteratorISI_EEEEENSH_IJSG_SG_SG_EEES9_SI_JZNS1_25segmented_radix_sort_implINS0_14default_configELb0EPK6__halfPSP_PKlPlN2at6native12_GLOBAL__N_18offset_tEEE10hipError_tPvRmT1_PNSt15iterator_traitsIS13_E10value_typeET2_T3_PNS14_IS19_E10value_typeET4_jRbjT5_S1F_jjP12ihipStream_tbEUljE_ZNSN_ISO_Lb0ESR_SS_SU_SV_SZ_EES10_S11_S12_S13_S17_S18_S19_S1C_S1D_jS1E_jS1F_S1F_jjS1H_bEUljE0_EEES10_S11_S12_S19_S1D_S1F_T6_T7_T9_mT8_S1H_bDpT10_ENKUlT_T0_E_clISt17integral_constantIbLb1EES1U_IbLb0EEEEDaS1Q_S1R_EUlS1Q_E_NS1_11comp_targetILNS1_3genE10ELNS1_11target_archE1200ELNS1_3gpuE4ELNS1_3repE0EEENS1_30default_config_static_selectorELNS0_4arch9wavefront6targetE0EEEvS13_,"axG",@progbits,_ZN7rocprim17ROCPRIM_400000_NS6detail17trampoline_kernelINS0_13select_configILj256ELj13ELNS0_17block_load_methodE3ELS4_3ELS4_3ELNS0_20block_scan_algorithmE0ELj4294967295EEENS1_25partition_config_selectorILNS1_17partition_subalgoE4EjNS0_10empty_typeEbEEZZNS1_14partition_implILS8_4ELb0ES6_15HIP_vector_typeIjLj2EENS0_17counting_iteratorIjlEEPS9_SG_NS0_5tupleIJPjSI_NS0_16reverse_iteratorISI_EEEEENSH_IJSG_SG_SG_EEES9_SI_JZNS1_25segmented_radix_sort_implINS0_14default_configELb0EPK6__halfPSP_PKlPlN2at6native12_GLOBAL__N_18offset_tEEE10hipError_tPvRmT1_PNSt15iterator_traitsIS13_E10value_typeET2_T3_PNS14_IS19_E10value_typeET4_jRbjT5_S1F_jjP12ihipStream_tbEUljE_ZNSN_ISO_Lb0ESR_SS_SU_SV_SZ_EES10_S11_S12_S13_S17_S18_S19_S1C_S1D_jS1E_jS1F_S1F_jjS1H_bEUljE0_EEES10_S11_S12_S19_S1D_S1F_T6_T7_T9_mT8_S1H_bDpT10_ENKUlT_T0_E_clISt17integral_constantIbLb1EES1U_IbLb0EEEEDaS1Q_S1R_EUlS1Q_E_NS1_11comp_targetILNS1_3genE10ELNS1_11target_archE1200ELNS1_3gpuE4ELNS1_3repE0EEENS1_30default_config_static_selectorELNS0_4arch9wavefront6targetE0EEEvS13_,comdat
.Lfunc_end1799:
	.size	_ZN7rocprim17ROCPRIM_400000_NS6detail17trampoline_kernelINS0_13select_configILj256ELj13ELNS0_17block_load_methodE3ELS4_3ELS4_3ELNS0_20block_scan_algorithmE0ELj4294967295EEENS1_25partition_config_selectorILNS1_17partition_subalgoE4EjNS0_10empty_typeEbEEZZNS1_14partition_implILS8_4ELb0ES6_15HIP_vector_typeIjLj2EENS0_17counting_iteratorIjlEEPS9_SG_NS0_5tupleIJPjSI_NS0_16reverse_iteratorISI_EEEEENSH_IJSG_SG_SG_EEES9_SI_JZNS1_25segmented_radix_sort_implINS0_14default_configELb0EPK6__halfPSP_PKlPlN2at6native12_GLOBAL__N_18offset_tEEE10hipError_tPvRmT1_PNSt15iterator_traitsIS13_E10value_typeET2_T3_PNS14_IS19_E10value_typeET4_jRbjT5_S1F_jjP12ihipStream_tbEUljE_ZNSN_ISO_Lb0ESR_SS_SU_SV_SZ_EES10_S11_S12_S13_S17_S18_S19_S1C_S1D_jS1E_jS1F_S1F_jjS1H_bEUljE0_EEES10_S11_S12_S19_S1D_S1F_T6_T7_T9_mT8_S1H_bDpT10_ENKUlT_T0_E_clISt17integral_constantIbLb1EES1U_IbLb0EEEEDaS1Q_S1R_EUlS1Q_E_NS1_11comp_targetILNS1_3genE10ELNS1_11target_archE1200ELNS1_3gpuE4ELNS1_3repE0EEENS1_30default_config_static_selectorELNS0_4arch9wavefront6targetE0EEEvS13_, .Lfunc_end1799-_ZN7rocprim17ROCPRIM_400000_NS6detail17trampoline_kernelINS0_13select_configILj256ELj13ELNS0_17block_load_methodE3ELS4_3ELS4_3ELNS0_20block_scan_algorithmE0ELj4294967295EEENS1_25partition_config_selectorILNS1_17partition_subalgoE4EjNS0_10empty_typeEbEEZZNS1_14partition_implILS8_4ELb0ES6_15HIP_vector_typeIjLj2EENS0_17counting_iteratorIjlEEPS9_SG_NS0_5tupleIJPjSI_NS0_16reverse_iteratorISI_EEEEENSH_IJSG_SG_SG_EEES9_SI_JZNS1_25segmented_radix_sort_implINS0_14default_configELb0EPK6__halfPSP_PKlPlN2at6native12_GLOBAL__N_18offset_tEEE10hipError_tPvRmT1_PNSt15iterator_traitsIS13_E10value_typeET2_T3_PNS14_IS19_E10value_typeET4_jRbjT5_S1F_jjP12ihipStream_tbEUljE_ZNSN_ISO_Lb0ESR_SS_SU_SV_SZ_EES10_S11_S12_S13_S17_S18_S19_S1C_S1D_jS1E_jS1F_S1F_jjS1H_bEUljE0_EEES10_S11_S12_S19_S1D_S1F_T6_T7_T9_mT8_S1H_bDpT10_ENKUlT_T0_E_clISt17integral_constantIbLb1EES1U_IbLb0EEEEDaS1Q_S1R_EUlS1Q_E_NS1_11comp_targetILNS1_3genE10ELNS1_11target_archE1200ELNS1_3gpuE4ELNS1_3repE0EEENS1_30default_config_static_selectorELNS0_4arch9wavefront6targetE0EEEvS13_
                                        ; -- End function
	.set _ZN7rocprim17ROCPRIM_400000_NS6detail17trampoline_kernelINS0_13select_configILj256ELj13ELNS0_17block_load_methodE3ELS4_3ELS4_3ELNS0_20block_scan_algorithmE0ELj4294967295EEENS1_25partition_config_selectorILNS1_17partition_subalgoE4EjNS0_10empty_typeEbEEZZNS1_14partition_implILS8_4ELb0ES6_15HIP_vector_typeIjLj2EENS0_17counting_iteratorIjlEEPS9_SG_NS0_5tupleIJPjSI_NS0_16reverse_iteratorISI_EEEEENSH_IJSG_SG_SG_EEES9_SI_JZNS1_25segmented_radix_sort_implINS0_14default_configELb0EPK6__halfPSP_PKlPlN2at6native12_GLOBAL__N_18offset_tEEE10hipError_tPvRmT1_PNSt15iterator_traitsIS13_E10value_typeET2_T3_PNS14_IS19_E10value_typeET4_jRbjT5_S1F_jjP12ihipStream_tbEUljE_ZNSN_ISO_Lb0ESR_SS_SU_SV_SZ_EES10_S11_S12_S13_S17_S18_S19_S1C_S1D_jS1E_jS1F_S1F_jjS1H_bEUljE0_EEES10_S11_S12_S19_S1D_S1F_T6_T7_T9_mT8_S1H_bDpT10_ENKUlT_T0_E_clISt17integral_constantIbLb1EES1U_IbLb0EEEEDaS1Q_S1R_EUlS1Q_E_NS1_11comp_targetILNS1_3genE10ELNS1_11target_archE1200ELNS1_3gpuE4ELNS1_3repE0EEENS1_30default_config_static_selectorELNS0_4arch9wavefront6targetE0EEEvS13_.num_vgpr, 0
	.set _ZN7rocprim17ROCPRIM_400000_NS6detail17trampoline_kernelINS0_13select_configILj256ELj13ELNS0_17block_load_methodE3ELS4_3ELS4_3ELNS0_20block_scan_algorithmE0ELj4294967295EEENS1_25partition_config_selectorILNS1_17partition_subalgoE4EjNS0_10empty_typeEbEEZZNS1_14partition_implILS8_4ELb0ES6_15HIP_vector_typeIjLj2EENS0_17counting_iteratorIjlEEPS9_SG_NS0_5tupleIJPjSI_NS0_16reverse_iteratorISI_EEEEENSH_IJSG_SG_SG_EEES9_SI_JZNS1_25segmented_radix_sort_implINS0_14default_configELb0EPK6__halfPSP_PKlPlN2at6native12_GLOBAL__N_18offset_tEEE10hipError_tPvRmT1_PNSt15iterator_traitsIS13_E10value_typeET2_T3_PNS14_IS19_E10value_typeET4_jRbjT5_S1F_jjP12ihipStream_tbEUljE_ZNSN_ISO_Lb0ESR_SS_SU_SV_SZ_EES10_S11_S12_S13_S17_S18_S19_S1C_S1D_jS1E_jS1F_S1F_jjS1H_bEUljE0_EEES10_S11_S12_S19_S1D_S1F_T6_T7_T9_mT8_S1H_bDpT10_ENKUlT_T0_E_clISt17integral_constantIbLb1EES1U_IbLb0EEEEDaS1Q_S1R_EUlS1Q_E_NS1_11comp_targetILNS1_3genE10ELNS1_11target_archE1200ELNS1_3gpuE4ELNS1_3repE0EEENS1_30default_config_static_selectorELNS0_4arch9wavefront6targetE0EEEvS13_.num_agpr, 0
	.set _ZN7rocprim17ROCPRIM_400000_NS6detail17trampoline_kernelINS0_13select_configILj256ELj13ELNS0_17block_load_methodE3ELS4_3ELS4_3ELNS0_20block_scan_algorithmE0ELj4294967295EEENS1_25partition_config_selectorILNS1_17partition_subalgoE4EjNS0_10empty_typeEbEEZZNS1_14partition_implILS8_4ELb0ES6_15HIP_vector_typeIjLj2EENS0_17counting_iteratorIjlEEPS9_SG_NS0_5tupleIJPjSI_NS0_16reverse_iteratorISI_EEEEENSH_IJSG_SG_SG_EEES9_SI_JZNS1_25segmented_radix_sort_implINS0_14default_configELb0EPK6__halfPSP_PKlPlN2at6native12_GLOBAL__N_18offset_tEEE10hipError_tPvRmT1_PNSt15iterator_traitsIS13_E10value_typeET2_T3_PNS14_IS19_E10value_typeET4_jRbjT5_S1F_jjP12ihipStream_tbEUljE_ZNSN_ISO_Lb0ESR_SS_SU_SV_SZ_EES10_S11_S12_S13_S17_S18_S19_S1C_S1D_jS1E_jS1F_S1F_jjS1H_bEUljE0_EEES10_S11_S12_S19_S1D_S1F_T6_T7_T9_mT8_S1H_bDpT10_ENKUlT_T0_E_clISt17integral_constantIbLb1EES1U_IbLb0EEEEDaS1Q_S1R_EUlS1Q_E_NS1_11comp_targetILNS1_3genE10ELNS1_11target_archE1200ELNS1_3gpuE4ELNS1_3repE0EEENS1_30default_config_static_selectorELNS0_4arch9wavefront6targetE0EEEvS13_.numbered_sgpr, 0
	.set _ZN7rocprim17ROCPRIM_400000_NS6detail17trampoline_kernelINS0_13select_configILj256ELj13ELNS0_17block_load_methodE3ELS4_3ELS4_3ELNS0_20block_scan_algorithmE0ELj4294967295EEENS1_25partition_config_selectorILNS1_17partition_subalgoE4EjNS0_10empty_typeEbEEZZNS1_14partition_implILS8_4ELb0ES6_15HIP_vector_typeIjLj2EENS0_17counting_iteratorIjlEEPS9_SG_NS0_5tupleIJPjSI_NS0_16reverse_iteratorISI_EEEEENSH_IJSG_SG_SG_EEES9_SI_JZNS1_25segmented_radix_sort_implINS0_14default_configELb0EPK6__halfPSP_PKlPlN2at6native12_GLOBAL__N_18offset_tEEE10hipError_tPvRmT1_PNSt15iterator_traitsIS13_E10value_typeET2_T3_PNS14_IS19_E10value_typeET4_jRbjT5_S1F_jjP12ihipStream_tbEUljE_ZNSN_ISO_Lb0ESR_SS_SU_SV_SZ_EES10_S11_S12_S13_S17_S18_S19_S1C_S1D_jS1E_jS1F_S1F_jjS1H_bEUljE0_EEES10_S11_S12_S19_S1D_S1F_T6_T7_T9_mT8_S1H_bDpT10_ENKUlT_T0_E_clISt17integral_constantIbLb1EES1U_IbLb0EEEEDaS1Q_S1R_EUlS1Q_E_NS1_11comp_targetILNS1_3genE10ELNS1_11target_archE1200ELNS1_3gpuE4ELNS1_3repE0EEENS1_30default_config_static_selectorELNS0_4arch9wavefront6targetE0EEEvS13_.num_named_barrier, 0
	.set _ZN7rocprim17ROCPRIM_400000_NS6detail17trampoline_kernelINS0_13select_configILj256ELj13ELNS0_17block_load_methodE3ELS4_3ELS4_3ELNS0_20block_scan_algorithmE0ELj4294967295EEENS1_25partition_config_selectorILNS1_17partition_subalgoE4EjNS0_10empty_typeEbEEZZNS1_14partition_implILS8_4ELb0ES6_15HIP_vector_typeIjLj2EENS0_17counting_iteratorIjlEEPS9_SG_NS0_5tupleIJPjSI_NS0_16reverse_iteratorISI_EEEEENSH_IJSG_SG_SG_EEES9_SI_JZNS1_25segmented_radix_sort_implINS0_14default_configELb0EPK6__halfPSP_PKlPlN2at6native12_GLOBAL__N_18offset_tEEE10hipError_tPvRmT1_PNSt15iterator_traitsIS13_E10value_typeET2_T3_PNS14_IS19_E10value_typeET4_jRbjT5_S1F_jjP12ihipStream_tbEUljE_ZNSN_ISO_Lb0ESR_SS_SU_SV_SZ_EES10_S11_S12_S13_S17_S18_S19_S1C_S1D_jS1E_jS1F_S1F_jjS1H_bEUljE0_EEES10_S11_S12_S19_S1D_S1F_T6_T7_T9_mT8_S1H_bDpT10_ENKUlT_T0_E_clISt17integral_constantIbLb1EES1U_IbLb0EEEEDaS1Q_S1R_EUlS1Q_E_NS1_11comp_targetILNS1_3genE10ELNS1_11target_archE1200ELNS1_3gpuE4ELNS1_3repE0EEENS1_30default_config_static_selectorELNS0_4arch9wavefront6targetE0EEEvS13_.private_seg_size, 0
	.set _ZN7rocprim17ROCPRIM_400000_NS6detail17trampoline_kernelINS0_13select_configILj256ELj13ELNS0_17block_load_methodE3ELS4_3ELS4_3ELNS0_20block_scan_algorithmE0ELj4294967295EEENS1_25partition_config_selectorILNS1_17partition_subalgoE4EjNS0_10empty_typeEbEEZZNS1_14partition_implILS8_4ELb0ES6_15HIP_vector_typeIjLj2EENS0_17counting_iteratorIjlEEPS9_SG_NS0_5tupleIJPjSI_NS0_16reverse_iteratorISI_EEEEENSH_IJSG_SG_SG_EEES9_SI_JZNS1_25segmented_radix_sort_implINS0_14default_configELb0EPK6__halfPSP_PKlPlN2at6native12_GLOBAL__N_18offset_tEEE10hipError_tPvRmT1_PNSt15iterator_traitsIS13_E10value_typeET2_T3_PNS14_IS19_E10value_typeET4_jRbjT5_S1F_jjP12ihipStream_tbEUljE_ZNSN_ISO_Lb0ESR_SS_SU_SV_SZ_EES10_S11_S12_S13_S17_S18_S19_S1C_S1D_jS1E_jS1F_S1F_jjS1H_bEUljE0_EEES10_S11_S12_S19_S1D_S1F_T6_T7_T9_mT8_S1H_bDpT10_ENKUlT_T0_E_clISt17integral_constantIbLb1EES1U_IbLb0EEEEDaS1Q_S1R_EUlS1Q_E_NS1_11comp_targetILNS1_3genE10ELNS1_11target_archE1200ELNS1_3gpuE4ELNS1_3repE0EEENS1_30default_config_static_selectorELNS0_4arch9wavefront6targetE0EEEvS13_.uses_vcc, 0
	.set _ZN7rocprim17ROCPRIM_400000_NS6detail17trampoline_kernelINS0_13select_configILj256ELj13ELNS0_17block_load_methodE3ELS4_3ELS4_3ELNS0_20block_scan_algorithmE0ELj4294967295EEENS1_25partition_config_selectorILNS1_17partition_subalgoE4EjNS0_10empty_typeEbEEZZNS1_14partition_implILS8_4ELb0ES6_15HIP_vector_typeIjLj2EENS0_17counting_iteratorIjlEEPS9_SG_NS0_5tupleIJPjSI_NS0_16reverse_iteratorISI_EEEEENSH_IJSG_SG_SG_EEES9_SI_JZNS1_25segmented_radix_sort_implINS0_14default_configELb0EPK6__halfPSP_PKlPlN2at6native12_GLOBAL__N_18offset_tEEE10hipError_tPvRmT1_PNSt15iterator_traitsIS13_E10value_typeET2_T3_PNS14_IS19_E10value_typeET4_jRbjT5_S1F_jjP12ihipStream_tbEUljE_ZNSN_ISO_Lb0ESR_SS_SU_SV_SZ_EES10_S11_S12_S13_S17_S18_S19_S1C_S1D_jS1E_jS1F_S1F_jjS1H_bEUljE0_EEES10_S11_S12_S19_S1D_S1F_T6_T7_T9_mT8_S1H_bDpT10_ENKUlT_T0_E_clISt17integral_constantIbLb1EES1U_IbLb0EEEEDaS1Q_S1R_EUlS1Q_E_NS1_11comp_targetILNS1_3genE10ELNS1_11target_archE1200ELNS1_3gpuE4ELNS1_3repE0EEENS1_30default_config_static_selectorELNS0_4arch9wavefront6targetE0EEEvS13_.uses_flat_scratch, 0
	.set _ZN7rocprim17ROCPRIM_400000_NS6detail17trampoline_kernelINS0_13select_configILj256ELj13ELNS0_17block_load_methodE3ELS4_3ELS4_3ELNS0_20block_scan_algorithmE0ELj4294967295EEENS1_25partition_config_selectorILNS1_17partition_subalgoE4EjNS0_10empty_typeEbEEZZNS1_14partition_implILS8_4ELb0ES6_15HIP_vector_typeIjLj2EENS0_17counting_iteratorIjlEEPS9_SG_NS0_5tupleIJPjSI_NS0_16reverse_iteratorISI_EEEEENSH_IJSG_SG_SG_EEES9_SI_JZNS1_25segmented_radix_sort_implINS0_14default_configELb0EPK6__halfPSP_PKlPlN2at6native12_GLOBAL__N_18offset_tEEE10hipError_tPvRmT1_PNSt15iterator_traitsIS13_E10value_typeET2_T3_PNS14_IS19_E10value_typeET4_jRbjT5_S1F_jjP12ihipStream_tbEUljE_ZNSN_ISO_Lb0ESR_SS_SU_SV_SZ_EES10_S11_S12_S13_S17_S18_S19_S1C_S1D_jS1E_jS1F_S1F_jjS1H_bEUljE0_EEES10_S11_S12_S19_S1D_S1F_T6_T7_T9_mT8_S1H_bDpT10_ENKUlT_T0_E_clISt17integral_constantIbLb1EES1U_IbLb0EEEEDaS1Q_S1R_EUlS1Q_E_NS1_11comp_targetILNS1_3genE10ELNS1_11target_archE1200ELNS1_3gpuE4ELNS1_3repE0EEENS1_30default_config_static_selectorELNS0_4arch9wavefront6targetE0EEEvS13_.has_dyn_sized_stack, 0
	.set _ZN7rocprim17ROCPRIM_400000_NS6detail17trampoline_kernelINS0_13select_configILj256ELj13ELNS0_17block_load_methodE3ELS4_3ELS4_3ELNS0_20block_scan_algorithmE0ELj4294967295EEENS1_25partition_config_selectorILNS1_17partition_subalgoE4EjNS0_10empty_typeEbEEZZNS1_14partition_implILS8_4ELb0ES6_15HIP_vector_typeIjLj2EENS0_17counting_iteratorIjlEEPS9_SG_NS0_5tupleIJPjSI_NS0_16reverse_iteratorISI_EEEEENSH_IJSG_SG_SG_EEES9_SI_JZNS1_25segmented_radix_sort_implINS0_14default_configELb0EPK6__halfPSP_PKlPlN2at6native12_GLOBAL__N_18offset_tEEE10hipError_tPvRmT1_PNSt15iterator_traitsIS13_E10value_typeET2_T3_PNS14_IS19_E10value_typeET4_jRbjT5_S1F_jjP12ihipStream_tbEUljE_ZNSN_ISO_Lb0ESR_SS_SU_SV_SZ_EES10_S11_S12_S13_S17_S18_S19_S1C_S1D_jS1E_jS1F_S1F_jjS1H_bEUljE0_EEES10_S11_S12_S19_S1D_S1F_T6_T7_T9_mT8_S1H_bDpT10_ENKUlT_T0_E_clISt17integral_constantIbLb1EES1U_IbLb0EEEEDaS1Q_S1R_EUlS1Q_E_NS1_11comp_targetILNS1_3genE10ELNS1_11target_archE1200ELNS1_3gpuE4ELNS1_3repE0EEENS1_30default_config_static_selectorELNS0_4arch9wavefront6targetE0EEEvS13_.has_recursion, 0
	.set _ZN7rocprim17ROCPRIM_400000_NS6detail17trampoline_kernelINS0_13select_configILj256ELj13ELNS0_17block_load_methodE3ELS4_3ELS4_3ELNS0_20block_scan_algorithmE0ELj4294967295EEENS1_25partition_config_selectorILNS1_17partition_subalgoE4EjNS0_10empty_typeEbEEZZNS1_14partition_implILS8_4ELb0ES6_15HIP_vector_typeIjLj2EENS0_17counting_iteratorIjlEEPS9_SG_NS0_5tupleIJPjSI_NS0_16reverse_iteratorISI_EEEEENSH_IJSG_SG_SG_EEES9_SI_JZNS1_25segmented_radix_sort_implINS0_14default_configELb0EPK6__halfPSP_PKlPlN2at6native12_GLOBAL__N_18offset_tEEE10hipError_tPvRmT1_PNSt15iterator_traitsIS13_E10value_typeET2_T3_PNS14_IS19_E10value_typeET4_jRbjT5_S1F_jjP12ihipStream_tbEUljE_ZNSN_ISO_Lb0ESR_SS_SU_SV_SZ_EES10_S11_S12_S13_S17_S18_S19_S1C_S1D_jS1E_jS1F_S1F_jjS1H_bEUljE0_EEES10_S11_S12_S19_S1D_S1F_T6_T7_T9_mT8_S1H_bDpT10_ENKUlT_T0_E_clISt17integral_constantIbLb1EES1U_IbLb0EEEEDaS1Q_S1R_EUlS1Q_E_NS1_11comp_targetILNS1_3genE10ELNS1_11target_archE1200ELNS1_3gpuE4ELNS1_3repE0EEENS1_30default_config_static_selectorELNS0_4arch9wavefront6targetE0EEEvS13_.has_indirect_call, 0
	.section	.AMDGPU.csdata,"",@progbits
; Kernel info:
; codeLenInByte = 4
; TotalNumSgprs: 0
; NumVgprs: 0
; ScratchSize: 0
; MemoryBound: 0
; FloatMode: 240
; IeeeMode: 1
; LDSByteSize: 0 bytes/workgroup (compile time only)
; SGPRBlocks: 0
; VGPRBlocks: 0
; NumSGPRsForWavesPerEU: 1
; NumVGPRsForWavesPerEU: 1
; Occupancy: 16
; WaveLimiterHint : 0
; COMPUTE_PGM_RSRC2:SCRATCH_EN: 0
; COMPUTE_PGM_RSRC2:USER_SGPR: 2
; COMPUTE_PGM_RSRC2:TRAP_HANDLER: 0
; COMPUTE_PGM_RSRC2:TGID_X_EN: 1
; COMPUTE_PGM_RSRC2:TGID_Y_EN: 0
; COMPUTE_PGM_RSRC2:TGID_Z_EN: 0
; COMPUTE_PGM_RSRC2:TIDIG_COMP_CNT: 0
	.section	.text._ZN7rocprim17ROCPRIM_400000_NS6detail17trampoline_kernelINS0_13select_configILj256ELj13ELNS0_17block_load_methodE3ELS4_3ELS4_3ELNS0_20block_scan_algorithmE0ELj4294967295EEENS1_25partition_config_selectorILNS1_17partition_subalgoE4EjNS0_10empty_typeEbEEZZNS1_14partition_implILS8_4ELb0ES6_15HIP_vector_typeIjLj2EENS0_17counting_iteratorIjlEEPS9_SG_NS0_5tupleIJPjSI_NS0_16reverse_iteratorISI_EEEEENSH_IJSG_SG_SG_EEES9_SI_JZNS1_25segmented_radix_sort_implINS0_14default_configELb0EPK6__halfPSP_PKlPlN2at6native12_GLOBAL__N_18offset_tEEE10hipError_tPvRmT1_PNSt15iterator_traitsIS13_E10value_typeET2_T3_PNS14_IS19_E10value_typeET4_jRbjT5_S1F_jjP12ihipStream_tbEUljE_ZNSN_ISO_Lb0ESR_SS_SU_SV_SZ_EES10_S11_S12_S13_S17_S18_S19_S1C_S1D_jS1E_jS1F_S1F_jjS1H_bEUljE0_EEES10_S11_S12_S19_S1D_S1F_T6_T7_T9_mT8_S1H_bDpT10_ENKUlT_T0_E_clISt17integral_constantIbLb1EES1U_IbLb0EEEEDaS1Q_S1R_EUlS1Q_E_NS1_11comp_targetILNS1_3genE9ELNS1_11target_archE1100ELNS1_3gpuE3ELNS1_3repE0EEENS1_30default_config_static_selectorELNS0_4arch9wavefront6targetE0EEEvS13_,"axG",@progbits,_ZN7rocprim17ROCPRIM_400000_NS6detail17trampoline_kernelINS0_13select_configILj256ELj13ELNS0_17block_load_methodE3ELS4_3ELS4_3ELNS0_20block_scan_algorithmE0ELj4294967295EEENS1_25partition_config_selectorILNS1_17partition_subalgoE4EjNS0_10empty_typeEbEEZZNS1_14partition_implILS8_4ELb0ES6_15HIP_vector_typeIjLj2EENS0_17counting_iteratorIjlEEPS9_SG_NS0_5tupleIJPjSI_NS0_16reverse_iteratorISI_EEEEENSH_IJSG_SG_SG_EEES9_SI_JZNS1_25segmented_radix_sort_implINS0_14default_configELb0EPK6__halfPSP_PKlPlN2at6native12_GLOBAL__N_18offset_tEEE10hipError_tPvRmT1_PNSt15iterator_traitsIS13_E10value_typeET2_T3_PNS14_IS19_E10value_typeET4_jRbjT5_S1F_jjP12ihipStream_tbEUljE_ZNSN_ISO_Lb0ESR_SS_SU_SV_SZ_EES10_S11_S12_S13_S17_S18_S19_S1C_S1D_jS1E_jS1F_S1F_jjS1H_bEUljE0_EEES10_S11_S12_S19_S1D_S1F_T6_T7_T9_mT8_S1H_bDpT10_ENKUlT_T0_E_clISt17integral_constantIbLb1EES1U_IbLb0EEEEDaS1Q_S1R_EUlS1Q_E_NS1_11comp_targetILNS1_3genE9ELNS1_11target_archE1100ELNS1_3gpuE3ELNS1_3repE0EEENS1_30default_config_static_selectorELNS0_4arch9wavefront6targetE0EEEvS13_,comdat
	.globl	_ZN7rocprim17ROCPRIM_400000_NS6detail17trampoline_kernelINS0_13select_configILj256ELj13ELNS0_17block_load_methodE3ELS4_3ELS4_3ELNS0_20block_scan_algorithmE0ELj4294967295EEENS1_25partition_config_selectorILNS1_17partition_subalgoE4EjNS0_10empty_typeEbEEZZNS1_14partition_implILS8_4ELb0ES6_15HIP_vector_typeIjLj2EENS0_17counting_iteratorIjlEEPS9_SG_NS0_5tupleIJPjSI_NS0_16reverse_iteratorISI_EEEEENSH_IJSG_SG_SG_EEES9_SI_JZNS1_25segmented_radix_sort_implINS0_14default_configELb0EPK6__halfPSP_PKlPlN2at6native12_GLOBAL__N_18offset_tEEE10hipError_tPvRmT1_PNSt15iterator_traitsIS13_E10value_typeET2_T3_PNS14_IS19_E10value_typeET4_jRbjT5_S1F_jjP12ihipStream_tbEUljE_ZNSN_ISO_Lb0ESR_SS_SU_SV_SZ_EES10_S11_S12_S13_S17_S18_S19_S1C_S1D_jS1E_jS1F_S1F_jjS1H_bEUljE0_EEES10_S11_S12_S19_S1D_S1F_T6_T7_T9_mT8_S1H_bDpT10_ENKUlT_T0_E_clISt17integral_constantIbLb1EES1U_IbLb0EEEEDaS1Q_S1R_EUlS1Q_E_NS1_11comp_targetILNS1_3genE9ELNS1_11target_archE1100ELNS1_3gpuE3ELNS1_3repE0EEENS1_30default_config_static_selectorELNS0_4arch9wavefront6targetE0EEEvS13_ ; -- Begin function _ZN7rocprim17ROCPRIM_400000_NS6detail17trampoline_kernelINS0_13select_configILj256ELj13ELNS0_17block_load_methodE3ELS4_3ELS4_3ELNS0_20block_scan_algorithmE0ELj4294967295EEENS1_25partition_config_selectorILNS1_17partition_subalgoE4EjNS0_10empty_typeEbEEZZNS1_14partition_implILS8_4ELb0ES6_15HIP_vector_typeIjLj2EENS0_17counting_iteratorIjlEEPS9_SG_NS0_5tupleIJPjSI_NS0_16reverse_iteratorISI_EEEEENSH_IJSG_SG_SG_EEES9_SI_JZNS1_25segmented_radix_sort_implINS0_14default_configELb0EPK6__halfPSP_PKlPlN2at6native12_GLOBAL__N_18offset_tEEE10hipError_tPvRmT1_PNSt15iterator_traitsIS13_E10value_typeET2_T3_PNS14_IS19_E10value_typeET4_jRbjT5_S1F_jjP12ihipStream_tbEUljE_ZNSN_ISO_Lb0ESR_SS_SU_SV_SZ_EES10_S11_S12_S13_S17_S18_S19_S1C_S1D_jS1E_jS1F_S1F_jjS1H_bEUljE0_EEES10_S11_S12_S19_S1D_S1F_T6_T7_T9_mT8_S1H_bDpT10_ENKUlT_T0_E_clISt17integral_constantIbLb1EES1U_IbLb0EEEEDaS1Q_S1R_EUlS1Q_E_NS1_11comp_targetILNS1_3genE9ELNS1_11target_archE1100ELNS1_3gpuE3ELNS1_3repE0EEENS1_30default_config_static_selectorELNS0_4arch9wavefront6targetE0EEEvS13_
	.p2align	8
	.type	_ZN7rocprim17ROCPRIM_400000_NS6detail17trampoline_kernelINS0_13select_configILj256ELj13ELNS0_17block_load_methodE3ELS4_3ELS4_3ELNS0_20block_scan_algorithmE0ELj4294967295EEENS1_25partition_config_selectorILNS1_17partition_subalgoE4EjNS0_10empty_typeEbEEZZNS1_14partition_implILS8_4ELb0ES6_15HIP_vector_typeIjLj2EENS0_17counting_iteratorIjlEEPS9_SG_NS0_5tupleIJPjSI_NS0_16reverse_iteratorISI_EEEEENSH_IJSG_SG_SG_EEES9_SI_JZNS1_25segmented_radix_sort_implINS0_14default_configELb0EPK6__halfPSP_PKlPlN2at6native12_GLOBAL__N_18offset_tEEE10hipError_tPvRmT1_PNSt15iterator_traitsIS13_E10value_typeET2_T3_PNS14_IS19_E10value_typeET4_jRbjT5_S1F_jjP12ihipStream_tbEUljE_ZNSN_ISO_Lb0ESR_SS_SU_SV_SZ_EES10_S11_S12_S13_S17_S18_S19_S1C_S1D_jS1E_jS1F_S1F_jjS1H_bEUljE0_EEES10_S11_S12_S19_S1D_S1F_T6_T7_T9_mT8_S1H_bDpT10_ENKUlT_T0_E_clISt17integral_constantIbLb1EES1U_IbLb0EEEEDaS1Q_S1R_EUlS1Q_E_NS1_11comp_targetILNS1_3genE9ELNS1_11target_archE1100ELNS1_3gpuE3ELNS1_3repE0EEENS1_30default_config_static_selectorELNS0_4arch9wavefront6targetE0EEEvS13_,@function
_ZN7rocprim17ROCPRIM_400000_NS6detail17trampoline_kernelINS0_13select_configILj256ELj13ELNS0_17block_load_methodE3ELS4_3ELS4_3ELNS0_20block_scan_algorithmE0ELj4294967295EEENS1_25partition_config_selectorILNS1_17partition_subalgoE4EjNS0_10empty_typeEbEEZZNS1_14partition_implILS8_4ELb0ES6_15HIP_vector_typeIjLj2EENS0_17counting_iteratorIjlEEPS9_SG_NS0_5tupleIJPjSI_NS0_16reverse_iteratorISI_EEEEENSH_IJSG_SG_SG_EEES9_SI_JZNS1_25segmented_radix_sort_implINS0_14default_configELb0EPK6__halfPSP_PKlPlN2at6native12_GLOBAL__N_18offset_tEEE10hipError_tPvRmT1_PNSt15iterator_traitsIS13_E10value_typeET2_T3_PNS14_IS19_E10value_typeET4_jRbjT5_S1F_jjP12ihipStream_tbEUljE_ZNSN_ISO_Lb0ESR_SS_SU_SV_SZ_EES10_S11_S12_S13_S17_S18_S19_S1C_S1D_jS1E_jS1F_S1F_jjS1H_bEUljE0_EEES10_S11_S12_S19_S1D_S1F_T6_T7_T9_mT8_S1H_bDpT10_ENKUlT_T0_E_clISt17integral_constantIbLb1EES1U_IbLb0EEEEDaS1Q_S1R_EUlS1Q_E_NS1_11comp_targetILNS1_3genE9ELNS1_11target_archE1100ELNS1_3gpuE3ELNS1_3repE0EEENS1_30default_config_static_selectorELNS0_4arch9wavefront6targetE0EEEvS13_: ; @_ZN7rocprim17ROCPRIM_400000_NS6detail17trampoline_kernelINS0_13select_configILj256ELj13ELNS0_17block_load_methodE3ELS4_3ELS4_3ELNS0_20block_scan_algorithmE0ELj4294967295EEENS1_25partition_config_selectorILNS1_17partition_subalgoE4EjNS0_10empty_typeEbEEZZNS1_14partition_implILS8_4ELb0ES6_15HIP_vector_typeIjLj2EENS0_17counting_iteratorIjlEEPS9_SG_NS0_5tupleIJPjSI_NS0_16reverse_iteratorISI_EEEEENSH_IJSG_SG_SG_EEES9_SI_JZNS1_25segmented_radix_sort_implINS0_14default_configELb0EPK6__halfPSP_PKlPlN2at6native12_GLOBAL__N_18offset_tEEE10hipError_tPvRmT1_PNSt15iterator_traitsIS13_E10value_typeET2_T3_PNS14_IS19_E10value_typeET4_jRbjT5_S1F_jjP12ihipStream_tbEUljE_ZNSN_ISO_Lb0ESR_SS_SU_SV_SZ_EES10_S11_S12_S13_S17_S18_S19_S1C_S1D_jS1E_jS1F_S1F_jjS1H_bEUljE0_EEES10_S11_S12_S19_S1D_S1F_T6_T7_T9_mT8_S1H_bDpT10_ENKUlT_T0_E_clISt17integral_constantIbLb1EES1U_IbLb0EEEEDaS1Q_S1R_EUlS1Q_E_NS1_11comp_targetILNS1_3genE9ELNS1_11target_archE1100ELNS1_3gpuE3ELNS1_3repE0EEENS1_30default_config_static_selectorELNS0_4arch9wavefront6targetE0EEEvS13_
; %bb.0:
	.section	.rodata,"a",@progbits
	.p2align	6, 0x0
	.amdhsa_kernel _ZN7rocprim17ROCPRIM_400000_NS6detail17trampoline_kernelINS0_13select_configILj256ELj13ELNS0_17block_load_methodE3ELS4_3ELS4_3ELNS0_20block_scan_algorithmE0ELj4294967295EEENS1_25partition_config_selectorILNS1_17partition_subalgoE4EjNS0_10empty_typeEbEEZZNS1_14partition_implILS8_4ELb0ES6_15HIP_vector_typeIjLj2EENS0_17counting_iteratorIjlEEPS9_SG_NS0_5tupleIJPjSI_NS0_16reverse_iteratorISI_EEEEENSH_IJSG_SG_SG_EEES9_SI_JZNS1_25segmented_radix_sort_implINS0_14default_configELb0EPK6__halfPSP_PKlPlN2at6native12_GLOBAL__N_18offset_tEEE10hipError_tPvRmT1_PNSt15iterator_traitsIS13_E10value_typeET2_T3_PNS14_IS19_E10value_typeET4_jRbjT5_S1F_jjP12ihipStream_tbEUljE_ZNSN_ISO_Lb0ESR_SS_SU_SV_SZ_EES10_S11_S12_S13_S17_S18_S19_S1C_S1D_jS1E_jS1F_S1F_jjS1H_bEUljE0_EEES10_S11_S12_S19_S1D_S1F_T6_T7_T9_mT8_S1H_bDpT10_ENKUlT_T0_E_clISt17integral_constantIbLb1EES1U_IbLb0EEEEDaS1Q_S1R_EUlS1Q_E_NS1_11comp_targetILNS1_3genE9ELNS1_11target_archE1100ELNS1_3gpuE3ELNS1_3repE0EEENS1_30default_config_static_selectorELNS0_4arch9wavefront6targetE0EEEvS13_
		.amdhsa_group_segment_fixed_size 0
		.amdhsa_private_segment_fixed_size 0
		.amdhsa_kernarg_size 176
		.amdhsa_user_sgpr_count 2
		.amdhsa_user_sgpr_dispatch_ptr 0
		.amdhsa_user_sgpr_queue_ptr 0
		.amdhsa_user_sgpr_kernarg_segment_ptr 1
		.amdhsa_user_sgpr_dispatch_id 0
		.amdhsa_user_sgpr_private_segment_size 0
		.amdhsa_wavefront_size32 1
		.amdhsa_uses_dynamic_stack 0
		.amdhsa_enable_private_segment 0
		.amdhsa_system_sgpr_workgroup_id_x 1
		.amdhsa_system_sgpr_workgroup_id_y 0
		.amdhsa_system_sgpr_workgroup_id_z 0
		.amdhsa_system_sgpr_workgroup_info 0
		.amdhsa_system_vgpr_workitem_id 0
		.amdhsa_next_free_vgpr 1
		.amdhsa_next_free_sgpr 1
		.amdhsa_reserve_vcc 0
		.amdhsa_float_round_mode_32 0
		.amdhsa_float_round_mode_16_64 0
		.amdhsa_float_denorm_mode_32 3
		.amdhsa_float_denorm_mode_16_64 3
		.amdhsa_fp16_overflow 0
		.amdhsa_workgroup_processor_mode 1
		.amdhsa_memory_ordered 1
		.amdhsa_forward_progress 1
		.amdhsa_inst_pref_size 0
		.amdhsa_round_robin_scheduling 0
		.amdhsa_exception_fp_ieee_invalid_op 0
		.amdhsa_exception_fp_denorm_src 0
		.amdhsa_exception_fp_ieee_div_zero 0
		.amdhsa_exception_fp_ieee_overflow 0
		.amdhsa_exception_fp_ieee_underflow 0
		.amdhsa_exception_fp_ieee_inexact 0
		.amdhsa_exception_int_div_zero 0
	.end_amdhsa_kernel
	.section	.text._ZN7rocprim17ROCPRIM_400000_NS6detail17trampoline_kernelINS0_13select_configILj256ELj13ELNS0_17block_load_methodE3ELS4_3ELS4_3ELNS0_20block_scan_algorithmE0ELj4294967295EEENS1_25partition_config_selectorILNS1_17partition_subalgoE4EjNS0_10empty_typeEbEEZZNS1_14partition_implILS8_4ELb0ES6_15HIP_vector_typeIjLj2EENS0_17counting_iteratorIjlEEPS9_SG_NS0_5tupleIJPjSI_NS0_16reverse_iteratorISI_EEEEENSH_IJSG_SG_SG_EEES9_SI_JZNS1_25segmented_radix_sort_implINS0_14default_configELb0EPK6__halfPSP_PKlPlN2at6native12_GLOBAL__N_18offset_tEEE10hipError_tPvRmT1_PNSt15iterator_traitsIS13_E10value_typeET2_T3_PNS14_IS19_E10value_typeET4_jRbjT5_S1F_jjP12ihipStream_tbEUljE_ZNSN_ISO_Lb0ESR_SS_SU_SV_SZ_EES10_S11_S12_S13_S17_S18_S19_S1C_S1D_jS1E_jS1F_S1F_jjS1H_bEUljE0_EEES10_S11_S12_S19_S1D_S1F_T6_T7_T9_mT8_S1H_bDpT10_ENKUlT_T0_E_clISt17integral_constantIbLb1EES1U_IbLb0EEEEDaS1Q_S1R_EUlS1Q_E_NS1_11comp_targetILNS1_3genE9ELNS1_11target_archE1100ELNS1_3gpuE3ELNS1_3repE0EEENS1_30default_config_static_selectorELNS0_4arch9wavefront6targetE0EEEvS13_,"axG",@progbits,_ZN7rocprim17ROCPRIM_400000_NS6detail17trampoline_kernelINS0_13select_configILj256ELj13ELNS0_17block_load_methodE3ELS4_3ELS4_3ELNS0_20block_scan_algorithmE0ELj4294967295EEENS1_25partition_config_selectorILNS1_17partition_subalgoE4EjNS0_10empty_typeEbEEZZNS1_14partition_implILS8_4ELb0ES6_15HIP_vector_typeIjLj2EENS0_17counting_iteratorIjlEEPS9_SG_NS0_5tupleIJPjSI_NS0_16reverse_iteratorISI_EEEEENSH_IJSG_SG_SG_EEES9_SI_JZNS1_25segmented_radix_sort_implINS0_14default_configELb0EPK6__halfPSP_PKlPlN2at6native12_GLOBAL__N_18offset_tEEE10hipError_tPvRmT1_PNSt15iterator_traitsIS13_E10value_typeET2_T3_PNS14_IS19_E10value_typeET4_jRbjT5_S1F_jjP12ihipStream_tbEUljE_ZNSN_ISO_Lb0ESR_SS_SU_SV_SZ_EES10_S11_S12_S13_S17_S18_S19_S1C_S1D_jS1E_jS1F_S1F_jjS1H_bEUljE0_EEES10_S11_S12_S19_S1D_S1F_T6_T7_T9_mT8_S1H_bDpT10_ENKUlT_T0_E_clISt17integral_constantIbLb1EES1U_IbLb0EEEEDaS1Q_S1R_EUlS1Q_E_NS1_11comp_targetILNS1_3genE9ELNS1_11target_archE1100ELNS1_3gpuE3ELNS1_3repE0EEENS1_30default_config_static_selectorELNS0_4arch9wavefront6targetE0EEEvS13_,comdat
.Lfunc_end1800:
	.size	_ZN7rocprim17ROCPRIM_400000_NS6detail17trampoline_kernelINS0_13select_configILj256ELj13ELNS0_17block_load_methodE3ELS4_3ELS4_3ELNS0_20block_scan_algorithmE0ELj4294967295EEENS1_25partition_config_selectorILNS1_17partition_subalgoE4EjNS0_10empty_typeEbEEZZNS1_14partition_implILS8_4ELb0ES6_15HIP_vector_typeIjLj2EENS0_17counting_iteratorIjlEEPS9_SG_NS0_5tupleIJPjSI_NS0_16reverse_iteratorISI_EEEEENSH_IJSG_SG_SG_EEES9_SI_JZNS1_25segmented_radix_sort_implINS0_14default_configELb0EPK6__halfPSP_PKlPlN2at6native12_GLOBAL__N_18offset_tEEE10hipError_tPvRmT1_PNSt15iterator_traitsIS13_E10value_typeET2_T3_PNS14_IS19_E10value_typeET4_jRbjT5_S1F_jjP12ihipStream_tbEUljE_ZNSN_ISO_Lb0ESR_SS_SU_SV_SZ_EES10_S11_S12_S13_S17_S18_S19_S1C_S1D_jS1E_jS1F_S1F_jjS1H_bEUljE0_EEES10_S11_S12_S19_S1D_S1F_T6_T7_T9_mT8_S1H_bDpT10_ENKUlT_T0_E_clISt17integral_constantIbLb1EES1U_IbLb0EEEEDaS1Q_S1R_EUlS1Q_E_NS1_11comp_targetILNS1_3genE9ELNS1_11target_archE1100ELNS1_3gpuE3ELNS1_3repE0EEENS1_30default_config_static_selectorELNS0_4arch9wavefront6targetE0EEEvS13_, .Lfunc_end1800-_ZN7rocprim17ROCPRIM_400000_NS6detail17trampoline_kernelINS0_13select_configILj256ELj13ELNS0_17block_load_methodE3ELS4_3ELS4_3ELNS0_20block_scan_algorithmE0ELj4294967295EEENS1_25partition_config_selectorILNS1_17partition_subalgoE4EjNS0_10empty_typeEbEEZZNS1_14partition_implILS8_4ELb0ES6_15HIP_vector_typeIjLj2EENS0_17counting_iteratorIjlEEPS9_SG_NS0_5tupleIJPjSI_NS0_16reverse_iteratorISI_EEEEENSH_IJSG_SG_SG_EEES9_SI_JZNS1_25segmented_radix_sort_implINS0_14default_configELb0EPK6__halfPSP_PKlPlN2at6native12_GLOBAL__N_18offset_tEEE10hipError_tPvRmT1_PNSt15iterator_traitsIS13_E10value_typeET2_T3_PNS14_IS19_E10value_typeET4_jRbjT5_S1F_jjP12ihipStream_tbEUljE_ZNSN_ISO_Lb0ESR_SS_SU_SV_SZ_EES10_S11_S12_S13_S17_S18_S19_S1C_S1D_jS1E_jS1F_S1F_jjS1H_bEUljE0_EEES10_S11_S12_S19_S1D_S1F_T6_T7_T9_mT8_S1H_bDpT10_ENKUlT_T0_E_clISt17integral_constantIbLb1EES1U_IbLb0EEEEDaS1Q_S1R_EUlS1Q_E_NS1_11comp_targetILNS1_3genE9ELNS1_11target_archE1100ELNS1_3gpuE3ELNS1_3repE0EEENS1_30default_config_static_selectorELNS0_4arch9wavefront6targetE0EEEvS13_
                                        ; -- End function
	.set _ZN7rocprim17ROCPRIM_400000_NS6detail17trampoline_kernelINS0_13select_configILj256ELj13ELNS0_17block_load_methodE3ELS4_3ELS4_3ELNS0_20block_scan_algorithmE0ELj4294967295EEENS1_25partition_config_selectorILNS1_17partition_subalgoE4EjNS0_10empty_typeEbEEZZNS1_14partition_implILS8_4ELb0ES6_15HIP_vector_typeIjLj2EENS0_17counting_iteratorIjlEEPS9_SG_NS0_5tupleIJPjSI_NS0_16reverse_iteratorISI_EEEEENSH_IJSG_SG_SG_EEES9_SI_JZNS1_25segmented_radix_sort_implINS0_14default_configELb0EPK6__halfPSP_PKlPlN2at6native12_GLOBAL__N_18offset_tEEE10hipError_tPvRmT1_PNSt15iterator_traitsIS13_E10value_typeET2_T3_PNS14_IS19_E10value_typeET4_jRbjT5_S1F_jjP12ihipStream_tbEUljE_ZNSN_ISO_Lb0ESR_SS_SU_SV_SZ_EES10_S11_S12_S13_S17_S18_S19_S1C_S1D_jS1E_jS1F_S1F_jjS1H_bEUljE0_EEES10_S11_S12_S19_S1D_S1F_T6_T7_T9_mT8_S1H_bDpT10_ENKUlT_T0_E_clISt17integral_constantIbLb1EES1U_IbLb0EEEEDaS1Q_S1R_EUlS1Q_E_NS1_11comp_targetILNS1_3genE9ELNS1_11target_archE1100ELNS1_3gpuE3ELNS1_3repE0EEENS1_30default_config_static_selectorELNS0_4arch9wavefront6targetE0EEEvS13_.num_vgpr, 0
	.set _ZN7rocprim17ROCPRIM_400000_NS6detail17trampoline_kernelINS0_13select_configILj256ELj13ELNS0_17block_load_methodE3ELS4_3ELS4_3ELNS0_20block_scan_algorithmE0ELj4294967295EEENS1_25partition_config_selectorILNS1_17partition_subalgoE4EjNS0_10empty_typeEbEEZZNS1_14partition_implILS8_4ELb0ES6_15HIP_vector_typeIjLj2EENS0_17counting_iteratorIjlEEPS9_SG_NS0_5tupleIJPjSI_NS0_16reverse_iteratorISI_EEEEENSH_IJSG_SG_SG_EEES9_SI_JZNS1_25segmented_radix_sort_implINS0_14default_configELb0EPK6__halfPSP_PKlPlN2at6native12_GLOBAL__N_18offset_tEEE10hipError_tPvRmT1_PNSt15iterator_traitsIS13_E10value_typeET2_T3_PNS14_IS19_E10value_typeET4_jRbjT5_S1F_jjP12ihipStream_tbEUljE_ZNSN_ISO_Lb0ESR_SS_SU_SV_SZ_EES10_S11_S12_S13_S17_S18_S19_S1C_S1D_jS1E_jS1F_S1F_jjS1H_bEUljE0_EEES10_S11_S12_S19_S1D_S1F_T6_T7_T9_mT8_S1H_bDpT10_ENKUlT_T0_E_clISt17integral_constantIbLb1EES1U_IbLb0EEEEDaS1Q_S1R_EUlS1Q_E_NS1_11comp_targetILNS1_3genE9ELNS1_11target_archE1100ELNS1_3gpuE3ELNS1_3repE0EEENS1_30default_config_static_selectorELNS0_4arch9wavefront6targetE0EEEvS13_.num_agpr, 0
	.set _ZN7rocprim17ROCPRIM_400000_NS6detail17trampoline_kernelINS0_13select_configILj256ELj13ELNS0_17block_load_methodE3ELS4_3ELS4_3ELNS0_20block_scan_algorithmE0ELj4294967295EEENS1_25partition_config_selectorILNS1_17partition_subalgoE4EjNS0_10empty_typeEbEEZZNS1_14partition_implILS8_4ELb0ES6_15HIP_vector_typeIjLj2EENS0_17counting_iteratorIjlEEPS9_SG_NS0_5tupleIJPjSI_NS0_16reverse_iteratorISI_EEEEENSH_IJSG_SG_SG_EEES9_SI_JZNS1_25segmented_radix_sort_implINS0_14default_configELb0EPK6__halfPSP_PKlPlN2at6native12_GLOBAL__N_18offset_tEEE10hipError_tPvRmT1_PNSt15iterator_traitsIS13_E10value_typeET2_T3_PNS14_IS19_E10value_typeET4_jRbjT5_S1F_jjP12ihipStream_tbEUljE_ZNSN_ISO_Lb0ESR_SS_SU_SV_SZ_EES10_S11_S12_S13_S17_S18_S19_S1C_S1D_jS1E_jS1F_S1F_jjS1H_bEUljE0_EEES10_S11_S12_S19_S1D_S1F_T6_T7_T9_mT8_S1H_bDpT10_ENKUlT_T0_E_clISt17integral_constantIbLb1EES1U_IbLb0EEEEDaS1Q_S1R_EUlS1Q_E_NS1_11comp_targetILNS1_3genE9ELNS1_11target_archE1100ELNS1_3gpuE3ELNS1_3repE0EEENS1_30default_config_static_selectorELNS0_4arch9wavefront6targetE0EEEvS13_.numbered_sgpr, 0
	.set _ZN7rocprim17ROCPRIM_400000_NS6detail17trampoline_kernelINS0_13select_configILj256ELj13ELNS0_17block_load_methodE3ELS4_3ELS4_3ELNS0_20block_scan_algorithmE0ELj4294967295EEENS1_25partition_config_selectorILNS1_17partition_subalgoE4EjNS0_10empty_typeEbEEZZNS1_14partition_implILS8_4ELb0ES6_15HIP_vector_typeIjLj2EENS0_17counting_iteratorIjlEEPS9_SG_NS0_5tupleIJPjSI_NS0_16reverse_iteratorISI_EEEEENSH_IJSG_SG_SG_EEES9_SI_JZNS1_25segmented_radix_sort_implINS0_14default_configELb0EPK6__halfPSP_PKlPlN2at6native12_GLOBAL__N_18offset_tEEE10hipError_tPvRmT1_PNSt15iterator_traitsIS13_E10value_typeET2_T3_PNS14_IS19_E10value_typeET4_jRbjT5_S1F_jjP12ihipStream_tbEUljE_ZNSN_ISO_Lb0ESR_SS_SU_SV_SZ_EES10_S11_S12_S13_S17_S18_S19_S1C_S1D_jS1E_jS1F_S1F_jjS1H_bEUljE0_EEES10_S11_S12_S19_S1D_S1F_T6_T7_T9_mT8_S1H_bDpT10_ENKUlT_T0_E_clISt17integral_constantIbLb1EES1U_IbLb0EEEEDaS1Q_S1R_EUlS1Q_E_NS1_11comp_targetILNS1_3genE9ELNS1_11target_archE1100ELNS1_3gpuE3ELNS1_3repE0EEENS1_30default_config_static_selectorELNS0_4arch9wavefront6targetE0EEEvS13_.num_named_barrier, 0
	.set _ZN7rocprim17ROCPRIM_400000_NS6detail17trampoline_kernelINS0_13select_configILj256ELj13ELNS0_17block_load_methodE3ELS4_3ELS4_3ELNS0_20block_scan_algorithmE0ELj4294967295EEENS1_25partition_config_selectorILNS1_17partition_subalgoE4EjNS0_10empty_typeEbEEZZNS1_14partition_implILS8_4ELb0ES6_15HIP_vector_typeIjLj2EENS0_17counting_iteratorIjlEEPS9_SG_NS0_5tupleIJPjSI_NS0_16reverse_iteratorISI_EEEEENSH_IJSG_SG_SG_EEES9_SI_JZNS1_25segmented_radix_sort_implINS0_14default_configELb0EPK6__halfPSP_PKlPlN2at6native12_GLOBAL__N_18offset_tEEE10hipError_tPvRmT1_PNSt15iterator_traitsIS13_E10value_typeET2_T3_PNS14_IS19_E10value_typeET4_jRbjT5_S1F_jjP12ihipStream_tbEUljE_ZNSN_ISO_Lb0ESR_SS_SU_SV_SZ_EES10_S11_S12_S13_S17_S18_S19_S1C_S1D_jS1E_jS1F_S1F_jjS1H_bEUljE0_EEES10_S11_S12_S19_S1D_S1F_T6_T7_T9_mT8_S1H_bDpT10_ENKUlT_T0_E_clISt17integral_constantIbLb1EES1U_IbLb0EEEEDaS1Q_S1R_EUlS1Q_E_NS1_11comp_targetILNS1_3genE9ELNS1_11target_archE1100ELNS1_3gpuE3ELNS1_3repE0EEENS1_30default_config_static_selectorELNS0_4arch9wavefront6targetE0EEEvS13_.private_seg_size, 0
	.set _ZN7rocprim17ROCPRIM_400000_NS6detail17trampoline_kernelINS0_13select_configILj256ELj13ELNS0_17block_load_methodE3ELS4_3ELS4_3ELNS0_20block_scan_algorithmE0ELj4294967295EEENS1_25partition_config_selectorILNS1_17partition_subalgoE4EjNS0_10empty_typeEbEEZZNS1_14partition_implILS8_4ELb0ES6_15HIP_vector_typeIjLj2EENS0_17counting_iteratorIjlEEPS9_SG_NS0_5tupleIJPjSI_NS0_16reverse_iteratorISI_EEEEENSH_IJSG_SG_SG_EEES9_SI_JZNS1_25segmented_radix_sort_implINS0_14default_configELb0EPK6__halfPSP_PKlPlN2at6native12_GLOBAL__N_18offset_tEEE10hipError_tPvRmT1_PNSt15iterator_traitsIS13_E10value_typeET2_T3_PNS14_IS19_E10value_typeET4_jRbjT5_S1F_jjP12ihipStream_tbEUljE_ZNSN_ISO_Lb0ESR_SS_SU_SV_SZ_EES10_S11_S12_S13_S17_S18_S19_S1C_S1D_jS1E_jS1F_S1F_jjS1H_bEUljE0_EEES10_S11_S12_S19_S1D_S1F_T6_T7_T9_mT8_S1H_bDpT10_ENKUlT_T0_E_clISt17integral_constantIbLb1EES1U_IbLb0EEEEDaS1Q_S1R_EUlS1Q_E_NS1_11comp_targetILNS1_3genE9ELNS1_11target_archE1100ELNS1_3gpuE3ELNS1_3repE0EEENS1_30default_config_static_selectorELNS0_4arch9wavefront6targetE0EEEvS13_.uses_vcc, 0
	.set _ZN7rocprim17ROCPRIM_400000_NS6detail17trampoline_kernelINS0_13select_configILj256ELj13ELNS0_17block_load_methodE3ELS4_3ELS4_3ELNS0_20block_scan_algorithmE0ELj4294967295EEENS1_25partition_config_selectorILNS1_17partition_subalgoE4EjNS0_10empty_typeEbEEZZNS1_14partition_implILS8_4ELb0ES6_15HIP_vector_typeIjLj2EENS0_17counting_iteratorIjlEEPS9_SG_NS0_5tupleIJPjSI_NS0_16reverse_iteratorISI_EEEEENSH_IJSG_SG_SG_EEES9_SI_JZNS1_25segmented_radix_sort_implINS0_14default_configELb0EPK6__halfPSP_PKlPlN2at6native12_GLOBAL__N_18offset_tEEE10hipError_tPvRmT1_PNSt15iterator_traitsIS13_E10value_typeET2_T3_PNS14_IS19_E10value_typeET4_jRbjT5_S1F_jjP12ihipStream_tbEUljE_ZNSN_ISO_Lb0ESR_SS_SU_SV_SZ_EES10_S11_S12_S13_S17_S18_S19_S1C_S1D_jS1E_jS1F_S1F_jjS1H_bEUljE0_EEES10_S11_S12_S19_S1D_S1F_T6_T7_T9_mT8_S1H_bDpT10_ENKUlT_T0_E_clISt17integral_constantIbLb1EES1U_IbLb0EEEEDaS1Q_S1R_EUlS1Q_E_NS1_11comp_targetILNS1_3genE9ELNS1_11target_archE1100ELNS1_3gpuE3ELNS1_3repE0EEENS1_30default_config_static_selectorELNS0_4arch9wavefront6targetE0EEEvS13_.uses_flat_scratch, 0
	.set _ZN7rocprim17ROCPRIM_400000_NS6detail17trampoline_kernelINS0_13select_configILj256ELj13ELNS0_17block_load_methodE3ELS4_3ELS4_3ELNS0_20block_scan_algorithmE0ELj4294967295EEENS1_25partition_config_selectorILNS1_17partition_subalgoE4EjNS0_10empty_typeEbEEZZNS1_14partition_implILS8_4ELb0ES6_15HIP_vector_typeIjLj2EENS0_17counting_iteratorIjlEEPS9_SG_NS0_5tupleIJPjSI_NS0_16reverse_iteratorISI_EEEEENSH_IJSG_SG_SG_EEES9_SI_JZNS1_25segmented_radix_sort_implINS0_14default_configELb0EPK6__halfPSP_PKlPlN2at6native12_GLOBAL__N_18offset_tEEE10hipError_tPvRmT1_PNSt15iterator_traitsIS13_E10value_typeET2_T3_PNS14_IS19_E10value_typeET4_jRbjT5_S1F_jjP12ihipStream_tbEUljE_ZNSN_ISO_Lb0ESR_SS_SU_SV_SZ_EES10_S11_S12_S13_S17_S18_S19_S1C_S1D_jS1E_jS1F_S1F_jjS1H_bEUljE0_EEES10_S11_S12_S19_S1D_S1F_T6_T7_T9_mT8_S1H_bDpT10_ENKUlT_T0_E_clISt17integral_constantIbLb1EES1U_IbLb0EEEEDaS1Q_S1R_EUlS1Q_E_NS1_11comp_targetILNS1_3genE9ELNS1_11target_archE1100ELNS1_3gpuE3ELNS1_3repE0EEENS1_30default_config_static_selectorELNS0_4arch9wavefront6targetE0EEEvS13_.has_dyn_sized_stack, 0
	.set _ZN7rocprim17ROCPRIM_400000_NS6detail17trampoline_kernelINS0_13select_configILj256ELj13ELNS0_17block_load_methodE3ELS4_3ELS4_3ELNS0_20block_scan_algorithmE0ELj4294967295EEENS1_25partition_config_selectorILNS1_17partition_subalgoE4EjNS0_10empty_typeEbEEZZNS1_14partition_implILS8_4ELb0ES6_15HIP_vector_typeIjLj2EENS0_17counting_iteratorIjlEEPS9_SG_NS0_5tupleIJPjSI_NS0_16reverse_iteratorISI_EEEEENSH_IJSG_SG_SG_EEES9_SI_JZNS1_25segmented_radix_sort_implINS0_14default_configELb0EPK6__halfPSP_PKlPlN2at6native12_GLOBAL__N_18offset_tEEE10hipError_tPvRmT1_PNSt15iterator_traitsIS13_E10value_typeET2_T3_PNS14_IS19_E10value_typeET4_jRbjT5_S1F_jjP12ihipStream_tbEUljE_ZNSN_ISO_Lb0ESR_SS_SU_SV_SZ_EES10_S11_S12_S13_S17_S18_S19_S1C_S1D_jS1E_jS1F_S1F_jjS1H_bEUljE0_EEES10_S11_S12_S19_S1D_S1F_T6_T7_T9_mT8_S1H_bDpT10_ENKUlT_T0_E_clISt17integral_constantIbLb1EES1U_IbLb0EEEEDaS1Q_S1R_EUlS1Q_E_NS1_11comp_targetILNS1_3genE9ELNS1_11target_archE1100ELNS1_3gpuE3ELNS1_3repE0EEENS1_30default_config_static_selectorELNS0_4arch9wavefront6targetE0EEEvS13_.has_recursion, 0
	.set _ZN7rocprim17ROCPRIM_400000_NS6detail17trampoline_kernelINS0_13select_configILj256ELj13ELNS0_17block_load_methodE3ELS4_3ELS4_3ELNS0_20block_scan_algorithmE0ELj4294967295EEENS1_25partition_config_selectorILNS1_17partition_subalgoE4EjNS0_10empty_typeEbEEZZNS1_14partition_implILS8_4ELb0ES6_15HIP_vector_typeIjLj2EENS0_17counting_iteratorIjlEEPS9_SG_NS0_5tupleIJPjSI_NS0_16reverse_iteratorISI_EEEEENSH_IJSG_SG_SG_EEES9_SI_JZNS1_25segmented_radix_sort_implINS0_14default_configELb0EPK6__halfPSP_PKlPlN2at6native12_GLOBAL__N_18offset_tEEE10hipError_tPvRmT1_PNSt15iterator_traitsIS13_E10value_typeET2_T3_PNS14_IS19_E10value_typeET4_jRbjT5_S1F_jjP12ihipStream_tbEUljE_ZNSN_ISO_Lb0ESR_SS_SU_SV_SZ_EES10_S11_S12_S13_S17_S18_S19_S1C_S1D_jS1E_jS1F_S1F_jjS1H_bEUljE0_EEES10_S11_S12_S19_S1D_S1F_T6_T7_T9_mT8_S1H_bDpT10_ENKUlT_T0_E_clISt17integral_constantIbLb1EES1U_IbLb0EEEEDaS1Q_S1R_EUlS1Q_E_NS1_11comp_targetILNS1_3genE9ELNS1_11target_archE1100ELNS1_3gpuE3ELNS1_3repE0EEENS1_30default_config_static_selectorELNS0_4arch9wavefront6targetE0EEEvS13_.has_indirect_call, 0
	.section	.AMDGPU.csdata,"",@progbits
; Kernel info:
; codeLenInByte = 0
; TotalNumSgprs: 0
; NumVgprs: 0
; ScratchSize: 0
; MemoryBound: 0
; FloatMode: 240
; IeeeMode: 1
; LDSByteSize: 0 bytes/workgroup (compile time only)
; SGPRBlocks: 0
; VGPRBlocks: 0
; NumSGPRsForWavesPerEU: 1
; NumVGPRsForWavesPerEU: 1
; Occupancy: 16
; WaveLimiterHint : 0
; COMPUTE_PGM_RSRC2:SCRATCH_EN: 0
; COMPUTE_PGM_RSRC2:USER_SGPR: 2
; COMPUTE_PGM_RSRC2:TRAP_HANDLER: 0
; COMPUTE_PGM_RSRC2:TGID_X_EN: 1
; COMPUTE_PGM_RSRC2:TGID_Y_EN: 0
; COMPUTE_PGM_RSRC2:TGID_Z_EN: 0
; COMPUTE_PGM_RSRC2:TIDIG_COMP_CNT: 0
	.section	.text._ZN7rocprim17ROCPRIM_400000_NS6detail17trampoline_kernelINS0_13select_configILj256ELj13ELNS0_17block_load_methodE3ELS4_3ELS4_3ELNS0_20block_scan_algorithmE0ELj4294967295EEENS1_25partition_config_selectorILNS1_17partition_subalgoE4EjNS0_10empty_typeEbEEZZNS1_14partition_implILS8_4ELb0ES6_15HIP_vector_typeIjLj2EENS0_17counting_iteratorIjlEEPS9_SG_NS0_5tupleIJPjSI_NS0_16reverse_iteratorISI_EEEEENSH_IJSG_SG_SG_EEES9_SI_JZNS1_25segmented_radix_sort_implINS0_14default_configELb0EPK6__halfPSP_PKlPlN2at6native12_GLOBAL__N_18offset_tEEE10hipError_tPvRmT1_PNSt15iterator_traitsIS13_E10value_typeET2_T3_PNS14_IS19_E10value_typeET4_jRbjT5_S1F_jjP12ihipStream_tbEUljE_ZNSN_ISO_Lb0ESR_SS_SU_SV_SZ_EES10_S11_S12_S13_S17_S18_S19_S1C_S1D_jS1E_jS1F_S1F_jjS1H_bEUljE0_EEES10_S11_S12_S19_S1D_S1F_T6_T7_T9_mT8_S1H_bDpT10_ENKUlT_T0_E_clISt17integral_constantIbLb1EES1U_IbLb0EEEEDaS1Q_S1R_EUlS1Q_E_NS1_11comp_targetILNS1_3genE8ELNS1_11target_archE1030ELNS1_3gpuE2ELNS1_3repE0EEENS1_30default_config_static_selectorELNS0_4arch9wavefront6targetE0EEEvS13_,"axG",@progbits,_ZN7rocprim17ROCPRIM_400000_NS6detail17trampoline_kernelINS0_13select_configILj256ELj13ELNS0_17block_load_methodE3ELS4_3ELS4_3ELNS0_20block_scan_algorithmE0ELj4294967295EEENS1_25partition_config_selectorILNS1_17partition_subalgoE4EjNS0_10empty_typeEbEEZZNS1_14partition_implILS8_4ELb0ES6_15HIP_vector_typeIjLj2EENS0_17counting_iteratorIjlEEPS9_SG_NS0_5tupleIJPjSI_NS0_16reverse_iteratorISI_EEEEENSH_IJSG_SG_SG_EEES9_SI_JZNS1_25segmented_radix_sort_implINS0_14default_configELb0EPK6__halfPSP_PKlPlN2at6native12_GLOBAL__N_18offset_tEEE10hipError_tPvRmT1_PNSt15iterator_traitsIS13_E10value_typeET2_T3_PNS14_IS19_E10value_typeET4_jRbjT5_S1F_jjP12ihipStream_tbEUljE_ZNSN_ISO_Lb0ESR_SS_SU_SV_SZ_EES10_S11_S12_S13_S17_S18_S19_S1C_S1D_jS1E_jS1F_S1F_jjS1H_bEUljE0_EEES10_S11_S12_S19_S1D_S1F_T6_T7_T9_mT8_S1H_bDpT10_ENKUlT_T0_E_clISt17integral_constantIbLb1EES1U_IbLb0EEEEDaS1Q_S1R_EUlS1Q_E_NS1_11comp_targetILNS1_3genE8ELNS1_11target_archE1030ELNS1_3gpuE2ELNS1_3repE0EEENS1_30default_config_static_selectorELNS0_4arch9wavefront6targetE0EEEvS13_,comdat
	.globl	_ZN7rocprim17ROCPRIM_400000_NS6detail17trampoline_kernelINS0_13select_configILj256ELj13ELNS0_17block_load_methodE3ELS4_3ELS4_3ELNS0_20block_scan_algorithmE0ELj4294967295EEENS1_25partition_config_selectorILNS1_17partition_subalgoE4EjNS0_10empty_typeEbEEZZNS1_14partition_implILS8_4ELb0ES6_15HIP_vector_typeIjLj2EENS0_17counting_iteratorIjlEEPS9_SG_NS0_5tupleIJPjSI_NS0_16reverse_iteratorISI_EEEEENSH_IJSG_SG_SG_EEES9_SI_JZNS1_25segmented_radix_sort_implINS0_14default_configELb0EPK6__halfPSP_PKlPlN2at6native12_GLOBAL__N_18offset_tEEE10hipError_tPvRmT1_PNSt15iterator_traitsIS13_E10value_typeET2_T3_PNS14_IS19_E10value_typeET4_jRbjT5_S1F_jjP12ihipStream_tbEUljE_ZNSN_ISO_Lb0ESR_SS_SU_SV_SZ_EES10_S11_S12_S13_S17_S18_S19_S1C_S1D_jS1E_jS1F_S1F_jjS1H_bEUljE0_EEES10_S11_S12_S19_S1D_S1F_T6_T7_T9_mT8_S1H_bDpT10_ENKUlT_T0_E_clISt17integral_constantIbLb1EES1U_IbLb0EEEEDaS1Q_S1R_EUlS1Q_E_NS1_11comp_targetILNS1_3genE8ELNS1_11target_archE1030ELNS1_3gpuE2ELNS1_3repE0EEENS1_30default_config_static_selectorELNS0_4arch9wavefront6targetE0EEEvS13_ ; -- Begin function _ZN7rocprim17ROCPRIM_400000_NS6detail17trampoline_kernelINS0_13select_configILj256ELj13ELNS0_17block_load_methodE3ELS4_3ELS4_3ELNS0_20block_scan_algorithmE0ELj4294967295EEENS1_25partition_config_selectorILNS1_17partition_subalgoE4EjNS0_10empty_typeEbEEZZNS1_14partition_implILS8_4ELb0ES6_15HIP_vector_typeIjLj2EENS0_17counting_iteratorIjlEEPS9_SG_NS0_5tupleIJPjSI_NS0_16reverse_iteratorISI_EEEEENSH_IJSG_SG_SG_EEES9_SI_JZNS1_25segmented_radix_sort_implINS0_14default_configELb0EPK6__halfPSP_PKlPlN2at6native12_GLOBAL__N_18offset_tEEE10hipError_tPvRmT1_PNSt15iterator_traitsIS13_E10value_typeET2_T3_PNS14_IS19_E10value_typeET4_jRbjT5_S1F_jjP12ihipStream_tbEUljE_ZNSN_ISO_Lb0ESR_SS_SU_SV_SZ_EES10_S11_S12_S13_S17_S18_S19_S1C_S1D_jS1E_jS1F_S1F_jjS1H_bEUljE0_EEES10_S11_S12_S19_S1D_S1F_T6_T7_T9_mT8_S1H_bDpT10_ENKUlT_T0_E_clISt17integral_constantIbLb1EES1U_IbLb0EEEEDaS1Q_S1R_EUlS1Q_E_NS1_11comp_targetILNS1_3genE8ELNS1_11target_archE1030ELNS1_3gpuE2ELNS1_3repE0EEENS1_30default_config_static_selectorELNS0_4arch9wavefront6targetE0EEEvS13_
	.p2align	8
	.type	_ZN7rocprim17ROCPRIM_400000_NS6detail17trampoline_kernelINS0_13select_configILj256ELj13ELNS0_17block_load_methodE3ELS4_3ELS4_3ELNS0_20block_scan_algorithmE0ELj4294967295EEENS1_25partition_config_selectorILNS1_17partition_subalgoE4EjNS0_10empty_typeEbEEZZNS1_14partition_implILS8_4ELb0ES6_15HIP_vector_typeIjLj2EENS0_17counting_iteratorIjlEEPS9_SG_NS0_5tupleIJPjSI_NS0_16reverse_iteratorISI_EEEEENSH_IJSG_SG_SG_EEES9_SI_JZNS1_25segmented_radix_sort_implINS0_14default_configELb0EPK6__halfPSP_PKlPlN2at6native12_GLOBAL__N_18offset_tEEE10hipError_tPvRmT1_PNSt15iterator_traitsIS13_E10value_typeET2_T3_PNS14_IS19_E10value_typeET4_jRbjT5_S1F_jjP12ihipStream_tbEUljE_ZNSN_ISO_Lb0ESR_SS_SU_SV_SZ_EES10_S11_S12_S13_S17_S18_S19_S1C_S1D_jS1E_jS1F_S1F_jjS1H_bEUljE0_EEES10_S11_S12_S19_S1D_S1F_T6_T7_T9_mT8_S1H_bDpT10_ENKUlT_T0_E_clISt17integral_constantIbLb1EES1U_IbLb0EEEEDaS1Q_S1R_EUlS1Q_E_NS1_11comp_targetILNS1_3genE8ELNS1_11target_archE1030ELNS1_3gpuE2ELNS1_3repE0EEENS1_30default_config_static_selectorELNS0_4arch9wavefront6targetE0EEEvS13_,@function
_ZN7rocprim17ROCPRIM_400000_NS6detail17trampoline_kernelINS0_13select_configILj256ELj13ELNS0_17block_load_methodE3ELS4_3ELS4_3ELNS0_20block_scan_algorithmE0ELj4294967295EEENS1_25partition_config_selectorILNS1_17partition_subalgoE4EjNS0_10empty_typeEbEEZZNS1_14partition_implILS8_4ELb0ES6_15HIP_vector_typeIjLj2EENS0_17counting_iteratorIjlEEPS9_SG_NS0_5tupleIJPjSI_NS0_16reverse_iteratorISI_EEEEENSH_IJSG_SG_SG_EEES9_SI_JZNS1_25segmented_radix_sort_implINS0_14default_configELb0EPK6__halfPSP_PKlPlN2at6native12_GLOBAL__N_18offset_tEEE10hipError_tPvRmT1_PNSt15iterator_traitsIS13_E10value_typeET2_T3_PNS14_IS19_E10value_typeET4_jRbjT5_S1F_jjP12ihipStream_tbEUljE_ZNSN_ISO_Lb0ESR_SS_SU_SV_SZ_EES10_S11_S12_S13_S17_S18_S19_S1C_S1D_jS1E_jS1F_S1F_jjS1H_bEUljE0_EEES10_S11_S12_S19_S1D_S1F_T6_T7_T9_mT8_S1H_bDpT10_ENKUlT_T0_E_clISt17integral_constantIbLb1EES1U_IbLb0EEEEDaS1Q_S1R_EUlS1Q_E_NS1_11comp_targetILNS1_3genE8ELNS1_11target_archE1030ELNS1_3gpuE2ELNS1_3repE0EEENS1_30default_config_static_selectorELNS0_4arch9wavefront6targetE0EEEvS13_: ; @_ZN7rocprim17ROCPRIM_400000_NS6detail17trampoline_kernelINS0_13select_configILj256ELj13ELNS0_17block_load_methodE3ELS4_3ELS4_3ELNS0_20block_scan_algorithmE0ELj4294967295EEENS1_25partition_config_selectorILNS1_17partition_subalgoE4EjNS0_10empty_typeEbEEZZNS1_14partition_implILS8_4ELb0ES6_15HIP_vector_typeIjLj2EENS0_17counting_iteratorIjlEEPS9_SG_NS0_5tupleIJPjSI_NS0_16reverse_iteratorISI_EEEEENSH_IJSG_SG_SG_EEES9_SI_JZNS1_25segmented_radix_sort_implINS0_14default_configELb0EPK6__halfPSP_PKlPlN2at6native12_GLOBAL__N_18offset_tEEE10hipError_tPvRmT1_PNSt15iterator_traitsIS13_E10value_typeET2_T3_PNS14_IS19_E10value_typeET4_jRbjT5_S1F_jjP12ihipStream_tbEUljE_ZNSN_ISO_Lb0ESR_SS_SU_SV_SZ_EES10_S11_S12_S13_S17_S18_S19_S1C_S1D_jS1E_jS1F_S1F_jjS1H_bEUljE0_EEES10_S11_S12_S19_S1D_S1F_T6_T7_T9_mT8_S1H_bDpT10_ENKUlT_T0_E_clISt17integral_constantIbLb1EES1U_IbLb0EEEEDaS1Q_S1R_EUlS1Q_E_NS1_11comp_targetILNS1_3genE8ELNS1_11target_archE1030ELNS1_3gpuE2ELNS1_3repE0EEENS1_30default_config_static_selectorELNS0_4arch9wavefront6targetE0EEEvS13_
; %bb.0:
	.section	.rodata,"a",@progbits
	.p2align	6, 0x0
	.amdhsa_kernel _ZN7rocprim17ROCPRIM_400000_NS6detail17trampoline_kernelINS0_13select_configILj256ELj13ELNS0_17block_load_methodE3ELS4_3ELS4_3ELNS0_20block_scan_algorithmE0ELj4294967295EEENS1_25partition_config_selectorILNS1_17partition_subalgoE4EjNS0_10empty_typeEbEEZZNS1_14partition_implILS8_4ELb0ES6_15HIP_vector_typeIjLj2EENS0_17counting_iteratorIjlEEPS9_SG_NS0_5tupleIJPjSI_NS0_16reverse_iteratorISI_EEEEENSH_IJSG_SG_SG_EEES9_SI_JZNS1_25segmented_radix_sort_implINS0_14default_configELb0EPK6__halfPSP_PKlPlN2at6native12_GLOBAL__N_18offset_tEEE10hipError_tPvRmT1_PNSt15iterator_traitsIS13_E10value_typeET2_T3_PNS14_IS19_E10value_typeET4_jRbjT5_S1F_jjP12ihipStream_tbEUljE_ZNSN_ISO_Lb0ESR_SS_SU_SV_SZ_EES10_S11_S12_S13_S17_S18_S19_S1C_S1D_jS1E_jS1F_S1F_jjS1H_bEUljE0_EEES10_S11_S12_S19_S1D_S1F_T6_T7_T9_mT8_S1H_bDpT10_ENKUlT_T0_E_clISt17integral_constantIbLb1EES1U_IbLb0EEEEDaS1Q_S1R_EUlS1Q_E_NS1_11comp_targetILNS1_3genE8ELNS1_11target_archE1030ELNS1_3gpuE2ELNS1_3repE0EEENS1_30default_config_static_selectorELNS0_4arch9wavefront6targetE0EEEvS13_
		.amdhsa_group_segment_fixed_size 0
		.amdhsa_private_segment_fixed_size 0
		.amdhsa_kernarg_size 176
		.amdhsa_user_sgpr_count 2
		.amdhsa_user_sgpr_dispatch_ptr 0
		.amdhsa_user_sgpr_queue_ptr 0
		.amdhsa_user_sgpr_kernarg_segment_ptr 1
		.amdhsa_user_sgpr_dispatch_id 0
		.amdhsa_user_sgpr_private_segment_size 0
		.amdhsa_wavefront_size32 1
		.amdhsa_uses_dynamic_stack 0
		.amdhsa_enable_private_segment 0
		.amdhsa_system_sgpr_workgroup_id_x 1
		.amdhsa_system_sgpr_workgroup_id_y 0
		.amdhsa_system_sgpr_workgroup_id_z 0
		.amdhsa_system_sgpr_workgroup_info 0
		.amdhsa_system_vgpr_workitem_id 0
		.amdhsa_next_free_vgpr 1
		.amdhsa_next_free_sgpr 1
		.amdhsa_reserve_vcc 0
		.amdhsa_float_round_mode_32 0
		.amdhsa_float_round_mode_16_64 0
		.amdhsa_float_denorm_mode_32 3
		.amdhsa_float_denorm_mode_16_64 3
		.amdhsa_fp16_overflow 0
		.amdhsa_workgroup_processor_mode 1
		.amdhsa_memory_ordered 1
		.amdhsa_forward_progress 1
		.amdhsa_inst_pref_size 0
		.amdhsa_round_robin_scheduling 0
		.amdhsa_exception_fp_ieee_invalid_op 0
		.amdhsa_exception_fp_denorm_src 0
		.amdhsa_exception_fp_ieee_div_zero 0
		.amdhsa_exception_fp_ieee_overflow 0
		.amdhsa_exception_fp_ieee_underflow 0
		.amdhsa_exception_fp_ieee_inexact 0
		.amdhsa_exception_int_div_zero 0
	.end_amdhsa_kernel
	.section	.text._ZN7rocprim17ROCPRIM_400000_NS6detail17trampoline_kernelINS0_13select_configILj256ELj13ELNS0_17block_load_methodE3ELS4_3ELS4_3ELNS0_20block_scan_algorithmE0ELj4294967295EEENS1_25partition_config_selectorILNS1_17partition_subalgoE4EjNS0_10empty_typeEbEEZZNS1_14partition_implILS8_4ELb0ES6_15HIP_vector_typeIjLj2EENS0_17counting_iteratorIjlEEPS9_SG_NS0_5tupleIJPjSI_NS0_16reverse_iteratorISI_EEEEENSH_IJSG_SG_SG_EEES9_SI_JZNS1_25segmented_radix_sort_implINS0_14default_configELb0EPK6__halfPSP_PKlPlN2at6native12_GLOBAL__N_18offset_tEEE10hipError_tPvRmT1_PNSt15iterator_traitsIS13_E10value_typeET2_T3_PNS14_IS19_E10value_typeET4_jRbjT5_S1F_jjP12ihipStream_tbEUljE_ZNSN_ISO_Lb0ESR_SS_SU_SV_SZ_EES10_S11_S12_S13_S17_S18_S19_S1C_S1D_jS1E_jS1F_S1F_jjS1H_bEUljE0_EEES10_S11_S12_S19_S1D_S1F_T6_T7_T9_mT8_S1H_bDpT10_ENKUlT_T0_E_clISt17integral_constantIbLb1EES1U_IbLb0EEEEDaS1Q_S1R_EUlS1Q_E_NS1_11comp_targetILNS1_3genE8ELNS1_11target_archE1030ELNS1_3gpuE2ELNS1_3repE0EEENS1_30default_config_static_selectorELNS0_4arch9wavefront6targetE0EEEvS13_,"axG",@progbits,_ZN7rocprim17ROCPRIM_400000_NS6detail17trampoline_kernelINS0_13select_configILj256ELj13ELNS0_17block_load_methodE3ELS4_3ELS4_3ELNS0_20block_scan_algorithmE0ELj4294967295EEENS1_25partition_config_selectorILNS1_17partition_subalgoE4EjNS0_10empty_typeEbEEZZNS1_14partition_implILS8_4ELb0ES6_15HIP_vector_typeIjLj2EENS0_17counting_iteratorIjlEEPS9_SG_NS0_5tupleIJPjSI_NS0_16reverse_iteratorISI_EEEEENSH_IJSG_SG_SG_EEES9_SI_JZNS1_25segmented_radix_sort_implINS0_14default_configELb0EPK6__halfPSP_PKlPlN2at6native12_GLOBAL__N_18offset_tEEE10hipError_tPvRmT1_PNSt15iterator_traitsIS13_E10value_typeET2_T3_PNS14_IS19_E10value_typeET4_jRbjT5_S1F_jjP12ihipStream_tbEUljE_ZNSN_ISO_Lb0ESR_SS_SU_SV_SZ_EES10_S11_S12_S13_S17_S18_S19_S1C_S1D_jS1E_jS1F_S1F_jjS1H_bEUljE0_EEES10_S11_S12_S19_S1D_S1F_T6_T7_T9_mT8_S1H_bDpT10_ENKUlT_T0_E_clISt17integral_constantIbLb1EES1U_IbLb0EEEEDaS1Q_S1R_EUlS1Q_E_NS1_11comp_targetILNS1_3genE8ELNS1_11target_archE1030ELNS1_3gpuE2ELNS1_3repE0EEENS1_30default_config_static_selectorELNS0_4arch9wavefront6targetE0EEEvS13_,comdat
.Lfunc_end1801:
	.size	_ZN7rocprim17ROCPRIM_400000_NS6detail17trampoline_kernelINS0_13select_configILj256ELj13ELNS0_17block_load_methodE3ELS4_3ELS4_3ELNS0_20block_scan_algorithmE0ELj4294967295EEENS1_25partition_config_selectorILNS1_17partition_subalgoE4EjNS0_10empty_typeEbEEZZNS1_14partition_implILS8_4ELb0ES6_15HIP_vector_typeIjLj2EENS0_17counting_iteratorIjlEEPS9_SG_NS0_5tupleIJPjSI_NS0_16reverse_iteratorISI_EEEEENSH_IJSG_SG_SG_EEES9_SI_JZNS1_25segmented_radix_sort_implINS0_14default_configELb0EPK6__halfPSP_PKlPlN2at6native12_GLOBAL__N_18offset_tEEE10hipError_tPvRmT1_PNSt15iterator_traitsIS13_E10value_typeET2_T3_PNS14_IS19_E10value_typeET4_jRbjT5_S1F_jjP12ihipStream_tbEUljE_ZNSN_ISO_Lb0ESR_SS_SU_SV_SZ_EES10_S11_S12_S13_S17_S18_S19_S1C_S1D_jS1E_jS1F_S1F_jjS1H_bEUljE0_EEES10_S11_S12_S19_S1D_S1F_T6_T7_T9_mT8_S1H_bDpT10_ENKUlT_T0_E_clISt17integral_constantIbLb1EES1U_IbLb0EEEEDaS1Q_S1R_EUlS1Q_E_NS1_11comp_targetILNS1_3genE8ELNS1_11target_archE1030ELNS1_3gpuE2ELNS1_3repE0EEENS1_30default_config_static_selectorELNS0_4arch9wavefront6targetE0EEEvS13_, .Lfunc_end1801-_ZN7rocprim17ROCPRIM_400000_NS6detail17trampoline_kernelINS0_13select_configILj256ELj13ELNS0_17block_load_methodE3ELS4_3ELS4_3ELNS0_20block_scan_algorithmE0ELj4294967295EEENS1_25partition_config_selectorILNS1_17partition_subalgoE4EjNS0_10empty_typeEbEEZZNS1_14partition_implILS8_4ELb0ES6_15HIP_vector_typeIjLj2EENS0_17counting_iteratorIjlEEPS9_SG_NS0_5tupleIJPjSI_NS0_16reverse_iteratorISI_EEEEENSH_IJSG_SG_SG_EEES9_SI_JZNS1_25segmented_radix_sort_implINS0_14default_configELb0EPK6__halfPSP_PKlPlN2at6native12_GLOBAL__N_18offset_tEEE10hipError_tPvRmT1_PNSt15iterator_traitsIS13_E10value_typeET2_T3_PNS14_IS19_E10value_typeET4_jRbjT5_S1F_jjP12ihipStream_tbEUljE_ZNSN_ISO_Lb0ESR_SS_SU_SV_SZ_EES10_S11_S12_S13_S17_S18_S19_S1C_S1D_jS1E_jS1F_S1F_jjS1H_bEUljE0_EEES10_S11_S12_S19_S1D_S1F_T6_T7_T9_mT8_S1H_bDpT10_ENKUlT_T0_E_clISt17integral_constantIbLb1EES1U_IbLb0EEEEDaS1Q_S1R_EUlS1Q_E_NS1_11comp_targetILNS1_3genE8ELNS1_11target_archE1030ELNS1_3gpuE2ELNS1_3repE0EEENS1_30default_config_static_selectorELNS0_4arch9wavefront6targetE0EEEvS13_
                                        ; -- End function
	.set _ZN7rocprim17ROCPRIM_400000_NS6detail17trampoline_kernelINS0_13select_configILj256ELj13ELNS0_17block_load_methodE3ELS4_3ELS4_3ELNS0_20block_scan_algorithmE0ELj4294967295EEENS1_25partition_config_selectorILNS1_17partition_subalgoE4EjNS0_10empty_typeEbEEZZNS1_14partition_implILS8_4ELb0ES6_15HIP_vector_typeIjLj2EENS0_17counting_iteratorIjlEEPS9_SG_NS0_5tupleIJPjSI_NS0_16reverse_iteratorISI_EEEEENSH_IJSG_SG_SG_EEES9_SI_JZNS1_25segmented_radix_sort_implINS0_14default_configELb0EPK6__halfPSP_PKlPlN2at6native12_GLOBAL__N_18offset_tEEE10hipError_tPvRmT1_PNSt15iterator_traitsIS13_E10value_typeET2_T3_PNS14_IS19_E10value_typeET4_jRbjT5_S1F_jjP12ihipStream_tbEUljE_ZNSN_ISO_Lb0ESR_SS_SU_SV_SZ_EES10_S11_S12_S13_S17_S18_S19_S1C_S1D_jS1E_jS1F_S1F_jjS1H_bEUljE0_EEES10_S11_S12_S19_S1D_S1F_T6_T7_T9_mT8_S1H_bDpT10_ENKUlT_T0_E_clISt17integral_constantIbLb1EES1U_IbLb0EEEEDaS1Q_S1R_EUlS1Q_E_NS1_11comp_targetILNS1_3genE8ELNS1_11target_archE1030ELNS1_3gpuE2ELNS1_3repE0EEENS1_30default_config_static_selectorELNS0_4arch9wavefront6targetE0EEEvS13_.num_vgpr, 0
	.set _ZN7rocprim17ROCPRIM_400000_NS6detail17trampoline_kernelINS0_13select_configILj256ELj13ELNS0_17block_load_methodE3ELS4_3ELS4_3ELNS0_20block_scan_algorithmE0ELj4294967295EEENS1_25partition_config_selectorILNS1_17partition_subalgoE4EjNS0_10empty_typeEbEEZZNS1_14partition_implILS8_4ELb0ES6_15HIP_vector_typeIjLj2EENS0_17counting_iteratorIjlEEPS9_SG_NS0_5tupleIJPjSI_NS0_16reverse_iteratorISI_EEEEENSH_IJSG_SG_SG_EEES9_SI_JZNS1_25segmented_radix_sort_implINS0_14default_configELb0EPK6__halfPSP_PKlPlN2at6native12_GLOBAL__N_18offset_tEEE10hipError_tPvRmT1_PNSt15iterator_traitsIS13_E10value_typeET2_T3_PNS14_IS19_E10value_typeET4_jRbjT5_S1F_jjP12ihipStream_tbEUljE_ZNSN_ISO_Lb0ESR_SS_SU_SV_SZ_EES10_S11_S12_S13_S17_S18_S19_S1C_S1D_jS1E_jS1F_S1F_jjS1H_bEUljE0_EEES10_S11_S12_S19_S1D_S1F_T6_T7_T9_mT8_S1H_bDpT10_ENKUlT_T0_E_clISt17integral_constantIbLb1EES1U_IbLb0EEEEDaS1Q_S1R_EUlS1Q_E_NS1_11comp_targetILNS1_3genE8ELNS1_11target_archE1030ELNS1_3gpuE2ELNS1_3repE0EEENS1_30default_config_static_selectorELNS0_4arch9wavefront6targetE0EEEvS13_.num_agpr, 0
	.set _ZN7rocprim17ROCPRIM_400000_NS6detail17trampoline_kernelINS0_13select_configILj256ELj13ELNS0_17block_load_methodE3ELS4_3ELS4_3ELNS0_20block_scan_algorithmE0ELj4294967295EEENS1_25partition_config_selectorILNS1_17partition_subalgoE4EjNS0_10empty_typeEbEEZZNS1_14partition_implILS8_4ELb0ES6_15HIP_vector_typeIjLj2EENS0_17counting_iteratorIjlEEPS9_SG_NS0_5tupleIJPjSI_NS0_16reverse_iteratorISI_EEEEENSH_IJSG_SG_SG_EEES9_SI_JZNS1_25segmented_radix_sort_implINS0_14default_configELb0EPK6__halfPSP_PKlPlN2at6native12_GLOBAL__N_18offset_tEEE10hipError_tPvRmT1_PNSt15iterator_traitsIS13_E10value_typeET2_T3_PNS14_IS19_E10value_typeET4_jRbjT5_S1F_jjP12ihipStream_tbEUljE_ZNSN_ISO_Lb0ESR_SS_SU_SV_SZ_EES10_S11_S12_S13_S17_S18_S19_S1C_S1D_jS1E_jS1F_S1F_jjS1H_bEUljE0_EEES10_S11_S12_S19_S1D_S1F_T6_T7_T9_mT8_S1H_bDpT10_ENKUlT_T0_E_clISt17integral_constantIbLb1EES1U_IbLb0EEEEDaS1Q_S1R_EUlS1Q_E_NS1_11comp_targetILNS1_3genE8ELNS1_11target_archE1030ELNS1_3gpuE2ELNS1_3repE0EEENS1_30default_config_static_selectorELNS0_4arch9wavefront6targetE0EEEvS13_.numbered_sgpr, 0
	.set _ZN7rocprim17ROCPRIM_400000_NS6detail17trampoline_kernelINS0_13select_configILj256ELj13ELNS0_17block_load_methodE3ELS4_3ELS4_3ELNS0_20block_scan_algorithmE0ELj4294967295EEENS1_25partition_config_selectorILNS1_17partition_subalgoE4EjNS0_10empty_typeEbEEZZNS1_14partition_implILS8_4ELb0ES6_15HIP_vector_typeIjLj2EENS0_17counting_iteratorIjlEEPS9_SG_NS0_5tupleIJPjSI_NS0_16reverse_iteratorISI_EEEEENSH_IJSG_SG_SG_EEES9_SI_JZNS1_25segmented_radix_sort_implINS0_14default_configELb0EPK6__halfPSP_PKlPlN2at6native12_GLOBAL__N_18offset_tEEE10hipError_tPvRmT1_PNSt15iterator_traitsIS13_E10value_typeET2_T3_PNS14_IS19_E10value_typeET4_jRbjT5_S1F_jjP12ihipStream_tbEUljE_ZNSN_ISO_Lb0ESR_SS_SU_SV_SZ_EES10_S11_S12_S13_S17_S18_S19_S1C_S1D_jS1E_jS1F_S1F_jjS1H_bEUljE0_EEES10_S11_S12_S19_S1D_S1F_T6_T7_T9_mT8_S1H_bDpT10_ENKUlT_T0_E_clISt17integral_constantIbLb1EES1U_IbLb0EEEEDaS1Q_S1R_EUlS1Q_E_NS1_11comp_targetILNS1_3genE8ELNS1_11target_archE1030ELNS1_3gpuE2ELNS1_3repE0EEENS1_30default_config_static_selectorELNS0_4arch9wavefront6targetE0EEEvS13_.num_named_barrier, 0
	.set _ZN7rocprim17ROCPRIM_400000_NS6detail17trampoline_kernelINS0_13select_configILj256ELj13ELNS0_17block_load_methodE3ELS4_3ELS4_3ELNS0_20block_scan_algorithmE0ELj4294967295EEENS1_25partition_config_selectorILNS1_17partition_subalgoE4EjNS0_10empty_typeEbEEZZNS1_14partition_implILS8_4ELb0ES6_15HIP_vector_typeIjLj2EENS0_17counting_iteratorIjlEEPS9_SG_NS0_5tupleIJPjSI_NS0_16reverse_iteratorISI_EEEEENSH_IJSG_SG_SG_EEES9_SI_JZNS1_25segmented_radix_sort_implINS0_14default_configELb0EPK6__halfPSP_PKlPlN2at6native12_GLOBAL__N_18offset_tEEE10hipError_tPvRmT1_PNSt15iterator_traitsIS13_E10value_typeET2_T3_PNS14_IS19_E10value_typeET4_jRbjT5_S1F_jjP12ihipStream_tbEUljE_ZNSN_ISO_Lb0ESR_SS_SU_SV_SZ_EES10_S11_S12_S13_S17_S18_S19_S1C_S1D_jS1E_jS1F_S1F_jjS1H_bEUljE0_EEES10_S11_S12_S19_S1D_S1F_T6_T7_T9_mT8_S1H_bDpT10_ENKUlT_T0_E_clISt17integral_constantIbLb1EES1U_IbLb0EEEEDaS1Q_S1R_EUlS1Q_E_NS1_11comp_targetILNS1_3genE8ELNS1_11target_archE1030ELNS1_3gpuE2ELNS1_3repE0EEENS1_30default_config_static_selectorELNS0_4arch9wavefront6targetE0EEEvS13_.private_seg_size, 0
	.set _ZN7rocprim17ROCPRIM_400000_NS6detail17trampoline_kernelINS0_13select_configILj256ELj13ELNS0_17block_load_methodE3ELS4_3ELS4_3ELNS0_20block_scan_algorithmE0ELj4294967295EEENS1_25partition_config_selectorILNS1_17partition_subalgoE4EjNS0_10empty_typeEbEEZZNS1_14partition_implILS8_4ELb0ES6_15HIP_vector_typeIjLj2EENS0_17counting_iteratorIjlEEPS9_SG_NS0_5tupleIJPjSI_NS0_16reverse_iteratorISI_EEEEENSH_IJSG_SG_SG_EEES9_SI_JZNS1_25segmented_radix_sort_implINS0_14default_configELb0EPK6__halfPSP_PKlPlN2at6native12_GLOBAL__N_18offset_tEEE10hipError_tPvRmT1_PNSt15iterator_traitsIS13_E10value_typeET2_T3_PNS14_IS19_E10value_typeET4_jRbjT5_S1F_jjP12ihipStream_tbEUljE_ZNSN_ISO_Lb0ESR_SS_SU_SV_SZ_EES10_S11_S12_S13_S17_S18_S19_S1C_S1D_jS1E_jS1F_S1F_jjS1H_bEUljE0_EEES10_S11_S12_S19_S1D_S1F_T6_T7_T9_mT8_S1H_bDpT10_ENKUlT_T0_E_clISt17integral_constantIbLb1EES1U_IbLb0EEEEDaS1Q_S1R_EUlS1Q_E_NS1_11comp_targetILNS1_3genE8ELNS1_11target_archE1030ELNS1_3gpuE2ELNS1_3repE0EEENS1_30default_config_static_selectorELNS0_4arch9wavefront6targetE0EEEvS13_.uses_vcc, 0
	.set _ZN7rocprim17ROCPRIM_400000_NS6detail17trampoline_kernelINS0_13select_configILj256ELj13ELNS0_17block_load_methodE3ELS4_3ELS4_3ELNS0_20block_scan_algorithmE0ELj4294967295EEENS1_25partition_config_selectorILNS1_17partition_subalgoE4EjNS0_10empty_typeEbEEZZNS1_14partition_implILS8_4ELb0ES6_15HIP_vector_typeIjLj2EENS0_17counting_iteratorIjlEEPS9_SG_NS0_5tupleIJPjSI_NS0_16reverse_iteratorISI_EEEEENSH_IJSG_SG_SG_EEES9_SI_JZNS1_25segmented_radix_sort_implINS0_14default_configELb0EPK6__halfPSP_PKlPlN2at6native12_GLOBAL__N_18offset_tEEE10hipError_tPvRmT1_PNSt15iterator_traitsIS13_E10value_typeET2_T3_PNS14_IS19_E10value_typeET4_jRbjT5_S1F_jjP12ihipStream_tbEUljE_ZNSN_ISO_Lb0ESR_SS_SU_SV_SZ_EES10_S11_S12_S13_S17_S18_S19_S1C_S1D_jS1E_jS1F_S1F_jjS1H_bEUljE0_EEES10_S11_S12_S19_S1D_S1F_T6_T7_T9_mT8_S1H_bDpT10_ENKUlT_T0_E_clISt17integral_constantIbLb1EES1U_IbLb0EEEEDaS1Q_S1R_EUlS1Q_E_NS1_11comp_targetILNS1_3genE8ELNS1_11target_archE1030ELNS1_3gpuE2ELNS1_3repE0EEENS1_30default_config_static_selectorELNS0_4arch9wavefront6targetE0EEEvS13_.uses_flat_scratch, 0
	.set _ZN7rocprim17ROCPRIM_400000_NS6detail17trampoline_kernelINS0_13select_configILj256ELj13ELNS0_17block_load_methodE3ELS4_3ELS4_3ELNS0_20block_scan_algorithmE0ELj4294967295EEENS1_25partition_config_selectorILNS1_17partition_subalgoE4EjNS0_10empty_typeEbEEZZNS1_14partition_implILS8_4ELb0ES6_15HIP_vector_typeIjLj2EENS0_17counting_iteratorIjlEEPS9_SG_NS0_5tupleIJPjSI_NS0_16reverse_iteratorISI_EEEEENSH_IJSG_SG_SG_EEES9_SI_JZNS1_25segmented_radix_sort_implINS0_14default_configELb0EPK6__halfPSP_PKlPlN2at6native12_GLOBAL__N_18offset_tEEE10hipError_tPvRmT1_PNSt15iterator_traitsIS13_E10value_typeET2_T3_PNS14_IS19_E10value_typeET4_jRbjT5_S1F_jjP12ihipStream_tbEUljE_ZNSN_ISO_Lb0ESR_SS_SU_SV_SZ_EES10_S11_S12_S13_S17_S18_S19_S1C_S1D_jS1E_jS1F_S1F_jjS1H_bEUljE0_EEES10_S11_S12_S19_S1D_S1F_T6_T7_T9_mT8_S1H_bDpT10_ENKUlT_T0_E_clISt17integral_constantIbLb1EES1U_IbLb0EEEEDaS1Q_S1R_EUlS1Q_E_NS1_11comp_targetILNS1_3genE8ELNS1_11target_archE1030ELNS1_3gpuE2ELNS1_3repE0EEENS1_30default_config_static_selectorELNS0_4arch9wavefront6targetE0EEEvS13_.has_dyn_sized_stack, 0
	.set _ZN7rocprim17ROCPRIM_400000_NS6detail17trampoline_kernelINS0_13select_configILj256ELj13ELNS0_17block_load_methodE3ELS4_3ELS4_3ELNS0_20block_scan_algorithmE0ELj4294967295EEENS1_25partition_config_selectorILNS1_17partition_subalgoE4EjNS0_10empty_typeEbEEZZNS1_14partition_implILS8_4ELb0ES6_15HIP_vector_typeIjLj2EENS0_17counting_iteratorIjlEEPS9_SG_NS0_5tupleIJPjSI_NS0_16reverse_iteratorISI_EEEEENSH_IJSG_SG_SG_EEES9_SI_JZNS1_25segmented_radix_sort_implINS0_14default_configELb0EPK6__halfPSP_PKlPlN2at6native12_GLOBAL__N_18offset_tEEE10hipError_tPvRmT1_PNSt15iterator_traitsIS13_E10value_typeET2_T3_PNS14_IS19_E10value_typeET4_jRbjT5_S1F_jjP12ihipStream_tbEUljE_ZNSN_ISO_Lb0ESR_SS_SU_SV_SZ_EES10_S11_S12_S13_S17_S18_S19_S1C_S1D_jS1E_jS1F_S1F_jjS1H_bEUljE0_EEES10_S11_S12_S19_S1D_S1F_T6_T7_T9_mT8_S1H_bDpT10_ENKUlT_T0_E_clISt17integral_constantIbLb1EES1U_IbLb0EEEEDaS1Q_S1R_EUlS1Q_E_NS1_11comp_targetILNS1_3genE8ELNS1_11target_archE1030ELNS1_3gpuE2ELNS1_3repE0EEENS1_30default_config_static_selectorELNS0_4arch9wavefront6targetE0EEEvS13_.has_recursion, 0
	.set _ZN7rocprim17ROCPRIM_400000_NS6detail17trampoline_kernelINS0_13select_configILj256ELj13ELNS0_17block_load_methodE3ELS4_3ELS4_3ELNS0_20block_scan_algorithmE0ELj4294967295EEENS1_25partition_config_selectorILNS1_17partition_subalgoE4EjNS0_10empty_typeEbEEZZNS1_14partition_implILS8_4ELb0ES6_15HIP_vector_typeIjLj2EENS0_17counting_iteratorIjlEEPS9_SG_NS0_5tupleIJPjSI_NS0_16reverse_iteratorISI_EEEEENSH_IJSG_SG_SG_EEES9_SI_JZNS1_25segmented_radix_sort_implINS0_14default_configELb0EPK6__halfPSP_PKlPlN2at6native12_GLOBAL__N_18offset_tEEE10hipError_tPvRmT1_PNSt15iterator_traitsIS13_E10value_typeET2_T3_PNS14_IS19_E10value_typeET4_jRbjT5_S1F_jjP12ihipStream_tbEUljE_ZNSN_ISO_Lb0ESR_SS_SU_SV_SZ_EES10_S11_S12_S13_S17_S18_S19_S1C_S1D_jS1E_jS1F_S1F_jjS1H_bEUljE0_EEES10_S11_S12_S19_S1D_S1F_T6_T7_T9_mT8_S1H_bDpT10_ENKUlT_T0_E_clISt17integral_constantIbLb1EES1U_IbLb0EEEEDaS1Q_S1R_EUlS1Q_E_NS1_11comp_targetILNS1_3genE8ELNS1_11target_archE1030ELNS1_3gpuE2ELNS1_3repE0EEENS1_30default_config_static_selectorELNS0_4arch9wavefront6targetE0EEEvS13_.has_indirect_call, 0
	.section	.AMDGPU.csdata,"",@progbits
; Kernel info:
; codeLenInByte = 0
; TotalNumSgprs: 0
; NumVgprs: 0
; ScratchSize: 0
; MemoryBound: 0
; FloatMode: 240
; IeeeMode: 1
; LDSByteSize: 0 bytes/workgroup (compile time only)
; SGPRBlocks: 0
; VGPRBlocks: 0
; NumSGPRsForWavesPerEU: 1
; NumVGPRsForWavesPerEU: 1
; Occupancy: 16
; WaveLimiterHint : 0
; COMPUTE_PGM_RSRC2:SCRATCH_EN: 0
; COMPUTE_PGM_RSRC2:USER_SGPR: 2
; COMPUTE_PGM_RSRC2:TRAP_HANDLER: 0
; COMPUTE_PGM_RSRC2:TGID_X_EN: 1
; COMPUTE_PGM_RSRC2:TGID_Y_EN: 0
; COMPUTE_PGM_RSRC2:TGID_Z_EN: 0
; COMPUTE_PGM_RSRC2:TIDIG_COMP_CNT: 0
	.section	.text._ZN7rocprim17ROCPRIM_400000_NS6detail17trampoline_kernelINS0_13select_configILj256ELj13ELNS0_17block_load_methodE3ELS4_3ELS4_3ELNS0_20block_scan_algorithmE0ELj4294967295EEENS1_25partition_config_selectorILNS1_17partition_subalgoE4EjNS0_10empty_typeEbEEZZNS1_14partition_implILS8_4ELb0ES6_15HIP_vector_typeIjLj2EENS0_17counting_iteratorIjlEEPS9_SG_NS0_5tupleIJPjSI_NS0_16reverse_iteratorISI_EEEEENSH_IJSG_SG_SG_EEES9_SI_JZNS1_25segmented_radix_sort_implINS0_14default_configELb0EPK6__halfPSP_PKlPlN2at6native12_GLOBAL__N_18offset_tEEE10hipError_tPvRmT1_PNSt15iterator_traitsIS13_E10value_typeET2_T3_PNS14_IS19_E10value_typeET4_jRbjT5_S1F_jjP12ihipStream_tbEUljE_ZNSN_ISO_Lb0ESR_SS_SU_SV_SZ_EES10_S11_S12_S13_S17_S18_S19_S1C_S1D_jS1E_jS1F_S1F_jjS1H_bEUljE0_EEES10_S11_S12_S19_S1D_S1F_T6_T7_T9_mT8_S1H_bDpT10_ENKUlT_T0_E_clISt17integral_constantIbLb0EES1U_IbLb1EEEEDaS1Q_S1R_EUlS1Q_E_NS1_11comp_targetILNS1_3genE0ELNS1_11target_archE4294967295ELNS1_3gpuE0ELNS1_3repE0EEENS1_30default_config_static_selectorELNS0_4arch9wavefront6targetE0EEEvS13_,"axG",@progbits,_ZN7rocprim17ROCPRIM_400000_NS6detail17trampoline_kernelINS0_13select_configILj256ELj13ELNS0_17block_load_methodE3ELS4_3ELS4_3ELNS0_20block_scan_algorithmE0ELj4294967295EEENS1_25partition_config_selectorILNS1_17partition_subalgoE4EjNS0_10empty_typeEbEEZZNS1_14partition_implILS8_4ELb0ES6_15HIP_vector_typeIjLj2EENS0_17counting_iteratorIjlEEPS9_SG_NS0_5tupleIJPjSI_NS0_16reverse_iteratorISI_EEEEENSH_IJSG_SG_SG_EEES9_SI_JZNS1_25segmented_radix_sort_implINS0_14default_configELb0EPK6__halfPSP_PKlPlN2at6native12_GLOBAL__N_18offset_tEEE10hipError_tPvRmT1_PNSt15iterator_traitsIS13_E10value_typeET2_T3_PNS14_IS19_E10value_typeET4_jRbjT5_S1F_jjP12ihipStream_tbEUljE_ZNSN_ISO_Lb0ESR_SS_SU_SV_SZ_EES10_S11_S12_S13_S17_S18_S19_S1C_S1D_jS1E_jS1F_S1F_jjS1H_bEUljE0_EEES10_S11_S12_S19_S1D_S1F_T6_T7_T9_mT8_S1H_bDpT10_ENKUlT_T0_E_clISt17integral_constantIbLb0EES1U_IbLb1EEEEDaS1Q_S1R_EUlS1Q_E_NS1_11comp_targetILNS1_3genE0ELNS1_11target_archE4294967295ELNS1_3gpuE0ELNS1_3repE0EEENS1_30default_config_static_selectorELNS0_4arch9wavefront6targetE0EEEvS13_,comdat
	.globl	_ZN7rocprim17ROCPRIM_400000_NS6detail17trampoline_kernelINS0_13select_configILj256ELj13ELNS0_17block_load_methodE3ELS4_3ELS4_3ELNS0_20block_scan_algorithmE0ELj4294967295EEENS1_25partition_config_selectorILNS1_17partition_subalgoE4EjNS0_10empty_typeEbEEZZNS1_14partition_implILS8_4ELb0ES6_15HIP_vector_typeIjLj2EENS0_17counting_iteratorIjlEEPS9_SG_NS0_5tupleIJPjSI_NS0_16reverse_iteratorISI_EEEEENSH_IJSG_SG_SG_EEES9_SI_JZNS1_25segmented_radix_sort_implINS0_14default_configELb0EPK6__halfPSP_PKlPlN2at6native12_GLOBAL__N_18offset_tEEE10hipError_tPvRmT1_PNSt15iterator_traitsIS13_E10value_typeET2_T3_PNS14_IS19_E10value_typeET4_jRbjT5_S1F_jjP12ihipStream_tbEUljE_ZNSN_ISO_Lb0ESR_SS_SU_SV_SZ_EES10_S11_S12_S13_S17_S18_S19_S1C_S1D_jS1E_jS1F_S1F_jjS1H_bEUljE0_EEES10_S11_S12_S19_S1D_S1F_T6_T7_T9_mT8_S1H_bDpT10_ENKUlT_T0_E_clISt17integral_constantIbLb0EES1U_IbLb1EEEEDaS1Q_S1R_EUlS1Q_E_NS1_11comp_targetILNS1_3genE0ELNS1_11target_archE4294967295ELNS1_3gpuE0ELNS1_3repE0EEENS1_30default_config_static_selectorELNS0_4arch9wavefront6targetE0EEEvS13_ ; -- Begin function _ZN7rocprim17ROCPRIM_400000_NS6detail17trampoline_kernelINS0_13select_configILj256ELj13ELNS0_17block_load_methodE3ELS4_3ELS4_3ELNS0_20block_scan_algorithmE0ELj4294967295EEENS1_25partition_config_selectorILNS1_17partition_subalgoE4EjNS0_10empty_typeEbEEZZNS1_14partition_implILS8_4ELb0ES6_15HIP_vector_typeIjLj2EENS0_17counting_iteratorIjlEEPS9_SG_NS0_5tupleIJPjSI_NS0_16reverse_iteratorISI_EEEEENSH_IJSG_SG_SG_EEES9_SI_JZNS1_25segmented_radix_sort_implINS0_14default_configELb0EPK6__halfPSP_PKlPlN2at6native12_GLOBAL__N_18offset_tEEE10hipError_tPvRmT1_PNSt15iterator_traitsIS13_E10value_typeET2_T3_PNS14_IS19_E10value_typeET4_jRbjT5_S1F_jjP12ihipStream_tbEUljE_ZNSN_ISO_Lb0ESR_SS_SU_SV_SZ_EES10_S11_S12_S13_S17_S18_S19_S1C_S1D_jS1E_jS1F_S1F_jjS1H_bEUljE0_EEES10_S11_S12_S19_S1D_S1F_T6_T7_T9_mT8_S1H_bDpT10_ENKUlT_T0_E_clISt17integral_constantIbLb0EES1U_IbLb1EEEEDaS1Q_S1R_EUlS1Q_E_NS1_11comp_targetILNS1_3genE0ELNS1_11target_archE4294967295ELNS1_3gpuE0ELNS1_3repE0EEENS1_30default_config_static_selectorELNS0_4arch9wavefront6targetE0EEEvS13_
	.p2align	8
	.type	_ZN7rocprim17ROCPRIM_400000_NS6detail17trampoline_kernelINS0_13select_configILj256ELj13ELNS0_17block_load_methodE3ELS4_3ELS4_3ELNS0_20block_scan_algorithmE0ELj4294967295EEENS1_25partition_config_selectorILNS1_17partition_subalgoE4EjNS0_10empty_typeEbEEZZNS1_14partition_implILS8_4ELb0ES6_15HIP_vector_typeIjLj2EENS0_17counting_iteratorIjlEEPS9_SG_NS0_5tupleIJPjSI_NS0_16reverse_iteratorISI_EEEEENSH_IJSG_SG_SG_EEES9_SI_JZNS1_25segmented_radix_sort_implINS0_14default_configELb0EPK6__halfPSP_PKlPlN2at6native12_GLOBAL__N_18offset_tEEE10hipError_tPvRmT1_PNSt15iterator_traitsIS13_E10value_typeET2_T3_PNS14_IS19_E10value_typeET4_jRbjT5_S1F_jjP12ihipStream_tbEUljE_ZNSN_ISO_Lb0ESR_SS_SU_SV_SZ_EES10_S11_S12_S13_S17_S18_S19_S1C_S1D_jS1E_jS1F_S1F_jjS1H_bEUljE0_EEES10_S11_S12_S19_S1D_S1F_T6_T7_T9_mT8_S1H_bDpT10_ENKUlT_T0_E_clISt17integral_constantIbLb0EES1U_IbLb1EEEEDaS1Q_S1R_EUlS1Q_E_NS1_11comp_targetILNS1_3genE0ELNS1_11target_archE4294967295ELNS1_3gpuE0ELNS1_3repE0EEENS1_30default_config_static_selectorELNS0_4arch9wavefront6targetE0EEEvS13_,@function
_ZN7rocprim17ROCPRIM_400000_NS6detail17trampoline_kernelINS0_13select_configILj256ELj13ELNS0_17block_load_methodE3ELS4_3ELS4_3ELNS0_20block_scan_algorithmE0ELj4294967295EEENS1_25partition_config_selectorILNS1_17partition_subalgoE4EjNS0_10empty_typeEbEEZZNS1_14partition_implILS8_4ELb0ES6_15HIP_vector_typeIjLj2EENS0_17counting_iteratorIjlEEPS9_SG_NS0_5tupleIJPjSI_NS0_16reverse_iteratorISI_EEEEENSH_IJSG_SG_SG_EEES9_SI_JZNS1_25segmented_radix_sort_implINS0_14default_configELb0EPK6__halfPSP_PKlPlN2at6native12_GLOBAL__N_18offset_tEEE10hipError_tPvRmT1_PNSt15iterator_traitsIS13_E10value_typeET2_T3_PNS14_IS19_E10value_typeET4_jRbjT5_S1F_jjP12ihipStream_tbEUljE_ZNSN_ISO_Lb0ESR_SS_SU_SV_SZ_EES10_S11_S12_S13_S17_S18_S19_S1C_S1D_jS1E_jS1F_S1F_jjS1H_bEUljE0_EEES10_S11_S12_S19_S1D_S1F_T6_T7_T9_mT8_S1H_bDpT10_ENKUlT_T0_E_clISt17integral_constantIbLb0EES1U_IbLb1EEEEDaS1Q_S1R_EUlS1Q_E_NS1_11comp_targetILNS1_3genE0ELNS1_11target_archE4294967295ELNS1_3gpuE0ELNS1_3repE0EEENS1_30default_config_static_selectorELNS0_4arch9wavefront6targetE0EEEvS13_: ; @_ZN7rocprim17ROCPRIM_400000_NS6detail17trampoline_kernelINS0_13select_configILj256ELj13ELNS0_17block_load_methodE3ELS4_3ELS4_3ELNS0_20block_scan_algorithmE0ELj4294967295EEENS1_25partition_config_selectorILNS1_17partition_subalgoE4EjNS0_10empty_typeEbEEZZNS1_14partition_implILS8_4ELb0ES6_15HIP_vector_typeIjLj2EENS0_17counting_iteratorIjlEEPS9_SG_NS0_5tupleIJPjSI_NS0_16reverse_iteratorISI_EEEEENSH_IJSG_SG_SG_EEES9_SI_JZNS1_25segmented_radix_sort_implINS0_14default_configELb0EPK6__halfPSP_PKlPlN2at6native12_GLOBAL__N_18offset_tEEE10hipError_tPvRmT1_PNSt15iterator_traitsIS13_E10value_typeET2_T3_PNS14_IS19_E10value_typeET4_jRbjT5_S1F_jjP12ihipStream_tbEUljE_ZNSN_ISO_Lb0ESR_SS_SU_SV_SZ_EES10_S11_S12_S13_S17_S18_S19_S1C_S1D_jS1E_jS1F_S1F_jjS1H_bEUljE0_EEES10_S11_S12_S19_S1D_S1F_T6_T7_T9_mT8_S1H_bDpT10_ENKUlT_T0_E_clISt17integral_constantIbLb0EES1U_IbLb1EEEEDaS1Q_S1R_EUlS1Q_E_NS1_11comp_targetILNS1_3genE0ELNS1_11target_archE4294967295ELNS1_3gpuE0ELNS1_3repE0EEENS1_30default_config_static_selectorELNS0_4arch9wavefront6targetE0EEEvS13_
; %bb.0:
	.section	.rodata,"a",@progbits
	.p2align	6, 0x0
	.amdhsa_kernel _ZN7rocprim17ROCPRIM_400000_NS6detail17trampoline_kernelINS0_13select_configILj256ELj13ELNS0_17block_load_methodE3ELS4_3ELS4_3ELNS0_20block_scan_algorithmE0ELj4294967295EEENS1_25partition_config_selectorILNS1_17partition_subalgoE4EjNS0_10empty_typeEbEEZZNS1_14partition_implILS8_4ELb0ES6_15HIP_vector_typeIjLj2EENS0_17counting_iteratorIjlEEPS9_SG_NS0_5tupleIJPjSI_NS0_16reverse_iteratorISI_EEEEENSH_IJSG_SG_SG_EEES9_SI_JZNS1_25segmented_radix_sort_implINS0_14default_configELb0EPK6__halfPSP_PKlPlN2at6native12_GLOBAL__N_18offset_tEEE10hipError_tPvRmT1_PNSt15iterator_traitsIS13_E10value_typeET2_T3_PNS14_IS19_E10value_typeET4_jRbjT5_S1F_jjP12ihipStream_tbEUljE_ZNSN_ISO_Lb0ESR_SS_SU_SV_SZ_EES10_S11_S12_S13_S17_S18_S19_S1C_S1D_jS1E_jS1F_S1F_jjS1H_bEUljE0_EEES10_S11_S12_S19_S1D_S1F_T6_T7_T9_mT8_S1H_bDpT10_ENKUlT_T0_E_clISt17integral_constantIbLb0EES1U_IbLb1EEEEDaS1Q_S1R_EUlS1Q_E_NS1_11comp_targetILNS1_3genE0ELNS1_11target_archE4294967295ELNS1_3gpuE0ELNS1_3repE0EEENS1_30default_config_static_selectorELNS0_4arch9wavefront6targetE0EEEvS13_
		.amdhsa_group_segment_fixed_size 0
		.amdhsa_private_segment_fixed_size 0
		.amdhsa_kernarg_size 184
		.amdhsa_user_sgpr_count 2
		.amdhsa_user_sgpr_dispatch_ptr 0
		.amdhsa_user_sgpr_queue_ptr 0
		.amdhsa_user_sgpr_kernarg_segment_ptr 1
		.amdhsa_user_sgpr_dispatch_id 0
		.amdhsa_user_sgpr_private_segment_size 0
		.amdhsa_wavefront_size32 1
		.amdhsa_uses_dynamic_stack 0
		.amdhsa_enable_private_segment 0
		.amdhsa_system_sgpr_workgroup_id_x 1
		.amdhsa_system_sgpr_workgroup_id_y 0
		.amdhsa_system_sgpr_workgroup_id_z 0
		.amdhsa_system_sgpr_workgroup_info 0
		.amdhsa_system_vgpr_workitem_id 0
		.amdhsa_next_free_vgpr 1
		.amdhsa_next_free_sgpr 1
		.amdhsa_reserve_vcc 0
		.amdhsa_float_round_mode_32 0
		.amdhsa_float_round_mode_16_64 0
		.amdhsa_float_denorm_mode_32 3
		.amdhsa_float_denorm_mode_16_64 3
		.amdhsa_fp16_overflow 0
		.amdhsa_workgroup_processor_mode 1
		.amdhsa_memory_ordered 1
		.amdhsa_forward_progress 1
		.amdhsa_inst_pref_size 0
		.amdhsa_round_robin_scheduling 0
		.amdhsa_exception_fp_ieee_invalid_op 0
		.amdhsa_exception_fp_denorm_src 0
		.amdhsa_exception_fp_ieee_div_zero 0
		.amdhsa_exception_fp_ieee_overflow 0
		.amdhsa_exception_fp_ieee_underflow 0
		.amdhsa_exception_fp_ieee_inexact 0
		.amdhsa_exception_int_div_zero 0
	.end_amdhsa_kernel
	.section	.text._ZN7rocprim17ROCPRIM_400000_NS6detail17trampoline_kernelINS0_13select_configILj256ELj13ELNS0_17block_load_methodE3ELS4_3ELS4_3ELNS0_20block_scan_algorithmE0ELj4294967295EEENS1_25partition_config_selectorILNS1_17partition_subalgoE4EjNS0_10empty_typeEbEEZZNS1_14partition_implILS8_4ELb0ES6_15HIP_vector_typeIjLj2EENS0_17counting_iteratorIjlEEPS9_SG_NS0_5tupleIJPjSI_NS0_16reverse_iteratorISI_EEEEENSH_IJSG_SG_SG_EEES9_SI_JZNS1_25segmented_radix_sort_implINS0_14default_configELb0EPK6__halfPSP_PKlPlN2at6native12_GLOBAL__N_18offset_tEEE10hipError_tPvRmT1_PNSt15iterator_traitsIS13_E10value_typeET2_T3_PNS14_IS19_E10value_typeET4_jRbjT5_S1F_jjP12ihipStream_tbEUljE_ZNSN_ISO_Lb0ESR_SS_SU_SV_SZ_EES10_S11_S12_S13_S17_S18_S19_S1C_S1D_jS1E_jS1F_S1F_jjS1H_bEUljE0_EEES10_S11_S12_S19_S1D_S1F_T6_T7_T9_mT8_S1H_bDpT10_ENKUlT_T0_E_clISt17integral_constantIbLb0EES1U_IbLb1EEEEDaS1Q_S1R_EUlS1Q_E_NS1_11comp_targetILNS1_3genE0ELNS1_11target_archE4294967295ELNS1_3gpuE0ELNS1_3repE0EEENS1_30default_config_static_selectorELNS0_4arch9wavefront6targetE0EEEvS13_,"axG",@progbits,_ZN7rocprim17ROCPRIM_400000_NS6detail17trampoline_kernelINS0_13select_configILj256ELj13ELNS0_17block_load_methodE3ELS4_3ELS4_3ELNS0_20block_scan_algorithmE0ELj4294967295EEENS1_25partition_config_selectorILNS1_17partition_subalgoE4EjNS0_10empty_typeEbEEZZNS1_14partition_implILS8_4ELb0ES6_15HIP_vector_typeIjLj2EENS0_17counting_iteratorIjlEEPS9_SG_NS0_5tupleIJPjSI_NS0_16reverse_iteratorISI_EEEEENSH_IJSG_SG_SG_EEES9_SI_JZNS1_25segmented_radix_sort_implINS0_14default_configELb0EPK6__halfPSP_PKlPlN2at6native12_GLOBAL__N_18offset_tEEE10hipError_tPvRmT1_PNSt15iterator_traitsIS13_E10value_typeET2_T3_PNS14_IS19_E10value_typeET4_jRbjT5_S1F_jjP12ihipStream_tbEUljE_ZNSN_ISO_Lb0ESR_SS_SU_SV_SZ_EES10_S11_S12_S13_S17_S18_S19_S1C_S1D_jS1E_jS1F_S1F_jjS1H_bEUljE0_EEES10_S11_S12_S19_S1D_S1F_T6_T7_T9_mT8_S1H_bDpT10_ENKUlT_T0_E_clISt17integral_constantIbLb0EES1U_IbLb1EEEEDaS1Q_S1R_EUlS1Q_E_NS1_11comp_targetILNS1_3genE0ELNS1_11target_archE4294967295ELNS1_3gpuE0ELNS1_3repE0EEENS1_30default_config_static_selectorELNS0_4arch9wavefront6targetE0EEEvS13_,comdat
.Lfunc_end1802:
	.size	_ZN7rocprim17ROCPRIM_400000_NS6detail17trampoline_kernelINS0_13select_configILj256ELj13ELNS0_17block_load_methodE3ELS4_3ELS4_3ELNS0_20block_scan_algorithmE0ELj4294967295EEENS1_25partition_config_selectorILNS1_17partition_subalgoE4EjNS0_10empty_typeEbEEZZNS1_14partition_implILS8_4ELb0ES6_15HIP_vector_typeIjLj2EENS0_17counting_iteratorIjlEEPS9_SG_NS0_5tupleIJPjSI_NS0_16reverse_iteratorISI_EEEEENSH_IJSG_SG_SG_EEES9_SI_JZNS1_25segmented_radix_sort_implINS0_14default_configELb0EPK6__halfPSP_PKlPlN2at6native12_GLOBAL__N_18offset_tEEE10hipError_tPvRmT1_PNSt15iterator_traitsIS13_E10value_typeET2_T3_PNS14_IS19_E10value_typeET4_jRbjT5_S1F_jjP12ihipStream_tbEUljE_ZNSN_ISO_Lb0ESR_SS_SU_SV_SZ_EES10_S11_S12_S13_S17_S18_S19_S1C_S1D_jS1E_jS1F_S1F_jjS1H_bEUljE0_EEES10_S11_S12_S19_S1D_S1F_T6_T7_T9_mT8_S1H_bDpT10_ENKUlT_T0_E_clISt17integral_constantIbLb0EES1U_IbLb1EEEEDaS1Q_S1R_EUlS1Q_E_NS1_11comp_targetILNS1_3genE0ELNS1_11target_archE4294967295ELNS1_3gpuE0ELNS1_3repE0EEENS1_30default_config_static_selectorELNS0_4arch9wavefront6targetE0EEEvS13_, .Lfunc_end1802-_ZN7rocprim17ROCPRIM_400000_NS6detail17trampoline_kernelINS0_13select_configILj256ELj13ELNS0_17block_load_methodE3ELS4_3ELS4_3ELNS0_20block_scan_algorithmE0ELj4294967295EEENS1_25partition_config_selectorILNS1_17partition_subalgoE4EjNS0_10empty_typeEbEEZZNS1_14partition_implILS8_4ELb0ES6_15HIP_vector_typeIjLj2EENS0_17counting_iteratorIjlEEPS9_SG_NS0_5tupleIJPjSI_NS0_16reverse_iteratorISI_EEEEENSH_IJSG_SG_SG_EEES9_SI_JZNS1_25segmented_radix_sort_implINS0_14default_configELb0EPK6__halfPSP_PKlPlN2at6native12_GLOBAL__N_18offset_tEEE10hipError_tPvRmT1_PNSt15iterator_traitsIS13_E10value_typeET2_T3_PNS14_IS19_E10value_typeET4_jRbjT5_S1F_jjP12ihipStream_tbEUljE_ZNSN_ISO_Lb0ESR_SS_SU_SV_SZ_EES10_S11_S12_S13_S17_S18_S19_S1C_S1D_jS1E_jS1F_S1F_jjS1H_bEUljE0_EEES10_S11_S12_S19_S1D_S1F_T6_T7_T9_mT8_S1H_bDpT10_ENKUlT_T0_E_clISt17integral_constantIbLb0EES1U_IbLb1EEEEDaS1Q_S1R_EUlS1Q_E_NS1_11comp_targetILNS1_3genE0ELNS1_11target_archE4294967295ELNS1_3gpuE0ELNS1_3repE0EEENS1_30default_config_static_selectorELNS0_4arch9wavefront6targetE0EEEvS13_
                                        ; -- End function
	.set _ZN7rocprim17ROCPRIM_400000_NS6detail17trampoline_kernelINS0_13select_configILj256ELj13ELNS0_17block_load_methodE3ELS4_3ELS4_3ELNS0_20block_scan_algorithmE0ELj4294967295EEENS1_25partition_config_selectorILNS1_17partition_subalgoE4EjNS0_10empty_typeEbEEZZNS1_14partition_implILS8_4ELb0ES6_15HIP_vector_typeIjLj2EENS0_17counting_iteratorIjlEEPS9_SG_NS0_5tupleIJPjSI_NS0_16reverse_iteratorISI_EEEEENSH_IJSG_SG_SG_EEES9_SI_JZNS1_25segmented_radix_sort_implINS0_14default_configELb0EPK6__halfPSP_PKlPlN2at6native12_GLOBAL__N_18offset_tEEE10hipError_tPvRmT1_PNSt15iterator_traitsIS13_E10value_typeET2_T3_PNS14_IS19_E10value_typeET4_jRbjT5_S1F_jjP12ihipStream_tbEUljE_ZNSN_ISO_Lb0ESR_SS_SU_SV_SZ_EES10_S11_S12_S13_S17_S18_S19_S1C_S1D_jS1E_jS1F_S1F_jjS1H_bEUljE0_EEES10_S11_S12_S19_S1D_S1F_T6_T7_T9_mT8_S1H_bDpT10_ENKUlT_T0_E_clISt17integral_constantIbLb0EES1U_IbLb1EEEEDaS1Q_S1R_EUlS1Q_E_NS1_11comp_targetILNS1_3genE0ELNS1_11target_archE4294967295ELNS1_3gpuE0ELNS1_3repE0EEENS1_30default_config_static_selectorELNS0_4arch9wavefront6targetE0EEEvS13_.num_vgpr, 0
	.set _ZN7rocprim17ROCPRIM_400000_NS6detail17trampoline_kernelINS0_13select_configILj256ELj13ELNS0_17block_load_methodE3ELS4_3ELS4_3ELNS0_20block_scan_algorithmE0ELj4294967295EEENS1_25partition_config_selectorILNS1_17partition_subalgoE4EjNS0_10empty_typeEbEEZZNS1_14partition_implILS8_4ELb0ES6_15HIP_vector_typeIjLj2EENS0_17counting_iteratorIjlEEPS9_SG_NS0_5tupleIJPjSI_NS0_16reverse_iteratorISI_EEEEENSH_IJSG_SG_SG_EEES9_SI_JZNS1_25segmented_radix_sort_implINS0_14default_configELb0EPK6__halfPSP_PKlPlN2at6native12_GLOBAL__N_18offset_tEEE10hipError_tPvRmT1_PNSt15iterator_traitsIS13_E10value_typeET2_T3_PNS14_IS19_E10value_typeET4_jRbjT5_S1F_jjP12ihipStream_tbEUljE_ZNSN_ISO_Lb0ESR_SS_SU_SV_SZ_EES10_S11_S12_S13_S17_S18_S19_S1C_S1D_jS1E_jS1F_S1F_jjS1H_bEUljE0_EEES10_S11_S12_S19_S1D_S1F_T6_T7_T9_mT8_S1H_bDpT10_ENKUlT_T0_E_clISt17integral_constantIbLb0EES1U_IbLb1EEEEDaS1Q_S1R_EUlS1Q_E_NS1_11comp_targetILNS1_3genE0ELNS1_11target_archE4294967295ELNS1_3gpuE0ELNS1_3repE0EEENS1_30default_config_static_selectorELNS0_4arch9wavefront6targetE0EEEvS13_.num_agpr, 0
	.set _ZN7rocprim17ROCPRIM_400000_NS6detail17trampoline_kernelINS0_13select_configILj256ELj13ELNS0_17block_load_methodE3ELS4_3ELS4_3ELNS0_20block_scan_algorithmE0ELj4294967295EEENS1_25partition_config_selectorILNS1_17partition_subalgoE4EjNS0_10empty_typeEbEEZZNS1_14partition_implILS8_4ELb0ES6_15HIP_vector_typeIjLj2EENS0_17counting_iteratorIjlEEPS9_SG_NS0_5tupleIJPjSI_NS0_16reverse_iteratorISI_EEEEENSH_IJSG_SG_SG_EEES9_SI_JZNS1_25segmented_radix_sort_implINS0_14default_configELb0EPK6__halfPSP_PKlPlN2at6native12_GLOBAL__N_18offset_tEEE10hipError_tPvRmT1_PNSt15iterator_traitsIS13_E10value_typeET2_T3_PNS14_IS19_E10value_typeET4_jRbjT5_S1F_jjP12ihipStream_tbEUljE_ZNSN_ISO_Lb0ESR_SS_SU_SV_SZ_EES10_S11_S12_S13_S17_S18_S19_S1C_S1D_jS1E_jS1F_S1F_jjS1H_bEUljE0_EEES10_S11_S12_S19_S1D_S1F_T6_T7_T9_mT8_S1H_bDpT10_ENKUlT_T0_E_clISt17integral_constantIbLb0EES1U_IbLb1EEEEDaS1Q_S1R_EUlS1Q_E_NS1_11comp_targetILNS1_3genE0ELNS1_11target_archE4294967295ELNS1_3gpuE0ELNS1_3repE0EEENS1_30default_config_static_selectorELNS0_4arch9wavefront6targetE0EEEvS13_.numbered_sgpr, 0
	.set _ZN7rocprim17ROCPRIM_400000_NS6detail17trampoline_kernelINS0_13select_configILj256ELj13ELNS0_17block_load_methodE3ELS4_3ELS4_3ELNS0_20block_scan_algorithmE0ELj4294967295EEENS1_25partition_config_selectorILNS1_17partition_subalgoE4EjNS0_10empty_typeEbEEZZNS1_14partition_implILS8_4ELb0ES6_15HIP_vector_typeIjLj2EENS0_17counting_iteratorIjlEEPS9_SG_NS0_5tupleIJPjSI_NS0_16reverse_iteratorISI_EEEEENSH_IJSG_SG_SG_EEES9_SI_JZNS1_25segmented_radix_sort_implINS0_14default_configELb0EPK6__halfPSP_PKlPlN2at6native12_GLOBAL__N_18offset_tEEE10hipError_tPvRmT1_PNSt15iterator_traitsIS13_E10value_typeET2_T3_PNS14_IS19_E10value_typeET4_jRbjT5_S1F_jjP12ihipStream_tbEUljE_ZNSN_ISO_Lb0ESR_SS_SU_SV_SZ_EES10_S11_S12_S13_S17_S18_S19_S1C_S1D_jS1E_jS1F_S1F_jjS1H_bEUljE0_EEES10_S11_S12_S19_S1D_S1F_T6_T7_T9_mT8_S1H_bDpT10_ENKUlT_T0_E_clISt17integral_constantIbLb0EES1U_IbLb1EEEEDaS1Q_S1R_EUlS1Q_E_NS1_11comp_targetILNS1_3genE0ELNS1_11target_archE4294967295ELNS1_3gpuE0ELNS1_3repE0EEENS1_30default_config_static_selectorELNS0_4arch9wavefront6targetE0EEEvS13_.num_named_barrier, 0
	.set _ZN7rocprim17ROCPRIM_400000_NS6detail17trampoline_kernelINS0_13select_configILj256ELj13ELNS0_17block_load_methodE3ELS4_3ELS4_3ELNS0_20block_scan_algorithmE0ELj4294967295EEENS1_25partition_config_selectorILNS1_17partition_subalgoE4EjNS0_10empty_typeEbEEZZNS1_14partition_implILS8_4ELb0ES6_15HIP_vector_typeIjLj2EENS0_17counting_iteratorIjlEEPS9_SG_NS0_5tupleIJPjSI_NS0_16reverse_iteratorISI_EEEEENSH_IJSG_SG_SG_EEES9_SI_JZNS1_25segmented_radix_sort_implINS0_14default_configELb0EPK6__halfPSP_PKlPlN2at6native12_GLOBAL__N_18offset_tEEE10hipError_tPvRmT1_PNSt15iterator_traitsIS13_E10value_typeET2_T3_PNS14_IS19_E10value_typeET4_jRbjT5_S1F_jjP12ihipStream_tbEUljE_ZNSN_ISO_Lb0ESR_SS_SU_SV_SZ_EES10_S11_S12_S13_S17_S18_S19_S1C_S1D_jS1E_jS1F_S1F_jjS1H_bEUljE0_EEES10_S11_S12_S19_S1D_S1F_T6_T7_T9_mT8_S1H_bDpT10_ENKUlT_T0_E_clISt17integral_constantIbLb0EES1U_IbLb1EEEEDaS1Q_S1R_EUlS1Q_E_NS1_11comp_targetILNS1_3genE0ELNS1_11target_archE4294967295ELNS1_3gpuE0ELNS1_3repE0EEENS1_30default_config_static_selectorELNS0_4arch9wavefront6targetE0EEEvS13_.private_seg_size, 0
	.set _ZN7rocprim17ROCPRIM_400000_NS6detail17trampoline_kernelINS0_13select_configILj256ELj13ELNS0_17block_load_methodE3ELS4_3ELS4_3ELNS0_20block_scan_algorithmE0ELj4294967295EEENS1_25partition_config_selectorILNS1_17partition_subalgoE4EjNS0_10empty_typeEbEEZZNS1_14partition_implILS8_4ELb0ES6_15HIP_vector_typeIjLj2EENS0_17counting_iteratorIjlEEPS9_SG_NS0_5tupleIJPjSI_NS0_16reverse_iteratorISI_EEEEENSH_IJSG_SG_SG_EEES9_SI_JZNS1_25segmented_radix_sort_implINS0_14default_configELb0EPK6__halfPSP_PKlPlN2at6native12_GLOBAL__N_18offset_tEEE10hipError_tPvRmT1_PNSt15iterator_traitsIS13_E10value_typeET2_T3_PNS14_IS19_E10value_typeET4_jRbjT5_S1F_jjP12ihipStream_tbEUljE_ZNSN_ISO_Lb0ESR_SS_SU_SV_SZ_EES10_S11_S12_S13_S17_S18_S19_S1C_S1D_jS1E_jS1F_S1F_jjS1H_bEUljE0_EEES10_S11_S12_S19_S1D_S1F_T6_T7_T9_mT8_S1H_bDpT10_ENKUlT_T0_E_clISt17integral_constantIbLb0EES1U_IbLb1EEEEDaS1Q_S1R_EUlS1Q_E_NS1_11comp_targetILNS1_3genE0ELNS1_11target_archE4294967295ELNS1_3gpuE0ELNS1_3repE0EEENS1_30default_config_static_selectorELNS0_4arch9wavefront6targetE0EEEvS13_.uses_vcc, 0
	.set _ZN7rocprim17ROCPRIM_400000_NS6detail17trampoline_kernelINS0_13select_configILj256ELj13ELNS0_17block_load_methodE3ELS4_3ELS4_3ELNS0_20block_scan_algorithmE0ELj4294967295EEENS1_25partition_config_selectorILNS1_17partition_subalgoE4EjNS0_10empty_typeEbEEZZNS1_14partition_implILS8_4ELb0ES6_15HIP_vector_typeIjLj2EENS0_17counting_iteratorIjlEEPS9_SG_NS0_5tupleIJPjSI_NS0_16reverse_iteratorISI_EEEEENSH_IJSG_SG_SG_EEES9_SI_JZNS1_25segmented_radix_sort_implINS0_14default_configELb0EPK6__halfPSP_PKlPlN2at6native12_GLOBAL__N_18offset_tEEE10hipError_tPvRmT1_PNSt15iterator_traitsIS13_E10value_typeET2_T3_PNS14_IS19_E10value_typeET4_jRbjT5_S1F_jjP12ihipStream_tbEUljE_ZNSN_ISO_Lb0ESR_SS_SU_SV_SZ_EES10_S11_S12_S13_S17_S18_S19_S1C_S1D_jS1E_jS1F_S1F_jjS1H_bEUljE0_EEES10_S11_S12_S19_S1D_S1F_T6_T7_T9_mT8_S1H_bDpT10_ENKUlT_T0_E_clISt17integral_constantIbLb0EES1U_IbLb1EEEEDaS1Q_S1R_EUlS1Q_E_NS1_11comp_targetILNS1_3genE0ELNS1_11target_archE4294967295ELNS1_3gpuE0ELNS1_3repE0EEENS1_30default_config_static_selectorELNS0_4arch9wavefront6targetE0EEEvS13_.uses_flat_scratch, 0
	.set _ZN7rocprim17ROCPRIM_400000_NS6detail17trampoline_kernelINS0_13select_configILj256ELj13ELNS0_17block_load_methodE3ELS4_3ELS4_3ELNS0_20block_scan_algorithmE0ELj4294967295EEENS1_25partition_config_selectorILNS1_17partition_subalgoE4EjNS0_10empty_typeEbEEZZNS1_14partition_implILS8_4ELb0ES6_15HIP_vector_typeIjLj2EENS0_17counting_iteratorIjlEEPS9_SG_NS0_5tupleIJPjSI_NS0_16reverse_iteratorISI_EEEEENSH_IJSG_SG_SG_EEES9_SI_JZNS1_25segmented_radix_sort_implINS0_14default_configELb0EPK6__halfPSP_PKlPlN2at6native12_GLOBAL__N_18offset_tEEE10hipError_tPvRmT1_PNSt15iterator_traitsIS13_E10value_typeET2_T3_PNS14_IS19_E10value_typeET4_jRbjT5_S1F_jjP12ihipStream_tbEUljE_ZNSN_ISO_Lb0ESR_SS_SU_SV_SZ_EES10_S11_S12_S13_S17_S18_S19_S1C_S1D_jS1E_jS1F_S1F_jjS1H_bEUljE0_EEES10_S11_S12_S19_S1D_S1F_T6_T7_T9_mT8_S1H_bDpT10_ENKUlT_T0_E_clISt17integral_constantIbLb0EES1U_IbLb1EEEEDaS1Q_S1R_EUlS1Q_E_NS1_11comp_targetILNS1_3genE0ELNS1_11target_archE4294967295ELNS1_3gpuE0ELNS1_3repE0EEENS1_30default_config_static_selectorELNS0_4arch9wavefront6targetE0EEEvS13_.has_dyn_sized_stack, 0
	.set _ZN7rocprim17ROCPRIM_400000_NS6detail17trampoline_kernelINS0_13select_configILj256ELj13ELNS0_17block_load_methodE3ELS4_3ELS4_3ELNS0_20block_scan_algorithmE0ELj4294967295EEENS1_25partition_config_selectorILNS1_17partition_subalgoE4EjNS0_10empty_typeEbEEZZNS1_14partition_implILS8_4ELb0ES6_15HIP_vector_typeIjLj2EENS0_17counting_iteratorIjlEEPS9_SG_NS0_5tupleIJPjSI_NS0_16reverse_iteratorISI_EEEEENSH_IJSG_SG_SG_EEES9_SI_JZNS1_25segmented_radix_sort_implINS0_14default_configELb0EPK6__halfPSP_PKlPlN2at6native12_GLOBAL__N_18offset_tEEE10hipError_tPvRmT1_PNSt15iterator_traitsIS13_E10value_typeET2_T3_PNS14_IS19_E10value_typeET4_jRbjT5_S1F_jjP12ihipStream_tbEUljE_ZNSN_ISO_Lb0ESR_SS_SU_SV_SZ_EES10_S11_S12_S13_S17_S18_S19_S1C_S1D_jS1E_jS1F_S1F_jjS1H_bEUljE0_EEES10_S11_S12_S19_S1D_S1F_T6_T7_T9_mT8_S1H_bDpT10_ENKUlT_T0_E_clISt17integral_constantIbLb0EES1U_IbLb1EEEEDaS1Q_S1R_EUlS1Q_E_NS1_11comp_targetILNS1_3genE0ELNS1_11target_archE4294967295ELNS1_3gpuE0ELNS1_3repE0EEENS1_30default_config_static_selectorELNS0_4arch9wavefront6targetE0EEEvS13_.has_recursion, 0
	.set _ZN7rocprim17ROCPRIM_400000_NS6detail17trampoline_kernelINS0_13select_configILj256ELj13ELNS0_17block_load_methodE3ELS4_3ELS4_3ELNS0_20block_scan_algorithmE0ELj4294967295EEENS1_25partition_config_selectorILNS1_17partition_subalgoE4EjNS0_10empty_typeEbEEZZNS1_14partition_implILS8_4ELb0ES6_15HIP_vector_typeIjLj2EENS0_17counting_iteratorIjlEEPS9_SG_NS0_5tupleIJPjSI_NS0_16reverse_iteratorISI_EEEEENSH_IJSG_SG_SG_EEES9_SI_JZNS1_25segmented_radix_sort_implINS0_14default_configELb0EPK6__halfPSP_PKlPlN2at6native12_GLOBAL__N_18offset_tEEE10hipError_tPvRmT1_PNSt15iterator_traitsIS13_E10value_typeET2_T3_PNS14_IS19_E10value_typeET4_jRbjT5_S1F_jjP12ihipStream_tbEUljE_ZNSN_ISO_Lb0ESR_SS_SU_SV_SZ_EES10_S11_S12_S13_S17_S18_S19_S1C_S1D_jS1E_jS1F_S1F_jjS1H_bEUljE0_EEES10_S11_S12_S19_S1D_S1F_T6_T7_T9_mT8_S1H_bDpT10_ENKUlT_T0_E_clISt17integral_constantIbLb0EES1U_IbLb1EEEEDaS1Q_S1R_EUlS1Q_E_NS1_11comp_targetILNS1_3genE0ELNS1_11target_archE4294967295ELNS1_3gpuE0ELNS1_3repE0EEENS1_30default_config_static_selectorELNS0_4arch9wavefront6targetE0EEEvS13_.has_indirect_call, 0
	.section	.AMDGPU.csdata,"",@progbits
; Kernel info:
; codeLenInByte = 0
; TotalNumSgprs: 0
; NumVgprs: 0
; ScratchSize: 0
; MemoryBound: 0
; FloatMode: 240
; IeeeMode: 1
; LDSByteSize: 0 bytes/workgroup (compile time only)
; SGPRBlocks: 0
; VGPRBlocks: 0
; NumSGPRsForWavesPerEU: 1
; NumVGPRsForWavesPerEU: 1
; Occupancy: 16
; WaveLimiterHint : 0
; COMPUTE_PGM_RSRC2:SCRATCH_EN: 0
; COMPUTE_PGM_RSRC2:USER_SGPR: 2
; COMPUTE_PGM_RSRC2:TRAP_HANDLER: 0
; COMPUTE_PGM_RSRC2:TGID_X_EN: 1
; COMPUTE_PGM_RSRC2:TGID_Y_EN: 0
; COMPUTE_PGM_RSRC2:TGID_Z_EN: 0
; COMPUTE_PGM_RSRC2:TIDIG_COMP_CNT: 0
	.section	.text._ZN7rocprim17ROCPRIM_400000_NS6detail17trampoline_kernelINS0_13select_configILj256ELj13ELNS0_17block_load_methodE3ELS4_3ELS4_3ELNS0_20block_scan_algorithmE0ELj4294967295EEENS1_25partition_config_selectorILNS1_17partition_subalgoE4EjNS0_10empty_typeEbEEZZNS1_14partition_implILS8_4ELb0ES6_15HIP_vector_typeIjLj2EENS0_17counting_iteratorIjlEEPS9_SG_NS0_5tupleIJPjSI_NS0_16reverse_iteratorISI_EEEEENSH_IJSG_SG_SG_EEES9_SI_JZNS1_25segmented_radix_sort_implINS0_14default_configELb0EPK6__halfPSP_PKlPlN2at6native12_GLOBAL__N_18offset_tEEE10hipError_tPvRmT1_PNSt15iterator_traitsIS13_E10value_typeET2_T3_PNS14_IS19_E10value_typeET4_jRbjT5_S1F_jjP12ihipStream_tbEUljE_ZNSN_ISO_Lb0ESR_SS_SU_SV_SZ_EES10_S11_S12_S13_S17_S18_S19_S1C_S1D_jS1E_jS1F_S1F_jjS1H_bEUljE0_EEES10_S11_S12_S19_S1D_S1F_T6_T7_T9_mT8_S1H_bDpT10_ENKUlT_T0_E_clISt17integral_constantIbLb0EES1U_IbLb1EEEEDaS1Q_S1R_EUlS1Q_E_NS1_11comp_targetILNS1_3genE5ELNS1_11target_archE942ELNS1_3gpuE9ELNS1_3repE0EEENS1_30default_config_static_selectorELNS0_4arch9wavefront6targetE0EEEvS13_,"axG",@progbits,_ZN7rocprim17ROCPRIM_400000_NS6detail17trampoline_kernelINS0_13select_configILj256ELj13ELNS0_17block_load_methodE3ELS4_3ELS4_3ELNS0_20block_scan_algorithmE0ELj4294967295EEENS1_25partition_config_selectorILNS1_17partition_subalgoE4EjNS0_10empty_typeEbEEZZNS1_14partition_implILS8_4ELb0ES6_15HIP_vector_typeIjLj2EENS0_17counting_iteratorIjlEEPS9_SG_NS0_5tupleIJPjSI_NS0_16reverse_iteratorISI_EEEEENSH_IJSG_SG_SG_EEES9_SI_JZNS1_25segmented_radix_sort_implINS0_14default_configELb0EPK6__halfPSP_PKlPlN2at6native12_GLOBAL__N_18offset_tEEE10hipError_tPvRmT1_PNSt15iterator_traitsIS13_E10value_typeET2_T3_PNS14_IS19_E10value_typeET4_jRbjT5_S1F_jjP12ihipStream_tbEUljE_ZNSN_ISO_Lb0ESR_SS_SU_SV_SZ_EES10_S11_S12_S13_S17_S18_S19_S1C_S1D_jS1E_jS1F_S1F_jjS1H_bEUljE0_EEES10_S11_S12_S19_S1D_S1F_T6_T7_T9_mT8_S1H_bDpT10_ENKUlT_T0_E_clISt17integral_constantIbLb0EES1U_IbLb1EEEEDaS1Q_S1R_EUlS1Q_E_NS1_11comp_targetILNS1_3genE5ELNS1_11target_archE942ELNS1_3gpuE9ELNS1_3repE0EEENS1_30default_config_static_selectorELNS0_4arch9wavefront6targetE0EEEvS13_,comdat
	.globl	_ZN7rocprim17ROCPRIM_400000_NS6detail17trampoline_kernelINS0_13select_configILj256ELj13ELNS0_17block_load_methodE3ELS4_3ELS4_3ELNS0_20block_scan_algorithmE0ELj4294967295EEENS1_25partition_config_selectorILNS1_17partition_subalgoE4EjNS0_10empty_typeEbEEZZNS1_14partition_implILS8_4ELb0ES6_15HIP_vector_typeIjLj2EENS0_17counting_iteratorIjlEEPS9_SG_NS0_5tupleIJPjSI_NS0_16reverse_iteratorISI_EEEEENSH_IJSG_SG_SG_EEES9_SI_JZNS1_25segmented_radix_sort_implINS0_14default_configELb0EPK6__halfPSP_PKlPlN2at6native12_GLOBAL__N_18offset_tEEE10hipError_tPvRmT1_PNSt15iterator_traitsIS13_E10value_typeET2_T3_PNS14_IS19_E10value_typeET4_jRbjT5_S1F_jjP12ihipStream_tbEUljE_ZNSN_ISO_Lb0ESR_SS_SU_SV_SZ_EES10_S11_S12_S13_S17_S18_S19_S1C_S1D_jS1E_jS1F_S1F_jjS1H_bEUljE0_EEES10_S11_S12_S19_S1D_S1F_T6_T7_T9_mT8_S1H_bDpT10_ENKUlT_T0_E_clISt17integral_constantIbLb0EES1U_IbLb1EEEEDaS1Q_S1R_EUlS1Q_E_NS1_11comp_targetILNS1_3genE5ELNS1_11target_archE942ELNS1_3gpuE9ELNS1_3repE0EEENS1_30default_config_static_selectorELNS0_4arch9wavefront6targetE0EEEvS13_ ; -- Begin function _ZN7rocprim17ROCPRIM_400000_NS6detail17trampoline_kernelINS0_13select_configILj256ELj13ELNS0_17block_load_methodE3ELS4_3ELS4_3ELNS0_20block_scan_algorithmE0ELj4294967295EEENS1_25partition_config_selectorILNS1_17partition_subalgoE4EjNS0_10empty_typeEbEEZZNS1_14partition_implILS8_4ELb0ES6_15HIP_vector_typeIjLj2EENS0_17counting_iteratorIjlEEPS9_SG_NS0_5tupleIJPjSI_NS0_16reverse_iteratorISI_EEEEENSH_IJSG_SG_SG_EEES9_SI_JZNS1_25segmented_radix_sort_implINS0_14default_configELb0EPK6__halfPSP_PKlPlN2at6native12_GLOBAL__N_18offset_tEEE10hipError_tPvRmT1_PNSt15iterator_traitsIS13_E10value_typeET2_T3_PNS14_IS19_E10value_typeET4_jRbjT5_S1F_jjP12ihipStream_tbEUljE_ZNSN_ISO_Lb0ESR_SS_SU_SV_SZ_EES10_S11_S12_S13_S17_S18_S19_S1C_S1D_jS1E_jS1F_S1F_jjS1H_bEUljE0_EEES10_S11_S12_S19_S1D_S1F_T6_T7_T9_mT8_S1H_bDpT10_ENKUlT_T0_E_clISt17integral_constantIbLb0EES1U_IbLb1EEEEDaS1Q_S1R_EUlS1Q_E_NS1_11comp_targetILNS1_3genE5ELNS1_11target_archE942ELNS1_3gpuE9ELNS1_3repE0EEENS1_30default_config_static_selectorELNS0_4arch9wavefront6targetE0EEEvS13_
	.p2align	8
	.type	_ZN7rocprim17ROCPRIM_400000_NS6detail17trampoline_kernelINS0_13select_configILj256ELj13ELNS0_17block_load_methodE3ELS4_3ELS4_3ELNS0_20block_scan_algorithmE0ELj4294967295EEENS1_25partition_config_selectorILNS1_17partition_subalgoE4EjNS0_10empty_typeEbEEZZNS1_14partition_implILS8_4ELb0ES6_15HIP_vector_typeIjLj2EENS0_17counting_iteratorIjlEEPS9_SG_NS0_5tupleIJPjSI_NS0_16reverse_iteratorISI_EEEEENSH_IJSG_SG_SG_EEES9_SI_JZNS1_25segmented_radix_sort_implINS0_14default_configELb0EPK6__halfPSP_PKlPlN2at6native12_GLOBAL__N_18offset_tEEE10hipError_tPvRmT1_PNSt15iterator_traitsIS13_E10value_typeET2_T3_PNS14_IS19_E10value_typeET4_jRbjT5_S1F_jjP12ihipStream_tbEUljE_ZNSN_ISO_Lb0ESR_SS_SU_SV_SZ_EES10_S11_S12_S13_S17_S18_S19_S1C_S1D_jS1E_jS1F_S1F_jjS1H_bEUljE0_EEES10_S11_S12_S19_S1D_S1F_T6_T7_T9_mT8_S1H_bDpT10_ENKUlT_T0_E_clISt17integral_constantIbLb0EES1U_IbLb1EEEEDaS1Q_S1R_EUlS1Q_E_NS1_11comp_targetILNS1_3genE5ELNS1_11target_archE942ELNS1_3gpuE9ELNS1_3repE0EEENS1_30default_config_static_selectorELNS0_4arch9wavefront6targetE0EEEvS13_,@function
_ZN7rocprim17ROCPRIM_400000_NS6detail17trampoline_kernelINS0_13select_configILj256ELj13ELNS0_17block_load_methodE3ELS4_3ELS4_3ELNS0_20block_scan_algorithmE0ELj4294967295EEENS1_25partition_config_selectorILNS1_17partition_subalgoE4EjNS0_10empty_typeEbEEZZNS1_14partition_implILS8_4ELb0ES6_15HIP_vector_typeIjLj2EENS0_17counting_iteratorIjlEEPS9_SG_NS0_5tupleIJPjSI_NS0_16reverse_iteratorISI_EEEEENSH_IJSG_SG_SG_EEES9_SI_JZNS1_25segmented_radix_sort_implINS0_14default_configELb0EPK6__halfPSP_PKlPlN2at6native12_GLOBAL__N_18offset_tEEE10hipError_tPvRmT1_PNSt15iterator_traitsIS13_E10value_typeET2_T3_PNS14_IS19_E10value_typeET4_jRbjT5_S1F_jjP12ihipStream_tbEUljE_ZNSN_ISO_Lb0ESR_SS_SU_SV_SZ_EES10_S11_S12_S13_S17_S18_S19_S1C_S1D_jS1E_jS1F_S1F_jjS1H_bEUljE0_EEES10_S11_S12_S19_S1D_S1F_T6_T7_T9_mT8_S1H_bDpT10_ENKUlT_T0_E_clISt17integral_constantIbLb0EES1U_IbLb1EEEEDaS1Q_S1R_EUlS1Q_E_NS1_11comp_targetILNS1_3genE5ELNS1_11target_archE942ELNS1_3gpuE9ELNS1_3repE0EEENS1_30default_config_static_selectorELNS0_4arch9wavefront6targetE0EEEvS13_: ; @_ZN7rocprim17ROCPRIM_400000_NS6detail17trampoline_kernelINS0_13select_configILj256ELj13ELNS0_17block_load_methodE3ELS4_3ELS4_3ELNS0_20block_scan_algorithmE0ELj4294967295EEENS1_25partition_config_selectorILNS1_17partition_subalgoE4EjNS0_10empty_typeEbEEZZNS1_14partition_implILS8_4ELb0ES6_15HIP_vector_typeIjLj2EENS0_17counting_iteratorIjlEEPS9_SG_NS0_5tupleIJPjSI_NS0_16reverse_iteratorISI_EEEEENSH_IJSG_SG_SG_EEES9_SI_JZNS1_25segmented_radix_sort_implINS0_14default_configELb0EPK6__halfPSP_PKlPlN2at6native12_GLOBAL__N_18offset_tEEE10hipError_tPvRmT1_PNSt15iterator_traitsIS13_E10value_typeET2_T3_PNS14_IS19_E10value_typeET4_jRbjT5_S1F_jjP12ihipStream_tbEUljE_ZNSN_ISO_Lb0ESR_SS_SU_SV_SZ_EES10_S11_S12_S13_S17_S18_S19_S1C_S1D_jS1E_jS1F_S1F_jjS1H_bEUljE0_EEES10_S11_S12_S19_S1D_S1F_T6_T7_T9_mT8_S1H_bDpT10_ENKUlT_T0_E_clISt17integral_constantIbLb0EES1U_IbLb1EEEEDaS1Q_S1R_EUlS1Q_E_NS1_11comp_targetILNS1_3genE5ELNS1_11target_archE942ELNS1_3gpuE9ELNS1_3repE0EEENS1_30default_config_static_selectorELNS0_4arch9wavefront6targetE0EEEvS13_
; %bb.0:
	.section	.rodata,"a",@progbits
	.p2align	6, 0x0
	.amdhsa_kernel _ZN7rocprim17ROCPRIM_400000_NS6detail17trampoline_kernelINS0_13select_configILj256ELj13ELNS0_17block_load_methodE3ELS4_3ELS4_3ELNS0_20block_scan_algorithmE0ELj4294967295EEENS1_25partition_config_selectorILNS1_17partition_subalgoE4EjNS0_10empty_typeEbEEZZNS1_14partition_implILS8_4ELb0ES6_15HIP_vector_typeIjLj2EENS0_17counting_iteratorIjlEEPS9_SG_NS0_5tupleIJPjSI_NS0_16reverse_iteratorISI_EEEEENSH_IJSG_SG_SG_EEES9_SI_JZNS1_25segmented_radix_sort_implINS0_14default_configELb0EPK6__halfPSP_PKlPlN2at6native12_GLOBAL__N_18offset_tEEE10hipError_tPvRmT1_PNSt15iterator_traitsIS13_E10value_typeET2_T3_PNS14_IS19_E10value_typeET4_jRbjT5_S1F_jjP12ihipStream_tbEUljE_ZNSN_ISO_Lb0ESR_SS_SU_SV_SZ_EES10_S11_S12_S13_S17_S18_S19_S1C_S1D_jS1E_jS1F_S1F_jjS1H_bEUljE0_EEES10_S11_S12_S19_S1D_S1F_T6_T7_T9_mT8_S1H_bDpT10_ENKUlT_T0_E_clISt17integral_constantIbLb0EES1U_IbLb1EEEEDaS1Q_S1R_EUlS1Q_E_NS1_11comp_targetILNS1_3genE5ELNS1_11target_archE942ELNS1_3gpuE9ELNS1_3repE0EEENS1_30default_config_static_selectorELNS0_4arch9wavefront6targetE0EEEvS13_
		.amdhsa_group_segment_fixed_size 0
		.amdhsa_private_segment_fixed_size 0
		.amdhsa_kernarg_size 184
		.amdhsa_user_sgpr_count 2
		.amdhsa_user_sgpr_dispatch_ptr 0
		.amdhsa_user_sgpr_queue_ptr 0
		.amdhsa_user_sgpr_kernarg_segment_ptr 1
		.amdhsa_user_sgpr_dispatch_id 0
		.amdhsa_user_sgpr_private_segment_size 0
		.amdhsa_wavefront_size32 1
		.amdhsa_uses_dynamic_stack 0
		.amdhsa_enable_private_segment 0
		.amdhsa_system_sgpr_workgroup_id_x 1
		.amdhsa_system_sgpr_workgroup_id_y 0
		.amdhsa_system_sgpr_workgroup_id_z 0
		.amdhsa_system_sgpr_workgroup_info 0
		.amdhsa_system_vgpr_workitem_id 0
		.amdhsa_next_free_vgpr 1
		.amdhsa_next_free_sgpr 1
		.amdhsa_reserve_vcc 0
		.amdhsa_float_round_mode_32 0
		.amdhsa_float_round_mode_16_64 0
		.amdhsa_float_denorm_mode_32 3
		.amdhsa_float_denorm_mode_16_64 3
		.amdhsa_fp16_overflow 0
		.amdhsa_workgroup_processor_mode 1
		.amdhsa_memory_ordered 1
		.amdhsa_forward_progress 1
		.amdhsa_inst_pref_size 0
		.amdhsa_round_robin_scheduling 0
		.amdhsa_exception_fp_ieee_invalid_op 0
		.amdhsa_exception_fp_denorm_src 0
		.amdhsa_exception_fp_ieee_div_zero 0
		.amdhsa_exception_fp_ieee_overflow 0
		.amdhsa_exception_fp_ieee_underflow 0
		.amdhsa_exception_fp_ieee_inexact 0
		.amdhsa_exception_int_div_zero 0
	.end_amdhsa_kernel
	.section	.text._ZN7rocprim17ROCPRIM_400000_NS6detail17trampoline_kernelINS0_13select_configILj256ELj13ELNS0_17block_load_methodE3ELS4_3ELS4_3ELNS0_20block_scan_algorithmE0ELj4294967295EEENS1_25partition_config_selectorILNS1_17partition_subalgoE4EjNS0_10empty_typeEbEEZZNS1_14partition_implILS8_4ELb0ES6_15HIP_vector_typeIjLj2EENS0_17counting_iteratorIjlEEPS9_SG_NS0_5tupleIJPjSI_NS0_16reverse_iteratorISI_EEEEENSH_IJSG_SG_SG_EEES9_SI_JZNS1_25segmented_radix_sort_implINS0_14default_configELb0EPK6__halfPSP_PKlPlN2at6native12_GLOBAL__N_18offset_tEEE10hipError_tPvRmT1_PNSt15iterator_traitsIS13_E10value_typeET2_T3_PNS14_IS19_E10value_typeET4_jRbjT5_S1F_jjP12ihipStream_tbEUljE_ZNSN_ISO_Lb0ESR_SS_SU_SV_SZ_EES10_S11_S12_S13_S17_S18_S19_S1C_S1D_jS1E_jS1F_S1F_jjS1H_bEUljE0_EEES10_S11_S12_S19_S1D_S1F_T6_T7_T9_mT8_S1H_bDpT10_ENKUlT_T0_E_clISt17integral_constantIbLb0EES1U_IbLb1EEEEDaS1Q_S1R_EUlS1Q_E_NS1_11comp_targetILNS1_3genE5ELNS1_11target_archE942ELNS1_3gpuE9ELNS1_3repE0EEENS1_30default_config_static_selectorELNS0_4arch9wavefront6targetE0EEEvS13_,"axG",@progbits,_ZN7rocprim17ROCPRIM_400000_NS6detail17trampoline_kernelINS0_13select_configILj256ELj13ELNS0_17block_load_methodE3ELS4_3ELS4_3ELNS0_20block_scan_algorithmE0ELj4294967295EEENS1_25partition_config_selectorILNS1_17partition_subalgoE4EjNS0_10empty_typeEbEEZZNS1_14partition_implILS8_4ELb0ES6_15HIP_vector_typeIjLj2EENS0_17counting_iteratorIjlEEPS9_SG_NS0_5tupleIJPjSI_NS0_16reverse_iteratorISI_EEEEENSH_IJSG_SG_SG_EEES9_SI_JZNS1_25segmented_radix_sort_implINS0_14default_configELb0EPK6__halfPSP_PKlPlN2at6native12_GLOBAL__N_18offset_tEEE10hipError_tPvRmT1_PNSt15iterator_traitsIS13_E10value_typeET2_T3_PNS14_IS19_E10value_typeET4_jRbjT5_S1F_jjP12ihipStream_tbEUljE_ZNSN_ISO_Lb0ESR_SS_SU_SV_SZ_EES10_S11_S12_S13_S17_S18_S19_S1C_S1D_jS1E_jS1F_S1F_jjS1H_bEUljE0_EEES10_S11_S12_S19_S1D_S1F_T6_T7_T9_mT8_S1H_bDpT10_ENKUlT_T0_E_clISt17integral_constantIbLb0EES1U_IbLb1EEEEDaS1Q_S1R_EUlS1Q_E_NS1_11comp_targetILNS1_3genE5ELNS1_11target_archE942ELNS1_3gpuE9ELNS1_3repE0EEENS1_30default_config_static_selectorELNS0_4arch9wavefront6targetE0EEEvS13_,comdat
.Lfunc_end1803:
	.size	_ZN7rocprim17ROCPRIM_400000_NS6detail17trampoline_kernelINS0_13select_configILj256ELj13ELNS0_17block_load_methodE3ELS4_3ELS4_3ELNS0_20block_scan_algorithmE0ELj4294967295EEENS1_25partition_config_selectorILNS1_17partition_subalgoE4EjNS0_10empty_typeEbEEZZNS1_14partition_implILS8_4ELb0ES6_15HIP_vector_typeIjLj2EENS0_17counting_iteratorIjlEEPS9_SG_NS0_5tupleIJPjSI_NS0_16reverse_iteratorISI_EEEEENSH_IJSG_SG_SG_EEES9_SI_JZNS1_25segmented_radix_sort_implINS0_14default_configELb0EPK6__halfPSP_PKlPlN2at6native12_GLOBAL__N_18offset_tEEE10hipError_tPvRmT1_PNSt15iterator_traitsIS13_E10value_typeET2_T3_PNS14_IS19_E10value_typeET4_jRbjT5_S1F_jjP12ihipStream_tbEUljE_ZNSN_ISO_Lb0ESR_SS_SU_SV_SZ_EES10_S11_S12_S13_S17_S18_S19_S1C_S1D_jS1E_jS1F_S1F_jjS1H_bEUljE0_EEES10_S11_S12_S19_S1D_S1F_T6_T7_T9_mT8_S1H_bDpT10_ENKUlT_T0_E_clISt17integral_constantIbLb0EES1U_IbLb1EEEEDaS1Q_S1R_EUlS1Q_E_NS1_11comp_targetILNS1_3genE5ELNS1_11target_archE942ELNS1_3gpuE9ELNS1_3repE0EEENS1_30default_config_static_selectorELNS0_4arch9wavefront6targetE0EEEvS13_, .Lfunc_end1803-_ZN7rocprim17ROCPRIM_400000_NS6detail17trampoline_kernelINS0_13select_configILj256ELj13ELNS0_17block_load_methodE3ELS4_3ELS4_3ELNS0_20block_scan_algorithmE0ELj4294967295EEENS1_25partition_config_selectorILNS1_17partition_subalgoE4EjNS0_10empty_typeEbEEZZNS1_14partition_implILS8_4ELb0ES6_15HIP_vector_typeIjLj2EENS0_17counting_iteratorIjlEEPS9_SG_NS0_5tupleIJPjSI_NS0_16reverse_iteratorISI_EEEEENSH_IJSG_SG_SG_EEES9_SI_JZNS1_25segmented_radix_sort_implINS0_14default_configELb0EPK6__halfPSP_PKlPlN2at6native12_GLOBAL__N_18offset_tEEE10hipError_tPvRmT1_PNSt15iterator_traitsIS13_E10value_typeET2_T3_PNS14_IS19_E10value_typeET4_jRbjT5_S1F_jjP12ihipStream_tbEUljE_ZNSN_ISO_Lb0ESR_SS_SU_SV_SZ_EES10_S11_S12_S13_S17_S18_S19_S1C_S1D_jS1E_jS1F_S1F_jjS1H_bEUljE0_EEES10_S11_S12_S19_S1D_S1F_T6_T7_T9_mT8_S1H_bDpT10_ENKUlT_T0_E_clISt17integral_constantIbLb0EES1U_IbLb1EEEEDaS1Q_S1R_EUlS1Q_E_NS1_11comp_targetILNS1_3genE5ELNS1_11target_archE942ELNS1_3gpuE9ELNS1_3repE0EEENS1_30default_config_static_selectorELNS0_4arch9wavefront6targetE0EEEvS13_
                                        ; -- End function
	.set _ZN7rocprim17ROCPRIM_400000_NS6detail17trampoline_kernelINS0_13select_configILj256ELj13ELNS0_17block_load_methodE3ELS4_3ELS4_3ELNS0_20block_scan_algorithmE0ELj4294967295EEENS1_25partition_config_selectorILNS1_17partition_subalgoE4EjNS0_10empty_typeEbEEZZNS1_14partition_implILS8_4ELb0ES6_15HIP_vector_typeIjLj2EENS0_17counting_iteratorIjlEEPS9_SG_NS0_5tupleIJPjSI_NS0_16reverse_iteratorISI_EEEEENSH_IJSG_SG_SG_EEES9_SI_JZNS1_25segmented_radix_sort_implINS0_14default_configELb0EPK6__halfPSP_PKlPlN2at6native12_GLOBAL__N_18offset_tEEE10hipError_tPvRmT1_PNSt15iterator_traitsIS13_E10value_typeET2_T3_PNS14_IS19_E10value_typeET4_jRbjT5_S1F_jjP12ihipStream_tbEUljE_ZNSN_ISO_Lb0ESR_SS_SU_SV_SZ_EES10_S11_S12_S13_S17_S18_S19_S1C_S1D_jS1E_jS1F_S1F_jjS1H_bEUljE0_EEES10_S11_S12_S19_S1D_S1F_T6_T7_T9_mT8_S1H_bDpT10_ENKUlT_T0_E_clISt17integral_constantIbLb0EES1U_IbLb1EEEEDaS1Q_S1R_EUlS1Q_E_NS1_11comp_targetILNS1_3genE5ELNS1_11target_archE942ELNS1_3gpuE9ELNS1_3repE0EEENS1_30default_config_static_selectorELNS0_4arch9wavefront6targetE0EEEvS13_.num_vgpr, 0
	.set _ZN7rocprim17ROCPRIM_400000_NS6detail17trampoline_kernelINS0_13select_configILj256ELj13ELNS0_17block_load_methodE3ELS4_3ELS4_3ELNS0_20block_scan_algorithmE0ELj4294967295EEENS1_25partition_config_selectorILNS1_17partition_subalgoE4EjNS0_10empty_typeEbEEZZNS1_14partition_implILS8_4ELb0ES6_15HIP_vector_typeIjLj2EENS0_17counting_iteratorIjlEEPS9_SG_NS0_5tupleIJPjSI_NS0_16reverse_iteratorISI_EEEEENSH_IJSG_SG_SG_EEES9_SI_JZNS1_25segmented_radix_sort_implINS0_14default_configELb0EPK6__halfPSP_PKlPlN2at6native12_GLOBAL__N_18offset_tEEE10hipError_tPvRmT1_PNSt15iterator_traitsIS13_E10value_typeET2_T3_PNS14_IS19_E10value_typeET4_jRbjT5_S1F_jjP12ihipStream_tbEUljE_ZNSN_ISO_Lb0ESR_SS_SU_SV_SZ_EES10_S11_S12_S13_S17_S18_S19_S1C_S1D_jS1E_jS1F_S1F_jjS1H_bEUljE0_EEES10_S11_S12_S19_S1D_S1F_T6_T7_T9_mT8_S1H_bDpT10_ENKUlT_T0_E_clISt17integral_constantIbLb0EES1U_IbLb1EEEEDaS1Q_S1R_EUlS1Q_E_NS1_11comp_targetILNS1_3genE5ELNS1_11target_archE942ELNS1_3gpuE9ELNS1_3repE0EEENS1_30default_config_static_selectorELNS0_4arch9wavefront6targetE0EEEvS13_.num_agpr, 0
	.set _ZN7rocprim17ROCPRIM_400000_NS6detail17trampoline_kernelINS0_13select_configILj256ELj13ELNS0_17block_load_methodE3ELS4_3ELS4_3ELNS0_20block_scan_algorithmE0ELj4294967295EEENS1_25partition_config_selectorILNS1_17partition_subalgoE4EjNS0_10empty_typeEbEEZZNS1_14partition_implILS8_4ELb0ES6_15HIP_vector_typeIjLj2EENS0_17counting_iteratorIjlEEPS9_SG_NS0_5tupleIJPjSI_NS0_16reverse_iteratorISI_EEEEENSH_IJSG_SG_SG_EEES9_SI_JZNS1_25segmented_radix_sort_implINS0_14default_configELb0EPK6__halfPSP_PKlPlN2at6native12_GLOBAL__N_18offset_tEEE10hipError_tPvRmT1_PNSt15iterator_traitsIS13_E10value_typeET2_T3_PNS14_IS19_E10value_typeET4_jRbjT5_S1F_jjP12ihipStream_tbEUljE_ZNSN_ISO_Lb0ESR_SS_SU_SV_SZ_EES10_S11_S12_S13_S17_S18_S19_S1C_S1D_jS1E_jS1F_S1F_jjS1H_bEUljE0_EEES10_S11_S12_S19_S1D_S1F_T6_T7_T9_mT8_S1H_bDpT10_ENKUlT_T0_E_clISt17integral_constantIbLb0EES1U_IbLb1EEEEDaS1Q_S1R_EUlS1Q_E_NS1_11comp_targetILNS1_3genE5ELNS1_11target_archE942ELNS1_3gpuE9ELNS1_3repE0EEENS1_30default_config_static_selectorELNS0_4arch9wavefront6targetE0EEEvS13_.numbered_sgpr, 0
	.set _ZN7rocprim17ROCPRIM_400000_NS6detail17trampoline_kernelINS0_13select_configILj256ELj13ELNS0_17block_load_methodE3ELS4_3ELS4_3ELNS0_20block_scan_algorithmE0ELj4294967295EEENS1_25partition_config_selectorILNS1_17partition_subalgoE4EjNS0_10empty_typeEbEEZZNS1_14partition_implILS8_4ELb0ES6_15HIP_vector_typeIjLj2EENS0_17counting_iteratorIjlEEPS9_SG_NS0_5tupleIJPjSI_NS0_16reverse_iteratorISI_EEEEENSH_IJSG_SG_SG_EEES9_SI_JZNS1_25segmented_radix_sort_implINS0_14default_configELb0EPK6__halfPSP_PKlPlN2at6native12_GLOBAL__N_18offset_tEEE10hipError_tPvRmT1_PNSt15iterator_traitsIS13_E10value_typeET2_T3_PNS14_IS19_E10value_typeET4_jRbjT5_S1F_jjP12ihipStream_tbEUljE_ZNSN_ISO_Lb0ESR_SS_SU_SV_SZ_EES10_S11_S12_S13_S17_S18_S19_S1C_S1D_jS1E_jS1F_S1F_jjS1H_bEUljE0_EEES10_S11_S12_S19_S1D_S1F_T6_T7_T9_mT8_S1H_bDpT10_ENKUlT_T0_E_clISt17integral_constantIbLb0EES1U_IbLb1EEEEDaS1Q_S1R_EUlS1Q_E_NS1_11comp_targetILNS1_3genE5ELNS1_11target_archE942ELNS1_3gpuE9ELNS1_3repE0EEENS1_30default_config_static_selectorELNS0_4arch9wavefront6targetE0EEEvS13_.num_named_barrier, 0
	.set _ZN7rocprim17ROCPRIM_400000_NS6detail17trampoline_kernelINS0_13select_configILj256ELj13ELNS0_17block_load_methodE3ELS4_3ELS4_3ELNS0_20block_scan_algorithmE0ELj4294967295EEENS1_25partition_config_selectorILNS1_17partition_subalgoE4EjNS0_10empty_typeEbEEZZNS1_14partition_implILS8_4ELb0ES6_15HIP_vector_typeIjLj2EENS0_17counting_iteratorIjlEEPS9_SG_NS0_5tupleIJPjSI_NS0_16reverse_iteratorISI_EEEEENSH_IJSG_SG_SG_EEES9_SI_JZNS1_25segmented_radix_sort_implINS0_14default_configELb0EPK6__halfPSP_PKlPlN2at6native12_GLOBAL__N_18offset_tEEE10hipError_tPvRmT1_PNSt15iterator_traitsIS13_E10value_typeET2_T3_PNS14_IS19_E10value_typeET4_jRbjT5_S1F_jjP12ihipStream_tbEUljE_ZNSN_ISO_Lb0ESR_SS_SU_SV_SZ_EES10_S11_S12_S13_S17_S18_S19_S1C_S1D_jS1E_jS1F_S1F_jjS1H_bEUljE0_EEES10_S11_S12_S19_S1D_S1F_T6_T7_T9_mT8_S1H_bDpT10_ENKUlT_T0_E_clISt17integral_constantIbLb0EES1U_IbLb1EEEEDaS1Q_S1R_EUlS1Q_E_NS1_11comp_targetILNS1_3genE5ELNS1_11target_archE942ELNS1_3gpuE9ELNS1_3repE0EEENS1_30default_config_static_selectorELNS0_4arch9wavefront6targetE0EEEvS13_.private_seg_size, 0
	.set _ZN7rocprim17ROCPRIM_400000_NS6detail17trampoline_kernelINS0_13select_configILj256ELj13ELNS0_17block_load_methodE3ELS4_3ELS4_3ELNS0_20block_scan_algorithmE0ELj4294967295EEENS1_25partition_config_selectorILNS1_17partition_subalgoE4EjNS0_10empty_typeEbEEZZNS1_14partition_implILS8_4ELb0ES6_15HIP_vector_typeIjLj2EENS0_17counting_iteratorIjlEEPS9_SG_NS0_5tupleIJPjSI_NS0_16reverse_iteratorISI_EEEEENSH_IJSG_SG_SG_EEES9_SI_JZNS1_25segmented_radix_sort_implINS0_14default_configELb0EPK6__halfPSP_PKlPlN2at6native12_GLOBAL__N_18offset_tEEE10hipError_tPvRmT1_PNSt15iterator_traitsIS13_E10value_typeET2_T3_PNS14_IS19_E10value_typeET4_jRbjT5_S1F_jjP12ihipStream_tbEUljE_ZNSN_ISO_Lb0ESR_SS_SU_SV_SZ_EES10_S11_S12_S13_S17_S18_S19_S1C_S1D_jS1E_jS1F_S1F_jjS1H_bEUljE0_EEES10_S11_S12_S19_S1D_S1F_T6_T7_T9_mT8_S1H_bDpT10_ENKUlT_T0_E_clISt17integral_constantIbLb0EES1U_IbLb1EEEEDaS1Q_S1R_EUlS1Q_E_NS1_11comp_targetILNS1_3genE5ELNS1_11target_archE942ELNS1_3gpuE9ELNS1_3repE0EEENS1_30default_config_static_selectorELNS0_4arch9wavefront6targetE0EEEvS13_.uses_vcc, 0
	.set _ZN7rocprim17ROCPRIM_400000_NS6detail17trampoline_kernelINS0_13select_configILj256ELj13ELNS0_17block_load_methodE3ELS4_3ELS4_3ELNS0_20block_scan_algorithmE0ELj4294967295EEENS1_25partition_config_selectorILNS1_17partition_subalgoE4EjNS0_10empty_typeEbEEZZNS1_14partition_implILS8_4ELb0ES6_15HIP_vector_typeIjLj2EENS0_17counting_iteratorIjlEEPS9_SG_NS0_5tupleIJPjSI_NS0_16reverse_iteratorISI_EEEEENSH_IJSG_SG_SG_EEES9_SI_JZNS1_25segmented_radix_sort_implINS0_14default_configELb0EPK6__halfPSP_PKlPlN2at6native12_GLOBAL__N_18offset_tEEE10hipError_tPvRmT1_PNSt15iterator_traitsIS13_E10value_typeET2_T3_PNS14_IS19_E10value_typeET4_jRbjT5_S1F_jjP12ihipStream_tbEUljE_ZNSN_ISO_Lb0ESR_SS_SU_SV_SZ_EES10_S11_S12_S13_S17_S18_S19_S1C_S1D_jS1E_jS1F_S1F_jjS1H_bEUljE0_EEES10_S11_S12_S19_S1D_S1F_T6_T7_T9_mT8_S1H_bDpT10_ENKUlT_T0_E_clISt17integral_constantIbLb0EES1U_IbLb1EEEEDaS1Q_S1R_EUlS1Q_E_NS1_11comp_targetILNS1_3genE5ELNS1_11target_archE942ELNS1_3gpuE9ELNS1_3repE0EEENS1_30default_config_static_selectorELNS0_4arch9wavefront6targetE0EEEvS13_.uses_flat_scratch, 0
	.set _ZN7rocprim17ROCPRIM_400000_NS6detail17trampoline_kernelINS0_13select_configILj256ELj13ELNS0_17block_load_methodE3ELS4_3ELS4_3ELNS0_20block_scan_algorithmE0ELj4294967295EEENS1_25partition_config_selectorILNS1_17partition_subalgoE4EjNS0_10empty_typeEbEEZZNS1_14partition_implILS8_4ELb0ES6_15HIP_vector_typeIjLj2EENS0_17counting_iteratorIjlEEPS9_SG_NS0_5tupleIJPjSI_NS0_16reverse_iteratorISI_EEEEENSH_IJSG_SG_SG_EEES9_SI_JZNS1_25segmented_radix_sort_implINS0_14default_configELb0EPK6__halfPSP_PKlPlN2at6native12_GLOBAL__N_18offset_tEEE10hipError_tPvRmT1_PNSt15iterator_traitsIS13_E10value_typeET2_T3_PNS14_IS19_E10value_typeET4_jRbjT5_S1F_jjP12ihipStream_tbEUljE_ZNSN_ISO_Lb0ESR_SS_SU_SV_SZ_EES10_S11_S12_S13_S17_S18_S19_S1C_S1D_jS1E_jS1F_S1F_jjS1H_bEUljE0_EEES10_S11_S12_S19_S1D_S1F_T6_T7_T9_mT8_S1H_bDpT10_ENKUlT_T0_E_clISt17integral_constantIbLb0EES1U_IbLb1EEEEDaS1Q_S1R_EUlS1Q_E_NS1_11comp_targetILNS1_3genE5ELNS1_11target_archE942ELNS1_3gpuE9ELNS1_3repE0EEENS1_30default_config_static_selectorELNS0_4arch9wavefront6targetE0EEEvS13_.has_dyn_sized_stack, 0
	.set _ZN7rocprim17ROCPRIM_400000_NS6detail17trampoline_kernelINS0_13select_configILj256ELj13ELNS0_17block_load_methodE3ELS4_3ELS4_3ELNS0_20block_scan_algorithmE0ELj4294967295EEENS1_25partition_config_selectorILNS1_17partition_subalgoE4EjNS0_10empty_typeEbEEZZNS1_14partition_implILS8_4ELb0ES6_15HIP_vector_typeIjLj2EENS0_17counting_iteratorIjlEEPS9_SG_NS0_5tupleIJPjSI_NS0_16reverse_iteratorISI_EEEEENSH_IJSG_SG_SG_EEES9_SI_JZNS1_25segmented_radix_sort_implINS0_14default_configELb0EPK6__halfPSP_PKlPlN2at6native12_GLOBAL__N_18offset_tEEE10hipError_tPvRmT1_PNSt15iterator_traitsIS13_E10value_typeET2_T3_PNS14_IS19_E10value_typeET4_jRbjT5_S1F_jjP12ihipStream_tbEUljE_ZNSN_ISO_Lb0ESR_SS_SU_SV_SZ_EES10_S11_S12_S13_S17_S18_S19_S1C_S1D_jS1E_jS1F_S1F_jjS1H_bEUljE0_EEES10_S11_S12_S19_S1D_S1F_T6_T7_T9_mT8_S1H_bDpT10_ENKUlT_T0_E_clISt17integral_constantIbLb0EES1U_IbLb1EEEEDaS1Q_S1R_EUlS1Q_E_NS1_11comp_targetILNS1_3genE5ELNS1_11target_archE942ELNS1_3gpuE9ELNS1_3repE0EEENS1_30default_config_static_selectorELNS0_4arch9wavefront6targetE0EEEvS13_.has_recursion, 0
	.set _ZN7rocprim17ROCPRIM_400000_NS6detail17trampoline_kernelINS0_13select_configILj256ELj13ELNS0_17block_load_methodE3ELS4_3ELS4_3ELNS0_20block_scan_algorithmE0ELj4294967295EEENS1_25partition_config_selectorILNS1_17partition_subalgoE4EjNS0_10empty_typeEbEEZZNS1_14partition_implILS8_4ELb0ES6_15HIP_vector_typeIjLj2EENS0_17counting_iteratorIjlEEPS9_SG_NS0_5tupleIJPjSI_NS0_16reverse_iteratorISI_EEEEENSH_IJSG_SG_SG_EEES9_SI_JZNS1_25segmented_radix_sort_implINS0_14default_configELb0EPK6__halfPSP_PKlPlN2at6native12_GLOBAL__N_18offset_tEEE10hipError_tPvRmT1_PNSt15iterator_traitsIS13_E10value_typeET2_T3_PNS14_IS19_E10value_typeET4_jRbjT5_S1F_jjP12ihipStream_tbEUljE_ZNSN_ISO_Lb0ESR_SS_SU_SV_SZ_EES10_S11_S12_S13_S17_S18_S19_S1C_S1D_jS1E_jS1F_S1F_jjS1H_bEUljE0_EEES10_S11_S12_S19_S1D_S1F_T6_T7_T9_mT8_S1H_bDpT10_ENKUlT_T0_E_clISt17integral_constantIbLb0EES1U_IbLb1EEEEDaS1Q_S1R_EUlS1Q_E_NS1_11comp_targetILNS1_3genE5ELNS1_11target_archE942ELNS1_3gpuE9ELNS1_3repE0EEENS1_30default_config_static_selectorELNS0_4arch9wavefront6targetE0EEEvS13_.has_indirect_call, 0
	.section	.AMDGPU.csdata,"",@progbits
; Kernel info:
; codeLenInByte = 0
; TotalNumSgprs: 0
; NumVgprs: 0
; ScratchSize: 0
; MemoryBound: 0
; FloatMode: 240
; IeeeMode: 1
; LDSByteSize: 0 bytes/workgroup (compile time only)
; SGPRBlocks: 0
; VGPRBlocks: 0
; NumSGPRsForWavesPerEU: 1
; NumVGPRsForWavesPerEU: 1
; Occupancy: 16
; WaveLimiterHint : 0
; COMPUTE_PGM_RSRC2:SCRATCH_EN: 0
; COMPUTE_PGM_RSRC2:USER_SGPR: 2
; COMPUTE_PGM_RSRC2:TRAP_HANDLER: 0
; COMPUTE_PGM_RSRC2:TGID_X_EN: 1
; COMPUTE_PGM_RSRC2:TGID_Y_EN: 0
; COMPUTE_PGM_RSRC2:TGID_Z_EN: 0
; COMPUTE_PGM_RSRC2:TIDIG_COMP_CNT: 0
	.section	.text._ZN7rocprim17ROCPRIM_400000_NS6detail17trampoline_kernelINS0_13select_configILj256ELj13ELNS0_17block_load_methodE3ELS4_3ELS4_3ELNS0_20block_scan_algorithmE0ELj4294967295EEENS1_25partition_config_selectorILNS1_17partition_subalgoE4EjNS0_10empty_typeEbEEZZNS1_14partition_implILS8_4ELb0ES6_15HIP_vector_typeIjLj2EENS0_17counting_iteratorIjlEEPS9_SG_NS0_5tupleIJPjSI_NS0_16reverse_iteratorISI_EEEEENSH_IJSG_SG_SG_EEES9_SI_JZNS1_25segmented_radix_sort_implINS0_14default_configELb0EPK6__halfPSP_PKlPlN2at6native12_GLOBAL__N_18offset_tEEE10hipError_tPvRmT1_PNSt15iterator_traitsIS13_E10value_typeET2_T3_PNS14_IS19_E10value_typeET4_jRbjT5_S1F_jjP12ihipStream_tbEUljE_ZNSN_ISO_Lb0ESR_SS_SU_SV_SZ_EES10_S11_S12_S13_S17_S18_S19_S1C_S1D_jS1E_jS1F_S1F_jjS1H_bEUljE0_EEES10_S11_S12_S19_S1D_S1F_T6_T7_T9_mT8_S1H_bDpT10_ENKUlT_T0_E_clISt17integral_constantIbLb0EES1U_IbLb1EEEEDaS1Q_S1R_EUlS1Q_E_NS1_11comp_targetILNS1_3genE4ELNS1_11target_archE910ELNS1_3gpuE8ELNS1_3repE0EEENS1_30default_config_static_selectorELNS0_4arch9wavefront6targetE0EEEvS13_,"axG",@progbits,_ZN7rocprim17ROCPRIM_400000_NS6detail17trampoline_kernelINS0_13select_configILj256ELj13ELNS0_17block_load_methodE3ELS4_3ELS4_3ELNS0_20block_scan_algorithmE0ELj4294967295EEENS1_25partition_config_selectorILNS1_17partition_subalgoE4EjNS0_10empty_typeEbEEZZNS1_14partition_implILS8_4ELb0ES6_15HIP_vector_typeIjLj2EENS0_17counting_iteratorIjlEEPS9_SG_NS0_5tupleIJPjSI_NS0_16reverse_iteratorISI_EEEEENSH_IJSG_SG_SG_EEES9_SI_JZNS1_25segmented_radix_sort_implINS0_14default_configELb0EPK6__halfPSP_PKlPlN2at6native12_GLOBAL__N_18offset_tEEE10hipError_tPvRmT1_PNSt15iterator_traitsIS13_E10value_typeET2_T3_PNS14_IS19_E10value_typeET4_jRbjT5_S1F_jjP12ihipStream_tbEUljE_ZNSN_ISO_Lb0ESR_SS_SU_SV_SZ_EES10_S11_S12_S13_S17_S18_S19_S1C_S1D_jS1E_jS1F_S1F_jjS1H_bEUljE0_EEES10_S11_S12_S19_S1D_S1F_T6_T7_T9_mT8_S1H_bDpT10_ENKUlT_T0_E_clISt17integral_constantIbLb0EES1U_IbLb1EEEEDaS1Q_S1R_EUlS1Q_E_NS1_11comp_targetILNS1_3genE4ELNS1_11target_archE910ELNS1_3gpuE8ELNS1_3repE0EEENS1_30default_config_static_selectorELNS0_4arch9wavefront6targetE0EEEvS13_,comdat
	.globl	_ZN7rocprim17ROCPRIM_400000_NS6detail17trampoline_kernelINS0_13select_configILj256ELj13ELNS0_17block_load_methodE3ELS4_3ELS4_3ELNS0_20block_scan_algorithmE0ELj4294967295EEENS1_25partition_config_selectorILNS1_17partition_subalgoE4EjNS0_10empty_typeEbEEZZNS1_14partition_implILS8_4ELb0ES6_15HIP_vector_typeIjLj2EENS0_17counting_iteratorIjlEEPS9_SG_NS0_5tupleIJPjSI_NS0_16reverse_iteratorISI_EEEEENSH_IJSG_SG_SG_EEES9_SI_JZNS1_25segmented_radix_sort_implINS0_14default_configELb0EPK6__halfPSP_PKlPlN2at6native12_GLOBAL__N_18offset_tEEE10hipError_tPvRmT1_PNSt15iterator_traitsIS13_E10value_typeET2_T3_PNS14_IS19_E10value_typeET4_jRbjT5_S1F_jjP12ihipStream_tbEUljE_ZNSN_ISO_Lb0ESR_SS_SU_SV_SZ_EES10_S11_S12_S13_S17_S18_S19_S1C_S1D_jS1E_jS1F_S1F_jjS1H_bEUljE0_EEES10_S11_S12_S19_S1D_S1F_T6_T7_T9_mT8_S1H_bDpT10_ENKUlT_T0_E_clISt17integral_constantIbLb0EES1U_IbLb1EEEEDaS1Q_S1R_EUlS1Q_E_NS1_11comp_targetILNS1_3genE4ELNS1_11target_archE910ELNS1_3gpuE8ELNS1_3repE0EEENS1_30default_config_static_selectorELNS0_4arch9wavefront6targetE0EEEvS13_ ; -- Begin function _ZN7rocprim17ROCPRIM_400000_NS6detail17trampoline_kernelINS0_13select_configILj256ELj13ELNS0_17block_load_methodE3ELS4_3ELS4_3ELNS0_20block_scan_algorithmE0ELj4294967295EEENS1_25partition_config_selectorILNS1_17partition_subalgoE4EjNS0_10empty_typeEbEEZZNS1_14partition_implILS8_4ELb0ES6_15HIP_vector_typeIjLj2EENS0_17counting_iteratorIjlEEPS9_SG_NS0_5tupleIJPjSI_NS0_16reverse_iteratorISI_EEEEENSH_IJSG_SG_SG_EEES9_SI_JZNS1_25segmented_radix_sort_implINS0_14default_configELb0EPK6__halfPSP_PKlPlN2at6native12_GLOBAL__N_18offset_tEEE10hipError_tPvRmT1_PNSt15iterator_traitsIS13_E10value_typeET2_T3_PNS14_IS19_E10value_typeET4_jRbjT5_S1F_jjP12ihipStream_tbEUljE_ZNSN_ISO_Lb0ESR_SS_SU_SV_SZ_EES10_S11_S12_S13_S17_S18_S19_S1C_S1D_jS1E_jS1F_S1F_jjS1H_bEUljE0_EEES10_S11_S12_S19_S1D_S1F_T6_T7_T9_mT8_S1H_bDpT10_ENKUlT_T0_E_clISt17integral_constantIbLb0EES1U_IbLb1EEEEDaS1Q_S1R_EUlS1Q_E_NS1_11comp_targetILNS1_3genE4ELNS1_11target_archE910ELNS1_3gpuE8ELNS1_3repE0EEENS1_30default_config_static_selectorELNS0_4arch9wavefront6targetE0EEEvS13_
	.p2align	8
	.type	_ZN7rocprim17ROCPRIM_400000_NS6detail17trampoline_kernelINS0_13select_configILj256ELj13ELNS0_17block_load_methodE3ELS4_3ELS4_3ELNS0_20block_scan_algorithmE0ELj4294967295EEENS1_25partition_config_selectorILNS1_17partition_subalgoE4EjNS0_10empty_typeEbEEZZNS1_14partition_implILS8_4ELb0ES6_15HIP_vector_typeIjLj2EENS0_17counting_iteratorIjlEEPS9_SG_NS0_5tupleIJPjSI_NS0_16reverse_iteratorISI_EEEEENSH_IJSG_SG_SG_EEES9_SI_JZNS1_25segmented_radix_sort_implINS0_14default_configELb0EPK6__halfPSP_PKlPlN2at6native12_GLOBAL__N_18offset_tEEE10hipError_tPvRmT1_PNSt15iterator_traitsIS13_E10value_typeET2_T3_PNS14_IS19_E10value_typeET4_jRbjT5_S1F_jjP12ihipStream_tbEUljE_ZNSN_ISO_Lb0ESR_SS_SU_SV_SZ_EES10_S11_S12_S13_S17_S18_S19_S1C_S1D_jS1E_jS1F_S1F_jjS1H_bEUljE0_EEES10_S11_S12_S19_S1D_S1F_T6_T7_T9_mT8_S1H_bDpT10_ENKUlT_T0_E_clISt17integral_constantIbLb0EES1U_IbLb1EEEEDaS1Q_S1R_EUlS1Q_E_NS1_11comp_targetILNS1_3genE4ELNS1_11target_archE910ELNS1_3gpuE8ELNS1_3repE0EEENS1_30default_config_static_selectorELNS0_4arch9wavefront6targetE0EEEvS13_,@function
_ZN7rocprim17ROCPRIM_400000_NS6detail17trampoline_kernelINS0_13select_configILj256ELj13ELNS0_17block_load_methodE3ELS4_3ELS4_3ELNS0_20block_scan_algorithmE0ELj4294967295EEENS1_25partition_config_selectorILNS1_17partition_subalgoE4EjNS0_10empty_typeEbEEZZNS1_14partition_implILS8_4ELb0ES6_15HIP_vector_typeIjLj2EENS0_17counting_iteratorIjlEEPS9_SG_NS0_5tupleIJPjSI_NS0_16reverse_iteratorISI_EEEEENSH_IJSG_SG_SG_EEES9_SI_JZNS1_25segmented_radix_sort_implINS0_14default_configELb0EPK6__halfPSP_PKlPlN2at6native12_GLOBAL__N_18offset_tEEE10hipError_tPvRmT1_PNSt15iterator_traitsIS13_E10value_typeET2_T3_PNS14_IS19_E10value_typeET4_jRbjT5_S1F_jjP12ihipStream_tbEUljE_ZNSN_ISO_Lb0ESR_SS_SU_SV_SZ_EES10_S11_S12_S13_S17_S18_S19_S1C_S1D_jS1E_jS1F_S1F_jjS1H_bEUljE0_EEES10_S11_S12_S19_S1D_S1F_T6_T7_T9_mT8_S1H_bDpT10_ENKUlT_T0_E_clISt17integral_constantIbLb0EES1U_IbLb1EEEEDaS1Q_S1R_EUlS1Q_E_NS1_11comp_targetILNS1_3genE4ELNS1_11target_archE910ELNS1_3gpuE8ELNS1_3repE0EEENS1_30default_config_static_selectorELNS0_4arch9wavefront6targetE0EEEvS13_: ; @_ZN7rocprim17ROCPRIM_400000_NS6detail17trampoline_kernelINS0_13select_configILj256ELj13ELNS0_17block_load_methodE3ELS4_3ELS4_3ELNS0_20block_scan_algorithmE0ELj4294967295EEENS1_25partition_config_selectorILNS1_17partition_subalgoE4EjNS0_10empty_typeEbEEZZNS1_14partition_implILS8_4ELb0ES6_15HIP_vector_typeIjLj2EENS0_17counting_iteratorIjlEEPS9_SG_NS0_5tupleIJPjSI_NS0_16reverse_iteratorISI_EEEEENSH_IJSG_SG_SG_EEES9_SI_JZNS1_25segmented_radix_sort_implINS0_14default_configELb0EPK6__halfPSP_PKlPlN2at6native12_GLOBAL__N_18offset_tEEE10hipError_tPvRmT1_PNSt15iterator_traitsIS13_E10value_typeET2_T3_PNS14_IS19_E10value_typeET4_jRbjT5_S1F_jjP12ihipStream_tbEUljE_ZNSN_ISO_Lb0ESR_SS_SU_SV_SZ_EES10_S11_S12_S13_S17_S18_S19_S1C_S1D_jS1E_jS1F_S1F_jjS1H_bEUljE0_EEES10_S11_S12_S19_S1D_S1F_T6_T7_T9_mT8_S1H_bDpT10_ENKUlT_T0_E_clISt17integral_constantIbLb0EES1U_IbLb1EEEEDaS1Q_S1R_EUlS1Q_E_NS1_11comp_targetILNS1_3genE4ELNS1_11target_archE910ELNS1_3gpuE8ELNS1_3repE0EEENS1_30default_config_static_selectorELNS0_4arch9wavefront6targetE0EEEvS13_
; %bb.0:
	.section	.rodata,"a",@progbits
	.p2align	6, 0x0
	.amdhsa_kernel _ZN7rocprim17ROCPRIM_400000_NS6detail17trampoline_kernelINS0_13select_configILj256ELj13ELNS0_17block_load_methodE3ELS4_3ELS4_3ELNS0_20block_scan_algorithmE0ELj4294967295EEENS1_25partition_config_selectorILNS1_17partition_subalgoE4EjNS0_10empty_typeEbEEZZNS1_14partition_implILS8_4ELb0ES6_15HIP_vector_typeIjLj2EENS0_17counting_iteratorIjlEEPS9_SG_NS0_5tupleIJPjSI_NS0_16reverse_iteratorISI_EEEEENSH_IJSG_SG_SG_EEES9_SI_JZNS1_25segmented_radix_sort_implINS0_14default_configELb0EPK6__halfPSP_PKlPlN2at6native12_GLOBAL__N_18offset_tEEE10hipError_tPvRmT1_PNSt15iterator_traitsIS13_E10value_typeET2_T3_PNS14_IS19_E10value_typeET4_jRbjT5_S1F_jjP12ihipStream_tbEUljE_ZNSN_ISO_Lb0ESR_SS_SU_SV_SZ_EES10_S11_S12_S13_S17_S18_S19_S1C_S1D_jS1E_jS1F_S1F_jjS1H_bEUljE0_EEES10_S11_S12_S19_S1D_S1F_T6_T7_T9_mT8_S1H_bDpT10_ENKUlT_T0_E_clISt17integral_constantIbLb0EES1U_IbLb1EEEEDaS1Q_S1R_EUlS1Q_E_NS1_11comp_targetILNS1_3genE4ELNS1_11target_archE910ELNS1_3gpuE8ELNS1_3repE0EEENS1_30default_config_static_selectorELNS0_4arch9wavefront6targetE0EEEvS13_
		.amdhsa_group_segment_fixed_size 0
		.amdhsa_private_segment_fixed_size 0
		.amdhsa_kernarg_size 184
		.amdhsa_user_sgpr_count 2
		.amdhsa_user_sgpr_dispatch_ptr 0
		.amdhsa_user_sgpr_queue_ptr 0
		.amdhsa_user_sgpr_kernarg_segment_ptr 1
		.amdhsa_user_sgpr_dispatch_id 0
		.amdhsa_user_sgpr_private_segment_size 0
		.amdhsa_wavefront_size32 1
		.amdhsa_uses_dynamic_stack 0
		.amdhsa_enable_private_segment 0
		.amdhsa_system_sgpr_workgroup_id_x 1
		.amdhsa_system_sgpr_workgroup_id_y 0
		.amdhsa_system_sgpr_workgroup_id_z 0
		.amdhsa_system_sgpr_workgroup_info 0
		.amdhsa_system_vgpr_workitem_id 0
		.amdhsa_next_free_vgpr 1
		.amdhsa_next_free_sgpr 1
		.amdhsa_reserve_vcc 0
		.amdhsa_float_round_mode_32 0
		.amdhsa_float_round_mode_16_64 0
		.amdhsa_float_denorm_mode_32 3
		.amdhsa_float_denorm_mode_16_64 3
		.amdhsa_fp16_overflow 0
		.amdhsa_workgroup_processor_mode 1
		.amdhsa_memory_ordered 1
		.amdhsa_forward_progress 1
		.amdhsa_inst_pref_size 0
		.amdhsa_round_robin_scheduling 0
		.amdhsa_exception_fp_ieee_invalid_op 0
		.amdhsa_exception_fp_denorm_src 0
		.amdhsa_exception_fp_ieee_div_zero 0
		.amdhsa_exception_fp_ieee_overflow 0
		.amdhsa_exception_fp_ieee_underflow 0
		.amdhsa_exception_fp_ieee_inexact 0
		.amdhsa_exception_int_div_zero 0
	.end_amdhsa_kernel
	.section	.text._ZN7rocprim17ROCPRIM_400000_NS6detail17trampoline_kernelINS0_13select_configILj256ELj13ELNS0_17block_load_methodE3ELS4_3ELS4_3ELNS0_20block_scan_algorithmE0ELj4294967295EEENS1_25partition_config_selectorILNS1_17partition_subalgoE4EjNS0_10empty_typeEbEEZZNS1_14partition_implILS8_4ELb0ES6_15HIP_vector_typeIjLj2EENS0_17counting_iteratorIjlEEPS9_SG_NS0_5tupleIJPjSI_NS0_16reverse_iteratorISI_EEEEENSH_IJSG_SG_SG_EEES9_SI_JZNS1_25segmented_radix_sort_implINS0_14default_configELb0EPK6__halfPSP_PKlPlN2at6native12_GLOBAL__N_18offset_tEEE10hipError_tPvRmT1_PNSt15iterator_traitsIS13_E10value_typeET2_T3_PNS14_IS19_E10value_typeET4_jRbjT5_S1F_jjP12ihipStream_tbEUljE_ZNSN_ISO_Lb0ESR_SS_SU_SV_SZ_EES10_S11_S12_S13_S17_S18_S19_S1C_S1D_jS1E_jS1F_S1F_jjS1H_bEUljE0_EEES10_S11_S12_S19_S1D_S1F_T6_T7_T9_mT8_S1H_bDpT10_ENKUlT_T0_E_clISt17integral_constantIbLb0EES1U_IbLb1EEEEDaS1Q_S1R_EUlS1Q_E_NS1_11comp_targetILNS1_3genE4ELNS1_11target_archE910ELNS1_3gpuE8ELNS1_3repE0EEENS1_30default_config_static_selectorELNS0_4arch9wavefront6targetE0EEEvS13_,"axG",@progbits,_ZN7rocprim17ROCPRIM_400000_NS6detail17trampoline_kernelINS0_13select_configILj256ELj13ELNS0_17block_load_methodE3ELS4_3ELS4_3ELNS0_20block_scan_algorithmE0ELj4294967295EEENS1_25partition_config_selectorILNS1_17partition_subalgoE4EjNS0_10empty_typeEbEEZZNS1_14partition_implILS8_4ELb0ES6_15HIP_vector_typeIjLj2EENS0_17counting_iteratorIjlEEPS9_SG_NS0_5tupleIJPjSI_NS0_16reverse_iteratorISI_EEEEENSH_IJSG_SG_SG_EEES9_SI_JZNS1_25segmented_radix_sort_implINS0_14default_configELb0EPK6__halfPSP_PKlPlN2at6native12_GLOBAL__N_18offset_tEEE10hipError_tPvRmT1_PNSt15iterator_traitsIS13_E10value_typeET2_T3_PNS14_IS19_E10value_typeET4_jRbjT5_S1F_jjP12ihipStream_tbEUljE_ZNSN_ISO_Lb0ESR_SS_SU_SV_SZ_EES10_S11_S12_S13_S17_S18_S19_S1C_S1D_jS1E_jS1F_S1F_jjS1H_bEUljE0_EEES10_S11_S12_S19_S1D_S1F_T6_T7_T9_mT8_S1H_bDpT10_ENKUlT_T0_E_clISt17integral_constantIbLb0EES1U_IbLb1EEEEDaS1Q_S1R_EUlS1Q_E_NS1_11comp_targetILNS1_3genE4ELNS1_11target_archE910ELNS1_3gpuE8ELNS1_3repE0EEENS1_30default_config_static_selectorELNS0_4arch9wavefront6targetE0EEEvS13_,comdat
.Lfunc_end1804:
	.size	_ZN7rocprim17ROCPRIM_400000_NS6detail17trampoline_kernelINS0_13select_configILj256ELj13ELNS0_17block_load_methodE3ELS4_3ELS4_3ELNS0_20block_scan_algorithmE0ELj4294967295EEENS1_25partition_config_selectorILNS1_17partition_subalgoE4EjNS0_10empty_typeEbEEZZNS1_14partition_implILS8_4ELb0ES6_15HIP_vector_typeIjLj2EENS0_17counting_iteratorIjlEEPS9_SG_NS0_5tupleIJPjSI_NS0_16reverse_iteratorISI_EEEEENSH_IJSG_SG_SG_EEES9_SI_JZNS1_25segmented_radix_sort_implINS0_14default_configELb0EPK6__halfPSP_PKlPlN2at6native12_GLOBAL__N_18offset_tEEE10hipError_tPvRmT1_PNSt15iterator_traitsIS13_E10value_typeET2_T3_PNS14_IS19_E10value_typeET4_jRbjT5_S1F_jjP12ihipStream_tbEUljE_ZNSN_ISO_Lb0ESR_SS_SU_SV_SZ_EES10_S11_S12_S13_S17_S18_S19_S1C_S1D_jS1E_jS1F_S1F_jjS1H_bEUljE0_EEES10_S11_S12_S19_S1D_S1F_T6_T7_T9_mT8_S1H_bDpT10_ENKUlT_T0_E_clISt17integral_constantIbLb0EES1U_IbLb1EEEEDaS1Q_S1R_EUlS1Q_E_NS1_11comp_targetILNS1_3genE4ELNS1_11target_archE910ELNS1_3gpuE8ELNS1_3repE0EEENS1_30default_config_static_selectorELNS0_4arch9wavefront6targetE0EEEvS13_, .Lfunc_end1804-_ZN7rocprim17ROCPRIM_400000_NS6detail17trampoline_kernelINS0_13select_configILj256ELj13ELNS0_17block_load_methodE3ELS4_3ELS4_3ELNS0_20block_scan_algorithmE0ELj4294967295EEENS1_25partition_config_selectorILNS1_17partition_subalgoE4EjNS0_10empty_typeEbEEZZNS1_14partition_implILS8_4ELb0ES6_15HIP_vector_typeIjLj2EENS0_17counting_iteratorIjlEEPS9_SG_NS0_5tupleIJPjSI_NS0_16reverse_iteratorISI_EEEEENSH_IJSG_SG_SG_EEES9_SI_JZNS1_25segmented_radix_sort_implINS0_14default_configELb0EPK6__halfPSP_PKlPlN2at6native12_GLOBAL__N_18offset_tEEE10hipError_tPvRmT1_PNSt15iterator_traitsIS13_E10value_typeET2_T3_PNS14_IS19_E10value_typeET4_jRbjT5_S1F_jjP12ihipStream_tbEUljE_ZNSN_ISO_Lb0ESR_SS_SU_SV_SZ_EES10_S11_S12_S13_S17_S18_S19_S1C_S1D_jS1E_jS1F_S1F_jjS1H_bEUljE0_EEES10_S11_S12_S19_S1D_S1F_T6_T7_T9_mT8_S1H_bDpT10_ENKUlT_T0_E_clISt17integral_constantIbLb0EES1U_IbLb1EEEEDaS1Q_S1R_EUlS1Q_E_NS1_11comp_targetILNS1_3genE4ELNS1_11target_archE910ELNS1_3gpuE8ELNS1_3repE0EEENS1_30default_config_static_selectorELNS0_4arch9wavefront6targetE0EEEvS13_
                                        ; -- End function
	.set _ZN7rocprim17ROCPRIM_400000_NS6detail17trampoline_kernelINS0_13select_configILj256ELj13ELNS0_17block_load_methodE3ELS4_3ELS4_3ELNS0_20block_scan_algorithmE0ELj4294967295EEENS1_25partition_config_selectorILNS1_17partition_subalgoE4EjNS0_10empty_typeEbEEZZNS1_14partition_implILS8_4ELb0ES6_15HIP_vector_typeIjLj2EENS0_17counting_iteratorIjlEEPS9_SG_NS0_5tupleIJPjSI_NS0_16reverse_iteratorISI_EEEEENSH_IJSG_SG_SG_EEES9_SI_JZNS1_25segmented_radix_sort_implINS0_14default_configELb0EPK6__halfPSP_PKlPlN2at6native12_GLOBAL__N_18offset_tEEE10hipError_tPvRmT1_PNSt15iterator_traitsIS13_E10value_typeET2_T3_PNS14_IS19_E10value_typeET4_jRbjT5_S1F_jjP12ihipStream_tbEUljE_ZNSN_ISO_Lb0ESR_SS_SU_SV_SZ_EES10_S11_S12_S13_S17_S18_S19_S1C_S1D_jS1E_jS1F_S1F_jjS1H_bEUljE0_EEES10_S11_S12_S19_S1D_S1F_T6_T7_T9_mT8_S1H_bDpT10_ENKUlT_T0_E_clISt17integral_constantIbLb0EES1U_IbLb1EEEEDaS1Q_S1R_EUlS1Q_E_NS1_11comp_targetILNS1_3genE4ELNS1_11target_archE910ELNS1_3gpuE8ELNS1_3repE0EEENS1_30default_config_static_selectorELNS0_4arch9wavefront6targetE0EEEvS13_.num_vgpr, 0
	.set _ZN7rocprim17ROCPRIM_400000_NS6detail17trampoline_kernelINS0_13select_configILj256ELj13ELNS0_17block_load_methodE3ELS4_3ELS4_3ELNS0_20block_scan_algorithmE0ELj4294967295EEENS1_25partition_config_selectorILNS1_17partition_subalgoE4EjNS0_10empty_typeEbEEZZNS1_14partition_implILS8_4ELb0ES6_15HIP_vector_typeIjLj2EENS0_17counting_iteratorIjlEEPS9_SG_NS0_5tupleIJPjSI_NS0_16reverse_iteratorISI_EEEEENSH_IJSG_SG_SG_EEES9_SI_JZNS1_25segmented_radix_sort_implINS0_14default_configELb0EPK6__halfPSP_PKlPlN2at6native12_GLOBAL__N_18offset_tEEE10hipError_tPvRmT1_PNSt15iterator_traitsIS13_E10value_typeET2_T3_PNS14_IS19_E10value_typeET4_jRbjT5_S1F_jjP12ihipStream_tbEUljE_ZNSN_ISO_Lb0ESR_SS_SU_SV_SZ_EES10_S11_S12_S13_S17_S18_S19_S1C_S1D_jS1E_jS1F_S1F_jjS1H_bEUljE0_EEES10_S11_S12_S19_S1D_S1F_T6_T7_T9_mT8_S1H_bDpT10_ENKUlT_T0_E_clISt17integral_constantIbLb0EES1U_IbLb1EEEEDaS1Q_S1R_EUlS1Q_E_NS1_11comp_targetILNS1_3genE4ELNS1_11target_archE910ELNS1_3gpuE8ELNS1_3repE0EEENS1_30default_config_static_selectorELNS0_4arch9wavefront6targetE0EEEvS13_.num_agpr, 0
	.set _ZN7rocprim17ROCPRIM_400000_NS6detail17trampoline_kernelINS0_13select_configILj256ELj13ELNS0_17block_load_methodE3ELS4_3ELS4_3ELNS0_20block_scan_algorithmE0ELj4294967295EEENS1_25partition_config_selectorILNS1_17partition_subalgoE4EjNS0_10empty_typeEbEEZZNS1_14partition_implILS8_4ELb0ES6_15HIP_vector_typeIjLj2EENS0_17counting_iteratorIjlEEPS9_SG_NS0_5tupleIJPjSI_NS0_16reverse_iteratorISI_EEEEENSH_IJSG_SG_SG_EEES9_SI_JZNS1_25segmented_radix_sort_implINS0_14default_configELb0EPK6__halfPSP_PKlPlN2at6native12_GLOBAL__N_18offset_tEEE10hipError_tPvRmT1_PNSt15iterator_traitsIS13_E10value_typeET2_T3_PNS14_IS19_E10value_typeET4_jRbjT5_S1F_jjP12ihipStream_tbEUljE_ZNSN_ISO_Lb0ESR_SS_SU_SV_SZ_EES10_S11_S12_S13_S17_S18_S19_S1C_S1D_jS1E_jS1F_S1F_jjS1H_bEUljE0_EEES10_S11_S12_S19_S1D_S1F_T6_T7_T9_mT8_S1H_bDpT10_ENKUlT_T0_E_clISt17integral_constantIbLb0EES1U_IbLb1EEEEDaS1Q_S1R_EUlS1Q_E_NS1_11comp_targetILNS1_3genE4ELNS1_11target_archE910ELNS1_3gpuE8ELNS1_3repE0EEENS1_30default_config_static_selectorELNS0_4arch9wavefront6targetE0EEEvS13_.numbered_sgpr, 0
	.set _ZN7rocprim17ROCPRIM_400000_NS6detail17trampoline_kernelINS0_13select_configILj256ELj13ELNS0_17block_load_methodE3ELS4_3ELS4_3ELNS0_20block_scan_algorithmE0ELj4294967295EEENS1_25partition_config_selectorILNS1_17partition_subalgoE4EjNS0_10empty_typeEbEEZZNS1_14partition_implILS8_4ELb0ES6_15HIP_vector_typeIjLj2EENS0_17counting_iteratorIjlEEPS9_SG_NS0_5tupleIJPjSI_NS0_16reverse_iteratorISI_EEEEENSH_IJSG_SG_SG_EEES9_SI_JZNS1_25segmented_radix_sort_implINS0_14default_configELb0EPK6__halfPSP_PKlPlN2at6native12_GLOBAL__N_18offset_tEEE10hipError_tPvRmT1_PNSt15iterator_traitsIS13_E10value_typeET2_T3_PNS14_IS19_E10value_typeET4_jRbjT5_S1F_jjP12ihipStream_tbEUljE_ZNSN_ISO_Lb0ESR_SS_SU_SV_SZ_EES10_S11_S12_S13_S17_S18_S19_S1C_S1D_jS1E_jS1F_S1F_jjS1H_bEUljE0_EEES10_S11_S12_S19_S1D_S1F_T6_T7_T9_mT8_S1H_bDpT10_ENKUlT_T0_E_clISt17integral_constantIbLb0EES1U_IbLb1EEEEDaS1Q_S1R_EUlS1Q_E_NS1_11comp_targetILNS1_3genE4ELNS1_11target_archE910ELNS1_3gpuE8ELNS1_3repE0EEENS1_30default_config_static_selectorELNS0_4arch9wavefront6targetE0EEEvS13_.num_named_barrier, 0
	.set _ZN7rocprim17ROCPRIM_400000_NS6detail17trampoline_kernelINS0_13select_configILj256ELj13ELNS0_17block_load_methodE3ELS4_3ELS4_3ELNS0_20block_scan_algorithmE0ELj4294967295EEENS1_25partition_config_selectorILNS1_17partition_subalgoE4EjNS0_10empty_typeEbEEZZNS1_14partition_implILS8_4ELb0ES6_15HIP_vector_typeIjLj2EENS0_17counting_iteratorIjlEEPS9_SG_NS0_5tupleIJPjSI_NS0_16reverse_iteratorISI_EEEEENSH_IJSG_SG_SG_EEES9_SI_JZNS1_25segmented_radix_sort_implINS0_14default_configELb0EPK6__halfPSP_PKlPlN2at6native12_GLOBAL__N_18offset_tEEE10hipError_tPvRmT1_PNSt15iterator_traitsIS13_E10value_typeET2_T3_PNS14_IS19_E10value_typeET4_jRbjT5_S1F_jjP12ihipStream_tbEUljE_ZNSN_ISO_Lb0ESR_SS_SU_SV_SZ_EES10_S11_S12_S13_S17_S18_S19_S1C_S1D_jS1E_jS1F_S1F_jjS1H_bEUljE0_EEES10_S11_S12_S19_S1D_S1F_T6_T7_T9_mT8_S1H_bDpT10_ENKUlT_T0_E_clISt17integral_constantIbLb0EES1U_IbLb1EEEEDaS1Q_S1R_EUlS1Q_E_NS1_11comp_targetILNS1_3genE4ELNS1_11target_archE910ELNS1_3gpuE8ELNS1_3repE0EEENS1_30default_config_static_selectorELNS0_4arch9wavefront6targetE0EEEvS13_.private_seg_size, 0
	.set _ZN7rocprim17ROCPRIM_400000_NS6detail17trampoline_kernelINS0_13select_configILj256ELj13ELNS0_17block_load_methodE3ELS4_3ELS4_3ELNS0_20block_scan_algorithmE0ELj4294967295EEENS1_25partition_config_selectorILNS1_17partition_subalgoE4EjNS0_10empty_typeEbEEZZNS1_14partition_implILS8_4ELb0ES6_15HIP_vector_typeIjLj2EENS0_17counting_iteratorIjlEEPS9_SG_NS0_5tupleIJPjSI_NS0_16reverse_iteratorISI_EEEEENSH_IJSG_SG_SG_EEES9_SI_JZNS1_25segmented_radix_sort_implINS0_14default_configELb0EPK6__halfPSP_PKlPlN2at6native12_GLOBAL__N_18offset_tEEE10hipError_tPvRmT1_PNSt15iterator_traitsIS13_E10value_typeET2_T3_PNS14_IS19_E10value_typeET4_jRbjT5_S1F_jjP12ihipStream_tbEUljE_ZNSN_ISO_Lb0ESR_SS_SU_SV_SZ_EES10_S11_S12_S13_S17_S18_S19_S1C_S1D_jS1E_jS1F_S1F_jjS1H_bEUljE0_EEES10_S11_S12_S19_S1D_S1F_T6_T7_T9_mT8_S1H_bDpT10_ENKUlT_T0_E_clISt17integral_constantIbLb0EES1U_IbLb1EEEEDaS1Q_S1R_EUlS1Q_E_NS1_11comp_targetILNS1_3genE4ELNS1_11target_archE910ELNS1_3gpuE8ELNS1_3repE0EEENS1_30default_config_static_selectorELNS0_4arch9wavefront6targetE0EEEvS13_.uses_vcc, 0
	.set _ZN7rocprim17ROCPRIM_400000_NS6detail17trampoline_kernelINS0_13select_configILj256ELj13ELNS0_17block_load_methodE3ELS4_3ELS4_3ELNS0_20block_scan_algorithmE0ELj4294967295EEENS1_25partition_config_selectorILNS1_17partition_subalgoE4EjNS0_10empty_typeEbEEZZNS1_14partition_implILS8_4ELb0ES6_15HIP_vector_typeIjLj2EENS0_17counting_iteratorIjlEEPS9_SG_NS0_5tupleIJPjSI_NS0_16reverse_iteratorISI_EEEEENSH_IJSG_SG_SG_EEES9_SI_JZNS1_25segmented_radix_sort_implINS0_14default_configELb0EPK6__halfPSP_PKlPlN2at6native12_GLOBAL__N_18offset_tEEE10hipError_tPvRmT1_PNSt15iterator_traitsIS13_E10value_typeET2_T3_PNS14_IS19_E10value_typeET4_jRbjT5_S1F_jjP12ihipStream_tbEUljE_ZNSN_ISO_Lb0ESR_SS_SU_SV_SZ_EES10_S11_S12_S13_S17_S18_S19_S1C_S1D_jS1E_jS1F_S1F_jjS1H_bEUljE0_EEES10_S11_S12_S19_S1D_S1F_T6_T7_T9_mT8_S1H_bDpT10_ENKUlT_T0_E_clISt17integral_constantIbLb0EES1U_IbLb1EEEEDaS1Q_S1R_EUlS1Q_E_NS1_11comp_targetILNS1_3genE4ELNS1_11target_archE910ELNS1_3gpuE8ELNS1_3repE0EEENS1_30default_config_static_selectorELNS0_4arch9wavefront6targetE0EEEvS13_.uses_flat_scratch, 0
	.set _ZN7rocprim17ROCPRIM_400000_NS6detail17trampoline_kernelINS0_13select_configILj256ELj13ELNS0_17block_load_methodE3ELS4_3ELS4_3ELNS0_20block_scan_algorithmE0ELj4294967295EEENS1_25partition_config_selectorILNS1_17partition_subalgoE4EjNS0_10empty_typeEbEEZZNS1_14partition_implILS8_4ELb0ES6_15HIP_vector_typeIjLj2EENS0_17counting_iteratorIjlEEPS9_SG_NS0_5tupleIJPjSI_NS0_16reverse_iteratorISI_EEEEENSH_IJSG_SG_SG_EEES9_SI_JZNS1_25segmented_radix_sort_implINS0_14default_configELb0EPK6__halfPSP_PKlPlN2at6native12_GLOBAL__N_18offset_tEEE10hipError_tPvRmT1_PNSt15iterator_traitsIS13_E10value_typeET2_T3_PNS14_IS19_E10value_typeET4_jRbjT5_S1F_jjP12ihipStream_tbEUljE_ZNSN_ISO_Lb0ESR_SS_SU_SV_SZ_EES10_S11_S12_S13_S17_S18_S19_S1C_S1D_jS1E_jS1F_S1F_jjS1H_bEUljE0_EEES10_S11_S12_S19_S1D_S1F_T6_T7_T9_mT8_S1H_bDpT10_ENKUlT_T0_E_clISt17integral_constantIbLb0EES1U_IbLb1EEEEDaS1Q_S1R_EUlS1Q_E_NS1_11comp_targetILNS1_3genE4ELNS1_11target_archE910ELNS1_3gpuE8ELNS1_3repE0EEENS1_30default_config_static_selectorELNS0_4arch9wavefront6targetE0EEEvS13_.has_dyn_sized_stack, 0
	.set _ZN7rocprim17ROCPRIM_400000_NS6detail17trampoline_kernelINS0_13select_configILj256ELj13ELNS0_17block_load_methodE3ELS4_3ELS4_3ELNS0_20block_scan_algorithmE0ELj4294967295EEENS1_25partition_config_selectorILNS1_17partition_subalgoE4EjNS0_10empty_typeEbEEZZNS1_14partition_implILS8_4ELb0ES6_15HIP_vector_typeIjLj2EENS0_17counting_iteratorIjlEEPS9_SG_NS0_5tupleIJPjSI_NS0_16reverse_iteratorISI_EEEEENSH_IJSG_SG_SG_EEES9_SI_JZNS1_25segmented_radix_sort_implINS0_14default_configELb0EPK6__halfPSP_PKlPlN2at6native12_GLOBAL__N_18offset_tEEE10hipError_tPvRmT1_PNSt15iterator_traitsIS13_E10value_typeET2_T3_PNS14_IS19_E10value_typeET4_jRbjT5_S1F_jjP12ihipStream_tbEUljE_ZNSN_ISO_Lb0ESR_SS_SU_SV_SZ_EES10_S11_S12_S13_S17_S18_S19_S1C_S1D_jS1E_jS1F_S1F_jjS1H_bEUljE0_EEES10_S11_S12_S19_S1D_S1F_T6_T7_T9_mT8_S1H_bDpT10_ENKUlT_T0_E_clISt17integral_constantIbLb0EES1U_IbLb1EEEEDaS1Q_S1R_EUlS1Q_E_NS1_11comp_targetILNS1_3genE4ELNS1_11target_archE910ELNS1_3gpuE8ELNS1_3repE0EEENS1_30default_config_static_selectorELNS0_4arch9wavefront6targetE0EEEvS13_.has_recursion, 0
	.set _ZN7rocprim17ROCPRIM_400000_NS6detail17trampoline_kernelINS0_13select_configILj256ELj13ELNS0_17block_load_methodE3ELS4_3ELS4_3ELNS0_20block_scan_algorithmE0ELj4294967295EEENS1_25partition_config_selectorILNS1_17partition_subalgoE4EjNS0_10empty_typeEbEEZZNS1_14partition_implILS8_4ELb0ES6_15HIP_vector_typeIjLj2EENS0_17counting_iteratorIjlEEPS9_SG_NS0_5tupleIJPjSI_NS0_16reverse_iteratorISI_EEEEENSH_IJSG_SG_SG_EEES9_SI_JZNS1_25segmented_radix_sort_implINS0_14default_configELb0EPK6__halfPSP_PKlPlN2at6native12_GLOBAL__N_18offset_tEEE10hipError_tPvRmT1_PNSt15iterator_traitsIS13_E10value_typeET2_T3_PNS14_IS19_E10value_typeET4_jRbjT5_S1F_jjP12ihipStream_tbEUljE_ZNSN_ISO_Lb0ESR_SS_SU_SV_SZ_EES10_S11_S12_S13_S17_S18_S19_S1C_S1D_jS1E_jS1F_S1F_jjS1H_bEUljE0_EEES10_S11_S12_S19_S1D_S1F_T6_T7_T9_mT8_S1H_bDpT10_ENKUlT_T0_E_clISt17integral_constantIbLb0EES1U_IbLb1EEEEDaS1Q_S1R_EUlS1Q_E_NS1_11comp_targetILNS1_3genE4ELNS1_11target_archE910ELNS1_3gpuE8ELNS1_3repE0EEENS1_30default_config_static_selectorELNS0_4arch9wavefront6targetE0EEEvS13_.has_indirect_call, 0
	.section	.AMDGPU.csdata,"",@progbits
; Kernel info:
; codeLenInByte = 0
; TotalNumSgprs: 0
; NumVgprs: 0
; ScratchSize: 0
; MemoryBound: 0
; FloatMode: 240
; IeeeMode: 1
; LDSByteSize: 0 bytes/workgroup (compile time only)
; SGPRBlocks: 0
; VGPRBlocks: 0
; NumSGPRsForWavesPerEU: 1
; NumVGPRsForWavesPerEU: 1
; Occupancy: 16
; WaveLimiterHint : 0
; COMPUTE_PGM_RSRC2:SCRATCH_EN: 0
; COMPUTE_PGM_RSRC2:USER_SGPR: 2
; COMPUTE_PGM_RSRC2:TRAP_HANDLER: 0
; COMPUTE_PGM_RSRC2:TGID_X_EN: 1
; COMPUTE_PGM_RSRC2:TGID_Y_EN: 0
; COMPUTE_PGM_RSRC2:TGID_Z_EN: 0
; COMPUTE_PGM_RSRC2:TIDIG_COMP_CNT: 0
	.section	.text._ZN7rocprim17ROCPRIM_400000_NS6detail17trampoline_kernelINS0_13select_configILj256ELj13ELNS0_17block_load_methodE3ELS4_3ELS4_3ELNS0_20block_scan_algorithmE0ELj4294967295EEENS1_25partition_config_selectorILNS1_17partition_subalgoE4EjNS0_10empty_typeEbEEZZNS1_14partition_implILS8_4ELb0ES6_15HIP_vector_typeIjLj2EENS0_17counting_iteratorIjlEEPS9_SG_NS0_5tupleIJPjSI_NS0_16reverse_iteratorISI_EEEEENSH_IJSG_SG_SG_EEES9_SI_JZNS1_25segmented_radix_sort_implINS0_14default_configELb0EPK6__halfPSP_PKlPlN2at6native12_GLOBAL__N_18offset_tEEE10hipError_tPvRmT1_PNSt15iterator_traitsIS13_E10value_typeET2_T3_PNS14_IS19_E10value_typeET4_jRbjT5_S1F_jjP12ihipStream_tbEUljE_ZNSN_ISO_Lb0ESR_SS_SU_SV_SZ_EES10_S11_S12_S13_S17_S18_S19_S1C_S1D_jS1E_jS1F_S1F_jjS1H_bEUljE0_EEES10_S11_S12_S19_S1D_S1F_T6_T7_T9_mT8_S1H_bDpT10_ENKUlT_T0_E_clISt17integral_constantIbLb0EES1U_IbLb1EEEEDaS1Q_S1R_EUlS1Q_E_NS1_11comp_targetILNS1_3genE3ELNS1_11target_archE908ELNS1_3gpuE7ELNS1_3repE0EEENS1_30default_config_static_selectorELNS0_4arch9wavefront6targetE0EEEvS13_,"axG",@progbits,_ZN7rocprim17ROCPRIM_400000_NS6detail17trampoline_kernelINS0_13select_configILj256ELj13ELNS0_17block_load_methodE3ELS4_3ELS4_3ELNS0_20block_scan_algorithmE0ELj4294967295EEENS1_25partition_config_selectorILNS1_17partition_subalgoE4EjNS0_10empty_typeEbEEZZNS1_14partition_implILS8_4ELb0ES6_15HIP_vector_typeIjLj2EENS0_17counting_iteratorIjlEEPS9_SG_NS0_5tupleIJPjSI_NS0_16reverse_iteratorISI_EEEEENSH_IJSG_SG_SG_EEES9_SI_JZNS1_25segmented_radix_sort_implINS0_14default_configELb0EPK6__halfPSP_PKlPlN2at6native12_GLOBAL__N_18offset_tEEE10hipError_tPvRmT1_PNSt15iterator_traitsIS13_E10value_typeET2_T3_PNS14_IS19_E10value_typeET4_jRbjT5_S1F_jjP12ihipStream_tbEUljE_ZNSN_ISO_Lb0ESR_SS_SU_SV_SZ_EES10_S11_S12_S13_S17_S18_S19_S1C_S1D_jS1E_jS1F_S1F_jjS1H_bEUljE0_EEES10_S11_S12_S19_S1D_S1F_T6_T7_T9_mT8_S1H_bDpT10_ENKUlT_T0_E_clISt17integral_constantIbLb0EES1U_IbLb1EEEEDaS1Q_S1R_EUlS1Q_E_NS1_11comp_targetILNS1_3genE3ELNS1_11target_archE908ELNS1_3gpuE7ELNS1_3repE0EEENS1_30default_config_static_selectorELNS0_4arch9wavefront6targetE0EEEvS13_,comdat
	.globl	_ZN7rocprim17ROCPRIM_400000_NS6detail17trampoline_kernelINS0_13select_configILj256ELj13ELNS0_17block_load_methodE3ELS4_3ELS4_3ELNS0_20block_scan_algorithmE0ELj4294967295EEENS1_25partition_config_selectorILNS1_17partition_subalgoE4EjNS0_10empty_typeEbEEZZNS1_14partition_implILS8_4ELb0ES6_15HIP_vector_typeIjLj2EENS0_17counting_iteratorIjlEEPS9_SG_NS0_5tupleIJPjSI_NS0_16reverse_iteratorISI_EEEEENSH_IJSG_SG_SG_EEES9_SI_JZNS1_25segmented_radix_sort_implINS0_14default_configELb0EPK6__halfPSP_PKlPlN2at6native12_GLOBAL__N_18offset_tEEE10hipError_tPvRmT1_PNSt15iterator_traitsIS13_E10value_typeET2_T3_PNS14_IS19_E10value_typeET4_jRbjT5_S1F_jjP12ihipStream_tbEUljE_ZNSN_ISO_Lb0ESR_SS_SU_SV_SZ_EES10_S11_S12_S13_S17_S18_S19_S1C_S1D_jS1E_jS1F_S1F_jjS1H_bEUljE0_EEES10_S11_S12_S19_S1D_S1F_T6_T7_T9_mT8_S1H_bDpT10_ENKUlT_T0_E_clISt17integral_constantIbLb0EES1U_IbLb1EEEEDaS1Q_S1R_EUlS1Q_E_NS1_11comp_targetILNS1_3genE3ELNS1_11target_archE908ELNS1_3gpuE7ELNS1_3repE0EEENS1_30default_config_static_selectorELNS0_4arch9wavefront6targetE0EEEvS13_ ; -- Begin function _ZN7rocprim17ROCPRIM_400000_NS6detail17trampoline_kernelINS0_13select_configILj256ELj13ELNS0_17block_load_methodE3ELS4_3ELS4_3ELNS0_20block_scan_algorithmE0ELj4294967295EEENS1_25partition_config_selectorILNS1_17partition_subalgoE4EjNS0_10empty_typeEbEEZZNS1_14partition_implILS8_4ELb0ES6_15HIP_vector_typeIjLj2EENS0_17counting_iteratorIjlEEPS9_SG_NS0_5tupleIJPjSI_NS0_16reverse_iteratorISI_EEEEENSH_IJSG_SG_SG_EEES9_SI_JZNS1_25segmented_radix_sort_implINS0_14default_configELb0EPK6__halfPSP_PKlPlN2at6native12_GLOBAL__N_18offset_tEEE10hipError_tPvRmT1_PNSt15iterator_traitsIS13_E10value_typeET2_T3_PNS14_IS19_E10value_typeET4_jRbjT5_S1F_jjP12ihipStream_tbEUljE_ZNSN_ISO_Lb0ESR_SS_SU_SV_SZ_EES10_S11_S12_S13_S17_S18_S19_S1C_S1D_jS1E_jS1F_S1F_jjS1H_bEUljE0_EEES10_S11_S12_S19_S1D_S1F_T6_T7_T9_mT8_S1H_bDpT10_ENKUlT_T0_E_clISt17integral_constantIbLb0EES1U_IbLb1EEEEDaS1Q_S1R_EUlS1Q_E_NS1_11comp_targetILNS1_3genE3ELNS1_11target_archE908ELNS1_3gpuE7ELNS1_3repE0EEENS1_30default_config_static_selectorELNS0_4arch9wavefront6targetE0EEEvS13_
	.p2align	8
	.type	_ZN7rocprim17ROCPRIM_400000_NS6detail17trampoline_kernelINS0_13select_configILj256ELj13ELNS0_17block_load_methodE3ELS4_3ELS4_3ELNS0_20block_scan_algorithmE0ELj4294967295EEENS1_25partition_config_selectorILNS1_17partition_subalgoE4EjNS0_10empty_typeEbEEZZNS1_14partition_implILS8_4ELb0ES6_15HIP_vector_typeIjLj2EENS0_17counting_iteratorIjlEEPS9_SG_NS0_5tupleIJPjSI_NS0_16reverse_iteratorISI_EEEEENSH_IJSG_SG_SG_EEES9_SI_JZNS1_25segmented_radix_sort_implINS0_14default_configELb0EPK6__halfPSP_PKlPlN2at6native12_GLOBAL__N_18offset_tEEE10hipError_tPvRmT1_PNSt15iterator_traitsIS13_E10value_typeET2_T3_PNS14_IS19_E10value_typeET4_jRbjT5_S1F_jjP12ihipStream_tbEUljE_ZNSN_ISO_Lb0ESR_SS_SU_SV_SZ_EES10_S11_S12_S13_S17_S18_S19_S1C_S1D_jS1E_jS1F_S1F_jjS1H_bEUljE0_EEES10_S11_S12_S19_S1D_S1F_T6_T7_T9_mT8_S1H_bDpT10_ENKUlT_T0_E_clISt17integral_constantIbLb0EES1U_IbLb1EEEEDaS1Q_S1R_EUlS1Q_E_NS1_11comp_targetILNS1_3genE3ELNS1_11target_archE908ELNS1_3gpuE7ELNS1_3repE0EEENS1_30default_config_static_selectorELNS0_4arch9wavefront6targetE0EEEvS13_,@function
_ZN7rocprim17ROCPRIM_400000_NS6detail17trampoline_kernelINS0_13select_configILj256ELj13ELNS0_17block_load_methodE3ELS4_3ELS4_3ELNS0_20block_scan_algorithmE0ELj4294967295EEENS1_25partition_config_selectorILNS1_17partition_subalgoE4EjNS0_10empty_typeEbEEZZNS1_14partition_implILS8_4ELb0ES6_15HIP_vector_typeIjLj2EENS0_17counting_iteratorIjlEEPS9_SG_NS0_5tupleIJPjSI_NS0_16reverse_iteratorISI_EEEEENSH_IJSG_SG_SG_EEES9_SI_JZNS1_25segmented_radix_sort_implINS0_14default_configELb0EPK6__halfPSP_PKlPlN2at6native12_GLOBAL__N_18offset_tEEE10hipError_tPvRmT1_PNSt15iterator_traitsIS13_E10value_typeET2_T3_PNS14_IS19_E10value_typeET4_jRbjT5_S1F_jjP12ihipStream_tbEUljE_ZNSN_ISO_Lb0ESR_SS_SU_SV_SZ_EES10_S11_S12_S13_S17_S18_S19_S1C_S1D_jS1E_jS1F_S1F_jjS1H_bEUljE0_EEES10_S11_S12_S19_S1D_S1F_T6_T7_T9_mT8_S1H_bDpT10_ENKUlT_T0_E_clISt17integral_constantIbLb0EES1U_IbLb1EEEEDaS1Q_S1R_EUlS1Q_E_NS1_11comp_targetILNS1_3genE3ELNS1_11target_archE908ELNS1_3gpuE7ELNS1_3repE0EEENS1_30default_config_static_selectorELNS0_4arch9wavefront6targetE0EEEvS13_: ; @_ZN7rocprim17ROCPRIM_400000_NS6detail17trampoline_kernelINS0_13select_configILj256ELj13ELNS0_17block_load_methodE3ELS4_3ELS4_3ELNS0_20block_scan_algorithmE0ELj4294967295EEENS1_25partition_config_selectorILNS1_17partition_subalgoE4EjNS0_10empty_typeEbEEZZNS1_14partition_implILS8_4ELb0ES6_15HIP_vector_typeIjLj2EENS0_17counting_iteratorIjlEEPS9_SG_NS0_5tupleIJPjSI_NS0_16reverse_iteratorISI_EEEEENSH_IJSG_SG_SG_EEES9_SI_JZNS1_25segmented_radix_sort_implINS0_14default_configELb0EPK6__halfPSP_PKlPlN2at6native12_GLOBAL__N_18offset_tEEE10hipError_tPvRmT1_PNSt15iterator_traitsIS13_E10value_typeET2_T3_PNS14_IS19_E10value_typeET4_jRbjT5_S1F_jjP12ihipStream_tbEUljE_ZNSN_ISO_Lb0ESR_SS_SU_SV_SZ_EES10_S11_S12_S13_S17_S18_S19_S1C_S1D_jS1E_jS1F_S1F_jjS1H_bEUljE0_EEES10_S11_S12_S19_S1D_S1F_T6_T7_T9_mT8_S1H_bDpT10_ENKUlT_T0_E_clISt17integral_constantIbLb0EES1U_IbLb1EEEEDaS1Q_S1R_EUlS1Q_E_NS1_11comp_targetILNS1_3genE3ELNS1_11target_archE908ELNS1_3gpuE7ELNS1_3repE0EEENS1_30default_config_static_selectorELNS0_4arch9wavefront6targetE0EEEvS13_
; %bb.0:
	.section	.rodata,"a",@progbits
	.p2align	6, 0x0
	.amdhsa_kernel _ZN7rocprim17ROCPRIM_400000_NS6detail17trampoline_kernelINS0_13select_configILj256ELj13ELNS0_17block_load_methodE3ELS4_3ELS4_3ELNS0_20block_scan_algorithmE0ELj4294967295EEENS1_25partition_config_selectorILNS1_17partition_subalgoE4EjNS0_10empty_typeEbEEZZNS1_14partition_implILS8_4ELb0ES6_15HIP_vector_typeIjLj2EENS0_17counting_iteratorIjlEEPS9_SG_NS0_5tupleIJPjSI_NS0_16reverse_iteratorISI_EEEEENSH_IJSG_SG_SG_EEES9_SI_JZNS1_25segmented_radix_sort_implINS0_14default_configELb0EPK6__halfPSP_PKlPlN2at6native12_GLOBAL__N_18offset_tEEE10hipError_tPvRmT1_PNSt15iterator_traitsIS13_E10value_typeET2_T3_PNS14_IS19_E10value_typeET4_jRbjT5_S1F_jjP12ihipStream_tbEUljE_ZNSN_ISO_Lb0ESR_SS_SU_SV_SZ_EES10_S11_S12_S13_S17_S18_S19_S1C_S1D_jS1E_jS1F_S1F_jjS1H_bEUljE0_EEES10_S11_S12_S19_S1D_S1F_T6_T7_T9_mT8_S1H_bDpT10_ENKUlT_T0_E_clISt17integral_constantIbLb0EES1U_IbLb1EEEEDaS1Q_S1R_EUlS1Q_E_NS1_11comp_targetILNS1_3genE3ELNS1_11target_archE908ELNS1_3gpuE7ELNS1_3repE0EEENS1_30default_config_static_selectorELNS0_4arch9wavefront6targetE0EEEvS13_
		.amdhsa_group_segment_fixed_size 0
		.amdhsa_private_segment_fixed_size 0
		.amdhsa_kernarg_size 184
		.amdhsa_user_sgpr_count 2
		.amdhsa_user_sgpr_dispatch_ptr 0
		.amdhsa_user_sgpr_queue_ptr 0
		.amdhsa_user_sgpr_kernarg_segment_ptr 1
		.amdhsa_user_sgpr_dispatch_id 0
		.amdhsa_user_sgpr_private_segment_size 0
		.amdhsa_wavefront_size32 1
		.amdhsa_uses_dynamic_stack 0
		.amdhsa_enable_private_segment 0
		.amdhsa_system_sgpr_workgroup_id_x 1
		.amdhsa_system_sgpr_workgroup_id_y 0
		.amdhsa_system_sgpr_workgroup_id_z 0
		.amdhsa_system_sgpr_workgroup_info 0
		.amdhsa_system_vgpr_workitem_id 0
		.amdhsa_next_free_vgpr 1
		.amdhsa_next_free_sgpr 1
		.amdhsa_reserve_vcc 0
		.amdhsa_float_round_mode_32 0
		.amdhsa_float_round_mode_16_64 0
		.amdhsa_float_denorm_mode_32 3
		.amdhsa_float_denorm_mode_16_64 3
		.amdhsa_fp16_overflow 0
		.amdhsa_workgroup_processor_mode 1
		.amdhsa_memory_ordered 1
		.amdhsa_forward_progress 1
		.amdhsa_inst_pref_size 0
		.amdhsa_round_robin_scheduling 0
		.amdhsa_exception_fp_ieee_invalid_op 0
		.amdhsa_exception_fp_denorm_src 0
		.amdhsa_exception_fp_ieee_div_zero 0
		.amdhsa_exception_fp_ieee_overflow 0
		.amdhsa_exception_fp_ieee_underflow 0
		.amdhsa_exception_fp_ieee_inexact 0
		.amdhsa_exception_int_div_zero 0
	.end_amdhsa_kernel
	.section	.text._ZN7rocprim17ROCPRIM_400000_NS6detail17trampoline_kernelINS0_13select_configILj256ELj13ELNS0_17block_load_methodE3ELS4_3ELS4_3ELNS0_20block_scan_algorithmE0ELj4294967295EEENS1_25partition_config_selectorILNS1_17partition_subalgoE4EjNS0_10empty_typeEbEEZZNS1_14partition_implILS8_4ELb0ES6_15HIP_vector_typeIjLj2EENS0_17counting_iteratorIjlEEPS9_SG_NS0_5tupleIJPjSI_NS0_16reverse_iteratorISI_EEEEENSH_IJSG_SG_SG_EEES9_SI_JZNS1_25segmented_radix_sort_implINS0_14default_configELb0EPK6__halfPSP_PKlPlN2at6native12_GLOBAL__N_18offset_tEEE10hipError_tPvRmT1_PNSt15iterator_traitsIS13_E10value_typeET2_T3_PNS14_IS19_E10value_typeET4_jRbjT5_S1F_jjP12ihipStream_tbEUljE_ZNSN_ISO_Lb0ESR_SS_SU_SV_SZ_EES10_S11_S12_S13_S17_S18_S19_S1C_S1D_jS1E_jS1F_S1F_jjS1H_bEUljE0_EEES10_S11_S12_S19_S1D_S1F_T6_T7_T9_mT8_S1H_bDpT10_ENKUlT_T0_E_clISt17integral_constantIbLb0EES1U_IbLb1EEEEDaS1Q_S1R_EUlS1Q_E_NS1_11comp_targetILNS1_3genE3ELNS1_11target_archE908ELNS1_3gpuE7ELNS1_3repE0EEENS1_30default_config_static_selectorELNS0_4arch9wavefront6targetE0EEEvS13_,"axG",@progbits,_ZN7rocprim17ROCPRIM_400000_NS6detail17trampoline_kernelINS0_13select_configILj256ELj13ELNS0_17block_load_methodE3ELS4_3ELS4_3ELNS0_20block_scan_algorithmE0ELj4294967295EEENS1_25partition_config_selectorILNS1_17partition_subalgoE4EjNS0_10empty_typeEbEEZZNS1_14partition_implILS8_4ELb0ES6_15HIP_vector_typeIjLj2EENS0_17counting_iteratorIjlEEPS9_SG_NS0_5tupleIJPjSI_NS0_16reverse_iteratorISI_EEEEENSH_IJSG_SG_SG_EEES9_SI_JZNS1_25segmented_radix_sort_implINS0_14default_configELb0EPK6__halfPSP_PKlPlN2at6native12_GLOBAL__N_18offset_tEEE10hipError_tPvRmT1_PNSt15iterator_traitsIS13_E10value_typeET2_T3_PNS14_IS19_E10value_typeET4_jRbjT5_S1F_jjP12ihipStream_tbEUljE_ZNSN_ISO_Lb0ESR_SS_SU_SV_SZ_EES10_S11_S12_S13_S17_S18_S19_S1C_S1D_jS1E_jS1F_S1F_jjS1H_bEUljE0_EEES10_S11_S12_S19_S1D_S1F_T6_T7_T9_mT8_S1H_bDpT10_ENKUlT_T0_E_clISt17integral_constantIbLb0EES1U_IbLb1EEEEDaS1Q_S1R_EUlS1Q_E_NS1_11comp_targetILNS1_3genE3ELNS1_11target_archE908ELNS1_3gpuE7ELNS1_3repE0EEENS1_30default_config_static_selectorELNS0_4arch9wavefront6targetE0EEEvS13_,comdat
.Lfunc_end1805:
	.size	_ZN7rocprim17ROCPRIM_400000_NS6detail17trampoline_kernelINS0_13select_configILj256ELj13ELNS0_17block_load_methodE3ELS4_3ELS4_3ELNS0_20block_scan_algorithmE0ELj4294967295EEENS1_25partition_config_selectorILNS1_17partition_subalgoE4EjNS0_10empty_typeEbEEZZNS1_14partition_implILS8_4ELb0ES6_15HIP_vector_typeIjLj2EENS0_17counting_iteratorIjlEEPS9_SG_NS0_5tupleIJPjSI_NS0_16reverse_iteratorISI_EEEEENSH_IJSG_SG_SG_EEES9_SI_JZNS1_25segmented_radix_sort_implINS0_14default_configELb0EPK6__halfPSP_PKlPlN2at6native12_GLOBAL__N_18offset_tEEE10hipError_tPvRmT1_PNSt15iterator_traitsIS13_E10value_typeET2_T3_PNS14_IS19_E10value_typeET4_jRbjT5_S1F_jjP12ihipStream_tbEUljE_ZNSN_ISO_Lb0ESR_SS_SU_SV_SZ_EES10_S11_S12_S13_S17_S18_S19_S1C_S1D_jS1E_jS1F_S1F_jjS1H_bEUljE0_EEES10_S11_S12_S19_S1D_S1F_T6_T7_T9_mT8_S1H_bDpT10_ENKUlT_T0_E_clISt17integral_constantIbLb0EES1U_IbLb1EEEEDaS1Q_S1R_EUlS1Q_E_NS1_11comp_targetILNS1_3genE3ELNS1_11target_archE908ELNS1_3gpuE7ELNS1_3repE0EEENS1_30default_config_static_selectorELNS0_4arch9wavefront6targetE0EEEvS13_, .Lfunc_end1805-_ZN7rocprim17ROCPRIM_400000_NS6detail17trampoline_kernelINS0_13select_configILj256ELj13ELNS0_17block_load_methodE3ELS4_3ELS4_3ELNS0_20block_scan_algorithmE0ELj4294967295EEENS1_25partition_config_selectorILNS1_17partition_subalgoE4EjNS0_10empty_typeEbEEZZNS1_14partition_implILS8_4ELb0ES6_15HIP_vector_typeIjLj2EENS0_17counting_iteratorIjlEEPS9_SG_NS0_5tupleIJPjSI_NS0_16reverse_iteratorISI_EEEEENSH_IJSG_SG_SG_EEES9_SI_JZNS1_25segmented_radix_sort_implINS0_14default_configELb0EPK6__halfPSP_PKlPlN2at6native12_GLOBAL__N_18offset_tEEE10hipError_tPvRmT1_PNSt15iterator_traitsIS13_E10value_typeET2_T3_PNS14_IS19_E10value_typeET4_jRbjT5_S1F_jjP12ihipStream_tbEUljE_ZNSN_ISO_Lb0ESR_SS_SU_SV_SZ_EES10_S11_S12_S13_S17_S18_S19_S1C_S1D_jS1E_jS1F_S1F_jjS1H_bEUljE0_EEES10_S11_S12_S19_S1D_S1F_T6_T7_T9_mT8_S1H_bDpT10_ENKUlT_T0_E_clISt17integral_constantIbLb0EES1U_IbLb1EEEEDaS1Q_S1R_EUlS1Q_E_NS1_11comp_targetILNS1_3genE3ELNS1_11target_archE908ELNS1_3gpuE7ELNS1_3repE0EEENS1_30default_config_static_selectorELNS0_4arch9wavefront6targetE0EEEvS13_
                                        ; -- End function
	.set _ZN7rocprim17ROCPRIM_400000_NS6detail17trampoline_kernelINS0_13select_configILj256ELj13ELNS0_17block_load_methodE3ELS4_3ELS4_3ELNS0_20block_scan_algorithmE0ELj4294967295EEENS1_25partition_config_selectorILNS1_17partition_subalgoE4EjNS0_10empty_typeEbEEZZNS1_14partition_implILS8_4ELb0ES6_15HIP_vector_typeIjLj2EENS0_17counting_iteratorIjlEEPS9_SG_NS0_5tupleIJPjSI_NS0_16reverse_iteratorISI_EEEEENSH_IJSG_SG_SG_EEES9_SI_JZNS1_25segmented_radix_sort_implINS0_14default_configELb0EPK6__halfPSP_PKlPlN2at6native12_GLOBAL__N_18offset_tEEE10hipError_tPvRmT1_PNSt15iterator_traitsIS13_E10value_typeET2_T3_PNS14_IS19_E10value_typeET4_jRbjT5_S1F_jjP12ihipStream_tbEUljE_ZNSN_ISO_Lb0ESR_SS_SU_SV_SZ_EES10_S11_S12_S13_S17_S18_S19_S1C_S1D_jS1E_jS1F_S1F_jjS1H_bEUljE0_EEES10_S11_S12_S19_S1D_S1F_T6_T7_T9_mT8_S1H_bDpT10_ENKUlT_T0_E_clISt17integral_constantIbLb0EES1U_IbLb1EEEEDaS1Q_S1R_EUlS1Q_E_NS1_11comp_targetILNS1_3genE3ELNS1_11target_archE908ELNS1_3gpuE7ELNS1_3repE0EEENS1_30default_config_static_selectorELNS0_4arch9wavefront6targetE0EEEvS13_.num_vgpr, 0
	.set _ZN7rocprim17ROCPRIM_400000_NS6detail17trampoline_kernelINS0_13select_configILj256ELj13ELNS0_17block_load_methodE3ELS4_3ELS4_3ELNS0_20block_scan_algorithmE0ELj4294967295EEENS1_25partition_config_selectorILNS1_17partition_subalgoE4EjNS0_10empty_typeEbEEZZNS1_14partition_implILS8_4ELb0ES6_15HIP_vector_typeIjLj2EENS0_17counting_iteratorIjlEEPS9_SG_NS0_5tupleIJPjSI_NS0_16reverse_iteratorISI_EEEEENSH_IJSG_SG_SG_EEES9_SI_JZNS1_25segmented_radix_sort_implINS0_14default_configELb0EPK6__halfPSP_PKlPlN2at6native12_GLOBAL__N_18offset_tEEE10hipError_tPvRmT1_PNSt15iterator_traitsIS13_E10value_typeET2_T3_PNS14_IS19_E10value_typeET4_jRbjT5_S1F_jjP12ihipStream_tbEUljE_ZNSN_ISO_Lb0ESR_SS_SU_SV_SZ_EES10_S11_S12_S13_S17_S18_S19_S1C_S1D_jS1E_jS1F_S1F_jjS1H_bEUljE0_EEES10_S11_S12_S19_S1D_S1F_T6_T7_T9_mT8_S1H_bDpT10_ENKUlT_T0_E_clISt17integral_constantIbLb0EES1U_IbLb1EEEEDaS1Q_S1R_EUlS1Q_E_NS1_11comp_targetILNS1_3genE3ELNS1_11target_archE908ELNS1_3gpuE7ELNS1_3repE0EEENS1_30default_config_static_selectorELNS0_4arch9wavefront6targetE0EEEvS13_.num_agpr, 0
	.set _ZN7rocprim17ROCPRIM_400000_NS6detail17trampoline_kernelINS0_13select_configILj256ELj13ELNS0_17block_load_methodE3ELS4_3ELS4_3ELNS0_20block_scan_algorithmE0ELj4294967295EEENS1_25partition_config_selectorILNS1_17partition_subalgoE4EjNS0_10empty_typeEbEEZZNS1_14partition_implILS8_4ELb0ES6_15HIP_vector_typeIjLj2EENS0_17counting_iteratorIjlEEPS9_SG_NS0_5tupleIJPjSI_NS0_16reverse_iteratorISI_EEEEENSH_IJSG_SG_SG_EEES9_SI_JZNS1_25segmented_radix_sort_implINS0_14default_configELb0EPK6__halfPSP_PKlPlN2at6native12_GLOBAL__N_18offset_tEEE10hipError_tPvRmT1_PNSt15iterator_traitsIS13_E10value_typeET2_T3_PNS14_IS19_E10value_typeET4_jRbjT5_S1F_jjP12ihipStream_tbEUljE_ZNSN_ISO_Lb0ESR_SS_SU_SV_SZ_EES10_S11_S12_S13_S17_S18_S19_S1C_S1D_jS1E_jS1F_S1F_jjS1H_bEUljE0_EEES10_S11_S12_S19_S1D_S1F_T6_T7_T9_mT8_S1H_bDpT10_ENKUlT_T0_E_clISt17integral_constantIbLb0EES1U_IbLb1EEEEDaS1Q_S1R_EUlS1Q_E_NS1_11comp_targetILNS1_3genE3ELNS1_11target_archE908ELNS1_3gpuE7ELNS1_3repE0EEENS1_30default_config_static_selectorELNS0_4arch9wavefront6targetE0EEEvS13_.numbered_sgpr, 0
	.set _ZN7rocprim17ROCPRIM_400000_NS6detail17trampoline_kernelINS0_13select_configILj256ELj13ELNS0_17block_load_methodE3ELS4_3ELS4_3ELNS0_20block_scan_algorithmE0ELj4294967295EEENS1_25partition_config_selectorILNS1_17partition_subalgoE4EjNS0_10empty_typeEbEEZZNS1_14partition_implILS8_4ELb0ES6_15HIP_vector_typeIjLj2EENS0_17counting_iteratorIjlEEPS9_SG_NS0_5tupleIJPjSI_NS0_16reverse_iteratorISI_EEEEENSH_IJSG_SG_SG_EEES9_SI_JZNS1_25segmented_radix_sort_implINS0_14default_configELb0EPK6__halfPSP_PKlPlN2at6native12_GLOBAL__N_18offset_tEEE10hipError_tPvRmT1_PNSt15iterator_traitsIS13_E10value_typeET2_T3_PNS14_IS19_E10value_typeET4_jRbjT5_S1F_jjP12ihipStream_tbEUljE_ZNSN_ISO_Lb0ESR_SS_SU_SV_SZ_EES10_S11_S12_S13_S17_S18_S19_S1C_S1D_jS1E_jS1F_S1F_jjS1H_bEUljE0_EEES10_S11_S12_S19_S1D_S1F_T6_T7_T9_mT8_S1H_bDpT10_ENKUlT_T0_E_clISt17integral_constantIbLb0EES1U_IbLb1EEEEDaS1Q_S1R_EUlS1Q_E_NS1_11comp_targetILNS1_3genE3ELNS1_11target_archE908ELNS1_3gpuE7ELNS1_3repE0EEENS1_30default_config_static_selectorELNS0_4arch9wavefront6targetE0EEEvS13_.num_named_barrier, 0
	.set _ZN7rocprim17ROCPRIM_400000_NS6detail17trampoline_kernelINS0_13select_configILj256ELj13ELNS0_17block_load_methodE3ELS4_3ELS4_3ELNS0_20block_scan_algorithmE0ELj4294967295EEENS1_25partition_config_selectorILNS1_17partition_subalgoE4EjNS0_10empty_typeEbEEZZNS1_14partition_implILS8_4ELb0ES6_15HIP_vector_typeIjLj2EENS0_17counting_iteratorIjlEEPS9_SG_NS0_5tupleIJPjSI_NS0_16reverse_iteratorISI_EEEEENSH_IJSG_SG_SG_EEES9_SI_JZNS1_25segmented_radix_sort_implINS0_14default_configELb0EPK6__halfPSP_PKlPlN2at6native12_GLOBAL__N_18offset_tEEE10hipError_tPvRmT1_PNSt15iterator_traitsIS13_E10value_typeET2_T3_PNS14_IS19_E10value_typeET4_jRbjT5_S1F_jjP12ihipStream_tbEUljE_ZNSN_ISO_Lb0ESR_SS_SU_SV_SZ_EES10_S11_S12_S13_S17_S18_S19_S1C_S1D_jS1E_jS1F_S1F_jjS1H_bEUljE0_EEES10_S11_S12_S19_S1D_S1F_T6_T7_T9_mT8_S1H_bDpT10_ENKUlT_T0_E_clISt17integral_constantIbLb0EES1U_IbLb1EEEEDaS1Q_S1R_EUlS1Q_E_NS1_11comp_targetILNS1_3genE3ELNS1_11target_archE908ELNS1_3gpuE7ELNS1_3repE0EEENS1_30default_config_static_selectorELNS0_4arch9wavefront6targetE0EEEvS13_.private_seg_size, 0
	.set _ZN7rocprim17ROCPRIM_400000_NS6detail17trampoline_kernelINS0_13select_configILj256ELj13ELNS0_17block_load_methodE3ELS4_3ELS4_3ELNS0_20block_scan_algorithmE0ELj4294967295EEENS1_25partition_config_selectorILNS1_17partition_subalgoE4EjNS0_10empty_typeEbEEZZNS1_14partition_implILS8_4ELb0ES6_15HIP_vector_typeIjLj2EENS0_17counting_iteratorIjlEEPS9_SG_NS0_5tupleIJPjSI_NS0_16reverse_iteratorISI_EEEEENSH_IJSG_SG_SG_EEES9_SI_JZNS1_25segmented_radix_sort_implINS0_14default_configELb0EPK6__halfPSP_PKlPlN2at6native12_GLOBAL__N_18offset_tEEE10hipError_tPvRmT1_PNSt15iterator_traitsIS13_E10value_typeET2_T3_PNS14_IS19_E10value_typeET4_jRbjT5_S1F_jjP12ihipStream_tbEUljE_ZNSN_ISO_Lb0ESR_SS_SU_SV_SZ_EES10_S11_S12_S13_S17_S18_S19_S1C_S1D_jS1E_jS1F_S1F_jjS1H_bEUljE0_EEES10_S11_S12_S19_S1D_S1F_T6_T7_T9_mT8_S1H_bDpT10_ENKUlT_T0_E_clISt17integral_constantIbLb0EES1U_IbLb1EEEEDaS1Q_S1R_EUlS1Q_E_NS1_11comp_targetILNS1_3genE3ELNS1_11target_archE908ELNS1_3gpuE7ELNS1_3repE0EEENS1_30default_config_static_selectorELNS0_4arch9wavefront6targetE0EEEvS13_.uses_vcc, 0
	.set _ZN7rocprim17ROCPRIM_400000_NS6detail17trampoline_kernelINS0_13select_configILj256ELj13ELNS0_17block_load_methodE3ELS4_3ELS4_3ELNS0_20block_scan_algorithmE0ELj4294967295EEENS1_25partition_config_selectorILNS1_17partition_subalgoE4EjNS0_10empty_typeEbEEZZNS1_14partition_implILS8_4ELb0ES6_15HIP_vector_typeIjLj2EENS0_17counting_iteratorIjlEEPS9_SG_NS0_5tupleIJPjSI_NS0_16reverse_iteratorISI_EEEEENSH_IJSG_SG_SG_EEES9_SI_JZNS1_25segmented_radix_sort_implINS0_14default_configELb0EPK6__halfPSP_PKlPlN2at6native12_GLOBAL__N_18offset_tEEE10hipError_tPvRmT1_PNSt15iterator_traitsIS13_E10value_typeET2_T3_PNS14_IS19_E10value_typeET4_jRbjT5_S1F_jjP12ihipStream_tbEUljE_ZNSN_ISO_Lb0ESR_SS_SU_SV_SZ_EES10_S11_S12_S13_S17_S18_S19_S1C_S1D_jS1E_jS1F_S1F_jjS1H_bEUljE0_EEES10_S11_S12_S19_S1D_S1F_T6_T7_T9_mT8_S1H_bDpT10_ENKUlT_T0_E_clISt17integral_constantIbLb0EES1U_IbLb1EEEEDaS1Q_S1R_EUlS1Q_E_NS1_11comp_targetILNS1_3genE3ELNS1_11target_archE908ELNS1_3gpuE7ELNS1_3repE0EEENS1_30default_config_static_selectorELNS0_4arch9wavefront6targetE0EEEvS13_.uses_flat_scratch, 0
	.set _ZN7rocprim17ROCPRIM_400000_NS6detail17trampoline_kernelINS0_13select_configILj256ELj13ELNS0_17block_load_methodE3ELS4_3ELS4_3ELNS0_20block_scan_algorithmE0ELj4294967295EEENS1_25partition_config_selectorILNS1_17partition_subalgoE4EjNS0_10empty_typeEbEEZZNS1_14partition_implILS8_4ELb0ES6_15HIP_vector_typeIjLj2EENS0_17counting_iteratorIjlEEPS9_SG_NS0_5tupleIJPjSI_NS0_16reverse_iteratorISI_EEEEENSH_IJSG_SG_SG_EEES9_SI_JZNS1_25segmented_radix_sort_implINS0_14default_configELb0EPK6__halfPSP_PKlPlN2at6native12_GLOBAL__N_18offset_tEEE10hipError_tPvRmT1_PNSt15iterator_traitsIS13_E10value_typeET2_T3_PNS14_IS19_E10value_typeET4_jRbjT5_S1F_jjP12ihipStream_tbEUljE_ZNSN_ISO_Lb0ESR_SS_SU_SV_SZ_EES10_S11_S12_S13_S17_S18_S19_S1C_S1D_jS1E_jS1F_S1F_jjS1H_bEUljE0_EEES10_S11_S12_S19_S1D_S1F_T6_T7_T9_mT8_S1H_bDpT10_ENKUlT_T0_E_clISt17integral_constantIbLb0EES1U_IbLb1EEEEDaS1Q_S1R_EUlS1Q_E_NS1_11comp_targetILNS1_3genE3ELNS1_11target_archE908ELNS1_3gpuE7ELNS1_3repE0EEENS1_30default_config_static_selectorELNS0_4arch9wavefront6targetE0EEEvS13_.has_dyn_sized_stack, 0
	.set _ZN7rocprim17ROCPRIM_400000_NS6detail17trampoline_kernelINS0_13select_configILj256ELj13ELNS0_17block_load_methodE3ELS4_3ELS4_3ELNS0_20block_scan_algorithmE0ELj4294967295EEENS1_25partition_config_selectorILNS1_17partition_subalgoE4EjNS0_10empty_typeEbEEZZNS1_14partition_implILS8_4ELb0ES6_15HIP_vector_typeIjLj2EENS0_17counting_iteratorIjlEEPS9_SG_NS0_5tupleIJPjSI_NS0_16reverse_iteratorISI_EEEEENSH_IJSG_SG_SG_EEES9_SI_JZNS1_25segmented_radix_sort_implINS0_14default_configELb0EPK6__halfPSP_PKlPlN2at6native12_GLOBAL__N_18offset_tEEE10hipError_tPvRmT1_PNSt15iterator_traitsIS13_E10value_typeET2_T3_PNS14_IS19_E10value_typeET4_jRbjT5_S1F_jjP12ihipStream_tbEUljE_ZNSN_ISO_Lb0ESR_SS_SU_SV_SZ_EES10_S11_S12_S13_S17_S18_S19_S1C_S1D_jS1E_jS1F_S1F_jjS1H_bEUljE0_EEES10_S11_S12_S19_S1D_S1F_T6_T7_T9_mT8_S1H_bDpT10_ENKUlT_T0_E_clISt17integral_constantIbLb0EES1U_IbLb1EEEEDaS1Q_S1R_EUlS1Q_E_NS1_11comp_targetILNS1_3genE3ELNS1_11target_archE908ELNS1_3gpuE7ELNS1_3repE0EEENS1_30default_config_static_selectorELNS0_4arch9wavefront6targetE0EEEvS13_.has_recursion, 0
	.set _ZN7rocprim17ROCPRIM_400000_NS6detail17trampoline_kernelINS0_13select_configILj256ELj13ELNS0_17block_load_methodE3ELS4_3ELS4_3ELNS0_20block_scan_algorithmE0ELj4294967295EEENS1_25partition_config_selectorILNS1_17partition_subalgoE4EjNS0_10empty_typeEbEEZZNS1_14partition_implILS8_4ELb0ES6_15HIP_vector_typeIjLj2EENS0_17counting_iteratorIjlEEPS9_SG_NS0_5tupleIJPjSI_NS0_16reverse_iteratorISI_EEEEENSH_IJSG_SG_SG_EEES9_SI_JZNS1_25segmented_radix_sort_implINS0_14default_configELb0EPK6__halfPSP_PKlPlN2at6native12_GLOBAL__N_18offset_tEEE10hipError_tPvRmT1_PNSt15iterator_traitsIS13_E10value_typeET2_T3_PNS14_IS19_E10value_typeET4_jRbjT5_S1F_jjP12ihipStream_tbEUljE_ZNSN_ISO_Lb0ESR_SS_SU_SV_SZ_EES10_S11_S12_S13_S17_S18_S19_S1C_S1D_jS1E_jS1F_S1F_jjS1H_bEUljE0_EEES10_S11_S12_S19_S1D_S1F_T6_T7_T9_mT8_S1H_bDpT10_ENKUlT_T0_E_clISt17integral_constantIbLb0EES1U_IbLb1EEEEDaS1Q_S1R_EUlS1Q_E_NS1_11comp_targetILNS1_3genE3ELNS1_11target_archE908ELNS1_3gpuE7ELNS1_3repE0EEENS1_30default_config_static_selectorELNS0_4arch9wavefront6targetE0EEEvS13_.has_indirect_call, 0
	.section	.AMDGPU.csdata,"",@progbits
; Kernel info:
; codeLenInByte = 0
; TotalNumSgprs: 0
; NumVgprs: 0
; ScratchSize: 0
; MemoryBound: 0
; FloatMode: 240
; IeeeMode: 1
; LDSByteSize: 0 bytes/workgroup (compile time only)
; SGPRBlocks: 0
; VGPRBlocks: 0
; NumSGPRsForWavesPerEU: 1
; NumVGPRsForWavesPerEU: 1
; Occupancy: 16
; WaveLimiterHint : 0
; COMPUTE_PGM_RSRC2:SCRATCH_EN: 0
; COMPUTE_PGM_RSRC2:USER_SGPR: 2
; COMPUTE_PGM_RSRC2:TRAP_HANDLER: 0
; COMPUTE_PGM_RSRC2:TGID_X_EN: 1
; COMPUTE_PGM_RSRC2:TGID_Y_EN: 0
; COMPUTE_PGM_RSRC2:TGID_Z_EN: 0
; COMPUTE_PGM_RSRC2:TIDIG_COMP_CNT: 0
	.section	.text._ZN7rocprim17ROCPRIM_400000_NS6detail17trampoline_kernelINS0_13select_configILj256ELj13ELNS0_17block_load_methodE3ELS4_3ELS4_3ELNS0_20block_scan_algorithmE0ELj4294967295EEENS1_25partition_config_selectorILNS1_17partition_subalgoE4EjNS0_10empty_typeEbEEZZNS1_14partition_implILS8_4ELb0ES6_15HIP_vector_typeIjLj2EENS0_17counting_iteratorIjlEEPS9_SG_NS0_5tupleIJPjSI_NS0_16reverse_iteratorISI_EEEEENSH_IJSG_SG_SG_EEES9_SI_JZNS1_25segmented_radix_sort_implINS0_14default_configELb0EPK6__halfPSP_PKlPlN2at6native12_GLOBAL__N_18offset_tEEE10hipError_tPvRmT1_PNSt15iterator_traitsIS13_E10value_typeET2_T3_PNS14_IS19_E10value_typeET4_jRbjT5_S1F_jjP12ihipStream_tbEUljE_ZNSN_ISO_Lb0ESR_SS_SU_SV_SZ_EES10_S11_S12_S13_S17_S18_S19_S1C_S1D_jS1E_jS1F_S1F_jjS1H_bEUljE0_EEES10_S11_S12_S19_S1D_S1F_T6_T7_T9_mT8_S1H_bDpT10_ENKUlT_T0_E_clISt17integral_constantIbLb0EES1U_IbLb1EEEEDaS1Q_S1R_EUlS1Q_E_NS1_11comp_targetILNS1_3genE2ELNS1_11target_archE906ELNS1_3gpuE6ELNS1_3repE0EEENS1_30default_config_static_selectorELNS0_4arch9wavefront6targetE0EEEvS13_,"axG",@progbits,_ZN7rocprim17ROCPRIM_400000_NS6detail17trampoline_kernelINS0_13select_configILj256ELj13ELNS0_17block_load_methodE3ELS4_3ELS4_3ELNS0_20block_scan_algorithmE0ELj4294967295EEENS1_25partition_config_selectorILNS1_17partition_subalgoE4EjNS0_10empty_typeEbEEZZNS1_14partition_implILS8_4ELb0ES6_15HIP_vector_typeIjLj2EENS0_17counting_iteratorIjlEEPS9_SG_NS0_5tupleIJPjSI_NS0_16reverse_iteratorISI_EEEEENSH_IJSG_SG_SG_EEES9_SI_JZNS1_25segmented_radix_sort_implINS0_14default_configELb0EPK6__halfPSP_PKlPlN2at6native12_GLOBAL__N_18offset_tEEE10hipError_tPvRmT1_PNSt15iterator_traitsIS13_E10value_typeET2_T3_PNS14_IS19_E10value_typeET4_jRbjT5_S1F_jjP12ihipStream_tbEUljE_ZNSN_ISO_Lb0ESR_SS_SU_SV_SZ_EES10_S11_S12_S13_S17_S18_S19_S1C_S1D_jS1E_jS1F_S1F_jjS1H_bEUljE0_EEES10_S11_S12_S19_S1D_S1F_T6_T7_T9_mT8_S1H_bDpT10_ENKUlT_T0_E_clISt17integral_constantIbLb0EES1U_IbLb1EEEEDaS1Q_S1R_EUlS1Q_E_NS1_11comp_targetILNS1_3genE2ELNS1_11target_archE906ELNS1_3gpuE6ELNS1_3repE0EEENS1_30default_config_static_selectorELNS0_4arch9wavefront6targetE0EEEvS13_,comdat
	.globl	_ZN7rocprim17ROCPRIM_400000_NS6detail17trampoline_kernelINS0_13select_configILj256ELj13ELNS0_17block_load_methodE3ELS4_3ELS4_3ELNS0_20block_scan_algorithmE0ELj4294967295EEENS1_25partition_config_selectorILNS1_17partition_subalgoE4EjNS0_10empty_typeEbEEZZNS1_14partition_implILS8_4ELb0ES6_15HIP_vector_typeIjLj2EENS0_17counting_iteratorIjlEEPS9_SG_NS0_5tupleIJPjSI_NS0_16reverse_iteratorISI_EEEEENSH_IJSG_SG_SG_EEES9_SI_JZNS1_25segmented_radix_sort_implINS0_14default_configELb0EPK6__halfPSP_PKlPlN2at6native12_GLOBAL__N_18offset_tEEE10hipError_tPvRmT1_PNSt15iterator_traitsIS13_E10value_typeET2_T3_PNS14_IS19_E10value_typeET4_jRbjT5_S1F_jjP12ihipStream_tbEUljE_ZNSN_ISO_Lb0ESR_SS_SU_SV_SZ_EES10_S11_S12_S13_S17_S18_S19_S1C_S1D_jS1E_jS1F_S1F_jjS1H_bEUljE0_EEES10_S11_S12_S19_S1D_S1F_T6_T7_T9_mT8_S1H_bDpT10_ENKUlT_T0_E_clISt17integral_constantIbLb0EES1U_IbLb1EEEEDaS1Q_S1R_EUlS1Q_E_NS1_11comp_targetILNS1_3genE2ELNS1_11target_archE906ELNS1_3gpuE6ELNS1_3repE0EEENS1_30default_config_static_selectorELNS0_4arch9wavefront6targetE0EEEvS13_ ; -- Begin function _ZN7rocprim17ROCPRIM_400000_NS6detail17trampoline_kernelINS0_13select_configILj256ELj13ELNS0_17block_load_methodE3ELS4_3ELS4_3ELNS0_20block_scan_algorithmE0ELj4294967295EEENS1_25partition_config_selectorILNS1_17partition_subalgoE4EjNS0_10empty_typeEbEEZZNS1_14partition_implILS8_4ELb0ES6_15HIP_vector_typeIjLj2EENS0_17counting_iteratorIjlEEPS9_SG_NS0_5tupleIJPjSI_NS0_16reverse_iteratorISI_EEEEENSH_IJSG_SG_SG_EEES9_SI_JZNS1_25segmented_radix_sort_implINS0_14default_configELb0EPK6__halfPSP_PKlPlN2at6native12_GLOBAL__N_18offset_tEEE10hipError_tPvRmT1_PNSt15iterator_traitsIS13_E10value_typeET2_T3_PNS14_IS19_E10value_typeET4_jRbjT5_S1F_jjP12ihipStream_tbEUljE_ZNSN_ISO_Lb0ESR_SS_SU_SV_SZ_EES10_S11_S12_S13_S17_S18_S19_S1C_S1D_jS1E_jS1F_S1F_jjS1H_bEUljE0_EEES10_S11_S12_S19_S1D_S1F_T6_T7_T9_mT8_S1H_bDpT10_ENKUlT_T0_E_clISt17integral_constantIbLb0EES1U_IbLb1EEEEDaS1Q_S1R_EUlS1Q_E_NS1_11comp_targetILNS1_3genE2ELNS1_11target_archE906ELNS1_3gpuE6ELNS1_3repE0EEENS1_30default_config_static_selectorELNS0_4arch9wavefront6targetE0EEEvS13_
	.p2align	8
	.type	_ZN7rocprim17ROCPRIM_400000_NS6detail17trampoline_kernelINS0_13select_configILj256ELj13ELNS0_17block_load_methodE3ELS4_3ELS4_3ELNS0_20block_scan_algorithmE0ELj4294967295EEENS1_25partition_config_selectorILNS1_17partition_subalgoE4EjNS0_10empty_typeEbEEZZNS1_14partition_implILS8_4ELb0ES6_15HIP_vector_typeIjLj2EENS0_17counting_iteratorIjlEEPS9_SG_NS0_5tupleIJPjSI_NS0_16reverse_iteratorISI_EEEEENSH_IJSG_SG_SG_EEES9_SI_JZNS1_25segmented_radix_sort_implINS0_14default_configELb0EPK6__halfPSP_PKlPlN2at6native12_GLOBAL__N_18offset_tEEE10hipError_tPvRmT1_PNSt15iterator_traitsIS13_E10value_typeET2_T3_PNS14_IS19_E10value_typeET4_jRbjT5_S1F_jjP12ihipStream_tbEUljE_ZNSN_ISO_Lb0ESR_SS_SU_SV_SZ_EES10_S11_S12_S13_S17_S18_S19_S1C_S1D_jS1E_jS1F_S1F_jjS1H_bEUljE0_EEES10_S11_S12_S19_S1D_S1F_T6_T7_T9_mT8_S1H_bDpT10_ENKUlT_T0_E_clISt17integral_constantIbLb0EES1U_IbLb1EEEEDaS1Q_S1R_EUlS1Q_E_NS1_11comp_targetILNS1_3genE2ELNS1_11target_archE906ELNS1_3gpuE6ELNS1_3repE0EEENS1_30default_config_static_selectorELNS0_4arch9wavefront6targetE0EEEvS13_,@function
_ZN7rocprim17ROCPRIM_400000_NS6detail17trampoline_kernelINS0_13select_configILj256ELj13ELNS0_17block_load_methodE3ELS4_3ELS4_3ELNS0_20block_scan_algorithmE0ELj4294967295EEENS1_25partition_config_selectorILNS1_17partition_subalgoE4EjNS0_10empty_typeEbEEZZNS1_14partition_implILS8_4ELb0ES6_15HIP_vector_typeIjLj2EENS0_17counting_iteratorIjlEEPS9_SG_NS0_5tupleIJPjSI_NS0_16reverse_iteratorISI_EEEEENSH_IJSG_SG_SG_EEES9_SI_JZNS1_25segmented_radix_sort_implINS0_14default_configELb0EPK6__halfPSP_PKlPlN2at6native12_GLOBAL__N_18offset_tEEE10hipError_tPvRmT1_PNSt15iterator_traitsIS13_E10value_typeET2_T3_PNS14_IS19_E10value_typeET4_jRbjT5_S1F_jjP12ihipStream_tbEUljE_ZNSN_ISO_Lb0ESR_SS_SU_SV_SZ_EES10_S11_S12_S13_S17_S18_S19_S1C_S1D_jS1E_jS1F_S1F_jjS1H_bEUljE0_EEES10_S11_S12_S19_S1D_S1F_T6_T7_T9_mT8_S1H_bDpT10_ENKUlT_T0_E_clISt17integral_constantIbLb0EES1U_IbLb1EEEEDaS1Q_S1R_EUlS1Q_E_NS1_11comp_targetILNS1_3genE2ELNS1_11target_archE906ELNS1_3gpuE6ELNS1_3repE0EEENS1_30default_config_static_selectorELNS0_4arch9wavefront6targetE0EEEvS13_: ; @_ZN7rocprim17ROCPRIM_400000_NS6detail17trampoline_kernelINS0_13select_configILj256ELj13ELNS0_17block_load_methodE3ELS4_3ELS4_3ELNS0_20block_scan_algorithmE0ELj4294967295EEENS1_25partition_config_selectorILNS1_17partition_subalgoE4EjNS0_10empty_typeEbEEZZNS1_14partition_implILS8_4ELb0ES6_15HIP_vector_typeIjLj2EENS0_17counting_iteratorIjlEEPS9_SG_NS0_5tupleIJPjSI_NS0_16reverse_iteratorISI_EEEEENSH_IJSG_SG_SG_EEES9_SI_JZNS1_25segmented_radix_sort_implINS0_14default_configELb0EPK6__halfPSP_PKlPlN2at6native12_GLOBAL__N_18offset_tEEE10hipError_tPvRmT1_PNSt15iterator_traitsIS13_E10value_typeET2_T3_PNS14_IS19_E10value_typeET4_jRbjT5_S1F_jjP12ihipStream_tbEUljE_ZNSN_ISO_Lb0ESR_SS_SU_SV_SZ_EES10_S11_S12_S13_S17_S18_S19_S1C_S1D_jS1E_jS1F_S1F_jjS1H_bEUljE0_EEES10_S11_S12_S19_S1D_S1F_T6_T7_T9_mT8_S1H_bDpT10_ENKUlT_T0_E_clISt17integral_constantIbLb0EES1U_IbLb1EEEEDaS1Q_S1R_EUlS1Q_E_NS1_11comp_targetILNS1_3genE2ELNS1_11target_archE906ELNS1_3gpuE6ELNS1_3repE0EEENS1_30default_config_static_selectorELNS0_4arch9wavefront6targetE0EEEvS13_
; %bb.0:
	.section	.rodata,"a",@progbits
	.p2align	6, 0x0
	.amdhsa_kernel _ZN7rocprim17ROCPRIM_400000_NS6detail17trampoline_kernelINS0_13select_configILj256ELj13ELNS0_17block_load_methodE3ELS4_3ELS4_3ELNS0_20block_scan_algorithmE0ELj4294967295EEENS1_25partition_config_selectorILNS1_17partition_subalgoE4EjNS0_10empty_typeEbEEZZNS1_14partition_implILS8_4ELb0ES6_15HIP_vector_typeIjLj2EENS0_17counting_iteratorIjlEEPS9_SG_NS0_5tupleIJPjSI_NS0_16reverse_iteratorISI_EEEEENSH_IJSG_SG_SG_EEES9_SI_JZNS1_25segmented_radix_sort_implINS0_14default_configELb0EPK6__halfPSP_PKlPlN2at6native12_GLOBAL__N_18offset_tEEE10hipError_tPvRmT1_PNSt15iterator_traitsIS13_E10value_typeET2_T3_PNS14_IS19_E10value_typeET4_jRbjT5_S1F_jjP12ihipStream_tbEUljE_ZNSN_ISO_Lb0ESR_SS_SU_SV_SZ_EES10_S11_S12_S13_S17_S18_S19_S1C_S1D_jS1E_jS1F_S1F_jjS1H_bEUljE0_EEES10_S11_S12_S19_S1D_S1F_T6_T7_T9_mT8_S1H_bDpT10_ENKUlT_T0_E_clISt17integral_constantIbLb0EES1U_IbLb1EEEEDaS1Q_S1R_EUlS1Q_E_NS1_11comp_targetILNS1_3genE2ELNS1_11target_archE906ELNS1_3gpuE6ELNS1_3repE0EEENS1_30default_config_static_selectorELNS0_4arch9wavefront6targetE0EEEvS13_
		.amdhsa_group_segment_fixed_size 0
		.amdhsa_private_segment_fixed_size 0
		.amdhsa_kernarg_size 184
		.amdhsa_user_sgpr_count 2
		.amdhsa_user_sgpr_dispatch_ptr 0
		.amdhsa_user_sgpr_queue_ptr 0
		.amdhsa_user_sgpr_kernarg_segment_ptr 1
		.amdhsa_user_sgpr_dispatch_id 0
		.amdhsa_user_sgpr_private_segment_size 0
		.amdhsa_wavefront_size32 1
		.amdhsa_uses_dynamic_stack 0
		.amdhsa_enable_private_segment 0
		.amdhsa_system_sgpr_workgroup_id_x 1
		.amdhsa_system_sgpr_workgroup_id_y 0
		.amdhsa_system_sgpr_workgroup_id_z 0
		.amdhsa_system_sgpr_workgroup_info 0
		.amdhsa_system_vgpr_workitem_id 0
		.amdhsa_next_free_vgpr 1
		.amdhsa_next_free_sgpr 1
		.amdhsa_reserve_vcc 0
		.amdhsa_float_round_mode_32 0
		.amdhsa_float_round_mode_16_64 0
		.amdhsa_float_denorm_mode_32 3
		.amdhsa_float_denorm_mode_16_64 3
		.amdhsa_fp16_overflow 0
		.amdhsa_workgroup_processor_mode 1
		.amdhsa_memory_ordered 1
		.amdhsa_forward_progress 1
		.amdhsa_inst_pref_size 0
		.amdhsa_round_robin_scheduling 0
		.amdhsa_exception_fp_ieee_invalid_op 0
		.amdhsa_exception_fp_denorm_src 0
		.amdhsa_exception_fp_ieee_div_zero 0
		.amdhsa_exception_fp_ieee_overflow 0
		.amdhsa_exception_fp_ieee_underflow 0
		.amdhsa_exception_fp_ieee_inexact 0
		.amdhsa_exception_int_div_zero 0
	.end_amdhsa_kernel
	.section	.text._ZN7rocprim17ROCPRIM_400000_NS6detail17trampoline_kernelINS0_13select_configILj256ELj13ELNS0_17block_load_methodE3ELS4_3ELS4_3ELNS0_20block_scan_algorithmE0ELj4294967295EEENS1_25partition_config_selectorILNS1_17partition_subalgoE4EjNS0_10empty_typeEbEEZZNS1_14partition_implILS8_4ELb0ES6_15HIP_vector_typeIjLj2EENS0_17counting_iteratorIjlEEPS9_SG_NS0_5tupleIJPjSI_NS0_16reverse_iteratorISI_EEEEENSH_IJSG_SG_SG_EEES9_SI_JZNS1_25segmented_radix_sort_implINS0_14default_configELb0EPK6__halfPSP_PKlPlN2at6native12_GLOBAL__N_18offset_tEEE10hipError_tPvRmT1_PNSt15iterator_traitsIS13_E10value_typeET2_T3_PNS14_IS19_E10value_typeET4_jRbjT5_S1F_jjP12ihipStream_tbEUljE_ZNSN_ISO_Lb0ESR_SS_SU_SV_SZ_EES10_S11_S12_S13_S17_S18_S19_S1C_S1D_jS1E_jS1F_S1F_jjS1H_bEUljE0_EEES10_S11_S12_S19_S1D_S1F_T6_T7_T9_mT8_S1H_bDpT10_ENKUlT_T0_E_clISt17integral_constantIbLb0EES1U_IbLb1EEEEDaS1Q_S1R_EUlS1Q_E_NS1_11comp_targetILNS1_3genE2ELNS1_11target_archE906ELNS1_3gpuE6ELNS1_3repE0EEENS1_30default_config_static_selectorELNS0_4arch9wavefront6targetE0EEEvS13_,"axG",@progbits,_ZN7rocprim17ROCPRIM_400000_NS6detail17trampoline_kernelINS0_13select_configILj256ELj13ELNS0_17block_load_methodE3ELS4_3ELS4_3ELNS0_20block_scan_algorithmE0ELj4294967295EEENS1_25partition_config_selectorILNS1_17partition_subalgoE4EjNS0_10empty_typeEbEEZZNS1_14partition_implILS8_4ELb0ES6_15HIP_vector_typeIjLj2EENS0_17counting_iteratorIjlEEPS9_SG_NS0_5tupleIJPjSI_NS0_16reverse_iteratorISI_EEEEENSH_IJSG_SG_SG_EEES9_SI_JZNS1_25segmented_radix_sort_implINS0_14default_configELb0EPK6__halfPSP_PKlPlN2at6native12_GLOBAL__N_18offset_tEEE10hipError_tPvRmT1_PNSt15iterator_traitsIS13_E10value_typeET2_T3_PNS14_IS19_E10value_typeET4_jRbjT5_S1F_jjP12ihipStream_tbEUljE_ZNSN_ISO_Lb0ESR_SS_SU_SV_SZ_EES10_S11_S12_S13_S17_S18_S19_S1C_S1D_jS1E_jS1F_S1F_jjS1H_bEUljE0_EEES10_S11_S12_S19_S1D_S1F_T6_T7_T9_mT8_S1H_bDpT10_ENKUlT_T0_E_clISt17integral_constantIbLb0EES1U_IbLb1EEEEDaS1Q_S1R_EUlS1Q_E_NS1_11comp_targetILNS1_3genE2ELNS1_11target_archE906ELNS1_3gpuE6ELNS1_3repE0EEENS1_30default_config_static_selectorELNS0_4arch9wavefront6targetE0EEEvS13_,comdat
.Lfunc_end1806:
	.size	_ZN7rocprim17ROCPRIM_400000_NS6detail17trampoline_kernelINS0_13select_configILj256ELj13ELNS0_17block_load_methodE3ELS4_3ELS4_3ELNS0_20block_scan_algorithmE0ELj4294967295EEENS1_25partition_config_selectorILNS1_17partition_subalgoE4EjNS0_10empty_typeEbEEZZNS1_14partition_implILS8_4ELb0ES6_15HIP_vector_typeIjLj2EENS0_17counting_iteratorIjlEEPS9_SG_NS0_5tupleIJPjSI_NS0_16reverse_iteratorISI_EEEEENSH_IJSG_SG_SG_EEES9_SI_JZNS1_25segmented_radix_sort_implINS0_14default_configELb0EPK6__halfPSP_PKlPlN2at6native12_GLOBAL__N_18offset_tEEE10hipError_tPvRmT1_PNSt15iterator_traitsIS13_E10value_typeET2_T3_PNS14_IS19_E10value_typeET4_jRbjT5_S1F_jjP12ihipStream_tbEUljE_ZNSN_ISO_Lb0ESR_SS_SU_SV_SZ_EES10_S11_S12_S13_S17_S18_S19_S1C_S1D_jS1E_jS1F_S1F_jjS1H_bEUljE0_EEES10_S11_S12_S19_S1D_S1F_T6_T7_T9_mT8_S1H_bDpT10_ENKUlT_T0_E_clISt17integral_constantIbLb0EES1U_IbLb1EEEEDaS1Q_S1R_EUlS1Q_E_NS1_11comp_targetILNS1_3genE2ELNS1_11target_archE906ELNS1_3gpuE6ELNS1_3repE0EEENS1_30default_config_static_selectorELNS0_4arch9wavefront6targetE0EEEvS13_, .Lfunc_end1806-_ZN7rocprim17ROCPRIM_400000_NS6detail17trampoline_kernelINS0_13select_configILj256ELj13ELNS0_17block_load_methodE3ELS4_3ELS4_3ELNS0_20block_scan_algorithmE0ELj4294967295EEENS1_25partition_config_selectorILNS1_17partition_subalgoE4EjNS0_10empty_typeEbEEZZNS1_14partition_implILS8_4ELb0ES6_15HIP_vector_typeIjLj2EENS0_17counting_iteratorIjlEEPS9_SG_NS0_5tupleIJPjSI_NS0_16reverse_iteratorISI_EEEEENSH_IJSG_SG_SG_EEES9_SI_JZNS1_25segmented_radix_sort_implINS0_14default_configELb0EPK6__halfPSP_PKlPlN2at6native12_GLOBAL__N_18offset_tEEE10hipError_tPvRmT1_PNSt15iterator_traitsIS13_E10value_typeET2_T3_PNS14_IS19_E10value_typeET4_jRbjT5_S1F_jjP12ihipStream_tbEUljE_ZNSN_ISO_Lb0ESR_SS_SU_SV_SZ_EES10_S11_S12_S13_S17_S18_S19_S1C_S1D_jS1E_jS1F_S1F_jjS1H_bEUljE0_EEES10_S11_S12_S19_S1D_S1F_T6_T7_T9_mT8_S1H_bDpT10_ENKUlT_T0_E_clISt17integral_constantIbLb0EES1U_IbLb1EEEEDaS1Q_S1R_EUlS1Q_E_NS1_11comp_targetILNS1_3genE2ELNS1_11target_archE906ELNS1_3gpuE6ELNS1_3repE0EEENS1_30default_config_static_selectorELNS0_4arch9wavefront6targetE0EEEvS13_
                                        ; -- End function
	.set _ZN7rocprim17ROCPRIM_400000_NS6detail17trampoline_kernelINS0_13select_configILj256ELj13ELNS0_17block_load_methodE3ELS4_3ELS4_3ELNS0_20block_scan_algorithmE0ELj4294967295EEENS1_25partition_config_selectorILNS1_17partition_subalgoE4EjNS0_10empty_typeEbEEZZNS1_14partition_implILS8_4ELb0ES6_15HIP_vector_typeIjLj2EENS0_17counting_iteratorIjlEEPS9_SG_NS0_5tupleIJPjSI_NS0_16reverse_iteratorISI_EEEEENSH_IJSG_SG_SG_EEES9_SI_JZNS1_25segmented_radix_sort_implINS0_14default_configELb0EPK6__halfPSP_PKlPlN2at6native12_GLOBAL__N_18offset_tEEE10hipError_tPvRmT1_PNSt15iterator_traitsIS13_E10value_typeET2_T3_PNS14_IS19_E10value_typeET4_jRbjT5_S1F_jjP12ihipStream_tbEUljE_ZNSN_ISO_Lb0ESR_SS_SU_SV_SZ_EES10_S11_S12_S13_S17_S18_S19_S1C_S1D_jS1E_jS1F_S1F_jjS1H_bEUljE0_EEES10_S11_S12_S19_S1D_S1F_T6_T7_T9_mT8_S1H_bDpT10_ENKUlT_T0_E_clISt17integral_constantIbLb0EES1U_IbLb1EEEEDaS1Q_S1R_EUlS1Q_E_NS1_11comp_targetILNS1_3genE2ELNS1_11target_archE906ELNS1_3gpuE6ELNS1_3repE0EEENS1_30default_config_static_selectorELNS0_4arch9wavefront6targetE0EEEvS13_.num_vgpr, 0
	.set _ZN7rocprim17ROCPRIM_400000_NS6detail17trampoline_kernelINS0_13select_configILj256ELj13ELNS0_17block_load_methodE3ELS4_3ELS4_3ELNS0_20block_scan_algorithmE0ELj4294967295EEENS1_25partition_config_selectorILNS1_17partition_subalgoE4EjNS0_10empty_typeEbEEZZNS1_14partition_implILS8_4ELb0ES6_15HIP_vector_typeIjLj2EENS0_17counting_iteratorIjlEEPS9_SG_NS0_5tupleIJPjSI_NS0_16reverse_iteratorISI_EEEEENSH_IJSG_SG_SG_EEES9_SI_JZNS1_25segmented_radix_sort_implINS0_14default_configELb0EPK6__halfPSP_PKlPlN2at6native12_GLOBAL__N_18offset_tEEE10hipError_tPvRmT1_PNSt15iterator_traitsIS13_E10value_typeET2_T3_PNS14_IS19_E10value_typeET4_jRbjT5_S1F_jjP12ihipStream_tbEUljE_ZNSN_ISO_Lb0ESR_SS_SU_SV_SZ_EES10_S11_S12_S13_S17_S18_S19_S1C_S1D_jS1E_jS1F_S1F_jjS1H_bEUljE0_EEES10_S11_S12_S19_S1D_S1F_T6_T7_T9_mT8_S1H_bDpT10_ENKUlT_T0_E_clISt17integral_constantIbLb0EES1U_IbLb1EEEEDaS1Q_S1R_EUlS1Q_E_NS1_11comp_targetILNS1_3genE2ELNS1_11target_archE906ELNS1_3gpuE6ELNS1_3repE0EEENS1_30default_config_static_selectorELNS0_4arch9wavefront6targetE0EEEvS13_.num_agpr, 0
	.set _ZN7rocprim17ROCPRIM_400000_NS6detail17trampoline_kernelINS0_13select_configILj256ELj13ELNS0_17block_load_methodE3ELS4_3ELS4_3ELNS0_20block_scan_algorithmE0ELj4294967295EEENS1_25partition_config_selectorILNS1_17partition_subalgoE4EjNS0_10empty_typeEbEEZZNS1_14partition_implILS8_4ELb0ES6_15HIP_vector_typeIjLj2EENS0_17counting_iteratorIjlEEPS9_SG_NS0_5tupleIJPjSI_NS0_16reverse_iteratorISI_EEEEENSH_IJSG_SG_SG_EEES9_SI_JZNS1_25segmented_radix_sort_implINS0_14default_configELb0EPK6__halfPSP_PKlPlN2at6native12_GLOBAL__N_18offset_tEEE10hipError_tPvRmT1_PNSt15iterator_traitsIS13_E10value_typeET2_T3_PNS14_IS19_E10value_typeET4_jRbjT5_S1F_jjP12ihipStream_tbEUljE_ZNSN_ISO_Lb0ESR_SS_SU_SV_SZ_EES10_S11_S12_S13_S17_S18_S19_S1C_S1D_jS1E_jS1F_S1F_jjS1H_bEUljE0_EEES10_S11_S12_S19_S1D_S1F_T6_T7_T9_mT8_S1H_bDpT10_ENKUlT_T0_E_clISt17integral_constantIbLb0EES1U_IbLb1EEEEDaS1Q_S1R_EUlS1Q_E_NS1_11comp_targetILNS1_3genE2ELNS1_11target_archE906ELNS1_3gpuE6ELNS1_3repE0EEENS1_30default_config_static_selectorELNS0_4arch9wavefront6targetE0EEEvS13_.numbered_sgpr, 0
	.set _ZN7rocprim17ROCPRIM_400000_NS6detail17trampoline_kernelINS0_13select_configILj256ELj13ELNS0_17block_load_methodE3ELS4_3ELS4_3ELNS0_20block_scan_algorithmE0ELj4294967295EEENS1_25partition_config_selectorILNS1_17partition_subalgoE4EjNS0_10empty_typeEbEEZZNS1_14partition_implILS8_4ELb0ES6_15HIP_vector_typeIjLj2EENS0_17counting_iteratorIjlEEPS9_SG_NS0_5tupleIJPjSI_NS0_16reverse_iteratorISI_EEEEENSH_IJSG_SG_SG_EEES9_SI_JZNS1_25segmented_radix_sort_implINS0_14default_configELb0EPK6__halfPSP_PKlPlN2at6native12_GLOBAL__N_18offset_tEEE10hipError_tPvRmT1_PNSt15iterator_traitsIS13_E10value_typeET2_T3_PNS14_IS19_E10value_typeET4_jRbjT5_S1F_jjP12ihipStream_tbEUljE_ZNSN_ISO_Lb0ESR_SS_SU_SV_SZ_EES10_S11_S12_S13_S17_S18_S19_S1C_S1D_jS1E_jS1F_S1F_jjS1H_bEUljE0_EEES10_S11_S12_S19_S1D_S1F_T6_T7_T9_mT8_S1H_bDpT10_ENKUlT_T0_E_clISt17integral_constantIbLb0EES1U_IbLb1EEEEDaS1Q_S1R_EUlS1Q_E_NS1_11comp_targetILNS1_3genE2ELNS1_11target_archE906ELNS1_3gpuE6ELNS1_3repE0EEENS1_30default_config_static_selectorELNS0_4arch9wavefront6targetE0EEEvS13_.num_named_barrier, 0
	.set _ZN7rocprim17ROCPRIM_400000_NS6detail17trampoline_kernelINS0_13select_configILj256ELj13ELNS0_17block_load_methodE3ELS4_3ELS4_3ELNS0_20block_scan_algorithmE0ELj4294967295EEENS1_25partition_config_selectorILNS1_17partition_subalgoE4EjNS0_10empty_typeEbEEZZNS1_14partition_implILS8_4ELb0ES6_15HIP_vector_typeIjLj2EENS0_17counting_iteratorIjlEEPS9_SG_NS0_5tupleIJPjSI_NS0_16reverse_iteratorISI_EEEEENSH_IJSG_SG_SG_EEES9_SI_JZNS1_25segmented_radix_sort_implINS0_14default_configELb0EPK6__halfPSP_PKlPlN2at6native12_GLOBAL__N_18offset_tEEE10hipError_tPvRmT1_PNSt15iterator_traitsIS13_E10value_typeET2_T3_PNS14_IS19_E10value_typeET4_jRbjT5_S1F_jjP12ihipStream_tbEUljE_ZNSN_ISO_Lb0ESR_SS_SU_SV_SZ_EES10_S11_S12_S13_S17_S18_S19_S1C_S1D_jS1E_jS1F_S1F_jjS1H_bEUljE0_EEES10_S11_S12_S19_S1D_S1F_T6_T7_T9_mT8_S1H_bDpT10_ENKUlT_T0_E_clISt17integral_constantIbLb0EES1U_IbLb1EEEEDaS1Q_S1R_EUlS1Q_E_NS1_11comp_targetILNS1_3genE2ELNS1_11target_archE906ELNS1_3gpuE6ELNS1_3repE0EEENS1_30default_config_static_selectorELNS0_4arch9wavefront6targetE0EEEvS13_.private_seg_size, 0
	.set _ZN7rocprim17ROCPRIM_400000_NS6detail17trampoline_kernelINS0_13select_configILj256ELj13ELNS0_17block_load_methodE3ELS4_3ELS4_3ELNS0_20block_scan_algorithmE0ELj4294967295EEENS1_25partition_config_selectorILNS1_17partition_subalgoE4EjNS0_10empty_typeEbEEZZNS1_14partition_implILS8_4ELb0ES6_15HIP_vector_typeIjLj2EENS0_17counting_iteratorIjlEEPS9_SG_NS0_5tupleIJPjSI_NS0_16reverse_iteratorISI_EEEEENSH_IJSG_SG_SG_EEES9_SI_JZNS1_25segmented_radix_sort_implINS0_14default_configELb0EPK6__halfPSP_PKlPlN2at6native12_GLOBAL__N_18offset_tEEE10hipError_tPvRmT1_PNSt15iterator_traitsIS13_E10value_typeET2_T3_PNS14_IS19_E10value_typeET4_jRbjT5_S1F_jjP12ihipStream_tbEUljE_ZNSN_ISO_Lb0ESR_SS_SU_SV_SZ_EES10_S11_S12_S13_S17_S18_S19_S1C_S1D_jS1E_jS1F_S1F_jjS1H_bEUljE0_EEES10_S11_S12_S19_S1D_S1F_T6_T7_T9_mT8_S1H_bDpT10_ENKUlT_T0_E_clISt17integral_constantIbLb0EES1U_IbLb1EEEEDaS1Q_S1R_EUlS1Q_E_NS1_11comp_targetILNS1_3genE2ELNS1_11target_archE906ELNS1_3gpuE6ELNS1_3repE0EEENS1_30default_config_static_selectorELNS0_4arch9wavefront6targetE0EEEvS13_.uses_vcc, 0
	.set _ZN7rocprim17ROCPRIM_400000_NS6detail17trampoline_kernelINS0_13select_configILj256ELj13ELNS0_17block_load_methodE3ELS4_3ELS4_3ELNS0_20block_scan_algorithmE0ELj4294967295EEENS1_25partition_config_selectorILNS1_17partition_subalgoE4EjNS0_10empty_typeEbEEZZNS1_14partition_implILS8_4ELb0ES6_15HIP_vector_typeIjLj2EENS0_17counting_iteratorIjlEEPS9_SG_NS0_5tupleIJPjSI_NS0_16reverse_iteratorISI_EEEEENSH_IJSG_SG_SG_EEES9_SI_JZNS1_25segmented_radix_sort_implINS0_14default_configELb0EPK6__halfPSP_PKlPlN2at6native12_GLOBAL__N_18offset_tEEE10hipError_tPvRmT1_PNSt15iterator_traitsIS13_E10value_typeET2_T3_PNS14_IS19_E10value_typeET4_jRbjT5_S1F_jjP12ihipStream_tbEUljE_ZNSN_ISO_Lb0ESR_SS_SU_SV_SZ_EES10_S11_S12_S13_S17_S18_S19_S1C_S1D_jS1E_jS1F_S1F_jjS1H_bEUljE0_EEES10_S11_S12_S19_S1D_S1F_T6_T7_T9_mT8_S1H_bDpT10_ENKUlT_T0_E_clISt17integral_constantIbLb0EES1U_IbLb1EEEEDaS1Q_S1R_EUlS1Q_E_NS1_11comp_targetILNS1_3genE2ELNS1_11target_archE906ELNS1_3gpuE6ELNS1_3repE0EEENS1_30default_config_static_selectorELNS0_4arch9wavefront6targetE0EEEvS13_.uses_flat_scratch, 0
	.set _ZN7rocprim17ROCPRIM_400000_NS6detail17trampoline_kernelINS0_13select_configILj256ELj13ELNS0_17block_load_methodE3ELS4_3ELS4_3ELNS0_20block_scan_algorithmE0ELj4294967295EEENS1_25partition_config_selectorILNS1_17partition_subalgoE4EjNS0_10empty_typeEbEEZZNS1_14partition_implILS8_4ELb0ES6_15HIP_vector_typeIjLj2EENS0_17counting_iteratorIjlEEPS9_SG_NS0_5tupleIJPjSI_NS0_16reverse_iteratorISI_EEEEENSH_IJSG_SG_SG_EEES9_SI_JZNS1_25segmented_radix_sort_implINS0_14default_configELb0EPK6__halfPSP_PKlPlN2at6native12_GLOBAL__N_18offset_tEEE10hipError_tPvRmT1_PNSt15iterator_traitsIS13_E10value_typeET2_T3_PNS14_IS19_E10value_typeET4_jRbjT5_S1F_jjP12ihipStream_tbEUljE_ZNSN_ISO_Lb0ESR_SS_SU_SV_SZ_EES10_S11_S12_S13_S17_S18_S19_S1C_S1D_jS1E_jS1F_S1F_jjS1H_bEUljE0_EEES10_S11_S12_S19_S1D_S1F_T6_T7_T9_mT8_S1H_bDpT10_ENKUlT_T0_E_clISt17integral_constantIbLb0EES1U_IbLb1EEEEDaS1Q_S1R_EUlS1Q_E_NS1_11comp_targetILNS1_3genE2ELNS1_11target_archE906ELNS1_3gpuE6ELNS1_3repE0EEENS1_30default_config_static_selectorELNS0_4arch9wavefront6targetE0EEEvS13_.has_dyn_sized_stack, 0
	.set _ZN7rocprim17ROCPRIM_400000_NS6detail17trampoline_kernelINS0_13select_configILj256ELj13ELNS0_17block_load_methodE3ELS4_3ELS4_3ELNS0_20block_scan_algorithmE0ELj4294967295EEENS1_25partition_config_selectorILNS1_17partition_subalgoE4EjNS0_10empty_typeEbEEZZNS1_14partition_implILS8_4ELb0ES6_15HIP_vector_typeIjLj2EENS0_17counting_iteratorIjlEEPS9_SG_NS0_5tupleIJPjSI_NS0_16reverse_iteratorISI_EEEEENSH_IJSG_SG_SG_EEES9_SI_JZNS1_25segmented_radix_sort_implINS0_14default_configELb0EPK6__halfPSP_PKlPlN2at6native12_GLOBAL__N_18offset_tEEE10hipError_tPvRmT1_PNSt15iterator_traitsIS13_E10value_typeET2_T3_PNS14_IS19_E10value_typeET4_jRbjT5_S1F_jjP12ihipStream_tbEUljE_ZNSN_ISO_Lb0ESR_SS_SU_SV_SZ_EES10_S11_S12_S13_S17_S18_S19_S1C_S1D_jS1E_jS1F_S1F_jjS1H_bEUljE0_EEES10_S11_S12_S19_S1D_S1F_T6_T7_T9_mT8_S1H_bDpT10_ENKUlT_T0_E_clISt17integral_constantIbLb0EES1U_IbLb1EEEEDaS1Q_S1R_EUlS1Q_E_NS1_11comp_targetILNS1_3genE2ELNS1_11target_archE906ELNS1_3gpuE6ELNS1_3repE0EEENS1_30default_config_static_selectorELNS0_4arch9wavefront6targetE0EEEvS13_.has_recursion, 0
	.set _ZN7rocprim17ROCPRIM_400000_NS6detail17trampoline_kernelINS0_13select_configILj256ELj13ELNS0_17block_load_methodE3ELS4_3ELS4_3ELNS0_20block_scan_algorithmE0ELj4294967295EEENS1_25partition_config_selectorILNS1_17partition_subalgoE4EjNS0_10empty_typeEbEEZZNS1_14partition_implILS8_4ELb0ES6_15HIP_vector_typeIjLj2EENS0_17counting_iteratorIjlEEPS9_SG_NS0_5tupleIJPjSI_NS0_16reverse_iteratorISI_EEEEENSH_IJSG_SG_SG_EEES9_SI_JZNS1_25segmented_radix_sort_implINS0_14default_configELb0EPK6__halfPSP_PKlPlN2at6native12_GLOBAL__N_18offset_tEEE10hipError_tPvRmT1_PNSt15iterator_traitsIS13_E10value_typeET2_T3_PNS14_IS19_E10value_typeET4_jRbjT5_S1F_jjP12ihipStream_tbEUljE_ZNSN_ISO_Lb0ESR_SS_SU_SV_SZ_EES10_S11_S12_S13_S17_S18_S19_S1C_S1D_jS1E_jS1F_S1F_jjS1H_bEUljE0_EEES10_S11_S12_S19_S1D_S1F_T6_T7_T9_mT8_S1H_bDpT10_ENKUlT_T0_E_clISt17integral_constantIbLb0EES1U_IbLb1EEEEDaS1Q_S1R_EUlS1Q_E_NS1_11comp_targetILNS1_3genE2ELNS1_11target_archE906ELNS1_3gpuE6ELNS1_3repE0EEENS1_30default_config_static_selectorELNS0_4arch9wavefront6targetE0EEEvS13_.has_indirect_call, 0
	.section	.AMDGPU.csdata,"",@progbits
; Kernel info:
; codeLenInByte = 0
; TotalNumSgprs: 0
; NumVgprs: 0
; ScratchSize: 0
; MemoryBound: 0
; FloatMode: 240
; IeeeMode: 1
; LDSByteSize: 0 bytes/workgroup (compile time only)
; SGPRBlocks: 0
; VGPRBlocks: 0
; NumSGPRsForWavesPerEU: 1
; NumVGPRsForWavesPerEU: 1
; Occupancy: 16
; WaveLimiterHint : 0
; COMPUTE_PGM_RSRC2:SCRATCH_EN: 0
; COMPUTE_PGM_RSRC2:USER_SGPR: 2
; COMPUTE_PGM_RSRC2:TRAP_HANDLER: 0
; COMPUTE_PGM_RSRC2:TGID_X_EN: 1
; COMPUTE_PGM_RSRC2:TGID_Y_EN: 0
; COMPUTE_PGM_RSRC2:TGID_Z_EN: 0
; COMPUTE_PGM_RSRC2:TIDIG_COMP_CNT: 0
	.section	.text._ZN7rocprim17ROCPRIM_400000_NS6detail17trampoline_kernelINS0_13select_configILj256ELj13ELNS0_17block_load_methodE3ELS4_3ELS4_3ELNS0_20block_scan_algorithmE0ELj4294967295EEENS1_25partition_config_selectorILNS1_17partition_subalgoE4EjNS0_10empty_typeEbEEZZNS1_14partition_implILS8_4ELb0ES6_15HIP_vector_typeIjLj2EENS0_17counting_iteratorIjlEEPS9_SG_NS0_5tupleIJPjSI_NS0_16reverse_iteratorISI_EEEEENSH_IJSG_SG_SG_EEES9_SI_JZNS1_25segmented_radix_sort_implINS0_14default_configELb0EPK6__halfPSP_PKlPlN2at6native12_GLOBAL__N_18offset_tEEE10hipError_tPvRmT1_PNSt15iterator_traitsIS13_E10value_typeET2_T3_PNS14_IS19_E10value_typeET4_jRbjT5_S1F_jjP12ihipStream_tbEUljE_ZNSN_ISO_Lb0ESR_SS_SU_SV_SZ_EES10_S11_S12_S13_S17_S18_S19_S1C_S1D_jS1E_jS1F_S1F_jjS1H_bEUljE0_EEES10_S11_S12_S19_S1D_S1F_T6_T7_T9_mT8_S1H_bDpT10_ENKUlT_T0_E_clISt17integral_constantIbLb0EES1U_IbLb1EEEEDaS1Q_S1R_EUlS1Q_E_NS1_11comp_targetILNS1_3genE10ELNS1_11target_archE1200ELNS1_3gpuE4ELNS1_3repE0EEENS1_30default_config_static_selectorELNS0_4arch9wavefront6targetE0EEEvS13_,"axG",@progbits,_ZN7rocprim17ROCPRIM_400000_NS6detail17trampoline_kernelINS0_13select_configILj256ELj13ELNS0_17block_load_methodE3ELS4_3ELS4_3ELNS0_20block_scan_algorithmE0ELj4294967295EEENS1_25partition_config_selectorILNS1_17partition_subalgoE4EjNS0_10empty_typeEbEEZZNS1_14partition_implILS8_4ELb0ES6_15HIP_vector_typeIjLj2EENS0_17counting_iteratorIjlEEPS9_SG_NS0_5tupleIJPjSI_NS0_16reverse_iteratorISI_EEEEENSH_IJSG_SG_SG_EEES9_SI_JZNS1_25segmented_radix_sort_implINS0_14default_configELb0EPK6__halfPSP_PKlPlN2at6native12_GLOBAL__N_18offset_tEEE10hipError_tPvRmT1_PNSt15iterator_traitsIS13_E10value_typeET2_T3_PNS14_IS19_E10value_typeET4_jRbjT5_S1F_jjP12ihipStream_tbEUljE_ZNSN_ISO_Lb0ESR_SS_SU_SV_SZ_EES10_S11_S12_S13_S17_S18_S19_S1C_S1D_jS1E_jS1F_S1F_jjS1H_bEUljE0_EEES10_S11_S12_S19_S1D_S1F_T6_T7_T9_mT8_S1H_bDpT10_ENKUlT_T0_E_clISt17integral_constantIbLb0EES1U_IbLb1EEEEDaS1Q_S1R_EUlS1Q_E_NS1_11comp_targetILNS1_3genE10ELNS1_11target_archE1200ELNS1_3gpuE4ELNS1_3repE0EEENS1_30default_config_static_selectorELNS0_4arch9wavefront6targetE0EEEvS13_,comdat
	.globl	_ZN7rocprim17ROCPRIM_400000_NS6detail17trampoline_kernelINS0_13select_configILj256ELj13ELNS0_17block_load_methodE3ELS4_3ELS4_3ELNS0_20block_scan_algorithmE0ELj4294967295EEENS1_25partition_config_selectorILNS1_17partition_subalgoE4EjNS0_10empty_typeEbEEZZNS1_14partition_implILS8_4ELb0ES6_15HIP_vector_typeIjLj2EENS0_17counting_iteratorIjlEEPS9_SG_NS0_5tupleIJPjSI_NS0_16reverse_iteratorISI_EEEEENSH_IJSG_SG_SG_EEES9_SI_JZNS1_25segmented_radix_sort_implINS0_14default_configELb0EPK6__halfPSP_PKlPlN2at6native12_GLOBAL__N_18offset_tEEE10hipError_tPvRmT1_PNSt15iterator_traitsIS13_E10value_typeET2_T3_PNS14_IS19_E10value_typeET4_jRbjT5_S1F_jjP12ihipStream_tbEUljE_ZNSN_ISO_Lb0ESR_SS_SU_SV_SZ_EES10_S11_S12_S13_S17_S18_S19_S1C_S1D_jS1E_jS1F_S1F_jjS1H_bEUljE0_EEES10_S11_S12_S19_S1D_S1F_T6_T7_T9_mT8_S1H_bDpT10_ENKUlT_T0_E_clISt17integral_constantIbLb0EES1U_IbLb1EEEEDaS1Q_S1R_EUlS1Q_E_NS1_11comp_targetILNS1_3genE10ELNS1_11target_archE1200ELNS1_3gpuE4ELNS1_3repE0EEENS1_30default_config_static_selectorELNS0_4arch9wavefront6targetE0EEEvS13_ ; -- Begin function _ZN7rocprim17ROCPRIM_400000_NS6detail17trampoline_kernelINS0_13select_configILj256ELj13ELNS0_17block_load_methodE3ELS4_3ELS4_3ELNS0_20block_scan_algorithmE0ELj4294967295EEENS1_25partition_config_selectorILNS1_17partition_subalgoE4EjNS0_10empty_typeEbEEZZNS1_14partition_implILS8_4ELb0ES6_15HIP_vector_typeIjLj2EENS0_17counting_iteratorIjlEEPS9_SG_NS0_5tupleIJPjSI_NS0_16reverse_iteratorISI_EEEEENSH_IJSG_SG_SG_EEES9_SI_JZNS1_25segmented_radix_sort_implINS0_14default_configELb0EPK6__halfPSP_PKlPlN2at6native12_GLOBAL__N_18offset_tEEE10hipError_tPvRmT1_PNSt15iterator_traitsIS13_E10value_typeET2_T3_PNS14_IS19_E10value_typeET4_jRbjT5_S1F_jjP12ihipStream_tbEUljE_ZNSN_ISO_Lb0ESR_SS_SU_SV_SZ_EES10_S11_S12_S13_S17_S18_S19_S1C_S1D_jS1E_jS1F_S1F_jjS1H_bEUljE0_EEES10_S11_S12_S19_S1D_S1F_T6_T7_T9_mT8_S1H_bDpT10_ENKUlT_T0_E_clISt17integral_constantIbLb0EES1U_IbLb1EEEEDaS1Q_S1R_EUlS1Q_E_NS1_11comp_targetILNS1_3genE10ELNS1_11target_archE1200ELNS1_3gpuE4ELNS1_3repE0EEENS1_30default_config_static_selectorELNS0_4arch9wavefront6targetE0EEEvS13_
	.p2align	8
	.type	_ZN7rocprim17ROCPRIM_400000_NS6detail17trampoline_kernelINS0_13select_configILj256ELj13ELNS0_17block_load_methodE3ELS4_3ELS4_3ELNS0_20block_scan_algorithmE0ELj4294967295EEENS1_25partition_config_selectorILNS1_17partition_subalgoE4EjNS0_10empty_typeEbEEZZNS1_14partition_implILS8_4ELb0ES6_15HIP_vector_typeIjLj2EENS0_17counting_iteratorIjlEEPS9_SG_NS0_5tupleIJPjSI_NS0_16reverse_iteratorISI_EEEEENSH_IJSG_SG_SG_EEES9_SI_JZNS1_25segmented_radix_sort_implINS0_14default_configELb0EPK6__halfPSP_PKlPlN2at6native12_GLOBAL__N_18offset_tEEE10hipError_tPvRmT1_PNSt15iterator_traitsIS13_E10value_typeET2_T3_PNS14_IS19_E10value_typeET4_jRbjT5_S1F_jjP12ihipStream_tbEUljE_ZNSN_ISO_Lb0ESR_SS_SU_SV_SZ_EES10_S11_S12_S13_S17_S18_S19_S1C_S1D_jS1E_jS1F_S1F_jjS1H_bEUljE0_EEES10_S11_S12_S19_S1D_S1F_T6_T7_T9_mT8_S1H_bDpT10_ENKUlT_T0_E_clISt17integral_constantIbLb0EES1U_IbLb1EEEEDaS1Q_S1R_EUlS1Q_E_NS1_11comp_targetILNS1_3genE10ELNS1_11target_archE1200ELNS1_3gpuE4ELNS1_3repE0EEENS1_30default_config_static_selectorELNS0_4arch9wavefront6targetE0EEEvS13_,@function
_ZN7rocprim17ROCPRIM_400000_NS6detail17trampoline_kernelINS0_13select_configILj256ELj13ELNS0_17block_load_methodE3ELS4_3ELS4_3ELNS0_20block_scan_algorithmE0ELj4294967295EEENS1_25partition_config_selectorILNS1_17partition_subalgoE4EjNS0_10empty_typeEbEEZZNS1_14partition_implILS8_4ELb0ES6_15HIP_vector_typeIjLj2EENS0_17counting_iteratorIjlEEPS9_SG_NS0_5tupleIJPjSI_NS0_16reverse_iteratorISI_EEEEENSH_IJSG_SG_SG_EEES9_SI_JZNS1_25segmented_radix_sort_implINS0_14default_configELb0EPK6__halfPSP_PKlPlN2at6native12_GLOBAL__N_18offset_tEEE10hipError_tPvRmT1_PNSt15iterator_traitsIS13_E10value_typeET2_T3_PNS14_IS19_E10value_typeET4_jRbjT5_S1F_jjP12ihipStream_tbEUljE_ZNSN_ISO_Lb0ESR_SS_SU_SV_SZ_EES10_S11_S12_S13_S17_S18_S19_S1C_S1D_jS1E_jS1F_S1F_jjS1H_bEUljE0_EEES10_S11_S12_S19_S1D_S1F_T6_T7_T9_mT8_S1H_bDpT10_ENKUlT_T0_E_clISt17integral_constantIbLb0EES1U_IbLb1EEEEDaS1Q_S1R_EUlS1Q_E_NS1_11comp_targetILNS1_3genE10ELNS1_11target_archE1200ELNS1_3gpuE4ELNS1_3repE0EEENS1_30default_config_static_selectorELNS0_4arch9wavefront6targetE0EEEvS13_: ; @_ZN7rocprim17ROCPRIM_400000_NS6detail17trampoline_kernelINS0_13select_configILj256ELj13ELNS0_17block_load_methodE3ELS4_3ELS4_3ELNS0_20block_scan_algorithmE0ELj4294967295EEENS1_25partition_config_selectorILNS1_17partition_subalgoE4EjNS0_10empty_typeEbEEZZNS1_14partition_implILS8_4ELb0ES6_15HIP_vector_typeIjLj2EENS0_17counting_iteratorIjlEEPS9_SG_NS0_5tupleIJPjSI_NS0_16reverse_iteratorISI_EEEEENSH_IJSG_SG_SG_EEES9_SI_JZNS1_25segmented_radix_sort_implINS0_14default_configELb0EPK6__halfPSP_PKlPlN2at6native12_GLOBAL__N_18offset_tEEE10hipError_tPvRmT1_PNSt15iterator_traitsIS13_E10value_typeET2_T3_PNS14_IS19_E10value_typeET4_jRbjT5_S1F_jjP12ihipStream_tbEUljE_ZNSN_ISO_Lb0ESR_SS_SU_SV_SZ_EES10_S11_S12_S13_S17_S18_S19_S1C_S1D_jS1E_jS1F_S1F_jjS1H_bEUljE0_EEES10_S11_S12_S19_S1D_S1F_T6_T7_T9_mT8_S1H_bDpT10_ENKUlT_T0_E_clISt17integral_constantIbLb0EES1U_IbLb1EEEEDaS1Q_S1R_EUlS1Q_E_NS1_11comp_targetILNS1_3genE10ELNS1_11target_archE1200ELNS1_3gpuE4ELNS1_3repE0EEENS1_30default_config_static_selectorELNS0_4arch9wavefront6targetE0EEEvS13_
; %bb.0:
	s_clause 0x7
	s_load_b64 s[34:35], s[0:1], 0x10
	s_load_b128 s[28:31], s[0:1], 0x28
	s_load_b64 s[14:15], s[0:1], 0x38
	s_load_b128 s[24:27], s[0:1], 0x58
	s_load_b64 s[4:5], s[0:1], 0x68
	s_load_b64 s[36:37], s[0:1], 0x78
	;; [unrolled: 1-line block ×3, first 2 shown]
	s_load_b256 s[16:23], s[0:1], 0x90
	v_cmp_eq_u32_e64 s2, 0, v0
	s_and_saveexec_b32 s3, s2
	s_cbranch_execz .LBB1807_4
; %bb.1:
	s_mov_b32 s7, exec_lo
	s_mov_b32 s6, exec_lo
	v_mbcnt_lo_u32_b32 v1, s7, 0
                                        ; implicit-def: $vgpr2
	s_delay_alu instid0(VALU_DEP_1)
	v_cmpx_eq_u32_e32 0, v1
	s_cbranch_execz .LBB1807_3
; %bb.2:
	s_load_b64 s[8:9], s[0:1], 0x88
	s_bcnt1_i32_b32 s7, s7
	s_wait_alu 0xfffe
	v_dual_mov_b32 v2, 0 :: v_dual_mov_b32 v3, s7
	s_wait_kmcnt 0x0
	global_atomic_add_u32 v2, v2, v3, s[8:9] th:TH_ATOMIC_RETURN scope:SCOPE_DEV
.LBB1807_3:
	s_or_b32 exec_lo, exec_lo, s6
	s_wait_loadcnt 0x0
	v_readfirstlane_b32 s6, v2
	s_wait_alu 0xf1ff
	s_delay_alu instid0(VALU_DEP_1)
	v_dual_mov_b32 v2, 0 :: v_dual_add_nc_u32 v1, s6, v1
	ds_store_b32 v2, v1
.LBB1807_4:
	s_or_b32 exec_lo, exec_lo, s3
	v_mov_b32_e32 v1, 0
	s_clause 0x1
	s_load_b32 s3, s[0:1], 0x8
	s_load_b32 s0, s[0:1], 0x80
	s_wait_dscnt 0x0
	s_barrier_signal -1
	s_barrier_wait -1
	global_inv scope:SCOPE_SE
	ds_load_b32 v5, v1
	s_wait_loadcnt_dscnt 0x0
	s_barrier_signal -1
	s_barrier_wait -1
	global_inv scope:SCOPE_SE
	s_wait_kmcnt 0x0
	global_load_b128 v[1:4], v1, s[26:27]
	s_mov_b32 s1, 0
	s_add_co_i32 s3, s3, s34
	s_add_co_i32 s6, s0, -1
	s_mulk_i32 s0, 0xd00
	s_delay_alu instid0(SALU_CYCLE_1)
	s_add_co_i32 s7, s0, s34
	s_add_nc_u64 s[0:1], s[34:35], s[0:1]
	v_readfirstlane_b32 s33, v5
	v_cmp_gt_u64_e64 s0, s[4:5], s[0:1]
	s_wait_alu 0xfffe
	s_sub_co_i32 s27, s4, s7
	v_cmp_ne_u32_e32 vcc_lo, s6, v5
	v_mul_lo_u32 v43, 0xd00, v5
	s_addk_co_i32 s27, 0xd00
	s_cmp_eq_u32 s33, s6
	s_mov_b32 s4, -1
	s_cselect_b32 s26, -1, 0
	s_or_b32 s1, s0, vcc_lo
	s_wait_alu 0xfffe
	s_and_b32 vcc_lo, exec_lo, s1
	s_cbranch_vccz .LBB1807_6
; %bb.5:
	v_add3_u32 v5, v43, s3, v0
	v_lshlrev_b32_e32 v14, 2, v0
	s_mov_b32 s4, 0
	s_delay_alu instid0(VALU_DEP_2)
	v_add_nc_u32_e32 v6, 0x100, v5
	v_add_nc_u32_e32 v7, 0x200, v5
	v_add_nc_u32_e32 v8, 0x300, v5
	v_add_nc_u32_e32 v9, 0x400, v5
	v_add_nc_u32_e32 v10, 0x500, v5
	v_add_nc_u32_e32 v11, 0x600, v5
	v_add_nc_u32_e32 v12, 0x700, v5
	v_add_nc_u32_e32 v13, 0x800, v5
	v_add_nc_u32_e32 v15, 0x900, v5
	v_add_nc_u32_e32 v16, 0xa00, v5
	v_add_nc_u32_e32 v17, 0xb00, v5
	v_add_nc_u32_e32 v18, 0xc00, v5
	ds_store_2addr_stride64_b32 v14, v5, v6 offset1:4
	ds_store_2addr_stride64_b32 v14, v7, v8 offset0:8 offset1:12
	ds_store_2addr_stride64_b32 v14, v9, v10 offset0:16 offset1:20
	;; [unrolled: 1-line block ×5, first 2 shown]
	ds_store_b32 v14, v18 offset:12288
	s_wait_loadcnt_dscnt 0x0
	s_barrier_signal -1
	s_barrier_wait -1
.LBB1807_6:
	v_cmp_gt_u32_e64 s0, s27, v0
	v_or_b32_e32 v42, 0x100, v0
	v_or_b32_e32 v41, 0x200, v0
	v_or_b32_e32 v40, 0x300, v0
	v_or_b32_e32 v39, 0x400, v0
	v_or_b32_e32 v38, 0x500, v0
	v_or_b32_e32 v37, 0x600, v0
	v_or_b32_e32 v36, 0x700, v0
	v_or_b32_e32 v35, 0x800, v0
	v_or_b32_e32 v34, 0x900, v0
	v_or_b32_e32 v33, 0xa00, v0
	v_or_b32_e32 v32, 0xb00, v0
	v_or_b32_e32 v31, 0xc00, v0
	s_wait_alu 0xfffe
	s_and_not1_b32 vcc_lo, exec_lo, s4
	s_cbranch_vccnz .LBB1807_8
; %bb.7:
	v_add_nc_u32_e32 v5, s3, v43
	v_cmp_gt_u32_e32 vcc_lo, s27, v42
	s_delay_alu instid0(VALU_DEP_2) | instskip(NEXT) | instid1(VALU_DEP_1)
	v_add_nc_u32_e32 v7, v5, v42
	v_dual_cndmask_b32 v7, 0, v7 :: v_dual_add_nc_u32 v8, v5, v41
	v_cmp_gt_u32_e32 vcc_lo, s27, v41
	s_wait_alu 0xfffd
	s_delay_alu instid0(VALU_DEP_2)
	v_cndmask_b32_e32 v8, 0, v8, vcc_lo
	v_cmp_gt_u32_e32 vcc_lo, s27, v40
	v_add_nc_u32_e32 v17, v5, v32
	v_add_nc_u32_e32 v14, v5, v35
	;; [unrolled: 1-line block ×9, first 2 shown]
	s_wait_alu 0xfffd
	v_cndmask_b32_e32 v9, 0, v9, vcc_lo
	v_cmp_gt_u32_e32 vcc_lo, s27, v39
	v_cndmask_b32_e64 v6, 0, v6, s0
	s_wait_alu 0xfffd
	v_cndmask_b32_e32 v10, 0, v10, vcc_lo
	v_cmp_gt_u32_e32 vcc_lo, s27, v38
	v_add_nc_u32_e32 v12, v5, v37
	v_add_nc_u32_e32 v5, v5, v31
	s_wait_alu 0xfffd
	v_cndmask_b32_e32 v11, 0, v11, vcc_lo
	v_cmp_gt_u32_e32 vcc_lo, s27, v37
	s_wait_alu 0xfffd
	v_cndmask_b32_e32 v12, 0, v12, vcc_lo
	v_cmp_gt_u32_e32 vcc_lo, s27, v36
	;; [unrolled: 3-line block ×7, first 2 shown]
	s_wait_alu 0xfffd
	v_dual_cndmask_b32 v5, 0, v5 :: v_dual_lshlrev_b32 v18, 2, v0
	ds_store_2addr_stride64_b32 v18, v6, v7 offset1:4
	ds_store_2addr_stride64_b32 v18, v8, v9 offset0:8 offset1:12
	ds_store_2addr_stride64_b32 v18, v10, v11 offset0:16 offset1:20
	;; [unrolled: 1-line block ×5, first 2 shown]
	ds_store_b32 v18, v5 offset:12288
	s_wait_loadcnt_dscnt 0x0
	s_barrier_signal -1
	s_barrier_wait -1
.LBB1807_8:
	v_mul_u32_u24_e32 v46, 13, v0
	s_wait_loadcnt 0x0
	global_inv scope:SCOPE_SE
	v_cndmask_b32_e64 v44, 0, 1, s1
	s_and_not1_b32 vcc_lo, exec_lo, s1
	v_lshlrev_b32_e32 v5, 2, v46
	ds_load_2addr_b32 v[23:24], v5 offset1:1
	ds_load_2addr_b32 v[21:22], v5 offset0:2 offset1:3
	ds_load_2addr_b32 v[19:20], v5 offset0:4 offset1:5
	ds_load_2addr_b32 v[17:18], v5 offset0:6 offset1:7
	ds_load_2addr_b32 v[15:16], v5 offset0:8 offset1:9
	ds_load_2addr_b32 v[13:14], v5 offset0:10 offset1:11
	ds_load_b32 v45, v5 offset:48
	s_wait_loadcnt_dscnt 0x0
	s_barrier_signal -1
	s_barrier_wait -1
	global_inv scope:SCOPE_SE
	s_wait_alu 0xfffe
	s_cbranch_vccnz .LBB1807_36
; %bb.9:
	v_add_nc_u32_e32 v5, s17, v23
	v_add_nc_u32_e32 v6, s19, v23
	s_mov_b32 s41, 0
	s_mov_b32 s40, 0
	s_mov_b32 s1, exec_lo
	v_mul_lo_u32 v5, v5, s16
	v_mul_lo_u32 v6, v6, s18
	s_delay_alu instid0(VALU_DEP_1) | instskip(NEXT) | instid1(VALU_DEP_1)
	v_sub_nc_u32_e32 v5, v5, v6
	v_cmp_lt_u32_e32 vcc_lo, s20, v5
	v_cmpx_ge_u32_e64 s20, v5
	s_cbranch_execz .LBB1807_11
; %bb.10:
	v_add_nc_u32_e32 v5, s22, v23
	v_add_nc_u32_e32 v6, s38, v23
	s_delay_alu instid0(VALU_DEP_2) | instskip(NEXT) | instid1(VALU_DEP_2)
	v_mul_lo_u32 v5, v5, s21
	v_mul_lo_u32 v6, v6, s23
	s_delay_alu instid0(VALU_DEP_1) | instskip(NEXT) | instid1(VALU_DEP_1)
	v_sub_nc_u32_e32 v5, v5, v6
	v_cmp_lt_u32_e64 s0, s39, v5
	s_and_b32 s40, s0, exec_lo
.LBB1807_11:
	s_wait_alu 0xfffe
	s_or_b32 exec_lo, exec_lo, s1
	v_add_nc_u32_e32 v5, s17, v24
	v_add_nc_u32_e32 v6, s19, v24
	s_mov_b32 s3, exec_lo
	s_delay_alu instid0(VALU_DEP_2) | instskip(NEXT) | instid1(VALU_DEP_2)
	v_mul_lo_u32 v5, v5, s16
	v_mul_lo_u32 v6, v6, s18
	s_delay_alu instid0(VALU_DEP_1) | instskip(NEXT) | instid1(VALU_DEP_1)
	v_sub_nc_u32_e32 v5, v5, v6
	v_cmp_lt_u32_e64 s0, s20, v5
	v_cmpx_ge_u32_e64 s20, v5
	s_cbranch_execz .LBB1807_13
; %bb.12:
	v_add_nc_u32_e32 v5, s22, v24
	v_add_nc_u32_e32 v6, s38, v24
	s_delay_alu instid0(VALU_DEP_2) | instskip(NEXT) | instid1(VALU_DEP_2)
	v_mul_lo_u32 v5, v5, s21
	v_mul_lo_u32 v6, v6, s23
	s_delay_alu instid0(VALU_DEP_1) | instskip(NEXT) | instid1(VALU_DEP_1)
	v_sub_nc_u32_e32 v5, v5, v6
	v_cmp_lt_u32_e64 s1, s39, v5
	s_and_b32 s41, s1, exec_lo
.LBB1807_13:
	s_wait_alu 0xfffe
	s_or_b32 exec_lo, exec_lo, s3
	v_add_nc_u32_e32 v5, s17, v21
	v_add_nc_u32_e32 v6, s19, v21
	s_mov_b32 s43, 0
	s_mov_b32 s42, 0
	s_mov_b32 s4, exec_lo
	v_mul_lo_u32 v5, v5, s16
	v_mul_lo_u32 v6, v6, s18
	s_delay_alu instid0(VALU_DEP_1) | instskip(NEXT) | instid1(VALU_DEP_1)
	v_sub_nc_u32_e32 v5, v5, v6
	v_cmp_lt_u32_e64 s1, s20, v5
	v_cmpx_ge_u32_e64 s20, v5
	s_cbranch_execz .LBB1807_15
; %bb.14:
	v_add_nc_u32_e32 v5, s22, v21
	v_add_nc_u32_e32 v6, s38, v21
	s_delay_alu instid0(VALU_DEP_2) | instskip(NEXT) | instid1(VALU_DEP_2)
	v_mul_lo_u32 v5, v5, s21
	v_mul_lo_u32 v6, v6, s23
	s_delay_alu instid0(VALU_DEP_1) | instskip(NEXT) | instid1(VALU_DEP_1)
	v_sub_nc_u32_e32 v5, v5, v6
	v_cmp_lt_u32_e64 s3, s39, v5
	s_and_b32 s42, s3, exec_lo
.LBB1807_15:
	s_wait_alu 0xfffe
	s_or_b32 exec_lo, exec_lo, s4
	v_add_nc_u32_e32 v5, s17, v22
	v_add_nc_u32_e32 v6, s19, v22
	s_mov_b32 s5, exec_lo
	s_delay_alu instid0(VALU_DEP_2) | instskip(NEXT) | instid1(VALU_DEP_2)
	v_mul_lo_u32 v5, v5, s16
	v_mul_lo_u32 v6, v6, s18
	s_delay_alu instid0(VALU_DEP_1) | instskip(NEXT) | instid1(VALU_DEP_1)
	v_sub_nc_u32_e32 v5, v5, v6
	v_cmp_lt_u32_e64 s3, s20, v5
	v_cmpx_ge_u32_e64 s20, v5
	s_cbranch_execz .LBB1807_17
; %bb.16:
	v_add_nc_u32_e32 v5, s22, v22
	v_add_nc_u32_e32 v6, s38, v22
	s_delay_alu instid0(VALU_DEP_2) | instskip(NEXT) | instid1(VALU_DEP_2)
	v_mul_lo_u32 v5, v5, s21
	v_mul_lo_u32 v6, v6, s23
	s_delay_alu instid0(VALU_DEP_1) | instskip(NEXT) | instid1(VALU_DEP_1)
	v_sub_nc_u32_e32 v5, v5, v6
	v_cmp_lt_u32_e64 s4, s39, v5
	s_and_b32 s43, s4, exec_lo
.LBB1807_17:
	s_wait_alu 0xfffe
	s_or_b32 exec_lo, exec_lo, s5
	v_add_nc_u32_e32 v5, s17, v19
	v_add_nc_u32_e32 v6, s19, v19
	s_mov_b32 s45, 0
	s_mov_b32 s44, 0
	s_mov_b32 s6, exec_lo
	v_mul_lo_u32 v5, v5, s16
	v_mul_lo_u32 v6, v6, s18
	s_delay_alu instid0(VALU_DEP_1) | instskip(NEXT) | instid1(VALU_DEP_1)
	v_sub_nc_u32_e32 v5, v5, v6
	v_cmp_lt_u32_e64 s4, s20, v5
	;; [unrolled: 49-line block ×3, first 2 shown]
	v_cmpx_ge_u32_e64 s20, v5
	s_cbranch_execz .LBB1807_23
; %bb.22:
	v_add_nc_u32_e32 v5, s22, v17
	v_add_nc_u32_e32 v6, s38, v17
	s_delay_alu instid0(VALU_DEP_2) | instskip(NEXT) | instid1(VALU_DEP_2)
	v_mul_lo_u32 v5, v5, s21
	v_mul_lo_u32 v6, v6, s23
	s_delay_alu instid0(VALU_DEP_1) | instskip(NEXT) | instid1(VALU_DEP_1)
	v_sub_nc_u32_e32 v5, v5, v6
	v_cmp_lt_u32_e64 s7, s39, v5
	s_and_b32 s46, s7, exec_lo
.LBB1807_23:
	s_or_b32 exec_lo, exec_lo, s8
	v_add_nc_u32_e32 v5, s17, v18
	v_add_nc_u32_e32 v6, s19, v18
	s_mov_b32 s9, exec_lo
	s_delay_alu instid0(VALU_DEP_2) | instskip(NEXT) | instid1(VALU_DEP_2)
	v_mul_lo_u32 v5, v5, s16
	v_mul_lo_u32 v6, v6, s18
	s_delay_alu instid0(VALU_DEP_1) | instskip(NEXT) | instid1(VALU_DEP_1)
	v_sub_nc_u32_e32 v5, v5, v6
	v_cmp_lt_u32_e64 s7, s20, v5
	v_cmpx_ge_u32_e64 s20, v5
	s_cbranch_execz .LBB1807_25
; %bb.24:
	v_add_nc_u32_e32 v5, s22, v18
	v_add_nc_u32_e32 v6, s38, v18
	s_delay_alu instid0(VALU_DEP_2) | instskip(NEXT) | instid1(VALU_DEP_2)
	v_mul_lo_u32 v5, v5, s21
	v_mul_lo_u32 v6, v6, s23
	s_delay_alu instid0(VALU_DEP_1) | instskip(NEXT) | instid1(VALU_DEP_1)
	v_sub_nc_u32_e32 v5, v5, v6
	v_cmp_lt_u32_e64 s8, s39, v5
	s_and_b32 s47, s8, exec_lo
.LBB1807_25:
	s_or_b32 exec_lo, exec_lo, s9
	v_add_nc_u32_e32 v5, s17, v15
	v_add_nc_u32_e32 v6, s19, v15
	s_mov_b32 s50, 0
	s_mov_b32 s49, 0
	s_mov_b32 s10, exec_lo
	v_mul_lo_u32 v5, v5, s16
	v_mul_lo_u32 v6, v6, s18
	s_delay_alu instid0(VALU_DEP_1) | instskip(NEXT) | instid1(VALU_DEP_1)
	v_sub_nc_u32_e32 v5, v5, v6
	v_cmp_lt_u32_e64 s8, s20, v5
	v_cmpx_ge_u32_e64 s20, v5
	s_cbranch_execz .LBB1807_27
; %bb.26:
	v_add_nc_u32_e32 v5, s22, v15
	v_add_nc_u32_e32 v6, s38, v15
	s_delay_alu instid0(VALU_DEP_2) | instskip(NEXT) | instid1(VALU_DEP_2)
	v_mul_lo_u32 v5, v5, s21
	v_mul_lo_u32 v6, v6, s23
	s_delay_alu instid0(VALU_DEP_1) | instskip(NEXT) | instid1(VALU_DEP_1)
	v_sub_nc_u32_e32 v5, v5, v6
	v_cmp_lt_u32_e64 s9, s39, v5
	s_and_b32 s49, s9, exec_lo
.LBB1807_27:
	s_or_b32 exec_lo, exec_lo, s10
	v_add_nc_u32_e32 v5, s17, v16
	v_add_nc_u32_e32 v6, s19, v16
	s_mov_b32 s11, exec_lo
	s_delay_alu instid0(VALU_DEP_2) | instskip(NEXT) | instid1(VALU_DEP_2)
	v_mul_lo_u32 v5, v5, s16
	v_mul_lo_u32 v6, v6, s18
	s_delay_alu instid0(VALU_DEP_1) | instskip(NEXT) | instid1(VALU_DEP_1)
	v_sub_nc_u32_e32 v5, v5, v6
	v_cmp_lt_u32_e64 s9, s20, v5
	v_cmpx_ge_u32_e64 s20, v5
	s_cbranch_execz .LBB1807_29
; %bb.28:
	v_add_nc_u32_e32 v5, s22, v16
	v_add_nc_u32_e32 v6, s38, v16
	s_delay_alu instid0(VALU_DEP_2) | instskip(NEXT) | instid1(VALU_DEP_2)
	v_mul_lo_u32 v5, v5, s21
	v_mul_lo_u32 v6, v6, s23
	s_delay_alu instid0(VALU_DEP_1) | instskip(NEXT) | instid1(VALU_DEP_1)
	v_sub_nc_u32_e32 v5, v5, v6
	v_cmp_lt_u32_e64 s10, s39, v5
	s_and_b32 s50, s10, exec_lo
.LBB1807_29:
	s_or_b32 exec_lo, exec_lo, s11
	v_add_nc_u32_e32 v5, s17, v13
	v_add_nc_u32_e32 v6, s19, v13
	s_mov_b32 s51, 0
	s_mov_b32 s52, 0
	s_mov_b32 s12, exec_lo
	v_mul_lo_u32 v5, v5, s16
	v_mul_lo_u32 v6, v6, s18
	s_delay_alu instid0(VALU_DEP_1) | instskip(NEXT) | instid1(VALU_DEP_1)
	v_sub_nc_u32_e32 v5, v5, v6
	v_cmp_lt_u32_e64 s10, s20, v5
	;; [unrolled: 47-line block ×3, first 2 shown]
	v_cmpx_ge_u32_e64 s20, v5
	s_cbranch_execz .LBB1807_35
; %bb.34:
	v_add_nc_u32_e32 v5, s22, v45
	v_add_nc_u32_e32 v6, s38, v45
	s_delay_alu instid0(VALU_DEP_2) | instskip(NEXT) | instid1(VALU_DEP_2)
	v_mul_lo_u32 v5, v5, s21
	v_mul_lo_u32 v6, v6, s23
	s_delay_alu instid0(VALU_DEP_1) | instskip(NEXT) | instid1(VALU_DEP_1)
	v_sub_nc_u32_e32 v5, v5, v6
	v_cmp_lt_u32_e64 s13, s39, v5
	s_and_b32 s53, s13, exec_lo
.LBB1807_35:
	s_or_b32 exec_lo, exec_lo, s54
	v_cndmask_b32_e64 v6, 0, 1, s0
	v_cndmask_b32_e64 v8, 0, 1, s3
	s_wait_alu 0xfffd
	v_cndmask_b32_e64 v5, 0, 1, vcc_lo
	v_cndmask_b32_e64 v7, 0, 1, s1
	v_cndmask_b32_e64 v10, 0, 1, s5
	v_lshlrev_b16 v6, 8, v6
	v_lshlrev_b16 v8, 8, v8
	s_wait_alu 0xf1ff
	v_cndmask_b32_e64 v12, 0, 1, s7
	v_cndmask_b32_e64 v26, 0, 1, s9
	;; [unrolled: 1-line block ×3, first 2 shown]
	v_or_b32_e32 v5, v5, v6
	v_or_b32_e32 v6, v7, v8
	v_cndmask_b32_e64 v56, 0, 1, s40
	v_cndmask_b32_e64 v9, 0, 1, s4
	;; [unrolled: 1-line block ×3, first 2 shown]
	v_and_b32_e32 v5, 0xffff, v5
	v_lshlrev_b32_e32 v6, 16, v6
	v_cndmask_b32_e64 v25, 0, 1, s8
	v_cndmask_b32_e64 v27, 0, 1, s10
	;; [unrolled: 1-line block ×8, first 2 shown]
	v_or_b32_e32 v47, v5, v6
	v_lshlrev_b16 v5, 8, v10
	v_lshlrev_b16 v6, 8, v12
	;; [unrolled: 1-line block ×5, first 2 shown]
	v_cndmask_b32_e64 v30, 0, 1, s50
	v_cndmask_b32_e64 v49, 0, 1, s47
	;; [unrolled: 1-line block ×5, first 2 shown]
	v_or_b32_e32 v5, v9, v5
	v_or_b32_e32 v6, v11, v6
	;; [unrolled: 1-line block ×5, first 2 shown]
	v_lshlrev_b16 v8, 8, v8
	v_lshlrev_b16 v12, 8, v54
	;; [unrolled: 1-line block ×5, first 2 shown]
	v_or_b32_e32 v8, v55, v8
	v_or_b32_e32 v7, v7, v12
	;; [unrolled: 1-line block ×5, first 2 shown]
	v_and_b32_e32 v5, 0xffff, v5
	v_lshlrev_b32_e32 v6, 16, v6
	v_and_b32_e32 v9, 0xffff, v9
	v_lshlrev_b32_e32 v10, 16, v10
	;; [unrolled: 2-line block ×5, first 2 shown]
	v_cndmask_b32_e64 v50, 0, 1, s51
	v_cndmask_b32_e64 v53, 0, 1, s53
	v_or_b32_e32 v49, v5, v6
	v_or_b32_e32 v52, v9, v10
	;; [unrolled: 1-line block ×5, first 2 shown]
	s_and_b32 vcc_lo, exec_lo, s48
	s_wait_alu 0xfffe
	s_cbranch_vccnz .LBB1807_37
	s_branch .LBB1807_114
.LBB1807_36:
                                        ; implicit-def: $vgpr53
                                        ; implicit-def: $vgpr50
                                        ; implicit-def: $vgpr51
                                        ; implicit-def: $vgpr48
                                        ; implicit-def: $vgpr54
                                        ; implicit-def: $vgpr52
                                        ; implicit-def: $vgpr49
                                        ; implicit-def: $vgpr47
	s_cbranch_execz .LBB1807_114
.LBB1807_37:
	v_dual_mov_b32 v6, 0 :: v_dual_mov_b32 v5, 0
	s_mov_b32 s1, exec_lo
	v_cmpx_gt_u32_e64 s27, v46
	s_cbranch_execz .LBB1807_41
; %bb.38:
	v_add_nc_u32_e32 v5, s17, v23
	v_add_nc_u32_e32 v6, s19, v23
	s_mov_b32 s4, 0
	s_mov_b32 s3, exec_lo
	s_delay_alu instid0(VALU_DEP_2) | instskip(NEXT) | instid1(VALU_DEP_2)
	v_mul_lo_u32 v5, v5, s16
	v_mul_lo_u32 v6, v6, s18
	s_delay_alu instid0(VALU_DEP_1) | instskip(NEXT) | instid1(VALU_DEP_1)
	v_sub_nc_u32_e32 v5, v5, v6
	v_cmp_lt_u32_e32 vcc_lo, s20, v5
	v_cmpx_ge_u32_e64 s20, v5
	s_cbranch_execz .LBB1807_40
; %bb.39:
	v_add_nc_u32_e32 v5, s22, v23
	v_add_nc_u32_e32 v6, s38, v23
	s_delay_alu instid0(VALU_DEP_2) | instskip(NEXT) | instid1(VALU_DEP_2)
	v_mul_lo_u32 v5, v5, s21
	v_mul_lo_u32 v6, v6, s23
	s_delay_alu instid0(VALU_DEP_1) | instskip(NEXT) | instid1(VALU_DEP_1)
	v_sub_nc_u32_e32 v5, v5, v6
	v_cmp_lt_u32_e64 s0, s39, v5
	s_and_b32 s4, s0, exec_lo
.LBB1807_40:
	s_wait_alu 0xfffe
	s_or_b32 exec_lo, exec_lo, s3
	v_cndmask_b32_e64 v6, 0, 1, s4
	s_wait_alu 0xfffd
	v_cndmask_b32_e64 v5, 0, 1, vcc_lo
.LBB1807_41:
	s_wait_alu 0xfffe
	s_or_b32 exec_lo, exec_lo, s1
	v_lshlrev_b16 v6, 8, v6
	v_add_nc_u32_e32 v7, 1, v46
	v_and_b32_e32 v10, 0xff, v5
	v_lshlrev_b16 v5, 8, 0
                                        ; implicit-def: $vgpr9
                                        ; implicit-def: $vgpr12
                                        ; implicit-def: $vgpr8
	s_delay_alu instid0(VALU_DEP_4) | instskip(NEXT) | instid1(VALU_DEP_4)
	v_and_b32_e32 v6, 0xffff, v6
	v_cmp_le_u32_e32 vcc_lo, s27, v7
                                        ; implicit-def: $vgpr7
	s_delay_alu instid0(VALU_DEP_2)
	v_lshrrev_b32_e32 v25, 8, v6
	v_and_b32_e32 v11, 0xff, v6
                                        ; implicit-def: $vgpr6
	s_and_saveexec_b32 s0, vcc_lo
	s_wait_alu 0xfffe
	s_xor_b32 s0, exec_lo, s0
	s_cbranch_execz .LBB1807_43
; %bb.42:
	v_lshlrev_b16 v6, 8, v25
	v_and_b32_e32 v8, 0xffff, v5
                                        ; implicit-def: $vgpr25
	v_mov_b32_e32 v9, 0
	s_delay_alu instid0(VALU_DEP_3) | instskip(SKIP_1) | instid1(VALU_DEP_2)
	v_or_b32_e32 v7, v11, v6
	v_mov_b32_e32 v6, 0
                                        ; implicit-def: $vgpr11
	v_and_b32_e32 v12, 0xffff, v7
	v_and_b32_e32 v7, 0xffff, v5
                                        ; implicit-def: $vgpr5
.LBB1807_43:
	s_wait_alu 0xfffe
	s_and_not1_saveexec_b32 s1, s0
	s_cbranch_execz .LBB1807_47
; %bb.44:
	v_add_nc_u32_e32 v6, s17, v24
	v_add_nc_u32_e32 v7, s19, v24
	s_mov_b32 s3, 0
	s_mov_b32 s4, exec_lo
	s_delay_alu instid0(VALU_DEP_2) | instskip(NEXT) | instid1(VALU_DEP_2)
	v_mul_lo_u32 v6, v6, s16
	v_mul_lo_u32 v7, v7, s18
	s_delay_alu instid0(VALU_DEP_1) | instskip(NEXT) | instid1(VALU_DEP_1)
	v_sub_nc_u32_e32 v6, v6, v7
	v_cmp_lt_u32_e32 vcc_lo, s20, v6
	v_cmpx_ge_u32_e64 s20, v6
	s_cbranch_execz .LBB1807_46
; %bb.45:
	v_add_nc_u32_e32 v6, s22, v24
	v_add_nc_u32_e32 v7, s38, v24
	s_delay_alu instid0(VALU_DEP_2) | instskip(NEXT) | instid1(VALU_DEP_2)
	v_mul_lo_u32 v6, v6, s21
	v_mul_lo_u32 v7, v7, s23
	s_delay_alu instid0(VALU_DEP_1) | instskip(NEXT) | instid1(VALU_DEP_1)
	v_sub_nc_u32_e32 v6, v6, v7
	v_cmp_lt_u32_e64 s0, s39, v6
	s_and_b32 s3, s0, exec_lo
.LBB1807_46:
	s_wait_alu 0xfffe
	s_or_b32 exec_lo, exec_lo, s4
	s_wait_alu 0xfffd
	v_cndmask_b32_e64 v6, 0, 1, vcc_lo
	v_lshlrev_b16 v7, 8, v25
	v_dual_mov_b32 v9, 0 :: v_dual_and_b32 v8, 0xffff, v5
	s_delay_alu instid0(VALU_DEP_3) | instskip(NEXT) | instid1(VALU_DEP_3)
	v_lshlrev_b16 v6, 8, v6
	v_or_b32_e32 v7, v11, v7
	v_cndmask_b32_e64 v11, 0, 1, s3
	s_delay_alu instid0(VALU_DEP_3) | instskip(NEXT) | instid1(VALU_DEP_3)
	v_or_b32_e32 v10, v10, v6
	v_dual_mov_b32 v6, 0 :: v_dual_and_b32 v7, 0xffff, v7
	s_delay_alu instid0(VALU_DEP_2) | instskip(NEXT) | instid1(VALU_DEP_2)
	v_and_b32_e32 v10, 0xffff, v10
	v_lshl_or_b32 v12, v11, 16, v7
	v_and_b32_e32 v7, 0xffff, v5
.LBB1807_47:
	s_wait_alu 0xfffe
	s_or_b32 exec_lo, exec_lo, s1
	v_add_nc_u32_e32 v5, 2, v46
	v_and_b32_e32 v25, 0xff, v10
	v_lshrrev_b32_e32 v26, 8, v10
                                        ; implicit-def: $vgpr11
	s_delay_alu instid0(VALU_DEP_3)
	v_cmp_le_u32_e32 vcc_lo, s27, v5
                                        ; implicit-def: $vgpr5
	s_and_saveexec_b32 s0, vcc_lo
	s_wait_alu 0xfffe
	s_xor_b32 s0, exec_lo, s0
	s_cbranch_execz .LBB1807_49
; %bb.48:
	v_lshlrev_b16 v5, 8, v26
	v_perm_b32 v8, v8, v8, 0x3060504
                                        ; implicit-def: $vgpr26
	s_delay_alu instid0(VALU_DEP_2) | instskip(SKIP_1) | instid1(VALU_DEP_2)
	v_or_b32_e32 v5, v25, v5
	v_and_b32_e32 v25, 0xff0000, v12
	v_and_b32_e32 v5, 0xffff, v5
	s_delay_alu instid0(VALU_DEP_1) | instskip(NEXT) | instid1(VALU_DEP_3)
	v_and_or_b32 v11, 0xff000000, v10, v5
	v_perm_b32 v5, v12, v25, 0x3020504
                                        ; implicit-def: $vgpr25
                                        ; implicit-def: $vgpr10
                                        ; implicit-def: $vgpr12
.LBB1807_49:
	s_wait_alu 0xfffe
	s_and_not1_saveexec_b32 s1, s0
	s_cbranch_execz .LBB1807_53
; %bb.50:
	v_add_nc_u32_e32 v5, s17, v21
	v_add_nc_u32_e32 v11, s19, v21
	s_mov_b32 s3, 0
	s_mov_b32 s4, exec_lo
	s_delay_alu instid0(VALU_DEP_2) | instskip(NEXT) | instid1(VALU_DEP_2)
	v_mul_lo_u32 v5, v5, s16
	v_mul_lo_u32 v11, v11, s18
	s_delay_alu instid0(VALU_DEP_1) | instskip(NEXT) | instid1(VALU_DEP_1)
	v_sub_nc_u32_e32 v5, v5, v11
	v_cmp_lt_u32_e32 vcc_lo, s20, v5
	v_cmpx_ge_u32_e64 s20, v5
	s_cbranch_execz .LBB1807_52
; %bb.51:
	v_add_nc_u32_e32 v5, s22, v21
	v_add_nc_u32_e32 v11, s38, v21
	s_delay_alu instid0(VALU_DEP_2) | instskip(NEXT) | instid1(VALU_DEP_2)
	v_mul_lo_u32 v5, v5, s21
	v_mul_lo_u32 v11, v11, s23
	s_delay_alu instid0(VALU_DEP_1) | instskip(NEXT) | instid1(VALU_DEP_1)
	v_sub_nc_u32_e32 v5, v5, v11
	v_cmp_lt_u32_e64 s0, s39, v5
	s_and_b32 s3, s0, exec_lo
.LBB1807_52:
	s_wait_alu 0xfffe
	s_or_b32 exec_lo, exec_lo, s4
	v_lshrrev_b32_e32 v10, 24, v10
	v_cndmask_b32_e64 v11, 0, 1, s3
	v_lshrrev_b32_e32 v27, 8, v12
	v_lshrrev_b32_e32 v28, 16, v12
	s_wait_alu 0xfffd
	v_cndmask_b32_e64 v5, 0, 1, vcc_lo
	v_lshlrev_b16 v26, 8, v26
	v_lshlrev_b16 v10, 8, v10
	v_and_b32_e32 v12, 0xff, v12
	v_lshlrev_b16 v27, 8, v27
	v_lshlrev_b16 v11, 8, v11
	v_and_b32_e32 v28, 0xff, v28
	v_or_b32_e32 v25, v25, v26
	v_or_b32_e32 v5, v5, v10
	;; [unrolled: 1-line block ×3, first 2 shown]
	s_delay_alu instid0(VALU_DEP_4) | instskip(NEXT) | instid1(VALU_DEP_4)
	v_or_b32_e32 v11, v28, v11
	v_and_b32_e32 v12, 0xffff, v25
	s_delay_alu instid0(VALU_DEP_4) | instskip(NEXT) | instid1(VALU_DEP_4)
	v_lshlrev_b32_e32 v5, 16, v5
	v_and_b32_e32 v10, 0xffff, v10
	s_delay_alu instid0(VALU_DEP_4) | instskip(NEXT) | instid1(VALU_DEP_3)
	v_lshlrev_b32_e32 v25, 16, v11
	v_or_b32_e32 v11, v12, v5
	s_delay_alu instid0(VALU_DEP_2)
	v_or_b32_e32 v5, v10, v25
.LBB1807_53:
	s_wait_alu 0xfffe
	s_or_b32 exec_lo, exec_lo, s1
	v_add_nc_u32_e32 v10, 3, v46
	v_lshrrev_b32_e32 v12, 24, v9
	v_lshrrev_b32_e32 v25, 16, v9
	;; [unrolled: 1-line block ×3, first 2 shown]
                                        ; implicit-def: $vgpr47
	s_delay_alu instid0(VALU_DEP_4)
	v_cmp_le_u32_e32 vcc_lo, s27, v10
                                        ; implicit-def: $vgpr10
	s_and_saveexec_b32 s0, vcc_lo
	s_wait_alu 0xfffe
	s_xor_b32 s0, exec_lo, s0
	s_cbranch_execz .LBB1807_55
; %bb.54:
	v_lshlrev_b16 v10, 8, v12
	v_and_b32_e32 v12, 0xff, v25
	v_lshlrev_b16 v9, 8, v9
	v_perm_b32 v8, v8, v8, 0x3060504
	v_perm_b32 v7, v7, v7, 0x3060504
                                        ; implicit-def: $vgpr25
	s_delay_alu instid0(VALU_DEP_4) | instskip(SKIP_2) | instid1(VALU_DEP_3)
	v_or_b32_e32 v10, v12, v10
	v_and_b32_e32 v12, 0xff0000, v11
	v_and_b32_e32 v9, 0xffff, v9
	v_lshlrev_b32_e32 v10, 16, v10
	s_delay_alu instid0(VALU_DEP_3) | instskip(NEXT) | instid1(VALU_DEP_2)
	v_perm_b32 v47, v11, v12, 0x3020504
                                        ; implicit-def: $vgpr11
                                        ; implicit-def: $vgpr12
	v_or_b32_e32 v10, v9, v10
                                        ; implicit-def: $vgpr9
.LBB1807_55:
	s_wait_alu 0xfffe
	s_and_not1_saveexec_b32 s1, s0
	s_cbranch_execz .LBB1807_59
; %bb.56:
	v_add_nc_u32_e32 v10, s17, v22
	v_add_nc_u32_e32 v26, s19, v22
	s_mov_b32 s3, 0
	s_mov_b32 s4, exec_lo
	s_delay_alu instid0(VALU_DEP_2) | instskip(NEXT) | instid1(VALU_DEP_2)
	v_mul_lo_u32 v10, v10, s16
	v_mul_lo_u32 v26, v26, s18
	s_delay_alu instid0(VALU_DEP_1) | instskip(NEXT) | instid1(VALU_DEP_1)
	v_sub_nc_u32_e32 v10, v10, v26
	v_cmp_lt_u32_e32 vcc_lo, s20, v10
	v_cmpx_ge_u32_e64 s20, v10
	s_cbranch_execz .LBB1807_58
; %bb.57:
	v_add_nc_u32_e32 v10, s22, v22
	v_add_nc_u32_e32 v26, s38, v22
	s_delay_alu instid0(VALU_DEP_2) | instskip(NEXT) | instid1(VALU_DEP_2)
	v_mul_lo_u32 v10, v10, s21
	v_mul_lo_u32 v26, v26, s23
	s_delay_alu instid0(VALU_DEP_1) | instskip(NEXT) | instid1(VALU_DEP_1)
	v_sub_nc_u32_e32 v10, v10, v26
	v_cmp_lt_u32_e64 s0, s39, v10
	s_and_b32 s3, s0, exec_lo
.LBB1807_58:
	s_wait_alu 0xfffe
	s_or_b32 exec_lo, exec_lo, s4
	v_lshrrev_b32_e32 v10, 8, v11
	s_wait_alu 0xfffd
	v_cndmask_b32_e64 v26, 0, 1, vcc_lo
	v_lshrrev_b32_e32 v27, 16, v11
	v_cndmask_b32_e64 v28, 0, 1, s3
	v_and_b32_e32 v11, 0xff, v11
	v_lshlrev_b16 v10, 8, v10
	v_lshlrev_b16 v26, 8, v26
	v_and_b32_e32 v27, 0xff, v27
	v_lshlrev_b16 v12, 8, v12
	v_and_b32_e32 v25, 0xff, v25
	v_lshlrev_b16 v9, 8, v9
	v_or_b32_e32 v10, v11, v10
	v_or_b32_e32 v11, v27, v26
	s_delay_alu instid0(VALU_DEP_4) | instskip(NEXT) | instid1(VALU_DEP_4)
	v_or_b32_e32 v12, v25, v12
	v_or_b32_e32 v9, v28, v9
	s_delay_alu instid0(VALU_DEP_4) | instskip(NEXT) | instid1(VALU_DEP_4)
	v_and_b32_e32 v10, 0xffff, v10
	v_lshlrev_b32_e32 v11, 16, v11
	s_delay_alu instid0(VALU_DEP_4) | instskip(NEXT) | instid1(VALU_DEP_4)
	v_lshlrev_b32_e32 v12, 16, v12
	v_and_b32_e32 v9, 0xffff, v9
	s_delay_alu instid0(VALU_DEP_3) | instskip(NEXT) | instid1(VALU_DEP_2)
	v_or_b32_e32 v47, v10, v11
	v_or_b32_e32 v10, v9, v12
.LBB1807_59:
	s_wait_alu 0xfffe
	s_or_b32 exec_lo, exec_lo, s1
	v_add_nc_u32_e32 v9, 4, v46
	v_lshrrev_b32_e32 v25, 8, v8
	v_lshrrev_b32_e32 v26, 16, v8
	;; [unrolled: 1-line block ×4, first 2 shown]
	v_cmp_le_u32_e32 vcc_lo, s27, v9
	v_lshrrev_b32_e32 v12, 16, v10
                                        ; implicit-def: $vgpr8
                                        ; implicit-def: $vgpr9
	s_and_saveexec_b32 s0, vcc_lo
	s_wait_alu 0xfffe
	s_xor_b32 s0, exec_lo, s0
	s_cbranch_execz .LBB1807_61
; %bb.60:
	v_lshlrev_b16 v8, 8, v27
	v_and_b32_e32 v9, 0xff, v26
	v_lshlrev_b16 v25, 8, v25
	v_lshlrev_b16 v11, 8, v11
	v_and_b32_e32 v12, 0xff, v12
	v_perm_b32 v7, v7, v7, 0x3060504
	v_or_b32_e32 v8, v9, v8
	v_and_b32_e32 v9, 0xffff, v25
                                        ; implicit-def: $vgpr25
                                        ; implicit-def: $vgpr26
                                        ; implicit-def: $vgpr27
	s_delay_alu instid0(VALU_DEP_4) | instskip(NEXT) | instid1(VALU_DEP_3)
	v_or_b32_e32 v11, v12, v11
	v_lshlrev_b32_e32 v12, 16, v8
	s_delay_alu instid0(VALU_DEP_2) | instskip(NEXT) | instid1(VALU_DEP_2)
	v_perm_b32 v8, v11, v10, 0x5040c00
                                        ; implicit-def: $vgpr10
                                        ; implicit-def: $vgpr11
	v_or_b32_e32 v9, v9, v12
                                        ; implicit-def: $vgpr12
.LBB1807_61:
	s_wait_alu 0xfffe
	s_and_not1_saveexec_b32 s1, s0
	s_cbranch_execz .LBB1807_65
; %bb.62:
	v_add_nc_u32_e32 v8, s17, v19
	v_add_nc_u32_e32 v9, s19, v19
	s_mov_b32 s3, 0
	s_mov_b32 s4, exec_lo
	s_delay_alu instid0(VALU_DEP_2) | instskip(NEXT) | instid1(VALU_DEP_2)
	v_mul_lo_u32 v8, v8, s16
	v_mul_lo_u32 v9, v9, s18
	s_delay_alu instid0(VALU_DEP_1) | instskip(NEXT) | instid1(VALU_DEP_1)
	v_sub_nc_u32_e32 v8, v8, v9
	v_cmp_lt_u32_e32 vcc_lo, s20, v8
	v_cmpx_ge_u32_e64 s20, v8
	s_cbranch_execz .LBB1807_64
; %bb.63:
	v_add_nc_u32_e32 v8, s22, v19
	v_add_nc_u32_e32 v9, s38, v19
	s_delay_alu instid0(VALU_DEP_2) | instskip(NEXT) | instid1(VALU_DEP_2)
	v_mul_lo_u32 v8, v8, s21
	v_mul_lo_u32 v9, v9, s23
	s_delay_alu instid0(VALU_DEP_1) | instskip(NEXT) | instid1(VALU_DEP_1)
	v_sub_nc_u32_e32 v8, v8, v9
	v_cmp_lt_u32_e64 s0, s39, v8
	s_and_b32 s3, s0, exec_lo
.LBB1807_64:
	s_wait_alu 0xfffe
	s_or_b32 exec_lo, exec_lo, s4
	v_cndmask_b32_e64 v8, 0, 1, s3
	s_wait_alu 0xfffd
	v_cndmask_b32_e64 v9, 0, 1, vcc_lo
	v_lshlrev_b16 v27, 8, v27
	v_and_b32_e32 v26, 0xff, v26
	v_lshlrev_b16 v25, 8, v25
	v_lshlrev_b16 v8, 8, v8
	v_and_b32_e32 v10, 0xff, v10
	v_lshlrev_b16 v11, 8, v11
	v_and_b32_e32 v12, 0xff, v12
	v_or_b32_e32 v26, v26, v27
	v_or_b32_e32 v9, v9, v25
	;; [unrolled: 1-line block ×3, first 2 shown]
	s_delay_alu instid0(VALU_DEP_4) | instskip(NEXT) | instid1(VALU_DEP_4)
	v_or_b32_e32 v10, v12, v11
	v_lshlrev_b32_e32 v11, 16, v26
	s_delay_alu instid0(VALU_DEP_4) | instskip(NEXT) | instid1(VALU_DEP_4)
	v_and_b32_e32 v9, 0xffff, v9
	v_and_b32_e32 v8, 0xffff, v8
	s_delay_alu instid0(VALU_DEP_4) | instskip(NEXT) | instid1(VALU_DEP_3)
	v_lshlrev_b32_e32 v10, 16, v10
	v_or_b32_e32 v9, v9, v11
	s_delay_alu instid0(VALU_DEP_2)
	v_or_b32_e32 v8, v8, v10
.LBB1807_65:
	s_wait_alu 0xfffe
	s_or_b32 exec_lo, exec_lo, s1
	v_add_nc_u32_e32 v10, 5, v46
	v_lshrrev_b32_e32 v25, 16, v9
	v_lshrrev_b32_e32 v27, 24, v9
	v_and_b32_e32 v12, 0xff, v8
	v_lshrrev_b32_e32 v26, 8, v8
	v_cmp_le_u32_e32 vcc_lo, s27, v10
                                        ; implicit-def: $vgpr10
                                        ; implicit-def: $vgpr11
	s_and_saveexec_b32 s0, vcc_lo
	s_wait_alu 0xfffe
	s_xor_b32 s0, exec_lo, s0
	s_cbranch_execz .LBB1807_67
; %bb.66:
	v_lshlrev_b16 v10, 8, v26
	v_lshlrev_b16 v11, 8, v27
	v_and_b32_e32 v25, 0xff, v25
	v_perm_b32 v7, v7, v7, 0x3060504
                                        ; implicit-def: $vgpr27
                                        ; implicit-def: $vgpr26
	s_delay_alu instid0(VALU_DEP_4) | instskip(NEXT) | instid1(VALU_DEP_3)
	v_or_b32_e32 v10, v12, v10
                                        ; implicit-def: $vgpr12
	v_or_b32_e32 v11, v25, v11
                                        ; implicit-def: $vgpr25
	s_delay_alu instid0(VALU_DEP_2) | instskip(NEXT) | instid1(VALU_DEP_2)
	v_and_b32_e32 v10, 0xffff, v10
	v_perm_b32 v11, v11, v9, 0x5040c00
                                        ; implicit-def: $vgpr9
	s_delay_alu instid0(VALU_DEP_2)
	v_and_or_b32 v10, 0xff000000, v8, v10
                                        ; implicit-def: $vgpr8
.LBB1807_67:
	s_wait_alu 0xfffe
	s_and_not1_saveexec_b32 s1, s0
	s_cbranch_execz .LBB1807_71
; %bb.68:
	v_add_nc_u32_e32 v10, s17, v20
	v_add_nc_u32_e32 v11, s19, v20
	s_mov_b32 s3, 0
	s_mov_b32 s4, exec_lo
	s_delay_alu instid0(VALU_DEP_2) | instskip(NEXT) | instid1(VALU_DEP_2)
	v_mul_lo_u32 v10, v10, s16
	v_mul_lo_u32 v11, v11, s18
	s_delay_alu instid0(VALU_DEP_1) | instskip(NEXT) | instid1(VALU_DEP_1)
	v_sub_nc_u32_e32 v10, v10, v11
	v_cmp_lt_u32_e32 vcc_lo, s20, v10
	v_cmpx_ge_u32_e64 s20, v10
	s_cbranch_execz .LBB1807_70
; %bb.69:
	v_add_nc_u32_e32 v10, s22, v20
	v_add_nc_u32_e32 v11, s38, v20
	s_delay_alu instid0(VALU_DEP_2) | instskip(NEXT) | instid1(VALU_DEP_2)
	v_mul_lo_u32 v10, v10, s21
	v_mul_lo_u32 v11, v11, s23
	s_delay_alu instid0(VALU_DEP_1) | instskip(NEXT) | instid1(VALU_DEP_1)
	v_sub_nc_u32_e32 v10, v10, v11
	v_cmp_lt_u32_e64 s0, s39, v10
	s_and_b32 s3, s0, exec_lo
.LBB1807_70:
	s_wait_alu 0xfffe
	s_or_b32 exec_lo, exec_lo, s4
	s_wait_alu 0xfffd
	v_cndmask_b32_e64 v10, 0, 1, vcc_lo
	v_lshrrev_b32_e32 v8, 24, v8
	v_cndmask_b32_e64 v11, 0, 1, s3
	v_lshlrev_b16 v27, 8, v27
	v_and_b32_e32 v25, 0xff, v25
	v_lshlrev_b16 v10, 8, v10
	v_lshlrev_b16 v26, 8, v26
	v_and_b32_e32 v9, 0xff, v9
	v_lshlrev_b16 v8, 8, v8
	v_or_b32_e32 v25, v25, v27
	s_delay_alu instid0(VALU_DEP_4) | instskip(NEXT) | instid1(VALU_DEP_4)
	v_or_b32_e32 v12, v12, v26
	v_or_b32_e32 v9, v9, v10
	s_delay_alu instid0(VALU_DEP_4) | instskip(NEXT) | instid1(VALU_DEP_4)
	v_or_b32_e32 v8, v11, v8
	v_lshlrev_b32_e32 v10, 16, v25
	s_delay_alu instid0(VALU_DEP_4) | instskip(NEXT) | instid1(VALU_DEP_4)
	v_and_b32_e32 v12, 0xffff, v12
	v_and_b32_e32 v9, 0xffff, v9
	s_delay_alu instid0(VALU_DEP_4) | instskip(NEXT) | instid1(VALU_DEP_2)
	v_lshlrev_b32_e32 v8, 16, v8
	v_or_b32_e32 v11, v9, v10
	s_delay_alu instid0(VALU_DEP_2)
	v_or_b32_e32 v10, v12, v8
.LBB1807_71:
	s_wait_alu 0xfffe
	s_or_b32 exec_lo, exec_lo, s1
	v_add_nc_u32_e32 v8, 6, v46
	v_lshrrev_b32_e32 v12, 8, v11
                                        ; implicit-def: $vgpr48
                                        ; implicit-def: $vgpr9
	s_delay_alu instid0(VALU_DEP_2)
	v_cmp_le_u32_e32 vcc_lo, s27, v8
	v_and_b32_e32 v8, 0xff, v11
	s_and_saveexec_b32 s0, vcc_lo
	s_wait_alu 0xfffe
	s_xor_b32 s0, exec_lo, s0
	s_cbranch_execz .LBB1807_73
; %bb.72:
	v_lshlrev_b16 v9, 8, v12
	v_perm_b32 v7, v7, v7, 0x3060504
                                        ; implicit-def: $vgpr12
	s_delay_alu instid0(VALU_DEP_2) | instskip(SKIP_1) | instid1(VALU_DEP_2)
	v_or_b32_e32 v8, v8, v9
	v_and_b32_e32 v9, 0xff0000, v10
	v_and_b32_e32 v8, 0xffff, v8
	s_delay_alu instid0(VALU_DEP_2) | instskip(NEXT) | instid1(VALU_DEP_2)
	v_perm_b32 v48, v10, v9, 0x3020504
                                        ; implicit-def: $vgpr10
	v_and_or_b32 v9, 0xff000000, v11, v8
                                        ; implicit-def: $vgpr8
                                        ; implicit-def: $vgpr11
.LBB1807_73:
	s_wait_alu 0xfffe
	s_and_not1_saveexec_b32 s1, s0
	s_cbranch_execz .LBB1807_77
; %bb.74:
	v_add_nc_u32_e32 v9, s17, v17
	v_add_nc_u32_e32 v25, s19, v17
	s_mov_b32 s3, 0
	s_mov_b32 s4, exec_lo
	s_delay_alu instid0(VALU_DEP_2) | instskip(NEXT) | instid1(VALU_DEP_2)
	v_mul_lo_u32 v9, v9, s16
	v_mul_lo_u32 v25, v25, s18
	s_delay_alu instid0(VALU_DEP_1) | instskip(NEXT) | instid1(VALU_DEP_1)
	v_sub_nc_u32_e32 v9, v9, v25
	v_cmp_lt_u32_e32 vcc_lo, s20, v9
	v_cmpx_ge_u32_e64 s20, v9
	s_cbranch_execz .LBB1807_76
; %bb.75:
	v_add_nc_u32_e32 v9, s22, v17
	v_add_nc_u32_e32 v25, s38, v17
	s_delay_alu instid0(VALU_DEP_2) | instskip(NEXT) | instid1(VALU_DEP_2)
	v_mul_lo_u32 v9, v9, s21
	v_mul_lo_u32 v25, v25, s23
	s_delay_alu instid0(VALU_DEP_1) | instskip(NEXT) | instid1(VALU_DEP_1)
	v_sub_nc_u32_e32 v9, v9, v25
	v_cmp_lt_u32_e64 s0, s39, v9
	s_and_b32 s3, s0, exec_lo
.LBB1807_76:
	s_wait_alu 0xfffe
	s_or_b32 exec_lo, exec_lo, s4
	v_lshrrev_b32_e32 v11, 24, v11
	v_cndmask_b32_e64 v25, 0, 1, s3
	v_lshrrev_b32_e32 v26, 8, v10
	v_lshrrev_b32_e32 v27, 16, v10
	s_wait_alu 0xfffd
	v_cndmask_b32_e64 v9, 0, 1, vcc_lo
	v_lshlrev_b16 v12, 8, v12
	v_lshlrev_b16 v11, 8, v11
	v_and_b32_e32 v10, 0xff, v10
	v_lshlrev_b16 v26, 8, v26
	v_lshlrev_b16 v25, 8, v25
	v_and_b32_e32 v27, 0xff, v27
	v_or_b32_e32 v8, v8, v12
	v_or_b32_e32 v9, v9, v11
	;; [unrolled: 1-line block ×3, first 2 shown]
	s_delay_alu instid0(VALU_DEP_4) | instskip(NEXT) | instid1(VALU_DEP_4)
	v_or_b32_e32 v11, v27, v25
	v_and_b32_e32 v8, 0xffff, v8
	s_delay_alu instid0(VALU_DEP_4) | instskip(NEXT) | instid1(VALU_DEP_4)
	v_lshlrev_b32_e32 v9, 16, v9
	v_and_b32_e32 v10, 0xffff, v10
	s_delay_alu instid0(VALU_DEP_4) | instskip(NEXT) | instid1(VALU_DEP_3)
	v_lshlrev_b32_e32 v11, 16, v11
	v_or_b32_e32 v9, v8, v9
	s_delay_alu instid0(VALU_DEP_2)
	v_or_b32_e32 v48, v10, v11
.LBB1807_77:
	s_wait_alu 0xfffe
	s_or_b32 exec_lo, exec_lo, s1
	v_add_nc_u32_e32 v8, 7, v46
	v_lshrrev_b32_e32 v10, 8, v7
	v_lshrrev_b32_e32 v11, 16, v7
	;; [unrolled: 1-line block ×3, first 2 shown]
                                        ; implicit-def: $vgpr49
	s_delay_alu instid0(VALU_DEP_4)
	v_cmp_le_u32_e32 vcc_lo, s27, v8
                                        ; implicit-def: $vgpr8
	s_and_saveexec_b32 s0, vcc_lo
	s_wait_alu 0xfffe
	s_xor_b32 s0, exec_lo, s0
	s_cbranch_execz .LBB1807_79
; %bb.78:
	v_lshlrev_b16 v7, 8, v7
	v_and_b32_e32 v8, 0xff, v11
                                        ; implicit-def: $vgpr11
	s_delay_alu instid0(VALU_DEP_1) | instskip(SKIP_2) | instid1(VALU_DEP_3)
	v_or_b32_e32 v7, v8, v7
	v_lshlrev_b16 v8, 8, v10
	v_and_b32_e32 v10, 0xff0000, v9
	v_lshlrev_b32_e32 v7, 16, v7
	s_delay_alu instid0(VALU_DEP_3) | instskip(NEXT) | instid1(VALU_DEP_3)
	v_and_b32_e32 v8, 0xffff, v8
	v_perm_b32 v49, v9, v10, 0x3020504
                                        ; implicit-def: $vgpr9
                                        ; implicit-def: $vgpr10
	s_delay_alu instid0(VALU_DEP_2)
	v_or_b32_e32 v8, v8, v7
                                        ; implicit-def: $vgpr7
.LBB1807_79:
	s_wait_alu 0xfffe
	s_and_not1_saveexec_b32 s1, s0
	s_cbranch_execz .LBB1807_83
; %bb.80:
	v_add_nc_u32_e32 v8, s17, v18
	v_add_nc_u32_e32 v12, s19, v18
	s_mov_b32 s3, 0
	s_mov_b32 s4, exec_lo
	s_delay_alu instid0(VALU_DEP_2) | instskip(NEXT) | instid1(VALU_DEP_2)
	v_mul_lo_u32 v8, v8, s16
	v_mul_lo_u32 v12, v12, s18
	s_delay_alu instid0(VALU_DEP_1) | instskip(NEXT) | instid1(VALU_DEP_1)
	v_sub_nc_u32_e32 v8, v8, v12
	v_cmp_lt_u32_e32 vcc_lo, s20, v8
	v_cmpx_ge_u32_e64 s20, v8
	s_cbranch_execz .LBB1807_82
; %bb.81:
	v_add_nc_u32_e32 v8, s22, v18
	v_add_nc_u32_e32 v12, s38, v18
	s_delay_alu instid0(VALU_DEP_2) | instskip(NEXT) | instid1(VALU_DEP_2)
	v_mul_lo_u32 v8, v8, s21
	v_mul_lo_u32 v12, v12, s23
	s_delay_alu instid0(VALU_DEP_1) | instskip(NEXT) | instid1(VALU_DEP_1)
	v_sub_nc_u32_e32 v8, v8, v12
	v_cmp_lt_u32_e64 s0, s39, v8
	s_and_b32 s3, s0, exec_lo
.LBB1807_82:
	s_wait_alu 0xfffe
	s_or_b32 exec_lo, exec_lo, s4
	v_lshrrev_b32_e32 v8, 8, v9
	s_wait_alu 0xfffd
	v_cndmask_b32_e64 v12, 0, 1, vcc_lo
	v_lshrrev_b32_e32 v25, 16, v9
	v_cndmask_b32_e64 v26, 0, 1, s3
	v_and_b32_e32 v9, 0xff, v9
	v_lshlrev_b16 v8, 8, v8
	v_lshlrev_b16 v12, 8, v12
	v_and_b32_e32 v25, 0xff, v25
	v_lshlrev_b16 v7, 8, v7
	v_and_b32_e32 v11, 0xff, v11
	v_lshlrev_b16 v10, 8, v10
	v_or_b32_e32 v8, v9, v8
	v_or_b32_e32 v9, v25, v12
	s_delay_alu instid0(VALU_DEP_4) | instskip(NEXT) | instid1(VALU_DEP_4)
	v_or_b32_e32 v7, v11, v7
	v_or_b32_e32 v10, v26, v10
	s_delay_alu instid0(VALU_DEP_4) | instskip(NEXT) | instid1(VALU_DEP_4)
	v_and_b32_e32 v8, 0xffff, v8
	v_lshlrev_b32_e32 v9, 16, v9
	s_delay_alu instid0(VALU_DEP_4) | instskip(NEXT) | instid1(VALU_DEP_4)
	v_lshlrev_b32_e32 v7, 16, v7
	v_and_b32_e32 v10, 0xffff, v10
	s_delay_alu instid0(VALU_DEP_3) | instskip(NEXT) | instid1(VALU_DEP_2)
	v_or_b32_e32 v49, v8, v9
	v_or_b32_e32 v8, v10, v7
.LBB1807_83:
	s_wait_alu 0xfffe
	s_or_b32 exec_lo, exec_lo, s1
	v_add_nc_u32_e32 v7, 8, v46
	s_delay_alu instid0(VALU_DEP_2)
	v_lshrrev_b32_e32 v9, 16, v8
	v_lshrrev_b32_e32 v10, 24, v8
	;; [unrolled: 1-line block ×4, first 2 shown]
	v_cmp_le_u32_e32 vcc_lo, s27, v7
	v_lshrrev_b32_e32 v11, 8, v6
                                        ; implicit-def: $vgpr6
                                        ; implicit-def: $vgpr7
	s_and_saveexec_b32 s0, vcc_lo
	s_wait_alu 0xfffe
	s_xor_b32 s0, exec_lo, s0
	s_cbranch_execz .LBB1807_85
; %bb.84:
	v_lshlrev_b16 v6, 8, v12
	v_and_b32_e32 v7, 0xff, v25
	v_lshlrev_b16 v11, 8, v11
	v_lshlrev_b16 v10, 8, v10
	v_perm_b32 v5, v5, v5, 0x3060504
                                        ; implicit-def: $vgpr12
                                        ; implicit-def: $vgpr25
	s_delay_alu instid0(VALU_DEP_4) | instskip(SKIP_2) | instid1(VALU_DEP_3)
	v_or_b32_e32 v6, v7, v6
	v_and_b32_e32 v7, 0xff, v9
	v_and_b32_e32 v9, 0xffff, v11
                                        ; implicit-def: $vgpr11
	v_lshlrev_b32_e32 v6, 16, v6
	s_delay_alu instid0(VALU_DEP_3) | instskip(NEXT) | instid1(VALU_DEP_2)
	v_or_b32_e32 v10, v7, v10
	v_or_b32_e32 v7, v9, v6
	s_delay_alu instid0(VALU_DEP_2)
	v_perm_b32 v6, v10, v8, 0x5040c00
                                        ; implicit-def: $vgpr8
                                        ; implicit-def: $vgpr9
                                        ; implicit-def: $vgpr10
.LBB1807_85:
	s_wait_alu 0xfffe
	s_and_not1_saveexec_b32 s1, s0
	s_cbranch_execz .LBB1807_89
; %bb.86:
	v_add_nc_u32_e32 v6, s17, v15
	v_add_nc_u32_e32 v7, s19, v15
	s_mov_b32 s3, 0
	s_mov_b32 s4, exec_lo
	s_delay_alu instid0(VALU_DEP_2) | instskip(NEXT) | instid1(VALU_DEP_2)
	v_mul_lo_u32 v6, v6, s16
	v_mul_lo_u32 v7, v7, s18
	s_delay_alu instid0(VALU_DEP_1) | instskip(NEXT) | instid1(VALU_DEP_1)
	v_sub_nc_u32_e32 v6, v6, v7
	v_cmp_lt_u32_e32 vcc_lo, s20, v6
	v_cmpx_ge_u32_e64 s20, v6
	s_cbranch_execz .LBB1807_88
; %bb.87:
	v_add_nc_u32_e32 v6, s22, v15
	v_add_nc_u32_e32 v7, s38, v15
	s_delay_alu instid0(VALU_DEP_2) | instskip(NEXT) | instid1(VALU_DEP_2)
	v_mul_lo_u32 v6, v6, s21
	v_mul_lo_u32 v7, v7, s23
	s_delay_alu instid0(VALU_DEP_1) | instskip(NEXT) | instid1(VALU_DEP_1)
	v_sub_nc_u32_e32 v6, v6, v7
	v_cmp_lt_u32_e64 s0, s39, v6
	s_and_b32 s3, s0, exec_lo
.LBB1807_88:
	s_wait_alu 0xfffe
	s_or_b32 exec_lo, exec_lo, s4
	v_cndmask_b32_e64 v6, 0, 1, s3
	s_wait_alu 0xfffd
	v_cndmask_b32_e64 v7, 0, 1, vcc_lo
	v_lshlrev_b16 v12, 8, v12
	v_and_b32_e32 v25, 0xff, v25
	v_lshlrev_b16 v11, 8, v11
	v_lshlrev_b16 v6, 8, v6
	v_and_b32_e32 v8, 0xff, v8
	v_lshlrev_b16 v10, 8, v10
	v_and_b32_e32 v9, 0xff, v9
	v_or_b32_e32 v12, v25, v12
	v_or_b32_e32 v7, v7, v11
	;; [unrolled: 1-line block ×3, first 2 shown]
	s_delay_alu instid0(VALU_DEP_4) | instskip(NEXT) | instid1(VALU_DEP_4)
	v_or_b32_e32 v8, v9, v10
	v_lshlrev_b32_e32 v9, 16, v12
	s_delay_alu instid0(VALU_DEP_4) | instskip(NEXT) | instid1(VALU_DEP_4)
	v_and_b32_e32 v7, 0xffff, v7
	v_and_b32_e32 v6, 0xffff, v6
	s_delay_alu instid0(VALU_DEP_4) | instskip(NEXT) | instid1(VALU_DEP_3)
	v_lshlrev_b32_e32 v8, 16, v8
	v_or_b32_e32 v7, v7, v9
	s_delay_alu instid0(VALU_DEP_2)
	v_or_b32_e32 v6, v6, v8
.LBB1807_89:
	s_wait_alu 0xfffe
	s_or_b32 exec_lo, exec_lo, s1
	v_add_nc_u32_e32 v8, 9, v46
	s_delay_alu instid0(VALU_DEP_2)
	v_lshrrev_b32_e32 v10, 8, v6
	v_lshrrev_b32_e32 v25, 24, v7
	;; [unrolled: 1-line block ×3, first 2 shown]
	v_and_b32_e32 v11, 0xff, v6
	v_cmp_le_u32_e32 vcc_lo, s27, v8
                                        ; implicit-def: $vgpr8
                                        ; implicit-def: $vgpr9
	s_and_saveexec_b32 s0, vcc_lo
	s_wait_alu 0xfffe
	s_xor_b32 s0, exec_lo, s0
	s_cbranch_execz .LBB1807_91
; %bb.90:
	v_lshlrev_b16 v8, 8, v10
	v_lshlrev_b16 v9, 8, v25
	v_and_b32_e32 v10, 0xff, v12
	v_perm_b32 v5, v5, v5, 0x3060504
                                        ; implicit-def: $vgpr25
                                        ; implicit-def: $vgpr12
	s_delay_alu instid0(VALU_DEP_4) | instskip(NEXT) | instid1(VALU_DEP_3)
	v_or_b32_e32 v8, v11, v8
                                        ; implicit-def: $vgpr11
	v_or_b32_e32 v9, v10, v9
                                        ; implicit-def: $vgpr10
	s_delay_alu instid0(VALU_DEP_2) | instskip(NEXT) | instid1(VALU_DEP_2)
	v_and_b32_e32 v8, 0xffff, v8
	v_perm_b32 v9, v9, v7, 0x5040c00
                                        ; implicit-def: $vgpr7
	s_delay_alu instid0(VALU_DEP_2)
	v_and_or_b32 v8, 0xff000000, v6, v8
                                        ; implicit-def: $vgpr6
.LBB1807_91:
	s_wait_alu 0xfffe
	s_and_not1_saveexec_b32 s1, s0
	s_cbranch_execz .LBB1807_95
; %bb.92:
	v_add_nc_u32_e32 v8, s17, v16
	v_add_nc_u32_e32 v9, s19, v16
	s_mov_b32 s3, 0
	s_mov_b32 s4, exec_lo
	s_delay_alu instid0(VALU_DEP_2) | instskip(NEXT) | instid1(VALU_DEP_2)
	v_mul_lo_u32 v8, v8, s16
	v_mul_lo_u32 v9, v9, s18
	s_delay_alu instid0(VALU_DEP_1) | instskip(NEXT) | instid1(VALU_DEP_1)
	v_sub_nc_u32_e32 v8, v8, v9
	v_cmp_lt_u32_e32 vcc_lo, s20, v8
	v_cmpx_ge_u32_e64 s20, v8
	s_cbranch_execz .LBB1807_94
; %bb.93:
	v_add_nc_u32_e32 v8, s22, v16
	v_add_nc_u32_e32 v9, s38, v16
	s_delay_alu instid0(VALU_DEP_2) | instskip(NEXT) | instid1(VALU_DEP_2)
	v_mul_lo_u32 v8, v8, s21
	v_mul_lo_u32 v9, v9, s23
	s_delay_alu instid0(VALU_DEP_1) | instskip(NEXT) | instid1(VALU_DEP_1)
	v_sub_nc_u32_e32 v8, v8, v9
	v_cmp_lt_u32_e64 s0, s39, v8
	s_and_b32 s3, s0, exec_lo
.LBB1807_94:
	s_wait_alu 0xfffe
	s_or_b32 exec_lo, exec_lo, s4
	s_wait_alu 0xfffd
	v_cndmask_b32_e64 v8, 0, 1, vcc_lo
	v_lshrrev_b32_e32 v6, 24, v6
	v_cndmask_b32_e64 v9, 0, 1, s3
	v_lshlrev_b16 v25, 8, v25
	v_and_b32_e32 v12, 0xff, v12
	v_lshlrev_b16 v8, 8, v8
	v_lshlrev_b16 v10, 8, v10
	v_and_b32_e32 v7, 0xff, v7
	v_lshlrev_b16 v6, 8, v6
	v_or_b32_e32 v12, v12, v25
	s_delay_alu instid0(VALU_DEP_4) | instskip(NEXT) | instid1(VALU_DEP_4)
	v_or_b32_e32 v10, v11, v10
	v_or_b32_e32 v7, v7, v8
	s_delay_alu instid0(VALU_DEP_4) | instskip(NEXT) | instid1(VALU_DEP_4)
	v_or_b32_e32 v6, v9, v6
	v_lshlrev_b32_e32 v8, 16, v12
	s_delay_alu instid0(VALU_DEP_4) | instskip(NEXT) | instid1(VALU_DEP_4)
	v_and_b32_e32 v10, 0xffff, v10
	v_and_b32_e32 v7, 0xffff, v7
	s_delay_alu instid0(VALU_DEP_4) | instskip(NEXT) | instid1(VALU_DEP_2)
	v_lshlrev_b32_e32 v6, 16, v6
	v_or_b32_e32 v9, v7, v8
	s_delay_alu instid0(VALU_DEP_2)
	v_or_b32_e32 v8, v10, v6
.LBB1807_95:
	s_wait_alu 0xfffe
	s_or_b32 exec_lo, exec_lo, s1
	v_add_nc_u32_e32 v6, 10, v46
	v_and_b32_e32 v7, 0xff, v9
	v_lshrrev_b32_e32 v10, 8, v9
                                        ; implicit-def: $vgpr51
	s_delay_alu instid0(VALU_DEP_3)
	v_cmp_le_u32_e32 vcc_lo, s27, v6
                                        ; implicit-def: $vgpr6
	s_and_saveexec_b32 s0, vcc_lo
	s_wait_alu 0xfffe
	s_xor_b32 s0, exec_lo, s0
	s_cbranch_execz .LBB1807_97
; %bb.96:
	v_lshlrev_b16 v6, 8, v10
	v_perm_b32 v5, v5, v5, 0x3060504
                                        ; implicit-def: $vgpr10
	s_delay_alu instid0(VALU_DEP_2) | instskip(SKIP_1) | instid1(VALU_DEP_2)
	v_or_b32_e32 v6, v7, v6
	v_and_b32_e32 v7, 0xff0000, v8
	v_and_b32_e32 v6, 0xffff, v6
	s_delay_alu instid0(VALU_DEP_2) | instskip(NEXT) | instid1(VALU_DEP_2)
	v_perm_b32 v51, v8, v7, 0x3020504
                                        ; implicit-def: $vgpr7
                                        ; implicit-def: $vgpr8
	v_and_or_b32 v6, 0xff000000, v9, v6
                                        ; implicit-def: $vgpr9
.LBB1807_97:
	s_wait_alu 0xfffe
	s_and_not1_saveexec_b32 s1, s0
	s_cbranch_execz .LBB1807_101
; %bb.98:
	v_add_nc_u32_e32 v6, s17, v13
	v_add_nc_u32_e32 v11, s19, v13
	s_mov_b32 s3, 0
	s_mov_b32 s4, exec_lo
	s_delay_alu instid0(VALU_DEP_2) | instskip(NEXT) | instid1(VALU_DEP_2)
	v_mul_lo_u32 v6, v6, s16
	v_mul_lo_u32 v11, v11, s18
	s_delay_alu instid0(VALU_DEP_1) | instskip(NEXT) | instid1(VALU_DEP_1)
	v_sub_nc_u32_e32 v6, v6, v11
	v_cmp_lt_u32_e32 vcc_lo, s20, v6
	v_cmpx_ge_u32_e64 s20, v6
	s_cbranch_execz .LBB1807_100
; %bb.99:
	v_add_nc_u32_e32 v6, s22, v13
	v_add_nc_u32_e32 v11, s38, v13
	s_delay_alu instid0(VALU_DEP_2) | instskip(NEXT) | instid1(VALU_DEP_2)
	v_mul_lo_u32 v6, v6, s21
	v_mul_lo_u32 v11, v11, s23
	s_delay_alu instid0(VALU_DEP_1) | instskip(NEXT) | instid1(VALU_DEP_1)
	v_sub_nc_u32_e32 v6, v6, v11
	v_cmp_lt_u32_e64 s0, s39, v6
	s_and_b32 s3, s0, exec_lo
.LBB1807_100:
	s_wait_alu 0xfffe
	s_or_b32 exec_lo, exec_lo, s4
	v_lshrrev_b32_e32 v9, 24, v9
	v_cndmask_b32_e64 v11, 0, 1, s3
	v_lshrrev_b32_e32 v12, 8, v8
	v_lshrrev_b32_e32 v25, 16, v8
	s_wait_alu 0xfffd
	v_cndmask_b32_e64 v6, 0, 1, vcc_lo
	v_lshlrev_b16 v10, 8, v10
	v_lshlrev_b16 v9, 8, v9
	v_and_b32_e32 v8, 0xff, v8
	v_lshlrev_b16 v12, 8, v12
	v_lshlrev_b16 v11, 8, v11
	v_and_b32_e32 v25, 0xff, v25
	v_or_b32_e32 v7, v7, v10
	v_or_b32_e32 v6, v6, v9
	;; [unrolled: 1-line block ×3, first 2 shown]
	s_delay_alu instid0(VALU_DEP_4) | instskip(NEXT) | instid1(VALU_DEP_4)
	v_or_b32_e32 v9, v25, v11
	v_and_b32_e32 v7, 0xffff, v7
	s_delay_alu instid0(VALU_DEP_4) | instskip(NEXT) | instid1(VALU_DEP_4)
	v_lshlrev_b32_e32 v6, 16, v6
	v_and_b32_e32 v8, 0xffff, v8
	s_delay_alu instid0(VALU_DEP_4) | instskip(NEXT) | instid1(VALU_DEP_3)
	v_lshlrev_b32_e32 v9, 16, v9
	v_or_b32_e32 v6, v7, v6
	s_delay_alu instid0(VALU_DEP_2)
	v_or_b32_e32 v51, v8, v9
.LBB1807_101:
	s_wait_alu 0xfffe
	s_or_b32 exec_lo, exec_lo, s1
	v_dual_mov_b32 v50, 0 :: v_dual_add_nc_u32 v7, 11, v46
	s_mov_b32 s0, exec_lo
                                        ; implicit-def: $vgpr52
	s_delay_alu instid0(VALU_DEP_1)
	v_cmpx_le_u32_e64 s27, v7
	s_wait_alu 0xfffe
	s_xor_b32 s0, exec_lo, s0
; %bb.102:
	v_and_b32_e32 v7, 0xff0000, v6
	v_perm_b32 v5, v5, v5, 0x3060504
	s_delay_alu instid0(VALU_DEP_2)
	v_perm_b32 v52, v6, v7, 0x3020504
                                        ; implicit-def: $vgpr6
; %bb.103:
	s_wait_alu 0xfffe
	s_and_not1_saveexec_b32 s1, s0
	s_cbranch_execz .LBB1807_107
; %bb.104:
	v_add_nc_u32_e32 v7, s17, v14
	v_add_nc_u32_e32 v8, s19, v14
	s_mov_b32 s3, 0
	s_mov_b32 s4, exec_lo
	s_delay_alu instid0(VALU_DEP_2) | instskip(NEXT) | instid1(VALU_DEP_2)
	v_mul_lo_u32 v7, v7, s16
	v_mul_lo_u32 v8, v8, s18
	s_delay_alu instid0(VALU_DEP_1) | instskip(NEXT) | instid1(VALU_DEP_1)
	v_sub_nc_u32_e32 v7, v7, v8
	v_cmp_lt_u32_e32 vcc_lo, s20, v7
	v_cmpx_ge_u32_e64 s20, v7
	s_cbranch_execz .LBB1807_106
; %bb.105:
	v_add_nc_u32_e32 v7, s22, v14
	v_add_nc_u32_e32 v8, s38, v14
	s_delay_alu instid0(VALU_DEP_2) | instskip(NEXT) | instid1(VALU_DEP_2)
	v_mul_lo_u32 v7, v7, s21
	v_mul_lo_u32 v8, v8, s23
	s_delay_alu instid0(VALU_DEP_1) | instskip(NEXT) | instid1(VALU_DEP_1)
	v_sub_nc_u32_e32 v7, v7, v8
	v_cmp_lt_u32_e64 s0, s39, v7
	s_and_b32 s3, s0, exec_lo
.LBB1807_106:
	s_wait_alu 0xfffe
	s_or_b32 exec_lo, exec_lo, s4
	v_lshrrev_b32_e32 v7, 8, v6
	s_wait_alu 0xfffd
	v_cndmask_b32_e64 v8, 0, 1, vcc_lo
	v_lshrrev_b32_e32 v9, 16, v6
	v_and_b32_e32 v6, 0xff, v6
	v_cndmask_b32_e64 v50, 0, 1, s3
	v_lshlrev_b16 v7, 8, v7
	v_lshlrev_b16 v8, 8, v8
	v_and_b32_e32 v9, 0xff, v9
	s_delay_alu instid0(VALU_DEP_3) | instskip(NEXT) | instid1(VALU_DEP_2)
	v_or_b32_e32 v6, v6, v7
	v_or_b32_e32 v7, v9, v8
	s_delay_alu instid0(VALU_DEP_2) | instskip(NEXT) | instid1(VALU_DEP_2)
	v_and_b32_e32 v6, 0xffff, v6
	v_lshlrev_b32_e32 v7, 16, v7
	s_delay_alu instid0(VALU_DEP_1)
	v_or_b32_e32 v52, v6, v7
.LBB1807_107:
	s_wait_alu 0xfffe
	s_or_b32 exec_lo, exec_lo, s1
	v_add_nc_u32_e32 v8, 12, v46
	v_lshrrev_b32_e32 v6, 8, v5
	v_lshrrev_b32_e32 v7, 16, v5
	;; [unrolled: 1-line block ×3, first 2 shown]
	s_mov_b32 s0, exec_lo
                                        ; implicit-def: $vgpr54
	v_cmpx_le_u32_e64 s27, v8
	s_wait_alu 0xfffe
	s_xor_b32 s0, exec_lo, s0
	s_cbranch_execz .LBB1807_109
; %bb.108:
	v_lshlrev_b16 v5, 8, v5
	v_and_b32_e32 v7, 0xff, v7
	v_lshlrev_b16 v6, 8, v6
	s_delay_alu instid0(VALU_DEP_2) | instskip(NEXT) | instid1(VALU_DEP_2)
	v_or_b32_e32 v5, v7, v5
	v_and_b32_e32 v6, 0xffff, v6
                                        ; implicit-def: $vgpr7
	s_delay_alu instid0(VALU_DEP_2) | instskip(NEXT) | instid1(VALU_DEP_1)
	v_lshlrev_b32_e32 v5, 16, v5
	v_or_b32_e32 v54, v6, v5
                                        ; implicit-def: $vgpr5
                                        ; implicit-def: $vgpr6
.LBB1807_109:
	s_wait_alu 0xfffe
	s_or_saveexec_b32 s1, s0
	v_mov_b32_e32 v53, 0
	s_wait_alu 0xfffe
	s_xor_b32 exec_lo, exec_lo, s1
	s_cbranch_execz .LBB1807_113
; %bb.110:
	v_add_nc_u32_e32 v8, s17, v45
	v_add_nc_u32_e32 v9, s19, v45
	s_mov_b32 s3, 0
	s_mov_b32 s4, exec_lo
	s_delay_alu instid0(VALU_DEP_2) | instskip(NEXT) | instid1(VALU_DEP_2)
	v_mul_lo_u32 v8, v8, s16
	v_mul_lo_u32 v9, v9, s18
	s_delay_alu instid0(VALU_DEP_1) | instskip(NEXT) | instid1(VALU_DEP_1)
	v_sub_nc_u32_e32 v8, v8, v9
	v_cmp_lt_u32_e32 vcc_lo, s20, v8
	v_cmpx_ge_u32_e64 s20, v8
	s_cbranch_execz .LBB1807_112
; %bb.111:
	v_add_nc_u32_e32 v8, s22, v45
	v_add_nc_u32_e32 v9, s38, v45
	s_delay_alu instid0(VALU_DEP_2) | instskip(NEXT) | instid1(VALU_DEP_2)
	v_mul_lo_u32 v8, v8, s21
	v_mul_lo_u32 v9, v9, s23
	s_delay_alu instid0(VALU_DEP_1) | instskip(NEXT) | instid1(VALU_DEP_1)
	v_sub_nc_u32_e32 v8, v8, v9
	v_cmp_lt_u32_e64 s0, s39, v8
	s_and_b32 s3, s0, exec_lo
.LBB1807_112:
	s_wait_alu 0xfffe
	s_or_b32 exec_lo, exec_lo, s4
	s_wait_alu 0xfffd
	v_cndmask_b32_e64 v8, 0, 1, vcc_lo
	v_lshlrev_b16 v5, 8, v5
	v_and_b32_e32 v7, 0xff, v7
	v_lshlrev_b16 v6, 8, v6
	v_cndmask_b32_e64 v53, 0, 1, s3
	s_delay_alu instid0(VALU_DEP_3) | instskip(NEXT) | instid1(VALU_DEP_3)
	v_or_b32_e32 v5, v7, v5
	v_or_b32_e32 v6, v8, v6
	s_delay_alu instid0(VALU_DEP_2) | instskip(NEXT) | instid1(VALU_DEP_2)
	v_lshlrev_b32_e32 v5, 16, v5
	v_and_b32_e32 v6, 0xffff, v6
	s_delay_alu instid0(VALU_DEP_1)
	v_or_b32_e32 v54, v6, v5
.LBB1807_113:
	s_or_b32 exec_lo, exec_lo, s1
.LBB1807_114:
	v_and_b32_e32 v77, 0xff, v47
	s_delay_alu instid0(VALU_DEP_2)
	v_bfe_u32 v78, v54, 8, 8
	v_bfe_u32 v74, v47, 8, 8
	;; [unrolled: 1-line block ×4, first 2 shown]
	v_lshrrev_b32_e32 v60, 24, v54
	v_lshrrev_b32_e32 v59, 24, v47
	v_and_b32_e32 v73, 0xff, v48
	v_and_b32_e32 v71, 0xff, v49
	v_bfe_u32 v72, v48, 8, 8
	v_add3_u32 v5, v74, v77, v76
	v_add3_u32 v6, v75, v78, v60
	v_bfe_u32 v69, v49, 8, 8
	v_bfe_u32 v70, v48, 16, 8
	;; [unrolled: 1-line block ×3, first 2 shown]
	v_lshrrev_b32_e32 v58, 24, v48
	v_add3_u32 v5, v5, v59, v71
	v_add3_u32 v6, v6, v73, v72
	v_lshrrev_b32_e32 v57, 24, v49
	v_and_b32_e32 v68, 0xff, v51
	v_and_b32_e32 v66, 0xff, v52
	v_bfe_u32 v67, v51, 8, 8
	v_add3_u32 v5, v5, v69, v65
	v_add3_u32 v6, v6, v70, v58
	v_bfe_u32 v63, v52, 8, 8
	v_bfe_u32 v64, v51, 16, 8
	;; [unrolled: 1-line block ×3, first 2 shown]
	v_lshrrev_b32_e32 v56, 24, v51
	v_add3_u32 v5, v5, v57, v66
	v_add3_u32 v6, v6, v68, v67
	v_mbcnt_lo_u32_b32 v79, -1, 0
	v_lshrrev_b32_e32 v55, 24, v52
	v_and_b32_e32 v61, 0xff, v50
	v_and_b32_e32 v7, 0xff, v54
	;; [unrolled: 1-line block ×3, first 2 shown]
	v_add3_u32 v5, v5, v63, v62
	v_add3_u32 v6, v6, v64, v56
	v_and_b32_e32 v81, 15, v79
	v_and_b32_e32 v83, 16, v79
	v_lshrrev_b32_e32 v80, 5, v0
	v_add3_u32 v84, v5, v55, v7
	v_add3_u32 v85, v6, v61, v8
	v_cmp_eq_u32_e64 s1, 0, v81
	v_cmp_lt_u32_e64 s0, 1, v81
	v_cmp_lt_u32_e64 s3, 3, v81
	v_or_b32_e32 v82, 31, v0
	s_cmp_lg_u32 s33, 0
	s_mov_b32 s4, -1
	v_cmp_lt_u32_e32 vcc_lo, 7, v81
	s_cbranch_scc0 .LBB1807_135
; %bb.115:
	v_mov_b32_dpp v6, v84 row_shr:1 row_mask:0xf bank_mask:0xf
	v_mov_b32_dpp v5, v85 row_shr:1 row_mask:0xf bank_mask:0xf
	s_mov_b32 s4, exec_lo
	s_delay_alu instid0(VALU_DEP_2) | instskip(SKIP_1) | instid1(VALU_DEP_1)
	v_add_nc_u32_e32 v6, v6, v84
	s_wait_alu 0xf1ff
	v_cndmask_b32_e64 v6, v6, v84, s1
	s_delay_alu instid0(VALU_DEP_1) | instskip(NEXT) | instid1(VALU_DEP_1)
	v_mov_b32_dpp v8, v6 row_shr:2 row_mask:0xf bank_mask:0xf
	v_add_nc_u32_e32 v8, v6, v8
	s_delay_alu instid0(VALU_DEP_1) | instskip(NEXT) | instid1(VALU_DEP_1)
	v_cndmask_b32_e64 v6, v6, v8, s0
	v_mov_b32_dpp v8, v6 row_shr:4 row_mask:0xf bank_mask:0xf
	s_delay_alu instid0(VALU_DEP_1) | instskip(NEXT) | instid1(VALU_DEP_1)
	v_add_nc_u32_e32 v8, v6, v8
	v_cndmask_b32_e64 v6, v6, v8, s3
	s_delay_alu instid0(VALU_DEP_1) | instskip(NEXT) | instid1(VALU_DEP_1)
	v_mov_b32_dpp v8, v6 row_shr:8 row_mask:0xf bank_mask:0xf
	v_add_nc_u32_e32 v8, v6, v8
	s_wait_alu 0xfffd
	s_delay_alu instid0(VALU_DEP_1) | instskip(NEXT) | instid1(VALU_DEP_1)
	v_dual_cndmask_b32 v6, v6, v8 :: v_dual_add_nc_u32 v5, v5, v85
	v_cndmask_b32_e64 v5, v5, v85, s1
	ds_swizzle_b32 v8, v6 offset:swizzle(BROADCAST,32,15)
	v_mov_b32_dpp v7, v5 row_shr:2 row_mask:0xf bank_mask:0xf
	s_delay_alu instid0(VALU_DEP_1) | instskip(NEXT) | instid1(VALU_DEP_1)
	v_add_nc_u32_e32 v7, v5, v7
	v_cndmask_b32_e64 v5, v5, v7, s0
	s_delay_alu instid0(VALU_DEP_1) | instskip(SKIP_2) | instid1(VALU_DEP_2)
	v_mov_b32_dpp v7, v5 row_shr:4 row_mask:0xf bank_mask:0xf
	s_wait_dscnt 0x0
	v_add_nc_u32_e32 v8, v6, v8
	v_add_nc_u32_e32 v7, v5, v7
	s_delay_alu instid0(VALU_DEP_1) | instskip(NEXT) | instid1(VALU_DEP_1)
	v_cndmask_b32_e64 v5, v5, v7, s3
	v_mov_b32_dpp v7, v5 row_shr:8 row_mask:0xf bank_mask:0xf
	s_delay_alu instid0(VALU_DEP_1) | instskip(NEXT) | instid1(VALU_DEP_1)
	v_add_nc_u32_e32 v7, v5, v7
	v_cndmask_b32_e32 v5, v5, v7, vcc_lo
	v_cmp_eq_u32_e32 vcc_lo, 0, v83
	ds_swizzle_b32 v7, v5 offset:swizzle(BROADCAST,32,15)
	s_wait_dscnt 0x0
	v_add_nc_u32_e32 v7, v5, v7
	v_cmpx_eq_u32_e64 v0, v82
; %bb.116:
	s_wait_alu 0xfffd
	s_delay_alu instid0(VALU_DEP_2)
	v_dual_cndmask_b32 v10, v7, v5 :: v_dual_lshlrev_b32 v11, 3, v80
	v_cndmask_b32_e32 v9, v8, v6, vcc_lo
	ds_store_b64 v11, v[9:10]
; %bb.117:
	s_wait_alu 0xfffe
	s_or_b32 exec_lo, exec_lo, s4
	s_delay_alu instid0(SALU_CYCLE_1)
	s_mov_b32 s4, exec_lo
	s_wait_loadcnt_dscnt 0x0
	s_barrier_signal -1
	s_barrier_wait -1
	global_inv scope:SCOPE_SE
	v_cmpx_gt_u32_e32 8, v0
	s_cbranch_execz .LBB1807_119
; %bb.118:
	v_lshlrev_b32_e32 v11, 3, v0
	v_and_b32_e32 v26, 7, v79
	ds_load_b64 v[9:10], v11
	v_cmp_eq_u32_e64 s3, 0, v26
	s_wait_dscnt 0x0
	v_mov_b32_dpp v12, v9 row_shr:1 row_mask:0xf bank_mask:0xf
	v_mov_b32_dpp v25, v10 row_shr:1 row_mask:0xf bank_mask:0xf
	s_delay_alu instid0(VALU_DEP_2) | instskip(NEXT) | instid1(VALU_DEP_2)
	v_add_nc_u32_e32 v12, v12, v9
	v_add_nc_u32_e32 v25, v25, v10
	s_wait_alu 0xf1ff
	s_delay_alu instid0(VALU_DEP_2) | instskip(NEXT) | instid1(VALU_DEP_2)
	v_cndmask_b32_e64 v9, v12, v9, s3
	v_cndmask_b32_e64 v10, v25, v10, s3
	v_cmp_lt_u32_e64 s3, 1, v26
	s_delay_alu instid0(VALU_DEP_3) | instskip(NEXT) | instid1(VALU_DEP_3)
	v_mov_b32_dpp v12, v9 row_shr:2 row_mask:0xf bank_mask:0xf
	v_mov_b32_dpp v25, v10 row_shr:2 row_mask:0xf bank_mask:0xf
	s_delay_alu instid0(VALU_DEP_2) | instskip(NEXT) | instid1(VALU_DEP_2)
	v_add_nc_u32_e32 v12, v9, v12
	v_add_nc_u32_e32 v25, v10, v25
	s_wait_alu 0xf1ff
	s_delay_alu instid0(VALU_DEP_2) | instskip(NEXT) | instid1(VALU_DEP_2)
	v_cndmask_b32_e64 v9, v9, v12, s3
	v_cndmask_b32_e64 v10, v10, v25, s3
	v_cmp_lt_u32_e64 s3, 3, v26
	s_delay_alu instid0(VALU_DEP_3) | instskip(NEXT) | instid1(VALU_DEP_3)
	v_mov_b32_dpp v12, v9 row_shr:4 row_mask:0xf bank_mask:0xf
	v_mov_b32_dpp v25, v10 row_shr:4 row_mask:0xf bank_mask:0xf
	s_wait_alu 0xf1ff
	s_delay_alu instid0(VALU_DEP_2) | instskip(NEXT) | instid1(VALU_DEP_2)
	v_cndmask_b32_e64 v12, 0, v12, s3
	v_cndmask_b32_e64 v25, 0, v25, s3
	s_delay_alu instid0(VALU_DEP_2) | instskip(NEXT) | instid1(VALU_DEP_2)
	v_add_nc_u32_e32 v9, v12, v9
	v_add_nc_u32_e32 v10, v25, v10
	ds_store_b64 v11, v[9:10]
.LBB1807_119:
	s_wait_alu 0xfffe
	s_or_b32 exec_lo, exec_lo, s4
	v_dual_cndmask_b32 v5, v7, v5 :: v_dual_cndmask_b32 v6, v8, v6
	s_mov_b32 s4, exec_lo
	v_cmp_gt_u32_e32 vcc_lo, 32, v0
	s_wait_loadcnt_dscnt 0x0
	s_barrier_signal -1
	s_barrier_wait -1
	global_inv scope:SCOPE_SE
                                        ; implicit-def: $vgpr25
	v_cmpx_lt_u32_e32 31, v0
	s_cbranch_execz .LBB1807_121
; %bb.120:
	v_lshl_add_u32 v7, v80, 3, -8
	ds_load_b64 v[25:26], v7
	s_wait_dscnt 0x0
	v_add_nc_u32_e32 v5, v26, v5
	v_add_nc_u32_e32 v6, v25, v6
.LBB1807_121:
	s_wait_alu 0xfffe
	s_or_b32 exec_lo, exec_lo, s4
	v_sub_co_u32 v7, s3, v79, 1
	s_delay_alu instid0(VALU_DEP_1) | instskip(SKIP_1) | instid1(VALU_DEP_1)
	v_cmp_gt_i32_e64 s4, 0, v7
	s_wait_alu 0xf1ff
	v_cndmask_b32_e64 v7, v7, v79, s4
	s_delay_alu instid0(VALU_DEP_1)
	v_lshlrev_b32_e32 v7, 2, v7
	ds_bpermute_b32 v86, v7, v6
	ds_bpermute_b32 v87, v7, v5
	s_and_saveexec_b32 s4, vcc_lo
	s_cbranch_execz .LBB1807_140
; %bb.122:
	v_mov_b32_e32 v8, 0
	ds_load_b64 v[5:6], v8 offset:56
	s_and_saveexec_b32 s5, s3
	s_cbranch_execz .LBB1807_124
; %bb.123:
	s_add_co_i32 s6, s33, 32
	s_mov_b32 s7, 0
	s_wait_alu 0xfffe
	s_lshl_b64 s[6:7], s[6:7], 4
	s_wait_alu 0xfffe
	s_add_nc_u64 s[6:7], s[36:37], s[6:7]
	s_wait_alu 0xfffe
	v_dual_mov_b32 v7, 1 :: v_dual_mov_b32 v10, s7
	v_mov_b32_e32 v9, s6
	s_wait_dscnt 0x0
	;;#ASMSTART
	global_store_b128 v[9:10], v[5:8] off scope:SCOPE_DEV	
s_wait_storecnt 0x0
	;;#ASMEND
.LBB1807_124:
	s_wait_alu 0xfffe
	s_or_b32 exec_lo, exec_lo, s5
	v_xad_u32 v27, v79, -1, s33
	s_mov_b32 s6, 0
	s_mov_b32 s5, exec_lo
	s_delay_alu instid0(VALU_DEP_1) | instskip(NEXT) | instid1(VALU_DEP_1)
	v_add_nc_u32_e32 v7, 32, v27
	v_lshlrev_b64_e32 v[7:8], 4, v[7:8]
	s_delay_alu instid0(VALU_DEP_1) | instskip(SKIP_1) | instid1(VALU_DEP_2)
	v_add_co_u32 v7, vcc_lo, s36, v7
	s_wait_alu 0xfffd
	v_add_co_ci_u32_e64 v8, null, s37, v8, vcc_lo
	;;#ASMSTART
	global_load_b128 v[9:12], v[7:8] off scope:SCOPE_DEV	
s_wait_loadcnt 0x0
	;;#ASMEND
	v_and_b32_e32 v12, 0xff, v11
	s_delay_alu instid0(VALU_DEP_1)
	v_cmpx_eq_u16_e32 0, v12
	s_cbranch_execz .LBB1807_127
.LBB1807_125:                           ; =>This Inner Loop Header: Depth=1
	;;#ASMSTART
	global_load_b128 v[9:12], v[7:8] off scope:SCOPE_DEV	
s_wait_loadcnt 0x0
	;;#ASMEND
	v_and_b32_e32 v12, 0xff, v11
	s_delay_alu instid0(VALU_DEP_1)
	v_cmp_ne_u16_e32 vcc_lo, 0, v12
	s_wait_alu 0xfffe
	s_or_b32 s6, vcc_lo, s6
	s_wait_alu 0xfffe
	s_and_not1_b32 exec_lo, exec_lo, s6
	s_cbranch_execnz .LBB1807_125
; %bb.126:
	s_or_b32 exec_lo, exec_lo, s6
.LBB1807_127:
	s_wait_alu 0xfffe
	s_or_b32 exec_lo, exec_lo, s5
	v_cmp_ne_u32_e32 vcc_lo, 31, v79
	v_lshlrev_b32_e64 v89, v79, -1
	v_add_nc_u32_e32 v91, 2, v79
	v_add_nc_u32_e32 v93, 4, v79
	;; [unrolled: 1-line block ×3, first 2 shown]
	s_wait_alu 0xfffd
	v_add_co_ci_u32_e64 v7, null, 0, v79, vcc_lo
	v_lshl_or_b32 v96, v79, 2, 64
	v_add_nc_u32_e32 v97, 16, v79
	s_delay_alu instid0(VALU_DEP_3) | instskip(SKIP_4) | instid1(VALU_DEP_1)
	v_lshlrev_b32_e32 v88, 2, v7
	ds_bpermute_b32 v8, v88, v10
	s_wait_dscnt 0x0
	v_add_nc_u32_e32 v8, v8, v10
	v_and_b32_e32 v7, 0xff, v11
	v_cmp_eq_u16_e32 vcc_lo, 2, v7
	ds_bpermute_b32 v7, v88, v9
	s_wait_dscnt 0x0
	v_add_nc_u32_e32 v7, v7, v9
	s_wait_alu 0xfffd
	v_and_b32_e32 v12, vcc_lo, v89
	v_cmp_gt_u32_e32 vcc_lo, 30, v79
	s_delay_alu instid0(VALU_DEP_2) | instskip(SKIP_2) | instid1(VALU_DEP_2)
	v_or_b32_e32 v12, 0x80000000, v12
	s_wait_alu 0xfffd
	v_cndmask_b32_e64 v28, 0, 2, vcc_lo
	v_ctz_i32_b32_e32 v12, v12
	s_delay_alu instid0(VALU_DEP_2) | instskip(NEXT) | instid1(VALU_DEP_2)
	v_add_lshl_u32 v90, v28, v79, 2
	v_cmp_lt_u32_e32 vcc_lo, v79, v12
	s_wait_alu 0xfffd
	v_dual_cndmask_b32 v8, v10, v8 :: v_dual_cndmask_b32 v7, v9, v7
	v_cmp_gt_u32_e32 vcc_lo, 28, v79
	ds_bpermute_b32 v9, v90, v8
	ds_bpermute_b32 v10, v90, v7
	s_wait_alu 0xfffd
	v_cndmask_b32_e64 v28, 0, 4, vcc_lo
	v_cmp_gt_u32_e32 vcc_lo, v91, v12
	s_delay_alu instid0(VALU_DEP_2)
	v_add_lshl_u32 v92, v28, v79, 2
	s_wait_dscnt 0x1
	v_add_nc_u32_e32 v9, v8, v9
	s_wait_dscnt 0x0
	v_add_nc_u32_e32 v10, v7, v10
	s_wait_alu 0xfffd
	s_delay_alu instid0(VALU_DEP_1)
	v_dual_cndmask_b32 v8, v9, v8 :: v_dual_cndmask_b32 v7, v10, v7
	v_cmp_gt_u32_e32 vcc_lo, 24, v79
	ds_bpermute_b32 v9, v92, v8
	ds_bpermute_b32 v10, v92, v7
	s_wait_alu 0xfffd
	v_cndmask_b32_e64 v28, 0, 8, vcc_lo
	v_cmp_gt_u32_e32 vcc_lo, v93, v12
	s_delay_alu instid0(VALU_DEP_2)
	v_add_lshl_u32 v94, v28, v79, 2
	s_wait_dscnt 0x1
	v_dual_mov_b32 v28, 0 :: v_dual_add_nc_u32 v9, v8, v9
	s_wait_dscnt 0x0
	v_add_nc_u32_e32 v10, v7, v10
	s_wait_alu 0xfffd
	s_delay_alu instid0(VALU_DEP_1)
	v_dual_cndmask_b32 v8, v9, v8 :: v_dual_cndmask_b32 v7, v10, v7
	v_cmp_gt_u32_e32 vcc_lo, v95, v12
	ds_bpermute_b32 v9, v94, v8
	ds_bpermute_b32 v10, v94, v7
	s_wait_dscnt 0x1
	v_add_nc_u32_e32 v9, v8, v9
	s_wait_dscnt 0x0
	v_add_nc_u32_e32 v10, v7, v10
	s_wait_alu 0xfffd
	s_delay_alu instid0(VALU_DEP_1)
	v_dual_cndmask_b32 v8, v9, v8 :: v_dual_cndmask_b32 v7, v10, v7
	v_cmp_le_u32_e32 vcc_lo, v97, v12
	ds_bpermute_b32 v10, v96, v8
	ds_bpermute_b32 v9, v96, v7
	s_wait_dscnt 0x0
	s_wait_alu 0xfffd
	v_dual_cndmask_b32 v10, 0, v10 :: v_dual_cndmask_b32 v9, 0, v9
	s_delay_alu instid0(VALU_DEP_1) | instskip(NEXT) | instid1(VALU_DEP_2)
	v_add_nc_u32_e32 v10, v10, v8
	v_add_nc_u32_e32 v9, v9, v7
	s_branch .LBB1807_131
.LBB1807_128:                           ;   in Loop: Header=BB1807_131 Depth=1
	s_or_b32 exec_lo, exec_lo, s6
.LBB1807_129:                           ;   in Loop: Header=BB1807_131 Depth=1
	s_wait_alu 0xfffe
	s_or_b32 exec_lo, exec_lo, s5
	ds_bpermute_b32 v12, v88, v9
	ds_bpermute_b32 v29, v88, v10
	v_subrev_nc_u32_e32 v27, 32, v27
	s_mov_b32 s5, 0
	s_wait_dscnt 0x1
	v_add_nc_u32_e32 v12, v12, v9
	v_and_b32_e32 v30, 0xff, v11
	s_wait_dscnt 0x0
	v_add_nc_u32_e32 v29, v29, v10
	s_delay_alu instid0(VALU_DEP_2) | instskip(SKIP_2) | instid1(VALU_DEP_1)
	v_cmp_eq_u16_e32 vcc_lo, 2, v30
	s_wait_alu 0xfffd
	v_and_or_b32 v30, vcc_lo, v89, 0x80000000
	v_ctz_i32_b32_e32 v30, v30
	s_delay_alu instid0(VALU_DEP_1)
	v_cmp_lt_u32_e32 vcc_lo, v79, v30
	s_wait_alu 0xfffd
	v_dual_cndmask_b32 v10, v10, v29 :: v_dual_cndmask_b32 v9, v9, v12
	v_cmp_gt_u32_e32 vcc_lo, v91, v30
	ds_bpermute_b32 v29, v90, v10
	ds_bpermute_b32 v12, v90, v9
	s_wait_dscnt 0x1
	v_add_nc_u32_e32 v29, v10, v29
	s_wait_dscnt 0x0
	v_add_nc_u32_e32 v12, v9, v12
	s_wait_alu 0xfffd
	s_delay_alu instid0(VALU_DEP_1)
	v_dual_cndmask_b32 v10, v29, v10 :: v_dual_cndmask_b32 v9, v12, v9
	v_cmp_gt_u32_e32 vcc_lo, v93, v30
	ds_bpermute_b32 v29, v92, v10
	ds_bpermute_b32 v12, v92, v9
	s_wait_dscnt 0x1
	v_add_nc_u32_e32 v29, v10, v29
	s_wait_dscnt 0x0
	v_add_nc_u32_e32 v12, v9, v12
	s_wait_alu 0xfffd
	s_delay_alu instid0(VALU_DEP_1)
	;; [unrolled: 10-line block ×3, first 2 shown]
	v_dual_cndmask_b32 v10, v29, v10 :: v_dual_cndmask_b32 v9, v12, v9
	v_cmp_le_u32_e32 vcc_lo, v97, v30
	ds_bpermute_b32 v29, v96, v10
	ds_bpermute_b32 v12, v96, v9
	s_wait_dscnt 0x0
	s_wait_alu 0xfffd
	v_dual_cndmask_b32 v29, 0, v29 :: v_dual_cndmask_b32 v12, 0, v12
	s_delay_alu instid0(VALU_DEP_1) | instskip(NEXT) | instid1(VALU_DEP_2)
	v_add3_u32 v10, v10, v8, v29
	v_add3_u32 v9, v9, v7, v12
.LBB1807_130:                           ;   in Loop: Header=BB1807_131 Depth=1
	s_wait_alu 0xfffe
	s_and_b32 vcc_lo, exec_lo, s5
	s_wait_alu 0xfffe
	s_cbranch_vccnz .LBB1807_136
.LBB1807_131:                           ; =>This Loop Header: Depth=1
                                        ;     Child Loop BB1807_134 Depth 2
	v_and_b32_e32 v7, 0xff, v11
	s_mov_b32 s5, -1
                                        ; implicit-def: $vgpr11
	s_delay_alu instid0(VALU_DEP_1)
	v_cmp_ne_u16_e32 vcc_lo, 2, v7
	v_dual_mov_b32 v7, v9 :: v_dual_mov_b32 v8, v10
                                        ; implicit-def: $vgpr9_vgpr10
	s_cmp_lg_u32 vcc_lo, exec_lo
	s_cbranch_scc1 .LBB1807_130
; %bb.132:                              ;   in Loop: Header=BB1807_131 Depth=1
	v_lshlrev_b64_e32 v[9:10], 4, v[27:28]
	s_mov_b32 s5, exec_lo
	s_delay_alu instid0(VALU_DEP_1) | instskip(SKIP_1) | instid1(VALU_DEP_2)
	v_add_co_u32 v29, vcc_lo, s36, v9
	s_wait_alu 0xfffd
	v_add_co_ci_u32_e64 v30, null, s37, v10, vcc_lo
	;;#ASMSTART
	global_load_b128 v[9:12], v[29:30] off scope:SCOPE_DEV	
s_wait_loadcnt 0x0
	;;#ASMEND
	v_and_b32_e32 v12, 0xff, v11
	s_delay_alu instid0(VALU_DEP_1)
	v_cmpx_eq_u16_e32 0, v12
	s_cbranch_execz .LBB1807_129
; %bb.133:                              ;   in Loop: Header=BB1807_131 Depth=1
	s_mov_b32 s6, 0
.LBB1807_134:                           ;   Parent Loop BB1807_131 Depth=1
                                        ; =>  This Inner Loop Header: Depth=2
	;;#ASMSTART
	global_load_b128 v[9:12], v[29:30] off scope:SCOPE_DEV	
s_wait_loadcnt 0x0
	;;#ASMEND
	v_and_b32_e32 v12, 0xff, v11
	s_delay_alu instid0(VALU_DEP_1)
	v_cmp_ne_u16_e32 vcc_lo, 0, v12
	s_wait_alu 0xfffe
	s_or_b32 s6, vcc_lo, s6
	s_wait_alu 0xfffe
	s_and_not1_b32 exec_lo, exec_lo, s6
	s_cbranch_execnz .LBB1807_134
	s_branch .LBB1807_128
.LBB1807_135:
                                        ; implicit-def: $vgpr29
                                        ; implicit-def: $vgpr7
                                        ; implicit-def: $vgpr86
	s_wait_alu 0xfffe
	s_and_b32 vcc_lo, exec_lo, s4
	s_wait_alu 0xfffe
	s_cbranch_vccnz .LBB1807_141
	s_branch .LBB1807_150
.LBB1807_136:
	s_and_saveexec_b32 s5, s3
	s_cbranch_execnz .LBB1807_378
; %bb.137:
	s_wait_alu 0xfffe
	s_or_b32 exec_lo, exec_lo, s5
	s_and_saveexec_b32 s5, s3
	s_cbranch_execnz .LBB1807_379
.LBB1807_138:
	s_wait_alu 0xfffe
	s_or_b32 exec_lo, exec_lo, s5
	s_delay_alu instid0(SALU_CYCLE_1)
	s_and_b32 exec_lo, exec_lo, s2
.LBB1807_139:
	v_mov_b32_e32 v5, 0
	ds_store_b64 v5, v[7:8] offset:56
.LBB1807_140:
	s_wait_alu 0xfffe
	s_or_b32 exec_lo, exec_lo, s4
	s_wait_dscnt 0x1
	v_cndmask_b32_e64 v12, v86, v25, s3
	v_mov_b32_e32 v5, 0
	s_wait_loadcnt_dscnt 0x0
	s_barrier_signal -1
	s_barrier_wait -1
	global_inv scope:SCOPE_SE
	ds_load_b64 v[9:10], v5 offset:56
	s_wait_loadcnt_dscnt 0x0
	s_barrier_signal -1
	s_barrier_wait -1
	global_inv scope:SCOPE_SE
	v_cndmask_b32_e64 v11, v87, v26, s3
	v_add_nc_u32_e32 v12, v9, v12
	ds_load_b128 v[5:8], v5 offset:13312
	v_add_nc_u32_e32 v11, v10, v11
	v_cndmask_b32_e64 v86, v12, v9, s2
	s_delay_alu instid0(VALU_DEP_2)
	v_cndmask_b32_e64 v29, v11, v10, s2
	s_branch .LBB1807_150
.LBB1807_141:
	s_wait_dscnt 0x0
	v_mov_b32_dpp v5, v84 row_shr:1 row_mask:0xf bank_mask:0xf
	v_cmp_lt_u32_e32 vcc_lo, 3, v81
	v_mov_b32_dpp v6, v85 row_shr:1 row_mask:0xf bank_mask:0xf
	s_delay_alu instid0(VALU_DEP_3) | instskip(NEXT) | instid1(VALU_DEP_1)
	v_add_nc_u32_e32 v5, v5, v84
	v_cndmask_b32_e64 v5, v5, v84, s1
	s_delay_alu instid0(VALU_DEP_1) | instskip(NEXT) | instid1(VALU_DEP_1)
	v_mov_b32_dpp v7, v5 row_shr:2 row_mask:0xf bank_mask:0xf
	v_add_nc_u32_e32 v7, v5, v7
	s_delay_alu instid0(VALU_DEP_1) | instskip(NEXT) | instid1(VALU_DEP_1)
	v_cndmask_b32_e64 v5, v5, v7, s0
	v_mov_b32_dpp v7, v5 row_shr:4 row_mask:0xf bank_mask:0xf
	s_delay_alu instid0(VALU_DEP_1) | instskip(SKIP_1) | instid1(VALU_DEP_1)
	v_add_nc_u32_e32 v7, v5, v7
	s_wait_alu 0xfffd
	v_dual_cndmask_b32 v7, v5, v7 :: v_dual_add_nc_u32 v6, v6, v85
	s_delay_alu instid0(VALU_DEP_1) | instskip(SKIP_1) | instid1(VALU_DEP_2)
	v_cndmask_b32_e64 v6, v6, v85, s1
	s_mov_b32 s1, exec_lo
	v_mov_b32_dpp v5, v7 row_shr:8 row_mask:0xf bank_mask:0xf
	s_delay_alu instid0(VALU_DEP_2) | instskip(NEXT) | instid1(VALU_DEP_2)
	v_mov_b32_dpp v8, v6 row_shr:2 row_mask:0xf bank_mask:0xf
	v_add_nc_u32_e32 v9, v7, v5
	s_delay_alu instid0(VALU_DEP_2) | instskip(NEXT) | instid1(VALU_DEP_1)
	v_add_nc_u32_e32 v8, v6, v8
	v_cndmask_b32_e64 v6, v6, v8, s0
	s_delay_alu instid0(VALU_DEP_1) | instskip(NEXT) | instid1(VALU_DEP_1)
	v_mov_b32_dpp v8, v6 row_shr:4 row_mask:0xf bank_mask:0xf
	v_add_nc_u32_e32 v8, v6, v8
	s_delay_alu instid0(VALU_DEP_1) | instskip(SKIP_1) | instid1(VALU_DEP_2)
	v_cndmask_b32_e32 v6, v6, v8, vcc_lo
	v_cmp_lt_u32_e32 vcc_lo, 7, v81
	v_mov_b32_dpp v8, v6 row_shr:8 row_mask:0xf bank_mask:0xf
	s_delay_alu instid0(VALU_DEP_1) | instskip(SKIP_1) | instid1(VALU_DEP_1)
	v_add_nc_u32_e32 v5, v6, v8
	s_wait_alu 0xfffd
	v_cndmask_b32_e32 v5, v6, v5, vcc_lo
	v_cndmask_b32_e32 v6, v7, v9, vcc_lo
	v_cmp_eq_u32_e32 vcc_lo, 0, v83
	ds_swizzle_b32 v7, v5 offset:swizzle(BROADCAST,32,15)
	ds_swizzle_b32 v8, v6 offset:swizzle(BROADCAST,32,15)
	s_wait_dscnt 0x1
	v_add_nc_u32_e32 v7, v5, v7
	s_wait_dscnt 0x0
	v_add_nc_u32_e32 v8, v6, v8
	v_cmpx_eq_u32_e64 v0, v82
; %bb.142:
	s_wait_alu 0xfffd
	s_delay_alu instid0(VALU_DEP_2)
	v_dual_cndmask_b32 v9, v8, v6 :: v_dual_cndmask_b32 v10, v7, v5
	v_lshlrev_b32_e32 v11, 3, v80
	ds_store_b64 v11, v[9:10]
; %bb.143:
	s_wait_alu 0xfffe
	s_or_b32 exec_lo, exec_lo, s1
	s_delay_alu instid0(SALU_CYCLE_1)
	s_mov_b32 s1, exec_lo
	s_wait_loadcnt_dscnt 0x0
	s_barrier_signal -1
	s_barrier_wait -1
	global_inv scope:SCOPE_SE
	v_cmpx_gt_u32_e32 8, v0
	s_cbranch_execz .LBB1807_145
; %bb.144:
	v_lshlrev_b32_e32 v11, 3, v0
	v_and_b32_e32 v26, 7, v79
	ds_load_b64 v[9:10], v11
	v_cmp_eq_u32_e64 s0, 0, v26
	s_wait_dscnt 0x0
	v_mov_b32_dpp v12, v9 row_shr:1 row_mask:0xf bank_mask:0xf
	v_mov_b32_dpp v25, v10 row_shr:1 row_mask:0xf bank_mask:0xf
	s_delay_alu instid0(VALU_DEP_2) | instskip(NEXT) | instid1(VALU_DEP_2)
	v_add_nc_u32_e32 v12, v12, v9
	v_add_nc_u32_e32 v25, v25, v10
	s_wait_alu 0xf1ff
	s_delay_alu instid0(VALU_DEP_2) | instskip(NEXT) | instid1(VALU_DEP_2)
	v_cndmask_b32_e64 v9, v12, v9, s0
	v_cndmask_b32_e64 v10, v25, v10, s0
	v_cmp_lt_u32_e64 s0, 1, v26
	s_delay_alu instid0(VALU_DEP_3) | instskip(NEXT) | instid1(VALU_DEP_3)
	v_mov_b32_dpp v12, v9 row_shr:2 row_mask:0xf bank_mask:0xf
	v_mov_b32_dpp v25, v10 row_shr:2 row_mask:0xf bank_mask:0xf
	s_delay_alu instid0(VALU_DEP_2) | instskip(NEXT) | instid1(VALU_DEP_2)
	v_add_nc_u32_e32 v12, v9, v12
	v_add_nc_u32_e32 v25, v10, v25
	s_wait_alu 0xf1ff
	s_delay_alu instid0(VALU_DEP_2) | instskip(NEXT) | instid1(VALU_DEP_2)
	v_cndmask_b32_e64 v9, v9, v12, s0
	v_cndmask_b32_e64 v10, v10, v25, s0
	v_cmp_lt_u32_e64 s0, 3, v26
	s_delay_alu instid0(VALU_DEP_3) | instskip(NEXT) | instid1(VALU_DEP_3)
	v_mov_b32_dpp v12, v9 row_shr:4 row_mask:0xf bank_mask:0xf
	v_mov_b32_dpp v25, v10 row_shr:4 row_mask:0xf bank_mask:0xf
	s_wait_alu 0xf1ff
	s_delay_alu instid0(VALU_DEP_2) | instskip(NEXT) | instid1(VALU_DEP_2)
	v_cndmask_b32_e64 v12, 0, v12, s0
	v_cndmask_b32_e64 v25, 0, v25, s0
	s_delay_alu instid0(VALU_DEP_2) | instskip(NEXT) | instid1(VALU_DEP_2)
	v_add_nc_u32_e32 v9, v12, v9
	v_add_nc_u32_e32 v10, v25, v10
	ds_store_b64 v11, v[9:10]
.LBB1807_145:
	s_wait_alu 0xfffe
	s_or_b32 exec_lo, exec_lo, s1
	v_dual_mov_b32 v11, 0 :: v_dual_mov_b32 v10, 0
	v_mov_b32_e32 v9, 0
	s_mov_b32 s1, exec_lo
	s_wait_loadcnt_dscnt 0x0
	s_barrier_signal -1
	s_barrier_wait -1
	global_inv scope:SCOPE_SE
	v_cmpx_lt_u32_e32 31, v0
; %bb.146:
	v_lshl_add_u32 v9, v80, 3, -8
	ds_load_b64 v[9:10], v9
; %bb.147:
	s_wait_alu 0xfffe
	s_or_b32 exec_lo, exec_lo, s1
	v_sub_co_u32 v12, s0, v79, 1
	v_dual_cndmask_b32 v6, v8, v6 :: v_dual_cndmask_b32 v5, v7, v5
	s_delay_alu instid0(VALU_DEP_2) | instskip(SKIP_1) | instid1(VALU_DEP_2)
	v_cmp_gt_i32_e64 s1, 0, v12
	s_wait_dscnt 0x0
	v_add_nc_u32_e32 v6, v9, v6
	s_delay_alu instid0(VALU_DEP_3) | instskip(SKIP_2) | instid1(VALU_DEP_1)
	v_add_nc_u32_e32 v5, v10, v5
	s_wait_alu 0xf1ff
	v_cndmask_b32_e64 v8, v12, v79, s1
	v_lshlrev_b32_e32 v7, 2, v8
	ds_bpermute_b32 v12, v7, v6
	ds_bpermute_b32 v25, v7, v5
	ds_load_b64 v[5:6], v11 offset:56
	s_and_saveexec_b32 s1, s2
	s_cbranch_execz .LBB1807_149
; %bb.148:
	s_add_nc_u64 s[4:5], s[36:37], 0x200
	v_dual_mov_b32 v7, 2 :: v_dual_mov_b32 v8, 0
	s_wait_alu 0xfffe
	v_dual_mov_b32 v27, s5 :: v_dual_mov_b32 v26, s4
	s_wait_dscnt 0x0
	;;#ASMSTART
	global_store_b128 v[26:27], v[5:8] off scope:SCOPE_DEV	
s_wait_storecnt 0x0
	;;#ASMEND
.LBB1807_149:
	s_wait_alu 0xfffe
	s_or_b32 exec_lo, exec_lo, s1
	s_wait_dscnt 0x1
	v_cndmask_b32_e64 v7, v25, v10, s0
	v_cndmask_b32_e64 v9, v12, v9, s0
	v_mov_b32_e32 v8, 0
	s_wait_loadcnt_dscnt 0x0
	s_barrier_signal -1
	v_cndmask_b32_e64 v29, v7, 0, s2
	v_cndmask_b32_e64 v86, v9, 0, s2
	v_mov_b32_e32 v7, 0
	s_barrier_wait -1
	global_inv scope:SCOPE_SE
.LBB1807_150:
	v_lshrrev_b32_e32 v81, 8, v54
	s_wait_dscnt 0x0
	v_add_co_u32 v1, vcc_lo, v1, v7
	s_wait_alu 0xfffd
	v_add_co_ci_u32_e64 v2, null, 0, v2, vcc_lo
	v_and_b32_e32 v81, 1, v81
	v_sub_co_u32 v84, vcc_lo, v3, v5
	s_wait_alu 0xfffd
	v_subrev_co_ci_u32_e64 v85, null, 0, v4, vcc_lo
	s_delay_alu instid0(VALU_DEP_3)
	v_cmp_eq_u32_e32 vcc_lo, 1, v81
	v_add_nc_u32_e32 v78, v29, v78
	v_sub_nc_u32_e32 v29, v29, v8
	v_lshlrev_b32_e32 v87, 1, v5
	v_lshrrev_b32_e32 v79, 16, v54
	v_lshrrev_b32_e32 v80, 8, v47
	v_add_nc_u32_e32 v75, v78, v75
	v_sub_nc_u32_e32 v78, v78, v8
	v_add_nc_u32_e32 v29, v29, v5
	v_add3_u32 v90, v87, v6, v46
	v_and_b32_e32 v79, 1, v79
	v_lshrrev_b32_e32 v30, 16, v47
	v_add_nc_u32_e32 v78, v78, v5
	v_add_nc_u32_e32 v77, v86, v77
	v_sub_nc_u32_e32 v86, v86, v7
	v_and_b32_e32 v47, 1, v47
	v_and_b32_e32 v80, 1, v80
	;; [unrolled: 1-line block ×3, first 2 shown]
	v_add_nc_u32_e32 v74, v77, v74
	v_sub_nc_u32_e32 v77, v77, v7
	v_add_nc_u32_e32 v46, v86, v29
	v_lshrrev_b32_e32 v28, 8, v48
	v_lshrrev_b32_e32 v27, 16, v48
	v_and_b32_e32 v48, 1, v48
	v_add_nc_u32_e32 v91, v78, v77
	v_sub_nc_u32_e32 v46, v90, v46
	v_and_b32_e32 v28, 1, v28
	v_lshrrev_b32_e32 v25, 16, v49
	v_lshrrev_b32_e32 v26, 8, v49
	v_sub_nc_u32_e32 v91, v90, v91
	s_wait_alu 0xfffd
	v_cndmask_b32_e32 v29, v46, v29, vcc_lo
	v_cmp_eq_u32_e32 vcc_lo, 1, v79
	v_lshrrev_b32_e32 v12, 8, v51
	v_and_b32_e32 v26, 1, v26
	v_add_nc_u32_e32 v91, 1, v91
	v_lshrrev_b32_e32 v10, 16, v51
	v_lshrrev_b32_e32 v11, 8, v52
	v_and_b32_e32 v12, 1, v12
	v_lshrrev_b32_e32 v9, 16, v52
	s_wait_alu 0xfffd
	v_cndmask_b32_e32 v46, v91, v78, vcc_lo
	v_cmp_eq_u32_e32 vcc_lo, 1, v47
	v_add_nc_u32_e32 v82, v75, v60
	v_sub_nc_u32_e32 v75, v75, v8
	v_and_b32_e32 v60, 1, v60
	v_and_b32_e32 v10, 1, v10
	s_wait_alu 0xfffd
	v_cndmask_b32_e32 v29, v29, v86, vcc_lo
	v_cmp_eq_u32_e32 vcc_lo, 1, v80
	v_add_nc_u32_e32 v75, v75, v5
	v_sub_nc_u32_e32 v80, v82, v8
	v_and_b32_e32 v11, 1, v11
	v_lshlrev_b32_e32 v29, 2, v29
	s_wait_alu 0xfffd
	v_cndmask_b32_e32 v77, v46, v77, vcc_lo
	v_add_nc_u32_e32 v76, v74, v76
	v_sub_nc_u32_e32 v74, v74, v7
	v_add_co_u32 v46, vcc_lo, v84, v8
	s_wait_alu 0xfffd
	v_add_co_ci_u32_e64 v47, null, 0, v85, vcc_lo
	s_delay_alu instid0(VALU_DEP_3)
	v_add_nc_u32_e32 v79, v75, v74
	v_cmp_eq_u32_e32 vcc_lo, 1, v60
	v_add_nc_u32_e32 v83, v76, v59
	v_lshlrev_b32_e32 v77, 2, v77
	ds_store_b32 v29, v23
	ds_store_b32 v77, v24
	v_sub_nc_u32_e32 v79, v90, v79
	v_and_b32_e32 v9, 1, v9
	s_delay_alu instid0(VALU_DEP_2) | instskip(SKIP_1) | instid1(VALU_DEP_1)
	v_add_nc_u32_e32 v79, 2, v79
	s_wait_alu 0xfffd
	v_dual_cndmask_b32 v60, v79, v75 :: v_dual_add_nc_u32 v73, v82, v73
	s_delay_alu instid0(VALU_DEP_1)
	v_add_nc_u32_e32 v72, v73, v72
	v_sub_nc_u32_e32 v75, v76, v7
	v_sub_nc_u32_e32 v73, v73, v8
	v_add_nc_u32_e32 v76, v80, v5
	v_cmp_eq_u32_e32 vcc_lo, 1, v30
	s_wait_alu 0xfffd
	s_delay_alu instid0(VALU_DEP_3)
	v_dual_cndmask_b32 v30, v60, v74 :: v_dual_add_nc_u32 v73, v73, v5
	v_sub_nc_u32_e32 v60, v83, v7
	v_add_nc_u32_e32 v74, v75, v76
	v_cmp_eq_u32_e32 vcc_lo, 1, v48
	v_and_b32_e32 v48, 1, v49
	v_lshlrev_b32_e32 v23, 2, v30
	v_add_nc_u32_e32 v24, v60, v73
	v_sub_nc_u32_e32 v29, v90, v74
	v_and_b32_e32 v30, 1, v59
	v_sub_nc_u32_e32 v59, v72, v8
	ds_store_b32 v23, v21
	v_sub_nc_u32_e32 v24, v90, v24
	v_add_nc_u32_e32 v29, 3, v29
	v_and_b32_e32 v23, 1, v27
	v_add_nc_u32_e32 v59, v59, v5
	s_delay_alu instid0(VALU_DEP_4)
	v_add_nc_u32_e32 v24, 4, v24
	s_wait_alu 0xfffd
	v_cndmask_b32_e32 v29, v29, v76, vcc_lo
	v_cmp_eq_u32_e32 vcc_lo, 1, v28
	s_wait_alu 0xfffd
	v_dual_cndmask_b32 v24, v24, v73 :: v_dual_add_nc_u32 v71, v83, v71
	s_delay_alu instid0(VALU_DEP_1) | instskip(SKIP_2) | instid1(VALU_DEP_3)
	v_add_nc_u32_e32 v69, v71, v69
	v_sub_nc_u32_e32 v71, v71, v7
	v_cmp_eq_u32_e32 vcc_lo, 1, v30
	v_add_nc_u32_e32 v65, v69, v65
	s_delay_alu instid0(VALU_DEP_3)
	v_add_nc_u32_e32 v49, v71, v59
	s_wait_alu 0xfffd
	v_cndmask_b32_e32 v28, v29, v75, vcc_lo
	v_cmp_eq_u32_e32 vcc_lo, 1, v48
	v_add_nc_u32_e32 v89, v65, v57
	v_sub_nc_u32_e32 v29, v90, v49
	s_delay_alu instid0(VALU_DEP_4)
	v_lshlrev_b32_e32 v21, 2, v28
	s_wait_alu 0xfffd
	v_cndmask_b32_e32 v24, v24, v60, vcc_lo
	v_cmp_eq_u32_e32 vcc_lo, 1, v23
	v_sub_nc_u32_e32 v48, v89, v7
	v_add_nc_u32_e32 v27, 5, v29
	v_add_nc_u32_e32 v66, v89, v66
	v_lshlrev_b32_e32 v24, 2, v24
	ds_store_b32 v21, v22
	ds_store_b32 v24, v19
	s_wait_alu 0xfffd
	v_cndmask_b32_e32 v23, v27, v59, vcc_lo
	v_cmp_eq_u32_e32 vcc_lo, 1, v26
	v_sub_nc_u32_e32 v27, v69, v7
	v_sub_nc_u32_e32 v26, v65, v7
	v_and_b32_e32 v24, 1, v58
	v_add_nc_u32_e32 v63, v66, v63
	s_wait_alu 0xfffd
	v_dual_cndmask_b32 v23, v23, v71 :: v_dual_add_nc_u32 v70, v72, v70
	s_delay_alu instid0(VALU_DEP_3) | instskip(SKIP_1) | instid1(VALU_DEP_3)
	v_cmp_eq_u32_e32 vcc_lo, 1, v24
	v_and_b32_e32 v24, 1, v57
	v_lshlrev_b32_e32 v19, 2, v23
	s_delay_alu instid0(VALU_DEP_4) | instskip(SKIP_3) | instid1(VALU_DEP_4)
	v_add_nc_u32_e32 v88, v70, v58
	v_sub_nc_u32_e32 v28, v70, v8
	v_and_b32_e32 v23, 1, v25
	v_add_nc_u32_e32 v62, v63, v62
	v_sub_nc_u32_e32 v29, v88, v8
	s_delay_alu instid0(VALU_DEP_4) | instskip(SKIP_1) | instid1(VALU_DEP_4)
	v_add_nc_u32_e32 v28, v28, v5
	v_add_nc_u32_e32 v68, v88, v68
	;; [unrolled: 1-line block ×3, first 2 shown]
	s_delay_alu instid0(VALU_DEP_4) | instskip(NEXT) | instid1(VALU_DEP_4)
	v_add_nc_u32_e32 v29, v29, v5
	v_add_nc_u32_e32 v30, v27, v28
	s_delay_alu instid0(VALU_DEP_4) | instskip(SKIP_1) | instid1(VALU_DEP_4)
	v_sub_nc_u32_e32 v25, v68, v8
	v_add_nc_u32_e32 v67, v68, v67
	v_add_nc_u32_e32 v21, v26, v29
	s_delay_alu instid0(VALU_DEP_4)
	v_sub_nc_u32_e32 v22, v90, v30
	v_and_b32_e32 v30, 1, v51
	v_add_nc_u32_e32 v25, v25, v5
	v_add_nc_u32_e32 v64, v67, v64
	v_sub_nc_u32_e32 v21, v90, v21
	v_add_nc_u32_e32 v22, 6, v22
	s_delay_alu instid0(VALU_DEP_3) | instskip(SKIP_1) | instid1(VALU_DEP_2)
	v_add_nc_u32_e32 v92, v64, v56
	s_wait_alu 0xfffd
	v_dual_cndmask_b32 v22, v22, v28 :: v_dual_add_nc_u32 v21, 7, v21
	v_cmp_eq_u32_e32 vcc_lo, 1, v30
	v_add_nc_u32_e32 v28, v48, v25
	v_add_nc_u32_e32 v61, v92, v61
	s_wait_alu 0xfffd
	v_cndmask_b32_e32 v21, v21, v29, vcc_lo
	v_cmp_eq_u32_e32 vcc_lo, 1, v23
	v_sub_nc_u32_e32 v23, v90, v28
	s_wait_alu 0xfffd
	v_cndmask_b32_e32 v22, v22, v27, vcc_lo
	v_cmp_eq_u32_e32 vcc_lo, 1, v24
	v_sub_nc_u32_e32 v24, v67, v8
	v_add_nc_u32_e32 v23, 8, v23
	v_sub_nc_u32_e32 v27, v66, v7
	v_lshlrev_b32_e32 v22, 2, v22
	s_wait_alu 0xfffd
	v_dual_cndmask_b32 v21, v21, v26 :: v_dual_add_nc_u32 v24, v24, v5
	v_cmp_eq_u32_e32 vcc_lo, 1, v12
	v_and_b32_e32 v26, 1, v52
	s_delay_alu instid0(VALU_DEP_3)
	v_lshlrev_b32_e32 v21, 2, v21
	ds_store_b32 v19, v20
	ds_store_b32 v22, v17
	;; [unrolled: 1-line block ×3, first 2 shown]
	s_wait_alu 0xfffd
	v_cndmask_b32_e32 v12, v23, v25, vcc_lo
	v_add_nc_u32_e32 v23, v27, v24
	v_cmp_eq_u32_e32 vcc_lo, 1, v26
	v_sub_nc_u32_e32 v18, v64, v8
	v_sub_nc_u32_e32 v19, v63, v7
	;; [unrolled: 1-line block ×4, first 2 shown]
	s_wait_alu 0xfffd
	v_cndmask_b32_e32 v12, v12, v48, vcc_lo
	v_add_nc_u32_e32 v18, v18, v5
	v_cmp_eq_u32_e32 vcc_lo, 1, v10
	v_add_nc_u32_e32 v20, v20, v5
	v_add_nc_u32_e32 v17, 9, v17
	v_lshlrev_b32_e32 v12, 2, v12
	v_add_nc_u32_e32 v21, v19, v18
	v_and_b32_e32 v22, 1, v50
	s_wait_alu 0xfffd
	v_cndmask_b32_e32 v10, v17, v24, vcc_lo
	v_sub_nc_u32_e32 v17, v62, v7
	ds_store_b32 v12, v15
	v_cmp_eq_u32_e32 vcc_lo, 1, v11
	v_sub_nc_u32_e32 v12, v90, v21
	v_and_b32_e32 v15, 1, v56
	v_add_nc_u32_e32 v11, v17, v20
	v_sub_nc_u32_e32 v21, v61, v8
	s_wait_alu 0xfffd
	v_cndmask_b32_e32 v10, v10, v27, vcc_lo
	v_add_nc_u32_e32 v12, 10, v12
	v_cmp_eq_u32_e32 vcc_lo, 1, v15
	v_sub_nc_u32_e32 v11, v90, v11
	v_sub_nc_u32_e32 v7, v78, v7
	v_add_nc_u32_e32 v21, v21, v5
	s_wait_alu 0xfffd
	v_dual_cndmask_b32 v12, v12, v18 :: v_dual_and_b32 v15, 1, v55
	v_add_nc_u32_e32 v11, 11, v11
	v_cmp_eq_u32_e32 vcc_lo, 1, v22
	v_add_nc_u32_e32 v18, v7, v21
	s_wait_alu 0xfffd
	s_delay_alu instid0(VALU_DEP_3)
	v_dual_cndmask_b32 v11, v11, v20 :: v_dual_lshlrev_b32 v10, 2, v10
	v_cmp_eq_u32_e32 vcc_lo, 1, v9
	s_wait_alu 0xfffd
	v_cndmask_b32_e32 v9, v12, v19, vcc_lo
	v_cmp_eq_u32_e32 vcc_lo, 1, v15
	v_sub_nc_u32_e32 v12, v90, v18
	v_and_b32_e32 v15, 1, v53
	s_delay_alu instid0(VALU_DEP_4) | instskip(SKIP_1) | instid1(VALU_DEP_3)
	v_lshlrev_b32_e32 v9, 2, v9
	s_wait_alu 0xfffd
	v_dual_cndmask_b32 v11, v11, v17 :: v_dual_add_nc_u32 v12, 12, v12
	v_and_b32_e32 v17, 1, v54
	v_cmp_eq_u32_e32 vcc_lo, 1, v15
	s_delay_alu instid0(VALU_DEP_3)
	v_lshlrev_b32_e32 v11, 2, v11
	ds_store_b32 v10, v16
	ds_store_b32 v9, v13
	;; [unrolled: 1-line block ×3, first 2 shown]
	s_wait_alu 0xfffd
	v_cndmask_b32_e32 v12, v12, v21, vcc_lo
	v_cmp_eq_u32_e32 vcc_lo, 1, v17
	v_add_co_u32 v9, s0, v6, v87
	s_wait_alu 0xf1ff
	v_add_co_ci_u32_e64 v10, null, 0, 0, s0
	s_wait_alu 0xfffd
	v_cndmask_b32_e32 v7, v12, v7, vcc_lo
	v_add_co_u32 v9, vcc_lo, v9, v46
	s_wait_alu 0xfffd
	v_add_co_ci_u32_e64 v10, null, v10, v47, vcc_lo
	s_delay_alu instid0(VALU_DEP_3)
	v_lshlrev_b32_e32 v7, 2, v7
	v_add_co_u32 v11, s0, s34, v43
	v_add_co_u32 v9, vcc_lo, v9, v1
	s_wait_alu 0xf1ff
	v_add_co_ci_u32_e64 v12, null, s35, 0, s0
	s_wait_alu 0xfffd
	v_add_co_ci_u32_e64 v10, null, v10, v2, vcc_lo
	ds_store_b32 v7, v45
	v_sub_co_u32 v7, vcc_lo, v11, v9
	s_wait_alu 0xfffd
	v_sub_co_ci_u32_e64 v13, null, v12, v10, vcc_lo
	v_lshlrev_b64_e32 v[9:10], 2, v[46:47]
	v_lshlrev_b64_e32 v[11:12], 2, v[1:2]
	v_add_nc_u32_e32 v14, v5, v6
	s_wait_loadcnt_dscnt 0x0
	s_barrier_signal -1
	s_barrier_wait -1
	v_add_co_u32 v9, vcc_lo, s30, v9
	s_wait_alu 0xfffd
	v_add_co_ci_u32_e64 v10, null, s31, v10, vcc_lo
	v_cmp_ne_u32_e32 vcc_lo, 1, v44
	v_add_co_u32 v11, s0, s28, v11
	s_wait_alu 0xf1ff
	v_add_co_ci_u32_e64 v12, null, s29, v12, s0
	s_mov_b32 s0, -1
	global_inv scope:SCOPE_SE
	s_cbranch_vccz .LBB1807_154
; %bb.151:
	s_wait_alu 0xfffe
	s_and_b32 vcc_lo, exec_lo, s0
	s_wait_alu 0xfffe
	s_cbranch_vccnz .LBB1807_259
.LBB1807_152:
	s_and_b32 s0, s2, s26
	s_wait_alu 0xfffe
	s_and_saveexec_b32 s1, s0
	s_cbranch_execnz .LBB1807_377
.LBB1807_153:
	s_nop 0
	s_sendmsg sendmsg(MSG_DEALLOC_VGPRS)
	s_endpgm
.LBB1807_154:
	s_mov_b32 s0, exec_lo
	v_cmpx_ge_u32_e64 v0, v5
	s_wait_alu 0xfffe
	s_xor_b32 s0, exec_lo, s0
	s_cbranch_execz .LBB1807_160
; %bb.155:
	s_mov_b32 s1, exec_lo
	v_cmpx_ge_u32_e64 v0, v14
	s_wait_alu 0xfffe
	s_xor_b32 s1, exec_lo, s1
	s_cbranch_execz .LBB1807_157
; %bb.156:
	v_lshlrev_b32_e32 v15, 2, v0
	ds_load_b32 v17, v15
	v_add_co_u32 v15, vcc_lo, v7, v0
	s_wait_alu 0xfffd
	v_add_co_ci_u32_e64 v16, null, 0, v13, vcc_lo
	s_delay_alu instid0(VALU_DEP_1) | instskip(NEXT) | instid1(VALU_DEP_1)
	v_lshlrev_b64_e32 v[15:16], 2, v[15:16]
	v_sub_co_u32 v15, vcc_lo, s14, v15
	s_wait_alu 0xfffd
	s_delay_alu instid0(VALU_DEP_2)
	v_sub_co_ci_u32_e64 v16, null, s15, v16, vcc_lo
	s_wait_dscnt 0x0
	global_store_b32 v[15:16], v17, off offset:-4
.LBB1807_157:
	s_wait_alu 0xfffe
	s_and_not1_saveexec_b32 s1, s1
	s_cbranch_execz .LBB1807_159
; %bb.158:
	v_lshlrev_b32_e32 v15, 2, v0
	v_readfirstlane_b32 s4, v9
	v_readfirstlane_b32 s5, v10
	ds_load_b32 v16, v15
	s_wait_dscnt 0x0
	global_store_b32 v15, v16, s[4:5]
.LBB1807_159:
	s_wait_alu 0xfffe
	s_or_b32 exec_lo, exec_lo, s1
.LBB1807_160:
	s_wait_alu 0xfffe
	s_and_not1_saveexec_b32 s0, s0
	s_cbranch_execz .LBB1807_162
; %bb.161:
	v_lshlrev_b32_e32 v15, 2, v0
	v_readfirstlane_b32 s4, v11
	v_readfirstlane_b32 s5, v12
	ds_load_b32 v16, v15
	s_wait_dscnt 0x0
	global_store_b32 v15, v16, s[4:5]
.LBB1807_162:
	s_wait_alu 0xfffe
	s_or_b32 exec_lo, exec_lo, s0
	s_delay_alu instid0(SALU_CYCLE_1)
	s_mov_b32 s0, exec_lo
	v_cmpx_ge_u32_e64 v42, v5
	s_wait_alu 0xfffe
	s_xor_b32 s0, exec_lo, s0
	s_cbranch_execz .LBB1807_168
; %bb.163:
	s_mov_b32 s1, exec_lo
	v_cmpx_ge_u32_e64 v42, v14
	s_wait_alu 0xfffe
	s_xor_b32 s1, exec_lo, s1
	s_cbranch_execz .LBB1807_165
; %bb.164:
	v_lshlrev_b32_e32 v15, 2, v0
	ds_load_b32 v17, v15 offset:1024
	v_add_co_u32 v15, vcc_lo, v7, v0
	s_wait_alu 0xfffd
	v_add_co_ci_u32_e64 v16, null, 0, v13, vcc_lo
	s_delay_alu instid0(VALU_DEP_1) | instskip(NEXT) | instid1(VALU_DEP_1)
	v_lshlrev_b64_e32 v[15:16], 2, v[15:16]
	v_sub_co_u32 v15, vcc_lo, s14, v15
	s_wait_alu 0xfffd
	s_delay_alu instid0(VALU_DEP_2)
	v_sub_co_ci_u32_e64 v16, null, s15, v16, vcc_lo
	s_wait_dscnt 0x0
	global_store_b32 v[15:16], v17, off offset:-1028
.LBB1807_165:
	s_wait_alu 0xfffe
	s_and_not1_saveexec_b32 s1, s1
	s_cbranch_execz .LBB1807_167
; %bb.166:
	v_lshlrev_b32_e32 v15, 2, v0
	v_readfirstlane_b32 s4, v9
	v_readfirstlane_b32 s5, v10
	ds_load_b32 v16, v15 offset:1024
	s_wait_dscnt 0x0
	global_store_b32 v15, v16, s[4:5] offset:1024
.LBB1807_167:
	s_wait_alu 0xfffe
	s_or_b32 exec_lo, exec_lo, s1
.LBB1807_168:
	s_wait_alu 0xfffe
	s_and_not1_saveexec_b32 s0, s0
	s_cbranch_execz .LBB1807_170
; %bb.169:
	v_lshlrev_b32_e32 v15, 2, v0
	v_readfirstlane_b32 s4, v11
	v_readfirstlane_b32 s5, v12
	ds_load_b32 v16, v15 offset:1024
	s_wait_dscnt 0x0
	global_store_b32 v15, v16, s[4:5] offset:1024
.LBB1807_170:
	s_wait_alu 0xfffe
	s_or_b32 exec_lo, exec_lo, s0
	s_delay_alu instid0(SALU_CYCLE_1)
	s_mov_b32 s0, exec_lo
	v_cmpx_ge_u32_e64 v41, v5
	s_wait_alu 0xfffe
	s_xor_b32 s0, exec_lo, s0
	s_cbranch_execz .LBB1807_176
; %bb.171:
	s_mov_b32 s1, exec_lo
	v_cmpx_ge_u32_e64 v41, v14
	s_wait_alu 0xfffe
	s_xor_b32 s1, exec_lo, s1
	s_cbranch_execz .LBB1807_173
; %bb.172:
	v_lshlrev_b32_e32 v15, 2, v0
	ds_load_b32 v17, v15 offset:2048
	v_add_co_u32 v15, vcc_lo, v7, v0
	s_wait_alu 0xfffd
	v_add_co_ci_u32_e64 v16, null, 0, v13, vcc_lo
	s_delay_alu instid0(VALU_DEP_1) | instskip(NEXT) | instid1(VALU_DEP_1)
	v_lshlrev_b64_e32 v[15:16], 2, v[15:16]
	v_sub_co_u32 v15, vcc_lo, s14, v15
	s_wait_alu 0xfffd
	s_delay_alu instid0(VALU_DEP_2)
	v_sub_co_ci_u32_e64 v16, null, s15, v16, vcc_lo
	s_wait_dscnt 0x0
	global_store_b32 v[15:16], v17, off offset:-2052
.LBB1807_173:
	s_wait_alu 0xfffe
	s_and_not1_saveexec_b32 s1, s1
	s_cbranch_execz .LBB1807_175
; %bb.174:
	v_lshlrev_b32_e32 v15, 2, v0
	v_readfirstlane_b32 s4, v9
	v_readfirstlane_b32 s5, v10
	ds_load_b32 v16, v15 offset:2048
	s_wait_dscnt 0x0
	global_store_b32 v15, v16, s[4:5] offset:2048
.LBB1807_175:
	s_wait_alu 0xfffe
	s_or_b32 exec_lo, exec_lo, s1
.LBB1807_176:
	s_wait_alu 0xfffe
	s_and_not1_saveexec_b32 s0, s0
	s_cbranch_execz .LBB1807_178
; %bb.177:
	v_lshlrev_b32_e32 v15, 2, v0
	v_readfirstlane_b32 s4, v11
	v_readfirstlane_b32 s5, v12
	ds_load_b32 v16, v15 offset:2048
	s_wait_dscnt 0x0
	global_store_b32 v15, v16, s[4:5] offset:2048
.LBB1807_178:
	;; [unrolled: 54-line block ×12, first 2 shown]
	s_wait_alu 0xfffe
	s_or_b32 exec_lo, exec_lo, s0
	s_branch .LBB1807_152
.LBB1807_259:
	s_mov_b32 s0, exec_lo
	v_cmpx_gt_u32_e64 s27, v0
	s_cbranch_execz .LBB1807_268
; %bb.260:
	s_mov_b32 s1, exec_lo
	v_cmpx_ge_u32_e64 v0, v5
	s_wait_alu 0xfffe
	s_xor_b32 s1, exec_lo, s1
	s_cbranch_execz .LBB1807_266
; %bb.261:
	s_mov_b32 s3, exec_lo
	v_cmpx_ge_u32_e64 v0, v14
	s_wait_alu 0xfffe
	s_xor_b32 s3, exec_lo, s3
	s_cbranch_execz .LBB1807_263
; %bb.262:
	v_lshlrev_b32_e32 v15, 2, v0
	ds_load_b32 v17, v15
	v_add_co_u32 v15, vcc_lo, v7, v0
	s_wait_alu 0xfffd
	v_add_co_ci_u32_e64 v16, null, 0, v13, vcc_lo
	s_delay_alu instid0(VALU_DEP_1) | instskip(NEXT) | instid1(VALU_DEP_1)
	v_lshlrev_b64_e32 v[15:16], 2, v[15:16]
	v_sub_co_u32 v15, vcc_lo, s14, v15
	s_wait_alu 0xfffd
	s_delay_alu instid0(VALU_DEP_2)
	v_sub_co_ci_u32_e64 v16, null, s15, v16, vcc_lo
	s_wait_dscnt 0x0
	global_store_b32 v[15:16], v17, off offset:-4
.LBB1807_263:
	s_wait_alu 0xfffe
	s_and_not1_saveexec_b32 s3, s3
	s_cbranch_execz .LBB1807_265
; %bb.264:
	v_lshlrev_b32_e32 v15, 2, v0
	v_readfirstlane_b32 s4, v9
	v_readfirstlane_b32 s5, v10
	ds_load_b32 v16, v15
	s_wait_dscnt 0x0
	global_store_b32 v15, v16, s[4:5]
.LBB1807_265:
	s_wait_alu 0xfffe
	s_or_b32 exec_lo, exec_lo, s3
.LBB1807_266:
	s_wait_alu 0xfffe
	s_and_not1_saveexec_b32 s1, s1
	s_cbranch_execz .LBB1807_268
; %bb.267:
	v_lshlrev_b32_e32 v15, 2, v0
	v_readfirstlane_b32 s4, v11
	v_readfirstlane_b32 s5, v12
	ds_load_b32 v16, v15
	s_wait_dscnt 0x0
	global_store_b32 v15, v16, s[4:5]
.LBB1807_268:
	s_wait_alu 0xfffe
	s_or_b32 exec_lo, exec_lo, s0
	s_delay_alu instid0(SALU_CYCLE_1)
	s_mov_b32 s0, exec_lo
	v_cmpx_gt_u32_e64 s27, v42
	s_cbranch_execz .LBB1807_277
; %bb.269:
	s_mov_b32 s1, exec_lo
	v_cmpx_ge_u32_e64 v42, v5
	s_wait_alu 0xfffe
	s_xor_b32 s1, exec_lo, s1
	s_cbranch_execz .LBB1807_275
; %bb.270:
	s_mov_b32 s3, exec_lo
	v_cmpx_ge_u32_e64 v42, v14
	s_wait_alu 0xfffe
	s_xor_b32 s3, exec_lo, s3
	s_cbranch_execz .LBB1807_272
; %bb.271:
	v_lshlrev_b32_e32 v15, 2, v0
	ds_load_b32 v17, v15 offset:1024
	v_add_co_u32 v15, vcc_lo, v7, v0
	s_wait_alu 0xfffd
	v_add_co_ci_u32_e64 v16, null, 0, v13, vcc_lo
	s_delay_alu instid0(VALU_DEP_1) | instskip(NEXT) | instid1(VALU_DEP_1)
	v_lshlrev_b64_e32 v[15:16], 2, v[15:16]
	v_sub_co_u32 v15, vcc_lo, s14, v15
	s_wait_alu 0xfffd
	s_delay_alu instid0(VALU_DEP_2)
	v_sub_co_ci_u32_e64 v16, null, s15, v16, vcc_lo
	s_wait_dscnt 0x0
	global_store_b32 v[15:16], v17, off offset:-1028
.LBB1807_272:
	s_wait_alu 0xfffe
	s_and_not1_saveexec_b32 s3, s3
	s_cbranch_execz .LBB1807_274
; %bb.273:
	v_lshlrev_b32_e32 v15, 2, v0
	v_readfirstlane_b32 s4, v9
	v_readfirstlane_b32 s5, v10
	ds_load_b32 v16, v15 offset:1024
	s_wait_dscnt 0x0
	global_store_b32 v15, v16, s[4:5] offset:1024
.LBB1807_274:
	s_wait_alu 0xfffe
	s_or_b32 exec_lo, exec_lo, s3
.LBB1807_275:
	s_wait_alu 0xfffe
	s_and_not1_saveexec_b32 s1, s1
	s_cbranch_execz .LBB1807_277
; %bb.276:
	v_lshlrev_b32_e32 v15, 2, v0
	v_readfirstlane_b32 s4, v11
	v_readfirstlane_b32 s5, v12
	ds_load_b32 v16, v15 offset:1024
	s_wait_dscnt 0x0
	global_store_b32 v15, v16, s[4:5] offset:1024
.LBB1807_277:
	s_wait_alu 0xfffe
	s_or_b32 exec_lo, exec_lo, s0
	s_delay_alu instid0(SALU_CYCLE_1)
	s_mov_b32 s0, exec_lo
	v_cmpx_gt_u32_e64 s27, v41
	s_cbranch_execz .LBB1807_286
; %bb.278:
	s_mov_b32 s1, exec_lo
	v_cmpx_ge_u32_e64 v41, v5
	s_wait_alu 0xfffe
	s_xor_b32 s1, exec_lo, s1
	s_cbranch_execz .LBB1807_284
; %bb.279:
	s_mov_b32 s3, exec_lo
	v_cmpx_ge_u32_e64 v41, v14
	s_wait_alu 0xfffe
	s_xor_b32 s3, exec_lo, s3
	s_cbranch_execz .LBB1807_281
; %bb.280:
	v_lshlrev_b32_e32 v15, 2, v0
	ds_load_b32 v17, v15 offset:2048
	v_add_co_u32 v15, vcc_lo, v7, v0
	s_wait_alu 0xfffd
	v_add_co_ci_u32_e64 v16, null, 0, v13, vcc_lo
	s_delay_alu instid0(VALU_DEP_1) | instskip(NEXT) | instid1(VALU_DEP_1)
	v_lshlrev_b64_e32 v[15:16], 2, v[15:16]
	v_sub_co_u32 v15, vcc_lo, s14, v15
	s_wait_alu 0xfffd
	s_delay_alu instid0(VALU_DEP_2)
	v_sub_co_ci_u32_e64 v16, null, s15, v16, vcc_lo
	s_wait_dscnt 0x0
	global_store_b32 v[15:16], v17, off offset:-2052
.LBB1807_281:
	s_wait_alu 0xfffe
	s_and_not1_saveexec_b32 s3, s3
	s_cbranch_execz .LBB1807_283
; %bb.282:
	v_lshlrev_b32_e32 v15, 2, v0
	v_readfirstlane_b32 s4, v9
	v_readfirstlane_b32 s5, v10
	ds_load_b32 v16, v15 offset:2048
	s_wait_dscnt 0x0
	global_store_b32 v15, v16, s[4:5] offset:2048
.LBB1807_283:
	s_wait_alu 0xfffe
	s_or_b32 exec_lo, exec_lo, s3
.LBB1807_284:
	s_wait_alu 0xfffe
	s_and_not1_saveexec_b32 s1, s1
	s_cbranch_execz .LBB1807_286
; %bb.285:
	v_lshlrev_b32_e32 v15, 2, v0
	v_readfirstlane_b32 s4, v11
	v_readfirstlane_b32 s5, v12
	ds_load_b32 v16, v15 offset:2048
	s_wait_dscnt 0x0
	global_store_b32 v15, v16, s[4:5] offset:2048
.LBB1807_286:
	;; [unrolled: 58-line block ×11, first 2 shown]
	s_wait_alu 0xfffe
	s_or_b32 exec_lo, exec_lo, s0
	s_delay_alu instid0(SALU_CYCLE_1)
	s_mov_b32 s0, exec_lo
	v_cmpx_gt_u32_e64 s27, v31
	s_cbranch_execz .LBB1807_376
; %bb.368:
	s_mov_b32 s1, exec_lo
	v_cmpx_ge_u32_e64 v31, v5
	s_wait_alu 0xfffe
	s_xor_b32 s1, exec_lo, s1
	s_cbranch_execz .LBB1807_374
; %bb.369:
	s_mov_b32 s3, exec_lo
	v_cmpx_ge_u32_e64 v31, v14
	s_wait_alu 0xfffe
	s_xor_b32 s3, exec_lo, s3
	s_cbranch_execz .LBB1807_371
; %bb.370:
	v_lshlrev_b32_e32 v9, 2, v0
	ds_load_b32 v11, v9 offset:12288
	v_add_co_u32 v9, vcc_lo, v7, v0
	s_wait_alu 0xfffd
	v_add_co_ci_u32_e64 v10, null, 0, v13, vcc_lo
                                        ; implicit-def: $vgpr0
	s_delay_alu instid0(VALU_DEP_1) | instskip(NEXT) | instid1(VALU_DEP_1)
	v_lshlrev_b64_e32 v[9:10], 2, v[9:10]
	v_sub_co_u32 v9, vcc_lo, s14, v9
	s_wait_alu 0xfffd
	s_delay_alu instid0(VALU_DEP_2)
	v_sub_co_ci_u32_e64 v10, null, s15, v10, vcc_lo
	s_wait_dscnt 0x0
	global_store_b32 v[9:10], v11, off offset:-12292
                                        ; implicit-def: $vgpr9_vgpr10
.LBB1807_371:
	s_wait_alu 0xfffe
	s_and_not1_saveexec_b32 s3, s3
	s_cbranch_execz .LBB1807_373
; %bb.372:
	v_lshlrev_b32_e32 v0, 2, v0
	v_readfirstlane_b32 s4, v9
	v_readfirstlane_b32 s5, v10
	ds_load_b32 v7, v0 offset:12288
	s_wait_dscnt 0x0
	global_store_b32 v0, v7, s[4:5] offset:12288
.LBB1807_373:
	s_wait_alu 0xfffe
	s_or_b32 exec_lo, exec_lo, s3
                                        ; implicit-def: $vgpr0
                                        ; implicit-def: $vgpr11_vgpr12
.LBB1807_374:
	s_wait_alu 0xfffe
	s_and_not1_saveexec_b32 s1, s1
	s_cbranch_execz .LBB1807_376
; %bb.375:
	v_lshlrev_b32_e32 v0, 2, v0
	v_readfirstlane_b32 s4, v11
	v_readfirstlane_b32 s5, v12
	ds_load_b32 v7, v0 offset:12288
	s_wait_dscnt 0x0
	global_store_b32 v0, v7, s[4:5] offset:12288
.LBB1807_376:
	s_wait_alu 0xfffe
	s_or_b32 exec_lo, exec_lo, s0
	s_and_b32 s0, s2, s26
	s_wait_alu 0xfffe
	s_and_saveexec_b32 s1, s0
	s_cbranch_execz .LBB1807_153
.LBB1807_377:
	v_add_co_u32 v0, vcc_lo, v3, v6
	s_wait_alu 0xfffd
	v_add_co_ci_u32_e64 v4, null, 0, v4, vcc_lo
	v_mov_b32_e32 v6, 0
	s_delay_alu instid0(VALU_DEP_3) | instskip(SKIP_1) | instid1(VALU_DEP_3)
	v_add_co_u32 v3, vcc_lo, v0, v8
	s_wait_alu 0xfffd
	v_add_co_ci_u32_e64 v4, null, 0, v4, vcc_lo
	v_add_co_u32 v1, vcc_lo, v1, v5
	s_wait_alu 0xfffd
	v_add_co_ci_u32_e64 v2, null, 0, v2, vcc_lo
	global_store_b128 v6, v[1:4], s[24:25]
	s_nop 0
	s_sendmsg sendmsg(MSG_DEALLOC_VGPRS)
	s_endpgm
.LBB1807_378:
	s_add_co_i32 s6, s33, 32
	s_mov_b32 s7, 0
	v_dual_mov_b32 v11, 2 :: v_dual_add_nc_u32 v10, v8, v6
	s_wait_alu 0xfffe
	s_lshl_b64 s[6:7], s[6:7], 4
	v_dual_mov_b32 v12, 0 :: v_dual_add_nc_u32 v9, v7, v5
	s_wait_alu 0xfffe
	s_add_nc_u64 s[6:7], s[36:37], s[6:7]
	s_wait_alu 0xfffe
	v_dual_mov_b32 v28, s7 :: v_dual_mov_b32 v27, s6
	;;#ASMSTART
	global_store_b128 v[27:28], v[9:12] off scope:SCOPE_DEV	
s_wait_storecnt 0x0
	;;#ASMEND
	s_or_b32 exec_lo, exec_lo, s5
	s_and_saveexec_b32 s5, s3
	s_cbranch_execz .LBB1807_138
.LBB1807_379:
	v_mov_b32_e32 v9, 0
	ds_store_b128 v9, v[5:8] offset:13312
	s_wait_alu 0xfffe
	s_or_b32 exec_lo, exec_lo, s5
	s_delay_alu instid0(SALU_CYCLE_1)
	s_and_b32 exec_lo, exec_lo, s2
	s_cbranch_execnz .LBB1807_139
	s_branch .LBB1807_140
	.section	.rodata,"a",@progbits
	.p2align	6, 0x0
	.amdhsa_kernel _ZN7rocprim17ROCPRIM_400000_NS6detail17trampoline_kernelINS0_13select_configILj256ELj13ELNS0_17block_load_methodE3ELS4_3ELS4_3ELNS0_20block_scan_algorithmE0ELj4294967295EEENS1_25partition_config_selectorILNS1_17partition_subalgoE4EjNS0_10empty_typeEbEEZZNS1_14partition_implILS8_4ELb0ES6_15HIP_vector_typeIjLj2EENS0_17counting_iteratorIjlEEPS9_SG_NS0_5tupleIJPjSI_NS0_16reverse_iteratorISI_EEEEENSH_IJSG_SG_SG_EEES9_SI_JZNS1_25segmented_radix_sort_implINS0_14default_configELb0EPK6__halfPSP_PKlPlN2at6native12_GLOBAL__N_18offset_tEEE10hipError_tPvRmT1_PNSt15iterator_traitsIS13_E10value_typeET2_T3_PNS14_IS19_E10value_typeET4_jRbjT5_S1F_jjP12ihipStream_tbEUljE_ZNSN_ISO_Lb0ESR_SS_SU_SV_SZ_EES10_S11_S12_S13_S17_S18_S19_S1C_S1D_jS1E_jS1F_S1F_jjS1H_bEUljE0_EEES10_S11_S12_S19_S1D_S1F_T6_T7_T9_mT8_S1H_bDpT10_ENKUlT_T0_E_clISt17integral_constantIbLb0EES1U_IbLb1EEEEDaS1Q_S1R_EUlS1Q_E_NS1_11comp_targetILNS1_3genE10ELNS1_11target_archE1200ELNS1_3gpuE4ELNS1_3repE0EEENS1_30default_config_static_selectorELNS0_4arch9wavefront6targetE0EEEvS13_
		.amdhsa_group_segment_fixed_size 13328
		.amdhsa_private_segment_fixed_size 0
		.amdhsa_kernarg_size 184
		.amdhsa_user_sgpr_count 2
		.amdhsa_user_sgpr_dispatch_ptr 0
		.amdhsa_user_sgpr_queue_ptr 0
		.amdhsa_user_sgpr_kernarg_segment_ptr 1
		.amdhsa_user_sgpr_dispatch_id 0
		.amdhsa_user_sgpr_private_segment_size 0
		.amdhsa_wavefront_size32 1
		.amdhsa_uses_dynamic_stack 0
		.amdhsa_enable_private_segment 0
		.amdhsa_system_sgpr_workgroup_id_x 1
		.amdhsa_system_sgpr_workgroup_id_y 0
		.amdhsa_system_sgpr_workgroup_id_z 0
		.amdhsa_system_sgpr_workgroup_info 0
		.amdhsa_system_vgpr_workitem_id 0
		.amdhsa_next_free_vgpr 98
		.amdhsa_next_free_sgpr 55
		.amdhsa_reserve_vcc 1
		.amdhsa_float_round_mode_32 0
		.amdhsa_float_round_mode_16_64 0
		.amdhsa_float_denorm_mode_32 3
		.amdhsa_float_denorm_mode_16_64 3
		.amdhsa_fp16_overflow 0
		.amdhsa_workgroup_processor_mode 1
		.amdhsa_memory_ordered 1
		.amdhsa_forward_progress 1
		.amdhsa_inst_pref_size 151
		.amdhsa_round_robin_scheduling 0
		.amdhsa_exception_fp_ieee_invalid_op 0
		.amdhsa_exception_fp_denorm_src 0
		.amdhsa_exception_fp_ieee_div_zero 0
		.amdhsa_exception_fp_ieee_overflow 0
		.amdhsa_exception_fp_ieee_underflow 0
		.amdhsa_exception_fp_ieee_inexact 0
		.amdhsa_exception_int_div_zero 0
	.end_amdhsa_kernel
	.section	.text._ZN7rocprim17ROCPRIM_400000_NS6detail17trampoline_kernelINS0_13select_configILj256ELj13ELNS0_17block_load_methodE3ELS4_3ELS4_3ELNS0_20block_scan_algorithmE0ELj4294967295EEENS1_25partition_config_selectorILNS1_17partition_subalgoE4EjNS0_10empty_typeEbEEZZNS1_14partition_implILS8_4ELb0ES6_15HIP_vector_typeIjLj2EENS0_17counting_iteratorIjlEEPS9_SG_NS0_5tupleIJPjSI_NS0_16reverse_iteratorISI_EEEEENSH_IJSG_SG_SG_EEES9_SI_JZNS1_25segmented_radix_sort_implINS0_14default_configELb0EPK6__halfPSP_PKlPlN2at6native12_GLOBAL__N_18offset_tEEE10hipError_tPvRmT1_PNSt15iterator_traitsIS13_E10value_typeET2_T3_PNS14_IS19_E10value_typeET4_jRbjT5_S1F_jjP12ihipStream_tbEUljE_ZNSN_ISO_Lb0ESR_SS_SU_SV_SZ_EES10_S11_S12_S13_S17_S18_S19_S1C_S1D_jS1E_jS1F_S1F_jjS1H_bEUljE0_EEES10_S11_S12_S19_S1D_S1F_T6_T7_T9_mT8_S1H_bDpT10_ENKUlT_T0_E_clISt17integral_constantIbLb0EES1U_IbLb1EEEEDaS1Q_S1R_EUlS1Q_E_NS1_11comp_targetILNS1_3genE10ELNS1_11target_archE1200ELNS1_3gpuE4ELNS1_3repE0EEENS1_30default_config_static_selectorELNS0_4arch9wavefront6targetE0EEEvS13_,"axG",@progbits,_ZN7rocprim17ROCPRIM_400000_NS6detail17trampoline_kernelINS0_13select_configILj256ELj13ELNS0_17block_load_methodE3ELS4_3ELS4_3ELNS0_20block_scan_algorithmE0ELj4294967295EEENS1_25partition_config_selectorILNS1_17partition_subalgoE4EjNS0_10empty_typeEbEEZZNS1_14partition_implILS8_4ELb0ES6_15HIP_vector_typeIjLj2EENS0_17counting_iteratorIjlEEPS9_SG_NS0_5tupleIJPjSI_NS0_16reverse_iteratorISI_EEEEENSH_IJSG_SG_SG_EEES9_SI_JZNS1_25segmented_radix_sort_implINS0_14default_configELb0EPK6__halfPSP_PKlPlN2at6native12_GLOBAL__N_18offset_tEEE10hipError_tPvRmT1_PNSt15iterator_traitsIS13_E10value_typeET2_T3_PNS14_IS19_E10value_typeET4_jRbjT5_S1F_jjP12ihipStream_tbEUljE_ZNSN_ISO_Lb0ESR_SS_SU_SV_SZ_EES10_S11_S12_S13_S17_S18_S19_S1C_S1D_jS1E_jS1F_S1F_jjS1H_bEUljE0_EEES10_S11_S12_S19_S1D_S1F_T6_T7_T9_mT8_S1H_bDpT10_ENKUlT_T0_E_clISt17integral_constantIbLb0EES1U_IbLb1EEEEDaS1Q_S1R_EUlS1Q_E_NS1_11comp_targetILNS1_3genE10ELNS1_11target_archE1200ELNS1_3gpuE4ELNS1_3repE0EEENS1_30default_config_static_selectorELNS0_4arch9wavefront6targetE0EEEvS13_,comdat
.Lfunc_end1807:
	.size	_ZN7rocprim17ROCPRIM_400000_NS6detail17trampoline_kernelINS0_13select_configILj256ELj13ELNS0_17block_load_methodE3ELS4_3ELS4_3ELNS0_20block_scan_algorithmE0ELj4294967295EEENS1_25partition_config_selectorILNS1_17partition_subalgoE4EjNS0_10empty_typeEbEEZZNS1_14partition_implILS8_4ELb0ES6_15HIP_vector_typeIjLj2EENS0_17counting_iteratorIjlEEPS9_SG_NS0_5tupleIJPjSI_NS0_16reverse_iteratorISI_EEEEENSH_IJSG_SG_SG_EEES9_SI_JZNS1_25segmented_radix_sort_implINS0_14default_configELb0EPK6__halfPSP_PKlPlN2at6native12_GLOBAL__N_18offset_tEEE10hipError_tPvRmT1_PNSt15iterator_traitsIS13_E10value_typeET2_T3_PNS14_IS19_E10value_typeET4_jRbjT5_S1F_jjP12ihipStream_tbEUljE_ZNSN_ISO_Lb0ESR_SS_SU_SV_SZ_EES10_S11_S12_S13_S17_S18_S19_S1C_S1D_jS1E_jS1F_S1F_jjS1H_bEUljE0_EEES10_S11_S12_S19_S1D_S1F_T6_T7_T9_mT8_S1H_bDpT10_ENKUlT_T0_E_clISt17integral_constantIbLb0EES1U_IbLb1EEEEDaS1Q_S1R_EUlS1Q_E_NS1_11comp_targetILNS1_3genE10ELNS1_11target_archE1200ELNS1_3gpuE4ELNS1_3repE0EEENS1_30default_config_static_selectorELNS0_4arch9wavefront6targetE0EEEvS13_, .Lfunc_end1807-_ZN7rocprim17ROCPRIM_400000_NS6detail17trampoline_kernelINS0_13select_configILj256ELj13ELNS0_17block_load_methodE3ELS4_3ELS4_3ELNS0_20block_scan_algorithmE0ELj4294967295EEENS1_25partition_config_selectorILNS1_17partition_subalgoE4EjNS0_10empty_typeEbEEZZNS1_14partition_implILS8_4ELb0ES6_15HIP_vector_typeIjLj2EENS0_17counting_iteratorIjlEEPS9_SG_NS0_5tupleIJPjSI_NS0_16reverse_iteratorISI_EEEEENSH_IJSG_SG_SG_EEES9_SI_JZNS1_25segmented_radix_sort_implINS0_14default_configELb0EPK6__halfPSP_PKlPlN2at6native12_GLOBAL__N_18offset_tEEE10hipError_tPvRmT1_PNSt15iterator_traitsIS13_E10value_typeET2_T3_PNS14_IS19_E10value_typeET4_jRbjT5_S1F_jjP12ihipStream_tbEUljE_ZNSN_ISO_Lb0ESR_SS_SU_SV_SZ_EES10_S11_S12_S13_S17_S18_S19_S1C_S1D_jS1E_jS1F_S1F_jjS1H_bEUljE0_EEES10_S11_S12_S19_S1D_S1F_T6_T7_T9_mT8_S1H_bDpT10_ENKUlT_T0_E_clISt17integral_constantIbLb0EES1U_IbLb1EEEEDaS1Q_S1R_EUlS1Q_E_NS1_11comp_targetILNS1_3genE10ELNS1_11target_archE1200ELNS1_3gpuE4ELNS1_3repE0EEENS1_30default_config_static_selectorELNS0_4arch9wavefront6targetE0EEEvS13_
                                        ; -- End function
	.set _ZN7rocprim17ROCPRIM_400000_NS6detail17trampoline_kernelINS0_13select_configILj256ELj13ELNS0_17block_load_methodE3ELS4_3ELS4_3ELNS0_20block_scan_algorithmE0ELj4294967295EEENS1_25partition_config_selectorILNS1_17partition_subalgoE4EjNS0_10empty_typeEbEEZZNS1_14partition_implILS8_4ELb0ES6_15HIP_vector_typeIjLj2EENS0_17counting_iteratorIjlEEPS9_SG_NS0_5tupleIJPjSI_NS0_16reverse_iteratorISI_EEEEENSH_IJSG_SG_SG_EEES9_SI_JZNS1_25segmented_radix_sort_implINS0_14default_configELb0EPK6__halfPSP_PKlPlN2at6native12_GLOBAL__N_18offset_tEEE10hipError_tPvRmT1_PNSt15iterator_traitsIS13_E10value_typeET2_T3_PNS14_IS19_E10value_typeET4_jRbjT5_S1F_jjP12ihipStream_tbEUljE_ZNSN_ISO_Lb0ESR_SS_SU_SV_SZ_EES10_S11_S12_S13_S17_S18_S19_S1C_S1D_jS1E_jS1F_S1F_jjS1H_bEUljE0_EEES10_S11_S12_S19_S1D_S1F_T6_T7_T9_mT8_S1H_bDpT10_ENKUlT_T0_E_clISt17integral_constantIbLb0EES1U_IbLb1EEEEDaS1Q_S1R_EUlS1Q_E_NS1_11comp_targetILNS1_3genE10ELNS1_11target_archE1200ELNS1_3gpuE4ELNS1_3repE0EEENS1_30default_config_static_selectorELNS0_4arch9wavefront6targetE0EEEvS13_.num_vgpr, 98
	.set _ZN7rocprim17ROCPRIM_400000_NS6detail17trampoline_kernelINS0_13select_configILj256ELj13ELNS0_17block_load_methodE3ELS4_3ELS4_3ELNS0_20block_scan_algorithmE0ELj4294967295EEENS1_25partition_config_selectorILNS1_17partition_subalgoE4EjNS0_10empty_typeEbEEZZNS1_14partition_implILS8_4ELb0ES6_15HIP_vector_typeIjLj2EENS0_17counting_iteratorIjlEEPS9_SG_NS0_5tupleIJPjSI_NS0_16reverse_iteratorISI_EEEEENSH_IJSG_SG_SG_EEES9_SI_JZNS1_25segmented_radix_sort_implINS0_14default_configELb0EPK6__halfPSP_PKlPlN2at6native12_GLOBAL__N_18offset_tEEE10hipError_tPvRmT1_PNSt15iterator_traitsIS13_E10value_typeET2_T3_PNS14_IS19_E10value_typeET4_jRbjT5_S1F_jjP12ihipStream_tbEUljE_ZNSN_ISO_Lb0ESR_SS_SU_SV_SZ_EES10_S11_S12_S13_S17_S18_S19_S1C_S1D_jS1E_jS1F_S1F_jjS1H_bEUljE0_EEES10_S11_S12_S19_S1D_S1F_T6_T7_T9_mT8_S1H_bDpT10_ENKUlT_T0_E_clISt17integral_constantIbLb0EES1U_IbLb1EEEEDaS1Q_S1R_EUlS1Q_E_NS1_11comp_targetILNS1_3genE10ELNS1_11target_archE1200ELNS1_3gpuE4ELNS1_3repE0EEENS1_30default_config_static_selectorELNS0_4arch9wavefront6targetE0EEEvS13_.num_agpr, 0
	.set _ZN7rocprim17ROCPRIM_400000_NS6detail17trampoline_kernelINS0_13select_configILj256ELj13ELNS0_17block_load_methodE3ELS4_3ELS4_3ELNS0_20block_scan_algorithmE0ELj4294967295EEENS1_25partition_config_selectorILNS1_17partition_subalgoE4EjNS0_10empty_typeEbEEZZNS1_14partition_implILS8_4ELb0ES6_15HIP_vector_typeIjLj2EENS0_17counting_iteratorIjlEEPS9_SG_NS0_5tupleIJPjSI_NS0_16reverse_iteratorISI_EEEEENSH_IJSG_SG_SG_EEES9_SI_JZNS1_25segmented_radix_sort_implINS0_14default_configELb0EPK6__halfPSP_PKlPlN2at6native12_GLOBAL__N_18offset_tEEE10hipError_tPvRmT1_PNSt15iterator_traitsIS13_E10value_typeET2_T3_PNS14_IS19_E10value_typeET4_jRbjT5_S1F_jjP12ihipStream_tbEUljE_ZNSN_ISO_Lb0ESR_SS_SU_SV_SZ_EES10_S11_S12_S13_S17_S18_S19_S1C_S1D_jS1E_jS1F_S1F_jjS1H_bEUljE0_EEES10_S11_S12_S19_S1D_S1F_T6_T7_T9_mT8_S1H_bDpT10_ENKUlT_T0_E_clISt17integral_constantIbLb0EES1U_IbLb1EEEEDaS1Q_S1R_EUlS1Q_E_NS1_11comp_targetILNS1_3genE10ELNS1_11target_archE1200ELNS1_3gpuE4ELNS1_3repE0EEENS1_30default_config_static_selectorELNS0_4arch9wavefront6targetE0EEEvS13_.numbered_sgpr, 55
	.set _ZN7rocprim17ROCPRIM_400000_NS6detail17trampoline_kernelINS0_13select_configILj256ELj13ELNS0_17block_load_methodE3ELS4_3ELS4_3ELNS0_20block_scan_algorithmE0ELj4294967295EEENS1_25partition_config_selectorILNS1_17partition_subalgoE4EjNS0_10empty_typeEbEEZZNS1_14partition_implILS8_4ELb0ES6_15HIP_vector_typeIjLj2EENS0_17counting_iteratorIjlEEPS9_SG_NS0_5tupleIJPjSI_NS0_16reverse_iteratorISI_EEEEENSH_IJSG_SG_SG_EEES9_SI_JZNS1_25segmented_radix_sort_implINS0_14default_configELb0EPK6__halfPSP_PKlPlN2at6native12_GLOBAL__N_18offset_tEEE10hipError_tPvRmT1_PNSt15iterator_traitsIS13_E10value_typeET2_T3_PNS14_IS19_E10value_typeET4_jRbjT5_S1F_jjP12ihipStream_tbEUljE_ZNSN_ISO_Lb0ESR_SS_SU_SV_SZ_EES10_S11_S12_S13_S17_S18_S19_S1C_S1D_jS1E_jS1F_S1F_jjS1H_bEUljE0_EEES10_S11_S12_S19_S1D_S1F_T6_T7_T9_mT8_S1H_bDpT10_ENKUlT_T0_E_clISt17integral_constantIbLb0EES1U_IbLb1EEEEDaS1Q_S1R_EUlS1Q_E_NS1_11comp_targetILNS1_3genE10ELNS1_11target_archE1200ELNS1_3gpuE4ELNS1_3repE0EEENS1_30default_config_static_selectorELNS0_4arch9wavefront6targetE0EEEvS13_.num_named_barrier, 0
	.set _ZN7rocprim17ROCPRIM_400000_NS6detail17trampoline_kernelINS0_13select_configILj256ELj13ELNS0_17block_load_methodE3ELS4_3ELS4_3ELNS0_20block_scan_algorithmE0ELj4294967295EEENS1_25partition_config_selectorILNS1_17partition_subalgoE4EjNS0_10empty_typeEbEEZZNS1_14partition_implILS8_4ELb0ES6_15HIP_vector_typeIjLj2EENS0_17counting_iteratorIjlEEPS9_SG_NS0_5tupleIJPjSI_NS0_16reverse_iteratorISI_EEEEENSH_IJSG_SG_SG_EEES9_SI_JZNS1_25segmented_radix_sort_implINS0_14default_configELb0EPK6__halfPSP_PKlPlN2at6native12_GLOBAL__N_18offset_tEEE10hipError_tPvRmT1_PNSt15iterator_traitsIS13_E10value_typeET2_T3_PNS14_IS19_E10value_typeET4_jRbjT5_S1F_jjP12ihipStream_tbEUljE_ZNSN_ISO_Lb0ESR_SS_SU_SV_SZ_EES10_S11_S12_S13_S17_S18_S19_S1C_S1D_jS1E_jS1F_S1F_jjS1H_bEUljE0_EEES10_S11_S12_S19_S1D_S1F_T6_T7_T9_mT8_S1H_bDpT10_ENKUlT_T0_E_clISt17integral_constantIbLb0EES1U_IbLb1EEEEDaS1Q_S1R_EUlS1Q_E_NS1_11comp_targetILNS1_3genE10ELNS1_11target_archE1200ELNS1_3gpuE4ELNS1_3repE0EEENS1_30default_config_static_selectorELNS0_4arch9wavefront6targetE0EEEvS13_.private_seg_size, 0
	.set _ZN7rocprim17ROCPRIM_400000_NS6detail17trampoline_kernelINS0_13select_configILj256ELj13ELNS0_17block_load_methodE3ELS4_3ELS4_3ELNS0_20block_scan_algorithmE0ELj4294967295EEENS1_25partition_config_selectorILNS1_17partition_subalgoE4EjNS0_10empty_typeEbEEZZNS1_14partition_implILS8_4ELb0ES6_15HIP_vector_typeIjLj2EENS0_17counting_iteratorIjlEEPS9_SG_NS0_5tupleIJPjSI_NS0_16reverse_iteratorISI_EEEEENSH_IJSG_SG_SG_EEES9_SI_JZNS1_25segmented_radix_sort_implINS0_14default_configELb0EPK6__halfPSP_PKlPlN2at6native12_GLOBAL__N_18offset_tEEE10hipError_tPvRmT1_PNSt15iterator_traitsIS13_E10value_typeET2_T3_PNS14_IS19_E10value_typeET4_jRbjT5_S1F_jjP12ihipStream_tbEUljE_ZNSN_ISO_Lb0ESR_SS_SU_SV_SZ_EES10_S11_S12_S13_S17_S18_S19_S1C_S1D_jS1E_jS1F_S1F_jjS1H_bEUljE0_EEES10_S11_S12_S19_S1D_S1F_T6_T7_T9_mT8_S1H_bDpT10_ENKUlT_T0_E_clISt17integral_constantIbLb0EES1U_IbLb1EEEEDaS1Q_S1R_EUlS1Q_E_NS1_11comp_targetILNS1_3genE10ELNS1_11target_archE1200ELNS1_3gpuE4ELNS1_3repE0EEENS1_30default_config_static_selectorELNS0_4arch9wavefront6targetE0EEEvS13_.uses_vcc, 1
	.set _ZN7rocprim17ROCPRIM_400000_NS6detail17trampoline_kernelINS0_13select_configILj256ELj13ELNS0_17block_load_methodE3ELS4_3ELS4_3ELNS0_20block_scan_algorithmE0ELj4294967295EEENS1_25partition_config_selectorILNS1_17partition_subalgoE4EjNS0_10empty_typeEbEEZZNS1_14partition_implILS8_4ELb0ES6_15HIP_vector_typeIjLj2EENS0_17counting_iteratorIjlEEPS9_SG_NS0_5tupleIJPjSI_NS0_16reverse_iteratorISI_EEEEENSH_IJSG_SG_SG_EEES9_SI_JZNS1_25segmented_radix_sort_implINS0_14default_configELb0EPK6__halfPSP_PKlPlN2at6native12_GLOBAL__N_18offset_tEEE10hipError_tPvRmT1_PNSt15iterator_traitsIS13_E10value_typeET2_T3_PNS14_IS19_E10value_typeET4_jRbjT5_S1F_jjP12ihipStream_tbEUljE_ZNSN_ISO_Lb0ESR_SS_SU_SV_SZ_EES10_S11_S12_S13_S17_S18_S19_S1C_S1D_jS1E_jS1F_S1F_jjS1H_bEUljE0_EEES10_S11_S12_S19_S1D_S1F_T6_T7_T9_mT8_S1H_bDpT10_ENKUlT_T0_E_clISt17integral_constantIbLb0EES1U_IbLb1EEEEDaS1Q_S1R_EUlS1Q_E_NS1_11comp_targetILNS1_3genE10ELNS1_11target_archE1200ELNS1_3gpuE4ELNS1_3repE0EEENS1_30default_config_static_selectorELNS0_4arch9wavefront6targetE0EEEvS13_.uses_flat_scratch, 0
	.set _ZN7rocprim17ROCPRIM_400000_NS6detail17trampoline_kernelINS0_13select_configILj256ELj13ELNS0_17block_load_methodE3ELS4_3ELS4_3ELNS0_20block_scan_algorithmE0ELj4294967295EEENS1_25partition_config_selectorILNS1_17partition_subalgoE4EjNS0_10empty_typeEbEEZZNS1_14partition_implILS8_4ELb0ES6_15HIP_vector_typeIjLj2EENS0_17counting_iteratorIjlEEPS9_SG_NS0_5tupleIJPjSI_NS0_16reverse_iteratorISI_EEEEENSH_IJSG_SG_SG_EEES9_SI_JZNS1_25segmented_radix_sort_implINS0_14default_configELb0EPK6__halfPSP_PKlPlN2at6native12_GLOBAL__N_18offset_tEEE10hipError_tPvRmT1_PNSt15iterator_traitsIS13_E10value_typeET2_T3_PNS14_IS19_E10value_typeET4_jRbjT5_S1F_jjP12ihipStream_tbEUljE_ZNSN_ISO_Lb0ESR_SS_SU_SV_SZ_EES10_S11_S12_S13_S17_S18_S19_S1C_S1D_jS1E_jS1F_S1F_jjS1H_bEUljE0_EEES10_S11_S12_S19_S1D_S1F_T6_T7_T9_mT8_S1H_bDpT10_ENKUlT_T0_E_clISt17integral_constantIbLb0EES1U_IbLb1EEEEDaS1Q_S1R_EUlS1Q_E_NS1_11comp_targetILNS1_3genE10ELNS1_11target_archE1200ELNS1_3gpuE4ELNS1_3repE0EEENS1_30default_config_static_selectorELNS0_4arch9wavefront6targetE0EEEvS13_.has_dyn_sized_stack, 0
	.set _ZN7rocprim17ROCPRIM_400000_NS6detail17trampoline_kernelINS0_13select_configILj256ELj13ELNS0_17block_load_methodE3ELS4_3ELS4_3ELNS0_20block_scan_algorithmE0ELj4294967295EEENS1_25partition_config_selectorILNS1_17partition_subalgoE4EjNS0_10empty_typeEbEEZZNS1_14partition_implILS8_4ELb0ES6_15HIP_vector_typeIjLj2EENS0_17counting_iteratorIjlEEPS9_SG_NS0_5tupleIJPjSI_NS0_16reverse_iteratorISI_EEEEENSH_IJSG_SG_SG_EEES9_SI_JZNS1_25segmented_radix_sort_implINS0_14default_configELb0EPK6__halfPSP_PKlPlN2at6native12_GLOBAL__N_18offset_tEEE10hipError_tPvRmT1_PNSt15iterator_traitsIS13_E10value_typeET2_T3_PNS14_IS19_E10value_typeET4_jRbjT5_S1F_jjP12ihipStream_tbEUljE_ZNSN_ISO_Lb0ESR_SS_SU_SV_SZ_EES10_S11_S12_S13_S17_S18_S19_S1C_S1D_jS1E_jS1F_S1F_jjS1H_bEUljE0_EEES10_S11_S12_S19_S1D_S1F_T6_T7_T9_mT8_S1H_bDpT10_ENKUlT_T0_E_clISt17integral_constantIbLb0EES1U_IbLb1EEEEDaS1Q_S1R_EUlS1Q_E_NS1_11comp_targetILNS1_3genE10ELNS1_11target_archE1200ELNS1_3gpuE4ELNS1_3repE0EEENS1_30default_config_static_selectorELNS0_4arch9wavefront6targetE0EEEvS13_.has_recursion, 0
	.set _ZN7rocprim17ROCPRIM_400000_NS6detail17trampoline_kernelINS0_13select_configILj256ELj13ELNS0_17block_load_methodE3ELS4_3ELS4_3ELNS0_20block_scan_algorithmE0ELj4294967295EEENS1_25partition_config_selectorILNS1_17partition_subalgoE4EjNS0_10empty_typeEbEEZZNS1_14partition_implILS8_4ELb0ES6_15HIP_vector_typeIjLj2EENS0_17counting_iteratorIjlEEPS9_SG_NS0_5tupleIJPjSI_NS0_16reverse_iteratorISI_EEEEENSH_IJSG_SG_SG_EEES9_SI_JZNS1_25segmented_radix_sort_implINS0_14default_configELb0EPK6__halfPSP_PKlPlN2at6native12_GLOBAL__N_18offset_tEEE10hipError_tPvRmT1_PNSt15iterator_traitsIS13_E10value_typeET2_T3_PNS14_IS19_E10value_typeET4_jRbjT5_S1F_jjP12ihipStream_tbEUljE_ZNSN_ISO_Lb0ESR_SS_SU_SV_SZ_EES10_S11_S12_S13_S17_S18_S19_S1C_S1D_jS1E_jS1F_S1F_jjS1H_bEUljE0_EEES10_S11_S12_S19_S1D_S1F_T6_T7_T9_mT8_S1H_bDpT10_ENKUlT_T0_E_clISt17integral_constantIbLb0EES1U_IbLb1EEEEDaS1Q_S1R_EUlS1Q_E_NS1_11comp_targetILNS1_3genE10ELNS1_11target_archE1200ELNS1_3gpuE4ELNS1_3repE0EEENS1_30default_config_static_selectorELNS0_4arch9wavefront6targetE0EEEvS13_.has_indirect_call, 0
	.section	.AMDGPU.csdata,"",@progbits
; Kernel info:
; codeLenInByte = 19208
; TotalNumSgprs: 57
; NumVgprs: 98
; ScratchSize: 0
; MemoryBound: 0
; FloatMode: 240
; IeeeMode: 1
; LDSByteSize: 13328 bytes/workgroup (compile time only)
; SGPRBlocks: 0
; VGPRBlocks: 12
; NumSGPRsForWavesPerEU: 57
; NumVGPRsForWavesPerEU: 98
; Occupancy: 12
; WaveLimiterHint : 1
; COMPUTE_PGM_RSRC2:SCRATCH_EN: 0
; COMPUTE_PGM_RSRC2:USER_SGPR: 2
; COMPUTE_PGM_RSRC2:TRAP_HANDLER: 0
; COMPUTE_PGM_RSRC2:TGID_X_EN: 1
; COMPUTE_PGM_RSRC2:TGID_Y_EN: 0
; COMPUTE_PGM_RSRC2:TGID_Z_EN: 0
; COMPUTE_PGM_RSRC2:TIDIG_COMP_CNT: 0
	.section	.text._ZN7rocprim17ROCPRIM_400000_NS6detail17trampoline_kernelINS0_13select_configILj256ELj13ELNS0_17block_load_methodE3ELS4_3ELS4_3ELNS0_20block_scan_algorithmE0ELj4294967295EEENS1_25partition_config_selectorILNS1_17partition_subalgoE4EjNS0_10empty_typeEbEEZZNS1_14partition_implILS8_4ELb0ES6_15HIP_vector_typeIjLj2EENS0_17counting_iteratorIjlEEPS9_SG_NS0_5tupleIJPjSI_NS0_16reverse_iteratorISI_EEEEENSH_IJSG_SG_SG_EEES9_SI_JZNS1_25segmented_radix_sort_implINS0_14default_configELb0EPK6__halfPSP_PKlPlN2at6native12_GLOBAL__N_18offset_tEEE10hipError_tPvRmT1_PNSt15iterator_traitsIS13_E10value_typeET2_T3_PNS14_IS19_E10value_typeET4_jRbjT5_S1F_jjP12ihipStream_tbEUljE_ZNSN_ISO_Lb0ESR_SS_SU_SV_SZ_EES10_S11_S12_S13_S17_S18_S19_S1C_S1D_jS1E_jS1F_S1F_jjS1H_bEUljE0_EEES10_S11_S12_S19_S1D_S1F_T6_T7_T9_mT8_S1H_bDpT10_ENKUlT_T0_E_clISt17integral_constantIbLb0EES1U_IbLb1EEEEDaS1Q_S1R_EUlS1Q_E_NS1_11comp_targetILNS1_3genE9ELNS1_11target_archE1100ELNS1_3gpuE3ELNS1_3repE0EEENS1_30default_config_static_selectorELNS0_4arch9wavefront6targetE0EEEvS13_,"axG",@progbits,_ZN7rocprim17ROCPRIM_400000_NS6detail17trampoline_kernelINS0_13select_configILj256ELj13ELNS0_17block_load_methodE3ELS4_3ELS4_3ELNS0_20block_scan_algorithmE0ELj4294967295EEENS1_25partition_config_selectorILNS1_17partition_subalgoE4EjNS0_10empty_typeEbEEZZNS1_14partition_implILS8_4ELb0ES6_15HIP_vector_typeIjLj2EENS0_17counting_iteratorIjlEEPS9_SG_NS0_5tupleIJPjSI_NS0_16reverse_iteratorISI_EEEEENSH_IJSG_SG_SG_EEES9_SI_JZNS1_25segmented_radix_sort_implINS0_14default_configELb0EPK6__halfPSP_PKlPlN2at6native12_GLOBAL__N_18offset_tEEE10hipError_tPvRmT1_PNSt15iterator_traitsIS13_E10value_typeET2_T3_PNS14_IS19_E10value_typeET4_jRbjT5_S1F_jjP12ihipStream_tbEUljE_ZNSN_ISO_Lb0ESR_SS_SU_SV_SZ_EES10_S11_S12_S13_S17_S18_S19_S1C_S1D_jS1E_jS1F_S1F_jjS1H_bEUljE0_EEES10_S11_S12_S19_S1D_S1F_T6_T7_T9_mT8_S1H_bDpT10_ENKUlT_T0_E_clISt17integral_constantIbLb0EES1U_IbLb1EEEEDaS1Q_S1R_EUlS1Q_E_NS1_11comp_targetILNS1_3genE9ELNS1_11target_archE1100ELNS1_3gpuE3ELNS1_3repE0EEENS1_30default_config_static_selectorELNS0_4arch9wavefront6targetE0EEEvS13_,comdat
	.globl	_ZN7rocprim17ROCPRIM_400000_NS6detail17trampoline_kernelINS0_13select_configILj256ELj13ELNS0_17block_load_methodE3ELS4_3ELS4_3ELNS0_20block_scan_algorithmE0ELj4294967295EEENS1_25partition_config_selectorILNS1_17partition_subalgoE4EjNS0_10empty_typeEbEEZZNS1_14partition_implILS8_4ELb0ES6_15HIP_vector_typeIjLj2EENS0_17counting_iteratorIjlEEPS9_SG_NS0_5tupleIJPjSI_NS0_16reverse_iteratorISI_EEEEENSH_IJSG_SG_SG_EEES9_SI_JZNS1_25segmented_radix_sort_implINS0_14default_configELb0EPK6__halfPSP_PKlPlN2at6native12_GLOBAL__N_18offset_tEEE10hipError_tPvRmT1_PNSt15iterator_traitsIS13_E10value_typeET2_T3_PNS14_IS19_E10value_typeET4_jRbjT5_S1F_jjP12ihipStream_tbEUljE_ZNSN_ISO_Lb0ESR_SS_SU_SV_SZ_EES10_S11_S12_S13_S17_S18_S19_S1C_S1D_jS1E_jS1F_S1F_jjS1H_bEUljE0_EEES10_S11_S12_S19_S1D_S1F_T6_T7_T9_mT8_S1H_bDpT10_ENKUlT_T0_E_clISt17integral_constantIbLb0EES1U_IbLb1EEEEDaS1Q_S1R_EUlS1Q_E_NS1_11comp_targetILNS1_3genE9ELNS1_11target_archE1100ELNS1_3gpuE3ELNS1_3repE0EEENS1_30default_config_static_selectorELNS0_4arch9wavefront6targetE0EEEvS13_ ; -- Begin function _ZN7rocprim17ROCPRIM_400000_NS6detail17trampoline_kernelINS0_13select_configILj256ELj13ELNS0_17block_load_methodE3ELS4_3ELS4_3ELNS0_20block_scan_algorithmE0ELj4294967295EEENS1_25partition_config_selectorILNS1_17partition_subalgoE4EjNS0_10empty_typeEbEEZZNS1_14partition_implILS8_4ELb0ES6_15HIP_vector_typeIjLj2EENS0_17counting_iteratorIjlEEPS9_SG_NS0_5tupleIJPjSI_NS0_16reverse_iteratorISI_EEEEENSH_IJSG_SG_SG_EEES9_SI_JZNS1_25segmented_radix_sort_implINS0_14default_configELb0EPK6__halfPSP_PKlPlN2at6native12_GLOBAL__N_18offset_tEEE10hipError_tPvRmT1_PNSt15iterator_traitsIS13_E10value_typeET2_T3_PNS14_IS19_E10value_typeET4_jRbjT5_S1F_jjP12ihipStream_tbEUljE_ZNSN_ISO_Lb0ESR_SS_SU_SV_SZ_EES10_S11_S12_S13_S17_S18_S19_S1C_S1D_jS1E_jS1F_S1F_jjS1H_bEUljE0_EEES10_S11_S12_S19_S1D_S1F_T6_T7_T9_mT8_S1H_bDpT10_ENKUlT_T0_E_clISt17integral_constantIbLb0EES1U_IbLb1EEEEDaS1Q_S1R_EUlS1Q_E_NS1_11comp_targetILNS1_3genE9ELNS1_11target_archE1100ELNS1_3gpuE3ELNS1_3repE0EEENS1_30default_config_static_selectorELNS0_4arch9wavefront6targetE0EEEvS13_
	.p2align	8
	.type	_ZN7rocprim17ROCPRIM_400000_NS6detail17trampoline_kernelINS0_13select_configILj256ELj13ELNS0_17block_load_methodE3ELS4_3ELS4_3ELNS0_20block_scan_algorithmE0ELj4294967295EEENS1_25partition_config_selectorILNS1_17partition_subalgoE4EjNS0_10empty_typeEbEEZZNS1_14partition_implILS8_4ELb0ES6_15HIP_vector_typeIjLj2EENS0_17counting_iteratorIjlEEPS9_SG_NS0_5tupleIJPjSI_NS0_16reverse_iteratorISI_EEEEENSH_IJSG_SG_SG_EEES9_SI_JZNS1_25segmented_radix_sort_implINS0_14default_configELb0EPK6__halfPSP_PKlPlN2at6native12_GLOBAL__N_18offset_tEEE10hipError_tPvRmT1_PNSt15iterator_traitsIS13_E10value_typeET2_T3_PNS14_IS19_E10value_typeET4_jRbjT5_S1F_jjP12ihipStream_tbEUljE_ZNSN_ISO_Lb0ESR_SS_SU_SV_SZ_EES10_S11_S12_S13_S17_S18_S19_S1C_S1D_jS1E_jS1F_S1F_jjS1H_bEUljE0_EEES10_S11_S12_S19_S1D_S1F_T6_T7_T9_mT8_S1H_bDpT10_ENKUlT_T0_E_clISt17integral_constantIbLb0EES1U_IbLb1EEEEDaS1Q_S1R_EUlS1Q_E_NS1_11comp_targetILNS1_3genE9ELNS1_11target_archE1100ELNS1_3gpuE3ELNS1_3repE0EEENS1_30default_config_static_selectorELNS0_4arch9wavefront6targetE0EEEvS13_,@function
_ZN7rocprim17ROCPRIM_400000_NS6detail17trampoline_kernelINS0_13select_configILj256ELj13ELNS0_17block_load_methodE3ELS4_3ELS4_3ELNS0_20block_scan_algorithmE0ELj4294967295EEENS1_25partition_config_selectorILNS1_17partition_subalgoE4EjNS0_10empty_typeEbEEZZNS1_14partition_implILS8_4ELb0ES6_15HIP_vector_typeIjLj2EENS0_17counting_iteratorIjlEEPS9_SG_NS0_5tupleIJPjSI_NS0_16reverse_iteratorISI_EEEEENSH_IJSG_SG_SG_EEES9_SI_JZNS1_25segmented_radix_sort_implINS0_14default_configELb0EPK6__halfPSP_PKlPlN2at6native12_GLOBAL__N_18offset_tEEE10hipError_tPvRmT1_PNSt15iterator_traitsIS13_E10value_typeET2_T3_PNS14_IS19_E10value_typeET4_jRbjT5_S1F_jjP12ihipStream_tbEUljE_ZNSN_ISO_Lb0ESR_SS_SU_SV_SZ_EES10_S11_S12_S13_S17_S18_S19_S1C_S1D_jS1E_jS1F_S1F_jjS1H_bEUljE0_EEES10_S11_S12_S19_S1D_S1F_T6_T7_T9_mT8_S1H_bDpT10_ENKUlT_T0_E_clISt17integral_constantIbLb0EES1U_IbLb1EEEEDaS1Q_S1R_EUlS1Q_E_NS1_11comp_targetILNS1_3genE9ELNS1_11target_archE1100ELNS1_3gpuE3ELNS1_3repE0EEENS1_30default_config_static_selectorELNS0_4arch9wavefront6targetE0EEEvS13_: ; @_ZN7rocprim17ROCPRIM_400000_NS6detail17trampoline_kernelINS0_13select_configILj256ELj13ELNS0_17block_load_methodE3ELS4_3ELS4_3ELNS0_20block_scan_algorithmE0ELj4294967295EEENS1_25partition_config_selectorILNS1_17partition_subalgoE4EjNS0_10empty_typeEbEEZZNS1_14partition_implILS8_4ELb0ES6_15HIP_vector_typeIjLj2EENS0_17counting_iteratorIjlEEPS9_SG_NS0_5tupleIJPjSI_NS0_16reverse_iteratorISI_EEEEENSH_IJSG_SG_SG_EEES9_SI_JZNS1_25segmented_radix_sort_implINS0_14default_configELb0EPK6__halfPSP_PKlPlN2at6native12_GLOBAL__N_18offset_tEEE10hipError_tPvRmT1_PNSt15iterator_traitsIS13_E10value_typeET2_T3_PNS14_IS19_E10value_typeET4_jRbjT5_S1F_jjP12ihipStream_tbEUljE_ZNSN_ISO_Lb0ESR_SS_SU_SV_SZ_EES10_S11_S12_S13_S17_S18_S19_S1C_S1D_jS1E_jS1F_S1F_jjS1H_bEUljE0_EEES10_S11_S12_S19_S1D_S1F_T6_T7_T9_mT8_S1H_bDpT10_ENKUlT_T0_E_clISt17integral_constantIbLb0EES1U_IbLb1EEEEDaS1Q_S1R_EUlS1Q_E_NS1_11comp_targetILNS1_3genE9ELNS1_11target_archE1100ELNS1_3gpuE3ELNS1_3repE0EEENS1_30default_config_static_selectorELNS0_4arch9wavefront6targetE0EEEvS13_
; %bb.0:
	.section	.rodata,"a",@progbits
	.p2align	6, 0x0
	.amdhsa_kernel _ZN7rocprim17ROCPRIM_400000_NS6detail17trampoline_kernelINS0_13select_configILj256ELj13ELNS0_17block_load_methodE3ELS4_3ELS4_3ELNS0_20block_scan_algorithmE0ELj4294967295EEENS1_25partition_config_selectorILNS1_17partition_subalgoE4EjNS0_10empty_typeEbEEZZNS1_14partition_implILS8_4ELb0ES6_15HIP_vector_typeIjLj2EENS0_17counting_iteratorIjlEEPS9_SG_NS0_5tupleIJPjSI_NS0_16reverse_iteratorISI_EEEEENSH_IJSG_SG_SG_EEES9_SI_JZNS1_25segmented_radix_sort_implINS0_14default_configELb0EPK6__halfPSP_PKlPlN2at6native12_GLOBAL__N_18offset_tEEE10hipError_tPvRmT1_PNSt15iterator_traitsIS13_E10value_typeET2_T3_PNS14_IS19_E10value_typeET4_jRbjT5_S1F_jjP12ihipStream_tbEUljE_ZNSN_ISO_Lb0ESR_SS_SU_SV_SZ_EES10_S11_S12_S13_S17_S18_S19_S1C_S1D_jS1E_jS1F_S1F_jjS1H_bEUljE0_EEES10_S11_S12_S19_S1D_S1F_T6_T7_T9_mT8_S1H_bDpT10_ENKUlT_T0_E_clISt17integral_constantIbLb0EES1U_IbLb1EEEEDaS1Q_S1R_EUlS1Q_E_NS1_11comp_targetILNS1_3genE9ELNS1_11target_archE1100ELNS1_3gpuE3ELNS1_3repE0EEENS1_30default_config_static_selectorELNS0_4arch9wavefront6targetE0EEEvS13_
		.amdhsa_group_segment_fixed_size 0
		.amdhsa_private_segment_fixed_size 0
		.amdhsa_kernarg_size 184
		.amdhsa_user_sgpr_count 2
		.amdhsa_user_sgpr_dispatch_ptr 0
		.amdhsa_user_sgpr_queue_ptr 0
		.amdhsa_user_sgpr_kernarg_segment_ptr 1
		.amdhsa_user_sgpr_dispatch_id 0
		.amdhsa_user_sgpr_private_segment_size 0
		.amdhsa_wavefront_size32 1
		.amdhsa_uses_dynamic_stack 0
		.amdhsa_enable_private_segment 0
		.amdhsa_system_sgpr_workgroup_id_x 1
		.amdhsa_system_sgpr_workgroup_id_y 0
		.amdhsa_system_sgpr_workgroup_id_z 0
		.amdhsa_system_sgpr_workgroup_info 0
		.amdhsa_system_vgpr_workitem_id 0
		.amdhsa_next_free_vgpr 1
		.amdhsa_next_free_sgpr 1
		.amdhsa_reserve_vcc 0
		.amdhsa_float_round_mode_32 0
		.amdhsa_float_round_mode_16_64 0
		.amdhsa_float_denorm_mode_32 3
		.amdhsa_float_denorm_mode_16_64 3
		.amdhsa_fp16_overflow 0
		.amdhsa_workgroup_processor_mode 1
		.amdhsa_memory_ordered 1
		.amdhsa_forward_progress 1
		.amdhsa_inst_pref_size 0
		.amdhsa_round_robin_scheduling 0
		.amdhsa_exception_fp_ieee_invalid_op 0
		.amdhsa_exception_fp_denorm_src 0
		.amdhsa_exception_fp_ieee_div_zero 0
		.amdhsa_exception_fp_ieee_overflow 0
		.amdhsa_exception_fp_ieee_underflow 0
		.amdhsa_exception_fp_ieee_inexact 0
		.amdhsa_exception_int_div_zero 0
	.end_amdhsa_kernel
	.section	.text._ZN7rocprim17ROCPRIM_400000_NS6detail17trampoline_kernelINS0_13select_configILj256ELj13ELNS0_17block_load_methodE3ELS4_3ELS4_3ELNS0_20block_scan_algorithmE0ELj4294967295EEENS1_25partition_config_selectorILNS1_17partition_subalgoE4EjNS0_10empty_typeEbEEZZNS1_14partition_implILS8_4ELb0ES6_15HIP_vector_typeIjLj2EENS0_17counting_iteratorIjlEEPS9_SG_NS0_5tupleIJPjSI_NS0_16reverse_iteratorISI_EEEEENSH_IJSG_SG_SG_EEES9_SI_JZNS1_25segmented_radix_sort_implINS0_14default_configELb0EPK6__halfPSP_PKlPlN2at6native12_GLOBAL__N_18offset_tEEE10hipError_tPvRmT1_PNSt15iterator_traitsIS13_E10value_typeET2_T3_PNS14_IS19_E10value_typeET4_jRbjT5_S1F_jjP12ihipStream_tbEUljE_ZNSN_ISO_Lb0ESR_SS_SU_SV_SZ_EES10_S11_S12_S13_S17_S18_S19_S1C_S1D_jS1E_jS1F_S1F_jjS1H_bEUljE0_EEES10_S11_S12_S19_S1D_S1F_T6_T7_T9_mT8_S1H_bDpT10_ENKUlT_T0_E_clISt17integral_constantIbLb0EES1U_IbLb1EEEEDaS1Q_S1R_EUlS1Q_E_NS1_11comp_targetILNS1_3genE9ELNS1_11target_archE1100ELNS1_3gpuE3ELNS1_3repE0EEENS1_30default_config_static_selectorELNS0_4arch9wavefront6targetE0EEEvS13_,"axG",@progbits,_ZN7rocprim17ROCPRIM_400000_NS6detail17trampoline_kernelINS0_13select_configILj256ELj13ELNS0_17block_load_methodE3ELS4_3ELS4_3ELNS0_20block_scan_algorithmE0ELj4294967295EEENS1_25partition_config_selectorILNS1_17partition_subalgoE4EjNS0_10empty_typeEbEEZZNS1_14partition_implILS8_4ELb0ES6_15HIP_vector_typeIjLj2EENS0_17counting_iteratorIjlEEPS9_SG_NS0_5tupleIJPjSI_NS0_16reverse_iteratorISI_EEEEENSH_IJSG_SG_SG_EEES9_SI_JZNS1_25segmented_radix_sort_implINS0_14default_configELb0EPK6__halfPSP_PKlPlN2at6native12_GLOBAL__N_18offset_tEEE10hipError_tPvRmT1_PNSt15iterator_traitsIS13_E10value_typeET2_T3_PNS14_IS19_E10value_typeET4_jRbjT5_S1F_jjP12ihipStream_tbEUljE_ZNSN_ISO_Lb0ESR_SS_SU_SV_SZ_EES10_S11_S12_S13_S17_S18_S19_S1C_S1D_jS1E_jS1F_S1F_jjS1H_bEUljE0_EEES10_S11_S12_S19_S1D_S1F_T6_T7_T9_mT8_S1H_bDpT10_ENKUlT_T0_E_clISt17integral_constantIbLb0EES1U_IbLb1EEEEDaS1Q_S1R_EUlS1Q_E_NS1_11comp_targetILNS1_3genE9ELNS1_11target_archE1100ELNS1_3gpuE3ELNS1_3repE0EEENS1_30default_config_static_selectorELNS0_4arch9wavefront6targetE0EEEvS13_,comdat
.Lfunc_end1808:
	.size	_ZN7rocprim17ROCPRIM_400000_NS6detail17trampoline_kernelINS0_13select_configILj256ELj13ELNS0_17block_load_methodE3ELS4_3ELS4_3ELNS0_20block_scan_algorithmE0ELj4294967295EEENS1_25partition_config_selectorILNS1_17partition_subalgoE4EjNS0_10empty_typeEbEEZZNS1_14partition_implILS8_4ELb0ES6_15HIP_vector_typeIjLj2EENS0_17counting_iteratorIjlEEPS9_SG_NS0_5tupleIJPjSI_NS0_16reverse_iteratorISI_EEEEENSH_IJSG_SG_SG_EEES9_SI_JZNS1_25segmented_radix_sort_implINS0_14default_configELb0EPK6__halfPSP_PKlPlN2at6native12_GLOBAL__N_18offset_tEEE10hipError_tPvRmT1_PNSt15iterator_traitsIS13_E10value_typeET2_T3_PNS14_IS19_E10value_typeET4_jRbjT5_S1F_jjP12ihipStream_tbEUljE_ZNSN_ISO_Lb0ESR_SS_SU_SV_SZ_EES10_S11_S12_S13_S17_S18_S19_S1C_S1D_jS1E_jS1F_S1F_jjS1H_bEUljE0_EEES10_S11_S12_S19_S1D_S1F_T6_T7_T9_mT8_S1H_bDpT10_ENKUlT_T0_E_clISt17integral_constantIbLb0EES1U_IbLb1EEEEDaS1Q_S1R_EUlS1Q_E_NS1_11comp_targetILNS1_3genE9ELNS1_11target_archE1100ELNS1_3gpuE3ELNS1_3repE0EEENS1_30default_config_static_selectorELNS0_4arch9wavefront6targetE0EEEvS13_, .Lfunc_end1808-_ZN7rocprim17ROCPRIM_400000_NS6detail17trampoline_kernelINS0_13select_configILj256ELj13ELNS0_17block_load_methodE3ELS4_3ELS4_3ELNS0_20block_scan_algorithmE0ELj4294967295EEENS1_25partition_config_selectorILNS1_17partition_subalgoE4EjNS0_10empty_typeEbEEZZNS1_14partition_implILS8_4ELb0ES6_15HIP_vector_typeIjLj2EENS0_17counting_iteratorIjlEEPS9_SG_NS0_5tupleIJPjSI_NS0_16reverse_iteratorISI_EEEEENSH_IJSG_SG_SG_EEES9_SI_JZNS1_25segmented_radix_sort_implINS0_14default_configELb0EPK6__halfPSP_PKlPlN2at6native12_GLOBAL__N_18offset_tEEE10hipError_tPvRmT1_PNSt15iterator_traitsIS13_E10value_typeET2_T3_PNS14_IS19_E10value_typeET4_jRbjT5_S1F_jjP12ihipStream_tbEUljE_ZNSN_ISO_Lb0ESR_SS_SU_SV_SZ_EES10_S11_S12_S13_S17_S18_S19_S1C_S1D_jS1E_jS1F_S1F_jjS1H_bEUljE0_EEES10_S11_S12_S19_S1D_S1F_T6_T7_T9_mT8_S1H_bDpT10_ENKUlT_T0_E_clISt17integral_constantIbLb0EES1U_IbLb1EEEEDaS1Q_S1R_EUlS1Q_E_NS1_11comp_targetILNS1_3genE9ELNS1_11target_archE1100ELNS1_3gpuE3ELNS1_3repE0EEENS1_30default_config_static_selectorELNS0_4arch9wavefront6targetE0EEEvS13_
                                        ; -- End function
	.set _ZN7rocprim17ROCPRIM_400000_NS6detail17trampoline_kernelINS0_13select_configILj256ELj13ELNS0_17block_load_methodE3ELS4_3ELS4_3ELNS0_20block_scan_algorithmE0ELj4294967295EEENS1_25partition_config_selectorILNS1_17partition_subalgoE4EjNS0_10empty_typeEbEEZZNS1_14partition_implILS8_4ELb0ES6_15HIP_vector_typeIjLj2EENS0_17counting_iteratorIjlEEPS9_SG_NS0_5tupleIJPjSI_NS0_16reverse_iteratorISI_EEEEENSH_IJSG_SG_SG_EEES9_SI_JZNS1_25segmented_radix_sort_implINS0_14default_configELb0EPK6__halfPSP_PKlPlN2at6native12_GLOBAL__N_18offset_tEEE10hipError_tPvRmT1_PNSt15iterator_traitsIS13_E10value_typeET2_T3_PNS14_IS19_E10value_typeET4_jRbjT5_S1F_jjP12ihipStream_tbEUljE_ZNSN_ISO_Lb0ESR_SS_SU_SV_SZ_EES10_S11_S12_S13_S17_S18_S19_S1C_S1D_jS1E_jS1F_S1F_jjS1H_bEUljE0_EEES10_S11_S12_S19_S1D_S1F_T6_T7_T9_mT8_S1H_bDpT10_ENKUlT_T0_E_clISt17integral_constantIbLb0EES1U_IbLb1EEEEDaS1Q_S1R_EUlS1Q_E_NS1_11comp_targetILNS1_3genE9ELNS1_11target_archE1100ELNS1_3gpuE3ELNS1_3repE0EEENS1_30default_config_static_selectorELNS0_4arch9wavefront6targetE0EEEvS13_.num_vgpr, 0
	.set _ZN7rocprim17ROCPRIM_400000_NS6detail17trampoline_kernelINS0_13select_configILj256ELj13ELNS0_17block_load_methodE3ELS4_3ELS4_3ELNS0_20block_scan_algorithmE0ELj4294967295EEENS1_25partition_config_selectorILNS1_17partition_subalgoE4EjNS0_10empty_typeEbEEZZNS1_14partition_implILS8_4ELb0ES6_15HIP_vector_typeIjLj2EENS0_17counting_iteratorIjlEEPS9_SG_NS0_5tupleIJPjSI_NS0_16reverse_iteratorISI_EEEEENSH_IJSG_SG_SG_EEES9_SI_JZNS1_25segmented_radix_sort_implINS0_14default_configELb0EPK6__halfPSP_PKlPlN2at6native12_GLOBAL__N_18offset_tEEE10hipError_tPvRmT1_PNSt15iterator_traitsIS13_E10value_typeET2_T3_PNS14_IS19_E10value_typeET4_jRbjT5_S1F_jjP12ihipStream_tbEUljE_ZNSN_ISO_Lb0ESR_SS_SU_SV_SZ_EES10_S11_S12_S13_S17_S18_S19_S1C_S1D_jS1E_jS1F_S1F_jjS1H_bEUljE0_EEES10_S11_S12_S19_S1D_S1F_T6_T7_T9_mT8_S1H_bDpT10_ENKUlT_T0_E_clISt17integral_constantIbLb0EES1U_IbLb1EEEEDaS1Q_S1R_EUlS1Q_E_NS1_11comp_targetILNS1_3genE9ELNS1_11target_archE1100ELNS1_3gpuE3ELNS1_3repE0EEENS1_30default_config_static_selectorELNS0_4arch9wavefront6targetE0EEEvS13_.num_agpr, 0
	.set _ZN7rocprim17ROCPRIM_400000_NS6detail17trampoline_kernelINS0_13select_configILj256ELj13ELNS0_17block_load_methodE3ELS4_3ELS4_3ELNS0_20block_scan_algorithmE0ELj4294967295EEENS1_25partition_config_selectorILNS1_17partition_subalgoE4EjNS0_10empty_typeEbEEZZNS1_14partition_implILS8_4ELb0ES6_15HIP_vector_typeIjLj2EENS0_17counting_iteratorIjlEEPS9_SG_NS0_5tupleIJPjSI_NS0_16reverse_iteratorISI_EEEEENSH_IJSG_SG_SG_EEES9_SI_JZNS1_25segmented_radix_sort_implINS0_14default_configELb0EPK6__halfPSP_PKlPlN2at6native12_GLOBAL__N_18offset_tEEE10hipError_tPvRmT1_PNSt15iterator_traitsIS13_E10value_typeET2_T3_PNS14_IS19_E10value_typeET4_jRbjT5_S1F_jjP12ihipStream_tbEUljE_ZNSN_ISO_Lb0ESR_SS_SU_SV_SZ_EES10_S11_S12_S13_S17_S18_S19_S1C_S1D_jS1E_jS1F_S1F_jjS1H_bEUljE0_EEES10_S11_S12_S19_S1D_S1F_T6_T7_T9_mT8_S1H_bDpT10_ENKUlT_T0_E_clISt17integral_constantIbLb0EES1U_IbLb1EEEEDaS1Q_S1R_EUlS1Q_E_NS1_11comp_targetILNS1_3genE9ELNS1_11target_archE1100ELNS1_3gpuE3ELNS1_3repE0EEENS1_30default_config_static_selectorELNS0_4arch9wavefront6targetE0EEEvS13_.numbered_sgpr, 0
	.set _ZN7rocprim17ROCPRIM_400000_NS6detail17trampoline_kernelINS0_13select_configILj256ELj13ELNS0_17block_load_methodE3ELS4_3ELS4_3ELNS0_20block_scan_algorithmE0ELj4294967295EEENS1_25partition_config_selectorILNS1_17partition_subalgoE4EjNS0_10empty_typeEbEEZZNS1_14partition_implILS8_4ELb0ES6_15HIP_vector_typeIjLj2EENS0_17counting_iteratorIjlEEPS9_SG_NS0_5tupleIJPjSI_NS0_16reverse_iteratorISI_EEEEENSH_IJSG_SG_SG_EEES9_SI_JZNS1_25segmented_radix_sort_implINS0_14default_configELb0EPK6__halfPSP_PKlPlN2at6native12_GLOBAL__N_18offset_tEEE10hipError_tPvRmT1_PNSt15iterator_traitsIS13_E10value_typeET2_T3_PNS14_IS19_E10value_typeET4_jRbjT5_S1F_jjP12ihipStream_tbEUljE_ZNSN_ISO_Lb0ESR_SS_SU_SV_SZ_EES10_S11_S12_S13_S17_S18_S19_S1C_S1D_jS1E_jS1F_S1F_jjS1H_bEUljE0_EEES10_S11_S12_S19_S1D_S1F_T6_T7_T9_mT8_S1H_bDpT10_ENKUlT_T0_E_clISt17integral_constantIbLb0EES1U_IbLb1EEEEDaS1Q_S1R_EUlS1Q_E_NS1_11comp_targetILNS1_3genE9ELNS1_11target_archE1100ELNS1_3gpuE3ELNS1_3repE0EEENS1_30default_config_static_selectorELNS0_4arch9wavefront6targetE0EEEvS13_.num_named_barrier, 0
	.set _ZN7rocprim17ROCPRIM_400000_NS6detail17trampoline_kernelINS0_13select_configILj256ELj13ELNS0_17block_load_methodE3ELS4_3ELS4_3ELNS0_20block_scan_algorithmE0ELj4294967295EEENS1_25partition_config_selectorILNS1_17partition_subalgoE4EjNS0_10empty_typeEbEEZZNS1_14partition_implILS8_4ELb0ES6_15HIP_vector_typeIjLj2EENS0_17counting_iteratorIjlEEPS9_SG_NS0_5tupleIJPjSI_NS0_16reverse_iteratorISI_EEEEENSH_IJSG_SG_SG_EEES9_SI_JZNS1_25segmented_radix_sort_implINS0_14default_configELb0EPK6__halfPSP_PKlPlN2at6native12_GLOBAL__N_18offset_tEEE10hipError_tPvRmT1_PNSt15iterator_traitsIS13_E10value_typeET2_T3_PNS14_IS19_E10value_typeET4_jRbjT5_S1F_jjP12ihipStream_tbEUljE_ZNSN_ISO_Lb0ESR_SS_SU_SV_SZ_EES10_S11_S12_S13_S17_S18_S19_S1C_S1D_jS1E_jS1F_S1F_jjS1H_bEUljE0_EEES10_S11_S12_S19_S1D_S1F_T6_T7_T9_mT8_S1H_bDpT10_ENKUlT_T0_E_clISt17integral_constantIbLb0EES1U_IbLb1EEEEDaS1Q_S1R_EUlS1Q_E_NS1_11comp_targetILNS1_3genE9ELNS1_11target_archE1100ELNS1_3gpuE3ELNS1_3repE0EEENS1_30default_config_static_selectorELNS0_4arch9wavefront6targetE0EEEvS13_.private_seg_size, 0
	.set _ZN7rocprim17ROCPRIM_400000_NS6detail17trampoline_kernelINS0_13select_configILj256ELj13ELNS0_17block_load_methodE3ELS4_3ELS4_3ELNS0_20block_scan_algorithmE0ELj4294967295EEENS1_25partition_config_selectorILNS1_17partition_subalgoE4EjNS0_10empty_typeEbEEZZNS1_14partition_implILS8_4ELb0ES6_15HIP_vector_typeIjLj2EENS0_17counting_iteratorIjlEEPS9_SG_NS0_5tupleIJPjSI_NS0_16reverse_iteratorISI_EEEEENSH_IJSG_SG_SG_EEES9_SI_JZNS1_25segmented_radix_sort_implINS0_14default_configELb0EPK6__halfPSP_PKlPlN2at6native12_GLOBAL__N_18offset_tEEE10hipError_tPvRmT1_PNSt15iterator_traitsIS13_E10value_typeET2_T3_PNS14_IS19_E10value_typeET4_jRbjT5_S1F_jjP12ihipStream_tbEUljE_ZNSN_ISO_Lb0ESR_SS_SU_SV_SZ_EES10_S11_S12_S13_S17_S18_S19_S1C_S1D_jS1E_jS1F_S1F_jjS1H_bEUljE0_EEES10_S11_S12_S19_S1D_S1F_T6_T7_T9_mT8_S1H_bDpT10_ENKUlT_T0_E_clISt17integral_constantIbLb0EES1U_IbLb1EEEEDaS1Q_S1R_EUlS1Q_E_NS1_11comp_targetILNS1_3genE9ELNS1_11target_archE1100ELNS1_3gpuE3ELNS1_3repE0EEENS1_30default_config_static_selectorELNS0_4arch9wavefront6targetE0EEEvS13_.uses_vcc, 0
	.set _ZN7rocprim17ROCPRIM_400000_NS6detail17trampoline_kernelINS0_13select_configILj256ELj13ELNS0_17block_load_methodE3ELS4_3ELS4_3ELNS0_20block_scan_algorithmE0ELj4294967295EEENS1_25partition_config_selectorILNS1_17partition_subalgoE4EjNS0_10empty_typeEbEEZZNS1_14partition_implILS8_4ELb0ES6_15HIP_vector_typeIjLj2EENS0_17counting_iteratorIjlEEPS9_SG_NS0_5tupleIJPjSI_NS0_16reverse_iteratorISI_EEEEENSH_IJSG_SG_SG_EEES9_SI_JZNS1_25segmented_radix_sort_implINS0_14default_configELb0EPK6__halfPSP_PKlPlN2at6native12_GLOBAL__N_18offset_tEEE10hipError_tPvRmT1_PNSt15iterator_traitsIS13_E10value_typeET2_T3_PNS14_IS19_E10value_typeET4_jRbjT5_S1F_jjP12ihipStream_tbEUljE_ZNSN_ISO_Lb0ESR_SS_SU_SV_SZ_EES10_S11_S12_S13_S17_S18_S19_S1C_S1D_jS1E_jS1F_S1F_jjS1H_bEUljE0_EEES10_S11_S12_S19_S1D_S1F_T6_T7_T9_mT8_S1H_bDpT10_ENKUlT_T0_E_clISt17integral_constantIbLb0EES1U_IbLb1EEEEDaS1Q_S1R_EUlS1Q_E_NS1_11comp_targetILNS1_3genE9ELNS1_11target_archE1100ELNS1_3gpuE3ELNS1_3repE0EEENS1_30default_config_static_selectorELNS0_4arch9wavefront6targetE0EEEvS13_.uses_flat_scratch, 0
	.set _ZN7rocprim17ROCPRIM_400000_NS6detail17trampoline_kernelINS0_13select_configILj256ELj13ELNS0_17block_load_methodE3ELS4_3ELS4_3ELNS0_20block_scan_algorithmE0ELj4294967295EEENS1_25partition_config_selectorILNS1_17partition_subalgoE4EjNS0_10empty_typeEbEEZZNS1_14partition_implILS8_4ELb0ES6_15HIP_vector_typeIjLj2EENS0_17counting_iteratorIjlEEPS9_SG_NS0_5tupleIJPjSI_NS0_16reverse_iteratorISI_EEEEENSH_IJSG_SG_SG_EEES9_SI_JZNS1_25segmented_radix_sort_implINS0_14default_configELb0EPK6__halfPSP_PKlPlN2at6native12_GLOBAL__N_18offset_tEEE10hipError_tPvRmT1_PNSt15iterator_traitsIS13_E10value_typeET2_T3_PNS14_IS19_E10value_typeET4_jRbjT5_S1F_jjP12ihipStream_tbEUljE_ZNSN_ISO_Lb0ESR_SS_SU_SV_SZ_EES10_S11_S12_S13_S17_S18_S19_S1C_S1D_jS1E_jS1F_S1F_jjS1H_bEUljE0_EEES10_S11_S12_S19_S1D_S1F_T6_T7_T9_mT8_S1H_bDpT10_ENKUlT_T0_E_clISt17integral_constantIbLb0EES1U_IbLb1EEEEDaS1Q_S1R_EUlS1Q_E_NS1_11comp_targetILNS1_3genE9ELNS1_11target_archE1100ELNS1_3gpuE3ELNS1_3repE0EEENS1_30default_config_static_selectorELNS0_4arch9wavefront6targetE0EEEvS13_.has_dyn_sized_stack, 0
	.set _ZN7rocprim17ROCPRIM_400000_NS6detail17trampoline_kernelINS0_13select_configILj256ELj13ELNS0_17block_load_methodE3ELS4_3ELS4_3ELNS0_20block_scan_algorithmE0ELj4294967295EEENS1_25partition_config_selectorILNS1_17partition_subalgoE4EjNS0_10empty_typeEbEEZZNS1_14partition_implILS8_4ELb0ES6_15HIP_vector_typeIjLj2EENS0_17counting_iteratorIjlEEPS9_SG_NS0_5tupleIJPjSI_NS0_16reverse_iteratorISI_EEEEENSH_IJSG_SG_SG_EEES9_SI_JZNS1_25segmented_radix_sort_implINS0_14default_configELb0EPK6__halfPSP_PKlPlN2at6native12_GLOBAL__N_18offset_tEEE10hipError_tPvRmT1_PNSt15iterator_traitsIS13_E10value_typeET2_T3_PNS14_IS19_E10value_typeET4_jRbjT5_S1F_jjP12ihipStream_tbEUljE_ZNSN_ISO_Lb0ESR_SS_SU_SV_SZ_EES10_S11_S12_S13_S17_S18_S19_S1C_S1D_jS1E_jS1F_S1F_jjS1H_bEUljE0_EEES10_S11_S12_S19_S1D_S1F_T6_T7_T9_mT8_S1H_bDpT10_ENKUlT_T0_E_clISt17integral_constantIbLb0EES1U_IbLb1EEEEDaS1Q_S1R_EUlS1Q_E_NS1_11comp_targetILNS1_3genE9ELNS1_11target_archE1100ELNS1_3gpuE3ELNS1_3repE0EEENS1_30default_config_static_selectorELNS0_4arch9wavefront6targetE0EEEvS13_.has_recursion, 0
	.set _ZN7rocprim17ROCPRIM_400000_NS6detail17trampoline_kernelINS0_13select_configILj256ELj13ELNS0_17block_load_methodE3ELS4_3ELS4_3ELNS0_20block_scan_algorithmE0ELj4294967295EEENS1_25partition_config_selectorILNS1_17partition_subalgoE4EjNS0_10empty_typeEbEEZZNS1_14partition_implILS8_4ELb0ES6_15HIP_vector_typeIjLj2EENS0_17counting_iteratorIjlEEPS9_SG_NS0_5tupleIJPjSI_NS0_16reverse_iteratorISI_EEEEENSH_IJSG_SG_SG_EEES9_SI_JZNS1_25segmented_radix_sort_implINS0_14default_configELb0EPK6__halfPSP_PKlPlN2at6native12_GLOBAL__N_18offset_tEEE10hipError_tPvRmT1_PNSt15iterator_traitsIS13_E10value_typeET2_T3_PNS14_IS19_E10value_typeET4_jRbjT5_S1F_jjP12ihipStream_tbEUljE_ZNSN_ISO_Lb0ESR_SS_SU_SV_SZ_EES10_S11_S12_S13_S17_S18_S19_S1C_S1D_jS1E_jS1F_S1F_jjS1H_bEUljE0_EEES10_S11_S12_S19_S1D_S1F_T6_T7_T9_mT8_S1H_bDpT10_ENKUlT_T0_E_clISt17integral_constantIbLb0EES1U_IbLb1EEEEDaS1Q_S1R_EUlS1Q_E_NS1_11comp_targetILNS1_3genE9ELNS1_11target_archE1100ELNS1_3gpuE3ELNS1_3repE0EEENS1_30default_config_static_selectorELNS0_4arch9wavefront6targetE0EEEvS13_.has_indirect_call, 0
	.section	.AMDGPU.csdata,"",@progbits
; Kernel info:
; codeLenInByte = 0
; TotalNumSgprs: 0
; NumVgprs: 0
; ScratchSize: 0
; MemoryBound: 0
; FloatMode: 240
; IeeeMode: 1
; LDSByteSize: 0 bytes/workgroup (compile time only)
; SGPRBlocks: 0
; VGPRBlocks: 0
; NumSGPRsForWavesPerEU: 1
; NumVGPRsForWavesPerEU: 1
; Occupancy: 16
; WaveLimiterHint : 0
; COMPUTE_PGM_RSRC2:SCRATCH_EN: 0
; COMPUTE_PGM_RSRC2:USER_SGPR: 2
; COMPUTE_PGM_RSRC2:TRAP_HANDLER: 0
; COMPUTE_PGM_RSRC2:TGID_X_EN: 1
; COMPUTE_PGM_RSRC2:TGID_Y_EN: 0
; COMPUTE_PGM_RSRC2:TGID_Z_EN: 0
; COMPUTE_PGM_RSRC2:TIDIG_COMP_CNT: 0
	.section	.text._ZN7rocprim17ROCPRIM_400000_NS6detail17trampoline_kernelINS0_13select_configILj256ELj13ELNS0_17block_load_methodE3ELS4_3ELS4_3ELNS0_20block_scan_algorithmE0ELj4294967295EEENS1_25partition_config_selectorILNS1_17partition_subalgoE4EjNS0_10empty_typeEbEEZZNS1_14partition_implILS8_4ELb0ES6_15HIP_vector_typeIjLj2EENS0_17counting_iteratorIjlEEPS9_SG_NS0_5tupleIJPjSI_NS0_16reverse_iteratorISI_EEEEENSH_IJSG_SG_SG_EEES9_SI_JZNS1_25segmented_radix_sort_implINS0_14default_configELb0EPK6__halfPSP_PKlPlN2at6native12_GLOBAL__N_18offset_tEEE10hipError_tPvRmT1_PNSt15iterator_traitsIS13_E10value_typeET2_T3_PNS14_IS19_E10value_typeET4_jRbjT5_S1F_jjP12ihipStream_tbEUljE_ZNSN_ISO_Lb0ESR_SS_SU_SV_SZ_EES10_S11_S12_S13_S17_S18_S19_S1C_S1D_jS1E_jS1F_S1F_jjS1H_bEUljE0_EEES10_S11_S12_S19_S1D_S1F_T6_T7_T9_mT8_S1H_bDpT10_ENKUlT_T0_E_clISt17integral_constantIbLb0EES1U_IbLb1EEEEDaS1Q_S1R_EUlS1Q_E_NS1_11comp_targetILNS1_3genE8ELNS1_11target_archE1030ELNS1_3gpuE2ELNS1_3repE0EEENS1_30default_config_static_selectorELNS0_4arch9wavefront6targetE0EEEvS13_,"axG",@progbits,_ZN7rocprim17ROCPRIM_400000_NS6detail17trampoline_kernelINS0_13select_configILj256ELj13ELNS0_17block_load_methodE3ELS4_3ELS4_3ELNS0_20block_scan_algorithmE0ELj4294967295EEENS1_25partition_config_selectorILNS1_17partition_subalgoE4EjNS0_10empty_typeEbEEZZNS1_14partition_implILS8_4ELb0ES6_15HIP_vector_typeIjLj2EENS0_17counting_iteratorIjlEEPS9_SG_NS0_5tupleIJPjSI_NS0_16reverse_iteratorISI_EEEEENSH_IJSG_SG_SG_EEES9_SI_JZNS1_25segmented_radix_sort_implINS0_14default_configELb0EPK6__halfPSP_PKlPlN2at6native12_GLOBAL__N_18offset_tEEE10hipError_tPvRmT1_PNSt15iterator_traitsIS13_E10value_typeET2_T3_PNS14_IS19_E10value_typeET4_jRbjT5_S1F_jjP12ihipStream_tbEUljE_ZNSN_ISO_Lb0ESR_SS_SU_SV_SZ_EES10_S11_S12_S13_S17_S18_S19_S1C_S1D_jS1E_jS1F_S1F_jjS1H_bEUljE0_EEES10_S11_S12_S19_S1D_S1F_T6_T7_T9_mT8_S1H_bDpT10_ENKUlT_T0_E_clISt17integral_constantIbLb0EES1U_IbLb1EEEEDaS1Q_S1R_EUlS1Q_E_NS1_11comp_targetILNS1_3genE8ELNS1_11target_archE1030ELNS1_3gpuE2ELNS1_3repE0EEENS1_30default_config_static_selectorELNS0_4arch9wavefront6targetE0EEEvS13_,comdat
	.globl	_ZN7rocprim17ROCPRIM_400000_NS6detail17trampoline_kernelINS0_13select_configILj256ELj13ELNS0_17block_load_methodE3ELS4_3ELS4_3ELNS0_20block_scan_algorithmE0ELj4294967295EEENS1_25partition_config_selectorILNS1_17partition_subalgoE4EjNS0_10empty_typeEbEEZZNS1_14partition_implILS8_4ELb0ES6_15HIP_vector_typeIjLj2EENS0_17counting_iteratorIjlEEPS9_SG_NS0_5tupleIJPjSI_NS0_16reverse_iteratorISI_EEEEENSH_IJSG_SG_SG_EEES9_SI_JZNS1_25segmented_radix_sort_implINS0_14default_configELb0EPK6__halfPSP_PKlPlN2at6native12_GLOBAL__N_18offset_tEEE10hipError_tPvRmT1_PNSt15iterator_traitsIS13_E10value_typeET2_T3_PNS14_IS19_E10value_typeET4_jRbjT5_S1F_jjP12ihipStream_tbEUljE_ZNSN_ISO_Lb0ESR_SS_SU_SV_SZ_EES10_S11_S12_S13_S17_S18_S19_S1C_S1D_jS1E_jS1F_S1F_jjS1H_bEUljE0_EEES10_S11_S12_S19_S1D_S1F_T6_T7_T9_mT8_S1H_bDpT10_ENKUlT_T0_E_clISt17integral_constantIbLb0EES1U_IbLb1EEEEDaS1Q_S1R_EUlS1Q_E_NS1_11comp_targetILNS1_3genE8ELNS1_11target_archE1030ELNS1_3gpuE2ELNS1_3repE0EEENS1_30default_config_static_selectorELNS0_4arch9wavefront6targetE0EEEvS13_ ; -- Begin function _ZN7rocprim17ROCPRIM_400000_NS6detail17trampoline_kernelINS0_13select_configILj256ELj13ELNS0_17block_load_methodE3ELS4_3ELS4_3ELNS0_20block_scan_algorithmE0ELj4294967295EEENS1_25partition_config_selectorILNS1_17partition_subalgoE4EjNS0_10empty_typeEbEEZZNS1_14partition_implILS8_4ELb0ES6_15HIP_vector_typeIjLj2EENS0_17counting_iteratorIjlEEPS9_SG_NS0_5tupleIJPjSI_NS0_16reverse_iteratorISI_EEEEENSH_IJSG_SG_SG_EEES9_SI_JZNS1_25segmented_radix_sort_implINS0_14default_configELb0EPK6__halfPSP_PKlPlN2at6native12_GLOBAL__N_18offset_tEEE10hipError_tPvRmT1_PNSt15iterator_traitsIS13_E10value_typeET2_T3_PNS14_IS19_E10value_typeET4_jRbjT5_S1F_jjP12ihipStream_tbEUljE_ZNSN_ISO_Lb0ESR_SS_SU_SV_SZ_EES10_S11_S12_S13_S17_S18_S19_S1C_S1D_jS1E_jS1F_S1F_jjS1H_bEUljE0_EEES10_S11_S12_S19_S1D_S1F_T6_T7_T9_mT8_S1H_bDpT10_ENKUlT_T0_E_clISt17integral_constantIbLb0EES1U_IbLb1EEEEDaS1Q_S1R_EUlS1Q_E_NS1_11comp_targetILNS1_3genE8ELNS1_11target_archE1030ELNS1_3gpuE2ELNS1_3repE0EEENS1_30default_config_static_selectorELNS0_4arch9wavefront6targetE0EEEvS13_
	.p2align	8
	.type	_ZN7rocprim17ROCPRIM_400000_NS6detail17trampoline_kernelINS0_13select_configILj256ELj13ELNS0_17block_load_methodE3ELS4_3ELS4_3ELNS0_20block_scan_algorithmE0ELj4294967295EEENS1_25partition_config_selectorILNS1_17partition_subalgoE4EjNS0_10empty_typeEbEEZZNS1_14partition_implILS8_4ELb0ES6_15HIP_vector_typeIjLj2EENS0_17counting_iteratorIjlEEPS9_SG_NS0_5tupleIJPjSI_NS0_16reverse_iteratorISI_EEEEENSH_IJSG_SG_SG_EEES9_SI_JZNS1_25segmented_radix_sort_implINS0_14default_configELb0EPK6__halfPSP_PKlPlN2at6native12_GLOBAL__N_18offset_tEEE10hipError_tPvRmT1_PNSt15iterator_traitsIS13_E10value_typeET2_T3_PNS14_IS19_E10value_typeET4_jRbjT5_S1F_jjP12ihipStream_tbEUljE_ZNSN_ISO_Lb0ESR_SS_SU_SV_SZ_EES10_S11_S12_S13_S17_S18_S19_S1C_S1D_jS1E_jS1F_S1F_jjS1H_bEUljE0_EEES10_S11_S12_S19_S1D_S1F_T6_T7_T9_mT8_S1H_bDpT10_ENKUlT_T0_E_clISt17integral_constantIbLb0EES1U_IbLb1EEEEDaS1Q_S1R_EUlS1Q_E_NS1_11comp_targetILNS1_3genE8ELNS1_11target_archE1030ELNS1_3gpuE2ELNS1_3repE0EEENS1_30default_config_static_selectorELNS0_4arch9wavefront6targetE0EEEvS13_,@function
_ZN7rocprim17ROCPRIM_400000_NS6detail17trampoline_kernelINS0_13select_configILj256ELj13ELNS0_17block_load_methodE3ELS4_3ELS4_3ELNS0_20block_scan_algorithmE0ELj4294967295EEENS1_25partition_config_selectorILNS1_17partition_subalgoE4EjNS0_10empty_typeEbEEZZNS1_14partition_implILS8_4ELb0ES6_15HIP_vector_typeIjLj2EENS0_17counting_iteratorIjlEEPS9_SG_NS0_5tupleIJPjSI_NS0_16reverse_iteratorISI_EEEEENSH_IJSG_SG_SG_EEES9_SI_JZNS1_25segmented_radix_sort_implINS0_14default_configELb0EPK6__halfPSP_PKlPlN2at6native12_GLOBAL__N_18offset_tEEE10hipError_tPvRmT1_PNSt15iterator_traitsIS13_E10value_typeET2_T3_PNS14_IS19_E10value_typeET4_jRbjT5_S1F_jjP12ihipStream_tbEUljE_ZNSN_ISO_Lb0ESR_SS_SU_SV_SZ_EES10_S11_S12_S13_S17_S18_S19_S1C_S1D_jS1E_jS1F_S1F_jjS1H_bEUljE0_EEES10_S11_S12_S19_S1D_S1F_T6_T7_T9_mT8_S1H_bDpT10_ENKUlT_T0_E_clISt17integral_constantIbLb0EES1U_IbLb1EEEEDaS1Q_S1R_EUlS1Q_E_NS1_11comp_targetILNS1_3genE8ELNS1_11target_archE1030ELNS1_3gpuE2ELNS1_3repE0EEENS1_30default_config_static_selectorELNS0_4arch9wavefront6targetE0EEEvS13_: ; @_ZN7rocprim17ROCPRIM_400000_NS6detail17trampoline_kernelINS0_13select_configILj256ELj13ELNS0_17block_load_methodE3ELS4_3ELS4_3ELNS0_20block_scan_algorithmE0ELj4294967295EEENS1_25partition_config_selectorILNS1_17partition_subalgoE4EjNS0_10empty_typeEbEEZZNS1_14partition_implILS8_4ELb0ES6_15HIP_vector_typeIjLj2EENS0_17counting_iteratorIjlEEPS9_SG_NS0_5tupleIJPjSI_NS0_16reverse_iteratorISI_EEEEENSH_IJSG_SG_SG_EEES9_SI_JZNS1_25segmented_radix_sort_implINS0_14default_configELb0EPK6__halfPSP_PKlPlN2at6native12_GLOBAL__N_18offset_tEEE10hipError_tPvRmT1_PNSt15iterator_traitsIS13_E10value_typeET2_T3_PNS14_IS19_E10value_typeET4_jRbjT5_S1F_jjP12ihipStream_tbEUljE_ZNSN_ISO_Lb0ESR_SS_SU_SV_SZ_EES10_S11_S12_S13_S17_S18_S19_S1C_S1D_jS1E_jS1F_S1F_jjS1H_bEUljE0_EEES10_S11_S12_S19_S1D_S1F_T6_T7_T9_mT8_S1H_bDpT10_ENKUlT_T0_E_clISt17integral_constantIbLb0EES1U_IbLb1EEEEDaS1Q_S1R_EUlS1Q_E_NS1_11comp_targetILNS1_3genE8ELNS1_11target_archE1030ELNS1_3gpuE2ELNS1_3repE0EEENS1_30default_config_static_selectorELNS0_4arch9wavefront6targetE0EEEvS13_
; %bb.0:
	.section	.rodata,"a",@progbits
	.p2align	6, 0x0
	.amdhsa_kernel _ZN7rocprim17ROCPRIM_400000_NS6detail17trampoline_kernelINS0_13select_configILj256ELj13ELNS0_17block_load_methodE3ELS4_3ELS4_3ELNS0_20block_scan_algorithmE0ELj4294967295EEENS1_25partition_config_selectorILNS1_17partition_subalgoE4EjNS0_10empty_typeEbEEZZNS1_14partition_implILS8_4ELb0ES6_15HIP_vector_typeIjLj2EENS0_17counting_iteratorIjlEEPS9_SG_NS0_5tupleIJPjSI_NS0_16reverse_iteratorISI_EEEEENSH_IJSG_SG_SG_EEES9_SI_JZNS1_25segmented_radix_sort_implINS0_14default_configELb0EPK6__halfPSP_PKlPlN2at6native12_GLOBAL__N_18offset_tEEE10hipError_tPvRmT1_PNSt15iterator_traitsIS13_E10value_typeET2_T3_PNS14_IS19_E10value_typeET4_jRbjT5_S1F_jjP12ihipStream_tbEUljE_ZNSN_ISO_Lb0ESR_SS_SU_SV_SZ_EES10_S11_S12_S13_S17_S18_S19_S1C_S1D_jS1E_jS1F_S1F_jjS1H_bEUljE0_EEES10_S11_S12_S19_S1D_S1F_T6_T7_T9_mT8_S1H_bDpT10_ENKUlT_T0_E_clISt17integral_constantIbLb0EES1U_IbLb1EEEEDaS1Q_S1R_EUlS1Q_E_NS1_11comp_targetILNS1_3genE8ELNS1_11target_archE1030ELNS1_3gpuE2ELNS1_3repE0EEENS1_30default_config_static_selectorELNS0_4arch9wavefront6targetE0EEEvS13_
		.amdhsa_group_segment_fixed_size 0
		.amdhsa_private_segment_fixed_size 0
		.amdhsa_kernarg_size 184
		.amdhsa_user_sgpr_count 2
		.amdhsa_user_sgpr_dispatch_ptr 0
		.amdhsa_user_sgpr_queue_ptr 0
		.amdhsa_user_sgpr_kernarg_segment_ptr 1
		.amdhsa_user_sgpr_dispatch_id 0
		.amdhsa_user_sgpr_private_segment_size 0
		.amdhsa_wavefront_size32 1
		.amdhsa_uses_dynamic_stack 0
		.amdhsa_enable_private_segment 0
		.amdhsa_system_sgpr_workgroup_id_x 1
		.amdhsa_system_sgpr_workgroup_id_y 0
		.amdhsa_system_sgpr_workgroup_id_z 0
		.amdhsa_system_sgpr_workgroup_info 0
		.amdhsa_system_vgpr_workitem_id 0
		.amdhsa_next_free_vgpr 1
		.amdhsa_next_free_sgpr 1
		.amdhsa_reserve_vcc 0
		.amdhsa_float_round_mode_32 0
		.amdhsa_float_round_mode_16_64 0
		.amdhsa_float_denorm_mode_32 3
		.amdhsa_float_denorm_mode_16_64 3
		.amdhsa_fp16_overflow 0
		.amdhsa_workgroup_processor_mode 1
		.amdhsa_memory_ordered 1
		.amdhsa_forward_progress 1
		.amdhsa_inst_pref_size 0
		.amdhsa_round_robin_scheduling 0
		.amdhsa_exception_fp_ieee_invalid_op 0
		.amdhsa_exception_fp_denorm_src 0
		.amdhsa_exception_fp_ieee_div_zero 0
		.amdhsa_exception_fp_ieee_overflow 0
		.amdhsa_exception_fp_ieee_underflow 0
		.amdhsa_exception_fp_ieee_inexact 0
		.amdhsa_exception_int_div_zero 0
	.end_amdhsa_kernel
	.section	.text._ZN7rocprim17ROCPRIM_400000_NS6detail17trampoline_kernelINS0_13select_configILj256ELj13ELNS0_17block_load_methodE3ELS4_3ELS4_3ELNS0_20block_scan_algorithmE0ELj4294967295EEENS1_25partition_config_selectorILNS1_17partition_subalgoE4EjNS0_10empty_typeEbEEZZNS1_14partition_implILS8_4ELb0ES6_15HIP_vector_typeIjLj2EENS0_17counting_iteratorIjlEEPS9_SG_NS0_5tupleIJPjSI_NS0_16reverse_iteratorISI_EEEEENSH_IJSG_SG_SG_EEES9_SI_JZNS1_25segmented_radix_sort_implINS0_14default_configELb0EPK6__halfPSP_PKlPlN2at6native12_GLOBAL__N_18offset_tEEE10hipError_tPvRmT1_PNSt15iterator_traitsIS13_E10value_typeET2_T3_PNS14_IS19_E10value_typeET4_jRbjT5_S1F_jjP12ihipStream_tbEUljE_ZNSN_ISO_Lb0ESR_SS_SU_SV_SZ_EES10_S11_S12_S13_S17_S18_S19_S1C_S1D_jS1E_jS1F_S1F_jjS1H_bEUljE0_EEES10_S11_S12_S19_S1D_S1F_T6_T7_T9_mT8_S1H_bDpT10_ENKUlT_T0_E_clISt17integral_constantIbLb0EES1U_IbLb1EEEEDaS1Q_S1R_EUlS1Q_E_NS1_11comp_targetILNS1_3genE8ELNS1_11target_archE1030ELNS1_3gpuE2ELNS1_3repE0EEENS1_30default_config_static_selectorELNS0_4arch9wavefront6targetE0EEEvS13_,"axG",@progbits,_ZN7rocprim17ROCPRIM_400000_NS6detail17trampoline_kernelINS0_13select_configILj256ELj13ELNS0_17block_load_methodE3ELS4_3ELS4_3ELNS0_20block_scan_algorithmE0ELj4294967295EEENS1_25partition_config_selectorILNS1_17partition_subalgoE4EjNS0_10empty_typeEbEEZZNS1_14partition_implILS8_4ELb0ES6_15HIP_vector_typeIjLj2EENS0_17counting_iteratorIjlEEPS9_SG_NS0_5tupleIJPjSI_NS0_16reverse_iteratorISI_EEEEENSH_IJSG_SG_SG_EEES9_SI_JZNS1_25segmented_radix_sort_implINS0_14default_configELb0EPK6__halfPSP_PKlPlN2at6native12_GLOBAL__N_18offset_tEEE10hipError_tPvRmT1_PNSt15iterator_traitsIS13_E10value_typeET2_T3_PNS14_IS19_E10value_typeET4_jRbjT5_S1F_jjP12ihipStream_tbEUljE_ZNSN_ISO_Lb0ESR_SS_SU_SV_SZ_EES10_S11_S12_S13_S17_S18_S19_S1C_S1D_jS1E_jS1F_S1F_jjS1H_bEUljE0_EEES10_S11_S12_S19_S1D_S1F_T6_T7_T9_mT8_S1H_bDpT10_ENKUlT_T0_E_clISt17integral_constantIbLb0EES1U_IbLb1EEEEDaS1Q_S1R_EUlS1Q_E_NS1_11comp_targetILNS1_3genE8ELNS1_11target_archE1030ELNS1_3gpuE2ELNS1_3repE0EEENS1_30default_config_static_selectorELNS0_4arch9wavefront6targetE0EEEvS13_,comdat
.Lfunc_end1809:
	.size	_ZN7rocprim17ROCPRIM_400000_NS6detail17trampoline_kernelINS0_13select_configILj256ELj13ELNS0_17block_load_methodE3ELS4_3ELS4_3ELNS0_20block_scan_algorithmE0ELj4294967295EEENS1_25partition_config_selectorILNS1_17partition_subalgoE4EjNS0_10empty_typeEbEEZZNS1_14partition_implILS8_4ELb0ES6_15HIP_vector_typeIjLj2EENS0_17counting_iteratorIjlEEPS9_SG_NS0_5tupleIJPjSI_NS0_16reverse_iteratorISI_EEEEENSH_IJSG_SG_SG_EEES9_SI_JZNS1_25segmented_radix_sort_implINS0_14default_configELb0EPK6__halfPSP_PKlPlN2at6native12_GLOBAL__N_18offset_tEEE10hipError_tPvRmT1_PNSt15iterator_traitsIS13_E10value_typeET2_T3_PNS14_IS19_E10value_typeET4_jRbjT5_S1F_jjP12ihipStream_tbEUljE_ZNSN_ISO_Lb0ESR_SS_SU_SV_SZ_EES10_S11_S12_S13_S17_S18_S19_S1C_S1D_jS1E_jS1F_S1F_jjS1H_bEUljE0_EEES10_S11_S12_S19_S1D_S1F_T6_T7_T9_mT8_S1H_bDpT10_ENKUlT_T0_E_clISt17integral_constantIbLb0EES1U_IbLb1EEEEDaS1Q_S1R_EUlS1Q_E_NS1_11comp_targetILNS1_3genE8ELNS1_11target_archE1030ELNS1_3gpuE2ELNS1_3repE0EEENS1_30default_config_static_selectorELNS0_4arch9wavefront6targetE0EEEvS13_, .Lfunc_end1809-_ZN7rocprim17ROCPRIM_400000_NS6detail17trampoline_kernelINS0_13select_configILj256ELj13ELNS0_17block_load_methodE3ELS4_3ELS4_3ELNS0_20block_scan_algorithmE0ELj4294967295EEENS1_25partition_config_selectorILNS1_17partition_subalgoE4EjNS0_10empty_typeEbEEZZNS1_14partition_implILS8_4ELb0ES6_15HIP_vector_typeIjLj2EENS0_17counting_iteratorIjlEEPS9_SG_NS0_5tupleIJPjSI_NS0_16reverse_iteratorISI_EEEEENSH_IJSG_SG_SG_EEES9_SI_JZNS1_25segmented_radix_sort_implINS0_14default_configELb0EPK6__halfPSP_PKlPlN2at6native12_GLOBAL__N_18offset_tEEE10hipError_tPvRmT1_PNSt15iterator_traitsIS13_E10value_typeET2_T3_PNS14_IS19_E10value_typeET4_jRbjT5_S1F_jjP12ihipStream_tbEUljE_ZNSN_ISO_Lb0ESR_SS_SU_SV_SZ_EES10_S11_S12_S13_S17_S18_S19_S1C_S1D_jS1E_jS1F_S1F_jjS1H_bEUljE0_EEES10_S11_S12_S19_S1D_S1F_T6_T7_T9_mT8_S1H_bDpT10_ENKUlT_T0_E_clISt17integral_constantIbLb0EES1U_IbLb1EEEEDaS1Q_S1R_EUlS1Q_E_NS1_11comp_targetILNS1_3genE8ELNS1_11target_archE1030ELNS1_3gpuE2ELNS1_3repE0EEENS1_30default_config_static_selectorELNS0_4arch9wavefront6targetE0EEEvS13_
                                        ; -- End function
	.set _ZN7rocprim17ROCPRIM_400000_NS6detail17trampoline_kernelINS0_13select_configILj256ELj13ELNS0_17block_load_methodE3ELS4_3ELS4_3ELNS0_20block_scan_algorithmE0ELj4294967295EEENS1_25partition_config_selectorILNS1_17partition_subalgoE4EjNS0_10empty_typeEbEEZZNS1_14partition_implILS8_4ELb0ES6_15HIP_vector_typeIjLj2EENS0_17counting_iteratorIjlEEPS9_SG_NS0_5tupleIJPjSI_NS0_16reverse_iteratorISI_EEEEENSH_IJSG_SG_SG_EEES9_SI_JZNS1_25segmented_radix_sort_implINS0_14default_configELb0EPK6__halfPSP_PKlPlN2at6native12_GLOBAL__N_18offset_tEEE10hipError_tPvRmT1_PNSt15iterator_traitsIS13_E10value_typeET2_T3_PNS14_IS19_E10value_typeET4_jRbjT5_S1F_jjP12ihipStream_tbEUljE_ZNSN_ISO_Lb0ESR_SS_SU_SV_SZ_EES10_S11_S12_S13_S17_S18_S19_S1C_S1D_jS1E_jS1F_S1F_jjS1H_bEUljE0_EEES10_S11_S12_S19_S1D_S1F_T6_T7_T9_mT8_S1H_bDpT10_ENKUlT_T0_E_clISt17integral_constantIbLb0EES1U_IbLb1EEEEDaS1Q_S1R_EUlS1Q_E_NS1_11comp_targetILNS1_3genE8ELNS1_11target_archE1030ELNS1_3gpuE2ELNS1_3repE0EEENS1_30default_config_static_selectorELNS0_4arch9wavefront6targetE0EEEvS13_.num_vgpr, 0
	.set _ZN7rocprim17ROCPRIM_400000_NS6detail17trampoline_kernelINS0_13select_configILj256ELj13ELNS0_17block_load_methodE3ELS4_3ELS4_3ELNS0_20block_scan_algorithmE0ELj4294967295EEENS1_25partition_config_selectorILNS1_17partition_subalgoE4EjNS0_10empty_typeEbEEZZNS1_14partition_implILS8_4ELb0ES6_15HIP_vector_typeIjLj2EENS0_17counting_iteratorIjlEEPS9_SG_NS0_5tupleIJPjSI_NS0_16reverse_iteratorISI_EEEEENSH_IJSG_SG_SG_EEES9_SI_JZNS1_25segmented_radix_sort_implINS0_14default_configELb0EPK6__halfPSP_PKlPlN2at6native12_GLOBAL__N_18offset_tEEE10hipError_tPvRmT1_PNSt15iterator_traitsIS13_E10value_typeET2_T3_PNS14_IS19_E10value_typeET4_jRbjT5_S1F_jjP12ihipStream_tbEUljE_ZNSN_ISO_Lb0ESR_SS_SU_SV_SZ_EES10_S11_S12_S13_S17_S18_S19_S1C_S1D_jS1E_jS1F_S1F_jjS1H_bEUljE0_EEES10_S11_S12_S19_S1D_S1F_T6_T7_T9_mT8_S1H_bDpT10_ENKUlT_T0_E_clISt17integral_constantIbLb0EES1U_IbLb1EEEEDaS1Q_S1R_EUlS1Q_E_NS1_11comp_targetILNS1_3genE8ELNS1_11target_archE1030ELNS1_3gpuE2ELNS1_3repE0EEENS1_30default_config_static_selectorELNS0_4arch9wavefront6targetE0EEEvS13_.num_agpr, 0
	.set _ZN7rocprim17ROCPRIM_400000_NS6detail17trampoline_kernelINS0_13select_configILj256ELj13ELNS0_17block_load_methodE3ELS4_3ELS4_3ELNS0_20block_scan_algorithmE0ELj4294967295EEENS1_25partition_config_selectorILNS1_17partition_subalgoE4EjNS0_10empty_typeEbEEZZNS1_14partition_implILS8_4ELb0ES6_15HIP_vector_typeIjLj2EENS0_17counting_iteratorIjlEEPS9_SG_NS0_5tupleIJPjSI_NS0_16reverse_iteratorISI_EEEEENSH_IJSG_SG_SG_EEES9_SI_JZNS1_25segmented_radix_sort_implINS0_14default_configELb0EPK6__halfPSP_PKlPlN2at6native12_GLOBAL__N_18offset_tEEE10hipError_tPvRmT1_PNSt15iterator_traitsIS13_E10value_typeET2_T3_PNS14_IS19_E10value_typeET4_jRbjT5_S1F_jjP12ihipStream_tbEUljE_ZNSN_ISO_Lb0ESR_SS_SU_SV_SZ_EES10_S11_S12_S13_S17_S18_S19_S1C_S1D_jS1E_jS1F_S1F_jjS1H_bEUljE0_EEES10_S11_S12_S19_S1D_S1F_T6_T7_T9_mT8_S1H_bDpT10_ENKUlT_T0_E_clISt17integral_constantIbLb0EES1U_IbLb1EEEEDaS1Q_S1R_EUlS1Q_E_NS1_11comp_targetILNS1_3genE8ELNS1_11target_archE1030ELNS1_3gpuE2ELNS1_3repE0EEENS1_30default_config_static_selectorELNS0_4arch9wavefront6targetE0EEEvS13_.numbered_sgpr, 0
	.set _ZN7rocprim17ROCPRIM_400000_NS6detail17trampoline_kernelINS0_13select_configILj256ELj13ELNS0_17block_load_methodE3ELS4_3ELS4_3ELNS0_20block_scan_algorithmE0ELj4294967295EEENS1_25partition_config_selectorILNS1_17partition_subalgoE4EjNS0_10empty_typeEbEEZZNS1_14partition_implILS8_4ELb0ES6_15HIP_vector_typeIjLj2EENS0_17counting_iteratorIjlEEPS9_SG_NS0_5tupleIJPjSI_NS0_16reverse_iteratorISI_EEEEENSH_IJSG_SG_SG_EEES9_SI_JZNS1_25segmented_radix_sort_implINS0_14default_configELb0EPK6__halfPSP_PKlPlN2at6native12_GLOBAL__N_18offset_tEEE10hipError_tPvRmT1_PNSt15iterator_traitsIS13_E10value_typeET2_T3_PNS14_IS19_E10value_typeET4_jRbjT5_S1F_jjP12ihipStream_tbEUljE_ZNSN_ISO_Lb0ESR_SS_SU_SV_SZ_EES10_S11_S12_S13_S17_S18_S19_S1C_S1D_jS1E_jS1F_S1F_jjS1H_bEUljE0_EEES10_S11_S12_S19_S1D_S1F_T6_T7_T9_mT8_S1H_bDpT10_ENKUlT_T0_E_clISt17integral_constantIbLb0EES1U_IbLb1EEEEDaS1Q_S1R_EUlS1Q_E_NS1_11comp_targetILNS1_3genE8ELNS1_11target_archE1030ELNS1_3gpuE2ELNS1_3repE0EEENS1_30default_config_static_selectorELNS0_4arch9wavefront6targetE0EEEvS13_.num_named_barrier, 0
	.set _ZN7rocprim17ROCPRIM_400000_NS6detail17trampoline_kernelINS0_13select_configILj256ELj13ELNS0_17block_load_methodE3ELS4_3ELS4_3ELNS0_20block_scan_algorithmE0ELj4294967295EEENS1_25partition_config_selectorILNS1_17partition_subalgoE4EjNS0_10empty_typeEbEEZZNS1_14partition_implILS8_4ELb0ES6_15HIP_vector_typeIjLj2EENS0_17counting_iteratorIjlEEPS9_SG_NS0_5tupleIJPjSI_NS0_16reverse_iteratorISI_EEEEENSH_IJSG_SG_SG_EEES9_SI_JZNS1_25segmented_radix_sort_implINS0_14default_configELb0EPK6__halfPSP_PKlPlN2at6native12_GLOBAL__N_18offset_tEEE10hipError_tPvRmT1_PNSt15iterator_traitsIS13_E10value_typeET2_T3_PNS14_IS19_E10value_typeET4_jRbjT5_S1F_jjP12ihipStream_tbEUljE_ZNSN_ISO_Lb0ESR_SS_SU_SV_SZ_EES10_S11_S12_S13_S17_S18_S19_S1C_S1D_jS1E_jS1F_S1F_jjS1H_bEUljE0_EEES10_S11_S12_S19_S1D_S1F_T6_T7_T9_mT8_S1H_bDpT10_ENKUlT_T0_E_clISt17integral_constantIbLb0EES1U_IbLb1EEEEDaS1Q_S1R_EUlS1Q_E_NS1_11comp_targetILNS1_3genE8ELNS1_11target_archE1030ELNS1_3gpuE2ELNS1_3repE0EEENS1_30default_config_static_selectorELNS0_4arch9wavefront6targetE0EEEvS13_.private_seg_size, 0
	.set _ZN7rocprim17ROCPRIM_400000_NS6detail17trampoline_kernelINS0_13select_configILj256ELj13ELNS0_17block_load_methodE3ELS4_3ELS4_3ELNS0_20block_scan_algorithmE0ELj4294967295EEENS1_25partition_config_selectorILNS1_17partition_subalgoE4EjNS0_10empty_typeEbEEZZNS1_14partition_implILS8_4ELb0ES6_15HIP_vector_typeIjLj2EENS0_17counting_iteratorIjlEEPS9_SG_NS0_5tupleIJPjSI_NS0_16reverse_iteratorISI_EEEEENSH_IJSG_SG_SG_EEES9_SI_JZNS1_25segmented_radix_sort_implINS0_14default_configELb0EPK6__halfPSP_PKlPlN2at6native12_GLOBAL__N_18offset_tEEE10hipError_tPvRmT1_PNSt15iterator_traitsIS13_E10value_typeET2_T3_PNS14_IS19_E10value_typeET4_jRbjT5_S1F_jjP12ihipStream_tbEUljE_ZNSN_ISO_Lb0ESR_SS_SU_SV_SZ_EES10_S11_S12_S13_S17_S18_S19_S1C_S1D_jS1E_jS1F_S1F_jjS1H_bEUljE0_EEES10_S11_S12_S19_S1D_S1F_T6_T7_T9_mT8_S1H_bDpT10_ENKUlT_T0_E_clISt17integral_constantIbLb0EES1U_IbLb1EEEEDaS1Q_S1R_EUlS1Q_E_NS1_11comp_targetILNS1_3genE8ELNS1_11target_archE1030ELNS1_3gpuE2ELNS1_3repE0EEENS1_30default_config_static_selectorELNS0_4arch9wavefront6targetE0EEEvS13_.uses_vcc, 0
	.set _ZN7rocprim17ROCPRIM_400000_NS6detail17trampoline_kernelINS0_13select_configILj256ELj13ELNS0_17block_load_methodE3ELS4_3ELS4_3ELNS0_20block_scan_algorithmE0ELj4294967295EEENS1_25partition_config_selectorILNS1_17partition_subalgoE4EjNS0_10empty_typeEbEEZZNS1_14partition_implILS8_4ELb0ES6_15HIP_vector_typeIjLj2EENS0_17counting_iteratorIjlEEPS9_SG_NS0_5tupleIJPjSI_NS0_16reverse_iteratorISI_EEEEENSH_IJSG_SG_SG_EEES9_SI_JZNS1_25segmented_radix_sort_implINS0_14default_configELb0EPK6__halfPSP_PKlPlN2at6native12_GLOBAL__N_18offset_tEEE10hipError_tPvRmT1_PNSt15iterator_traitsIS13_E10value_typeET2_T3_PNS14_IS19_E10value_typeET4_jRbjT5_S1F_jjP12ihipStream_tbEUljE_ZNSN_ISO_Lb0ESR_SS_SU_SV_SZ_EES10_S11_S12_S13_S17_S18_S19_S1C_S1D_jS1E_jS1F_S1F_jjS1H_bEUljE0_EEES10_S11_S12_S19_S1D_S1F_T6_T7_T9_mT8_S1H_bDpT10_ENKUlT_T0_E_clISt17integral_constantIbLb0EES1U_IbLb1EEEEDaS1Q_S1R_EUlS1Q_E_NS1_11comp_targetILNS1_3genE8ELNS1_11target_archE1030ELNS1_3gpuE2ELNS1_3repE0EEENS1_30default_config_static_selectorELNS0_4arch9wavefront6targetE0EEEvS13_.uses_flat_scratch, 0
	.set _ZN7rocprim17ROCPRIM_400000_NS6detail17trampoline_kernelINS0_13select_configILj256ELj13ELNS0_17block_load_methodE3ELS4_3ELS4_3ELNS0_20block_scan_algorithmE0ELj4294967295EEENS1_25partition_config_selectorILNS1_17partition_subalgoE4EjNS0_10empty_typeEbEEZZNS1_14partition_implILS8_4ELb0ES6_15HIP_vector_typeIjLj2EENS0_17counting_iteratorIjlEEPS9_SG_NS0_5tupleIJPjSI_NS0_16reverse_iteratorISI_EEEEENSH_IJSG_SG_SG_EEES9_SI_JZNS1_25segmented_radix_sort_implINS0_14default_configELb0EPK6__halfPSP_PKlPlN2at6native12_GLOBAL__N_18offset_tEEE10hipError_tPvRmT1_PNSt15iterator_traitsIS13_E10value_typeET2_T3_PNS14_IS19_E10value_typeET4_jRbjT5_S1F_jjP12ihipStream_tbEUljE_ZNSN_ISO_Lb0ESR_SS_SU_SV_SZ_EES10_S11_S12_S13_S17_S18_S19_S1C_S1D_jS1E_jS1F_S1F_jjS1H_bEUljE0_EEES10_S11_S12_S19_S1D_S1F_T6_T7_T9_mT8_S1H_bDpT10_ENKUlT_T0_E_clISt17integral_constantIbLb0EES1U_IbLb1EEEEDaS1Q_S1R_EUlS1Q_E_NS1_11comp_targetILNS1_3genE8ELNS1_11target_archE1030ELNS1_3gpuE2ELNS1_3repE0EEENS1_30default_config_static_selectorELNS0_4arch9wavefront6targetE0EEEvS13_.has_dyn_sized_stack, 0
	.set _ZN7rocprim17ROCPRIM_400000_NS6detail17trampoline_kernelINS0_13select_configILj256ELj13ELNS0_17block_load_methodE3ELS4_3ELS4_3ELNS0_20block_scan_algorithmE0ELj4294967295EEENS1_25partition_config_selectorILNS1_17partition_subalgoE4EjNS0_10empty_typeEbEEZZNS1_14partition_implILS8_4ELb0ES6_15HIP_vector_typeIjLj2EENS0_17counting_iteratorIjlEEPS9_SG_NS0_5tupleIJPjSI_NS0_16reverse_iteratorISI_EEEEENSH_IJSG_SG_SG_EEES9_SI_JZNS1_25segmented_radix_sort_implINS0_14default_configELb0EPK6__halfPSP_PKlPlN2at6native12_GLOBAL__N_18offset_tEEE10hipError_tPvRmT1_PNSt15iterator_traitsIS13_E10value_typeET2_T3_PNS14_IS19_E10value_typeET4_jRbjT5_S1F_jjP12ihipStream_tbEUljE_ZNSN_ISO_Lb0ESR_SS_SU_SV_SZ_EES10_S11_S12_S13_S17_S18_S19_S1C_S1D_jS1E_jS1F_S1F_jjS1H_bEUljE0_EEES10_S11_S12_S19_S1D_S1F_T6_T7_T9_mT8_S1H_bDpT10_ENKUlT_T0_E_clISt17integral_constantIbLb0EES1U_IbLb1EEEEDaS1Q_S1R_EUlS1Q_E_NS1_11comp_targetILNS1_3genE8ELNS1_11target_archE1030ELNS1_3gpuE2ELNS1_3repE0EEENS1_30default_config_static_selectorELNS0_4arch9wavefront6targetE0EEEvS13_.has_recursion, 0
	.set _ZN7rocprim17ROCPRIM_400000_NS6detail17trampoline_kernelINS0_13select_configILj256ELj13ELNS0_17block_load_methodE3ELS4_3ELS4_3ELNS0_20block_scan_algorithmE0ELj4294967295EEENS1_25partition_config_selectorILNS1_17partition_subalgoE4EjNS0_10empty_typeEbEEZZNS1_14partition_implILS8_4ELb0ES6_15HIP_vector_typeIjLj2EENS0_17counting_iteratorIjlEEPS9_SG_NS0_5tupleIJPjSI_NS0_16reverse_iteratorISI_EEEEENSH_IJSG_SG_SG_EEES9_SI_JZNS1_25segmented_radix_sort_implINS0_14default_configELb0EPK6__halfPSP_PKlPlN2at6native12_GLOBAL__N_18offset_tEEE10hipError_tPvRmT1_PNSt15iterator_traitsIS13_E10value_typeET2_T3_PNS14_IS19_E10value_typeET4_jRbjT5_S1F_jjP12ihipStream_tbEUljE_ZNSN_ISO_Lb0ESR_SS_SU_SV_SZ_EES10_S11_S12_S13_S17_S18_S19_S1C_S1D_jS1E_jS1F_S1F_jjS1H_bEUljE0_EEES10_S11_S12_S19_S1D_S1F_T6_T7_T9_mT8_S1H_bDpT10_ENKUlT_T0_E_clISt17integral_constantIbLb0EES1U_IbLb1EEEEDaS1Q_S1R_EUlS1Q_E_NS1_11comp_targetILNS1_3genE8ELNS1_11target_archE1030ELNS1_3gpuE2ELNS1_3repE0EEENS1_30default_config_static_selectorELNS0_4arch9wavefront6targetE0EEEvS13_.has_indirect_call, 0
	.section	.AMDGPU.csdata,"",@progbits
; Kernel info:
; codeLenInByte = 0
; TotalNumSgprs: 0
; NumVgprs: 0
; ScratchSize: 0
; MemoryBound: 0
; FloatMode: 240
; IeeeMode: 1
; LDSByteSize: 0 bytes/workgroup (compile time only)
; SGPRBlocks: 0
; VGPRBlocks: 0
; NumSGPRsForWavesPerEU: 1
; NumVGPRsForWavesPerEU: 1
; Occupancy: 16
; WaveLimiterHint : 0
; COMPUTE_PGM_RSRC2:SCRATCH_EN: 0
; COMPUTE_PGM_RSRC2:USER_SGPR: 2
; COMPUTE_PGM_RSRC2:TRAP_HANDLER: 0
; COMPUTE_PGM_RSRC2:TGID_X_EN: 1
; COMPUTE_PGM_RSRC2:TGID_Y_EN: 0
; COMPUTE_PGM_RSRC2:TGID_Z_EN: 0
; COMPUTE_PGM_RSRC2:TIDIG_COMP_CNT: 0
	.section	.text._ZN7rocprim17ROCPRIM_400000_NS6detail17trampoline_kernelINS0_13select_configILj256ELj13ELNS0_17block_load_methodE3ELS4_3ELS4_3ELNS0_20block_scan_algorithmE0ELj4294967295EEENS1_25partition_config_selectorILNS1_17partition_subalgoE3EjNS0_10empty_typeEbEEZZNS1_14partition_implILS8_3ELb0ES6_jNS0_17counting_iteratorIjlEEPS9_SE_NS0_5tupleIJPjSE_EEENSF_IJSE_SE_EEES9_SG_JZNS1_25segmented_radix_sort_implINS0_14default_configELb0EPK6__halfPSL_PKlPlN2at6native12_GLOBAL__N_18offset_tEEE10hipError_tPvRmT1_PNSt15iterator_traitsISZ_E10value_typeET2_T3_PNS10_IS15_E10value_typeET4_jRbjT5_S1B_jjP12ihipStream_tbEUljE_EEESW_SX_SY_S15_S19_S1B_T6_T7_T9_mT8_S1D_bDpT10_ENKUlT_T0_E_clISt17integral_constantIbLb0EES1Q_EEDaS1L_S1M_EUlS1L_E_NS1_11comp_targetILNS1_3genE0ELNS1_11target_archE4294967295ELNS1_3gpuE0ELNS1_3repE0EEENS1_30default_config_static_selectorELNS0_4arch9wavefront6targetE0EEEvSZ_,"axG",@progbits,_ZN7rocprim17ROCPRIM_400000_NS6detail17trampoline_kernelINS0_13select_configILj256ELj13ELNS0_17block_load_methodE3ELS4_3ELS4_3ELNS0_20block_scan_algorithmE0ELj4294967295EEENS1_25partition_config_selectorILNS1_17partition_subalgoE3EjNS0_10empty_typeEbEEZZNS1_14partition_implILS8_3ELb0ES6_jNS0_17counting_iteratorIjlEEPS9_SE_NS0_5tupleIJPjSE_EEENSF_IJSE_SE_EEES9_SG_JZNS1_25segmented_radix_sort_implINS0_14default_configELb0EPK6__halfPSL_PKlPlN2at6native12_GLOBAL__N_18offset_tEEE10hipError_tPvRmT1_PNSt15iterator_traitsISZ_E10value_typeET2_T3_PNS10_IS15_E10value_typeET4_jRbjT5_S1B_jjP12ihipStream_tbEUljE_EEESW_SX_SY_S15_S19_S1B_T6_T7_T9_mT8_S1D_bDpT10_ENKUlT_T0_E_clISt17integral_constantIbLb0EES1Q_EEDaS1L_S1M_EUlS1L_E_NS1_11comp_targetILNS1_3genE0ELNS1_11target_archE4294967295ELNS1_3gpuE0ELNS1_3repE0EEENS1_30default_config_static_selectorELNS0_4arch9wavefront6targetE0EEEvSZ_,comdat
	.globl	_ZN7rocprim17ROCPRIM_400000_NS6detail17trampoline_kernelINS0_13select_configILj256ELj13ELNS0_17block_load_methodE3ELS4_3ELS4_3ELNS0_20block_scan_algorithmE0ELj4294967295EEENS1_25partition_config_selectorILNS1_17partition_subalgoE3EjNS0_10empty_typeEbEEZZNS1_14partition_implILS8_3ELb0ES6_jNS0_17counting_iteratorIjlEEPS9_SE_NS0_5tupleIJPjSE_EEENSF_IJSE_SE_EEES9_SG_JZNS1_25segmented_radix_sort_implINS0_14default_configELb0EPK6__halfPSL_PKlPlN2at6native12_GLOBAL__N_18offset_tEEE10hipError_tPvRmT1_PNSt15iterator_traitsISZ_E10value_typeET2_T3_PNS10_IS15_E10value_typeET4_jRbjT5_S1B_jjP12ihipStream_tbEUljE_EEESW_SX_SY_S15_S19_S1B_T6_T7_T9_mT8_S1D_bDpT10_ENKUlT_T0_E_clISt17integral_constantIbLb0EES1Q_EEDaS1L_S1M_EUlS1L_E_NS1_11comp_targetILNS1_3genE0ELNS1_11target_archE4294967295ELNS1_3gpuE0ELNS1_3repE0EEENS1_30default_config_static_selectorELNS0_4arch9wavefront6targetE0EEEvSZ_ ; -- Begin function _ZN7rocprim17ROCPRIM_400000_NS6detail17trampoline_kernelINS0_13select_configILj256ELj13ELNS0_17block_load_methodE3ELS4_3ELS4_3ELNS0_20block_scan_algorithmE0ELj4294967295EEENS1_25partition_config_selectorILNS1_17partition_subalgoE3EjNS0_10empty_typeEbEEZZNS1_14partition_implILS8_3ELb0ES6_jNS0_17counting_iteratorIjlEEPS9_SE_NS0_5tupleIJPjSE_EEENSF_IJSE_SE_EEES9_SG_JZNS1_25segmented_radix_sort_implINS0_14default_configELb0EPK6__halfPSL_PKlPlN2at6native12_GLOBAL__N_18offset_tEEE10hipError_tPvRmT1_PNSt15iterator_traitsISZ_E10value_typeET2_T3_PNS10_IS15_E10value_typeET4_jRbjT5_S1B_jjP12ihipStream_tbEUljE_EEESW_SX_SY_S15_S19_S1B_T6_T7_T9_mT8_S1D_bDpT10_ENKUlT_T0_E_clISt17integral_constantIbLb0EES1Q_EEDaS1L_S1M_EUlS1L_E_NS1_11comp_targetILNS1_3genE0ELNS1_11target_archE4294967295ELNS1_3gpuE0ELNS1_3repE0EEENS1_30default_config_static_selectorELNS0_4arch9wavefront6targetE0EEEvSZ_
	.p2align	8
	.type	_ZN7rocprim17ROCPRIM_400000_NS6detail17trampoline_kernelINS0_13select_configILj256ELj13ELNS0_17block_load_methodE3ELS4_3ELS4_3ELNS0_20block_scan_algorithmE0ELj4294967295EEENS1_25partition_config_selectorILNS1_17partition_subalgoE3EjNS0_10empty_typeEbEEZZNS1_14partition_implILS8_3ELb0ES6_jNS0_17counting_iteratorIjlEEPS9_SE_NS0_5tupleIJPjSE_EEENSF_IJSE_SE_EEES9_SG_JZNS1_25segmented_radix_sort_implINS0_14default_configELb0EPK6__halfPSL_PKlPlN2at6native12_GLOBAL__N_18offset_tEEE10hipError_tPvRmT1_PNSt15iterator_traitsISZ_E10value_typeET2_T3_PNS10_IS15_E10value_typeET4_jRbjT5_S1B_jjP12ihipStream_tbEUljE_EEESW_SX_SY_S15_S19_S1B_T6_T7_T9_mT8_S1D_bDpT10_ENKUlT_T0_E_clISt17integral_constantIbLb0EES1Q_EEDaS1L_S1M_EUlS1L_E_NS1_11comp_targetILNS1_3genE0ELNS1_11target_archE4294967295ELNS1_3gpuE0ELNS1_3repE0EEENS1_30default_config_static_selectorELNS0_4arch9wavefront6targetE0EEEvSZ_,@function
_ZN7rocprim17ROCPRIM_400000_NS6detail17trampoline_kernelINS0_13select_configILj256ELj13ELNS0_17block_load_methodE3ELS4_3ELS4_3ELNS0_20block_scan_algorithmE0ELj4294967295EEENS1_25partition_config_selectorILNS1_17partition_subalgoE3EjNS0_10empty_typeEbEEZZNS1_14partition_implILS8_3ELb0ES6_jNS0_17counting_iteratorIjlEEPS9_SE_NS0_5tupleIJPjSE_EEENSF_IJSE_SE_EEES9_SG_JZNS1_25segmented_radix_sort_implINS0_14default_configELb0EPK6__halfPSL_PKlPlN2at6native12_GLOBAL__N_18offset_tEEE10hipError_tPvRmT1_PNSt15iterator_traitsISZ_E10value_typeET2_T3_PNS10_IS15_E10value_typeET4_jRbjT5_S1B_jjP12ihipStream_tbEUljE_EEESW_SX_SY_S15_S19_S1B_T6_T7_T9_mT8_S1D_bDpT10_ENKUlT_T0_E_clISt17integral_constantIbLb0EES1Q_EEDaS1L_S1M_EUlS1L_E_NS1_11comp_targetILNS1_3genE0ELNS1_11target_archE4294967295ELNS1_3gpuE0ELNS1_3repE0EEENS1_30default_config_static_selectorELNS0_4arch9wavefront6targetE0EEEvSZ_: ; @_ZN7rocprim17ROCPRIM_400000_NS6detail17trampoline_kernelINS0_13select_configILj256ELj13ELNS0_17block_load_methodE3ELS4_3ELS4_3ELNS0_20block_scan_algorithmE0ELj4294967295EEENS1_25partition_config_selectorILNS1_17partition_subalgoE3EjNS0_10empty_typeEbEEZZNS1_14partition_implILS8_3ELb0ES6_jNS0_17counting_iteratorIjlEEPS9_SE_NS0_5tupleIJPjSE_EEENSF_IJSE_SE_EEES9_SG_JZNS1_25segmented_radix_sort_implINS0_14default_configELb0EPK6__halfPSL_PKlPlN2at6native12_GLOBAL__N_18offset_tEEE10hipError_tPvRmT1_PNSt15iterator_traitsISZ_E10value_typeET2_T3_PNS10_IS15_E10value_typeET4_jRbjT5_S1B_jjP12ihipStream_tbEUljE_EEESW_SX_SY_S15_S19_S1B_T6_T7_T9_mT8_S1D_bDpT10_ENKUlT_T0_E_clISt17integral_constantIbLb0EES1Q_EEDaS1L_S1M_EUlS1L_E_NS1_11comp_targetILNS1_3genE0ELNS1_11target_archE4294967295ELNS1_3gpuE0ELNS1_3repE0EEENS1_30default_config_static_selectorELNS0_4arch9wavefront6targetE0EEEvSZ_
; %bb.0:
	.section	.rodata,"a",@progbits
	.p2align	6, 0x0
	.amdhsa_kernel _ZN7rocprim17ROCPRIM_400000_NS6detail17trampoline_kernelINS0_13select_configILj256ELj13ELNS0_17block_load_methodE3ELS4_3ELS4_3ELNS0_20block_scan_algorithmE0ELj4294967295EEENS1_25partition_config_selectorILNS1_17partition_subalgoE3EjNS0_10empty_typeEbEEZZNS1_14partition_implILS8_3ELb0ES6_jNS0_17counting_iteratorIjlEEPS9_SE_NS0_5tupleIJPjSE_EEENSF_IJSE_SE_EEES9_SG_JZNS1_25segmented_radix_sort_implINS0_14default_configELb0EPK6__halfPSL_PKlPlN2at6native12_GLOBAL__N_18offset_tEEE10hipError_tPvRmT1_PNSt15iterator_traitsISZ_E10value_typeET2_T3_PNS10_IS15_E10value_typeET4_jRbjT5_S1B_jjP12ihipStream_tbEUljE_EEESW_SX_SY_S15_S19_S1B_T6_T7_T9_mT8_S1D_bDpT10_ENKUlT_T0_E_clISt17integral_constantIbLb0EES1Q_EEDaS1L_S1M_EUlS1L_E_NS1_11comp_targetILNS1_3genE0ELNS1_11target_archE4294967295ELNS1_3gpuE0ELNS1_3repE0EEENS1_30default_config_static_selectorELNS0_4arch9wavefront6targetE0EEEvSZ_
		.amdhsa_group_segment_fixed_size 0
		.amdhsa_private_segment_fixed_size 0
		.amdhsa_kernarg_size 144
		.amdhsa_user_sgpr_count 2
		.amdhsa_user_sgpr_dispatch_ptr 0
		.amdhsa_user_sgpr_queue_ptr 0
		.amdhsa_user_sgpr_kernarg_segment_ptr 1
		.amdhsa_user_sgpr_dispatch_id 0
		.amdhsa_user_sgpr_private_segment_size 0
		.amdhsa_wavefront_size32 1
		.amdhsa_uses_dynamic_stack 0
		.amdhsa_enable_private_segment 0
		.amdhsa_system_sgpr_workgroup_id_x 1
		.amdhsa_system_sgpr_workgroup_id_y 0
		.amdhsa_system_sgpr_workgroup_id_z 0
		.amdhsa_system_sgpr_workgroup_info 0
		.amdhsa_system_vgpr_workitem_id 0
		.amdhsa_next_free_vgpr 1
		.amdhsa_next_free_sgpr 1
		.amdhsa_reserve_vcc 0
		.amdhsa_float_round_mode_32 0
		.amdhsa_float_round_mode_16_64 0
		.amdhsa_float_denorm_mode_32 3
		.amdhsa_float_denorm_mode_16_64 3
		.amdhsa_fp16_overflow 0
		.amdhsa_workgroup_processor_mode 1
		.amdhsa_memory_ordered 1
		.amdhsa_forward_progress 1
		.amdhsa_inst_pref_size 0
		.amdhsa_round_robin_scheduling 0
		.amdhsa_exception_fp_ieee_invalid_op 0
		.amdhsa_exception_fp_denorm_src 0
		.amdhsa_exception_fp_ieee_div_zero 0
		.amdhsa_exception_fp_ieee_overflow 0
		.amdhsa_exception_fp_ieee_underflow 0
		.amdhsa_exception_fp_ieee_inexact 0
		.amdhsa_exception_int_div_zero 0
	.end_amdhsa_kernel
	.section	.text._ZN7rocprim17ROCPRIM_400000_NS6detail17trampoline_kernelINS0_13select_configILj256ELj13ELNS0_17block_load_methodE3ELS4_3ELS4_3ELNS0_20block_scan_algorithmE0ELj4294967295EEENS1_25partition_config_selectorILNS1_17partition_subalgoE3EjNS0_10empty_typeEbEEZZNS1_14partition_implILS8_3ELb0ES6_jNS0_17counting_iteratorIjlEEPS9_SE_NS0_5tupleIJPjSE_EEENSF_IJSE_SE_EEES9_SG_JZNS1_25segmented_radix_sort_implINS0_14default_configELb0EPK6__halfPSL_PKlPlN2at6native12_GLOBAL__N_18offset_tEEE10hipError_tPvRmT1_PNSt15iterator_traitsISZ_E10value_typeET2_T3_PNS10_IS15_E10value_typeET4_jRbjT5_S1B_jjP12ihipStream_tbEUljE_EEESW_SX_SY_S15_S19_S1B_T6_T7_T9_mT8_S1D_bDpT10_ENKUlT_T0_E_clISt17integral_constantIbLb0EES1Q_EEDaS1L_S1M_EUlS1L_E_NS1_11comp_targetILNS1_3genE0ELNS1_11target_archE4294967295ELNS1_3gpuE0ELNS1_3repE0EEENS1_30default_config_static_selectorELNS0_4arch9wavefront6targetE0EEEvSZ_,"axG",@progbits,_ZN7rocprim17ROCPRIM_400000_NS6detail17trampoline_kernelINS0_13select_configILj256ELj13ELNS0_17block_load_methodE3ELS4_3ELS4_3ELNS0_20block_scan_algorithmE0ELj4294967295EEENS1_25partition_config_selectorILNS1_17partition_subalgoE3EjNS0_10empty_typeEbEEZZNS1_14partition_implILS8_3ELb0ES6_jNS0_17counting_iteratorIjlEEPS9_SE_NS0_5tupleIJPjSE_EEENSF_IJSE_SE_EEES9_SG_JZNS1_25segmented_radix_sort_implINS0_14default_configELb0EPK6__halfPSL_PKlPlN2at6native12_GLOBAL__N_18offset_tEEE10hipError_tPvRmT1_PNSt15iterator_traitsISZ_E10value_typeET2_T3_PNS10_IS15_E10value_typeET4_jRbjT5_S1B_jjP12ihipStream_tbEUljE_EEESW_SX_SY_S15_S19_S1B_T6_T7_T9_mT8_S1D_bDpT10_ENKUlT_T0_E_clISt17integral_constantIbLb0EES1Q_EEDaS1L_S1M_EUlS1L_E_NS1_11comp_targetILNS1_3genE0ELNS1_11target_archE4294967295ELNS1_3gpuE0ELNS1_3repE0EEENS1_30default_config_static_selectorELNS0_4arch9wavefront6targetE0EEEvSZ_,comdat
.Lfunc_end1810:
	.size	_ZN7rocprim17ROCPRIM_400000_NS6detail17trampoline_kernelINS0_13select_configILj256ELj13ELNS0_17block_load_methodE3ELS4_3ELS4_3ELNS0_20block_scan_algorithmE0ELj4294967295EEENS1_25partition_config_selectorILNS1_17partition_subalgoE3EjNS0_10empty_typeEbEEZZNS1_14partition_implILS8_3ELb0ES6_jNS0_17counting_iteratorIjlEEPS9_SE_NS0_5tupleIJPjSE_EEENSF_IJSE_SE_EEES9_SG_JZNS1_25segmented_radix_sort_implINS0_14default_configELb0EPK6__halfPSL_PKlPlN2at6native12_GLOBAL__N_18offset_tEEE10hipError_tPvRmT1_PNSt15iterator_traitsISZ_E10value_typeET2_T3_PNS10_IS15_E10value_typeET4_jRbjT5_S1B_jjP12ihipStream_tbEUljE_EEESW_SX_SY_S15_S19_S1B_T6_T7_T9_mT8_S1D_bDpT10_ENKUlT_T0_E_clISt17integral_constantIbLb0EES1Q_EEDaS1L_S1M_EUlS1L_E_NS1_11comp_targetILNS1_3genE0ELNS1_11target_archE4294967295ELNS1_3gpuE0ELNS1_3repE0EEENS1_30default_config_static_selectorELNS0_4arch9wavefront6targetE0EEEvSZ_, .Lfunc_end1810-_ZN7rocprim17ROCPRIM_400000_NS6detail17trampoline_kernelINS0_13select_configILj256ELj13ELNS0_17block_load_methodE3ELS4_3ELS4_3ELNS0_20block_scan_algorithmE0ELj4294967295EEENS1_25partition_config_selectorILNS1_17partition_subalgoE3EjNS0_10empty_typeEbEEZZNS1_14partition_implILS8_3ELb0ES6_jNS0_17counting_iteratorIjlEEPS9_SE_NS0_5tupleIJPjSE_EEENSF_IJSE_SE_EEES9_SG_JZNS1_25segmented_radix_sort_implINS0_14default_configELb0EPK6__halfPSL_PKlPlN2at6native12_GLOBAL__N_18offset_tEEE10hipError_tPvRmT1_PNSt15iterator_traitsISZ_E10value_typeET2_T3_PNS10_IS15_E10value_typeET4_jRbjT5_S1B_jjP12ihipStream_tbEUljE_EEESW_SX_SY_S15_S19_S1B_T6_T7_T9_mT8_S1D_bDpT10_ENKUlT_T0_E_clISt17integral_constantIbLb0EES1Q_EEDaS1L_S1M_EUlS1L_E_NS1_11comp_targetILNS1_3genE0ELNS1_11target_archE4294967295ELNS1_3gpuE0ELNS1_3repE0EEENS1_30default_config_static_selectorELNS0_4arch9wavefront6targetE0EEEvSZ_
                                        ; -- End function
	.set _ZN7rocprim17ROCPRIM_400000_NS6detail17trampoline_kernelINS0_13select_configILj256ELj13ELNS0_17block_load_methodE3ELS4_3ELS4_3ELNS0_20block_scan_algorithmE0ELj4294967295EEENS1_25partition_config_selectorILNS1_17partition_subalgoE3EjNS0_10empty_typeEbEEZZNS1_14partition_implILS8_3ELb0ES6_jNS0_17counting_iteratorIjlEEPS9_SE_NS0_5tupleIJPjSE_EEENSF_IJSE_SE_EEES9_SG_JZNS1_25segmented_radix_sort_implINS0_14default_configELb0EPK6__halfPSL_PKlPlN2at6native12_GLOBAL__N_18offset_tEEE10hipError_tPvRmT1_PNSt15iterator_traitsISZ_E10value_typeET2_T3_PNS10_IS15_E10value_typeET4_jRbjT5_S1B_jjP12ihipStream_tbEUljE_EEESW_SX_SY_S15_S19_S1B_T6_T7_T9_mT8_S1D_bDpT10_ENKUlT_T0_E_clISt17integral_constantIbLb0EES1Q_EEDaS1L_S1M_EUlS1L_E_NS1_11comp_targetILNS1_3genE0ELNS1_11target_archE4294967295ELNS1_3gpuE0ELNS1_3repE0EEENS1_30default_config_static_selectorELNS0_4arch9wavefront6targetE0EEEvSZ_.num_vgpr, 0
	.set _ZN7rocprim17ROCPRIM_400000_NS6detail17trampoline_kernelINS0_13select_configILj256ELj13ELNS0_17block_load_methodE3ELS4_3ELS4_3ELNS0_20block_scan_algorithmE0ELj4294967295EEENS1_25partition_config_selectorILNS1_17partition_subalgoE3EjNS0_10empty_typeEbEEZZNS1_14partition_implILS8_3ELb0ES6_jNS0_17counting_iteratorIjlEEPS9_SE_NS0_5tupleIJPjSE_EEENSF_IJSE_SE_EEES9_SG_JZNS1_25segmented_radix_sort_implINS0_14default_configELb0EPK6__halfPSL_PKlPlN2at6native12_GLOBAL__N_18offset_tEEE10hipError_tPvRmT1_PNSt15iterator_traitsISZ_E10value_typeET2_T3_PNS10_IS15_E10value_typeET4_jRbjT5_S1B_jjP12ihipStream_tbEUljE_EEESW_SX_SY_S15_S19_S1B_T6_T7_T9_mT8_S1D_bDpT10_ENKUlT_T0_E_clISt17integral_constantIbLb0EES1Q_EEDaS1L_S1M_EUlS1L_E_NS1_11comp_targetILNS1_3genE0ELNS1_11target_archE4294967295ELNS1_3gpuE0ELNS1_3repE0EEENS1_30default_config_static_selectorELNS0_4arch9wavefront6targetE0EEEvSZ_.num_agpr, 0
	.set _ZN7rocprim17ROCPRIM_400000_NS6detail17trampoline_kernelINS0_13select_configILj256ELj13ELNS0_17block_load_methodE3ELS4_3ELS4_3ELNS0_20block_scan_algorithmE0ELj4294967295EEENS1_25partition_config_selectorILNS1_17partition_subalgoE3EjNS0_10empty_typeEbEEZZNS1_14partition_implILS8_3ELb0ES6_jNS0_17counting_iteratorIjlEEPS9_SE_NS0_5tupleIJPjSE_EEENSF_IJSE_SE_EEES9_SG_JZNS1_25segmented_radix_sort_implINS0_14default_configELb0EPK6__halfPSL_PKlPlN2at6native12_GLOBAL__N_18offset_tEEE10hipError_tPvRmT1_PNSt15iterator_traitsISZ_E10value_typeET2_T3_PNS10_IS15_E10value_typeET4_jRbjT5_S1B_jjP12ihipStream_tbEUljE_EEESW_SX_SY_S15_S19_S1B_T6_T7_T9_mT8_S1D_bDpT10_ENKUlT_T0_E_clISt17integral_constantIbLb0EES1Q_EEDaS1L_S1M_EUlS1L_E_NS1_11comp_targetILNS1_3genE0ELNS1_11target_archE4294967295ELNS1_3gpuE0ELNS1_3repE0EEENS1_30default_config_static_selectorELNS0_4arch9wavefront6targetE0EEEvSZ_.numbered_sgpr, 0
	.set _ZN7rocprim17ROCPRIM_400000_NS6detail17trampoline_kernelINS0_13select_configILj256ELj13ELNS0_17block_load_methodE3ELS4_3ELS4_3ELNS0_20block_scan_algorithmE0ELj4294967295EEENS1_25partition_config_selectorILNS1_17partition_subalgoE3EjNS0_10empty_typeEbEEZZNS1_14partition_implILS8_3ELb0ES6_jNS0_17counting_iteratorIjlEEPS9_SE_NS0_5tupleIJPjSE_EEENSF_IJSE_SE_EEES9_SG_JZNS1_25segmented_radix_sort_implINS0_14default_configELb0EPK6__halfPSL_PKlPlN2at6native12_GLOBAL__N_18offset_tEEE10hipError_tPvRmT1_PNSt15iterator_traitsISZ_E10value_typeET2_T3_PNS10_IS15_E10value_typeET4_jRbjT5_S1B_jjP12ihipStream_tbEUljE_EEESW_SX_SY_S15_S19_S1B_T6_T7_T9_mT8_S1D_bDpT10_ENKUlT_T0_E_clISt17integral_constantIbLb0EES1Q_EEDaS1L_S1M_EUlS1L_E_NS1_11comp_targetILNS1_3genE0ELNS1_11target_archE4294967295ELNS1_3gpuE0ELNS1_3repE0EEENS1_30default_config_static_selectorELNS0_4arch9wavefront6targetE0EEEvSZ_.num_named_barrier, 0
	.set _ZN7rocprim17ROCPRIM_400000_NS6detail17trampoline_kernelINS0_13select_configILj256ELj13ELNS0_17block_load_methodE3ELS4_3ELS4_3ELNS0_20block_scan_algorithmE0ELj4294967295EEENS1_25partition_config_selectorILNS1_17partition_subalgoE3EjNS0_10empty_typeEbEEZZNS1_14partition_implILS8_3ELb0ES6_jNS0_17counting_iteratorIjlEEPS9_SE_NS0_5tupleIJPjSE_EEENSF_IJSE_SE_EEES9_SG_JZNS1_25segmented_radix_sort_implINS0_14default_configELb0EPK6__halfPSL_PKlPlN2at6native12_GLOBAL__N_18offset_tEEE10hipError_tPvRmT1_PNSt15iterator_traitsISZ_E10value_typeET2_T3_PNS10_IS15_E10value_typeET4_jRbjT5_S1B_jjP12ihipStream_tbEUljE_EEESW_SX_SY_S15_S19_S1B_T6_T7_T9_mT8_S1D_bDpT10_ENKUlT_T0_E_clISt17integral_constantIbLb0EES1Q_EEDaS1L_S1M_EUlS1L_E_NS1_11comp_targetILNS1_3genE0ELNS1_11target_archE4294967295ELNS1_3gpuE0ELNS1_3repE0EEENS1_30default_config_static_selectorELNS0_4arch9wavefront6targetE0EEEvSZ_.private_seg_size, 0
	.set _ZN7rocprim17ROCPRIM_400000_NS6detail17trampoline_kernelINS0_13select_configILj256ELj13ELNS0_17block_load_methodE3ELS4_3ELS4_3ELNS0_20block_scan_algorithmE0ELj4294967295EEENS1_25partition_config_selectorILNS1_17partition_subalgoE3EjNS0_10empty_typeEbEEZZNS1_14partition_implILS8_3ELb0ES6_jNS0_17counting_iteratorIjlEEPS9_SE_NS0_5tupleIJPjSE_EEENSF_IJSE_SE_EEES9_SG_JZNS1_25segmented_radix_sort_implINS0_14default_configELb0EPK6__halfPSL_PKlPlN2at6native12_GLOBAL__N_18offset_tEEE10hipError_tPvRmT1_PNSt15iterator_traitsISZ_E10value_typeET2_T3_PNS10_IS15_E10value_typeET4_jRbjT5_S1B_jjP12ihipStream_tbEUljE_EEESW_SX_SY_S15_S19_S1B_T6_T7_T9_mT8_S1D_bDpT10_ENKUlT_T0_E_clISt17integral_constantIbLb0EES1Q_EEDaS1L_S1M_EUlS1L_E_NS1_11comp_targetILNS1_3genE0ELNS1_11target_archE4294967295ELNS1_3gpuE0ELNS1_3repE0EEENS1_30default_config_static_selectorELNS0_4arch9wavefront6targetE0EEEvSZ_.uses_vcc, 0
	.set _ZN7rocprim17ROCPRIM_400000_NS6detail17trampoline_kernelINS0_13select_configILj256ELj13ELNS0_17block_load_methodE3ELS4_3ELS4_3ELNS0_20block_scan_algorithmE0ELj4294967295EEENS1_25partition_config_selectorILNS1_17partition_subalgoE3EjNS0_10empty_typeEbEEZZNS1_14partition_implILS8_3ELb0ES6_jNS0_17counting_iteratorIjlEEPS9_SE_NS0_5tupleIJPjSE_EEENSF_IJSE_SE_EEES9_SG_JZNS1_25segmented_radix_sort_implINS0_14default_configELb0EPK6__halfPSL_PKlPlN2at6native12_GLOBAL__N_18offset_tEEE10hipError_tPvRmT1_PNSt15iterator_traitsISZ_E10value_typeET2_T3_PNS10_IS15_E10value_typeET4_jRbjT5_S1B_jjP12ihipStream_tbEUljE_EEESW_SX_SY_S15_S19_S1B_T6_T7_T9_mT8_S1D_bDpT10_ENKUlT_T0_E_clISt17integral_constantIbLb0EES1Q_EEDaS1L_S1M_EUlS1L_E_NS1_11comp_targetILNS1_3genE0ELNS1_11target_archE4294967295ELNS1_3gpuE0ELNS1_3repE0EEENS1_30default_config_static_selectorELNS0_4arch9wavefront6targetE0EEEvSZ_.uses_flat_scratch, 0
	.set _ZN7rocprim17ROCPRIM_400000_NS6detail17trampoline_kernelINS0_13select_configILj256ELj13ELNS0_17block_load_methodE3ELS4_3ELS4_3ELNS0_20block_scan_algorithmE0ELj4294967295EEENS1_25partition_config_selectorILNS1_17partition_subalgoE3EjNS0_10empty_typeEbEEZZNS1_14partition_implILS8_3ELb0ES6_jNS0_17counting_iteratorIjlEEPS9_SE_NS0_5tupleIJPjSE_EEENSF_IJSE_SE_EEES9_SG_JZNS1_25segmented_radix_sort_implINS0_14default_configELb0EPK6__halfPSL_PKlPlN2at6native12_GLOBAL__N_18offset_tEEE10hipError_tPvRmT1_PNSt15iterator_traitsISZ_E10value_typeET2_T3_PNS10_IS15_E10value_typeET4_jRbjT5_S1B_jjP12ihipStream_tbEUljE_EEESW_SX_SY_S15_S19_S1B_T6_T7_T9_mT8_S1D_bDpT10_ENKUlT_T0_E_clISt17integral_constantIbLb0EES1Q_EEDaS1L_S1M_EUlS1L_E_NS1_11comp_targetILNS1_3genE0ELNS1_11target_archE4294967295ELNS1_3gpuE0ELNS1_3repE0EEENS1_30default_config_static_selectorELNS0_4arch9wavefront6targetE0EEEvSZ_.has_dyn_sized_stack, 0
	.set _ZN7rocprim17ROCPRIM_400000_NS6detail17trampoline_kernelINS0_13select_configILj256ELj13ELNS0_17block_load_methodE3ELS4_3ELS4_3ELNS0_20block_scan_algorithmE0ELj4294967295EEENS1_25partition_config_selectorILNS1_17partition_subalgoE3EjNS0_10empty_typeEbEEZZNS1_14partition_implILS8_3ELb0ES6_jNS0_17counting_iteratorIjlEEPS9_SE_NS0_5tupleIJPjSE_EEENSF_IJSE_SE_EEES9_SG_JZNS1_25segmented_radix_sort_implINS0_14default_configELb0EPK6__halfPSL_PKlPlN2at6native12_GLOBAL__N_18offset_tEEE10hipError_tPvRmT1_PNSt15iterator_traitsISZ_E10value_typeET2_T3_PNS10_IS15_E10value_typeET4_jRbjT5_S1B_jjP12ihipStream_tbEUljE_EEESW_SX_SY_S15_S19_S1B_T6_T7_T9_mT8_S1D_bDpT10_ENKUlT_T0_E_clISt17integral_constantIbLb0EES1Q_EEDaS1L_S1M_EUlS1L_E_NS1_11comp_targetILNS1_3genE0ELNS1_11target_archE4294967295ELNS1_3gpuE0ELNS1_3repE0EEENS1_30default_config_static_selectorELNS0_4arch9wavefront6targetE0EEEvSZ_.has_recursion, 0
	.set _ZN7rocprim17ROCPRIM_400000_NS6detail17trampoline_kernelINS0_13select_configILj256ELj13ELNS0_17block_load_methodE3ELS4_3ELS4_3ELNS0_20block_scan_algorithmE0ELj4294967295EEENS1_25partition_config_selectorILNS1_17partition_subalgoE3EjNS0_10empty_typeEbEEZZNS1_14partition_implILS8_3ELb0ES6_jNS0_17counting_iteratorIjlEEPS9_SE_NS0_5tupleIJPjSE_EEENSF_IJSE_SE_EEES9_SG_JZNS1_25segmented_radix_sort_implINS0_14default_configELb0EPK6__halfPSL_PKlPlN2at6native12_GLOBAL__N_18offset_tEEE10hipError_tPvRmT1_PNSt15iterator_traitsISZ_E10value_typeET2_T3_PNS10_IS15_E10value_typeET4_jRbjT5_S1B_jjP12ihipStream_tbEUljE_EEESW_SX_SY_S15_S19_S1B_T6_T7_T9_mT8_S1D_bDpT10_ENKUlT_T0_E_clISt17integral_constantIbLb0EES1Q_EEDaS1L_S1M_EUlS1L_E_NS1_11comp_targetILNS1_3genE0ELNS1_11target_archE4294967295ELNS1_3gpuE0ELNS1_3repE0EEENS1_30default_config_static_selectorELNS0_4arch9wavefront6targetE0EEEvSZ_.has_indirect_call, 0
	.section	.AMDGPU.csdata,"",@progbits
; Kernel info:
; codeLenInByte = 0
; TotalNumSgprs: 0
; NumVgprs: 0
; ScratchSize: 0
; MemoryBound: 0
; FloatMode: 240
; IeeeMode: 1
; LDSByteSize: 0 bytes/workgroup (compile time only)
; SGPRBlocks: 0
; VGPRBlocks: 0
; NumSGPRsForWavesPerEU: 1
; NumVGPRsForWavesPerEU: 1
; Occupancy: 16
; WaveLimiterHint : 0
; COMPUTE_PGM_RSRC2:SCRATCH_EN: 0
; COMPUTE_PGM_RSRC2:USER_SGPR: 2
; COMPUTE_PGM_RSRC2:TRAP_HANDLER: 0
; COMPUTE_PGM_RSRC2:TGID_X_EN: 1
; COMPUTE_PGM_RSRC2:TGID_Y_EN: 0
; COMPUTE_PGM_RSRC2:TGID_Z_EN: 0
; COMPUTE_PGM_RSRC2:TIDIG_COMP_CNT: 0
	.section	.text._ZN7rocprim17ROCPRIM_400000_NS6detail17trampoline_kernelINS0_13select_configILj256ELj13ELNS0_17block_load_methodE3ELS4_3ELS4_3ELNS0_20block_scan_algorithmE0ELj4294967295EEENS1_25partition_config_selectorILNS1_17partition_subalgoE3EjNS0_10empty_typeEbEEZZNS1_14partition_implILS8_3ELb0ES6_jNS0_17counting_iteratorIjlEEPS9_SE_NS0_5tupleIJPjSE_EEENSF_IJSE_SE_EEES9_SG_JZNS1_25segmented_radix_sort_implINS0_14default_configELb0EPK6__halfPSL_PKlPlN2at6native12_GLOBAL__N_18offset_tEEE10hipError_tPvRmT1_PNSt15iterator_traitsISZ_E10value_typeET2_T3_PNS10_IS15_E10value_typeET4_jRbjT5_S1B_jjP12ihipStream_tbEUljE_EEESW_SX_SY_S15_S19_S1B_T6_T7_T9_mT8_S1D_bDpT10_ENKUlT_T0_E_clISt17integral_constantIbLb0EES1Q_EEDaS1L_S1M_EUlS1L_E_NS1_11comp_targetILNS1_3genE5ELNS1_11target_archE942ELNS1_3gpuE9ELNS1_3repE0EEENS1_30default_config_static_selectorELNS0_4arch9wavefront6targetE0EEEvSZ_,"axG",@progbits,_ZN7rocprim17ROCPRIM_400000_NS6detail17trampoline_kernelINS0_13select_configILj256ELj13ELNS0_17block_load_methodE3ELS4_3ELS4_3ELNS0_20block_scan_algorithmE0ELj4294967295EEENS1_25partition_config_selectorILNS1_17partition_subalgoE3EjNS0_10empty_typeEbEEZZNS1_14partition_implILS8_3ELb0ES6_jNS0_17counting_iteratorIjlEEPS9_SE_NS0_5tupleIJPjSE_EEENSF_IJSE_SE_EEES9_SG_JZNS1_25segmented_radix_sort_implINS0_14default_configELb0EPK6__halfPSL_PKlPlN2at6native12_GLOBAL__N_18offset_tEEE10hipError_tPvRmT1_PNSt15iterator_traitsISZ_E10value_typeET2_T3_PNS10_IS15_E10value_typeET4_jRbjT5_S1B_jjP12ihipStream_tbEUljE_EEESW_SX_SY_S15_S19_S1B_T6_T7_T9_mT8_S1D_bDpT10_ENKUlT_T0_E_clISt17integral_constantIbLb0EES1Q_EEDaS1L_S1M_EUlS1L_E_NS1_11comp_targetILNS1_3genE5ELNS1_11target_archE942ELNS1_3gpuE9ELNS1_3repE0EEENS1_30default_config_static_selectorELNS0_4arch9wavefront6targetE0EEEvSZ_,comdat
	.globl	_ZN7rocprim17ROCPRIM_400000_NS6detail17trampoline_kernelINS0_13select_configILj256ELj13ELNS0_17block_load_methodE3ELS4_3ELS4_3ELNS0_20block_scan_algorithmE0ELj4294967295EEENS1_25partition_config_selectorILNS1_17partition_subalgoE3EjNS0_10empty_typeEbEEZZNS1_14partition_implILS8_3ELb0ES6_jNS0_17counting_iteratorIjlEEPS9_SE_NS0_5tupleIJPjSE_EEENSF_IJSE_SE_EEES9_SG_JZNS1_25segmented_radix_sort_implINS0_14default_configELb0EPK6__halfPSL_PKlPlN2at6native12_GLOBAL__N_18offset_tEEE10hipError_tPvRmT1_PNSt15iterator_traitsISZ_E10value_typeET2_T3_PNS10_IS15_E10value_typeET4_jRbjT5_S1B_jjP12ihipStream_tbEUljE_EEESW_SX_SY_S15_S19_S1B_T6_T7_T9_mT8_S1D_bDpT10_ENKUlT_T0_E_clISt17integral_constantIbLb0EES1Q_EEDaS1L_S1M_EUlS1L_E_NS1_11comp_targetILNS1_3genE5ELNS1_11target_archE942ELNS1_3gpuE9ELNS1_3repE0EEENS1_30default_config_static_selectorELNS0_4arch9wavefront6targetE0EEEvSZ_ ; -- Begin function _ZN7rocprim17ROCPRIM_400000_NS6detail17trampoline_kernelINS0_13select_configILj256ELj13ELNS0_17block_load_methodE3ELS4_3ELS4_3ELNS0_20block_scan_algorithmE0ELj4294967295EEENS1_25partition_config_selectorILNS1_17partition_subalgoE3EjNS0_10empty_typeEbEEZZNS1_14partition_implILS8_3ELb0ES6_jNS0_17counting_iteratorIjlEEPS9_SE_NS0_5tupleIJPjSE_EEENSF_IJSE_SE_EEES9_SG_JZNS1_25segmented_radix_sort_implINS0_14default_configELb0EPK6__halfPSL_PKlPlN2at6native12_GLOBAL__N_18offset_tEEE10hipError_tPvRmT1_PNSt15iterator_traitsISZ_E10value_typeET2_T3_PNS10_IS15_E10value_typeET4_jRbjT5_S1B_jjP12ihipStream_tbEUljE_EEESW_SX_SY_S15_S19_S1B_T6_T7_T9_mT8_S1D_bDpT10_ENKUlT_T0_E_clISt17integral_constantIbLb0EES1Q_EEDaS1L_S1M_EUlS1L_E_NS1_11comp_targetILNS1_3genE5ELNS1_11target_archE942ELNS1_3gpuE9ELNS1_3repE0EEENS1_30default_config_static_selectorELNS0_4arch9wavefront6targetE0EEEvSZ_
	.p2align	8
	.type	_ZN7rocprim17ROCPRIM_400000_NS6detail17trampoline_kernelINS0_13select_configILj256ELj13ELNS0_17block_load_methodE3ELS4_3ELS4_3ELNS0_20block_scan_algorithmE0ELj4294967295EEENS1_25partition_config_selectorILNS1_17partition_subalgoE3EjNS0_10empty_typeEbEEZZNS1_14partition_implILS8_3ELb0ES6_jNS0_17counting_iteratorIjlEEPS9_SE_NS0_5tupleIJPjSE_EEENSF_IJSE_SE_EEES9_SG_JZNS1_25segmented_radix_sort_implINS0_14default_configELb0EPK6__halfPSL_PKlPlN2at6native12_GLOBAL__N_18offset_tEEE10hipError_tPvRmT1_PNSt15iterator_traitsISZ_E10value_typeET2_T3_PNS10_IS15_E10value_typeET4_jRbjT5_S1B_jjP12ihipStream_tbEUljE_EEESW_SX_SY_S15_S19_S1B_T6_T7_T9_mT8_S1D_bDpT10_ENKUlT_T0_E_clISt17integral_constantIbLb0EES1Q_EEDaS1L_S1M_EUlS1L_E_NS1_11comp_targetILNS1_3genE5ELNS1_11target_archE942ELNS1_3gpuE9ELNS1_3repE0EEENS1_30default_config_static_selectorELNS0_4arch9wavefront6targetE0EEEvSZ_,@function
_ZN7rocprim17ROCPRIM_400000_NS6detail17trampoline_kernelINS0_13select_configILj256ELj13ELNS0_17block_load_methodE3ELS4_3ELS4_3ELNS0_20block_scan_algorithmE0ELj4294967295EEENS1_25partition_config_selectorILNS1_17partition_subalgoE3EjNS0_10empty_typeEbEEZZNS1_14partition_implILS8_3ELb0ES6_jNS0_17counting_iteratorIjlEEPS9_SE_NS0_5tupleIJPjSE_EEENSF_IJSE_SE_EEES9_SG_JZNS1_25segmented_radix_sort_implINS0_14default_configELb0EPK6__halfPSL_PKlPlN2at6native12_GLOBAL__N_18offset_tEEE10hipError_tPvRmT1_PNSt15iterator_traitsISZ_E10value_typeET2_T3_PNS10_IS15_E10value_typeET4_jRbjT5_S1B_jjP12ihipStream_tbEUljE_EEESW_SX_SY_S15_S19_S1B_T6_T7_T9_mT8_S1D_bDpT10_ENKUlT_T0_E_clISt17integral_constantIbLb0EES1Q_EEDaS1L_S1M_EUlS1L_E_NS1_11comp_targetILNS1_3genE5ELNS1_11target_archE942ELNS1_3gpuE9ELNS1_3repE0EEENS1_30default_config_static_selectorELNS0_4arch9wavefront6targetE0EEEvSZ_: ; @_ZN7rocprim17ROCPRIM_400000_NS6detail17trampoline_kernelINS0_13select_configILj256ELj13ELNS0_17block_load_methodE3ELS4_3ELS4_3ELNS0_20block_scan_algorithmE0ELj4294967295EEENS1_25partition_config_selectorILNS1_17partition_subalgoE3EjNS0_10empty_typeEbEEZZNS1_14partition_implILS8_3ELb0ES6_jNS0_17counting_iteratorIjlEEPS9_SE_NS0_5tupleIJPjSE_EEENSF_IJSE_SE_EEES9_SG_JZNS1_25segmented_radix_sort_implINS0_14default_configELb0EPK6__halfPSL_PKlPlN2at6native12_GLOBAL__N_18offset_tEEE10hipError_tPvRmT1_PNSt15iterator_traitsISZ_E10value_typeET2_T3_PNS10_IS15_E10value_typeET4_jRbjT5_S1B_jjP12ihipStream_tbEUljE_EEESW_SX_SY_S15_S19_S1B_T6_T7_T9_mT8_S1D_bDpT10_ENKUlT_T0_E_clISt17integral_constantIbLb0EES1Q_EEDaS1L_S1M_EUlS1L_E_NS1_11comp_targetILNS1_3genE5ELNS1_11target_archE942ELNS1_3gpuE9ELNS1_3repE0EEENS1_30default_config_static_selectorELNS0_4arch9wavefront6targetE0EEEvSZ_
; %bb.0:
	.section	.rodata,"a",@progbits
	.p2align	6, 0x0
	.amdhsa_kernel _ZN7rocprim17ROCPRIM_400000_NS6detail17trampoline_kernelINS0_13select_configILj256ELj13ELNS0_17block_load_methodE3ELS4_3ELS4_3ELNS0_20block_scan_algorithmE0ELj4294967295EEENS1_25partition_config_selectorILNS1_17partition_subalgoE3EjNS0_10empty_typeEbEEZZNS1_14partition_implILS8_3ELb0ES6_jNS0_17counting_iteratorIjlEEPS9_SE_NS0_5tupleIJPjSE_EEENSF_IJSE_SE_EEES9_SG_JZNS1_25segmented_radix_sort_implINS0_14default_configELb0EPK6__halfPSL_PKlPlN2at6native12_GLOBAL__N_18offset_tEEE10hipError_tPvRmT1_PNSt15iterator_traitsISZ_E10value_typeET2_T3_PNS10_IS15_E10value_typeET4_jRbjT5_S1B_jjP12ihipStream_tbEUljE_EEESW_SX_SY_S15_S19_S1B_T6_T7_T9_mT8_S1D_bDpT10_ENKUlT_T0_E_clISt17integral_constantIbLb0EES1Q_EEDaS1L_S1M_EUlS1L_E_NS1_11comp_targetILNS1_3genE5ELNS1_11target_archE942ELNS1_3gpuE9ELNS1_3repE0EEENS1_30default_config_static_selectorELNS0_4arch9wavefront6targetE0EEEvSZ_
		.amdhsa_group_segment_fixed_size 0
		.amdhsa_private_segment_fixed_size 0
		.amdhsa_kernarg_size 144
		.amdhsa_user_sgpr_count 2
		.amdhsa_user_sgpr_dispatch_ptr 0
		.amdhsa_user_sgpr_queue_ptr 0
		.amdhsa_user_sgpr_kernarg_segment_ptr 1
		.amdhsa_user_sgpr_dispatch_id 0
		.amdhsa_user_sgpr_private_segment_size 0
		.amdhsa_wavefront_size32 1
		.amdhsa_uses_dynamic_stack 0
		.amdhsa_enable_private_segment 0
		.amdhsa_system_sgpr_workgroup_id_x 1
		.amdhsa_system_sgpr_workgroup_id_y 0
		.amdhsa_system_sgpr_workgroup_id_z 0
		.amdhsa_system_sgpr_workgroup_info 0
		.amdhsa_system_vgpr_workitem_id 0
		.amdhsa_next_free_vgpr 1
		.amdhsa_next_free_sgpr 1
		.amdhsa_reserve_vcc 0
		.amdhsa_float_round_mode_32 0
		.amdhsa_float_round_mode_16_64 0
		.amdhsa_float_denorm_mode_32 3
		.amdhsa_float_denorm_mode_16_64 3
		.amdhsa_fp16_overflow 0
		.amdhsa_workgroup_processor_mode 1
		.amdhsa_memory_ordered 1
		.amdhsa_forward_progress 1
		.amdhsa_inst_pref_size 0
		.amdhsa_round_robin_scheduling 0
		.amdhsa_exception_fp_ieee_invalid_op 0
		.amdhsa_exception_fp_denorm_src 0
		.amdhsa_exception_fp_ieee_div_zero 0
		.amdhsa_exception_fp_ieee_overflow 0
		.amdhsa_exception_fp_ieee_underflow 0
		.amdhsa_exception_fp_ieee_inexact 0
		.amdhsa_exception_int_div_zero 0
	.end_amdhsa_kernel
	.section	.text._ZN7rocprim17ROCPRIM_400000_NS6detail17trampoline_kernelINS0_13select_configILj256ELj13ELNS0_17block_load_methodE3ELS4_3ELS4_3ELNS0_20block_scan_algorithmE0ELj4294967295EEENS1_25partition_config_selectorILNS1_17partition_subalgoE3EjNS0_10empty_typeEbEEZZNS1_14partition_implILS8_3ELb0ES6_jNS0_17counting_iteratorIjlEEPS9_SE_NS0_5tupleIJPjSE_EEENSF_IJSE_SE_EEES9_SG_JZNS1_25segmented_radix_sort_implINS0_14default_configELb0EPK6__halfPSL_PKlPlN2at6native12_GLOBAL__N_18offset_tEEE10hipError_tPvRmT1_PNSt15iterator_traitsISZ_E10value_typeET2_T3_PNS10_IS15_E10value_typeET4_jRbjT5_S1B_jjP12ihipStream_tbEUljE_EEESW_SX_SY_S15_S19_S1B_T6_T7_T9_mT8_S1D_bDpT10_ENKUlT_T0_E_clISt17integral_constantIbLb0EES1Q_EEDaS1L_S1M_EUlS1L_E_NS1_11comp_targetILNS1_3genE5ELNS1_11target_archE942ELNS1_3gpuE9ELNS1_3repE0EEENS1_30default_config_static_selectorELNS0_4arch9wavefront6targetE0EEEvSZ_,"axG",@progbits,_ZN7rocprim17ROCPRIM_400000_NS6detail17trampoline_kernelINS0_13select_configILj256ELj13ELNS0_17block_load_methodE3ELS4_3ELS4_3ELNS0_20block_scan_algorithmE0ELj4294967295EEENS1_25partition_config_selectorILNS1_17partition_subalgoE3EjNS0_10empty_typeEbEEZZNS1_14partition_implILS8_3ELb0ES6_jNS0_17counting_iteratorIjlEEPS9_SE_NS0_5tupleIJPjSE_EEENSF_IJSE_SE_EEES9_SG_JZNS1_25segmented_radix_sort_implINS0_14default_configELb0EPK6__halfPSL_PKlPlN2at6native12_GLOBAL__N_18offset_tEEE10hipError_tPvRmT1_PNSt15iterator_traitsISZ_E10value_typeET2_T3_PNS10_IS15_E10value_typeET4_jRbjT5_S1B_jjP12ihipStream_tbEUljE_EEESW_SX_SY_S15_S19_S1B_T6_T7_T9_mT8_S1D_bDpT10_ENKUlT_T0_E_clISt17integral_constantIbLb0EES1Q_EEDaS1L_S1M_EUlS1L_E_NS1_11comp_targetILNS1_3genE5ELNS1_11target_archE942ELNS1_3gpuE9ELNS1_3repE0EEENS1_30default_config_static_selectorELNS0_4arch9wavefront6targetE0EEEvSZ_,comdat
.Lfunc_end1811:
	.size	_ZN7rocprim17ROCPRIM_400000_NS6detail17trampoline_kernelINS0_13select_configILj256ELj13ELNS0_17block_load_methodE3ELS4_3ELS4_3ELNS0_20block_scan_algorithmE0ELj4294967295EEENS1_25partition_config_selectorILNS1_17partition_subalgoE3EjNS0_10empty_typeEbEEZZNS1_14partition_implILS8_3ELb0ES6_jNS0_17counting_iteratorIjlEEPS9_SE_NS0_5tupleIJPjSE_EEENSF_IJSE_SE_EEES9_SG_JZNS1_25segmented_radix_sort_implINS0_14default_configELb0EPK6__halfPSL_PKlPlN2at6native12_GLOBAL__N_18offset_tEEE10hipError_tPvRmT1_PNSt15iterator_traitsISZ_E10value_typeET2_T3_PNS10_IS15_E10value_typeET4_jRbjT5_S1B_jjP12ihipStream_tbEUljE_EEESW_SX_SY_S15_S19_S1B_T6_T7_T9_mT8_S1D_bDpT10_ENKUlT_T0_E_clISt17integral_constantIbLb0EES1Q_EEDaS1L_S1M_EUlS1L_E_NS1_11comp_targetILNS1_3genE5ELNS1_11target_archE942ELNS1_3gpuE9ELNS1_3repE0EEENS1_30default_config_static_selectorELNS0_4arch9wavefront6targetE0EEEvSZ_, .Lfunc_end1811-_ZN7rocprim17ROCPRIM_400000_NS6detail17trampoline_kernelINS0_13select_configILj256ELj13ELNS0_17block_load_methodE3ELS4_3ELS4_3ELNS0_20block_scan_algorithmE0ELj4294967295EEENS1_25partition_config_selectorILNS1_17partition_subalgoE3EjNS0_10empty_typeEbEEZZNS1_14partition_implILS8_3ELb0ES6_jNS0_17counting_iteratorIjlEEPS9_SE_NS0_5tupleIJPjSE_EEENSF_IJSE_SE_EEES9_SG_JZNS1_25segmented_radix_sort_implINS0_14default_configELb0EPK6__halfPSL_PKlPlN2at6native12_GLOBAL__N_18offset_tEEE10hipError_tPvRmT1_PNSt15iterator_traitsISZ_E10value_typeET2_T3_PNS10_IS15_E10value_typeET4_jRbjT5_S1B_jjP12ihipStream_tbEUljE_EEESW_SX_SY_S15_S19_S1B_T6_T7_T9_mT8_S1D_bDpT10_ENKUlT_T0_E_clISt17integral_constantIbLb0EES1Q_EEDaS1L_S1M_EUlS1L_E_NS1_11comp_targetILNS1_3genE5ELNS1_11target_archE942ELNS1_3gpuE9ELNS1_3repE0EEENS1_30default_config_static_selectorELNS0_4arch9wavefront6targetE0EEEvSZ_
                                        ; -- End function
	.set _ZN7rocprim17ROCPRIM_400000_NS6detail17trampoline_kernelINS0_13select_configILj256ELj13ELNS0_17block_load_methodE3ELS4_3ELS4_3ELNS0_20block_scan_algorithmE0ELj4294967295EEENS1_25partition_config_selectorILNS1_17partition_subalgoE3EjNS0_10empty_typeEbEEZZNS1_14partition_implILS8_3ELb0ES6_jNS0_17counting_iteratorIjlEEPS9_SE_NS0_5tupleIJPjSE_EEENSF_IJSE_SE_EEES9_SG_JZNS1_25segmented_radix_sort_implINS0_14default_configELb0EPK6__halfPSL_PKlPlN2at6native12_GLOBAL__N_18offset_tEEE10hipError_tPvRmT1_PNSt15iterator_traitsISZ_E10value_typeET2_T3_PNS10_IS15_E10value_typeET4_jRbjT5_S1B_jjP12ihipStream_tbEUljE_EEESW_SX_SY_S15_S19_S1B_T6_T7_T9_mT8_S1D_bDpT10_ENKUlT_T0_E_clISt17integral_constantIbLb0EES1Q_EEDaS1L_S1M_EUlS1L_E_NS1_11comp_targetILNS1_3genE5ELNS1_11target_archE942ELNS1_3gpuE9ELNS1_3repE0EEENS1_30default_config_static_selectorELNS0_4arch9wavefront6targetE0EEEvSZ_.num_vgpr, 0
	.set _ZN7rocprim17ROCPRIM_400000_NS6detail17trampoline_kernelINS0_13select_configILj256ELj13ELNS0_17block_load_methodE3ELS4_3ELS4_3ELNS0_20block_scan_algorithmE0ELj4294967295EEENS1_25partition_config_selectorILNS1_17partition_subalgoE3EjNS0_10empty_typeEbEEZZNS1_14partition_implILS8_3ELb0ES6_jNS0_17counting_iteratorIjlEEPS9_SE_NS0_5tupleIJPjSE_EEENSF_IJSE_SE_EEES9_SG_JZNS1_25segmented_radix_sort_implINS0_14default_configELb0EPK6__halfPSL_PKlPlN2at6native12_GLOBAL__N_18offset_tEEE10hipError_tPvRmT1_PNSt15iterator_traitsISZ_E10value_typeET2_T3_PNS10_IS15_E10value_typeET4_jRbjT5_S1B_jjP12ihipStream_tbEUljE_EEESW_SX_SY_S15_S19_S1B_T6_T7_T9_mT8_S1D_bDpT10_ENKUlT_T0_E_clISt17integral_constantIbLb0EES1Q_EEDaS1L_S1M_EUlS1L_E_NS1_11comp_targetILNS1_3genE5ELNS1_11target_archE942ELNS1_3gpuE9ELNS1_3repE0EEENS1_30default_config_static_selectorELNS0_4arch9wavefront6targetE0EEEvSZ_.num_agpr, 0
	.set _ZN7rocprim17ROCPRIM_400000_NS6detail17trampoline_kernelINS0_13select_configILj256ELj13ELNS0_17block_load_methodE3ELS4_3ELS4_3ELNS0_20block_scan_algorithmE0ELj4294967295EEENS1_25partition_config_selectorILNS1_17partition_subalgoE3EjNS0_10empty_typeEbEEZZNS1_14partition_implILS8_3ELb0ES6_jNS0_17counting_iteratorIjlEEPS9_SE_NS0_5tupleIJPjSE_EEENSF_IJSE_SE_EEES9_SG_JZNS1_25segmented_radix_sort_implINS0_14default_configELb0EPK6__halfPSL_PKlPlN2at6native12_GLOBAL__N_18offset_tEEE10hipError_tPvRmT1_PNSt15iterator_traitsISZ_E10value_typeET2_T3_PNS10_IS15_E10value_typeET4_jRbjT5_S1B_jjP12ihipStream_tbEUljE_EEESW_SX_SY_S15_S19_S1B_T6_T7_T9_mT8_S1D_bDpT10_ENKUlT_T0_E_clISt17integral_constantIbLb0EES1Q_EEDaS1L_S1M_EUlS1L_E_NS1_11comp_targetILNS1_3genE5ELNS1_11target_archE942ELNS1_3gpuE9ELNS1_3repE0EEENS1_30default_config_static_selectorELNS0_4arch9wavefront6targetE0EEEvSZ_.numbered_sgpr, 0
	.set _ZN7rocprim17ROCPRIM_400000_NS6detail17trampoline_kernelINS0_13select_configILj256ELj13ELNS0_17block_load_methodE3ELS4_3ELS4_3ELNS0_20block_scan_algorithmE0ELj4294967295EEENS1_25partition_config_selectorILNS1_17partition_subalgoE3EjNS0_10empty_typeEbEEZZNS1_14partition_implILS8_3ELb0ES6_jNS0_17counting_iteratorIjlEEPS9_SE_NS0_5tupleIJPjSE_EEENSF_IJSE_SE_EEES9_SG_JZNS1_25segmented_radix_sort_implINS0_14default_configELb0EPK6__halfPSL_PKlPlN2at6native12_GLOBAL__N_18offset_tEEE10hipError_tPvRmT1_PNSt15iterator_traitsISZ_E10value_typeET2_T3_PNS10_IS15_E10value_typeET4_jRbjT5_S1B_jjP12ihipStream_tbEUljE_EEESW_SX_SY_S15_S19_S1B_T6_T7_T9_mT8_S1D_bDpT10_ENKUlT_T0_E_clISt17integral_constantIbLb0EES1Q_EEDaS1L_S1M_EUlS1L_E_NS1_11comp_targetILNS1_3genE5ELNS1_11target_archE942ELNS1_3gpuE9ELNS1_3repE0EEENS1_30default_config_static_selectorELNS0_4arch9wavefront6targetE0EEEvSZ_.num_named_barrier, 0
	.set _ZN7rocprim17ROCPRIM_400000_NS6detail17trampoline_kernelINS0_13select_configILj256ELj13ELNS0_17block_load_methodE3ELS4_3ELS4_3ELNS0_20block_scan_algorithmE0ELj4294967295EEENS1_25partition_config_selectorILNS1_17partition_subalgoE3EjNS0_10empty_typeEbEEZZNS1_14partition_implILS8_3ELb0ES6_jNS0_17counting_iteratorIjlEEPS9_SE_NS0_5tupleIJPjSE_EEENSF_IJSE_SE_EEES9_SG_JZNS1_25segmented_radix_sort_implINS0_14default_configELb0EPK6__halfPSL_PKlPlN2at6native12_GLOBAL__N_18offset_tEEE10hipError_tPvRmT1_PNSt15iterator_traitsISZ_E10value_typeET2_T3_PNS10_IS15_E10value_typeET4_jRbjT5_S1B_jjP12ihipStream_tbEUljE_EEESW_SX_SY_S15_S19_S1B_T6_T7_T9_mT8_S1D_bDpT10_ENKUlT_T0_E_clISt17integral_constantIbLb0EES1Q_EEDaS1L_S1M_EUlS1L_E_NS1_11comp_targetILNS1_3genE5ELNS1_11target_archE942ELNS1_3gpuE9ELNS1_3repE0EEENS1_30default_config_static_selectorELNS0_4arch9wavefront6targetE0EEEvSZ_.private_seg_size, 0
	.set _ZN7rocprim17ROCPRIM_400000_NS6detail17trampoline_kernelINS0_13select_configILj256ELj13ELNS0_17block_load_methodE3ELS4_3ELS4_3ELNS0_20block_scan_algorithmE0ELj4294967295EEENS1_25partition_config_selectorILNS1_17partition_subalgoE3EjNS0_10empty_typeEbEEZZNS1_14partition_implILS8_3ELb0ES6_jNS0_17counting_iteratorIjlEEPS9_SE_NS0_5tupleIJPjSE_EEENSF_IJSE_SE_EEES9_SG_JZNS1_25segmented_radix_sort_implINS0_14default_configELb0EPK6__halfPSL_PKlPlN2at6native12_GLOBAL__N_18offset_tEEE10hipError_tPvRmT1_PNSt15iterator_traitsISZ_E10value_typeET2_T3_PNS10_IS15_E10value_typeET4_jRbjT5_S1B_jjP12ihipStream_tbEUljE_EEESW_SX_SY_S15_S19_S1B_T6_T7_T9_mT8_S1D_bDpT10_ENKUlT_T0_E_clISt17integral_constantIbLb0EES1Q_EEDaS1L_S1M_EUlS1L_E_NS1_11comp_targetILNS1_3genE5ELNS1_11target_archE942ELNS1_3gpuE9ELNS1_3repE0EEENS1_30default_config_static_selectorELNS0_4arch9wavefront6targetE0EEEvSZ_.uses_vcc, 0
	.set _ZN7rocprim17ROCPRIM_400000_NS6detail17trampoline_kernelINS0_13select_configILj256ELj13ELNS0_17block_load_methodE3ELS4_3ELS4_3ELNS0_20block_scan_algorithmE0ELj4294967295EEENS1_25partition_config_selectorILNS1_17partition_subalgoE3EjNS0_10empty_typeEbEEZZNS1_14partition_implILS8_3ELb0ES6_jNS0_17counting_iteratorIjlEEPS9_SE_NS0_5tupleIJPjSE_EEENSF_IJSE_SE_EEES9_SG_JZNS1_25segmented_radix_sort_implINS0_14default_configELb0EPK6__halfPSL_PKlPlN2at6native12_GLOBAL__N_18offset_tEEE10hipError_tPvRmT1_PNSt15iterator_traitsISZ_E10value_typeET2_T3_PNS10_IS15_E10value_typeET4_jRbjT5_S1B_jjP12ihipStream_tbEUljE_EEESW_SX_SY_S15_S19_S1B_T6_T7_T9_mT8_S1D_bDpT10_ENKUlT_T0_E_clISt17integral_constantIbLb0EES1Q_EEDaS1L_S1M_EUlS1L_E_NS1_11comp_targetILNS1_3genE5ELNS1_11target_archE942ELNS1_3gpuE9ELNS1_3repE0EEENS1_30default_config_static_selectorELNS0_4arch9wavefront6targetE0EEEvSZ_.uses_flat_scratch, 0
	.set _ZN7rocprim17ROCPRIM_400000_NS6detail17trampoline_kernelINS0_13select_configILj256ELj13ELNS0_17block_load_methodE3ELS4_3ELS4_3ELNS0_20block_scan_algorithmE0ELj4294967295EEENS1_25partition_config_selectorILNS1_17partition_subalgoE3EjNS0_10empty_typeEbEEZZNS1_14partition_implILS8_3ELb0ES6_jNS0_17counting_iteratorIjlEEPS9_SE_NS0_5tupleIJPjSE_EEENSF_IJSE_SE_EEES9_SG_JZNS1_25segmented_radix_sort_implINS0_14default_configELb0EPK6__halfPSL_PKlPlN2at6native12_GLOBAL__N_18offset_tEEE10hipError_tPvRmT1_PNSt15iterator_traitsISZ_E10value_typeET2_T3_PNS10_IS15_E10value_typeET4_jRbjT5_S1B_jjP12ihipStream_tbEUljE_EEESW_SX_SY_S15_S19_S1B_T6_T7_T9_mT8_S1D_bDpT10_ENKUlT_T0_E_clISt17integral_constantIbLb0EES1Q_EEDaS1L_S1M_EUlS1L_E_NS1_11comp_targetILNS1_3genE5ELNS1_11target_archE942ELNS1_3gpuE9ELNS1_3repE0EEENS1_30default_config_static_selectorELNS0_4arch9wavefront6targetE0EEEvSZ_.has_dyn_sized_stack, 0
	.set _ZN7rocprim17ROCPRIM_400000_NS6detail17trampoline_kernelINS0_13select_configILj256ELj13ELNS0_17block_load_methodE3ELS4_3ELS4_3ELNS0_20block_scan_algorithmE0ELj4294967295EEENS1_25partition_config_selectorILNS1_17partition_subalgoE3EjNS0_10empty_typeEbEEZZNS1_14partition_implILS8_3ELb0ES6_jNS0_17counting_iteratorIjlEEPS9_SE_NS0_5tupleIJPjSE_EEENSF_IJSE_SE_EEES9_SG_JZNS1_25segmented_radix_sort_implINS0_14default_configELb0EPK6__halfPSL_PKlPlN2at6native12_GLOBAL__N_18offset_tEEE10hipError_tPvRmT1_PNSt15iterator_traitsISZ_E10value_typeET2_T3_PNS10_IS15_E10value_typeET4_jRbjT5_S1B_jjP12ihipStream_tbEUljE_EEESW_SX_SY_S15_S19_S1B_T6_T7_T9_mT8_S1D_bDpT10_ENKUlT_T0_E_clISt17integral_constantIbLb0EES1Q_EEDaS1L_S1M_EUlS1L_E_NS1_11comp_targetILNS1_3genE5ELNS1_11target_archE942ELNS1_3gpuE9ELNS1_3repE0EEENS1_30default_config_static_selectorELNS0_4arch9wavefront6targetE0EEEvSZ_.has_recursion, 0
	.set _ZN7rocprim17ROCPRIM_400000_NS6detail17trampoline_kernelINS0_13select_configILj256ELj13ELNS0_17block_load_methodE3ELS4_3ELS4_3ELNS0_20block_scan_algorithmE0ELj4294967295EEENS1_25partition_config_selectorILNS1_17partition_subalgoE3EjNS0_10empty_typeEbEEZZNS1_14partition_implILS8_3ELb0ES6_jNS0_17counting_iteratorIjlEEPS9_SE_NS0_5tupleIJPjSE_EEENSF_IJSE_SE_EEES9_SG_JZNS1_25segmented_radix_sort_implINS0_14default_configELb0EPK6__halfPSL_PKlPlN2at6native12_GLOBAL__N_18offset_tEEE10hipError_tPvRmT1_PNSt15iterator_traitsISZ_E10value_typeET2_T3_PNS10_IS15_E10value_typeET4_jRbjT5_S1B_jjP12ihipStream_tbEUljE_EEESW_SX_SY_S15_S19_S1B_T6_T7_T9_mT8_S1D_bDpT10_ENKUlT_T0_E_clISt17integral_constantIbLb0EES1Q_EEDaS1L_S1M_EUlS1L_E_NS1_11comp_targetILNS1_3genE5ELNS1_11target_archE942ELNS1_3gpuE9ELNS1_3repE0EEENS1_30default_config_static_selectorELNS0_4arch9wavefront6targetE0EEEvSZ_.has_indirect_call, 0
	.section	.AMDGPU.csdata,"",@progbits
; Kernel info:
; codeLenInByte = 0
; TotalNumSgprs: 0
; NumVgprs: 0
; ScratchSize: 0
; MemoryBound: 0
; FloatMode: 240
; IeeeMode: 1
; LDSByteSize: 0 bytes/workgroup (compile time only)
; SGPRBlocks: 0
; VGPRBlocks: 0
; NumSGPRsForWavesPerEU: 1
; NumVGPRsForWavesPerEU: 1
; Occupancy: 16
; WaveLimiterHint : 0
; COMPUTE_PGM_RSRC2:SCRATCH_EN: 0
; COMPUTE_PGM_RSRC2:USER_SGPR: 2
; COMPUTE_PGM_RSRC2:TRAP_HANDLER: 0
; COMPUTE_PGM_RSRC2:TGID_X_EN: 1
; COMPUTE_PGM_RSRC2:TGID_Y_EN: 0
; COMPUTE_PGM_RSRC2:TGID_Z_EN: 0
; COMPUTE_PGM_RSRC2:TIDIG_COMP_CNT: 0
	.section	.text._ZN7rocprim17ROCPRIM_400000_NS6detail17trampoline_kernelINS0_13select_configILj256ELj13ELNS0_17block_load_methodE3ELS4_3ELS4_3ELNS0_20block_scan_algorithmE0ELj4294967295EEENS1_25partition_config_selectorILNS1_17partition_subalgoE3EjNS0_10empty_typeEbEEZZNS1_14partition_implILS8_3ELb0ES6_jNS0_17counting_iteratorIjlEEPS9_SE_NS0_5tupleIJPjSE_EEENSF_IJSE_SE_EEES9_SG_JZNS1_25segmented_radix_sort_implINS0_14default_configELb0EPK6__halfPSL_PKlPlN2at6native12_GLOBAL__N_18offset_tEEE10hipError_tPvRmT1_PNSt15iterator_traitsISZ_E10value_typeET2_T3_PNS10_IS15_E10value_typeET4_jRbjT5_S1B_jjP12ihipStream_tbEUljE_EEESW_SX_SY_S15_S19_S1B_T6_T7_T9_mT8_S1D_bDpT10_ENKUlT_T0_E_clISt17integral_constantIbLb0EES1Q_EEDaS1L_S1M_EUlS1L_E_NS1_11comp_targetILNS1_3genE4ELNS1_11target_archE910ELNS1_3gpuE8ELNS1_3repE0EEENS1_30default_config_static_selectorELNS0_4arch9wavefront6targetE0EEEvSZ_,"axG",@progbits,_ZN7rocprim17ROCPRIM_400000_NS6detail17trampoline_kernelINS0_13select_configILj256ELj13ELNS0_17block_load_methodE3ELS4_3ELS4_3ELNS0_20block_scan_algorithmE0ELj4294967295EEENS1_25partition_config_selectorILNS1_17partition_subalgoE3EjNS0_10empty_typeEbEEZZNS1_14partition_implILS8_3ELb0ES6_jNS0_17counting_iteratorIjlEEPS9_SE_NS0_5tupleIJPjSE_EEENSF_IJSE_SE_EEES9_SG_JZNS1_25segmented_radix_sort_implINS0_14default_configELb0EPK6__halfPSL_PKlPlN2at6native12_GLOBAL__N_18offset_tEEE10hipError_tPvRmT1_PNSt15iterator_traitsISZ_E10value_typeET2_T3_PNS10_IS15_E10value_typeET4_jRbjT5_S1B_jjP12ihipStream_tbEUljE_EEESW_SX_SY_S15_S19_S1B_T6_T7_T9_mT8_S1D_bDpT10_ENKUlT_T0_E_clISt17integral_constantIbLb0EES1Q_EEDaS1L_S1M_EUlS1L_E_NS1_11comp_targetILNS1_3genE4ELNS1_11target_archE910ELNS1_3gpuE8ELNS1_3repE0EEENS1_30default_config_static_selectorELNS0_4arch9wavefront6targetE0EEEvSZ_,comdat
	.globl	_ZN7rocprim17ROCPRIM_400000_NS6detail17trampoline_kernelINS0_13select_configILj256ELj13ELNS0_17block_load_methodE3ELS4_3ELS4_3ELNS0_20block_scan_algorithmE0ELj4294967295EEENS1_25partition_config_selectorILNS1_17partition_subalgoE3EjNS0_10empty_typeEbEEZZNS1_14partition_implILS8_3ELb0ES6_jNS0_17counting_iteratorIjlEEPS9_SE_NS0_5tupleIJPjSE_EEENSF_IJSE_SE_EEES9_SG_JZNS1_25segmented_radix_sort_implINS0_14default_configELb0EPK6__halfPSL_PKlPlN2at6native12_GLOBAL__N_18offset_tEEE10hipError_tPvRmT1_PNSt15iterator_traitsISZ_E10value_typeET2_T3_PNS10_IS15_E10value_typeET4_jRbjT5_S1B_jjP12ihipStream_tbEUljE_EEESW_SX_SY_S15_S19_S1B_T6_T7_T9_mT8_S1D_bDpT10_ENKUlT_T0_E_clISt17integral_constantIbLb0EES1Q_EEDaS1L_S1M_EUlS1L_E_NS1_11comp_targetILNS1_3genE4ELNS1_11target_archE910ELNS1_3gpuE8ELNS1_3repE0EEENS1_30default_config_static_selectorELNS0_4arch9wavefront6targetE0EEEvSZ_ ; -- Begin function _ZN7rocprim17ROCPRIM_400000_NS6detail17trampoline_kernelINS0_13select_configILj256ELj13ELNS0_17block_load_methodE3ELS4_3ELS4_3ELNS0_20block_scan_algorithmE0ELj4294967295EEENS1_25partition_config_selectorILNS1_17partition_subalgoE3EjNS0_10empty_typeEbEEZZNS1_14partition_implILS8_3ELb0ES6_jNS0_17counting_iteratorIjlEEPS9_SE_NS0_5tupleIJPjSE_EEENSF_IJSE_SE_EEES9_SG_JZNS1_25segmented_radix_sort_implINS0_14default_configELb0EPK6__halfPSL_PKlPlN2at6native12_GLOBAL__N_18offset_tEEE10hipError_tPvRmT1_PNSt15iterator_traitsISZ_E10value_typeET2_T3_PNS10_IS15_E10value_typeET4_jRbjT5_S1B_jjP12ihipStream_tbEUljE_EEESW_SX_SY_S15_S19_S1B_T6_T7_T9_mT8_S1D_bDpT10_ENKUlT_T0_E_clISt17integral_constantIbLb0EES1Q_EEDaS1L_S1M_EUlS1L_E_NS1_11comp_targetILNS1_3genE4ELNS1_11target_archE910ELNS1_3gpuE8ELNS1_3repE0EEENS1_30default_config_static_selectorELNS0_4arch9wavefront6targetE0EEEvSZ_
	.p2align	8
	.type	_ZN7rocprim17ROCPRIM_400000_NS6detail17trampoline_kernelINS0_13select_configILj256ELj13ELNS0_17block_load_methodE3ELS4_3ELS4_3ELNS0_20block_scan_algorithmE0ELj4294967295EEENS1_25partition_config_selectorILNS1_17partition_subalgoE3EjNS0_10empty_typeEbEEZZNS1_14partition_implILS8_3ELb0ES6_jNS0_17counting_iteratorIjlEEPS9_SE_NS0_5tupleIJPjSE_EEENSF_IJSE_SE_EEES9_SG_JZNS1_25segmented_radix_sort_implINS0_14default_configELb0EPK6__halfPSL_PKlPlN2at6native12_GLOBAL__N_18offset_tEEE10hipError_tPvRmT1_PNSt15iterator_traitsISZ_E10value_typeET2_T3_PNS10_IS15_E10value_typeET4_jRbjT5_S1B_jjP12ihipStream_tbEUljE_EEESW_SX_SY_S15_S19_S1B_T6_T7_T9_mT8_S1D_bDpT10_ENKUlT_T0_E_clISt17integral_constantIbLb0EES1Q_EEDaS1L_S1M_EUlS1L_E_NS1_11comp_targetILNS1_3genE4ELNS1_11target_archE910ELNS1_3gpuE8ELNS1_3repE0EEENS1_30default_config_static_selectorELNS0_4arch9wavefront6targetE0EEEvSZ_,@function
_ZN7rocprim17ROCPRIM_400000_NS6detail17trampoline_kernelINS0_13select_configILj256ELj13ELNS0_17block_load_methodE3ELS4_3ELS4_3ELNS0_20block_scan_algorithmE0ELj4294967295EEENS1_25partition_config_selectorILNS1_17partition_subalgoE3EjNS0_10empty_typeEbEEZZNS1_14partition_implILS8_3ELb0ES6_jNS0_17counting_iteratorIjlEEPS9_SE_NS0_5tupleIJPjSE_EEENSF_IJSE_SE_EEES9_SG_JZNS1_25segmented_radix_sort_implINS0_14default_configELb0EPK6__halfPSL_PKlPlN2at6native12_GLOBAL__N_18offset_tEEE10hipError_tPvRmT1_PNSt15iterator_traitsISZ_E10value_typeET2_T3_PNS10_IS15_E10value_typeET4_jRbjT5_S1B_jjP12ihipStream_tbEUljE_EEESW_SX_SY_S15_S19_S1B_T6_T7_T9_mT8_S1D_bDpT10_ENKUlT_T0_E_clISt17integral_constantIbLb0EES1Q_EEDaS1L_S1M_EUlS1L_E_NS1_11comp_targetILNS1_3genE4ELNS1_11target_archE910ELNS1_3gpuE8ELNS1_3repE0EEENS1_30default_config_static_selectorELNS0_4arch9wavefront6targetE0EEEvSZ_: ; @_ZN7rocprim17ROCPRIM_400000_NS6detail17trampoline_kernelINS0_13select_configILj256ELj13ELNS0_17block_load_methodE3ELS4_3ELS4_3ELNS0_20block_scan_algorithmE0ELj4294967295EEENS1_25partition_config_selectorILNS1_17partition_subalgoE3EjNS0_10empty_typeEbEEZZNS1_14partition_implILS8_3ELb0ES6_jNS0_17counting_iteratorIjlEEPS9_SE_NS0_5tupleIJPjSE_EEENSF_IJSE_SE_EEES9_SG_JZNS1_25segmented_radix_sort_implINS0_14default_configELb0EPK6__halfPSL_PKlPlN2at6native12_GLOBAL__N_18offset_tEEE10hipError_tPvRmT1_PNSt15iterator_traitsISZ_E10value_typeET2_T3_PNS10_IS15_E10value_typeET4_jRbjT5_S1B_jjP12ihipStream_tbEUljE_EEESW_SX_SY_S15_S19_S1B_T6_T7_T9_mT8_S1D_bDpT10_ENKUlT_T0_E_clISt17integral_constantIbLb0EES1Q_EEDaS1L_S1M_EUlS1L_E_NS1_11comp_targetILNS1_3genE4ELNS1_11target_archE910ELNS1_3gpuE8ELNS1_3repE0EEENS1_30default_config_static_selectorELNS0_4arch9wavefront6targetE0EEEvSZ_
; %bb.0:
	.section	.rodata,"a",@progbits
	.p2align	6, 0x0
	.amdhsa_kernel _ZN7rocprim17ROCPRIM_400000_NS6detail17trampoline_kernelINS0_13select_configILj256ELj13ELNS0_17block_load_methodE3ELS4_3ELS4_3ELNS0_20block_scan_algorithmE0ELj4294967295EEENS1_25partition_config_selectorILNS1_17partition_subalgoE3EjNS0_10empty_typeEbEEZZNS1_14partition_implILS8_3ELb0ES6_jNS0_17counting_iteratorIjlEEPS9_SE_NS0_5tupleIJPjSE_EEENSF_IJSE_SE_EEES9_SG_JZNS1_25segmented_radix_sort_implINS0_14default_configELb0EPK6__halfPSL_PKlPlN2at6native12_GLOBAL__N_18offset_tEEE10hipError_tPvRmT1_PNSt15iterator_traitsISZ_E10value_typeET2_T3_PNS10_IS15_E10value_typeET4_jRbjT5_S1B_jjP12ihipStream_tbEUljE_EEESW_SX_SY_S15_S19_S1B_T6_T7_T9_mT8_S1D_bDpT10_ENKUlT_T0_E_clISt17integral_constantIbLb0EES1Q_EEDaS1L_S1M_EUlS1L_E_NS1_11comp_targetILNS1_3genE4ELNS1_11target_archE910ELNS1_3gpuE8ELNS1_3repE0EEENS1_30default_config_static_selectorELNS0_4arch9wavefront6targetE0EEEvSZ_
		.amdhsa_group_segment_fixed_size 0
		.amdhsa_private_segment_fixed_size 0
		.amdhsa_kernarg_size 144
		.amdhsa_user_sgpr_count 2
		.amdhsa_user_sgpr_dispatch_ptr 0
		.amdhsa_user_sgpr_queue_ptr 0
		.amdhsa_user_sgpr_kernarg_segment_ptr 1
		.amdhsa_user_sgpr_dispatch_id 0
		.amdhsa_user_sgpr_private_segment_size 0
		.amdhsa_wavefront_size32 1
		.amdhsa_uses_dynamic_stack 0
		.amdhsa_enable_private_segment 0
		.amdhsa_system_sgpr_workgroup_id_x 1
		.amdhsa_system_sgpr_workgroup_id_y 0
		.amdhsa_system_sgpr_workgroup_id_z 0
		.amdhsa_system_sgpr_workgroup_info 0
		.amdhsa_system_vgpr_workitem_id 0
		.amdhsa_next_free_vgpr 1
		.amdhsa_next_free_sgpr 1
		.amdhsa_reserve_vcc 0
		.amdhsa_float_round_mode_32 0
		.amdhsa_float_round_mode_16_64 0
		.amdhsa_float_denorm_mode_32 3
		.amdhsa_float_denorm_mode_16_64 3
		.amdhsa_fp16_overflow 0
		.amdhsa_workgroup_processor_mode 1
		.amdhsa_memory_ordered 1
		.amdhsa_forward_progress 1
		.amdhsa_inst_pref_size 0
		.amdhsa_round_robin_scheduling 0
		.amdhsa_exception_fp_ieee_invalid_op 0
		.amdhsa_exception_fp_denorm_src 0
		.amdhsa_exception_fp_ieee_div_zero 0
		.amdhsa_exception_fp_ieee_overflow 0
		.amdhsa_exception_fp_ieee_underflow 0
		.amdhsa_exception_fp_ieee_inexact 0
		.amdhsa_exception_int_div_zero 0
	.end_amdhsa_kernel
	.section	.text._ZN7rocprim17ROCPRIM_400000_NS6detail17trampoline_kernelINS0_13select_configILj256ELj13ELNS0_17block_load_methodE3ELS4_3ELS4_3ELNS0_20block_scan_algorithmE0ELj4294967295EEENS1_25partition_config_selectorILNS1_17partition_subalgoE3EjNS0_10empty_typeEbEEZZNS1_14partition_implILS8_3ELb0ES6_jNS0_17counting_iteratorIjlEEPS9_SE_NS0_5tupleIJPjSE_EEENSF_IJSE_SE_EEES9_SG_JZNS1_25segmented_radix_sort_implINS0_14default_configELb0EPK6__halfPSL_PKlPlN2at6native12_GLOBAL__N_18offset_tEEE10hipError_tPvRmT1_PNSt15iterator_traitsISZ_E10value_typeET2_T3_PNS10_IS15_E10value_typeET4_jRbjT5_S1B_jjP12ihipStream_tbEUljE_EEESW_SX_SY_S15_S19_S1B_T6_T7_T9_mT8_S1D_bDpT10_ENKUlT_T0_E_clISt17integral_constantIbLb0EES1Q_EEDaS1L_S1M_EUlS1L_E_NS1_11comp_targetILNS1_3genE4ELNS1_11target_archE910ELNS1_3gpuE8ELNS1_3repE0EEENS1_30default_config_static_selectorELNS0_4arch9wavefront6targetE0EEEvSZ_,"axG",@progbits,_ZN7rocprim17ROCPRIM_400000_NS6detail17trampoline_kernelINS0_13select_configILj256ELj13ELNS0_17block_load_methodE3ELS4_3ELS4_3ELNS0_20block_scan_algorithmE0ELj4294967295EEENS1_25partition_config_selectorILNS1_17partition_subalgoE3EjNS0_10empty_typeEbEEZZNS1_14partition_implILS8_3ELb0ES6_jNS0_17counting_iteratorIjlEEPS9_SE_NS0_5tupleIJPjSE_EEENSF_IJSE_SE_EEES9_SG_JZNS1_25segmented_radix_sort_implINS0_14default_configELb0EPK6__halfPSL_PKlPlN2at6native12_GLOBAL__N_18offset_tEEE10hipError_tPvRmT1_PNSt15iterator_traitsISZ_E10value_typeET2_T3_PNS10_IS15_E10value_typeET4_jRbjT5_S1B_jjP12ihipStream_tbEUljE_EEESW_SX_SY_S15_S19_S1B_T6_T7_T9_mT8_S1D_bDpT10_ENKUlT_T0_E_clISt17integral_constantIbLb0EES1Q_EEDaS1L_S1M_EUlS1L_E_NS1_11comp_targetILNS1_3genE4ELNS1_11target_archE910ELNS1_3gpuE8ELNS1_3repE0EEENS1_30default_config_static_selectorELNS0_4arch9wavefront6targetE0EEEvSZ_,comdat
.Lfunc_end1812:
	.size	_ZN7rocprim17ROCPRIM_400000_NS6detail17trampoline_kernelINS0_13select_configILj256ELj13ELNS0_17block_load_methodE3ELS4_3ELS4_3ELNS0_20block_scan_algorithmE0ELj4294967295EEENS1_25partition_config_selectorILNS1_17partition_subalgoE3EjNS0_10empty_typeEbEEZZNS1_14partition_implILS8_3ELb0ES6_jNS0_17counting_iteratorIjlEEPS9_SE_NS0_5tupleIJPjSE_EEENSF_IJSE_SE_EEES9_SG_JZNS1_25segmented_radix_sort_implINS0_14default_configELb0EPK6__halfPSL_PKlPlN2at6native12_GLOBAL__N_18offset_tEEE10hipError_tPvRmT1_PNSt15iterator_traitsISZ_E10value_typeET2_T3_PNS10_IS15_E10value_typeET4_jRbjT5_S1B_jjP12ihipStream_tbEUljE_EEESW_SX_SY_S15_S19_S1B_T6_T7_T9_mT8_S1D_bDpT10_ENKUlT_T0_E_clISt17integral_constantIbLb0EES1Q_EEDaS1L_S1M_EUlS1L_E_NS1_11comp_targetILNS1_3genE4ELNS1_11target_archE910ELNS1_3gpuE8ELNS1_3repE0EEENS1_30default_config_static_selectorELNS0_4arch9wavefront6targetE0EEEvSZ_, .Lfunc_end1812-_ZN7rocprim17ROCPRIM_400000_NS6detail17trampoline_kernelINS0_13select_configILj256ELj13ELNS0_17block_load_methodE3ELS4_3ELS4_3ELNS0_20block_scan_algorithmE0ELj4294967295EEENS1_25partition_config_selectorILNS1_17partition_subalgoE3EjNS0_10empty_typeEbEEZZNS1_14partition_implILS8_3ELb0ES6_jNS0_17counting_iteratorIjlEEPS9_SE_NS0_5tupleIJPjSE_EEENSF_IJSE_SE_EEES9_SG_JZNS1_25segmented_radix_sort_implINS0_14default_configELb0EPK6__halfPSL_PKlPlN2at6native12_GLOBAL__N_18offset_tEEE10hipError_tPvRmT1_PNSt15iterator_traitsISZ_E10value_typeET2_T3_PNS10_IS15_E10value_typeET4_jRbjT5_S1B_jjP12ihipStream_tbEUljE_EEESW_SX_SY_S15_S19_S1B_T6_T7_T9_mT8_S1D_bDpT10_ENKUlT_T0_E_clISt17integral_constantIbLb0EES1Q_EEDaS1L_S1M_EUlS1L_E_NS1_11comp_targetILNS1_3genE4ELNS1_11target_archE910ELNS1_3gpuE8ELNS1_3repE0EEENS1_30default_config_static_selectorELNS0_4arch9wavefront6targetE0EEEvSZ_
                                        ; -- End function
	.set _ZN7rocprim17ROCPRIM_400000_NS6detail17trampoline_kernelINS0_13select_configILj256ELj13ELNS0_17block_load_methodE3ELS4_3ELS4_3ELNS0_20block_scan_algorithmE0ELj4294967295EEENS1_25partition_config_selectorILNS1_17partition_subalgoE3EjNS0_10empty_typeEbEEZZNS1_14partition_implILS8_3ELb0ES6_jNS0_17counting_iteratorIjlEEPS9_SE_NS0_5tupleIJPjSE_EEENSF_IJSE_SE_EEES9_SG_JZNS1_25segmented_radix_sort_implINS0_14default_configELb0EPK6__halfPSL_PKlPlN2at6native12_GLOBAL__N_18offset_tEEE10hipError_tPvRmT1_PNSt15iterator_traitsISZ_E10value_typeET2_T3_PNS10_IS15_E10value_typeET4_jRbjT5_S1B_jjP12ihipStream_tbEUljE_EEESW_SX_SY_S15_S19_S1B_T6_T7_T9_mT8_S1D_bDpT10_ENKUlT_T0_E_clISt17integral_constantIbLb0EES1Q_EEDaS1L_S1M_EUlS1L_E_NS1_11comp_targetILNS1_3genE4ELNS1_11target_archE910ELNS1_3gpuE8ELNS1_3repE0EEENS1_30default_config_static_selectorELNS0_4arch9wavefront6targetE0EEEvSZ_.num_vgpr, 0
	.set _ZN7rocprim17ROCPRIM_400000_NS6detail17trampoline_kernelINS0_13select_configILj256ELj13ELNS0_17block_load_methodE3ELS4_3ELS4_3ELNS0_20block_scan_algorithmE0ELj4294967295EEENS1_25partition_config_selectorILNS1_17partition_subalgoE3EjNS0_10empty_typeEbEEZZNS1_14partition_implILS8_3ELb0ES6_jNS0_17counting_iteratorIjlEEPS9_SE_NS0_5tupleIJPjSE_EEENSF_IJSE_SE_EEES9_SG_JZNS1_25segmented_radix_sort_implINS0_14default_configELb0EPK6__halfPSL_PKlPlN2at6native12_GLOBAL__N_18offset_tEEE10hipError_tPvRmT1_PNSt15iterator_traitsISZ_E10value_typeET2_T3_PNS10_IS15_E10value_typeET4_jRbjT5_S1B_jjP12ihipStream_tbEUljE_EEESW_SX_SY_S15_S19_S1B_T6_T7_T9_mT8_S1D_bDpT10_ENKUlT_T0_E_clISt17integral_constantIbLb0EES1Q_EEDaS1L_S1M_EUlS1L_E_NS1_11comp_targetILNS1_3genE4ELNS1_11target_archE910ELNS1_3gpuE8ELNS1_3repE0EEENS1_30default_config_static_selectorELNS0_4arch9wavefront6targetE0EEEvSZ_.num_agpr, 0
	.set _ZN7rocprim17ROCPRIM_400000_NS6detail17trampoline_kernelINS0_13select_configILj256ELj13ELNS0_17block_load_methodE3ELS4_3ELS4_3ELNS0_20block_scan_algorithmE0ELj4294967295EEENS1_25partition_config_selectorILNS1_17partition_subalgoE3EjNS0_10empty_typeEbEEZZNS1_14partition_implILS8_3ELb0ES6_jNS0_17counting_iteratorIjlEEPS9_SE_NS0_5tupleIJPjSE_EEENSF_IJSE_SE_EEES9_SG_JZNS1_25segmented_radix_sort_implINS0_14default_configELb0EPK6__halfPSL_PKlPlN2at6native12_GLOBAL__N_18offset_tEEE10hipError_tPvRmT1_PNSt15iterator_traitsISZ_E10value_typeET2_T3_PNS10_IS15_E10value_typeET4_jRbjT5_S1B_jjP12ihipStream_tbEUljE_EEESW_SX_SY_S15_S19_S1B_T6_T7_T9_mT8_S1D_bDpT10_ENKUlT_T0_E_clISt17integral_constantIbLb0EES1Q_EEDaS1L_S1M_EUlS1L_E_NS1_11comp_targetILNS1_3genE4ELNS1_11target_archE910ELNS1_3gpuE8ELNS1_3repE0EEENS1_30default_config_static_selectorELNS0_4arch9wavefront6targetE0EEEvSZ_.numbered_sgpr, 0
	.set _ZN7rocprim17ROCPRIM_400000_NS6detail17trampoline_kernelINS0_13select_configILj256ELj13ELNS0_17block_load_methodE3ELS4_3ELS4_3ELNS0_20block_scan_algorithmE0ELj4294967295EEENS1_25partition_config_selectorILNS1_17partition_subalgoE3EjNS0_10empty_typeEbEEZZNS1_14partition_implILS8_3ELb0ES6_jNS0_17counting_iteratorIjlEEPS9_SE_NS0_5tupleIJPjSE_EEENSF_IJSE_SE_EEES9_SG_JZNS1_25segmented_radix_sort_implINS0_14default_configELb0EPK6__halfPSL_PKlPlN2at6native12_GLOBAL__N_18offset_tEEE10hipError_tPvRmT1_PNSt15iterator_traitsISZ_E10value_typeET2_T3_PNS10_IS15_E10value_typeET4_jRbjT5_S1B_jjP12ihipStream_tbEUljE_EEESW_SX_SY_S15_S19_S1B_T6_T7_T9_mT8_S1D_bDpT10_ENKUlT_T0_E_clISt17integral_constantIbLb0EES1Q_EEDaS1L_S1M_EUlS1L_E_NS1_11comp_targetILNS1_3genE4ELNS1_11target_archE910ELNS1_3gpuE8ELNS1_3repE0EEENS1_30default_config_static_selectorELNS0_4arch9wavefront6targetE0EEEvSZ_.num_named_barrier, 0
	.set _ZN7rocprim17ROCPRIM_400000_NS6detail17trampoline_kernelINS0_13select_configILj256ELj13ELNS0_17block_load_methodE3ELS4_3ELS4_3ELNS0_20block_scan_algorithmE0ELj4294967295EEENS1_25partition_config_selectorILNS1_17partition_subalgoE3EjNS0_10empty_typeEbEEZZNS1_14partition_implILS8_3ELb0ES6_jNS0_17counting_iteratorIjlEEPS9_SE_NS0_5tupleIJPjSE_EEENSF_IJSE_SE_EEES9_SG_JZNS1_25segmented_radix_sort_implINS0_14default_configELb0EPK6__halfPSL_PKlPlN2at6native12_GLOBAL__N_18offset_tEEE10hipError_tPvRmT1_PNSt15iterator_traitsISZ_E10value_typeET2_T3_PNS10_IS15_E10value_typeET4_jRbjT5_S1B_jjP12ihipStream_tbEUljE_EEESW_SX_SY_S15_S19_S1B_T6_T7_T9_mT8_S1D_bDpT10_ENKUlT_T0_E_clISt17integral_constantIbLb0EES1Q_EEDaS1L_S1M_EUlS1L_E_NS1_11comp_targetILNS1_3genE4ELNS1_11target_archE910ELNS1_3gpuE8ELNS1_3repE0EEENS1_30default_config_static_selectorELNS0_4arch9wavefront6targetE0EEEvSZ_.private_seg_size, 0
	.set _ZN7rocprim17ROCPRIM_400000_NS6detail17trampoline_kernelINS0_13select_configILj256ELj13ELNS0_17block_load_methodE3ELS4_3ELS4_3ELNS0_20block_scan_algorithmE0ELj4294967295EEENS1_25partition_config_selectorILNS1_17partition_subalgoE3EjNS0_10empty_typeEbEEZZNS1_14partition_implILS8_3ELb0ES6_jNS0_17counting_iteratorIjlEEPS9_SE_NS0_5tupleIJPjSE_EEENSF_IJSE_SE_EEES9_SG_JZNS1_25segmented_radix_sort_implINS0_14default_configELb0EPK6__halfPSL_PKlPlN2at6native12_GLOBAL__N_18offset_tEEE10hipError_tPvRmT1_PNSt15iterator_traitsISZ_E10value_typeET2_T3_PNS10_IS15_E10value_typeET4_jRbjT5_S1B_jjP12ihipStream_tbEUljE_EEESW_SX_SY_S15_S19_S1B_T6_T7_T9_mT8_S1D_bDpT10_ENKUlT_T0_E_clISt17integral_constantIbLb0EES1Q_EEDaS1L_S1M_EUlS1L_E_NS1_11comp_targetILNS1_3genE4ELNS1_11target_archE910ELNS1_3gpuE8ELNS1_3repE0EEENS1_30default_config_static_selectorELNS0_4arch9wavefront6targetE0EEEvSZ_.uses_vcc, 0
	.set _ZN7rocprim17ROCPRIM_400000_NS6detail17trampoline_kernelINS0_13select_configILj256ELj13ELNS0_17block_load_methodE3ELS4_3ELS4_3ELNS0_20block_scan_algorithmE0ELj4294967295EEENS1_25partition_config_selectorILNS1_17partition_subalgoE3EjNS0_10empty_typeEbEEZZNS1_14partition_implILS8_3ELb0ES6_jNS0_17counting_iteratorIjlEEPS9_SE_NS0_5tupleIJPjSE_EEENSF_IJSE_SE_EEES9_SG_JZNS1_25segmented_radix_sort_implINS0_14default_configELb0EPK6__halfPSL_PKlPlN2at6native12_GLOBAL__N_18offset_tEEE10hipError_tPvRmT1_PNSt15iterator_traitsISZ_E10value_typeET2_T3_PNS10_IS15_E10value_typeET4_jRbjT5_S1B_jjP12ihipStream_tbEUljE_EEESW_SX_SY_S15_S19_S1B_T6_T7_T9_mT8_S1D_bDpT10_ENKUlT_T0_E_clISt17integral_constantIbLb0EES1Q_EEDaS1L_S1M_EUlS1L_E_NS1_11comp_targetILNS1_3genE4ELNS1_11target_archE910ELNS1_3gpuE8ELNS1_3repE0EEENS1_30default_config_static_selectorELNS0_4arch9wavefront6targetE0EEEvSZ_.uses_flat_scratch, 0
	.set _ZN7rocprim17ROCPRIM_400000_NS6detail17trampoline_kernelINS0_13select_configILj256ELj13ELNS0_17block_load_methodE3ELS4_3ELS4_3ELNS0_20block_scan_algorithmE0ELj4294967295EEENS1_25partition_config_selectorILNS1_17partition_subalgoE3EjNS0_10empty_typeEbEEZZNS1_14partition_implILS8_3ELb0ES6_jNS0_17counting_iteratorIjlEEPS9_SE_NS0_5tupleIJPjSE_EEENSF_IJSE_SE_EEES9_SG_JZNS1_25segmented_radix_sort_implINS0_14default_configELb0EPK6__halfPSL_PKlPlN2at6native12_GLOBAL__N_18offset_tEEE10hipError_tPvRmT1_PNSt15iterator_traitsISZ_E10value_typeET2_T3_PNS10_IS15_E10value_typeET4_jRbjT5_S1B_jjP12ihipStream_tbEUljE_EEESW_SX_SY_S15_S19_S1B_T6_T7_T9_mT8_S1D_bDpT10_ENKUlT_T0_E_clISt17integral_constantIbLb0EES1Q_EEDaS1L_S1M_EUlS1L_E_NS1_11comp_targetILNS1_3genE4ELNS1_11target_archE910ELNS1_3gpuE8ELNS1_3repE0EEENS1_30default_config_static_selectorELNS0_4arch9wavefront6targetE0EEEvSZ_.has_dyn_sized_stack, 0
	.set _ZN7rocprim17ROCPRIM_400000_NS6detail17trampoline_kernelINS0_13select_configILj256ELj13ELNS0_17block_load_methodE3ELS4_3ELS4_3ELNS0_20block_scan_algorithmE0ELj4294967295EEENS1_25partition_config_selectorILNS1_17partition_subalgoE3EjNS0_10empty_typeEbEEZZNS1_14partition_implILS8_3ELb0ES6_jNS0_17counting_iteratorIjlEEPS9_SE_NS0_5tupleIJPjSE_EEENSF_IJSE_SE_EEES9_SG_JZNS1_25segmented_radix_sort_implINS0_14default_configELb0EPK6__halfPSL_PKlPlN2at6native12_GLOBAL__N_18offset_tEEE10hipError_tPvRmT1_PNSt15iterator_traitsISZ_E10value_typeET2_T3_PNS10_IS15_E10value_typeET4_jRbjT5_S1B_jjP12ihipStream_tbEUljE_EEESW_SX_SY_S15_S19_S1B_T6_T7_T9_mT8_S1D_bDpT10_ENKUlT_T0_E_clISt17integral_constantIbLb0EES1Q_EEDaS1L_S1M_EUlS1L_E_NS1_11comp_targetILNS1_3genE4ELNS1_11target_archE910ELNS1_3gpuE8ELNS1_3repE0EEENS1_30default_config_static_selectorELNS0_4arch9wavefront6targetE0EEEvSZ_.has_recursion, 0
	.set _ZN7rocprim17ROCPRIM_400000_NS6detail17trampoline_kernelINS0_13select_configILj256ELj13ELNS0_17block_load_methodE3ELS4_3ELS4_3ELNS0_20block_scan_algorithmE0ELj4294967295EEENS1_25partition_config_selectorILNS1_17partition_subalgoE3EjNS0_10empty_typeEbEEZZNS1_14partition_implILS8_3ELb0ES6_jNS0_17counting_iteratorIjlEEPS9_SE_NS0_5tupleIJPjSE_EEENSF_IJSE_SE_EEES9_SG_JZNS1_25segmented_radix_sort_implINS0_14default_configELb0EPK6__halfPSL_PKlPlN2at6native12_GLOBAL__N_18offset_tEEE10hipError_tPvRmT1_PNSt15iterator_traitsISZ_E10value_typeET2_T3_PNS10_IS15_E10value_typeET4_jRbjT5_S1B_jjP12ihipStream_tbEUljE_EEESW_SX_SY_S15_S19_S1B_T6_T7_T9_mT8_S1D_bDpT10_ENKUlT_T0_E_clISt17integral_constantIbLb0EES1Q_EEDaS1L_S1M_EUlS1L_E_NS1_11comp_targetILNS1_3genE4ELNS1_11target_archE910ELNS1_3gpuE8ELNS1_3repE0EEENS1_30default_config_static_selectorELNS0_4arch9wavefront6targetE0EEEvSZ_.has_indirect_call, 0
	.section	.AMDGPU.csdata,"",@progbits
; Kernel info:
; codeLenInByte = 0
; TotalNumSgprs: 0
; NumVgprs: 0
; ScratchSize: 0
; MemoryBound: 0
; FloatMode: 240
; IeeeMode: 1
; LDSByteSize: 0 bytes/workgroup (compile time only)
; SGPRBlocks: 0
; VGPRBlocks: 0
; NumSGPRsForWavesPerEU: 1
; NumVGPRsForWavesPerEU: 1
; Occupancy: 16
; WaveLimiterHint : 0
; COMPUTE_PGM_RSRC2:SCRATCH_EN: 0
; COMPUTE_PGM_RSRC2:USER_SGPR: 2
; COMPUTE_PGM_RSRC2:TRAP_HANDLER: 0
; COMPUTE_PGM_RSRC2:TGID_X_EN: 1
; COMPUTE_PGM_RSRC2:TGID_Y_EN: 0
; COMPUTE_PGM_RSRC2:TGID_Z_EN: 0
; COMPUTE_PGM_RSRC2:TIDIG_COMP_CNT: 0
	.section	.text._ZN7rocprim17ROCPRIM_400000_NS6detail17trampoline_kernelINS0_13select_configILj256ELj13ELNS0_17block_load_methodE3ELS4_3ELS4_3ELNS0_20block_scan_algorithmE0ELj4294967295EEENS1_25partition_config_selectorILNS1_17partition_subalgoE3EjNS0_10empty_typeEbEEZZNS1_14partition_implILS8_3ELb0ES6_jNS0_17counting_iteratorIjlEEPS9_SE_NS0_5tupleIJPjSE_EEENSF_IJSE_SE_EEES9_SG_JZNS1_25segmented_radix_sort_implINS0_14default_configELb0EPK6__halfPSL_PKlPlN2at6native12_GLOBAL__N_18offset_tEEE10hipError_tPvRmT1_PNSt15iterator_traitsISZ_E10value_typeET2_T3_PNS10_IS15_E10value_typeET4_jRbjT5_S1B_jjP12ihipStream_tbEUljE_EEESW_SX_SY_S15_S19_S1B_T6_T7_T9_mT8_S1D_bDpT10_ENKUlT_T0_E_clISt17integral_constantIbLb0EES1Q_EEDaS1L_S1M_EUlS1L_E_NS1_11comp_targetILNS1_3genE3ELNS1_11target_archE908ELNS1_3gpuE7ELNS1_3repE0EEENS1_30default_config_static_selectorELNS0_4arch9wavefront6targetE0EEEvSZ_,"axG",@progbits,_ZN7rocprim17ROCPRIM_400000_NS6detail17trampoline_kernelINS0_13select_configILj256ELj13ELNS0_17block_load_methodE3ELS4_3ELS4_3ELNS0_20block_scan_algorithmE0ELj4294967295EEENS1_25partition_config_selectorILNS1_17partition_subalgoE3EjNS0_10empty_typeEbEEZZNS1_14partition_implILS8_3ELb0ES6_jNS0_17counting_iteratorIjlEEPS9_SE_NS0_5tupleIJPjSE_EEENSF_IJSE_SE_EEES9_SG_JZNS1_25segmented_radix_sort_implINS0_14default_configELb0EPK6__halfPSL_PKlPlN2at6native12_GLOBAL__N_18offset_tEEE10hipError_tPvRmT1_PNSt15iterator_traitsISZ_E10value_typeET2_T3_PNS10_IS15_E10value_typeET4_jRbjT5_S1B_jjP12ihipStream_tbEUljE_EEESW_SX_SY_S15_S19_S1B_T6_T7_T9_mT8_S1D_bDpT10_ENKUlT_T0_E_clISt17integral_constantIbLb0EES1Q_EEDaS1L_S1M_EUlS1L_E_NS1_11comp_targetILNS1_3genE3ELNS1_11target_archE908ELNS1_3gpuE7ELNS1_3repE0EEENS1_30default_config_static_selectorELNS0_4arch9wavefront6targetE0EEEvSZ_,comdat
	.globl	_ZN7rocprim17ROCPRIM_400000_NS6detail17trampoline_kernelINS0_13select_configILj256ELj13ELNS0_17block_load_methodE3ELS4_3ELS4_3ELNS0_20block_scan_algorithmE0ELj4294967295EEENS1_25partition_config_selectorILNS1_17partition_subalgoE3EjNS0_10empty_typeEbEEZZNS1_14partition_implILS8_3ELb0ES6_jNS0_17counting_iteratorIjlEEPS9_SE_NS0_5tupleIJPjSE_EEENSF_IJSE_SE_EEES9_SG_JZNS1_25segmented_radix_sort_implINS0_14default_configELb0EPK6__halfPSL_PKlPlN2at6native12_GLOBAL__N_18offset_tEEE10hipError_tPvRmT1_PNSt15iterator_traitsISZ_E10value_typeET2_T3_PNS10_IS15_E10value_typeET4_jRbjT5_S1B_jjP12ihipStream_tbEUljE_EEESW_SX_SY_S15_S19_S1B_T6_T7_T9_mT8_S1D_bDpT10_ENKUlT_T0_E_clISt17integral_constantIbLb0EES1Q_EEDaS1L_S1M_EUlS1L_E_NS1_11comp_targetILNS1_3genE3ELNS1_11target_archE908ELNS1_3gpuE7ELNS1_3repE0EEENS1_30default_config_static_selectorELNS0_4arch9wavefront6targetE0EEEvSZ_ ; -- Begin function _ZN7rocprim17ROCPRIM_400000_NS6detail17trampoline_kernelINS0_13select_configILj256ELj13ELNS0_17block_load_methodE3ELS4_3ELS4_3ELNS0_20block_scan_algorithmE0ELj4294967295EEENS1_25partition_config_selectorILNS1_17partition_subalgoE3EjNS0_10empty_typeEbEEZZNS1_14partition_implILS8_3ELb0ES6_jNS0_17counting_iteratorIjlEEPS9_SE_NS0_5tupleIJPjSE_EEENSF_IJSE_SE_EEES9_SG_JZNS1_25segmented_radix_sort_implINS0_14default_configELb0EPK6__halfPSL_PKlPlN2at6native12_GLOBAL__N_18offset_tEEE10hipError_tPvRmT1_PNSt15iterator_traitsISZ_E10value_typeET2_T3_PNS10_IS15_E10value_typeET4_jRbjT5_S1B_jjP12ihipStream_tbEUljE_EEESW_SX_SY_S15_S19_S1B_T6_T7_T9_mT8_S1D_bDpT10_ENKUlT_T0_E_clISt17integral_constantIbLb0EES1Q_EEDaS1L_S1M_EUlS1L_E_NS1_11comp_targetILNS1_3genE3ELNS1_11target_archE908ELNS1_3gpuE7ELNS1_3repE0EEENS1_30default_config_static_selectorELNS0_4arch9wavefront6targetE0EEEvSZ_
	.p2align	8
	.type	_ZN7rocprim17ROCPRIM_400000_NS6detail17trampoline_kernelINS0_13select_configILj256ELj13ELNS0_17block_load_methodE3ELS4_3ELS4_3ELNS0_20block_scan_algorithmE0ELj4294967295EEENS1_25partition_config_selectorILNS1_17partition_subalgoE3EjNS0_10empty_typeEbEEZZNS1_14partition_implILS8_3ELb0ES6_jNS0_17counting_iteratorIjlEEPS9_SE_NS0_5tupleIJPjSE_EEENSF_IJSE_SE_EEES9_SG_JZNS1_25segmented_radix_sort_implINS0_14default_configELb0EPK6__halfPSL_PKlPlN2at6native12_GLOBAL__N_18offset_tEEE10hipError_tPvRmT1_PNSt15iterator_traitsISZ_E10value_typeET2_T3_PNS10_IS15_E10value_typeET4_jRbjT5_S1B_jjP12ihipStream_tbEUljE_EEESW_SX_SY_S15_S19_S1B_T6_T7_T9_mT8_S1D_bDpT10_ENKUlT_T0_E_clISt17integral_constantIbLb0EES1Q_EEDaS1L_S1M_EUlS1L_E_NS1_11comp_targetILNS1_3genE3ELNS1_11target_archE908ELNS1_3gpuE7ELNS1_3repE0EEENS1_30default_config_static_selectorELNS0_4arch9wavefront6targetE0EEEvSZ_,@function
_ZN7rocprim17ROCPRIM_400000_NS6detail17trampoline_kernelINS0_13select_configILj256ELj13ELNS0_17block_load_methodE3ELS4_3ELS4_3ELNS0_20block_scan_algorithmE0ELj4294967295EEENS1_25partition_config_selectorILNS1_17partition_subalgoE3EjNS0_10empty_typeEbEEZZNS1_14partition_implILS8_3ELb0ES6_jNS0_17counting_iteratorIjlEEPS9_SE_NS0_5tupleIJPjSE_EEENSF_IJSE_SE_EEES9_SG_JZNS1_25segmented_radix_sort_implINS0_14default_configELb0EPK6__halfPSL_PKlPlN2at6native12_GLOBAL__N_18offset_tEEE10hipError_tPvRmT1_PNSt15iterator_traitsISZ_E10value_typeET2_T3_PNS10_IS15_E10value_typeET4_jRbjT5_S1B_jjP12ihipStream_tbEUljE_EEESW_SX_SY_S15_S19_S1B_T6_T7_T9_mT8_S1D_bDpT10_ENKUlT_T0_E_clISt17integral_constantIbLb0EES1Q_EEDaS1L_S1M_EUlS1L_E_NS1_11comp_targetILNS1_3genE3ELNS1_11target_archE908ELNS1_3gpuE7ELNS1_3repE0EEENS1_30default_config_static_selectorELNS0_4arch9wavefront6targetE0EEEvSZ_: ; @_ZN7rocprim17ROCPRIM_400000_NS6detail17trampoline_kernelINS0_13select_configILj256ELj13ELNS0_17block_load_methodE3ELS4_3ELS4_3ELNS0_20block_scan_algorithmE0ELj4294967295EEENS1_25partition_config_selectorILNS1_17partition_subalgoE3EjNS0_10empty_typeEbEEZZNS1_14partition_implILS8_3ELb0ES6_jNS0_17counting_iteratorIjlEEPS9_SE_NS0_5tupleIJPjSE_EEENSF_IJSE_SE_EEES9_SG_JZNS1_25segmented_radix_sort_implINS0_14default_configELb0EPK6__halfPSL_PKlPlN2at6native12_GLOBAL__N_18offset_tEEE10hipError_tPvRmT1_PNSt15iterator_traitsISZ_E10value_typeET2_T3_PNS10_IS15_E10value_typeET4_jRbjT5_S1B_jjP12ihipStream_tbEUljE_EEESW_SX_SY_S15_S19_S1B_T6_T7_T9_mT8_S1D_bDpT10_ENKUlT_T0_E_clISt17integral_constantIbLb0EES1Q_EEDaS1L_S1M_EUlS1L_E_NS1_11comp_targetILNS1_3genE3ELNS1_11target_archE908ELNS1_3gpuE7ELNS1_3repE0EEENS1_30default_config_static_selectorELNS0_4arch9wavefront6targetE0EEEvSZ_
; %bb.0:
	.section	.rodata,"a",@progbits
	.p2align	6, 0x0
	.amdhsa_kernel _ZN7rocprim17ROCPRIM_400000_NS6detail17trampoline_kernelINS0_13select_configILj256ELj13ELNS0_17block_load_methodE3ELS4_3ELS4_3ELNS0_20block_scan_algorithmE0ELj4294967295EEENS1_25partition_config_selectorILNS1_17partition_subalgoE3EjNS0_10empty_typeEbEEZZNS1_14partition_implILS8_3ELb0ES6_jNS0_17counting_iteratorIjlEEPS9_SE_NS0_5tupleIJPjSE_EEENSF_IJSE_SE_EEES9_SG_JZNS1_25segmented_radix_sort_implINS0_14default_configELb0EPK6__halfPSL_PKlPlN2at6native12_GLOBAL__N_18offset_tEEE10hipError_tPvRmT1_PNSt15iterator_traitsISZ_E10value_typeET2_T3_PNS10_IS15_E10value_typeET4_jRbjT5_S1B_jjP12ihipStream_tbEUljE_EEESW_SX_SY_S15_S19_S1B_T6_T7_T9_mT8_S1D_bDpT10_ENKUlT_T0_E_clISt17integral_constantIbLb0EES1Q_EEDaS1L_S1M_EUlS1L_E_NS1_11comp_targetILNS1_3genE3ELNS1_11target_archE908ELNS1_3gpuE7ELNS1_3repE0EEENS1_30default_config_static_selectorELNS0_4arch9wavefront6targetE0EEEvSZ_
		.amdhsa_group_segment_fixed_size 0
		.amdhsa_private_segment_fixed_size 0
		.amdhsa_kernarg_size 144
		.amdhsa_user_sgpr_count 2
		.amdhsa_user_sgpr_dispatch_ptr 0
		.amdhsa_user_sgpr_queue_ptr 0
		.amdhsa_user_sgpr_kernarg_segment_ptr 1
		.amdhsa_user_sgpr_dispatch_id 0
		.amdhsa_user_sgpr_private_segment_size 0
		.amdhsa_wavefront_size32 1
		.amdhsa_uses_dynamic_stack 0
		.amdhsa_enable_private_segment 0
		.amdhsa_system_sgpr_workgroup_id_x 1
		.amdhsa_system_sgpr_workgroup_id_y 0
		.amdhsa_system_sgpr_workgroup_id_z 0
		.amdhsa_system_sgpr_workgroup_info 0
		.amdhsa_system_vgpr_workitem_id 0
		.amdhsa_next_free_vgpr 1
		.amdhsa_next_free_sgpr 1
		.amdhsa_reserve_vcc 0
		.amdhsa_float_round_mode_32 0
		.amdhsa_float_round_mode_16_64 0
		.amdhsa_float_denorm_mode_32 3
		.amdhsa_float_denorm_mode_16_64 3
		.amdhsa_fp16_overflow 0
		.amdhsa_workgroup_processor_mode 1
		.amdhsa_memory_ordered 1
		.amdhsa_forward_progress 1
		.amdhsa_inst_pref_size 0
		.amdhsa_round_robin_scheduling 0
		.amdhsa_exception_fp_ieee_invalid_op 0
		.amdhsa_exception_fp_denorm_src 0
		.amdhsa_exception_fp_ieee_div_zero 0
		.amdhsa_exception_fp_ieee_overflow 0
		.amdhsa_exception_fp_ieee_underflow 0
		.amdhsa_exception_fp_ieee_inexact 0
		.amdhsa_exception_int_div_zero 0
	.end_amdhsa_kernel
	.section	.text._ZN7rocprim17ROCPRIM_400000_NS6detail17trampoline_kernelINS0_13select_configILj256ELj13ELNS0_17block_load_methodE3ELS4_3ELS4_3ELNS0_20block_scan_algorithmE0ELj4294967295EEENS1_25partition_config_selectorILNS1_17partition_subalgoE3EjNS0_10empty_typeEbEEZZNS1_14partition_implILS8_3ELb0ES6_jNS0_17counting_iteratorIjlEEPS9_SE_NS0_5tupleIJPjSE_EEENSF_IJSE_SE_EEES9_SG_JZNS1_25segmented_radix_sort_implINS0_14default_configELb0EPK6__halfPSL_PKlPlN2at6native12_GLOBAL__N_18offset_tEEE10hipError_tPvRmT1_PNSt15iterator_traitsISZ_E10value_typeET2_T3_PNS10_IS15_E10value_typeET4_jRbjT5_S1B_jjP12ihipStream_tbEUljE_EEESW_SX_SY_S15_S19_S1B_T6_T7_T9_mT8_S1D_bDpT10_ENKUlT_T0_E_clISt17integral_constantIbLb0EES1Q_EEDaS1L_S1M_EUlS1L_E_NS1_11comp_targetILNS1_3genE3ELNS1_11target_archE908ELNS1_3gpuE7ELNS1_3repE0EEENS1_30default_config_static_selectorELNS0_4arch9wavefront6targetE0EEEvSZ_,"axG",@progbits,_ZN7rocprim17ROCPRIM_400000_NS6detail17trampoline_kernelINS0_13select_configILj256ELj13ELNS0_17block_load_methodE3ELS4_3ELS4_3ELNS0_20block_scan_algorithmE0ELj4294967295EEENS1_25partition_config_selectorILNS1_17partition_subalgoE3EjNS0_10empty_typeEbEEZZNS1_14partition_implILS8_3ELb0ES6_jNS0_17counting_iteratorIjlEEPS9_SE_NS0_5tupleIJPjSE_EEENSF_IJSE_SE_EEES9_SG_JZNS1_25segmented_radix_sort_implINS0_14default_configELb0EPK6__halfPSL_PKlPlN2at6native12_GLOBAL__N_18offset_tEEE10hipError_tPvRmT1_PNSt15iterator_traitsISZ_E10value_typeET2_T3_PNS10_IS15_E10value_typeET4_jRbjT5_S1B_jjP12ihipStream_tbEUljE_EEESW_SX_SY_S15_S19_S1B_T6_T7_T9_mT8_S1D_bDpT10_ENKUlT_T0_E_clISt17integral_constantIbLb0EES1Q_EEDaS1L_S1M_EUlS1L_E_NS1_11comp_targetILNS1_3genE3ELNS1_11target_archE908ELNS1_3gpuE7ELNS1_3repE0EEENS1_30default_config_static_selectorELNS0_4arch9wavefront6targetE0EEEvSZ_,comdat
.Lfunc_end1813:
	.size	_ZN7rocprim17ROCPRIM_400000_NS6detail17trampoline_kernelINS0_13select_configILj256ELj13ELNS0_17block_load_methodE3ELS4_3ELS4_3ELNS0_20block_scan_algorithmE0ELj4294967295EEENS1_25partition_config_selectorILNS1_17partition_subalgoE3EjNS0_10empty_typeEbEEZZNS1_14partition_implILS8_3ELb0ES6_jNS0_17counting_iteratorIjlEEPS9_SE_NS0_5tupleIJPjSE_EEENSF_IJSE_SE_EEES9_SG_JZNS1_25segmented_radix_sort_implINS0_14default_configELb0EPK6__halfPSL_PKlPlN2at6native12_GLOBAL__N_18offset_tEEE10hipError_tPvRmT1_PNSt15iterator_traitsISZ_E10value_typeET2_T3_PNS10_IS15_E10value_typeET4_jRbjT5_S1B_jjP12ihipStream_tbEUljE_EEESW_SX_SY_S15_S19_S1B_T6_T7_T9_mT8_S1D_bDpT10_ENKUlT_T0_E_clISt17integral_constantIbLb0EES1Q_EEDaS1L_S1M_EUlS1L_E_NS1_11comp_targetILNS1_3genE3ELNS1_11target_archE908ELNS1_3gpuE7ELNS1_3repE0EEENS1_30default_config_static_selectorELNS0_4arch9wavefront6targetE0EEEvSZ_, .Lfunc_end1813-_ZN7rocprim17ROCPRIM_400000_NS6detail17trampoline_kernelINS0_13select_configILj256ELj13ELNS0_17block_load_methodE3ELS4_3ELS4_3ELNS0_20block_scan_algorithmE0ELj4294967295EEENS1_25partition_config_selectorILNS1_17partition_subalgoE3EjNS0_10empty_typeEbEEZZNS1_14partition_implILS8_3ELb0ES6_jNS0_17counting_iteratorIjlEEPS9_SE_NS0_5tupleIJPjSE_EEENSF_IJSE_SE_EEES9_SG_JZNS1_25segmented_radix_sort_implINS0_14default_configELb0EPK6__halfPSL_PKlPlN2at6native12_GLOBAL__N_18offset_tEEE10hipError_tPvRmT1_PNSt15iterator_traitsISZ_E10value_typeET2_T3_PNS10_IS15_E10value_typeET4_jRbjT5_S1B_jjP12ihipStream_tbEUljE_EEESW_SX_SY_S15_S19_S1B_T6_T7_T9_mT8_S1D_bDpT10_ENKUlT_T0_E_clISt17integral_constantIbLb0EES1Q_EEDaS1L_S1M_EUlS1L_E_NS1_11comp_targetILNS1_3genE3ELNS1_11target_archE908ELNS1_3gpuE7ELNS1_3repE0EEENS1_30default_config_static_selectorELNS0_4arch9wavefront6targetE0EEEvSZ_
                                        ; -- End function
	.set _ZN7rocprim17ROCPRIM_400000_NS6detail17trampoline_kernelINS0_13select_configILj256ELj13ELNS0_17block_load_methodE3ELS4_3ELS4_3ELNS0_20block_scan_algorithmE0ELj4294967295EEENS1_25partition_config_selectorILNS1_17partition_subalgoE3EjNS0_10empty_typeEbEEZZNS1_14partition_implILS8_3ELb0ES6_jNS0_17counting_iteratorIjlEEPS9_SE_NS0_5tupleIJPjSE_EEENSF_IJSE_SE_EEES9_SG_JZNS1_25segmented_radix_sort_implINS0_14default_configELb0EPK6__halfPSL_PKlPlN2at6native12_GLOBAL__N_18offset_tEEE10hipError_tPvRmT1_PNSt15iterator_traitsISZ_E10value_typeET2_T3_PNS10_IS15_E10value_typeET4_jRbjT5_S1B_jjP12ihipStream_tbEUljE_EEESW_SX_SY_S15_S19_S1B_T6_T7_T9_mT8_S1D_bDpT10_ENKUlT_T0_E_clISt17integral_constantIbLb0EES1Q_EEDaS1L_S1M_EUlS1L_E_NS1_11comp_targetILNS1_3genE3ELNS1_11target_archE908ELNS1_3gpuE7ELNS1_3repE0EEENS1_30default_config_static_selectorELNS0_4arch9wavefront6targetE0EEEvSZ_.num_vgpr, 0
	.set _ZN7rocprim17ROCPRIM_400000_NS6detail17trampoline_kernelINS0_13select_configILj256ELj13ELNS0_17block_load_methodE3ELS4_3ELS4_3ELNS0_20block_scan_algorithmE0ELj4294967295EEENS1_25partition_config_selectorILNS1_17partition_subalgoE3EjNS0_10empty_typeEbEEZZNS1_14partition_implILS8_3ELb0ES6_jNS0_17counting_iteratorIjlEEPS9_SE_NS0_5tupleIJPjSE_EEENSF_IJSE_SE_EEES9_SG_JZNS1_25segmented_radix_sort_implINS0_14default_configELb0EPK6__halfPSL_PKlPlN2at6native12_GLOBAL__N_18offset_tEEE10hipError_tPvRmT1_PNSt15iterator_traitsISZ_E10value_typeET2_T3_PNS10_IS15_E10value_typeET4_jRbjT5_S1B_jjP12ihipStream_tbEUljE_EEESW_SX_SY_S15_S19_S1B_T6_T7_T9_mT8_S1D_bDpT10_ENKUlT_T0_E_clISt17integral_constantIbLb0EES1Q_EEDaS1L_S1M_EUlS1L_E_NS1_11comp_targetILNS1_3genE3ELNS1_11target_archE908ELNS1_3gpuE7ELNS1_3repE0EEENS1_30default_config_static_selectorELNS0_4arch9wavefront6targetE0EEEvSZ_.num_agpr, 0
	.set _ZN7rocprim17ROCPRIM_400000_NS6detail17trampoline_kernelINS0_13select_configILj256ELj13ELNS0_17block_load_methodE3ELS4_3ELS4_3ELNS0_20block_scan_algorithmE0ELj4294967295EEENS1_25partition_config_selectorILNS1_17partition_subalgoE3EjNS0_10empty_typeEbEEZZNS1_14partition_implILS8_3ELb0ES6_jNS0_17counting_iteratorIjlEEPS9_SE_NS0_5tupleIJPjSE_EEENSF_IJSE_SE_EEES9_SG_JZNS1_25segmented_radix_sort_implINS0_14default_configELb0EPK6__halfPSL_PKlPlN2at6native12_GLOBAL__N_18offset_tEEE10hipError_tPvRmT1_PNSt15iterator_traitsISZ_E10value_typeET2_T3_PNS10_IS15_E10value_typeET4_jRbjT5_S1B_jjP12ihipStream_tbEUljE_EEESW_SX_SY_S15_S19_S1B_T6_T7_T9_mT8_S1D_bDpT10_ENKUlT_T0_E_clISt17integral_constantIbLb0EES1Q_EEDaS1L_S1M_EUlS1L_E_NS1_11comp_targetILNS1_3genE3ELNS1_11target_archE908ELNS1_3gpuE7ELNS1_3repE0EEENS1_30default_config_static_selectorELNS0_4arch9wavefront6targetE0EEEvSZ_.numbered_sgpr, 0
	.set _ZN7rocprim17ROCPRIM_400000_NS6detail17trampoline_kernelINS0_13select_configILj256ELj13ELNS0_17block_load_methodE3ELS4_3ELS4_3ELNS0_20block_scan_algorithmE0ELj4294967295EEENS1_25partition_config_selectorILNS1_17partition_subalgoE3EjNS0_10empty_typeEbEEZZNS1_14partition_implILS8_3ELb0ES6_jNS0_17counting_iteratorIjlEEPS9_SE_NS0_5tupleIJPjSE_EEENSF_IJSE_SE_EEES9_SG_JZNS1_25segmented_radix_sort_implINS0_14default_configELb0EPK6__halfPSL_PKlPlN2at6native12_GLOBAL__N_18offset_tEEE10hipError_tPvRmT1_PNSt15iterator_traitsISZ_E10value_typeET2_T3_PNS10_IS15_E10value_typeET4_jRbjT5_S1B_jjP12ihipStream_tbEUljE_EEESW_SX_SY_S15_S19_S1B_T6_T7_T9_mT8_S1D_bDpT10_ENKUlT_T0_E_clISt17integral_constantIbLb0EES1Q_EEDaS1L_S1M_EUlS1L_E_NS1_11comp_targetILNS1_3genE3ELNS1_11target_archE908ELNS1_3gpuE7ELNS1_3repE0EEENS1_30default_config_static_selectorELNS0_4arch9wavefront6targetE0EEEvSZ_.num_named_barrier, 0
	.set _ZN7rocprim17ROCPRIM_400000_NS6detail17trampoline_kernelINS0_13select_configILj256ELj13ELNS0_17block_load_methodE3ELS4_3ELS4_3ELNS0_20block_scan_algorithmE0ELj4294967295EEENS1_25partition_config_selectorILNS1_17partition_subalgoE3EjNS0_10empty_typeEbEEZZNS1_14partition_implILS8_3ELb0ES6_jNS0_17counting_iteratorIjlEEPS9_SE_NS0_5tupleIJPjSE_EEENSF_IJSE_SE_EEES9_SG_JZNS1_25segmented_radix_sort_implINS0_14default_configELb0EPK6__halfPSL_PKlPlN2at6native12_GLOBAL__N_18offset_tEEE10hipError_tPvRmT1_PNSt15iterator_traitsISZ_E10value_typeET2_T3_PNS10_IS15_E10value_typeET4_jRbjT5_S1B_jjP12ihipStream_tbEUljE_EEESW_SX_SY_S15_S19_S1B_T6_T7_T9_mT8_S1D_bDpT10_ENKUlT_T0_E_clISt17integral_constantIbLb0EES1Q_EEDaS1L_S1M_EUlS1L_E_NS1_11comp_targetILNS1_3genE3ELNS1_11target_archE908ELNS1_3gpuE7ELNS1_3repE0EEENS1_30default_config_static_selectorELNS0_4arch9wavefront6targetE0EEEvSZ_.private_seg_size, 0
	.set _ZN7rocprim17ROCPRIM_400000_NS6detail17trampoline_kernelINS0_13select_configILj256ELj13ELNS0_17block_load_methodE3ELS4_3ELS4_3ELNS0_20block_scan_algorithmE0ELj4294967295EEENS1_25partition_config_selectorILNS1_17partition_subalgoE3EjNS0_10empty_typeEbEEZZNS1_14partition_implILS8_3ELb0ES6_jNS0_17counting_iteratorIjlEEPS9_SE_NS0_5tupleIJPjSE_EEENSF_IJSE_SE_EEES9_SG_JZNS1_25segmented_radix_sort_implINS0_14default_configELb0EPK6__halfPSL_PKlPlN2at6native12_GLOBAL__N_18offset_tEEE10hipError_tPvRmT1_PNSt15iterator_traitsISZ_E10value_typeET2_T3_PNS10_IS15_E10value_typeET4_jRbjT5_S1B_jjP12ihipStream_tbEUljE_EEESW_SX_SY_S15_S19_S1B_T6_T7_T9_mT8_S1D_bDpT10_ENKUlT_T0_E_clISt17integral_constantIbLb0EES1Q_EEDaS1L_S1M_EUlS1L_E_NS1_11comp_targetILNS1_3genE3ELNS1_11target_archE908ELNS1_3gpuE7ELNS1_3repE0EEENS1_30default_config_static_selectorELNS0_4arch9wavefront6targetE0EEEvSZ_.uses_vcc, 0
	.set _ZN7rocprim17ROCPRIM_400000_NS6detail17trampoline_kernelINS0_13select_configILj256ELj13ELNS0_17block_load_methodE3ELS4_3ELS4_3ELNS0_20block_scan_algorithmE0ELj4294967295EEENS1_25partition_config_selectorILNS1_17partition_subalgoE3EjNS0_10empty_typeEbEEZZNS1_14partition_implILS8_3ELb0ES6_jNS0_17counting_iteratorIjlEEPS9_SE_NS0_5tupleIJPjSE_EEENSF_IJSE_SE_EEES9_SG_JZNS1_25segmented_radix_sort_implINS0_14default_configELb0EPK6__halfPSL_PKlPlN2at6native12_GLOBAL__N_18offset_tEEE10hipError_tPvRmT1_PNSt15iterator_traitsISZ_E10value_typeET2_T3_PNS10_IS15_E10value_typeET4_jRbjT5_S1B_jjP12ihipStream_tbEUljE_EEESW_SX_SY_S15_S19_S1B_T6_T7_T9_mT8_S1D_bDpT10_ENKUlT_T0_E_clISt17integral_constantIbLb0EES1Q_EEDaS1L_S1M_EUlS1L_E_NS1_11comp_targetILNS1_3genE3ELNS1_11target_archE908ELNS1_3gpuE7ELNS1_3repE0EEENS1_30default_config_static_selectorELNS0_4arch9wavefront6targetE0EEEvSZ_.uses_flat_scratch, 0
	.set _ZN7rocprim17ROCPRIM_400000_NS6detail17trampoline_kernelINS0_13select_configILj256ELj13ELNS0_17block_load_methodE3ELS4_3ELS4_3ELNS0_20block_scan_algorithmE0ELj4294967295EEENS1_25partition_config_selectorILNS1_17partition_subalgoE3EjNS0_10empty_typeEbEEZZNS1_14partition_implILS8_3ELb0ES6_jNS0_17counting_iteratorIjlEEPS9_SE_NS0_5tupleIJPjSE_EEENSF_IJSE_SE_EEES9_SG_JZNS1_25segmented_radix_sort_implINS0_14default_configELb0EPK6__halfPSL_PKlPlN2at6native12_GLOBAL__N_18offset_tEEE10hipError_tPvRmT1_PNSt15iterator_traitsISZ_E10value_typeET2_T3_PNS10_IS15_E10value_typeET4_jRbjT5_S1B_jjP12ihipStream_tbEUljE_EEESW_SX_SY_S15_S19_S1B_T6_T7_T9_mT8_S1D_bDpT10_ENKUlT_T0_E_clISt17integral_constantIbLb0EES1Q_EEDaS1L_S1M_EUlS1L_E_NS1_11comp_targetILNS1_3genE3ELNS1_11target_archE908ELNS1_3gpuE7ELNS1_3repE0EEENS1_30default_config_static_selectorELNS0_4arch9wavefront6targetE0EEEvSZ_.has_dyn_sized_stack, 0
	.set _ZN7rocprim17ROCPRIM_400000_NS6detail17trampoline_kernelINS0_13select_configILj256ELj13ELNS0_17block_load_methodE3ELS4_3ELS4_3ELNS0_20block_scan_algorithmE0ELj4294967295EEENS1_25partition_config_selectorILNS1_17partition_subalgoE3EjNS0_10empty_typeEbEEZZNS1_14partition_implILS8_3ELb0ES6_jNS0_17counting_iteratorIjlEEPS9_SE_NS0_5tupleIJPjSE_EEENSF_IJSE_SE_EEES9_SG_JZNS1_25segmented_radix_sort_implINS0_14default_configELb0EPK6__halfPSL_PKlPlN2at6native12_GLOBAL__N_18offset_tEEE10hipError_tPvRmT1_PNSt15iterator_traitsISZ_E10value_typeET2_T3_PNS10_IS15_E10value_typeET4_jRbjT5_S1B_jjP12ihipStream_tbEUljE_EEESW_SX_SY_S15_S19_S1B_T6_T7_T9_mT8_S1D_bDpT10_ENKUlT_T0_E_clISt17integral_constantIbLb0EES1Q_EEDaS1L_S1M_EUlS1L_E_NS1_11comp_targetILNS1_3genE3ELNS1_11target_archE908ELNS1_3gpuE7ELNS1_3repE0EEENS1_30default_config_static_selectorELNS0_4arch9wavefront6targetE0EEEvSZ_.has_recursion, 0
	.set _ZN7rocprim17ROCPRIM_400000_NS6detail17trampoline_kernelINS0_13select_configILj256ELj13ELNS0_17block_load_methodE3ELS4_3ELS4_3ELNS0_20block_scan_algorithmE0ELj4294967295EEENS1_25partition_config_selectorILNS1_17partition_subalgoE3EjNS0_10empty_typeEbEEZZNS1_14partition_implILS8_3ELb0ES6_jNS0_17counting_iteratorIjlEEPS9_SE_NS0_5tupleIJPjSE_EEENSF_IJSE_SE_EEES9_SG_JZNS1_25segmented_radix_sort_implINS0_14default_configELb0EPK6__halfPSL_PKlPlN2at6native12_GLOBAL__N_18offset_tEEE10hipError_tPvRmT1_PNSt15iterator_traitsISZ_E10value_typeET2_T3_PNS10_IS15_E10value_typeET4_jRbjT5_S1B_jjP12ihipStream_tbEUljE_EEESW_SX_SY_S15_S19_S1B_T6_T7_T9_mT8_S1D_bDpT10_ENKUlT_T0_E_clISt17integral_constantIbLb0EES1Q_EEDaS1L_S1M_EUlS1L_E_NS1_11comp_targetILNS1_3genE3ELNS1_11target_archE908ELNS1_3gpuE7ELNS1_3repE0EEENS1_30default_config_static_selectorELNS0_4arch9wavefront6targetE0EEEvSZ_.has_indirect_call, 0
	.section	.AMDGPU.csdata,"",@progbits
; Kernel info:
; codeLenInByte = 0
; TotalNumSgprs: 0
; NumVgprs: 0
; ScratchSize: 0
; MemoryBound: 0
; FloatMode: 240
; IeeeMode: 1
; LDSByteSize: 0 bytes/workgroup (compile time only)
; SGPRBlocks: 0
; VGPRBlocks: 0
; NumSGPRsForWavesPerEU: 1
; NumVGPRsForWavesPerEU: 1
; Occupancy: 16
; WaveLimiterHint : 0
; COMPUTE_PGM_RSRC2:SCRATCH_EN: 0
; COMPUTE_PGM_RSRC2:USER_SGPR: 2
; COMPUTE_PGM_RSRC2:TRAP_HANDLER: 0
; COMPUTE_PGM_RSRC2:TGID_X_EN: 1
; COMPUTE_PGM_RSRC2:TGID_Y_EN: 0
; COMPUTE_PGM_RSRC2:TGID_Z_EN: 0
; COMPUTE_PGM_RSRC2:TIDIG_COMP_CNT: 0
	.section	.text._ZN7rocprim17ROCPRIM_400000_NS6detail17trampoline_kernelINS0_13select_configILj256ELj13ELNS0_17block_load_methodE3ELS4_3ELS4_3ELNS0_20block_scan_algorithmE0ELj4294967295EEENS1_25partition_config_selectorILNS1_17partition_subalgoE3EjNS0_10empty_typeEbEEZZNS1_14partition_implILS8_3ELb0ES6_jNS0_17counting_iteratorIjlEEPS9_SE_NS0_5tupleIJPjSE_EEENSF_IJSE_SE_EEES9_SG_JZNS1_25segmented_radix_sort_implINS0_14default_configELb0EPK6__halfPSL_PKlPlN2at6native12_GLOBAL__N_18offset_tEEE10hipError_tPvRmT1_PNSt15iterator_traitsISZ_E10value_typeET2_T3_PNS10_IS15_E10value_typeET4_jRbjT5_S1B_jjP12ihipStream_tbEUljE_EEESW_SX_SY_S15_S19_S1B_T6_T7_T9_mT8_S1D_bDpT10_ENKUlT_T0_E_clISt17integral_constantIbLb0EES1Q_EEDaS1L_S1M_EUlS1L_E_NS1_11comp_targetILNS1_3genE2ELNS1_11target_archE906ELNS1_3gpuE6ELNS1_3repE0EEENS1_30default_config_static_selectorELNS0_4arch9wavefront6targetE0EEEvSZ_,"axG",@progbits,_ZN7rocprim17ROCPRIM_400000_NS6detail17trampoline_kernelINS0_13select_configILj256ELj13ELNS0_17block_load_methodE3ELS4_3ELS4_3ELNS0_20block_scan_algorithmE0ELj4294967295EEENS1_25partition_config_selectorILNS1_17partition_subalgoE3EjNS0_10empty_typeEbEEZZNS1_14partition_implILS8_3ELb0ES6_jNS0_17counting_iteratorIjlEEPS9_SE_NS0_5tupleIJPjSE_EEENSF_IJSE_SE_EEES9_SG_JZNS1_25segmented_radix_sort_implINS0_14default_configELb0EPK6__halfPSL_PKlPlN2at6native12_GLOBAL__N_18offset_tEEE10hipError_tPvRmT1_PNSt15iterator_traitsISZ_E10value_typeET2_T3_PNS10_IS15_E10value_typeET4_jRbjT5_S1B_jjP12ihipStream_tbEUljE_EEESW_SX_SY_S15_S19_S1B_T6_T7_T9_mT8_S1D_bDpT10_ENKUlT_T0_E_clISt17integral_constantIbLb0EES1Q_EEDaS1L_S1M_EUlS1L_E_NS1_11comp_targetILNS1_3genE2ELNS1_11target_archE906ELNS1_3gpuE6ELNS1_3repE0EEENS1_30default_config_static_selectorELNS0_4arch9wavefront6targetE0EEEvSZ_,comdat
	.globl	_ZN7rocprim17ROCPRIM_400000_NS6detail17trampoline_kernelINS0_13select_configILj256ELj13ELNS0_17block_load_methodE3ELS4_3ELS4_3ELNS0_20block_scan_algorithmE0ELj4294967295EEENS1_25partition_config_selectorILNS1_17partition_subalgoE3EjNS0_10empty_typeEbEEZZNS1_14partition_implILS8_3ELb0ES6_jNS0_17counting_iteratorIjlEEPS9_SE_NS0_5tupleIJPjSE_EEENSF_IJSE_SE_EEES9_SG_JZNS1_25segmented_radix_sort_implINS0_14default_configELb0EPK6__halfPSL_PKlPlN2at6native12_GLOBAL__N_18offset_tEEE10hipError_tPvRmT1_PNSt15iterator_traitsISZ_E10value_typeET2_T3_PNS10_IS15_E10value_typeET4_jRbjT5_S1B_jjP12ihipStream_tbEUljE_EEESW_SX_SY_S15_S19_S1B_T6_T7_T9_mT8_S1D_bDpT10_ENKUlT_T0_E_clISt17integral_constantIbLb0EES1Q_EEDaS1L_S1M_EUlS1L_E_NS1_11comp_targetILNS1_3genE2ELNS1_11target_archE906ELNS1_3gpuE6ELNS1_3repE0EEENS1_30default_config_static_selectorELNS0_4arch9wavefront6targetE0EEEvSZ_ ; -- Begin function _ZN7rocprim17ROCPRIM_400000_NS6detail17trampoline_kernelINS0_13select_configILj256ELj13ELNS0_17block_load_methodE3ELS4_3ELS4_3ELNS0_20block_scan_algorithmE0ELj4294967295EEENS1_25partition_config_selectorILNS1_17partition_subalgoE3EjNS0_10empty_typeEbEEZZNS1_14partition_implILS8_3ELb0ES6_jNS0_17counting_iteratorIjlEEPS9_SE_NS0_5tupleIJPjSE_EEENSF_IJSE_SE_EEES9_SG_JZNS1_25segmented_radix_sort_implINS0_14default_configELb0EPK6__halfPSL_PKlPlN2at6native12_GLOBAL__N_18offset_tEEE10hipError_tPvRmT1_PNSt15iterator_traitsISZ_E10value_typeET2_T3_PNS10_IS15_E10value_typeET4_jRbjT5_S1B_jjP12ihipStream_tbEUljE_EEESW_SX_SY_S15_S19_S1B_T6_T7_T9_mT8_S1D_bDpT10_ENKUlT_T0_E_clISt17integral_constantIbLb0EES1Q_EEDaS1L_S1M_EUlS1L_E_NS1_11comp_targetILNS1_3genE2ELNS1_11target_archE906ELNS1_3gpuE6ELNS1_3repE0EEENS1_30default_config_static_selectorELNS0_4arch9wavefront6targetE0EEEvSZ_
	.p2align	8
	.type	_ZN7rocprim17ROCPRIM_400000_NS6detail17trampoline_kernelINS0_13select_configILj256ELj13ELNS0_17block_load_methodE3ELS4_3ELS4_3ELNS0_20block_scan_algorithmE0ELj4294967295EEENS1_25partition_config_selectorILNS1_17partition_subalgoE3EjNS0_10empty_typeEbEEZZNS1_14partition_implILS8_3ELb0ES6_jNS0_17counting_iteratorIjlEEPS9_SE_NS0_5tupleIJPjSE_EEENSF_IJSE_SE_EEES9_SG_JZNS1_25segmented_radix_sort_implINS0_14default_configELb0EPK6__halfPSL_PKlPlN2at6native12_GLOBAL__N_18offset_tEEE10hipError_tPvRmT1_PNSt15iterator_traitsISZ_E10value_typeET2_T3_PNS10_IS15_E10value_typeET4_jRbjT5_S1B_jjP12ihipStream_tbEUljE_EEESW_SX_SY_S15_S19_S1B_T6_T7_T9_mT8_S1D_bDpT10_ENKUlT_T0_E_clISt17integral_constantIbLb0EES1Q_EEDaS1L_S1M_EUlS1L_E_NS1_11comp_targetILNS1_3genE2ELNS1_11target_archE906ELNS1_3gpuE6ELNS1_3repE0EEENS1_30default_config_static_selectorELNS0_4arch9wavefront6targetE0EEEvSZ_,@function
_ZN7rocprim17ROCPRIM_400000_NS6detail17trampoline_kernelINS0_13select_configILj256ELj13ELNS0_17block_load_methodE3ELS4_3ELS4_3ELNS0_20block_scan_algorithmE0ELj4294967295EEENS1_25partition_config_selectorILNS1_17partition_subalgoE3EjNS0_10empty_typeEbEEZZNS1_14partition_implILS8_3ELb0ES6_jNS0_17counting_iteratorIjlEEPS9_SE_NS0_5tupleIJPjSE_EEENSF_IJSE_SE_EEES9_SG_JZNS1_25segmented_radix_sort_implINS0_14default_configELb0EPK6__halfPSL_PKlPlN2at6native12_GLOBAL__N_18offset_tEEE10hipError_tPvRmT1_PNSt15iterator_traitsISZ_E10value_typeET2_T3_PNS10_IS15_E10value_typeET4_jRbjT5_S1B_jjP12ihipStream_tbEUljE_EEESW_SX_SY_S15_S19_S1B_T6_T7_T9_mT8_S1D_bDpT10_ENKUlT_T0_E_clISt17integral_constantIbLb0EES1Q_EEDaS1L_S1M_EUlS1L_E_NS1_11comp_targetILNS1_3genE2ELNS1_11target_archE906ELNS1_3gpuE6ELNS1_3repE0EEENS1_30default_config_static_selectorELNS0_4arch9wavefront6targetE0EEEvSZ_: ; @_ZN7rocprim17ROCPRIM_400000_NS6detail17trampoline_kernelINS0_13select_configILj256ELj13ELNS0_17block_load_methodE3ELS4_3ELS4_3ELNS0_20block_scan_algorithmE0ELj4294967295EEENS1_25partition_config_selectorILNS1_17partition_subalgoE3EjNS0_10empty_typeEbEEZZNS1_14partition_implILS8_3ELb0ES6_jNS0_17counting_iteratorIjlEEPS9_SE_NS0_5tupleIJPjSE_EEENSF_IJSE_SE_EEES9_SG_JZNS1_25segmented_radix_sort_implINS0_14default_configELb0EPK6__halfPSL_PKlPlN2at6native12_GLOBAL__N_18offset_tEEE10hipError_tPvRmT1_PNSt15iterator_traitsISZ_E10value_typeET2_T3_PNS10_IS15_E10value_typeET4_jRbjT5_S1B_jjP12ihipStream_tbEUljE_EEESW_SX_SY_S15_S19_S1B_T6_T7_T9_mT8_S1D_bDpT10_ENKUlT_T0_E_clISt17integral_constantIbLb0EES1Q_EEDaS1L_S1M_EUlS1L_E_NS1_11comp_targetILNS1_3genE2ELNS1_11target_archE906ELNS1_3gpuE6ELNS1_3repE0EEENS1_30default_config_static_selectorELNS0_4arch9wavefront6targetE0EEEvSZ_
; %bb.0:
	.section	.rodata,"a",@progbits
	.p2align	6, 0x0
	.amdhsa_kernel _ZN7rocprim17ROCPRIM_400000_NS6detail17trampoline_kernelINS0_13select_configILj256ELj13ELNS0_17block_load_methodE3ELS4_3ELS4_3ELNS0_20block_scan_algorithmE0ELj4294967295EEENS1_25partition_config_selectorILNS1_17partition_subalgoE3EjNS0_10empty_typeEbEEZZNS1_14partition_implILS8_3ELb0ES6_jNS0_17counting_iteratorIjlEEPS9_SE_NS0_5tupleIJPjSE_EEENSF_IJSE_SE_EEES9_SG_JZNS1_25segmented_radix_sort_implINS0_14default_configELb0EPK6__halfPSL_PKlPlN2at6native12_GLOBAL__N_18offset_tEEE10hipError_tPvRmT1_PNSt15iterator_traitsISZ_E10value_typeET2_T3_PNS10_IS15_E10value_typeET4_jRbjT5_S1B_jjP12ihipStream_tbEUljE_EEESW_SX_SY_S15_S19_S1B_T6_T7_T9_mT8_S1D_bDpT10_ENKUlT_T0_E_clISt17integral_constantIbLb0EES1Q_EEDaS1L_S1M_EUlS1L_E_NS1_11comp_targetILNS1_3genE2ELNS1_11target_archE906ELNS1_3gpuE6ELNS1_3repE0EEENS1_30default_config_static_selectorELNS0_4arch9wavefront6targetE0EEEvSZ_
		.amdhsa_group_segment_fixed_size 0
		.amdhsa_private_segment_fixed_size 0
		.amdhsa_kernarg_size 144
		.amdhsa_user_sgpr_count 2
		.amdhsa_user_sgpr_dispatch_ptr 0
		.amdhsa_user_sgpr_queue_ptr 0
		.amdhsa_user_sgpr_kernarg_segment_ptr 1
		.amdhsa_user_sgpr_dispatch_id 0
		.amdhsa_user_sgpr_private_segment_size 0
		.amdhsa_wavefront_size32 1
		.amdhsa_uses_dynamic_stack 0
		.amdhsa_enable_private_segment 0
		.amdhsa_system_sgpr_workgroup_id_x 1
		.amdhsa_system_sgpr_workgroup_id_y 0
		.amdhsa_system_sgpr_workgroup_id_z 0
		.amdhsa_system_sgpr_workgroup_info 0
		.amdhsa_system_vgpr_workitem_id 0
		.amdhsa_next_free_vgpr 1
		.amdhsa_next_free_sgpr 1
		.amdhsa_reserve_vcc 0
		.amdhsa_float_round_mode_32 0
		.amdhsa_float_round_mode_16_64 0
		.amdhsa_float_denorm_mode_32 3
		.amdhsa_float_denorm_mode_16_64 3
		.amdhsa_fp16_overflow 0
		.amdhsa_workgroup_processor_mode 1
		.amdhsa_memory_ordered 1
		.amdhsa_forward_progress 1
		.amdhsa_inst_pref_size 0
		.amdhsa_round_robin_scheduling 0
		.amdhsa_exception_fp_ieee_invalid_op 0
		.amdhsa_exception_fp_denorm_src 0
		.amdhsa_exception_fp_ieee_div_zero 0
		.amdhsa_exception_fp_ieee_overflow 0
		.amdhsa_exception_fp_ieee_underflow 0
		.amdhsa_exception_fp_ieee_inexact 0
		.amdhsa_exception_int_div_zero 0
	.end_amdhsa_kernel
	.section	.text._ZN7rocprim17ROCPRIM_400000_NS6detail17trampoline_kernelINS0_13select_configILj256ELj13ELNS0_17block_load_methodE3ELS4_3ELS4_3ELNS0_20block_scan_algorithmE0ELj4294967295EEENS1_25partition_config_selectorILNS1_17partition_subalgoE3EjNS0_10empty_typeEbEEZZNS1_14partition_implILS8_3ELb0ES6_jNS0_17counting_iteratorIjlEEPS9_SE_NS0_5tupleIJPjSE_EEENSF_IJSE_SE_EEES9_SG_JZNS1_25segmented_radix_sort_implINS0_14default_configELb0EPK6__halfPSL_PKlPlN2at6native12_GLOBAL__N_18offset_tEEE10hipError_tPvRmT1_PNSt15iterator_traitsISZ_E10value_typeET2_T3_PNS10_IS15_E10value_typeET4_jRbjT5_S1B_jjP12ihipStream_tbEUljE_EEESW_SX_SY_S15_S19_S1B_T6_T7_T9_mT8_S1D_bDpT10_ENKUlT_T0_E_clISt17integral_constantIbLb0EES1Q_EEDaS1L_S1M_EUlS1L_E_NS1_11comp_targetILNS1_3genE2ELNS1_11target_archE906ELNS1_3gpuE6ELNS1_3repE0EEENS1_30default_config_static_selectorELNS0_4arch9wavefront6targetE0EEEvSZ_,"axG",@progbits,_ZN7rocprim17ROCPRIM_400000_NS6detail17trampoline_kernelINS0_13select_configILj256ELj13ELNS0_17block_load_methodE3ELS4_3ELS4_3ELNS0_20block_scan_algorithmE0ELj4294967295EEENS1_25partition_config_selectorILNS1_17partition_subalgoE3EjNS0_10empty_typeEbEEZZNS1_14partition_implILS8_3ELb0ES6_jNS0_17counting_iteratorIjlEEPS9_SE_NS0_5tupleIJPjSE_EEENSF_IJSE_SE_EEES9_SG_JZNS1_25segmented_radix_sort_implINS0_14default_configELb0EPK6__halfPSL_PKlPlN2at6native12_GLOBAL__N_18offset_tEEE10hipError_tPvRmT1_PNSt15iterator_traitsISZ_E10value_typeET2_T3_PNS10_IS15_E10value_typeET4_jRbjT5_S1B_jjP12ihipStream_tbEUljE_EEESW_SX_SY_S15_S19_S1B_T6_T7_T9_mT8_S1D_bDpT10_ENKUlT_T0_E_clISt17integral_constantIbLb0EES1Q_EEDaS1L_S1M_EUlS1L_E_NS1_11comp_targetILNS1_3genE2ELNS1_11target_archE906ELNS1_3gpuE6ELNS1_3repE0EEENS1_30default_config_static_selectorELNS0_4arch9wavefront6targetE0EEEvSZ_,comdat
.Lfunc_end1814:
	.size	_ZN7rocprim17ROCPRIM_400000_NS6detail17trampoline_kernelINS0_13select_configILj256ELj13ELNS0_17block_load_methodE3ELS4_3ELS4_3ELNS0_20block_scan_algorithmE0ELj4294967295EEENS1_25partition_config_selectorILNS1_17partition_subalgoE3EjNS0_10empty_typeEbEEZZNS1_14partition_implILS8_3ELb0ES6_jNS0_17counting_iteratorIjlEEPS9_SE_NS0_5tupleIJPjSE_EEENSF_IJSE_SE_EEES9_SG_JZNS1_25segmented_radix_sort_implINS0_14default_configELb0EPK6__halfPSL_PKlPlN2at6native12_GLOBAL__N_18offset_tEEE10hipError_tPvRmT1_PNSt15iterator_traitsISZ_E10value_typeET2_T3_PNS10_IS15_E10value_typeET4_jRbjT5_S1B_jjP12ihipStream_tbEUljE_EEESW_SX_SY_S15_S19_S1B_T6_T7_T9_mT8_S1D_bDpT10_ENKUlT_T0_E_clISt17integral_constantIbLb0EES1Q_EEDaS1L_S1M_EUlS1L_E_NS1_11comp_targetILNS1_3genE2ELNS1_11target_archE906ELNS1_3gpuE6ELNS1_3repE0EEENS1_30default_config_static_selectorELNS0_4arch9wavefront6targetE0EEEvSZ_, .Lfunc_end1814-_ZN7rocprim17ROCPRIM_400000_NS6detail17trampoline_kernelINS0_13select_configILj256ELj13ELNS0_17block_load_methodE3ELS4_3ELS4_3ELNS0_20block_scan_algorithmE0ELj4294967295EEENS1_25partition_config_selectorILNS1_17partition_subalgoE3EjNS0_10empty_typeEbEEZZNS1_14partition_implILS8_3ELb0ES6_jNS0_17counting_iteratorIjlEEPS9_SE_NS0_5tupleIJPjSE_EEENSF_IJSE_SE_EEES9_SG_JZNS1_25segmented_radix_sort_implINS0_14default_configELb0EPK6__halfPSL_PKlPlN2at6native12_GLOBAL__N_18offset_tEEE10hipError_tPvRmT1_PNSt15iterator_traitsISZ_E10value_typeET2_T3_PNS10_IS15_E10value_typeET4_jRbjT5_S1B_jjP12ihipStream_tbEUljE_EEESW_SX_SY_S15_S19_S1B_T6_T7_T9_mT8_S1D_bDpT10_ENKUlT_T0_E_clISt17integral_constantIbLb0EES1Q_EEDaS1L_S1M_EUlS1L_E_NS1_11comp_targetILNS1_3genE2ELNS1_11target_archE906ELNS1_3gpuE6ELNS1_3repE0EEENS1_30default_config_static_selectorELNS0_4arch9wavefront6targetE0EEEvSZ_
                                        ; -- End function
	.set _ZN7rocprim17ROCPRIM_400000_NS6detail17trampoline_kernelINS0_13select_configILj256ELj13ELNS0_17block_load_methodE3ELS4_3ELS4_3ELNS0_20block_scan_algorithmE0ELj4294967295EEENS1_25partition_config_selectorILNS1_17partition_subalgoE3EjNS0_10empty_typeEbEEZZNS1_14partition_implILS8_3ELb0ES6_jNS0_17counting_iteratorIjlEEPS9_SE_NS0_5tupleIJPjSE_EEENSF_IJSE_SE_EEES9_SG_JZNS1_25segmented_radix_sort_implINS0_14default_configELb0EPK6__halfPSL_PKlPlN2at6native12_GLOBAL__N_18offset_tEEE10hipError_tPvRmT1_PNSt15iterator_traitsISZ_E10value_typeET2_T3_PNS10_IS15_E10value_typeET4_jRbjT5_S1B_jjP12ihipStream_tbEUljE_EEESW_SX_SY_S15_S19_S1B_T6_T7_T9_mT8_S1D_bDpT10_ENKUlT_T0_E_clISt17integral_constantIbLb0EES1Q_EEDaS1L_S1M_EUlS1L_E_NS1_11comp_targetILNS1_3genE2ELNS1_11target_archE906ELNS1_3gpuE6ELNS1_3repE0EEENS1_30default_config_static_selectorELNS0_4arch9wavefront6targetE0EEEvSZ_.num_vgpr, 0
	.set _ZN7rocprim17ROCPRIM_400000_NS6detail17trampoline_kernelINS0_13select_configILj256ELj13ELNS0_17block_load_methodE3ELS4_3ELS4_3ELNS0_20block_scan_algorithmE0ELj4294967295EEENS1_25partition_config_selectorILNS1_17partition_subalgoE3EjNS0_10empty_typeEbEEZZNS1_14partition_implILS8_3ELb0ES6_jNS0_17counting_iteratorIjlEEPS9_SE_NS0_5tupleIJPjSE_EEENSF_IJSE_SE_EEES9_SG_JZNS1_25segmented_radix_sort_implINS0_14default_configELb0EPK6__halfPSL_PKlPlN2at6native12_GLOBAL__N_18offset_tEEE10hipError_tPvRmT1_PNSt15iterator_traitsISZ_E10value_typeET2_T3_PNS10_IS15_E10value_typeET4_jRbjT5_S1B_jjP12ihipStream_tbEUljE_EEESW_SX_SY_S15_S19_S1B_T6_T7_T9_mT8_S1D_bDpT10_ENKUlT_T0_E_clISt17integral_constantIbLb0EES1Q_EEDaS1L_S1M_EUlS1L_E_NS1_11comp_targetILNS1_3genE2ELNS1_11target_archE906ELNS1_3gpuE6ELNS1_3repE0EEENS1_30default_config_static_selectorELNS0_4arch9wavefront6targetE0EEEvSZ_.num_agpr, 0
	.set _ZN7rocprim17ROCPRIM_400000_NS6detail17trampoline_kernelINS0_13select_configILj256ELj13ELNS0_17block_load_methodE3ELS4_3ELS4_3ELNS0_20block_scan_algorithmE0ELj4294967295EEENS1_25partition_config_selectorILNS1_17partition_subalgoE3EjNS0_10empty_typeEbEEZZNS1_14partition_implILS8_3ELb0ES6_jNS0_17counting_iteratorIjlEEPS9_SE_NS0_5tupleIJPjSE_EEENSF_IJSE_SE_EEES9_SG_JZNS1_25segmented_radix_sort_implINS0_14default_configELb0EPK6__halfPSL_PKlPlN2at6native12_GLOBAL__N_18offset_tEEE10hipError_tPvRmT1_PNSt15iterator_traitsISZ_E10value_typeET2_T3_PNS10_IS15_E10value_typeET4_jRbjT5_S1B_jjP12ihipStream_tbEUljE_EEESW_SX_SY_S15_S19_S1B_T6_T7_T9_mT8_S1D_bDpT10_ENKUlT_T0_E_clISt17integral_constantIbLb0EES1Q_EEDaS1L_S1M_EUlS1L_E_NS1_11comp_targetILNS1_3genE2ELNS1_11target_archE906ELNS1_3gpuE6ELNS1_3repE0EEENS1_30default_config_static_selectorELNS0_4arch9wavefront6targetE0EEEvSZ_.numbered_sgpr, 0
	.set _ZN7rocprim17ROCPRIM_400000_NS6detail17trampoline_kernelINS0_13select_configILj256ELj13ELNS0_17block_load_methodE3ELS4_3ELS4_3ELNS0_20block_scan_algorithmE0ELj4294967295EEENS1_25partition_config_selectorILNS1_17partition_subalgoE3EjNS0_10empty_typeEbEEZZNS1_14partition_implILS8_3ELb0ES6_jNS0_17counting_iteratorIjlEEPS9_SE_NS0_5tupleIJPjSE_EEENSF_IJSE_SE_EEES9_SG_JZNS1_25segmented_radix_sort_implINS0_14default_configELb0EPK6__halfPSL_PKlPlN2at6native12_GLOBAL__N_18offset_tEEE10hipError_tPvRmT1_PNSt15iterator_traitsISZ_E10value_typeET2_T3_PNS10_IS15_E10value_typeET4_jRbjT5_S1B_jjP12ihipStream_tbEUljE_EEESW_SX_SY_S15_S19_S1B_T6_T7_T9_mT8_S1D_bDpT10_ENKUlT_T0_E_clISt17integral_constantIbLb0EES1Q_EEDaS1L_S1M_EUlS1L_E_NS1_11comp_targetILNS1_3genE2ELNS1_11target_archE906ELNS1_3gpuE6ELNS1_3repE0EEENS1_30default_config_static_selectorELNS0_4arch9wavefront6targetE0EEEvSZ_.num_named_barrier, 0
	.set _ZN7rocprim17ROCPRIM_400000_NS6detail17trampoline_kernelINS0_13select_configILj256ELj13ELNS0_17block_load_methodE3ELS4_3ELS4_3ELNS0_20block_scan_algorithmE0ELj4294967295EEENS1_25partition_config_selectorILNS1_17partition_subalgoE3EjNS0_10empty_typeEbEEZZNS1_14partition_implILS8_3ELb0ES6_jNS0_17counting_iteratorIjlEEPS9_SE_NS0_5tupleIJPjSE_EEENSF_IJSE_SE_EEES9_SG_JZNS1_25segmented_radix_sort_implINS0_14default_configELb0EPK6__halfPSL_PKlPlN2at6native12_GLOBAL__N_18offset_tEEE10hipError_tPvRmT1_PNSt15iterator_traitsISZ_E10value_typeET2_T3_PNS10_IS15_E10value_typeET4_jRbjT5_S1B_jjP12ihipStream_tbEUljE_EEESW_SX_SY_S15_S19_S1B_T6_T7_T9_mT8_S1D_bDpT10_ENKUlT_T0_E_clISt17integral_constantIbLb0EES1Q_EEDaS1L_S1M_EUlS1L_E_NS1_11comp_targetILNS1_3genE2ELNS1_11target_archE906ELNS1_3gpuE6ELNS1_3repE0EEENS1_30default_config_static_selectorELNS0_4arch9wavefront6targetE0EEEvSZ_.private_seg_size, 0
	.set _ZN7rocprim17ROCPRIM_400000_NS6detail17trampoline_kernelINS0_13select_configILj256ELj13ELNS0_17block_load_methodE3ELS4_3ELS4_3ELNS0_20block_scan_algorithmE0ELj4294967295EEENS1_25partition_config_selectorILNS1_17partition_subalgoE3EjNS0_10empty_typeEbEEZZNS1_14partition_implILS8_3ELb0ES6_jNS0_17counting_iteratorIjlEEPS9_SE_NS0_5tupleIJPjSE_EEENSF_IJSE_SE_EEES9_SG_JZNS1_25segmented_radix_sort_implINS0_14default_configELb0EPK6__halfPSL_PKlPlN2at6native12_GLOBAL__N_18offset_tEEE10hipError_tPvRmT1_PNSt15iterator_traitsISZ_E10value_typeET2_T3_PNS10_IS15_E10value_typeET4_jRbjT5_S1B_jjP12ihipStream_tbEUljE_EEESW_SX_SY_S15_S19_S1B_T6_T7_T9_mT8_S1D_bDpT10_ENKUlT_T0_E_clISt17integral_constantIbLb0EES1Q_EEDaS1L_S1M_EUlS1L_E_NS1_11comp_targetILNS1_3genE2ELNS1_11target_archE906ELNS1_3gpuE6ELNS1_3repE0EEENS1_30default_config_static_selectorELNS0_4arch9wavefront6targetE0EEEvSZ_.uses_vcc, 0
	.set _ZN7rocprim17ROCPRIM_400000_NS6detail17trampoline_kernelINS0_13select_configILj256ELj13ELNS0_17block_load_methodE3ELS4_3ELS4_3ELNS0_20block_scan_algorithmE0ELj4294967295EEENS1_25partition_config_selectorILNS1_17partition_subalgoE3EjNS0_10empty_typeEbEEZZNS1_14partition_implILS8_3ELb0ES6_jNS0_17counting_iteratorIjlEEPS9_SE_NS0_5tupleIJPjSE_EEENSF_IJSE_SE_EEES9_SG_JZNS1_25segmented_radix_sort_implINS0_14default_configELb0EPK6__halfPSL_PKlPlN2at6native12_GLOBAL__N_18offset_tEEE10hipError_tPvRmT1_PNSt15iterator_traitsISZ_E10value_typeET2_T3_PNS10_IS15_E10value_typeET4_jRbjT5_S1B_jjP12ihipStream_tbEUljE_EEESW_SX_SY_S15_S19_S1B_T6_T7_T9_mT8_S1D_bDpT10_ENKUlT_T0_E_clISt17integral_constantIbLb0EES1Q_EEDaS1L_S1M_EUlS1L_E_NS1_11comp_targetILNS1_3genE2ELNS1_11target_archE906ELNS1_3gpuE6ELNS1_3repE0EEENS1_30default_config_static_selectorELNS0_4arch9wavefront6targetE0EEEvSZ_.uses_flat_scratch, 0
	.set _ZN7rocprim17ROCPRIM_400000_NS6detail17trampoline_kernelINS0_13select_configILj256ELj13ELNS0_17block_load_methodE3ELS4_3ELS4_3ELNS0_20block_scan_algorithmE0ELj4294967295EEENS1_25partition_config_selectorILNS1_17partition_subalgoE3EjNS0_10empty_typeEbEEZZNS1_14partition_implILS8_3ELb0ES6_jNS0_17counting_iteratorIjlEEPS9_SE_NS0_5tupleIJPjSE_EEENSF_IJSE_SE_EEES9_SG_JZNS1_25segmented_radix_sort_implINS0_14default_configELb0EPK6__halfPSL_PKlPlN2at6native12_GLOBAL__N_18offset_tEEE10hipError_tPvRmT1_PNSt15iterator_traitsISZ_E10value_typeET2_T3_PNS10_IS15_E10value_typeET4_jRbjT5_S1B_jjP12ihipStream_tbEUljE_EEESW_SX_SY_S15_S19_S1B_T6_T7_T9_mT8_S1D_bDpT10_ENKUlT_T0_E_clISt17integral_constantIbLb0EES1Q_EEDaS1L_S1M_EUlS1L_E_NS1_11comp_targetILNS1_3genE2ELNS1_11target_archE906ELNS1_3gpuE6ELNS1_3repE0EEENS1_30default_config_static_selectorELNS0_4arch9wavefront6targetE0EEEvSZ_.has_dyn_sized_stack, 0
	.set _ZN7rocprim17ROCPRIM_400000_NS6detail17trampoline_kernelINS0_13select_configILj256ELj13ELNS0_17block_load_methodE3ELS4_3ELS4_3ELNS0_20block_scan_algorithmE0ELj4294967295EEENS1_25partition_config_selectorILNS1_17partition_subalgoE3EjNS0_10empty_typeEbEEZZNS1_14partition_implILS8_3ELb0ES6_jNS0_17counting_iteratorIjlEEPS9_SE_NS0_5tupleIJPjSE_EEENSF_IJSE_SE_EEES9_SG_JZNS1_25segmented_radix_sort_implINS0_14default_configELb0EPK6__halfPSL_PKlPlN2at6native12_GLOBAL__N_18offset_tEEE10hipError_tPvRmT1_PNSt15iterator_traitsISZ_E10value_typeET2_T3_PNS10_IS15_E10value_typeET4_jRbjT5_S1B_jjP12ihipStream_tbEUljE_EEESW_SX_SY_S15_S19_S1B_T6_T7_T9_mT8_S1D_bDpT10_ENKUlT_T0_E_clISt17integral_constantIbLb0EES1Q_EEDaS1L_S1M_EUlS1L_E_NS1_11comp_targetILNS1_3genE2ELNS1_11target_archE906ELNS1_3gpuE6ELNS1_3repE0EEENS1_30default_config_static_selectorELNS0_4arch9wavefront6targetE0EEEvSZ_.has_recursion, 0
	.set _ZN7rocprim17ROCPRIM_400000_NS6detail17trampoline_kernelINS0_13select_configILj256ELj13ELNS0_17block_load_methodE3ELS4_3ELS4_3ELNS0_20block_scan_algorithmE0ELj4294967295EEENS1_25partition_config_selectorILNS1_17partition_subalgoE3EjNS0_10empty_typeEbEEZZNS1_14partition_implILS8_3ELb0ES6_jNS0_17counting_iteratorIjlEEPS9_SE_NS0_5tupleIJPjSE_EEENSF_IJSE_SE_EEES9_SG_JZNS1_25segmented_radix_sort_implINS0_14default_configELb0EPK6__halfPSL_PKlPlN2at6native12_GLOBAL__N_18offset_tEEE10hipError_tPvRmT1_PNSt15iterator_traitsISZ_E10value_typeET2_T3_PNS10_IS15_E10value_typeET4_jRbjT5_S1B_jjP12ihipStream_tbEUljE_EEESW_SX_SY_S15_S19_S1B_T6_T7_T9_mT8_S1D_bDpT10_ENKUlT_T0_E_clISt17integral_constantIbLb0EES1Q_EEDaS1L_S1M_EUlS1L_E_NS1_11comp_targetILNS1_3genE2ELNS1_11target_archE906ELNS1_3gpuE6ELNS1_3repE0EEENS1_30default_config_static_selectorELNS0_4arch9wavefront6targetE0EEEvSZ_.has_indirect_call, 0
	.section	.AMDGPU.csdata,"",@progbits
; Kernel info:
; codeLenInByte = 0
; TotalNumSgprs: 0
; NumVgprs: 0
; ScratchSize: 0
; MemoryBound: 0
; FloatMode: 240
; IeeeMode: 1
; LDSByteSize: 0 bytes/workgroup (compile time only)
; SGPRBlocks: 0
; VGPRBlocks: 0
; NumSGPRsForWavesPerEU: 1
; NumVGPRsForWavesPerEU: 1
; Occupancy: 16
; WaveLimiterHint : 0
; COMPUTE_PGM_RSRC2:SCRATCH_EN: 0
; COMPUTE_PGM_RSRC2:USER_SGPR: 2
; COMPUTE_PGM_RSRC2:TRAP_HANDLER: 0
; COMPUTE_PGM_RSRC2:TGID_X_EN: 1
; COMPUTE_PGM_RSRC2:TGID_Y_EN: 0
; COMPUTE_PGM_RSRC2:TGID_Z_EN: 0
; COMPUTE_PGM_RSRC2:TIDIG_COMP_CNT: 0
	.section	.text._ZN7rocprim17ROCPRIM_400000_NS6detail17trampoline_kernelINS0_13select_configILj256ELj13ELNS0_17block_load_methodE3ELS4_3ELS4_3ELNS0_20block_scan_algorithmE0ELj4294967295EEENS1_25partition_config_selectorILNS1_17partition_subalgoE3EjNS0_10empty_typeEbEEZZNS1_14partition_implILS8_3ELb0ES6_jNS0_17counting_iteratorIjlEEPS9_SE_NS0_5tupleIJPjSE_EEENSF_IJSE_SE_EEES9_SG_JZNS1_25segmented_radix_sort_implINS0_14default_configELb0EPK6__halfPSL_PKlPlN2at6native12_GLOBAL__N_18offset_tEEE10hipError_tPvRmT1_PNSt15iterator_traitsISZ_E10value_typeET2_T3_PNS10_IS15_E10value_typeET4_jRbjT5_S1B_jjP12ihipStream_tbEUljE_EEESW_SX_SY_S15_S19_S1B_T6_T7_T9_mT8_S1D_bDpT10_ENKUlT_T0_E_clISt17integral_constantIbLb0EES1Q_EEDaS1L_S1M_EUlS1L_E_NS1_11comp_targetILNS1_3genE10ELNS1_11target_archE1200ELNS1_3gpuE4ELNS1_3repE0EEENS1_30default_config_static_selectorELNS0_4arch9wavefront6targetE0EEEvSZ_,"axG",@progbits,_ZN7rocprim17ROCPRIM_400000_NS6detail17trampoline_kernelINS0_13select_configILj256ELj13ELNS0_17block_load_methodE3ELS4_3ELS4_3ELNS0_20block_scan_algorithmE0ELj4294967295EEENS1_25partition_config_selectorILNS1_17partition_subalgoE3EjNS0_10empty_typeEbEEZZNS1_14partition_implILS8_3ELb0ES6_jNS0_17counting_iteratorIjlEEPS9_SE_NS0_5tupleIJPjSE_EEENSF_IJSE_SE_EEES9_SG_JZNS1_25segmented_radix_sort_implINS0_14default_configELb0EPK6__halfPSL_PKlPlN2at6native12_GLOBAL__N_18offset_tEEE10hipError_tPvRmT1_PNSt15iterator_traitsISZ_E10value_typeET2_T3_PNS10_IS15_E10value_typeET4_jRbjT5_S1B_jjP12ihipStream_tbEUljE_EEESW_SX_SY_S15_S19_S1B_T6_T7_T9_mT8_S1D_bDpT10_ENKUlT_T0_E_clISt17integral_constantIbLb0EES1Q_EEDaS1L_S1M_EUlS1L_E_NS1_11comp_targetILNS1_3genE10ELNS1_11target_archE1200ELNS1_3gpuE4ELNS1_3repE0EEENS1_30default_config_static_selectorELNS0_4arch9wavefront6targetE0EEEvSZ_,comdat
	.globl	_ZN7rocprim17ROCPRIM_400000_NS6detail17trampoline_kernelINS0_13select_configILj256ELj13ELNS0_17block_load_methodE3ELS4_3ELS4_3ELNS0_20block_scan_algorithmE0ELj4294967295EEENS1_25partition_config_selectorILNS1_17partition_subalgoE3EjNS0_10empty_typeEbEEZZNS1_14partition_implILS8_3ELb0ES6_jNS0_17counting_iteratorIjlEEPS9_SE_NS0_5tupleIJPjSE_EEENSF_IJSE_SE_EEES9_SG_JZNS1_25segmented_radix_sort_implINS0_14default_configELb0EPK6__halfPSL_PKlPlN2at6native12_GLOBAL__N_18offset_tEEE10hipError_tPvRmT1_PNSt15iterator_traitsISZ_E10value_typeET2_T3_PNS10_IS15_E10value_typeET4_jRbjT5_S1B_jjP12ihipStream_tbEUljE_EEESW_SX_SY_S15_S19_S1B_T6_T7_T9_mT8_S1D_bDpT10_ENKUlT_T0_E_clISt17integral_constantIbLb0EES1Q_EEDaS1L_S1M_EUlS1L_E_NS1_11comp_targetILNS1_3genE10ELNS1_11target_archE1200ELNS1_3gpuE4ELNS1_3repE0EEENS1_30default_config_static_selectorELNS0_4arch9wavefront6targetE0EEEvSZ_ ; -- Begin function _ZN7rocprim17ROCPRIM_400000_NS6detail17trampoline_kernelINS0_13select_configILj256ELj13ELNS0_17block_load_methodE3ELS4_3ELS4_3ELNS0_20block_scan_algorithmE0ELj4294967295EEENS1_25partition_config_selectorILNS1_17partition_subalgoE3EjNS0_10empty_typeEbEEZZNS1_14partition_implILS8_3ELb0ES6_jNS0_17counting_iteratorIjlEEPS9_SE_NS0_5tupleIJPjSE_EEENSF_IJSE_SE_EEES9_SG_JZNS1_25segmented_radix_sort_implINS0_14default_configELb0EPK6__halfPSL_PKlPlN2at6native12_GLOBAL__N_18offset_tEEE10hipError_tPvRmT1_PNSt15iterator_traitsISZ_E10value_typeET2_T3_PNS10_IS15_E10value_typeET4_jRbjT5_S1B_jjP12ihipStream_tbEUljE_EEESW_SX_SY_S15_S19_S1B_T6_T7_T9_mT8_S1D_bDpT10_ENKUlT_T0_E_clISt17integral_constantIbLb0EES1Q_EEDaS1L_S1M_EUlS1L_E_NS1_11comp_targetILNS1_3genE10ELNS1_11target_archE1200ELNS1_3gpuE4ELNS1_3repE0EEENS1_30default_config_static_selectorELNS0_4arch9wavefront6targetE0EEEvSZ_
	.p2align	8
	.type	_ZN7rocprim17ROCPRIM_400000_NS6detail17trampoline_kernelINS0_13select_configILj256ELj13ELNS0_17block_load_methodE3ELS4_3ELS4_3ELNS0_20block_scan_algorithmE0ELj4294967295EEENS1_25partition_config_selectorILNS1_17partition_subalgoE3EjNS0_10empty_typeEbEEZZNS1_14partition_implILS8_3ELb0ES6_jNS0_17counting_iteratorIjlEEPS9_SE_NS0_5tupleIJPjSE_EEENSF_IJSE_SE_EEES9_SG_JZNS1_25segmented_radix_sort_implINS0_14default_configELb0EPK6__halfPSL_PKlPlN2at6native12_GLOBAL__N_18offset_tEEE10hipError_tPvRmT1_PNSt15iterator_traitsISZ_E10value_typeET2_T3_PNS10_IS15_E10value_typeET4_jRbjT5_S1B_jjP12ihipStream_tbEUljE_EEESW_SX_SY_S15_S19_S1B_T6_T7_T9_mT8_S1D_bDpT10_ENKUlT_T0_E_clISt17integral_constantIbLb0EES1Q_EEDaS1L_S1M_EUlS1L_E_NS1_11comp_targetILNS1_3genE10ELNS1_11target_archE1200ELNS1_3gpuE4ELNS1_3repE0EEENS1_30default_config_static_selectorELNS0_4arch9wavefront6targetE0EEEvSZ_,@function
_ZN7rocprim17ROCPRIM_400000_NS6detail17trampoline_kernelINS0_13select_configILj256ELj13ELNS0_17block_load_methodE3ELS4_3ELS4_3ELNS0_20block_scan_algorithmE0ELj4294967295EEENS1_25partition_config_selectorILNS1_17partition_subalgoE3EjNS0_10empty_typeEbEEZZNS1_14partition_implILS8_3ELb0ES6_jNS0_17counting_iteratorIjlEEPS9_SE_NS0_5tupleIJPjSE_EEENSF_IJSE_SE_EEES9_SG_JZNS1_25segmented_radix_sort_implINS0_14default_configELb0EPK6__halfPSL_PKlPlN2at6native12_GLOBAL__N_18offset_tEEE10hipError_tPvRmT1_PNSt15iterator_traitsISZ_E10value_typeET2_T3_PNS10_IS15_E10value_typeET4_jRbjT5_S1B_jjP12ihipStream_tbEUljE_EEESW_SX_SY_S15_S19_S1B_T6_T7_T9_mT8_S1D_bDpT10_ENKUlT_T0_E_clISt17integral_constantIbLb0EES1Q_EEDaS1L_S1M_EUlS1L_E_NS1_11comp_targetILNS1_3genE10ELNS1_11target_archE1200ELNS1_3gpuE4ELNS1_3repE0EEENS1_30default_config_static_selectorELNS0_4arch9wavefront6targetE0EEEvSZ_: ; @_ZN7rocprim17ROCPRIM_400000_NS6detail17trampoline_kernelINS0_13select_configILj256ELj13ELNS0_17block_load_methodE3ELS4_3ELS4_3ELNS0_20block_scan_algorithmE0ELj4294967295EEENS1_25partition_config_selectorILNS1_17partition_subalgoE3EjNS0_10empty_typeEbEEZZNS1_14partition_implILS8_3ELb0ES6_jNS0_17counting_iteratorIjlEEPS9_SE_NS0_5tupleIJPjSE_EEENSF_IJSE_SE_EEES9_SG_JZNS1_25segmented_radix_sort_implINS0_14default_configELb0EPK6__halfPSL_PKlPlN2at6native12_GLOBAL__N_18offset_tEEE10hipError_tPvRmT1_PNSt15iterator_traitsISZ_E10value_typeET2_T3_PNS10_IS15_E10value_typeET4_jRbjT5_S1B_jjP12ihipStream_tbEUljE_EEESW_SX_SY_S15_S19_S1B_T6_T7_T9_mT8_S1D_bDpT10_ENKUlT_T0_E_clISt17integral_constantIbLb0EES1Q_EEDaS1L_S1M_EUlS1L_E_NS1_11comp_targetILNS1_3genE10ELNS1_11target_archE1200ELNS1_3gpuE4ELNS1_3repE0EEENS1_30default_config_static_selectorELNS0_4arch9wavefront6targetE0EEEvSZ_
; %bb.0:
	s_clause 0x6
	s_load_b32 s2, s[0:1], 0x70
	s_load_b128 s[8:11], s[0:1], 0x48
	s_load_b64 s[12:13], s[0:1], 0x10
	s_load_b64 s[14:15], s[0:1], 0x58
	s_load_b32 s20, s[0:1], 0x8
	s_load_b32 s3, s[0:1], 0x88
	s_load_b128 s[4:7], s[0:1], 0x78
	s_mov_b32 s17, 0
	v_lshlrev_b32_e32 v42, 2, v0
	s_wait_kmcnt 0x0
	s_mul_i32 s16, s2, 0xd00
	s_load_b64 s[18:19], s[10:11], 0x0
	s_add_co_i32 s10, s16, s12
	s_add_co_i32 s2, s2, -1
	s_sub_co_i32 s23, s14, s10
	s_add_nc_u64 s[10:11], s[12:13], s[16:17]
	s_addk_co_i32 s23, 0xd00
	s_cmp_eq_u32 ttmp9, s2
	s_mul_i32 s16, ttmp9, 0xd00
	s_cselect_b32 s22, -1, 0
	s_cmp_lg_u32 ttmp9, s2
	v_cmp_gt_u64_e64 s10, s[14:15], s[10:11]
	s_cselect_b32 s2, -1, 0
	s_add_co_i32 s11, s20, s16
	s_mov_b32 s17, -1
	s_wait_alu 0xfffe
	s_add_co_i32 s11, s11, s12
	s_wait_alu 0xfffe
	v_add_nc_u32_e32 v1, s11, v0
	s_or_b32 s10, s2, s10
	s_wait_alu 0xfffe
	s_and_b32 vcc_lo, exec_lo, s10
	s_cbranch_vccz .LBB1815_2
; %bb.1:
	v_add_nc_u32_e32 v2, 0x100, v1
	v_add_nc_u32_e32 v3, 0x200, v1
	;; [unrolled: 1-line block ×12, first 2 shown]
	ds_store_2addr_stride64_b32 v42, v1, v2 offset1:4
	ds_store_2addr_stride64_b32 v42, v3, v4 offset0:8 offset1:12
	ds_store_2addr_stride64_b32 v42, v5, v6 offset0:16 offset1:20
	;; [unrolled: 1-line block ×5, first 2 shown]
	ds_store_b32 v42, v13 offset:12288
	s_wait_dscnt 0x0
	s_barrier_signal -1
	s_mov_b32 s17, 0
	s_barrier_wait -1
.LBB1815_2:
	v_cmp_gt_u32_e64 s2, s23, v0
	v_or_b32_e32 v41, 0x100, v0
	v_or_b32_e32 v40, 0x200, v0
	;; [unrolled: 1-line block ×12, first 2 shown]
	s_and_not1_b32 vcc_lo, exec_lo, s17
	s_cbranch_vccnz .LBB1815_4
; %bb.3:
	v_cmp_gt_u32_e32 vcc_lo, s23, v41
	v_add_nc_u32_e32 v3, s11, v40
	v_add_nc_u32_e32 v2, s11, v41
	v_cndmask_b32_e64 v1, 0, v1, s2
	s_delay_alu instid0(VALU_DEP_2)
	v_cndmask_b32_e32 v2, 0, v2, vcc_lo
	v_cmp_gt_u32_e32 vcc_lo, s23, v40
	s_wait_alu 0xfffd
	v_cndmask_b32_e32 v3, 0, v3, vcc_lo
	v_cmp_gt_u32_e32 vcc_lo, s23, v39
	v_add_nc_u32_e32 v5, s11, v38
	v_add_nc_u32_e32 v4, s11, v39
	s_wait_alu 0xfffd
	s_delay_alu instid0(VALU_DEP_1)
	v_cndmask_b32_e32 v4, 0, v4, vcc_lo
	v_cmp_gt_u32_e32 vcc_lo, s23, v38
	s_wait_alu 0xfffd
	v_cndmask_b32_e32 v5, 0, v5, vcc_lo
	v_cmp_gt_u32_e32 vcc_lo, s23, v37
	v_add_nc_u32_e32 v7, s11, v36
	v_add_nc_u32_e32 v6, s11, v37
	s_wait_alu 0xfffd
	s_delay_alu instid0(VALU_DEP_1)
	;; [unrolled: 9-line block ×5, first 2 shown]
	v_cndmask_b32_e32 v12, 0, v12, vcc_lo
	v_cmp_gt_u32_e32 vcc_lo, s23, v30
	s_wait_alu 0xfffd
	v_cndmask_b32_e32 v13, 0, v13, vcc_lo
	ds_store_2addr_stride64_b32 v42, v1, v2 offset1:4
	ds_store_2addr_stride64_b32 v42, v3, v4 offset0:8 offset1:12
	ds_store_2addr_stride64_b32 v42, v5, v6 offset0:16 offset1:20
	ds_store_2addr_stride64_b32 v42, v7, v8 offset0:24 offset1:28
	ds_store_2addr_stride64_b32 v42, v9, v10 offset0:32 offset1:36
	ds_store_2addr_stride64_b32 v42, v11, v12 offset0:40 offset1:44
	ds_store_b32 v42, v13 offset:12288
	s_wait_dscnt 0x0
	s_barrier_signal -1
	s_barrier_wait -1
.LBB1815_4:
	v_mul_u32_u24_e32 v45, 13, v0
	global_inv scope:SCOPE_SE
	v_cndmask_b32_e64 v43, 0, 1, s10
	s_and_not1_b32 vcc_lo, exec_lo, s10
	v_lshlrev_b32_e32 v1, 2, v45
	ds_load_2addr_b32 v[26:27], v1 offset0:2 offset1:3
	ds_load_2addr_b32 v[22:23], v1 offset0:6 offset1:7
	;; [unrolled: 1-line block ×3, first 2 shown]
	ds_load_2addr_b32 v[28:29], v1 offset1:1
	ds_load_2addr_b32 v[18:19], v1 offset0:10 offset1:11
	ds_load_b32 v44, v1 offset:48
	ds_load_2addr_b32 v[20:21], v1 offset0:8 offset1:9
	s_wait_loadcnt_dscnt 0x0
	s_barrier_signal -1
	s_barrier_wait -1
	global_inv scope:SCOPE_SE
	s_wait_alu 0xfffe
	s_cbranch_vccnz .LBB1815_6
; %bb.5:
	v_add_nc_u32_e32 v1, s5, v27
	v_add_nc_u32_e32 v2, s7, v27
	v_add_nc_u32_e32 v4, s5, v28
	v_add_nc_u32_e32 v5, s5, v26
	v_add_nc_u32_e32 v7, s7, v28
	v_mul_lo_u32 v1, v1, s4
	v_mul_lo_u32 v2, v2, s6
	v_add_nc_u32_e32 v8, s7, v26
	v_add_nc_u32_e32 v3, s5, v29
	;; [unrolled: 1-line block ×3, first 2 shown]
	v_mul_lo_u32 v5, v5, s4
	v_mul_lo_u32 v4, v4, s4
	v_add_nc_u32_e32 v9, s5, v24
	v_mul_lo_u32 v3, v3, s4
	v_sub_nc_u32_e32 v1, v1, v2
	v_mul_lo_u32 v2, v7, s6
	v_mul_lo_u32 v7, v8, s6
	;; [unrolled: 1-line block ×3, first 2 shown]
	v_add_nc_u32_e32 v8, s5, v25
	v_add_nc_u32_e32 v10, s7, v24
	v_mul_lo_u32 v9, v9, s4
	v_cmp_lt_u32_e32 vcc_lo, s3, v1
	v_add_nc_u32_e32 v14, s7, v19
	v_sub_nc_u32_e32 v2, v4, v2
	v_sub_nc_u32_e32 v4, v5, v7
	v_add_nc_u32_e32 v5, s7, v25
	v_sub_nc_u32_e32 v3, v3, v6
	v_add_nc_u32_e32 v6, s5, v23
	v_add_nc_u32_e32 v7, s7, v23
	v_mul_lo_u32 v8, v8, s4
	v_mul_lo_u32 v5, v5, s6
	;; [unrolled: 1-line block ×5, first 2 shown]
	s_wait_alu 0xfffd
	v_cndmask_b32_e64 v1, 0, 1, vcc_lo
	v_cmp_lt_u32_e32 vcc_lo, s3, v3
	v_mul_lo_u32 v14, v14, s6
	v_add_nc_u32_e32 v15, s7, v21
	v_sub_nc_u32_e32 v5, v8, v5
	v_add_nc_u32_e32 v8, s7, v22
	s_wait_alu 0xfffd
	v_cndmask_b32_e64 v3, 0, 1, vcc_lo
	v_sub_nc_u32_e32 v6, v6, v7
	v_mul_lo_u32 v15, v15, s6
	v_cmp_lt_u32_e32 vcc_lo, s3, v5
	v_mul_lo_u32 v7, v8, s6
	v_sub_nc_u32_e32 v8, v9, v10
	v_add_nc_u32_e32 v9, s5, v19
	v_add_nc_u32_e32 v10, s5, v21
	s_wait_alu 0xfffd
	v_cndmask_b32_e64 v5, 0, 1, vcc_lo
	v_cmp_lt_u32_e32 vcc_lo, s3, v6
	v_add_nc_u32_e32 v11, s5, v22
	v_mul_lo_u32 v9, v9, s4
	v_mul_lo_u32 v10, v10, s4
	v_add_nc_u32_e32 v12, s5, v20
	s_wait_alu 0xfffd
	v_cndmask_b32_e64 v6, 0, 1, vcc_lo
	v_mul_lo_u32 v11, v11, s4
	v_add_nc_u32_e32 v16, s7, v20
	v_lshlrev_b16 v3, 8, v3
	v_add_nc_u32_e32 v13, s5, v18
	v_sub_nc_u32_e32 v9, v9, v14
	v_sub_nc_u32_e32 v10, v10, v15
	v_add_nc_u32_e32 v17, s7, v18
	v_mul_lo_u32 v12, v12, s4
	v_mul_lo_u32 v16, v16, s6
	v_cmp_lt_u32_e32 vcc_lo, s3, v9
	v_sub_nc_u32_e32 v7, v11, v7
	v_lshrrev_b32_e32 v3, 8, v3
	v_mul_lo_u32 v11, v13, s4
	v_mul_lo_u32 v13, v17, s6
	s_wait_alu 0xfffd
	v_cndmask_b32_e64 v9, 0, 1, vcc_lo
	v_cmp_lt_u32_e32 vcc_lo, s3, v2
	v_sub_nc_u32_e32 v12, v12, v16
	v_lshlrev_b16 v3, 8, v3
	v_lshlrev_b16 v1, 8, v1
	;; [unrolled: 1-line block ×3, first 2 shown]
	s_wait_alu 0xfffd
	v_cndmask_b32_e64 v2, 0, 1, vcc_lo
	v_cmp_lt_u32_e32 vcc_lo, s3, v10
	v_sub_nc_u32_e32 v11, v11, v13
	v_add_nc_u32_e32 v14, s5, v44
	v_add_nc_u32_e32 v15, s7, v44
	v_or_b32_e32 v2, v2, v3
	s_wait_alu 0xfffd
	v_cndmask_b32_e64 v10, 0, 1, vcc_lo
	v_cmp_lt_u32_e32 vcc_lo, s3, v4
	v_lshlrev_b16 v3, 8, v9
	v_lshrrev_b32_e32 v5, 8, v5
	v_lshrrev_b32_e32 v1, 8, v1
	v_lshlrev_b16 v9, 8, v10
	s_wait_alu 0xfffd
	v_cndmask_b32_e64 v4, 0, 1, vcc_lo
	v_cmp_lt_u32_e32 vcc_lo, s3, v8
	v_lshrrev_b32_e32 v3, 8, v3
	v_mul_lo_u32 v14, v14, s4
	v_lshrrev_b32_e32 v9, 8, v9
	v_mul_lo_u32 v15, v15, s6
	s_wait_alu 0xfffd
	v_cndmask_b32_e64 v8, 0, 1, vcc_lo
	v_cmp_lt_u32_e32 vcc_lo, s3, v7
	v_lshlrev_b16 v6, 8, v6
	v_lshlrev_b16 v1, 8, v1
	;; [unrolled: 1-line block ×4, first 2 shown]
	s_wait_alu 0xfffd
	v_cndmask_b32_e64 v7, 0, 1, vcc_lo
	v_cmp_lt_u32_e32 vcc_lo, s3, v12
	v_lshlrev_b16 v3, 8, v3
	v_sub_nc_u32_e32 v10, v14, v15
	v_or_b32_e32 v1, v4, v1
	v_or_b32_e32 v4, v8, v5
	s_wait_alu 0xfffd
	v_cndmask_b32_e64 v12, 0, 1, vcc_lo
	v_cmp_lt_u32_e32 vcc_lo, s3, v11
	v_or_b32_e32 v5, v7, v6
	v_and_b32_e32 v2, 0xffff, v2
	v_lshlrev_b32_e32 v1, 16, v1
	v_or_b32_e32 v6, v12, v9
	s_wait_alu 0xfffd
	v_cndmask_b32_e64 v11, 0, 1, vcc_lo
	v_and_b32_e32 v4, 0xffff, v4
	v_lshlrev_b32_e32 v5, 16, v5
	v_cmp_lt_u32_e32 vcc_lo, s3, v10
	v_and_b32_e32 v6, 0xffff, v6
	v_or_b32_e32 v3, v11, v3
	v_or_b32_e32 v51, v2, v1
	;; [unrolled: 1-line block ×3, first 2 shown]
	s_wait_alu 0xfffd
	v_cndmask_b32_e64 v46, 0, 1, vcc_lo
	v_lshlrev_b32_e32 v3, 16, v3
	s_delay_alu instid0(VALU_DEP_1)
	v_or_b32_e32 v47, v6, v3
	s_clause 0x1
	s_load_b64 s[10:11], s[0:1], 0x28
	s_load_b64 s[20:21], s[0:1], 0x68
	s_cbranch_execz .LBB1815_7
	s_branch .LBB1815_34
.LBB1815_6:
                                        ; implicit-def: $vgpr46
                                        ; implicit-def: $vgpr47
                                        ; implicit-def: $vgpr49
                                        ; implicit-def: $vgpr51
	s_clause 0x1
	s_load_b64 s[10:11], s[0:1], 0x28
	s_load_b64 s[20:21], s[0:1], 0x68
.LBB1815_7:
	v_dual_mov_b32 v2, 0 :: v_dual_mov_b32 v1, 0
	s_mov_b32 s0, exec_lo
	v_cmpx_gt_u32_e64 s23, v45
	s_cbranch_execz .LBB1815_9
; %bb.8:
	v_add_nc_u32_e32 v1, s5, v28
	v_add_nc_u32_e32 v3, s7, v28
	s_delay_alu instid0(VALU_DEP_2) | instskip(NEXT) | instid1(VALU_DEP_2)
	v_mul_lo_u32 v1, v1, s4
	v_mul_lo_u32 v3, v3, s6
	s_delay_alu instid0(VALU_DEP_1) | instskip(NEXT) | instid1(VALU_DEP_1)
	v_sub_nc_u32_e32 v1, v1, v3
	v_cmp_lt_u32_e32 vcc_lo, s3, v1
	s_wait_alu 0xfffd
	v_cndmask_b32_e64 v1, 0, 1, vcc_lo
.LBB1815_9:
	s_or_b32 exec_lo, exec_lo, s0
	v_add_nc_u32_e32 v3, 1, v45
	s_mov_b32 s0, exec_lo
	s_delay_alu instid0(VALU_DEP_1)
	v_cmpx_gt_u32_e64 s23, v3
	s_cbranch_execz .LBB1815_11
; %bb.10:
	v_add_nc_u32_e32 v2, s5, v29
	v_add_nc_u32_e32 v3, s7, v29
	s_delay_alu instid0(VALU_DEP_2) | instskip(NEXT) | instid1(VALU_DEP_2)
	v_mul_lo_u32 v2, v2, s4
	v_mul_lo_u32 v3, v3, s6
	s_delay_alu instid0(VALU_DEP_1) | instskip(NEXT) | instid1(VALU_DEP_1)
	v_sub_nc_u32_e32 v2, v2, v3
	v_cmp_lt_u32_e32 vcc_lo, s3, v2
	s_wait_alu 0xfffd
	v_cndmask_b32_e64 v2, 0, 1, vcc_lo
.LBB1815_11:
	s_or_b32 exec_lo, exec_lo, s0
	v_dual_mov_b32 v4, 0 :: v_dual_add_nc_u32 v3, 2, v45
	s_delay_alu instid0(VALU_DEP_1)
	v_cmp_gt_u32_e32 vcc_lo, s23, v3
	v_mov_b32_e32 v3, 0
	s_and_saveexec_b32 s0, vcc_lo
	s_cbranch_execz .LBB1815_13
; %bb.12:
	v_add_nc_u32_e32 v3, s5, v26
	v_add_nc_u32_e32 v5, s7, v26
	s_delay_alu instid0(VALU_DEP_2) | instskip(NEXT) | instid1(VALU_DEP_2)
	v_mul_lo_u32 v3, v3, s4
	v_mul_lo_u32 v5, v5, s6
	s_delay_alu instid0(VALU_DEP_1) | instskip(NEXT) | instid1(VALU_DEP_1)
	v_sub_nc_u32_e32 v3, v3, v5
	v_cmp_lt_u32_e32 vcc_lo, s3, v3
	s_wait_alu 0xfffd
	v_cndmask_b32_e64 v3, 0, 1, vcc_lo
.LBB1815_13:
	s_or_b32 exec_lo, exec_lo, s0
	v_add_nc_u32_e32 v5, 3, v45
	s_mov_b32 s0, exec_lo
	s_delay_alu instid0(VALU_DEP_1)
	v_cmpx_gt_u32_e64 s23, v5
	s_cbranch_execz .LBB1815_15
; %bb.14:
	v_add_nc_u32_e32 v4, s5, v27
	v_add_nc_u32_e32 v5, s7, v27
	s_delay_alu instid0(VALU_DEP_2) | instskip(NEXT) | instid1(VALU_DEP_2)
	v_mul_lo_u32 v4, v4, s4
	v_mul_lo_u32 v5, v5, s6
	s_delay_alu instid0(VALU_DEP_1) | instskip(NEXT) | instid1(VALU_DEP_1)
	v_sub_nc_u32_e32 v4, v4, v5
	v_cmp_lt_u32_e32 vcc_lo, s3, v4
	s_wait_alu 0xfffd
	v_cndmask_b32_e64 v4, 0, 1, vcc_lo
.LBB1815_15:
	s_or_b32 exec_lo, exec_lo, s0
	v_dual_mov_b32 v6, 0 :: v_dual_add_nc_u32 v5, 4, v45
	s_delay_alu instid0(VALU_DEP_1)
	v_cmp_gt_u32_e32 vcc_lo, s23, v5
	v_mov_b32_e32 v5, 0
	s_and_saveexec_b32 s0, vcc_lo
	;; [unrolled: 37-line block ×5, first 2 shown]
	s_cbranch_execz .LBB1815_29
; %bb.28:
	v_add_nc_u32_e32 v11, s5, v18
	v_add_nc_u32_e32 v13, s7, v18
	s_delay_alu instid0(VALU_DEP_2) | instskip(NEXT) | instid1(VALU_DEP_2)
	v_mul_lo_u32 v11, v11, s4
	v_mul_lo_u32 v13, v13, s6
	s_delay_alu instid0(VALU_DEP_1) | instskip(NEXT) | instid1(VALU_DEP_1)
	v_sub_nc_u32_e32 v11, v11, v13
	v_cmp_lt_u32_e32 vcc_lo, s3, v11
	s_wait_alu 0xfffd
	v_cndmask_b32_e64 v11, 0, 1, vcc_lo
.LBB1815_29:
	s_or_b32 exec_lo, exec_lo, s0
	v_add_nc_u32_e32 v13, 11, v45
	s_mov_b32 s0, exec_lo
	s_delay_alu instid0(VALU_DEP_1)
	v_cmpx_gt_u32_e64 s23, v13
	s_cbranch_execz .LBB1815_31
; %bb.30:
	v_add_nc_u32_e32 v12, s5, v19
	v_add_nc_u32_e32 v13, s7, v19
	s_delay_alu instid0(VALU_DEP_2) | instskip(NEXT) | instid1(VALU_DEP_2)
	v_mul_lo_u32 v12, v12, s4
	v_mul_lo_u32 v13, v13, s6
	s_delay_alu instid0(VALU_DEP_1) | instskip(NEXT) | instid1(VALU_DEP_1)
	v_sub_nc_u32_e32 v12, v12, v13
	v_cmp_lt_u32_e32 vcc_lo, s3, v12
	s_wait_alu 0xfffd
	v_cndmask_b32_e64 v12, 0, 1, vcc_lo
.LBB1815_31:
	s_or_b32 exec_lo, exec_lo, s0
	v_dual_mov_b32 v46, 0 :: v_dual_add_nc_u32 v13, 12, v45
	s_mov_b32 s0, exec_lo
	s_delay_alu instid0(VALU_DEP_1)
	v_cmpx_gt_u32_e64 s23, v13
	s_cbranch_execz .LBB1815_33
; %bb.32:
	v_add_nc_u32_e32 v13, s5, v44
	v_add_nc_u32_e32 v14, s7, v44
	s_delay_alu instid0(VALU_DEP_2) | instskip(NEXT) | instid1(VALU_DEP_2)
	v_mul_lo_u32 v13, v13, s4
	v_mul_lo_u32 v14, v14, s6
	s_delay_alu instid0(VALU_DEP_1) | instskip(NEXT) | instid1(VALU_DEP_1)
	v_sub_nc_u32_e32 v13, v13, v14
	v_cmp_lt_u32_e32 vcc_lo, s3, v13
	s_wait_alu 0xfffd
	v_cndmask_b32_e64 v46, 0, 1, vcc_lo
.LBB1815_33:
	s_or_b32 exec_lo, exec_lo, s0
	v_lshlrev_b16 v2, 8, v2
	v_lshlrev_b16 v4, 8, v4
	;; [unrolled: 1-line block ×5, first 2 shown]
	v_or_b32_e32 v1, v1, v2
	v_lshlrev_b16 v2, 8, v12
	v_or_b32_e32 v3, v3, v4
	v_or_b32_e32 v4, v5, v6
	;; [unrolled: 1-line block ×5, first 2 shown]
	v_and_b32_e32 v1, 0xffff, v1
	v_lshlrev_b32_e32 v3, 16, v3
	v_and_b32_e32 v4, 0xffff, v4
	v_lshlrev_b32_e32 v5, 16, v5
	;; [unrolled: 2-line block ×3, first 2 shown]
	v_or_b32_e32 v51, v1, v3
	s_delay_alu instid0(VALU_DEP_4) | instskip(NEXT) | instid1(VALU_DEP_3)
	v_or_b32_e32 v49, v4, v5
	v_or_b32_e32 v47, v6, v2
.LBB1815_34:
	s_delay_alu instid0(VALU_DEP_3)
	v_and_b32_e32 v53, 0xff, v51
	v_bfe_u32 v54, v51, 8, 8
	v_bfe_u32 v55, v51, 16, 8
	v_lshrrev_b32_e32 v52, 24, v51
	v_and_b32_e32 v56, 0xff, v49
	v_bfe_u32 v57, v49, 8, 8
	v_bfe_u32 v58, v49, 16, 8
	v_add3_u32 v1, v54, v53, v55
	v_lshrrev_b32_e32 v50, 24, v49
	v_and_b32_e32 v59, 0xff, v47
	v_bfe_u32 v60, v47, 8, 8
	v_mbcnt_lo_u32_b32 v62, -1, 0
	v_add3_u32 v1, v1, v52, v56
	v_bfe_u32 v61, v47, 16, 8
	v_lshrrev_b32_e32 v48, 24, v47
	v_and_b32_e32 v2, 0xff, v46
	v_and_b32_e32 v3, 15, v62
	v_add3_u32 v1, v1, v57, v58
	v_or_b32_e32 v4, 31, v0
	v_and_b32_e32 v5, 16, v62
	v_lshrrev_b32_e32 v63, 5, v0
	v_cmp_eq_u32_e64 s5, 0, v3
	v_add3_u32 v1, v1, v50, v59
	v_cmp_lt_u32_e64 s4, 1, v3
	v_cmp_lt_u32_e64 s3, 3, v3
	v_cmp_lt_u32_e64 s2, 7, v3
	v_cmp_eq_u32_e64 s1, 0, v5
	v_add3_u32 v1, v1, v60, v61
	v_cmp_eq_u32_e64 s0, v0, v4
	s_cmp_lg_u32 ttmp9, 0
	s_mov_b32 s6, -1
	v_add3_u32 v64, v1, v48, v2
	s_cbranch_scc0 .LBB1815_55
; %bb.35:
	s_delay_alu instid0(VALU_DEP_1) | instskip(SKIP_1) | instid1(VALU_DEP_1)
	v_mov_b32_dpp v1, v64 row_shr:1 row_mask:0xf bank_mask:0xf
	s_wait_alu 0xf1ff
	v_cndmask_b32_e64 v1, v1, 0, s5
	s_delay_alu instid0(VALU_DEP_1) | instskip(NEXT) | instid1(VALU_DEP_1)
	v_add_nc_u32_e32 v1, v1, v64
	v_mov_b32_dpp v2, v1 row_shr:2 row_mask:0xf bank_mask:0xf
	s_delay_alu instid0(VALU_DEP_1) | instskip(NEXT) | instid1(VALU_DEP_1)
	v_cndmask_b32_e64 v2, 0, v2, s4
	v_add_nc_u32_e32 v1, v1, v2
	s_delay_alu instid0(VALU_DEP_1) | instskip(NEXT) | instid1(VALU_DEP_1)
	v_mov_b32_dpp v2, v1 row_shr:4 row_mask:0xf bank_mask:0xf
	v_cndmask_b32_e64 v2, 0, v2, s3
	s_delay_alu instid0(VALU_DEP_1) | instskip(NEXT) | instid1(VALU_DEP_1)
	v_add_nc_u32_e32 v1, v1, v2
	v_mov_b32_dpp v2, v1 row_shr:8 row_mask:0xf bank_mask:0xf
	s_delay_alu instid0(VALU_DEP_1) | instskip(NEXT) | instid1(VALU_DEP_1)
	v_cndmask_b32_e64 v2, 0, v2, s2
	v_add_nc_u32_e32 v1, v1, v2
	ds_swizzle_b32 v2, v1 offset:swizzle(BROADCAST,32,15)
	s_wait_dscnt 0x0
	v_cndmask_b32_e64 v2, v2, 0, s1
	s_delay_alu instid0(VALU_DEP_1)
	v_add_nc_u32_e32 v1, v1, v2
	s_and_saveexec_b32 s6, s0
; %bb.36:
	v_lshlrev_b32_e32 v2, 2, v63
	ds_store_b32 v2, v1
; %bb.37:
	s_wait_alu 0xfffe
	s_or_b32 exec_lo, exec_lo, s6
	s_delay_alu instid0(SALU_CYCLE_1)
	s_mov_b32 s6, exec_lo
	s_wait_loadcnt_dscnt 0x0
	s_barrier_signal -1
	s_barrier_wait -1
	global_inv scope:SCOPE_SE
	v_cmpx_gt_u32_e32 8, v0
	s_cbranch_execz .LBB1815_39
; %bb.38:
	ds_load_b32 v2, v42
	s_wait_dscnt 0x0
	v_mov_b32_dpp v4, v2 row_shr:1 row_mask:0xf bank_mask:0xf
	v_and_b32_e32 v3, 7, v62
	s_delay_alu instid0(VALU_DEP_1) | instskip(SKIP_1) | instid1(VALU_DEP_3)
	v_cmp_ne_u32_e32 vcc_lo, 0, v3
	s_wait_alu 0xfffd
	v_cndmask_b32_e32 v4, 0, v4, vcc_lo
	v_cmp_lt_u32_e32 vcc_lo, 1, v3
	s_delay_alu instid0(VALU_DEP_2) | instskip(NEXT) | instid1(VALU_DEP_1)
	v_add_nc_u32_e32 v2, v4, v2
	v_mov_b32_dpp v4, v2 row_shr:2 row_mask:0xf bank_mask:0xf
	s_wait_alu 0xfffd
	s_delay_alu instid0(VALU_DEP_1) | instskip(SKIP_1) | instid1(VALU_DEP_2)
	v_cndmask_b32_e32 v4, 0, v4, vcc_lo
	v_cmp_lt_u32_e32 vcc_lo, 3, v3
	v_add_nc_u32_e32 v2, v2, v4
	s_delay_alu instid0(VALU_DEP_1) | instskip(SKIP_1) | instid1(VALU_DEP_1)
	v_mov_b32_dpp v4, v2 row_shr:4 row_mask:0xf bank_mask:0xf
	s_wait_alu 0xfffd
	v_cndmask_b32_e32 v3, 0, v4, vcc_lo
	s_delay_alu instid0(VALU_DEP_1)
	v_add_nc_u32_e32 v2, v2, v3
	ds_store_b32 v42, v2
.LBB1815_39:
	s_wait_alu 0xfffe
	s_or_b32 exec_lo, exec_lo, s6
	s_delay_alu instid0(SALU_CYCLE_1)
	s_mov_b32 s7, exec_lo
	v_cmp_gt_u32_e32 vcc_lo, 32, v0
	s_wait_loadcnt_dscnt 0x0
	s_barrier_signal -1
	s_barrier_wait -1
	global_inv scope:SCOPE_SE
                                        ; implicit-def: $vgpr9
	v_cmpx_lt_u32_e32 31, v0
	s_cbranch_execz .LBB1815_41
; %bb.40:
	v_lshl_add_u32 v2, v63, 2, -4
	ds_load_b32 v9, v2
	s_wait_dscnt 0x0
	v_add_nc_u32_e32 v1, v9, v1
.LBB1815_41:
	s_wait_alu 0xfffe
	s_or_b32 exec_lo, exec_lo, s7
	v_sub_co_u32 v2, s6, v62, 1
	s_delay_alu instid0(VALU_DEP_1) | instskip(SKIP_1) | instid1(VALU_DEP_1)
	v_cmp_gt_i32_e64 s7, 0, v2
	s_wait_alu 0xf1ff
	v_cndmask_b32_e64 v2, v2, v62, s7
	s_delay_alu instid0(VALU_DEP_1)
	v_lshlrev_b32_e32 v2, 2, v2
	ds_bpermute_b32 v10, v2, v1
	s_and_saveexec_b32 s7, vcc_lo
	s_cbranch_execz .LBB1815_60
; %bb.42:
	v_mov_b32_e32 v5, 0
	ds_load_b32 v1, v5 offset:28
	s_and_saveexec_b32 s17, s6
	s_cbranch_execz .LBB1815_44
; %bb.43:
	s_add_co_i32 s24, ttmp9, 32
	s_mov_b32 s25, 0
	v_mov_b32_e32 v2, 1
	s_lshl_b64 s[24:25], s[24:25], 3
	s_wait_kmcnt 0x0
	s_add_nc_u64 s[24:25], s[20:21], s[24:25]
	s_wait_dscnt 0x0
	global_store_b64 v5, v[1:2], s[24:25] scope:SCOPE_DEV
.LBB1815_44:
	s_or_b32 exec_lo, exec_lo, s17
	v_xad_u32 v3, v62, -1, ttmp9
	s_mov_b32 s24, 0
	s_mov_b32 s17, exec_lo
	s_delay_alu instid0(VALU_DEP_1) | instskip(NEXT) | instid1(VALU_DEP_1)
	v_add_nc_u32_e32 v4, 32, v3
	v_lshlrev_b64_e32 v[4:5], 3, v[4:5]
	s_wait_kmcnt 0x0
	s_delay_alu instid0(VALU_DEP_1) | instskip(SKIP_1) | instid1(VALU_DEP_2)
	v_add_co_u32 v7, vcc_lo, s20, v4
	s_wait_alu 0xfffd
	v_add_co_ci_u32_e64 v8, null, s21, v5, vcc_lo
	global_load_b64 v[5:6], v[7:8], off scope:SCOPE_DEV
	s_wait_loadcnt 0x0
	v_and_b32_e32 v2, 0xff, v6
	s_delay_alu instid0(VALU_DEP_1)
	v_cmpx_eq_u16_e32 0, v2
	s_cbranch_execz .LBB1815_47
.LBB1815_45:                            ; =>This Inner Loop Header: Depth=1
	global_load_b64 v[5:6], v[7:8], off scope:SCOPE_DEV
	s_wait_loadcnt 0x0
	v_and_b32_e32 v2, 0xff, v6
	s_delay_alu instid0(VALU_DEP_1) | instskip(SKIP_1) | instid1(SALU_CYCLE_1)
	v_cmp_ne_u16_e32 vcc_lo, 0, v2
	s_or_b32 s24, vcc_lo, s24
	s_and_not1_b32 exec_lo, exec_lo, s24
	s_cbranch_execnz .LBB1815_45
; %bb.46:
	s_or_b32 exec_lo, exec_lo, s24
.LBB1815_47:
	s_delay_alu instid0(SALU_CYCLE_1)
	s_or_b32 exec_lo, exec_lo, s17
	v_cmp_ne_u32_e32 vcc_lo, 31, v62
	v_lshlrev_b32_e64 v12, v62, -1
	v_add_nc_u32_e32 v14, 2, v62
	v_add_nc_u32_e32 v16, 4, v62
	;; [unrolled: 1-line block ×3, first 2 shown]
	s_wait_alu 0xfffd
	v_add_co_ci_u32_e64 v2, null, 0, v62, vcc_lo
	v_lshl_or_b32 v66, v62, 2, 64
	v_add_nc_u32_e32 v67, 16, v62
	s_delay_alu instid0(VALU_DEP_3)
	v_lshlrev_b32_e32 v11, 2, v2
	v_and_b32_e32 v2, 0xff, v6
	ds_bpermute_b32 v4, v11, v5
	v_cmp_eq_u16_e32 vcc_lo, 2, v2
	s_wait_alu 0xfffd
	v_and_or_b32 v2, vcc_lo, v12, 0x80000000
	v_cmp_gt_u32_e32 vcc_lo, 30, v62
	s_delay_alu instid0(VALU_DEP_2) | instskip(SKIP_2) | instid1(VALU_DEP_2)
	v_ctz_i32_b32_e32 v2, v2
	s_wait_alu 0xfffd
	v_cndmask_b32_e64 v7, 0, 2, vcc_lo
	v_cmp_lt_u32_e32 vcc_lo, v62, v2
	s_delay_alu instid0(VALU_DEP_2) | instskip(SKIP_4) | instid1(VALU_DEP_2)
	v_add_lshl_u32 v13, v7, v62, 2
	s_wait_dscnt 0x0
	s_wait_alu 0xfffd
	v_cndmask_b32_e32 v4, 0, v4, vcc_lo
	v_cmp_gt_u32_e32 vcc_lo, 28, v62
	v_add_nc_u32_e32 v4, v4, v5
	s_wait_alu 0xfffd
	v_cndmask_b32_e64 v7, 0, 4, vcc_lo
	v_cmp_le_u32_e32 vcc_lo, v14, v2
	ds_bpermute_b32 v5, v13, v4
	v_add_lshl_u32 v15, v7, v62, 2
	s_wait_dscnt 0x0
	s_wait_alu 0xfffd
	v_cndmask_b32_e32 v5, 0, v5, vcc_lo
	v_cmp_gt_u32_e32 vcc_lo, 24, v62
	s_delay_alu instid0(VALU_DEP_2)
	v_add_nc_u32_e32 v4, v4, v5
	s_wait_alu 0xfffd
	v_cndmask_b32_e64 v7, 0, 8, vcc_lo
	v_cmp_le_u32_e32 vcc_lo, v16, v2
	ds_bpermute_b32 v5, v15, v4
	v_add_lshl_u32 v17, v7, v62, 2
	s_wait_dscnt 0x0
	s_wait_alu 0xfffd
	v_cndmask_b32_e32 v5, 0, v5, vcc_lo
	v_cmp_le_u32_e32 vcc_lo, v65, v2
	s_delay_alu instid0(VALU_DEP_2)
	v_add_nc_u32_e32 v4, v4, v5
	ds_bpermute_b32 v5, v17, v4
	s_wait_dscnt 0x0
	s_wait_alu 0xfffd
	v_cndmask_b32_e32 v5, 0, v5, vcc_lo
	v_cmp_le_u32_e32 vcc_lo, v67, v2
	s_delay_alu instid0(VALU_DEP_2) | instskip(SKIP_4) | instid1(VALU_DEP_1)
	v_add_nc_u32_e32 v4, v4, v5
	ds_bpermute_b32 v5, v66, v4
	s_wait_dscnt 0x0
	s_wait_alu 0xfffd
	v_cndmask_b32_e32 v2, 0, v5, vcc_lo
	v_dual_mov_b32 v4, 0 :: v_dual_add_nc_u32 v5, v4, v2
	s_branch .LBB1815_51
.LBB1815_48:                            ;   in Loop: Header=BB1815_51 Depth=1
	s_or_b32 exec_lo, exec_lo, s24
.LBB1815_49:                            ;   in Loop: Header=BB1815_51 Depth=1
	s_delay_alu instid0(SALU_CYCLE_1) | instskip(SKIP_4) | instid1(VALU_DEP_2)
	s_or_b32 exec_lo, exec_lo, s17
	ds_bpermute_b32 v8, v11, v5
	v_and_b32_e32 v7, 0xff, v6
	v_subrev_nc_u32_e32 v3, 32, v3
	s_mov_b32 s17, 0
	v_cmp_eq_u16_e32 vcc_lo, 2, v7
	s_wait_alu 0xfffd
	v_and_or_b32 v7, vcc_lo, v12, 0x80000000
	s_delay_alu instid0(VALU_DEP_1) | instskip(NEXT) | instid1(VALU_DEP_1)
	v_ctz_i32_b32_e32 v7, v7
	v_cmp_lt_u32_e32 vcc_lo, v62, v7
	s_wait_dscnt 0x0
	s_wait_alu 0xfffd
	v_cndmask_b32_e32 v8, 0, v8, vcc_lo
	v_cmp_le_u32_e32 vcc_lo, v14, v7
	s_delay_alu instid0(VALU_DEP_2)
	v_add_nc_u32_e32 v5, v8, v5
	ds_bpermute_b32 v8, v13, v5
	s_wait_dscnt 0x0
	s_wait_alu 0xfffd
	v_cndmask_b32_e32 v8, 0, v8, vcc_lo
	v_cmp_le_u32_e32 vcc_lo, v16, v7
	s_delay_alu instid0(VALU_DEP_2)
	v_add_nc_u32_e32 v5, v5, v8
	ds_bpermute_b32 v8, v15, v5
	;; [unrolled: 7-line block ×3, first 2 shown]
	s_wait_dscnt 0x0
	s_wait_alu 0xfffd
	v_cndmask_b32_e32 v8, 0, v8, vcc_lo
	v_cmp_le_u32_e32 vcc_lo, v67, v7
	s_delay_alu instid0(VALU_DEP_2) | instskip(SKIP_4) | instid1(VALU_DEP_1)
	v_add_nc_u32_e32 v5, v5, v8
	ds_bpermute_b32 v8, v66, v5
	s_wait_dscnt 0x0
	s_wait_alu 0xfffd
	v_cndmask_b32_e32 v7, 0, v8, vcc_lo
	v_add3_u32 v5, v7, v2, v5
.LBB1815_50:                            ;   in Loop: Header=BB1815_51 Depth=1
	s_and_b32 vcc_lo, exec_lo, s17
	s_wait_alu 0xfffe
	s_cbranch_vccnz .LBB1815_56
.LBB1815_51:                            ; =>This Loop Header: Depth=1
                                        ;     Child Loop BB1815_54 Depth 2
	v_and_b32_e32 v2, 0xff, v6
	s_mov_b32 s17, -1
                                        ; implicit-def: $vgpr6
	s_delay_alu instid0(VALU_DEP_1)
	v_cmp_ne_u16_e32 vcc_lo, 2, v2
	v_mov_b32_e32 v2, v5
                                        ; implicit-def: $vgpr5
	s_cmp_lg_u32 vcc_lo, exec_lo
	s_cbranch_scc1 .LBB1815_50
; %bb.52:                               ;   in Loop: Header=BB1815_51 Depth=1
	v_lshlrev_b64_e32 v[5:6], 3, v[3:4]
	s_mov_b32 s17, exec_lo
	s_delay_alu instid0(VALU_DEP_1) | instskip(SKIP_1) | instid1(VALU_DEP_2)
	v_add_co_u32 v7, vcc_lo, s20, v5
	s_wait_alu 0xfffd
	v_add_co_ci_u32_e64 v8, null, s21, v6, vcc_lo
	global_load_b64 v[5:6], v[7:8], off scope:SCOPE_DEV
	s_wait_loadcnt 0x0
	v_and_b32_e32 v68, 0xff, v6
	s_delay_alu instid0(VALU_DEP_1)
	v_cmpx_eq_u16_e32 0, v68
	s_cbranch_execz .LBB1815_49
; %bb.53:                               ;   in Loop: Header=BB1815_51 Depth=1
	s_mov_b32 s24, 0
.LBB1815_54:                            ;   Parent Loop BB1815_51 Depth=1
                                        ; =>  This Inner Loop Header: Depth=2
	global_load_b64 v[5:6], v[7:8], off scope:SCOPE_DEV
	s_wait_loadcnt 0x0
	v_and_b32_e32 v68, 0xff, v6
	s_delay_alu instid0(VALU_DEP_1) | instskip(SKIP_1) | instid1(SALU_CYCLE_1)
	v_cmp_ne_u16_e32 vcc_lo, 0, v68
	s_or_b32 s24, vcc_lo, s24
	s_and_not1_b32 exec_lo, exec_lo, s24
	s_cbranch_execnz .LBB1815_54
	s_branch .LBB1815_48
.LBB1815_55:
                                        ; implicit-def: $vgpr17
                                        ; implicit-def: $vgpr1_vgpr2_vgpr3_vgpr4_vgpr5_vgpr6_vgpr7_vgpr8_vgpr9_vgpr10_vgpr11_vgpr12_vgpr13_vgpr14_vgpr15_vgpr16
	s_wait_alu 0xfffe
	s_and_b32 vcc_lo, exec_lo, s6
	s_wait_alu 0xfffe
	s_cbranch_vccnz .LBB1815_61
	s_branch .LBB1815_70
.LBB1815_56:
	s_and_saveexec_b32 s17, s6
	s_cbranch_execz .LBB1815_58
; %bb.57:
	s_add_co_i32 s24, ttmp9, 32
	s_mov_b32 s25, 0
	v_dual_mov_b32 v4, 2 :: v_dual_add_nc_u32 v3, v2, v1
	v_mov_b32_e32 v5, 0
	s_lshl_b64 s[24:25], s[24:25], 3
	s_delay_alu instid0(SALU_CYCLE_1)
	s_add_nc_u64 s[24:25], s[20:21], s[24:25]
	global_store_b64 v5, v[3:4], s[24:25] scope:SCOPE_DEV
	ds_store_b64 v5, v[1:2] offset:13312
.LBB1815_58:
	s_or_b32 exec_lo, exec_lo, s17
	v_cmp_eq_u32_e32 vcc_lo, 0, v0
	s_and_b32 exec_lo, exec_lo, vcc_lo
; %bb.59:
	v_mov_b32_e32 v1, 0
	ds_store_b32 v1, v2 offset:28
.LBB1815_60:
	s_wait_alu 0xfffe
	s_or_b32 exec_lo, exec_lo, s7
	s_wait_dscnt 0x0
	v_cndmask_b32_e64 v2, v10, v9, s6
	v_cmp_ne_u32_e32 vcc_lo, 0, v0
	v_mov_b32_e32 v11, 0
	s_wait_loadcnt 0x0
	s_wait_storecnt 0x0
	s_barrier_signal -1
	s_barrier_wait -1
	global_inv scope:SCOPE_SE
	s_wait_alu 0xfffd
	v_cndmask_b32_e32 v2, 0, v2, vcc_lo
	ds_load_b32 v1, v11 offset:28
	s_wait_loadcnt_dscnt 0x0
	s_barrier_signal -1
	s_barrier_wait -1
	global_inv scope:SCOPE_SE
	ds_load_b64 v[16:17], v11 offset:13312
	v_add_nc_u32_e32 v1, v1, v2
	s_delay_alu instid0(VALU_DEP_1) | instskip(NEXT) | instid1(VALU_DEP_1)
	v_add_nc_u32_e32 v2, v1, v53
	v_add_nc_u32_e32 v3, v2, v54
	s_delay_alu instid0(VALU_DEP_1) | instskip(NEXT) | instid1(VALU_DEP_1)
	v_add_nc_u32_e32 v4, v3, v55
	;; [unrolled: 3-line block ×6, first 2 shown]
	v_add_nc_u32_e32 v13, v12, v48
	s_branch .LBB1815_70
.LBB1815_61:
	v_mov_b32_dpp v1, v64 row_shr:1 row_mask:0xf bank_mask:0xf
	s_delay_alu instid0(VALU_DEP_1) | instskip(NEXT) | instid1(VALU_DEP_1)
	v_cndmask_b32_e64 v1, v1, 0, s5
	v_add_nc_u32_e32 v1, v1, v64
	s_delay_alu instid0(VALU_DEP_1) | instskip(NEXT) | instid1(VALU_DEP_1)
	v_mov_b32_dpp v2, v1 row_shr:2 row_mask:0xf bank_mask:0xf
	v_cndmask_b32_e64 v2, 0, v2, s4
	s_delay_alu instid0(VALU_DEP_1) | instskip(NEXT) | instid1(VALU_DEP_1)
	v_add_nc_u32_e32 v1, v1, v2
	v_mov_b32_dpp v2, v1 row_shr:4 row_mask:0xf bank_mask:0xf
	s_delay_alu instid0(VALU_DEP_1) | instskip(NEXT) | instid1(VALU_DEP_1)
	v_cndmask_b32_e64 v2, 0, v2, s3
	v_add_nc_u32_e32 v1, v1, v2
	s_delay_alu instid0(VALU_DEP_1) | instskip(NEXT) | instid1(VALU_DEP_1)
	v_mov_b32_dpp v2, v1 row_shr:8 row_mask:0xf bank_mask:0xf
	v_cndmask_b32_e64 v2, 0, v2, s2
	s_delay_alu instid0(VALU_DEP_1) | instskip(SKIP_3) | instid1(VALU_DEP_1)
	v_add_nc_u32_e32 v1, v1, v2
	ds_swizzle_b32 v2, v1 offset:swizzle(BROADCAST,32,15)
	s_wait_dscnt 0x0
	v_cndmask_b32_e64 v2, v2, 0, s1
	v_add_nc_u32_e32 v1, v1, v2
	s_and_saveexec_b32 s1, s0
; %bb.62:
	v_lshlrev_b32_e32 v2, 2, v63
	ds_store_b32 v2, v1
; %bb.63:
	s_wait_alu 0xfffe
	s_or_b32 exec_lo, exec_lo, s1
	s_delay_alu instid0(SALU_CYCLE_1)
	s_mov_b32 s0, exec_lo
	s_wait_loadcnt_dscnt 0x0
	s_barrier_signal -1
	s_barrier_wait -1
	global_inv scope:SCOPE_SE
	v_cmpx_gt_u32_e32 8, v0
	s_cbranch_execz .LBB1815_65
; %bb.64:
	ds_load_b32 v2, v42
	s_wait_dscnt 0x0
	v_mov_b32_dpp v4, v2 row_shr:1 row_mask:0xf bank_mask:0xf
	v_and_b32_e32 v3, 7, v62
	s_delay_alu instid0(VALU_DEP_1) | instskip(SKIP_1) | instid1(VALU_DEP_3)
	v_cmp_ne_u32_e32 vcc_lo, 0, v3
	s_wait_alu 0xfffd
	v_cndmask_b32_e32 v4, 0, v4, vcc_lo
	v_cmp_lt_u32_e32 vcc_lo, 1, v3
	s_delay_alu instid0(VALU_DEP_2) | instskip(NEXT) | instid1(VALU_DEP_1)
	v_add_nc_u32_e32 v2, v4, v2
	v_mov_b32_dpp v4, v2 row_shr:2 row_mask:0xf bank_mask:0xf
	s_wait_alu 0xfffd
	s_delay_alu instid0(VALU_DEP_1) | instskip(SKIP_1) | instid1(VALU_DEP_2)
	v_cndmask_b32_e32 v4, 0, v4, vcc_lo
	v_cmp_lt_u32_e32 vcc_lo, 3, v3
	v_add_nc_u32_e32 v2, v2, v4
	s_delay_alu instid0(VALU_DEP_1) | instskip(SKIP_1) | instid1(VALU_DEP_1)
	v_mov_b32_dpp v4, v2 row_shr:4 row_mask:0xf bank_mask:0xf
	s_wait_alu 0xfffd
	v_cndmask_b32_e32 v3, 0, v4, vcc_lo
	s_delay_alu instid0(VALU_DEP_1)
	v_add_nc_u32_e32 v2, v2, v3
	ds_store_b32 v42, v2
.LBB1815_65:
	s_wait_alu 0xfffe
	s_or_b32 exec_lo, exec_lo, s0
	v_dual_mov_b32 v3, 0 :: v_dual_mov_b32 v2, 0
	s_mov_b32 s0, exec_lo
	s_wait_loadcnt_dscnt 0x0
	s_barrier_signal -1
	s_barrier_wait -1
	global_inv scope:SCOPE_SE
	v_cmpx_lt_u32_e32 31, v0
; %bb.66:
	v_lshl_add_u32 v2, v63, 2, -4
	ds_load_b32 v2, v2
; %bb.67:
	s_wait_alu 0xfffe
	s_or_b32 exec_lo, exec_lo, s0
	v_sub_co_u32 v4, vcc_lo, v62, 1
	s_wait_dscnt 0x0
	v_add_nc_u32_e32 v1, v2, v1
	ds_load_b32 v16, v3 offset:28
	v_cmp_gt_i32_e64 s0, 0, v4
	s_wait_alu 0xf1ff
	s_delay_alu instid0(VALU_DEP_1) | instskip(SKIP_1) | instid1(VALU_DEP_2)
	v_cndmask_b32_e64 v4, v4, v62, s0
	v_cmp_eq_u32_e64 s0, 0, v0
	v_lshlrev_b32_e32 v4, 2, v4
	ds_bpermute_b32 v1, v4, v1
	s_and_saveexec_b32 s1, s0
	s_cbranch_execz .LBB1815_69
; %bb.68:
	v_mov_b32_e32 v3, 0
	v_mov_b32_e32 v17, 2
	s_wait_dscnt 0x1
	s_wait_kmcnt 0x0
	global_store_b64 v3, v[16:17], s[20:21] offset:256 scope:SCOPE_DEV
.LBB1815_69:
	s_wait_alu 0xfffe
	s_or_b32 exec_lo, exec_lo, s1
	s_wait_dscnt 0x0
	s_wait_alu 0xfffd
	v_cndmask_b32_e32 v1, v1, v2, vcc_lo
	s_wait_loadcnt 0x0
	s_wait_storecnt 0x0
	s_barrier_signal -1
	s_barrier_wait -1
	global_inv scope:SCOPE_SE
	v_cndmask_b32_e64 v1, v1, 0, s0
	s_delay_alu instid0(VALU_DEP_1) | instskip(NEXT) | instid1(VALU_DEP_1)
	v_dual_mov_b32 v17, 0 :: v_dual_add_nc_u32 v2, v1, v53
	v_add_nc_u32_e32 v3, v2, v54
	s_delay_alu instid0(VALU_DEP_1) | instskip(NEXT) | instid1(VALU_DEP_1)
	v_add_nc_u32_e32 v4, v3, v55
	v_add_nc_u32_e32 v5, v4, v52
	s_delay_alu instid0(VALU_DEP_1) | instskip(NEXT) | instid1(VALU_DEP_1)
	v_add_nc_u32_e32 v6, v5, v56
	;; [unrolled: 3-line block ×5, first 2 shown]
	v_add_nc_u32_e32 v13, v12, v48
.LBB1815_70:
	v_lshrrev_b32_e32 v56, 8, v51
	v_lshrrev_b32_e32 v55, 16, v51
	s_wait_dscnt 0x0
	v_sub_nc_u32_e32 v1, v1, v17
	v_and_b32_e32 v51, 1, v51
	v_sub_nc_u32_e32 v3, v3, v17
	v_add_nc_u32_e32 v45, v16, v45
	v_sub_nc_u32_e32 v2, v2, v17
	v_sub_nc_u32_e32 v4, v4, v17
	v_cmp_eq_u32_e32 vcc_lo, 1, v51
	v_and_b32_e32 v51, 1, v55
	v_sub_nc_u32_e32 v57, v45, v1
	v_and_b32_e32 v56, 1, v56
	v_sub_nc_u32_e32 v55, v45, v2
	v_lshrrev_b32_e32 v54, 8, v49
	v_lshrrev_b32_e32 v53, 16, v49
	s_wait_alu 0xfffd
	v_cndmask_b32_e32 v1, v57, v1, vcc_lo
	v_sub_nc_u32_e32 v57, v45, v3
	v_add_nc_u32_e32 v55, 1, v55
	v_cmp_eq_u32_e32 vcc_lo, 1, v56
	v_and_b32_e32 v52, 1, v52
	v_lshlrev_b32_e32 v1, 2, v1
	v_add_nc_u32_e32 v57, 2, v57
	v_lshrrev_b32_e32 v15, 8, v47
	v_lshrrev_b32_e32 v14, 16, v47
	ds_store_b32 v1, v28
	s_wait_alu 0xfffd
	v_cndmask_b32_e32 v1, v55, v2, vcc_lo
	v_cmp_eq_u32_e32 vcc_lo, 1, v51
	s_wait_alu 0xfffd
	s_delay_alu instid0(VALU_DEP_2)
	v_dual_cndmask_b32 v2, v57, v3 :: v_dual_lshlrev_b32 v1, 2, v1
	v_sub_nc_u32_e32 v58, v45, v4
	v_cmp_eq_u32_e32 vcc_lo, 1, v52
	ds_store_b32 v1, v29
	v_lshlrev_b32_e32 v2, 2, v2
	v_add_nc_u32_e32 v58, 3, v58
	s_wait_alu 0xfffd
	s_delay_alu instid0(VALU_DEP_1) | instskip(SKIP_2) | instid1(VALU_DEP_3)
	v_cndmask_b32_e32 v3, v58, v4, vcc_lo
	v_sub_nc_u32_e32 v4, v5, v17
	v_sub_nc_u32_e32 v5, v6, v17
	v_lshlrev_b32_e32 v3, 2, v3
	s_delay_alu instid0(VALU_DEP_3) | instskip(NEXT) | instid1(VALU_DEP_3)
	v_sub_nc_u32_e32 v1, v45, v4
	v_sub_nc_u32_e32 v6, v45, v5
	ds_store_b32 v2, v26
	ds_store_b32 v3, v27
	v_and_b32_e32 v2, 1, v49
	v_add_nc_u32_e32 v1, 4, v1
	v_add_nc_u32_e32 v3, 5, v6
	v_sub_nc_u32_e32 v6, v7, v17
	v_and_b32_e32 v7, 1, v54
	v_cmp_eq_u32_e32 vcc_lo, 1, v2
	v_sub_nc_u32_e32 v2, v8, v17
	s_wait_alu 0xfffd
	v_dual_cndmask_b32 v1, v1, v4 :: v_dual_and_b32 v8, 1, v50
	v_sub_nc_u32_e32 v4, v45, v6
	v_cmp_eq_u32_e32 vcc_lo, 1, v7
	v_and_b32_e32 v7, 1, v53
	s_delay_alu instid0(VALU_DEP_4)
	v_lshlrev_b32_e32 v1, 2, v1
	s_wait_alu 0xfffd
	v_dual_cndmask_b32 v3, v3, v5 :: v_dual_add_nc_u32 v4, 6, v4
	v_sub_nc_u32_e32 v5, v45, v2
	v_cmp_eq_u32_e32 vcc_lo, 1, v7
	v_sub_nc_u32_e32 v7, v13, v17
	s_delay_alu instid0(VALU_DEP_4)
	v_lshlrev_b32_e32 v3, 2, v3
	s_wait_alu 0xfffd
	v_dual_cndmask_b32 v4, v4, v6 :: v_dual_add_nc_u32 v5, 7, v5
	v_cmp_eq_u32_e32 vcc_lo, 1, v8
	v_sub_nc_u32_e32 v6, v9, v17
	ds_store_b32 v1, v24
	ds_store_b32 v3, v25
	s_wait_alu 0xfffd
	v_dual_cndmask_b32 v2, v5, v2 :: v_dual_lshlrev_b32 v3, 2, v4
	v_and_b32_e32 v5, 1, v47
	v_sub_nc_u32_e32 v1, v45, v6
	v_sub_nc_u32_e32 v4, v10, v17
	v_and_b32_e32 v10, 1, v48
	s_delay_alu instid0(VALU_DEP_4) | instskip(SKIP_2) | instid1(VALU_DEP_2)
	v_cmp_eq_u32_e32 vcc_lo, 1, v5
	v_sub_nc_u32_e32 v5, v12, v17
	v_add_nc_u32_e32 v1, 8, v1
	v_sub_nc_u32_e32 v9, v45, v5
	s_wait_alu 0xfffd
	s_delay_alu instid0(VALU_DEP_2)
	v_dual_cndmask_b32 v1, v1, v6 :: v_dual_and_b32 v6, 1, v15
	s_wait_kmcnt 0x0
	v_add_co_u32 v15, s0, s18, v17
	v_add_nc_u32_e32 v9, 11, v9
	v_lshlrev_b32_e32 v2, 2, v2
	ds_store_b32 v3, v22
	ds_store_b32 v2, v23
	v_sub_nc_u32_e32 v3, v11, v17
	v_sub_nc_u32_e32 v2, v45, v4
	v_cmp_eq_u32_e32 vcc_lo, 1, v6
	v_and_b32_e32 v11, 1, v46
	v_lshlrev_b32_e32 v1, 2, v1
	v_sub_nc_u32_e32 v8, v45, v3
	v_add_nc_u32_e32 v2, 9, v2
	s_wait_alu 0xf1ff
	v_add_co_ci_u32_e64 v17, null, s19, 0, s0
	s_delay_alu instid0(VALU_DEP_3) | instskip(SKIP_4) | instid1(VALU_DEP_3)
	v_add_nc_u32_e32 v6, 10, v8
	v_and_b32_e32 v8, 1, v14
	s_wait_alu 0xfffd
	v_cndmask_b32_e32 v2, v2, v4, vcc_lo
	v_sub_nc_u32_e32 v4, v45, v7
	v_cmp_eq_u32_e32 vcc_lo, 1, v8
	s_delay_alu instid0(VALU_DEP_3) | instskip(SKIP_1) | instid1(VALU_DEP_3)
	v_lshlrev_b32_e32 v2, 2, v2
	s_wait_alu 0xfffd
	v_dual_cndmask_b32 v3, v6, v3 :: v_dual_add_nc_u32 v4, 12, v4
	v_cmp_eq_u32_e32 vcc_lo, 1, v10
	s_delay_alu instid0(VALU_DEP_2) | instskip(SKIP_4) | instid1(VALU_DEP_2)
	v_lshlrev_b32_e32 v3, 2, v3
	s_wait_alu 0xfffd
	v_cndmask_b32_e32 v5, v9, v5, vcc_lo
	v_cmp_eq_u32_e32 vcc_lo, 1, v11
	s_wait_alu 0xfffd
	v_dual_cndmask_b32 v4, v4, v7 :: v_dual_lshlrev_b32 v5, 2, v5
	v_cmp_ne_u32_e32 vcc_lo, 1, v43
	s_delay_alu instid0(VALU_DEP_2)
	v_lshlrev_b32_e32 v4, 2, v4
	ds_store_b32 v1, v20
	ds_store_b32 v2, v21
	;; [unrolled: 1-line block ×5, first 2 shown]
	s_wait_loadcnt_dscnt 0x0
	s_barrier_signal -1
	s_barrier_wait -1
	global_inv scope:SCOPE_SE
	ds_load_2addr_stride64_b32 v[11:12], v42 offset1:4
	ds_load_2addr_stride64_b32 v[9:10], v42 offset0:8 offset1:12
	ds_load_2addr_stride64_b32 v[7:8], v42 offset0:16 offset1:20
	;; [unrolled: 1-line block ×5, first 2 shown]
	ds_load_b32 v18, v42 offset:12288
	s_cbranch_vccnz .LBB1815_124
; %bb.71:
	s_mov_b32 s17, 0
	v_sub_co_u32 v13, vcc_lo, v15, s12
	s_sub_nc_u64 s[0:1], s[14:15], s[16:17]
	s_wait_alu 0xfffd
	v_subrev_co_ci_u32_e64 v14, null, s13, v17, vcc_lo
	s_wait_alu 0xfffe
	v_add_co_u32 v19, s0, s0, v16
	s_wait_alu 0xf1ff
	v_add_co_ci_u32_e64 v20, null, s1, 0, s0
	s_mov_b32 s0, exec_lo
	v_add_co_u32 v19, vcc_lo, v19, v13
	s_wait_alu 0xfffd
	v_add_co_ci_u32_e64 v20, null, v20, v14, vcc_lo
                                        ; implicit-def: $vgpr13_vgpr14
	v_cmpx_ge_u32_e64 v0, v16
	s_wait_alu 0xfffe
	s_xor_b32 s0, exec_lo, s0
; %bb.72:
	v_not_b32_e32 v13, v0
	s_delay_alu instid0(VALU_DEP_1) | instskip(SKIP_2) | instid1(VALU_DEP_2)
	v_ashrrev_i32_e32 v14, 31, v13
	v_add_co_u32 v13, vcc_lo, v19, v13
	s_wait_alu 0xfffd
	v_add_co_ci_u32_e64 v14, null, v20, v14, vcc_lo
; %bb.73:
	s_wait_alu 0xfffe
	s_and_not1_saveexec_b32 s0, s0
; %bb.74:
	v_add_co_u32 v13, vcc_lo, v15, v0
	s_wait_alu 0xfffd
	v_add_co_ci_u32_e64 v14, null, 0, v17, vcc_lo
; %bb.75:
	s_wait_alu 0xfffe
	s_or_b32 exec_lo, exec_lo, s0
	s_delay_alu instid0(VALU_DEP_1) | instskip(SKIP_1) | instid1(VALU_DEP_1)
	v_lshlrev_b64_e32 v[13:14], 2, v[13:14]
	s_mov_b32 s0, exec_lo
	v_add_co_u32 v13, vcc_lo, s10, v13
	s_wait_alu 0xfffd
	s_delay_alu instid0(VALU_DEP_2)
	v_add_co_ci_u32_e64 v14, null, s11, v14, vcc_lo
	s_wait_dscnt 0x6
	global_store_b32 v[13:14], v11, off
                                        ; implicit-def: $vgpr13_vgpr14
	v_cmpx_ge_u32_e64 v41, v16
	s_wait_alu 0xfffe
	s_xor_b32 s0, exec_lo, s0
; %bb.76:
	v_xor_b32_e32 v13, 0xfffffeff, v0
	s_delay_alu instid0(VALU_DEP_1) | instskip(SKIP_2) | instid1(VALU_DEP_2)
	v_ashrrev_i32_e32 v14, 31, v13
	v_add_co_u32 v13, vcc_lo, v19, v13
	s_wait_alu 0xfffd
	v_add_co_ci_u32_e64 v14, null, v20, v14, vcc_lo
; %bb.77:
	s_wait_alu 0xfffe
	s_and_not1_saveexec_b32 s0, s0
; %bb.78:
	v_add_co_u32 v13, vcc_lo, v15, v41
	s_wait_alu 0xfffd
	v_add_co_ci_u32_e64 v14, null, 0, v17, vcc_lo
; %bb.79:
	s_wait_alu 0xfffe
	s_or_b32 exec_lo, exec_lo, s0
	s_delay_alu instid0(VALU_DEP_1) | instskip(SKIP_1) | instid1(VALU_DEP_1)
	v_lshlrev_b64_e32 v[13:14], 2, v[13:14]
	s_mov_b32 s0, exec_lo
	v_add_co_u32 v13, vcc_lo, s10, v13
	s_wait_alu 0xfffd
	s_delay_alu instid0(VALU_DEP_2)
	v_add_co_ci_u32_e64 v14, null, s11, v14, vcc_lo
	global_store_b32 v[13:14], v12, off
                                        ; implicit-def: $vgpr13_vgpr14
	v_cmpx_ge_u32_e64 v40, v16
	s_wait_alu 0xfffe
	s_xor_b32 s0, exec_lo, s0
; %bb.80:
	v_xor_b32_e32 v13, 0xfffffdff, v0
	s_delay_alu instid0(VALU_DEP_1) | instskip(SKIP_2) | instid1(VALU_DEP_2)
	v_ashrrev_i32_e32 v14, 31, v13
	v_add_co_u32 v13, vcc_lo, v19, v13
	s_wait_alu 0xfffd
	v_add_co_ci_u32_e64 v14, null, v20, v14, vcc_lo
; %bb.81:
	s_wait_alu 0xfffe
	s_and_not1_saveexec_b32 s0, s0
; %bb.82:
	v_add_co_u32 v13, vcc_lo, v15, v40
	s_wait_alu 0xfffd
	v_add_co_ci_u32_e64 v14, null, 0, v17, vcc_lo
; %bb.83:
	s_wait_alu 0xfffe
	s_or_b32 exec_lo, exec_lo, s0
	s_delay_alu instid0(VALU_DEP_1) | instskip(SKIP_1) | instid1(VALU_DEP_1)
	v_lshlrev_b64_e32 v[13:14], 2, v[13:14]
	s_mov_b32 s0, exec_lo
	v_add_co_u32 v13, vcc_lo, s10, v13
	s_wait_alu 0xfffd
	s_delay_alu instid0(VALU_DEP_2)
	v_add_co_ci_u32_e64 v14, null, s11, v14, vcc_lo
	s_wait_dscnt 0x5
	global_store_b32 v[13:14], v9, off
                                        ; implicit-def: $vgpr13_vgpr14
	v_cmpx_ge_u32_e64 v39, v16
	s_wait_alu 0xfffe
	s_xor_b32 s0, exec_lo, s0
; %bb.84:
	v_xor_b32_e32 v13, 0xfffffcff, v0
	s_delay_alu instid0(VALU_DEP_1) | instskip(SKIP_2) | instid1(VALU_DEP_2)
	v_ashrrev_i32_e32 v14, 31, v13
	v_add_co_u32 v13, vcc_lo, v19, v13
	s_wait_alu 0xfffd
	v_add_co_ci_u32_e64 v14, null, v20, v14, vcc_lo
; %bb.85:
	s_wait_alu 0xfffe
	s_and_not1_saveexec_b32 s0, s0
; %bb.86:
	v_add_co_u32 v13, vcc_lo, v15, v39
	s_wait_alu 0xfffd
	v_add_co_ci_u32_e64 v14, null, 0, v17, vcc_lo
; %bb.87:
	s_wait_alu 0xfffe
	s_or_b32 exec_lo, exec_lo, s0
	s_delay_alu instid0(VALU_DEP_1) | instskip(SKIP_1) | instid1(VALU_DEP_1)
	v_lshlrev_b64_e32 v[13:14], 2, v[13:14]
	s_mov_b32 s0, exec_lo
	v_add_co_u32 v13, vcc_lo, s10, v13
	s_wait_alu 0xfffd
	s_delay_alu instid0(VALU_DEP_2)
	v_add_co_ci_u32_e64 v14, null, s11, v14, vcc_lo
	global_store_b32 v[13:14], v10, off
                                        ; implicit-def: $vgpr13_vgpr14
	v_cmpx_ge_u32_e64 v38, v16
	s_wait_alu 0xfffe
	s_xor_b32 s0, exec_lo, s0
; %bb.88:
	v_xor_b32_e32 v13, 0xfffffbff, v0
	;; [unrolled: 59-line block ×6, first 2 shown]
	s_delay_alu instid0(VALU_DEP_1) | instskip(SKIP_2) | instid1(VALU_DEP_2)
	v_ashrrev_i32_e32 v14, 31, v13
	v_add_co_u32 v13, vcc_lo, v19, v13
	s_wait_alu 0xfffd
	v_add_co_ci_u32_e64 v14, null, v20, v14, vcc_lo
; %bb.121:
	s_wait_alu 0xfffe
	s_and_not1_saveexec_b32 s0, s0
; %bb.122:
	v_add_co_u32 v13, vcc_lo, v15, v30
	s_wait_alu 0xfffd
	v_add_co_ci_u32_e64 v14, null, 0, v17, vcc_lo
; %bb.123:
	s_wait_alu 0xfffe
	s_or_b32 exec_lo, exec_lo, s0
	s_mov_b32 s0, -1
	s_branch .LBB1815_204
.LBB1815_124:
	s_mov_b32 s0, 0
                                        ; implicit-def: $vgpr13_vgpr14
	s_cbranch_execz .LBB1815_204
; %bb.125:
	s_mov_b32 s17, 0
	s_delay_alu instid0(SALU_CYCLE_1)
	s_add_nc_u64 s[2:3], s[12:13], s[16:17]
	s_wait_alu 0xfffe
	s_sub_nc_u64 s[2:3], s[14:15], s[2:3]
	s_wait_alu 0xfffe
	v_add_co_u32 v13, s1, s2, v16
	s_wait_alu 0xf1ff
	v_add_co_ci_u32_e64 v14, null, s3, 0, s1
	s_mov_b32 s1, exec_lo
	v_add_co_u32 v19, vcc_lo, v13, v15
	s_wait_alu 0xfffd
	v_add_co_ci_u32_e64 v20, null, v14, v17, vcc_lo
	v_cmpx_gt_u32_e64 s23, v0
	s_cbranch_execz .LBB1815_161
; %bb.126:
	s_mov_b32 s2, exec_lo
                                        ; implicit-def: $vgpr13_vgpr14
	v_cmpx_ge_u32_e64 v0, v16
	s_wait_alu 0xfffe
	s_xor_b32 s2, exec_lo, s2
; %bb.127:
	v_not_b32_e32 v13, v0
	s_delay_alu instid0(VALU_DEP_1) | instskip(SKIP_2) | instid1(VALU_DEP_2)
	v_ashrrev_i32_e32 v14, 31, v13
	v_add_co_u32 v13, vcc_lo, v19, v13
	s_wait_alu 0xfffd
	v_add_co_ci_u32_e64 v14, null, v20, v14, vcc_lo
; %bb.128:
	s_wait_alu 0xfffe
	s_and_not1_saveexec_b32 s2, s2
; %bb.129:
	v_add_co_u32 v13, vcc_lo, v15, v0
	s_wait_alu 0xfffd
	v_add_co_ci_u32_e64 v14, null, 0, v17, vcc_lo
; %bb.130:
	s_wait_alu 0xfffe
	s_or_b32 exec_lo, exec_lo, s2
	s_delay_alu instid0(VALU_DEP_1) | instskip(NEXT) | instid1(VALU_DEP_1)
	v_lshlrev_b64_e32 v[13:14], 2, v[13:14]
	v_add_co_u32 v13, vcc_lo, s10, v13
	s_wait_alu 0xfffd
	s_delay_alu instid0(VALU_DEP_2) | instskip(SKIP_3) | instid1(SALU_CYCLE_1)
	v_add_co_ci_u32_e64 v14, null, s11, v14, vcc_lo
	s_wait_dscnt 0x6
	global_store_b32 v[13:14], v11, off
	s_or_b32 exec_lo, exec_lo, s1
	s_mov_b32 s1, exec_lo
	v_cmpx_gt_u32_e64 s23, v41
	s_cbranch_execnz .LBB1815_162
.LBB1815_131:
	s_wait_alu 0xfffe
	s_or_b32 exec_lo, exec_lo, s1
	s_delay_alu instid0(SALU_CYCLE_1)
	s_mov_b32 s1, exec_lo
	v_cmpx_gt_u32_e64 s23, v40
	s_cbranch_execz .LBB1815_167
.LBB1815_132:
	s_mov_b32 s2, exec_lo
                                        ; implicit-def: $vgpr11_vgpr12
	v_cmpx_ge_u32_e64 v40, v16
	s_wait_alu 0xfffe
	s_xor_b32 s2, exec_lo, s2
	s_cbranch_execz .LBB1815_134
; %bb.133:
	s_wait_dscnt 0x6
	v_xor_b32_e32 v11, 0xfffffdff, v0
                                        ; implicit-def: $vgpr40
	s_delay_alu instid0(VALU_DEP_1) | instskip(SKIP_2) | instid1(VALU_DEP_2)
	v_ashrrev_i32_e32 v12, 31, v11
	v_add_co_u32 v11, vcc_lo, v19, v11
	s_wait_alu 0xfffd
	v_add_co_ci_u32_e64 v12, null, v20, v12, vcc_lo
.LBB1815_134:
	s_wait_alu 0xfffe
	s_and_not1_saveexec_b32 s2, s2
	s_cbranch_execz .LBB1815_136
; %bb.135:
	s_wait_dscnt 0x6
	v_add_co_u32 v11, vcc_lo, v15, v40
	s_wait_alu 0xfffd
	v_add_co_ci_u32_e64 v12, null, 0, v17, vcc_lo
.LBB1815_136:
	s_wait_alu 0xfffe
	s_or_b32 exec_lo, exec_lo, s2
	s_wait_dscnt 0x6
	s_delay_alu instid0(VALU_DEP_1) | instskip(NEXT) | instid1(VALU_DEP_1)
	v_lshlrev_b64_e32 v[11:12], 2, v[11:12]
	v_add_co_u32 v11, vcc_lo, s10, v11
	s_wait_alu 0xfffd
	s_delay_alu instid0(VALU_DEP_2) | instskip(SKIP_3) | instid1(SALU_CYCLE_1)
	v_add_co_ci_u32_e64 v12, null, s11, v12, vcc_lo
	s_wait_dscnt 0x5
	global_store_b32 v[11:12], v9, off
	s_or_b32 exec_lo, exec_lo, s1
	s_mov_b32 s1, exec_lo
	v_cmpx_gt_u32_e64 s23, v39
	s_cbranch_execnz .LBB1815_168
.LBB1815_137:
	s_wait_alu 0xfffe
	s_or_b32 exec_lo, exec_lo, s1
	s_delay_alu instid0(SALU_CYCLE_1)
	s_mov_b32 s1, exec_lo
	v_cmpx_gt_u32_e64 s23, v38
	s_cbranch_execz .LBB1815_173
.LBB1815_138:
	s_mov_b32 s2, exec_lo
                                        ; implicit-def: $vgpr9_vgpr10
	v_cmpx_ge_u32_e64 v38, v16
	s_wait_alu 0xfffe
	s_xor_b32 s2, exec_lo, s2
	s_cbranch_execz .LBB1815_140
; %bb.139:
	s_wait_dscnt 0x5
	v_xor_b32_e32 v9, 0xfffffbff, v0
                                        ; implicit-def: $vgpr38
	s_delay_alu instid0(VALU_DEP_1) | instskip(SKIP_2) | instid1(VALU_DEP_2)
	v_ashrrev_i32_e32 v10, 31, v9
	v_add_co_u32 v9, vcc_lo, v19, v9
	s_wait_alu 0xfffd
	v_add_co_ci_u32_e64 v10, null, v20, v10, vcc_lo
.LBB1815_140:
	s_wait_alu 0xfffe
	s_and_not1_saveexec_b32 s2, s2
	s_cbranch_execz .LBB1815_142
; %bb.141:
	s_wait_dscnt 0x5
	v_add_co_u32 v9, vcc_lo, v15, v38
	s_wait_alu 0xfffd
	v_add_co_ci_u32_e64 v10, null, 0, v17, vcc_lo
.LBB1815_142:
	s_wait_alu 0xfffe
	s_or_b32 exec_lo, exec_lo, s2
	s_wait_dscnt 0x5
	s_delay_alu instid0(VALU_DEP_1) | instskip(NEXT) | instid1(VALU_DEP_1)
	v_lshlrev_b64_e32 v[9:10], 2, v[9:10]
	v_add_co_u32 v9, vcc_lo, s10, v9
	s_wait_alu 0xfffd
	s_delay_alu instid0(VALU_DEP_2) | instskip(SKIP_3) | instid1(SALU_CYCLE_1)
	v_add_co_ci_u32_e64 v10, null, s11, v10, vcc_lo
	s_wait_dscnt 0x4
	global_store_b32 v[9:10], v7, off
	s_or_b32 exec_lo, exec_lo, s1
	s_mov_b32 s1, exec_lo
	v_cmpx_gt_u32_e64 s23, v37
	s_cbranch_execnz .LBB1815_174
.LBB1815_143:
	s_wait_alu 0xfffe
	s_or_b32 exec_lo, exec_lo, s1
	s_delay_alu instid0(SALU_CYCLE_1)
	s_mov_b32 s1, exec_lo
	v_cmpx_gt_u32_e64 s23, v36
	s_cbranch_execz .LBB1815_179
.LBB1815_144:
	s_mov_b32 s2, exec_lo
                                        ; implicit-def: $vgpr7_vgpr8
	v_cmpx_ge_u32_e64 v36, v16
	s_wait_alu 0xfffe
	s_xor_b32 s2, exec_lo, s2
	s_cbranch_execz .LBB1815_146
; %bb.145:
	s_wait_dscnt 0x4
	v_xor_b32_e32 v7, 0xfffff9ff, v0
                                        ; implicit-def: $vgpr36
	s_delay_alu instid0(VALU_DEP_1) | instskip(SKIP_2) | instid1(VALU_DEP_2)
	v_ashrrev_i32_e32 v8, 31, v7
	v_add_co_u32 v7, vcc_lo, v19, v7
	s_wait_alu 0xfffd
	v_add_co_ci_u32_e64 v8, null, v20, v8, vcc_lo
.LBB1815_146:
	s_wait_alu 0xfffe
	s_and_not1_saveexec_b32 s2, s2
	s_cbranch_execz .LBB1815_148
; %bb.147:
	s_wait_dscnt 0x4
	v_add_co_u32 v7, vcc_lo, v15, v36
	s_wait_alu 0xfffd
	v_add_co_ci_u32_e64 v8, null, 0, v17, vcc_lo
.LBB1815_148:
	s_wait_alu 0xfffe
	s_or_b32 exec_lo, exec_lo, s2
	s_wait_dscnt 0x4
	s_delay_alu instid0(VALU_DEP_1) | instskip(NEXT) | instid1(VALU_DEP_1)
	v_lshlrev_b64_e32 v[7:8], 2, v[7:8]
	v_add_co_u32 v7, vcc_lo, s10, v7
	s_wait_alu 0xfffd
	s_delay_alu instid0(VALU_DEP_2) | instskip(SKIP_3) | instid1(SALU_CYCLE_1)
	v_add_co_ci_u32_e64 v8, null, s11, v8, vcc_lo
	s_wait_dscnt 0x3
	global_store_b32 v[7:8], v5, off
	s_or_b32 exec_lo, exec_lo, s1
	s_mov_b32 s1, exec_lo
	v_cmpx_gt_u32_e64 s23, v35
	s_cbranch_execnz .LBB1815_180
.LBB1815_149:
	s_wait_alu 0xfffe
	s_or_b32 exec_lo, exec_lo, s1
	s_delay_alu instid0(SALU_CYCLE_1)
	s_mov_b32 s1, exec_lo
	v_cmpx_gt_u32_e64 s23, v34
	s_cbranch_execz .LBB1815_185
.LBB1815_150:
	s_mov_b32 s2, exec_lo
                                        ; implicit-def: $vgpr5_vgpr6
	v_cmpx_ge_u32_e64 v34, v16
	s_wait_alu 0xfffe
	s_xor_b32 s2, exec_lo, s2
	s_cbranch_execz .LBB1815_152
; %bb.151:
	s_wait_dscnt 0x3
	v_xor_b32_e32 v5, 0xfffff7ff, v0
                                        ; implicit-def: $vgpr34
	s_delay_alu instid0(VALU_DEP_1) | instskip(SKIP_2) | instid1(VALU_DEP_2)
	v_ashrrev_i32_e32 v6, 31, v5
	v_add_co_u32 v5, vcc_lo, v19, v5
	s_wait_alu 0xfffd
	v_add_co_ci_u32_e64 v6, null, v20, v6, vcc_lo
.LBB1815_152:
	s_wait_alu 0xfffe
	s_and_not1_saveexec_b32 s2, s2
	s_cbranch_execz .LBB1815_154
; %bb.153:
	s_wait_dscnt 0x3
	v_add_co_u32 v5, vcc_lo, v15, v34
	s_wait_alu 0xfffd
	v_add_co_ci_u32_e64 v6, null, 0, v17, vcc_lo
.LBB1815_154:
	s_wait_alu 0xfffe
	s_or_b32 exec_lo, exec_lo, s2
	s_wait_dscnt 0x3
	s_delay_alu instid0(VALU_DEP_1) | instskip(NEXT) | instid1(VALU_DEP_1)
	v_lshlrev_b64_e32 v[5:6], 2, v[5:6]
	v_add_co_u32 v5, vcc_lo, s10, v5
	s_wait_alu 0xfffd
	s_delay_alu instid0(VALU_DEP_2) | instskip(SKIP_3) | instid1(SALU_CYCLE_1)
	v_add_co_ci_u32_e64 v6, null, s11, v6, vcc_lo
	s_wait_dscnt 0x2
	global_store_b32 v[5:6], v3, off
	s_or_b32 exec_lo, exec_lo, s1
	s_mov_b32 s1, exec_lo
	v_cmpx_gt_u32_e64 s23, v33
	s_cbranch_execnz .LBB1815_186
.LBB1815_155:
	s_wait_alu 0xfffe
	s_or_b32 exec_lo, exec_lo, s1
	s_delay_alu instid0(SALU_CYCLE_1)
	s_mov_b32 s1, exec_lo
	v_cmpx_gt_u32_e64 s23, v32
	s_cbranch_execz .LBB1815_191
.LBB1815_156:
	s_mov_b32 s2, exec_lo
                                        ; implicit-def: $vgpr3_vgpr4
	v_cmpx_ge_u32_e64 v32, v16
	s_wait_alu 0xfffe
	s_xor_b32 s2, exec_lo, s2
	s_cbranch_execz .LBB1815_158
; %bb.157:
	s_wait_dscnt 0x2
	v_xor_b32_e32 v3, 0xfffff5ff, v0
                                        ; implicit-def: $vgpr32
	s_delay_alu instid0(VALU_DEP_1) | instskip(SKIP_2) | instid1(VALU_DEP_2)
	v_ashrrev_i32_e32 v4, 31, v3
	v_add_co_u32 v3, vcc_lo, v19, v3
	s_wait_alu 0xfffd
	v_add_co_ci_u32_e64 v4, null, v20, v4, vcc_lo
.LBB1815_158:
	s_wait_alu 0xfffe
	s_and_not1_saveexec_b32 s2, s2
	s_cbranch_execz .LBB1815_160
; %bb.159:
	s_wait_dscnt 0x2
	v_add_co_u32 v3, vcc_lo, v15, v32
	s_wait_alu 0xfffd
	v_add_co_ci_u32_e64 v4, null, 0, v17, vcc_lo
.LBB1815_160:
	s_wait_alu 0xfffe
	s_or_b32 exec_lo, exec_lo, s2
	s_wait_dscnt 0x2
	s_delay_alu instid0(VALU_DEP_1) | instskip(NEXT) | instid1(VALU_DEP_1)
	v_lshlrev_b64_e32 v[3:4], 2, v[3:4]
	v_add_co_u32 v3, vcc_lo, s10, v3
	s_wait_alu 0xfffd
	s_delay_alu instid0(VALU_DEP_2) | instskip(SKIP_3) | instid1(SALU_CYCLE_1)
	v_add_co_ci_u32_e64 v4, null, s11, v4, vcc_lo
	s_wait_dscnt 0x1
	global_store_b32 v[3:4], v1, off
	s_or_b32 exec_lo, exec_lo, s1
	s_mov_b32 s1, exec_lo
	v_cmpx_gt_u32_e64 s23, v31
	s_cbranch_execz .LBB1815_197
	s_branch .LBB1815_192
.LBB1815_161:
	s_wait_alu 0xfffe
	s_or_b32 exec_lo, exec_lo, s1
	s_delay_alu instid0(SALU_CYCLE_1)
	s_mov_b32 s1, exec_lo
	v_cmpx_gt_u32_e64 s23, v41
	s_cbranch_execz .LBB1815_131
.LBB1815_162:
	s_mov_b32 s2, exec_lo
                                        ; implicit-def: $vgpr13_vgpr14
	v_cmpx_ge_u32_e64 v41, v16
	s_wait_alu 0xfffe
	s_xor_b32 s2, exec_lo, s2
	s_cbranch_execz .LBB1815_164
; %bb.163:
	s_wait_dscnt 0x6
	v_xor_b32_e32 v11, 0xfffffeff, v0
                                        ; implicit-def: $vgpr41
	s_delay_alu instid0(VALU_DEP_1) | instskip(SKIP_2) | instid1(VALU_DEP_2)
	v_ashrrev_i32_e32 v14, 31, v11
	v_add_co_u32 v13, vcc_lo, v19, v11
	s_wait_alu 0xfffd
	v_add_co_ci_u32_e64 v14, null, v20, v14, vcc_lo
.LBB1815_164:
	s_wait_alu 0xfffe
	s_and_not1_saveexec_b32 s2, s2
; %bb.165:
	v_add_co_u32 v13, vcc_lo, v15, v41
	s_wait_alu 0xfffd
	v_add_co_ci_u32_e64 v14, null, 0, v17, vcc_lo
; %bb.166:
	s_wait_alu 0xfffe
	s_or_b32 exec_lo, exec_lo, s2
	s_delay_alu instid0(VALU_DEP_1) | instskip(NEXT) | instid1(VALU_DEP_1)
	v_lshlrev_b64_e32 v[13:14], 2, v[13:14]
	v_add_co_u32 v13, vcc_lo, s10, v13
	s_wait_alu 0xfffd
	s_delay_alu instid0(VALU_DEP_2) | instskip(SKIP_3) | instid1(SALU_CYCLE_1)
	v_add_co_ci_u32_e64 v14, null, s11, v14, vcc_lo
	s_wait_dscnt 0x6
	global_store_b32 v[13:14], v12, off
	s_or_b32 exec_lo, exec_lo, s1
	s_mov_b32 s1, exec_lo
	v_cmpx_gt_u32_e64 s23, v40
	s_cbranch_execnz .LBB1815_132
.LBB1815_167:
	s_wait_alu 0xfffe
	s_or_b32 exec_lo, exec_lo, s1
	s_delay_alu instid0(SALU_CYCLE_1)
	s_mov_b32 s1, exec_lo
	v_cmpx_gt_u32_e64 s23, v39
	s_cbranch_execz .LBB1815_137
.LBB1815_168:
	s_mov_b32 s2, exec_lo
                                        ; implicit-def: $vgpr11_vgpr12
	v_cmpx_ge_u32_e64 v39, v16
	s_wait_alu 0xfffe
	s_xor_b32 s2, exec_lo, s2
	s_cbranch_execz .LBB1815_170
; %bb.169:
	s_wait_dscnt 0x5
	v_xor_b32_e32 v9, 0xfffffcff, v0
                                        ; implicit-def: $vgpr39
	s_delay_alu instid0(VALU_DEP_1) | instskip(SKIP_2) | instid1(VALU_DEP_2)
	v_ashrrev_i32_e32 v12, 31, v9
	v_add_co_u32 v11, vcc_lo, v19, v9
	s_wait_alu 0xfffd
	v_add_co_ci_u32_e64 v12, null, v20, v12, vcc_lo
.LBB1815_170:
	s_wait_alu 0xfffe
	s_and_not1_saveexec_b32 s2, s2
	s_cbranch_execz .LBB1815_172
; %bb.171:
	s_wait_dscnt 0x6
	v_add_co_u32 v11, vcc_lo, v15, v39
	s_wait_alu 0xfffd
	v_add_co_ci_u32_e64 v12, null, 0, v17, vcc_lo
.LBB1815_172:
	s_wait_alu 0xfffe
	s_or_b32 exec_lo, exec_lo, s2
	s_wait_dscnt 0x6
	s_delay_alu instid0(VALU_DEP_1) | instskip(NEXT) | instid1(VALU_DEP_1)
	v_lshlrev_b64_e32 v[11:12], 2, v[11:12]
	v_add_co_u32 v11, vcc_lo, s10, v11
	s_wait_alu 0xfffd
	s_delay_alu instid0(VALU_DEP_2) | instskip(SKIP_3) | instid1(SALU_CYCLE_1)
	v_add_co_ci_u32_e64 v12, null, s11, v12, vcc_lo
	s_wait_dscnt 0x5
	global_store_b32 v[11:12], v10, off
	s_or_b32 exec_lo, exec_lo, s1
	s_mov_b32 s1, exec_lo
	v_cmpx_gt_u32_e64 s23, v38
	s_cbranch_execnz .LBB1815_138
.LBB1815_173:
	s_wait_alu 0xfffe
	s_or_b32 exec_lo, exec_lo, s1
	s_delay_alu instid0(SALU_CYCLE_1)
	s_mov_b32 s1, exec_lo
	v_cmpx_gt_u32_e64 s23, v37
	s_cbranch_execz .LBB1815_143
.LBB1815_174:
	s_mov_b32 s2, exec_lo
                                        ; implicit-def: $vgpr9_vgpr10
	v_cmpx_ge_u32_e64 v37, v16
	s_wait_alu 0xfffe
	s_xor_b32 s2, exec_lo, s2
	s_cbranch_execz .LBB1815_176
; %bb.175:
	s_wait_dscnt 0x4
	v_xor_b32_e32 v7, 0xfffffaff, v0
                                        ; implicit-def: $vgpr37
	s_delay_alu instid0(VALU_DEP_1) | instskip(SKIP_2) | instid1(VALU_DEP_2)
	v_ashrrev_i32_e32 v10, 31, v7
	v_add_co_u32 v9, vcc_lo, v19, v7
	s_wait_alu 0xfffd
	v_add_co_ci_u32_e64 v10, null, v20, v10, vcc_lo
.LBB1815_176:
	s_wait_alu 0xfffe
	s_and_not1_saveexec_b32 s2, s2
	s_cbranch_execz .LBB1815_178
; %bb.177:
	s_wait_dscnt 0x5
	v_add_co_u32 v9, vcc_lo, v15, v37
	s_wait_alu 0xfffd
	v_add_co_ci_u32_e64 v10, null, 0, v17, vcc_lo
.LBB1815_178:
	s_wait_alu 0xfffe
	s_or_b32 exec_lo, exec_lo, s2
	s_wait_dscnt 0x5
	s_delay_alu instid0(VALU_DEP_1) | instskip(NEXT) | instid1(VALU_DEP_1)
	v_lshlrev_b64_e32 v[9:10], 2, v[9:10]
	v_add_co_u32 v9, vcc_lo, s10, v9
	s_wait_alu 0xfffd
	s_delay_alu instid0(VALU_DEP_2) | instskip(SKIP_3) | instid1(SALU_CYCLE_1)
	v_add_co_ci_u32_e64 v10, null, s11, v10, vcc_lo
	s_wait_dscnt 0x4
	global_store_b32 v[9:10], v8, off
	s_or_b32 exec_lo, exec_lo, s1
	s_mov_b32 s1, exec_lo
	v_cmpx_gt_u32_e64 s23, v36
	s_cbranch_execnz .LBB1815_144
.LBB1815_179:
	s_wait_alu 0xfffe
	s_or_b32 exec_lo, exec_lo, s1
	s_delay_alu instid0(SALU_CYCLE_1)
	s_mov_b32 s1, exec_lo
	v_cmpx_gt_u32_e64 s23, v35
	s_cbranch_execz .LBB1815_149
.LBB1815_180:
	s_mov_b32 s2, exec_lo
                                        ; implicit-def: $vgpr7_vgpr8
	v_cmpx_ge_u32_e64 v35, v16
	s_wait_alu 0xfffe
	s_xor_b32 s2, exec_lo, s2
	s_cbranch_execz .LBB1815_182
; %bb.181:
	s_wait_dscnt 0x3
	v_xor_b32_e32 v5, 0xfffff8ff, v0
                                        ; implicit-def: $vgpr35
	s_delay_alu instid0(VALU_DEP_1) | instskip(SKIP_2) | instid1(VALU_DEP_2)
	v_ashrrev_i32_e32 v8, 31, v5
	v_add_co_u32 v7, vcc_lo, v19, v5
	s_wait_alu 0xfffd
	v_add_co_ci_u32_e64 v8, null, v20, v8, vcc_lo
.LBB1815_182:
	s_wait_alu 0xfffe
	s_and_not1_saveexec_b32 s2, s2
	s_cbranch_execz .LBB1815_184
; %bb.183:
	s_wait_dscnt 0x4
	v_add_co_u32 v7, vcc_lo, v15, v35
	s_wait_alu 0xfffd
	v_add_co_ci_u32_e64 v8, null, 0, v17, vcc_lo
.LBB1815_184:
	s_wait_alu 0xfffe
	s_or_b32 exec_lo, exec_lo, s2
	s_wait_dscnt 0x4
	s_delay_alu instid0(VALU_DEP_1) | instskip(NEXT) | instid1(VALU_DEP_1)
	v_lshlrev_b64_e32 v[7:8], 2, v[7:8]
	v_add_co_u32 v7, vcc_lo, s10, v7
	s_wait_alu 0xfffd
	s_delay_alu instid0(VALU_DEP_2) | instskip(SKIP_3) | instid1(SALU_CYCLE_1)
	v_add_co_ci_u32_e64 v8, null, s11, v8, vcc_lo
	s_wait_dscnt 0x3
	global_store_b32 v[7:8], v6, off
	s_or_b32 exec_lo, exec_lo, s1
	s_mov_b32 s1, exec_lo
	v_cmpx_gt_u32_e64 s23, v34
	s_cbranch_execnz .LBB1815_150
.LBB1815_185:
	s_wait_alu 0xfffe
	s_or_b32 exec_lo, exec_lo, s1
	s_delay_alu instid0(SALU_CYCLE_1)
	s_mov_b32 s1, exec_lo
	v_cmpx_gt_u32_e64 s23, v33
	s_cbranch_execz .LBB1815_155
.LBB1815_186:
	s_mov_b32 s2, exec_lo
                                        ; implicit-def: $vgpr5_vgpr6
	v_cmpx_ge_u32_e64 v33, v16
	s_wait_alu 0xfffe
	s_xor_b32 s2, exec_lo, s2
	s_cbranch_execz .LBB1815_188
; %bb.187:
	s_wait_dscnt 0x2
	v_xor_b32_e32 v3, 0xfffff6ff, v0
                                        ; implicit-def: $vgpr33
	s_delay_alu instid0(VALU_DEP_1) | instskip(SKIP_2) | instid1(VALU_DEP_2)
	v_ashrrev_i32_e32 v6, 31, v3
	v_add_co_u32 v5, vcc_lo, v19, v3
	s_wait_alu 0xfffd
	v_add_co_ci_u32_e64 v6, null, v20, v6, vcc_lo
.LBB1815_188:
	s_wait_alu 0xfffe
	s_and_not1_saveexec_b32 s2, s2
	s_cbranch_execz .LBB1815_190
; %bb.189:
	s_wait_dscnt 0x3
	v_add_co_u32 v5, vcc_lo, v15, v33
	s_wait_alu 0xfffd
	v_add_co_ci_u32_e64 v6, null, 0, v17, vcc_lo
.LBB1815_190:
	s_wait_alu 0xfffe
	s_or_b32 exec_lo, exec_lo, s2
	s_wait_dscnt 0x3
	s_delay_alu instid0(VALU_DEP_1) | instskip(NEXT) | instid1(VALU_DEP_1)
	v_lshlrev_b64_e32 v[5:6], 2, v[5:6]
	v_add_co_u32 v5, vcc_lo, s10, v5
	s_wait_alu 0xfffd
	s_delay_alu instid0(VALU_DEP_2) | instskip(SKIP_3) | instid1(SALU_CYCLE_1)
	v_add_co_ci_u32_e64 v6, null, s11, v6, vcc_lo
	s_wait_dscnt 0x2
	global_store_b32 v[5:6], v4, off
	s_or_b32 exec_lo, exec_lo, s1
	s_mov_b32 s1, exec_lo
	v_cmpx_gt_u32_e64 s23, v32
	s_cbranch_execnz .LBB1815_156
.LBB1815_191:
	s_wait_alu 0xfffe
	s_or_b32 exec_lo, exec_lo, s1
	s_delay_alu instid0(SALU_CYCLE_1)
	s_mov_b32 s1, exec_lo
	v_cmpx_gt_u32_e64 s23, v31
	s_cbranch_execz .LBB1815_197
.LBB1815_192:
	s_mov_b32 s2, exec_lo
                                        ; implicit-def: $vgpr3_vgpr4
	v_cmpx_ge_u32_e64 v31, v16
	s_wait_alu 0xfffe
	s_xor_b32 s2, exec_lo, s2
	s_cbranch_execz .LBB1815_194
; %bb.193:
	s_wait_dscnt 0x1
	v_xor_b32_e32 v1, 0xfffff4ff, v0
                                        ; implicit-def: $vgpr31
	s_delay_alu instid0(VALU_DEP_1) | instskip(SKIP_2) | instid1(VALU_DEP_2)
	v_ashrrev_i32_e32 v4, 31, v1
	v_add_co_u32 v3, vcc_lo, v19, v1
	s_wait_alu 0xfffd
	v_add_co_ci_u32_e64 v4, null, v20, v4, vcc_lo
.LBB1815_194:
	s_wait_alu 0xfffe
	s_and_not1_saveexec_b32 s2, s2
	s_cbranch_execz .LBB1815_196
; %bb.195:
	s_wait_dscnt 0x2
	v_add_co_u32 v3, vcc_lo, v15, v31
	s_wait_alu 0xfffd
	v_add_co_ci_u32_e64 v4, null, 0, v17, vcc_lo
.LBB1815_196:
	s_wait_alu 0xfffe
	s_or_b32 exec_lo, exec_lo, s2
	s_wait_dscnt 0x2
	s_delay_alu instid0(VALU_DEP_1) | instskip(NEXT) | instid1(VALU_DEP_1)
	v_lshlrev_b64_e32 v[3:4], 2, v[3:4]
	v_add_co_u32 v3, vcc_lo, s10, v3
	s_wait_alu 0xfffd
	s_delay_alu instid0(VALU_DEP_2)
	v_add_co_ci_u32_e64 v4, null, s11, v4, vcc_lo
	s_wait_dscnt 0x1
	global_store_b32 v[3:4], v2, off
.LBB1815_197:
	s_wait_alu 0xfffe
	s_or_b32 exec_lo, exec_lo, s1
	s_delay_alu instid0(SALU_CYCLE_1)
	s_mov_b32 s1, exec_lo
                                        ; implicit-def: $vgpr13_vgpr14
	v_cmpx_gt_u32_e64 s23, v30
	s_cbranch_execz .LBB1815_203
; %bb.198:
	s_mov_b32 s2, exec_lo
                                        ; implicit-def: $vgpr13_vgpr14
	v_cmpx_ge_u32_e64 v30, v16
	s_wait_alu 0xfffe
	s_xor_b32 s2, exec_lo, s2
	s_cbranch_execz .LBB1815_200
; %bb.199:
	s_wait_dscnt 0x1
	v_xor_b32_e32 v1, 0xfffff3ff, v0
                                        ; implicit-def: $vgpr30
	s_delay_alu instid0(VALU_DEP_1) | instskip(SKIP_2) | instid1(VALU_DEP_2)
	v_ashrrev_i32_e32 v2, 31, v1
	v_add_co_u32 v13, vcc_lo, v19, v1
	s_wait_alu 0xfffd
	v_add_co_ci_u32_e64 v14, null, v20, v2, vcc_lo
.LBB1815_200:
	s_wait_alu 0xfffe
	s_and_not1_saveexec_b32 s2, s2
; %bb.201:
	v_add_co_u32 v13, vcc_lo, v15, v30
	s_wait_alu 0xfffd
	v_add_co_ci_u32_e64 v14, null, 0, v17, vcc_lo
; %bb.202:
	s_wait_alu 0xfffe
	s_or_b32 exec_lo, exec_lo, s2
	s_delay_alu instid0(SALU_CYCLE_1)
	s_or_b32 s0, s0, exec_lo
.LBB1815_203:
	s_wait_alu 0xfffe
	s_or_b32 exec_lo, exec_lo, s1
.LBB1815_204:
	s_wait_alu 0xfffe
	s_and_saveexec_b32 s1, s0
	s_cbranch_execz .LBB1815_206
; %bb.205:
	s_wait_dscnt 0x1
	v_lshlrev_b64_e32 v[1:2], 2, v[13:14]
	s_delay_alu instid0(VALU_DEP_1) | instskip(SKIP_1) | instid1(VALU_DEP_2)
	v_add_co_u32 v1, vcc_lo, s10, v1
	s_wait_alu 0xfffd
	v_add_co_ci_u32_e64 v2, null, s11, v2, vcc_lo
	s_wait_dscnt 0x0
	global_store_b32 v[1:2], v18, off
.LBB1815_206:
	s_wait_alu 0xfffe
	s_or_b32 exec_lo, exec_lo, s1
	v_cmp_eq_u32_e32 vcc_lo, 0, v0
	s_and_b32 s0, vcc_lo, s22
	s_wait_alu 0xfffe
	s_and_saveexec_b32 s1, s0
	s_cbranch_execz .LBB1815_208
; %bb.207:
	v_add_co_u32 v0, vcc_lo, v15, v16
	s_wait_dscnt 0x1
	v_mov_b32_e32 v2, 0
	s_wait_alu 0xfffd
	v_add_co_ci_u32_e64 v1, null, 0, v17, vcc_lo
	global_store_b64 v2, v[0:1], s[8:9]
.LBB1815_208:
	s_endpgm
	.section	.rodata,"a",@progbits
	.p2align	6, 0x0
	.amdhsa_kernel _ZN7rocprim17ROCPRIM_400000_NS6detail17trampoline_kernelINS0_13select_configILj256ELj13ELNS0_17block_load_methodE3ELS4_3ELS4_3ELNS0_20block_scan_algorithmE0ELj4294967295EEENS1_25partition_config_selectorILNS1_17partition_subalgoE3EjNS0_10empty_typeEbEEZZNS1_14partition_implILS8_3ELb0ES6_jNS0_17counting_iteratorIjlEEPS9_SE_NS0_5tupleIJPjSE_EEENSF_IJSE_SE_EEES9_SG_JZNS1_25segmented_radix_sort_implINS0_14default_configELb0EPK6__halfPSL_PKlPlN2at6native12_GLOBAL__N_18offset_tEEE10hipError_tPvRmT1_PNSt15iterator_traitsISZ_E10value_typeET2_T3_PNS10_IS15_E10value_typeET4_jRbjT5_S1B_jjP12ihipStream_tbEUljE_EEESW_SX_SY_S15_S19_S1B_T6_T7_T9_mT8_S1D_bDpT10_ENKUlT_T0_E_clISt17integral_constantIbLb0EES1Q_EEDaS1L_S1M_EUlS1L_E_NS1_11comp_targetILNS1_3genE10ELNS1_11target_archE1200ELNS1_3gpuE4ELNS1_3repE0EEENS1_30default_config_static_selectorELNS0_4arch9wavefront6targetE0EEEvSZ_
		.amdhsa_group_segment_fixed_size 13320
		.amdhsa_private_segment_fixed_size 0
		.amdhsa_kernarg_size 144
		.amdhsa_user_sgpr_count 2
		.amdhsa_user_sgpr_dispatch_ptr 0
		.amdhsa_user_sgpr_queue_ptr 0
		.amdhsa_user_sgpr_kernarg_segment_ptr 1
		.amdhsa_user_sgpr_dispatch_id 0
		.amdhsa_user_sgpr_private_segment_size 0
		.amdhsa_wavefront_size32 1
		.amdhsa_uses_dynamic_stack 0
		.amdhsa_enable_private_segment 0
		.amdhsa_system_sgpr_workgroup_id_x 1
		.amdhsa_system_sgpr_workgroup_id_y 0
		.amdhsa_system_sgpr_workgroup_id_z 0
		.amdhsa_system_sgpr_workgroup_info 0
		.amdhsa_system_vgpr_workitem_id 0
		.amdhsa_next_free_vgpr 69
		.amdhsa_next_free_sgpr 26
		.amdhsa_reserve_vcc 1
		.amdhsa_float_round_mode_32 0
		.amdhsa_float_round_mode_16_64 0
		.amdhsa_float_denorm_mode_32 3
		.amdhsa_float_denorm_mode_16_64 3
		.amdhsa_fp16_overflow 0
		.amdhsa_workgroup_processor_mode 1
		.amdhsa_memory_ordered 1
		.amdhsa_forward_progress 1
		.amdhsa_inst_pref_size 84
		.amdhsa_round_robin_scheduling 0
		.amdhsa_exception_fp_ieee_invalid_op 0
		.amdhsa_exception_fp_denorm_src 0
		.amdhsa_exception_fp_ieee_div_zero 0
		.amdhsa_exception_fp_ieee_overflow 0
		.amdhsa_exception_fp_ieee_underflow 0
		.amdhsa_exception_fp_ieee_inexact 0
		.amdhsa_exception_int_div_zero 0
	.end_amdhsa_kernel
	.section	.text._ZN7rocprim17ROCPRIM_400000_NS6detail17trampoline_kernelINS0_13select_configILj256ELj13ELNS0_17block_load_methodE3ELS4_3ELS4_3ELNS0_20block_scan_algorithmE0ELj4294967295EEENS1_25partition_config_selectorILNS1_17partition_subalgoE3EjNS0_10empty_typeEbEEZZNS1_14partition_implILS8_3ELb0ES6_jNS0_17counting_iteratorIjlEEPS9_SE_NS0_5tupleIJPjSE_EEENSF_IJSE_SE_EEES9_SG_JZNS1_25segmented_radix_sort_implINS0_14default_configELb0EPK6__halfPSL_PKlPlN2at6native12_GLOBAL__N_18offset_tEEE10hipError_tPvRmT1_PNSt15iterator_traitsISZ_E10value_typeET2_T3_PNS10_IS15_E10value_typeET4_jRbjT5_S1B_jjP12ihipStream_tbEUljE_EEESW_SX_SY_S15_S19_S1B_T6_T7_T9_mT8_S1D_bDpT10_ENKUlT_T0_E_clISt17integral_constantIbLb0EES1Q_EEDaS1L_S1M_EUlS1L_E_NS1_11comp_targetILNS1_3genE10ELNS1_11target_archE1200ELNS1_3gpuE4ELNS1_3repE0EEENS1_30default_config_static_selectorELNS0_4arch9wavefront6targetE0EEEvSZ_,"axG",@progbits,_ZN7rocprim17ROCPRIM_400000_NS6detail17trampoline_kernelINS0_13select_configILj256ELj13ELNS0_17block_load_methodE3ELS4_3ELS4_3ELNS0_20block_scan_algorithmE0ELj4294967295EEENS1_25partition_config_selectorILNS1_17partition_subalgoE3EjNS0_10empty_typeEbEEZZNS1_14partition_implILS8_3ELb0ES6_jNS0_17counting_iteratorIjlEEPS9_SE_NS0_5tupleIJPjSE_EEENSF_IJSE_SE_EEES9_SG_JZNS1_25segmented_radix_sort_implINS0_14default_configELb0EPK6__halfPSL_PKlPlN2at6native12_GLOBAL__N_18offset_tEEE10hipError_tPvRmT1_PNSt15iterator_traitsISZ_E10value_typeET2_T3_PNS10_IS15_E10value_typeET4_jRbjT5_S1B_jjP12ihipStream_tbEUljE_EEESW_SX_SY_S15_S19_S1B_T6_T7_T9_mT8_S1D_bDpT10_ENKUlT_T0_E_clISt17integral_constantIbLb0EES1Q_EEDaS1L_S1M_EUlS1L_E_NS1_11comp_targetILNS1_3genE10ELNS1_11target_archE1200ELNS1_3gpuE4ELNS1_3repE0EEENS1_30default_config_static_selectorELNS0_4arch9wavefront6targetE0EEEvSZ_,comdat
.Lfunc_end1815:
	.size	_ZN7rocprim17ROCPRIM_400000_NS6detail17trampoline_kernelINS0_13select_configILj256ELj13ELNS0_17block_load_methodE3ELS4_3ELS4_3ELNS0_20block_scan_algorithmE0ELj4294967295EEENS1_25partition_config_selectorILNS1_17partition_subalgoE3EjNS0_10empty_typeEbEEZZNS1_14partition_implILS8_3ELb0ES6_jNS0_17counting_iteratorIjlEEPS9_SE_NS0_5tupleIJPjSE_EEENSF_IJSE_SE_EEES9_SG_JZNS1_25segmented_radix_sort_implINS0_14default_configELb0EPK6__halfPSL_PKlPlN2at6native12_GLOBAL__N_18offset_tEEE10hipError_tPvRmT1_PNSt15iterator_traitsISZ_E10value_typeET2_T3_PNS10_IS15_E10value_typeET4_jRbjT5_S1B_jjP12ihipStream_tbEUljE_EEESW_SX_SY_S15_S19_S1B_T6_T7_T9_mT8_S1D_bDpT10_ENKUlT_T0_E_clISt17integral_constantIbLb0EES1Q_EEDaS1L_S1M_EUlS1L_E_NS1_11comp_targetILNS1_3genE10ELNS1_11target_archE1200ELNS1_3gpuE4ELNS1_3repE0EEENS1_30default_config_static_selectorELNS0_4arch9wavefront6targetE0EEEvSZ_, .Lfunc_end1815-_ZN7rocprim17ROCPRIM_400000_NS6detail17trampoline_kernelINS0_13select_configILj256ELj13ELNS0_17block_load_methodE3ELS4_3ELS4_3ELNS0_20block_scan_algorithmE0ELj4294967295EEENS1_25partition_config_selectorILNS1_17partition_subalgoE3EjNS0_10empty_typeEbEEZZNS1_14partition_implILS8_3ELb0ES6_jNS0_17counting_iteratorIjlEEPS9_SE_NS0_5tupleIJPjSE_EEENSF_IJSE_SE_EEES9_SG_JZNS1_25segmented_radix_sort_implINS0_14default_configELb0EPK6__halfPSL_PKlPlN2at6native12_GLOBAL__N_18offset_tEEE10hipError_tPvRmT1_PNSt15iterator_traitsISZ_E10value_typeET2_T3_PNS10_IS15_E10value_typeET4_jRbjT5_S1B_jjP12ihipStream_tbEUljE_EEESW_SX_SY_S15_S19_S1B_T6_T7_T9_mT8_S1D_bDpT10_ENKUlT_T0_E_clISt17integral_constantIbLb0EES1Q_EEDaS1L_S1M_EUlS1L_E_NS1_11comp_targetILNS1_3genE10ELNS1_11target_archE1200ELNS1_3gpuE4ELNS1_3repE0EEENS1_30default_config_static_selectorELNS0_4arch9wavefront6targetE0EEEvSZ_
                                        ; -- End function
	.set _ZN7rocprim17ROCPRIM_400000_NS6detail17trampoline_kernelINS0_13select_configILj256ELj13ELNS0_17block_load_methodE3ELS4_3ELS4_3ELNS0_20block_scan_algorithmE0ELj4294967295EEENS1_25partition_config_selectorILNS1_17partition_subalgoE3EjNS0_10empty_typeEbEEZZNS1_14partition_implILS8_3ELb0ES6_jNS0_17counting_iteratorIjlEEPS9_SE_NS0_5tupleIJPjSE_EEENSF_IJSE_SE_EEES9_SG_JZNS1_25segmented_radix_sort_implINS0_14default_configELb0EPK6__halfPSL_PKlPlN2at6native12_GLOBAL__N_18offset_tEEE10hipError_tPvRmT1_PNSt15iterator_traitsISZ_E10value_typeET2_T3_PNS10_IS15_E10value_typeET4_jRbjT5_S1B_jjP12ihipStream_tbEUljE_EEESW_SX_SY_S15_S19_S1B_T6_T7_T9_mT8_S1D_bDpT10_ENKUlT_T0_E_clISt17integral_constantIbLb0EES1Q_EEDaS1L_S1M_EUlS1L_E_NS1_11comp_targetILNS1_3genE10ELNS1_11target_archE1200ELNS1_3gpuE4ELNS1_3repE0EEENS1_30default_config_static_selectorELNS0_4arch9wavefront6targetE0EEEvSZ_.num_vgpr, 69
	.set _ZN7rocprim17ROCPRIM_400000_NS6detail17trampoline_kernelINS0_13select_configILj256ELj13ELNS0_17block_load_methodE3ELS4_3ELS4_3ELNS0_20block_scan_algorithmE0ELj4294967295EEENS1_25partition_config_selectorILNS1_17partition_subalgoE3EjNS0_10empty_typeEbEEZZNS1_14partition_implILS8_3ELb0ES6_jNS0_17counting_iteratorIjlEEPS9_SE_NS0_5tupleIJPjSE_EEENSF_IJSE_SE_EEES9_SG_JZNS1_25segmented_radix_sort_implINS0_14default_configELb0EPK6__halfPSL_PKlPlN2at6native12_GLOBAL__N_18offset_tEEE10hipError_tPvRmT1_PNSt15iterator_traitsISZ_E10value_typeET2_T3_PNS10_IS15_E10value_typeET4_jRbjT5_S1B_jjP12ihipStream_tbEUljE_EEESW_SX_SY_S15_S19_S1B_T6_T7_T9_mT8_S1D_bDpT10_ENKUlT_T0_E_clISt17integral_constantIbLb0EES1Q_EEDaS1L_S1M_EUlS1L_E_NS1_11comp_targetILNS1_3genE10ELNS1_11target_archE1200ELNS1_3gpuE4ELNS1_3repE0EEENS1_30default_config_static_selectorELNS0_4arch9wavefront6targetE0EEEvSZ_.num_agpr, 0
	.set _ZN7rocprim17ROCPRIM_400000_NS6detail17trampoline_kernelINS0_13select_configILj256ELj13ELNS0_17block_load_methodE3ELS4_3ELS4_3ELNS0_20block_scan_algorithmE0ELj4294967295EEENS1_25partition_config_selectorILNS1_17partition_subalgoE3EjNS0_10empty_typeEbEEZZNS1_14partition_implILS8_3ELb0ES6_jNS0_17counting_iteratorIjlEEPS9_SE_NS0_5tupleIJPjSE_EEENSF_IJSE_SE_EEES9_SG_JZNS1_25segmented_radix_sort_implINS0_14default_configELb0EPK6__halfPSL_PKlPlN2at6native12_GLOBAL__N_18offset_tEEE10hipError_tPvRmT1_PNSt15iterator_traitsISZ_E10value_typeET2_T3_PNS10_IS15_E10value_typeET4_jRbjT5_S1B_jjP12ihipStream_tbEUljE_EEESW_SX_SY_S15_S19_S1B_T6_T7_T9_mT8_S1D_bDpT10_ENKUlT_T0_E_clISt17integral_constantIbLb0EES1Q_EEDaS1L_S1M_EUlS1L_E_NS1_11comp_targetILNS1_3genE10ELNS1_11target_archE1200ELNS1_3gpuE4ELNS1_3repE0EEENS1_30default_config_static_selectorELNS0_4arch9wavefront6targetE0EEEvSZ_.numbered_sgpr, 26
	.set _ZN7rocprim17ROCPRIM_400000_NS6detail17trampoline_kernelINS0_13select_configILj256ELj13ELNS0_17block_load_methodE3ELS4_3ELS4_3ELNS0_20block_scan_algorithmE0ELj4294967295EEENS1_25partition_config_selectorILNS1_17partition_subalgoE3EjNS0_10empty_typeEbEEZZNS1_14partition_implILS8_3ELb0ES6_jNS0_17counting_iteratorIjlEEPS9_SE_NS0_5tupleIJPjSE_EEENSF_IJSE_SE_EEES9_SG_JZNS1_25segmented_radix_sort_implINS0_14default_configELb0EPK6__halfPSL_PKlPlN2at6native12_GLOBAL__N_18offset_tEEE10hipError_tPvRmT1_PNSt15iterator_traitsISZ_E10value_typeET2_T3_PNS10_IS15_E10value_typeET4_jRbjT5_S1B_jjP12ihipStream_tbEUljE_EEESW_SX_SY_S15_S19_S1B_T6_T7_T9_mT8_S1D_bDpT10_ENKUlT_T0_E_clISt17integral_constantIbLb0EES1Q_EEDaS1L_S1M_EUlS1L_E_NS1_11comp_targetILNS1_3genE10ELNS1_11target_archE1200ELNS1_3gpuE4ELNS1_3repE0EEENS1_30default_config_static_selectorELNS0_4arch9wavefront6targetE0EEEvSZ_.num_named_barrier, 0
	.set _ZN7rocprim17ROCPRIM_400000_NS6detail17trampoline_kernelINS0_13select_configILj256ELj13ELNS0_17block_load_methodE3ELS4_3ELS4_3ELNS0_20block_scan_algorithmE0ELj4294967295EEENS1_25partition_config_selectorILNS1_17partition_subalgoE3EjNS0_10empty_typeEbEEZZNS1_14partition_implILS8_3ELb0ES6_jNS0_17counting_iteratorIjlEEPS9_SE_NS0_5tupleIJPjSE_EEENSF_IJSE_SE_EEES9_SG_JZNS1_25segmented_radix_sort_implINS0_14default_configELb0EPK6__halfPSL_PKlPlN2at6native12_GLOBAL__N_18offset_tEEE10hipError_tPvRmT1_PNSt15iterator_traitsISZ_E10value_typeET2_T3_PNS10_IS15_E10value_typeET4_jRbjT5_S1B_jjP12ihipStream_tbEUljE_EEESW_SX_SY_S15_S19_S1B_T6_T7_T9_mT8_S1D_bDpT10_ENKUlT_T0_E_clISt17integral_constantIbLb0EES1Q_EEDaS1L_S1M_EUlS1L_E_NS1_11comp_targetILNS1_3genE10ELNS1_11target_archE1200ELNS1_3gpuE4ELNS1_3repE0EEENS1_30default_config_static_selectorELNS0_4arch9wavefront6targetE0EEEvSZ_.private_seg_size, 0
	.set _ZN7rocprim17ROCPRIM_400000_NS6detail17trampoline_kernelINS0_13select_configILj256ELj13ELNS0_17block_load_methodE3ELS4_3ELS4_3ELNS0_20block_scan_algorithmE0ELj4294967295EEENS1_25partition_config_selectorILNS1_17partition_subalgoE3EjNS0_10empty_typeEbEEZZNS1_14partition_implILS8_3ELb0ES6_jNS0_17counting_iteratorIjlEEPS9_SE_NS0_5tupleIJPjSE_EEENSF_IJSE_SE_EEES9_SG_JZNS1_25segmented_radix_sort_implINS0_14default_configELb0EPK6__halfPSL_PKlPlN2at6native12_GLOBAL__N_18offset_tEEE10hipError_tPvRmT1_PNSt15iterator_traitsISZ_E10value_typeET2_T3_PNS10_IS15_E10value_typeET4_jRbjT5_S1B_jjP12ihipStream_tbEUljE_EEESW_SX_SY_S15_S19_S1B_T6_T7_T9_mT8_S1D_bDpT10_ENKUlT_T0_E_clISt17integral_constantIbLb0EES1Q_EEDaS1L_S1M_EUlS1L_E_NS1_11comp_targetILNS1_3genE10ELNS1_11target_archE1200ELNS1_3gpuE4ELNS1_3repE0EEENS1_30default_config_static_selectorELNS0_4arch9wavefront6targetE0EEEvSZ_.uses_vcc, 1
	.set _ZN7rocprim17ROCPRIM_400000_NS6detail17trampoline_kernelINS0_13select_configILj256ELj13ELNS0_17block_load_methodE3ELS4_3ELS4_3ELNS0_20block_scan_algorithmE0ELj4294967295EEENS1_25partition_config_selectorILNS1_17partition_subalgoE3EjNS0_10empty_typeEbEEZZNS1_14partition_implILS8_3ELb0ES6_jNS0_17counting_iteratorIjlEEPS9_SE_NS0_5tupleIJPjSE_EEENSF_IJSE_SE_EEES9_SG_JZNS1_25segmented_radix_sort_implINS0_14default_configELb0EPK6__halfPSL_PKlPlN2at6native12_GLOBAL__N_18offset_tEEE10hipError_tPvRmT1_PNSt15iterator_traitsISZ_E10value_typeET2_T3_PNS10_IS15_E10value_typeET4_jRbjT5_S1B_jjP12ihipStream_tbEUljE_EEESW_SX_SY_S15_S19_S1B_T6_T7_T9_mT8_S1D_bDpT10_ENKUlT_T0_E_clISt17integral_constantIbLb0EES1Q_EEDaS1L_S1M_EUlS1L_E_NS1_11comp_targetILNS1_3genE10ELNS1_11target_archE1200ELNS1_3gpuE4ELNS1_3repE0EEENS1_30default_config_static_selectorELNS0_4arch9wavefront6targetE0EEEvSZ_.uses_flat_scratch, 0
	.set _ZN7rocprim17ROCPRIM_400000_NS6detail17trampoline_kernelINS0_13select_configILj256ELj13ELNS0_17block_load_methodE3ELS4_3ELS4_3ELNS0_20block_scan_algorithmE0ELj4294967295EEENS1_25partition_config_selectorILNS1_17partition_subalgoE3EjNS0_10empty_typeEbEEZZNS1_14partition_implILS8_3ELb0ES6_jNS0_17counting_iteratorIjlEEPS9_SE_NS0_5tupleIJPjSE_EEENSF_IJSE_SE_EEES9_SG_JZNS1_25segmented_radix_sort_implINS0_14default_configELb0EPK6__halfPSL_PKlPlN2at6native12_GLOBAL__N_18offset_tEEE10hipError_tPvRmT1_PNSt15iterator_traitsISZ_E10value_typeET2_T3_PNS10_IS15_E10value_typeET4_jRbjT5_S1B_jjP12ihipStream_tbEUljE_EEESW_SX_SY_S15_S19_S1B_T6_T7_T9_mT8_S1D_bDpT10_ENKUlT_T0_E_clISt17integral_constantIbLb0EES1Q_EEDaS1L_S1M_EUlS1L_E_NS1_11comp_targetILNS1_3genE10ELNS1_11target_archE1200ELNS1_3gpuE4ELNS1_3repE0EEENS1_30default_config_static_selectorELNS0_4arch9wavefront6targetE0EEEvSZ_.has_dyn_sized_stack, 0
	.set _ZN7rocprim17ROCPRIM_400000_NS6detail17trampoline_kernelINS0_13select_configILj256ELj13ELNS0_17block_load_methodE3ELS4_3ELS4_3ELNS0_20block_scan_algorithmE0ELj4294967295EEENS1_25partition_config_selectorILNS1_17partition_subalgoE3EjNS0_10empty_typeEbEEZZNS1_14partition_implILS8_3ELb0ES6_jNS0_17counting_iteratorIjlEEPS9_SE_NS0_5tupleIJPjSE_EEENSF_IJSE_SE_EEES9_SG_JZNS1_25segmented_radix_sort_implINS0_14default_configELb0EPK6__halfPSL_PKlPlN2at6native12_GLOBAL__N_18offset_tEEE10hipError_tPvRmT1_PNSt15iterator_traitsISZ_E10value_typeET2_T3_PNS10_IS15_E10value_typeET4_jRbjT5_S1B_jjP12ihipStream_tbEUljE_EEESW_SX_SY_S15_S19_S1B_T6_T7_T9_mT8_S1D_bDpT10_ENKUlT_T0_E_clISt17integral_constantIbLb0EES1Q_EEDaS1L_S1M_EUlS1L_E_NS1_11comp_targetILNS1_3genE10ELNS1_11target_archE1200ELNS1_3gpuE4ELNS1_3repE0EEENS1_30default_config_static_selectorELNS0_4arch9wavefront6targetE0EEEvSZ_.has_recursion, 0
	.set _ZN7rocprim17ROCPRIM_400000_NS6detail17trampoline_kernelINS0_13select_configILj256ELj13ELNS0_17block_load_methodE3ELS4_3ELS4_3ELNS0_20block_scan_algorithmE0ELj4294967295EEENS1_25partition_config_selectorILNS1_17partition_subalgoE3EjNS0_10empty_typeEbEEZZNS1_14partition_implILS8_3ELb0ES6_jNS0_17counting_iteratorIjlEEPS9_SE_NS0_5tupleIJPjSE_EEENSF_IJSE_SE_EEES9_SG_JZNS1_25segmented_radix_sort_implINS0_14default_configELb0EPK6__halfPSL_PKlPlN2at6native12_GLOBAL__N_18offset_tEEE10hipError_tPvRmT1_PNSt15iterator_traitsISZ_E10value_typeET2_T3_PNS10_IS15_E10value_typeET4_jRbjT5_S1B_jjP12ihipStream_tbEUljE_EEESW_SX_SY_S15_S19_S1B_T6_T7_T9_mT8_S1D_bDpT10_ENKUlT_T0_E_clISt17integral_constantIbLb0EES1Q_EEDaS1L_S1M_EUlS1L_E_NS1_11comp_targetILNS1_3genE10ELNS1_11target_archE1200ELNS1_3gpuE4ELNS1_3repE0EEENS1_30default_config_static_selectorELNS0_4arch9wavefront6targetE0EEEvSZ_.has_indirect_call, 0
	.section	.AMDGPU.csdata,"",@progbits
; Kernel info:
; codeLenInByte = 10676
; TotalNumSgprs: 28
; NumVgprs: 69
; ScratchSize: 0
; MemoryBound: 0
; FloatMode: 240
; IeeeMode: 1
; LDSByteSize: 13320 bytes/workgroup (compile time only)
; SGPRBlocks: 0
; VGPRBlocks: 8
; NumSGPRsForWavesPerEU: 28
; NumVGPRsForWavesPerEU: 69
; Occupancy: 16
; WaveLimiterHint : 0
; COMPUTE_PGM_RSRC2:SCRATCH_EN: 0
; COMPUTE_PGM_RSRC2:USER_SGPR: 2
; COMPUTE_PGM_RSRC2:TRAP_HANDLER: 0
; COMPUTE_PGM_RSRC2:TGID_X_EN: 1
; COMPUTE_PGM_RSRC2:TGID_Y_EN: 0
; COMPUTE_PGM_RSRC2:TGID_Z_EN: 0
; COMPUTE_PGM_RSRC2:TIDIG_COMP_CNT: 0
	.section	.text._ZN7rocprim17ROCPRIM_400000_NS6detail17trampoline_kernelINS0_13select_configILj256ELj13ELNS0_17block_load_methodE3ELS4_3ELS4_3ELNS0_20block_scan_algorithmE0ELj4294967295EEENS1_25partition_config_selectorILNS1_17partition_subalgoE3EjNS0_10empty_typeEbEEZZNS1_14partition_implILS8_3ELb0ES6_jNS0_17counting_iteratorIjlEEPS9_SE_NS0_5tupleIJPjSE_EEENSF_IJSE_SE_EEES9_SG_JZNS1_25segmented_radix_sort_implINS0_14default_configELb0EPK6__halfPSL_PKlPlN2at6native12_GLOBAL__N_18offset_tEEE10hipError_tPvRmT1_PNSt15iterator_traitsISZ_E10value_typeET2_T3_PNS10_IS15_E10value_typeET4_jRbjT5_S1B_jjP12ihipStream_tbEUljE_EEESW_SX_SY_S15_S19_S1B_T6_T7_T9_mT8_S1D_bDpT10_ENKUlT_T0_E_clISt17integral_constantIbLb0EES1Q_EEDaS1L_S1M_EUlS1L_E_NS1_11comp_targetILNS1_3genE9ELNS1_11target_archE1100ELNS1_3gpuE3ELNS1_3repE0EEENS1_30default_config_static_selectorELNS0_4arch9wavefront6targetE0EEEvSZ_,"axG",@progbits,_ZN7rocprim17ROCPRIM_400000_NS6detail17trampoline_kernelINS0_13select_configILj256ELj13ELNS0_17block_load_methodE3ELS4_3ELS4_3ELNS0_20block_scan_algorithmE0ELj4294967295EEENS1_25partition_config_selectorILNS1_17partition_subalgoE3EjNS0_10empty_typeEbEEZZNS1_14partition_implILS8_3ELb0ES6_jNS0_17counting_iteratorIjlEEPS9_SE_NS0_5tupleIJPjSE_EEENSF_IJSE_SE_EEES9_SG_JZNS1_25segmented_radix_sort_implINS0_14default_configELb0EPK6__halfPSL_PKlPlN2at6native12_GLOBAL__N_18offset_tEEE10hipError_tPvRmT1_PNSt15iterator_traitsISZ_E10value_typeET2_T3_PNS10_IS15_E10value_typeET4_jRbjT5_S1B_jjP12ihipStream_tbEUljE_EEESW_SX_SY_S15_S19_S1B_T6_T7_T9_mT8_S1D_bDpT10_ENKUlT_T0_E_clISt17integral_constantIbLb0EES1Q_EEDaS1L_S1M_EUlS1L_E_NS1_11comp_targetILNS1_3genE9ELNS1_11target_archE1100ELNS1_3gpuE3ELNS1_3repE0EEENS1_30default_config_static_selectorELNS0_4arch9wavefront6targetE0EEEvSZ_,comdat
	.globl	_ZN7rocprim17ROCPRIM_400000_NS6detail17trampoline_kernelINS0_13select_configILj256ELj13ELNS0_17block_load_methodE3ELS4_3ELS4_3ELNS0_20block_scan_algorithmE0ELj4294967295EEENS1_25partition_config_selectorILNS1_17partition_subalgoE3EjNS0_10empty_typeEbEEZZNS1_14partition_implILS8_3ELb0ES6_jNS0_17counting_iteratorIjlEEPS9_SE_NS0_5tupleIJPjSE_EEENSF_IJSE_SE_EEES9_SG_JZNS1_25segmented_radix_sort_implINS0_14default_configELb0EPK6__halfPSL_PKlPlN2at6native12_GLOBAL__N_18offset_tEEE10hipError_tPvRmT1_PNSt15iterator_traitsISZ_E10value_typeET2_T3_PNS10_IS15_E10value_typeET4_jRbjT5_S1B_jjP12ihipStream_tbEUljE_EEESW_SX_SY_S15_S19_S1B_T6_T7_T9_mT8_S1D_bDpT10_ENKUlT_T0_E_clISt17integral_constantIbLb0EES1Q_EEDaS1L_S1M_EUlS1L_E_NS1_11comp_targetILNS1_3genE9ELNS1_11target_archE1100ELNS1_3gpuE3ELNS1_3repE0EEENS1_30default_config_static_selectorELNS0_4arch9wavefront6targetE0EEEvSZ_ ; -- Begin function _ZN7rocprim17ROCPRIM_400000_NS6detail17trampoline_kernelINS0_13select_configILj256ELj13ELNS0_17block_load_methodE3ELS4_3ELS4_3ELNS0_20block_scan_algorithmE0ELj4294967295EEENS1_25partition_config_selectorILNS1_17partition_subalgoE3EjNS0_10empty_typeEbEEZZNS1_14partition_implILS8_3ELb0ES6_jNS0_17counting_iteratorIjlEEPS9_SE_NS0_5tupleIJPjSE_EEENSF_IJSE_SE_EEES9_SG_JZNS1_25segmented_radix_sort_implINS0_14default_configELb0EPK6__halfPSL_PKlPlN2at6native12_GLOBAL__N_18offset_tEEE10hipError_tPvRmT1_PNSt15iterator_traitsISZ_E10value_typeET2_T3_PNS10_IS15_E10value_typeET4_jRbjT5_S1B_jjP12ihipStream_tbEUljE_EEESW_SX_SY_S15_S19_S1B_T6_T7_T9_mT8_S1D_bDpT10_ENKUlT_T0_E_clISt17integral_constantIbLb0EES1Q_EEDaS1L_S1M_EUlS1L_E_NS1_11comp_targetILNS1_3genE9ELNS1_11target_archE1100ELNS1_3gpuE3ELNS1_3repE0EEENS1_30default_config_static_selectorELNS0_4arch9wavefront6targetE0EEEvSZ_
	.p2align	8
	.type	_ZN7rocprim17ROCPRIM_400000_NS6detail17trampoline_kernelINS0_13select_configILj256ELj13ELNS0_17block_load_methodE3ELS4_3ELS4_3ELNS0_20block_scan_algorithmE0ELj4294967295EEENS1_25partition_config_selectorILNS1_17partition_subalgoE3EjNS0_10empty_typeEbEEZZNS1_14partition_implILS8_3ELb0ES6_jNS0_17counting_iteratorIjlEEPS9_SE_NS0_5tupleIJPjSE_EEENSF_IJSE_SE_EEES9_SG_JZNS1_25segmented_radix_sort_implINS0_14default_configELb0EPK6__halfPSL_PKlPlN2at6native12_GLOBAL__N_18offset_tEEE10hipError_tPvRmT1_PNSt15iterator_traitsISZ_E10value_typeET2_T3_PNS10_IS15_E10value_typeET4_jRbjT5_S1B_jjP12ihipStream_tbEUljE_EEESW_SX_SY_S15_S19_S1B_T6_T7_T9_mT8_S1D_bDpT10_ENKUlT_T0_E_clISt17integral_constantIbLb0EES1Q_EEDaS1L_S1M_EUlS1L_E_NS1_11comp_targetILNS1_3genE9ELNS1_11target_archE1100ELNS1_3gpuE3ELNS1_3repE0EEENS1_30default_config_static_selectorELNS0_4arch9wavefront6targetE0EEEvSZ_,@function
_ZN7rocprim17ROCPRIM_400000_NS6detail17trampoline_kernelINS0_13select_configILj256ELj13ELNS0_17block_load_methodE3ELS4_3ELS4_3ELNS0_20block_scan_algorithmE0ELj4294967295EEENS1_25partition_config_selectorILNS1_17partition_subalgoE3EjNS0_10empty_typeEbEEZZNS1_14partition_implILS8_3ELb0ES6_jNS0_17counting_iteratorIjlEEPS9_SE_NS0_5tupleIJPjSE_EEENSF_IJSE_SE_EEES9_SG_JZNS1_25segmented_radix_sort_implINS0_14default_configELb0EPK6__halfPSL_PKlPlN2at6native12_GLOBAL__N_18offset_tEEE10hipError_tPvRmT1_PNSt15iterator_traitsISZ_E10value_typeET2_T3_PNS10_IS15_E10value_typeET4_jRbjT5_S1B_jjP12ihipStream_tbEUljE_EEESW_SX_SY_S15_S19_S1B_T6_T7_T9_mT8_S1D_bDpT10_ENKUlT_T0_E_clISt17integral_constantIbLb0EES1Q_EEDaS1L_S1M_EUlS1L_E_NS1_11comp_targetILNS1_3genE9ELNS1_11target_archE1100ELNS1_3gpuE3ELNS1_3repE0EEENS1_30default_config_static_selectorELNS0_4arch9wavefront6targetE0EEEvSZ_: ; @_ZN7rocprim17ROCPRIM_400000_NS6detail17trampoline_kernelINS0_13select_configILj256ELj13ELNS0_17block_load_methodE3ELS4_3ELS4_3ELNS0_20block_scan_algorithmE0ELj4294967295EEENS1_25partition_config_selectorILNS1_17partition_subalgoE3EjNS0_10empty_typeEbEEZZNS1_14partition_implILS8_3ELb0ES6_jNS0_17counting_iteratorIjlEEPS9_SE_NS0_5tupleIJPjSE_EEENSF_IJSE_SE_EEES9_SG_JZNS1_25segmented_radix_sort_implINS0_14default_configELb0EPK6__halfPSL_PKlPlN2at6native12_GLOBAL__N_18offset_tEEE10hipError_tPvRmT1_PNSt15iterator_traitsISZ_E10value_typeET2_T3_PNS10_IS15_E10value_typeET4_jRbjT5_S1B_jjP12ihipStream_tbEUljE_EEESW_SX_SY_S15_S19_S1B_T6_T7_T9_mT8_S1D_bDpT10_ENKUlT_T0_E_clISt17integral_constantIbLb0EES1Q_EEDaS1L_S1M_EUlS1L_E_NS1_11comp_targetILNS1_3genE9ELNS1_11target_archE1100ELNS1_3gpuE3ELNS1_3repE0EEENS1_30default_config_static_selectorELNS0_4arch9wavefront6targetE0EEEvSZ_
; %bb.0:
	.section	.rodata,"a",@progbits
	.p2align	6, 0x0
	.amdhsa_kernel _ZN7rocprim17ROCPRIM_400000_NS6detail17trampoline_kernelINS0_13select_configILj256ELj13ELNS0_17block_load_methodE3ELS4_3ELS4_3ELNS0_20block_scan_algorithmE0ELj4294967295EEENS1_25partition_config_selectorILNS1_17partition_subalgoE3EjNS0_10empty_typeEbEEZZNS1_14partition_implILS8_3ELb0ES6_jNS0_17counting_iteratorIjlEEPS9_SE_NS0_5tupleIJPjSE_EEENSF_IJSE_SE_EEES9_SG_JZNS1_25segmented_radix_sort_implINS0_14default_configELb0EPK6__halfPSL_PKlPlN2at6native12_GLOBAL__N_18offset_tEEE10hipError_tPvRmT1_PNSt15iterator_traitsISZ_E10value_typeET2_T3_PNS10_IS15_E10value_typeET4_jRbjT5_S1B_jjP12ihipStream_tbEUljE_EEESW_SX_SY_S15_S19_S1B_T6_T7_T9_mT8_S1D_bDpT10_ENKUlT_T0_E_clISt17integral_constantIbLb0EES1Q_EEDaS1L_S1M_EUlS1L_E_NS1_11comp_targetILNS1_3genE9ELNS1_11target_archE1100ELNS1_3gpuE3ELNS1_3repE0EEENS1_30default_config_static_selectorELNS0_4arch9wavefront6targetE0EEEvSZ_
		.amdhsa_group_segment_fixed_size 0
		.amdhsa_private_segment_fixed_size 0
		.amdhsa_kernarg_size 144
		.amdhsa_user_sgpr_count 2
		.amdhsa_user_sgpr_dispatch_ptr 0
		.amdhsa_user_sgpr_queue_ptr 0
		.amdhsa_user_sgpr_kernarg_segment_ptr 1
		.amdhsa_user_sgpr_dispatch_id 0
		.amdhsa_user_sgpr_private_segment_size 0
		.amdhsa_wavefront_size32 1
		.amdhsa_uses_dynamic_stack 0
		.amdhsa_enable_private_segment 0
		.amdhsa_system_sgpr_workgroup_id_x 1
		.amdhsa_system_sgpr_workgroup_id_y 0
		.amdhsa_system_sgpr_workgroup_id_z 0
		.amdhsa_system_sgpr_workgroup_info 0
		.amdhsa_system_vgpr_workitem_id 0
		.amdhsa_next_free_vgpr 1
		.amdhsa_next_free_sgpr 1
		.amdhsa_reserve_vcc 0
		.amdhsa_float_round_mode_32 0
		.amdhsa_float_round_mode_16_64 0
		.amdhsa_float_denorm_mode_32 3
		.amdhsa_float_denorm_mode_16_64 3
		.amdhsa_fp16_overflow 0
		.amdhsa_workgroup_processor_mode 1
		.amdhsa_memory_ordered 1
		.amdhsa_forward_progress 1
		.amdhsa_inst_pref_size 0
		.amdhsa_round_robin_scheduling 0
		.amdhsa_exception_fp_ieee_invalid_op 0
		.amdhsa_exception_fp_denorm_src 0
		.amdhsa_exception_fp_ieee_div_zero 0
		.amdhsa_exception_fp_ieee_overflow 0
		.amdhsa_exception_fp_ieee_underflow 0
		.amdhsa_exception_fp_ieee_inexact 0
		.amdhsa_exception_int_div_zero 0
	.end_amdhsa_kernel
	.section	.text._ZN7rocprim17ROCPRIM_400000_NS6detail17trampoline_kernelINS0_13select_configILj256ELj13ELNS0_17block_load_methodE3ELS4_3ELS4_3ELNS0_20block_scan_algorithmE0ELj4294967295EEENS1_25partition_config_selectorILNS1_17partition_subalgoE3EjNS0_10empty_typeEbEEZZNS1_14partition_implILS8_3ELb0ES6_jNS0_17counting_iteratorIjlEEPS9_SE_NS0_5tupleIJPjSE_EEENSF_IJSE_SE_EEES9_SG_JZNS1_25segmented_radix_sort_implINS0_14default_configELb0EPK6__halfPSL_PKlPlN2at6native12_GLOBAL__N_18offset_tEEE10hipError_tPvRmT1_PNSt15iterator_traitsISZ_E10value_typeET2_T3_PNS10_IS15_E10value_typeET4_jRbjT5_S1B_jjP12ihipStream_tbEUljE_EEESW_SX_SY_S15_S19_S1B_T6_T7_T9_mT8_S1D_bDpT10_ENKUlT_T0_E_clISt17integral_constantIbLb0EES1Q_EEDaS1L_S1M_EUlS1L_E_NS1_11comp_targetILNS1_3genE9ELNS1_11target_archE1100ELNS1_3gpuE3ELNS1_3repE0EEENS1_30default_config_static_selectorELNS0_4arch9wavefront6targetE0EEEvSZ_,"axG",@progbits,_ZN7rocprim17ROCPRIM_400000_NS6detail17trampoline_kernelINS0_13select_configILj256ELj13ELNS0_17block_load_methodE3ELS4_3ELS4_3ELNS0_20block_scan_algorithmE0ELj4294967295EEENS1_25partition_config_selectorILNS1_17partition_subalgoE3EjNS0_10empty_typeEbEEZZNS1_14partition_implILS8_3ELb0ES6_jNS0_17counting_iteratorIjlEEPS9_SE_NS0_5tupleIJPjSE_EEENSF_IJSE_SE_EEES9_SG_JZNS1_25segmented_radix_sort_implINS0_14default_configELb0EPK6__halfPSL_PKlPlN2at6native12_GLOBAL__N_18offset_tEEE10hipError_tPvRmT1_PNSt15iterator_traitsISZ_E10value_typeET2_T3_PNS10_IS15_E10value_typeET4_jRbjT5_S1B_jjP12ihipStream_tbEUljE_EEESW_SX_SY_S15_S19_S1B_T6_T7_T9_mT8_S1D_bDpT10_ENKUlT_T0_E_clISt17integral_constantIbLb0EES1Q_EEDaS1L_S1M_EUlS1L_E_NS1_11comp_targetILNS1_3genE9ELNS1_11target_archE1100ELNS1_3gpuE3ELNS1_3repE0EEENS1_30default_config_static_selectorELNS0_4arch9wavefront6targetE0EEEvSZ_,comdat
.Lfunc_end1816:
	.size	_ZN7rocprim17ROCPRIM_400000_NS6detail17trampoline_kernelINS0_13select_configILj256ELj13ELNS0_17block_load_methodE3ELS4_3ELS4_3ELNS0_20block_scan_algorithmE0ELj4294967295EEENS1_25partition_config_selectorILNS1_17partition_subalgoE3EjNS0_10empty_typeEbEEZZNS1_14partition_implILS8_3ELb0ES6_jNS0_17counting_iteratorIjlEEPS9_SE_NS0_5tupleIJPjSE_EEENSF_IJSE_SE_EEES9_SG_JZNS1_25segmented_radix_sort_implINS0_14default_configELb0EPK6__halfPSL_PKlPlN2at6native12_GLOBAL__N_18offset_tEEE10hipError_tPvRmT1_PNSt15iterator_traitsISZ_E10value_typeET2_T3_PNS10_IS15_E10value_typeET4_jRbjT5_S1B_jjP12ihipStream_tbEUljE_EEESW_SX_SY_S15_S19_S1B_T6_T7_T9_mT8_S1D_bDpT10_ENKUlT_T0_E_clISt17integral_constantIbLb0EES1Q_EEDaS1L_S1M_EUlS1L_E_NS1_11comp_targetILNS1_3genE9ELNS1_11target_archE1100ELNS1_3gpuE3ELNS1_3repE0EEENS1_30default_config_static_selectorELNS0_4arch9wavefront6targetE0EEEvSZ_, .Lfunc_end1816-_ZN7rocprim17ROCPRIM_400000_NS6detail17trampoline_kernelINS0_13select_configILj256ELj13ELNS0_17block_load_methodE3ELS4_3ELS4_3ELNS0_20block_scan_algorithmE0ELj4294967295EEENS1_25partition_config_selectorILNS1_17partition_subalgoE3EjNS0_10empty_typeEbEEZZNS1_14partition_implILS8_3ELb0ES6_jNS0_17counting_iteratorIjlEEPS9_SE_NS0_5tupleIJPjSE_EEENSF_IJSE_SE_EEES9_SG_JZNS1_25segmented_radix_sort_implINS0_14default_configELb0EPK6__halfPSL_PKlPlN2at6native12_GLOBAL__N_18offset_tEEE10hipError_tPvRmT1_PNSt15iterator_traitsISZ_E10value_typeET2_T3_PNS10_IS15_E10value_typeET4_jRbjT5_S1B_jjP12ihipStream_tbEUljE_EEESW_SX_SY_S15_S19_S1B_T6_T7_T9_mT8_S1D_bDpT10_ENKUlT_T0_E_clISt17integral_constantIbLb0EES1Q_EEDaS1L_S1M_EUlS1L_E_NS1_11comp_targetILNS1_3genE9ELNS1_11target_archE1100ELNS1_3gpuE3ELNS1_3repE0EEENS1_30default_config_static_selectorELNS0_4arch9wavefront6targetE0EEEvSZ_
                                        ; -- End function
	.set _ZN7rocprim17ROCPRIM_400000_NS6detail17trampoline_kernelINS0_13select_configILj256ELj13ELNS0_17block_load_methodE3ELS4_3ELS4_3ELNS0_20block_scan_algorithmE0ELj4294967295EEENS1_25partition_config_selectorILNS1_17partition_subalgoE3EjNS0_10empty_typeEbEEZZNS1_14partition_implILS8_3ELb0ES6_jNS0_17counting_iteratorIjlEEPS9_SE_NS0_5tupleIJPjSE_EEENSF_IJSE_SE_EEES9_SG_JZNS1_25segmented_radix_sort_implINS0_14default_configELb0EPK6__halfPSL_PKlPlN2at6native12_GLOBAL__N_18offset_tEEE10hipError_tPvRmT1_PNSt15iterator_traitsISZ_E10value_typeET2_T3_PNS10_IS15_E10value_typeET4_jRbjT5_S1B_jjP12ihipStream_tbEUljE_EEESW_SX_SY_S15_S19_S1B_T6_T7_T9_mT8_S1D_bDpT10_ENKUlT_T0_E_clISt17integral_constantIbLb0EES1Q_EEDaS1L_S1M_EUlS1L_E_NS1_11comp_targetILNS1_3genE9ELNS1_11target_archE1100ELNS1_3gpuE3ELNS1_3repE0EEENS1_30default_config_static_selectorELNS0_4arch9wavefront6targetE0EEEvSZ_.num_vgpr, 0
	.set _ZN7rocprim17ROCPRIM_400000_NS6detail17trampoline_kernelINS0_13select_configILj256ELj13ELNS0_17block_load_methodE3ELS4_3ELS4_3ELNS0_20block_scan_algorithmE0ELj4294967295EEENS1_25partition_config_selectorILNS1_17partition_subalgoE3EjNS0_10empty_typeEbEEZZNS1_14partition_implILS8_3ELb0ES6_jNS0_17counting_iteratorIjlEEPS9_SE_NS0_5tupleIJPjSE_EEENSF_IJSE_SE_EEES9_SG_JZNS1_25segmented_radix_sort_implINS0_14default_configELb0EPK6__halfPSL_PKlPlN2at6native12_GLOBAL__N_18offset_tEEE10hipError_tPvRmT1_PNSt15iterator_traitsISZ_E10value_typeET2_T3_PNS10_IS15_E10value_typeET4_jRbjT5_S1B_jjP12ihipStream_tbEUljE_EEESW_SX_SY_S15_S19_S1B_T6_T7_T9_mT8_S1D_bDpT10_ENKUlT_T0_E_clISt17integral_constantIbLb0EES1Q_EEDaS1L_S1M_EUlS1L_E_NS1_11comp_targetILNS1_3genE9ELNS1_11target_archE1100ELNS1_3gpuE3ELNS1_3repE0EEENS1_30default_config_static_selectorELNS0_4arch9wavefront6targetE0EEEvSZ_.num_agpr, 0
	.set _ZN7rocprim17ROCPRIM_400000_NS6detail17trampoline_kernelINS0_13select_configILj256ELj13ELNS0_17block_load_methodE3ELS4_3ELS4_3ELNS0_20block_scan_algorithmE0ELj4294967295EEENS1_25partition_config_selectorILNS1_17partition_subalgoE3EjNS0_10empty_typeEbEEZZNS1_14partition_implILS8_3ELb0ES6_jNS0_17counting_iteratorIjlEEPS9_SE_NS0_5tupleIJPjSE_EEENSF_IJSE_SE_EEES9_SG_JZNS1_25segmented_radix_sort_implINS0_14default_configELb0EPK6__halfPSL_PKlPlN2at6native12_GLOBAL__N_18offset_tEEE10hipError_tPvRmT1_PNSt15iterator_traitsISZ_E10value_typeET2_T3_PNS10_IS15_E10value_typeET4_jRbjT5_S1B_jjP12ihipStream_tbEUljE_EEESW_SX_SY_S15_S19_S1B_T6_T7_T9_mT8_S1D_bDpT10_ENKUlT_T0_E_clISt17integral_constantIbLb0EES1Q_EEDaS1L_S1M_EUlS1L_E_NS1_11comp_targetILNS1_3genE9ELNS1_11target_archE1100ELNS1_3gpuE3ELNS1_3repE0EEENS1_30default_config_static_selectorELNS0_4arch9wavefront6targetE0EEEvSZ_.numbered_sgpr, 0
	.set _ZN7rocprim17ROCPRIM_400000_NS6detail17trampoline_kernelINS0_13select_configILj256ELj13ELNS0_17block_load_methodE3ELS4_3ELS4_3ELNS0_20block_scan_algorithmE0ELj4294967295EEENS1_25partition_config_selectorILNS1_17partition_subalgoE3EjNS0_10empty_typeEbEEZZNS1_14partition_implILS8_3ELb0ES6_jNS0_17counting_iteratorIjlEEPS9_SE_NS0_5tupleIJPjSE_EEENSF_IJSE_SE_EEES9_SG_JZNS1_25segmented_radix_sort_implINS0_14default_configELb0EPK6__halfPSL_PKlPlN2at6native12_GLOBAL__N_18offset_tEEE10hipError_tPvRmT1_PNSt15iterator_traitsISZ_E10value_typeET2_T3_PNS10_IS15_E10value_typeET4_jRbjT5_S1B_jjP12ihipStream_tbEUljE_EEESW_SX_SY_S15_S19_S1B_T6_T7_T9_mT8_S1D_bDpT10_ENKUlT_T0_E_clISt17integral_constantIbLb0EES1Q_EEDaS1L_S1M_EUlS1L_E_NS1_11comp_targetILNS1_3genE9ELNS1_11target_archE1100ELNS1_3gpuE3ELNS1_3repE0EEENS1_30default_config_static_selectorELNS0_4arch9wavefront6targetE0EEEvSZ_.num_named_barrier, 0
	.set _ZN7rocprim17ROCPRIM_400000_NS6detail17trampoline_kernelINS0_13select_configILj256ELj13ELNS0_17block_load_methodE3ELS4_3ELS4_3ELNS0_20block_scan_algorithmE0ELj4294967295EEENS1_25partition_config_selectorILNS1_17partition_subalgoE3EjNS0_10empty_typeEbEEZZNS1_14partition_implILS8_3ELb0ES6_jNS0_17counting_iteratorIjlEEPS9_SE_NS0_5tupleIJPjSE_EEENSF_IJSE_SE_EEES9_SG_JZNS1_25segmented_radix_sort_implINS0_14default_configELb0EPK6__halfPSL_PKlPlN2at6native12_GLOBAL__N_18offset_tEEE10hipError_tPvRmT1_PNSt15iterator_traitsISZ_E10value_typeET2_T3_PNS10_IS15_E10value_typeET4_jRbjT5_S1B_jjP12ihipStream_tbEUljE_EEESW_SX_SY_S15_S19_S1B_T6_T7_T9_mT8_S1D_bDpT10_ENKUlT_T0_E_clISt17integral_constantIbLb0EES1Q_EEDaS1L_S1M_EUlS1L_E_NS1_11comp_targetILNS1_3genE9ELNS1_11target_archE1100ELNS1_3gpuE3ELNS1_3repE0EEENS1_30default_config_static_selectorELNS0_4arch9wavefront6targetE0EEEvSZ_.private_seg_size, 0
	.set _ZN7rocprim17ROCPRIM_400000_NS6detail17trampoline_kernelINS0_13select_configILj256ELj13ELNS0_17block_load_methodE3ELS4_3ELS4_3ELNS0_20block_scan_algorithmE0ELj4294967295EEENS1_25partition_config_selectorILNS1_17partition_subalgoE3EjNS0_10empty_typeEbEEZZNS1_14partition_implILS8_3ELb0ES6_jNS0_17counting_iteratorIjlEEPS9_SE_NS0_5tupleIJPjSE_EEENSF_IJSE_SE_EEES9_SG_JZNS1_25segmented_radix_sort_implINS0_14default_configELb0EPK6__halfPSL_PKlPlN2at6native12_GLOBAL__N_18offset_tEEE10hipError_tPvRmT1_PNSt15iterator_traitsISZ_E10value_typeET2_T3_PNS10_IS15_E10value_typeET4_jRbjT5_S1B_jjP12ihipStream_tbEUljE_EEESW_SX_SY_S15_S19_S1B_T6_T7_T9_mT8_S1D_bDpT10_ENKUlT_T0_E_clISt17integral_constantIbLb0EES1Q_EEDaS1L_S1M_EUlS1L_E_NS1_11comp_targetILNS1_3genE9ELNS1_11target_archE1100ELNS1_3gpuE3ELNS1_3repE0EEENS1_30default_config_static_selectorELNS0_4arch9wavefront6targetE0EEEvSZ_.uses_vcc, 0
	.set _ZN7rocprim17ROCPRIM_400000_NS6detail17trampoline_kernelINS0_13select_configILj256ELj13ELNS0_17block_load_methodE3ELS4_3ELS4_3ELNS0_20block_scan_algorithmE0ELj4294967295EEENS1_25partition_config_selectorILNS1_17partition_subalgoE3EjNS0_10empty_typeEbEEZZNS1_14partition_implILS8_3ELb0ES6_jNS0_17counting_iteratorIjlEEPS9_SE_NS0_5tupleIJPjSE_EEENSF_IJSE_SE_EEES9_SG_JZNS1_25segmented_radix_sort_implINS0_14default_configELb0EPK6__halfPSL_PKlPlN2at6native12_GLOBAL__N_18offset_tEEE10hipError_tPvRmT1_PNSt15iterator_traitsISZ_E10value_typeET2_T3_PNS10_IS15_E10value_typeET4_jRbjT5_S1B_jjP12ihipStream_tbEUljE_EEESW_SX_SY_S15_S19_S1B_T6_T7_T9_mT8_S1D_bDpT10_ENKUlT_T0_E_clISt17integral_constantIbLb0EES1Q_EEDaS1L_S1M_EUlS1L_E_NS1_11comp_targetILNS1_3genE9ELNS1_11target_archE1100ELNS1_3gpuE3ELNS1_3repE0EEENS1_30default_config_static_selectorELNS0_4arch9wavefront6targetE0EEEvSZ_.uses_flat_scratch, 0
	.set _ZN7rocprim17ROCPRIM_400000_NS6detail17trampoline_kernelINS0_13select_configILj256ELj13ELNS0_17block_load_methodE3ELS4_3ELS4_3ELNS0_20block_scan_algorithmE0ELj4294967295EEENS1_25partition_config_selectorILNS1_17partition_subalgoE3EjNS0_10empty_typeEbEEZZNS1_14partition_implILS8_3ELb0ES6_jNS0_17counting_iteratorIjlEEPS9_SE_NS0_5tupleIJPjSE_EEENSF_IJSE_SE_EEES9_SG_JZNS1_25segmented_radix_sort_implINS0_14default_configELb0EPK6__halfPSL_PKlPlN2at6native12_GLOBAL__N_18offset_tEEE10hipError_tPvRmT1_PNSt15iterator_traitsISZ_E10value_typeET2_T3_PNS10_IS15_E10value_typeET4_jRbjT5_S1B_jjP12ihipStream_tbEUljE_EEESW_SX_SY_S15_S19_S1B_T6_T7_T9_mT8_S1D_bDpT10_ENKUlT_T0_E_clISt17integral_constantIbLb0EES1Q_EEDaS1L_S1M_EUlS1L_E_NS1_11comp_targetILNS1_3genE9ELNS1_11target_archE1100ELNS1_3gpuE3ELNS1_3repE0EEENS1_30default_config_static_selectorELNS0_4arch9wavefront6targetE0EEEvSZ_.has_dyn_sized_stack, 0
	.set _ZN7rocprim17ROCPRIM_400000_NS6detail17trampoline_kernelINS0_13select_configILj256ELj13ELNS0_17block_load_methodE3ELS4_3ELS4_3ELNS0_20block_scan_algorithmE0ELj4294967295EEENS1_25partition_config_selectorILNS1_17partition_subalgoE3EjNS0_10empty_typeEbEEZZNS1_14partition_implILS8_3ELb0ES6_jNS0_17counting_iteratorIjlEEPS9_SE_NS0_5tupleIJPjSE_EEENSF_IJSE_SE_EEES9_SG_JZNS1_25segmented_radix_sort_implINS0_14default_configELb0EPK6__halfPSL_PKlPlN2at6native12_GLOBAL__N_18offset_tEEE10hipError_tPvRmT1_PNSt15iterator_traitsISZ_E10value_typeET2_T3_PNS10_IS15_E10value_typeET4_jRbjT5_S1B_jjP12ihipStream_tbEUljE_EEESW_SX_SY_S15_S19_S1B_T6_T7_T9_mT8_S1D_bDpT10_ENKUlT_T0_E_clISt17integral_constantIbLb0EES1Q_EEDaS1L_S1M_EUlS1L_E_NS1_11comp_targetILNS1_3genE9ELNS1_11target_archE1100ELNS1_3gpuE3ELNS1_3repE0EEENS1_30default_config_static_selectorELNS0_4arch9wavefront6targetE0EEEvSZ_.has_recursion, 0
	.set _ZN7rocprim17ROCPRIM_400000_NS6detail17trampoline_kernelINS0_13select_configILj256ELj13ELNS0_17block_load_methodE3ELS4_3ELS4_3ELNS0_20block_scan_algorithmE0ELj4294967295EEENS1_25partition_config_selectorILNS1_17partition_subalgoE3EjNS0_10empty_typeEbEEZZNS1_14partition_implILS8_3ELb0ES6_jNS0_17counting_iteratorIjlEEPS9_SE_NS0_5tupleIJPjSE_EEENSF_IJSE_SE_EEES9_SG_JZNS1_25segmented_radix_sort_implINS0_14default_configELb0EPK6__halfPSL_PKlPlN2at6native12_GLOBAL__N_18offset_tEEE10hipError_tPvRmT1_PNSt15iterator_traitsISZ_E10value_typeET2_T3_PNS10_IS15_E10value_typeET4_jRbjT5_S1B_jjP12ihipStream_tbEUljE_EEESW_SX_SY_S15_S19_S1B_T6_T7_T9_mT8_S1D_bDpT10_ENKUlT_T0_E_clISt17integral_constantIbLb0EES1Q_EEDaS1L_S1M_EUlS1L_E_NS1_11comp_targetILNS1_3genE9ELNS1_11target_archE1100ELNS1_3gpuE3ELNS1_3repE0EEENS1_30default_config_static_selectorELNS0_4arch9wavefront6targetE0EEEvSZ_.has_indirect_call, 0
	.section	.AMDGPU.csdata,"",@progbits
; Kernel info:
; codeLenInByte = 0
; TotalNumSgprs: 0
; NumVgprs: 0
; ScratchSize: 0
; MemoryBound: 0
; FloatMode: 240
; IeeeMode: 1
; LDSByteSize: 0 bytes/workgroup (compile time only)
; SGPRBlocks: 0
; VGPRBlocks: 0
; NumSGPRsForWavesPerEU: 1
; NumVGPRsForWavesPerEU: 1
; Occupancy: 16
; WaveLimiterHint : 0
; COMPUTE_PGM_RSRC2:SCRATCH_EN: 0
; COMPUTE_PGM_RSRC2:USER_SGPR: 2
; COMPUTE_PGM_RSRC2:TRAP_HANDLER: 0
; COMPUTE_PGM_RSRC2:TGID_X_EN: 1
; COMPUTE_PGM_RSRC2:TGID_Y_EN: 0
; COMPUTE_PGM_RSRC2:TGID_Z_EN: 0
; COMPUTE_PGM_RSRC2:TIDIG_COMP_CNT: 0
	.section	.text._ZN7rocprim17ROCPRIM_400000_NS6detail17trampoline_kernelINS0_13select_configILj256ELj13ELNS0_17block_load_methodE3ELS4_3ELS4_3ELNS0_20block_scan_algorithmE0ELj4294967295EEENS1_25partition_config_selectorILNS1_17partition_subalgoE3EjNS0_10empty_typeEbEEZZNS1_14partition_implILS8_3ELb0ES6_jNS0_17counting_iteratorIjlEEPS9_SE_NS0_5tupleIJPjSE_EEENSF_IJSE_SE_EEES9_SG_JZNS1_25segmented_radix_sort_implINS0_14default_configELb0EPK6__halfPSL_PKlPlN2at6native12_GLOBAL__N_18offset_tEEE10hipError_tPvRmT1_PNSt15iterator_traitsISZ_E10value_typeET2_T3_PNS10_IS15_E10value_typeET4_jRbjT5_S1B_jjP12ihipStream_tbEUljE_EEESW_SX_SY_S15_S19_S1B_T6_T7_T9_mT8_S1D_bDpT10_ENKUlT_T0_E_clISt17integral_constantIbLb0EES1Q_EEDaS1L_S1M_EUlS1L_E_NS1_11comp_targetILNS1_3genE8ELNS1_11target_archE1030ELNS1_3gpuE2ELNS1_3repE0EEENS1_30default_config_static_selectorELNS0_4arch9wavefront6targetE0EEEvSZ_,"axG",@progbits,_ZN7rocprim17ROCPRIM_400000_NS6detail17trampoline_kernelINS0_13select_configILj256ELj13ELNS0_17block_load_methodE3ELS4_3ELS4_3ELNS0_20block_scan_algorithmE0ELj4294967295EEENS1_25partition_config_selectorILNS1_17partition_subalgoE3EjNS0_10empty_typeEbEEZZNS1_14partition_implILS8_3ELb0ES6_jNS0_17counting_iteratorIjlEEPS9_SE_NS0_5tupleIJPjSE_EEENSF_IJSE_SE_EEES9_SG_JZNS1_25segmented_radix_sort_implINS0_14default_configELb0EPK6__halfPSL_PKlPlN2at6native12_GLOBAL__N_18offset_tEEE10hipError_tPvRmT1_PNSt15iterator_traitsISZ_E10value_typeET2_T3_PNS10_IS15_E10value_typeET4_jRbjT5_S1B_jjP12ihipStream_tbEUljE_EEESW_SX_SY_S15_S19_S1B_T6_T7_T9_mT8_S1D_bDpT10_ENKUlT_T0_E_clISt17integral_constantIbLb0EES1Q_EEDaS1L_S1M_EUlS1L_E_NS1_11comp_targetILNS1_3genE8ELNS1_11target_archE1030ELNS1_3gpuE2ELNS1_3repE0EEENS1_30default_config_static_selectorELNS0_4arch9wavefront6targetE0EEEvSZ_,comdat
	.globl	_ZN7rocprim17ROCPRIM_400000_NS6detail17trampoline_kernelINS0_13select_configILj256ELj13ELNS0_17block_load_methodE3ELS4_3ELS4_3ELNS0_20block_scan_algorithmE0ELj4294967295EEENS1_25partition_config_selectorILNS1_17partition_subalgoE3EjNS0_10empty_typeEbEEZZNS1_14partition_implILS8_3ELb0ES6_jNS0_17counting_iteratorIjlEEPS9_SE_NS0_5tupleIJPjSE_EEENSF_IJSE_SE_EEES9_SG_JZNS1_25segmented_radix_sort_implINS0_14default_configELb0EPK6__halfPSL_PKlPlN2at6native12_GLOBAL__N_18offset_tEEE10hipError_tPvRmT1_PNSt15iterator_traitsISZ_E10value_typeET2_T3_PNS10_IS15_E10value_typeET4_jRbjT5_S1B_jjP12ihipStream_tbEUljE_EEESW_SX_SY_S15_S19_S1B_T6_T7_T9_mT8_S1D_bDpT10_ENKUlT_T0_E_clISt17integral_constantIbLb0EES1Q_EEDaS1L_S1M_EUlS1L_E_NS1_11comp_targetILNS1_3genE8ELNS1_11target_archE1030ELNS1_3gpuE2ELNS1_3repE0EEENS1_30default_config_static_selectorELNS0_4arch9wavefront6targetE0EEEvSZ_ ; -- Begin function _ZN7rocprim17ROCPRIM_400000_NS6detail17trampoline_kernelINS0_13select_configILj256ELj13ELNS0_17block_load_methodE3ELS4_3ELS4_3ELNS0_20block_scan_algorithmE0ELj4294967295EEENS1_25partition_config_selectorILNS1_17partition_subalgoE3EjNS0_10empty_typeEbEEZZNS1_14partition_implILS8_3ELb0ES6_jNS0_17counting_iteratorIjlEEPS9_SE_NS0_5tupleIJPjSE_EEENSF_IJSE_SE_EEES9_SG_JZNS1_25segmented_radix_sort_implINS0_14default_configELb0EPK6__halfPSL_PKlPlN2at6native12_GLOBAL__N_18offset_tEEE10hipError_tPvRmT1_PNSt15iterator_traitsISZ_E10value_typeET2_T3_PNS10_IS15_E10value_typeET4_jRbjT5_S1B_jjP12ihipStream_tbEUljE_EEESW_SX_SY_S15_S19_S1B_T6_T7_T9_mT8_S1D_bDpT10_ENKUlT_T0_E_clISt17integral_constantIbLb0EES1Q_EEDaS1L_S1M_EUlS1L_E_NS1_11comp_targetILNS1_3genE8ELNS1_11target_archE1030ELNS1_3gpuE2ELNS1_3repE0EEENS1_30default_config_static_selectorELNS0_4arch9wavefront6targetE0EEEvSZ_
	.p2align	8
	.type	_ZN7rocprim17ROCPRIM_400000_NS6detail17trampoline_kernelINS0_13select_configILj256ELj13ELNS0_17block_load_methodE3ELS4_3ELS4_3ELNS0_20block_scan_algorithmE0ELj4294967295EEENS1_25partition_config_selectorILNS1_17partition_subalgoE3EjNS0_10empty_typeEbEEZZNS1_14partition_implILS8_3ELb0ES6_jNS0_17counting_iteratorIjlEEPS9_SE_NS0_5tupleIJPjSE_EEENSF_IJSE_SE_EEES9_SG_JZNS1_25segmented_radix_sort_implINS0_14default_configELb0EPK6__halfPSL_PKlPlN2at6native12_GLOBAL__N_18offset_tEEE10hipError_tPvRmT1_PNSt15iterator_traitsISZ_E10value_typeET2_T3_PNS10_IS15_E10value_typeET4_jRbjT5_S1B_jjP12ihipStream_tbEUljE_EEESW_SX_SY_S15_S19_S1B_T6_T7_T9_mT8_S1D_bDpT10_ENKUlT_T0_E_clISt17integral_constantIbLb0EES1Q_EEDaS1L_S1M_EUlS1L_E_NS1_11comp_targetILNS1_3genE8ELNS1_11target_archE1030ELNS1_3gpuE2ELNS1_3repE0EEENS1_30default_config_static_selectorELNS0_4arch9wavefront6targetE0EEEvSZ_,@function
_ZN7rocprim17ROCPRIM_400000_NS6detail17trampoline_kernelINS0_13select_configILj256ELj13ELNS0_17block_load_methodE3ELS4_3ELS4_3ELNS0_20block_scan_algorithmE0ELj4294967295EEENS1_25partition_config_selectorILNS1_17partition_subalgoE3EjNS0_10empty_typeEbEEZZNS1_14partition_implILS8_3ELb0ES6_jNS0_17counting_iteratorIjlEEPS9_SE_NS0_5tupleIJPjSE_EEENSF_IJSE_SE_EEES9_SG_JZNS1_25segmented_radix_sort_implINS0_14default_configELb0EPK6__halfPSL_PKlPlN2at6native12_GLOBAL__N_18offset_tEEE10hipError_tPvRmT1_PNSt15iterator_traitsISZ_E10value_typeET2_T3_PNS10_IS15_E10value_typeET4_jRbjT5_S1B_jjP12ihipStream_tbEUljE_EEESW_SX_SY_S15_S19_S1B_T6_T7_T9_mT8_S1D_bDpT10_ENKUlT_T0_E_clISt17integral_constantIbLb0EES1Q_EEDaS1L_S1M_EUlS1L_E_NS1_11comp_targetILNS1_3genE8ELNS1_11target_archE1030ELNS1_3gpuE2ELNS1_3repE0EEENS1_30default_config_static_selectorELNS0_4arch9wavefront6targetE0EEEvSZ_: ; @_ZN7rocprim17ROCPRIM_400000_NS6detail17trampoline_kernelINS0_13select_configILj256ELj13ELNS0_17block_load_methodE3ELS4_3ELS4_3ELNS0_20block_scan_algorithmE0ELj4294967295EEENS1_25partition_config_selectorILNS1_17partition_subalgoE3EjNS0_10empty_typeEbEEZZNS1_14partition_implILS8_3ELb0ES6_jNS0_17counting_iteratorIjlEEPS9_SE_NS0_5tupleIJPjSE_EEENSF_IJSE_SE_EEES9_SG_JZNS1_25segmented_radix_sort_implINS0_14default_configELb0EPK6__halfPSL_PKlPlN2at6native12_GLOBAL__N_18offset_tEEE10hipError_tPvRmT1_PNSt15iterator_traitsISZ_E10value_typeET2_T3_PNS10_IS15_E10value_typeET4_jRbjT5_S1B_jjP12ihipStream_tbEUljE_EEESW_SX_SY_S15_S19_S1B_T6_T7_T9_mT8_S1D_bDpT10_ENKUlT_T0_E_clISt17integral_constantIbLb0EES1Q_EEDaS1L_S1M_EUlS1L_E_NS1_11comp_targetILNS1_3genE8ELNS1_11target_archE1030ELNS1_3gpuE2ELNS1_3repE0EEENS1_30default_config_static_selectorELNS0_4arch9wavefront6targetE0EEEvSZ_
; %bb.0:
	.section	.rodata,"a",@progbits
	.p2align	6, 0x0
	.amdhsa_kernel _ZN7rocprim17ROCPRIM_400000_NS6detail17trampoline_kernelINS0_13select_configILj256ELj13ELNS0_17block_load_methodE3ELS4_3ELS4_3ELNS0_20block_scan_algorithmE0ELj4294967295EEENS1_25partition_config_selectorILNS1_17partition_subalgoE3EjNS0_10empty_typeEbEEZZNS1_14partition_implILS8_3ELb0ES6_jNS0_17counting_iteratorIjlEEPS9_SE_NS0_5tupleIJPjSE_EEENSF_IJSE_SE_EEES9_SG_JZNS1_25segmented_radix_sort_implINS0_14default_configELb0EPK6__halfPSL_PKlPlN2at6native12_GLOBAL__N_18offset_tEEE10hipError_tPvRmT1_PNSt15iterator_traitsISZ_E10value_typeET2_T3_PNS10_IS15_E10value_typeET4_jRbjT5_S1B_jjP12ihipStream_tbEUljE_EEESW_SX_SY_S15_S19_S1B_T6_T7_T9_mT8_S1D_bDpT10_ENKUlT_T0_E_clISt17integral_constantIbLb0EES1Q_EEDaS1L_S1M_EUlS1L_E_NS1_11comp_targetILNS1_3genE8ELNS1_11target_archE1030ELNS1_3gpuE2ELNS1_3repE0EEENS1_30default_config_static_selectorELNS0_4arch9wavefront6targetE0EEEvSZ_
		.amdhsa_group_segment_fixed_size 0
		.amdhsa_private_segment_fixed_size 0
		.amdhsa_kernarg_size 144
		.amdhsa_user_sgpr_count 2
		.amdhsa_user_sgpr_dispatch_ptr 0
		.amdhsa_user_sgpr_queue_ptr 0
		.amdhsa_user_sgpr_kernarg_segment_ptr 1
		.amdhsa_user_sgpr_dispatch_id 0
		.amdhsa_user_sgpr_private_segment_size 0
		.amdhsa_wavefront_size32 1
		.amdhsa_uses_dynamic_stack 0
		.amdhsa_enable_private_segment 0
		.amdhsa_system_sgpr_workgroup_id_x 1
		.amdhsa_system_sgpr_workgroup_id_y 0
		.amdhsa_system_sgpr_workgroup_id_z 0
		.amdhsa_system_sgpr_workgroup_info 0
		.amdhsa_system_vgpr_workitem_id 0
		.amdhsa_next_free_vgpr 1
		.amdhsa_next_free_sgpr 1
		.amdhsa_reserve_vcc 0
		.amdhsa_float_round_mode_32 0
		.amdhsa_float_round_mode_16_64 0
		.amdhsa_float_denorm_mode_32 3
		.amdhsa_float_denorm_mode_16_64 3
		.amdhsa_fp16_overflow 0
		.amdhsa_workgroup_processor_mode 1
		.amdhsa_memory_ordered 1
		.amdhsa_forward_progress 1
		.amdhsa_inst_pref_size 0
		.amdhsa_round_robin_scheduling 0
		.amdhsa_exception_fp_ieee_invalid_op 0
		.amdhsa_exception_fp_denorm_src 0
		.amdhsa_exception_fp_ieee_div_zero 0
		.amdhsa_exception_fp_ieee_overflow 0
		.amdhsa_exception_fp_ieee_underflow 0
		.amdhsa_exception_fp_ieee_inexact 0
		.amdhsa_exception_int_div_zero 0
	.end_amdhsa_kernel
	.section	.text._ZN7rocprim17ROCPRIM_400000_NS6detail17trampoline_kernelINS0_13select_configILj256ELj13ELNS0_17block_load_methodE3ELS4_3ELS4_3ELNS0_20block_scan_algorithmE0ELj4294967295EEENS1_25partition_config_selectorILNS1_17partition_subalgoE3EjNS0_10empty_typeEbEEZZNS1_14partition_implILS8_3ELb0ES6_jNS0_17counting_iteratorIjlEEPS9_SE_NS0_5tupleIJPjSE_EEENSF_IJSE_SE_EEES9_SG_JZNS1_25segmented_radix_sort_implINS0_14default_configELb0EPK6__halfPSL_PKlPlN2at6native12_GLOBAL__N_18offset_tEEE10hipError_tPvRmT1_PNSt15iterator_traitsISZ_E10value_typeET2_T3_PNS10_IS15_E10value_typeET4_jRbjT5_S1B_jjP12ihipStream_tbEUljE_EEESW_SX_SY_S15_S19_S1B_T6_T7_T9_mT8_S1D_bDpT10_ENKUlT_T0_E_clISt17integral_constantIbLb0EES1Q_EEDaS1L_S1M_EUlS1L_E_NS1_11comp_targetILNS1_3genE8ELNS1_11target_archE1030ELNS1_3gpuE2ELNS1_3repE0EEENS1_30default_config_static_selectorELNS0_4arch9wavefront6targetE0EEEvSZ_,"axG",@progbits,_ZN7rocprim17ROCPRIM_400000_NS6detail17trampoline_kernelINS0_13select_configILj256ELj13ELNS0_17block_load_methodE3ELS4_3ELS4_3ELNS0_20block_scan_algorithmE0ELj4294967295EEENS1_25partition_config_selectorILNS1_17partition_subalgoE3EjNS0_10empty_typeEbEEZZNS1_14partition_implILS8_3ELb0ES6_jNS0_17counting_iteratorIjlEEPS9_SE_NS0_5tupleIJPjSE_EEENSF_IJSE_SE_EEES9_SG_JZNS1_25segmented_radix_sort_implINS0_14default_configELb0EPK6__halfPSL_PKlPlN2at6native12_GLOBAL__N_18offset_tEEE10hipError_tPvRmT1_PNSt15iterator_traitsISZ_E10value_typeET2_T3_PNS10_IS15_E10value_typeET4_jRbjT5_S1B_jjP12ihipStream_tbEUljE_EEESW_SX_SY_S15_S19_S1B_T6_T7_T9_mT8_S1D_bDpT10_ENKUlT_T0_E_clISt17integral_constantIbLb0EES1Q_EEDaS1L_S1M_EUlS1L_E_NS1_11comp_targetILNS1_3genE8ELNS1_11target_archE1030ELNS1_3gpuE2ELNS1_3repE0EEENS1_30default_config_static_selectorELNS0_4arch9wavefront6targetE0EEEvSZ_,comdat
.Lfunc_end1817:
	.size	_ZN7rocprim17ROCPRIM_400000_NS6detail17trampoline_kernelINS0_13select_configILj256ELj13ELNS0_17block_load_methodE3ELS4_3ELS4_3ELNS0_20block_scan_algorithmE0ELj4294967295EEENS1_25partition_config_selectorILNS1_17partition_subalgoE3EjNS0_10empty_typeEbEEZZNS1_14partition_implILS8_3ELb0ES6_jNS0_17counting_iteratorIjlEEPS9_SE_NS0_5tupleIJPjSE_EEENSF_IJSE_SE_EEES9_SG_JZNS1_25segmented_radix_sort_implINS0_14default_configELb0EPK6__halfPSL_PKlPlN2at6native12_GLOBAL__N_18offset_tEEE10hipError_tPvRmT1_PNSt15iterator_traitsISZ_E10value_typeET2_T3_PNS10_IS15_E10value_typeET4_jRbjT5_S1B_jjP12ihipStream_tbEUljE_EEESW_SX_SY_S15_S19_S1B_T6_T7_T9_mT8_S1D_bDpT10_ENKUlT_T0_E_clISt17integral_constantIbLb0EES1Q_EEDaS1L_S1M_EUlS1L_E_NS1_11comp_targetILNS1_3genE8ELNS1_11target_archE1030ELNS1_3gpuE2ELNS1_3repE0EEENS1_30default_config_static_selectorELNS0_4arch9wavefront6targetE0EEEvSZ_, .Lfunc_end1817-_ZN7rocprim17ROCPRIM_400000_NS6detail17trampoline_kernelINS0_13select_configILj256ELj13ELNS0_17block_load_methodE3ELS4_3ELS4_3ELNS0_20block_scan_algorithmE0ELj4294967295EEENS1_25partition_config_selectorILNS1_17partition_subalgoE3EjNS0_10empty_typeEbEEZZNS1_14partition_implILS8_3ELb0ES6_jNS0_17counting_iteratorIjlEEPS9_SE_NS0_5tupleIJPjSE_EEENSF_IJSE_SE_EEES9_SG_JZNS1_25segmented_radix_sort_implINS0_14default_configELb0EPK6__halfPSL_PKlPlN2at6native12_GLOBAL__N_18offset_tEEE10hipError_tPvRmT1_PNSt15iterator_traitsISZ_E10value_typeET2_T3_PNS10_IS15_E10value_typeET4_jRbjT5_S1B_jjP12ihipStream_tbEUljE_EEESW_SX_SY_S15_S19_S1B_T6_T7_T9_mT8_S1D_bDpT10_ENKUlT_T0_E_clISt17integral_constantIbLb0EES1Q_EEDaS1L_S1M_EUlS1L_E_NS1_11comp_targetILNS1_3genE8ELNS1_11target_archE1030ELNS1_3gpuE2ELNS1_3repE0EEENS1_30default_config_static_selectorELNS0_4arch9wavefront6targetE0EEEvSZ_
                                        ; -- End function
	.set _ZN7rocprim17ROCPRIM_400000_NS6detail17trampoline_kernelINS0_13select_configILj256ELj13ELNS0_17block_load_methodE3ELS4_3ELS4_3ELNS0_20block_scan_algorithmE0ELj4294967295EEENS1_25partition_config_selectorILNS1_17partition_subalgoE3EjNS0_10empty_typeEbEEZZNS1_14partition_implILS8_3ELb0ES6_jNS0_17counting_iteratorIjlEEPS9_SE_NS0_5tupleIJPjSE_EEENSF_IJSE_SE_EEES9_SG_JZNS1_25segmented_radix_sort_implINS0_14default_configELb0EPK6__halfPSL_PKlPlN2at6native12_GLOBAL__N_18offset_tEEE10hipError_tPvRmT1_PNSt15iterator_traitsISZ_E10value_typeET2_T3_PNS10_IS15_E10value_typeET4_jRbjT5_S1B_jjP12ihipStream_tbEUljE_EEESW_SX_SY_S15_S19_S1B_T6_T7_T9_mT8_S1D_bDpT10_ENKUlT_T0_E_clISt17integral_constantIbLb0EES1Q_EEDaS1L_S1M_EUlS1L_E_NS1_11comp_targetILNS1_3genE8ELNS1_11target_archE1030ELNS1_3gpuE2ELNS1_3repE0EEENS1_30default_config_static_selectorELNS0_4arch9wavefront6targetE0EEEvSZ_.num_vgpr, 0
	.set _ZN7rocprim17ROCPRIM_400000_NS6detail17trampoline_kernelINS0_13select_configILj256ELj13ELNS0_17block_load_methodE3ELS4_3ELS4_3ELNS0_20block_scan_algorithmE0ELj4294967295EEENS1_25partition_config_selectorILNS1_17partition_subalgoE3EjNS0_10empty_typeEbEEZZNS1_14partition_implILS8_3ELb0ES6_jNS0_17counting_iteratorIjlEEPS9_SE_NS0_5tupleIJPjSE_EEENSF_IJSE_SE_EEES9_SG_JZNS1_25segmented_radix_sort_implINS0_14default_configELb0EPK6__halfPSL_PKlPlN2at6native12_GLOBAL__N_18offset_tEEE10hipError_tPvRmT1_PNSt15iterator_traitsISZ_E10value_typeET2_T3_PNS10_IS15_E10value_typeET4_jRbjT5_S1B_jjP12ihipStream_tbEUljE_EEESW_SX_SY_S15_S19_S1B_T6_T7_T9_mT8_S1D_bDpT10_ENKUlT_T0_E_clISt17integral_constantIbLb0EES1Q_EEDaS1L_S1M_EUlS1L_E_NS1_11comp_targetILNS1_3genE8ELNS1_11target_archE1030ELNS1_3gpuE2ELNS1_3repE0EEENS1_30default_config_static_selectorELNS0_4arch9wavefront6targetE0EEEvSZ_.num_agpr, 0
	.set _ZN7rocprim17ROCPRIM_400000_NS6detail17trampoline_kernelINS0_13select_configILj256ELj13ELNS0_17block_load_methodE3ELS4_3ELS4_3ELNS0_20block_scan_algorithmE0ELj4294967295EEENS1_25partition_config_selectorILNS1_17partition_subalgoE3EjNS0_10empty_typeEbEEZZNS1_14partition_implILS8_3ELb0ES6_jNS0_17counting_iteratorIjlEEPS9_SE_NS0_5tupleIJPjSE_EEENSF_IJSE_SE_EEES9_SG_JZNS1_25segmented_radix_sort_implINS0_14default_configELb0EPK6__halfPSL_PKlPlN2at6native12_GLOBAL__N_18offset_tEEE10hipError_tPvRmT1_PNSt15iterator_traitsISZ_E10value_typeET2_T3_PNS10_IS15_E10value_typeET4_jRbjT5_S1B_jjP12ihipStream_tbEUljE_EEESW_SX_SY_S15_S19_S1B_T6_T7_T9_mT8_S1D_bDpT10_ENKUlT_T0_E_clISt17integral_constantIbLb0EES1Q_EEDaS1L_S1M_EUlS1L_E_NS1_11comp_targetILNS1_3genE8ELNS1_11target_archE1030ELNS1_3gpuE2ELNS1_3repE0EEENS1_30default_config_static_selectorELNS0_4arch9wavefront6targetE0EEEvSZ_.numbered_sgpr, 0
	.set _ZN7rocprim17ROCPRIM_400000_NS6detail17trampoline_kernelINS0_13select_configILj256ELj13ELNS0_17block_load_methodE3ELS4_3ELS4_3ELNS0_20block_scan_algorithmE0ELj4294967295EEENS1_25partition_config_selectorILNS1_17partition_subalgoE3EjNS0_10empty_typeEbEEZZNS1_14partition_implILS8_3ELb0ES6_jNS0_17counting_iteratorIjlEEPS9_SE_NS0_5tupleIJPjSE_EEENSF_IJSE_SE_EEES9_SG_JZNS1_25segmented_radix_sort_implINS0_14default_configELb0EPK6__halfPSL_PKlPlN2at6native12_GLOBAL__N_18offset_tEEE10hipError_tPvRmT1_PNSt15iterator_traitsISZ_E10value_typeET2_T3_PNS10_IS15_E10value_typeET4_jRbjT5_S1B_jjP12ihipStream_tbEUljE_EEESW_SX_SY_S15_S19_S1B_T6_T7_T9_mT8_S1D_bDpT10_ENKUlT_T0_E_clISt17integral_constantIbLb0EES1Q_EEDaS1L_S1M_EUlS1L_E_NS1_11comp_targetILNS1_3genE8ELNS1_11target_archE1030ELNS1_3gpuE2ELNS1_3repE0EEENS1_30default_config_static_selectorELNS0_4arch9wavefront6targetE0EEEvSZ_.num_named_barrier, 0
	.set _ZN7rocprim17ROCPRIM_400000_NS6detail17trampoline_kernelINS0_13select_configILj256ELj13ELNS0_17block_load_methodE3ELS4_3ELS4_3ELNS0_20block_scan_algorithmE0ELj4294967295EEENS1_25partition_config_selectorILNS1_17partition_subalgoE3EjNS0_10empty_typeEbEEZZNS1_14partition_implILS8_3ELb0ES6_jNS0_17counting_iteratorIjlEEPS9_SE_NS0_5tupleIJPjSE_EEENSF_IJSE_SE_EEES9_SG_JZNS1_25segmented_radix_sort_implINS0_14default_configELb0EPK6__halfPSL_PKlPlN2at6native12_GLOBAL__N_18offset_tEEE10hipError_tPvRmT1_PNSt15iterator_traitsISZ_E10value_typeET2_T3_PNS10_IS15_E10value_typeET4_jRbjT5_S1B_jjP12ihipStream_tbEUljE_EEESW_SX_SY_S15_S19_S1B_T6_T7_T9_mT8_S1D_bDpT10_ENKUlT_T0_E_clISt17integral_constantIbLb0EES1Q_EEDaS1L_S1M_EUlS1L_E_NS1_11comp_targetILNS1_3genE8ELNS1_11target_archE1030ELNS1_3gpuE2ELNS1_3repE0EEENS1_30default_config_static_selectorELNS0_4arch9wavefront6targetE0EEEvSZ_.private_seg_size, 0
	.set _ZN7rocprim17ROCPRIM_400000_NS6detail17trampoline_kernelINS0_13select_configILj256ELj13ELNS0_17block_load_methodE3ELS4_3ELS4_3ELNS0_20block_scan_algorithmE0ELj4294967295EEENS1_25partition_config_selectorILNS1_17partition_subalgoE3EjNS0_10empty_typeEbEEZZNS1_14partition_implILS8_3ELb0ES6_jNS0_17counting_iteratorIjlEEPS9_SE_NS0_5tupleIJPjSE_EEENSF_IJSE_SE_EEES9_SG_JZNS1_25segmented_radix_sort_implINS0_14default_configELb0EPK6__halfPSL_PKlPlN2at6native12_GLOBAL__N_18offset_tEEE10hipError_tPvRmT1_PNSt15iterator_traitsISZ_E10value_typeET2_T3_PNS10_IS15_E10value_typeET4_jRbjT5_S1B_jjP12ihipStream_tbEUljE_EEESW_SX_SY_S15_S19_S1B_T6_T7_T9_mT8_S1D_bDpT10_ENKUlT_T0_E_clISt17integral_constantIbLb0EES1Q_EEDaS1L_S1M_EUlS1L_E_NS1_11comp_targetILNS1_3genE8ELNS1_11target_archE1030ELNS1_3gpuE2ELNS1_3repE0EEENS1_30default_config_static_selectorELNS0_4arch9wavefront6targetE0EEEvSZ_.uses_vcc, 0
	.set _ZN7rocprim17ROCPRIM_400000_NS6detail17trampoline_kernelINS0_13select_configILj256ELj13ELNS0_17block_load_methodE3ELS4_3ELS4_3ELNS0_20block_scan_algorithmE0ELj4294967295EEENS1_25partition_config_selectorILNS1_17partition_subalgoE3EjNS0_10empty_typeEbEEZZNS1_14partition_implILS8_3ELb0ES6_jNS0_17counting_iteratorIjlEEPS9_SE_NS0_5tupleIJPjSE_EEENSF_IJSE_SE_EEES9_SG_JZNS1_25segmented_radix_sort_implINS0_14default_configELb0EPK6__halfPSL_PKlPlN2at6native12_GLOBAL__N_18offset_tEEE10hipError_tPvRmT1_PNSt15iterator_traitsISZ_E10value_typeET2_T3_PNS10_IS15_E10value_typeET4_jRbjT5_S1B_jjP12ihipStream_tbEUljE_EEESW_SX_SY_S15_S19_S1B_T6_T7_T9_mT8_S1D_bDpT10_ENKUlT_T0_E_clISt17integral_constantIbLb0EES1Q_EEDaS1L_S1M_EUlS1L_E_NS1_11comp_targetILNS1_3genE8ELNS1_11target_archE1030ELNS1_3gpuE2ELNS1_3repE0EEENS1_30default_config_static_selectorELNS0_4arch9wavefront6targetE0EEEvSZ_.uses_flat_scratch, 0
	.set _ZN7rocprim17ROCPRIM_400000_NS6detail17trampoline_kernelINS0_13select_configILj256ELj13ELNS0_17block_load_methodE3ELS4_3ELS4_3ELNS0_20block_scan_algorithmE0ELj4294967295EEENS1_25partition_config_selectorILNS1_17partition_subalgoE3EjNS0_10empty_typeEbEEZZNS1_14partition_implILS8_3ELb0ES6_jNS0_17counting_iteratorIjlEEPS9_SE_NS0_5tupleIJPjSE_EEENSF_IJSE_SE_EEES9_SG_JZNS1_25segmented_radix_sort_implINS0_14default_configELb0EPK6__halfPSL_PKlPlN2at6native12_GLOBAL__N_18offset_tEEE10hipError_tPvRmT1_PNSt15iterator_traitsISZ_E10value_typeET2_T3_PNS10_IS15_E10value_typeET4_jRbjT5_S1B_jjP12ihipStream_tbEUljE_EEESW_SX_SY_S15_S19_S1B_T6_T7_T9_mT8_S1D_bDpT10_ENKUlT_T0_E_clISt17integral_constantIbLb0EES1Q_EEDaS1L_S1M_EUlS1L_E_NS1_11comp_targetILNS1_3genE8ELNS1_11target_archE1030ELNS1_3gpuE2ELNS1_3repE0EEENS1_30default_config_static_selectorELNS0_4arch9wavefront6targetE0EEEvSZ_.has_dyn_sized_stack, 0
	.set _ZN7rocprim17ROCPRIM_400000_NS6detail17trampoline_kernelINS0_13select_configILj256ELj13ELNS0_17block_load_methodE3ELS4_3ELS4_3ELNS0_20block_scan_algorithmE0ELj4294967295EEENS1_25partition_config_selectorILNS1_17partition_subalgoE3EjNS0_10empty_typeEbEEZZNS1_14partition_implILS8_3ELb0ES6_jNS0_17counting_iteratorIjlEEPS9_SE_NS0_5tupleIJPjSE_EEENSF_IJSE_SE_EEES9_SG_JZNS1_25segmented_radix_sort_implINS0_14default_configELb0EPK6__halfPSL_PKlPlN2at6native12_GLOBAL__N_18offset_tEEE10hipError_tPvRmT1_PNSt15iterator_traitsISZ_E10value_typeET2_T3_PNS10_IS15_E10value_typeET4_jRbjT5_S1B_jjP12ihipStream_tbEUljE_EEESW_SX_SY_S15_S19_S1B_T6_T7_T9_mT8_S1D_bDpT10_ENKUlT_T0_E_clISt17integral_constantIbLb0EES1Q_EEDaS1L_S1M_EUlS1L_E_NS1_11comp_targetILNS1_3genE8ELNS1_11target_archE1030ELNS1_3gpuE2ELNS1_3repE0EEENS1_30default_config_static_selectorELNS0_4arch9wavefront6targetE0EEEvSZ_.has_recursion, 0
	.set _ZN7rocprim17ROCPRIM_400000_NS6detail17trampoline_kernelINS0_13select_configILj256ELj13ELNS0_17block_load_methodE3ELS4_3ELS4_3ELNS0_20block_scan_algorithmE0ELj4294967295EEENS1_25partition_config_selectorILNS1_17partition_subalgoE3EjNS0_10empty_typeEbEEZZNS1_14partition_implILS8_3ELb0ES6_jNS0_17counting_iteratorIjlEEPS9_SE_NS0_5tupleIJPjSE_EEENSF_IJSE_SE_EEES9_SG_JZNS1_25segmented_radix_sort_implINS0_14default_configELb0EPK6__halfPSL_PKlPlN2at6native12_GLOBAL__N_18offset_tEEE10hipError_tPvRmT1_PNSt15iterator_traitsISZ_E10value_typeET2_T3_PNS10_IS15_E10value_typeET4_jRbjT5_S1B_jjP12ihipStream_tbEUljE_EEESW_SX_SY_S15_S19_S1B_T6_T7_T9_mT8_S1D_bDpT10_ENKUlT_T0_E_clISt17integral_constantIbLb0EES1Q_EEDaS1L_S1M_EUlS1L_E_NS1_11comp_targetILNS1_3genE8ELNS1_11target_archE1030ELNS1_3gpuE2ELNS1_3repE0EEENS1_30default_config_static_selectorELNS0_4arch9wavefront6targetE0EEEvSZ_.has_indirect_call, 0
	.section	.AMDGPU.csdata,"",@progbits
; Kernel info:
; codeLenInByte = 0
; TotalNumSgprs: 0
; NumVgprs: 0
; ScratchSize: 0
; MemoryBound: 0
; FloatMode: 240
; IeeeMode: 1
; LDSByteSize: 0 bytes/workgroup (compile time only)
; SGPRBlocks: 0
; VGPRBlocks: 0
; NumSGPRsForWavesPerEU: 1
; NumVGPRsForWavesPerEU: 1
; Occupancy: 16
; WaveLimiterHint : 0
; COMPUTE_PGM_RSRC2:SCRATCH_EN: 0
; COMPUTE_PGM_RSRC2:USER_SGPR: 2
; COMPUTE_PGM_RSRC2:TRAP_HANDLER: 0
; COMPUTE_PGM_RSRC2:TGID_X_EN: 1
; COMPUTE_PGM_RSRC2:TGID_Y_EN: 0
; COMPUTE_PGM_RSRC2:TGID_Z_EN: 0
; COMPUTE_PGM_RSRC2:TIDIG_COMP_CNT: 0
	.section	.text._ZN7rocprim17ROCPRIM_400000_NS6detail17trampoline_kernelINS0_13select_configILj256ELj13ELNS0_17block_load_methodE3ELS4_3ELS4_3ELNS0_20block_scan_algorithmE0ELj4294967295EEENS1_25partition_config_selectorILNS1_17partition_subalgoE3EjNS0_10empty_typeEbEEZZNS1_14partition_implILS8_3ELb0ES6_jNS0_17counting_iteratorIjlEEPS9_SE_NS0_5tupleIJPjSE_EEENSF_IJSE_SE_EEES9_SG_JZNS1_25segmented_radix_sort_implINS0_14default_configELb0EPK6__halfPSL_PKlPlN2at6native12_GLOBAL__N_18offset_tEEE10hipError_tPvRmT1_PNSt15iterator_traitsISZ_E10value_typeET2_T3_PNS10_IS15_E10value_typeET4_jRbjT5_S1B_jjP12ihipStream_tbEUljE_EEESW_SX_SY_S15_S19_S1B_T6_T7_T9_mT8_S1D_bDpT10_ENKUlT_T0_E_clISt17integral_constantIbLb1EES1Q_EEDaS1L_S1M_EUlS1L_E_NS1_11comp_targetILNS1_3genE0ELNS1_11target_archE4294967295ELNS1_3gpuE0ELNS1_3repE0EEENS1_30default_config_static_selectorELNS0_4arch9wavefront6targetE0EEEvSZ_,"axG",@progbits,_ZN7rocprim17ROCPRIM_400000_NS6detail17trampoline_kernelINS0_13select_configILj256ELj13ELNS0_17block_load_methodE3ELS4_3ELS4_3ELNS0_20block_scan_algorithmE0ELj4294967295EEENS1_25partition_config_selectorILNS1_17partition_subalgoE3EjNS0_10empty_typeEbEEZZNS1_14partition_implILS8_3ELb0ES6_jNS0_17counting_iteratorIjlEEPS9_SE_NS0_5tupleIJPjSE_EEENSF_IJSE_SE_EEES9_SG_JZNS1_25segmented_radix_sort_implINS0_14default_configELb0EPK6__halfPSL_PKlPlN2at6native12_GLOBAL__N_18offset_tEEE10hipError_tPvRmT1_PNSt15iterator_traitsISZ_E10value_typeET2_T3_PNS10_IS15_E10value_typeET4_jRbjT5_S1B_jjP12ihipStream_tbEUljE_EEESW_SX_SY_S15_S19_S1B_T6_T7_T9_mT8_S1D_bDpT10_ENKUlT_T0_E_clISt17integral_constantIbLb1EES1Q_EEDaS1L_S1M_EUlS1L_E_NS1_11comp_targetILNS1_3genE0ELNS1_11target_archE4294967295ELNS1_3gpuE0ELNS1_3repE0EEENS1_30default_config_static_selectorELNS0_4arch9wavefront6targetE0EEEvSZ_,comdat
	.globl	_ZN7rocprim17ROCPRIM_400000_NS6detail17trampoline_kernelINS0_13select_configILj256ELj13ELNS0_17block_load_methodE3ELS4_3ELS4_3ELNS0_20block_scan_algorithmE0ELj4294967295EEENS1_25partition_config_selectorILNS1_17partition_subalgoE3EjNS0_10empty_typeEbEEZZNS1_14partition_implILS8_3ELb0ES6_jNS0_17counting_iteratorIjlEEPS9_SE_NS0_5tupleIJPjSE_EEENSF_IJSE_SE_EEES9_SG_JZNS1_25segmented_radix_sort_implINS0_14default_configELb0EPK6__halfPSL_PKlPlN2at6native12_GLOBAL__N_18offset_tEEE10hipError_tPvRmT1_PNSt15iterator_traitsISZ_E10value_typeET2_T3_PNS10_IS15_E10value_typeET4_jRbjT5_S1B_jjP12ihipStream_tbEUljE_EEESW_SX_SY_S15_S19_S1B_T6_T7_T9_mT8_S1D_bDpT10_ENKUlT_T0_E_clISt17integral_constantIbLb1EES1Q_EEDaS1L_S1M_EUlS1L_E_NS1_11comp_targetILNS1_3genE0ELNS1_11target_archE4294967295ELNS1_3gpuE0ELNS1_3repE0EEENS1_30default_config_static_selectorELNS0_4arch9wavefront6targetE0EEEvSZ_ ; -- Begin function _ZN7rocprim17ROCPRIM_400000_NS6detail17trampoline_kernelINS0_13select_configILj256ELj13ELNS0_17block_load_methodE3ELS4_3ELS4_3ELNS0_20block_scan_algorithmE0ELj4294967295EEENS1_25partition_config_selectorILNS1_17partition_subalgoE3EjNS0_10empty_typeEbEEZZNS1_14partition_implILS8_3ELb0ES6_jNS0_17counting_iteratorIjlEEPS9_SE_NS0_5tupleIJPjSE_EEENSF_IJSE_SE_EEES9_SG_JZNS1_25segmented_radix_sort_implINS0_14default_configELb0EPK6__halfPSL_PKlPlN2at6native12_GLOBAL__N_18offset_tEEE10hipError_tPvRmT1_PNSt15iterator_traitsISZ_E10value_typeET2_T3_PNS10_IS15_E10value_typeET4_jRbjT5_S1B_jjP12ihipStream_tbEUljE_EEESW_SX_SY_S15_S19_S1B_T6_T7_T9_mT8_S1D_bDpT10_ENKUlT_T0_E_clISt17integral_constantIbLb1EES1Q_EEDaS1L_S1M_EUlS1L_E_NS1_11comp_targetILNS1_3genE0ELNS1_11target_archE4294967295ELNS1_3gpuE0ELNS1_3repE0EEENS1_30default_config_static_selectorELNS0_4arch9wavefront6targetE0EEEvSZ_
	.p2align	8
	.type	_ZN7rocprim17ROCPRIM_400000_NS6detail17trampoline_kernelINS0_13select_configILj256ELj13ELNS0_17block_load_methodE3ELS4_3ELS4_3ELNS0_20block_scan_algorithmE0ELj4294967295EEENS1_25partition_config_selectorILNS1_17partition_subalgoE3EjNS0_10empty_typeEbEEZZNS1_14partition_implILS8_3ELb0ES6_jNS0_17counting_iteratorIjlEEPS9_SE_NS0_5tupleIJPjSE_EEENSF_IJSE_SE_EEES9_SG_JZNS1_25segmented_radix_sort_implINS0_14default_configELb0EPK6__halfPSL_PKlPlN2at6native12_GLOBAL__N_18offset_tEEE10hipError_tPvRmT1_PNSt15iterator_traitsISZ_E10value_typeET2_T3_PNS10_IS15_E10value_typeET4_jRbjT5_S1B_jjP12ihipStream_tbEUljE_EEESW_SX_SY_S15_S19_S1B_T6_T7_T9_mT8_S1D_bDpT10_ENKUlT_T0_E_clISt17integral_constantIbLb1EES1Q_EEDaS1L_S1M_EUlS1L_E_NS1_11comp_targetILNS1_3genE0ELNS1_11target_archE4294967295ELNS1_3gpuE0ELNS1_3repE0EEENS1_30default_config_static_selectorELNS0_4arch9wavefront6targetE0EEEvSZ_,@function
_ZN7rocprim17ROCPRIM_400000_NS6detail17trampoline_kernelINS0_13select_configILj256ELj13ELNS0_17block_load_methodE3ELS4_3ELS4_3ELNS0_20block_scan_algorithmE0ELj4294967295EEENS1_25partition_config_selectorILNS1_17partition_subalgoE3EjNS0_10empty_typeEbEEZZNS1_14partition_implILS8_3ELb0ES6_jNS0_17counting_iteratorIjlEEPS9_SE_NS0_5tupleIJPjSE_EEENSF_IJSE_SE_EEES9_SG_JZNS1_25segmented_radix_sort_implINS0_14default_configELb0EPK6__halfPSL_PKlPlN2at6native12_GLOBAL__N_18offset_tEEE10hipError_tPvRmT1_PNSt15iterator_traitsISZ_E10value_typeET2_T3_PNS10_IS15_E10value_typeET4_jRbjT5_S1B_jjP12ihipStream_tbEUljE_EEESW_SX_SY_S15_S19_S1B_T6_T7_T9_mT8_S1D_bDpT10_ENKUlT_T0_E_clISt17integral_constantIbLb1EES1Q_EEDaS1L_S1M_EUlS1L_E_NS1_11comp_targetILNS1_3genE0ELNS1_11target_archE4294967295ELNS1_3gpuE0ELNS1_3repE0EEENS1_30default_config_static_selectorELNS0_4arch9wavefront6targetE0EEEvSZ_: ; @_ZN7rocprim17ROCPRIM_400000_NS6detail17trampoline_kernelINS0_13select_configILj256ELj13ELNS0_17block_load_methodE3ELS4_3ELS4_3ELNS0_20block_scan_algorithmE0ELj4294967295EEENS1_25partition_config_selectorILNS1_17partition_subalgoE3EjNS0_10empty_typeEbEEZZNS1_14partition_implILS8_3ELb0ES6_jNS0_17counting_iteratorIjlEEPS9_SE_NS0_5tupleIJPjSE_EEENSF_IJSE_SE_EEES9_SG_JZNS1_25segmented_radix_sort_implINS0_14default_configELb0EPK6__halfPSL_PKlPlN2at6native12_GLOBAL__N_18offset_tEEE10hipError_tPvRmT1_PNSt15iterator_traitsISZ_E10value_typeET2_T3_PNS10_IS15_E10value_typeET4_jRbjT5_S1B_jjP12ihipStream_tbEUljE_EEESW_SX_SY_S15_S19_S1B_T6_T7_T9_mT8_S1D_bDpT10_ENKUlT_T0_E_clISt17integral_constantIbLb1EES1Q_EEDaS1L_S1M_EUlS1L_E_NS1_11comp_targetILNS1_3genE0ELNS1_11target_archE4294967295ELNS1_3gpuE0ELNS1_3repE0EEENS1_30default_config_static_selectorELNS0_4arch9wavefront6targetE0EEEvSZ_
; %bb.0:
	.section	.rodata,"a",@progbits
	.p2align	6, 0x0
	.amdhsa_kernel _ZN7rocprim17ROCPRIM_400000_NS6detail17trampoline_kernelINS0_13select_configILj256ELj13ELNS0_17block_load_methodE3ELS4_3ELS4_3ELNS0_20block_scan_algorithmE0ELj4294967295EEENS1_25partition_config_selectorILNS1_17partition_subalgoE3EjNS0_10empty_typeEbEEZZNS1_14partition_implILS8_3ELb0ES6_jNS0_17counting_iteratorIjlEEPS9_SE_NS0_5tupleIJPjSE_EEENSF_IJSE_SE_EEES9_SG_JZNS1_25segmented_radix_sort_implINS0_14default_configELb0EPK6__halfPSL_PKlPlN2at6native12_GLOBAL__N_18offset_tEEE10hipError_tPvRmT1_PNSt15iterator_traitsISZ_E10value_typeET2_T3_PNS10_IS15_E10value_typeET4_jRbjT5_S1B_jjP12ihipStream_tbEUljE_EEESW_SX_SY_S15_S19_S1B_T6_T7_T9_mT8_S1D_bDpT10_ENKUlT_T0_E_clISt17integral_constantIbLb1EES1Q_EEDaS1L_S1M_EUlS1L_E_NS1_11comp_targetILNS1_3genE0ELNS1_11target_archE4294967295ELNS1_3gpuE0ELNS1_3repE0EEENS1_30default_config_static_selectorELNS0_4arch9wavefront6targetE0EEEvSZ_
		.amdhsa_group_segment_fixed_size 0
		.amdhsa_private_segment_fixed_size 0
		.amdhsa_kernarg_size 152
		.amdhsa_user_sgpr_count 2
		.amdhsa_user_sgpr_dispatch_ptr 0
		.amdhsa_user_sgpr_queue_ptr 0
		.amdhsa_user_sgpr_kernarg_segment_ptr 1
		.amdhsa_user_sgpr_dispatch_id 0
		.amdhsa_user_sgpr_private_segment_size 0
		.amdhsa_wavefront_size32 1
		.amdhsa_uses_dynamic_stack 0
		.amdhsa_enable_private_segment 0
		.amdhsa_system_sgpr_workgroup_id_x 1
		.amdhsa_system_sgpr_workgroup_id_y 0
		.amdhsa_system_sgpr_workgroup_id_z 0
		.amdhsa_system_sgpr_workgroup_info 0
		.amdhsa_system_vgpr_workitem_id 0
		.amdhsa_next_free_vgpr 1
		.amdhsa_next_free_sgpr 1
		.amdhsa_reserve_vcc 0
		.amdhsa_float_round_mode_32 0
		.amdhsa_float_round_mode_16_64 0
		.amdhsa_float_denorm_mode_32 3
		.amdhsa_float_denorm_mode_16_64 3
		.amdhsa_fp16_overflow 0
		.amdhsa_workgroup_processor_mode 1
		.amdhsa_memory_ordered 1
		.amdhsa_forward_progress 1
		.amdhsa_inst_pref_size 0
		.amdhsa_round_robin_scheduling 0
		.amdhsa_exception_fp_ieee_invalid_op 0
		.amdhsa_exception_fp_denorm_src 0
		.amdhsa_exception_fp_ieee_div_zero 0
		.amdhsa_exception_fp_ieee_overflow 0
		.amdhsa_exception_fp_ieee_underflow 0
		.amdhsa_exception_fp_ieee_inexact 0
		.amdhsa_exception_int_div_zero 0
	.end_amdhsa_kernel
	.section	.text._ZN7rocprim17ROCPRIM_400000_NS6detail17trampoline_kernelINS0_13select_configILj256ELj13ELNS0_17block_load_methodE3ELS4_3ELS4_3ELNS0_20block_scan_algorithmE0ELj4294967295EEENS1_25partition_config_selectorILNS1_17partition_subalgoE3EjNS0_10empty_typeEbEEZZNS1_14partition_implILS8_3ELb0ES6_jNS0_17counting_iteratorIjlEEPS9_SE_NS0_5tupleIJPjSE_EEENSF_IJSE_SE_EEES9_SG_JZNS1_25segmented_radix_sort_implINS0_14default_configELb0EPK6__halfPSL_PKlPlN2at6native12_GLOBAL__N_18offset_tEEE10hipError_tPvRmT1_PNSt15iterator_traitsISZ_E10value_typeET2_T3_PNS10_IS15_E10value_typeET4_jRbjT5_S1B_jjP12ihipStream_tbEUljE_EEESW_SX_SY_S15_S19_S1B_T6_T7_T9_mT8_S1D_bDpT10_ENKUlT_T0_E_clISt17integral_constantIbLb1EES1Q_EEDaS1L_S1M_EUlS1L_E_NS1_11comp_targetILNS1_3genE0ELNS1_11target_archE4294967295ELNS1_3gpuE0ELNS1_3repE0EEENS1_30default_config_static_selectorELNS0_4arch9wavefront6targetE0EEEvSZ_,"axG",@progbits,_ZN7rocprim17ROCPRIM_400000_NS6detail17trampoline_kernelINS0_13select_configILj256ELj13ELNS0_17block_load_methodE3ELS4_3ELS4_3ELNS0_20block_scan_algorithmE0ELj4294967295EEENS1_25partition_config_selectorILNS1_17partition_subalgoE3EjNS0_10empty_typeEbEEZZNS1_14partition_implILS8_3ELb0ES6_jNS0_17counting_iteratorIjlEEPS9_SE_NS0_5tupleIJPjSE_EEENSF_IJSE_SE_EEES9_SG_JZNS1_25segmented_radix_sort_implINS0_14default_configELb0EPK6__halfPSL_PKlPlN2at6native12_GLOBAL__N_18offset_tEEE10hipError_tPvRmT1_PNSt15iterator_traitsISZ_E10value_typeET2_T3_PNS10_IS15_E10value_typeET4_jRbjT5_S1B_jjP12ihipStream_tbEUljE_EEESW_SX_SY_S15_S19_S1B_T6_T7_T9_mT8_S1D_bDpT10_ENKUlT_T0_E_clISt17integral_constantIbLb1EES1Q_EEDaS1L_S1M_EUlS1L_E_NS1_11comp_targetILNS1_3genE0ELNS1_11target_archE4294967295ELNS1_3gpuE0ELNS1_3repE0EEENS1_30default_config_static_selectorELNS0_4arch9wavefront6targetE0EEEvSZ_,comdat
.Lfunc_end1818:
	.size	_ZN7rocprim17ROCPRIM_400000_NS6detail17trampoline_kernelINS0_13select_configILj256ELj13ELNS0_17block_load_methodE3ELS4_3ELS4_3ELNS0_20block_scan_algorithmE0ELj4294967295EEENS1_25partition_config_selectorILNS1_17partition_subalgoE3EjNS0_10empty_typeEbEEZZNS1_14partition_implILS8_3ELb0ES6_jNS0_17counting_iteratorIjlEEPS9_SE_NS0_5tupleIJPjSE_EEENSF_IJSE_SE_EEES9_SG_JZNS1_25segmented_radix_sort_implINS0_14default_configELb0EPK6__halfPSL_PKlPlN2at6native12_GLOBAL__N_18offset_tEEE10hipError_tPvRmT1_PNSt15iterator_traitsISZ_E10value_typeET2_T3_PNS10_IS15_E10value_typeET4_jRbjT5_S1B_jjP12ihipStream_tbEUljE_EEESW_SX_SY_S15_S19_S1B_T6_T7_T9_mT8_S1D_bDpT10_ENKUlT_T0_E_clISt17integral_constantIbLb1EES1Q_EEDaS1L_S1M_EUlS1L_E_NS1_11comp_targetILNS1_3genE0ELNS1_11target_archE4294967295ELNS1_3gpuE0ELNS1_3repE0EEENS1_30default_config_static_selectorELNS0_4arch9wavefront6targetE0EEEvSZ_, .Lfunc_end1818-_ZN7rocprim17ROCPRIM_400000_NS6detail17trampoline_kernelINS0_13select_configILj256ELj13ELNS0_17block_load_methodE3ELS4_3ELS4_3ELNS0_20block_scan_algorithmE0ELj4294967295EEENS1_25partition_config_selectorILNS1_17partition_subalgoE3EjNS0_10empty_typeEbEEZZNS1_14partition_implILS8_3ELb0ES6_jNS0_17counting_iteratorIjlEEPS9_SE_NS0_5tupleIJPjSE_EEENSF_IJSE_SE_EEES9_SG_JZNS1_25segmented_radix_sort_implINS0_14default_configELb0EPK6__halfPSL_PKlPlN2at6native12_GLOBAL__N_18offset_tEEE10hipError_tPvRmT1_PNSt15iterator_traitsISZ_E10value_typeET2_T3_PNS10_IS15_E10value_typeET4_jRbjT5_S1B_jjP12ihipStream_tbEUljE_EEESW_SX_SY_S15_S19_S1B_T6_T7_T9_mT8_S1D_bDpT10_ENKUlT_T0_E_clISt17integral_constantIbLb1EES1Q_EEDaS1L_S1M_EUlS1L_E_NS1_11comp_targetILNS1_3genE0ELNS1_11target_archE4294967295ELNS1_3gpuE0ELNS1_3repE0EEENS1_30default_config_static_selectorELNS0_4arch9wavefront6targetE0EEEvSZ_
                                        ; -- End function
	.set _ZN7rocprim17ROCPRIM_400000_NS6detail17trampoline_kernelINS0_13select_configILj256ELj13ELNS0_17block_load_methodE3ELS4_3ELS4_3ELNS0_20block_scan_algorithmE0ELj4294967295EEENS1_25partition_config_selectorILNS1_17partition_subalgoE3EjNS0_10empty_typeEbEEZZNS1_14partition_implILS8_3ELb0ES6_jNS0_17counting_iteratorIjlEEPS9_SE_NS0_5tupleIJPjSE_EEENSF_IJSE_SE_EEES9_SG_JZNS1_25segmented_radix_sort_implINS0_14default_configELb0EPK6__halfPSL_PKlPlN2at6native12_GLOBAL__N_18offset_tEEE10hipError_tPvRmT1_PNSt15iterator_traitsISZ_E10value_typeET2_T3_PNS10_IS15_E10value_typeET4_jRbjT5_S1B_jjP12ihipStream_tbEUljE_EEESW_SX_SY_S15_S19_S1B_T6_T7_T9_mT8_S1D_bDpT10_ENKUlT_T0_E_clISt17integral_constantIbLb1EES1Q_EEDaS1L_S1M_EUlS1L_E_NS1_11comp_targetILNS1_3genE0ELNS1_11target_archE4294967295ELNS1_3gpuE0ELNS1_3repE0EEENS1_30default_config_static_selectorELNS0_4arch9wavefront6targetE0EEEvSZ_.num_vgpr, 0
	.set _ZN7rocprim17ROCPRIM_400000_NS6detail17trampoline_kernelINS0_13select_configILj256ELj13ELNS0_17block_load_methodE3ELS4_3ELS4_3ELNS0_20block_scan_algorithmE0ELj4294967295EEENS1_25partition_config_selectorILNS1_17partition_subalgoE3EjNS0_10empty_typeEbEEZZNS1_14partition_implILS8_3ELb0ES6_jNS0_17counting_iteratorIjlEEPS9_SE_NS0_5tupleIJPjSE_EEENSF_IJSE_SE_EEES9_SG_JZNS1_25segmented_radix_sort_implINS0_14default_configELb0EPK6__halfPSL_PKlPlN2at6native12_GLOBAL__N_18offset_tEEE10hipError_tPvRmT1_PNSt15iterator_traitsISZ_E10value_typeET2_T3_PNS10_IS15_E10value_typeET4_jRbjT5_S1B_jjP12ihipStream_tbEUljE_EEESW_SX_SY_S15_S19_S1B_T6_T7_T9_mT8_S1D_bDpT10_ENKUlT_T0_E_clISt17integral_constantIbLb1EES1Q_EEDaS1L_S1M_EUlS1L_E_NS1_11comp_targetILNS1_3genE0ELNS1_11target_archE4294967295ELNS1_3gpuE0ELNS1_3repE0EEENS1_30default_config_static_selectorELNS0_4arch9wavefront6targetE0EEEvSZ_.num_agpr, 0
	.set _ZN7rocprim17ROCPRIM_400000_NS6detail17trampoline_kernelINS0_13select_configILj256ELj13ELNS0_17block_load_methodE3ELS4_3ELS4_3ELNS0_20block_scan_algorithmE0ELj4294967295EEENS1_25partition_config_selectorILNS1_17partition_subalgoE3EjNS0_10empty_typeEbEEZZNS1_14partition_implILS8_3ELb0ES6_jNS0_17counting_iteratorIjlEEPS9_SE_NS0_5tupleIJPjSE_EEENSF_IJSE_SE_EEES9_SG_JZNS1_25segmented_radix_sort_implINS0_14default_configELb0EPK6__halfPSL_PKlPlN2at6native12_GLOBAL__N_18offset_tEEE10hipError_tPvRmT1_PNSt15iterator_traitsISZ_E10value_typeET2_T3_PNS10_IS15_E10value_typeET4_jRbjT5_S1B_jjP12ihipStream_tbEUljE_EEESW_SX_SY_S15_S19_S1B_T6_T7_T9_mT8_S1D_bDpT10_ENKUlT_T0_E_clISt17integral_constantIbLb1EES1Q_EEDaS1L_S1M_EUlS1L_E_NS1_11comp_targetILNS1_3genE0ELNS1_11target_archE4294967295ELNS1_3gpuE0ELNS1_3repE0EEENS1_30default_config_static_selectorELNS0_4arch9wavefront6targetE0EEEvSZ_.numbered_sgpr, 0
	.set _ZN7rocprim17ROCPRIM_400000_NS6detail17trampoline_kernelINS0_13select_configILj256ELj13ELNS0_17block_load_methodE3ELS4_3ELS4_3ELNS0_20block_scan_algorithmE0ELj4294967295EEENS1_25partition_config_selectorILNS1_17partition_subalgoE3EjNS0_10empty_typeEbEEZZNS1_14partition_implILS8_3ELb0ES6_jNS0_17counting_iteratorIjlEEPS9_SE_NS0_5tupleIJPjSE_EEENSF_IJSE_SE_EEES9_SG_JZNS1_25segmented_radix_sort_implINS0_14default_configELb0EPK6__halfPSL_PKlPlN2at6native12_GLOBAL__N_18offset_tEEE10hipError_tPvRmT1_PNSt15iterator_traitsISZ_E10value_typeET2_T3_PNS10_IS15_E10value_typeET4_jRbjT5_S1B_jjP12ihipStream_tbEUljE_EEESW_SX_SY_S15_S19_S1B_T6_T7_T9_mT8_S1D_bDpT10_ENKUlT_T0_E_clISt17integral_constantIbLb1EES1Q_EEDaS1L_S1M_EUlS1L_E_NS1_11comp_targetILNS1_3genE0ELNS1_11target_archE4294967295ELNS1_3gpuE0ELNS1_3repE0EEENS1_30default_config_static_selectorELNS0_4arch9wavefront6targetE0EEEvSZ_.num_named_barrier, 0
	.set _ZN7rocprim17ROCPRIM_400000_NS6detail17trampoline_kernelINS0_13select_configILj256ELj13ELNS0_17block_load_methodE3ELS4_3ELS4_3ELNS0_20block_scan_algorithmE0ELj4294967295EEENS1_25partition_config_selectorILNS1_17partition_subalgoE3EjNS0_10empty_typeEbEEZZNS1_14partition_implILS8_3ELb0ES6_jNS0_17counting_iteratorIjlEEPS9_SE_NS0_5tupleIJPjSE_EEENSF_IJSE_SE_EEES9_SG_JZNS1_25segmented_radix_sort_implINS0_14default_configELb0EPK6__halfPSL_PKlPlN2at6native12_GLOBAL__N_18offset_tEEE10hipError_tPvRmT1_PNSt15iterator_traitsISZ_E10value_typeET2_T3_PNS10_IS15_E10value_typeET4_jRbjT5_S1B_jjP12ihipStream_tbEUljE_EEESW_SX_SY_S15_S19_S1B_T6_T7_T9_mT8_S1D_bDpT10_ENKUlT_T0_E_clISt17integral_constantIbLb1EES1Q_EEDaS1L_S1M_EUlS1L_E_NS1_11comp_targetILNS1_3genE0ELNS1_11target_archE4294967295ELNS1_3gpuE0ELNS1_3repE0EEENS1_30default_config_static_selectorELNS0_4arch9wavefront6targetE0EEEvSZ_.private_seg_size, 0
	.set _ZN7rocprim17ROCPRIM_400000_NS6detail17trampoline_kernelINS0_13select_configILj256ELj13ELNS0_17block_load_methodE3ELS4_3ELS4_3ELNS0_20block_scan_algorithmE0ELj4294967295EEENS1_25partition_config_selectorILNS1_17partition_subalgoE3EjNS0_10empty_typeEbEEZZNS1_14partition_implILS8_3ELb0ES6_jNS0_17counting_iteratorIjlEEPS9_SE_NS0_5tupleIJPjSE_EEENSF_IJSE_SE_EEES9_SG_JZNS1_25segmented_radix_sort_implINS0_14default_configELb0EPK6__halfPSL_PKlPlN2at6native12_GLOBAL__N_18offset_tEEE10hipError_tPvRmT1_PNSt15iterator_traitsISZ_E10value_typeET2_T3_PNS10_IS15_E10value_typeET4_jRbjT5_S1B_jjP12ihipStream_tbEUljE_EEESW_SX_SY_S15_S19_S1B_T6_T7_T9_mT8_S1D_bDpT10_ENKUlT_T0_E_clISt17integral_constantIbLb1EES1Q_EEDaS1L_S1M_EUlS1L_E_NS1_11comp_targetILNS1_3genE0ELNS1_11target_archE4294967295ELNS1_3gpuE0ELNS1_3repE0EEENS1_30default_config_static_selectorELNS0_4arch9wavefront6targetE0EEEvSZ_.uses_vcc, 0
	.set _ZN7rocprim17ROCPRIM_400000_NS6detail17trampoline_kernelINS0_13select_configILj256ELj13ELNS0_17block_load_methodE3ELS4_3ELS4_3ELNS0_20block_scan_algorithmE0ELj4294967295EEENS1_25partition_config_selectorILNS1_17partition_subalgoE3EjNS0_10empty_typeEbEEZZNS1_14partition_implILS8_3ELb0ES6_jNS0_17counting_iteratorIjlEEPS9_SE_NS0_5tupleIJPjSE_EEENSF_IJSE_SE_EEES9_SG_JZNS1_25segmented_radix_sort_implINS0_14default_configELb0EPK6__halfPSL_PKlPlN2at6native12_GLOBAL__N_18offset_tEEE10hipError_tPvRmT1_PNSt15iterator_traitsISZ_E10value_typeET2_T3_PNS10_IS15_E10value_typeET4_jRbjT5_S1B_jjP12ihipStream_tbEUljE_EEESW_SX_SY_S15_S19_S1B_T6_T7_T9_mT8_S1D_bDpT10_ENKUlT_T0_E_clISt17integral_constantIbLb1EES1Q_EEDaS1L_S1M_EUlS1L_E_NS1_11comp_targetILNS1_3genE0ELNS1_11target_archE4294967295ELNS1_3gpuE0ELNS1_3repE0EEENS1_30default_config_static_selectorELNS0_4arch9wavefront6targetE0EEEvSZ_.uses_flat_scratch, 0
	.set _ZN7rocprim17ROCPRIM_400000_NS6detail17trampoline_kernelINS0_13select_configILj256ELj13ELNS0_17block_load_methodE3ELS4_3ELS4_3ELNS0_20block_scan_algorithmE0ELj4294967295EEENS1_25partition_config_selectorILNS1_17partition_subalgoE3EjNS0_10empty_typeEbEEZZNS1_14partition_implILS8_3ELb0ES6_jNS0_17counting_iteratorIjlEEPS9_SE_NS0_5tupleIJPjSE_EEENSF_IJSE_SE_EEES9_SG_JZNS1_25segmented_radix_sort_implINS0_14default_configELb0EPK6__halfPSL_PKlPlN2at6native12_GLOBAL__N_18offset_tEEE10hipError_tPvRmT1_PNSt15iterator_traitsISZ_E10value_typeET2_T3_PNS10_IS15_E10value_typeET4_jRbjT5_S1B_jjP12ihipStream_tbEUljE_EEESW_SX_SY_S15_S19_S1B_T6_T7_T9_mT8_S1D_bDpT10_ENKUlT_T0_E_clISt17integral_constantIbLb1EES1Q_EEDaS1L_S1M_EUlS1L_E_NS1_11comp_targetILNS1_3genE0ELNS1_11target_archE4294967295ELNS1_3gpuE0ELNS1_3repE0EEENS1_30default_config_static_selectorELNS0_4arch9wavefront6targetE0EEEvSZ_.has_dyn_sized_stack, 0
	.set _ZN7rocprim17ROCPRIM_400000_NS6detail17trampoline_kernelINS0_13select_configILj256ELj13ELNS0_17block_load_methodE3ELS4_3ELS4_3ELNS0_20block_scan_algorithmE0ELj4294967295EEENS1_25partition_config_selectorILNS1_17partition_subalgoE3EjNS0_10empty_typeEbEEZZNS1_14partition_implILS8_3ELb0ES6_jNS0_17counting_iteratorIjlEEPS9_SE_NS0_5tupleIJPjSE_EEENSF_IJSE_SE_EEES9_SG_JZNS1_25segmented_radix_sort_implINS0_14default_configELb0EPK6__halfPSL_PKlPlN2at6native12_GLOBAL__N_18offset_tEEE10hipError_tPvRmT1_PNSt15iterator_traitsISZ_E10value_typeET2_T3_PNS10_IS15_E10value_typeET4_jRbjT5_S1B_jjP12ihipStream_tbEUljE_EEESW_SX_SY_S15_S19_S1B_T6_T7_T9_mT8_S1D_bDpT10_ENKUlT_T0_E_clISt17integral_constantIbLb1EES1Q_EEDaS1L_S1M_EUlS1L_E_NS1_11comp_targetILNS1_3genE0ELNS1_11target_archE4294967295ELNS1_3gpuE0ELNS1_3repE0EEENS1_30default_config_static_selectorELNS0_4arch9wavefront6targetE0EEEvSZ_.has_recursion, 0
	.set _ZN7rocprim17ROCPRIM_400000_NS6detail17trampoline_kernelINS0_13select_configILj256ELj13ELNS0_17block_load_methodE3ELS4_3ELS4_3ELNS0_20block_scan_algorithmE0ELj4294967295EEENS1_25partition_config_selectorILNS1_17partition_subalgoE3EjNS0_10empty_typeEbEEZZNS1_14partition_implILS8_3ELb0ES6_jNS0_17counting_iteratorIjlEEPS9_SE_NS0_5tupleIJPjSE_EEENSF_IJSE_SE_EEES9_SG_JZNS1_25segmented_radix_sort_implINS0_14default_configELb0EPK6__halfPSL_PKlPlN2at6native12_GLOBAL__N_18offset_tEEE10hipError_tPvRmT1_PNSt15iterator_traitsISZ_E10value_typeET2_T3_PNS10_IS15_E10value_typeET4_jRbjT5_S1B_jjP12ihipStream_tbEUljE_EEESW_SX_SY_S15_S19_S1B_T6_T7_T9_mT8_S1D_bDpT10_ENKUlT_T0_E_clISt17integral_constantIbLb1EES1Q_EEDaS1L_S1M_EUlS1L_E_NS1_11comp_targetILNS1_3genE0ELNS1_11target_archE4294967295ELNS1_3gpuE0ELNS1_3repE0EEENS1_30default_config_static_selectorELNS0_4arch9wavefront6targetE0EEEvSZ_.has_indirect_call, 0
	.section	.AMDGPU.csdata,"",@progbits
; Kernel info:
; codeLenInByte = 0
; TotalNumSgprs: 0
; NumVgprs: 0
; ScratchSize: 0
; MemoryBound: 0
; FloatMode: 240
; IeeeMode: 1
; LDSByteSize: 0 bytes/workgroup (compile time only)
; SGPRBlocks: 0
; VGPRBlocks: 0
; NumSGPRsForWavesPerEU: 1
; NumVGPRsForWavesPerEU: 1
; Occupancy: 16
; WaveLimiterHint : 0
; COMPUTE_PGM_RSRC2:SCRATCH_EN: 0
; COMPUTE_PGM_RSRC2:USER_SGPR: 2
; COMPUTE_PGM_RSRC2:TRAP_HANDLER: 0
; COMPUTE_PGM_RSRC2:TGID_X_EN: 1
; COMPUTE_PGM_RSRC2:TGID_Y_EN: 0
; COMPUTE_PGM_RSRC2:TGID_Z_EN: 0
; COMPUTE_PGM_RSRC2:TIDIG_COMP_CNT: 0
	.section	.text._ZN7rocprim17ROCPRIM_400000_NS6detail17trampoline_kernelINS0_13select_configILj256ELj13ELNS0_17block_load_methodE3ELS4_3ELS4_3ELNS0_20block_scan_algorithmE0ELj4294967295EEENS1_25partition_config_selectorILNS1_17partition_subalgoE3EjNS0_10empty_typeEbEEZZNS1_14partition_implILS8_3ELb0ES6_jNS0_17counting_iteratorIjlEEPS9_SE_NS0_5tupleIJPjSE_EEENSF_IJSE_SE_EEES9_SG_JZNS1_25segmented_radix_sort_implINS0_14default_configELb0EPK6__halfPSL_PKlPlN2at6native12_GLOBAL__N_18offset_tEEE10hipError_tPvRmT1_PNSt15iterator_traitsISZ_E10value_typeET2_T3_PNS10_IS15_E10value_typeET4_jRbjT5_S1B_jjP12ihipStream_tbEUljE_EEESW_SX_SY_S15_S19_S1B_T6_T7_T9_mT8_S1D_bDpT10_ENKUlT_T0_E_clISt17integral_constantIbLb1EES1Q_EEDaS1L_S1M_EUlS1L_E_NS1_11comp_targetILNS1_3genE5ELNS1_11target_archE942ELNS1_3gpuE9ELNS1_3repE0EEENS1_30default_config_static_selectorELNS0_4arch9wavefront6targetE0EEEvSZ_,"axG",@progbits,_ZN7rocprim17ROCPRIM_400000_NS6detail17trampoline_kernelINS0_13select_configILj256ELj13ELNS0_17block_load_methodE3ELS4_3ELS4_3ELNS0_20block_scan_algorithmE0ELj4294967295EEENS1_25partition_config_selectorILNS1_17partition_subalgoE3EjNS0_10empty_typeEbEEZZNS1_14partition_implILS8_3ELb0ES6_jNS0_17counting_iteratorIjlEEPS9_SE_NS0_5tupleIJPjSE_EEENSF_IJSE_SE_EEES9_SG_JZNS1_25segmented_radix_sort_implINS0_14default_configELb0EPK6__halfPSL_PKlPlN2at6native12_GLOBAL__N_18offset_tEEE10hipError_tPvRmT1_PNSt15iterator_traitsISZ_E10value_typeET2_T3_PNS10_IS15_E10value_typeET4_jRbjT5_S1B_jjP12ihipStream_tbEUljE_EEESW_SX_SY_S15_S19_S1B_T6_T7_T9_mT8_S1D_bDpT10_ENKUlT_T0_E_clISt17integral_constantIbLb1EES1Q_EEDaS1L_S1M_EUlS1L_E_NS1_11comp_targetILNS1_3genE5ELNS1_11target_archE942ELNS1_3gpuE9ELNS1_3repE0EEENS1_30default_config_static_selectorELNS0_4arch9wavefront6targetE0EEEvSZ_,comdat
	.globl	_ZN7rocprim17ROCPRIM_400000_NS6detail17trampoline_kernelINS0_13select_configILj256ELj13ELNS0_17block_load_methodE3ELS4_3ELS4_3ELNS0_20block_scan_algorithmE0ELj4294967295EEENS1_25partition_config_selectorILNS1_17partition_subalgoE3EjNS0_10empty_typeEbEEZZNS1_14partition_implILS8_3ELb0ES6_jNS0_17counting_iteratorIjlEEPS9_SE_NS0_5tupleIJPjSE_EEENSF_IJSE_SE_EEES9_SG_JZNS1_25segmented_radix_sort_implINS0_14default_configELb0EPK6__halfPSL_PKlPlN2at6native12_GLOBAL__N_18offset_tEEE10hipError_tPvRmT1_PNSt15iterator_traitsISZ_E10value_typeET2_T3_PNS10_IS15_E10value_typeET4_jRbjT5_S1B_jjP12ihipStream_tbEUljE_EEESW_SX_SY_S15_S19_S1B_T6_T7_T9_mT8_S1D_bDpT10_ENKUlT_T0_E_clISt17integral_constantIbLb1EES1Q_EEDaS1L_S1M_EUlS1L_E_NS1_11comp_targetILNS1_3genE5ELNS1_11target_archE942ELNS1_3gpuE9ELNS1_3repE0EEENS1_30default_config_static_selectorELNS0_4arch9wavefront6targetE0EEEvSZ_ ; -- Begin function _ZN7rocprim17ROCPRIM_400000_NS6detail17trampoline_kernelINS0_13select_configILj256ELj13ELNS0_17block_load_methodE3ELS4_3ELS4_3ELNS0_20block_scan_algorithmE0ELj4294967295EEENS1_25partition_config_selectorILNS1_17partition_subalgoE3EjNS0_10empty_typeEbEEZZNS1_14partition_implILS8_3ELb0ES6_jNS0_17counting_iteratorIjlEEPS9_SE_NS0_5tupleIJPjSE_EEENSF_IJSE_SE_EEES9_SG_JZNS1_25segmented_radix_sort_implINS0_14default_configELb0EPK6__halfPSL_PKlPlN2at6native12_GLOBAL__N_18offset_tEEE10hipError_tPvRmT1_PNSt15iterator_traitsISZ_E10value_typeET2_T3_PNS10_IS15_E10value_typeET4_jRbjT5_S1B_jjP12ihipStream_tbEUljE_EEESW_SX_SY_S15_S19_S1B_T6_T7_T9_mT8_S1D_bDpT10_ENKUlT_T0_E_clISt17integral_constantIbLb1EES1Q_EEDaS1L_S1M_EUlS1L_E_NS1_11comp_targetILNS1_3genE5ELNS1_11target_archE942ELNS1_3gpuE9ELNS1_3repE0EEENS1_30default_config_static_selectorELNS0_4arch9wavefront6targetE0EEEvSZ_
	.p2align	8
	.type	_ZN7rocprim17ROCPRIM_400000_NS6detail17trampoline_kernelINS0_13select_configILj256ELj13ELNS0_17block_load_methodE3ELS4_3ELS4_3ELNS0_20block_scan_algorithmE0ELj4294967295EEENS1_25partition_config_selectorILNS1_17partition_subalgoE3EjNS0_10empty_typeEbEEZZNS1_14partition_implILS8_3ELb0ES6_jNS0_17counting_iteratorIjlEEPS9_SE_NS0_5tupleIJPjSE_EEENSF_IJSE_SE_EEES9_SG_JZNS1_25segmented_radix_sort_implINS0_14default_configELb0EPK6__halfPSL_PKlPlN2at6native12_GLOBAL__N_18offset_tEEE10hipError_tPvRmT1_PNSt15iterator_traitsISZ_E10value_typeET2_T3_PNS10_IS15_E10value_typeET4_jRbjT5_S1B_jjP12ihipStream_tbEUljE_EEESW_SX_SY_S15_S19_S1B_T6_T7_T9_mT8_S1D_bDpT10_ENKUlT_T0_E_clISt17integral_constantIbLb1EES1Q_EEDaS1L_S1M_EUlS1L_E_NS1_11comp_targetILNS1_3genE5ELNS1_11target_archE942ELNS1_3gpuE9ELNS1_3repE0EEENS1_30default_config_static_selectorELNS0_4arch9wavefront6targetE0EEEvSZ_,@function
_ZN7rocprim17ROCPRIM_400000_NS6detail17trampoline_kernelINS0_13select_configILj256ELj13ELNS0_17block_load_methodE3ELS4_3ELS4_3ELNS0_20block_scan_algorithmE0ELj4294967295EEENS1_25partition_config_selectorILNS1_17partition_subalgoE3EjNS0_10empty_typeEbEEZZNS1_14partition_implILS8_3ELb0ES6_jNS0_17counting_iteratorIjlEEPS9_SE_NS0_5tupleIJPjSE_EEENSF_IJSE_SE_EEES9_SG_JZNS1_25segmented_radix_sort_implINS0_14default_configELb0EPK6__halfPSL_PKlPlN2at6native12_GLOBAL__N_18offset_tEEE10hipError_tPvRmT1_PNSt15iterator_traitsISZ_E10value_typeET2_T3_PNS10_IS15_E10value_typeET4_jRbjT5_S1B_jjP12ihipStream_tbEUljE_EEESW_SX_SY_S15_S19_S1B_T6_T7_T9_mT8_S1D_bDpT10_ENKUlT_T0_E_clISt17integral_constantIbLb1EES1Q_EEDaS1L_S1M_EUlS1L_E_NS1_11comp_targetILNS1_3genE5ELNS1_11target_archE942ELNS1_3gpuE9ELNS1_3repE0EEENS1_30default_config_static_selectorELNS0_4arch9wavefront6targetE0EEEvSZ_: ; @_ZN7rocprim17ROCPRIM_400000_NS6detail17trampoline_kernelINS0_13select_configILj256ELj13ELNS0_17block_load_methodE3ELS4_3ELS4_3ELNS0_20block_scan_algorithmE0ELj4294967295EEENS1_25partition_config_selectorILNS1_17partition_subalgoE3EjNS0_10empty_typeEbEEZZNS1_14partition_implILS8_3ELb0ES6_jNS0_17counting_iteratorIjlEEPS9_SE_NS0_5tupleIJPjSE_EEENSF_IJSE_SE_EEES9_SG_JZNS1_25segmented_radix_sort_implINS0_14default_configELb0EPK6__halfPSL_PKlPlN2at6native12_GLOBAL__N_18offset_tEEE10hipError_tPvRmT1_PNSt15iterator_traitsISZ_E10value_typeET2_T3_PNS10_IS15_E10value_typeET4_jRbjT5_S1B_jjP12ihipStream_tbEUljE_EEESW_SX_SY_S15_S19_S1B_T6_T7_T9_mT8_S1D_bDpT10_ENKUlT_T0_E_clISt17integral_constantIbLb1EES1Q_EEDaS1L_S1M_EUlS1L_E_NS1_11comp_targetILNS1_3genE5ELNS1_11target_archE942ELNS1_3gpuE9ELNS1_3repE0EEENS1_30default_config_static_selectorELNS0_4arch9wavefront6targetE0EEEvSZ_
; %bb.0:
	.section	.rodata,"a",@progbits
	.p2align	6, 0x0
	.amdhsa_kernel _ZN7rocprim17ROCPRIM_400000_NS6detail17trampoline_kernelINS0_13select_configILj256ELj13ELNS0_17block_load_methodE3ELS4_3ELS4_3ELNS0_20block_scan_algorithmE0ELj4294967295EEENS1_25partition_config_selectorILNS1_17partition_subalgoE3EjNS0_10empty_typeEbEEZZNS1_14partition_implILS8_3ELb0ES6_jNS0_17counting_iteratorIjlEEPS9_SE_NS0_5tupleIJPjSE_EEENSF_IJSE_SE_EEES9_SG_JZNS1_25segmented_radix_sort_implINS0_14default_configELb0EPK6__halfPSL_PKlPlN2at6native12_GLOBAL__N_18offset_tEEE10hipError_tPvRmT1_PNSt15iterator_traitsISZ_E10value_typeET2_T3_PNS10_IS15_E10value_typeET4_jRbjT5_S1B_jjP12ihipStream_tbEUljE_EEESW_SX_SY_S15_S19_S1B_T6_T7_T9_mT8_S1D_bDpT10_ENKUlT_T0_E_clISt17integral_constantIbLb1EES1Q_EEDaS1L_S1M_EUlS1L_E_NS1_11comp_targetILNS1_3genE5ELNS1_11target_archE942ELNS1_3gpuE9ELNS1_3repE0EEENS1_30default_config_static_selectorELNS0_4arch9wavefront6targetE0EEEvSZ_
		.amdhsa_group_segment_fixed_size 0
		.amdhsa_private_segment_fixed_size 0
		.amdhsa_kernarg_size 152
		.amdhsa_user_sgpr_count 2
		.amdhsa_user_sgpr_dispatch_ptr 0
		.amdhsa_user_sgpr_queue_ptr 0
		.amdhsa_user_sgpr_kernarg_segment_ptr 1
		.amdhsa_user_sgpr_dispatch_id 0
		.amdhsa_user_sgpr_private_segment_size 0
		.amdhsa_wavefront_size32 1
		.amdhsa_uses_dynamic_stack 0
		.amdhsa_enable_private_segment 0
		.amdhsa_system_sgpr_workgroup_id_x 1
		.amdhsa_system_sgpr_workgroup_id_y 0
		.amdhsa_system_sgpr_workgroup_id_z 0
		.amdhsa_system_sgpr_workgroup_info 0
		.amdhsa_system_vgpr_workitem_id 0
		.amdhsa_next_free_vgpr 1
		.amdhsa_next_free_sgpr 1
		.amdhsa_reserve_vcc 0
		.amdhsa_float_round_mode_32 0
		.amdhsa_float_round_mode_16_64 0
		.amdhsa_float_denorm_mode_32 3
		.amdhsa_float_denorm_mode_16_64 3
		.amdhsa_fp16_overflow 0
		.amdhsa_workgroup_processor_mode 1
		.amdhsa_memory_ordered 1
		.amdhsa_forward_progress 1
		.amdhsa_inst_pref_size 0
		.amdhsa_round_robin_scheduling 0
		.amdhsa_exception_fp_ieee_invalid_op 0
		.amdhsa_exception_fp_denorm_src 0
		.amdhsa_exception_fp_ieee_div_zero 0
		.amdhsa_exception_fp_ieee_overflow 0
		.amdhsa_exception_fp_ieee_underflow 0
		.amdhsa_exception_fp_ieee_inexact 0
		.amdhsa_exception_int_div_zero 0
	.end_amdhsa_kernel
	.section	.text._ZN7rocprim17ROCPRIM_400000_NS6detail17trampoline_kernelINS0_13select_configILj256ELj13ELNS0_17block_load_methodE3ELS4_3ELS4_3ELNS0_20block_scan_algorithmE0ELj4294967295EEENS1_25partition_config_selectorILNS1_17partition_subalgoE3EjNS0_10empty_typeEbEEZZNS1_14partition_implILS8_3ELb0ES6_jNS0_17counting_iteratorIjlEEPS9_SE_NS0_5tupleIJPjSE_EEENSF_IJSE_SE_EEES9_SG_JZNS1_25segmented_radix_sort_implINS0_14default_configELb0EPK6__halfPSL_PKlPlN2at6native12_GLOBAL__N_18offset_tEEE10hipError_tPvRmT1_PNSt15iterator_traitsISZ_E10value_typeET2_T3_PNS10_IS15_E10value_typeET4_jRbjT5_S1B_jjP12ihipStream_tbEUljE_EEESW_SX_SY_S15_S19_S1B_T6_T7_T9_mT8_S1D_bDpT10_ENKUlT_T0_E_clISt17integral_constantIbLb1EES1Q_EEDaS1L_S1M_EUlS1L_E_NS1_11comp_targetILNS1_3genE5ELNS1_11target_archE942ELNS1_3gpuE9ELNS1_3repE0EEENS1_30default_config_static_selectorELNS0_4arch9wavefront6targetE0EEEvSZ_,"axG",@progbits,_ZN7rocprim17ROCPRIM_400000_NS6detail17trampoline_kernelINS0_13select_configILj256ELj13ELNS0_17block_load_methodE3ELS4_3ELS4_3ELNS0_20block_scan_algorithmE0ELj4294967295EEENS1_25partition_config_selectorILNS1_17partition_subalgoE3EjNS0_10empty_typeEbEEZZNS1_14partition_implILS8_3ELb0ES6_jNS0_17counting_iteratorIjlEEPS9_SE_NS0_5tupleIJPjSE_EEENSF_IJSE_SE_EEES9_SG_JZNS1_25segmented_radix_sort_implINS0_14default_configELb0EPK6__halfPSL_PKlPlN2at6native12_GLOBAL__N_18offset_tEEE10hipError_tPvRmT1_PNSt15iterator_traitsISZ_E10value_typeET2_T3_PNS10_IS15_E10value_typeET4_jRbjT5_S1B_jjP12ihipStream_tbEUljE_EEESW_SX_SY_S15_S19_S1B_T6_T7_T9_mT8_S1D_bDpT10_ENKUlT_T0_E_clISt17integral_constantIbLb1EES1Q_EEDaS1L_S1M_EUlS1L_E_NS1_11comp_targetILNS1_3genE5ELNS1_11target_archE942ELNS1_3gpuE9ELNS1_3repE0EEENS1_30default_config_static_selectorELNS0_4arch9wavefront6targetE0EEEvSZ_,comdat
.Lfunc_end1819:
	.size	_ZN7rocprim17ROCPRIM_400000_NS6detail17trampoline_kernelINS0_13select_configILj256ELj13ELNS0_17block_load_methodE3ELS4_3ELS4_3ELNS0_20block_scan_algorithmE0ELj4294967295EEENS1_25partition_config_selectorILNS1_17partition_subalgoE3EjNS0_10empty_typeEbEEZZNS1_14partition_implILS8_3ELb0ES6_jNS0_17counting_iteratorIjlEEPS9_SE_NS0_5tupleIJPjSE_EEENSF_IJSE_SE_EEES9_SG_JZNS1_25segmented_radix_sort_implINS0_14default_configELb0EPK6__halfPSL_PKlPlN2at6native12_GLOBAL__N_18offset_tEEE10hipError_tPvRmT1_PNSt15iterator_traitsISZ_E10value_typeET2_T3_PNS10_IS15_E10value_typeET4_jRbjT5_S1B_jjP12ihipStream_tbEUljE_EEESW_SX_SY_S15_S19_S1B_T6_T7_T9_mT8_S1D_bDpT10_ENKUlT_T0_E_clISt17integral_constantIbLb1EES1Q_EEDaS1L_S1M_EUlS1L_E_NS1_11comp_targetILNS1_3genE5ELNS1_11target_archE942ELNS1_3gpuE9ELNS1_3repE0EEENS1_30default_config_static_selectorELNS0_4arch9wavefront6targetE0EEEvSZ_, .Lfunc_end1819-_ZN7rocprim17ROCPRIM_400000_NS6detail17trampoline_kernelINS0_13select_configILj256ELj13ELNS0_17block_load_methodE3ELS4_3ELS4_3ELNS0_20block_scan_algorithmE0ELj4294967295EEENS1_25partition_config_selectorILNS1_17partition_subalgoE3EjNS0_10empty_typeEbEEZZNS1_14partition_implILS8_3ELb0ES6_jNS0_17counting_iteratorIjlEEPS9_SE_NS0_5tupleIJPjSE_EEENSF_IJSE_SE_EEES9_SG_JZNS1_25segmented_radix_sort_implINS0_14default_configELb0EPK6__halfPSL_PKlPlN2at6native12_GLOBAL__N_18offset_tEEE10hipError_tPvRmT1_PNSt15iterator_traitsISZ_E10value_typeET2_T3_PNS10_IS15_E10value_typeET4_jRbjT5_S1B_jjP12ihipStream_tbEUljE_EEESW_SX_SY_S15_S19_S1B_T6_T7_T9_mT8_S1D_bDpT10_ENKUlT_T0_E_clISt17integral_constantIbLb1EES1Q_EEDaS1L_S1M_EUlS1L_E_NS1_11comp_targetILNS1_3genE5ELNS1_11target_archE942ELNS1_3gpuE9ELNS1_3repE0EEENS1_30default_config_static_selectorELNS0_4arch9wavefront6targetE0EEEvSZ_
                                        ; -- End function
	.set _ZN7rocprim17ROCPRIM_400000_NS6detail17trampoline_kernelINS0_13select_configILj256ELj13ELNS0_17block_load_methodE3ELS4_3ELS4_3ELNS0_20block_scan_algorithmE0ELj4294967295EEENS1_25partition_config_selectorILNS1_17partition_subalgoE3EjNS0_10empty_typeEbEEZZNS1_14partition_implILS8_3ELb0ES6_jNS0_17counting_iteratorIjlEEPS9_SE_NS0_5tupleIJPjSE_EEENSF_IJSE_SE_EEES9_SG_JZNS1_25segmented_radix_sort_implINS0_14default_configELb0EPK6__halfPSL_PKlPlN2at6native12_GLOBAL__N_18offset_tEEE10hipError_tPvRmT1_PNSt15iterator_traitsISZ_E10value_typeET2_T3_PNS10_IS15_E10value_typeET4_jRbjT5_S1B_jjP12ihipStream_tbEUljE_EEESW_SX_SY_S15_S19_S1B_T6_T7_T9_mT8_S1D_bDpT10_ENKUlT_T0_E_clISt17integral_constantIbLb1EES1Q_EEDaS1L_S1M_EUlS1L_E_NS1_11comp_targetILNS1_3genE5ELNS1_11target_archE942ELNS1_3gpuE9ELNS1_3repE0EEENS1_30default_config_static_selectorELNS0_4arch9wavefront6targetE0EEEvSZ_.num_vgpr, 0
	.set _ZN7rocprim17ROCPRIM_400000_NS6detail17trampoline_kernelINS0_13select_configILj256ELj13ELNS0_17block_load_methodE3ELS4_3ELS4_3ELNS0_20block_scan_algorithmE0ELj4294967295EEENS1_25partition_config_selectorILNS1_17partition_subalgoE3EjNS0_10empty_typeEbEEZZNS1_14partition_implILS8_3ELb0ES6_jNS0_17counting_iteratorIjlEEPS9_SE_NS0_5tupleIJPjSE_EEENSF_IJSE_SE_EEES9_SG_JZNS1_25segmented_radix_sort_implINS0_14default_configELb0EPK6__halfPSL_PKlPlN2at6native12_GLOBAL__N_18offset_tEEE10hipError_tPvRmT1_PNSt15iterator_traitsISZ_E10value_typeET2_T3_PNS10_IS15_E10value_typeET4_jRbjT5_S1B_jjP12ihipStream_tbEUljE_EEESW_SX_SY_S15_S19_S1B_T6_T7_T9_mT8_S1D_bDpT10_ENKUlT_T0_E_clISt17integral_constantIbLb1EES1Q_EEDaS1L_S1M_EUlS1L_E_NS1_11comp_targetILNS1_3genE5ELNS1_11target_archE942ELNS1_3gpuE9ELNS1_3repE0EEENS1_30default_config_static_selectorELNS0_4arch9wavefront6targetE0EEEvSZ_.num_agpr, 0
	.set _ZN7rocprim17ROCPRIM_400000_NS6detail17trampoline_kernelINS0_13select_configILj256ELj13ELNS0_17block_load_methodE3ELS4_3ELS4_3ELNS0_20block_scan_algorithmE0ELj4294967295EEENS1_25partition_config_selectorILNS1_17partition_subalgoE3EjNS0_10empty_typeEbEEZZNS1_14partition_implILS8_3ELb0ES6_jNS0_17counting_iteratorIjlEEPS9_SE_NS0_5tupleIJPjSE_EEENSF_IJSE_SE_EEES9_SG_JZNS1_25segmented_radix_sort_implINS0_14default_configELb0EPK6__halfPSL_PKlPlN2at6native12_GLOBAL__N_18offset_tEEE10hipError_tPvRmT1_PNSt15iterator_traitsISZ_E10value_typeET2_T3_PNS10_IS15_E10value_typeET4_jRbjT5_S1B_jjP12ihipStream_tbEUljE_EEESW_SX_SY_S15_S19_S1B_T6_T7_T9_mT8_S1D_bDpT10_ENKUlT_T0_E_clISt17integral_constantIbLb1EES1Q_EEDaS1L_S1M_EUlS1L_E_NS1_11comp_targetILNS1_3genE5ELNS1_11target_archE942ELNS1_3gpuE9ELNS1_3repE0EEENS1_30default_config_static_selectorELNS0_4arch9wavefront6targetE0EEEvSZ_.numbered_sgpr, 0
	.set _ZN7rocprim17ROCPRIM_400000_NS6detail17trampoline_kernelINS0_13select_configILj256ELj13ELNS0_17block_load_methodE3ELS4_3ELS4_3ELNS0_20block_scan_algorithmE0ELj4294967295EEENS1_25partition_config_selectorILNS1_17partition_subalgoE3EjNS0_10empty_typeEbEEZZNS1_14partition_implILS8_3ELb0ES6_jNS0_17counting_iteratorIjlEEPS9_SE_NS0_5tupleIJPjSE_EEENSF_IJSE_SE_EEES9_SG_JZNS1_25segmented_radix_sort_implINS0_14default_configELb0EPK6__halfPSL_PKlPlN2at6native12_GLOBAL__N_18offset_tEEE10hipError_tPvRmT1_PNSt15iterator_traitsISZ_E10value_typeET2_T3_PNS10_IS15_E10value_typeET4_jRbjT5_S1B_jjP12ihipStream_tbEUljE_EEESW_SX_SY_S15_S19_S1B_T6_T7_T9_mT8_S1D_bDpT10_ENKUlT_T0_E_clISt17integral_constantIbLb1EES1Q_EEDaS1L_S1M_EUlS1L_E_NS1_11comp_targetILNS1_3genE5ELNS1_11target_archE942ELNS1_3gpuE9ELNS1_3repE0EEENS1_30default_config_static_selectorELNS0_4arch9wavefront6targetE0EEEvSZ_.num_named_barrier, 0
	.set _ZN7rocprim17ROCPRIM_400000_NS6detail17trampoline_kernelINS0_13select_configILj256ELj13ELNS0_17block_load_methodE3ELS4_3ELS4_3ELNS0_20block_scan_algorithmE0ELj4294967295EEENS1_25partition_config_selectorILNS1_17partition_subalgoE3EjNS0_10empty_typeEbEEZZNS1_14partition_implILS8_3ELb0ES6_jNS0_17counting_iteratorIjlEEPS9_SE_NS0_5tupleIJPjSE_EEENSF_IJSE_SE_EEES9_SG_JZNS1_25segmented_radix_sort_implINS0_14default_configELb0EPK6__halfPSL_PKlPlN2at6native12_GLOBAL__N_18offset_tEEE10hipError_tPvRmT1_PNSt15iterator_traitsISZ_E10value_typeET2_T3_PNS10_IS15_E10value_typeET4_jRbjT5_S1B_jjP12ihipStream_tbEUljE_EEESW_SX_SY_S15_S19_S1B_T6_T7_T9_mT8_S1D_bDpT10_ENKUlT_T0_E_clISt17integral_constantIbLb1EES1Q_EEDaS1L_S1M_EUlS1L_E_NS1_11comp_targetILNS1_3genE5ELNS1_11target_archE942ELNS1_3gpuE9ELNS1_3repE0EEENS1_30default_config_static_selectorELNS0_4arch9wavefront6targetE0EEEvSZ_.private_seg_size, 0
	.set _ZN7rocprim17ROCPRIM_400000_NS6detail17trampoline_kernelINS0_13select_configILj256ELj13ELNS0_17block_load_methodE3ELS4_3ELS4_3ELNS0_20block_scan_algorithmE0ELj4294967295EEENS1_25partition_config_selectorILNS1_17partition_subalgoE3EjNS0_10empty_typeEbEEZZNS1_14partition_implILS8_3ELb0ES6_jNS0_17counting_iteratorIjlEEPS9_SE_NS0_5tupleIJPjSE_EEENSF_IJSE_SE_EEES9_SG_JZNS1_25segmented_radix_sort_implINS0_14default_configELb0EPK6__halfPSL_PKlPlN2at6native12_GLOBAL__N_18offset_tEEE10hipError_tPvRmT1_PNSt15iterator_traitsISZ_E10value_typeET2_T3_PNS10_IS15_E10value_typeET4_jRbjT5_S1B_jjP12ihipStream_tbEUljE_EEESW_SX_SY_S15_S19_S1B_T6_T7_T9_mT8_S1D_bDpT10_ENKUlT_T0_E_clISt17integral_constantIbLb1EES1Q_EEDaS1L_S1M_EUlS1L_E_NS1_11comp_targetILNS1_3genE5ELNS1_11target_archE942ELNS1_3gpuE9ELNS1_3repE0EEENS1_30default_config_static_selectorELNS0_4arch9wavefront6targetE0EEEvSZ_.uses_vcc, 0
	.set _ZN7rocprim17ROCPRIM_400000_NS6detail17trampoline_kernelINS0_13select_configILj256ELj13ELNS0_17block_load_methodE3ELS4_3ELS4_3ELNS0_20block_scan_algorithmE0ELj4294967295EEENS1_25partition_config_selectorILNS1_17partition_subalgoE3EjNS0_10empty_typeEbEEZZNS1_14partition_implILS8_3ELb0ES6_jNS0_17counting_iteratorIjlEEPS9_SE_NS0_5tupleIJPjSE_EEENSF_IJSE_SE_EEES9_SG_JZNS1_25segmented_radix_sort_implINS0_14default_configELb0EPK6__halfPSL_PKlPlN2at6native12_GLOBAL__N_18offset_tEEE10hipError_tPvRmT1_PNSt15iterator_traitsISZ_E10value_typeET2_T3_PNS10_IS15_E10value_typeET4_jRbjT5_S1B_jjP12ihipStream_tbEUljE_EEESW_SX_SY_S15_S19_S1B_T6_T7_T9_mT8_S1D_bDpT10_ENKUlT_T0_E_clISt17integral_constantIbLb1EES1Q_EEDaS1L_S1M_EUlS1L_E_NS1_11comp_targetILNS1_3genE5ELNS1_11target_archE942ELNS1_3gpuE9ELNS1_3repE0EEENS1_30default_config_static_selectorELNS0_4arch9wavefront6targetE0EEEvSZ_.uses_flat_scratch, 0
	.set _ZN7rocprim17ROCPRIM_400000_NS6detail17trampoline_kernelINS0_13select_configILj256ELj13ELNS0_17block_load_methodE3ELS4_3ELS4_3ELNS0_20block_scan_algorithmE0ELj4294967295EEENS1_25partition_config_selectorILNS1_17partition_subalgoE3EjNS0_10empty_typeEbEEZZNS1_14partition_implILS8_3ELb0ES6_jNS0_17counting_iteratorIjlEEPS9_SE_NS0_5tupleIJPjSE_EEENSF_IJSE_SE_EEES9_SG_JZNS1_25segmented_radix_sort_implINS0_14default_configELb0EPK6__halfPSL_PKlPlN2at6native12_GLOBAL__N_18offset_tEEE10hipError_tPvRmT1_PNSt15iterator_traitsISZ_E10value_typeET2_T3_PNS10_IS15_E10value_typeET4_jRbjT5_S1B_jjP12ihipStream_tbEUljE_EEESW_SX_SY_S15_S19_S1B_T6_T7_T9_mT8_S1D_bDpT10_ENKUlT_T0_E_clISt17integral_constantIbLb1EES1Q_EEDaS1L_S1M_EUlS1L_E_NS1_11comp_targetILNS1_3genE5ELNS1_11target_archE942ELNS1_3gpuE9ELNS1_3repE0EEENS1_30default_config_static_selectorELNS0_4arch9wavefront6targetE0EEEvSZ_.has_dyn_sized_stack, 0
	.set _ZN7rocprim17ROCPRIM_400000_NS6detail17trampoline_kernelINS0_13select_configILj256ELj13ELNS0_17block_load_methodE3ELS4_3ELS4_3ELNS0_20block_scan_algorithmE0ELj4294967295EEENS1_25partition_config_selectorILNS1_17partition_subalgoE3EjNS0_10empty_typeEbEEZZNS1_14partition_implILS8_3ELb0ES6_jNS0_17counting_iteratorIjlEEPS9_SE_NS0_5tupleIJPjSE_EEENSF_IJSE_SE_EEES9_SG_JZNS1_25segmented_radix_sort_implINS0_14default_configELb0EPK6__halfPSL_PKlPlN2at6native12_GLOBAL__N_18offset_tEEE10hipError_tPvRmT1_PNSt15iterator_traitsISZ_E10value_typeET2_T3_PNS10_IS15_E10value_typeET4_jRbjT5_S1B_jjP12ihipStream_tbEUljE_EEESW_SX_SY_S15_S19_S1B_T6_T7_T9_mT8_S1D_bDpT10_ENKUlT_T0_E_clISt17integral_constantIbLb1EES1Q_EEDaS1L_S1M_EUlS1L_E_NS1_11comp_targetILNS1_3genE5ELNS1_11target_archE942ELNS1_3gpuE9ELNS1_3repE0EEENS1_30default_config_static_selectorELNS0_4arch9wavefront6targetE0EEEvSZ_.has_recursion, 0
	.set _ZN7rocprim17ROCPRIM_400000_NS6detail17trampoline_kernelINS0_13select_configILj256ELj13ELNS0_17block_load_methodE3ELS4_3ELS4_3ELNS0_20block_scan_algorithmE0ELj4294967295EEENS1_25partition_config_selectorILNS1_17partition_subalgoE3EjNS0_10empty_typeEbEEZZNS1_14partition_implILS8_3ELb0ES6_jNS0_17counting_iteratorIjlEEPS9_SE_NS0_5tupleIJPjSE_EEENSF_IJSE_SE_EEES9_SG_JZNS1_25segmented_radix_sort_implINS0_14default_configELb0EPK6__halfPSL_PKlPlN2at6native12_GLOBAL__N_18offset_tEEE10hipError_tPvRmT1_PNSt15iterator_traitsISZ_E10value_typeET2_T3_PNS10_IS15_E10value_typeET4_jRbjT5_S1B_jjP12ihipStream_tbEUljE_EEESW_SX_SY_S15_S19_S1B_T6_T7_T9_mT8_S1D_bDpT10_ENKUlT_T0_E_clISt17integral_constantIbLb1EES1Q_EEDaS1L_S1M_EUlS1L_E_NS1_11comp_targetILNS1_3genE5ELNS1_11target_archE942ELNS1_3gpuE9ELNS1_3repE0EEENS1_30default_config_static_selectorELNS0_4arch9wavefront6targetE0EEEvSZ_.has_indirect_call, 0
	.section	.AMDGPU.csdata,"",@progbits
; Kernel info:
; codeLenInByte = 0
; TotalNumSgprs: 0
; NumVgprs: 0
; ScratchSize: 0
; MemoryBound: 0
; FloatMode: 240
; IeeeMode: 1
; LDSByteSize: 0 bytes/workgroup (compile time only)
; SGPRBlocks: 0
; VGPRBlocks: 0
; NumSGPRsForWavesPerEU: 1
; NumVGPRsForWavesPerEU: 1
; Occupancy: 16
; WaveLimiterHint : 0
; COMPUTE_PGM_RSRC2:SCRATCH_EN: 0
; COMPUTE_PGM_RSRC2:USER_SGPR: 2
; COMPUTE_PGM_RSRC2:TRAP_HANDLER: 0
; COMPUTE_PGM_RSRC2:TGID_X_EN: 1
; COMPUTE_PGM_RSRC2:TGID_Y_EN: 0
; COMPUTE_PGM_RSRC2:TGID_Z_EN: 0
; COMPUTE_PGM_RSRC2:TIDIG_COMP_CNT: 0
	.section	.text._ZN7rocprim17ROCPRIM_400000_NS6detail17trampoline_kernelINS0_13select_configILj256ELj13ELNS0_17block_load_methodE3ELS4_3ELS4_3ELNS0_20block_scan_algorithmE0ELj4294967295EEENS1_25partition_config_selectorILNS1_17partition_subalgoE3EjNS0_10empty_typeEbEEZZNS1_14partition_implILS8_3ELb0ES6_jNS0_17counting_iteratorIjlEEPS9_SE_NS0_5tupleIJPjSE_EEENSF_IJSE_SE_EEES9_SG_JZNS1_25segmented_radix_sort_implINS0_14default_configELb0EPK6__halfPSL_PKlPlN2at6native12_GLOBAL__N_18offset_tEEE10hipError_tPvRmT1_PNSt15iterator_traitsISZ_E10value_typeET2_T3_PNS10_IS15_E10value_typeET4_jRbjT5_S1B_jjP12ihipStream_tbEUljE_EEESW_SX_SY_S15_S19_S1B_T6_T7_T9_mT8_S1D_bDpT10_ENKUlT_T0_E_clISt17integral_constantIbLb1EES1Q_EEDaS1L_S1M_EUlS1L_E_NS1_11comp_targetILNS1_3genE4ELNS1_11target_archE910ELNS1_3gpuE8ELNS1_3repE0EEENS1_30default_config_static_selectorELNS0_4arch9wavefront6targetE0EEEvSZ_,"axG",@progbits,_ZN7rocprim17ROCPRIM_400000_NS6detail17trampoline_kernelINS0_13select_configILj256ELj13ELNS0_17block_load_methodE3ELS4_3ELS4_3ELNS0_20block_scan_algorithmE0ELj4294967295EEENS1_25partition_config_selectorILNS1_17partition_subalgoE3EjNS0_10empty_typeEbEEZZNS1_14partition_implILS8_3ELb0ES6_jNS0_17counting_iteratorIjlEEPS9_SE_NS0_5tupleIJPjSE_EEENSF_IJSE_SE_EEES9_SG_JZNS1_25segmented_radix_sort_implINS0_14default_configELb0EPK6__halfPSL_PKlPlN2at6native12_GLOBAL__N_18offset_tEEE10hipError_tPvRmT1_PNSt15iterator_traitsISZ_E10value_typeET2_T3_PNS10_IS15_E10value_typeET4_jRbjT5_S1B_jjP12ihipStream_tbEUljE_EEESW_SX_SY_S15_S19_S1B_T6_T7_T9_mT8_S1D_bDpT10_ENKUlT_T0_E_clISt17integral_constantIbLb1EES1Q_EEDaS1L_S1M_EUlS1L_E_NS1_11comp_targetILNS1_3genE4ELNS1_11target_archE910ELNS1_3gpuE8ELNS1_3repE0EEENS1_30default_config_static_selectorELNS0_4arch9wavefront6targetE0EEEvSZ_,comdat
	.globl	_ZN7rocprim17ROCPRIM_400000_NS6detail17trampoline_kernelINS0_13select_configILj256ELj13ELNS0_17block_load_methodE3ELS4_3ELS4_3ELNS0_20block_scan_algorithmE0ELj4294967295EEENS1_25partition_config_selectorILNS1_17partition_subalgoE3EjNS0_10empty_typeEbEEZZNS1_14partition_implILS8_3ELb0ES6_jNS0_17counting_iteratorIjlEEPS9_SE_NS0_5tupleIJPjSE_EEENSF_IJSE_SE_EEES9_SG_JZNS1_25segmented_radix_sort_implINS0_14default_configELb0EPK6__halfPSL_PKlPlN2at6native12_GLOBAL__N_18offset_tEEE10hipError_tPvRmT1_PNSt15iterator_traitsISZ_E10value_typeET2_T3_PNS10_IS15_E10value_typeET4_jRbjT5_S1B_jjP12ihipStream_tbEUljE_EEESW_SX_SY_S15_S19_S1B_T6_T7_T9_mT8_S1D_bDpT10_ENKUlT_T0_E_clISt17integral_constantIbLb1EES1Q_EEDaS1L_S1M_EUlS1L_E_NS1_11comp_targetILNS1_3genE4ELNS1_11target_archE910ELNS1_3gpuE8ELNS1_3repE0EEENS1_30default_config_static_selectorELNS0_4arch9wavefront6targetE0EEEvSZ_ ; -- Begin function _ZN7rocprim17ROCPRIM_400000_NS6detail17trampoline_kernelINS0_13select_configILj256ELj13ELNS0_17block_load_methodE3ELS4_3ELS4_3ELNS0_20block_scan_algorithmE0ELj4294967295EEENS1_25partition_config_selectorILNS1_17partition_subalgoE3EjNS0_10empty_typeEbEEZZNS1_14partition_implILS8_3ELb0ES6_jNS0_17counting_iteratorIjlEEPS9_SE_NS0_5tupleIJPjSE_EEENSF_IJSE_SE_EEES9_SG_JZNS1_25segmented_radix_sort_implINS0_14default_configELb0EPK6__halfPSL_PKlPlN2at6native12_GLOBAL__N_18offset_tEEE10hipError_tPvRmT1_PNSt15iterator_traitsISZ_E10value_typeET2_T3_PNS10_IS15_E10value_typeET4_jRbjT5_S1B_jjP12ihipStream_tbEUljE_EEESW_SX_SY_S15_S19_S1B_T6_T7_T9_mT8_S1D_bDpT10_ENKUlT_T0_E_clISt17integral_constantIbLb1EES1Q_EEDaS1L_S1M_EUlS1L_E_NS1_11comp_targetILNS1_3genE4ELNS1_11target_archE910ELNS1_3gpuE8ELNS1_3repE0EEENS1_30default_config_static_selectorELNS0_4arch9wavefront6targetE0EEEvSZ_
	.p2align	8
	.type	_ZN7rocprim17ROCPRIM_400000_NS6detail17trampoline_kernelINS0_13select_configILj256ELj13ELNS0_17block_load_methodE3ELS4_3ELS4_3ELNS0_20block_scan_algorithmE0ELj4294967295EEENS1_25partition_config_selectorILNS1_17partition_subalgoE3EjNS0_10empty_typeEbEEZZNS1_14partition_implILS8_3ELb0ES6_jNS0_17counting_iteratorIjlEEPS9_SE_NS0_5tupleIJPjSE_EEENSF_IJSE_SE_EEES9_SG_JZNS1_25segmented_radix_sort_implINS0_14default_configELb0EPK6__halfPSL_PKlPlN2at6native12_GLOBAL__N_18offset_tEEE10hipError_tPvRmT1_PNSt15iterator_traitsISZ_E10value_typeET2_T3_PNS10_IS15_E10value_typeET4_jRbjT5_S1B_jjP12ihipStream_tbEUljE_EEESW_SX_SY_S15_S19_S1B_T6_T7_T9_mT8_S1D_bDpT10_ENKUlT_T0_E_clISt17integral_constantIbLb1EES1Q_EEDaS1L_S1M_EUlS1L_E_NS1_11comp_targetILNS1_3genE4ELNS1_11target_archE910ELNS1_3gpuE8ELNS1_3repE0EEENS1_30default_config_static_selectorELNS0_4arch9wavefront6targetE0EEEvSZ_,@function
_ZN7rocprim17ROCPRIM_400000_NS6detail17trampoline_kernelINS0_13select_configILj256ELj13ELNS0_17block_load_methodE3ELS4_3ELS4_3ELNS0_20block_scan_algorithmE0ELj4294967295EEENS1_25partition_config_selectorILNS1_17partition_subalgoE3EjNS0_10empty_typeEbEEZZNS1_14partition_implILS8_3ELb0ES6_jNS0_17counting_iteratorIjlEEPS9_SE_NS0_5tupleIJPjSE_EEENSF_IJSE_SE_EEES9_SG_JZNS1_25segmented_radix_sort_implINS0_14default_configELb0EPK6__halfPSL_PKlPlN2at6native12_GLOBAL__N_18offset_tEEE10hipError_tPvRmT1_PNSt15iterator_traitsISZ_E10value_typeET2_T3_PNS10_IS15_E10value_typeET4_jRbjT5_S1B_jjP12ihipStream_tbEUljE_EEESW_SX_SY_S15_S19_S1B_T6_T7_T9_mT8_S1D_bDpT10_ENKUlT_T0_E_clISt17integral_constantIbLb1EES1Q_EEDaS1L_S1M_EUlS1L_E_NS1_11comp_targetILNS1_3genE4ELNS1_11target_archE910ELNS1_3gpuE8ELNS1_3repE0EEENS1_30default_config_static_selectorELNS0_4arch9wavefront6targetE0EEEvSZ_: ; @_ZN7rocprim17ROCPRIM_400000_NS6detail17trampoline_kernelINS0_13select_configILj256ELj13ELNS0_17block_load_methodE3ELS4_3ELS4_3ELNS0_20block_scan_algorithmE0ELj4294967295EEENS1_25partition_config_selectorILNS1_17partition_subalgoE3EjNS0_10empty_typeEbEEZZNS1_14partition_implILS8_3ELb0ES6_jNS0_17counting_iteratorIjlEEPS9_SE_NS0_5tupleIJPjSE_EEENSF_IJSE_SE_EEES9_SG_JZNS1_25segmented_radix_sort_implINS0_14default_configELb0EPK6__halfPSL_PKlPlN2at6native12_GLOBAL__N_18offset_tEEE10hipError_tPvRmT1_PNSt15iterator_traitsISZ_E10value_typeET2_T3_PNS10_IS15_E10value_typeET4_jRbjT5_S1B_jjP12ihipStream_tbEUljE_EEESW_SX_SY_S15_S19_S1B_T6_T7_T9_mT8_S1D_bDpT10_ENKUlT_T0_E_clISt17integral_constantIbLb1EES1Q_EEDaS1L_S1M_EUlS1L_E_NS1_11comp_targetILNS1_3genE4ELNS1_11target_archE910ELNS1_3gpuE8ELNS1_3repE0EEENS1_30default_config_static_selectorELNS0_4arch9wavefront6targetE0EEEvSZ_
; %bb.0:
	.section	.rodata,"a",@progbits
	.p2align	6, 0x0
	.amdhsa_kernel _ZN7rocprim17ROCPRIM_400000_NS6detail17trampoline_kernelINS0_13select_configILj256ELj13ELNS0_17block_load_methodE3ELS4_3ELS4_3ELNS0_20block_scan_algorithmE0ELj4294967295EEENS1_25partition_config_selectorILNS1_17partition_subalgoE3EjNS0_10empty_typeEbEEZZNS1_14partition_implILS8_3ELb0ES6_jNS0_17counting_iteratorIjlEEPS9_SE_NS0_5tupleIJPjSE_EEENSF_IJSE_SE_EEES9_SG_JZNS1_25segmented_radix_sort_implINS0_14default_configELb0EPK6__halfPSL_PKlPlN2at6native12_GLOBAL__N_18offset_tEEE10hipError_tPvRmT1_PNSt15iterator_traitsISZ_E10value_typeET2_T3_PNS10_IS15_E10value_typeET4_jRbjT5_S1B_jjP12ihipStream_tbEUljE_EEESW_SX_SY_S15_S19_S1B_T6_T7_T9_mT8_S1D_bDpT10_ENKUlT_T0_E_clISt17integral_constantIbLb1EES1Q_EEDaS1L_S1M_EUlS1L_E_NS1_11comp_targetILNS1_3genE4ELNS1_11target_archE910ELNS1_3gpuE8ELNS1_3repE0EEENS1_30default_config_static_selectorELNS0_4arch9wavefront6targetE0EEEvSZ_
		.amdhsa_group_segment_fixed_size 0
		.amdhsa_private_segment_fixed_size 0
		.amdhsa_kernarg_size 152
		.amdhsa_user_sgpr_count 2
		.amdhsa_user_sgpr_dispatch_ptr 0
		.amdhsa_user_sgpr_queue_ptr 0
		.amdhsa_user_sgpr_kernarg_segment_ptr 1
		.amdhsa_user_sgpr_dispatch_id 0
		.amdhsa_user_sgpr_private_segment_size 0
		.amdhsa_wavefront_size32 1
		.amdhsa_uses_dynamic_stack 0
		.amdhsa_enable_private_segment 0
		.amdhsa_system_sgpr_workgroup_id_x 1
		.amdhsa_system_sgpr_workgroup_id_y 0
		.amdhsa_system_sgpr_workgroup_id_z 0
		.amdhsa_system_sgpr_workgroup_info 0
		.amdhsa_system_vgpr_workitem_id 0
		.amdhsa_next_free_vgpr 1
		.amdhsa_next_free_sgpr 1
		.amdhsa_reserve_vcc 0
		.amdhsa_float_round_mode_32 0
		.amdhsa_float_round_mode_16_64 0
		.amdhsa_float_denorm_mode_32 3
		.amdhsa_float_denorm_mode_16_64 3
		.amdhsa_fp16_overflow 0
		.amdhsa_workgroup_processor_mode 1
		.amdhsa_memory_ordered 1
		.amdhsa_forward_progress 1
		.amdhsa_inst_pref_size 0
		.amdhsa_round_robin_scheduling 0
		.amdhsa_exception_fp_ieee_invalid_op 0
		.amdhsa_exception_fp_denorm_src 0
		.amdhsa_exception_fp_ieee_div_zero 0
		.amdhsa_exception_fp_ieee_overflow 0
		.amdhsa_exception_fp_ieee_underflow 0
		.amdhsa_exception_fp_ieee_inexact 0
		.amdhsa_exception_int_div_zero 0
	.end_amdhsa_kernel
	.section	.text._ZN7rocprim17ROCPRIM_400000_NS6detail17trampoline_kernelINS0_13select_configILj256ELj13ELNS0_17block_load_methodE3ELS4_3ELS4_3ELNS0_20block_scan_algorithmE0ELj4294967295EEENS1_25partition_config_selectorILNS1_17partition_subalgoE3EjNS0_10empty_typeEbEEZZNS1_14partition_implILS8_3ELb0ES6_jNS0_17counting_iteratorIjlEEPS9_SE_NS0_5tupleIJPjSE_EEENSF_IJSE_SE_EEES9_SG_JZNS1_25segmented_radix_sort_implINS0_14default_configELb0EPK6__halfPSL_PKlPlN2at6native12_GLOBAL__N_18offset_tEEE10hipError_tPvRmT1_PNSt15iterator_traitsISZ_E10value_typeET2_T3_PNS10_IS15_E10value_typeET4_jRbjT5_S1B_jjP12ihipStream_tbEUljE_EEESW_SX_SY_S15_S19_S1B_T6_T7_T9_mT8_S1D_bDpT10_ENKUlT_T0_E_clISt17integral_constantIbLb1EES1Q_EEDaS1L_S1M_EUlS1L_E_NS1_11comp_targetILNS1_3genE4ELNS1_11target_archE910ELNS1_3gpuE8ELNS1_3repE0EEENS1_30default_config_static_selectorELNS0_4arch9wavefront6targetE0EEEvSZ_,"axG",@progbits,_ZN7rocprim17ROCPRIM_400000_NS6detail17trampoline_kernelINS0_13select_configILj256ELj13ELNS0_17block_load_methodE3ELS4_3ELS4_3ELNS0_20block_scan_algorithmE0ELj4294967295EEENS1_25partition_config_selectorILNS1_17partition_subalgoE3EjNS0_10empty_typeEbEEZZNS1_14partition_implILS8_3ELb0ES6_jNS0_17counting_iteratorIjlEEPS9_SE_NS0_5tupleIJPjSE_EEENSF_IJSE_SE_EEES9_SG_JZNS1_25segmented_radix_sort_implINS0_14default_configELb0EPK6__halfPSL_PKlPlN2at6native12_GLOBAL__N_18offset_tEEE10hipError_tPvRmT1_PNSt15iterator_traitsISZ_E10value_typeET2_T3_PNS10_IS15_E10value_typeET4_jRbjT5_S1B_jjP12ihipStream_tbEUljE_EEESW_SX_SY_S15_S19_S1B_T6_T7_T9_mT8_S1D_bDpT10_ENKUlT_T0_E_clISt17integral_constantIbLb1EES1Q_EEDaS1L_S1M_EUlS1L_E_NS1_11comp_targetILNS1_3genE4ELNS1_11target_archE910ELNS1_3gpuE8ELNS1_3repE0EEENS1_30default_config_static_selectorELNS0_4arch9wavefront6targetE0EEEvSZ_,comdat
.Lfunc_end1820:
	.size	_ZN7rocprim17ROCPRIM_400000_NS6detail17trampoline_kernelINS0_13select_configILj256ELj13ELNS0_17block_load_methodE3ELS4_3ELS4_3ELNS0_20block_scan_algorithmE0ELj4294967295EEENS1_25partition_config_selectorILNS1_17partition_subalgoE3EjNS0_10empty_typeEbEEZZNS1_14partition_implILS8_3ELb0ES6_jNS0_17counting_iteratorIjlEEPS9_SE_NS0_5tupleIJPjSE_EEENSF_IJSE_SE_EEES9_SG_JZNS1_25segmented_radix_sort_implINS0_14default_configELb0EPK6__halfPSL_PKlPlN2at6native12_GLOBAL__N_18offset_tEEE10hipError_tPvRmT1_PNSt15iterator_traitsISZ_E10value_typeET2_T3_PNS10_IS15_E10value_typeET4_jRbjT5_S1B_jjP12ihipStream_tbEUljE_EEESW_SX_SY_S15_S19_S1B_T6_T7_T9_mT8_S1D_bDpT10_ENKUlT_T0_E_clISt17integral_constantIbLb1EES1Q_EEDaS1L_S1M_EUlS1L_E_NS1_11comp_targetILNS1_3genE4ELNS1_11target_archE910ELNS1_3gpuE8ELNS1_3repE0EEENS1_30default_config_static_selectorELNS0_4arch9wavefront6targetE0EEEvSZ_, .Lfunc_end1820-_ZN7rocprim17ROCPRIM_400000_NS6detail17trampoline_kernelINS0_13select_configILj256ELj13ELNS0_17block_load_methodE3ELS4_3ELS4_3ELNS0_20block_scan_algorithmE0ELj4294967295EEENS1_25partition_config_selectorILNS1_17partition_subalgoE3EjNS0_10empty_typeEbEEZZNS1_14partition_implILS8_3ELb0ES6_jNS0_17counting_iteratorIjlEEPS9_SE_NS0_5tupleIJPjSE_EEENSF_IJSE_SE_EEES9_SG_JZNS1_25segmented_radix_sort_implINS0_14default_configELb0EPK6__halfPSL_PKlPlN2at6native12_GLOBAL__N_18offset_tEEE10hipError_tPvRmT1_PNSt15iterator_traitsISZ_E10value_typeET2_T3_PNS10_IS15_E10value_typeET4_jRbjT5_S1B_jjP12ihipStream_tbEUljE_EEESW_SX_SY_S15_S19_S1B_T6_T7_T9_mT8_S1D_bDpT10_ENKUlT_T0_E_clISt17integral_constantIbLb1EES1Q_EEDaS1L_S1M_EUlS1L_E_NS1_11comp_targetILNS1_3genE4ELNS1_11target_archE910ELNS1_3gpuE8ELNS1_3repE0EEENS1_30default_config_static_selectorELNS0_4arch9wavefront6targetE0EEEvSZ_
                                        ; -- End function
	.set _ZN7rocprim17ROCPRIM_400000_NS6detail17trampoline_kernelINS0_13select_configILj256ELj13ELNS0_17block_load_methodE3ELS4_3ELS4_3ELNS0_20block_scan_algorithmE0ELj4294967295EEENS1_25partition_config_selectorILNS1_17partition_subalgoE3EjNS0_10empty_typeEbEEZZNS1_14partition_implILS8_3ELb0ES6_jNS0_17counting_iteratorIjlEEPS9_SE_NS0_5tupleIJPjSE_EEENSF_IJSE_SE_EEES9_SG_JZNS1_25segmented_radix_sort_implINS0_14default_configELb0EPK6__halfPSL_PKlPlN2at6native12_GLOBAL__N_18offset_tEEE10hipError_tPvRmT1_PNSt15iterator_traitsISZ_E10value_typeET2_T3_PNS10_IS15_E10value_typeET4_jRbjT5_S1B_jjP12ihipStream_tbEUljE_EEESW_SX_SY_S15_S19_S1B_T6_T7_T9_mT8_S1D_bDpT10_ENKUlT_T0_E_clISt17integral_constantIbLb1EES1Q_EEDaS1L_S1M_EUlS1L_E_NS1_11comp_targetILNS1_3genE4ELNS1_11target_archE910ELNS1_3gpuE8ELNS1_3repE0EEENS1_30default_config_static_selectorELNS0_4arch9wavefront6targetE0EEEvSZ_.num_vgpr, 0
	.set _ZN7rocprim17ROCPRIM_400000_NS6detail17trampoline_kernelINS0_13select_configILj256ELj13ELNS0_17block_load_methodE3ELS4_3ELS4_3ELNS0_20block_scan_algorithmE0ELj4294967295EEENS1_25partition_config_selectorILNS1_17partition_subalgoE3EjNS0_10empty_typeEbEEZZNS1_14partition_implILS8_3ELb0ES6_jNS0_17counting_iteratorIjlEEPS9_SE_NS0_5tupleIJPjSE_EEENSF_IJSE_SE_EEES9_SG_JZNS1_25segmented_radix_sort_implINS0_14default_configELb0EPK6__halfPSL_PKlPlN2at6native12_GLOBAL__N_18offset_tEEE10hipError_tPvRmT1_PNSt15iterator_traitsISZ_E10value_typeET2_T3_PNS10_IS15_E10value_typeET4_jRbjT5_S1B_jjP12ihipStream_tbEUljE_EEESW_SX_SY_S15_S19_S1B_T6_T7_T9_mT8_S1D_bDpT10_ENKUlT_T0_E_clISt17integral_constantIbLb1EES1Q_EEDaS1L_S1M_EUlS1L_E_NS1_11comp_targetILNS1_3genE4ELNS1_11target_archE910ELNS1_3gpuE8ELNS1_3repE0EEENS1_30default_config_static_selectorELNS0_4arch9wavefront6targetE0EEEvSZ_.num_agpr, 0
	.set _ZN7rocprim17ROCPRIM_400000_NS6detail17trampoline_kernelINS0_13select_configILj256ELj13ELNS0_17block_load_methodE3ELS4_3ELS4_3ELNS0_20block_scan_algorithmE0ELj4294967295EEENS1_25partition_config_selectorILNS1_17partition_subalgoE3EjNS0_10empty_typeEbEEZZNS1_14partition_implILS8_3ELb0ES6_jNS0_17counting_iteratorIjlEEPS9_SE_NS0_5tupleIJPjSE_EEENSF_IJSE_SE_EEES9_SG_JZNS1_25segmented_radix_sort_implINS0_14default_configELb0EPK6__halfPSL_PKlPlN2at6native12_GLOBAL__N_18offset_tEEE10hipError_tPvRmT1_PNSt15iterator_traitsISZ_E10value_typeET2_T3_PNS10_IS15_E10value_typeET4_jRbjT5_S1B_jjP12ihipStream_tbEUljE_EEESW_SX_SY_S15_S19_S1B_T6_T7_T9_mT8_S1D_bDpT10_ENKUlT_T0_E_clISt17integral_constantIbLb1EES1Q_EEDaS1L_S1M_EUlS1L_E_NS1_11comp_targetILNS1_3genE4ELNS1_11target_archE910ELNS1_3gpuE8ELNS1_3repE0EEENS1_30default_config_static_selectorELNS0_4arch9wavefront6targetE0EEEvSZ_.numbered_sgpr, 0
	.set _ZN7rocprim17ROCPRIM_400000_NS6detail17trampoline_kernelINS0_13select_configILj256ELj13ELNS0_17block_load_methodE3ELS4_3ELS4_3ELNS0_20block_scan_algorithmE0ELj4294967295EEENS1_25partition_config_selectorILNS1_17partition_subalgoE3EjNS0_10empty_typeEbEEZZNS1_14partition_implILS8_3ELb0ES6_jNS0_17counting_iteratorIjlEEPS9_SE_NS0_5tupleIJPjSE_EEENSF_IJSE_SE_EEES9_SG_JZNS1_25segmented_radix_sort_implINS0_14default_configELb0EPK6__halfPSL_PKlPlN2at6native12_GLOBAL__N_18offset_tEEE10hipError_tPvRmT1_PNSt15iterator_traitsISZ_E10value_typeET2_T3_PNS10_IS15_E10value_typeET4_jRbjT5_S1B_jjP12ihipStream_tbEUljE_EEESW_SX_SY_S15_S19_S1B_T6_T7_T9_mT8_S1D_bDpT10_ENKUlT_T0_E_clISt17integral_constantIbLb1EES1Q_EEDaS1L_S1M_EUlS1L_E_NS1_11comp_targetILNS1_3genE4ELNS1_11target_archE910ELNS1_3gpuE8ELNS1_3repE0EEENS1_30default_config_static_selectorELNS0_4arch9wavefront6targetE0EEEvSZ_.num_named_barrier, 0
	.set _ZN7rocprim17ROCPRIM_400000_NS6detail17trampoline_kernelINS0_13select_configILj256ELj13ELNS0_17block_load_methodE3ELS4_3ELS4_3ELNS0_20block_scan_algorithmE0ELj4294967295EEENS1_25partition_config_selectorILNS1_17partition_subalgoE3EjNS0_10empty_typeEbEEZZNS1_14partition_implILS8_3ELb0ES6_jNS0_17counting_iteratorIjlEEPS9_SE_NS0_5tupleIJPjSE_EEENSF_IJSE_SE_EEES9_SG_JZNS1_25segmented_radix_sort_implINS0_14default_configELb0EPK6__halfPSL_PKlPlN2at6native12_GLOBAL__N_18offset_tEEE10hipError_tPvRmT1_PNSt15iterator_traitsISZ_E10value_typeET2_T3_PNS10_IS15_E10value_typeET4_jRbjT5_S1B_jjP12ihipStream_tbEUljE_EEESW_SX_SY_S15_S19_S1B_T6_T7_T9_mT8_S1D_bDpT10_ENKUlT_T0_E_clISt17integral_constantIbLb1EES1Q_EEDaS1L_S1M_EUlS1L_E_NS1_11comp_targetILNS1_3genE4ELNS1_11target_archE910ELNS1_3gpuE8ELNS1_3repE0EEENS1_30default_config_static_selectorELNS0_4arch9wavefront6targetE0EEEvSZ_.private_seg_size, 0
	.set _ZN7rocprim17ROCPRIM_400000_NS6detail17trampoline_kernelINS0_13select_configILj256ELj13ELNS0_17block_load_methodE3ELS4_3ELS4_3ELNS0_20block_scan_algorithmE0ELj4294967295EEENS1_25partition_config_selectorILNS1_17partition_subalgoE3EjNS0_10empty_typeEbEEZZNS1_14partition_implILS8_3ELb0ES6_jNS0_17counting_iteratorIjlEEPS9_SE_NS0_5tupleIJPjSE_EEENSF_IJSE_SE_EEES9_SG_JZNS1_25segmented_radix_sort_implINS0_14default_configELb0EPK6__halfPSL_PKlPlN2at6native12_GLOBAL__N_18offset_tEEE10hipError_tPvRmT1_PNSt15iterator_traitsISZ_E10value_typeET2_T3_PNS10_IS15_E10value_typeET4_jRbjT5_S1B_jjP12ihipStream_tbEUljE_EEESW_SX_SY_S15_S19_S1B_T6_T7_T9_mT8_S1D_bDpT10_ENKUlT_T0_E_clISt17integral_constantIbLb1EES1Q_EEDaS1L_S1M_EUlS1L_E_NS1_11comp_targetILNS1_3genE4ELNS1_11target_archE910ELNS1_3gpuE8ELNS1_3repE0EEENS1_30default_config_static_selectorELNS0_4arch9wavefront6targetE0EEEvSZ_.uses_vcc, 0
	.set _ZN7rocprim17ROCPRIM_400000_NS6detail17trampoline_kernelINS0_13select_configILj256ELj13ELNS0_17block_load_methodE3ELS4_3ELS4_3ELNS0_20block_scan_algorithmE0ELj4294967295EEENS1_25partition_config_selectorILNS1_17partition_subalgoE3EjNS0_10empty_typeEbEEZZNS1_14partition_implILS8_3ELb0ES6_jNS0_17counting_iteratorIjlEEPS9_SE_NS0_5tupleIJPjSE_EEENSF_IJSE_SE_EEES9_SG_JZNS1_25segmented_radix_sort_implINS0_14default_configELb0EPK6__halfPSL_PKlPlN2at6native12_GLOBAL__N_18offset_tEEE10hipError_tPvRmT1_PNSt15iterator_traitsISZ_E10value_typeET2_T3_PNS10_IS15_E10value_typeET4_jRbjT5_S1B_jjP12ihipStream_tbEUljE_EEESW_SX_SY_S15_S19_S1B_T6_T7_T9_mT8_S1D_bDpT10_ENKUlT_T0_E_clISt17integral_constantIbLb1EES1Q_EEDaS1L_S1M_EUlS1L_E_NS1_11comp_targetILNS1_3genE4ELNS1_11target_archE910ELNS1_3gpuE8ELNS1_3repE0EEENS1_30default_config_static_selectorELNS0_4arch9wavefront6targetE0EEEvSZ_.uses_flat_scratch, 0
	.set _ZN7rocprim17ROCPRIM_400000_NS6detail17trampoline_kernelINS0_13select_configILj256ELj13ELNS0_17block_load_methodE3ELS4_3ELS4_3ELNS0_20block_scan_algorithmE0ELj4294967295EEENS1_25partition_config_selectorILNS1_17partition_subalgoE3EjNS0_10empty_typeEbEEZZNS1_14partition_implILS8_3ELb0ES6_jNS0_17counting_iteratorIjlEEPS9_SE_NS0_5tupleIJPjSE_EEENSF_IJSE_SE_EEES9_SG_JZNS1_25segmented_radix_sort_implINS0_14default_configELb0EPK6__halfPSL_PKlPlN2at6native12_GLOBAL__N_18offset_tEEE10hipError_tPvRmT1_PNSt15iterator_traitsISZ_E10value_typeET2_T3_PNS10_IS15_E10value_typeET4_jRbjT5_S1B_jjP12ihipStream_tbEUljE_EEESW_SX_SY_S15_S19_S1B_T6_T7_T9_mT8_S1D_bDpT10_ENKUlT_T0_E_clISt17integral_constantIbLb1EES1Q_EEDaS1L_S1M_EUlS1L_E_NS1_11comp_targetILNS1_3genE4ELNS1_11target_archE910ELNS1_3gpuE8ELNS1_3repE0EEENS1_30default_config_static_selectorELNS0_4arch9wavefront6targetE0EEEvSZ_.has_dyn_sized_stack, 0
	.set _ZN7rocprim17ROCPRIM_400000_NS6detail17trampoline_kernelINS0_13select_configILj256ELj13ELNS0_17block_load_methodE3ELS4_3ELS4_3ELNS0_20block_scan_algorithmE0ELj4294967295EEENS1_25partition_config_selectorILNS1_17partition_subalgoE3EjNS0_10empty_typeEbEEZZNS1_14partition_implILS8_3ELb0ES6_jNS0_17counting_iteratorIjlEEPS9_SE_NS0_5tupleIJPjSE_EEENSF_IJSE_SE_EEES9_SG_JZNS1_25segmented_radix_sort_implINS0_14default_configELb0EPK6__halfPSL_PKlPlN2at6native12_GLOBAL__N_18offset_tEEE10hipError_tPvRmT1_PNSt15iterator_traitsISZ_E10value_typeET2_T3_PNS10_IS15_E10value_typeET4_jRbjT5_S1B_jjP12ihipStream_tbEUljE_EEESW_SX_SY_S15_S19_S1B_T6_T7_T9_mT8_S1D_bDpT10_ENKUlT_T0_E_clISt17integral_constantIbLb1EES1Q_EEDaS1L_S1M_EUlS1L_E_NS1_11comp_targetILNS1_3genE4ELNS1_11target_archE910ELNS1_3gpuE8ELNS1_3repE0EEENS1_30default_config_static_selectorELNS0_4arch9wavefront6targetE0EEEvSZ_.has_recursion, 0
	.set _ZN7rocprim17ROCPRIM_400000_NS6detail17trampoline_kernelINS0_13select_configILj256ELj13ELNS0_17block_load_methodE3ELS4_3ELS4_3ELNS0_20block_scan_algorithmE0ELj4294967295EEENS1_25partition_config_selectorILNS1_17partition_subalgoE3EjNS0_10empty_typeEbEEZZNS1_14partition_implILS8_3ELb0ES6_jNS0_17counting_iteratorIjlEEPS9_SE_NS0_5tupleIJPjSE_EEENSF_IJSE_SE_EEES9_SG_JZNS1_25segmented_radix_sort_implINS0_14default_configELb0EPK6__halfPSL_PKlPlN2at6native12_GLOBAL__N_18offset_tEEE10hipError_tPvRmT1_PNSt15iterator_traitsISZ_E10value_typeET2_T3_PNS10_IS15_E10value_typeET4_jRbjT5_S1B_jjP12ihipStream_tbEUljE_EEESW_SX_SY_S15_S19_S1B_T6_T7_T9_mT8_S1D_bDpT10_ENKUlT_T0_E_clISt17integral_constantIbLb1EES1Q_EEDaS1L_S1M_EUlS1L_E_NS1_11comp_targetILNS1_3genE4ELNS1_11target_archE910ELNS1_3gpuE8ELNS1_3repE0EEENS1_30default_config_static_selectorELNS0_4arch9wavefront6targetE0EEEvSZ_.has_indirect_call, 0
	.section	.AMDGPU.csdata,"",@progbits
; Kernel info:
; codeLenInByte = 0
; TotalNumSgprs: 0
; NumVgprs: 0
; ScratchSize: 0
; MemoryBound: 0
; FloatMode: 240
; IeeeMode: 1
; LDSByteSize: 0 bytes/workgroup (compile time only)
; SGPRBlocks: 0
; VGPRBlocks: 0
; NumSGPRsForWavesPerEU: 1
; NumVGPRsForWavesPerEU: 1
; Occupancy: 16
; WaveLimiterHint : 0
; COMPUTE_PGM_RSRC2:SCRATCH_EN: 0
; COMPUTE_PGM_RSRC2:USER_SGPR: 2
; COMPUTE_PGM_RSRC2:TRAP_HANDLER: 0
; COMPUTE_PGM_RSRC2:TGID_X_EN: 1
; COMPUTE_PGM_RSRC2:TGID_Y_EN: 0
; COMPUTE_PGM_RSRC2:TGID_Z_EN: 0
; COMPUTE_PGM_RSRC2:TIDIG_COMP_CNT: 0
	.section	.text._ZN7rocprim17ROCPRIM_400000_NS6detail17trampoline_kernelINS0_13select_configILj256ELj13ELNS0_17block_load_methodE3ELS4_3ELS4_3ELNS0_20block_scan_algorithmE0ELj4294967295EEENS1_25partition_config_selectorILNS1_17partition_subalgoE3EjNS0_10empty_typeEbEEZZNS1_14partition_implILS8_3ELb0ES6_jNS0_17counting_iteratorIjlEEPS9_SE_NS0_5tupleIJPjSE_EEENSF_IJSE_SE_EEES9_SG_JZNS1_25segmented_radix_sort_implINS0_14default_configELb0EPK6__halfPSL_PKlPlN2at6native12_GLOBAL__N_18offset_tEEE10hipError_tPvRmT1_PNSt15iterator_traitsISZ_E10value_typeET2_T3_PNS10_IS15_E10value_typeET4_jRbjT5_S1B_jjP12ihipStream_tbEUljE_EEESW_SX_SY_S15_S19_S1B_T6_T7_T9_mT8_S1D_bDpT10_ENKUlT_T0_E_clISt17integral_constantIbLb1EES1Q_EEDaS1L_S1M_EUlS1L_E_NS1_11comp_targetILNS1_3genE3ELNS1_11target_archE908ELNS1_3gpuE7ELNS1_3repE0EEENS1_30default_config_static_selectorELNS0_4arch9wavefront6targetE0EEEvSZ_,"axG",@progbits,_ZN7rocprim17ROCPRIM_400000_NS6detail17trampoline_kernelINS0_13select_configILj256ELj13ELNS0_17block_load_methodE3ELS4_3ELS4_3ELNS0_20block_scan_algorithmE0ELj4294967295EEENS1_25partition_config_selectorILNS1_17partition_subalgoE3EjNS0_10empty_typeEbEEZZNS1_14partition_implILS8_3ELb0ES6_jNS0_17counting_iteratorIjlEEPS9_SE_NS0_5tupleIJPjSE_EEENSF_IJSE_SE_EEES9_SG_JZNS1_25segmented_radix_sort_implINS0_14default_configELb0EPK6__halfPSL_PKlPlN2at6native12_GLOBAL__N_18offset_tEEE10hipError_tPvRmT1_PNSt15iterator_traitsISZ_E10value_typeET2_T3_PNS10_IS15_E10value_typeET4_jRbjT5_S1B_jjP12ihipStream_tbEUljE_EEESW_SX_SY_S15_S19_S1B_T6_T7_T9_mT8_S1D_bDpT10_ENKUlT_T0_E_clISt17integral_constantIbLb1EES1Q_EEDaS1L_S1M_EUlS1L_E_NS1_11comp_targetILNS1_3genE3ELNS1_11target_archE908ELNS1_3gpuE7ELNS1_3repE0EEENS1_30default_config_static_selectorELNS0_4arch9wavefront6targetE0EEEvSZ_,comdat
	.globl	_ZN7rocprim17ROCPRIM_400000_NS6detail17trampoline_kernelINS0_13select_configILj256ELj13ELNS0_17block_load_methodE3ELS4_3ELS4_3ELNS0_20block_scan_algorithmE0ELj4294967295EEENS1_25partition_config_selectorILNS1_17partition_subalgoE3EjNS0_10empty_typeEbEEZZNS1_14partition_implILS8_3ELb0ES6_jNS0_17counting_iteratorIjlEEPS9_SE_NS0_5tupleIJPjSE_EEENSF_IJSE_SE_EEES9_SG_JZNS1_25segmented_radix_sort_implINS0_14default_configELb0EPK6__halfPSL_PKlPlN2at6native12_GLOBAL__N_18offset_tEEE10hipError_tPvRmT1_PNSt15iterator_traitsISZ_E10value_typeET2_T3_PNS10_IS15_E10value_typeET4_jRbjT5_S1B_jjP12ihipStream_tbEUljE_EEESW_SX_SY_S15_S19_S1B_T6_T7_T9_mT8_S1D_bDpT10_ENKUlT_T0_E_clISt17integral_constantIbLb1EES1Q_EEDaS1L_S1M_EUlS1L_E_NS1_11comp_targetILNS1_3genE3ELNS1_11target_archE908ELNS1_3gpuE7ELNS1_3repE0EEENS1_30default_config_static_selectorELNS0_4arch9wavefront6targetE0EEEvSZ_ ; -- Begin function _ZN7rocprim17ROCPRIM_400000_NS6detail17trampoline_kernelINS0_13select_configILj256ELj13ELNS0_17block_load_methodE3ELS4_3ELS4_3ELNS0_20block_scan_algorithmE0ELj4294967295EEENS1_25partition_config_selectorILNS1_17partition_subalgoE3EjNS0_10empty_typeEbEEZZNS1_14partition_implILS8_3ELb0ES6_jNS0_17counting_iteratorIjlEEPS9_SE_NS0_5tupleIJPjSE_EEENSF_IJSE_SE_EEES9_SG_JZNS1_25segmented_radix_sort_implINS0_14default_configELb0EPK6__halfPSL_PKlPlN2at6native12_GLOBAL__N_18offset_tEEE10hipError_tPvRmT1_PNSt15iterator_traitsISZ_E10value_typeET2_T3_PNS10_IS15_E10value_typeET4_jRbjT5_S1B_jjP12ihipStream_tbEUljE_EEESW_SX_SY_S15_S19_S1B_T6_T7_T9_mT8_S1D_bDpT10_ENKUlT_T0_E_clISt17integral_constantIbLb1EES1Q_EEDaS1L_S1M_EUlS1L_E_NS1_11comp_targetILNS1_3genE3ELNS1_11target_archE908ELNS1_3gpuE7ELNS1_3repE0EEENS1_30default_config_static_selectorELNS0_4arch9wavefront6targetE0EEEvSZ_
	.p2align	8
	.type	_ZN7rocprim17ROCPRIM_400000_NS6detail17trampoline_kernelINS0_13select_configILj256ELj13ELNS0_17block_load_methodE3ELS4_3ELS4_3ELNS0_20block_scan_algorithmE0ELj4294967295EEENS1_25partition_config_selectorILNS1_17partition_subalgoE3EjNS0_10empty_typeEbEEZZNS1_14partition_implILS8_3ELb0ES6_jNS0_17counting_iteratorIjlEEPS9_SE_NS0_5tupleIJPjSE_EEENSF_IJSE_SE_EEES9_SG_JZNS1_25segmented_radix_sort_implINS0_14default_configELb0EPK6__halfPSL_PKlPlN2at6native12_GLOBAL__N_18offset_tEEE10hipError_tPvRmT1_PNSt15iterator_traitsISZ_E10value_typeET2_T3_PNS10_IS15_E10value_typeET4_jRbjT5_S1B_jjP12ihipStream_tbEUljE_EEESW_SX_SY_S15_S19_S1B_T6_T7_T9_mT8_S1D_bDpT10_ENKUlT_T0_E_clISt17integral_constantIbLb1EES1Q_EEDaS1L_S1M_EUlS1L_E_NS1_11comp_targetILNS1_3genE3ELNS1_11target_archE908ELNS1_3gpuE7ELNS1_3repE0EEENS1_30default_config_static_selectorELNS0_4arch9wavefront6targetE0EEEvSZ_,@function
_ZN7rocprim17ROCPRIM_400000_NS6detail17trampoline_kernelINS0_13select_configILj256ELj13ELNS0_17block_load_methodE3ELS4_3ELS4_3ELNS0_20block_scan_algorithmE0ELj4294967295EEENS1_25partition_config_selectorILNS1_17partition_subalgoE3EjNS0_10empty_typeEbEEZZNS1_14partition_implILS8_3ELb0ES6_jNS0_17counting_iteratorIjlEEPS9_SE_NS0_5tupleIJPjSE_EEENSF_IJSE_SE_EEES9_SG_JZNS1_25segmented_radix_sort_implINS0_14default_configELb0EPK6__halfPSL_PKlPlN2at6native12_GLOBAL__N_18offset_tEEE10hipError_tPvRmT1_PNSt15iterator_traitsISZ_E10value_typeET2_T3_PNS10_IS15_E10value_typeET4_jRbjT5_S1B_jjP12ihipStream_tbEUljE_EEESW_SX_SY_S15_S19_S1B_T6_T7_T9_mT8_S1D_bDpT10_ENKUlT_T0_E_clISt17integral_constantIbLb1EES1Q_EEDaS1L_S1M_EUlS1L_E_NS1_11comp_targetILNS1_3genE3ELNS1_11target_archE908ELNS1_3gpuE7ELNS1_3repE0EEENS1_30default_config_static_selectorELNS0_4arch9wavefront6targetE0EEEvSZ_: ; @_ZN7rocprim17ROCPRIM_400000_NS6detail17trampoline_kernelINS0_13select_configILj256ELj13ELNS0_17block_load_methodE3ELS4_3ELS4_3ELNS0_20block_scan_algorithmE0ELj4294967295EEENS1_25partition_config_selectorILNS1_17partition_subalgoE3EjNS0_10empty_typeEbEEZZNS1_14partition_implILS8_3ELb0ES6_jNS0_17counting_iteratorIjlEEPS9_SE_NS0_5tupleIJPjSE_EEENSF_IJSE_SE_EEES9_SG_JZNS1_25segmented_radix_sort_implINS0_14default_configELb0EPK6__halfPSL_PKlPlN2at6native12_GLOBAL__N_18offset_tEEE10hipError_tPvRmT1_PNSt15iterator_traitsISZ_E10value_typeET2_T3_PNS10_IS15_E10value_typeET4_jRbjT5_S1B_jjP12ihipStream_tbEUljE_EEESW_SX_SY_S15_S19_S1B_T6_T7_T9_mT8_S1D_bDpT10_ENKUlT_T0_E_clISt17integral_constantIbLb1EES1Q_EEDaS1L_S1M_EUlS1L_E_NS1_11comp_targetILNS1_3genE3ELNS1_11target_archE908ELNS1_3gpuE7ELNS1_3repE0EEENS1_30default_config_static_selectorELNS0_4arch9wavefront6targetE0EEEvSZ_
; %bb.0:
	.section	.rodata,"a",@progbits
	.p2align	6, 0x0
	.amdhsa_kernel _ZN7rocprim17ROCPRIM_400000_NS6detail17trampoline_kernelINS0_13select_configILj256ELj13ELNS0_17block_load_methodE3ELS4_3ELS4_3ELNS0_20block_scan_algorithmE0ELj4294967295EEENS1_25partition_config_selectorILNS1_17partition_subalgoE3EjNS0_10empty_typeEbEEZZNS1_14partition_implILS8_3ELb0ES6_jNS0_17counting_iteratorIjlEEPS9_SE_NS0_5tupleIJPjSE_EEENSF_IJSE_SE_EEES9_SG_JZNS1_25segmented_radix_sort_implINS0_14default_configELb0EPK6__halfPSL_PKlPlN2at6native12_GLOBAL__N_18offset_tEEE10hipError_tPvRmT1_PNSt15iterator_traitsISZ_E10value_typeET2_T3_PNS10_IS15_E10value_typeET4_jRbjT5_S1B_jjP12ihipStream_tbEUljE_EEESW_SX_SY_S15_S19_S1B_T6_T7_T9_mT8_S1D_bDpT10_ENKUlT_T0_E_clISt17integral_constantIbLb1EES1Q_EEDaS1L_S1M_EUlS1L_E_NS1_11comp_targetILNS1_3genE3ELNS1_11target_archE908ELNS1_3gpuE7ELNS1_3repE0EEENS1_30default_config_static_selectorELNS0_4arch9wavefront6targetE0EEEvSZ_
		.amdhsa_group_segment_fixed_size 0
		.amdhsa_private_segment_fixed_size 0
		.amdhsa_kernarg_size 152
		.amdhsa_user_sgpr_count 2
		.amdhsa_user_sgpr_dispatch_ptr 0
		.amdhsa_user_sgpr_queue_ptr 0
		.amdhsa_user_sgpr_kernarg_segment_ptr 1
		.amdhsa_user_sgpr_dispatch_id 0
		.amdhsa_user_sgpr_private_segment_size 0
		.amdhsa_wavefront_size32 1
		.amdhsa_uses_dynamic_stack 0
		.amdhsa_enable_private_segment 0
		.amdhsa_system_sgpr_workgroup_id_x 1
		.amdhsa_system_sgpr_workgroup_id_y 0
		.amdhsa_system_sgpr_workgroup_id_z 0
		.amdhsa_system_sgpr_workgroup_info 0
		.amdhsa_system_vgpr_workitem_id 0
		.amdhsa_next_free_vgpr 1
		.amdhsa_next_free_sgpr 1
		.amdhsa_reserve_vcc 0
		.amdhsa_float_round_mode_32 0
		.amdhsa_float_round_mode_16_64 0
		.amdhsa_float_denorm_mode_32 3
		.amdhsa_float_denorm_mode_16_64 3
		.amdhsa_fp16_overflow 0
		.amdhsa_workgroup_processor_mode 1
		.amdhsa_memory_ordered 1
		.amdhsa_forward_progress 1
		.amdhsa_inst_pref_size 0
		.amdhsa_round_robin_scheduling 0
		.amdhsa_exception_fp_ieee_invalid_op 0
		.amdhsa_exception_fp_denorm_src 0
		.amdhsa_exception_fp_ieee_div_zero 0
		.amdhsa_exception_fp_ieee_overflow 0
		.amdhsa_exception_fp_ieee_underflow 0
		.amdhsa_exception_fp_ieee_inexact 0
		.amdhsa_exception_int_div_zero 0
	.end_amdhsa_kernel
	.section	.text._ZN7rocprim17ROCPRIM_400000_NS6detail17trampoline_kernelINS0_13select_configILj256ELj13ELNS0_17block_load_methodE3ELS4_3ELS4_3ELNS0_20block_scan_algorithmE0ELj4294967295EEENS1_25partition_config_selectorILNS1_17partition_subalgoE3EjNS0_10empty_typeEbEEZZNS1_14partition_implILS8_3ELb0ES6_jNS0_17counting_iteratorIjlEEPS9_SE_NS0_5tupleIJPjSE_EEENSF_IJSE_SE_EEES9_SG_JZNS1_25segmented_radix_sort_implINS0_14default_configELb0EPK6__halfPSL_PKlPlN2at6native12_GLOBAL__N_18offset_tEEE10hipError_tPvRmT1_PNSt15iterator_traitsISZ_E10value_typeET2_T3_PNS10_IS15_E10value_typeET4_jRbjT5_S1B_jjP12ihipStream_tbEUljE_EEESW_SX_SY_S15_S19_S1B_T6_T7_T9_mT8_S1D_bDpT10_ENKUlT_T0_E_clISt17integral_constantIbLb1EES1Q_EEDaS1L_S1M_EUlS1L_E_NS1_11comp_targetILNS1_3genE3ELNS1_11target_archE908ELNS1_3gpuE7ELNS1_3repE0EEENS1_30default_config_static_selectorELNS0_4arch9wavefront6targetE0EEEvSZ_,"axG",@progbits,_ZN7rocprim17ROCPRIM_400000_NS6detail17trampoline_kernelINS0_13select_configILj256ELj13ELNS0_17block_load_methodE3ELS4_3ELS4_3ELNS0_20block_scan_algorithmE0ELj4294967295EEENS1_25partition_config_selectorILNS1_17partition_subalgoE3EjNS0_10empty_typeEbEEZZNS1_14partition_implILS8_3ELb0ES6_jNS0_17counting_iteratorIjlEEPS9_SE_NS0_5tupleIJPjSE_EEENSF_IJSE_SE_EEES9_SG_JZNS1_25segmented_radix_sort_implINS0_14default_configELb0EPK6__halfPSL_PKlPlN2at6native12_GLOBAL__N_18offset_tEEE10hipError_tPvRmT1_PNSt15iterator_traitsISZ_E10value_typeET2_T3_PNS10_IS15_E10value_typeET4_jRbjT5_S1B_jjP12ihipStream_tbEUljE_EEESW_SX_SY_S15_S19_S1B_T6_T7_T9_mT8_S1D_bDpT10_ENKUlT_T0_E_clISt17integral_constantIbLb1EES1Q_EEDaS1L_S1M_EUlS1L_E_NS1_11comp_targetILNS1_3genE3ELNS1_11target_archE908ELNS1_3gpuE7ELNS1_3repE0EEENS1_30default_config_static_selectorELNS0_4arch9wavefront6targetE0EEEvSZ_,comdat
.Lfunc_end1821:
	.size	_ZN7rocprim17ROCPRIM_400000_NS6detail17trampoline_kernelINS0_13select_configILj256ELj13ELNS0_17block_load_methodE3ELS4_3ELS4_3ELNS0_20block_scan_algorithmE0ELj4294967295EEENS1_25partition_config_selectorILNS1_17partition_subalgoE3EjNS0_10empty_typeEbEEZZNS1_14partition_implILS8_3ELb0ES6_jNS0_17counting_iteratorIjlEEPS9_SE_NS0_5tupleIJPjSE_EEENSF_IJSE_SE_EEES9_SG_JZNS1_25segmented_radix_sort_implINS0_14default_configELb0EPK6__halfPSL_PKlPlN2at6native12_GLOBAL__N_18offset_tEEE10hipError_tPvRmT1_PNSt15iterator_traitsISZ_E10value_typeET2_T3_PNS10_IS15_E10value_typeET4_jRbjT5_S1B_jjP12ihipStream_tbEUljE_EEESW_SX_SY_S15_S19_S1B_T6_T7_T9_mT8_S1D_bDpT10_ENKUlT_T0_E_clISt17integral_constantIbLb1EES1Q_EEDaS1L_S1M_EUlS1L_E_NS1_11comp_targetILNS1_3genE3ELNS1_11target_archE908ELNS1_3gpuE7ELNS1_3repE0EEENS1_30default_config_static_selectorELNS0_4arch9wavefront6targetE0EEEvSZ_, .Lfunc_end1821-_ZN7rocprim17ROCPRIM_400000_NS6detail17trampoline_kernelINS0_13select_configILj256ELj13ELNS0_17block_load_methodE3ELS4_3ELS4_3ELNS0_20block_scan_algorithmE0ELj4294967295EEENS1_25partition_config_selectorILNS1_17partition_subalgoE3EjNS0_10empty_typeEbEEZZNS1_14partition_implILS8_3ELb0ES6_jNS0_17counting_iteratorIjlEEPS9_SE_NS0_5tupleIJPjSE_EEENSF_IJSE_SE_EEES9_SG_JZNS1_25segmented_radix_sort_implINS0_14default_configELb0EPK6__halfPSL_PKlPlN2at6native12_GLOBAL__N_18offset_tEEE10hipError_tPvRmT1_PNSt15iterator_traitsISZ_E10value_typeET2_T3_PNS10_IS15_E10value_typeET4_jRbjT5_S1B_jjP12ihipStream_tbEUljE_EEESW_SX_SY_S15_S19_S1B_T6_T7_T9_mT8_S1D_bDpT10_ENKUlT_T0_E_clISt17integral_constantIbLb1EES1Q_EEDaS1L_S1M_EUlS1L_E_NS1_11comp_targetILNS1_3genE3ELNS1_11target_archE908ELNS1_3gpuE7ELNS1_3repE0EEENS1_30default_config_static_selectorELNS0_4arch9wavefront6targetE0EEEvSZ_
                                        ; -- End function
	.set _ZN7rocprim17ROCPRIM_400000_NS6detail17trampoline_kernelINS0_13select_configILj256ELj13ELNS0_17block_load_methodE3ELS4_3ELS4_3ELNS0_20block_scan_algorithmE0ELj4294967295EEENS1_25partition_config_selectorILNS1_17partition_subalgoE3EjNS0_10empty_typeEbEEZZNS1_14partition_implILS8_3ELb0ES6_jNS0_17counting_iteratorIjlEEPS9_SE_NS0_5tupleIJPjSE_EEENSF_IJSE_SE_EEES9_SG_JZNS1_25segmented_radix_sort_implINS0_14default_configELb0EPK6__halfPSL_PKlPlN2at6native12_GLOBAL__N_18offset_tEEE10hipError_tPvRmT1_PNSt15iterator_traitsISZ_E10value_typeET2_T3_PNS10_IS15_E10value_typeET4_jRbjT5_S1B_jjP12ihipStream_tbEUljE_EEESW_SX_SY_S15_S19_S1B_T6_T7_T9_mT8_S1D_bDpT10_ENKUlT_T0_E_clISt17integral_constantIbLb1EES1Q_EEDaS1L_S1M_EUlS1L_E_NS1_11comp_targetILNS1_3genE3ELNS1_11target_archE908ELNS1_3gpuE7ELNS1_3repE0EEENS1_30default_config_static_selectorELNS0_4arch9wavefront6targetE0EEEvSZ_.num_vgpr, 0
	.set _ZN7rocprim17ROCPRIM_400000_NS6detail17trampoline_kernelINS0_13select_configILj256ELj13ELNS0_17block_load_methodE3ELS4_3ELS4_3ELNS0_20block_scan_algorithmE0ELj4294967295EEENS1_25partition_config_selectorILNS1_17partition_subalgoE3EjNS0_10empty_typeEbEEZZNS1_14partition_implILS8_3ELb0ES6_jNS0_17counting_iteratorIjlEEPS9_SE_NS0_5tupleIJPjSE_EEENSF_IJSE_SE_EEES9_SG_JZNS1_25segmented_radix_sort_implINS0_14default_configELb0EPK6__halfPSL_PKlPlN2at6native12_GLOBAL__N_18offset_tEEE10hipError_tPvRmT1_PNSt15iterator_traitsISZ_E10value_typeET2_T3_PNS10_IS15_E10value_typeET4_jRbjT5_S1B_jjP12ihipStream_tbEUljE_EEESW_SX_SY_S15_S19_S1B_T6_T7_T9_mT8_S1D_bDpT10_ENKUlT_T0_E_clISt17integral_constantIbLb1EES1Q_EEDaS1L_S1M_EUlS1L_E_NS1_11comp_targetILNS1_3genE3ELNS1_11target_archE908ELNS1_3gpuE7ELNS1_3repE0EEENS1_30default_config_static_selectorELNS0_4arch9wavefront6targetE0EEEvSZ_.num_agpr, 0
	.set _ZN7rocprim17ROCPRIM_400000_NS6detail17trampoline_kernelINS0_13select_configILj256ELj13ELNS0_17block_load_methodE3ELS4_3ELS4_3ELNS0_20block_scan_algorithmE0ELj4294967295EEENS1_25partition_config_selectorILNS1_17partition_subalgoE3EjNS0_10empty_typeEbEEZZNS1_14partition_implILS8_3ELb0ES6_jNS0_17counting_iteratorIjlEEPS9_SE_NS0_5tupleIJPjSE_EEENSF_IJSE_SE_EEES9_SG_JZNS1_25segmented_radix_sort_implINS0_14default_configELb0EPK6__halfPSL_PKlPlN2at6native12_GLOBAL__N_18offset_tEEE10hipError_tPvRmT1_PNSt15iterator_traitsISZ_E10value_typeET2_T3_PNS10_IS15_E10value_typeET4_jRbjT5_S1B_jjP12ihipStream_tbEUljE_EEESW_SX_SY_S15_S19_S1B_T6_T7_T9_mT8_S1D_bDpT10_ENKUlT_T0_E_clISt17integral_constantIbLb1EES1Q_EEDaS1L_S1M_EUlS1L_E_NS1_11comp_targetILNS1_3genE3ELNS1_11target_archE908ELNS1_3gpuE7ELNS1_3repE0EEENS1_30default_config_static_selectorELNS0_4arch9wavefront6targetE0EEEvSZ_.numbered_sgpr, 0
	.set _ZN7rocprim17ROCPRIM_400000_NS6detail17trampoline_kernelINS0_13select_configILj256ELj13ELNS0_17block_load_methodE3ELS4_3ELS4_3ELNS0_20block_scan_algorithmE0ELj4294967295EEENS1_25partition_config_selectorILNS1_17partition_subalgoE3EjNS0_10empty_typeEbEEZZNS1_14partition_implILS8_3ELb0ES6_jNS0_17counting_iteratorIjlEEPS9_SE_NS0_5tupleIJPjSE_EEENSF_IJSE_SE_EEES9_SG_JZNS1_25segmented_radix_sort_implINS0_14default_configELb0EPK6__halfPSL_PKlPlN2at6native12_GLOBAL__N_18offset_tEEE10hipError_tPvRmT1_PNSt15iterator_traitsISZ_E10value_typeET2_T3_PNS10_IS15_E10value_typeET4_jRbjT5_S1B_jjP12ihipStream_tbEUljE_EEESW_SX_SY_S15_S19_S1B_T6_T7_T9_mT8_S1D_bDpT10_ENKUlT_T0_E_clISt17integral_constantIbLb1EES1Q_EEDaS1L_S1M_EUlS1L_E_NS1_11comp_targetILNS1_3genE3ELNS1_11target_archE908ELNS1_3gpuE7ELNS1_3repE0EEENS1_30default_config_static_selectorELNS0_4arch9wavefront6targetE0EEEvSZ_.num_named_barrier, 0
	.set _ZN7rocprim17ROCPRIM_400000_NS6detail17trampoline_kernelINS0_13select_configILj256ELj13ELNS0_17block_load_methodE3ELS4_3ELS4_3ELNS0_20block_scan_algorithmE0ELj4294967295EEENS1_25partition_config_selectorILNS1_17partition_subalgoE3EjNS0_10empty_typeEbEEZZNS1_14partition_implILS8_3ELb0ES6_jNS0_17counting_iteratorIjlEEPS9_SE_NS0_5tupleIJPjSE_EEENSF_IJSE_SE_EEES9_SG_JZNS1_25segmented_radix_sort_implINS0_14default_configELb0EPK6__halfPSL_PKlPlN2at6native12_GLOBAL__N_18offset_tEEE10hipError_tPvRmT1_PNSt15iterator_traitsISZ_E10value_typeET2_T3_PNS10_IS15_E10value_typeET4_jRbjT5_S1B_jjP12ihipStream_tbEUljE_EEESW_SX_SY_S15_S19_S1B_T6_T7_T9_mT8_S1D_bDpT10_ENKUlT_T0_E_clISt17integral_constantIbLb1EES1Q_EEDaS1L_S1M_EUlS1L_E_NS1_11comp_targetILNS1_3genE3ELNS1_11target_archE908ELNS1_3gpuE7ELNS1_3repE0EEENS1_30default_config_static_selectorELNS0_4arch9wavefront6targetE0EEEvSZ_.private_seg_size, 0
	.set _ZN7rocprim17ROCPRIM_400000_NS6detail17trampoline_kernelINS0_13select_configILj256ELj13ELNS0_17block_load_methodE3ELS4_3ELS4_3ELNS0_20block_scan_algorithmE0ELj4294967295EEENS1_25partition_config_selectorILNS1_17partition_subalgoE3EjNS0_10empty_typeEbEEZZNS1_14partition_implILS8_3ELb0ES6_jNS0_17counting_iteratorIjlEEPS9_SE_NS0_5tupleIJPjSE_EEENSF_IJSE_SE_EEES9_SG_JZNS1_25segmented_radix_sort_implINS0_14default_configELb0EPK6__halfPSL_PKlPlN2at6native12_GLOBAL__N_18offset_tEEE10hipError_tPvRmT1_PNSt15iterator_traitsISZ_E10value_typeET2_T3_PNS10_IS15_E10value_typeET4_jRbjT5_S1B_jjP12ihipStream_tbEUljE_EEESW_SX_SY_S15_S19_S1B_T6_T7_T9_mT8_S1D_bDpT10_ENKUlT_T0_E_clISt17integral_constantIbLb1EES1Q_EEDaS1L_S1M_EUlS1L_E_NS1_11comp_targetILNS1_3genE3ELNS1_11target_archE908ELNS1_3gpuE7ELNS1_3repE0EEENS1_30default_config_static_selectorELNS0_4arch9wavefront6targetE0EEEvSZ_.uses_vcc, 0
	.set _ZN7rocprim17ROCPRIM_400000_NS6detail17trampoline_kernelINS0_13select_configILj256ELj13ELNS0_17block_load_methodE3ELS4_3ELS4_3ELNS0_20block_scan_algorithmE0ELj4294967295EEENS1_25partition_config_selectorILNS1_17partition_subalgoE3EjNS0_10empty_typeEbEEZZNS1_14partition_implILS8_3ELb0ES6_jNS0_17counting_iteratorIjlEEPS9_SE_NS0_5tupleIJPjSE_EEENSF_IJSE_SE_EEES9_SG_JZNS1_25segmented_radix_sort_implINS0_14default_configELb0EPK6__halfPSL_PKlPlN2at6native12_GLOBAL__N_18offset_tEEE10hipError_tPvRmT1_PNSt15iterator_traitsISZ_E10value_typeET2_T3_PNS10_IS15_E10value_typeET4_jRbjT5_S1B_jjP12ihipStream_tbEUljE_EEESW_SX_SY_S15_S19_S1B_T6_T7_T9_mT8_S1D_bDpT10_ENKUlT_T0_E_clISt17integral_constantIbLb1EES1Q_EEDaS1L_S1M_EUlS1L_E_NS1_11comp_targetILNS1_3genE3ELNS1_11target_archE908ELNS1_3gpuE7ELNS1_3repE0EEENS1_30default_config_static_selectorELNS0_4arch9wavefront6targetE0EEEvSZ_.uses_flat_scratch, 0
	.set _ZN7rocprim17ROCPRIM_400000_NS6detail17trampoline_kernelINS0_13select_configILj256ELj13ELNS0_17block_load_methodE3ELS4_3ELS4_3ELNS0_20block_scan_algorithmE0ELj4294967295EEENS1_25partition_config_selectorILNS1_17partition_subalgoE3EjNS0_10empty_typeEbEEZZNS1_14partition_implILS8_3ELb0ES6_jNS0_17counting_iteratorIjlEEPS9_SE_NS0_5tupleIJPjSE_EEENSF_IJSE_SE_EEES9_SG_JZNS1_25segmented_radix_sort_implINS0_14default_configELb0EPK6__halfPSL_PKlPlN2at6native12_GLOBAL__N_18offset_tEEE10hipError_tPvRmT1_PNSt15iterator_traitsISZ_E10value_typeET2_T3_PNS10_IS15_E10value_typeET4_jRbjT5_S1B_jjP12ihipStream_tbEUljE_EEESW_SX_SY_S15_S19_S1B_T6_T7_T9_mT8_S1D_bDpT10_ENKUlT_T0_E_clISt17integral_constantIbLb1EES1Q_EEDaS1L_S1M_EUlS1L_E_NS1_11comp_targetILNS1_3genE3ELNS1_11target_archE908ELNS1_3gpuE7ELNS1_3repE0EEENS1_30default_config_static_selectorELNS0_4arch9wavefront6targetE0EEEvSZ_.has_dyn_sized_stack, 0
	.set _ZN7rocprim17ROCPRIM_400000_NS6detail17trampoline_kernelINS0_13select_configILj256ELj13ELNS0_17block_load_methodE3ELS4_3ELS4_3ELNS0_20block_scan_algorithmE0ELj4294967295EEENS1_25partition_config_selectorILNS1_17partition_subalgoE3EjNS0_10empty_typeEbEEZZNS1_14partition_implILS8_3ELb0ES6_jNS0_17counting_iteratorIjlEEPS9_SE_NS0_5tupleIJPjSE_EEENSF_IJSE_SE_EEES9_SG_JZNS1_25segmented_radix_sort_implINS0_14default_configELb0EPK6__halfPSL_PKlPlN2at6native12_GLOBAL__N_18offset_tEEE10hipError_tPvRmT1_PNSt15iterator_traitsISZ_E10value_typeET2_T3_PNS10_IS15_E10value_typeET4_jRbjT5_S1B_jjP12ihipStream_tbEUljE_EEESW_SX_SY_S15_S19_S1B_T6_T7_T9_mT8_S1D_bDpT10_ENKUlT_T0_E_clISt17integral_constantIbLb1EES1Q_EEDaS1L_S1M_EUlS1L_E_NS1_11comp_targetILNS1_3genE3ELNS1_11target_archE908ELNS1_3gpuE7ELNS1_3repE0EEENS1_30default_config_static_selectorELNS0_4arch9wavefront6targetE0EEEvSZ_.has_recursion, 0
	.set _ZN7rocprim17ROCPRIM_400000_NS6detail17trampoline_kernelINS0_13select_configILj256ELj13ELNS0_17block_load_methodE3ELS4_3ELS4_3ELNS0_20block_scan_algorithmE0ELj4294967295EEENS1_25partition_config_selectorILNS1_17partition_subalgoE3EjNS0_10empty_typeEbEEZZNS1_14partition_implILS8_3ELb0ES6_jNS0_17counting_iteratorIjlEEPS9_SE_NS0_5tupleIJPjSE_EEENSF_IJSE_SE_EEES9_SG_JZNS1_25segmented_radix_sort_implINS0_14default_configELb0EPK6__halfPSL_PKlPlN2at6native12_GLOBAL__N_18offset_tEEE10hipError_tPvRmT1_PNSt15iterator_traitsISZ_E10value_typeET2_T3_PNS10_IS15_E10value_typeET4_jRbjT5_S1B_jjP12ihipStream_tbEUljE_EEESW_SX_SY_S15_S19_S1B_T6_T7_T9_mT8_S1D_bDpT10_ENKUlT_T0_E_clISt17integral_constantIbLb1EES1Q_EEDaS1L_S1M_EUlS1L_E_NS1_11comp_targetILNS1_3genE3ELNS1_11target_archE908ELNS1_3gpuE7ELNS1_3repE0EEENS1_30default_config_static_selectorELNS0_4arch9wavefront6targetE0EEEvSZ_.has_indirect_call, 0
	.section	.AMDGPU.csdata,"",@progbits
; Kernel info:
; codeLenInByte = 0
; TotalNumSgprs: 0
; NumVgprs: 0
; ScratchSize: 0
; MemoryBound: 0
; FloatMode: 240
; IeeeMode: 1
; LDSByteSize: 0 bytes/workgroup (compile time only)
; SGPRBlocks: 0
; VGPRBlocks: 0
; NumSGPRsForWavesPerEU: 1
; NumVGPRsForWavesPerEU: 1
; Occupancy: 16
; WaveLimiterHint : 0
; COMPUTE_PGM_RSRC2:SCRATCH_EN: 0
; COMPUTE_PGM_RSRC2:USER_SGPR: 2
; COMPUTE_PGM_RSRC2:TRAP_HANDLER: 0
; COMPUTE_PGM_RSRC2:TGID_X_EN: 1
; COMPUTE_PGM_RSRC2:TGID_Y_EN: 0
; COMPUTE_PGM_RSRC2:TGID_Z_EN: 0
; COMPUTE_PGM_RSRC2:TIDIG_COMP_CNT: 0
	.section	.text._ZN7rocprim17ROCPRIM_400000_NS6detail17trampoline_kernelINS0_13select_configILj256ELj13ELNS0_17block_load_methodE3ELS4_3ELS4_3ELNS0_20block_scan_algorithmE0ELj4294967295EEENS1_25partition_config_selectorILNS1_17partition_subalgoE3EjNS0_10empty_typeEbEEZZNS1_14partition_implILS8_3ELb0ES6_jNS0_17counting_iteratorIjlEEPS9_SE_NS0_5tupleIJPjSE_EEENSF_IJSE_SE_EEES9_SG_JZNS1_25segmented_radix_sort_implINS0_14default_configELb0EPK6__halfPSL_PKlPlN2at6native12_GLOBAL__N_18offset_tEEE10hipError_tPvRmT1_PNSt15iterator_traitsISZ_E10value_typeET2_T3_PNS10_IS15_E10value_typeET4_jRbjT5_S1B_jjP12ihipStream_tbEUljE_EEESW_SX_SY_S15_S19_S1B_T6_T7_T9_mT8_S1D_bDpT10_ENKUlT_T0_E_clISt17integral_constantIbLb1EES1Q_EEDaS1L_S1M_EUlS1L_E_NS1_11comp_targetILNS1_3genE2ELNS1_11target_archE906ELNS1_3gpuE6ELNS1_3repE0EEENS1_30default_config_static_selectorELNS0_4arch9wavefront6targetE0EEEvSZ_,"axG",@progbits,_ZN7rocprim17ROCPRIM_400000_NS6detail17trampoline_kernelINS0_13select_configILj256ELj13ELNS0_17block_load_methodE3ELS4_3ELS4_3ELNS0_20block_scan_algorithmE0ELj4294967295EEENS1_25partition_config_selectorILNS1_17partition_subalgoE3EjNS0_10empty_typeEbEEZZNS1_14partition_implILS8_3ELb0ES6_jNS0_17counting_iteratorIjlEEPS9_SE_NS0_5tupleIJPjSE_EEENSF_IJSE_SE_EEES9_SG_JZNS1_25segmented_radix_sort_implINS0_14default_configELb0EPK6__halfPSL_PKlPlN2at6native12_GLOBAL__N_18offset_tEEE10hipError_tPvRmT1_PNSt15iterator_traitsISZ_E10value_typeET2_T3_PNS10_IS15_E10value_typeET4_jRbjT5_S1B_jjP12ihipStream_tbEUljE_EEESW_SX_SY_S15_S19_S1B_T6_T7_T9_mT8_S1D_bDpT10_ENKUlT_T0_E_clISt17integral_constantIbLb1EES1Q_EEDaS1L_S1M_EUlS1L_E_NS1_11comp_targetILNS1_3genE2ELNS1_11target_archE906ELNS1_3gpuE6ELNS1_3repE0EEENS1_30default_config_static_selectorELNS0_4arch9wavefront6targetE0EEEvSZ_,comdat
	.globl	_ZN7rocprim17ROCPRIM_400000_NS6detail17trampoline_kernelINS0_13select_configILj256ELj13ELNS0_17block_load_methodE3ELS4_3ELS4_3ELNS0_20block_scan_algorithmE0ELj4294967295EEENS1_25partition_config_selectorILNS1_17partition_subalgoE3EjNS0_10empty_typeEbEEZZNS1_14partition_implILS8_3ELb0ES6_jNS0_17counting_iteratorIjlEEPS9_SE_NS0_5tupleIJPjSE_EEENSF_IJSE_SE_EEES9_SG_JZNS1_25segmented_radix_sort_implINS0_14default_configELb0EPK6__halfPSL_PKlPlN2at6native12_GLOBAL__N_18offset_tEEE10hipError_tPvRmT1_PNSt15iterator_traitsISZ_E10value_typeET2_T3_PNS10_IS15_E10value_typeET4_jRbjT5_S1B_jjP12ihipStream_tbEUljE_EEESW_SX_SY_S15_S19_S1B_T6_T7_T9_mT8_S1D_bDpT10_ENKUlT_T0_E_clISt17integral_constantIbLb1EES1Q_EEDaS1L_S1M_EUlS1L_E_NS1_11comp_targetILNS1_3genE2ELNS1_11target_archE906ELNS1_3gpuE6ELNS1_3repE0EEENS1_30default_config_static_selectorELNS0_4arch9wavefront6targetE0EEEvSZ_ ; -- Begin function _ZN7rocprim17ROCPRIM_400000_NS6detail17trampoline_kernelINS0_13select_configILj256ELj13ELNS0_17block_load_methodE3ELS4_3ELS4_3ELNS0_20block_scan_algorithmE0ELj4294967295EEENS1_25partition_config_selectorILNS1_17partition_subalgoE3EjNS0_10empty_typeEbEEZZNS1_14partition_implILS8_3ELb0ES6_jNS0_17counting_iteratorIjlEEPS9_SE_NS0_5tupleIJPjSE_EEENSF_IJSE_SE_EEES9_SG_JZNS1_25segmented_radix_sort_implINS0_14default_configELb0EPK6__halfPSL_PKlPlN2at6native12_GLOBAL__N_18offset_tEEE10hipError_tPvRmT1_PNSt15iterator_traitsISZ_E10value_typeET2_T3_PNS10_IS15_E10value_typeET4_jRbjT5_S1B_jjP12ihipStream_tbEUljE_EEESW_SX_SY_S15_S19_S1B_T6_T7_T9_mT8_S1D_bDpT10_ENKUlT_T0_E_clISt17integral_constantIbLb1EES1Q_EEDaS1L_S1M_EUlS1L_E_NS1_11comp_targetILNS1_3genE2ELNS1_11target_archE906ELNS1_3gpuE6ELNS1_3repE0EEENS1_30default_config_static_selectorELNS0_4arch9wavefront6targetE0EEEvSZ_
	.p2align	8
	.type	_ZN7rocprim17ROCPRIM_400000_NS6detail17trampoline_kernelINS0_13select_configILj256ELj13ELNS0_17block_load_methodE3ELS4_3ELS4_3ELNS0_20block_scan_algorithmE0ELj4294967295EEENS1_25partition_config_selectorILNS1_17partition_subalgoE3EjNS0_10empty_typeEbEEZZNS1_14partition_implILS8_3ELb0ES6_jNS0_17counting_iteratorIjlEEPS9_SE_NS0_5tupleIJPjSE_EEENSF_IJSE_SE_EEES9_SG_JZNS1_25segmented_radix_sort_implINS0_14default_configELb0EPK6__halfPSL_PKlPlN2at6native12_GLOBAL__N_18offset_tEEE10hipError_tPvRmT1_PNSt15iterator_traitsISZ_E10value_typeET2_T3_PNS10_IS15_E10value_typeET4_jRbjT5_S1B_jjP12ihipStream_tbEUljE_EEESW_SX_SY_S15_S19_S1B_T6_T7_T9_mT8_S1D_bDpT10_ENKUlT_T0_E_clISt17integral_constantIbLb1EES1Q_EEDaS1L_S1M_EUlS1L_E_NS1_11comp_targetILNS1_3genE2ELNS1_11target_archE906ELNS1_3gpuE6ELNS1_3repE0EEENS1_30default_config_static_selectorELNS0_4arch9wavefront6targetE0EEEvSZ_,@function
_ZN7rocprim17ROCPRIM_400000_NS6detail17trampoline_kernelINS0_13select_configILj256ELj13ELNS0_17block_load_methodE3ELS4_3ELS4_3ELNS0_20block_scan_algorithmE0ELj4294967295EEENS1_25partition_config_selectorILNS1_17partition_subalgoE3EjNS0_10empty_typeEbEEZZNS1_14partition_implILS8_3ELb0ES6_jNS0_17counting_iteratorIjlEEPS9_SE_NS0_5tupleIJPjSE_EEENSF_IJSE_SE_EEES9_SG_JZNS1_25segmented_radix_sort_implINS0_14default_configELb0EPK6__halfPSL_PKlPlN2at6native12_GLOBAL__N_18offset_tEEE10hipError_tPvRmT1_PNSt15iterator_traitsISZ_E10value_typeET2_T3_PNS10_IS15_E10value_typeET4_jRbjT5_S1B_jjP12ihipStream_tbEUljE_EEESW_SX_SY_S15_S19_S1B_T6_T7_T9_mT8_S1D_bDpT10_ENKUlT_T0_E_clISt17integral_constantIbLb1EES1Q_EEDaS1L_S1M_EUlS1L_E_NS1_11comp_targetILNS1_3genE2ELNS1_11target_archE906ELNS1_3gpuE6ELNS1_3repE0EEENS1_30default_config_static_selectorELNS0_4arch9wavefront6targetE0EEEvSZ_: ; @_ZN7rocprim17ROCPRIM_400000_NS6detail17trampoline_kernelINS0_13select_configILj256ELj13ELNS0_17block_load_methodE3ELS4_3ELS4_3ELNS0_20block_scan_algorithmE0ELj4294967295EEENS1_25partition_config_selectorILNS1_17partition_subalgoE3EjNS0_10empty_typeEbEEZZNS1_14partition_implILS8_3ELb0ES6_jNS0_17counting_iteratorIjlEEPS9_SE_NS0_5tupleIJPjSE_EEENSF_IJSE_SE_EEES9_SG_JZNS1_25segmented_radix_sort_implINS0_14default_configELb0EPK6__halfPSL_PKlPlN2at6native12_GLOBAL__N_18offset_tEEE10hipError_tPvRmT1_PNSt15iterator_traitsISZ_E10value_typeET2_T3_PNS10_IS15_E10value_typeET4_jRbjT5_S1B_jjP12ihipStream_tbEUljE_EEESW_SX_SY_S15_S19_S1B_T6_T7_T9_mT8_S1D_bDpT10_ENKUlT_T0_E_clISt17integral_constantIbLb1EES1Q_EEDaS1L_S1M_EUlS1L_E_NS1_11comp_targetILNS1_3genE2ELNS1_11target_archE906ELNS1_3gpuE6ELNS1_3repE0EEENS1_30default_config_static_selectorELNS0_4arch9wavefront6targetE0EEEvSZ_
; %bb.0:
	.section	.rodata,"a",@progbits
	.p2align	6, 0x0
	.amdhsa_kernel _ZN7rocprim17ROCPRIM_400000_NS6detail17trampoline_kernelINS0_13select_configILj256ELj13ELNS0_17block_load_methodE3ELS4_3ELS4_3ELNS0_20block_scan_algorithmE0ELj4294967295EEENS1_25partition_config_selectorILNS1_17partition_subalgoE3EjNS0_10empty_typeEbEEZZNS1_14partition_implILS8_3ELb0ES6_jNS0_17counting_iteratorIjlEEPS9_SE_NS0_5tupleIJPjSE_EEENSF_IJSE_SE_EEES9_SG_JZNS1_25segmented_radix_sort_implINS0_14default_configELb0EPK6__halfPSL_PKlPlN2at6native12_GLOBAL__N_18offset_tEEE10hipError_tPvRmT1_PNSt15iterator_traitsISZ_E10value_typeET2_T3_PNS10_IS15_E10value_typeET4_jRbjT5_S1B_jjP12ihipStream_tbEUljE_EEESW_SX_SY_S15_S19_S1B_T6_T7_T9_mT8_S1D_bDpT10_ENKUlT_T0_E_clISt17integral_constantIbLb1EES1Q_EEDaS1L_S1M_EUlS1L_E_NS1_11comp_targetILNS1_3genE2ELNS1_11target_archE906ELNS1_3gpuE6ELNS1_3repE0EEENS1_30default_config_static_selectorELNS0_4arch9wavefront6targetE0EEEvSZ_
		.amdhsa_group_segment_fixed_size 0
		.amdhsa_private_segment_fixed_size 0
		.amdhsa_kernarg_size 152
		.amdhsa_user_sgpr_count 2
		.amdhsa_user_sgpr_dispatch_ptr 0
		.amdhsa_user_sgpr_queue_ptr 0
		.amdhsa_user_sgpr_kernarg_segment_ptr 1
		.amdhsa_user_sgpr_dispatch_id 0
		.amdhsa_user_sgpr_private_segment_size 0
		.amdhsa_wavefront_size32 1
		.amdhsa_uses_dynamic_stack 0
		.amdhsa_enable_private_segment 0
		.amdhsa_system_sgpr_workgroup_id_x 1
		.amdhsa_system_sgpr_workgroup_id_y 0
		.amdhsa_system_sgpr_workgroup_id_z 0
		.amdhsa_system_sgpr_workgroup_info 0
		.amdhsa_system_vgpr_workitem_id 0
		.amdhsa_next_free_vgpr 1
		.amdhsa_next_free_sgpr 1
		.amdhsa_reserve_vcc 0
		.amdhsa_float_round_mode_32 0
		.amdhsa_float_round_mode_16_64 0
		.amdhsa_float_denorm_mode_32 3
		.amdhsa_float_denorm_mode_16_64 3
		.amdhsa_fp16_overflow 0
		.amdhsa_workgroup_processor_mode 1
		.amdhsa_memory_ordered 1
		.amdhsa_forward_progress 1
		.amdhsa_inst_pref_size 0
		.amdhsa_round_robin_scheduling 0
		.amdhsa_exception_fp_ieee_invalid_op 0
		.amdhsa_exception_fp_denorm_src 0
		.amdhsa_exception_fp_ieee_div_zero 0
		.amdhsa_exception_fp_ieee_overflow 0
		.amdhsa_exception_fp_ieee_underflow 0
		.amdhsa_exception_fp_ieee_inexact 0
		.amdhsa_exception_int_div_zero 0
	.end_amdhsa_kernel
	.section	.text._ZN7rocprim17ROCPRIM_400000_NS6detail17trampoline_kernelINS0_13select_configILj256ELj13ELNS0_17block_load_methodE3ELS4_3ELS4_3ELNS0_20block_scan_algorithmE0ELj4294967295EEENS1_25partition_config_selectorILNS1_17partition_subalgoE3EjNS0_10empty_typeEbEEZZNS1_14partition_implILS8_3ELb0ES6_jNS0_17counting_iteratorIjlEEPS9_SE_NS0_5tupleIJPjSE_EEENSF_IJSE_SE_EEES9_SG_JZNS1_25segmented_radix_sort_implINS0_14default_configELb0EPK6__halfPSL_PKlPlN2at6native12_GLOBAL__N_18offset_tEEE10hipError_tPvRmT1_PNSt15iterator_traitsISZ_E10value_typeET2_T3_PNS10_IS15_E10value_typeET4_jRbjT5_S1B_jjP12ihipStream_tbEUljE_EEESW_SX_SY_S15_S19_S1B_T6_T7_T9_mT8_S1D_bDpT10_ENKUlT_T0_E_clISt17integral_constantIbLb1EES1Q_EEDaS1L_S1M_EUlS1L_E_NS1_11comp_targetILNS1_3genE2ELNS1_11target_archE906ELNS1_3gpuE6ELNS1_3repE0EEENS1_30default_config_static_selectorELNS0_4arch9wavefront6targetE0EEEvSZ_,"axG",@progbits,_ZN7rocprim17ROCPRIM_400000_NS6detail17trampoline_kernelINS0_13select_configILj256ELj13ELNS0_17block_load_methodE3ELS4_3ELS4_3ELNS0_20block_scan_algorithmE0ELj4294967295EEENS1_25partition_config_selectorILNS1_17partition_subalgoE3EjNS0_10empty_typeEbEEZZNS1_14partition_implILS8_3ELb0ES6_jNS0_17counting_iteratorIjlEEPS9_SE_NS0_5tupleIJPjSE_EEENSF_IJSE_SE_EEES9_SG_JZNS1_25segmented_radix_sort_implINS0_14default_configELb0EPK6__halfPSL_PKlPlN2at6native12_GLOBAL__N_18offset_tEEE10hipError_tPvRmT1_PNSt15iterator_traitsISZ_E10value_typeET2_T3_PNS10_IS15_E10value_typeET4_jRbjT5_S1B_jjP12ihipStream_tbEUljE_EEESW_SX_SY_S15_S19_S1B_T6_T7_T9_mT8_S1D_bDpT10_ENKUlT_T0_E_clISt17integral_constantIbLb1EES1Q_EEDaS1L_S1M_EUlS1L_E_NS1_11comp_targetILNS1_3genE2ELNS1_11target_archE906ELNS1_3gpuE6ELNS1_3repE0EEENS1_30default_config_static_selectorELNS0_4arch9wavefront6targetE0EEEvSZ_,comdat
.Lfunc_end1822:
	.size	_ZN7rocprim17ROCPRIM_400000_NS6detail17trampoline_kernelINS0_13select_configILj256ELj13ELNS0_17block_load_methodE3ELS4_3ELS4_3ELNS0_20block_scan_algorithmE0ELj4294967295EEENS1_25partition_config_selectorILNS1_17partition_subalgoE3EjNS0_10empty_typeEbEEZZNS1_14partition_implILS8_3ELb0ES6_jNS0_17counting_iteratorIjlEEPS9_SE_NS0_5tupleIJPjSE_EEENSF_IJSE_SE_EEES9_SG_JZNS1_25segmented_radix_sort_implINS0_14default_configELb0EPK6__halfPSL_PKlPlN2at6native12_GLOBAL__N_18offset_tEEE10hipError_tPvRmT1_PNSt15iterator_traitsISZ_E10value_typeET2_T3_PNS10_IS15_E10value_typeET4_jRbjT5_S1B_jjP12ihipStream_tbEUljE_EEESW_SX_SY_S15_S19_S1B_T6_T7_T9_mT8_S1D_bDpT10_ENKUlT_T0_E_clISt17integral_constantIbLb1EES1Q_EEDaS1L_S1M_EUlS1L_E_NS1_11comp_targetILNS1_3genE2ELNS1_11target_archE906ELNS1_3gpuE6ELNS1_3repE0EEENS1_30default_config_static_selectorELNS0_4arch9wavefront6targetE0EEEvSZ_, .Lfunc_end1822-_ZN7rocprim17ROCPRIM_400000_NS6detail17trampoline_kernelINS0_13select_configILj256ELj13ELNS0_17block_load_methodE3ELS4_3ELS4_3ELNS0_20block_scan_algorithmE0ELj4294967295EEENS1_25partition_config_selectorILNS1_17partition_subalgoE3EjNS0_10empty_typeEbEEZZNS1_14partition_implILS8_3ELb0ES6_jNS0_17counting_iteratorIjlEEPS9_SE_NS0_5tupleIJPjSE_EEENSF_IJSE_SE_EEES9_SG_JZNS1_25segmented_radix_sort_implINS0_14default_configELb0EPK6__halfPSL_PKlPlN2at6native12_GLOBAL__N_18offset_tEEE10hipError_tPvRmT1_PNSt15iterator_traitsISZ_E10value_typeET2_T3_PNS10_IS15_E10value_typeET4_jRbjT5_S1B_jjP12ihipStream_tbEUljE_EEESW_SX_SY_S15_S19_S1B_T6_T7_T9_mT8_S1D_bDpT10_ENKUlT_T0_E_clISt17integral_constantIbLb1EES1Q_EEDaS1L_S1M_EUlS1L_E_NS1_11comp_targetILNS1_3genE2ELNS1_11target_archE906ELNS1_3gpuE6ELNS1_3repE0EEENS1_30default_config_static_selectorELNS0_4arch9wavefront6targetE0EEEvSZ_
                                        ; -- End function
	.set _ZN7rocprim17ROCPRIM_400000_NS6detail17trampoline_kernelINS0_13select_configILj256ELj13ELNS0_17block_load_methodE3ELS4_3ELS4_3ELNS0_20block_scan_algorithmE0ELj4294967295EEENS1_25partition_config_selectorILNS1_17partition_subalgoE3EjNS0_10empty_typeEbEEZZNS1_14partition_implILS8_3ELb0ES6_jNS0_17counting_iteratorIjlEEPS9_SE_NS0_5tupleIJPjSE_EEENSF_IJSE_SE_EEES9_SG_JZNS1_25segmented_radix_sort_implINS0_14default_configELb0EPK6__halfPSL_PKlPlN2at6native12_GLOBAL__N_18offset_tEEE10hipError_tPvRmT1_PNSt15iterator_traitsISZ_E10value_typeET2_T3_PNS10_IS15_E10value_typeET4_jRbjT5_S1B_jjP12ihipStream_tbEUljE_EEESW_SX_SY_S15_S19_S1B_T6_T7_T9_mT8_S1D_bDpT10_ENKUlT_T0_E_clISt17integral_constantIbLb1EES1Q_EEDaS1L_S1M_EUlS1L_E_NS1_11comp_targetILNS1_3genE2ELNS1_11target_archE906ELNS1_3gpuE6ELNS1_3repE0EEENS1_30default_config_static_selectorELNS0_4arch9wavefront6targetE0EEEvSZ_.num_vgpr, 0
	.set _ZN7rocprim17ROCPRIM_400000_NS6detail17trampoline_kernelINS0_13select_configILj256ELj13ELNS0_17block_load_methodE3ELS4_3ELS4_3ELNS0_20block_scan_algorithmE0ELj4294967295EEENS1_25partition_config_selectorILNS1_17partition_subalgoE3EjNS0_10empty_typeEbEEZZNS1_14partition_implILS8_3ELb0ES6_jNS0_17counting_iteratorIjlEEPS9_SE_NS0_5tupleIJPjSE_EEENSF_IJSE_SE_EEES9_SG_JZNS1_25segmented_radix_sort_implINS0_14default_configELb0EPK6__halfPSL_PKlPlN2at6native12_GLOBAL__N_18offset_tEEE10hipError_tPvRmT1_PNSt15iterator_traitsISZ_E10value_typeET2_T3_PNS10_IS15_E10value_typeET4_jRbjT5_S1B_jjP12ihipStream_tbEUljE_EEESW_SX_SY_S15_S19_S1B_T6_T7_T9_mT8_S1D_bDpT10_ENKUlT_T0_E_clISt17integral_constantIbLb1EES1Q_EEDaS1L_S1M_EUlS1L_E_NS1_11comp_targetILNS1_3genE2ELNS1_11target_archE906ELNS1_3gpuE6ELNS1_3repE0EEENS1_30default_config_static_selectorELNS0_4arch9wavefront6targetE0EEEvSZ_.num_agpr, 0
	.set _ZN7rocprim17ROCPRIM_400000_NS6detail17trampoline_kernelINS0_13select_configILj256ELj13ELNS0_17block_load_methodE3ELS4_3ELS4_3ELNS0_20block_scan_algorithmE0ELj4294967295EEENS1_25partition_config_selectorILNS1_17partition_subalgoE3EjNS0_10empty_typeEbEEZZNS1_14partition_implILS8_3ELb0ES6_jNS0_17counting_iteratorIjlEEPS9_SE_NS0_5tupleIJPjSE_EEENSF_IJSE_SE_EEES9_SG_JZNS1_25segmented_radix_sort_implINS0_14default_configELb0EPK6__halfPSL_PKlPlN2at6native12_GLOBAL__N_18offset_tEEE10hipError_tPvRmT1_PNSt15iterator_traitsISZ_E10value_typeET2_T3_PNS10_IS15_E10value_typeET4_jRbjT5_S1B_jjP12ihipStream_tbEUljE_EEESW_SX_SY_S15_S19_S1B_T6_T7_T9_mT8_S1D_bDpT10_ENKUlT_T0_E_clISt17integral_constantIbLb1EES1Q_EEDaS1L_S1M_EUlS1L_E_NS1_11comp_targetILNS1_3genE2ELNS1_11target_archE906ELNS1_3gpuE6ELNS1_3repE0EEENS1_30default_config_static_selectorELNS0_4arch9wavefront6targetE0EEEvSZ_.numbered_sgpr, 0
	.set _ZN7rocprim17ROCPRIM_400000_NS6detail17trampoline_kernelINS0_13select_configILj256ELj13ELNS0_17block_load_methodE3ELS4_3ELS4_3ELNS0_20block_scan_algorithmE0ELj4294967295EEENS1_25partition_config_selectorILNS1_17partition_subalgoE3EjNS0_10empty_typeEbEEZZNS1_14partition_implILS8_3ELb0ES6_jNS0_17counting_iteratorIjlEEPS9_SE_NS0_5tupleIJPjSE_EEENSF_IJSE_SE_EEES9_SG_JZNS1_25segmented_radix_sort_implINS0_14default_configELb0EPK6__halfPSL_PKlPlN2at6native12_GLOBAL__N_18offset_tEEE10hipError_tPvRmT1_PNSt15iterator_traitsISZ_E10value_typeET2_T3_PNS10_IS15_E10value_typeET4_jRbjT5_S1B_jjP12ihipStream_tbEUljE_EEESW_SX_SY_S15_S19_S1B_T6_T7_T9_mT8_S1D_bDpT10_ENKUlT_T0_E_clISt17integral_constantIbLb1EES1Q_EEDaS1L_S1M_EUlS1L_E_NS1_11comp_targetILNS1_3genE2ELNS1_11target_archE906ELNS1_3gpuE6ELNS1_3repE0EEENS1_30default_config_static_selectorELNS0_4arch9wavefront6targetE0EEEvSZ_.num_named_barrier, 0
	.set _ZN7rocprim17ROCPRIM_400000_NS6detail17trampoline_kernelINS0_13select_configILj256ELj13ELNS0_17block_load_methodE3ELS4_3ELS4_3ELNS0_20block_scan_algorithmE0ELj4294967295EEENS1_25partition_config_selectorILNS1_17partition_subalgoE3EjNS0_10empty_typeEbEEZZNS1_14partition_implILS8_3ELb0ES6_jNS0_17counting_iteratorIjlEEPS9_SE_NS0_5tupleIJPjSE_EEENSF_IJSE_SE_EEES9_SG_JZNS1_25segmented_radix_sort_implINS0_14default_configELb0EPK6__halfPSL_PKlPlN2at6native12_GLOBAL__N_18offset_tEEE10hipError_tPvRmT1_PNSt15iterator_traitsISZ_E10value_typeET2_T3_PNS10_IS15_E10value_typeET4_jRbjT5_S1B_jjP12ihipStream_tbEUljE_EEESW_SX_SY_S15_S19_S1B_T6_T7_T9_mT8_S1D_bDpT10_ENKUlT_T0_E_clISt17integral_constantIbLb1EES1Q_EEDaS1L_S1M_EUlS1L_E_NS1_11comp_targetILNS1_3genE2ELNS1_11target_archE906ELNS1_3gpuE6ELNS1_3repE0EEENS1_30default_config_static_selectorELNS0_4arch9wavefront6targetE0EEEvSZ_.private_seg_size, 0
	.set _ZN7rocprim17ROCPRIM_400000_NS6detail17trampoline_kernelINS0_13select_configILj256ELj13ELNS0_17block_load_methodE3ELS4_3ELS4_3ELNS0_20block_scan_algorithmE0ELj4294967295EEENS1_25partition_config_selectorILNS1_17partition_subalgoE3EjNS0_10empty_typeEbEEZZNS1_14partition_implILS8_3ELb0ES6_jNS0_17counting_iteratorIjlEEPS9_SE_NS0_5tupleIJPjSE_EEENSF_IJSE_SE_EEES9_SG_JZNS1_25segmented_radix_sort_implINS0_14default_configELb0EPK6__halfPSL_PKlPlN2at6native12_GLOBAL__N_18offset_tEEE10hipError_tPvRmT1_PNSt15iterator_traitsISZ_E10value_typeET2_T3_PNS10_IS15_E10value_typeET4_jRbjT5_S1B_jjP12ihipStream_tbEUljE_EEESW_SX_SY_S15_S19_S1B_T6_T7_T9_mT8_S1D_bDpT10_ENKUlT_T0_E_clISt17integral_constantIbLb1EES1Q_EEDaS1L_S1M_EUlS1L_E_NS1_11comp_targetILNS1_3genE2ELNS1_11target_archE906ELNS1_3gpuE6ELNS1_3repE0EEENS1_30default_config_static_selectorELNS0_4arch9wavefront6targetE0EEEvSZ_.uses_vcc, 0
	.set _ZN7rocprim17ROCPRIM_400000_NS6detail17trampoline_kernelINS0_13select_configILj256ELj13ELNS0_17block_load_methodE3ELS4_3ELS4_3ELNS0_20block_scan_algorithmE0ELj4294967295EEENS1_25partition_config_selectorILNS1_17partition_subalgoE3EjNS0_10empty_typeEbEEZZNS1_14partition_implILS8_3ELb0ES6_jNS0_17counting_iteratorIjlEEPS9_SE_NS0_5tupleIJPjSE_EEENSF_IJSE_SE_EEES9_SG_JZNS1_25segmented_radix_sort_implINS0_14default_configELb0EPK6__halfPSL_PKlPlN2at6native12_GLOBAL__N_18offset_tEEE10hipError_tPvRmT1_PNSt15iterator_traitsISZ_E10value_typeET2_T3_PNS10_IS15_E10value_typeET4_jRbjT5_S1B_jjP12ihipStream_tbEUljE_EEESW_SX_SY_S15_S19_S1B_T6_T7_T9_mT8_S1D_bDpT10_ENKUlT_T0_E_clISt17integral_constantIbLb1EES1Q_EEDaS1L_S1M_EUlS1L_E_NS1_11comp_targetILNS1_3genE2ELNS1_11target_archE906ELNS1_3gpuE6ELNS1_3repE0EEENS1_30default_config_static_selectorELNS0_4arch9wavefront6targetE0EEEvSZ_.uses_flat_scratch, 0
	.set _ZN7rocprim17ROCPRIM_400000_NS6detail17trampoline_kernelINS0_13select_configILj256ELj13ELNS0_17block_load_methodE3ELS4_3ELS4_3ELNS0_20block_scan_algorithmE0ELj4294967295EEENS1_25partition_config_selectorILNS1_17partition_subalgoE3EjNS0_10empty_typeEbEEZZNS1_14partition_implILS8_3ELb0ES6_jNS0_17counting_iteratorIjlEEPS9_SE_NS0_5tupleIJPjSE_EEENSF_IJSE_SE_EEES9_SG_JZNS1_25segmented_radix_sort_implINS0_14default_configELb0EPK6__halfPSL_PKlPlN2at6native12_GLOBAL__N_18offset_tEEE10hipError_tPvRmT1_PNSt15iterator_traitsISZ_E10value_typeET2_T3_PNS10_IS15_E10value_typeET4_jRbjT5_S1B_jjP12ihipStream_tbEUljE_EEESW_SX_SY_S15_S19_S1B_T6_T7_T9_mT8_S1D_bDpT10_ENKUlT_T0_E_clISt17integral_constantIbLb1EES1Q_EEDaS1L_S1M_EUlS1L_E_NS1_11comp_targetILNS1_3genE2ELNS1_11target_archE906ELNS1_3gpuE6ELNS1_3repE0EEENS1_30default_config_static_selectorELNS0_4arch9wavefront6targetE0EEEvSZ_.has_dyn_sized_stack, 0
	.set _ZN7rocprim17ROCPRIM_400000_NS6detail17trampoline_kernelINS0_13select_configILj256ELj13ELNS0_17block_load_methodE3ELS4_3ELS4_3ELNS0_20block_scan_algorithmE0ELj4294967295EEENS1_25partition_config_selectorILNS1_17partition_subalgoE3EjNS0_10empty_typeEbEEZZNS1_14partition_implILS8_3ELb0ES6_jNS0_17counting_iteratorIjlEEPS9_SE_NS0_5tupleIJPjSE_EEENSF_IJSE_SE_EEES9_SG_JZNS1_25segmented_radix_sort_implINS0_14default_configELb0EPK6__halfPSL_PKlPlN2at6native12_GLOBAL__N_18offset_tEEE10hipError_tPvRmT1_PNSt15iterator_traitsISZ_E10value_typeET2_T3_PNS10_IS15_E10value_typeET4_jRbjT5_S1B_jjP12ihipStream_tbEUljE_EEESW_SX_SY_S15_S19_S1B_T6_T7_T9_mT8_S1D_bDpT10_ENKUlT_T0_E_clISt17integral_constantIbLb1EES1Q_EEDaS1L_S1M_EUlS1L_E_NS1_11comp_targetILNS1_3genE2ELNS1_11target_archE906ELNS1_3gpuE6ELNS1_3repE0EEENS1_30default_config_static_selectorELNS0_4arch9wavefront6targetE0EEEvSZ_.has_recursion, 0
	.set _ZN7rocprim17ROCPRIM_400000_NS6detail17trampoline_kernelINS0_13select_configILj256ELj13ELNS0_17block_load_methodE3ELS4_3ELS4_3ELNS0_20block_scan_algorithmE0ELj4294967295EEENS1_25partition_config_selectorILNS1_17partition_subalgoE3EjNS0_10empty_typeEbEEZZNS1_14partition_implILS8_3ELb0ES6_jNS0_17counting_iteratorIjlEEPS9_SE_NS0_5tupleIJPjSE_EEENSF_IJSE_SE_EEES9_SG_JZNS1_25segmented_radix_sort_implINS0_14default_configELb0EPK6__halfPSL_PKlPlN2at6native12_GLOBAL__N_18offset_tEEE10hipError_tPvRmT1_PNSt15iterator_traitsISZ_E10value_typeET2_T3_PNS10_IS15_E10value_typeET4_jRbjT5_S1B_jjP12ihipStream_tbEUljE_EEESW_SX_SY_S15_S19_S1B_T6_T7_T9_mT8_S1D_bDpT10_ENKUlT_T0_E_clISt17integral_constantIbLb1EES1Q_EEDaS1L_S1M_EUlS1L_E_NS1_11comp_targetILNS1_3genE2ELNS1_11target_archE906ELNS1_3gpuE6ELNS1_3repE0EEENS1_30default_config_static_selectorELNS0_4arch9wavefront6targetE0EEEvSZ_.has_indirect_call, 0
	.section	.AMDGPU.csdata,"",@progbits
; Kernel info:
; codeLenInByte = 0
; TotalNumSgprs: 0
; NumVgprs: 0
; ScratchSize: 0
; MemoryBound: 0
; FloatMode: 240
; IeeeMode: 1
; LDSByteSize: 0 bytes/workgroup (compile time only)
; SGPRBlocks: 0
; VGPRBlocks: 0
; NumSGPRsForWavesPerEU: 1
; NumVGPRsForWavesPerEU: 1
; Occupancy: 16
; WaveLimiterHint : 0
; COMPUTE_PGM_RSRC2:SCRATCH_EN: 0
; COMPUTE_PGM_RSRC2:USER_SGPR: 2
; COMPUTE_PGM_RSRC2:TRAP_HANDLER: 0
; COMPUTE_PGM_RSRC2:TGID_X_EN: 1
; COMPUTE_PGM_RSRC2:TGID_Y_EN: 0
; COMPUTE_PGM_RSRC2:TGID_Z_EN: 0
; COMPUTE_PGM_RSRC2:TIDIG_COMP_CNT: 0
	.section	.text._ZN7rocprim17ROCPRIM_400000_NS6detail17trampoline_kernelINS0_13select_configILj256ELj13ELNS0_17block_load_methodE3ELS4_3ELS4_3ELNS0_20block_scan_algorithmE0ELj4294967295EEENS1_25partition_config_selectorILNS1_17partition_subalgoE3EjNS0_10empty_typeEbEEZZNS1_14partition_implILS8_3ELb0ES6_jNS0_17counting_iteratorIjlEEPS9_SE_NS0_5tupleIJPjSE_EEENSF_IJSE_SE_EEES9_SG_JZNS1_25segmented_radix_sort_implINS0_14default_configELb0EPK6__halfPSL_PKlPlN2at6native12_GLOBAL__N_18offset_tEEE10hipError_tPvRmT1_PNSt15iterator_traitsISZ_E10value_typeET2_T3_PNS10_IS15_E10value_typeET4_jRbjT5_S1B_jjP12ihipStream_tbEUljE_EEESW_SX_SY_S15_S19_S1B_T6_T7_T9_mT8_S1D_bDpT10_ENKUlT_T0_E_clISt17integral_constantIbLb1EES1Q_EEDaS1L_S1M_EUlS1L_E_NS1_11comp_targetILNS1_3genE10ELNS1_11target_archE1200ELNS1_3gpuE4ELNS1_3repE0EEENS1_30default_config_static_selectorELNS0_4arch9wavefront6targetE0EEEvSZ_,"axG",@progbits,_ZN7rocprim17ROCPRIM_400000_NS6detail17trampoline_kernelINS0_13select_configILj256ELj13ELNS0_17block_load_methodE3ELS4_3ELS4_3ELNS0_20block_scan_algorithmE0ELj4294967295EEENS1_25partition_config_selectorILNS1_17partition_subalgoE3EjNS0_10empty_typeEbEEZZNS1_14partition_implILS8_3ELb0ES6_jNS0_17counting_iteratorIjlEEPS9_SE_NS0_5tupleIJPjSE_EEENSF_IJSE_SE_EEES9_SG_JZNS1_25segmented_radix_sort_implINS0_14default_configELb0EPK6__halfPSL_PKlPlN2at6native12_GLOBAL__N_18offset_tEEE10hipError_tPvRmT1_PNSt15iterator_traitsISZ_E10value_typeET2_T3_PNS10_IS15_E10value_typeET4_jRbjT5_S1B_jjP12ihipStream_tbEUljE_EEESW_SX_SY_S15_S19_S1B_T6_T7_T9_mT8_S1D_bDpT10_ENKUlT_T0_E_clISt17integral_constantIbLb1EES1Q_EEDaS1L_S1M_EUlS1L_E_NS1_11comp_targetILNS1_3genE10ELNS1_11target_archE1200ELNS1_3gpuE4ELNS1_3repE0EEENS1_30default_config_static_selectorELNS0_4arch9wavefront6targetE0EEEvSZ_,comdat
	.globl	_ZN7rocprim17ROCPRIM_400000_NS6detail17trampoline_kernelINS0_13select_configILj256ELj13ELNS0_17block_load_methodE3ELS4_3ELS4_3ELNS0_20block_scan_algorithmE0ELj4294967295EEENS1_25partition_config_selectorILNS1_17partition_subalgoE3EjNS0_10empty_typeEbEEZZNS1_14partition_implILS8_3ELb0ES6_jNS0_17counting_iteratorIjlEEPS9_SE_NS0_5tupleIJPjSE_EEENSF_IJSE_SE_EEES9_SG_JZNS1_25segmented_radix_sort_implINS0_14default_configELb0EPK6__halfPSL_PKlPlN2at6native12_GLOBAL__N_18offset_tEEE10hipError_tPvRmT1_PNSt15iterator_traitsISZ_E10value_typeET2_T3_PNS10_IS15_E10value_typeET4_jRbjT5_S1B_jjP12ihipStream_tbEUljE_EEESW_SX_SY_S15_S19_S1B_T6_T7_T9_mT8_S1D_bDpT10_ENKUlT_T0_E_clISt17integral_constantIbLb1EES1Q_EEDaS1L_S1M_EUlS1L_E_NS1_11comp_targetILNS1_3genE10ELNS1_11target_archE1200ELNS1_3gpuE4ELNS1_3repE0EEENS1_30default_config_static_selectorELNS0_4arch9wavefront6targetE0EEEvSZ_ ; -- Begin function _ZN7rocprim17ROCPRIM_400000_NS6detail17trampoline_kernelINS0_13select_configILj256ELj13ELNS0_17block_load_methodE3ELS4_3ELS4_3ELNS0_20block_scan_algorithmE0ELj4294967295EEENS1_25partition_config_selectorILNS1_17partition_subalgoE3EjNS0_10empty_typeEbEEZZNS1_14partition_implILS8_3ELb0ES6_jNS0_17counting_iteratorIjlEEPS9_SE_NS0_5tupleIJPjSE_EEENSF_IJSE_SE_EEES9_SG_JZNS1_25segmented_radix_sort_implINS0_14default_configELb0EPK6__halfPSL_PKlPlN2at6native12_GLOBAL__N_18offset_tEEE10hipError_tPvRmT1_PNSt15iterator_traitsISZ_E10value_typeET2_T3_PNS10_IS15_E10value_typeET4_jRbjT5_S1B_jjP12ihipStream_tbEUljE_EEESW_SX_SY_S15_S19_S1B_T6_T7_T9_mT8_S1D_bDpT10_ENKUlT_T0_E_clISt17integral_constantIbLb1EES1Q_EEDaS1L_S1M_EUlS1L_E_NS1_11comp_targetILNS1_3genE10ELNS1_11target_archE1200ELNS1_3gpuE4ELNS1_3repE0EEENS1_30default_config_static_selectorELNS0_4arch9wavefront6targetE0EEEvSZ_
	.p2align	8
	.type	_ZN7rocprim17ROCPRIM_400000_NS6detail17trampoline_kernelINS0_13select_configILj256ELj13ELNS0_17block_load_methodE3ELS4_3ELS4_3ELNS0_20block_scan_algorithmE0ELj4294967295EEENS1_25partition_config_selectorILNS1_17partition_subalgoE3EjNS0_10empty_typeEbEEZZNS1_14partition_implILS8_3ELb0ES6_jNS0_17counting_iteratorIjlEEPS9_SE_NS0_5tupleIJPjSE_EEENSF_IJSE_SE_EEES9_SG_JZNS1_25segmented_radix_sort_implINS0_14default_configELb0EPK6__halfPSL_PKlPlN2at6native12_GLOBAL__N_18offset_tEEE10hipError_tPvRmT1_PNSt15iterator_traitsISZ_E10value_typeET2_T3_PNS10_IS15_E10value_typeET4_jRbjT5_S1B_jjP12ihipStream_tbEUljE_EEESW_SX_SY_S15_S19_S1B_T6_T7_T9_mT8_S1D_bDpT10_ENKUlT_T0_E_clISt17integral_constantIbLb1EES1Q_EEDaS1L_S1M_EUlS1L_E_NS1_11comp_targetILNS1_3genE10ELNS1_11target_archE1200ELNS1_3gpuE4ELNS1_3repE0EEENS1_30default_config_static_selectorELNS0_4arch9wavefront6targetE0EEEvSZ_,@function
_ZN7rocprim17ROCPRIM_400000_NS6detail17trampoline_kernelINS0_13select_configILj256ELj13ELNS0_17block_load_methodE3ELS4_3ELS4_3ELNS0_20block_scan_algorithmE0ELj4294967295EEENS1_25partition_config_selectorILNS1_17partition_subalgoE3EjNS0_10empty_typeEbEEZZNS1_14partition_implILS8_3ELb0ES6_jNS0_17counting_iteratorIjlEEPS9_SE_NS0_5tupleIJPjSE_EEENSF_IJSE_SE_EEES9_SG_JZNS1_25segmented_radix_sort_implINS0_14default_configELb0EPK6__halfPSL_PKlPlN2at6native12_GLOBAL__N_18offset_tEEE10hipError_tPvRmT1_PNSt15iterator_traitsISZ_E10value_typeET2_T3_PNS10_IS15_E10value_typeET4_jRbjT5_S1B_jjP12ihipStream_tbEUljE_EEESW_SX_SY_S15_S19_S1B_T6_T7_T9_mT8_S1D_bDpT10_ENKUlT_T0_E_clISt17integral_constantIbLb1EES1Q_EEDaS1L_S1M_EUlS1L_E_NS1_11comp_targetILNS1_3genE10ELNS1_11target_archE1200ELNS1_3gpuE4ELNS1_3repE0EEENS1_30default_config_static_selectorELNS0_4arch9wavefront6targetE0EEEvSZ_: ; @_ZN7rocprim17ROCPRIM_400000_NS6detail17trampoline_kernelINS0_13select_configILj256ELj13ELNS0_17block_load_methodE3ELS4_3ELS4_3ELNS0_20block_scan_algorithmE0ELj4294967295EEENS1_25partition_config_selectorILNS1_17partition_subalgoE3EjNS0_10empty_typeEbEEZZNS1_14partition_implILS8_3ELb0ES6_jNS0_17counting_iteratorIjlEEPS9_SE_NS0_5tupleIJPjSE_EEENSF_IJSE_SE_EEES9_SG_JZNS1_25segmented_radix_sort_implINS0_14default_configELb0EPK6__halfPSL_PKlPlN2at6native12_GLOBAL__N_18offset_tEEE10hipError_tPvRmT1_PNSt15iterator_traitsISZ_E10value_typeET2_T3_PNS10_IS15_E10value_typeET4_jRbjT5_S1B_jjP12ihipStream_tbEUljE_EEESW_SX_SY_S15_S19_S1B_T6_T7_T9_mT8_S1D_bDpT10_ENKUlT_T0_E_clISt17integral_constantIbLb1EES1Q_EEDaS1L_S1M_EUlS1L_E_NS1_11comp_targetILNS1_3genE10ELNS1_11target_archE1200ELNS1_3gpuE4ELNS1_3repE0EEENS1_30default_config_static_selectorELNS0_4arch9wavefront6targetE0EEEvSZ_
; %bb.0:
	s_endpgm
	.section	.rodata,"a",@progbits
	.p2align	6, 0x0
	.amdhsa_kernel _ZN7rocprim17ROCPRIM_400000_NS6detail17trampoline_kernelINS0_13select_configILj256ELj13ELNS0_17block_load_methodE3ELS4_3ELS4_3ELNS0_20block_scan_algorithmE0ELj4294967295EEENS1_25partition_config_selectorILNS1_17partition_subalgoE3EjNS0_10empty_typeEbEEZZNS1_14partition_implILS8_3ELb0ES6_jNS0_17counting_iteratorIjlEEPS9_SE_NS0_5tupleIJPjSE_EEENSF_IJSE_SE_EEES9_SG_JZNS1_25segmented_radix_sort_implINS0_14default_configELb0EPK6__halfPSL_PKlPlN2at6native12_GLOBAL__N_18offset_tEEE10hipError_tPvRmT1_PNSt15iterator_traitsISZ_E10value_typeET2_T3_PNS10_IS15_E10value_typeET4_jRbjT5_S1B_jjP12ihipStream_tbEUljE_EEESW_SX_SY_S15_S19_S1B_T6_T7_T9_mT8_S1D_bDpT10_ENKUlT_T0_E_clISt17integral_constantIbLb1EES1Q_EEDaS1L_S1M_EUlS1L_E_NS1_11comp_targetILNS1_3genE10ELNS1_11target_archE1200ELNS1_3gpuE4ELNS1_3repE0EEENS1_30default_config_static_selectorELNS0_4arch9wavefront6targetE0EEEvSZ_
		.amdhsa_group_segment_fixed_size 0
		.amdhsa_private_segment_fixed_size 0
		.amdhsa_kernarg_size 152
		.amdhsa_user_sgpr_count 2
		.amdhsa_user_sgpr_dispatch_ptr 0
		.amdhsa_user_sgpr_queue_ptr 0
		.amdhsa_user_sgpr_kernarg_segment_ptr 1
		.amdhsa_user_sgpr_dispatch_id 0
		.amdhsa_user_sgpr_private_segment_size 0
		.amdhsa_wavefront_size32 1
		.amdhsa_uses_dynamic_stack 0
		.amdhsa_enable_private_segment 0
		.amdhsa_system_sgpr_workgroup_id_x 1
		.amdhsa_system_sgpr_workgroup_id_y 0
		.amdhsa_system_sgpr_workgroup_id_z 0
		.amdhsa_system_sgpr_workgroup_info 0
		.amdhsa_system_vgpr_workitem_id 0
		.amdhsa_next_free_vgpr 1
		.amdhsa_next_free_sgpr 1
		.amdhsa_reserve_vcc 0
		.amdhsa_float_round_mode_32 0
		.amdhsa_float_round_mode_16_64 0
		.amdhsa_float_denorm_mode_32 3
		.amdhsa_float_denorm_mode_16_64 3
		.amdhsa_fp16_overflow 0
		.amdhsa_workgroup_processor_mode 1
		.amdhsa_memory_ordered 1
		.amdhsa_forward_progress 1
		.amdhsa_inst_pref_size 1
		.amdhsa_round_robin_scheduling 0
		.amdhsa_exception_fp_ieee_invalid_op 0
		.amdhsa_exception_fp_denorm_src 0
		.amdhsa_exception_fp_ieee_div_zero 0
		.amdhsa_exception_fp_ieee_overflow 0
		.amdhsa_exception_fp_ieee_underflow 0
		.amdhsa_exception_fp_ieee_inexact 0
		.amdhsa_exception_int_div_zero 0
	.end_amdhsa_kernel
	.section	.text._ZN7rocprim17ROCPRIM_400000_NS6detail17trampoline_kernelINS0_13select_configILj256ELj13ELNS0_17block_load_methodE3ELS4_3ELS4_3ELNS0_20block_scan_algorithmE0ELj4294967295EEENS1_25partition_config_selectorILNS1_17partition_subalgoE3EjNS0_10empty_typeEbEEZZNS1_14partition_implILS8_3ELb0ES6_jNS0_17counting_iteratorIjlEEPS9_SE_NS0_5tupleIJPjSE_EEENSF_IJSE_SE_EEES9_SG_JZNS1_25segmented_radix_sort_implINS0_14default_configELb0EPK6__halfPSL_PKlPlN2at6native12_GLOBAL__N_18offset_tEEE10hipError_tPvRmT1_PNSt15iterator_traitsISZ_E10value_typeET2_T3_PNS10_IS15_E10value_typeET4_jRbjT5_S1B_jjP12ihipStream_tbEUljE_EEESW_SX_SY_S15_S19_S1B_T6_T7_T9_mT8_S1D_bDpT10_ENKUlT_T0_E_clISt17integral_constantIbLb1EES1Q_EEDaS1L_S1M_EUlS1L_E_NS1_11comp_targetILNS1_3genE10ELNS1_11target_archE1200ELNS1_3gpuE4ELNS1_3repE0EEENS1_30default_config_static_selectorELNS0_4arch9wavefront6targetE0EEEvSZ_,"axG",@progbits,_ZN7rocprim17ROCPRIM_400000_NS6detail17trampoline_kernelINS0_13select_configILj256ELj13ELNS0_17block_load_methodE3ELS4_3ELS4_3ELNS0_20block_scan_algorithmE0ELj4294967295EEENS1_25partition_config_selectorILNS1_17partition_subalgoE3EjNS0_10empty_typeEbEEZZNS1_14partition_implILS8_3ELb0ES6_jNS0_17counting_iteratorIjlEEPS9_SE_NS0_5tupleIJPjSE_EEENSF_IJSE_SE_EEES9_SG_JZNS1_25segmented_radix_sort_implINS0_14default_configELb0EPK6__halfPSL_PKlPlN2at6native12_GLOBAL__N_18offset_tEEE10hipError_tPvRmT1_PNSt15iterator_traitsISZ_E10value_typeET2_T3_PNS10_IS15_E10value_typeET4_jRbjT5_S1B_jjP12ihipStream_tbEUljE_EEESW_SX_SY_S15_S19_S1B_T6_T7_T9_mT8_S1D_bDpT10_ENKUlT_T0_E_clISt17integral_constantIbLb1EES1Q_EEDaS1L_S1M_EUlS1L_E_NS1_11comp_targetILNS1_3genE10ELNS1_11target_archE1200ELNS1_3gpuE4ELNS1_3repE0EEENS1_30default_config_static_selectorELNS0_4arch9wavefront6targetE0EEEvSZ_,comdat
.Lfunc_end1823:
	.size	_ZN7rocprim17ROCPRIM_400000_NS6detail17trampoline_kernelINS0_13select_configILj256ELj13ELNS0_17block_load_methodE3ELS4_3ELS4_3ELNS0_20block_scan_algorithmE0ELj4294967295EEENS1_25partition_config_selectorILNS1_17partition_subalgoE3EjNS0_10empty_typeEbEEZZNS1_14partition_implILS8_3ELb0ES6_jNS0_17counting_iteratorIjlEEPS9_SE_NS0_5tupleIJPjSE_EEENSF_IJSE_SE_EEES9_SG_JZNS1_25segmented_radix_sort_implINS0_14default_configELb0EPK6__halfPSL_PKlPlN2at6native12_GLOBAL__N_18offset_tEEE10hipError_tPvRmT1_PNSt15iterator_traitsISZ_E10value_typeET2_T3_PNS10_IS15_E10value_typeET4_jRbjT5_S1B_jjP12ihipStream_tbEUljE_EEESW_SX_SY_S15_S19_S1B_T6_T7_T9_mT8_S1D_bDpT10_ENKUlT_T0_E_clISt17integral_constantIbLb1EES1Q_EEDaS1L_S1M_EUlS1L_E_NS1_11comp_targetILNS1_3genE10ELNS1_11target_archE1200ELNS1_3gpuE4ELNS1_3repE0EEENS1_30default_config_static_selectorELNS0_4arch9wavefront6targetE0EEEvSZ_, .Lfunc_end1823-_ZN7rocprim17ROCPRIM_400000_NS6detail17trampoline_kernelINS0_13select_configILj256ELj13ELNS0_17block_load_methodE3ELS4_3ELS4_3ELNS0_20block_scan_algorithmE0ELj4294967295EEENS1_25partition_config_selectorILNS1_17partition_subalgoE3EjNS0_10empty_typeEbEEZZNS1_14partition_implILS8_3ELb0ES6_jNS0_17counting_iteratorIjlEEPS9_SE_NS0_5tupleIJPjSE_EEENSF_IJSE_SE_EEES9_SG_JZNS1_25segmented_radix_sort_implINS0_14default_configELb0EPK6__halfPSL_PKlPlN2at6native12_GLOBAL__N_18offset_tEEE10hipError_tPvRmT1_PNSt15iterator_traitsISZ_E10value_typeET2_T3_PNS10_IS15_E10value_typeET4_jRbjT5_S1B_jjP12ihipStream_tbEUljE_EEESW_SX_SY_S15_S19_S1B_T6_T7_T9_mT8_S1D_bDpT10_ENKUlT_T0_E_clISt17integral_constantIbLb1EES1Q_EEDaS1L_S1M_EUlS1L_E_NS1_11comp_targetILNS1_3genE10ELNS1_11target_archE1200ELNS1_3gpuE4ELNS1_3repE0EEENS1_30default_config_static_selectorELNS0_4arch9wavefront6targetE0EEEvSZ_
                                        ; -- End function
	.set _ZN7rocprim17ROCPRIM_400000_NS6detail17trampoline_kernelINS0_13select_configILj256ELj13ELNS0_17block_load_methodE3ELS4_3ELS4_3ELNS0_20block_scan_algorithmE0ELj4294967295EEENS1_25partition_config_selectorILNS1_17partition_subalgoE3EjNS0_10empty_typeEbEEZZNS1_14partition_implILS8_3ELb0ES6_jNS0_17counting_iteratorIjlEEPS9_SE_NS0_5tupleIJPjSE_EEENSF_IJSE_SE_EEES9_SG_JZNS1_25segmented_radix_sort_implINS0_14default_configELb0EPK6__halfPSL_PKlPlN2at6native12_GLOBAL__N_18offset_tEEE10hipError_tPvRmT1_PNSt15iterator_traitsISZ_E10value_typeET2_T3_PNS10_IS15_E10value_typeET4_jRbjT5_S1B_jjP12ihipStream_tbEUljE_EEESW_SX_SY_S15_S19_S1B_T6_T7_T9_mT8_S1D_bDpT10_ENKUlT_T0_E_clISt17integral_constantIbLb1EES1Q_EEDaS1L_S1M_EUlS1L_E_NS1_11comp_targetILNS1_3genE10ELNS1_11target_archE1200ELNS1_3gpuE4ELNS1_3repE0EEENS1_30default_config_static_selectorELNS0_4arch9wavefront6targetE0EEEvSZ_.num_vgpr, 0
	.set _ZN7rocprim17ROCPRIM_400000_NS6detail17trampoline_kernelINS0_13select_configILj256ELj13ELNS0_17block_load_methodE3ELS4_3ELS4_3ELNS0_20block_scan_algorithmE0ELj4294967295EEENS1_25partition_config_selectorILNS1_17partition_subalgoE3EjNS0_10empty_typeEbEEZZNS1_14partition_implILS8_3ELb0ES6_jNS0_17counting_iteratorIjlEEPS9_SE_NS0_5tupleIJPjSE_EEENSF_IJSE_SE_EEES9_SG_JZNS1_25segmented_radix_sort_implINS0_14default_configELb0EPK6__halfPSL_PKlPlN2at6native12_GLOBAL__N_18offset_tEEE10hipError_tPvRmT1_PNSt15iterator_traitsISZ_E10value_typeET2_T3_PNS10_IS15_E10value_typeET4_jRbjT5_S1B_jjP12ihipStream_tbEUljE_EEESW_SX_SY_S15_S19_S1B_T6_T7_T9_mT8_S1D_bDpT10_ENKUlT_T0_E_clISt17integral_constantIbLb1EES1Q_EEDaS1L_S1M_EUlS1L_E_NS1_11comp_targetILNS1_3genE10ELNS1_11target_archE1200ELNS1_3gpuE4ELNS1_3repE0EEENS1_30default_config_static_selectorELNS0_4arch9wavefront6targetE0EEEvSZ_.num_agpr, 0
	.set _ZN7rocprim17ROCPRIM_400000_NS6detail17trampoline_kernelINS0_13select_configILj256ELj13ELNS0_17block_load_methodE3ELS4_3ELS4_3ELNS0_20block_scan_algorithmE0ELj4294967295EEENS1_25partition_config_selectorILNS1_17partition_subalgoE3EjNS0_10empty_typeEbEEZZNS1_14partition_implILS8_3ELb0ES6_jNS0_17counting_iteratorIjlEEPS9_SE_NS0_5tupleIJPjSE_EEENSF_IJSE_SE_EEES9_SG_JZNS1_25segmented_radix_sort_implINS0_14default_configELb0EPK6__halfPSL_PKlPlN2at6native12_GLOBAL__N_18offset_tEEE10hipError_tPvRmT1_PNSt15iterator_traitsISZ_E10value_typeET2_T3_PNS10_IS15_E10value_typeET4_jRbjT5_S1B_jjP12ihipStream_tbEUljE_EEESW_SX_SY_S15_S19_S1B_T6_T7_T9_mT8_S1D_bDpT10_ENKUlT_T0_E_clISt17integral_constantIbLb1EES1Q_EEDaS1L_S1M_EUlS1L_E_NS1_11comp_targetILNS1_3genE10ELNS1_11target_archE1200ELNS1_3gpuE4ELNS1_3repE0EEENS1_30default_config_static_selectorELNS0_4arch9wavefront6targetE0EEEvSZ_.numbered_sgpr, 0
	.set _ZN7rocprim17ROCPRIM_400000_NS6detail17trampoline_kernelINS0_13select_configILj256ELj13ELNS0_17block_load_methodE3ELS4_3ELS4_3ELNS0_20block_scan_algorithmE0ELj4294967295EEENS1_25partition_config_selectorILNS1_17partition_subalgoE3EjNS0_10empty_typeEbEEZZNS1_14partition_implILS8_3ELb0ES6_jNS0_17counting_iteratorIjlEEPS9_SE_NS0_5tupleIJPjSE_EEENSF_IJSE_SE_EEES9_SG_JZNS1_25segmented_radix_sort_implINS0_14default_configELb0EPK6__halfPSL_PKlPlN2at6native12_GLOBAL__N_18offset_tEEE10hipError_tPvRmT1_PNSt15iterator_traitsISZ_E10value_typeET2_T3_PNS10_IS15_E10value_typeET4_jRbjT5_S1B_jjP12ihipStream_tbEUljE_EEESW_SX_SY_S15_S19_S1B_T6_T7_T9_mT8_S1D_bDpT10_ENKUlT_T0_E_clISt17integral_constantIbLb1EES1Q_EEDaS1L_S1M_EUlS1L_E_NS1_11comp_targetILNS1_3genE10ELNS1_11target_archE1200ELNS1_3gpuE4ELNS1_3repE0EEENS1_30default_config_static_selectorELNS0_4arch9wavefront6targetE0EEEvSZ_.num_named_barrier, 0
	.set _ZN7rocprim17ROCPRIM_400000_NS6detail17trampoline_kernelINS0_13select_configILj256ELj13ELNS0_17block_load_methodE3ELS4_3ELS4_3ELNS0_20block_scan_algorithmE0ELj4294967295EEENS1_25partition_config_selectorILNS1_17partition_subalgoE3EjNS0_10empty_typeEbEEZZNS1_14partition_implILS8_3ELb0ES6_jNS0_17counting_iteratorIjlEEPS9_SE_NS0_5tupleIJPjSE_EEENSF_IJSE_SE_EEES9_SG_JZNS1_25segmented_radix_sort_implINS0_14default_configELb0EPK6__halfPSL_PKlPlN2at6native12_GLOBAL__N_18offset_tEEE10hipError_tPvRmT1_PNSt15iterator_traitsISZ_E10value_typeET2_T3_PNS10_IS15_E10value_typeET4_jRbjT5_S1B_jjP12ihipStream_tbEUljE_EEESW_SX_SY_S15_S19_S1B_T6_T7_T9_mT8_S1D_bDpT10_ENKUlT_T0_E_clISt17integral_constantIbLb1EES1Q_EEDaS1L_S1M_EUlS1L_E_NS1_11comp_targetILNS1_3genE10ELNS1_11target_archE1200ELNS1_3gpuE4ELNS1_3repE0EEENS1_30default_config_static_selectorELNS0_4arch9wavefront6targetE0EEEvSZ_.private_seg_size, 0
	.set _ZN7rocprim17ROCPRIM_400000_NS6detail17trampoline_kernelINS0_13select_configILj256ELj13ELNS0_17block_load_methodE3ELS4_3ELS4_3ELNS0_20block_scan_algorithmE0ELj4294967295EEENS1_25partition_config_selectorILNS1_17partition_subalgoE3EjNS0_10empty_typeEbEEZZNS1_14partition_implILS8_3ELb0ES6_jNS0_17counting_iteratorIjlEEPS9_SE_NS0_5tupleIJPjSE_EEENSF_IJSE_SE_EEES9_SG_JZNS1_25segmented_radix_sort_implINS0_14default_configELb0EPK6__halfPSL_PKlPlN2at6native12_GLOBAL__N_18offset_tEEE10hipError_tPvRmT1_PNSt15iterator_traitsISZ_E10value_typeET2_T3_PNS10_IS15_E10value_typeET4_jRbjT5_S1B_jjP12ihipStream_tbEUljE_EEESW_SX_SY_S15_S19_S1B_T6_T7_T9_mT8_S1D_bDpT10_ENKUlT_T0_E_clISt17integral_constantIbLb1EES1Q_EEDaS1L_S1M_EUlS1L_E_NS1_11comp_targetILNS1_3genE10ELNS1_11target_archE1200ELNS1_3gpuE4ELNS1_3repE0EEENS1_30default_config_static_selectorELNS0_4arch9wavefront6targetE0EEEvSZ_.uses_vcc, 0
	.set _ZN7rocprim17ROCPRIM_400000_NS6detail17trampoline_kernelINS0_13select_configILj256ELj13ELNS0_17block_load_methodE3ELS4_3ELS4_3ELNS0_20block_scan_algorithmE0ELj4294967295EEENS1_25partition_config_selectorILNS1_17partition_subalgoE3EjNS0_10empty_typeEbEEZZNS1_14partition_implILS8_3ELb0ES6_jNS0_17counting_iteratorIjlEEPS9_SE_NS0_5tupleIJPjSE_EEENSF_IJSE_SE_EEES9_SG_JZNS1_25segmented_radix_sort_implINS0_14default_configELb0EPK6__halfPSL_PKlPlN2at6native12_GLOBAL__N_18offset_tEEE10hipError_tPvRmT1_PNSt15iterator_traitsISZ_E10value_typeET2_T3_PNS10_IS15_E10value_typeET4_jRbjT5_S1B_jjP12ihipStream_tbEUljE_EEESW_SX_SY_S15_S19_S1B_T6_T7_T9_mT8_S1D_bDpT10_ENKUlT_T0_E_clISt17integral_constantIbLb1EES1Q_EEDaS1L_S1M_EUlS1L_E_NS1_11comp_targetILNS1_3genE10ELNS1_11target_archE1200ELNS1_3gpuE4ELNS1_3repE0EEENS1_30default_config_static_selectorELNS0_4arch9wavefront6targetE0EEEvSZ_.uses_flat_scratch, 0
	.set _ZN7rocprim17ROCPRIM_400000_NS6detail17trampoline_kernelINS0_13select_configILj256ELj13ELNS0_17block_load_methodE3ELS4_3ELS4_3ELNS0_20block_scan_algorithmE0ELj4294967295EEENS1_25partition_config_selectorILNS1_17partition_subalgoE3EjNS0_10empty_typeEbEEZZNS1_14partition_implILS8_3ELb0ES6_jNS0_17counting_iteratorIjlEEPS9_SE_NS0_5tupleIJPjSE_EEENSF_IJSE_SE_EEES9_SG_JZNS1_25segmented_radix_sort_implINS0_14default_configELb0EPK6__halfPSL_PKlPlN2at6native12_GLOBAL__N_18offset_tEEE10hipError_tPvRmT1_PNSt15iterator_traitsISZ_E10value_typeET2_T3_PNS10_IS15_E10value_typeET4_jRbjT5_S1B_jjP12ihipStream_tbEUljE_EEESW_SX_SY_S15_S19_S1B_T6_T7_T9_mT8_S1D_bDpT10_ENKUlT_T0_E_clISt17integral_constantIbLb1EES1Q_EEDaS1L_S1M_EUlS1L_E_NS1_11comp_targetILNS1_3genE10ELNS1_11target_archE1200ELNS1_3gpuE4ELNS1_3repE0EEENS1_30default_config_static_selectorELNS0_4arch9wavefront6targetE0EEEvSZ_.has_dyn_sized_stack, 0
	.set _ZN7rocprim17ROCPRIM_400000_NS6detail17trampoline_kernelINS0_13select_configILj256ELj13ELNS0_17block_load_methodE3ELS4_3ELS4_3ELNS0_20block_scan_algorithmE0ELj4294967295EEENS1_25partition_config_selectorILNS1_17partition_subalgoE3EjNS0_10empty_typeEbEEZZNS1_14partition_implILS8_3ELb0ES6_jNS0_17counting_iteratorIjlEEPS9_SE_NS0_5tupleIJPjSE_EEENSF_IJSE_SE_EEES9_SG_JZNS1_25segmented_radix_sort_implINS0_14default_configELb0EPK6__halfPSL_PKlPlN2at6native12_GLOBAL__N_18offset_tEEE10hipError_tPvRmT1_PNSt15iterator_traitsISZ_E10value_typeET2_T3_PNS10_IS15_E10value_typeET4_jRbjT5_S1B_jjP12ihipStream_tbEUljE_EEESW_SX_SY_S15_S19_S1B_T6_T7_T9_mT8_S1D_bDpT10_ENKUlT_T0_E_clISt17integral_constantIbLb1EES1Q_EEDaS1L_S1M_EUlS1L_E_NS1_11comp_targetILNS1_3genE10ELNS1_11target_archE1200ELNS1_3gpuE4ELNS1_3repE0EEENS1_30default_config_static_selectorELNS0_4arch9wavefront6targetE0EEEvSZ_.has_recursion, 0
	.set _ZN7rocprim17ROCPRIM_400000_NS6detail17trampoline_kernelINS0_13select_configILj256ELj13ELNS0_17block_load_methodE3ELS4_3ELS4_3ELNS0_20block_scan_algorithmE0ELj4294967295EEENS1_25partition_config_selectorILNS1_17partition_subalgoE3EjNS0_10empty_typeEbEEZZNS1_14partition_implILS8_3ELb0ES6_jNS0_17counting_iteratorIjlEEPS9_SE_NS0_5tupleIJPjSE_EEENSF_IJSE_SE_EEES9_SG_JZNS1_25segmented_radix_sort_implINS0_14default_configELb0EPK6__halfPSL_PKlPlN2at6native12_GLOBAL__N_18offset_tEEE10hipError_tPvRmT1_PNSt15iterator_traitsISZ_E10value_typeET2_T3_PNS10_IS15_E10value_typeET4_jRbjT5_S1B_jjP12ihipStream_tbEUljE_EEESW_SX_SY_S15_S19_S1B_T6_T7_T9_mT8_S1D_bDpT10_ENKUlT_T0_E_clISt17integral_constantIbLb1EES1Q_EEDaS1L_S1M_EUlS1L_E_NS1_11comp_targetILNS1_3genE10ELNS1_11target_archE1200ELNS1_3gpuE4ELNS1_3repE0EEENS1_30default_config_static_selectorELNS0_4arch9wavefront6targetE0EEEvSZ_.has_indirect_call, 0
	.section	.AMDGPU.csdata,"",@progbits
; Kernel info:
; codeLenInByte = 4
; TotalNumSgprs: 0
; NumVgprs: 0
; ScratchSize: 0
; MemoryBound: 0
; FloatMode: 240
; IeeeMode: 1
; LDSByteSize: 0 bytes/workgroup (compile time only)
; SGPRBlocks: 0
; VGPRBlocks: 0
; NumSGPRsForWavesPerEU: 1
; NumVGPRsForWavesPerEU: 1
; Occupancy: 16
; WaveLimiterHint : 0
; COMPUTE_PGM_RSRC2:SCRATCH_EN: 0
; COMPUTE_PGM_RSRC2:USER_SGPR: 2
; COMPUTE_PGM_RSRC2:TRAP_HANDLER: 0
; COMPUTE_PGM_RSRC2:TGID_X_EN: 1
; COMPUTE_PGM_RSRC2:TGID_Y_EN: 0
; COMPUTE_PGM_RSRC2:TGID_Z_EN: 0
; COMPUTE_PGM_RSRC2:TIDIG_COMP_CNT: 0
	.section	.text._ZN7rocprim17ROCPRIM_400000_NS6detail17trampoline_kernelINS0_13select_configILj256ELj13ELNS0_17block_load_methodE3ELS4_3ELS4_3ELNS0_20block_scan_algorithmE0ELj4294967295EEENS1_25partition_config_selectorILNS1_17partition_subalgoE3EjNS0_10empty_typeEbEEZZNS1_14partition_implILS8_3ELb0ES6_jNS0_17counting_iteratorIjlEEPS9_SE_NS0_5tupleIJPjSE_EEENSF_IJSE_SE_EEES9_SG_JZNS1_25segmented_radix_sort_implINS0_14default_configELb0EPK6__halfPSL_PKlPlN2at6native12_GLOBAL__N_18offset_tEEE10hipError_tPvRmT1_PNSt15iterator_traitsISZ_E10value_typeET2_T3_PNS10_IS15_E10value_typeET4_jRbjT5_S1B_jjP12ihipStream_tbEUljE_EEESW_SX_SY_S15_S19_S1B_T6_T7_T9_mT8_S1D_bDpT10_ENKUlT_T0_E_clISt17integral_constantIbLb1EES1Q_EEDaS1L_S1M_EUlS1L_E_NS1_11comp_targetILNS1_3genE9ELNS1_11target_archE1100ELNS1_3gpuE3ELNS1_3repE0EEENS1_30default_config_static_selectorELNS0_4arch9wavefront6targetE0EEEvSZ_,"axG",@progbits,_ZN7rocprim17ROCPRIM_400000_NS6detail17trampoline_kernelINS0_13select_configILj256ELj13ELNS0_17block_load_methodE3ELS4_3ELS4_3ELNS0_20block_scan_algorithmE0ELj4294967295EEENS1_25partition_config_selectorILNS1_17partition_subalgoE3EjNS0_10empty_typeEbEEZZNS1_14partition_implILS8_3ELb0ES6_jNS0_17counting_iteratorIjlEEPS9_SE_NS0_5tupleIJPjSE_EEENSF_IJSE_SE_EEES9_SG_JZNS1_25segmented_radix_sort_implINS0_14default_configELb0EPK6__halfPSL_PKlPlN2at6native12_GLOBAL__N_18offset_tEEE10hipError_tPvRmT1_PNSt15iterator_traitsISZ_E10value_typeET2_T3_PNS10_IS15_E10value_typeET4_jRbjT5_S1B_jjP12ihipStream_tbEUljE_EEESW_SX_SY_S15_S19_S1B_T6_T7_T9_mT8_S1D_bDpT10_ENKUlT_T0_E_clISt17integral_constantIbLb1EES1Q_EEDaS1L_S1M_EUlS1L_E_NS1_11comp_targetILNS1_3genE9ELNS1_11target_archE1100ELNS1_3gpuE3ELNS1_3repE0EEENS1_30default_config_static_selectorELNS0_4arch9wavefront6targetE0EEEvSZ_,comdat
	.globl	_ZN7rocprim17ROCPRIM_400000_NS6detail17trampoline_kernelINS0_13select_configILj256ELj13ELNS0_17block_load_methodE3ELS4_3ELS4_3ELNS0_20block_scan_algorithmE0ELj4294967295EEENS1_25partition_config_selectorILNS1_17partition_subalgoE3EjNS0_10empty_typeEbEEZZNS1_14partition_implILS8_3ELb0ES6_jNS0_17counting_iteratorIjlEEPS9_SE_NS0_5tupleIJPjSE_EEENSF_IJSE_SE_EEES9_SG_JZNS1_25segmented_radix_sort_implINS0_14default_configELb0EPK6__halfPSL_PKlPlN2at6native12_GLOBAL__N_18offset_tEEE10hipError_tPvRmT1_PNSt15iterator_traitsISZ_E10value_typeET2_T3_PNS10_IS15_E10value_typeET4_jRbjT5_S1B_jjP12ihipStream_tbEUljE_EEESW_SX_SY_S15_S19_S1B_T6_T7_T9_mT8_S1D_bDpT10_ENKUlT_T0_E_clISt17integral_constantIbLb1EES1Q_EEDaS1L_S1M_EUlS1L_E_NS1_11comp_targetILNS1_3genE9ELNS1_11target_archE1100ELNS1_3gpuE3ELNS1_3repE0EEENS1_30default_config_static_selectorELNS0_4arch9wavefront6targetE0EEEvSZ_ ; -- Begin function _ZN7rocprim17ROCPRIM_400000_NS6detail17trampoline_kernelINS0_13select_configILj256ELj13ELNS0_17block_load_methodE3ELS4_3ELS4_3ELNS0_20block_scan_algorithmE0ELj4294967295EEENS1_25partition_config_selectorILNS1_17partition_subalgoE3EjNS0_10empty_typeEbEEZZNS1_14partition_implILS8_3ELb0ES6_jNS0_17counting_iteratorIjlEEPS9_SE_NS0_5tupleIJPjSE_EEENSF_IJSE_SE_EEES9_SG_JZNS1_25segmented_radix_sort_implINS0_14default_configELb0EPK6__halfPSL_PKlPlN2at6native12_GLOBAL__N_18offset_tEEE10hipError_tPvRmT1_PNSt15iterator_traitsISZ_E10value_typeET2_T3_PNS10_IS15_E10value_typeET4_jRbjT5_S1B_jjP12ihipStream_tbEUljE_EEESW_SX_SY_S15_S19_S1B_T6_T7_T9_mT8_S1D_bDpT10_ENKUlT_T0_E_clISt17integral_constantIbLb1EES1Q_EEDaS1L_S1M_EUlS1L_E_NS1_11comp_targetILNS1_3genE9ELNS1_11target_archE1100ELNS1_3gpuE3ELNS1_3repE0EEENS1_30default_config_static_selectorELNS0_4arch9wavefront6targetE0EEEvSZ_
	.p2align	8
	.type	_ZN7rocprim17ROCPRIM_400000_NS6detail17trampoline_kernelINS0_13select_configILj256ELj13ELNS0_17block_load_methodE3ELS4_3ELS4_3ELNS0_20block_scan_algorithmE0ELj4294967295EEENS1_25partition_config_selectorILNS1_17partition_subalgoE3EjNS0_10empty_typeEbEEZZNS1_14partition_implILS8_3ELb0ES6_jNS0_17counting_iteratorIjlEEPS9_SE_NS0_5tupleIJPjSE_EEENSF_IJSE_SE_EEES9_SG_JZNS1_25segmented_radix_sort_implINS0_14default_configELb0EPK6__halfPSL_PKlPlN2at6native12_GLOBAL__N_18offset_tEEE10hipError_tPvRmT1_PNSt15iterator_traitsISZ_E10value_typeET2_T3_PNS10_IS15_E10value_typeET4_jRbjT5_S1B_jjP12ihipStream_tbEUljE_EEESW_SX_SY_S15_S19_S1B_T6_T7_T9_mT8_S1D_bDpT10_ENKUlT_T0_E_clISt17integral_constantIbLb1EES1Q_EEDaS1L_S1M_EUlS1L_E_NS1_11comp_targetILNS1_3genE9ELNS1_11target_archE1100ELNS1_3gpuE3ELNS1_3repE0EEENS1_30default_config_static_selectorELNS0_4arch9wavefront6targetE0EEEvSZ_,@function
_ZN7rocprim17ROCPRIM_400000_NS6detail17trampoline_kernelINS0_13select_configILj256ELj13ELNS0_17block_load_methodE3ELS4_3ELS4_3ELNS0_20block_scan_algorithmE0ELj4294967295EEENS1_25partition_config_selectorILNS1_17partition_subalgoE3EjNS0_10empty_typeEbEEZZNS1_14partition_implILS8_3ELb0ES6_jNS0_17counting_iteratorIjlEEPS9_SE_NS0_5tupleIJPjSE_EEENSF_IJSE_SE_EEES9_SG_JZNS1_25segmented_radix_sort_implINS0_14default_configELb0EPK6__halfPSL_PKlPlN2at6native12_GLOBAL__N_18offset_tEEE10hipError_tPvRmT1_PNSt15iterator_traitsISZ_E10value_typeET2_T3_PNS10_IS15_E10value_typeET4_jRbjT5_S1B_jjP12ihipStream_tbEUljE_EEESW_SX_SY_S15_S19_S1B_T6_T7_T9_mT8_S1D_bDpT10_ENKUlT_T0_E_clISt17integral_constantIbLb1EES1Q_EEDaS1L_S1M_EUlS1L_E_NS1_11comp_targetILNS1_3genE9ELNS1_11target_archE1100ELNS1_3gpuE3ELNS1_3repE0EEENS1_30default_config_static_selectorELNS0_4arch9wavefront6targetE0EEEvSZ_: ; @_ZN7rocprim17ROCPRIM_400000_NS6detail17trampoline_kernelINS0_13select_configILj256ELj13ELNS0_17block_load_methodE3ELS4_3ELS4_3ELNS0_20block_scan_algorithmE0ELj4294967295EEENS1_25partition_config_selectorILNS1_17partition_subalgoE3EjNS0_10empty_typeEbEEZZNS1_14partition_implILS8_3ELb0ES6_jNS0_17counting_iteratorIjlEEPS9_SE_NS0_5tupleIJPjSE_EEENSF_IJSE_SE_EEES9_SG_JZNS1_25segmented_radix_sort_implINS0_14default_configELb0EPK6__halfPSL_PKlPlN2at6native12_GLOBAL__N_18offset_tEEE10hipError_tPvRmT1_PNSt15iterator_traitsISZ_E10value_typeET2_T3_PNS10_IS15_E10value_typeET4_jRbjT5_S1B_jjP12ihipStream_tbEUljE_EEESW_SX_SY_S15_S19_S1B_T6_T7_T9_mT8_S1D_bDpT10_ENKUlT_T0_E_clISt17integral_constantIbLb1EES1Q_EEDaS1L_S1M_EUlS1L_E_NS1_11comp_targetILNS1_3genE9ELNS1_11target_archE1100ELNS1_3gpuE3ELNS1_3repE0EEENS1_30default_config_static_selectorELNS0_4arch9wavefront6targetE0EEEvSZ_
; %bb.0:
	.section	.rodata,"a",@progbits
	.p2align	6, 0x0
	.amdhsa_kernel _ZN7rocprim17ROCPRIM_400000_NS6detail17trampoline_kernelINS0_13select_configILj256ELj13ELNS0_17block_load_methodE3ELS4_3ELS4_3ELNS0_20block_scan_algorithmE0ELj4294967295EEENS1_25partition_config_selectorILNS1_17partition_subalgoE3EjNS0_10empty_typeEbEEZZNS1_14partition_implILS8_3ELb0ES6_jNS0_17counting_iteratorIjlEEPS9_SE_NS0_5tupleIJPjSE_EEENSF_IJSE_SE_EEES9_SG_JZNS1_25segmented_radix_sort_implINS0_14default_configELb0EPK6__halfPSL_PKlPlN2at6native12_GLOBAL__N_18offset_tEEE10hipError_tPvRmT1_PNSt15iterator_traitsISZ_E10value_typeET2_T3_PNS10_IS15_E10value_typeET4_jRbjT5_S1B_jjP12ihipStream_tbEUljE_EEESW_SX_SY_S15_S19_S1B_T6_T7_T9_mT8_S1D_bDpT10_ENKUlT_T0_E_clISt17integral_constantIbLb1EES1Q_EEDaS1L_S1M_EUlS1L_E_NS1_11comp_targetILNS1_3genE9ELNS1_11target_archE1100ELNS1_3gpuE3ELNS1_3repE0EEENS1_30default_config_static_selectorELNS0_4arch9wavefront6targetE0EEEvSZ_
		.amdhsa_group_segment_fixed_size 0
		.amdhsa_private_segment_fixed_size 0
		.amdhsa_kernarg_size 152
		.amdhsa_user_sgpr_count 2
		.amdhsa_user_sgpr_dispatch_ptr 0
		.amdhsa_user_sgpr_queue_ptr 0
		.amdhsa_user_sgpr_kernarg_segment_ptr 1
		.amdhsa_user_sgpr_dispatch_id 0
		.amdhsa_user_sgpr_private_segment_size 0
		.amdhsa_wavefront_size32 1
		.amdhsa_uses_dynamic_stack 0
		.amdhsa_enable_private_segment 0
		.amdhsa_system_sgpr_workgroup_id_x 1
		.amdhsa_system_sgpr_workgroup_id_y 0
		.amdhsa_system_sgpr_workgroup_id_z 0
		.amdhsa_system_sgpr_workgroup_info 0
		.amdhsa_system_vgpr_workitem_id 0
		.amdhsa_next_free_vgpr 1
		.amdhsa_next_free_sgpr 1
		.amdhsa_reserve_vcc 0
		.amdhsa_float_round_mode_32 0
		.amdhsa_float_round_mode_16_64 0
		.amdhsa_float_denorm_mode_32 3
		.amdhsa_float_denorm_mode_16_64 3
		.amdhsa_fp16_overflow 0
		.amdhsa_workgroup_processor_mode 1
		.amdhsa_memory_ordered 1
		.amdhsa_forward_progress 1
		.amdhsa_inst_pref_size 0
		.amdhsa_round_robin_scheduling 0
		.amdhsa_exception_fp_ieee_invalid_op 0
		.amdhsa_exception_fp_denorm_src 0
		.amdhsa_exception_fp_ieee_div_zero 0
		.amdhsa_exception_fp_ieee_overflow 0
		.amdhsa_exception_fp_ieee_underflow 0
		.amdhsa_exception_fp_ieee_inexact 0
		.amdhsa_exception_int_div_zero 0
	.end_amdhsa_kernel
	.section	.text._ZN7rocprim17ROCPRIM_400000_NS6detail17trampoline_kernelINS0_13select_configILj256ELj13ELNS0_17block_load_methodE3ELS4_3ELS4_3ELNS0_20block_scan_algorithmE0ELj4294967295EEENS1_25partition_config_selectorILNS1_17partition_subalgoE3EjNS0_10empty_typeEbEEZZNS1_14partition_implILS8_3ELb0ES6_jNS0_17counting_iteratorIjlEEPS9_SE_NS0_5tupleIJPjSE_EEENSF_IJSE_SE_EEES9_SG_JZNS1_25segmented_radix_sort_implINS0_14default_configELb0EPK6__halfPSL_PKlPlN2at6native12_GLOBAL__N_18offset_tEEE10hipError_tPvRmT1_PNSt15iterator_traitsISZ_E10value_typeET2_T3_PNS10_IS15_E10value_typeET4_jRbjT5_S1B_jjP12ihipStream_tbEUljE_EEESW_SX_SY_S15_S19_S1B_T6_T7_T9_mT8_S1D_bDpT10_ENKUlT_T0_E_clISt17integral_constantIbLb1EES1Q_EEDaS1L_S1M_EUlS1L_E_NS1_11comp_targetILNS1_3genE9ELNS1_11target_archE1100ELNS1_3gpuE3ELNS1_3repE0EEENS1_30default_config_static_selectorELNS0_4arch9wavefront6targetE0EEEvSZ_,"axG",@progbits,_ZN7rocprim17ROCPRIM_400000_NS6detail17trampoline_kernelINS0_13select_configILj256ELj13ELNS0_17block_load_methodE3ELS4_3ELS4_3ELNS0_20block_scan_algorithmE0ELj4294967295EEENS1_25partition_config_selectorILNS1_17partition_subalgoE3EjNS0_10empty_typeEbEEZZNS1_14partition_implILS8_3ELb0ES6_jNS0_17counting_iteratorIjlEEPS9_SE_NS0_5tupleIJPjSE_EEENSF_IJSE_SE_EEES9_SG_JZNS1_25segmented_radix_sort_implINS0_14default_configELb0EPK6__halfPSL_PKlPlN2at6native12_GLOBAL__N_18offset_tEEE10hipError_tPvRmT1_PNSt15iterator_traitsISZ_E10value_typeET2_T3_PNS10_IS15_E10value_typeET4_jRbjT5_S1B_jjP12ihipStream_tbEUljE_EEESW_SX_SY_S15_S19_S1B_T6_T7_T9_mT8_S1D_bDpT10_ENKUlT_T0_E_clISt17integral_constantIbLb1EES1Q_EEDaS1L_S1M_EUlS1L_E_NS1_11comp_targetILNS1_3genE9ELNS1_11target_archE1100ELNS1_3gpuE3ELNS1_3repE0EEENS1_30default_config_static_selectorELNS0_4arch9wavefront6targetE0EEEvSZ_,comdat
.Lfunc_end1824:
	.size	_ZN7rocprim17ROCPRIM_400000_NS6detail17trampoline_kernelINS0_13select_configILj256ELj13ELNS0_17block_load_methodE3ELS4_3ELS4_3ELNS0_20block_scan_algorithmE0ELj4294967295EEENS1_25partition_config_selectorILNS1_17partition_subalgoE3EjNS0_10empty_typeEbEEZZNS1_14partition_implILS8_3ELb0ES6_jNS0_17counting_iteratorIjlEEPS9_SE_NS0_5tupleIJPjSE_EEENSF_IJSE_SE_EEES9_SG_JZNS1_25segmented_radix_sort_implINS0_14default_configELb0EPK6__halfPSL_PKlPlN2at6native12_GLOBAL__N_18offset_tEEE10hipError_tPvRmT1_PNSt15iterator_traitsISZ_E10value_typeET2_T3_PNS10_IS15_E10value_typeET4_jRbjT5_S1B_jjP12ihipStream_tbEUljE_EEESW_SX_SY_S15_S19_S1B_T6_T7_T9_mT8_S1D_bDpT10_ENKUlT_T0_E_clISt17integral_constantIbLb1EES1Q_EEDaS1L_S1M_EUlS1L_E_NS1_11comp_targetILNS1_3genE9ELNS1_11target_archE1100ELNS1_3gpuE3ELNS1_3repE0EEENS1_30default_config_static_selectorELNS0_4arch9wavefront6targetE0EEEvSZ_, .Lfunc_end1824-_ZN7rocprim17ROCPRIM_400000_NS6detail17trampoline_kernelINS0_13select_configILj256ELj13ELNS0_17block_load_methodE3ELS4_3ELS4_3ELNS0_20block_scan_algorithmE0ELj4294967295EEENS1_25partition_config_selectorILNS1_17partition_subalgoE3EjNS0_10empty_typeEbEEZZNS1_14partition_implILS8_3ELb0ES6_jNS0_17counting_iteratorIjlEEPS9_SE_NS0_5tupleIJPjSE_EEENSF_IJSE_SE_EEES9_SG_JZNS1_25segmented_radix_sort_implINS0_14default_configELb0EPK6__halfPSL_PKlPlN2at6native12_GLOBAL__N_18offset_tEEE10hipError_tPvRmT1_PNSt15iterator_traitsISZ_E10value_typeET2_T3_PNS10_IS15_E10value_typeET4_jRbjT5_S1B_jjP12ihipStream_tbEUljE_EEESW_SX_SY_S15_S19_S1B_T6_T7_T9_mT8_S1D_bDpT10_ENKUlT_T0_E_clISt17integral_constantIbLb1EES1Q_EEDaS1L_S1M_EUlS1L_E_NS1_11comp_targetILNS1_3genE9ELNS1_11target_archE1100ELNS1_3gpuE3ELNS1_3repE0EEENS1_30default_config_static_selectorELNS0_4arch9wavefront6targetE0EEEvSZ_
                                        ; -- End function
	.set _ZN7rocprim17ROCPRIM_400000_NS6detail17trampoline_kernelINS0_13select_configILj256ELj13ELNS0_17block_load_methodE3ELS4_3ELS4_3ELNS0_20block_scan_algorithmE0ELj4294967295EEENS1_25partition_config_selectorILNS1_17partition_subalgoE3EjNS0_10empty_typeEbEEZZNS1_14partition_implILS8_3ELb0ES6_jNS0_17counting_iteratorIjlEEPS9_SE_NS0_5tupleIJPjSE_EEENSF_IJSE_SE_EEES9_SG_JZNS1_25segmented_radix_sort_implINS0_14default_configELb0EPK6__halfPSL_PKlPlN2at6native12_GLOBAL__N_18offset_tEEE10hipError_tPvRmT1_PNSt15iterator_traitsISZ_E10value_typeET2_T3_PNS10_IS15_E10value_typeET4_jRbjT5_S1B_jjP12ihipStream_tbEUljE_EEESW_SX_SY_S15_S19_S1B_T6_T7_T9_mT8_S1D_bDpT10_ENKUlT_T0_E_clISt17integral_constantIbLb1EES1Q_EEDaS1L_S1M_EUlS1L_E_NS1_11comp_targetILNS1_3genE9ELNS1_11target_archE1100ELNS1_3gpuE3ELNS1_3repE0EEENS1_30default_config_static_selectorELNS0_4arch9wavefront6targetE0EEEvSZ_.num_vgpr, 0
	.set _ZN7rocprim17ROCPRIM_400000_NS6detail17trampoline_kernelINS0_13select_configILj256ELj13ELNS0_17block_load_methodE3ELS4_3ELS4_3ELNS0_20block_scan_algorithmE0ELj4294967295EEENS1_25partition_config_selectorILNS1_17partition_subalgoE3EjNS0_10empty_typeEbEEZZNS1_14partition_implILS8_3ELb0ES6_jNS0_17counting_iteratorIjlEEPS9_SE_NS0_5tupleIJPjSE_EEENSF_IJSE_SE_EEES9_SG_JZNS1_25segmented_radix_sort_implINS0_14default_configELb0EPK6__halfPSL_PKlPlN2at6native12_GLOBAL__N_18offset_tEEE10hipError_tPvRmT1_PNSt15iterator_traitsISZ_E10value_typeET2_T3_PNS10_IS15_E10value_typeET4_jRbjT5_S1B_jjP12ihipStream_tbEUljE_EEESW_SX_SY_S15_S19_S1B_T6_T7_T9_mT8_S1D_bDpT10_ENKUlT_T0_E_clISt17integral_constantIbLb1EES1Q_EEDaS1L_S1M_EUlS1L_E_NS1_11comp_targetILNS1_3genE9ELNS1_11target_archE1100ELNS1_3gpuE3ELNS1_3repE0EEENS1_30default_config_static_selectorELNS0_4arch9wavefront6targetE0EEEvSZ_.num_agpr, 0
	.set _ZN7rocprim17ROCPRIM_400000_NS6detail17trampoline_kernelINS0_13select_configILj256ELj13ELNS0_17block_load_methodE3ELS4_3ELS4_3ELNS0_20block_scan_algorithmE0ELj4294967295EEENS1_25partition_config_selectorILNS1_17partition_subalgoE3EjNS0_10empty_typeEbEEZZNS1_14partition_implILS8_3ELb0ES6_jNS0_17counting_iteratorIjlEEPS9_SE_NS0_5tupleIJPjSE_EEENSF_IJSE_SE_EEES9_SG_JZNS1_25segmented_radix_sort_implINS0_14default_configELb0EPK6__halfPSL_PKlPlN2at6native12_GLOBAL__N_18offset_tEEE10hipError_tPvRmT1_PNSt15iterator_traitsISZ_E10value_typeET2_T3_PNS10_IS15_E10value_typeET4_jRbjT5_S1B_jjP12ihipStream_tbEUljE_EEESW_SX_SY_S15_S19_S1B_T6_T7_T9_mT8_S1D_bDpT10_ENKUlT_T0_E_clISt17integral_constantIbLb1EES1Q_EEDaS1L_S1M_EUlS1L_E_NS1_11comp_targetILNS1_3genE9ELNS1_11target_archE1100ELNS1_3gpuE3ELNS1_3repE0EEENS1_30default_config_static_selectorELNS0_4arch9wavefront6targetE0EEEvSZ_.numbered_sgpr, 0
	.set _ZN7rocprim17ROCPRIM_400000_NS6detail17trampoline_kernelINS0_13select_configILj256ELj13ELNS0_17block_load_methodE3ELS4_3ELS4_3ELNS0_20block_scan_algorithmE0ELj4294967295EEENS1_25partition_config_selectorILNS1_17partition_subalgoE3EjNS0_10empty_typeEbEEZZNS1_14partition_implILS8_3ELb0ES6_jNS0_17counting_iteratorIjlEEPS9_SE_NS0_5tupleIJPjSE_EEENSF_IJSE_SE_EEES9_SG_JZNS1_25segmented_radix_sort_implINS0_14default_configELb0EPK6__halfPSL_PKlPlN2at6native12_GLOBAL__N_18offset_tEEE10hipError_tPvRmT1_PNSt15iterator_traitsISZ_E10value_typeET2_T3_PNS10_IS15_E10value_typeET4_jRbjT5_S1B_jjP12ihipStream_tbEUljE_EEESW_SX_SY_S15_S19_S1B_T6_T7_T9_mT8_S1D_bDpT10_ENKUlT_T0_E_clISt17integral_constantIbLb1EES1Q_EEDaS1L_S1M_EUlS1L_E_NS1_11comp_targetILNS1_3genE9ELNS1_11target_archE1100ELNS1_3gpuE3ELNS1_3repE0EEENS1_30default_config_static_selectorELNS0_4arch9wavefront6targetE0EEEvSZ_.num_named_barrier, 0
	.set _ZN7rocprim17ROCPRIM_400000_NS6detail17trampoline_kernelINS0_13select_configILj256ELj13ELNS0_17block_load_methodE3ELS4_3ELS4_3ELNS0_20block_scan_algorithmE0ELj4294967295EEENS1_25partition_config_selectorILNS1_17partition_subalgoE3EjNS0_10empty_typeEbEEZZNS1_14partition_implILS8_3ELb0ES6_jNS0_17counting_iteratorIjlEEPS9_SE_NS0_5tupleIJPjSE_EEENSF_IJSE_SE_EEES9_SG_JZNS1_25segmented_radix_sort_implINS0_14default_configELb0EPK6__halfPSL_PKlPlN2at6native12_GLOBAL__N_18offset_tEEE10hipError_tPvRmT1_PNSt15iterator_traitsISZ_E10value_typeET2_T3_PNS10_IS15_E10value_typeET4_jRbjT5_S1B_jjP12ihipStream_tbEUljE_EEESW_SX_SY_S15_S19_S1B_T6_T7_T9_mT8_S1D_bDpT10_ENKUlT_T0_E_clISt17integral_constantIbLb1EES1Q_EEDaS1L_S1M_EUlS1L_E_NS1_11comp_targetILNS1_3genE9ELNS1_11target_archE1100ELNS1_3gpuE3ELNS1_3repE0EEENS1_30default_config_static_selectorELNS0_4arch9wavefront6targetE0EEEvSZ_.private_seg_size, 0
	.set _ZN7rocprim17ROCPRIM_400000_NS6detail17trampoline_kernelINS0_13select_configILj256ELj13ELNS0_17block_load_methodE3ELS4_3ELS4_3ELNS0_20block_scan_algorithmE0ELj4294967295EEENS1_25partition_config_selectorILNS1_17partition_subalgoE3EjNS0_10empty_typeEbEEZZNS1_14partition_implILS8_3ELb0ES6_jNS0_17counting_iteratorIjlEEPS9_SE_NS0_5tupleIJPjSE_EEENSF_IJSE_SE_EEES9_SG_JZNS1_25segmented_radix_sort_implINS0_14default_configELb0EPK6__halfPSL_PKlPlN2at6native12_GLOBAL__N_18offset_tEEE10hipError_tPvRmT1_PNSt15iterator_traitsISZ_E10value_typeET2_T3_PNS10_IS15_E10value_typeET4_jRbjT5_S1B_jjP12ihipStream_tbEUljE_EEESW_SX_SY_S15_S19_S1B_T6_T7_T9_mT8_S1D_bDpT10_ENKUlT_T0_E_clISt17integral_constantIbLb1EES1Q_EEDaS1L_S1M_EUlS1L_E_NS1_11comp_targetILNS1_3genE9ELNS1_11target_archE1100ELNS1_3gpuE3ELNS1_3repE0EEENS1_30default_config_static_selectorELNS0_4arch9wavefront6targetE0EEEvSZ_.uses_vcc, 0
	.set _ZN7rocprim17ROCPRIM_400000_NS6detail17trampoline_kernelINS0_13select_configILj256ELj13ELNS0_17block_load_methodE3ELS4_3ELS4_3ELNS0_20block_scan_algorithmE0ELj4294967295EEENS1_25partition_config_selectorILNS1_17partition_subalgoE3EjNS0_10empty_typeEbEEZZNS1_14partition_implILS8_3ELb0ES6_jNS0_17counting_iteratorIjlEEPS9_SE_NS0_5tupleIJPjSE_EEENSF_IJSE_SE_EEES9_SG_JZNS1_25segmented_radix_sort_implINS0_14default_configELb0EPK6__halfPSL_PKlPlN2at6native12_GLOBAL__N_18offset_tEEE10hipError_tPvRmT1_PNSt15iterator_traitsISZ_E10value_typeET2_T3_PNS10_IS15_E10value_typeET4_jRbjT5_S1B_jjP12ihipStream_tbEUljE_EEESW_SX_SY_S15_S19_S1B_T6_T7_T9_mT8_S1D_bDpT10_ENKUlT_T0_E_clISt17integral_constantIbLb1EES1Q_EEDaS1L_S1M_EUlS1L_E_NS1_11comp_targetILNS1_3genE9ELNS1_11target_archE1100ELNS1_3gpuE3ELNS1_3repE0EEENS1_30default_config_static_selectorELNS0_4arch9wavefront6targetE0EEEvSZ_.uses_flat_scratch, 0
	.set _ZN7rocprim17ROCPRIM_400000_NS6detail17trampoline_kernelINS0_13select_configILj256ELj13ELNS0_17block_load_methodE3ELS4_3ELS4_3ELNS0_20block_scan_algorithmE0ELj4294967295EEENS1_25partition_config_selectorILNS1_17partition_subalgoE3EjNS0_10empty_typeEbEEZZNS1_14partition_implILS8_3ELb0ES6_jNS0_17counting_iteratorIjlEEPS9_SE_NS0_5tupleIJPjSE_EEENSF_IJSE_SE_EEES9_SG_JZNS1_25segmented_radix_sort_implINS0_14default_configELb0EPK6__halfPSL_PKlPlN2at6native12_GLOBAL__N_18offset_tEEE10hipError_tPvRmT1_PNSt15iterator_traitsISZ_E10value_typeET2_T3_PNS10_IS15_E10value_typeET4_jRbjT5_S1B_jjP12ihipStream_tbEUljE_EEESW_SX_SY_S15_S19_S1B_T6_T7_T9_mT8_S1D_bDpT10_ENKUlT_T0_E_clISt17integral_constantIbLb1EES1Q_EEDaS1L_S1M_EUlS1L_E_NS1_11comp_targetILNS1_3genE9ELNS1_11target_archE1100ELNS1_3gpuE3ELNS1_3repE0EEENS1_30default_config_static_selectorELNS0_4arch9wavefront6targetE0EEEvSZ_.has_dyn_sized_stack, 0
	.set _ZN7rocprim17ROCPRIM_400000_NS6detail17trampoline_kernelINS0_13select_configILj256ELj13ELNS0_17block_load_methodE3ELS4_3ELS4_3ELNS0_20block_scan_algorithmE0ELj4294967295EEENS1_25partition_config_selectorILNS1_17partition_subalgoE3EjNS0_10empty_typeEbEEZZNS1_14partition_implILS8_3ELb0ES6_jNS0_17counting_iteratorIjlEEPS9_SE_NS0_5tupleIJPjSE_EEENSF_IJSE_SE_EEES9_SG_JZNS1_25segmented_radix_sort_implINS0_14default_configELb0EPK6__halfPSL_PKlPlN2at6native12_GLOBAL__N_18offset_tEEE10hipError_tPvRmT1_PNSt15iterator_traitsISZ_E10value_typeET2_T3_PNS10_IS15_E10value_typeET4_jRbjT5_S1B_jjP12ihipStream_tbEUljE_EEESW_SX_SY_S15_S19_S1B_T6_T7_T9_mT8_S1D_bDpT10_ENKUlT_T0_E_clISt17integral_constantIbLb1EES1Q_EEDaS1L_S1M_EUlS1L_E_NS1_11comp_targetILNS1_3genE9ELNS1_11target_archE1100ELNS1_3gpuE3ELNS1_3repE0EEENS1_30default_config_static_selectorELNS0_4arch9wavefront6targetE0EEEvSZ_.has_recursion, 0
	.set _ZN7rocprim17ROCPRIM_400000_NS6detail17trampoline_kernelINS0_13select_configILj256ELj13ELNS0_17block_load_methodE3ELS4_3ELS4_3ELNS0_20block_scan_algorithmE0ELj4294967295EEENS1_25partition_config_selectorILNS1_17partition_subalgoE3EjNS0_10empty_typeEbEEZZNS1_14partition_implILS8_3ELb0ES6_jNS0_17counting_iteratorIjlEEPS9_SE_NS0_5tupleIJPjSE_EEENSF_IJSE_SE_EEES9_SG_JZNS1_25segmented_radix_sort_implINS0_14default_configELb0EPK6__halfPSL_PKlPlN2at6native12_GLOBAL__N_18offset_tEEE10hipError_tPvRmT1_PNSt15iterator_traitsISZ_E10value_typeET2_T3_PNS10_IS15_E10value_typeET4_jRbjT5_S1B_jjP12ihipStream_tbEUljE_EEESW_SX_SY_S15_S19_S1B_T6_T7_T9_mT8_S1D_bDpT10_ENKUlT_T0_E_clISt17integral_constantIbLb1EES1Q_EEDaS1L_S1M_EUlS1L_E_NS1_11comp_targetILNS1_3genE9ELNS1_11target_archE1100ELNS1_3gpuE3ELNS1_3repE0EEENS1_30default_config_static_selectorELNS0_4arch9wavefront6targetE0EEEvSZ_.has_indirect_call, 0
	.section	.AMDGPU.csdata,"",@progbits
; Kernel info:
; codeLenInByte = 0
; TotalNumSgprs: 0
; NumVgprs: 0
; ScratchSize: 0
; MemoryBound: 0
; FloatMode: 240
; IeeeMode: 1
; LDSByteSize: 0 bytes/workgroup (compile time only)
; SGPRBlocks: 0
; VGPRBlocks: 0
; NumSGPRsForWavesPerEU: 1
; NumVGPRsForWavesPerEU: 1
; Occupancy: 16
; WaveLimiterHint : 0
; COMPUTE_PGM_RSRC2:SCRATCH_EN: 0
; COMPUTE_PGM_RSRC2:USER_SGPR: 2
; COMPUTE_PGM_RSRC2:TRAP_HANDLER: 0
; COMPUTE_PGM_RSRC2:TGID_X_EN: 1
; COMPUTE_PGM_RSRC2:TGID_Y_EN: 0
; COMPUTE_PGM_RSRC2:TGID_Z_EN: 0
; COMPUTE_PGM_RSRC2:TIDIG_COMP_CNT: 0
	.section	.text._ZN7rocprim17ROCPRIM_400000_NS6detail17trampoline_kernelINS0_13select_configILj256ELj13ELNS0_17block_load_methodE3ELS4_3ELS4_3ELNS0_20block_scan_algorithmE0ELj4294967295EEENS1_25partition_config_selectorILNS1_17partition_subalgoE3EjNS0_10empty_typeEbEEZZNS1_14partition_implILS8_3ELb0ES6_jNS0_17counting_iteratorIjlEEPS9_SE_NS0_5tupleIJPjSE_EEENSF_IJSE_SE_EEES9_SG_JZNS1_25segmented_radix_sort_implINS0_14default_configELb0EPK6__halfPSL_PKlPlN2at6native12_GLOBAL__N_18offset_tEEE10hipError_tPvRmT1_PNSt15iterator_traitsISZ_E10value_typeET2_T3_PNS10_IS15_E10value_typeET4_jRbjT5_S1B_jjP12ihipStream_tbEUljE_EEESW_SX_SY_S15_S19_S1B_T6_T7_T9_mT8_S1D_bDpT10_ENKUlT_T0_E_clISt17integral_constantIbLb1EES1Q_EEDaS1L_S1M_EUlS1L_E_NS1_11comp_targetILNS1_3genE8ELNS1_11target_archE1030ELNS1_3gpuE2ELNS1_3repE0EEENS1_30default_config_static_selectorELNS0_4arch9wavefront6targetE0EEEvSZ_,"axG",@progbits,_ZN7rocprim17ROCPRIM_400000_NS6detail17trampoline_kernelINS0_13select_configILj256ELj13ELNS0_17block_load_methodE3ELS4_3ELS4_3ELNS0_20block_scan_algorithmE0ELj4294967295EEENS1_25partition_config_selectorILNS1_17partition_subalgoE3EjNS0_10empty_typeEbEEZZNS1_14partition_implILS8_3ELb0ES6_jNS0_17counting_iteratorIjlEEPS9_SE_NS0_5tupleIJPjSE_EEENSF_IJSE_SE_EEES9_SG_JZNS1_25segmented_radix_sort_implINS0_14default_configELb0EPK6__halfPSL_PKlPlN2at6native12_GLOBAL__N_18offset_tEEE10hipError_tPvRmT1_PNSt15iterator_traitsISZ_E10value_typeET2_T3_PNS10_IS15_E10value_typeET4_jRbjT5_S1B_jjP12ihipStream_tbEUljE_EEESW_SX_SY_S15_S19_S1B_T6_T7_T9_mT8_S1D_bDpT10_ENKUlT_T0_E_clISt17integral_constantIbLb1EES1Q_EEDaS1L_S1M_EUlS1L_E_NS1_11comp_targetILNS1_3genE8ELNS1_11target_archE1030ELNS1_3gpuE2ELNS1_3repE0EEENS1_30default_config_static_selectorELNS0_4arch9wavefront6targetE0EEEvSZ_,comdat
	.globl	_ZN7rocprim17ROCPRIM_400000_NS6detail17trampoline_kernelINS0_13select_configILj256ELj13ELNS0_17block_load_methodE3ELS4_3ELS4_3ELNS0_20block_scan_algorithmE0ELj4294967295EEENS1_25partition_config_selectorILNS1_17partition_subalgoE3EjNS0_10empty_typeEbEEZZNS1_14partition_implILS8_3ELb0ES6_jNS0_17counting_iteratorIjlEEPS9_SE_NS0_5tupleIJPjSE_EEENSF_IJSE_SE_EEES9_SG_JZNS1_25segmented_radix_sort_implINS0_14default_configELb0EPK6__halfPSL_PKlPlN2at6native12_GLOBAL__N_18offset_tEEE10hipError_tPvRmT1_PNSt15iterator_traitsISZ_E10value_typeET2_T3_PNS10_IS15_E10value_typeET4_jRbjT5_S1B_jjP12ihipStream_tbEUljE_EEESW_SX_SY_S15_S19_S1B_T6_T7_T9_mT8_S1D_bDpT10_ENKUlT_T0_E_clISt17integral_constantIbLb1EES1Q_EEDaS1L_S1M_EUlS1L_E_NS1_11comp_targetILNS1_3genE8ELNS1_11target_archE1030ELNS1_3gpuE2ELNS1_3repE0EEENS1_30default_config_static_selectorELNS0_4arch9wavefront6targetE0EEEvSZ_ ; -- Begin function _ZN7rocprim17ROCPRIM_400000_NS6detail17trampoline_kernelINS0_13select_configILj256ELj13ELNS0_17block_load_methodE3ELS4_3ELS4_3ELNS0_20block_scan_algorithmE0ELj4294967295EEENS1_25partition_config_selectorILNS1_17partition_subalgoE3EjNS0_10empty_typeEbEEZZNS1_14partition_implILS8_3ELb0ES6_jNS0_17counting_iteratorIjlEEPS9_SE_NS0_5tupleIJPjSE_EEENSF_IJSE_SE_EEES9_SG_JZNS1_25segmented_radix_sort_implINS0_14default_configELb0EPK6__halfPSL_PKlPlN2at6native12_GLOBAL__N_18offset_tEEE10hipError_tPvRmT1_PNSt15iterator_traitsISZ_E10value_typeET2_T3_PNS10_IS15_E10value_typeET4_jRbjT5_S1B_jjP12ihipStream_tbEUljE_EEESW_SX_SY_S15_S19_S1B_T6_T7_T9_mT8_S1D_bDpT10_ENKUlT_T0_E_clISt17integral_constantIbLb1EES1Q_EEDaS1L_S1M_EUlS1L_E_NS1_11comp_targetILNS1_3genE8ELNS1_11target_archE1030ELNS1_3gpuE2ELNS1_3repE0EEENS1_30default_config_static_selectorELNS0_4arch9wavefront6targetE0EEEvSZ_
	.p2align	8
	.type	_ZN7rocprim17ROCPRIM_400000_NS6detail17trampoline_kernelINS0_13select_configILj256ELj13ELNS0_17block_load_methodE3ELS4_3ELS4_3ELNS0_20block_scan_algorithmE0ELj4294967295EEENS1_25partition_config_selectorILNS1_17partition_subalgoE3EjNS0_10empty_typeEbEEZZNS1_14partition_implILS8_3ELb0ES6_jNS0_17counting_iteratorIjlEEPS9_SE_NS0_5tupleIJPjSE_EEENSF_IJSE_SE_EEES9_SG_JZNS1_25segmented_radix_sort_implINS0_14default_configELb0EPK6__halfPSL_PKlPlN2at6native12_GLOBAL__N_18offset_tEEE10hipError_tPvRmT1_PNSt15iterator_traitsISZ_E10value_typeET2_T3_PNS10_IS15_E10value_typeET4_jRbjT5_S1B_jjP12ihipStream_tbEUljE_EEESW_SX_SY_S15_S19_S1B_T6_T7_T9_mT8_S1D_bDpT10_ENKUlT_T0_E_clISt17integral_constantIbLb1EES1Q_EEDaS1L_S1M_EUlS1L_E_NS1_11comp_targetILNS1_3genE8ELNS1_11target_archE1030ELNS1_3gpuE2ELNS1_3repE0EEENS1_30default_config_static_selectorELNS0_4arch9wavefront6targetE0EEEvSZ_,@function
_ZN7rocprim17ROCPRIM_400000_NS6detail17trampoline_kernelINS0_13select_configILj256ELj13ELNS0_17block_load_methodE3ELS4_3ELS4_3ELNS0_20block_scan_algorithmE0ELj4294967295EEENS1_25partition_config_selectorILNS1_17partition_subalgoE3EjNS0_10empty_typeEbEEZZNS1_14partition_implILS8_3ELb0ES6_jNS0_17counting_iteratorIjlEEPS9_SE_NS0_5tupleIJPjSE_EEENSF_IJSE_SE_EEES9_SG_JZNS1_25segmented_radix_sort_implINS0_14default_configELb0EPK6__halfPSL_PKlPlN2at6native12_GLOBAL__N_18offset_tEEE10hipError_tPvRmT1_PNSt15iterator_traitsISZ_E10value_typeET2_T3_PNS10_IS15_E10value_typeET4_jRbjT5_S1B_jjP12ihipStream_tbEUljE_EEESW_SX_SY_S15_S19_S1B_T6_T7_T9_mT8_S1D_bDpT10_ENKUlT_T0_E_clISt17integral_constantIbLb1EES1Q_EEDaS1L_S1M_EUlS1L_E_NS1_11comp_targetILNS1_3genE8ELNS1_11target_archE1030ELNS1_3gpuE2ELNS1_3repE0EEENS1_30default_config_static_selectorELNS0_4arch9wavefront6targetE0EEEvSZ_: ; @_ZN7rocprim17ROCPRIM_400000_NS6detail17trampoline_kernelINS0_13select_configILj256ELj13ELNS0_17block_load_methodE3ELS4_3ELS4_3ELNS0_20block_scan_algorithmE0ELj4294967295EEENS1_25partition_config_selectorILNS1_17partition_subalgoE3EjNS0_10empty_typeEbEEZZNS1_14partition_implILS8_3ELb0ES6_jNS0_17counting_iteratorIjlEEPS9_SE_NS0_5tupleIJPjSE_EEENSF_IJSE_SE_EEES9_SG_JZNS1_25segmented_radix_sort_implINS0_14default_configELb0EPK6__halfPSL_PKlPlN2at6native12_GLOBAL__N_18offset_tEEE10hipError_tPvRmT1_PNSt15iterator_traitsISZ_E10value_typeET2_T3_PNS10_IS15_E10value_typeET4_jRbjT5_S1B_jjP12ihipStream_tbEUljE_EEESW_SX_SY_S15_S19_S1B_T6_T7_T9_mT8_S1D_bDpT10_ENKUlT_T0_E_clISt17integral_constantIbLb1EES1Q_EEDaS1L_S1M_EUlS1L_E_NS1_11comp_targetILNS1_3genE8ELNS1_11target_archE1030ELNS1_3gpuE2ELNS1_3repE0EEENS1_30default_config_static_selectorELNS0_4arch9wavefront6targetE0EEEvSZ_
; %bb.0:
	.section	.rodata,"a",@progbits
	.p2align	6, 0x0
	.amdhsa_kernel _ZN7rocprim17ROCPRIM_400000_NS6detail17trampoline_kernelINS0_13select_configILj256ELj13ELNS0_17block_load_methodE3ELS4_3ELS4_3ELNS0_20block_scan_algorithmE0ELj4294967295EEENS1_25partition_config_selectorILNS1_17partition_subalgoE3EjNS0_10empty_typeEbEEZZNS1_14partition_implILS8_3ELb0ES6_jNS0_17counting_iteratorIjlEEPS9_SE_NS0_5tupleIJPjSE_EEENSF_IJSE_SE_EEES9_SG_JZNS1_25segmented_radix_sort_implINS0_14default_configELb0EPK6__halfPSL_PKlPlN2at6native12_GLOBAL__N_18offset_tEEE10hipError_tPvRmT1_PNSt15iterator_traitsISZ_E10value_typeET2_T3_PNS10_IS15_E10value_typeET4_jRbjT5_S1B_jjP12ihipStream_tbEUljE_EEESW_SX_SY_S15_S19_S1B_T6_T7_T9_mT8_S1D_bDpT10_ENKUlT_T0_E_clISt17integral_constantIbLb1EES1Q_EEDaS1L_S1M_EUlS1L_E_NS1_11comp_targetILNS1_3genE8ELNS1_11target_archE1030ELNS1_3gpuE2ELNS1_3repE0EEENS1_30default_config_static_selectorELNS0_4arch9wavefront6targetE0EEEvSZ_
		.amdhsa_group_segment_fixed_size 0
		.amdhsa_private_segment_fixed_size 0
		.amdhsa_kernarg_size 152
		.amdhsa_user_sgpr_count 2
		.amdhsa_user_sgpr_dispatch_ptr 0
		.amdhsa_user_sgpr_queue_ptr 0
		.amdhsa_user_sgpr_kernarg_segment_ptr 1
		.amdhsa_user_sgpr_dispatch_id 0
		.amdhsa_user_sgpr_private_segment_size 0
		.amdhsa_wavefront_size32 1
		.amdhsa_uses_dynamic_stack 0
		.amdhsa_enable_private_segment 0
		.amdhsa_system_sgpr_workgroup_id_x 1
		.amdhsa_system_sgpr_workgroup_id_y 0
		.amdhsa_system_sgpr_workgroup_id_z 0
		.amdhsa_system_sgpr_workgroup_info 0
		.amdhsa_system_vgpr_workitem_id 0
		.amdhsa_next_free_vgpr 1
		.amdhsa_next_free_sgpr 1
		.amdhsa_reserve_vcc 0
		.amdhsa_float_round_mode_32 0
		.amdhsa_float_round_mode_16_64 0
		.amdhsa_float_denorm_mode_32 3
		.amdhsa_float_denorm_mode_16_64 3
		.amdhsa_fp16_overflow 0
		.amdhsa_workgroup_processor_mode 1
		.amdhsa_memory_ordered 1
		.amdhsa_forward_progress 1
		.amdhsa_inst_pref_size 0
		.amdhsa_round_robin_scheduling 0
		.amdhsa_exception_fp_ieee_invalid_op 0
		.amdhsa_exception_fp_denorm_src 0
		.amdhsa_exception_fp_ieee_div_zero 0
		.amdhsa_exception_fp_ieee_overflow 0
		.amdhsa_exception_fp_ieee_underflow 0
		.amdhsa_exception_fp_ieee_inexact 0
		.amdhsa_exception_int_div_zero 0
	.end_amdhsa_kernel
	.section	.text._ZN7rocprim17ROCPRIM_400000_NS6detail17trampoline_kernelINS0_13select_configILj256ELj13ELNS0_17block_load_methodE3ELS4_3ELS4_3ELNS0_20block_scan_algorithmE0ELj4294967295EEENS1_25partition_config_selectorILNS1_17partition_subalgoE3EjNS0_10empty_typeEbEEZZNS1_14partition_implILS8_3ELb0ES6_jNS0_17counting_iteratorIjlEEPS9_SE_NS0_5tupleIJPjSE_EEENSF_IJSE_SE_EEES9_SG_JZNS1_25segmented_radix_sort_implINS0_14default_configELb0EPK6__halfPSL_PKlPlN2at6native12_GLOBAL__N_18offset_tEEE10hipError_tPvRmT1_PNSt15iterator_traitsISZ_E10value_typeET2_T3_PNS10_IS15_E10value_typeET4_jRbjT5_S1B_jjP12ihipStream_tbEUljE_EEESW_SX_SY_S15_S19_S1B_T6_T7_T9_mT8_S1D_bDpT10_ENKUlT_T0_E_clISt17integral_constantIbLb1EES1Q_EEDaS1L_S1M_EUlS1L_E_NS1_11comp_targetILNS1_3genE8ELNS1_11target_archE1030ELNS1_3gpuE2ELNS1_3repE0EEENS1_30default_config_static_selectorELNS0_4arch9wavefront6targetE0EEEvSZ_,"axG",@progbits,_ZN7rocprim17ROCPRIM_400000_NS6detail17trampoline_kernelINS0_13select_configILj256ELj13ELNS0_17block_load_methodE3ELS4_3ELS4_3ELNS0_20block_scan_algorithmE0ELj4294967295EEENS1_25partition_config_selectorILNS1_17partition_subalgoE3EjNS0_10empty_typeEbEEZZNS1_14partition_implILS8_3ELb0ES6_jNS0_17counting_iteratorIjlEEPS9_SE_NS0_5tupleIJPjSE_EEENSF_IJSE_SE_EEES9_SG_JZNS1_25segmented_radix_sort_implINS0_14default_configELb0EPK6__halfPSL_PKlPlN2at6native12_GLOBAL__N_18offset_tEEE10hipError_tPvRmT1_PNSt15iterator_traitsISZ_E10value_typeET2_T3_PNS10_IS15_E10value_typeET4_jRbjT5_S1B_jjP12ihipStream_tbEUljE_EEESW_SX_SY_S15_S19_S1B_T6_T7_T9_mT8_S1D_bDpT10_ENKUlT_T0_E_clISt17integral_constantIbLb1EES1Q_EEDaS1L_S1M_EUlS1L_E_NS1_11comp_targetILNS1_3genE8ELNS1_11target_archE1030ELNS1_3gpuE2ELNS1_3repE0EEENS1_30default_config_static_selectorELNS0_4arch9wavefront6targetE0EEEvSZ_,comdat
.Lfunc_end1825:
	.size	_ZN7rocprim17ROCPRIM_400000_NS6detail17trampoline_kernelINS0_13select_configILj256ELj13ELNS0_17block_load_methodE3ELS4_3ELS4_3ELNS0_20block_scan_algorithmE0ELj4294967295EEENS1_25partition_config_selectorILNS1_17partition_subalgoE3EjNS0_10empty_typeEbEEZZNS1_14partition_implILS8_3ELb0ES6_jNS0_17counting_iteratorIjlEEPS9_SE_NS0_5tupleIJPjSE_EEENSF_IJSE_SE_EEES9_SG_JZNS1_25segmented_radix_sort_implINS0_14default_configELb0EPK6__halfPSL_PKlPlN2at6native12_GLOBAL__N_18offset_tEEE10hipError_tPvRmT1_PNSt15iterator_traitsISZ_E10value_typeET2_T3_PNS10_IS15_E10value_typeET4_jRbjT5_S1B_jjP12ihipStream_tbEUljE_EEESW_SX_SY_S15_S19_S1B_T6_T7_T9_mT8_S1D_bDpT10_ENKUlT_T0_E_clISt17integral_constantIbLb1EES1Q_EEDaS1L_S1M_EUlS1L_E_NS1_11comp_targetILNS1_3genE8ELNS1_11target_archE1030ELNS1_3gpuE2ELNS1_3repE0EEENS1_30default_config_static_selectorELNS0_4arch9wavefront6targetE0EEEvSZ_, .Lfunc_end1825-_ZN7rocprim17ROCPRIM_400000_NS6detail17trampoline_kernelINS0_13select_configILj256ELj13ELNS0_17block_load_methodE3ELS4_3ELS4_3ELNS0_20block_scan_algorithmE0ELj4294967295EEENS1_25partition_config_selectorILNS1_17partition_subalgoE3EjNS0_10empty_typeEbEEZZNS1_14partition_implILS8_3ELb0ES6_jNS0_17counting_iteratorIjlEEPS9_SE_NS0_5tupleIJPjSE_EEENSF_IJSE_SE_EEES9_SG_JZNS1_25segmented_radix_sort_implINS0_14default_configELb0EPK6__halfPSL_PKlPlN2at6native12_GLOBAL__N_18offset_tEEE10hipError_tPvRmT1_PNSt15iterator_traitsISZ_E10value_typeET2_T3_PNS10_IS15_E10value_typeET4_jRbjT5_S1B_jjP12ihipStream_tbEUljE_EEESW_SX_SY_S15_S19_S1B_T6_T7_T9_mT8_S1D_bDpT10_ENKUlT_T0_E_clISt17integral_constantIbLb1EES1Q_EEDaS1L_S1M_EUlS1L_E_NS1_11comp_targetILNS1_3genE8ELNS1_11target_archE1030ELNS1_3gpuE2ELNS1_3repE0EEENS1_30default_config_static_selectorELNS0_4arch9wavefront6targetE0EEEvSZ_
                                        ; -- End function
	.set _ZN7rocprim17ROCPRIM_400000_NS6detail17trampoline_kernelINS0_13select_configILj256ELj13ELNS0_17block_load_methodE3ELS4_3ELS4_3ELNS0_20block_scan_algorithmE0ELj4294967295EEENS1_25partition_config_selectorILNS1_17partition_subalgoE3EjNS0_10empty_typeEbEEZZNS1_14partition_implILS8_3ELb0ES6_jNS0_17counting_iteratorIjlEEPS9_SE_NS0_5tupleIJPjSE_EEENSF_IJSE_SE_EEES9_SG_JZNS1_25segmented_radix_sort_implINS0_14default_configELb0EPK6__halfPSL_PKlPlN2at6native12_GLOBAL__N_18offset_tEEE10hipError_tPvRmT1_PNSt15iterator_traitsISZ_E10value_typeET2_T3_PNS10_IS15_E10value_typeET4_jRbjT5_S1B_jjP12ihipStream_tbEUljE_EEESW_SX_SY_S15_S19_S1B_T6_T7_T9_mT8_S1D_bDpT10_ENKUlT_T0_E_clISt17integral_constantIbLb1EES1Q_EEDaS1L_S1M_EUlS1L_E_NS1_11comp_targetILNS1_3genE8ELNS1_11target_archE1030ELNS1_3gpuE2ELNS1_3repE0EEENS1_30default_config_static_selectorELNS0_4arch9wavefront6targetE0EEEvSZ_.num_vgpr, 0
	.set _ZN7rocprim17ROCPRIM_400000_NS6detail17trampoline_kernelINS0_13select_configILj256ELj13ELNS0_17block_load_methodE3ELS4_3ELS4_3ELNS0_20block_scan_algorithmE0ELj4294967295EEENS1_25partition_config_selectorILNS1_17partition_subalgoE3EjNS0_10empty_typeEbEEZZNS1_14partition_implILS8_3ELb0ES6_jNS0_17counting_iteratorIjlEEPS9_SE_NS0_5tupleIJPjSE_EEENSF_IJSE_SE_EEES9_SG_JZNS1_25segmented_radix_sort_implINS0_14default_configELb0EPK6__halfPSL_PKlPlN2at6native12_GLOBAL__N_18offset_tEEE10hipError_tPvRmT1_PNSt15iterator_traitsISZ_E10value_typeET2_T3_PNS10_IS15_E10value_typeET4_jRbjT5_S1B_jjP12ihipStream_tbEUljE_EEESW_SX_SY_S15_S19_S1B_T6_T7_T9_mT8_S1D_bDpT10_ENKUlT_T0_E_clISt17integral_constantIbLb1EES1Q_EEDaS1L_S1M_EUlS1L_E_NS1_11comp_targetILNS1_3genE8ELNS1_11target_archE1030ELNS1_3gpuE2ELNS1_3repE0EEENS1_30default_config_static_selectorELNS0_4arch9wavefront6targetE0EEEvSZ_.num_agpr, 0
	.set _ZN7rocprim17ROCPRIM_400000_NS6detail17trampoline_kernelINS0_13select_configILj256ELj13ELNS0_17block_load_methodE3ELS4_3ELS4_3ELNS0_20block_scan_algorithmE0ELj4294967295EEENS1_25partition_config_selectorILNS1_17partition_subalgoE3EjNS0_10empty_typeEbEEZZNS1_14partition_implILS8_3ELb0ES6_jNS0_17counting_iteratorIjlEEPS9_SE_NS0_5tupleIJPjSE_EEENSF_IJSE_SE_EEES9_SG_JZNS1_25segmented_radix_sort_implINS0_14default_configELb0EPK6__halfPSL_PKlPlN2at6native12_GLOBAL__N_18offset_tEEE10hipError_tPvRmT1_PNSt15iterator_traitsISZ_E10value_typeET2_T3_PNS10_IS15_E10value_typeET4_jRbjT5_S1B_jjP12ihipStream_tbEUljE_EEESW_SX_SY_S15_S19_S1B_T6_T7_T9_mT8_S1D_bDpT10_ENKUlT_T0_E_clISt17integral_constantIbLb1EES1Q_EEDaS1L_S1M_EUlS1L_E_NS1_11comp_targetILNS1_3genE8ELNS1_11target_archE1030ELNS1_3gpuE2ELNS1_3repE0EEENS1_30default_config_static_selectorELNS0_4arch9wavefront6targetE0EEEvSZ_.numbered_sgpr, 0
	.set _ZN7rocprim17ROCPRIM_400000_NS6detail17trampoline_kernelINS0_13select_configILj256ELj13ELNS0_17block_load_methodE3ELS4_3ELS4_3ELNS0_20block_scan_algorithmE0ELj4294967295EEENS1_25partition_config_selectorILNS1_17partition_subalgoE3EjNS0_10empty_typeEbEEZZNS1_14partition_implILS8_3ELb0ES6_jNS0_17counting_iteratorIjlEEPS9_SE_NS0_5tupleIJPjSE_EEENSF_IJSE_SE_EEES9_SG_JZNS1_25segmented_radix_sort_implINS0_14default_configELb0EPK6__halfPSL_PKlPlN2at6native12_GLOBAL__N_18offset_tEEE10hipError_tPvRmT1_PNSt15iterator_traitsISZ_E10value_typeET2_T3_PNS10_IS15_E10value_typeET4_jRbjT5_S1B_jjP12ihipStream_tbEUljE_EEESW_SX_SY_S15_S19_S1B_T6_T7_T9_mT8_S1D_bDpT10_ENKUlT_T0_E_clISt17integral_constantIbLb1EES1Q_EEDaS1L_S1M_EUlS1L_E_NS1_11comp_targetILNS1_3genE8ELNS1_11target_archE1030ELNS1_3gpuE2ELNS1_3repE0EEENS1_30default_config_static_selectorELNS0_4arch9wavefront6targetE0EEEvSZ_.num_named_barrier, 0
	.set _ZN7rocprim17ROCPRIM_400000_NS6detail17trampoline_kernelINS0_13select_configILj256ELj13ELNS0_17block_load_methodE3ELS4_3ELS4_3ELNS0_20block_scan_algorithmE0ELj4294967295EEENS1_25partition_config_selectorILNS1_17partition_subalgoE3EjNS0_10empty_typeEbEEZZNS1_14partition_implILS8_3ELb0ES6_jNS0_17counting_iteratorIjlEEPS9_SE_NS0_5tupleIJPjSE_EEENSF_IJSE_SE_EEES9_SG_JZNS1_25segmented_radix_sort_implINS0_14default_configELb0EPK6__halfPSL_PKlPlN2at6native12_GLOBAL__N_18offset_tEEE10hipError_tPvRmT1_PNSt15iterator_traitsISZ_E10value_typeET2_T3_PNS10_IS15_E10value_typeET4_jRbjT5_S1B_jjP12ihipStream_tbEUljE_EEESW_SX_SY_S15_S19_S1B_T6_T7_T9_mT8_S1D_bDpT10_ENKUlT_T0_E_clISt17integral_constantIbLb1EES1Q_EEDaS1L_S1M_EUlS1L_E_NS1_11comp_targetILNS1_3genE8ELNS1_11target_archE1030ELNS1_3gpuE2ELNS1_3repE0EEENS1_30default_config_static_selectorELNS0_4arch9wavefront6targetE0EEEvSZ_.private_seg_size, 0
	.set _ZN7rocprim17ROCPRIM_400000_NS6detail17trampoline_kernelINS0_13select_configILj256ELj13ELNS0_17block_load_methodE3ELS4_3ELS4_3ELNS0_20block_scan_algorithmE0ELj4294967295EEENS1_25partition_config_selectorILNS1_17partition_subalgoE3EjNS0_10empty_typeEbEEZZNS1_14partition_implILS8_3ELb0ES6_jNS0_17counting_iteratorIjlEEPS9_SE_NS0_5tupleIJPjSE_EEENSF_IJSE_SE_EEES9_SG_JZNS1_25segmented_radix_sort_implINS0_14default_configELb0EPK6__halfPSL_PKlPlN2at6native12_GLOBAL__N_18offset_tEEE10hipError_tPvRmT1_PNSt15iterator_traitsISZ_E10value_typeET2_T3_PNS10_IS15_E10value_typeET4_jRbjT5_S1B_jjP12ihipStream_tbEUljE_EEESW_SX_SY_S15_S19_S1B_T6_T7_T9_mT8_S1D_bDpT10_ENKUlT_T0_E_clISt17integral_constantIbLb1EES1Q_EEDaS1L_S1M_EUlS1L_E_NS1_11comp_targetILNS1_3genE8ELNS1_11target_archE1030ELNS1_3gpuE2ELNS1_3repE0EEENS1_30default_config_static_selectorELNS0_4arch9wavefront6targetE0EEEvSZ_.uses_vcc, 0
	.set _ZN7rocprim17ROCPRIM_400000_NS6detail17trampoline_kernelINS0_13select_configILj256ELj13ELNS0_17block_load_methodE3ELS4_3ELS4_3ELNS0_20block_scan_algorithmE0ELj4294967295EEENS1_25partition_config_selectorILNS1_17partition_subalgoE3EjNS0_10empty_typeEbEEZZNS1_14partition_implILS8_3ELb0ES6_jNS0_17counting_iteratorIjlEEPS9_SE_NS0_5tupleIJPjSE_EEENSF_IJSE_SE_EEES9_SG_JZNS1_25segmented_radix_sort_implINS0_14default_configELb0EPK6__halfPSL_PKlPlN2at6native12_GLOBAL__N_18offset_tEEE10hipError_tPvRmT1_PNSt15iterator_traitsISZ_E10value_typeET2_T3_PNS10_IS15_E10value_typeET4_jRbjT5_S1B_jjP12ihipStream_tbEUljE_EEESW_SX_SY_S15_S19_S1B_T6_T7_T9_mT8_S1D_bDpT10_ENKUlT_T0_E_clISt17integral_constantIbLb1EES1Q_EEDaS1L_S1M_EUlS1L_E_NS1_11comp_targetILNS1_3genE8ELNS1_11target_archE1030ELNS1_3gpuE2ELNS1_3repE0EEENS1_30default_config_static_selectorELNS0_4arch9wavefront6targetE0EEEvSZ_.uses_flat_scratch, 0
	.set _ZN7rocprim17ROCPRIM_400000_NS6detail17trampoline_kernelINS0_13select_configILj256ELj13ELNS0_17block_load_methodE3ELS4_3ELS4_3ELNS0_20block_scan_algorithmE0ELj4294967295EEENS1_25partition_config_selectorILNS1_17partition_subalgoE3EjNS0_10empty_typeEbEEZZNS1_14partition_implILS8_3ELb0ES6_jNS0_17counting_iteratorIjlEEPS9_SE_NS0_5tupleIJPjSE_EEENSF_IJSE_SE_EEES9_SG_JZNS1_25segmented_radix_sort_implINS0_14default_configELb0EPK6__halfPSL_PKlPlN2at6native12_GLOBAL__N_18offset_tEEE10hipError_tPvRmT1_PNSt15iterator_traitsISZ_E10value_typeET2_T3_PNS10_IS15_E10value_typeET4_jRbjT5_S1B_jjP12ihipStream_tbEUljE_EEESW_SX_SY_S15_S19_S1B_T6_T7_T9_mT8_S1D_bDpT10_ENKUlT_T0_E_clISt17integral_constantIbLb1EES1Q_EEDaS1L_S1M_EUlS1L_E_NS1_11comp_targetILNS1_3genE8ELNS1_11target_archE1030ELNS1_3gpuE2ELNS1_3repE0EEENS1_30default_config_static_selectorELNS0_4arch9wavefront6targetE0EEEvSZ_.has_dyn_sized_stack, 0
	.set _ZN7rocprim17ROCPRIM_400000_NS6detail17trampoline_kernelINS0_13select_configILj256ELj13ELNS0_17block_load_methodE3ELS4_3ELS4_3ELNS0_20block_scan_algorithmE0ELj4294967295EEENS1_25partition_config_selectorILNS1_17partition_subalgoE3EjNS0_10empty_typeEbEEZZNS1_14partition_implILS8_3ELb0ES6_jNS0_17counting_iteratorIjlEEPS9_SE_NS0_5tupleIJPjSE_EEENSF_IJSE_SE_EEES9_SG_JZNS1_25segmented_radix_sort_implINS0_14default_configELb0EPK6__halfPSL_PKlPlN2at6native12_GLOBAL__N_18offset_tEEE10hipError_tPvRmT1_PNSt15iterator_traitsISZ_E10value_typeET2_T3_PNS10_IS15_E10value_typeET4_jRbjT5_S1B_jjP12ihipStream_tbEUljE_EEESW_SX_SY_S15_S19_S1B_T6_T7_T9_mT8_S1D_bDpT10_ENKUlT_T0_E_clISt17integral_constantIbLb1EES1Q_EEDaS1L_S1M_EUlS1L_E_NS1_11comp_targetILNS1_3genE8ELNS1_11target_archE1030ELNS1_3gpuE2ELNS1_3repE0EEENS1_30default_config_static_selectorELNS0_4arch9wavefront6targetE0EEEvSZ_.has_recursion, 0
	.set _ZN7rocprim17ROCPRIM_400000_NS6detail17trampoline_kernelINS0_13select_configILj256ELj13ELNS0_17block_load_methodE3ELS4_3ELS4_3ELNS0_20block_scan_algorithmE0ELj4294967295EEENS1_25partition_config_selectorILNS1_17partition_subalgoE3EjNS0_10empty_typeEbEEZZNS1_14partition_implILS8_3ELb0ES6_jNS0_17counting_iteratorIjlEEPS9_SE_NS0_5tupleIJPjSE_EEENSF_IJSE_SE_EEES9_SG_JZNS1_25segmented_radix_sort_implINS0_14default_configELb0EPK6__halfPSL_PKlPlN2at6native12_GLOBAL__N_18offset_tEEE10hipError_tPvRmT1_PNSt15iterator_traitsISZ_E10value_typeET2_T3_PNS10_IS15_E10value_typeET4_jRbjT5_S1B_jjP12ihipStream_tbEUljE_EEESW_SX_SY_S15_S19_S1B_T6_T7_T9_mT8_S1D_bDpT10_ENKUlT_T0_E_clISt17integral_constantIbLb1EES1Q_EEDaS1L_S1M_EUlS1L_E_NS1_11comp_targetILNS1_3genE8ELNS1_11target_archE1030ELNS1_3gpuE2ELNS1_3repE0EEENS1_30default_config_static_selectorELNS0_4arch9wavefront6targetE0EEEvSZ_.has_indirect_call, 0
	.section	.AMDGPU.csdata,"",@progbits
; Kernel info:
; codeLenInByte = 0
; TotalNumSgprs: 0
; NumVgprs: 0
; ScratchSize: 0
; MemoryBound: 0
; FloatMode: 240
; IeeeMode: 1
; LDSByteSize: 0 bytes/workgroup (compile time only)
; SGPRBlocks: 0
; VGPRBlocks: 0
; NumSGPRsForWavesPerEU: 1
; NumVGPRsForWavesPerEU: 1
; Occupancy: 16
; WaveLimiterHint : 0
; COMPUTE_PGM_RSRC2:SCRATCH_EN: 0
; COMPUTE_PGM_RSRC2:USER_SGPR: 2
; COMPUTE_PGM_RSRC2:TRAP_HANDLER: 0
; COMPUTE_PGM_RSRC2:TGID_X_EN: 1
; COMPUTE_PGM_RSRC2:TGID_Y_EN: 0
; COMPUTE_PGM_RSRC2:TGID_Z_EN: 0
; COMPUTE_PGM_RSRC2:TIDIG_COMP_CNT: 0
	.section	.text._ZN7rocprim17ROCPRIM_400000_NS6detail17trampoline_kernelINS0_13select_configILj256ELj13ELNS0_17block_load_methodE3ELS4_3ELS4_3ELNS0_20block_scan_algorithmE0ELj4294967295EEENS1_25partition_config_selectorILNS1_17partition_subalgoE3EjNS0_10empty_typeEbEEZZNS1_14partition_implILS8_3ELb0ES6_jNS0_17counting_iteratorIjlEEPS9_SE_NS0_5tupleIJPjSE_EEENSF_IJSE_SE_EEES9_SG_JZNS1_25segmented_radix_sort_implINS0_14default_configELb0EPK6__halfPSL_PKlPlN2at6native12_GLOBAL__N_18offset_tEEE10hipError_tPvRmT1_PNSt15iterator_traitsISZ_E10value_typeET2_T3_PNS10_IS15_E10value_typeET4_jRbjT5_S1B_jjP12ihipStream_tbEUljE_EEESW_SX_SY_S15_S19_S1B_T6_T7_T9_mT8_S1D_bDpT10_ENKUlT_T0_E_clISt17integral_constantIbLb1EES1P_IbLb0EEEEDaS1L_S1M_EUlS1L_E_NS1_11comp_targetILNS1_3genE0ELNS1_11target_archE4294967295ELNS1_3gpuE0ELNS1_3repE0EEENS1_30default_config_static_selectorELNS0_4arch9wavefront6targetE0EEEvSZ_,"axG",@progbits,_ZN7rocprim17ROCPRIM_400000_NS6detail17trampoline_kernelINS0_13select_configILj256ELj13ELNS0_17block_load_methodE3ELS4_3ELS4_3ELNS0_20block_scan_algorithmE0ELj4294967295EEENS1_25partition_config_selectorILNS1_17partition_subalgoE3EjNS0_10empty_typeEbEEZZNS1_14partition_implILS8_3ELb0ES6_jNS0_17counting_iteratorIjlEEPS9_SE_NS0_5tupleIJPjSE_EEENSF_IJSE_SE_EEES9_SG_JZNS1_25segmented_radix_sort_implINS0_14default_configELb0EPK6__halfPSL_PKlPlN2at6native12_GLOBAL__N_18offset_tEEE10hipError_tPvRmT1_PNSt15iterator_traitsISZ_E10value_typeET2_T3_PNS10_IS15_E10value_typeET4_jRbjT5_S1B_jjP12ihipStream_tbEUljE_EEESW_SX_SY_S15_S19_S1B_T6_T7_T9_mT8_S1D_bDpT10_ENKUlT_T0_E_clISt17integral_constantIbLb1EES1P_IbLb0EEEEDaS1L_S1M_EUlS1L_E_NS1_11comp_targetILNS1_3genE0ELNS1_11target_archE4294967295ELNS1_3gpuE0ELNS1_3repE0EEENS1_30default_config_static_selectorELNS0_4arch9wavefront6targetE0EEEvSZ_,comdat
	.globl	_ZN7rocprim17ROCPRIM_400000_NS6detail17trampoline_kernelINS0_13select_configILj256ELj13ELNS0_17block_load_methodE3ELS4_3ELS4_3ELNS0_20block_scan_algorithmE0ELj4294967295EEENS1_25partition_config_selectorILNS1_17partition_subalgoE3EjNS0_10empty_typeEbEEZZNS1_14partition_implILS8_3ELb0ES6_jNS0_17counting_iteratorIjlEEPS9_SE_NS0_5tupleIJPjSE_EEENSF_IJSE_SE_EEES9_SG_JZNS1_25segmented_radix_sort_implINS0_14default_configELb0EPK6__halfPSL_PKlPlN2at6native12_GLOBAL__N_18offset_tEEE10hipError_tPvRmT1_PNSt15iterator_traitsISZ_E10value_typeET2_T3_PNS10_IS15_E10value_typeET4_jRbjT5_S1B_jjP12ihipStream_tbEUljE_EEESW_SX_SY_S15_S19_S1B_T6_T7_T9_mT8_S1D_bDpT10_ENKUlT_T0_E_clISt17integral_constantIbLb1EES1P_IbLb0EEEEDaS1L_S1M_EUlS1L_E_NS1_11comp_targetILNS1_3genE0ELNS1_11target_archE4294967295ELNS1_3gpuE0ELNS1_3repE0EEENS1_30default_config_static_selectorELNS0_4arch9wavefront6targetE0EEEvSZ_ ; -- Begin function _ZN7rocprim17ROCPRIM_400000_NS6detail17trampoline_kernelINS0_13select_configILj256ELj13ELNS0_17block_load_methodE3ELS4_3ELS4_3ELNS0_20block_scan_algorithmE0ELj4294967295EEENS1_25partition_config_selectorILNS1_17partition_subalgoE3EjNS0_10empty_typeEbEEZZNS1_14partition_implILS8_3ELb0ES6_jNS0_17counting_iteratorIjlEEPS9_SE_NS0_5tupleIJPjSE_EEENSF_IJSE_SE_EEES9_SG_JZNS1_25segmented_radix_sort_implINS0_14default_configELb0EPK6__halfPSL_PKlPlN2at6native12_GLOBAL__N_18offset_tEEE10hipError_tPvRmT1_PNSt15iterator_traitsISZ_E10value_typeET2_T3_PNS10_IS15_E10value_typeET4_jRbjT5_S1B_jjP12ihipStream_tbEUljE_EEESW_SX_SY_S15_S19_S1B_T6_T7_T9_mT8_S1D_bDpT10_ENKUlT_T0_E_clISt17integral_constantIbLb1EES1P_IbLb0EEEEDaS1L_S1M_EUlS1L_E_NS1_11comp_targetILNS1_3genE0ELNS1_11target_archE4294967295ELNS1_3gpuE0ELNS1_3repE0EEENS1_30default_config_static_selectorELNS0_4arch9wavefront6targetE0EEEvSZ_
	.p2align	8
	.type	_ZN7rocprim17ROCPRIM_400000_NS6detail17trampoline_kernelINS0_13select_configILj256ELj13ELNS0_17block_load_methodE3ELS4_3ELS4_3ELNS0_20block_scan_algorithmE0ELj4294967295EEENS1_25partition_config_selectorILNS1_17partition_subalgoE3EjNS0_10empty_typeEbEEZZNS1_14partition_implILS8_3ELb0ES6_jNS0_17counting_iteratorIjlEEPS9_SE_NS0_5tupleIJPjSE_EEENSF_IJSE_SE_EEES9_SG_JZNS1_25segmented_radix_sort_implINS0_14default_configELb0EPK6__halfPSL_PKlPlN2at6native12_GLOBAL__N_18offset_tEEE10hipError_tPvRmT1_PNSt15iterator_traitsISZ_E10value_typeET2_T3_PNS10_IS15_E10value_typeET4_jRbjT5_S1B_jjP12ihipStream_tbEUljE_EEESW_SX_SY_S15_S19_S1B_T6_T7_T9_mT8_S1D_bDpT10_ENKUlT_T0_E_clISt17integral_constantIbLb1EES1P_IbLb0EEEEDaS1L_S1M_EUlS1L_E_NS1_11comp_targetILNS1_3genE0ELNS1_11target_archE4294967295ELNS1_3gpuE0ELNS1_3repE0EEENS1_30default_config_static_selectorELNS0_4arch9wavefront6targetE0EEEvSZ_,@function
_ZN7rocprim17ROCPRIM_400000_NS6detail17trampoline_kernelINS0_13select_configILj256ELj13ELNS0_17block_load_methodE3ELS4_3ELS4_3ELNS0_20block_scan_algorithmE0ELj4294967295EEENS1_25partition_config_selectorILNS1_17partition_subalgoE3EjNS0_10empty_typeEbEEZZNS1_14partition_implILS8_3ELb0ES6_jNS0_17counting_iteratorIjlEEPS9_SE_NS0_5tupleIJPjSE_EEENSF_IJSE_SE_EEES9_SG_JZNS1_25segmented_radix_sort_implINS0_14default_configELb0EPK6__halfPSL_PKlPlN2at6native12_GLOBAL__N_18offset_tEEE10hipError_tPvRmT1_PNSt15iterator_traitsISZ_E10value_typeET2_T3_PNS10_IS15_E10value_typeET4_jRbjT5_S1B_jjP12ihipStream_tbEUljE_EEESW_SX_SY_S15_S19_S1B_T6_T7_T9_mT8_S1D_bDpT10_ENKUlT_T0_E_clISt17integral_constantIbLb1EES1P_IbLb0EEEEDaS1L_S1M_EUlS1L_E_NS1_11comp_targetILNS1_3genE0ELNS1_11target_archE4294967295ELNS1_3gpuE0ELNS1_3repE0EEENS1_30default_config_static_selectorELNS0_4arch9wavefront6targetE0EEEvSZ_: ; @_ZN7rocprim17ROCPRIM_400000_NS6detail17trampoline_kernelINS0_13select_configILj256ELj13ELNS0_17block_load_methodE3ELS4_3ELS4_3ELNS0_20block_scan_algorithmE0ELj4294967295EEENS1_25partition_config_selectorILNS1_17partition_subalgoE3EjNS0_10empty_typeEbEEZZNS1_14partition_implILS8_3ELb0ES6_jNS0_17counting_iteratorIjlEEPS9_SE_NS0_5tupleIJPjSE_EEENSF_IJSE_SE_EEES9_SG_JZNS1_25segmented_radix_sort_implINS0_14default_configELb0EPK6__halfPSL_PKlPlN2at6native12_GLOBAL__N_18offset_tEEE10hipError_tPvRmT1_PNSt15iterator_traitsISZ_E10value_typeET2_T3_PNS10_IS15_E10value_typeET4_jRbjT5_S1B_jjP12ihipStream_tbEUljE_EEESW_SX_SY_S15_S19_S1B_T6_T7_T9_mT8_S1D_bDpT10_ENKUlT_T0_E_clISt17integral_constantIbLb1EES1P_IbLb0EEEEDaS1L_S1M_EUlS1L_E_NS1_11comp_targetILNS1_3genE0ELNS1_11target_archE4294967295ELNS1_3gpuE0ELNS1_3repE0EEENS1_30default_config_static_selectorELNS0_4arch9wavefront6targetE0EEEvSZ_
; %bb.0:
	.section	.rodata,"a",@progbits
	.p2align	6, 0x0
	.amdhsa_kernel _ZN7rocprim17ROCPRIM_400000_NS6detail17trampoline_kernelINS0_13select_configILj256ELj13ELNS0_17block_load_methodE3ELS4_3ELS4_3ELNS0_20block_scan_algorithmE0ELj4294967295EEENS1_25partition_config_selectorILNS1_17partition_subalgoE3EjNS0_10empty_typeEbEEZZNS1_14partition_implILS8_3ELb0ES6_jNS0_17counting_iteratorIjlEEPS9_SE_NS0_5tupleIJPjSE_EEENSF_IJSE_SE_EEES9_SG_JZNS1_25segmented_radix_sort_implINS0_14default_configELb0EPK6__halfPSL_PKlPlN2at6native12_GLOBAL__N_18offset_tEEE10hipError_tPvRmT1_PNSt15iterator_traitsISZ_E10value_typeET2_T3_PNS10_IS15_E10value_typeET4_jRbjT5_S1B_jjP12ihipStream_tbEUljE_EEESW_SX_SY_S15_S19_S1B_T6_T7_T9_mT8_S1D_bDpT10_ENKUlT_T0_E_clISt17integral_constantIbLb1EES1P_IbLb0EEEEDaS1L_S1M_EUlS1L_E_NS1_11comp_targetILNS1_3genE0ELNS1_11target_archE4294967295ELNS1_3gpuE0ELNS1_3repE0EEENS1_30default_config_static_selectorELNS0_4arch9wavefront6targetE0EEEvSZ_
		.amdhsa_group_segment_fixed_size 0
		.amdhsa_private_segment_fixed_size 0
		.amdhsa_kernarg_size 144
		.amdhsa_user_sgpr_count 2
		.amdhsa_user_sgpr_dispatch_ptr 0
		.amdhsa_user_sgpr_queue_ptr 0
		.amdhsa_user_sgpr_kernarg_segment_ptr 1
		.amdhsa_user_sgpr_dispatch_id 0
		.amdhsa_user_sgpr_private_segment_size 0
		.amdhsa_wavefront_size32 1
		.amdhsa_uses_dynamic_stack 0
		.amdhsa_enable_private_segment 0
		.amdhsa_system_sgpr_workgroup_id_x 1
		.amdhsa_system_sgpr_workgroup_id_y 0
		.amdhsa_system_sgpr_workgroup_id_z 0
		.amdhsa_system_sgpr_workgroup_info 0
		.amdhsa_system_vgpr_workitem_id 0
		.amdhsa_next_free_vgpr 1
		.amdhsa_next_free_sgpr 1
		.amdhsa_reserve_vcc 0
		.amdhsa_float_round_mode_32 0
		.amdhsa_float_round_mode_16_64 0
		.amdhsa_float_denorm_mode_32 3
		.amdhsa_float_denorm_mode_16_64 3
		.amdhsa_fp16_overflow 0
		.amdhsa_workgroup_processor_mode 1
		.amdhsa_memory_ordered 1
		.amdhsa_forward_progress 1
		.amdhsa_inst_pref_size 0
		.amdhsa_round_robin_scheduling 0
		.amdhsa_exception_fp_ieee_invalid_op 0
		.amdhsa_exception_fp_denorm_src 0
		.amdhsa_exception_fp_ieee_div_zero 0
		.amdhsa_exception_fp_ieee_overflow 0
		.amdhsa_exception_fp_ieee_underflow 0
		.amdhsa_exception_fp_ieee_inexact 0
		.amdhsa_exception_int_div_zero 0
	.end_amdhsa_kernel
	.section	.text._ZN7rocprim17ROCPRIM_400000_NS6detail17trampoline_kernelINS0_13select_configILj256ELj13ELNS0_17block_load_methodE3ELS4_3ELS4_3ELNS0_20block_scan_algorithmE0ELj4294967295EEENS1_25partition_config_selectorILNS1_17partition_subalgoE3EjNS0_10empty_typeEbEEZZNS1_14partition_implILS8_3ELb0ES6_jNS0_17counting_iteratorIjlEEPS9_SE_NS0_5tupleIJPjSE_EEENSF_IJSE_SE_EEES9_SG_JZNS1_25segmented_radix_sort_implINS0_14default_configELb0EPK6__halfPSL_PKlPlN2at6native12_GLOBAL__N_18offset_tEEE10hipError_tPvRmT1_PNSt15iterator_traitsISZ_E10value_typeET2_T3_PNS10_IS15_E10value_typeET4_jRbjT5_S1B_jjP12ihipStream_tbEUljE_EEESW_SX_SY_S15_S19_S1B_T6_T7_T9_mT8_S1D_bDpT10_ENKUlT_T0_E_clISt17integral_constantIbLb1EES1P_IbLb0EEEEDaS1L_S1M_EUlS1L_E_NS1_11comp_targetILNS1_3genE0ELNS1_11target_archE4294967295ELNS1_3gpuE0ELNS1_3repE0EEENS1_30default_config_static_selectorELNS0_4arch9wavefront6targetE0EEEvSZ_,"axG",@progbits,_ZN7rocprim17ROCPRIM_400000_NS6detail17trampoline_kernelINS0_13select_configILj256ELj13ELNS0_17block_load_methodE3ELS4_3ELS4_3ELNS0_20block_scan_algorithmE0ELj4294967295EEENS1_25partition_config_selectorILNS1_17partition_subalgoE3EjNS0_10empty_typeEbEEZZNS1_14partition_implILS8_3ELb0ES6_jNS0_17counting_iteratorIjlEEPS9_SE_NS0_5tupleIJPjSE_EEENSF_IJSE_SE_EEES9_SG_JZNS1_25segmented_radix_sort_implINS0_14default_configELb0EPK6__halfPSL_PKlPlN2at6native12_GLOBAL__N_18offset_tEEE10hipError_tPvRmT1_PNSt15iterator_traitsISZ_E10value_typeET2_T3_PNS10_IS15_E10value_typeET4_jRbjT5_S1B_jjP12ihipStream_tbEUljE_EEESW_SX_SY_S15_S19_S1B_T6_T7_T9_mT8_S1D_bDpT10_ENKUlT_T0_E_clISt17integral_constantIbLb1EES1P_IbLb0EEEEDaS1L_S1M_EUlS1L_E_NS1_11comp_targetILNS1_3genE0ELNS1_11target_archE4294967295ELNS1_3gpuE0ELNS1_3repE0EEENS1_30default_config_static_selectorELNS0_4arch9wavefront6targetE0EEEvSZ_,comdat
.Lfunc_end1826:
	.size	_ZN7rocprim17ROCPRIM_400000_NS6detail17trampoline_kernelINS0_13select_configILj256ELj13ELNS0_17block_load_methodE3ELS4_3ELS4_3ELNS0_20block_scan_algorithmE0ELj4294967295EEENS1_25partition_config_selectorILNS1_17partition_subalgoE3EjNS0_10empty_typeEbEEZZNS1_14partition_implILS8_3ELb0ES6_jNS0_17counting_iteratorIjlEEPS9_SE_NS0_5tupleIJPjSE_EEENSF_IJSE_SE_EEES9_SG_JZNS1_25segmented_radix_sort_implINS0_14default_configELb0EPK6__halfPSL_PKlPlN2at6native12_GLOBAL__N_18offset_tEEE10hipError_tPvRmT1_PNSt15iterator_traitsISZ_E10value_typeET2_T3_PNS10_IS15_E10value_typeET4_jRbjT5_S1B_jjP12ihipStream_tbEUljE_EEESW_SX_SY_S15_S19_S1B_T6_T7_T9_mT8_S1D_bDpT10_ENKUlT_T0_E_clISt17integral_constantIbLb1EES1P_IbLb0EEEEDaS1L_S1M_EUlS1L_E_NS1_11comp_targetILNS1_3genE0ELNS1_11target_archE4294967295ELNS1_3gpuE0ELNS1_3repE0EEENS1_30default_config_static_selectorELNS0_4arch9wavefront6targetE0EEEvSZ_, .Lfunc_end1826-_ZN7rocprim17ROCPRIM_400000_NS6detail17trampoline_kernelINS0_13select_configILj256ELj13ELNS0_17block_load_methodE3ELS4_3ELS4_3ELNS0_20block_scan_algorithmE0ELj4294967295EEENS1_25partition_config_selectorILNS1_17partition_subalgoE3EjNS0_10empty_typeEbEEZZNS1_14partition_implILS8_3ELb0ES6_jNS0_17counting_iteratorIjlEEPS9_SE_NS0_5tupleIJPjSE_EEENSF_IJSE_SE_EEES9_SG_JZNS1_25segmented_radix_sort_implINS0_14default_configELb0EPK6__halfPSL_PKlPlN2at6native12_GLOBAL__N_18offset_tEEE10hipError_tPvRmT1_PNSt15iterator_traitsISZ_E10value_typeET2_T3_PNS10_IS15_E10value_typeET4_jRbjT5_S1B_jjP12ihipStream_tbEUljE_EEESW_SX_SY_S15_S19_S1B_T6_T7_T9_mT8_S1D_bDpT10_ENKUlT_T0_E_clISt17integral_constantIbLb1EES1P_IbLb0EEEEDaS1L_S1M_EUlS1L_E_NS1_11comp_targetILNS1_3genE0ELNS1_11target_archE4294967295ELNS1_3gpuE0ELNS1_3repE0EEENS1_30default_config_static_selectorELNS0_4arch9wavefront6targetE0EEEvSZ_
                                        ; -- End function
	.set _ZN7rocprim17ROCPRIM_400000_NS6detail17trampoline_kernelINS0_13select_configILj256ELj13ELNS0_17block_load_methodE3ELS4_3ELS4_3ELNS0_20block_scan_algorithmE0ELj4294967295EEENS1_25partition_config_selectorILNS1_17partition_subalgoE3EjNS0_10empty_typeEbEEZZNS1_14partition_implILS8_3ELb0ES6_jNS0_17counting_iteratorIjlEEPS9_SE_NS0_5tupleIJPjSE_EEENSF_IJSE_SE_EEES9_SG_JZNS1_25segmented_radix_sort_implINS0_14default_configELb0EPK6__halfPSL_PKlPlN2at6native12_GLOBAL__N_18offset_tEEE10hipError_tPvRmT1_PNSt15iterator_traitsISZ_E10value_typeET2_T3_PNS10_IS15_E10value_typeET4_jRbjT5_S1B_jjP12ihipStream_tbEUljE_EEESW_SX_SY_S15_S19_S1B_T6_T7_T9_mT8_S1D_bDpT10_ENKUlT_T0_E_clISt17integral_constantIbLb1EES1P_IbLb0EEEEDaS1L_S1M_EUlS1L_E_NS1_11comp_targetILNS1_3genE0ELNS1_11target_archE4294967295ELNS1_3gpuE0ELNS1_3repE0EEENS1_30default_config_static_selectorELNS0_4arch9wavefront6targetE0EEEvSZ_.num_vgpr, 0
	.set _ZN7rocprim17ROCPRIM_400000_NS6detail17trampoline_kernelINS0_13select_configILj256ELj13ELNS0_17block_load_methodE3ELS4_3ELS4_3ELNS0_20block_scan_algorithmE0ELj4294967295EEENS1_25partition_config_selectorILNS1_17partition_subalgoE3EjNS0_10empty_typeEbEEZZNS1_14partition_implILS8_3ELb0ES6_jNS0_17counting_iteratorIjlEEPS9_SE_NS0_5tupleIJPjSE_EEENSF_IJSE_SE_EEES9_SG_JZNS1_25segmented_radix_sort_implINS0_14default_configELb0EPK6__halfPSL_PKlPlN2at6native12_GLOBAL__N_18offset_tEEE10hipError_tPvRmT1_PNSt15iterator_traitsISZ_E10value_typeET2_T3_PNS10_IS15_E10value_typeET4_jRbjT5_S1B_jjP12ihipStream_tbEUljE_EEESW_SX_SY_S15_S19_S1B_T6_T7_T9_mT8_S1D_bDpT10_ENKUlT_T0_E_clISt17integral_constantIbLb1EES1P_IbLb0EEEEDaS1L_S1M_EUlS1L_E_NS1_11comp_targetILNS1_3genE0ELNS1_11target_archE4294967295ELNS1_3gpuE0ELNS1_3repE0EEENS1_30default_config_static_selectorELNS0_4arch9wavefront6targetE0EEEvSZ_.num_agpr, 0
	.set _ZN7rocprim17ROCPRIM_400000_NS6detail17trampoline_kernelINS0_13select_configILj256ELj13ELNS0_17block_load_methodE3ELS4_3ELS4_3ELNS0_20block_scan_algorithmE0ELj4294967295EEENS1_25partition_config_selectorILNS1_17partition_subalgoE3EjNS0_10empty_typeEbEEZZNS1_14partition_implILS8_3ELb0ES6_jNS0_17counting_iteratorIjlEEPS9_SE_NS0_5tupleIJPjSE_EEENSF_IJSE_SE_EEES9_SG_JZNS1_25segmented_radix_sort_implINS0_14default_configELb0EPK6__halfPSL_PKlPlN2at6native12_GLOBAL__N_18offset_tEEE10hipError_tPvRmT1_PNSt15iterator_traitsISZ_E10value_typeET2_T3_PNS10_IS15_E10value_typeET4_jRbjT5_S1B_jjP12ihipStream_tbEUljE_EEESW_SX_SY_S15_S19_S1B_T6_T7_T9_mT8_S1D_bDpT10_ENKUlT_T0_E_clISt17integral_constantIbLb1EES1P_IbLb0EEEEDaS1L_S1M_EUlS1L_E_NS1_11comp_targetILNS1_3genE0ELNS1_11target_archE4294967295ELNS1_3gpuE0ELNS1_3repE0EEENS1_30default_config_static_selectorELNS0_4arch9wavefront6targetE0EEEvSZ_.numbered_sgpr, 0
	.set _ZN7rocprim17ROCPRIM_400000_NS6detail17trampoline_kernelINS0_13select_configILj256ELj13ELNS0_17block_load_methodE3ELS4_3ELS4_3ELNS0_20block_scan_algorithmE0ELj4294967295EEENS1_25partition_config_selectorILNS1_17partition_subalgoE3EjNS0_10empty_typeEbEEZZNS1_14partition_implILS8_3ELb0ES6_jNS0_17counting_iteratorIjlEEPS9_SE_NS0_5tupleIJPjSE_EEENSF_IJSE_SE_EEES9_SG_JZNS1_25segmented_radix_sort_implINS0_14default_configELb0EPK6__halfPSL_PKlPlN2at6native12_GLOBAL__N_18offset_tEEE10hipError_tPvRmT1_PNSt15iterator_traitsISZ_E10value_typeET2_T3_PNS10_IS15_E10value_typeET4_jRbjT5_S1B_jjP12ihipStream_tbEUljE_EEESW_SX_SY_S15_S19_S1B_T6_T7_T9_mT8_S1D_bDpT10_ENKUlT_T0_E_clISt17integral_constantIbLb1EES1P_IbLb0EEEEDaS1L_S1M_EUlS1L_E_NS1_11comp_targetILNS1_3genE0ELNS1_11target_archE4294967295ELNS1_3gpuE0ELNS1_3repE0EEENS1_30default_config_static_selectorELNS0_4arch9wavefront6targetE0EEEvSZ_.num_named_barrier, 0
	.set _ZN7rocprim17ROCPRIM_400000_NS6detail17trampoline_kernelINS0_13select_configILj256ELj13ELNS0_17block_load_methodE3ELS4_3ELS4_3ELNS0_20block_scan_algorithmE0ELj4294967295EEENS1_25partition_config_selectorILNS1_17partition_subalgoE3EjNS0_10empty_typeEbEEZZNS1_14partition_implILS8_3ELb0ES6_jNS0_17counting_iteratorIjlEEPS9_SE_NS0_5tupleIJPjSE_EEENSF_IJSE_SE_EEES9_SG_JZNS1_25segmented_radix_sort_implINS0_14default_configELb0EPK6__halfPSL_PKlPlN2at6native12_GLOBAL__N_18offset_tEEE10hipError_tPvRmT1_PNSt15iterator_traitsISZ_E10value_typeET2_T3_PNS10_IS15_E10value_typeET4_jRbjT5_S1B_jjP12ihipStream_tbEUljE_EEESW_SX_SY_S15_S19_S1B_T6_T7_T9_mT8_S1D_bDpT10_ENKUlT_T0_E_clISt17integral_constantIbLb1EES1P_IbLb0EEEEDaS1L_S1M_EUlS1L_E_NS1_11comp_targetILNS1_3genE0ELNS1_11target_archE4294967295ELNS1_3gpuE0ELNS1_3repE0EEENS1_30default_config_static_selectorELNS0_4arch9wavefront6targetE0EEEvSZ_.private_seg_size, 0
	.set _ZN7rocprim17ROCPRIM_400000_NS6detail17trampoline_kernelINS0_13select_configILj256ELj13ELNS0_17block_load_methodE3ELS4_3ELS4_3ELNS0_20block_scan_algorithmE0ELj4294967295EEENS1_25partition_config_selectorILNS1_17partition_subalgoE3EjNS0_10empty_typeEbEEZZNS1_14partition_implILS8_3ELb0ES6_jNS0_17counting_iteratorIjlEEPS9_SE_NS0_5tupleIJPjSE_EEENSF_IJSE_SE_EEES9_SG_JZNS1_25segmented_radix_sort_implINS0_14default_configELb0EPK6__halfPSL_PKlPlN2at6native12_GLOBAL__N_18offset_tEEE10hipError_tPvRmT1_PNSt15iterator_traitsISZ_E10value_typeET2_T3_PNS10_IS15_E10value_typeET4_jRbjT5_S1B_jjP12ihipStream_tbEUljE_EEESW_SX_SY_S15_S19_S1B_T6_T7_T9_mT8_S1D_bDpT10_ENKUlT_T0_E_clISt17integral_constantIbLb1EES1P_IbLb0EEEEDaS1L_S1M_EUlS1L_E_NS1_11comp_targetILNS1_3genE0ELNS1_11target_archE4294967295ELNS1_3gpuE0ELNS1_3repE0EEENS1_30default_config_static_selectorELNS0_4arch9wavefront6targetE0EEEvSZ_.uses_vcc, 0
	.set _ZN7rocprim17ROCPRIM_400000_NS6detail17trampoline_kernelINS0_13select_configILj256ELj13ELNS0_17block_load_methodE3ELS4_3ELS4_3ELNS0_20block_scan_algorithmE0ELj4294967295EEENS1_25partition_config_selectorILNS1_17partition_subalgoE3EjNS0_10empty_typeEbEEZZNS1_14partition_implILS8_3ELb0ES6_jNS0_17counting_iteratorIjlEEPS9_SE_NS0_5tupleIJPjSE_EEENSF_IJSE_SE_EEES9_SG_JZNS1_25segmented_radix_sort_implINS0_14default_configELb0EPK6__halfPSL_PKlPlN2at6native12_GLOBAL__N_18offset_tEEE10hipError_tPvRmT1_PNSt15iterator_traitsISZ_E10value_typeET2_T3_PNS10_IS15_E10value_typeET4_jRbjT5_S1B_jjP12ihipStream_tbEUljE_EEESW_SX_SY_S15_S19_S1B_T6_T7_T9_mT8_S1D_bDpT10_ENKUlT_T0_E_clISt17integral_constantIbLb1EES1P_IbLb0EEEEDaS1L_S1M_EUlS1L_E_NS1_11comp_targetILNS1_3genE0ELNS1_11target_archE4294967295ELNS1_3gpuE0ELNS1_3repE0EEENS1_30default_config_static_selectorELNS0_4arch9wavefront6targetE0EEEvSZ_.uses_flat_scratch, 0
	.set _ZN7rocprim17ROCPRIM_400000_NS6detail17trampoline_kernelINS0_13select_configILj256ELj13ELNS0_17block_load_methodE3ELS4_3ELS4_3ELNS0_20block_scan_algorithmE0ELj4294967295EEENS1_25partition_config_selectorILNS1_17partition_subalgoE3EjNS0_10empty_typeEbEEZZNS1_14partition_implILS8_3ELb0ES6_jNS0_17counting_iteratorIjlEEPS9_SE_NS0_5tupleIJPjSE_EEENSF_IJSE_SE_EEES9_SG_JZNS1_25segmented_radix_sort_implINS0_14default_configELb0EPK6__halfPSL_PKlPlN2at6native12_GLOBAL__N_18offset_tEEE10hipError_tPvRmT1_PNSt15iterator_traitsISZ_E10value_typeET2_T3_PNS10_IS15_E10value_typeET4_jRbjT5_S1B_jjP12ihipStream_tbEUljE_EEESW_SX_SY_S15_S19_S1B_T6_T7_T9_mT8_S1D_bDpT10_ENKUlT_T0_E_clISt17integral_constantIbLb1EES1P_IbLb0EEEEDaS1L_S1M_EUlS1L_E_NS1_11comp_targetILNS1_3genE0ELNS1_11target_archE4294967295ELNS1_3gpuE0ELNS1_3repE0EEENS1_30default_config_static_selectorELNS0_4arch9wavefront6targetE0EEEvSZ_.has_dyn_sized_stack, 0
	.set _ZN7rocprim17ROCPRIM_400000_NS6detail17trampoline_kernelINS0_13select_configILj256ELj13ELNS0_17block_load_methodE3ELS4_3ELS4_3ELNS0_20block_scan_algorithmE0ELj4294967295EEENS1_25partition_config_selectorILNS1_17partition_subalgoE3EjNS0_10empty_typeEbEEZZNS1_14partition_implILS8_3ELb0ES6_jNS0_17counting_iteratorIjlEEPS9_SE_NS0_5tupleIJPjSE_EEENSF_IJSE_SE_EEES9_SG_JZNS1_25segmented_radix_sort_implINS0_14default_configELb0EPK6__halfPSL_PKlPlN2at6native12_GLOBAL__N_18offset_tEEE10hipError_tPvRmT1_PNSt15iterator_traitsISZ_E10value_typeET2_T3_PNS10_IS15_E10value_typeET4_jRbjT5_S1B_jjP12ihipStream_tbEUljE_EEESW_SX_SY_S15_S19_S1B_T6_T7_T9_mT8_S1D_bDpT10_ENKUlT_T0_E_clISt17integral_constantIbLb1EES1P_IbLb0EEEEDaS1L_S1M_EUlS1L_E_NS1_11comp_targetILNS1_3genE0ELNS1_11target_archE4294967295ELNS1_3gpuE0ELNS1_3repE0EEENS1_30default_config_static_selectorELNS0_4arch9wavefront6targetE0EEEvSZ_.has_recursion, 0
	.set _ZN7rocprim17ROCPRIM_400000_NS6detail17trampoline_kernelINS0_13select_configILj256ELj13ELNS0_17block_load_methodE3ELS4_3ELS4_3ELNS0_20block_scan_algorithmE0ELj4294967295EEENS1_25partition_config_selectorILNS1_17partition_subalgoE3EjNS0_10empty_typeEbEEZZNS1_14partition_implILS8_3ELb0ES6_jNS0_17counting_iteratorIjlEEPS9_SE_NS0_5tupleIJPjSE_EEENSF_IJSE_SE_EEES9_SG_JZNS1_25segmented_radix_sort_implINS0_14default_configELb0EPK6__halfPSL_PKlPlN2at6native12_GLOBAL__N_18offset_tEEE10hipError_tPvRmT1_PNSt15iterator_traitsISZ_E10value_typeET2_T3_PNS10_IS15_E10value_typeET4_jRbjT5_S1B_jjP12ihipStream_tbEUljE_EEESW_SX_SY_S15_S19_S1B_T6_T7_T9_mT8_S1D_bDpT10_ENKUlT_T0_E_clISt17integral_constantIbLb1EES1P_IbLb0EEEEDaS1L_S1M_EUlS1L_E_NS1_11comp_targetILNS1_3genE0ELNS1_11target_archE4294967295ELNS1_3gpuE0ELNS1_3repE0EEENS1_30default_config_static_selectorELNS0_4arch9wavefront6targetE0EEEvSZ_.has_indirect_call, 0
	.section	.AMDGPU.csdata,"",@progbits
; Kernel info:
; codeLenInByte = 0
; TotalNumSgprs: 0
; NumVgprs: 0
; ScratchSize: 0
; MemoryBound: 0
; FloatMode: 240
; IeeeMode: 1
; LDSByteSize: 0 bytes/workgroup (compile time only)
; SGPRBlocks: 0
; VGPRBlocks: 0
; NumSGPRsForWavesPerEU: 1
; NumVGPRsForWavesPerEU: 1
; Occupancy: 16
; WaveLimiterHint : 0
; COMPUTE_PGM_RSRC2:SCRATCH_EN: 0
; COMPUTE_PGM_RSRC2:USER_SGPR: 2
; COMPUTE_PGM_RSRC2:TRAP_HANDLER: 0
; COMPUTE_PGM_RSRC2:TGID_X_EN: 1
; COMPUTE_PGM_RSRC2:TGID_Y_EN: 0
; COMPUTE_PGM_RSRC2:TGID_Z_EN: 0
; COMPUTE_PGM_RSRC2:TIDIG_COMP_CNT: 0
	.section	.text._ZN7rocprim17ROCPRIM_400000_NS6detail17trampoline_kernelINS0_13select_configILj256ELj13ELNS0_17block_load_methodE3ELS4_3ELS4_3ELNS0_20block_scan_algorithmE0ELj4294967295EEENS1_25partition_config_selectorILNS1_17partition_subalgoE3EjNS0_10empty_typeEbEEZZNS1_14partition_implILS8_3ELb0ES6_jNS0_17counting_iteratorIjlEEPS9_SE_NS0_5tupleIJPjSE_EEENSF_IJSE_SE_EEES9_SG_JZNS1_25segmented_radix_sort_implINS0_14default_configELb0EPK6__halfPSL_PKlPlN2at6native12_GLOBAL__N_18offset_tEEE10hipError_tPvRmT1_PNSt15iterator_traitsISZ_E10value_typeET2_T3_PNS10_IS15_E10value_typeET4_jRbjT5_S1B_jjP12ihipStream_tbEUljE_EEESW_SX_SY_S15_S19_S1B_T6_T7_T9_mT8_S1D_bDpT10_ENKUlT_T0_E_clISt17integral_constantIbLb1EES1P_IbLb0EEEEDaS1L_S1M_EUlS1L_E_NS1_11comp_targetILNS1_3genE5ELNS1_11target_archE942ELNS1_3gpuE9ELNS1_3repE0EEENS1_30default_config_static_selectorELNS0_4arch9wavefront6targetE0EEEvSZ_,"axG",@progbits,_ZN7rocprim17ROCPRIM_400000_NS6detail17trampoline_kernelINS0_13select_configILj256ELj13ELNS0_17block_load_methodE3ELS4_3ELS4_3ELNS0_20block_scan_algorithmE0ELj4294967295EEENS1_25partition_config_selectorILNS1_17partition_subalgoE3EjNS0_10empty_typeEbEEZZNS1_14partition_implILS8_3ELb0ES6_jNS0_17counting_iteratorIjlEEPS9_SE_NS0_5tupleIJPjSE_EEENSF_IJSE_SE_EEES9_SG_JZNS1_25segmented_radix_sort_implINS0_14default_configELb0EPK6__halfPSL_PKlPlN2at6native12_GLOBAL__N_18offset_tEEE10hipError_tPvRmT1_PNSt15iterator_traitsISZ_E10value_typeET2_T3_PNS10_IS15_E10value_typeET4_jRbjT5_S1B_jjP12ihipStream_tbEUljE_EEESW_SX_SY_S15_S19_S1B_T6_T7_T9_mT8_S1D_bDpT10_ENKUlT_T0_E_clISt17integral_constantIbLb1EES1P_IbLb0EEEEDaS1L_S1M_EUlS1L_E_NS1_11comp_targetILNS1_3genE5ELNS1_11target_archE942ELNS1_3gpuE9ELNS1_3repE0EEENS1_30default_config_static_selectorELNS0_4arch9wavefront6targetE0EEEvSZ_,comdat
	.globl	_ZN7rocprim17ROCPRIM_400000_NS6detail17trampoline_kernelINS0_13select_configILj256ELj13ELNS0_17block_load_methodE3ELS4_3ELS4_3ELNS0_20block_scan_algorithmE0ELj4294967295EEENS1_25partition_config_selectorILNS1_17partition_subalgoE3EjNS0_10empty_typeEbEEZZNS1_14partition_implILS8_3ELb0ES6_jNS0_17counting_iteratorIjlEEPS9_SE_NS0_5tupleIJPjSE_EEENSF_IJSE_SE_EEES9_SG_JZNS1_25segmented_radix_sort_implINS0_14default_configELb0EPK6__halfPSL_PKlPlN2at6native12_GLOBAL__N_18offset_tEEE10hipError_tPvRmT1_PNSt15iterator_traitsISZ_E10value_typeET2_T3_PNS10_IS15_E10value_typeET4_jRbjT5_S1B_jjP12ihipStream_tbEUljE_EEESW_SX_SY_S15_S19_S1B_T6_T7_T9_mT8_S1D_bDpT10_ENKUlT_T0_E_clISt17integral_constantIbLb1EES1P_IbLb0EEEEDaS1L_S1M_EUlS1L_E_NS1_11comp_targetILNS1_3genE5ELNS1_11target_archE942ELNS1_3gpuE9ELNS1_3repE0EEENS1_30default_config_static_selectorELNS0_4arch9wavefront6targetE0EEEvSZ_ ; -- Begin function _ZN7rocprim17ROCPRIM_400000_NS6detail17trampoline_kernelINS0_13select_configILj256ELj13ELNS0_17block_load_methodE3ELS4_3ELS4_3ELNS0_20block_scan_algorithmE0ELj4294967295EEENS1_25partition_config_selectorILNS1_17partition_subalgoE3EjNS0_10empty_typeEbEEZZNS1_14partition_implILS8_3ELb0ES6_jNS0_17counting_iteratorIjlEEPS9_SE_NS0_5tupleIJPjSE_EEENSF_IJSE_SE_EEES9_SG_JZNS1_25segmented_radix_sort_implINS0_14default_configELb0EPK6__halfPSL_PKlPlN2at6native12_GLOBAL__N_18offset_tEEE10hipError_tPvRmT1_PNSt15iterator_traitsISZ_E10value_typeET2_T3_PNS10_IS15_E10value_typeET4_jRbjT5_S1B_jjP12ihipStream_tbEUljE_EEESW_SX_SY_S15_S19_S1B_T6_T7_T9_mT8_S1D_bDpT10_ENKUlT_T0_E_clISt17integral_constantIbLb1EES1P_IbLb0EEEEDaS1L_S1M_EUlS1L_E_NS1_11comp_targetILNS1_3genE5ELNS1_11target_archE942ELNS1_3gpuE9ELNS1_3repE0EEENS1_30default_config_static_selectorELNS0_4arch9wavefront6targetE0EEEvSZ_
	.p2align	8
	.type	_ZN7rocprim17ROCPRIM_400000_NS6detail17trampoline_kernelINS0_13select_configILj256ELj13ELNS0_17block_load_methodE3ELS4_3ELS4_3ELNS0_20block_scan_algorithmE0ELj4294967295EEENS1_25partition_config_selectorILNS1_17partition_subalgoE3EjNS0_10empty_typeEbEEZZNS1_14partition_implILS8_3ELb0ES6_jNS0_17counting_iteratorIjlEEPS9_SE_NS0_5tupleIJPjSE_EEENSF_IJSE_SE_EEES9_SG_JZNS1_25segmented_radix_sort_implINS0_14default_configELb0EPK6__halfPSL_PKlPlN2at6native12_GLOBAL__N_18offset_tEEE10hipError_tPvRmT1_PNSt15iterator_traitsISZ_E10value_typeET2_T3_PNS10_IS15_E10value_typeET4_jRbjT5_S1B_jjP12ihipStream_tbEUljE_EEESW_SX_SY_S15_S19_S1B_T6_T7_T9_mT8_S1D_bDpT10_ENKUlT_T0_E_clISt17integral_constantIbLb1EES1P_IbLb0EEEEDaS1L_S1M_EUlS1L_E_NS1_11comp_targetILNS1_3genE5ELNS1_11target_archE942ELNS1_3gpuE9ELNS1_3repE0EEENS1_30default_config_static_selectorELNS0_4arch9wavefront6targetE0EEEvSZ_,@function
_ZN7rocprim17ROCPRIM_400000_NS6detail17trampoline_kernelINS0_13select_configILj256ELj13ELNS0_17block_load_methodE3ELS4_3ELS4_3ELNS0_20block_scan_algorithmE0ELj4294967295EEENS1_25partition_config_selectorILNS1_17partition_subalgoE3EjNS0_10empty_typeEbEEZZNS1_14partition_implILS8_3ELb0ES6_jNS0_17counting_iteratorIjlEEPS9_SE_NS0_5tupleIJPjSE_EEENSF_IJSE_SE_EEES9_SG_JZNS1_25segmented_radix_sort_implINS0_14default_configELb0EPK6__halfPSL_PKlPlN2at6native12_GLOBAL__N_18offset_tEEE10hipError_tPvRmT1_PNSt15iterator_traitsISZ_E10value_typeET2_T3_PNS10_IS15_E10value_typeET4_jRbjT5_S1B_jjP12ihipStream_tbEUljE_EEESW_SX_SY_S15_S19_S1B_T6_T7_T9_mT8_S1D_bDpT10_ENKUlT_T0_E_clISt17integral_constantIbLb1EES1P_IbLb0EEEEDaS1L_S1M_EUlS1L_E_NS1_11comp_targetILNS1_3genE5ELNS1_11target_archE942ELNS1_3gpuE9ELNS1_3repE0EEENS1_30default_config_static_selectorELNS0_4arch9wavefront6targetE0EEEvSZ_: ; @_ZN7rocprim17ROCPRIM_400000_NS6detail17trampoline_kernelINS0_13select_configILj256ELj13ELNS0_17block_load_methodE3ELS4_3ELS4_3ELNS0_20block_scan_algorithmE0ELj4294967295EEENS1_25partition_config_selectorILNS1_17partition_subalgoE3EjNS0_10empty_typeEbEEZZNS1_14partition_implILS8_3ELb0ES6_jNS0_17counting_iteratorIjlEEPS9_SE_NS0_5tupleIJPjSE_EEENSF_IJSE_SE_EEES9_SG_JZNS1_25segmented_radix_sort_implINS0_14default_configELb0EPK6__halfPSL_PKlPlN2at6native12_GLOBAL__N_18offset_tEEE10hipError_tPvRmT1_PNSt15iterator_traitsISZ_E10value_typeET2_T3_PNS10_IS15_E10value_typeET4_jRbjT5_S1B_jjP12ihipStream_tbEUljE_EEESW_SX_SY_S15_S19_S1B_T6_T7_T9_mT8_S1D_bDpT10_ENKUlT_T0_E_clISt17integral_constantIbLb1EES1P_IbLb0EEEEDaS1L_S1M_EUlS1L_E_NS1_11comp_targetILNS1_3genE5ELNS1_11target_archE942ELNS1_3gpuE9ELNS1_3repE0EEENS1_30default_config_static_selectorELNS0_4arch9wavefront6targetE0EEEvSZ_
; %bb.0:
	.section	.rodata,"a",@progbits
	.p2align	6, 0x0
	.amdhsa_kernel _ZN7rocprim17ROCPRIM_400000_NS6detail17trampoline_kernelINS0_13select_configILj256ELj13ELNS0_17block_load_methodE3ELS4_3ELS4_3ELNS0_20block_scan_algorithmE0ELj4294967295EEENS1_25partition_config_selectorILNS1_17partition_subalgoE3EjNS0_10empty_typeEbEEZZNS1_14partition_implILS8_3ELb0ES6_jNS0_17counting_iteratorIjlEEPS9_SE_NS0_5tupleIJPjSE_EEENSF_IJSE_SE_EEES9_SG_JZNS1_25segmented_radix_sort_implINS0_14default_configELb0EPK6__halfPSL_PKlPlN2at6native12_GLOBAL__N_18offset_tEEE10hipError_tPvRmT1_PNSt15iterator_traitsISZ_E10value_typeET2_T3_PNS10_IS15_E10value_typeET4_jRbjT5_S1B_jjP12ihipStream_tbEUljE_EEESW_SX_SY_S15_S19_S1B_T6_T7_T9_mT8_S1D_bDpT10_ENKUlT_T0_E_clISt17integral_constantIbLb1EES1P_IbLb0EEEEDaS1L_S1M_EUlS1L_E_NS1_11comp_targetILNS1_3genE5ELNS1_11target_archE942ELNS1_3gpuE9ELNS1_3repE0EEENS1_30default_config_static_selectorELNS0_4arch9wavefront6targetE0EEEvSZ_
		.amdhsa_group_segment_fixed_size 0
		.amdhsa_private_segment_fixed_size 0
		.amdhsa_kernarg_size 144
		.amdhsa_user_sgpr_count 2
		.amdhsa_user_sgpr_dispatch_ptr 0
		.amdhsa_user_sgpr_queue_ptr 0
		.amdhsa_user_sgpr_kernarg_segment_ptr 1
		.amdhsa_user_sgpr_dispatch_id 0
		.amdhsa_user_sgpr_private_segment_size 0
		.amdhsa_wavefront_size32 1
		.amdhsa_uses_dynamic_stack 0
		.amdhsa_enable_private_segment 0
		.amdhsa_system_sgpr_workgroup_id_x 1
		.amdhsa_system_sgpr_workgroup_id_y 0
		.amdhsa_system_sgpr_workgroup_id_z 0
		.amdhsa_system_sgpr_workgroup_info 0
		.amdhsa_system_vgpr_workitem_id 0
		.amdhsa_next_free_vgpr 1
		.amdhsa_next_free_sgpr 1
		.amdhsa_reserve_vcc 0
		.amdhsa_float_round_mode_32 0
		.amdhsa_float_round_mode_16_64 0
		.amdhsa_float_denorm_mode_32 3
		.amdhsa_float_denorm_mode_16_64 3
		.amdhsa_fp16_overflow 0
		.amdhsa_workgroup_processor_mode 1
		.amdhsa_memory_ordered 1
		.amdhsa_forward_progress 1
		.amdhsa_inst_pref_size 0
		.amdhsa_round_robin_scheduling 0
		.amdhsa_exception_fp_ieee_invalid_op 0
		.amdhsa_exception_fp_denorm_src 0
		.amdhsa_exception_fp_ieee_div_zero 0
		.amdhsa_exception_fp_ieee_overflow 0
		.amdhsa_exception_fp_ieee_underflow 0
		.amdhsa_exception_fp_ieee_inexact 0
		.amdhsa_exception_int_div_zero 0
	.end_amdhsa_kernel
	.section	.text._ZN7rocprim17ROCPRIM_400000_NS6detail17trampoline_kernelINS0_13select_configILj256ELj13ELNS0_17block_load_methodE3ELS4_3ELS4_3ELNS0_20block_scan_algorithmE0ELj4294967295EEENS1_25partition_config_selectorILNS1_17partition_subalgoE3EjNS0_10empty_typeEbEEZZNS1_14partition_implILS8_3ELb0ES6_jNS0_17counting_iteratorIjlEEPS9_SE_NS0_5tupleIJPjSE_EEENSF_IJSE_SE_EEES9_SG_JZNS1_25segmented_radix_sort_implINS0_14default_configELb0EPK6__halfPSL_PKlPlN2at6native12_GLOBAL__N_18offset_tEEE10hipError_tPvRmT1_PNSt15iterator_traitsISZ_E10value_typeET2_T3_PNS10_IS15_E10value_typeET4_jRbjT5_S1B_jjP12ihipStream_tbEUljE_EEESW_SX_SY_S15_S19_S1B_T6_T7_T9_mT8_S1D_bDpT10_ENKUlT_T0_E_clISt17integral_constantIbLb1EES1P_IbLb0EEEEDaS1L_S1M_EUlS1L_E_NS1_11comp_targetILNS1_3genE5ELNS1_11target_archE942ELNS1_3gpuE9ELNS1_3repE0EEENS1_30default_config_static_selectorELNS0_4arch9wavefront6targetE0EEEvSZ_,"axG",@progbits,_ZN7rocprim17ROCPRIM_400000_NS6detail17trampoline_kernelINS0_13select_configILj256ELj13ELNS0_17block_load_methodE3ELS4_3ELS4_3ELNS0_20block_scan_algorithmE0ELj4294967295EEENS1_25partition_config_selectorILNS1_17partition_subalgoE3EjNS0_10empty_typeEbEEZZNS1_14partition_implILS8_3ELb0ES6_jNS0_17counting_iteratorIjlEEPS9_SE_NS0_5tupleIJPjSE_EEENSF_IJSE_SE_EEES9_SG_JZNS1_25segmented_radix_sort_implINS0_14default_configELb0EPK6__halfPSL_PKlPlN2at6native12_GLOBAL__N_18offset_tEEE10hipError_tPvRmT1_PNSt15iterator_traitsISZ_E10value_typeET2_T3_PNS10_IS15_E10value_typeET4_jRbjT5_S1B_jjP12ihipStream_tbEUljE_EEESW_SX_SY_S15_S19_S1B_T6_T7_T9_mT8_S1D_bDpT10_ENKUlT_T0_E_clISt17integral_constantIbLb1EES1P_IbLb0EEEEDaS1L_S1M_EUlS1L_E_NS1_11comp_targetILNS1_3genE5ELNS1_11target_archE942ELNS1_3gpuE9ELNS1_3repE0EEENS1_30default_config_static_selectorELNS0_4arch9wavefront6targetE0EEEvSZ_,comdat
.Lfunc_end1827:
	.size	_ZN7rocprim17ROCPRIM_400000_NS6detail17trampoline_kernelINS0_13select_configILj256ELj13ELNS0_17block_load_methodE3ELS4_3ELS4_3ELNS0_20block_scan_algorithmE0ELj4294967295EEENS1_25partition_config_selectorILNS1_17partition_subalgoE3EjNS0_10empty_typeEbEEZZNS1_14partition_implILS8_3ELb0ES6_jNS0_17counting_iteratorIjlEEPS9_SE_NS0_5tupleIJPjSE_EEENSF_IJSE_SE_EEES9_SG_JZNS1_25segmented_radix_sort_implINS0_14default_configELb0EPK6__halfPSL_PKlPlN2at6native12_GLOBAL__N_18offset_tEEE10hipError_tPvRmT1_PNSt15iterator_traitsISZ_E10value_typeET2_T3_PNS10_IS15_E10value_typeET4_jRbjT5_S1B_jjP12ihipStream_tbEUljE_EEESW_SX_SY_S15_S19_S1B_T6_T7_T9_mT8_S1D_bDpT10_ENKUlT_T0_E_clISt17integral_constantIbLb1EES1P_IbLb0EEEEDaS1L_S1M_EUlS1L_E_NS1_11comp_targetILNS1_3genE5ELNS1_11target_archE942ELNS1_3gpuE9ELNS1_3repE0EEENS1_30default_config_static_selectorELNS0_4arch9wavefront6targetE0EEEvSZ_, .Lfunc_end1827-_ZN7rocprim17ROCPRIM_400000_NS6detail17trampoline_kernelINS0_13select_configILj256ELj13ELNS0_17block_load_methodE3ELS4_3ELS4_3ELNS0_20block_scan_algorithmE0ELj4294967295EEENS1_25partition_config_selectorILNS1_17partition_subalgoE3EjNS0_10empty_typeEbEEZZNS1_14partition_implILS8_3ELb0ES6_jNS0_17counting_iteratorIjlEEPS9_SE_NS0_5tupleIJPjSE_EEENSF_IJSE_SE_EEES9_SG_JZNS1_25segmented_radix_sort_implINS0_14default_configELb0EPK6__halfPSL_PKlPlN2at6native12_GLOBAL__N_18offset_tEEE10hipError_tPvRmT1_PNSt15iterator_traitsISZ_E10value_typeET2_T3_PNS10_IS15_E10value_typeET4_jRbjT5_S1B_jjP12ihipStream_tbEUljE_EEESW_SX_SY_S15_S19_S1B_T6_T7_T9_mT8_S1D_bDpT10_ENKUlT_T0_E_clISt17integral_constantIbLb1EES1P_IbLb0EEEEDaS1L_S1M_EUlS1L_E_NS1_11comp_targetILNS1_3genE5ELNS1_11target_archE942ELNS1_3gpuE9ELNS1_3repE0EEENS1_30default_config_static_selectorELNS0_4arch9wavefront6targetE0EEEvSZ_
                                        ; -- End function
	.set _ZN7rocprim17ROCPRIM_400000_NS6detail17trampoline_kernelINS0_13select_configILj256ELj13ELNS0_17block_load_methodE3ELS4_3ELS4_3ELNS0_20block_scan_algorithmE0ELj4294967295EEENS1_25partition_config_selectorILNS1_17partition_subalgoE3EjNS0_10empty_typeEbEEZZNS1_14partition_implILS8_3ELb0ES6_jNS0_17counting_iteratorIjlEEPS9_SE_NS0_5tupleIJPjSE_EEENSF_IJSE_SE_EEES9_SG_JZNS1_25segmented_radix_sort_implINS0_14default_configELb0EPK6__halfPSL_PKlPlN2at6native12_GLOBAL__N_18offset_tEEE10hipError_tPvRmT1_PNSt15iterator_traitsISZ_E10value_typeET2_T3_PNS10_IS15_E10value_typeET4_jRbjT5_S1B_jjP12ihipStream_tbEUljE_EEESW_SX_SY_S15_S19_S1B_T6_T7_T9_mT8_S1D_bDpT10_ENKUlT_T0_E_clISt17integral_constantIbLb1EES1P_IbLb0EEEEDaS1L_S1M_EUlS1L_E_NS1_11comp_targetILNS1_3genE5ELNS1_11target_archE942ELNS1_3gpuE9ELNS1_3repE0EEENS1_30default_config_static_selectorELNS0_4arch9wavefront6targetE0EEEvSZ_.num_vgpr, 0
	.set _ZN7rocprim17ROCPRIM_400000_NS6detail17trampoline_kernelINS0_13select_configILj256ELj13ELNS0_17block_load_methodE3ELS4_3ELS4_3ELNS0_20block_scan_algorithmE0ELj4294967295EEENS1_25partition_config_selectorILNS1_17partition_subalgoE3EjNS0_10empty_typeEbEEZZNS1_14partition_implILS8_3ELb0ES6_jNS0_17counting_iteratorIjlEEPS9_SE_NS0_5tupleIJPjSE_EEENSF_IJSE_SE_EEES9_SG_JZNS1_25segmented_radix_sort_implINS0_14default_configELb0EPK6__halfPSL_PKlPlN2at6native12_GLOBAL__N_18offset_tEEE10hipError_tPvRmT1_PNSt15iterator_traitsISZ_E10value_typeET2_T3_PNS10_IS15_E10value_typeET4_jRbjT5_S1B_jjP12ihipStream_tbEUljE_EEESW_SX_SY_S15_S19_S1B_T6_T7_T9_mT8_S1D_bDpT10_ENKUlT_T0_E_clISt17integral_constantIbLb1EES1P_IbLb0EEEEDaS1L_S1M_EUlS1L_E_NS1_11comp_targetILNS1_3genE5ELNS1_11target_archE942ELNS1_3gpuE9ELNS1_3repE0EEENS1_30default_config_static_selectorELNS0_4arch9wavefront6targetE0EEEvSZ_.num_agpr, 0
	.set _ZN7rocprim17ROCPRIM_400000_NS6detail17trampoline_kernelINS0_13select_configILj256ELj13ELNS0_17block_load_methodE3ELS4_3ELS4_3ELNS0_20block_scan_algorithmE0ELj4294967295EEENS1_25partition_config_selectorILNS1_17partition_subalgoE3EjNS0_10empty_typeEbEEZZNS1_14partition_implILS8_3ELb0ES6_jNS0_17counting_iteratorIjlEEPS9_SE_NS0_5tupleIJPjSE_EEENSF_IJSE_SE_EEES9_SG_JZNS1_25segmented_radix_sort_implINS0_14default_configELb0EPK6__halfPSL_PKlPlN2at6native12_GLOBAL__N_18offset_tEEE10hipError_tPvRmT1_PNSt15iterator_traitsISZ_E10value_typeET2_T3_PNS10_IS15_E10value_typeET4_jRbjT5_S1B_jjP12ihipStream_tbEUljE_EEESW_SX_SY_S15_S19_S1B_T6_T7_T9_mT8_S1D_bDpT10_ENKUlT_T0_E_clISt17integral_constantIbLb1EES1P_IbLb0EEEEDaS1L_S1M_EUlS1L_E_NS1_11comp_targetILNS1_3genE5ELNS1_11target_archE942ELNS1_3gpuE9ELNS1_3repE0EEENS1_30default_config_static_selectorELNS0_4arch9wavefront6targetE0EEEvSZ_.numbered_sgpr, 0
	.set _ZN7rocprim17ROCPRIM_400000_NS6detail17trampoline_kernelINS0_13select_configILj256ELj13ELNS0_17block_load_methodE3ELS4_3ELS4_3ELNS0_20block_scan_algorithmE0ELj4294967295EEENS1_25partition_config_selectorILNS1_17partition_subalgoE3EjNS0_10empty_typeEbEEZZNS1_14partition_implILS8_3ELb0ES6_jNS0_17counting_iteratorIjlEEPS9_SE_NS0_5tupleIJPjSE_EEENSF_IJSE_SE_EEES9_SG_JZNS1_25segmented_radix_sort_implINS0_14default_configELb0EPK6__halfPSL_PKlPlN2at6native12_GLOBAL__N_18offset_tEEE10hipError_tPvRmT1_PNSt15iterator_traitsISZ_E10value_typeET2_T3_PNS10_IS15_E10value_typeET4_jRbjT5_S1B_jjP12ihipStream_tbEUljE_EEESW_SX_SY_S15_S19_S1B_T6_T7_T9_mT8_S1D_bDpT10_ENKUlT_T0_E_clISt17integral_constantIbLb1EES1P_IbLb0EEEEDaS1L_S1M_EUlS1L_E_NS1_11comp_targetILNS1_3genE5ELNS1_11target_archE942ELNS1_3gpuE9ELNS1_3repE0EEENS1_30default_config_static_selectorELNS0_4arch9wavefront6targetE0EEEvSZ_.num_named_barrier, 0
	.set _ZN7rocprim17ROCPRIM_400000_NS6detail17trampoline_kernelINS0_13select_configILj256ELj13ELNS0_17block_load_methodE3ELS4_3ELS4_3ELNS0_20block_scan_algorithmE0ELj4294967295EEENS1_25partition_config_selectorILNS1_17partition_subalgoE3EjNS0_10empty_typeEbEEZZNS1_14partition_implILS8_3ELb0ES6_jNS0_17counting_iteratorIjlEEPS9_SE_NS0_5tupleIJPjSE_EEENSF_IJSE_SE_EEES9_SG_JZNS1_25segmented_radix_sort_implINS0_14default_configELb0EPK6__halfPSL_PKlPlN2at6native12_GLOBAL__N_18offset_tEEE10hipError_tPvRmT1_PNSt15iterator_traitsISZ_E10value_typeET2_T3_PNS10_IS15_E10value_typeET4_jRbjT5_S1B_jjP12ihipStream_tbEUljE_EEESW_SX_SY_S15_S19_S1B_T6_T7_T9_mT8_S1D_bDpT10_ENKUlT_T0_E_clISt17integral_constantIbLb1EES1P_IbLb0EEEEDaS1L_S1M_EUlS1L_E_NS1_11comp_targetILNS1_3genE5ELNS1_11target_archE942ELNS1_3gpuE9ELNS1_3repE0EEENS1_30default_config_static_selectorELNS0_4arch9wavefront6targetE0EEEvSZ_.private_seg_size, 0
	.set _ZN7rocprim17ROCPRIM_400000_NS6detail17trampoline_kernelINS0_13select_configILj256ELj13ELNS0_17block_load_methodE3ELS4_3ELS4_3ELNS0_20block_scan_algorithmE0ELj4294967295EEENS1_25partition_config_selectorILNS1_17partition_subalgoE3EjNS0_10empty_typeEbEEZZNS1_14partition_implILS8_3ELb0ES6_jNS0_17counting_iteratorIjlEEPS9_SE_NS0_5tupleIJPjSE_EEENSF_IJSE_SE_EEES9_SG_JZNS1_25segmented_radix_sort_implINS0_14default_configELb0EPK6__halfPSL_PKlPlN2at6native12_GLOBAL__N_18offset_tEEE10hipError_tPvRmT1_PNSt15iterator_traitsISZ_E10value_typeET2_T3_PNS10_IS15_E10value_typeET4_jRbjT5_S1B_jjP12ihipStream_tbEUljE_EEESW_SX_SY_S15_S19_S1B_T6_T7_T9_mT8_S1D_bDpT10_ENKUlT_T0_E_clISt17integral_constantIbLb1EES1P_IbLb0EEEEDaS1L_S1M_EUlS1L_E_NS1_11comp_targetILNS1_3genE5ELNS1_11target_archE942ELNS1_3gpuE9ELNS1_3repE0EEENS1_30default_config_static_selectorELNS0_4arch9wavefront6targetE0EEEvSZ_.uses_vcc, 0
	.set _ZN7rocprim17ROCPRIM_400000_NS6detail17trampoline_kernelINS0_13select_configILj256ELj13ELNS0_17block_load_methodE3ELS4_3ELS4_3ELNS0_20block_scan_algorithmE0ELj4294967295EEENS1_25partition_config_selectorILNS1_17partition_subalgoE3EjNS0_10empty_typeEbEEZZNS1_14partition_implILS8_3ELb0ES6_jNS0_17counting_iteratorIjlEEPS9_SE_NS0_5tupleIJPjSE_EEENSF_IJSE_SE_EEES9_SG_JZNS1_25segmented_radix_sort_implINS0_14default_configELb0EPK6__halfPSL_PKlPlN2at6native12_GLOBAL__N_18offset_tEEE10hipError_tPvRmT1_PNSt15iterator_traitsISZ_E10value_typeET2_T3_PNS10_IS15_E10value_typeET4_jRbjT5_S1B_jjP12ihipStream_tbEUljE_EEESW_SX_SY_S15_S19_S1B_T6_T7_T9_mT8_S1D_bDpT10_ENKUlT_T0_E_clISt17integral_constantIbLb1EES1P_IbLb0EEEEDaS1L_S1M_EUlS1L_E_NS1_11comp_targetILNS1_3genE5ELNS1_11target_archE942ELNS1_3gpuE9ELNS1_3repE0EEENS1_30default_config_static_selectorELNS0_4arch9wavefront6targetE0EEEvSZ_.uses_flat_scratch, 0
	.set _ZN7rocprim17ROCPRIM_400000_NS6detail17trampoline_kernelINS0_13select_configILj256ELj13ELNS0_17block_load_methodE3ELS4_3ELS4_3ELNS0_20block_scan_algorithmE0ELj4294967295EEENS1_25partition_config_selectorILNS1_17partition_subalgoE3EjNS0_10empty_typeEbEEZZNS1_14partition_implILS8_3ELb0ES6_jNS0_17counting_iteratorIjlEEPS9_SE_NS0_5tupleIJPjSE_EEENSF_IJSE_SE_EEES9_SG_JZNS1_25segmented_radix_sort_implINS0_14default_configELb0EPK6__halfPSL_PKlPlN2at6native12_GLOBAL__N_18offset_tEEE10hipError_tPvRmT1_PNSt15iterator_traitsISZ_E10value_typeET2_T3_PNS10_IS15_E10value_typeET4_jRbjT5_S1B_jjP12ihipStream_tbEUljE_EEESW_SX_SY_S15_S19_S1B_T6_T7_T9_mT8_S1D_bDpT10_ENKUlT_T0_E_clISt17integral_constantIbLb1EES1P_IbLb0EEEEDaS1L_S1M_EUlS1L_E_NS1_11comp_targetILNS1_3genE5ELNS1_11target_archE942ELNS1_3gpuE9ELNS1_3repE0EEENS1_30default_config_static_selectorELNS0_4arch9wavefront6targetE0EEEvSZ_.has_dyn_sized_stack, 0
	.set _ZN7rocprim17ROCPRIM_400000_NS6detail17trampoline_kernelINS0_13select_configILj256ELj13ELNS0_17block_load_methodE3ELS4_3ELS4_3ELNS0_20block_scan_algorithmE0ELj4294967295EEENS1_25partition_config_selectorILNS1_17partition_subalgoE3EjNS0_10empty_typeEbEEZZNS1_14partition_implILS8_3ELb0ES6_jNS0_17counting_iteratorIjlEEPS9_SE_NS0_5tupleIJPjSE_EEENSF_IJSE_SE_EEES9_SG_JZNS1_25segmented_radix_sort_implINS0_14default_configELb0EPK6__halfPSL_PKlPlN2at6native12_GLOBAL__N_18offset_tEEE10hipError_tPvRmT1_PNSt15iterator_traitsISZ_E10value_typeET2_T3_PNS10_IS15_E10value_typeET4_jRbjT5_S1B_jjP12ihipStream_tbEUljE_EEESW_SX_SY_S15_S19_S1B_T6_T7_T9_mT8_S1D_bDpT10_ENKUlT_T0_E_clISt17integral_constantIbLb1EES1P_IbLb0EEEEDaS1L_S1M_EUlS1L_E_NS1_11comp_targetILNS1_3genE5ELNS1_11target_archE942ELNS1_3gpuE9ELNS1_3repE0EEENS1_30default_config_static_selectorELNS0_4arch9wavefront6targetE0EEEvSZ_.has_recursion, 0
	.set _ZN7rocprim17ROCPRIM_400000_NS6detail17trampoline_kernelINS0_13select_configILj256ELj13ELNS0_17block_load_methodE3ELS4_3ELS4_3ELNS0_20block_scan_algorithmE0ELj4294967295EEENS1_25partition_config_selectorILNS1_17partition_subalgoE3EjNS0_10empty_typeEbEEZZNS1_14partition_implILS8_3ELb0ES6_jNS0_17counting_iteratorIjlEEPS9_SE_NS0_5tupleIJPjSE_EEENSF_IJSE_SE_EEES9_SG_JZNS1_25segmented_radix_sort_implINS0_14default_configELb0EPK6__halfPSL_PKlPlN2at6native12_GLOBAL__N_18offset_tEEE10hipError_tPvRmT1_PNSt15iterator_traitsISZ_E10value_typeET2_T3_PNS10_IS15_E10value_typeET4_jRbjT5_S1B_jjP12ihipStream_tbEUljE_EEESW_SX_SY_S15_S19_S1B_T6_T7_T9_mT8_S1D_bDpT10_ENKUlT_T0_E_clISt17integral_constantIbLb1EES1P_IbLb0EEEEDaS1L_S1M_EUlS1L_E_NS1_11comp_targetILNS1_3genE5ELNS1_11target_archE942ELNS1_3gpuE9ELNS1_3repE0EEENS1_30default_config_static_selectorELNS0_4arch9wavefront6targetE0EEEvSZ_.has_indirect_call, 0
	.section	.AMDGPU.csdata,"",@progbits
; Kernel info:
; codeLenInByte = 0
; TotalNumSgprs: 0
; NumVgprs: 0
; ScratchSize: 0
; MemoryBound: 0
; FloatMode: 240
; IeeeMode: 1
; LDSByteSize: 0 bytes/workgroup (compile time only)
; SGPRBlocks: 0
; VGPRBlocks: 0
; NumSGPRsForWavesPerEU: 1
; NumVGPRsForWavesPerEU: 1
; Occupancy: 16
; WaveLimiterHint : 0
; COMPUTE_PGM_RSRC2:SCRATCH_EN: 0
; COMPUTE_PGM_RSRC2:USER_SGPR: 2
; COMPUTE_PGM_RSRC2:TRAP_HANDLER: 0
; COMPUTE_PGM_RSRC2:TGID_X_EN: 1
; COMPUTE_PGM_RSRC2:TGID_Y_EN: 0
; COMPUTE_PGM_RSRC2:TGID_Z_EN: 0
; COMPUTE_PGM_RSRC2:TIDIG_COMP_CNT: 0
	.section	.text._ZN7rocprim17ROCPRIM_400000_NS6detail17trampoline_kernelINS0_13select_configILj256ELj13ELNS0_17block_load_methodE3ELS4_3ELS4_3ELNS0_20block_scan_algorithmE0ELj4294967295EEENS1_25partition_config_selectorILNS1_17partition_subalgoE3EjNS0_10empty_typeEbEEZZNS1_14partition_implILS8_3ELb0ES6_jNS0_17counting_iteratorIjlEEPS9_SE_NS0_5tupleIJPjSE_EEENSF_IJSE_SE_EEES9_SG_JZNS1_25segmented_radix_sort_implINS0_14default_configELb0EPK6__halfPSL_PKlPlN2at6native12_GLOBAL__N_18offset_tEEE10hipError_tPvRmT1_PNSt15iterator_traitsISZ_E10value_typeET2_T3_PNS10_IS15_E10value_typeET4_jRbjT5_S1B_jjP12ihipStream_tbEUljE_EEESW_SX_SY_S15_S19_S1B_T6_T7_T9_mT8_S1D_bDpT10_ENKUlT_T0_E_clISt17integral_constantIbLb1EES1P_IbLb0EEEEDaS1L_S1M_EUlS1L_E_NS1_11comp_targetILNS1_3genE4ELNS1_11target_archE910ELNS1_3gpuE8ELNS1_3repE0EEENS1_30default_config_static_selectorELNS0_4arch9wavefront6targetE0EEEvSZ_,"axG",@progbits,_ZN7rocprim17ROCPRIM_400000_NS6detail17trampoline_kernelINS0_13select_configILj256ELj13ELNS0_17block_load_methodE3ELS4_3ELS4_3ELNS0_20block_scan_algorithmE0ELj4294967295EEENS1_25partition_config_selectorILNS1_17partition_subalgoE3EjNS0_10empty_typeEbEEZZNS1_14partition_implILS8_3ELb0ES6_jNS0_17counting_iteratorIjlEEPS9_SE_NS0_5tupleIJPjSE_EEENSF_IJSE_SE_EEES9_SG_JZNS1_25segmented_radix_sort_implINS0_14default_configELb0EPK6__halfPSL_PKlPlN2at6native12_GLOBAL__N_18offset_tEEE10hipError_tPvRmT1_PNSt15iterator_traitsISZ_E10value_typeET2_T3_PNS10_IS15_E10value_typeET4_jRbjT5_S1B_jjP12ihipStream_tbEUljE_EEESW_SX_SY_S15_S19_S1B_T6_T7_T9_mT8_S1D_bDpT10_ENKUlT_T0_E_clISt17integral_constantIbLb1EES1P_IbLb0EEEEDaS1L_S1M_EUlS1L_E_NS1_11comp_targetILNS1_3genE4ELNS1_11target_archE910ELNS1_3gpuE8ELNS1_3repE0EEENS1_30default_config_static_selectorELNS0_4arch9wavefront6targetE0EEEvSZ_,comdat
	.globl	_ZN7rocprim17ROCPRIM_400000_NS6detail17trampoline_kernelINS0_13select_configILj256ELj13ELNS0_17block_load_methodE3ELS4_3ELS4_3ELNS0_20block_scan_algorithmE0ELj4294967295EEENS1_25partition_config_selectorILNS1_17partition_subalgoE3EjNS0_10empty_typeEbEEZZNS1_14partition_implILS8_3ELb0ES6_jNS0_17counting_iteratorIjlEEPS9_SE_NS0_5tupleIJPjSE_EEENSF_IJSE_SE_EEES9_SG_JZNS1_25segmented_radix_sort_implINS0_14default_configELb0EPK6__halfPSL_PKlPlN2at6native12_GLOBAL__N_18offset_tEEE10hipError_tPvRmT1_PNSt15iterator_traitsISZ_E10value_typeET2_T3_PNS10_IS15_E10value_typeET4_jRbjT5_S1B_jjP12ihipStream_tbEUljE_EEESW_SX_SY_S15_S19_S1B_T6_T7_T9_mT8_S1D_bDpT10_ENKUlT_T0_E_clISt17integral_constantIbLb1EES1P_IbLb0EEEEDaS1L_S1M_EUlS1L_E_NS1_11comp_targetILNS1_3genE4ELNS1_11target_archE910ELNS1_3gpuE8ELNS1_3repE0EEENS1_30default_config_static_selectorELNS0_4arch9wavefront6targetE0EEEvSZ_ ; -- Begin function _ZN7rocprim17ROCPRIM_400000_NS6detail17trampoline_kernelINS0_13select_configILj256ELj13ELNS0_17block_load_methodE3ELS4_3ELS4_3ELNS0_20block_scan_algorithmE0ELj4294967295EEENS1_25partition_config_selectorILNS1_17partition_subalgoE3EjNS0_10empty_typeEbEEZZNS1_14partition_implILS8_3ELb0ES6_jNS0_17counting_iteratorIjlEEPS9_SE_NS0_5tupleIJPjSE_EEENSF_IJSE_SE_EEES9_SG_JZNS1_25segmented_radix_sort_implINS0_14default_configELb0EPK6__halfPSL_PKlPlN2at6native12_GLOBAL__N_18offset_tEEE10hipError_tPvRmT1_PNSt15iterator_traitsISZ_E10value_typeET2_T3_PNS10_IS15_E10value_typeET4_jRbjT5_S1B_jjP12ihipStream_tbEUljE_EEESW_SX_SY_S15_S19_S1B_T6_T7_T9_mT8_S1D_bDpT10_ENKUlT_T0_E_clISt17integral_constantIbLb1EES1P_IbLb0EEEEDaS1L_S1M_EUlS1L_E_NS1_11comp_targetILNS1_3genE4ELNS1_11target_archE910ELNS1_3gpuE8ELNS1_3repE0EEENS1_30default_config_static_selectorELNS0_4arch9wavefront6targetE0EEEvSZ_
	.p2align	8
	.type	_ZN7rocprim17ROCPRIM_400000_NS6detail17trampoline_kernelINS0_13select_configILj256ELj13ELNS0_17block_load_methodE3ELS4_3ELS4_3ELNS0_20block_scan_algorithmE0ELj4294967295EEENS1_25partition_config_selectorILNS1_17partition_subalgoE3EjNS0_10empty_typeEbEEZZNS1_14partition_implILS8_3ELb0ES6_jNS0_17counting_iteratorIjlEEPS9_SE_NS0_5tupleIJPjSE_EEENSF_IJSE_SE_EEES9_SG_JZNS1_25segmented_radix_sort_implINS0_14default_configELb0EPK6__halfPSL_PKlPlN2at6native12_GLOBAL__N_18offset_tEEE10hipError_tPvRmT1_PNSt15iterator_traitsISZ_E10value_typeET2_T3_PNS10_IS15_E10value_typeET4_jRbjT5_S1B_jjP12ihipStream_tbEUljE_EEESW_SX_SY_S15_S19_S1B_T6_T7_T9_mT8_S1D_bDpT10_ENKUlT_T0_E_clISt17integral_constantIbLb1EES1P_IbLb0EEEEDaS1L_S1M_EUlS1L_E_NS1_11comp_targetILNS1_3genE4ELNS1_11target_archE910ELNS1_3gpuE8ELNS1_3repE0EEENS1_30default_config_static_selectorELNS0_4arch9wavefront6targetE0EEEvSZ_,@function
_ZN7rocprim17ROCPRIM_400000_NS6detail17trampoline_kernelINS0_13select_configILj256ELj13ELNS0_17block_load_methodE3ELS4_3ELS4_3ELNS0_20block_scan_algorithmE0ELj4294967295EEENS1_25partition_config_selectorILNS1_17partition_subalgoE3EjNS0_10empty_typeEbEEZZNS1_14partition_implILS8_3ELb0ES6_jNS0_17counting_iteratorIjlEEPS9_SE_NS0_5tupleIJPjSE_EEENSF_IJSE_SE_EEES9_SG_JZNS1_25segmented_radix_sort_implINS0_14default_configELb0EPK6__halfPSL_PKlPlN2at6native12_GLOBAL__N_18offset_tEEE10hipError_tPvRmT1_PNSt15iterator_traitsISZ_E10value_typeET2_T3_PNS10_IS15_E10value_typeET4_jRbjT5_S1B_jjP12ihipStream_tbEUljE_EEESW_SX_SY_S15_S19_S1B_T6_T7_T9_mT8_S1D_bDpT10_ENKUlT_T0_E_clISt17integral_constantIbLb1EES1P_IbLb0EEEEDaS1L_S1M_EUlS1L_E_NS1_11comp_targetILNS1_3genE4ELNS1_11target_archE910ELNS1_3gpuE8ELNS1_3repE0EEENS1_30default_config_static_selectorELNS0_4arch9wavefront6targetE0EEEvSZ_: ; @_ZN7rocprim17ROCPRIM_400000_NS6detail17trampoline_kernelINS0_13select_configILj256ELj13ELNS0_17block_load_methodE3ELS4_3ELS4_3ELNS0_20block_scan_algorithmE0ELj4294967295EEENS1_25partition_config_selectorILNS1_17partition_subalgoE3EjNS0_10empty_typeEbEEZZNS1_14partition_implILS8_3ELb0ES6_jNS0_17counting_iteratorIjlEEPS9_SE_NS0_5tupleIJPjSE_EEENSF_IJSE_SE_EEES9_SG_JZNS1_25segmented_radix_sort_implINS0_14default_configELb0EPK6__halfPSL_PKlPlN2at6native12_GLOBAL__N_18offset_tEEE10hipError_tPvRmT1_PNSt15iterator_traitsISZ_E10value_typeET2_T3_PNS10_IS15_E10value_typeET4_jRbjT5_S1B_jjP12ihipStream_tbEUljE_EEESW_SX_SY_S15_S19_S1B_T6_T7_T9_mT8_S1D_bDpT10_ENKUlT_T0_E_clISt17integral_constantIbLb1EES1P_IbLb0EEEEDaS1L_S1M_EUlS1L_E_NS1_11comp_targetILNS1_3genE4ELNS1_11target_archE910ELNS1_3gpuE8ELNS1_3repE0EEENS1_30default_config_static_selectorELNS0_4arch9wavefront6targetE0EEEvSZ_
; %bb.0:
	.section	.rodata,"a",@progbits
	.p2align	6, 0x0
	.amdhsa_kernel _ZN7rocprim17ROCPRIM_400000_NS6detail17trampoline_kernelINS0_13select_configILj256ELj13ELNS0_17block_load_methodE3ELS4_3ELS4_3ELNS0_20block_scan_algorithmE0ELj4294967295EEENS1_25partition_config_selectorILNS1_17partition_subalgoE3EjNS0_10empty_typeEbEEZZNS1_14partition_implILS8_3ELb0ES6_jNS0_17counting_iteratorIjlEEPS9_SE_NS0_5tupleIJPjSE_EEENSF_IJSE_SE_EEES9_SG_JZNS1_25segmented_radix_sort_implINS0_14default_configELb0EPK6__halfPSL_PKlPlN2at6native12_GLOBAL__N_18offset_tEEE10hipError_tPvRmT1_PNSt15iterator_traitsISZ_E10value_typeET2_T3_PNS10_IS15_E10value_typeET4_jRbjT5_S1B_jjP12ihipStream_tbEUljE_EEESW_SX_SY_S15_S19_S1B_T6_T7_T9_mT8_S1D_bDpT10_ENKUlT_T0_E_clISt17integral_constantIbLb1EES1P_IbLb0EEEEDaS1L_S1M_EUlS1L_E_NS1_11comp_targetILNS1_3genE4ELNS1_11target_archE910ELNS1_3gpuE8ELNS1_3repE0EEENS1_30default_config_static_selectorELNS0_4arch9wavefront6targetE0EEEvSZ_
		.amdhsa_group_segment_fixed_size 0
		.amdhsa_private_segment_fixed_size 0
		.amdhsa_kernarg_size 144
		.amdhsa_user_sgpr_count 2
		.amdhsa_user_sgpr_dispatch_ptr 0
		.amdhsa_user_sgpr_queue_ptr 0
		.amdhsa_user_sgpr_kernarg_segment_ptr 1
		.amdhsa_user_sgpr_dispatch_id 0
		.amdhsa_user_sgpr_private_segment_size 0
		.amdhsa_wavefront_size32 1
		.amdhsa_uses_dynamic_stack 0
		.amdhsa_enable_private_segment 0
		.amdhsa_system_sgpr_workgroup_id_x 1
		.amdhsa_system_sgpr_workgroup_id_y 0
		.amdhsa_system_sgpr_workgroup_id_z 0
		.amdhsa_system_sgpr_workgroup_info 0
		.amdhsa_system_vgpr_workitem_id 0
		.amdhsa_next_free_vgpr 1
		.amdhsa_next_free_sgpr 1
		.amdhsa_reserve_vcc 0
		.amdhsa_float_round_mode_32 0
		.amdhsa_float_round_mode_16_64 0
		.amdhsa_float_denorm_mode_32 3
		.amdhsa_float_denorm_mode_16_64 3
		.amdhsa_fp16_overflow 0
		.amdhsa_workgroup_processor_mode 1
		.amdhsa_memory_ordered 1
		.amdhsa_forward_progress 1
		.amdhsa_inst_pref_size 0
		.amdhsa_round_robin_scheduling 0
		.amdhsa_exception_fp_ieee_invalid_op 0
		.amdhsa_exception_fp_denorm_src 0
		.amdhsa_exception_fp_ieee_div_zero 0
		.amdhsa_exception_fp_ieee_overflow 0
		.amdhsa_exception_fp_ieee_underflow 0
		.amdhsa_exception_fp_ieee_inexact 0
		.amdhsa_exception_int_div_zero 0
	.end_amdhsa_kernel
	.section	.text._ZN7rocprim17ROCPRIM_400000_NS6detail17trampoline_kernelINS0_13select_configILj256ELj13ELNS0_17block_load_methodE3ELS4_3ELS4_3ELNS0_20block_scan_algorithmE0ELj4294967295EEENS1_25partition_config_selectorILNS1_17partition_subalgoE3EjNS0_10empty_typeEbEEZZNS1_14partition_implILS8_3ELb0ES6_jNS0_17counting_iteratorIjlEEPS9_SE_NS0_5tupleIJPjSE_EEENSF_IJSE_SE_EEES9_SG_JZNS1_25segmented_radix_sort_implINS0_14default_configELb0EPK6__halfPSL_PKlPlN2at6native12_GLOBAL__N_18offset_tEEE10hipError_tPvRmT1_PNSt15iterator_traitsISZ_E10value_typeET2_T3_PNS10_IS15_E10value_typeET4_jRbjT5_S1B_jjP12ihipStream_tbEUljE_EEESW_SX_SY_S15_S19_S1B_T6_T7_T9_mT8_S1D_bDpT10_ENKUlT_T0_E_clISt17integral_constantIbLb1EES1P_IbLb0EEEEDaS1L_S1M_EUlS1L_E_NS1_11comp_targetILNS1_3genE4ELNS1_11target_archE910ELNS1_3gpuE8ELNS1_3repE0EEENS1_30default_config_static_selectorELNS0_4arch9wavefront6targetE0EEEvSZ_,"axG",@progbits,_ZN7rocprim17ROCPRIM_400000_NS6detail17trampoline_kernelINS0_13select_configILj256ELj13ELNS0_17block_load_methodE3ELS4_3ELS4_3ELNS0_20block_scan_algorithmE0ELj4294967295EEENS1_25partition_config_selectorILNS1_17partition_subalgoE3EjNS0_10empty_typeEbEEZZNS1_14partition_implILS8_3ELb0ES6_jNS0_17counting_iteratorIjlEEPS9_SE_NS0_5tupleIJPjSE_EEENSF_IJSE_SE_EEES9_SG_JZNS1_25segmented_radix_sort_implINS0_14default_configELb0EPK6__halfPSL_PKlPlN2at6native12_GLOBAL__N_18offset_tEEE10hipError_tPvRmT1_PNSt15iterator_traitsISZ_E10value_typeET2_T3_PNS10_IS15_E10value_typeET4_jRbjT5_S1B_jjP12ihipStream_tbEUljE_EEESW_SX_SY_S15_S19_S1B_T6_T7_T9_mT8_S1D_bDpT10_ENKUlT_T0_E_clISt17integral_constantIbLb1EES1P_IbLb0EEEEDaS1L_S1M_EUlS1L_E_NS1_11comp_targetILNS1_3genE4ELNS1_11target_archE910ELNS1_3gpuE8ELNS1_3repE0EEENS1_30default_config_static_selectorELNS0_4arch9wavefront6targetE0EEEvSZ_,comdat
.Lfunc_end1828:
	.size	_ZN7rocprim17ROCPRIM_400000_NS6detail17trampoline_kernelINS0_13select_configILj256ELj13ELNS0_17block_load_methodE3ELS4_3ELS4_3ELNS0_20block_scan_algorithmE0ELj4294967295EEENS1_25partition_config_selectorILNS1_17partition_subalgoE3EjNS0_10empty_typeEbEEZZNS1_14partition_implILS8_3ELb0ES6_jNS0_17counting_iteratorIjlEEPS9_SE_NS0_5tupleIJPjSE_EEENSF_IJSE_SE_EEES9_SG_JZNS1_25segmented_radix_sort_implINS0_14default_configELb0EPK6__halfPSL_PKlPlN2at6native12_GLOBAL__N_18offset_tEEE10hipError_tPvRmT1_PNSt15iterator_traitsISZ_E10value_typeET2_T3_PNS10_IS15_E10value_typeET4_jRbjT5_S1B_jjP12ihipStream_tbEUljE_EEESW_SX_SY_S15_S19_S1B_T6_T7_T9_mT8_S1D_bDpT10_ENKUlT_T0_E_clISt17integral_constantIbLb1EES1P_IbLb0EEEEDaS1L_S1M_EUlS1L_E_NS1_11comp_targetILNS1_3genE4ELNS1_11target_archE910ELNS1_3gpuE8ELNS1_3repE0EEENS1_30default_config_static_selectorELNS0_4arch9wavefront6targetE0EEEvSZ_, .Lfunc_end1828-_ZN7rocprim17ROCPRIM_400000_NS6detail17trampoline_kernelINS0_13select_configILj256ELj13ELNS0_17block_load_methodE3ELS4_3ELS4_3ELNS0_20block_scan_algorithmE0ELj4294967295EEENS1_25partition_config_selectorILNS1_17partition_subalgoE3EjNS0_10empty_typeEbEEZZNS1_14partition_implILS8_3ELb0ES6_jNS0_17counting_iteratorIjlEEPS9_SE_NS0_5tupleIJPjSE_EEENSF_IJSE_SE_EEES9_SG_JZNS1_25segmented_radix_sort_implINS0_14default_configELb0EPK6__halfPSL_PKlPlN2at6native12_GLOBAL__N_18offset_tEEE10hipError_tPvRmT1_PNSt15iterator_traitsISZ_E10value_typeET2_T3_PNS10_IS15_E10value_typeET4_jRbjT5_S1B_jjP12ihipStream_tbEUljE_EEESW_SX_SY_S15_S19_S1B_T6_T7_T9_mT8_S1D_bDpT10_ENKUlT_T0_E_clISt17integral_constantIbLb1EES1P_IbLb0EEEEDaS1L_S1M_EUlS1L_E_NS1_11comp_targetILNS1_3genE4ELNS1_11target_archE910ELNS1_3gpuE8ELNS1_3repE0EEENS1_30default_config_static_selectorELNS0_4arch9wavefront6targetE0EEEvSZ_
                                        ; -- End function
	.set _ZN7rocprim17ROCPRIM_400000_NS6detail17trampoline_kernelINS0_13select_configILj256ELj13ELNS0_17block_load_methodE3ELS4_3ELS4_3ELNS0_20block_scan_algorithmE0ELj4294967295EEENS1_25partition_config_selectorILNS1_17partition_subalgoE3EjNS0_10empty_typeEbEEZZNS1_14partition_implILS8_3ELb0ES6_jNS0_17counting_iteratorIjlEEPS9_SE_NS0_5tupleIJPjSE_EEENSF_IJSE_SE_EEES9_SG_JZNS1_25segmented_radix_sort_implINS0_14default_configELb0EPK6__halfPSL_PKlPlN2at6native12_GLOBAL__N_18offset_tEEE10hipError_tPvRmT1_PNSt15iterator_traitsISZ_E10value_typeET2_T3_PNS10_IS15_E10value_typeET4_jRbjT5_S1B_jjP12ihipStream_tbEUljE_EEESW_SX_SY_S15_S19_S1B_T6_T7_T9_mT8_S1D_bDpT10_ENKUlT_T0_E_clISt17integral_constantIbLb1EES1P_IbLb0EEEEDaS1L_S1M_EUlS1L_E_NS1_11comp_targetILNS1_3genE4ELNS1_11target_archE910ELNS1_3gpuE8ELNS1_3repE0EEENS1_30default_config_static_selectorELNS0_4arch9wavefront6targetE0EEEvSZ_.num_vgpr, 0
	.set _ZN7rocprim17ROCPRIM_400000_NS6detail17trampoline_kernelINS0_13select_configILj256ELj13ELNS0_17block_load_methodE3ELS4_3ELS4_3ELNS0_20block_scan_algorithmE0ELj4294967295EEENS1_25partition_config_selectorILNS1_17partition_subalgoE3EjNS0_10empty_typeEbEEZZNS1_14partition_implILS8_3ELb0ES6_jNS0_17counting_iteratorIjlEEPS9_SE_NS0_5tupleIJPjSE_EEENSF_IJSE_SE_EEES9_SG_JZNS1_25segmented_radix_sort_implINS0_14default_configELb0EPK6__halfPSL_PKlPlN2at6native12_GLOBAL__N_18offset_tEEE10hipError_tPvRmT1_PNSt15iterator_traitsISZ_E10value_typeET2_T3_PNS10_IS15_E10value_typeET4_jRbjT5_S1B_jjP12ihipStream_tbEUljE_EEESW_SX_SY_S15_S19_S1B_T6_T7_T9_mT8_S1D_bDpT10_ENKUlT_T0_E_clISt17integral_constantIbLb1EES1P_IbLb0EEEEDaS1L_S1M_EUlS1L_E_NS1_11comp_targetILNS1_3genE4ELNS1_11target_archE910ELNS1_3gpuE8ELNS1_3repE0EEENS1_30default_config_static_selectorELNS0_4arch9wavefront6targetE0EEEvSZ_.num_agpr, 0
	.set _ZN7rocprim17ROCPRIM_400000_NS6detail17trampoline_kernelINS0_13select_configILj256ELj13ELNS0_17block_load_methodE3ELS4_3ELS4_3ELNS0_20block_scan_algorithmE0ELj4294967295EEENS1_25partition_config_selectorILNS1_17partition_subalgoE3EjNS0_10empty_typeEbEEZZNS1_14partition_implILS8_3ELb0ES6_jNS0_17counting_iteratorIjlEEPS9_SE_NS0_5tupleIJPjSE_EEENSF_IJSE_SE_EEES9_SG_JZNS1_25segmented_radix_sort_implINS0_14default_configELb0EPK6__halfPSL_PKlPlN2at6native12_GLOBAL__N_18offset_tEEE10hipError_tPvRmT1_PNSt15iterator_traitsISZ_E10value_typeET2_T3_PNS10_IS15_E10value_typeET4_jRbjT5_S1B_jjP12ihipStream_tbEUljE_EEESW_SX_SY_S15_S19_S1B_T6_T7_T9_mT8_S1D_bDpT10_ENKUlT_T0_E_clISt17integral_constantIbLb1EES1P_IbLb0EEEEDaS1L_S1M_EUlS1L_E_NS1_11comp_targetILNS1_3genE4ELNS1_11target_archE910ELNS1_3gpuE8ELNS1_3repE0EEENS1_30default_config_static_selectorELNS0_4arch9wavefront6targetE0EEEvSZ_.numbered_sgpr, 0
	.set _ZN7rocprim17ROCPRIM_400000_NS6detail17trampoline_kernelINS0_13select_configILj256ELj13ELNS0_17block_load_methodE3ELS4_3ELS4_3ELNS0_20block_scan_algorithmE0ELj4294967295EEENS1_25partition_config_selectorILNS1_17partition_subalgoE3EjNS0_10empty_typeEbEEZZNS1_14partition_implILS8_3ELb0ES6_jNS0_17counting_iteratorIjlEEPS9_SE_NS0_5tupleIJPjSE_EEENSF_IJSE_SE_EEES9_SG_JZNS1_25segmented_radix_sort_implINS0_14default_configELb0EPK6__halfPSL_PKlPlN2at6native12_GLOBAL__N_18offset_tEEE10hipError_tPvRmT1_PNSt15iterator_traitsISZ_E10value_typeET2_T3_PNS10_IS15_E10value_typeET4_jRbjT5_S1B_jjP12ihipStream_tbEUljE_EEESW_SX_SY_S15_S19_S1B_T6_T7_T9_mT8_S1D_bDpT10_ENKUlT_T0_E_clISt17integral_constantIbLb1EES1P_IbLb0EEEEDaS1L_S1M_EUlS1L_E_NS1_11comp_targetILNS1_3genE4ELNS1_11target_archE910ELNS1_3gpuE8ELNS1_3repE0EEENS1_30default_config_static_selectorELNS0_4arch9wavefront6targetE0EEEvSZ_.num_named_barrier, 0
	.set _ZN7rocprim17ROCPRIM_400000_NS6detail17trampoline_kernelINS0_13select_configILj256ELj13ELNS0_17block_load_methodE3ELS4_3ELS4_3ELNS0_20block_scan_algorithmE0ELj4294967295EEENS1_25partition_config_selectorILNS1_17partition_subalgoE3EjNS0_10empty_typeEbEEZZNS1_14partition_implILS8_3ELb0ES6_jNS0_17counting_iteratorIjlEEPS9_SE_NS0_5tupleIJPjSE_EEENSF_IJSE_SE_EEES9_SG_JZNS1_25segmented_radix_sort_implINS0_14default_configELb0EPK6__halfPSL_PKlPlN2at6native12_GLOBAL__N_18offset_tEEE10hipError_tPvRmT1_PNSt15iterator_traitsISZ_E10value_typeET2_T3_PNS10_IS15_E10value_typeET4_jRbjT5_S1B_jjP12ihipStream_tbEUljE_EEESW_SX_SY_S15_S19_S1B_T6_T7_T9_mT8_S1D_bDpT10_ENKUlT_T0_E_clISt17integral_constantIbLb1EES1P_IbLb0EEEEDaS1L_S1M_EUlS1L_E_NS1_11comp_targetILNS1_3genE4ELNS1_11target_archE910ELNS1_3gpuE8ELNS1_3repE0EEENS1_30default_config_static_selectorELNS0_4arch9wavefront6targetE0EEEvSZ_.private_seg_size, 0
	.set _ZN7rocprim17ROCPRIM_400000_NS6detail17trampoline_kernelINS0_13select_configILj256ELj13ELNS0_17block_load_methodE3ELS4_3ELS4_3ELNS0_20block_scan_algorithmE0ELj4294967295EEENS1_25partition_config_selectorILNS1_17partition_subalgoE3EjNS0_10empty_typeEbEEZZNS1_14partition_implILS8_3ELb0ES6_jNS0_17counting_iteratorIjlEEPS9_SE_NS0_5tupleIJPjSE_EEENSF_IJSE_SE_EEES9_SG_JZNS1_25segmented_radix_sort_implINS0_14default_configELb0EPK6__halfPSL_PKlPlN2at6native12_GLOBAL__N_18offset_tEEE10hipError_tPvRmT1_PNSt15iterator_traitsISZ_E10value_typeET2_T3_PNS10_IS15_E10value_typeET4_jRbjT5_S1B_jjP12ihipStream_tbEUljE_EEESW_SX_SY_S15_S19_S1B_T6_T7_T9_mT8_S1D_bDpT10_ENKUlT_T0_E_clISt17integral_constantIbLb1EES1P_IbLb0EEEEDaS1L_S1M_EUlS1L_E_NS1_11comp_targetILNS1_3genE4ELNS1_11target_archE910ELNS1_3gpuE8ELNS1_3repE0EEENS1_30default_config_static_selectorELNS0_4arch9wavefront6targetE0EEEvSZ_.uses_vcc, 0
	.set _ZN7rocprim17ROCPRIM_400000_NS6detail17trampoline_kernelINS0_13select_configILj256ELj13ELNS0_17block_load_methodE3ELS4_3ELS4_3ELNS0_20block_scan_algorithmE0ELj4294967295EEENS1_25partition_config_selectorILNS1_17partition_subalgoE3EjNS0_10empty_typeEbEEZZNS1_14partition_implILS8_3ELb0ES6_jNS0_17counting_iteratorIjlEEPS9_SE_NS0_5tupleIJPjSE_EEENSF_IJSE_SE_EEES9_SG_JZNS1_25segmented_radix_sort_implINS0_14default_configELb0EPK6__halfPSL_PKlPlN2at6native12_GLOBAL__N_18offset_tEEE10hipError_tPvRmT1_PNSt15iterator_traitsISZ_E10value_typeET2_T3_PNS10_IS15_E10value_typeET4_jRbjT5_S1B_jjP12ihipStream_tbEUljE_EEESW_SX_SY_S15_S19_S1B_T6_T7_T9_mT8_S1D_bDpT10_ENKUlT_T0_E_clISt17integral_constantIbLb1EES1P_IbLb0EEEEDaS1L_S1M_EUlS1L_E_NS1_11comp_targetILNS1_3genE4ELNS1_11target_archE910ELNS1_3gpuE8ELNS1_3repE0EEENS1_30default_config_static_selectorELNS0_4arch9wavefront6targetE0EEEvSZ_.uses_flat_scratch, 0
	.set _ZN7rocprim17ROCPRIM_400000_NS6detail17trampoline_kernelINS0_13select_configILj256ELj13ELNS0_17block_load_methodE3ELS4_3ELS4_3ELNS0_20block_scan_algorithmE0ELj4294967295EEENS1_25partition_config_selectorILNS1_17partition_subalgoE3EjNS0_10empty_typeEbEEZZNS1_14partition_implILS8_3ELb0ES6_jNS0_17counting_iteratorIjlEEPS9_SE_NS0_5tupleIJPjSE_EEENSF_IJSE_SE_EEES9_SG_JZNS1_25segmented_radix_sort_implINS0_14default_configELb0EPK6__halfPSL_PKlPlN2at6native12_GLOBAL__N_18offset_tEEE10hipError_tPvRmT1_PNSt15iterator_traitsISZ_E10value_typeET2_T3_PNS10_IS15_E10value_typeET4_jRbjT5_S1B_jjP12ihipStream_tbEUljE_EEESW_SX_SY_S15_S19_S1B_T6_T7_T9_mT8_S1D_bDpT10_ENKUlT_T0_E_clISt17integral_constantIbLb1EES1P_IbLb0EEEEDaS1L_S1M_EUlS1L_E_NS1_11comp_targetILNS1_3genE4ELNS1_11target_archE910ELNS1_3gpuE8ELNS1_3repE0EEENS1_30default_config_static_selectorELNS0_4arch9wavefront6targetE0EEEvSZ_.has_dyn_sized_stack, 0
	.set _ZN7rocprim17ROCPRIM_400000_NS6detail17trampoline_kernelINS0_13select_configILj256ELj13ELNS0_17block_load_methodE3ELS4_3ELS4_3ELNS0_20block_scan_algorithmE0ELj4294967295EEENS1_25partition_config_selectorILNS1_17partition_subalgoE3EjNS0_10empty_typeEbEEZZNS1_14partition_implILS8_3ELb0ES6_jNS0_17counting_iteratorIjlEEPS9_SE_NS0_5tupleIJPjSE_EEENSF_IJSE_SE_EEES9_SG_JZNS1_25segmented_radix_sort_implINS0_14default_configELb0EPK6__halfPSL_PKlPlN2at6native12_GLOBAL__N_18offset_tEEE10hipError_tPvRmT1_PNSt15iterator_traitsISZ_E10value_typeET2_T3_PNS10_IS15_E10value_typeET4_jRbjT5_S1B_jjP12ihipStream_tbEUljE_EEESW_SX_SY_S15_S19_S1B_T6_T7_T9_mT8_S1D_bDpT10_ENKUlT_T0_E_clISt17integral_constantIbLb1EES1P_IbLb0EEEEDaS1L_S1M_EUlS1L_E_NS1_11comp_targetILNS1_3genE4ELNS1_11target_archE910ELNS1_3gpuE8ELNS1_3repE0EEENS1_30default_config_static_selectorELNS0_4arch9wavefront6targetE0EEEvSZ_.has_recursion, 0
	.set _ZN7rocprim17ROCPRIM_400000_NS6detail17trampoline_kernelINS0_13select_configILj256ELj13ELNS0_17block_load_methodE3ELS4_3ELS4_3ELNS0_20block_scan_algorithmE0ELj4294967295EEENS1_25partition_config_selectorILNS1_17partition_subalgoE3EjNS0_10empty_typeEbEEZZNS1_14partition_implILS8_3ELb0ES6_jNS0_17counting_iteratorIjlEEPS9_SE_NS0_5tupleIJPjSE_EEENSF_IJSE_SE_EEES9_SG_JZNS1_25segmented_radix_sort_implINS0_14default_configELb0EPK6__halfPSL_PKlPlN2at6native12_GLOBAL__N_18offset_tEEE10hipError_tPvRmT1_PNSt15iterator_traitsISZ_E10value_typeET2_T3_PNS10_IS15_E10value_typeET4_jRbjT5_S1B_jjP12ihipStream_tbEUljE_EEESW_SX_SY_S15_S19_S1B_T6_T7_T9_mT8_S1D_bDpT10_ENKUlT_T0_E_clISt17integral_constantIbLb1EES1P_IbLb0EEEEDaS1L_S1M_EUlS1L_E_NS1_11comp_targetILNS1_3genE4ELNS1_11target_archE910ELNS1_3gpuE8ELNS1_3repE0EEENS1_30default_config_static_selectorELNS0_4arch9wavefront6targetE0EEEvSZ_.has_indirect_call, 0
	.section	.AMDGPU.csdata,"",@progbits
; Kernel info:
; codeLenInByte = 0
; TotalNumSgprs: 0
; NumVgprs: 0
; ScratchSize: 0
; MemoryBound: 0
; FloatMode: 240
; IeeeMode: 1
; LDSByteSize: 0 bytes/workgroup (compile time only)
; SGPRBlocks: 0
; VGPRBlocks: 0
; NumSGPRsForWavesPerEU: 1
; NumVGPRsForWavesPerEU: 1
; Occupancy: 16
; WaveLimiterHint : 0
; COMPUTE_PGM_RSRC2:SCRATCH_EN: 0
; COMPUTE_PGM_RSRC2:USER_SGPR: 2
; COMPUTE_PGM_RSRC2:TRAP_HANDLER: 0
; COMPUTE_PGM_RSRC2:TGID_X_EN: 1
; COMPUTE_PGM_RSRC2:TGID_Y_EN: 0
; COMPUTE_PGM_RSRC2:TGID_Z_EN: 0
; COMPUTE_PGM_RSRC2:TIDIG_COMP_CNT: 0
	.section	.text._ZN7rocprim17ROCPRIM_400000_NS6detail17trampoline_kernelINS0_13select_configILj256ELj13ELNS0_17block_load_methodE3ELS4_3ELS4_3ELNS0_20block_scan_algorithmE0ELj4294967295EEENS1_25partition_config_selectorILNS1_17partition_subalgoE3EjNS0_10empty_typeEbEEZZNS1_14partition_implILS8_3ELb0ES6_jNS0_17counting_iteratorIjlEEPS9_SE_NS0_5tupleIJPjSE_EEENSF_IJSE_SE_EEES9_SG_JZNS1_25segmented_radix_sort_implINS0_14default_configELb0EPK6__halfPSL_PKlPlN2at6native12_GLOBAL__N_18offset_tEEE10hipError_tPvRmT1_PNSt15iterator_traitsISZ_E10value_typeET2_T3_PNS10_IS15_E10value_typeET4_jRbjT5_S1B_jjP12ihipStream_tbEUljE_EEESW_SX_SY_S15_S19_S1B_T6_T7_T9_mT8_S1D_bDpT10_ENKUlT_T0_E_clISt17integral_constantIbLb1EES1P_IbLb0EEEEDaS1L_S1M_EUlS1L_E_NS1_11comp_targetILNS1_3genE3ELNS1_11target_archE908ELNS1_3gpuE7ELNS1_3repE0EEENS1_30default_config_static_selectorELNS0_4arch9wavefront6targetE0EEEvSZ_,"axG",@progbits,_ZN7rocprim17ROCPRIM_400000_NS6detail17trampoline_kernelINS0_13select_configILj256ELj13ELNS0_17block_load_methodE3ELS4_3ELS4_3ELNS0_20block_scan_algorithmE0ELj4294967295EEENS1_25partition_config_selectorILNS1_17partition_subalgoE3EjNS0_10empty_typeEbEEZZNS1_14partition_implILS8_3ELb0ES6_jNS0_17counting_iteratorIjlEEPS9_SE_NS0_5tupleIJPjSE_EEENSF_IJSE_SE_EEES9_SG_JZNS1_25segmented_radix_sort_implINS0_14default_configELb0EPK6__halfPSL_PKlPlN2at6native12_GLOBAL__N_18offset_tEEE10hipError_tPvRmT1_PNSt15iterator_traitsISZ_E10value_typeET2_T3_PNS10_IS15_E10value_typeET4_jRbjT5_S1B_jjP12ihipStream_tbEUljE_EEESW_SX_SY_S15_S19_S1B_T6_T7_T9_mT8_S1D_bDpT10_ENKUlT_T0_E_clISt17integral_constantIbLb1EES1P_IbLb0EEEEDaS1L_S1M_EUlS1L_E_NS1_11comp_targetILNS1_3genE3ELNS1_11target_archE908ELNS1_3gpuE7ELNS1_3repE0EEENS1_30default_config_static_selectorELNS0_4arch9wavefront6targetE0EEEvSZ_,comdat
	.globl	_ZN7rocprim17ROCPRIM_400000_NS6detail17trampoline_kernelINS0_13select_configILj256ELj13ELNS0_17block_load_methodE3ELS4_3ELS4_3ELNS0_20block_scan_algorithmE0ELj4294967295EEENS1_25partition_config_selectorILNS1_17partition_subalgoE3EjNS0_10empty_typeEbEEZZNS1_14partition_implILS8_3ELb0ES6_jNS0_17counting_iteratorIjlEEPS9_SE_NS0_5tupleIJPjSE_EEENSF_IJSE_SE_EEES9_SG_JZNS1_25segmented_radix_sort_implINS0_14default_configELb0EPK6__halfPSL_PKlPlN2at6native12_GLOBAL__N_18offset_tEEE10hipError_tPvRmT1_PNSt15iterator_traitsISZ_E10value_typeET2_T3_PNS10_IS15_E10value_typeET4_jRbjT5_S1B_jjP12ihipStream_tbEUljE_EEESW_SX_SY_S15_S19_S1B_T6_T7_T9_mT8_S1D_bDpT10_ENKUlT_T0_E_clISt17integral_constantIbLb1EES1P_IbLb0EEEEDaS1L_S1M_EUlS1L_E_NS1_11comp_targetILNS1_3genE3ELNS1_11target_archE908ELNS1_3gpuE7ELNS1_3repE0EEENS1_30default_config_static_selectorELNS0_4arch9wavefront6targetE0EEEvSZ_ ; -- Begin function _ZN7rocprim17ROCPRIM_400000_NS6detail17trampoline_kernelINS0_13select_configILj256ELj13ELNS0_17block_load_methodE3ELS4_3ELS4_3ELNS0_20block_scan_algorithmE0ELj4294967295EEENS1_25partition_config_selectorILNS1_17partition_subalgoE3EjNS0_10empty_typeEbEEZZNS1_14partition_implILS8_3ELb0ES6_jNS0_17counting_iteratorIjlEEPS9_SE_NS0_5tupleIJPjSE_EEENSF_IJSE_SE_EEES9_SG_JZNS1_25segmented_radix_sort_implINS0_14default_configELb0EPK6__halfPSL_PKlPlN2at6native12_GLOBAL__N_18offset_tEEE10hipError_tPvRmT1_PNSt15iterator_traitsISZ_E10value_typeET2_T3_PNS10_IS15_E10value_typeET4_jRbjT5_S1B_jjP12ihipStream_tbEUljE_EEESW_SX_SY_S15_S19_S1B_T6_T7_T9_mT8_S1D_bDpT10_ENKUlT_T0_E_clISt17integral_constantIbLb1EES1P_IbLb0EEEEDaS1L_S1M_EUlS1L_E_NS1_11comp_targetILNS1_3genE3ELNS1_11target_archE908ELNS1_3gpuE7ELNS1_3repE0EEENS1_30default_config_static_selectorELNS0_4arch9wavefront6targetE0EEEvSZ_
	.p2align	8
	.type	_ZN7rocprim17ROCPRIM_400000_NS6detail17trampoline_kernelINS0_13select_configILj256ELj13ELNS0_17block_load_methodE3ELS4_3ELS4_3ELNS0_20block_scan_algorithmE0ELj4294967295EEENS1_25partition_config_selectorILNS1_17partition_subalgoE3EjNS0_10empty_typeEbEEZZNS1_14partition_implILS8_3ELb0ES6_jNS0_17counting_iteratorIjlEEPS9_SE_NS0_5tupleIJPjSE_EEENSF_IJSE_SE_EEES9_SG_JZNS1_25segmented_radix_sort_implINS0_14default_configELb0EPK6__halfPSL_PKlPlN2at6native12_GLOBAL__N_18offset_tEEE10hipError_tPvRmT1_PNSt15iterator_traitsISZ_E10value_typeET2_T3_PNS10_IS15_E10value_typeET4_jRbjT5_S1B_jjP12ihipStream_tbEUljE_EEESW_SX_SY_S15_S19_S1B_T6_T7_T9_mT8_S1D_bDpT10_ENKUlT_T0_E_clISt17integral_constantIbLb1EES1P_IbLb0EEEEDaS1L_S1M_EUlS1L_E_NS1_11comp_targetILNS1_3genE3ELNS1_11target_archE908ELNS1_3gpuE7ELNS1_3repE0EEENS1_30default_config_static_selectorELNS0_4arch9wavefront6targetE0EEEvSZ_,@function
_ZN7rocprim17ROCPRIM_400000_NS6detail17trampoline_kernelINS0_13select_configILj256ELj13ELNS0_17block_load_methodE3ELS4_3ELS4_3ELNS0_20block_scan_algorithmE0ELj4294967295EEENS1_25partition_config_selectorILNS1_17partition_subalgoE3EjNS0_10empty_typeEbEEZZNS1_14partition_implILS8_3ELb0ES6_jNS0_17counting_iteratorIjlEEPS9_SE_NS0_5tupleIJPjSE_EEENSF_IJSE_SE_EEES9_SG_JZNS1_25segmented_radix_sort_implINS0_14default_configELb0EPK6__halfPSL_PKlPlN2at6native12_GLOBAL__N_18offset_tEEE10hipError_tPvRmT1_PNSt15iterator_traitsISZ_E10value_typeET2_T3_PNS10_IS15_E10value_typeET4_jRbjT5_S1B_jjP12ihipStream_tbEUljE_EEESW_SX_SY_S15_S19_S1B_T6_T7_T9_mT8_S1D_bDpT10_ENKUlT_T0_E_clISt17integral_constantIbLb1EES1P_IbLb0EEEEDaS1L_S1M_EUlS1L_E_NS1_11comp_targetILNS1_3genE3ELNS1_11target_archE908ELNS1_3gpuE7ELNS1_3repE0EEENS1_30default_config_static_selectorELNS0_4arch9wavefront6targetE0EEEvSZ_: ; @_ZN7rocprim17ROCPRIM_400000_NS6detail17trampoline_kernelINS0_13select_configILj256ELj13ELNS0_17block_load_methodE3ELS4_3ELS4_3ELNS0_20block_scan_algorithmE0ELj4294967295EEENS1_25partition_config_selectorILNS1_17partition_subalgoE3EjNS0_10empty_typeEbEEZZNS1_14partition_implILS8_3ELb0ES6_jNS0_17counting_iteratorIjlEEPS9_SE_NS0_5tupleIJPjSE_EEENSF_IJSE_SE_EEES9_SG_JZNS1_25segmented_radix_sort_implINS0_14default_configELb0EPK6__halfPSL_PKlPlN2at6native12_GLOBAL__N_18offset_tEEE10hipError_tPvRmT1_PNSt15iterator_traitsISZ_E10value_typeET2_T3_PNS10_IS15_E10value_typeET4_jRbjT5_S1B_jjP12ihipStream_tbEUljE_EEESW_SX_SY_S15_S19_S1B_T6_T7_T9_mT8_S1D_bDpT10_ENKUlT_T0_E_clISt17integral_constantIbLb1EES1P_IbLb0EEEEDaS1L_S1M_EUlS1L_E_NS1_11comp_targetILNS1_3genE3ELNS1_11target_archE908ELNS1_3gpuE7ELNS1_3repE0EEENS1_30default_config_static_selectorELNS0_4arch9wavefront6targetE0EEEvSZ_
; %bb.0:
	.section	.rodata,"a",@progbits
	.p2align	6, 0x0
	.amdhsa_kernel _ZN7rocprim17ROCPRIM_400000_NS6detail17trampoline_kernelINS0_13select_configILj256ELj13ELNS0_17block_load_methodE3ELS4_3ELS4_3ELNS0_20block_scan_algorithmE0ELj4294967295EEENS1_25partition_config_selectorILNS1_17partition_subalgoE3EjNS0_10empty_typeEbEEZZNS1_14partition_implILS8_3ELb0ES6_jNS0_17counting_iteratorIjlEEPS9_SE_NS0_5tupleIJPjSE_EEENSF_IJSE_SE_EEES9_SG_JZNS1_25segmented_radix_sort_implINS0_14default_configELb0EPK6__halfPSL_PKlPlN2at6native12_GLOBAL__N_18offset_tEEE10hipError_tPvRmT1_PNSt15iterator_traitsISZ_E10value_typeET2_T3_PNS10_IS15_E10value_typeET4_jRbjT5_S1B_jjP12ihipStream_tbEUljE_EEESW_SX_SY_S15_S19_S1B_T6_T7_T9_mT8_S1D_bDpT10_ENKUlT_T0_E_clISt17integral_constantIbLb1EES1P_IbLb0EEEEDaS1L_S1M_EUlS1L_E_NS1_11comp_targetILNS1_3genE3ELNS1_11target_archE908ELNS1_3gpuE7ELNS1_3repE0EEENS1_30default_config_static_selectorELNS0_4arch9wavefront6targetE0EEEvSZ_
		.amdhsa_group_segment_fixed_size 0
		.amdhsa_private_segment_fixed_size 0
		.amdhsa_kernarg_size 144
		.amdhsa_user_sgpr_count 2
		.amdhsa_user_sgpr_dispatch_ptr 0
		.amdhsa_user_sgpr_queue_ptr 0
		.amdhsa_user_sgpr_kernarg_segment_ptr 1
		.amdhsa_user_sgpr_dispatch_id 0
		.amdhsa_user_sgpr_private_segment_size 0
		.amdhsa_wavefront_size32 1
		.amdhsa_uses_dynamic_stack 0
		.amdhsa_enable_private_segment 0
		.amdhsa_system_sgpr_workgroup_id_x 1
		.amdhsa_system_sgpr_workgroup_id_y 0
		.amdhsa_system_sgpr_workgroup_id_z 0
		.amdhsa_system_sgpr_workgroup_info 0
		.amdhsa_system_vgpr_workitem_id 0
		.amdhsa_next_free_vgpr 1
		.amdhsa_next_free_sgpr 1
		.amdhsa_reserve_vcc 0
		.amdhsa_float_round_mode_32 0
		.amdhsa_float_round_mode_16_64 0
		.amdhsa_float_denorm_mode_32 3
		.amdhsa_float_denorm_mode_16_64 3
		.amdhsa_fp16_overflow 0
		.amdhsa_workgroup_processor_mode 1
		.amdhsa_memory_ordered 1
		.amdhsa_forward_progress 1
		.amdhsa_inst_pref_size 0
		.amdhsa_round_robin_scheduling 0
		.amdhsa_exception_fp_ieee_invalid_op 0
		.amdhsa_exception_fp_denorm_src 0
		.amdhsa_exception_fp_ieee_div_zero 0
		.amdhsa_exception_fp_ieee_overflow 0
		.amdhsa_exception_fp_ieee_underflow 0
		.amdhsa_exception_fp_ieee_inexact 0
		.amdhsa_exception_int_div_zero 0
	.end_amdhsa_kernel
	.section	.text._ZN7rocprim17ROCPRIM_400000_NS6detail17trampoline_kernelINS0_13select_configILj256ELj13ELNS0_17block_load_methodE3ELS4_3ELS4_3ELNS0_20block_scan_algorithmE0ELj4294967295EEENS1_25partition_config_selectorILNS1_17partition_subalgoE3EjNS0_10empty_typeEbEEZZNS1_14partition_implILS8_3ELb0ES6_jNS0_17counting_iteratorIjlEEPS9_SE_NS0_5tupleIJPjSE_EEENSF_IJSE_SE_EEES9_SG_JZNS1_25segmented_radix_sort_implINS0_14default_configELb0EPK6__halfPSL_PKlPlN2at6native12_GLOBAL__N_18offset_tEEE10hipError_tPvRmT1_PNSt15iterator_traitsISZ_E10value_typeET2_T3_PNS10_IS15_E10value_typeET4_jRbjT5_S1B_jjP12ihipStream_tbEUljE_EEESW_SX_SY_S15_S19_S1B_T6_T7_T9_mT8_S1D_bDpT10_ENKUlT_T0_E_clISt17integral_constantIbLb1EES1P_IbLb0EEEEDaS1L_S1M_EUlS1L_E_NS1_11comp_targetILNS1_3genE3ELNS1_11target_archE908ELNS1_3gpuE7ELNS1_3repE0EEENS1_30default_config_static_selectorELNS0_4arch9wavefront6targetE0EEEvSZ_,"axG",@progbits,_ZN7rocprim17ROCPRIM_400000_NS6detail17trampoline_kernelINS0_13select_configILj256ELj13ELNS0_17block_load_methodE3ELS4_3ELS4_3ELNS0_20block_scan_algorithmE0ELj4294967295EEENS1_25partition_config_selectorILNS1_17partition_subalgoE3EjNS0_10empty_typeEbEEZZNS1_14partition_implILS8_3ELb0ES6_jNS0_17counting_iteratorIjlEEPS9_SE_NS0_5tupleIJPjSE_EEENSF_IJSE_SE_EEES9_SG_JZNS1_25segmented_radix_sort_implINS0_14default_configELb0EPK6__halfPSL_PKlPlN2at6native12_GLOBAL__N_18offset_tEEE10hipError_tPvRmT1_PNSt15iterator_traitsISZ_E10value_typeET2_T3_PNS10_IS15_E10value_typeET4_jRbjT5_S1B_jjP12ihipStream_tbEUljE_EEESW_SX_SY_S15_S19_S1B_T6_T7_T9_mT8_S1D_bDpT10_ENKUlT_T0_E_clISt17integral_constantIbLb1EES1P_IbLb0EEEEDaS1L_S1M_EUlS1L_E_NS1_11comp_targetILNS1_3genE3ELNS1_11target_archE908ELNS1_3gpuE7ELNS1_3repE0EEENS1_30default_config_static_selectorELNS0_4arch9wavefront6targetE0EEEvSZ_,comdat
.Lfunc_end1829:
	.size	_ZN7rocprim17ROCPRIM_400000_NS6detail17trampoline_kernelINS0_13select_configILj256ELj13ELNS0_17block_load_methodE3ELS4_3ELS4_3ELNS0_20block_scan_algorithmE0ELj4294967295EEENS1_25partition_config_selectorILNS1_17partition_subalgoE3EjNS0_10empty_typeEbEEZZNS1_14partition_implILS8_3ELb0ES6_jNS0_17counting_iteratorIjlEEPS9_SE_NS0_5tupleIJPjSE_EEENSF_IJSE_SE_EEES9_SG_JZNS1_25segmented_radix_sort_implINS0_14default_configELb0EPK6__halfPSL_PKlPlN2at6native12_GLOBAL__N_18offset_tEEE10hipError_tPvRmT1_PNSt15iterator_traitsISZ_E10value_typeET2_T3_PNS10_IS15_E10value_typeET4_jRbjT5_S1B_jjP12ihipStream_tbEUljE_EEESW_SX_SY_S15_S19_S1B_T6_T7_T9_mT8_S1D_bDpT10_ENKUlT_T0_E_clISt17integral_constantIbLb1EES1P_IbLb0EEEEDaS1L_S1M_EUlS1L_E_NS1_11comp_targetILNS1_3genE3ELNS1_11target_archE908ELNS1_3gpuE7ELNS1_3repE0EEENS1_30default_config_static_selectorELNS0_4arch9wavefront6targetE0EEEvSZ_, .Lfunc_end1829-_ZN7rocprim17ROCPRIM_400000_NS6detail17trampoline_kernelINS0_13select_configILj256ELj13ELNS0_17block_load_methodE3ELS4_3ELS4_3ELNS0_20block_scan_algorithmE0ELj4294967295EEENS1_25partition_config_selectorILNS1_17partition_subalgoE3EjNS0_10empty_typeEbEEZZNS1_14partition_implILS8_3ELb0ES6_jNS0_17counting_iteratorIjlEEPS9_SE_NS0_5tupleIJPjSE_EEENSF_IJSE_SE_EEES9_SG_JZNS1_25segmented_radix_sort_implINS0_14default_configELb0EPK6__halfPSL_PKlPlN2at6native12_GLOBAL__N_18offset_tEEE10hipError_tPvRmT1_PNSt15iterator_traitsISZ_E10value_typeET2_T3_PNS10_IS15_E10value_typeET4_jRbjT5_S1B_jjP12ihipStream_tbEUljE_EEESW_SX_SY_S15_S19_S1B_T6_T7_T9_mT8_S1D_bDpT10_ENKUlT_T0_E_clISt17integral_constantIbLb1EES1P_IbLb0EEEEDaS1L_S1M_EUlS1L_E_NS1_11comp_targetILNS1_3genE3ELNS1_11target_archE908ELNS1_3gpuE7ELNS1_3repE0EEENS1_30default_config_static_selectorELNS0_4arch9wavefront6targetE0EEEvSZ_
                                        ; -- End function
	.set _ZN7rocprim17ROCPRIM_400000_NS6detail17trampoline_kernelINS0_13select_configILj256ELj13ELNS0_17block_load_methodE3ELS4_3ELS4_3ELNS0_20block_scan_algorithmE0ELj4294967295EEENS1_25partition_config_selectorILNS1_17partition_subalgoE3EjNS0_10empty_typeEbEEZZNS1_14partition_implILS8_3ELb0ES6_jNS0_17counting_iteratorIjlEEPS9_SE_NS0_5tupleIJPjSE_EEENSF_IJSE_SE_EEES9_SG_JZNS1_25segmented_radix_sort_implINS0_14default_configELb0EPK6__halfPSL_PKlPlN2at6native12_GLOBAL__N_18offset_tEEE10hipError_tPvRmT1_PNSt15iterator_traitsISZ_E10value_typeET2_T3_PNS10_IS15_E10value_typeET4_jRbjT5_S1B_jjP12ihipStream_tbEUljE_EEESW_SX_SY_S15_S19_S1B_T6_T7_T9_mT8_S1D_bDpT10_ENKUlT_T0_E_clISt17integral_constantIbLb1EES1P_IbLb0EEEEDaS1L_S1M_EUlS1L_E_NS1_11comp_targetILNS1_3genE3ELNS1_11target_archE908ELNS1_3gpuE7ELNS1_3repE0EEENS1_30default_config_static_selectorELNS0_4arch9wavefront6targetE0EEEvSZ_.num_vgpr, 0
	.set _ZN7rocprim17ROCPRIM_400000_NS6detail17trampoline_kernelINS0_13select_configILj256ELj13ELNS0_17block_load_methodE3ELS4_3ELS4_3ELNS0_20block_scan_algorithmE0ELj4294967295EEENS1_25partition_config_selectorILNS1_17partition_subalgoE3EjNS0_10empty_typeEbEEZZNS1_14partition_implILS8_3ELb0ES6_jNS0_17counting_iteratorIjlEEPS9_SE_NS0_5tupleIJPjSE_EEENSF_IJSE_SE_EEES9_SG_JZNS1_25segmented_radix_sort_implINS0_14default_configELb0EPK6__halfPSL_PKlPlN2at6native12_GLOBAL__N_18offset_tEEE10hipError_tPvRmT1_PNSt15iterator_traitsISZ_E10value_typeET2_T3_PNS10_IS15_E10value_typeET4_jRbjT5_S1B_jjP12ihipStream_tbEUljE_EEESW_SX_SY_S15_S19_S1B_T6_T7_T9_mT8_S1D_bDpT10_ENKUlT_T0_E_clISt17integral_constantIbLb1EES1P_IbLb0EEEEDaS1L_S1M_EUlS1L_E_NS1_11comp_targetILNS1_3genE3ELNS1_11target_archE908ELNS1_3gpuE7ELNS1_3repE0EEENS1_30default_config_static_selectorELNS0_4arch9wavefront6targetE0EEEvSZ_.num_agpr, 0
	.set _ZN7rocprim17ROCPRIM_400000_NS6detail17trampoline_kernelINS0_13select_configILj256ELj13ELNS0_17block_load_methodE3ELS4_3ELS4_3ELNS0_20block_scan_algorithmE0ELj4294967295EEENS1_25partition_config_selectorILNS1_17partition_subalgoE3EjNS0_10empty_typeEbEEZZNS1_14partition_implILS8_3ELb0ES6_jNS0_17counting_iteratorIjlEEPS9_SE_NS0_5tupleIJPjSE_EEENSF_IJSE_SE_EEES9_SG_JZNS1_25segmented_radix_sort_implINS0_14default_configELb0EPK6__halfPSL_PKlPlN2at6native12_GLOBAL__N_18offset_tEEE10hipError_tPvRmT1_PNSt15iterator_traitsISZ_E10value_typeET2_T3_PNS10_IS15_E10value_typeET4_jRbjT5_S1B_jjP12ihipStream_tbEUljE_EEESW_SX_SY_S15_S19_S1B_T6_T7_T9_mT8_S1D_bDpT10_ENKUlT_T0_E_clISt17integral_constantIbLb1EES1P_IbLb0EEEEDaS1L_S1M_EUlS1L_E_NS1_11comp_targetILNS1_3genE3ELNS1_11target_archE908ELNS1_3gpuE7ELNS1_3repE0EEENS1_30default_config_static_selectorELNS0_4arch9wavefront6targetE0EEEvSZ_.numbered_sgpr, 0
	.set _ZN7rocprim17ROCPRIM_400000_NS6detail17trampoline_kernelINS0_13select_configILj256ELj13ELNS0_17block_load_methodE3ELS4_3ELS4_3ELNS0_20block_scan_algorithmE0ELj4294967295EEENS1_25partition_config_selectorILNS1_17partition_subalgoE3EjNS0_10empty_typeEbEEZZNS1_14partition_implILS8_3ELb0ES6_jNS0_17counting_iteratorIjlEEPS9_SE_NS0_5tupleIJPjSE_EEENSF_IJSE_SE_EEES9_SG_JZNS1_25segmented_radix_sort_implINS0_14default_configELb0EPK6__halfPSL_PKlPlN2at6native12_GLOBAL__N_18offset_tEEE10hipError_tPvRmT1_PNSt15iterator_traitsISZ_E10value_typeET2_T3_PNS10_IS15_E10value_typeET4_jRbjT5_S1B_jjP12ihipStream_tbEUljE_EEESW_SX_SY_S15_S19_S1B_T6_T7_T9_mT8_S1D_bDpT10_ENKUlT_T0_E_clISt17integral_constantIbLb1EES1P_IbLb0EEEEDaS1L_S1M_EUlS1L_E_NS1_11comp_targetILNS1_3genE3ELNS1_11target_archE908ELNS1_3gpuE7ELNS1_3repE0EEENS1_30default_config_static_selectorELNS0_4arch9wavefront6targetE0EEEvSZ_.num_named_barrier, 0
	.set _ZN7rocprim17ROCPRIM_400000_NS6detail17trampoline_kernelINS0_13select_configILj256ELj13ELNS0_17block_load_methodE3ELS4_3ELS4_3ELNS0_20block_scan_algorithmE0ELj4294967295EEENS1_25partition_config_selectorILNS1_17partition_subalgoE3EjNS0_10empty_typeEbEEZZNS1_14partition_implILS8_3ELb0ES6_jNS0_17counting_iteratorIjlEEPS9_SE_NS0_5tupleIJPjSE_EEENSF_IJSE_SE_EEES9_SG_JZNS1_25segmented_radix_sort_implINS0_14default_configELb0EPK6__halfPSL_PKlPlN2at6native12_GLOBAL__N_18offset_tEEE10hipError_tPvRmT1_PNSt15iterator_traitsISZ_E10value_typeET2_T3_PNS10_IS15_E10value_typeET4_jRbjT5_S1B_jjP12ihipStream_tbEUljE_EEESW_SX_SY_S15_S19_S1B_T6_T7_T9_mT8_S1D_bDpT10_ENKUlT_T0_E_clISt17integral_constantIbLb1EES1P_IbLb0EEEEDaS1L_S1M_EUlS1L_E_NS1_11comp_targetILNS1_3genE3ELNS1_11target_archE908ELNS1_3gpuE7ELNS1_3repE0EEENS1_30default_config_static_selectorELNS0_4arch9wavefront6targetE0EEEvSZ_.private_seg_size, 0
	.set _ZN7rocprim17ROCPRIM_400000_NS6detail17trampoline_kernelINS0_13select_configILj256ELj13ELNS0_17block_load_methodE3ELS4_3ELS4_3ELNS0_20block_scan_algorithmE0ELj4294967295EEENS1_25partition_config_selectorILNS1_17partition_subalgoE3EjNS0_10empty_typeEbEEZZNS1_14partition_implILS8_3ELb0ES6_jNS0_17counting_iteratorIjlEEPS9_SE_NS0_5tupleIJPjSE_EEENSF_IJSE_SE_EEES9_SG_JZNS1_25segmented_radix_sort_implINS0_14default_configELb0EPK6__halfPSL_PKlPlN2at6native12_GLOBAL__N_18offset_tEEE10hipError_tPvRmT1_PNSt15iterator_traitsISZ_E10value_typeET2_T3_PNS10_IS15_E10value_typeET4_jRbjT5_S1B_jjP12ihipStream_tbEUljE_EEESW_SX_SY_S15_S19_S1B_T6_T7_T9_mT8_S1D_bDpT10_ENKUlT_T0_E_clISt17integral_constantIbLb1EES1P_IbLb0EEEEDaS1L_S1M_EUlS1L_E_NS1_11comp_targetILNS1_3genE3ELNS1_11target_archE908ELNS1_3gpuE7ELNS1_3repE0EEENS1_30default_config_static_selectorELNS0_4arch9wavefront6targetE0EEEvSZ_.uses_vcc, 0
	.set _ZN7rocprim17ROCPRIM_400000_NS6detail17trampoline_kernelINS0_13select_configILj256ELj13ELNS0_17block_load_methodE3ELS4_3ELS4_3ELNS0_20block_scan_algorithmE0ELj4294967295EEENS1_25partition_config_selectorILNS1_17partition_subalgoE3EjNS0_10empty_typeEbEEZZNS1_14partition_implILS8_3ELb0ES6_jNS0_17counting_iteratorIjlEEPS9_SE_NS0_5tupleIJPjSE_EEENSF_IJSE_SE_EEES9_SG_JZNS1_25segmented_radix_sort_implINS0_14default_configELb0EPK6__halfPSL_PKlPlN2at6native12_GLOBAL__N_18offset_tEEE10hipError_tPvRmT1_PNSt15iterator_traitsISZ_E10value_typeET2_T3_PNS10_IS15_E10value_typeET4_jRbjT5_S1B_jjP12ihipStream_tbEUljE_EEESW_SX_SY_S15_S19_S1B_T6_T7_T9_mT8_S1D_bDpT10_ENKUlT_T0_E_clISt17integral_constantIbLb1EES1P_IbLb0EEEEDaS1L_S1M_EUlS1L_E_NS1_11comp_targetILNS1_3genE3ELNS1_11target_archE908ELNS1_3gpuE7ELNS1_3repE0EEENS1_30default_config_static_selectorELNS0_4arch9wavefront6targetE0EEEvSZ_.uses_flat_scratch, 0
	.set _ZN7rocprim17ROCPRIM_400000_NS6detail17trampoline_kernelINS0_13select_configILj256ELj13ELNS0_17block_load_methodE3ELS4_3ELS4_3ELNS0_20block_scan_algorithmE0ELj4294967295EEENS1_25partition_config_selectorILNS1_17partition_subalgoE3EjNS0_10empty_typeEbEEZZNS1_14partition_implILS8_3ELb0ES6_jNS0_17counting_iteratorIjlEEPS9_SE_NS0_5tupleIJPjSE_EEENSF_IJSE_SE_EEES9_SG_JZNS1_25segmented_radix_sort_implINS0_14default_configELb0EPK6__halfPSL_PKlPlN2at6native12_GLOBAL__N_18offset_tEEE10hipError_tPvRmT1_PNSt15iterator_traitsISZ_E10value_typeET2_T3_PNS10_IS15_E10value_typeET4_jRbjT5_S1B_jjP12ihipStream_tbEUljE_EEESW_SX_SY_S15_S19_S1B_T6_T7_T9_mT8_S1D_bDpT10_ENKUlT_T0_E_clISt17integral_constantIbLb1EES1P_IbLb0EEEEDaS1L_S1M_EUlS1L_E_NS1_11comp_targetILNS1_3genE3ELNS1_11target_archE908ELNS1_3gpuE7ELNS1_3repE0EEENS1_30default_config_static_selectorELNS0_4arch9wavefront6targetE0EEEvSZ_.has_dyn_sized_stack, 0
	.set _ZN7rocprim17ROCPRIM_400000_NS6detail17trampoline_kernelINS0_13select_configILj256ELj13ELNS0_17block_load_methodE3ELS4_3ELS4_3ELNS0_20block_scan_algorithmE0ELj4294967295EEENS1_25partition_config_selectorILNS1_17partition_subalgoE3EjNS0_10empty_typeEbEEZZNS1_14partition_implILS8_3ELb0ES6_jNS0_17counting_iteratorIjlEEPS9_SE_NS0_5tupleIJPjSE_EEENSF_IJSE_SE_EEES9_SG_JZNS1_25segmented_radix_sort_implINS0_14default_configELb0EPK6__halfPSL_PKlPlN2at6native12_GLOBAL__N_18offset_tEEE10hipError_tPvRmT1_PNSt15iterator_traitsISZ_E10value_typeET2_T3_PNS10_IS15_E10value_typeET4_jRbjT5_S1B_jjP12ihipStream_tbEUljE_EEESW_SX_SY_S15_S19_S1B_T6_T7_T9_mT8_S1D_bDpT10_ENKUlT_T0_E_clISt17integral_constantIbLb1EES1P_IbLb0EEEEDaS1L_S1M_EUlS1L_E_NS1_11comp_targetILNS1_3genE3ELNS1_11target_archE908ELNS1_3gpuE7ELNS1_3repE0EEENS1_30default_config_static_selectorELNS0_4arch9wavefront6targetE0EEEvSZ_.has_recursion, 0
	.set _ZN7rocprim17ROCPRIM_400000_NS6detail17trampoline_kernelINS0_13select_configILj256ELj13ELNS0_17block_load_methodE3ELS4_3ELS4_3ELNS0_20block_scan_algorithmE0ELj4294967295EEENS1_25partition_config_selectorILNS1_17partition_subalgoE3EjNS0_10empty_typeEbEEZZNS1_14partition_implILS8_3ELb0ES6_jNS0_17counting_iteratorIjlEEPS9_SE_NS0_5tupleIJPjSE_EEENSF_IJSE_SE_EEES9_SG_JZNS1_25segmented_radix_sort_implINS0_14default_configELb0EPK6__halfPSL_PKlPlN2at6native12_GLOBAL__N_18offset_tEEE10hipError_tPvRmT1_PNSt15iterator_traitsISZ_E10value_typeET2_T3_PNS10_IS15_E10value_typeET4_jRbjT5_S1B_jjP12ihipStream_tbEUljE_EEESW_SX_SY_S15_S19_S1B_T6_T7_T9_mT8_S1D_bDpT10_ENKUlT_T0_E_clISt17integral_constantIbLb1EES1P_IbLb0EEEEDaS1L_S1M_EUlS1L_E_NS1_11comp_targetILNS1_3genE3ELNS1_11target_archE908ELNS1_3gpuE7ELNS1_3repE0EEENS1_30default_config_static_selectorELNS0_4arch9wavefront6targetE0EEEvSZ_.has_indirect_call, 0
	.section	.AMDGPU.csdata,"",@progbits
; Kernel info:
; codeLenInByte = 0
; TotalNumSgprs: 0
; NumVgprs: 0
; ScratchSize: 0
; MemoryBound: 0
; FloatMode: 240
; IeeeMode: 1
; LDSByteSize: 0 bytes/workgroup (compile time only)
; SGPRBlocks: 0
; VGPRBlocks: 0
; NumSGPRsForWavesPerEU: 1
; NumVGPRsForWavesPerEU: 1
; Occupancy: 16
; WaveLimiterHint : 0
; COMPUTE_PGM_RSRC2:SCRATCH_EN: 0
; COMPUTE_PGM_RSRC2:USER_SGPR: 2
; COMPUTE_PGM_RSRC2:TRAP_HANDLER: 0
; COMPUTE_PGM_RSRC2:TGID_X_EN: 1
; COMPUTE_PGM_RSRC2:TGID_Y_EN: 0
; COMPUTE_PGM_RSRC2:TGID_Z_EN: 0
; COMPUTE_PGM_RSRC2:TIDIG_COMP_CNT: 0
	.section	.text._ZN7rocprim17ROCPRIM_400000_NS6detail17trampoline_kernelINS0_13select_configILj256ELj13ELNS0_17block_load_methodE3ELS4_3ELS4_3ELNS0_20block_scan_algorithmE0ELj4294967295EEENS1_25partition_config_selectorILNS1_17partition_subalgoE3EjNS0_10empty_typeEbEEZZNS1_14partition_implILS8_3ELb0ES6_jNS0_17counting_iteratorIjlEEPS9_SE_NS0_5tupleIJPjSE_EEENSF_IJSE_SE_EEES9_SG_JZNS1_25segmented_radix_sort_implINS0_14default_configELb0EPK6__halfPSL_PKlPlN2at6native12_GLOBAL__N_18offset_tEEE10hipError_tPvRmT1_PNSt15iterator_traitsISZ_E10value_typeET2_T3_PNS10_IS15_E10value_typeET4_jRbjT5_S1B_jjP12ihipStream_tbEUljE_EEESW_SX_SY_S15_S19_S1B_T6_T7_T9_mT8_S1D_bDpT10_ENKUlT_T0_E_clISt17integral_constantIbLb1EES1P_IbLb0EEEEDaS1L_S1M_EUlS1L_E_NS1_11comp_targetILNS1_3genE2ELNS1_11target_archE906ELNS1_3gpuE6ELNS1_3repE0EEENS1_30default_config_static_selectorELNS0_4arch9wavefront6targetE0EEEvSZ_,"axG",@progbits,_ZN7rocprim17ROCPRIM_400000_NS6detail17trampoline_kernelINS0_13select_configILj256ELj13ELNS0_17block_load_methodE3ELS4_3ELS4_3ELNS0_20block_scan_algorithmE0ELj4294967295EEENS1_25partition_config_selectorILNS1_17partition_subalgoE3EjNS0_10empty_typeEbEEZZNS1_14partition_implILS8_3ELb0ES6_jNS0_17counting_iteratorIjlEEPS9_SE_NS0_5tupleIJPjSE_EEENSF_IJSE_SE_EEES9_SG_JZNS1_25segmented_radix_sort_implINS0_14default_configELb0EPK6__halfPSL_PKlPlN2at6native12_GLOBAL__N_18offset_tEEE10hipError_tPvRmT1_PNSt15iterator_traitsISZ_E10value_typeET2_T3_PNS10_IS15_E10value_typeET4_jRbjT5_S1B_jjP12ihipStream_tbEUljE_EEESW_SX_SY_S15_S19_S1B_T6_T7_T9_mT8_S1D_bDpT10_ENKUlT_T0_E_clISt17integral_constantIbLb1EES1P_IbLb0EEEEDaS1L_S1M_EUlS1L_E_NS1_11comp_targetILNS1_3genE2ELNS1_11target_archE906ELNS1_3gpuE6ELNS1_3repE0EEENS1_30default_config_static_selectorELNS0_4arch9wavefront6targetE0EEEvSZ_,comdat
	.globl	_ZN7rocprim17ROCPRIM_400000_NS6detail17trampoline_kernelINS0_13select_configILj256ELj13ELNS0_17block_load_methodE3ELS4_3ELS4_3ELNS0_20block_scan_algorithmE0ELj4294967295EEENS1_25partition_config_selectorILNS1_17partition_subalgoE3EjNS0_10empty_typeEbEEZZNS1_14partition_implILS8_3ELb0ES6_jNS0_17counting_iteratorIjlEEPS9_SE_NS0_5tupleIJPjSE_EEENSF_IJSE_SE_EEES9_SG_JZNS1_25segmented_radix_sort_implINS0_14default_configELb0EPK6__halfPSL_PKlPlN2at6native12_GLOBAL__N_18offset_tEEE10hipError_tPvRmT1_PNSt15iterator_traitsISZ_E10value_typeET2_T3_PNS10_IS15_E10value_typeET4_jRbjT5_S1B_jjP12ihipStream_tbEUljE_EEESW_SX_SY_S15_S19_S1B_T6_T7_T9_mT8_S1D_bDpT10_ENKUlT_T0_E_clISt17integral_constantIbLb1EES1P_IbLb0EEEEDaS1L_S1M_EUlS1L_E_NS1_11comp_targetILNS1_3genE2ELNS1_11target_archE906ELNS1_3gpuE6ELNS1_3repE0EEENS1_30default_config_static_selectorELNS0_4arch9wavefront6targetE0EEEvSZ_ ; -- Begin function _ZN7rocprim17ROCPRIM_400000_NS6detail17trampoline_kernelINS0_13select_configILj256ELj13ELNS0_17block_load_methodE3ELS4_3ELS4_3ELNS0_20block_scan_algorithmE0ELj4294967295EEENS1_25partition_config_selectorILNS1_17partition_subalgoE3EjNS0_10empty_typeEbEEZZNS1_14partition_implILS8_3ELb0ES6_jNS0_17counting_iteratorIjlEEPS9_SE_NS0_5tupleIJPjSE_EEENSF_IJSE_SE_EEES9_SG_JZNS1_25segmented_radix_sort_implINS0_14default_configELb0EPK6__halfPSL_PKlPlN2at6native12_GLOBAL__N_18offset_tEEE10hipError_tPvRmT1_PNSt15iterator_traitsISZ_E10value_typeET2_T3_PNS10_IS15_E10value_typeET4_jRbjT5_S1B_jjP12ihipStream_tbEUljE_EEESW_SX_SY_S15_S19_S1B_T6_T7_T9_mT8_S1D_bDpT10_ENKUlT_T0_E_clISt17integral_constantIbLb1EES1P_IbLb0EEEEDaS1L_S1M_EUlS1L_E_NS1_11comp_targetILNS1_3genE2ELNS1_11target_archE906ELNS1_3gpuE6ELNS1_3repE0EEENS1_30default_config_static_selectorELNS0_4arch9wavefront6targetE0EEEvSZ_
	.p2align	8
	.type	_ZN7rocprim17ROCPRIM_400000_NS6detail17trampoline_kernelINS0_13select_configILj256ELj13ELNS0_17block_load_methodE3ELS4_3ELS4_3ELNS0_20block_scan_algorithmE0ELj4294967295EEENS1_25partition_config_selectorILNS1_17partition_subalgoE3EjNS0_10empty_typeEbEEZZNS1_14partition_implILS8_3ELb0ES6_jNS0_17counting_iteratorIjlEEPS9_SE_NS0_5tupleIJPjSE_EEENSF_IJSE_SE_EEES9_SG_JZNS1_25segmented_radix_sort_implINS0_14default_configELb0EPK6__halfPSL_PKlPlN2at6native12_GLOBAL__N_18offset_tEEE10hipError_tPvRmT1_PNSt15iterator_traitsISZ_E10value_typeET2_T3_PNS10_IS15_E10value_typeET4_jRbjT5_S1B_jjP12ihipStream_tbEUljE_EEESW_SX_SY_S15_S19_S1B_T6_T7_T9_mT8_S1D_bDpT10_ENKUlT_T0_E_clISt17integral_constantIbLb1EES1P_IbLb0EEEEDaS1L_S1M_EUlS1L_E_NS1_11comp_targetILNS1_3genE2ELNS1_11target_archE906ELNS1_3gpuE6ELNS1_3repE0EEENS1_30default_config_static_selectorELNS0_4arch9wavefront6targetE0EEEvSZ_,@function
_ZN7rocprim17ROCPRIM_400000_NS6detail17trampoline_kernelINS0_13select_configILj256ELj13ELNS0_17block_load_methodE3ELS4_3ELS4_3ELNS0_20block_scan_algorithmE0ELj4294967295EEENS1_25partition_config_selectorILNS1_17partition_subalgoE3EjNS0_10empty_typeEbEEZZNS1_14partition_implILS8_3ELb0ES6_jNS0_17counting_iteratorIjlEEPS9_SE_NS0_5tupleIJPjSE_EEENSF_IJSE_SE_EEES9_SG_JZNS1_25segmented_radix_sort_implINS0_14default_configELb0EPK6__halfPSL_PKlPlN2at6native12_GLOBAL__N_18offset_tEEE10hipError_tPvRmT1_PNSt15iterator_traitsISZ_E10value_typeET2_T3_PNS10_IS15_E10value_typeET4_jRbjT5_S1B_jjP12ihipStream_tbEUljE_EEESW_SX_SY_S15_S19_S1B_T6_T7_T9_mT8_S1D_bDpT10_ENKUlT_T0_E_clISt17integral_constantIbLb1EES1P_IbLb0EEEEDaS1L_S1M_EUlS1L_E_NS1_11comp_targetILNS1_3genE2ELNS1_11target_archE906ELNS1_3gpuE6ELNS1_3repE0EEENS1_30default_config_static_selectorELNS0_4arch9wavefront6targetE0EEEvSZ_: ; @_ZN7rocprim17ROCPRIM_400000_NS6detail17trampoline_kernelINS0_13select_configILj256ELj13ELNS0_17block_load_methodE3ELS4_3ELS4_3ELNS0_20block_scan_algorithmE0ELj4294967295EEENS1_25partition_config_selectorILNS1_17partition_subalgoE3EjNS0_10empty_typeEbEEZZNS1_14partition_implILS8_3ELb0ES6_jNS0_17counting_iteratorIjlEEPS9_SE_NS0_5tupleIJPjSE_EEENSF_IJSE_SE_EEES9_SG_JZNS1_25segmented_radix_sort_implINS0_14default_configELb0EPK6__halfPSL_PKlPlN2at6native12_GLOBAL__N_18offset_tEEE10hipError_tPvRmT1_PNSt15iterator_traitsISZ_E10value_typeET2_T3_PNS10_IS15_E10value_typeET4_jRbjT5_S1B_jjP12ihipStream_tbEUljE_EEESW_SX_SY_S15_S19_S1B_T6_T7_T9_mT8_S1D_bDpT10_ENKUlT_T0_E_clISt17integral_constantIbLb1EES1P_IbLb0EEEEDaS1L_S1M_EUlS1L_E_NS1_11comp_targetILNS1_3genE2ELNS1_11target_archE906ELNS1_3gpuE6ELNS1_3repE0EEENS1_30default_config_static_selectorELNS0_4arch9wavefront6targetE0EEEvSZ_
; %bb.0:
	.section	.rodata,"a",@progbits
	.p2align	6, 0x0
	.amdhsa_kernel _ZN7rocprim17ROCPRIM_400000_NS6detail17trampoline_kernelINS0_13select_configILj256ELj13ELNS0_17block_load_methodE3ELS4_3ELS4_3ELNS0_20block_scan_algorithmE0ELj4294967295EEENS1_25partition_config_selectorILNS1_17partition_subalgoE3EjNS0_10empty_typeEbEEZZNS1_14partition_implILS8_3ELb0ES6_jNS0_17counting_iteratorIjlEEPS9_SE_NS0_5tupleIJPjSE_EEENSF_IJSE_SE_EEES9_SG_JZNS1_25segmented_radix_sort_implINS0_14default_configELb0EPK6__halfPSL_PKlPlN2at6native12_GLOBAL__N_18offset_tEEE10hipError_tPvRmT1_PNSt15iterator_traitsISZ_E10value_typeET2_T3_PNS10_IS15_E10value_typeET4_jRbjT5_S1B_jjP12ihipStream_tbEUljE_EEESW_SX_SY_S15_S19_S1B_T6_T7_T9_mT8_S1D_bDpT10_ENKUlT_T0_E_clISt17integral_constantIbLb1EES1P_IbLb0EEEEDaS1L_S1M_EUlS1L_E_NS1_11comp_targetILNS1_3genE2ELNS1_11target_archE906ELNS1_3gpuE6ELNS1_3repE0EEENS1_30default_config_static_selectorELNS0_4arch9wavefront6targetE0EEEvSZ_
		.amdhsa_group_segment_fixed_size 0
		.amdhsa_private_segment_fixed_size 0
		.amdhsa_kernarg_size 144
		.amdhsa_user_sgpr_count 2
		.amdhsa_user_sgpr_dispatch_ptr 0
		.amdhsa_user_sgpr_queue_ptr 0
		.amdhsa_user_sgpr_kernarg_segment_ptr 1
		.amdhsa_user_sgpr_dispatch_id 0
		.amdhsa_user_sgpr_private_segment_size 0
		.amdhsa_wavefront_size32 1
		.amdhsa_uses_dynamic_stack 0
		.amdhsa_enable_private_segment 0
		.amdhsa_system_sgpr_workgroup_id_x 1
		.amdhsa_system_sgpr_workgroup_id_y 0
		.amdhsa_system_sgpr_workgroup_id_z 0
		.amdhsa_system_sgpr_workgroup_info 0
		.amdhsa_system_vgpr_workitem_id 0
		.amdhsa_next_free_vgpr 1
		.amdhsa_next_free_sgpr 1
		.amdhsa_reserve_vcc 0
		.amdhsa_float_round_mode_32 0
		.amdhsa_float_round_mode_16_64 0
		.amdhsa_float_denorm_mode_32 3
		.amdhsa_float_denorm_mode_16_64 3
		.amdhsa_fp16_overflow 0
		.amdhsa_workgroup_processor_mode 1
		.amdhsa_memory_ordered 1
		.amdhsa_forward_progress 1
		.amdhsa_inst_pref_size 0
		.amdhsa_round_robin_scheduling 0
		.amdhsa_exception_fp_ieee_invalid_op 0
		.amdhsa_exception_fp_denorm_src 0
		.amdhsa_exception_fp_ieee_div_zero 0
		.amdhsa_exception_fp_ieee_overflow 0
		.amdhsa_exception_fp_ieee_underflow 0
		.amdhsa_exception_fp_ieee_inexact 0
		.amdhsa_exception_int_div_zero 0
	.end_amdhsa_kernel
	.section	.text._ZN7rocprim17ROCPRIM_400000_NS6detail17trampoline_kernelINS0_13select_configILj256ELj13ELNS0_17block_load_methodE3ELS4_3ELS4_3ELNS0_20block_scan_algorithmE0ELj4294967295EEENS1_25partition_config_selectorILNS1_17partition_subalgoE3EjNS0_10empty_typeEbEEZZNS1_14partition_implILS8_3ELb0ES6_jNS0_17counting_iteratorIjlEEPS9_SE_NS0_5tupleIJPjSE_EEENSF_IJSE_SE_EEES9_SG_JZNS1_25segmented_radix_sort_implINS0_14default_configELb0EPK6__halfPSL_PKlPlN2at6native12_GLOBAL__N_18offset_tEEE10hipError_tPvRmT1_PNSt15iterator_traitsISZ_E10value_typeET2_T3_PNS10_IS15_E10value_typeET4_jRbjT5_S1B_jjP12ihipStream_tbEUljE_EEESW_SX_SY_S15_S19_S1B_T6_T7_T9_mT8_S1D_bDpT10_ENKUlT_T0_E_clISt17integral_constantIbLb1EES1P_IbLb0EEEEDaS1L_S1M_EUlS1L_E_NS1_11comp_targetILNS1_3genE2ELNS1_11target_archE906ELNS1_3gpuE6ELNS1_3repE0EEENS1_30default_config_static_selectorELNS0_4arch9wavefront6targetE0EEEvSZ_,"axG",@progbits,_ZN7rocprim17ROCPRIM_400000_NS6detail17trampoline_kernelINS0_13select_configILj256ELj13ELNS0_17block_load_methodE3ELS4_3ELS4_3ELNS0_20block_scan_algorithmE0ELj4294967295EEENS1_25partition_config_selectorILNS1_17partition_subalgoE3EjNS0_10empty_typeEbEEZZNS1_14partition_implILS8_3ELb0ES6_jNS0_17counting_iteratorIjlEEPS9_SE_NS0_5tupleIJPjSE_EEENSF_IJSE_SE_EEES9_SG_JZNS1_25segmented_radix_sort_implINS0_14default_configELb0EPK6__halfPSL_PKlPlN2at6native12_GLOBAL__N_18offset_tEEE10hipError_tPvRmT1_PNSt15iterator_traitsISZ_E10value_typeET2_T3_PNS10_IS15_E10value_typeET4_jRbjT5_S1B_jjP12ihipStream_tbEUljE_EEESW_SX_SY_S15_S19_S1B_T6_T7_T9_mT8_S1D_bDpT10_ENKUlT_T0_E_clISt17integral_constantIbLb1EES1P_IbLb0EEEEDaS1L_S1M_EUlS1L_E_NS1_11comp_targetILNS1_3genE2ELNS1_11target_archE906ELNS1_3gpuE6ELNS1_3repE0EEENS1_30default_config_static_selectorELNS0_4arch9wavefront6targetE0EEEvSZ_,comdat
.Lfunc_end1830:
	.size	_ZN7rocprim17ROCPRIM_400000_NS6detail17trampoline_kernelINS0_13select_configILj256ELj13ELNS0_17block_load_methodE3ELS4_3ELS4_3ELNS0_20block_scan_algorithmE0ELj4294967295EEENS1_25partition_config_selectorILNS1_17partition_subalgoE3EjNS0_10empty_typeEbEEZZNS1_14partition_implILS8_3ELb0ES6_jNS0_17counting_iteratorIjlEEPS9_SE_NS0_5tupleIJPjSE_EEENSF_IJSE_SE_EEES9_SG_JZNS1_25segmented_radix_sort_implINS0_14default_configELb0EPK6__halfPSL_PKlPlN2at6native12_GLOBAL__N_18offset_tEEE10hipError_tPvRmT1_PNSt15iterator_traitsISZ_E10value_typeET2_T3_PNS10_IS15_E10value_typeET4_jRbjT5_S1B_jjP12ihipStream_tbEUljE_EEESW_SX_SY_S15_S19_S1B_T6_T7_T9_mT8_S1D_bDpT10_ENKUlT_T0_E_clISt17integral_constantIbLb1EES1P_IbLb0EEEEDaS1L_S1M_EUlS1L_E_NS1_11comp_targetILNS1_3genE2ELNS1_11target_archE906ELNS1_3gpuE6ELNS1_3repE0EEENS1_30default_config_static_selectorELNS0_4arch9wavefront6targetE0EEEvSZ_, .Lfunc_end1830-_ZN7rocprim17ROCPRIM_400000_NS6detail17trampoline_kernelINS0_13select_configILj256ELj13ELNS0_17block_load_methodE3ELS4_3ELS4_3ELNS0_20block_scan_algorithmE0ELj4294967295EEENS1_25partition_config_selectorILNS1_17partition_subalgoE3EjNS0_10empty_typeEbEEZZNS1_14partition_implILS8_3ELb0ES6_jNS0_17counting_iteratorIjlEEPS9_SE_NS0_5tupleIJPjSE_EEENSF_IJSE_SE_EEES9_SG_JZNS1_25segmented_radix_sort_implINS0_14default_configELb0EPK6__halfPSL_PKlPlN2at6native12_GLOBAL__N_18offset_tEEE10hipError_tPvRmT1_PNSt15iterator_traitsISZ_E10value_typeET2_T3_PNS10_IS15_E10value_typeET4_jRbjT5_S1B_jjP12ihipStream_tbEUljE_EEESW_SX_SY_S15_S19_S1B_T6_T7_T9_mT8_S1D_bDpT10_ENKUlT_T0_E_clISt17integral_constantIbLb1EES1P_IbLb0EEEEDaS1L_S1M_EUlS1L_E_NS1_11comp_targetILNS1_3genE2ELNS1_11target_archE906ELNS1_3gpuE6ELNS1_3repE0EEENS1_30default_config_static_selectorELNS0_4arch9wavefront6targetE0EEEvSZ_
                                        ; -- End function
	.set _ZN7rocprim17ROCPRIM_400000_NS6detail17trampoline_kernelINS0_13select_configILj256ELj13ELNS0_17block_load_methodE3ELS4_3ELS4_3ELNS0_20block_scan_algorithmE0ELj4294967295EEENS1_25partition_config_selectorILNS1_17partition_subalgoE3EjNS0_10empty_typeEbEEZZNS1_14partition_implILS8_3ELb0ES6_jNS0_17counting_iteratorIjlEEPS9_SE_NS0_5tupleIJPjSE_EEENSF_IJSE_SE_EEES9_SG_JZNS1_25segmented_radix_sort_implINS0_14default_configELb0EPK6__halfPSL_PKlPlN2at6native12_GLOBAL__N_18offset_tEEE10hipError_tPvRmT1_PNSt15iterator_traitsISZ_E10value_typeET2_T3_PNS10_IS15_E10value_typeET4_jRbjT5_S1B_jjP12ihipStream_tbEUljE_EEESW_SX_SY_S15_S19_S1B_T6_T7_T9_mT8_S1D_bDpT10_ENKUlT_T0_E_clISt17integral_constantIbLb1EES1P_IbLb0EEEEDaS1L_S1M_EUlS1L_E_NS1_11comp_targetILNS1_3genE2ELNS1_11target_archE906ELNS1_3gpuE6ELNS1_3repE0EEENS1_30default_config_static_selectorELNS0_4arch9wavefront6targetE0EEEvSZ_.num_vgpr, 0
	.set _ZN7rocprim17ROCPRIM_400000_NS6detail17trampoline_kernelINS0_13select_configILj256ELj13ELNS0_17block_load_methodE3ELS4_3ELS4_3ELNS0_20block_scan_algorithmE0ELj4294967295EEENS1_25partition_config_selectorILNS1_17partition_subalgoE3EjNS0_10empty_typeEbEEZZNS1_14partition_implILS8_3ELb0ES6_jNS0_17counting_iteratorIjlEEPS9_SE_NS0_5tupleIJPjSE_EEENSF_IJSE_SE_EEES9_SG_JZNS1_25segmented_radix_sort_implINS0_14default_configELb0EPK6__halfPSL_PKlPlN2at6native12_GLOBAL__N_18offset_tEEE10hipError_tPvRmT1_PNSt15iterator_traitsISZ_E10value_typeET2_T3_PNS10_IS15_E10value_typeET4_jRbjT5_S1B_jjP12ihipStream_tbEUljE_EEESW_SX_SY_S15_S19_S1B_T6_T7_T9_mT8_S1D_bDpT10_ENKUlT_T0_E_clISt17integral_constantIbLb1EES1P_IbLb0EEEEDaS1L_S1M_EUlS1L_E_NS1_11comp_targetILNS1_3genE2ELNS1_11target_archE906ELNS1_3gpuE6ELNS1_3repE0EEENS1_30default_config_static_selectorELNS0_4arch9wavefront6targetE0EEEvSZ_.num_agpr, 0
	.set _ZN7rocprim17ROCPRIM_400000_NS6detail17trampoline_kernelINS0_13select_configILj256ELj13ELNS0_17block_load_methodE3ELS4_3ELS4_3ELNS0_20block_scan_algorithmE0ELj4294967295EEENS1_25partition_config_selectorILNS1_17partition_subalgoE3EjNS0_10empty_typeEbEEZZNS1_14partition_implILS8_3ELb0ES6_jNS0_17counting_iteratorIjlEEPS9_SE_NS0_5tupleIJPjSE_EEENSF_IJSE_SE_EEES9_SG_JZNS1_25segmented_radix_sort_implINS0_14default_configELb0EPK6__halfPSL_PKlPlN2at6native12_GLOBAL__N_18offset_tEEE10hipError_tPvRmT1_PNSt15iterator_traitsISZ_E10value_typeET2_T3_PNS10_IS15_E10value_typeET4_jRbjT5_S1B_jjP12ihipStream_tbEUljE_EEESW_SX_SY_S15_S19_S1B_T6_T7_T9_mT8_S1D_bDpT10_ENKUlT_T0_E_clISt17integral_constantIbLb1EES1P_IbLb0EEEEDaS1L_S1M_EUlS1L_E_NS1_11comp_targetILNS1_3genE2ELNS1_11target_archE906ELNS1_3gpuE6ELNS1_3repE0EEENS1_30default_config_static_selectorELNS0_4arch9wavefront6targetE0EEEvSZ_.numbered_sgpr, 0
	.set _ZN7rocprim17ROCPRIM_400000_NS6detail17trampoline_kernelINS0_13select_configILj256ELj13ELNS0_17block_load_methodE3ELS4_3ELS4_3ELNS0_20block_scan_algorithmE0ELj4294967295EEENS1_25partition_config_selectorILNS1_17partition_subalgoE3EjNS0_10empty_typeEbEEZZNS1_14partition_implILS8_3ELb0ES6_jNS0_17counting_iteratorIjlEEPS9_SE_NS0_5tupleIJPjSE_EEENSF_IJSE_SE_EEES9_SG_JZNS1_25segmented_radix_sort_implINS0_14default_configELb0EPK6__halfPSL_PKlPlN2at6native12_GLOBAL__N_18offset_tEEE10hipError_tPvRmT1_PNSt15iterator_traitsISZ_E10value_typeET2_T3_PNS10_IS15_E10value_typeET4_jRbjT5_S1B_jjP12ihipStream_tbEUljE_EEESW_SX_SY_S15_S19_S1B_T6_T7_T9_mT8_S1D_bDpT10_ENKUlT_T0_E_clISt17integral_constantIbLb1EES1P_IbLb0EEEEDaS1L_S1M_EUlS1L_E_NS1_11comp_targetILNS1_3genE2ELNS1_11target_archE906ELNS1_3gpuE6ELNS1_3repE0EEENS1_30default_config_static_selectorELNS0_4arch9wavefront6targetE0EEEvSZ_.num_named_barrier, 0
	.set _ZN7rocprim17ROCPRIM_400000_NS6detail17trampoline_kernelINS0_13select_configILj256ELj13ELNS0_17block_load_methodE3ELS4_3ELS4_3ELNS0_20block_scan_algorithmE0ELj4294967295EEENS1_25partition_config_selectorILNS1_17partition_subalgoE3EjNS0_10empty_typeEbEEZZNS1_14partition_implILS8_3ELb0ES6_jNS0_17counting_iteratorIjlEEPS9_SE_NS0_5tupleIJPjSE_EEENSF_IJSE_SE_EEES9_SG_JZNS1_25segmented_radix_sort_implINS0_14default_configELb0EPK6__halfPSL_PKlPlN2at6native12_GLOBAL__N_18offset_tEEE10hipError_tPvRmT1_PNSt15iterator_traitsISZ_E10value_typeET2_T3_PNS10_IS15_E10value_typeET4_jRbjT5_S1B_jjP12ihipStream_tbEUljE_EEESW_SX_SY_S15_S19_S1B_T6_T7_T9_mT8_S1D_bDpT10_ENKUlT_T0_E_clISt17integral_constantIbLb1EES1P_IbLb0EEEEDaS1L_S1M_EUlS1L_E_NS1_11comp_targetILNS1_3genE2ELNS1_11target_archE906ELNS1_3gpuE6ELNS1_3repE0EEENS1_30default_config_static_selectorELNS0_4arch9wavefront6targetE0EEEvSZ_.private_seg_size, 0
	.set _ZN7rocprim17ROCPRIM_400000_NS6detail17trampoline_kernelINS0_13select_configILj256ELj13ELNS0_17block_load_methodE3ELS4_3ELS4_3ELNS0_20block_scan_algorithmE0ELj4294967295EEENS1_25partition_config_selectorILNS1_17partition_subalgoE3EjNS0_10empty_typeEbEEZZNS1_14partition_implILS8_3ELb0ES6_jNS0_17counting_iteratorIjlEEPS9_SE_NS0_5tupleIJPjSE_EEENSF_IJSE_SE_EEES9_SG_JZNS1_25segmented_radix_sort_implINS0_14default_configELb0EPK6__halfPSL_PKlPlN2at6native12_GLOBAL__N_18offset_tEEE10hipError_tPvRmT1_PNSt15iterator_traitsISZ_E10value_typeET2_T3_PNS10_IS15_E10value_typeET4_jRbjT5_S1B_jjP12ihipStream_tbEUljE_EEESW_SX_SY_S15_S19_S1B_T6_T7_T9_mT8_S1D_bDpT10_ENKUlT_T0_E_clISt17integral_constantIbLb1EES1P_IbLb0EEEEDaS1L_S1M_EUlS1L_E_NS1_11comp_targetILNS1_3genE2ELNS1_11target_archE906ELNS1_3gpuE6ELNS1_3repE0EEENS1_30default_config_static_selectorELNS0_4arch9wavefront6targetE0EEEvSZ_.uses_vcc, 0
	.set _ZN7rocprim17ROCPRIM_400000_NS6detail17trampoline_kernelINS0_13select_configILj256ELj13ELNS0_17block_load_methodE3ELS4_3ELS4_3ELNS0_20block_scan_algorithmE0ELj4294967295EEENS1_25partition_config_selectorILNS1_17partition_subalgoE3EjNS0_10empty_typeEbEEZZNS1_14partition_implILS8_3ELb0ES6_jNS0_17counting_iteratorIjlEEPS9_SE_NS0_5tupleIJPjSE_EEENSF_IJSE_SE_EEES9_SG_JZNS1_25segmented_radix_sort_implINS0_14default_configELb0EPK6__halfPSL_PKlPlN2at6native12_GLOBAL__N_18offset_tEEE10hipError_tPvRmT1_PNSt15iterator_traitsISZ_E10value_typeET2_T3_PNS10_IS15_E10value_typeET4_jRbjT5_S1B_jjP12ihipStream_tbEUljE_EEESW_SX_SY_S15_S19_S1B_T6_T7_T9_mT8_S1D_bDpT10_ENKUlT_T0_E_clISt17integral_constantIbLb1EES1P_IbLb0EEEEDaS1L_S1M_EUlS1L_E_NS1_11comp_targetILNS1_3genE2ELNS1_11target_archE906ELNS1_3gpuE6ELNS1_3repE0EEENS1_30default_config_static_selectorELNS0_4arch9wavefront6targetE0EEEvSZ_.uses_flat_scratch, 0
	.set _ZN7rocprim17ROCPRIM_400000_NS6detail17trampoline_kernelINS0_13select_configILj256ELj13ELNS0_17block_load_methodE3ELS4_3ELS4_3ELNS0_20block_scan_algorithmE0ELj4294967295EEENS1_25partition_config_selectorILNS1_17partition_subalgoE3EjNS0_10empty_typeEbEEZZNS1_14partition_implILS8_3ELb0ES6_jNS0_17counting_iteratorIjlEEPS9_SE_NS0_5tupleIJPjSE_EEENSF_IJSE_SE_EEES9_SG_JZNS1_25segmented_radix_sort_implINS0_14default_configELb0EPK6__halfPSL_PKlPlN2at6native12_GLOBAL__N_18offset_tEEE10hipError_tPvRmT1_PNSt15iterator_traitsISZ_E10value_typeET2_T3_PNS10_IS15_E10value_typeET4_jRbjT5_S1B_jjP12ihipStream_tbEUljE_EEESW_SX_SY_S15_S19_S1B_T6_T7_T9_mT8_S1D_bDpT10_ENKUlT_T0_E_clISt17integral_constantIbLb1EES1P_IbLb0EEEEDaS1L_S1M_EUlS1L_E_NS1_11comp_targetILNS1_3genE2ELNS1_11target_archE906ELNS1_3gpuE6ELNS1_3repE0EEENS1_30default_config_static_selectorELNS0_4arch9wavefront6targetE0EEEvSZ_.has_dyn_sized_stack, 0
	.set _ZN7rocprim17ROCPRIM_400000_NS6detail17trampoline_kernelINS0_13select_configILj256ELj13ELNS0_17block_load_methodE3ELS4_3ELS4_3ELNS0_20block_scan_algorithmE0ELj4294967295EEENS1_25partition_config_selectorILNS1_17partition_subalgoE3EjNS0_10empty_typeEbEEZZNS1_14partition_implILS8_3ELb0ES6_jNS0_17counting_iteratorIjlEEPS9_SE_NS0_5tupleIJPjSE_EEENSF_IJSE_SE_EEES9_SG_JZNS1_25segmented_radix_sort_implINS0_14default_configELb0EPK6__halfPSL_PKlPlN2at6native12_GLOBAL__N_18offset_tEEE10hipError_tPvRmT1_PNSt15iterator_traitsISZ_E10value_typeET2_T3_PNS10_IS15_E10value_typeET4_jRbjT5_S1B_jjP12ihipStream_tbEUljE_EEESW_SX_SY_S15_S19_S1B_T6_T7_T9_mT8_S1D_bDpT10_ENKUlT_T0_E_clISt17integral_constantIbLb1EES1P_IbLb0EEEEDaS1L_S1M_EUlS1L_E_NS1_11comp_targetILNS1_3genE2ELNS1_11target_archE906ELNS1_3gpuE6ELNS1_3repE0EEENS1_30default_config_static_selectorELNS0_4arch9wavefront6targetE0EEEvSZ_.has_recursion, 0
	.set _ZN7rocprim17ROCPRIM_400000_NS6detail17trampoline_kernelINS0_13select_configILj256ELj13ELNS0_17block_load_methodE3ELS4_3ELS4_3ELNS0_20block_scan_algorithmE0ELj4294967295EEENS1_25partition_config_selectorILNS1_17partition_subalgoE3EjNS0_10empty_typeEbEEZZNS1_14partition_implILS8_3ELb0ES6_jNS0_17counting_iteratorIjlEEPS9_SE_NS0_5tupleIJPjSE_EEENSF_IJSE_SE_EEES9_SG_JZNS1_25segmented_radix_sort_implINS0_14default_configELb0EPK6__halfPSL_PKlPlN2at6native12_GLOBAL__N_18offset_tEEE10hipError_tPvRmT1_PNSt15iterator_traitsISZ_E10value_typeET2_T3_PNS10_IS15_E10value_typeET4_jRbjT5_S1B_jjP12ihipStream_tbEUljE_EEESW_SX_SY_S15_S19_S1B_T6_T7_T9_mT8_S1D_bDpT10_ENKUlT_T0_E_clISt17integral_constantIbLb1EES1P_IbLb0EEEEDaS1L_S1M_EUlS1L_E_NS1_11comp_targetILNS1_3genE2ELNS1_11target_archE906ELNS1_3gpuE6ELNS1_3repE0EEENS1_30default_config_static_selectorELNS0_4arch9wavefront6targetE0EEEvSZ_.has_indirect_call, 0
	.section	.AMDGPU.csdata,"",@progbits
; Kernel info:
; codeLenInByte = 0
; TotalNumSgprs: 0
; NumVgprs: 0
; ScratchSize: 0
; MemoryBound: 0
; FloatMode: 240
; IeeeMode: 1
; LDSByteSize: 0 bytes/workgroup (compile time only)
; SGPRBlocks: 0
; VGPRBlocks: 0
; NumSGPRsForWavesPerEU: 1
; NumVGPRsForWavesPerEU: 1
; Occupancy: 16
; WaveLimiterHint : 0
; COMPUTE_PGM_RSRC2:SCRATCH_EN: 0
; COMPUTE_PGM_RSRC2:USER_SGPR: 2
; COMPUTE_PGM_RSRC2:TRAP_HANDLER: 0
; COMPUTE_PGM_RSRC2:TGID_X_EN: 1
; COMPUTE_PGM_RSRC2:TGID_Y_EN: 0
; COMPUTE_PGM_RSRC2:TGID_Z_EN: 0
; COMPUTE_PGM_RSRC2:TIDIG_COMP_CNT: 0
	.section	.text._ZN7rocprim17ROCPRIM_400000_NS6detail17trampoline_kernelINS0_13select_configILj256ELj13ELNS0_17block_load_methodE3ELS4_3ELS4_3ELNS0_20block_scan_algorithmE0ELj4294967295EEENS1_25partition_config_selectorILNS1_17partition_subalgoE3EjNS0_10empty_typeEbEEZZNS1_14partition_implILS8_3ELb0ES6_jNS0_17counting_iteratorIjlEEPS9_SE_NS0_5tupleIJPjSE_EEENSF_IJSE_SE_EEES9_SG_JZNS1_25segmented_radix_sort_implINS0_14default_configELb0EPK6__halfPSL_PKlPlN2at6native12_GLOBAL__N_18offset_tEEE10hipError_tPvRmT1_PNSt15iterator_traitsISZ_E10value_typeET2_T3_PNS10_IS15_E10value_typeET4_jRbjT5_S1B_jjP12ihipStream_tbEUljE_EEESW_SX_SY_S15_S19_S1B_T6_T7_T9_mT8_S1D_bDpT10_ENKUlT_T0_E_clISt17integral_constantIbLb1EES1P_IbLb0EEEEDaS1L_S1M_EUlS1L_E_NS1_11comp_targetILNS1_3genE10ELNS1_11target_archE1200ELNS1_3gpuE4ELNS1_3repE0EEENS1_30default_config_static_selectorELNS0_4arch9wavefront6targetE0EEEvSZ_,"axG",@progbits,_ZN7rocprim17ROCPRIM_400000_NS6detail17trampoline_kernelINS0_13select_configILj256ELj13ELNS0_17block_load_methodE3ELS4_3ELS4_3ELNS0_20block_scan_algorithmE0ELj4294967295EEENS1_25partition_config_selectorILNS1_17partition_subalgoE3EjNS0_10empty_typeEbEEZZNS1_14partition_implILS8_3ELb0ES6_jNS0_17counting_iteratorIjlEEPS9_SE_NS0_5tupleIJPjSE_EEENSF_IJSE_SE_EEES9_SG_JZNS1_25segmented_radix_sort_implINS0_14default_configELb0EPK6__halfPSL_PKlPlN2at6native12_GLOBAL__N_18offset_tEEE10hipError_tPvRmT1_PNSt15iterator_traitsISZ_E10value_typeET2_T3_PNS10_IS15_E10value_typeET4_jRbjT5_S1B_jjP12ihipStream_tbEUljE_EEESW_SX_SY_S15_S19_S1B_T6_T7_T9_mT8_S1D_bDpT10_ENKUlT_T0_E_clISt17integral_constantIbLb1EES1P_IbLb0EEEEDaS1L_S1M_EUlS1L_E_NS1_11comp_targetILNS1_3genE10ELNS1_11target_archE1200ELNS1_3gpuE4ELNS1_3repE0EEENS1_30default_config_static_selectorELNS0_4arch9wavefront6targetE0EEEvSZ_,comdat
	.globl	_ZN7rocprim17ROCPRIM_400000_NS6detail17trampoline_kernelINS0_13select_configILj256ELj13ELNS0_17block_load_methodE3ELS4_3ELS4_3ELNS0_20block_scan_algorithmE0ELj4294967295EEENS1_25partition_config_selectorILNS1_17partition_subalgoE3EjNS0_10empty_typeEbEEZZNS1_14partition_implILS8_3ELb0ES6_jNS0_17counting_iteratorIjlEEPS9_SE_NS0_5tupleIJPjSE_EEENSF_IJSE_SE_EEES9_SG_JZNS1_25segmented_radix_sort_implINS0_14default_configELb0EPK6__halfPSL_PKlPlN2at6native12_GLOBAL__N_18offset_tEEE10hipError_tPvRmT1_PNSt15iterator_traitsISZ_E10value_typeET2_T3_PNS10_IS15_E10value_typeET4_jRbjT5_S1B_jjP12ihipStream_tbEUljE_EEESW_SX_SY_S15_S19_S1B_T6_T7_T9_mT8_S1D_bDpT10_ENKUlT_T0_E_clISt17integral_constantIbLb1EES1P_IbLb0EEEEDaS1L_S1M_EUlS1L_E_NS1_11comp_targetILNS1_3genE10ELNS1_11target_archE1200ELNS1_3gpuE4ELNS1_3repE0EEENS1_30default_config_static_selectorELNS0_4arch9wavefront6targetE0EEEvSZ_ ; -- Begin function _ZN7rocprim17ROCPRIM_400000_NS6detail17trampoline_kernelINS0_13select_configILj256ELj13ELNS0_17block_load_methodE3ELS4_3ELS4_3ELNS0_20block_scan_algorithmE0ELj4294967295EEENS1_25partition_config_selectorILNS1_17partition_subalgoE3EjNS0_10empty_typeEbEEZZNS1_14partition_implILS8_3ELb0ES6_jNS0_17counting_iteratorIjlEEPS9_SE_NS0_5tupleIJPjSE_EEENSF_IJSE_SE_EEES9_SG_JZNS1_25segmented_radix_sort_implINS0_14default_configELb0EPK6__halfPSL_PKlPlN2at6native12_GLOBAL__N_18offset_tEEE10hipError_tPvRmT1_PNSt15iterator_traitsISZ_E10value_typeET2_T3_PNS10_IS15_E10value_typeET4_jRbjT5_S1B_jjP12ihipStream_tbEUljE_EEESW_SX_SY_S15_S19_S1B_T6_T7_T9_mT8_S1D_bDpT10_ENKUlT_T0_E_clISt17integral_constantIbLb1EES1P_IbLb0EEEEDaS1L_S1M_EUlS1L_E_NS1_11comp_targetILNS1_3genE10ELNS1_11target_archE1200ELNS1_3gpuE4ELNS1_3repE0EEENS1_30default_config_static_selectorELNS0_4arch9wavefront6targetE0EEEvSZ_
	.p2align	8
	.type	_ZN7rocprim17ROCPRIM_400000_NS6detail17trampoline_kernelINS0_13select_configILj256ELj13ELNS0_17block_load_methodE3ELS4_3ELS4_3ELNS0_20block_scan_algorithmE0ELj4294967295EEENS1_25partition_config_selectorILNS1_17partition_subalgoE3EjNS0_10empty_typeEbEEZZNS1_14partition_implILS8_3ELb0ES6_jNS0_17counting_iteratorIjlEEPS9_SE_NS0_5tupleIJPjSE_EEENSF_IJSE_SE_EEES9_SG_JZNS1_25segmented_radix_sort_implINS0_14default_configELb0EPK6__halfPSL_PKlPlN2at6native12_GLOBAL__N_18offset_tEEE10hipError_tPvRmT1_PNSt15iterator_traitsISZ_E10value_typeET2_T3_PNS10_IS15_E10value_typeET4_jRbjT5_S1B_jjP12ihipStream_tbEUljE_EEESW_SX_SY_S15_S19_S1B_T6_T7_T9_mT8_S1D_bDpT10_ENKUlT_T0_E_clISt17integral_constantIbLb1EES1P_IbLb0EEEEDaS1L_S1M_EUlS1L_E_NS1_11comp_targetILNS1_3genE10ELNS1_11target_archE1200ELNS1_3gpuE4ELNS1_3repE0EEENS1_30default_config_static_selectorELNS0_4arch9wavefront6targetE0EEEvSZ_,@function
_ZN7rocprim17ROCPRIM_400000_NS6detail17trampoline_kernelINS0_13select_configILj256ELj13ELNS0_17block_load_methodE3ELS4_3ELS4_3ELNS0_20block_scan_algorithmE0ELj4294967295EEENS1_25partition_config_selectorILNS1_17partition_subalgoE3EjNS0_10empty_typeEbEEZZNS1_14partition_implILS8_3ELb0ES6_jNS0_17counting_iteratorIjlEEPS9_SE_NS0_5tupleIJPjSE_EEENSF_IJSE_SE_EEES9_SG_JZNS1_25segmented_radix_sort_implINS0_14default_configELb0EPK6__halfPSL_PKlPlN2at6native12_GLOBAL__N_18offset_tEEE10hipError_tPvRmT1_PNSt15iterator_traitsISZ_E10value_typeET2_T3_PNS10_IS15_E10value_typeET4_jRbjT5_S1B_jjP12ihipStream_tbEUljE_EEESW_SX_SY_S15_S19_S1B_T6_T7_T9_mT8_S1D_bDpT10_ENKUlT_T0_E_clISt17integral_constantIbLb1EES1P_IbLb0EEEEDaS1L_S1M_EUlS1L_E_NS1_11comp_targetILNS1_3genE10ELNS1_11target_archE1200ELNS1_3gpuE4ELNS1_3repE0EEENS1_30default_config_static_selectorELNS0_4arch9wavefront6targetE0EEEvSZ_: ; @_ZN7rocprim17ROCPRIM_400000_NS6detail17trampoline_kernelINS0_13select_configILj256ELj13ELNS0_17block_load_methodE3ELS4_3ELS4_3ELNS0_20block_scan_algorithmE0ELj4294967295EEENS1_25partition_config_selectorILNS1_17partition_subalgoE3EjNS0_10empty_typeEbEEZZNS1_14partition_implILS8_3ELb0ES6_jNS0_17counting_iteratorIjlEEPS9_SE_NS0_5tupleIJPjSE_EEENSF_IJSE_SE_EEES9_SG_JZNS1_25segmented_radix_sort_implINS0_14default_configELb0EPK6__halfPSL_PKlPlN2at6native12_GLOBAL__N_18offset_tEEE10hipError_tPvRmT1_PNSt15iterator_traitsISZ_E10value_typeET2_T3_PNS10_IS15_E10value_typeET4_jRbjT5_S1B_jjP12ihipStream_tbEUljE_EEESW_SX_SY_S15_S19_S1B_T6_T7_T9_mT8_S1D_bDpT10_ENKUlT_T0_E_clISt17integral_constantIbLb1EES1P_IbLb0EEEEDaS1L_S1M_EUlS1L_E_NS1_11comp_targetILNS1_3genE10ELNS1_11target_archE1200ELNS1_3gpuE4ELNS1_3repE0EEENS1_30default_config_static_selectorELNS0_4arch9wavefront6targetE0EEEvSZ_
; %bb.0:
	s_endpgm
	.section	.rodata,"a",@progbits
	.p2align	6, 0x0
	.amdhsa_kernel _ZN7rocprim17ROCPRIM_400000_NS6detail17trampoline_kernelINS0_13select_configILj256ELj13ELNS0_17block_load_methodE3ELS4_3ELS4_3ELNS0_20block_scan_algorithmE0ELj4294967295EEENS1_25partition_config_selectorILNS1_17partition_subalgoE3EjNS0_10empty_typeEbEEZZNS1_14partition_implILS8_3ELb0ES6_jNS0_17counting_iteratorIjlEEPS9_SE_NS0_5tupleIJPjSE_EEENSF_IJSE_SE_EEES9_SG_JZNS1_25segmented_radix_sort_implINS0_14default_configELb0EPK6__halfPSL_PKlPlN2at6native12_GLOBAL__N_18offset_tEEE10hipError_tPvRmT1_PNSt15iterator_traitsISZ_E10value_typeET2_T3_PNS10_IS15_E10value_typeET4_jRbjT5_S1B_jjP12ihipStream_tbEUljE_EEESW_SX_SY_S15_S19_S1B_T6_T7_T9_mT8_S1D_bDpT10_ENKUlT_T0_E_clISt17integral_constantIbLb1EES1P_IbLb0EEEEDaS1L_S1M_EUlS1L_E_NS1_11comp_targetILNS1_3genE10ELNS1_11target_archE1200ELNS1_3gpuE4ELNS1_3repE0EEENS1_30default_config_static_selectorELNS0_4arch9wavefront6targetE0EEEvSZ_
		.amdhsa_group_segment_fixed_size 0
		.amdhsa_private_segment_fixed_size 0
		.amdhsa_kernarg_size 144
		.amdhsa_user_sgpr_count 2
		.amdhsa_user_sgpr_dispatch_ptr 0
		.amdhsa_user_sgpr_queue_ptr 0
		.amdhsa_user_sgpr_kernarg_segment_ptr 1
		.amdhsa_user_sgpr_dispatch_id 0
		.amdhsa_user_sgpr_private_segment_size 0
		.amdhsa_wavefront_size32 1
		.amdhsa_uses_dynamic_stack 0
		.amdhsa_enable_private_segment 0
		.amdhsa_system_sgpr_workgroup_id_x 1
		.amdhsa_system_sgpr_workgroup_id_y 0
		.amdhsa_system_sgpr_workgroup_id_z 0
		.amdhsa_system_sgpr_workgroup_info 0
		.amdhsa_system_vgpr_workitem_id 0
		.amdhsa_next_free_vgpr 1
		.amdhsa_next_free_sgpr 1
		.amdhsa_reserve_vcc 0
		.amdhsa_float_round_mode_32 0
		.amdhsa_float_round_mode_16_64 0
		.amdhsa_float_denorm_mode_32 3
		.amdhsa_float_denorm_mode_16_64 3
		.amdhsa_fp16_overflow 0
		.amdhsa_workgroup_processor_mode 1
		.amdhsa_memory_ordered 1
		.amdhsa_forward_progress 1
		.amdhsa_inst_pref_size 1
		.amdhsa_round_robin_scheduling 0
		.amdhsa_exception_fp_ieee_invalid_op 0
		.amdhsa_exception_fp_denorm_src 0
		.amdhsa_exception_fp_ieee_div_zero 0
		.amdhsa_exception_fp_ieee_overflow 0
		.amdhsa_exception_fp_ieee_underflow 0
		.amdhsa_exception_fp_ieee_inexact 0
		.amdhsa_exception_int_div_zero 0
	.end_amdhsa_kernel
	.section	.text._ZN7rocprim17ROCPRIM_400000_NS6detail17trampoline_kernelINS0_13select_configILj256ELj13ELNS0_17block_load_methodE3ELS4_3ELS4_3ELNS0_20block_scan_algorithmE0ELj4294967295EEENS1_25partition_config_selectorILNS1_17partition_subalgoE3EjNS0_10empty_typeEbEEZZNS1_14partition_implILS8_3ELb0ES6_jNS0_17counting_iteratorIjlEEPS9_SE_NS0_5tupleIJPjSE_EEENSF_IJSE_SE_EEES9_SG_JZNS1_25segmented_radix_sort_implINS0_14default_configELb0EPK6__halfPSL_PKlPlN2at6native12_GLOBAL__N_18offset_tEEE10hipError_tPvRmT1_PNSt15iterator_traitsISZ_E10value_typeET2_T3_PNS10_IS15_E10value_typeET4_jRbjT5_S1B_jjP12ihipStream_tbEUljE_EEESW_SX_SY_S15_S19_S1B_T6_T7_T9_mT8_S1D_bDpT10_ENKUlT_T0_E_clISt17integral_constantIbLb1EES1P_IbLb0EEEEDaS1L_S1M_EUlS1L_E_NS1_11comp_targetILNS1_3genE10ELNS1_11target_archE1200ELNS1_3gpuE4ELNS1_3repE0EEENS1_30default_config_static_selectorELNS0_4arch9wavefront6targetE0EEEvSZ_,"axG",@progbits,_ZN7rocprim17ROCPRIM_400000_NS6detail17trampoline_kernelINS0_13select_configILj256ELj13ELNS0_17block_load_methodE3ELS4_3ELS4_3ELNS0_20block_scan_algorithmE0ELj4294967295EEENS1_25partition_config_selectorILNS1_17partition_subalgoE3EjNS0_10empty_typeEbEEZZNS1_14partition_implILS8_3ELb0ES6_jNS0_17counting_iteratorIjlEEPS9_SE_NS0_5tupleIJPjSE_EEENSF_IJSE_SE_EEES9_SG_JZNS1_25segmented_radix_sort_implINS0_14default_configELb0EPK6__halfPSL_PKlPlN2at6native12_GLOBAL__N_18offset_tEEE10hipError_tPvRmT1_PNSt15iterator_traitsISZ_E10value_typeET2_T3_PNS10_IS15_E10value_typeET4_jRbjT5_S1B_jjP12ihipStream_tbEUljE_EEESW_SX_SY_S15_S19_S1B_T6_T7_T9_mT8_S1D_bDpT10_ENKUlT_T0_E_clISt17integral_constantIbLb1EES1P_IbLb0EEEEDaS1L_S1M_EUlS1L_E_NS1_11comp_targetILNS1_3genE10ELNS1_11target_archE1200ELNS1_3gpuE4ELNS1_3repE0EEENS1_30default_config_static_selectorELNS0_4arch9wavefront6targetE0EEEvSZ_,comdat
.Lfunc_end1831:
	.size	_ZN7rocprim17ROCPRIM_400000_NS6detail17trampoline_kernelINS0_13select_configILj256ELj13ELNS0_17block_load_methodE3ELS4_3ELS4_3ELNS0_20block_scan_algorithmE0ELj4294967295EEENS1_25partition_config_selectorILNS1_17partition_subalgoE3EjNS0_10empty_typeEbEEZZNS1_14partition_implILS8_3ELb0ES6_jNS0_17counting_iteratorIjlEEPS9_SE_NS0_5tupleIJPjSE_EEENSF_IJSE_SE_EEES9_SG_JZNS1_25segmented_radix_sort_implINS0_14default_configELb0EPK6__halfPSL_PKlPlN2at6native12_GLOBAL__N_18offset_tEEE10hipError_tPvRmT1_PNSt15iterator_traitsISZ_E10value_typeET2_T3_PNS10_IS15_E10value_typeET4_jRbjT5_S1B_jjP12ihipStream_tbEUljE_EEESW_SX_SY_S15_S19_S1B_T6_T7_T9_mT8_S1D_bDpT10_ENKUlT_T0_E_clISt17integral_constantIbLb1EES1P_IbLb0EEEEDaS1L_S1M_EUlS1L_E_NS1_11comp_targetILNS1_3genE10ELNS1_11target_archE1200ELNS1_3gpuE4ELNS1_3repE0EEENS1_30default_config_static_selectorELNS0_4arch9wavefront6targetE0EEEvSZ_, .Lfunc_end1831-_ZN7rocprim17ROCPRIM_400000_NS6detail17trampoline_kernelINS0_13select_configILj256ELj13ELNS0_17block_load_methodE3ELS4_3ELS4_3ELNS0_20block_scan_algorithmE0ELj4294967295EEENS1_25partition_config_selectorILNS1_17partition_subalgoE3EjNS0_10empty_typeEbEEZZNS1_14partition_implILS8_3ELb0ES6_jNS0_17counting_iteratorIjlEEPS9_SE_NS0_5tupleIJPjSE_EEENSF_IJSE_SE_EEES9_SG_JZNS1_25segmented_radix_sort_implINS0_14default_configELb0EPK6__halfPSL_PKlPlN2at6native12_GLOBAL__N_18offset_tEEE10hipError_tPvRmT1_PNSt15iterator_traitsISZ_E10value_typeET2_T3_PNS10_IS15_E10value_typeET4_jRbjT5_S1B_jjP12ihipStream_tbEUljE_EEESW_SX_SY_S15_S19_S1B_T6_T7_T9_mT8_S1D_bDpT10_ENKUlT_T0_E_clISt17integral_constantIbLb1EES1P_IbLb0EEEEDaS1L_S1M_EUlS1L_E_NS1_11comp_targetILNS1_3genE10ELNS1_11target_archE1200ELNS1_3gpuE4ELNS1_3repE0EEENS1_30default_config_static_selectorELNS0_4arch9wavefront6targetE0EEEvSZ_
                                        ; -- End function
	.set _ZN7rocprim17ROCPRIM_400000_NS6detail17trampoline_kernelINS0_13select_configILj256ELj13ELNS0_17block_load_methodE3ELS4_3ELS4_3ELNS0_20block_scan_algorithmE0ELj4294967295EEENS1_25partition_config_selectorILNS1_17partition_subalgoE3EjNS0_10empty_typeEbEEZZNS1_14partition_implILS8_3ELb0ES6_jNS0_17counting_iteratorIjlEEPS9_SE_NS0_5tupleIJPjSE_EEENSF_IJSE_SE_EEES9_SG_JZNS1_25segmented_radix_sort_implINS0_14default_configELb0EPK6__halfPSL_PKlPlN2at6native12_GLOBAL__N_18offset_tEEE10hipError_tPvRmT1_PNSt15iterator_traitsISZ_E10value_typeET2_T3_PNS10_IS15_E10value_typeET4_jRbjT5_S1B_jjP12ihipStream_tbEUljE_EEESW_SX_SY_S15_S19_S1B_T6_T7_T9_mT8_S1D_bDpT10_ENKUlT_T0_E_clISt17integral_constantIbLb1EES1P_IbLb0EEEEDaS1L_S1M_EUlS1L_E_NS1_11comp_targetILNS1_3genE10ELNS1_11target_archE1200ELNS1_3gpuE4ELNS1_3repE0EEENS1_30default_config_static_selectorELNS0_4arch9wavefront6targetE0EEEvSZ_.num_vgpr, 0
	.set _ZN7rocprim17ROCPRIM_400000_NS6detail17trampoline_kernelINS0_13select_configILj256ELj13ELNS0_17block_load_methodE3ELS4_3ELS4_3ELNS0_20block_scan_algorithmE0ELj4294967295EEENS1_25partition_config_selectorILNS1_17partition_subalgoE3EjNS0_10empty_typeEbEEZZNS1_14partition_implILS8_3ELb0ES6_jNS0_17counting_iteratorIjlEEPS9_SE_NS0_5tupleIJPjSE_EEENSF_IJSE_SE_EEES9_SG_JZNS1_25segmented_radix_sort_implINS0_14default_configELb0EPK6__halfPSL_PKlPlN2at6native12_GLOBAL__N_18offset_tEEE10hipError_tPvRmT1_PNSt15iterator_traitsISZ_E10value_typeET2_T3_PNS10_IS15_E10value_typeET4_jRbjT5_S1B_jjP12ihipStream_tbEUljE_EEESW_SX_SY_S15_S19_S1B_T6_T7_T9_mT8_S1D_bDpT10_ENKUlT_T0_E_clISt17integral_constantIbLb1EES1P_IbLb0EEEEDaS1L_S1M_EUlS1L_E_NS1_11comp_targetILNS1_3genE10ELNS1_11target_archE1200ELNS1_3gpuE4ELNS1_3repE0EEENS1_30default_config_static_selectorELNS0_4arch9wavefront6targetE0EEEvSZ_.num_agpr, 0
	.set _ZN7rocprim17ROCPRIM_400000_NS6detail17trampoline_kernelINS0_13select_configILj256ELj13ELNS0_17block_load_methodE3ELS4_3ELS4_3ELNS0_20block_scan_algorithmE0ELj4294967295EEENS1_25partition_config_selectorILNS1_17partition_subalgoE3EjNS0_10empty_typeEbEEZZNS1_14partition_implILS8_3ELb0ES6_jNS0_17counting_iteratorIjlEEPS9_SE_NS0_5tupleIJPjSE_EEENSF_IJSE_SE_EEES9_SG_JZNS1_25segmented_radix_sort_implINS0_14default_configELb0EPK6__halfPSL_PKlPlN2at6native12_GLOBAL__N_18offset_tEEE10hipError_tPvRmT1_PNSt15iterator_traitsISZ_E10value_typeET2_T3_PNS10_IS15_E10value_typeET4_jRbjT5_S1B_jjP12ihipStream_tbEUljE_EEESW_SX_SY_S15_S19_S1B_T6_T7_T9_mT8_S1D_bDpT10_ENKUlT_T0_E_clISt17integral_constantIbLb1EES1P_IbLb0EEEEDaS1L_S1M_EUlS1L_E_NS1_11comp_targetILNS1_3genE10ELNS1_11target_archE1200ELNS1_3gpuE4ELNS1_3repE0EEENS1_30default_config_static_selectorELNS0_4arch9wavefront6targetE0EEEvSZ_.numbered_sgpr, 0
	.set _ZN7rocprim17ROCPRIM_400000_NS6detail17trampoline_kernelINS0_13select_configILj256ELj13ELNS0_17block_load_methodE3ELS4_3ELS4_3ELNS0_20block_scan_algorithmE0ELj4294967295EEENS1_25partition_config_selectorILNS1_17partition_subalgoE3EjNS0_10empty_typeEbEEZZNS1_14partition_implILS8_3ELb0ES6_jNS0_17counting_iteratorIjlEEPS9_SE_NS0_5tupleIJPjSE_EEENSF_IJSE_SE_EEES9_SG_JZNS1_25segmented_radix_sort_implINS0_14default_configELb0EPK6__halfPSL_PKlPlN2at6native12_GLOBAL__N_18offset_tEEE10hipError_tPvRmT1_PNSt15iterator_traitsISZ_E10value_typeET2_T3_PNS10_IS15_E10value_typeET4_jRbjT5_S1B_jjP12ihipStream_tbEUljE_EEESW_SX_SY_S15_S19_S1B_T6_T7_T9_mT8_S1D_bDpT10_ENKUlT_T0_E_clISt17integral_constantIbLb1EES1P_IbLb0EEEEDaS1L_S1M_EUlS1L_E_NS1_11comp_targetILNS1_3genE10ELNS1_11target_archE1200ELNS1_3gpuE4ELNS1_3repE0EEENS1_30default_config_static_selectorELNS0_4arch9wavefront6targetE0EEEvSZ_.num_named_barrier, 0
	.set _ZN7rocprim17ROCPRIM_400000_NS6detail17trampoline_kernelINS0_13select_configILj256ELj13ELNS0_17block_load_methodE3ELS4_3ELS4_3ELNS0_20block_scan_algorithmE0ELj4294967295EEENS1_25partition_config_selectorILNS1_17partition_subalgoE3EjNS0_10empty_typeEbEEZZNS1_14partition_implILS8_3ELb0ES6_jNS0_17counting_iteratorIjlEEPS9_SE_NS0_5tupleIJPjSE_EEENSF_IJSE_SE_EEES9_SG_JZNS1_25segmented_radix_sort_implINS0_14default_configELb0EPK6__halfPSL_PKlPlN2at6native12_GLOBAL__N_18offset_tEEE10hipError_tPvRmT1_PNSt15iterator_traitsISZ_E10value_typeET2_T3_PNS10_IS15_E10value_typeET4_jRbjT5_S1B_jjP12ihipStream_tbEUljE_EEESW_SX_SY_S15_S19_S1B_T6_T7_T9_mT8_S1D_bDpT10_ENKUlT_T0_E_clISt17integral_constantIbLb1EES1P_IbLb0EEEEDaS1L_S1M_EUlS1L_E_NS1_11comp_targetILNS1_3genE10ELNS1_11target_archE1200ELNS1_3gpuE4ELNS1_3repE0EEENS1_30default_config_static_selectorELNS0_4arch9wavefront6targetE0EEEvSZ_.private_seg_size, 0
	.set _ZN7rocprim17ROCPRIM_400000_NS6detail17trampoline_kernelINS0_13select_configILj256ELj13ELNS0_17block_load_methodE3ELS4_3ELS4_3ELNS0_20block_scan_algorithmE0ELj4294967295EEENS1_25partition_config_selectorILNS1_17partition_subalgoE3EjNS0_10empty_typeEbEEZZNS1_14partition_implILS8_3ELb0ES6_jNS0_17counting_iteratorIjlEEPS9_SE_NS0_5tupleIJPjSE_EEENSF_IJSE_SE_EEES9_SG_JZNS1_25segmented_radix_sort_implINS0_14default_configELb0EPK6__halfPSL_PKlPlN2at6native12_GLOBAL__N_18offset_tEEE10hipError_tPvRmT1_PNSt15iterator_traitsISZ_E10value_typeET2_T3_PNS10_IS15_E10value_typeET4_jRbjT5_S1B_jjP12ihipStream_tbEUljE_EEESW_SX_SY_S15_S19_S1B_T6_T7_T9_mT8_S1D_bDpT10_ENKUlT_T0_E_clISt17integral_constantIbLb1EES1P_IbLb0EEEEDaS1L_S1M_EUlS1L_E_NS1_11comp_targetILNS1_3genE10ELNS1_11target_archE1200ELNS1_3gpuE4ELNS1_3repE0EEENS1_30default_config_static_selectorELNS0_4arch9wavefront6targetE0EEEvSZ_.uses_vcc, 0
	.set _ZN7rocprim17ROCPRIM_400000_NS6detail17trampoline_kernelINS0_13select_configILj256ELj13ELNS0_17block_load_methodE3ELS4_3ELS4_3ELNS0_20block_scan_algorithmE0ELj4294967295EEENS1_25partition_config_selectorILNS1_17partition_subalgoE3EjNS0_10empty_typeEbEEZZNS1_14partition_implILS8_3ELb0ES6_jNS0_17counting_iteratorIjlEEPS9_SE_NS0_5tupleIJPjSE_EEENSF_IJSE_SE_EEES9_SG_JZNS1_25segmented_radix_sort_implINS0_14default_configELb0EPK6__halfPSL_PKlPlN2at6native12_GLOBAL__N_18offset_tEEE10hipError_tPvRmT1_PNSt15iterator_traitsISZ_E10value_typeET2_T3_PNS10_IS15_E10value_typeET4_jRbjT5_S1B_jjP12ihipStream_tbEUljE_EEESW_SX_SY_S15_S19_S1B_T6_T7_T9_mT8_S1D_bDpT10_ENKUlT_T0_E_clISt17integral_constantIbLb1EES1P_IbLb0EEEEDaS1L_S1M_EUlS1L_E_NS1_11comp_targetILNS1_3genE10ELNS1_11target_archE1200ELNS1_3gpuE4ELNS1_3repE0EEENS1_30default_config_static_selectorELNS0_4arch9wavefront6targetE0EEEvSZ_.uses_flat_scratch, 0
	.set _ZN7rocprim17ROCPRIM_400000_NS6detail17trampoline_kernelINS0_13select_configILj256ELj13ELNS0_17block_load_methodE3ELS4_3ELS4_3ELNS0_20block_scan_algorithmE0ELj4294967295EEENS1_25partition_config_selectorILNS1_17partition_subalgoE3EjNS0_10empty_typeEbEEZZNS1_14partition_implILS8_3ELb0ES6_jNS0_17counting_iteratorIjlEEPS9_SE_NS0_5tupleIJPjSE_EEENSF_IJSE_SE_EEES9_SG_JZNS1_25segmented_radix_sort_implINS0_14default_configELb0EPK6__halfPSL_PKlPlN2at6native12_GLOBAL__N_18offset_tEEE10hipError_tPvRmT1_PNSt15iterator_traitsISZ_E10value_typeET2_T3_PNS10_IS15_E10value_typeET4_jRbjT5_S1B_jjP12ihipStream_tbEUljE_EEESW_SX_SY_S15_S19_S1B_T6_T7_T9_mT8_S1D_bDpT10_ENKUlT_T0_E_clISt17integral_constantIbLb1EES1P_IbLb0EEEEDaS1L_S1M_EUlS1L_E_NS1_11comp_targetILNS1_3genE10ELNS1_11target_archE1200ELNS1_3gpuE4ELNS1_3repE0EEENS1_30default_config_static_selectorELNS0_4arch9wavefront6targetE0EEEvSZ_.has_dyn_sized_stack, 0
	.set _ZN7rocprim17ROCPRIM_400000_NS6detail17trampoline_kernelINS0_13select_configILj256ELj13ELNS0_17block_load_methodE3ELS4_3ELS4_3ELNS0_20block_scan_algorithmE0ELj4294967295EEENS1_25partition_config_selectorILNS1_17partition_subalgoE3EjNS0_10empty_typeEbEEZZNS1_14partition_implILS8_3ELb0ES6_jNS0_17counting_iteratorIjlEEPS9_SE_NS0_5tupleIJPjSE_EEENSF_IJSE_SE_EEES9_SG_JZNS1_25segmented_radix_sort_implINS0_14default_configELb0EPK6__halfPSL_PKlPlN2at6native12_GLOBAL__N_18offset_tEEE10hipError_tPvRmT1_PNSt15iterator_traitsISZ_E10value_typeET2_T3_PNS10_IS15_E10value_typeET4_jRbjT5_S1B_jjP12ihipStream_tbEUljE_EEESW_SX_SY_S15_S19_S1B_T6_T7_T9_mT8_S1D_bDpT10_ENKUlT_T0_E_clISt17integral_constantIbLb1EES1P_IbLb0EEEEDaS1L_S1M_EUlS1L_E_NS1_11comp_targetILNS1_3genE10ELNS1_11target_archE1200ELNS1_3gpuE4ELNS1_3repE0EEENS1_30default_config_static_selectorELNS0_4arch9wavefront6targetE0EEEvSZ_.has_recursion, 0
	.set _ZN7rocprim17ROCPRIM_400000_NS6detail17trampoline_kernelINS0_13select_configILj256ELj13ELNS0_17block_load_methodE3ELS4_3ELS4_3ELNS0_20block_scan_algorithmE0ELj4294967295EEENS1_25partition_config_selectorILNS1_17partition_subalgoE3EjNS0_10empty_typeEbEEZZNS1_14partition_implILS8_3ELb0ES6_jNS0_17counting_iteratorIjlEEPS9_SE_NS0_5tupleIJPjSE_EEENSF_IJSE_SE_EEES9_SG_JZNS1_25segmented_radix_sort_implINS0_14default_configELb0EPK6__halfPSL_PKlPlN2at6native12_GLOBAL__N_18offset_tEEE10hipError_tPvRmT1_PNSt15iterator_traitsISZ_E10value_typeET2_T3_PNS10_IS15_E10value_typeET4_jRbjT5_S1B_jjP12ihipStream_tbEUljE_EEESW_SX_SY_S15_S19_S1B_T6_T7_T9_mT8_S1D_bDpT10_ENKUlT_T0_E_clISt17integral_constantIbLb1EES1P_IbLb0EEEEDaS1L_S1M_EUlS1L_E_NS1_11comp_targetILNS1_3genE10ELNS1_11target_archE1200ELNS1_3gpuE4ELNS1_3repE0EEENS1_30default_config_static_selectorELNS0_4arch9wavefront6targetE0EEEvSZ_.has_indirect_call, 0
	.section	.AMDGPU.csdata,"",@progbits
; Kernel info:
; codeLenInByte = 4
; TotalNumSgprs: 0
; NumVgprs: 0
; ScratchSize: 0
; MemoryBound: 0
; FloatMode: 240
; IeeeMode: 1
; LDSByteSize: 0 bytes/workgroup (compile time only)
; SGPRBlocks: 0
; VGPRBlocks: 0
; NumSGPRsForWavesPerEU: 1
; NumVGPRsForWavesPerEU: 1
; Occupancy: 16
; WaveLimiterHint : 0
; COMPUTE_PGM_RSRC2:SCRATCH_EN: 0
; COMPUTE_PGM_RSRC2:USER_SGPR: 2
; COMPUTE_PGM_RSRC2:TRAP_HANDLER: 0
; COMPUTE_PGM_RSRC2:TGID_X_EN: 1
; COMPUTE_PGM_RSRC2:TGID_Y_EN: 0
; COMPUTE_PGM_RSRC2:TGID_Z_EN: 0
; COMPUTE_PGM_RSRC2:TIDIG_COMP_CNT: 0
	.section	.text._ZN7rocprim17ROCPRIM_400000_NS6detail17trampoline_kernelINS0_13select_configILj256ELj13ELNS0_17block_load_methodE3ELS4_3ELS4_3ELNS0_20block_scan_algorithmE0ELj4294967295EEENS1_25partition_config_selectorILNS1_17partition_subalgoE3EjNS0_10empty_typeEbEEZZNS1_14partition_implILS8_3ELb0ES6_jNS0_17counting_iteratorIjlEEPS9_SE_NS0_5tupleIJPjSE_EEENSF_IJSE_SE_EEES9_SG_JZNS1_25segmented_radix_sort_implINS0_14default_configELb0EPK6__halfPSL_PKlPlN2at6native12_GLOBAL__N_18offset_tEEE10hipError_tPvRmT1_PNSt15iterator_traitsISZ_E10value_typeET2_T3_PNS10_IS15_E10value_typeET4_jRbjT5_S1B_jjP12ihipStream_tbEUljE_EEESW_SX_SY_S15_S19_S1B_T6_T7_T9_mT8_S1D_bDpT10_ENKUlT_T0_E_clISt17integral_constantIbLb1EES1P_IbLb0EEEEDaS1L_S1M_EUlS1L_E_NS1_11comp_targetILNS1_3genE9ELNS1_11target_archE1100ELNS1_3gpuE3ELNS1_3repE0EEENS1_30default_config_static_selectorELNS0_4arch9wavefront6targetE0EEEvSZ_,"axG",@progbits,_ZN7rocprim17ROCPRIM_400000_NS6detail17trampoline_kernelINS0_13select_configILj256ELj13ELNS0_17block_load_methodE3ELS4_3ELS4_3ELNS0_20block_scan_algorithmE0ELj4294967295EEENS1_25partition_config_selectorILNS1_17partition_subalgoE3EjNS0_10empty_typeEbEEZZNS1_14partition_implILS8_3ELb0ES6_jNS0_17counting_iteratorIjlEEPS9_SE_NS0_5tupleIJPjSE_EEENSF_IJSE_SE_EEES9_SG_JZNS1_25segmented_radix_sort_implINS0_14default_configELb0EPK6__halfPSL_PKlPlN2at6native12_GLOBAL__N_18offset_tEEE10hipError_tPvRmT1_PNSt15iterator_traitsISZ_E10value_typeET2_T3_PNS10_IS15_E10value_typeET4_jRbjT5_S1B_jjP12ihipStream_tbEUljE_EEESW_SX_SY_S15_S19_S1B_T6_T7_T9_mT8_S1D_bDpT10_ENKUlT_T0_E_clISt17integral_constantIbLb1EES1P_IbLb0EEEEDaS1L_S1M_EUlS1L_E_NS1_11comp_targetILNS1_3genE9ELNS1_11target_archE1100ELNS1_3gpuE3ELNS1_3repE0EEENS1_30default_config_static_selectorELNS0_4arch9wavefront6targetE0EEEvSZ_,comdat
	.globl	_ZN7rocprim17ROCPRIM_400000_NS6detail17trampoline_kernelINS0_13select_configILj256ELj13ELNS0_17block_load_methodE3ELS4_3ELS4_3ELNS0_20block_scan_algorithmE0ELj4294967295EEENS1_25partition_config_selectorILNS1_17partition_subalgoE3EjNS0_10empty_typeEbEEZZNS1_14partition_implILS8_3ELb0ES6_jNS0_17counting_iteratorIjlEEPS9_SE_NS0_5tupleIJPjSE_EEENSF_IJSE_SE_EEES9_SG_JZNS1_25segmented_radix_sort_implINS0_14default_configELb0EPK6__halfPSL_PKlPlN2at6native12_GLOBAL__N_18offset_tEEE10hipError_tPvRmT1_PNSt15iterator_traitsISZ_E10value_typeET2_T3_PNS10_IS15_E10value_typeET4_jRbjT5_S1B_jjP12ihipStream_tbEUljE_EEESW_SX_SY_S15_S19_S1B_T6_T7_T9_mT8_S1D_bDpT10_ENKUlT_T0_E_clISt17integral_constantIbLb1EES1P_IbLb0EEEEDaS1L_S1M_EUlS1L_E_NS1_11comp_targetILNS1_3genE9ELNS1_11target_archE1100ELNS1_3gpuE3ELNS1_3repE0EEENS1_30default_config_static_selectorELNS0_4arch9wavefront6targetE0EEEvSZ_ ; -- Begin function _ZN7rocprim17ROCPRIM_400000_NS6detail17trampoline_kernelINS0_13select_configILj256ELj13ELNS0_17block_load_methodE3ELS4_3ELS4_3ELNS0_20block_scan_algorithmE0ELj4294967295EEENS1_25partition_config_selectorILNS1_17partition_subalgoE3EjNS0_10empty_typeEbEEZZNS1_14partition_implILS8_3ELb0ES6_jNS0_17counting_iteratorIjlEEPS9_SE_NS0_5tupleIJPjSE_EEENSF_IJSE_SE_EEES9_SG_JZNS1_25segmented_radix_sort_implINS0_14default_configELb0EPK6__halfPSL_PKlPlN2at6native12_GLOBAL__N_18offset_tEEE10hipError_tPvRmT1_PNSt15iterator_traitsISZ_E10value_typeET2_T3_PNS10_IS15_E10value_typeET4_jRbjT5_S1B_jjP12ihipStream_tbEUljE_EEESW_SX_SY_S15_S19_S1B_T6_T7_T9_mT8_S1D_bDpT10_ENKUlT_T0_E_clISt17integral_constantIbLb1EES1P_IbLb0EEEEDaS1L_S1M_EUlS1L_E_NS1_11comp_targetILNS1_3genE9ELNS1_11target_archE1100ELNS1_3gpuE3ELNS1_3repE0EEENS1_30default_config_static_selectorELNS0_4arch9wavefront6targetE0EEEvSZ_
	.p2align	8
	.type	_ZN7rocprim17ROCPRIM_400000_NS6detail17trampoline_kernelINS0_13select_configILj256ELj13ELNS0_17block_load_methodE3ELS4_3ELS4_3ELNS0_20block_scan_algorithmE0ELj4294967295EEENS1_25partition_config_selectorILNS1_17partition_subalgoE3EjNS0_10empty_typeEbEEZZNS1_14partition_implILS8_3ELb0ES6_jNS0_17counting_iteratorIjlEEPS9_SE_NS0_5tupleIJPjSE_EEENSF_IJSE_SE_EEES9_SG_JZNS1_25segmented_radix_sort_implINS0_14default_configELb0EPK6__halfPSL_PKlPlN2at6native12_GLOBAL__N_18offset_tEEE10hipError_tPvRmT1_PNSt15iterator_traitsISZ_E10value_typeET2_T3_PNS10_IS15_E10value_typeET4_jRbjT5_S1B_jjP12ihipStream_tbEUljE_EEESW_SX_SY_S15_S19_S1B_T6_T7_T9_mT8_S1D_bDpT10_ENKUlT_T0_E_clISt17integral_constantIbLb1EES1P_IbLb0EEEEDaS1L_S1M_EUlS1L_E_NS1_11comp_targetILNS1_3genE9ELNS1_11target_archE1100ELNS1_3gpuE3ELNS1_3repE0EEENS1_30default_config_static_selectorELNS0_4arch9wavefront6targetE0EEEvSZ_,@function
_ZN7rocprim17ROCPRIM_400000_NS6detail17trampoline_kernelINS0_13select_configILj256ELj13ELNS0_17block_load_methodE3ELS4_3ELS4_3ELNS0_20block_scan_algorithmE0ELj4294967295EEENS1_25partition_config_selectorILNS1_17partition_subalgoE3EjNS0_10empty_typeEbEEZZNS1_14partition_implILS8_3ELb0ES6_jNS0_17counting_iteratorIjlEEPS9_SE_NS0_5tupleIJPjSE_EEENSF_IJSE_SE_EEES9_SG_JZNS1_25segmented_radix_sort_implINS0_14default_configELb0EPK6__halfPSL_PKlPlN2at6native12_GLOBAL__N_18offset_tEEE10hipError_tPvRmT1_PNSt15iterator_traitsISZ_E10value_typeET2_T3_PNS10_IS15_E10value_typeET4_jRbjT5_S1B_jjP12ihipStream_tbEUljE_EEESW_SX_SY_S15_S19_S1B_T6_T7_T9_mT8_S1D_bDpT10_ENKUlT_T0_E_clISt17integral_constantIbLb1EES1P_IbLb0EEEEDaS1L_S1M_EUlS1L_E_NS1_11comp_targetILNS1_3genE9ELNS1_11target_archE1100ELNS1_3gpuE3ELNS1_3repE0EEENS1_30default_config_static_selectorELNS0_4arch9wavefront6targetE0EEEvSZ_: ; @_ZN7rocprim17ROCPRIM_400000_NS6detail17trampoline_kernelINS0_13select_configILj256ELj13ELNS0_17block_load_methodE3ELS4_3ELS4_3ELNS0_20block_scan_algorithmE0ELj4294967295EEENS1_25partition_config_selectorILNS1_17partition_subalgoE3EjNS0_10empty_typeEbEEZZNS1_14partition_implILS8_3ELb0ES6_jNS0_17counting_iteratorIjlEEPS9_SE_NS0_5tupleIJPjSE_EEENSF_IJSE_SE_EEES9_SG_JZNS1_25segmented_radix_sort_implINS0_14default_configELb0EPK6__halfPSL_PKlPlN2at6native12_GLOBAL__N_18offset_tEEE10hipError_tPvRmT1_PNSt15iterator_traitsISZ_E10value_typeET2_T3_PNS10_IS15_E10value_typeET4_jRbjT5_S1B_jjP12ihipStream_tbEUljE_EEESW_SX_SY_S15_S19_S1B_T6_T7_T9_mT8_S1D_bDpT10_ENKUlT_T0_E_clISt17integral_constantIbLb1EES1P_IbLb0EEEEDaS1L_S1M_EUlS1L_E_NS1_11comp_targetILNS1_3genE9ELNS1_11target_archE1100ELNS1_3gpuE3ELNS1_3repE0EEENS1_30default_config_static_selectorELNS0_4arch9wavefront6targetE0EEEvSZ_
; %bb.0:
	.section	.rodata,"a",@progbits
	.p2align	6, 0x0
	.amdhsa_kernel _ZN7rocprim17ROCPRIM_400000_NS6detail17trampoline_kernelINS0_13select_configILj256ELj13ELNS0_17block_load_methodE3ELS4_3ELS4_3ELNS0_20block_scan_algorithmE0ELj4294967295EEENS1_25partition_config_selectorILNS1_17partition_subalgoE3EjNS0_10empty_typeEbEEZZNS1_14partition_implILS8_3ELb0ES6_jNS0_17counting_iteratorIjlEEPS9_SE_NS0_5tupleIJPjSE_EEENSF_IJSE_SE_EEES9_SG_JZNS1_25segmented_radix_sort_implINS0_14default_configELb0EPK6__halfPSL_PKlPlN2at6native12_GLOBAL__N_18offset_tEEE10hipError_tPvRmT1_PNSt15iterator_traitsISZ_E10value_typeET2_T3_PNS10_IS15_E10value_typeET4_jRbjT5_S1B_jjP12ihipStream_tbEUljE_EEESW_SX_SY_S15_S19_S1B_T6_T7_T9_mT8_S1D_bDpT10_ENKUlT_T0_E_clISt17integral_constantIbLb1EES1P_IbLb0EEEEDaS1L_S1M_EUlS1L_E_NS1_11comp_targetILNS1_3genE9ELNS1_11target_archE1100ELNS1_3gpuE3ELNS1_3repE0EEENS1_30default_config_static_selectorELNS0_4arch9wavefront6targetE0EEEvSZ_
		.amdhsa_group_segment_fixed_size 0
		.amdhsa_private_segment_fixed_size 0
		.amdhsa_kernarg_size 144
		.amdhsa_user_sgpr_count 2
		.amdhsa_user_sgpr_dispatch_ptr 0
		.amdhsa_user_sgpr_queue_ptr 0
		.amdhsa_user_sgpr_kernarg_segment_ptr 1
		.amdhsa_user_sgpr_dispatch_id 0
		.amdhsa_user_sgpr_private_segment_size 0
		.amdhsa_wavefront_size32 1
		.amdhsa_uses_dynamic_stack 0
		.amdhsa_enable_private_segment 0
		.amdhsa_system_sgpr_workgroup_id_x 1
		.amdhsa_system_sgpr_workgroup_id_y 0
		.amdhsa_system_sgpr_workgroup_id_z 0
		.amdhsa_system_sgpr_workgroup_info 0
		.amdhsa_system_vgpr_workitem_id 0
		.amdhsa_next_free_vgpr 1
		.amdhsa_next_free_sgpr 1
		.amdhsa_reserve_vcc 0
		.amdhsa_float_round_mode_32 0
		.amdhsa_float_round_mode_16_64 0
		.amdhsa_float_denorm_mode_32 3
		.amdhsa_float_denorm_mode_16_64 3
		.amdhsa_fp16_overflow 0
		.amdhsa_workgroup_processor_mode 1
		.amdhsa_memory_ordered 1
		.amdhsa_forward_progress 1
		.amdhsa_inst_pref_size 0
		.amdhsa_round_robin_scheduling 0
		.amdhsa_exception_fp_ieee_invalid_op 0
		.amdhsa_exception_fp_denorm_src 0
		.amdhsa_exception_fp_ieee_div_zero 0
		.amdhsa_exception_fp_ieee_overflow 0
		.amdhsa_exception_fp_ieee_underflow 0
		.amdhsa_exception_fp_ieee_inexact 0
		.amdhsa_exception_int_div_zero 0
	.end_amdhsa_kernel
	.section	.text._ZN7rocprim17ROCPRIM_400000_NS6detail17trampoline_kernelINS0_13select_configILj256ELj13ELNS0_17block_load_methodE3ELS4_3ELS4_3ELNS0_20block_scan_algorithmE0ELj4294967295EEENS1_25partition_config_selectorILNS1_17partition_subalgoE3EjNS0_10empty_typeEbEEZZNS1_14partition_implILS8_3ELb0ES6_jNS0_17counting_iteratorIjlEEPS9_SE_NS0_5tupleIJPjSE_EEENSF_IJSE_SE_EEES9_SG_JZNS1_25segmented_radix_sort_implINS0_14default_configELb0EPK6__halfPSL_PKlPlN2at6native12_GLOBAL__N_18offset_tEEE10hipError_tPvRmT1_PNSt15iterator_traitsISZ_E10value_typeET2_T3_PNS10_IS15_E10value_typeET4_jRbjT5_S1B_jjP12ihipStream_tbEUljE_EEESW_SX_SY_S15_S19_S1B_T6_T7_T9_mT8_S1D_bDpT10_ENKUlT_T0_E_clISt17integral_constantIbLb1EES1P_IbLb0EEEEDaS1L_S1M_EUlS1L_E_NS1_11comp_targetILNS1_3genE9ELNS1_11target_archE1100ELNS1_3gpuE3ELNS1_3repE0EEENS1_30default_config_static_selectorELNS0_4arch9wavefront6targetE0EEEvSZ_,"axG",@progbits,_ZN7rocprim17ROCPRIM_400000_NS6detail17trampoline_kernelINS0_13select_configILj256ELj13ELNS0_17block_load_methodE3ELS4_3ELS4_3ELNS0_20block_scan_algorithmE0ELj4294967295EEENS1_25partition_config_selectorILNS1_17partition_subalgoE3EjNS0_10empty_typeEbEEZZNS1_14partition_implILS8_3ELb0ES6_jNS0_17counting_iteratorIjlEEPS9_SE_NS0_5tupleIJPjSE_EEENSF_IJSE_SE_EEES9_SG_JZNS1_25segmented_radix_sort_implINS0_14default_configELb0EPK6__halfPSL_PKlPlN2at6native12_GLOBAL__N_18offset_tEEE10hipError_tPvRmT1_PNSt15iterator_traitsISZ_E10value_typeET2_T3_PNS10_IS15_E10value_typeET4_jRbjT5_S1B_jjP12ihipStream_tbEUljE_EEESW_SX_SY_S15_S19_S1B_T6_T7_T9_mT8_S1D_bDpT10_ENKUlT_T0_E_clISt17integral_constantIbLb1EES1P_IbLb0EEEEDaS1L_S1M_EUlS1L_E_NS1_11comp_targetILNS1_3genE9ELNS1_11target_archE1100ELNS1_3gpuE3ELNS1_3repE0EEENS1_30default_config_static_selectorELNS0_4arch9wavefront6targetE0EEEvSZ_,comdat
.Lfunc_end1832:
	.size	_ZN7rocprim17ROCPRIM_400000_NS6detail17trampoline_kernelINS0_13select_configILj256ELj13ELNS0_17block_load_methodE3ELS4_3ELS4_3ELNS0_20block_scan_algorithmE0ELj4294967295EEENS1_25partition_config_selectorILNS1_17partition_subalgoE3EjNS0_10empty_typeEbEEZZNS1_14partition_implILS8_3ELb0ES6_jNS0_17counting_iteratorIjlEEPS9_SE_NS0_5tupleIJPjSE_EEENSF_IJSE_SE_EEES9_SG_JZNS1_25segmented_radix_sort_implINS0_14default_configELb0EPK6__halfPSL_PKlPlN2at6native12_GLOBAL__N_18offset_tEEE10hipError_tPvRmT1_PNSt15iterator_traitsISZ_E10value_typeET2_T3_PNS10_IS15_E10value_typeET4_jRbjT5_S1B_jjP12ihipStream_tbEUljE_EEESW_SX_SY_S15_S19_S1B_T6_T7_T9_mT8_S1D_bDpT10_ENKUlT_T0_E_clISt17integral_constantIbLb1EES1P_IbLb0EEEEDaS1L_S1M_EUlS1L_E_NS1_11comp_targetILNS1_3genE9ELNS1_11target_archE1100ELNS1_3gpuE3ELNS1_3repE0EEENS1_30default_config_static_selectorELNS0_4arch9wavefront6targetE0EEEvSZ_, .Lfunc_end1832-_ZN7rocprim17ROCPRIM_400000_NS6detail17trampoline_kernelINS0_13select_configILj256ELj13ELNS0_17block_load_methodE3ELS4_3ELS4_3ELNS0_20block_scan_algorithmE0ELj4294967295EEENS1_25partition_config_selectorILNS1_17partition_subalgoE3EjNS0_10empty_typeEbEEZZNS1_14partition_implILS8_3ELb0ES6_jNS0_17counting_iteratorIjlEEPS9_SE_NS0_5tupleIJPjSE_EEENSF_IJSE_SE_EEES9_SG_JZNS1_25segmented_radix_sort_implINS0_14default_configELb0EPK6__halfPSL_PKlPlN2at6native12_GLOBAL__N_18offset_tEEE10hipError_tPvRmT1_PNSt15iterator_traitsISZ_E10value_typeET2_T3_PNS10_IS15_E10value_typeET4_jRbjT5_S1B_jjP12ihipStream_tbEUljE_EEESW_SX_SY_S15_S19_S1B_T6_T7_T9_mT8_S1D_bDpT10_ENKUlT_T0_E_clISt17integral_constantIbLb1EES1P_IbLb0EEEEDaS1L_S1M_EUlS1L_E_NS1_11comp_targetILNS1_3genE9ELNS1_11target_archE1100ELNS1_3gpuE3ELNS1_3repE0EEENS1_30default_config_static_selectorELNS0_4arch9wavefront6targetE0EEEvSZ_
                                        ; -- End function
	.set _ZN7rocprim17ROCPRIM_400000_NS6detail17trampoline_kernelINS0_13select_configILj256ELj13ELNS0_17block_load_methodE3ELS4_3ELS4_3ELNS0_20block_scan_algorithmE0ELj4294967295EEENS1_25partition_config_selectorILNS1_17partition_subalgoE3EjNS0_10empty_typeEbEEZZNS1_14partition_implILS8_3ELb0ES6_jNS0_17counting_iteratorIjlEEPS9_SE_NS0_5tupleIJPjSE_EEENSF_IJSE_SE_EEES9_SG_JZNS1_25segmented_radix_sort_implINS0_14default_configELb0EPK6__halfPSL_PKlPlN2at6native12_GLOBAL__N_18offset_tEEE10hipError_tPvRmT1_PNSt15iterator_traitsISZ_E10value_typeET2_T3_PNS10_IS15_E10value_typeET4_jRbjT5_S1B_jjP12ihipStream_tbEUljE_EEESW_SX_SY_S15_S19_S1B_T6_T7_T9_mT8_S1D_bDpT10_ENKUlT_T0_E_clISt17integral_constantIbLb1EES1P_IbLb0EEEEDaS1L_S1M_EUlS1L_E_NS1_11comp_targetILNS1_3genE9ELNS1_11target_archE1100ELNS1_3gpuE3ELNS1_3repE0EEENS1_30default_config_static_selectorELNS0_4arch9wavefront6targetE0EEEvSZ_.num_vgpr, 0
	.set _ZN7rocprim17ROCPRIM_400000_NS6detail17trampoline_kernelINS0_13select_configILj256ELj13ELNS0_17block_load_methodE3ELS4_3ELS4_3ELNS0_20block_scan_algorithmE0ELj4294967295EEENS1_25partition_config_selectorILNS1_17partition_subalgoE3EjNS0_10empty_typeEbEEZZNS1_14partition_implILS8_3ELb0ES6_jNS0_17counting_iteratorIjlEEPS9_SE_NS0_5tupleIJPjSE_EEENSF_IJSE_SE_EEES9_SG_JZNS1_25segmented_radix_sort_implINS0_14default_configELb0EPK6__halfPSL_PKlPlN2at6native12_GLOBAL__N_18offset_tEEE10hipError_tPvRmT1_PNSt15iterator_traitsISZ_E10value_typeET2_T3_PNS10_IS15_E10value_typeET4_jRbjT5_S1B_jjP12ihipStream_tbEUljE_EEESW_SX_SY_S15_S19_S1B_T6_T7_T9_mT8_S1D_bDpT10_ENKUlT_T0_E_clISt17integral_constantIbLb1EES1P_IbLb0EEEEDaS1L_S1M_EUlS1L_E_NS1_11comp_targetILNS1_3genE9ELNS1_11target_archE1100ELNS1_3gpuE3ELNS1_3repE0EEENS1_30default_config_static_selectorELNS0_4arch9wavefront6targetE0EEEvSZ_.num_agpr, 0
	.set _ZN7rocprim17ROCPRIM_400000_NS6detail17trampoline_kernelINS0_13select_configILj256ELj13ELNS0_17block_load_methodE3ELS4_3ELS4_3ELNS0_20block_scan_algorithmE0ELj4294967295EEENS1_25partition_config_selectorILNS1_17partition_subalgoE3EjNS0_10empty_typeEbEEZZNS1_14partition_implILS8_3ELb0ES6_jNS0_17counting_iteratorIjlEEPS9_SE_NS0_5tupleIJPjSE_EEENSF_IJSE_SE_EEES9_SG_JZNS1_25segmented_radix_sort_implINS0_14default_configELb0EPK6__halfPSL_PKlPlN2at6native12_GLOBAL__N_18offset_tEEE10hipError_tPvRmT1_PNSt15iterator_traitsISZ_E10value_typeET2_T3_PNS10_IS15_E10value_typeET4_jRbjT5_S1B_jjP12ihipStream_tbEUljE_EEESW_SX_SY_S15_S19_S1B_T6_T7_T9_mT8_S1D_bDpT10_ENKUlT_T0_E_clISt17integral_constantIbLb1EES1P_IbLb0EEEEDaS1L_S1M_EUlS1L_E_NS1_11comp_targetILNS1_3genE9ELNS1_11target_archE1100ELNS1_3gpuE3ELNS1_3repE0EEENS1_30default_config_static_selectorELNS0_4arch9wavefront6targetE0EEEvSZ_.numbered_sgpr, 0
	.set _ZN7rocprim17ROCPRIM_400000_NS6detail17trampoline_kernelINS0_13select_configILj256ELj13ELNS0_17block_load_methodE3ELS4_3ELS4_3ELNS0_20block_scan_algorithmE0ELj4294967295EEENS1_25partition_config_selectorILNS1_17partition_subalgoE3EjNS0_10empty_typeEbEEZZNS1_14partition_implILS8_3ELb0ES6_jNS0_17counting_iteratorIjlEEPS9_SE_NS0_5tupleIJPjSE_EEENSF_IJSE_SE_EEES9_SG_JZNS1_25segmented_radix_sort_implINS0_14default_configELb0EPK6__halfPSL_PKlPlN2at6native12_GLOBAL__N_18offset_tEEE10hipError_tPvRmT1_PNSt15iterator_traitsISZ_E10value_typeET2_T3_PNS10_IS15_E10value_typeET4_jRbjT5_S1B_jjP12ihipStream_tbEUljE_EEESW_SX_SY_S15_S19_S1B_T6_T7_T9_mT8_S1D_bDpT10_ENKUlT_T0_E_clISt17integral_constantIbLb1EES1P_IbLb0EEEEDaS1L_S1M_EUlS1L_E_NS1_11comp_targetILNS1_3genE9ELNS1_11target_archE1100ELNS1_3gpuE3ELNS1_3repE0EEENS1_30default_config_static_selectorELNS0_4arch9wavefront6targetE0EEEvSZ_.num_named_barrier, 0
	.set _ZN7rocprim17ROCPRIM_400000_NS6detail17trampoline_kernelINS0_13select_configILj256ELj13ELNS0_17block_load_methodE3ELS4_3ELS4_3ELNS0_20block_scan_algorithmE0ELj4294967295EEENS1_25partition_config_selectorILNS1_17partition_subalgoE3EjNS0_10empty_typeEbEEZZNS1_14partition_implILS8_3ELb0ES6_jNS0_17counting_iteratorIjlEEPS9_SE_NS0_5tupleIJPjSE_EEENSF_IJSE_SE_EEES9_SG_JZNS1_25segmented_radix_sort_implINS0_14default_configELb0EPK6__halfPSL_PKlPlN2at6native12_GLOBAL__N_18offset_tEEE10hipError_tPvRmT1_PNSt15iterator_traitsISZ_E10value_typeET2_T3_PNS10_IS15_E10value_typeET4_jRbjT5_S1B_jjP12ihipStream_tbEUljE_EEESW_SX_SY_S15_S19_S1B_T6_T7_T9_mT8_S1D_bDpT10_ENKUlT_T0_E_clISt17integral_constantIbLb1EES1P_IbLb0EEEEDaS1L_S1M_EUlS1L_E_NS1_11comp_targetILNS1_3genE9ELNS1_11target_archE1100ELNS1_3gpuE3ELNS1_3repE0EEENS1_30default_config_static_selectorELNS0_4arch9wavefront6targetE0EEEvSZ_.private_seg_size, 0
	.set _ZN7rocprim17ROCPRIM_400000_NS6detail17trampoline_kernelINS0_13select_configILj256ELj13ELNS0_17block_load_methodE3ELS4_3ELS4_3ELNS0_20block_scan_algorithmE0ELj4294967295EEENS1_25partition_config_selectorILNS1_17partition_subalgoE3EjNS0_10empty_typeEbEEZZNS1_14partition_implILS8_3ELb0ES6_jNS0_17counting_iteratorIjlEEPS9_SE_NS0_5tupleIJPjSE_EEENSF_IJSE_SE_EEES9_SG_JZNS1_25segmented_radix_sort_implINS0_14default_configELb0EPK6__halfPSL_PKlPlN2at6native12_GLOBAL__N_18offset_tEEE10hipError_tPvRmT1_PNSt15iterator_traitsISZ_E10value_typeET2_T3_PNS10_IS15_E10value_typeET4_jRbjT5_S1B_jjP12ihipStream_tbEUljE_EEESW_SX_SY_S15_S19_S1B_T6_T7_T9_mT8_S1D_bDpT10_ENKUlT_T0_E_clISt17integral_constantIbLb1EES1P_IbLb0EEEEDaS1L_S1M_EUlS1L_E_NS1_11comp_targetILNS1_3genE9ELNS1_11target_archE1100ELNS1_3gpuE3ELNS1_3repE0EEENS1_30default_config_static_selectorELNS0_4arch9wavefront6targetE0EEEvSZ_.uses_vcc, 0
	.set _ZN7rocprim17ROCPRIM_400000_NS6detail17trampoline_kernelINS0_13select_configILj256ELj13ELNS0_17block_load_methodE3ELS4_3ELS4_3ELNS0_20block_scan_algorithmE0ELj4294967295EEENS1_25partition_config_selectorILNS1_17partition_subalgoE3EjNS0_10empty_typeEbEEZZNS1_14partition_implILS8_3ELb0ES6_jNS0_17counting_iteratorIjlEEPS9_SE_NS0_5tupleIJPjSE_EEENSF_IJSE_SE_EEES9_SG_JZNS1_25segmented_radix_sort_implINS0_14default_configELb0EPK6__halfPSL_PKlPlN2at6native12_GLOBAL__N_18offset_tEEE10hipError_tPvRmT1_PNSt15iterator_traitsISZ_E10value_typeET2_T3_PNS10_IS15_E10value_typeET4_jRbjT5_S1B_jjP12ihipStream_tbEUljE_EEESW_SX_SY_S15_S19_S1B_T6_T7_T9_mT8_S1D_bDpT10_ENKUlT_T0_E_clISt17integral_constantIbLb1EES1P_IbLb0EEEEDaS1L_S1M_EUlS1L_E_NS1_11comp_targetILNS1_3genE9ELNS1_11target_archE1100ELNS1_3gpuE3ELNS1_3repE0EEENS1_30default_config_static_selectorELNS0_4arch9wavefront6targetE0EEEvSZ_.uses_flat_scratch, 0
	.set _ZN7rocprim17ROCPRIM_400000_NS6detail17trampoline_kernelINS0_13select_configILj256ELj13ELNS0_17block_load_methodE3ELS4_3ELS4_3ELNS0_20block_scan_algorithmE0ELj4294967295EEENS1_25partition_config_selectorILNS1_17partition_subalgoE3EjNS0_10empty_typeEbEEZZNS1_14partition_implILS8_3ELb0ES6_jNS0_17counting_iteratorIjlEEPS9_SE_NS0_5tupleIJPjSE_EEENSF_IJSE_SE_EEES9_SG_JZNS1_25segmented_radix_sort_implINS0_14default_configELb0EPK6__halfPSL_PKlPlN2at6native12_GLOBAL__N_18offset_tEEE10hipError_tPvRmT1_PNSt15iterator_traitsISZ_E10value_typeET2_T3_PNS10_IS15_E10value_typeET4_jRbjT5_S1B_jjP12ihipStream_tbEUljE_EEESW_SX_SY_S15_S19_S1B_T6_T7_T9_mT8_S1D_bDpT10_ENKUlT_T0_E_clISt17integral_constantIbLb1EES1P_IbLb0EEEEDaS1L_S1M_EUlS1L_E_NS1_11comp_targetILNS1_3genE9ELNS1_11target_archE1100ELNS1_3gpuE3ELNS1_3repE0EEENS1_30default_config_static_selectorELNS0_4arch9wavefront6targetE0EEEvSZ_.has_dyn_sized_stack, 0
	.set _ZN7rocprim17ROCPRIM_400000_NS6detail17trampoline_kernelINS0_13select_configILj256ELj13ELNS0_17block_load_methodE3ELS4_3ELS4_3ELNS0_20block_scan_algorithmE0ELj4294967295EEENS1_25partition_config_selectorILNS1_17partition_subalgoE3EjNS0_10empty_typeEbEEZZNS1_14partition_implILS8_3ELb0ES6_jNS0_17counting_iteratorIjlEEPS9_SE_NS0_5tupleIJPjSE_EEENSF_IJSE_SE_EEES9_SG_JZNS1_25segmented_radix_sort_implINS0_14default_configELb0EPK6__halfPSL_PKlPlN2at6native12_GLOBAL__N_18offset_tEEE10hipError_tPvRmT1_PNSt15iterator_traitsISZ_E10value_typeET2_T3_PNS10_IS15_E10value_typeET4_jRbjT5_S1B_jjP12ihipStream_tbEUljE_EEESW_SX_SY_S15_S19_S1B_T6_T7_T9_mT8_S1D_bDpT10_ENKUlT_T0_E_clISt17integral_constantIbLb1EES1P_IbLb0EEEEDaS1L_S1M_EUlS1L_E_NS1_11comp_targetILNS1_3genE9ELNS1_11target_archE1100ELNS1_3gpuE3ELNS1_3repE0EEENS1_30default_config_static_selectorELNS0_4arch9wavefront6targetE0EEEvSZ_.has_recursion, 0
	.set _ZN7rocprim17ROCPRIM_400000_NS6detail17trampoline_kernelINS0_13select_configILj256ELj13ELNS0_17block_load_methodE3ELS4_3ELS4_3ELNS0_20block_scan_algorithmE0ELj4294967295EEENS1_25partition_config_selectorILNS1_17partition_subalgoE3EjNS0_10empty_typeEbEEZZNS1_14partition_implILS8_3ELb0ES6_jNS0_17counting_iteratorIjlEEPS9_SE_NS0_5tupleIJPjSE_EEENSF_IJSE_SE_EEES9_SG_JZNS1_25segmented_radix_sort_implINS0_14default_configELb0EPK6__halfPSL_PKlPlN2at6native12_GLOBAL__N_18offset_tEEE10hipError_tPvRmT1_PNSt15iterator_traitsISZ_E10value_typeET2_T3_PNS10_IS15_E10value_typeET4_jRbjT5_S1B_jjP12ihipStream_tbEUljE_EEESW_SX_SY_S15_S19_S1B_T6_T7_T9_mT8_S1D_bDpT10_ENKUlT_T0_E_clISt17integral_constantIbLb1EES1P_IbLb0EEEEDaS1L_S1M_EUlS1L_E_NS1_11comp_targetILNS1_3genE9ELNS1_11target_archE1100ELNS1_3gpuE3ELNS1_3repE0EEENS1_30default_config_static_selectorELNS0_4arch9wavefront6targetE0EEEvSZ_.has_indirect_call, 0
	.section	.AMDGPU.csdata,"",@progbits
; Kernel info:
; codeLenInByte = 0
; TotalNumSgprs: 0
; NumVgprs: 0
; ScratchSize: 0
; MemoryBound: 0
; FloatMode: 240
; IeeeMode: 1
; LDSByteSize: 0 bytes/workgroup (compile time only)
; SGPRBlocks: 0
; VGPRBlocks: 0
; NumSGPRsForWavesPerEU: 1
; NumVGPRsForWavesPerEU: 1
; Occupancy: 16
; WaveLimiterHint : 0
; COMPUTE_PGM_RSRC2:SCRATCH_EN: 0
; COMPUTE_PGM_RSRC2:USER_SGPR: 2
; COMPUTE_PGM_RSRC2:TRAP_HANDLER: 0
; COMPUTE_PGM_RSRC2:TGID_X_EN: 1
; COMPUTE_PGM_RSRC2:TGID_Y_EN: 0
; COMPUTE_PGM_RSRC2:TGID_Z_EN: 0
; COMPUTE_PGM_RSRC2:TIDIG_COMP_CNT: 0
	.section	.text._ZN7rocprim17ROCPRIM_400000_NS6detail17trampoline_kernelINS0_13select_configILj256ELj13ELNS0_17block_load_methodE3ELS4_3ELS4_3ELNS0_20block_scan_algorithmE0ELj4294967295EEENS1_25partition_config_selectorILNS1_17partition_subalgoE3EjNS0_10empty_typeEbEEZZNS1_14partition_implILS8_3ELb0ES6_jNS0_17counting_iteratorIjlEEPS9_SE_NS0_5tupleIJPjSE_EEENSF_IJSE_SE_EEES9_SG_JZNS1_25segmented_radix_sort_implINS0_14default_configELb0EPK6__halfPSL_PKlPlN2at6native12_GLOBAL__N_18offset_tEEE10hipError_tPvRmT1_PNSt15iterator_traitsISZ_E10value_typeET2_T3_PNS10_IS15_E10value_typeET4_jRbjT5_S1B_jjP12ihipStream_tbEUljE_EEESW_SX_SY_S15_S19_S1B_T6_T7_T9_mT8_S1D_bDpT10_ENKUlT_T0_E_clISt17integral_constantIbLb1EES1P_IbLb0EEEEDaS1L_S1M_EUlS1L_E_NS1_11comp_targetILNS1_3genE8ELNS1_11target_archE1030ELNS1_3gpuE2ELNS1_3repE0EEENS1_30default_config_static_selectorELNS0_4arch9wavefront6targetE0EEEvSZ_,"axG",@progbits,_ZN7rocprim17ROCPRIM_400000_NS6detail17trampoline_kernelINS0_13select_configILj256ELj13ELNS0_17block_load_methodE3ELS4_3ELS4_3ELNS0_20block_scan_algorithmE0ELj4294967295EEENS1_25partition_config_selectorILNS1_17partition_subalgoE3EjNS0_10empty_typeEbEEZZNS1_14partition_implILS8_3ELb0ES6_jNS0_17counting_iteratorIjlEEPS9_SE_NS0_5tupleIJPjSE_EEENSF_IJSE_SE_EEES9_SG_JZNS1_25segmented_radix_sort_implINS0_14default_configELb0EPK6__halfPSL_PKlPlN2at6native12_GLOBAL__N_18offset_tEEE10hipError_tPvRmT1_PNSt15iterator_traitsISZ_E10value_typeET2_T3_PNS10_IS15_E10value_typeET4_jRbjT5_S1B_jjP12ihipStream_tbEUljE_EEESW_SX_SY_S15_S19_S1B_T6_T7_T9_mT8_S1D_bDpT10_ENKUlT_T0_E_clISt17integral_constantIbLb1EES1P_IbLb0EEEEDaS1L_S1M_EUlS1L_E_NS1_11comp_targetILNS1_3genE8ELNS1_11target_archE1030ELNS1_3gpuE2ELNS1_3repE0EEENS1_30default_config_static_selectorELNS0_4arch9wavefront6targetE0EEEvSZ_,comdat
	.globl	_ZN7rocprim17ROCPRIM_400000_NS6detail17trampoline_kernelINS0_13select_configILj256ELj13ELNS0_17block_load_methodE3ELS4_3ELS4_3ELNS0_20block_scan_algorithmE0ELj4294967295EEENS1_25partition_config_selectorILNS1_17partition_subalgoE3EjNS0_10empty_typeEbEEZZNS1_14partition_implILS8_3ELb0ES6_jNS0_17counting_iteratorIjlEEPS9_SE_NS0_5tupleIJPjSE_EEENSF_IJSE_SE_EEES9_SG_JZNS1_25segmented_radix_sort_implINS0_14default_configELb0EPK6__halfPSL_PKlPlN2at6native12_GLOBAL__N_18offset_tEEE10hipError_tPvRmT1_PNSt15iterator_traitsISZ_E10value_typeET2_T3_PNS10_IS15_E10value_typeET4_jRbjT5_S1B_jjP12ihipStream_tbEUljE_EEESW_SX_SY_S15_S19_S1B_T6_T7_T9_mT8_S1D_bDpT10_ENKUlT_T0_E_clISt17integral_constantIbLb1EES1P_IbLb0EEEEDaS1L_S1M_EUlS1L_E_NS1_11comp_targetILNS1_3genE8ELNS1_11target_archE1030ELNS1_3gpuE2ELNS1_3repE0EEENS1_30default_config_static_selectorELNS0_4arch9wavefront6targetE0EEEvSZ_ ; -- Begin function _ZN7rocprim17ROCPRIM_400000_NS6detail17trampoline_kernelINS0_13select_configILj256ELj13ELNS0_17block_load_methodE3ELS4_3ELS4_3ELNS0_20block_scan_algorithmE0ELj4294967295EEENS1_25partition_config_selectorILNS1_17partition_subalgoE3EjNS0_10empty_typeEbEEZZNS1_14partition_implILS8_3ELb0ES6_jNS0_17counting_iteratorIjlEEPS9_SE_NS0_5tupleIJPjSE_EEENSF_IJSE_SE_EEES9_SG_JZNS1_25segmented_radix_sort_implINS0_14default_configELb0EPK6__halfPSL_PKlPlN2at6native12_GLOBAL__N_18offset_tEEE10hipError_tPvRmT1_PNSt15iterator_traitsISZ_E10value_typeET2_T3_PNS10_IS15_E10value_typeET4_jRbjT5_S1B_jjP12ihipStream_tbEUljE_EEESW_SX_SY_S15_S19_S1B_T6_T7_T9_mT8_S1D_bDpT10_ENKUlT_T0_E_clISt17integral_constantIbLb1EES1P_IbLb0EEEEDaS1L_S1M_EUlS1L_E_NS1_11comp_targetILNS1_3genE8ELNS1_11target_archE1030ELNS1_3gpuE2ELNS1_3repE0EEENS1_30default_config_static_selectorELNS0_4arch9wavefront6targetE0EEEvSZ_
	.p2align	8
	.type	_ZN7rocprim17ROCPRIM_400000_NS6detail17trampoline_kernelINS0_13select_configILj256ELj13ELNS0_17block_load_methodE3ELS4_3ELS4_3ELNS0_20block_scan_algorithmE0ELj4294967295EEENS1_25partition_config_selectorILNS1_17partition_subalgoE3EjNS0_10empty_typeEbEEZZNS1_14partition_implILS8_3ELb0ES6_jNS0_17counting_iteratorIjlEEPS9_SE_NS0_5tupleIJPjSE_EEENSF_IJSE_SE_EEES9_SG_JZNS1_25segmented_radix_sort_implINS0_14default_configELb0EPK6__halfPSL_PKlPlN2at6native12_GLOBAL__N_18offset_tEEE10hipError_tPvRmT1_PNSt15iterator_traitsISZ_E10value_typeET2_T3_PNS10_IS15_E10value_typeET4_jRbjT5_S1B_jjP12ihipStream_tbEUljE_EEESW_SX_SY_S15_S19_S1B_T6_T7_T9_mT8_S1D_bDpT10_ENKUlT_T0_E_clISt17integral_constantIbLb1EES1P_IbLb0EEEEDaS1L_S1M_EUlS1L_E_NS1_11comp_targetILNS1_3genE8ELNS1_11target_archE1030ELNS1_3gpuE2ELNS1_3repE0EEENS1_30default_config_static_selectorELNS0_4arch9wavefront6targetE0EEEvSZ_,@function
_ZN7rocprim17ROCPRIM_400000_NS6detail17trampoline_kernelINS0_13select_configILj256ELj13ELNS0_17block_load_methodE3ELS4_3ELS4_3ELNS0_20block_scan_algorithmE0ELj4294967295EEENS1_25partition_config_selectorILNS1_17partition_subalgoE3EjNS0_10empty_typeEbEEZZNS1_14partition_implILS8_3ELb0ES6_jNS0_17counting_iteratorIjlEEPS9_SE_NS0_5tupleIJPjSE_EEENSF_IJSE_SE_EEES9_SG_JZNS1_25segmented_radix_sort_implINS0_14default_configELb0EPK6__halfPSL_PKlPlN2at6native12_GLOBAL__N_18offset_tEEE10hipError_tPvRmT1_PNSt15iterator_traitsISZ_E10value_typeET2_T3_PNS10_IS15_E10value_typeET4_jRbjT5_S1B_jjP12ihipStream_tbEUljE_EEESW_SX_SY_S15_S19_S1B_T6_T7_T9_mT8_S1D_bDpT10_ENKUlT_T0_E_clISt17integral_constantIbLb1EES1P_IbLb0EEEEDaS1L_S1M_EUlS1L_E_NS1_11comp_targetILNS1_3genE8ELNS1_11target_archE1030ELNS1_3gpuE2ELNS1_3repE0EEENS1_30default_config_static_selectorELNS0_4arch9wavefront6targetE0EEEvSZ_: ; @_ZN7rocprim17ROCPRIM_400000_NS6detail17trampoline_kernelINS0_13select_configILj256ELj13ELNS0_17block_load_methodE3ELS4_3ELS4_3ELNS0_20block_scan_algorithmE0ELj4294967295EEENS1_25partition_config_selectorILNS1_17partition_subalgoE3EjNS0_10empty_typeEbEEZZNS1_14partition_implILS8_3ELb0ES6_jNS0_17counting_iteratorIjlEEPS9_SE_NS0_5tupleIJPjSE_EEENSF_IJSE_SE_EEES9_SG_JZNS1_25segmented_radix_sort_implINS0_14default_configELb0EPK6__halfPSL_PKlPlN2at6native12_GLOBAL__N_18offset_tEEE10hipError_tPvRmT1_PNSt15iterator_traitsISZ_E10value_typeET2_T3_PNS10_IS15_E10value_typeET4_jRbjT5_S1B_jjP12ihipStream_tbEUljE_EEESW_SX_SY_S15_S19_S1B_T6_T7_T9_mT8_S1D_bDpT10_ENKUlT_T0_E_clISt17integral_constantIbLb1EES1P_IbLb0EEEEDaS1L_S1M_EUlS1L_E_NS1_11comp_targetILNS1_3genE8ELNS1_11target_archE1030ELNS1_3gpuE2ELNS1_3repE0EEENS1_30default_config_static_selectorELNS0_4arch9wavefront6targetE0EEEvSZ_
; %bb.0:
	.section	.rodata,"a",@progbits
	.p2align	6, 0x0
	.amdhsa_kernel _ZN7rocprim17ROCPRIM_400000_NS6detail17trampoline_kernelINS0_13select_configILj256ELj13ELNS0_17block_load_methodE3ELS4_3ELS4_3ELNS0_20block_scan_algorithmE0ELj4294967295EEENS1_25partition_config_selectorILNS1_17partition_subalgoE3EjNS0_10empty_typeEbEEZZNS1_14partition_implILS8_3ELb0ES6_jNS0_17counting_iteratorIjlEEPS9_SE_NS0_5tupleIJPjSE_EEENSF_IJSE_SE_EEES9_SG_JZNS1_25segmented_radix_sort_implINS0_14default_configELb0EPK6__halfPSL_PKlPlN2at6native12_GLOBAL__N_18offset_tEEE10hipError_tPvRmT1_PNSt15iterator_traitsISZ_E10value_typeET2_T3_PNS10_IS15_E10value_typeET4_jRbjT5_S1B_jjP12ihipStream_tbEUljE_EEESW_SX_SY_S15_S19_S1B_T6_T7_T9_mT8_S1D_bDpT10_ENKUlT_T0_E_clISt17integral_constantIbLb1EES1P_IbLb0EEEEDaS1L_S1M_EUlS1L_E_NS1_11comp_targetILNS1_3genE8ELNS1_11target_archE1030ELNS1_3gpuE2ELNS1_3repE0EEENS1_30default_config_static_selectorELNS0_4arch9wavefront6targetE0EEEvSZ_
		.amdhsa_group_segment_fixed_size 0
		.amdhsa_private_segment_fixed_size 0
		.amdhsa_kernarg_size 144
		.amdhsa_user_sgpr_count 2
		.amdhsa_user_sgpr_dispatch_ptr 0
		.amdhsa_user_sgpr_queue_ptr 0
		.amdhsa_user_sgpr_kernarg_segment_ptr 1
		.amdhsa_user_sgpr_dispatch_id 0
		.amdhsa_user_sgpr_private_segment_size 0
		.amdhsa_wavefront_size32 1
		.amdhsa_uses_dynamic_stack 0
		.amdhsa_enable_private_segment 0
		.amdhsa_system_sgpr_workgroup_id_x 1
		.amdhsa_system_sgpr_workgroup_id_y 0
		.amdhsa_system_sgpr_workgroup_id_z 0
		.amdhsa_system_sgpr_workgroup_info 0
		.amdhsa_system_vgpr_workitem_id 0
		.amdhsa_next_free_vgpr 1
		.amdhsa_next_free_sgpr 1
		.amdhsa_reserve_vcc 0
		.amdhsa_float_round_mode_32 0
		.amdhsa_float_round_mode_16_64 0
		.amdhsa_float_denorm_mode_32 3
		.amdhsa_float_denorm_mode_16_64 3
		.amdhsa_fp16_overflow 0
		.amdhsa_workgroup_processor_mode 1
		.amdhsa_memory_ordered 1
		.amdhsa_forward_progress 1
		.amdhsa_inst_pref_size 0
		.amdhsa_round_robin_scheduling 0
		.amdhsa_exception_fp_ieee_invalid_op 0
		.amdhsa_exception_fp_denorm_src 0
		.amdhsa_exception_fp_ieee_div_zero 0
		.amdhsa_exception_fp_ieee_overflow 0
		.amdhsa_exception_fp_ieee_underflow 0
		.amdhsa_exception_fp_ieee_inexact 0
		.amdhsa_exception_int_div_zero 0
	.end_amdhsa_kernel
	.section	.text._ZN7rocprim17ROCPRIM_400000_NS6detail17trampoline_kernelINS0_13select_configILj256ELj13ELNS0_17block_load_methodE3ELS4_3ELS4_3ELNS0_20block_scan_algorithmE0ELj4294967295EEENS1_25partition_config_selectorILNS1_17partition_subalgoE3EjNS0_10empty_typeEbEEZZNS1_14partition_implILS8_3ELb0ES6_jNS0_17counting_iteratorIjlEEPS9_SE_NS0_5tupleIJPjSE_EEENSF_IJSE_SE_EEES9_SG_JZNS1_25segmented_radix_sort_implINS0_14default_configELb0EPK6__halfPSL_PKlPlN2at6native12_GLOBAL__N_18offset_tEEE10hipError_tPvRmT1_PNSt15iterator_traitsISZ_E10value_typeET2_T3_PNS10_IS15_E10value_typeET4_jRbjT5_S1B_jjP12ihipStream_tbEUljE_EEESW_SX_SY_S15_S19_S1B_T6_T7_T9_mT8_S1D_bDpT10_ENKUlT_T0_E_clISt17integral_constantIbLb1EES1P_IbLb0EEEEDaS1L_S1M_EUlS1L_E_NS1_11comp_targetILNS1_3genE8ELNS1_11target_archE1030ELNS1_3gpuE2ELNS1_3repE0EEENS1_30default_config_static_selectorELNS0_4arch9wavefront6targetE0EEEvSZ_,"axG",@progbits,_ZN7rocprim17ROCPRIM_400000_NS6detail17trampoline_kernelINS0_13select_configILj256ELj13ELNS0_17block_load_methodE3ELS4_3ELS4_3ELNS0_20block_scan_algorithmE0ELj4294967295EEENS1_25partition_config_selectorILNS1_17partition_subalgoE3EjNS0_10empty_typeEbEEZZNS1_14partition_implILS8_3ELb0ES6_jNS0_17counting_iteratorIjlEEPS9_SE_NS0_5tupleIJPjSE_EEENSF_IJSE_SE_EEES9_SG_JZNS1_25segmented_radix_sort_implINS0_14default_configELb0EPK6__halfPSL_PKlPlN2at6native12_GLOBAL__N_18offset_tEEE10hipError_tPvRmT1_PNSt15iterator_traitsISZ_E10value_typeET2_T3_PNS10_IS15_E10value_typeET4_jRbjT5_S1B_jjP12ihipStream_tbEUljE_EEESW_SX_SY_S15_S19_S1B_T6_T7_T9_mT8_S1D_bDpT10_ENKUlT_T0_E_clISt17integral_constantIbLb1EES1P_IbLb0EEEEDaS1L_S1M_EUlS1L_E_NS1_11comp_targetILNS1_3genE8ELNS1_11target_archE1030ELNS1_3gpuE2ELNS1_3repE0EEENS1_30default_config_static_selectorELNS0_4arch9wavefront6targetE0EEEvSZ_,comdat
.Lfunc_end1833:
	.size	_ZN7rocprim17ROCPRIM_400000_NS6detail17trampoline_kernelINS0_13select_configILj256ELj13ELNS0_17block_load_methodE3ELS4_3ELS4_3ELNS0_20block_scan_algorithmE0ELj4294967295EEENS1_25partition_config_selectorILNS1_17partition_subalgoE3EjNS0_10empty_typeEbEEZZNS1_14partition_implILS8_3ELb0ES6_jNS0_17counting_iteratorIjlEEPS9_SE_NS0_5tupleIJPjSE_EEENSF_IJSE_SE_EEES9_SG_JZNS1_25segmented_radix_sort_implINS0_14default_configELb0EPK6__halfPSL_PKlPlN2at6native12_GLOBAL__N_18offset_tEEE10hipError_tPvRmT1_PNSt15iterator_traitsISZ_E10value_typeET2_T3_PNS10_IS15_E10value_typeET4_jRbjT5_S1B_jjP12ihipStream_tbEUljE_EEESW_SX_SY_S15_S19_S1B_T6_T7_T9_mT8_S1D_bDpT10_ENKUlT_T0_E_clISt17integral_constantIbLb1EES1P_IbLb0EEEEDaS1L_S1M_EUlS1L_E_NS1_11comp_targetILNS1_3genE8ELNS1_11target_archE1030ELNS1_3gpuE2ELNS1_3repE0EEENS1_30default_config_static_selectorELNS0_4arch9wavefront6targetE0EEEvSZ_, .Lfunc_end1833-_ZN7rocprim17ROCPRIM_400000_NS6detail17trampoline_kernelINS0_13select_configILj256ELj13ELNS0_17block_load_methodE3ELS4_3ELS4_3ELNS0_20block_scan_algorithmE0ELj4294967295EEENS1_25partition_config_selectorILNS1_17partition_subalgoE3EjNS0_10empty_typeEbEEZZNS1_14partition_implILS8_3ELb0ES6_jNS0_17counting_iteratorIjlEEPS9_SE_NS0_5tupleIJPjSE_EEENSF_IJSE_SE_EEES9_SG_JZNS1_25segmented_radix_sort_implINS0_14default_configELb0EPK6__halfPSL_PKlPlN2at6native12_GLOBAL__N_18offset_tEEE10hipError_tPvRmT1_PNSt15iterator_traitsISZ_E10value_typeET2_T3_PNS10_IS15_E10value_typeET4_jRbjT5_S1B_jjP12ihipStream_tbEUljE_EEESW_SX_SY_S15_S19_S1B_T6_T7_T9_mT8_S1D_bDpT10_ENKUlT_T0_E_clISt17integral_constantIbLb1EES1P_IbLb0EEEEDaS1L_S1M_EUlS1L_E_NS1_11comp_targetILNS1_3genE8ELNS1_11target_archE1030ELNS1_3gpuE2ELNS1_3repE0EEENS1_30default_config_static_selectorELNS0_4arch9wavefront6targetE0EEEvSZ_
                                        ; -- End function
	.set _ZN7rocprim17ROCPRIM_400000_NS6detail17trampoline_kernelINS0_13select_configILj256ELj13ELNS0_17block_load_methodE3ELS4_3ELS4_3ELNS0_20block_scan_algorithmE0ELj4294967295EEENS1_25partition_config_selectorILNS1_17partition_subalgoE3EjNS0_10empty_typeEbEEZZNS1_14partition_implILS8_3ELb0ES6_jNS0_17counting_iteratorIjlEEPS9_SE_NS0_5tupleIJPjSE_EEENSF_IJSE_SE_EEES9_SG_JZNS1_25segmented_radix_sort_implINS0_14default_configELb0EPK6__halfPSL_PKlPlN2at6native12_GLOBAL__N_18offset_tEEE10hipError_tPvRmT1_PNSt15iterator_traitsISZ_E10value_typeET2_T3_PNS10_IS15_E10value_typeET4_jRbjT5_S1B_jjP12ihipStream_tbEUljE_EEESW_SX_SY_S15_S19_S1B_T6_T7_T9_mT8_S1D_bDpT10_ENKUlT_T0_E_clISt17integral_constantIbLb1EES1P_IbLb0EEEEDaS1L_S1M_EUlS1L_E_NS1_11comp_targetILNS1_3genE8ELNS1_11target_archE1030ELNS1_3gpuE2ELNS1_3repE0EEENS1_30default_config_static_selectorELNS0_4arch9wavefront6targetE0EEEvSZ_.num_vgpr, 0
	.set _ZN7rocprim17ROCPRIM_400000_NS6detail17trampoline_kernelINS0_13select_configILj256ELj13ELNS0_17block_load_methodE3ELS4_3ELS4_3ELNS0_20block_scan_algorithmE0ELj4294967295EEENS1_25partition_config_selectorILNS1_17partition_subalgoE3EjNS0_10empty_typeEbEEZZNS1_14partition_implILS8_3ELb0ES6_jNS0_17counting_iteratorIjlEEPS9_SE_NS0_5tupleIJPjSE_EEENSF_IJSE_SE_EEES9_SG_JZNS1_25segmented_radix_sort_implINS0_14default_configELb0EPK6__halfPSL_PKlPlN2at6native12_GLOBAL__N_18offset_tEEE10hipError_tPvRmT1_PNSt15iterator_traitsISZ_E10value_typeET2_T3_PNS10_IS15_E10value_typeET4_jRbjT5_S1B_jjP12ihipStream_tbEUljE_EEESW_SX_SY_S15_S19_S1B_T6_T7_T9_mT8_S1D_bDpT10_ENKUlT_T0_E_clISt17integral_constantIbLb1EES1P_IbLb0EEEEDaS1L_S1M_EUlS1L_E_NS1_11comp_targetILNS1_3genE8ELNS1_11target_archE1030ELNS1_3gpuE2ELNS1_3repE0EEENS1_30default_config_static_selectorELNS0_4arch9wavefront6targetE0EEEvSZ_.num_agpr, 0
	.set _ZN7rocprim17ROCPRIM_400000_NS6detail17trampoline_kernelINS0_13select_configILj256ELj13ELNS0_17block_load_methodE3ELS4_3ELS4_3ELNS0_20block_scan_algorithmE0ELj4294967295EEENS1_25partition_config_selectorILNS1_17partition_subalgoE3EjNS0_10empty_typeEbEEZZNS1_14partition_implILS8_3ELb0ES6_jNS0_17counting_iteratorIjlEEPS9_SE_NS0_5tupleIJPjSE_EEENSF_IJSE_SE_EEES9_SG_JZNS1_25segmented_radix_sort_implINS0_14default_configELb0EPK6__halfPSL_PKlPlN2at6native12_GLOBAL__N_18offset_tEEE10hipError_tPvRmT1_PNSt15iterator_traitsISZ_E10value_typeET2_T3_PNS10_IS15_E10value_typeET4_jRbjT5_S1B_jjP12ihipStream_tbEUljE_EEESW_SX_SY_S15_S19_S1B_T6_T7_T9_mT8_S1D_bDpT10_ENKUlT_T0_E_clISt17integral_constantIbLb1EES1P_IbLb0EEEEDaS1L_S1M_EUlS1L_E_NS1_11comp_targetILNS1_3genE8ELNS1_11target_archE1030ELNS1_3gpuE2ELNS1_3repE0EEENS1_30default_config_static_selectorELNS0_4arch9wavefront6targetE0EEEvSZ_.numbered_sgpr, 0
	.set _ZN7rocprim17ROCPRIM_400000_NS6detail17trampoline_kernelINS0_13select_configILj256ELj13ELNS0_17block_load_methodE3ELS4_3ELS4_3ELNS0_20block_scan_algorithmE0ELj4294967295EEENS1_25partition_config_selectorILNS1_17partition_subalgoE3EjNS0_10empty_typeEbEEZZNS1_14partition_implILS8_3ELb0ES6_jNS0_17counting_iteratorIjlEEPS9_SE_NS0_5tupleIJPjSE_EEENSF_IJSE_SE_EEES9_SG_JZNS1_25segmented_radix_sort_implINS0_14default_configELb0EPK6__halfPSL_PKlPlN2at6native12_GLOBAL__N_18offset_tEEE10hipError_tPvRmT1_PNSt15iterator_traitsISZ_E10value_typeET2_T3_PNS10_IS15_E10value_typeET4_jRbjT5_S1B_jjP12ihipStream_tbEUljE_EEESW_SX_SY_S15_S19_S1B_T6_T7_T9_mT8_S1D_bDpT10_ENKUlT_T0_E_clISt17integral_constantIbLb1EES1P_IbLb0EEEEDaS1L_S1M_EUlS1L_E_NS1_11comp_targetILNS1_3genE8ELNS1_11target_archE1030ELNS1_3gpuE2ELNS1_3repE0EEENS1_30default_config_static_selectorELNS0_4arch9wavefront6targetE0EEEvSZ_.num_named_barrier, 0
	.set _ZN7rocprim17ROCPRIM_400000_NS6detail17trampoline_kernelINS0_13select_configILj256ELj13ELNS0_17block_load_methodE3ELS4_3ELS4_3ELNS0_20block_scan_algorithmE0ELj4294967295EEENS1_25partition_config_selectorILNS1_17partition_subalgoE3EjNS0_10empty_typeEbEEZZNS1_14partition_implILS8_3ELb0ES6_jNS0_17counting_iteratorIjlEEPS9_SE_NS0_5tupleIJPjSE_EEENSF_IJSE_SE_EEES9_SG_JZNS1_25segmented_radix_sort_implINS0_14default_configELb0EPK6__halfPSL_PKlPlN2at6native12_GLOBAL__N_18offset_tEEE10hipError_tPvRmT1_PNSt15iterator_traitsISZ_E10value_typeET2_T3_PNS10_IS15_E10value_typeET4_jRbjT5_S1B_jjP12ihipStream_tbEUljE_EEESW_SX_SY_S15_S19_S1B_T6_T7_T9_mT8_S1D_bDpT10_ENKUlT_T0_E_clISt17integral_constantIbLb1EES1P_IbLb0EEEEDaS1L_S1M_EUlS1L_E_NS1_11comp_targetILNS1_3genE8ELNS1_11target_archE1030ELNS1_3gpuE2ELNS1_3repE0EEENS1_30default_config_static_selectorELNS0_4arch9wavefront6targetE0EEEvSZ_.private_seg_size, 0
	.set _ZN7rocprim17ROCPRIM_400000_NS6detail17trampoline_kernelINS0_13select_configILj256ELj13ELNS0_17block_load_methodE3ELS4_3ELS4_3ELNS0_20block_scan_algorithmE0ELj4294967295EEENS1_25partition_config_selectorILNS1_17partition_subalgoE3EjNS0_10empty_typeEbEEZZNS1_14partition_implILS8_3ELb0ES6_jNS0_17counting_iteratorIjlEEPS9_SE_NS0_5tupleIJPjSE_EEENSF_IJSE_SE_EEES9_SG_JZNS1_25segmented_radix_sort_implINS0_14default_configELb0EPK6__halfPSL_PKlPlN2at6native12_GLOBAL__N_18offset_tEEE10hipError_tPvRmT1_PNSt15iterator_traitsISZ_E10value_typeET2_T3_PNS10_IS15_E10value_typeET4_jRbjT5_S1B_jjP12ihipStream_tbEUljE_EEESW_SX_SY_S15_S19_S1B_T6_T7_T9_mT8_S1D_bDpT10_ENKUlT_T0_E_clISt17integral_constantIbLb1EES1P_IbLb0EEEEDaS1L_S1M_EUlS1L_E_NS1_11comp_targetILNS1_3genE8ELNS1_11target_archE1030ELNS1_3gpuE2ELNS1_3repE0EEENS1_30default_config_static_selectorELNS0_4arch9wavefront6targetE0EEEvSZ_.uses_vcc, 0
	.set _ZN7rocprim17ROCPRIM_400000_NS6detail17trampoline_kernelINS0_13select_configILj256ELj13ELNS0_17block_load_methodE3ELS4_3ELS4_3ELNS0_20block_scan_algorithmE0ELj4294967295EEENS1_25partition_config_selectorILNS1_17partition_subalgoE3EjNS0_10empty_typeEbEEZZNS1_14partition_implILS8_3ELb0ES6_jNS0_17counting_iteratorIjlEEPS9_SE_NS0_5tupleIJPjSE_EEENSF_IJSE_SE_EEES9_SG_JZNS1_25segmented_radix_sort_implINS0_14default_configELb0EPK6__halfPSL_PKlPlN2at6native12_GLOBAL__N_18offset_tEEE10hipError_tPvRmT1_PNSt15iterator_traitsISZ_E10value_typeET2_T3_PNS10_IS15_E10value_typeET4_jRbjT5_S1B_jjP12ihipStream_tbEUljE_EEESW_SX_SY_S15_S19_S1B_T6_T7_T9_mT8_S1D_bDpT10_ENKUlT_T0_E_clISt17integral_constantIbLb1EES1P_IbLb0EEEEDaS1L_S1M_EUlS1L_E_NS1_11comp_targetILNS1_3genE8ELNS1_11target_archE1030ELNS1_3gpuE2ELNS1_3repE0EEENS1_30default_config_static_selectorELNS0_4arch9wavefront6targetE0EEEvSZ_.uses_flat_scratch, 0
	.set _ZN7rocprim17ROCPRIM_400000_NS6detail17trampoline_kernelINS0_13select_configILj256ELj13ELNS0_17block_load_methodE3ELS4_3ELS4_3ELNS0_20block_scan_algorithmE0ELj4294967295EEENS1_25partition_config_selectorILNS1_17partition_subalgoE3EjNS0_10empty_typeEbEEZZNS1_14partition_implILS8_3ELb0ES6_jNS0_17counting_iteratorIjlEEPS9_SE_NS0_5tupleIJPjSE_EEENSF_IJSE_SE_EEES9_SG_JZNS1_25segmented_radix_sort_implINS0_14default_configELb0EPK6__halfPSL_PKlPlN2at6native12_GLOBAL__N_18offset_tEEE10hipError_tPvRmT1_PNSt15iterator_traitsISZ_E10value_typeET2_T3_PNS10_IS15_E10value_typeET4_jRbjT5_S1B_jjP12ihipStream_tbEUljE_EEESW_SX_SY_S15_S19_S1B_T6_T7_T9_mT8_S1D_bDpT10_ENKUlT_T0_E_clISt17integral_constantIbLb1EES1P_IbLb0EEEEDaS1L_S1M_EUlS1L_E_NS1_11comp_targetILNS1_3genE8ELNS1_11target_archE1030ELNS1_3gpuE2ELNS1_3repE0EEENS1_30default_config_static_selectorELNS0_4arch9wavefront6targetE0EEEvSZ_.has_dyn_sized_stack, 0
	.set _ZN7rocprim17ROCPRIM_400000_NS6detail17trampoline_kernelINS0_13select_configILj256ELj13ELNS0_17block_load_methodE3ELS4_3ELS4_3ELNS0_20block_scan_algorithmE0ELj4294967295EEENS1_25partition_config_selectorILNS1_17partition_subalgoE3EjNS0_10empty_typeEbEEZZNS1_14partition_implILS8_3ELb0ES6_jNS0_17counting_iteratorIjlEEPS9_SE_NS0_5tupleIJPjSE_EEENSF_IJSE_SE_EEES9_SG_JZNS1_25segmented_radix_sort_implINS0_14default_configELb0EPK6__halfPSL_PKlPlN2at6native12_GLOBAL__N_18offset_tEEE10hipError_tPvRmT1_PNSt15iterator_traitsISZ_E10value_typeET2_T3_PNS10_IS15_E10value_typeET4_jRbjT5_S1B_jjP12ihipStream_tbEUljE_EEESW_SX_SY_S15_S19_S1B_T6_T7_T9_mT8_S1D_bDpT10_ENKUlT_T0_E_clISt17integral_constantIbLb1EES1P_IbLb0EEEEDaS1L_S1M_EUlS1L_E_NS1_11comp_targetILNS1_3genE8ELNS1_11target_archE1030ELNS1_3gpuE2ELNS1_3repE0EEENS1_30default_config_static_selectorELNS0_4arch9wavefront6targetE0EEEvSZ_.has_recursion, 0
	.set _ZN7rocprim17ROCPRIM_400000_NS6detail17trampoline_kernelINS0_13select_configILj256ELj13ELNS0_17block_load_methodE3ELS4_3ELS4_3ELNS0_20block_scan_algorithmE0ELj4294967295EEENS1_25partition_config_selectorILNS1_17partition_subalgoE3EjNS0_10empty_typeEbEEZZNS1_14partition_implILS8_3ELb0ES6_jNS0_17counting_iteratorIjlEEPS9_SE_NS0_5tupleIJPjSE_EEENSF_IJSE_SE_EEES9_SG_JZNS1_25segmented_radix_sort_implINS0_14default_configELb0EPK6__halfPSL_PKlPlN2at6native12_GLOBAL__N_18offset_tEEE10hipError_tPvRmT1_PNSt15iterator_traitsISZ_E10value_typeET2_T3_PNS10_IS15_E10value_typeET4_jRbjT5_S1B_jjP12ihipStream_tbEUljE_EEESW_SX_SY_S15_S19_S1B_T6_T7_T9_mT8_S1D_bDpT10_ENKUlT_T0_E_clISt17integral_constantIbLb1EES1P_IbLb0EEEEDaS1L_S1M_EUlS1L_E_NS1_11comp_targetILNS1_3genE8ELNS1_11target_archE1030ELNS1_3gpuE2ELNS1_3repE0EEENS1_30default_config_static_selectorELNS0_4arch9wavefront6targetE0EEEvSZ_.has_indirect_call, 0
	.section	.AMDGPU.csdata,"",@progbits
; Kernel info:
; codeLenInByte = 0
; TotalNumSgprs: 0
; NumVgprs: 0
; ScratchSize: 0
; MemoryBound: 0
; FloatMode: 240
; IeeeMode: 1
; LDSByteSize: 0 bytes/workgroup (compile time only)
; SGPRBlocks: 0
; VGPRBlocks: 0
; NumSGPRsForWavesPerEU: 1
; NumVGPRsForWavesPerEU: 1
; Occupancy: 16
; WaveLimiterHint : 0
; COMPUTE_PGM_RSRC2:SCRATCH_EN: 0
; COMPUTE_PGM_RSRC2:USER_SGPR: 2
; COMPUTE_PGM_RSRC2:TRAP_HANDLER: 0
; COMPUTE_PGM_RSRC2:TGID_X_EN: 1
; COMPUTE_PGM_RSRC2:TGID_Y_EN: 0
; COMPUTE_PGM_RSRC2:TGID_Z_EN: 0
; COMPUTE_PGM_RSRC2:TIDIG_COMP_CNT: 0
	.section	.text._ZN7rocprim17ROCPRIM_400000_NS6detail17trampoline_kernelINS0_13select_configILj256ELj13ELNS0_17block_load_methodE3ELS4_3ELS4_3ELNS0_20block_scan_algorithmE0ELj4294967295EEENS1_25partition_config_selectorILNS1_17partition_subalgoE3EjNS0_10empty_typeEbEEZZNS1_14partition_implILS8_3ELb0ES6_jNS0_17counting_iteratorIjlEEPS9_SE_NS0_5tupleIJPjSE_EEENSF_IJSE_SE_EEES9_SG_JZNS1_25segmented_radix_sort_implINS0_14default_configELb0EPK6__halfPSL_PKlPlN2at6native12_GLOBAL__N_18offset_tEEE10hipError_tPvRmT1_PNSt15iterator_traitsISZ_E10value_typeET2_T3_PNS10_IS15_E10value_typeET4_jRbjT5_S1B_jjP12ihipStream_tbEUljE_EEESW_SX_SY_S15_S19_S1B_T6_T7_T9_mT8_S1D_bDpT10_ENKUlT_T0_E_clISt17integral_constantIbLb0EES1P_IbLb1EEEEDaS1L_S1M_EUlS1L_E_NS1_11comp_targetILNS1_3genE0ELNS1_11target_archE4294967295ELNS1_3gpuE0ELNS1_3repE0EEENS1_30default_config_static_selectorELNS0_4arch9wavefront6targetE0EEEvSZ_,"axG",@progbits,_ZN7rocprim17ROCPRIM_400000_NS6detail17trampoline_kernelINS0_13select_configILj256ELj13ELNS0_17block_load_methodE3ELS4_3ELS4_3ELNS0_20block_scan_algorithmE0ELj4294967295EEENS1_25partition_config_selectorILNS1_17partition_subalgoE3EjNS0_10empty_typeEbEEZZNS1_14partition_implILS8_3ELb0ES6_jNS0_17counting_iteratorIjlEEPS9_SE_NS0_5tupleIJPjSE_EEENSF_IJSE_SE_EEES9_SG_JZNS1_25segmented_radix_sort_implINS0_14default_configELb0EPK6__halfPSL_PKlPlN2at6native12_GLOBAL__N_18offset_tEEE10hipError_tPvRmT1_PNSt15iterator_traitsISZ_E10value_typeET2_T3_PNS10_IS15_E10value_typeET4_jRbjT5_S1B_jjP12ihipStream_tbEUljE_EEESW_SX_SY_S15_S19_S1B_T6_T7_T9_mT8_S1D_bDpT10_ENKUlT_T0_E_clISt17integral_constantIbLb0EES1P_IbLb1EEEEDaS1L_S1M_EUlS1L_E_NS1_11comp_targetILNS1_3genE0ELNS1_11target_archE4294967295ELNS1_3gpuE0ELNS1_3repE0EEENS1_30default_config_static_selectorELNS0_4arch9wavefront6targetE0EEEvSZ_,comdat
	.globl	_ZN7rocprim17ROCPRIM_400000_NS6detail17trampoline_kernelINS0_13select_configILj256ELj13ELNS0_17block_load_methodE3ELS4_3ELS4_3ELNS0_20block_scan_algorithmE0ELj4294967295EEENS1_25partition_config_selectorILNS1_17partition_subalgoE3EjNS0_10empty_typeEbEEZZNS1_14partition_implILS8_3ELb0ES6_jNS0_17counting_iteratorIjlEEPS9_SE_NS0_5tupleIJPjSE_EEENSF_IJSE_SE_EEES9_SG_JZNS1_25segmented_radix_sort_implINS0_14default_configELb0EPK6__halfPSL_PKlPlN2at6native12_GLOBAL__N_18offset_tEEE10hipError_tPvRmT1_PNSt15iterator_traitsISZ_E10value_typeET2_T3_PNS10_IS15_E10value_typeET4_jRbjT5_S1B_jjP12ihipStream_tbEUljE_EEESW_SX_SY_S15_S19_S1B_T6_T7_T9_mT8_S1D_bDpT10_ENKUlT_T0_E_clISt17integral_constantIbLb0EES1P_IbLb1EEEEDaS1L_S1M_EUlS1L_E_NS1_11comp_targetILNS1_3genE0ELNS1_11target_archE4294967295ELNS1_3gpuE0ELNS1_3repE0EEENS1_30default_config_static_selectorELNS0_4arch9wavefront6targetE0EEEvSZ_ ; -- Begin function _ZN7rocprim17ROCPRIM_400000_NS6detail17trampoline_kernelINS0_13select_configILj256ELj13ELNS0_17block_load_methodE3ELS4_3ELS4_3ELNS0_20block_scan_algorithmE0ELj4294967295EEENS1_25partition_config_selectorILNS1_17partition_subalgoE3EjNS0_10empty_typeEbEEZZNS1_14partition_implILS8_3ELb0ES6_jNS0_17counting_iteratorIjlEEPS9_SE_NS0_5tupleIJPjSE_EEENSF_IJSE_SE_EEES9_SG_JZNS1_25segmented_radix_sort_implINS0_14default_configELb0EPK6__halfPSL_PKlPlN2at6native12_GLOBAL__N_18offset_tEEE10hipError_tPvRmT1_PNSt15iterator_traitsISZ_E10value_typeET2_T3_PNS10_IS15_E10value_typeET4_jRbjT5_S1B_jjP12ihipStream_tbEUljE_EEESW_SX_SY_S15_S19_S1B_T6_T7_T9_mT8_S1D_bDpT10_ENKUlT_T0_E_clISt17integral_constantIbLb0EES1P_IbLb1EEEEDaS1L_S1M_EUlS1L_E_NS1_11comp_targetILNS1_3genE0ELNS1_11target_archE4294967295ELNS1_3gpuE0ELNS1_3repE0EEENS1_30default_config_static_selectorELNS0_4arch9wavefront6targetE0EEEvSZ_
	.p2align	8
	.type	_ZN7rocprim17ROCPRIM_400000_NS6detail17trampoline_kernelINS0_13select_configILj256ELj13ELNS0_17block_load_methodE3ELS4_3ELS4_3ELNS0_20block_scan_algorithmE0ELj4294967295EEENS1_25partition_config_selectorILNS1_17partition_subalgoE3EjNS0_10empty_typeEbEEZZNS1_14partition_implILS8_3ELb0ES6_jNS0_17counting_iteratorIjlEEPS9_SE_NS0_5tupleIJPjSE_EEENSF_IJSE_SE_EEES9_SG_JZNS1_25segmented_radix_sort_implINS0_14default_configELb0EPK6__halfPSL_PKlPlN2at6native12_GLOBAL__N_18offset_tEEE10hipError_tPvRmT1_PNSt15iterator_traitsISZ_E10value_typeET2_T3_PNS10_IS15_E10value_typeET4_jRbjT5_S1B_jjP12ihipStream_tbEUljE_EEESW_SX_SY_S15_S19_S1B_T6_T7_T9_mT8_S1D_bDpT10_ENKUlT_T0_E_clISt17integral_constantIbLb0EES1P_IbLb1EEEEDaS1L_S1M_EUlS1L_E_NS1_11comp_targetILNS1_3genE0ELNS1_11target_archE4294967295ELNS1_3gpuE0ELNS1_3repE0EEENS1_30default_config_static_selectorELNS0_4arch9wavefront6targetE0EEEvSZ_,@function
_ZN7rocprim17ROCPRIM_400000_NS6detail17trampoline_kernelINS0_13select_configILj256ELj13ELNS0_17block_load_methodE3ELS4_3ELS4_3ELNS0_20block_scan_algorithmE0ELj4294967295EEENS1_25partition_config_selectorILNS1_17partition_subalgoE3EjNS0_10empty_typeEbEEZZNS1_14partition_implILS8_3ELb0ES6_jNS0_17counting_iteratorIjlEEPS9_SE_NS0_5tupleIJPjSE_EEENSF_IJSE_SE_EEES9_SG_JZNS1_25segmented_radix_sort_implINS0_14default_configELb0EPK6__halfPSL_PKlPlN2at6native12_GLOBAL__N_18offset_tEEE10hipError_tPvRmT1_PNSt15iterator_traitsISZ_E10value_typeET2_T3_PNS10_IS15_E10value_typeET4_jRbjT5_S1B_jjP12ihipStream_tbEUljE_EEESW_SX_SY_S15_S19_S1B_T6_T7_T9_mT8_S1D_bDpT10_ENKUlT_T0_E_clISt17integral_constantIbLb0EES1P_IbLb1EEEEDaS1L_S1M_EUlS1L_E_NS1_11comp_targetILNS1_3genE0ELNS1_11target_archE4294967295ELNS1_3gpuE0ELNS1_3repE0EEENS1_30default_config_static_selectorELNS0_4arch9wavefront6targetE0EEEvSZ_: ; @_ZN7rocprim17ROCPRIM_400000_NS6detail17trampoline_kernelINS0_13select_configILj256ELj13ELNS0_17block_load_methodE3ELS4_3ELS4_3ELNS0_20block_scan_algorithmE0ELj4294967295EEENS1_25partition_config_selectorILNS1_17partition_subalgoE3EjNS0_10empty_typeEbEEZZNS1_14partition_implILS8_3ELb0ES6_jNS0_17counting_iteratorIjlEEPS9_SE_NS0_5tupleIJPjSE_EEENSF_IJSE_SE_EEES9_SG_JZNS1_25segmented_radix_sort_implINS0_14default_configELb0EPK6__halfPSL_PKlPlN2at6native12_GLOBAL__N_18offset_tEEE10hipError_tPvRmT1_PNSt15iterator_traitsISZ_E10value_typeET2_T3_PNS10_IS15_E10value_typeET4_jRbjT5_S1B_jjP12ihipStream_tbEUljE_EEESW_SX_SY_S15_S19_S1B_T6_T7_T9_mT8_S1D_bDpT10_ENKUlT_T0_E_clISt17integral_constantIbLb0EES1P_IbLb1EEEEDaS1L_S1M_EUlS1L_E_NS1_11comp_targetILNS1_3genE0ELNS1_11target_archE4294967295ELNS1_3gpuE0ELNS1_3repE0EEENS1_30default_config_static_selectorELNS0_4arch9wavefront6targetE0EEEvSZ_
; %bb.0:
	.section	.rodata,"a",@progbits
	.p2align	6, 0x0
	.amdhsa_kernel _ZN7rocprim17ROCPRIM_400000_NS6detail17trampoline_kernelINS0_13select_configILj256ELj13ELNS0_17block_load_methodE3ELS4_3ELS4_3ELNS0_20block_scan_algorithmE0ELj4294967295EEENS1_25partition_config_selectorILNS1_17partition_subalgoE3EjNS0_10empty_typeEbEEZZNS1_14partition_implILS8_3ELb0ES6_jNS0_17counting_iteratorIjlEEPS9_SE_NS0_5tupleIJPjSE_EEENSF_IJSE_SE_EEES9_SG_JZNS1_25segmented_radix_sort_implINS0_14default_configELb0EPK6__halfPSL_PKlPlN2at6native12_GLOBAL__N_18offset_tEEE10hipError_tPvRmT1_PNSt15iterator_traitsISZ_E10value_typeET2_T3_PNS10_IS15_E10value_typeET4_jRbjT5_S1B_jjP12ihipStream_tbEUljE_EEESW_SX_SY_S15_S19_S1B_T6_T7_T9_mT8_S1D_bDpT10_ENKUlT_T0_E_clISt17integral_constantIbLb0EES1P_IbLb1EEEEDaS1L_S1M_EUlS1L_E_NS1_11comp_targetILNS1_3genE0ELNS1_11target_archE4294967295ELNS1_3gpuE0ELNS1_3repE0EEENS1_30default_config_static_selectorELNS0_4arch9wavefront6targetE0EEEvSZ_
		.amdhsa_group_segment_fixed_size 0
		.amdhsa_private_segment_fixed_size 0
		.amdhsa_kernarg_size 152
		.amdhsa_user_sgpr_count 2
		.amdhsa_user_sgpr_dispatch_ptr 0
		.amdhsa_user_sgpr_queue_ptr 0
		.amdhsa_user_sgpr_kernarg_segment_ptr 1
		.amdhsa_user_sgpr_dispatch_id 0
		.amdhsa_user_sgpr_private_segment_size 0
		.amdhsa_wavefront_size32 1
		.amdhsa_uses_dynamic_stack 0
		.amdhsa_enable_private_segment 0
		.amdhsa_system_sgpr_workgroup_id_x 1
		.amdhsa_system_sgpr_workgroup_id_y 0
		.amdhsa_system_sgpr_workgroup_id_z 0
		.amdhsa_system_sgpr_workgroup_info 0
		.amdhsa_system_vgpr_workitem_id 0
		.amdhsa_next_free_vgpr 1
		.amdhsa_next_free_sgpr 1
		.amdhsa_reserve_vcc 0
		.amdhsa_float_round_mode_32 0
		.amdhsa_float_round_mode_16_64 0
		.amdhsa_float_denorm_mode_32 3
		.amdhsa_float_denorm_mode_16_64 3
		.amdhsa_fp16_overflow 0
		.amdhsa_workgroup_processor_mode 1
		.amdhsa_memory_ordered 1
		.amdhsa_forward_progress 1
		.amdhsa_inst_pref_size 0
		.amdhsa_round_robin_scheduling 0
		.amdhsa_exception_fp_ieee_invalid_op 0
		.amdhsa_exception_fp_denorm_src 0
		.amdhsa_exception_fp_ieee_div_zero 0
		.amdhsa_exception_fp_ieee_overflow 0
		.amdhsa_exception_fp_ieee_underflow 0
		.amdhsa_exception_fp_ieee_inexact 0
		.amdhsa_exception_int_div_zero 0
	.end_amdhsa_kernel
	.section	.text._ZN7rocprim17ROCPRIM_400000_NS6detail17trampoline_kernelINS0_13select_configILj256ELj13ELNS0_17block_load_methodE3ELS4_3ELS4_3ELNS0_20block_scan_algorithmE0ELj4294967295EEENS1_25partition_config_selectorILNS1_17partition_subalgoE3EjNS0_10empty_typeEbEEZZNS1_14partition_implILS8_3ELb0ES6_jNS0_17counting_iteratorIjlEEPS9_SE_NS0_5tupleIJPjSE_EEENSF_IJSE_SE_EEES9_SG_JZNS1_25segmented_radix_sort_implINS0_14default_configELb0EPK6__halfPSL_PKlPlN2at6native12_GLOBAL__N_18offset_tEEE10hipError_tPvRmT1_PNSt15iterator_traitsISZ_E10value_typeET2_T3_PNS10_IS15_E10value_typeET4_jRbjT5_S1B_jjP12ihipStream_tbEUljE_EEESW_SX_SY_S15_S19_S1B_T6_T7_T9_mT8_S1D_bDpT10_ENKUlT_T0_E_clISt17integral_constantIbLb0EES1P_IbLb1EEEEDaS1L_S1M_EUlS1L_E_NS1_11comp_targetILNS1_3genE0ELNS1_11target_archE4294967295ELNS1_3gpuE0ELNS1_3repE0EEENS1_30default_config_static_selectorELNS0_4arch9wavefront6targetE0EEEvSZ_,"axG",@progbits,_ZN7rocprim17ROCPRIM_400000_NS6detail17trampoline_kernelINS0_13select_configILj256ELj13ELNS0_17block_load_methodE3ELS4_3ELS4_3ELNS0_20block_scan_algorithmE0ELj4294967295EEENS1_25partition_config_selectorILNS1_17partition_subalgoE3EjNS0_10empty_typeEbEEZZNS1_14partition_implILS8_3ELb0ES6_jNS0_17counting_iteratorIjlEEPS9_SE_NS0_5tupleIJPjSE_EEENSF_IJSE_SE_EEES9_SG_JZNS1_25segmented_radix_sort_implINS0_14default_configELb0EPK6__halfPSL_PKlPlN2at6native12_GLOBAL__N_18offset_tEEE10hipError_tPvRmT1_PNSt15iterator_traitsISZ_E10value_typeET2_T3_PNS10_IS15_E10value_typeET4_jRbjT5_S1B_jjP12ihipStream_tbEUljE_EEESW_SX_SY_S15_S19_S1B_T6_T7_T9_mT8_S1D_bDpT10_ENKUlT_T0_E_clISt17integral_constantIbLb0EES1P_IbLb1EEEEDaS1L_S1M_EUlS1L_E_NS1_11comp_targetILNS1_3genE0ELNS1_11target_archE4294967295ELNS1_3gpuE0ELNS1_3repE0EEENS1_30default_config_static_selectorELNS0_4arch9wavefront6targetE0EEEvSZ_,comdat
.Lfunc_end1834:
	.size	_ZN7rocprim17ROCPRIM_400000_NS6detail17trampoline_kernelINS0_13select_configILj256ELj13ELNS0_17block_load_methodE3ELS4_3ELS4_3ELNS0_20block_scan_algorithmE0ELj4294967295EEENS1_25partition_config_selectorILNS1_17partition_subalgoE3EjNS0_10empty_typeEbEEZZNS1_14partition_implILS8_3ELb0ES6_jNS0_17counting_iteratorIjlEEPS9_SE_NS0_5tupleIJPjSE_EEENSF_IJSE_SE_EEES9_SG_JZNS1_25segmented_radix_sort_implINS0_14default_configELb0EPK6__halfPSL_PKlPlN2at6native12_GLOBAL__N_18offset_tEEE10hipError_tPvRmT1_PNSt15iterator_traitsISZ_E10value_typeET2_T3_PNS10_IS15_E10value_typeET4_jRbjT5_S1B_jjP12ihipStream_tbEUljE_EEESW_SX_SY_S15_S19_S1B_T6_T7_T9_mT8_S1D_bDpT10_ENKUlT_T0_E_clISt17integral_constantIbLb0EES1P_IbLb1EEEEDaS1L_S1M_EUlS1L_E_NS1_11comp_targetILNS1_3genE0ELNS1_11target_archE4294967295ELNS1_3gpuE0ELNS1_3repE0EEENS1_30default_config_static_selectorELNS0_4arch9wavefront6targetE0EEEvSZ_, .Lfunc_end1834-_ZN7rocprim17ROCPRIM_400000_NS6detail17trampoline_kernelINS0_13select_configILj256ELj13ELNS0_17block_load_methodE3ELS4_3ELS4_3ELNS0_20block_scan_algorithmE0ELj4294967295EEENS1_25partition_config_selectorILNS1_17partition_subalgoE3EjNS0_10empty_typeEbEEZZNS1_14partition_implILS8_3ELb0ES6_jNS0_17counting_iteratorIjlEEPS9_SE_NS0_5tupleIJPjSE_EEENSF_IJSE_SE_EEES9_SG_JZNS1_25segmented_radix_sort_implINS0_14default_configELb0EPK6__halfPSL_PKlPlN2at6native12_GLOBAL__N_18offset_tEEE10hipError_tPvRmT1_PNSt15iterator_traitsISZ_E10value_typeET2_T3_PNS10_IS15_E10value_typeET4_jRbjT5_S1B_jjP12ihipStream_tbEUljE_EEESW_SX_SY_S15_S19_S1B_T6_T7_T9_mT8_S1D_bDpT10_ENKUlT_T0_E_clISt17integral_constantIbLb0EES1P_IbLb1EEEEDaS1L_S1M_EUlS1L_E_NS1_11comp_targetILNS1_3genE0ELNS1_11target_archE4294967295ELNS1_3gpuE0ELNS1_3repE0EEENS1_30default_config_static_selectorELNS0_4arch9wavefront6targetE0EEEvSZ_
                                        ; -- End function
	.set _ZN7rocprim17ROCPRIM_400000_NS6detail17trampoline_kernelINS0_13select_configILj256ELj13ELNS0_17block_load_methodE3ELS4_3ELS4_3ELNS0_20block_scan_algorithmE0ELj4294967295EEENS1_25partition_config_selectorILNS1_17partition_subalgoE3EjNS0_10empty_typeEbEEZZNS1_14partition_implILS8_3ELb0ES6_jNS0_17counting_iteratorIjlEEPS9_SE_NS0_5tupleIJPjSE_EEENSF_IJSE_SE_EEES9_SG_JZNS1_25segmented_radix_sort_implINS0_14default_configELb0EPK6__halfPSL_PKlPlN2at6native12_GLOBAL__N_18offset_tEEE10hipError_tPvRmT1_PNSt15iterator_traitsISZ_E10value_typeET2_T3_PNS10_IS15_E10value_typeET4_jRbjT5_S1B_jjP12ihipStream_tbEUljE_EEESW_SX_SY_S15_S19_S1B_T6_T7_T9_mT8_S1D_bDpT10_ENKUlT_T0_E_clISt17integral_constantIbLb0EES1P_IbLb1EEEEDaS1L_S1M_EUlS1L_E_NS1_11comp_targetILNS1_3genE0ELNS1_11target_archE4294967295ELNS1_3gpuE0ELNS1_3repE0EEENS1_30default_config_static_selectorELNS0_4arch9wavefront6targetE0EEEvSZ_.num_vgpr, 0
	.set _ZN7rocprim17ROCPRIM_400000_NS6detail17trampoline_kernelINS0_13select_configILj256ELj13ELNS0_17block_load_methodE3ELS4_3ELS4_3ELNS0_20block_scan_algorithmE0ELj4294967295EEENS1_25partition_config_selectorILNS1_17partition_subalgoE3EjNS0_10empty_typeEbEEZZNS1_14partition_implILS8_3ELb0ES6_jNS0_17counting_iteratorIjlEEPS9_SE_NS0_5tupleIJPjSE_EEENSF_IJSE_SE_EEES9_SG_JZNS1_25segmented_radix_sort_implINS0_14default_configELb0EPK6__halfPSL_PKlPlN2at6native12_GLOBAL__N_18offset_tEEE10hipError_tPvRmT1_PNSt15iterator_traitsISZ_E10value_typeET2_T3_PNS10_IS15_E10value_typeET4_jRbjT5_S1B_jjP12ihipStream_tbEUljE_EEESW_SX_SY_S15_S19_S1B_T6_T7_T9_mT8_S1D_bDpT10_ENKUlT_T0_E_clISt17integral_constantIbLb0EES1P_IbLb1EEEEDaS1L_S1M_EUlS1L_E_NS1_11comp_targetILNS1_3genE0ELNS1_11target_archE4294967295ELNS1_3gpuE0ELNS1_3repE0EEENS1_30default_config_static_selectorELNS0_4arch9wavefront6targetE0EEEvSZ_.num_agpr, 0
	.set _ZN7rocprim17ROCPRIM_400000_NS6detail17trampoline_kernelINS0_13select_configILj256ELj13ELNS0_17block_load_methodE3ELS4_3ELS4_3ELNS0_20block_scan_algorithmE0ELj4294967295EEENS1_25partition_config_selectorILNS1_17partition_subalgoE3EjNS0_10empty_typeEbEEZZNS1_14partition_implILS8_3ELb0ES6_jNS0_17counting_iteratorIjlEEPS9_SE_NS0_5tupleIJPjSE_EEENSF_IJSE_SE_EEES9_SG_JZNS1_25segmented_radix_sort_implINS0_14default_configELb0EPK6__halfPSL_PKlPlN2at6native12_GLOBAL__N_18offset_tEEE10hipError_tPvRmT1_PNSt15iterator_traitsISZ_E10value_typeET2_T3_PNS10_IS15_E10value_typeET4_jRbjT5_S1B_jjP12ihipStream_tbEUljE_EEESW_SX_SY_S15_S19_S1B_T6_T7_T9_mT8_S1D_bDpT10_ENKUlT_T0_E_clISt17integral_constantIbLb0EES1P_IbLb1EEEEDaS1L_S1M_EUlS1L_E_NS1_11comp_targetILNS1_3genE0ELNS1_11target_archE4294967295ELNS1_3gpuE0ELNS1_3repE0EEENS1_30default_config_static_selectorELNS0_4arch9wavefront6targetE0EEEvSZ_.numbered_sgpr, 0
	.set _ZN7rocprim17ROCPRIM_400000_NS6detail17trampoline_kernelINS0_13select_configILj256ELj13ELNS0_17block_load_methodE3ELS4_3ELS4_3ELNS0_20block_scan_algorithmE0ELj4294967295EEENS1_25partition_config_selectorILNS1_17partition_subalgoE3EjNS0_10empty_typeEbEEZZNS1_14partition_implILS8_3ELb0ES6_jNS0_17counting_iteratorIjlEEPS9_SE_NS0_5tupleIJPjSE_EEENSF_IJSE_SE_EEES9_SG_JZNS1_25segmented_radix_sort_implINS0_14default_configELb0EPK6__halfPSL_PKlPlN2at6native12_GLOBAL__N_18offset_tEEE10hipError_tPvRmT1_PNSt15iterator_traitsISZ_E10value_typeET2_T3_PNS10_IS15_E10value_typeET4_jRbjT5_S1B_jjP12ihipStream_tbEUljE_EEESW_SX_SY_S15_S19_S1B_T6_T7_T9_mT8_S1D_bDpT10_ENKUlT_T0_E_clISt17integral_constantIbLb0EES1P_IbLb1EEEEDaS1L_S1M_EUlS1L_E_NS1_11comp_targetILNS1_3genE0ELNS1_11target_archE4294967295ELNS1_3gpuE0ELNS1_3repE0EEENS1_30default_config_static_selectorELNS0_4arch9wavefront6targetE0EEEvSZ_.num_named_barrier, 0
	.set _ZN7rocprim17ROCPRIM_400000_NS6detail17trampoline_kernelINS0_13select_configILj256ELj13ELNS0_17block_load_methodE3ELS4_3ELS4_3ELNS0_20block_scan_algorithmE0ELj4294967295EEENS1_25partition_config_selectorILNS1_17partition_subalgoE3EjNS0_10empty_typeEbEEZZNS1_14partition_implILS8_3ELb0ES6_jNS0_17counting_iteratorIjlEEPS9_SE_NS0_5tupleIJPjSE_EEENSF_IJSE_SE_EEES9_SG_JZNS1_25segmented_radix_sort_implINS0_14default_configELb0EPK6__halfPSL_PKlPlN2at6native12_GLOBAL__N_18offset_tEEE10hipError_tPvRmT1_PNSt15iterator_traitsISZ_E10value_typeET2_T3_PNS10_IS15_E10value_typeET4_jRbjT5_S1B_jjP12ihipStream_tbEUljE_EEESW_SX_SY_S15_S19_S1B_T6_T7_T9_mT8_S1D_bDpT10_ENKUlT_T0_E_clISt17integral_constantIbLb0EES1P_IbLb1EEEEDaS1L_S1M_EUlS1L_E_NS1_11comp_targetILNS1_3genE0ELNS1_11target_archE4294967295ELNS1_3gpuE0ELNS1_3repE0EEENS1_30default_config_static_selectorELNS0_4arch9wavefront6targetE0EEEvSZ_.private_seg_size, 0
	.set _ZN7rocprim17ROCPRIM_400000_NS6detail17trampoline_kernelINS0_13select_configILj256ELj13ELNS0_17block_load_methodE3ELS4_3ELS4_3ELNS0_20block_scan_algorithmE0ELj4294967295EEENS1_25partition_config_selectorILNS1_17partition_subalgoE3EjNS0_10empty_typeEbEEZZNS1_14partition_implILS8_3ELb0ES6_jNS0_17counting_iteratorIjlEEPS9_SE_NS0_5tupleIJPjSE_EEENSF_IJSE_SE_EEES9_SG_JZNS1_25segmented_radix_sort_implINS0_14default_configELb0EPK6__halfPSL_PKlPlN2at6native12_GLOBAL__N_18offset_tEEE10hipError_tPvRmT1_PNSt15iterator_traitsISZ_E10value_typeET2_T3_PNS10_IS15_E10value_typeET4_jRbjT5_S1B_jjP12ihipStream_tbEUljE_EEESW_SX_SY_S15_S19_S1B_T6_T7_T9_mT8_S1D_bDpT10_ENKUlT_T0_E_clISt17integral_constantIbLb0EES1P_IbLb1EEEEDaS1L_S1M_EUlS1L_E_NS1_11comp_targetILNS1_3genE0ELNS1_11target_archE4294967295ELNS1_3gpuE0ELNS1_3repE0EEENS1_30default_config_static_selectorELNS0_4arch9wavefront6targetE0EEEvSZ_.uses_vcc, 0
	.set _ZN7rocprim17ROCPRIM_400000_NS6detail17trampoline_kernelINS0_13select_configILj256ELj13ELNS0_17block_load_methodE3ELS4_3ELS4_3ELNS0_20block_scan_algorithmE0ELj4294967295EEENS1_25partition_config_selectorILNS1_17partition_subalgoE3EjNS0_10empty_typeEbEEZZNS1_14partition_implILS8_3ELb0ES6_jNS0_17counting_iteratorIjlEEPS9_SE_NS0_5tupleIJPjSE_EEENSF_IJSE_SE_EEES9_SG_JZNS1_25segmented_radix_sort_implINS0_14default_configELb0EPK6__halfPSL_PKlPlN2at6native12_GLOBAL__N_18offset_tEEE10hipError_tPvRmT1_PNSt15iterator_traitsISZ_E10value_typeET2_T3_PNS10_IS15_E10value_typeET4_jRbjT5_S1B_jjP12ihipStream_tbEUljE_EEESW_SX_SY_S15_S19_S1B_T6_T7_T9_mT8_S1D_bDpT10_ENKUlT_T0_E_clISt17integral_constantIbLb0EES1P_IbLb1EEEEDaS1L_S1M_EUlS1L_E_NS1_11comp_targetILNS1_3genE0ELNS1_11target_archE4294967295ELNS1_3gpuE0ELNS1_3repE0EEENS1_30default_config_static_selectorELNS0_4arch9wavefront6targetE0EEEvSZ_.uses_flat_scratch, 0
	.set _ZN7rocprim17ROCPRIM_400000_NS6detail17trampoline_kernelINS0_13select_configILj256ELj13ELNS0_17block_load_methodE3ELS4_3ELS4_3ELNS0_20block_scan_algorithmE0ELj4294967295EEENS1_25partition_config_selectorILNS1_17partition_subalgoE3EjNS0_10empty_typeEbEEZZNS1_14partition_implILS8_3ELb0ES6_jNS0_17counting_iteratorIjlEEPS9_SE_NS0_5tupleIJPjSE_EEENSF_IJSE_SE_EEES9_SG_JZNS1_25segmented_radix_sort_implINS0_14default_configELb0EPK6__halfPSL_PKlPlN2at6native12_GLOBAL__N_18offset_tEEE10hipError_tPvRmT1_PNSt15iterator_traitsISZ_E10value_typeET2_T3_PNS10_IS15_E10value_typeET4_jRbjT5_S1B_jjP12ihipStream_tbEUljE_EEESW_SX_SY_S15_S19_S1B_T6_T7_T9_mT8_S1D_bDpT10_ENKUlT_T0_E_clISt17integral_constantIbLb0EES1P_IbLb1EEEEDaS1L_S1M_EUlS1L_E_NS1_11comp_targetILNS1_3genE0ELNS1_11target_archE4294967295ELNS1_3gpuE0ELNS1_3repE0EEENS1_30default_config_static_selectorELNS0_4arch9wavefront6targetE0EEEvSZ_.has_dyn_sized_stack, 0
	.set _ZN7rocprim17ROCPRIM_400000_NS6detail17trampoline_kernelINS0_13select_configILj256ELj13ELNS0_17block_load_methodE3ELS4_3ELS4_3ELNS0_20block_scan_algorithmE0ELj4294967295EEENS1_25partition_config_selectorILNS1_17partition_subalgoE3EjNS0_10empty_typeEbEEZZNS1_14partition_implILS8_3ELb0ES6_jNS0_17counting_iteratorIjlEEPS9_SE_NS0_5tupleIJPjSE_EEENSF_IJSE_SE_EEES9_SG_JZNS1_25segmented_radix_sort_implINS0_14default_configELb0EPK6__halfPSL_PKlPlN2at6native12_GLOBAL__N_18offset_tEEE10hipError_tPvRmT1_PNSt15iterator_traitsISZ_E10value_typeET2_T3_PNS10_IS15_E10value_typeET4_jRbjT5_S1B_jjP12ihipStream_tbEUljE_EEESW_SX_SY_S15_S19_S1B_T6_T7_T9_mT8_S1D_bDpT10_ENKUlT_T0_E_clISt17integral_constantIbLb0EES1P_IbLb1EEEEDaS1L_S1M_EUlS1L_E_NS1_11comp_targetILNS1_3genE0ELNS1_11target_archE4294967295ELNS1_3gpuE0ELNS1_3repE0EEENS1_30default_config_static_selectorELNS0_4arch9wavefront6targetE0EEEvSZ_.has_recursion, 0
	.set _ZN7rocprim17ROCPRIM_400000_NS6detail17trampoline_kernelINS0_13select_configILj256ELj13ELNS0_17block_load_methodE3ELS4_3ELS4_3ELNS0_20block_scan_algorithmE0ELj4294967295EEENS1_25partition_config_selectorILNS1_17partition_subalgoE3EjNS0_10empty_typeEbEEZZNS1_14partition_implILS8_3ELb0ES6_jNS0_17counting_iteratorIjlEEPS9_SE_NS0_5tupleIJPjSE_EEENSF_IJSE_SE_EEES9_SG_JZNS1_25segmented_radix_sort_implINS0_14default_configELb0EPK6__halfPSL_PKlPlN2at6native12_GLOBAL__N_18offset_tEEE10hipError_tPvRmT1_PNSt15iterator_traitsISZ_E10value_typeET2_T3_PNS10_IS15_E10value_typeET4_jRbjT5_S1B_jjP12ihipStream_tbEUljE_EEESW_SX_SY_S15_S19_S1B_T6_T7_T9_mT8_S1D_bDpT10_ENKUlT_T0_E_clISt17integral_constantIbLb0EES1P_IbLb1EEEEDaS1L_S1M_EUlS1L_E_NS1_11comp_targetILNS1_3genE0ELNS1_11target_archE4294967295ELNS1_3gpuE0ELNS1_3repE0EEENS1_30default_config_static_selectorELNS0_4arch9wavefront6targetE0EEEvSZ_.has_indirect_call, 0
	.section	.AMDGPU.csdata,"",@progbits
; Kernel info:
; codeLenInByte = 0
; TotalNumSgprs: 0
; NumVgprs: 0
; ScratchSize: 0
; MemoryBound: 0
; FloatMode: 240
; IeeeMode: 1
; LDSByteSize: 0 bytes/workgroup (compile time only)
; SGPRBlocks: 0
; VGPRBlocks: 0
; NumSGPRsForWavesPerEU: 1
; NumVGPRsForWavesPerEU: 1
; Occupancy: 16
; WaveLimiterHint : 0
; COMPUTE_PGM_RSRC2:SCRATCH_EN: 0
; COMPUTE_PGM_RSRC2:USER_SGPR: 2
; COMPUTE_PGM_RSRC2:TRAP_HANDLER: 0
; COMPUTE_PGM_RSRC2:TGID_X_EN: 1
; COMPUTE_PGM_RSRC2:TGID_Y_EN: 0
; COMPUTE_PGM_RSRC2:TGID_Z_EN: 0
; COMPUTE_PGM_RSRC2:TIDIG_COMP_CNT: 0
	.section	.text._ZN7rocprim17ROCPRIM_400000_NS6detail17trampoline_kernelINS0_13select_configILj256ELj13ELNS0_17block_load_methodE3ELS4_3ELS4_3ELNS0_20block_scan_algorithmE0ELj4294967295EEENS1_25partition_config_selectorILNS1_17partition_subalgoE3EjNS0_10empty_typeEbEEZZNS1_14partition_implILS8_3ELb0ES6_jNS0_17counting_iteratorIjlEEPS9_SE_NS0_5tupleIJPjSE_EEENSF_IJSE_SE_EEES9_SG_JZNS1_25segmented_radix_sort_implINS0_14default_configELb0EPK6__halfPSL_PKlPlN2at6native12_GLOBAL__N_18offset_tEEE10hipError_tPvRmT1_PNSt15iterator_traitsISZ_E10value_typeET2_T3_PNS10_IS15_E10value_typeET4_jRbjT5_S1B_jjP12ihipStream_tbEUljE_EEESW_SX_SY_S15_S19_S1B_T6_T7_T9_mT8_S1D_bDpT10_ENKUlT_T0_E_clISt17integral_constantIbLb0EES1P_IbLb1EEEEDaS1L_S1M_EUlS1L_E_NS1_11comp_targetILNS1_3genE5ELNS1_11target_archE942ELNS1_3gpuE9ELNS1_3repE0EEENS1_30default_config_static_selectorELNS0_4arch9wavefront6targetE0EEEvSZ_,"axG",@progbits,_ZN7rocprim17ROCPRIM_400000_NS6detail17trampoline_kernelINS0_13select_configILj256ELj13ELNS0_17block_load_methodE3ELS4_3ELS4_3ELNS0_20block_scan_algorithmE0ELj4294967295EEENS1_25partition_config_selectorILNS1_17partition_subalgoE3EjNS0_10empty_typeEbEEZZNS1_14partition_implILS8_3ELb0ES6_jNS0_17counting_iteratorIjlEEPS9_SE_NS0_5tupleIJPjSE_EEENSF_IJSE_SE_EEES9_SG_JZNS1_25segmented_radix_sort_implINS0_14default_configELb0EPK6__halfPSL_PKlPlN2at6native12_GLOBAL__N_18offset_tEEE10hipError_tPvRmT1_PNSt15iterator_traitsISZ_E10value_typeET2_T3_PNS10_IS15_E10value_typeET4_jRbjT5_S1B_jjP12ihipStream_tbEUljE_EEESW_SX_SY_S15_S19_S1B_T6_T7_T9_mT8_S1D_bDpT10_ENKUlT_T0_E_clISt17integral_constantIbLb0EES1P_IbLb1EEEEDaS1L_S1M_EUlS1L_E_NS1_11comp_targetILNS1_3genE5ELNS1_11target_archE942ELNS1_3gpuE9ELNS1_3repE0EEENS1_30default_config_static_selectorELNS0_4arch9wavefront6targetE0EEEvSZ_,comdat
	.globl	_ZN7rocprim17ROCPRIM_400000_NS6detail17trampoline_kernelINS0_13select_configILj256ELj13ELNS0_17block_load_methodE3ELS4_3ELS4_3ELNS0_20block_scan_algorithmE0ELj4294967295EEENS1_25partition_config_selectorILNS1_17partition_subalgoE3EjNS0_10empty_typeEbEEZZNS1_14partition_implILS8_3ELb0ES6_jNS0_17counting_iteratorIjlEEPS9_SE_NS0_5tupleIJPjSE_EEENSF_IJSE_SE_EEES9_SG_JZNS1_25segmented_radix_sort_implINS0_14default_configELb0EPK6__halfPSL_PKlPlN2at6native12_GLOBAL__N_18offset_tEEE10hipError_tPvRmT1_PNSt15iterator_traitsISZ_E10value_typeET2_T3_PNS10_IS15_E10value_typeET4_jRbjT5_S1B_jjP12ihipStream_tbEUljE_EEESW_SX_SY_S15_S19_S1B_T6_T7_T9_mT8_S1D_bDpT10_ENKUlT_T0_E_clISt17integral_constantIbLb0EES1P_IbLb1EEEEDaS1L_S1M_EUlS1L_E_NS1_11comp_targetILNS1_3genE5ELNS1_11target_archE942ELNS1_3gpuE9ELNS1_3repE0EEENS1_30default_config_static_selectorELNS0_4arch9wavefront6targetE0EEEvSZ_ ; -- Begin function _ZN7rocprim17ROCPRIM_400000_NS6detail17trampoline_kernelINS0_13select_configILj256ELj13ELNS0_17block_load_methodE3ELS4_3ELS4_3ELNS0_20block_scan_algorithmE0ELj4294967295EEENS1_25partition_config_selectorILNS1_17partition_subalgoE3EjNS0_10empty_typeEbEEZZNS1_14partition_implILS8_3ELb0ES6_jNS0_17counting_iteratorIjlEEPS9_SE_NS0_5tupleIJPjSE_EEENSF_IJSE_SE_EEES9_SG_JZNS1_25segmented_radix_sort_implINS0_14default_configELb0EPK6__halfPSL_PKlPlN2at6native12_GLOBAL__N_18offset_tEEE10hipError_tPvRmT1_PNSt15iterator_traitsISZ_E10value_typeET2_T3_PNS10_IS15_E10value_typeET4_jRbjT5_S1B_jjP12ihipStream_tbEUljE_EEESW_SX_SY_S15_S19_S1B_T6_T7_T9_mT8_S1D_bDpT10_ENKUlT_T0_E_clISt17integral_constantIbLb0EES1P_IbLb1EEEEDaS1L_S1M_EUlS1L_E_NS1_11comp_targetILNS1_3genE5ELNS1_11target_archE942ELNS1_3gpuE9ELNS1_3repE0EEENS1_30default_config_static_selectorELNS0_4arch9wavefront6targetE0EEEvSZ_
	.p2align	8
	.type	_ZN7rocprim17ROCPRIM_400000_NS6detail17trampoline_kernelINS0_13select_configILj256ELj13ELNS0_17block_load_methodE3ELS4_3ELS4_3ELNS0_20block_scan_algorithmE0ELj4294967295EEENS1_25partition_config_selectorILNS1_17partition_subalgoE3EjNS0_10empty_typeEbEEZZNS1_14partition_implILS8_3ELb0ES6_jNS0_17counting_iteratorIjlEEPS9_SE_NS0_5tupleIJPjSE_EEENSF_IJSE_SE_EEES9_SG_JZNS1_25segmented_radix_sort_implINS0_14default_configELb0EPK6__halfPSL_PKlPlN2at6native12_GLOBAL__N_18offset_tEEE10hipError_tPvRmT1_PNSt15iterator_traitsISZ_E10value_typeET2_T3_PNS10_IS15_E10value_typeET4_jRbjT5_S1B_jjP12ihipStream_tbEUljE_EEESW_SX_SY_S15_S19_S1B_T6_T7_T9_mT8_S1D_bDpT10_ENKUlT_T0_E_clISt17integral_constantIbLb0EES1P_IbLb1EEEEDaS1L_S1M_EUlS1L_E_NS1_11comp_targetILNS1_3genE5ELNS1_11target_archE942ELNS1_3gpuE9ELNS1_3repE0EEENS1_30default_config_static_selectorELNS0_4arch9wavefront6targetE0EEEvSZ_,@function
_ZN7rocprim17ROCPRIM_400000_NS6detail17trampoline_kernelINS0_13select_configILj256ELj13ELNS0_17block_load_methodE3ELS4_3ELS4_3ELNS0_20block_scan_algorithmE0ELj4294967295EEENS1_25partition_config_selectorILNS1_17partition_subalgoE3EjNS0_10empty_typeEbEEZZNS1_14partition_implILS8_3ELb0ES6_jNS0_17counting_iteratorIjlEEPS9_SE_NS0_5tupleIJPjSE_EEENSF_IJSE_SE_EEES9_SG_JZNS1_25segmented_radix_sort_implINS0_14default_configELb0EPK6__halfPSL_PKlPlN2at6native12_GLOBAL__N_18offset_tEEE10hipError_tPvRmT1_PNSt15iterator_traitsISZ_E10value_typeET2_T3_PNS10_IS15_E10value_typeET4_jRbjT5_S1B_jjP12ihipStream_tbEUljE_EEESW_SX_SY_S15_S19_S1B_T6_T7_T9_mT8_S1D_bDpT10_ENKUlT_T0_E_clISt17integral_constantIbLb0EES1P_IbLb1EEEEDaS1L_S1M_EUlS1L_E_NS1_11comp_targetILNS1_3genE5ELNS1_11target_archE942ELNS1_3gpuE9ELNS1_3repE0EEENS1_30default_config_static_selectorELNS0_4arch9wavefront6targetE0EEEvSZ_: ; @_ZN7rocprim17ROCPRIM_400000_NS6detail17trampoline_kernelINS0_13select_configILj256ELj13ELNS0_17block_load_methodE3ELS4_3ELS4_3ELNS0_20block_scan_algorithmE0ELj4294967295EEENS1_25partition_config_selectorILNS1_17partition_subalgoE3EjNS0_10empty_typeEbEEZZNS1_14partition_implILS8_3ELb0ES6_jNS0_17counting_iteratorIjlEEPS9_SE_NS0_5tupleIJPjSE_EEENSF_IJSE_SE_EEES9_SG_JZNS1_25segmented_radix_sort_implINS0_14default_configELb0EPK6__halfPSL_PKlPlN2at6native12_GLOBAL__N_18offset_tEEE10hipError_tPvRmT1_PNSt15iterator_traitsISZ_E10value_typeET2_T3_PNS10_IS15_E10value_typeET4_jRbjT5_S1B_jjP12ihipStream_tbEUljE_EEESW_SX_SY_S15_S19_S1B_T6_T7_T9_mT8_S1D_bDpT10_ENKUlT_T0_E_clISt17integral_constantIbLb0EES1P_IbLb1EEEEDaS1L_S1M_EUlS1L_E_NS1_11comp_targetILNS1_3genE5ELNS1_11target_archE942ELNS1_3gpuE9ELNS1_3repE0EEENS1_30default_config_static_selectorELNS0_4arch9wavefront6targetE0EEEvSZ_
; %bb.0:
	.section	.rodata,"a",@progbits
	.p2align	6, 0x0
	.amdhsa_kernel _ZN7rocprim17ROCPRIM_400000_NS6detail17trampoline_kernelINS0_13select_configILj256ELj13ELNS0_17block_load_methodE3ELS4_3ELS4_3ELNS0_20block_scan_algorithmE0ELj4294967295EEENS1_25partition_config_selectorILNS1_17partition_subalgoE3EjNS0_10empty_typeEbEEZZNS1_14partition_implILS8_3ELb0ES6_jNS0_17counting_iteratorIjlEEPS9_SE_NS0_5tupleIJPjSE_EEENSF_IJSE_SE_EEES9_SG_JZNS1_25segmented_radix_sort_implINS0_14default_configELb0EPK6__halfPSL_PKlPlN2at6native12_GLOBAL__N_18offset_tEEE10hipError_tPvRmT1_PNSt15iterator_traitsISZ_E10value_typeET2_T3_PNS10_IS15_E10value_typeET4_jRbjT5_S1B_jjP12ihipStream_tbEUljE_EEESW_SX_SY_S15_S19_S1B_T6_T7_T9_mT8_S1D_bDpT10_ENKUlT_T0_E_clISt17integral_constantIbLb0EES1P_IbLb1EEEEDaS1L_S1M_EUlS1L_E_NS1_11comp_targetILNS1_3genE5ELNS1_11target_archE942ELNS1_3gpuE9ELNS1_3repE0EEENS1_30default_config_static_selectorELNS0_4arch9wavefront6targetE0EEEvSZ_
		.amdhsa_group_segment_fixed_size 0
		.amdhsa_private_segment_fixed_size 0
		.amdhsa_kernarg_size 152
		.amdhsa_user_sgpr_count 2
		.amdhsa_user_sgpr_dispatch_ptr 0
		.amdhsa_user_sgpr_queue_ptr 0
		.amdhsa_user_sgpr_kernarg_segment_ptr 1
		.amdhsa_user_sgpr_dispatch_id 0
		.amdhsa_user_sgpr_private_segment_size 0
		.amdhsa_wavefront_size32 1
		.amdhsa_uses_dynamic_stack 0
		.amdhsa_enable_private_segment 0
		.amdhsa_system_sgpr_workgroup_id_x 1
		.amdhsa_system_sgpr_workgroup_id_y 0
		.amdhsa_system_sgpr_workgroup_id_z 0
		.amdhsa_system_sgpr_workgroup_info 0
		.amdhsa_system_vgpr_workitem_id 0
		.amdhsa_next_free_vgpr 1
		.amdhsa_next_free_sgpr 1
		.amdhsa_reserve_vcc 0
		.amdhsa_float_round_mode_32 0
		.amdhsa_float_round_mode_16_64 0
		.amdhsa_float_denorm_mode_32 3
		.amdhsa_float_denorm_mode_16_64 3
		.amdhsa_fp16_overflow 0
		.amdhsa_workgroup_processor_mode 1
		.amdhsa_memory_ordered 1
		.amdhsa_forward_progress 1
		.amdhsa_inst_pref_size 0
		.amdhsa_round_robin_scheduling 0
		.amdhsa_exception_fp_ieee_invalid_op 0
		.amdhsa_exception_fp_denorm_src 0
		.amdhsa_exception_fp_ieee_div_zero 0
		.amdhsa_exception_fp_ieee_overflow 0
		.amdhsa_exception_fp_ieee_underflow 0
		.amdhsa_exception_fp_ieee_inexact 0
		.amdhsa_exception_int_div_zero 0
	.end_amdhsa_kernel
	.section	.text._ZN7rocprim17ROCPRIM_400000_NS6detail17trampoline_kernelINS0_13select_configILj256ELj13ELNS0_17block_load_methodE3ELS4_3ELS4_3ELNS0_20block_scan_algorithmE0ELj4294967295EEENS1_25partition_config_selectorILNS1_17partition_subalgoE3EjNS0_10empty_typeEbEEZZNS1_14partition_implILS8_3ELb0ES6_jNS0_17counting_iteratorIjlEEPS9_SE_NS0_5tupleIJPjSE_EEENSF_IJSE_SE_EEES9_SG_JZNS1_25segmented_radix_sort_implINS0_14default_configELb0EPK6__halfPSL_PKlPlN2at6native12_GLOBAL__N_18offset_tEEE10hipError_tPvRmT1_PNSt15iterator_traitsISZ_E10value_typeET2_T3_PNS10_IS15_E10value_typeET4_jRbjT5_S1B_jjP12ihipStream_tbEUljE_EEESW_SX_SY_S15_S19_S1B_T6_T7_T9_mT8_S1D_bDpT10_ENKUlT_T0_E_clISt17integral_constantIbLb0EES1P_IbLb1EEEEDaS1L_S1M_EUlS1L_E_NS1_11comp_targetILNS1_3genE5ELNS1_11target_archE942ELNS1_3gpuE9ELNS1_3repE0EEENS1_30default_config_static_selectorELNS0_4arch9wavefront6targetE0EEEvSZ_,"axG",@progbits,_ZN7rocprim17ROCPRIM_400000_NS6detail17trampoline_kernelINS0_13select_configILj256ELj13ELNS0_17block_load_methodE3ELS4_3ELS4_3ELNS0_20block_scan_algorithmE0ELj4294967295EEENS1_25partition_config_selectorILNS1_17partition_subalgoE3EjNS0_10empty_typeEbEEZZNS1_14partition_implILS8_3ELb0ES6_jNS0_17counting_iteratorIjlEEPS9_SE_NS0_5tupleIJPjSE_EEENSF_IJSE_SE_EEES9_SG_JZNS1_25segmented_radix_sort_implINS0_14default_configELb0EPK6__halfPSL_PKlPlN2at6native12_GLOBAL__N_18offset_tEEE10hipError_tPvRmT1_PNSt15iterator_traitsISZ_E10value_typeET2_T3_PNS10_IS15_E10value_typeET4_jRbjT5_S1B_jjP12ihipStream_tbEUljE_EEESW_SX_SY_S15_S19_S1B_T6_T7_T9_mT8_S1D_bDpT10_ENKUlT_T0_E_clISt17integral_constantIbLb0EES1P_IbLb1EEEEDaS1L_S1M_EUlS1L_E_NS1_11comp_targetILNS1_3genE5ELNS1_11target_archE942ELNS1_3gpuE9ELNS1_3repE0EEENS1_30default_config_static_selectorELNS0_4arch9wavefront6targetE0EEEvSZ_,comdat
.Lfunc_end1835:
	.size	_ZN7rocprim17ROCPRIM_400000_NS6detail17trampoline_kernelINS0_13select_configILj256ELj13ELNS0_17block_load_methodE3ELS4_3ELS4_3ELNS0_20block_scan_algorithmE0ELj4294967295EEENS1_25partition_config_selectorILNS1_17partition_subalgoE3EjNS0_10empty_typeEbEEZZNS1_14partition_implILS8_3ELb0ES6_jNS0_17counting_iteratorIjlEEPS9_SE_NS0_5tupleIJPjSE_EEENSF_IJSE_SE_EEES9_SG_JZNS1_25segmented_radix_sort_implINS0_14default_configELb0EPK6__halfPSL_PKlPlN2at6native12_GLOBAL__N_18offset_tEEE10hipError_tPvRmT1_PNSt15iterator_traitsISZ_E10value_typeET2_T3_PNS10_IS15_E10value_typeET4_jRbjT5_S1B_jjP12ihipStream_tbEUljE_EEESW_SX_SY_S15_S19_S1B_T6_T7_T9_mT8_S1D_bDpT10_ENKUlT_T0_E_clISt17integral_constantIbLb0EES1P_IbLb1EEEEDaS1L_S1M_EUlS1L_E_NS1_11comp_targetILNS1_3genE5ELNS1_11target_archE942ELNS1_3gpuE9ELNS1_3repE0EEENS1_30default_config_static_selectorELNS0_4arch9wavefront6targetE0EEEvSZ_, .Lfunc_end1835-_ZN7rocprim17ROCPRIM_400000_NS6detail17trampoline_kernelINS0_13select_configILj256ELj13ELNS0_17block_load_methodE3ELS4_3ELS4_3ELNS0_20block_scan_algorithmE0ELj4294967295EEENS1_25partition_config_selectorILNS1_17partition_subalgoE3EjNS0_10empty_typeEbEEZZNS1_14partition_implILS8_3ELb0ES6_jNS0_17counting_iteratorIjlEEPS9_SE_NS0_5tupleIJPjSE_EEENSF_IJSE_SE_EEES9_SG_JZNS1_25segmented_radix_sort_implINS0_14default_configELb0EPK6__halfPSL_PKlPlN2at6native12_GLOBAL__N_18offset_tEEE10hipError_tPvRmT1_PNSt15iterator_traitsISZ_E10value_typeET2_T3_PNS10_IS15_E10value_typeET4_jRbjT5_S1B_jjP12ihipStream_tbEUljE_EEESW_SX_SY_S15_S19_S1B_T6_T7_T9_mT8_S1D_bDpT10_ENKUlT_T0_E_clISt17integral_constantIbLb0EES1P_IbLb1EEEEDaS1L_S1M_EUlS1L_E_NS1_11comp_targetILNS1_3genE5ELNS1_11target_archE942ELNS1_3gpuE9ELNS1_3repE0EEENS1_30default_config_static_selectorELNS0_4arch9wavefront6targetE0EEEvSZ_
                                        ; -- End function
	.set _ZN7rocprim17ROCPRIM_400000_NS6detail17trampoline_kernelINS0_13select_configILj256ELj13ELNS0_17block_load_methodE3ELS4_3ELS4_3ELNS0_20block_scan_algorithmE0ELj4294967295EEENS1_25partition_config_selectorILNS1_17partition_subalgoE3EjNS0_10empty_typeEbEEZZNS1_14partition_implILS8_3ELb0ES6_jNS0_17counting_iteratorIjlEEPS9_SE_NS0_5tupleIJPjSE_EEENSF_IJSE_SE_EEES9_SG_JZNS1_25segmented_radix_sort_implINS0_14default_configELb0EPK6__halfPSL_PKlPlN2at6native12_GLOBAL__N_18offset_tEEE10hipError_tPvRmT1_PNSt15iterator_traitsISZ_E10value_typeET2_T3_PNS10_IS15_E10value_typeET4_jRbjT5_S1B_jjP12ihipStream_tbEUljE_EEESW_SX_SY_S15_S19_S1B_T6_T7_T9_mT8_S1D_bDpT10_ENKUlT_T0_E_clISt17integral_constantIbLb0EES1P_IbLb1EEEEDaS1L_S1M_EUlS1L_E_NS1_11comp_targetILNS1_3genE5ELNS1_11target_archE942ELNS1_3gpuE9ELNS1_3repE0EEENS1_30default_config_static_selectorELNS0_4arch9wavefront6targetE0EEEvSZ_.num_vgpr, 0
	.set _ZN7rocprim17ROCPRIM_400000_NS6detail17trampoline_kernelINS0_13select_configILj256ELj13ELNS0_17block_load_methodE3ELS4_3ELS4_3ELNS0_20block_scan_algorithmE0ELj4294967295EEENS1_25partition_config_selectorILNS1_17partition_subalgoE3EjNS0_10empty_typeEbEEZZNS1_14partition_implILS8_3ELb0ES6_jNS0_17counting_iteratorIjlEEPS9_SE_NS0_5tupleIJPjSE_EEENSF_IJSE_SE_EEES9_SG_JZNS1_25segmented_radix_sort_implINS0_14default_configELb0EPK6__halfPSL_PKlPlN2at6native12_GLOBAL__N_18offset_tEEE10hipError_tPvRmT1_PNSt15iterator_traitsISZ_E10value_typeET2_T3_PNS10_IS15_E10value_typeET4_jRbjT5_S1B_jjP12ihipStream_tbEUljE_EEESW_SX_SY_S15_S19_S1B_T6_T7_T9_mT8_S1D_bDpT10_ENKUlT_T0_E_clISt17integral_constantIbLb0EES1P_IbLb1EEEEDaS1L_S1M_EUlS1L_E_NS1_11comp_targetILNS1_3genE5ELNS1_11target_archE942ELNS1_3gpuE9ELNS1_3repE0EEENS1_30default_config_static_selectorELNS0_4arch9wavefront6targetE0EEEvSZ_.num_agpr, 0
	.set _ZN7rocprim17ROCPRIM_400000_NS6detail17trampoline_kernelINS0_13select_configILj256ELj13ELNS0_17block_load_methodE3ELS4_3ELS4_3ELNS0_20block_scan_algorithmE0ELj4294967295EEENS1_25partition_config_selectorILNS1_17partition_subalgoE3EjNS0_10empty_typeEbEEZZNS1_14partition_implILS8_3ELb0ES6_jNS0_17counting_iteratorIjlEEPS9_SE_NS0_5tupleIJPjSE_EEENSF_IJSE_SE_EEES9_SG_JZNS1_25segmented_radix_sort_implINS0_14default_configELb0EPK6__halfPSL_PKlPlN2at6native12_GLOBAL__N_18offset_tEEE10hipError_tPvRmT1_PNSt15iterator_traitsISZ_E10value_typeET2_T3_PNS10_IS15_E10value_typeET4_jRbjT5_S1B_jjP12ihipStream_tbEUljE_EEESW_SX_SY_S15_S19_S1B_T6_T7_T9_mT8_S1D_bDpT10_ENKUlT_T0_E_clISt17integral_constantIbLb0EES1P_IbLb1EEEEDaS1L_S1M_EUlS1L_E_NS1_11comp_targetILNS1_3genE5ELNS1_11target_archE942ELNS1_3gpuE9ELNS1_3repE0EEENS1_30default_config_static_selectorELNS0_4arch9wavefront6targetE0EEEvSZ_.numbered_sgpr, 0
	.set _ZN7rocprim17ROCPRIM_400000_NS6detail17trampoline_kernelINS0_13select_configILj256ELj13ELNS0_17block_load_methodE3ELS4_3ELS4_3ELNS0_20block_scan_algorithmE0ELj4294967295EEENS1_25partition_config_selectorILNS1_17partition_subalgoE3EjNS0_10empty_typeEbEEZZNS1_14partition_implILS8_3ELb0ES6_jNS0_17counting_iteratorIjlEEPS9_SE_NS0_5tupleIJPjSE_EEENSF_IJSE_SE_EEES9_SG_JZNS1_25segmented_radix_sort_implINS0_14default_configELb0EPK6__halfPSL_PKlPlN2at6native12_GLOBAL__N_18offset_tEEE10hipError_tPvRmT1_PNSt15iterator_traitsISZ_E10value_typeET2_T3_PNS10_IS15_E10value_typeET4_jRbjT5_S1B_jjP12ihipStream_tbEUljE_EEESW_SX_SY_S15_S19_S1B_T6_T7_T9_mT8_S1D_bDpT10_ENKUlT_T0_E_clISt17integral_constantIbLb0EES1P_IbLb1EEEEDaS1L_S1M_EUlS1L_E_NS1_11comp_targetILNS1_3genE5ELNS1_11target_archE942ELNS1_3gpuE9ELNS1_3repE0EEENS1_30default_config_static_selectorELNS0_4arch9wavefront6targetE0EEEvSZ_.num_named_barrier, 0
	.set _ZN7rocprim17ROCPRIM_400000_NS6detail17trampoline_kernelINS0_13select_configILj256ELj13ELNS0_17block_load_methodE3ELS4_3ELS4_3ELNS0_20block_scan_algorithmE0ELj4294967295EEENS1_25partition_config_selectorILNS1_17partition_subalgoE3EjNS0_10empty_typeEbEEZZNS1_14partition_implILS8_3ELb0ES6_jNS0_17counting_iteratorIjlEEPS9_SE_NS0_5tupleIJPjSE_EEENSF_IJSE_SE_EEES9_SG_JZNS1_25segmented_radix_sort_implINS0_14default_configELb0EPK6__halfPSL_PKlPlN2at6native12_GLOBAL__N_18offset_tEEE10hipError_tPvRmT1_PNSt15iterator_traitsISZ_E10value_typeET2_T3_PNS10_IS15_E10value_typeET4_jRbjT5_S1B_jjP12ihipStream_tbEUljE_EEESW_SX_SY_S15_S19_S1B_T6_T7_T9_mT8_S1D_bDpT10_ENKUlT_T0_E_clISt17integral_constantIbLb0EES1P_IbLb1EEEEDaS1L_S1M_EUlS1L_E_NS1_11comp_targetILNS1_3genE5ELNS1_11target_archE942ELNS1_3gpuE9ELNS1_3repE0EEENS1_30default_config_static_selectorELNS0_4arch9wavefront6targetE0EEEvSZ_.private_seg_size, 0
	.set _ZN7rocprim17ROCPRIM_400000_NS6detail17trampoline_kernelINS0_13select_configILj256ELj13ELNS0_17block_load_methodE3ELS4_3ELS4_3ELNS0_20block_scan_algorithmE0ELj4294967295EEENS1_25partition_config_selectorILNS1_17partition_subalgoE3EjNS0_10empty_typeEbEEZZNS1_14partition_implILS8_3ELb0ES6_jNS0_17counting_iteratorIjlEEPS9_SE_NS0_5tupleIJPjSE_EEENSF_IJSE_SE_EEES9_SG_JZNS1_25segmented_radix_sort_implINS0_14default_configELb0EPK6__halfPSL_PKlPlN2at6native12_GLOBAL__N_18offset_tEEE10hipError_tPvRmT1_PNSt15iterator_traitsISZ_E10value_typeET2_T3_PNS10_IS15_E10value_typeET4_jRbjT5_S1B_jjP12ihipStream_tbEUljE_EEESW_SX_SY_S15_S19_S1B_T6_T7_T9_mT8_S1D_bDpT10_ENKUlT_T0_E_clISt17integral_constantIbLb0EES1P_IbLb1EEEEDaS1L_S1M_EUlS1L_E_NS1_11comp_targetILNS1_3genE5ELNS1_11target_archE942ELNS1_3gpuE9ELNS1_3repE0EEENS1_30default_config_static_selectorELNS0_4arch9wavefront6targetE0EEEvSZ_.uses_vcc, 0
	.set _ZN7rocprim17ROCPRIM_400000_NS6detail17trampoline_kernelINS0_13select_configILj256ELj13ELNS0_17block_load_methodE3ELS4_3ELS4_3ELNS0_20block_scan_algorithmE0ELj4294967295EEENS1_25partition_config_selectorILNS1_17partition_subalgoE3EjNS0_10empty_typeEbEEZZNS1_14partition_implILS8_3ELb0ES6_jNS0_17counting_iteratorIjlEEPS9_SE_NS0_5tupleIJPjSE_EEENSF_IJSE_SE_EEES9_SG_JZNS1_25segmented_radix_sort_implINS0_14default_configELb0EPK6__halfPSL_PKlPlN2at6native12_GLOBAL__N_18offset_tEEE10hipError_tPvRmT1_PNSt15iterator_traitsISZ_E10value_typeET2_T3_PNS10_IS15_E10value_typeET4_jRbjT5_S1B_jjP12ihipStream_tbEUljE_EEESW_SX_SY_S15_S19_S1B_T6_T7_T9_mT8_S1D_bDpT10_ENKUlT_T0_E_clISt17integral_constantIbLb0EES1P_IbLb1EEEEDaS1L_S1M_EUlS1L_E_NS1_11comp_targetILNS1_3genE5ELNS1_11target_archE942ELNS1_3gpuE9ELNS1_3repE0EEENS1_30default_config_static_selectorELNS0_4arch9wavefront6targetE0EEEvSZ_.uses_flat_scratch, 0
	.set _ZN7rocprim17ROCPRIM_400000_NS6detail17trampoline_kernelINS0_13select_configILj256ELj13ELNS0_17block_load_methodE3ELS4_3ELS4_3ELNS0_20block_scan_algorithmE0ELj4294967295EEENS1_25partition_config_selectorILNS1_17partition_subalgoE3EjNS0_10empty_typeEbEEZZNS1_14partition_implILS8_3ELb0ES6_jNS0_17counting_iteratorIjlEEPS9_SE_NS0_5tupleIJPjSE_EEENSF_IJSE_SE_EEES9_SG_JZNS1_25segmented_radix_sort_implINS0_14default_configELb0EPK6__halfPSL_PKlPlN2at6native12_GLOBAL__N_18offset_tEEE10hipError_tPvRmT1_PNSt15iterator_traitsISZ_E10value_typeET2_T3_PNS10_IS15_E10value_typeET4_jRbjT5_S1B_jjP12ihipStream_tbEUljE_EEESW_SX_SY_S15_S19_S1B_T6_T7_T9_mT8_S1D_bDpT10_ENKUlT_T0_E_clISt17integral_constantIbLb0EES1P_IbLb1EEEEDaS1L_S1M_EUlS1L_E_NS1_11comp_targetILNS1_3genE5ELNS1_11target_archE942ELNS1_3gpuE9ELNS1_3repE0EEENS1_30default_config_static_selectorELNS0_4arch9wavefront6targetE0EEEvSZ_.has_dyn_sized_stack, 0
	.set _ZN7rocprim17ROCPRIM_400000_NS6detail17trampoline_kernelINS0_13select_configILj256ELj13ELNS0_17block_load_methodE3ELS4_3ELS4_3ELNS0_20block_scan_algorithmE0ELj4294967295EEENS1_25partition_config_selectorILNS1_17partition_subalgoE3EjNS0_10empty_typeEbEEZZNS1_14partition_implILS8_3ELb0ES6_jNS0_17counting_iteratorIjlEEPS9_SE_NS0_5tupleIJPjSE_EEENSF_IJSE_SE_EEES9_SG_JZNS1_25segmented_radix_sort_implINS0_14default_configELb0EPK6__halfPSL_PKlPlN2at6native12_GLOBAL__N_18offset_tEEE10hipError_tPvRmT1_PNSt15iterator_traitsISZ_E10value_typeET2_T3_PNS10_IS15_E10value_typeET4_jRbjT5_S1B_jjP12ihipStream_tbEUljE_EEESW_SX_SY_S15_S19_S1B_T6_T7_T9_mT8_S1D_bDpT10_ENKUlT_T0_E_clISt17integral_constantIbLb0EES1P_IbLb1EEEEDaS1L_S1M_EUlS1L_E_NS1_11comp_targetILNS1_3genE5ELNS1_11target_archE942ELNS1_3gpuE9ELNS1_3repE0EEENS1_30default_config_static_selectorELNS0_4arch9wavefront6targetE0EEEvSZ_.has_recursion, 0
	.set _ZN7rocprim17ROCPRIM_400000_NS6detail17trampoline_kernelINS0_13select_configILj256ELj13ELNS0_17block_load_methodE3ELS4_3ELS4_3ELNS0_20block_scan_algorithmE0ELj4294967295EEENS1_25partition_config_selectorILNS1_17partition_subalgoE3EjNS0_10empty_typeEbEEZZNS1_14partition_implILS8_3ELb0ES6_jNS0_17counting_iteratorIjlEEPS9_SE_NS0_5tupleIJPjSE_EEENSF_IJSE_SE_EEES9_SG_JZNS1_25segmented_radix_sort_implINS0_14default_configELb0EPK6__halfPSL_PKlPlN2at6native12_GLOBAL__N_18offset_tEEE10hipError_tPvRmT1_PNSt15iterator_traitsISZ_E10value_typeET2_T3_PNS10_IS15_E10value_typeET4_jRbjT5_S1B_jjP12ihipStream_tbEUljE_EEESW_SX_SY_S15_S19_S1B_T6_T7_T9_mT8_S1D_bDpT10_ENKUlT_T0_E_clISt17integral_constantIbLb0EES1P_IbLb1EEEEDaS1L_S1M_EUlS1L_E_NS1_11comp_targetILNS1_3genE5ELNS1_11target_archE942ELNS1_3gpuE9ELNS1_3repE0EEENS1_30default_config_static_selectorELNS0_4arch9wavefront6targetE0EEEvSZ_.has_indirect_call, 0
	.section	.AMDGPU.csdata,"",@progbits
; Kernel info:
; codeLenInByte = 0
; TotalNumSgprs: 0
; NumVgprs: 0
; ScratchSize: 0
; MemoryBound: 0
; FloatMode: 240
; IeeeMode: 1
; LDSByteSize: 0 bytes/workgroup (compile time only)
; SGPRBlocks: 0
; VGPRBlocks: 0
; NumSGPRsForWavesPerEU: 1
; NumVGPRsForWavesPerEU: 1
; Occupancy: 16
; WaveLimiterHint : 0
; COMPUTE_PGM_RSRC2:SCRATCH_EN: 0
; COMPUTE_PGM_RSRC2:USER_SGPR: 2
; COMPUTE_PGM_RSRC2:TRAP_HANDLER: 0
; COMPUTE_PGM_RSRC2:TGID_X_EN: 1
; COMPUTE_PGM_RSRC2:TGID_Y_EN: 0
; COMPUTE_PGM_RSRC2:TGID_Z_EN: 0
; COMPUTE_PGM_RSRC2:TIDIG_COMP_CNT: 0
	.section	.text._ZN7rocprim17ROCPRIM_400000_NS6detail17trampoline_kernelINS0_13select_configILj256ELj13ELNS0_17block_load_methodE3ELS4_3ELS4_3ELNS0_20block_scan_algorithmE0ELj4294967295EEENS1_25partition_config_selectorILNS1_17partition_subalgoE3EjNS0_10empty_typeEbEEZZNS1_14partition_implILS8_3ELb0ES6_jNS0_17counting_iteratorIjlEEPS9_SE_NS0_5tupleIJPjSE_EEENSF_IJSE_SE_EEES9_SG_JZNS1_25segmented_radix_sort_implINS0_14default_configELb0EPK6__halfPSL_PKlPlN2at6native12_GLOBAL__N_18offset_tEEE10hipError_tPvRmT1_PNSt15iterator_traitsISZ_E10value_typeET2_T3_PNS10_IS15_E10value_typeET4_jRbjT5_S1B_jjP12ihipStream_tbEUljE_EEESW_SX_SY_S15_S19_S1B_T6_T7_T9_mT8_S1D_bDpT10_ENKUlT_T0_E_clISt17integral_constantIbLb0EES1P_IbLb1EEEEDaS1L_S1M_EUlS1L_E_NS1_11comp_targetILNS1_3genE4ELNS1_11target_archE910ELNS1_3gpuE8ELNS1_3repE0EEENS1_30default_config_static_selectorELNS0_4arch9wavefront6targetE0EEEvSZ_,"axG",@progbits,_ZN7rocprim17ROCPRIM_400000_NS6detail17trampoline_kernelINS0_13select_configILj256ELj13ELNS0_17block_load_methodE3ELS4_3ELS4_3ELNS0_20block_scan_algorithmE0ELj4294967295EEENS1_25partition_config_selectorILNS1_17partition_subalgoE3EjNS0_10empty_typeEbEEZZNS1_14partition_implILS8_3ELb0ES6_jNS0_17counting_iteratorIjlEEPS9_SE_NS0_5tupleIJPjSE_EEENSF_IJSE_SE_EEES9_SG_JZNS1_25segmented_radix_sort_implINS0_14default_configELb0EPK6__halfPSL_PKlPlN2at6native12_GLOBAL__N_18offset_tEEE10hipError_tPvRmT1_PNSt15iterator_traitsISZ_E10value_typeET2_T3_PNS10_IS15_E10value_typeET4_jRbjT5_S1B_jjP12ihipStream_tbEUljE_EEESW_SX_SY_S15_S19_S1B_T6_T7_T9_mT8_S1D_bDpT10_ENKUlT_T0_E_clISt17integral_constantIbLb0EES1P_IbLb1EEEEDaS1L_S1M_EUlS1L_E_NS1_11comp_targetILNS1_3genE4ELNS1_11target_archE910ELNS1_3gpuE8ELNS1_3repE0EEENS1_30default_config_static_selectorELNS0_4arch9wavefront6targetE0EEEvSZ_,comdat
	.globl	_ZN7rocprim17ROCPRIM_400000_NS6detail17trampoline_kernelINS0_13select_configILj256ELj13ELNS0_17block_load_methodE3ELS4_3ELS4_3ELNS0_20block_scan_algorithmE0ELj4294967295EEENS1_25partition_config_selectorILNS1_17partition_subalgoE3EjNS0_10empty_typeEbEEZZNS1_14partition_implILS8_3ELb0ES6_jNS0_17counting_iteratorIjlEEPS9_SE_NS0_5tupleIJPjSE_EEENSF_IJSE_SE_EEES9_SG_JZNS1_25segmented_radix_sort_implINS0_14default_configELb0EPK6__halfPSL_PKlPlN2at6native12_GLOBAL__N_18offset_tEEE10hipError_tPvRmT1_PNSt15iterator_traitsISZ_E10value_typeET2_T3_PNS10_IS15_E10value_typeET4_jRbjT5_S1B_jjP12ihipStream_tbEUljE_EEESW_SX_SY_S15_S19_S1B_T6_T7_T9_mT8_S1D_bDpT10_ENKUlT_T0_E_clISt17integral_constantIbLb0EES1P_IbLb1EEEEDaS1L_S1M_EUlS1L_E_NS1_11comp_targetILNS1_3genE4ELNS1_11target_archE910ELNS1_3gpuE8ELNS1_3repE0EEENS1_30default_config_static_selectorELNS0_4arch9wavefront6targetE0EEEvSZ_ ; -- Begin function _ZN7rocprim17ROCPRIM_400000_NS6detail17trampoline_kernelINS0_13select_configILj256ELj13ELNS0_17block_load_methodE3ELS4_3ELS4_3ELNS0_20block_scan_algorithmE0ELj4294967295EEENS1_25partition_config_selectorILNS1_17partition_subalgoE3EjNS0_10empty_typeEbEEZZNS1_14partition_implILS8_3ELb0ES6_jNS0_17counting_iteratorIjlEEPS9_SE_NS0_5tupleIJPjSE_EEENSF_IJSE_SE_EEES9_SG_JZNS1_25segmented_radix_sort_implINS0_14default_configELb0EPK6__halfPSL_PKlPlN2at6native12_GLOBAL__N_18offset_tEEE10hipError_tPvRmT1_PNSt15iterator_traitsISZ_E10value_typeET2_T3_PNS10_IS15_E10value_typeET4_jRbjT5_S1B_jjP12ihipStream_tbEUljE_EEESW_SX_SY_S15_S19_S1B_T6_T7_T9_mT8_S1D_bDpT10_ENKUlT_T0_E_clISt17integral_constantIbLb0EES1P_IbLb1EEEEDaS1L_S1M_EUlS1L_E_NS1_11comp_targetILNS1_3genE4ELNS1_11target_archE910ELNS1_3gpuE8ELNS1_3repE0EEENS1_30default_config_static_selectorELNS0_4arch9wavefront6targetE0EEEvSZ_
	.p2align	8
	.type	_ZN7rocprim17ROCPRIM_400000_NS6detail17trampoline_kernelINS0_13select_configILj256ELj13ELNS0_17block_load_methodE3ELS4_3ELS4_3ELNS0_20block_scan_algorithmE0ELj4294967295EEENS1_25partition_config_selectorILNS1_17partition_subalgoE3EjNS0_10empty_typeEbEEZZNS1_14partition_implILS8_3ELb0ES6_jNS0_17counting_iteratorIjlEEPS9_SE_NS0_5tupleIJPjSE_EEENSF_IJSE_SE_EEES9_SG_JZNS1_25segmented_radix_sort_implINS0_14default_configELb0EPK6__halfPSL_PKlPlN2at6native12_GLOBAL__N_18offset_tEEE10hipError_tPvRmT1_PNSt15iterator_traitsISZ_E10value_typeET2_T3_PNS10_IS15_E10value_typeET4_jRbjT5_S1B_jjP12ihipStream_tbEUljE_EEESW_SX_SY_S15_S19_S1B_T6_T7_T9_mT8_S1D_bDpT10_ENKUlT_T0_E_clISt17integral_constantIbLb0EES1P_IbLb1EEEEDaS1L_S1M_EUlS1L_E_NS1_11comp_targetILNS1_3genE4ELNS1_11target_archE910ELNS1_3gpuE8ELNS1_3repE0EEENS1_30default_config_static_selectorELNS0_4arch9wavefront6targetE0EEEvSZ_,@function
_ZN7rocprim17ROCPRIM_400000_NS6detail17trampoline_kernelINS0_13select_configILj256ELj13ELNS0_17block_load_methodE3ELS4_3ELS4_3ELNS0_20block_scan_algorithmE0ELj4294967295EEENS1_25partition_config_selectorILNS1_17partition_subalgoE3EjNS0_10empty_typeEbEEZZNS1_14partition_implILS8_3ELb0ES6_jNS0_17counting_iteratorIjlEEPS9_SE_NS0_5tupleIJPjSE_EEENSF_IJSE_SE_EEES9_SG_JZNS1_25segmented_radix_sort_implINS0_14default_configELb0EPK6__halfPSL_PKlPlN2at6native12_GLOBAL__N_18offset_tEEE10hipError_tPvRmT1_PNSt15iterator_traitsISZ_E10value_typeET2_T3_PNS10_IS15_E10value_typeET4_jRbjT5_S1B_jjP12ihipStream_tbEUljE_EEESW_SX_SY_S15_S19_S1B_T6_T7_T9_mT8_S1D_bDpT10_ENKUlT_T0_E_clISt17integral_constantIbLb0EES1P_IbLb1EEEEDaS1L_S1M_EUlS1L_E_NS1_11comp_targetILNS1_3genE4ELNS1_11target_archE910ELNS1_3gpuE8ELNS1_3repE0EEENS1_30default_config_static_selectorELNS0_4arch9wavefront6targetE0EEEvSZ_: ; @_ZN7rocprim17ROCPRIM_400000_NS6detail17trampoline_kernelINS0_13select_configILj256ELj13ELNS0_17block_load_methodE3ELS4_3ELS4_3ELNS0_20block_scan_algorithmE0ELj4294967295EEENS1_25partition_config_selectorILNS1_17partition_subalgoE3EjNS0_10empty_typeEbEEZZNS1_14partition_implILS8_3ELb0ES6_jNS0_17counting_iteratorIjlEEPS9_SE_NS0_5tupleIJPjSE_EEENSF_IJSE_SE_EEES9_SG_JZNS1_25segmented_radix_sort_implINS0_14default_configELb0EPK6__halfPSL_PKlPlN2at6native12_GLOBAL__N_18offset_tEEE10hipError_tPvRmT1_PNSt15iterator_traitsISZ_E10value_typeET2_T3_PNS10_IS15_E10value_typeET4_jRbjT5_S1B_jjP12ihipStream_tbEUljE_EEESW_SX_SY_S15_S19_S1B_T6_T7_T9_mT8_S1D_bDpT10_ENKUlT_T0_E_clISt17integral_constantIbLb0EES1P_IbLb1EEEEDaS1L_S1M_EUlS1L_E_NS1_11comp_targetILNS1_3genE4ELNS1_11target_archE910ELNS1_3gpuE8ELNS1_3repE0EEENS1_30default_config_static_selectorELNS0_4arch9wavefront6targetE0EEEvSZ_
; %bb.0:
	.section	.rodata,"a",@progbits
	.p2align	6, 0x0
	.amdhsa_kernel _ZN7rocprim17ROCPRIM_400000_NS6detail17trampoline_kernelINS0_13select_configILj256ELj13ELNS0_17block_load_methodE3ELS4_3ELS4_3ELNS0_20block_scan_algorithmE0ELj4294967295EEENS1_25partition_config_selectorILNS1_17partition_subalgoE3EjNS0_10empty_typeEbEEZZNS1_14partition_implILS8_3ELb0ES6_jNS0_17counting_iteratorIjlEEPS9_SE_NS0_5tupleIJPjSE_EEENSF_IJSE_SE_EEES9_SG_JZNS1_25segmented_radix_sort_implINS0_14default_configELb0EPK6__halfPSL_PKlPlN2at6native12_GLOBAL__N_18offset_tEEE10hipError_tPvRmT1_PNSt15iterator_traitsISZ_E10value_typeET2_T3_PNS10_IS15_E10value_typeET4_jRbjT5_S1B_jjP12ihipStream_tbEUljE_EEESW_SX_SY_S15_S19_S1B_T6_T7_T9_mT8_S1D_bDpT10_ENKUlT_T0_E_clISt17integral_constantIbLb0EES1P_IbLb1EEEEDaS1L_S1M_EUlS1L_E_NS1_11comp_targetILNS1_3genE4ELNS1_11target_archE910ELNS1_3gpuE8ELNS1_3repE0EEENS1_30default_config_static_selectorELNS0_4arch9wavefront6targetE0EEEvSZ_
		.amdhsa_group_segment_fixed_size 0
		.amdhsa_private_segment_fixed_size 0
		.amdhsa_kernarg_size 152
		.amdhsa_user_sgpr_count 2
		.amdhsa_user_sgpr_dispatch_ptr 0
		.amdhsa_user_sgpr_queue_ptr 0
		.amdhsa_user_sgpr_kernarg_segment_ptr 1
		.amdhsa_user_sgpr_dispatch_id 0
		.amdhsa_user_sgpr_private_segment_size 0
		.amdhsa_wavefront_size32 1
		.amdhsa_uses_dynamic_stack 0
		.amdhsa_enable_private_segment 0
		.amdhsa_system_sgpr_workgroup_id_x 1
		.amdhsa_system_sgpr_workgroup_id_y 0
		.amdhsa_system_sgpr_workgroup_id_z 0
		.amdhsa_system_sgpr_workgroup_info 0
		.amdhsa_system_vgpr_workitem_id 0
		.amdhsa_next_free_vgpr 1
		.amdhsa_next_free_sgpr 1
		.amdhsa_reserve_vcc 0
		.amdhsa_float_round_mode_32 0
		.amdhsa_float_round_mode_16_64 0
		.amdhsa_float_denorm_mode_32 3
		.amdhsa_float_denorm_mode_16_64 3
		.amdhsa_fp16_overflow 0
		.amdhsa_workgroup_processor_mode 1
		.amdhsa_memory_ordered 1
		.amdhsa_forward_progress 1
		.amdhsa_inst_pref_size 0
		.amdhsa_round_robin_scheduling 0
		.amdhsa_exception_fp_ieee_invalid_op 0
		.amdhsa_exception_fp_denorm_src 0
		.amdhsa_exception_fp_ieee_div_zero 0
		.amdhsa_exception_fp_ieee_overflow 0
		.amdhsa_exception_fp_ieee_underflow 0
		.amdhsa_exception_fp_ieee_inexact 0
		.amdhsa_exception_int_div_zero 0
	.end_amdhsa_kernel
	.section	.text._ZN7rocprim17ROCPRIM_400000_NS6detail17trampoline_kernelINS0_13select_configILj256ELj13ELNS0_17block_load_methodE3ELS4_3ELS4_3ELNS0_20block_scan_algorithmE0ELj4294967295EEENS1_25partition_config_selectorILNS1_17partition_subalgoE3EjNS0_10empty_typeEbEEZZNS1_14partition_implILS8_3ELb0ES6_jNS0_17counting_iteratorIjlEEPS9_SE_NS0_5tupleIJPjSE_EEENSF_IJSE_SE_EEES9_SG_JZNS1_25segmented_radix_sort_implINS0_14default_configELb0EPK6__halfPSL_PKlPlN2at6native12_GLOBAL__N_18offset_tEEE10hipError_tPvRmT1_PNSt15iterator_traitsISZ_E10value_typeET2_T3_PNS10_IS15_E10value_typeET4_jRbjT5_S1B_jjP12ihipStream_tbEUljE_EEESW_SX_SY_S15_S19_S1B_T6_T7_T9_mT8_S1D_bDpT10_ENKUlT_T0_E_clISt17integral_constantIbLb0EES1P_IbLb1EEEEDaS1L_S1M_EUlS1L_E_NS1_11comp_targetILNS1_3genE4ELNS1_11target_archE910ELNS1_3gpuE8ELNS1_3repE0EEENS1_30default_config_static_selectorELNS0_4arch9wavefront6targetE0EEEvSZ_,"axG",@progbits,_ZN7rocprim17ROCPRIM_400000_NS6detail17trampoline_kernelINS0_13select_configILj256ELj13ELNS0_17block_load_methodE3ELS4_3ELS4_3ELNS0_20block_scan_algorithmE0ELj4294967295EEENS1_25partition_config_selectorILNS1_17partition_subalgoE3EjNS0_10empty_typeEbEEZZNS1_14partition_implILS8_3ELb0ES6_jNS0_17counting_iteratorIjlEEPS9_SE_NS0_5tupleIJPjSE_EEENSF_IJSE_SE_EEES9_SG_JZNS1_25segmented_radix_sort_implINS0_14default_configELb0EPK6__halfPSL_PKlPlN2at6native12_GLOBAL__N_18offset_tEEE10hipError_tPvRmT1_PNSt15iterator_traitsISZ_E10value_typeET2_T3_PNS10_IS15_E10value_typeET4_jRbjT5_S1B_jjP12ihipStream_tbEUljE_EEESW_SX_SY_S15_S19_S1B_T6_T7_T9_mT8_S1D_bDpT10_ENKUlT_T0_E_clISt17integral_constantIbLb0EES1P_IbLb1EEEEDaS1L_S1M_EUlS1L_E_NS1_11comp_targetILNS1_3genE4ELNS1_11target_archE910ELNS1_3gpuE8ELNS1_3repE0EEENS1_30default_config_static_selectorELNS0_4arch9wavefront6targetE0EEEvSZ_,comdat
.Lfunc_end1836:
	.size	_ZN7rocprim17ROCPRIM_400000_NS6detail17trampoline_kernelINS0_13select_configILj256ELj13ELNS0_17block_load_methodE3ELS4_3ELS4_3ELNS0_20block_scan_algorithmE0ELj4294967295EEENS1_25partition_config_selectorILNS1_17partition_subalgoE3EjNS0_10empty_typeEbEEZZNS1_14partition_implILS8_3ELb0ES6_jNS0_17counting_iteratorIjlEEPS9_SE_NS0_5tupleIJPjSE_EEENSF_IJSE_SE_EEES9_SG_JZNS1_25segmented_radix_sort_implINS0_14default_configELb0EPK6__halfPSL_PKlPlN2at6native12_GLOBAL__N_18offset_tEEE10hipError_tPvRmT1_PNSt15iterator_traitsISZ_E10value_typeET2_T3_PNS10_IS15_E10value_typeET4_jRbjT5_S1B_jjP12ihipStream_tbEUljE_EEESW_SX_SY_S15_S19_S1B_T6_T7_T9_mT8_S1D_bDpT10_ENKUlT_T0_E_clISt17integral_constantIbLb0EES1P_IbLb1EEEEDaS1L_S1M_EUlS1L_E_NS1_11comp_targetILNS1_3genE4ELNS1_11target_archE910ELNS1_3gpuE8ELNS1_3repE0EEENS1_30default_config_static_selectorELNS0_4arch9wavefront6targetE0EEEvSZ_, .Lfunc_end1836-_ZN7rocprim17ROCPRIM_400000_NS6detail17trampoline_kernelINS0_13select_configILj256ELj13ELNS0_17block_load_methodE3ELS4_3ELS4_3ELNS0_20block_scan_algorithmE0ELj4294967295EEENS1_25partition_config_selectorILNS1_17partition_subalgoE3EjNS0_10empty_typeEbEEZZNS1_14partition_implILS8_3ELb0ES6_jNS0_17counting_iteratorIjlEEPS9_SE_NS0_5tupleIJPjSE_EEENSF_IJSE_SE_EEES9_SG_JZNS1_25segmented_radix_sort_implINS0_14default_configELb0EPK6__halfPSL_PKlPlN2at6native12_GLOBAL__N_18offset_tEEE10hipError_tPvRmT1_PNSt15iterator_traitsISZ_E10value_typeET2_T3_PNS10_IS15_E10value_typeET4_jRbjT5_S1B_jjP12ihipStream_tbEUljE_EEESW_SX_SY_S15_S19_S1B_T6_T7_T9_mT8_S1D_bDpT10_ENKUlT_T0_E_clISt17integral_constantIbLb0EES1P_IbLb1EEEEDaS1L_S1M_EUlS1L_E_NS1_11comp_targetILNS1_3genE4ELNS1_11target_archE910ELNS1_3gpuE8ELNS1_3repE0EEENS1_30default_config_static_selectorELNS0_4arch9wavefront6targetE0EEEvSZ_
                                        ; -- End function
	.set _ZN7rocprim17ROCPRIM_400000_NS6detail17trampoline_kernelINS0_13select_configILj256ELj13ELNS0_17block_load_methodE3ELS4_3ELS4_3ELNS0_20block_scan_algorithmE0ELj4294967295EEENS1_25partition_config_selectorILNS1_17partition_subalgoE3EjNS0_10empty_typeEbEEZZNS1_14partition_implILS8_3ELb0ES6_jNS0_17counting_iteratorIjlEEPS9_SE_NS0_5tupleIJPjSE_EEENSF_IJSE_SE_EEES9_SG_JZNS1_25segmented_radix_sort_implINS0_14default_configELb0EPK6__halfPSL_PKlPlN2at6native12_GLOBAL__N_18offset_tEEE10hipError_tPvRmT1_PNSt15iterator_traitsISZ_E10value_typeET2_T3_PNS10_IS15_E10value_typeET4_jRbjT5_S1B_jjP12ihipStream_tbEUljE_EEESW_SX_SY_S15_S19_S1B_T6_T7_T9_mT8_S1D_bDpT10_ENKUlT_T0_E_clISt17integral_constantIbLb0EES1P_IbLb1EEEEDaS1L_S1M_EUlS1L_E_NS1_11comp_targetILNS1_3genE4ELNS1_11target_archE910ELNS1_3gpuE8ELNS1_3repE0EEENS1_30default_config_static_selectorELNS0_4arch9wavefront6targetE0EEEvSZ_.num_vgpr, 0
	.set _ZN7rocprim17ROCPRIM_400000_NS6detail17trampoline_kernelINS0_13select_configILj256ELj13ELNS0_17block_load_methodE3ELS4_3ELS4_3ELNS0_20block_scan_algorithmE0ELj4294967295EEENS1_25partition_config_selectorILNS1_17partition_subalgoE3EjNS0_10empty_typeEbEEZZNS1_14partition_implILS8_3ELb0ES6_jNS0_17counting_iteratorIjlEEPS9_SE_NS0_5tupleIJPjSE_EEENSF_IJSE_SE_EEES9_SG_JZNS1_25segmented_radix_sort_implINS0_14default_configELb0EPK6__halfPSL_PKlPlN2at6native12_GLOBAL__N_18offset_tEEE10hipError_tPvRmT1_PNSt15iterator_traitsISZ_E10value_typeET2_T3_PNS10_IS15_E10value_typeET4_jRbjT5_S1B_jjP12ihipStream_tbEUljE_EEESW_SX_SY_S15_S19_S1B_T6_T7_T9_mT8_S1D_bDpT10_ENKUlT_T0_E_clISt17integral_constantIbLb0EES1P_IbLb1EEEEDaS1L_S1M_EUlS1L_E_NS1_11comp_targetILNS1_3genE4ELNS1_11target_archE910ELNS1_3gpuE8ELNS1_3repE0EEENS1_30default_config_static_selectorELNS0_4arch9wavefront6targetE0EEEvSZ_.num_agpr, 0
	.set _ZN7rocprim17ROCPRIM_400000_NS6detail17trampoline_kernelINS0_13select_configILj256ELj13ELNS0_17block_load_methodE3ELS4_3ELS4_3ELNS0_20block_scan_algorithmE0ELj4294967295EEENS1_25partition_config_selectorILNS1_17partition_subalgoE3EjNS0_10empty_typeEbEEZZNS1_14partition_implILS8_3ELb0ES6_jNS0_17counting_iteratorIjlEEPS9_SE_NS0_5tupleIJPjSE_EEENSF_IJSE_SE_EEES9_SG_JZNS1_25segmented_radix_sort_implINS0_14default_configELb0EPK6__halfPSL_PKlPlN2at6native12_GLOBAL__N_18offset_tEEE10hipError_tPvRmT1_PNSt15iterator_traitsISZ_E10value_typeET2_T3_PNS10_IS15_E10value_typeET4_jRbjT5_S1B_jjP12ihipStream_tbEUljE_EEESW_SX_SY_S15_S19_S1B_T6_T7_T9_mT8_S1D_bDpT10_ENKUlT_T0_E_clISt17integral_constantIbLb0EES1P_IbLb1EEEEDaS1L_S1M_EUlS1L_E_NS1_11comp_targetILNS1_3genE4ELNS1_11target_archE910ELNS1_3gpuE8ELNS1_3repE0EEENS1_30default_config_static_selectorELNS0_4arch9wavefront6targetE0EEEvSZ_.numbered_sgpr, 0
	.set _ZN7rocprim17ROCPRIM_400000_NS6detail17trampoline_kernelINS0_13select_configILj256ELj13ELNS0_17block_load_methodE3ELS4_3ELS4_3ELNS0_20block_scan_algorithmE0ELj4294967295EEENS1_25partition_config_selectorILNS1_17partition_subalgoE3EjNS0_10empty_typeEbEEZZNS1_14partition_implILS8_3ELb0ES6_jNS0_17counting_iteratorIjlEEPS9_SE_NS0_5tupleIJPjSE_EEENSF_IJSE_SE_EEES9_SG_JZNS1_25segmented_radix_sort_implINS0_14default_configELb0EPK6__halfPSL_PKlPlN2at6native12_GLOBAL__N_18offset_tEEE10hipError_tPvRmT1_PNSt15iterator_traitsISZ_E10value_typeET2_T3_PNS10_IS15_E10value_typeET4_jRbjT5_S1B_jjP12ihipStream_tbEUljE_EEESW_SX_SY_S15_S19_S1B_T6_T7_T9_mT8_S1D_bDpT10_ENKUlT_T0_E_clISt17integral_constantIbLb0EES1P_IbLb1EEEEDaS1L_S1M_EUlS1L_E_NS1_11comp_targetILNS1_3genE4ELNS1_11target_archE910ELNS1_3gpuE8ELNS1_3repE0EEENS1_30default_config_static_selectorELNS0_4arch9wavefront6targetE0EEEvSZ_.num_named_barrier, 0
	.set _ZN7rocprim17ROCPRIM_400000_NS6detail17trampoline_kernelINS0_13select_configILj256ELj13ELNS0_17block_load_methodE3ELS4_3ELS4_3ELNS0_20block_scan_algorithmE0ELj4294967295EEENS1_25partition_config_selectorILNS1_17partition_subalgoE3EjNS0_10empty_typeEbEEZZNS1_14partition_implILS8_3ELb0ES6_jNS0_17counting_iteratorIjlEEPS9_SE_NS0_5tupleIJPjSE_EEENSF_IJSE_SE_EEES9_SG_JZNS1_25segmented_radix_sort_implINS0_14default_configELb0EPK6__halfPSL_PKlPlN2at6native12_GLOBAL__N_18offset_tEEE10hipError_tPvRmT1_PNSt15iterator_traitsISZ_E10value_typeET2_T3_PNS10_IS15_E10value_typeET4_jRbjT5_S1B_jjP12ihipStream_tbEUljE_EEESW_SX_SY_S15_S19_S1B_T6_T7_T9_mT8_S1D_bDpT10_ENKUlT_T0_E_clISt17integral_constantIbLb0EES1P_IbLb1EEEEDaS1L_S1M_EUlS1L_E_NS1_11comp_targetILNS1_3genE4ELNS1_11target_archE910ELNS1_3gpuE8ELNS1_3repE0EEENS1_30default_config_static_selectorELNS0_4arch9wavefront6targetE0EEEvSZ_.private_seg_size, 0
	.set _ZN7rocprim17ROCPRIM_400000_NS6detail17trampoline_kernelINS0_13select_configILj256ELj13ELNS0_17block_load_methodE3ELS4_3ELS4_3ELNS0_20block_scan_algorithmE0ELj4294967295EEENS1_25partition_config_selectorILNS1_17partition_subalgoE3EjNS0_10empty_typeEbEEZZNS1_14partition_implILS8_3ELb0ES6_jNS0_17counting_iteratorIjlEEPS9_SE_NS0_5tupleIJPjSE_EEENSF_IJSE_SE_EEES9_SG_JZNS1_25segmented_radix_sort_implINS0_14default_configELb0EPK6__halfPSL_PKlPlN2at6native12_GLOBAL__N_18offset_tEEE10hipError_tPvRmT1_PNSt15iterator_traitsISZ_E10value_typeET2_T3_PNS10_IS15_E10value_typeET4_jRbjT5_S1B_jjP12ihipStream_tbEUljE_EEESW_SX_SY_S15_S19_S1B_T6_T7_T9_mT8_S1D_bDpT10_ENKUlT_T0_E_clISt17integral_constantIbLb0EES1P_IbLb1EEEEDaS1L_S1M_EUlS1L_E_NS1_11comp_targetILNS1_3genE4ELNS1_11target_archE910ELNS1_3gpuE8ELNS1_3repE0EEENS1_30default_config_static_selectorELNS0_4arch9wavefront6targetE0EEEvSZ_.uses_vcc, 0
	.set _ZN7rocprim17ROCPRIM_400000_NS6detail17trampoline_kernelINS0_13select_configILj256ELj13ELNS0_17block_load_methodE3ELS4_3ELS4_3ELNS0_20block_scan_algorithmE0ELj4294967295EEENS1_25partition_config_selectorILNS1_17partition_subalgoE3EjNS0_10empty_typeEbEEZZNS1_14partition_implILS8_3ELb0ES6_jNS0_17counting_iteratorIjlEEPS9_SE_NS0_5tupleIJPjSE_EEENSF_IJSE_SE_EEES9_SG_JZNS1_25segmented_radix_sort_implINS0_14default_configELb0EPK6__halfPSL_PKlPlN2at6native12_GLOBAL__N_18offset_tEEE10hipError_tPvRmT1_PNSt15iterator_traitsISZ_E10value_typeET2_T3_PNS10_IS15_E10value_typeET4_jRbjT5_S1B_jjP12ihipStream_tbEUljE_EEESW_SX_SY_S15_S19_S1B_T6_T7_T9_mT8_S1D_bDpT10_ENKUlT_T0_E_clISt17integral_constantIbLb0EES1P_IbLb1EEEEDaS1L_S1M_EUlS1L_E_NS1_11comp_targetILNS1_3genE4ELNS1_11target_archE910ELNS1_3gpuE8ELNS1_3repE0EEENS1_30default_config_static_selectorELNS0_4arch9wavefront6targetE0EEEvSZ_.uses_flat_scratch, 0
	.set _ZN7rocprim17ROCPRIM_400000_NS6detail17trampoline_kernelINS0_13select_configILj256ELj13ELNS0_17block_load_methodE3ELS4_3ELS4_3ELNS0_20block_scan_algorithmE0ELj4294967295EEENS1_25partition_config_selectorILNS1_17partition_subalgoE3EjNS0_10empty_typeEbEEZZNS1_14partition_implILS8_3ELb0ES6_jNS0_17counting_iteratorIjlEEPS9_SE_NS0_5tupleIJPjSE_EEENSF_IJSE_SE_EEES9_SG_JZNS1_25segmented_radix_sort_implINS0_14default_configELb0EPK6__halfPSL_PKlPlN2at6native12_GLOBAL__N_18offset_tEEE10hipError_tPvRmT1_PNSt15iterator_traitsISZ_E10value_typeET2_T3_PNS10_IS15_E10value_typeET4_jRbjT5_S1B_jjP12ihipStream_tbEUljE_EEESW_SX_SY_S15_S19_S1B_T6_T7_T9_mT8_S1D_bDpT10_ENKUlT_T0_E_clISt17integral_constantIbLb0EES1P_IbLb1EEEEDaS1L_S1M_EUlS1L_E_NS1_11comp_targetILNS1_3genE4ELNS1_11target_archE910ELNS1_3gpuE8ELNS1_3repE0EEENS1_30default_config_static_selectorELNS0_4arch9wavefront6targetE0EEEvSZ_.has_dyn_sized_stack, 0
	.set _ZN7rocprim17ROCPRIM_400000_NS6detail17trampoline_kernelINS0_13select_configILj256ELj13ELNS0_17block_load_methodE3ELS4_3ELS4_3ELNS0_20block_scan_algorithmE0ELj4294967295EEENS1_25partition_config_selectorILNS1_17partition_subalgoE3EjNS0_10empty_typeEbEEZZNS1_14partition_implILS8_3ELb0ES6_jNS0_17counting_iteratorIjlEEPS9_SE_NS0_5tupleIJPjSE_EEENSF_IJSE_SE_EEES9_SG_JZNS1_25segmented_radix_sort_implINS0_14default_configELb0EPK6__halfPSL_PKlPlN2at6native12_GLOBAL__N_18offset_tEEE10hipError_tPvRmT1_PNSt15iterator_traitsISZ_E10value_typeET2_T3_PNS10_IS15_E10value_typeET4_jRbjT5_S1B_jjP12ihipStream_tbEUljE_EEESW_SX_SY_S15_S19_S1B_T6_T7_T9_mT8_S1D_bDpT10_ENKUlT_T0_E_clISt17integral_constantIbLb0EES1P_IbLb1EEEEDaS1L_S1M_EUlS1L_E_NS1_11comp_targetILNS1_3genE4ELNS1_11target_archE910ELNS1_3gpuE8ELNS1_3repE0EEENS1_30default_config_static_selectorELNS0_4arch9wavefront6targetE0EEEvSZ_.has_recursion, 0
	.set _ZN7rocprim17ROCPRIM_400000_NS6detail17trampoline_kernelINS0_13select_configILj256ELj13ELNS0_17block_load_methodE3ELS4_3ELS4_3ELNS0_20block_scan_algorithmE0ELj4294967295EEENS1_25partition_config_selectorILNS1_17partition_subalgoE3EjNS0_10empty_typeEbEEZZNS1_14partition_implILS8_3ELb0ES6_jNS0_17counting_iteratorIjlEEPS9_SE_NS0_5tupleIJPjSE_EEENSF_IJSE_SE_EEES9_SG_JZNS1_25segmented_radix_sort_implINS0_14default_configELb0EPK6__halfPSL_PKlPlN2at6native12_GLOBAL__N_18offset_tEEE10hipError_tPvRmT1_PNSt15iterator_traitsISZ_E10value_typeET2_T3_PNS10_IS15_E10value_typeET4_jRbjT5_S1B_jjP12ihipStream_tbEUljE_EEESW_SX_SY_S15_S19_S1B_T6_T7_T9_mT8_S1D_bDpT10_ENKUlT_T0_E_clISt17integral_constantIbLb0EES1P_IbLb1EEEEDaS1L_S1M_EUlS1L_E_NS1_11comp_targetILNS1_3genE4ELNS1_11target_archE910ELNS1_3gpuE8ELNS1_3repE0EEENS1_30default_config_static_selectorELNS0_4arch9wavefront6targetE0EEEvSZ_.has_indirect_call, 0
	.section	.AMDGPU.csdata,"",@progbits
; Kernel info:
; codeLenInByte = 0
; TotalNumSgprs: 0
; NumVgprs: 0
; ScratchSize: 0
; MemoryBound: 0
; FloatMode: 240
; IeeeMode: 1
; LDSByteSize: 0 bytes/workgroup (compile time only)
; SGPRBlocks: 0
; VGPRBlocks: 0
; NumSGPRsForWavesPerEU: 1
; NumVGPRsForWavesPerEU: 1
; Occupancy: 16
; WaveLimiterHint : 0
; COMPUTE_PGM_RSRC2:SCRATCH_EN: 0
; COMPUTE_PGM_RSRC2:USER_SGPR: 2
; COMPUTE_PGM_RSRC2:TRAP_HANDLER: 0
; COMPUTE_PGM_RSRC2:TGID_X_EN: 1
; COMPUTE_PGM_RSRC2:TGID_Y_EN: 0
; COMPUTE_PGM_RSRC2:TGID_Z_EN: 0
; COMPUTE_PGM_RSRC2:TIDIG_COMP_CNT: 0
	.section	.text._ZN7rocprim17ROCPRIM_400000_NS6detail17trampoline_kernelINS0_13select_configILj256ELj13ELNS0_17block_load_methodE3ELS4_3ELS4_3ELNS0_20block_scan_algorithmE0ELj4294967295EEENS1_25partition_config_selectorILNS1_17partition_subalgoE3EjNS0_10empty_typeEbEEZZNS1_14partition_implILS8_3ELb0ES6_jNS0_17counting_iteratorIjlEEPS9_SE_NS0_5tupleIJPjSE_EEENSF_IJSE_SE_EEES9_SG_JZNS1_25segmented_radix_sort_implINS0_14default_configELb0EPK6__halfPSL_PKlPlN2at6native12_GLOBAL__N_18offset_tEEE10hipError_tPvRmT1_PNSt15iterator_traitsISZ_E10value_typeET2_T3_PNS10_IS15_E10value_typeET4_jRbjT5_S1B_jjP12ihipStream_tbEUljE_EEESW_SX_SY_S15_S19_S1B_T6_T7_T9_mT8_S1D_bDpT10_ENKUlT_T0_E_clISt17integral_constantIbLb0EES1P_IbLb1EEEEDaS1L_S1M_EUlS1L_E_NS1_11comp_targetILNS1_3genE3ELNS1_11target_archE908ELNS1_3gpuE7ELNS1_3repE0EEENS1_30default_config_static_selectorELNS0_4arch9wavefront6targetE0EEEvSZ_,"axG",@progbits,_ZN7rocprim17ROCPRIM_400000_NS6detail17trampoline_kernelINS0_13select_configILj256ELj13ELNS0_17block_load_methodE3ELS4_3ELS4_3ELNS0_20block_scan_algorithmE0ELj4294967295EEENS1_25partition_config_selectorILNS1_17partition_subalgoE3EjNS0_10empty_typeEbEEZZNS1_14partition_implILS8_3ELb0ES6_jNS0_17counting_iteratorIjlEEPS9_SE_NS0_5tupleIJPjSE_EEENSF_IJSE_SE_EEES9_SG_JZNS1_25segmented_radix_sort_implINS0_14default_configELb0EPK6__halfPSL_PKlPlN2at6native12_GLOBAL__N_18offset_tEEE10hipError_tPvRmT1_PNSt15iterator_traitsISZ_E10value_typeET2_T3_PNS10_IS15_E10value_typeET4_jRbjT5_S1B_jjP12ihipStream_tbEUljE_EEESW_SX_SY_S15_S19_S1B_T6_T7_T9_mT8_S1D_bDpT10_ENKUlT_T0_E_clISt17integral_constantIbLb0EES1P_IbLb1EEEEDaS1L_S1M_EUlS1L_E_NS1_11comp_targetILNS1_3genE3ELNS1_11target_archE908ELNS1_3gpuE7ELNS1_3repE0EEENS1_30default_config_static_selectorELNS0_4arch9wavefront6targetE0EEEvSZ_,comdat
	.globl	_ZN7rocprim17ROCPRIM_400000_NS6detail17trampoline_kernelINS0_13select_configILj256ELj13ELNS0_17block_load_methodE3ELS4_3ELS4_3ELNS0_20block_scan_algorithmE0ELj4294967295EEENS1_25partition_config_selectorILNS1_17partition_subalgoE3EjNS0_10empty_typeEbEEZZNS1_14partition_implILS8_3ELb0ES6_jNS0_17counting_iteratorIjlEEPS9_SE_NS0_5tupleIJPjSE_EEENSF_IJSE_SE_EEES9_SG_JZNS1_25segmented_radix_sort_implINS0_14default_configELb0EPK6__halfPSL_PKlPlN2at6native12_GLOBAL__N_18offset_tEEE10hipError_tPvRmT1_PNSt15iterator_traitsISZ_E10value_typeET2_T3_PNS10_IS15_E10value_typeET4_jRbjT5_S1B_jjP12ihipStream_tbEUljE_EEESW_SX_SY_S15_S19_S1B_T6_T7_T9_mT8_S1D_bDpT10_ENKUlT_T0_E_clISt17integral_constantIbLb0EES1P_IbLb1EEEEDaS1L_S1M_EUlS1L_E_NS1_11comp_targetILNS1_3genE3ELNS1_11target_archE908ELNS1_3gpuE7ELNS1_3repE0EEENS1_30default_config_static_selectorELNS0_4arch9wavefront6targetE0EEEvSZ_ ; -- Begin function _ZN7rocprim17ROCPRIM_400000_NS6detail17trampoline_kernelINS0_13select_configILj256ELj13ELNS0_17block_load_methodE3ELS4_3ELS4_3ELNS0_20block_scan_algorithmE0ELj4294967295EEENS1_25partition_config_selectorILNS1_17partition_subalgoE3EjNS0_10empty_typeEbEEZZNS1_14partition_implILS8_3ELb0ES6_jNS0_17counting_iteratorIjlEEPS9_SE_NS0_5tupleIJPjSE_EEENSF_IJSE_SE_EEES9_SG_JZNS1_25segmented_radix_sort_implINS0_14default_configELb0EPK6__halfPSL_PKlPlN2at6native12_GLOBAL__N_18offset_tEEE10hipError_tPvRmT1_PNSt15iterator_traitsISZ_E10value_typeET2_T3_PNS10_IS15_E10value_typeET4_jRbjT5_S1B_jjP12ihipStream_tbEUljE_EEESW_SX_SY_S15_S19_S1B_T6_T7_T9_mT8_S1D_bDpT10_ENKUlT_T0_E_clISt17integral_constantIbLb0EES1P_IbLb1EEEEDaS1L_S1M_EUlS1L_E_NS1_11comp_targetILNS1_3genE3ELNS1_11target_archE908ELNS1_3gpuE7ELNS1_3repE0EEENS1_30default_config_static_selectorELNS0_4arch9wavefront6targetE0EEEvSZ_
	.p2align	8
	.type	_ZN7rocprim17ROCPRIM_400000_NS6detail17trampoline_kernelINS0_13select_configILj256ELj13ELNS0_17block_load_methodE3ELS4_3ELS4_3ELNS0_20block_scan_algorithmE0ELj4294967295EEENS1_25partition_config_selectorILNS1_17partition_subalgoE3EjNS0_10empty_typeEbEEZZNS1_14partition_implILS8_3ELb0ES6_jNS0_17counting_iteratorIjlEEPS9_SE_NS0_5tupleIJPjSE_EEENSF_IJSE_SE_EEES9_SG_JZNS1_25segmented_radix_sort_implINS0_14default_configELb0EPK6__halfPSL_PKlPlN2at6native12_GLOBAL__N_18offset_tEEE10hipError_tPvRmT1_PNSt15iterator_traitsISZ_E10value_typeET2_T3_PNS10_IS15_E10value_typeET4_jRbjT5_S1B_jjP12ihipStream_tbEUljE_EEESW_SX_SY_S15_S19_S1B_T6_T7_T9_mT8_S1D_bDpT10_ENKUlT_T0_E_clISt17integral_constantIbLb0EES1P_IbLb1EEEEDaS1L_S1M_EUlS1L_E_NS1_11comp_targetILNS1_3genE3ELNS1_11target_archE908ELNS1_3gpuE7ELNS1_3repE0EEENS1_30default_config_static_selectorELNS0_4arch9wavefront6targetE0EEEvSZ_,@function
_ZN7rocprim17ROCPRIM_400000_NS6detail17trampoline_kernelINS0_13select_configILj256ELj13ELNS0_17block_load_methodE3ELS4_3ELS4_3ELNS0_20block_scan_algorithmE0ELj4294967295EEENS1_25partition_config_selectorILNS1_17partition_subalgoE3EjNS0_10empty_typeEbEEZZNS1_14partition_implILS8_3ELb0ES6_jNS0_17counting_iteratorIjlEEPS9_SE_NS0_5tupleIJPjSE_EEENSF_IJSE_SE_EEES9_SG_JZNS1_25segmented_radix_sort_implINS0_14default_configELb0EPK6__halfPSL_PKlPlN2at6native12_GLOBAL__N_18offset_tEEE10hipError_tPvRmT1_PNSt15iterator_traitsISZ_E10value_typeET2_T3_PNS10_IS15_E10value_typeET4_jRbjT5_S1B_jjP12ihipStream_tbEUljE_EEESW_SX_SY_S15_S19_S1B_T6_T7_T9_mT8_S1D_bDpT10_ENKUlT_T0_E_clISt17integral_constantIbLb0EES1P_IbLb1EEEEDaS1L_S1M_EUlS1L_E_NS1_11comp_targetILNS1_3genE3ELNS1_11target_archE908ELNS1_3gpuE7ELNS1_3repE0EEENS1_30default_config_static_selectorELNS0_4arch9wavefront6targetE0EEEvSZ_: ; @_ZN7rocprim17ROCPRIM_400000_NS6detail17trampoline_kernelINS0_13select_configILj256ELj13ELNS0_17block_load_methodE3ELS4_3ELS4_3ELNS0_20block_scan_algorithmE0ELj4294967295EEENS1_25partition_config_selectorILNS1_17partition_subalgoE3EjNS0_10empty_typeEbEEZZNS1_14partition_implILS8_3ELb0ES6_jNS0_17counting_iteratorIjlEEPS9_SE_NS0_5tupleIJPjSE_EEENSF_IJSE_SE_EEES9_SG_JZNS1_25segmented_radix_sort_implINS0_14default_configELb0EPK6__halfPSL_PKlPlN2at6native12_GLOBAL__N_18offset_tEEE10hipError_tPvRmT1_PNSt15iterator_traitsISZ_E10value_typeET2_T3_PNS10_IS15_E10value_typeET4_jRbjT5_S1B_jjP12ihipStream_tbEUljE_EEESW_SX_SY_S15_S19_S1B_T6_T7_T9_mT8_S1D_bDpT10_ENKUlT_T0_E_clISt17integral_constantIbLb0EES1P_IbLb1EEEEDaS1L_S1M_EUlS1L_E_NS1_11comp_targetILNS1_3genE3ELNS1_11target_archE908ELNS1_3gpuE7ELNS1_3repE0EEENS1_30default_config_static_selectorELNS0_4arch9wavefront6targetE0EEEvSZ_
; %bb.0:
	.section	.rodata,"a",@progbits
	.p2align	6, 0x0
	.amdhsa_kernel _ZN7rocprim17ROCPRIM_400000_NS6detail17trampoline_kernelINS0_13select_configILj256ELj13ELNS0_17block_load_methodE3ELS4_3ELS4_3ELNS0_20block_scan_algorithmE0ELj4294967295EEENS1_25partition_config_selectorILNS1_17partition_subalgoE3EjNS0_10empty_typeEbEEZZNS1_14partition_implILS8_3ELb0ES6_jNS0_17counting_iteratorIjlEEPS9_SE_NS0_5tupleIJPjSE_EEENSF_IJSE_SE_EEES9_SG_JZNS1_25segmented_radix_sort_implINS0_14default_configELb0EPK6__halfPSL_PKlPlN2at6native12_GLOBAL__N_18offset_tEEE10hipError_tPvRmT1_PNSt15iterator_traitsISZ_E10value_typeET2_T3_PNS10_IS15_E10value_typeET4_jRbjT5_S1B_jjP12ihipStream_tbEUljE_EEESW_SX_SY_S15_S19_S1B_T6_T7_T9_mT8_S1D_bDpT10_ENKUlT_T0_E_clISt17integral_constantIbLb0EES1P_IbLb1EEEEDaS1L_S1M_EUlS1L_E_NS1_11comp_targetILNS1_3genE3ELNS1_11target_archE908ELNS1_3gpuE7ELNS1_3repE0EEENS1_30default_config_static_selectorELNS0_4arch9wavefront6targetE0EEEvSZ_
		.amdhsa_group_segment_fixed_size 0
		.amdhsa_private_segment_fixed_size 0
		.amdhsa_kernarg_size 152
		.amdhsa_user_sgpr_count 2
		.amdhsa_user_sgpr_dispatch_ptr 0
		.amdhsa_user_sgpr_queue_ptr 0
		.amdhsa_user_sgpr_kernarg_segment_ptr 1
		.amdhsa_user_sgpr_dispatch_id 0
		.amdhsa_user_sgpr_private_segment_size 0
		.amdhsa_wavefront_size32 1
		.amdhsa_uses_dynamic_stack 0
		.amdhsa_enable_private_segment 0
		.amdhsa_system_sgpr_workgroup_id_x 1
		.amdhsa_system_sgpr_workgroup_id_y 0
		.amdhsa_system_sgpr_workgroup_id_z 0
		.amdhsa_system_sgpr_workgroup_info 0
		.amdhsa_system_vgpr_workitem_id 0
		.amdhsa_next_free_vgpr 1
		.amdhsa_next_free_sgpr 1
		.amdhsa_reserve_vcc 0
		.amdhsa_float_round_mode_32 0
		.amdhsa_float_round_mode_16_64 0
		.amdhsa_float_denorm_mode_32 3
		.amdhsa_float_denorm_mode_16_64 3
		.amdhsa_fp16_overflow 0
		.amdhsa_workgroup_processor_mode 1
		.amdhsa_memory_ordered 1
		.amdhsa_forward_progress 1
		.amdhsa_inst_pref_size 0
		.amdhsa_round_robin_scheduling 0
		.amdhsa_exception_fp_ieee_invalid_op 0
		.amdhsa_exception_fp_denorm_src 0
		.amdhsa_exception_fp_ieee_div_zero 0
		.amdhsa_exception_fp_ieee_overflow 0
		.amdhsa_exception_fp_ieee_underflow 0
		.amdhsa_exception_fp_ieee_inexact 0
		.amdhsa_exception_int_div_zero 0
	.end_amdhsa_kernel
	.section	.text._ZN7rocprim17ROCPRIM_400000_NS6detail17trampoline_kernelINS0_13select_configILj256ELj13ELNS0_17block_load_methodE3ELS4_3ELS4_3ELNS0_20block_scan_algorithmE0ELj4294967295EEENS1_25partition_config_selectorILNS1_17partition_subalgoE3EjNS0_10empty_typeEbEEZZNS1_14partition_implILS8_3ELb0ES6_jNS0_17counting_iteratorIjlEEPS9_SE_NS0_5tupleIJPjSE_EEENSF_IJSE_SE_EEES9_SG_JZNS1_25segmented_radix_sort_implINS0_14default_configELb0EPK6__halfPSL_PKlPlN2at6native12_GLOBAL__N_18offset_tEEE10hipError_tPvRmT1_PNSt15iterator_traitsISZ_E10value_typeET2_T3_PNS10_IS15_E10value_typeET4_jRbjT5_S1B_jjP12ihipStream_tbEUljE_EEESW_SX_SY_S15_S19_S1B_T6_T7_T9_mT8_S1D_bDpT10_ENKUlT_T0_E_clISt17integral_constantIbLb0EES1P_IbLb1EEEEDaS1L_S1M_EUlS1L_E_NS1_11comp_targetILNS1_3genE3ELNS1_11target_archE908ELNS1_3gpuE7ELNS1_3repE0EEENS1_30default_config_static_selectorELNS0_4arch9wavefront6targetE0EEEvSZ_,"axG",@progbits,_ZN7rocprim17ROCPRIM_400000_NS6detail17trampoline_kernelINS0_13select_configILj256ELj13ELNS0_17block_load_methodE3ELS4_3ELS4_3ELNS0_20block_scan_algorithmE0ELj4294967295EEENS1_25partition_config_selectorILNS1_17partition_subalgoE3EjNS0_10empty_typeEbEEZZNS1_14partition_implILS8_3ELb0ES6_jNS0_17counting_iteratorIjlEEPS9_SE_NS0_5tupleIJPjSE_EEENSF_IJSE_SE_EEES9_SG_JZNS1_25segmented_radix_sort_implINS0_14default_configELb0EPK6__halfPSL_PKlPlN2at6native12_GLOBAL__N_18offset_tEEE10hipError_tPvRmT1_PNSt15iterator_traitsISZ_E10value_typeET2_T3_PNS10_IS15_E10value_typeET4_jRbjT5_S1B_jjP12ihipStream_tbEUljE_EEESW_SX_SY_S15_S19_S1B_T6_T7_T9_mT8_S1D_bDpT10_ENKUlT_T0_E_clISt17integral_constantIbLb0EES1P_IbLb1EEEEDaS1L_S1M_EUlS1L_E_NS1_11comp_targetILNS1_3genE3ELNS1_11target_archE908ELNS1_3gpuE7ELNS1_3repE0EEENS1_30default_config_static_selectorELNS0_4arch9wavefront6targetE0EEEvSZ_,comdat
.Lfunc_end1837:
	.size	_ZN7rocprim17ROCPRIM_400000_NS6detail17trampoline_kernelINS0_13select_configILj256ELj13ELNS0_17block_load_methodE3ELS4_3ELS4_3ELNS0_20block_scan_algorithmE0ELj4294967295EEENS1_25partition_config_selectorILNS1_17partition_subalgoE3EjNS0_10empty_typeEbEEZZNS1_14partition_implILS8_3ELb0ES6_jNS0_17counting_iteratorIjlEEPS9_SE_NS0_5tupleIJPjSE_EEENSF_IJSE_SE_EEES9_SG_JZNS1_25segmented_radix_sort_implINS0_14default_configELb0EPK6__halfPSL_PKlPlN2at6native12_GLOBAL__N_18offset_tEEE10hipError_tPvRmT1_PNSt15iterator_traitsISZ_E10value_typeET2_T3_PNS10_IS15_E10value_typeET4_jRbjT5_S1B_jjP12ihipStream_tbEUljE_EEESW_SX_SY_S15_S19_S1B_T6_T7_T9_mT8_S1D_bDpT10_ENKUlT_T0_E_clISt17integral_constantIbLb0EES1P_IbLb1EEEEDaS1L_S1M_EUlS1L_E_NS1_11comp_targetILNS1_3genE3ELNS1_11target_archE908ELNS1_3gpuE7ELNS1_3repE0EEENS1_30default_config_static_selectorELNS0_4arch9wavefront6targetE0EEEvSZ_, .Lfunc_end1837-_ZN7rocprim17ROCPRIM_400000_NS6detail17trampoline_kernelINS0_13select_configILj256ELj13ELNS0_17block_load_methodE3ELS4_3ELS4_3ELNS0_20block_scan_algorithmE0ELj4294967295EEENS1_25partition_config_selectorILNS1_17partition_subalgoE3EjNS0_10empty_typeEbEEZZNS1_14partition_implILS8_3ELb0ES6_jNS0_17counting_iteratorIjlEEPS9_SE_NS0_5tupleIJPjSE_EEENSF_IJSE_SE_EEES9_SG_JZNS1_25segmented_radix_sort_implINS0_14default_configELb0EPK6__halfPSL_PKlPlN2at6native12_GLOBAL__N_18offset_tEEE10hipError_tPvRmT1_PNSt15iterator_traitsISZ_E10value_typeET2_T3_PNS10_IS15_E10value_typeET4_jRbjT5_S1B_jjP12ihipStream_tbEUljE_EEESW_SX_SY_S15_S19_S1B_T6_T7_T9_mT8_S1D_bDpT10_ENKUlT_T0_E_clISt17integral_constantIbLb0EES1P_IbLb1EEEEDaS1L_S1M_EUlS1L_E_NS1_11comp_targetILNS1_3genE3ELNS1_11target_archE908ELNS1_3gpuE7ELNS1_3repE0EEENS1_30default_config_static_selectorELNS0_4arch9wavefront6targetE0EEEvSZ_
                                        ; -- End function
	.set _ZN7rocprim17ROCPRIM_400000_NS6detail17trampoline_kernelINS0_13select_configILj256ELj13ELNS0_17block_load_methodE3ELS4_3ELS4_3ELNS0_20block_scan_algorithmE0ELj4294967295EEENS1_25partition_config_selectorILNS1_17partition_subalgoE3EjNS0_10empty_typeEbEEZZNS1_14partition_implILS8_3ELb0ES6_jNS0_17counting_iteratorIjlEEPS9_SE_NS0_5tupleIJPjSE_EEENSF_IJSE_SE_EEES9_SG_JZNS1_25segmented_radix_sort_implINS0_14default_configELb0EPK6__halfPSL_PKlPlN2at6native12_GLOBAL__N_18offset_tEEE10hipError_tPvRmT1_PNSt15iterator_traitsISZ_E10value_typeET2_T3_PNS10_IS15_E10value_typeET4_jRbjT5_S1B_jjP12ihipStream_tbEUljE_EEESW_SX_SY_S15_S19_S1B_T6_T7_T9_mT8_S1D_bDpT10_ENKUlT_T0_E_clISt17integral_constantIbLb0EES1P_IbLb1EEEEDaS1L_S1M_EUlS1L_E_NS1_11comp_targetILNS1_3genE3ELNS1_11target_archE908ELNS1_3gpuE7ELNS1_3repE0EEENS1_30default_config_static_selectorELNS0_4arch9wavefront6targetE0EEEvSZ_.num_vgpr, 0
	.set _ZN7rocprim17ROCPRIM_400000_NS6detail17trampoline_kernelINS0_13select_configILj256ELj13ELNS0_17block_load_methodE3ELS4_3ELS4_3ELNS0_20block_scan_algorithmE0ELj4294967295EEENS1_25partition_config_selectorILNS1_17partition_subalgoE3EjNS0_10empty_typeEbEEZZNS1_14partition_implILS8_3ELb0ES6_jNS0_17counting_iteratorIjlEEPS9_SE_NS0_5tupleIJPjSE_EEENSF_IJSE_SE_EEES9_SG_JZNS1_25segmented_radix_sort_implINS0_14default_configELb0EPK6__halfPSL_PKlPlN2at6native12_GLOBAL__N_18offset_tEEE10hipError_tPvRmT1_PNSt15iterator_traitsISZ_E10value_typeET2_T3_PNS10_IS15_E10value_typeET4_jRbjT5_S1B_jjP12ihipStream_tbEUljE_EEESW_SX_SY_S15_S19_S1B_T6_T7_T9_mT8_S1D_bDpT10_ENKUlT_T0_E_clISt17integral_constantIbLb0EES1P_IbLb1EEEEDaS1L_S1M_EUlS1L_E_NS1_11comp_targetILNS1_3genE3ELNS1_11target_archE908ELNS1_3gpuE7ELNS1_3repE0EEENS1_30default_config_static_selectorELNS0_4arch9wavefront6targetE0EEEvSZ_.num_agpr, 0
	.set _ZN7rocprim17ROCPRIM_400000_NS6detail17trampoline_kernelINS0_13select_configILj256ELj13ELNS0_17block_load_methodE3ELS4_3ELS4_3ELNS0_20block_scan_algorithmE0ELj4294967295EEENS1_25partition_config_selectorILNS1_17partition_subalgoE3EjNS0_10empty_typeEbEEZZNS1_14partition_implILS8_3ELb0ES6_jNS0_17counting_iteratorIjlEEPS9_SE_NS0_5tupleIJPjSE_EEENSF_IJSE_SE_EEES9_SG_JZNS1_25segmented_radix_sort_implINS0_14default_configELb0EPK6__halfPSL_PKlPlN2at6native12_GLOBAL__N_18offset_tEEE10hipError_tPvRmT1_PNSt15iterator_traitsISZ_E10value_typeET2_T3_PNS10_IS15_E10value_typeET4_jRbjT5_S1B_jjP12ihipStream_tbEUljE_EEESW_SX_SY_S15_S19_S1B_T6_T7_T9_mT8_S1D_bDpT10_ENKUlT_T0_E_clISt17integral_constantIbLb0EES1P_IbLb1EEEEDaS1L_S1M_EUlS1L_E_NS1_11comp_targetILNS1_3genE3ELNS1_11target_archE908ELNS1_3gpuE7ELNS1_3repE0EEENS1_30default_config_static_selectorELNS0_4arch9wavefront6targetE0EEEvSZ_.numbered_sgpr, 0
	.set _ZN7rocprim17ROCPRIM_400000_NS6detail17trampoline_kernelINS0_13select_configILj256ELj13ELNS0_17block_load_methodE3ELS4_3ELS4_3ELNS0_20block_scan_algorithmE0ELj4294967295EEENS1_25partition_config_selectorILNS1_17partition_subalgoE3EjNS0_10empty_typeEbEEZZNS1_14partition_implILS8_3ELb0ES6_jNS0_17counting_iteratorIjlEEPS9_SE_NS0_5tupleIJPjSE_EEENSF_IJSE_SE_EEES9_SG_JZNS1_25segmented_radix_sort_implINS0_14default_configELb0EPK6__halfPSL_PKlPlN2at6native12_GLOBAL__N_18offset_tEEE10hipError_tPvRmT1_PNSt15iterator_traitsISZ_E10value_typeET2_T3_PNS10_IS15_E10value_typeET4_jRbjT5_S1B_jjP12ihipStream_tbEUljE_EEESW_SX_SY_S15_S19_S1B_T6_T7_T9_mT8_S1D_bDpT10_ENKUlT_T0_E_clISt17integral_constantIbLb0EES1P_IbLb1EEEEDaS1L_S1M_EUlS1L_E_NS1_11comp_targetILNS1_3genE3ELNS1_11target_archE908ELNS1_3gpuE7ELNS1_3repE0EEENS1_30default_config_static_selectorELNS0_4arch9wavefront6targetE0EEEvSZ_.num_named_barrier, 0
	.set _ZN7rocprim17ROCPRIM_400000_NS6detail17trampoline_kernelINS0_13select_configILj256ELj13ELNS0_17block_load_methodE3ELS4_3ELS4_3ELNS0_20block_scan_algorithmE0ELj4294967295EEENS1_25partition_config_selectorILNS1_17partition_subalgoE3EjNS0_10empty_typeEbEEZZNS1_14partition_implILS8_3ELb0ES6_jNS0_17counting_iteratorIjlEEPS9_SE_NS0_5tupleIJPjSE_EEENSF_IJSE_SE_EEES9_SG_JZNS1_25segmented_radix_sort_implINS0_14default_configELb0EPK6__halfPSL_PKlPlN2at6native12_GLOBAL__N_18offset_tEEE10hipError_tPvRmT1_PNSt15iterator_traitsISZ_E10value_typeET2_T3_PNS10_IS15_E10value_typeET4_jRbjT5_S1B_jjP12ihipStream_tbEUljE_EEESW_SX_SY_S15_S19_S1B_T6_T7_T9_mT8_S1D_bDpT10_ENKUlT_T0_E_clISt17integral_constantIbLb0EES1P_IbLb1EEEEDaS1L_S1M_EUlS1L_E_NS1_11comp_targetILNS1_3genE3ELNS1_11target_archE908ELNS1_3gpuE7ELNS1_3repE0EEENS1_30default_config_static_selectorELNS0_4arch9wavefront6targetE0EEEvSZ_.private_seg_size, 0
	.set _ZN7rocprim17ROCPRIM_400000_NS6detail17trampoline_kernelINS0_13select_configILj256ELj13ELNS0_17block_load_methodE3ELS4_3ELS4_3ELNS0_20block_scan_algorithmE0ELj4294967295EEENS1_25partition_config_selectorILNS1_17partition_subalgoE3EjNS0_10empty_typeEbEEZZNS1_14partition_implILS8_3ELb0ES6_jNS0_17counting_iteratorIjlEEPS9_SE_NS0_5tupleIJPjSE_EEENSF_IJSE_SE_EEES9_SG_JZNS1_25segmented_radix_sort_implINS0_14default_configELb0EPK6__halfPSL_PKlPlN2at6native12_GLOBAL__N_18offset_tEEE10hipError_tPvRmT1_PNSt15iterator_traitsISZ_E10value_typeET2_T3_PNS10_IS15_E10value_typeET4_jRbjT5_S1B_jjP12ihipStream_tbEUljE_EEESW_SX_SY_S15_S19_S1B_T6_T7_T9_mT8_S1D_bDpT10_ENKUlT_T0_E_clISt17integral_constantIbLb0EES1P_IbLb1EEEEDaS1L_S1M_EUlS1L_E_NS1_11comp_targetILNS1_3genE3ELNS1_11target_archE908ELNS1_3gpuE7ELNS1_3repE0EEENS1_30default_config_static_selectorELNS0_4arch9wavefront6targetE0EEEvSZ_.uses_vcc, 0
	.set _ZN7rocprim17ROCPRIM_400000_NS6detail17trampoline_kernelINS0_13select_configILj256ELj13ELNS0_17block_load_methodE3ELS4_3ELS4_3ELNS0_20block_scan_algorithmE0ELj4294967295EEENS1_25partition_config_selectorILNS1_17partition_subalgoE3EjNS0_10empty_typeEbEEZZNS1_14partition_implILS8_3ELb0ES6_jNS0_17counting_iteratorIjlEEPS9_SE_NS0_5tupleIJPjSE_EEENSF_IJSE_SE_EEES9_SG_JZNS1_25segmented_radix_sort_implINS0_14default_configELb0EPK6__halfPSL_PKlPlN2at6native12_GLOBAL__N_18offset_tEEE10hipError_tPvRmT1_PNSt15iterator_traitsISZ_E10value_typeET2_T3_PNS10_IS15_E10value_typeET4_jRbjT5_S1B_jjP12ihipStream_tbEUljE_EEESW_SX_SY_S15_S19_S1B_T6_T7_T9_mT8_S1D_bDpT10_ENKUlT_T0_E_clISt17integral_constantIbLb0EES1P_IbLb1EEEEDaS1L_S1M_EUlS1L_E_NS1_11comp_targetILNS1_3genE3ELNS1_11target_archE908ELNS1_3gpuE7ELNS1_3repE0EEENS1_30default_config_static_selectorELNS0_4arch9wavefront6targetE0EEEvSZ_.uses_flat_scratch, 0
	.set _ZN7rocprim17ROCPRIM_400000_NS6detail17trampoline_kernelINS0_13select_configILj256ELj13ELNS0_17block_load_methodE3ELS4_3ELS4_3ELNS0_20block_scan_algorithmE0ELj4294967295EEENS1_25partition_config_selectorILNS1_17partition_subalgoE3EjNS0_10empty_typeEbEEZZNS1_14partition_implILS8_3ELb0ES6_jNS0_17counting_iteratorIjlEEPS9_SE_NS0_5tupleIJPjSE_EEENSF_IJSE_SE_EEES9_SG_JZNS1_25segmented_radix_sort_implINS0_14default_configELb0EPK6__halfPSL_PKlPlN2at6native12_GLOBAL__N_18offset_tEEE10hipError_tPvRmT1_PNSt15iterator_traitsISZ_E10value_typeET2_T3_PNS10_IS15_E10value_typeET4_jRbjT5_S1B_jjP12ihipStream_tbEUljE_EEESW_SX_SY_S15_S19_S1B_T6_T7_T9_mT8_S1D_bDpT10_ENKUlT_T0_E_clISt17integral_constantIbLb0EES1P_IbLb1EEEEDaS1L_S1M_EUlS1L_E_NS1_11comp_targetILNS1_3genE3ELNS1_11target_archE908ELNS1_3gpuE7ELNS1_3repE0EEENS1_30default_config_static_selectorELNS0_4arch9wavefront6targetE0EEEvSZ_.has_dyn_sized_stack, 0
	.set _ZN7rocprim17ROCPRIM_400000_NS6detail17trampoline_kernelINS0_13select_configILj256ELj13ELNS0_17block_load_methodE3ELS4_3ELS4_3ELNS0_20block_scan_algorithmE0ELj4294967295EEENS1_25partition_config_selectorILNS1_17partition_subalgoE3EjNS0_10empty_typeEbEEZZNS1_14partition_implILS8_3ELb0ES6_jNS0_17counting_iteratorIjlEEPS9_SE_NS0_5tupleIJPjSE_EEENSF_IJSE_SE_EEES9_SG_JZNS1_25segmented_radix_sort_implINS0_14default_configELb0EPK6__halfPSL_PKlPlN2at6native12_GLOBAL__N_18offset_tEEE10hipError_tPvRmT1_PNSt15iterator_traitsISZ_E10value_typeET2_T3_PNS10_IS15_E10value_typeET4_jRbjT5_S1B_jjP12ihipStream_tbEUljE_EEESW_SX_SY_S15_S19_S1B_T6_T7_T9_mT8_S1D_bDpT10_ENKUlT_T0_E_clISt17integral_constantIbLb0EES1P_IbLb1EEEEDaS1L_S1M_EUlS1L_E_NS1_11comp_targetILNS1_3genE3ELNS1_11target_archE908ELNS1_3gpuE7ELNS1_3repE0EEENS1_30default_config_static_selectorELNS0_4arch9wavefront6targetE0EEEvSZ_.has_recursion, 0
	.set _ZN7rocprim17ROCPRIM_400000_NS6detail17trampoline_kernelINS0_13select_configILj256ELj13ELNS0_17block_load_methodE3ELS4_3ELS4_3ELNS0_20block_scan_algorithmE0ELj4294967295EEENS1_25partition_config_selectorILNS1_17partition_subalgoE3EjNS0_10empty_typeEbEEZZNS1_14partition_implILS8_3ELb0ES6_jNS0_17counting_iteratorIjlEEPS9_SE_NS0_5tupleIJPjSE_EEENSF_IJSE_SE_EEES9_SG_JZNS1_25segmented_radix_sort_implINS0_14default_configELb0EPK6__halfPSL_PKlPlN2at6native12_GLOBAL__N_18offset_tEEE10hipError_tPvRmT1_PNSt15iterator_traitsISZ_E10value_typeET2_T3_PNS10_IS15_E10value_typeET4_jRbjT5_S1B_jjP12ihipStream_tbEUljE_EEESW_SX_SY_S15_S19_S1B_T6_T7_T9_mT8_S1D_bDpT10_ENKUlT_T0_E_clISt17integral_constantIbLb0EES1P_IbLb1EEEEDaS1L_S1M_EUlS1L_E_NS1_11comp_targetILNS1_3genE3ELNS1_11target_archE908ELNS1_3gpuE7ELNS1_3repE0EEENS1_30default_config_static_selectorELNS0_4arch9wavefront6targetE0EEEvSZ_.has_indirect_call, 0
	.section	.AMDGPU.csdata,"",@progbits
; Kernel info:
; codeLenInByte = 0
; TotalNumSgprs: 0
; NumVgprs: 0
; ScratchSize: 0
; MemoryBound: 0
; FloatMode: 240
; IeeeMode: 1
; LDSByteSize: 0 bytes/workgroup (compile time only)
; SGPRBlocks: 0
; VGPRBlocks: 0
; NumSGPRsForWavesPerEU: 1
; NumVGPRsForWavesPerEU: 1
; Occupancy: 16
; WaveLimiterHint : 0
; COMPUTE_PGM_RSRC2:SCRATCH_EN: 0
; COMPUTE_PGM_RSRC2:USER_SGPR: 2
; COMPUTE_PGM_RSRC2:TRAP_HANDLER: 0
; COMPUTE_PGM_RSRC2:TGID_X_EN: 1
; COMPUTE_PGM_RSRC2:TGID_Y_EN: 0
; COMPUTE_PGM_RSRC2:TGID_Z_EN: 0
; COMPUTE_PGM_RSRC2:TIDIG_COMP_CNT: 0
	.section	.text._ZN7rocprim17ROCPRIM_400000_NS6detail17trampoline_kernelINS0_13select_configILj256ELj13ELNS0_17block_load_methodE3ELS4_3ELS4_3ELNS0_20block_scan_algorithmE0ELj4294967295EEENS1_25partition_config_selectorILNS1_17partition_subalgoE3EjNS0_10empty_typeEbEEZZNS1_14partition_implILS8_3ELb0ES6_jNS0_17counting_iteratorIjlEEPS9_SE_NS0_5tupleIJPjSE_EEENSF_IJSE_SE_EEES9_SG_JZNS1_25segmented_radix_sort_implINS0_14default_configELb0EPK6__halfPSL_PKlPlN2at6native12_GLOBAL__N_18offset_tEEE10hipError_tPvRmT1_PNSt15iterator_traitsISZ_E10value_typeET2_T3_PNS10_IS15_E10value_typeET4_jRbjT5_S1B_jjP12ihipStream_tbEUljE_EEESW_SX_SY_S15_S19_S1B_T6_T7_T9_mT8_S1D_bDpT10_ENKUlT_T0_E_clISt17integral_constantIbLb0EES1P_IbLb1EEEEDaS1L_S1M_EUlS1L_E_NS1_11comp_targetILNS1_3genE2ELNS1_11target_archE906ELNS1_3gpuE6ELNS1_3repE0EEENS1_30default_config_static_selectorELNS0_4arch9wavefront6targetE0EEEvSZ_,"axG",@progbits,_ZN7rocprim17ROCPRIM_400000_NS6detail17trampoline_kernelINS0_13select_configILj256ELj13ELNS0_17block_load_methodE3ELS4_3ELS4_3ELNS0_20block_scan_algorithmE0ELj4294967295EEENS1_25partition_config_selectorILNS1_17partition_subalgoE3EjNS0_10empty_typeEbEEZZNS1_14partition_implILS8_3ELb0ES6_jNS0_17counting_iteratorIjlEEPS9_SE_NS0_5tupleIJPjSE_EEENSF_IJSE_SE_EEES9_SG_JZNS1_25segmented_radix_sort_implINS0_14default_configELb0EPK6__halfPSL_PKlPlN2at6native12_GLOBAL__N_18offset_tEEE10hipError_tPvRmT1_PNSt15iterator_traitsISZ_E10value_typeET2_T3_PNS10_IS15_E10value_typeET4_jRbjT5_S1B_jjP12ihipStream_tbEUljE_EEESW_SX_SY_S15_S19_S1B_T6_T7_T9_mT8_S1D_bDpT10_ENKUlT_T0_E_clISt17integral_constantIbLb0EES1P_IbLb1EEEEDaS1L_S1M_EUlS1L_E_NS1_11comp_targetILNS1_3genE2ELNS1_11target_archE906ELNS1_3gpuE6ELNS1_3repE0EEENS1_30default_config_static_selectorELNS0_4arch9wavefront6targetE0EEEvSZ_,comdat
	.globl	_ZN7rocprim17ROCPRIM_400000_NS6detail17trampoline_kernelINS0_13select_configILj256ELj13ELNS0_17block_load_methodE3ELS4_3ELS4_3ELNS0_20block_scan_algorithmE0ELj4294967295EEENS1_25partition_config_selectorILNS1_17partition_subalgoE3EjNS0_10empty_typeEbEEZZNS1_14partition_implILS8_3ELb0ES6_jNS0_17counting_iteratorIjlEEPS9_SE_NS0_5tupleIJPjSE_EEENSF_IJSE_SE_EEES9_SG_JZNS1_25segmented_radix_sort_implINS0_14default_configELb0EPK6__halfPSL_PKlPlN2at6native12_GLOBAL__N_18offset_tEEE10hipError_tPvRmT1_PNSt15iterator_traitsISZ_E10value_typeET2_T3_PNS10_IS15_E10value_typeET4_jRbjT5_S1B_jjP12ihipStream_tbEUljE_EEESW_SX_SY_S15_S19_S1B_T6_T7_T9_mT8_S1D_bDpT10_ENKUlT_T0_E_clISt17integral_constantIbLb0EES1P_IbLb1EEEEDaS1L_S1M_EUlS1L_E_NS1_11comp_targetILNS1_3genE2ELNS1_11target_archE906ELNS1_3gpuE6ELNS1_3repE0EEENS1_30default_config_static_selectorELNS0_4arch9wavefront6targetE0EEEvSZ_ ; -- Begin function _ZN7rocprim17ROCPRIM_400000_NS6detail17trampoline_kernelINS0_13select_configILj256ELj13ELNS0_17block_load_methodE3ELS4_3ELS4_3ELNS0_20block_scan_algorithmE0ELj4294967295EEENS1_25partition_config_selectorILNS1_17partition_subalgoE3EjNS0_10empty_typeEbEEZZNS1_14partition_implILS8_3ELb0ES6_jNS0_17counting_iteratorIjlEEPS9_SE_NS0_5tupleIJPjSE_EEENSF_IJSE_SE_EEES9_SG_JZNS1_25segmented_radix_sort_implINS0_14default_configELb0EPK6__halfPSL_PKlPlN2at6native12_GLOBAL__N_18offset_tEEE10hipError_tPvRmT1_PNSt15iterator_traitsISZ_E10value_typeET2_T3_PNS10_IS15_E10value_typeET4_jRbjT5_S1B_jjP12ihipStream_tbEUljE_EEESW_SX_SY_S15_S19_S1B_T6_T7_T9_mT8_S1D_bDpT10_ENKUlT_T0_E_clISt17integral_constantIbLb0EES1P_IbLb1EEEEDaS1L_S1M_EUlS1L_E_NS1_11comp_targetILNS1_3genE2ELNS1_11target_archE906ELNS1_3gpuE6ELNS1_3repE0EEENS1_30default_config_static_selectorELNS0_4arch9wavefront6targetE0EEEvSZ_
	.p2align	8
	.type	_ZN7rocprim17ROCPRIM_400000_NS6detail17trampoline_kernelINS0_13select_configILj256ELj13ELNS0_17block_load_methodE3ELS4_3ELS4_3ELNS0_20block_scan_algorithmE0ELj4294967295EEENS1_25partition_config_selectorILNS1_17partition_subalgoE3EjNS0_10empty_typeEbEEZZNS1_14partition_implILS8_3ELb0ES6_jNS0_17counting_iteratorIjlEEPS9_SE_NS0_5tupleIJPjSE_EEENSF_IJSE_SE_EEES9_SG_JZNS1_25segmented_radix_sort_implINS0_14default_configELb0EPK6__halfPSL_PKlPlN2at6native12_GLOBAL__N_18offset_tEEE10hipError_tPvRmT1_PNSt15iterator_traitsISZ_E10value_typeET2_T3_PNS10_IS15_E10value_typeET4_jRbjT5_S1B_jjP12ihipStream_tbEUljE_EEESW_SX_SY_S15_S19_S1B_T6_T7_T9_mT8_S1D_bDpT10_ENKUlT_T0_E_clISt17integral_constantIbLb0EES1P_IbLb1EEEEDaS1L_S1M_EUlS1L_E_NS1_11comp_targetILNS1_3genE2ELNS1_11target_archE906ELNS1_3gpuE6ELNS1_3repE0EEENS1_30default_config_static_selectorELNS0_4arch9wavefront6targetE0EEEvSZ_,@function
_ZN7rocprim17ROCPRIM_400000_NS6detail17trampoline_kernelINS0_13select_configILj256ELj13ELNS0_17block_load_methodE3ELS4_3ELS4_3ELNS0_20block_scan_algorithmE0ELj4294967295EEENS1_25partition_config_selectorILNS1_17partition_subalgoE3EjNS0_10empty_typeEbEEZZNS1_14partition_implILS8_3ELb0ES6_jNS0_17counting_iteratorIjlEEPS9_SE_NS0_5tupleIJPjSE_EEENSF_IJSE_SE_EEES9_SG_JZNS1_25segmented_radix_sort_implINS0_14default_configELb0EPK6__halfPSL_PKlPlN2at6native12_GLOBAL__N_18offset_tEEE10hipError_tPvRmT1_PNSt15iterator_traitsISZ_E10value_typeET2_T3_PNS10_IS15_E10value_typeET4_jRbjT5_S1B_jjP12ihipStream_tbEUljE_EEESW_SX_SY_S15_S19_S1B_T6_T7_T9_mT8_S1D_bDpT10_ENKUlT_T0_E_clISt17integral_constantIbLb0EES1P_IbLb1EEEEDaS1L_S1M_EUlS1L_E_NS1_11comp_targetILNS1_3genE2ELNS1_11target_archE906ELNS1_3gpuE6ELNS1_3repE0EEENS1_30default_config_static_selectorELNS0_4arch9wavefront6targetE0EEEvSZ_: ; @_ZN7rocprim17ROCPRIM_400000_NS6detail17trampoline_kernelINS0_13select_configILj256ELj13ELNS0_17block_load_methodE3ELS4_3ELS4_3ELNS0_20block_scan_algorithmE0ELj4294967295EEENS1_25partition_config_selectorILNS1_17partition_subalgoE3EjNS0_10empty_typeEbEEZZNS1_14partition_implILS8_3ELb0ES6_jNS0_17counting_iteratorIjlEEPS9_SE_NS0_5tupleIJPjSE_EEENSF_IJSE_SE_EEES9_SG_JZNS1_25segmented_radix_sort_implINS0_14default_configELb0EPK6__halfPSL_PKlPlN2at6native12_GLOBAL__N_18offset_tEEE10hipError_tPvRmT1_PNSt15iterator_traitsISZ_E10value_typeET2_T3_PNS10_IS15_E10value_typeET4_jRbjT5_S1B_jjP12ihipStream_tbEUljE_EEESW_SX_SY_S15_S19_S1B_T6_T7_T9_mT8_S1D_bDpT10_ENKUlT_T0_E_clISt17integral_constantIbLb0EES1P_IbLb1EEEEDaS1L_S1M_EUlS1L_E_NS1_11comp_targetILNS1_3genE2ELNS1_11target_archE906ELNS1_3gpuE6ELNS1_3repE0EEENS1_30default_config_static_selectorELNS0_4arch9wavefront6targetE0EEEvSZ_
; %bb.0:
	.section	.rodata,"a",@progbits
	.p2align	6, 0x0
	.amdhsa_kernel _ZN7rocprim17ROCPRIM_400000_NS6detail17trampoline_kernelINS0_13select_configILj256ELj13ELNS0_17block_load_methodE3ELS4_3ELS4_3ELNS0_20block_scan_algorithmE0ELj4294967295EEENS1_25partition_config_selectorILNS1_17partition_subalgoE3EjNS0_10empty_typeEbEEZZNS1_14partition_implILS8_3ELb0ES6_jNS0_17counting_iteratorIjlEEPS9_SE_NS0_5tupleIJPjSE_EEENSF_IJSE_SE_EEES9_SG_JZNS1_25segmented_radix_sort_implINS0_14default_configELb0EPK6__halfPSL_PKlPlN2at6native12_GLOBAL__N_18offset_tEEE10hipError_tPvRmT1_PNSt15iterator_traitsISZ_E10value_typeET2_T3_PNS10_IS15_E10value_typeET4_jRbjT5_S1B_jjP12ihipStream_tbEUljE_EEESW_SX_SY_S15_S19_S1B_T6_T7_T9_mT8_S1D_bDpT10_ENKUlT_T0_E_clISt17integral_constantIbLb0EES1P_IbLb1EEEEDaS1L_S1M_EUlS1L_E_NS1_11comp_targetILNS1_3genE2ELNS1_11target_archE906ELNS1_3gpuE6ELNS1_3repE0EEENS1_30default_config_static_selectorELNS0_4arch9wavefront6targetE0EEEvSZ_
		.amdhsa_group_segment_fixed_size 0
		.amdhsa_private_segment_fixed_size 0
		.amdhsa_kernarg_size 152
		.amdhsa_user_sgpr_count 2
		.amdhsa_user_sgpr_dispatch_ptr 0
		.amdhsa_user_sgpr_queue_ptr 0
		.amdhsa_user_sgpr_kernarg_segment_ptr 1
		.amdhsa_user_sgpr_dispatch_id 0
		.amdhsa_user_sgpr_private_segment_size 0
		.amdhsa_wavefront_size32 1
		.amdhsa_uses_dynamic_stack 0
		.amdhsa_enable_private_segment 0
		.amdhsa_system_sgpr_workgroup_id_x 1
		.amdhsa_system_sgpr_workgroup_id_y 0
		.amdhsa_system_sgpr_workgroup_id_z 0
		.amdhsa_system_sgpr_workgroup_info 0
		.amdhsa_system_vgpr_workitem_id 0
		.amdhsa_next_free_vgpr 1
		.amdhsa_next_free_sgpr 1
		.amdhsa_reserve_vcc 0
		.amdhsa_float_round_mode_32 0
		.amdhsa_float_round_mode_16_64 0
		.amdhsa_float_denorm_mode_32 3
		.amdhsa_float_denorm_mode_16_64 3
		.amdhsa_fp16_overflow 0
		.amdhsa_workgroup_processor_mode 1
		.amdhsa_memory_ordered 1
		.amdhsa_forward_progress 1
		.amdhsa_inst_pref_size 0
		.amdhsa_round_robin_scheduling 0
		.amdhsa_exception_fp_ieee_invalid_op 0
		.amdhsa_exception_fp_denorm_src 0
		.amdhsa_exception_fp_ieee_div_zero 0
		.amdhsa_exception_fp_ieee_overflow 0
		.amdhsa_exception_fp_ieee_underflow 0
		.amdhsa_exception_fp_ieee_inexact 0
		.amdhsa_exception_int_div_zero 0
	.end_amdhsa_kernel
	.section	.text._ZN7rocprim17ROCPRIM_400000_NS6detail17trampoline_kernelINS0_13select_configILj256ELj13ELNS0_17block_load_methodE3ELS4_3ELS4_3ELNS0_20block_scan_algorithmE0ELj4294967295EEENS1_25partition_config_selectorILNS1_17partition_subalgoE3EjNS0_10empty_typeEbEEZZNS1_14partition_implILS8_3ELb0ES6_jNS0_17counting_iteratorIjlEEPS9_SE_NS0_5tupleIJPjSE_EEENSF_IJSE_SE_EEES9_SG_JZNS1_25segmented_radix_sort_implINS0_14default_configELb0EPK6__halfPSL_PKlPlN2at6native12_GLOBAL__N_18offset_tEEE10hipError_tPvRmT1_PNSt15iterator_traitsISZ_E10value_typeET2_T3_PNS10_IS15_E10value_typeET4_jRbjT5_S1B_jjP12ihipStream_tbEUljE_EEESW_SX_SY_S15_S19_S1B_T6_T7_T9_mT8_S1D_bDpT10_ENKUlT_T0_E_clISt17integral_constantIbLb0EES1P_IbLb1EEEEDaS1L_S1M_EUlS1L_E_NS1_11comp_targetILNS1_3genE2ELNS1_11target_archE906ELNS1_3gpuE6ELNS1_3repE0EEENS1_30default_config_static_selectorELNS0_4arch9wavefront6targetE0EEEvSZ_,"axG",@progbits,_ZN7rocprim17ROCPRIM_400000_NS6detail17trampoline_kernelINS0_13select_configILj256ELj13ELNS0_17block_load_methodE3ELS4_3ELS4_3ELNS0_20block_scan_algorithmE0ELj4294967295EEENS1_25partition_config_selectorILNS1_17partition_subalgoE3EjNS0_10empty_typeEbEEZZNS1_14partition_implILS8_3ELb0ES6_jNS0_17counting_iteratorIjlEEPS9_SE_NS0_5tupleIJPjSE_EEENSF_IJSE_SE_EEES9_SG_JZNS1_25segmented_radix_sort_implINS0_14default_configELb0EPK6__halfPSL_PKlPlN2at6native12_GLOBAL__N_18offset_tEEE10hipError_tPvRmT1_PNSt15iterator_traitsISZ_E10value_typeET2_T3_PNS10_IS15_E10value_typeET4_jRbjT5_S1B_jjP12ihipStream_tbEUljE_EEESW_SX_SY_S15_S19_S1B_T6_T7_T9_mT8_S1D_bDpT10_ENKUlT_T0_E_clISt17integral_constantIbLb0EES1P_IbLb1EEEEDaS1L_S1M_EUlS1L_E_NS1_11comp_targetILNS1_3genE2ELNS1_11target_archE906ELNS1_3gpuE6ELNS1_3repE0EEENS1_30default_config_static_selectorELNS0_4arch9wavefront6targetE0EEEvSZ_,comdat
.Lfunc_end1838:
	.size	_ZN7rocprim17ROCPRIM_400000_NS6detail17trampoline_kernelINS0_13select_configILj256ELj13ELNS0_17block_load_methodE3ELS4_3ELS4_3ELNS0_20block_scan_algorithmE0ELj4294967295EEENS1_25partition_config_selectorILNS1_17partition_subalgoE3EjNS0_10empty_typeEbEEZZNS1_14partition_implILS8_3ELb0ES6_jNS0_17counting_iteratorIjlEEPS9_SE_NS0_5tupleIJPjSE_EEENSF_IJSE_SE_EEES9_SG_JZNS1_25segmented_radix_sort_implINS0_14default_configELb0EPK6__halfPSL_PKlPlN2at6native12_GLOBAL__N_18offset_tEEE10hipError_tPvRmT1_PNSt15iterator_traitsISZ_E10value_typeET2_T3_PNS10_IS15_E10value_typeET4_jRbjT5_S1B_jjP12ihipStream_tbEUljE_EEESW_SX_SY_S15_S19_S1B_T6_T7_T9_mT8_S1D_bDpT10_ENKUlT_T0_E_clISt17integral_constantIbLb0EES1P_IbLb1EEEEDaS1L_S1M_EUlS1L_E_NS1_11comp_targetILNS1_3genE2ELNS1_11target_archE906ELNS1_3gpuE6ELNS1_3repE0EEENS1_30default_config_static_selectorELNS0_4arch9wavefront6targetE0EEEvSZ_, .Lfunc_end1838-_ZN7rocprim17ROCPRIM_400000_NS6detail17trampoline_kernelINS0_13select_configILj256ELj13ELNS0_17block_load_methodE3ELS4_3ELS4_3ELNS0_20block_scan_algorithmE0ELj4294967295EEENS1_25partition_config_selectorILNS1_17partition_subalgoE3EjNS0_10empty_typeEbEEZZNS1_14partition_implILS8_3ELb0ES6_jNS0_17counting_iteratorIjlEEPS9_SE_NS0_5tupleIJPjSE_EEENSF_IJSE_SE_EEES9_SG_JZNS1_25segmented_radix_sort_implINS0_14default_configELb0EPK6__halfPSL_PKlPlN2at6native12_GLOBAL__N_18offset_tEEE10hipError_tPvRmT1_PNSt15iterator_traitsISZ_E10value_typeET2_T3_PNS10_IS15_E10value_typeET4_jRbjT5_S1B_jjP12ihipStream_tbEUljE_EEESW_SX_SY_S15_S19_S1B_T6_T7_T9_mT8_S1D_bDpT10_ENKUlT_T0_E_clISt17integral_constantIbLb0EES1P_IbLb1EEEEDaS1L_S1M_EUlS1L_E_NS1_11comp_targetILNS1_3genE2ELNS1_11target_archE906ELNS1_3gpuE6ELNS1_3repE0EEENS1_30default_config_static_selectorELNS0_4arch9wavefront6targetE0EEEvSZ_
                                        ; -- End function
	.set _ZN7rocprim17ROCPRIM_400000_NS6detail17trampoline_kernelINS0_13select_configILj256ELj13ELNS0_17block_load_methodE3ELS4_3ELS4_3ELNS0_20block_scan_algorithmE0ELj4294967295EEENS1_25partition_config_selectorILNS1_17partition_subalgoE3EjNS0_10empty_typeEbEEZZNS1_14partition_implILS8_3ELb0ES6_jNS0_17counting_iteratorIjlEEPS9_SE_NS0_5tupleIJPjSE_EEENSF_IJSE_SE_EEES9_SG_JZNS1_25segmented_radix_sort_implINS0_14default_configELb0EPK6__halfPSL_PKlPlN2at6native12_GLOBAL__N_18offset_tEEE10hipError_tPvRmT1_PNSt15iterator_traitsISZ_E10value_typeET2_T3_PNS10_IS15_E10value_typeET4_jRbjT5_S1B_jjP12ihipStream_tbEUljE_EEESW_SX_SY_S15_S19_S1B_T6_T7_T9_mT8_S1D_bDpT10_ENKUlT_T0_E_clISt17integral_constantIbLb0EES1P_IbLb1EEEEDaS1L_S1M_EUlS1L_E_NS1_11comp_targetILNS1_3genE2ELNS1_11target_archE906ELNS1_3gpuE6ELNS1_3repE0EEENS1_30default_config_static_selectorELNS0_4arch9wavefront6targetE0EEEvSZ_.num_vgpr, 0
	.set _ZN7rocprim17ROCPRIM_400000_NS6detail17trampoline_kernelINS0_13select_configILj256ELj13ELNS0_17block_load_methodE3ELS4_3ELS4_3ELNS0_20block_scan_algorithmE0ELj4294967295EEENS1_25partition_config_selectorILNS1_17partition_subalgoE3EjNS0_10empty_typeEbEEZZNS1_14partition_implILS8_3ELb0ES6_jNS0_17counting_iteratorIjlEEPS9_SE_NS0_5tupleIJPjSE_EEENSF_IJSE_SE_EEES9_SG_JZNS1_25segmented_radix_sort_implINS0_14default_configELb0EPK6__halfPSL_PKlPlN2at6native12_GLOBAL__N_18offset_tEEE10hipError_tPvRmT1_PNSt15iterator_traitsISZ_E10value_typeET2_T3_PNS10_IS15_E10value_typeET4_jRbjT5_S1B_jjP12ihipStream_tbEUljE_EEESW_SX_SY_S15_S19_S1B_T6_T7_T9_mT8_S1D_bDpT10_ENKUlT_T0_E_clISt17integral_constantIbLb0EES1P_IbLb1EEEEDaS1L_S1M_EUlS1L_E_NS1_11comp_targetILNS1_3genE2ELNS1_11target_archE906ELNS1_3gpuE6ELNS1_3repE0EEENS1_30default_config_static_selectorELNS0_4arch9wavefront6targetE0EEEvSZ_.num_agpr, 0
	.set _ZN7rocprim17ROCPRIM_400000_NS6detail17trampoline_kernelINS0_13select_configILj256ELj13ELNS0_17block_load_methodE3ELS4_3ELS4_3ELNS0_20block_scan_algorithmE0ELj4294967295EEENS1_25partition_config_selectorILNS1_17partition_subalgoE3EjNS0_10empty_typeEbEEZZNS1_14partition_implILS8_3ELb0ES6_jNS0_17counting_iteratorIjlEEPS9_SE_NS0_5tupleIJPjSE_EEENSF_IJSE_SE_EEES9_SG_JZNS1_25segmented_radix_sort_implINS0_14default_configELb0EPK6__halfPSL_PKlPlN2at6native12_GLOBAL__N_18offset_tEEE10hipError_tPvRmT1_PNSt15iterator_traitsISZ_E10value_typeET2_T3_PNS10_IS15_E10value_typeET4_jRbjT5_S1B_jjP12ihipStream_tbEUljE_EEESW_SX_SY_S15_S19_S1B_T6_T7_T9_mT8_S1D_bDpT10_ENKUlT_T0_E_clISt17integral_constantIbLb0EES1P_IbLb1EEEEDaS1L_S1M_EUlS1L_E_NS1_11comp_targetILNS1_3genE2ELNS1_11target_archE906ELNS1_3gpuE6ELNS1_3repE0EEENS1_30default_config_static_selectorELNS0_4arch9wavefront6targetE0EEEvSZ_.numbered_sgpr, 0
	.set _ZN7rocprim17ROCPRIM_400000_NS6detail17trampoline_kernelINS0_13select_configILj256ELj13ELNS0_17block_load_methodE3ELS4_3ELS4_3ELNS0_20block_scan_algorithmE0ELj4294967295EEENS1_25partition_config_selectorILNS1_17partition_subalgoE3EjNS0_10empty_typeEbEEZZNS1_14partition_implILS8_3ELb0ES6_jNS0_17counting_iteratorIjlEEPS9_SE_NS0_5tupleIJPjSE_EEENSF_IJSE_SE_EEES9_SG_JZNS1_25segmented_radix_sort_implINS0_14default_configELb0EPK6__halfPSL_PKlPlN2at6native12_GLOBAL__N_18offset_tEEE10hipError_tPvRmT1_PNSt15iterator_traitsISZ_E10value_typeET2_T3_PNS10_IS15_E10value_typeET4_jRbjT5_S1B_jjP12ihipStream_tbEUljE_EEESW_SX_SY_S15_S19_S1B_T6_T7_T9_mT8_S1D_bDpT10_ENKUlT_T0_E_clISt17integral_constantIbLb0EES1P_IbLb1EEEEDaS1L_S1M_EUlS1L_E_NS1_11comp_targetILNS1_3genE2ELNS1_11target_archE906ELNS1_3gpuE6ELNS1_3repE0EEENS1_30default_config_static_selectorELNS0_4arch9wavefront6targetE0EEEvSZ_.num_named_barrier, 0
	.set _ZN7rocprim17ROCPRIM_400000_NS6detail17trampoline_kernelINS0_13select_configILj256ELj13ELNS0_17block_load_methodE3ELS4_3ELS4_3ELNS0_20block_scan_algorithmE0ELj4294967295EEENS1_25partition_config_selectorILNS1_17partition_subalgoE3EjNS0_10empty_typeEbEEZZNS1_14partition_implILS8_3ELb0ES6_jNS0_17counting_iteratorIjlEEPS9_SE_NS0_5tupleIJPjSE_EEENSF_IJSE_SE_EEES9_SG_JZNS1_25segmented_radix_sort_implINS0_14default_configELb0EPK6__halfPSL_PKlPlN2at6native12_GLOBAL__N_18offset_tEEE10hipError_tPvRmT1_PNSt15iterator_traitsISZ_E10value_typeET2_T3_PNS10_IS15_E10value_typeET4_jRbjT5_S1B_jjP12ihipStream_tbEUljE_EEESW_SX_SY_S15_S19_S1B_T6_T7_T9_mT8_S1D_bDpT10_ENKUlT_T0_E_clISt17integral_constantIbLb0EES1P_IbLb1EEEEDaS1L_S1M_EUlS1L_E_NS1_11comp_targetILNS1_3genE2ELNS1_11target_archE906ELNS1_3gpuE6ELNS1_3repE0EEENS1_30default_config_static_selectorELNS0_4arch9wavefront6targetE0EEEvSZ_.private_seg_size, 0
	.set _ZN7rocprim17ROCPRIM_400000_NS6detail17trampoline_kernelINS0_13select_configILj256ELj13ELNS0_17block_load_methodE3ELS4_3ELS4_3ELNS0_20block_scan_algorithmE0ELj4294967295EEENS1_25partition_config_selectorILNS1_17partition_subalgoE3EjNS0_10empty_typeEbEEZZNS1_14partition_implILS8_3ELb0ES6_jNS0_17counting_iteratorIjlEEPS9_SE_NS0_5tupleIJPjSE_EEENSF_IJSE_SE_EEES9_SG_JZNS1_25segmented_radix_sort_implINS0_14default_configELb0EPK6__halfPSL_PKlPlN2at6native12_GLOBAL__N_18offset_tEEE10hipError_tPvRmT1_PNSt15iterator_traitsISZ_E10value_typeET2_T3_PNS10_IS15_E10value_typeET4_jRbjT5_S1B_jjP12ihipStream_tbEUljE_EEESW_SX_SY_S15_S19_S1B_T6_T7_T9_mT8_S1D_bDpT10_ENKUlT_T0_E_clISt17integral_constantIbLb0EES1P_IbLb1EEEEDaS1L_S1M_EUlS1L_E_NS1_11comp_targetILNS1_3genE2ELNS1_11target_archE906ELNS1_3gpuE6ELNS1_3repE0EEENS1_30default_config_static_selectorELNS0_4arch9wavefront6targetE0EEEvSZ_.uses_vcc, 0
	.set _ZN7rocprim17ROCPRIM_400000_NS6detail17trampoline_kernelINS0_13select_configILj256ELj13ELNS0_17block_load_methodE3ELS4_3ELS4_3ELNS0_20block_scan_algorithmE0ELj4294967295EEENS1_25partition_config_selectorILNS1_17partition_subalgoE3EjNS0_10empty_typeEbEEZZNS1_14partition_implILS8_3ELb0ES6_jNS0_17counting_iteratorIjlEEPS9_SE_NS0_5tupleIJPjSE_EEENSF_IJSE_SE_EEES9_SG_JZNS1_25segmented_radix_sort_implINS0_14default_configELb0EPK6__halfPSL_PKlPlN2at6native12_GLOBAL__N_18offset_tEEE10hipError_tPvRmT1_PNSt15iterator_traitsISZ_E10value_typeET2_T3_PNS10_IS15_E10value_typeET4_jRbjT5_S1B_jjP12ihipStream_tbEUljE_EEESW_SX_SY_S15_S19_S1B_T6_T7_T9_mT8_S1D_bDpT10_ENKUlT_T0_E_clISt17integral_constantIbLb0EES1P_IbLb1EEEEDaS1L_S1M_EUlS1L_E_NS1_11comp_targetILNS1_3genE2ELNS1_11target_archE906ELNS1_3gpuE6ELNS1_3repE0EEENS1_30default_config_static_selectorELNS0_4arch9wavefront6targetE0EEEvSZ_.uses_flat_scratch, 0
	.set _ZN7rocprim17ROCPRIM_400000_NS6detail17trampoline_kernelINS0_13select_configILj256ELj13ELNS0_17block_load_methodE3ELS4_3ELS4_3ELNS0_20block_scan_algorithmE0ELj4294967295EEENS1_25partition_config_selectorILNS1_17partition_subalgoE3EjNS0_10empty_typeEbEEZZNS1_14partition_implILS8_3ELb0ES6_jNS0_17counting_iteratorIjlEEPS9_SE_NS0_5tupleIJPjSE_EEENSF_IJSE_SE_EEES9_SG_JZNS1_25segmented_radix_sort_implINS0_14default_configELb0EPK6__halfPSL_PKlPlN2at6native12_GLOBAL__N_18offset_tEEE10hipError_tPvRmT1_PNSt15iterator_traitsISZ_E10value_typeET2_T3_PNS10_IS15_E10value_typeET4_jRbjT5_S1B_jjP12ihipStream_tbEUljE_EEESW_SX_SY_S15_S19_S1B_T6_T7_T9_mT8_S1D_bDpT10_ENKUlT_T0_E_clISt17integral_constantIbLb0EES1P_IbLb1EEEEDaS1L_S1M_EUlS1L_E_NS1_11comp_targetILNS1_3genE2ELNS1_11target_archE906ELNS1_3gpuE6ELNS1_3repE0EEENS1_30default_config_static_selectorELNS0_4arch9wavefront6targetE0EEEvSZ_.has_dyn_sized_stack, 0
	.set _ZN7rocprim17ROCPRIM_400000_NS6detail17trampoline_kernelINS0_13select_configILj256ELj13ELNS0_17block_load_methodE3ELS4_3ELS4_3ELNS0_20block_scan_algorithmE0ELj4294967295EEENS1_25partition_config_selectorILNS1_17partition_subalgoE3EjNS0_10empty_typeEbEEZZNS1_14partition_implILS8_3ELb0ES6_jNS0_17counting_iteratorIjlEEPS9_SE_NS0_5tupleIJPjSE_EEENSF_IJSE_SE_EEES9_SG_JZNS1_25segmented_radix_sort_implINS0_14default_configELb0EPK6__halfPSL_PKlPlN2at6native12_GLOBAL__N_18offset_tEEE10hipError_tPvRmT1_PNSt15iterator_traitsISZ_E10value_typeET2_T3_PNS10_IS15_E10value_typeET4_jRbjT5_S1B_jjP12ihipStream_tbEUljE_EEESW_SX_SY_S15_S19_S1B_T6_T7_T9_mT8_S1D_bDpT10_ENKUlT_T0_E_clISt17integral_constantIbLb0EES1P_IbLb1EEEEDaS1L_S1M_EUlS1L_E_NS1_11comp_targetILNS1_3genE2ELNS1_11target_archE906ELNS1_3gpuE6ELNS1_3repE0EEENS1_30default_config_static_selectorELNS0_4arch9wavefront6targetE0EEEvSZ_.has_recursion, 0
	.set _ZN7rocprim17ROCPRIM_400000_NS6detail17trampoline_kernelINS0_13select_configILj256ELj13ELNS0_17block_load_methodE3ELS4_3ELS4_3ELNS0_20block_scan_algorithmE0ELj4294967295EEENS1_25partition_config_selectorILNS1_17partition_subalgoE3EjNS0_10empty_typeEbEEZZNS1_14partition_implILS8_3ELb0ES6_jNS0_17counting_iteratorIjlEEPS9_SE_NS0_5tupleIJPjSE_EEENSF_IJSE_SE_EEES9_SG_JZNS1_25segmented_radix_sort_implINS0_14default_configELb0EPK6__halfPSL_PKlPlN2at6native12_GLOBAL__N_18offset_tEEE10hipError_tPvRmT1_PNSt15iterator_traitsISZ_E10value_typeET2_T3_PNS10_IS15_E10value_typeET4_jRbjT5_S1B_jjP12ihipStream_tbEUljE_EEESW_SX_SY_S15_S19_S1B_T6_T7_T9_mT8_S1D_bDpT10_ENKUlT_T0_E_clISt17integral_constantIbLb0EES1P_IbLb1EEEEDaS1L_S1M_EUlS1L_E_NS1_11comp_targetILNS1_3genE2ELNS1_11target_archE906ELNS1_3gpuE6ELNS1_3repE0EEENS1_30default_config_static_selectorELNS0_4arch9wavefront6targetE0EEEvSZ_.has_indirect_call, 0
	.section	.AMDGPU.csdata,"",@progbits
; Kernel info:
; codeLenInByte = 0
; TotalNumSgprs: 0
; NumVgprs: 0
; ScratchSize: 0
; MemoryBound: 0
; FloatMode: 240
; IeeeMode: 1
; LDSByteSize: 0 bytes/workgroup (compile time only)
; SGPRBlocks: 0
; VGPRBlocks: 0
; NumSGPRsForWavesPerEU: 1
; NumVGPRsForWavesPerEU: 1
; Occupancy: 16
; WaveLimiterHint : 0
; COMPUTE_PGM_RSRC2:SCRATCH_EN: 0
; COMPUTE_PGM_RSRC2:USER_SGPR: 2
; COMPUTE_PGM_RSRC2:TRAP_HANDLER: 0
; COMPUTE_PGM_RSRC2:TGID_X_EN: 1
; COMPUTE_PGM_RSRC2:TGID_Y_EN: 0
; COMPUTE_PGM_RSRC2:TGID_Z_EN: 0
; COMPUTE_PGM_RSRC2:TIDIG_COMP_CNT: 0
	.section	.text._ZN7rocprim17ROCPRIM_400000_NS6detail17trampoline_kernelINS0_13select_configILj256ELj13ELNS0_17block_load_methodE3ELS4_3ELS4_3ELNS0_20block_scan_algorithmE0ELj4294967295EEENS1_25partition_config_selectorILNS1_17partition_subalgoE3EjNS0_10empty_typeEbEEZZNS1_14partition_implILS8_3ELb0ES6_jNS0_17counting_iteratorIjlEEPS9_SE_NS0_5tupleIJPjSE_EEENSF_IJSE_SE_EEES9_SG_JZNS1_25segmented_radix_sort_implINS0_14default_configELb0EPK6__halfPSL_PKlPlN2at6native12_GLOBAL__N_18offset_tEEE10hipError_tPvRmT1_PNSt15iterator_traitsISZ_E10value_typeET2_T3_PNS10_IS15_E10value_typeET4_jRbjT5_S1B_jjP12ihipStream_tbEUljE_EEESW_SX_SY_S15_S19_S1B_T6_T7_T9_mT8_S1D_bDpT10_ENKUlT_T0_E_clISt17integral_constantIbLb0EES1P_IbLb1EEEEDaS1L_S1M_EUlS1L_E_NS1_11comp_targetILNS1_3genE10ELNS1_11target_archE1200ELNS1_3gpuE4ELNS1_3repE0EEENS1_30default_config_static_selectorELNS0_4arch9wavefront6targetE0EEEvSZ_,"axG",@progbits,_ZN7rocprim17ROCPRIM_400000_NS6detail17trampoline_kernelINS0_13select_configILj256ELj13ELNS0_17block_load_methodE3ELS4_3ELS4_3ELNS0_20block_scan_algorithmE0ELj4294967295EEENS1_25partition_config_selectorILNS1_17partition_subalgoE3EjNS0_10empty_typeEbEEZZNS1_14partition_implILS8_3ELb0ES6_jNS0_17counting_iteratorIjlEEPS9_SE_NS0_5tupleIJPjSE_EEENSF_IJSE_SE_EEES9_SG_JZNS1_25segmented_radix_sort_implINS0_14default_configELb0EPK6__halfPSL_PKlPlN2at6native12_GLOBAL__N_18offset_tEEE10hipError_tPvRmT1_PNSt15iterator_traitsISZ_E10value_typeET2_T3_PNS10_IS15_E10value_typeET4_jRbjT5_S1B_jjP12ihipStream_tbEUljE_EEESW_SX_SY_S15_S19_S1B_T6_T7_T9_mT8_S1D_bDpT10_ENKUlT_T0_E_clISt17integral_constantIbLb0EES1P_IbLb1EEEEDaS1L_S1M_EUlS1L_E_NS1_11comp_targetILNS1_3genE10ELNS1_11target_archE1200ELNS1_3gpuE4ELNS1_3repE0EEENS1_30default_config_static_selectorELNS0_4arch9wavefront6targetE0EEEvSZ_,comdat
	.globl	_ZN7rocprim17ROCPRIM_400000_NS6detail17trampoline_kernelINS0_13select_configILj256ELj13ELNS0_17block_load_methodE3ELS4_3ELS4_3ELNS0_20block_scan_algorithmE0ELj4294967295EEENS1_25partition_config_selectorILNS1_17partition_subalgoE3EjNS0_10empty_typeEbEEZZNS1_14partition_implILS8_3ELb0ES6_jNS0_17counting_iteratorIjlEEPS9_SE_NS0_5tupleIJPjSE_EEENSF_IJSE_SE_EEES9_SG_JZNS1_25segmented_radix_sort_implINS0_14default_configELb0EPK6__halfPSL_PKlPlN2at6native12_GLOBAL__N_18offset_tEEE10hipError_tPvRmT1_PNSt15iterator_traitsISZ_E10value_typeET2_T3_PNS10_IS15_E10value_typeET4_jRbjT5_S1B_jjP12ihipStream_tbEUljE_EEESW_SX_SY_S15_S19_S1B_T6_T7_T9_mT8_S1D_bDpT10_ENKUlT_T0_E_clISt17integral_constantIbLb0EES1P_IbLb1EEEEDaS1L_S1M_EUlS1L_E_NS1_11comp_targetILNS1_3genE10ELNS1_11target_archE1200ELNS1_3gpuE4ELNS1_3repE0EEENS1_30default_config_static_selectorELNS0_4arch9wavefront6targetE0EEEvSZ_ ; -- Begin function _ZN7rocprim17ROCPRIM_400000_NS6detail17trampoline_kernelINS0_13select_configILj256ELj13ELNS0_17block_load_methodE3ELS4_3ELS4_3ELNS0_20block_scan_algorithmE0ELj4294967295EEENS1_25partition_config_selectorILNS1_17partition_subalgoE3EjNS0_10empty_typeEbEEZZNS1_14partition_implILS8_3ELb0ES6_jNS0_17counting_iteratorIjlEEPS9_SE_NS0_5tupleIJPjSE_EEENSF_IJSE_SE_EEES9_SG_JZNS1_25segmented_radix_sort_implINS0_14default_configELb0EPK6__halfPSL_PKlPlN2at6native12_GLOBAL__N_18offset_tEEE10hipError_tPvRmT1_PNSt15iterator_traitsISZ_E10value_typeET2_T3_PNS10_IS15_E10value_typeET4_jRbjT5_S1B_jjP12ihipStream_tbEUljE_EEESW_SX_SY_S15_S19_S1B_T6_T7_T9_mT8_S1D_bDpT10_ENKUlT_T0_E_clISt17integral_constantIbLb0EES1P_IbLb1EEEEDaS1L_S1M_EUlS1L_E_NS1_11comp_targetILNS1_3genE10ELNS1_11target_archE1200ELNS1_3gpuE4ELNS1_3repE0EEENS1_30default_config_static_selectorELNS0_4arch9wavefront6targetE0EEEvSZ_
	.p2align	8
	.type	_ZN7rocprim17ROCPRIM_400000_NS6detail17trampoline_kernelINS0_13select_configILj256ELj13ELNS0_17block_load_methodE3ELS4_3ELS4_3ELNS0_20block_scan_algorithmE0ELj4294967295EEENS1_25partition_config_selectorILNS1_17partition_subalgoE3EjNS0_10empty_typeEbEEZZNS1_14partition_implILS8_3ELb0ES6_jNS0_17counting_iteratorIjlEEPS9_SE_NS0_5tupleIJPjSE_EEENSF_IJSE_SE_EEES9_SG_JZNS1_25segmented_radix_sort_implINS0_14default_configELb0EPK6__halfPSL_PKlPlN2at6native12_GLOBAL__N_18offset_tEEE10hipError_tPvRmT1_PNSt15iterator_traitsISZ_E10value_typeET2_T3_PNS10_IS15_E10value_typeET4_jRbjT5_S1B_jjP12ihipStream_tbEUljE_EEESW_SX_SY_S15_S19_S1B_T6_T7_T9_mT8_S1D_bDpT10_ENKUlT_T0_E_clISt17integral_constantIbLb0EES1P_IbLb1EEEEDaS1L_S1M_EUlS1L_E_NS1_11comp_targetILNS1_3genE10ELNS1_11target_archE1200ELNS1_3gpuE4ELNS1_3repE0EEENS1_30default_config_static_selectorELNS0_4arch9wavefront6targetE0EEEvSZ_,@function
_ZN7rocprim17ROCPRIM_400000_NS6detail17trampoline_kernelINS0_13select_configILj256ELj13ELNS0_17block_load_methodE3ELS4_3ELS4_3ELNS0_20block_scan_algorithmE0ELj4294967295EEENS1_25partition_config_selectorILNS1_17partition_subalgoE3EjNS0_10empty_typeEbEEZZNS1_14partition_implILS8_3ELb0ES6_jNS0_17counting_iteratorIjlEEPS9_SE_NS0_5tupleIJPjSE_EEENSF_IJSE_SE_EEES9_SG_JZNS1_25segmented_radix_sort_implINS0_14default_configELb0EPK6__halfPSL_PKlPlN2at6native12_GLOBAL__N_18offset_tEEE10hipError_tPvRmT1_PNSt15iterator_traitsISZ_E10value_typeET2_T3_PNS10_IS15_E10value_typeET4_jRbjT5_S1B_jjP12ihipStream_tbEUljE_EEESW_SX_SY_S15_S19_S1B_T6_T7_T9_mT8_S1D_bDpT10_ENKUlT_T0_E_clISt17integral_constantIbLb0EES1P_IbLb1EEEEDaS1L_S1M_EUlS1L_E_NS1_11comp_targetILNS1_3genE10ELNS1_11target_archE1200ELNS1_3gpuE4ELNS1_3repE0EEENS1_30default_config_static_selectorELNS0_4arch9wavefront6targetE0EEEvSZ_: ; @_ZN7rocprim17ROCPRIM_400000_NS6detail17trampoline_kernelINS0_13select_configILj256ELj13ELNS0_17block_load_methodE3ELS4_3ELS4_3ELNS0_20block_scan_algorithmE0ELj4294967295EEENS1_25partition_config_selectorILNS1_17partition_subalgoE3EjNS0_10empty_typeEbEEZZNS1_14partition_implILS8_3ELb0ES6_jNS0_17counting_iteratorIjlEEPS9_SE_NS0_5tupleIJPjSE_EEENSF_IJSE_SE_EEES9_SG_JZNS1_25segmented_radix_sort_implINS0_14default_configELb0EPK6__halfPSL_PKlPlN2at6native12_GLOBAL__N_18offset_tEEE10hipError_tPvRmT1_PNSt15iterator_traitsISZ_E10value_typeET2_T3_PNS10_IS15_E10value_typeET4_jRbjT5_S1B_jjP12ihipStream_tbEUljE_EEESW_SX_SY_S15_S19_S1B_T6_T7_T9_mT8_S1D_bDpT10_ENKUlT_T0_E_clISt17integral_constantIbLb0EES1P_IbLb1EEEEDaS1L_S1M_EUlS1L_E_NS1_11comp_targetILNS1_3genE10ELNS1_11target_archE1200ELNS1_3gpuE4ELNS1_3repE0EEENS1_30default_config_static_selectorELNS0_4arch9wavefront6targetE0EEEvSZ_
; %bb.0:
	s_clause 0x6
	s_load_b64 s[16:17], s[0:1], 0x10
	s_load_b64 s[10:11], s[0:1], 0x28
	;; [unrolled: 1-line block ×3, first 2 shown]
	s_load_b128 s[12:15], s[0:1], 0x48
	s_load_b32 s3, s[0:1], 0x90
	s_load_b64 s[20:21], s[0:1], 0x68
	s_load_b128 s[4:7], s[0:1], 0x80
	v_cmp_eq_u32_e64 s2, 0, v0
	s_and_saveexec_b32 s8, s2
	s_cbranch_execz .LBB1839_4
; %bb.1:
	s_mov_b32 s22, exec_lo
	s_mov_b32 s9, exec_lo
	v_mbcnt_lo_u32_b32 v1, s22, 0
                                        ; implicit-def: $vgpr2
	s_delay_alu instid0(VALU_DEP_1)
	v_cmpx_eq_u32_e32 0, v1
	s_cbranch_execz .LBB1839_3
; %bb.2:
	s_load_b64 s[24:25], s[0:1], 0x78
	s_bcnt1_i32_b32 s22, s22
	s_wait_alu 0xfffe
	v_dual_mov_b32 v2, 0 :: v_dual_mov_b32 v3, s22
	s_wait_kmcnt 0x0
	global_atomic_add_u32 v2, v2, v3, s[24:25] th:TH_ATOMIC_RETURN scope:SCOPE_DEV
.LBB1839_3:
	s_or_b32 exec_lo, exec_lo, s9
	s_wait_loadcnt 0x0
	v_readfirstlane_b32 s9, v2
	s_delay_alu instid0(VALU_DEP_1)
	v_dual_mov_b32 v2, 0 :: v_dual_add_nc_u32 v1, s9, v1
	ds_store_b32 v2, v1
.LBB1839_4:
	s_or_b32 exec_lo, exec_lo, s8
	v_mov_b32_e32 v1, 0
	s_clause 0x1
	s_load_b32 s8, s[0:1], 0x8
	s_load_b32 s0, s[0:1], 0x70
	s_wait_dscnt 0x0
	s_barrier_signal -1
	s_barrier_wait -1
	global_inv scope:SCOPE_SE
	ds_load_b32 v2, v1
	s_wait_loadcnt_dscnt 0x0
	s_barrier_signal -1
	s_barrier_wait -1
	global_inv scope:SCOPE_SE
	s_wait_kmcnt 0x0
	global_load_b64 v[17:18], v1, s[14:15]
	s_mov_b32 s1, 0
	v_lshlrev_b32_e32 v45, 2, v0
	s_mov_b32 s23, -1
	s_add_co_i32 s8, s8, s16
	s_add_co_i32 s9, s0, -1
	s_mulk_i32 s0, 0xd00
	s_delay_alu instid0(SALU_CYCLE_1)
	s_add_co_i32 s14, s0, s16
	s_add_nc_u64 s[0:1], s[16:17], s[0:1]
	v_readfirstlane_b32 s15, v2
	v_cmp_gt_u64_e64 s0, s[18:19], s[0:1]
	s_sub_co_i32 s22, s18, s14
	s_wait_alu 0xfffe
	v_cmp_ne_u32_e32 vcc_lo, s9, v2
	s_addk_co_i32 s22, 0xd00
	s_cmp_eq_u32 s15, s9
	s_mul_i32 s14, s15, 0xd00
	s_cselect_b32 s9, -1, 0
	s_or_b32 s1, s0, vcc_lo
	s_wait_alu 0xfffe
	s_and_b32 vcc_lo, exec_lo, s1
	s_cbranch_vccz .LBB1839_6
; %bb.5:
	v_add3_u32 v1, s14, s8, v0
	s_mov_b32 s23, 0
	s_delay_alu instid0(VALU_DEP_1)
	v_add_nc_u32_e32 v2, 0x100, v1
	v_add_nc_u32_e32 v3, 0x200, v1
	;; [unrolled: 1-line block ×12, first 2 shown]
	ds_store_2addr_stride64_b32 v45, v1, v2 offset1:4
	ds_store_2addr_stride64_b32 v45, v3, v4 offset0:8 offset1:12
	ds_store_2addr_stride64_b32 v45, v5, v6 offset0:16 offset1:20
	;; [unrolled: 1-line block ×5, first 2 shown]
	ds_store_b32 v45, v13 offset:12288
	s_wait_loadcnt_dscnt 0x0
	s_barrier_signal -1
	s_barrier_wait -1
.LBB1839_6:
	v_cmp_gt_u32_e64 s0, s22, v0
	v_or_b32_e32 v44, 0x100, v0
	v_or_b32_e32 v43, 0x200, v0
	;; [unrolled: 1-line block ×12, first 2 shown]
	s_wait_alu 0xfffe
	s_and_not1_b32 vcc_lo, exec_lo, s23
	s_cbranch_vccnz .LBB1839_8
; %bb.7:
	s_add_co_i32 s8, s14, s8
	v_cmp_gt_u32_e32 vcc_lo, s22, v44
	s_wait_alu 0xfffe
	v_add_nc_u32_e32 v13, s8, v33
	v_add_nc_u32_e32 v12, s8, v34
	;; [unrolled: 1-line block ×12, first 2 shown]
	s_delay_alu instid0(VALU_DEP_1) | instskip(SKIP_1) | instid1(VALU_DEP_2)
	v_dual_cndmask_b32 v2, 0, v2 :: v_dual_add_nc_u32 v1, s8, v0
	v_cmp_gt_u32_e32 vcc_lo, s22, v43
	v_cndmask_b32_e64 v1, 0, v1, s0
	s_wait_alu 0xfffd
	v_cndmask_b32_e32 v3, 0, v3, vcc_lo
	v_cmp_gt_u32_e32 vcc_lo, s22, v42
	s_wait_alu 0xfffd
	v_cndmask_b32_e32 v4, 0, v4, vcc_lo
	v_cmp_gt_u32_e32 vcc_lo, s22, v41
	;; [unrolled: 3-line block ×10, first 2 shown]
	s_wait_alu 0xfffd
	v_cndmask_b32_e32 v13, 0, v13, vcc_lo
	ds_store_2addr_stride64_b32 v45, v1, v2 offset1:4
	ds_store_2addr_stride64_b32 v45, v3, v4 offset0:8 offset1:12
	ds_store_2addr_stride64_b32 v45, v5, v6 offset0:16 offset1:20
	;; [unrolled: 1-line block ×5, first 2 shown]
	ds_store_b32 v45, v13 offset:12288
	s_wait_loadcnt_dscnt 0x0
	s_barrier_signal -1
	s_barrier_wait -1
.LBB1839_8:
	v_mul_u32_u24_e32 v48, 13, v0
	s_wait_loadcnt 0x0
	global_inv scope:SCOPE_SE
	v_cndmask_b32_e64 v46, 0, 1, s1
	s_and_not1_b32 vcc_lo, exec_lo, s1
	v_lshlrev_b32_e32 v1, 2, v48
	ds_load_2addr_b32 v[29:30], v1 offset0:2 offset1:3
	ds_load_2addr_b32 v[25:26], v1 offset0:6 offset1:7
	;; [unrolled: 1-line block ×3, first 2 shown]
	ds_load_2addr_b32 v[31:32], v1 offset1:1
	ds_load_2addr_b32 v[21:22], v1 offset0:10 offset1:11
	ds_load_b32 v47, v1 offset:48
	ds_load_2addr_b32 v[23:24], v1 offset0:8 offset1:9
	s_wait_loadcnt_dscnt 0x0
	s_barrier_signal -1
	s_barrier_wait -1
	global_inv scope:SCOPE_SE
	s_wait_alu 0xfffe
	s_cbranch_vccnz .LBB1839_10
; %bb.9:
	v_add_nc_u32_e32 v1, s5, v30
	v_add_nc_u32_e32 v2, s7, v30
	;; [unrolled: 1-line block ×5, first 2 shown]
	v_mul_lo_u32 v1, v1, s4
	v_mul_lo_u32 v2, v2, s6
	v_add_nc_u32_e32 v8, s7, v29
	v_add_nc_u32_e32 v3, s5, v32
	v_add_nc_u32_e32 v6, s7, v32
	v_mul_lo_u32 v5, v5, s4
	v_mul_lo_u32 v4, v4, s4
	v_add_nc_u32_e32 v9, s5, v27
	v_mul_lo_u32 v3, v3, s4
	v_sub_nc_u32_e32 v1, v1, v2
	v_mul_lo_u32 v2, v7, s6
	v_mul_lo_u32 v7, v8, s6
	;; [unrolled: 1-line block ×3, first 2 shown]
	v_add_nc_u32_e32 v8, s5, v28
	v_add_nc_u32_e32 v10, s7, v27
	v_mul_lo_u32 v9, v9, s4
	v_cmp_lt_u32_e32 vcc_lo, s3, v1
	v_add_nc_u32_e32 v14, s7, v22
	v_sub_nc_u32_e32 v2, v4, v2
	v_sub_nc_u32_e32 v4, v5, v7
	v_add_nc_u32_e32 v5, s7, v28
	v_sub_nc_u32_e32 v3, v3, v6
	v_add_nc_u32_e32 v6, s5, v26
	v_add_nc_u32_e32 v7, s7, v26
	v_mul_lo_u32 v8, v8, s4
	v_mul_lo_u32 v5, v5, s6
	;; [unrolled: 1-line block ×5, first 2 shown]
	s_wait_alu 0xfffd
	v_cndmask_b32_e64 v1, 0, 1, vcc_lo
	v_cmp_lt_u32_e32 vcc_lo, s3, v3
	v_mul_lo_u32 v14, v14, s6
	v_add_nc_u32_e32 v15, s7, v24
	v_sub_nc_u32_e32 v5, v8, v5
	v_add_nc_u32_e32 v8, s7, v25
	s_wait_alu 0xfffd
	v_cndmask_b32_e64 v3, 0, 1, vcc_lo
	v_sub_nc_u32_e32 v6, v6, v7
	v_mul_lo_u32 v15, v15, s6
	v_cmp_lt_u32_e32 vcc_lo, s3, v5
	v_mul_lo_u32 v7, v8, s6
	v_sub_nc_u32_e32 v8, v9, v10
	v_add_nc_u32_e32 v9, s5, v22
	v_add_nc_u32_e32 v10, s5, v24
	s_wait_alu 0xfffd
	v_cndmask_b32_e64 v5, 0, 1, vcc_lo
	v_cmp_lt_u32_e32 vcc_lo, s3, v6
	v_add_nc_u32_e32 v11, s5, v25
	v_mul_lo_u32 v9, v9, s4
	v_mul_lo_u32 v10, v10, s4
	v_add_nc_u32_e32 v12, s5, v23
	s_wait_alu 0xfffd
	v_cndmask_b32_e64 v6, 0, 1, vcc_lo
	v_mul_lo_u32 v11, v11, s4
	v_add_nc_u32_e32 v16, s7, v23
	v_lshlrev_b16 v3, 8, v3
	v_add_nc_u32_e32 v13, s5, v21
	v_sub_nc_u32_e32 v9, v9, v14
	v_sub_nc_u32_e32 v10, v10, v15
	v_add_nc_u32_e32 v19, s7, v21
	v_mul_lo_u32 v12, v12, s4
	v_mul_lo_u32 v16, v16, s6
	v_cmp_lt_u32_e32 vcc_lo, s3, v9
	v_sub_nc_u32_e32 v7, v11, v7
	v_lshrrev_b32_e32 v3, 8, v3
	v_mul_lo_u32 v11, v13, s4
	v_mul_lo_u32 v13, v19, s6
	s_wait_alu 0xfffd
	v_cndmask_b32_e64 v9, 0, 1, vcc_lo
	v_cmp_lt_u32_e32 vcc_lo, s3, v2
	v_sub_nc_u32_e32 v12, v12, v16
	v_lshlrev_b16 v3, 8, v3
	v_lshlrev_b16 v1, 8, v1
	;; [unrolled: 1-line block ×3, first 2 shown]
	s_wait_alu 0xfffd
	v_cndmask_b32_e64 v2, 0, 1, vcc_lo
	v_cmp_lt_u32_e32 vcc_lo, s3, v10
	v_sub_nc_u32_e32 v11, v11, v13
	v_add_nc_u32_e32 v14, s5, v47
	v_add_nc_u32_e32 v15, s7, v47
	v_or_b32_e32 v2, v2, v3
	s_wait_alu 0xfffd
	v_cndmask_b32_e64 v10, 0, 1, vcc_lo
	v_cmp_lt_u32_e32 vcc_lo, s3, v4
	v_lshlrev_b16 v3, 8, v9
	v_lshrrev_b32_e32 v5, 8, v5
	v_lshrrev_b32_e32 v1, 8, v1
	v_lshlrev_b16 v9, 8, v10
	s_wait_alu 0xfffd
	v_cndmask_b32_e64 v4, 0, 1, vcc_lo
	v_cmp_lt_u32_e32 vcc_lo, s3, v8
	v_lshrrev_b32_e32 v3, 8, v3
	v_mul_lo_u32 v14, v14, s4
	v_lshrrev_b32_e32 v9, 8, v9
	v_mul_lo_u32 v15, v15, s6
	s_wait_alu 0xfffd
	v_cndmask_b32_e64 v8, 0, 1, vcc_lo
	v_cmp_lt_u32_e32 vcc_lo, s3, v7
	v_lshlrev_b16 v6, 8, v6
	v_lshlrev_b16 v1, 8, v1
	;; [unrolled: 1-line block ×4, first 2 shown]
	s_wait_alu 0xfffd
	v_cndmask_b32_e64 v7, 0, 1, vcc_lo
	v_cmp_lt_u32_e32 vcc_lo, s3, v12
	v_lshlrev_b16 v3, 8, v3
	v_sub_nc_u32_e32 v10, v14, v15
	v_or_b32_e32 v1, v4, v1
	v_or_b32_e32 v4, v8, v5
	s_wait_alu 0xfffd
	v_cndmask_b32_e64 v12, 0, 1, vcc_lo
	v_cmp_lt_u32_e32 vcc_lo, s3, v11
	v_or_b32_e32 v5, v7, v6
	v_and_b32_e32 v2, 0xffff, v2
	v_lshlrev_b32_e32 v1, 16, v1
	v_or_b32_e32 v6, v12, v9
	s_wait_alu 0xfffd
	v_cndmask_b32_e64 v11, 0, 1, vcc_lo
	v_and_b32_e32 v4, 0xffff, v4
	v_lshlrev_b32_e32 v5, 16, v5
	v_cmp_lt_u32_e32 vcc_lo, s3, v10
	v_and_b32_e32 v6, 0xffff, v6
	v_or_b32_e32 v3, v11, v3
	v_or_b32_e32 v54, v2, v1
	v_or_b32_e32 v52, v4, v5
	s_wait_alu 0xfffd
	v_cndmask_b32_e64 v49, 0, 1, vcc_lo
	v_lshlrev_b32_e32 v3, 16, v3
	s_delay_alu instid0(VALU_DEP_1)
	v_or_b32_e32 v50, v6, v3
	s_cbranch_execz .LBB1839_11
	s_branch .LBB1839_38
.LBB1839_10:
                                        ; implicit-def: $vgpr49
                                        ; implicit-def: $vgpr50
                                        ; implicit-def: $vgpr52
                                        ; implicit-def: $vgpr54
.LBB1839_11:
	v_dual_mov_b32 v2, 0 :: v_dual_mov_b32 v1, 0
	s_mov_b32 s0, exec_lo
	v_cmpx_gt_u32_e64 s22, v48
	s_cbranch_execz .LBB1839_13
; %bb.12:
	v_add_nc_u32_e32 v1, s5, v31
	v_add_nc_u32_e32 v3, s7, v31
	s_delay_alu instid0(VALU_DEP_2) | instskip(NEXT) | instid1(VALU_DEP_2)
	v_mul_lo_u32 v1, v1, s4
	v_mul_lo_u32 v3, v3, s6
	s_delay_alu instid0(VALU_DEP_1) | instskip(NEXT) | instid1(VALU_DEP_1)
	v_sub_nc_u32_e32 v1, v1, v3
	v_cmp_lt_u32_e32 vcc_lo, s3, v1
	s_wait_alu 0xfffd
	v_cndmask_b32_e64 v1, 0, 1, vcc_lo
.LBB1839_13:
	s_wait_alu 0xfffe
	s_or_b32 exec_lo, exec_lo, s0
	v_add_nc_u32_e32 v3, 1, v48
	s_mov_b32 s0, exec_lo
	s_delay_alu instid0(VALU_DEP_1)
	v_cmpx_gt_u32_e64 s22, v3
	s_cbranch_execz .LBB1839_15
; %bb.14:
	v_add_nc_u32_e32 v2, s5, v32
	v_add_nc_u32_e32 v3, s7, v32
	s_delay_alu instid0(VALU_DEP_2) | instskip(NEXT) | instid1(VALU_DEP_2)
	v_mul_lo_u32 v2, v2, s4
	v_mul_lo_u32 v3, v3, s6
	s_delay_alu instid0(VALU_DEP_1) | instskip(NEXT) | instid1(VALU_DEP_1)
	v_sub_nc_u32_e32 v2, v2, v3
	v_cmp_lt_u32_e32 vcc_lo, s3, v2
	s_wait_alu 0xfffd
	v_cndmask_b32_e64 v2, 0, 1, vcc_lo
.LBB1839_15:
	s_wait_alu 0xfffe
	s_or_b32 exec_lo, exec_lo, s0
	v_dual_mov_b32 v4, 0 :: v_dual_add_nc_u32 v3, 2, v48
	s_delay_alu instid0(VALU_DEP_1)
	v_cmp_gt_u32_e32 vcc_lo, s22, v3
	v_mov_b32_e32 v3, 0
	s_and_saveexec_b32 s0, vcc_lo
	s_cbranch_execz .LBB1839_17
; %bb.16:
	v_add_nc_u32_e32 v3, s5, v29
	v_add_nc_u32_e32 v5, s7, v29
	s_delay_alu instid0(VALU_DEP_2) | instskip(NEXT) | instid1(VALU_DEP_2)
	v_mul_lo_u32 v3, v3, s4
	v_mul_lo_u32 v5, v5, s6
	s_delay_alu instid0(VALU_DEP_1) | instskip(NEXT) | instid1(VALU_DEP_1)
	v_sub_nc_u32_e32 v3, v3, v5
	v_cmp_lt_u32_e32 vcc_lo, s3, v3
	s_wait_alu 0xfffd
	v_cndmask_b32_e64 v3, 0, 1, vcc_lo
.LBB1839_17:
	s_wait_alu 0xfffe
	s_or_b32 exec_lo, exec_lo, s0
	v_add_nc_u32_e32 v5, 3, v48
	s_mov_b32 s0, exec_lo
	s_delay_alu instid0(VALU_DEP_1)
	v_cmpx_gt_u32_e64 s22, v5
	s_cbranch_execz .LBB1839_19
; %bb.18:
	v_add_nc_u32_e32 v4, s5, v30
	v_add_nc_u32_e32 v5, s7, v30
	s_delay_alu instid0(VALU_DEP_2) | instskip(NEXT) | instid1(VALU_DEP_2)
	v_mul_lo_u32 v4, v4, s4
	v_mul_lo_u32 v5, v5, s6
	s_delay_alu instid0(VALU_DEP_1) | instskip(NEXT) | instid1(VALU_DEP_1)
	v_sub_nc_u32_e32 v4, v4, v5
	v_cmp_lt_u32_e32 vcc_lo, s3, v4
	s_wait_alu 0xfffd
	v_cndmask_b32_e64 v4, 0, 1, vcc_lo
.LBB1839_19:
	s_wait_alu 0xfffe
	s_or_b32 exec_lo, exec_lo, s0
	v_dual_mov_b32 v6, 0 :: v_dual_add_nc_u32 v5, 4, v48
	s_delay_alu instid0(VALU_DEP_1)
	v_cmp_gt_u32_e32 vcc_lo, s22, v5
	v_mov_b32_e32 v5, 0
	s_and_saveexec_b32 s0, vcc_lo
	;; [unrolled: 39-line block ×5, first 2 shown]
	s_cbranch_execz .LBB1839_33
; %bb.32:
	v_add_nc_u32_e32 v11, s5, v21
	v_add_nc_u32_e32 v13, s7, v21
	s_delay_alu instid0(VALU_DEP_2) | instskip(NEXT) | instid1(VALU_DEP_2)
	v_mul_lo_u32 v11, v11, s4
	v_mul_lo_u32 v13, v13, s6
	s_delay_alu instid0(VALU_DEP_1) | instskip(NEXT) | instid1(VALU_DEP_1)
	v_sub_nc_u32_e32 v11, v11, v13
	v_cmp_lt_u32_e32 vcc_lo, s3, v11
	s_wait_alu 0xfffd
	v_cndmask_b32_e64 v11, 0, 1, vcc_lo
.LBB1839_33:
	s_wait_alu 0xfffe
	s_or_b32 exec_lo, exec_lo, s0
	v_add_nc_u32_e32 v13, 11, v48
	s_mov_b32 s0, exec_lo
	s_delay_alu instid0(VALU_DEP_1)
	v_cmpx_gt_u32_e64 s22, v13
	s_cbranch_execz .LBB1839_35
; %bb.34:
	v_add_nc_u32_e32 v12, s5, v22
	v_add_nc_u32_e32 v13, s7, v22
	s_delay_alu instid0(VALU_DEP_2) | instskip(NEXT) | instid1(VALU_DEP_2)
	v_mul_lo_u32 v12, v12, s4
	v_mul_lo_u32 v13, v13, s6
	s_delay_alu instid0(VALU_DEP_1) | instskip(NEXT) | instid1(VALU_DEP_1)
	v_sub_nc_u32_e32 v12, v12, v13
	v_cmp_lt_u32_e32 vcc_lo, s3, v12
	s_wait_alu 0xfffd
	v_cndmask_b32_e64 v12, 0, 1, vcc_lo
.LBB1839_35:
	s_wait_alu 0xfffe
	s_or_b32 exec_lo, exec_lo, s0
	v_add_nc_u32_e32 v13, 12, v48
	v_mov_b32_e32 v49, 0
	s_mov_b32 s0, exec_lo
	s_delay_alu instid0(VALU_DEP_2)
	v_cmpx_gt_u32_e64 s22, v13
	s_cbranch_execz .LBB1839_37
; %bb.36:
	v_add_nc_u32_e32 v13, s5, v47
	v_add_nc_u32_e32 v14, s7, v47
	s_delay_alu instid0(VALU_DEP_2) | instskip(NEXT) | instid1(VALU_DEP_2)
	v_mul_lo_u32 v13, v13, s4
	v_mul_lo_u32 v14, v14, s6
	s_delay_alu instid0(VALU_DEP_1) | instskip(NEXT) | instid1(VALU_DEP_1)
	v_sub_nc_u32_e32 v13, v13, v14
	v_cmp_lt_u32_e32 vcc_lo, s3, v13
	s_wait_alu 0xfffd
	v_cndmask_b32_e64 v49, 0, 1, vcc_lo
.LBB1839_37:
	s_wait_alu 0xfffe
	s_or_b32 exec_lo, exec_lo, s0
	v_lshlrev_b16 v2, 8, v2
	v_lshlrev_b16 v4, 8, v4
	;; [unrolled: 1-line block ×5, first 2 shown]
	v_or_b32_e32 v1, v1, v2
	v_lshlrev_b16 v2, 8, v12
	v_or_b32_e32 v3, v3, v4
	v_or_b32_e32 v4, v5, v6
	;; [unrolled: 1-line block ×5, first 2 shown]
	v_and_b32_e32 v1, 0xffff, v1
	v_lshlrev_b32_e32 v3, 16, v3
	v_and_b32_e32 v4, 0xffff, v4
	v_lshlrev_b32_e32 v5, 16, v5
	;; [unrolled: 2-line block ×3, first 2 shown]
	v_or_b32_e32 v54, v1, v3
	s_delay_alu instid0(VALU_DEP_4) | instskip(NEXT) | instid1(VALU_DEP_3)
	v_or_b32_e32 v52, v4, v5
	v_or_b32_e32 v50, v6, v2
.LBB1839_38:
	s_delay_alu instid0(VALU_DEP_3)
	v_and_b32_e32 v56, 0xff, v54
	v_bfe_u32 v57, v54, 8, 8
	v_bfe_u32 v58, v54, 16, 8
	v_lshrrev_b32_e32 v55, 24, v54
	v_and_b32_e32 v59, 0xff, v52
	v_bfe_u32 v60, v52, 8, 8
	v_bfe_u32 v61, v52, 16, 8
	v_add3_u32 v1, v57, v56, v58
	v_lshrrev_b32_e32 v53, 24, v52
	v_and_b32_e32 v62, 0xff, v50
	v_bfe_u32 v63, v50, 8, 8
	v_mbcnt_lo_u32_b32 v65, -1, 0
	v_add3_u32 v1, v1, v55, v59
	v_bfe_u32 v64, v50, 16, 8
	v_lshrrev_b32_e32 v51, 24, v50
	v_and_b32_e32 v2, 0xff, v49
	v_and_b32_e32 v3, 15, v65
	v_add3_u32 v1, v1, v60, v61
	v_or_b32_e32 v4, 31, v0
	v_and_b32_e32 v5, 16, v65
	v_lshrrev_b32_e32 v66, 5, v0
	v_cmp_eq_u32_e64 s6, 0, v3
	v_add3_u32 v1, v1, v53, v62
	v_cmp_lt_u32_e64 s5, 1, v3
	v_cmp_lt_u32_e64 s4, 3, v3
	;; [unrolled: 1-line block ×3, first 2 shown]
	v_cmp_eq_u32_e64 s1, 0, v5
	v_add3_u32 v1, v1, v63, v64
	v_cmp_eq_u32_e64 s0, v0, v4
	s_cmp_lg_u32 s15, 0
	s_mov_b32 s7, -1
	v_add3_u32 v67, v1, v51, v2
	s_cbranch_scc0 .LBB1839_59
; %bb.39:
	s_delay_alu instid0(VALU_DEP_1) | instskip(NEXT) | instid1(VALU_DEP_1)
	v_mov_b32_dpp v1, v67 row_shr:1 row_mask:0xf bank_mask:0xf
	v_cndmask_b32_e64 v1, v1, 0, s6
	s_delay_alu instid0(VALU_DEP_1) | instskip(NEXT) | instid1(VALU_DEP_1)
	v_add_nc_u32_e32 v1, v1, v67
	v_mov_b32_dpp v2, v1 row_shr:2 row_mask:0xf bank_mask:0xf
	s_delay_alu instid0(VALU_DEP_1) | instskip(NEXT) | instid1(VALU_DEP_1)
	v_cndmask_b32_e64 v2, 0, v2, s5
	v_add_nc_u32_e32 v1, v1, v2
	s_delay_alu instid0(VALU_DEP_1) | instskip(NEXT) | instid1(VALU_DEP_1)
	v_mov_b32_dpp v2, v1 row_shr:4 row_mask:0xf bank_mask:0xf
	v_cndmask_b32_e64 v2, 0, v2, s4
	s_delay_alu instid0(VALU_DEP_1) | instskip(NEXT) | instid1(VALU_DEP_1)
	v_add_nc_u32_e32 v1, v1, v2
	v_mov_b32_dpp v2, v1 row_shr:8 row_mask:0xf bank_mask:0xf
	s_delay_alu instid0(VALU_DEP_1) | instskip(NEXT) | instid1(VALU_DEP_1)
	v_cndmask_b32_e64 v2, 0, v2, s3
	v_add_nc_u32_e32 v1, v1, v2
	ds_swizzle_b32 v2, v1 offset:swizzle(BROADCAST,32,15)
	s_wait_dscnt 0x0
	v_cndmask_b32_e64 v2, v2, 0, s1
	s_delay_alu instid0(VALU_DEP_1)
	v_add_nc_u32_e32 v1, v1, v2
	s_and_saveexec_b32 s7, s0
; %bb.40:
	v_lshlrev_b32_e32 v2, 2, v66
	ds_store_b32 v2, v1
; %bb.41:
	s_wait_alu 0xfffe
	s_or_b32 exec_lo, exec_lo, s7
	s_delay_alu instid0(SALU_CYCLE_1)
	s_mov_b32 s7, exec_lo
	s_wait_loadcnt_dscnt 0x0
	s_barrier_signal -1
	s_barrier_wait -1
	global_inv scope:SCOPE_SE
	v_cmpx_gt_u32_e32 8, v0
	s_cbranch_execz .LBB1839_43
; %bb.42:
	ds_load_b32 v2, v45
	s_wait_dscnt 0x0
	v_mov_b32_dpp v4, v2 row_shr:1 row_mask:0xf bank_mask:0xf
	v_and_b32_e32 v3, 7, v65
	s_delay_alu instid0(VALU_DEP_1) | instskip(SKIP_1) | instid1(VALU_DEP_3)
	v_cmp_ne_u32_e32 vcc_lo, 0, v3
	s_wait_alu 0xfffd
	v_cndmask_b32_e32 v4, 0, v4, vcc_lo
	v_cmp_lt_u32_e32 vcc_lo, 1, v3
	s_delay_alu instid0(VALU_DEP_2) | instskip(NEXT) | instid1(VALU_DEP_1)
	v_add_nc_u32_e32 v2, v4, v2
	v_mov_b32_dpp v4, v2 row_shr:2 row_mask:0xf bank_mask:0xf
	s_wait_alu 0xfffd
	s_delay_alu instid0(VALU_DEP_1) | instskip(SKIP_1) | instid1(VALU_DEP_2)
	v_cndmask_b32_e32 v4, 0, v4, vcc_lo
	v_cmp_lt_u32_e32 vcc_lo, 3, v3
	v_add_nc_u32_e32 v2, v2, v4
	s_delay_alu instid0(VALU_DEP_1) | instskip(SKIP_1) | instid1(VALU_DEP_1)
	v_mov_b32_dpp v4, v2 row_shr:4 row_mask:0xf bank_mask:0xf
	s_wait_alu 0xfffd
	v_cndmask_b32_e32 v3, 0, v4, vcc_lo
	s_delay_alu instid0(VALU_DEP_1)
	v_add_nc_u32_e32 v2, v2, v3
	ds_store_b32 v45, v2
.LBB1839_43:
	s_wait_alu 0xfffe
	s_or_b32 exec_lo, exec_lo, s7
	s_delay_alu instid0(SALU_CYCLE_1)
	s_mov_b32 s8, exec_lo
	v_cmp_gt_u32_e32 vcc_lo, 32, v0
	s_wait_loadcnt_dscnt 0x0
	s_barrier_signal -1
	s_barrier_wait -1
	global_inv scope:SCOPE_SE
                                        ; implicit-def: $vgpr9
	v_cmpx_lt_u32_e32 31, v0
	s_cbranch_execz .LBB1839_45
; %bb.44:
	v_lshl_add_u32 v2, v66, 2, -4
	ds_load_b32 v9, v2
	s_wait_dscnt 0x0
	v_add_nc_u32_e32 v1, v9, v1
.LBB1839_45:
	s_wait_alu 0xfffe
	s_or_b32 exec_lo, exec_lo, s8
	v_sub_co_u32 v2, s7, v65, 1
	s_delay_alu instid0(VALU_DEP_1) | instskip(SKIP_1) | instid1(VALU_DEP_1)
	v_cmp_gt_i32_e64 s8, 0, v2
	s_wait_alu 0xf1ff
	v_cndmask_b32_e64 v2, v2, v65, s8
	s_delay_alu instid0(VALU_DEP_1)
	v_lshlrev_b32_e32 v2, 2, v2
	ds_bpermute_b32 v10, v2, v1
	s_and_saveexec_b32 s8, vcc_lo
	s_cbranch_execz .LBB1839_64
; %bb.46:
	v_mov_b32_e32 v5, 0
	ds_load_b32 v1, v5 offset:28
	s_and_saveexec_b32 s23, s7
	s_cbranch_execz .LBB1839_48
; %bb.47:
	s_add_co_i32 s24, s15, 32
	s_mov_b32 s25, 0
	v_mov_b32_e32 v2, 1
	s_lshl_b64 s[24:25], s[24:25], 3
	s_delay_alu instid0(SALU_CYCLE_1)
	s_add_nc_u64 s[24:25], s[20:21], s[24:25]
	s_wait_dscnt 0x0
	global_store_b64 v5, v[1:2], s[24:25] scope:SCOPE_DEV
.LBB1839_48:
	s_wait_alu 0xfffe
	s_or_b32 exec_lo, exec_lo, s23
	v_xad_u32 v3, v65, -1, s15
	s_mov_b32 s24, 0
	s_mov_b32 s23, exec_lo
	s_delay_alu instid0(VALU_DEP_1) | instskip(NEXT) | instid1(VALU_DEP_1)
	v_add_nc_u32_e32 v4, 32, v3
	v_lshlrev_b64_e32 v[4:5], 3, v[4:5]
	s_delay_alu instid0(VALU_DEP_1) | instskip(SKIP_1) | instid1(VALU_DEP_2)
	v_add_co_u32 v7, vcc_lo, s20, v4
	s_wait_alu 0xfffd
	v_add_co_ci_u32_e64 v8, null, s21, v5, vcc_lo
	global_load_b64 v[5:6], v[7:8], off scope:SCOPE_DEV
	s_wait_loadcnt 0x0
	v_and_b32_e32 v2, 0xff, v6
	s_delay_alu instid0(VALU_DEP_1)
	v_cmpx_eq_u16_e32 0, v2
	s_cbranch_execz .LBB1839_51
.LBB1839_49:                            ; =>This Inner Loop Header: Depth=1
	global_load_b64 v[5:6], v[7:8], off scope:SCOPE_DEV
	s_wait_loadcnt 0x0
	v_and_b32_e32 v2, 0xff, v6
	s_delay_alu instid0(VALU_DEP_1) | instskip(SKIP_1) | instid1(SALU_CYCLE_1)
	v_cmp_ne_u16_e32 vcc_lo, 0, v2
	s_or_b32 s24, vcc_lo, s24
	s_and_not1_b32 exec_lo, exec_lo, s24
	s_cbranch_execnz .LBB1839_49
; %bb.50:
	s_or_b32 exec_lo, exec_lo, s24
.LBB1839_51:
	s_wait_alu 0xfffe
	s_or_b32 exec_lo, exec_lo, s23
	v_cmp_ne_u32_e32 vcc_lo, 31, v65
	v_lshlrev_b32_e64 v12, v65, -1
	v_add_nc_u32_e32 v14, 2, v65
	v_add_nc_u32_e32 v16, 4, v65
	;; [unrolled: 1-line block ×3, first 2 shown]
	s_wait_alu 0xfffd
	v_add_co_ci_u32_e64 v2, null, 0, v65, vcc_lo
	v_lshl_or_b32 v68, v65, 2, 64
	v_add_nc_u32_e32 v69, 16, v65
	s_delay_alu instid0(VALU_DEP_3)
	v_lshlrev_b32_e32 v11, 2, v2
	v_and_b32_e32 v2, 0xff, v6
	ds_bpermute_b32 v4, v11, v5
	v_cmp_eq_u16_e32 vcc_lo, 2, v2
	s_wait_alu 0xfffd
	v_and_or_b32 v2, vcc_lo, v12, 0x80000000
	v_cmp_gt_u32_e32 vcc_lo, 30, v65
	s_delay_alu instid0(VALU_DEP_2) | instskip(SKIP_2) | instid1(VALU_DEP_2)
	v_ctz_i32_b32_e32 v2, v2
	s_wait_alu 0xfffd
	v_cndmask_b32_e64 v7, 0, 2, vcc_lo
	v_cmp_lt_u32_e32 vcc_lo, v65, v2
	s_delay_alu instid0(VALU_DEP_2) | instskip(SKIP_4) | instid1(VALU_DEP_2)
	v_add_lshl_u32 v13, v7, v65, 2
	s_wait_dscnt 0x0
	s_wait_alu 0xfffd
	v_cndmask_b32_e32 v4, 0, v4, vcc_lo
	v_cmp_gt_u32_e32 vcc_lo, 28, v65
	v_add_nc_u32_e32 v4, v4, v5
	s_wait_alu 0xfffd
	v_cndmask_b32_e64 v7, 0, 4, vcc_lo
	v_cmp_le_u32_e32 vcc_lo, v14, v2
	ds_bpermute_b32 v5, v13, v4
	v_add_lshl_u32 v15, v7, v65, 2
	s_wait_dscnt 0x0
	s_wait_alu 0xfffd
	v_cndmask_b32_e32 v5, 0, v5, vcc_lo
	v_cmp_gt_u32_e32 vcc_lo, 24, v65
	s_delay_alu instid0(VALU_DEP_2)
	v_add_nc_u32_e32 v4, v4, v5
	s_wait_alu 0xfffd
	v_cndmask_b32_e64 v7, 0, 8, vcc_lo
	v_cmp_le_u32_e32 vcc_lo, v16, v2
	ds_bpermute_b32 v5, v15, v4
	v_add_lshl_u32 v19, v7, v65, 2
	s_wait_dscnt 0x0
	s_wait_alu 0xfffd
	v_cndmask_b32_e32 v5, 0, v5, vcc_lo
	v_cmp_le_u32_e32 vcc_lo, v20, v2
	s_delay_alu instid0(VALU_DEP_2)
	v_add_nc_u32_e32 v4, v4, v5
	ds_bpermute_b32 v5, v19, v4
	s_wait_dscnt 0x0
	s_wait_alu 0xfffd
	v_cndmask_b32_e32 v5, 0, v5, vcc_lo
	v_cmp_le_u32_e32 vcc_lo, v69, v2
	s_delay_alu instid0(VALU_DEP_2) | instskip(SKIP_4) | instid1(VALU_DEP_1)
	v_add_nc_u32_e32 v4, v4, v5
	ds_bpermute_b32 v5, v68, v4
	s_wait_dscnt 0x0
	s_wait_alu 0xfffd
	v_cndmask_b32_e32 v2, 0, v5, vcc_lo
	v_dual_mov_b32 v4, 0 :: v_dual_add_nc_u32 v5, v4, v2
	s_branch .LBB1839_55
.LBB1839_52:                            ;   in Loop: Header=BB1839_55 Depth=1
	s_or_b32 exec_lo, exec_lo, s24
.LBB1839_53:                            ;   in Loop: Header=BB1839_55 Depth=1
	s_wait_alu 0xfffe
	s_or_b32 exec_lo, exec_lo, s23
	ds_bpermute_b32 v8, v11, v5
	v_and_b32_e32 v7, 0xff, v6
	v_subrev_nc_u32_e32 v3, 32, v3
	s_mov_b32 s23, 0
	s_delay_alu instid0(VALU_DEP_2) | instskip(SKIP_2) | instid1(VALU_DEP_1)
	v_cmp_eq_u16_e32 vcc_lo, 2, v7
	s_wait_alu 0xfffd
	v_and_or_b32 v7, vcc_lo, v12, 0x80000000
	v_ctz_i32_b32_e32 v7, v7
	s_delay_alu instid0(VALU_DEP_1) | instskip(SKIP_4) | instid1(VALU_DEP_2)
	v_cmp_lt_u32_e32 vcc_lo, v65, v7
	s_wait_dscnt 0x0
	s_wait_alu 0xfffd
	v_cndmask_b32_e32 v8, 0, v8, vcc_lo
	v_cmp_le_u32_e32 vcc_lo, v14, v7
	v_add_nc_u32_e32 v5, v8, v5
	ds_bpermute_b32 v8, v13, v5
	s_wait_dscnt 0x0
	s_wait_alu 0xfffd
	v_cndmask_b32_e32 v8, 0, v8, vcc_lo
	v_cmp_le_u32_e32 vcc_lo, v16, v7
	s_delay_alu instid0(VALU_DEP_2)
	v_add_nc_u32_e32 v5, v5, v8
	ds_bpermute_b32 v8, v15, v5
	s_wait_dscnt 0x0
	s_wait_alu 0xfffd
	v_cndmask_b32_e32 v8, 0, v8, vcc_lo
	v_cmp_le_u32_e32 vcc_lo, v20, v7
	s_delay_alu instid0(VALU_DEP_2)
	v_add_nc_u32_e32 v5, v5, v8
	ds_bpermute_b32 v8, v19, v5
	s_wait_dscnt 0x0
	s_wait_alu 0xfffd
	v_cndmask_b32_e32 v8, 0, v8, vcc_lo
	v_cmp_le_u32_e32 vcc_lo, v69, v7
	s_delay_alu instid0(VALU_DEP_2) | instskip(SKIP_4) | instid1(VALU_DEP_1)
	v_add_nc_u32_e32 v5, v5, v8
	ds_bpermute_b32 v8, v68, v5
	s_wait_dscnt 0x0
	s_wait_alu 0xfffd
	v_cndmask_b32_e32 v7, 0, v8, vcc_lo
	v_add3_u32 v5, v7, v2, v5
.LBB1839_54:                            ;   in Loop: Header=BB1839_55 Depth=1
	s_wait_alu 0xfffe
	s_and_b32 vcc_lo, exec_lo, s23
	s_wait_alu 0xfffe
	s_cbranch_vccnz .LBB1839_60
.LBB1839_55:                            ; =>This Loop Header: Depth=1
                                        ;     Child Loop BB1839_58 Depth 2
	v_and_b32_e32 v2, 0xff, v6
	s_mov_b32 s23, -1
                                        ; implicit-def: $vgpr6
	s_delay_alu instid0(VALU_DEP_1)
	v_cmp_ne_u16_e32 vcc_lo, 2, v2
	v_mov_b32_e32 v2, v5
                                        ; implicit-def: $vgpr5
	s_cmp_lg_u32 vcc_lo, exec_lo
	s_cbranch_scc1 .LBB1839_54
; %bb.56:                               ;   in Loop: Header=BB1839_55 Depth=1
	v_lshlrev_b64_e32 v[5:6], 3, v[3:4]
	s_mov_b32 s23, exec_lo
	s_delay_alu instid0(VALU_DEP_1) | instskip(SKIP_1) | instid1(VALU_DEP_2)
	v_add_co_u32 v7, vcc_lo, s20, v5
	s_wait_alu 0xfffd
	v_add_co_ci_u32_e64 v8, null, s21, v6, vcc_lo
	global_load_b64 v[5:6], v[7:8], off scope:SCOPE_DEV
	s_wait_loadcnt 0x0
	v_and_b32_e32 v70, 0xff, v6
	s_delay_alu instid0(VALU_DEP_1)
	v_cmpx_eq_u16_e32 0, v70
	s_cbranch_execz .LBB1839_53
; %bb.57:                               ;   in Loop: Header=BB1839_55 Depth=1
	s_mov_b32 s24, 0
.LBB1839_58:                            ;   Parent Loop BB1839_55 Depth=1
                                        ; =>  This Inner Loop Header: Depth=2
	global_load_b64 v[5:6], v[7:8], off scope:SCOPE_DEV
	s_wait_loadcnt 0x0
	v_and_b32_e32 v70, 0xff, v6
	s_delay_alu instid0(VALU_DEP_1) | instskip(SKIP_1) | instid1(SALU_CYCLE_1)
	v_cmp_ne_u16_e32 vcc_lo, 0, v70
	s_or_b32 s24, vcc_lo, s24
	s_and_not1_b32 exec_lo, exec_lo, s24
	s_cbranch_execnz .LBB1839_58
	s_branch .LBB1839_52
.LBB1839_59:
                                        ; implicit-def: $vgpr20
                                        ; implicit-def: $vgpr1_vgpr2_vgpr3_vgpr4_vgpr5_vgpr6_vgpr7_vgpr8_vgpr9_vgpr10_vgpr11_vgpr12_vgpr13_vgpr14_vgpr15_vgpr16
	s_wait_alu 0xfffe
	s_and_b32 vcc_lo, exec_lo, s7
	s_wait_alu 0xfffe
	s_cbranch_vccnz .LBB1839_65
	s_branch .LBB1839_74
.LBB1839_60:
	s_and_saveexec_b32 s23, s7
	s_cbranch_execz .LBB1839_62
; %bb.61:
	s_add_co_i32 s24, s15, 32
	s_mov_b32 s25, 0
	v_dual_mov_b32 v4, 2 :: v_dual_add_nc_u32 v3, v2, v1
	v_mov_b32_e32 v5, 0
	s_lshl_b64 s[24:25], s[24:25], 3
	s_delay_alu instid0(SALU_CYCLE_1)
	s_add_nc_u64 s[24:25], s[20:21], s[24:25]
	global_store_b64 v5, v[3:4], s[24:25] scope:SCOPE_DEV
	ds_store_b64 v5, v[1:2] offset:13312
.LBB1839_62:
	s_wait_alu 0xfffe
	s_or_b32 exec_lo, exec_lo, s23
	s_delay_alu instid0(SALU_CYCLE_1)
	s_and_b32 exec_lo, exec_lo, s2
; %bb.63:
	v_mov_b32_e32 v1, 0
	ds_store_b32 v1, v2 offset:28
.LBB1839_64:
	s_wait_alu 0xfffe
	s_or_b32 exec_lo, exec_lo, s8
	v_mov_b32_e32 v11, 0
	s_wait_storecnt 0x0
	s_wait_loadcnt_dscnt 0x0
	s_barrier_signal -1
	s_barrier_wait -1
	global_inv scope:SCOPE_SE
	ds_load_b32 v1, v11 offset:28
	v_cndmask_b32_e64 v2, v10, v9, s7
	s_wait_loadcnt_dscnt 0x0
	s_barrier_signal -1
	s_barrier_wait -1
	global_inv scope:SCOPE_SE
	v_cndmask_b32_e64 v2, v2, 0, s2
	s_delay_alu instid0(VALU_DEP_1) | instskip(NEXT) | instid1(VALU_DEP_1)
	v_add_nc_u32_e32 v1, v1, v2
	v_add_nc_u32_e32 v2, v1, v56
	ds_load_b64 v[19:20], v11 offset:13312
	v_add_nc_u32_e32 v3, v2, v57
	s_delay_alu instid0(VALU_DEP_1) | instskip(NEXT) | instid1(VALU_DEP_1)
	v_add_nc_u32_e32 v4, v3, v58
	v_add_nc_u32_e32 v5, v4, v55
	s_delay_alu instid0(VALU_DEP_1) | instskip(NEXT) | instid1(VALU_DEP_1)
	v_add_nc_u32_e32 v6, v5, v59
	;; [unrolled: 3-line block ×5, first 2 shown]
	v_add_nc_u32_e32 v13, v12, v51
	s_branch .LBB1839_74
.LBB1839_65:
	v_mov_b32_dpp v1, v67 row_shr:1 row_mask:0xf bank_mask:0xf
	s_delay_alu instid0(VALU_DEP_1) | instskip(NEXT) | instid1(VALU_DEP_1)
	v_cndmask_b32_e64 v1, v1, 0, s6
	v_add_nc_u32_e32 v1, v1, v67
	s_delay_alu instid0(VALU_DEP_1) | instskip(NEXT) | instid1(VALU_DEP_1)
	v_mov_b32_dpp v2, v1 row_shr:2 row_mask:0xf bank_mask:0xf
	v_cndmask_b32_e64 v2, 0, v2, s5
	s_delay_alu instid0(VALU_DEP_1) | instskip(NEXT) | instid1(VALU_DEP_1)
	v_add_nc_u32_e32 v1, v1, v2
	v_mov_b32_dpp v2, v1 row_shr:4 row_mask:0xf bank_mask:0xf
	s_delay_alu instid0(VALU_DEP_1) | instskip(NEXT) | instid1(VALU_DEP_1)
	v_cndmask_b32_e64 v2, 0, v2, s4
	v_add_nc_u32_e32 v1, v1, v2
	s_delay_alu instid0(VALU_DEP_1) | instskip(NEXT) | instid1(VALU_DEP_1)
	v_mov_b32_dpp v2, v1 row_shr:8 row_mask:0xf bank_mask:0xf
	v_cndmask_b32_e64 v2, 0, v2, s3
	s_delay_alu instid0(VALU_DEP_1) | instskip(SKIP_3) | instid1(VALU_DEP_1)
	v_add_nc_u32_e32 v1, v1, v2
	ds_swizzle_b32 v2, v1 offset:swizzle(BROADCAST,32,15)
	s_wait_dscnt 0x0
	v_cndmask_b32_e64 v2, v2, 0, s1
	v_add_nc_u32_e32 v1, v1, v2
	s_and_saveexec_b32 s1, s0
; %bb.66:
	v_lshlrev_b32_e32 v2, 2, v66
	ds_store_b32 v2, v1
; %bb.67:
	s_wait_alu 0xfffe
	s_or_b32 exec_lo, exec_lo, s1
	s_delay_alu instid0(SALU_CYCLE_1)
	s_mov_b32 s0, exec_lo
	s_wait_loadcnt_dscnt 0x0
	s_barrier_signal -1
	s_barrier_wait -1
	global_inv scope:SCOPE_SE
	v_cmpx_gt_u32_e32 8, v0
	s_cbranch_execz .LBB1839_69
; %bb.68:
	ds_load_b32 v2, v45
	s_wait_dscnt 0x0
	v_mov_b32_dpp v4, v2 row_shr:1 row_mask:0xf bank_mask:0xf
	v_and_b32_e32 v3, 7, v65
	s_delay_alu instid0(VALU_DEP_1) | instskip(SKIP_1) | instid1(VALU_DEP_3)
	v_cmp_ne_u32_e32 vcc_lo, 0, v3
	s_wait_alu 0xfffd
	v_cndmask_b32_e32 v4, 0, v4, vcc_lo
	v_cmp_lt_u32_e32 vcc_lo, 1, v3
	s_delay_alu instid0(VALU_DEP_2) | instskip(NEXT) | instid1(VALU_DEP_1)
	v_add_nc_u32_e32 v2, v4, v2
	v_mov_b32_dpp v4, v2 row_shr:2 row_mask:0xf bank_mask:0xf
	s_wait_alu 0xfffd
	s_delay_alu instid0(VALU_DEP_1) | instskip(SKIP_1) | instid1(VALU_DEP_2)
	v_cndmask_b32_e32 v4, 0, v4, vcc_lo
	v_cmp_lt_u32_e32 vcc_lo, 3, v3
	v_add_nc_u32_e32 v2, v2, v4
	s_delay_alu instid0(VALU_DEP_1) | instskip(SKIP_1) | instid1(VALU_DEP_1)
	v_mov_b32_dpp v4, v2 row_shr:4 row_mask:0xf bank_mask:0xf
	s_wait_alu 0xfffd
	v_cndmask_b32_e32 v3, 0, v4, vcc_lo
	s_delay_alu instid0(VALU_DEP_1)
	v_add_nc_u32_e32 v2, v2, v3
	ds_store_b32 v45, v2
.LBB1839_69:
	s_wait_alu 0xfffe
	s_or_b32 exec_lo, exec_lo, s0
	v_dual_mov_b32 v3, 0 :: v_dual_mov_b32 v2, 0
	s_mov_b32 s0, exec_lo
	s_wait_loadcnt_dscnt 0x0
	s_barrier_signal -1
	s_barrier_wait -1
	global_inv scope:SCOPE_SE
	v_cmpx_lt_u32_e32 31, v0
; %bb.70:
	v_lshl_add_u32 v2, v66, 2, -4
	ds_load_b32 v2, v2
; %bb.71:
	s_wait_alu 0xfffe
	s_or_b32 exec_lo, exec_lo, s0
	v_sub_co_u32 v4, vcc_lo, v65, 1
	s_wait_dscnt 0x0
	v_add_nc_u32_e32 v1, v2, v1
	ds_load_b32 v19, v3 offset:28
	v_cmp_gt_i32_e64 s0, 0, v4
	s_wait_alu 0xf1ff
	s_delay_alu instid0(VALU_DEP_1) | instskip(NEXT) | instid1(VALU_DEP_1)
	v_cndmask_b32_e64 v4, v4, v65, s0
	v_lshlrev_b32_e32 v4, 2, v4
	ds_bpermute_b32 v1, v4, v1
	s_and_saveexec_b32 s0, s2
	s_cbranch_execz .LBB1839_73
; %bb.72:
	v_dual_mov_b32 v3, 0 :: v_dual_mov_b32 v20, 2
	s_wait_dscnt 0x1
	global_store_b64 v3, v[19:20], s[20:21] offset:256 scope:SCOPE_DEV
.LBB1839_73:
	s_wait_alu 0xfffe
	s_or_b32 exec_lo, exec_lo, s0
	s_wait_dscnt 0x0
	s_wait_alu 0xfffd
	v_cndmask_b32_e32 v1, v1, v2, vcc_lo
	s_wait_loadcnt 0x0
	s_wait_storecnt 0x0
	s_barrier_signal -1
	s_barrier_wait -1
	global_inv scope:SCOPE_SE
	v_cndmask_b32_e64 v1, v1, 0, s2
	v_mov_b32_e32 v20, 0
	s_delay_alu instid0(VALU_DEP_2) | instskip(NEXT) | instid1(VALU_DEP_1)
	v_add_nc_u32_e32 v2, v1, v56
	v_add_nc_u32_e32 v3, v2, v57
	s_delay_alu instid0(VALU_DEP_1) | instskip(NEXT) | instid1(VALU_DEP_1)
	v_add_nc_u32_e32 v4, v3, v58
	v_add_nc_u32_e32 v5, v4, v55
	s_delay_alu instid0(VALU_DEP_1) | instskip(NEXT) | instid1(VALU_DEP_1)
	;; [unrolled: 3-line block ×5, first 2 shown]
	v_add_nc_u32_e32 v12, v11, v64
	v_add_nc_u32_e32 v13, v12, v51
.LBB1839_74:
	s_wait_dscnt 0x0
	v_sub_nc_u32_e32 v1, v1, v20
	v_sub_nc_u32_e32 v2, v2, v20
	v_add_nc_u32_e32 v48, v19, v48
	v_lshrrev_b32_e32 v58, 8, v54
	v_lshrrev_b32_e32 v57, 16, v54
	v_sub_nc_u32_e32 v4, v4, v20
	v_sub_nc_u32_e32 v3, v3, v20
	;; [unrolled: 1-line block ×3, first 2 shown]
	v_and_b32_e32 v54, 1, v54
	v_and_b32_e32 v58, 1, v58
	;; [unrolled: 1-line block ×3, first 2 shown]
	v_lshrrev_b32_e32 v56, 8, v52
	v_lshrrev_b32_e32 v16, 16, v52
	v_cmp_eq_u32_e32 vcc_lo, 1, v54
	v_and_b32_e32 v54, 1, v57
	v_sub_nc_u32_e32 v57, v48, v2
	v_lshrrev_b32_e32 v15, 8, v50
	v_lshrrev_b32_e32 v14, 16, v50
	s_wait_alu 0xfffd
	v_cndmask_b32_e32 v1, v59, v1, vcc_lo
	v_cmp_eq_u32_e32 vcc_lo, 1, v58
	v_add_nc_u32_e32 v57, 1, v57
	s_delay_alu instid0(VALU_DEP_3)
	v_lshlrev_b32_e32 v1, 2, v1
	ds_store_b32 v1, v31
	s_wait_alu 0xfffd
	v_cndmask_b32_e32 v1, v57, v2, vcc_lo
	v_sub_nc_u32_e32 v59, v48, v3
	v_sub_nc_u32_e32 v60, v48, v4
	v_cmp_eq_u32_e32 vcc_lo, 1, v54
	s_delay_alu instid0(VALU_DEP_4) | instskip(NEXT) | instid1(VALU_DEP_4)
	v_lshlrev_b32_e32 v1, 2, v1
	v_add_nc_u32_e32 v59, 2, v59
	s_delay_alu instid0(VALU_DEP_4)
	v_add_nc_u32_e32 v60, 3, v60
	ds_store_b32 v1, v32
	s_wait_alu 0xfffd
	v_cndmask_b32_e32 v2, v59, v3, vcc_lo
	v_cmp_eq_u32_e32 vcc_lo, 1, v55
	s_wait_alu 0xfffd
	s_delay_alu instid0(VALU_DEP_2) | instskip(SKIP_2) | instid1(VALU_DEP_3)
	v_dual_cndmask_b32 v3, v60, v4 :: v_dual_lshlrev_b32 v2, 2, v2
	v_sub_nc_u32_e32 v4, v5, v20
	v_sub_nc_u32_e32 v5, v6, v20
	v_lshlrev_b32_e32 v3, 2, v3
	s_delay_alu instid0(VALU_DEP_3) | instskip(NEXT) | instid1(VALU_DEP_3)
	v_sub_nc_u32_e32 v1, v48, v4
	v_sub_nc_u32_e32 v6, v48, v5
	ds_store_b32 v2, v29
	ds_store_b32 v3, v30
	v_and_b32_e32 v2, 1, v52
	v_add_nc_u32_e32 v1, 4, v1
	v_add_nc_u32_e32 v3, 5, v6
	v_sub_nc_u32_e32 v6, v7, v20
	v_and_b32_e32 v7, 1, v56
	v_cmp_eq_u32_e32 vcc_lo, 1, v2
	v_sub_nc_u32_e32 v2, v8, v20
	s_wait_alu 0xfffd
	v_dual_cndmask_b32 v1, v1, v4 :: v_dual_and_b32 v8, 1, v53
	v_sub_nc_u32_e32 v4, v48, v6
	v_cmp_eq_u32_e32 vcc_lo, 1, v7
	v_and_b32_e32 v7, 1, v16
	s_delay_alu instid0(VALU_DEP_4)
	v_lshlrev_b32_e32 v1, 2, v1
	s_wait_alu 0xfffd
	v_dual_cndmask_b32 v3, v3, v5 :: v_dual_add_nc_u32 v4, 6, v4
	v_sub_nc_u32_e32 v5, v48, v2
	v_cmp_eq_u32_e32 vcc_lo, 1, v7
	v_sub_nc_u32_e32 v7, v13, v20
	s_delay_alu instid0(VALU_DEP_4)
	v_lshlrev_b32_e32 v3, 2, v3
	s_wait_alu 0xfffd
	v_dual_cndmask_b32 v4, v4, v6 :: v_dual_add_nc_u32 v5, 7, v5
	v_cmp_eq_u32_e32 vcc_lo, 1, v8
	v_sub_nc_u32_e32 v6, v9, v20
	ds_store_b32 v1, v27
	ds_store_b32 v3, v28
	s_wait_alu 0xfffd
	v_dual_cndmask_b32 v2, v5, v2 :: v_dual_lshlrev_b32 v3, 2, v4
	v_sub_nc_u32_e32 v1, v48, v6
	v_and_b32_e32 v5, 1, v50
	v_sub_nc_u32_e32 v4, v10, v20
	v_and_b32_e32 v10, 1, v51
	v_lshlrev_b32_e32 v2, 2, v2
	v_add_nc_u32_e32 v1, 8, v1
	ds_store_b32 v3, v25
	ds_store_b32 v2, v26
	v_cmp_eq_u32_e32 vcc_lo, 1, v5
	v_sub_nc_u32_e32 v3, v11, v20
	v_sub_nc_u32_e32 v2, v48, v4
	;; [unrolled: 1-line block ×3, first 2 shown]
	v_and_b32_e32 v11, 1, v49
	s_wait_alu 0xfffd
	v_dual_cndmask_b32 v1, v1, v6 :: v_dual_and_b32 v6, 1, v15
	v_sub_nc_u32_e32 v8, v48, v3
	v_add_nc_u32_e32 v2, 9, v2
	v_sub_nc_u32_e32 v9, v48, v5
	s_delay_alu instid0(VALU_DEP_4)
	v_lshlrev_b32_e32 v1, 2, v1
	v_cmp_eq_u32_e32 vcc_lo, 1, v6
	v_add_nc_u32_e32 v6, 10, v8
	v_and_b32_e32 v8, 1, v14
	v_add_nc_u32_e32 v9, 11, v9
	v_add_co_u32 v15, s0, v17, v20
	s_wait_alu 0xfffd
	v_cndmask_b32_e32 v2, v2, v4, vcc_lo
	v_cmp_eq_u32_e32 vcc_lo, 1, v8
	v_sub_nc_u32_e32 v4, v48, v7
	s_wait_alu 0xf1ff
	v_add_co_ci_u32_e64 v16, null, 0, v18, s0
	s_wait_alu 0xfffd
	v_dual_cndmask_b32 v3, v6, v3 :: v_dual_lshlrev_b32 v2, 2, v2
	v_cmp_eq_u32_e32 vcc_lo, 1, v10
	v_add_nc_u32_e32 v4, 12, v4
	s_delay_alu instid0(VALU_DEP_3) | instskip(SKIP_4) | instid1(VALU_DEP_2)
	v_lshlrev_b32_e32 v3, 2, v3
	s_wait_alu 0xfffd
	v_cndmask_b32_e32 v5, v9, v5, vcc_lo
	v_cmp_eq_u32_e32 vcc_lo, 1, v11
	s_wait_alu 0xfffd
	v_dual_cndmask_b32 v4, v4, v7 :: v_dual_lshlrev_b32 v5, 2, v5
	v_cmp_ne_u32_e32 vcc_lo, 1, v46
	s_delay_alu instid0(VALU_DEP_2)
	v_lshlrev_b32_e32 v4, 2, v4
	ds_store_b32 v1, v23
	ds_store_b32 v2, v24
	;; [unrolled: 1-line block ×5, first 2 shown]
	s_wait_loadcnt_dscnt 0x0
	s_barrier_signal -1
	s_barrier_wait -1
	global_inv scope:SCOPE_SE
	ds_load_2addr_stride64_b32 v[11:12], v45 offset1:4
	ds_load_2addr_stride64_b32 v[9:10], v45 offset0:8 offset1:12
	ds_load_2addr_stride64_b32 v[7:8], v45 offset0:16 offset1:20
	;; [unrolled: 1-line block ×5, first 2 shown]
	ds_load_b32 v21, v45 offset:12288
	s_cbranch_vccnz .LBB1839_131
; %bb.75:
	s_mov_b32 s15, 0
	v_sub_co_u32 v13, vcc_lo, v15, s16
	s_wait_alu 0xfffe
	s_sub_nc_u64 s[0:1], s[18:19], s[14:15]
	s_wait_alu 0xfffd
	v_subrev_co_ci_u32_e64 v14, null, s17, v16, vcc_lo
	s_wait_alu 0xfffe
	v_add_co_u32 v17, s0, s0, v19
	s_wait_alu 0xf1ff
	v_add_co_ci_u32_e64 v18, null, s1, 0, s0
	s_mov_b32 s0, exec_lo
	v_add_co_u32 v17, vcc_lo, v17, v13
	s_wait_alu 0xfffd
	v_add_co_ci_u32_e64 v18, null, v18, v14, vcc_lo
                                        ; implicit-def: $vgpr13_vgpr14
	v_cmpx_ge_u32_e64 v0, v19
	s_wait_alu 0xfffe
	s_xor_b32 s0, exec_lo, s0
; %bb.76:
	v_not_b32_e32 v13, v0
	s_delay_alu instid0(VALU_DEP_1) | instskip(SKIP_2) | instid1(VALU_DEP_2)
	v_ashrrev_i32_e32 v14, 31, v13
	v_add_co_u32 v13, vcc_lo, v17, v13
	s_wait_alu 0xfffd
	v_add_co_ci_u32_e64 v14, null, v18, v14, vcc_lo
; %bb.77:
	s_wait_alu 0xfffe
	s_and_not1_saveexec_b32 s0, s0
; %bb.78:
	v_add_co_u32 v13, vcc_lo, v15, v0
	s_wait_alu 0xfffd
	v_add_co_ci_u32_e64 v14, null, 0, v16, vcc_lo
; %bb.79:
	s_wait_alu 0xfffe
	s_or_b32 exec_lo, exec_lo, s0
	s_delay_alu instid0(VALU_DEP_1) | instskip(SKIP_1) | instid1(VALU_DEP_1)
	v_lshlrev_b64_e32 v[13:14], 2, v[13:14]
	s_mov_b32 s0, exec_lo
	v_add_co_u32 v13, vcc_lo, s10, v13
	s_wait_alu 0xfffd
	s_delay_alu instid0(VALU_DEP_2)
	v_add_co_ci_u32_e64 v14, null, s11, v14, vcc_lo
	s_wait_dscnt 0x6
	global_store_b32 v[13:14], v11, off
                                        ; implicit-def: $vgpr13_vgpr14
	v_cmpx_ge_u32_e64 v44, v19
	s_wait_alu 0xfffe
	s_xor_b32 s0, exec_lo, s0
; %bb.80:
	v_xor_b32_e32 v13, 0xfffffeff, v0
	s_delay_alu instid0(VALU_DEP_1) | instskip(SKIP_2) | instid1(VALU_DEP_2)
	v_ashrrev_i32_e32 v14, 31, v13
	v_add_co_u32 v13, vcc_lo, v17, v13
	s_wait_alu 0xfffd
	v_add_co_ci_u32_e64 v14, null, v18, v14, vcc_lo
; %bb.81:
	s_wait_alu 0xfffe
	s_and_not1_saveexec_b32 s0, s0
; %bb.82:
	v_add_co_u32 v13, vcc_lo, v15, v44
	s_wait_alu 0xfffd
	v_add_co_ci_u32_e64 v14, null, 0, v16, vcc_lo
; %bb.83:
	s_wait_alu 0xfffe
	s_or_b32 exec_lo, exec_lo, s0
	s_delay_alu instid0(VALU_DEP_1) | instskip(SKIP_1) | instid1(VALU_DEP_1)
	v_lshlrev_b64_e32 v[13:14], 2, v[13:14]
	s_mov_b32 s0, exec_lo
	v_add_co_u32 v13, vcc_lo, s10, v13
	s_wait_alu 0xfffd
	s_delay_alu instid0(VALU_DEP_2)
	v_add_co_ci_u32_e64 v14, null, s11, v14, vcc_lo
	global_store_b32 v[13:14], v12, off
                                        ; implicit-def: $vgpr13_vgpr14
	v_cmpx_ge_u32_e64 v43, v19
	s_wait_alu 0xfffe
	s_xor_b32 s0, exec_lo, s0
; %bb.84:
	v_xor_b32_e32 v13, 0xfffffdff, v0
	s_delay_alu instid0(VALU_DEP_1) | instskip(SKIP_2) | instid1(VALU_DEP_2)
	v_ashrrev_i32_e32 v14, 31, v13
	v_add_co_u32 v13, vcc_lo, v17, v13
	s_wait_alu 0xfffd
	v_add_co_ci_u32_e64 v14, null, v18, v14, vcc_lo
; %bb.85:
	s_wait_alu 0xfffe
	s_and_not1_saveexec_b32 s0, s0
; %bb.86:
	v_add_co_u32 v13, vcc_lo, v15, v43
	s_wait_alu 0xfffd
	v_add_co_ci_u32_e64 v14, null, 0, v16, vcc_lo
; %bb.87:
	s_wait_alu 0xfffe
	s_or_b32 exec_lo, exec_lo, s0
	s_delay_alu instid0(VALU_DEP_1) | instskip(SKIP_1) | instid1(VALU_DEP_1)
	v_lshlrev_b64_e32 v[13:14], 2, v[13:14]
	s_mov_b32 s0, exec_lo
	v_add_co_u32 v13, vcc_lo, s10, v13
	s_wait_alu 0xfffd
	s_delay_alu instid0(VALU_DEP_2)
	v_add_co_ci_u32_e64 v14, null, s11, v14, vcc_lo
	s_wait_dscnt 0x5
	global_store_b32 v[13:14], v9, off
                                        ; implicit-def: $vgpr13_vgpr14
	v_cmpx_ge_u32_e64 v42, v19
	s_wait_alu 0xfffe
	s_xor_b32 s0, exec_lo, s0
; %bb.88:
	v_xor_b32_e32 v13, 0xfffffcff, v0
	s_delay_alu instid0(VALU_DEP_1) | instskip(SKIP_2) | instid1(VALU_DEP_2)
	v_ashrrev_i32_e32 v14, 31, v13
	v_add_co_u32 v13, vcc_lo, v17, v13
	s_wait_alu 0xfffd
	v_add_co_ci_u32_e64 v14, null, v18, v14, vcc_lo
; %bb.89:
	s_wait_alu 0xfffe
	s_and_not1_saveexec_b32 s0, s0
; %bb.90:
	v_add_co_u32 v13, vcc_lo, v15, v42
	s_wait_alu 0xfffd
	v_add_co_ci_u32_e64 v14, null, 0, v16, vcc_lo
; %bb.91:
	s_wait_alu 0xfffe
	s_or_b32 exec_lo, exec_lo, s0
	s_delay_alu instid0(VALU_DEP_1) | instskip(SKIP_1) | instid1(VALU_DEP_1)
	v_lshlrev_b64_e32 v[13:14], 2, v[13:14]
	s_mov_b32 s0, exec_lo
	v_add_co_u32 v13, vcc_lo, s10, v13
	s_wait_alu 0xfffd
	s_delay_alu instid0(VALU_DEP_2)
	v_add_co_ci_u32_e64 v14, null, s11, v14, vcc_lo
	global_store_b32 v[13:14], v10, off
                                        ; implicit-def: $vgpr13_vgpr14
	v_cmpx_ge_u32_e64 v41, v19
	s_wait_alu 0xfffe
	s_xor_b32 s0, exec_lo, s0
; %bb.92:
	v_xor_b32_e32 v13, 0xfffffbff, v0
	;; [unrolled: 59-line block ×6, first 2 shown]
	s_delay_alu instid0(VALU_DEP_1) | instskip(SKIP_2) | instid1(VALU_DEP_2)
	v_ashrrev_i32_e32 v14, 31, v13
	v_add_co_u32 v13, vcc_lo, v17, v13
	s_wait_alu 0xfffd
	v_add_co_ci_u32_e64 v14, null, v18, v14, vcc_lo
; %bb.125:
	s_wait_alu 0xfffe
	s_and_not1_saveexec_b32 s0, s0
; %bb.126:
	v_add_co_u32 v13, vcc_lo, v15, v33
	s_wait_alu 0xfffd
	v_add_co_ci_u32_e64 v14, null, 0, v16, vcc_lo
; %bb.127:
	s_wait_alu 0xfffe
	s_or_b32 exec_lo, exec_lo, s0
	s_mov_b32 s0, -1
.LBB1839_128:
	s_wait_alu 0xfffe
	s_and_saveexec_b32 s1, s0
	s_cbranch_execz .LBB1839_211
.LBB1839_129:
	s_wait_dscnt 0x1
	v_lshlrev_b64_e32 v[0:1], 2, v[13:14]
	s_delay_alu instid0(VALU_DEP_1) | instskip(SKIP_1) | instid1(VALU_DEP_2)
	v_add_co_u32 v0, vcc_lo, s10, v0
	s_wait_alu 0xfffd
	v_add_co_ci_u32_e64 v1, null, s11, v1, vcc_lo
	s_wait_dscnt 0x0
	global_store_b32 v[0:1], v21, off
	s_wait_alu 0xfffe
	s_or_b32 exec_lo, exec_lo, s1
	s_and_b32 s0, s2, s9
	s_wait_alu 0xfffe
	s_and_saveexec_b32 s1, s0
	s_cbranch_execnz .LBB1839_212
.LBB1839_130:
	s_endpgm
.LBB1839_131:
	s_mov_b32 s0, 0
                                        ; implicit-def: $vgpr13_vgpr14
	s_cbranch_execz .LBB1839_128
; %bb.132:
	s_mov_b32 s15, 0
	s_wait_alu 0xfffe
	s_add_nc_u64 s[4:5], s[16:17], s[14:15]
	s_wait_alu 0xfffe
	s_sub_nc_u64 s[4:5], s[18:19], s[4:5]
	s_wait_alu 0xfffe
	v_add_co_u32 v13, s1, s4, v19
	s_wait_alu 0xf1ff
	v_add_co_ci_u32_e64 v14, null, s5, 0, s1
	s_mov_b32 s1, exec_lo
	v_add_co_u32 v17, vcc_lo, v13, v15
	s_wait_alu 0xfffd
	v_add_co_ci_u32_e64 v18, null, v14, v16, vcc_lo
	v_cmpx_gt_u32_e64 s22, v0
	s_cbranch_execz .LBB1839_168
; %bb.133:
	s_mov_b32 s3, exec_lo
                                        ; implicit-def: $vgpr13_vgpr14
	v_cmpx_ge_u32_e64 v0, v19
	s_wait_alu 0xfffe
	s_xor_b32 s3, exec_lo, s3
; %bb.134:
	v_not_b32_e32 v13, v0
	s_delay_alu instid0(VALU_DEP_1) | instskip(SKIP_2) | instid1(VALU_DEP_2)
	v_ashrrev_i32_e32 v14, 31, v13
	v_add_co_u32 v13, vcc_lo, v17, v13
	s_wait_alu 0xfffd
	v_add_co_ci_u32_e64 v14, null, v18, v14, vcc_lo
; %bb.135:
	s_wait_alu 0xfffe
	s_and_not1_saveexec_b32 s3, s3
; %bb.136:
	v_add_co_u32 v13, vcc_lo, v15, v0
	s_wait_alu 0xfffd
	v_add_co_ci_u32_e64 v14, null, 0, v16, vcc_lo
; %bb.137:
	s_wait_alu 0xfffe
	s_or_b32 exec_lo, exec_lo, s3
	s_delay_alu instid0(VALU_DEP_1) | instskip(NEXT) | instid1(VALU_DEP_1)
	v_lshlrev_b64_e32 v[13:14], 2, v[13:14]
	v_add_co_u32 v13, vcc_lo, s10, v13
	s_wait_alu 0xfffd
	s_delay_alu instid0(VALU_DEP_2) | instskip(SKIP_3) | instid1(SALU_CYCLE_1)
	v_add_co_ci_u32_e64 v14, null, s11, v14, vcc_lo
	s_wait_dscnt 0x6
	global_store_b32 v[13:14], v11, off
	s_or_b32 exec_lo, exec_lo, s1
	s_mov_b32 s1, exec_lo
	v_cmpx_gt_u32_e64 s22, v44
	s_cbranch_execnz .LBB1839_169
.LBB1839_138:
	s_wait_alu 0xfffe
	s_or_b32 exec_lo, exec_lo, s1
	s_delay_alu instid0(SALU_CYCLE_1)
	s_mov_b32 s1, exec_lo
	v_cmpx_gt_u32_e64 s22, v43
	s_cbranch_execz .LBB1839_174
.LBB1839_139:
	s_mov_b32 s3, exec_lo
                                        ; implicit-def: $vgpr11_vgpr12
	v_cmpx_ge_u32_e64 v43, v19
	s_wait_alu 0xfffe
	s_xor_b32 s3, exec_lo, s3
	s_cbranch_execz .LBB1839_141
; %bb.140:
	s_wait_dscnt 0x6
	v_xor_b32_e32 v11, 0xfffffdff, v0
                                        ; implicit-def: $vgpr43
	s_delay_alu instid0(VALU_DEP_1) | instskip(SKIP_2) | instid1(VALU_DEP_2)
	v_ashrrev_i32_e32 v12, 31, v11
	v_add_co_u32 v11, vcc_lo, v17, v11
	s_wait_alu 0xfffd
	v_add_co_ci_u32_e64 v12, null, v18, v12, vcc_lo
.LBB1839_141:
	s_wait_alu 0xfffe
	s_and_not1_saveexec_b32 s3, s3
	s_cbranch_execz .LBB1839_143
; %bb.142:
	s_wait_dscnt 0x6
	v_add_co_u32 v11, vcc_lo, v15, v43
	s_wait_alu 0xfffd
	v_add_co_ci_u32_e64 v12, null, 0, v16, vcc_lo
.LBB1839_143:
	s_wait_alu 0xfffe
	s_or_b32 exec_lo, exec_lo, s3
	s_wait_dscnt 0x6
	s_delay_alu instid0(VALU_DEP_1) | instskip(NEXT) | instid1(VALU_DEP_1)
	v_lshlrev_b64_e32 v[11:12], 2, v[11:12]
	v_add_co_u32 v11, vcc_lo, s10, v11
	s_wait_alu 0xfffd
	s_delay_alu instid0(VALU_DEP_2) | instskip(SKIP_3) | instid1(SALU_CYCLE_1)
	v_add_co_ci_u32_e64 v12, null, s11, v12, vcc_lo
	s_wait_dscnt 0x5
	global_store_b32 v[11:12], v9, off
	s_or_b32 exec_lo, exec_lo, s1
	s_mov_b32 s1, exec_lo
	v_cmpx_gt_u32_e64 s22, v42
	s_cbranch_execnz .LBB1839_175
.LBB1839_144:
	s_wait_alu 0xfffe
	s_or_b32 exec_lo, exec_lo, s1
	s_delay_alu instid0(SALU_CYCLE_1)
	s_mov_b32 s1, exec_lo
	v_cmpx_gt_u32_e64 s22, v41
	s_cbranch_execz .LBB1839_180
.LBB1839_145:
	s_mov_b32 s3, exec_lo
                                        ; implicit-def: $vgpr9_vgpr10
	v_cmpx_ge_u32_e64 v41, v19
	s_wait_alu 0xfffe
	s_xor_b32 s3, exec_lo, s3
	s_cbranch_execz .LBB1839_147
; %bb.146:
	s_wait_dscnt 0x5
	v_xor_b32_e32 v9, 0xfffffbff, v0
                                        ; implicit-def: $vgpr41
	s_delay_alu instid0(VALU_DEP_1) | instskip(SKIP_2) | instid1(VALU_DEP_2)
	v_ashrrev_i32_e32 v10, 31, v9
	v_add_co_u32 v9, vcc_lo, v17, v9
	s_wait_alu 0xfffd
	v_add_co_ci_u32_e64 v10, null, v18, v10, vcc_lo
.LBB1839_147:
	s_wait_alu 0xfffe
	s_and_not1_saveexec_b32 s3, s3
	s_cbranch_execz .LBB1839_149
; %bb.148:
	s_wait_dscnt 0x5
	v_add_co_u32 v9, vcc_lo, v15, v41
	s_wait_alu 0xfffd
	v_add_co_ci_u32_e64 v10, null, 0, v16, vcc_lo
.LBB1839_149:
	s_wait_alu 0xfffe
	s_or_b32 exec_lo, exec_lo, s3
	s_wait_dscnt 0x5
	s_delay_alu instid0(VALU_DEP_1) | instskip(NEXT) | instid1(VALU_DEP_1)
	v_lshlrev_b64_e32 v[9:10], 2, v[9:10]
	v_add_co_u32 v9, vcc_lo, s10, v9
	s_wait_alu 0xfffd
	s_delay_alu instid0(VALU_DEP_2) | instskip(SKIP_3) | instid1(SALU_CYCLE_1)
	v_add_co_ci_u32_e64 v10, null, s11, v10, vcc_lo
	s_wait_dscnt 0x4
	global_store_b32 v[9:10], v7, off
	s_or_b32 exec_lo, exec_lo, s1
	s_mov_b32 s1, exec_lo
	v_cmpx_gt_u32_e64 s22, v40
	s_cbranch_execnz .LBB1839_181
.LBB1839_150:
	s_wait_alu 0xfffe
	s_or_b32 exec_lo, exec_lo, s1
	s_delay_alu instid0(SALU_CYCLE_1)
	s_mov_b32 s1, exec_lo
	v_cmpx_gt_u32_e64 s22, v39
	s_cbranch_execz .LBB1839_186
.LBB1839_151:
	s_mov_b32 s3, exec_lo
                                        ; implicit-def: $vgpr7_vgpr8
	v_cmpx_ge_u32_e64 v39, v19
	s_wait_alu 0xfffe
	s_xor_b32 s3, exec_lo, s3
	s_cbranch_execz .LBB1839_153
; %bb.152:
	s_wait_dscnt 0x4
	v_xor_b32_e32 v7, 0xfffff9ff, v0
                                        ; implicit-def: $vgpr39
	s_delay_alu instid0(VALU_DEP_1) | instskip(SKIP_2) | instid1(VALU_DEP_2)
	v_ashrrev_i32_e32 v8, 31, v7
	v_add_co_u32 v7, vcc_lo, v17, v7
	s_wait_alu 0xfffd
	v_add_co_ci_u32_e64 v8, null, v18, v8, vcc_lo
.LBB1839_153:
	s_wait_alu 0xfffe
	s_and_not1_saveexec_b32 s3, s3
	s_cbranch_execz .LBB1839_155
; %bb.154:
	s_wait_dscnt 0x4
	v_add_co_u32 v7, vcc_lo, v15, v39
	s_wait_alu 0xfffd
	v_add_co_ci_u32_e64 v8, null, 0, v16, vcc_lo
.LBB1839_155:
	s_wait_alu 0xfffe
	s_or_b32 exec_lo, exec_lo, s3
	s_wait_dscnt 0x4
	s_delay_alu instid0(VALU_DEP_1) | instskip(NEXT) | instid1(VALU_DEP_1)
	v_lshlrev_b64_e32 v[7:8], 2, v[7:8]
	v_add_co_u32 v7, vcc_lo, s10, v7
	s_wait_alu 0xfffd
	s_delay_alu instid0(VALU_DEP_2) | instskip(SKIP_3) | instid1(SALU_CYCLE_1)
	v_add_co_ci_u32_e64 v8, null, s11, v8, vcc_lo
	s_wait_dscnt 0x3
	global_store_b32 v[7:8], v5, off
	s_or_b32 exec_lo, exec_lo, s1
	s_mov_b32 s1, exec_lo
	v_cmpx_gt_u32_e64 s22, v38
	s_cbranch_execnz .LBB1839_187
.LBB1839_156:
	s_wait_alu 0xfffe
	s_or_b32 exec_lo, exec_lo, s1
	s_delay_alu instid0(SALU_CYCLE_1)
	s_mov_b32 s1, exec_lo
	v_cmpx_gt_u32_e64 s22, v37
	s_cbranch_execz .LBB1839_192
.LBB1839_157:
	s_mov_b32 s3, exec_lo
                                        ; implicit-def: $vgpr5_vgpr6
	v_cmpx_ge_u32_e64 v37, v19
	s_wait_alu 0xfffe
	s_xor_b32 s3, exec_lo, s3
	s_cbranch_execz .LBB1839_159
; %bb.158:
	s_wait_dscnt 0x3
	v_xor_b32_e32 v5, 0xfffff7ff, v0
                                        ; implicit-def: $vgpr37
	s_delay_alu instid0(VALU_DEP_1) | instskip(SKIP_2) | instid1(VALU_DEP_2)
	v_ashrrev_i32_e32 v6, 31, v5
	v_add_co_u32 v5, vcc_lo, v17, v5
	s_wait_alu 0xfffd
	v_add_co_ci_u32_e64 v6, null, v18, v6, vcc_lo
.LBB1839_159:
	s_wait_alu 0xfffe
	s_and_not1_saveexec_b32 s3, s3
	s_cbranch_execz .LBB1839_161
; %bb.160:
	s_wait_dscnt 0x3
	v_add_co_u32 v5, vcc_lo, v15, v37
	s_wait_alu 0xfffd
	v_add_co_ci_u32_e64 v6, null, 0, v16, vcc_lo
.LBB1839_161:
	s_wait_alu 0xfffe
	s_or_b32 exec_lo, exec_lo, s3
	s_wait_dscnt 0x3
	s_delay_alu instid0(VALU_DEP_1) | instskip(NEXT) | instid1(VALU_DEP_1)
	v_lshlrev_b64_e32 v[5:6], 2, v[5:6]
	v_add_co_u32 v5, vcc_lo, s10, v5
	s_wait_alu 0xfffd
	s_delay_alu instid0(VALU_DEP_2) | instskip(SKIP_3) | instid1(SALU_CYCLE_1)
	v_add_co_ci_u32_e64 v6, null, s11, v6, vcc_lo
	s_wait_dscnt 0x2
	global_store_b32 v[5:6], v3, off
	s_or_b32 exec_lo, exec_lo, s1
	s_mov_b32 s1, exec_lo
	v_cmpx_gt_u32_e64 s22, v36
	s_cbranch_execnz .LBB1839_193
.LBB1839_162:
	s_wait_alu 0xfffe
	s_or_b32 exec_lo, exec_lo, s1
	s_delay_alu instid0(SALU_CYCLE_1)
	s_mov_b32 s1, exec_lo
	v_cmpx_gt_u32_e64 s22, v35
	s_cbranch_execz .LBB1839_198
.LBB1839_163:
	s_mov_b32 s3, exec_lo
                                        ; implicit-def: $vgpr3_vgpr4
	v_cmpx_ge_u32_e64 v35, v19
	s_wait_alu 0xfffe
	s_xor_b32 s3, exec_lo, s3
	s_cbranch_execz .LBB1839_165
; %bb.164:
	s_wait_dscnt 0x2
	v_xor_b32_e32 v3, 0xfffff5ff, v0
                                        ; implicit-def: $vgpr35
	s_delay_alu instid0(VALU_DEP_1) | instskip(SKIP_2) | instid1(VALU_DEP_2)
	v_ashrrev_i32_e32 v4, 31, v3
	v_add_co_u32 v3, vcc_lo, v17, v3
	s_wait_alu 0xfffd
	v_add_co_ci_u32_e64 v4, null, v18, v4, vcc_lo
.LBB1839_165:
	s_wait_alu 0xfffe
	s_and_not1_saveexec_b32 s3, s3
	s_cbranch_execz .LBB1839_167
; %bb.166:
	s_wait_dscnt 0x2
	v_add_co_u32 v3, vcc_lo, v15, v35
	s_wait_alu 0xfffd
	v_add_co_ci_u32_e64 v4, null, 0, v16, vcc_lo
.LBB1839_167:
	s_wait_alu 0xfffe
	s_or_b32 exec_lo, exec_lo, s3
	s_wait_dscnt 0x2
	s_delay_alu instid0(VALU_DEP_1) | instskip(NEXT) | instid1(VALU_DEP_1)
	v_lshlrev_b64_e32 v[3:4], 2, v[3:4]
	v_add_co_u32 v3, vcc_lo, s10, v3
	s_wait_alu 0xfffd
	s_delay_alu instid0(VALU_DEP_2) | instskip(SKIP_3) | instid1(SALU_CYCLE_1)
	v_add_co_ci_u32_e64 v4, null, s11, v4, vcc_lo
	s_wait_dscnt 0x1
	global_store_b32 v[3:4], v1, off
	s_or_b32 exec_lo, exec_lo, s1
	s_mov_b32 s1, exec_lo
	v_cmpx_gt_u32_e64 s22, v34
	s_cbranch_execz .LBB1839_204
	s_branch .LBB1839_199
.LBB1839_168:
	s_wait_alu 0xfffe
	s_or_b32 exec_lo, exec_lo, s1
	s_delay_alu instid0(SALU_CYCLE_1)
	s_mov_b32 s1, exec_lo
	v_cmpx_gt_u32_e64 s22, v44
	s_cbranch_execz .LBB1839_138
.LBB1839_169:
	s_mov_b32 s3, exec_lo
                                        ; implicit-def: $vgpr13_vgpr14
	v_cmpx_ge_u32_e64 v44, v19
	s_wait_alu 0xfffe
	s_xor_b32 s3, exec_lo, s3
	s_cbranch_execz .LBB1839_171
; %bb.170:
	s_wait_dscnt 0x6
	v_xor_b32_e32 v11, 0xfffffeff, v0
                                        ; implicit-def: $vgpr44
	s_delay_alu instid0(VALU_DEP_1) | instskip(SKIP_2) | instid1(VALU_DEP_2)
	v_ashrrev_i32_e32 v14, 31, v11
	v_add_co_u32 v13, vcc_lo, v17, v11
	s_wait_alu 0xfffd
	v_add_co_ci_u32_e64 v14, null, v18, v14, vcc_lo
.LBB1839_171:
	s_wait_alu 0xfffe
	s_and_not1_saveexec_b32 s3, s3
; %bb.172:
	v_add_co_u32 v13, vcc_lo, v15, v44
	s_wait_alu 0xfffd
	v_add_co_ci_u32_e64 v14, null, 0, v16, vcc_lo
; %bb.173:
	s_wait_alu 0xfffe
	s_or_b32 exec_lo, exec_lo, s3
	s_delay_alu instid0(VALU_DEP_1) | instskip(NEXT) | instid1(VALU_DEP_1)
	v_lshlrev_b64_e32 v[13:14], 2, v[13:14]
	v_add_co_u32 v13, vcc_lo, s10, v13
	s_wait_alu 0xfffd
	s_delay_alu instid0(VALU_DEP_2) | instskip(SKIP_3) | instid1(SALU_CYCLE_1)
	v_add_co_ci_u32_e64 v14, null, s11, v14, vcc_lo
	s_wait_dscnt 0x6
	global_store_b32 v[13:14], v12, off
	s_or_b32 exec_lo, exec_lo, s1
	s_mov_b32 s1, exec_lo
	v_cmpx_gt_u32_e64 s22, v43
	s_cbranch_execnz .LBB1839_139
.LBB1839_174:
	s_wait_alu 0xfffe
	s_or_b32 exec_lo, exec_lo, s1
	s_delay_alu instid0(SALU_CYCLE_1)
	s_mov_b32 s1, exec_lo
	v_cmpx_gt_u32_e64 s22, v42
	s_cbranch_execz .LBB1839_144
.LBB1839_175:
	s_mov_b32 s3, exec_lo
                                        ; implicit-def: $vgpr11_vgpr12
	v_cmpx_ge_u32_e64 v42, v19
	s_wait_alu 0xfffe
	s_xor_b32 s3, exec_lo, s3
	s_cbranch_execz .LBB1839_177
; %bb.176:
	s_wait_dscnt 0x5
	v_xor_b32_e32 v9, 0xfffffcff, v0
                                        ; implicit-def: $vgpr42
	s_delay_alu instid0(VALU_DEP_1) | instskip(SKIP_2) | instid1(VALU_DEP_2)
	v_ashrrev_i32_e32 v12, 31, v9
	v_add_co_u32 v11, vcc_lo, v17, v9
	s_wait_alu 0xfffd
	v_add_co_ci_u32_e64 v12, null, v18, v12, vcc_lo
.LBB1839_177:
	s_wait_alu 0xfffe
	s_and_not1_saveexec_b32 s3, s3
	s_cbranch_execz .LBB1839_179
; %bb.178:
	s_wait_dscnt 0x6
	v_add_co_u32 v11, vcc_lo, v15, v42
	s_wait_alu 0xfffd
	v_add_co_ci_u32_e64 v12, null, 0, v16, vcc_lo
.LBB1839_179:
	s_wait_alu 0xfffe
	s_or_b32 exec_lo, exec_lo, s3
	s_wait_dscnt 0x6
	s_delay_alu instid0(VALU_DEP_1) | instskip(NEXT) | instid1(VALU_DEP_1)
	v_lshlrev_b64_e32 v[11:12], 2, v[11:12]
	v_add_co_u32 v11, vcc_lo, s10, v11
	s_wait_alu 0xfffd
	s_delay_alu instid0(VALU_DEP_2) | instskip(SKIP_3) | instid1(SALU_CYCLE_1)
	v_add_co_ci_u32_e64 v12, null, s11, v12, vcc_lo
	s_wait_dscnt 0x5
	global_store_b32 v[11:12], v10, off
	s_or_b32 exec_lo, exec_lo, s1
	s_mov_b32 s1, exec_lo
	v_cmpx_gt_u32_e64 s22, v41
	s_cbranch_execnz .LBB1839_145
.LBB1839_180:
	s_wait_alu 0xfffe
	s_or_b32 exec_lo, exec_lo, s1
	s_delay_alu instid0(SALU_CYCLE_1)
	s_mov_b32 s1, exec_lo
	v_cmpx_gt_u32_e64 s22, v40
	s_cbranch_execz .LBB1839_150
.LBB1839_181:
	s_mov_b32 s3, exec_lo
                                        ; implicit-def: $vgpr9_vgpr10
	v_cmpx_ge_u32_e64 v40, v19
	s_wait_alu 0xfffe
	s_xor_b32 s3, exec_lo, s3
	s_cbranch_execz .LBB1839_183
; %bb.182:
	s_wait_dscnt 0x4
	v_xor_b32_e32 v7, 0xfffffaff, v0
                                        ; implicit-def: $vgpr40
	s_delay_alu instid0(VALU_DEP_1) | instskip(SKIP_2) | instid1(VALU_DEP_2)
	v_ashrrev_i32_e32 v10, 31, v7
	v_add_co_u32 v9, vcc_lo, v17, v7
	s_wait_alu 0xfffd
	v_add_co_ci_u32_e64 v10, null, v18, v10, vcc_lo
.LBB1839_183:
	s_wait_alu 0xfffe
	s_and_not1_saveexec_b32 s3, s3
	s_cbranch_execz .LBB1839_185
; %bb.184:
	s_wait_dscnt 0x5
	v_add_co_u32 v9, vcc_lo, v15, v40
	s_wait_alu 0xfffd
	v_add_co_ci_u32_e64 v10, null, 0, v16, vcc_lo
.LBB1839_185:
	s_wait_alu 0xfffe
	s_or_b32 exec_lo, exec_lo, s3
	s_wait_dscnt 0x5
	s_delay_alu instid0(VALU_DEP_1) | instskip(NEXT) | instid1(VALU_DEP_1)
	v_lshlrev_b64_e32 v[9:10], 2, v[9:10]
	v_add_co_u32 v9, vcc_lo, s10, v9
	s_wait_alu 0xfffd
	s_delay_alu instid0(VALU_DEP_2) | instskip(SKIP_3) | instid1(SALU_CYCLE_1)
	v_add_co_ci_u32_e64 v10, null, s11, v10, vcc_lo
	s_wait_dscnt 0x4
	global_store_b32 v[9:10], v8, off
	s_or_b32 exec_lo, exec_lo, s1
	s_mov_b32 s1, exec_lo
	v_cmpx_gt_u32_e64 s22, v39
	s_cbranch_execnz .LBB1839_151
.LBB1839_186:
	s_wait_alu 0xfffe
	s_or_b32 exec_lo, exec_lo, s1
	s_delay_alu instid0(SALU_CYCLE_1)
	s_mov_b32 s1, exec_lo
	v_cmpx_gt_u32_e64 s22, v38
	s_cbranch_execz .LBB1839_156
.LBB1839_187:
	s_mov_b32 s3, exec_lo
                                        ; implicit-def: $vgpr7_vgpr8
	v_cmpx_ge_u32_e64 v38, v19
	s_wait_alu 0xfffe
	s_xor_b32 s3, exec_lo, s3
	s_cbranch_execz .LBB1839_189
; %bb.188:
	s_wait_dscnt 0x3
	v_xor_b32_e32 v5, 0xfffff8ff, v0
                                        ; implicit-def: $vgpr38
	s_delay_alu instid0(VALU_DEP_1) | instskip(SKIP_2) | instid1(VALU_DEP_2)
	v_ashrrev_i32_e32 v8, 31, v5
	v_add_co_u32 v7, vcc_lo, v17, v5
	s_wait_alu 0xfffd
	v_add_co_ci_u32_e64 v8, null, v18, v8, vcc_lo
.LBB1839_189:
	s_wait_alu 0xfffe
	s_and_not1_saveexec_b32 s3, s3
	s_cbranch_execz .LBB1839_191
; %bb.190:
	s_wait_dscnt 0x4
	v_add_co_u32 v7, vcc_lo, v15, v38
	s_wait_alu 0xfffd
	v_add_co_ci_u32_e64 v8, null, 0, v16, vcc_lo
.LBB1839_191:
	s_wait_alu 0xfffe
	s_or_b32 exec_lo, exec_lo, s3
	s_wait_dscnt 0x4
	s_delay_alu instid0(VALU_DEP_1) | instskip(NEXT) | instid1(VALU_DEP_1)
	v_lshlrev_b64_e32 v[7:8], 2, v[7:8]
	v_add_co_u32 v7, vcc_lo, s10, v7
	s_wait_alu 0xfffd
	s_delay_alu instid0(VALU_DEP_2) | instskip(SKIP_3) | instid1(SALU_CYCLE_1)
	v_add_co_ci_u32_e64 v8, null, s11, v8, vcc_lo
	s_wait_dscnt 0x3
	global_store_b32 v[7:8], v6, off
	s_or_b32 exec_lo, exec_lo, s1
	s_mov_b32 s1, exec_lo
	v_cmpx_gt_u32_e64 s22, v37
	s_cbranch_execnz .LBB1839_157
.LBB1839_192:
	s_wait_alu 0xfffe
	s_or_b32 exec_lo, exec_lo, s1
	s_delay_alu instid0(SALU_CYCLE_1)
	s_mov_b32 s1, exec_lo
	v_cmpx_gt_u32_e64 s22, v36
	s_cbranch_execz .LBB1839_162
.LBB1839_193:
	s_mov_b32 s3, exec_lo
                                        ; implicit-def: $vgpr5_vgpr6
	v_cmpx_ge_u32_e64 v36, v19
	s_wait_alu 0xfffe
	s_xor_b32 s3, exec_lo, s3
	s_cbranch_execz .LBB1839_195
; %bb.194:
	s_wait_dscnt 0x2
	v_xor_b32_e32 v3, 0xfffff6ff, v0
                                        ; implicit-def: $vgpr36
	s_delay_alu instid0(VALU_DEP_1) | instskip(SKIP_2) | instid1(VALU_DEP_2)
	v_ashrrev_i32_e32 v6, 31, v3
	v_add_co_u32 v5, vcc_lo, v17, v3
	s_wait_alu 0xfffd
	v_add_co_ci_u32_e64 v6, null, v18, v6, vcc_lo
.LBB1839_195:
	s_wait_alu 0xfffe
	s_and_not1_saveexec_b32 s3, s3
	s_cbranch_execz .LBB1839_197
; %bb.196:
	s_wait_dscnt 0x3
	v_add_co_u32 v5, vcc_lo, v15, v36
	s_wait_alu 0xfffd
	v_add_co_ci_u32_e64 v6, null, 0, v16, vcc_lo
.LBB1839_197:
	s_wait_alu 0xfffe
	s_or_b32 exec_lo, exec_lo, s3
	s_wait_dscnt 0x3
	s_delay_alu instid0(VALU_DEP_1) | instskip(NEXT) | instid1(VALU_DEP_1)
	v_lshlrev_b64_e32 v[5:6], 2, v[5:6]
	v_add_co_u32 v5, vcc_lo, s10, v5
	s_wait_alu 0xfffd
	s_delay_alu instid0(VALU_DEP_2) | instskip(SKIP_3) | instid1(SALU_CYCLE_1)
	v_add_co_ci_u32_e64 v6, null, s11, v6, vcc_lo
	s_wait_dscnt 0x2
	global_store_b32 v[5:6], v4, off
	s_or_b32 exec_lo, exec_lo, s1
	s_mov_b32 s1, exec_lo
	v_cmpx_gt_u32_e64 s22, v35
	s_cbranch_execnz .LBB1839_163
.LBB1839_198:
	s_wait_alu 0xfffe
	s_or_b32 exec_lo, exec_lo, s1
	s_delay_alu instid0(SALU_CYCLE_1)
	s_mov_b32 s1, exec_lo
	v_cmpx_gt_u32_e64 s22, v34
	s_cbranch_execz .LBB1839_204
.LBB1839_199:
	s_mov_b32 s3, exec_lo
                                        ; implicit-def: $vgpr3_vgpr4
	v_cmpx_ge_u32_e64 v34, v19
	s_wait_alu 0xfffe
	s_xor_b32 s3, exec_lo, s3
	s_cbranch_execz .LBB1839_201
; %bb.200:
	s_wait_dscnt 0x1
	v_xor_b32_e32 v1, 0xfffff4ff, v0
                                        ; implicit-def: $vgpr34
	s_delay_alu instid0(VALU_DEP_1) | instskip(SKIP_2) | instid1(VALU_DEP_2)
	v_ashrrev_i32_e32 v4, 31, v1
	v_add_co_u32 v3, vcc_lo, v17, v1
	s_wait_alu 0xfffd
	v_add_co_ci_u32_e64 v4, null, v18, v4, vcc_lo
.LBB1839_201:
	s_wait_alu 0xfffe
	s_and_not1_saveexec_b32 s3, s3
	s_cbranch_execz .LBB1839_203
; %bb.202:
	s_wait_dscnt 0x2
	v_add_co_u32 v3, vcc_lo, v15, v34
	s_wait_alu 0xfffd
	v_add_co_ci_u32_e64 v4, null, 0, v16, vcc_lo
.LBB1839_203:
	s_wait_alu 0xfffe
	s_or_b32 exec_lo, exec_lo, s3
	s_wait_dscnt 0x2
	s_delay_alu instid0(VALU_DEP_1) | instskip(NEXT) | instid1(VALU_DEP_1)
	v_lshlrev_b64_e32 v[3:4], 2, v[3:4]
	v_add_co_u32 v3, vcc_lo, s10, v3
	s_wait_alu 0xfffd
	s_delay_alu instid0(VALU_DEP_2)
	v_add_co_ci_u32_e64 v4, null, s11, v4, vcc_lo
	s_wait_dscnt 0x1
	global_store_b32 v[3:4], v2, off
.LBB1839_204:
	s_wait_alu 0xfffe
	s_or_b32 exec_lo, exec_lo, s1
	s_delay_alu instid0(SALU_CYCLE_1)
	s_mov_b32 s1, exec_lo
                                        ; implicit-def: $vgpr13_vgpr14
	v_cmpx_gt_u32_e64 s22, v33
	s_cbranch_execz .LBB1839_210
; %bb.205:
	s_mov_b32 s3, exec_lo
                                        ; implicit-def: $vgpr13_vgpr14
	v_cmpx_ge_u32_e64 v33, v19
	s_wait_alu 0xfffe
	s_xor_b32 s3, exec_lo, s3
	s_cbranch_execz .LBB1839_207
; %bb.206:
	v_xor_b32_e32 v0, 0xfffff3ff, v0
                                        ; implicit-def: $vgpr33
	s_wait_dscnt 0x1
	s_delay_alu instid0(VALU_DEP_1) | instskip(SKIP_2) | instid1(VALU_DEP_2)
	v_ashrrev_i32_e32 v1, 31, v0
	v_add_co_u32 v13, vcc_lo, v17, v0
	s_wait_alu 0xfffd
	v_add_co_ci_u32_e64 v14, null, v18, v1, vcc_lo
.LBB1839_207:
	s_wait_alu 0xfffe
	s_and_not1_saveexec_b32 s3, s3
; %bb.208:
	v_add_co_u32 v13, vcc_lo, v15, v33
	s_wait_alu 0xfffd
	v_add_co_ci_u32_e64 v14, null, 0, v16, vcc_lo
; %bb.209:
	s_wait_alu 0xfffe
	s_or_b32 exec_lo, exec_lo, s3
	s_delay_alu instid0(SALU_CYCLE_1)
	s_or_b32 s0, s0, exec_lo
.LBB1839_210:
	s_wait_alu 0xfffe
	s_or_b32 exec_lo, exec_lo, s1
	s_and_saveexec_b32 s1, s0
	s_cbranch_execnz .LBB1839_129
.LBB1839_211:
	s_wait_alu 0xfffe
	s_or_b32 exec_lo, exec_lo, s1
	s_and_b32 s0, s2, s9
	s_wait_alu 0xfffe
	s_and_saveexec_b32 s1, s0
	s_cbranch_execz .LBB1839_130
.LBB1839_212:
	v_add_co_u32 v0, vcc_lo, v15, v19
	s_wait_dscnt 0x1
	v_mov_b32_e32 v2, 0
	s_wait_alu 0xfffd
	v_add_co_ci_u32_e64 v1, null, 0, v16, vcc_lo
	global_store_b64 v2, v[0:1], s[12:13]
	s_endpgm
	.section	.rodata,"a",@progbits
	.p2align	6, 0x0
	.amdhsa_kernel _ZN7rocprim17ROCPRIM_400000_NS6detail17trampoline_kernelINS0_13select_configILj256ELj13ELNS0_17block_load_methodE3ELS4_3ELS4_3ELNS0_20block_scan_algorithmE0ELj4294967295EEENS1_25partition_config_selectorILNS1_17partition_subalgoE3EjNS0_10empty_typeEbEEZZNS1_14partition_implILS8_3ELb0ES6_jNS0_17counting_iteratorIjlEEPS9_SE_NS0_5tupleIJPjSE_EEENSF_IJSE_SE_EEES9_SG_JZNS1_25segmented_radix_sort_implINS0_14default_configELb0EPK6__halfPSL_PKlPlN2at6native12_GLOBAL__N_18offset_tEEE10hipError_tPvRmT1_PNSt15iterator_traitsISZ_E10value_typeET2_T3_PNS10_IS15_E10value_typeET4_jRbjT5_S1B_jjP12ihipStream_tbEUljE_EEESW_SX_SY_S15_S19_S1B_T6_T7_T9_mT8_S1D_bDpT10_ENKUlT_T0_E_clISt17integral_constantIbLb0EES1P_IbLb1EEEEDaS1L_S1M_EUlS1L_E_NS1_11comp_targetILNS1_3genE10ELNS1_11target_archE1200ELNS1_3gpuE4ELNS1_3repE0EEENS1_30default_config_static_selectorELNS0_4arch9wavefront6targetE0EEEvSZ_
		.amdhsa_group_segment_fixed_size 13320
		.amdhsa_private_segment_fixed_size 0
		.amdhsa_kernarg_size 152
		.amdhsa_user_sgpr_count 2
		.amdhsa_user_sgpr_dispatch_ptr 0
		.amdhsa_user_sgpr_queue_ptr 0
		.amdhsa_user_sgpr_kernarg_segment_ptr 1
		.amdhsa_user_sgpr_dispatch_id 0
		.amdhsa_user_sgpr_private_segment_size 0
		.amdhsa_wavefront_size32 1
		.amdhsa_uses_dynamic_stack 0
		.amdhsa_enable_private_segment 0
		.amdhsa_system_sgpr_workgroup_id_x 1
		.amdhsa_system_sgpr_workgroup_id_y 0
		.amdhsa_system_sgpr_workgroup_id_z 0
		.amdhsa_system_sgpr_workgroup_info 0
		.amdhsa_system_vgpr_workitem_id 0
		.amdhsa_next_free_vgpr 71
		.amdhsa_next_free_sgpr 26
		.amdhsa_reserve_vcc 1
		.amdhsa_float_round_mode_32 0
		.amdhsa_float_round_mode_16_64 0
		.amdhsa_float_denorm_mode_32 3
		.amdhsa_float_denorm_mode_16_64 3
		.amdhsa_fp16_overflow 0
		.amdhsa_workgroup_processor_mode 1
		.amdhsa_memory_ordered 1
		.amdhsa_forward_progress 1
		.amdhsa_inst_pref_size 86
		.amdhsa_round_robin_scheduling 0
		.amdhsa_exception_fp_ieee_invalid_op 0
		.amdhsa_exception_fp_denorm_src 0
		.amdhsa_exception_fp_ieee_div_zero 0
		.amdhsa_exception_fp_ieee_overflow 0
		.amdhsa_exception_fp_ieee_underflow 0
		.amdhsa_exception_fp_ieee_inexact 0
		.amdhsa_exception_int_div_zero 0
	.end_amdhsa_kernel
	.section	.text._ZN7rocprim17ROCPRIM_400000_NS6detail17trampoline_kernelINS0_13select_configILj256ELj13ELNS0_17block_load_methodE3ELS4_3ELS4_3ELNS0_20block_scan_algorithmE0ELj4294967295EEENS1_25partition_config_selectorILNS1_17partition_subalgoE3EjNS0_10empty_typeEbEEZZNS1_14partition_implILS8_3ELb0ES6_jNS0_17counting_iteratorIjlEEPS9_SE_NS0_5tupleIJPjSE_EEENSF_IJSE_SE_EEES9_SG_JZNS1_25segmented_radix_sort_implINS0_14default_configELb0EPK6__halfPSL_PKlPlN2at6native12_GLOBAL__N_18offset_tEEE10hipError_tPvRmT1_PNSt15iterator_traitsISZ_E10value_typeET2_T3_PNS10_IS15_E10value_typeET4_jRbjT5_S1B_jjP12ihipStream_tbEUljE_EEESW_SX_SY_S15_S19_S1B_T6_T7_T9_mT8_S1D_bDpT10_ENKUlT_T0_E_clISt17integral_constantIbLb0EES1P_IbLb1EEEEDaS1L_S1M_EUlS1L_E_NS1_11comp_targetILNS1_3genE10ELNS1_11target_archE1200ELNS1_3gpuE4ELNS1_3repE0EEENS1_30default_config_static_selectorELNS0_4arch9wavefront6targetE0EEEvSZ_,"axG",@progbits,_ZN7rocprim17ROCPRIM_400000_NS6detail17trampoline_kernelINS0_13select_configILj256ELj13ELNS0_17block_load_methodE3ELS4_3ELS4_3ELNS0_20block_scan_algorithmE0ELj4294967295EEENS1_25partition_config_selectorILNS1_17partition_subalgoE3EjNS0_10empty_typeEbEEZZNS1_14partition_implILS8_3ELb0ES6_jNS0_17counting_iteratorIjlEEPS9_SE_NS0_5tupleIJPjSE_EEENSF_IJSE_SE_EEES9_SG_JZNS1_25segmented_radix_sort_implINS0_14default_configELb0EPK6__halfPSL_PKlPlN2at6native12_GLOBAL__N_18offset_tEEE10hipError_tPvRmT1_PNSt15iterator_traitsISZ_E10value_typeET2_T3_PNS10_IS15_E10value_typeET4_jRbjT5_S1B_jjP12ihipStream_tbEUljE_EEESW_SX_SY_S15_S19_S1B_T6_T7_T9_mT8_S1D_bDpT10_ENKUlT_T0_E_clISt17integral_constantIbLb0EES1P_IbLb1EEEEDaS1L_S1M_EUlS1L_E_NS1_11comp_targetILNS1_3genE10ELNS1_11target_archE1200ELNS1_3gpuE4ELNS1_3repE0EEENS1_30default_config_static_selectorELNS0_4arch9wavefront6targetE0EEEvSZ_,comdat
.Lfunc_end1839:
	.size	_ZN7rocprim17ROCPRIM_400000_NS6detail17trampoline_kernelINS0_13select_configILj256ELj13ELNS0_17block_load_methodE3ELS4_3ELS4_3ELNS0_20block_scan_algorithmE0ELj4294967295EEENS1_25partition_config_selectorILNS1_17partition_subalgoE3EjNS0_10empty_typeEbEEZZNS1_14partition_implILS8_3ELb0ES6_jNS0_17counting_iteratorIjlEEPS9_SE_NS0_5tupleIJPjSE_EEENSF_IJSE_SE_EEES9_SG_JZNS1_25segmented_radix_sort_implINS0_14default_configELb0EPK6__halfPSL_PKlPlN2at6native12_GLOBAL__N_18offset_tEEE10hipError_tPvRmT1_PNSt15iterator_traitsISZ_E10value_typeET2_T3_PNS10_IS15_E10value_typeET4_jRbjT5_S1B_jjP12ihipStream_tbEUljE_EEESW_SX_SY_S15_S19_S1B_T6_T7_T9_mT8_S1D_bDpT10_ENKUlT_T0_E_clISt17integral_constantIbLb0EES1P_IbLb1EEEEDaS1L_S1M_EUlS1L_E_NS1_11comp_targetILNS1_3genE10ELNS1_11target_archE1200ELNS1_3gpuE4ELNS1_3repE0EEENS1_30default_config_static_selectorELNS0_4arch9wavefront6targetE0EEEvSZ_, .Lfunc_end1839-_ZN7rocprim17ROCPRIM_400000_NS6detail17trampoline_kernelINS0_13select_configILj256ELj13ELNS0_17block_load_methodE3ELS4_3ELS4_3ELNS0_20block_scan_algorithmE0ELj4294967295EEENS1_25partition_config_selectorILNS1_17partition_subalgoE3EjNS0_10empty_typeEbEEZZNS1_14partition_implILS8_3ELb0ES6_jNS0_17counting_iteratorIjlEEPS9_SE_NS0_5tupleIJPjSE_EEENSF_IJSE_SE_EEES9_SG_JZNS1_25segmented_radix_sort_implINS0_14default_configELb0EPK6__halfPSL_PKlPlN2at6native12_GLOBAL__N_18offset_tEEE10hipError_tPvRmT1_PNSt15iterator_traitsISZ_E10value_typeET2_T3_PNS10_IS15_E10value_typeET4_jRbjT5_S1B_jjP12ihipStream_tbEUljE_EEESW_SX_SY_S15_S19_S1B_T6_T7_T9_mT8_S1D_bDpT10_ENKUlT_T0_E_clISt17integral_constantIbLb0EES1P_IbLb1EEEEDaS1L_S1M_EUlS1L_E_NS1_11comp_targetILNS1_3genE10ELNS1_11target_archE1200ELNS1_3gpuE4ELNS1_3repE0EEENS1_30default_config_static_selectorELNS0_4arch9wavefront6targetE0EEEvSZ_
                                        ; -- End function
	.set _ZN7rocprim17ROCPRIM_400000_NS6detail17trampoline_kernelINS0_13select_configILj256ELj13ELNS0_17block_load_methodE3ELS4_3ELS4_3ELNS0_20block_scan_algorithmE0ELj4294967295EEENS1_25partition_config_selectorILNS1_17partition_subalgoE3EjNS0_10empty_typeEbEEZZNS1_14partition_implILS8_3ELb0ES6_jNS0_17counting_iteratorIjlEEPS9_SE_NS0_5tupleIJPjSE_EEENSF_IJSE_SE_EEES9_SG_JZNS1_25segmented_radix_sort_implINS0_14default_configELb0EPK6__halfPSL_PKlPlN2at6native12_GLOBAL__N_18offset_tEEE10hipError_tPvRmT1_PNSt15iterator_traitsISZ_E10value_typeET2_T3_PNS10_IS15_E10value_typeET4_jRbjT5_S1B_jjP12ihipStream_tbEUljE_EEESW_SX_SY_S15_S19_S1B_T6_T7_T9_mT8_S1D_bDpT10_ENKUlT_T0_E_clISt17integral_constantIbLb0EES1P_IbLb1EEEEDaS1L_S1M_EUlS1L_E_NS1_11comp_targetILNS1_3genE10ELNS1_11target_archE1200ELNS1_3gpuE4ELNS1_3repE0EEENS1_30default_config_static_selectorELNS0_4arch9wavefront6targetE0EEEvSZ_.num_vgpr, 71
	.set _ZN7rocprim17ROCPRIM_400000_NS6detail17trampoline_kernelINS0_13select_configILj256ELj13ELNS0_17block_load_methodE3ELS4_3ELS4_3ELNS0_20block_scan_algorithmE0ELj4294967295EEENS1_25partition_config_selectorILNS1_17partition_subalgoE3EjNS0_10empty_typeEbEEZZNS1_14partition_implILS8_3ELb0ES6_jNS0_17counting_iteratorIjlEEPS9_SE_NS0_5tupleIJPjSE_EEENSF_IJSE_SE_EEES9_SG_JZNS1_25segmented_radix_sort_implINS0_14default_configELb0EPK6__halfPSL_PKlPlN2at6native12_GLOBAL__N_18offset_tEEE10hipError_tPvRmT1_PNSt15iterator_traitsISZ_E10value_typeET2_T3_PNS10_IS15_E10value_typeET4_jRbjT5_S1B_jjP12ihipStream_tbEUljE_EEESW_SX_SY_S15_S19_S1B_T6_T7_T9_mT8_S1D_bDpT10_ENKUlT_T0_E_clISt17integral_constantIbLb0EES1P_IbLb1EEEEDaS1L_S1M_EUlS1L_E_NS1_11comp_targetILNS1_3genE10ELNS1_11target_archE1200ELNS1_3gpuE4ELNS1_3repE0EEENS1_30default_config_static_selectorELNS0_4arch9wavefront6targetE0EEEvSZ_.num_agpr, 0
	.set _ZN7rocprim17ROCPRIM_400000_NS6detail17trampoline_kernelINS0_13select_configILj256ELj13ELNS0_17block_load_methodE3ELS4_3ELS4_3ELNS0_20block_scan_algorithmE0ELj4294967295EEENS1_25partition_config_selectorILNS1_17partition_subalgoE3EjNS0_10empty_typeEbEEZZNS1_14partition_implILS8_3ELb0ES6_jNS0_17counting_iteratorIjlEEPS9_SE_NS0_5tupleIJPjSE_EEENSF_IJSE_SE_EEES9_SG_JZNS1_25segmented_radix_sort_implINS0_14default_configELb0EPK6__halfPSL_PKlPlN2at6native12_GLOBAL__N_18offset_tEEE10hipError_tPvRmT1_PNSt15iterator_traitsISZ_E10value_typeET2_T3_PNS10_IS15_E10value_typeET4_jRbjT5_S1B_jjP12ihipStream_tbEUljE_EEESW_SX_SY_S15_S19_S1B_T6_T7_T9_mT8_S1D_bDpT10_ENKUlT_T0_E_clISt17integral_constantIbLb0EES1P_IbLb1EEEEDaS1L_S1M_EUlS1L_E_NS1_11comp_targetILNS1_3genE10ELNS1_11target_archE1200ELNS1_3gpuE4ELNS1_3repE0EEENS1_30default_config_static_selectorELNS0_4arch9wavefront6targetE0EEEvSZ_.numbered_sgpr, 26
	.set _ZN7rocprim17ROCPRIM_400000_NS6detail17trampoline_kernelINS0_13select_configILj256ELj13ELNS0_17block_load_methodE3ELS4_3ELS4_3ELNS0_20block_scan_algorithmE0ELj4294967295EEENS1_25partition_config_selectorILNS1_17partition_subalgoE3EjNS0_10empty_typeEbEEZZNS1_14partition_implILS8_3ELb0ES6_jNS0_17counting_iteratorIjlEEPS9_SE_NS0_5tupleIJPjSE_EEENSF_IJSE_SE_EEES9_SG_JZNS1_25segmented_radix_sort_implINS0_14default_configELb0EPK6__halfPSL_PKlPlN2at6native12_GLOBAL__N_18offset_tEEE10hipError_tPvRmT1_PNSt15iterator_traitsISZ_E10value_typeET2_T3_PNS10_IS15_E10value_typeET4_jRbjT5_S1B_jjP12ihipStream_tbEUljE_EEESW_SX_SY_S15_S19_S1B_T6_T7_T9_mT8_S1D_bDpT10_ENKUlT_T0_E_clISt17integral_constantIbLb0EES1P_IbLb1EEEEDaS1L_S1M_EUlS1L_E_NS1_11comp_targetILNS1_3genE10ELNS1_11target_archE1200ELNS1_3gpuE4ELNS1_3repE0EEENS1_30default_config_static_selectorELNS0_4arch9wavefront6targetE0EEEvSZ_.num_named_barrier, 0
	.set _ZN7rocprim17ROCPRIM_400000_NS6detail17trampoline_kernelINS0_13select_configILj256ELj13ELNS0_17block_load_methodE3ELS4_3ELS4_3ELNS0_20block_scan_algorithmE0ELj4294967295EEENS1_25partition_config_selectorILNS1_17partition_subalgoE3EjNS0_10empty_typeEbEEZZNS1_14partition_implILS8_3ELb0ES6_jNS0_17counting_iteratorIjlEEPS9_SE_NS0_5tupleIJPjSE_EEENSF_IJSE_SE_EEES9_SG_JZNS1_25segmented_radix_sort_implINS0_14default_configELb0EPK6__halfPSL_PKlPlN2at6native12_GLOBAL__N_18offset_tEEE10hipError_tPvRmT1_PNSt15iterator_traitsISZ_E10value_typeET2_T3_PNS10_IS15_E10value_typeET4_jRbjT5_S1B_jjP12ihipStream_tbEUljE_EEESW_SX_SY_S15_S19_S1B_T6_T7_T9_mT8_S1D_bDpT10_ENKUlT_T0_E_clISt17integral_constantIbLb0EES1P_IbLb1EEEEDaS1L_S1M_EUlS1L_E_NS1_11comp_targetILNS1_3genE10ELNS1_11target_archE1200ELNS1_3gpuE4ELNS1_3repE0EEENS1_30default_config_static_selectorELNS0_4arch9wavefront6targetE0EEEvSZ_.private_seg_size, 0
	.set _ZN7rocprim17ROCPRIM_400000_NS6detail17trampoline_kernelINS0_13select_configILj256ELj13ELNS0_17block_load_methodE3ELS4_3ELS4_3ELNS0_20block_scan_algorithmE0ELj4294967295EEENS1_25partition_config_selectorILNS1_17partition_subalgoE3EjNS0_10empty_typeEbEEZZNS1_14partition_implILS8_3ELb0ES6_jNS0_17counting_iteratorIjlEEPS9_SE_NS0_5tupleIJPjSE_EEENSF_IJSE_SE_EEES9_SG_JZNS1_25segmented_radix_sort_implINS0_14default_configELb0EPK6__halfPSL_PKlPlN2at6native12_GLOBAL__N_18offset_tEEE10hipError_tPvRmT1_PNSt15iterator_traitsISZ_E10value_typeET2_T3_PNS10_IS15_E10value_typeET4_jRbjT5_S1B_jjP12ihipStream_tbEUljE_EEESW_SX_SY_S15_S19_S1B_T6_T7_T9_mT8_S1D_bDpT10_ENKUlT_T0_E_clISt17integral_constantIbLb0EES1P_IbLb1EEEEDaS1L_S1M_EUlS1L_E_NS1_11comp_targetILNS1_3genE10ELNS1_11target_archE1200ELNS1_3gpuE4ELNS1_3repE0EEENS1_30default_config_static_selectorELNS0_4arch9wavefront6targetE0EEEvSZ_.uses_vcc, 1
	.set _ZN7rocprim17ROCPRIM_400000_NS6detail17trampoline_kernelINS0_13select_configILj256ELj13ELNS0_17block_load_methodE3ELS4_3ELS4_3ELNS0_20block_scan_algorithmE0ELj4294967295EEENS1_25partition_config_selectorILNS1_17partition_subalgoE3EjNS0_10empty_typeEbEEZZNS1_14partition_implILS8_3ELb0ES6_jNS0_17counting_iteratorIjlEEPS9_SE_NS0_5tupleIJPjSE_EEENSF_IJSE_SE_EEES9_SG_JZNS1_25segmented_radix_sort_implINS0_14default_configELb0EPK6__halfPSL_PKlPlN2at6native12_GLOBAL__N_18offset_tEEE10hipError_tPvRmT1_PNSt15iterator_traitsISZ_E10value_typeET2_T3_PNS10_IS15_E10value_typeET4_jRbjT5_S1B_jjP12ihipStream_tbEUljE_EEESW_SX_SY_S15_S19_S1B_T6_T7_T9_mT8_S1D_bDpT10_ENKUlT_T0_E_clISt17integral_constantIbLb0EES1P_IbLb1EEEEDaS1L_S1M_EUlS1L_E_NS1_11comp_targetILNS1_3genE10ELNS1_11target_archE1200ELNS1_3gpuE4ELNS1_3repE0EEENS1_30default_config_static_selectorELNS0_4arch9wavefront6targetE0EEEvSZ_.uses_flat_scratch, 0
	.set _ZN7rocprim17ROCPRIM_400000_NS6detail17trampoline_kernelINS0_13select_configILj256ELj13ELNS0_17block_load_methodE3ELS4_3ELS4_3ELNS0_20block_scan_algorithmE0ELj4294967295EEENS1_25partition_config_selectorILNS1_17partition_subalgoE3EjNS0_10empty_typeEbEEZZNS1_14partition_implILS8_3ELb0ES6_jNS0_17counting_iteratorIjlEEPS9_SE_NS0_5tupleIJPjSE_EEENSF_IJSE_SE_EEES9_SG_JZNS1_25segmented_radix_sort_implINS0_14default_configELb0EPK6__halfPSL_PKlPlN2at6native12_GLOBAL__N_18offset_tEEE10hipError_tPvRmT1_PNSt15iterator_traitsISZ_E10value_typeET2_T3_PNS10_IS15_E10value_typeET4_jRbjT5_S1B_jjP12ihipStream_tbEUljE_EEESW_SX_SY_S15_S19_S1B_T6_T7_T9_mT8_S1D_bDpT10_ENKUlT_T0_E_clISt17integral_constantIbLb0EES1P_IbLb1EEEEDaS1L_S1M_EUlS1L_E_NS1_11comp_targetILNS1_3genE10ELNS1_11target_archE1200ELNS1_3gpuE4ELNS1_3repE0EEENS1_30default_config_static_selectorELNS0_4arch9wavefront6targetE0EEEvSZ_.has_dyn_sized_stack, 0
	.set _ZN7rocprim17ROCPRIM_400000_NS6detail17trampoline_kernelINS0_13select_configILj256ELj13ELNS0_17block_load_methodE3ELS4_3ELS4_3ELNS0_20block_scan_algorithmE0ELj4294967295EEENS1_25partition_config_selectorILNS1_17partition_subalgoE3EjNS0_10empty_typeEbEEZZNS1_14partition_implILS8_3ELb0ES6_jNS0_17counting_iteratorIjlEEPS9_SE_NS0_5tupleIJPjSE_EEENSF_IJSE_SE_EEES9_SG_JZNS1_25segmented_radix_sort_implINS0_14default_configELb0EPK6__halfPSL_PKlPlN2at6native12_GLOBAL__N_18offset_tEEE10hipError_tPvRmT1_PNSt15iterator_traitsISZ_E10value_typeET2_T3_PNS10_IS15_E10value_typeET4_jRbjT5_S1B_jjP12ihipStream_tbEUljE_EEESW_SX_SY_S15_S19_S1B_T6_T7_T9_mT8_S1D_bDpT10_ENKUlT_T0_E_clISt17integral_constantIbLb0EES1P_IbLb1EEEEDaS1L_S1M_EUlS1L_E_NS1_11comp_targetILNS1_3genE10ELNS1_11target_archE1200ELNS1_3gpuE4ELNS1_3repE0EEENS1_30default_config_static_selectorELNS0_4arch9wavefront6targetE0EEEvSZ_.has_recursion, 0
	.set _ZN7rocprim17ROCPRIM_400000_NS6detail17trampoline_kernelINS0_13select_configILj256ELj13ELNS0_17block_load_methodE3ELS4_3ELS4_3ELNS0_20block_scan_algorithmE0ELj4294967295EEENS1_25partition_config_selectorILNS1_17partition_subalgoE3EjNS0_10empty_typeEbEEZZNS1_14partition_implILS8_3ELb0ES6_jNS0_17counting_iteratorIjlEEPS9_SE_NS0_5tupleIJPjSE_EEENSF_IJSE_SE_EEES9_SG_JZNS1_25segmented_radix_sort_implINS0_14default_configELb0EPK6__halfPSL_PKlPlN2at6native12_GLOBAL__N_18offset_tEEE10hipError_tPvRmT1_PNSt15iterator_traitsISZ_E10value_typeET2_T3_PNS10_IS15_E10value_typeET4_jRbjT5_S1B_jjP12ihipStream_tbEUljE_EEESW_SX_SY_S15_S19_S1B_T6_T7_T9_mT8_S1D_bDpT10_ENKUlT_T0_E_clISt17integral_constantIbLb0EES1P_IbLb1EEEEDaS1L_S1M_EUlS1L_E_NS1_11comp_targetILNS1_3genE10ELNS1_11target_archE1200ELNS1_3gpuE4ELNS1_3repE0EEENS1_30default_config_static_selectorELNS0_4arch9wavefront6targetE0EEEvSZ_.has_indirect_call, 0
	.section	.AMDGPU.csdata,"",@progbits
; Kernel info:
; codeLenInByte = 10900
; TotalNumSgprs: 28
; NumVgprs: 71
; ScratchSize: 0
; MemoryBound: 0
; FloatMode: 240
; IeeeMode: 1
; LDSByteSize: 13320 bytes/workgroup (compile time only)
; SGPRBlocks: 0
; VGPRBlocks: 8
; NumSGPRsForWavesPerEU: 28
; NumVGPRsForWavesPerEU: 71
; Occupancy: 16
; WaveLimiterHint : 0
; COMPUTE_PGM_RSRC2:SCRATCH_EN: 0
; COMPUTE_PGM_RSRC2:USER_SGPR: 2
; COMPUTE_PGM_RSRC2:TRAP_HANDLER: 0
; COMPUTE_PGM_RSRC2:TGID_X_EN: 1
; COMPUTE_PGM_RSRC2:TGID_Y_EN: 0
; COMPUTE_PGM_RSRC2:TGID_Z_EN: 0
; COMPUTE_PGM_RSRC2:TIDIG_COMP_CNT: 0
	.section	.text._ZN7rocprim17ROCPRIM_400000_NS6detail17trampoline_kernelINS0_13select_configILj256ELj13ELNS0_17block_load_methodE3ELS4_3ELS4_3ELNS0_20block_scan_algorithmE0ELj4294967295EEENS1_25partition_config_selectorILNS1_17partition_subalgoE3EjNS0_10empty_typeEbEEZZNS1_14partition_implILS8_3ELb0ES6_jNS0_17counting_iteratorIjlEEPS9_SE_NS0_5tupleIJPjSE_EEENSF_IJSE_SE_EEES9_SG_JZNS1_25segmented_radix_sort_implINS0_14default_configELb0EPK6__halfPSL_PKlPlN2at6native12_GLOBAL__N_18offset_tEEE10hipError_tPvRmT1_PNSt15iterator_traitsISZ_E10value_typeET2_T3_PNS10_IS15_E10value_typeET4_jRbjT5_S1B_jjP12ihipStream_tbEUljE_EEESW_SX_SY_S15_S19_S1B_T6_T7_T9_mT8_S1D_bDpT10_ENKUlT_T0_E_clISt17integral_constantIbLb0EES1P_IbLb1EEEEDaS1L_S1M_EUlS1L_E_NS1_11comp_targetILNS1_3genE9ELNS1_11target_archE1100ELNS1_3gpuE3ELNS1_3repE0EEENS1_30default_config_static_selectorELNS0_4arch9wavefront6targetE0EEEvSZ_,"axG",@progbits,_ZN7rocprim17ROCPRIM_400000_NS6detail17trampoline_kernelINS0_13select_configILj256ELj13ELNS0_17block_load_methodE3ELS4_3ELS4_3ELNS0_20block_scan_algorithmE0ELj4294967295EEENS1_25partition_config_selectorILNS1_17partition_subalgoE3EjNS0_10empty_typeEbEEZZNS1_14partition_implILS8_3ELb0ES6_jNS0_17counting_iteratorIjlEEPS9_SE_NS0_5tupleIJPjSE_EEENSF_IJSE_SE_EEES9_SG_JZNS1_25segmented_radix_sort_implINS0_14default_configELb0EPK6__halfPSL_PKlPlN2at6native12_GLOBAL__N_18offset_tEEE10hipError_tPvRmT1_PNSt15iterator_traitsISZ_E10value_typeET2_T3_PNS10_IS15_E10value_typeET4_jRbjT5_S1B_jjP12ihipStream_tbEUljE_EEESW_SX_SY_S15_S19_S1B_T6_T7_T9_mT8_S1D_bDpT10_ENKUlT_T0_E_clISt17integral_constantIbLb0EES1P_IbLb1EEEEDaS1L_S1M_EUlS1L_E_NS1_11comp_targetILNS1_3genE9ELNS1_11target_archE1100ELNS1_3gpuE3ELNS1_3repE0EEENS1_30default_config_static_selectorELNS0_4arch9wavefront6targetE0EEEvSZ_,comdat
	.globl	_ZN7rocprim17ROCPRIM_400000_NS6detail17trampoline_kernelINS0_13select_configILj256ELj13ELNS0_17block_load_methodE3ELS4_3ELS4_3ELNS0_20block_scan_algorithmE0ELj4294967295EEENS1_25partition_config_selectorILNS1_17partition_subalgoE3EjNS0_10empty_typeEbEEZZNS1_14partition_implILS8_3ELb0ES6_jNS0_17counting_iteratorIjlEEPS9_SE_NS0_5tupleIJPjSE_EEENSF_IJSE_SE_EEES9_SG_JZNS1_25segmented_radix_sort_implINS0_14default_configELb0EPK6__halfPSL_PKlPlN2at6native12_GLOBAL__N_18offset_tEEE10hipError_tPvRmT1_PNSt15iterator_traitsISZ_E10value_typeET2_T3_PNS10_IS15_E10value_typeET4_jRbjT5_S1B_jjP12ihipStream_tbEUljE_EEESW_SX_SY_S15_S19_S1B_T6_T7_T9_mT8_S1D_bDpT10_ENKUlT_T0_E_clISt17integral_constantIbLb0EES1P_IbLb1EEEEDaS1L_S1M_EUlS1L_E_NS1_11comp_targetILNS1_3genE9ELNS1_11target_archE1100ELNS1_3gpuE3ELNS1_3repE0EEENS1_30default_config_static_selectorELNS0_4arch9wavefront6targetE0EEEvSZ_ ; -- Begin function _ZN7rocprim17ROCPRIM_400000_NS6detail17trampoline_kernelINS0_13select_configILj256ELj13ELNS0_17block_load_methodE3ELS4_3ELS4_3ELNS0_20block_scan_algorithmE0ELj4294967295EEENS1_25partition_config_selectorILNS1_17partition_subalgoE3EjNS0_10empty_typeEbEEZZNS1_14partition_implILS8_3ELb0ES6_jNS0_17counting_iteratorIjlEEPS9_SE_NS0_5tupleIJPjSE_EEENSF_IJSE_SE_EEES9_SG_JZNS1_25segmented_radix_sort_implINS0_14default_configELb0EPK6__halfPSL_PKlPlN2at6native12_GLOBAL__N_18offset_tEEE10hipError_tPvRmT1_PNSt15iterator_traitsISZ_E10value_typeET2_T3_PNS10_IS15_E10value_typeET4_jRbjT5_S1B_jjP12ihipStream_tbEUljE_EEESW_SX_SY_S15_S19_S1B_T6_T7_T9_mT8_S1D_bDpT10_ENKUlT_T0_E_clISt17integral_constantIbLb0EES1P_IbLb1EEEEDaS1L_S1M_EUlS1L_E_NS1_11comp_targetILNS1_3genE9ELNS1_11target_archE1100ELNS1_3gpuE3ELNS1_3repE0EEENS1_30default_config_static_selectorELNS0_4arch9wavefront6targetE0EEEvSZ_
	.p2align	8
	.type	_ZN7rocprim17ROCPRIM_400000_NS6detail17trampoline_kernelINS0_13select_configILj256ELj13ELNS0_17block_load_methodE3ELS4_3ELS4_3ELNS0_20block_scan_algorithmE0ELj4294967295EEENS1_25partition_config_selectorILNS1_17partition_subalgoE3EjNS0_10empty_typeEbEEZZNS1_14partition_implILS8_3ELb0ES6_jNS0_17counting_iteratorIjlEEPS9_SE_NS0_5tupleIJPjSE_EEENSF_IJSE_SE_EEES9_SG_JZNS1_25segmented_radix_sort_implINS0_14default_configELb0EPK6__halfPSL_PKlPlN2at6native12_GLOBAL__N_18offset_tEEE10hipError_tPvRmT1_PNSt15iterator_traitsISZ_E10value_typeET2_T3_PNS10_IS15_E10value_typeET4_jRbjT5_S1B_jjP12ihipStream_tbEUljE_EEESW_SX_SY_S15_S19_S1B_T6_T7_T9_mT8_S1D_bDpT10_ENKUlT_T0_E_clISt17integral_constantIbLb0EES1P_IbLb1EEEEDaS1L_S1M_EUlS1L_E_NS1_11comp_targetILNS1_3genE9ELNS1_11target_archE1100ELNS1_3gpuE3ELNS1_3repE0EEENS1_30default_config_static_selectorELNS0_4arch9wavefront6targetE0EEEvSZ_,@function
_ZN7rocprim17ROCPRIM_400000_NS6detail17trampoline_kernelINS0_13select_configILj256ELj13ELNS0_17block_load_methodE3ELS4_3ELS4_3ELNS0_20block_scan_algorithmE0ELj4294967295EEENS1_25partition_config_selectorILNS1_17partition_subalgoE3EjNS0_10empty_typeEbEEZZNS1_14partition_implILS8_3ELb0ES6_jNS0_17counting_iteratorIjlEEPS9_SE_NS0_5tupleIJPjSE_EEENSF_IJSE_SE_EEES9_SG_JZNS1_25segmented_radix_sort_implINS0_14default_configELb0EPK6__halfPSL_PKlPlN2at6native12_GLOBAL__N_18offset_tEEE10hipError_tPvRmT1_PNSt15iterator_traitsISZ_E10value_typeET2_T3_PNS10_IS15_E10value_typeET4_jRbjT5_S1B_jjP12ihipStream_tbEUljE_EEESW_SX_SY_S15_S19_S1B_T6_T7_T9_mT8_S1D_bDpT10_ENKUlT_T0_E_clISt17integral_constantIbLb0EES1P_IbLb1EEEEDaS1L_S1M_EUlS1L_E_NS1_11comp_targetILNS1_3genE9ELNS1_11target_archE1100ELNS1_3gpuE3ELNS1_3repE0EEENS1_30default_config_static_selectorELNS0_4arch9wavefront6targetE0EEEvSZ_: ; @_ZN7rocprim17ROCPRIM_400000_NS6detail17trampoline_kernelINS0_13select_configILj256ELj13ELNS0_17block_load_methodE3ELS4_3ELS4_3ELNS0_20block_scan_algorithmE0ELj4294967295EEENS1_25partition_config_selectorILNS1_17partition_subalgoE3EjNS0_10empty_typeEbEEZZNS1_14partition_implILS8_3ELb0ES6_jNS0_17counting_iteratorIjlEEPS9_SE_NS0_5tupleIJPjSE_EEENSF_IJSE_SE_EEES9_SG_JZNS1_25segmented_radix_sort_implINS0_14default_configELb0EPK6__halfPSL_PKlPlN2at6native12_GLOBAL__N_18offset_tEEE10hipError_tPvRmT1_PNSt15iterator_traitsISZ_E10value_typeET2_T3_PNS10_IS15_E10value_typeET4_jRbjT5_S1B_jjP12ihipStream_tbEUljE_EEESW_SX_SY_S15_S19_S1B_T6_T7_T9_mT8_S1D_bDpT10_ENKUlT_T0_E_clISt17integral_constantIbLb0EES1P_IbLb1EEEEDaS1L_S1M_EUlS1L_E_NS1_11comp_targetILNS1_3genE9ELNS1_11target_archE1100ELNS1_3gpuE3ELNS1_3repE0EEENS1_30default_config_static_selectorELNS0_4arch9wavefront6targetE0EEEvSZ_
; %bb.0:
	.section	.rodata,"a",@progbits
	.p2align	6, 0x0
	.amdhsa_kernel _ZN7rocprim17ROCPRIM_400000_NS6detail17trampoline_kernelINS0_13select_configILj256ELj13ELNS0_17block_load_methodE3ELS4_3ELS4_3ELNS0_20block_scan_algorithmE0ELj4294967295EEENS1_25partition_config_selectorILNS1_17partition_subalgoE3EjNS0_10empty_typeEbEEZZNS1_14partition_implILS8_3ELb0ES6_jNS0_17counting_iteratorIjlEEPS9_SE_NS0_5tupleIJPjSE_EEENSF_IJSE_SE_EEES9_SG_JZNS1_25segmented_radix_sort_implINS0_14default_configELb0EPK6__halfPSL_PKlPlN2at6native12_GLOBAL__N_18offset_tEEE10hipError_tPvRmT1_PNSt15iterator_traitsISZ_E10value_typeET2_T3_PNS10_IS15_E10value_typeET4_jRbjT5_S1B_jjP12ihipStream_tbEUljE_EEESW_SX_SY_S15_S19_S1B_T6_T7_T9_mT8_S1D_bDpT10_ENKUlT_T0_E_clISt17integral_constantIbLb0EES1P_IbLb1EEEEDaS1L_S1M_EUlS1L_E_NS1_11comp_targetILNS1_3genE9ELNS1_11target_archE1100ELNS1_3gpuE3ELNS1_3repE0EEENS1_30default_config_static_selectorELNS0_4arch9wavefront6targetE0EEEvSZ_
		.amdhsa_group_segment_fixed_size 0
		.amdhsa_private_segment_fixed_size 0
		.amdhsa_kernarg_size 152
		.amdhsa_user_sgpr_count 2
		.amdhsa_user_sgpr_dispatch_ptr 0
		.amdhsa_user_sgpr_queue_ptr 0
		.amdhsa_user_sgpr_kernarg_segment_ptr 1
		.amdhsa_user_sgpr_dispatch_id 0
		.amdhsa_user_sgpr_private_segment_size 0
		.amdhsa_wavefront_size32 1
		.amdhsa_uses_dynamic_stack 0
		.amdhsa_enable_private_segment 0
		.amdhsa_system_sgpr_workgroup_id_x 1
		.amdhsa_system_sgpr_workgroup_id_y 0
		.amdhsa_system_sgpr_workgroup_id_z 0
		.amdhsa_system_sgpr_workgroup_info 0
		.amdhsa_system_vgpr_workitem_id 0
		.amdhsa_next_free_vgpr 1
		.amdhsa_next_free_sgpr 1
		.amdhsa_reserve_vcc 0
		.amdhsa_float_round_mode_32 0
		.amdhsa_float_round_mode_16_64 0
		.amdhsa_float_denorm_mode_32 3
		.amdhsa_float_denorm_mode_16_64 3
		.amdhsa_fp16_overflow 0
		.amdhsa_workgroup_processor_mode 1
		.amdhsa_memory_ordered 1
		.amdhsa_forward_progress 1
		.amdhsa_inst_pref_size 0
		.amdhsa_round_robin_scheduling 0
		.amdhsa_exception_fp_ieee_invalid_op 0
		.amdhsa_exception_fp_denorm_src 0
		.amdhsa_exception_fp_ieee_div_zero 0
		.amdhsa_exception_fp_ieee_overflow 0
		.amdhsa_exception_fp_ieee_underflow 0
		.amdhsa_exception_fp_ieee_inexact 0
		.amdhsa_exception_int_div_zero 0
	.end_amdhsa_kernel
	.section	.text._ZN7rocprim17ROCPRIM_400000_NS6detail17trampoline_kernelINS0_13select_configILj256ELj13ELNS0_17block_load_methodE3ELS4_3ELS4_3ELNS0_20block_scan_algorithmE0ELj4294967295EEENS1_25partition_config_selectorILNS1_17partition_subalgoE3EjNS0_10empty_typeEbEEZZNS1_14partition_implILS8_3ELb0ES6_jNS0_17counting_iteratorIjlEEPS9_SE_NS0_5tupleIJPjSE_EEENSF_IJSE_SE_EEES9_SG_JZNS1_25segmented_radix_sort_implINS0_14default_configELb0EPK6__halfPSL_PKlPlN2at6native12_GLOBAL__N_18offset_tEEE10hipError_tPvRmT1_PNSt15iterator_traitsISZ_E10value_typeET2_T3_PNS10_IS15_E10value_typeET4_jRbjT5_S1B_jjP12ihipStream_tbEUljE_EEESW_SX_SY_S15_S19_S1B_T6_T7_T9_mT8_S1D_bDpT10_ENKUlT_T0_E_clISt17integral_constantIbLb0EES1P_IbLb1EEEEDaS1L_S1M_EUlS1L_E_NS1_11comp_targetILNS1_3genE9ELNS1_11target_archE1100ELNS1_3gpuE3ELNS1_3repE0EEENS1_30default_config_static_selectorELNS0_4arch9wavefront6targetE0EEEvSZ_,"axG",@progbits,_ZN7rocprim17ROCPRIM_400000_NS6detail17trampoline_kernelINS0_13select_configILj256ELj13ELNS0_17block_load_methodE3ELS4_3ELS4_3ELNS0_20block_scan_algorithmE0ELj4294967295EEENS1_25partition_config_selectorILNS1_17partition_subalgoE3EjNS0_10empty_typeEbEEZZNS1_14partition_implILS8_3ELb0ES6_jNS0_17counting_iteratorIjlEEPS9_SE_NS0_5tupleIJPjSE_EEENSF_IJSE_SE_EEES9_SG_JZNS1_25segmented_radix_sort_implINS0_14default_configELb0EPK6__halfPSL_PKlPlN2at6native12_GLOBAL__N_18offset_tEEE10hipError_tPvRmT1_PNSt15iterator_traitsISZ_E10value_typeET2_T3_PNS10_IS15_E10value_typeET4_jRbjT5_S1B_jjP12ihipStream_tbEUljE_EEESW_SX_SY_S15_S19_S1B_T6_T7_T9_mT8_S1D_bDpT10_ENKUlT_T0_E_clISt17integral_constantIbLb0EES1P_IbLb1EEEEDaS1L_S1M_EUlS1L_E_NS1_11comp_targetILNS1_3genE9ELNS1_11target_archE1100ELNS1_3gpuE3ELNS1_3repE0EEENS1_30default_config_static_selectorELNS0_4arch9wavefront6targetE0EEEvSZ_,comdat
.Lfunc_end1840:
	.size	_ZN7rocprim17ROCPRIM_400000_NS6detail17trampoline_kernelINS0_13select_configILj256ELj13ELNS0_17block_load_methodE3ELS4_3ELS4_3ELNS0_20block_scan_algorithmE0ELj4294967295EEENS1_25partition_config_selectorILNS1_17partition_subalgoE3EjNS0_10empty_typeEbEEZZNS1_14partition_implILS8_3ELb0ES6_jNS0_17counting_iteratorIjlEEPS9_SE_NS0_5tupleIJPjSE_EEENSF_IJSE_SE_EEES9_SG_JZNS1_25segmented_radix_sort_implINS0_14default_configELb0EPK6__halfPSL_PKlPlN2at6native12_GLOBAL__N_18offset_tEEE10hipError_tPvRmT1_PNSt15iterator_traitsISZ_E10value_typeET2_T3_PNS10_IS15_E10value_typeET4_jRbjT5_S1B_jjP12ihipStream_tbEUljE_EEESW_SX_SY_S15_S19_S1B_T6_T7_T9_mT8_S1D_bDpT10_ENKUlT_T0_E_clISt17integral_constantIbLb0EES1P_IbLb1EEEEDaS1L_S1M_EUlS1L_E_NS1_11comp_targetILNS1_3genE9ELNS1_11target_archE1100ELNS1_3gpuE3ELNS1_3repE0EEENS1_30default_config_static_selectorELNS0_4arch9wavefront6targetE0EEEvSZ_, .Lfunc_end1840-_ZN7rocprim17ROCPRIM_400000_NS6detail17trampoline_kernelINS0_13select_configILj256ELj13ELNS0_17block_load_methodE3ELS4_3ELS4_3ELNS0_20block_scan_algorithmE0ELj4294967295EEENS1_25partition_config_selectorILNS1_17partition_subalgoE3EjNS0_10empty_typeEbEEZZNS1_14partition_implILS8_3ELb0ES6_jNS0_17counting_iteratorIjlEEPS9_SE_NS0_5tupleIJPjSE_EEENSF_IJSE_SE_EEES9_SG_JZNS1_25segmented_radix_sort_implINS0_14default_configELb0EPK6__halfPSL_PKlPlN2at6native12_GLOBAL__N_18offset_tEEE10hipError_tPvRmT1_PNSt15iterator_traitsISZ_E10value_typeET2_T3_PNS10_IS15_E10value_typeET4_jRbjT5_S1B_jjP12ihipStream_tbEUljE_EEESW_SX_SY_S15_S19_S1B_T6_T7_T9_mT8_S1D_bDpT10_ENKUlT_T0_E_clISt17integral_constantIbLb0EES1P_IbLb1EEEEDaS1L_S1M_EUlS1L_E_NS1_11comp_targetILNS1_3genE9ELNS1_11target_archE1100ELNS1_3gpuE3ELNS1_3repE0EEENS1_30default_config_static_selectorELNS0_4arch9wavefront6targetE0EEEvSZ_
                                        ; -- End function
	.set _ZN7rocprim17ROCPRIM_400000_NS6detail17trampoline_kernelINS0_13select_configILj256ELj13ELNS0_17block_load_methodE3ELS4_3ELS4_3ELNS0_20block_scan_algorithmE0ELj4294967295EEENS1_25partition_config_selectorILNS1_17partition_subalgoE3EjNS0_10empty_typeEbEEZZNS1_14partition_implILS8_3ELb0ES6_jNS0_17counting_iteratorIjlEEPS9_SE_NS0_5tupleIJPjSE_EEENSF_IJSE_SE_EEES9_SG_JZNS1_25segmented_radix_sort_implINS0_14default_configELb0EPK6__halfPSL_PKlPlN2at6native12_GLOBAL__N_18offset_tEEE10hipError_tPvRmT1_PNSt15iterator_traitsISZ_E10value_typeET2_T3_PNS10_IS15_E10value_typeET4_jRbjT5_S1B_jjP12ihipStream_tbEUljE_EEESW_SX_SY_S15_S19_S1B_T6_T7_T9_mT8_S1D_bDpT10_ENKUlT_T0_E_clISt17integral_constantIbLb0EES1P_IbLb1EEEEDaS1L_S1M_EUlS1L_E_NS1_11comp_targetILNS1_3genE9ELNS1_11target_archE1100ELNS1_3gpuE3ELNS1_3repE0EEENS1_30default_config_static_selectorELNS0_4arch9wavefront6targetE0EEEvSZ_.num_vgpr, 0
	.set _ZN7rocprim17ROCPRIM_400000_NS6detail17trampoline_kernelINS0_13select_configILj256ELj13ELNS0_17block_load_methodE3ELS4_3ELS4_3ELNS0_20block_scan_algorithmE0ELj4294967295EEENS1_25partition_config_selectorILNS1_17partition_subalgoE3EjNS0_10empty_typeEbEEZZNS1_14partition_implILS8_3ELb0ES6_jNS0_17counting_iteratorIjlEEPS9_SE_NS0_5tupleIJPjSE_EEENSF_IJSE_SE_EEES9_SG_JZNS1_25segmented_radix_sort_implINS0_14default_configELb0EPK6__halfPSL_PKlPlN2at6native12_GLOBAL__N_18offset_tEEE10hipError_tPvRmT1_PNSt15iterator_traitsISZ_E10value_typeET2_T3_PNS10_IS15_E10value_typeET4_jRbjT5_S1B_jjP12ihipStream_tbEUljE_EEESW_SX_SY_S15_S19_S1B_T6_T7_T9_mT8_S1D_bDpT10_ENKUlT_T0_E_clISt17integral_constantIbLb0EES1P_IbLb1EEEEDaS1L_S1M_EUlS1L_E_NS1_11comp_targetILNS1_3genE9ELNS1_11target_archE1100ELNS1_3gpuE3ELNS1_3repE0EEENS1_30default_config_static_selectorELNS0_4arch9wavefront6targetE0EEEvSZ_.num_agpr, 0
	.set _ZN7rocprim17ROCPRIM_400000_NS6detail17trampoline_kernelINS0_13select_configILj256ELj13ELNS0_17block_load_methodE3ELS4_3ELS4_3ELNS0_20block_scan_algorithmE0ELj4294967295EEENS1_25partition_config_selectorILNS1_17partition_subalgoE3EjNS0_10empty_typeEbEEZZNS1_14partition_implILS8_3ELb0ES6_jNS0_17counting_iteratorIjlEEPS9_SE_NS0_5tupleIJPjSE_EEENSF_IJSE_SE_EEES9_SG_JZNS1_25segmented_radix_sort_implINS0_14default_configELb0EPK6__halfPSL_PKlPlN2at6native12_GLOBAL__N_18offset_tEEE10hipError_tPvRmT1_PNSt15iterator_traitsISZ_E10value_typeET2_T3_PNS10_IS15_E10value_typeET4_jRbjT5_S1B_jjP12ihipStream_tbEUljE_EEESW_SX_SY_S15_S19_S1B_T6_T7_T9_mT8_S1D_bDpT10_ENKUlT_T0_E_clISt17integral_constantIbLb0EES1P_IbLb1EEEEDaS1L_S1M_EUlS1L_E_NS1_11comp_targetILNS1_3genE9ELNS1_11target_archE1100ELNS1_3gpuE3ELNS1_3repE0EEENS1_30default_config_static_selectorELNS0_4arch9wavefront6targetE0EEEvSZ_.numbered_sgpr, 0
	.set _ZN7rocprim17ROCPRIM_400000_NS6detail17trampoline_kernelINS0_13select_configILj256ELj13ELNS0_17block_load_methodE3ELS4_3ELS4_3ELNS0_20block_scan_algorithmE0ELj4294967295EEENS1_25partition_config_selectorILNS1_17partition_subalgoE3EjNS0_10empty_typeEbEEZZNS1_14partition_implILS8_3ELb0ES6_jNS0_17counting_iteratorIjlEEPS9_SE_NS0_5tupleIJPjSE_EEENSF_IJSE_SE_EEES9_SG_JZNS1_25segmented_radix_sort_implINS0_14default_configELb0EPK6__halfPSL_PKlPlN2at6native12_GLOBAL__N_18offset_tEEE10hipError_tPvRmT1_PNSt15iterator_traitsISZ_E10value_typeET2_T3_PNS10_IS15_E10value_typeET4_jRbjT5_S1B_jjP12ihipStream_tbEUljE_EEESW_SX_SY_S15_S19_S1B_T6_T7_T9_mT8_S1D_bDpT10_ENKUlT_T0_E_clISt17integral_constantIbLb0EES1P_IbLb1EEEEDaS1L_S1M_EUlS1L_E_NS1_11comp_targetILNS1_3genE9ELNS1_11target_archE1100ELNS1_3gpuE3ELNS1_3repE0EEENS1_30default_config_static_selectorELNS0_4arch9wavefront6targetE0EEEvSZ_.num_named_barrier, 0
	.set _ZN7rocprim17ROCPRIM_400000_NS6detail17trampoline_kernelINS0_13select_configILj256ELj13ELNS0_17block_load_methodE3ELS4_3ELS4_3ELNS0_20block_scan_algorithmE0ELj4294967295EEENS1_25partition_config_selectorILNS1_17partition_subalgoE3EjNS0_10empty_typeEbEEZZNS1_14partition_implILS8_3ELb0ES6_jNS0_17counting_iteratorIjlEEPS9_SE_NS0_5tupleIJPjSE_EEENSF_IJSE_SE_EEES9_SG_JZNS1_25segmented_radix_sort_implINS0_14default_configELb0EPK6__halfPSL_PKlPlN2at6native12_GLOBAL__N_18offset_tEEE10hipError_tPvRmT1_PNSt15iterator_traitsISZ_E10value_typeET2_T3_PNS10_IS15_E10value_typeET4_jRbjT5_S1B_jjP12ihipStream_tbEUljE_EEESW_SX_SY_S15_S19_S1B_T6_T7_T9_mT8_S1D_bDpT10_ENKUlT_T0_E_clISt17integral_constantIbLb0EES1P_IbLb1EEEEDaS1L_S1M_EUlS1L_E_NS1_11comp_targetILNS1_3genE9ELNS1_11target_archE1100ELNS1_3gpuE3ELNS1_3repE0EEENS1_30default_config_static_selectorELNS0_4arch9wavefront6targetE0EEEvSZ_.private_seg_size, 0
	.set _ZN7rocprim17ROCPRIM_400000_NS6detail17trampoline_kernelINS0_13select_configILj256ELj13ELNS0_17block_load_methodE3ELS4_3ELS4_3ELNS0_20block_scan_algorithmE0ELj4294967295EEENS1_25partition_config_selectorILNS1_17partition_subalgoE3EjNS0_10empty_typeEbEEZZNS1_14partition_implILS8_3ELb0ES6_jNS0_17counting_iteratorIjlEEPS9_SE_NS0_5tupleIJPjSE_EEENSF_IJSE_SE_EEES9_SG_JZNS1_25segmented_radix_sort_implINS0_14default_configELb0EPK6__halfPSL_PKlPlN2at6native12_GLOBAL__N_18offset_tEEE10hipError_tPvRmT1_PNSt15iterator_traitsISZ_E10value_typeET2_T3_PNS10_IS15_E10value_typeET4_jRbjT5_S1B_jjP12ihipStream_tbEUljE_EEESW_SX_SY_S15_S19_S1B_T6_T7_T9_mT8_S1D_bDpT10_ENKUlT_T0_E_clISt17integral_constantIbLb0EES1P_IbLb1EEEEDaS1L_S1M_EUlS1L_E_NS1_11comp_targetILNS1_3genE9ELNS1_11target_archE1100ELNS1_3gpuE3ELNS1_3repE0EEENS1_30default_config_static_selectorELNS0_4arch9wavefront6targetE0EEEvSZ_.uses_vcc, 0
	.set _ZN7rocprim17ROCPRIM_400000_NS6detail17trampoline_kernelINS0_13select_configILj256ELj13ELNS0_17block_load_methodE3ELS4_3ELS4_3ELNS0_20block_scan_algorithmE0ELj4294967295EEENS1_25partition_config_selectorILNS1_17partition_subalgoE3EjNS0_10empty_typeEbEEZZNS1_14partition_implILS8_3ELb0ES6_jNS0_17counting_iteratorIjlEEPS9_SE_NS0_5tupleIJPjSE_EEENSF_IJSE_SE_EEES9_SG_JZNS1_25segmented_radix_sort_implINS0_14default_configELb0EPK6__halfPSL_PKlPlN2at6native12_GLOBAL__N_18offset_tEEE10hipError_tPvRmT1_PNSt15iterator_traitsISZ_E10value_typeET2_T3_PNS10_IS15_E10value_typeET4_jRbjT5_S1B_jjP12ihipStream_tbEUljE_EEESW_SX_SY_S15_S19_S1B_T6_T7_T9_mT8_S1D_bDpT10_ENKUlT_T0_E_clISt17integral_constantIbLb0EES1P_IbLb1EEEEDaS1L_S1M_EUlS1L_E_NS1_11comp_targetILNS1_3genE9ELNS1_11target_archE1100ELNS1_3gpuE3ELNS1_3repE0EEENS1_30default_config_static_selectorELNS0_4arch9wavefront6targetE0EEEvSZ_.uses_flat_scratch, 0
	.set _ZN7rocprim17ROCPRIM_400000_NS6detail17trampoline_kernelINS0_13select_configILj256ELj13ELNS0_17block_load_methodE3ELS4_3ELS4_3ELNS0_20block_scan_algorithmE0ELj4294967295EEENS1_25partition_config_selectorILNS1_17partition_subalgoE3EjNS0_10empty_typeEbEEZZNS1_14partition_implILS8_3ELb0ES6_jNS0_17counting_iteratorIjlEEPS9_SE_NS0_5tupleIJPjSE_EEENSF_IJSE_SE_EEES9_SG_JZNS1_25segmented_radix_sort_implINS0_14default_configELb0EPK6__halfPSL_PKlPlN2at6native12_GLOBAL__N_18offset_tEEE10hipError_tPvRmT1_PNSt15iterator_traitsISZ_E10value_typeET2_T3_PNS10_IS15_E10value_typeET4_jRbjT5_S1B_jjP12ihipStream_tbEUljE_EEESW_SX_SY_S15_S19_S1B_T6_T7_T9_mT8_S1D_bDpT10_ENKUlT_T0_E_clISt17integral_constantIbLb0EES1P_IbLb1EEEEDaS1L_S1M_EUlS1L_E_NS1_11comp_targetILNS1_3genE9ELNS1_11target_archE1100ELNS1_3gpuE3ELNS1_3repE0EEENS1_30default_config_static_selectorELNS0_4arch9wavefront6targetE0EEEvSZ_.has_dyn_sized_stack, 0
	.set _ZN7rocprim17ROCPRIM_400000_NS6detail17trampoline_kernelINS0_13select_configILj256ELj13ELNS0_17block_load_methodE3ELS4_3ELS4_3ELNS0_20block_scan_algorithmE0ELj4294967295EEENS1_25partition_config_selectorILNS1_17partition_subalgoE3EjNS0_10empty_typeEbEEZZNS1_14partition_implILS8_3ELb0ES6_jNS0_17counting_iteratorIjlEEPS9_SE_NS0_5tupleIJPjSE_EEENSF_IJSE_SE_EEES9_SG_JZNS1_25segmented_radix_sort_implINS0_14default_configELb0EPK6__halfPSL_PKlPlN2at6native12_GLOBAL__N_18offset_tEEE10hipError_tPvRmT1_PNSt15iterator_traitsISZ_E10value_typeET2_T3_PNS10_IS15_E10value_typeET4_jRbjT5_S1B_jjP12ihipStream_tbEUljE_EEESW_SX_SY_S15_S19_S1B_T6_T7_T9_mT8_S1D_bDpT10_ENKUlT_T0_E_clISt17integral_constantIbLb0EES1P_IbLb1EEEEDaS1L_S1M_EUlS1L_E_NS1_11comp_targetILNS1_3genE9ELNS1_11target_archE1100ELNS1_3gpuE3ELNS1_3repE0EEENS1_30default_config_static_selectorELNS0_4arch9wavefront6targetE0EEEvSZ_.has_recursion, 0
	.set _ZN7rocprim17ROCPRIM_400000_NS6detail17trampoline_kernelINS0_13select_configILj256ELj13ELNS0_17block_load_methodE3ELS4_3ELS4_3ELNS0_20block_scan_algorithmE0ELj4294967295EEENS1_25partition_config_selectorILNS1_17partition_subalgoE3EjNS0_10empty_typeEbEEZZNS1_14partition_implILS8_3ELb0ES6_jNS0_17counting_iteratorIjlEEPS9_SE_NS0_5tupleIJPjSE_EEENSF_IJSE_SE_EEES9_SG_JZNS1_25segmented_radix_sort_implINS0_14default_configELb0EPK6__halfPSL_PKlPlN2at6native12_GLOBAL__N_18offset_tEEE10hipError_tPvRmT1_PNSt15iterator_traitsISZ_E10value_typeET2_T3_PNS10_IS15_E10value_typeET4_jRbjT5_S1B_jjP12ihipStream_tbEUljE_EEESW_SX_SY_S15_S19_S1B_T6_T7_T9_mT8_S1D_bDpT10_ENKUlT_T0_E_clISt17integral_constantIbLb0EES1P_IbLb1EEEEDaS1L_S1M_EUlS1L_E_NS1_11comp_targetILNS1_3genE9ELNS1_11target_archE1100ELNS1_3gpuE3ELNS1_3repE0EEENS1_30default_config_static_selectorELNS0_4arch9wavefront6targetE0EEEvSZ_.has_indirect_call, 0
	.section	.AMDGPU.csdata,"",@progbits
; Kernel info:
; codeLenInByte = 0
; TotalNumSgprs: 0
; NumVgprs: 0
; ScratchSize: 0
; MemoryBound: 0
; FloatMode: 240
; IeeeMode: 1
; LDSByteSize: 0 bytes/workgroup (compile time only)
; SGPRBlocks: 0
; VGPRBlocks: 0
; NumSGPRsForWavesPerEU: 1
; NumVGPRsForWavesPerEU: 1
; Occupancy: 16
; WaveLimiterHint : 0
; COMPUTE_PGM_RSRC2:SCRATCH_EN: 0
; COMPUTE_PGM_RSRC2:USER_SGPR: 2
; COMPUTE_PGM_RSRC2:TRAP_HANDLER: 0
; COMPUTE_PGM_RSRC2:TGID_X_EN: 1
; COMPUTE_PGM_RSRC2:TGID_Y_EN: 0
; COMPUTE_PGM_RSRC2:TGID_Z_EN: 0
; COMPUTE_PGM_RSRC2:TIDIG_COMP_CNT: 0
	.section	.text._ZN7rocprim17ROCPRIM_400000_NS6detail17trampoline_kernelINS0_13select_configILj256ELj13ELNS0_17block_load_methodE3ELS4_3ELS4_3ELNS0_20block_scan_algorithmE0ELj4294967295EEENS1_25partition_config_selectorILNS1_17partition_subalgoE3EjNS0_10empty_typeEbEEZZNS1_14partition_implILS8_3ELb0ES6_jNS0_17counting_iteratorIjlEEPS9_SE_NS0_5tupleIJPjSE_EEENSF_IJSE_SE_EEES9_SG_JZNS1_25segmented_radix_sort_implINS0_14default_configELb0EPK6__halfPSL_PKlPlN2at6native12_GLOBAL__N_18offset_tEEE10hipError_tPvRmT1_PNSt15iterator_traitsISZ_E10value_typeET2_T3_PNS10_IS15_E10value_typeET4_jRbjT5_S1B_jjP12ihipStream_tbEUljE_EEESW_SX_SY_S15_S19_S1B_T6_T7_T9_mT8_S1D_bDpT10_ENKUlT_T0_E_clISt17integral_constantIbLb0EES1P_IbLb1EEEEDaS1L_S1M_EUlS1L_E_NS1_11comp_targetILNS1_3genE8ELNS1_11target_archE1030ELNS1_3gpuE2ELNS1_3repE0EEENS1_30default_config_static_selectorELNS0_4arch9wavefront6targetE0EEEvSZ_,"axG",@progbits,_ZN7rocprim17ROCPRIM_400000_NS6detail17trampoline_kernelINS0_13select_configILj256ELj13ELNS0_17block_load_methodE3ELS4_3ELS4_3ELNS0_20block_scan_algorithmE0ELj4294967295EEENS1_25partition_config_selectorILNS1_17partition_subalgoE3EjNS0_10empty_typeEbEEZZNS1_14partition_implILS8_3ELb0ES6_jNS0_17counting_iteratorIjlEEPS9_SE_NS0_5tupleIJPjSE_EEENSF_IJSE_SE_EEES9_SG_JZNS1_25segmented_radix_sort_implINS0_14default_configELb0EPK6__halfPSL_PKlPlN2at6native12_GLOBAL__N_18offset_tEEE10hipError_tPvRmT1_PNSt15iterator_traitsISZ_E10value_typeET2_T3_PNS10_IS15_E10value_typeET4_jRbjT5_S1B_jjP12ihipStream_tbEUljE_EEESW_SX_SY_S15_S19_S1B_T6_T7_T9_mT8_S1D_bDpT10_ENKUlT_T0_E_clISt17integral_constantIbLb0EES1P_IbLb1EEEEDaS1L_S1M_EUlS1L_E_NS1_11comp_targetILNS1_3genE8ELNS1_11target_archE1030ELNS1_3gpuE2ELNS1_3repE0EEENS1_30default_config_static_selectorELNS0_4arch9wavefront6targetE0EEEvSZ_,comdat
	.globl	_ZN7rocprim17ROCPRIM_400000_NS6detail17trampoline_kernelINS0_13select_configILj256ELj13ELNS0_17block_load_methodE3ELS4_3ELS4_3ELNS0_20block_scan_algorithmE0ELj4294967295EEENS1_25partition_config_selectorILNS1_17partition_subalgoE3EjNS0_10empty_typeEbEEZZNS1_14partition_implILS8_3ELb0ES6_jNS0_17counting_iteratorIjlEEPS9_SE_NS0_5tupleIJPjSE_EEENSF_IJSE_SE_EEES9_SG_JZNS1_25segmented_radix_sort_implINS0_14default_configELb0EPK6__halfPSL_PKlPlN2at6native12_GLOBAL__N_18offset_tEEE10hipError_tPvRmT1_PNSt15iterator_traitsISZ_E10value_typeET2_T3_PNS10_IS15_E10value_typeET4_jRbjT5_S1B_jjP12ihipStream_tbEUljE_EEESW_SX_SY_S15_S19_S1B_T6_T7_T9_mT8_S1D_bDpT10_ENKUlT_T0_E_clISt17integral_constantIbLb0EES1P_IbLb1EEEEDaS1L_S1M_EUlS1L_E_NS1_11comp_targetILNS1_3genE8ELNS1_11target_archE1030ELNS1_3gpuE2ELNS1_3repE0EEENS1_30default_config_static_selectorELNS0_4arch9wavefront6targetE0EEEvSZ_ ; -- Begin function _ZN7rocprim17ROCPRIM_400000_NS6detail17trampoline_kernelINS0_13select_configILj256ELj13ELNS0_17block_load_methodE3ELS4_3ELS4_3ELNS0_20block_scan_algorithmE0ELj4294967295EEENS1_25partition_config_selectorILNS1_17partition_subalgoE3EjNS0_10empty_typeEbEEZZNS1_14partition_implILS8_3ELb0ES6_jNS0_17counting_iteratorIjlEEPS9_SE_NS0_5tupleIJPjSE_EEENSF_IJSE_SE_EEES9_SG_JZNS1_25segmented_radix_sort_implINS0_14default_configELb0EPK6__halfPSL_PKlPlN2at6native12_GLOBAL__N_18offset_tEEE10hipError_tPvRmT1_PNSt15iterator_traitsISZ_E10value_typeET2_T3_PNS10_IS15_E10value_typeET4_jRbjT5_S1B_jjP12ihipStream_tbEUljE_EEESW_SX_SY_S15_S19_S1B_T6_T7_T9_mT8_S1D_bDpT10_ENKUlT_T0_E_clISt17integral_constantIbLb0EES1P_IbLb1EEEEDaS1L_S1M_EUlS1L_E_NS1_11comp_targetILNS1_3genE8ELNS1_11target_archE1030ELNS1_3gpuE2ELNS1_3repE0EEENS1_30default_config_static_selectorELNS0_4arch9wavefront6targetE0EEEvSZ_
	.p2align	8
	.type	_ZN7rocprim17ROCPRIM_400000_NS6detail17trampoline_kernelINS0_13select_configILj256ELj13ELNS0_17block_load_methodE3ELS4_3ELS4_3ELNS0_20block_scan_algorithmE0ELj4294967295EEENS1_25partition_config_selectorILNS1_17partition_subalgoE3EjNS0_10empty_typeEbEEZZNS1_14partition_implILS8_3ELb0ES6_jNS0_17counting_iteratorIjlEEPS9_SE_NS0_5tupleIJPjSE_EEENSF_IJSE_SE_EEES9_SG_JZNS1_25segmented_radix_sort_implINS0_14default_configELb0EPK6__halfPSL_PKlPlN2at6native12_GLOBAL__N_18offset_tEEE10hipError_tPvRmT1_PNSt15iterator_traitsISZ_E10value_typeET2_T3_PNS10_IS15_E10value_typeET4_jRbjT5_S1B_jjP12ihipStream_tbEUljE_EEESW_SX_SY_S15_S19_S1B_T6_T7_T9_mT8_S1D_bDpT10_ENKUlT_T0_E_clISt17integral_constantIbLb0EES1P_IbLb1EEEEDaS1L_S1M_EUlS1L_E_NS1_11comp_targetILNS1_3genE8ELNS1_11target_archE1030ELNS1_3gpuE2ELNS1_3repE0EEENS1_30default_config_static_selectorELNS0_4arch9wavefront6targetE0EEEvSZ_,@function
_ZN7rocprim17ROCPRIM_400000_NS6detail17trampoline_kernelINS0_13select_configILj256ELj13ELNS0_17block_load_methodE3ELS4_3ELS4_3ELNS0_20block_scan_algorithmE0ELj4294967295EEENS1_25partition_config_selectorILNS1_17partition_subalgoE3EjNS0_10empty_typeEbEEZZNS1_14partition_implILS8_3ELb0ES6_jNS0_17counting_iteratorIjlEEPS9_SE_NS0_5tupleIJPjSE_EEENSF_IJSE_SE_EEES9_SG_JZNS1_25segmented_radix_sort_implINS0_14default_configELb0EPK6__halfPSL_PKlPlN2at6native12_GLOBAL__N_18offset_tEEE10hipError_tPvRmT1_PNSt15iterator_traitsISZ_E10value_typeET2_T3_PNS10_IS15_E10value_typeET4_jRbjT5_S1B_jjP12ihipStream_tbEUljE_EEESW_SX_SY_S15_S19_S1B_T6_T7_T9_mT8_S1D_bDpT10_ENKUlT_T0_E_clISt17integral_constantIbLb0EES1P_IbLb1EEEEDaS1L_S1M_EUlS1L_E_NS1_11comp_targetILNS1_3genE8ELNS1_11target_archE1030ELNS1_3gpuE2ELNS1_3repE0EEENS1_30default_config_static_selectorELNS0_4arch9wavefront6targetE0EEEvSZ_: ; @_ZN7rocprim17ROCPRIM_400000_NS6detail17trampoline_kernelINS0_13select_configILj256ELj13ELNS0_17block_load_methodE3ELS4_3ELS4_3ELNS0_20block_scan_algorithmE0ELj4294967295EEENS1_25partition_config_selectorILNS1_17partition_subalgoE3EjNS0_10empty_typeEbEEZZNS1_14partition_implILS8_3ELb0ES6_jNS0_17counting_iteratorIjlEEPS9_SE_NS0_5tupleIJPjSE_EEENSF_IJSE_SE_EEES9_SG_JZNS1_25segmented_radix_sort_implINS0_14default_configELb0EPK6__halfPSL_PKlPlN2at6native12_GLOBAL__N_18offset_tEEE10hipError_tPvRmT1_PNSt15iterator_traitsISZ_E10value_typeET2_T3_PNS10_IS15_E10value_typeET4_jRbjT5_S1B_jjP12ihipStream_tbEUljE_EEESW_SX_SY_S15_S19_S1B_T6_T7_T9_mT8_S1D_bDpT10_ENKUlT_T0_E_clISt17integral_constantIbLb0EES1P_IbLb1EEEEDaS1L_S1M_EUlS1L_E_NS1_11comp_targetILNS1_3genE8ELNS1_11target_archE1030ELNS1_3gpuE2ELNS1_3repE0EEENS1_30default_config_static_selectorELNS0_4arch9wavefront6targetE0EEEvSZ_
; %bb.0:
	.section	.rodata,"a",@progbits
	.p2align	6, 0x0
	.amdhsa_kernel _ZN7rocprim17ROCPRIM_400000_NS6detail17trampoline_kernelINS0_13select_configILj256ELj13ELNS0_17block_load_methodE3ELS4_3ELS4_3ELNS0_20block_scan_algorithmE0ELj4294967295EEENS1_25partition_config_selectorILNS1_17partition_subalgoE3EjNS0_10empty_typeEbEEZZNS1_14partition_implILS8_3ELb0ES6_jNS0_17counting_iteratorIjlEEPS9_SE_NS0_5tupleIJPjSE_EEENSF_IJSE_SE_EEES9_SG_JZNS1_25segmented_radix_sort_implINS0_14default_configELb0EPK6__halfPSL_PKlPlN2at6native12_GLOBAL__N_18offset_tEEE10hipError_tPvRmT1_PNSt15iterator_traitsISZ_E10value_typeET2_T3_PNS10_IS15_E10value_typeET4_jRbjT5_S1B_jjP12ihipStream_tbEUljE_EEESW_SX_SY_S15_S19_S1B_T6_T7_T9_mT8_S1D_bDpT10_ENKUlT_T0_E_clISt17integral_constantIbLb0EES1P_IbLb1EEEEDaS1L_S1M_EUlS1L_E_NS1_11comp_targetILNS1_3genE8ELNS1_11target_archE1030ELNS1_3gpuE2ELNS1_3repE0EEENS1_30default_config_static_selectorELNS0_4arch9wavefront6targetE0EEEvSZ_
		.amdhsa_group_segment_fixed_size 0
		.amdhsa_private_segment_fixed_size 0
		.amdhsa_kernarg_size 152
		.amdhsa_user_sgpr_count 2
		.amdhsa_user_sgpr_dispatch_ptr 0
		.amdhsa_user_sgpr_queue_ptr 0
		.amdhsa_user_sgpr_kernarg_segment_ptr 1
		.amdhsa_user_sgpr_dispatch_id 0
		.amdhsa_user_sgpr_private_segment_size 0
		.amdhsa_wavefront_size32 1
		.amdhsa_uses_dynamic_stack 0
		.amdhsa_enable_private_segment 0
		.amdhsa_system_sgpr_workgroup_id_x 1
		.amdhsa_system_sgpr_workgroup_id_y 0
		.amdhsa_system_sgpr_workgroup_id_z 0
		.amdhsa_system_sgpr_workgroup_info 0
		.amdhsa_system_vgpr_workitem_id 0
		.amdhsa_next_free_vgpr 1
		.amdhsa_next_free_sgpr 1
		.amdhsa_reserve_vcc 0
		.amdhsa_float_round_mode_32 0
		.amdhsa_float_round_mode_16_64 0
		.amdhsa_float_denorm_mode_32 3
		.amdhsa_float_denorm_mode_16_64 3
		.amdhsa_fp16_overflow 0
		.amdhsa_workgroup_processor_mode 1
		.amdhsa_memory_ordered 1
		.amdhsa_forward_progress 1
		.amdhsa_inst_pref_size 0
		.amdhsa_round_robin_scheduling 0
		.amdhsa_exception_fp_ieee_invalid_op 0
		.amdhsa_exception_fp_denorm_src 0
		.amdhsa_exception_fp_ieee_div_zero 0
		.amdhsa_exception_fp_ieee_overflow 0
		.amdhsa_exception_fp_ieee_underflow 0
		.amdhsa_exception_fp_ieee_inexact 0
		.amdhsa_exception_int_div_zero 0
	.end_amdhsa_kernel
	.section	.text._ZN7rocprim17ROCPRIM_400000_NS6detail17trampoline_kernelINS0_13select_configILj256ELj13ELNS0_17block_load_methodE3ELS4_3ELS4_3ELNS0_20block_scan_algorithmE0ELj4294967295EEENS1_25partition_config_selectorILNS1_17partition_subalgoE3EjNS0_10empty_typeEbEEZZNS1_14partition_implILS8_3ELb0ES6_jNS0_17counting_iteratorIjlEEPS9_SE_NS0_5tupleIJPjSE_EEENSF_IJSE_SE_EEES9_SG_JZNS1_25segmented_radix_sort_implINS0_14default_configELb0EPK6__halfPSL_PKlPlN2at6native12_GLOBAL__N_18offset_tEEE10hipError_tPvRmT1_PNSt15iterator_traitsISZ_E10value_typeET2_T3_PNS10_IS15_E10value_typeET4_jRbjT5_S1B_jjP12ihipStream_tbEUljE_EEESW_SX_SY_S15_S19_S1B_T6_T7_T9_mT8_S1D_bDpT10_ENKUlT_T0_E_clISt17integral_constantIbLb0EES1P_IbLb1EEEEDaS1L_S1M_EUlS1L_E_NS1_11comp_targetILNS1_3genE8ELNS1_11target_archE1030ELNS1_3gpuE2ELNS1_3repE0EEENS1_30default_config_static_selectorELNS0_4arch9wavefront6targetE0EEEvSZ_,"axG",@progbits,_ZN7rocprim17ROCPRIM_400000_NS6detail17trampoline_kernelINS0_13select_configILj256ELj13ELNS0_17block_load_methodE3ELS4_3ELS4_3ELNS0_20block_scan_algorithmE0ELj4294967295EEENS1_25partition_config_selectorILNS1_17partition_subalgoE3EjNS0_10empty_typeEbEEZZNS1_14partition_implILS8_3ELb0ES6_jNS0_17counting_iteratorIjlEEPS9_SE_NS0_5tupleIJPjSE_EEENSF_IJSE_SE_EEES9_SG_JZNS1_25segmented_radix_sort_implINS0_14default_configELb0EPK6__halfPSL_PKlPlN2at6native12_GLOBAL__N_18offset_tEEE10hipError_tPvRmT1_PNSt15iterator_traitsISZ_E10value_typeET2_T3_PNS10_IS15_E10value_typeET4_jRbjT5_S1B_jjP12ihipStream_tbEUljE_EEESW_SX_SY_S15_S19_S1B_T6_T7_T9_mT8_S1D_bDpT10_ENKUlT_T0_E_clISt17integral_constantIbLb0EES1P_IbLb1EEEEDaS1L_S1M_EUlS1L_E_NS1_11comp_targetILNS1_3genE8ELNS1_11target_archE1030ELNS1_3gpuE2ELNS1_3repE0EEENS1_30default_config_static_selectorELNS0_4arch9wavefront6targetE0EEEvSZ_,comdat
.Lfunc_end1841:
	.size	_ZN7rocprim17ROCPRIM_400000_NS6detail17trampoline_kernelINS0_13select_configILj256ELj13ELNS0_17block_load_methodE3ELS4_3ELS4_3ELNS0_20block_scan_algorithmE0ELj4294967295EEENS1_25partition_config_selectorILNS1_17partition_subalgoE3EjNS0_10empty_typeEbEEZZNS1_14partition_implILS8_3ELb0ES6_jNS0_17counting_iteratorIjlEEPS9_SE_NS0_5tupleIJPjSE_EEENSF_IJSE_SE_EEES9_SG_JZNS1_25segmented_radix_sort_implINS0_14default_configELb0EPK6__halfPSL_PKlPlN2at6native12_GLOBAL__N_18offset_tEEE10hipError_tPvRmT1_PNSt15iterator_traitsISZ_E10value_typeET2_T3_PNS10_IS15_E10value_typeET4_jRbjT5_S1B_jjP12ihipStream_tbEUljE_EEESW_SX_SY_S15_S19_S1B_T6_T7_T9_mT8_S1D_bDpT10_ENKUlT_T0_E_clISt17integral_constantIbLb0EES1P_IbLb1EEEEDaS1L_S1M_EUlS1L_E_NS1_11comp_targetILNS1_3genE8ELNS1_11target_archE1030ELNS1_3gpuE2ELNS1_3repE0EEENS1_30default_config_static_selectorELNS0_4arch9wavefront6targetE0EEEvSZ_, .Lfunc_end1841-_ZN7rocprim17ROCPRIM_400000_NS6detail17trampoline_kernelINS0_13select_configILj256ELj13ELNS0_17block_load_methodE3ELS4_3ELS4_3ELNS0_20block_scan_algorithmE0ELj4294967295EEENS1_25partition_config_selectorILNS1_17partition_subalgoE3EjNS0_10empty_typeEbEEZZNS1_14partition_implILS8_3ELb0ES6_jNS0_17counting_iteratorIjlEEPS9_SE_NS0_5tupleIJPjSE_EEENSF_IJSE_SE_EEES9_SG_JZNS1_25segmented_radix_sort_implINS0_14default_configELb0EPK6__halfPSL_PKlPlN2at6native12_GLOBAL__N_18offset_tEEE10hipError_tPvRmT1_PNSt15iterator_traitsISZ_E10value_typeET2_T3_PNS10_IS15_E10value_typeET4_jRbjT5_S1B_jjP12ihipStream_tbEUljE_EEESW_SX_SY_S15_S19_S1B_T6_T7_T9_mT8_S1D_bDpT10_ENKUlT_T0_E_clISt17integral_constantIbLb0EES1P_IbLb1EEEEDaS1L_S1M_EUlS1L_E_NS1_11comp_targetILNS1_3genE8ELNS1_11target_archE1030ELNS1_3gpuE2ELNS1_3repE0EEENS1_30default_config_static_selectorELNS0_4arch9wavefront6targetE0EEEvSZ_
                                        ; -- End function
	.set _ZN7rocprim17ROCPRIM_400000_NS6detail17trampoline_kernelINS0_13select_configILj256ELj13ELNS0_17block_load_methodE3ELS4_3ELS4_3ELNS0_20block_scan_algorithmE0ELj4294967295EEENS1_25partition_config_selectorILNS1_17partition_subalgoE3EjNS0_10empty_typeEbEEZZNS1_14partition_implILS8_3ELb0ES6_jNS0_17counting_iteratorIjlEEPS9_SE_NS0_5tupleIJPjSE_EEENSF_IJSE_SE_EEES9_SG_JZNS1_25segmented_radix_sort_implINS0_14default_configELb0EPK6__halfPSL_PKlPlN2at6native12_GLOBAL__N_18offset_tEEE10hipError_tPvRmT1_PNSt15iterator_traitsISZ_E10value_typeET2_T3_PNS10_IS15_E10value_typeET4_jRbjT5_S1B_jjP12ihipStream_tbEUljE_EEESW_SX_SY_S15_S19_S1B_T6_T7_T9_mT8_S1D_bDpT10_ENKUlT_T0_E_clISt17integral_constantIbLb0EES1P_IbLb1EEEEDaS1L_S1M_EUlS1L_E_NS1_11comp_targetILNS1_3genE8ELNS1_11target_archE1030ELNS1_3gpuE2ELNS1_3repE0EEENS1_30default_config_static_selectorELNS0_4arch9wavefront6targetE0EEEvSZ_.num_vgpr, 0
	.set _ZN7rocprim17ROCPRIM_400000_NS6detail17trampoline_kernelINS0_13select_configILj256ELj13ELNS0_17block_load_methodE3ELS4_3ELS4_3ELNS0_20block_scan_algorithmE0ELj4294967295EEENS1_25partition_config_selectorILNS1_17partition_subalgoE3EjNS0_10empty_typeEbEEZZNS1_14partition_implILS8_3ELb0ES6_jNS0_17counting_iteratorIjlEEPS9_SE_NS0_5tupleIJPjSE_EEENSF_IJSE_SE_EEES9_SG_JZNS1_25segmented_radix_sort_implINS0_14default_configELb0EPK6__halfPSL_PKlPlN2at6native12_GLOBAL__N_18offset_tEEE10hipError_tPvRmT1_PNSt15iterator_traitsISZ_E10value_typeET2_T3_PNS10_IS15_E10value_typeET4_jRbjT5_S1B_jjP12ihipStream_tbEUljE_EEESW_SX_SY_S15_S19_S1B_T6_T7_T9_mT8_S1D_bDpT10_ENKUlT_T0_E_clISt17integral_constantIbLb0EES1P_IbLb1EEEEDaS1L_S1M_EUlS1L_E_NS1_11comp_targetILNS1_3genE8ELNS1_11target_archE1030ELNS1_3gpuE2ELNS1_3repE0EEENS1_30default_config_static_selectorELNS0_4arch9wavefront6targetE0EEEvSZ_.num_agpr, 0
	.set _ZN7rocprim17ROCPRIM_400000_NS6detail17trampoline_kernelINS0_13select_configILj256ELj13ELNS0_17block_load_methodE3ELS4_3ELS4_3ELNS0_20block_scan_algorithmE0ELj4294967295EEENS1_25partition_config_selectorILNS1_17partition_subalgoE3EjNS0_10empty_typeEbEEZZNS1_14partition_implILS8_3ELb0ES6_jNS0_17counting_iteratorIjlEEPS9_SE_NS0_5tupleIJPjSE_EEENSF_IJSE_SE_EEES9_SG_JZNS1_25segmented_radix_sort_implINS0_14default_configELb0EPK6__halfPSL_PKlPlN2at6native12_GLOBAL__N_18offset_tEEE10hipError_tPvRmT1_PNSt15iterator_traitsISZ_E10value_typeET2_T3_PNS10_IS15_E10value_typeET4_jRbjT5_S1B_jjP12ihipStream_tbEUljE_EEESW_SX_SY_S15_S19_S1B_T6_T7_T9_mT8_S1D_bDpT10_ENKUlT_T0_E_clISt17integral_constantIbLb0EES1P_IbLb1EEEEDaS1L_S1M_EUlS1L_E_NS1_11comp_targetILNS1_3genE8ELNS1_11target_archE1030ELNS1_3gpuE2ELNS1_3repE0EEENS1_30default_config_static_selectorELNS0_4arch9wavefront6targetE0EEEvSZ_.numbered_sgpr, 0
	.set _ZN7rocprim17ROCPRIM_400000_NS6detail17trampoline_kernelINS0_13select_configILj256ELj13ELNS0_17block_load_methodE3ELS4_3ELS4_3ELNS0_20block_scan_algorithmE0ELj4294967295EEENS1_25partition_config_selectorILNS1_17partition_subalgoE3EjNS0_10empty_typeEbEEZZNS1_14partition_implILS8_3ELb0ES6_jNS0_17counting_iteratorIjlEEPS9_SE_NS0_5tupleIJPjSE_EEENSF_IJSE_SE_EEES9_SG_JZNS1_25segmented_radix_sort_implINS0_14default_configELb0EPK6__halfPSL_PKlPlN2at6native12_GLOBAL__N_18offset_tEEE10hipError_tPvRmT1_PNSt15iterator_traitsISZ_E10value_typeET2_T3_PNS10_IS15_E10value_typeET4_jRbjT5_S1B_jjP12ihipStream_tbEUljE_EEESW_SX_SY_S15_S19_S1B_T6_T7_T9_mT8_S1D_bDpT10_ENKUlT_T0_E_clISt17integral_constantIbLb0EES1P_IbLb1EEEEDaS1L_S1M_EUlS1L_E_NS1_11comp_targetILNS1_3genE8ELNS1_11target_archE1030ELNS1_3gpuE2ELNS1_3repE0EEENS1_30default_config_static_selectorELNS0_4arch9wavefront6targetE0EEEvSZ_.num_named_barrier, 0
	.set _ZN7rocprim17ROCPRIM_400000_NS6detail17trampoline_kernelINS0_13select_configILj256ELj13ELNS0_17block_load_methodE3ELS4_3ELS4_3ELNS0_20block_scan_algorithmE0ELj4294967295EEENS1_25partition_config_selectorILNS1_17partition_subalgoE3EjNS0_10empty_typeEbEEZZNS1_14partition_implILS8_3ELb0ES6_jNS0_17counting_iteratorIjlEEPS9_SE_NS0_5tupleIJPjSE_EEENSF_IJSE_SE_EEES9_SG_JZNS1_25segmented_radix_sort_implINS0_14default_configELb0EPK6__halfPSL_PKlPlN2at6native12_GLOBAL__N_18offset_tEEE10hipError_tPvRmT1_PNSt15iterator_traitsISZ_E10value_typeET2_T3_PNS10_IS15_E10value_typeET4_jRbjT5_S1B_jjP12ihipStream_tbEUljE_EEESW_SX_SY_S15_S19_S1B_T6_T7_T9_mT8_S1D_bDpT10_ENKUlT_T0_E_clISt17integral_constantIbLb0EES1P_IbLb1EEEEDaS1L_S1M_EUlS1L_E_NS1_11comp_targetILNS1_3genE8ELNS1_11target_archE1030ELNS1_3gpuE2ELNS1_3repE0EEENS1_30default_config_static_selectorELNS0_4arch9wavefront6targetE0EEEvSZ_.private_seg_size, 0
	.set _ZN7rocprim17ROCPRIM_400000_NS6detail17trampoline_kernelINS0_13select_configILj256ELj13ELNS0_17block_load_methodE3ELS4_3ELS4_3ELNS0_20block_scan_algorithmE0ELj4294967295EEENS1_25partition_config_selectorILNS1_17partition_subalgoE3EjNS0_10empty_typeEbEEZZNS1_14partition_implILS8_3ELb0ES6_jNS0_17counting_iteratorIjlEEPS9_SE_NS0_5tupleIJPjSE_EEENSF_IJSE_SE_EEES9_SG_JZNS1_25segmented_radix_sort_implINS0_14default_configELb0EPK6__halfPSL_PKlPlN2at6native12_GLOBAL__N_18offset_tEEE10hipError_tPvRmT1_PNSt15iterator_traitsISZ_E10value_typeET2_T3_PNS10_IS15_E10value_typeET4_jRbjT5_S1B_jjP12ihipStream_tbEUljE_EEESW_SX_SY_S15_S19_S1B_T6_T7_T9_mT8_S1D_bDpT10_ENKUlT_T0_E_clISt17integral_constantIbLb0EES1P_IbLb1EEEEDaS1L_S1M_EUlS1L_E_NS1_11comp_targetILNS1_3genE8ELNS1_11target_archE1030ELNS1_3gpuE2ELNS1_3repE0EEENS1_30default_config_static_selectorELNS0_4arch9wavefront6targetE0EEEvSZ_.uses_vcc, 0
	.set _ZN7rocprim17ROCPRIM_400000_NS6detail17trampoline_kernelINS0_13select_configILj256ELj13ELNS0_17block_load_methodE3ELS4_3ELS4_3ELNS0_20block_scan_algorithmE0ELj4294967295EEENS1_25partition_config_selectorILNS1_17partition_subalgoE3EjNS0_10empty_typeEbEEZZNS1_14partition_implILS8_3ELb0ES6_jNS0_17counting_iteratorIjlEEPS9_SE_NS0_5tupleIJPjSE_EEENSF_IJSE_SE_EEES9_SG_JZNS1_25segmented_radix_sort_implINS0_14default_configELb0EPK6__halfPSL_PKlPlN2at6native12_GLOBAL__N_18offset_tEEE10hipError_tPvRmT1_PNSt15iterator_traitsISZ_E10value_typeET2_T3_PNS10_IS15_E10value_typeET4_jRbjT5_S1B_jjP12ihipStream_tbEUljE_EEESW_SX_SY_S15_S19_S1B_T6_T7_T9_mT8_S1D_bDpT10_ENKUlT_T0_E_clISt17integral_constantIbLb0EES1P_IbLb1EEEEDaS1L_S1M_EUlS1L_E_NS1_11comp_targetILNS1_3genE8ELNS1_11target_archE1030ELNS1_3gpuE2ELNS1_3repE0EEENS1_30default_config_static_selectorELNS0_4arch9wavefront6targetE0EEEvSZ_.uses_flat_scratch, 0
	.set _ZN7rocprim17ROCPRIM_400000_NS6detail17trampoline_kernelINS0_13select_configILj256ELj13ELNS0_17block_load_methodE3ELS4_3ELS4_3ELNS0_20block_scan_algorithmE0ELj4294967295EEENS1_25partition_config_selectorILNS1_17partition_subalgoE3EjNS0_10empty_typeEbEEZZNS1_14partition_implILS8_3ELb0ES6_jNS0_17counting_iteratorIjlEEPS9_SE_NS0_5tupleIJPjSE_EEENSF_IJSE_SE_EEES9_SG_JZNS1_25segmented_radix_sort_implINS0_14default_configELb0EPK6__halfPSL_PKlPlN2at6native12_GLOBAL__N_18offset_tEEE10hipError_tPvRmT1_PNSt15iterator_traitsISZ_E10value_typeET2_T3_PNS10_IS15_E10value_typeET4_jRbjT5_S1B_jjP12ihipStream_tbEUljE_EEESW_SX_SY_S15_S19_S1B_T6_T7_T9_mT8_S1D_bDpT10_ENKUlT_T0_E_clISt17integral_constantIbLb0EES1P_IbLb1EEEEDaS1L_S1M_EUlS1L_E_NS1_11comp_targetILNS1_3genE8ELNS1_11target_archE1030ELNS1_3gpuE2ELNS1_3repE0EEENS1_30default_config_static_selectorELNS0_4arch9wavefront6targetE0EEEvSZ_.has_dyn_sized_stack, 0
	.set _ZN7rocprim17ROCPRIM_400000_NS6detail17trampoline_kernelINS0_13select_configILj256ELj13ELNS0_17block_load_methodE3ELS4_3ELS4_3ELNS0_20block_scan_algorithmE0ELj4294967295EEENS1_25partition_config_selectorILNS1_17partition_subalgoE3EjNS0_10empty_typeEbEEZZNS1_14partition_implILS8_3ELb0ES6_jNS0_17counting_iteratorIjlEEPS9_SE_NS0_5tupleIJPjSE_EEENSF_IJSE_SE_EEES9_SG_JZNS1_25segmented_radix_sort_implINS0_14default_configELb0EPK6__halfPSL_PKlPlN2at6native12_GLOBAL__N_18offset_tEEE10hipError_tPvRmT1_PNSt15iterator_traitsISZ_E10value_typeET2_T3_PNS10_IS15_E10value_typeET4_jRbjT5_S1B_jjP12ihipStream_tbEUljE_EEESW_SX_SY_S15_S19_S1B_T6_T7_T9_mT8_S1D_bDpT10_ENKUlT_T0_E_clISt17integral_constantIbLb0EES1P_IbLb1EEEEDaS1L_S1M_EUlS1L_E_NS1_11comp_targetILNS1_3genE8ELNS1_11target_archE1030ELNS1_3gpuE2ELNS1_3repE0EEENS1_30default_config_static_selectorELNS0_4arch9wavefront6targetE0EEEvSZ_.has_recursion, 0
	.set _ZN7rocprim17ROCPRIM_400000_NS6detail17trampoline_kernelINS0_13select_configILj256ELj13ELNS0_17block_load_methodE3ELS4_3ELS4_3ELNS0_20block_scan_algorithmE0ELj4294967295EEENS1_25partition_config_selectorILNS1_17partition_subalgoE3EjNS0_10empty_typeEbEEZZNS1_14partition_implILS8_3ELb0ES6_jNS0_17counting_iteratorIjlEEPS9_SE_NS0_5tupleIJPjSE_EEENSF_IJSE_SE_EEES9_SG_JZNS1_25segmented_radix_sort_implINS0_14default_configELb0EPK6__halfPSL_PKlPlN2at6native12_GLOBAL__N_18offset_tEEE10hipError_tPvRmT1_PNSt15iterator_traitsISZ_E10value_typeET2_T3_PNS10_IS15_E10value_typeET4_jRbjT5_S1B_jjP12ihipStream_tbEUljE_EEESW_SX_SY_S15_S19_S1B_T6_T7_T9_mT8_S1D_bDpT10_ENKUlT_T0_E_clISt17integral_constantIbLb0EES1P_IbLb1EEEEDaS1L_S1M_EUlS1L_E_NS1_11comp_targetILNS1_3genE8ELNS1_11target_archE1030ELNS1_3gpuE2ELNS1_3repE0EEENS1_30default_config_static_selectorELNS0_4arch9wavefront6targetE0EEEvSZ_.has_indirect_call, 0
	.section	.AMDGPU.csdata,"",@progbits
; Kernel info:
; codeLenInByte = 0
; TotalNumSgprs: 0
; NumVgprs: 0
; ScratchSize: 0
; MemoryBound: 0
; FloatMode: 240
; IeeeMode: 1
; LDSByteSize: 0 bytes/workgroup (compile time only)
; SGPRBlocks: 0
; VGPRBlocks: 0
; NumSGPRsForWavesPerEU: 1
; NumVGPRsForWavesPerEU: 1
; Occupancy: 16
; WaveLimiterHint : 0
; COMPUTE_PGM_RSRC2:SCRATCH_EN: 0
; COMPUTE_PGM_RSRC2:USER_SGPR: 2
; COMPUTE_PGM_RSRC2:TRAP_HANDLER: 0
; COMPUTE_PGM_RSRC2:TGID_X_EN: 1
; COMPUTE_PGM_RSRC2:TGID_Y_EN: 0
; COMPUTE_PGM_RSRC2:TGID_Z_EN: 0
; COMPUTE_PGM_RSRC2:TIDIG_COMP_CNT: 0
	.section	.text._ZN7rocprim17ROCPRIM_400000_NS6detail17trampoline_kernelINS0_14default_configENS1_36segmented_radix_sort_config_selectorI6__halflEEZNS1_25segmented_radix_sort_implIS3_Lb0EPKS5_PS5_PKlPlN2at6native12_GLOBAL__N_18offset_tEEE10hipError_tPvRmT1_PNSt15iterator_traitsISL_E10value_typeET2_T3_PNSM_ISR_E10value_typeET4_jRbjT5_SX_jjP12ihipStream_tbEUlT_E_NS1_11comp_targetILNS1_3genE0ELNS1_11target_archE4294967295ELNS1_3gpuE0ELNS1_3repE0EEENS1_30default_config_static_selectorELNS0_4arch9wavefront6targetE0EEEvSL_,"axG",@progbits,_ZN7rocprim17ROCPRIM_400000_NS6detail17trampoline_kernelINS0_14default_configENS1_36segmented_radix_sort_config_selectorI6__halflEEZNS1_25segmented_radix_sort_implIS3_Lb0EPKS5_PS5_PKlPlN2at6native12_GLOBAL__N_18offset_tEEE10hipError_tPvRmT1_PNSt15iterator_traitsISL_E10value_typeET2_T3_PNSM_ISR_E10value_typeET4_jRbjT5_SX_jjP12ihipStream_tbEUlT_E_NS1_11comp_targetILNS1_3genE0ELNS1_11target_archE4294967295ELNS1_3gpuE0ELNS1_3repE0EEENS1_30default_config_static_selectorELNS0_4arch9wavefront6targetE0EEEvSL_,comdat
	.globl	_ZN7rocprim17ROCPRIM_400000_NS6detail17trampoline_kernelINS0_14default_configENS1_36segmented_radix_sort_config_selectorI6__halflEEZNS1_25segmented_radix_sort_implIS3_Lb0EPKS5_PS5_PKlPlN2at6native12_GLOBAL__N_18offset_tEEE10hipError_tPvRmT1_PNSt15iterator_traitsISL_E10value_typeET2_T3_PNSM_ISR_E10value_typeET4_jRbjT5_SX_jjP12ihipStream_tbEUlT_E_NS1_11comp_targetILNS1_3genE0ELNS1_11target_archE4294967295ELNS1_3gpuE0ELNS1_3repE0EEENS1_30default_config_static_selectorELNS0_4arch9wavefront6targetE0EEEvSL_ ; -- Begin function _ZN7rocprim17ROCPRIM_400000_NS6detail17trampoline_kernelINS0_14default_configENS1_36segmented_radix_sort_config_selectorI6__halflEEZNS1_25segmented_radix_sort_implIS3_Lb0EPKS5_PS5_PKlPlN2at6native12_GLOBAL__N_18offset_tEEE10hipError_tPvRmT1_PNSt15iterator_traitsISL_E10value_typeET2_T3_PNSM_ISR_E10value_typeET4_jRbjT5_SX_jjP12ihipStream_tbEUlT_E_NS1_11comp_targetILNS1_3genE0ELNS1_11target_archE4294967295ELNS1_3gpuE0ELNS1_3repE0EEENS1_30default_config_static_selectorELNS0_4arch9wavefront6targetE0EEEvSL_
	.p2align	8
	.type	_ZN7rocprim17ROCPRIM_400000_NS6detail17trampoline_kernelINS0_14default_configENS1_36segmented_radix_sort_config_selectorI6__halflEEZNS1_25segmented_radix_sort_implIS3_Lb0EPKS5_PS5_PKlPlN2at6native12_GLOBAL__N_18offset_tEEE10hipError_tPvRmT1_PNSt15iterator_traitsISL_E10value_typeET2_T3_PNSM_ISR_E10value_typeET4_jRbjT5_SX_jjP12ihipStream_tbEUlT_E_NS1_11comp_targetILNS1_3genE0ELNS1_11target_archE4294967295ELNS1_3gpuE0ELNS1_3repE0EEENS1_30default_config_static_selectorELNS0_4arch9wavefront6targetE0EEEvSL_,@function
_ZN7rocprim17ROCPRIM_400000_NS6detail17trampoline_kernelINS0_14default_configENS1_36segmented_radix_sort_config_selectorI6__halflEEZNS1_25segmented_radix_sort_implIS3_Lb0EPKS5_PS5_PKlPlN2at6native12_GLOBAL__N_18offset_tEEE10hipError_tPvRmT1_PNSt15iterator_traitsISL_E10value_typeET2_T3_PNSM_ISR_E10value_typeET4_jRbjT5_SX_jjP12ihipStream_tbEUlT_E_NS1_11comp_targetILNS1_3genE0ELNS1_11target_archE4294967295ELNS1_3gpuE0ELNS1_3repE0EEENS1_30default_config_static_selectorELNS0_4arch9wavefront6targetE0EEEvSL_: ; @_ZN7rocprim17ROCPRIM_400000_NS6detail17trampoline_kernelINS0_14default_configENS1_36segmented_radix_sort_config_selectorI6__halflEEZNS1_25segmented_radix_sort_implIS3_Lb0EPKS5_PS5_PKlPlN2at6native12_GLOBAL__N_18offset_tEEE10hipError_tPvRmT1_PNSt15iterator_traitsISL_E10value_typeET2_T3_PNSM_ISR_E10value_typeET4_jRbjT5_SX_jjP12ihipStream_tbEUlT_E_NS1_11comp_targetILNS1_3genE0ELNS1_11target_archE4294967295ELNS1_3gpuE0ELNS1_3repE0EEENS1_30default_config_static_selectorELNS0_4arch9wavefront6targetE0EEEvSL_
; %bb.0:
	.section	.rodata,"a",@progbits
	.p2align	6, 0x0
	.amdhsa_kernel _ZN7rocprim17ROCPRIM_400000_NS6detail17trampoline_kernelINS0_14default_configENS1_36segmented_radix_sort_config_selectorI6__halflEEZNS1_25segmented_radix_sort_implIS3_Lb0EPKS5_PS5_PKlPlN2at6native12_GLOBAL__N_18offset_tEEE10hipError_tPvRmT1_PNSt15iterator_traitsISL_E10value_typeET2_T3_PNSM_ISR_E10value_typeET4_jRbjT5_SX_jjP12ihipStream_tbEUlT_E_NS1_11comp_targetILNS1_3genE0ELNS1_11target_archE4294967295ELNS1_3gpuE0ELNS1_3repE0EEENS1_30default_config_static_selectorELNS0_4arch9wavefront6targetE0EEEvSL_
		.amdhsa_group_segment_fixed_size 0
		.amdhsa_private_segment_fixed_size 0
		.amdhsa_kernarg_size 96
		.amdhsa_user_sgpr_count 2
		.amdhsa_user_sgpr_dispatch_ptr 0
		.amdhsa_user_sgpr_queue_ptr 0
		.amdhsa_user_sgpr_kernarg_segment_ptr 1
		.amdhsa_user_sgpr_dispatch_id 0
		.amdhsa_user_sgpr_private_segment_size 0
		.amdhsa_wavefront_size32 1
		.amdhsa_uses_dynamic_stack 0
		.amdhsa_enable_private_segment 0
		.amdhsa_system_sgpr_workgroup_id_x 1
		.amdhsa_system_sgpr_workgroup_id_y 0
		.amdhsa_system_sgpr_workgroup_id_z 0
		.amdhsa_system_sgpr_workgroup_info 0
		.amdhsa_system_vgpr_workitem_id 0
		.amdhsa_next_free_vgpr 1
		.amdhsa_next_free_sgpr 1
		.amdhsa_reserve_vcc 0
		.amdhsa_float_round_mode_32 0
		.amdhsa_float_round_mode_16_64 0
		.amdhsa_float_denorm_mode_32 3
		.amdhsa_float_denorm_mode_16_64 3
		.amdhsa_fp16_overflow 0
		.amdhsa_workgroup_processor_mode 1
		.amdhsa_memory_ordered 1
		.amdhsa_forward_progress 1
		.amdhsa_inst_pref_size 0
		.amdhsa_round_robin_scheduling 0
		.amdhsa_exception_fp_ieee_invalid_op 0
		.amdhsa_exception_fp_denorm_src 0
		.amdhsa_exception_fp_ieee_div_zero 0
		.amdhsa_exception_fp_ieee_overflow 0
		.amdhsa_exception_fp_ieee_underflow 0
		.amdhsa_exception_fp_ieee_inexact 0
		.amdhsa_exception_int_div_zero 0
	.end_amdhsa_kernel
	.section	.text._ZN7rocprim17ROCPRIM_400000_NS6detail17trampoline_kernelINS0_14default_configENS1_36segmented_radix_sort_config_selectorI6__halflEEZNS1_25segmented_radix_sort_implIS3_Lb0EPKS5_PS5_PKlPlN2at6native12_GLOBAL__N_18offset_tEEE10hipError_tPvRmT1_PNSt15iterator_traitsISL_E10value_typeET2_T3_PNSM_ISR_E10value_typeET4_jRbjT5_SX_jjP12ihipStream_tbEUlT_E_NS1_11comp_targetILNS1_3genE0ELNS1_11target_archE4294967295ELNS1_3gpuE0ELNS1_3repE0EEENS1_30default_config_static_selectorELNS0_4arch9wavefront6targetE0EEEvSL_,"axG",@progbits,_ZN7rocprim17ROCPRIM_400000_NS6detail17trampoline_kernelINS0_14default_configENS1_36segmented_radix_sort_config_selectorI6__halflEEZNS1_25segmented_radix_sort_implIS3_Lb0EPKS5_PS5_PKlPlN2at6native12_GLOBAL__N_18offset_tEEE10hipError_tPvRmT1_PNSt15iterator_traitsISL_E10value_typeET2_T3_PNSM_ISR_E10value_typeET4_jRbjT5_SX_jjP12ihipStream_tbEUlT_E_NS1_11comp_targetILNS1_3genE0ELNS1_11target_archE4294967295ELNS1_3gpuE0ELNS1_3repE0EEENS1_30default_config_static_selectorELNS0_4arch9wavefront6targetE0EEEvSL_,comdat
.Lfunc_end1842:
	.size	_ZN7rocprim17ROCPRIM_400000_NS6detail17trampoline_kernelINS0_14default_configENS1_36segmented_radix_sort_config_selectorI6__halflEEZNS1_25segmented_radix_sort_implIS3_Lb0EPKS5_PS5_PKlPlN2at6native12_GLOBAL__N_18offset_tEEE10hipError_tPvRmT1_PNSt15iterator_traitsISL_E10value_typeET2_T3_PNSM_ISR_E10value_typeET4_jRbjT5_SX_jjP12ihipStream_tbEUlT_E_NS1_11comp_targetILNS1_3genE0ELNS1_11target_archE4294967295ELNS1_3gpuE0ELNS1_3repE0EEENS1_30default_config_static_selectorELNS0_4arch9wavefront6targetE0EEEvSL_, .Lfunc_end1842-_ZN7rocprim17ROCPRIM_400000_NS6detail17trampoline_kernelINS0_14default_configENS1_36segmented_radix_sort_config_selectorI6__halflEEZNS1_25segmented_radix_sort_implIS3_Lb0EPKS5_PS5_PKlPlN2at6native12_GLOBAL__N_18offset_tEEE10hipError_tPvRmT1_PNSt15iterator_traitsISL_E10value_typeET2_T3_PNSM_ISR_E10value_typeET4_jRbjT5_SX_jjP12ihipStream_tbEUlT_E_NS1_11comp_targetILNS1_3genE0ELNS1_11target_archE4294967295ELNS1_3gpuE0ELNS1_3repE0EEENS1_30default_config_static_selectorELNS0_4arch9wavefront6targetE0EEEvSL_
                                        ; -- End function
	.set _ZN7rocprim17ROCPRIM_400000_NS6detail17trampoline_kernelINS0_14default_configENS1_36segmented_radix_sort_config_selectorI6__halflEEZNS1_25segmented_radix_sort_implIS3_Lb0EPKS5_PS5_PKlPlN2at6native12_GLOBAL__N_18offset_tEEE10hipError_tPvRmT1_PNSt15iterator_traitsISL_E10value_typeET2_T3_PNSM_ISR_E10value_typeET4_jRbjT5_SX_jjP12ihipStream_tbEUlT_E_NS1_11comp_targetILNS1_3genE0ELNS1_11target_archE4294967295ELNS1_3gpuE0ELNS1_3repE0EEENS1_30default_config_static_selectorELNS0_4arch9wavefront6targetE0EEEvSL_.num_vgpr, 0
	.set _ZN7rocprim17ROCPRIM_400000_NS6detail17trampoline_kernelINS0_14default_configENS1_36segmented_radix_sort_config_selectorI6__halflEEZNS1_25segmented_radix_sort_implIS3_Lb0EPKS5_PS5_PKlPlN2at6native12_GLOBAL__N_18offset_tEEE10hipError_tPvRmT1_PNSt15iterator_traitsISL_E10value_typeET2_T3_PNSM_ISR_E10value_typeET4_jRbjT5_SX_jjP12ihipStream_tbEUlT_E_NS1_11comp_targetILNS1_3genE0ELNS1_11target_archE4294967295ELNS1_3gpuE0ELNS1_3repE0EEENS1_30default_config_static_selectorELNS0_4arch9wavefront6targetE0EEEvSL_.num_agpr, 0
	.set _ZN7rocprim17ROCPRIM_400000_NS6detail17trampoline_kernelINS0_14default_configENS1_36segmented_radix_sort_config_selectorI6__halflEEZNS1_25segmented_radix_sort_implIS3_Lb0EPKS5_PS5_PKlPlN2at6native12_GLOBAL__N_18offset_tEEE10hipError_tPvRmT1_PNSt15iterator_traitsISL_E10value_typeET2_T3_PNSM_ISR_E10value_typeET4_jRbjT5_SX_jjP12ihipStream_tbEUlT_E_NS1_11comp_targetILNS1_3genE0ELNS1_11target_archE4294967295ELNS1_3gpuE0ELNS1_3repE0EEENS1_30default_config_static_selectorELNS0_4arch9wavefront6targetE0EEEvSL_.numbered_sgpr, 0
	.set _ZN7rocprim17ROCPRIM_400000_NS6detail17trampoline_kernelINS0_14default_configENS1_36segmented_radix_sort_config_selectorI6__halflEEZNS1_25segmented_radix_sort_implIS3_Lb0EPKS5_PS5_PKlPlN2at6native12_GLOBAL__N_18offset_tEEE10hipError_tPvRmT1_PNSt15iterator_traitsISL_E10value_typeET2_T3_PNSM_ISR_E10value_typeET4_jRbjT5_SX_jjP12ihipStream_tbEUlT_E_NS1_11comp_targetILNS1_3genE0ELNS1_11target_archE4294967295ELNS1_3gpuE0ELNS1_3repE0EEENS1_30default_config_static_selectorELNS0_4arch9wavefront6targetE0EEEvSL_.num_named_barrier, 0
	.set _ZN7rocprim17ROCPRIM_400000_NS6detail17trampoline_kernelINS0_14default_configENS1_36segmented_radix_sort_config_selectorI6__halflEEZNS1_25segmented_radix_sort_implIS3_Lb0EPKS5_PS5_PKlPlN2at6native12_GLOBAL__N_18offset_tEEE10hipError_tPvRmT1_PNSt15iterator_traitsISL_E10value_typeET2_T3_PNSM_ISR_E10value_typeET4_jRbjT5_SX_jjP12ihipStream_tbEUlT_E_NS1_11comp_targetILNS1_3genE0ELNS1_11target_archE4294967295ELNS1_3gpuE0ELNS1_3repE0EEENS1_30default_config_static_selectorELNS0_4arch9wavefront6targetE0EEEvSL_.private_seg_size, 0
	.set _ZN7rocprim17ROCPRIM_400000_NS6detail17trampoline_kernelINS0_14default_configENS1_36segmented_radix_sort_config_selectorI6__halflEEZNS1_25segmented_radix_sort_implIS3_Lb0EPKS5_PS5_PKlPlN2at6native12_GLOBAL__N_18offset_tEEE10hipError_tPvRmT1_PNSt15iterator_traitsISL_E10value_typeET2_T3_PNSM_ISR_E10value_typeET4_jRbjT5_SX_jjP12ihipStream_tbEUlT_E_NS1_11comp_targetILNS1_3genE0ELNS1_11target_archE4294967295ELNS1_3gpuE0ELNS1_3repE0EEENS1_30default_config_static_selectorELNS0_4arch9wavefront6targetE0EEEvSL_.uses_vcc, 0
	.set _ZN7rocprim17ROCPRIM_400000_NS6detail17trampoline_kernelINS0_14default_configENS1_36segmented_radix_sort_config_selectorI6__halflEEZNS1_25segmented_radix_sort_implIS3_Lb0EPKS5_PS5_PKlPlN2at6native12_GLOBAL__N_18offset_tEEE10hipError_tPvRmT1_PNSt15iterator_traitsISL_E10value_typeET2_T3_PNSM_ISR_E10value_typeET4_jRbjT5_SX_jjP12ihipStream_tbEUlT_E_NS1_11comp_targetILNS1_3genE0ELNS1_11target_archE4294967295ELNS1_3gpuE0ELNS1_3repE0EEENS1_30default_config_static_selectorELNS0_4arch9wavefront6targetE0EEEvSL_.uses_flat_scratch, 0
	.set _ZN7rocprim17ROCPRIM_400000_NS6detail17trampoline_kernelINS0_14default_configENS1_36segmented_radix_sort_config_selectorI6__halflEEZNS1_25segmented_radix_sort_implIS3_Lb0EPKS5_PS5_PKlPlN2at6native12_GLOBAL__N_18offset_tEEE10hipError_tPvRmT1_PNSt15iterator_traitsISL_E10value_typeET2_T3_PNSM_ISR_E10value_typeET4_jRbjT5_SX_jjP12ihipStream_tbEUlT_E_NS1_11comp_targetILNS1_3genE0ELNS1_11target_archE4294967295ELNS1_3gpuE0ELNS1_3repE0EEENS1_30default_config_static_selectorELNS0_4arch9wavefront6targetE0EEEvSL_.has_dyn_sized_stack, 0
	.set _ZN7rocprim17ROCPRIM_400000_NS6detail17trampoline_kernelINS0_14default_configENS1_36segmented_radix_sort_config_selectorI6__halflEEZNS1_25segmented_radix_sort_implIS3_Lb0EPKS5_PS5_PKlPlN2at6native12_GLOBAL__N_18offset_tEEE10hipError_tPvRmT1_PNSt15iterator_traitsISL_E10value_typeET2_T3_PNSM_ISR_E10value_typeET4_jRbjT5_SX_jjP12ihipStream_tbEUlT_E_NS1_11comp_targetILNS1_3genE0ELNS1_11target_archE4294967295ELNS1_3gpuE0ELNS1_3repE0EEENS1_30default_config_static_selectorELNS0_4arch9wavefront6targetE0EEEvSL_.has_recursion, 0
	.set _ZN7rocprim17ROCPRIM_400000_NS6detail17trampoline_kernelINS0_14default_configENS1_36segmented_radix_sort_config_selectorI6__halflEEZNS1_25segmented_radix_sort_implIS3_Lb0EPKS5_PS5_PKlPlN2at6native12_GLOBAL__N_18offset_tEEE10hipError_tPvRmT1_PNSt15iterator_traitsISL_E10value_typeET2_T3_PNSM_ISR_E10value_typeET4_jRbjT5_SX_jjP12ihipStream_tbEUlT_E_NS1_11comp_targetILNS1_3genE0ELNS1_11target_archE4294967295ELNS1_3gpuE0ELNS1_3repE0EEENS1_30default_config_static_selectorELNS0_4arch9wavefront6targetE0EEEvSL_.has_indirect_call, 0
	.section	.AMDGPU.csdata,"",@progbits
; Kernel info:
; codeLenInByte = 0
; TotalNumSgprs: 0
; NumVgprs: 0
; ScratchSize: 0
; MemoryBound: 0
; FloatMode: 240
; IeeeMode: 1
; LDSByteSize: 0 bytes/workgroup (compile time only)
; SGPRBlocks: 0
; VGPRBlocks: 0
; NumSGPRsForWavesPerEU: 1
; NumVGPRsForWavesPerEU: 1
; Occupancy: 16
; WaveLimiterHint : 0
; COMPUTE_PGM_RSRC2:SCRATCH_EN: 0
; COMPUTE_PGM_RSRC2:USER_SGPR: 2
; COMPUTE_PGM_RSRC2:TRAP_HANDLER: 0
; COMPUTE_PGM_RSRC2:TGID_X_EN: 1
; COMPUTE_PGM_RSRC2:TGID_Y_EN: 0
; COMPUTE_PGM_RSRC2:TGID_Z_EN: 0
; COMPUTE_PGM_RSRC2:TIDIG_COMP_CNT: 0
	.section	.text._ZN7rocprim17ROCPRIM_400000_NS6detail17trampoline_kernelINS0_14default_configENS1_36segmented_radix_sort_config_selectorI6__halflEEZNS1_25segmented_radix_sort_implIS3_Lb0EPKS5_PS5_PKlPlN2at6native12_GLOBAL__N_18offset_tEEE10hipError_tPvRmT1_PNSt15iterator_traitsISL_E10value_typeET2_T3_PNSM_ISR_E10value_typeET4_jRbjT5_SX_jjP12ihipStream_tbEUlT_E_NS1_11comp_targetILNS1_3genE5ELNS1_11target_archE942ELNS1_3gpuE9ELNS1_3repE0EEENS1_30default_config_static_selectorELNS0_4arch9wavefront6targetE0EEEvSL_,"axG",@progbits,_ZN7rocprim17ROCPRIM_400000_NS6detail17trampoline_kernelINS0_14default_configENS1_36segmented_radix_sort_config_selectorI6__halflEEZNS1_25segmented_radix_sort_implIS3_Lb0EPKS5_PS5_PKlPlN2at6native12_GLOBAL__N_18offset_tEEE10hipError_tPvRmT1_PNSt15iterator_traitsISL_E10value_typeET2_T3_PNSM_ISR_E10value_typeET4_jRbjT5_SX_jjP12ihipStream_tbEUlT_E_NS1_11comp_targetILNS1_3genE5ELNS1_11target_archE942ELNS1_3gpuE9ELNS1_3repE0EEENS1_30default_config_static_selectorELNS0_4arch9wavefront6targetE0EEEvSL_,comdat
	.globl	_ZN7rocprim17ROCPRIM_400000_NS6detail17trampoline_kernelINS0_14default_configENS1_36segmented_radix_sort_config_selectorI6__halflEEZNS1_25segmented_radix_sort_implIS3_Lb0EPKS5_PS5_PKlPlN2at6native12_GLOBAL__N_18offset_tEEE10hipError_tPvRmT1_PNSt15iterator_traitsISL_E10value_typeET2_T3_PNSM_ISR_E10value_typeET4_jRbjT5_SX_jjP12ihipStream_tbEUlT_E_NS1_11comp_targetILNS1_3genE5ELNS1_11target_archE942ELNS1_3gpuE9ELNS1_3repE0EEENS1_30default_config_static_selectorELNS0_4arch9wavefront6targetE0EEEvSL_ ; -- Begin function _ZN7rocprim17ROCPRIM_400000_NS6detail17trampoline_kernelINS0_14default_configENS1_36segmented_radix_sort_config_selectorI6__halflEEZNS1_25segmented_radix_sort_implIS3_Lb0EPKS5_PS5_PKlPlN2at6native12_GLOBAL__N_18offset_tEEE10hipError_tPvRmT1_PNSt15iterator_traitsISL_E10value_typeET2_T3_PNSM_ISR_E10value_typeET4_jRbjT5_SX_jjP12ihipStream_tbEUlT_E_NS1_11comp_targetILNS1_3genE5ELNS1_11target_archE942ELNS1_3gpuE9ELNS1_3repE0EEENS1_30default_config_static_selectorELNS0_4arch9wavefront6targetE0EEEvSL_
	.p2align	8
	.type	_ZN7rocprim17ROCPRIM_400000_NS6detail17trampoline_kernelINS0_14default_configENS1_36segmented_radix_sort_config_selectorI6__halflEEZNS1_25segmented_radix_sort_implIS3_Lb0EPKS5_PS5_PKlPlN2at6native12_GLOBAL__N_18offset_tEEE10hipError_tPvRmT1_PNSt15iterator_traitsISL_E10value_typeET2_T3_PNSM_ISR_E10value_typeET4_jRbjT5_SX_jjP12ihipStream_tbEUlT_E_NS1_11comp_targetILNS1_3genE5ELNS1_11target_archE942ELNS1_3gpuE9ELNS1_3repE0EEENS1_30default_config_static_selectorELNS0_4arch9wavefront6targetE0EEEvSL_,@function
_ZN7rocprim17ROCPRIM_400000_NS6detail17trampoline_kernelINS0_14default_configENS1_36segmented_radix_sort_config_selectorI6__halflEEZNS1_25segmented_radix_sort_implIS3_Lb0EPKS5_PS5_PKlPlN2at6native12_GLOBAL__N_18offset_tEEE10hipError_tPvRmT1_PNSt15iterator_traitsISL_E10value_typeET2_T3_PNSM_ISR_E10value_typeET4_jRbjT5_SX_jjP12ihipStream_tbEUlT_E_NS1_11comp_targetILNS1_3genE5ELNS1_11target_archE942ELNS1_3gpuE9ELNS1_3repE0EEENS1_30default_config_static_selectorELNS0_4arch9wavefront6targetE0EEEvSL_: ; @_ZN7rocprim17ROCPRIM_400000_NS6detail17trampoline_kernelINS0_14default_configENS1_36segmented_radix_sort_config_selectorI6__halflEEZNS1_25segmented_radix_sort_implIS3_Lb0EPKS5_PS5_PKlPlN2at6native12_GLOBAL__N_18offset_tEEE10hipError_tPvRmT1_PNSt15iterator_traitsISL_E10value_typeET2_T3_PNSM_ISR_E10value_typeET4_jRbjT5_SX_jjP12ihipStream_tbEUlT_E_NS1_11comp_targetILNS1_3genE5ELNS1_11target_archE942ELNS1_3gpuE9ELNS1_3repE0EEENS1_30default_config_static_selectorELNS0_4arch9wavefront6targetE0EEEvSL_
; %bb.0:
	.section	.rodata,"a",@progbits
	.p2align	6, 0x0
	.amdhsa_kernel _ZN7rocprim17ROCPRIM_400000_NS6detail17trampoline_kernelINS0_14default_configENS1_36segmented_radix_sort_config_selectorI6__halflEEZNS1_25segmented_radix_sort_implIS3_Lb0EPKS5_PS5_PKlPlN2at6native12_GLOBAL__N_18offset_tEEE10hipError_tPvRmT1_PNSt15iterator_traitsISL_E10value_typeET2_T3_PNSM_ISR_E10value_typeET4_jRbjT5_SX_jjP12ihipStream_tbEUlT_E_NS1_11comp_targetILNS1_3genE5ELNS1_11target_archE942ELNS1_3gpuE9ELNS1_3repE0EEENS1_30default_config_static_selectorELNS0_4arch9wavefront6targetE0EEEvSL_
		.amdhsa_group_segment_fixed_size 0
		.amdhsa_private_segment_fixed_size 0
		.amdhsa_kernarg_size 96
		.amdhsa_user_sgpr_count 2
		.amdhsa_user_sgpr_dispatch_ptr 0
		.amdhsa_user_sgpr_queue_ptr 0
		.amdhsa_user_sgpr_kernarg_segment_ptr 1
		.amdhsa_user_sgpr_dispatch_id 0
		.amdhsa_user_sgpr_private_segment_size 0
		.amdhsa_wavefront_size32 1
		.amdhsa_uses_dynamic_stack 0
		.amdhsa_enable_private_segment 0
		.amdhsa_system_sgpr_workgroup_id_x 1
		.amdhsa_system_sgpr_workgroup_id_y 0
		.amdhsa_system_sgpr_workgroup_id_z 0
		.amdhsa_system_sgpr_workgroup_info 0
		.amdhsa_system_vgpr_workitem_id 0
		.amdhsa_next_free_vgpr 1
		.amdhsa_next_free_sgpr 1
		.amdhsa_reserve_vcc 0
		.amdhsa_float_round_mode_32 0
		.amdhsa_float_round_mode_16_64 0
		.amdhsa_float_denorm_mode_32 3
		.amdhsa_float_denorm_mode_16_64 3
		.amdhsa_fp16_overflow 0
		.amdhsa_workgroup_processor_mode 1
		.amdhsa_memory_ordered 1
		.amdhsa_forward_progress 1
		.amdhsa_inst_pref_size 0
		.amdhsa_round_robin_scheduling 0
		.amdhsa_exception_fp_ieee_invalid_op 0
		.amdhsa_exception_fp_denorm_src 0
		.amdhsa_exception_fp_ieee_div_zero 0
		.amdhsa_exception_fp_ieee_overflow 0
		.amdhsa_exception_fp_ieee_underflow 0
		.amdhsa_exception_fp_ieee_inexact 0
		.amdhsa_exception_int_div_zero 0
	.end_amdhsa_kernel
	.section	.text._ZN7rocprim17ROCPRIM_400000_NS6detail17trampoline_kernelINS0_14default_configENS1_36segmented_radix_sort_config_selectorI6__halflEEZNS1_25segmented_radix_sort_implIS3_Lb0EPKS5_PS5_PKlPlN2at6native12_GLOBAL__N_18offset_tEEE10hipError_tPvRmT1_PNSt15iterator_traitsISL_E10value_typeET2_T3_PNSM_ISR_E10value_typeET4_jRbjT5_SX_jjP12ihipStream_tbEUlT_E_NS1_11comp_targetILNS1_3genE5ELNS1_11target_archE942ELNS1_3gpuE9ELNS1_3repE0EEENS1_30default_config_static_selectorELNS0_4arch9wavefront6targetE0EEEvSL_,"axG",@progbits,_ZN7rocprim17ROCPRIM_400000_NS6detail17trampoline_kernelINS0_14default_configENS1_36segmented_radix_sort_config_selectorI6__halflEEZNS1_25segmented_radix_sort_implIS3_Lb0EPKS5_PS5_PKlPlN2at6native12_GLOBAL__N_18offset_tEEE10hipError_tPvRmT1_PNSt15iterator_traitsISL_E10value_typeET2_T3_PNSM_ISR_E10value_typeET4_jRbjT5_SX_jjP12ihipStream_tbEUlT_E_NS1_11comp_targetILNS1_3genE5ELNS1_11target_archE942ELNS1_3gpuE9ELNS1_3repE0EEENS1_30default_config_static_selectorELNS0_4arch9wavefront6targetE0EEEvSL_,comdat
.Lfunc_end1843:
	.size	_ZN7rocprim17ROCPRIM_400000_NS6detail17trampoline_kernelINS0_14default_configENS1_36segmented_radix_sort_config_selectorI6__halflEEZNS1_25segmented_radix_sort_implIS3_Lb0EPKS5_PS5_PKlPlN2at6native12_GLOBAL__N_18offset_tEEE10hipError_tPvRmT1_PNSt15iterator_traitsISL_E10value_typeET2_T3_PNSM_ISR_E10value_typeET4_jRbjT5_SX_jjP12ihipStream_tbEUlT_E_NS1_11comp_targetILNS1_3genE5ELNS1_11target_archE942ELNS1_3gpuE9ELNS1_3repE0EEENS1_30default_config_static_selectorELNS0_4arch9wavefront6targetE0EEEvSL_, .Lfunc_end1843-_ZN7rocprim17ROCPRIM_400000_NS6detail17trampoline_kernelINS0_14default_configENS1_36segmented_radix_sort_config_selectorI6__halflEEZNS1_25segmented_radix_sort_implIS3_Lb0EPKS5_PS5_PKlPlN2at6native12_GLOBAL__N_18offset_tEEE10hipError_tPvRmT1_PNSt15iterator_traitsISL_E10value_typeET2_T3_PNSM_ISR_E10value_typeET4_jRbjT5_SX_jjP12ihipStream_tbEUlT_E_NS1_11comp_targetILNS1_3genE5ELNS1_11target_archE942ELNS1_3gpuE9ELNS1_3repE0EEENS1_30default_config_static_selectorELNS0_4arch9wavefront6targetE0EEEvSL_
                                        ; -- End function
	.set _ZN7rocprim17ROCPRIM_400000_NS6detail17trampoline_kernelINS0_14default_configENS1_36segmented_radix_sort_config_selectorI6__halflEEZNS1_25segmented_radix_sort_implIS3_Lb0EPKS5_PS5_PKlPlN2at6native12_GLOBAL__N_18offset_tEEE10hipError_tPvRmT1_PNSt15iterator_traitsISL_E10value_typeET2_T3_PNSM_ISR_E10value_typeET4_jRbjT5_SX_jjP12ihipStream_tbEUlT_E_NS1_11comp_targetILNS1_3genE5ELNS1_11target_archE942ELNS1_3gpuE9ELNS1_3repE0EEENS1_30default_config_static_selectorELNS0_4arch9wavefront6targetE0EEEvSL_.num_vgpr, 0
	.set _ZN7rocprim17ROCPRIM_400000_NS6detail17trampoline_kernelINS0_14default_configENS1_36segmented_radix_sort_config_selectorI6__halflEEZNS1_25segmented_radix_sort_implIS3_Lb0EPKS5_PS5_PKlPlN2at6native12_GLOBAL__N_18offset_tEEE10hipError_tPvRmT1_PNSt15iterator_traitsISL_E10value_typeET2_T3_PNSM_ISR_E10value_typeET4_jRbjT5_SX_jjP12ihipStream_tbEUlT_E_NS1_11comp_targetILNS1_3genE5ELNS1_11target_archE942ELNS1_3gpuE9ELNS1_3repE0EEENS1_30default_config_static_selectorELNS0_4arch9wavefront6targetE0EEEvSL_.num_agpr, 0
	.set _ZN7rocprim17ROCPRIM_400000_NS6detail17trampoline_kernelINS0_14default_configENS1_36segmented_radix_sort_config_selectorI6__halflEEZNS1_25segmented_radix_sort_implIS3_Lb0EPKS5_PS5_PKlPlN2at6native12_GLOBAL__N_18offset_tEEE10hipError_tPvRmT1_PNSt15iterator_traitsISL_E10value_typeET2_T3_PNSM_ISR_E10value_typeET4_jRbjT5_SX_jjP12ihipStream_tbEUlT_E_NS1_11comp_targetILNS1_3genE5ELNS1_11target_archE942ELNS1_3gpuE9ELNS1_3repE0EEENS1_30default_config_static_selectorELNS0_4arch9wavefront6targetE0EEEvSL_.numbered_sgpr, 0
	.set _ZN7rocprim17ROCPRIM_400000_NS6detail17trampoline_kernelINS0_14default_configENS1_36segmented_radix_sort_config_selectorI6__halflEEZNS1_25segmented_radix_sort_implIS3_Lb0EPKS5_PS5_PKlPlN2at6native12_GLOBAL__N_18offset_tEEE10hipError_tPvRmT1_PNSt15iterator_traitsISL_E10value_typeET2_T3_PNSM_ISR_E10value_typeET4_jRbjT5_SX_jjP12ihipStream_tbEUlT_E_NS1_11comp_targetILNS1_3genE5ELNS1_11target_archE942ELNS1_3gpuE9ELNS1_3repE0EEENS1_30default_config_static_selectorELNS0_4arch9wavefront6targetE0EEEvSL_.num_named_barrier, 0
	.set _ZN7rocprim17ROCPRIM_400000_NS6detail17trampoline_kernelINS0_14default_configENS1_36segmented_radix_sort_config_selectorI6__halflEEZNS1_25segmented_radix_sort_implIS3_Lb0EPKS5_PS5_PKlPlN2at6native12_GLOBAL__N_18offset_tEEE10hipError_tPvRmT1_PNSt15iterator_traitsISL_E10value_typeET2_T3_PNSM_ISR_E10value_typeET4_jRbjT5_SX_jjP12ihipStream_tbEUlT_E_NS1_11comp_targetILNS1_3genE5ELNS1_11target_archE942ELNS1_3gpuE9ELNS1_3repE0EEENS1_30default_config_static_selectorELNS0_4arch9wavefront6targetE0EEEvSL_.private_seg_size, 0
	.set _ZN7rocprim17ROCPRIM_400000_NS6detail17trampoline_kernelINS0_14default_configENS1_36segmented_radix_sort_config_selectorI6__halflEEZNS1_25segmented_radix_sort_implIS3_Lb0EPKS5_PS5_PKlPlN2at6native12_GLOBAL__N_18offset_tEEE10hipError_tPvRmT1_PNSt15iterator_traitsISL_E10value_typeET2_T3_PNSM_ISR_E10value_typeET4_jRbjT5_SX_jjP12ihipStream_tbEUlT_E_NS1_11comp_targetILNS1_3genE5ELNS1_11target_archE942ELNS1_3gpuE9ELNS1_3repE0EEENS1_30default_config_static_selectorELNS0_4arch9wavefront6targetE0EEEvSL_.uses_vcc, 0
	.set _ZN7rocprim17ROCPRIM_400000_NS6detail17trampoline_kernelINS0_14default_configENS1_36segmented_radix_sort_config_selectorI6__halflEEZNS1_25segmented_radix_sort_implIS3_Lb0EPKS5_PS5_PKlPlN2at6native12_GLOBAL__N_18offset_tEEE10hipError_tPvRmT1_PNSt15iterator_traitsISL_E10value_typeET2_T3_PNSM_ISR_E10value_typeET4_jRbjT5_SX_jjP12ihipStream_tbEUlT_E_NS1_11comp_targetILNS1_3genE5ELNS1_11target_archE942ELNS1_3gpuE9ELNS1_3repE0EEENS1_30default_config_static_selectorELNS0_4arch9wavefront6targetE0EEEvSL_.uses_flat_scratch, 0
	.set _ZN7rocprim17ROCPRIM_400000_NS6detail17trampoline_kernelINS0_14default_configENS1_36segmented_radix_sort_config_selectorI6__halflEEZNS1_25segmented_radix_sort_implIS3_Lb0EPKS5_PS5_PKlPlN2at6native12_GLOBAL__N_18offset_tEEE10hipError_tPvRmT1_PNSt15iterator_traitsISL_E10value_typeET2_T3_PNSM_ISR_E10value_typeET4_jRbjT5_SX_jjP12ihipStream_tbEUlT_E_NS1_11comp_targetILNS1_3genE5ELNS1_11target_archE942ELNS1_3gpuE9ELNS1_3repE0EEENS1_30default_config_static_selectorELNS0_4arch9wavefront6targetE0EEEvSL_.has_dyn_sized_stack, 0
	.set _ZN7rocprim17ROCPRIM_400000_NS6detail17trampoline_kernelINS0_14default_configENS1_36segmented_radix_sort_config_selectorI6__halflEEZNS1_25segmented_radix_sort_implIS3_Lb0EPKS5_PS5_PKlPlN2at6native12_GLOBAL__N_18offset_tEEE10hipError_tPvRmT1_PNSt15iterator_traitsISL_E10value_typeET2_T3_PNSM_ISR_E10value_typeET4_jRbjT5_SX_jjP12ihipStream_tbEUlT_E_NS1_11comp_targetILNS1_3genE5ELNS1_11target_archE942ELNS1_3gpuE9ELNS1_3repE0EEENS1_30default_config_static_selectorELNS0_4arch9wavefront6targetE0EEEvSL_.has_recursion, 0
	.set _ZN7rocprim17ROCPRIM_400000_NS6detail17trampoline_kernelINS0_14default_configENS1_36segmented_radix_sort_config_selectorI6__halflEEZNS1_25segmented_radix_sort_implIS3_Lb0EPKS5_PS5_PKlPlN2at6native12_GLOBAL__N_18offset_tEEE10hipError_tPvRmT1_PNSt15iterator_traitsISL_E10value_typeET2_T3_PNSM_ISR_E10value_typeET4_jRbjT5_SX_jjP12ihipStream_tbEUlT_E_NS1_11comp_targetILNS1_3genE5ELNS1_11target_archE942ELNS1_3gpuE9ELNS1_3repE0EEENS1_30default_config_static_selectorELNS0_4arch9wavefront6targetE0EEEvSL_.has_indirect_call, 0
	.section	.AMDGPU.csdata,"",@progbits
; Kernel info:
; codeLenInByte = 0
; TotalNumSgprs: 0
; NumVgprs: 0
; ScratchSize: 0
; MemoryBound: 0
; FloatMode: 240
; IeeeMode: 1
; LDSByteSize: 0 bytes/workgroup (compile time only)
; SGPRBlocks: 0
; VGPRBlocks: 0
; NumSGPRsForWavesPerEU: 1
; NumVGPRsForWavesPerEU: 1
; Occupancy: 16
; WaveLimiterHint : 0
; COMPUTE_PGM_RSRC2:SCRATCH_EN: 0
; COMPUTE_PGM_RSRC2:USER_SGPR: 2
; COMPUTE_PGM_RSRC2:TRAP_HANDLER: 0
; COMPUTE_PGM_RSRC2:TGID_X_EN: 1
; COMPUTE_PGM_RSRC2:TGID_Y_EN: 0
; COMPUTE_PGM_RSRC2:TGID_Z_EN: 0
; COMPUTE_PGM_RSRC2:TIDIG_COMP_CNT: 0
	.section	.text._ZN7rocprim17ROCPRIM_400000_NS6detail17trampoline_kernelINS0_14default_configENS1_36segmented_radix_sort_config_selectorI6__halflEEZNS1_25segmented_radix_sort_implIS3_Lb0EPKS5_PS5_PKlPlN2at6native12_GLOBAL__N_18offset_tEEE10hipError_tPvRmT1_PNSt15iterator_traitsISL_E10value_typeET2_T3_PNSM_ISR_E10value_typeET4_jRbjT5_SX_jjP12ihipStream_tbEUlT_E_NS1_11comp_targetILNS1_3genE4ELNS1_11target_archE910ELNS1_3gpuE8ELNS1_3repE0EEENS1_30default_config_static_selectorELNS0_4arch9wavefront6targetE0EEEvSL_,"axG",@progbits,_ZN7rocprim17ROCPRIM_400000_NS6detail17trampoline_kernelINS0_14default_configENS1_36segmented_radix_sort_config_selectorI6__halflEEZNS1_25segmented_radix_sort_implIS3_Lb0EPKS5_PS5_PKlPlN2at6native12_GLOBAL__N_18offset_tEEE10hipError_tPvRmT1_PNSt15iterator_traitsISL_E10value_typeET2_T3_PNSM_ISR_E10value_typeET4_jRbjT5_SX_jjP12ihipStream_tbEUlT_E_NS1_11comp_targetILNS1_3genE4ELNS1_11target_archE910ELNS1_3gpuE8ELNS1_3repE0EEENS1_30default_config_static_selectorELNS0_4arch9wavefront6targetE0EEEvSL_,comdat
	.globl	_ZN7rocprim17ROCPRIM_400000_NS6detail17trampoline_kernelINS0_14default_configENS1_36segmented_radix_sort_config_selectorI6__halflEEZNS1_25segmented_radix_sort_implIS3_Lb0EPKS5_PS5_PKlPlN2at6native12_GLOBAL__N_18offset_tEEE10hipError_tPvRmT1_PNSt15iterator_traitsISL_E10value_typeET2_T3_PNSM_ISR_E10value_typeET4_jRbjT5_SX_jjP12ihipStream_tbEUlT_E_NS1_11comp_targetILNS1_3genE4ELNS1_11target_archE910ELNS1_3gpuE8ELNS1_3repE0EEENS1_30default_config_static_selectorELNS0_4arch9wavefront6targetE0EEEvSL_ ; -- Begin function _ZN7rocprim17ROCPRIM_400000_NS6detail17trampoline_kernelINS0_14default_configENS1_36segmented_radix_sort_config_selectorI6__halflEEZNS1_25segmented_radix_sort_implIS3_Lb0EPKS5_PS5_PKlPlN2at6native12_GLOBAL__N_18offset_tEEE10hipError_tPvRmT1_PNSt15iterator_traitsISL_E10value_typeET2_T3_PNSM_ISR_E10value_typeET4_jRbjT5_SX_jjP12ihipStream_tbEUlT_E_NS1_11comp_targetILNS1_3genE4ELNS1_11target_archE910ELNS1_3gpuE8ELNS1_3repE0EEENS1_30default_config_static_selectorELNS0_4arch9wavefront6targetE0EEEvSL_
	.p2align	8
	.type	_ZN7rocprim17ROCPRIM_400000_NS6detail17trampoline_kernelINS0_14default_configENS1_36segmented_radix_sort_config_selectorI6__halflEEZNS1_25segmented_radix_sort_implIS3_Lb0EPKS5_PS5_PKlPlN2at6native12_GLOBAL__N_18offset_tEEE10hipError_tPvRmT1_PNSt15iterator_traitsISL_E10value_typeET2_T3_PNSM_ISR_E10value_typeET4_jRbjT5_SX_jjP12ihipStream_tbEUlT_E_NS1_11comp_targetILNS1_3genE4ELNS1_11target_archE910ELNS1_3gpuE8ELNS1_3repE0EEENS1_30default_config_static_selectorELNS0_4arch9wavefront6targetE0EEEvSL_,@function
_ZN7rocprim17ROCPRIM_400000_NS6detail17trampoline_kernelINS0_14default_configENS1_36segmented_radix_sort_config_selectorI6__halflEEZNS1_25segmented_radix_sort_implIS3_Lb0EPKS5_PS5_PKlPlN2at6native12_GLOBAL__N_18offset_tEEE10hipError_tPvRmT1_PNSt15iterator_traitsISL_E10value_typeET2_T3_PNSM_ISR_E10value_typeET4_jRbjT5_SX_jjP12ihipStream_tbEUlT_E_NS1_11comp_targetILNS1_3genE4ELNS1_11target_archE910ELNS1_3gpuE8ELNS1_3repE0EEENS1_30default_config_static_selectorELNS0_4arch9wavefront6targetE0EEEvSL_: ; @_ZN7rocprim17ROCPRIM_400000_NS6detail17trampoline_kernelINS0_14default_configENS1_36segmented_radix_sort_config_selectorI6__halflEEZNS1_25segmented_radix_sort_implIS3_Lb0EPKS5_PS5_PKlPlN2at6native12_GLOBAL__N_18offset_tEEE10hipError_tPvRmT1_PNSt15iterator_traitsISL_E10value_typeET2_T3_PNSM_ISR_E10value_typeET4_jRbjT5_SX_jjP12ihipStream_tbEUlT_E_NS1_11comp_targetILNS1_3genE4ELNS1_11target_archE910ELNS1_3gpuE8ELNS1_3repE0EEENS1_30default_config_static_selectorELNS0_4arch9wavefront6targetE0EEEvSL_
; %bb.0:
	.section	.rodata,"a",@progbits
	.p2align	6, 0x0
	.amdhsa_kernel _ZN7rocprim17ROCPRIM_400000_NS6detail17trampoline_kernelINS0_14default_configENS1_36segmented_radix_sort_config_selectorI6__halflEEZNS1_25segmented_radix_sort_implIS3_Lb0EPKS5_PS5_PKlPlN2at6native12_GLOBAL__N_18offset_tEEE10hipError_tPvRmT1_PNSt15iterator_traitsISL_E10value_typeET2_T3_PNSM_ISR_E10value_typeET4_jRbjT5_SX_jjP12ihipStream_tbEUlT_E_NS1_11comp_targetILNS1_3genE4ELNS1_11target_archE910ELNS1_3gpuE8ELNS1_3repE0EEENS1_30default_config_static_selectorELNS0_4arch9wavefront6targetE0EEEvSL_
		.amdhsa_group_segment_fixed_size 0
		.amdhsa_private_segment_fixed_size 0
		.amdhsa_kernarg_size 96
		.amdhsa_user_sgpr_count 2
		.amdhsa_user_sgpr_dispatch_ptr 0
		.amdhsa_user_sgpr_queue_ptr 0
		.amdhsa_user_sgpr_kernarg_segment_ptr 1
		.amdhsa_user_sgpr_dispatch_id 0
		.amdhsa_user_sgpr_private_segment_size 0
		.amdhsa_wavefront_size32 1
		.amdhsa_uses_dynamic_stack 0
		.amdhsa_enable_private_segment 0
		.amdhsa_system_sgpr_workgroup_id_x 1
		.amdhsa_system_sgpr_workgroup_id_y 0
		.amdhsa_system_sgpr_workgroup_id_z 0
		.amdhsa_system_sgpr_workgroup_info 0
		.amdhsa_system_vgpr_workitem_id 0
		.amdhsa_next_free_vgpr 1
		.amdhsa_next_free_sgpr 1
		.amdhsa_reserve_vcc 0
		.amdhsa_float_round_mode_32 0
		.amdhsa_float_round_mode_16_64 0
		.amdhsa_float_denorm_mode_32 3
		.amdhsa_float_denorm_mode_16_64 3
		.amdhsa_fp16_overflow 0
		.amdhsa_workgroup_processor_mode 1
		.amdhsa_memory_ordered 1
		.amdhsa_forward_progress 1
		.amdhsa_inst_pref_size 0
		.amdhsa_round_robin_scheduling 0
		.amdhsa_exception_fp_ieee_invalid_op 0
		.amdhsa_exception_fp_denorm_src 0
		.amdhsa_exception_fp_ieee_div_zero 0
		.amdhsa_exception_fp_ieee_overflow 0
		.amdhsa_exception_fp_ieee_underflow 0
		.amdhsa_exception_fp_ieee_inexact 0
		.amdhsa_exception_int_div_zero 0
	.end_amdhsa_kernel
	.section	.text._ZN7rocprim17ROCPRIM_400000_NS6detail17trampoline_kernelINS0_14default_configENS1_36segmented_radix_sort_config_selectorI6__halflEEZNS1_25segmented_radix_sort_implIS3_Lb0EPKS5_PS5_PKlPlN2at6native12_GLOBAL__N_18offset_tEEE10hipError_tPvRmT1_PNSt15iterator_traitsISL_E10value_typeET2_T3_PNSM_ISR_E10value_typeET4_jRbjT5_SX_jjP12ihipStream_tbEUlT_E_NS1_11comp_targetILNS1_3genE4ELNS1_11target_archE910ELNS1_3gpuE8ELNS1_3repE0EEENS1_30default_config_static_selectorELNS0_4arch9wavefront6targetE0EEEvSL_,"axG",@progbits,_ZN7rocprim17ROCPRIM_400000_NS6detail17trampoline_kernelINS0_14default_configENS1_36segmented_radix_sort_config_selectorI6__halflEEZNS1_25segmented_radix_sort_implIS3_Lb0EPKS5_PS5_PKlPlN2at6native12_GLOBAL__N_18offset_tEEE10hipError_tPvRmT1_PNSt15iterator_traitsISL_E10value_typeET2_T3_PNSM_ISR_E10value_typeET4_jRbjT5_SX_jjP12ihipStream_tbEUlT_E_NS1_11comp_targetILNS1_3genE4ELNS1_11target_archE910ELNS1_3gpuE8ELNS1_3repE0EEENS1_30default_config_static_selectorELNS0_4arch9wavefront6targetE0EEEvSL_,comdat
.Lfunc_end1844:
	.size	_ZN7rocprim17ROCPRIM_400000_NS6detail17trampoline_kernelINS0_14default_configENS1_36segmented_radix_sort_config_selectorI6__halflEEZNS1_25segmented_radix_sort_implIS3_Lb0EPKS5_PS5_PKlPlN2at6native12_GLOBAL__N_18offset_tEEE10hipError_tPvRmT1_PNSt15iterator_traitsISL_E10value_typeET2_T3_PNSM_ISR_E10value_typeET4_jRbjT5_SX_jjP12ihipStream_tbEUlT_E_NS1_11comp_targetILNS1_3genE4ELNS1_11target_archE910ELNS1_3gpuE8ELNS1_3repE0EEENS1_30default_config_static_selectorELNS0_4arch9wavefront6targetE0EEEvSL_, .Lfunc_end1844-_ZN7rocprim17ROCPRIM_400000_NS6detail17trampoline_kernelINS0_14default_configENS1_36segmented_radix_sort_config_selectorI6__halflEEZNS1_25segmented_radix_sort_implIS3_Lb0EPKS5_PS5_PKlPlN2at6native12_GLOBAL__N_18offset_tEEE10hipError_tPvRmT1_PNSt15iterator_traitsISL_E10value_typeET2_T3_PNSM_ISR_E10value_typeET4_jRbjT5_SX_jjP12ihipStream_tbEUlT_E_NS1_11comp_targetILNS1_3genE4ELNS1_11target_archE910ELNS1_3gpuE8ELNS1_3repE0EEENS1_30default_config_static_selectorELNS0_4arch9wavefront6targetE0EEEvSL_
                                        ; -- End function
	.set _ZN7rocprim17ROCPRIM_400000_NS6detail17trampoline_kernelINS0_14default_configENS1_36segmented_radix_sort_config_selectorI6__halflEEZNS1_25segmented_radix_sort_implIS3_Lb0EPKS5_PS5_PKlPlN2at6native12_GLOBAL__N_18offset_tEEE10hipError_tPvRmT1_PNSt15iterator_traitsISL_E10value_typeET2_T3_PNSM_ISR_E10value_typeET4_jRbjT5_SX_jjP12ihipStream_tbEUlT_E_NS1_11comp_targetILNS1_3genE4ELNS1_11target_archE910ELNS1_3gpuE8ELNS1_3repE0EEENS1_30default_config_static_selectorELNS0_4arch9wavefront6targetE0EEEvSL_.num_vgpr, 0
	.set _ZN7rocprim17ROCPRIM_400000_NS6detail17trampoline_kernelINS0_14default_configENS1_36segmented_radix_sort_config_selectorI6__halflEEZNS1_25segmented_radix_sort_implIS3_Lb0EPKS5_PS5_PKlPlN2at6native12_GLOBAL__N_18offset_tEEE10hipError_tPvRmT1_PNSt15iterator_traitsISL_E10value_typeET2_T3_PNSM_ISR_E10value_typeET4_jRbjT5_SX_jjP12ihipStream_tbEUlT_E_NS1_11comp_targetILNS1_3genE4ELNS1_11target_archE910ELNS1_3gpuE8ELNS1_3repE0EEENS1_30default_config_static_selectorELNS0_4arch9wavefront6targetE0EEEvSL_.num_agpr, 0
	.set _ZN7rocprim17ROCPRIM_400000_NS6detail17trampoline_kernelINS0_14default_configENS1_36segmented_radix_sort_config_selectorI6__halflEEZNS1_25segmented_radix_sort_implIS3_Lb0EPKS5_PS5_PKlPlN2at6native12_GLOBAL__N_18offset_tEEE10hipError_tPvRmT1_PNSt15iterator_traitsISL_E10value_typeET2_T3_PNSM_ISR_E10value_typeET4_jRbjT5_SX_jjP12ihipStream_tbEUlT_E_NS1_11comp_targetILNS1_3genE4ELNS1_11target_archE910ELNS1_3gpuE8ELNS1_3repE0EEENS1_30default_config_static_selectorELNS0_4arch9wavefront6targetE0EEEvSL_.numbered_sgpr, 0
	.set _ZN7rocprim17ROCPRIM_400000_NS6detail17trampoline_kernelINS0_14default_configENS1_36segmented_radix_sort_config_selectorI6__halflEEZNS1_25segmented_radix_sort_implIS3_Lb0EPKS5_PS5_PKlPlN2at6native12_GLOBAL__N_18offset_tEEE10hipError_tPvRmT1_PNSt15iterator_traitsISL_E10value_typeET2_T3_PNSM_ISR_E10value_typeET4_jRbjT5_SX_jjP12ihipStream_tbEUlT_E_NS1_11comp_targetILNS1_3genE4ELNS1_11target_archE910ELNS1_3gpuE8ELNS1_3repE0EEENS1_30default_config_static_selectorELNS0_4arch9wavefront6targetE0EEEvSL_.num_named_barrier, 0
	.set _ZN7rocprim17ROCPRIM_400000_NS6detail17trampoline_kernelINS0_14default_configENS1_36segmented_radix_sort_config_selectorI6__halflEEZNS1_25segmented_radix_sort_implIS3_Lb0EPKS5_PS5_PKlPlN2at6native12_GLOBAL__N_18offset_tEEE10hipError_tPvRmT1_PNSt15iterator_traitsISL_E10value_typeET2_T3_PNSM_ISR_E10value_typeET4_jRbjT5_SX_jjP12ihipStream_tbEUlT_E_NS1_11comp_targetILNS1_3genE4ELNS1_11target_archE910ELNS1_3gpuE8ELNS1_3repE0EEENS1_30default_config_static_selectorELNS0_4arch9wavefront6targetE0EEEvSL_.private_seg_size, 0
	.set _ZN7rocprim17ROCPRIM_400000_NS6detail17trampoline_kernelINS0_14default_configENS1_36segmented_radix_sort_config_selectorI6__halflEEZNS1_25segmented_radix_sort_implIS3_Lb0EPKS5_PS5_PKlPlN2at6native12_GLOBAL__N_18offset_tEEE10hipError_tPvRmT1_PNSt15iterator_traitsISL_E10value_typeET2_T3_PNSM_ISR_E10value_typeET4_jRbjT5_SX_jjP12ihipStream_tbEUlT_E_NS1_11comp_targetILNS1_3genE4ELNS1_11target_archE910ELNS1_3gpuE8ELNS1_3repE0EEENS1_30default_config_static_selectorELNS0_4arch9wavefront6targetE0EEEvSL_.uses_vcc, 0
	.set _ZN7rocprim17ROCPRIM_400000_NS6detail17trampoline_kernelINS0_14default_configENS1_36segmented_radix_sort_config_selectorI6__halflEEZNS1_25segmented_radix_sort_implIS3_Lb0EPKS5_PS5_PKlPlN2at6native12_GLOBAL__N_18offset_tEEE10hipError_tPvRmT1_PNSt15iterator_traitsISL_E10value_typeET2_T3_PNSM_ISR_E10value_typeET4_jRbjT5_SX_jjP12ihipStream_tbEUlT_E_NS1_11comp_targetILNS1_3genE4ELNS1_11target_archE910ELNS1_3gpuE8ELNS1_3repE0EEENS1_30default_config_static_selectorELNS0_4arch9wavefront6targetE0EEEvSL_.uses_flat_scratch, 0
	.set _ZN7rocprim17ROCPRIM_400000_NS6detail17trampoline_kernelINS0_14default_configENS1_36segmented_radix_sort_config_selectorI6__halflEEZNS1_25segmented_radix_sort_implIS3_Lb0EPKS5_PS5_PKlPlN2at6native12_GLOBAL__N_18offset_tEEE10hipError_tPvRmT1_PNSt15iterator_traitsISL_E10value_typeET2_T3_PNSM_ISR_E10value_typeET4_jRbjT5_SX_jjP12ihipStream_tbEUlT_E_NS1_11comp_targetILNS1_3genE4ELNS1_11target_archE910ELNS1_3gpuE8ELNS1_3repE0EEENS1_30default_config_static_selectorELNS0_4arch9wavefront6targetE0EEEvSL_.has_dyn_sized_stack, 0
	.set _ZN7rocprim17ROCPRIM_400000_NS6detail17trampoline_kernelINS0_14default_configENS1_36segmented_radix_sort_config_selectorI6__halflEEZNS1_25segmented_radix_sort_implIS3_Lb0EPKS5_PS5_PKlPlN2at6native12_GLOBAL__N_18offset_tEEE10hipError_tPvRmT1_PNSt15iterator_traitsISL_E10value_typeET2_T3_PNSM_ISR_E10value_typeET4_jRbjT5_SX_jjP12ihipStream_tbEUlT_E_NS1_11comp_targetILNS1_3genE4ELNS1_11target_archE910ELNS1_3gpuE8ELNS1_3repE0EEENS1_30default_config_static_selectorELNS0_4arch9wavefront6targetE0EEEvSL_.has_recursion, 0
	.set _ZN7rocprim17ROCPRIM_400000_NS6detail17trampoline_kernelINS0_14default_configENS1_36segmented_radix_sort_config_selectorI6__halflEEZNS1_25segmented_radix_sort_implIS3_Lb0EPKS5_PS5_PKlPlN2at6native12_GLOBAL__N_18offset_tEEE10hipError_tPvRmT1_PNSt15iterator_traitsISL_E10value_typeET2_T3_PNSM_ISR_E10value_typeET4_jRbjT5_SX_jjP12ihipStream_tbEUlT_E_NS1_11comp_targetILNS1_3genE4ELNS1_11target_archE910ELNS1_3gpuE8ELNS1_3repE0EEENS1_30default_config_static_selectorELNS0_4arch9wavefront6targetE0EEEvSL_.has_indirect_call, 0
	.section	.AMDGPU.csdata,"",@progbits
; Kernel info:
; codeLenInByte = 0
; TotalNumSgprs: 0
; NumVgprs: 0
; ScratchSize: 0
; MemoryBound: 0
; FloatMode: 240
; IeeeMode: 1
; LDSByteSize: 0 bytes/workgroup (compile time only)
; SGPRBlocks: 0
; VGPRBlocks: 0
; NumSGPRsForWavesPerEU: 1
; NumVGPRsForWavesPerEU: 1
; Occupancy: 16
; WaveLimiterHint : 0
; COMPUTE_PGM_RSRC2:SCRATCH_EN: 0
; COMPUTE_PGM_RSRC2:USER_SGPR: 2
; COMPUTE_PGM_RSRC2:TRAP_HANDLER: 0
; COMPUTE_PGM_RSRC2:TGID_X_EN: 1
; COMPUTE_PGM_RSRC2:TGID_Y_EN: 0
; COMPUTE_PGM_RSRC2:TGID_Z_EN: 0
; COMPUTE_PGM_RSRC2:TIDIG_COMP_CNT: 0
	.section	.text._ZN7rocprim17ROCPRIM_400000_NS6detail17trampoline_kernelINS0_14default_configENS1_36segmented_radix_sort_config_selectorI6__halflEEZNS1_25segmented_radix_sort_implIS3_Lb0EPKS5_PS5_PKlPlN2at6native12_GLOBAL__N_18offset_tEEE10hipError_tPvRmT1_PNSt15iterator_traitsISL_E10value_typeET2_T3_PNSM_ISR_E10value_typeET4_jRbjT5_SX_jjP12ihipStream_tbEUlT_E_NS1_11comp_targetILNS1_3genE3ELNS1_11target_archE908ELNS1_3gpuE7ELNS1_3repE0EEENS1_30default_config_static_selectorELNS0_4arch9wavefront6targetE0EEEvSL_,"axG",@progbits,_ZN7rocprim17ROCPRIM_400000_NS6detail17trampoline_kernelINS0_14default_configENS1_36segmented_radix_sort_config_selectorI6__halflEEZNS1_25segmented_radix_sort_implIS3_Lb0EPKS5_PS5_PKlPlN2at6native12_GLOBAL__N_18offset_tEEE10hipError_tPvRmT1_PNSt15iterator_traitsISL_E10value_typeET2_T3_PNSM_ISR_E10value_typeET4_jRbjT5_SX_jjP12ihipStream_tbEUlT_E_NS1_11comp_targetILNS1_3genE3ELNS1_11target_archE908ELNS1_3gpuE7ELNS1_3repE0EEENS1_30default_config_static_selectorELNS0_4arch9wavefront6targetE0EEEvSL_,comdat
	.globl	_ZN7rocprim17ROCPRIM_400000_NS6detail17trampoline_kernelINS0_14default_configENS1_36segmented_radix_sort_config_selectorI6__halflEEZNS1_25segmented_radix_sort_implIS3_Lb0EPKS5_PS5_PKlPlN2at6native12_GLOBAL__N_18offset_tEEE10hipError_tPvRmT1_PNSt15iterator_traitsISL_E10value_typeET2_T3_PNSM_ISR_E10value_typeET4_jRbjT5_SX_jjP12ihipStream_tbEUlT_E_NS1_11comp_targetILNS1_3genE3ELNS1_11target_archE908ELNS1_3gpuE7ELNS1_3repE0EEENS1_30default_config_static_selectorELNS0_4arch9wavefront6targetE0EEEvSL_ ; -- Begin function _ZN7rocprim17ROCPRIM_400000_NS6detail17trampoline_kernelINS0_14default_configENS1_36segmented_radix_sort_config_selectorI6__halflEEZNS1_25segmented_radix_sort_implIS3_Lb0EPKS5_PS5_PKlPlN2at6native12_GLOBAL__N_18offset_tEEE10hipError_tPvRmT1_PNSt15iterator_traitsISL_E10value_typeET2_T3_PNSM_ISR_E10value_typeET4_jRbjT5_SX_jjP12ihipStream_tbEUlT_E_NS1_11comp_targetILNS1_3genE3ELNS1_11target_archE908ELNS1_3gpuE7ELNS1_3repE0EEENS1_30default_config_static_selectorELNS0_4arch9wavefront6targetE0EEEvSL_
	.p2align	8
	.type	_ZN7rocprim17ROCPRIM_400000_NS6detail17trampoline_kernelINS0_14default_configENS1_36segmented_radix_sort_config_selectorI6__halflEEZNS1_25segmented_radix_sort_implIS3_Lb0EPKS5_PS5_PKlPlN2at6native12_GLOBAL__N_18offset_tEEE10hipError_tPvRmT1_PNSt15iterator_traitsISL_E10value_typeET2_T3_PNSM_ISR_E10value_typeET4_jRbjT5_SX_jjP12ihipStream_tbEUlT_E_NS1_11comp_targetILNS1_3genE3ELNS1_11target_archE908ELNS1_3gpuE7ELNS1_3repE0EEENS1_30default_config_static_selectorELNS0_4arch9wavefront6targetE0EEEvSL_,@function
_ZN7rocprim17ROCPRIM_400000_NS6detail17trampoline_kernelINS0_14default_configENS1_36segmented_radix_sort_config_selectorI6__halflEEZNS1_25segmented_radix_sort_implIS3_Lb0EPKS5_PS5_PKlPlN2at6native12_GLOBAL__N_18offset_tEEE10hipError_tPvRmT1_PNSt15iterator_traitsISL_E10value_typeET2_T3_PNSM_ISR_E10value_typeET4_jRbjT5_SX_jjP12ihipStream_tbEUlT_E_NS1_11comp_targetILNS1_3genE3ELNS1_11target_archE908ELNS1_3gpuE7ELNS1_3repE0EEENS1_30default_config_static_selectorELNS0_4arch9wavefront6targetE0EEEvSL_: ; @_ZN7rocprim17ROCPRIM_400000_NS6detail17trampoline_kernelINS0_14default_configENS1_36segmented_radix_sort_config_selectorI6__halflEEZNS1_25segmented_radix_sort_implIS3_Lb0EPKS5_PS5_PKlPlN2at6native12_GLOBAL__N_18offset_tEEE10hipError_tPvRmT1_PNSt15iterator_traitsISL_E10value_typeET2_T3_PNSM_ISR_E10value_typeET4_jRbjT5_SX_jjP12ihipStream_tbEUlT_E_NS1_11comp_targetILNS1_3genE3ELNS1_11target_archE908ELNS1_3gpuE7ELNS1_3repE0EEENS1_30default_config_static_selectorELNS0_4arch9wavefront6targetE0EEEvSL_
; %bb.0:
	.section	.rodata,"a",@progbits
	.p2align	6, 0x0
	.amdhsa_kernel _ZN7rocprim17ROCPRIM_400000_NS6detail17trampoline_kernelINS0_14default_configENS1_36segmented_radix_sort_config_selectorI6__halflEEZNS1_25segmented_radix_sort_implIS3_Lb0EPKS5_PS5_PKlPlN2at6native12_GLOBAL__N_18offset_tEEE10hipError_tPvRmT1_PNSt15iterator_traitsISL_E10value_typeET2_T3_PNSM_ISR_E10value_typeET4_jRbjT5_SX_jjP12ihipStream_tbEUlT_E_NS1_11comp_targetILNS1_3genE3ELNS1_11target_archE908ELNS1_3gpuE7ELNS1_3repE0EEENS1_30default_config_static_selectorELNS0_4arch9wavefront6targetE0EEEvSL_
		.amdhsa_group_segment_fixed_size 0
		.amdhsa_private_segment_fixed_size 0
		.amdhsa_kernarg_size 96
		.amdhsa_user_sgpr_count 2
		.amdhsa_user_sgpr_dispatch_ptr 0
		.amdhsa_user_sgpr_queue_ptr 0
		.amdhsa_user_sgpr_kernarg_segment_ptr 1
		.amdhsa_user_sgpr_dispatch_id 0
		.amdhsa_user_sgpr_private_segment_size 0
		.amdhsa_wavefront_size32 1
		.amdhsa_uses_dynamic_stack 0
		.amdhsa_enable_private_segment 0
		.amdhsa_system_sgpr_workgroup_id_x 1
		.amdhsa_system_sgpr_workgroup_id_y 0
		.amdhsa_system_sgpr_workgroup_id_z 0
		.amdhsa_system_sgpr_workgroup_info 0
		.amdhsa_system_vgpr_workitem_id 0
		.amdhsa_next_free_vgpr 1
		.amdhsa_next_free_sgpr 1
		.amdhsa_reserve_vcc 0
		.amdhsa_float_round_mode_32 0
		.amdhsa_float_round_mode_16_64 0
		.amdhsa_float_denorm_mode_32 3
		.amdhsa_float_denorm_mode_16_64 3
		.amdhsa_fp16_overflow 0
		.amdhsa_workgroup_processor_mode 1
		.amdhsa_memory_ordered 1
		.amdhsa_forward_progress 1
		.amdhsa_inst_pref_size 0
		.amdhsa_round_robin_scheduling 0
		.amdhsa_exception_fp_ieee_invalid_op 0
		.amdhsa_exception_fp_denorm_src 0
		.amdhsa_exception_fp_ieee_div_zero 0
		.amdhsa_exception_fp_ieee_overflow 0
		.amdhsa_exception_fp_ieee_underflow 0
		.amdhsa_exception_fp_ieee_inexact 0
		.amdhsa_exception_int_div_zero 0
	.end_amdhsa_kernel
	.section	.text._ZN7rocprim17ROCPRIM_400000_NS6detail17trampoline_kernelINS0_14default_configENS1_36segmented_radix_sort_config_selectorI6__halflEEZNS1_25segmented_radix_sort_implIS3_Lb0EPKS5_PS5_PKlPlN2at6native12_GLOBAL__N_18offset_tEEE10hipError_tPvRmT1_PNSt15iterator_traitsISL_E10value_typeET2_T3_PNSM_ISR_E10value_typeET4_jRbjT5_SX_jjP12ihipStream_tbEUlT_E_NS1_11comp_targetILNS1_3genE3ELNS1_11target_archE908ELNS1_3gpuE7ELNS1_3repE0EEENS1_30default_config_static_selectorELNS0_4arch9wavefront6targetE0EEEvSL_,"axG",@progbits,_ZN7rocprim17ROCPRIM_400000_NS6detail17trampoline_kernelINS0_14default_configENS1_36segmented_radix_sort_config_selectorI6__halflEEZNS1_25segmented_radix_sort_implIS3_Lb0EPKS5_PS5_PKlPlN2at6native12_GLOBAL__N_18offset_tEEE10hipError_tPvRmT1_PNSt15iterator_traitsISL_E10value_typeET2_T3_PNSM_ISR_E10value_typeET4_jRbjT5_SX_jjP12ihipStream_tbEUlT_E_NS1_11comp_targetILNS1_3genE3ELNS1_11target_archE908ELNS1_3gpuE7ELNS1_3repE0EEENS1_30default_config_static_selectorELNS0_4arch9wavefront6targetE0EEEvSL_,comdat
.Lfunc_end1845:
	.size	_ZN7rocprim17ROCPRIM_400000_NS6detail17trampoline_kernelINS0_14default_configENS1_36segmented_radix_sort_config_selectorI6__halflEEZNS1_25segmented_radix_sort_implIS3_Lb0EPKS5_PS5_PKlPlN2at6native12_GLOBAL__N_18offset_tEEE10hipError_tPvRmT1_PNSt15iterator_traitsISL_E10value_typeET2_T3_PNSM_ISR_E10value_typeET4_jRbjT5_SX_jjP12ihipStream_tbEUlT_E_NS1_11comp_targetILNS1_3genE3ELNS1_11target_archE908ELNS1_3gpuE7ELNS1_3repE0EEENS1_30default_config_static_selectorELNS0_4arch9wavefront6targetE0EEEvSL_, .Lfunc_end1845-_ZN7rocprim17ROCPRIM_400000_NS6detail17trampoline_kernelINS0_14default_configENS1_36segmented_radix_sort_config_selectorI6__halflEEZNS1_25segmented_radix_sort_implIS3_Lb0EPKS5_PS5_PKlPlN2at6native12_GLOBAL__N_18offset_tEEE10hipError_tPvRmT1_PNSt15iterator_traitsISL_E10value_typeET2_T3_PNSM_ISR_E10value_typeET4_jRbjT5_SX_jjP12ihipStream_tbEUlT_E_NS1_11comp_targetILNS1_3genE3ELNS1_11target_archE908ELNS1_3gpuE7ELNS1_3repE0EEENS1_30default_config_static_selectorELNS0_4arch9wavefront6targetE0EEEvSL_
                                        ; -- End function
	.set _ZN7rocprim17ROCPRIM_400000_NS6detail17trampoline_kernelINS0_14default_configENS1_36segmented_radix_sort_config_selectorI6__halflEEZNS1_25segmented_radix_sort_implIS3_Lb0EPKS5_PS5_PKlPlN2at6native12_GLOBAL__N_18offset_tEEE10hipError_tPvRmT1_PNSt15iterator_traitsISL_E10value_typeET2_T3_PNSM_ISR_E10value_typeET4_jRbjT5_SX_jjP12ihipStream_tbEUlT_E_NS1_11comp_targetILNS1_3genE3ELNS1_11target_archE908ELNS1_3gpuE7ELNS1_3repE0EEENS1_30default_config_static_selectorELNS0_4arch9wavefront6targetE0EEEvSL_.num_vgpr, 0
	.set _ZN7rocprim17ROCPRIM_400000_NS6detail17trampoline_kernelINS0_14default_configENS1_36segmented_radix_sort_config_selectorI6__halflEEZNS1_25segmented_radix_sort_implIS3_Lb0EPKS5_PS5_PKlPlN2at6native12_GLOBAL__N_18offset_tEEE10hipError_tPvRmT1_PNSt15iterator_traitsISL_E10value_typeET2_T3_PNSM_ISR_E10value_typeET4_jRbjT5_SX_jjP12ihipStream_tbEUlT_E_NS1_11comp_targetILNS1_3genE3ELNS1_11target_archE908ELNS1_3gpuE7ELNS1_3repE0EEENS1_30default_config_static_selectorELNS0_4arch9wavefront6targetE0EEEvSL_.num_agpr, 0
	.set _ZN7rocprim17ROCPRIM_400000_NS6detail17trampoline_kernelINS0_14default_configENS1_36segmented_radix_sort_config_selectorI6__halflEEZNS1_25segmented_radix_sort_implIS3_Lb0EPKS5_PS5_PKlPlN2at6native12_GLOBAL__N_18offset_tEEE10hipError_tPvRmT1_PNSt15iterator_traitsISL_E10value_typeET2_T3_PNSM_ISR_E10value_typeET4_jRbjT5_SX_jjP12ihipStream_tbEUlT_E_NS1_11comp_targetILNS1_3genE3ELNS1_11target_archE908ELNS1_3gpuE7ELNS1_3repE0EEENS1_30default_config_static_selectorELNS0_4arch9wavefront6targetE0EEEvSL_.numbered_sgpr, 0
	.set _ZN7rocprim17ROCPRIM_400000_NS6detail17trampoline_kernelINS0_14default_configENS1_36segmented_radix_sort_config_selectorI6__halflEEZNS1_25segmented_radix_sort_implIS3_Lb0EPKS5_PS5_PKlPlN2at6native12_GLOBAL__N_18offset_tEEE10hipError_tPvRmT1_PNSt15iterator_traitsISL_E10value_typeET2_T3_PNSM_ISR_E10value_typeET4_jRbjT5_SX_jjP12ihipStream_tbEUlT_E_NS1_11comp_targetILNS1_3genE3ELNS1_11target_archE908ELNS1_3gpuE7ELNS1_3repE0EEENS1_30default_config_static_selectorELNS0_4arch9wavefront6targetE0EEEvSL_.num_named_barrier, 0
	.set _ZN7rocprim17ROCPRIM_400000_NS6detail17trampoline_kernelINS0_14default_configENS1_36segmented_radix_sort_config_selectorI6__halflEEZNS1_25segmented_radix_sort_implIS3_Lb0EPKS5_PS5_PKlPlN2at6native12_GLOBAL__N_18offset_tEEE10hipError_tPvRmT1_PNSt15iterator_traitsISL_E10value_typeET2_T3_PNSM_ISR_E10value_typeET4_jRbjT5_SX_jjP12ihipStream_tbEUlT_E_NS1_11comp_targetILNS1_3genE3ELNS1_11target_archE908ELNS1_3gpuE7ELNS1_3repE0EEENS1_30default_config_static_selectorELNS0_4arch9wavefront6targetE0EEEvSL_.private_seg_size, 0
	.set _ZN7rocprim17ROCPRIM_400000_NS6detail17trampoline_kernelINS0_14default_configENS1_36segmented_radix_sort_config_selectorI6__halflEEZNS1_25segmented_radix_sort_implIS3_Lb0EPKS5_PS5_PKlPlN2at6native12_GLOBAL__N_18offset_tEEE10hipError_tPvRmT1_PNSt15iterator_traitsISL_E10value_typeET2_T3_PNSM_ISR_E10value_typeET4_jRbjT5_SX_jjP12ihipStream_tbEUlT_E_NS1_11comp_targetILNS1_3genE3ELNS1_11target_archE908ELNS1_3gpuE7ELNS1_3repE0EEENS1_30default_config_static_selectorELNS0_4arch9wavefront6targetE0EEEvSL_.uses_vcc, 0
	.set _ZN7rocprim17ROCPRIM_400000_NS6detail17trampoline_kernelINS0_14default_configENS1_36segmented_radix_sort_config_selectorI6__halflEEZNS1_25segmented_radix_sort_implIS3_Lb0EPKS5_PS5_PKlPlN2at6native12_GLOBAL__N_18offset_tEEE10hipError_tPvRmT1_PNSt15iterator_traitsISL_E10value_typeET2_T3_PNSM_ISR_E10value_typeET4_jRbjT5_SX_jjP12ihipStream_tbEUlT_E_NS1_11comp_targetILNS1_3genE3ELNS1_11target_archE908ELNS1_3gpuE7ELNS1_3repE0EEENS1_30default_config_static_selectorELNS0_4arch9wavefront6targetE0EEEvSL_.uses_flat_scratch, 0
	.set _ZN7rocprim17ROCPRIM_400000_NS6detail17trampoline_kernelINS0_14default_configENS1_36segmented_radix_sort_config_selectorI6__halflEEZNS1_25segmented_radix_sort_implIS3_Lb0EPKS5_PS5_PKlPlN2at6native12_GLOBAL__N_18offset_tEEE10hipError_tPvRmT1_PNSt15iterator_traitsISL_E10value_typeET2_T3_PNSM_ISR_E10value_typeET4_jRbjT5_SX_jjP12ihipStream_tbEUlT_E_NS1_11comp_targetILNS1_3genE3ELNS1_11target_archE908ELNS1_3gpuE7ELNS1_3repE0EEENS1_30default_config_static_selectorELNS0_4arch9wavefront6targetE0EEEvSL_.has_dyn_sized_stack, 0
	.set _ZN7rocprim17ROCPRIM_400000_NS6detail17trampoline_kernelINS0_14default_configENS1_36segmented_radix_sort_config_selectorI6__halflEEZNS1_25segmented_radix_sort_implIS3_Lb0EPKS5_PS5_PKlPlN2at6native12_GLOBAL__N_18offset_tEEE10hipError_tPvRmT1_PNSt15iterator_traitsISL_E10value_typeET2_T3_PNSM_ISR_E10value_typeET4_jRbjT5_SX_jjP12ihipStream_tbEUlT_E_NS1_11comp_targetILNS1_3genE3ELNS1_11target_archE908ELNS1_3gpuE7ELNS1_3repE0EEENS1_30default_config_static_selectorELNS0_4arch9wavefront6targetE0EEEvSL_.has_recursion, 0
	.set _ZN7rocprim17ROCPRIM_400000_NS6detail17trampoline_kernelINS0_14default_configENS1_36segmented_radix_sort_config_selectorI6__halflEEZNS1_25segmented_radix_sort_implIS3_Lb0EPKS5_PS5_PKlPlN2at6native12_GLOBAL__N_18offset_tEEE10hipError_tPvRmT1_PNSt15iterator_traitsISL_E10value_typeET2_T3_PNSM_ISR_E10value_typeET4_jRbjT5_SX_jjP12ihipStream_tbEUlT_E_NS1_11comp_targetILNS1_3genE3ELNS1_11target_archE908ELNS1_3gpuE7ELNS1_3repE0EEENS1_30default_config_static_selectorELNS0_4arch9wavefront6targetE0EEEvSL_.has_indirect_call, 0
	.section	.AMDGPU.csdata,"",@progbits
; Kernel info:
; codeLenInByte = 0
; TotalNumSgprs: 0
; NumVgprs: 0
; ScratchSize: 0
; MemoryBound: 0
; FloatMode: 240
; IeeeMode: 1
; LDSByteSize: 0 bytes/workgroup (compile time only)
; SGPRBlocks: 0
; VGPRBlocks: 0
; NumSGPRsForWavesPerEU: 1
; NumVGPRsForWavesPerEU: 1
; Occupancy: 16
; WaveLimiterHint : 0
; COMPUTE_PGM_RSRC2:SCRATCH_EN: 0
; COMPUTE_PGM_RSRC2:USER_SGPR: 2
; COMPUTE_PGM_RSRC2:TRAP_HANDLER: 0
; COMPUTE_PGM_RSRC2:TGID_X_EN: 1
; COMPUTE_PGM_RSRC2:TGID_Y_EN: 0
; COMPUTE_PGM_RSRC2:TGID_Z_EN: 0
; COMPUTE_PGM_RSRC2:TIDIG_COMP_CNT: 0
	.section	.text._ZN7rocprim17ROCPRIM_400000_NS6detail17trampoline_kernelINS0_14default_configENS1_36segmented_radix_sort_config_selectorI6__halflEEZNS1_25segmented_radix_sort_implIS3_Lb0EPKS5_PS5_PKlPlN2at6native12_GLOBAL__N_18offset_tEEE10hipError_tPvRmT1_PNSt15iterator_traitsISL_E10value_typeET2_T3_PNSM_ISR_E10value_typeET4_jRbjT5_SX_jjP12ihipStream_tbEUlT_E_NS1_11comp_targetILNS1_3genE2ELNS1_11target_archE906ELNS1_3gpuE6ELNS1_3repE0EEENS1_30default_config_static_selectorELNS0_4arch9wavefront6targetE0EEEvSL_,"axG",@progbits,_ZN7rocprim17ROCPRIM_400000_NS6detail17trampoline_kernelINS0_14default_configENS1_36segmented_radix_sort_config_selectorI6__halflEEZNS1_25segmented_radix_sort_implIS3_Lb0EPKS5_PS5_PKlPlN2at6native12_GLOBAL__N_18offset_tEEE10hipError_tPvRmT1_PNSt15iterator_traitsISL_E10value_typeET2_T3_PNSM_ISR_E10value_typeET4_jRbjT5_SX_jjP12ihipStream_tbEUlT_E_NS1_11comp_targetILNS1_3genE2ELNS1_11target_archE906ELNS1_3gpuE6ELNS1_3repE0EEENS1_30default_config_static_selectorELNS0_4arch9wavefront6targetE0EEEvSL_,comdat
	.globl	_ZN7rocprim17ROCPRIM_400000_NS6detail17trampoline_kernelINS0_14default_configENS1_36segmented_radix_sort_config_selectorI6__halflEEZNS1_25segmented_radix_sort_implIS3_Lb0EPKS5_PS5_PKlPlN2at6native12_GLOBAL__N_18offset_tEEE10hipError_tPvRmT1_PNSt15iterator_traitsISL_E10value_typeET2_T3_PNSM_ISR_E10value_typeET4_jRbjT5_SX_jjP12ihipStream_tbEUlT_E_NS1_11comp_targetILNS1_3genE2ELNS1_11target_archE906ELNS1_3gpuE6ELNS1_3repE0EEENS1_30default_config_static_selectorELNS0_4arch9wavefront6targetE0EEEvSL_ ; -- Begin function _ZN7rocprim17ROCPRIM_400000_NS6detail17trampoline_kernelINS0_14default_configENS1_36segmented_radix_sort_config_selectorI6__halflEEZNS1_25segmented_radix_sort_implIS3_Lb0EPKS5_PS5_PKlPlN2at6native12_GLOBAL__N_18offset_tEEE10hipError_tPvRmT1_PNSt15iterator_traitsISL_E10value_typeET2_T3_PNSM_ISR_E10value_typeET4_jRbjT5_SX_jjP12ihipStream_tbEUlT_E_NS1_11comp_targetILNS1_3genE2ELNS1_11target_archE906ELNS1_3gpuE6ELNS1_3repE0EEENS1_30default_config_static_selectorELNS0_4arch9wavefront6targetE0EEEvSL_
	.p2align	8
	.type	_ZN7rocprim17ROCPRIM_400000_NS6detail17trampoline_kernelINS0_14default_configENS1_36segmented_radix_sort_config_selectorI6__halflEEZNS1_25segmented_radix_sort_implIS3_Lb0EPKS5_PS5_PKlPlN2at6native12_GLOBAL__N_18offset_tEEE10hipError_tPvRmT1_PNSt15iterator_traitsISL_E10value_typeET2_T3_PNSM_ISR_E10value_typeET4_jRbjT5_SX_jjP12ihipStream_tbEUlT_E_NS1_11comp_targetILNS1_3genE2ELNS1_11target_archE906ELNS1_3gpuE6ELNS1_3repE0EEENS1_30default_config_static_selectorELNS0_4arch9wavefront6targetE0EEEvSL_,@function
_ZN7rocprim17ROCPRIM_400000_NS6detail17trampoline_kernelINS0_14default_configENS1_36segmented_radix_sort_config_selectorI6__halflEEZNS1_25segmented_radix_sort_implIS3_Lb0EPKS5_PS5_PKlPlN2at6native12_GLOBAL__N_18offset_tEEE10hipError_tPvRmT1_PNSt15iterator_traitsISL_E10value_typeET2_T3_PNSM_ISR_E10value_typeET4_jRbjT5_SX_jjP12ihipStream_tbEUlT_E_NS1_11comp_targetILNS1_3genE2ELNS1_11target_archE906ELNS1_3gpuE6ELNS1_3repE0EEENS1_30default_config_static_selectorELNS0_4arch9wavefront6targetE0EEEvSL_: ; @_ZN7rocprim17ROCPRIM_400000_NS6detail17trampoline_kernelINS0_14default_configENS1_36segmented_radix_sort_config_selectorI6__halflEEZNS1_25segmented_radix_sort_implIS3_Lb0EPKS5_PS5_PKlPlN2at6native12_GLOBAL__N_18offset_tEEE10hipError_tPvRmT1_PNSt15iterator_traitsISL_E10value_typeET2_T3_PNSM_ISR_E10value_typeET4_jRbjT5_SX_jjP12ihipStream_tbEUlT_E_NS1_11comp_targetILNS1_3genE2ELNS1_11target_archE906ELNS1_3gpuE6ELNS1_3repE0EEENS1_30default_config_static_selectorELNS0_4arch9wavefront6targetE0EEEvSL_
; %bb.0:
	.section	.rodata,"a",@progbits
	.p2align	6, 0x0
	.amdhsa_kernel _ZN7rocprim17ROCPRIM_400000_NS6detail17trampoline_kernelINS0_14default_configENS1_36segmented_radix_sort_config_selectorI6__halflEEZNS1_25segmented_radix_sort_implIS3_Lb0EPKS5_PS5_PKlPlN2at6native12_GLOBAL__N_18offset_tEEE10hipError_tPvRmT1_PNSt15iterator_traitsISL_E10value_typeET2_T3_PNSM_ISR_E10value_typeET4_jRbjT5_SX_jjP12ihipStream_tbEUlT_E_NS1_11comp_targetILNS1_3genE2ELNS1_11target_archE906ELNS1_3gpuE6ELNS1_3repE0EEENS1_30default_config_static_selectorELNS0_4arch9wavefront6targetE0EEEvSL_
		.amdhsa_group_segment_fixed_size 0
		.amdhsa_private_segment_fixed_size 0
		.amdhsa_kernarg_size 96
		.amdhsa_user_sgpr_count 2
		.amdhsa_user_sgpr_dispatch_ptr 0
		.amdhsa_user_sgpr_queue_ptr 0
		.amdhsa_user_sgpr_kernarg_segment_ptr 1
		.amdhsa_user_sgpr_dispatch_id 0
		.amdhsa_user_sgpr_private_segment_size 0
		.amdhsa_wavefront_size32 1
		.amdhsa_uses_dynamic_stack 0
		.amdhsa_enable_private_segment 0
		.amdhsa_system_sgpr_workgroup_id_x 1
		.amdhsa_system_sgpr_workgroup_id_y 0
		.amdhsa_system_sgpr_workgroup_id_z 0
		.amdhsa_system_sgpr_workgroup_info 0
		.amdhsa_system_vgpr_workitem_id 0
		.amdhsa_next_free_vgpr 1
		.amdhsa_next_free_sgpr 1
		.amdhsa_reserve_vcc 0
		.amdhsa_float_round_mode_32 0
		.amdhsa_float_round_mode_16_64 0
		.amdhsa_float_denorm_mode_32 3
		.amdhsa_float_denorm_mode_16_64 3
		.amdhsa_fp16_overflow 0
		.amdhsa_workgroup_processor_mode 1
		.amdhsa_memory_ordered 1
		.amdhsa_forward_progress 1
		.amdhsa_inst_pref_size 0
		.amdhsa_round_robin_scheduling 0
		.amdhsa_exception_fp_ieee_invalid_op 0
		.amdhsa_exception_fp_denorm_src 0
		.amdhsa_exception_fp_ieee_div_zero 0
		.amdhsa_exception_fp_ieee_overflow 0
		.amdhsa_exception_fp_ieee_underflow 0
		.amdhsa_exception_fp_ieee_inexact 0
		.amdhsa_exception_int_div_zero 0
	.end_amdhsa_kernel
	.section	.text._ZN7rocprim17ROCPRIM_400000_NS6detail17trampoline_kernelINS0_14default_configENS1_36segmented_radix_sort_config_selectorI6__halflEEZNS1_25segmented_radix_sort_implIS3_Lb0EPKS5_PS5_PKlPlN2at6native12_GLOBAL__N_18offset_tEEE10hipError_tPvRmT1_PNSt15iterator_traitsISL_E10value_typeET2_T3_PNSM_ISR_E10value_typeET4_jRbjT5_SX_jjP12ihipStream_tbEUlT_E_NS1_11comp_targetILNS1_3genE2ELNS1_11target_archE906ELNS1_3gpuE6ELNS1_3repE0EEENS1_30default_config_static_selectorELNS0_4arch9wavefront6targetE0EEEvSL_,"axG",@progbits,_ZN7rocprim17ROCPRIM_400000_NS6detail17trampoline_kernelINS0_14default_configENS1_36segmented_radix_sort_config_selectorI6__halflEEZNS1_25segmented_radix_sort_implIS3_Lb0EPKS5_PS5_PKlPlN2at6native12_GLOBAL__N_18offset_tEEE10hipError_tPvRmT1_PNSt15iterator_traitsISL_E10value_typeET2_T3_PNSM_ISR_E10value_typeET4_jRbjT5_SX_jjP12ihipStream_tbEUlT_E_NS1_11comp_targetILNS1_3genE2ELNS1_11target_archE906ELNS1_3gpuE6ELNS1_3repE0EEENS1_30default_config_static_selectorELNS0_4arch9wavefront6targetE0EEEvSL_,comdat
.Lfunc_end1846:
	.size	_ZN7rocprim17ROCPRIM_400000_NS6detail17trampoline_kernelINS0_14default_configENS1_36segmented_radix_sort_config_selectorI6__halflEEZNS1_25segmented_radix_sort_implIS3_Lb0EPKS5_PS5_PKlPlN2at6native12_GLOBAL__N_18offset_tEEE10hipError_tPvRmT1_PNSt15iterator_traitsISL_E10value_typeET2_T3_PNSM_ISR_E10value_typeET4_jRbjT5_SX_jjP12ihipStream_tbEUlT_E_NS1_11comp_targetILNS1_3genE2ELNS1_11target_archE906ELNS1_3gpuE6ELNS1_3repE0EEENS1_30default_config_static_selectorELNS0_4arch9wavefront6targetE0EEEvSL_, .Lfunc_end1846-_ZN7rocprim17ROCPRIM_400000_NS6detail17trampoline_kernelINS0_14default_configENS1_36segmented_radix_sort_config_selectorI6__halflEEZNS1_25segmented_radix_sort_implIS3_Lb0EPKS5_PS5_PKlPlN2at6native12_GLOBAL__N_18offset_tEEE10hipError_tPvRmT1_PNSt15iterator_traitsISL_E10value_typeET2_T3_PNSM_ISR_E10value_typeET4_jRbjT5_SX_jjP12ihipStream_tbEUlT_E_NS1_11comp_targetILNS1_3genE2ELNS1_11target_archE906ELNS1_3gpuE6ELNS1_3repE0EEENS1_30default_config_static_selectorELNS0_4arch9wavefront6targetE0EEEvSL_
                                        ; -- End function
	.set _ZN7rocprim17ROCPRIM_400000_NS6detail17trampoline_kernelINS0_14default_configENS1_36segmented_radix_sort_config_selectorI6__halflEEZNS1_25segmented_radix_sort_implIS3_Lb0EPKS5_PS5_PKlPlN2at6native12_GLOBAL__N_18offset_tEEE10hipError_tPvRmT1_PNSt15iterator_traitsISL_E10value_typeET2_T3_PNSM_ISR_E10value_typeET4_jRbjT5_SX_jjP12ihipStream_tbEUlT_E_NS1_11comp_targetILNS1_3genE2ELNS1_11target_archE906ELNS1_3gpuE6ELNS1_3repE0EEENS1_30default_config_static_selectorELNS0_4arch9wavefront6targetE0EEEvSL_.num_vgpr, 0
	.set _ZN7rocprim17ROCPRIM_400000_NS6detail17trampoline_kernelINS0_14default_configENS1_36segmented_radix_sort_config_selectorI6__halflEEZNS1_25segmented_radix_sort_implIS3_Lb0EPKS5_PS5_PKlPlN2at6native12_GLOBAL__N_18offset_tEEE10hipError_tPvRmT1_PNSt15iterator_traitsISL_E10value_typeET2_T3_PNSM_ISR_E10value_typeET4_jRbjT5_SX_jjP12ihipStream_tbEUlT_E_NS1_11comp_targetILNS1_3genE2ELNS1_11target_archE906ELNS1_3gpuE6ELNS1_3repE0EEENS1_30default_config_static_selectorELNS0_4arch9wavefront6targetE0EEEvSL_.num_agpr, 0
	.set _ZN7rocprim17ROCPRIM_400000_NS6detail17trampoline_kernelINS0_14default_configENS1_36segmented_radix_sort_config_selectorI6__halflEEZNS1_25segmented_radix_sort_implIS3_Lb0EPKS5_PS5_PKlPlN2at6native12_GLOBAL__N_18offset_tEEE10hipError_tPvRmT1_PNSt15iterator_traitsISL_E10value_typeET2_T3_PNSM_ISR_E10value_typeET4_jRbjT5_SX_jjP12ihipStream_tbEUlT_E_NS1_11comp_targetILNS1_3genE2ELNS1_11target_archE906ELNS1_3gpuE6ELNS1_3repE0EEENS1_30default_config_static_selectorELNS0_4arch9wavefront6targetE0EEEvSL_.numbered_sgpr, 0
	.set _ZN7rocprim17ROCPRIM_400000_NS6detail17trampoline_kernelINS0_14default_configENS1_36segmented_radix_sort_config_selectorI6__halflEEZNS1_25segmented_radix_sort_implIS3_Lb0EPKS5_PS5_PKlPlN2at6native12_GLOBAL__N_18offset_tEEE10hipError_tPvRmT1_PNSt15iterator_traitsISL_E10value_typeET2_T3_PNSM_ISR_E10value_typeET4_jRbjT5_SX_jjP12ihipStream_tbEUlT_E_NS1_11comp_targetILNS1_3genE2ELNS1_11target_archE906ELNS1_3gpuE6ELNS1_3repE0EEENS1_30default_config_static_selectorELNS0_4arch9wavefront6targetE0EEEvSL_.num_named_barrier, 0
	.set _ZN7rocprim17ROCPRIM_400000_NS6detail17trampoline_kernelINS0_14default_configENS1_36segmented_radix_sort_config_selectorI6__halflEEZNS1_25segmented_radix_sort_implIS3_Lb0EPKS5_PS5_PKlPlN2at6native12_GLOBAL__N_18offset_tEEE10hipError_tPvRmT1_PNSt15iterator_traitsISL_E10value_typeET2_T3_PNSM_ISR_E10value_typeET4_jRbjT5_SX_jjP12ihipStream_tbEUlT_E_NS1_11comp_targetILNS1_3genE2ELNS1_11target_archE906ELNS1_3gpuE6ELNS1_3repE0EEENS1_30default_config_static_selectorELNS0_4arch9wavefront6targetE0EEEvSL_.private_seg_size, 0
	.set _ZN7rocprim17ROCPRIM_400000_NS6detail17trampoline_kernelINS0_14default_configENS1_36segmented_radix_sort_config_selectorI6__halflEEZNS1_25segmented_radix_sort_implIS3_Lb0EPKS5_PS5_PKlPlN2at6native12_GLOBAL__N_18offset_tEEE10hipError_tPvRmT1_PNSt15iterator_traitsISL_E10value_typeET2_T3_PNSM_ISR_E10value_typeET4_jRbjT5_SX_jjP12ihipStream_tbEUlT_E_NS1_11comp_targetILNS1_3genE2ELNS1_11target_archE906ELNS1_3gpuE6ELNS1_3repE0EEENS1_30default_config_static_selectorELNS0_4arch9wavefront6targetE0EEEvSL_.uses_vcc, 0
	.set _ZN7rocprim17ROCPRIM_400000_NS6detail17trampoline_kernelINS0_14default_configENS1_36segmented_radix_sort_config_selectorI6__halflEEZNS1_25segmented_radix_sort_implIS3_Lb0EPKS5_PS5_PKlPlN2at6native12_GLOBAL__N_18offset_tEEE10hipError_tPvRmT1_PNSt15iterator_traitsISL_E10value_typeET2_T3_PNSM_ISR_E10value_typeET4_jRbjT5_SX_jjP12ihipStream_tbEUlT_E_NS1_11comp_targetILNS1_3genE2ELNS1_11target_archE906ELNS1_3gpuE6ELNS1_3repE0EEENS1_30default_config_static_selectorELNS0_4arch9wavefront6targetE0EEEvSL_.uses_flat_scratch, 0
	.set _ZN7rocprim17ROCPRIM_400000_NS6detail17trampoline_kernelINS0_14default_configENS1_36segmented_radix_sort_config_selectorI6__halflEEZNS1_25segmented_radix_sort_implIS3_Lb0EPKS5_PS5_PKlPlN2at6native12_GLOBAL__N_18offset_tEEE10hipError_tPvRmT1_PNSt15iterator_traitsISL_E10value_typeET2_T3_PNSM_ISR_E10value_typeET4_jRbjT5_SX_jjP12ihipStream_tbEUlT_E_NS1_11comp_targetILNS1_3genE2ELNS1_11target_archE906ELNS1_3gpuE6ELNS1_3repE0EEENS1_30default_config_static_selectorELNS0_4arch9wavefront6targetE0EEEvSL_.has_dyn_sized_stack, 0
	.set _ZN7rocprim17ROCPRIM_400000_NS6detail17trampoline_kernelINS0_14default_configENS1_36segmented_radix_sort_config_selectorI6__halflEEZNS1_25segmented_radix_sort_implIS3_Lb0EPKS5_PS5_PKlPlN2at6native12_GLOBAL__N_18offset_tEEE10hipError_tPvRmT1_PNSt15iterator_traitsISL_E10value_typeET2_T3_PNSM_ISR_E10value_typeET4_jRbjT5_SX_jjP12ihipStream_tbEUlT_E_NS1_11comp_targetILNS1_3genE2ELNS1_11target_archE906ELNS1_3gpuE6ELNS1_3repE0EEENS1_30default_config_static_selectorELNS0_4arch9wavefront6targetE0EEEvSL_.has_recursion, 0
	.set _ZN7rocprim17ROCPRIM_400000_NS6detail17trampoline_kernelINS0_14default_configENS1_36segmented_radix_sort_config_selectorI6__halflEEZNS1_25segmented_radix_sort_implIS3_Lb0EPKS5_PS5_PKlPlN2at6native12_GLOBAL__N_18offset_tEEE10hipError_tPvRmT1_PNSt15iterator_traitsISL_E10value_typeET2_T3_PNSM_ISR_E10value_typeET4_jRbjT5_SX_jjP12ihipStream_tbEUlT_E_NS1_11comp_targetILNS1_3genE2ELNS1_11target_archE906ELNS1_3gpuE6ELNS1_3repE0EEENS1_30default_config_static_selectorELNS0_4arch9wavefront6targetE0EEEvSL_.has_indirect_call, 0
	.section	.AMDGPU.csdata,"",@progbits
; Kernel info:
; codeLenInByte = 0
; TotalNumSgprs: 0
; NumVgprs: 0
; ScratchSize: 0
; MemoryBound: 0
; FloatMode: 240
; IeeeMode: 1
; LDSByteSize: 0 bytes/workgroup (compile time only)
; SGPRBlocks: 0
; VGPRBlocks: 0
; NumSGPRsForWavesPerEU: 1
; NumVGPRsForWavesPerEU: 1
; Occupancy: 16
; WaveLimiterHint : 0
; COMPUTE_PGM_RSRC2:SCRATCH_EN: 0
; COMPUTE_PGM_RSRC2:USER_SGPR: 2
; COMPUTE_PGM_RSRC2:TRAP_HANDLER: 0
; COMPUTE_PGM_RSRC2:TGID_X_EN: 1
; COMPUTE_PGM_RSRC2:TGID_Y_EN: 0
; COMPUTE_PGM_RSRC2:TGID_Z_EN: 0
; COMPUTE_PGM_RSRC2:TIDIG_COMP_CNT: 0
	.text
	.p2align	2                               ; -- Begin function _ZN7rocprim17ROCPRIM_400000_NS6detail40segmented_radix_sort_single_block_helperI6__halflLj256ELj8ELb0EE4sortIPKS3_PS3_PKlPlEEbT_T0_T1_T2_jjjjRNS4_12storage_typeE
	.type	_ZN7rocprim17ROCPRIM_400000_NS6detail40segmented_radix_sort_single_block_helperI6__halflLj256ELj8ELb0EE4sortIPKS3_PS3_PKlPlEEbT_T0_T1_T2_jjjjRNS4_12storage_typeE,@function
_ZN7rocprim17ROCPRIM_400000_NS6detail40segmented_radix_sort_single_block_helperI6__halflLj256ELj8ELb0EE4sortIPKS3_PS3_PKlPlEEbT_T0_T1_T2_jjjjRNS4_12storage_typeE: ; @_ZN7rocprim17ROCPRIM_400000_NS6detail40segmented_radix_sort_single_block_helperI6__halflLj256ELj8ELb0EE4sortIPKS3_PS3_PKlPlEEbT_T0_T1_T2_jjjjRNS4_12storage_typeE
; %bb.0:
	s_wait_loadcnt_dscnt 0x0
	s_wait_expcnt 0x0
	s_wait_samplecnt 0x0
	s_wait_bvhcnt 0x0
	s_wait_kmcnt 0x0
	v_sub_nc_u32_e32 v128, v9, v8
	s_mov_b32 s16, exec_lo
	s_delay_alu instid0(VALU_DEP_1)
	v_cmpx_gt_u32_e32 0x801, v128
	s_cbranch_execz .LBB1847_199
; %bb.1:
	v_bfe_u32 v9, v31, 10, 10
	v_bfe_u32 v14, v31, 20, 10
	v_and_b32_e32 v30, 0x3ff, v31
	v_mbcnt_lo_u32_b32 v66, -1, 0
	s_mov_b32 s0, exec_lo
	v_cmpx_lt_u32_e32 0x400, v128
	s_wait_alu 0xfffe
	s_xor_b32 s17, exec_lo, s0
	s_cbranch_execz .LBB1847_79
; %bb.2:
	s_load_b64 s[0:1], s[8:9], 0x0
	s_and_b32 s2, ttmp7, 0xffff
	s_mov_b32 s3, 0
	v_dual_mov_b32 v16, 0x7fff :: v_dual_lshlrev_b32 v17, 1, v66
	s_wait_kmcnt 0x0
	s_wait_alu 0xfffe
	s_cmp_lt_u32 s2, s1
	s_cselect_b32 s2, 14, 20
	s_cmp_lt_u32 ttmp9, s0
	s_wait_alu 0xfffe
	s_add_nc_u64 s[4:5], s[8:9], s[2:3]
	s_cselect_b32 s2, 12, 18
	s_load_u16 s4, s[4:5], 0x0
	s_add_nc_u64 s[0:1], s[8:9], s[2:3]
	s_load_u16 s0, s[0:1], 0x0
	s_wait_kmcnt 0x0
	v_mad_u32_u24 v9, v14, s4, v9
	s_delay_alu instid0(VALU_DEP_1) | instskip(NEXT) | instid1(VALU_DEP_1)
	v_mad_co_u64_u32 v[24:25], null, v9, s0, v[30:31]
	v_dual_mov_b32 v9, 0 :: v_dual_lshlrev_b32 v14, 3, v24
	s_delay_alu instid0(VALU_DEP_1) | instskip(NEXT) | instid1(VALU_DEP_2)
	v_lshlrev_b64_e32 v[26:27], 1, v[8:9]
	v_dual_mov_b32 v15, v9 :: v_dual_and_b32 v14, 0xffffff00, v14
	s_delay_alu instid0(VALU_DEP_2) | instskip(SKIP_1) | instid1(VALU_DEP_3)
	v_add_co_u32 v18, vcc_lo, v0, v26
	s_wait_alu 0xfffd
	v_add_co_ci_u32_e64 v19, null, v1, v27, vcc_lo
	s_delay_alu instid0(VALU_DEP_3) | instskip(NEXT) | instid1(VALU_DEP_3)
	v_lshlrev_b64_e32 v[0:1], 1, v[14:15]
	v_add_co_u32 v17, vcc_lo, v18, v17
	v_or_b32_e32 v25, v14, v66
	s_wait_alu 0xfffd
	v_add_co_ci_u32_e64 v18, null, 0, v19, vcc_lo
	s_delay_alu instid0(VALU_DEP_3) | instskip(NEXT) | instid1(VALU_DEP_3)
	v_add_co_u32 v0, s0, v17, v0
	v_cmp_lt_u32_e32 vcc_lo, v25, v128
	s_wait_alu 0xf1ff
	s_delay_alu instid0(VALU_DEP_3)
	v_add_co_ci_u32_e64 v1, null, v18, v1, s0
	v_mov_b32_e32 v17, 0x7fff
	s_and_saveexec_b32 s0, vcc_lo
	s_cbranch_execz .LBB1847_4
; %bb.3:
	flat_load_u16 v17, v[0:1]
.LBB1847_4:
	s_wait_alu 0xfffe
	s_or_b32 exec_lo, exec_lo, s0
	v_or_b32_e32 v18, 32, v25
	s_delay_alu instid0(VALU_DEP_1)
	v_cmp_lt_u32_e64 s0, v18, v128
	s_and_saveexec_b32 s1, s0
	s_cbranch_execz .LBB1847_6
; %bb.5:
	flat_load_u16 v16, v[0:1] offset:64
.LBB1847_6:
	s_wait_alu 0xfffe
	s_or_b32 exec_lo, exec_lo, s1
	v_or_b32_e32 v19, 64, v25
	v_mov_b32_e32 v18, 0x7fff
	s_delay_alu instid0(VALU_DEP_2)
	v_cmp_lt_u32_e64 s1, v19, v128
	v_mov_b32_e32 v19, 0x7fff
	s_and_saveexec_b32 s2, s1
	s_cbranch_execz .LBB1847_8
; %bb.7:
	flat_load_u16 v19, v[0:1] offset:128
.LBB1847_8:
	s_wait_alu 0xfffe
	s_or_b32 exec_lo, exec_lo, s2
	v_or_b32_e32 v20, 0x60, v25
	s_delay_alu instid0(VALU_DEP_1)
	v_cmp_lt_u32_e64 s2, v20, v128
	s_and_saveexec_b32 s3, s2
	s_cbranch_execz .LBB1847_10
; %bb.9:
	flat_load_u16 v18, v[0:1] offset:192
.LBB1847_10:
	s_wait_alu 0xfffe
	s_or_b32 exec_lo, exec_lo, s3
	v_or_b32_e32 v21, 0x80, v25
	v_mov_b32_e32 v20, 0x7fff
	s_delay_alu instid0(VALU_DEP_2)
	v_cmp_lt_u32_e64 s3, v21, v128
	v_mov_b32_e32 v21, 0x7fff
	s_and_saveexec_b32 s4, s3
	s_cbranch_execz .LBB1847_12
; %bb.11:
	flat_load_u16 v21, v[0:1] offset:256
.LBB1847_12:
	;; [unrolled: 22-line block ×3, first 2 shown]
	s_wait_alu 0xfffe
	s_or_b32 exec_lo, exec_lo, s6
	v_or_b32_e32 v25, 0xe0, v25
	s_delay_alu instid0(VALU_DEP_1)
	v_cmp_lt_u32_e64 s6, v25, v128
	s_and_saveexec_b32 s7, s6
	s_cbranch_execz .LBB1847_18
; %bb.17:
	flat_load_u16 v22, v[0:1] offset:448
.LBB1847_18:
	s_wait_alu 0xfffe
	s_or_b32 exec_lo, exec_lo, s7
	v_lshlrev_b64_e32 v[0:1], 3, v[8:9]
	v_lshlrev_b32_e32 v8, 3, v66
                                        ; implicit-def: $vgpr33_vgpr34
	s_delay_alu instid0(VALU_DEP_2) | instskip(SKIP_1) | instid1(VALU_DEP_3)
	v_add_co_u32 v9, s7, v4, v0
	s_wait_alu 0xf1ff
	v_add_co_ci_u32_e64 v25, null, v5, v1, s7
	v_lshlrev_b64_e32 v[4:5], 3, v[14:15]
	s_delay_alu instid0(VALU_DEP_3) | instskip(SKIP_1) | instid1(VALU_DEP_3)
	v_add_co_u32 v8, s7, v9, v8
	s_wait_alu 0xf1ff
	v_add_co_ci_u32_e64 v9, null, 0, v25, s7
	s_delay_alu instid0(VALU_DEP_2) | instskip(SKIP_1) | instid1(VALU_DEP_2)
	v_add_co_u32 v4, s7, v8, v4
	s_wait_alu 0xf1ff
	v_add_co_ci_u32_e64 v5, null, v9, v5, s7
	s_and_saveexec_b32 s7, vcc_lo
	s_cbranch_execnz .LBB1847_112
; %bb.19:
	s_wait_alu 0xfffe
	s_or_b32 exec_lo, exec_lo, s7
                                        ; implicit-def: $vgpr35_vgpr36
	s_and_saveexec_b32 s7, s0
	s_cbranch_execnz .LBB1847_113
.LBB1847_20:
	s_wait_alu 0xfffe
	s_or_b32 exec_lo, exec_lo, s7
                                        ; implicit-def: $vgpr37_vgpr38
	s_and_saveexec_b32 s0, s1
	s_cbranch_execnz .LBB1847_114
.LBB1847_21:
	s_wait_alu 0xfffe
	s_or_b32 exec_lo, exec_lo, s0
                                        ; implicit-def: $vgpr48_vgpr49
	s_and_saveexec_b32 s0, s2
	s_cbranch_execnz .LBB1847_115
.LBB1847_22:
	s_wait_alu 0xfffe
	s_or_b32 exec_lo, exec_lo, s0
                                        ; implicit-def: $vgpr50_vgpr51
	s_and_saveexec_b32 s0, s3
	s_cbranch_execnz .LBB1847_116
.LBB1847_23:
	s_wait_alu 0xfffe
	s_or_b32 exec_lo, exec_lo, s0
                                        ; implicit-def: $vgpr52_vgpr53
	s_and_saveexec_b32 s0, s4
	s_cbranch_execnz .LBB1847_117
.LBB1847_24:
	s_wait_alu 0xfffe
	s_or_b32 exec_lo, exec_lo, s0
                                        ; implicit-def: $vgpr54_vgpr55
	s_and_saveexec_b32 s0, s5
	s_cbranch_execnz .LBB1847_118
.LBB1847_25:
	s_wait_alu 0xfffe
	s_or_b32 exec_lo, exec_lo, s0
                                        ; implicit-def: $vgpr64_vgpr65
	s_and_saveexec_b32 s0, s6
	s_cbranch_execz .LBB1847_27
.LBB1847_26:
	flat_load_b64 v[64:65], v[4:5] offset:1792
.LBB1847_27:
	s_wait_alu 0xfffe
	s_or_b32 exec_lo, exec_lo, s0
	s_wait_loadcnt_dscnt 0x0
	v_cmp_lt_i16_e32 vcc_lo, -1, v17
	s_getpc_b64 s[0:1]
	s_wait_alu 0xfffe
	s_sext_i32_i16 s1, s1
	s_add_co_u32 s0, s0, _ZN7rocprim17ROCPRIM_400000_NS16block_radix_sortI6__halfLj256ELj8ElLj1ELj1ELj8ELNS0_26block_radix_rank_algorithmE2ELNS0_18block_padding_hintE2ELNS0_4arch9wavefront6targetE0EE19radix_bits_per_passE@rel32@lo+12
	s_wait_alu 0xfffe
	s_add_co_ci_u32 s1, s1, _ZN7rocprim17ROCPRIM_400000_NS16block_radix_sortI6__halfLj256ELj8ElLj1ELj1ELj8ELNS0_26block_radix_rank_algorithmE2ELNS0_18block_padding_hintE2ELNS0_4arch9wavefront6targetE0EE19radix_bits_per_passE@rel32@hi+24
	v_lshrrev_b32_e32 v135, 5, v24
	s_load_b32 s18, s[0:1], 0x0
	v_cmp_gt_u32_e64 s6, 8, v30
	v_cndmask_b32_e64 v4, -1, 0xffff8000, vcc_lo
	v_cmp_lt_i16_e32 vcc_lo, -1, v16
	v_cmp_lt_u32_e64 s7, 31, v30
	v_cmp_eq_u32_e64 s10, 0, v30
	v_lshl_add_u32 v146, v30, 2, v12
	v_xor_b32_e32 v197, v4, v17
	s_wait_alu 0xfffd
	v_cndmask_b32_e64 v5, -1, 0xffff8000, vcc_lo
	v_cmp_lt_i16_e32 vcc_lo, -1, v19
	v_sub_nc_u32_e32 v180, v11, v10
	s_mov_b32 s19, 0
	s_wait_storecnt 0x0
	v_xor_b32_e32 v69, v5, v16
	s_wait_alu 0xfffd
	v_cndmask_b32_e64 v8, -1, 0xffff8000, vcc_lo
	v_cmp_lt_i16_e32 vcc_lo, -1, v18
	s_barrier_signal -1
	s_barrier_wait -1
	global_inv scope:SCOPE_SE
	v_xor_b32_e32 v71, v8, v19
	s_wait_alu 0xfffd
	v_cndmask_b32_e64 v9, -1, 0xffff8000, vcc_lo
	v_cmp_lt_i16_e32 vcc_lo, -1, v21
	s_delay_alu instid0(VALU_DEP_2) | instskip(SKIP_4) | instid1(VALU_DEP_3)
	v_xor_b32_e32 v81, v9, v18
	s_wait_alu 0xfffd
	v_cndmask_b32_e64 v14, -1, 0xffff8000, vcc_lo
	v_cmp_lt_i16_e32 vcc_lo, -1, v20
	v_and_b32_e32 v9, 16, v66
	v_xor_b32_e32 v83, v14, v21
	s_wait_alu 0xfffd
	v_cndmask_b32_e64 v4, -1, 0xffff8000, vcc_lo
	v_cmp_lt_i16_e32 vcc_lo, -1, v23
	v_sub_co_u32 v14, s2, v66, 1
	v_cmp_eq_u32_e64 s4, 0, v9
	s_delay_alu instid0(VALU_DEP_4)
	v_xor_b32_e32 v85, v4, v20
	s_wait_alu 0xfffd
	v_cndmask_b32_e64 v5, -1, 0xffff8000, vcc_lo
	v_cmp_lt_i16_e32 vcc_lo, -1, v22
	v_lshl_add_u32 v4, v30, 5, v12
	v_cmp_gt_i32_e64 s5, 0, v14
	s_delay_alu instid0(VALU_DEP_4)
	v_xor_b32_e32 v87, v5, v23
	s_wait_alu 0xfffd
	v_cndmask_b32_e64 v8, -1, 0xffff8000, vcc_lo
	v_add_nc_u32_e32 v25, 32, v4
	v_add_nc_u32_e32 v39, 36, v4
	;; [unrolled: 1-line block ×8, first 2 shown]
	v_and_b32_e32 v4, 0x3e0, v30
	v_xor_b32_e32 v67, v8, v22
	v_and_b32_e32 v8, 15, v66
	v_lshlrev_b32_e32 v5, 3, v30
	s_wait_alu 0xf1ff
	v_cndmask_b32_e64 v9, v14, v66, s5
	v_min_u32_e32 v4, 0xe0, v4
	v_cmp_eq_u32_e32 vcc_lo, 0, v8
	v_cmp_lt_u32_e64 s0, 1, v8
	v_cmp_lt_u32_e64 s1, 3, v8
	;; [unrolled: 1-line block ×3, first 2 shown]
	v_or_b32_e32 v4, 31, v4
	v_lshrrev_b32_e32 v8, 3, v30
	v_lshlrev_b32_e32 v144, 2, v9
	v_and_or_b32 v9, 0x1f00, v5, v66
	v_mov_b32_e32 v5, 0
	v_cmp_eq_u32_e64 s5, v30, v4
	v_and_b32_e32 v4, 0x7c, v8
	v_and_b32_e32 v8, 7, v66
	v_lshl_add_u32 v147, v9, 1, v12
	s_delay_alu instid0(VALU_DEP_3) | instskip(SKIP_1) | instid1(VALU_DEP_4)
	v_add_nc_u32_e32 v145, v12, v4
	v_mul_u32_u24_e32 v4, 6, v9
	v_cmp_eq_u32_e64 s11, 0, v8
	v_cmp_lt_u32_e64 s12, 1, v8
	v_cmp_lt_u32_e64 s13, 3, v8
	v_add_nc_u32_e32 v148, -4, v145
	v_add_nc_u32_e32 v160, v147, v4
	v_add_nc_u32_e32 v149, 64, v147
	;; [unrolled: 1-line block ×15, first 2 shown]
	s_branch .LBB1847_29
.LBB1847_28:                            ;   in Loop: Header=BB1847_29 Depth=1
	s_wait_alu 0xfffe
	s_or_b32 exec_lo, exec_lo, s15
	s_delay_alu instid0(SALU_CYCLE_1)
	s_and_b32 s14, exec_lo, s20
	s_wait_alu 0xfffe
	s_or_b32 s19, s14, s19
	s_wait_alu 0xfffe
	s_and_not1_b32 exec_lo, exec_lo, s19
	s_cbranch_execz .LBB1847_53
.LBB1847_29:                            ; =>This Inner Loop Header: Depth=1
	v_mov_b32_e32 v181, v197
	v_dual_mov_b32 v31, v33 :: v_dual_mov_b32 v22, v35
	v_mov_b32_e32 v32, v34
	s_wait_kmcnt 0x0
	v_min_u32_e32 v4, s18, v180
	v_cmp_ne_u16_e64 s14, 0x7fff, v181
	v_dual_mov_b32 v23, v36 :: v_dual_mov_b32 v20, v37
	v_dual_mov_b32 v14, v50 :: v_dual_mov_b32 v15, v51
	s_wait_alu 0xf1ff
	s_delay_alu instid0(VALU_DEP_3) | instskip(SKIP_3) | instid1(VALU_DEP_4)
	v_cndmask_b32_e64 v8, 0xffff8000, v181, s14
	v_mov_b32_e32 v21, v38
	v_lshlrev_b32_e64 v4, v4, -1
	v_dual_mov_b32 v28, v48 :: v_dual_mov_b32 v29, v49
	v_and_b32_e32 v16, 0xffff, v8
	v_dual_mov_b32 v8, v52 :: v_dual_mov_b32 v9, v53
	s_delay_alu instid0(VALU_DEP_4) | instskip(SKIP_1) | instid1(VALU_DEP_4)
	v_not_b32_e32 v36, v4
	v_dual_mov_b32 v18, v54 :: v_dual_mov_b32 v19, v55
	v_lshrrev_b32_e32 v4, v10, v16
	v_dual_mov_b32 v16, v64 :: v_dual_mov_b32 v17, v65
	v_dual_mov_b32 v183, v69 :: v_dual_mov_b32 v182, v71
	s_delay_alu instid0(VALU_DEP_3) | instskip(SKIP_2) | instid1(VALU_DEP_3)
	v_dual_mov_b32 v195, v81 :: v_dual_and_b32 v4, v4, v36
	v_mov_b32_e32 v192, v87
	v_dual_mov_b32 v194, v83 :: v_dual_mov_b32 v193, v85
	v_and_b32_e32 v33, 1, v4
	v_lshlrev_b32_e32 v34, 30, v4
	v_dual_mov_b32 v196, v67 :: v_dual_lshlrev_b32 v35, 29, v4
	v_lshlrev_b32_e32 v37, 28, v4
	s_delay_alu instid0(VALU_DEP_4)
	v_add_co_u32 v33, s14, v33, -1
	s_wait_alu 0xf1ff
	v_cndmask_b32_e64 v38, 0, 1, s14
	v_not_b32_e32 v51, v34
	v_cmp_gt_i32_e64 s15, 0, v34
	v_not_b32_e32 v34, v35
	v_lshlrev_b32_e32 v48, 27, v4
	v_cmp_ne_u32_e64 s14, 0, v38
	v_ashrrev_i32_e32 v51, 31, v51
	v_lshlrev_b32_e32 v49, 26, v4
	v_ashrrev_i32_e32 v34, 31, v34
	v_lshlrev_b32_e32 v50, 25, v4
	s_wait_alu 0xf1ff
	v_xor_b32_e32 v33, s14, v33
	v_cmp_gt_i32_e64 s14, 0, v35
	v_not_b32_e32 v35, v37
	v_xor_b32_e32 v51, s15, v51
	v_cmp_gt_i32_e64 s15, 0, v37
	v_and_b32_e32 v33, exec_lo, v33
	v_not_b32_e32 v37, v48
	v_ashrrev_i32_e32 v35, 31, v35
	s_wait_alu 0xf1ff
	v_xor_b32_e32 v34, s14, v34
	v_cmp_gt_i32_e64 s14, 0, v48
	v_and_b32_e32 v33, v33, v51
	v_not_b32_e32 v48, v49
	v_ashrrev_i32_e32 v37, 31, v37
	v_xor_b32_e32 v35, s15, v35
	v_lshlrev_b32_e32 v38, 24, v4
	v_and_b32_e32 v33, v33, v34
	v_cmp_gt_i32_e64 s15, 0, v49
	v_not_b32_e32 v34, v50
	v_ashrrev_i32_e32 v48, 31, v48
	s_wait_alu 0xf1ff
	v_xor_b32_e32 v37, s14, v37
	v_and_b32_e32 v33, v33, v35
	v_cmp_gt_i32_e64 s14, 0, v50
	v_not_b32_e32 v35, v38
	v_ashrrev_i32_e32 v34, 31, v34
	v_xor_b32_e32 v48, s15, v48
	v_and_b32_e32 v33, v33, v37
	v_cmp_gt_i32_e64 s15, 0, v38
	v_ashrrev_i32_e32 v35, 31, v35
	s_wait_alu 0xf1ff
	v_xor_b32_e32 v34, s14, v34
	v_lshlrev_b32_e32 v4, 3, v4
	v_and_b32_e32 v33, v33, v48
	ds_store_b32 v25, v5
	ds_store_b32 v39, v5
	;; [unrolled: 1-line block ×3, first 2 shown]
	v_xor_b32_e32 v35, s15, v35
	ds_store_b32 v130, v5
	ds_store_b32 v131, v5
	;; [unrolled: 1-line block ×3, first 2 shown]
	v_and_b32_e32 v33, v33, v34
	ds_store_b32 v133, v5
	ds_store_b32 v134, v5
	s_wait_loadcnt_dscnt 0x0
	s_barrier_signal -1
	s_barrier_wait -1
	v_and_b32_e32 v34, v33, v35
	v_add_lshl_u32 v33, v4, v135, 2
	global_inv scope:SCOPE_SE
	; wave barrier
	v_mbcnt_lo_u32_b32 v4, v34, 0
	v_add_co_u32 v33, null, v12, v33
	v_cmp_ne_u32_e64 s15, 0, v34
	s_delay_alu instid0(VALU_DEP_3) | instskip(NEXT) | instid1(VALU_DEP_3)
	v_cmp_eq_u32_e64 s14, 0, v4
	v_add_co_u32 v33, null, v33, 32
	s_and_b32 s15, s15, s14
	s_wait_alu 0xfffe
	s_and_saveexec_b32 s14, s15
; %bb.30:                               ;   in Loop: Header=BB1847_29 Depth=1
	v_bcnt_u32_b32 v34, v34, 0
	ds_store_b32 v33, v34
; %bb.31:                               ;   in Loop: Header=BB1847_29 Depth=1
	s_wait_alu 0xfffe
	s_or_b32 exec_lo, exec_lo, s14
	v_cmp_ne_u16_e64 s14, 0x7fff, v183
	; wave barrier
	s_wait_alu 0xf1ff
	s_delay_alu instid0(VALU_DEP_1) | instskip(NEXT) | instid1(VALU_DEP_1)
	v_cndmask_b32_e64 v34, 0xffff8000, v183, s14
	v_and_b32_e32 v34, 0xffff, v34
	s_delay_alu instid0(VALU_DEP_1) | instskip(NEXT) | instid1(VALU_DEP_1)
	v_lshrrev_b32_e32 v34, v10, v34
	v_and_b32_e32 v34, v34, v36
	s_delay_alu instid0(VALU_DEP_1)
	v_and_b32_e32 v35, 1, v34
	v_lshlrev_b32_e32 v37, 30, v34
	v_lshlrev_b32_e32 v38, 29, v34
	;; [unrolled: 1-line block ×4, first 2 shown]
	v_add_co_u32 v35, s14, v35, -1
	s_wait_alu 0xf1ff
	v_cndmask_b32_e64 v49, 0, 1, s14
	v_not_b32_e32 v53, v37
	v_cmp_gt_i32_e64 s15, 0, v37
	v_not_b32_e32 v37, v38
	v_lshlrev_b32_e32 v51, 26, v34
	v_cmp_ne_u32_e64 s14, 0, v49
	v_ashrrev_i32_e32 v53, 31, v53
	v_lshlrev_b32_e32 v52, 25, v34
	v_ashrrev_i32_e32 v37, 31, v37
	v_lshlrev_b32_e32 v49, 24, v34
	s_wait_alu 0xf1ff
	v_xor_b32_e32 v35, s14, v35
	v_cmp_gt_i32_e64 s14, 0, v38
	v_not_b32_e32 v38, v48
	v_xor_b32_e32 v53, s15, v53
	v_cmp_gt_i32_e64 s15, 0, v48
	v_and_b32_e32 v35, exec_lo, v35
	v_not_b32_e32 v48, v50
	v_ashrrev_i32_e32 v38, 31, v38
	s_wait_alu 0xf1ff
	v_xor_b32_e32 v37, s14, v37
	v_cmp_gt_i32_e64 s14, 0, v50
	v_and_b32_e32 v35, v35, v53
	v_not_b32_e32 v50, v51
	v_ashrrev_i32_e32 v48, 31, v48
	v_xor_b32_e32 v38, s15, v38
	v_cmp_gt_i32_e64 s15, 0, v51
	v_and_b32_e32 v35, v35, v37
	v_not_b32_e32 v37, v52
	v_ashrrev_i32_e32 v50, 31, v50
	s_wait_alu 0xf1ff
	v_xor_b32_e32 v48, s14, v48
	v_cmp_gt_i32_e64 s14, 0, v52
	v_and_b32_e32 v35, v35, v38
	v_not_b32_e32 v38, v49
	v_ashrrev_i32_e32 v37, 31, v37
	v_xor_b32_e32 v50, s15, v50
	v_lshl_add_u32 v34, v34, 3, v135
	v_and_b32_e32 v35, v35, v48
	v_cmp_gt_i32_e64 s15, 0, v49
	v_ashrrev_i32_e32 v38, 31, v38
	s_wait_alu 0xf1ff
	v_xor_b32_e32 v37, s14, v37
	v_lshl_add_u32 v48, v34, 2, v12
	v_and_b32_e32 v35, v35, v50
	v_xor_b32_e32 v38, s15, v38
	ds_load_b32 v34, v48 offset:32
	v_and_b32_e32 v35, v35, v37
	v_add_nc_u32_e32 v37, 32, v48
	; wave barrier
	s_delay_alu instid0(VALU_DEP_2) | instskip(NEXT) | instid1(VALU_DEP_1)
	v_and_b32_e32 v38, v35, v38
	v_mbcnt_lo_u32_b32 v35, v38, 0
	v_cmp_ne_u32_e64 s15, 0, v38
	s_delay_alu instid0(VALU_DEP_2)
	v_cmp_eq_u32_e64 s14, 0, v35
	s_and_b32 s15, s15, s14
	s_wait_alu 0xfffe
	s_and_saveexec_b32 s14, s15
	s_cbranch_execz .LBB1847_33
; %bb.32:                               ;   in Loop: Header=BB1847_29 Depth=1
	s_wait_dscnt 0x0
	v_bcnt_u32_b32 v38, v38, v34
	ds_store_b32 v37, v38
.LBB1847_33:                            ;   in Loop: Header=BB1847_29 Depth=1
	s_wait_alu 0xfffe
	s_or_b32 exec_lo, exec_lo, s14
	v_cmp_ne_u16_e64 s14, 0x7fff, v182
	; wave barrier
	s_wait_alu 0xf1ff
	s_delay_alu instid0(VALU_DEP_1) | instskip(NEXT) | instid1(VALU_DEP_1)
	v_cndmask_b32_e64 v38, 0xffff8000, v182, s14
	v_and_b32_e32 v38, 0xffff, v38
	s_delay_alu instid0(VALU_DEP_1) | instskip(NEXT) | instid1(VALU_DEP_1)
	v_lshrrev_b32_e32 v38, v10, v38
	v_and_b32_e32 v38, v38, v36
	s_delay_alu instid0(VALU_DEP_1)
	v_and_b32_e32 v48, 1, v38
	v_lshlrev_b32_e32 v49, 30, v38
	v_lshlrev_b32_e32 v50, 29, v38
	;; [unrolled: 1-line block ×4, first 2 shown]
	v_add_co_u32 v48, s14, v48, -1
	s_wait_alu 0xf1ff
	v_cndmask_b32_e64 v52, 0, 1, s14
	v_not_b32_e32 v64, v49
	v_cmp_gt_i32_e64 s15, 0, v49
	v_not_b32_e32 v49, v50
	v_lshlrev_b32_e32 v54, 26, v38
	v_cmp_ne_u32_e64 s14, 0, v52
	v_ashrrev_i32_e32 v64, 31, v64
	v_lshlrev_b32_e32 v55, 25, v38
	v_ashrrev_i32_e32 v49, 31, v49
	v_lshlrev_b32_e32 v52, 24, v38
	s_wait_alu 0xf1ff
	v_xor_b32_e32 v48, s14, v48
	v_cmp_gt_i32_e64 s14, 0, v50
	v_not_b32_e32 v50, v51
	v_xor_b32_e32 v64, s15, v64
	v_cmp_gt_i32_e64 s15, 0, v51
	v_and_b32_e32 v48, exec_lo, v48
	v_not_b32_e32 v51, v53
	v_ashrrev_i32_e32 v50, 31, v50
	s_wait_alu 0xf1ff
	v_xor_b32_e32 v49, s14, v49
	v_cmp_gt_i32_e64 s14, 0, v53
	v_and_b32_e32 v48, v48, v64
	v_not_b32_e32 v53, v54
	v_ashrrev_i32_e32 v51, 31, v51
	v_xor_b32_e32 v50, s15, v50
	v_cmp_gt_i32_e64 s15, 0, v54
	v_and_b32_e32 v48, v48, v49
	v_not_b32_e32 v49, v55
	v_ashrrev_i32_e32 v53, 31, v53
	s_wait_alu 0xf1ff
	v_xor_b32_e32 v51, s14, v51
	v_cmp_gt_i32_e64 s14, 0, v55
	v_and_b32_e32 v48, v48, v50
	v_not_b32_e32 v50, v52
	v_ashrrev_i32_e32 v49, 31, v49
	v_xor_b32_e32 v53, s15, v53
	v_lshl_add_u32 v38, v38, 3, v135
	v_and_b32_e32 v48, v48, v51
	v_cmp_gt_i32_e64 s15, 0, v52
	v_ashrrev_i32_e32 v50, 31, v50
	s_wait_alu 0xf1ff
	v_xor_b32_e32 v49, s14, v49
	v_lshl_add_u32 v51, v38, 2, v12
	v_and_b32_e32 v48, v48, v53
	v_xor_b32_e32 v50, s15, v50
	ds_load_b32 v38, v51 offset:32
	v_and_b32_e32 v48, v48, v49
	v_add_nc_u32_e32 v49, 32, v51
	; wave barrier
	s_delay_alu instid0(VALU_DEP_2) | instskip(NEXT) | instid1(VALU_DEP_1)
	v_and_b32_e32 v50, v48, v50
	v_mbcnt_lo_u32_b32 v48, v50, 0
	v_cmp_ne_u32_e64 s15, 0, v50
	s_delay_alu instid0(VALU_DEP_2)
	v_cmp_eq_u32_e64 s14, 0, v48
	s_and_b32 s15, s15, s14
	s_wait_alu 0xfffe
	s_and_saveexec_b32 s14, s15
	s_cbranch_execz .LBB1847_35
; %bb.34:                               ;   in Loop: Header=BB1847_29 Depth=1
	s_wait_dscnt 0x0
	v_bcnt_u32_b32 v50, v50, v38
	ds_store_b32 v49, v50
.LBB1847_35:                            ;   in Loop: Header=BB1847_29 Depth=1
	s_wait_alu 0xfffe
	s_or_b32 exec_lo, exec_lo, s14
	v_cmp_ne_u16_e64 s14, 0x7fff, v195
	; wave barrier
	s_wait_alu 0xf1ff
	s_delay_alu instid0(VALU_DEP_1) | instskip(NEXT) | instid1(VALU_DEP_1)
	v_cndmask_b32_e64 v50, 0xffff8000, v195, s14
	v_and_b32_e32 v50, 0xffff, v50
	s_delay_alu instid0(VALU_DEP_1) | instskip(NEXT) | instid1(VALU_DEP_1)
	v_lshrrev_b32_e32 v50, v10, v50
	v_and_b32_e32 v50, v50, v36
	s_delay_alu instid0(VALU_DEP_1)
	v_and_b32_e32 v51, 1, v50
	v_lshlrev_b32_e32 v52, 30, v50
	v_lshlrev_b32_e32 v53, 29, v50
	;; [unrolled: 1-line block ×4, first 2 shown]
	v_add_co_u32 v51, s14, v51, -1
	s_wait_alu 0xf1ff
	v_cndmask_b32_e64 v55, 0, 1, s14
	v_not_b32_e32 v67, v52
	v_cmp_gt_i32_e64 s15, 0, v52
	v_not_b32_e32 v52, v53
	v_lshlrev_b32_e32 v65, 26, v50
	v_cmp_ne_u32_e64 s14, 0, v55
	v_ashrrev_i32_e32 v67, 31, v67
	v_lshlrev_b32_e32 v66, 25, v50
	v_ashrrev_i32_e32 v52, 31, v52
	v_lshlrev_b32_e32 v55, 24, v50
	s_wait_alu 0xf1ff
	v_xor_b32_e32 v51, s14, v51
	v_cmp_gt_i32_e64 s14, 0, v53
	v_not_b32_e32 v53, v54
	v_xor_b32_e32 v67, s15, v67
	v_cmp_gt_i32_e64 s15, 0, v54
	v_and_b32_e32 v51, exec_lo, v51
	v_not_b32_e32 v54, v64
	v_ashrrev_i32_e32 v53, 31, v53
	s_wait_alu 0xf1ff
	v_xor_b32_e32 v52, s14, v52
	v_cmp_gt_i32_e64 s14, 0, v64
	v_and_b32_e32 v51, v51, v67
	v_not_b32_e32 v64, v65
	v_ashrrev_i32_e32 v54, 31, v54
	v_xor_b32_e32 v53, s15, v53
	v_cmp_gt_i32_e64 s15, 0, v65
	v_and_b32_e32 v51, v51, v52
	v_not_b32_e32 v52, v66
	v_ashrrev_i32_e32 v64, 31, v64
	s_wait_alu 0xf1ff
	v_xor_b32_e32 v54, s14, v54
	v_cmp_gt_i32_e64 s14, 0, v66
	v_and_b32_e32 v51, v51, v53
	v_not_b32_e32 v53, v55
	v_ashrrev_i32_e32 v52, 31, v52
	v_xor_b32_e32 v64, s15, v64
	v_lshl_add_u32 v50, v50, 3, v135
	v_and_b32_e32 v51, v51, v54
	v_cmp_gt_i32_e64 s15, 0, v55
	v_ashrrev_i32_e32 v53, 31, v53
	s_wait_alu 0xf1ff
	v_xor_b32_e32 v52, s14, v52
	v_lshl_add_u32 v54, v50, 2, v12
	v_and_b32_e32 v51, v51, v64
	v_xor_b32_e32 v53, s15, v53
	ds_load_b32 v50, v54 offset:32
	v_and_b32_e32 v51, v51, v52
	v_add_nc_u32_e32 v52, 32, v54
	; wave barrier
	s_delay_alu instid0(VALU_DEP_2) | instskip(NEXT) | instid1(VALU_DEP_1)
	v_and_b32_e32 v53, v51, v53
	v_mbcnt_lo_u32_b32 v51, v53, 0
	v_cmp_ne_u32_e64 s15, 0, v53
	s_delay_alu instid0(VALU_DEP_2)
	v_cmp_eq_u32_e64 s14, 0, v51
	s_and_b32 s15, s15, s14
	s_wait_alu 0xfffe
	s_and_saveexec_b32 s14, s15
	s_cbranch_execz .LBB1847_37
; %bb.36:                               ;   in Loop: Header=BB1847_29 Depth=1
	s_wait_dscnt 0x0
	v_bcnt_u32_b32 v53, v53, v50
	ds_store_b32 v52, v53
.LBB1847_37:                            ;   in Loop: Header=BB1847_29 Depth=1
	s_wait_alu 0xfffe
	s_or_b32 exec_lo, exec_lo, s14
	v_cmp_ne_u16_e64 s14, 0x7fff, v194
	; wave barrier
	s_wait_alu 0xf1ff
	s_delay_alu instid0(VALU_DEP_1) | instskip(NEXT) | instid1(VALU_DEP_1)
	v_cndmask_b32_e64 v53, 0xffff8000, v194, s14
	v_and_b32_e32 v53, 0xffff, v53
	s_delay_alu instid0(VALU_DEP_1) | instskip(NEXT) | instid1(VALU_DEP_1)
	v_lshrrev_b32_e32 v53, v10, v53
	v_and_b32_e32 v53, v53, v36
	s_delay_alu instid0(VALU_DEP_1)
	v_and_b32_e32 v54, 1, v53
	v_lshlrev_b32_e32 v55, 30, v53
	v_lshlrev_b32_e32 v64, 29, v53
	;; [unrolled: 1-line block ×4, first 2 shown]
	v_add_co_u32 v54, s14, v54, -1
	s_wait_alu 0xf1ff
	v_cndmask_b32_e64 v66, 0, 1, s14
	v_not_b32_e32 v70, v55
	v_cmp_gt_i32_e64 s15, 0, v55
	v_not_b32_e32 v55, v64
	v_lshlrev_b32_e32 v68, 26, v53
	v_cmp_ne_u32_e64 s14, 0, v66
	v_ashrrev_i32_e32 v70, 31, v70
	v_lshlrev_b32_e32 v69, 25, v53
	v_ashrrev_i32_e32 v55, 31, v55
	v_lshlrev_b32_e32 v66, 24, v53
	s_wait_alu 0xf1ff
	v_xor_b32_e32 v54, s14, v54
	v_cmp_gt_i32_e64 s14, 0, v64
	v_not_b32_e32 v64, v65
	v_xor_b32_e32 v70, s15, v70
	v_cmp_gt_i32_e64 s15, 0, v65
	v_and_b32_e32 v54, exec_lo, v54
	v_not_b32_e32 v65, v67
	v_ashrrev_i32_e32 v64, 31, v64
	s_wait_alu 0xf1ff
	v_xor_b32_e32 v55, s14, v55
	v_cmp_gt_i32_e64 s14, 0, v67
	v_and_b32_e32 v54, v54, v70
	v_not_b32_e32 v67, v68
	v_ashrrev_i32_e32 v65, 31, v65
	v_xor_b32_e32 v64, s15, v64
	v_cmp_gt_i32_e64 s15, 0, v68
	v_and_b32_e32 v54, v54, v55
	v_not_b32_e32 v55, v69
	v_ashrrev_i32_e32 v67, 31, v67
	s_wait_alu 0xf1ff
	v_xor_b32_e32 v65, s14, v65
	v_cmp_gt_i32_e64 s14, 0, v69
	v_and_b32_e32 v54, v54, v64
	v_not_b32_e32 v64, v66
	v_ashrrev_i32_e32 v55, 31, v55
	v_xor_b32_e32 v67, s15, v67
	v_lshl_add_u32 v53, v53, 3, v135
	v_and_b32_e32 v54, v54, v65
	v_cmp_gt_i32_e64 s15, 0, v66
	v_ashrrev_i32_e32 v64, 31, v64
	s_wait_alu 0xf1ff
	v_xor_b32_e32 v55, s14, v55
	v_lshl_add_u32 v65, v53, 2, v12
	v_and_b32_e32 v54, v54, v67
	v_xor_b32_e32 v64, s15, v64
	ds_load_b32 v53, v65 offset:32
	v_and_b32_e32 v54, v54, v55
	v_add_nc_u32_e32 v55, 32, v65
	; wave barrier
	s_delay_alu instid0(VALU_DEP_2) | instskip(NEXT) | instid1(VALU_DEP_1)
	v_and_b32_e32 v64, v54, v64
	v_mbcnt_lo_u32_b32 v54, v64, 0
	v_cmp_ne_u32_e64 s15, 0, v64
	s_delay_alu instid0(VALU_DEP_2)
	v_cmp_eq_u32_e64 s14, 0, v54
	s_and_b32 s15, s15, s14
	s_wait_alu 0xfffe
	s_and_saveexec_b32 s14, s15
	s_cbranch_execz .LBB1847_39
; %bb.38:                               ;   in Loop: Header=BB1847_29 Depth=1
	s_wait_dscnt 0x0
	v_bcnt_u32_b32 v64, v64, v53
	ds_store_b32 v55, v64
.LBB1847_39:                            ;   in Loop: Header=BB1847_29 Depth=1
	s_wait_alu 0xfffe
	s_or_b32 exec_lo, exec_lo, s14
	v_cmp_ne_u16_e64 s14, 0x7fff, v193
	; wave barrier
	s_wait_alu 0xf1ff
	s_delay_alu instid0(VALU_DEP_1) | instskip(NEXT) | instid1(VALU_DEP_1)
	v_cndmask_b32_e64 v64, 0xffff8000, v193, s14
	v_and_b32_e32 v64, 0xffff, v64
	s_delay_alu instid0(VALU_DEP_1) | instskip(NEXT) | instid1(VALU_DEP_1)
	v_lshrrev_b32_e32 v64, v10, v64
	v_and_b32_e32 v64, v64, v36
	s_delay_alu instid0(VALU_DEP_1)
	v_and_b32_e32 v65, 1, v64
	v_lshlrev_b32_e32 v66, 30, v64
	v_lshlrev_b32_e32 v67, 29, v64
	;; [unrolled: 1-line block ×4, first 2 shown]
	v_add_co_u32 v65, s14, v65, -1
	s_wait_alu 0xf1ff
	v_cndmask_b32_e64 v69, 0, 1, s14
	v_not_b32_e32 v81, v66
	v_cmp_gt_i32_e64 s15, 0, v66
	v_not_b32_e32 v66, v67
	v_lshlrev_b32_e32 v71, 26, v64
	v_cmp_ne_u32_e64 s14, 0, v69
	v_ashrrev_i32_e32 v81, 31, v81
	v_lshlrev_b32_e32 v80, 25, v64
	v_ashrrev_i32_e32 v66, 31, v66
	v_lshlrev_b32_e32 v69, 24, v64
	s_wait_alu 0xf1ff
	v_xor_b32_e32 v65, s14, v65
	v_cmp_gt_i32_e64 s14, 0, v67
	v_not_b32_e32 v67, v68
	v_xor_b32_e32 v81, s15, v81
	v_cmp_gt_i32_e64 s15, 0, v68
	v_and_b32_e32 v65, exec_lo, v65
	v_not_b32_e32 v68, v70
	v_ashrrev_i32_e32 v67, 31, v67
	s_wait_alu 0xf1ff
	v_xor_b32_e32 v66, s14, v66
	v_cmp_gt_i32_e64 s14, 0, v70
	v_and_b32_e32 v65, v65, v81
	v_not_b32_e32 v70, v71
	v_ashrrev_i32_e32 v68, 31, v68
	v_xor_b32_e32 v67, s15, v67
	v_cmp_gt_i32_e64 s15, 0, v71
	v_and_b32_e32 v65, v65, v66
	v_not_b32_e32 v66, v80
	v_ashrrev_i32_e32 v70, 31, v70
	s_wait_alu 0xf1ff
	v_xor_b32_e32 v68, s14, v68
	v_cmp_gt_i32_e64 s14, 0, v80
	v_and_b32_e32 v65, v65, v67
	v_not_b32_e32 v67, v69
	v_ashrrev_i32_e32 v66, 31, v66
	v_xor_b32_e32 v70, s15, v70
	v_lshl_add_u32 v64, v64, 3, v135
	v_and_b32_e32 v65, v65, v68
	v_cmp_gt_i32_e64 s15, 0, v69
	v_ashrrev_i32_e32 v67, 31, v67
	s_wait_alu 0xf1ff
	v_xor_b32_e32 v66, s14, v66
	v_lshl_add_u32 v68, v64, 2, v12
	v_and_b32_e32 v65, v65, v70
	v_xor_b32_e32 v67, s15, v67
	ds_load_b32 v64, v68 offset:32
	v_and_b32_e32 v65, v65, v66
	v_add_nc_u32_e32 v66, 32, v68
	; wave barrier
	s_delay_alu instid0(VALU_DEP_2) | instskip(NEXT) | instid1(VALU_DEP_1)
	v_and_b32_e32 v67, v65, v67
	v_mbcnt_lo_u32_b32 v65, v67, 0
	v_cmp_ne_u32_e64 s15, 0, v67
	s_delay_alu instid0(VALU_DEP_2)
	v_cmp_eq_u32_e64 s14, 0, v65
	s_and_b32 s15, s15, s14
	s_wait_alu 0xfffe
	s_and_saveexec_b32 s14, s15
	s_cbranch_execz .LBB1847_41
; %bb.40:                               ;   in Loop: Header=BB1847_29 Depth=1
	s_wait_dscnt 0x0
	v_bcnt_u32_b32 v67, v67, v64
	ds_store_b32 v66, v67
.LBB1847_41:                            ;   in Loop: Header=BB1847_29 Depth=1
	s_wait_alu 0xfffe
	s_or_b32 exec_lo, exec_lo, s14
	v_cmp_ne_u16_e64 s14, 0x7fff, v192
	; wave barrier
	s_wait_alu 0xf1ff
	s_delay_alu instid0(VALU_DEP_1) | instskip(NEXT) | instid1(VALU_DEP_1)
	v_cndmask_b32_e64 v67, 0xffff8000, v192, s14
	v_and_b32_e32 v67, 0xffff, v67
	s_delay_alu instid0(VALU_DEP_1) | instskip(NEXT) | instid1(VALU_DEP_1)
	v_lshrrev_b32_e32 v67, v10, v67
	v_and_b32_e32 v67, v67, v36
	s_delay_alu instid0(VALU_DEP_1)
	v_and_b32_e32 v68, 1, v67
	v_lshlrev_b32_e32 v69, 30, v67
	v_lshlrev_b32_e32 v70, 29, v67
	;; [unrolled: 1-line block ×4, first 2 shown]
	v_add_co_u32 v68, s14, v68, -1
	s_wait_alu 0xf1ff
	v_cndmask_b32_e64 v80, 0, 1, s14
	v_not_b32_e32 v84, v69
	v_cmp_gt_i32_e64 s15, 0, v69
	v_not_b32_e32 v69, v70
	v_lshlrev_b32_e32 v82, 26, v67
	v_cmp_ne_u32_e64 s14, 0, v80
	v_ashrrev_i32_e32 v84, 31, v84
	v_lshlrev_b32_e32 v83, 25, v67
	v_ashrrev_i32_e32 v69, 31, v69
	v_lshlrev_b32_e32 v80, 24, v67
	s_wait_alu 0xf1ff
	v_xor_b32_e32 v68, s14, v68
	v_cmp_gt_i32_e64 s14, 0, v70
	v_not_b32_e32 v70, v71
	v_xor_b32_e32 v84, s15, v84
	v_cmp_gt_i32_e64 s15, 0, v71
	v_and_b32_e32 v68, exec_lo, v68
	v_not_b32_e32 v71, v81
	v_ashrrev_i32_e32 v70, 31, v70
	s_wait_alu 0xf1ff
	v_xor_b32_e32 v69, s14, v69
	v_cmp_gt_i32_e64 s14, 0, v81
	v_and_b32_e32 v68, v68, v84
	v_not_b32_e32 v81, v82
	v_ashrrev_i32_e32 v71, 31, v71
	v_xor_b32_e32 v70, s15, v70
	v_cmp_gt_i32_e64 s15, 0, v82
	v_and_b32_e32 v68, v68, v69
	v_not_b32_e32 v69, v83
	v_ashrrev_i32_e32 v81, 31, v81
	s_wait_alu 0xf1ff
	v_xor_b32_e32 v71, s14, v71
	v_cmp_gt_i32_e64 s14, 0, v83
	v_and_b32_e32 v68, v68, v70
	v_not_b32_e32 v70, v80
	v_ashrrev_i32_e32 v69, 31, v69
	v_xor_b32_e32 v81, s15, v81
	v_lshl_add_u32 v67, v67, 3, v135
	v_and_b32_e32 v68, v68, v71
	v_cmp_gt_i32_e64 s15, 0, v80
	v_ashrrev_i32_e32 v70, 31, v70
	s_wait_alu 0xf1ff
	v_xor_b32_e32 v69, s14, v69
	v_lshl_add_u32 v67, v67, 2, v12
	v_and_b32_e32 v68, v68, v81
	v_xor_b32_e32 v70, s15, v70
	ds_load_b32 v84, v67 offset:32
	v_and_b32_e32 v68, v68, v69
	v_add_nc_u32_e32 v67, 32, v67
	; wave barrier
	s_delay_alu instid0(VALU_DEP_2) | instskip(NEXT) | instid1(VALU_DEP_1)
	v_and_b32_e32 v68, v68, v70
	v_mbcnt_lo_u32_b32 v86, v68, 0
	v_cmp_ne_u32_e64 s15, 0, v68
	s_delay_alu instid0(VALU_DEP_2)
	v_cmp_eq_u32_e64 s14, 0, v86
	s_and_b32 s15, s15, s14
	s_wait_alu 0xfffe
	s_and_saveexec_b32 s14, s15
	s_cbranch_execz .LBB1847_43
; %bb.42:                               ;   in Loop: Header=BB1847_29 Depth=1
	s_wait_dscnt 0x0
	v_bcnt_u32_b32 v68, v68, v84
	ds_store_b32 v67, v68
.LBB1847_43:                            ;   in Loop: Header=BB1847_29 Depth=1
	s_wait_alu 0xfffe
	s_or_b32 exec_lo, exec_lo, s14
	v_cmp_ne_u16_e64 s14, 0x7fff, v196
	; wave barrier
	s_wait_alu 0xf1ff
	s_delay_alu instid0(VALU_DEP_1) | instskip(NEXT) | instid1(VALU_DEP_1)
	v_cndmask_b32_e64 v68, 0xffff8000, v196, s14
	v_and_b32_e32 v68, 0xffff, v68
	s_delay_alu instid0(VALU_DEP_1) | instskip(NEXT) | instid1(VALU_DEP_1)
	v_lshrrev_b32_e32 v68, v10, v68
	v_and_b32_e32 v36, v68, v36
	s_delay_alu instid0(VALU_DEP_1)
	v_and_b32_e32 v68, 1, v36
	v_lshlrev_b32_e32 v69, 30, v36
	v_lshlrev_b32_e32 v70, 29, v36
	;; [unrolled: 1-line block ×4, first 2 shown]
	v_add_co_u32 v68, s14, v68, -1
	s_wait_alu 0xf1ff
	v_cndmask_b32_e64 v80, 0, 1, s14
	v_not_b32_e32 v85, v69
	v_cmp_gt_i32_e64 s15, 0, v69
	v_not_b32_e32 v69, v70
	v_lshlrev_b32_e32 v82, 26, v36
	v_cmp_ne_u32_e64 s14, 0, v80
	v_ashrrev_i32_e32 v85, 31, v85
	v_lshlrev_b32_e32 v83, 25, v36
	v_ashrrev_i32_e32 v69, 31, v69
	v_lshlrev_b32_e32 v80, 24, v36
	s_wait_alu 0xf1ff
	v_xor_b32_e32 v68, s14, v68
	v_cmp_gt_i32_e64 s14, 0, v70
	v_not_b32_e32 v70, v71
	v_xor_b32_e32 v85, s15, v85
	v_cmp_gt_i32_e64 s15, 0, v71
	v_and_b32_e32 v68, exec_lo, v68
	v_not_b32_e32 v71, v81
	v_ashrrev_i32_e32 v70, 31, v70
	s_wait_alu 0xf1ff
	v_xor_b32_e32 v69, s14, v69
	v_cmp_gt_i32_e64 s14, 0, v81
	v_and_b32_e32 v68, v68, v85
	v_not_b32_e32 v81, v82
	v_ashrrev_i32_e32 v71, 31, v71
	v_xor_b32_e32 v70, s15, v70
	v_cmp_gt_i32_e64 s15, 0, v82
	v_and_b32_e32 v68, v68, v69
	v_not_b32_e32 v69, v83
	v_ashrrev_i32_e32 v81, 31, v81
	s_wait_alu 0xf1ff
	v_xor_b32_e32 v71, s14, v71
	v_cmp_gt_i32_e64 s14, 0, v83
	v_and_b32_e32 v68, v68, v70
	v_not_b32_e32 v70, v80
	v_ashrrev_i32_e32 v69, 31, v69
	v_xor_b32_e32 v81, s15, v81
	v_lshl_add_u32 v36, v36, 3, v135
	v_and_b32_e32 v68, v68, v71
	v_cmp_gt_i32_e64 s15, 0, v80
	v_ashrrev_i32_e32 v70, 31, v70
	s_wait_alu 0xf1ff
	v_xor_b32_e32 v69, s14, v69
	v_lshl_add_u32 v71, v36, 2, v12
	v_and_b32_e32 v68, v68, v81
	v_xor_b32_e32 v70, s15, v70
	ds_load_b32 v36, v71 offset:32
	v_and_b32_e32 v68, v68, v69
	; wave barrier
	s_delay_alu instid0(VALU_DEP_1) | instskip(SKIP_1) | instid1(VALU_DEP_2)
	v_and_b32_e32 v69, v68, v70
	v_add_nc_u32_e32 v68, 32, v71
	v_mbcnt_lo_u32_b32 v96, v69, 0
	v_cmp_ne_u32_e64 s15, 0, v69
	s_delay_alu instid0(VALU_DEP_2)
	v_cmp_eq_u32_e64 s14, 0, v96
	s_and_b32 s15, s15, s14
	s_wait_alu 0xfffe
	s_and_saveexec_b32 s14, s15
	s_cbranch_execz .LBB1847_45
; %bb.44:                               ;   in Loop: Header=BB1847_29 Depth=1
	s_wait_dscnt 0x0
	v_bcnt_u32_b32 v69, v69, v36
	ds_store_b32 v68, v69
.LBB1847_45:                            ;   in Loop: Header=BB1847_29 Depth=1
	s_wait_alu 0xfffe
	s_or_b32 exec_lo, exec_lo, s14
	; wave barrier
	s_wait_loadcnt_dscnt 0x0
	s_barrier_signal -1
	s_barrier_wait -1
	global_inv scope:SCOPE_SE
	ds_load_b32 v70, v25
	ds_load_b32 v71, v39
	;; [unrolled: 1-line block ×8, first 2 shown]
	s_wait_dscnt 0x6
	v_add_nc_u32_e32 v87, v71, v70
	s_wait_dscnt 0x4
	s_delay_alu instid0(VALU_DEP_1) | instskip(SKIP_1) | instid1(VALU_DEP_1)
	v_add3_u32 v87, v87, v80, v81
	s_wait_dscnt 0x2
	v_add3_u32 v87, v87, v82, v83
	s_wait_dscnt 0x0
	s_delay_alu instid0(VALU_DEP_1) | instskip(NEXT) | instid1(VALU_DEP_1)
	v_add3_u32 v85, v87, v69, v85
	v_mov_b32_dpp v87, v85 row_shr:1 row_mask:0xf bank_mask:0xf
	s_wait_alu 0xfffd
	s_delay_alu instid0(VALU_DEP_1) | instskip(NEXT) | instid1(VALU_DEP_1)
	v_cndmask_b32_e64 v87, v87, 0, vcc_lo
	v_add_nc_u32_e32 v85, v87, v85
	s_delay_alu instid0(VALU_DEP_1) | instskip(NEXT) | instid1(VALU_DEP_1)
	v_mov_b32_dpp v87, v85 row_shr:2 row_mask:0xf bank_mask:0xf
	v_cndmask_b32_e64 v87, 0, v87, s0
	s_delay_alu instid0(VALU_DEP_1) | instskip(NEXT) | instid1(VALU_DEP_1)
	v_add_nc_u32_e32 v85, v85, v87
	v_mov_b32_dpp v87, v85 row_shr:4 row_mask:0xf bank_mask:0xf
	s_delay_alu instid0(VALU_DEP_1) | instskip(NEXT) | instid1(VALU_DEP_1)
	v_cndmask_b32_e64 v87, 0, v87, s1
	v_add_nc_u32_e32 v85, v85, v87
	s_delay_alu instid0(VALU_DEP_1) | instskip(NEXT) | instid1(VALU_DEP_1)
	v_mov_b32_dpp v87, v85 row_shr:8 row_mask:0xf bank_mask:0xf
	v_cndmask_b32_e64 v87, 0, v87, s3
	s_delay_alu instid0(VALU_DEP_1) | instskip(SKIP_3) | instid1(VALU_DEP_1)
	v_add_nc_u32_e32 v85, v85, v87
	ds_swizzle_b32 v87, v85 offset:swizzle(BROADCAST,32,15)
	s_wait_dscnt 0x0
	v_cndmask_b32_e64 v87, v87, 0, s4
	v_add_nc_u32_e32 v85, v85, v87
	s_and_saveexec_b32 s14, s5
; %bb.46:                               ;   in Loop: Header=BB1847_29 Depth=1
	ds_store_b32 v145, v85
; %bb.47:                               ;   in Loop: Header=BB1847_29 Depth=1
	s_wait_alu 0xfffe
	s_or_b32 exec_lo, exec_lo, s14
	s_wait_loadcnt_dscnt 0x0
	s_barrier_signal -1
	s_barrier_wait -1
	global_inv scope:SCOPE_SE
	s_and_saveexec_b32 s14, s6
	s_cbranch_execz .LBB1847_49
; %bb.48:                               ;   in Loop: Header=BB1847_29 Depth=1
	ds_load_b32 v87, v146
	s_wait_dscnt 0x0
	v_mov_b32_dpp v97, v87 row_shr:1 row_mask:0xf bank_mask:0xf
	s_delay_alu instid0(VALU_DEP_1) | instskip(NEXT) | instid1(VALU_DEP_1)
	v_cndmask_b32_e64 v97, v97, 0, s11
	v_add_nc_u32_e32 v87, v97, v87
	s_delay_alu instid0(VALU_DEP_1) | instskip(NEXT) | instid1(VALU_DEP_1)
	v_mov_b32_dpp v97, v87 row_shr:2 row_mask:0xf bank_mask:0xf
	v_cndmask_b32_e64 v97, 0, v97, s12
	s_delay_alu instid0(VALU_DEP_1) | instskip(NEXT) | instid1(VALU_DEP_1)
	v_add_nc_u32_e32 v87, v87, v97
	v_mov_b32_dpp v97, v87 row_shr:4 row_mask:0xf bank_mask:0xf
	s_delay_alu instid0(VALU_DEP_1) | instskip(NEXT) | instid1(VALU_DEP_1)
	v_cndmask_b32_e64 v97, 0, v97, s13
	v_add_nc_u32_e32 v87, v87, v97
	ds_store_b32 v146, v87
.LBB1847_49:                            ;   in Loop: Header=BB1847_29 Depth=1
	s_wait_alu 0xfffe
	s_or_b32 exec_lo, exec_lo, s14
	v_mov_b32_e32 v87, 0
	s_wait_loadcnt_dscnt 0x0
	s_barrier_signal -1
	s_barrier_wait -1
	global_inv scope:SCOPE_SE
	s_and_saveexec_b32 s14, s7
; %bb.50:                               ;   in Loop: Header=BB1847_29 Depth=1
	ds_load_b32 v87, v148
; %bb.51:                               ;   in Loop: Header=BB1847_29 Depth=1
	s_wait_alu 0xfffe
	s_or_b32 exec_lo, exec_lo, s14
	s_wait_dscnt 0x0
	v_add_nc_u32_e32 v85, v87, v85
	v_add_nc_u32_e32 v10, 8, v10
	s_mov_b32 s20, -1
                                        ; implicit-def: $vgpr197
	ds_bpermute_b32 v85, v144, v85
	s_wait_dscnt 0x0
	v_cndmask_b32_e64 v85, v85, v87, s2
	v_mov_b32_e32 v87, v5
	s_delay_alu instid0(VALU_DEP_2) | instskip(NEXT) | instid1(VALU_DEP_1)
	v_cndmask_b32_e64 v85, v85, 0, s10
	v_add_nc_u32_e32 v70, v85, v70
	s_delay_alu instid0(VALU_DEP_1)
	v_add_nc_u32_e32 v71, v70, v71
	ds_store_b32 v25, v85
	ds_store_b32 v39, v70
	;; [unrolled: 1-line block ×3, first 2 shown]
	v_dual_mov_b32 v85, v5 :: v_dual_add_nc_u32 v80, v71, v80
	v_mov_b32_e32 v71, v5
	s_delay_alu instid0(VALU_DEP_2) | instskip(NEXT) | instid1(VALU_DEP_1)
	v_add_nc_u32_e32 v81, v80, v81
	v_add_nc_u32_e32 v82, v81, v82
	s_delay_alu instid0(VALU_DEP_1) | instskip(NEXT) | instid1(VALU_DEP_1)
	v_add_nc_u32_e32 v83, v82, v83
	v_add_nc_u32_e32 v69, v83, v69
	ds_store_b32 v130, v80
	ds_store_b32 v131, v81
	;; [unrolled: 1-line block ×5, first 2 shown]
	s_wait_loadcnt_dscnt 0x0
	s_barrier_signal -1
	s_barrier_wait -1
	global_inv scope:SCOPE_SE
	ds_load_b32 v33, v33
	ds_load_b32 v37, v37
	;; [unrolled: 1-line block ×8, first 2 shown]
	v_mov_b32_e32 v67, v5
	v_mov_b32_e32 v69, v5
	;; [unrolled: 1-line block ×4, first 2 shown]
	v_cmp_lt_u32_e64 s14, v10, v11
	s_wait_loadcnt_dscnt 0x0
	v_add_nc_u32_e32 v4, v33, v4
	v_add3_u32 v66, v35, v34, v37
	v_add3_u32 v68, v48, v38, v49
	;; [unrolled: 1-line block ×4, first 2 shown]
	v_lshlrev_b64_e32 v[33:34], 1, v[4:5]
	v_add3_u32 v84, v86, v84, v97
	v_add3_u32 v86, v96, v36, v98
	v_lshlrev_b64_e32 v[35:36], 1, v[66:67]
	v_lshlrev_b64_e32 v[37:38], 1, v[68:69]
	v_add3_u32 v82, v65, v64, v82
	v_lshlrev_b64_e32 v[48:49], 1, v[70:71]
	v_add_co_u32 v118, s15, v12, v33
	v_lshlrev_b64_e32 v[50:51], 1, v[80:81]
	s_wait_alu 0xf1ff
	v_add_co_ci_u32_e64 v119, null, v13, v34, s15
	v_add_co_u32 v96, s15, v12, v35
	v_lshlrev_b64_e32 v[52:53], 1, v[82:83]
	s_wait_alu 0xf1ff
	v_add_co_ci_u32_e64 v97, null, v13, v36, s15
	v_add_co_u32 v98, s15, v12, v37
	v_lshlrev_b64_e32 v[54:55], 1, v[84:85]
	s_wait_alu 0xf1ff
	v_add_co_ci_u32_e64 v99, null, v13, v38, s15
	v_add_co_u32 v100, s15, v12, v48
	v_lshlrev_b64_e32 v[64:65], 1, v[86:87]
	s_wait_alu 0xf1ff
	v_add_co_ci_u32_e64 v101, null, v13, v49, s15
	v_add_co_u32 v102, s15, v12, v50
	s_wait_alu 0xf1ff
	v_add_co_ci_u32_e64 v103, null, v13, v51, s15
	v_add_co_u32 v112, s15, v12, v52
	s_wait_alu 0xf1ff
	v_add_co_ci_u32_e64 v113, null, v13, v53, s15
	;; [unrolled: 3-line block ×4, first 2 shown]
                                        ; implicit-def: $vgpr33_vgpr34
                                        ; implicit-def: $vgpr35_vgpr36
                                        ; implicit-def: $vgpr37_vgpr38
                                        ; implicit-def: $vgpr48_vgpr49
                                        ; implicit-def: $vgpr50_vgpr51
                                        ; implicit-def: $vgpr52_vgpr53
                                        ; implicit-def: $vgpr54_vgpr55
                                        ; implicit-def: $vgpr64_vgpr65
                                        ; implicit-def: $vgpr69
                                        ; implicit-def: $vgpr71
                                        ; implicit-def: $vgpr81
                                        ; implicit-def: $vgpr83
                                        ; implicit-def: $vgpr85
                                        ; implicit-def: $vgpr87
                                        ; implicit-def: $vgpr67
	s_and_saveexec_b32 s15, s14
	s_cbranch_execz .LBB1847_28
; %bb.52:                               ;   in Loop: Header=BB1847_29 Depth=1
	v_mad_co_u64_u32 v[33:34], null, v4, 6, v[118:119]
	v_mad_co_u64_u32 v[34:35], null, v66, 6, v[96:97]
	;; [unrolled: 1-line block ×8, first 2 shown]
	s_barrier_signal -1
	s_barrier_wait -1
	global_inv scope:SCOPE_SE
	ds_store_b16 v118, v181
	ds_store_b16 v96, v183
	;; [unrolled: 1-line block ×8, first 2 shown]
	s_wait_loadcnt_dscnt 0x0
	s_barrier_signal -1
	s_barrier_wait -1
	global_inv scope:SCOPE_SE
	ds_load_u16 v197, v147
	ds_load_u16 v69, v149
	;; [unrolled: 1-line block ×8, first 2 shown]
	s_wait_loadcnt_dscnt 0x0
	s_barrier_signal -1
	s_barrier_wait -1
	global_inv scope:SCOPE_SE
	ds_store_b64 v33, v[31:32]
	ds_store_b64 v34, v[22:23]
	;; [unrolled: 1-line block ×8, first 2 shown]
	s_wait_loadcnt_dscnt 0x0
	s_barrier_signal -1
	s_barrier_wait -1
	global_inv scope:SCOPE_SE
	ds_load_b64 v[33:34], v160
	ds_load_b64 v[35:36], v165
	;; [unrolled: 1-line block ×8, first 2 shown]
	v_add_nc_u32_e32 v180, -8, v180
	s_xor_b32 s20, exec_lo, -1
	s_wait_loadcnt_dscnt 0x0
	s_barrier_signal -1
	s_barrier_wait -1
	global_inv scope:SCOPE_SE
	s_branch .LBB1847_28
.LBB1847_53:
	s_or_b32 exec_lo, exec_lo, s19
	v_mad_co_u64_u32 v[10:11], null, v4, 6, v[118:119]
	v_lshl_add_u32 v25, v30, 1, v12
	s_barrier_signal -1
	s_barrier_wait -1
	s_wait_loadcnt 0x0
	global_inv scope:SCOPE_SE
	ds_store_b16 v118, v181
	ds_store_b16 v96, v183
	;; [unrolled: 1-line block ×8, first 2 shown]
	s_wait_loadcnt_dscnt 0x0
	s_barrier_signal -1
	s_barrier_wait -1
	global_inv scope:SCOPE_SE
	ds_load_u16 v38, v25
	ds_load_u16 v37, v25 offset:512
	ds_load_u16 v36, v25 offset:1024
	;; [unrolled: 1-line block ×7, first 2 shown]
	s_wait_loadcnt_dscnt 0x0
	s_barrier_signal -1
	s_barrier_wait -1
	global_inv scope:SCOPE_SE
	ds_store_b64 v10, v[31:32]
	v_mad_co_u64_u32 v[10:11], null, v66, 6, v[96:97]
	v_mad_co_u64_u32 v[11:12], null, v68, 6, v[98:99]
	;; [unrolled: 1-line block ×7, first 2 shown]
	ds_store_b64 v10, v[22:23]
	ds_store_b64 v11, v[20:21]
	;; [unrolled: 1-line block ×3, first 2 shown]
	v_mul_u32_u24_e32 v10, 6, v30
	ds_store_b64 v31, v[14:15]
	ds_store_b64 v48, v[8:9]
	;; [unrolled: 1-line block ×4, first 2 shown]
	s_wait_loadcnt_dscnt 0x0
	s_barrier_signal -1
	v_dual_mov_b32 v25, 0 :: v_dual_add_nc_u32 v8, v25, v10
	s_barrier_wait -1
	global_inv scope:SCOPE_SE
	ds_load_2addr_stride64_b64 v[20:23], v8 offset1:4
	ds_load_2addr_stride64_b64 v[16:19], v8 offset0:8 offset1:12
	ds_load_2addr_stride64_b64 v[12:15], v8 offset0:16 offset1:20
	ds_load_2addr_stride64_b64 v[8:11], v8 offset0:24 offset1:28
	v_lshlrev_b64_e32 v[28:29], 1, v[24:25]
	v_add_co_u32 v2, vcc_lo, v2, v26
	s_wait_alu 0xfffd
	v_add_co_ci_u32_e64 v3, null, v3, v27, vcc_lo
	s_wait_loadcnt_dscnt 0x0
	s_delay_alu instid0(VALU_DEP_2) | instskip(SKIP_1) | instid1(VALU_DEP_2)
	v_add_co_u32 v2, vcc_lo, v2, v28
	s_wait_alu 0xfffd
	v_add_co_ci_u32_e64 v3, null, v3, v29, vcc_lo
	v_cmp_lt_u32_e32 vcc_lo, v24, v128
	s_barrier_signal -1
	s_barrier_wait -1
	global_inv scope:SCOPE_SE
	s_and_saveexec_b32 s1, vcc_lo
	s_cbranch_execz .LBB1847_55
; %bb.54:
	v_cmp_lt_i16_e64 s0, -1, v38
	s_wait_alu 0xf1ff
	s_delay_alu instid0(VALU_DEP_1) | instskip(NEXT) | instid1(VALU_DEP_1)
	v_cndmask_b32_e64 v26, 0xffff8000, -1, s0
	v_xor_b32_e32 v26, v26, v38
	flat_store_b16 v[2:3], v26
.LBB1847_55:
	s_wait_alu 0xfffe
	s_or_b32 exec_lo, exec_lo, s1
	v_add_nc_u32_e32 v26, 0x100, v24
	s_delay_alu instid0(VALU_DEP_1)
	v_cmp_lt_u32_e64 s0, v26, v128
	s_and_saveexec_b32 s2, s0
	s_cbranch_execz .LBB1847_57
; %bb.56:
	v_cmp_lt_i16_e64 s1, -1, v37
	s_wait_alu 0xf1ff
	s_delay_alu instid0(VALU_DEP_1) | instskip(NEXT) | instid1(VALU_DEP_1)
	v_cndmask_b32_e64 v26, 0xffff8000, -1, s1
	v_xor_b32_e32 v26, v26, v37
	flat_store_b16 v[2:3], v26 offset:512
.LBB1847_57:
	s_wait_alu 0xfffe
	s_or_b32 exec_lo, exec_lo, s2
	v_add_nc_u32_e32 v26, 0x200, v24
	s_delay_alu instid0(VALU_DEP_1)
	v_cmp_lt_u32_e64 s1, v26, v128
	s_and_saveexec_b32 s3, s1
	s_cbranch_execz .LBB1847_59
; %bb.58:
	v_cmp_lt_i16_e64 s2, -1, v36
	s_wait_alu 0xf1ff
	s_delay_alu instid0(VALU_DEP_1) | instskip(NEXT) | instid1(VALU_DEP_1)
	v_cndmask_b32_e64 v26, 0xffff8000, -1, s2
	v_xor_b32_e32 v26, v26, v36
	flat_store_b16 v[2:3], v26 offset:1024
.LBB1847_59:
	;; [unrolled: 15-line block ×7, first 2 shown]
	s_wait_alu 0xfffe
	s_or_b32 exec_lo, exec_lo, s10
	v_lshlrev_b64_e32 v[2:3], 3, v[24:25]
	v_add_co_u32 v0, s7, v6, v0
	s_wait_alu 0xf1ff
	v_add_co_ci_u32_e64 v1, null, v7, v1, s7
	s_delay_alu instid0(VALU_DEP_2) | instskip(SKIP_1) | instid1(VALU_DEP_2)
	v_add_co_u32 v0, s7, v0, v2
	s_wait_alu 0xf1ff
	v_add_co_ci_u32_e64 v1, null, v1, v3, s7
	s_and_saveexec_b32 s7, vcc_lo
	s_cbranch_execnz .LBB1847_119
; %bb.70:
	s_wait_alu 0xfffe
	s_or_b32 exec_lo, exec_lo, s7
	s_and_saveexec_b32 s7, s0
	s_cbranch_execnz .LBB1847_120
.LBB1847_71:
	s_wait_alu 0xfffe
	s_or_b32 exec_lo, exec_lo, s7
	s_and_saveexec_b32 s0, s1
	s_cbranch_execnz .LBB1847_121
.LBB1847_72:
	s_wait_alu 0xfffe
	s_or_b32 exec_lo, exec_lo, s0
	s_and_saveexec_b32 s0, s2
	s_cbranch_execnz .LBB1847_122
.LBB1847_73:
	s_wait_alu 0xfffe
	s_or_b32 exec_lo, exec_lo, s0
	s_and_saveexec_b32 s0, s3
	s_cbranch_execnz .LBB1847_123
.LBB1847_74:
	s_wait_alu 0xfffe
	s_or_b32 exec_lo, exec_lo, s0
	s_and_saveexec_b32 s0, s4
	s_cbranch_execnz .LBB1847_124
.LBB1847_75:
	s_wait_alu 0xfffe
	s_or_b32 exec_lo, exec_lo, s0
	s_and_saveexec_b32 s0, s5
	s_cbranch_execnz .LBB1847_125
.LBB1847_76:
	s_wait_alu 0xfffe
	s_or_b32 exec_lo, exec_lo, s0
	s_and_saveexec_b32 s0, s6
	s_cbranch_execz .LBB1847_78
.LBB1847_77:
	flat_store_b64 v[0:1], v[10:11] offset:14336
.LBB1847_78:
	s_wait_alu 0xfffe
	s_or_b32 exec_lo, exec_lo, s0
                                        ; implicit-def: $vgpr128
                                        ; implicit-def: $vgpr0
                                        ; implicit-def: $vgpr1
                                        ; implicit-def: $vgpr2
                                        ; implicit-def: $vgpr3
                                        ; implicit-def: $vgpr4
                                        ; implicit-def: $vgpr5
                                        ; implicit-def: $vgpr6
                                        ; implicit-def: $vgpr7
                                        ; implicit-def: $vgpr8
                                        ; implicit-def: $vgpr10
                                        ; implicit-def: $vgpr11
                                        ; implicit-def: $vgpr12
                                        ; implicit-def: $vgpr13
                                        ; implicit-def: $vgpr9
                                        ; implicit-def: $vgpr14
                                        ; implicit-def: $vgpr30
                                        ; implicit-def: $vgpr66
.LBB1847_79:
	s_wait_alu 0xfffe
	s_and_not1_saveexec_b32 s0, s17
	s_cbranch_execz .LBB1847_199
; %bb.80:
	s_mov_b32 s0, exec_lo
	v_cmpx_lt_u32_e32 0x200, v128
	s_wait_alu 0xfffe
	s_xor_b32 s17, exec_lo, s0
	s_cbranch_execz .LBB1847_140
; %bb.81:
	s_load_b64 s[0:1], s[8:9], 0x0
	s_and_b32 s2, ttmp7, 0xffff
	s_mov_b32 s3, 0
	v_dual_mov_b32 v16, 0x7fff :: v_dual_lshlrev_b32 v17, 1, v66
	s_wait_kmcnt 0x0
	s_wait_alu 0xfffe
	s_cmp_lt_u32 s2, s1
	s_cselect_b32 s2, 14, 20
	s_cmp_lt_u32 ttmp9, s0
	s_wait_alu 0xfffe
	s_add_nc_u64 s[4:5], s[8:9], s[2:3]
	s_cselect_b32 s2, 12, 18
	s_load_u16 s4, s[4:5], 0x0
	s_add_nc_u64 s[0:1], s[8:9], s[2:3]
	s_load_u16 s0, s[0:1], 0x0
	s_wait_kmcnt 0x0
	v_mad_u32_u24 v9, v14, s4, v9
	s_delay_alu instid0(VALU_DEP_1) | instskip(NEXT) | instid1(VALU_DEP_1)
	v_mad_co_u64_u32 v[31:32], null, v9, s0, v[30:31]
	v_dual_mov_b32 v9, 0 :: v_dual_lshlrev_b32 v14, 2, v31
	s_delay_alu instid0(VALU_DEP_1) | instskip(NEXT) | instid1(VALU_DEP_2)
	v_lshlrev_b64_e32 v[33:34], 1, v[8:9]
	v_dual_mov_b32 v15, v9 :: v_dual_and_b32 v14, 0xffffff80, v14
	s_delay_alu instid0(VALU_DEP_2) | instskip(SKIP_1) | instid1(VALU_DEP_3)
	v_add_co_u32 v18, vcc_lo, v0, v33
	s_wait_alu 0xfffd
	v_add_co_ci_u32_e64 v19, null, v1, v34, vcc_lo
	s_delay_alu instid0(VALU_DEP_3) | instskip(NEXT) | instid1(VALU_DEP_3)
	v_lshlrev_b64_e32 v[0:1], 1, v[14:15]
	v_add_co_u32 v17, vcc_lo, v18, v17
	v_or_b32_e32 v20, v14, v66
	s_wait_alu 0xfffd
	v_add_co_ci_u32_e64 v18, null, 0, v19, vcc_lo
	s_delay_alu instid0(VALU_DEP_3) | instskip(NEXT) | instid1(VALU_DEP_3)
	v_add_co_u32 v0, vcc_lo, v17, v0
	v_cmp_lt_u32_e64 s2, v20, v128
	s_wait_alu 0xfffd
	s_delay_alu instid0(VALU_DEP_3) | instskip(SKIP_1) | instid1(VALU_DEP_3)
	v_add_co_ci_u32_e64 v1, null, v18, v1, vcc_lo
	v_mov_b32_e32 v17, 0x7fff
	s_and_saveexec_b32 s0, s2
	s_cbranch_execz .LBB1847_83
; %bb.82:
	flat_load_u16 v17, v[0:1]
.LBB1847_83:
	s_wait_alu 0xfffe
	s_or_b32 exec_lo, exec_lo, s0
	v_or_b32_e32 v18, 32, v20
	s_delay_alu instid0(VALU_DEP_1)
	v_cmp_lt_u32_e64 s0, v18, v128
	s_and_saveexec_b32 s1, s0
	s_cbranch_execz .LBB1847_85
; %bb.84:
	flat_load_u16 v16, v[0:1] offset:64
.LBB1847_85:
	s_wait_alu 0xfffe
	s_or_b32 exec_lo, exec_lo, s1
	v_or_b32_e32 v19, 64, v20
	v_mov_b32_e32 v18, 0x7fff
	s_delay_alu instid0(VALU_DEP_2)
	v_cmp_lt_u32_e64 s1, v19, v128
	v_mov_b32_e32 v19, 0x7fff
	s_and_saveexec_b32 s3, s1
	s_cbranch_execz .LBB1847_87
; %bb.86:
	flat_load_u16 v19, v[0:1] offset:128
.LBB1847_87:
	s_wait_alu 0xfffe
	s_or_b32 exec_lo, exec_lo, s3
	v_or_b32_e32 v20, 0x60, v20
	s_delay_alu instid0(VALU_DEP_1)
	v_cmp_lt_u32_e32 vcc_lo, v20, v128
	s_and_saveexec_b32 s3, vcc_lo
	s_cbranch_execz .LBB1847_89
; %bb.88:
	flat_load_u16 v18, v[0:1] offset:192
.LBB1847_89:
	s_wait_alu 0xfffe
	s_or_b32 exec_lo, exec_lo, s3
	v_lshlrev_b64_e32 v[0:1], 3, v[8:9]
	v_mov_b32_e32 v22, 0
	s_delay_alu instid0(VALU_DEP_1) | instskip(NEXT) | instid1(VALU_DEP_3)
	v_dual_mov_b32 v23, v22 :: v_dual_lshlrev_b32 v8, 3, v66
	v_add_co_u32 v9, s3, v4, v0
	s_wait_alu 0xf1ff
	s_delay_alu instid0(VALU_DEP_4) | instskip(SKIP_1) | instid1(VALU_DEP_3)
	v_add_co_ci_u32_e64 v20, null, v5, v1, s3
	v_lshlrev_b64_e32 v[4:5], 3, v[14:15]
	v_add_co_u32 v8, s3, v9, v8
	s_wait_alu 0xf1ff
	s_delay_alu instid0(VALU_DEP_3) | instskip(SKIP_1) | instid1(VALU_DEP_3)
	v_add_co_ci_u32_e64 v9, null, 0, v20, s3
	v_dual_mov_b32 v24, v22 :: v_dual_mov_b32 v25, v22
	v_add_co_u32 v4, s3, v8, v4
	s_wait_alu 0xf1ff
	s_delay_alu instid0(VALU_DEP_3)
	v_add_co_ci_u32_e64 v5, null, v9, v5, s3
	v_dual_mov_b32 v26, v22 :: v_dual_mov_b32 v27, v22
	v_dual_mov_b32 v28, v22 :: v_dual_mov_b32 v29, v22
	s_and_saveexec_b32 s3, s2
	s_cbranch_execnz .LBB1847_164
; %bb.90:
	s_wait_alu 0xfffe
	s_or_b32 exec_lo, exec_lo, s3
	s_and_saveexec_b32 s2, s0
	s_cbranch_execnz .LBB1847_165
.LBB1847_91:
	s_wait_alu 0xfffe
	s_or_b32 exec_lo, exec_lo, s2
	s_and_saveexec_b32 s0, s1
	s_cbranch_execnz .LBB1847_166
.LBB1847_92:
	s_wait_alu 0xfffe
	s_or_b32 exec_lo, exec_lo, s0
	s_and_saveexec_b32 s0, vcc_lo
	s_cbranch_execz .LBB1847_94
.LBB1847_93:
	flat_load_b64 v[28:29], v[4:5] offset:768
.LBB1847_94:
	s_wait_alu 0xfffe
	s_or_b32 exec_lo, exec_lo, s0
	s_wait_loadcnt_dscnt 0x0
	v_cmp_lt_i16_e32 vcc_lo, -1, v17
	v_lshl_add_u32 v14, v30, 5, v12
	s_getpc_b64 s[0:1]
	s_wait_alu 0xfffe
	s_sext_i32_i16 s1, s1
	s_add_co_u32 s0, s0, _ZN7rocprim17ROCPRIM_400000_NS16block_radix_sortI6__halfLj256ELj4ElLj1ELj1ELj8ELNS0_26block_radix_rank_algorithmE2ELNS0_18block_padding_hintE2ELNS0_4arch9wavefront6targetE0EE19radix_bits_per_passE@rel32@lo+12
	s_wait_alu 0xfffe
	s_add_co_ci_u32 s1, s1, _ZN7rocprim17ROCPRIM_400000_NS16block_radix_sortI6__halfLj256ELj4ElLj1ELj1ELj8ELNS0_26block_radix_rank_algorithmE2ELNS0_18block_padding_hintE2ELNS0_4arch9wavefront6targetE0EE19radix_bits_per_passE@rel32@hi+24
	v_lshrrev_b32_e32 v70, 5, v31
	s_load_b32 s18, s[0:1], 0x0
	v_cndmask_b32_e64 v4, -1, 0xffff8000, vcc_lo
	v_cmp_lt_i16_e32 vcc_lo, -1, v16
	v_add_nc_u32_e32 v32, 32, v14
	v_add_nc_u32_e32 v54, 36, v14
	;; [unrolled: 1-line block ×3, first 2 shown]
	v_xor_b32_e32 v9, v4, v17
	s_wait_alu 0xfffd
	v_cndmask_b32_e64 v5, -1, 0xffff8000, vcc_lo
	v_cmp_lt_i16_e32 vcc_lo, -1, v19
	v_add_nc_u32_e32 v64, 44, v14
	v_add_nc_u32_e32 v65, 48, v14
	;; [unrolled: 1-line block ×4, first 2 shown]
	s_wait_alu 0xfffd
	v_cndmask_b32_e64 v4, -1, 0xffff8000, vcc_lo
	v_cmp_lt_i16_e32 vcc_lo, -1, v18
	v_add_nc_u32_e32 v69, 60, v14
	v_sub_co_u32 v14, s2, v66, 1
	s_delay_alu instid0(VALU_DEP_4)
	v_xor_b32_e32 v112, v4, v19
	v_and_b32_e32 v4, 0x3e0, v30
	s_wait_alu 0xfffd
	v_cndmask_b32_e64 v8, -1, 0xffff8000, vcc_lo
	v_xor_b32_e32 v103, v5, v16
	v_and_b32_e32 v5, 15, v66
	v_cmp_gt_i32_e64 s6, 0, v14
	v_min_u32_e32 v4, 0xe0, v4
	v_xor_b32_e32 v36, v8, v18
	v_and_b32_e32 v8, 16, v66
	v_cmp_eq_u32_e32 vcc_lo, 0, v5
	v_cmp_lt_u32_e64 s0, 1, v5
	v_or_b32_e32 v4, 31, v4
	v_cmp_lt_u32_e64 s1, 3, v5
	v_cmp_eq_u32_e64 s4, 0, v8
	v_lshlrev_b32_e32 v8, 2, v30
	v_cmp_lt_u32_e64 s3, 7, v5
	v_cmp_eq_u32_e64 s5, v30, v4
	v_lshrrev_b32_e32 v4, 3, v30
	s_wait_alu 0xf1ff
	v_cndmask_b32_e64 v5, v14, v66, s6
	v_and_or_b32 v14, 0xf80, v8, v66
	v_cmp_gt_u32_e64 s6, 8, v30
	v_cmp_lt_u32_e64 s7, 31, v30
	v_and_b32_e32 v4, 0x7c, v4
	v_lshlrev_b32_e32 v71, 2, v5
	v_cmp_eq_u32_e64 s10, 0, v30
	v_mov_b32_e32 v5, 0
	v_add_nc_u32_e32 v81, v12, v8
	v_add_nc_u32_e32 v80, v12, v4
	v_and_b32_e32 v4, 7, v66
	v_lshl_add_u32 v66, v14, 1, v12
	v_mul_u32_u24_e32 v14, 6, v14
	v_sub_nc_u32_e32 v98, v11, v10
	v_add_nc_u32_e32 v83, -4, v80
	v_cmp_eq_u32_e64 s11, 0, v4
	v_cmp_lt_u32_e64 s12, 1, v4
	v_add_nc_u32_e32 v82, v66, v14
	v_cmp_lt_u32_e64 s13, 3, v4
	v_add_nc_u32_e32 v84, 64, v66
	v_add_nc_u32_e32 v85, 0x80, v66
	;; [unrolled: 1-line block ×6, first 2 shown]
	s_mov_b32 s19, 0
	s_wait_storecnt 0x0
	s_barrier_signal -1
	s_barrier_wait -1
	global_inv scope:SCOPE_SE
	s_branch .LBB1847_96
.LBB1847_95:                            ;   in Loop: Header=BB1847_96 Depth=1
	s_wait_alu 0xfffe
	s_or_b32 exec_lo, exec_lo, s15
	s_delay_alu instid0(SALU_CYCLE_1)
	s_and_b32 s14, exec_lo, s20
	s_wait_alu 0xfffe
	s_or_b32 s19, s14, s19
	s_wait_alu 0xfffe
	s_and_not1_b32 exec_lo, exec_lo, s19
	s_cbranch_execz .LBB1847_126
.LBB1847_96:                            ; =>This Inner Loop Header: Depth=1
	v_mov_b32_e32 v99, v9
	s_wait_kmcnt 0x0
	v_min_u32_e32 v4, s18, v98
	v_dual_mov_b32 v14, v22 :: v_dual_mov_b32 v17, v25
	v_dual_mov_b32 v16, v24 :: v_dual_mov_b32 v19, v27
	v_cmp_ne_u16_e64 s14, 0x7fff, v99
	s_delay_alu instid0(VALU_DEP_4)
	v_lshlrev_b32_e64 v4, v4, -1
	v_dual_mov_b32 v18, v26 :: v_dual_mov_b32 v21, v29
	v_dual_mov_b32 v20, v28 :: v_dual_mov_b32 v101, v103
	s_wait_alu 0xf1ff
	v_cndmask_b32_e64 v8, 0xffff8000, v99, s14
	v_not_b32_e32 v9, v4
	ds_store_b32 v32, v5
	ds_store_b32 v54, v5
	;; [unrolled: 1-line block ×6, first 2 shown]
	v_and_b32_e32 v8, 0xffff, v8
	ds_store_b32 v68, v5
	ds_store_b32 v69, v5
	s_wait_loadcnt_dscnt 0x0
	s_barrier_signal -1
	s_barrier_wait -1
	v_lshrrev_b32_e32 v4, v10, v8
	global_inv scope:SCOPE_SE
	v_mov_b32_e32 v15, v23
	; wave barrier
	v_and_b32_e32 v4, v4, v9
	v_mov_b32_e32 v100, v112
	s_delay_alu instid0(VALU_DEP_2)
	v_dual_mov_b32 v102, v36 :: v_dual_lshlrev_b32 v27, 26, v4
	v_and_b32_e32 v8, 1, v4
	v_lshlrev_b32_e32 v22, 30, v4
	v_lshlrev_b32_e32 v23, 29, v4
	;; [unrolled: 1-line block ×4, first 2 shown]
	v_add_co_u32 v8, s14, v8, -1
	s_wait_alu 0xf1ff
	v_cndmask_b32_e64 v25, 0, 1, s14
	v_not_b32_e32 v29, v22
	v_cmp_gt_i32_e64 s15, 0, v22
	v_not_b32_e32 v22, v23
	v_lshlrev_b32_e32 v28, 25, v4
	v_cmp_ne_u32_e64 s14, 0, v25
	v_ashrrev_i32_e32 v29, 31, v29
	v_lshlrev_b32_e32 v25, 24, v4
	v_ashrrev_i32_e32 v22, 31, v22
	v_lshlrev_b32_e32 v4, 3, v4
	s_wait_alu 0xf1ff
	v_xor_b32_e32 v8, s14, v8
	v_cmp_gt_i32_e64 s14, 0, v23
	v_not_b32_e32 v23, v24
	v_xor_b32_e32 v29, s15, v29
	v_cmp_gt_i32_e64 s15, 0, v24
	v_and_b32_e32 v8, exec_lo, v8
	v_not_b32_e32 v24, v26
	v_ashrrev_i32_e32 v23, 31, v23
	s_wait_alu 0xf1ff
	v_xor_b32_e32 v22, s14, v22
	v_cmp_gt_i32_e64 s14, 0, v26
	v_and_b32_e32 v8, v8, v29
	v_not_b32_e32 v26, v27
	v_ashrrev_i32_e32 v24, 31, v24
	v_xor_b32_e32 v23, s15, v23
	v_cmp_gt_i32_e64 s15, 0, v27
	v_and_b32_e32 v8, v8, v22
	v_not_b32_e32 v22, v28
	v_ashrrev_i32_e32 v26, 31, v26
	s_wait_alu 0xf1ff
	v_xor_b32_e32 v24, s14, v24
	v_cmp_gt_i32_e64 s14, 0, v28
	v_and_b32_e32 v8, v8, v23
	v_not_b32_e32 v23, v25
	v_ashrrev_i32_e32 v22, 31, v22
	v_xor_b32_e32 v26, s15, v26
	v_cmp_gt_i32_e64 s15, 0, v25
	v_and_b32_e32 v8, v8, v24
	v_ashrrev_i32_e32 v23, 31, v23
	s_wait_alu 0xf1ff
	v_xor_b32_e32 v22, s14, v22
	s_delay_alu instid0(VALU_DEP_3) | instskip(NEXT) | instid1(VALU_DEP_3)
	v_and_b32_e32 v8, v8, v26
	v_xor_b32_e32 v23, s15, v23
	s_delay_alu instid0(VALU_DEP_2) | instskip(NEXT) | instid1(VALU_DEP_1)
	v_and_b32_e32 v8, v8, v22
	v_and_b32_e32 v22, v8, v23
	v_add_lshl_u32 v8, v4, v70, 2
	s_delay_alu instid0(VALU_DEP_2) | instskip(NEXT) | instid1(VALU_DEP_2)
	v_mbcnt_lo_u32_b32 v4, v22, 0
	v_add_co_u32 v8, null, v12, v8
	v_cmp_ne_u32_e64 s15, 0, v22
	s_delay_alu instid0(VALU_DEP_3) | instskip(NEXT) | instid1(VALU_DEP_3)
	v_cmp_eq_u32_e64 s14, 0, v4
	v_add_co_u32 v8, null, v8, 32
	s_and_b32 s15, s15, s14
	s_wait_alu 0xfffe
	s_and_saveexec_b32 s14, s15
; %bb.97:                               ;   in Loop: Header=BB1847_96 Depth=1
	v_bcnt_u32_b32 v22, v22, 0
	ds_store_b32 v8, v22
; %bb.98:                               ;   in Loop: Header=BB1847_96 Depth=1
	s_wait_alu 0xfffe
	s_or_b32 exec_lo, exec_lo, s14
	v_cmp_ne_u16_e64 s14, 0x7fff, v101
	; wave barrier
	s_wait_alu 0xf1ff
	s_delay_alu instid0(VALU_DEP_1) | instskip(NEXT) | instid1(VALU_DEP_1)
	v_cndmask_b32_e64 v22, 0xffff8000, v101, s14
	v_and_b32_e32 v22, 0xffff, v22
	s_delay_alu instid0(VALU_DEP_1) | instskip(NEXT) | instid1(VALU_DEP_1)
	v_lshrrev_b32_e32 v22, v10, v22
	v_and_b32_e32 v22, v22, v9
	s_delay_alu instid0(VALU_DEP_1)
	v_and_b32_e32 v23, 1, v22
	v_lshlrev_b32_e32 v24, 30, v22
	v_lshlrev_b32_e32 v25, 29, v22
	;; [unrolled: 1-line block ×4, first 2 shown]
	v_add_co_u32 v23, s14, v23, -1
	s_wait_alu 0xf1ff
	v_cndmask_b32_e64 v27, 0, 1, s14
	v_not_b32_e32 v36, v24
	v_cmp_gt_i32_e64 s15, 0, v24
	v_not_b32_e32 v24, v25
	v_lshlrev_b32_e32 v29, 26, v22
	v_cmp_ne_u32_e64 s14, 0, v27
	v_ashrrev_i32_e32 v36, 31, v36
	v_lshlrev_b32_e32 v35, 25, v22
	v_ashrrev_i32_e32 v24, 31, v24
	v_lshlrev_b32_e32 v27, 24, v22
	s_wait_alu 0xf1ff
	v_xor_b32_e32 v23, s14, v23
	v_cmp_gt_i32_e64 s14, 0, v25
	v_not_b32_e32 v25, v26
	v_xor_b32_e32 v36, s15, v36
	v_cmp_gt_i32_e64 s15, 0, v26
	v_and_b32_e32 v23, exec_lo, v23
	v_not_b32_e32 v26, v28
	v_ashrrev_i32_e32 v25, 31, v25
	s_wait_alu 0xf1ff
	v_xor_b32_e32 v24, s14, v24
	v_cmp_gt_i32_e64 s14, 0, v28
	v_and_b32_e32 v23, v23, v36
	v_not_b32_e32 v28, v29
	v_ashrrev_i32_e32 v26, 31, v26
	v_xor_b32_e32 v25, s15, v25
	v_cmp_gt_i32_e64 s15, 0, v29
	v_and_b32_e32 v23, v23, v24
	v_not_b32_e32 v24, v35
	v_ashrrev_i32_e32 v28, 31, v28
	s_wait_alu 0xf1ff
	v_xor_b32_e32 v26, s14, v26
	v_cmp_gt_i32_e64 s14, 0, v35
	v_and_b32_e32 v23, v23, v25
	v_not_b32_e32 v25, v27
	v_ashrrev_i32_e32 v24, 31, v24
	v_xor_b32_e32 v28, s15, v28
	v_lshl_add_u32 v22, v22, 3, v70
	v_and_b32_e32 v23, v23, v26
	v_cmp_gt_i32_e64 s15, 0, v27
	v_ashrrev_i32_e32 v25, 31, v25
	s_wait_alu 0xf1ff
	v_xor_b32_e32 v24, s14, v24
	v_lshl_add_u32 v26, v22, 2, v12
	v_and_b32_e32 v23, v23, v28
	v_xor_b32_e32 v25, s15, v25
	ds_load_b32 v22, v26 offset:32
	v_and_b32_e32 v23, v23, v24
	v_add_nc_u32_e32 v24, 32, v26
	; wave barrier
	s_delay_alu instid0(VALU_DEP_2) | instskip(NEXT) | instid1(VALU_DEP_1)
	v_and_b32_e32 v25, v23, v25
	v_mbcnt_lo_u32_b32 v23, v25, 0
	v_cmp_ne_u32_e64 s15, 0, v25
	s_delay_alu instid0(VALU_DEP_2)
	v_cmp_eq_u32_e64 s14, 0, v23
	s_and_b32 s15, s15, s14
	s_wait_alu 0xfffe
	s_and_saveexec_b32 s14, s15
	s_cbranch_execz .LBB1847_100
; %bb.99:                               ;   in Loop: Header=BB1847_96 Depth=1
	s_wait_dscnt 0x0
	v_bcnt_u32_b32 v25, v25, v22
	ds_store_b32 v24, v25
.LBB1847_100:                           ;   in Loop: Header=BB1847_96 Depth=1
	s_wait_alu 0xfffe
	s_or_b32 exec_lo, exec_lo, s14
	v_cmp_ne_u16_e64 s14, 0x7fff, v100
	; wave barrier
	s_wait_alu 0xf1ff
	s_delay_alu instid0(VALU_DEP_1) | instskip(NEXT) | instid1(VALU_DEP_1)
	v_cndmask_b32_e64 v25, 0xffff8000, v100, s14
	v_and_b32_e32 v25, 0xffff, v25
	s_delay_alu instid0(VALU_DEP_1) | instskip(NEXT) | instid1(VALU_DEP_1)
	v_lshrrev_b32_e32 v25, v10, v25
	v_and_b32_e32 v25, v25, v9
	s_delay_alu instid0(VALU_DEP_1)
	v_and_b32_e32 v26, 1, v25
	v_lshlrev_b32_e32 v27, 30, v25
	v_lshlrev_b32_e32 v28, 29, v25
	;; [unrolled: 1-line block ×4, first 2 shown]
	v_add_co_u32 v26, s14, v26, -1
	s_wait_alu 0xf1ff
	v_cndmask_b32_e64 v35, 0, 1, s14
	v_not_b32_e32 v39, v27
	v_cmp_gt_i32_e64 s15, 0, v27
	v_not_b32_e32 v27, v28
	v_lshlrev_b32_e32 v37, 26, v25
	v_cmp_ne_u32_e64 s14, 0, v35
	v_ashrrev_i32_e32 v39, 31, v39
	v_lshlrev_b32_e32 v38, 25, v25
	v_ashrrev_i32_e32 v27, 31, v27
	v_lshlrev_b32_e32 v35, 24, v25
	s_wait_alu 0xf1ff
	v_xor_b32_e32 v26, s14, v26
	v_cmp_gt_i32_e64 s14, 0, v28
	v_not_b32_e32 v28, v29
	v_xor_b32_e32 v39, s15, v39
	v_cmp_gt_i32_e64 s15, 0, v29
	v_and_b32_e32 v26, exec_lo, v26
	v_not_b32_e32 v29, v36
	v_ashrrev_i32_e32 v28, 31, v28
	s_wait_alu 0xf1ff
	v_xor_b32_e32 v27, s14, v27
	v_cmp_gt_i32_e64 s14, 0, v36
	v_and_b32_e32 v26, v26, v39
	v_not_b32_e32 v36, v37
	v_ashrrev_i32_e32 v29, 31, v29
	v_xor_b32_e32 v28, s15, v28
	v_cmp_gt_i32_e64 s15, 0, v37
	v_and_b32_e32 v26, v26, v27
	v_not_b32_e32 v27, v38
	v_ashrrev_i32_e32 v36, 31, v36
	s_wait_alu 0xf1ff
	v_xor_b32_e32 v29, s14, v29
	v_cmp_gt_i32_e64 s14, 0, v38
	v_and_b32_e32 v26, v26, v28
	v_not_b32_e32 v28, v35
	v_ashrrev_i32_e32 v27, 31, v27
	v_xor_b32_e32 v36, s15, v36
	v_lshl_add_u32 v25, v25, 3, v70
	v_and_b32_e32 v26, v26, v29
	v_cmp_gt_i32_e64 s15, 0, v35
	v_ashrrev_i32_e32 v28, 31, v28
	s_wait_alu 0xf1ff
	v_xor_b32_e32 v27, s14, v27
	v_lshl_add_u32 v29, v25, 2, v12
	v_and_b32_e32 v26, v26, v36
	v_xor_b32_e32 v28, s15, v28
	ds_load_b32 v25, v29 offset:32
	v_and_b32_e32 v26, v26, v27
	v_add_nc_u32_e32 v27, 32, v29
	; wave barrier
	s_delay_alu instid0(VALU_DEP_2) | instskip(NEXT) | instid1(VALU_DEP_1)
	v_and_b32_e32 v28, v26, v28
	v_mbcnt_lo_u32_b32 v26, v28, 0
	v_cmp_ne_u32_e64 s15, 0, v28
	s_delay_alu instid0(VALU_DEP_2)
	v_cmp_eq_u32_e64 s14, 0, v26
	s_and_b32 s15, s15, s14
	s_wait_alu 0xfffe
	s_and_saveexec_b32 s14, s15
	s_cbranch_execz .LBB1847_102
; %bb.101:                              ;   in Loop: Header=BB1847_96 Depth=1
	s_wait_dscnt 0x0
	v_bcnt_u32_b32 v28, v28, v25
	ds_store_b32 v27, v28
.LBB1847_102:                           ;   in Loop: Header=BB1847_96 Depth=1
	s_wait_alu 0xfffe
	s_or_b32 exec_lo, exec_lo, s14
	v_cmp_ne_u16_e64 s14, 0x7fff, v102
	; wave barrier
	s_wait_alu 0xf1ff
	s_delay_alu instid0(VALU_DEP_1) | instskip(NEXT) | instid1(VALU_DEP_1)
	v_cndmask_b32_e64 v28, 0xffff8000, v102, s14
	v_and_b32_e32 v28, 0xffff, v28
	s_delay_alu instid0(VALU_DEP_1) | instskip(NEXT) | instid1(VALU_DEP_1)
	v_lshrrev_b32_e32 v28, v10, v28
	v_and_b32_e32 v9, v28, v9
	s_delay_alu instid0(VALU_DEP_1)
	v_and_b32_e32 v28, 1, v9
	v_lshlrev_b32_e32 v29, 30, v9
	v_lshlrev_b32_e32 v35, 29, v9
	;; [unrolled: 1-line block ×4, first 2 shown]
	v_add_co_u32 v28, s14, v28, -1
	s_wait_alu 0xf1ff
	v_cndmask_b32_e64 v37, 0, 1, s14
	v_not_b32_e32 v49, v29
	v_cmp_gt_i32_e64 s15, 0, v29
	v_not_b32_e32 v29, v35
	v_lshlrev_b32_e32 v39, 26, v9
	v_cmp_ne_u32_e64 s14, 0, v37
	v_ashrrev_i32_e32 v49, 31, v49
	v_lshlrev_b32_e32 v48, 25, v9
	v_ashrrev_i32_e32 v29, 31, v29
	v_lshlrev_b32_e32 v37, 24, v9
	s_wait_alu 0xf1ff
	v_xor_b32_e32 v28, s14, v28
	v_cmp_gt_i32_e64 s14, 0, v35
	v_not_b32_e32 v35, v36
	v_xor_b32_e32 v49, s15, v49
	v_cmp_gt_i32_e64 s15, 0, v36
	v_and_b32_e32 v28, exec_lo, v28
	v_not_b32_e32 v36, v38
	v_ashrrev_i32_e32 v35, 31, v35
	s_wait_alu 0xf1ff
	v_xor_b32_e32 v29, s14, v29
	v_cmp_gt_i32_e64 s14, 0, v38
	v_and_b32_e32 v28, v28, v49
	v_not_b32_e32 v38, v39
	v_ashrrev_i32_e32 v36, 31, v36
	v_xor_b32_e32 v35, s15, v35
	v_cmp_gt_i32_e64 s15, 0, v39
	v_and_b32_e32 v28, v28, v29
	v_not_b32_e32 v29, v48
	v_ashrrev_i32_e32 v38, 31, v38
	s_wait_alu 0xf1ff
	v_xor_b32_e32 v36, s14, v36
	v_cmp_gt_i32_e64 s14, 0, v48
	v_and_b32_e32 v28, v28, v35
	v_not_b32_e32 v35, v37
	v_ashrrev_i32_e32 v29, 31, v29
	v_xor_b32_e32 v38, s15, v38
	v_lshl_add_u32 v9, v9, 3, v70
	v_and_b32_e32 v28, v28, v36
	v_cmp_gt_i32_e64 s15, 0, v37
	v_ashrrev_i32_e32 v35, 31, v35
	s_wait_alu 0xf1ff
	v_xor_b32_e32 v29, s14, v29
	v_lshl_add_u32 v9, v9, 2, v12
	v_and_b32_e32 v28, v28, v38
	v_xor_b32_e32 v35, s15, v35
	s_delay_alu instid0(VALU_DEP_2) | instskip(SKIP_3) | instid1(VALU_DEP_1)
	v_and_b32_e32 v29, v28, v29
	ds_load_b32 v28, v9 offset:32
	v_add_nc_u32_e32 v9, 32, v9
	; wave barrier
	v_and_b32_e32 v35, v29, v35
	v_mbcnt_lo_u32_b32 v29, v35, 0
	v_cmp_ne_u32_e64 s15, 0, v35
	s_delay_alu instid0(VALU_DEP_2)
	v_cmp_eq_u32_e64 s14, 0, v29
	s_and_b32 s15, s15, s14
	s_wait_alu 0xfffe
	s_and_saveexec_b32 s14, s15
	s_cbranch_execz .LBB1847_104
; %bb.103:                              ;   in Loop: Header=BB1847_96 Depth=1
	s_wait_dscnt 0x0
	v_bcnt_u32_b32 v35, v35, v28
	ds_store_b32 v9, v35
.LBB1847_104:                           ;   in Loop: Header=BB1847_96 Depth=1
	s_wait_alu 0xfffe
	s_or_b32 exec_lo, exec_lo, s14
	; wave barrier
	s_wait_loadcnt_dscnt 0x0
	s_barrier_signal -1
	s_barrier_wait -1
	global_inv scope:SCOPE_SE
	ds_load_b32 v36, v32
	ds_load_b32 v37, v54
	;; [unrolled: 1-line block ×8, first 2 shown]
	s_wait_dscnt 0x6
	v_add_nc_u32_e32 v51, v37, v36
	s_wait_dscnt 0x4
	s_delay_alu instid0(VALU_DEP_1) | instskip(SKIP_1) | instid1(VALU_DEP_1)
	v_add3_u32 v51, v51, v38, v39
	s_wait_dscnt 0x2
	v_add3_u32 v51, v51, v48, v49
	s_wait_dscnt 0x0
	s_delay_alu instid0(VALU_DEP_1) | instskip(NEXT) | instid1(VALU_DEP_1)
	v_add3_u32 v50, v51, v35, v50
	v_mov_b32_dpp v51, v50 row_shr:1 row_mask:0xf bank_mask:0xf
	s_wait_alu 0xfffd
	s_delay_alu instid0(VALU_DEP_1) | instskip(NEXT) | instid1(VALU_DEP_1)
	v_cndmask_b32_e64 v51, v51, 0, vcc_lo
	v_add_nc_u32_e32 v50, v51, v50
	s_delay_alu instid0(VALU_DEP_1) | instskip(NEXT) | instid1(VALU_DEP_1)
	v_mov_b32_dpp v51, v50 row_shr:2 row_mask:0xf bank_mask:0xf
	v_cndmask_b32_e64 v51, 0, v51, s0
	s_delay_alu instid0(VALU_DEP_1) | instskip(NEXT) | instid1(VALU_DEP_1)
	v_add_nc_u32_e32 v50, v50, v51
	v_mov_b32_dpp v51, v50 row_shr:4 row_mask:0xf bank_mask:0xf
	s_delay_alu instid0(VALU_DEP_1) | instskip(NEXT) | instid1(VALU_DEP_1)
	v_cndmask_b32_e64 v51, 0, v51, s1
	v_add_nc_u32_e32 v50, v50, v51
	s_delay_alu instid0(VALU_DEP_1) | instskip(NEXT) | instid1(VALU_DEP_1)
	v_mov_b32_dpp v51, v50 row_shr:8 row_mask:0xf bank_mask:0xf
	v_cndmask_b32_e64 v51, 0, v51, s3
	s_delay_alu instid0(VALU_DEP_1) | instskip(SKIP_3) | instid1(VALU_DEP_1)
	v_add_nc_u32_e32 v50, v50, v51
	ds_swizzle_b32 v51, v50 offset:swizzle(BROADCAST,32,15)
	s_wait_dscnt 0x0
	v_cndmask_b32_e64 v51, v51, 0, s4
	v_add_nc_u32_e32 v50, v50, v51
	s_and_saveexec_b32 s14, s5
; %bb.105:                              ;   in Loop: Header=BB1847_96 Depth=1
	ds_store_b32 v80, v50
; %bb.106:                              ;   in Loop: Header=BB1847_96 Depth=1
	s_wait_alu 0xfffe
	s_or_b32 exec_lo, exec_lo, s14
	s_wait_loadcnt_dscnt 0x0
	s_barrier_signal -1
	s_barrier_wait -1
	global_inv scope:SCOPE_SE
	s_and_saveexec_b32 s14, s6
	s_cbranch_execz .LBB1847_108
; %bb.107:                              ;   in Loop: Header=BB1847_96 Depth=1
	ds_load_b32 v51, v81
	s_wait_dscnt 0x0
	v_mov_b32_dpp v52, v51 row_shr:1 row_mask:0xf bank_mask:0xf
	s_delay_alu instid0(VALU_DEP_1) | instskip(NEXT) | instid1(VALU_DEP_1)
	v_cndmask_b32_e64 v52, v52, 0, s11
	v_add_nc_u32_e32 v51, v52, v51
	s_delay_alu instid0(VALU_DEP_1) | instskip(NEXT) | instid1(VALU_DEP_1)
	v_mov_b32_dpp v52, v51 row_shr:2 row_mask:0xf bank_mask:0xf
	v_cndmask_b32_e64 v52, 0, v52, s12
	s_delay_alu instid0(VALU_DEP_1) | instskip(NEXT) | instid1(VALU_DEP_1)
	v_add_nc_u32_e32 v51, v51, v52
	v_mov_b32_dpp v52, v51 row_shr:4 row_mask:0xf bank_mask:0xf
	s_delay_alu instid0(VALU_DEP_1) | instskip(NEXT) | instid1(VALU_DEP_1)
	v_cndmask_b32_e64 v52, 0, v52, s13
	v_add_nc_u32_e32 v51, v51, v52
	ds_store_b32 v81, v51
.LBB1847_108:                           ;   in Loop: Header=BB1847_96 Depth=1
	s_wait_alu 0xfffe
	s_or_b32 exec_lo, exec_lo, s14
	v_mov_b32_e32 v51, 0
	s_wait_loadcnt_dscnt 0x0
	s_barrier_signal -1
	s_barrier_wait -1
	global_inv scope:SCOPE_SE
	s_and_saveexec_b32 s14, s7
; %bb.109:                              ;   in Loop: Header=BB1847_96 Depth=1
	ds_load_b32 v51, v83
; %bb.110:                              ;   in Loop: Header=BB1847_96 Depth=1
	s_wait_alu 0xfffe
	s_or_b32 exec_lo, exec_lo, s14
	s_wait_dscnt 0x0
	v_add_nc_u32_e32 v50, v51, v50
	v_add_nc_u32_e32 v10, 8, v10
	s_mov_b32 s20, -1
                                        ; implicit-def: $vgpr103
                                        ; implicit-def: $vgpr112
	ds_bpermute_b32 v50, v71, v50
	s_wait_dscnt 0x0
	v_cndmask_b32_e64 v50, v50, v51, s2
	s_delay_alu instid0(VALU_DEP_1) | instskip(NEXT) | instid1(VALU_DEP_1)
	v_cndmask_b32_e64 v50, v50, 0, s10
	v_add_nc_u32_e32 v36, v50, v36
	s_delay_alu instid0(VALU_DEP_1)
	v_add_nc_u32_e32 v37, v36, v37
	ds_store_b32 v32, v50
	ds_store_b32 v54, v36
	;; [unrolled: 1-line block ×3, first 2 shown]
	v_mov_b32_e32 v36, v5
	v_add_nc_u32_e32 v38, v37, v38
	s_delay_alu instid0(VALU_DEP_1) | instskip(NEXT) | instid1(VALU_DEP_1)
	v_add_nc_u32_e32 v39, v38, v39
	v_add_nc_u32_e32 v48, v39, v48
	s_delay_alu instid0(VALU_DEP_1) | instskip(NEXT) | instid1(VALU_DEP_1)
	v_add_nc_u32_e32 v49, v48, v49
	v_add_nc_u32_e32 v35, v49, v35
	ds_store_b32 v64, v38
	ds_store_b32 v65, v39
	ds_store_b32 v67, v48
	ds_store_b32 v68, v49
	ds_store_b32 v69, v35
	s_wait_loadcnt_dscnt 0x0
	s_barrier_signal -1
	s_barrier_wait -1
	global_inv scope:SCOPE_SE
	ds_load_b32 v8, v8
	ds_load_b32 v24, v24
	;; [unrolled: 1-line block ×4, first 2 shown]
	v_dual_mov_b32 v9, v5 :: v_dual_mov_b32 v38, v5
	s_wait_loadcnt_dscnt 0x0
	v_add_nc_u32_e32 v4, v8, v4
	v_add3_u32 v8, v23, v22, v24
	v_add3_u32 v35, v26, v25, v27
	;; [unrolled: 1-line block ×3, first 2 shown]
	s_delay_alu instid0(VALU_DEP_4) | instskip(NEXT) | instid1(VALU_DEP_4)
	v_lshlrev_b64_e32 v[22:23], 1, v[4:5]
	v_lshlrev_b64_e32 v[24:25], 1, v[8:9]
	s_delay_alu instid0(VALU_DEP_4) | instskip(NEXT) | instid1(VALU_DEP_4)
	v_lshlrev_b64_e32 v[26:27], 1, v[35:36]
	v_lshlrev_b64_e32 v[28:29], 1, v[37:38]
                                        ; implicit-def: $vgpr9
                                        ; implicit-def: $vgpr36
	s_delay_alu instid0(VALU_DEP_4)
	v_add_co_u32 v52, s15, v12, v22
	s_wait_alu 0xf1ff
	v_add_co_ci_u32_e64 v53, null, v13, v23, s15
	v_add_co_u32 v50, s15, v12, v24
	s_wait_alu 0xf1ff
	v_add_co_ci_u32_e64 v51, null, v13, v25, s15
	v_add_co_u32 v48, s15, v12, v26
	s_wait_alu 0xf1ff
	v_add_co_ci_u32_e64 v49, null, v13, v27, s15
	v_add_co_u32 v38, s15, v12, v28
	s_wait_alu 0xf1ff
	v_add_co_ci_u32_e64 v39, null, v13, v29, s15
	s_mov_b32 s15, exec_lo
                                        ; implicit-def: $vgpr22_vgpr23_vgpr24_vgpr25_vgpr26_vgpr27_vgpr28_vgpr29
	v_cmpx_lt_u32_e64 v10, v11
	s_cbranch_execz .LBB1847_95
; %bb.111:                              ;   in Loop: Header=BB1847_96 Depth=1
	v_mad_co_u64_u32 v[22:23], null, v4, 6, v[52:53]
	v_mad_co_u64_u32 v[23:24], null, v8, 6, v[50:51]
	;; [unrolled: 1-line block ×4, first 2 shown]
	s_barrier_signal -1
	s_barrier_wait -1
	global_inv scope:SCOPE_SE
	ds_store_b16 v52, v99
	ds_store_b16 v50, v101
	;; [unrolled: 1-line block ×4, first 2 shown]
	s_wait_loadcnt_dscnt 0x0
	s_barrier_signal -1
	s_barrier_wait -1
	global_inv scope:SCOPE_SE
	ds_load_u16 v9, v66
	ds_load_u16 v103, v84
	;; [unrolled: 1-line block ×4, first 2 shown]
	s_wait_loadcnt_dscnt 0x0
	s_barrier_signal -1
	s_barrier_wait -1
	global_inv scope:SCOPE_SE
	ds_store_b64 v22, v[14:15]
	ds_store_b64 v23, v[16:17]
	;; [unrolled: 1-line block ×4, first 2 shown]
	s_wait_loadcnt_dscnt 0x0
	s_barrier_signal -1
	s_barrier_wait -1
	global_inv scope:SCOPE_SE
	ds_load_b64 v[22:23], v82
	ds_load_b64 v[24:25], v87
	;; [unrolled: 1-line block ×4, first 2 shown]
	v_add_nc_u32_e32 v98, -8, v98
	s_xor_b32 s20, exec_lo, -1
	s_wait_loadcnt_dscnt 0x0
	s_barrier_signal -1
	s_barrier_wait -1
	global_inv scope:SCOPE_SE
	s_branch .LBB1847_95
.LBB1847_112:
	flat_load_b64 v[33:34], v[4:5]
	s_wait_alu 0xfffe
	s_or_b32 exec_lo, exec_lo, s7
                                        ; implicit-def: $vgpr35_vgpr36
	s_and_saveexec_b32 s7, s0
	s_cbranch_execz .LBB1847_20
.LBB1847_113:
	flat_load_b64 v[35:36], v[4:5] offset:256
	s_wait_alu 0xfffe
	s_or_b32 exec_lo, exec_lo, s7
                                        ; implicit-def: $vgpr37_vgpr38
	s_and_saveexec_b32 s0, s1
	s_cbranch_execz .LBB1847_21
.LBB1847_114:
	flat_load_b64 v[37:38], v[4:5] offset:512
	s_wait_alu 0xfffe
	s_or_b32 exec_lo, exec_lo, s0
                                        ; implicit-def: $vgpr48_vgpr49
	s_and_saveexec_b32 s0, s2
	s_cbranch_execz .LBB1847_22
.LBB1847_115:
	flat_load_b64 v[48:49], v[4:5] offset:768
	s_wait_alu 0xfffe
	s_or_b32 exec_lo, exec_lo, s0
                                        ; implicit-def: $vgpr50_vgpr51
	s_and_saveexec_b32 s0, s3
	s_cbranch_execz .LBB1847_23
.LBB1847_116:
	flat_load_b64 v[50:51], v[4:5] offset:1024
	s_wait_alu 0xfffe
	s_or_b32 exec_lo, exec_lo, s0
                                        ; implicit-def: $vgpr52_vgpr53
	s_and_saveexec_b32 s0, s4
	s_cbranch_execz .LBB1847_24
.LBB1847_117:
	flat_load_b64 v[52:53], v[4:5] offset:1280
	s_wait_alu 0xfffe
	s_or_b32 exec_lo, exec_lo, s0
                                        ; implicit-def: $vgpr54_vgpr55
	s_and_saveexec_b32 s0, s5
	s_cbranch_execz .LBB1847_25
.LBB1847_118:
	flat_load_b64 v[54:55], v[4:5] offset:1536
	s_wait_alu 0xfffe
	s_or_b32 exec_lo, exec_lo, s0
                                        ; implicit-def: $vgpr64_vgpr65
	s_and_saveexec_b32 s0, s6
	s_cbranch_execnz .LBB1847_26
	s_branch .LBB1847_27
.LBB1847_119:
	flat_store_b64 v[0:1], v[20:21]
	s_wait_alu 0xfffe
	s_or_b32 exec_lo, exec_lo, s7
	s_and_saveexec_b32 s7, s0
	s_cbranch_execz .LBB1847_71
.LBB1847_120:
	flat_store_b64 v[0:1], v[22:23] offset:2048
	s_wait_alu 0xfffe
	s_or_b32 exec_lo, exec_lo, s7
	s_and_saveexec_b32 s0, s1
	s_cbranch_execz .LBB1847_72
.LBB1847_121:
	flat_store_b64 v[0:1], v[16:17] offset:4096
	s_wait_alu 0xfffe
	s_or_b32 exec_lo, exec_lo, s0
	s_and_saveexec_b32 s0, s2
	s_cbranch_execz .LBB1847_73
.LBB1847_122:
	flat_store_b64 v[0:1], v[18:19] offset:6144
	s_wait_alu 0xfffe
	s_or_b32 exec_lo, exec_lo, s0
	s_and_saveexec_b32 s0, s3
	s_cbranch_execz .LBB1847_74
.LBB1847_123:
	flat_store_b64 v[0:1], v[12:13] offset:8192
	s_wait_alu 0xfffe
	s_or_b32 exec_lo, exec_lo, s0
	s_and_saveexec_b32 s0, s4
	s_cbranch_execz .LBB1847_75
.LBB1847_124:
	flat_store_b64 v[0:1], v[14:15] offset:10240
	s_wait_alu 0xfffe
	s_or_b32 exec_lo, exec_lo, s0
	s_and_saveexec_b32 s0, s5
	s_cbranch_execz .LBB1847_76
.LBB1847_125:
	flat_store_b64 v[0:1], v[8:9] offset:12288
	s_wait_alu 0xfffe
	s_or_b32 exec_lo, exec_lo, s0
	s_and_saveexec_b32 s0, s6
	s_cbranch_execnz .LBB1847_77
	s_branch .LBB1847_78
.LBB1847_126:
	s_or_b32 exec_lo, exec_lo, s19
	v_lshl_add_u32 v25, v30, 1, v12
	v_mad_co_u64_u32 v[9:10], null, v4, 6, v[52:53]
	v_mul_u32_u24_e32 v4, 6, v30
	v_mad_co_u64_u32 v[10:11], null, v8, 6, v[50:51]
	v_mad_co_u64_u32 v[11:12], null, v35, 6, v[48:49]
	;; [unrolled: 1-line block ×3, first 2 shown]
	s_delay_alu instid0(VALU_DEP_4)
	v_add_nc_u32_e32 v4, v25, v4
	s_barrier_signal -1
	s_barrier_wait -1
	s_wait_loadcnt 0x0
	global_inv scope:SCOPE_SE
	ds_store_b16 v52, v99
	ds_store_b16 v50, v101
	;; [unrolled: 1-line block ×4, first 2 shown]
	s_wait_loadcnt_dscnt 0x0
	s_barrier_signal -1
	s_barrier_wait -1
	global_inv scope:SCOPE_SE
	ds_load_u16 v24, v25
	ds_load_u16 v23, v25 offset:512
	ds_load_u16 v22, v25 offset:1024
	;; [unrolled: 1-line block ×3, first 2 shown]
	s_wait_loadcnt_dscnt 0x0
	s_barrier_signal -1
	s_barrier_wait -1
	global_inv scope:SCOPE_SE
	ds_store_b64 v9, v[14:15]
	ds_store_b64 v10, v[16:17]
	;; [unrolled: 1-line block ×4, first 2 shown]
	s_wait_loadcnt_dscnt 0x0
	s_barrier_signal -1
	s_barrier_wait -1
	global_inv scope:SCOPE_SE
	ds_load_2addr_stride64_b64 v[12:15], v4 offset1:4
	ds_load_2addr_stride64_b64 v[8:11], v4 offset0:8 offset1:12
	v_mov_b32_e32 v32, 0
	v_add_co_u32 v2, vcc_lo, v2, v33
	s_wait_alu 0xfffd
	v_add_co_ci_u32_e64 v3, null, v3, v34, vcc_lo
	s_delay_alu instid0(VALU_DEP_3)
	v_lshlrev_b64_e32 v[16:17], 1, v[31:32]
	s_wait_loadcnt_dscnt 0x0
	s_barrier_signal -1
	s_barrier_wait -1
	global_inv scope:SCOPE_SE
	v_add_co_u32 v2, vcc_lo, v2, v16
	s_wait_alu 0xfffd
	v_add_co_ci_u32_e64 v3, null, v3, v17, vcc_lo
	v_cmp_lt_u32_e32 vcc_lo, v31, v128
	s_and_saveexec_b32 s1, vcc_lo
	s_cbranch_execz .LBB1847_128
; %bb.127:
	v_cmp_lt_i16_e64 s0, -1, v24
	s_wait_alu 0xf1ff
	s_delay_alu instid0(VALU_DEP_1) | instskip(NEXT) | instid1(VALU_DEP_1)
	v_cndmask_b32_e64 v4, 0xffff8000, -1, s0
	v_xor_b32_e32 v4, v4, v24
	flat_store_b16 v[2:3], v4
.LBB1847_128:
	s_wait_alu 0xfffe
	s_or_b32 exec_lo, exec_lo, s1
	v_add_nc_u32_e32 v4, 0x100, v31
	s_delay_alu instid0(VALU_DEP_1)
	v_cmp_lt_u32_e64 s0, v4, v128
	s_and_saveexec_b32 s2, s0
	s_cbranch_execz .LBB1847_130
; %bb.129:
	v_cmp_lt_i16_e64 s1, -1, v23
	s_wait_alu 0xf1ff
	s_delay_alu instid0(VALU_DEP_1) | instskip(NEXT) | instid1(VALU_DEP_1)
	v_cndmask_b32_e64 v4, 0xffff8000, -1, s1
	v_xor_b32_e32 v4, v4, v23
	flat_store_b16 v[2:3], v4 offset:512
.LBB1847_130:
	s_wait_alu 0xfffe
	s_or_b32 exec_lo, exec_lo, s2
	v_add_nc_u32_e32 v4, 0x200, v31
	s_delay_alu instid0(VALU_DEP_1)
	v_cmp_lt_u32_e64 s1, v4, v128
	s_and_saveexec_b32 s3, s1
	s_cbranch_execz .LBB1847_132
; %bb.131:
	v_cmp_lt_i16_e64 s2, -1, v22
	s_wait_alu 0xf1ff
	s_delay_alu instid0(VALU_DEP_1) | instskip(NEXT) | instid1(VALU_DEP_1)
	v_cndmask_b32_e64 v4, 0xffff8000, -1, s2
	v_xor_b32_e32 v4, v4, v22
	flat_store_b16 v[2:3], v4 offset:1024
.LBB1847_132:
	;; [unrolled: 15-line block ×3, first 2 shown]
	s_wait_alu 0xfffe
	s_or_b32 exec_lo, exec_lo, s4
	v_lshlrev_b64_e32 v[2:3], 3, v[31:32]
	v_add_co_u32 v0, s3, v6, v0
	s_wait_alu 0xf1ff
	v_add_co_ci_u32_e64 v1, null, v7, v1, s3
	s_delay_alu instid0(VALU_DEP_2) | instskip(SKIP_1) | instid1(VALU_DEP_2)
	v_add_co_u32 v0, s3, v0, v2
	s_wait_alu 0xf1ff
	v_add_co_ci_u32_e64 v1, null, v1, v3, s3
	s_and_saveexec_b32 s3, vcc_lo
	s_cbranch_execnz .LBB1847_167
; %bb.135:
	s_wait_alu 0xfffe
	s_or_b32 exec_lo, exec_lo, s3
	s_and_saveexec_b32 s3, s0
	s_cbranch_execnz .LBB1847_168
.LBB1847_136:
	s_wait_alu 0xfffe
	s_or_b32 exec_lo, exec_lo, s3
	s_and_saveexec_b32 s0, s1
	s_cbranch_execnz .LBB1847_169
.LBB1847_137:
	s_wait_alu 0xfffe
	s_or_b32 exec_lo, exec_lo, s0
	s_and_saveexec_b32 s0, s2
	s_cbranch_execz .LBB1847_139
.LBB1847_138:
	flat_store_b64 v[0:1], v[10:11] offset:6144
.LBB1847_139:
	s_wait_alu 0xfffe
	s_or_b32 exec_lo, exec_lo, s0
                                        ; implicit-def: $vgpr128
                                        ; implicit-def: $vgpr0
                                        ; implicit-def: $vgpr1
                                        ; implicit-def: $vgpr2
                                        ; implicit-def: $vgpr3
                                        ; implicit-def: $vgpr4
                                        ; implicit-def: $vgpr5
                                        ; implicit-def: $vgpr6
                                        ; implicit-def: $vgpr7
                                        ; implicit-def: $vgpr8
                                        ; implicit-def: $vgpr10
                                        ; implicit-def: $vgpr11
                                        ; implicit-def: $vgpr12
                                        ; implicit-def: $vgpr13
                                        ; implicit-def: $vgpr9
                                        ; implicit-def: $vgpr14
                                        ; implicit-def: $vgpr30
                                        ; implicit-def: $vgpr66
.LBB1847_140:
	s_wait_alu 0xfffe
	s_and_not1_saveexec_b32 s0, s17
	s_cbranch_execz .LBB1847_199
; %bb.141:
	s_load_b64 s[0:1], s[8:9], 0x0
	s_and_b32 s2, ttmp7, 0xffff
	s_mov_b32 s3, 0
	s_wait_kmcnt 0x0
	s_wait_alu 0xfffe
	s_cmp_lt_u32 s2, s1
	s_cselect_b32 s2, 14, 20
	s_cmp_lt_u32 ttmp9, s0
	s_wait_alu 0xfffe
	s_add_nc_u64 s[4:5], s[8:9], s[2:3]
	s_cselect_b32 s2, 12, 18
	s_load_u16 s4, s[4:5], 0x0
	s_add_nc_u64 s[0:1], s[8:9], s[2:3]
	s_load_u16 s0, s[0:1], 0x0
	s_wait_kmcnt 0x0
	v_mad_u32_u24 v14, v14, s4, v9
	v_mov_b32_e32 v9, 0
	s_delay_alu instid0(VALU_DEP_2) | instskip(NEXT) | instid1(VALU_DEP_2)
	v_mad_co_u64_u32 v[14:15], null, v14, s0, v[30:31]
	v_lshlrev_b64_e32 v[16:17], 1, v[8:9]
	s_mov_b32 s0, exec_lo
	v_cmpx_lt_u32_e32 0x100, v128
	s_wait_alu 0xfffe
	s_xor_b32 s14, exec_lo, s0
	s_cbranch_execz .LBB1847_179
; %bb.142:
	s_delay_alu instid0(VALU_DEP_3) | instskip(SKIP_1) | instid1(VALU_DEP_2)
	v_dual_mov_b32 v24, 0x7fff :: v_dual_lshlrev_b32 v15, 1, v14
	v_dual_mov_b32 v19, v9 :: v_dual_lshlrev_b32 v20, 1, v66
	v_and_b32_e32 v18, 0xffffffc0, v15
	v_add_co_u32 v15, vcc_lo, v0, v16
	s_wait_alu 0xfffd
	v_add_co_ci_u32_e64 v21, null, v1, v17, vcc_lo
	s_delay_alu instid0(VALU_DEP_3) | instskip(NEXT) | instid1(VALU_DEP_3)
	v_lshlrev_b64_e32 v[0:1], 1, v[18:19]
	v_add_co_u32 v15, vcc_lo, v15, v20
	s_wait_alu 0xfffd
	s_delay_alu instid0(VALU_DEP_3) | instskip(SKIP_1) | instid1(VALU_DEP_3)
	v_add_co_ci_u32_e64 v21, null, 0, v21, vcc_lo
	v_or_b32_e32 v20, v66, v18
	v_add_co_u32 v0, vcc_lo, v15, v0
	s_wait_alu 0xfffd
	s_delay_alu instid0(VALU_DEP_3) | instskip(NEXT) | instid1(VALU_DEP_3)
	v_add_co_ci_u32_e64 v1, null, v21, v1, vcc_lo
	v_cmp_lt_u32_e32 vcc_lo, v20, v128
	v_mov_b32_e32 v15, 0x7fff
	s_and_saveexec_b32 s0, vcc_lo
	s_cbranch_execz .LBB1847_144
; %bb.143:
	flat_load_u16 v24, v[0:1]
.LBB1847_144:
	s_wait_alu 0xfffe
	s_or_b32 exec_lo, exec_lo, s0
	v_or_b32_e32 v20, 32, v20
	s_delay_alu instid0(VALU_DEP_1)
	v_cmp_lt_u32_e64 s0, v20, v128
	s_and_saveexec_b32 s1, s0
	s_cbranch_execz .LBB1847_146
; %bb.145:
	flat_load_u16 v15, v[0:1] offset:64
.LBB1847_146:
	s_wait_alu 0xfffe
	s_or_b32 exec_lo, exec_lo, s1
	v_lshlrev_b64_e32 v[0:1], 3, v[8:9]
	v_lshlrev_b32_e32 v22, 3, v66
	v_lshlrev_b64_e32 v[8:9], 3, v[18:19]
	v_mov_b32_e32 v20, 0
	v_mov_b32_e32 v21, 0
	v_add_co_u32 v4, s1, v4, v0
	s_wait_alu 0xf1ff
	v_add_co_ci_u32_e64 v5, null, v5, v1, s1
	s_delay_alu instid0(VALU_DEP_2) | instskip(SKIP_1) | instid1(VALU_DEP_2)
	v_add_co_u32 v4, s1, v4, v22
	s_wait_alu 0xf1ff
	v_add_co_ci_u32_e64 v5, null, 0, v5, s1
	v_mov_b32_e32 v22, 0
	s_delay_alu instid0(VALU_DEP_3)
	v_add_co_u32 v4, s1, v4, v8
	v_mov_b32_e32 v23, 0
	s_wait_alu 0xf1ff
	v_add_co_ci_u32_e64 v5, null, v5, v9, s1
	s_and_saveexec_b32 s1, vcc_lo
	s_cbranch_execz .LBB1847_148
; %bb.147:
	flat_load_b64 v[22:23], v[4:5]
.LBB1847_148:
	s_wait_alu 0xfffe
	s_or_b32 exec_lo, exec_lo, s1
	s_and_saveexec_b32 s1, s0
	s_cbranch_execz .LBB1847_150
; %bb.149:
	flat_load_b64 v[20:21], v[4:5] offset:256
.LBB1847_150:
	s_wait_alu 0xfffe
	s_or_b32 exec_lo, exec_lo, s1
	s_wait_loadcnt_dscnt 0x0
	v_cmp_lt_i16_e32 vcc_lo, -1, v24
	v_lshl_add_u32 v8, v30, 5, v12
	v_sub_co_u32 v9, s2, v66, 1
	s_getpc_b64 s[0:1]
	s_wait_alu 0xfffe
	s_sext_i32_i16 s1, s1
	s_add_co_u32 s0, s0, _ZN7rocprim17ROCPRIM_400000_NS16block_radix_sortI6__halfLj256ELj2ElLj1ELj1ELj8ELNS0_26block_radix_rank_algorithmE2ELNS0_18block_padding_hintE2ELNS0_4arch9wavefront6targetE0EE19radix_bits_per_passE@rel32@lo+12
	s_wait_alu 0xfffe
	s_add_co_ci_u32 s1, s1, _ZN7rocprim17ROCPRIM_400000_NS16block_radix_sortI6__halfLj256ELj2ElLj1ELj1ELj8ELNS0_26block_radix_rank_algorithmE2ELNS0_18block_padding_hintE2ELNS0_4arch9wavefront6targetE0EE19radix_bits_per_passE@rel32@hi+24
	s_wait_alu 0xfffd
	v_cndmask_b32_e64 v4, -1, 0xffff8000, vcc_lo
	v_cmp_lt_i16_e32 vcc_lo, -1, v15
	v_add_nc_u32_e32 v29, 36, v8
	v_add_nc_u32_e32 v31, 40, v8
	;; [unrolled: 1-line block ×3, first 2 shown]
	v_xor_b32_e32 v67, v4, v24
	v_and_b32_e32 v4, 0x3e0, v30
	s_wait_alu 0xfffd
	v_cndmask_b32_e64 v5, -1, 0xffff8000, vcc_lo
	v_add_nc_u32_e32 v33, 48, v8
	v_add_nc_u32_e32 v34, 52, v8
	;; [unrolled: 1-line block ×3, first 2 shown]
	v_min_u32_e32 v4, 0xe0, v4
	v_xor_b32_e32 v65, v5, v15
	v_add_nc_u32_e32 v15, 32, v8
	v_and_b32_e32 v5, 15, v66
	v_add_nc_u32_e32 v36, 60, v8
	v_or_b32_e32 v4, 31, v4
	v_and_b32_e32 v8, 16, v66
	v_cmp_gt_i32_e64 s6, 0, v9
	s_load_b32 s15, s[0:1], 0x0
	v_cmp_eq_u32_e32 vcc_lo, 0, v5
	v_cmp_eq_u32_e64 s5, v30, v4
	v_lshlrev_b32_e32 v4, 1, v30
	v_cmp_lt_u32_e64 s0, 1, v5
	v_cmp_lt_u32_e64 s1, 3, v5
	;; [unrolled: 1-line block ×3, first 2 shown]
	v_cmp_eq_u32_e64 s4, 0, v8
	v_cndmask_b32_e64 v5, v9, v66, s6
	v_lshrrev_b32_e32 v8, 3, v30
	v_and_or_b32 v4, 0x7c0, v4, v66
	v_lshrrev_b32_e32 v37, 5, v14
	v_cmp_gt_u32_e64 s6, 8, v30
	v_lshlrev_b32_e32 v38, 2, v5
	v_and_b32_e32 v5, 0x7c, v8
	v_lshl_add_u32 v39, v4, 1, v12
	v_mul_u32_u24_e32 v4, 6, v4
	v_and_b32_e32 v8, 7, v66
	v_cmp_lt_u32_e64 s7, 31, v30
	v_add_nc_u32_e32 v48, v12, v5
	v_cmp_eq_u32_e64 s8, 0, v30
	v_dual_mov_b32 v5, 0 :: v_dual_add_nc_u32 v50, v39, v4
	v_lshl_add_u32 v49, v30, 2, v12
	v_cmp_eq_u32_e64 s9, 0, v8
	v_cmp_lt_u32_e64 s10, 1, v8
	v_cmp_lt_u32_e64 s11, 3, v8
	v_add_nc_u32_e32 v51, -4, v48
	v_add_nc_u32_e32 v52, 64, v39
	v_add_nc_u32_e32 v53, 0x100, v50
	v_sub_nc_u32_e32 v54, v11, v10
	s_mov_b32 s17, 0
	s_wait_storecnt 0x0
	s_barrier_signal -1
	s_barrier_wait -1
	global_inv scope:SCOPE_SE
	s_branch .LBB1847_152
.LBB1847_151:                           ;   in Loop: Header=BB1847_152 Depth=1
	s_wait_alu 0xfffe
	s_or_b32 exec_lo, exec_lo, s13
	s_delay_alu instid0(SALU_CYCLE_1)
	s_and_b32 s12, exec_lo, s18
	s_wait_alu 0xfffe
	s_or_b32 s17, s12, s17
	s_wait_alu 0xfffe
	s_and_not1_b32 exec_lo, exec_lo, s17
	s_cbranch_execz .LBB1847_170
.LBB1847_152:                           ; =>This Inner Loop Header: Depth=1
	v_mov_b32_e32 v55, v67
	s_wait_kmcnt 0x0
	v_min_u32_e32 v4, s15, v54
	ds_store_b32 v15, v5
	ds_store_b32 v29, v5
	;; [unrolled: 1-line block ×6, first 2 shown]
	v_cmp_ne_u16_e64 s12, 0x7fff, v55
	v_lshlrev_b32_e64 v4, v4, -1
	ds_store_b32 v35, v5
	ds_store_b32 v36, v5
	s_wait_loadcnt_dscnt 0x0
	s_barrier_signal -1
	s_wait_alu 0xf1ff
	v_cndmask_b32_e64 v8, 0xffff8000, v55, s12
	v_not_b32_e32 v24, v4
	s_barrier_wait -1
	global_inv scope:SCOPE_SE
	v_and_b32_e32 v8, 0xffff, v8
	; wave barrier
	s_delay_alu instid0(VALU_DEP_1) | instskip(SKIP_1) | instid1(VALU_DEP_2)
	v_lshrrev_b32_e32 v4, v10, v8
	v_dual_mov_b32 v8, v20 :: v_dual_mov_b32 v9, v21
	v_and_b32_e32 v4, v4, v24
	v_dual_mov_b32 v18, v22 :: v_dual_mov_b32 v19, v23
	s_delay_alu instid0(VALU_DEP_2)
	v_and_b32_e32 v20, 1, v4
	v_lshlrev_b32_e32 v21, 30, v4
	v_lshlrev_b32_e32 v22, 29, v4
	;; [unrolled: 1-line block ×4, first 2 shown]
	v_add_co_u32 v20, s12, v20, -1
	s_wait_alu 0xf1ff
	v_cndmask_b32_e64 v25, 0, 1, s12
	v_not_b32_e32 v64, v21
	v_cmp_gt_i32_e64 s13, 0, v21
	v_not_b32_e32 v21, v22
	v_lshlrev_b32_e32 v27, 26, v4
	v_cmp_ne_u32_e64 s12, 0, v25
	v_ashrrev_i32_e32 v64, 31, v64
	v_lshlrev_b32_e32 v28, 25, v4
	v_ashrrev_i32_e32 v21, 31, v21
	v_lshlrev_b32_e32 v25, 24, v4
	s_wait_alu 0xf1ff
	v_xor_b32_e32 v20, s12, v20
	v_xor_b32_e32 v64, s13, v64
	v_cmp_gt_i32_e64 s12, 0, v22
	v_lshlrev_b32_e32 v4, 3, v4
	s_delay_alu instid0(VALU_DEP_4) | instskip(SKIP_1) | instid1(VALU_DEP_3)
	v_and_b32_e32 v20, exec_lo, v20
	s_wait_alu 0xf1ff
	v_xor_b32_e32 v21, s12, v21
	v_cmp_gt_i32_e64 s12, 0, v26
	s_delay_alu instid0(VALU_DEP_3)
	v_and_b32_e32 v20, v20, v64
	v_mov_b32_e32 v64, v65
	v_not_b32_e32 v22, v23
	v_cmp_gt_i32_e64 s13, 0, v23
	v_not_b32_e32 v23, v26
	v_not_b32_e32 v26, v27
	v_and_b32_e32 v20, v20, v21
	v_ashrrev_i32_e32 v22, 31, v22
	v_not_b32_e32 v21, v28
	v_ashrrev_i32_e32 v23, 31, v23
	v_ashrrev_i32_e32 v26, 31, v26
	s_wait_alu 0xf1ff
	v_xor_b32_e32 v22, s13, v22
	v_cmp_gt_i32_e64 s13, 0, v27
	v_xor_b32_e32 v23, s12, v23
	v_cmp_gt_i32_e64 s12, 0, v28
	v_ashrrev_i32_e32 v21, 31, v21
	v_and_b32_e32 v20, v20, v22
	v_not_b32_e32 v22, v25
	s_wait_alu 0xf1ff
	v_xor_b32_e32 v26, s13, v26
	v_cmp_gt_i32_e64 s13, 0, v25
	v_xor_b32_e32 v21, s12, v21
	v_and_b32_e32 v20, v20, v23
	v_ashrrev_i32_e32 v22, 31, v22
	s_delay_alu instid0(VALU_DEP_2) | instskip(SKIP_1) | instid1(VALU_DEP_2)
	v_and_b32_e32 v20, v20, v26
	s_wait_alu 0xf1ff
	v_xor_b32_e32 v22, s13, v22
	s_delay_alu instid0(VALU_DEP_2) | instskip(NEXT) | instid1(VALU_DEP_1)
	v_and_b32_e32 v20, v20, v21
	v_and_b32_e32 v21, v20, v22
	v_add_lshl_u32 v20, v4, v37, 2
	s_delay_alu instid0(VALU_DEP_2) | instskip(NEXT) | instid1(VALU_DEP_2)
	v_mbcnt_lo_u32_b32 v4, v21, 0
	v_add_co_u32 v20, null, v12, v20
	v_cmp_ne_u32_e64 s13, 0, v21
	s_delay_alu instid0(VALU_DEP_3) | instskip(NEXT) | instid1(VALU_DEP_3)
	v_cmp_eq_u32_e64 s12, 0, v4
	v_add_co_u32 v20, null, v20, 32
	s_and_b32 s13, s13, s12
	s_wait_alu 0xfffe
	s_and_saveexec_b32 s12, s13
; %bb.153:                              ;   in Loop: Header=BB1847_152 Depth=1
	v_bcnt_u32_b32 v21, v21, 0
	ds_store_b32 v20, v21
; %bb.154:                              ;   in Loop: Header=BB1847_152 Depth=1
	s_wait_alu 0xfffe
	s_or_b32 exec_lo, exec_lo, s12
	v_cmp_ne_u16_e64 s12, 0x7fff, v64
	; wave barrier
	s_wait_alu 0xf1ff
	s_delay_alu instid0(VALU_DEP_1) | instskip(NEXT) | instid1(VALU_DEP_1)
	v_cndmask_b32_e64 v21, 0xffff8000, v64, s12
	v_and_b32_e32 v21, 0xffff, v21
	s_delay_alu instid0(VALU_DEP_1) | instskip(NEXT) | instid1(VALU_DEP_1)
	v_lshrrev_b32_e32 v21, v10, v21
	v_and_b32_e32 v21, v21, v24
	s_delay_alu instid0(VALU_DEP_1)
	v_and_b32_e32 v22, 1, v21
	v_lshlrev_b32_e32 v23, 30, v21
	v_lshlrev_b32_e32 v24, 29, v21
	;; [unrolled: 1-line block ×4, first 2 shown]
	v_add_co_u32 v22, s12, v22, -1
	s_wait_alu 0xf1ff
	v_cndmask_b32_e64 v26, 0, 1, s12
	v_not_b32_e32 v66, v23
	v_cmp_gt_i32_e64 s13, 0, v23
	v_not_b32_e32 v23, v24
	v_lshlrev_b32_e32 v28, 26, v21
	v_cmp_ne_u32_e64 s12, 0, v26
	v_ashrrev_i32_e32 v66, 31, v66
	v_lshlrev_b32_e32 v65, 25, v21
	v_ashrrev_i32_e32 v23, 31, v23
	v_lshlrev_b32_e32 v26, 24, v21
	s_wait_alu 0xf1ff
	v_xor_b32_e32 v22, s12, v22
	v_cmp_gt_i32_e64 s12, 0, v24
	v_not_b32_e32 v24, v25
	v_xor_b32_e32 v66, s13, v66
	v_cmp_gt_i32_e64 s13, 0, v25
	v_and_b32_e32 v22, exec_lo, v22
	v_not_b32_e32 v25, v27
	v_ashrrev_i32_e32 v24, 31, v24
	s_wait_alu 0xf1ff
	v_xor_b32_e32 v23, s12, v23
	v_cmp_gt_i32_e64 s12, 0, v27
	v_and_b32_e32 v22, v22, v66
	v_not_b32_e32 v27, v28
	v_ashrrev_i32_e32 v25, 31, v25
	v_xor_b32_e32 v24, s13, v24
	v_cmp_gt_i32_e64 s13, 0, v28
	v_and_b32_e32 v22, v22, v23
	v_not_b32_e32 v23, v65
	v_ashrrev_i32_e32 v27, 31, v27
	s_wait_alu 0xf1ff
	v_xor_b32_e32 v25, s12, v25
	v_cmp_gt_i32_e64 s12, 0, v65
	v_and_b32_e32 v22, v22, v24
	v_not_b32_e32 v24, v26
	v_ashrrev_i32_e32 v23, 31, v23
	v_xor_b32_e32 v27, s13, v27
	v_lshl_add_u32 v21, v21, 3, v37
	v_and_b32_e32 v22, v22, v25
	v_cmp_gt_i32_e64 s13, 0, v26
	v_ashrrev_i32_e32 v24, 31, v24
	s_wait_alu 0xf1ff
	v_xor_b32_e32 v23, s12, v23
	v_lshl_add_u32 v25, v21, 2, v12
	v_and_b32_e32 v22, v22, v27
	v_xor_b32_e32 v24, s13, v24
	ds_load_b32 v21, v25 offset:32
	v_and_b32_e32 v22, v22, v23
	v_add_nc_u32_e32 v23, 32, v25
	; wave barrier
	s_delay_alu instid0(VALU_DEP_2) | instskip(NEXT) | instid1(VALU_DEP_1)
	v_and_b32_e32 v24, v22, v24
	v_mbcnt_lo_u32_b32 v22, v24, 0
	v_cmp_ne_u32_e64 s13, 0, v24
	s_delay_alu instid0(VALU_DEP_2)
	v_cmp_eq_u32_e64 s12, 0, v22
	s_and_b32 s13, s13, s12
	s_wait_alu 0xfffe
	s_and_saveexec_b32 s12, s13
	s_cbranch_execz .LBB1847_156
; %bb.155:                              ;   in Loop: Header=BB1847_152 Depth=1
	s_wait_dscnt 0x0
	v_bcnt_u32_b32 v24, v24, v21
	ds_store_b32 v23, v24
.LBB1847_156:                           ;   in Loop: Header=BB1847_152 Depth=1
	s_wait_alu 0xfffe
	s_or_b32 exec_lo, exec_lo, s12
	; wave barrier
	s_wait_loadcnt_dscnt 0x0
	s_barrier_signal -1
	s_barrier_wait -1
	global_inv scope:SCOPE_SE
	ds_load_b32 v25, v15
	ds_load_b32 v26, v29
	;; [unrolled: 1-line block ×8, first 2 shown]
	s_wait_dscnt 0x6
	v_add_nc_u32_e32 v68, v26, v25
	s_wait_dscnt 0x4
	s_delay_alu instid0(VALU_DEP_1) | instskip(SKIP_1) | instid1(VALU_DEP_1)
	v_add3_u32 v68, v68, v27, v28
	s_wait_dscnt 0x2
	v_add3_u32 v68, v68, v65, v66
	s_wait_dscnt 0x0
	s_delay_alu instid0(VALU_DEP_1) | instskip(NEXT) | instid1(VALU_DEP_1)
	v_add3_u32 v67, v68, v24, v67
	v_mov_b32_dpp v68, v67 row_shr:1 row_mask:0xf bank_mask:0xf
	s_wait_alu 0xfffd
	s_delay_alu instid0(VALU_DEP_1) | instskip(NEXT) | instid1(VALU_DEP_1)
	v_cndmask_b32_e64 v68, v68, 0, vcc_lo
	v_add_nc_u32_e32 v67, v68, v67
	s_delay_alu instid0(VALU_DEP_1) | instskip(NEXT) | instid1(VALU_DEP_1)
	v_mov_b32_dpp v68, v67 row_shr:2 row_mask:0xf bank_mask:0xf
	v_cndmask_b32_e64 v68, 0, v68, s0
	s_delay_alu instid0(VALU_DEP_1) | instskip(NEXT) | instid1(VALU_DEP_1)
	v_add_nc_u32_e32 v67, v67, v68
	v_mov_b32_dpp v68, v67 row_shr:4 row_mask:0xf bank_mask:0xf
	s_delay_alu instid0(VALU_DEP_1) | instskip(NEXT) | instid1(VALU_DEP_1)
	v_cndmask_b32_e64 v68, 0, v68, s1
	v_add_nc_u32_e32 v67, v67, v68
	s_delay_alu instid0(VALU_DEP_1) | instskip(NEXT) | instid1(VALU_DEP_1)
	v_mov_b32_dpp v68, v67 row_shr:8 row_mask:0xf bank_mask:0xf
	v_cndmask_b32_e64 v68, 0, v68, s3
	s_delay_alu instid0(VALU_DEP_1) | instskip(SKIP_3) | instid1(VALU_DEP_1)
	v_add_nc_u32_e32 v67, v67, v68
	ds_swizzle_b32 v68, v67 offset:swizzle(BROADCAST,32,15)
	s_wait_dscnt 0x0
	v_cndmask_b32_e64 v68, v68, 0, s4
	v_add_nc_u32_e32 v67, v67, v68
	s_and_saveexec_b32 s12, s5
; %bb.157:                              ;   in Loop: Header=BB1847_152 Depth=1
	ds_store_b32 v48, v67
; %bb.158:                              ;   in Loop: Header=BB1847_152 Depth=1
	s_wait_alu 0xfffe
	s_or_b32 exec_lo, exec_lo, s12
	s_wait_loadcnt_dscnt 0x0
	s_barrier_signal -1
	s_barrier_wait -1
	global_inv scope:SCOPE_SE
	s_and_saveexec_b32 s12, s6
	s_cbranch_execz .LBB1847_160
; %bb.159:                              ;   in Loop: Header=BB1847_152 Depth=1
	ds_load_b32 v68, v49
	s_wait_dscnt 0x0
	v_mov_b32_dpp v69, v68 row_shr:1 row_mask:0xf bank_mask:0xf
	s_delay_alu instid0(VALU_DEP_1) | instskip(NEXT) | instid1(VALU_DEP_1)
	v_cndmask_b32_e64 v69, v69, 0, s9
	v_add_nc_u32_e32 v68, v69, v68
	s_delay_alu instid0(VALU_DEP_1) | instskip(NEXT) | instid1(VALU_DEP_1)
	v_mov_b32_dpp v69, v68 row_shr:2 row_mask:0xf bank_mask:0xf
	v_cndmask_b32_e64 v69, 0, v69, s10
	s_delay_alu instid0(VALU_DEP_1) | instskip(NEXT) | instid1(VALU_DEP_1)
	v_add_nc_u32_e32 v68, v68, v69
	v_mov_b32_dpp v69, v68 row_shr:4 row_mask:0xf bank_mask:0xf
	s_delay_alu instid0(VALU_DEP_1) | instskip(NEXT) | instid1(VALU_DEP_1)
	v_cndmask_b32_e64 v69, 0, v69, s11
	v_add_nc_u32_e32 v68, v68, v69
	ds_store_b32 v49, v68
.LBB1847_160:                           ;   in Loop: Header=BB1847_152 Depth=1
	s_wait_alu 0xfffe
	s_or_b32 exec_lo, exec_lo, s12
	v_mov_b32_e32 v68, 0
	s_wait_loadcnt_dscnt 0x0
	s_barrier_signal -1
	s_barrier_wait -1
	global_inv scope:SCOPE_SE
	s_and_saveexec_b32 s12, s7
; %bb.161:                              ;   in Loop: Header=BB1847_152 Depth=1
	ds_load_b32 v68, v51
; %bb.162:                              ;   in Loop: Header=BB1847_152 Depth=1
	s_wait_alu 0xfffe
	s_or_b32 exec_lo, exec_lo, s12
	s_wait_dscnt 0x0
	v_add_nc_u32_e32 v67, v68, v67
	v_add_nc_u32_e32 v10, 8, v10
	s_mov_b32 s18, -1
	ds_bpermute_b32 v67, v38, v67
	s_wait_dscnt 0x0
	v_cndmask_b32_e64 v67, v67, v68, s2
	s_delay_alu instid0(VALU_DEP_1) | instskip(NEXT) | instid1(VALU_DEP_1)
	v_cndmask_b32_e64 v67, v67, 0, s8
	v_add_nc_u32_e32 v25, v67, v25
	s_delay_alu instid0(VALU_DEP_1)
	v_add_nc_u32_e32 v26, v25, v26
	ds_store_b32 v15, v67
	ds_store_b32 v29, v25
	;; [unrolled: 1-line block ×3, first 2 shown]
                                        ; implicit-def: $vgpr67
	v_mov_b32_e32 v25, v5
	v_add_nc_u32_e32 v27, v26, v27
	s_delay_alu instid0(VALU_DEP_1) | instskip(NEXT) | instid1(VALU_DEP_1)
	v_add_nc_u32_e32 v28, v27, v28
	v_add_nc_u32_e32 v65, v28, v65
	s_delay_alu instid0(VALU_DEP_1) | instskip(NEXT) | instid1(VALU_DEP_1)
	v_add_nc_u32_e32 v66, v65, v66
	v_add_nc_u32_e32 v24, v66, v24
	ds_store_b32 v32, v27
	ds_store_b32 v33, v28
	;; [unrolled: 1-line block ×5, first 2 shown]
	s_wait_loadcnt_dscnt 0x0
	s_barrier_signal -1
	s_barrier_wait -1
	global_inv scope:SCOPE_SE
	ds_load_b32 v20, v20
	ds_load_b32 v23, v23
                                        ; implicit-def: $vgpr65
	s_wait_loadcnt_dscnt 0x0
	v_add_nc_u32_e32 v4, v20, v4
	v_add3_u32 v24, v22, v21, v23
	s_delay_alu instid0(VALU_DEP_2) | instskip(NEXT) | instid1(VALU_DEP_2)
	v_lshlrev_b64_e32 v[20:21], 1, v[4:5]
	v_lshlrev_b64_e32 v[22:23], 1, v[24:25]
	s_delay_alu instid0(VALU_DEP_2) | instskip(SKIP_1) | instid1(VALU_DEP_3)
	v_add_co_u32 v25, s13, v12, v20
	s_wait_alu 0xf1ff
	v_add_co_ci_u32_e64 v26, null, v13, v21, s13
	s_delay_alu instid0(VALU_DEP_3)
	v_add_co_u32 v27, s13, v12, v22
	s_wait_alu 0xf1ff
	v_add_co_ci_u32_e64 v28, null, v13, v23, s13
	s_mov_b32 s13, exec_lo
                                        ; implicit-def: $vgpr20_vgpr21
                                        ; implicit-def: $vgpr22_vgpr23
	v_cmpx_lt_u32_e64 v10, v11
	s_cbranch_execz .LBB1847_151
; %bb.163:                              ;   in Loop: Header=BB1847_152 Depth=1
	v_mad_co_u64_u32 v[20:21], null, v4, 6, v[25:26]
	v_mad_co_u64_u32 v[21:22], null, v24, 6, v[27:28]
	s_barrier_signal -1
	s_barrier_wait -1
	global_inv scope:SCOPE_SE
	ds_store_b16 v25, v55
	ds_store_b16 v27, v64
	s_wait_loadcnt_dscnt 0x0
	s_barrier_signal -1
	s_barrier_wait -1
	global_inv scope:SCOPE_SE
	ds_load_u16 v67, v39
	ds_load_u16 v65, v52
	s_wait_loadcnt_dscnt 0x0
	s_barrier_signal -1
	s_barrier_wait -1
	global_inv scope:SCOPE_SE
	ds_store_b64 v20, v[18:19]
	ds_store_b64 v21, v[8:9]
	s_wait_loadcnt_dscnt 0x0
	s_barrier_signal -1
	s_barrier_wait -1
	global_inv scope:SCOPE_SE
	ds_load_b64 v[22:23], v50
	ds_load_b64 v[20:21], v53
	v_add_nc_u32_e32 v54, -8, v54
	s_xor_b32 s18, exec_lo, -1
	s_wait_loadcnt_dscnt 0x0
	s_barrier_signal -1
	s_barrier_wait -1
	global_inv scope:SCOPE_SE
	s_branch .LBB1847_151
.LBB1847_164:
	flat_load_b64 v[48:49], v[4:5]
	v_dual_mov_b32 v50, v22 :: v_dual_mov_b32 v51, v22
	v_dual_mov_b32 v52, v22 :: v_dual_mov_b32 v53, v22
	;; [unrolled: 1-line block ×3, first 2 shown]
	s_wait_loadcnt_dscnt 0x0
	v_dual_mov_b32 v22, v48 :: v_dual_mov_b32 v23, v49
	v_dual_mov_b32 v24, v50 :: v_dual_mov_b32 v25, v51
	;; [unrolled: 1-line block ×4, first 2 shown]
	s_wait_alu 0xfffe
	s_or_b32 exec_lo, exec_lo, s3
	s_and_saveexec_b32 s2, s0
	s_cbranch_execz .LBB1847_91
.LBB1847_165:
	flat_load_b64 v[24:25], v[4:5] offset:256
	s_wait_alu 0xfffe
	s_or_b32 exec_lo, exec_lo, s2
	s_and_saveexec_b32 s0, s1
	s_cbranch_execz .LBB1847_92
.LBB1847_166:
	flat_load_b64 v[26:27], v[4:5] offset:512
	s_wait_alu 0xfffe
	s_or_b32 exec_lo, exec_lo, s0
	s_and_saveexec_b32 s0, vcc_lo
	s_cbranch_execnz .LBB1847_93
	s_branch .LBB1847_94
.LBB1847_167:
	flat_store_b64 v[0:1], v[12:13]
	s_wait_alu 0xfffe
	s_or_b32 exec_lo, exec_lo, s3
	s_and_saveexec_b32 s3, s0
	s_cbranch_execz .LBB1847_136
.LBB1847_168:
	flat_store_b64 v[0:1], v[14:15] offset:2048
	s_wait_alu 0xfffe
	s_or_b32 exec_lo, exec_lo, s3
	s_and_saveexec_b32 s0, s1
	s_cbranch_execz .LBB1847_137
.LBB1847_169:
	flat_store_b64 v[0:1], v[8:9] offset:4096
	s_wait_alu 0xfffe
	s_or_b32 exec_lo, exec_lo, s0
	s_and_saveexec_b32 s0, s2
	s_cbranch_execnz .LBB1847_138
	s_branch .LBB1847_139
.LBB1847_170:
	s_or_b32 exec_lo, exec_lo, s17
	v_mad_co_u64_u32 v[10:11], null, v4, 6, v[25:26]
	v_lshl_add_u32 v13, v30, 1, v12
	v_mad_co_u64_u32 v[11:12], null, v24, 6, v[27:28]
	v_mul_u32_u24_e32 v12, 6, v30
	s_barrier_signal -1
	s_barrier_wait -1
	s_wait_loadcnt 0x0
	global_inv scope:SCOPE_SE
	ds_store_b16 v25, v55
	ds_store_b16 v27, v64
	s_wait_loadcnt_dscnt 0x0
	s_barrier_signal -1
	s_barrier_wait -1
	global_inv scope:SCOPE_SE
	ds_load_u16 v5, v13
	ds_load_u16 v4, v13 offset:512
	s_wait_loadcnt_dscnt 0x0
	s_barrier_signal -1
	s_barrier_wait -1
	global_inv scope:SCOPE_SE
	ds_store_b64 v10, v[18:19]
	ds_store_b64 v11, v[8:9]
	v_dual_mov_b32 v15, 0 :: v_dual_add_nc_u32 v8, v13, v12
	s_wait_loadcnt_dscnt 0x0
	s_barrier_signal -1
	s_barrier_wait -1
	global_inv scope:SCOPE_SE
	ds_load_2addr_stride64_b64 v[8:11], v8 offset1:4
	v_lshlrev_b64_e32 v[12:13], 1, v[14:15]
	v_add_co_u32 v2, vcc_lo, v2, v16
	s_wait_alu 0xfffd
	v_add_co_ci_u32_e64 v3, null, v3, v17, vcc_lo
	s_wait_loadcnt_dscnt 0x0
	s_delay_alu instid0(VALU_DEP_2) | instskip(SKIP_1) | instid1(VALU_DEP_2)
	v_add_co_u32 v2, vcc_lo, v2, v12
	s_wait_alu 0xfffd
	v_add_co_ci_u32_e64 v3, null, v3, v13, vcc_lo
	v_cmp_lt_u32_e32 vcc_lo, v14, v128
	s_barrier_signal -1
	s_barrier_wait -1
	global_inv scope:SCOPE_SE
	s_and_saveexec_b32 s1, vcc_lo
	s_cbranch_execz .LBB1847_172
; %bb.171:
	v_cmp_lt_i16_e64 s0, -1, v5
	s_wait_alu 0xf1ff
	s_delay_alu instid0(VALU_DEP_1) | instskip(NEXT) | instid1(VALU_DEP_1)
	v_cndmask_b32_e64 v12, 0xffff8000, -1, s0
	v_xor_b32_e32 v5, v12, v5
	flat_store_b16 v[2:3], v5
.LBB1847_172:
	s_wait_alu 0xfffe
	s_or_b32 exec_lo, exec_lo, s1
	v_add_nc_u32_e32 v5, 0x100, v14
	s_delay_alu instid0(VALU_DEP_1)
	v_cmp_lt_u32_e64 s0, v5, v128
	s_and_saveexec_b32 s2, s0
	s_cbranch_execz .LBB1847_174
; %bb.173:
	v_cmp_lt_i16_e64 s1, -1, v4
	s_wait_alu 0xf1ff
	s_delay_alu instid0(VALU_DEP_1) | instskip(NEXT) | instid1(VALU_DEP_1)
	v_cndmask_b32_e64 v5, 0xffff8000, -1, s1
	v_xor_b32_e32 v4, v5, v4
	flat_store_b16 v[2:3], v4 offset:512
.LBB1847_174:
	s_wait_alu 0xfffe
	s_or_b32 exec_lo, exec_lo, s2
	v_lshlrev_b64_e32 v[2:3], 3, v[14:15]
	v_add_co_u32 v0, s1, v6, v0
	s_wait_alu 0xf1ff
	v_add_co_ci_u32_e64 v1, null, v7, v1, s1
	s_delay_alu instid0(VALU_DEP_2) | instskip(SKIP_1) | instid1(VALU_DEP_2)
	v_add_co_u32 v0, s1, v0, v2
	s_wait_alu 0xf1ff
	v_add_co_ci_u32_e64 v1, null, v1, v3, s1
	s_and_saveexec_b32 s1, vcc_lo
	s_cbranch_execz .LBB1847_176
; %bb.175:
	flat_store_b64 v[0:1], v[8:9]
.LBB1847_176:
	s_wait_alu 0xfffe
	s_or_b32 exec_lo, exec_lo, s1
	s_and_saveexec_b32 s1, s0
	s_cbranch_execz .LBB1847_178
; %bb.177:
	flat_store_b64 v[0:1], v[10:11] offset:2048
.LBB1847_178:
	s_wait_alu 0xfffe
	s_or_b32 exec_lo, exec_lo, s1
                                        ; implicit-def: $vgpr14_vgpr15
                                        ; implicit-def: $vgpr8_vgpr9
                                        ; implicit-def: $vgpr16_vgpr17
                                        ; implicit-def: $vgpr128
                                        ; implicit-def: $vgpr0
                                        ; implicit-def: $vgpr1
                                        ; implicit-def: $vgpr2
                                        ; implicit-def: $vgpr3
                                        ; implicit-def: $vgpr4
                                        ; implicit-def: $vgpr5
                                        ; implicit-def: $vgpr6
                                        ; implicit-def: $vgpr7
                                        ; implicit-def: $vgpr10
                                        ; implicit-def: $vgpr11
                                        ; implicit-def: $vgpr12
                                        ; implicit-def: $vgpr13
                                        ; implicit-def: $vgpr30
                                        ; implicit-def: $vgpr66
.LBB1847_179:
	s_wait_alu 0xfffe
	s_and_not1_saveexec_b32 s0, s14
	s_cbranch_execz .LBB1847_199
; %bb.180:
	v_and_b32_e32 v20, 0xffffffe0, v14
	s_delay_alu instid0(VALU_DEP_1) | instskip(NEXT) | instid1(VALU_DEP_1)
	v_or_b32_e32 v15, v66, v20
	v_cmp_lt_u32_e32 vcc_lo, v15, v128
	v_mov_b32_e32 v15, 0x7fff
	s_and_saveexec_b32 s1, vcc_lo
	s_cbranch_execz .LBB1847_182
; %bb.181:
	v_mov_b32_e32 v21, 0
	v_lshlrev_b32_e32 v15, 1, v66
	v_add_co_u32 v18, s0, v0, v16
	s_wait_alu 0xf1fe
	v_add_co_ci_u32_e64 v19, null, v1, v17, s0
	v_lshlrev_b64_e32 v[0:1], 1, v[20:21]
	s_delay_alu instid0(VALU_DEP_3) | instskip(SKIP_1) | instid1(VALU_DEP_3)
	v_add_co_u32 v15, s0, v18, v15
	s_wait_alu 0xf1ff
	v_add_co_ci_u32_e64 v18, null, 0, v19, s0
	s_delay_alu instid0(VALU_DEP_2) | instskip(SKIP_1) | instid1(VALU_DEP_2)
	v_add_co_u32 v0, s0, v15, v0
	s_wait_alu 0xf1ff
	v_add_co_ci_u32_e64 v1, null, v18, v1, s0
	flat_load_u16 v15, v[0:1]
.LBB1847_182:
	s_wait_alu 0xfffe
	s_or_b32 exec_lo, exec_lo, s1
	v_lshlrev_b64_e32 v[0:1], 3, v[8:9]
                                        ; implicit-def: $vgpr18_vgpr19
	s_and_saveexec_b32 s0, vcc_lo
	s_cbranch_execz .LBB1847_184
; %bb.183:
	v_dual_mov_b32 v21, 0 :: v_dual_lshlrev_b32 v8, 3, v66
	s_delay_alu instid0(VALU_DEP_2) | instskip(SKIP_2) | instid1(VALU_DEP_3)
	v_add_co_u32 v9, vcc_lo, v4, v0
	s_wait_alu 0xfffd
	v_add_co_ci_u32_e64 v18, null, v5, v1, vcc_lo
	v_lshlrev_b64_e32 v[4:5], 3, v[20:21]
	s_delay_alu instid0(VALU_DEP_3) | instskip(SKIP_1) | instid1(VALU_DEP_3)
	v_add_co_u32 v8, vcc_lo, v9, v8
	s_wait_alu 0xfffd
	v_add_co_ci_u32_e64 v9, null, 0, v18, vcc_lo
	s_delay_alu instid0(VALU_DEP_2) | instskip(SKIP_1) | instid1(VALU_DEP_2)
	v_add_co_u32 v4, vcc_lo, v8, v4
	s_wait_alu 0xfffd
	v_add_co_ci_u32_e64 v5, null, v9, v5, vcc_lo
	flat_load_b64 v[18:19], v[4:5]
.LBB1847_184:
	s_wait_alu 0xfffe
	s_or_b32 exec_lo, exec_lo, s0
	s_wait_loadcnt_dscnt 0x0
	v_cmp_lt_i16_e32 vcc_lo, -1, v15
	v_lshl_add_u32 v5, v30, 5, v12
	v_sub_co_u32 v20, s2, v66, 1
	s_getpc_b64 s[0:1]
	s_wait_alu 0xfffe
	s_sext_i32_i16 s1, s1
	s_add_co_u32 s0, s0, _ZN7rocprim17ROCPRIM_400000_NS16block_radix_sortI6__halfLj256ELj1ElLj1ELj1ELj8ELNS0_26block_radix_rank_algorithmE2ELNS0_18block_padding_hintE2ELNS0_4arch9wavefront6targetE0EE19radix_bits_per_passE@rel32@lo+12
	s_wait_alu 0xfffe
	s_add_co_ci_u32 s1, s1, _ZN7rocprim17ROCPRIM_400000_NS16block_radix_sortI6__halfLj256ELj1ElLj1ELj1ELj8ELNS0_26block_radix_rank_algorithmE2ELNS0_18block_padding_hintE2ELNS0_4arch9wavefront6targetE0EE19radix_bits_per_passE@rel32@hi+24
	s_wait_alu 0xfffd
	v_cndmask_b32_e64 v4, -1, 0xffff8000, vcc_lo
	v_add_nc_u32_e32 v22, 36, v5
	v_add_nc_u32_e32 v23, 40, v5
	;; [unrolled: 1-line block ×4, first 2 shown]
	v_xor_b32_e32 v39, v4, v15
	v_add_nc_u32_e32 v15, 32, v5
	v_add_nc_u32_e32 v26, 52, v5
	;; [unrolled: 1-line block ×4, first 2 shown]
	v_and_b32_e32 v5, 0x3e0, v30
	v_and_b32_e32 v4, 15, v66
	s_load_b32 s14, s[0:1], 0x0
	v_and_b32_e32 v9, 16, v66
	v_cmp_gt_i32_e64 s5, 0, v20
	v_min_u32_e32 v8, 0xe0, v5
	v_cmp_eq_u32_e32 vcc_lo, 0, v4
	v_cmp_lt_u32_e64 s0, 1, v4
	v_cmp_lt_u32_e64 s1, 3, v4
	;; [unrolled: 1-line block ×3, first 2 shown]
	v_or_b32_e32 v4, 31, v8
	v_lshrrev_b32_e32 v8, 3, v30
	v_cmp_eq_u32_e64 s4, 0, v9
	s_wait_alu 0xf1ff
	v_cndmask_b32_e64 v9, v20, v66, s5
	v_lshrrev_b32_e32 v29, 5, v14
	v_cmp_eq_u32_e64 s5, v30, v4
	v_and_b32_e32 v4, 0x7c, v8
	v_or_b32_e32 v8, v66, v5
	v_cmp_gt_u32_e64 s6, 8, v30
	v_cmp_lt_u32_e64 s7, 31, v30
	v_lshlrev_b32_e32 v31, 2, v9
	v_add_nc_u32_e32 v32, v12, v4
	v_and_b32_e32 v4, 7, v66
	v_lshl_add_u32 v34, v8, 1, v12
	v_mul_u32_u24_e32 v8, 6, v8
	v_cmp_eq_u32_e64 s8, 0, v30
	v_mov_b32_e32 v5, 0
	v_lshl_add_u32 v33, v30, 2, v12
	v_cmp_eq_u32_e64 s9, 0, v4
	v_cmp_lt_u32_e64 s10, 1, v4
	v_cmp_lt_u32_e64 s11, 3, v4
	v_add_nc_u32_e32 v35, -4, v32
	v_add_nc_u32_e32 v36, v34, v8
	v_sub_nc_u32_e32 v37, v11, v10
	s_mov_b32 s15, 0
	s_wait_storecnt 0x0
	s_barrier_signal -1
	s_barrier_wait -1
	global_inv scope:SCOPE_SE
	s_branch .LBB1847_186
.LBB1847_185:                           ;   in Loop: Header=BB1847_186 Depth=1
	s_wait_alu 0xfffe
	s_or_b32 exec_lo, exec_lo, s13
	s_delay_alu instid0(SALU_CYCLE_1)
	s_and_b32 s12, exec_lo, s17
	s_wait_alu 0xfffe
	s_or_b32 s15, s12, s15
	s_wait_alu 0xfffe
	s_and_not1_b32 exec_lo, exec_lo, s15
	s_cbranch_execz .LBB1847_196
.LBB1847_186:                           ; =>This Inner Loop Header: Depth=1
	v_mov_b32_e32 v38, v39
	s_wait_kmcnt 0x0
	v_min_u32_e32 v8, s14, v37
	ds_store_b32 v15, v5
	ds_store_b32 v22, v5
	;; [unrolled: 1-line block ×6, first 2 shown]
	v_cmp_ne_u16_e64 s12, 0x7fff, v38
	ds_store_b32 v27, v5
	ds_store_b32 v28, v5
	s_wait_loadcnt_dscnt 0x0
	s_barrier_signal -1
	s_barrier_wait -1
	s_wait_alu 0xf1ff
	v_cndmask_b32_e64 v4, 0xffff8000, v38, s12
	global_inv scope:SCOPE_SE
	; wave barrier
	v_and_b32_e32 v4, 0xffff, v4
	s_delay_alu instid0(VALU_DEP_1) | instskip(NEXT) | instid1(VALU_DEP_1)
	v_lshrrev_b32_e32 v4, v10, v4
	v_bfe_u32 v4, v4, 0, v8
	s_delay_alu instid0(VALU_DEP_1)
	v_and_b32_e32 v8, 1, v4
	v_lshlrev_b32_e32 v9, 30, v4
	v_lshlrev_b32_e32 v20, 29, v4
	;; [unrolled: 1-line block ×4, first 2 shown]
	v_add_co_u32 v8, s12, v8, -1
	s_wait_alu 0xf1ff
	v_cndmask_b32_e64 v39, 0, 1, s12
	v_not_b32_e32 v51, v9
	v_cmp_gt_i32_e64 s13, 0, v9
	v_not_b32_e32 v9, v20
	v_lshlrev_b32_e32 v49, 26, v4
	v_cmp_ne_u32_e64 s12, 0, v39
	v_ashrrev_i32_e32 v51, 31, v51
	v_lshlrev_b32_e32 v50, 25, v4
	v_ashrrev_i32_e32 v9, 31, v9
	v_lshlrev_b32_e32 v39, 24, v4
	s_wait_alu 0xf1ff
	v_xor_b32_e32 v8, s12, v8
	v_cmp_gt_i32_e64 s12, 0, v20
	v_not_b32_e32 v20, v21
	v_xor_b32_e32 v51, s13, v51
	v_cmp_gt_i32_e64 s13, 0, v21
	v_and_b32_e32 v8, exec_lo, v8
	v_not_b32_e32 v21, v48
	v_ashrrev_i32_e32 v20, 31, v20
	s_wait_alu 0xf1ff
	v_xor_b32_e32 v9, s12, v9
	v_cmp_gt_i32_e64 s12, 0, v48
	v_and_b32_e32 v8, v8, v51
	v_not_b32_e32 v48, v49
	v_ashrrev_i32_e32 v21, 31, v21
	v_xor_b32_e32 v20, s13, v20
	v_cmp_gt_i32_e64 s13, 0, v49
	v_and_b32_e32 v8, v8, v9
	v_not_b32_e32 v9, v50
	v_ashrrev_i32_e32 v48, 31, v48
	s_wait_alu 0xf1ff
	v_xor_b32_e32 v21, s12, v21
	v_cmp_gt_i32_e64 s12, 0, v50
	v_and_b32_e32 v8, v8, v20
	v_not_b32_e32 v20, v39
	v_ashrrev_i32_e32 v49, 31, v9
	v_xor_b32_e32 v48, s13, v48
	v_cmp_gt_i32_e64 s13, 0, v39
	v_dual_mov_b32 v8, v18 :: v_dual_and_b32 v21, v8, v21
	v_mov_b32_e32 v9, v19
	v_ashrrev_i32_e32 v18, 31, v20
	s_wait_alu 0xf1ff
	v_xor_b32_e32 v19, s12, v49
	v_and_b32_e32 v20, v21, v48
	v_lshlrev_b32_e32 v4, 3, v4
	v_xor_b32_e32 v18, s13, v18
	s_delay_alu instid0(VALU_DEP_3) | instskip(NEXT) | instid1(VALU_DEP_1)
	v_and_b32_e32 v19, v20, v19
	v_and_b32_e32 v19, v19, v18
	s_delay_alu instid0(VALU_DEP_4) | instskip(NEXT) | instid1(VALU_DEP_2)
	v_add_lshl_u32 v18, v4, v29, 2
	v_mbcnt_lo_u32_b32 v4, v19, 0
	s_delay_alu instid0(VALU_DEP_2) | instskip(SKIP_1) | instid1(VALU_DEP_3)
	v_add_co_u32 v18, null, v12, v18
	v_cmp_ne_u32_e64 s13, 0, v19
	v_cmp_eq_u32_e64 s12, 0, v4
	s_delay_alu instid0(VALU_DEP_3)
	v_add_co_u32 v18, null, v18, 32
	s_and_b32 s13, s13, s12
	s_wait_alu 0xfffe
	s_and_saveexec_b32 s12, s13
; %bb.187:                              ;   in Loop: Header=BB1847_186 Depth=1
	v_bcnt_u32_b32 v19, v19, 0
	ds_store_b32 v18, v19
; %bb.188:                              ;   in Loop: Header=BB1847_186 Depth=1
	s_wait_alu 0xfffe
	s_or_b32 exec_lo, exec_lo, s12
	; wave barrier
	s_wait_loadcnt_dscnt 0x0
	s_barrier_signal -1
	s_barrier_wait -1
	global_inv scope:SCOPE_SE
	ds_load_b32 v20, v15
	ds_load_b32 v21, v22
	;; [unrolled: 1-line block ×8, first 2 shown]
	s_wait_dscnt 0x6
	v_add_nc_u32_e32 v52, v21, v20
	s_wait_dscnt 0x4
	s_delay_alu instid0(VALU_DEP_1) | instskip(SKIP_1) | instid1(VALU_DEP_1)
	v_add3_u32 v52, v52, v39, v48
	s_wait_dscnt 0x2
	v_add3_u32 v52, v52, v49, v50
	s_wait_dscnt 0x0
	s_delay_alu instid0(VALU_DEP_1) | instskip(NEXT) | instid1(VALU_DEP_1)
	v_add3_u32 v51, v52, v19, v51
	v_mov_b32_dpp v52, v51 row_shr:1 row_mask:0xf bank_mask:0xf
	s_wait_alu 0xfffd
	s_delay_alu instid0(VALU_DEP_1) | instskip(NEXT) | instid1(VALU_DEP_1)
	v_cndmask_b32_e64 v52, v52, 0, vcc_lo
	v_add_nc_u32_e32 v51, v52, v51
	s_delay_alu instid0(VALU_DEP_1) | instskip(NEXT) | instid1(VALU_DEP_1)
	v_mov_b32_dpp v52, v51 row_shr:2 row_mask:0xf bank_mask:0xf
	v_cndmask_b32_e64 v52, 0, v52, s0
	s_delay_alu instid0(VALU_DEP_1) | instskip(NEXT) | instid1(VALU_DEP_1)
	v_add_nc_u32_e32 v51, v51, v52
	v_mov_b32_dpp v52, v51 row_shr:4 row_mask:0xf bank_mask:0xf
	s_delay_alu instid0(VALU_DEP_1) | instskip(NEXT) | instid1(VALU_DEP_1)
	v_cndmask_b32_e64 v52, 0, v52, s1
	v_add_nc_u32_e32 v51, v51, v52
	s_delay_alu instid0(VALU_DEP_1) | instskip(NEXT) | instid1(VALU_DEP_1)
	v_mov_b32_dpp v52, v51 row_shr:8 row_mask:0xf bank_mask:0xf
	v_cndmask_b32_e64 v52, 0, v52, s3
	s_delay_alu instid0(VALU_DEP_1) | instskip(SKIP_3) | instid1(VALU_DEP_1)
	v_add_nc_u32_e32 v51, v51, v52
	ds_swizzle_b32 v52, v51 offset:swizzle(BROADCAST,32,15)
	s_wait_dscnt 0x0
	v_cndmask_b32_e64 v52, v52, 0, s4
	v_add_nc_u32_e32 v51, v51, v52
	s_and_saveexec_b32 s12, s5
; %bb.189:                              ;   in Loop: Header=BB1847_186 Depth=1
	ds_store_b32 v32, v51
; %bb.190:                              ;   in Loop: Header=BB1847_186 Depth=1
	s_wait_alu 0xfffe
	s_or_b32 exec_lo, exec_lo, s12
	s_wait_loadcnt_dscnt 0x0
	s_barrier_signal -1
	s_barrier_wait -1
	global_inv scope:SCOPE_SE
	s_and_saveexec_b32 s12, s6
	s_cbranch_execz .LBB1847_192
; %bb.191:                              ;   in Loop: Header=BB1847_186 Depth=1
	ds_load_b32 v52, v33
	s_wait_dscnt 0x0
	v_mov_b32_dpp v53, v52 row_shr:1 row_mask:0xf bank_mask:0xf
	s_delay_alu instid0(VALU_DEP_1) | instskip(NEXT) | instid1(VALU_DEP_1)
	v_cndmask_b32_e64 v53, v53, 0, s9
	v_add_nc_u32_e32 v52, v53, v52
	s_delay_alu instid0(VALU_DEP_1) | instskip(NEXT) | instid1(VALU_DEP_1)
	v_mov_b32_dpp v53, v52 row_shr:2 row_mask:0xf bank_mask:0xf
	v_cndmask_b32_e64 v53, 0, v53, s10
	s_delay_alu instid0(VALU_DEP_1) | instskip(NEXT) | instid1(VALU_DEP_1)
	v_add_nc_u32_e32 v52, v52, v53
	v_mov_b32_dpp v53, v52 row_shr:4 row_mask:0xf bank_mask:0xf
	s_delay_alu instid0(VALU_DEP_1) | instskip(NEXT) | instid1(VALU_DEP_1)
	v_cndmask_b32_e64 v53, 0, v53, s11
	v_add_nc_u32_e32 v52, v52, v53
	ds_store_b32 v33, v52
.LBB1847_192:                           ;   in Loop: Header=BB1847_186 Depth=1
	s_wait_alu 0xfffe
	s_or_b32 exec_lo, exec_lo, s12
	v_mov_b32_e32 v52, 0
	s_wait_loadcnt_dscnt 0x0
	s_barrier_signal -1
	s_barrier_wait -1
	global_inv scope:SCOPE_SE
	s_and_saveexec_b32 s12, s7
; %bb.193:                              ;   in Loop: Header=BB1847_186 Depth=1
	ds_load_b32 v52, v35
; %bb.194:                              ;   in Loop: Header=BB1847_186 Depth=1
	s_wait_alu 0xfffe
	s_or_b32 exec_lo, exec_lo, s12
	s_wait_dscnt 0x0
	v_add_nc_u32_e32 v51, v52, v51
	v_add_nc_u32_e32 v10, 8, v10
	s_mov_b32 s17, -1
	ds_bpermute_b32 v51, v31, v51
	s_wait_dscnt 0x0
	v_cndmask_b32_e64 v51, v51, v52, s2
	s_delay_alu instid0(VALU_DEP_1) | instskip(NEXT) | instid1(VALU_DEP_1)
	v_cndmask_b32_e64 v51, v51, 0, s8
	v_add_nc_u32_e32 v20, v51, v20
	s_delay_alu instid0(VALU_DEP_1) | instskip(SKIP_4) | instid1(VALU_DEP_1)
	v_add_nc_u32_e32 v21, v20, v21
	ds_store_b32 v15, v51
	ds_store_b32 v22, v20
	;; [unrolled: 1-line block ×3, first 2 shown]
	v_add_nc_u32_e32 v39, v21, v39
	v_add_nc_u32_e32 v48, v39, v48
	s_delay_alu instid0(VALU_DEP_1) | instskip(NEXT) | instid1(VALU_DEP_1)
	v_add_nc_u32_e32 v49, v48, v49
	v_add_nc_u32_e32 v50, v49, v50
	s_delay_alu instid0(VALU_DEP_1)
	v_add_nc_u32_e32 v19, v50, v19
	ds_store_b32 v24, v39
	ds_store_b32 v25, v48
	;; [unrolled: 1-line block ×5, first 2 shown]
	s_wait_loadcnt_dscnt 0x0
	s_barrier_signal -1
	s_barrier_wait -1
	global_inv scope:SCOPE_SE
	ds_load_b32 v18, v18
                                        ; implicit-def: $vgpr39
	s_wait_loadcnt_dscnt 0x0
	v_add_nc_u32_e32 v4, v18, v4
	s_delay_alu instid0(VALU_DEP_1) | instskip(NEXT) | instid1(VALU_DEP_1)
	v_lshlrev_b64_e32 v[18:19], 1, v[4:5]
	v_add_co_u32 v20, s13, v12, v18
	s_wait_alu 0xf1ff
	s_delay_alu instid0(VALU_DEP_2)
	v_add_co_ci_u32_e64 v21, null, v13, v19, s13
	s_mov_b32 s13, exec_lo
                                        ; implicit-def: $vgpr18_vgpr19
	v_cmpx_lt_u32_e64 v10, v11
	s_cbranch_execz .LBB1847_185
; %bb.195:                              ;   in Loop: Header=BB1847_186 Depth=1
	v_mad_co_u64_u32 v[18:19], null, v4, 6, v[20:21]
	s_barrier_signal -1
	s_barrier_wait -1
	global_inv scope:SCOPE_SE
	ds_store_b16 v20, v38
	s_wait_loadcnt_dscnt 0x0
	s_barrier_signal -1
	s_barrier_wait -1
	global_inv scope:SCOPE_SE
	ds_load_u16 v39, v34
	s_wait_loadcnt_dscnt 0x0
	s_barrier_signal -1
	s_barrier_wait -1
	global_inv scope:SCOPE_SE
	ds_store_b64 v18, v[8:9]
	s_wait_loadcnt_dscnt 0x0
	s_barrier_signal -1
	s_barrier_wait -1
	global_inv scope:SCOPE_SE
	ds_load_b64 v[18:19], v36
	v_add_nc_u32_e32 v37, -8, v37
	s_xor_b32 s17, exec_lo, -1
	s_wait_loadcnt_dscnt 0x0
	s_barrier_signal -1
	s_barrier_wait -1
	global_inv scope:SCOPE_SE
	s_branch .LBB1847_185
.LBB1847_196:
	s_or_b32 exec_lo, exec_lo, s15
	v_mad_co_u64_u32 v[4:5], null, v4, 6, v[20:21]
	v_lshl_add_u32 v11, v30, 1, v12
	v_mul_u32_u24_e32 v5, 6, v30
	s_barrier_signal -1
	s_barrier_wait -1
	s_wait_loadcnt 0x0
	global_inv scope:SCOPE_SE
	ds_store_b16 v20, v38
	s_wait_loadcnt_dscnt 0x0
	s_barrier_signal -1
	s_barrier_wait -1
	global_inv scope:SCOPE_SE
	ds_load_u16 v10, v11
	s_wait_loadcnt_dscnt 0x0
	s_barrier_signal -1
	s_barrier_wait -1
	global_inv scope:SCOPE_SE
	ds_store_b64 v4, v[8:9]
	v_add_nc_u32_e32 v4, v11, v5
	s_wait_loadcnt_dscnt 0x0
	s_barrier_signal -1
	s_barrier_wait -1
	global_inv scope:SCOPE_SE
	ds_load_b64 v[4:5], v4
	s_mov_b32 s0, exec_lo
	s_wait_loadcnt_dscnt 0x0
	s_barrier_signal -1
	s_barrier_wait -1
	global_inv scope:SCOPE_SE
	v_cmpx_lt_u32_e64 v14, v128
	s_cbranch_execz .LBB1847_198
; %bb.197:
	v_add_co_u32 v8, vcc_lo, v6, v0
	v_mov_b32_e32 v15, 0
	s_wait_alu 0xfffd
	v_add_co_ci_u32_e64 v9, null, v7, v1, vcc_lo
	v_cmp_lt_i16_e32 vcc_lo, -1, v10
	s_delay_alu instid0(VALU_DEP_3)
	v_lshlrev_b64_e32 v[6:7], 1, v[14:15]
	v_lshlrev_b64_e32 v[0:1], 3, v[14:15]
	s_wait_alu 0xfffd
	v_cndmask_b32_e64 v11, 0xffff8000, -1, vcc_lo
	v_add_co_u32 v2, vcc_lo, v2, v16
	s_wait_alu 0xfffd
	v_add_co_ci_u32_e64 v3, null, v3, v17, vcc_lo
	s_delay_alu instid0(VALU_DEP_3) | instskip(NEXT) | instid1(VALU_DEP_3)
	v_xor_b32_e32 v10, v11, v10
	v_add_co_u32 v2, vcc_lo, v2, v6
	s_wait_alu 0xfffd
	s_delay_alu instid0(VALU_DEP_3)
	v_add_co_ci_u32_e64 v3, null, v3, v7, vcc_lo
	v_add_co_u32 v0, vcc_lo, v8, v0
	s_wait_alu 0xfffd
	v_add_co_ci_u32_e64 v1, null, v9, v1, vcc_lo
	flat_store_b16 v[2:3], v10
	flat_store_b64 v[0:1], v[4:5]
.LBB1847_198:
	s_wait_alu 0xfffe
	s_or_b32 exec_lo, exec_lo, s0
.LBB1847_199:
	s_wait_alu 0xfffe
	s_or_b32 exec_lo, exec_lo, s16
	s_wait_loadcnt_dscnt 0x0
	s_setpc_b64 s[30:31]
.Lfunc_end1847:
	.size	_ZN7rocprim17ROCPRIM_400000_NS6detail40segmented_radix_sort_single_block_helperI6__halflLj256ELj8ELb0EE4sortIPKS3_PS3_PKlPlEEbT_T0_T1_T2_jjjjRNS4_12storage_typeE, .Lfunc_end1847-_ZN7rocprim17ROCPRIM_400000_NS6detail40segmented_radix_sort_single_block_helperI6__halflLj256ELj8ELb0EE4sortIPKS3_PS3_PKlPlEEbT_T0_T1_T2_jjjjRNS4_12storage_typeE
                                        ; -- End function
	.set .L_ZN7rocprim17ROCPRIM_400000_NS6detail40segmented_radix_sort_single_block_helperI6__halflLj256ELj8ELb0EE4sortIPKS3_PS3_PKlPlEEbT_T0_T1_T2_jjjjRNS4_12storage_typeE.num_vgpr, 198
	.set .L_ZN7rocprim17ROCPRIM_400000_NS6detail40segmented_radix_sort_single_block_helperI6__halflLj256ELj8ELb0EE4sortIPKS3_PS3_PKlPlEEbT_T0_T1_T2_jjjjRNS4_12storage_typeE.num_agpr, 0
	.set .L_ZN7rocprim17ROCPRIM_400000_NS6detail40segmented_radix_sort_single_block_helperI6__halflLj256ELj8ELb0EE4sortIPKS3_PS3_PKlPlEEbT_T0_T1_T2_jjjjRNS4_12storage_typeE.numbered_sgpr, 32
	.set .L_ZN7rocprim17ROCPRIM_400000_NS6detail40segmented_radix_sort_single_block_helperI6__halflLj256ELj8ELb0EE4sortIPKS3_PS3_PKlPlEEbT_T0_T1_T2_jjjjRNS4_12storage_typeE.num_named_barrier, 0
	.set .L_ZN7rocprim17ROCPRIM_400000_NS6detail40segmented_radix_sort_single_block_helperI6__halflLj256ELj8ELb0EE4sortIPKS3_PS3_PKlPlEEbT_T0_T1_T2_jjjjRNS4_12storage_typeE.private_seg_size, 0
	.set .L_ZN7rocprim17ROCPRIM_400000_NS6detail40segmented_radix_sort_single_block_helperI6__halflLj256ELj8ELb0EE4sortIPKS3_PS3_PKlPlEEbT_T0_T1_T2_jjjjRNS4_12storage_typeE.uses_vcc, 1
	.set .L_ZN7rocprim17ROCPRIM_400000_NS6detail40segmented_radix_sort_single_block_helperI6__halflLj256ELj8ELb0EE4sortIPKS3_PS3_PKlPlEEbT_T0_T1_T2_jjjjRNS4_12storage_typeE.uses_flat_scratch, 0
	.set .L_ZN7rocprim17ROCPRIM_400000_NS6detail40segmented_radix_sort_single_block_helperI6__halflLj256ELj8ELb0EE4sortIPKS3_PS3_PKlPlEEbT_T0_T1_T2_jjjjRNS4_12storage_typeE.has_dyn_sized_stack, 0
	.set .L_ZN7rocprim17ROCPRIM_400000_NS6detail40segmented_radix_sort_single_block_helperI6__halflLj256ELj8ELb0EE4sortIPKS3_PS3_PKlPlEEbT_T0_T1_T2_jjjjRNS4_12storage_typeE.has_recursion, 0
	.set .L_ZN7rocprim17ROCPRIM_400000_NS6detail40segmented_radix_sort_single_block_helperI6__halflLj256ELj8ELb0EE4sortIPKS3_PS3_PKlPlEEbT_T0_T1_T2_jjjjRNS4_12storage_typeE.has_indirect_call, 0
	.section	.AMDGPU.csdata,"",@progbits
; Function info:
; codeLenInByte = 19208
; TotalNumSgprs: 34
; NumVgprs: 198
; ScratchSize: 0
; MemoryBound: 1
	.section	.text._ZN7rocprim17ROCPRIM_400000_NS6detail17trampoline_kernelINS0_14default_configENS1_36segmented_radix_sort_config_selectorI6__halflEEZNS1_25segmented_radix_sort_implIS3_Lb0EPKS5_PS5_PKlPlN2at6native12_GLOBAL__N_18offset_tEEE10hipError_tPvRmT1_PNSt15iterator_traitsISL_E10value_typeET2_T3_PNSM_ISR_E10value_typeET4_jRbjT5_SX_jjP12ihipStream_tbEUlT_E_NS1_11comp_targetILNS1_3genE10ELNS1_11target_archE1201ELNS1_3gpuE5ELNS1_3repE0EEENS1_30default_config_static_selectorELNS0_4arch9wavefront6targetE0EEEvSL_,"axG",@progbits,_ZN7rocprim17ROCPRIM_400000_NS6detail17trampoline_kernelINS0_14default_configENS1_36segmented_radix_sort_config_selectorI6__halflEEZNS1_25segmented_radix_sort_implIS3_Lb0EPKS5_PS5_PKlPlN2at6native12_GLOBAL__N_18offset_tEEE10hipError_tPvRmT1_PNSt15iterator_traitsISL_E10value_typeET2_T3_PNSM_ISR_E10value_typeET4_jRbjT5_SX_jjP12ihipStream_tbEUlT_E_NS1_11comp_targetILNS1_3genE10ELNS1_11target_archE1201ELNS1_3gpuE5ELNS1_3repE0EEENS1_30default_config_static_selectorELNS0_4arch9wavefront6targetE0EEEvSL_,comdat
	.globl	_ZN7rocprim17ROCPRIM_400000_NS6detail17trampoline_kernelINS0_14default_configENS1_36segmented_radix_sort_config_selectorI6__halflEEZNS1_25segmented_radix_sort_implIS3_Lb0EPKS5_PS5_PKlPlN2at6native12_GLOBAL__N_18offset_tEEE10hipError_tPvRmT1_PNSt15iterator_traitsISL_E10value_typeET2_T3_PNSM_ISR_E10value_typeET4_jRbjT5_SX_jjP12ihipStream_tbEUlT_E_NS1_11comp_targetILNS1_3genE10ELNS1_11target_archE1201ELNS1_3gpuE5ELNS1_3repE0EEENS1_30default_config_static_selectorELNS0_4arch9wavefront6targetE0EEEvSL_ ; -- Begin function _ZN7rocprim17ROCPRIM_400000_NS6detail17trampoline_kernelINS0_14default_configENS1_36segmented_radix_sort_config_selectorI6__halflEEZNS1_25segmented_radix_sort_implIS3_Lb0EPKS5_PS5_PKlPlN2at6native12_GLOBAL__N_18offset_tEEE10hipError_tPvRmT1_PNSt15iterator_traitsISL_E10value_typeET2_T3_PNSM_ISR_E10value_typeET4_jRbjT5_SX_jjP12ihipStream_tbEUlT_E_NS1_11comp_targetILNS1_3genE10ELNS1_11target_archE1201ELNS1_3gpuE5ELNS1_3repE0EEENS1_30default_config_static_selectorELNS0_4arch9wavefront6targetE0EEEvSL_
	.p2align	8
	.type	_ZN7rocprim17ROCPRIM_400000_NS6detail17trampoline_kernelINS0_14default_configENS1_36segmented_radix_sort_config_selectorI6__halflEEZNS1_25segmented_radix_sort_implIS3_Lb0EPKS5_PS5_PKlPlN2at6native12_GLOBAL__N_18offset_tEEE10hipError_tPvRmT1_PNSt15iterator_traitsISL_E10value_typeET2_T3_PNSM_ISR_E10value_typeET4_jRbjT5_SX_jjP12ihipStream_tbEUlT_E_NS1_11comp_targetILNS1_3genE10ELNS1_11target_archE1201ELNS1_3gpuE5ELNS1_3repE0EEENS1_30default_config_static_selectorELNS0_4arch9wavefront6targetE0EEEvSL_,@function
_ZN7rocprim17ROCPRIM_400000_NS6detail17trampoline_kernelINS0_14default_configENS1_36segmented_radix_sort_config_selectorI6__halflEEZNS1_25segmented_radix_sort_implIS3_Lb0EPKS5_PS5_PKlPlN2at6native12_GLOBAL__N_18offset_tEEE10hipError_tPvRmT1_PNSt15iterator_traitsISL_E10value_typeET2_T3_PNSM_ISR_E10value_typeET4_jRbjT5_SX_jjP12ihipStream_tbEUlT_E_NS1_11comp_targetILNS1_3genE10ELNS1_11target_archE1201ELNS1_3gpuE5ELNS1_3repE0EEENS1_30default_config_static_selectorELNS0_4arch9wavefront6targetE0EEEvSL_: ; @_ZN7rocprim17ROCPRIM_400000_NS6detail17trampoline_kernelINS0_14default_configENS1_36segmented_radix_sort_config_selectorI6__halflEEZNS1_25segmented_radix_sort_implIS3_Lb0EPKS5_PS5_PKlPlN2at6native12_GLOBAL__N_18offset_tEEE10hipError_tPvRmT1_PNSt15iterator_traitsISL_E10value_typeET2_T3_PNSM_ISR_E10value_typeET4_jRbjT5_SX_jjP12ihipStream_tbEUlT_E_NS1_11comp_targetILNS1_3genE10ELNS1_11target_archE1201ELNS1_3gpuE5ELNS1_3repE0EEENS1_30default_config_static_selectorELNS0_4arch9wavefront6targetE0EEEvSL_
; %bb.0:
	s_clause 0x1
	s_load_b64 s[8:9], s[0:1], 0x38
	s_load_b128 s[4:7], s[0:1], 0x40
	s_mov_b32 s2, ttmp9
	s_mov_b32 s3, 0
	s_mov_b32 s32, 0
	s_lshl_b64 s[2:3], s[2:3], 2
	s_wait_kmcnt 0x0
	s_add_nc_u64 s[2:3], s[8:9], s[2:3]
	s_load_b32 s2, s[2:3], 0x0
	s_wait_kmcnt 0x0
	s_add_co_i32 s33, s2, s5
	s_add_co_i32 s34, s2, s7
	s_mul_i32 s33, s33, s4
	s_mul_i32 s34, s34, s6
	s_delay_alu instid0(SALU_CYCLE_1)
	s_cmp_le_u32 s34, s33
	s_cbranch_scc1 .LBB1848_670
; %bb.1:
	s_clause 0x3
	s_load_b32 s2, s[0:1], 0x30
	s_load_b128 s[24:27], s[0:1], 0x20
	s_load_b96 s[44:46], s[0:1], 0x50
	s_load_b256 s[36:43], s[0:1], 0x0
	s_wait_kmcnt 0x0
	s_bitcmp1_b32 s2, 0
	s_mov_b32 s2, -1
	s_cselect_b32 s35, -1, 0
	s_sub_co_i32 s47, s34, s33
	s_delay_alu instid0(SALU_CYCLE_1)
	s_cmp_lt_u32 s47, 0x801
	s_cbranch_scc0 .LBB1848_7
; %bb.2:
	v_cndmask_b32_e64 v1, 0, 1, s35
	s_and_b32 s2, s44, 1
	s_delay_alu instid0(VALU_DEP_1) | instid1(SALU_CYCLE_1)
	v_cmp_ne_u32_e32 vcc_lo, s2, v1
	s_mov_b32 s2, -1
	s_cbranch_vccnz .LBB1848_4
; %bb.3:
	s_mov_b64 s[2:3], src_shared_base
	v_dual_mov_b32 v31, v0 :: v_dual_mov_b32 v40, v0
	v_dual_mov_b32 v0, s36 :: v_dual_mov_b32 v1, s37
	;; [unrolled: 1-line block ×7, first 2 shown]
	s_wait_alu 0xfffe
	v_dual_mov_b32 v12, 0 :: v_dual_mov_b32 v13, s3
	s_add_nc_u64 s[8:9], s[0:1], 0x60
	s_getpc_b64 s[4:5]
	s_sext_i32_i16 s5, s5
	s_add_co_u32 s4, s4, _ZN7rocprim17ROCPRIM_400000_NS6detail40segmented_radix_sort_single_block_helperI6__halflLj256ELj8ELb0EE4sortIPKS3_PS3_PKlPlEEbT_T0_T1_T2_jjjjRNS4_12storage_typeE@rel32@lo+8
	s_add_co_ci_u32 s5, s5, _ZN7rocprim17ROCPRIM_400000_NS6detail40segmented_radix_sort_single_block_helperI6__halflLj256ELj8ELb0EE4sortIPKS3_PS3_PKlPlEEbT_T0_T1_T2_jjjjRNS4_12storage_typeE@rel32@hi+16
	s_mov_b64 s[22:23], s[0:1]
	s_swappc_b64 s[30:31], s[4:5]
	v_mov_b32_e32 v0, v40
	s_mov_b64 s[0:1], s[22:23]
	s_mov_b32 s2, 0
.LBB1848_4:
	s_wait_alu 0xfffe
	s_and_not1_b32 vcc_lo, exec_lo, s2
	s_wait_alu 0xfffe
	s_cbranch_vccnz .LBB1848_6
; %bb.5:
	s_mov_b64 s[2:3], src_shared_base
	v_dual_mov_b32 v31, v0 :: v_dual_mov_b32 v40, v0
	v_dual_mov_b32 v0, s36 :: v_dual_mov_b32 v1, s37
	;; [unrolled: 1-line block ×7, first 2 shown]
	s_wait_alu 0xfffe
	v_dual_mov_b32 v12, 0 :: v_dual_mov_b32 v13, s3
	s_add_nc_u64 s[8:9], s[0:1], 0x60
	s_getpc_b64 s[4:5]
	s_wait_alu 0xfffe
	s_sext_i32_i16 s5, s5
	s_add_co_u32 s4, s4, _ZN7rocprim17ROCPRIM_400000_NS6detail40segmented_radix_sort_single_block_helperI6__halflLj256ELj8ELb0EE4sortIPKS3_PS3_PKlPlEEbT_T0_T1_T2_jjjjRNS4_12storage_typeE@rel32@lo+12
	s_wait_alu 0xfffe
	s_add_co_ci_u32 s5, s5, _ZN7rocprim17ROCPRIM_400000_NS6detail40segmented_radix_sort_single_block_helperI6__halflLj256ELj8ELb0EE4sortIPKS3_PS3_PKlPlEEbT_T0_T1_T2_jjjjRNS4_12storage_typeE@rel32@hi+24
	s_mov_b64 s[22:23], s[0:1]
	s_wait_alu 0xfffe
	s_swappc_b64 s[30:31], s[4:5]
	v_mov_b32_e32 v0, v40
	s_mov_b64 s[0:1], s[22:23]
.LBB1848_6:
	s_mov_b32 s2, 0
.LBB1848_7:
	s_wait_alu 0xfffe
	s_and_not1_b32 vcc_lo, exec_lo, s2
	s_wait_alu 0xfffe
	s_cbranch_vccnz .LBB1848_670
; %bb.8:
	s_cmp_ge_u32 s45, s46
	s_cbranch_scc1 .LBB1848_670
; %bb.9:
	v_dual_mov_b32 v62, 1 :: v_dual_and_b32 v1, 0x3ff, v0
	v_dual_mov_b32 v3, 0 :: v_dual_and_b32 v2, 3, v0
	v_lshrrev_b32_e32 v5, 3, v0
	s_delay_alu instid0(VALU_DEP_3)
	v_lshlrev_b32_e32 v28, 2, v1
	v_or_b32_e32 v6, 31, v1
	v_lshlrev_b32_e32 v4, 1, v1
	v_lshlrev_b32_e32 v39, 2, v2
	v_lshlrev_b32_e32 v2, 3, v1
	v_mad_u32_u24 v40, v1, 12, v28
	v_and_b32_e32 v38, 28, v5
	v_lshlrev_b32_e32 v5, 5, v1
	v_cmp_eq_u32_e64 s3, v1, v6
	v_and_b32_e32 v2, 0x700, v2
	v_mad_u32_u24 v43, v1, 20, v40
	v_mbcnt_lo_u32_b32 v59, -1, 0
	v_add_co_u32 v32, s2, s40, v4
	s_delay_alu instid0(VALU_DEP_4) | instskip(NEXT) | instid1(VALU_DEP_4)
	v_lshlrev_b32_e32 v6, 1, v2
	v_sub_nc_u32_e32 v46, v43, v5
	v_lshlrev_b32_e32 v5, 3, v2
	v_lshlrev_b32_e32 v69, 3, v59
	;; [unrolled: 1-line block ×3, first 2 shown]
	v_or_b32_e32 v66, v59, v2
	v_or_b32_e32 v29, 0x100, v1
	v_add_co_u32 v7, s8, s26, v5
	s_wait_alu 0xf1ff
	v_add_co_ci_u32_e64 v8, null, s27, 0, s8
	v_add_co_u32 v9, s8, s40, v6
	s_wait_alu 0xf1ff
	v_add_co_ci_u32_e64 v10, null, s41, 0, s8
	;; [unrolled: 3-line block ×6, first 2 shown]
	v_add_co_u32 v57, s8, s42, v5
	v_add_co_u32 v83, vcc_lo, v7, v69
	s_wait_alu 0xf1ff
	v_add_co_ci_u32_e64 v58, null, s43, 0, s8
	v_add_co_u32 v60, s8, s36, v6
	s_wait_alu 0xfffd
	v_add_co_ci_u32_e64 v84, null, 0, v8, vcc_lo
	v_add_co_u32 v85, vcc_lo, v9, v77
	v_or_b32_e32 v30, 0x200, v1
	v_or_b32_e32 v31, 0x300, v1
	v_add_co_ci_u32_e64 v33, null, s41, 0, s2
	v_or_b32_e32 v34, 0x400, v1
	v_or_b32_e32 v35, 0x500, v1
	v_or_b32_e32 v36, 0x600, v1
	v_or_b32_e32 v37, 0x700, v1
	v_cmp_gt_u32_e64 s2, 0x100, v1
	v_or_b32_e32 v41, 0x4400, v38
	v_cmp_gt_u32_e64 s4, 8, v1
	v_add_nc_u32_e32 v42, 0x4400, v28
	v_cmp_lt_u32_e64 s5, 31, v1
	v_add_nc_u32_e32 v44, 0x43fc, v38
	v_bfe_u32 v45, v0, 20, 10
	v_bfe_u32 v0, v0, 10, 10
	v_cmp_eq_u32_e64 s6, 0, v1
	v_cmp_ne_u32_e64 s7, 0xff, v1
	v_sub_nc_u32_e32 v47, v46, v4
	v_mul_u32_u24_e32 v48, 6, v1
	s_wait_alu 0xf1ff
	v_add_co_ci_u32_e64 v61, null, s37, 0, s8
	v_and_b32_e32 v63, 15, v59
	v_bfe_i32 v64, v59, 4, 1
	v_and_b32_e32 v65, 16, v59
	v_and_b32_e32 v67, 7, v59
	v_sub_co_u32 v68, s8, v59, 1
	v_or_b32_e32 v70, 32, v66
	v_or_b32_e32 v71, 64, v66
	;; [unrolled: 1-line block ×7, first 2 shown]
	v_add_nc_u32_e32 v78, 0x420, v43
	v_add_nc_u32_e32 v79, 0x428, v43
	;; [unrolled: 1-line block ×4, first 2 shown]
	v_lshlrev_b32_e32 v82, 1, v1
	s_wait_alu 0xfffd
	v_add_co_ci_u32_e64 v86, null, 0, v10, vcc_lo
	s_add_nc_u64 s[28:29], s[0:1], 0x60
	s_mov_b32 s31, 0
	s_mov_b32 s23, s45
	s_branch .LBB1848_12
.LBB1848_10:                            ;   in Loop: Header=BB1848_12 Depth=1
	s_wait_loadcnt_dscnt 0x0
	s_barrier_signal -1
	s_barrier_wait -1
.LBB1848_11:                            ;   in Loop: Header=BB1848_12 Depth=1
	s_add_co_i32 s23, s23, 8
	global_inv scope:SCOPE_SE
	s_wait_alu 0xfffe
	s_cmp_ge_u32 s23, s46
	s_cbranch_scc1 .LBB1848_670
.LBB1848_12:                            ; =>This Loop Header: Depth=1
                                        ;     Child Loop BB1848_16 Depth 2
                                        ;     Child Loop BB1848_64 Depth 2
	;; [unrolled: 1-line block ×8, first 2 shown]
	s_wait_alu 0xfffe
	s_sub_co_i32 s0, s46, s23
	s_xor_b32 s35, s35, -1
	s_wait_alu 0xfffe
	s_min_u32 s0, s0, 8
	ds_store_2addr_stride64_b32 v28, v3, v3 offset1:4
	s_wait_alu 0xfffe
	s_lshl_b32 s0, -1, s0
	ds_store_2addr_stride64_b32 v28, v3, v3 offset0:8 offset1:12
	s_wait_alu 0xfffe
	s_not_b32 s42, s0
	s_cmp_lg_u32 s23, s45
	s_mov_b32 s0, -1
	s_wait_storecnt_dscnt 0x0
	s_cbranch_scc0 .LBB1848_342
; %bb.13:                               ;   in Loop: Header=BB1848_12 Depth=1
	s_and_b32 vcc_lo, exec_lo, s35
	s_wait_alu 0xfffe
	s_cbranch_vccz .LBB1848_177
; %bb.14:                               ;   in Loop: Header=BB1848_12 Depth=1
	s_mov_b32 s9, s47
	s_mov_b32 s30, s33
	s_barrier_signal -1
	s_barrier_wait -1
	global_inv scope:SCOPE_SE
                                        ; implicit-def: $vgpr2
                                        ; implicit-def: $vgpr4
                                        ; implicit-def: $vgpr5
                                        ; implicit-def: $vgpr6
                                        ; implicit-def: $vgpr7
                                        ; implicit-def: $vgpr8
                                        ; implicit-def: $vgpr9
                                        ; implicit-def: $vgpr10
	s_branch .LBB1848_16
.LBB1848_15:                            ;   in Loop: Header=BB1848_16 Depth=2
	s_wait_alu 0xfffe
	s_or_b32 exec_lo, exec_lo, s0
	s_addk_co_i32 s9, 0xf800
	s_cmp_ge_u32 s10, s34
	s_mov_b32 s30, s10
	s_cbranch_scc1 .LBB1848_52
.LBB1848_16:                            ;   Parent Loop BB1848_12 Depth=1
                                        ; =>  This Inner Loop Header: Depth=2
	s_wait_alu 0xfffe
	s_add_co_i32 s10, s30, 0x800
	s_mov_b32 s0, -1
	s_wait_alu 0xfffe
	s_cmp_gt_u32 s10, s34
                                        ; implicit-def: $vgpr11
                                        ; implicit-def: $vgpr12
                                        ; implicit-def: $vgpr13
                                        ; implicit-def: $vgpr14
                                        ; implicit-def: $vgpr15
                                        ; implicit-def: $vgpr16
                                        ; implicit-def: $vgpr17
                                        ; implicit-def: $vgpr18
	s_cbranch_scc1 .LBB1848_18
; %bb.17:                               ;   in Loop: Header=BB1848_16 Depth=2
	s_lshl_b64 s[0:1], s[30:31], 1
	s_wait_alu 0xfffe
	v_add_co_u32 v18, vcc_lo, v32, s0
	s_wait_alu 0xfffd
	v_add_co_ci_u32_e64 v19, null, s1, v33, vcc_lo
	s_mov_b32 s0, 0
	s_clause 0x7
	global_load_u16 v11, v[18:19], off
	global_load_u16 v12, v[18:19], off offset:512
	global_load_u16 v13, v[18:19], off offset:1024
	;; [unrolled: 1-line block ×7, first 2 shown]
.LBB1848_18:                            ;   in Loop: Header=BB1848_16 Depth=2
	s_wait_alu 0xfffe
	s_and_not1_b32 vcc_lo, exec_lo, s0
	s_movk_i32 s0, 0x800
	s_wait_alu 0xfffe
	s_cbranch_vccnz .LBB1848_29
; %bb.19:                               ;   in Loop: Header=BB1848_16 Depth=2
	s_lshl_b64 s[0:1], s[30:31], 1
	s_mov_b32 s11, exec_lo
	s_wait_alu 0xfffe
	s_add_nc_u64 s[0:1], s[40:41], s[0:1]
	v_cmpx_gt_u32_e64 s9, v1
	s_cbranch_execnz .LBB1848_45
; %bb.20:                               ;   in Loop: Header=BB1848_16 Depth=2
	s_or_b32 exec_lo, exec_lo, s11
	s_delay_alu instid0(SALU_CYCLE_1)
	s_mov_b32 s11, exec_lo
	v_cmpx_gt_u32_e64 s9, v29
	s_cbranch_execnz .LBB1848_46
.LBB1848_21:                            ;   in Loop: Header=BB1848_16 Depth=2
	s_wait_alu 0xfffe
	s_or_b32 exec_lo, exec_lo, s11
	s_delay_alu instid0(SALU_CYCLE_1)
	s_mov_b32 s11, exec_lo
	v_cmpx_gt_u32_e64 s9, v30
	s_cbranch_execnz .LBB1848_47
.LBB1848_22:                            ;   in Loop: Header=BB1848_16 Depth=2
	s_wait_alu 0xfffe
	s_or_b32 exec_lo, exec_lo, s11
	s_delay_alu instid0(SALU_CYCLE_1)
	s_mov_b32 s11, exec_lo
	v_cmpx_gt_u32_e64 s9, v31
	s_cbranch_execnz .LBB1848_48
.LBB1848_23:                            ;   in Loop: Header=BB1848_16 Depth=2
	s_wait_alu 0xfffe
	s_or_b32 exec_lo, exec_lo, s11
	s_delay_alu instid0(SALU_CYCLE_1)
	s_mov_b32 s11, exec_lo
	v_cmpx_gt_u32_e64 s9, v34
	s_cbranch_execnz .LBB1848_49
.LBB1848_24:                            ;   in Loop: Header=BB1848_16 Depth=2
	s_wait_alu 0xfffe
	s_or_b32 exec_lo, exec_lo, s11
	s_delay_alu instid0(SALU_CYCLE_1)
	s_mov_b32 s11, exec_lo
	v_cmpx_gt_u32_e64 s9, v35
	s_cbranch_execnz .LBB1848_50
.LBB1848_25:                            ;   in Loop: Header=BB1848_16 Depth=2
	s_wait_alu 0xfffe
	s_or_b32 exec_lo, exec_lo, s11
	s_delay_alu instid0(SALU_CYCLE_1)
	s_mov_b32 s11, exec_lo
	v_cmpx_gt_u32_e64 s9, v36
	s_cbranch_execnz .LBB1848_51
.LBB1848_26:                            ;   in Loop: Header=BB1848_16 Depth=2
	s_wait_alu 0xfffe
	s_or_b32 exec_lo, exec_lo, s11
	s_delay_alu instid0(SALU_CYCLE_1)
	s_mov_b32 s11, exec_lo
	v_cmpx_gt_u32_e64 s9, v37
	s_cbranch_execz .LBB1848_28
.LBB1848_27:                            ;   in Loop: Header=BB1848_16 Depth=2
	global_load_u16 v2, v82, s[0:1] offset:3584
.LBB1848_28:                            ;   in Loop: Header=BB1848_16 Depth=2
	s_wait_alu 0xfffe
	s_or_b32 exec_lo, exec_lo, s11
	s_wait_loadcnt 0x0
	v_dual_mov_b32 v11, v10 :: v_dual_mov_b32 v12, v9
	v_dual_mov_b32 v13, v8 :: v_dual_mov_b32 v14, v7
	;; [unrolled: 1-line block ×4, first 2 shown]
	s_mov_b32 s0, s9
.LBB1848_29:                            ;   in Loop: Header=BB1848_16 Depth=2
	s_wait_loadcnt 0x0
	s_delay_alu instid0(VALU_DEP_1) | instskip(NEXT) | instid1(VALU_DEP_2)
	v_dual_mov_b32 v2, v18 :: v_dual_mov_b32 v5, v16
	v_dual_mov_b32 v4, v17 :: v_dual_mov_b32 v7, v14
	;; [unrolled: 1-line block ×3, first 2 shown]
	v_mov_b32_e32 v8, v13
	v_mov_b32_e32 v10, v11
	s_mov_b32 s1, exec_lo
	s_wait_alu 0xfffe
	v_cmpx_gt_u32_e64 s0, v1
	s_cbranch_execnz .LBB1848_37
; %bb.30:                               ;   in Loop: Header=BB1848_16 Depth=2
	s_or_b32 exec_lo, exec_lo, s1
	s_delay_alu instid0(SALU_CYCLE_1)
	s_mov_b32 s1, exec_lo
	v_cmpx_gt_u32_e64 s0, v29
	s_cbranch_execnz .LBB1848_38
.LBB1848_31:                            ;   in Loop: Header=BB1848_16 Depth=2
	s_wait_alu 0xfffe
	s_or_b32 exec_lo, exec_lo, s1
	s_delay_alu instid0(SALU_CYCLE_1)
	s_mov_b32 s1, exec_lo
	v_cmpx_gt_u32_e64 s0, v30
	s_cbranch_execnz .LBB1848_39
.LBB1848_32:                            ;   in Loop: Header=BB1848_16 Depth=2
	s_wait_alu 0xfffe
	s_or_b32 exec_lo, exec_lo, s1
	s_delay_alu instid0(SALU_CYCLE_1)
	s_mov_b32 s1, exec_lo
	v_cmpx_gt_u32_e64 s0, v31
	s_cbranch_execnz .LBB1848_40
.LBB1848_33:                            ;   in Loop: Header=BB1848_16 Depth=2
	s_wait_alu 0xfffe
	s_or_b32 exec_lo, exec_lo, s1
	s_delay_alu instid0(SALU_CYCLE_1)
	s_mov_b32 s1, exec_lo
	v_cmpx_gt_u32_e64 s0, v34
	s_cbranch_execnz .LBB1848_41
.LBB1848_34:                            ;   in Loop: Header=BB1848_16 Depth=2
	s_wait_alu 0xfffe
	s_or_b32 exec_lo, exec_lo, s1
	s_delay_alu instid0(SALU_CYCLE_1)
	s_mov_b32 s1, exec_lo
	v_cmpx_gt_u32_e64 s0, v35
	s_cbranch_execnz .LBB1848_42
.LBB1848_35:                            ;   in Loop: Header=BB1848_16 Depth=2
	s_wait_alu 0xfffe
	s_or_b32 exec_lo, exec_lo, s1
	s_delay_alu instid0(SALU_CYCLE_1)
	s_mov_b32 s1, exec_lo
	v_cmpx_gt_u32_e64 s0, v36
	s_cbranch_execnz .LBB1848_43
.LBB1848_36:                            ;   in Loop: Header=BB1848_16 Depth=2
	s_wait_alu 0xfffe
	s_or_b32 exec_lo, exec_lo, s1
	v_cmp_gt_u32_e32 vcc_lo, s0, v37
	s_and_saveexec_b32 s0, vcc_lo
	s_cbranch_execz .LBB1848_15
	s_branch .LBB1848_44
.LBB1848_37:                            ;   in Loop: Header=BB1848_16 Depth=2
	v_cmp_lt_i16_e32 vcc_lo, -1, v10
	s_wait_alu 0xfffd
	v_cndmask_b32_e64 v11, -1, 0xffff8000, vcc_lo
	s_delay_alu instid0(VALU_DEP_1) | instskip(NEXT) | instid1(VALU_DEP_1)
	v_xor_b32_e32 v11, v11, v10
	v_cmp_ne_u16_e32 vcc_lo, 0x7fff, v11
	s_wait_alu 0xfffd
	v_cndmask_b32_e32 v11, 0xffff8000, v11, vcc_lo
	s_delay_alu instid0(VALU_DEP_1) | instskip(NEXT) | instid1(VALU_DEP_1)
	v_and_b32_e32 v11, 0xffff, v11
	v_lshrrev_b32_e32 v11, s23, v11
	s_delay_alu instid0(VALU_DEP_1) | instskip(NEXT) | instid1(VALU_DEP_1)
	v_and_b32_e32 v11, s42, v11
	v_lshl_or_b32 v11, v11, 4, v39
	ds_add_u32 v11, v62
	s_or_b32 exec_lo, exec_lo, s1
	s_delay_alu instid0(SALU_CYCLE_1)
	s_mov_b32 s1, exec_lo
	v_cmpx_gt_u32_e64 s0, v29
	s_cbranch_execz .LBB1848_31
.LBB1848_38:                            ;   in Loop: Header=BB1848_16 Depth=2
	v_cmp_lt_i16_e32 vcc_lo, -1, v9
	s_wait_alu 0xfffd
	v_cndmask_b32_e64 v11, -1, 0xffff8000, vcc_lo
	s_delay_alu instid0(VALU_DEP_1) | instskip(NEXT) | instid1(VALU_DEP_1)
	v_xor_b32_e32 v11, v11, v9
	v_cmp_ne_u16_e32 vcc_lo, 0x7fff, v11
	s_wait_alu 0xfffd
	v_cndmask_b32_e32 v11, 0xffff8000, v11, vcc_lo
	s_delay_alu instid0(VALU_DEP_1) | instskip(NEXT) | instid1(VALU_DEP_1)
	v_and_b32_e32 v11, 0xffff, v11
	v_lshrrev_b32_e32 v11, s23, v11
	s_delay_alu instid0(VALU_DEP_1) | instskip(NEXT) | instid1(VALU_DEP_1)
	v_and_b32_e32 v11, s42, v11
	v_lshl_or_b32 v11, v11, 4, v39
	ds_add_u32 v11, v62
	s_wait_alu 0xfffe
	s_or_b32 exec_lo, exec_lo, s1
	s_delay_alu instid0(SALU_CYCLE_1)
	s_mov_b32 s1, exec_lo
	v_cmpx_gt_u32_e64 s0, v30
	s_cbranch_execz .LBB1848_32
.LBB1848_39:                            ;   in Loop: Header=BB1848_16 Depth=2
	v_cmp_lt_i16_e32 vcc_lo, -1, v8
	s_wait_alu 0xfffd
	v_cndmask_b32_e64 v11, -1, 0xffff8000, vcc_lo
	s_delay_alu instid0(VALU_DEP_1) | instskip(NEXT) | instid1(VALU_DEP_1)
	v_xor_b32_e32 v11, v11, v8
	v_cmp_ne_u16_e32 vcc_lo, 0x7fff, v11
	s_wait_alu 0xfffd
	v_cndmask_b32_e32 v11, 0xffff8000, v11, vcc_lo
	s_delay_alu instid0(VALU_DEP_1) | instskip(NEXT) | instid1(VALU_DEP_1)
	v_and_b32_e32 v11, 0xffff, v11
	v_lshrrev_b32_e32 v11, s23, v11
	s_delay_alu instid0(VALU_DEP_1) | instskip(NEXT) | instid1(VALU_DEP_1)
	v_and_b32_e32 v11, s42, v11
	v_lshl_or_b32 v11, v11, 4, v39
	ds_add_u32 v11, v62
	s_wait_alu 0xfffe
	s_or_b32 exec_lo, exec_lo, s1
	s_delay_alu instid0(SALU_CYCLE_1)
	s_mov_b32 s1, exec_lo
	v_cmpx_gt_u32_e64 s0, v31
	s_cbranch_execz .LBB1848_33
.LBB1848_40:                            ;   in Loop: Header=BB1848_16 Depth=2
	v_cmp_lt_i16_e32 vcc_lo, -1, v7
	s_wait_alu 0xfffd
	v_cndmask_b32_e64 v11, -1, 0xffff8000, vcc_lo
	s_delay_alu instid0(VALU_DEP_1) | instskip(NEXT) | instid1(VALU_DEP_1)
	v_xor_b32_e32 v11, v11, v7
	v_cmp_ne_u16_e32 vcc_lo, 0x7fff, v11
	s_wait_alu 0xfffd
	v_cndmask_b32_e32 v11, 0xffff8000, v11, vcc_lo
	s_delay_alu instid0(VALU_DEP_1) | instskip(NEXT) | instid1(VALU_DEP_1)
	v_and_b32_e32 v11, 0xffff, v11
	v_lshrrev_b32_e32 v11, s23, v11
	s_delay_alu instid0(VALU_DEP_1) | instskip(NEXT) | instid1(VALU_DEP_1)
	v_and_b32_e32 v11, s42, v11
	v_lshl_or_b32 v11, v11, 4, v39
	ds_add_u32 v11, v62
	s_wait_alu 0xfffe
	s_or_b32 exec_lo, exec_lo, s1
	s_delay_alu instid0(SALU_CYCLE_1)
	s_mov_b32 s1, exec_lo
	v_cmpx_gt_u32_e64 s0, v34
	s_cbranch_execz .LBB1848_34
.LBB1848_41:                            ;   in Loop: Header=BB1848_16 Depth=2
	v_cmp_lt_i16_e32 vcc_lo, -1, v6
	s_wait_alu 0xfffd
	v_cndmask_b32_e64 v11, -1, 0xffff8000, vcc_lo
	s_delay_alu instid0(VALU_DEP_1) | instskip(NEXT) | instid1(VALU_DEP_1)
	v_xor_b32_e32 v11, v11, v6
	v_cmp_ne_u16_e32 vcc_lo, 0x7fff, v11
	s_wait_alu 0xfffd
	v_cndmask_b32_e32 v11, 0xffff8000, v11, vcc_lo
	s_delay_alu instid0(VALU_DEP_1) | instskip(NEXT) | instid1(VALU_DEP_1)
	v_and_b32_e32 v11, 0xffff, v11
	v_lshrrev_b32_e32 v11, s23, v11
	s_delay_alu instid0(VALU_DEP_1) | instskip(NEXT) | instid1(VALU_DEP_1)
	v_and_b32_e32 v11, s42, v11
	v_lshl_or_b32 v11, v11, 4, v39
	ds_add_u32 v11, v62
	s_wait_alu 0xfffe
	s_or_b32 exec_lo, exec_lo, s1
	s_delay_alu instid0(SALU_CYCLE_1)
	s_mov_b32 s1, exec_lo
	v_cmpx_gt_u32_e64 s0, v35
	s_cbranch_execz .LBB1848_35
.LBB1848_42:                            ;   in Loop: Header=BB1848_16 Depth=2
	v_cmp_lt_i16_e32 vcc_lo, -1, v5
	s_wait_alu 0xfffd
	v_cndmask_b32_e64 v11, -1, 0xffff8000, vcc_lo
	s_delay_alu instid0(VALU_DEP_1) | instskip(NEXT) | instid1(VALU_DEP_1)
	v_xor_b32_e32 v11, v11, v5
	v_cmp_ne_u16_e32 vcc_lo, 0x7fff, v11
	s_wait_alu 0xfffd
	v_cndmask_b32_e32 v11, 0xffff8000, v11, vcc_lo
	s_delay_alu instid0(VALU_DEP_1) | instskip(NEXT) | instid1(VALU_DEP_1)
	v_and_b32_e32 v11, 0xffff, v11
	v_lshrrev_b32_e32 v11, s23, v11
	s_delay_alu instid0(VALU_DEP_1) | instskip(NEXT) | instid1(VALU_DEP_1)
	v_and_b32_e32 v11, s42, v11
	v_lshl_or_b32 v11, v11, 4, v39
	ds_add_u32 v11, v62
	s_wait_alu 0xfffe
	s_or_b32 exec_lo, exec_lo, s1
	s_delay_alu instid0(SALU_CYCLE_1)
	s_mov_b32 s1, exec_lo
	v_cmpx_gt_u32_e64 s0, v36
	s_cbranch_execz .LBB1848_36
.LBB1848_43:                            ;   in Loop: Header=BB1848_16 Depth=2
	v_cmp_lt_i16_e32 vcc_lo, -1, v4
	s_wait_alu 0xfffd
	v_cndmask_b32_e64 v11, -1, 0xffff8000, vcc_lo
	s_delay_alu instid0(VALU_DEP_1) | instskip(NEXT) | instid1(VALU_DEP_1)
	v_xor_b32_e32 v11, v11, v4
	v_cmp_ne_u16_e32 vcc_lo, 0x7fff, v11
	s_wait_alu 0xfffd
	v_cndmask_b32_e32 v11, 0xffff8000, v11, vcc_lo
	s_delay_alu instid0(VALU_DEP_1) | instskip(NEXT) | instid1(VALU_DEP_1)
	v_and_b32_e32 v11, 0xffff, v11
	v_lshrrev_b32_e32 v11, s23, v11
	s_delay_alu instid0(VALU_DEP_1) | instskip(NEXT) | instid1(VALU_DEP_1)
	v_and_b32_e32 v11, s42, v11
	v_lshl_or_b32 v11, v11, 4, v39
	ds_add_u32 v11, v62
	s_wait_alu 0xfffe
	s_or_b32 exec_lo, exec_lo, s1
	v_cmp_gt_u32_e32 vcc_lo, s0, v37
	s_and_saveexec_b32 s0, vcc_lo
	s_cbranch_execz .LBB1848_15
.LBB1848_44:                            ;   in Loop: Header=BB1848_16 Depth=2
	v_cmp_lt_i16_e32 vcc_lo, -1, v2
	s_wait_alu 0xfffd
	v_cndmask_b32_e64 v11, -1, 0xffff8000, vcc_lo
	s_delay_alu instid0(VALU_DEP_1) | instskip(NEXT) | instid1(VALU_DEP_1)
	v_xor_b32_e32 v11, v11, v2
	v_cmp_ne_u16_e32 vcc_lo, 0x7fff, v11
	s_wait_alu 0xfffd
	v_cndmask_b32_e32 v11, 0xffff8000, v11, vcc_lo
	s_delay_alu instid0(VALU_DEP_1) | instskip(NEXT) | instid1(VALU_DEP_1)
	v_and_b32_e32 v11, 0xffff, v11
	v_lshrrev_b32_e32 v11, s23, v11
	s_delay_alu instid0(VALU_DEP_1) | instskip(NEXT) | instid1(VALU_DEP_1)
	v_and_b32_e32 v11, s42, v11
	v_lshl_or_b32 v11, v11, 4, v39
	ds_add_u32 v11, v62
	s_branch .LBB1848_15
.LBB1848_45:                            ;   in Loop: Header=BB1848_16 Depth=2
	global_load_u16 v10, v82, s[0:1]
	s_or_b32 exec_lo, exec_lo, s11
	s_delay_alu instid0(SALU_CYCLE_1)
	s_mov_b32 s11, exec_lo
	v_cmpx_gt_u32_e64 s9, v29
	s_cbranch_execz .LBB1848_21
.LBB1848_46:                            ;   in Loop: Header=BB1848_16 Depth=2
	global_load_u16 v9, v82, s[0:1] offset:512
	s_wait_alu 0xfffe
	s_or_b32 exec_lo, exec_lo, s11
	s_delay_alu instid0(SALU_CYCLE_1)
	s_mov_b32 s11, exec_lo
	v_cmpx_gt_u32_e64 s9, v30
	s_cbranch_execz .LBB1848_22
.LBB1848_47:                            ;   in Loop: Header=BB1848_16 Depth=2
	global_load_u16 v8, v82, s[0:1] offset:1024
	s_wait_alu 0xfffe
	s_or_b32 exec_lo, exec_lo, s11
	s_delay_alu instid0(SALU_CYCLE_1)
	s_mov_b32 s11, exec_lo
	v_cmpx_gt_u32_e64 s9, v31
	s_cbranch_execz .LBB1848_23
.LBB1848_48:                            ;   in Loop: Header=BB1848_16 Depth=2
	global_load_u16 v7, v82, s[0:1] offset:1536
	s_wait_alu 0xfffe
	s_or_b32 exec_lo, exec_lo, s11
	s_delay_alu instid0(SALU_CYCLE_1)
	s_mov_b32 s11, exec_lo
	v_cmpx_gt_u32_e64 s9, v34
	s_cbranch_execz .LBB1848_24
.LBB1848_49:                            ;   in Loop: Header=BB1848_16 Depth=2
	global_load_u16 v6, v82, s[0:1] offset:2048
	s_wait_alu 0xfffe
	s_or_b32 exec_lo, exec_lo, s11
	s_delay_alu instid0(SALU_CYCLE_1)
	s_mov_b32 s11, exec_lo
	v_cmpx_gt_u32_e64 s9, v35
	s_cbranch_execz .LBB1848_25
.LBB1848_50:                            ;   in Loop: Header=BB1848_16 Depth=2
	global_load_u16 v5, v82, s[0:1] offset:2560
	s_wait_alu 0xfffe
	s_or_b32 exec_lo, exec_lo, s11
	s_delay_alu instid0(SALU_CYCLE_1)
	s_mov_b32 s11, exec_lo
	v_cmpx_gt_u32_e64 s9, v36
	s_cbranch_execz .LBB1848_26
.LBB1848_51:                            ;   in Loop: Header=BB1848_16 Depth=2
	global_load_u16 v4, v82, s[0:1] offset:3072
	s_wait_alu 0xfffe
	s_or_b32 exec_lo, exec_lo, s11
	s_delay_alu instid0(SALU_CYCLE_1)
	s_mov_b32 s11, exec_lo
	v_cmpx_gt_u32_e64 s9, v37
	s_cbranch_execnz .LBB1848_27
	s_branch .LBB1848_28
.LBB1848_52:                            ;   in Loop: Header=BB1848_12 Depth=1
	v_mov_b32_e32 v2, 0
	s_wait_dscnt 0x0
	s_barrier_signal -1
	s_barrier_wait -1
	global_inv scope:SCOPE_SE
	s_and_saveexec_b32 s0, s2
	s_cbranch_execz .LBB1848_54
; %bb.53:                               ;   in Loop: Header=BB1848_12 Depth=1
	ds_load_2addr_b64 v[4:7], v40 offset1:1
	s_wait_dscnt 0x0
	v_add_nc_u32_e32 v2, v5, v4
	s_delay_alu instid0(VALU_DEP_1)
	v_add3_u32 v2, v2, v6, v7
.LBB1848_54:                            ;   in Loop: Header=BB1848_12 Depth=1
	s_wait_alu 0xfffe
	s_or_b32 exec_lo, exec_lo, s0
	s_delay_alu instid0(VALU_DEP_1)
	v_mov_b32_dpp v4, v2 row_shr:1 row_mask:0xf bank_mask:0xf
	v_cmp_eq_u32_e64 s0, 0, v63
	v_cmp_lt_u32_e64 s1, 1, v63
	v_cmp_lt_u32_e64 s9, 3, v63
	;; [unrolled: 1-line block ×3, first 2 shown]
	v_cmp_eq_u32_e64 s11, 0, v65
	s_wait_alu 0xf1ff
	v_cndmask_b32_e64 v4, v4, 0, s0
	s_delay_alu instid0(VALU_DEP_1) | instskip(NEXT) | instid1(VALU_DEP_1)
	v_add_nc_u32_e32 v2, v4, v2
	v_mov_b32_dpp v4, v2 row_shr:2 row_mask:0xf bank_mask:0xf
	s_delay_alu instid0(VALU_DEP_1) | instskip(NEXT) | instid1(VALU_DEP_1)
	v_cndmask_b32_e64 v4, 0, v4, s1
	v_add_nc_u32_e32 v2, v2, v4
	s_delay_alu instid0(VALU_DEP_1) | instskip(NEXT) | instid1(VALU_DEP_1)
	v_mov_b32_dpp v4, v2 row_shr:4 row_mask:0xf bank_mask:0xf
	v_cndmask_b32_e64 v4, 0, v4, s9
	s_delay_alu instid0(VALU_DEP_1) | instskip(NEXT) | instid1(VALU_DEP_1)
	v_add_nc_u32_e32 v2, v2, v4
	v_mov_b32_dpp v4, v2 row_shr:8 row_mask:0xf bank_mask:0xf
	s_delay_alu instid0(VALU_DEP_1) | instskip(NEXT) | instid1(VALU_DEP_1)
	v_cndmask_b32_e64 v4, 0, v4, s10
	v_add_nc_u32_e32 v2, v2, v4
	ds_swizzle_b32 v4, v2 offset:swizzle(BROADCAST,32,15)
	s_wait_dscnt 0x0
	v_and_b32_e32 v4, v64, v4
	s_delay_alu instid0(VALU_DEP_1)
	v_add_nc_u32_e32 v2, v2, v4
	s_and_saveexec_b32 s12, s3
; %bb.55:                               ;   in Loop: Header=BB1848_12 Depth=1
	ds_store_b32 v41, v2
; %bb.56:                               ;   in Loop: Header=BB1848_12 Depth=1
	s_wait_alu 0xfffe
	s_or_b32 exec_lo, exec_lo, s12
	s_wait_loadcnt_dscnt 0x0
	s_barrier_signal -1
	s_barrier_wait -1
	global_inv scope:SCOPE_SE
	s_and_saveexec_b32 s12, s4
	s_cbranch_execz .LBB1848_58
; %bb.57:                               ;   in Loop: Header=BB1848_12 Depth=1
	ds_load_b32 v4, v42
	v_cmp_ne_u32_e32 vcc_lo, 0, v67
	s_wait_dscnt 0x0
	v_mov_b32_dpp v5, v4 row_shr:1 row_mask:0xf bank_mask:0xf
	s_wait_alu 0xfffd
	s_delay_alu instid0(VALU_DEP_1) | instskip(SKIP_1) | instid1(VALU_DEP_2)
	v_cndmask_b32_e32 v5, 0, v5, vcc_lo
	v_cmp_lt_u32_e32 vcc_lo, 1, v67
	v_add_nc_u32_e32 v4, v5, v4
	s_delay_alu instid0(VALU_DEP_1) | instskip(SKIP_1) | instid1(VALU_DEP_1)
	v_mov_b32_dpp v5, v4 row_shr:2 row_mask:0xf bank_mask:0xf
	s_wait_alu 0xfffd
	v_cndmask_b32_e32 v5, 0, v5, vcc_lo
	v_cmp_lt_u32_e32 vcc_lo, 3, v67
	s_delay_alu instid0(VALU_DEP_2) | instskip(NEXT) | instid1(VALU_DEP_1)
	v_add_nc_u32_e32 v4, v4, v5
	v_mov_b32_dpp v5, v4 row_shr:4 row_mask:0xf bank_mask:0xf
	s_wait_alu 0xfffd
	s_delay_alu instid0(VALU_DEP_1) | instskip(NEXT) | instid1(VALU_DEP_1)
	v_cndmask_b32_e32 v5, 0, v5, vcc_lo
	v_add_nc_u32_e32 v4, v4, v5
	ds_store_b32 v42, v4
.LBB1848_58:                            ;   in Loop: Header=BB1848_12 Depth=1
	s_wait_alu 0xfffe
	s_or_b32 exec_lo, exec_lo, s12
	v_mov_b32_e32 v4, 0
	s_wait_loadcnt_dscnt 0x0
	s_barrier_signal -1
	s_barrier_wait -1
	global_inv scope:SCOPE_SE
	s_and_saveexec_b32 s12, s5
; %bb.59:                               ;   in Loop: Header=BB1848_12 Depth=1
	ds_load_b32 v4, v44
; %bb.60:                               ;   in Loop: Header=BB1848_12 Depth=1
	s_wait_alu 0xfffe
	s_or_b32 exec_lo, exec_lo, s12
	v_cmp_gt_i32_e32 vcc_lo, 0, v68
	s_wait_dscnt 0x0
	v_add_nc_u32_e32 v2, v4, v2
	s_wait_loadcnt 0x0
	s_barrier_signal -1
	s_barrier_wait -1
	s_wait_alu 0xfffd
	v_cndmask_b32_e32 v5, v68, v59, vcc_lo
	global_inv scope:SCOPE_SE
	v_lshlrev_b32_e32 v87, 2, v5
	ds_bpermute_b32 v2, v87, v2
	s_and_saveexec_b32 s12, s2
	s_cbranch_execz .LBB1848_62
; %bb.61:                               ;   in Loop: Header=BB1848_12 Depth=1
	s_wait_dscnt 0x0
	v_cndmask_b32_e64 v2, v2, v4, s8
	s_delay_alu instid0(VALU_DEP_1)
	v_add_nc_u32_e32 v2, s33, v2
	ds_store_b32 v28, v2
.LBB1848_62:                            ;   in Loop: Header=BB1848_12 Depth=1
	s_wait_alu 0xfffe
	s_or_b32 exec_lo, exec_lo, s12
	s_clause 0x1
	s_load_b32 s12, s[28:29], 0x4
	s_load_b32 s14, s[28:29], 0xc
	s_mov_b32 s43, s47
                                        ; implicit-def: $vgpr6_vgpr7
                                        ; implicit-def: $vgpr8_vgpr9
                                        ; implicit-def: $vgpr10_vgpr11
                                        ; implicit-def: $vgpr12_vgpr13
                                        ; implicit-def: $vgpr14_vgpr15
                                        ; implicit-def: $vgpr16_vgpr17
                                        ; implicit-def: $vgpr18_vgpr19
                                        ; implicit-def: $vgpr89
                                        ; implicit-def: $vgpr90
                                        ; implicit-def: $vgpr91
                                        ; implicit-def: $vgpr92
                                        ; implicit-def: $vgpr93
                                        ; implicit-def: $vgpr94
                                        ; implicit-def: $vgpr95
                                        ; implicit-def: $vgpr96
	s_wait_kmcnt 0x0
	s_cmp_lt_u32 ttmp7, s12
	s_cselect_b32 s30, 14, 20
	s_wait_alu 0xfffe
	s_add_nc_u64 s[12:13], s[28:29], s[30:31]
	s_mov_b32 s30, s33
	s_load_u16 s12, s[12:13], 0x0
	v_cmp_lt_u32_e64 s13, 1, v67
	s_wait_dscnt 0x0
	s_wait_kmcnt 0x0
	v_mad_u32_u24 v2, v45, s12, v0
	s_and_b32 s12, s14, 0xffff
	v_cmp_lt_u32_e64 s14, 3, v67
	s_wait_alu 0xfffe
	s_delay_alu instid0(VALU_DEP_2) | instskip(SKIP_1) | instid1(VALU_DEP_2)
	v_mad_co_u64_u32 v[4:5], null, v2, s12, v[1:2]
	v_cmp_eq_u32_e64 s12, 0, v67
	v_lshrrev_b32_e32 v2, 3, v4
                                        ; implicit-def: $vgpr4_vgpr5
	s_delay_alu instid0(VALU_DEP_1)
	v_and_b32_e32 v88, 0x1ffffffc, v2
	s_branch .LBB1848_64
.LBB1848_63:                            ;   in Loop: Header=BB1848_64 Depth=2
	s_wait_alu 0xfffe
	s_or_b32 exec_lo, exec_lo, s15
	s_addk_co_i32 s43, 0xf800
	s_cmp_lt_u32 s44, s34
	s_mov_b32 s30, s44
	s_cbranch_scc0 .LBB1848_176
.LBB1848_64:                            ;   Parent Loop BB1848_12 Depth=1
                                        ; =>  This Inner Loop Header: Depth=2
	s_wait_alu 0xfffe
	s_add_co_i32 s44, s30, 0x800
	s_wait_alu 0xfffe
	s_cmp_gt_u32 s44, s34
	s_cbranch_scc1 .LBB1848_66
; %bb.65:                               ;   in Loop: Header=BB1848_64 Depth=2
	s_lshl_b64 s[16:17], s[30:31], 1
	s_mov_b32 s15, -1
	s_wait_alu 0xfffe
	v_add_co_u32 v20, vcc_lo, v85, s16
	s_wait_alu 0xfffd
	v_add_co_ci_u32_e64 v21, null, s17, v86, vcc_lo
	s_clause 0x6
	global_load_u16 v2, v[20:21], off
	global_load_u16 v27, v[20:21], off offset:64
	global_load_u16 v26, v[20:21], off offset:128
	;; [unrolled: 1-line block ×6, first 2 shown]
	s_movk_i32 s16, 0x800
	s_cbranch_execz .LBB1848_67
	s_branch .LBB1848_82
.LBB1848_66:                            ;   in Loop: Header=BB1848_64 Depth=2
	s_mov_b32 s15, 0
                                        ; implicit-def: $vgpr2
                                        ; implicit-def: $vgpr27
                                        ; implicit-def: $vgpr26
                                        ; implicit-def: $vgpr25
                                        ; implicit-def: $vgpr24
                                        ; implicit-def: $vgpr23
                                        ; implicit-def: $vgpr22
	s_movk_i32 s16, 0x800
.LBB1848_67:                            ;   in Loop: Header=BB1848_64 Depth=2
	s_lshl_b64 s[16:17], s[30:31], 1
	s_wait_loadcnt 0x5
	v_dual_mov_b32 v27, 0x7fff :: v_dual_mov_b32 v2, 0x7fff
	s_wait_alu 0xfffe
	v_add_co_u32 v20, vcc_lo, v85, s16
	s_wait_alu 0xfffd
	v_add_co_ci_u32_e64 v21, null, s17, v86, vcc_lo
	s_mov_b32 s15, exec_lo
	v_cmpx_gt_u32_e64 s43, v66
	s_cbranch_execz .LBB1848_69
; %bb.68:                               ;   in Loop: Header=BB1848_64 Depth=2
	global_load_u16 v2, v[20:21], off
.LBB1848_69:                            ;   in Loop: Header=BB1848_64 Depth=2
	s_wait_alu 0xfffe
	s_or_b32 exec_lo, exec_lo, s15
	s_delay_alu instid0(SALU_CYCLE_1)
	s_mov_b32 s15, exec_lo
	v_cmpx_gt_u32_e64 s43, v70
	s_cbranch_execz .LBB1848_71
; %bb.70:                               ;   in Loop: Header=BB1848_64 Depth=2
	global_load_u16 v27, v[20:21], off offset:64
.LBB1848_71:                            ;   in Loop: Header=BB1848_64 Depth=2
	s_wait_alu 0xfffe
	s_or_b32 exec_lo, exec_lo, s15
	s_wait_loadcnt 0x3
	v_dual_mov_b32 v25, 0x7fff :: v_dual_mov_b32 v26, 0x7fff
	s_mov_b32 s15, exec_lo
	v_cmpx_gt_u32_e64 s43, v71
	s_cbranch_execz .LBB1848_73
; %bb.72:                               ;   in Loop: Header=BB1848_64 Depth=2
	global_load_u16 v26, v[20:21], off offset:128
.LBB1848_73:                            ;   in Loop: Header=BB1848_64 Depth=2
	s_wait_alu 0xfffe
	s_or_b32 exec_lo, exec_lo, s15
	s_delay_alu instid0(SALU_CYCLE_1)
	s_mov_b32 s15, exec_lo
	v_cmpx_gt_u32_e64 s43, v72
	s_cbranch_execz .LBB1848_75
; %bb.74:                               ;   in Loop: Header=BB1848_64 Depth=2
	global_load_u16 v25, v[20:21], off offset:192
.LBB1848_75:                            ;   in Loop: Header=BB1848_64 Depth=2
	s_wait_alu 0xfffe
	s_or_b32 exec_lo, exec_lo, s15
	s_wait_loadcnt 0x1
	v_dual_mov_b32 v23, 0x7fff :: v_dual_mov_b32 v24, 0x7fff
	s_mov_b32 s15, exec_lo
	v_cmpx_gt_u32_e64 s43, v73
	s_cbranch_execz .LBB1848_77
; %bb.76:                               ;   in Loop: Header=BB1848_64 Depth=2
	global_load_u16 v24, v[20:21], off offset:256
.LBB1848_77:                            ;   in Loop: Header=BB1848_64 Depth=2
	s_wait_alu 0xfffe
	s_or_b32 exec_lo, exec_lo, s15
	s_delay_alu instid0(SALU_CYCLE_1)
	s_mov_b32 s15, exec_lo
	v_cmpx_gt_u32_e64 s43, v74
	s_cbranch_execz .LBB1848_79
; %bb.78:                               ;   in Loop: Header=BB1848_64 Depth=2
	global_load_u16 v23, v[20:21], off offset:320
.LBB1848_79:                            ;   in Loop: Header=BB1848_64 Depth=2
	s_wait_alu 0xfffe
	s_or_b32 exec_lo, exec_lo, s15
	s_wait_loadcnt 0x0
	v_mov_b32_e32 v22, 0x7fff
	s_mov_b32 s15, exec_lo
	v_cmpx_gt_u32_e64 s43, v75
	s_cbranch_execz .LBB1848_81
; %bb.80:                               ;   in Loop: Header=BB1848_64 Depth=2
	global_load_u16 v22, v[20:21], off offset:384
.LBB1848_81:                            ;   in Loop: Header=BB1848_64 Depth=2
	s_wait_alu 0xfffe
	s_or_b32 exec_lo, exec_lo, s15
	v_cmp_gt_u32_e64 s15, s43, v76
	s_sub_co_i32 s16, s34, s30
.LBB1848_82:                            ;   in Loop: Header=BB1848_64 Depth=2
	v_dual_mov_b32 v20, 0x7fff :: v_dual_mov_b32 v97, s43
	s_and_saveexec_b32 s17, s15
	s_cbranch_execz .LBB1848_84
; %bb.83:                               ;   in Loop: Header=BB1848_64 Depth=2
	s_lshl_b64 s[18:19], s[30:31], 1
	s_wait_alu 0xfffe
	v_mov_b32_e32 v97, s16
	v_add_co_u32 v20, vcc_lo, v85, s18
	s_wait_alu 0xfffd
	v_add_co_ci_u32_e64 v21, null, s19, v86, vcc_lo
	global_load_u16 v20, v[20:21], off offset:448
.LBB1848_84:                            ;   in Loop: Header=BB1848_64 Depth=2
	s_wait_alu 0xfffe
	s_or_b32 exec_lo, exec_lo, s17
	s_wait_loadcnt 0x6
	v_cmp_lt_i16_e32 vcc_lo, -1, v2
	ds_store_2addr_b32 v81, v3, v3 offset1:1
	ds_store_2addr_b32 v78, v3, v3 offset1:1
	;; [unrolled: 1-line block ×4, first 2 shown]
	ds_store_b32 v43, v3 offset:1088
	s_wait_loadcnt_dscnt 0x0
	s_barrier_signal -1
	s_wait_alu 0xfffd
	v_cndmask_b32_e64 v21, -1, 0xffff8000, vcc_lo
	s_barrier_wait -1
	global_inv scope:SCOPE_SE
	; wave barrier
	v_xor_b32_e32 v2, v21, v2
	s_delay_alu instid0(VALU_DEP_1) | instskip(SKIP_2) | instid1(VALU_DEP_1)
	v_cmp_ne_u16_e32 vcc_lo, 0x7fff, v2
	s_wait_alu 0xfffd
	v_cndmask_b32_e32 v21, 0xffff8000, v2, vcc_lo
	v_and_b32_e32 v21, 0xffff, v21
	s_delay_alu instid0(VALU_DEP_1) | instskip(NEXT) | instid1(VALU_DEP_1)
	v_lshrrev_b32_e32 v21, s23, v21
	v_and_b32_e32 v99, s42, v21
	s_delay_alu instid0(VALU_DEP_1)
	v_and_b32_e32 v21, 1, v99
	v_lshlrev_b32_e32 v98, 30, v99
	v_lshlrev_b32_e32 v100, 29, v99
	;; [unrolled: 1-line block ×4, first 2 shown]
	v_add_co_u32 v21, s15, v21, -1
	s_wait_alu 0xf1ff
	v_cndmask_b32_e64 v102, 0, 1, s15
	v_not_b32_e32 v106, v98
	v_cmp_gt_i32_e64 s15, 0, v98
	v_not_b32_e32 v98, v100
	v_lshlrev_b32_e32 v104, 26, v99
	v_cmp_ne_u32_e32 vcc_lo, 0, v102
	v_ashrrev_i32_e32 v106, 31, v106
	v_lshlrev_b32_e32 v105, 25, v99
	v_ashrrev_i32_e32 v98, 31, v98
	v_lshlrev_b32_e32 v102, 24, v99
	s_wait_alu 0xfffd
	v_xor_b32_e32 v21, vcc_lo, v21
	v_cmp_gt_i32_e32 vcc_lo, 0, v100
	v_not_b32_e32 v100, v101
	s_wait_alu 0xf1ff
	v_xor_b32_e32 v106, s15, v106
	v_cmp_gt_i32_e64 s15, 0, v101
	v_and_b32_e32 v21, exec_lo, v21
	v_not_b32_e32 v101, v103
	v_ashrrev_i32_e32 v100, 31, v100
	s_wait_alu 0xfffd
	v_xor_b32_e32 v98, vcc_lo, v98
	v_cmp_gt_i32_e32 vcc_lo, 0, v103
	v_and_b32_e32 v21, v21, v106
	v_not_b32_e32 v103, v104
	v_ashrrev_i32_e32 v101, 31, v101
	s_wait_alu 0xf1ff
	v_xor_b32_e32 v100, s15, v100
	v_cmp_gt_i32_e64 s15, 0, v104
	v_and_b32_e32 v21, v21, v98
	v_not_b32_e32 v98, v105
	v_ashrrev_i32_e32 v103, 31, v103
	s_wait_alu 0xfffd
	v_xor_b32_e32 v101, vcc_lo, v101
	v_cmp_gt_i32_e32 vcc_lo, 0, v105
	v_and_b32_e32 v21, v21, v100
	v_not_b32_e32 v100, v102
	v_ashrrev_i32_e32 v98, 31, v98
	s_wait_alu 0xf1ff
	v_xor_b32_e32 v103, s15, v103
	v_cmp_gt_i32_e64 s15, 0, v102
	v_and_b32_e32 v21, v21, v101
	v_ashrrev_i32_e32 v100, 31, v100
	s_wait_alu 0xfffd
	v_xor_b32_e32 v98, vcc_lo, v98
	v_mul_u32_u24_e32 v99, 36, v99
	v_and_b32_e32 v21, v21, v103
	s_wait_alu 0xf1ff
	v_xor_b32_e32 v100, s15, v100
	s_delay_alu instid0(VALU_DEP_2) | instskip(NEXT) | instid1(VALU_DEP_1)
	v_and_b32_e32 v21, v21, v98
	v_and_b32_e32 v21, v21, v100
	v_add_nc_u32_e32 v100, v88, v99
	s_delay_alu instid0(VALU_DEP_2) | instskip(SKIP_1) | instid1(VALU_DEP_2)
	v_mbcnt_lo_u32_b32 v98, v21, 0
	v_cmp_ne_u32_e64 s15, 0, v21
	v_cmp_eq_u32_e32 vcc_lo, 0, v98
	s_and_b32 s16, s15, vcc_lo
	s_wait_alu 0xfffe
	s_and_saveexec_b32 s15, s16
; %bb.85:                               ;   in Loop: Header=BB1848_64 Depth=2
	v_bcnt_u32_b32 v21, v21, 0
	ds_store_b32 v100, v21 offset:1056
; %bb.86:                               ;   in Loop: Header=BB1848_64 Depth=2
	s_wait_alu 0xfffe
	s_or_b32 exec_lo, exec_lo, s15
	v_cmp_lt_i16_e32 vcc_lo, -1, v27
	; wave barrier
	s_wait_alu 0xfffd
	v_cndmask_b32_e64 v21, -1, 0xffff8000, vcc_lo
	s_delay_alu instid0(VALU_DEP_1) | instskip(NEXT) | instid1(VALU_DEP_1)
	v_xor_b32_e32 v99, v21, v27
	v_cmp_ne_u16_e32 vcc_lo, 0x7fff, v99
	s_wait_alu 0xfffd
	v_cndmask_b32_e32 v21, 0xffff8000, v99, vcc_lo
	s_delay_alu instid0(VALU_DEP_1) | instskip(NEXT) | instid1(VALU_DEP_1)
	v_and_b32_e32 v21, 0xffff, v21
	v_lshrrev_b32_e32 v21, s23, v21
	s_delay_alu instid0(VALU_DEP_1) | instskip(NEXT) | instid1(VALU_DEP_1)
	v_and_b32_e32 v27, s42, v21
	v_and_b32_e32 v21, 1, v27
	v_lshlrev_b32_e32 v101, 30, v27
	v_lshlrev_b32_e32 v102, 29, v27
	;; [unrolled: 1-line block ×4, first 2 shown]
	v_add_co_u32 v21, s15, v21, -1
	s_wait_alu 0xf1ff
	v_cndmask_b32_e64 v104, 0, 1, s15
	v_not_b32_e32 v108, v101
	v_cmp_gt_i32_e64 s15, 0, v101
	v_not_b32_e32 v101, v102
	v_lshlrev_b32_e32 v106, 26, v27
	v_cmp_ne_u32_e32 vcc_lo, 0, v104
	v_ashrrev_i32_e32 v108, 31, v108
	v_lshlrev_b32_e32 v107, 25, v27
	v_ashrrev_i32_e32 v101, 31, v101
	v_lshlrev_b32_e32 v104, 24, v27
	s_wait_alu 0xfffd
	v_xor_b32_e32 v21, vcc_lo, v21
	v_cmp_gt_i32_e32 vcc_lo, 0, v102
	v_not_b32_e32 v102, v103
	s_wait_alu 0xf1ff
	v_xor_b32_e32 v108, s15, v108
	v_cmp_gt_i32_e64 s15, 0, v103
	v_and_b32_e32 v21, exec_lo, v21
	v_not_b32_e32 v103, v105
	v_ashrrev_i32_e32 v102, 31, v102
	s_wait_alu 0xfffd
	v_xor_b32_e32 v101, vcc_lo, v101
	v_cmp_gt_i32_e32 vcc_lo, 0, v105
	v_and_b32_e32 v21, v21, v108
	v_not_b32_e32 v105, v106
	v_ashrrev_i32_e32 v103, 31, v103
	s_wait_alu 0xf1ff
	v_xor_b32_e32 v102, s15, v102
	v_cmp_gt_i32_e64 s15, 0, v106
	v_and_b32_e32 v21, v21, v101
	v_not_b32_e32 v101, v107
	v_ashrrev_i32_e32 v105, 31, v105
	s_wait_alu 0xfffd
	v_xor_b32_e32 v103, vcc_lo, v103
	v_cmp_gt_i32_e32 vcc_lo, 0, v107
	v_and_b32_e32 v21, v21, v102
	v_not_b32_e32 v102, v104
	v_ashrrev_i32_e32 v101, 31, v101
	s_wait_alu 0xf1ff
	v_xor_b32_e32 v105, s15, v105
	v_cmp_gt_i32_e64 s15, 0, v104
	v_and_b32_e32 v21, v21, v103
	v_ashrrev_i32_e32 v102, 31, v102
	s_wait_alu 0xfffd
	v_xor_b32_e32 v101, vcc_lo, v101
	v_mad_u32_u24 v103, v27, 36, v88
	v_mul_u32_u24_e32 v27, 36, v27
	v_and_b32_e32 v21, v21, v105
	s_wait_alu 0xf1ff
	v_xor_b32_e32 v102, s15, v102
	s_delay_alu instid0(VALU_DEP_3) | instskip(NEXT) | instid1(VALU_DEP_3)
	v_add_nc_u32_e32 v104, v88, v27
	v_and_b32_e32 v21, v21, v101
	ds_load_b32 v101, v103 offset:1056
	; wave barrier
	v_and_b32_e32 v21, v21, v102
	s_delay_alu instid0(VALU_DEP_1) | instskip(SKIP_1) | instid1(VALU_DEP_2)
	v_mbcnt_lo_u32_b32 v102, v21, 0
	v_cmp_ne_u32_e64 s15, 0, v21
	v_cmp_eq_u32_e32 vcc_lo, 0, v102
	s_and_b32 s16, s15, vcc_lo
	s_wait_alu 0xfffe
	s_and_saveexec_b32 s15, s16
	s_cbranch_execz .LBB1848_88
; %bb.87:                               ;   in Loop: Header=BB1848_64 Depth=2
	s_wait_dscnt 0x0
	v_bcnt_u32_b32 v21, v21, v101
	ds_store_b32 v104, v21 offset:1056
.LBB1848_88:                            ;   in Loop: Header=BB1848_64 Depth=2
	s_wait_alu 0xfffe
	s_or_b32 exec_lo, exec_lo, s15
	v_cmp_lt_i16_e32 vcc_lo, -1, v26
	; wave barrier
	s_wait_alu 0xfffd
	v_cndmask_b32_e64 v21, -1, 0xffff8000, vcc_lo
	s_delay_alu instid0(VALU_DEP_1) | instskip(NEXT) | instid1(VALU_DEP_1)
	v_xor_b32_e32 v103, v21, v26
	v_cmp_ne_u16_e32 vcc_lo, 0x7fff, v103
	s_wait_alu 0xfffd
	v_cndmask_b32_e32 v21, 0xffff8000, v103, vcc_lo
	s_delay_alu instid0(VALU_DEP_1) | instskip(NEXT) | instid1(VALU_DEP_1)
	v_and_b32_e32 v21, 0xffff, v21
	v_lshrrev_b32_e32 v21, s23, v21
	s_delay_alu instid0(VALU_DEP_1) | instskip(NEXT) | instid1(VALU_DEP_1)
	v_and_b32_e32 v26, s42, v21
	v_and_b32_e32 v21, 1, v26
	v_lshlrev_b32_e32 v27, 30, v26
	v_lshlrev_b32_e32 v105, 29, v26
	;; [unrolled: 1-line block ×4, first 2 shown]
	v_add_co_u32 v21, s15, v21, -1
	s_wait_alu 0xf1ff
	v_cndmask_b32_e64 v107, 0, 1, s15
	v_not_b32_e32 v111, v27
	v_cmp_gt_i32_e64 s15, 0, v27
	v_not_b32_e32 v27, v105
	v_lshlrev_b32_e32 v109, 26, v26
	v_cmp_ne_u32_e32 vcc_lo, 0, v107
	v_ashrrev_i32_e32 v111, 31, v111
	v_lshlrev_b32_e32 v110, 25, v26
	v_ashrrev_i32_e32 v27, 31, v27
	v_lshlrev_b32_e32 v107, 24, v26
	s_wait_alu 0xfffd
	v_xor_b32_e32 v21, vcc_lo, v21
	v_cmp_gt_i32_e32 vcc_lo, 0, v105
	v_not_b32_e32 v105, v106
	s_wait_alu 0xf1ff
	v_xor_b32_e32 v111, s15, v111
	v_cmp_gt_i32_e64 s15, 0, v106
	v_and_b32_e32 v21, exec_lo, v21
	v_not_b32_e32 v106, v108
	v_ashrrev_i32_e32 v105, 31, v105
	s_wait_alu 0xfffd
	v_xor_b32_e32 v27, vcc_lo, v27
	v_cmp_gt_i32_e32 vcc_lo, 0, v108
	v_and_b32_e32 v21, v21, v111
	v_not_b32_e32 v108, v109
	v_ashrrev_i32_e32 v106, 31, v106
	s_wait_alu 0xf1ff
	v_xor_b32_e32 v105, s15, v105
	v_cmp_gt_i32_e64 s15, 0, v109
	v_and_b32_e32 v21, v21, v27
	v_not_b32_e32 v27, v110
	v_ashrrev_i32_e32 v108, 31, v108
	s_wait_alu 0xfffd
	v_xor_b32_e32 v106, vcc_lo, v106
	v_cmp_gt_i32_e32 vcc_lo, 0, v110
	v_and_b32_e32 v21, v21, v105
	v_not_b32_e32 v105, v107
	v_ashrrev_i32_e32 v27, 31, v27
	s_wait_alu 0xf1ff
	v_xor_b32_e32 v108, s15, v108
	v_cmp_gt_i32_e64 s15, 0, v107
	v_and_b32_e32 v21, v21, v106
	v_ashrrev_i32_e32 v105, 31, v105
	s_wait_alu 0xfffd
	v_xor_b32_e32 v27, vcc_lo, v27
	v_mad_u32_u24 v106, v26, 36, v88
	v_mul_u32_u24_e32 v26, 36, v26
	v_and_b32_e32 v21, v21, v108
	s_wait_alu 0xf1ff
	v_xor_b32_e32 v107, s15, v105
	ds_load_b32 v105, v106 offset:1056
	v_add_nc_u32_e32 v108, v88, v26
	v_and_b32_e32 v21, v21, v27
	; wave barrier
	s_delay_alu instid0(VALU_DEP_1) | instskip(NEXT) | instid1(VALU_DEP_1)
	v_and_b32_e32 v21, v21, v107
	v_mbcnt_lo_u32_b32 v107, v21, 0
	v_cmp_ne_u32_e64 s15, 0, v21
	s_delay_alu instid0(VALU_DEP_2)
	v_cmp_eq_u32_e32 vcc_lo, 0, v107
	s_and_b32 s16, s15, vcc_lo
	s_wait_alu 0xfffe
	s_and_saveexec_b32 s15, s16
	s_cbranch_execz .LBB1848_90
; %bb.89:                               ;   in Loop: Header=BB1848_64 Depth=2
	s_wait_dscnt 0x0
	v_bcnt_u32_b32 v21, v21, v105
	ds_store_b32 v108, v21 offset:1056
.LBB1848_90:                            ;   in Loop: Header=BB1848_64 Depth=2
	s_wait_alu 0xfffe
	s_or_b32 exec_lo, exec_lo, s15
	v_cmp_lt_i16_e32 vcc_lo, -1, v25
	; wave barrier
	s_wait_alu 0xfffd
	v_cndmask_b32_e64 v21, -1, 0xffff8000, vcc_lo
	s_delay_alu instid0(VALU_DEP_1) | instskip(NEXT) | instid1(VALU_DEP_1)
	v_xor_b32_e32 v106, v21, v25
	v_cmp_ne_u16_e32 vcc_lo, 0x7fff, v106
	s_wait_alu 0xfffd
	v_cndmask_b32_e32 v21, 0xffff8000, v106, vcc_lo
	s_delay_alu instid0(VALU_DEP_1) | instskip(NEXT) | instid1(VALU_DEP_1)
	v_and_b32_e32 v21, 0xffff, v21
	v_lshrrev_b32_e32 v21, s23, v21
	s_delay_alu instid0(VALU_DEP_1) | instskip(NEXT) | instid1(VALU_DEP_1)
	v_and_b32_e32 v25, s42, v21
	v_and_b32_e32 v21, 1, v25
	v_lshlrev_b32_e32 v26, 30, v25
	v_lshlrev_b32_e32 v27, 29, v25
	;; [unrolled: 1-line block ×4, first 2 shown]
	v_add_co_u32 v21, s15, v21, -1
	s_wait_alu 0xf1ff
	v_cndmask_b32_e64 v110, 0, 1, s15
	v_not_b32_e32 v114, v26
	v_cmp_gt_i32_e64 s15, 0, v26
	v_not_b32_e32 v26, v27
	v_lshlrev_b32_e32 v112, 26, v25
	v_cmp_ne_u32_e32 vcc_lo, 0, v110
	v_ashrrev_i32_e32 v114, 31, v114
	v_lshlrev_b32_e32 v113, 25, v25
	v_ashrrev_i32_e32 v26, 31, v26
	v_lshlrev_b32_e32 v110, 24, v25
	s_wait_alu 0xfffd
	v_xor_b32_e32 v21, vcc_lo, v21
	v_cmp_gt_i32_e32 vcc_lo, 0, v27
	v_not_b32_e32 v27, v109
	s_wait_alu 0xf1ff
	v_xor_b32_e32 v114, s15, v114
	v_cmp_gt_i32_e64 s15, 0, v109
	v_and_b32_e32 v21, exec_lo, v21
	v_not_b32_e32 v109, v111
	v_ashrrev_i32_e32 v27, 31, v27
	s_wait_alu 0xfffd
	v_xor_b32_e32 v26, vcc_lo, v26
	v_cmp_gt_i32_e32 vcc_lo, 0, v111
	v_and_b32_e32 v21, v21, v114
	v_not_b32_e32 v111, v112
	v_ashrrev_i32_e32 v109, 31, v109
	s_wait_alu 0xf1ff
	v_xor_b32_e32 v27, s15, v27
	v_cmp_gt_i32_e64 s15, 0, v112
	v_and_b32_e32 v21, v21, v26
	v_not_b32_e32 v26, v113
	v_ashrrev_i32_e32 v111, 31, v111
	s_wait_alu 0xfffd
	v_xor_b32_e32 v109, vcc_lo, v109
	v_cmp_gt_i32_e32 vcc_lo, 0, v113
	v_and_b32_e32 v21, v21, v27
	v_not_b32_e32 v27, v110
	v_ashrrev_i32_e32 v26, 31, v26
	s_wait_alu 0xf1ff
	v_xor_b32_e32 v111, s15, v111
	v_cmp_gt_i32_e64 s15, 0, v110
	v_and_b32_e32 v21, v21, v109
	v_ashrrev_i32_e32 v27, 31, v27
	s_wait_alu 0xfffd
	v_xor_b32_e32 v26, vcc_lo, v26
	v_mad_u32_u24 v109, v25, 36, v88
	v_mul_u32_u24_e32 v25, 36, v25
	v_and_b32_e32 v21, v21, v111
	s_wait_alu 0xf1ff
	v_xor_b32_e32 v27, s15, v27
	ds_load_b32 v109, v109 offset:1056
	v_add_nc_u32_e32 v112, v88, v25
	v_and_b32_e32 v21, v21, v26
	; wave barrier
	s_delay_alu instid0(VALU_DEP_1) | instskip(NEXT) | instid1(VALU_DEP_1)
	v_and_b32_e32 v21, v21, v27
	v_mbcnt_lo_u32_b32 v111, v21, 0
	v_cmp_ne_u32_e64 s15, 0, v21
	s_delay_alu instid0(VALU_DEP_2)
	v_cmp_eq_u32_e32 vcc_lo, 0, v111
	s_and_b32 s16, s15, vcc_lo
	s_wait_alu 0xfffe
	s_and_saveexec_b32 s15, s16
	s_cbranch_execz .LBB1848_92
; %bb.91:                               ;   in Loop: Header=BB1848_64 Depth=2
	s_wait_dscnt 0x0
	v_bcnt_u32_b32 v21, v21, v109
	ds_store_b32 v112, v21 offset:1056
.LBB1848_92:                            ;   in Loop: Header=BB1848_64 Depth=2
	s_wait_alu 0xfffe
	s_or_b32 exec_lo, exec_lo, s15
	v_cmp_lt_i16_e32 vcc_lo, -1, v24
	; wave barrier
	s_wait_alu 0xfffd
	v_cndmask_b32_e64 v21, -1, 0xffff8000, vcc_lo
	s_delay_alu instid0(VALU_DEP_1) | instskip(NEXT) | instid1(VALU_DEP_1)
	v_xor_b32_e32 v110, v21, v24
	v_cmp_ne_u16_e32 vcc_lo, 0x7fff, v110
	s_wait_alu 0xfffd
	v_cndmask_b32_e32 v21, 0xffff8000, v110, vcc_lo
	s_delay_alu instid0(VALU_DEP_1) | instskip(NEXT) | instid1(VALU_DEP_1)
	v_and_b32_e32 v21, 0xffff, v21
	v_lshrrev_b32_e32 v21, s23, v21
	s_delay_alu instid0(VALU_DEP_1) | instskip(NEXT) | instid1(VALU_DEP_1)
	v_and_b32_e32 v24, s42, v21
	v_and_b32_e32 v21, 1, v24
	v_lshlrev_b32_e32 v25, 30, v24
	v_lshlrev_b32_e32 v26, 29, v24
	;; [unrolled: 1-line block ×4, first 2 shown]
	v_add_co_u32 v21, s15, v21, -1
	s_wait_alu 0xf1ff
	v_cndmask_b32_e64 v113, 0, 1, s15
	v_not_b32_e32 v117, v25
	v_cmp_gt_i32_e64 s15, 0, v25
	v_not_b32_e32 v25, v26
	v_lshlrev_b32_e32 v115, 26, v24
	v_cmp_ne_u32_e32 vcc_lo, 0, v113
	v_ashrrev_i32_e32 v117, 31, v117
	v_lshlrev_b32_e32 v116, 25, v24
	v_ashrrev_i32_e32 v25, 31, v25
	v_lshlrev_b32_e32 v113, 24, v24
	s_wait_alu 0xfffd
	v_xor_b32_e32 v21, vcc_lo, v21
	v_cmp_gt_i32_e32 vcc_lo, 0, v26
	v_not_b32_e32 v26, v27
	s_wait_alu 0xf1ff
	v_xor_b32_e32 v117, s15, v117
	v_cmp_gt_i32_e64 s15, 0, v27
	v_and_b32_e32 v21, exec_lo, v21
	v_not_b32_e32 v27, v114
	v_ashrrev_i32_e32 v26, 31, v26
	s_wait_alu 0xfffd
	v_xor_b32_e32 v25, vcc_lo, v25
	v_cmp_gt_i32_e32 vcc_lo, 0, v114
	v_and_b32_e32 v21, v21, v117
	v_not_b32_e32 v114, v115
	v_ashrrev_i32_e32 v27, 31, v27
	s_wait_alu 0xf1ff
	v_xor_b32_e32 v26, s15, v26
	v_cmp_gt_i32_e64 s15, 0, v115
	v_and_b32_e32 v21, v21, v25
	v_not_b32_e32 v25, v116
	v_ashrrev_i32_e32 v114, 31, v114
	s_wait_alu 0xfffd
	v_xor_b32_e32 v27, vcc_lo, v27
	v_cmp_gt_i32_e32 vcc_lo, 0, v116
	v_and_b32_e32 v21, v21, v26
	v_not_b32_e32 v26, v113
	v_ashrrev_i32_e32 v25, 31, v25
	s_wait_alu 0xf1ff
	v_xor_b32_e32 v114, s15, v114
	v_cmp_gt_i32_e64 s15, 0, v113
	v_and_b32_e32 v21, v21, v27
	v_ashrrev_i32_e32 v26, 31, v26
	s_wait_alu 0xfffd
	v_xor_b32_e32 v25, vcc_lo, v25
	v_mad_u32_u24 v27, v24, 36, v88
	v_mul_u32_u24_e32 v24, 36, v24
	v_and_b32_e32 v21, v21, v114
	s_wait_alu 0xf1ff
	v_xor_b32_e32 v26, s15, v26
	ds_load_b32 v113, v27 offset:1056
	v_add_nc_u32_e32 v116, v88, v24
	v_and_b32_e32 v21, v21, v25
	; wave barrier
	s_delay_alu instid0(VALU_DEP_1) | instskip(NEXT) | instid1(VALU_DEP_1)
	v_and_b32_e32 v21, v21, v26
	v_mbcnt_lo_u32_b32 v115, v21, 0
	v_cmp_ne_u32_e64 s15, 0, v21
	s_delay_alu instid0(VALU_DEP_2)
	v_cmp_eq_u32_e32 vcc_lo, 0, v115
	s_and_b32 s16, s15, vcc_lo
	s_wait_alu 0xfffe
	s_and_saveexec_b32 s15, s16
	s_cbranch_execz .LBB1848_94
; %bb.93:                               ;   in Loop: Header=BB1848_64 Depth=2
	s_wait_dscnt 0x0
	v_bcnt_u32_b32 v21, v21, v113
	ds_store_b32 v116, v21 offset:1056
.LBB1848_94:                            ;   in Loop: Header=BB1848_64 Depth=2
	s_wait_alu 0xfffe
	s_or_b32 exec_lo, exec_lo, s15
	v_cmp_lt_i16_e32 vcc_lo, -1, v23
	; wave barrier
	s_wait_alu 0xfffd
	v_cndmask_b32_e64 v21, -1, 0xffff8000, vcc_lo
	s_delay_alu instid0(VALU_DEP_1) | instskip(NEXT) | instid1(VALU_DEP_1)
	v_xor_b32_e32 v114, v21, v23
	v_cmp_ne_u16_e32 vcc_lo, 0x7fff, v114
	s_wait_alu 0xfffd
	v_cndmask_b32_e32 v21, 0xffff8000, v114, vcc_lo
	s_delay_alu instid0(VALU_DEP_1) | instskip(NEXT) | instid1(VALU_DEP_1)
	v_and_b32_e32 v21, 0xffff, v21
	v_lshrrev_b32_e32 v21, s23, v21
	s_delay_alu instid0(VALU_DEP_1) | instskip(NEXT) | instid1(VALU_DEP_1)
	v_and_b32_e32 v23, s42, v21
	v_and_b32_e32 v21, 1, v23
	v_lshlrev_b32_e32 v24, 30, v23
	v_lshlrev_b32_e32 v25, 29, v23
	;; [unrolled: 1-line block ×4, first 2 shown]
	v_add_co_u32 v21, s15, v21, -1
	s_wait_alu 0xf1ff
	v_cndmask_b32_e64 v27, 0, 1, s15
	v_not_b32_e32 v120, v24
	v_cmp_gt_i32_e64 s15, 0, v24
	v_not_b32_e32 v24, v25
	v_lshlrev_b32_e32 v118, 26, v23
	v_cmp_ne_u32_e32 vcc_lo, 0, v27
	v_ashrrev_i32_e32 v120, 31, v120
	v_lshlrev_b32_e32 v119, 25, v23
	v_ashrrev_i32_e32 v24, 31, v24
	v_lshlrev_b32_e32 v27, 24, v23
	s_wait_alu 0xfffd
	v_xor_b32_e32 v21, vcc_lo, v21
	v_cmp_gt_i32_e32 vcc_lo, 0, v25
	v_not_b32_e32 v25, v26
	s_wait_alu 0xf1ff
	v_xor_b32_e32 v120, s15, v120
	v_cmp_gt_i32_e64 s15, 0, v26
	v_and_b32_e32 v21, exec_lo, v21
	v_not_b32_e32 v26, v117
	v_ashrrev_i32_e32 v25, 31, v25
	s_wait_alu 0xfffd
	v_xor_b32_e32 v24, vcc_lo, v24
	v_cmp_gt_i32_e32 vcc_lo, 0, v117
	v_and_b32_e32 v21, v21, v120
	v_not_b32_e32 v117, v118
	v_ashrrev_i32_e32 v26, 31, v26
	s_wait_alu 0xf1ff
	v_xor_b32_e32 v25, s15, v25
	v_cmp_gt_i32_e64 s15, 0, v118
	v_and_b32_e32 v21, v21, v24
	v_not_b32_e32 v24, v119
	v_ashrrev_i32_e32 v117, 31, v117
	s_wait_alu 0xfffd
	v_xor_b32_e32 v26, vcc_lo, v26
	v_cmp_gt_i32_e32 vcc_lo, 0, v119
	v_and_b32_e32 v21, v21, v25
	v_not_b32_e32 v25, v27
	v_ashrrev_i32_e32 v24, 31, v24
	s_wait_alu 0xf1ff
	v_xor_b32_e32 v117, s15, v117
	v_cmp_gt_i32_e64 s15, 0, v27
	v_and_b32_e32 v21, v21, v26
	v_ashrrev_i32_e32 v25, 31, v25
	s_wait_alu 0xfffd
	v_xor_b32_e32 v24, vcc_lo, v24
	v_mad_u32_u24 v26, v23, 36, v88
	v_mul_u32_u24_e32 v23, 36, v23
	v_and_b32_e32 v21, v21, v117
	s_wait_alu 0xf1ff
	v_xor_b32_e32 v25, s15, v25
	ds_load_b32 v117, v26 offset:1056
	v_add_nc_u32_e32 v120, v88, v23
	v_and_b32_e32 v21, v21, v24
	; wave barrier
	s_delay_alu instid0(VALU_DEP_1) | instskip(NEXT) | instid1(VALU_DEP_1)
	v_and_b32_e32 v21, v21, v25
	v_mbcnt_lo_u32_b32 v119, v21, 0
	v_cmp_ne_u32_e64 s15, 0, v21
	s_delay_alu instid0(VALU_DEP_2)
	v_cmp_eq_u32_e32 vcc_lo, 0, v119
	s_and_b32 s16, s15, vcc_lo
	s_wait_alu 0xfffe
	s_and_saveexec_b32 s15, s16
	s_cbranch_execz .LBB1848_96
; %bb.95:                               ;   in Loop: Header=BB1848_64 Depth=2
	s_wait_dscnt 0x0
	v_bcnt_u32_b32 v21, v21, v117
	ds_store_b32 v120, v21 offset:1056
.LBB1848_96:                            ;   in Loop: Header=BB1848_64 Depth=2
	s_wait_alu 0xfffe
	s_or_b32 exec_lo, exec_lo, s15
	v_cmp_lt_i16_e32 vcc_lo, -1, v22
	; wave barrier
	s_wait_alu 0xfffd
	v_cndmask_b32_e64 v21, -1, 0xffff8000, vcc_lo
	s_delay_alu instid0(VALU_DEP_1) | instskip(NEXT) | instid1(VALU_DEP_1)
	v_xor_b32_e32 v118, v21, v22
	v_cmp_ne_u16_e32 vcc_lo, 0x7fff, v118
	s_wait_alu 0xfffd
	v_cndmask_b32_e32 v21, 0xffff8000, v118, vcc_lo
	s_delay_alu instid0(VALU_DEP_1) | instskip(NEXT) | instid1(VALU_DEP_1)
	v_and_b32_e32 v21, 0xffff, v21
	v_lshrrev_b32_e32 v21, s23, v21
	s_delay_alu instid0(VALU_DEP_1) | instskip(NEXT) | instid1(VALU_DEP_1)
	v_and_b32_e32 v22, s42, v21
	v_and_b32_e32 v21, 1, v22
	v_lshlrev_b32_e32 v23, 30, v22
	v_lshlrev_b32_e32 v24, 29, v22
	;; [unrolled: 1-line block ×4, first 2 shown]
	v_add_co_u32 v21, s15, v21, -1
	s_wait_alu 0xf1ff
	v_cndmask_b32_e64 v26, 0, 1, s15
	v_not_b32_e32 v123, v23
	v_cmp_gt_i32_e64 s15, 0, v23
	v_not_b32_e32 v23, v24
	v_lshlrev_b32_e32 v121, 26, v22
	v_cmp_ne_u32_e32 vcc_lo, 0, v26
	v_ashrrev_i32_e32 v123, 31, v123
	v_lshlrev_b32_e32 v122, 25, v22
	v_ashrrev_i32_e32 v23, 31, v23
	v_lshlrev_b32_e32 v26, 24, v22
	s_wait_alu 0xfffd
	v_xor_b32_e32 v21, vcc_lo, v21
	v_cmp_gt_i32_e32 vcc_lo, 0, v24
	v_not_b32_e32 v24, v25
	s_wait_alu 0xf1ff
	v_xor_b32_e32 v123, s15, v123
	v_cmp_gt_i32_e64 s15, 0, v25
	v_and_b32_e32 v21, exec_lo, v21
	v_not_b32_e32 v25, v27
	v_ashrrev_i32_e32 v24, 31, v24
	s_wait_alu 0xfffd
	v_xor_b32_e32 v23, vcc_lo, v23
	v_cmp_gt_i32_e32 vcc_lo, 0, v27
	v_and_b32_e32 v21, v21, v123
	v_not_b32_e32 v27, v121
	v_ashrrev_i32_e32 v25, 31, v25
	s_wait_alu 0xf1ff
	v_xor_b32_e32 v24, s15, v24
	v_cmp_gt_i32_e64 s15, 0, v121
	v_and_b32_e32 v21, v21, v23
	v_not_b32_e32 v23, v122
	v_ashrrev_i32_e32 v27, 31, v27
	s_wait_alu 0xfffd
	v_xor_b32_e32 v25, vcc_lo, v25
	v_cmp_gt_i32_e32 vcc_lo, 0, v122
	v_and_b32_e32 v21, v21, v24
	v_not_b32_e32 v24, v26
	v_ashrrev_i32_e32 v23, 31, v23
	s_wait_alu 0xf1ff
	v_xor_b32_e32 v27, s15, v27
	v_cmp_gt_i32_e64 s15, 0, v26
	v_and_b32_e32 v21, v21, v25
	v_ashrrev_i32_e32 v24, 31, v24
	s_wait_alu 0xfffd
	v_xor_b32_e32 v23, vcc_lo, v23
	v_mad_u32_u24 v25, v22, 36, v88
	v_mul_u32_u24_e32 v22, 36, v22
	v_and_b32_e32 v21, v21, v27
	s_wait_alu 0xf1ff
	v_xor_b32_e32 v24, s15, v24
	ds_load_b32 v121, v25 offset:1056
	v_add_nc_u32_e32 v124, v88, v22
	v_and_b32_e32 v21, v21, v23
	; wave barrier
	s_delay_alu instid0(VALU_DEP_1) | instskip(NEXT) | instid1(VALU_DEP_1)
	v_and_b32_e32 v21, v21, v24
	v_mbcnt_lo_u32_b32 v122, v21, 0
	v_cmp_ne_u32_e64 s15, 0, v21
	s_delay_alu instid0(VALU_DEP_2)
	v_cmp_eq_u32_e32 vcc_lo, 0, v122
	s_and_b32 s16, s15, vcc_lo
	s_wait_alu 0xfffe
	s_and_saveexec_b32 s15, s16
	s_cbranch_execz .LBB1848_98
; %bb.97:                               ;   in Loop: Header=BB1848_64 Depth=2
	s_wait_dscnt 0x0
	v_bcnt_u32_b32 v21, v21, v121
	ds_store_b32 v124, v21 offset:1056
.LBB1848_98:                            ;   in Loop: Header=BB1848_64 Depth=2
	s_wait_alu 0xfffe
	s_or_b32 exec_lo, exec_lo, s15
	v_cmp_lt_i16_e32 vcc_lo, -1, v20
	; wave barrier
	s_wait_alu 0xfffd
	v_cndmask_b32_e64 v21, -1, 0xffff8000, vcc_lo
	s_delay_alu instid0(VALU_DEP_1) | instskip(NEXT) | instid1(VALU_DEP_1)
	v_xor_b32_e32 v123, v21, v20
	v_cmp_ne_u16_e32 vcc_lo, 0x7fff, v123
	s_wait_alu 0xfffd
	v_cndmask_b32_e32 v20, 0xffff8000, v123, vcc_lo
	s_delay_alu instid0(VALU_DEP_1) | instskip(NEXT) | instid1(VALU_DEP_1)
	v_and_b32_e32 v20, 0xffff, v20
	v_lshrrev_b32_e32 v20, s23, v20
	s_delay_alu instid0(VALU_DEP_1) | instskip(NEXT) | instid1(VALU_DEP_1)
	v_and_b32_e32 v21, s42, v20
	v_and_b32_e32 v20, 1, v21
	v_lshlrev_b32_e32 v22, 30, v21
	v_lshlrev_b32_e32 v23, 29, v21
	;; [unrolled: 1-line block ×4, first 2 shown]
	v_add_co_u32 v20, s15, v20, -1
	s_wait_alu 0xf1ff
	v_cndmask_b32_e64 v25, 0, 1, s15
	v_not_b32_e32 v126, v22
	v_cmp_gt_i32_e64 s15, 0, v22
	v_not_b32_e32 v22, v23
	v_lshlrev_b32_e32 v27, 26, v21
	v_cmp_ne_u32_e32 vcc_lo, 0, v25
	v_ashrrev_i32_e32 v126, 31, v126
	v_lshlrev_b32_e32 v125, 25, v21
	v_ashrrev_i32_e32 v22, 31, v22
	v_lshlrev_b32_e32 v25, 24, v21
	s_wait_alu 0xfffd
	v_xor_b32_e32 v20, vcc_lo, v20
	v_cmp_gt_i32_e32 vcc_lo, 0, v23
	v_not_b32_e32 v23, v24
	s_wait_alu 0xf1ff
	v_xor_b32_e32 v126, s15, v126
	v_cmp_gt_i32_e64 s15, 0, v24
	v_and_b32_e32 v20, exec_lo, v20
	v_not_b32_e32 v24, v26
	v_ashrrev_i32_e32 v23, 31, v23
	s_wait_alu 0xfffd
	v_xor_b32_e32 v22, vcc_lo, v22
	v_cmp_gt_i32_e32 vcc_lo, 0, v26
	v_and_b32_e32 v20, v20, v126
	v_not_b32_e32 v26, v27
	v_ashrrev_i32_e32 v24, 31, v24
	s_wait_alu 0xf1ff
	v_xor_b32_e32 v23, s15, v23
	v_cmp_gt_i32_e64 s15, 0, v27
	v_and_b32_e32 v20, v20, v22
	v_not_b32_e32 v22, v125
	v_ashrrev_i32_e32 v26, 31, v26
	s_wait_alu 0xfffd
	v_xor_b32_e32 v24, vcc_lo, v24
	v_cmp_gt_i32_e32 vcc_lo, 0, v125
	v_and_b32_e32 v20, v20, v23
	v_not_b32_e32 v23, v25
	v_ashrrev_i32_e32 v22, 31, v22
	s_wait_alu 0xf1ff
	v_xor_b32_e32 v26, s15, v26
	v_cmp_gt_i32_e64 s15, 0, v25
	v_and_b32_e32 v20, v20, v24
	v_ashrrev_i32_e32 v23, 31, v23
	s_wait_alu 0xfffd
	v_xor_b32_e32 v22, vcc_lo, v22
	v_mad_u32_u24 v24, v21, 36, v88
	v_mul_u32_u24_e32 v21, 36, v21
	v_and_b32_e32 v20, v20, v26
	s_wait_alu 0xf1ff
	v_xor_b32_e32 v23, s15, v23
	ds_load_b32 v125, v24 offset:1056
	v_add_nc_u32_e32 v127, v88, v21
	v_and_b32_e32 v20, v20, v22
	; wave barrier
	s_delay_alu instid0(VALU_DEP_1) | instskip(NEXT) | instid1(VALU_DEP_1)
	v_and_b32_e32 v20, v20, v23
	v_mbcnt_lo_u32_b32 v126, v20, 0
	v_cmp_ne_u32_e64 s15, 0, v20
	s_delay_alu instid0(VALU_DEP_2)
	v_cmp_eq_u32_e32 vcc_lo, 0, v126
	s_and_b32 s16, s15, vcc_lo
	s_wait_alu 0xfffe
	s_and_saveexec_b32 s15, s16
	s_cbranch_execz .LBB1848_100
; %bb.99:                               ;   in Loop: Header=BB1848_64 Depth=2
	s_wait_dscnt 0x0
	v_bcnt_u32_b32 v20, v20, v125
	ds_store_b32 v127, v20 offset:1056
.LBB1848_100:                           ;   in Loop: Header=BB1848_64 Depth=2
	s_wait_alu 0xfffe
	s_or_b32 exec_lo, exec_lo, s15
	; wave barrier
	s_wait_loadcnt_dscnt 0x0
	s_barrier_signal -1
	s_barrier_wait -1
	global_inv scope:SCOPE_SE
	ds_load_2addr_b32 v[26:27], v78 offset1:1
	ds_load_2addr_b32 v[24:25], v79 offset1:1
	;; [unrolled: 1-line block ×4, first 2 shown]
	ds_load_b32 v128, v43 offset:1088
	s_wait_dscnt 0x3
	v_add3_u32 v129, v27, v26, v24
	s_wait_dscnt 0x2
	s_delay_alu instid0(VALU_DEP_1) | instskip(SKIP_1) | instid1(VALU_DEP_1)
	v_add3_u32 v129, v129, v25, v22
	s_wait_dscnt 0x1
	v_add3_u32 v129, v129, v23, v20
	s_wait_dscnt 0x0
	s_delay_alu instid0(VALU_DEP_1) | instskip(NEXT) | instid1(VALU_DEP_1)
	v_add3_u32 v128, v129, v21, v128
	v_mov_b32_dpp v129, v128 row_shr:1 row_mask:0xf bank_mask:0xf
	s_delay_alu instid0(VALU_DEP_1) | instskip(NEXT) | instid1(VALU_DEP_1)
	v_cndmask_b32_e64 v129, v129, 0, s0
	v_add_nc_u32_e32 v128, v129, v128
	s_delay_alu instid0(VALU_DEP_1) | instskip(NEXT) | instid1(VALU_DEP_1)
	v_mov_b32_dpp v129, v128 row_shr:2 row_mask:0xf bank_mask:0xf
	v_cndmask_b32_e64 v129, 0, v129, s1
	s_delay_alu instid0(VALU_DEP_1) | instskip(NEXT) | instid1(VALU_DEP_1)
	v_add_nc_u32_e32 v128, v128, v129
	v_mov_b32_dpp v129, v128 row_shr:4 row_mask:0xf bank_mask:0xf
	s_delay_alu instid0(VALU_DEP_1) | instskip(NEXT) | instid1(VALU_DEP_1)
	v_cndmask_b32_e64 v129, 0, v129, s9
	v_add_nc_u32_e32 v128, v128, v129
	s_delay_alu instid0(VALU_DEP_1) | instskip(NEXT) | instid1(VALU_DEP_1)
	v_mov_b32_dpp v129, v128 row_shr:8 row_mask:0xf bank_mask:0xf
	v_cndmask_b32_e64 v129, 0, v129, s10
	s_delay_alu instid0(VALU_DEP_1) | instskip(SKIP_3) | instid1(VALU_DEP_1)
	v_add_nc_u32_e32 v128, v128, v129
	ds_swizzle_b32 v129, v128 offset:swizzle(BROADCAST,32,15)
	s_wait_dscnt 0x0
	v_cndmask_b32_e64 v129, v129, 0, s11
	v_add_nc_u32_e32 v128, v128, v129
	s_and_saveexec_b32 s15, s3
; %bb.101:                              ;   in Loop: Header=BB1848_64 Depth=2
	ds_store_b32 v38, v128 offset:1024
; %bb.102:                              ;   in Loop: Header=BB1848_64 Depth=2
	s_wait_alu 0xfffe
	s_or_b32 exec_lo, exec_lo, s15
	s_wait_loadcnt_dscnt 0x0
	s_barrier_signal -1
	s_barrier_wait -1
	global_inv scope:SCOPE_SE
	s_and_saveexec_b32 s15, s4
	s_cbranch_execz .LBB1848_104
; %bb.103:                              ;   in Loop: Header=BB1848_64 Depth=2
	ds_load_b32 v129, v46 offset:1024
	s_wait_dscnt 0x0
	v_mov_b32_dpp v130, v129 row_shr:1 row_mask:0xf bank_mask:0xf
	s_delay_alu instid0(VALU_DEP_1) | instskip(NEXT) | instid1(VALU_DEP_1)
	v_cndmask_b32_e64 v130, v130, 0, s12
	v_add_nc_u32_e32 v129, v130, v129
	s_delay_alu instid0(VALU_DEP_1) | instskip(NEXT) | instid1(VALU_DEP_1)
	v_mov_b32_dpp v130, v129 row_shr:2 row_mask:0xf bank_mask:0xf
	v_cndmask_b32_e64 v130, 0, v130, s13
	s_delay_alu instid0(VALU_DEP_1) | instskip(NEXT) | instid1(VALU_DEP_1)
	v_add_nc_u32_e32 v129, v129, v130
	v_mov_b32_dpp v130, v129 row_shr:4 row_mask:0xf bank_mask:0xf
	s_delay_alu instid0(VALU_DEP_1) | instskip(NEXT) | instid1(VALU_DEP_1)
	v_cndmask_b32_e64 v130, 0, v130, s14
	v_add_nc_u32_e32 v129, v129, v130
	ds_store_b32 v46, v129 offset:1024
.LBB1848_104:                           ;   in Loop: Header=BB1848_64 Depth=2
	s_wait_alu 0xfffe
	s_or_b32 exec_lo, exec_lo, s15
	v_mov_b32_e32 v129, 0
	s_wait_loadcnt_dscnt 0x0
	s_barrier_signal -1
	s_barrier_wait -1
	global_inv scope:SCOPE_SE
	s_and_saveexec_b32 s15, s5
; %bb.105:                              ;   in Loop: Header=BB1848_64 Depth=2
	ds_load_b32 v129, v38 offset:1020
; %bb.106:                              ;   in Loop: Header=BB1848_64 Depth=2
	s_wait_alu 0xfffe
	s_or_b32 exec_lo, exec_lo, s15
	s_wait_dscnt 0x0
	v_add_nc_u32_e32 v128, v129, v128
	ds_bpermute_b32 v128, v87, v128
	s_wait_dscnt 0x0
	v_cndmask_b32_e64 v128, v128, v129, s8
	s_delay_alu instid0(VALU_DEP_1) | instskip(NEXT) | instid1(VALU_DEP_1)
	v_cndmask_b32_e64 v128, v128, 0, s6
	v_add_nc_u32_e32 v26, v128, v26
	s_delay_alu instid0(VALU_DEP_1) | instskip(NEXT) | instid1(VALU_DEP_1)
	v_add_nc_u32_e32 v27, v26, v27
	v_add_nc_u32_e32 v24, v27, v24
	s_delay_alu instid0(VALU_DEP_1) | instskip(NEXT) | instid1(VALU_DEP_1)
	v_add_nc_u32_e32 v25, v24, v25
	;; [unrolled: 3-line block ×3, first 2 shown]
	v_add_nc_u32_e32 v20, v23, v20
	s_delay_alu instid0(VALU_DEP_1)
	v_add_nc_u32_e32 v21, v20, v21
	ds_store_2addr_b32 v81, v23, v20 offset1:1
	ds_store_2addr_b32 v78, v128, v26 offset1:1
	;; [unrolled: 1-line block ×4, first 2 shown]
	ds_store_b32 v43, v21 offset:1088
	s_wait_loadcnt_dscnt 0x0
	s_barrier_signal -1
	s_barrier_wait -1
	global_inv scope:SCOPE_SE
	ds_load_b32 v23, v100 offset:1056
	ds_load_b32 v24, v104 offset:1056
	;; [unrolled: 1-line block ×9, first 2 shown]
	v_mov_b32_e32 v22, 0x800
	s_and_saveexec_b32 s15, s7
; %bb.107:                              ;   in Loop: Header=BB1848_64 Depth=2
	ds_load_b32 v22, v43 offset:1092
; %bb.108:                              ;   in Loop: Header=BB1848_64 Depth=2
	s_wait_alu 0xfffe
	s_or_b32 exec_lo, exec_lo, s15
	s_wait_loadcnt_dscnt 0x0
	s_barrier_signal -1
	s_barrier_wait -1
	global_inv scope:SCOPE_SE
	s_and_saveexec_b32 s15, s2
	s_cbranch_execz .LBB1848_110
; %bb.109:                              ;   in Loop: Header=BB1848_64 Depth=2
	ds_load_b32 v104, v28
	s_wait_dscnt 0x0
	v_sub_nc_u32_e32 v100, v104, v100
	ds_store_b32 v28, v100
.LBB1848_110:                           ;   in Loop: Header=BB1848_64 Depth=2
	s_wait_alu 0xfffe
	s_or_b32 exec_lo, exec_lo, s15
	v_add_nc_u32_e32 v104, v23, v98
	v_add3_u32 v100, v102, v101, v24
	v_add3_u32 v98, v107, v105, v25
	;; [unrolled: 1-line block ×4, first 2 shown]
	v_lshlrev_b32_e32 v101, 1, v104
	v_lshlrev_b32_e32 v102, 1, v100
	v_add3_u32 v23, v119, v117, v108
	v_lshlrev_b32_e32 v105, 1, v98
	v_add3_u32 v27, v122, v121, v20
	v_add3_u32 v26, v126, v125, v21
	ds_store_b16 v101, v2 offset:1024
	ds_store_b16 v102, v99 offset:1024
	;; [unrolled: 1-line block ×3, first 2 shown]
	v_lshlrev_b32_e32 v2, 1, v25
	v_cmp_lt_u32_e32 vcc_lo, v1, v97
	v_lshlrev_b32_e32 v20, 1, v24
	v_lshlrev_b32_e32 v21, 1, v23
	;; [unrolled: 1-line block ×4, first 2 shown]
	ds_store_b16 v2, v106 offset:1024
	ds_store_b16 v20, v110 offset:1024
	;; [unrolled: 1-line block ×5, first 2 shown]
	s_wait_loadcnt_dscnt 0x0
	s_barrier_signal -1
	s_barrier_wait -1
	global_inv scope:SCOPE_SE
	s_and_saveexec_b32 s16, vcc_lo
	s_cbranch_execnz .LBB1848_147
; %bb.111:                              ;   in Loop: Header=BB1848_64 Depth=2
	s_wait_alu 0xfffe
	s_or_b32 exec_lo, exec_lo, s16
	v_cmp_lt_u32_e64 s15, v29, v97
	s_and_saveexec_b32 s17, s15
	s_cbranch_execnz .LBB1848_148
.LBB1848_112:                           ;   in Loop: Header=BB1848_64 Depth=2
	s_wait_alu 0xfffe
	s_or_b32 exec_lo, exec_lo, s17
	v_cmp_lt_u32_e64 s16, v30, v97
	s_and_saveexec_b32 s18, s16
	s_cbranch_execnz .LBB1848_149
.LBB1848_113:                           ;   in Loop: Header=BB1848_64 Depth=2
	s_wait_alu 0xfffe
	s_or_b32 exec_lo, exec_lo, s18
	v_cmp_lt_u32_e64 s17, v31, v97
	s_and_saveexec_b32 s19, s17
	s_cbranch_execnz .LBB1848_150
.LBB1848_114:                           ;   in Loop: Header=BB1848_64 Depth=2
	s_wait_alu 0xfffe
	s_or_b32 exec_lo, exec_lo, s19
	v_cmp_lt_u32_e64 s18, v34, v97
	s_and_saveexec_b32 s20, s18
	s_cbranch_execnz .LBB1848_151
.LBB1848_115:                           ;   in Loop: Header=BB1848_64 Depth=2
	s_wait_alu 0xfffe
	s_or_b32 exec_lo, exec_lo, s20
	v_cmp_lt_u32_e64 s19, v35, v97
	s_and_saveexec_b32 s21, s19
	s_cbranch_execnz .LBB1848_152
.LBB1848_116:                           ;   in Loop: Header=BB1848_64 Depth=2
	s_wait_alu 0xfffe
	s_or_b32 exec_lo, exec_lo, s21
	v_cmp_lt_u32_e64 s20, v36, v97
	s_and_saveexec_b32 s22, s20
	s_cbranch_execnz .LBB1848_153
.LBB1848_117:                           ;   in Loop: Header=BB1848_64 Depth=2
	s_wait_alu 0xfffe
	s_or_b32 exec_lo, exec_lo, s22
	v_cmp_lt_u32_e64 s21, v37, v97
	s_and_saveexec_b32 s48, s21
	s_cbranch_execz .LBB1848_119
.LBB1848_118:                           ;   in Loop: Header=BB1848_64 Depth=2
	ds_load_u16 v99, v47 offset:4608
	s_wait_dscnt 0x0
	v_cmp_ne_u16_e64 s22, 0x7fff, v99
	s_wait_alu 0xf1ff
	s_delay_alu instid0(VALU_DEP_1) | instskip(SKIP_1) | instid1(VALU_DEP_2)
	v_cndmask_b32_e64 v2, 0xffff8000, v99, s22
	v_cmp_lt_i16_e64 s22, -1, v99
	v_and_b32_e32 v2, 0xffff, v2
	s_wait_alu 0xf1ff
	s_delay_alu instid0(VALU_DEP_2) | instskip(NEXT) | instid1(VALU_DEP_2)
	v_cndmask_b32_e64 v101, 0xffff8000, -1, s22
	v_lshrrev_b32_e32 v2, s23, v2
	s_delay_alu instid0(VALU_DEP_1) | instskip(NEXT) | instid1(VALU_DEP_1)
	v_and_b32_e32 v2, s42, v2
	v_lshlrev_b32_e32 v2, 2, v2
	ds_load_b32 v2, v2
	s_wait_dscnt 0x0
	v_add_nc_u32_e32 v2, v2, v37
	s_delay_alu instid0(VALU_DEP_1) | instskip(SKIP_1) | instid1(VALU_DEP_2)
	v_lshlrev_b64_e32 v[20:21], 1, v[2:3]
	v_xor_b32_e32 v2, v101, v99
	v_add_co_u32 v20, s22, s38, v20
	s_wait_alu 0xf1ff
	s_delay_alu instid0(VALU_DEP_3)
	v_add_co_ci_u32_e64 v21, null, s39, v21, s22
	global_store_b16 v[20:21], v2, off
.LBB1848_119:                           ;   in Loop: Header=BB1848_64 Depth=2
	s_wait_alu 0xfffe
	s_or_b32 exec_lo, exec_lo, s48
	s_lshl_b64 s[48:49], s[30:31], 3
	s_wait_alu 0xfffe
	v_add_co_u32 v20, s22, v83, s48
	s_wait_alu 0xf1ff
	v_add_co_ci_u32_e64 v21, null, s49, v84, s22
	v_cmp_lt_u32_e64 s22, v66, v97
	s_and_saveexec_b32 s30, s22
	s_wait_alu 0xfffe
	s_xor_b32 s22, exec_lo, s30
	s_cbranch_execnz .LBB1848_154
; %bb.120:                              ;   in Loop: Header=BB1848_64 Depth=2
	s_wait_alu 0xfffe
	s_or_b32 exec_lo, exec_lo, s22
	s_delay_alu instid0(SALU_CYCLE_1)
	s_mov_b32 s30, exec_lo
	v_cmpx_lt_u32_e64 v70, v97
	s_cbranch_execnz .LBB1848_155
.LBB1848_121:                           ;   in Loop: Header=BB1848_64 Depth=2
	s_wait_alu 0xfffe
	s_or_b32 exec_lo, exec_lo, s30
	s_delay_alu instid0(SALU_CYCLE_1)
	s_mov_b32 s30, exec_lo
	v_cmpx_lt_u32_e64 v71, v97
	s_cbranch_execnz .LBB1848_156
.LBB1848_122:                           ;   in Loop: Header=BB1848_64 Depth=2
	s_wait_alu 0xfffe
	s_or_b32 exec_lo, exec_lo, s30
	s_delay_alu instid0(SALU_CYCLE_1)
	s_mov_b32 s30, exec_lo
	v_cmpx_lt_u32_e64 v72, v97
	s_cbranch_execnz .LBB1848_157
.LBB1848_123:                           ;   in Loop: Header=BB1848_64 Depth=2
	s_wait_alu 0xfffe
	s_or_b32 exec_lo, exec_lo, s30
	s_delay_alu instid0(SALU_CYCLE_1)
	s_mov_b32 s30, exec_lo
	v_cmpx_lt_u32_e64 v73, v97
	s_cbranch_execnz .LBB1848_158
.LBB1848_124:                           ;   in Loop: Header=BB1848_64 Depth=2
	s_wait_alu 0xfffe
	s_or_b32 exec_lo, exec_lo, s30
	s_delay_alu instid0(SALU_CYCLE_1)
	s_mov_b32 s30, exec_lo
	v_cmpx_lt_u32_e64 v74, v97
	s_cbranch_execnz .LBB1848_159
.LBB1848_125:                           ;   in Loop: Header=BB1848_64 Depth=2
	s_wait_alu 0xfffe
	s_or_b32 exec_lo, exec_lo, s30
	s_delay_alu instid0(SALU_CYCLE_1)
	s_mov_b32 s30, exec_lo
	v_cmpx_lt_u32_e64 v75, v97
	s_cbranch_execnz .LBB1848_160
.LBB1848_126:                           ;   in Loop: Header=BB1848_64 Depth=2
	s_wait_alu 0xfffe
	s_or_b32 exec_lo, exec_lo, s30
	s_delay_alu instid0(SALU_CYCLE_1)
	s_mov_b32 s30, exec_lo
	v_cmpx_lt_u32_e64 v76, v97
	s_cbranch_execnz .LBB1848_161
.LBB1848_127:                           ;   in Loop: Header=BB1848_64 Depth=2
	s_wait_alu 0xfffe
	s_or_b32 exec_lo, exec_lo, s30
	s_and_saveexec_b32 s30, vcc_lo
	s_cbranch_execnz .LBB1848_162
.LBB1848_128:                           ;   in Loop: Header=BB1848_64 Depth=2
	s_wait_alu 0xfffe
	s_or_b32 exec_lo, exec_lo, s30
	s_and_saveexec_b32 s30, s15
	s_cbranch_execnz .LBB1848_163
.LBB1848_129:                           ;   in Loop: Header=BB1848_64 Depth=2
	s_wait_alu 0xfffe
	s_or_b32 exec_lo, exec_lo, s30
	s_and_saveexec_b32 s30, s16
	s_cbranch_execnz .LBB1848_164
.LBB1848_130:                           ;   in Loop: Header=BB1848_64 Depth=2
	s_wait_alu 0xfffe
	s_or_b32 exec_lo, exec_lo, s30
	s_and_saveexec_b32 s30, s17
	s_cbranch_execnz .LBB1848_165
.LBB1848_131:                           ;   in Loop: Header=BB1848_64 Depth=2
	s_wait_alu 0xfffe
	s_or_b32 exec_lo, exec_lo, s30
	s_and_saveexec_b32 s30, s18
	s_cbranch_execnz .LBB1848_166
.LBB1848_132:                           ;   in Loop: Header=BB1848_64 Depth=2
	s_wait_alu 0xfffe
	s_or_b32 exec_lo, exec_lo, s30
	s_and_saveexec_b32 s30, s19
	s_cbranch_execnz .LBB1848_167
.LBB1848_133:                           ;   in Loop: Header=BB1848_64 Depth=2
	s_wait_alu 0xfffe
	s_or_b32 exec_lo, exec_lo, s30
	s_and_saveexec_b32 s30, s20
	s_cbranch_execnz .LBB1848_168
.LBB1848_134:                           ;   in Loop: Header=BB1848_64 Depth=2
	s_wait_alu 0xfffe
	s_or_b32 exec_lo, exec_lo, s30
	s_and_saveexec_b32 s30, s21
	s_cbranch_execz .LBB1848_136
.LBB1848_135:                           ;   in Loop: Header=BB1848_64 Depth=2
	ds_load_u16 v2, v47 offset:4608
	s_wait_dscnt 0x0
	v_cmp_ne_u16_e64 s22, 0x7fff, v2
	s_wait_alu 0xf1ff
	s_delay_alu instid0(VALU_DEP_1) | instskip(NEXT) | instid1(VALU_DEP_1)
	v_cndmask_b32_e64 v2, 0xffff8000, v2, s22
	v_and_b32_e32 v2, 0xffff, v2
	s_delay_alu instid0(VALU_DEP_1) | instskip(NEXT) | instid1(VALU_DEP_1)
	v_lshrrev_b32_e32 v2, s23, v2
	v_and_b32_e32 v89, s42, v2
.LBB1848_136:                           ;   in Loop: Header=BB1848_64 Depth=2
	s_wait_alu 0xfffe
	s_or_b32 exec_lo, exec_lo, s30
	v_lshlrev_b32_e32 v2, 3, v104
	v_lshlrev_b32_e32 v20, 3, v100
	;; [unrolled: 1-line block ×3, first 2 shown]
	s_wait_loadcnt 0x0
	s_wait_storecnt 0x0
	s_barrier_signal -1
	s_barrier_wait -1
	global_inv scope:SCOPE_SE
	ds_store_b64 v2, v[18:19] offset:1024
	ds_store_b64 v20, v[16:17] offset:1024
	;; [unrolled: 1-line block ×3, first 2 shown]
	v_lshlrev_b32_e32 v2, 3, v25
	v_lshlrev_b32_e32 v20, 3, v24
	;; [unrolled: 1-line block ×5, first 2 shown]
	ds_store_b64 v2, v[12:13] offset:1024
	ds_store_b64 v20, v[10:11] offset:1024
	;; [unrolled: 1-line block ×5, first 2 shown]
	s_wait_loadcnt_dscnt 0x0
	s_barrier_signal -1
	s_barrier_wait -1
	global_inv scope:SCOPE_SE
	s_and_saveexec_b32 s22, vcc_lo
	s_cbranch_execnz .LBB1848_169
; %bb.137:                              ;   in Loop: Header=BB1848_64 Depth=2
	s_wait_alu 0xfffe
	s_or_b32 exec_lo, exec_lo, s22
	s_and_saveexec_b32 s22, s15
	s_cbranch_execnz .LBB1848_170
.LBB1848_138:                           ;   in Loop: Header=BB1848_64 Depth=2
	s_wait_alu 0xfffe
	s_or_b32 exec_lo, exec_lo, s22
	s_and_saveexec_b32 s15, s16
	s_cbranch_execnz .LBB1848_171
.LBB1848_139:                           ;   in Loop: Header=BB1848_64 Depth=2
	s_wait_alu 0xfffe
	s_or_b32 exec_lo, exec_lo, s15
	s_and_saveexec_b32 s15, s17
	s_cbranch_execnz .LBB1848_172
.LBB1848_140:                           ;   in Loop: Header=BB1848_64 Depth=2
	s_wait_alu 0xfffe
	s_or_b32 exec_lo, exec_lo, s15
	s_and_saveexec_b32 s15, s18
	s_cbranch_execnz .LBB1848_173
.LBB1848_141:                           ;   in Loop: Header=BB1848_64 Depth=2
	s_wait_alu 0xfffe
	s_or_b32 exec_lo, exec_lo, s15
	s_and_saveexec_b32 s15, s19
	s_cbranch_execnz .LBB1848_174
.LBB1848_142:                           ;   in Loop: Header=BB1848_64 Depth=2
	s_wait_alu 0xfffe
	s_or_b32 exec_lo, exec_lo, s15
	s_and_saveexec_b32 s15, s20
	s_cbranch_execnz .LBB1848_175
.LBB1848_143:                           ;   in Loop: Header=BB1848_64 Depth=2
	s_wait_alu 0xfffe
	s_or_b32 exec_lo, exec_lo, s15
	s_and_saveexec_b32 s15, s21
	s_cbranch_execz .LBB1848_145
.LBB1848_144:                           ;   in Loop: Header=BB1848_64 Depth=2
	v_lshlrev_b32_e32 v2, 2, v89
	v_add_nc_u32_e32 v20, v47, v48
	ds_load_b32 v2, v2
	ds_load_b64 v[20:21], v20 offset:15360
	s_wait_dscnt 0x1
	v_add_nc_u32_e32 v2, v2, v37
	s_delay_alu instid0(VALU_DEP_1) | instskip(NEXT) | instid1(VALU_DEP_1)
	v_lshlrev_b64_e32 v[23:24], 3, v[2:3]
	v_add_co_u32 v23, vcc_lo, s24, v23
	s_wait_alu 0xfffd
	s_delay_alu instid0(VALU_DEP_2)
	v_add_co_ci_u32_e64 v24, null, s25, v24, vcc_lo
	s_wait_dscnt 0x0
	global_store_b64 v[23:24], v[20:21], off
.LBB1848_145:                           ;   in Loop: Header=BB1848_64 Depth=2
	s_wait_alu 0xfffe
	s_or_b32 exec_lo, exec_lo, s15
	s_wait_loadcnt 0x0
	s_wait_storecnt 0x0
	s_barrier_signal -1
	s_barrier_wait -1
	global_inv scope:SCOPE_SE
	s_and_saveexec_b32 s15, s2
	s_cbranch_execz .LBB1848_63
; %bb.146:                              ;   in Loop: Header=BB1848_64 Depth=2
	ds_load_b32 v2, v28
	s_wait_dscnt 0x0
	v_add_nc_u32_e32 v2, v2, v22
	ds_store_b32 v28, v2
	s_branch .LBB1848_63
.LBB1848_147:                           ;   in Loop: Header=BB1848_64 Depth=2
	ds_load_u16 v99, v47 offset:1024
	s_wait_dscnt 0x0
	v_cmp_ne_u16_e64 s15, 0x7fff, v99
	s_wait_alu 0xf1ff
	s_delay_alu instid0(VALU_DEP_1) | instskip(SKIP_1) | instid1(VALU_DEP_2)
	v_cndmask_b32_e64 v2, 0xffff8000, v99, s15
	v_cmp_lt_i16_e64 s15, -1, v99
	v_and_b32_e32 v2, 0xffff, v2
	s_wait_alu 0xf1ff
	s_delay_alu instid0(VALU_DEP_2) | instskip(NEXT) | instid1(VALU_DEP_2)
	v_cndmask_b32_e64 v101, 0xffff8000, -1, s15
	v_lshrrev_b32_e32 v2, s23, v2
	s_delay_alu instid0(VALU_DEP_1) | instskip(NEXT) | instid1(VALU_DEP_1)
	v_and_b32_e32 v2, s42, v2
	v_lshlrev_b32_e32 v2, 2, v2
	ds_load_b32 v2, v2
	s_wait_dscnt 0x0
	v_add_nc_u32_e32 v2, v2, v1
	s_delay_alu instid0(VALU_DEP_1) | instskip(SKIP_1) | instid1(VALU_DEP_2)
	v_lshlrev_b64_e32 v[20:21], 1, v[2:3]
	v_xor_b32_e32 v2, v101, v99
	v_add_co_u32 v20, s15, s38, v20
	s_wait_alu 0xf1ff
	s_delay_alu instid0(VALU_DEP_3)
	v_add_co_ci_u32_e64 v21, null, s39, v21, s15
	global_store_b16 v[20:21], v2, off
	s_wait_alu 0xfffe
	s_or_b32 exec_lo, exec_lo, s16
	v_cmp_lt_u32_e64 s15, v29, v97
	s_and_saveexec_b32 s17, s15
	s_cbranch_execz .LBB1848_112
.LBB1848_148:                           ;   in Loop: Header=BB1848_64 Depth=2
	ds_load_u16 v99, v47 offset:1536
	s_wait_dscnt 0x0
	v_cmp_ne_u16_e64 s16, 0x7fff, v99
	s_wait_alu 0xf1ff
	s_delay_alu instid0(VALU_DEP_1) | instskip(SKIP_1) | instid1(VALU_DEP_2)
	v_cndmask_b32_e64 v2, 0xffff8000, v99, s16
	v_cmp_lt_i16_e64 s16, -1, v99
	v_and_b32_e32 v2, 0xffff, v2
	s_wait_alu 0xf1ff
	s_delay_alu instid0(VALU_DEP_2) | instskip(NEXT) | instid1(VALU_DEP_2)
	v_cndmask_b32_e64 v101, 0xffff8000, -1, s16
	v_lshrrev_b32_e32 v2, s23, v2
	s_delay_alu instid0(VALU_DEP_1) | instskip(NEXT) | instid1(VALU_DEP_1)
	v_and_b32_e32 v2, s42, v2
	v_lshlrev_b32_e32 v2, 2, v2
	ds_load_b32 v2, v2
	s_wait_dscnt 0x0
	v_add_nc_u32_e32 v2, v2, v29
	s_delay_alu instid0(VALU_DEP_1) | instskip(SKIP_1) | instid1(VALU_DEP_2)
	v_lshlrev_b64_e32 v[20:21], 1, v[2:3]
	v_xor_b32_e32 v2, v101, v99
	v_add_co_u32 v20, s16, s38, v20
	s_wait_alu 0xf1ff
	s_delay_alu instid0(VALU_DEP_3)
	v_add_co_ci_u32_e64 v21, null, s39, v21, s16
	global_store_b16 v[20:21], v2, off
	s_wait_alu 0xfffe
	s_or_b32 exec_lo, exec_lo, s17
	v_cmp_lt_u32_e64 s16, v30, v97
	s_and_saveexec_b32 s18, s16
	s_cbranch_execz .LBB1848_113
.LBB1848_149:                           ;   in Loop: Header=BB1848_64 Depth=2
	ds_load_u16 v99, v47 offset:2048
	s_wait_dscnt 0x0
	v_cmp_ne_u16_e64 s17, 0x7fff, v99
	s_wait_alu 0xf1ff
	s_delay_alu instid0(VALU_DEP_1) | instskip(SKIP_1) | instid1(VALU_DEP_2)
	v_cndmask_b32_e64 v2, 0xffff8000, v99, s17
	v_cmp_lt_i16_e64 s17, -1, v99
	v_and_b32_e32 v2, 0xffff, v2
	s_wait_alu 0xf1ff
	s_delay_alu instid0(VALU_DEP_2) | instskip(NEXT) | instid1(VALU_DEP_2)
	v_cndmask_b32_e64 v101, 0xffff8000, -1, s17
	v_lshrrev_b32_e32 v2, s23, v2
	s_delay_alu instid0(VALU_DEP_1) | instskip(NEXT) | instid1(VALU_DEP_1)
	v_and_b32_e32 v2, s42, v2
	v_lshlrev_b32_e32 v2, 2, v2
	ds_load_b32 v2, v2
	s_wait_dscnt 0x0
	v_add_nc_u32_e32 v2, v2, v30
	s_delay_alu instid0(VALU_DEP_1) | instskip(SKIP_1) | instid1(VALU_DEP_2)
	v_lshlrev_b64_e32 v[20:21], 1, v[2:3]
	v_xor_b32_e32 v2, v101, v99
	v_add_co_u32 v20, s17, s38, v20
	s_wait_alu 0xf1ff
	s_delay_alu instid0(VALU_DEP_3)
	v_add_co_ci_u32_e64 v21, null, s39, v21, s17
	global_store_b16 v[20:21], v2, off
	s_wait_alu 0xfffe
	s_or_b32 exec_lo, exec_lo, s18
	v_cmp_lt_u32_e64 s17, v31, v97
	s_and_saveexec_b32 s19, s17
	s_cbranch_execz .LBB1848_114
.LBB1848_150:                           ;   in Loop: Header=BB1848_64 Depth=2
	ds_load_u16 v99, v47 offset:2560
	s_wait_dscnt 0x0
	v_cmp_ne_u16_e64 s18, 0x7fff, v99
	s_wait_alu 0xf1ff
	s_delay_alu instid0(VALU_DEP_1) | instskip(SKIP_1) | instid1(VALU_DEP_2)
	v_cndmask_b32_e64 v2, 0xffff8000, v99, s18
	v_cmp_lt_i16_e64 s18, -1, v99
	v_and_b32_e32 v2, 0xffff, v2
	s_wait_alu 0xf1ff
	s_delay_alu instid0(VALU_DEP_2) | instskip(NEXT) | instid1(VALU_DEP_2)
	v_cndmask_b32_e64 v101, 0xffff8000, -1, s18
	v_lshrrev_b32_e32 v2, s23, v2
	s_delay_alu instid0(VALU_DEP_1) | instskip(NEXT) | instid1(VALU_DEP_1)
	v_and_b32_e32 v2, s42, v2
	v_lshlrev_b32_e32 v2, 2, v2
	ds_load_b32 v2, v2
	s_wait_dscnt 0x0
	v_add_nc_u32_e32 v2, v2, v31
	s_delay_alu instid0(VALU_DEP_1) | instskip(SKIP_1) | instid1(VALU_DEP_2)
	v_lshlrev_b64_e32 v[20:21], 1, v[2:3]
	v_xor_b32_e32 v2, v101, v99
	v_add_co_u32 v20, s18, s38, v20
	s_wait_alu 0xf1ff
	s_delay_alu instid0(VALU_DEP_3)
	v_add_co_ci_u32_e64 v21, null, s39, v21, s18
	global_store_b16 v[20:21], v2, off
	s_wait_alu 0xfffe
	s_or_b32 exec_lo, exec_lo, s19
	v_cmp_lt_u32_e64 s18, v34, v97
	s_and_saveexec_b32 s20, s18
	s_cbranch_execz .LBB1848_115
.LBB1848_151:                           ;   in Loop: Header=BB1848_64 Depth=2
	ds_load_u16 v99, v47 offset:3072
	s_wait_dscnt 0x0
	v_cmp_ne_u16_e64 s19, 0x7fff, v99
	s_wait_alu 0xf1ff
	s_delay_alu instid0(VALU_DEP_1) | instskip(SKIP_1) | instid1(VALU_DEP_2)
	v_cndmask_b32_e64 v2, 0xffff8000, v99, s19
	v_cmp_lt_i16_e64 s19, -1, v99
	v_and_b32_e32 v2, 0xffff, v2
	s_wait_alu 0xf1ff
	s_delay_alu instid0(VALU_DEP_2) | instskip(NEXT) | instid1(VALU_DEP_2)
	v_cndmask_b32_e64 v101, 0xffff8000, -1, s19
	v_lshrrev_b32_e32 v2, s23, v2
	s_delay_alu instid0(VALU_DEP_1) | instskip(NEXT) | instid1(VALU_DEP_1)
	v_and_b32_e32 v2, s42, v2
	v_lshlrev_b32_e32 v2, 2, v2
	ds_load_b32 v2, v2
	s_wait_dscnt 0x0
	v_add_nc_u32_e32 v2, v2, v34
	s_delay_alu instid0(VALU_DEP_1) | instskip(SKIP_1) | instid1(VALU_DEP_2)
	v_lshlrev_b64_e32 v[20:21], 1, v[2:3]
	v_xor_b32_e32 v2, v101, v99
	v_add_co_u32 v20, s19, s38, v20
	s_wait_alu 0xf1ff
	s_delay_alu instid0(VALU_DEP_3)
	v_add_co_ci_u32_e64 v21, null, s39, v21, s19
	global_store_b16 v[20:21], v2, off
	s_wait_alu 0xfffe
	s_or_b32 exec_lo, exec_lo, s20
	v_cmp_lt_u32_e64 s19, v35, v97
	s_and_saveexec_b32 s21, s19
	s_cbranch_execz .LBB1848_116
.LBB1848_152:                           ;   in Loop: Header=BB1848_64 Depth=2
	ds_load_u16 v99, v47 offset:3584
	s_wait_dscnt 0x0
	v_cmp_ne_u16_e64 s20, 0x7fff, v99
	s_wait_alu 0xf1ff
	s_delay_alu instid0(VALU_DEP_1) | instskip(SKIP_1) | instid1(VALU_DEP_2)
	v_cndmask_b32_e64 v2, 0xffff8000, v99, s20
	v_cmp_lt_i16_e64 s20, -1, v99
	v_and_b32_e32 v2, 0xffff, v2
	s_wait_alu 0xf1ff
	s_delay_alu instid0(VALU_DEP_2) | instskip(NEXT) | instid1(VALU_DEP_2)
	v_cndmask_b32_e64 v101, 0xffff8000, -1, s20
	v_lshrrev_b32_e32 v2, s23, v2
	s_delay_alu instid0(VALU_DEP_1) | instskip(NEXT) | instid1(VALU_DEP_1)
	v_and_b32_e32 v2, s42, v2
	v_lshlrev_b32_e32 v2, 2, v2
	ds_load_b32 v2, v2
	s_wait_dscnt 0x0
	v_add_nc_u32_e32 v2, v2, v35
	s_delay_alu instid0(VALU_DEP_1) | instskip(SKIP_1) | instid1(VALU_DEP_2)
	v_lshlrev_b64_e32 v[20:21], 1, v[2:3]
	v_xor_b32_e32 v2, v101, v99
	v_add_co_u32 v20, s20, s38, v20
	s_wait_alu 0xf1ff
	s_delay_alu instid0(VALU_DEP_3)
	v_add_co_ci_u32_e64 v21, null, s39, v21, s20
	global_store_b16 v[20:21], v2, off
	s_wait_alu 0xfffe
	s_or_b32 exec_lo, exec_lo, s21
	v_cmp_lt_u32_e64 s20, v36, v97
	s_and_saveexec_b32 s22, s20
	s_cbranch_execz .LBB1848_117
.LBB1848_153:                           ;   in Loop: Header=BB1848_64 Depth=2
	ds_load_u16 v99, v47 offset:4096
	s_wait_dscnt 0x0
	v_cmp_ne_u16_e64 s21, 0x7fff, v99
	s_wait_alu 0xf1ff
	s_delay_alu instid0(VALU_DEP_1) | instskip(SKIP_1) | instid1(VALU_DEP_2)
	v_cndmask_b32_e64 v2, 0xffff8000, v99, s21
	v_cmp_lt_i16_e64 s21, -1, v99
	v_and_b32_e32 v2, 0xffff, v2
	s_wait_alu 0xf1ff
	s_delay_alu instid0(VALU_DEP_2) | instskip(NEXT) | instid1(VALU_DEP_2)
	v_cndmask_b32_e64 v101, 0xffff8000, -1, s21
	v_lshrrev_b32_e32 v2, s23, v2
	s_delay_alu instid0(VALU_DEP_1) | instskip(NEXT) | instid1(VALU_DEP_1)
	v_and_b32_e32 v2, s42, v2
	v_lshlrev_b32_e32 v2, 2, v2
	ds_load_b32 v2, v2
	s_wait_dscnt 0x0
	v_add_nc_u32_e32 v2, v2, v36
	s_delay_alu instid0(VALU_DEP_1) | instskip(SKIP_1) | instid1(VALU_DEP_2)
	v_lshlrev_b64_e32 v[20:21], 1, v[2:3]
	v_xor_b32_e32 v2, v101, v99
	v_add_co_u32 v20, s21, s38, v20
	s_wait_alu 0xf1ff
	s_delay_alu instid0(VALU_DEP_3)
	v_add_co_ci_u32_e64 v21, null, s39, v21, s21
	global_store_b16 v[20:21], v2, off
	s_wait_alu 0xfffe
	s_or_b32 exec_lo, exec_lo, s22
	v_cmp_lt_u32_e64 s21, v37, v97
	s_and_saveexec_b32 s48, s21
	s_cbranch_execnz .LBB1848_118
	s_branch .LBB1848_119
.LBB1848_154:                           ;   in Loop: Header=BB1848_64 Depth=2
	global_load_b64 v[18:19], v[20:21], off
	s_wait_alu 0xfffe
	s_or_b32 exec_lo, exec_lo, s22
	s_delay_alu instid0(SALU_CYCLE_1)
	s_mov_b32 s30, exec_lo
	v_cmpx_lt_u32_e64 v70, v97
	s_cbranch_execz .LBB1848_121
.LBB1848_155:                           ;   in Loop: Header=BB1848_64 Depth=2
	global_load_b64 v[16:17], v[20:21], off offset:256
	s_wait_alu 0xfffe
	s_or_b32 exec_lo, exec_lo, s30
	s_delay_alu instid0(SALU_CYCLE_1)
	s_mov_b32 s30, exec_lo
	v_cmpx_lt_u32_e64 v71, v97
	s_cbranch_execz .LBB1848_122
.LBB1848_156:                           ;   in Loop: Header=BB1848_64 Depth=2
	global_load_b64 v[14:15], v[20:21], off offset:512
	s_wait_alu 0xfffe
	s_or_b32 exec_lo, exec_lo, s30
	s_delay_alu instid0(SALU_CYCLE_1)
	s_mov_b32 s30, exec_lo
	v_cmpx_lt_u32_e64 v72, v97
	s_cbranch_execz .LBB1848_123
.LBB1848_157:                           ;   in Loop: Header=BB1848_64 Depth=2
	global_load_b64 v[12:13], v[20:21], off offset:768
	s_wait_alu 0xfffe
	s_or_b32 exec_lo, exec_lo, s30
	s_delay_alu instid0(SALU_CYCLE_1)
	s_mov_b32 s30, exec_lo
	v_cmpx_lt_u32_e64 v73, v97
	s_cbranch_execz .LBB1848_124
.LBB1848_158:                           ;   in Loop: Header=BB1848_64 Depth=2
	global_load_b64 v[10:11], v[20:21], off offset:1024
	s_wait_alu 0xfffe
	s_or_b32 exec_lo, exec_lo, s30
	s_delay_alu instid0(SALU_CYCLE_1)
	s_mov_b32 s30, exec_lo
	v_cmpx_lt_u32_e64 v74, v97
	s_cbranch_execz .LBB1848_125
.LBB1848_159:                           ;   in Loop: Header=BB1848_64 Depth=2
	global_load_b64 v[8:9], v[20:21], off offset:1280
	s_wait_alu 0xfffe
	s_or_b32 exec_lo, exec_lo, s30
	s_delay_alu instid0(SALU_CYCLE_1)
	s_mov_b32 s30, exec_lo
	v_cmpx_lt_u32_e64 v75, v97
	s_cbranch_execz .LBB1848_126
.LBB1848_160:                           ;   in Loop: Header=BB1848_64 Depth=2
	global_load_b64 v[6:7], v[20:21], off offset:1536
	s_wait_alu 0xfffe
	s_or_b32 exec_lo, exec_lo, s30
	s_delay_alu instid0(SALU_CYCLE_1)
	s_mov_b32 s30, exec_lo
	v_cmpx_lt_u32_e64 v76, v97
	s_cbranch_execz .LBB1848_127
.LBB1848_161:                           ;   in Loop: Header=BB1848_64 Depth=2
	global_load_b64 v[4:5], v[20:21], off offset:1792
	s_wait_alu 0xfffe
	s_or_b32 exec_lo, exec_lo, s30
	s_and_saveexec_b32 s30, vcc_lo
	s_cbranch_execz .LBB1848_128
.LBB1848_162:                           ;   in Loop: Header=BB1848_64 Depth=2
	ds_load_u16 v2, v47 offset:1024
	s_wait_dscnt 0x0
	v_cmp_ne_u16_e64 s22, 0x7fff, v2
	s_wait_alu 0xf1ff
	s_delay_alu instid0(VALU_DEP_1) | instskip(NEXT) | instid1(VALU_DEP_1)
	v_cndmask_b32_e64 v2, 0xffff8000, v2, s22
	v_and_b32_e32 v2, 0xffff, v2
	s_delay_alu instid0(VALU_DEP_1) | instskip(NEXT) | instid1(VALU_DEP_1)
	v_lshrrev_b32_e32 v2, s23, v2
	v_and_b32_e32 v96, s42, v2
	s_wait_alu 0xfffe
	s_or_b32 exec_lo, exec_lo, s30
	s_and_saveexec_b32 s30, s15
	s_cbranch_execz .LBB1848_129
.LBB1848_163:                           ;   in Loop: Header=BB1848_64 Depth=2
	ds_load_u16 v2, v47 offset:1536
	s_wait_dscnt 0x0
	v_cmp_ne_u16_e64 s22, 0x7fff, v2
	s_wait_alu 0xf1ff
	s_delay_alu instid0(VALU_DEP_1) | instskip(NEXT) | instid1(VALU_DEP_1)
	v_cndmask_b32_e64 v2, 0xffff8000, v2, s22
	v_and_b32_e32 v2, 0xffff, v2
	s_delay_alu instid0(VALU_DEP_1) | instskip(NEXT) | instid1(VALU_DEP_1)
	v_lshrrev_b32_e32 v2, s23, v2
	v_and_b32_e32 v95, s42, v2
	s_wait_alu 0xfffe
	s_or_b32 exec_lo, exec_lo, s30
	s_and_saveexec_b32 s30, s16
	s_cbranch_execz .LBB1848_130
.LBB1848_164:                           ;   in Loop: Header=BB1848_64 Depth=2
	ds_load_u16 v2, v47 offset:2048
	s_wait_dscnt 0x0
	v_cmp_ne_u16_e64 s22, 0x7fff, v2
	s_wait_alu 0xf1ff
	s_delay_alu instid0(VALU_DEP_1) | instskip(NEXT) | instid1(VALU_DEP_1)
	v_cndmask_b32_e64 v2, 0xffff8000, v2, s22
	v_and_b32_e32 v2, 0xffff, v2
	s_delay_alu instid0(VALU_DEP_1) | instskip(NEXT) | instid1(VALU_DEP_1)
	v_lshrrev_b32_e32 v2, s23, v2
	v_and_b32_e32 v94, s42, v2
	s_wait_alu 0xfffe
	s_or_b32 exec_lo, exec_lo, s30
	s_and_saveexec_b32 s30, s17
	s_cbranch_execz .LBB1848_131
.LBB1848_165:                           ;   in Loop: Header=BB1848_64 Depth=2
	ds_load_u16 v2, v47 offset:2560
	s_wait_dscnt 0x0
	v_cmp_ne_u16_e64 s22, 0x7fff, v2
	s_wait_alu 0xf1ff
	s_delay_alu instid0(VALU_DEP_1) | instskip(NEXT) | instid1(VALU_DEP_1)
	v_cndmask_b32_e64 v2, 0xffff8000, v2, s22
	v_and_b32_e32 v2, 0xffff, v2
	s_delay_alu instid0(VALU_DEP_1) | instskip(NEXT) | instid1(VALU_DEP_1)
	v_lshrrev_b32_e32 v2, s23, v2
	v_and_b32_e32 v93, s42, v2
	s_wait_alu 0xfffe
	s_or_b32 exec_lo, exec_lo, s30
	s_and_saveexec_b32 s30, s18
	s_cbranch_execz .LBB1848_132
.LBB1848_166:                           ;   in Loop: Header=BB1848_64 Depth=2
	ds_load_u16 v2, v47 offset:3072
	s_wait_dscnt 0x0
	v_cmp_ne_u16_e64 s22, 0x7fff, v2
	s_wait_alu 0xf1ff
	s_delay_alu instid0(VALU_DEP_1) | instskip(NEXT) | instid1(VALU_DEP_1)
	v_cndmask_b32_e64 v2, 0xffff8000, v2, s22
	v_and_b32_e32 v2, 0xffff, v2
	s_delay_alu instid0(VALU_DEP_1) | instskip(NEXT) | instid1(VALU_DEP_1)
	v_lshrrev_b32_e32 v2, s23, v2
	v_and_b32_e32 v92, s42, v2
	s_wait_alu 0xfffe
	s_or_b32 exec_lo, exec_lo, s30
	s_and_saveexec_b32 s30, s19
	s_cbranch_execz .LBB1848_133
.LBB1848_167:                           ;   in Loop: Header=BB1848_64 Depth=2
	ds_load_u16 v2, v47 offset:3584
	s_wait_dscnt 0x0
	v_cmp_ne_u16_e64 s22, 0x7fff, v2
	s_wait_alu 0xf1ff
	s_delay_alu instid0(VALU_DEP_1) | instskip(NEXT) | instid1(VALU_DEP_1)
	v_cndmask_b32_e64 v2, 0xffff8000, v2, s22
	v_and_b32_e32 v2, 0xffff, v2
	s_delay_alu instid0(VALU_DEP_1) | instskip(NEXT) | instid1(VALU_DEP_1)
	v_lshrrev_b32_e32 v2, s23, v2
	v_and_b32_e32 v91, s42, v2
	s_wait_alu 0xfffe
	s_or_b32 exec_lo, exec_lo, s30
	s_and_saveexec_b32 s30, s20
	s_cbranch_execz .LBB1848_134
.LBB1848_168:                           ;   in Loop: Header=BB1848_64 Depth=2
	ds_load_u16 v2, v47 offset:4096
	s_wait_dscnt 0x0
	v_cmp_ne_u16_e64 s22, 0x7fff, v2
	s_wait_alu 0xf1ff
	s_delay_alu instid0(VALU_DEP_1) | instskip(NEXT) | instid1(VALU_DEP_1)
	v_cndmask_b32_e64 v2, 0xffff8000, v2, s22
	v_and_b32_e32 v2, 0xffff, v2
	s_delay_alu instid0(VALU_DEP_1) | instskip(NEXT) | instid1(VALU_DEP_1)
	v_lshrrev_b32_e32 v2, s23, v2
	v_and_b32_e32 v90, s42, v2
	s_wait_alu 0xfffe
	s_or_b32 exec_lo, exec_lo, s30
	s_and_saveexec_b32 s30, s21
	s_cbranch_execnz .LBB1848_135
	s_branch .LBB1848_136
.LBB1848_169:                           ;   in Loop: Header=BB1848_64 Depth=2
	v_lshlrev_b32_e32 v2, 2, v96
	v_add_nc_u32_e32 v20, v47, v48
	ds_load_b32 v2, v2
	ds_load_b64 v[20:21], v20 offset:1024
	s_wait_dscnt 0x1
	v_add_nc_u32_e32 v2, v2, v1
	s_delay_alu instid0(VALU_DEP_1) | instskip(NEXT) | instid1(VALU_DEP_1)
	v_lshlrev_b64_e32 v[23:24], 3, v[2:3]
	v_add_co_u32 v23, vcc_lo, s24, v23
	s_wait_alu 0xfffd
	s_delay_alu instid0(VALU_DEP_2)
	v_add_co_ci_u32_e64 v24, null, s25, v24, vcc_lo
	s_wait_dscnt 0x0
	global_store_b64 v[23:24], v[20:21], off
	s_wait_alu 0xfffe
	s_or_b32 exec_lo, exec_lo, s22
	s_and_saveexec_b32 s22, s15
	s_cbranch_execz .LBB1848_138
.LBB1848_170:                           ;   in Loop: Header=BB1848_64 Depth=2
	v_lshlrev_b32_e32 v2, 2, v95
	v_add_nc_u32_e32 v20, v47, v48
	ds_load_b32 v2, v2
	ds_load_b64 v[20:21], v20 offset:3072
	s_wait_dscnt 0x1
	v_add_nc_u32_e32 v2, v2, v29
	s_delay_alu instid0(VALU_DEP_1) | instskip(NEXT) | instid1(VALU_DEP_1)
	v_lshlrev_b64_e32 v[23:24], 3, v[2:3]
	v_add_co_u32 v23, vcc_lo, s24, v23
	s_wait_alu 0xfffd
	s_delay_alu instid0(VALU_DEP_2)
	v_add_co_ci_u32_e64 v24, null, s25, v24, vcc_lo
	s_wait_dscnt 0x0
	global_store_b64 v[23:24], v[20:21], off
	s_wait_alu 0xfffe
	s_or_b32 exec_lo, exec_lo, s22
	s_and_saveexec_b32 s15, s16
	s_cbranch_execz .LBB1848_139
.LBB1848_171:                           ;   in Loop: Header=BB1848_64 Depth=2
	v_lshlrev_b32_e32 v2, 2, v94
	v_add_nc_u32_e32 v20, v47, v48
	ds_load_b32 v2, v2
	ds_load_b64 v[20:21], v20 offset:5120
	s_wait_dscnt 0x1
	v_add_nc_u32_e32 v2, v2, v30
	s_delay_alu instid0(VALU_DEP_1) | instskip(NEXT) | instid1(VALU_DEP_1)
	v_lshlrev_b64_e32 v[23:24], 3, v[2:3]
	v_add_co_u32 v23, vcc_lo, s24, v23
	s_wait_alu 0xfffd
	s_delay_alu instid0(VALU_DEP_2)
	v_add_co_ci_u32_e64 v24, null, s25, v24, vcc_lo
	s_wait_dscnt 0x0
	global_store_b64 v[23:24], v[20:21], off
	s_wait_alu 0xfffe
	s_or_b32 exec_lo, exec_lo, s15
	s_and_saveexec_b32 s15, s17
	s_cbranch_execz .LBB1848_140
.LBB1848_172:                           ;   in Loop: Header=BB1848_64 Depth=2
	v_lshlrev_b32_e32 v2, 2, v93
	v_add_nc_u32_e32 v20, v47, v48
	ds_load_b32 v2, v2
	ds_load_b64 v[20:21], v20 offset:7168
	s_wait_dscnt 0x1
	v_add_nc_u32_e32 v2, v2, v31
	s_delay_alu instid0(VALU_DEP_1) | instskip(NEXT) | instid1(VALU_DEP_1)
	v_lshlrev_b64_e32 v[23:24], 3, v[2:3]
	v_add_co_u32 v23, vcc_lo, s24, v23
	s_wait_alu 0xfffd
	s_delay_alu instid0(VALU_DEP_2)
	v_add_co_ci_u32_e64 v24, null, s25, v24, vcc_lo
	s_wait_dscnt 0x0
	global_store_b64 v[23:24], v[20:21], off
	s_wait_alu 0xfffe
	s_or_b32 exec_lo, exec_lo, s15
	s_and_saveexec_b32 s15, s18
	s_cbranch_execz .LBB1848_141
.LBB1848_173:                           ;   in Loop: Header=BB1848_64 Depth=2
	v_lshlrev_b32_e32 v2, 2, v92
	v_add_nc_u32_e32 v20, v47, v48
	ds_load_b32 v2, v2
	ds_load_b64 v[20:21], v20 offset:9216
	s_wait_dscnt 0x1
	v_add_nc_u32_e32 v2, v2, v34
	s_delay_alu instid0(VALU_DEP_1) | instskip(NEXT) | instid1(VALU_DEP_1)
	v_lshlrev_b64_e32 v[23:24], 3, v[2:3]
	v_add_co_u32 v23, vcc_lo, s24, v23
	s_wait_alu 0xfffd
	s_delay_alu instid0(VALU_DEP_2)
	v_add_co_ci_u32_e64 v24, null, s25, v24, vcc_lo
	s_wait_dscnt 0x0
	global_store_b64 v[23:24], v[20:21], off
	s_wait_alu 0xfffe
	s_or_b32 exec_lo, exec_lo, s15
	s_and_saveexec_b32 s15, s19
	s_cbranch_execz .LBB1848_142
.LBB1848_174:                           ;   in Loop: Header=BB1848_64 Depth=2
	v_lshlrev_b32_e32 v2, 2, v91
	v_add_nc_u32_e32 v20, v47, v48
	ds_load_b32 v2, v2
	ds_load_b64 v[20:21], v20 offset:11264
	s_wait_dscnt 0x1
	v_add_nc_u32_e32 v2, v2, v35
	s_delay_alu instid0(VALU_DEP_1) | instskip(NEXT) | instid1(VALU_DEP_1)
	v_lshlrev_b64_e32 v[23:24], 3, v[2:3]
	v_add_co_u32 v23, vcc_lo, s24, v23
	s_wait_alu 0xfffd
	s_delay_alu instid0(VALU_DEP_2)
	v_add_co_ci_u32_e64 v24, null, s25, v24, vcc_lo
	s_wait_dscnt 0x0
	global_store_b64 v[23:24], v[20:21], off
	s_wait_alu 0xfffe
	s_or_b32 exec_lo, exec_lo, s15
	s_and_saveexec_b32 s15, s20
	s_cbranch_execz .LBB1848_143
.LBB1848_175:                           ;   in Loop: Header=BB1848_64 Depth=2
	v_lshlrev_b32_e32 v2, 2, v90
	v_add_nc_u32_e32 v20, v47, v48
	ds_load_b32 v2, v2
	ds_load_b64 v[20:21], v20 offset:13312
	s_wait_dscnt 0x1
	v_add_nc_u32_e32 v2, v2, v36
	s_delay_alu instid0(VALU_DEP_1) | instskip(NEXT) | instid1(VALU_DEP_1)
	v_lshlrev_b64_e32 v[23:24], 3, v[2:3]
	v_add_co_u32 v23, vcc_lo, s24, v23
	s_wait_alu 0xfffd
	s_delay_alu instid0(VALU_DEP_2)
	v_add_co_ci_u32_e64 v24, null, s25, v24, vcc_lo
	s_wait_dscnt 0x0
	global_store_b64 v[23:24], v[20:21], off
	s_wait_alu 0xfffe
	s_or_b32 exec_lo, exec_lo, s15
	s_and_saveexec_b32 s15, s21
	s_cbranch_execnz .LBB1848_144
	s_branch .LBB1848_145
.LBB1848_176:                           ;   in Loop: Header=BB1848_12 Depth=1
	s_wait_loadcnt_dscnt 0x0
	s_barrier_signal -1
	s_mov_b32 s0, 0
	s_barrier_wait -1
.LBB1848_177:                           ;   in Loop: Header=BB1848_12 Depth=1
	s_wait_alu 0xfffe
	s_and_b32 vcc_lo, exec_lo, s0
	s_wait_alu 0xfffe
	s_cbranch_vccz .LBB1848_341
; %bb.178:                              ;   in Loop: Header=BB1848_12 Depth=1
	s_mov_b32 s9, s47
	s_mov_b32 s30, s33
	s_barrier_signal -1
	s_barrier_wait -1
	global_inv scope:SCOPE_SE
                                        ; implicit-def: $vgpr2
                                        ; implicit-def: $vgpr4
                                        ; implicit-def: $vgpr5
                                        ; implicit-def: $vgpr6
                                        ; implicit-def: $vgpr7
                                        ; implicit-def: $vgpr8
                                        ; implicit-def: $vgpr9
                                        ; implicit-def: $vgpr10
	s_branch .LBB1848_180
.LBB1848_179:                           ;   in Loop: Header=BB1848_180 Depth=2
	s_wait_alu 0xfffe
	s_or_b32 exec_lo, exec_lo, s0
	s_addk_co_i32 s9, 0xf800
	s_cmp_ge_u32 s10, s34
	s_mov_b32 s30, s10
	s_cbranch_scc1 .LBB1848_216
.LBB1848_180:                           ;   Parent Loop BB1848_12 Depth=1
                                        ; =>  This Inner Loop Header: Depth=2
	s_wait_alu 0xfffe
	s_add_co_i32 s10, s30, 0x800
	s_mov_b32 s0, -1
	s_wait_alu 0xfffe
	s_cmp_gt_u32 s10, s34
                                        ; implicit-def: $vgpr11
                                        ; implicit-def: $vgpr12
                                        ; implicit-def: $vgpr13
                                        ; implicit-def: $vgpr14
                                        ; implicit-def: $vgpr15
                                        ; implicit-def: $vgpr16
                                        ; implicit-def: $vgpr17
                                        ; implicit-def: $vgpr18
	s_cbranch_scc1 .LBB1848_182
; %bb.181:                              ;   in Loop: Header=BB1848_180 Depth=2
	s_lshl_b64 s[0:1], s[30:31], 1
	s_wait_alu 0xfffe
	v_add_co_u32 v18, vcc_lo, v49, s0
	s_wait_alu 0xfffd
	v_add_co_ci_u32_e64 v19, null, s1, v50, vcc_lo
	s_mov_b32 s0, 0
	s_clause 0x7
	global_load_u16 v11, v[18:19], off
	global_load_u16 v12, v[18:19], off offset:512
	global_load_u16 v13, v[18:19], off offset:1024
	;; [unrolled: 1-line block ×7, first 2 shown]
.LBB1848_182:                           ;   in Loop: Header=BB1848_180 Depth=2
	s_wait_alu 0xfffe
	s_and_not1_b32 vcc_lo, exec_lo, s0
	s_movk_i32 s0, 0x800
	s_wait_alu 0xfffe
	s_cbranch_vccnz .LBB1848_193
; %bb.183:                              ;   in Loop: Header=BB1848_180 Depth=2
	s_lshl_b64 s[0:1], s[30:31], 1
	s_mov_b32 s11, exec_lo
	s_wait_alu 0xfffe
	s_add_nc_u64 s[0:1], s[38:39], s[0:1]
	v_cmpx_gt_u32_e64 s9, v1
	s_cbranch_execnz .LBB1848_209
; %bb.184:                              ;   in Loop: Header=BB1848_180 Depth=2
	s_or_b32 exec_lo, exec_lo, s11
	s_delay_alu instid0(SALU_CYCLE_1)
	s_mov_b32 s11, exec_lo
	v_cmpx_gt_u32_e64 s9, v29
	s_cbranch_execnz .LBB1848_210
.LBB1848_185:                           ;   in Loop: Header=BB1848_180 Depth=2
	s_wait_alu 0xfffe
	s_or_b32 exec_lo, exec_lo, s11
	s_delay_alu instid0(SALU_CYCLE_1)
	s_mov_b32 s11, exec_lo
	v_cmpx_gt_u32_e64 s9, v30
	s_cbranch_execnz .LBB1848_211
.LBB1848_186:                           ;   in Loop: Header=BB1848_180 Depth=2
	s_wait_alu 0xfffe
	s_or_b32 exec_lo, exec_lo, s11
	s_delay_alu instid0(SALU_CYCLE_1)
	s_mov_b32 s11, exec_lo
	v_cmpx_gt_u32_e64 s9, v31
	s_cbranch_execnz .LBB1848_212
.LBB1848_187:                           ;   in Loop: Header=BB1848_180 Depth=2
	s_wait_alu 0xfffe
	s_or_b32 exec_lo, exec_lo, s11
	s_delay_alu instid0(SALU_CYCLE_1)
	s_mov_b32 s11, exec_lo
	v_cmpx_gt_u32_e64 s9, v34
	s_cbranch_execnz .LBB1848_213
.LBB1848_188:                           ;   in Loop: Header=BB1848_180 Depth=2
	s_wait_alu 0xfffe
	s_or_b32 exec_lo, exec_lo, s11
	s_delay_alu instid0(SALU_CYCLE_1)
	s_mov_b32 s11, exec_lo
	v_cmpx_gt_u32_e64 s9, v35
	s_cbranch_execnz .LBB1848_214
.LBB1848_189:                           ;   in Loop: Header=BB1848_180 Depth=2
	s_wait_alu 0xfffe
	s_or_b32 exec_lo, exec_lo, s11
	s_delay_alu instid0(SALU_CYCLE_1)
	s_mov_b32 s11, exec_lo
	v_cmpx_gt_u32_e64 s9, v36
	s_cbranch_execnz .LBB1848_215
.LBB1848_190:                           ;   in Loop: Header=BB1848_180 Depth=2
	s_wait_alu 0xfffe
	s_or_b32 exec_lo, exec_lo, s11
	s_delay_alu instid0(SALU_CYCLE_1)
	s_mov_b32 s11, exec_lo
	v_cmpx_gt_u32_e64 s9, v37
	s_cbranch_execz .LBB1848_192
.LBB1848_191:                           ;   in Loop: Header=BB1848_180 Depth=2
	global_load_u16 v2, v82, s[0:1] offset:3584
.LBB1848_192:                           ;   in Loop: Header=BB1848_180 Depth=2
	s_wait_alu 0xfffe
	s_or_b32 exec_lo, exec_lo, s11
	s_wait_loadcnt 0x0
	v_dual_mov_b32 v11, v10 :: v_dual_mov_b32 v12, v9
	v_dual_mov_b32 v13, v8 :: v_dual_mov_b32 v14, v7
	;; [unrolled: 1-line block ×4, first 2 shown]
	s_mov_b32 s0, s9
.LBB1848_193:                           ;   in Loop: Header=BB1848_180 Depth=2
	s_wait_loadcnt 0x0
	s_delay_alu instid0(VALU_DEP_1) | instskip(NEXT) | instid1(VALU_DEP_2)
	v_dual_mov_b32 v2, v18 :: v_dual_mov_b32 v5, v16
	v_dual_mov_b32 v4, v17 :: v_dual_mov_b32 v7, v14
	;; [unrolled: 1-line block ×3, first 2 shown]
	v_mov_b32_e32 v8, v13
	v_mov_b32_e32 v10, v11
	s_mov_b32 s1, exec_lo
	s_wait_alu 0xfffe
	v_cmpx_gt_u32_e64 s0, v1
	s_cbranch_execnz .LBB1848_201
; %bb.194:                              ;   in Loop: Header=BB1848_180 Depth=2
	s_or_b32 exec_lo, exec_lo, s1
	s_delay_alu instid0(SALU_CYCLE_1)
	s_mov_b32 s1, exec_lo
	v_cmpx_gt_u32_e64 s0, v29
	s_cbranch_execnz .LBB1848_202
.LBB1848_195:                           ;   in Loop: Header=BB1848_180 Depth=2
	s_wait_alu 0xfffe
	s_or_b32 exec_lo, exec_lo, s1
	s_delay_alu instid0(SALU_CYCLE_1)
	s_mov_b32 s1, exec_lo
	v_cmpx_gt_u32_e64 s0, v30
	s_cbranch_execnz .LBB1848_203
.LBB1848_196:                           ;   in Loop: Header=BB1848_180 Depth=2
	s_wait_alu 0xfffe
	s_or_b32 exec_lo, exec_lo, s1
	s_delay_alu instid0(SALU_CYCLE_1)
	s_mov_b32 s1, exec_lo
	v_cmpx_gt_u32_e64 s0, v31
	s_cbranch_execnz .LBB1848_204
.LBB1848_197:                           ;   in Loop: Header=BB1848_180 Depth=2
	s_wait_alu 0xfffe
	s_or_b32 exec_lo, exec_lo, s1
	s_delay_alu instid0(SALU_CYCLE_1)
	s_mov_b32 s1, exec_lo
	v_cmpx_gt_u32_e64 s0, v34
	s_cbranch_execnz .LBB1848_205
.LBB1848_198:                           ;   in Loop: Header=BB1848_180 Depth=2
	s_wait_alu 0xfffe
	s_or_b32 exec_lo, exec_lo, s1
	s_delay_alu instid0(SALU_CYCLE_1)
	s_mov_b32 s1, exec_lo
	v_cmpx_gt_u32_e64 s0, v35
	s_cbranch_execnz .LBB1848_206
.LBB1848_199:                           ;   in Loop: Header=BB1848_180 Depth=2
	s_wait_alu 0xfffe
	s_or_b32 exec_lo, exec_lo, s1
	s_delay_alu instid0(SALU_CYCLE_1)
	s_mov_b32 s1, exec_lo
	v_cmpx_gt_u32_e64 s0, v36
	s_cbranch_execnz .LBB1848_207
.LBB1848_200:                           ;   in Loop: Header=BB1848_180 Depth=2
	s_wait_alu 0xfffe
	s_or_b32 exec_lo, exec_lo, s1
	v_cmp_gt_u32_e32 vcc_lo, s0, v37
	s_and_saveexec_b32 s0, vcc_lo
	s_cbranch_execz .LBB1848_179
	s_branch .LBB1848_208
.LBB1848_201:                           ;   in Loop: Header=BB1848_180 Depth=2
	v_cmp_lt_i16_e32 vcc_lo, -1, v10
	s_wait_alu 0xfffd
	v_cndmask_b32_e64 v11, -1, 0xffff8000, vcc_lo
	s_delay_alu instid0(VALU_DEP_1) | instskip(NEXT) | instid1(VALU_DEP_1)
	v_xor_b32_e32 v11, v11, v10
	v_cmp_ne_u16_e32 vcc_lo, 0x7fff, v11
	s_wait_alu 0xfffd
	v_cndmask_b32_e32 v11, 0xffff8000, v11, vcc_lo
	s_delay_alu instid0(VALU_DEP_1) | instskip(NEXT) | instid1(VALU_DEP_1)
	v_and_b32_e32 v11, 0xffff, v11
	v_lshrrev_b32_e32 v11, s23, v11
	s_delay_alu instid0(VALU_DEP_1) | instskip(NEXT) | instid1(VALU_DEP_1)
	v_and_b32_e32 v11, s42, v11
	v_lshl_or_b32 v11, v11, 4, v39
	ds_add_u32 v11, v62
	s_or_b32 exec_lo, exec_lo, s1
	s_delay_alu instid0(SALU_CYCLE_1)
	s_mov_b32 s1, exec_lo
	v_cmpx_gt_u32_e64 s0, v29
	s_cbranch_execz .LBB1848_195
.LBB1848_202:                           ;   in Loop: Header=BB1848_180 Depth=2
	v_cmp_lt_i16_e32 vcc_lo, -1, v9
	s_wait_alu 0xfffd
	v_cndmask_b32_e64 v11, -1, 0xffff8000, vcc_lo
	s_delay_alu instid0(VALU_DEP_1) | instskip(NEXT) | instid1(VALU_DEP_1)
	v_xor_b32_e32 v11, v11, v9
	v_cmp_ne_u16_e32 vcc_lo, 0x7fff, v11
	s_wait_alu 0xfffd
	v_cndmask_b32_e32 v11, 0xffff8000, v11, vcc_lo
	s_delay_alu instid0(VALU_DEP_1) | instskip(NEXT) | instid1(VALU_DEP_1)
	v_and_b32_e32 v11, 0xffff, v11
	v_lshrrev_b32_e32 v11, s23, v11
	s_delay_alu instid0(VALU_DEP_1) | instskip(NEXT) | instid1(VALU_DEP_1)
	v_and_b32_e32 v11, s42, v11
	v_lshl_or_b32 v11, v11, 4, v39
	ds_add_u32 v11, v62
	s_wait_alu 0xfffe
	s_or_b32 exec_lo, exec_lo, s1
	s_delay_alu instid0(SALU_CYCLE_1)
	s_mov_b32 s1, exec_lo
	v_cmpx_gt_u32_e64 s0, v30
	s_cbranch_execz .LBB1848_196
.LBB1848_203:                           ;   in Loop: Header=BB1848_180 Depth=2
	v_cmp_lt_i16_e32 vcc_lo, -1, v8
	s_wait_alu 0xfffd
	v_cndmask_b32_e64 v11, -1, 0xffff8000, vcc_lo
	s_delay_alu instid0(VALU_DEP_1) | instskip(NEXT) | instid1(VALU_DEP_1)
	v_xor_b32_e32 v11, v11, v8
	v_cmp_ne_u16_e32 vcc_lo, 0x7fff, v11
	s_wait_alu 0xfffd
	v_cndmask_b32_e32 v11, 0xffff8000, v11, vcc_lo
	s_delay_alu instid0(VALU_DEP_1) | instskip(NEXT) | instid1(VALU_DEP_1)
	v_and_b32_e32 v11, 0xffff, v11
	v_lshrrev_b32_e32 v11, s23, v11
	s_delay_alu instid0(VALU_DEP_1) | instskip(NEXT) | instid1(VALU_DEP_1)
	v_and_b32_e32 v11, s42, v11
	v_lshl_or_b32 v11, v11, 4, v39
	ds_add_u32 v11, v62
	s_wait_alu 0xfffe
	s_or_b32 exec_lo, exec_lo, s1
	s_delay_alu instid0(SALU_CYCLE_1)
	s_mov_b32 s1, exec_lo
	v_cmpx_gt_u32_e64 s0, v31
	s_cbranch_execz .LBB1848_197
.LBB1848_204:                           ;   in Loop: Header=BB1848_180 Depth=2
	v_cmp_lt_i16_e32 vcc_lo, -1, v7
	s_wait_alu 0xfffd
	v_cndmask_b32_e64 v11, -1, 0xffff8000, vcc_lo
	s_delay_alu instid0(VALU_DEP_1) | instskip(NEXT) | instid1(VALU_DEP_1)
	v_xor_b32_e32 v11, v11, v7
	v_cmp_ne_u16_e32 vcc_lo, 0x7fff, v11
	s_wait_alu 0xfffd
	v_cndmask_b32_e32 v11, 0xffff8000, v11, vcc_lo
	s_delay_alu instid0(VALU_DEP_1) | instskip(NEXT) | instid1(VALU_DEP_1)
	v_and_b32_e32 v11, 0xffff, v11
	v_lshrrev_b32_e32 v11, s23, v11
	s_delay_alu instid0(VALU_DEP_1) | instskip(NEXT) | instid1(VALU_DEP_1)
	v_and_b32_e32 v11, s42, v11
	v_lshl_or_b32 v11, v11, 4, v39
	ds_add_u32 v11, v62
	s_wait_alu 0xfffe
	s_or_b32 exec_lo, exec_lo, s1
	s_delay_alu instid0(SALU_CYCLE_1)
	s_mov_b32 s1, exec_lo
	v_cmpx_gt_u32_e64 s0, v34
	s_cbranch_execz .LBB1848_198
.LBB1848_205:                           ;   in Loop: Header=BB1848_180 Depth=2
	v_cmp_lt_i16_e32 vcc_lo, -1, v6
	s_wait_alu 0xfffd
	v_cndmask_b32_e64 v11, -1, 0xffff8000, vcc_lo
	s_delay_alu instid0(VALU_DEP_1) | instskip(NEXT) | instid1(VALU_DEP_1)
	v_xor_b32_e32 v11, v11, v6
	v_cmp_ne_u16_e32 vcc_lo, 0x7fff, v11
	s_wait_alu 0xfffd
	v_cndmask_b32_e32 v11, 0xffff8000, v11, vcc_lo
	s_delay_alu instid0(VALU_DEP_1) | instskip(NEXT) | instid1(VALU_DEP_1)
	v_and_b32_e32 v11, 0xffff, v11
	v_lshrrev_b32_e32 v11, s23, v11
	s_delay_alu instid0(VALU_DEP_1) | instskip(NEXT) | instid1(VALU_DEP_1)
	v_and_b32_e32 v11, s42, v11
	v_lshl_or_b32 v11, v11, 4, v39
	ds_add_u32 v11, v62
	s_wait_alu 0xfffe
	s_or_b32 exec_lo, exec_lo, s1
	s_delay_alu instid0(SALU_CYCLE_1)
	s_mov_b32 s1, exec_lo
	v_cmpx_gt_u32_e64 s0, v35
	s_cbranch_execz .LBB1848_199
.LBB1848_206:                           ;   in Loop: Header=BB1848_180 Depth=2
	v_cmp_lt_i16_e32 vcc_lo, -1, v5
	s_wait_alu 0xfffd
	v_cndmask_b32_e64 v11, -1, 0xffff8000, vcc_lo
	s_delay_alu instid0(VALU_DEP_1) | instskip(NEXT) | instid1(VALU_DEP_1)
	v_xor_b32_e32 v11, v11, v5
	v_cmp_ne_u16_e32 vcc_lo, 0x7fff, v11
	s_wait_alu 0xfffd
	v_cndmask_b32_e32 v11, 0xffff8000, v11, vcc_lo
	s_delay_alu instid0(VALU_DEP_1) | instskip(NEXT) | instid1(VALU_DEP_1)
	v_and_b32_e32 v11, 0xffff, v11
	v_lshrrev_b32_e32 v11, s23, v11
	s_delay_alu instid0(VALU_DEP_1) | instskip(NEXT) | instid1(VALU_DEP_1)
	v_and_b32_e32 v11, s42, v11
	v_lshl_or_b32 v11, v11, 4, v39
	ds_add_u32 v11, v62
	s_wait_alu 0xfffe
	s_or_b32 exec_lo, exec_lo, s1
	s_delay_alu instid0(SALU_CYCLE_1)
	s_mov_b32 s1, exec_lo
	v_cmpx_gt_u32_e64 s0, v36
	s_cbranch_execz .LBB1848_200
.LBB1848_207:                           ;   in Loop: Header=BB1848_180 Depth=2
	v_cmp_lt_i16_e32 vcc_lo, -1, v4
	s_wait_alu 0xfffd
	v_cndmask_b32_e64 v11, -1, 0xffff8000, vcc_lo
	s_delay_alu instid0(VALU_DEP_1) | instskip(NEXT) | instid1(VALU_DEP_1)
	v_xor_b32_e32 v11, v11, v4
	v_cmp_ne_u16_e32 vcc_lo, 0x7fff, v11
	s_wait_alu 0xfffd
	v_cndmask_b32_e32 v11, 0xffff8000, v11, vcc_lo
	s_delay_alu instid0(VALU_DEP_1) | instskip(NEXT) | instid1(VALU_DEP_1)
	v_and_b32_e32 v11, 0xffff, v11
	v_lshrrev_b32_e32 v11, s23, v11
	s_delay_alu instid0(VALU_DEP_1) | instskip(NEXT) | instid1(VALU_DEP_1)
	v_and_b32_e32 v11, s42, v11
	v_lshl_or_b32 v11, v11, 4, v39
	ds_add_u32 v11, v62
	s_wait_alu 0xfffe
	s_or_b32 exec_lo, exec_lo, s1
	v_cmp_gt_u32_e32 vcc_lo, s0, v37
	s_and_saveexec_b32 s0, vcc_lo
	s_cbranch_execz .LBB1848_179
.LBB1848_208:                           ;   in Loop: Header=BB1848_180 Depth=2
	v_cmp_lt_i16_e32 vcc_lo, -1, v2
	s_wait_alu 0xfffd
	v_cndmask_b32_e64 v11, -1, 0xffff8000, vcc_lo
	s_delay_alu instid0(VALU_DEP_1) | instskip(NEXT) | instid1(VALU_DEP_1)
	v_xor_b32_e32 v11, v11, v2
	v_cmp_ne_u16_e32 vcc_lo, 0x7fff, v11
	s_wait_alu 0xfffd
	v_cndmask_b32_e32 v11, 0xffff8000, v11, vcc_lo
	s_delay_alu instid0(VALU_DEP_1) | instskip(NEXT) | instid1(VALU_DEP_1)
	v_and_b32_e32 v11, 0xffff, v11
	v_lshrrev_b32_e32 v11, s23, v11
	s_delay_alu instid0(VALU_DEP_1) | instskip(NEXT) | instid1(VALU_DEP_1)
	v_and_b32_e32 v11, s42, v11
	v_lshl_or_b32 v11, v11, 4, v39
	ds_add_u32 v11, v62
	s_branch .LBB1848_179
.LBB1848_209:                           ;   in Loop: Header=BB1848_180 Depth=2
	global_load_u16 v10, v82, s[0:1]
	s_or_b32 exec_lo, exec_lo, s11
	s_delay_alu instid0(SALU_CYCLE_1)
	s_mov_b32 s11, exec_lo
	v_cmpx_gt_u32_e64 s9, v29
	s_cbranch_execz .LBB1848_185
.LBB1848_210:                           ;   in Loop: Header=BB1848_180 Depth=2
	global_load_u16 v9, v82, s[0:1] offset:512
	s_wait_alu 0xfffe
	s_or_b32 exec_lo, exec_lo, s11
	s_delay_alu instid0(SALU_CYCLE_1)
	s_mov_b32 s11, exec_lo
	v_cmpx_gt_u32_e64 s9, v30
	s_cbranch_execz .LBB1848_186
.LBB1848_211:                           ;   in Loop: Header=BB1848_180 Depth=2
	global_load_u16 v8, v82, s[0:1] offset:1024
	s_wait_alu 0xfffe
	s_or_b32 exec_lo, exec_lo, s11
	s_delay_alu instid0(SALU_CYCLE_1)
	s_mov_b32 s11, exec_lo
	v_cmpx_gt_u32_e64 s9, v31
	s_cbranch_execz .LBB1848_187
.LBB1848_212:                           ;   in Loop: Header=BB1848_180 Depth=2
	global_load_u16 v7, v82, s[0:1] offset:1536
	s_wait_alu 0xfffe
	s_or_b32 exec_lo, exec_lo, s11
	s_delay_alu instid0(SALU_CYCLE_1)
	s_mov_b32 s11, exec_lo
	v_cmpx_gt_u32_e64 s9, v34
	s_cbranch_execz .LBB1848_188
.LBB1848_213:                           ;   in Loop: Header=BB1848_180 Depth=2
	global_load_u16 v6, v82, s[0:1] offset:2048
	s_wait_alu 0xfffe
	s_or_b32 exec_lo, exec_lo, s11
	s_delay_alu instid0(SALU_CYCLE_1)
	s_mov_b32 s11, exec_lo
	v_cmpx_gt_u32_e64 s9, v35
	s_cbranch_execz .LBB1848_189
.LBB1848_214:                           ;   in Loop: Header=BB1848_180 Depth=2
	global_load_u16 v5, v82, s[0:1] offset:2560
	s_wait_alu 0xfffe
	s_or_b32 exec_lo, exec_lo, s11
	s_delay_alu instid0(SALU_CYCLE_1)
	s_mov_b32 s11, exec_lo
	v_cmpx_gt_u32_e64 s9, v36
	s_cbranch_execz .LBB1848_190
.LBB1848_215:                           ;   in Loop: Header=BB1848_180 Depth=2
	global_load_u16 v4, v82, s[0:1] offset:3072
	s_wait_alu 0xfffe
	s_or_b32 exec_lo, exec_lo, s11
	s_delay_alu instid0(SALU_CYCLE_1)
	s_mov_b32 s11, exec_lo
	v_cmpx_gt_u32_e64 s9, v37
	s_cbranch_execnz .LBB1848_191
	s_branch .LBB1848_192
.LBB1848_216:                           ;   in Loop: Header=BB1848_12 Depth=1
	v_mov_b32_e32 v2, 0
	s_wait_dscnt 0x0
	s_barrier_signal -1
	s_barrier_wait -1
	global_inv scope:SCOPE_SE
	s_and_saveexec_b32 s0, s2
	s_cbranch_execz .LBB1848_218
; %bb.217:                              ;   in Loop: Header=BB1848_12 Depth=1
	ds_load_2addr_b64 v[4:7], v40 offset1:1
	s_wait_dscnt 0x0
	v_add_nc_u32_e32 v2, v5, v4
	s_delay_alu instid0(VALU_DEP_1)
	v_add3_u32 v2, v2, v6, v7
.LBB1848_218:                           ;   in Loop: Header=BB1848_12 Depth=1
	s_wait_alu 0xfffe
	s_or_b32 exec_lo, exec_lo, s0
	s_delay_alu instid0(VALU_DEP_1)
	v_mov_b32_dpp v4, v2 row_shr:1 row_mask:0xf bank_mask:0xf
	v_cmp_eq_u32_e64 s0, 0, v63
	v_cmp_lt_u32_e64 s1, 1, v63
	v_cmp_lt_u32_e64 s9, 3, v63
	;; [unrolled: 1-line block ×3, first 2 shown]
	v_cmp_eq_u32_e64 s11, 0, v65
	s_wait_alu 0xf1ff
	v_cndmask_b32_e64 v4, v4, 0, s0
	s_delay_alu instid0(VALU_DEP_1) | instskip(NEXT) | instid1(VALU_DEP_1)
	v_add_nc_u32_e32 v2, v4, v2
	v_mov_b32_dpp v4, v2 row_shr:2 row_mask:0xf bank_mask:0xf
	s_delay_alu instid0(VALU_DEP_1) | instskip(NEXT) | instid1(VALU_DEP_1)
	v_cndmask_b32_e64 v4, 0, v4, s1
	v_add_nc_u32_e32 v2, v2, v4
	s_delay_alu instid0(VALU_DEP_1) | instskip(NEXT) | instid1(VALU_DEP_1)
	v_mov_b32_dpp v4, v2 row_shr:4 row_mask:0xf bank_mask:0xf
	v_cndmask_b32_e64 v4, 0, v4, s9
	s_delay_alu instid0(VALU_DEP_1) | instskip(NEXT) | instid1(VALU_DEP_1)
	v_add_nc_u32_e32 v2, v2, v4
	v_mov_b32_dpp v4, v2 row_shr:8 row_mask:0xf bank_mask:0xf
	s_delay_alu instid0(VALU_DEP_1) | instskip(NEXT) | instid1(VALU_DEP_1)
	v_cndmask_b32_e64 v4, 0, v4, s10
	v_add_nc_u32_e32 v2, v2, v4
	ds_swizzle_b32 v4, v2 offset:swizzle(BROADCAST,32,15)
	s_wait_dscnt 0x0
	v_and_b32_e32 v4, v64, v4
	s_delay_alu instid0(VALU_DEP_1)
	v_add_nc_u32_e32 v2, v2, v4
	s_and_saveexec_b32 s12, s3
; %bb.219:                              ;   in Loop: Header=BB1848_12 Depth=1
	ds_store_b32 v41, v2
; %bb.220:                              ;   in Loop: Header=BB1848_12 Depth=1
	s_wait_alu 0xfffe
	s_or_b32 exec_lo, exec_lo, s12
	s_wait_loadcnt_dscnt 0x0
	s_barrier_signal -1
	s_barrier_wait -1
	global_inv scope:SCOPE_SE
	s_and_saveexec_b32 s12, s4
	s_cbranch_execz .LBB1848_222
; %bb.221:                              ;   in Loop: Header=BB1848_12 Depth=1
	ds_load_b32 v4, v42
	v_cmp_ne_u32_e32 vcc_lo, 0, v67
	s_wait_dscnt 0x0
	v_mov_b32_dpp v5, v4 row_shr:1 row_mask:0xf bank_mask:0xf
	s_wait_alu 0xfffd
	s_delay_alu instid0(VALU_DEP_1) | instskip(SKIP_1) | instid1(VALU_DEP_2)
	v_cndmask_b32_e32 v5, 0, v5, vcc_lo
	v_cmp_lt_u32_e32 vcc_lo, 1, v67
	v_add_nc_u32_e32 v4, v5, v4
	s_delay_alu instid0(VALU_DEP_1) | instskip(SKIP_1) | instid1(VALU_DEP_1)
	v_mov_b32_dpp v5, v4 row_shr:2 row_mask:0xf bank_mask:0xf
	s_wait_alu 0xfffd
	v_cndmask_b32_e32 v5, 0, v5, vcc_lo
	v_cmp_lt_u32_e32 vcc_lo, 3, v67
	s_delay_alu instid0(VALU_DEP_2) | instskip(NEXT) | instid1(VALU_DEP_1)
	v_add_nc_u32_e32 v4, v4, v5
	v_mov_b32_dpp v5, v4 row_shr:4 row_mask:0xf bank_mask:0xf
	s_wait_alu 0xfffd
	s_delay_alu instid0(VALU_DEP_1) | instskip(NEXT) | instid1(VALU_DEP_1)
	v_cndmask_b32_e32 v5, 0, v5, vcc_lo
	v_add_nc_u32_e32 v4, v4, v5
	ds_store_b32 v42, v4
.LBB1848_222:                           ;   in Loop: Header=BB1848_12 Depth=1
	s_wait_alu 0xfffe
	s_or_b32 exec_lo, exec_lo, s12
	v_mov_b32_e32 v4, 0
	s_wait_loadcnt_dscnt 0x0
	s_barrier_signal -1
	s_barrier_wait -1
	global_inv scope:SCOPE_SE
	s_and_saveexec_b32 s12, s5
; %bb.223:                              ;   in Loop: Header=BB1848_12 Depth=1
	ds_load_b32 v4, v44
; %bb.224:                              ;   in Loop: Header=BB1848_12 Depth=1
	s_wait_alu 0xfffe
	s_or_b32 exec_lo, exec_lo, s12
	v_cmp_gt_i32_e32 vcc_lo, 0, v68
	s_wait_dscnt 0x0
	v_add_nc_u32_e32 v2, v4, v2
	s_wait_loadcnt 0x0
	s_barrier_signal -1
	s_barrier_wait -1
	s_wait_alu 0xfffd
	v_cndmask_b32_e32 v5, v68, v59, vcc_lo
	global_inv scope:SCOPE_SE
	v_lshlrev_b32_e32 v87, 2, v5
	ds_bpermute_b32 v2, v87, v2
	s_and_saveexec_b32 s12, s2
	s_cbranch_execz .LBB1848_226
; %bb.225:                              ;   in Loop: Header=BB1848_12 Depth=1
	s_wait_dscnt 0x0
	v_cndmask_b32_e64 v2, v2, v4, s8
	s_delay_alu instid0(VALU_DEP_1)
	v_add_nc_u32_e32 v2, s33, v2
	ds_store_b32 v28, v2
.LBB1848_226:                           ;   in Loop: Header=BB1848_12 Depth=1
	s_wait_alu 0xfffe
	s_or_b32 exec_lo, exec_lo, s12
	s_load_b64 s[12:13], s[28:29], 0x0
	v_add_co_u32 v88, vcc_lo, v51, v69
	s_wait_alu 0xfffd
	v_add_co_ci_u32_e64 v89, null, 0, v52, vcc_lo
	v_add_co_u32 v90, vcc_lo, v53, v77
	s_wait_alu 0xfffd
	v_add_co_ci_u32_e64 v91, null, 0, v54, vcc_lo
	s_mov_b32 s43, s47
                                        ; implicit-def: $vgpr6_vgpr7
                                        ; implicit-def: $vgpr8_vgpr9
                                        ; implicit-def: $vgpr10_vgpr11
                                        ; implicit-def: $vgpr12_vgpr13
                                        ; implicit-def: $vgpr14_vgpr15
                                        ; implicit-def: $vgpr16_vgpr17
                                        ; implicit-def: $vgpr18_vgpr19
                                        ; implicit-def: $vgpr93
                                        ; implicit-def: $vgpr94
                                        ; implicit-def: $vgpr95
                                        ; implicit-def: $vgpr96
                                        ; implicit-def: $vgpr97
                                        ; implicit-def: $vgpr98
                                        ; implicit-def: $vgpr99
                                        ; implicit-def: $vgpr100
	s_wait_kmcnt 0x0
	s_cmp_lt_u32 ttmp7, s13
	s_cselect_b32 s30, 14, 20
	s_cmp_lt_u32 ttmp9, s12
	s_wait_alu 0xfffe
	s_add_nc_u64 s[14:15], s[28:29], s[30:31]
	s_cselect_b32 s30, 12, 18
	s_load_u16 s14, s[14:15], 0x0
	s_add_nc_u64 s[12:13], s[28:29], s[30:31]
	s_mov_b32 s30, s33
	s_load_u16 s12, s[12:13], 0x0
	v_cmp_lt_u32_e64 s13, 1, v67
	s_wait_dscnt 0x0
	s_wait_kmcnt 0x0
	v_mad_u32_u24 v2, v45, s14, v0
	v_cmp_lt_u32_e64 s14, 3, v67
	s_delay_alu instid0(VALU_DEP_2) | instskip(SKIP_1) | instid1(VALU_DEP_2)
	v_mad_co_u64_u32 v[4:5], null, v2, s12, v[1:2]
	v_cmp_eq_u32_e64 s12, 0, v67
	v_lshrrev_b32_e32 v2, 3, v4
                                        ; implicit-def: $vgpr4_vgpr5
	s_delay_alu instid0(VALU_DEP_1)
	v_and_b32_e32 v92, 0x1ffffffc, v2
	s_branch .LBB1848_228
.LBB1848_227:                           ;   in Loop: Header=BB1848_228 Depth=2
	s_wait_alu 0xfffe
	s_or_b32 exec_lo, exec_lo, s15
	s_addk_co_i32 s43, 0xf800
	s_cmp_lt_u32 s44, s34
	s_mov_b32 s30, s44
	s_cbranch_scc0 .LBB1848_340
.LBB1848_228:                           ;   Parent Loop BB1848_12 Depth=1
                                        ; =>  This Inner Loop Header: Depth=2
	s_wait_alu 0xfffe
	s_add_co_i32 s44, s30, 0x800
	s_wait_alu 0xfffe
	s_cmp_gt_u32 s44, s34
	s_cbranch_scc1 .LBB1848_230
; %bb.229:                              ;   in Loop: Header=BB1848_228 Depth=2
	s_lshl_b64 s[16:17], s[30:31], 1
	s_mov_b32 s15, -1
	s_wait_alu 0xfffe
	v_add_co_u32 v20, vcc_lo, v90, s16
	s_wait_alu 0xfffd
	v_add_co_ci_u32_e64 v21, null, s17, v91, vcc_lo
	s_clause 0x6
	global_load_u16 v2, v[20:21], off
	global_load_u16 v27, v[20:21], off offset:64
	global_load_u16 v26, v[20:21], off offset:128
	;; [unrolled: 1-line block ×6, first 2 shown]
	s_movk_i32 s16, 0x800
	s_cbranch_execz .LBB1848_231
	s_branch .LBB1848_246
.LBB1848_230:                           ;   in Loop: Header=BB1848_228 Depth=2
	s_mov_b32 s15, 0
                                        ; implicit-def: $vgpr2
                                        ; implicit-def: $vgpr27
                                        ; implicit-def: $vgpr26
                                        ; implicit-def: $vgpr25
                                        ; implicit-def: $vgpr24
                                        ; implicit-def: $vgpr23
                                        ; implicit-def: $vgpr22
	s_movk_i32 s16, 0x800
.LBB1848_231:                           ;   in Loop: Header=BB1848_228 Depth=2
	s_lshl_b64 s[16:17], s[30:31], 1
	s_wait_loadcnt 0x5
	v_dual_mov_b32 v27, 0x7fff :: v_dual_mov_b32 v2, 0x7fff
	s_wait_alu 0xfffe
	v_add_co_u32 v20, vcc_lo, v90, s16
	s_wait_alu 0xfffd
	v_add_co_ci_u32_e64 v21, null, s17, v91, vcc_lo
	s_mov_b32 s15, exec_lo
	v_cmpx_gt_u32_e64 s43, v66
	s_cbranch_execz .LBB1848_233
; %bb.232:                              ;   in Loop: Header=BB1848_228 Depth=2
	global_load_u16 v2, v[20:21], off
.LBB1848_233:                           ;   in Loop: Header=BB1848_228 Depth=2
	s_wait_alu 0xfffe
	s_or_b32 exec_lo, exec_lo, s15
	s_delay_alu instid0(SALU_CYCLE_1)
	s_mov_b32 s15, exec_lo
	v_cmpx_gt_u32_e64 s43, v70
	s_cbranch_execz .LBB1848_235
; %bb.234:                              ;   in Loop: Header=BB1848_228 Depth=2
	global_load_u16 v27, v[20:21], off offset:64
.LBB1848_235:                           ;   in Loop: Header=BB1848_228 Depth=2
	s_wait_alu 0xfffe
	s_or_b32 exec_lo, exec_lo, s15
	s_wait_loadcnt 0x3
	v_dual_mov_b32 v25, 0x7fff :: v_dual_mov_b32 v26, 0x7fff
	s_mov_b32 s15, exec_lo
	v_cmpx_gt_u32_e64 s43, v71
	s_cbranch_execz .LBB1848_237
; %bb.236:                              ;   in Loop: Header=BB1848_228 Depth=2
	global_load_u16 v26, v[20:21], off offset:128
.LBB1848_237:                           ;   in Loop: Header=BB1848_228 Depth=2
	s_wait_alu 0xfffe
	s_or_b32 exec_lo, exec_lo, s15
	s_delay_alu instid0(SALU_CYCLE_1)
	s_mov_b32 s15, exec_lo
	v_cmpx_gt_u32_e64 s43, v72
	s_cbranch_execz .LBB1848_239
; %bb.238:                              ;   in Loop: Header=BB1848_228 Depth=2
	global_load_u16 v25, v[20:21], off offset:192
.LBB1848_239:                           ;   in Loop: Header=BB1848_228 Depth=2
	s_wait_alu 0xfffe
	s_or_b32 exec_lo, exec_lo, s15
	s_wait_loadcnt 0x1
	v_dual_mov_b32 v23, 0x7fff :: v_dual_mov_b32 v24, 0x7fff
	s_mov_b32 s15, exec_lo
	v_cmpx_gt_u32_e64 s43, v73
	s_cbranch_execz .LBB1848_241
; %bb.240:                              ;   in Loop: Header=BB1848_228 Depth=2
	global_load_u16 v24, v[20:21], off offset:256
.LBB1848_241:                           ;   in Loop: Header=BB1848_228 Depth=2
	s_wait_alu 0xfffe
	s_or_b32 exec_lo, exec_lo, s15
	s_delay_alu instid0(SALU_CYCLE_1)
	s_mov_b32 s15, exec_lo
	v_cmpx_gt_u32_e64 s43, v74
	s_cbranch_execz .LBB1848_243
; %bb.242:                              ;   in Loop: Header=BB1848_228 Depth=2
	global_load_u16 v23, v[20:21], off offset:320
.LBB1848_243:                           ;   in Loop: Header=BB1848_228 Depth=2
	s_wait_alu 0xfffe
	s_or_b32 exec_lo, exec_lo, s15
	s_wait_loadcnt 0x0
	v_mov_b32_e32 v22, 0x7fff
	s_mov_b32 s15, exec_lo
	v_cmpx_gt_u32_e64 s43, v75
	s_cbranch_execz .LBB1848_245
; %bb.244:                              ;   in Loop: Header=BB1848_228 Depth=2
	global_load_u16 v22, v[20:21], off offset:384
.LBB1848_245:                           ;   in Loop: Header=BB1848_228 Depth=2
	s_wait_alu 0xfffe
	s_or_b32 exec_lo, exec_lo, s15
	v_cmp_gt_u32_e64 s15, s43, v76
	s_sub_co_i32 s16, s34, s30
.LBB1848_246:                           ;   in Loop: Header=BB1848_228 Depth=2
	v_dual_mov_b32 v20, 0x7fff :: v_dual_mov_b32 v101, s43
	s_and_saveexec_b32 s17, s15
	s_cbranch_execz .LBB1848_248
; %bb.247:                              ;   in Loop: Header=BB1848_228 Depth=2
	s_lshl_b64 s[18:19], s[30:31], 1
	s_wait_alu 0xfffe
	v_mov_b32_e32 v101, s16
	v_add_co_u32 v20, vcc_lo, v90, s18
	s_wait_alu 0xfffd
	v_add_co_ci_u32_e64 v21, null, s19, v91, vcc_lo
	global_load_u16 v20, v[20:21], off offset:448
.LBB1848_248:                           ;   in Loop: Header=BB1848_228 Depth=2
	s_wait_alu 0xfffe
	s_or_b32 exec_lo, exec_lo, s17
	s_wait_loadcnt 0x6
	v_cmp_lt_i16_e32 vcc_lo, -1, v2
	ds_store_2addr_b32 v81, v3, v3 offset1:1
	ds_store_2addr_b32 v78, v3, v3 offset1:1
	;; [unrolled: 1-line block ×4, first 2 shown]
	ds_store_b32 v43, v3 offset:1088
	s_wait_loadcnt_dscnt 0x0
	s_barrier_signal -1
	s_wait_alu 0xfffd
	v_cndmask_b32_e64 v21, -1, 0xffff8000, vcc_lo
	s_barrier_wait -1
	global_inv scope:SCOPE_SE
	; wave barrier
	v_xor_b32_e32 v2, v21, v2
	s_delay_alu instid0(VALU_DEP_1) | instskip(SKIP_2) | instid1(VALU_DEP_1)
	v_cmp_ne_u16_e32 vcc_lo, 0x7fff, v2
	s_wait_alu 0xfffd
	v_cndmask_b32_e32 v21, 0xffff8000, v2, vcc_lo
	v_and_b32_e32 v21, 0xffff, v21
	s_delay_alu instid0(VALU_DEP_1) | instskip(NEXT) | instid1(VALU_DEP_1)
	v_lshrrev_b32_e32 v21, s23, v21
	v_and_b32_e32 v103, s42, v21
	s_delay_alu instid0(VALU_DEP_1)
	v_and_b32_e32 v21, 1, v103
	v_lshlrev_b32_e32 v102, 30, v103
	v_lshlrev_b32_e32 v104, 29, v103
	;; [unrolled: 1-line block ×4, first 2 shown]
	v_add_co_u32 v21, s15, v21, -1
	s_wait_alu 0xf1ff
	v_cndmask_b32_e64 v106, 0, 1, s15
	v_not_b32_e32 v110, v102
	v_cmp_gt_i32_e64 s15, 0, v102
	v_not_b32_e32 v102, v104
	v_lshlrev_b32_e32 v108, 26, v103
	v_cmp_ne_u32_e32 vcc_lo, 0, v106
	v_ashrrev_i32_e32 v110, 31, v110
	v_lshlrev_b32_e32 v109, 25, v103
	v_ashrrev_i32_e32 v102, 31, v102
	v_lshlrev_b32_e32 v106, 24, v103
	s_wait_alu 0xfffd
	v_xor_b32_e32 v21, vcc_lo, v21
	v_cmp_gt_i32_e32 vcc_lo, 0, v104
	v_not_b32_e32 v104, v105
	s_wait_alu 0xf1ff
	v_xor_b32_e32 v110, s15, v110
	v_cmp_gt_i32_e64 s15, 0, v105
	v_and_b32_e32 v21, exec_lo, v21
	v_not_b32_e32 v105, v107
	v_ashrrev_i32_e32 v104, 31, v104
	s_wait_alu 0xfffd
	v_xor_b32_e32 v102, vcc_lo, v102
	v_cmp_gt_i32_e32 vcc_lo, 0, v107
	v_and_b32_e32 v21, v21, v110
	v_not_b32_e32 v107, v108
	v_ashrrev_i32_e32 v105, 31, v105
	s_wait_alu 0xf1ff
	v_xor_b32_e32 v104, s15, v104
	v_cmp_gt_i32_e64 s15, 0, v108
	v_and_b32_e32 v21, v21, v102
	v_not_b32_e32 v102, v109
	v_ashrrev_i32_e32 v107, 31, v107
	s_wait_alu 0xfffd
	v_xor_b32_e32 v105, vcc_lo, v105
	v_cmp_gt_i32_e32 vcc_lo, 0, v109
	v_and_b32_e32 v21, v21, v104
	v_not_b32_e32 v104, v106
	v_ashrrev_i32_e32 v102, 31, v102
	s_wait_alu 0xf1ff
	v_xor_b32_e32 v107, s15, v107
	v_cmp_gt_i32_e64 s15, 0, v106
	v_and_b32_e32 v21, v21, v105
	v_ashrrev_i32_e32 v104, 31, v104
	s_wait_alu 0xfffd
	v_xor_b32_e32 v102, vcc_lo, v102
	v_mul_u32_u24_e32 v103, 36, v103
	v_and_b32_e32 v21, v21, v107
	s_wait_alu 0xf1ff
	v_xor_b32_e32 v104, s15, v104
	s_delay_alu instid0(VALU_DEP_2) | instskip(NEXT) | instid1(VALU_DEP_1)
	v_and_b32_e32 v21, v21, v102
	v_and_b32_e32 v21, v21, v104
	v_add_nc_u32_e32 v104, v92, v103
	s_delay_alu instid0(VALU_DEP_2) | instskip(SKIP_1) | instid1(VALU_DEP_2)
	v_mbcnt_lo_u32_b32 v102, v21, 0
	v_cmp_ne_u32_e64 s15, 0, v21
	v_cmp_eq_u32_e32 vcc_lo, 0, v102
	s_and_b32 s16, s15, vcc_lo
	s_wait_alu 0xfffe
	s_and_saveexec_b32 s15, s16
; %bb.249:                              ;   in Loop: Header=BB1848_228 Depth=2
	v_bcnt_u32_b32 v21, v21, 0
	ds_store_b32 v104, v21 offset:1056
; %bb.250:                              ;   in Loop: Header=BB1848_228 Depth=2
	s_wait_alu 0xfffe
	s_or_b32 exec_lo, exec_lo, s15
	v_cmp_lt_i16_e32 vcc_lo, -1, v27
	; wave barrier
	s_wait_alu 0xfffd
	v_cndmask_b32_e64 v21, -1, 0xffff8000, vcc_lo
	s_delay_alu instid0(VALU_DEP_1) | instskip(NEXT) | instid1(VALU_DEP_1)
	v_xor_b32_e32 v103, v21, v27
	v_cmp_ne_u16_e32 vcc_lo, 0x7fff, v103
	s_wait_alu 0xfffd
	v_cndmask_b32_e32 v21, 0xffff8000, v103, vcc_lo
	s_delay_alu instid0(VALU_DEP_1) | instskip(NEXT) | instid1(VALU_DEP_1)
	v_and_b32_e32 v21, 0xffff, v21
	v_lshrrev_b32_e32 v21, s23, v21
	s_delay_alu instid0(VALU_DEP_1) | instskip(NEXT) | instid1(VALU_DEP_1)
	v_and_b32_e32 v27, s42, v21
	v_and_b32_e32 v21, 1, v27
	v_lshlrev_b32_e32 v105, 30, v27
	v_lshlrev_b32_e32 v106, 29, v27
	;; [unrolled: 1-line block ×4, first 2 shown]
	v_add_co_u32 v21, s15, v21, -1
	s_wait_alu 0xf1ff
	v_cndmask_b32_e64 v108, 0, 1, s15
	v_not_b32_e32 v112, v105
	v_cmp_gt_i32_e64 s15, 0, v105
	v_not_b32_e32 v105, v106
	v_lshlrev_b32_e32 v110, 26, v27
	v_cmp_ne_u32_e32 vcc_lo, 0, v108
	v_ashrrev_i32_e32 v112, 31, v112
	v_lshlrev_b32_e32 v111, 25, v27
	v_ashrrev_i32_e32 v105, 31, v105
	v_lshlrev_b32_e32 v108, 24, v27
	s_wait_alu 0xfffd
	v_xor_b32_e32 v21, vcc_lo, v21
	v_cmp_gt_i32_e32 vcc_lo, 0, v106
	v_not_b32_e32 v106, v107
	s_wait_alu 0xf1ff
	v_xor_b32_e32 v112, s15, v112
	v_cmp_gt_i32_e64 s15, 0, v107
	v_and_b32_e32 v21, exec_lo, v21
	v_not_b32_e32 v107, v109
	v_ashrrev_i32_e32 v106, 31, v106
	s_wait_alu 0xfffd
	v_xor_b32_e32 v105, vcc_lo, v105
	v_cmp_gt_i32_e32 vcc_lo, 0, v109
	v_and_b32_e32 v21, v21, v112
	v_not_b32_e32 v109, v110
	v_ashrrev_i32_e32 v107, 31, v107
	s_wait_alu 0xf1ff
	v_xor_b32_e32 v106, s15, v106
	v_cmp_gt_i32_e64 s15, 0, v110
	v_and_b32_e32 v21, v21, v105
	v_not_b32_e32 v105, v111
	v_ashrrev_i32_e32 v109, 31, v109
	s_wait_alu 0xfffd
	v_xor_b32_e32 v107, vcc_lo, v107
	v_cmp_gt_i32_e32 vcc_lo, 0, v111
	v_and_b32_e32 v21, v21, v106
	v_not_b32_e32 v106, v108
	v_ashrrev_i32_e32 v105, 31, v105
	s_wait_alu 0xf1ff
	v_xor_b32_e32 v109, s15, v109
	v_cmp_gt_i32_e64 s15, 0, v108
	v_and_b32_e32 v21, v21, v107
	v_ashrrev_i32_e32 v106, 31, v106
	s_wait_alu 0xfffd
	v_xor_b32_e32 v105, vcc_lo, v105
	v_mad_u32_u24 v107, v27, 36, v92
	v_mul_u32_u24_e32 v27, 36, v27
	v_and_b32_e32 v21, v21, v109
	s_wait_alu 0xf1ff
	v_xor_b32_e32 v106, s15, v106
	s_delay_alu instid0(VALU_DEP_3) | instskip(NEXT) | instid1(VALU_DEP_3)
	v_add_nc_u32_e32 v108, v92, v27
	v_and_b32_e32 v21, v21, v105
	ds_load_b32 v105, v107 offset:1056
	; wave barrier
	v_and_b32_e32 v21, v21, v106
	s_delay_alu instid0(VALU_DEP_1) | instskip(SKIP_1) | instid1(VALU_DEP_2)
	v_mbcnt_lo_u32_b32 v106, v21, 0
	v_cmp_ne_u32_e64 s15, 0, v21
	v_cmp_eq_u32_e32 vcc_lo, 0, v106
	s_and_b32 s16, s15, vcc_lo
	s_wait_alu 0xfffe
	s_and_saveexec_b32 s15, s16
	s_cbranch_execz .LBB1848_252
; %bb.251:                              ;   in Loop: Header=BB1848_228 Depth=2
	s_wait_dscnt 0x0
	v_bcnt_u32_b32 v21, v21, v105
	ds_store_b32 v108, v21 offset:1056
.LBB1848_252:                           ;   in Loop: Header=BB1848_228 Depth=2
	s_wait_alu 0xfffe
	s_or_b32 exec_lo, exec_lo, s15
	v_cmp_lt_i16_e32 vcc_lo, -1, v26
	; wave barrier
	s_wait_alu 0xfffd
	v_cndmask_b32_e64 v21, -1, 0xffff8000, vcc_lo
	s_delay_alu instid0(VALU_DEP_1) | instskip(NEXT) | instid1(VALU_DEP_1)
	v_xor_b32_e32 v107, v21, v26
	v_cmp_ne_u16_e32 vcc_lo, 0x7fff, v107
	s_wait_alu 0xfffd
	v_cndmask_b32_e32 v21, 0xffff8000, v107, vcc_lo
	s_delay_alu instid0(VALU_DEP_1) | instskip(NEXT) | instid1(VALU_DEP_1)
	v_and_b32_e32 v21, 0xffff, v21
	v_lshrrev_b32_e32 v21, s23, v21
	s_delay_alu instid0(VALU_DEP_1) | instskip(NEXT) | instid1(VALU_DEP_1)
	v_and_b32_e32 v26, s42, v21
	v_and_b32_e32 v21, 1, v26
	v_lshlrev_b32_e32 v27, 30, v26
	v_lshlrev_b32_e32 v109, 29, v26
	;; [unrolled: 1-line block ×4, first 2 shown]
	v_add_co_u32 v21, s15, v21, -1
	s_wait_alu 0xf1ff
	v_cndmask_b32_e64 v111, 0, 1, s15
	v_not_b32_e32 v115, v27
	v_cmp_gt_i32_e64 s15, 0, v27
	v_not_b32_e32 v27, v109
	v_lshlrev_b32_e32 v113, 26, v26
	v_cmp_ne_u32_e32 vcc_lo, 0, v111
	v_ashrrev_i32_e32 v115, 31, v115
	v_lshlrev_b32_e32 v114, 25, v26
	v_ashrrev_i32_e32 v27, 31, v27
	v_lshlrev_b32_e32 v111, 24, v26
	s_wait_alu 0xfffd
	v_xor_b32_e32 v21, vcc_lo, v21
	v_cmp_gt_i32_e32 vcc_lo, 0, v109
	v_not_b32_e32 v109, v110
	s_wait_alu 0xf1ff
	v_xor_b32_e32 v115, s15, v115
	v_cmp_gt_i32_e64 s15, 0, v110
	v_and_b32_e32 v21, exec_lo, v21
	v_not_b32_e32 v110, v112
	v_ashrrev_i32_e32 v109, 31, v109
	s_wait_alu 0xfffd
	v_xor_b32_e32 v27, vcc_lo, v27
	v_cmp_gt_i32_e32 vcc_lo, 0, v112
	v_and_b32_e32 v21, v21, v115
	v_not_b32_e32 v112, v113
	v_ashrrev_i32_e32 v110, 31, v110
	s_wait_alu 0xf1ff
	v_xor_b32_e32 v109, s15, v109
	v_cmp_gt_i32_e64 s15, 0, v113
	v_and_b32_e32 v21, v21, v27
	v_not_b32_e32 v27, v114
	v_ashrrev_i32_e32 v112, 31, v112
	s_wait_alu 0xfffd
	v_xor_b32_e32 v110, vcc_lo, v110
	v_cmp_gt_i32_e32 vcc_lo, 0, v114
	v_and_b32_e32 v21, v21, v109
	v_not_b32_e32 v109, v111
	v_ashrrev_i32_e32 v27, 31, v27
	s_wait_alu 0xf1ff
	v_xor_b32_e32 v112, s15, v112
	v_cmp_gt_i32_e64 s15, 0, v111
	v_and_b32_e32 v21, v21, v110
	v_ashrrev_i32_e32 v109, 31, v109
	s_wait_alu 0xfffd
	v_xor_b32_e32 v27, vcc_lo, v27
	v_mad_u32_u24 v110, v26, 36, v92
	v_mul_u32_u24_e32 v26, 36, v26
	v_and_b32_e32 v21, v21, v112
	s_wait_alu 0xf1ff
	v_xor_b32_e32 v111, s15, v109
	ds_load_b32 v109, v110 offset:1056
	v_add_nc_u32_e32 v112, v92, v26
	v_and_b32_e32 v21, v21, v27
	; wave barrier
	s_delay_alu instid0(VALU_DEP_1) | instskip(NEXT) | instid1(VALU_DEP_1)
	v_and_b32_e32 v21, v21, v111
	v_mbcnt_lo_u32_b32 v111, v21, 0
	v_cmp_ne_u32_e64 s15, 0, v21
	s_delay_alu instid0(VALU_DEP_2)
	v_cmp_eq_u32_e32 vcc_lo, 0, v111
	s_and_b32 s16, s15, vcc_lo
	s_wait_alu 0xfffe
	s_and_saveexec_b32 s15, s16
	s_cbranch_execz .LBB1848_254
; %bb.253:                              ;   in Loop: Header=BB1848_228 Depth=2
	s_wait_dscnt 0x0
	v_bcnt_u32_b32 v21, v21, v109
	ds_store_b32 v112, v21 offset:1056
.LBB1848_254:                           ;   in Loop: Header=BB1848_228 Depth=2
	s_wait_alu 0xfffe
	s_or_b32 exec_lo, exec_lo, s15
	v_cmp_lt_i16_e32 vcc_lo, -1, v25
	; wave barrier
	s_wait_alu 0xfffd
	v_cndmask_b32_e64 v21, -1, 0xffff8000, vcc_lo
	s_delay_alu instid0(VALU_DEP_1) | instskip(NEXT) | instid1(VALU_DEP_1)
	v_xor_b32_e32 v110, v21, v25
	v_cmp_ne_u16_e32 vcc_lo, 0x7fff, v110
	s_wait_alu 0xfffd
	v_cndmask_b32_e32 v21, 0xffff8000, v110, vcc_lo
	s_delay_alu instid0(VALU_DEP_1) | instskip(NEXT) | instid1(VALU_DEP_1)
	v_and_b32_e32 v21, 0xffff, v21
	v_lshrrev_b32_e32 v21, s23, v21
	s_delay_alu instid0(VALU_DEP_1) | instskip(NEXT) | instid1(VALU_DEP_1)
	v_and_b32_e32 v25, s42, v21
	v_and_b32_e32 v21, 1, v25
	v_lshlrev_b32_e32 v26, 30, v25
	v_lshlrev_b32_e32 v27, 29, v25
	;; [unrolled: 1-line block ×4, first 2 shown]
	v_add_co_u32 v21, s15, v21, -1
	s_wait_alu 0xf1ff
	v_cndmask_b32_e64 v114, 0, 1, s15
	v_not_b32_e32 v118, v26
	v_cmp_gt_i32_e64 s15, 0, v26
	v_not_b32_e32 v26, v27
	v_lshlrev_b32_e32 v116, 26, v25
	v_cmp_ne_u32_e32 vcc_lo, 0, v114
	v_ashrrev_i32_e32 v118, 31, v118
	v_lshlrev_b32_e32 v117, 25, v25
	v_ashrrev_i32_e32 v26, 31, v26
	v_lshlrev_b32_e32 v114, 24, v25
	s_wait_alu 0xfffd
	v_xor_b32_e32 v21, vcc_lo, v21
	v_cmp_gt_i32_e32 vcc_lo, 0, v27
	v_not_b32_e32 v27, v113
	s_wait_alu 0xf1ff
	v_xor_b32_e32 v118, s15, v118
	v_cmp_gt_i32_e64 s15, 0, v113
	v_and_b32_e32 v21, exec_lo, v21
	v_not_b32_e32 v113, v115
	v_ashrrev_i32_e32 v27, 31, v27
	s_wait_alu 0xfffd
	v_xor_b32_e32 v26, vcc_lo, v26
	v_cmp_gt_i32_e32 vcc_lo, 0, v115
	v_and_b32_e32 v21, v21, v118
	v_not_b32_e32 v115, v116
	v_ashrrev_i32_e32 v113, 31, v113
	s_wait_alu 0xf1ff
	v_xor_b32_e32 v27, s15, v27
	v_cmp_gt_i32_e64 s15, 0, v116
	v_and_b32_e32 v21, v21, v26
	v_not_b32_e32 v26, v117
	v_ashrrev_i32_e32 v115, 31, v115
	s_wait_alu 0xfffd
	v_xor_b32_e32 v113, vcc_lo, v113
	v_cmp_gt_i32_e32 vcc_lo, 0, v117
	v_and_b32_e32 v21, v21, v27
	v_not_b32_e32 v27, v114
	v_ashrrev_i32_e32 v26, 31, v26
	s_wait_alu 0xf1ff
	v_xor_b32_e32 v115, s15, v115
	v_cmp_gt_i32_e64 s15, 0, v114
	v_and_b32_e32 v21, v21, v113
	v_ashrrev_i32_e32 v27, 31, v27
	s_wait_alu 0xfffd
	v_xor_b32_e32 v26, vcc_lo, v26
	v_mad_u32_u24 v113, v25, 36, v92
	v_mul_u32_u24_e32 v25, 36, v25
	v_and_b32_e32 v21, v21, v115
	s_wait_alu 0xf1ff
	v_xor_b32_e32 v27, s15, v27
	ds_load_b32 v113, v113 offset:1056
	v_add_nc_u32_e32 v116, v92, v25
	v_and_b32_e32 v21, v21, v26
	; wave barrier
	s_delay_alu instid0(VALU_DEP_1) | instskip(NEXT) | instid1(VALU_DEP_1)
	v_and_b32_e32 v21, v21, v27
	v_mbcnt_lo_u32_b32 v115, v21, 0
	v_cmp_ne_u32_e64 s15, 0, v21
	s_delay_alu instid0(VALU_DEP_2)
	v_cmp_eq_u32_e32 vcc_lo, 0, v115
	s_and_b32 s16, s15, vcc_lo
	s_wait_alu 0xfffe
	s_and_saveexec_b32 s15, s16
	s_cbranch_execz .LBB1848_256
; %bb.255:                              ;   in Loop: Header=BB1848_228 Depth=2
	s_wait_dscnt 0x0
	v_bcnt_u32_b32 v21, v21, v113
	ds_store_b32 v116, v21 offset:1056
.LBB1848_256:                           ;   in Loop: Header=BB1848_228 Depth=2
	s_wait_alu 0xfffe
	s_or_b32 exec_lo, exec_lo, s15
	v_cmp_lt_i16_e32 vcc_lo, -1, v24
	; wave barrier
	s_wait_alu 0xfffd
	v_cndmask_b32_e64 v21, -1, 0xffff8000, vcc_lo
	s_delay_alu instid0(VALU_DEP_1) | instskip(NEXT) | instid1(VALU_DEP_1)
	v_xor_b32_e32 v114, v21, v24
	v_cmp_ne_u16_e32 vcc_lo, 0x7fff, v114
	s_wait_alu 0xfffd
	v_cndmask_b32_e32 v21, 0xffff8000, v114, vcc_lo
	s_delay_alu instid0(VALU_DEP_1) | instskip(NEXT) | instid1(VALU_DEP_1)
	v_and_b32_e32 v21, 0xffff, v21
	v_lshrrev_b32_e32 v21, s23, v21
	s_delay_alu instid0(VALU_DEP_1) | instskip(NEXT) | instid1(VALU_DEP_1)
	v_and_b32_e32 v24, s42, v21
	v_and_b32_e32 v21, 1, v24
	v_lshlrev_b32_e32 v25, 30, v24
	v_lshlrev_b32_e32 v26, 29, v24
	;; [unrolled: 1-line block ×4, first 2 shown]
	v_add_co_u32 v21, s15, v21, -1
	s_wait_alu 0xf1ff
	v_cndmask_b32_e64 v117, 0, 1, s15
	v_not_b32_e32 v121, v25
	v_cmp_gt_i32_e64 s15, 0, v25
	v_not_b32_e32 v25, v26
	v_lshlrev_b32_e32 v119, 26, v24
	v_cmp_ne_u32_e32 vcc_lo, 0, v117
	v_ashrrev_i32_e32 v121, 31, v121
	v_lshlrev_b32_e32 v120, 25, v24
	v_ashrrev_i32_e32 v25, 31, v25
	v_lshlrev_b32_e32 v117, 24, v24
	s_wait_alu 0xfffd
	v_xor_b32_e32 v21, vcc_lo, v21
	v_cmp_gt_i32_e32 vcc_lo, 0, v26
	v_not_b32_e32 v26, v27
	s_wait_alu 0xf1ff
	v_xor_b32_e32 v121, s15, v121
	v_cmp_gt_i32_e64 s15, 0, v27
	v_and_b32_e32 v21, exec_lo, v21
	v_not_b32_e32 v27, v118
	v_ashrrev_i32_e32 v26, 31, v26
	s_wait_alu 0xfffd
	v_xor_b32_e32 v25, vcc_lo, v25
	v_cmp_gt_i32_e32 vcc_lo, 0, v118
	v_and_b32_e32 v21, v21, v121
	v_not_b32_e32 v118, v119
	v_ashrrev_i32_e32 v27, 31, v27
	s_wait_alu 0xf1ff
	v_xor_b32_e32 v26, s15, v26
	v_cmp_gt_i32_e64 s15, 0, v119
	v_and_b32_e32 v21, v21, v25
	v_not_b32_e32 v25, v120
	v_ashrrev_i32_e32 v118, 31, v118
	s_wait_alu 0xfffd
	v_xor_b32_e32 v27, vcc_lo, v27
	v_cmp_gt_i32_e32 vcc_lo, 0, v120
	v_and_b32_e32 v21, v21, v26
	v_not_b32_e32 v26, v117
	v_ashrrev_i32_e32 v25, 31, v25
	s_wait_alu 0xf1ff
	v_xor_b32_e32 v118, s15, v118
	v_cmp_gt_i32_e64 s15, 0, v117
	v_and_b32_e32 v21, v21, v27
	v_ashrrev_i32_e32 v26, 31, v26
	s_wait_alu 0xfffd
	v_xor_b32_e32 v25, vcc_lo, v25
	v_mad_u32_u24 v27, v24, 36, v92
	v_mul_u32_u24_e32 v24, 36, v24
	v_and_b32_e32 v21, v21, v118
	s_wait_alu 0xf1ff
	v_xor_b32_e32 v26, s15, v26
	ds_load_b32 v117, v27 offset:1056
	v_add_nc_u32_e32 v120, v92, v24
	v_and_b32_e32 v21, v21, v25
	; wave barrier
	s_delay_alu instid0(VALU_DEP_1) | instskip(NEXT) | instid1(VALU_DEP_1)
	v_and_b32_e32 v21, v21, v26
	v_mbcnt_lo_u32_b32 v119, v21, 0
	v_cmp_ne_u32_e64 s15, 0, v21
	s_delay_alu instid0(VALU_DEP_2)
	v_cmp_eq_u32_e32 vcc_lo, 0, v119
	s_and_b32 s16, s15, vcc_lo
	s_wait_alu 0xfffe
	s_and_saveexec_b32 s15, s16
	s_cbranch_execz .LBB1848_258
; %bb.257:                              ;   in Loop: Header=BB1848_228 Depth=2
	s_wait_dscnt 0x0
	v_bcnt_u32_b32 v21, v21, v117
	ds_store_b32 v120, v21 offset:1056
.LBB1848_258:                           ;   in Loop: Header=BB1848_228 Depth=2
	s_wait_alu 0xfffe
	s_or_b32 exec_lo, exec_lo, s15
	v_cmp_lt_i16_e32 vcc_lo, -1, v23
	; wave barrier
	s_wait_alu 0xfffd
	v_cndmask_b32_e64 v21, -1, 0xffff8000, vcc_lo
	s_delay_alu instid0(VALU_DEP_1) | instskip(NEXT) | instid1(VALU_DEP_1)
	v_xor_b32_e32 v118, v21, v23
	v_cmp_ne_u16_e32 vcc_lo, 0x7fff, v118
	s_wait_alu 0xfffd
	v_cndmask_b32_e32 v21, 0xffff8000, v118, vcc_lo
	s_delay_alu instid0(VALU_DEP_1) | instskip(NEXT) | instid1(VALU_DEP_1)
	v_and_b32_e32 v21, 0xffff, v21
	v_lshrrev_b32_e32 v21, s23, v21
	s_delay_alu instid0(VALU_DEP_1) | instskip(NEXT) | instid1(VALU_DEP_1)
	v_and_b32_e32 v23, s42, v21
	v_and_b32_e32 v21, 1, v23
	v_lshlrev_b32_e32 v24, 30, v23
	v_lshlrev_b32_e32 v25, 29, v23
	;; [unrolled: 1-line block ×4, first 2 shown]
	v_add_co_u32 v21, s15, v21, -1
	s_wait_alu 0xf1ff
	v_cndmask_b32_e64 v27, 0, 1, s15
	v_not_b32_e32 v124, v24
	v_cmp_gt_i32_e64 s15, 0, v24
	v_not_b32_e32 v24, v25
	v_lshlrev_b32_e32 v122, 26, v23
	v_cmp_ne_u32_e32 vcc_lo, 0, v27
	v_ashrrev_i32_e32 v124, 31, v124
	v_lshlrev_b32_e32 v123, 25, v23
	v_ashrrev_i32_e32 v24, 31, v24
	v_lshlrev_b32_e32 v27, 24, v23
	s_wait_alu 0xfffd
	v_xor_b32_e32 v21, vcc_lo, v21
	v_cmp_gt_i32_e32 vcc_lo, 0, v25
	v_not_b32_e32 v25, v26
	s_wait_alu 0xf1ff
	v_xor_b32_e32 v124, s15, v124
	v_cmp_gt_i32_e64 s15, 0, v26
	v_and_b32_e32 v21, exec_lo, v21
	v_not_b32_e32 v26, v121
	v_ashrrev_i32_e32 v25, 31, v25
	s_wait_alu 0xfffd
	v_xor_b32_e32 v24, vcc_lo, v24
	v_cmp_gt_i32_e32 vcc_lo, 0, v121
	v_and_b32_e32 v21, v21, v124
	v_not_b32_e32 v121, v122
	v_ashrrev_i32_e32 v26, 31, v26
	s_wait_alu 0xf1ff
	v_xor_b32_e32 v25, s15, v25
	v_cmp_gt_i32_e64 s15, 0, v122
	v_and_b32_e32 v21, v21, v24
	v_not_b32_e32 v24, v123
	v_ashrrev_i32_e32 v121, 31, v121
	s_wait_alu 0xfffd
	v_xor_b32_e32 v26, vcc_lo, v26
	v_cmp_gt_i32_e32 vcc_lo, 0, v123
	v_and_b32_e32 v21, v21, v25
	v_not_b32_e32 v25, v27
	v_ashrrev_i32_e32 v24, 31, v24
	s_wait_alu 0xf1ff
	v_xor_b32_e32 v121, s15, v121
	v_cmp_gt_i32_e64 s15, 0, v27
	v_and_b32_e32 v21, v21, v26
	v_ashrrev_i32_e32 v25, 31, v25
	s_wait_alu 0xfffd
	v_xor_b32_e32 v24, vcc_lo, v24
	v_mad_u32_u24 v26, v23, 36, v92
	v_mul_u32_u24_e32 v23, 36, v23
	v_and_b32_e32 v21, v21, v121
	s_wait_alu 0xf1ff
	v_xor_b32_e32 v25, s15, v25
	ds_load_b32 v121, v26 offset:1056
	v_add_nc_u32_e32 v124, v92, v23
	v_and_b32_e32 v21, v21, v24
	; wave barrier
	s_delay_alu instid0(VALU_DEP_1) | instskip(NEXT) | instid1(VALU_DEP_1)
	v_and_b32_e32 v21, v21, v25
	v_mbcnt_lo_u32_b32 v123, v21, 0
	v_cmp_ne_u32_e64 s15, 0, v21
	s_delay_alu instid0(VALU_DEP_2)
	v_cmp_eq_u32_e32 vcc_lo, 0, v123
	s_and_b32 s16, s15, vcc_lo
	s_wait_alu 0xfffe
	s_and_saveexec_b32 s15, s16
	s_cbranch_execz .LBB1848_260
; %bb.259:                              ;   in Loop: Header=BB1848_228 Depth=2
	s_wait_dscnt 0x0
	v_bcnt_u32_b32 v21, v21, v121
	ds_store_b32 v124, v21 offset:1056
.LBB1848_260:                           ;   in Loop: Header=BB1848_228 Depth=2
	s_wait_alu 0xfffe
	s_or_b32 exec_lo, exec_lo, s15
	v_cmp_lt_i16_e32 vcc_lo, -1, v22
	; wave barrier
	s_wait_alu 0xfffd
	v_cndmask_b32_e64 v21, -1, 0xffff8000, vcc_lo
	s_delay_alu instid0(VALU_DEP_1) | instskip(NEXT) | instid1(VALU_DEP_1)
	v_xor_b32_e32 v122, v21, v22
	v_cmp_ne_u16_e32 vcc_lo, 0x7fff, v122
	s_wait_alu 0xfffd
	v_cndmask_b32_e32 v21, 0xffff8000, v122, vcc_lo
	s_delay_alu instid0(VALU_DEP_1) | instskip(NEXT) | instid1(VALU_DEP_1)
	v_and_b32_e32 v21, 0xffff, v21
	v_lshrrev_b32_e32 v21, s23, v21
	s_delay_alu instid0(VALU_DEP_1) | instskip(NEXT) | instid1(VALU_DEP_1)
	v_and_b32_e32 v22, s42, v21
	v_and_b32_e32 v21, 1, v22
	v_lshlrev_b32_e32 v23, 30, v22
	v_lshlrev_b32_e32 v24, 29, v22
	;; [unrolled: 1-line block ×4, first 2 shown]
	v_add_co_u32 v21, s15, v21, -1
	s_wait_alu 0xf1ff
	v_cndmask_b32_e64 v26, 0, 1, s15
	v_not_b32_e32 v127, v23
	v_cmp_gt_i32_e64 s15, 0, v23
	v_not_b32_e32 v23, v24
	v_lshlrev_b32_e32 v125, 26, v22
	v_cmp_ne_u32_e32 vcc_lo, 0, v26
	v_ashrrev_i32_e32 v127, 31, v127
	v_lshlrev_b32_e32 v126, 25, v22
	v_ashrrev_i32_e32 v23, 31, v23
	v_lshlrev_b32_e32 v26, 24, v22
	s_wait_alu 0xfffd
	v_xor_b32_e32 v21, vcc_lo, v21
	v_cmp_gt_i32_e32 vcc_lo, 0, v24
	v_not_b32_e32 v24, v25
	s_wait_alu 0xf1ff
	v_xor_b32_e32 v127, s15, v127
	v_cmp_gt_i32_e64 s15, 0, v25
	v_and_b32_e32 v21, exec_lo, v21
	v_not_b32_e32 v25, v27
	v_ashrrev_i32_e32 v24, 31, v24
	s_wait_alu 0xfffd
	v_xor_b32_e32 v23, vcc_lo, v23
	v_cmp_gt_i32_e32 vcc_lo, 0, v27
	v_and_b32_e32 v21, v21, v127
	v_not_b32_e32 v27, v125
	v_ashrrev_i32_e32 v25, 31, v25
	s_wait_alu 0xf1ff
	v_xor_b32_e32 v24, s15, v24
	v_cmp_gt_i32_e64 s15, 0, v125
	v_and_b32_e32 v21, v21, v23
	v_not_b32_e32 v23, v126
	v_ashrrev_i32_e32 v27, 31, v27
	s_wait_alu 0xfffd
	v_xor_b32_e32 v25, vcc_lo, v25
	v_cmp_gt_i32_e32 vcc_lo, 0, v126
	v_and_b32_e32 v21, v21, v24
	v_not_b32_e32 v24, v26
	v_ashrrev_i32_e32 v23, 31, v23
	s_wait_alu 0xf1ff
	v_xor_b32_e32 v27, s15, v27
	v_cmp_gt_i32_e64 s15, 0, v26
	v_and_b32_e32 v21, v21, v25
	v_ashrrev_i32_e32 v24, 31, v24
	s_wait_alu 0xfffd
	v_xor_b32_e32 v23, vcc_lo, v23
	v_mad_u32_u24 v25, v22, 36, v92
	v_mul_u32_u24_e32 v22, 36, v22
	v_and_b32_e32 v21, v21, v27
	s_wait_alu 0xf1ff
	v_xor_b32_e32 v24, s15, v24
	ds_load_b32 v125, v25 offset:1056
	v_add_nc_u32_e32 v128, v92, v22
	v_and_b32_e32 v21, v21, v23
	; wave barrier
	s_delay_alu instid0(VALU_DEP_1) | instskip(NEXT) | instid1(VALU_DEP_1)
	v_and_b32_e32 v21, v21, v24
	v_mbcnt_lo_u32_b32 v126, v21, 0
	v_cmp_ne_u32_e64 s15, 0, v21
	s_delay_alu instid0(VALU_DEP_2)
	v_cmp_eq_u32_e32 vcc_lo, 0, v126
	s_and_b32 s16, s15, vcc_lo
	s_wait_alu 0xfffe
	s_and_saveexec_b32 s15, s16
	s_cbranch_execz .LBB1848_262
; %bb.261:                              ;   in Loop: Header=BB1848_228 Depth=2
	s_wait_dscnt 0x0
	v_bcnt_u32_b32 v21, v21, v125
	ds_store_b32 v128, v21 offset:1056
.LBB1848_262:                           ;   in Loop: Header=BB1848_228 Depth=2
	s_wait_alu 0xfffe
	s_or_b32 exec_lo, exec_lo, s15
	v_cmp_lt_i16_e32 vcc_lo, -1, v20
	; wave barrier
	s_wait_alu 0xfffd
	v_cndmask_b32_e64 v21, -1, 0xffff8000, vcc_lo
	s_delay_alu instid0(VALU_DEP_1) | instskip(NEXT) | instid1(VALU_DEP_1)
	v_xor_b32_e32 v127, v21, v20
	v_cmp_ne_u16_e32 vcc_lo, 0x7fff, v127
	s_wait_alu 0xfffd
	v_cndmask_b32_e32 v20, 0xffff8000, v127, vcc_lo
	s_delay_alu instid0(VALU_DEP_1) | instskip(NEXT) | instid1(VALU_DEP_1)
	v_and_b32_e32 v20, 0xffff, v20
	v_lshrrev_b32_e32 v20, s23, v20
	s_delay_alu instid0(VALU_DEP_1) | instskip(NEXT) | instid1(VALU_DEP_1)
	v_and_b32_e32 v21, s42, v20
	v_and_b32_e32 v20, 1, v21
	v_lshlrev_b32_e32 v22, 30, v21
	v_lshlrev_b32_e32 v23, 29, v21
	;; [unrolled: 1-line block ×4, first 2 shown]
	v_add_co_u32 v20, s15, v20, -1
	s_wait_alu 0xf1ff
	v_cndmask_b32_e64 v25, 0, 1, s15
	v_not_b32_e32 v130, v22
	v_cmp_gt_i32_e64 s15, 0, v22
	v_not_b32_e32 v22, v23
	v_lshlrev_b32_e32 v27, 26, v21
	v_cmp_ne_u32_e32 vcc_lo, 0, v25
	v_ashrrev_i32_e32 v130, 31, v130
	v_lshlrev_b32_e32 v129, 25, v21
	v_ashrrev_i32_e32 v22, 31, v22
	v_lshlrev_b32_e32 v25, 24, v21
	s_wait_alu 0xfffd
	v_xor_b32_e32 v20, vcc_lo, v20
	v_cmp_gt_i32_e32 vcc_lo, 0, v23
	v_not_b32_e32 v23, v24
	s_wait_alu 0xf1ff
	v_xor_b32_e32 v130, s15, v130
	v_cmp_gt_i32_e64 s15, 0, v24
	v_and_b32_e32 v20, exec_lo, v20
	v_not_b32_e32 v24, v26
	v_ashrrev_i32_e32 v23, 31, v23
	s_wait_alu 0xfffd
	v_xor_b32_e32 v22, vcc_lo, v22
	v_cmp_gt_i32_e32 vcc_lo, 0, v26
	v_and_b32_e32 v20, v20, v130
	v_not_b32_e32 v26, v27
	v_ashrrev_i32_e32 v24, 31, v24
	s_wait_alu 0xf1ff
	v_xor_b32_e32 v23, s15, v23
	v_cmp_gt_i32_e64 s15, 0, v27
	v_and_b32_e32 v20, v20, v22
	v_not_b32_e32 v22, v129
	v_ashrrev_i32_e32 v26, 31, v26
	s_wait_alu 0xfffd
	v_xor_b32_e32 v24, vcc_lo, v24
	v_cmp_gt_i32_e32 vcc_lo, 0, v129
	v_and_b32_e32 v20, v20, v23
	v_not_b32_e32 v23, v25
	v_ashrrev_i32_e32 v22, 31, v22
	s_wait_alu 0xf1ff
	v_xor_b32_e32 v26, s15, v26
	v_cmp_gt_i32_e64 s15, 0, v25
	v_and_b32_e32 v20, v20, v24
	v_ashrrev_i32_e32 v23, 31, v23
	s_wait_alu 0xfffd
	v_xor_b32_e32 v22, vcc_lo, v22
	v_mad_u32_u24 v24, v21, 36, v92
	v_mul_u32_u24_e32 v21, 36, v21
	v_and_b32_e32 v20, v20, v26
	s_wait_alu 0xf1ff
	v_xor_b32_e32 v23, s15, v23
	ds_load_b32 v129, v24 offset:1056
	v_add_nc_u32_e32 v131, v92, v21
	v_and_b32_e32 v20, v20, v22
	; wave barrier
	s_delay_alu instid0(VALU_DEP_1) | instskip(NEXT) | instid1(VALU_DEP_1)
	v_and_b32_e32 v20, v20, v23
	v_mbcnt_lo_u32_b32 v130, v20, 0
	v_cmp_ne_u32_e64 s15, 0, v20
	s_delay_alu instid0(VALU_DEP_2)
	v_cmp_eq_u32_e32 vcc_lo, 0, v130
	s_and_b32 s16, s15, vcc_lo
	s_wait_alu 0xfffe
	s_and_saveexec_b32 s15, s16
	s_cbranch_execz .LBB1848_264
; %bb.263:                              ;   in Loop: Header=BB1848_228 Depth=2
	s_wait_dscnt 0x0
	v_bcnt_u32_b32 v20, v20, v129
	ds_store_b32 v131, v20 offset:1056
.LBB1848_264:                           ;   in Loop: Header=BB1848_228 Depth=2
	s_wait_alu 0xfffe
	s_or_b32 exec_lo, exec_lo, s15
	; wave barrier
	s_wait_loadcnt_dscnt 0x0
	s_barrier_signal -1
	s_barrier_wait -1
	global_inv scope:SCOPE_SE
	ds_load_2addr_b32 v[26:27], v78 offset1:1
	ds_load_2addr_b32 v[24:25], v79 offset1:1
	;; [unrolled: 1-line block ×4, first 2 shown]
	ds_load_b32 v132, v43 offset:1088
	s_wait_dscnt 0x3
	v_add3_u32 v133, v27, v26, v24
	s_wait_dscnt 0x2
	s_delay_alu instid0(VALU_DEP_1) | instskip(SKIP_1) | instid1(VALU_DEP_1)
	v_add3_u32 v133, v133, v25, v22
	s_wait_dscnt 0x1
	v_add3_u32 v133, v133, v23, v20
	s_wait_dscnt 0x0
	s_delay_alu instid0(VALU_DEP_1) | instskip(NEXT) | instid1(VALU_DEP_1)
	v_add3_u32 v132, v133, v21, v132
	v_mov_b32_dpp v133, v132 row_shr:1 row_mask:0xf bank_mask:0xf
	s_delay_alu instid0(VALU_DEP_1) | instskip(NEXT) | instid1(VALU_DEP_1)
	v_cndmask_b32_e64 v133, v133, 0, s0
	v_add_nc_u32_e32 v132, v133, v132
	s_delay_alu instid0(VALU_DEP_1) | instskip(NEXT) | instid1(VALU_DEP_1)
	v_mov_b32_dpp v133, v132 row_shr:2 row_mask:0xf bank_mask:0xf
	v_cndmask_b32_e64 v133, 0, v133, s1
	s_delay_alu instid0(VALU_DEP_1) | instskip(NEXT) | instid1(VALU_DEP_1)
	v_add_nc_u32_e32 v132, v132, v133
	v_mov_b32_dpp v133, v132 row_shr:4 row_mask:0xf bank_mask:0xf
	s_delay_alu instid0(VALU_DEP_1) | instskip(NEXT) | instid1(VALU_DEP_1)
	v_cndmask_b32_e64 v133, 0, v133, s9
	v_add_nc_u32_e32 v132, v132, v133
	s_delay_alu instid0(VALU_DEP_1) | instskip(NEXT) | instid1(VALU_DEP_1)
	v_mov_b32_dpp v133, v132 row_shr:8 row_mask:0xf bank_mask:0xf
	v_cndmask_b32_e64 v133, 0, v133, s10
	s_delay_alu instid0(VALU_DEP_1) | instskip(SKIP_3) | instid1(VALU_DEP_1)
	v_add_nc_u32_e32 v132, v132, v133
	ds_swizzle_b32 v133, v132 offset:swizzle(BROADCAST,32,15)
	s_wait_dscnt 0x0
	v_cndmask_b32_e64 v133, v133, 0, s11
	v_add_nc_u32_e32 v132, v132, v133
	s_and_saveexec_b32 s15, s3
; %bb.265:                              ;   in Loop: Header=BB1848_228 Depth=2
	ds_store_b32 v38, v132 offset:1024
; %bb.266:                              ;   in Loop: Header=BB1848_228 Depth=2
	s_wait_alu 0xfffe
	s_or_b32 exec_lo, exec_lo, s15
	s_wait_loadcnt_dscnt 0x0
	s_barrier_signal -1
	s_barrier_wait -1
	global_inv scope:SCOPE_SE
	s_and_saveexec_b32 s15, s4
	s_cbranch_execz .LBB1848_268
; %bb.267:                              ;   in Loop: Header=BB1848_228 Depth=2
	ds_load_b32 v133, v46 offset:1024
	s_wait_dscnt 0x0
	v_mov_b32_dpp v134, v133 row_shr:1 row_mask:0xf bank_mask:0xf
	s_delay_alu instid0(VALU_DEP_1) | instskip(NEXT) | instid1(VALU_DEP_1)
	v_cndmask_b32_e64 v134, v134, 0, s12
	v_add_nc_u32_e32 v133, v134, v133
	s_delay_alu instid0(VALU_DEP_1) | instskip(NEXT) | instid1(VALU_DEP_1)
	v_mov_b32_dpp v134, v133 row_shr:2 row_mask:0xf bank_mask:0xf
	v_cndmask_b32_e64 v134, 0, v134, s13
	s_delay_alu instid0(VALU_DEP_1) | instskip(NEXT) | instid1(VALU_DEP_1)
	v_add_nc_u32_e32 v133, v133, v134
	v_mov_b32_dpp v134, v133 row_shr:4 row_mask:0xf bank_mask:0xf
	s_delay_alu instid0(VALU_DEP_1) | instskip(NEXT) | instid1(VALU_DEP_1)
	v_cndmask_b32_e64 v134, 0, v134, s14
	v_add_nc_u32_e32 v133, v133, v134
	ds_store_b32 v46, v133 offset:1024
.LBB1848_268:                           ;   in Loop: Header=BB1848_228 Depth=2
	s_wait_alu 0xfffe
	s_or_b32 exec_lo, exec_lo, s15
	v_mov_b32_e32 v133, 0
	s_wait_loadcnt_dscnt 0x0
	s_barrier_signal -1
	s_barrier_wait -1
	global_inv scope:SCOPE_SE
	s_and_saveexec_b32 s15, s5
; %bb.269:                              ;   in Loop: Header=BB1848_228 Depth=2
	ds_load_b32 v133, v38 offset:1020
; %bb.270:                              ;   in Loop: Header=BB1848_228 Depth=2
	s_wait_alu 0xfffe
	s_or_b32 exec_lo, exec_lo, s15
	s_wait_dscnt 0x0
	v_add_nc_u32_e32 v132, v133, v132
	ds_bpermute_b32 v132, v87, v132
	s_wait_dscnt 0x0
	v_cndmask_b32_e64 v132, v132, v133, s8
	s_delay_alu instid0(VALU_DEP_1) | instskip(NEXT) | instid1(VALU_DEP_1)
	v_cndmask_b32_e64 v132, v132, 0, s6
	v_add_nc_u32_e32 v26, v132, v26
	s_delay_alu instid0(VALU_DEP_1) | instskip(NEXT) | instid1(VALU_DEP_1)
	v_add_nc_u32_e32 v27, v26, v27
	v_add_nc_u32_e32 v24, v27, v24
	s_delay_alu instid0(VALU_DEP_1) | instskip(NEXT) | instid1(VALU_DEP_1)
	v_add_nc_u32_e32 v25, v24, v25
	;; [unrolled: 3-line block ×3, first 2 shown]
	v_add_nc_u32_e32 v20, v23, v20
	s_delay_alu instid0(VALU_DEP_1)
	v_add_nc_u32_e32 v21, v20, v21
	ds_store_2addr_b32 v81, v23, v20 offset1:1
	ds_store_2addr_b32 v78, v132, v26 offset1:1
	;; [unrolled: 1-line block ×4, first 2 shown]
	ds_store_b32 v43, v21 offset:1088
	s_wait_loadcnt_dscnt 0x0
	s_barrier_signal -1
	s_barrier_wait -1
	global_inv scope:SCOPE_SE
	ds_load_b32 v23, v104 offset:1056
	ds_load_b32 v24, v108 offset:1056
	;; [unrolled: 1-line block ×9, first 2 shown]
	v_mov_b32_e32 v22, 0x800
	s_and_saveexec_b32 s15, s7
; %bb.271:                              ;   in Loop: Header=BB1848_228 Depth=2
	ds_load_b32 v22, v43 offset:1092
; %bb.272:                              ;   in Loop: Header=BB1848_228 Depth=2
	s_wait_alu 0xfffe
	s_or_b32 exec_lo, exec_lo, s15
	s_wait_loadcnt_dscnt 0x0
	s_barrier_signal -1
	s_barrier_wait -1
	global_inv scope:SCOPE_SE
	s_and_saveexec_b32 s15, s2
	s_cbranch_execz .LBB1848_274
; %bb.273:                              ;   in Loop: Header=BB1848_228 Depth=2
	ds_load_b32 v108, v28
	s_wait_dscnt 0x0
	v_sub_nc_u32_e32 v104, v108, v104
	ds_store_b32 v28, v104
.LBB1848_274:                           ;   in Loop: Header=BB1848_228 Depth=2
	s_wait_alu 0xfffe
	s_or_b32 exec_lo, exec_lo, s15
	v_add_nc_u32_e32 v108, v23, v102
	v_add3_u32 v104, v106, v105, v24
	v_add3_u32 v102, v111, v109, v25
	;; [unrolled: 1-line block ×4, first 2 shown]
	v_lshlrev_b32_e32 v105, 1, v108
	v_lshlrev_b32_e32 v106, 1, v104
	v_add3_u32 v23, v123, v121, v112
	v_lshlrev_b32_e32 v109, 1, v102
	v_add3_u32 v27, v126, v125, v20
	v_add3_u32 v26, v130, v129, v21
	ds_store_b16 v105, v2 offset:1024
	ds_store_b16 v106, v103 offset:1024
	;; [unrolled: 1-line block ×3, first 2 shown]
	v_lshlrev_b32_e32 v2, 1, v25
	v_cmp_lt_u32_e32 vcc_lo, v1, v101
	v_lshlrev_b32_e32 v20, 1, v24
	v_lshlrev_b32_e32 v21, 1, v23
	;; [unrolled: 1-line block ×4, first 2 shown]
	ds_store_b16 v2, v110 offset:1024
	ds_store_b16 v20, v114 offset:1024
	;; [unrolled: 1-line block ×5, first 2 shown]
	s_wait_loadcnt_dscnt 0x0
	s_barrier_signal -1
	s_barrier_wait -1
	global_inv scope:SCOPE_SE
	s_and_saveexec_b32 s16, vcc_lo
	s_cbranch_execnz .LBB1848_311
; %bb.275:                              ;   in Loop: Header=BB1848_228 Depth=2
	s_wait_alu 0xfffe
	s_or_b32 exec_lo, exec_lo, s16
	v_cmp_lt_u32_e64 s15, v29, v101
	s_and_saveexec_b32 s17, s15
	s_cbranch_execnz .LBB1848_312
.LBB1848_276:                           ;   in Loop: Header=BB1848_228 Depth=2
	s_wait_alu 0xfffe
	s_or_b32 exec_lo, exec_lo, s17
	v_cmp_lt_u32_e64 s16, v30, v101
	s_and_saveexec_b32 s18, s16
	s_cbranch_execnz .LBB1848_313
.LBB1848_277:                           ;   in Loop: Header=BB1848_228 Depth=2
	s_wait_alu 0xfffe
	s_or_b32 exec_lo, exec_lo, s18
	v_cmp_lt_u32_e64 s17, v31, v101
	s_and_saveexec_b32 s19, s17
	s_cbranch_execnz .LBB1848_314
.LBB1848_278:                           ;   in Loop: Header=BB1848_228 Depth=2
	s_wait_alu 0xfffe
	s_or_b32 exec_lo, exec_lo, s19
	v_cmp_lt_u32_e64 s18, v34, v101
	s_and_saveexec_b32 s20, s18
	s_cbranch_execnz .LBB1848_315
.LBB1848_279:                           ;   in Loop: Header=BB1848_228 Depth=2
	s_wait_alu 0xfffe
	s_or_b32 exec_lo, exec_lo, s20
	v_cmp_lt_u32_e64 s19, v35, v101
	s_and_saveexec_b32 s21, s19
	s_cbranch_execnz .LBB1848_316
.LBB1848_280:                           ;   in Loop: Header=BB1848_228 Depth=2
	s_wait_alu 0xfffe
	s_or_b32 exec_lo, exec_lo, s21
	v_cmp_lt_u32_e64 s20, v36, v101
	s_and_saveexec_b32 s22, s20
	s_cbranch_execnz .LBB1848_317
.LBB1848_281:                           ;   in Loop: Header=BB1848_228 Depth=2
	s_wait_alu 0xfffe
	s_or_b32 exec_lo, exec_lo, s22
	v_cmp_lt_u32_e64 s21, v37, v101
	s_and_saveexec_b32 s48, s21
	s_cbranch_execz .LBB1848_283
.LBB1848_282:                           ;   in Loop: Header=BB1848_228 Depth=2
	ds_load_u16 v103, v47 offset:4608
	s_wait_dscnt 0x0
	v_cmp_ne_u16_e64 s22, 0x7fff, v103
	s_wait_alu 0xf1ff
	s_delay_alu instid0(VALU_DEP_1) | instskip(SKIP_1) | instid1(VALU_DEP_2)
	v_cndmask_b32_e64 v2, 0xffff8000, v103, s22
	v_cmp_lt_i16_e64 s22, -1, v103
	v_and_b32_e32 v2, 0xffff, v2
	s_wait_alu 0xf1ff
	s_delay_alu instid0(VALU_DEP_2) | instskip(NEXT) | instid1(VALU_DEP_2)
	v_cndmask_b32_e64 v105, 0xffff8000, -1, s22
	v_lshrrev_b32_e32 v2, s23, v2
	s_delay_alu instid0(VALU_DEP_1) | instskip(NEXT) | instid1(VALU_DEP_1)
	v_and_b32_e32 v2, s42, v2
	v_lshlrev_b32_e32 v2, 2, v2
	ds_load_b32 v2, v2
	s_wait_dscnt 0x0
	v_add_nc_u32_e32 v2, v2, v37
	s_delay_alu instid0(VALU_DEP_1) | instskip(SKIP_1) | instid1(VALU_DEP_2)
	v_lshlrev_b64_e32 v[20:21], 1, v[2:3]
	v_xor_b32_e32 v2, v105, v103
	v_add_co_u32 v20, s22, s40, v20
	s_wait_alu 0xf1ff
	s_delay_alu instid0(VALU_DEP_3)
	v_add_co_ci_u32_e64 v21, null, s41, v21, s22
	global_store_b16 v[20:21], v2, off
.LBB1848_283:                           ;   in Loop: Header=BB1848_228 Depth=2
	s_wait_alu 0xfffe
	s_or_b32 exec_lo, exec_lo, s48
	s_lshl_b64 s[48:49], s[30:31], 3
	s_wait_alu 0xfffe
	v_add_co_u32 v20, s22, v88, s48
	s_wait_alu 0xf1ff
	v_add_co_ci_u32_e64 v21, null, s49, v89, s22
	v_cmp_lt_u32_e64 s22, v66, v101
	s_and_saveexec_b32 s30, s22
	s_wait_alu 0xfffe
	s_xor_b32 s22, exec_lo, s30
	s_cbranch_execnz .LBB1848_318
; %bb.284:                              ;   in Loop: Header=BB1848_228 Depth=2
	s_wait_alu 0xfffe
	s_or_b32 exec_lo, exec_lo, s22
	s_delay_alu instid0(SALU_CYCLE_1)
	s_mov_b32 s30, exec_lo
	v_cmpx_lt_u32_e64 v70, v101
	s_cbranch_execnz .LBB1848_319
.LBB1848_285:                           ;   in Loop: Header=BB1848_228 Depth=2
	s_wait_alu 0xfffe
	s_or_b32 exec_lo, exec_lo, s30
	s_delay_alu instid0(SALU_CYCLE_1)
	s_mov_b32 s30, exec_lo
	v_cmpx_lt_u32_e64 v71, v101
	s_cbranch_execnz .LBB1848_320
.LBB1848_286:                           ;   in Loop: Header=BB1848_228 Depth=2
	s_wait_alu 0xfffe
	s_or_b32 exec_lo, exec_lo, s30
	s_delay_alu instid0(SALU_CYCLE_1)
	s_mov_b32 s30, exec_lo
	v_cmpx_lt_u32_e64 v72, v101
	s_cbranch_execnz .LBB1848_321
.LBB1848_287:                           ;   in Loop: Header=BB1848_228 Depth=2
	s_wait_alu 0xfffe
	s_or_b32 exec_lo, exec_lo, s30
	s_delay_alu instid0(SALU_CYCLE_1)
	s_mov_b32 s30, exec_lo
	v_cmpx_lt_u32_e64 v73, v101
	s_cbranch_execnz .LBB1848_322
.LBB1848_288:                           ;   in Loop: Header=BB1848_228 Depth=2
	s_wait_alu 0xfffe
	s_or_b32 exec_lo, exec_lo, s30
	s_delay_alu instid0(SALU_CYCLE_1)
	s_mov_b32 s30, exec_lo
	v_cmpx_lt_u32_e64 v74, v101
	s_cbranch_execnz .LBB1848_323
.LBB1848_289:                           ;   in Loop: Header=BB1848_228 Depth=2
	s_wait_alu 0xfffe
	s_or_b32 exec_lo, exec_lo, s30
	s_delay_alu instid0(SALU_CYCLE_1)
	s_mov_b32 s30, exec_lo
	v_cmpx_lt_u32_e64 v75, v101
	s_cbranch_execnz .LBB1848_324
.LBB1848_290:                           ;   in Loop: Header=BB1848_228 Depth=2
	s_wait_alu 0xfffe
	s_or_b32 exec_lo, exec_lo, s30
	s_delay_alu instid0(SALU_CYCLE_1)
	s_mov_b32 s30, exec_lo
	v_cmpx_lt_u32_e64 v76, v101
	s_cbranch_execnz .LBB1848_325
.LBB1848_291:                           ;   in Loop: Header=BB1848_228 Depth=2
	s_wait_alu 0xfffe
	s_or_b32 exec_lo, exec_lo, s30
	s_and_saveexec_b32 s30, vcc_lo
	s_cbranch_execnz .LBB1848_326
.LBB1848_292:                           ;   in Loop: Header=BB1848_228 Depth=2
	s_wait_alu 0xfffe
	s_or_b32 exec_lo, exec_lo, s30
	s_and_saveexec_b32 s30, s15
	s_cbranch_execnz .LBB1848_327
.LBB1848_293:                           ;   in Loop: Header=BB1848_228 Depth=2
	s_wait_alu 0xfffe
	s_or_b32 exec_lo, exec_lo, s30
	s_and_saveexec_b32 s30, s16
	s_cbranch_execnz .LBB1848_328
.LBB1848_294:                           ;   in Loop: Header=BB1848_228 Depth=2
	s_wait_alu 0xfffe
	s_or_b32 exec_lo, exec_lo, s30
	s_and_saveexec_b32 s30, s17
	s_cbranch_execnz .LBB1848_329
.LBB1848_295:                           ;   in Loop: Header=BB1848_228 Depth=2
	s_wait_alu 0xfffe
	s_or_b32 exec_lo, exec_lo, s30
	s_and_saveexec_b32 s30, s18
	s_cbranch_execnz .LBB1848_330
.LBB1848_296:                           ;   in Loop: Header=BB1848_228 Depth=2
	s_wait_alu 0xfffe
	s_or_b32 exec_lo, exec_lo, s30
	s_and_saveexec_b32 s30, s19
	s_cbranch_execnz .LBB1848_331
.LBB1848_297:                           ;   in Loop: Header=BB1848_228 Depth=2
	s_wait_alu 0xfffe
	s_or_b32 exec_lo, exec_lo, s30
	s_and_saveexec_b32 s30, s20
	s_cbranch_execnz .LBB1848_332
.LBB1848_298:                           ;   in Loop: Header=BB1848_228 Depth=2
	s_wait_alu 0xfffe
	s_or_b32 exec_lo, exec_lo, s30
	s_and_saveexec_b32 s30, s21
	s_cbranch_execz .LBB1848_300
.LBB1848_299:                           ;   in Loop: Header=BB1848_228 Depth=2
	ds_load_u16 v2, v47 offset:4608
	s_wait_dscnt 0x0
	v_cmp_ne_u16_e64 s22, 0x7fff, v2
	s_wait_alu 0xf1ff
	s_delay_alu instid0(VALU_DEP_1) | instskip(NEXT) | instid1(VALU_DEP_1)
	v_cndmask_b32_e64 v2, 0xffff8000, v2, s22
	v_and_b32_e32 v2, 0xffff, v2
	s_delay_alu instid0(VALU_DEP_1) | instskip(NEXT) | instid1(VALU_DEP_1)
	v_lshrrev_b32_e32 v2, s23, v2
	v_and_b32_e32 v93, s42, v2
.LBB1848_300:                           ;   in Loop: Header=BB1848_228 Depth=2
	s_wait_alu 0xfffe
	s_or_b32 exec_lo, exec_lo, s30
	v_lshlrev_b32_e32 v2, 3, v108
	v_lshlrev_b32_e32 v20, 3, v104
	;; [unrolled: 1-line block ×3, first 2 shown]
	s_wait_loadcnt 0x0
	s_wait_storecnt 0x0
	s_barrier_signal -1
	s_barrier_wait -1
	global_inv scope:SCOPE_SE
	ds_store_b64 v2, v[18:19] offset:1024
	ds_store_b64 v20, v[16:17] offset:1024
	;; [unrolled: 1-line block ×3, first 2 shown]
	v_lshlrev_b32_e32 v2, 3, v25
	v_lshlrev_b32_e32 v20, 3, v24
	v_lshlrev_b32_e32 v21, 3, v23
	v_lshlrev_b32_e32 v23, 3, v27
	v_lshlrev_b32_e32 v24, 3, v26
	ds_store_b64 v2, v[12:13] offset:1024
	ds_store_b64 v20, v[10:11] offset:1024
	;; [unrolled: 1-line block ×5, first 2 shown]
	s_wait_loadcnt_dscnt 0x0
	s_barrier_signal -1
	s_barrier_wait -1
	global_inv scope:SCOPE_SE
	s_and_saveexec_b32 s22, vcc_lo
	s_cbranch_execnz .LBB1848_333
; %bb.301:                              ;   in Loop: Header=BB1848_228 Depth=2
	s_wait_alu 0xfffe
	s_or_b32 exec_lo, exec_lo, s22
	s_and_saveexec_b32 s22, s15
	s_cbranch_execnz .LBB1848_334
.LBB1848_302:                           ;   in Loop: Header=BB1848_228 Depth=2
	s_wait_alu 0xfffe
	s_or_b32 exec_lo, exec_lo, s22
	s_and_saveexec_b32 s15, s16
	s_cbranch_execnz .LBB1848_335
.LBB1848_303:                           ;   in Loop: Header=BB1848_228 Depth=2
	s_wait_alu 0xfffe
	s_or_b32 exec_lo, exec_lo, s15
	s_and_saveexec_b32 s15, s17
	s_cbranch_execnz .LBB1848_336
.LBB1848_304:                           ;   in Loop: Header=BB1848_228 Depth=2
	s_wait_alu 0xfffe
	s_or_b32 exec_lo, exec_lo, s15
	s_and_saveexec_b32 s15, s18
	s_cbranch_execnz .LBB1848_337
.LBB1848_305:                           ;   in Loop: Header=BB1848_228 Depth=2
	s_wait_alu 0xfffe
	s_or_b32 exec_lo, exec_lo, s15
	s_and_saveexec_b32 s15, s19
	s_cbranch_execnz .LBB1848_338
.LBB1848_306:                           ;   in Loop: Header=BB1848_228 Depth=2
	s_wait_alu 0xfffe
	s_or_b32 exec_lo, exec_lo, s15
	s_and_saveexec_b32 s15, s20
	s_cbranch_execnz .LBB1848_339
.LBB1848_307:                           ;   in Loop: Header=BB1848_228 Depth=2
	s_wait_alu 0xfffe
	s_or_b32 exec_lo, exec_lo, s15
	s_and_saveexec_b32 s15, s21
	s_cbranch_execz .LBB1848_309
.LBB1848_308:                           ;   in Loop: Header=BB1848_228 Depth=2
	v_lshlrev_b32_e32 v2, 2, v93
	v_add_nc_u32_e32 v20, v47, v48
	ds_load_b32 v2, v2
	ds_load_b64 v[20:21], v20 offset:15360
	s_wait_dscnt 0x1
	v_add_nc_u32_e32 v2, v2, v37
	s_delay_alu instid0(VALU_DEP_1) | instskip(NEXT) | instid1(VALU_DEP_1)
	v_lshlrev_b64_e32 v[23:24], 3, v[2:3]
	v_add_co_u32 v23, vcc_lo, s26, v23
	s_wait_alu 0xfffd
	s_delay_alu instid0(VALU_DEP_2)
	v_add_co_ci_u32_e64 v24, null, s27, v24, vcc_lo
	s_wait_dscnt 0x0
	global_store_b64 v[23:24], v[20:21], off
.LBB1848_309:                           ;   in Loop: Header=BB1848_228 Depth=2
	s_wait_alu 0xfffe
	s_or_b32 exec_lo, exec_lo, s15
	s_wait_loadcnt 0x0
	s_wait_storecnt 0x0
	s_barrier_signal -1
	s_barrier_wait -1
	global_inv scope:SCOPE_SE
	s_and_saveexec_b32 s15, s2
	s_cbranch_execz .LBB1848_227
; %bb.310:                              ;   in Loop: Header=BB1848_228 Depth=2
	ds_load_b32 v2, v28
	s_wait_dscnt 0x0
	v_add_nc_u32_e32 v2, v2, v22
	ds_store_b32 v28, v2
	s_branch .LBB1848_227
.LBB1848_311:                           ;   in Loop: Header=BB1848_228 Depth=2
	ds_load_u16 v103, v47 offset:1024
	s_wait_dscnt 0x0
	v_cmp_ne_u16_e64 s15, 0x7fff, v103
	s_wait_alu 0xf1ff
	s_delay_alu instid0(VALU_DEP_1) | instskip(SKIP_1) | instid1(VALU_DEP_2)
	v_cndmask_b32_e64 v2, 0xffff8000, v103, s15
	v_cmp_lt_i16_e64 s15, -1, v103
	v_and_b32_e32 v2, 0xffff, v2
	s_wait_alu 0xf1ff
	s_delay_alu instid0(VALU_DEP_2) | instskip(NEXT) | instid1(VALU_DEP_2)
	v_cndmask_b32_e64 v105, 0xffff8000, -1, s15
	v_lshrrev_b32_e32 v2, s23, v2
	s_delay_alu instid0(VALU_DEP_1) | instskip(NEXT) | instid1(VALU_DEP_1)
	v_and_b32_e32 v2, s42, v2
	v_lshlrev_b32_e32 v2, 2, v2
	ds_load_b32 v2, v2
	s_wait_dscnt 0x0
	v_add_nc_u32_e32 v2, v2, v1
	s_delay_alu instid0(VALU_DEP_1) | instskip(SKIP_1) | instid1(VALU_DEP_2)
	v_lshlrev_b64_e32 v[20:21], 1, v[2:3]
	v_xor_b32_e32 v2, v105, v103
	v_add_co_u32 v20, s15, s40, v20
	s_wait_alu 0xf1ff
	s_delay_alu instid0(VALU_DEP_3)
	v_add_co_ci_u32_e64 v21, null, s41, v21, s15
	global_store_b16 v[20:21], v2, off
	s_wait_alu 0xfffe
	s_or_b32 exec_lo, exec_lo, s16
	v_cmp_lt_u32_e64 s15, v29, v101
	s_and_saveexec_b32 s17, s15
	s_cbranch_execz .LBB1848_276
.LBB1848_312:                           ;   in Loop: Header=BB1848_228 Depth=2
	ds_load_u16 v103, v47 offset:1536
	s_wait_dscnt 0x0
	v_cmp_ne_u16_e64 s16, 0x7fff, v103
	s_wait_alu 0xf1ff
	s_delay_alu instid0(VALU_DEP_1) | instskip(SKIP_1) | instid1(VALU_DEP_2)
	v_cndmask_b32_e64 v2, 0xffff8000, v103, s16
	v_cmp_lt_i16_e64 s16, -1, v103
	v_and_b32_e32 v2, 0xffff, v2
	s_wait_alu 0xf1ff
	s_delay_alu instid0(VALU_DEP_2) | instskip(NEXT) | instid1(VALU_DEP_2)
	v_cndmask_b32_e64 v105, 0xffff8000, -1, s16
	v_lshrrev_b32_e32 v2, s23, v2
	s_delay_alu instid0(VALU_DEP_1) | instskip(NEXT) | instid1(VALU_DEP_1)
	v_and_b32_e32 v2, s42, v2
	v_lshlrev_b32_e32 v2, 2, v2
	ds_load_b32 v2, v2
	s_wait_dscnt 0x0
	v_add_nc_u32_e32 v2, v2, v29
	s_delay_alu instid0(VALU_DEP_1) | instskip(SKIP_1) | instid1(VALU_DEP_2)
	v_lshlrev_b64_e32 v[20:21], 1, v[2:3]
	v_xor_b32_e32 v2, v105, v103
	v_add_co_u32 v20, s16, s40, v20
	s_wait_alu 0xf1ff
	s_delay_alu instid0(VALU_DEP_3)
	v_add_co_ci_u32_e64 v21, null, s41, v21, s16
	global_store_b16 v[20:21], v2, off
	s_wait_alu 0xfffe
	s_or_b32 exec_lo, exec_lo, s17
	v_cmp_lt_u32_e64 s16, v30, v101
	s_and_saveexec_b32 s18, s16
	s_cbranch_execz .LBB1848_277
.LBB1848_313:                           ;   in Loop: Header=BB1848_228 Depth=2
	ds_load_u16 v103, v47 offset:2048
	s_wait_dscnt 0x0
	v_cmp_ne_u16_e64 s17, 0x7fff, v103
	s_wait_alu 0xf1ff
	s_delay_alu instid0(VALU_DEP_1) | instskip(SKIP_1) | instid1(VALU_DEP_2)
	v_cndmask_b32_e64 v2, 0xffff8000, v103, s17
	v_cmp_lt_i16_e64 s17, -1, v103
	v_and_b32_e32 v2, 0xffff, v2
	s_wait_alu 0xf1ff
	s_delay_alu instid0(VALU_DEP_2) | instskip(NEXT) | instid1(VALU_DEP_2)
	v_cndmask_b32_e64 v105, 0xffff8000, -1, s17
	v_lshrrev_b32_e32 v2, s23, v2
	s_delay_alu instid0(VALU_DEP_1) | instskip(NEXT) | instid1(VALU_DEP_1)
	v_and_b32_e32 v2, s42, v2
	v_lshlrev_b32_e32 v2, 2, v2
	ds_load_b32 v2, v2
	s_wait_dscnt 0x0
	v_add_nc_u32_e32 v2, v2, v30
	s_delay_alu instid0(VALU_DEP_1) | instskip(SKIP_1) | instid1(VALU_DEP_2)
	v_lshlrev_b64_e32 v[20:21], 1, v[2:3]
	v_xor_b32_e32 v2, v105, v103
	v_add_co_u32 v20, s17, s40, v20
	s_wait_alu 0xf1ff
	s_delay_alu instid0(VALU_DEP_3)
	v_add_co_ci_u32_e64 v21, null, s41, v21, s17
	global_store_b16 v[20:21], v2, off
	s_wait_alu 0xfffe
	s_or_b32 exec_lo, exec_lo, s18
	v_cmp_lt_u32_e64 s17, v31, v101
	s_and_saveexec_b32 s19, s17
	s_cbranch_execz .LBB1848_278
.LBB1848_314:                           ;   in Loop: Header=BB1848_228 Depth=2
	ds_load_u16 v103, v47 offset:2560
	s_wait_dscnt 0x0
	v_cmp_ne_u16_e64 s18, 0x7fff, v103
	s_wait_alu 0xf1ff
	s_delay_alu instid0(VALU_DEP_1) | instskip(SKIP_1) | instid1(VALU_DEP_2)
	v_cndmask_b32_e64 v2, 0xffff8000, v103, s18
	v_cmp_lt_i16_e64 s18, -1, v103
	v_and_b32_e32 v2, 0xffff, v2
	s_wait_alu 0xf1ff
	s_delay_alu instid0(VALU_DEP_2) | instskip(NEXT) | instid1(VALU_DEP_2)
	v_cndmask_b32_e64 v105, 0xffff8000, -1, s18
	v_lshrrev_b32_e32 v2, s23, v2
	s_delay_alu instid0(VALU_DEP_1) | instskip(NEXT) | instid1(VALU_DEP_1)
	v_and_b32_e32 v2, s42, v2
	v_lshlrev_b32_e32 v2, 2, v2
	ds_load_b32 v2, v2
	s_wait_dscnt 0x0
	v_add_nc_u32_e32 v2, v2, v31
	s_delay_alu instid0(VALU_DEP_1) | instskip(SKIP_1) | instid1(VALU_DEP_2)
	v_lshlrev_b64_e32 v[20:21], 1, v[2:3]
	v_xor_b32_e32 v2, v105, v103
	v_add_co_u32 v20, s18, s40, v20
	s_wait_alu 0xf1ff
	s_delay_alu instid0(VALU_DEP_3)
	v_add_co_ci_u32_e64 v21, null, s41, v21, s18
	global_store_b16 v[20:21], v2, off
	s_wait_alu 0xfffe
	s_or_b32 exec_lo, exec_lo, s19
	v_cmp_lt_u32_e64 s18, v34, v101
	s_and_saveexec_b32 s20, s18
	s_cbranch_execz .LBB1848_279
.LBB1848_315:                           ;   in Loop: Header=BB1848_228 Depth=2
	ds_load_u16 v103, v47 offset:3072
	s_wait_dscnt 0x0
	v_cmp_ne_u16_e64 s19, 0x7fff, v103
	s_wait_alu 0xf1ff
	s_delay_alu instid0(VALU_DEP_1) | instskip(SKIP_1) | instid1(VALU_DEP_2)
	v_cndmask_b32_e64 v2, 0xffff8000, v103, s19
	v_cmp_lt_i16_e64 s19, -1, v103
	v_and_b32_e32 v2, 0xffff, v2
	s_wait_alu 0xf1ff
	s_delay_alu instid0(VALU_DEP_2) | instskip(NEXT) | instid1(VALU_DEP_2)
	v_cndmask_b32_e64 v105, 0xffff8000, -1, s19
	v_lshrrev_b32_e32 v2, s23, v2
	s_delay_alu instid0(VALU_DEP_1) | instskip(NEXT) | instid1(VALU_DEP_1)
	v_and_b32_e32 v2, s42, v2
	v_lshlrev_b32_e32 v2, 2, v2
	ds_load_b32 v2, v2
	s_wait_dscnt 0x0
	v_add_nc_u32_e32 v2, v2, v34
	s_delay_alu instid0(VALU_DEP_1) | instskip(SKIP_1) | instid1(VALU_DEP_2)
	v_lshlrev_b64_e32 v[20:21], 1, v[2:3]
	v_xor_b32_e32 v2, v105, v103
	v_add_co_u32 v20, s19, s40, v20
	s_wait_alu 0xf1ff
	s_delay_alu instid0(VALU_DEP_3)
	v_add_co_ci_u32_e64 v21, null, s41, v21, s19
	global_store_b16 v[20:21], v2, off
	s_wait_alu 0xfffe
	s_or_b32 exec_lo, exec_lo, s20
	v_cmp_lt_u32_e64 s19, v35, v101
	s_and_saveexec_b32 s21, s19
	s_cbranch_execz .LBB1848_280
.LBB1848_316:                           ;   in Loop: Header=BB1848_228 Depth=2
	ds_load_u16 v103, v47 offset:3584
	s_wait_dscnt 0x0
	v_cmp_ne_u16_e64 s20, 0x7fff, v103
	s_wait_alu 0xf1ff
	s_delay_alu instid0(VALU_DEP_1) | instskip(SKIP_1) | instid1(VALU_DEP_2)
	v_cndmask_b32_e64 v2, 0xffff8000, v103, s20
	v_cmp_lt_i16_e64 s20, -1, v103
	v_and_b32_e32 v2, 0xffff, v2
	s_wait_alu 0xf1ff
	s_delay_alu instid0(VALU_DEP_2) | instskip(NEXT) | instid1(VALU_DEP_2)
	v_cndmask_b32_e64 v105, 0xffff8000, -1, s20
	v_lshrrev_b32_e32 v2, s23, v2
	s_delay_alu instid0(VALU_DEP_1) | instskip(NEXT) | instid1(VALU_DEP_1)
	v_and_b32_e32 v2, s42, v2
	v_lshlrev_b32_e32 v2, 2, v2
	ds_load_b32 v2, v2
	s_wait_dscnt 0x0
	v_add_nc_u32_e32 v2, v2, v35
	s_delay_alu instid0(VALU_DEP_1) | instskip(SKIP_1) | instid1(VALU_DEP_2)
	v_lshlrev_b64_e32 v[20:21], 1, v[2:3]
	v_xor_b32_e32 v2, v105, v103
	v_add_co_u32 v20, s20, s40, v20
	s_wait_alu 0xf1ff
	s_delay_alu instid0(VALU_DEP_3)
	v_add_co_ci_u32_e64 v21, null, s41, v21, s20
	global_store_b16 v[20:21], v2, off
	s_wait_alu 0xfffe
	s_or_b32 exec_lo, exec_lo, s21
	v_cmp_lt_u32_e64 s20, v36, v101
	s_and_saveexec_b32 s22, s20
	s_cbranch_execz .LBB1848_281
.LBB1848_317:                           ;   in Loop: Header=BB1848_228 Depth=2
	ds_load_u16 v103, v47 offset:4096
	s_wait_dscnt 0x0
	v_cmp_ne_u16_e64 s21, 0x7fff, v103
	s_wait_alu 0xf1ff
	s_delay_alu instid0(VALU_DEP_1) | instskip(SKIP_1) | instid1(VALU_DEP_2)
	v_cndmask_b32_e64 v2, 0xffff8000, v103, s21
	v_cmp_lt_i16_e64 s21, -1, v103
	v_and_b32_e32 v2, 0xffff, v2
	s_wait_alu 0xf1ff
	s_delay_alu instid0(VALU_DEP_2) | instskip(NEXT) | instid1(VALU_DEP_2)
	v_cndmask_b32_e64 v105, 0xffff8000, -1, s21
	v_lshrrev_b32_e32 v2, s23, v2
	s_delay_alu instid0(VALU_DEP_1) | instskip(NEXT) | instid1(VALU_DEP_1)
	v_and_b32_e32 v2, s42, v2
	v_lshlrev_b32_e32 v2, 2, v2
	ds_load_b32 v2, v2
	s_wait_dscnt 0x0
	v_add_nc_u32_e32 v2, v2, v36
	s_delay_alu instid0(VALU_DEP_1) | instskip(SKIP_1) | instid1(VALU_DEP_2)
	v_lshlrev_b64_e32 v[20:21], 1, v[2:3]
	v_xor_b32_e32 v2, v105, v103
	v_add_co_u32 v20, s21, s40, v20
	s_wait_alu 0xf1ff
	s_delay_alu instid0(VALU_DEP_3)
	v_add_co_ci_u32_e64 v21, null, s41, v21, s21
	global_store_b16 v[20:21], v2, off
	s_wait_alu 0xfffe
	s_or_b32 exec_lo, exec_lo, s22
	v_cmp_lt_u32_e64 s21, v37, v101
	s_and_saveexec_b32 s48, s21
	s_cbranch_execnz .LBB1848_282
	s_branch .LBB1848_283
.LBB1848_318:                           ;   in Loop: Header=BB1848_228 Depth=2
	global_load_b64 v[18:19], v[20:21], off
	s_wait_alu 0xfffe
	s_or_b32 exec_lo, exec_lo, s22
	s_delay_alu instid0(SALU_CYCLE_1)
	s_mov_b32 s30, exec_lo
	v_cmpx_lt_u32_e64 v70, v101
	s_cbranch_execz .LBB1848_285
.LBB1848_319:                           ;   in Loop: Header=BB1848_228 Depth=2
	global_load_b64 v[16:17], v[20:21], off offset:256
	s_wait_alu 0xfffe
	s_or_b32 exec_lo, exec_lo, s30
	s_delay_alu instid0(SALU_CYCLE_1)
	s_mov_b32 s30, exec_lo
	v_cmpx_lt_u32_e64 v71, v101
	s_cbranch_execz .LBB1848_286
.LBB1848_320:                           ;   in Loop: Header=BB1848_228 Depth=2
	global_load_b64 v[14:15], v[20:21], off offset:512
	s_wait_alu 0xfffe
	s_or_b32 exec_lo, exec_lo, s30
	s_delay_alu instid0(SALU_CYCLE_1)
	s_mov_b32 s30, exec_lo
	v_cmpx_lt_u32_e64 v72, v101
	s_cbranch_execz .LBB1848_287
.LBB1848_321:                           ;   in Loop: Header=BB1848_228 Depth=2
	global_load_b64 v[12:13], v[20:21], off offset:768
	s_wait_alu 0xfffe
	s_or_b32 exec_lo, exec_lo, s30
	s_delay_alu instid0(SALU_CYCLE_1)
	s_mov_b32 s30, exec_lo
	v_cmpx_lt_u32_e64 v73, v101
	s_cbranch_execz .LBB1848_288
.LBB1848_322:                           ;   in Loop: Header=BB1848_228 Depth=2
	global_load_b64 v[10:11], v[20:21], off offset:1024
	s_wait_alu 0xfffe
	s_or_b32 exec_lo, exec_lo, s30
	s_delay_alu instid0(SALU_CYCLE_1)
	s_mov_b32 s30, exec_lo
	v_cmpx_lt_u32_e64 v74, v101
	s_cbranch_execz .LBB1848_289
.LBB1848_323:                           ;   in Loop: Header=BB1848_228 Depth=2
	global_load_b64 v[8:9], v[20:21], off offset:1280
	s_wait_alu 0xfffe
	s_or_b32 exec_lo, exec_lo, s30
	s_delay_alu instid0(SALU_CYCLE_1)
	s_mov_b32 s30, exec_lo
	v_cmpx_lt_u32_e64 v75, v101
	s_cbranch_execz .LBB1848_290
.LBB1848_324:                           ;   in Loop: Header=BB1848_228 Depth=2
	global_load_b64 v[6:7], v[20:21], off offset:1536
	s_wait_alu 0xfffe
	s_or_b32 exec_lo, exec_lo, s30
	s_delay_alu instid0(SALU_CYCLE_1)
	s_mov_b32 s30, exec_lo
	v_cmpx_lt_u32_e64 v76, v101
	s_cbranch_execz .LBB1848_291
.LBB1848_325:                           ;   in Loop: Header=BB1848_228 Depth=2
	global_load_b64 v[4:5], v[20:21], off offset:1792
	s_wait_alu 0xfffe
	s_or_b32 exec_lo, exec_lo, s30
	s_and_saveexec_b32 s30, vcc_lo
	s_cbranch_execz .LBB1848_292
.LBB1848_326:                           ;   in Loop: Header=BB1848_228 Depth=2
	ds_load_u16 v2, v47 offset:1024
	s_wait_dscnt 0x0
	v_cmp_ne_u16_e64 s22, 0x7fff, v2
	s_wait_alu 0xf1ff
	s_delay_alu instid0(VALU_DEP_1) | instskip(NEXT) | instid1(VALU_DEP_1)
	v_cndmask_b32_e64 v2, 0xffff8000, v2, s22
	v_and_b32_e32 v2, 0xffff, v2
	s_delay_alu instid0(VALU_DEP_1) | instskip(NEXT) | instid1(VALU_DEP_1)
	v_lshrrev_b32_e32 v2, s23, v2
	v_and_b32_e32 v100, s42, v2
	s_wait_alu 0xfffe
	s_or_b32 exec_lo, exec_lo, s30
	s_and_saveexec_b32 s30, s15
	s_cbranch_execz .LBB1848_293
.LBB1848_327:                           ;   in Loop: Header=BB1848_228 Depth=2
	ds_load_u16 v2, v47 offset:1536
	s_wait_dscnt 0x0
	v_cmp_ne_u16_e64 s22, 0x7fff, v2
	s_wait_alu 0xf1ff
	s_delay_alu instid0(VALU_DEP_1) | instskip(NEXT) | instid1(VALU_DEP_1)
	v_cndmask_b32_e64 v2, 0xffff8000, v2, s22
	v_and_b32_e32 v2, 0xffff, v2
	s_delay_alu instid0(VALU_DEP_1) | instskip(NEXT) | instid1(VALU_DEP_1)
	v_lshrrev_b32_e32 v2, s23, v2
	v_and_b32_e32 v99, s42, v2
	s_wait_alu 0xfffe
	s_or_b32 exec_lo, exec_lo, s30
	s_and_saveexec_b32 s30, s16
	s_cbranch_execz .LBB1848_294
.LBB1848_328:                           ;   in Loop: Header=BB1848_228 Depth=2
	ds_load_u16 v2, v47 offset:2048
	s_wait_dscnt 0x0
	v_cmp_ne_u16_e64 s22, 0x7fff, v2
	s_wait_alu 0xf1ff
	s_delay_alu instid0(VALU_DEP_1) | instskip(NEXT) | instid1(VALU_DEP_1)
	v_cndmask_b32_e64 v2, 0xffff8000, v2, s22
	v_and_b32_e32 v2, 0xffff, v2
	s_delay_alu instid0(VALU_DEP_1) | instskip(NEXT) | instid1(VALU_DEP_1)
	v_lshrrev_b32_e32 v2, s23, v2
	v_and_b32_e32 v98, s42, v2
	s_wait_alu 0xfffe
	s_or_b32 exec_lo, exec_lo, s30
	s_and_saveexec_b32 s30, s17
	s_cbranch_execz .LBB1848_295
.LBB1848_329:                           ;   in Loop: Header=BB1848_228 Depth=2
	ds_load_u16 v2, v47 offset:2560
	s_wait_dscnt 0x0
	v_cmp_ne_u16_e64 s22, 0x7fff, v2
	s_wait_alu 0xf1ff
	s_delay_alu instid0(VALU_DEP_1) | instskip(NEXT) | instid1(VALU_DEP_1)
	v_cndmask_b32_e64 v2, 0xffff8000, v2, s22
	v_and_b32_e32 v2, 0xffff, v2
	s_delay_alu instid0(VALU_DEP_1) | instskip(NEXT) | instid1(VALU_DEP_1)
	v_lshrrev_b32_e32 v2, s23, v2
	v_and_b32_e32 v97, s42, v2
	s_wait_alu 0xfffe
	s_or_b32 exec_lo, exec_lo, s30
	s_and_saveexec_b32 s30, s18
	s_cbranch_execz .LBB1848_296
.LBB1848_330:                           ;   in Loop: Header=BB1848_228 Depth=2
	ds_load_u16 v2, v47 offset:3072
	s_wait_dscnt 0x0
	v_cmp_ne_u16_e64 s22, 0x7fff, v2
	s_wait_alu 0xf1ff
	s_delay_alu instid0(VALU_DEP_1) | instskip(NEXT) | instid1(VALU_DEP_1)
	v_cndmask_b32_e64 v2, 0xffff8000, v2, s22
	v_and_b32_e32 v2, 0xffff, v2
	s_delay_alu instid0(VALU_DEP_1) | instskip(NEXT) | instid1(VALU_DEP_1)
	v_lshrrev_b32_e32 v2, s23, v2
	v_and_b32_e32 v96, s42, v2
	s_wait_alu 0xfffe
	s_or_b32 exec_lo, exec_lo, s30
	s_and_saveexec_b32 s30, s19
	s_cbranch_execz .LBB1848_297
.LBB1848_331:                           ;   in Loop: Header=BB1848_228 Depth=2
	ds_load_u16 v2, v47 offset:3584
	s_wait_dscnt 0x0
	v_cmp_ne_u16_e64 s22, 0x7fff, v2
	s_wait_alu 0xf1ff
	s_delay_alu instid0(VALU_DEP_1) | instskip(NEXT) | instid1(VALU_DEP_1)
	v_cndmask_b32_e64 v2, 0xffff8000, v2, s22
	v_and_b32_e32 v2, 0xffff, v2
	s_delay_alu instid0(VALU_DEP_1) | instskip(NEXT) | instid1(VALU_DEP_1)
	v_lshrrev_b32_e32 v2, s23, v2
	v_and_b32_e32 v95, s42, v2
	s_wait_alu 0xfffe
	s_or_b32 exec_lo, exec_lo, s30
	s_and_saveexec_b32 s30, s20
	s_cbranch_execz .LBB1848_298
.LBB1848_332:                           ;   in Loop: Header=BB1848_228 Depth=2
	ds_load_u16 v2, v47 offset:4096
	s_wait_dscnt 0x0
	v_cmp_ne_u16_e64 s22, 0x7fff, v2
	s_wait_alu 0xf1ff
	s_delay_alu instid0(VALU_DEP_1) | instskip(NEXT) | instid1(VALU_DEP_1)
	v_cndmask_b32_e64 v2, 0xffff8000, v2, s22
	v_and_b32_e32 v2, 0xffff, v2
	s_delay_alu instid0(VALU_DEP_1) | instskip(NEXT) | instid1(VALU_DEP_1)
	v_lshrrev_b32_e32 v2, s23, v2
	v_and_b32_e32 v94, s42, v2
	s_wait_alu 0xfffe
	s_or_b32 exec_lo, exec_lo, s30
	s_and_saveexec_b32 s30, s21
	s_cbranch_execnz .LBB1848_299
	s_branch .LBB1848_300
.LBB1848_333:                           ;   in Loop: Header=BB1848_228 Depth=2
	v_lshlrev_b32_e32 v2, 2, v100
	v_add_nc_u32_e32 v20, v47, v48
	ds_load_b32 v2, v2
	ds_load_b64 v[20:21], v20 offset:1024
	s_wait_dscnt 0x1
	v_add_nc_u32_e32 v2, v2, v1
	s_delay_alu instid0(VALU_DEP_1) | instskip(NEXT) | instid1(VALU_DEP_1)
	v_lshlrev_b64_e32 v[23:24], 3, v[2:3]
	v_add_co_u32 v23, vcc_lo, s26, v23
	s_wait_alu 0xfffd
	s_delay_alu instid0(VALU_DEP_2)
	v_add_co_ci_u32_e64 v24, null, s27, v24, vcc_lo
	s_wait_dscnt 0x0
	global_store_b64 v[23:24], v[20:21], off
	s_wait_alu 0xfffe
	s_or_b32 exec_lo, exec_lo, s22
	s_and_saveexec_b32 s22, s15
	s_cbranch_execz .LBB1848_302
.LBB1848_334:                           ;   in Loop: Header=BB1848_228 Depth=2
	v_lshlrev_b32_e32 v2, 2, v99
	v_add_nc_u32_e32 v20, v47, v48
	ds_load_b32 v2, v2
	ds_load_b64 v[20:21], v20 offset:3072
	s_wait_dscnt 0x1
	v_add_nc_u32_e32 v2, v2, v29
	s_delay_alu instid0(VALU_DEP_1) | instskip(NEXT) | instid1(VALU_DEP_1)
	v_lshlrev_b64_e32 v[23:24], 3, v[2:3]
	v_add_co_u32 v23, vcc_lo, s26, v23
	s_wait_alu 0xfffd
	s_delay_alu instid0(VALU_DEP_2)
	v_add_co_ci_u32_e64 v24, null, s27, v24, vcc_lo
	s_wait_dscnt 0x0
	global_store_b64 v[23:24], v[20:21], off
	s_wait_alu 0xfffe
	s_or_b32 exec_lo, exec_lo, s22
	s_and_saveexec_b32 s15, s16
	s_cbranch_execz .LBB1848_303
.LBB1848_335:                           ;   in Loop: Header=BB1848_228 Depth=2
	v_lshlrev_b32_e32 v2, 2, v98
	v_add_nc_u32_e32 v20, v47, v48
	ds_load_b32 v2, v2
	ds_load_b64 v[20:21], v20 offset:5120
	s_wait_dscnt 0x1
	v_add_nc_u32_e32 v2, v2, v30
	s_delay_alu instid0(VALU_DEP_1) | instskip(NEXT) | instid1(VALU_DEP_1)
	v_lshlrev_b64_e32 v[23:24], 3, v[2:3]
	v_add_co_u32 v23, vcc_lo, s26, v23
	s_wait_alu 0xfffd
	s_delay_alu instid0(VALU_DEP_2)
	v_add_co_ci_u32_e64 v24, null, s27, v24, vcc_lo
	s_wait_dscnt 0x0
	global_store_b64 v[23:24], v[20:21], off
	s_wait_alu 0xfffe
	s_or_b32 exec_lo, exec_lo, s15
	s_and_saveexec_b32 s15, s17
	s_cbranch_execz .LBB1848_304
.LBB1848_336:                           ;   in Loop: Header=BB1848_228 Depth=2
	v_lshlrev_b32_e32 v2, 2, v97
	v_add_nc_u32_e32 v20, v47, v48
	ds_load_b32 v2, v2
	ds_load_b64 v[20:21], v20 offset:7168
	s_wait_dscnt 0x1
	v_add_nc_u32_e32 v2, v2, v31
	s_delay_alu instid0(VALU_DEP_1) | instskip(NEXT) | instid1(VALU_DEP_1)
	v_lshlrev_b64_e32 v[23:24], 3, v[2:3]
	v_add_co_u32 v23, vcc_lo, s26, v23
	s_wait_alu 0xfffd
	s_delay_alu instid0(VALU_DEP_2)
	v_add_co_ci_u32_e64 v24, null, s27, v24, vcc_lo
	s_wait_dscnt 0x0
	global_store_b64 v[23:24], v[20:21], off
	s_wait_alu 0xfffe
	s_or_b32 exec_lo, exec_lo, s15
	s_and_saveexec_b32 s15, s18
	s_cbranch_execz .LBB1848_305
.LBB1848_337:                           ;   in Loop: Header=BB1848_228 Depth=2
	v_lshlrev_b32_e32 v2, 2, v96
	v_add_nc_u32_e32 v20, v47, v48
	ds_load_b32 v2, v2
	ds_load_b64 v[20:21], v20 offset:9216
	s_wait_dscnt 0x1
	v_add_nc_u32_e32 v2, v2, v34
	s_delay_alu instid0(VALU_DEP_1) | instskip(NEXT) | instid1(VALU_DEP_1)
	v_lshlrev_b64_e32 v[23:24], 3, v[2:3]
	v_add_co_u32 v23, vcc_lo, s26, v23
	s_wait_alu 0xfffd
	s_delay_alu instid0(VALU_DEP_2)
	v_add_co_ci_u32_e64 v24, null, s27, v24, vcc_lo
	s_wait_dscnt 0x0
	global_store_b64 v[23:24], v[20:21], off
	s_wait_alu 0xfffe
	s_or_b32 exec_lo, exec_lo, s15
	s_and_saveexec_b32 s15, s19
	s_cbranch_execz .LBB1848_306
.LBB1848_338:                           ;   in Loop: Header=BB1848_228 Depth=2
	v_lshlrev_b32_e32 v2, 2, v95
	v_add_nc_u32_e32 v20, v47, v48
	ds_load_b32 v2, v2
	ds_load_b64 v[20:21], v20 offset:11264
	s_wait_dscnt 0x1
	v_add_nc_u32_e32 v2, v2, v35
	s_delay_alu instid0(VALU_DEP_1) | instskip(NEXT) | instid1(VALU_DEP_1)
	v_lshlrev_b64_e32 v[23:24], 3, v[2:3]
	v_add_co_u32 v23, vcc_lo, s26, v23
	s_wait_alu 0xfffd
	s_delay_alu instid0(VALU_DEP_2)
	v_add_co_ci_u32_e64 v24, null, s27, v24, vcc_lo
	s_wait_dscnt 0x0
	global_store_b64 v[23:24], v[20:21], off
	s_wait_alu 0xfffe
	s_or_b32 exec_lo, exec_lo, s15
	s_and_saveexec_b32 s15, s20
	s_cbranch_execz .LBB1848_307
.LBB1848_339:                           ;   in Loop: Header=BB1848_228 Depth=2
	v_lshlrev_b32_e32 v2, 2, v94
	v_add_nc_u32_e32 v20, v47, v48
	ds_load_b32 v2, v2
	ds_load_b64 v[20:21], v20 offset:13312
	s_wait_dscnt 0x1
	v_add_nc_u32_e32 v2, v2, v36
	s_delay_alu instid0(VALU_DEP_1) | instskip(NEXT) | instid1(VALU_DEP_1)
	v_lshlrev_b64_e32 v[23:24], 3, v[2:3]
	v_add_co_u32 v23, vcc_lo, s26, v23
	s_wait_alu 0xfffd
	s_delay_alu instid0(VALU_DEP_2)
	v_add_co_ci_u32_e64 v24, null, s27, v24, vcc_lo
	s_wait_dscnt 0x0
	global_store_b64 v[23:24], v[20:21], off
	s_wait_alu 0xfffe
	s_or_b32 exec_lo, exec_lo, s15
	s_and_saveexec_b32 s15, s21
	s_cbranch_execnz .LBB1848_308
	s_branch .LBB1848_309
.LBB1848_340:                           ;   in Loop: Header=BB1848_12 Depth=1
	s_wait_loadcnt_dscnt 0x0
	s_barrier_signal -1
	s_barrier_wait -1
.LBB1848_341:                           ;   in Loop: Header=BB1848_12 Depth=1
	s_mov_b32 s0, 0
.LBB1848_342:                           ;   in Loop: Header=BB1848_12 Depth=1
	s_wait_alu 0xfffe
	s_and_not1_b32 vcc_lo, exec_lo, s0
	s_wait_alu 0xfffe
	s_cbranch_vccnz .LBB1848_11
; %bb.343:                              ;   in Loop: Header=BB1848_12 Depth=1
	s_and_b32 vcc_lo, exec_lo, s35
	s_mov_b32 s0, -1
	s_wait_alu 0xfffe
	s_cbranch_vccz .LBB1848_507
; %bb.344:                              ;   in Loop: Header=BB1848_12 Depth=1
	s_mov_b32 s9, s47
	s_mov_b32 s30, s33
	s_barrier_signal -1
	s_barrier_wait -1
	global_inv scope:SCOPE_SE
                                        ; implicit-def: $vgpr2
                                        ; implicit-def: $vgpr4
                                        ; implicit-def: $vgpr5
                                        ; implicit-def: $vgpr6
                                        ; implicit-def: $vgpr7
                                        ; implicit-def: $vgpr8
                                        ; implicit-def: $vgpr9
                                        ; implicit-def: $vgpr10
	s_branch .LBB1848_346
.LBB1848_345:                           ;   in Loop: Header=BB1848_346 Depth=2
	s_wait_alu 0xfffe
	s_or_b32 exec_lo, exec_lo, s0
	s_addk_co_i32 s9, 0xf800
	s_cmp_ge_u32 s10, s34
	s_mov_b32 s30, s10
	s_cbranch_scc1 .LBB1848_382
.LBB1848_346:                           ;   Parent Loop BB1848_12 Depth=1
                                        ; =>  This Inner Loop Header: Depth=2
	s_wait_alu 0xfffe
	s_add_co_i32 s10, s30, 0x800
	s_mov_b32 s0, -1
	s_wait_alu 0xfffe
	s_cmp_gt_u32 s10, s34
                                        ; implicit-def: $vgpr11
                                        ; implicit-def: $vgpr12
                                        ; implicit-def: $vgpr13
                                        ; implicit-def: $vgpr14
                                        ; implicit-def: $vgpr15
                                        ; implicit-def: $vgpr16
                                        ; implicit-def: $vgpr17
                                        ; implicit-def: $vgpr18
	s_cbranch_scc1 .LBB1848_348
; %bb.347:                              ;   in Loop: Header=BB1848_346 Depth=2
	s_lshl_b64 s[0:1], s[30:31], 1
	s_wait_alu 0xfffe
	v_add_co_u32 v18, vcc_lo, v55, s0
	s_wait_alu 0xfffd
	v_add_co_ci_u32_e64 v19, null, s1, v56, vcc_lo
	s_mov_b32 s0, 0
	s_clause 0x7
	global_load_u16 v11, v[18:19], off
	global_load_u16 v12, v[18:19], off offset:512
	global_load_u16 v13, v[18:19], off offset:1024
	;; [unrolled: 1-line block ×7, first 2 shown]
.LBB1848_348:                           ;   in Loop: Header=BB1848_346 Depth=2
	s_wait_alu 0xfffe
	s_and_not1_b32 vcc_lo, exec_lo, s0
	s_movk_i32 s0, 0x800
	s_wait_alu 0xfffe
	s_cbranch_vccnz .LBB1848_359
; %bb.349:                              ;   in Loop: Header=BB1848_346 Depth=2
	s_lshl_b64 s[0:1], s[30:31], 1
	s_mov_b32 s11, exec_lo
	s_wait_alu 0xfffe
	s_add_nc_u64 s[0:1], s[36:37], s[0:1]
	v_cmpx_gt_u32_e64 s9, v1
	s_cbranch_execnz .LBB1848_375
; %bb.350:                              ;   in Loop: Header=BB1848_346 Depth=2
	s_or_b32 exec_lo, exec_lo, s11
	s_delay_alu instid0(SALU_CYCLE_1)
	s_mov_b32 s11, exec_lo
	v_cmpx_gt_u32_e64 s9, v29
	s_cbranch_execnz .LBB1848_376
.LBB1848_351:                           ;   in Loop: Header=BB1848_346 Depth=2
	s_wait_alu 0xfffe
	s_or_b32 exec_lo, exec_lo, s11
	s_delay_alu instid0(SALU_CYCLE_1)
	s_mov_b32 s11, exec_lo
	v_cmpx_gt_u32_e64 s9, v30
	s_cbranch_execnz .LBB1848_377
.LBB1848_352:                           ;   in Loop: Header=BB1848_346 Depth=2
	s_wait_alu 0xfffe
	s_or_b32 exec_lo, exec_lo, s11
	s_delay_alu instid0(SALU_CYCLE_1)
	s_mov_b32 s11, exec_lo
	v_cmpx_gt_u32_e64 s9, v31
	s_cbranch_execnz .LBB1848_378
.LBB1848_353:                           ;   in Loop: Header=BB1848_346 Depth=2
	s_wait_alu 0xfffe
	s_or_b32 exec_lo, exec_lo, s11
	s_delay_alu instid0(SALU_CYCLE_1)
	s_mov_b32 s11, exec_lo
	v_cmpx_gt_u32_e64 s9, v34
	s_cbranch_execnz .LBB1848_379
.LBB1848_354:                           ;   in Loop: Header=BB1848_346 Depth=2
	s_wait_alu 0xfffe
	s_or_b32 exec_lo, exec_lo, s11
	s_delay_alu instid0(SALU_CYCLE_1)
	s_mov_b32 s11, exec_lo
	v_cmpx_gt_u32_e64 s9, v35
	s_cbranch_execnz .LBB1848_380
.LBB1848_355:                           ;   in Loop: Header=BB1848_346 Depth=2
	s_wait_alu 0xfffe
	s_or_b32 exec_lo, exec_lo, s11
	s_delay_alu instid0(SALU_CYCLE_1)
	s_mov_b32 s11, exec_lo
	v_cmpx_gt_u32_e64 s9, v36
	s_cbranch_execnz .LBB1848_381
.LBB1848_356:                           ;   in Loop: Header=BB1848_346 Depth=2
	s_wait_alu 0xfffe
	s_or_b32 exec_lo, exec_lo, s11
	s_delay_alu instid0(SALU_CYCLE_1)
	s_mov_b32 s11, exec_lo
	v_cmpx_gt_u32_e64 s9, v37
	s_cbranch_execz .LBB1848_358
.LBB1848_357:                           ;   in Loop: Header=BB1848_346 Depth=2
	global_load_u16 v2, v82, s[0:1] offset:3584
.LBB1848_358:                           ;   in Loop: Header=BB1848_346 Depth=2
	s_wait_alu 0xfffe
	s_or_b32 exec_lo, exec_lo, s11
	s_wait_loadcnt 0x0
	v_dual_mov_b32 v11, v10 :: v_dual_mov_b32 v12, v9
	v_dual_mov_b32 v13, v8 :: v_dual_mov_b32 v14, v7
	;; [unrolled: 1-line block ×4, first 2 shown]
	s_mov_b32 s0, s9
.LBB1848_359:                           ;   in Loop: Header=BB1848_346 Depth=2
	s_wait_loadcnt 0x0
	s_delay_alu instid0(VALU_DEP_1) | instskip(NEXT) | instid1(VALU_DEP_2)
	v_dual_mov_b32 v2, v18 :: v_dual_mov_b32 v5, v16
	v_dual_mov_b32 v4, v17 :: v_dual_mov_b32 v7, v14
	;; [unrolled: 1-line block ×3, first 2 shown]
	v_mov_b32_e32 v8, v13
	v_mov_b32_e32 v10, v11
	s_mov_b32 s1, exec_lo
	s_wait_alu 0xfffe
	v_cmpx_gt_u32_e64 s0, v1
	s_cbranch_execnz .LBB1848_367
; %bb.360:                              ;   in Loop: Header=BB1848_346 Depth=2
	s_or_b32 exec_lo, exec_lo, s1
	s_delay_alu instid0(SALU_CYCLE_1)
	s_mov_b32 s1, exec_lo
	v_cmpx_gt_u32_e64 s0, v29
	s_cbranch_execnz .LBB1848_368
.LBB1848_361:                           ;   in Loop: Header=BB1848_346 Depth=2
	s_wait_alu 0xfffe
	s_or_b32 exec_lo, exec_lo, s1
	s_delay_alu instid0(SALU_CYCLE_1)
	s_mov_b32 s1, exec_lo
	v_cmpx_gt_u32_e64 s0, v30
	s_cbranch_execnz .LBB1848_369
.LBB1848_362:                           ;   in Loop: Header=BB1848_346 Depth=2
	s_wait_alu 0xfffe
	s_or_b32 exec_lo, exec_lo, s1
	s_delay_alu instid0(SALU_CYCLE_1)
	s_mov_b32 s1, exec_lo
	v_cmpx_gt_u32_e64 s0, v31
	s_cbranch_execnz .LBB1848_370
.LBB1848_363:                           ;   in Loop: Header=BB1848_346 Depth=2
	s_wait_alu 0xfffe
	s_or_b32 exec_lo, exec_lo, s1
	s_delay_alu instid0(SALU_CYCLE_1)
	s_mov_b32 s1, exec_lo
	v_cmpx_gt_u32_e64 s0, v34
	s_cbranch_execnz .LBB1848_371
.LBB1848_364:                           ;   in Loop: Header=BB1848_346 Depth=2
	s_wait_alu 0xfffe
	s_or_b32 exec_lo, exec_lo, s1
	s_delay_alu instid0(SALU_CYCLE_1)
	s_mov_b32 s1, exec_lo
	v_cmpx_gt_u32_e64 s0, v35
	s_cbranch_execnz .LBB1848_372
.LBB1848_365:                           ;   in Loop: Header=BB1848_346 Depth=2
	s_wait_alu 0xfffe
	s_or_b32 exec_lo, exec_lo, s1
	s_delay_alu instid0(SALU_CYCLE_1)
	s_mov_b32 s1, exec_lo
	v_cmpx_gt_u32_e64 s0, v36
	s_cbranch_execnz .LBB1848_373
.LBB1848_366:                           ;   in Loop: Header=BB1848_346 Depth=2
	s_wait_alu 0xfffe
	s_or_b32 exec_lo, exec_lo, s1
	v_cmp_gt_u32_e32 vcc_lo, s0, v37
	s_and_saveexec_b32 s0, vcc_lo
	s_cbranch_execz .LBB1848_345
	s_branch .LBB1848_374
.LBB1848_367:                           ;   in Loop: Header=BB1848_346 Depth=2
	v_cmp_lt_i16_e32 vcc_lo, -1, v10
	s_wait_alu 0xfffd
	v_cndmask_b32_e64 v11, -1, 0xffff8000, vcc_lo
	s_delay_alu instid0(VALU_DEP_1) | instskip(NEXT) | instid1(VALU_DEP_1)
	v_xor_b32_e32 v11, v11, v10
	v_cmp_ne_u16_e32 vcc_lo, 0x7fff, v11
	s_wait_alu 0xfffd
	v_cndmask_b32_e32 v11, 0xffff8000, v11, vcc_lo
	s_delay_alu instid0(VALU_DEP_1) | instskip(NEXT) | instid1(VALU_DEP_1)
	v_and_b32_e32 v11, 0xffff, v11
	v_lshrrev_b32_e32 v11, s45, v11
	s_delay_alu instid0(VALU_DEP_1) | instskip(NEXT) | instid1(VALU_DEP_1)
	v_and_b32_e32 v11, s42, v11
	v_lshl_or_b32 v11, v11, 4, v39
	ds_add_u32 v11, v62
	s_or_b32 exec_lo, exec_lo, s1
	s_delay_alu instid0(SALU_CYCLE_1)
	s_mov_b32 s1, exec_lo
	v_cmpx_gt_u32_e64 s0, v29
	s_cbranch_execz .LBB1848_361
.LBB1848_368:                           ;   in Loop: Header=BB1848_346 Depth=2
	v_cmp_lt_i16_e32 vcc_lo, -1, v9
	s_wait_alu 0xfffd
	v_cndmask_b32_e64 v11, -1, 0xffff8000, vcc_lo
	s_delay_alu instid0(VALU_DEP_1) | instskip(NEXT) | instid1(VALU_DEP_1)
	v_xor_b32_e32 v11, v11, v9
	v_cmp_ne_u16_e32 vcc_lo, 0x7fff, v11
	s_wait_alu 0xfffd
	v_cndmask_b32_e32 v11, 0xffff8000, v11, vcc_lo
	s_delay_alu instid0(VALU_DEP_1) | instskip(NEXT) | instid1(VALU_DEP_1)
	v_and_b32_e32 v11, 0xffff, v11
	v_lshrrev_b32_e32 v11, s45, v11
	s_delay_alu instid0(VALU_DEP_1) | instskip(NEXT) | instid1(VALU_DEP_1)
	v_and_b32_e32 v11, s42, v11
	v_lshl_or_b32 v11, v11, 4, v39
	ds_add_u32 v11, v62
	s_wait_alu 0xfffe
	s_or_b32 exec_lo, exec_lo, s1
	s_delay_alu instid0(SALU_CYCLE_1)
	s_mov_b32 s1, exec_lo
	v_cmpx_gt_u32_e64 s0, v30
	s_cbranch_execz .LBB1848_362
.LBB1848_369:                           ;   in Loop: Header=BB1848_346 Depth=2
	v_cmp_lt_i16_e32 vcc_lo, -1, v8
	s_wait_alu 0xfffd
	v_cndmask_b32_e64 v11, -1, 0xffff8000, vcc_lo
	s_delay_alu instid0(VALU_DEP_1) | instskip(NEXT) | instid1(VALU_DEP_1)
	v_xor_b32_e32 v11, v11, v8
	v_cmp_ne_u16_e32 vcc_lo, 0x7fff, v11
	s_wait_alu 0xfffd
	v_cndmask_b32_e32 v11, 0xffff8000, v11, vcc_lo
	s_delay_alu instid0(VALU_DEP_1) | instskip(NEXT) | instid1(VALU_DEP_1)
	v_and_b32_e32 v11, 0xffff, v11
	v_lshrrev_b32_e32 v11, s45, v11
	s_delay_alu instid0(VALU_DEP_1) | instskip(NEXT) | instid1(VALU_DEP_1)
	v_and_b32_e32 v11, s42, v11
	v_lshl_or_b32 v11, v11, 4, v39
	ds_add_u32 v11, v62
	s_wait_alu 0xfffe
	s_or_b32 exec_lo, exec_lo, s1
	s_delay_alu instid0(SALU_CYCLE_1)
	s_mov_b32 s1, exec_lo
	v_cmpx_gt_u32_e64 s0, v31
	s_cbranch_execz .LBB1848_363
.LBB1848_370:                           ;   in Loop: Header=BB1848_346 Depth=2
	v_cmp_lt_i16_e32 vcc_lo, -1, v7
	s_wait_alu 0xfffd
	v_cndmask_b32_e64 v11, -1, 0xffff8000, vcc_lo
	s_delay_alu instid0(VALU_DEP_1) | instskip(NEXT) | instid1(VALU_DEP_1)
	v_xor_b32_e32 v11, v11, v7
	v_cmp_ne_u16_e32 vcc_lo, 0x7fff, v11
	s_wait_alu 0xfffd
	v_cndmask_b32_e32 v11, 0xffff8000, v11, vcc_lo
	s_delay_alu instid0(VALU_DEP_1) | instskip(NEXT) | instid1(VALU_DEP_1)
	v_and_b32_e32 v11, 0xffff, v11
	v_lshrrev_b32_e32 v11, s45, v11
	s_delay_alu instid0(VALU_DEP_1) | instskip(NEXT) | instid1(VALU_DEP_1)
	v_and_b32_e32 v11, s42, v11
	v_lshl_or_b32 v11, v11, 4, v39
	ds_add_u32 v11, v62
	s_wait_alu 0xfffe
	s_or_b32 exec_lo, exec_lo, s1
	s_delay_alu instid0(SALU_CYCLE_1)
	s_mov_b32 s1, exec_lo
	v_cmpx_gt_u32_e64 s0, v34
	s_cbranch_execz .LBB1848_364
.LBB1848_371:                           ;   in Loop: Header=BB1848_346 Depth=2
	v_cmp_lt_i16_e32 vcc_lo, -1, v6
	s_wait_alu 0xfffd
	v_cndmask_b32_e64 v11, -1, 0xffff8000, vcc_lo
	s_delay_alu instid0(VALU_DEP_1) | instskip(NEXT) | instid1(VALU_DEP_1)
	v_xor_b32_e32 v11, v11, v6
	v_cmp_ne_u16_e32 vcc_lo, 0x7fff, v11
	s_wait_alu 0xfffd
	v_cndmask_b32_e32 v11, 0xffff8000, v11, vcc_lo
	s_delay_alu instid0(VALU_DEP_1) | instskip(NEXT) | instid1(VALU_DEP_1)
	v_and_b32_e32 v11, 0xffff, v11
	v_lshrrev_b32_e32 v11, s45, v11
	s_delay_alu instid0(VALU_DEP_1) | instskip(NEXT) | instid1(VALU_DEP_1)
	v_and_b32_e32 v11, s42, v11
	v_lshl_or_b32 v11, v11, 4, v39
	ds_add_u32 v11, v62
	s_wait_alu 0xfffe
	s_or_b32 exec_lo, exec_lo, s1
	s_delay_alu instid0(SALU_CYCLE_1)
	s_mov_b32 s1, exec_lo
	v_cmpx_gt_u32_e64 s0, v35
	s_cbranch_execz .LBB1848_365
.LBB1848_372:                           ;   in Loop: Header=BB1848_346 Depth=2
	v_cmp_lt_i16_e32 vcc_lo, -1, v5
	s_wait_alu 0xfffd
	v_cndmask_b32_e64 v11, -1, 0xffff8000, vcc_lo
	s_delay_alu instid0(VALU_DEP_1) | instskip(NEXT) | instid1(VALU_DEP_1)
	v_xor_b32_e32 v11, v11, v5
	v_cmp_ne_u16_e32 vcc_lo, 0x7fff, v11
	s_wait_alu 0xfffd
	v_cndmask_b32_e32 v11, 0xffff8000, v11, vcc_lo
	s_delay_alu instid0(VALU_DEP_1) | instskip(NEXT) | instid1(VALU_DEP_1)
	v_and_b32_e32 v11, 0xffff, v11
	v_lshrrev_b32_e32 v11, s45, v11
	s_delay_alu instid0(VALU_DEP_1) | instskip(NEXT) | instid1(VALU_DEP_1)
	v_and_b32_e32 v11, s42, v11
	v_lshl_or_b32 v11, v11, 4, v39
	ds_add_u32 v11, v62
	s_wait_alu 0xfffe
	s_or_b32 exec_lo, exec_lo, s1
	s_delay_alu instid0(SALU_CYCLE_1)
	s_mov_b32 s1, exec_lo
	v_cmpx_gt_u32_e64 s0, v36
	s_cbranch_execz .LBB1848_366
.LBB1848_373:                           ;   in Loop: Header=BB1848_346 Depth=2
	v_cmp_lt_i16_e32 vcc_lo, -1, v4
	s_wait_alu 0xfffd
	v_cndmask_b32_e64 v11, -1, 0xffff8000, vcc_lo
	s_delay_alu instid0(VALU_DEP_1) | instskip(NEXT) | instid1(VALU_DEP_1)
	v_xor_b32_e32 v11, v11, v4
	v_cmp_ne_u16_e32 vcc_lo, 0x7fff, v11
	s_wait_alu 0xfffd
	v_cndmask_b32_e32 v11, 0xffff8000, v11, vcc_lo
	s_delay_alu instid0(VALU_DEP_1) | instskip(NEXT) | instid1(VALU_DEP_1)
	v_and_b32_e32 v11, 0xffff, v11
	v_lshrrev_b32_e32 v11, s45, v11
	s_delay_alu instid0(VALU_DEP_1) | instskip(NEXT) | instid1(VALU_DEP_1)
	v_and_b32_e32 v11, s42, v11
	v_lshl_or_b32 v11, v11, 4, v39
	ds_add_u32 v11, v62
	s_wait_alu 0xfffe
	s_or_b32 exec_lo, exec_lo, s1
	v_cmp_gt_u32_e32 vcc_lo, s0, v37
	s_and_saveexec_b32 s0, vcc_lo
	s_cbranch_execz .LBB1848_345
.LBB1848_374:                           ;   in Loop: Header=BB1848_346 Depth=2
	v_cmp_lt_i16_e32 vcc_lo, -1, v2
	s_wait_alu 0xfffd
	v_cndmask_b32_e64 v11, -1, 0xffff8000, vcc_lo
	s_delay_alu instid0(VALU_DEP_1) | instskip(NEXT) | instid1(VALU_DEP_1)
	v_xor_b32_e32 v11, v11, v2
	v_cmp_ne_u16_e32 vcc_lo, 0x7fff, v11
	s_wait_alu 0xfffd
	v_cndmask_b32_e32 v11, 0xffff8000, v11, vcc_lo
	s_delay_alu instid0(VALU_DEP_1) | instskip(NEXT) | instid1(VALU_DEP_1)
	v_and_b32_e32 v11, 0xffff, v11
	v_lshrrev_b32_e32 v11, s45, v11
	s_delay_alu instid0(VALU_DEP_1) | instskip(NEXT) | instid1(VALU_DEP_1)
	v_and_b32_e32 v11, s42, v11
	v_lshl_or_b32 v11, v11, 4, v39
	ds_add_u32 v11, v62
	s_branch .LBB1848_345
.LBB1848_375:                           ;   in Loop: Header=BB1848_346 Depth=2
	global_load_u16 v10, v82, s[0:1]
	s_or_b32 exec_lo, exec_lo, s11
	s_delay_alu instid0(SALU_CYCLE_1)
	s_mov_b32 s11, exec_lo
	v_cmpx_gt_u32_e64 s9, v29
	s_cbranch_execz .LBB1848_351
.LBB1848_376:                           ;   in Loop: Header=BB1848_346 Depth=2
	global_load_u16 v9, v82, s[0:1] offset:512
	s_wait_alu 0xfffe
	s_or_b32 exec_lo, exec_lo, s11
	s_delay_alu instid0(SALU_CYCLE_1)
	s_mov_b32 s11, exec_lo
	v_cmpx_gt_u32_e64 s9, v30
	s_cbranch_execz .LBB1848_352
.LBB1848_377:                           ;   in Loop: Header=BB1848_346 Depth=2
	global_load_u16 v8, v82, s[0:1] offset:1024
	s_wait_alu 0xfffe
	s_or_b32 exec_lo, exec_lo, s11
	s_delay_alu instid0(SALU_CYCLE_1)
	s_mov_b32 s11, exec_lo
	v_cmpx_gt_u32_e64 s9, v31
	s_cbranch_execz .LBB1848_353
.LBB1848_378:                           ;   in Loop: Header=BB1848_346 Depth=2
	global_load_u16 v7, v82, s[0:1] offset:1536
	s_wait_alu 0xfffe
	s_or_b32 exec_lo, exec_lo, s11
	s_delay_alu instid0(SALU_CYCLE_1)
	s_mov_b32 s11, exec_lo
	v_cmpx_gt_u32_e64 s9, v34
	s_cbranch_execz .LBB1848_354
.LBB1848_379:                           ;   in Loop: Header=BB1848_346 Depth=2
	global_load_u16 v6, v82, s[0:1] offset:2048
	s_wait_alu 0xfffe
	s_or_b32 exec_lo, exec_lo, s11
	s_delay_alu instid0(SALU_CYCLE_1)
	s_mov_b32 s11, exec_lo
	v_cmpx_gt_u32_e64 s9, v35
	s_cbranch_execz .LBB1848_355
.LBB1848_380:                           ;   in Loop: Header=BB1848_346 Depth=2
	global_load_u16 v5, v82, s[0:1] offset:2560
	s_wait_alu 0xfffe
	s_or_b32 exec_lo, exec_lo, s11
	s_delay_alu instid0(SALU_CYCLE_1)
	s_mov_b32 s11, exec_lo
	v_cmpx_gt_u32_e64 s9, v36
	s_cbranch_execz .LBB1848_356
.LBB1848_381:                           ;   in Loop: Header=BB1848_346 Depth=2
	global_load_u16 v4, v82, s[0:1] offset:3072
	s_wait_alu 0xfffe
	s_or_b32 exec_lo, exec_lo, s11
	s_delay_alu instid0(SALU_CYCLE_1)
	s_mov_b32 s11, exec_lo
	v_cmpx_gt_u32_e64 s9, v37
	s_cbranch_execnz .LBB1848_357
	s_branch .LBB1848_358
.LBB1848_382:                           ;   in Loop: Header=BB1848_12 Depth=1
	v_mov_b32_e32 v2, 0
	s_wait_dscnt 0x0
	s_barrier_signal -1
	s_barrier_wait -1
	global_inv scope:SCOPE_SE
	s_and_saveexec_b32 s0, s2
	s_cbranch_execz .LBB1848_384
; %bb.383:                              ;   in Loop: Header=BB1848_12 Depth=1
	ds_load_2addr_b64 v[4:7], v40 offset1:1
	s_wait_dscnt 0x0
	v_add_nc_u32_e32 v2, v5, v4
	s_delay_alu instid0(VALU_DEP_1)
	v_add3_u32 v2, v2, v6, v7
.LBB1848_384:                           ;   in Loop: Header=BB1848_12 Depth=1
	s_wait_alu 0xfffe
	s_or_b32 exec_lo, exec_lo, s0
	s_delay_alu instid0(VALU_DEP_1)
	v_mov_b32_dpp v4, v2 row_shr:1 row_mask:0xf bank_mask:0xf
	v_cmp_eq_u32_e64 s0, 0, v63
	v_cmp_lt_u32_e64 s1, 1, v63
	v_cmp_lt_u32_e64 s9, 3, v63
	;; [unrolled: 1-line block ×3, first 2 shown]
	v_cmp_eq_u32_e64 s11, 0, v65
	s_wait_alu 0xf1ff
	v_cndmask_b32_e64 v4, v4, 0, s0
	s_delay_alu instid0(VALU_DEP_1) | instskip(NEXT) | instid1(VALU_DEP_1)
	v_add_nc_u32_e32 v2, v4, v2
	v_mov_b32_dpp v4, v2 row_shr:2 row_mask:0xf bank_mask:0xf
	s_delay_alu instid0(VALU_DEP_1) | instskip(NEXT) | instid1(VALU_DEP_1)
	v_cndmask_b32_e64 v4, 0, v4, s1
	v_add_nc_u32_e32 v2, v2, v4
	s_delay_alu instid0(VALU_DEP_1) | instskip(NEXT) | instid1(VALU_DEP_1)
	v_mov_b32_dpp v4, v2 row_shr:4 row_mask:0xf bank_mask:0xf
	v_cndmask_b32_e64 v4, 0, v4, s9
	s_delay_alu instid0(VALU_DEP_1) | instskip(NEXT) | instid1(VALU_DEP_1)
	v_add_nc_u32_e32 v2, v2, v4
	v_mov_b32_dpp v4, v2 row_shr:8 row_mask:0xf bank_mask:0xf
	s_delay_alu instid0(VALU_DEP_1) | instskip(NEXT) | instid1(VALU_DEP_1)
	v_cndmask_b32_e64 v4, 0, v4, s10
	v_add_nc_u32_e32 v2, v2, v4
	ds_swizzle_b32 v4, v2 offset:swizzle(BROADCAST,32,15)
	s_wait_dscnt 0x0
	v_and_b32_e32 v4, v64, v4
	s_delay_alu instid0(VALU_DEP_1)
	v_add_nc_u32_e32 v2, v2, v4
	s_and_saveexec_b32 s12, s3
; %bb.385:                              ;   in Loop: Header=BB1848_12 Depth=1
	ds_store_b32 v41, v2
; %bb.386:                              ;   in Loop: Header=BB1848_12 Depth=1
	s_wait_alu 0xfffe
	s_or_b32 exec_lo, exec_lo, s12
	s_wait_loadcnt_dscnt 0x0
	s_barrier_signal -1
	s_barrier_wait -1
	global_inv scope:SCOPE_SE
	s_and_saveexec_b32 s12, s4
	s_cbranch_execz .LBB1848_388
; %bb.387:                              ;   in Loop: Header=BB1848_12 Depth=1
	ds_load_b32 v4, v42
	v_cmp_ne_u32_e32 vcc_lo, 0, v67
	s_wait_dscnt 0x0
	v_mov_b32_dpp v5, v4 row_shr:1 row_mask:0xf bank_mask:0xf
	s_wait_alu 0xfffd
	s_delay_alu instid0(VALU_DEP_1) | instskip(SKIP_1) | instid1(VALU_DEP_2)
	v_cndmask_b32_e32 v5, 0, v5, vcc_lo
	v_cmp_lt_u32_e32 vcc_lo, 1, v67
	v_add_nc_u32_e32 v4, v5, v4
	s_delay_alu instid0(VALU_DEP_1) | instskip(SKIP_1) | instid1(VALU_DEP_1)
	v_mov_b32_dpp v5, v4 row_shr:2 row_mask:0xf bank_mask:0xf
	s_wait_alu 0xfffd
	v_cndmask_b32_e32 v5, 0, v5, vcc_lo
	v_cmp_lt_u32_e32 vcc_lo, 3, v67
	s_delay_alu instid0(VALU_DEP_2) | instskip(NEXT) | instid1(VALU_DEP_1)
	v_add_nc_u32_e32 v4, v4, v5
	v_mov_b32_dpp v5, v4 row_shr:4 row_mask:0xf bank_mask:0xf
	s_wait_alu 0xfffd
	s_delay_alu instid0(VALU_DEP_1) | instskip(NEXT) | instid1(VALU_DEP_1)
	v_cndmask_b32_e32 v5, 0, v5, vcc_lo
	v_add_nc_u32_e32 v4, v4, v5
	ds_store_b32 v42, v4
.LBB1848_388:                           ;   in Loop: Header=BB1848_12 Depth=1
	s_wait_alu 0xfffe
	s_or_b32 exec_lo, exec_lo, s12
	v_mov_b32_e32 v4, 0
	s_wait_loadcnt_dscnt 0x0
	s_barrier_signal -1
	s_barrier_wait -1
	global_inv scope:SCOPE_SE
	s_and_saveexec_b32 s12, s5
; %bb.389:                              ;   in Loop: Header=BB1848_12 Depth=1
	ds_load_b32 v4, v44
; %bb.390:                              ;   in Loop: Header=BB1848_12 Depth=1
	s_wait_alu 0xfffe
	s_or_b32 exec_lo, exec_lo, s12
	v_cmp_gt_i32_e32 vcc_lo, 0, v68
	s_wait_dscnt 0x0
	v_add_nc_u32_e32 v2, v4, v2
	s_wait_loadcnt 0x0
	s_barrier_signal -1
	s_barrier_wait -1
	s_wait_alu 0xfffd
	v_cndmask_b32_e32 v5, v68, v59, vcc_lo
	global_inv scope:SCOPE_SE
	v_lshlrev_b32_e32 v87, 2, v5
	ds_bpermute_b32 v2, v87, v2
	s_and_saveexec_b32 s12, s2
	s_cbranch_execz .LBB1848_392
; %bb.391:                              ;   in Loop: Header=BB1848_12 Depth=1
	s_wait_dscnt 0x0
	v_cndmask_b32_e64 v2, v2, v4, s8
	s_delay_alu instid0(VALU_DEP_1)
	v_add_nc_u32_e32 v2, s33, v2
	ds_store_b32 v28, v2
.LBB1848_392:                           ;   in Loop: Header=BB1848_12 Depth=1
	s_wait_alu 0xfffe
	s_or_b32 exec_lo, exec_lo, s12
	s_load_b64 s[12:13], s[28:29], 0x0
	v_add_co_u32 v88, vcc_lo, v57, v69
	s_wait_alu 0xfffd
	v_add_co_ci_u32_e64 v89, null, 0, v58, vcc_lo
	v_add_co_u32 v90, vcc_lo, v60, v77
	s_wait_alu 0xfffd
	v_add_co_ci_u32_e64 v91, null, 0, v61, vcc_lo
	s_mov_b32 s43, s47
                                        ; implicit-def: $vgpr6_vgpr7
                                        ; implicit-def: $vgpr8_vgpr9
                                        ; implicit-def: $vgpr10_vgpr11
                                        ; implicit-def: $vgpr12_vgpr13
                                        ; implicit-def: $vgpr14_vgpr15
                                        ; implicit-def: $vgpr16_vgpr17
                                        ; implicit-def: $vgpr18_vgpr19
                                        ; implicit-def: $vgpr93
                                        ; implicit-def: $vgpr94
                                        ; implicit-def: $vgpr95
                                        ; implicit-def: $vgpr96
                                        ; implicit-def: $vgpr97
                                        ; implicit-def: $vgpr98
                                        ; implicit-def: $vgpr99
                                        ; implicit-def: $vgpr100
	s_wait_kmcnt 0x0
	s_cmp_lt_u32 ttmp7, s13
	s_cselect_b32 s30, 14, 20
	s_cmp_lt_u32 ttmp9, s12
	s_wait_alu 0xfffe
	s_add_nc_u64 s[14:15], s[28:29], s[30:31]
	s_cselect_b32 s30, 12, 18
	s_load_u16 s14, s[14:15], 0x0
	s_add_nc_u64 s[12:13], s[28:29], s[30:31]
	s_mov_b32 s30, s33
	s_load_u16 s12, s[12:13], 0x0
	v_cmp_lt_u32_e64 s13, 1, v67
	s_wait_dscnt 0x0
	s_wait_kmcnt 0x0
	v_mad_u32_u24 v2, v45, s14, v0
	v_cmp_lt_u32_e64 s14, 3, v67
	s_delay_alu instid0(VALU_DEP_2) | instskip(SKIP_1) | instid1(VALU_DEP_2)
	v_mad_co_u64_u32 v[4:5], null, v2, s12, v[1:2]
	v_cmp_eq_u32_e64 s12, 0, v67
	v_lshrrev_b32_e32 v2, 3, v4
                                        ; implicit-def: $vgpr4_vgpr5
	s_delay_alu instid0(VALU_DEP_1)
	v_and_b32_e32 v92, 0x1ffffffc, v2
	s_branch .LBB1848_394
.LBB1848_393:                           ;   in Loop: Header=BB1848_394 Depth=2
	s_wait_alu 0xfffe
	s_or_b32 exec_lo, exec_lo, s15
	s_addk_co_i32 s43, 0xf800
	s_cmp_lt_u32 s44, s34
	s_mov_b32 s30, s44
	s_cbranch_scc0 .LBB1848_506
.LBB1848_394:                           ;   Parent Loop BB1848_12 Depth=1
                                        ; =>  This Inner Loop Header: Depth=2
	s_wait_alu 0xfffe
	s_add_co_i32 s44, s30, 0x800
	s_wait_alu 0xfffe
	s_cmp_gt_u32 s44, s34
	s_cbranch_scc1 .LBB1848_396
; %bb.395:                              ;   in Loop: Header=BB1848_394 Depth=2
	s_lshl_b64 s[16:17], s[30:31], 1
	s_mov_b32 s15, -1
	s_wait_alu 0xfffe
	v_add_co_u32 v20, vcc_lo, v90, s16
	s_wait_alu 0xfffd
	v_add_co_ci_u32_e64 v21, null, s17, v91, vcc_lo
	s_clause 0x6
	global_load_u16 v2, v[20:21], off
	global_load_u16 v27, v[20:21], off offset:64
	global_load_u16 v26, v[20:21], off offset:128
	global_load_u16 v25, v[20:21], off offset:192
	global_load_u16 v24, v[20:21], off offset:256
	global_load_u16 v23, v[20:21], off offset:320
	global_load_u16 v22, v[20:21], off offset:384
	s_movk_i32 s16, 0x800
	s_cbranch_execz .LBB1848_397
	s_branch .LBB1848_412
.LBB1848_396:                           ;   in Loop: Header=BB1848_394 Depth=2
	s_mov_b32 s15, 0
                                        ; implicit-def: $vgpr2
                                        ; implicit-def: $vgpr27
                                        ; implicit-def: $vgpr26
                                        ; implicit-def: $vgpr25
                                        ; implicit-def: $vgpr24
                                        ; implicit-def: $vgpr23
                                        ; implicit-def: $vgpr22
	s_movk_i32 s16, 0x800
.LBB1848_397:                           ;   in Loop: Header=BB1848_394 Depth=2
	s_lshl_b64 s[16:17], s[30:31], 1
	s_wait_loadcnt 0x5
	v_dual_mov_b32 v27, 0x7fff :: v_dual_mov_b32 v2, 0x7fff
	s_wait_alu 0xfffe
	v_add_co_u32 v20, vcc_lo, v90, s16
	s_wait_alu 0xfffd
	v_add_co_ci_u32_e64 v21, null, s17, v91, vcc_lo
	s_mov_b32 s15, exec_lo
	v_cmpx_gt_u32_e64 s43, v66
	s_cbranch_execz .LBB1848_399
; %bb.398:                              ;   in Loop: Header=BB1848_394 Depth=2
	global_load_u16 v2, v[20:21], off
.LBB1848_399:                           ;   in Loop: Header=BB1848_394 Depth=2
	s_wait_alu 0xfffe
	s_or_b32 exec_lo, exec_lo, s15
	s_delay_alu instid0(SALU_CYCLE_1)
	s_mov_b32 s15, exec_lo
	v_cmpx_gt_u32_e64 s43, v70
	s_cbranch_execz .LBB1848_401
; %bb.400:                              ;   in Loop: Header=BB1848_394 Depth=2
	global_load_u16 v27, v[20:21], off offset:64
.LBB1848_401:                           ;   in Loop: Header=BB1848_394 Depth=2
	s_wait_alu 0xfffe
	s_or_b32 exec_lo, exec_lo, s15
	s_wait_loadcnt 0x3
	v_dual_mov_b32 v25, 0x7fff :: v_dual_mov_b32 v26, 0x7fff
	s_mov_b32 s15, exec_lo
	v_cmpx_gt_u32_e64 s43, v71
	s_cbranch_execz .LBB1848_403
; %bb.402:                              ;   in Loop: Header=BB1848_394 Depth=2
	global_load_u16 v26, v[20:21], off offset:128
.LBB1848_403:                           ;   in Loop: Header=BB1848_394 Depth=2
	s_wait_alu 0xfffe
	s_or_b32 exec_lo, exec_lo, s15
	s_delay_alu instid0(SALU_CYCLE_1)
	s_mov_b32 s15, exec_lo
	v_cmpx_gt_u32_e64 s43, v72
	s_cbranch_execz .LBB1848_405
; %bb.404:                              ;   in Loop: Header=BB1848_394 Depth=2
	global_load_u16 v25, v[20:21], off offset:192
.LBB1848_405:                           ;   in Loop: Header=BB1848_394 Depth=2
	s_wait_alu 0xfffe
	s_or_b32 exec_lo, exec_lo, s15
	s_wait_loadcnt 0x1
	v_dual_mov_b32 v23, 0x7fff :: v_dual_mov_b32 v24, 0x7fff
	s_mov_b32 s15, exec_lo
	v_cmpx_gt_u32_e64 s43, v73
	s_cbranch_execz .LBB1848_407
; %bb.406:                              ;   in Loop: Header=BB1848_394 Depth=2
	global_load_u16 v24, v[20:21], off offset:256
.LBB1848_407:                           ;   in Loop: Header=BB1848_394 Depth=2
	s_wait_alu 0xfffe
	s_or_b32 exec_lo, exec_lo, s15
	s_delay_alu instid0(SALU_CYCLE_1)
	s_mov_b32 s15, exec_lo
	v_cmpx_gt_u32_e64 s43, v74
	s_cbranch_execz .LBB1848_409
; %bb.408:                              ;   in Loop: Header=BB1848_394 Depth=2
	global_load_u16 v23, v[20:21], off offset:320
.LBB1848_409:                           ;   in Loop: Header=BB1848_394 Depth=2
	s_wait_alu 0xfffe
	s_or_b32 exec_lo, exec_lo, s15
	s_wait_loadcnt 0x0
	v_mov_b32_e32 v22, 0x7fff
	s_mov_b32 s15, exec_lo
	v_cmpx_gt_u32_e64 s43, v75
	s_cbranch_execz .LBB1848_411
; %bb.410:                              ;   in Loop: Header=BB1848_394 Depth=2
	global_load_u16 v22, v[20:21], off offset:384
.LBB1848_411:                           ;   in Loop: Header=BB1848_394 Depth=2
	s_wait_alu 0xfffe
	s_or_b32 exec_lo, exec_lo, s15
	v_cmp_gt_u32_e64 s15, s43, v76
	s_sub_co_i32 s16, s34, s30
.LBB1848_412:                           ;   in Loop: Header=BB1848_394 Depth=2
	v_dual_mov_b32 v20, 0x7fff :: v_dual_mov_b32 v101, s43
	s_and_saveexec_b32 s17, s15
	s_cbranch_execz .LBB1848_414
; %bb.413:                              ;   in Loop: Header=BB1848_394 Depth=2
	s_lshl_b64 s[18:19], s[30:31], 1
	s_wait_alu 0xfffe
	v_mov_b32_e32 v101, s16
	v_add_co_u32 v20, vcc_lo, v90, s18
	s_wait_alu 0xfffd
	v_add_co_ci_u32_e64 v21, null, s19, v91, vcc_lo
	global_load_u16 v20, v[20:21], off offset:448
.LBB1848_414:                           ;   in Loop: Header=BB1848_394 Depth=2
	s_wait_alu 0xfffe
	s_or_b32 exec_lo, exec_lo, s17
	s_wait_loadcnt 0x6
	v_cmp_lt_i16_e32 vcc_lo, -1, v2
	ds_store_2addr_b32 v81, v3, v3 offset1:1
	ds_store_2addr_b32 v78, v3, v3 offset1:1
	ds_store_2addr_b32 v79, v3, v3 offset1:1
	ds_store_2addr_b32 v80, v3, v3 offset1:1
	ds_store_b32 v43, v3 offset:1088
	s_wait_loadcnt_dscnt 0x0
	s_barrier_signal -1
	s_wait_alu 0xfffd
	v_cndmask_b32_e64 v21, -1, 0xffff8000, vcc_lo
	s_barrier_wait -1
	global_inv scope:SCOPE_SE
	; wave barrier
	v_xor_b32_e32 v2, v21, v2
	s_delay_alu instid0(VALU_DEP_1) | instskip(SKIP_2) | instid1(VALU_DEP_1)
	v_cmp_ne_u16_e32 vcc_lo, 0x7fff, v2
	s_wait_alu 0xfffd
	v_cndmask_b32_e32 v21, 0xffff8000, v2, vcc_lo
	v_and_b32_e32 v21, 0xffff, v21
	s_delay_alu instid0(VALU_DEP_1) | instskip(NEXT) | instid1(VALU_DEP_1)
	v_lshrrev_b32_e32 v21, s45, v21
	v_and_b32_e32 v103, s42, v21
	s_delay_alu instid0(VALU_DEP_1)
	v_and_b32_e32 v21, 1, v103
	v_lshlrev_b32_e32 v102, 30, v103
	v_lshlrev_b32_e32 v104, 29, v103
	;; [unrolled: 1-line block ×4, first 2 shown]
	v_add_co_u32 v21, s15, v21, -1
	s_wait_alu 0xf1ff
	v_cndmask_b32_e64 v106, 0, 1, s15
	v_not_b32_e32 v110, v102
	v_cmp_gt_i32_e64 s15, 0, v102
	v_not_b32_e32 v102, v104
	v_lshlrev_b32_e32 v108, 26, v103
	v_cmp_ne_u32_e32 vcc_lo, 0, v106
	v_ashrrev_i32_e32 v110, 31, v110
	v_lshlrev_b32_e32 v109, 25, v103
	v_ashrrev_i32_e32 v102, 31, v102
	v_lshlrev_b32_e32 v106, 24, v103
	s_wait_alu 0xfffd
	v_xor_b32_e32 v21, vcc_lo, v21
	v_cmp_gt_i32_e32 vcc_lo, 0, v104
	v_not_b32_e32 v104, v105
	s_wait_alu 0xf1ff
	v_xor_b32_e32 v110, s15, v110
	v_cmp_gt_i32_e64 s15, 0, v105
	v_and_b32_e32 v21, exec_lo, v21
	v_not_b32_e32 v105, v107
	v_ashrrev_i32_e32 v104, 31, v104
	s_wait_alu 0xfffd
	v_xor_b32_e32 v102, vcc_lo, v102
	v_cmp_gt_i32_e32 vcc_lo, 0, v107
	v_and_b32_e32 v21, v21, v110
	v_not_b32_e32 v107, v108
	v_ashrrev_i32_e32 v105, 31, v105
	s_wait_alu 0xf1ff
	v_xor_b32_e32 v104, s15, v104
	v_cmp_gt_i32_e64 s15, 0, v108
	v_and_b32_e32 v21, v21, v102
	v_not_b32_e32 v102, v109
	v_ashrrev_i32_e32 v107, 31, v107
	s_wait_alu 0xfffd
	v_xor_b32_e32 v105, vcc_lo, v105
	v_cmp_gt_i32_e32 vcc_lo, 0, v109
	v_and_b32_e32 v21, v21, v104
	v_not_b32_e32 v104, v106
	v_ashrrev_i32_e32 v102, 31, v102
	s_wait_alu 0xf1ff
	v_xor_b32_e32 v107, s15, v107
	v_cmp_gt_i32_e64 s15, 0, v106
	v_and_b32_e32 v21, v21, v105
	v_ashrrev_i32_e32 v104, 31, v104
	s_wait_alu 0xfffd
	v_xor_b32_e32 v102, vcc_lo, v102
	v_mul_u32_u24_e32 v103, 36, v103
	v_and_b32_e32 v21, v21, v107
	s_wait_alu 0xf1ff
	v_xor_b32_e32 v104, s15, v104
	s_delay_alu instid0(VALU_DEP_2) | instskip(NEXT) | instid1(VALU_DEP_1)
	v_and_b32_e32 v21, v21, v102
	v_and_b32_e32 v21, v21, v104
	v_add_nc_u32_e32 v104, v92, v103
	s_delay_alu instid0(VALU_DEP_2) | instskip(SKIP_1) | instid1(VALU_DEP_2)
	v_mbcnt_lo_u32_b32 v102, v21, 0
	v_cmp_ne_u32_e64 s15, 0, v21
	v_cmp_eq_u32_e32 vcc_lo, 0, v102
	s_and_b32 s16, s15, vcc_lo
	s_wait_alu 0xfffe
	s_and_saveexec_b32 s15, s16
; %bb.415:                              ;   in Loop: Header=BB1848_394 Depth=2
	v_bcnt_u32_b32 v21, v21, 0
	ds_store_b32 v104, v21 offset:1056
; %bb.416:                              ;   in Loop: Header=BB1848_394 Depth=2
	s_wait_alu 0xfffe
	s_or_b32 exec_lo, exec_lo, s15
	v_cmp_lt_i16_e32 vcc_lo, -1, v27
	; wave barrier
	s_wait_alu 0xfffd
	v_cndmask_b32_e64 v21, -1, 0xffff8000, vcc_lo
	s_delay_alu instid0(VALU_DEP_1) | instskip(NEXT) | instid1(VALU_DEP_1)
	v_xor_b32_e32 v103, v21, v27
	v_cmp_ne_u16_e32 vcc_lo, 0x7fff, v103
	s_wait_alu 0xfffd
	v_cndmask_b32_e32 v21, 0xffff8000, v103, vcc_lo
	s_delay_alu instid0(VALU_DEP_1) | instskip(NEXT) | instid1(VALU_DEP_1)
	v_and_b32_e32 v21, 0xffff, v21
	v_lshrrev_b32_e32 v21, s45, v21
	s_delay_alu instid0(VALU_DEP_1) | instskip(NEXT) | instid1(VALU_DEP_1)
	v_and_b32_e32 v27, s42, v21
	v_and_b32_e32 v21, 1, v27
	v_lshlrev_b32_e32 v105, 30, v27
	v_lshlrev_b32_e32 v106, 29, v27
	;; [unrolled: 1-line block ×4, first 2 shown]
	v_add_co_u32 v21, s15, v21, -1
	s_wait_alu 0xf1ff
	v_cndmask_b32_e64 v108, 0, 1, s15
	v_not_b32_e32 v112, v105
	v_cmp_gt_i32_e64 s15, 0, v105
	v_not_b32_e32 v105, v106
	v_lshlrev_b32_e32 v110, 26, v27
	v_cmp_ne_u32_e32 vcc_lo, 0, v108
	v_ashrrev_i32_e32 v112, 31, v112
	v_lshlrev_b32_e32 v111, 25, v27
	v_ashrrev_i32_e32 v105, 31, v105
	v_lshlrev_b32_e32 v108, 24, v27
	s_wait_alu 0xfffd
	v_xor_b32_e32 v21, vcc_lo, v21
	v_cmp_gt_i32_e32 vcc_lo, 0, v106
	v_not_b32_e32 v106, v107
	s_wait_alu 0xf1ff
	v_xor_b32_e32 v112, s15, v112
	v_cmp_gt_i32_e64 s15, 0, v107
	v_and_b32_e32 v21, exec_lo, v21
	v_not_b32_e32 v107, v109
	v_ashrrev_i32_e32 v106, 31, v106
	s_wait_alu 0xfffd
	v_xor_b32_e32 v105, vcc_lo, v105
	v_cmp_gt_i32_e32 vcc_lo, 0, v109
	v_and_b32_e32 v21, v21, v112
	v_not_b32_e32 v109, v110
	v_ashrrev_i32_e32 v107, 31, v107
	s_wait_alu 0xf1ff
	v_xor_b32_e32 v106, s15, v106
	v_cmp_gt_i32_e64 s15, 0, v110
	v_and_b32_e32 v21, v21, v105
	v_not_b32_e32 v105, v111
	v_ashrrev_i32_e32 v109, 31, v109
	s_wait_alu 0xfffd
	v_xor_b32_e32 v107, vcc_lo, v107
	v_cmp_gt_i32_e32 vcc_lo, 0, v111
	v_and_b32_e32 v21, v21, v106
	v_not_b32_e32 v106, v108
	v_ashrrev_i32_e32 v105, 31, v105
	s_wait_alu 0xf1ff
	v_xor_b32_e32 v109, s15, v109
	v_cmp_gt_i32_e64 s15, 0, v108
	v_and_b32_e32 v21, v21, v107
	v_ashrrev_i32_e32 v106, 31, v106
	s_wait_alu 0xfffd
	v_xor_b32_e32 v105, vcc_lo, v105
	v_mad_u32_u24 v107, v27, 36, v92
	v_mul_u32_u24_e32 v27, 36, v27
	v_and_b32_e32 v21, v21, v109
	s_wait_alu 0xf1ff
	v_xor_b32_e32 v106, s15, v106
	s_delay_alu instid0(VALU_DEP_3) | instskip(NEXT) | instid1(VALU_DEP_3)
	v_add_nc_u32_e32 v108, v92, v27
	v_and_b32_e32 v21, v21, v105
	ds_load_b32 v105, v107 offset:1056
	; wave barrier
	v_and_b32_e32 v21, v21, v106
	s_delay_alu instid0(VALU_DEP_1) | instskip(SKIP_1) | instid1(VALU_DEP_2)
	v_mbcnt_lo_u32_b32 v106, v21, 0
	v_cmp_ne_u32_e64 s15, 0, v21
	v_cmp_eq_u32_e32 vcc_lo, 0, v106
	s_and_b32 s16, s15, vcc_lo
	s_wait_alu 0xfffe
	s_and_saveexec_b32 s15, s16
	s_cbranch_execz .LBB1848_418
; %bb.417:                              ;   in Loop: Header=BB1848_394 Depth=2
	s_wait_dscnt 0x0
	v_bcnt_u32_b32 v21, v21, v105
	ds_store_b32 v108, v21 offset:1056
.LBB1848_418:                           ;   in Loop: Header=BB1848_394 Depth=2
	s_wait_alu 0xfffe
	s_or_b32 exec_lo, exec_lo, s15
	v_cmp_lt_i16_e32 vcc_lo, -1, v26
	; wave barrier
	s_wait_alu 0xfffd
	v_cndmask_b32_e64 v21, -1, 0xffff8000, vcc_lo
	s_delay_alu instid0(VALU_DEP_1) | instskip(NEXT) | instid1(VALU_DEP_1)
	v_xor_b32_e32 v107, v21, v26
	v_cmp_ne_u16_e32 vcc_lo, 0x7fff, v107
	s_wait_alu 0xfffd
	v_cndmask_b32_e32 v21, 0xffff8000, v107, vcc_lo
	s_delay_alu instid0(VALU_DEP_1) | instskip(NEXT) | instid1(VALU_DEP_1)
	v_and_b32_e32 v21, 0xffff, v21
	v_lshrrev_b32_e32 v21, s45, v21
	s_delay_alu instid0(VALU_DEP_1) | instskip(NEXT) | instid1(VALU_DEP_1)
	v_and_b32_e32 v26, s42, v21
	v_and_b32_e32 v21, 1, v26
	v_lshlrev_b32_e32 v27, 30, v26
	v_lshlrev_b32_e32 v109, 29, v26
	;; [unrolled: 1-line block ×4, first 2 shown]
	v_add_co_u32 v21, s15, v21, -1
	s_wait_alu 0xf1ff
	v_cndmask_b32_e64 v111, 0, 1, s15
	v_not_b32_e32 v115, v27
	v_cmp_gt_i32_e64 s15, 0, v27
	v_not_b32_e32 v27, v109
	v_lshlrev_b32_e32 v113, 26, v26
	v_cmp_ne_u32_e32 vcc_lo, 0, v111
	v_ashrrev_i32_e32 v115, 31, v115
	v_lshlrev_b32_e32 v114, 25, v26
	v_ashrrev_i32_e32 v27, 31, v27
	v_lshlrev_b32_e32 v111, 24, v26
	s_wait_alu 0xfffd
	v_xor_b32_e32 v21, vcc_lo, v21
	v_cmp_gt_i32_e32 vcc_lo, 0, v109
	v_not_b32_e32 v109, v110
	s_wait_alu 0xf1ff
	v_xor_b32_e32 v115, s15, v115
	v_cmp_gt_i32_e64 s15, 0, v110
	v_and_b32_e32 v21, exec_lo, v21
	v_not_b32_e32 v110, v112
	v_ashrrev_i32_e32 v109, 31, v109
	s_wait_alu 0xfffd
	v_xor_b32_e32 v27, vcc_lo, v27
	v_cmp_gt_i32_e32 vcc_lo, 0, v112
	v_and_b32_e32 v21, v21, v115
	v_not_b32_e32 v112, v113
	v_ashrrev_i32_e32 v110, 31, v110
	s_wait_alu 0xf1ff
	v_xor_b32_e32 v109, s15, v109
	v_cmp_gt_i32_e64 s15, 0, v113
	v_and_b32_e32 v21, v21, v27
	v_not_b32_e32 v27, v114
	v_ashrrev_i32_e32 v112, 31, v112
	s_wait_alu 0xfffd
	v_xor_b32_e32 v110, vcc_lo, v110
	v_cmp_gt_i32_e32 vcc_lo, 0, v114
	v_and_b32_e32 v21, v21, v109
	v_not_b32_e32 v109, v111
	v_ashrrev_i32_e32 v27, 31, v27
	s_wait_alu 0xf1ff
	v_xor_b32_e32 v112, s15, v112
	v_cmp_gt_i32_e64 s15, 0, v111
	v_and_b32_e32 v21, v21, v110
	v_ashrrev_i32_e32 v109, 31, v109
	s_wait_alu 0xfffd
	v_xor_b32_e32 v27, vcc_lo, v27
	v_mad_u32_u24 v110, v26, 36, v92
	v_mul_u32_u24_e32 v26, 36, v26
	v_and_b32_e32 v21, v21, v112
	s_wait_alu 0xf1ff
	v_xor_b32_e32 v111, s15, v109
	ds_load_b32 v109, v110 offset:1056
	v_add_nc_u32_e32 v112, v92, v26
	v_and_b32_e32 v21, v21, v27
	; wave barrier
	s_delay_alu instid0(VALU_DEP_1) | instskip(NEXT) | instid1(VALU_DEP_1)
	v_and_b32_e32 v21, v21, v111
	v_mbcnt_lo_u32_b32 v111, v21, 0
	v_cmp_ne_u32_e64 s15, 0, v21
	s_delay_alu instid0(VALU_DEP_2)
	v_cmp_eq_u32_e32 vcc_lo, 0, v111
	s_and_b32 s16, s15, vcc_lo
	s_wait_alu 0xfffe
	s_and_saveexec_b32 s15, s16
	s_cbranch_execz .LBB1848_420
; %bb.419:                              ;   in Loop: Header=BB1848_394 Depth=2
	s_wait_dscnt 0x0
	v_bcnt_u32_b32 v21, v21, v109
	ds_store_b32 v112, v21 offset:1056
.LBB1848_420:                           ;   in Loop: Header=BB1848_394 Depth=2
	s_wait_alu 0xfffe
	s_or_b32 exec_lo, exec_lo, s15
	v_cmp_lt_i16_e32 vcc_lo, -1, v25
	; wave barrier
	s_wait_alu 0xfffd
	v_cndmask_b32_e64 v21, -1, 0xffff8000, vcc_lo
	s_delay_alu instid0(VALU_DEP_1) | instskip(NEXT) | instid1(VALU_DEP_1)
	v_xor_b32_e32 v110, v21, v25
	v_cmp_ne_u16_e32 vcc_lo, 0x7fff, v110
	s_wait_alu 0xfffd
	v_cndmask_b32_e32 v21, 0xffff8000, v110, vcc_lo
	s_delay_alu instid0(VALU_DEP_1) | instskip(NEXT) | instid1(VALU_DEP_1)
	v_and_b32_e32 v21, 0xffff, v21
	v_lshrrev_b32_e32 v21, s45, v21
	s_delay_alu instid0(VALU_DEP_1) | instskip(NEXT) | instid1(VALU_DEP_1)
	v_and_b32_e32 v25, s42, v21
	v_and_b32_e32 v21, 1, v25
	v_lshlrev_b32_e32 v26, 30, v25
	v_lshlrev_b32_e32 v27, 29, v25
	;; [unrolled: 1-line block ×4, first 2 shown]
	v_add_co_u32 v21, s15, v21, -1
	s_wait_alu 0xf1ff
	v_cndmask_b32_e64 v114, 0, 1, s15
	v_not_b32_e32 v118, v26
	v_cmp_gt_i32_e64 s15, 0, v26
	v_not_b32_e32 v26, v27
	v_lshlrev_b32_e32 v116, 26, v25
	v_cmp_ne_u32_e32 vcc_lo, 0, v114
	v_ashrrev_i32_e32 v118, 31, v118
	v_lshlrev_b32_e32 v117, 25, v25
	v_ashrrev_i32_e32 v26, 31, v26
	v_lshlrev_b32_e32 v114, 24, v25
	s_wait_alu 0xfffd
	v_xor_b32_e32 v21, vcc_lo, v21
	v_cmp_gt_i32_e32 vcc_lo, 0, v27
	v_not_b32_e32 v27, v113
	s_wait_alu 0xf1ff
	v_xor_b32_e32 v118, s15, v118
	v_cmp_gt_i32_e64 s15, 0, v113
	v_and_b32_e32 v21, exec_lo, v21
	v_not_b32_e32 v113, v115
	v_ashrrev_i32_e32 v27, 31, v27
	s_wait_alu 0xfffd
	v_xor_b32_e32 v26, vcc_lo, v26
	v_cmp_gt_i32_e32 vcc_lo, 0, v115
	v_and_b32_e32 v21, v21, v118
	v_not_b32_e32 v115, v116
	v_ashrrev_i32_e32 v113, 31, v113
	s_wait_alu 0xf1ff
	v_xor_b32_e32 v27, s15, v27
	v_cmp_gt_i32_e64 s15, 0, v116
	v_and_b32_e32 v21, v21, v26
	v_not_b32_e32 v26, v117
	v_ashrrev_i32_e32 v115, 31, v115
	s_wait_alu 0xfffd
	v_xor_b32_e32 v113, vcc_lo, v113
	v_cmp_gt_i32_e32 vcc_lo, 0, v117
	v_and_b32_e32 v21, v21, v27
	v_not_b32_e32 v27, v114
	v_ashrrev_i32_e32 v26, 31, v26
	s_wait_alu 0xf1ff
	v_xor_b32_e32 v115, s15, v115
	v_cmp_gt_i32_e64 s15, 0, v114
	v_and_b32_e32 v21, v21, v113
	v_ashrrev_i32_e32 v27, 31, v27
	s_wait_alu 0xfffd
	v_xor_b32_e32 v26, vcc_lo, v26
	v_mad_u32_u24 v113, v25, 36, v92
	v_mul_u32_u24_e32 v25, 36, v25
	v_and_b32_e32 v21, v21, v115
	s_wait_alu 0xf1ff
	v_xor_b32_e32 v27, s15, v27
	ds_load_b32 v113, v113 offset:1056
	v_add_nc_u32_e32 v116, v92, v25
	v_and_b32_e32 v21, v21, v26
	; wave barrier
	s_delay_alu instid0(VALU_DEP_1) | instskip(NEXT) | instid1(VALU_DEP_1)
	v_and_b32_e32 v21, v21, v27
	v_mbcnt_lo_u32_b32 v115, v21, 0
	v_cmp_ne_u32_e64 s15, 0, v21
	s_delay_alu instid0(VALU_DEP_2)
	v_cmp_eq_u32_e32 vcc_lo, 0, v115
	s_and_b32 s16, s15, vcc_lo
	s_wait_alu 0xfffe
	s_and_saveexec_b32 s15, s16
	s_cbranch_execz .LBB1848_422
; %bb.421:                              ;   in Loop: Header=BB1848_394 Depth=2
	s_wait_dscnt 0x0
	v_bcnt_u32_b32 v21, v21, v113
	ds_store_b32 v116, v21 offset:1056
.LBB1848_422:                           ;   in Loop: Header=BB1848_394 Depth=2
	s_wait_alu 0xfffe
	s_or_b32 exec_lo, exec_lo, s15
	v_cmp_lt_i16_e32 vcc_lo, -1, v24
	; wave barrier
	s_wait_alu 0xfffd
	v_cndmask_b32_e64 v21, -1, 0xffff8000, vcc_lo
	s_delay_alu instid0(VALU_DEP_1) | instskip(NEXT) | instid1(VALU_DEP_1)
	v_xor_b32_e32 v114, v21, v24
	v_cmp_ne_u16_e32 vcc_lo, 0x7fff, v114
	s_wait_alu 0xfffd
	v_cndmask_b32_e32 v21, 0xffff8000, v114, vcc_lo
	s_delay_alu instid0(VALU_DEP_1) | instskip(NEXT) | instid1(VALU_DEP_1)
	v_and_b32_e32 v21, 0xffff, v21
	v_lshrrev_b32_e32 v21, s45, v21
	s_delay_alu instid0(VALU_DEP_1) | instskip(NEXT) | instid1(VALU_DEP_1)
	v_and_b32_e32 v24, s42, v21
	v_and_b32_e32 v21, 1, v24
	v_lshlrev_b32_e32 v25, 30, v24
	v_lshlrev_b32_e32 v26, 29, v24
	;; [unrolled: 1-line block ×4, first 2 shown]
	v_add_co_u32 v21, s15, v21, -1
	s_wait_alu 0xf1ff
	v_cndmask_b32_e64 v117, 0, 1, s15
	v_not_b32_e32 v121, v25
	v_cmp_gt_i32_e64 s15, 0, v25
	v_not_b32_e32 v25, v26
	v_lshlrev_b32_e32 v119, 26, v24
	v_cmp_ne_u32_e32 vcc_lo, 0, v117
	v_ashrrev_i32_e32 v121, 31, v121
	v_lshlrev_b32_e32 v120, 25, v24
	v_ashrrev_i32_e32 v25, 31, v25
	v_lshlrev_b32_e32 v117, 24, v24
	s_wait_alu 0xfffd
	v_xor_b32_e32 v21, vcc_lo, v21
	v_cmp_gt_i32_e32 vcc_lo, 0, v26
	v_not_b32_e32 v26, v27
	s_wait_alu 0xf1ff
	v_xor_b32_e32 v121, s15, v121
	v_cmp_gt_i32_e64 s15, 0, v27
	v_and_b32_e32 v21, exec_lo, v21
	v_not_b32_e32 v27, v118
	v_ashrrev_i32_e32 v26, 31, v26
	s_wait_alu 0xfffd
	v_xor_b32_e32 v25, vcc_lo, v25
	v_cmp_gt_i32_e32 vcc_lo, 0, v118
	v_and_b32_e32 v21, v21, v121
	v_not_b32_e32 v118, v119
	v_ashrrev_i32_e32 v27, 31, v27
	s_wait_alu 0xf1ff
	v_xor_b32_e32 v26, s15, v26
	v_cmp_gt_i32_e64 s15, 0, v119
	v_and_b32_e32 v21, v21, v25
	v_not_b32_e32 v25, v120
	v_ashrrev_i32_e32 v118, 31, v118
	s_wait_alu 0xfffd
	v_xor_b32_e32 v27, vcc_lo, v27
	v_cmp_gt_i32_e32 vcc_lo, 0, v120
	v_and_b32_e32 v21, v21, v26
	v_not_b32_e32 v26, v117
	v_ashrrev_i32_e32 v25, 31, v25
	s_wait_alu 0xf1ff
	v_xor_b32_e32 v118, s15, v118
	v_cmp_gt_i32_e64 s15, 0, v117
	v_and_b32_e32 v21, v21, v27
	v_ashrrev_i32_e32 v26, 31, v26
	s_wait_alu 0xfffd
	v_xor_b32_e32 v25, vcc_lo, v25
	v_mad_u32_u24 v27, v24, 36, v92
	v_mul_u32_u24_e32 v24, 36, v24
	v_and_b32_e32 v21, v21, v118
	s_wait_alu 0xf1ff
	v_xor_b32_e32 v26, s15, v26
	ds_load_b32 v117, v27 offset:1056
	v_add_nc_u32_e32 v120, v92, v24
	v_and_b32_e32 v21, v21, v25
	; wave barrier
	s_delay_alu instid0(VALU_DEP_1) | instskip(NEXT) | instid1(VALU_DEP_1)
	v_and_b32_e32 v21, v21, v26
	v_mbcnt_lo_u32_b32 v119, v21, 0
	v_cmp_ne_u32_e64 s15, 0, v21
	s_delay_alu instid0(VALU_DEP_2)
	v_cmp_eq_u32_e32 vcc_lo, 0, v119
	s_and_b32 s16, s15, vcc_lo
	s_wait_alu 0xfffe
	s_and_saveexec_b32 s15, s16
	s_cbranch_execz .LBB1848_424
; %bb.423:                              ;   in Loop: Header=BB1848_394 Depth=2
	s_wait_dscnt 0x0
	v_bcnt_u32_b32 v21, v21, v117
	ds_store_b32 v120, v21 offset:1056
.LBB1848_424:                           ;   in Loop: Header=BB1848_394 Depth=2
	s_wait_alu 0xfffe
	s_or_b32 exec_lo, exec_lo, s15
	v_cmp_lt_i16_e32 vcc_lo, -1, v23
	; wave barrier
	s_wait_alu 0xfffd
	v_cndmask_b32_e64 v21, -1, 0xffff8000, vcc_lo
	s_delay_alu instid0(VALU_DEP_1) | instskip(NEXT) | instid1(VALU_DEP_1)
	v_xor_b32_e32 v118, v21, v23
	v_cmp_ne_u16_e32 vcc_lo, 0x7fff, v118
	s_wait_alu 0xfffd
	v_cndmask_b32_e32 v21, 0xffff8000, v118, vcc_lo
	s_delay_alu instid0(VALU_DEP_1) | instskip(NEXT) | instid1(VALU_DEP_1)
	v_and_b32_e32 v21, 0xffff, v21
	v_lshrrev_b32_e32 v21, s45, v21
	s_delay_alu instid0(VALU_DEP_1) | instskip(NEXT) | instid1(VALU_DEP_1)
	v_and_b32_e32 v23, s42, v21
	v_and_b32_e32 v21, 1, v23
	v_lshlrev_b32_e32 v24, 30, v23
	v_lshlrev_b32_e32 v25, 29, v23
	;; [unrolled: 1-line block ×4, first 2 shown]
	v_add_co_u32 v21, s15, v21, -1
	s_wait_alu 0xf1ff
	v_cndmask_b32_e64 v27, 0, 1, s15
	v_not_b32_e32 v124, v24
	v_cmp_gt_i32_e64 s15, 0, v24
	v_not_b32_e32 v24, v25
	v_lshlrev_b32_e32 v122, 26, v23
	v_cmp_ne_u32_e32 vcc_lo, 0, v27
	v_ashrrev_i32_e32 v124, 31, v124
	v_lshlrev_b32_e32 v123, 25, v23
	v_ashrrev_i32_e32 v24, 31, v24
	v_lshlrev_b32_e32 v27, 24, v23
	s_wait_alu 0xfffd
	v_xor_b32_e32 v21, vcc_lo, v21
	v_cmp_gt_i32_e32 vcc_lo, 0, v25
	v_not_b32_e32 v25, v26
	s_wait_alu 0xf1ff
	v_xor_b32_e32 v124, s15, v124
	v_cmp_gt_i32_e64 s15, 0, v26
	v_and_b32_e32 v21, exec_lo, v21
	v_not_b32_e32 v26, v121
	v_ashrrev_i32_e32 v25, 31, v25
	s_wait_alu 0xfffd
	v_xor_b32_e32 v24, vcc_lo, v24
	v_cmp_gt_i32_e32 vcc_lo, 0, v121
	v_and_b32_e32 v21, v21, v124
	v_not_b32_e32 v121, v122
	v_ashrrev_i32_e32 v26, 31, v26
	s_wait_alu 0xf1ff
	v_xor_b32_e32 v25, s15, v25
	v_cmp_gt_i32_e64 s15, 0, v122
	v_and_b32_e32 v21, v21, v24
	v_not_b32_e32 v24, v123
	v_ashrrev_i32_e32 v121, 31, v121
	s_wait_alu 0xfffd
	v_xor_b32_e32 v26, vcc_lo, v26
	v_cmp_gt_i32_e32 vcc_lo, 0, v123
	v_and_b32_e32 v21, v21, v25
	v_not_b32_e32 v25, v27
	v_ashrrev_i32_e32 v24, 31, v24
	s_wait_alu 0xf1ff
	v_xor_b32_e32 v121, s15, v121
	v_cmp_gt_i32_e64 s15, 0, v27
	v_and_b32_e32 v21, v21, v26
	v_ashrrev_i32_e32 v25, 31, v25
	s_wait_alu 0xfffd
	v_xor_b32_e32 v24, vcc_lo, v24
	v_mad_u32_u24 v26, v23, 36, v92
	v_mul_u32_u24_e32 v23, 36, v23
	v_and_b32_e32 v21, v21, v121
	s_wait_alu 0xf1ff
	v_xor_b32_e32 v25, s15, v25
	ds_load_b32 v121, v26 offset:1056
	v_add_nc_u32_e32 v124, v92, v23
	v_and_b32_e32 v21, v21, v24
	; wave barrier
	s_delay_alu instid0(VALU_DEP_1) | instskip(NEXT) | instid1(VALU_DEP_1)
	v_and_b32_e32 v21, v21, v25
	v_mbcnt_lo_u32_b32 v123, v21, 0
	v_cmp_ne_u32_e64 s15, 0, v21
	s_delay_alu instid0(VALU_DEP_2)
	v_cmp_eq_u32_e32 vcc_lo, 0, v123
	s_and_b32 s16, s15, vcc_lo
	s_wait_alu 0xfffe
	s_and_saveexec_b32 s15, s16
	s_cbranch_execz .LBB1848_426
; %bb.425:                              ;   in Loop: Header=BB1848_394 Depth=2
	s_wait_dscnt 0x0
	v_bcnt_u32_b32 v21, v21, v121
	ds_store_b32 v124, v21 offset:1056
.LBB1848_426:                           ;   in Loop: Header=BB1848_394 Depth=2
	s_wait_alu 0xfffe
	s_or_b32 exec_lo, exec_lo, s15
	v_cmp_lt_i16_e32 vcc_lo, -1, v22
	; wave barrier
	s_wait_alu 0xfffd
	v_cndmask_b32_e64 v21, -1, 0xffff8000, vcc_lo
	s_delay_alu instid0(VALU_DEP_1) | instskip(NEXT) | instid1(VALU_DEP_1)
	v_xor_b32_e32 v122, v21, v22
	v_cmp_ne_u16_e32 vcc_lo, 0x7fff, v122
	s_wait_alu 0xfffd
	v_cndmask_b32_e32 v21, 0xffff8000, v122, vcc_lo
	s_delay_alu instid0(VALU_DEP_1) | instskip(NEXT) | instid1(VALU_DEP_1)
	v_and_b32_e32 v21, 0xffff, v21
	v_lshrrev_b32_e32 v21, s45, v21
	s_delay_alu instid0(VALU_DEP_1) | instskip(NEXT) | instid1(VALU_DEP_1)
	v_and_b32_e32 v22, s42, v21
	v_and_b32_e32 v21, 1, v22
	v_lshlrev_b32_e32 v23, 30, v22
	v_lshlrev_b32_e32 v24, 29, v22
	;; [unrolled: 1-line block ×4, first 2 shown]
	v_add_co_u32 v21, s15, v21, -1
	s_wait_alu 0xf1ff
	v_cndmask_b32_e64 v26, 0, 1, s15
	v_not_b32_e32 v127, v23
	v_cmp_gt_i32_e64 s15, 0, v23
	v_not_b32_e32 v23, v24
	v_lshlrev_b32_e32 v125, 26, v22
	v_cmp_ne_u32_e32 vcc_lo, 0, v26
	v_ashrrev_i32_e32 v127, 31, v127
	v_lshlrev_b32_e32 v126, 25, v22
	v_ashrrev_i32_e32 v23, 31, v23
	v_lshlrev_b32_e32 v26, 24, v22
	s_wait_alu 0xfffd
	v_xor_b32_e32 v21, vcc_lo, v21
	v_cmp_gt_i32_e32 vcc_lo, 0, v24
	v_not_b32_e32 v24, v25
	s_wait_alu 0xf1ff
	v_xor_b32_e32 v127, s15, v127
	v_cmp_gt_i32_e64 s15, 0, v25
	v_and_b32_e32 v21, exec_lo, v21
	v_not_b32_e32 v25, v27
	v_ashrrev_i32_e32 v24, 31, v24
	s_wait_alu 0xfffd
	v_xor_b32_e32 v23, vcc_lo, v23
	v_cmp_gt_i32_e32 vcc_lo, 0, v27
	v_and_b32_e32 v21, v21, v127
	v_not_b32_e32 v27, v125
	v_ashrrev_i32_e32 v25, 31, v25
	s_wait_alu 0xf1ff
	v_xor_b32_e32 v24, s15, v24
	v_cmp_gt_i32_e64 s15, 0, v125
	v_and_b32_e32 v21, v21, v23
	v_not_b32_e32 v23, v126
	v_ashrrev_i32_e32 v27, 31, v27
	s_wait_alu 0xfffd
	v_xor_b32_e32 v25, vcc_lo, v25
	v_cmp_gt_i32_e32 vcc_lo, 0, v126
	v_and_b32_e32 v21, v21, v24
	v_not_b32_e32 v24, v26
	v_ashrrev_i32_e32 v23, 31, v23
	s_wait_alu 0xf1ff
	v_xor_b32_e32 v27, s15, v27
	v_cmp_gt_i32_e64 s15, 0, v26
	v_and_b32_e32 v21, v21, v25
	v_ashrrev_i32_e32 v24, 31, v24
	s_wait_alu 0xfffd
	v_xor_b32_e32 v23, vcc_lo, v23
	v_mad_u32_u24 v25, v22, 36, v92
	v_mul_u32_u24_e32 v22, 36, v22
	v_and_b32_e32 v21, v21, v27
	s_wait_alu 0xf1ff
	v_xor_b32_e32 v24, s15, v24
	ds_load_b32 v125, v25 offset:1056
	v_add_nc_u32_e32 v128, v92, v22
	v_and_b32_e32 v21, v21, v23
	; wave barrier
	s_delay_alu instid0(VALU_DEP_1) | instskip(NEXT) | instid1(VALU_DEP_1)
	v_and_b32_e32 v21, v21, v24
	v_mbcnt_lo_u32_b32 v126, v21, 0
	v_cmp_ne_u32_e64 s15, 0, v21
	s_delay_alu instid0(VALU_DEP_2)
	v_cmp_eq_u32_e32 vcc_lo, 0, v126
	s_and_b32 s16, s15, vcc_lo
	s_wait_alu 0xfffe
	s_and_saveexec_b32 s15, s16
	s_cbranch_execz .LBB1848_428
; %bb.427:                              ;   in Loop: Header=BB1848_394 Depth=2
	s_wait_dscnt 0x0
	v_bcnt_u32_b32 v21, v21, v125
	ds_store_b32 v128, v21 offset:1056
.LBB1848_428:                           ;   in Loop: Header=BB1848_394 Depth=2
	s_wait_alu 0xfffe
	s_or_b32 exec_lo, exec_lo, s15
	v_cmp_lt_i16_e32 vcc_lo, -1, v20
	; wave barrier
	s_wait_alu 0xfffd
	v_cndmask_b32_e64 v21, -1, 0xffff8000, vcc_lo
	s_delay_alu instid0(VALU_DEP_1) | instskip(NEXT) | instid1(VALU_DEP_1)
	v_xor_b32_e32 v127, v21, v20
	v_cmp_ne_u16_e32 vcc_lo, 0x7fff, v127
	s_wait_alu 0xfffd
	v_cndmask_b32_e32 v20, 0xffff8000, v127, vcc_lo
	s_delay_alu instid0(VALU_DEP_1) | instskip(NEXT) | instid1(VALU_DEP_1)
	v_and_b32_e32 v20, 0xffff, v20
	v_lshrrev_b32_e32 v20, s45, v20
	s_delay_alu instid0(VALU_DEP_1) | instskip(NEXT) | instid1(VALU_DEP_1)
	v_and_b32_e32 v21, s42, v20
	v_and_b32_e32 v20, 1, v21
	v_lshlrev_b32_e32 v22, 30, v21
	v_lshlrev_b32_e32 v23, 29, v21
	;; [unrolled: 1-line block ×4, first 2 shown]
	v_add_co_u32 v20, s15, v20, -1
	s_wait_alu 0xf1ff
	v_cndmask_b32_e64 v25, 0, 1, s15
	v_not_b32_e32 v130, v22
	v_cmp_gt_i32_e64 s15, 0, v22
	v_not_b32_e32 v22, v23
	v_lshlrev_b32_e32 v27, 26, v21
	v_cmp_ne_u32_e32 vcc_lo, 0, v25
	v_ashrrev_i32_e32 v130, 31, v130
	v_lshlrev_b32_e32 v129, 25, v21
	v_ashrrev_i32_e32 v22, 31, v22
	v_lshlrev_b32_e32 v25, 24, v21
	s_wait_alu 0xfffd
	v_xor_b32_e32 v20, vcc_lo, v20
	v_cmp_gt_i32_e32 vcc_lo, 0, v23
	v_not_b32_e32 v23, v24
	s_wait_alu 0xf1ff
	v_xor_b32_e32 v130, s15, v130
	v_cmp_gt_i32_e64 s15, 0, v24
	v_and_b32_e32 v20, exec_lo, v20
	v_not_b32_e32 v24, v26
	v_ashrrev_i32_e32 v23, 31, v23
	s_wait_alu 0xfffd
	v_xor_b32_e32 v22, vcc_lo, v22
	v_cmp_gt_i32_e32 vcc_lo, 0, v26
	v_and_b32_e32 v20, v20, v130
	v_not_b32_e32 v26, v27
	v_ashrrev_i32_e32 v24, 31, v24
	s_wait_alu 0xf1ff
	v_xor_b32_e32 v23, s15, v23
	v_cmp_gt_i32_e64 s15, 0, v27
	v_and_b32_e32 v20, v20, v22
	v_not_b32_e32 v22, v129
	v_ashrrev_i32_e32 v26, 31, v26
	s_wait_alu 0xfffd
	v_xor_b32_e32 v24, vcc_lo, v24
	v_cmp_gt_i32_e32 vcc_lo, 0, v129
	v_and_b32_e32 v20, v20, v23
	v_not_b32_e32 v23, v25
	v_ashrrev_i32_e32 v22, 31, v22
	s_wait_alu 0xf1ff
	v_xor_b32_e32 v26, s15, v26
	v_cmp_gt_i32_e64 s15, 0, v25
	v_and_b32_e32 v20, v20, v24
	v_ashrrev_i32_e32 v23, 31, v23
	s_wait_alu 0xfffd
	v_xor_b32_e32 v22, vcc_lo, v22
	v_mad_u32_u24 v24, v21, 36, v92
	v_mul_u32_u24_e32 v21, 36, v21
	v_and_b32_e32 v20, v20, v26
	s_wait_alu 0xf1ff
	v_xor_b32_e32 v23, s15, v23
	ds_load_b32 v129, v24 offset:1056
	v_add_nc_u32_e32 v131, v92, v21
	v_and_b32_e32 v20, v20, v22
	; wave barrier
	s_delay_alu instid0(VALU_DEP_1) | instskip(NEXT) | instid1(VALU_DEP_1)
	v_and_b32_e32 v20, v20, v23
	v_mbcnt_lo_u32_b32 v130, v20, 0
	v_cmp_ne_u32_e64 s15, 0, v20
	s_delay_alu instid0(VALU_DEP_2)
	v_cmp_eq_u32_e32 vcc_lo, 0, v130
	s_and_b32 s16, s15, vcc_lo
	s_wait_alu 0xfffe
	s_and_saveexec_b32 s15, s16
	s_cbranch_execz .LBB1848_430
; %bb.429:                              ;   in Loop: Header=BB1848_394 Depth=2
	s_wait_dscnt 0x0
	v_bcnt_u32_b32 v20, v20, v129
	ds_store_b32 v131, v20 offset:1056
.LBB1848_430:                           ;   in Loop: Header=BB1848_394 Depth=2
	s_wait_alu 0xfffe
	s_or_b32 exec_lo, exec_lo, s15
	; wave barrier
	s_wait_loadcnt_dscnt 0x0
	s_barrier_signal -1
	s_barrier_wait -1
	global_inv scope:SCOPE_SE
	ds_load_2addr_b32 v[26:27], v78 offset1:1
	ds_load_2addr_b32 v[24:25], v79 offset1:1
	;; [unrolled: 1-line block ×4, first 2 shown]
	ds_load_b32 v132, v43 offset:1088
	s_wait_dscnt 0x3
	v_add3_u32 v133, v27, v26, v24
	s_wait_dscnt 0x2
	s_delay_alu instid0(VALU_DEP_1) | instskip(SKIP_1) | instid1(VALU_DEP_1)
	v_add3_u32 v133, v133, v25, v22
	s_wait_dscnt 0x1
	v_add3_u32 v133, v133, v23, v20
	s_wait_dscnt 0x0
	s_delay_alu instid0(VALU_DEP_1) | instskip(NEXT) | instid1(VALU_DEP_1)
	v_add3_u32 v132, v133, v21, v132
	v_mov_b32_dpp v133, v132 row_shr:1 row_mask:0xf bank_mask:0xf
	s_delay_alu instid0(VALU_DEP_1) | instskip(NEXT) | instid1(VALU_DEP_1)
	v_cndmask_b32_e64 v133, v133, 0, s0
	v_add_nc_u32_e32 v132, v133, v132
	s_delay_alu instid0(VALU_DEP_1) | instskip(NEXT) | instid1(VALU_DEP_1)
	v_mov_b32_dpp v133, v132 row_shr:2 row_mask:0xf bank_mask:0xf
	v_cndmask_b32_e64 v133, 0, v133, s1
	s_delay_alu instid0(VALU_DEP_1) | instskip(NEXT) | instid1(VALU_DEP_1)
	v_add_nc_u32_e32 v132, v132, v133
	v_mov_b32_dpp v133, v132 row_shr:4 row_mask:0xf bank_mask:0xf
	s_delay_alu instid0(VALU_DEP_1) | instskip(NEXT) | instid1(VALU_DEP_1)
	v_cndmask_b32_e64 v133, 0, v133, s9
	v_add_nc_u32_e32 v132, v132, v133
	s_delay_alu instid0(VALU_DEP_1) | instskip(NEXT) | instid1(VALU_DEP_1)
	v_mov_b32_dpp v133, v132 row_shr:8 row_mask:0xf bank_mask:0xf
	v_cndmask_b32_e64 v133, 0, v133, s10
	s_delay_alu instid0(VALU_DEP_1) | instskip(SKIP_3) | instid1(VALU_DEP_1)
	v_add_nc_u32_e32 v132, v132, v133
	ds_swizzle_b32 v133, v132 offset:swizzle(BROADCAST,32,15)
	s_wait_dscnt 0x0
	v_cndmask_b32_e64 v133, v133, 0, s11
	v_add_nc_u32_e32 v132, v132, v133
	s_and_saveexec_b32 s15, s3
; %bb.431:                              ;   in Loop: Header=BB1848_394 Depth=2
	ds_store_b32 v38, v132 offset:1024
; %bb.432:                              ;   in Loop: Header=BB1848_394 Depth=2
	s_wait_alu 0xfffe
	s_or_b32 exec_lo, exec_lo, s15
	s_wait_loadcnt_dscnt 0x0
	s_barrier_signal -1
	s_barrier_wait -1
	global_inv scope:SCOPE_SE
	s_and_saveexec_b32 s15, s4
	s_cbranch_execz .LBB1848_434
; %bb.433:                              ;   in Loop: Header=BB1848_394 Depth=2
	ds_load_b32 v133, v46 offset:1024
	s_wait_dscnt 0x0
	v_mov_b32_dpp v134, v133 row_shr:1 row_mask:0xf bank_mask:0xf
	s_delay_alu instid0(VALU_DEP_1) | instskip(NEXT) | instid1(VALU_DEP_1)
	v_cndmask_b32_e64 v134, v134, 0, s12
	v_add_nc_u32_e32 v133, v134, v133
	s_delay_alu instid0(VALU_DEP_1) | instskip(NEXT) | instid1(VALU_DEP_1)
	v_mov_b32_dpp v134, v133 row_shr:2 row_mask:0xf bank_mask:0xf
	v_cndmask_b32_e64 v134, 0, v134, s13
	s_delay_alu instid0(VALU_DEP_1) | instskip(NEXT) | instid1(VALU_DEP_1)
	v_add_nc_u32_e32 v133, v133, v134
	v_mov_b32_dpp v134, v133 row_shr:4 row_mask:0xf bank_mask:0xf
	s_delay_alu instid0(VALU_DEP_1) | instskip(NEXT) | instid1(VALU_DEP_1)
	v_cndmask_b32_e64 v134, 0, v134, s14
	v_add_nc_u32_e32 v133, v133, v134
	ds_store_b32 v46, v133 offset:1024
.LBB1848_434:                           ;   in Loop: Header=BB1848_394 Depth=2
	s_wait_alu 0xfffe
	s_or_b32 exec_lo, exec_lo, s15
	v_mov_b32_e32 v133, 0
	s_wait_loadcnt_dscnt 0x0
	s_barrier_signal -1
	s_barrier_wait -1
	global_inv scope:SCOPE_SE
	s_and_saveexec_b32 s15, s5
; %bb.435:                              ;   in Loop: Header=BB1848_394 Depth=2
	ds_load_b32 v133, v38 offset:1020
; %bb.436:                              ;   in Loop: Header=BB1848_394 Depth=2
	s_wait_alu 0xfffe
	s_or_b32 exec_lo, exec_lo, s15
	s_wait_dscnt 0x0
	v_add_nc_u32_e32 v132, v133, v132
	ds_bpermute_b32 v132, v87, v132
	s_wait_dscnt 0x0
	v_cndmask_b32_e64 v132, v132, v133, s8
	s_delay_alu instid0(VALU_DEP_1) | instskip(NEXT) | instid1(VALU_DEP_1)
	v_cndmask_b32_e64 v132, v132, 0, s6
	v_add_nc_u32_e32 v26, v132, v26
	s_delay_alu instid0(VALU_DEP_1) | instskip(NEXT) | instid1(VALU_DEP_1)
	v_add_nc_u32_e32 v27, v26, v27
	v_add_nc_u32_e32 v24, v27, v24
	s_delay_alu instid0(VALU_DEP_1) | instskip(NEXT) | instid1(VALU_DEP_1)
	v_add_nc_u32_e32 v25, v24, v25
	;; [unrolled: 3-line block ×3, first 2 shown]
	v_add_nc_u32_e32 v20, v23, v20
	s_delay_alu instid0(VALU_DEP_1)
	v_add_nc_u32_e32 v21, v20, v21
	ds_store_2addr_b32 v81, v23, v20 offset1:1
	ds_store_2addr_b32 v78, v132, v26 offset1:1
	;; [unrolled: 1-line block ×4, first 2 shown]
	ds_store_b32 v43, v21 offset:1088
	s_wait_loadcnt_dscnt 0x0
	s_barrier_signal -1
	s_barrier_wait -1
	global_inv scope:SCOPE_SE
	ds_load_b32 v23, v104 offset:1056
	ds_load_b32 v24, v108 offset:1056
	;; [unrolled: 1-line block ×9, first 2 shown]
	v_mov_b32_e32 v22, 0x800
	s_and_saveexec_b32 s15, s7
; %bb.437:                              ;   in Loop: Header=BB1848_394 Depth=2
	ds_load_b32 v22, v43 offset:1092
; %bb.438:                              ;   in Loop: Header=BB1848_394 Depth=2
	s_wait_alu 0xfffe
	s_or_b32 exec_lo, exec_lo, s15
	s_wait_loadcnt_dscnt 0x0
	s_barrier_signal -1
	s_barrier_wait -1
	global_inv scope:SCOPE_SE
	s_and_saveexec_b32 s15, s2
	s_cbranch_execz .LBB1848_440
; %bb.439:                              ;   in Loop: Header=BB1848_394 Depth=2
	ds_load_b32 v108, v28
	s_wait_dscnt 0x0
	v_sub_nc_u32_e32 v104, v108, v104
	ds_store_b32 v28, v104
.LBB1848_440:                           ;   in Loop: Header=BB1848_394 Depth=2
	s_wait_alu 0xfffe
	s_or_b32 exec_lo, exec_lo, s15
	v_add_nc_u32_e32 v108, v23, v102
	v_add3_u32 v104, v106, v105, v24
	v_add3_u32 v102, v111, v109, v25
	v_add3_u32 v25, v115, v113, v26
	v_add3_u32 v24, v119, v117, v27
	v_lshlrev_b32_e32 v105, 1, v108
	v_lshlrev_b32_e32 v106, 1, v104
	v_add3_u32 v23, v123, v121, v112
	v_lshlrev_b32_e32 v109, 1, v102
	v_add3_u32 v27, v126, v125, v20
	v_add3_u32 v26, v130, v129, v21
	ds_store_b16 v105, v2 offset:1024
	ds_store_b16 v106, v103 offset:1024
	;; [unrolled: 1-line block ×3, first 2 shown]
	v_lshlrev_b32_e32 v2, 1, v25
	v_cmp_lt_u32_e32 vcc_lo, v1, v101
	v_lshlrev_b32_e32 v20, 1, v24
	v_lshlrev_b32_e32 v21, 1, v23
	;; [unrolled: 1-line block ×4, first 2 shown]
	ds_store_b16 v2, v110 offset:1024
	ds_store_b16 v20, v114 offset:1024
	;; [unrolled: 1-line block ×5, first 2 shown]
	s_wait_loadcnt_dscnt 0x0
	s_barrier_signal -1
	s_barrier_wait -1
	global_inv scope:SCOPE_SE
	s_and_saveexec_b32 s16, vcc_lo
	s_cbranch_execnz .LBB1848_477
; %bb.441:                              ;   in Loop: Header=BB1848_394 Depth=2
	s_wait_alu 0xfffe
	s_or_b32 exec_lo, exec_lo, s16
	v_cmp_lt_u32_e64 s15, v29, v101
	s_and_saveexec_b32 s17, s15
	s_cbranch_execnz .LBB1848_478
.LBB1848_442:                           ;   in Loop: Header=BB1848_394 Depth=2
	s_wait_alu 0xfffe
	s_or_b32 exec_lo, exec_lo, s17
	v_cmp_lt_u32_e64 s16, v30, v101
	s_and_saveexec_b32 s18, s16
	s_cbranch_execnz .LBB1848_479
.LBB1848_443:                           ;   in Loop: Header=BB1848_394 Depth=2
	s_wait_alu 0xfffe
	s_or_b32 exec_lo, exec_lo, s18
	v_cmp_lt_u32_e64 s17, v31, v101
	s_and_saveexec_b32 s19, s17
	s_cbranch_execnz .LBB1848_480
.LBB1848_444:                           ;   in Loop: Header=BB1848_394 Depth=2
	s_wait_alu 0xfffe
	s_or_b32 exec_lo, exec_lo, s19
	v_cmp_lt_u32_e64 s18, v34, v101
	s_and_saveexec_b32 s20, s18
	s_cbranch_execnz .LBB1848_481
.LBB1848_445:                           ;   in Loop: Header=BB1848_394 Depth=2
	s_wait_alu 0xfffe
	s_or_b32 exec_lo, exec_lo, s20
	v_cmp_lt_u32_e64 s19, v35, v101
	s_and_saveexec_b32 s21, s19
	s_cbranch_execnz .LBB1848_482
.LBB1848_446:                           ;   in Loop: Header=BB1848_394 Depth=2
	s_wait_alu 0xfffe
	s_or_b32 exec_lo, exec_lo, s21
	v_cmp_lt_u32_e64 s20, v36, v101
	s_and_saveexec_b32 s22, s20
	s_cbranch_execnz .LBB1848_483
.LBB1848_447:                           ;   in Loop: Header=BB1848_394 Depth=2
	s_wait_alu 0xfffe
	s_or_b32 exec_lo, exec_lo, s22
	v_cmp_lt_u32_e64 s21, v37, v101
	s_and_saveexec_b32 s48, s21
	s_cbranch_execz .LBB1848_449
.LBB1848_448:                           ;   in Loop: Header=BB1848_394 Depth=2
	ds_load_u16 v103, v47 offset:4608
	s_wait_dscnt 0x0
	v_cmp_ne_u16_e64 s22, 0x7fff, v103
	s_wait_alu 0xf1ff
	s_delay_alu instid0(VALU_DEP_1) | instskip(SKIP_1) | instid1(VALU_DEP_2)
	v_cndmask_b32_e64 v2, 0xffff8000, v103, s22
	v_cmp_lt_i16_e64 s22, -1, v103
	v_and_b32_e32 v2, 0xffff, v2
	s_wait_alu 0xf1ff
	s_delay_alu instid0(VALU_DEP_2) | instskip(NEXT) | instid1(VALU_DEP_2)
	v_cndmask_b32_e64 v105, 0xffff8000, -1, s22
	v_lshrrev_b32_e32 v2, s45, v2
	s_delay_alu instid0(VALU_DEP_1) | instskip(NEXT) | instid1(VALU_DEP_1)
	v_and_b32_e32 v2, s42, v2
	v_lshlrev_b32_e32 v2, 2, v2
	ds_load_b32 v2, v2
	s_wait_dscnt 0x0
	v_add_nc_u32_e32 v2, v2, v37
	s_delay_alu instid0(VALU_DEP_1) | instskip(SKIP_1) | instid1(VALU_DEP_2)
	v_lshlrev_b64_e32 v[20:21], 1, v[2:3]
	v_xor_b32_e32 v2, v105, v103
	v_add_co_u32 v20, s22, s38, v20
	s_wait_alu 0xf1ff
	s_delay_alu instid0(VALU_DEP_3)
	v_add_co_ci_u32_e64 v21, null, s39, v21, s22
	global_store_b16 v[20:21], v2, off
.LBB1848_449:                           ;   in Loop: Header=BB1848_394 Depth=2
	s_wait_alu 0xfffe
	s_or_b32 exec_lo, exec_lo, s48
	s_lshl_b64 s[48:49], s[30:31], 3
	s_wait_alu 0xfffe
	v_add_co_u32 v20, s22, v88, s48
	s_wait_alu 0xf1ff
	v_add_co_ci_u32_e64 v21, null, s49, v89, s22
	v_cmp_lt_u32_e64 s22, v66, v101
	s_and_saveexec_b32 s30, s22
	s_wait_alu 0xfffe
	s_xor_b32 s22, exec_lo, s30
	s_cbranch_execnz .LBB1848_484
; %bb.450:                              ;   in Loop: Header=BB1848_394 Depth=2
	s_wait_alu 0xfffe
	s_or_b32 exec_lo, exec_lo, s22
	s_delay_alu instid0(SALU_CYCLE_1)
	s_mov_b32 s30, exec_lo
	v_cmpx_lt_u32_e64 v70, v101
	s_cbranch_execnz .LBB1848_485
.LBB1848_451:                           ;   in Loop: Header=BB1848_394 Depth=2
	s_wait_alu 0xfffe
	s_or_b32 exec_lo, exec_lo, s30
	s_delay_alu instid0(SALU_CYCLE_1)
	s_mov_b32 s30, exec_lo
	v_cmpx_lt_u32_e64 v71, v101
	s_cbranch_execnz .LBB1848_486
.LBB1848_452:                           ;   in Loop: Header=BB1848_394 Depth=2
	s_wait_alu 0xfffe
	s_or_b32 exec_lo, exec_lo, s30
	s_delay_alu instid0(SALU_CYCLE_1)
	s_mov_b32 s30, exec_lo
	v_cmpx_lt_u32_e64 v72, v101
	s_cbranch_execnz .LBB1848_487
.LBB1848_453:                           ;   in Loop: Header=BB1848_394 Depth=2
	s_wait_alu 0xfffe
	s_or_b32 exec_lo, exec_lo, s30
	s_delay_alu instid0(SALU_CYCLE_1)
	s_mov_b32 s30, exec_lo
	v_cmpx_lt_u32_e64 v73, v101
	s_cbranch_execnz .LBB1848_488
.LBB1848_454:                           ;   in Loop: Header=BB1848_394 Depth=2
	s_wait_alu 0xfffe
	s_or_b32 exec_lo, exec_lo, s30
	s_delay_alu instid0(SALU_CYCLE_1)
	s_mov_b32 s30, exec_lo
	v_cmpx_lt_u32_e64 v74, v101
	s_cbranch_execnz .LBB1848_489
.LBB1848_455:                           ;   in Loop: Header=BB1848_394 Depth=2
	s_wait_alu 0xfffe
	s_or_b32 exec_lo, exec_lo, s30
	s_delay_alu instid0(SALU_CYCLE_1)
	s_mov_b32 s30, exec_lo
	v_cmpx_lt_u32_e64 v75, v101
	s_cbranch_execnz .LBB1848_490
.LBB1848_456:                           ;   in Loop: Header=BB1848_394 Depth=2
	s_wait_alu 0xfffe
	s_or_b32 exec_lo, exec_lo, s30
	s_delay_alu instid0(SALU_CYCLE_1)
	s_mov_b32 s30, exec_lo
	v_cmpx_lt_u32_e64 v76, v101
	s_cbranch_execnz .LBB1848_491
.LBB1848_457:                           ;   in Loop: Header=BB1848_394 Depth=2
	s_wait_alu 0xfffe
	s_or_b32 exec_lo, exec_lo, s30
	s_and_saveexec_b32 s30, vcc_lo
	s_cbranch_execnz .LBB1848_492
.LBB1848_458:                           ;   in Loop: Header=BB1848_394 Depth=2
	s_wait_alu 0xfffe
	s_or_b32 exec_lo, exec_lo, s30
	s_and_saveexec_b32 s30, s15
	s_cbranch_execnz .LBB1848_493
.LBB1848_459:                           ;   in Loop: Header=BB1848_394 Depth=2
	s_wait_alu 0xfffe
	s_or_b32 exec_lo, exec_lo, s30
	s_and_saveexec_b32 s30, s16
	s_cbranch_execnz .LBB1848_494
.LBB1848_460:                           ;   in Loop: Header=BB1848_394 Depth=2
	s_wait_alu 0xfffe
	s_or_b32 exec_lo, exec_lo, s30
	s_and_saveexec_b32 s30, s17
	s_cbranch_execnz .LBB1848_495
.LBB1848_461:                           ;   in Loop: Header=BB1848_394 Depth=2
	s_wait_alu 0xfffe
	s_or_b32 exec_lo, exec_lo, s30
	s_and_saveexec_b32 s30, s18
	s_cbranch_execnz .LBB1848_496
.LBB1848_462:                           ;   in Loop: Header=BB1848_394 Depth=2
	s_wait_alu 0xfffe
	s_or_b32 exec_lo, exec_lo, s30
	s_and_saveexec_b32 s30, s19
	s_cbranch_execnz .LBB1848_497
.LBB1848_463:                           ;   in Loop: Header=BB1848_394 Depth=2
	s_wait_alu 0xfffe
	s_or_b32 exec_lo, exec_lo, s30
	s_and_saveexec_b32 s30, s20
	s_cbranch_execnz .LBB1848_498
.LBB1848_464:                           ;   in Loop: Header=BB1848_394 Depth=2
	s_wait_alu 0xfffe
	s_or_b32 exec_lo, exec_lo, s30
	s_and_saveexec_b32 s30, s21
	s_cbranch_execz .LBB1848_466
.LBB1848_465:                           ;   in Loop: Header=BB1848_394 Depth=2
	ds_load_u16 v2, v47 offset:4608
	s_wait_dscnt 0x0
	v_cmp_ne_u16_e64 s22, 0x7fff, v2
	s_wait_alu 0xf1ff
	s_delay_alu instid0(VALU_DEP_1) | instskip(NEXT) | instid1(VALU_DEP_1)
	v_cndmask_b32_e64 v2, 0xffff8000, v2, s22
	v_and_b32_e32 v2, 0xffff, v2
	s_delay_alu instid0(VALU_DEP_1) | instskip(NEXT) | instid1(VALU_DEP_1)
	v_lshrrev_b32_e32 v2, s45, v2
	v_and_b32_e32 v93, s42, v2
.LBB1848_466:                           ;   in Loop: Header=BB1848_394 Depth=2
	s_wait_alu 0xfffe
	s_or_b32 exec_lo, exec_lo, s30
	v_lshlrev_b32_e32 v2, 3, v108
	v_lshlrev_b32_e32 v20, 3, v104
	;; [unrolled: 1-line block ×3, first 2 shown]
	s_wait_loadcnt 0x0
	s_wait_storecnt 0x0
	s_barrier_signal -1
	s_barrier_wait -1
	global_inv scope:SCOPE_SE
	ds_store_b64 v2, v[18:19] offset:1024
	ds_store_b64 v20, v[16:17] offset:1024
	;; [unrolled: 1-line block ×3, first 2 shown]
	v_lshlrev_b32_e32 v2, 3, v25
	v_lshlrev_b32_e32 v20, 3, v24
	;; [unrolled: 1-line block ×5, first 2 shown]
	ds_store_b64 v2, v[12:13] offset:1024
	ds_store_b64 v20, v[10:11] offset:1024
	;; [unrolled: 1-line block ×5, first 2 shown]
	s_wait_loadcnt_dscnt 0x0
	s_barrier_signal -1
	s_barrier_wait -1
	global_inv scope:SCOPE_SE
	s_and_saveexec_b32 s22, vcc_lo
	s_cbranch_execnz .LBB1848_499
; %bb.467:                              ;   in Loop: Header=BB1848_394 Depth=2
	s_wait_alu 0xfffe
	s_or_b32 exec_lo, exec_lo, s22
	s_and_saveexec_b32 s22, s15
	s_cbranch_execnz .LBB1848_500
.LBB1848_468:                           ;   in Loop: Header=BB1848_394 Depth=2
	s_wait_alu 0xfffe
	s_or_b32 exec_lo, exec_lo, s22
	s_and_saveexec_b32 s15, s16
	s_cbranch_execnz .LBB1848_501
.LBB1848_469:                           ;   in Loop: Header=BB1848_394 Depth=2
	s_wait_alu 0xfffe
	s_or_b32 exec_lo, exec_lo, s15
	s_and_saveexec_b32 s15, s17
	s_cbranch_execnz .LBB1848_502
.LBB1848_470:                           ;   in Loop: Header=BB1848_394 Depth=2
	s_wait_alu 0xfffe
	s_or_b32 exec_lo, exec_lo, s15
	s_and_saveexec_b32 s15, s18
	s_cbranch_execnz .LBB1848_503
.LBB1848_471:                           ;   in Loop: Header=BB1848_394 Depth=2
	s_wait_alu 0xfffe
	s_or_b32 exec_lo, exec_lo, s15
	s_and_saveexec_b32 s15, s19
	s_cbranch_execnz .LBB1848_504
.LBB1848_472:                           ;   in Loop: Header=BB1848_394 Depth=2
	s_wait_alu 0xfffe
	s_or_b32 exec_lo, exec_lo, s15
	s_and_saveexec_b32 s15, s20
	s_cbranch_execnz .LBB1848_505
.LBB1848_473:                           ;   in Loop: Header=BB1848_394 Depth=2
	s_wait_alu 0xfffe
	s_or_b32 exec_lo, exec_lo, s15
	s_and_saveexec_b32 s15, s21
	s_cbranch_execz .LBB1848_475
.LBB1848_474:                           ;   in Loop: Header=BB1848_394 Depth=2
	v_lshlrev_b32_e32 v2, 2, v93
	v_add_nc_u32_e32 v20, v47, v48
	ds_load_b32 v2, v2
	ds_load_b64 v[20:21], v20 offset:15360
	s_wait_dscnt 0x1
	v_add_nc_u32_e32 v2, v2, v37
	s_delay_alu instid0(VALU_DEP_1) | instskip(NEXT) | instid1(VALU_DEP_1)
	v_lshlrev_b64_e32 v[23:24], 3, v[2:3]
	v_add_co_u32 v23, vcc_lo, s24, v23
	s_wait_alu 0xfffd
	s_delay_alu instid0(VALU_DEP_2)
	v_add_co_ci_u32_e64 v24, null, s25, v24, vcc_lo
	s_wait_dscnt 0x0
	global_store_b64 v[23:24], v[20:21], off
.LBB1848_475:                           ;   in Loop: Header=BB1848_394 Depth=2
	s_wait_alu 0xfffe
	s_or_b32 exec_lo, exec_lo, s15
	s_wait_loadcnt 0x0
	s_wait_storecnt 0x0
	s_barrier_signal -1
	s_barrier_wait -1
	global_inv scope:SCOPE_SE
	s_and_saveexec_b32 s15, s2
	s_cbranch_execz .LBB1848_393
; %bb.476:                              ;   in Loop: Header=BB1848_394 Depth=2
	ds_load_b32 v2, v28
	s_wait_dscnt 0x0
	v_add_nc_u32_e32 v2, v2, v22
	ds_store_b32 v28, v2
	s_branch .LBB1848_393
.LBB1848_477:                           ;   in Loop: Header=BB1848_394 Depth=2
	ds_load_u16 v103, v47 offset:1024
	s_wait_dscnt 0x0
	v_cmp_ne_u16_e64 s15, 0x7fff, v103
	s_wait_alu 0xf1ff
	s_delay_alu instid0(VALU_DEP_1) | instskip(SKIP_1) | instid1(VALU_DEP_2)
	v_cndmask_b32_e64 v2, 0xffff8000, v103, s15
	v_cmp_lt_i16_e64 s15, -1, v103
	v_and_b32_e32 v2, 0xffff, v2
	s_wait_alu 0xf1ff
	s_delay_alu instid0(VALU_DEP_2) | instskip(NEXT) | instid1(VALU_DEP_2)
	v_cndmask_b32_e64 v105, 0xffff8000, -1, s15
	v_lshrrev_b32_e32 v2, s45, v2
	s_delay_alu instid0(VALU_DEP_1) | instskip(NEXT) | instid1(VALU_DEP_1)
	v_and_b32_e32 v2, s42, v2
	v_lshlrev_b32_e32 v2, 2, v2
	ds_load_b32 v2, v2
	s_wait_dscnt 0x0
	v_add_nc_u32_e32 v2, v2, v1
	s_delay_alu instid0(VALU_DEP_1) | instskip(SKIP_1) | instid1(VALU_DEP_2)
	v_lshlrev_b64_e32 v[20:21], 1, v[2:3]
	v_xor_b32_e32 v2, v105, v103
	v_add_co_u32 v20, s15, s38, v20
	s_wait_alu 0xf1ff
	s_delay_alu instid0(VALU_DEP_3)
	v_add_co_ci_u32_e64 v21, null, s39, v21, s15
	global_store_b16 v[20:21], v2, off
	s_wait_alu 0xfffe
	s_or_b32 exec_lo, exec_lo, s16
	v_cmp_lt_u32_e64 s15, v29, v101
	s_and_saveexec_b32 s17, s15
	s_cbranch_execz .LBB1848_442
.LBB1848_478:                           ;   in Loop: Header=BB1848_394 Depth=2
	ds_load_u16 v103, v47 offset:1536
	s_wait_dscnt 0x0
	v_cmp_ne_u16_e64 s16, 0x7fff, v103
	s_wait_alu 0xf1ff
	s_delay_alu instid0(VALU_DEP_1) | instskip(SKIP_1) | instid1(VALU_DEP_2)
	v_cndmask_b32_e64 v2, 0xffff8000, v103, s16
	v_cmp_lt_i16_e64 s16, -1, v103
	v_and_b32_e32 v2, 0xffff, v2
	s_wait_alu 0xf1ff
	s_delay_alu instid0(VALU_DEP_2) | instskip(NEXT) | instid1(VALU_DEP_2)
	v_cndmask_b32_e64 v105, 0xffff8000, -1, s16
	v_lshrrev_b32_e32 v2, s45, v2
	s_delay_alu instid0(VALU_DEP_1) | instskip(NEXT) | instid1(VALU_DEP_1)
	v_and_b32_e32 v2, s42, v2
	v_lshlrev_b32_e32 v2, 2, v2
	ds_load_b32 v2, v2
	s_wait_dscnt 0x0
	v_add_nc_u32_e32 v2, v2, v29
	s_delay_alu instid0(VALU_DEP_1) | instskip(SKIP_1) | instid1(VALU_DEP_2)
	v_lshlrev_b64_e32 v[20:21], 1, v[2:3]
	v_xor_b32_e32 v2, v105, v103
	v_add_co_u32 v20, s16, s38, v20
	s_wait_alu 0xf1ff
	s_delay_alu instid0(VALU_DEP_3)
	v_add_co_ci_u32_e64 v21, null, s39, v21, s16
	global_store_b16 v[20:21], v2, off
	s_wait_alu 0xfffe
	s_or_b32 exec_lo, exec_lo, s17
	v_cmp_lt_u32_e64 s16, v30, v101
	s_and_saveexec_b32 s18, s16
	s_cbranch_execz .LBB1848_443
.LBB1848_479:                           ;   in Loop: Header=BB1848_394 Depth=2
	ds_load_u16 v103, v47 offset:2048
	s_wait_dscnt 0x0
	v_cmp_ne_u16_e64 s17, 0x7fff, v103
	s_wait_alu 0xf1ff
	s_delay_alu instid0(VALU_DEP_1) | instskip(SKIP_1) | instid1(VALU_DEP_2)
	v_cndmask_b32_e64 v2, 0xffff8000, v103, s17
	v_cmp_lt_i16_e64 s17, -1, v103
	v_and_b32_e32 v2, 0xffff, v2
	s_wait_alu 0xf1ff
	s_delay_alu instid0(VALU_DEP_2) | instskip(NEXT) | instid1(VALU_DEP_2)
	v_cndmask_b32_e64 v105, 0xffff8000, -1, s17
	v_lshrrev_b32_e32 v2, s45, v2
	s_delay_alu instid0(VALU_DEP_1) | instskip(NEXT) | instid1(VALU_DEP_1)
	v_and_b32_e32 v2, s42, v2
	v_lshlrev_b32_e32 v2, 2, v2
	ds_load_b32 v2, v2
	s_wait_dscnt 0x0
	v_add_nc_u32_e32 v2, v2, v30
	s_delay_alu instid0(VALU_DEP_1) | instskip(SKIP_1) | instid1(VALU_DEP_2)
	v_lshlrev_b64_e32 v[20:21], 1, v[2:3]
	v_xor_b32_e32 v2, v105, v103
	v_add_co_u32 v20, s17, s38, v20
	s_wait_alu 0xf1ff
	s_delay_alu instid0(VALU_DEP_3)
	v_add_co_ci_u32_e64 v21, null, s39, v21, s17
	global_store_b16 v[20:21], v2, off
	s_wait_alu 0xfffe
	s_or_b32 exec_lo, exec_lo, s18
	v_cmp_lt_u32_e64 s17, v31, v101
	s_and_saveexec_b32 s19, s17
	s_cbranch_execz .LBB1848_444
.LBB1848_480:                           ;   in Loop: Header=BB1848_394 Depth=2
	ds_load_u16 v103, v47 offset:2560
	s_wait_dscnt 0x0
	v_cmp_ne_u16_e64 s18, 0x7fff, v103
	s_wait_alu 0xf1ff
	s_delay_alu instid0(VALU_DEP_1) | instskip(SKIP_1) | instid1(VALU_DEP_2)
	v_cndmask_b32_e64 v2, 0xffff8000, v103, s18
	v_cmp_lt_i16_e64 s18, -1, v103
	v_and_b32_e32 v2, 0xffff, v2
	s_wait_alu 0xf1ff
	s_delay_alu instid0(VALU_DEP_2) | instskip(NEXT) | instid1(VALU_DEP_2)
	v_cndmask_b32_e64 v105, 0xffff8000, -1, s18
	v_lshrrev_b32_e32 v2, s45, v2
	s_delay_alu instid0(VALU_DEP_1) | instskip(NEXT) | instid1(VALU_DEP_1)
	v_and_b32_e32 v2, s42, v2
	v_lshlrev_b32_e32 v2, 2, v2
	ds_load_b32 v2, v2
	s_wait_dscnt 0x0
	v_add_nc_u32_e32 v2, v2, v31
	s_delay_alu instid0(VALU_DEP_1) | instskip(SKIP_1) | instid1(VALU_DEP_2)
	v_lshlrev_b64_e32 v[20:21], 1, v[2:3]
	v_xor_b32_e32 v2, v105, v103
	v_add_co_u32 v20, s18, s38, v20
	s_wait_alu 0xf1ff
	s_delay_alu instid0(VALU_DEP_3)
	v_add_co_ci_u32_e64 v21, null, s39, v21, s18
	global_store_b16 v[20:21], v2, off
	s_wait_alu 0xfffe
	s_or_b32 exec_lo, exec_lo, s19
	v_cmp_lt_u32_e64 s18, v34, v101
	s_and_saveexec_b32 s20, s18
	s_cbranch_execz .LBB1848_445
.LBB1848_481:                           ;   in Loop: Header=BB1848_394 Depth=2
	ds_load_u16 v103, v47 offset:3072
	s_wait_dscnt 0x0
	v_cmp_ne_u16_e64 s19, 0x7fff, v103
	s_wait_alu 0xf1ff
	s_delay_alu instid0(VALU_DEP_1) | instskip(SKIP_1) | instid1(VALU_DEP_2)
	v_cndmask_b32_e64 v2, 0xffff8000, v103, s19
	v_cmp_lt_i16_e64 s19, -1, v103
	v_and_b32_e32 v2, 0xffff, v2
	s_wait_alu 0xf1ff
	s_delay_alu instid0(VALU_DEP_2) | instskip(NEXT) | instid1(VALU_DEP_2)
	v_cndmask_b32_e64 v105, 0xffff8000, -1, s19
	v_lshrrev_b32_e32 v2, s45, v2
	s_delay_alu instid0(VALU_DEP_1) | instskip(NEXT) | instid1(VALU_DEP_1)
	v_and_b32_e32 v2, s42, v2
	v_lshlrev_b32_e32 v2, 2, v2
	ds_load_b32 v2, v2
	s_wait_dscnt 0x0
	v_add_nc_u32_e32 v2, v2, v34
	s_delay_alu instid0(VALU_DEP_1) | instskip(SKIP_1) | instid1(VALU_DEP_2)
	v_lshlrev_b64_e32 v[20:21], 1, v[2:3]
	v_xor_b32_e32 v2, v105, v103
	v_add_co_u32 v20, s19, s38, v20
	s_wait_alu 0xf1ff
	s_delay_alu instid0(VALU_DEP_3)
	v_add_co_ci_u32_e64 v21, null, s39, v21, s19
	global_store_b16 v[20:21], v2, off
	s_wait_alu 0xfffe
	s_or_b32 exec_lo, exec_lo, s20
	v_cmp_lt_u32_e64 s19, v35, v101
	s_and_saveexec_b32 s21, s19
	s_cbranch_execz .LBB1848_446
.LBB1848_482:                           ;   in Loop: Header=BB1848_394 Depth=2
	ds_load_u16 v103, v47 offset:3584
	s_wait_dscnt 0x0
	v_cmp_ne_u16_e64 s20, 0x7fff, v103
	s_wait_alu 0xf1ff
	s_delay_alu instid0(VALU_DEP_1) | instskip(SKIP_1) | instid1(VALU_DEP_2)
	v_cndmask_b32_e64 v2, 0xffff8000, v103, s20
	v_cmp_lt_i16_e64 s20, -1, v103
	v_and_b32_e32 v2, 0xffff, v2
	s_wait_alu 0xf1ff
	s_delay_alu instid0(VALU_DEP_2) | instskip(NEXT) | instid1(VALU_DEP_2)
	v_cndmask_b32_e64 v105, 0xffff8000, -1, s20
	v_lshrrev_b32_e32 v2, s45, v2
	s_delay_alu instid0(VALU_DEP_1) | instskip(NEXT) | instid1(VALU_DEP_1)
	v_and_b32_e32 v2, s42, v2
	v_lshlrev_b32_e32 v2, 2, v2
	ds_load_b32 v2, v2
	s_wait_dscnt 0x0
	v_add_nc_u32_e32 v2, v2, v35
	s_delay_alu instid0(VALU_DEP_1) | instskip(SKIP_1) | instid1(VALU_DEP_2)
	v_lshlrev_b64_e32 v[20:21], 1, v[2:3]
	v_xor_b32_e32 v2, v105, v103
	v_add_co_u32 v20, s20, s38, v20
	s_wait_alu 0xf1ff
	s_delay_alu instid0(VALU_DEP_3)
	v_add_co_ci_u32_e64 v21, null, s39, v21, s20
	global_store_b16 v[20:21], v2, off
	s_wait_alu 0xfffe
	s_or_b32 exec_lo, exec_lo, s21
	v_cmp_lt_u32_e64 s20, v36, v101
	s_and_saveexec_b32 s22, s20
	s_cbranch_execz .LBB1848_447
.LBB1848_483:                           ;   in Loop: Header=BB1848_394 Depth=2
	ds_load_u16 v103, v47 offset:4096
	s_wait_dscnt 0x0
	v_cmp_ne_u16_e64 s21, 0x7fff, v103
	s_wait_alu 0xf1ff
	s_delay_alu instid0(VALU_DEP_1) | instskip(SKIP_1) | instid1(VALU_DEP_2)
	v_cndmask_b32_e64 v2, 0xffff8000, v103, s21
	v_cmp_lt_i16_e64 s21, -1, v103
	v_and_b32_e32 v2, 0xffff, v2
	s_wait_alu 0xf1ff
	s_delay_alu instid0(VALU_DEP_2) | instskip(NEXT) | instid1(VALU_DEP_2)
	v_cndmask_b32_e64 v105, 0xffff8000, -1, s21
	v_lshrrev_b32_e32 v2, s45, v2
	s_delay_alu instid0(VALU_DEP_1) | instskip(NEXT) | instid1(VALU_DEP_1)
	v_and_b32_e32 v2, s42, v2
	v_lshlrev_b32_e32 v2, 2, v2
	ds_load_b32 v2, v2
	s_wait_dscnt 0x0
	v_add_nc_u32_e32 v2, v2, v36
	s_delay_alu instid0(VALU_DEP_1) | instskip(SKIP_1) | instid1(VALU_DEP_2)
	v_lshlrev_b64_e32 v[20:21], 1, v[2:3]
	v_xor_b32_e32 v2, v105, v103
	v_add_co_u32 v20, s21, s38, v20
	s_wait_alu 0xf1ff
	s_delay_alu instid0(VALU_DEP_3)
	v_add_co_ci_u32_e64 v21, null, s39, v21, s21
	global_store_b16 v[20:21], v2, off
	s_wait_alu 0xfffe
	s_or_b32 exec_lo, exec_lo, s22
	v_cmp_lt_u32_e64 s21, v37, v101
	s_and_saveexec_b32 s48, s21
	s_cbranch_execnz .LBB1848_448
	s_branch .LBB1848_449
.LBB1848_484:                           ;   in Loop: Header=BB1848_394 Depth=2
	global_load_b64 v[18:19], v[20:21], off
	s_wait_alu 0xfffe
	s_or_b32 exec_lo, exec_lo, s22
	s_delay_alu instid0(SALU_CYCLE_1)
	s_mov_b32 s30, exec_lo
	v_cmpx_lt_u32_e64 v70, v101
	s_cbranch_execz .LBB1848_451
.LBB1848_485:                           ;   in Loop: Header=BB1848_394 Depth=2
	global_load_b64 v[16:17], v[20:21], off offset:256
	s_wait_alu 0xfffe
	s_or_b32 exec_lo, exec_lo, s30
	s_delay_alu instid0(SALU_CYCLE_1)
	s_mov_b32 s30, exec_lo
	v_cmpx_lt_u32_e64 v71, v101
	s_cbranch_execz .LBB1848_452
.LBB1848_486:                           ;   in Loop: Header=BB1848_394 Depth=2
	global_load_b64 v[14:15], v[20:21], off offset:512
	s_wait_alu 0xfffe
	s_or_b32 exec_lo, exec_lo, s30
	s_delay_alu instid0(SALU_CYCLE_1)
	s_mov_b32 s30, exec_lo
	v_cmpx_lt_u32_e64 v72, v101
	s_cbranch_execz .LBB1848_453
.LBB1848_487:                           ;   in Loop: Header=BB1848_394 Depth=2
	global_load_b64 v[12:13], v[20:21], off offset:768
	s_wait_alu 0xfffe
	s_or_b32 exec_lo, exec_lo, s30
	s_delay_alu instid0(SALU_CYCLE_1)
	s_mov_b32 s30, exec_lo
	v_cmpx_lt_u32_e64 v73, v101
	s_cbranch_execz .LBB1848_454
.LBB1848_488:                           ;   in Loop: Header=BB1848_394 Depth=2
	global_load_b64 v[10:11], v[20:21], off offset:1024
	s_wait_alu 0xfffe
	s_or_b32 exec_lo, exec_lo, s30
	s_delay_alu instid0(SALU_CYCLE_1)
	s_mov_b32 s30, exec_lo
	v_cmpx_lt_u32_e64 v74, v101
	s_cbranch_execz .LBB1848_455
.LBB1848_489:                           ;   in Loop: Header=BB1848_394 Depth=2
	global_load_b64 v[8:9], v[20:21], off offset:1280
	s_wait_alu 0xfffe
	s_or_b32 exec_lo, exec_lo, s30
	s_delay_alu instid0(SALU_CYCLE_1)
	s_mov_b32 s30, exec_lo
	v_cmpx_lt_u32_e64 v75, v101
	s_cbranch_execz .LBB1848_456
.LBB1848_490:                           ;   in Loop: Header=BB1848_394 Depth=2
	global_load_b64 v[6:7], v[20:21], off offset:1536
	s_wait_alu 0xfffe
	s_or_b32 exec_lo, exec_lo, s30
	s_delay_alu instid0(SALU_CYCLE_1)
	s_mov_b32 s30, exec_lo
	v_cmpx_lt_u32_e64 v76, v101
	s_cbranch_execz .LBB1848_457
.LBB1848_491:                           ;   in Loop: Header=BB1848_394 Depth=2
	global_load_b64 v[4:5], v[20:21], off offset:1792
	s_wait_alu 0xfffe
	s_or_b32 exec_lo, exec_lo, s30
	s_and_saveexec_b32 s30, vcc_lo
	s_cbranch_execz .LBB1848_458
.LBB1848_492:                           ;   in Loop: Header=BB1848_394 Depth=2
	ds_load_u16 v2, v47 offset:1024
	s_wait_dscnt 0x0
	v_cmp_ne_u16_e64 s22, 0x7fff, v2
	s_wait_alu 0xf1ff
	s_delay_alu instid0(VALU_DEP_1) | instskip(NEXT) | instid1(VALU_DEP_1)
	v_cndmask_b32_e64 v2, 0xffff8000, v2, s22
	v_and_b32_e32 v2, 0xffff, v2
	s_delay_alu instid0(VALU_DEP_1) | instskip(NEXT) | instid1(VALU_DEP_1)
	v_lshrrev_b32_e32 v2, s45, v2
	v_and_b32_e32 v100, s42, v2
	s_wait_alu 0xfffe
	s_or_b32 exec_lo, exec_lo, s30
	s_and_saveexec_b32 s30, s15
	s_cbranch_execz .LBB1848_459
.LBB1848_493:                           ;   in Loop: Header=BB1848_394 Depth=2
	ds_load_u16 v2, v47 offset:1536
	s_wait_dscnt 0x0
	v_cmp_ne_u16_e64 s22, 0x7fff, v2
	s_wait_alu 0xf1ff
	s_delay_alu instid0(VALU_DEP_1) | instskip(NEXT) | instid1(VALU_DEP_1)
	v_cndmask_b32_e64 v2, 0xffff8000, v2, s22
	v_and_b32_e32 v2, 0xffff, v2
	s_delay_alu instid0(VALU_DEP_1) | instskip(NEXT) | instid1(VALU_DEP_1)
	v_lshrrev_b32_e32 v2, s45, v2
	v_and_b32_e32 v99, s42, v2
	s_wait_alu 0xfffe
	s_or_b32 exec_lo, exec_lo, s30
	s_and_saveexec_b32 s30, s16
	s_cbranch_execz .LBB1848_460
.LBB1848_494:                           ;   in Loop: Header=BB1848_394 Depth=2
	ds_load_u16 v2, v47 offset:2048
	s_wait_dscnt 0x0
	v_cmp_ne_u16_e64 s22, 0x7fff, v2
	s_wait_alu 0xf1ff
	s_delay_alu instid0(VALU_DEP_1) | instskip(NEXT) | instid1(VALU_DEP_1)
	v_cndmask_b32_e64 v2, 0xffff8000, v2, s22
	v_and_b32_e32 v2, 0xffff, v2
	s_delay_alu instid0(VALU_DEP_1) | instskip(NEXT) | instid1(VALU_DEP_1)
	v_lshrrev_b32_e32 v2, s45, v2
	v_and_b32_e32 v98, s42, v2
	s_wait_alu 0xfffe
	s_or_b32 exec_lo, exec_lo, s30
	s_and_saveexec_b32 s30, s17
	s_cbranch_execz .LBB1848_461
.LBB1848_495:                           ;   in Loop: Header=BB1848_394 Depth=2
	ds_load_u16 v2, v47 offset:2560
	s_wait_dscnt 0x0
	v_cmp_ne_u16_e64 s22, 0x7fff, v2
	s_wait_alu 0xf1ff
	s_delay_alu instid0(VALU_DEP_1) | instskip(NEXT) | instid1(VALU_DEP_1)
	v_cndmask_b32_e64 v2, 0xffff8000, v2, s22
	v_and_b32_e32 v2, 0xffff, v2
	s_delay_alu instid0(VALU_DEP_1) | instskip(NEXT) | instid1(VALU_DEP_1)
	v_lshrrev_b32_e32 v2, s45, v2
	v_and_b32_e32 v97, s42, v2
	s_wait_alu 0xfffe
	s_or_b32 exec_lo, exec_lo, s30
	s_and_saveexec_b32 s30, s18
	s_cbranch_execz .LBB1848_462
.LBB1848_496:                           ;   in Loop: Header=BB1848_394 Depth=2
	ds_load_u16 v2, v47 offset:3072
	s_wait_dscnt 0x0
	v_cmp_ne_u16_e64 s22, 0x7fff, v2
	s_wait_alu 0xf1ff
	s_delay_alu instid0(VALU_DEP_1) | instskip(NEXT) | instid1(VALU_DEP_1)
	v_cndmask_b32_e64 v2, 0xffff8000, v2, s22
	v_and_b32_e32 v2, 0xffff, v2
	s_delay_alu instid0(VALU_DEP_1) | instskip(NEXT) | instid1(VALU_DEP_1)
	v_lshrrev_b32_e32 v2, s45, v2
	v_and_b32_e32 v96, s42, v2
	s_wait_alu 0xfffe
	s_or_b32 exec_lo, exec_lo, s30
	s_and_saveexec_b32 s30, s19
	s_cbranch_execz .LBB1848_463
.LBB1848_497:                           ;   in Loop: Header=BB1848_394 Depth=2
	ds_load_u16 v2, v47 offset:3584
	s_wait_dscnt 0x0
	v_cmp_ne_u16_e64 s22, 0x7fff, v2
	s_wait_alu 0xf1ff
	s_delay_alu instid0(VALU_DEP_1) | instskip(NEXT) | instid1(VALU_DEP_1)
	v_cndmask_b32_e64 v2, 0xffff8000, v2, s22
	v_and_b32_e32 v2, 0xffff, v2
	s_delay_alu instid0(VALU_DEP_1) | instskip(NEXT) | instid1(VALU_DEP_1)
	v_lshrrev_b32_e32 v2, s45, v2
	v_and_b32_e32 v95, s42, v2
	s_wait_alu 0xfffe
	s_or_b32 exec_lo, exec_lo, s30
	s_and_saveexec_b32 s30, s20
	s_cbranch_execz .LBB1848_464
.LBB1848_498:                           ;   in Loop: Header=BB1848_394 Depth=2
	ds_load_u16 v2, v47 offset:4096
	s_wait_dscnt 0x0
	v_cmp_ne_u16_e64 s22, 0x7fff, v2
	s_wait_alu 0xf1ff
	s_delay_alu instid0(VALU_DEP_1) | instskip(NEXT) | instid1(VALU_DEP_1)
	v_cndmask_b32_e64 v2, 0xffff8000, v2, s22
	v_and_b32_e32 v2, 0xffff, v2
	s_delay_alu instid0(VALU_DEP_1) | instskip(NEXT) | instid1(VALU_DEP_1)
	v_lshrrev_b32_e32 v2, s45, v2
	v_and_b32_e32 v94, s42, v2
	s_wait_alu 0xfffe
	s_or_b32 exec_lo, exec_lo, s30
	s_and_saveexec_b32 s30, s21
	s_cbranch_execnz .LBB1848_465
	s_branch .LBB1848_466
.LBB1848_499:                           ;   in Loop: Header=BB1848_394 Depth=2
	v_lshlrev_b32_e32 v2, 2, v100
	v_add_nc_u32_e32 v20, v47, v48
	ds_load_b32 v2, v2
	ds_load_b64 v[20:21], v20 offset:1024
	s_wait_dscnt 0x1
	v_add_nc_u32_e32 v2, v2, v1
	s_delay_alu instid0(VALU_DEP_1) | instskip(NEXT) | instid1(VALU_DEP_1)
	v_lshlrev_b64_e32 v[23:24], 3, v[2:3]
	v_add_co_u32 v23, vcc_lo, s24, v23
	s_wait_alu 0xfffd
	s_delay_alu instid0(VALU_DEP_2)
	v_add_co_ci_u32_e64 v24, null, s25, v24, vcc_lo
	s_wait_dscnt 0x0
	global_store_b64 v[23:24], v[20:21], off
	s_wait_alu 0xfffe
	s_or_b32 exec_lo, exec_lo, s22
	s_and_saveexec_b32 s22, s15
	s_cbranch_execz .LBB1848_468
.LBB1848_500:                           ;   in Loop: Header=BB1848_394 Depth=2
	v_lshlrev_b32_e32 v2, 2, v99
	v_add_nc_u32_e32 v20, v47, v48
	ds_load_b32 v2, v2
	ds_load_b64 v[20:21], v20 offset:3072
	s_wait_dscnt 0x1
	v_add_nc_u32_e32 v2, v2, v29
	s_delay_alu instid0(VALU_DEP_1) | instskip(NEXT) | instid1(VALU_DEP_1)
	v_lshlrev_b64_e32 v[23:24], 3, v[2:3]
	v_add_co_u32 v23, vcc_lo, s24, v23
	s_wait_alu 0xfffd
	s_delay_alu instid0(VALU_DEP_2)
	v_add_co_ci_u32_e64 v24, null, s25, v24, vcc_lo
	s_wait_dscnt 0x0
	global_store_b64 v[23:24], v[20:21], off
	s_wait_alu 0xfffe
	s_or_b32 exec_lo, exec_lo, s22
	s_and_saveexec_b32 s15, s16
	s_cbranch_execz .LBB1848_469
.LBB1848_501:                           ;   in Loop: Header=BB1848_394 Depth=2
	v_lshlrev_b32_e32 v2, 2, v98
	v_add_nc_u32_e32 v20, v47, v48
	ds_load_b32 v2, v2
	ds_load_b64 v[20:21], v20 offset:5120
	s_wait_dscnt 0x1
	v_add_nc_u32_e32 v2, v2, v30
	s_delay_alu instid0(VALU_DEP_1) | instskip(NEXT) | instid1(VALU_DEP_1)
	v_lshlrev_b64_e32 v[23:24], 3, v[2:3]
	v_add_co_u32 v23, vcc_lo, s24, v23
	s_wait_alu 0xfffd
	s_delay_alu instid0(VALU_DEP_2)
	v_add_co_ci_u32_e64 v24, null, s25, v24, vcc_lo
	s_wait_dscnt 0x0
	global_store_b64 v[23:24], v[20:21], off
	s_wait_alu 0xfffe
	s_or_b32 exec_lo, exec_lo, s15
	s_and_saveexec_b32 s15, s17
	s_cbranch_execz .LBB1848_470
.LBB1848_502:                           ;   in Loop: Header=BB1848_394 Depth=2
	v_lshlrev_b32_e32 v2, 2, v97
	v_add_nc_u32_e32 v20, v47, v48
	ds_load_b32 v2, v2
	ds_load_b64 v[20:21], v20 offset:7168
	s_wait_dscnt 0x1
	v_add_nc_u32_e32 v2, v2, v31
	s_delay_alu instid0(VALU_DEP_1) | instskip(NEXT) | instid1(VALU_DEP_1)
	v_lshlrev_b64_e32 v[23:24], 3, v[2:3]
	v_add_co_u32 v23, vcc_lo, s24, v23
	s_wait_alu 0xfffd
	s_delay_alu instid0(VALU_DEP_2)
	v_add_co_ci_u32_e64 v24, null, s25, v24, vcc_lo
	s_wait_dscnt 0x0
	global_store_b64 v[23:24], v[20:21], off
	s_wait_alu 0xfffe
	s_or_b32 exec_lo, exec_lo, s15
	s_and_saveexec_b32 s15, s18
	s_cbranch_execz .LBB1848_471
.LBB1848_503:                           ;   in Loop: Header=BB1848_394 Depth=2
	v_lshlrev_b32_e32 v2, 2, v96
	v_add_nc_u32_e32 v20, v47, v48
	ds_load_b32 v2, v2
	ds_load_b64 v[20:21], v20 offset:9216
	s_wait_dscnt 0x1
	v_add_nc_u32_e32 v2, v2, v34
	s_delay_alu instid0(VALU_DEP_1) | instskip(NEXT) | instid1(VALU_DEP_1)
	v_lshlrev_b64_e32 v[23:24], 3, v[2:3]
	v_add_co_u32 v23, vcc_lo, s24, v23
	s_wait_alu 0xfffd
	s_delay_alu instid0(VALU_DEP_2)
	v_add_co_ci_u32_e64 v24, null, s25, v24, vcc_lo
	s_wait_dscnt 0x0
	global_store_b64 v[23:24], v[20:21], off
	s_wait_alu 0xfffe
	s_or_b32 exec_lo, exec_lo, s15
	s_and_saveexec_b32 s15, s19
	s_cbranch_execz .LBB1848_472
.LBB1848_504:                           ;   in Loop: Header=BB1848_394 Depth=2
	v_lshlrev_b32_e32 v2, 2, v95
	v_add_nc_u32_e32 v20, v47, v48
	ds_load_b32 v2, v2
	ds_load_b64 v[20:21], v20 offset:11264
	s_wait_dscnt 0x1
	v_add_nc_u32_e32 v2, v2, v35
	s_delay_alu instid0(VALU_DEP_1) | instskip(NEXT) | instid1(VALU_DEP_1)
	v_lshlrev_b64_e32 v[23:24], 3, v[2:3]
	v_add_co_u32 v23, vcc_lo, s24, v23
	s_wait_alu 0xfffd
	s_delay_alu instid0(VALU_DEP_2)
	v_add_co_ci_u32_e64 v24, null, s25, v24, vcc_lo
	s_wait_dscnt 0x0
	global_store_b64 v[23:24], v[20:21], off
	s_wait_alu 0xfffe
	s_or_b32 exec_lo, exec_lo, s15
	s_and_saveexec_b32 s15, s20
	s_cbranch_execz .LBB1848_473
.LBB1848_505:                           ;   in Loop: Header=BB1848_394 Depth=2
	v_lshlrev_b32_e32 v2, 2, v94
	v_add_nc_u32_e32 v20, v47, v48
	ds_load_b32 v2, v2
	ds_load_b64 v[20:21], v20 offset:13312
	s_wait_dscnt 0x1
	v_add_nc_u32_e32 v2, v2, v36
	s_delay_alu instid0(VALU_DEP_1) | instskip(NEXT) | instid1(VALU_DEP_1)
	v_lshlrev_b64_e32 v[23:24], 3, v[2:3]
	v_add_co_u32 v23, vcc_lo, s24, v23
	s_wait_alu 0xfffd
	s_delay_alu instid0(VALU_DEP_2)
	v_add_co_ci_u32_e64 v24, null, s25, v24, vcc_lo
	s_wait_dscnt 0x0
	global_store_b64 v[23:24], v[20:21], off
	s_wait_alu 0xfffe
	s_or_b32 exec_lo, exec_lo, s15
	s_and_saveexec_b32 s15, s21
	s_cbranch_execnz .LBB1848_474
	s_branch .LBB1848_475
.LBB1848_506:                           ;   in Loop: Header=BB1848_12 Depth=1
	s_wait_loadcnt_dscnt 0x0
	s_barrier_signal -1
	s_mov_b32 s0, 0
	s_barrier_wait -1
.LBB1848_507:                           ;   in Loop: Header=BB1848_12 Depth=1
	s_wait_alu 0xfffe
	s_and_b32 vcc_lo, exec_lo, s0
	s_wait_alu 0xfffe
	s_cbranch_vccz .LBB1848_11
; %bb.508:                              ;   in Loop: Header=BB1848_12 Depth=1
	s_mov_b32 s9, s47
	s_mov_b32 s30, s33
	s_barrier_signal -1
	s_barrier_wait -1
	global_inv scope:SCOPE_SE
                                        ; implicit-def: $vgpr2
                                        ; implicit-def: $vgpr4
                                        ; implicit-def: $vgpr5
                                        ; implicit-def: $vgpr6
                                        ; implicit-def: $vgpr7
                                        ; implicit-def: $vgpr8
                                        ; implicit-def: $vgpr9
                                        ; implicit-def: $vgpr10
	s_branch .LBB1848_510
.LBB1848_509:                           ;   in Loop: Header=BB1848_510 Depth=2
	s_wait_alu 0xfffe
	s_or_b32 exec_lo, exec_lo, s0
	s_addk_co_i32 s9, 0xf800
	s_cmp_ge_u32 s10, s34
	s_mov_b32 s30, s10
	s_cbranch_scc1 .LBB1848_546
.LBB1848_510:                           ;   Parent Loop BB1848_12 Depth=1
                                        ; =>  This Inner Loop Header: Depth=2
	s_wait_alu 0xfffe
	s_add_co_i32 s10, s30, 0x800
	s_mov_b32 s0, -1
	s_wait_alu 0xfffe
	s_cmp_gt_u32 s10, s34
                                        ; implicit-def: $vgpr11
                                        ; implicit-def: $vgpr12
                                        ; implicit-def: $vgpr13
                                        ; implicit-def: $vgpr14
                                        ; implicit-def: $vgpr15
                                        ; implicit-def: $vgpr16
                                        ; implicit-def: $vgpr17
                                        ; implicit-def: $vgpr18
	s_cbranch_scc1 .LBB1848_512
; %bb.511:                              ;   in Loop: Header=BB1848_510 Depth=2
	s_lshl_b64 s[0:1], s[30:31], 1
	s_wait_alu 0xfffe
	v_add_co_u32 v18, vcc_lo, v55, s0
	s_wait_alu 0xfffd
	v_add_co_ci_u32_e64 v19, null, s1, v56, vcc_lo
	s_mov_b32 s0, 0
	s_clause 0x7
	global_load_u16 v11, v[18:19], off
	global_load_u16 v12, v[18:19], off offset:512
	global_load_u16 v13, v[18:19], off offset:1024
	;; [unrolled: 1-line block ×7, first 2 shown]
.LBB1848_512:                           ;   in Loop: Header=BB1848_510 Depth=2
	s_wait_alu 0xfffe
	s_and_not1_b32 vcc_lo, exec_lo, s0
	s_movk_i32 s0, 0x800
	s_wait_alu 0xfffe
	s_cbranch_vccnz .LBB1848_523
; %bb.513:                              ;   in Loop: Header=BB1848_510 Depth=2
	s_lshl_b64 s[0:1], s[30:31], 1
	s_mov_b32 s11, exec_lo
	s_wait_alu 0xfffe
	s_add_nc_u64 s[0:1], s[36:37], s[0:1]
	v_cmpx_gt_u32_e64 s9, v1
	s_cbranch_execnz .LBB1848_539
; %bb.514:                              ;   in Loop: Header=BB1848_510 Depth=2
	s_or_b32 exec_lo, exec_lo, s11
	s_delay_alu instid0(SALU_CYCLE_1)
	s_mov_b32 s11, exec_lo
	v_cmpx_gt_u32_e64 s9, v29
	s_cbranch_execnz .LBB1848_540
.LBB1848_515:                           ;   in Loop: Header=BB1848_510 Depth=2
	s_wait_alu 0xfffe
	s_or_b32 exec_lo, exec_lo, s11
	s_delay_alu instid0(SALU_CYCLE_1)
	s_mov_b32 s11, exec_lo
	v_cmpx_gt_u32_e64 s9, v30
	s_cbranch_execnz .LBB1848_541
.LBB1848_516:                           ;   in Loop: Header=BB1848_510 Depth=2
	s_wait_alu 0xfffe
	s_or_b32 exec_lo, exec_lo, s11
	s_delay_alu instid0(SALU_CYCLE_1)
	s_mov_b32 s11, exec_lo
	v_cmpx_gt_u32_e64 s9, v31
	s_cbranch_execnz .LBB1848_542
.LBB1848_517:                           ;   in Loop: Header=BB1848_510 Depth=2
	s_wait_alu 0xfffe
	s_or_b32 exec_lo, exec_lo, s11
	s_delay_alu instid0(SALU_CYCLE_1)
	s_mov_b32 s11, exec_lo
	v_cmpx_gt_u32_e64 s9, v34
	s_cbranch_execnz .LBB1848_543
.LBB1848_518:                           ;   in Loop: Header=BB1848_510 Depth=2
	s_wait_alu 0xfffe
	s_or_b32 exec_lo, exec_lo, s11
	s_delay_alu instid0(SALU_CYCLE_1)
	s_mov_b32 s11, exec_lo
	v_cmpx_gt_u32_e64 s9, v35
	s_cbranch_execnz .LBB1848_544
.LBB1848_519:                           ;   in Loop: Header=BB1848_510 Depth=2
	s_wait_alu 0xfffe
	s_or_b32 exec_lo, exec_lo, s11
	s_delay_alu instid0(SALU_CYCLE_1)
	s_mov_b32 s11, exec_lo
	v_cmpx_gt_u32_e64 s9, v36
	s_cbranch_execnz .LBB1848_545
.LBB1848_520:                           ;   in Loop: Header=BB1848_510 Depth=2
	s_wait_alu 0xfffe
	s_or_b32 exec_lo, exec_lo, s11
	s_delay_alu instid0(SALU_CYCLE_1)
	s_mov_b32 s11, exec_lo
	v_cmpx_gt_u32_e64 s9, v37
	s_cbranch_execz .LBB1848_522
.LBB1848_521:                           ;   in Loop: Header=BB1848_510 Depth=2
	global_load_u16 v2, v82, s[0:1] offset:3584
.LBB1848_522:                           ;   in Loop: Header=BB1848_510 Depth=2
	s_wait_alu 0xfffe
	s_or_b32 exec_lo, exec_lo, s11
	s_wait_loadcnt 0x0
	v_dual_mov_b32 v11, v10 :: v_dual_mov_b32 v12, v9
	v_dual_mov_b32 v13, v8 :: v_dual_mov_b32 v14, v7
	;; [unrolled: 1-line block ×4, first 2 shown]
	s_mov_b32 s0, s9
.LBB1848_523:                           ;   in Loop: Header=BB1848_510 Depth=2
	s_wait_loadcnt 0x0
	s_delay_alu instid0(VALU_DEP_1) | instskip(NEXT) | instid1(VALU_DEP_2)
	v_dual_mov_b32 v2, v18 :: v_dual_mov_b32 v5, v16
	v_dual_mov_b32 v4, v17 :: v_dual_mov_b32 v7, v14
	;; [unrolled: 1-line block ×3, first 2 shown]
	v_mov_b32_e32 v8, v13
	v_mov_b32_e32 v10, v11
	s_mov_b32 s1, exec_lo
	s_wait_alu 0xfffe
	v_cmpx_gt_u32_e64 s0, v1
	s_cbranch_execnz .LBB1848_531
; %bb.524:                              ;   in Loop: Header=BB1848_510 Depth=2
	s_or_b32 exec_lo, exec_lo, s1
	s_delay_alu instid0(SALU_CYCLE_1)
	s_mov_b32 s1, exec_lo
	v_cmpx_gt_u32_e64 s0, v29
	s_cbranch_execnz .LBB1848_532
.LBB1848_525:                           ;   in Loop: Header=BB1848_510 Depth=2
	s_wait_alu 0xfffe
	s_or_b32 exec_lo, exec_lo, s1
	s_delay_alu instid0(SALU_CYCLE_1)
	s_mov_b32 s1, exec_lo
	v_cmpx_gt_u32_e64 s0, v30
	s_cbranch_execnz .LBB1848_533
.LBB1848_526:                           ;   in Loop: Header=BB1848_510 Depth=2
	s_wait_alu 0xfffe
	s_or_b32 exec_lo, exec_lo, s1
	s_delay_alu instid0(SALU_CYCLE_1)
	s_mov_b32 s1, exec_lo
	v_cmpx_gt_u32_e64 s0, v31
	s_cbranch_execnz .LBB1848_534
.LBB1848_527:                           ;   in Loop: Header=BB1848_510 Depth=2
	s_wait_alu 0xfffe
	s_or_b32 exec_lo, exec_lo, s1
	s_delay_alu instid0(SALU_CYCLE_1)
	s_mov_b32 s1, exec_lo
	v_cmpx_gt_u32_e64 s0, v34
	s_cbranch_execnz .LBB1848_535
.LBB1848_528:                           ;   in Loop: Header=BB1848_510 Depth=2
	s_wait_alu 0xfffe
	s_or_b32 exec_lo, exec_lo, s1
	s_delay_alu instid0(SALU_CYCLE_1)
	s_mov_b32 s1, exec_lo
	v_cmpx_gt_u32_e64 s0, v35
	s_cbranch_execnz .LBB1848_536
.LBB1848_529:                           ;   in Loop: Header=BB1848_510 Depth=2
	s_wait_alu 0xfffe
	s_or_b32 exec_lo, exec_lo, s1
	s_delay_alu instid0(SALU_CYCLE_1)
	s_mov_b32 s1, exec_lo
	v_cmpx_gt_u32_e64 s0, v36
	s_cbranch_execnz .LBB1848_537
.LBB1848_530:                           ;   in Loop: Header=BB1848_510 Depth=2
	s_wait_alu 0xfffe
	s_or_b32 exec_lo, exec_lo, s1
	v_cmp_gt_u32_e32 vcc_lo, s0, v37
	s_and_saveexec_b32 s0, vcc_lo
	s_cbranch_execz .LBB1848_509
	s_branch .LBB1848_538
.LBB1848_531:                           ;   in Loop: Header=BB1848_510 Depth=2
	v_cmp_lt_i16_e32 vcc_lo, -1, v10
	s_wait_alu 0xfffd
	v_cndmask_b32_e64 v11, -1, 0xffff8000, vcc_lo
	s_delay_alu instid0(VALU_DEP_1) | instskip(NEXT) | instid1(VALU_DEP_1)
	v_xor_b32_e32 v11, v11, v10
	v_cmp_ne_u16_e32 vcc_lo, 0x7fff, v11
	s_wait_alu 0xfffd
	v_cndmask_b32_e32 v11, 0xffff8000, v11, vcc_lo
	s_delay_alu instid0(VALU_DEP_1) | instskip(NEXT) | instid1(VALU_DEP_1)
	v_and_b32_e32 v11, 0xffff, v11
	v_lshrrev_b32_e32 v11, s45, v11
	s_delay_alu instid0(VALU_DEP_1) | instskip(NEXT) | instid1(VALU_DEP_1)
	v_and_b32_e32 v11, s42, v11
	v_lshl_or_b32 v11, v11, 4, v39
	ds_add_u32 v11, v62
	s_or_b32 exec_lo, exec_lo, s1
	s_delay_alu instid0(SALU_CYCLE_1)
	s_mov_b32 s1, exec_lo
	v_cmpx_gt_u32_e64 s0, v29
	s_cbranch_execz .LBB1848_525
.LBB1848_532:                           ;   in Loop: Header=BB1848_510 Depth=2
	v_cmp_lt_i16_e32 vcc_lo, -1, v9
	s_wait_alu 0xfffd
	v_cndmask_b32_e64 v11, -1, 0xffff8000, vcc_lo
	s_delay_alu instid0(VALU_DEP_1) | instskip(NEXT) | instid1(VALU_DEP_1)
	v_xor_b32_e32 v11, v11, v9
	v_cmp_ne_u16_e32 vcc_lo, 0x7fff, v11
	s_wait_alu 0xfffd
	v_cndmask_b32_e32 v11, 0xffff8000, v11, vcc_lo
	s_delay_alu instid0(VALU_DEP_1) | instskip(NEXT) | instid1(VALU_DEP_1)
	v_and_b32_e32 v11, 0xffff, v11
	v_lshrrev_b32_e32 v11, s45, v11
	s_delay_alu instid0(VALU_DEP_1) | instskip(NEXT) | instid1(VALU_DEP_1)
	v_and_b32_e32 v11, s42, v11
	v_lshl_or_b32 v11, v11, 4, v39
	ds_add_u32 v11, v62
	s_wait_alu 0xfffe
	s_or_b32 exec_lo, exec_lo, s1
	s_delay_alu instid0(SALU_CYCLE_1)
	s_mov_b32 s1, exec_lo
	v_cmpx_gt_u32_e64 s0, v30
	s_cbranch_execz .LBB1848_526
.LBB1848_533:                           ;   in Loop: Header=BB1848_510 Depth=2
	v_cmp_lt_i16_e32 vcc_lo, -1, v8
	s_wait_alu 0xfffd
	v_cndmask_b32_e64 v11, -1, 0xffff8000, vcc_lo
	s_delay_alu instid0(VALU_DEP_1) | instskip(NEXT) | instid1(VALU_DEP_1)
	v_xor_b32_e32 v11, v11, v8
	v_cmp_ne_u16_e32 vcc_lo, 0x7fff, v11
	s_wait_alu 0xfffd
	v_cndmask_b32_e32 v11, 0xffff8000, v11, vcc_lo
	s_delay_alu instid0(VALU_DEP_1) | instskip(NEXT) | instid1(VALU_DEP_1)
	v_and_b32_e32 v11, 0xffff, v11
	v_lshrrev_b32_e32 v11, s45, v11
	s_delay_alu instid0(VALU_DEP_1) | instskip(NEXT) | instid1(VALU_DEP_1)
	v_and_b32_e32 v11, s42, v11
	v_lshl_or_b32 v11, v11, 4, v39
	ds_add_u32 v11, v62
	s_wait_alu 0xfffe
	s_or_b32 exec_lo, exec_lo, s1
	s_delay_alu instid0(SALU_CYCLE_1)
	s_mov_b32 s1, exec_lo
	v_cmpx_gt_u32_e64 s0, v31
	s_cbranch_execz .LBB1848_527
.LBB1848_534:                           ;   in Loop: Header=BB1848_510 Depth=2
	v_cmp_lt_i16_e32 vcc_lo, -1, v7
	s_wait_alu 0xfffd
	v_cndmask_b32_e64 v11, -1, 0xffff8000, vcc_lo
	s_delay_alu instid0(VALU_DEP_1) | instskip(NEXT) | instid1(VALU_DEP_1)
	v_xor_b32_e32 v11, v11, v7
	v_cmp_ne_u16_e32 vcc_lo, 0x7fff, v11
	s_wait_alu 0xfffd
	v_cndmask_b32_e32 v11, 0xffff8000, v11, vcc_lo
	s_delay_alu instid0(VALU_DEP_1) | instskip(NEXT) | instid1(VALU_DEP_1)
	v_and_b32_e32 v11, 0xffff, v11
	v_lshrrev_b32_e32 v11, s45, v11
	s_delay_alu instid0(VALU_DEP_1) | instskip(NEXT) | instid1(VALU_DEP_1)
	v_and_b32_e32 v11, s42, v11
	v_lshl_or_b32 v11, v11, 4, v39
	ds_add_u32 v11, v62
	s_wait_alu 0xfffe
	s_or_b32 exec_lo, exec_lo, s1
	s_delay_alu instid0(SALU_CYCLE_1)
	s_mov_b32 s1, exec_lo
	v_cmpx_gt_u32_e64 s0, v34
	s_cbranch_execz .LBB1848_528
.LBB1848_535:                           ;   in Loop: Header=BB1848_510 Depth=2
	v_cmp_lt_i16_e32 vcc_lo, -1, v6
	s_wait_alu 0xfffd
	v_cndmask_b32_e64 v11, -1, 0xffff8000, vcc_lo
	s_delay_alu instid0(VALU_DEP_1) | instskip(NEXT) | instid1(VALU_DEP_1)
	v_xor_b32_e32 v11, v11, v6
	v_cmp_ne_u16_e32 vcc_lo, 0x7fff, v11
	s_wait_alu 0xfffd
	v_cndmask_b32_e32 v11, 0xffff8000, v11, vcc_lo
	s_delay_alu instid0(VALU_DEP_1) | instskip(NEXT) | instid1(VALU_DEP_1)
	v_and_b32_e32 v11, 0xffff, v11
	v_lshrrev_b32_e32 v11, s45, v11
	s_delay_alu instid0(VALU_DEP_1) | instskip(NEXT) | instid1(VALU_DEP_1)
	v_and_b32_e32 v11, s42, v11
	v_lshl_or_b32 v11, v11, 4, v39
	ds_add_u32 v11, v62
	s_wait_alu 0xfffe
	s_or_b32 exec_lo, exec_lo, s1
	s_delay_alu instid0(SALU_CYCLE_1)
	s_mov_b32 s1, exec_lo
	v_cmpx_gt_u32_e64 s0, v35
	s_cbranch_execz .LBB1848_529
.LBB1848_536:                           ;   in Loop: Header=BB1848_510 Depth=2
	v_cmp_lt_i16_e32 vcc_lo, -1, v5
	s_wait_alu 0xfffd
	v_cndmask_b32_e64 v11, -1, 0xffff8000, vcc_lo
	s_delay_alu instid0(VALU_DEP_1) | instskip(NEXT) | instid1(VALU_DEP_1)
	v_xor_b32_e32 v11, v11, v5
	v_cmp_ne_u16_e32 vcc_lo, 0x7fff, v11
	s_wait_alu 0xfffd
	v_cndmask_b32_e32 v11, 0xffff8000, v11, vcc_lo
	s_delay_alu instid0(VALU_DEP_1) | instskip(NEXT) | instid1(VALU_DEP_1)
	v_and_b32_e32 v11, 0xffff, v11
	v_lshrrev_b32_e32 v11, s45, v11
	s_delay_alu instid0(VALU_DEP_1) | instskip(NEXT) | instid1(VALU_DEP_1)
	v_and_b32_e32 v11, s42, v11
	v_lshl_or_b32 v11, v11, 4, v39
	ds_add_u32 v11, v62
	s_wait_alu 0xfffe
	s_or_b32 exec_lo, exec_lo, s1
	s_delay_alu instid0(SALU_CYCLE_1)
	s_mov_b32 s1, exec_lo
	v_cmpx_gt_u32_e64 s0, v36
	s_cbranch_execz .LBB1848_530
.LBB1848_537:                           ;   in Loop: Header=BB1848_510 Depth=2
	v_cmp_lt_i16_e32 vcc_lo, -1, v4
	s_wait_alu 0xfffd
	v_cndmask_b32_e64 v11, -1, 0xffff8000, vcc_lo
	s_delay_alu instid0(VALU_DEP_1) | instskip(NEXT) | instid1(VALU_DEP_1)
	v_xor_b32_e32 v11, v11, v4
	v_cmp_ne_u16_e32 vcc_lo, 0x7fff, v11
	s_wait_alu 0xfffd
	v_cndmask_b32_e32 v11, 0xffff8000, v11, vcc_lo
	s_delay_alu instid0(VALU_DEP_1) | instskip(NEXT) | instid1(VALU_DEP_1)
	v_and_b32_e32 v11, 0xffff, v11
	v_lshrrev_b32_e32 v11, s45, v11
	s_delay_alu instid0(VALU_DEP_1) | instskip(NEXT) | instid1(VALU_DEP_1)
	v_and_b32_e32 v11, s42, v11
	v_lshl_or_b32 v11, v11, 4, v39
	ds_add_u32 v11, v62
	s_wait_alu 0xfffe
	s_or_b32 exec_lo, exec_lo, s1
	v_cmp_gt_u32_e32 vcc_lo, s0, v37
	s_and_saveexec_b32 s0, vcc_lo
	s_cbranch_execz .LBB1848_509
.LBB1848_538:                           ;   in Loop: Header=BB1848_510 Depth=2
	v_cmp_lt_i16_e32 vcc_lo, -1, v2
	s_wait_alu 0xfffd
	v_cndmask_b32_e64 v11, -1, 0xffff8000, vcc_lo
	s_delay_alu instid0(VALU_DEP_1) | instskip(NEXT) | instid1(VALU_DEP_1)
	v_xor_b32_e32 v11, v11, v2
	v_cmp_ne_u16_e32 vcc_lo, 0x7fff, v11
	s_wait_alu 0xfffd
	v_cndmask_b32_e32 v11, 0xffff8000, v11, vcc_lo
	s_delay_alu instid0(VALU_DEP_1) | instskip(NEXT) | instid1(VALU_DEP_1)
	v_and_b32_e32 v11, 0xffff, v11
	v_lshrrev_b32_e32 v11, s45, v11
	s_delay_alu instid0(VALU_DEP_1) | instskip(NEXT) | instid1(VALU_DEP_1)
	v_and_b32_e32 v11, s42, v11
	v_lshl_or_b32 v11, v11, 4, v39
	ds_add_u32 v11, v62
	s_branch .LBB1848_509
.LBB1848_539:                           ;   in Loop: Header=BB1848_510 Depth=2
	global_load_u16 v10, v82, s[0:1]
	s_or_b32 exec_lo, exec_lo, s11
	s_delay_alu instid0(SALU_CYCLE_1)
	s_mov_b32 s11, exec_lo
	v_cmpx_gt_u32_e64 s9, v29
	s_cbranch_execz .LBB1848_515
.LBB1848_540:                           ;   in Loop: Header=BB1848_510 Depth=2
	global_load_u16 v9, v82, s[0:1] offset:512
	s_wait_alu 0xfffe
	s_or_b32 exec_lo, exec_lo, s11
	s_delay_alu instid0(SALU_CYCLE_1)
	s_mov_b32 s11, exec_lo
	v_cmpx_gt_u32_e64 s9, v30
	s_cbranch_execz .LBB1848_516
.LBB1848_541:                           ;   in Loop: Header=BB1848_510 Depth=2
	global_load_u16 v8, v82, s[0:1] offset:1024
	s_wait_alu 0xfffe
	s_or_b32 exec_lo, exec_lo, s11
	s_delay_alu instid0(SALU_CYCLE_1)
	s_mov_b32 s11, exec_lo
	v_cmpx_gt_u32_e64 s9, v31
	s_cbranch_execz .LBB1848_517
.LBB1848_542:                           ;   in Loop: Header=BB1848_510 Depth=2
	global_load_u16 v7, v82, s[0:1] offset:1536
	s_wait_alu 0xfffe
	s_or_b32 exec_lo, exec_lo, s11
	s_delay_alu instid0(SALU_CYCLE_1)
	s_mov_b32 s11, exec_lo
	v_cmpx_gt_u32_e64 s9, v34
	s_cbranch_execz .LBB1848_518
.LBB1848_543:                           ;   in Loop: Header=BB1848_510 Depth=2
	global_load_u16 v6, v82, s[0:1] offset:2048
	s_wait_alu 0xfffe
	s_or_b32 exec_lo, exec_lo, s11
	s_delay_alu instid0(SALU_CYCLE_1)
	s_mov_b32 s11, exec_lo
	v_cmpx_gt_u32_e64 s9, v35
	s_cbranch_execz .LBB1848_519
.LBB1848_544:                           ;   in Loop: Header=BB1848_510 Depth=2
	global_load_u16 v5, v82, s[0:1] offset:2560
	s_wait_alu 0xfffe
	s_or_b32 exec_lo, exec_lo, s11
	s_delay_alu instid0(SALU_CYCLE_1)
	s_mov_b32 s11, exec_lo
	v_cmpx_gt_u32_e64 s9, v36
	s_cbranch_execz .LBB1848_520
.LBB1848_545:                           ;   in Loop: Header=BB1848_510 Depth=2
	global_load_u16 v4, v82, s[0:1] offset:3072
	s_wait_alu 0xfffe
	s_or_b32 exec_lo, exec_lo, s11
	s_delay_alu instid0(SALU_CYCLE_1)
	s_mov_b32 s11, exec_lo
	v_cmpx_gt_u32_e64 s9, v37
	s_cbranch_execnz .LBB1848_521
	s_branch .LBB1848_522
.LBB1848_546:                           ;   in Loop: Header=BB1848_12 Depth=1
	v_mov_b32_e32 v2, 0
	s_wait_dscnt 0x0
	s_barrier_signal -1
	s_barrier_wait -1
	global_inv scope:SCOPE_SE
	s_and_saveexec_b32 s0, s2
	s_cbranch_execz .LBB1848_548
; %bb.547:                              ;   in Loop: Header=BB1848_12 Depth=1
	ds_load_2addr_b64 v[4:7], v40 offset1:1
	s_wait_dscnt 0x0
	v_add_nc_u32_e32 v2, v5, v4
	s_delay_alu instid0(VALU_DEP_1)
	v_add3_u32 v2, v2, v6, v7
.LBB1848_548:                           ;   in Loop: Header=BB1848_12 Depth=1
	s_wait_alu 0xfffe
	s_or_b32 exec_lo, exec_lo, s0
	s_delay_alu instid0(VALU_DEP_1)
	v_mov_b32_dpp v4, v2 row_shr:1 row_mask:0xf bank_mask:0xf
	v_cmp_eq_u32_e64 s0, 0, v63
	v_cmp_lt_u32_e64 s1, 1, v63
	v_cmp_lt_u32_e64 s9, 3, v63
	;; [unrolled: 1-line block ×3, first 2 shown]
	v_cmp_eq_u32_e64 s11, 0, v65
	s_wait_alu 0xf1ff
	v_cndmask_b32_e64 v4, v4, 0, s0
	s_delay_alu instid0(VALU_DEP_1) | instskip(NEXT) | instid1(VALU_DEP_1)
	v_add_nc_u32_e32 v2, v4, v2
	v_mov_b32_dpp v4, v2 row_shr:2 row_mask:0xf bank_mask:0xf
	s_delay_alu instid0(VALU_DEP_1) | instskip(NEXT) | instid1(VALU_DEP_1)
	v_cndmask_b32_e64 v4, 0, v4, s1
	v_add_nc_u32_e32 v2, v2, v4
	s_delay_alu instid0(VALU_DEP_1) | instskip(NEXT) | instid1(VALU_DEP_1)
	v_mov_b32_dpp v4, v2 row_shr:4 row_mask:0xf bank_mask:0xf
	v_cndmask_b32_e64 v4, 0, v4, s9
	s_delay_alu instid0(VALU_DEP_1) | instskip(NEXT) | instid1(VALU_DEP_1)
	v_add_nc_u32_e32 v2, v2, v4
	v_mov_b32_dpp v4, v2 row_shr:8 row_mask:0xf bank_mask:0xf
	s_delay_alu instid0(VALU_DEP_1) | instskip(NEXT) | instid1(VALU_DEP_1)
	v_cndmask_b32_e64 v4, 0, v4, s10
	v_add_nc_u32_e32 v2, v2, v4
	ds_swizzle_b32 v4, v2 offset:swizzle(BROADCAST,32,15)
	s_wait_dscnt 0x0
	v_and_b32_e32 v4, v64, v4
	s_delay_alu instid0(VALU_DEP_1)
	v_add_nc_u32_e32 v2, v2, v4
	s_and_saveexec_b32 s12, s3
; %bb.549:                              ;   in Loop: Header=BB1848_12 Depth=1
	ds_store_b32 v41, v2
; %bb.550:                              ;   in Loop: Header=BB1848_12 Depth=1
	s_wait_alu 0xfffe
	s_or_b32 exec_lo, exec_lo, s12
	s_wait_loadcnt_dscnt 0x0
	s_barrier_signal -1
	s_barrier_wait -1
	global_inv scope:SCOPE_SE
	s_and_saveexec_b32 s12, s4
	s_cbranch_execz .LBB1848_552
; %bb.551:                              ;   in Loop: Header=BB1848_12 Depth=1
	ds_load_b32 v4, v42
	v_cmp_ne_u32_e32 vcc_lo, 0, v67
	s_wait_dscnt 0x0
	v_mov_b32_dpp v5, v4 row_shr:1 row_mask:0xf bank_mask:0xf
	s_wait_alu 0xfffd
	s_delay_alu instid0(VALU_DEP_1) | instskip(SKIP_1) | instid1(VALU_DEP_2)
	v_cndmask_b32_e32 v5, 0, v5, vcc_lo
	v_cmp_lt_u32_e32 vcc_lo, 1, v67
	v_add_nc_u32_e32 v4, v5, v4
	s_delay_alu instid0(VALU_DEP_1) | instskip(SKIP_1) | instid1(VALU_DEP_1)
	v_mov_b32_dpp v5, v4 row_shr:2 row_mask:0xf bank_mask:0xf
	s_wait_alu 0xfffd
	v_cndmask_b32_e32 v5, 0, v5, vcc_lo
	v_cmp_lt_u32_e32 vcc_lo, 3, v67
	s_delay_alu instid0(VALU_DEP_2) | instskip(NEXT) | instid1(VALU_DEP_1)
	v_add_nc_u32_e32 v4, v4, v5
	v_mov_b32_dpp v5, v4 row_shr:4 row_mask:0xf bank_mask:0xf
	s_wait_alu 0xfffd
	s_delay_alu instid0(VALU_DEP_1) | instskip(NEXT) | instid1(VALU_DEP_1)
	v_cndmask_b32_e32 v5, 0, v5, vcc_lo
	v_add_nc_u32_e32 v4, v4, v5
	ds_store_b32 v42, v4
.LBB1848_552:                           ;   in Loop: Header=BB1848_12 Depth=1
	s_wait_alu 0xfffe
	s_or_b32 exec_lo, exec_lo, s12
	v_mov_b32_e32 v4, 0
	s_wait_loadcnt_dscnt 0x0
	s_barrier_signal -1
	s_barrier_wait -1
	global_inv scope:SCOPE_SE
	s_and_saveexec_b32 s12, s5
; %bb.553:                              ;   in Loop: Header=BB1848_12 Depth=1
	ds_load_b32 v4, v44
; %bb.554:                              ;   in Loop: Header=BB1848_12 Depth=1
	s_wait_alu 0xfffe
	s_or_b32 exec_lo, exec_lo, s12
	v_cmp_gt_i32_e32 vcc_lo, 0, v68
	s_wait_dscnt 0x0
	v_add_nc_u32_e32 v2, v4, v2
	s_wait_loadcnt 0x0
	s_barrier_signal -1
	s_barrier_wait -1
	s_wait_alu 0xfffd
	v_cndmask_b32_e32 v5, v68, v59, vcc_lo
	global_inv scope:SCOPE_SE
	v_lshlrev_b32_e32 v87, 2, v5
	ds_bpermute_b32 v2, v87, v2
	s_and_saveexec_b32 s12, s2
	s_cbranch_execz .LBB1848_556
; %bb.555:                              ;   in Loop: Header=BB1848_12 Depth=1
	s_wait_dscnt 0x0
	v_cndmask_b32_e64 v2, v2, v4, s8
	s_delay_alu instid0(VALU_DEP_1)
	v_add_nc_u32_e32 v2, s33, v2
	ds_store_b32 v28, v2
.LBB1848_556:                           ;   in Loop: Header=BB1848_12 Depth=1
	s_wait_alu 0xfffe
	s_or_b32 exec_lo, exec_lo, s12
	s_load_b64 s[12:13], s[28:29], 0x0
	v_add_co_u32 v88, vcc_lo, v57, v69
	s_wait_alu 0xfffd
	v_add_co_ci_u32_e64 v89, null, 0, v58, vcc_lo
	v_add_co_u32 v90, vcc_lo, v60, v77
	s_wait_alu 0xfffd
	v_add_co_ci_u32_e64 v91, null, 0, v61, vcc_lo
	s_mov_b32 s43, s47
                                        ; implicit-def: $vgpr6_vgpr7
                                        ; implicit-def: $vgpr8_vgpr9
                                        ; implicit-def: $vgpr10_vgpr11
                                        ; implicit-def: $vgpr12_vgpr13
                                        ; implicit-def: $vgpr14_vgpr15
                                        ; implicit-def: $vgpr16_vgpr17
                                        ; implicit-def: $vgpr18_vgpr19
                                        ; implicit-def: $vgpr93
                                        ; implicit-def: $vgpr94
                                        ; implicit-def: $vgpr95
                                        ; implicit-def: $vgpr96
                                        ; implicit-def: $vgpr97
                                        ; implicit-def: $vgpr98
                                        ; implicit-def: $vgpr99
                                        ; implicit-def: $vgpr100
	s_wait_kmcnt 0x0
	s_cmp_lt_u32 ttmp7, s13
	s_cselect_b32 s30, 14, 20
	s_cmp_lt_u32 ttmp9, s12
	s_wait_alu 0xfffe
	s_add_nc_u64 s[14:15], s[28:29], s[30:31]
	s_cselect_b32 s30, 12, 18
	s_load_u16 s14, s[14:15], 0x0
	s_add_nc_u64 s[12:13], s[28:29], s[30:31]
	s_mov_b32 s30, s33
	s_load_u16 s12, s[12:13], 0x0
	v_cmp_lt_u32_e64 s13, 1, v67
	s_wait_dscnt 0x0
	s_wait_kmcnt 0x0
	v_mad_u32_u24 v2, v45, s14, v0
	v_cmp_lt_u32_e64 s14, 3, v67
	s_delay_alu instid0(VALU_DEP_2) | instskip(SKIP_1) | instid1(VALU_DEP_2)
	v_mad_co_u64_u32 v[4:5], null, v2, s12, v[1:2]
	v_cmp_eq_u32_e64 s12, 0, v67
	v_lshrrev_b32_e32 v2, 3, v4
                                        ; implicit-def: $vgpr4_vgpr5
	s_delay_alu instid0(VALU_DEP_1)
	v_and_b32_e32 v92, 0x1ffffffc, v2
	s_branch .LBB1848_558
.LBB1848_557:                           ;   in Loop: Header=BB1848_558 Depth=2
	s_wait_alu 0xfffe
	s_or_b32 exec_lo, exec_lo, s15
	s_addk_co_i32 s43, 0xf800
	s_cmp_lt_u32 s44, s34
	s_mov_b32 s30, s44
	s_cbranch_scc0 .LBB1848_10
.LBB1848_558:                           ;   Parent Loop BB1848_12 Depth=1
                                        ; =>  This Inner Loop Header: Depth=2
	s_wait_alu 0xfffe
	s_add_co_i32 s44, s30, 0x800
	s_wait_alu 0xfffe
	s_cmp_gt_u32 s44, s34
	s_cbranch_scc1 .LBB1848_560
; %bb.559:                              ;   in Loop: Header=BB1848_558 Depth=2
	s_lshl_b64 s[16:17], s[30:31], 1
	s_mov_b32 s15, -1
	s_wait_alu 0xfffe
	v_add_co_u32 v20, vcc_lo, v90, s16
	s_wait_alu 0xfffd
	v_add_co_ci_u32_e64 v21, null, s17, v91, vcc_lo
	s_clause 0x6
	global_load_u16 v2, v[20:21], off
	global_load_u16 v27, v[20:21], off offset:64
	global_load_u16 v26, v[20:21], off offset:128
	;; [unrolled: 1-line block ×6, first 2 shown]
	s_movk_i32 s16, 0x800
	s_cbranch_execz .LBB1848_561
	s_branch .LBB1848_576
.LBB1848_560:                           ;   in Loop: Header=BB1848_558 Depth=2
	s_mov_b32 s15, 0
                                        ; implicit-def: $vgpr2
                                        ; implicit-def: $vgpr27
                                        ; implicit-def: $vgpr26
                                        ; implicit-def: $vgpr25
                                        ; implicit-def: $vgpr24
                                        ; implicit-def: $vgpr23
                                        ; implicit-def: $vgpr22
	s_movk_i32 s16, 0x800
.LBB1848_561:                           ;   in Loop: Header=BB1848_558 Depth=2
	s_lshl_b64 s[16:17], s[30:31], 1
	s_wait_loadcnt 0x5
	v_dual_mov_b32 v27, 0x7fff :: v_dual_mov_b32 v2, 0x7fff
	s_wait_alu 0xfffe
	v_add_co_u32 v20, vcc_lo, v90, s16
	s_wait_alu 0xfffd
	v_add_co_ci_u32_e64 v21, null, s17, v91, vcc_lo
	s_mov_b32 s15, exec_lo
	v_cmpx_gt_u32_e64 s43, v66
	s_cbranch_execz .LBB1848_563
; %bb.562:                              ;   in Loop: Header=BB1848_558 Depth=2
	global_load_u16 v2, v[20:21], off
.LBB1848_563:                           ;   in Loop: Header=BB1848_558 Depth=2
	s_wait_alu 0xfffe
	s_or_b32 exec_lo, exec_lo, s15
	s_delay_alu instid0(SALU_CYCLE_1)
	s_mov_b32 s15, exec_lo
	v_cmpx_gt_u32_e64 s43, v70
	s_cbranch_execz .LBB1848_565
; %bb.564:                              ;   in Loop: Header=BB1848_558 Depth=2
	global_load_u16 v27, v[20:21], off offset:64
.LBB1848_565:                           ;   in Loop: Header=BB1848_558 Depth=2
	s_wait_alu 0xfffe
	s_or_b32 exec_lo, exec_lo, s15
	s_wait_loadcnt 0x3
	v_dual_mov_b32 v25, 0x7fff :: v_dual_mov_b32 v26, 0x7fff
	s_mov_b32 s15, exec_lo
	v_cmpx_gt_u32_e64 s43, v71
	s_cbranch_execz .LBB1848_567
; %bb.566:                              ;   in Loop: Header=BB1848_558 Depth=2
	global_load_u16 v26, v[20:21], off offset:128
.LBB1848_567:                           ;   in Loop: Header=BB1848_558 Depth=2
	s_wait_alu 0xfffe
	s_or_b32 exec_lo, exec_lo, s15
	s_delay_alu instid0(SALU_CYCLE_1)
	s_mov_b32 s15, exec_lo
	v_cmpx_gt_u32_e64 s43, v72
	s_cbranch_execz .LBB1848_569
; %bb.568:                              ;   in Loop: Header=BB1848_558 Depth=2
	global_load_u16 v25, v[20:21], off offset:192
.LBB1848_569:                           ;   in Loop: Header=BB1848_558 Depth=2
	s_wait_alu 0xfffe
	s_or_b32 exec_lo, exec_lo, s15
	s_wait_loadcnt 0x1
	v_dual_mov_b32 v23, 0x7fff :: v_dual_mov_b32 v24, 0x7fff
	s_mov_b32 s15, exec_lo
	v_cmpx_gt_u32_e64 s43, v73
	s_cbranch_execz .LBB1848_571
; %bb.570:                              ;   in Loop: Header=BB1848_558 Depth=2
	global_load_u16 v24, v[20:21], off offset:256
.LBB1848_571:                           ;   in Loop: Header=BB1848_558 Depth=2
	s_wait_alu 0xfffe
	s_or_b32 exec_lo, exec_lo, s15
	s_delay_alu instid0(SALU_CYCLE_1)
	s_mov_b32 s15, exec_lo
	v_cmpx_gt_u32_e64 s43, v74
	s_cbranch_execz .LBB1848_573
; %bb.572:                              ;   in Loop: Header=BB1848_558 Depth=2
	global_load_u16 v23, v[20:21], off offset:320
.LBB1848_573:                           ;   in Loop: Header=BB1848_558 Depth=2
	s_wait_alu 0xfffe
	s_or_b32 exec_lo, exec_lo, s15
	s_wait_loadcnt 0x0
	v_mov_b32_e32 v22, 0x7fff
	s_mov_b32 s15, exec_lo
	v_cmpx_gt_u32_e64 s43, v75
	s_cbranch_execz .LBB1848_575
; %bb.574:                              ;   in Loop: Header=BB1848_558 Depth=2
	global_load_u16 v22, v[20:21], off offset:384
.LBB1848_575:                           ;   in Loop: Header=BB1848_558 Depth=2
	s_wait_alu 0xfffe
	s_or_b32 exec_lo, exec_lo, s15
	v_cmp_gt_u32_e64 s15, s43, v76
	s_sub_co_i32 s16, s34, s30
.LBB1848_576:                           ;   in Loop: Header=BB1848_558 Depth=2
	v_dual_mov_b32 v20, 0x7fff :: v_dual_mov_b32 v101, s43
	s_and_saveexec_b32 s17, s15
	s_cbranch_execz .LBB1848_578
; %bb.577:                              ;   in Loop: Header=BB1848_558 Depth=2
	s_lshl_b64 s[18:19], s[30:31], 1
	s_wait_alu 0xfffe
	v_mov_b32_e32 v101, s16
	v_add_co_u32 v20, vcc_lo, v90, s18
	s_wait_alu 0xfffd
	v_add_co_ci_u32_e64 v21, null, s19, v91, vcc_lo
	global_load_u16 v20, v[20:21], off offset:448
.LBB1848_578:                           ;   in Loop: Header=BB1848_558 Depth=2
	s_wait_alu 0xfffe
	s_or_b32 exec_lo, exec_lo, s17
	s_wait_loadcnt 0x6
	v_cmp_lt_i16_e32 vcc_lo, -1, v2
	ds_store_2addr_b32 v81, v3, v3 offset1:1
	ds_store_2addr_b32 v78, v3, v3 offset1:1
	ds_store_2addr_b32 v79, v3, v3 offset1:1
	ds_store_2addr_b32 v80, v3, v3 offset1:1
	ds_store_b32 v43, v3 offset:1088
	s_wait_loadcnt_dscnt 0x0
	s_barrier_signal -1
	s_wait_alu 0xfffd
	v_cndmask_b32_e64 v21, -1, 0xffff8000, vcc_lo
	s_barrier_wait -1
	global_inv scope:SCOPE_SE
	; wave barrier
	v_xor_b32_e32 v2, v21, v2
	s_delay_alu instid0(VALU_DEP_1) | instskip(SKIP_2) | instid1(VALU_DEP_1)
	v_cmp_ne_u16_e32 vcc_lo, 0x7fff, v2
	s_wait_alu 0xfffd
	v_cndmask_b32_e32 v21, 0xffff8000, v2, vcc_lo
	v_and_b32_e32 v21, 0xffff, v21
	s_delay_alu instid0(VALU_DEP_1) | instskip(NEXT) | instid1(VALU_DEP_1)
	v_lshrrev_b32_e32 v21, s45, v21
	v_and_b32_e32 v103, s42, v21
	s_delay_alu instid0(VALU_DEP_1)
	v_and_b32_e32 v21, 1, v103
	v_lshlrev_b32_e32 v102, 30, v103
	v_lshlrev_b32_e32 v104, 29, v103
	;; [unrolled: 1-line block ×4, first 2 shown]
	v_add_co_u32 v21, s15, v21, -1
	s_wait_alu 0xf1ff
	v_cndmask_b32_e64 v106, 0, 1, s15
	v_not_b32_e32 v110, v102
	v_cmp_gt_i32_e64 s15, 0, v102
	v_not_b32_e32 v102, v104
	v_lshlrev_b32_e32 v108, 26, v103
	v_cmp_ne_u32_e32 vcc_lo, 0, v106
	v_ashrrev_i32_e32 v110, 31, v110
	v_lshlrev_b32_e32 v109, 25, v103
	v_ashrrev_i32_e32 v102, 31, v102
	v_lshlrev_b32_e32 v106, 24, v103
	s_wait_alu 0xfffd
	v_xor_b32_e32 v21, vcc_lo, v21
	v_cmp_gt_i32_e32 vcc_lo, 0, v104
	v_not_b32_e32 v104, v105
	s_wait_alu 0xf1ff
	v_xor_b32_e32 v110, s15, v110
	v_cmp_gt_i32_e64 s15, 0, v105
	v_and_b32_e32 v21, exec_lo, v21
	v_not_b32_e32 v105, v107
	v_ashrrev_i32_e32 v104, 31, v104
	s_wait_alu 0xfffd
	v_xor_b32_e32 v102, vcc_lo, v102
	v_cmp_gt_i32_e32 vcc_lo, 0, v107
	v_and_b32_e32 v21, v21, v110
	v_not_b32_e32 v107, v108
	v_ashrrev_i32_e32 v105, 31, v105
	s_wait_alu 0xf1ff
	v_xor_b32_e32 v104, s15, v104
	v_cmp_gt_i32_e64 s15, 0, v108
	v_and_b32_e32 v21, v21, v102
	v_not_b32_e32 v102, v109
	v_ashrrev_i32_e32 v107, 31, v107
	s_wait_alu 0xfffd
	v_xor_b32_e32 v105, vcc_lo, v105
	v_cmp_gt_i32_e32 vcc_lo, 0, v109
	v_and_b32_e32 v21, v21, v104
	v_not_b32_e32 v104, v106
	v_ashrrev_i32_e32 v102, 31, v102
	s_wait_alu 0xf1ff
	v_xor_b32_e32 v107, s15, v107
	v_cmp_gt_i32_e64 s15, 0, v106
	v_and_b32_e32 v21, v21, v105
	v_ashrrev_i32_e32 v104, 31, v104
	s_wait_alu 0xfffd
	v_xor_b32_e32 v102, vcc_lo, v102
	v_mul_u32_u24_e32 v103, 36, v103
	v_and_b32_e32 v21, v21, v107
	s_wait_alu 0xf1ff
	v_xor_b32_e32 v104, s15, v104
	s_delay_alu instid0(VALU_DEP_2) | instskip(NEXT) | instid1(VALU_DEP_1)
	v_and_b32_e32 v21, v21, v102
	v_and_b32_e32 v21, v21, v104
	v_add_nc_u32_e32 v104, v92, v103
	s_delay_alu instid0(VALU_DEP_2) | instskip(SKIP_1) | instid1(VALU_DEP_2)
	v_mbcnt_lo_u32_b32 v102, v21, 0
	v_cmp_ne_u32_e64 s15, 0, v21
	v_cmp_eq_u32_e32 vcc_lo, 0, v102
	s_and_b32 s16, s15, vcc_lo
	s_wait_alu 0xfffe
	s_and_saveexec_b32 s15, s16
; %bb.579:                              ;   in Loop: Header=BB1848_558 Depth=2
	v_bcnt_u32_b32 v21, v21, 0
	ds_store_b32 v104, v21 offset:1056
; %bb.580:                              ;   in Loop: Header=BB1848_558 Depth=2
	s_wait_alu 0xfffe
	s_or_b32 exec_lo, exec_lo, s15
	v_cmp_lt_i16_e32 vcc_lo, -1, v27
	; wave barrier
	s_wait_alu 0xfffd
	v_cndmask_b32_e64 v21, -1, 0xffff8000, vcc_lo
	s_delay_alu instid0(VALU_DEP_1) | instskip(NEXT) | instid1(VALU_DEP_1)
	v_xor_b32_e32 v103, v21, v27
	v_cmp_ne_u16_e32 vcc_lo, 0x7fff, v103
	s_wait_alu 0xfffd
	v_cndmask_b32_e32 v21, 0xffff8000, v103, vcc_lo
	s_delay_alu instid0(VALU_DEP_1) | instskip(NEXT) | instid1(VALU_DEP_1)
	v_and_b32_e32 v21, 0xffff, v21
	v_lshrrev_b32_e32 v21, s45, v21
	s_delay_alu instid0(VALU_DEP_1) | instskip(NEXT) | instid1(VALU_DEP_1)
	v_and_b32_e32 v27, s42, v21
	v_and_b32_e32 v21, 1, v27
	v_lshlrev_b32_e32 v105, 30, v27
	v_lshlrev_b32_e32 v106, 29, v27
	;; [unrolled: 1-line block ×4, first 2 shown]
	v_add_co_u32 v21, s15, v21, -1
	s_wait_alu 0xf1ff
	v_cndmask_b32_e64 v108, 0, 1, s15
	v_not_b32_e32 v112, v105
	v_cmp_gt_i32_e64 s15, 0, v105
	v_not_b32_e32 v105, v106
	v_lshlrev_b32_e32 v110, 26, v27
	v_cmp_ne_u32_e32 vcc_lo, 0, v108
	v_ashrrev_i32_e32 v112, 31, v112
	v_lshlrev_b32_e32 v111, 25, v27
	v_ashrrev_i32_e32 v105, 31, v105
	v_lshlrev_b32_e32 v108, 24, v27
	s_wait_alu 0xfffd
	v_xor_b32_e32 v21, vcc_lo, v21
	v_cmp_gt_i32_e32 vcc_lo, 0, v106
	v_not_b32_e32 v106, v107
	s_wait_alu 0xf1ff
	v_xor_b32_e32 v112, s15, v112
	v_cmp_gt_i32_e64 s15, 0, v107
	v_and_b32_e32 v21, exec_lo, v21
	v_not_b32_e32 v107, v109
	v_ashrrev_i32_e32 v106, 31, v106
	s_wait_alu 0xfffd
	v_xor_b32_e32 v105, vcc_lo, v105
	v_cmp_gt_i32_e32 vcc_lo, 0, v109
	v_and_b32_e32 v21, v21, v112
	v_not_b32_e32 v109, v110
	v_ashrrev_i32_e32 v107, 31, v107
	s_wait_alu 0xf1ff
	v_xor_b32_e32 v106, s15, v106
	v_cmp_gt_i32_e64 s15, 0, v110
	v_and_b32_e32 v21, v21, v105
	v_not_b32_e32 v105, v111
	v_ashrrev_i32_e32 v109, 31, v109
	s_wait_alu 0xfffd
	v_xor_b32_e32 v107, vcc_lo, v107
	v_cmp_gt_i32_e32 vcc_lo, 0, v111
	v_and_b32_e32 v21, v21, v106
	v_not_b32_e32 v106, v108
	v_ashrrev_i32_e32 v105, 31, v105
	s_wait_alu 0xf1ff
	v_xor_b32_e32 v109, s15, v109
	v_cmp_gt_i32_e64 s15, 0, v108
	v_and_b32_e32 v21, v21, v107
	v_ashrrev_i32_e32 v106, 31, v106
	s_wait_alu 0xfffd
	v_xor_b32_e32 v105, vcc_lo, v105
	v_mad_u32_u24 v107, v27, 36, v92
	v_mul_u32_u24_e32 v27, 36, v27
	v_and_b32_e32 v21, v21, v109
	s_wait_alu 0xf1ff
	v_xor_b32_e32 v106, s15, v106
	s_delay_alu instid0(VALU_DEP_3) | instskip(NEXT) | instid1(VALU_DEP_3)
	v_add_nc_u32_e32 v108, v92, v27
	v_and_b32_e32 v21, v21, v105
	ds_load_b32 v105, v107 offset:1056
	; wave barrier
	v_and_b32_e32 v21, v21, v106
	s_delay_alu instid0(VALU_DEP_1) | instskip(SKIP_1) | instid1(VALU_DEP_2)
	v_mbcnt_lo_u32_b32 v106, v21, 0
	v_cmp_ne_u32_e64 s15, 0, v21
	v_cmp_eq_u32_e32 vcc_lo, 0, v106
	s_and_b32 s16, s15, vcc_lo
	s_wait_alu 0xfffe
	s_and_saveexec_b32 s15, s16
	s_cbranch_execz .LBB1848_582
; %bb.581:                              ;   in Loop: Header=BB1848_558 Depth=2
	s_wait_dscnt 0x0
	v_bcnt_u32_b32 v21, v21, v105
	ds_store_b32 v108, v21 offset:1056
.LBB1848_582:                           ;   in Loop: Header=BB1848_558 Depth=2
	s_wait_alu 0xfffe
	s_or_b32 exec_lo, exec_lo, s15
	v_cmp_lt_i16_e32 vcc_lo, -1, v26
	; wave barrier
	s_wait_alu 0xfffd
	v_cndmask_b32_e64 v21, -1, 0xffff8000, vcc_lo
	s_delay_alu instid0(VALU_DEP_1) | instskip(NEXT) | instid1(VALU_DEP_1)
	v_xor_b32_e32 v107, v21, v26
	v_cmp_ne_u16_e32 vcc_lo, 0x7fff, v107
	s_wait_alu 0xfffd
	v_cndmask_b32_e32 v21, 0xffff8000, v107, vcc_lo
	s_delay_alu instid0(VALU_DEP_1) | instskip(NEXT) | instid1(VALU_DEP_1)
	v_and_b32_e32 v21, 0xffff, v21
	v_lshrrev_b32_e32 v21, s45, v21
	s_delay_alu instid0(VALU_DEP_1) | instskip(NEXT) | instid1(VALU_DEP_1)
	v_and_b32_e32 v26, s42, v21
	v_and_b32_e32 v21, 1, v26
	v_lshlrev_b32_e32 v27, 30, v26
	v_lshlrev_b32_e32 v109, 29, v26
	;; [unrolled: 1-line block ×4, first 2 shown]
	v_add_co_u32 v21, s15, v21, -1
	s_wait_alu 0xf1ff
	v_cndmask_b32_e64 v111, 0, 1, s15
	v_not_b32_e32 v115, v27
	v_cmp_gt_i32_e64 s15, 0, v27
	v_not_b32_e32 v27, v109
	v_lshlrev_b32_e32 v113, 26, v26
	v_cmp_ne_u32_e32 vcc_lo, 0, v111
	v_ashrrev_i32_e32 v115, 31, v115
	v_lshlrev_b32_e32 v114, 25, v26
	v_ashrrev_i32_e32 v27, 31, v27
	v_lshlrev_b32_e32 v111, 24, v26
	s_wait_alu 0xfffd
	v_xor_b32_e32 v21, vcc_lo, v21
	v_cmp_gt_i32_e32 vcc_lo, 0, v109
	v_not_b32_e32 v109, v110
	s_wait_alu 0xf1ff
	v_xor_b32_e32 v115, s15, v115
	v_cmp_gt_i32_e64 s15, 0, v110
	v_and_b32_e32 v21, exec_lo, v21
	v_not_b32_e32 v110, v112
	v_ashrrev_i32_e32 v109, 31, v109
	s_wait_alu 0xfffd
	v_xor_b32_e32 v27, vcc_lo, v27
	v_cmp_gt_i32_e32 vcc_lo, 0, v112
	v_and_b32_e32 v21, v21, v115
	v_not_b32_e32 v112, v113
	v_ashrrev_i32_e32 v110, 31, v110
	s_wait_alu 0xf1ff
	v_xor_b32_e32 v109, s15, v109
	v_cmp_gt_i32_e64 s15, 0, v113
	v_and_b32_e32 v21, v21, v27
	v_not_b32_e32 v27, v114
	v_ashrrev_i32_e32 v112, 31, v112
	s_wait_alu 0xfffd
	v_xor_b32_e32 v110, vcc_lo, v110
	v_cmp_gt_i32_e32 vcc_lo, 0, v114
	v_and_b32_e32 v21, v21, v109
	v_not_b32_e32 v109, v111
	v_ashrrev_i32_e32 v27, 31, v27
	s_wait_alu 0xf1ff
	v_xor_b32_e32 v112, s15, v112
	v_cmp_gt_i32_e64 s15, 0, v111
	v_and_b32_e32 v21, v21, v110
	v_ashrrev_i32_e32 v109, 31, v109
	s_wait_alu 0xfffd
	v_xor_b32_e32 v27, vcc_lo, v27
	v_mad_u32_u24 v110, v26, 36, v92
	v_mul_u32_u24_e32 v26, 36, v26
	v_and_b32_e32 v21, v21, v112
	s_wait_alu 0xf1ff
	v_xor_b32_e32 v111, s15, v109
	ds_load_b32 v109, v110 offset:1056
	v_add_nc_u32_e32 v112, v92, v26
	v_and_b32_e32 v21, v21, v27
	; wave barrier
	s_delay_alu instid0(VALU_DEP_1) | instskip(NEXT) | instid1(VALU_DEP_1)
	v_and_b32_e32 v21, v21, v111
	v_mbcnt_lo_u32_b32 v111, v21, 0
	v_cmp_ne_u32_e64 s15, 0, v21
	s_delay_alu instid0(VALU_DEP_2)
	v_cmp_eq_u32_e32 vcc_lo, 0, v111
	s_and_b32 s16, s15, vcc_lo
	s_wait_alu 0xfffe
	s_and_saveexec_b32 s15, s16
	s_cbranch_execz .LBB1848_584
; %bb.583:                              ;   in Loop: Header=BB1848_558 Depth=2
	s_wait_dscnt 0x0
	v_bcnt_u32_b32 v21, v21, v109
	ds_store_b32 v112, v21 offset:1056
.LBB1848_584:                           ;   in Loop: Header=BB1848_558 Depth=2
	s_wait_alu 0xfffe
	s_or_b32 exec_lo, exec_lo, s15
	v_cmp_lt_i16_e32 vcc_lo, -1, v25
	; wave barrier
	s_wait_alu 0xfffd
	v_cndmask_b32_e64 v21, -1, 0xffff8000, vcc_lo
	s_delay_alu instid0(VALU_DEP_1) | instskip(NEXT) | instid1(VALU_DEP_1)
	v_xor_b32_e32 v110, v21, v25
	v_cmp_ne_u16_e32 vcc_lo, 0x7fff, v110
	s_wait_alu 0xfffd
	v_cndmask_b32_e32 v21, 0xffff8000, v110, vcc_lo
	s_delay_alu instid0(VALU_DEP_1) | instskip(NEXT) | instid1(VALU_DEP_1)
	v_and_b32_e32 v21, 0xffff, v21
	v_lshrrev_b32_e32 v21, s45, v21
	s_delay_alu instid0(VALU_DEP_1) | instskip(NEXT) | instid1(VALU_DEP_1)
	v_and_b32_e32 v25, s42, v21
	v_and_b32_e32 v21, 1, v25
	v_lshlrev_b32_e32 v26, 30, v25
	v_lshlrev_b32_e32 v27, 29, v25
	;; [unrolled: 1-line block ×4, first 2 shown]
	v_add_co_u32 v21, s15, v21, -1
	s_wait_alu 0xf1ff
	v_cndmask_b32_e64 v114, 0, 1, s15
	v_not_b32_e32 v118, v26
	v_cmp_gt_i32_e64 s15, 0, v26
	v_not_b32_e32 v26, v27
	v_lshlrev_b32_e32 v116, 26, v25
	v_cmp_ne_u32_e32 vcc_lo, 0, v114
	v_ashrrev_i32_e32 v118, 31, v118
	v_lshlrev_b32_e32 v117, 25, v25
	v_ashrrev_i32_e32 v26, 31, v26
	v_lshlrev_b32_e32 v114, 24, v25
	s_wait_alu 0xfffd
	v_xor_b32_e32 v21, vcc_lo, v21
	v_cmp_gt_i32_e32 vcc_lo, 0, v27
	v_not_b32_e32 v27, v113
	s_wait_alu 0xf1ff
	v_xor_b32_e32 v118, s15, v118
	v_cmp_gt_i32_e64 s15, 0, v113
	v_and_b32_e32 v21, exec_lo, v21
	v_not_b32_e32 v113, v115
	v_ashrrev_i32_e32 v27, 31, v27
	s_wait_alu 0xfffd
	v_xor_b32_e32 v26, vcc_lo, v26
	v_cmp_gt_i32_e32 vcc_lo, 0, v115
	v_and_b32_e32 v21, v21, v118
	v_not_b32_e32 v115, v116
	v_ashrrev_i32_e32 v113, 31, v113
	s_wait_alu 0xf1ff
	v_xor_b32_e32 v27, s15, v27
	v_cmp_gt_i32_e64 s15, 0, v116
	v_and_b32_e32 v21, v21, v26
	v_not_b32_e32 v26, v117
	v_ashrrev_i32_e32 v115, 31, v115
	s_wait_alu 0xfffd
	v_xor_b32_e32 v113, vcc_lo, v113
	v_cmp_gt_i32_e32 vcc_lo, 0, v117
	v_and_b32_e32 v21, v21, v27
	v_not_b32_e32 v27, v114
	v_ashrrev_i32_e32 v26, 31, v26
	s_wait_alu 0xf1ff
	v_xor_b32_e32 v115, s15, v115
	v_cmp_gt_i32_e64 s15, 0, v114
	v_and_b32_e32 v21, v21, v113
	v_ashrrev_i32_e32 v27, 31, v27
	s_wait_alu 0xfffd
	v_xor_b32_e32 v26, vcc_lo, v26
	v_mad_u32_u24 v113, v25, 36, v92
	v_mul_u32_u24_e32 v25, 36, v25
	v_and_b32_e32 v21, v21, v115
	s_wait_alu 0xf1ff
	v_xor_b32_e32 v27, s15, v27
	ds_load_b32 v113, v113 offset:1056
	v_add_nc_u32_e32 v116, v92, v25
	v_and_b32_e32 v21, v21, v26
	; wave barrier
	s_delay_alu instid0(VALU_DEP_1) | instskip(NEXT) | instid1(VALU_DEP_1)
	v_and_b32_e32 v21, v21, v27
	v_mbcnt_lo_u32_b32 v115, v21, 0
	v_cmp_ne_u32_e64 s15, 0, v21
	s_delay_alu instid0(VALU_DEP_2)
	v_cmp_eq_u32_e32 vcc_lo, 0, v115
	s_and_b32 s16, s15, vcc_lo
	s_wait_alu 0xfffe
	s_and_saveexec_b32 s15, s16
	s_cbranch_execz .LBB1848_586
; %bb.585:                              ;   in Loop: Header=BB1848_558 Depth=2
	s_wait_dscnt 0x0
	v_bcnt_u32_b32 v21, v21, v113
	ds_store_b32 v116, v21 offset:1056
.LBB1848_586:                           ;   in Loop: Header=BB1848_558 Depth=2
	s_wait_alu 0xfffe
	s_or_b32 exec_lo, exec_lo, s15
	v_cmp_lt_i16_e32 vcc_lo, -1, v24
	; wave barrier
	s_wait_alu 0xfffd
	v_cndmask_b32_e64 v21, -1, 0xffff8000, vcc_lo
	s_delay_alu instid0(VALU_DEP_1) | instskip(NEXT) | instid1(VALU_DEP_1)
	v_xor_b32_e32 v114, v21, v24
	v_cmp_ne_u16_e32 vcc_lo, 0x7fff, v114
	s_wait_alu 0xfffd
	v_cndmask_b32_e32 v21, 0xffff8000, v114, vcc_lo
	s_delay_alu instid0(VALU_DEP_1) | instskip(NEXT) | instid1(VALU_DEP_1)
	v_and_b32_e32 v21, 0xffff, v21
	v_lshrrev_b32_e32 v21, s45, v21
	s_delay_alu instid0(VALU_DEP_1) | instskip(NEXT) | instid1(VALU_DEP_1)
	v_and_b32_e32 v24, s42, v21
	v_and_b32_e32 v21, 1, v24
	v_lshlrev_b32_e32 v25, 30, v24
	v_lshlrev_b32_e32 v26, 29, v24
	;; [unrolled: 1-line block ×4, first 2 shown]
	v_add_co_u32 v21, s15, v21, -1
	s_wait_alu 0xf1ff
	v_cndmask_b32_e64 v117, 0, 1, s15
	v_not_b32_e32 v121, v25
	v_cmp_gt_i32_e64 s15, 0, v25
	v_not_b32_e32 v25, v26
	v_lshlrev_b32_e32 v119, 26, v24
	v_cmp_ne_u32_e32 vcc_lo, 0, v117
	v_ashrrev_i32_e32 v121, 31, v121
	v_lshlrev_b32_e32 v120, 25, v24
	v_ashrrev_i32_e32 v25, 31, v25
	v_lshlrev_b32_e32 v117, 24, v24
	s_wait_alu 0xfffd
	v_xor_b32_e32 v21, vcc_lo, v21
	v_cmp_gt_i32_e32 vcc_lo, 0, v26
	v_not_b32_e32 v26, v27
	s_wait_alu 0xf1ff
	v_xor_b32_e32 v121, s15, v121
	v_cmp_gt_i32_e64 s15, 0, v27
	v_and_b32_e32 v21, exec_lo, v21
	v_not_b32_e32 v27, v118
	v_ashrrev_i32_e32 v26, 31, v26
	s_wait_alu 0xfffd
	v_xor_b32_e32 v25, vcc_lo, v25
	v_cmp_gt_i32_e32 vcc_lo, 0, v118
	v_and_b32_e32 v21, v21, v121
	v_not_b32_e32 v118, v119
	v_ashrrev_i32_e32 v27, 31, v27
	s_wait_alu 0xf1ff
	v_xor_b32_e32 v26, s15, v26
	v_cmp_gt_i32_e64 s15, 0, v119
	v_and_b32_e32 v21, v21, v25
	v_not_b32_e32 v25, v120
	v_ashrrev_i32_e32 v118, 31, v118
	s_wait_alu 0xfffd
	v_xor_b32_e32 v27, vcc_lo, v27
	v_cmp_gt_i32_e32 vcc_lo, 0, v120
	v_and_b32_e32 v21, v21, v26
	v_not_b32_e32 v26, v117
	v_ashrrev_i32_e32 v25, 31, v25
	s_wait_alu 0xf1ff
	v_xor_b32_e32 v118, s15, v118
	v_cmp_gt_i32_e64 s15, 0, v117
	v_and_b32_e32 v21, v21, v27
	v_ashrrev_i32_e32 v26, 31, v26
	s_wait_alu 0xfffd
	v_xor_b32_e32 v25, vcc_lo, v25
	v_mad_u32_u24 v27, v24, 36, v92
	v_mul_u32_u24_e32 v24, 36, v24
	v_and_b32_e32 v21, v21, v118
	s_wait_alu 0xf1ff
	v_xor_b32_e32 v26, s15, v26
	ds_load_b32 v117, v27 offset:1056
	v_add_nc_u32_e32 v120, v92, v24
	v_and_b32_e32 v21, v21, v25
	; wave barrier
	s_delay_alu instid0(VALU_DEP_1) | instskip(NEXT) | instid1(VALU_DEP_1)
	v_and_b32_e32 v21, v21, v26
	v_mbcnt_lo_u32_b32 v119, v21, 0
	v_cmp_ne_u32_e64 s15, 0, v21
	s_delay_alu instid0(VALU_DEP_2)
	v_cmp_eq_u32_e32 vcc_lo, 0, v119
	s_and_b32 s16, s15, vcc_lo
	s_wait_alu 0xfffe
	s_and_saveexec_b32 s15, s16
	s_cbranch_execz .LBB1848_588
; %bb.587:                              ;   in Loop: Header=BB1848_558 Depth=2
	s_wait_dscnt 0x0
	v_bcnt_u32_b32 v21, v21, v117
	ds_store_b32 v120, v21 offset:1056
.LBB1848_588:                           ;   in Loop: Header=BB1848_558 Depth=2
	s_wait_alu 0xfffe
	s_or_b32 exec_lo, exec_lo, s15
	v_cmp_lt_i16_e32 vcc_lo, -1, v23
	; wave barrier
	s_wait_alu 0xfffd
	v_cndmask_b32_e64 v21, -1, 0xffff8000, vcc_lo
	s_delay_alu instid0(VALU_DEP_1) | instskip(NEXT) | instid1(VALU_DEP_1)
	v_xor_b32_e32 v118, v21, v23
	v_cmp_ne_u16_e32 vcc_lo, 0x7fff, v118
	s_wait_alu 0xfffd
	v_cndmask_b32_e32 v21, 0xffff8000, v118, vcc_lo
	s_delay_alu instid0(VALU_DEP_1) | instskip(NEXT) | instid1(VALU_DEP_1)
	v_and_b32_e32 v21, 0xffff, v21
	v_lshrrev_b32_e32 v21, s45, v21
	s_delay_alu instid0(VALU_DEP_1) | instskip(NEXT) | instid1(VALU_DEP_1)
	v_and_b32_e32 v23, s42, v21
	v_and_b32_e32 v21, 1, v23
	v_lshlrev_b32_e32 v24, 30, v23
	v_lshlrev_b32_e32 v25, 29, v23
	;; [unrolled: 1-line block ×4, first 2 shown]
	v_add_co_u32 v21, s15, v21, -1
	s_wait_alu 0xf1ff
	v_cndmask_b32_e64 v27, 0, 1, s15
	v_not_b32_e32 v124, v24
	v_cmp_gt_i32_e64 s15, 0, v24
	v_not_b32_e32 v24, v25
	v_lshlrev_b32_e32 v122, 26, v23
	v_cmp_ne_u32_e32 vcc_lo, 0, v27
	v_ashrrev_i32_e32 v124, 31, v124
	v_lshlrev_b32_e32 v123, 25, v23
	v_ashrrev_i32_e32 v24, 31, v24
	v_lshlrev_b32_e32 v27, 24, v23
	s_wait_alu 0xfffd
	v_xor_b32_e32 v21, vcc_lo, v21
	v_cmp_gt_i32_e32 vcc_lo, 0, v25
	v_not_b32_e32 v25, v26
	s_wait_alu 0xf1ff
	v_xor_b32_e32 v124, s15, v124
	v_cmp_gt_i32_e64 s15, 0, v26
	v_and_b32_e32 v21, exec_lo, v21
	v_not_b32_e32 v26, v121
	v_ashrrev_i32_e32 v25, 31, v25
	s_wait_alu 0xfffd
	v_xor_b32_e32 v24, vcc_lo, v24
	v_cmp_gt_i32_e32 vcc_lo, 0, v121
	v_and_b32_e32 v21, v21, v124
	v_not_b32_e32 v121, v122
	v_ashrrev_i32_e32 v26, 31, v26
	s_wait_alu 0xf1ff
	v_xor_b32_e32 v25, s15, v25
	v_cmp_gt_i32_e64 s15, 0, v122
	v_and_b32_e32 v21, v21, v24
	v_not_b32_e32 v24, v123
	v_ashrrev_i32_e32 v121, 31, v121
	s_wait_alu 0xfffd
	v_xor_b32_e32 v26, vcc_lo, v26
	v_cmp_gt_i32_e32 vcc_lo, 0, v123
	v_and_b32_e32 v21, v21, v25
	v_not_b32_e32 v25, v27
	v_ashrrev_i32_e32 v24, 31, v24
	s_wait_alu 0xf1ff
	v_xor_b32_e32 v121, s15, v121
	v_cmp_gt_i32_e64 s15, 0, v27
	v_and_b32_e32 v21, v21, v26
	v_ashrrev_i32_e32 v25, 31, v25
	s_wait_alu 0xfffd
	v_xor_b32_e32 v24, vcc_lo, v24
	v_mad_u32_u24 v26, v23, 36, v92
	v_mul_u32_u24_e32 v23, 36, v23
	v_and_b32_e32 v21, v21, v121
	s_wait_alu 0xf1ff
	v_xor_b32_e32 v25, s15, v25
	ds_load_b32 v121, v26 offset:1056
	v_add_nc_u32_e32 v124, v92, v23
	v_and_b32_e32 v21, v21, v24
	; wave barrier
	s_delay_alu instid0(VALU_DEP_1) | instskip(NEXT) | instid1(VALU_DEP_1)
	v_and_b32_e32 v21, v21, v25
	v_mbcnt_lo_u32_b32 v123, v21, 0
	v_cmp_ne_u32_e64 s15, 0, v21
	s_delay_alu instid0(VALU_DEP_2)
	v_cmp_eq_u32_e32 vcc_lo, 0, v123
	s_and_b32 s16, s15, vcc_lo
	s_wait_alu 0xfffe
	s_and_saveexec_b32 s15, s16
	s_cbranch_execz .LBB1848_590
; %bb.589:                              ;   in Loop: Header=BB1848_558 Depth=2
	s_wait_dscnt 0x0
	v_bcnt_u32_b32 v21, v21, v121
	ds_store_b32 v124, v21 offset:1056
.LBB1848_590:                           ;   in Loop: Header=BB1848_558 Depth=2
	s_wait_alu 0xfffe
	s_or_b32 exec_lo, exec_lo, s15
	v_cmp_lt_i16_e32 vcc_lo, -1, v22
	; wave barrier
	s_wait_alu 0xfffd
	v_cndmask_b32_e64 v21, -1, 0xffff8000, vcc_lo
	s_delay_alu instid0(VALU_DEP_1) | instskip(NEXT) | instid1(VALU_DEP_1)
	v_xor_b32_e32 v122, v21, v22
	v_cmp_ne_u16_e32 vcc_lo, 0x7fff, v122
	s_wait_alu 0xfffd
	v_cndmask_b32_e32 v21, 0xffff8000, v122, vcc_lo
	s_delay_alu instid0(VALU_DEP_1) | instskip(NEXT) | instid1(VALU_DEP_1)
	v_and_b32_e32 v21, 0xffff, v21
	v_lshrrev_b32_e32 v21, s45, v21
	s_delay_alu instid0(VALU_DEP_1) | instskip(NEXT) | instid1(VALU_DEP_1)
	v_and_b32_e32 v22, s42, v21
	v_and_b32_e32 v21, 1, v22
	v_lshlrev_b32_e32 v23, 30, v22
	v_lshlrev_b32_e32 v24, 29, v22
	;; [unrolled: 1-line block ×4, first 2 shown]
	v_add_co_u32 v21, s15, v21, -1
	s_wait_alu 0xf1ff
	v_cndmask_b32_e64 v26, 0, 1, s15
	v_not_b32_e32 v127, v23
	v_cmp_gt_i32_e64 s15, 0, v23
	v_not_b32_e32 v23, v24
	v_lshlrev_b32_e32 v125, 26, v22
	v_cmp_ne_u32_e32 vcc_lo, 0, v26
	v_ashrrev_i32_e32 v127, 31, v127
	v_lshlrev_b32_e32 v126, 25, v22
	v_ashrrev_i32_e32 v23, 31, v23
	v_lshlrev_b32_e32 v26, 24, v22
	s_wait_alu 0xfffd
	v_xor_b32_e32 v21, vcc_lo, v21
	v_cmp_gt_i32_e32 vcc_lo, 0, v24
	v_not_b32_e32 v24, v25
	s_wait_alu 0xf1ff
	v_xor_b32_e32 v127, s15, v127
	v_cmp_gt_i32_e64 s15, 0, v25
	v_and_b32_e32 v21, exec_lo, v21
	v_not_b32_e32 v25, v27
	v_ashrrev_i32_e32 v24, 31, v24
	s_wait_alu 0xfffd
	v_xor_b32_e32 v23, vcc_lo, v23
	v_cmp_gt_i32_e32 vcc_lo, 0, v27
	v_and_b32_e32 v21, v21, v127
	v_not_b32_e32 v27, v125
	v_ashrrev_i32_e32 v25, 31, v25
	s_wait_alu 0xf1ff
	v_xor_b32_e32 v24, s15, v24
	v_cmp_gt_i32_e64 s15, 0, v125
	v_and_b32_e32 v21, v21, v23
	v_not_b32_e32 v23, v126
	v_ashrrev_i32_e32 v27, 31, v27
	s_wait_alu 0xfffd
	v_xor_b32_e32 v25, vcc_lo, v25
	v_cmp_gt_i32_e32 vcc_lo, 0, v126
	v_and_b32_e32 v21, v21, v24
	v_not_b32_e32 v24, v26
	v_ashrrev_i32_e32 v23, 31, v23
	s_wait_alu 0xf1ff
	v_xor_b32_e32 v27, s15, v27
	v_cmp_gt_i32_e64 s15, 0, v26
	v_and_b32_e32 v21, v21, v25
	v_ashrrev_i32_e32 v24, 31, v24
	s_wait_alu 0xfffd
	v_xor_b32_e32 v23, vcc_lo, v23
	v_mad_u32_u24 v25, v22, 36, v92
	v_mul_u32_u24_e32 v22, 36, v22
	v_and_b32_e32 v21, v21, v27
	s_wait_alu 0xf1ff
	v_xor_b32_e32 v24, s15, v24
	ds_load_b32 v125, v25 offset:1056
	v_add_nc_u32_e32 v128, v92, v22
	v_and_b32_e32 v21, v21, v23
	; wave barrier
	s_delay_alu instid0(VALU_DEP_1) | instskip(NEXT) | instid1(VALU_DEP_1)
	v_and_b32_e32 v21, v21, v24
	v_mbcnt_lo_u32_b32 v126, v21, 0
	v_cmp_ne_u32_e64 s15, 0, v21
	s_delay_alu instid0(VALU_DEP_2)
	v_cmp_eq_u32_e32 vcc_lo, 0, v126
	s_and_b32 s16, s15, vcc_lo
	s_wait_alu 0xfffe
	s_and_saveexec_b32 s15, s16
	s_cbranch_execz .LBB1848_592
; %bb.591:                              ;   in Loop: Header=BB1848_558 Depth=2
	s_wait_dscnt 0x0
	v_bcnt_u32_b32 v21, v21, v125
	ds_store_b32 v128, v21 offset:1056
.LBB1848_592:                           ;   in Loop: Header=BB1848_558 Depth=2
	s_wait_alu 0xfffe
	s_or_b32 exec_lo, exec_lo, s15
	v_cmp_lt_i16_e32 vcc_lo, -1, v20
	; wave barrier
	s_wait_alu 0xfffd
	v_cndmask_b32_e64 v21, -1, 0xffff8000, vcc_lo
	s_delay_alu instid0(VALU_DEP_1) | instskip(NEXT) | instid1(VALU_DEP_1)
	v_xor_b32_e32 v127, v21, v20
	v_cmp_ne_u16_e32 vcc_lo, 0x7fff, v127
	s_wait_alu 0xfffd
	v_cndmask_b32_e32 v20, 0xffff8000, v127, vcc_lo
	s_delay_alu instid0(VALU_DEP_1) | instskip(NEXT) | instid1(VALU_DEP_1)
	v_and_b32_e32 v20, 0xffff, v20
	v_lshrrev_b32_e32 v20, s45, v20
	s_delay_alu instid0(VALU_DEP_1) | instskip(NEXT) | instid1(VALU_DEP_1)
	v_and_b32_e32 v21, s42, v20
	v_and_b32_e32 v20, 1, v21
	v_lshlrev_b32_e32 v22, 30, v21
	v_lshlrev_b32_e32 v23, 29, v21
	;; [unrolled: 1-line block ×4, first 2 shown]
	v_add_co_u32 v20, s15, v20, -1
	s_wait_alu 0xf1ff
	v_cndmask_b32_e64 v25, 0, 1, s15
	v_not_b32_e32 v130, v22
	v_cmp_gt_i32_e64 s15, 0, v22
	v_not_b32_e32 v22, v23
	v_lshlrev_b32_e32 v27, 26, v21
	v_cmp_ne_u32_e32 vcc_lo, 0, v25
	v_ashrrev_i32_e32 v130, 31, v130
	v_lshlrev_b32_e32 v129, 25, v21
	v_ashrrev_i32_e32 v22, 31, v22
	v_lshlrev_b32_e32 v25, 24, v21
	s_wait_alu 0xfffd
	v_xor_b32_e32 v20, vcc_lo, v20
	v_cmp_gt_i32_e32 vcc_lo, 0, v23
	v_not_b32_e32 v23, v24
	s_wait_alu 0xf1ff
	v_xor_b32_e32 v130, s15, v130
	v_cmp_gt_i32_e64 s15, 0, v24
	v_and_b32_e32 v20, exec_lo, v20
	v_not_b32_e32 v24, v26
	v_ashrrev_i32_e32 v23, 31, v23
	s_wait_alu 0xfffd
	v_xor_b32_e32 v22, vcc_lo, v22
	v_cmp_gt_i32_e32 vcc_lo, 0, v26
	v_and_b32_e32 v20, v20, v130
	v_not_b32_e32 v26, v27
	v_ashrrev_i32_e32 v24, 31, v24
	s_wait_alu 0xf1ff
	v_xor_b32_e32 v23, s15, v23
	v_cmp_gt_i32_e64 s15, 0, v27
	v_and_b32_e32 v20, v20, v22
	v_not_b32_e32 v22, v129
	v_ashrrev_i32_e32 v26, 31, v26
	s_wait_alu 0xfffd
	v_xor_b32_e32 v24, vcc_lo, v24
	v_cmp_gt_i32_e32 vcc_lo, 0, v129
	v_and_b32_e32 v20, v20, v23
	v_not_b32_e32 v23, v25
	v_ashrrev_i32_e32 v22, 31, v22
	s_wait_alu 0xf1ff
	v_xor_b32_e32 v26, s15, v26
	v_cmp_gt_i32_e64 s15, 0, v25
	v_and_b32_e32 v20, v20, v24
	v_ashrrev_i32_e32 v23, 31, v23
	s_wait_alu 0xfffd
	v_xor_b32_e32 v22, vcc_lo, v22
	v_mad_u32_u24 v24, v21, 36, v92
	v_mul_u32_u24_e32 v21, 36, v21
	v_and_b32_e32 v20, v20, v26
	s_wait_alu 0xf1ff
	v_xor_b32_e32 v23, s15, v23
	ds_load_b32 v129, v24 offset:1056
	v_add_nc_u32_e32 v131, v92, v21
	v_and_b32_e32 v20, v20, v22
	; wave barrier
	s_delay_alu instid0(VALU_DEP_1) | instskip(NEXT) | instid1(VALU_DEP_1)
	v_and_b32_e32 v20, v20, v23
	v_mbcnt_lo_u32_b32 v130, v20, 0
	v_cmp_ne_u32_e64 s15, 0, v20
	s_delay_alu instid0(VALU_DEP_2)
	v_cmp_eq_u32_e32 vcc_lo, 0, v130
	s_and_b32 s16, s15, vcc_lo
	s_wait_alu 0xfffe
	s_and_saveexec_b32 s15, s16
	s_cbranch_execz .LBB1848_594
; %bb.593:                              ;   in Loop: Header=BB1848_558 Depth=2
	s_wait_dscnt 0x0
	v_bcnt_u32_b32 v20, v20, v129
	ds_store_b32 v131, v20 offset:1056
.LBB1848_594:                           ;   in Loop: Header=BB1848_558 Depth=2
	s_wait_alu 0xfffe
	s_or_b32 exec_lo, exec_lo, s15
	; wave barrier
	s_wait_loadcnt_dscnt 0x0
	s_barrier_signal -1
	s_barrier_wait -1
	global_inv scope:SCOPE_SE
	ds_load_2addr_b32 v[26:27], v78 offset1:1
	ds_load_2addr_b32 v[24:25], v79 offset1:1
	ds_load_2addr_b32 v[22:23], v80 offset1:1
	ds_load_2addr_b32 v[20:21], v81 offset1:1
	ds_load_b32 v132, v43 offset:1088
	s_wait_dscnt 0x3
	v_add3_u32 v133, v27, v26, v24
	s_wait_dscnt 0x2
	s_delay_alu instid0(VALU_DEP_1) | instskip(SKIP_1) | instid1(VALU_DEP_1)
	v_add3_u32 v133, v133, v25, v22
	s_wait_dscnt 0x1
	v_add3_u32 v133, v133, v23, v20
	s_wait_dscnt 0x0
	s_delay_alu instid0(VALU_DEP_1) | instskip(NEXT) | instid1(VALU_DEP_1)
	v_add3_u32 v132, v133, v21, v132
	v_mov_b32_dpp v133, v132 row_shr:1 row_mask:0xf bank_mask:0xf
	s_delay_alu instid0(VALU_DEP_1) | instskip(NEXT) | instid1(VALU_DEP_1)
	v_cndmask_b32_e64 v133, v133, 0, s0
	v_add_nc_u32_e32 v132, v133, v132
	s_delay_alu instid0(VALU_DEP_1) | instskip(NEXT) | instid1(VALU_DEP_1)
	v_mov_b32_dpp v133, v132 row_shr:2 row_mask:0xf bank_mask:0xf
	v_cndmask_b32_e64 v133, 0, v133, s1
	s_delay_alu instid0(VALU_DEP_1) | instskip(NEXT) | instid1(VALU_DEP_1)
	v_add_nc_u32_e32 v132, v132, v133
	v_mov_b32_dpp v133, v132 row_shr:4 row_mask:0xf bank_mask:0xf
	s_delay_alu instid0(VALU_DEP_1) | instskip(NEXT) | instid1(VALU_DEP_1)
	v_cndmask_b32_e64 v133, 0, v133, s9
	v_add_nc_u32_e32 v132, v132, v133
	s_delay_alu instid0(VALU_DEP_1) | instskip(NEXT) | instid1(VALU_DEP_1)
	v_mov_b32_dpp v133, v132 row_shr:8 row_mask:0xf bank_mask:0xf
	v_cndmask_b32_e64 v133, 0, v133, s10
	s_delay_alu instid0(VALU_DEP_1) | instskip(SKIP_3) | instid1(VALU_DEP_1)
	v_add_nc_u32_e32 v132, v132, v133
	ds_swizzle_b32 v133, v132 offset:swizzle(BROADCAST,32,15)
	s_wait_dscnt 0x0
	v_cndmask_b32_e64 v133, v133, 0, s11
	v_add_nc_u32_e32 v132, v132, v133
	s_and_saveexec_b32 s15, s3
; %bb.595:                              ;   in Loop: Header=BB1848_558 Depth=2
	ds_store_b32 v38, v132 offset:1024
; %bb.596:                              ;   in Loop: Header=BB1848_558 Depth=2
	s_wait_alu 0xfffe
	s_or_b32 exec_lo, exec_lo, s15
	s_wait_loadcnt_dscnt 0x0
	s_barrier_signal -1
	s_barrier_wait -1
	global_inv scope:SCOPE_SE
	s_and_saveexec_b32 s15, s4
	s_cbranch_execz .LBB1848_598
; %bb.597:                              ;   in Loop: Header=BB1848_558 Depth=2
	ds_load_b32 v133, v46 offset:1024
	s_wait_dscnt 0x0
	v_mov_b32_dpp v134, v133 row_shr:1 row_mask:0xf bank_mask:0xf
	s_delay_alu instid0(VALU_DEP_1) | instskip(NEXT) | instid1(VALU_DEP_1)
	v_cndmask_b32_e64 v134, v134, 0, s12
	v_add_nc_u32_e32 v133, v134, v133
	s_delay_alu instid0(VALU_DEP_1) | instskip(NEXT) | instid1(VALU_DEP_1)
	v_mov_b32_dpp v134, v133 row_shr:2 row_mask:0xf bank_mask:0xf
	v_cndmask_b32_e64 v134, 0, v134, s13
	s_delay_alu instid0(VALU_DEP_1) | instskip(NEXT) | instid1(VALU_DEP_1)
	v_add_nc_u32_e32 v133, v133, v134
	v_mov_b32_dpp v134, v133 row_shr:4 row_mask:0xf bank_mask:0xf
	s_delay_alu instid0(VALU_DEP_1) | instskip(NEXT) | instid1(VALU_DEP_1)
	v_cndmask_b32_e64 v134, 0, v134, s14
	v_add_nc_u32_e32 v133, v133, v134
	ds_store_b32 v46, v133 offset:1024
.LBB1848_598:                           ;   in Loop: Header=BB1848_558 Depth=2
	s_wait_alu 0xfffe
	s_or_b32 exec_lo, exec_lo, s15
	v_mov_b32_e32 v133, 0
	s_wait_loadcnt_dscnt 0x0
	s_barrier_signal -1
	s_barrier_wait -1
	global_inv scope:SCOPE_SE
	s_and_saveexec_b32 s15, s5
; %bb.599:                              ;   in Loop: Header=BB1848_558 Depth=2
	ds_load_b32 v133, v38 offset:1020
; %bb.600:                              ;   in Loop: Header=BB1848_558 Depth=2
	s_wait_alu 0xfffe
	s_or_b32 exec_lo, exec_lo, s15
	s_wait_dscnt 0x0
	v_add_nc_u32_e32 v132, v133, v132
	ds_bpermute_b32 v132, v87, v132
	s_wait_dscnt 0x0
	v_cndmask_b32_e64 v132, v132, v133, s8
	s_delay_alu instid0(VALU_DEP_1) | instskip(NEXT) | instid1(VALU_DEP_1)
	v_cndmask_b32_e64 v132, v132, 0, s6
	v_add_nc_u32_e32 v26, v132, v26
	s_delay_alu instid0(VALU_DEP_1) | instskip(NEXT) | instid1(VALU_DEP_1)
	v_add_nc_u32_e32 v27, v26, v27
	v_add_nc_u32_e32 v24, v27, v24
	s_delay_alu instid0(VALU_DEP_1) | instskip(NEXT) | instid1(VALU_DEP_1)
	v_add_nc_u32_e32 v25, v24, v25
	;; [unrolled: 3-line block ×3, first 2 shown]
	v_add_nc_u32_e32 v20, v23, v20
	s_delay_alu instid0(VALU_DEP_1)
	v_add_nc_u32_e32 v21, v20, v21
	ds_store_2addr_b32 v81, v23, v20 offset1:1
	ds_store_2addr_b32 v78, v132, v26 offset1:1
	;; [unrolled: 1-line block ×4, first 2 shown]
	ds_store_b32 v43, v21 offset:1088
	s_wait_loadcnt_dscnt 0x0
	s_barrier_signal -1
	s_barrier_wait -1
	global_inv scope:SCOPE_SE
	ds_load_b32 v23, v104 offset:1056
	ds_load_b32 v24, v108 offset:1056
	;; [unrolled: 1-line block ×9, first 2 shown]
	v_mov_b32_e32 v22, 0x800
	s_and_saveexec_b32 s15, s7
; %bb.601:                              ;   in Loop: Header=BB1848_558 Depth=2
	ds_load_b32 v22, v43 offset:1092
; %bb.602:                              ;   in Loop: Header=BB1848_558 Depth=2
	s_wait_alu 0xfffe
	s_or_b32 exec_lo, exec_lo, s15
	s_wait_loadcnt_dscnt 0x0
	s_barrier_signal -1
	s_barrier_wait -1
	global_inv scope:SCOPE_SE
	s_and_saveexec_b32 s15, s2
	s_cbranch_execz .LBB1848_604
; %bb.603:                              ;   in Loop: Header=BB1848_558 Depth=2
	ds_load_b32 v108, v28
	s_wait_dscnt 0x0
	v_sub_nc_u32_e32 v104, v108, v104
	ds_store_b32 v28, v104
.LBB1848_604:                           ;   in Loop: Header=BB1848_558 Depth=2
	s_wait_alu 0xfffe
	s_or_b32 exec_lo, exec_lo, s15
	v_add_nc_u32_e32 v108, v23, v102
	v_add3_u32 v104, v106, v105, v24
	v_add3_u32 v102, v111, v109, v25
	;; [unrolled: 1-line block ×4, first 2 shown]
	v_lshlrev_b32_e32 v105, 1, v108
	v_lshlrev_b32_e32 v106, 1, v104
	v_add3_u32 v23, v123, v121, v112
	v_lshlrev_b32_e32 v109, 1, v102
	v_add3_u32 v27, v126, v125, v20
	v_add3_u32 v26, v130, v129, v21
	ds_store_b16 v105, v2 offset:1024
	ds_store_b16 v106, v103 offset:1024
	;; [unrolled: 1-line block ×3, first 2 shown]
	v_lshlrev_b32_e32 v2, 1, v25
	v_cmp_lt_u32_e32 vcc_lo, v1, v101
	v_lshlrev_b32_e32 v20, 1, v24
	v_lshlrev_b32_e32 v21, 1, v23
	;; [unrolled: 1-line block ×4, first 2 shown]
	ds_store_b16 v2, v110 offset:1024
	ds_store_b16 v20, v114 offset:1024
	;; [unrolled: 1-line block ×5, first 2 shown]
	s_wait_loadcnt_dscnt 0x0
	s_barrier_signal -1
	s_barrier_wait -1
	global_inv scope:SCOPE_SE
	s_and_saveexec_b32 s16, vcc_lo
	s_cbranch_execnz .LBB1848_641
; %bb.605:                              ;   in Loop: Header=BB1848_558 Depth=2
	s_wait_alu 0xfffe
	s_or_b32 exec_lo, exec_lo, s16
	v_cmp_lt_u32_e64 s15, v29, v101
	s_and_saveexec_b32 s17, s15
	s_cbranch_execnz .LBB1848_642
.LBB1848_606:                           ;   in Loop: Header=BB1848_558 Depth=2
	s_wait_alu 0xfffe
	s_or_b32 exec_lo, exec_lo, s17
	v_cmp_lt_u32_e64 s16, v30, v101
	s_and_saveexec_b32 s18, s16
	s_cbranch_execnz .LBB1848_643
.LBB1848_607:                           ;   in Loop: Header=BB1848_558 Depth=2
	s_wait_alu 0xfffe
	s_or_b32 exec_lo, exec_lo, s18
	v_cmp_lt_u32_e64 s17, v31, v101
	s_and_saveexec_b32 s19, s17
	s_cbranch_execnz .LBB1848_644
.LBB1848_608:                           ;   in Loop: Header=BB1848_558 Depth=2
	s_wait_alu 0xfffe
	s_or_b32 exec_lo, exec_lo, s19
	v_cmp_lt_u32_e64 s18, v34, v101
	s_and_saveexec_b32 s20, s18
	s_cbranch_execnz .LBB1848_645
.LBB1848_609:                           ;   in Loop: Header=BB1848_558 Depth=2
	s_wait_alu 0xfffe
	s_or_b32 exec_lo, exec_lo, s20
	v_cmp_lt_u32_e64 s19, v35, v101
	s_and_saveexec_b32 s21, s19
	s_cbranch_execnz .LBB1848_646
.LBB1848_610:                           ;   in Loop: Header=BB1848_558 Depth=2
	s_wait_alu 0xfffe
	s_or_b32 exec_lo, exec_lo, s21
	v_cmp_lt_u32_e64 s20, v36, v101
	s_and_saveexec_b32 s22, s20
	s_cbranch_execnz .LBB1848_647
.LBB1848_611:                           ;   in Loop: Header=BB1848_558 Depth=2
	s_wait_alu 0xfffe
	s_or_b32 exec_lo, exec_lo, s22
	v_cmp_lt_u32_e64 s21, v37, v101
	s_and_saveexec_b32 s48, s21
	s_cbranch_execz .LBB1848_613
.LBB1848_612:                           ;   in Loop: Header=BB1848_558 Depth=2
	ds_load_u16 v103, v47 offset:4608
	s_wait_dscnt 0x0
	v_cmp_ne_u16_e64 s22, 0x7fff, v103
	s_wait_alu 0xf1ff
	s_delay_alu instid0(VALU_DEP_1) | instskip(SKIP_1) | instid1(VALU_DEP_2)
	v_cndmask_b32_e64 v2, 0xffff8000, v103, s22
	v_cmp_lt_i16_e64 s22, -1, v103
	v_and_b32_e32 v2, 0xffff, v2
	s_wait_alu 0xf1ff
	s_delay_alu instid0(VALU_DEP_2) | instskip(NEXT) | instid1(VALU_DEP_2)
	v_cndmask_b32_e64 v105, 0xffff8000, -1, s22
	v_lshrrev_b32_e32 v2, s45, v2
	s_delay_alu instid0(VALU_DEP_1) | instskip(NEXT) | instid1(VALU_DEP_1)
	v_and_b32_e32 v2, s42, v2
	v_lshlrev_b32_e32 v2, 2, v2
	ds_load_b32 v2, v2
	s_wait_dscnt 0x0
	v_add_nc_u32_e32 v2, v2, v37
	s_delay_alu instid0(VALU_DEP_1) | instskip(SKIP_1) | instid1(VALU_DEP_2)
	v_lshlrev_b64_e32 v[20:21], 1, v[2:3]
	v_xor_b32_e32 v2, v105, v103
	v_add_co_u32 v20, s22, s40, v20
	s_wait_alu 0xf1ff
	s_delay_alu instid0(VALU_DEP_3)
	v_add_co_ci_u32_e64 v21, null, s41, v21, s22
	global_store_b16 v[20:21], v2, off
.LBB1848_613:                           ;   in Loop: Header=BB1848_558 Depth=2
	s_wait_alu 0xfffe
	s_or_b32 exec_lo, exec_lo, s48
	s_lshl_b64 s[48:49], s[30:31], 3
	s_wait_alu 0xfffe
	v_add_co_u32 v20, s22, v88, s48
	s_wait_alu 0xf1ff
	v_add_co_ci_u32_e64 v21, null, s49, v89, s22
	v_cmp_lt_u32_e64 s22, v66, v101
	s_and_saveexec_b32 s30, s22
	s_wait_alu 0xfffe
	s_xor_b32 s22, exec_lo, s30
	s_cbranch_execnz .LBB1848_648
; %bb.614:                              ;   in Loop: Header=BB1848_558 Depth=2
	s_wait_alu 0xfffe
	s_or_b32 exec_lo, exec_lo, s22
	s_delay_alu instid0(SALU_CYCLE_1)
	s_mov_b32 s30, exec_lo
	v_cmpx_lt_u32_e64 v70, v101
	s_cbranch_execnz .LBB1848_649
.LBB1848_615:                           ;   in Loop: Header=BB1848_558 Depth=2
	s_wait_alu 0xfffe
	s_or_b32 exec_lo, exec_lo, s30
	s_delay_alu instid0(SALU_CYCLE_1)
	s_mov_b32 s30, exec_lo
	v_cmpx_lt_u32_e64 v71, v101
	s_cbranch_execnz .LBB1848_650
.LBB1848_616:                           ;   in Loop: Header=BB1848_558 Depth=2
	s_wait_alu 0xfffe
	s_or_b32 exec_lo, exec_lo, s30
	s_delay_alu instid0(SALU_CYCLE_1)
	s_mov_b32 s30, exec_lo
	v_cmpx_lt_u32_e64 v72, v101
	s_cbranch_execnz .LBB1848_651
.LBB1848_617:                           ;   in Loop: Header=BB1848_558 Depth=2
	s_wait_alu 0xfffe
	s_or_b32 exec_lo, exec_lo, s30
	s_delay_alu instid0(SALU_CYCLE_1)
	s_mov_b32 s30, exec_lo
	v_cmpx_lt_u32_e64 v73, v101
	s_cbranch_execnz .LBB1848_652
.LBB1848_618:                           ;   in Loop: Header=BB1848_558 Depth=2
	s_wait_alu 0xfffe
	s_or_b32 exec_lo, exec_lo, s30
	s_delay_alu instid0(SALU_CYCLE_1)
	s_mov_b32 s30, exec_lo
	v_cmpx_lt_u32_e64 v74, v101
	s_cbranch_execnz .LBB1848_653
.LBB1848_619:                           ;   in Loop: Header=BB1848_558 Depth=2
	s_wait_alu 0xfffe
	s_or_b32 exec_lo, exec_lo, s30
	s_delay_alu instid0(SALU_CYCLE_1)
	s_mov_b32 s30, exec_lo
	v_cmpx_lt_u32_e64 v75, v101
	s_cbranch_execnz .LBB1848_654
.LBB1848_620:                           ;   in Loop: Header=BB1848_558 Depth=2
	s_wait_alu 0xfffe
	s_or_b32 exec_lo, exec_lo, s30
	s_delay_alu instid0(SALU_CYCLE_1)
	s_mov_b32 s30, exec_lo
	v_cmpx_lt_u32_e64 v76, v101
	s_cbranch_execnz .LBB1848_655
.LBB1848_621:                           ;   in Loop: Header=BB1848_558 Depth=2
	s_wait_alu 0xfffe
	s_or_b32 exec_lo, exec_lo, s30
	s_and_saveexec_b32 s30, vcc_lo
	s_cbranch_execnz .LBB1848_656
.LBB1848_622:                           ;   in Loop: Header=BB1848_558 Depth=2
	s_wait_alu 0xfffe
	s_or_b32 exec_lo, exec_lo, s30
	s_and_saveexec_b32 s30, s15
	s_cbranch_execnz .LBB1848_657
.LBB1848_623:                           ;   in Loop: Header=BB1848_558 Depth=2
	s_wait_alu 0xfffe
	s_or_b32 exec_lo, exec_lo, s30
	s_and_saveexec_b32 s30, s16
	s_cbranch_execnz .LBB1848_658
.LBB1848_624:                           ;   in Loop: Header=BB1848_558 Depth=2
	s_wait_alu 0xfffe
	s_or_b32 exec_lo, exec_lo, s30
	s_and_saveexec_b32 s30, s17
	s_cbranch_execnz .LBB1848_659
.LBB1848_625:                           ;   in Loop: Header=BB1848_558 Depth=2
	s_wait_alu 0xfffe
	s_or_b32 exec_lo, exec_lo, s30
	s_and_saveexec_b32 s30, s18
	s_cbranch_execnz .LBB1848_660
.LBB1848_626:                           ;   in Loop: Header=BB1848_558 Depth=2
	s_wait_alu 0xfffe
	s_or_b32 exec_lo, exec_lo, s30
	s_and_saveexec_b32 s30, s19
	s_cbranch_execnz .LBB1848_661
.LBB1848_627:                           ;   in Loop: Header=BB1848_558 Depth=2
	s_wait_alu 0xfffe
	s_or_b32 exec_lo, exec_lo, s30
	s_and_saveexec_b32 s30, s20
	s_cbranch_execnz .LBB1848_662
.LBB1848_628:                           ;   in Loop: Header=BB1848_558 Depth=2
	s_wait_alu 0xfffe
	s_or_b32 exec_lo, exec_lo, s30
	s_and_saveexec_b32 s30, s21
	s_cbranch_execz .LBB1848_630
.LBB1848_629:                           ;   in Loop: Header=BB1848_558 Depth=2
	ds_load_u16 v2, v47 offset:4608
	s_wait_dscnt 0x0
	v_cmp_ne_u16_e64 s22, 0x7fff, v2
	s_wait_alu 0xf1ff
	s_delay_alu instid0(VALU_DEP_1) | instskip(NEXT) | instid1(VALU_DEP_1)
	v_cndmask_b32_e64 v2, 0xffff8000, v2, s22
	v_and_b32_e32 v2, 0xffff, v2
	s_delay_alu instid0(VALU_DEP_1) | instskip(NEXT) | instid1(VALU_DEP_1)
	v_lshrrev_b32_e32 v2, s45, v2
	v_and_b32_e32 v93, s42, v2
.LBB1848_630:                           ;   in Loop: Header=BB1848_558 Depth=2
	s_wait_alu 0xfffe
	s_or_b32 exec_lo, exec_lo, s30
	v_lshlrev_b32_e32 v2, 3, v108
	v_lshlrev_b32_e32 v20, 3, v104
	v_lshlrev_b32_e32 v21, 3, v102
	s_wait_loadcnt 0x0
	s_wait_storecnt 0x0
	s_barrier_signal -1
	s_barrier_wait -1
	global_inv scope:SCOPE_SE
	ds_store_b64 v2, v[18:19] offset:1024
	ds_store_b64 v20, v[16:17] offset:1024
	;; [unrolled: 1-line block ×3, first 2 shown]
	v_lshlrev_b32_e32 v2, 3, v25
	v_lshlrev_b32_e32 v20, 3, v24
	;; [unrolled: 1-line block ×5, first 2 shown]
	ds_store_b64 v2, v[12:13] offset:1024
	ds_store_b64 v20, v[10:11] offset:1024
	;; [unrolled: 1-line block ×5, first 2 shown]
	v_add_nc_u32_e32 v20, v47, v48
	s_wait_loadcnt_dscnt 0x0
	s_barrier_signal -1
	s_barrier_wait -1
	global_inv scope:SCOPE_SE
	s_and_saveexec_b32 s22, vcc_lo
	s_cbranch_execnz .LBB1848_663
; %bb.631:                              ;   in Loop: Header=BB1848_558 Depth=2
	s_wait_alu 0xfffe
	s_or_b32 exec_lo, exec_lo, s22
	s_and_saveexec_b32 s22, s15
	s_cbranch_execnz .LBB1848_664
.LBB1848_632:                           ;   in Loop: Header=BB1848_558 Depth=2
	s_wait_alu 0xfffe
	s_or_b32 exec_lo, exec_lo, s22
	s_and_saveexec_b32 s15, s16
	s_cbranch_execnz .LBB1848_665
.LBB1848_633:                           ;   in Loop: Header=BB1848_558 Depth=2
	s_wait_alu 0xfffe
	s_or_b32 exec_lo, exec_lo, s15
	s_and_saveexec_b32 s15, s17
	s_cbranch_execnz .LBB1848_666
.LBB1848_634:                           ;   in Loop: Header=BB1848_558 Depth=2
	s_wait_alu 0xfffe
	s_or_b32 exec_lo, exec_lo, s15
	s_and_saveexec_b32 s15, s18
	s_cbranch_execnz .LBB1848_667
.LBB1848_635:                           ;   in Loop: Header=BB1848_558 Depth=2
	s_wait_alu 0xfffe
	s_or_b32 exec_lo, exec_lo, s15
	s_and_saveexec_b32 s15, s19
	s_cbranch_execnz .LBB1848_668
.LBB1848_636:                           ;   in Loop: Header=BB1848_558 Depth=2
	s_wait_alu 0xfffe
	s_or_b32 exec_lo, exec_lo, s15
	s_and_saveexec_b32 s15, s20
	s_cbranch_execnz .LBB1848_669
.LBB1848_637:                           ;   in Loop: Header=BB1848_558 Depth=2
	s_wait_alu 0xfffe
	s_or_b32 exec_lo, exec_lo, s15
	s_and_saveexec_b32 s15, s21
	s_cbranch_execz .LBB1848_639
.LBB1848_638:                           ;   in Loop: Header=BB1848_558 Depth=2
	v_lshlrev_b32_e32 v2, 2, v93
	ds_load_b32 v2, v2
	ds_load_b64 v[20:21], v20 offset:15360
	s_wait_dscnt 0x1
	v_add_nc_u32_e32 v2, v2, v37
	s_delay_alu instid0(VALU_DEP_1) | instskip(NEXT) | instid1(VALU_DEP_1)
	v_lshlrev_b64_e32 v[23:24], 3, v[2:3]
	v_add_co_u32 v23, vcc_lo, s26, v23
	s_wait_alu 0xfffd
	s_delay_alu instid0(VALU_DEP_2)
	v_add_co_ci_u32_e64 v24, null, s27, v24, vcc_lo
	s_wait_dscnt 0x0
	global_store_b64 v[23:24], v[20:21], off
.LBB1848_639:                           ;   in Loop: Header=BB1848_558 Depth=2
	s_wait_alu 0xfffe
	s_or_b32 exec_lo, exec_lo, s15
	s_wait_loadcnt 0x0
	s_wait_storecnt 0x0
	s_barrier_signal -1
	s_barrier_wait -1
	global_inv scope:SCOPE_SE
	s_and_saveexec_b32 s15, s2
	s_cbranch_execz .LBB1848_557
; %bb.640:                              ;   in Loop: Header=BB1848_558 Depth=2
	ds_load_b32 v2, v28
	s_wait_dscnt 0x0
	v_add_nc_u32_e32 v2, v2, v22
	ds_store_b32 v28, v2
	s_branch .LBB1848_557
.LBB1848_641:                           ;   in Loop: Header=BB1848_558 Depth=2
	ds_load_u16 v103, v47 offset:1024
	s_wait_dscnt 0x0
	v_cmp_ne_u16_e64 s15, 0x7fff, v103
	s_wait_alu 0xf1ff
	s_delay_alu instid0(VALU_DEP_1) | instskip(SKIP_1) | instid1(VALU_DEP_2)
	v_cndmask_b32_e64 v2, 0xffff8000, v103, s15
	v_cmp_lt_i16_e64 s15, -1, v103
	v_and_b32_e32 v2, 0xffff, v2
	s_wait_alu 0xf1ff
	s_delay_alu instid0(VALU_DEP_2) | instskip(NEXT) | instid1(VALU_DEP_2)
	v_cndmask_b32_e64 v105, 0xffff8000, -1, s15
	v_lshrrev_b32_e32 v2, s45, v2
	s_delay_alu instid0(VALU_DEP_1) | instskip(NEXT) | instid1(VALU_DEP_1)
	v_and_b32_e32 v2, s42, v2
	v_lshlrev_b32_e32 v2, 2, v2
	ds_load_b32 v2, v2
	s_wait_dscnt 0x0
	v_add_nc_u32_e32 v2, v2, v1
	s_delay_alu instid0(VALU_DEP_1) | instskip(SKIP_1) | instid1(VALU_DEP_2)
	v_lshlrev_b64_e32 v[20:21], 1, v[2:3]
	v_xor_b32_e32 v2, v105, v103
	v_add_co_u32 v20, s15, s40, v20
	s_wait_alu 0xf1ff
	s_delay_alu instid0(VALU_DEP_3)
	v_add_co_ci_u32_e64 v21, null, s41, v21, s15
	global_store_b16 v[20:21], v2, off
	s_wait_alu 0xfffe
	s_or_b32 exec_lo, exec_lo, s16
	v_cmp_lt_u32_e64 s15, v29, v101
	s_and_saveexec_b32 s17, s15
	s_cbranch_execz .LBB1848_606
.LBB1848_642:                           ;   in Loop: Header=BB1848_558 Depth=2
	ds_load_u16 v103, v47 offset:1536
	s_wait_dscnt 0x0
	v_cmp_ne_u16_e64 s16, 0x7fff, v103
	s_wait_alu 0xf1ff
	s_delay_alu instid0(VALU_DEP_1) | instskip(SKIP_1) | instid1(VALU_DEP_2)
	v_cndmask_b32_e64 v2, 0xffff8000, v103, s16
	v_cmp_lt_i16_e64 s16, -1, v103
	v_and_b32_e32 v2, 0xffff, v2
	s_wait_alu 0xf1ff
	s_delay_alu instid0(VALU_DEP_2) | instskip(NEXT) | instid1(VALU_DEP_2)
	v_cndmask_b32_e64 v105, 0xffff8000, -1, s16
	v_lshrrev_b32_e32 v2, s45, v2
	s_delay_alu instid0(VALU_DEP_1) | instskip(NEXT) | instid1(VALU_DEP_1)
	v_and_b32_e32 v2, s42, v2
	v_lshlrev_b32_e32 v2, 2, v2
	ds_load_b32 v2, v2
	s_wait_dscnt 0x0
	v_add_nc_u32_e32 v2, v2, v29
	s_delay_alu instid0(VALU_DEP_1) | instskip(SKIP_1) | instid1(VALU_DEP_2)
	v_lshlrev_b64_e32 v[20:21], 1, v[2:3]
	v_xor_b32_e32 v2, v105, v103
	v_add_co_u32 v20, s16, s40, v20
	s_wait_alu 0xf1ff
	s_delay_alu instid0(VALU_DEP_3)
	v_add_co_ci_u32_e64 v21, null, s41, v21, s16
	global_store_b16 v[20:21], v2, off
	s_wait_alu 0xfffe
	s_or_b32 exec_lo, exec_lo, s17
	v_cmp_lt_u32_e64 s16, v30, v101
	s_and_saveexec_b32 s18, s16
	s_cbranch_execz .LBB1848_607
.LBB1848_643:                           ;   in Loop: Header=BB1848_558 Depth=2
	ds_load_u16 v103, v47 offset:2048
	s_wait_dscnt 0x0
	v_cmp_ne_u16_e64 s17, 0x7fff, v103
	s_wait_alu 0xf1ff
	s_delay_alu instid0(VALU_DEP_1) | instskip(SKIP_1) | instid1(VALU_DEP_2)
	v_cndmask_b32_e64 v2, 0xffff8000, v103, s17
	v_cmp_lt_i16_e64 s17, -1, v103
	v_and_b32_e32 v2, 0xffff, v2
	s_wait_alu 0xf1ff
	s_delay_alu instid0(VALU_DEP_2) | instskip(NEXT) | instid1(VALU_DEP_2)
	v_cndmask_b32_e64 v105, 0xffff8000, -1, s17
	v_lshrrev_b32_e32 v2, s45, v2
	s_delay_alu instid0(VALU_DEP_1) | instskip(NEXT) | instid1(VALU_DEP_1)
	v_and_b32_e32 v2, s42, v2
	v_lshlrev_b32_e32 v2, 2, v2
	ds_load_b32 v2, v2
	s_wait_dscnt 0x0
	v_add_nc_u32_e32 v2, v2, v30
	s_delay_alu instid0(VALU_DEP_1) | instskip(SKIP_1) | instid1(VALU_DEP_2)
	v_lshlrev_b64_e32 v[20:21], 1, v[2:3]
	v_xor_b32_e32 v2, v105, v103
	v_add_co_u32 v20, s17, s40, v20
	s_wait_alu 0xf1ff
	s_delay_alu instid0(VALU_DEP_3)
	v_add_co_ci_u32_e64 v21, null, s41, v21, s17
	global_store_b16 v[20:21], v2, off
	s_wait_alu 0xfffe
	s_or_b32 exec_lo, exec_lo, s18
	v_cmp_lt_u32_e64 s17, v31, v101
	s_and_saveexec_b32 s19, s17
	s_cbranch_execz .LBB1848_608
.LBB1848_644:                           ;   in Loop: Header=BB1848_558 Depth=2
	ds_load_u16 v103, v47 offset:2560
	s_wait_dscnt 0x0
	v_cmp_ne_u16_e64 s18, 0x7fff, v103
	s_wait_alu 0xf1ff
	s_delay_alu instid0(VALU_DEP_1) | instskip(SKIP_1) | instid1(VALU_DEP_2)
	v_cndmask_b32_e64 v2, 0xffff8000, v103, s18
	v_cmp_lt_i16_e64 s18, -1, v103
	v_and_b32_e32 v2, 0xffff, v2
	s_wait_alu 0xf1ff
	s_delay_alu instid0(VALU_DEP_2) | instskip(NEXT) | instid1(VALU_DEP_2)
	v_cndmask_b32_e64 v105, 0xffff8000, -1, s18
	v_lshrrev_b32_e32 v2, s45, v2
	s_delay_alu instid0(VALU_DEP_1) | instskip(NEXT) | instid1(VALU_DEP_1)
	v_and_b32_e32 v2, s42, v2
	v_lshlrev_b32_e32 v2, 2, v2
	ds_load_b32 v2, v2
	s_wait_dscnt 0x0
	v_add_nc_u32_e32 v2, v2, v31
	s_delay_alu instid0(VALU_DEP_1) | instskip(SKIP_1) | instid1(VALU_DEP_2)
	v_lshlrev_b64_e32 v[20:21], 1, v[2:3]
	v_xor_b32_e32 v2, v105, v103
	v_add_co_u32 v20, s18, s40, v20
	s_wait_alu 0xf1ff
	s_delay_alu instid0(VALU_DEP_3)
	v_add_co_ci_u32_e64 v21, null, s41, v21, s18
	global_store_b16 v[20:21], v2, off
	s_wait_alu 0xfffe
	s_or_b32 exec_lo, exec_lo, s19
	v_cmp_lt_u32_e64 s18, v34, v101
	s_and_saveexec_b32 s20, s18
	s_cbranch_execz .LBB1848_609
.LBB1848_645:                           ;   in Loop: Header=BB1848_558 Depth=2
	ds_load_u16 v103, v47 offset:3072
	s_wait_dscnt 0x0
	v_cmp_ne_u16_e64 s19, 0x7fff, v103
	s_wait_alu 0xf1ff
	s_delay_alu instid0(VALU_DEP_1) | instskip(SKIP_1) | instid1(VALU_DEP_2)
	v_cndmask_b32_e64 v2, 0xffff8000, v103, s19
	v_cmp_lt_i16_e64 s19, -1, v103
	v_and_b32_e32 v2, 0xffff, v2
	s_wait_alu 0xf1ff
	s_delay_alu instid0(VALU_DEP_2) | instskip(NEXT) | instid1(VALU_DEP_2)
	v_cndmask_b32_e64 v105, 0xffff8000, -1, s19
	v_lshrrev_b32_e32 v2, s45, v2
	s_delay_alu instid0(VALU_DEP_1) | instskip(NEXT) | instid1(VALU_DEP_1)
	v_and_b32_e32 v2, s42, v2
	v_lshlrev_b32_e32 v2, 2, v2
	ds_load_b32 v2, v2
	s_wait_dscnt 0x0
	v_add_nc_u32_e32 v2, v2, v34
	s_delay_alu instid0(VALU_DEP_1) | instskip(SKIP_1) | instid1(VALU_DEP_2)
	v_lshlrev_b64_e32 v[20:21], 1, v[2:3]
	v_xor_b32_e32 v2, v105, v103
	v_add_co_u32 v20, s19, s40, v20
	s_wait_alu 0xf1ff
	s_delay_alu instid0(VALU_DEP_3)
	v_add_co_ci_u32_e64 v21, null, s41, v21, s19
	global_store_b16 v[20:21], v2, off
	s_wait_alu 0xfffe
	s_or_b32 exec_lo, exec_lo, s20
	v_cmp_lt_u32_e64 s19, v35, v101
	s_and_saveexec_b32 s21, s19
	s_cbranch_execz .LBB1848_610
.LBB1848_646:                           ;   in Loop: Header=BB1848_558 Depth=2
	ds_load_u16 v103, v47 offset:3584
	s_wait_dscnt 0x0
	v_cmp_ne_u16_e64 s20, 0x7fff, v103
	s_wait_alu 0xf1ff
	s_delay_alu instid0(VALU_DEP_1) | instskip(SKIP_1) | instid1(VALU_DEP_2)
	v_cndmask_b32_e64 v2, 0xffff8000, v103, s20
	v_cmp_lt_i16_e64 s20, -1, v103
	v_and_b32_e32 v2, 0xffff, v2
	s_wait_alu 0xf1ff
	s_delay_alu instid0(VALU_DEP_2) | instskip(NEXT) | instid1(VALU_DEP_2)
	v_cndmask_b32_e64 v105, 0xffff8000, -1, s20
	v_lshrrev_b32_e32 v2, s45, v2
	s_delay_alu instid0(VALU_DEP_1) | instskip(NEXT) | instid1(VALU_DEP_1)
	v_and_b32_e32 v2, s42, v2
	v_lshlrev_b32_e32 v2, 2, v2
	ds_load_b32 v2, v2
	s_wait_dscnt 0x0
	v_add_nc_u32_e32 v2, v2, v35
	s_delay_alu instid0(VALU_DEP_1) | instskip(SKIP_1) | instid1(VALU_DEP_2)
	v_lshlrev_b64_e32 v[20:21], 1, v[2:3]
	v_xor_b32_e32 v2, v105, v103
	v_add_co_u32 v20, s20, s40, v20
	s_wait_alu 0xf1ff
	s_delay_alu instid0(VALU_DEP_3)
	v_add_co_ci_u32_e64 v21, null, s41, v21, s20
	global_store_b16 v[20:21], v2, off
	s_wait_alu 0xfffe
	s_or_b32 exec_lo, exec_lo, s21
	v_cmp_lt_u32_e64 s20, v36, v101
	s_and_saveexec_b32 s22, s20
	s_cbranch_execz .LBB1848_611
.LBB1848_647:                           ;   in Loop: Header=BB1848_558 Depth=2
	ds_load_u16 v103, v47 offset:4096
	s_wait_dscnt 0x0
	v_cmp_ne_u16_e64 s21, 0x7fff, v103
	s_wait_alu 0xf1ff
	s_delay_alu instid0(VALU_DEP_1) | instskip(SKIP_1) | instid1(VALU_DEP_2)
	v_cndmask_b32_e64 v2, 0xffff8000, v103, s21
	v_cmp_lt_i16_e64 s21, -1, v103
	v_and_b32_e32 v2, 0xffff, v2
	s_wait_alu 0xf1ff
	s_delay_alu instid0(VALU_DEP_2) | instskip(NEXT) | instid1(VALU_DEP_2)
	v_cndmask_b32_e64 v105, 0xffff8000, -1, s21
	v_lshrrev_b32_e32 v2, s45, v2
	s_delay_alu instid0(VALU_DEP_1) | instskip(NEXT) | instid1(VALU_DEP_1)
	v_and_b32_e32 v2, s42, v2
	v_lshlrev_b32_e32 v2, 2, v2
	ds_load_b32 v2, v2
	s_wait_dscnt 0x0
	v_add_nc_u32_e32 v2, v2, v36
	s_delay_alu instid0(VALU_DEP_1) | instskip(SKIP_1) | instid1(VALU_DEP_2)
	v_lshlrev_b64_e32 v[20:21], 1, v[2:3]
	v_xor_b32_e32 v2, v105, v103
	v_add_co_u32 v20, s21, s40, v20
	s_wait_alu 0xf1ff
	s_delay_alu instid0(VALU_DEP_3)
	v_add_co_ci_u32_e64 v21, null, s41, v21, s21
	global_store_b16 v[20:21], v2, off
	s_wait_alu 0xfffe
	s_or_b32 exec_lo, exec_lo, s22
	v_cmp_lt_u32_e64 s21, v37, v101
	s_and_saveexec_b32 s48, s21
	s_cbranch_execnz .LBB1848_612
	s_branch .LBB1848_613
.LBB1848_648:                           ;   in Loop: Header=BB1848_558 Depth=2
	global_load_b64 v[18:19], v[20:21], off
	s_wait_alu 0xfffe
	s_or_b32 exec_lo, exec_lo, s22
	s_delay_alu instid0(SALU_CYCLE_1)
	s_mov_b32 s30, exec_lo
	v_cmpx_lt_u32_e64 v70, v101
	s_cbranch_execz .LBB1848_615
.LBB1848_649:                           ;   in Loop: Header=BB1848_558 Depth=2
	global_load_b64 v[16:17], v[20:21], off offset:256
	s_wait_alu 0xfffe
	s_or_b32 exec_lo, exec_lo, s30
	s_delay_alu instid0(SALU_CYCLE_1)
	s_mov_b32 s30, exec_lo
	v_cmpx_lt_u32_e64 v71, v101
	s_cbranch_execz .LBB1848_616
.LBB1848_650:                           ;   in Loop: Header=BB1848_558 Depth=2
	global_load_b64 v[14:15], v[20:21], off offset:512
	s_wait_alu 0xfffe
	s_or_b32 exec_lo, exec_lo, s30
	s_delay_alu instid0(SALU_CYCLE_1)
	s_mov_b32 s30, exec_lo
	v_cmpx_lt_u32_e64 v72, v101
	s_cbranch_execz .LBB1848_617
.LBB1848_651:                           ;   in Loop: Header=BB1848_558 Depth=2
	global_load_b64 v[12:13], v[20:21], off offset:768
	s_wait_alu 0xfffe
	s_or_b32 exec_lo, exec_lo, s30
	s_delay_alu instid0(SALU_CYCLE_1)
	s_mov_b32 s30, exec_lo
	v_cmpx_lt_u32_e64 v73, v101
	s_cbranch_execz .LBB1848_618
.LBB1848_652:                           ;   in Loop: Header=BB1848_558 Depth=2
	global_load_b64 v[10:11], v[20:21], off offset:1024
	s_wait_alu 0xfffe
	s_or_b32 exec_lo, exec_lo, s30
	s_delay_alu instid0(SALU_CYCLE_1)
	s_mov_b32 s30, exec_lo
	v_cmpx_lt_u32_e64 v74, v101
	s_cbranch_execz .LBB1848_619
.LBB1848_653:                           ;   in Loop: Header=BB1848_558 Depth=2
	global_load_b64 v[8:9], v[20:21], off offset:1280
	s_wait_alu 0xfffe
	s_or_b32 exec_lo, exec_lo, s30
	s_delay_alu instid0(SALU_CYCLE_1)
	s_mov_b32 s30, exec_lo
	v_cmpx_lt_u32_e64 v75, v101
	s_cbranch_execz .LBB1848_620
.LBB1848_654:                           ;   in Loop: Header=BB1848_558 Depth=2
	global_load_b64 v[6:7], v[20:21], off offset:1536
	s_wait_alu 0xfffe
	s_or_b32 exec_lo, exec_lo, s30
	s_delay_alu instid0(SALU_CYCLE_1)
	s_mov_b32 s30, exec_lo
	v_cmpx_lt_u32_e64 v76, v101
	s_cbranch_execz .LBB1848_621
.LBB1848_655:                           ;   in Loop: Header=BB1848_558 Depth=2
	global_load_b64 v[4:5], v[20:21], off offset:1792
	s_wait_alu 0xfffe
	s_or_b32 exec_lo, exec_lo, s30
	s_and_saveexec_b32 s30, vcc_lo
	s_cbranch_execz .LBB1848_622
.LBB1848_656:                           ;   in Loop: Header=BB1848_558 Depth=2
	ds_load_u16 v2, v47 offset:1024
	s_wait_dscnt 0x0
	v_cmp_ne_u16_e64 s22, 0x7fff, v2
	s_wait_alu 0xf1ff
	s_delay_alu instid0(VALU_DEP_1) | instskip(NEXT) | instid1(VALU_DEP_1)
	v_cndmask_b32_e64 v2, 0xffff8000, v2, s22
	v_and_b32_e32 v2, 0xffff, v2
	s_delay_alu instid0(VALU_DEP_1) | instskip(NEXT) | instid1(VALU_DEP_1)
	v_lshrrev_b32_e32 v2, s45, v2
	v_and_b32_e32 v100, s42, v2
	s_wait_alu 0xfffe
	s_or_b32 exec_lo, exec_lo, s30
	s_and_saveexec_b32 s30, s15
	s_cbranch_execz .LBB1848_623
.LBB1848_657:                           ;   in Loop: Header=BB1848_558 Depth=2
	ds_load_u16 v2, v47 offset:1536
	s_wait_dscnt 0x0
	v_cmp_ne_u16_e64 s22, 0x7fff, v2
	s_wait_alu 0xf1ff
	s_delay_alu instid0(VALU_DEP_1) | instskip(NEXT) | instid1(VALU_DEP_1)
	v_cndmask_b32_e64 v2, 0xffff8000, v2, s22
	v_and_b32_e32 v2, 0xffff, v2
	s_delay_alu instid0(VALU_DEP_1) | instskip(NEXT) | instid1(VALU_DEP_1)
	v_lshrrev_b32_e32 v2, s45, v2
	v_and_b32_e32 v99, s42, v2
	s_wait_alu 0xfffe
	s_or_b32 exec_lo, exec_lo, s30
	s_and_saveexec_b32 s30, s16
	s_cbranch_execz .LBB1848_624
.LBB1848_658:                           ;   in Loop: Header=BB1848_558 Depth=2
	ds_load_u16 v2, v47 offset:2048
	s_wait_dscnt 0x0
	v_cmp_ne_u16_e64 s22, 0x7fff, v2
	s_wait_alu 0xf1ff
	s_delay_alu instid0(VALU_DEP_1) | instskip(NEXT) | instid1(VALU_DEP_1)
	v_cndmask_b32_e64 v2, 0xffff8000, v2, s22
	v_and_b32_e32 v2, 0xffff, v2
	s_delay_alu instid0(VALU_DEP_1) | instskip(NEXT) | instid1(VALU_DEP_1)
	v_lshrrev_b32_e32 v2, s45, v2
	v_and_b32_e32 v98, s42, v2
	s_wait_alu 0xfffe
	s_or_b32 exec_lo, exec_lo, s30
	s_and_saveexec_b32 s30, s17
	s_cbranch_execz .LBB1848_625
.LBB1848_659:                           ;   in Loop: Header=BB1848_558 Depth=2
	ds_load_u16 v2, v47 offset:2560
	s_wait_dscnt 0x0
	v_cmp_ne_u16_e64 s22, 0x7fff, v2
	s_wait_alu 0xf1ff
	s_delay_alu instid0(VALU_DEP_1) | instskip(NEXT) | instid1(VALU_DEP_1)
	v_cndmask_b32_e64 v2, 0xffff8000, v2, s22
	v_and_b32_e32 v2, 0xffff, v2
	s_delay_alu instid0(VALU_DEP_1) | instskip(NEXT) | instid1(VALU_DEP_1)
	v_lshrrev_b32_e32 v2, s45, v2
	v_and_b32_e32 v97, s42, v2
	s_wait_alu 0xfffe
	s_or_b32 exec_lo, exec_lo, s30
	s_and_saveexec_b32 s30, s18
	s_cbranch_execz .LBB1848_626
.LBB1848_660:                           ;   in Loop: Header=BB1848_558 Depth=2
	ds_load_u16 v2, v47 offset:3072
	s_wait_dscnt 0x0
	v_cmp_ne_u16_e64 s22, 0x7fff, v2
	s_wait_alu 0xf1ff
	s_delay_alu instid0(VALU_DEP_1) | instskip(NEXT) | instid1(VALU_DEP_1)
	v_cndmask_b32_e64 v2, 0xffff8000, v2, s22
	v_and_b32_e32 v2, 0xffff, v2
	s_delay_alu instid0(VALU_DEP_1) | instskip(NEXT) | instid1(VALU_DEP_1)
	v_lshrrev_b32_e32 v2, s45, v2
	v_and_b32_e32 v96, s42, v2
	s_wait_alu 0xfffe
	s_or_b32 exec_lo, exec_lo, s30
	s_and_saveexec_b32 s30, s19
	s_cbranch_execz .LBB1848_627
.LBB1848_661:                           ;   in Loop: Header=BB1848_558 Depth=2
	ds_load_u16 v2, v47 offset:3584
	s_wait_dscnt 0x0
	v_cmp_ne_u16_e64 s22, 0x7fff, v2
	s_wait_alu 0xf1ff
	s_delay_alu instid0(VALU_DEP_1) | instskip(NEXT) | instid1(VALU_DEP_1)
	v_cndmask_b32_e64 v2, 0xffff8000, v2, s22
	v_and_b32_e32 v2, 0xffff, v2
	s_delay_alu instid0(VALU_DEP_1) | instskip(NEXT) | instid1(VALU_DEP_1)
	v_lshrrev_b32_e32 v2, s45, v2
	v_and_b32_e32 v95, s42, v2
	s_wait_alu 0xfffe
	s_or_b32 exec_lo, exec_lo, s30
	s_and_saveexec_b32 s30, s20
	s_cbranch_execz .LBB1848_628
.LBB1848_662:                           ;   in Loop: Header=BB1848_558 Depth=2
	ds_load_u16 v2, v47 offset:4096
	s_wait_dscnt 0x0
	v_cmp_ne_u16_e64 s22, 0x7fff, v2
	s_wait_alu 0xf1ff
	s_delay_alu instid0(VALU_DEP_1) | instskip(NEXT) | instid1(VALU_DEP_1)
	v_cndmask_b32_e64 v2, 0xffff8000, v2, s22
	v_and_b32_e32 v2, 0xffff, v2
	s_delay_alu instid0(VALU_DEP_1) | instskip(NEXT) | instid1(VALU_DEP_1)
	v_lshrrev_b32_e32 v2, s45, v2
	v_and_b32_e32 v94, s42, v2
	s_wait_alu 0xfffe
	s_or_b32 exec_lo, exec_lo, s30
	s_and_saveexec_b32 s30, s21
	s_cbranch_execnz .LBB1848_629
	s_branch .LBB1848_630
.LBB1848_663:                           ;   in Loop: Header=BB1848_558 Depth=2
	v_lshlrev_b32_e32 v2, 2, v100
	ds_load_b32 v2, v2
	ds_load_b64 v[23:24], v20 offset:1024
	s_wait_dscnt 0x1
	v_add_nc_u32_e32 v2, v2, v1
	s_delay_alu instid0(VALU_DEP_1) | instskip(NEXT) | instid1(VALU_DEP_1)
	v_lshlrev_b64_e32 v[25:26], 3, v[2:3]
	v_add_co_u32 v25, vcc_lo, s26, v25
	s_wait_alu 0xfffd
	s_delay_alu instid0(VALU_DEP_2)
	v_add_co_ci_u32_e64 v26, null, s27, v26, vcc_lo
	s_wait_dscnt 0x0
	global_store_b64 v[25:26], v[23:24], off
	s_wait_alu 0xfffe
	s_or_b32 exec_lo, exec_lo, s22
	s_and_saveexec_b32 s22, s15
	s_cbranch_execz .LBB1848_632
.LBB1848_664:                           ;   in Loop: Header=BB1848_558 Depth=2
	v_lshlrev_b32_e32 v2, 2, v99
	ds_load_b32 v2, v2
	ds_load_b64 v[23:24], v20 offset:3072
	s_wait_dscnt 0x1
	v_add_nc_u32_e32 v2, v2, v29
	s_delay_alu instid0(VALU_DEP_1) | instskip(NEXT) | instid1(VALU_DEP_1)
	v_lshlrev_b64_e32 v[25:26], 3, v[2:3]
	v_add_co_u32 v25, vcc_lo, s26, v25
	s_wait_alu 0xfffd
	s_delay_alu instid0(VALU_DEP_2)
	v_add_co_ci_u32_e64 v26, null, s27, v26, vcc_lo
	s_wait_dscnt 0x0
	global_store_b64 v[25:26], v[23:24], off
	s_wait_alu 0xfffe
	s_or_b32 exec_lo, exec_lo, s22
	s_and_saveexec_b32 s15, s16
	s_cbranch_execz .LBB1848_633
.LBB1848_665:                           ;   in Loop: Header=BB1848_558 Depth=2
	v_lshlrev_b32_e32 v2, 2, v98
	ds_load_b32 v2, v2
	ds_load_b64 v[23:24], v20 offset:5120
	s_wait_dscnt 0x1
	v_add_nc_u32_e32 v2, v2, v30
	s_delay_alu instid0(VALU_DEP_1) | instskip(NEXT) | instid1(VALU_DEP_1)
	v_lshlrev_b64_e32 v[25:26], 3, v[2:3]
	v_add_co_u32 v25, vcc_lo, s26, v25
	s_wait_alu 0xfffd
	s_delay_alu instid0(VALU_DEP_2)
	v_add_co_ci_u32_e64 v26, null, s27, v26, vcc_lo
	s_wait_dscnt 0x0
	global_store_b64 v[25:26], v[23:24], off
	s_wait_alu 0xfffe
	s_or_b32 exec_lo, exec_lo, s15
	s_and_saveexec_b32 s15, s17
	s_cbranch_execz .LBB1848_634
.LBB1848_666:                           ;   in Loop: Header=BB1848_558 Depth=2
	v_lshlrev_b32_e32 v2, 2, v97
	ds_load_b32 v2, v2
	ds_load_b64 v[23:24], v20 offset:7168
	s_wait_dscnt 0x1
	v_add_nc_u32_e32 v2, v2, v31
	s_delay_alu instid0(VALU_DEP_1) | instskip(NEXT) | instid1(VALU_DEP_1)
	v_lshlrev_b64_e32 v[25:26], 3, v[2:3]
	v_add_co_u32 v25, vcc_lo, s26, v25
	s_wait_alu 0xfffd
	s_delay_alu instid0(VALU_DEP_2)
	v_add_co_ci_u32_e64 v26, null, s27, v26, vcc_lo
	s_wait_dscnt 0x0
	global_store_b64 v[25:26], v[23:24], off
	s_wait_alu 0xfffe
	s_or_b32 exec_lo, exec_lo, s15
	s_and_saveexec_b32 s15, s18
	s_cbranch_execz .LBB1848_635
.LBB1848_667:                           ;   in Loop: Header=BB1848_558 Depth=2
	v_lshlrev_b32_e32 v2, 2, v96
	ds_load_b32 v2, v2
	ds_load_b64 v[23:24], v20 offset:9216
	s_wait_dscnt 0x1
	v_add_nc_u32_e32 v2, v2, v34
	s_delay_alu instid0(VALU_DEP_1) | instskip(NEXT) | instid1(VALU_DEP_1)
	v_lshlrev_b64_e32 v[25:26], 3, v[2:3]
	v_add_co_u32 v25, vcc_lo, s26, v25
	s_wait_alu 0xfffd
	s_delay_alu instid0(VALU_DEP_2)
	v_add_co_ci_u32_e64 v26, null, s27, v26, vcc_lo
	s_wait_dscnt 0x0
	global_store_b64 v[25:26], v[23:24], off
	s_wait_alu 0xfffe
	s_or_b32 exec_lo, exec_lo, s15
	s_and_saveexec_b32 s15, s19
	s_cbranch_execz .LBB1848_636
.LBB1848_668:                           ;   in Loop: Header=BB1848_558 Depth=2
	v_lshlrev_b32_e32 v2, 2, v95
	ds_load_b32 v2, v2
	ds_load_b64 v[23:24], v20 offset:11264
	s_wait_dscnt 0x1
	v_add_nc_u32_e32 v2, v2, v35
	s_delay_alu instid0(VALU_DEP_1) | instskip(NEXT) | instid1(VALU_DEP_1)
	v_lshlrev_b64_e32 v[25:26], 3, v[2:3]
	v_add_co_u32 v25, vcc_lo, s26, v25
	s_wait_alu 0xfffd
	s_delay_alu instid0(VALU_DEP_2)
	v_add_co_ci_u32_e64 v26, null, s27, v26, vcc_lo
	s_wait_dscnt 0x0
	global_store_b64 v[25:26], v[23:24], off
	s_wait_alu 0xfffe
	s_or_b32 exec_lo, exec_lo, s15
	s_and_saveexec_b32 s15, s20
	s_cbranch_execz .LBB1848_637
.LBB1848_669:                           ;   in Loop: Header=BB1848_558 Depth=2
	v_lshlrev_b32_e32 v2, 2, v94
	ds_load_b32 v2, v2
	ds_load_b64 v[23:24], v20 offset:13312
	s_wait_dscnt 0x1
	v_add_nc_u32_e32 v2, v2, v36
	s_delay_alu instid0(VALU_DEP_1) | instskip(NEXT) | instid1(VALU_DEP_1)
	v_lshlrev_b64_e32 v[25:26], 3, v[2:3]
	v_add_co_u32 v25, vcc_lo, s26, v25
	s_wait_alu 0xfffd
	s_delay_alu instid0(VALU_DEP_2)
	v_add_co_ci_u32_e64 v26, null, s27, v26, vcc_lo
	s_wait_dscnt 0x0
	global_store_b64 v[25:26], v[23:24], off
	s_wait_alu 0xfffe
	s_or_b32 exec_lo, exec_lo, s15
	s_and_saveexec_b32 s15, s21
	s_cbranch_execnz .LBB1848_638
	s_branch .LBB1848_639
.LBB1848_670:
	s_endpgm
	.section	.rodata,"a",@progbits
	.p2align	6, 0x0
	.amdhsa_kernel _ZN7rocprim17ROCPRIM_400000_NS6detail17trampoline_kernelINS0_14default_configENS1_36segmented_radix_sort_config_selectorI6__halflEEZNS1_25segmented_radix_sort_implIS3_Lb0EPKS5_PS5_PKlPlN2at6native12_GLOBAL__N_18offset_tEEE10hipError_tPvRmT1_PNSt15iterator_traitsISL_E10value_typeET2_T3_PNSM_ISR_E10value_typeET4_jRbjT5_SX_jjP12ihipStream_tbEUlT_E_NS1_11comp_targetILNS1_3genE10ELNS1_11target_archE1201ELNS1_3gpuE5ELNS1_3repE0EEENS1_30default_config_static_selectorELNS0_4arch9wavefront6targetE0EEEvSL_
		.amdhsa_group_segment_fixed_size 17440
		.amdhsa_private_segment_fixed_size 0
		.amdhsa_kernarg_size 352
		.amdhsa_user_sgpr_count 2
		.amdhsa_user_sgpr_dispatch_ptr 0
		.amdhsa_user_sgpr_queue_ptr 0
		.amdhsa_user_sgpr_kernarg_segment_ptr 1
		.amdhsa_user_sgpr_dispatch_id 0
		.amdhsa_user_sgpr_private_segment_size 0
		.amdhsa_wavefront_size32 1
		.amdhsa_uses_dynamic_stack 0
		.amdhsa_enable_private_segment 0
		.amdhsa_system_sgpr_workgroup_id_x 1
		.amdhsa_system_sgpr_workgroup_id_y 1
		.amdhsa_system_sgpr_workgroup_id_z 0
		.amdhsa_system_sgpr_workgroup_info 0
		.amdhsa_system_vgpr_workitem_id 2
		.amdhsa_next_free_vgpr 198
		.amdhsa_next_free_sgpr 50
		.amdhsa_reserve_vcc 1
		.amdhsa_float_round_mode_32 0
		.amdhsa_float_round_mode_16_64 0
		.amdhsa_float_denorm_mode_32 3
		.amdhsa_float_denorm_mode_16_64 3
		.amdhsa_fp16_overflow 0
		.amdhsa_workgroup_processor_mode 1
		.amdhsa_memory_ordered 1
		.amdhsa_forward_progress 1
		.amdhsa_inst_pref_size 255
		.amdhsa_round_robin_scheduling 0
		.amdhsa_exception_fp_ieee_invalid_op 0
		.amdhsa_exception_fp_denorm_src 0
		.amdhsa_exception_fp_ieee_div_zero 0
		.amdhsa_exception_fp_ieee_overflow 0
		.amdhsa_exception_fp_ieee_underflow 0
		.amdhsa_exception_fp_ieee_inexact 0
		.amdhsa_exception_int_div_zero 0
	.end_amdhsa_kernel
	.section	.text._ZN7rocprim17ROCPRIM_400000_NS6detail17trampoline_kernelINS0_14default_configENS1_36segmented_radix_sort_config_selectorI6__halflEEZNS1_25segmented_radix_sort_implIS3_Lb0EPKS5_PS5_PKlPlN2at6native12_GLOBAL__N_18offset_tEEE10hipError_tPvRmT1_PNSt15iterator_traitsISL_E10value_typeET2_T3_PNSM_ISR_E10value_typeET4_jRbjT5_SX_jjP12ihipStream_tbEUlT_E_NS1_11comp_targetILNS1_3genE10ELNS1_11target_archE1201ELNS1_3gpuE5ELNS1_3repE0EEENS1_30default_config_static_selectorELNS0_4arch9wavefront6targetE0EEEvSL_,"axG",@progbits,_ZN7rocprim17ROCPRIM_400000_NS6detail17trampoline_kernelINS0_14default_configENS1_36segmented_radix_sort_config_selectorI6__halflEEZNS1_25segmented_radix_sort_implIS3_Lb0EPKS5_PS5_PKlPlN2at6native12_GLOBAL__N_18offset_tEEE10hipError_tPvRmT1_PNSt15iterator_traitsISL_E10value_typeET2_T3_PNSM_ISR_E10value_typeET4_jRbjT5_SX_jjP12ihipStream_tbEUlT_E_NS1_11comp_targetILNS1_3genE10ELNS1_11target_archE1201ELNS1_3gpuE5ELNS1_3repE0EEENS1_30default_config_static_selectorELNS0_4arch9wavefront6targetE0EEEvSL_,comdat
.Lfunc_end1848:
	.size	_ZN7rocprim17ROCPRIM_400000_NS6detail17trampoline_kernelINS0_14default_configENS1_36segmented_radix_sort_config_selectorI6__halflEEZNS1_25segmented_radix_sort_implIS3_Lb0EPKS5_PS5_PKlPlN2at6native12_GLOBAL__N_18offset_tEEE10hipError_tPvRmT1_PNSt15iterator_traitsISL_E10value_typeET2_T3_PNSM_ISR_E10value_typeET4_jRbjT5_SX_jjP12ihipStream_tbEUlT_E_NS1_11comp_targetILNS1_3genE10ELNS1_11target_archE1201ELNS1_3gpuE5ELNS1_3repE0EEENS1_30default_config_static_selectorELNS0_4arch9wavefront6targetE0EEEvSL_, .Lfunc_end1848-_ZN7rocprim17ROCPRIM_400000_NS6detail17trampoline_kernelINS0_14default_configENS1_36segmented_radix_sort_config_selectorI6__halflEEZNS1_25segmented_radix_sort_implIS3_Lb0EPKS5_PS5_PKlPlN2at6native12_GLOBAL__N_18offset_tEEE10hipError_tPvRmT1_PNSt15iterator_traitsISL_E10value_typeET2_T3_PNSM_ISR_E10value_typeET4_jRbjT5_SX_jjP12ihipStream_tbEUlT_E_NS1_11comp_targetILNS1_3genE10ELNS1_11target_archE1201ELNS1_3gpuE5ELNS1_3repE0EEENS1_30default_config_static_selectorELNS0_4arch9wavefront6targetE0EEEvSL_
                                        ; -- End function
	.set _ZN7rocprim17ROCPRIM_400000_NS6detail17trampoline_kernelINS0_14default_configENS1_36segmented_radix_sort_config_selectorI6__halflEEZNS1_25segmented_radix_sort_implIS3_Lb0EPKS5_PS5_PKlPlN2at6native12_GLOBAL__N_18offset_tEEE10hipError_tPvRmT1_PNSt15iterator_traitsISL_E10value_typeET2_T3_PNSM_ISR_E10value_typeET4_jRbjT5_SX_jjP12ihipStream_tbEUlT_E_NS1_11comp_targetILNS1_3genE10ELNS1_11target_archE1201ELNS1_3gpuE5ELNS1_3repE0EEENS1_30default_config_static_selectorELNS0_4arch9wavefront6targetE0EEEvSL_.num_vgpr, max(135, .L_ZN7rocprim17ROCPRIM_400000_NS6detail40segmented_radix_sort_single_block_helperI6__halflLj256ELj8ELb0EE4sortIPKS3_PS3_PKlPlEEbT_T0_T1_T2_jjjjRNS4_12storage_typeE.num_vgpr)
	.set _ZN7rocprim17ROCPRIM_400000_NS6detail17trampoline_kernelINS0_14default_configENS1_36segmented_radix_sort_config_selectorI6__halflEEZNS1_25segmented_radix_sort_implIS3_Lb0EPKS5_PS5_PKlPlN2at6native12_GLOBAL__N_18offset_tEEE10hipError_tPvRmT1_PNSt15iterator_traitsISL_E10value_typeET2_T3_PNSM_ISR_E10value_typeET4_jRbjT5_SX_jjP12ihipStream_tbEUlT_E_NS1_11comp_targetILNS1_3genE10ELNS1_11target_archE1201ELNS1_3gpuE5ELNS1_3repE0EEENS1_30default_config_static_selectorELNS0_4arch9wavefront6targetE0EEEvSL_.num_agpr, max(0, .L_ZN7rocprim17ROCPRIM_400000_NS6detail40segmented_radix_sort_single_block_helperI6__halflLj256ELj8ELb0EE4sortIPKS3_PS3_PKlPlEEbT_T0_T1_T2_jjjjRNS4_12storage_typeE.num_agpr)
	.set _ZN7rocprim17ROCPRIM_400000_NS6detail17trampoline_kernelINS0_14default_configENS1_36segmented_radix_sort_config_selectorI6__halflEEZNS1_25segmented_radix_sort_implIS3_Lb0EPKS5_PS5_PKlPlN2at6native12_GLOBAL__N_18offset_tEEE10hipError_tPvRmT1_PNSt15iterator_traitsISL_E10value_typeET2_T3_PNSM_ISR_E10value_typeET4_jRbjT5_SX_jjP12ihipStream_tbEUlT_E_NS1_11comp_targetILNS1_3genE10ELNS1_11target_archE1201ELNS1_3gpuE5ELNS1_3repE0EEENS1_30default_config_static_selectorELNS0_4arch9wavefront6targetE0EEEvSL_.numbered_sgpr, max(50, .L_ZN7rocprim17ROCPRIM_400000_NS6detail40segmented_radix_sort_single_block_helperI6__halflLj256ELj8ELb0EE4sortIPKS3_PS3_PKlPlEEbT_T0_T1_T2_jjjjRNS4_12storage_typeE.numbered_sgpr)
	.set _ZN7rocprim17ROCPRIM_400000_NS6detail17trampoline_kernelINS0_14default_configENS1_36segmented_radix_sort_config_selectorI6__halflEEZNS1_25segmented_radix_sort_implIS3_Lb0EPKS5_PS5_PKlPlN2at6native12_GLOBAL__N_18offset_tEEE10hipError_tPvRmT1_PNSt15iterator_traitsISL_E10value_typeET2_T3_PNSM_ISR_E10value_typeET4_jRbjT5_SX_jjP12ihipStream_tbEUlT_E_NS1_11comp_targetILNS1_3genE10ELNS1_11target_archE1201ELNS1_3gpuE5ELNS1_3repE0EEENS1_30default_config_static_selectorELNS0_4arch9wavefront6targetE0EEEvSL_.num_named_barrier, max(0, .L_ZN7rocprim17ROCPRIM_400000_NS6detail40segmented_radix_sort_single_block_helperI6__halflLj256ELj8ELb0EE4sortIPKS3_PS3_PKlPlEEbT_T0_T1_T2_jjjjRNS4_12storage_typeE.num_named_barrier)
	.set _ZN7rocprim17ROCPRIM_400000_NS6detail17trampoline_kernelINS0_14default_configENS1_36segmented_radix_sort_config_selectorI6__halflEEZNS1_25segmented_radix_sort_implIS3_Lb0EPKS5_PS5_PKlPlN2at6native12_GLOBAL__N_18offset_tEEE10hipError_tPvRmT1_PNSt15iterator_traitsISL_E10value_typeET2_T3_PNSM_ISR_E10value_typeET4_jRbjT5_SX_jjP12ihipStream_tbEUlT_E_NS1_11comp_targetILNS1_3genE10ELNS1_11target_archE1201ELNS1_3gpuE5ELNS1_3repE0EEENS1_30default_config_static_selectorELNS0_4arch9wavefront6targetE0EEEvSL_.private_seg_size, 0+max(.L_ZN7rocprim17ROCPRIM_400000_NS6detail40segmented_radix_sort_single_block_helperI6__halflLj256ELj8ELb0EE4sortIPKS3_PS3_PKlPlEEbT_T0_T1_T2_jjjjRNS4_12storage_typeE.private_seg_size)
	.set _ZN7rocprim17ROCPRIM_400000_NS6detail17trampoline_kernelINS0_14default_configENS1_36segmented_radix_sort_config_selectorI6__halflEEZNS1_25segmented_radix_sort_implIS3_Lb0EPKS5_PS5_PKlPlN2at6native12_GLOBAL__N_18offset_tEEE10hipError_tPvRmT1_PNSt15iterator_traitsISL_E10value_typeET2_T3_PNSM_ISR_E10value_typeET4_jRbjT5_SX_jjP12ihipStream_tbEUlT_E_NS1_11comp_targetILNS1_3genE10ELNS1_11target_archE1201ELNS1_3gpuE5ELNS1_3repE0EEENS1_30default_config_static_selectorELNS0_4arch9wavefront6targetE0EEEvSL_.uses_vcc, or(1, .L_ZN7rocprim17ROCPRIM_400000_NS6detail40segmented_radix_sort_single_block_helperI6__halflLj256ELj8ELb0EE4sortIPKS3_PS3_PKlPlEEbT_T0_T1_T2_jjjjRNS4_12storage_typeE.uses_vcc)
	.set _ZN7rocprim17ROCPRIM_400000_NS6detail17trampoline_kernelINS0_14default_configENS1_36segmented_radix_sort_config_selectorI6__halflEEZNS1_25segmented_radix_sort_implIS3_Lb0EPKS5_PS5_PKlPlN2at6native12_GLOBAL__N_18offset_tEEE10hipError_tPvRmT1_PNSt15iterator_traitsISL_E10value_typeET2_T3_PNSM_ISR_E10value_typeET4_jRbjT5_SX_jjP12ihipStream_tbEUlT_E_NS1_11comp_targetILNS1_3genE10ELNS1_11target_archE1201ELNS1_3gpuE5ELNS1_3repE0EEENS1_30default_config_static_selectorELNS0_4arch9wavefront6targetE0EEEvSL_.uses_flat_scratch, or(0, .L_ZN7rocprim17ROCPRIM_400000_NS6detail40segmented_radix_sort_single_block_helperI6__halflLj256ELj8ELb0EE4sortIPKS3_PS3_PKlPlEEbT_T0_T1_T2_jjjjRNS4_12storage_typeE.uses_flat_scratch)
	.set _ZN7rocprim17ROCPRIM_400000_NS6detail17trampoline_kernelINS0_14default_configENS1_36segmented_radix_sort_config_selectorI6__halflEEZNS1_25segmented_radix_sort_implIS3_Lb0EPKS5_PS5_PKlPlN2at6native12_GLOBAL__N_18offset_tEEE10hipError_tPvRmT1_PNSt15iterator_traitsISL_E10value_typeET2_T3_PNSM_ISR_E10value_typeET4_jRbjT5_SX_jjP12ihipStream_tbEUlT_E_NS1_11comp_targetILNS1_3genE10ELNS1_11target_archE1201ELNS1_3gpuE5ELNS1_3repE0EEENS1_30default_config_static_selectorELNS0_4arch9wavefront6targetE0EEEvSL_.has_dyn_sized_stack, or(0, .L_ZN7rocprim17ROCPRIM_400000_NS6detail40segmented_radix_sort_single_block_helperI6__halflLj256ELj8ELb0EE4sortIPKS3_PS3_PKlPlEEbT_T0_T1_T2_jjjjRNS4_12storage_typeE.has_dyn_sized_stack)
	.set _ZN7rocprim17ROCPRIM_400000_NS6detail17trampoline_kernelINS0_14default_configENS1_36segmented_radix_sort_config_selectorI6__halflEEZNS1_25segmented_radix_sort_implIS3_Lb0EPKS5_PS5_PKlPlN2at6native12_GLOBAL__N_18offset_tEEE10hipError_tPvRmT1_PNSt15iterator_traitsISL_E10value_typeET2_T3_PNSM_ISR_E10value_typeET4_jRbjT5_SX_jjP12ihipStream_tbEUlT_E_NS1_11comp_targetILNS1_3genE10ELNS1_11target_archE1201ELNS1_3gpuE5ELNS1_3repE0EEENS1_30default_config_static_selectorELNS0_4arch9wavefront6targetE0EEEvSL_.has_recursion, or(0, .L_ZN7rocprim17ROCPRIM_400000_NS6detail40segmented_radix_sort_single_block_helperI6__halflLj256ELj8ELb0EE4sortIPKS3_PS3_PKlPlEEbT_T0_T1_T2_jjjjRNS4_12storage_typeE.has_recursion)
	.set _ZN7rocprim17ROCPRIM_400000_NS6detail17trampoline_kernelINS0_14default_configENS1_36segmented_radix_sort_config_selectorI6__halflEEZNS1_25segmented_radix_sort_implIS3_Lb0EPKS5_PS5_PKlPlN2at6native12_GLOBAL__N_18offset_tEEE10hipError_tPvRmT1_PNSt15iterator_traitsISL_E10value_typeET2_T3_PNSM_ISR_E10value_typeET4_jRbjT5_SX_jjP12ihipStream_tbEUlT_E_NS1_11comp_targetILNS1_3genE10ELNS1_11target_archE1201ELNS1_3gpuE5ELNS1_3repE0EEENS1_30default_config_static_selectorELNS0_4arch9wavefront6targetE0EEEvSL_.has_indirect_call, or(0, .L_ZN7rocprim17ROCPRIM_400000_NS6detail40segmented_radix_sort_single_block_helperI6__halflLj256ELj8ELb0EE4sortIPKS3_PS3_PKlPlEEbT_T0_T1_T2_jjjjRNS4_12storage_typeE.has_indirect_call)
	.section	.AMDGPU.csdata,"",@progbits
; Kernel info:
; codeLenInByte = 48096
; TotalNumSgprs: 52
; NumVgprs: 198
; ScratchSize: 0
; MemoryBound: 0
; FloatMode: 240
; IeeeMode: 1
; LDSByteSize: 17440 bytes/workgroup (compile time only)
; SGPRBlocks: 0
; VGPRBlocks: 24
; NumSGPRsForWavesPerEU: 52
; NumVGPRsForWavesPerEU: 198
; Occupancy: 7
; WaveLimiterHint : 1
; COMPUTE_PGM_RSRC2:SCRATCH_EN: 0
; COMPUTE_PGM_RSRC2:USER_SGPR: 2
; COMPUTE_PGM_RSRC2:TRAP_HANDLER: 0
; COMPUTE_PGM_RSRC2:TGID_X_EN: 1
; COMPUTE_PGM_RSRC2:TGID_Y_EN: 1
; COMPUTE_PGM_RSRC2:TGID_Z_EN: 0
; COMPUTE_PGM_RSRC2:TIDIG_COMP_CNT: 2
	.section	.text._ZN7rocprim17ROCPRIM_400000_NS6detail17trampoline_kernelINS0_14default_configENS1_36segmented_radix_sort_config_selectorI6__halflEEZNS1_25segmented_radix_sort_implIS3_Lb0EPKS5_PS5_PKlPlN2at6native12_GLOBAL__N_18offset_tEEE10hipError_tPvRmT1_PNSt15iterator_traitsISL_E10value_typeET2_T3_PNSM_ISR_E10value_typeET4_jRbjT5_SX_jjP12ihipStream_tbEUlT_E_NS1_11comp_targetILNS1_3genE10ELNS1_11target_archE1200ELNS1_3gpuE4ELNS1_3repE0EEENS1_30default_config_static_selectorELNS0_4arch9wavefront6targetE0EEEvSL_,"axG",@progbits,_ZN7rocprim17ROCPRIM_400000_NS6detail17trampoline_kernelINS0_14default_configENS1_36segmented_radix_sort_config_selectorI6__halflEEZNS1_25segmented_radix_sort_implIS3_Lb0EPKS5_PS5_PKlPlN2at6native12_GLOBAL__N_18offset_tEEE10hipError_tPvRmT1_PNSt15iterator_traitsISL_E10value_typeET2_T3_PNSM_ISR_E10value_typeET4_jRbjT5_SX_jjP12ihipStream_tbEUlT_E_NS1_11comp_targetILNS1_3genE10ELNS1_11target_archE1200ELNS1_3gpuE4ELNS1_3repE0EEENS1_30default_config_static_selectorELNS0_4arch9wavefront6targetE0EEEvSL_,comdat
	.globl	_ZN7rocprim17ROCPRIM_400000_NS6detail17trampoline_kernelINS0_14default_configENS1_36segmented_radix_sort_config_selectorI6__halflEEZNS1_25segmented_radix_sort_implIS3_Lb0EPKS5_PS5_PKlPlN2at6native12_GLOBAL__N_18offset_tEEE10hipError_tPvRmT1_PNSt15iterator_traitsISL_E10value_typeET2_T3_PNSM_ISR_E10value_typeET4_jRbjT5_SX_jjP12ihipStream_tbEUlT_E_NS1_11comp_targetILNS1_3genE10ELNS1_11target_archE1200ELNS1_3gpuE4ELNS1_3repE0EEENS1_30default_config_static_selectorELNS0_4arch9wavefront6targetE0EEEvSL_ ; -- Begin function _ZN7rocprim17ROCPRIM_400000_NS6detail17trampoline_kernelINS0_14default_configENS1_36segmented_radix_sort_config_selectorI6__halflEEZNS1_25segmented_radix_sort_implIS3_Lb0EPKS5_PS5_PKlPlN2at6native12_GLOBAL__N_18offset_tEEE10hipError_tPvRmT1_PNSt15iterator_traitsISL_E10value_typeET2_T3_PNSM_ISR_E10value_typeET4_jRbjT5_SX_jjP12ihipStream_tbEUlT_E_NS1_11comp_targetILNS1_3genE10ELNS1_11target_archE1200ELNS1_3gpuE4ELNS1_3repE0EEENS1_30default_config_static_selectorELNS0_4arch9wavefront6targetE0EEEvSL_
	.p2align	8
	.type	_ZN7rocprim17ROCPRIM_400000_NS6detail17trampoline_kernelINS0_14default_configENS1_36segmented_radix_sort_config_selectorI6__halflEEZNS1_25segmented_radix_sort_implIS3_Lb0EPKS5_PS5_PKlPlN2at6native12_GLOBAL__N_18offset_tEEE10hipError_tPvRmT1_PNSt15iterator_traitsISL_E10value_typeET2_T3_PNSM_ISR_E10value_typeET4_jRbjT5_SX_jjP12ihipStream_tbEUlT_E_NS1_11comp_targetILNS1_3genE10ELNS1_11target_archE1200ELNS1_3gpuE4ELNS1_3repE0EEENS1_30default_config_static_selectorELNS0_4arch9wavefront6targetE0EEEvSL_,@function
_ZN7rocprim17ROCPRIM_400000_NS6detail17trampoline_kernelINS0_14default_configENS1_36segmented_radix_sort_config_selectorI6__halflEEZNS1_25segmented_radix_sort_implIS3_Lb0EPKS5_PS5_PKlPlN2at6native12_GLOBAL__N_18offset_tEEE10hipError_tPvRmT1_PNSt15iterator_traitsISL_E10value_typeET2_T3_PNSM_ISR_E10value_typeET4_jRbjT5_SX_jjP12ihipStream_tbEUlT_E_NS1_11comp_targetILNS1_3genE10ELNS1_11target_archE1200ELNS1_3gpuE4ELNS1_3repE0EEENS1_30default_config_static_selectorELNS0_4arch9wavefront6targetE0EEEvSL_: ; @_ZN7rocprim17ROCPRIM_400000_NS6detail17trampoline_kernelINS0_14default_configENS1_36segmented_radix_sort_config_selectorI6__halflEEZNS1_25segmented_radix_sort_implIS3_Lb0EPKS5_PS5_PKlPlN2at6native12_GLOBAL__N_18offset_tEEE10hipError_tPvRmT1_PNSt15iterator_traitsISL_E10value_typeET2_T3_PNSM_ISR_E10value_typeET4_jRbjT5_SX_jjP12ihipStream_tbEUlT_E_NS1_11comp_targetILNS1_3genE10ELNS1_11target_archE1200ELNS1_3gpuE4ELNS1_3repE0EEENS1_30default_config_static_selectorELNS0_4arch9wavefront6targetE0EEEvSL_
; %bb.0:
	.section	.rodata,"a",@progbits
	.p2align	6, 0x0
	.amdhsa_kernel _ZN7rocprim17ROCPRIM_400000_NS6detail17trampoline_kernelINS0_14default_configENS1_36segmented_radix_sort_config_selectorI6__halflEEZNS1_25segmented_radix_sort_implIS3_Lb0EPKS5_PS5_PKlPlN2at6native12_GLOBAL__N_18offset_tEEE10hipError_tPvRmT1_PNSt15iterator_traitsISL_E10value_typeET2_T3_PNSM_ISR_E10value_typeET4_jRbjT5_SX_jjP12ihipStream_tbEUlT_E_NS1_11comp_targetILNS1_3genE10ELNS1_11target_archE1200ELNS1_3gpuE4ELNS1_3repE0EEENS1_30default_config_static_selectorELNS0_4arch9wavefront6targetE0EEEvSL_
		.amdhsa_group_segment_fixed_size 0
		.amdhsa_private_segment_fixed_size 0
		.amdhsa_kernarg_size 96
		.amdhsa_user_sgpr_count 2
		.amdhsa_user_sgpr_dispatch_ptr 0
		.amdhsa_user_sgpr_queue_ptr 0
		.amdhsa_user_sgpr_kernarg_segment_ptr 1
		.amdhsa_user_sgpr_dispatch_id 0
		.amdhsa_user_sgpr_private_segment_size 0
		.amdhsa_wavefront_size32 1
		.amdhsa_uses_dynamic_stack 0
		.amdhsa_enable_private_segment 0
		.amdhsa_system_sgpr_workgroup_id_x 1
		.amdhsa_system_sgpr_workgroup_id_y 0
		.amdhsa_system_sgpr_workgroup_id_z 0
		.amdhsa_system_sgpr_workgroup_info 0
		.amdhsa_system_vgpr_workitem_id 0
		.amdhsa_next_free_vgpr 1
		.amdhsa_next_free_sgpr 1
		.amdhsa_reserve_vcc 0
		.amdhsa_float_round_mode_32 0
		.amdhsa_float_round_mode_16_64 0
		.amdhsa_float_denorm_mode_32 3
		.amdhsa_float_denorm_mode_16_64 3
		.amdhsa_fp16_overflow 0
		.amdhsa_workgroup_processor_mode 1
		.amdhsa_memory_ordered 1
		.amdhsa_forward_progress 1
		.amdhsa_inst_pref_size 0
		.amdhsa_round_robin_scheduling 0
		.amdhsa_exception_fp_ieee_invalid_op 0
		.amdhsa_exception_fp_denorm_src 0
		.amdhsa_exception_fp_ieee_div_zero 0
		.amdhsa_exception_fp_ieee_overflow 0
		.amdhsa_exception_fp_ieee_underflow 0
		.amdhsa_exception_fp_ieee_inexact 0
		.amdhsa_exception_int_div_zero 0
	.end_amdhsa_kernel
	.section	.text._ZN7rocprim17ROCPRIM_400000_NS6detail17trampoline_kernelINS0_14default_configENS1_36segmented_radix_sort_config_selectorI6__halflEEZNS1_25segmented_radix_sort_implIS3_Lb0EPKS5_PS5_PKlPlN2at6native12_GLOBAL__N_18offset_tEEE10hipError_tPvRmT1_PNSt15iterator_traitsISL_E10value_typeET2_T3_PNSM_ISR_E10value_typeET4_jRbjT5_SX_jjP12ihipStream_tbEUlT_E_NS1_11comp_targetILNS1_3genE10ELNS1_11target_archE1200ELNS1_3gpuE4ELNS1_3repE0EEENS1_30default_config_static_selectorELNS0_4arch9wavefront6targetE0EEEvSL_,"axG",@progbits,_ZN7rocprim17ROCPRIM_400000_NS6detail17trampoline_kernelINS0_14default_configENS1_36segmented_radix_sort_config_selectorI6__halflEEZNS1_25segmented_radix_sort_implIS3_Lb0EPKS5_PS5_PKlPlN2at6native12_GLOBAL__N_18offset_tEEE10hipError_tPvRmT1_PNSt15iterator_traitsISL_E10value_typeET2_T3_PNSM_ISR_E10value_typeET4_jRbjT5_SX_jjP12ihipStream_tbEUlT_E_NS1_11comp_targetILNS1_3genE10ELNS1_11target_archE1200ELNS1_3gpuE4ELNS1_3repE0EEENS1_30default_config_static_selectorELNS0_4arch9wavefront6targetE0EEEvSL_,comdat
.Lfunc_end1849:
	.size	_ZN7rocprim17ROCPRIM_400000_NS6detail17trampoline_kernelINS0_14default_configENS1_36segmented_radix_sort_config_selectorI6__halflEEZNS1_25segmented_radix_sort_implIS3_Lb0EPKS5_PS5_PKlPlN2at6native12_GLOBAL__N_18offset_tEEE10hipError_tPvRmT1_PNSt15iterator_traitsISL_E10value_typeET2_T3_PNSM_ISR_E10value_typeET4_jRbjT5_SX_jjP12ihipStream_tbEUlT_E_NS1_11comp_targetILNS1_3genE10ELNS1_11target_archE1200ELNS1_3gpuE4ELNS1_3repE0EEENS1_30default_config_static_selectorELNS0_4arch9wavefront6targetE0EEEvSL_, .Lfunc_end1849-_ZN7rocprim17ROCPRIM_400000_NS6detail17trampoline_kernelINS0_14default_configENS1_36segmented_radix_sort_config_selectorI6__halflEEZNS1_25segmented_radix_sort_implIS3_Lb0EPKS5_PS5_PKlPlN2at6native12_GLOBAL__N_18offset_tEEE10hipError_tPvRmT1_PNSt15iterator_traitsISL_E10value_typeET2_T3_PNSM_ISR_E10value_typeET4_jRbjT5_SX_jjP12ihipStream_tbEUlT_E_NS1_11comp_targetILNS1_3genE10ELNS1_11target_archE1200ELNS1_3gpuE4ELNS1_3repE0EEENS1_30default_config_static_selectorELNS0_4arch9wavefront6targetE0EEEvSL_
                                        ; -- End function
	.set _ZN7rocprim17ROCPRIM_400000_NS6detail17trampoline_kernelINS0_14default_configENS1_36segmented_radix_sort_config_selectorI6__halflEEZNS1_25segmented_radix_sort_implIS3_Lb0EPKS5_PS5_PKlPlN2at6native12_GLOBAL__N_18offset_tEEE10hipError_tPvRmT1_PNSt15iterator_traitsISL_E10value_typeET2_T3_PNSM_ISR_E10value_typeET4_jRbjT5_SX_jjP12ihipStream_tbEUlT_E_NS1_11comp_targetILNS1_3genE10ELNS1_11target_archE1200ELNS1_3gpuE4ELNS1_3repE0EEENS1_30default_config_static_selectorELNS0_4arch9wavefront6targetE0EEEvSL_.num_vgpr, 0
	.set _ZN7rocprim17ROCPRIM_400000_NS6detail17trampoline_kernelINS0_14default_configENS1_36segmented_radix_sort_config_selectorI6__halflEEZNS1_25segmented_radix_sort_implIS3_Lb0EPKS5_PS5_PKlPlN2at6native12_GLOBAL__N_18offset_tEEE10hipError_tPvRmT1_PNSt15iterator_traitsISL_E10value_typeET2_T3_PNSM_ISR_E10value_typeET4_jRbjT5_SX_jjP12ihipStream_tbEUlT_E_NS1_11comp_targetILNS1_3genE10ELNS1_11target_archE1200ELNS1_3gpuE4ELNS1_3repE0EEENS1_30default_config_static_selectorELNS0_4arch9wavefront6targetE0EEEvSL_.num_agpr, 0
	.set _ZN7rocprim17ROCPRIM_400000_NS6detail17trampoline_kernelINS0_14default_configENS1_36segmented_radix_sort_config_selectorI6__halflEEZNS1_25segmented_radix_sort_implIS3_Lb0EPKS5_PS5_PKlPlN2at6native12_GLOBAL__N_18offset_tEEE10hipError_tPvRmT1_PNSt15iterator_traitsISL_E10value_typeET2_T3_PNSM_ISR_E10value_typeET4_jRbjT5_SX_jjP12ihipStream_tbEUlT_E_NS1_11comp_targetILNS1_3genE10ELNS1_11target_archE1200ELNS1_3gpuE4ELNS1_3repE0EEENS1_30default_config_static_selectorELNS0_4arch9wavefront6targetE0EEEvSL_.numbered_sgpr, 0
	.set _ZN7rocprim17ROCPRIM_400000_NS6detail17trampoline_kernelINS0_14default_configENS1_36segmented_radix_sort_config_selectorI6__halflEEZNS1_25segmented_radix_sort_implIS3_Lb0EPKS5_PS5_PKlPlN2at6native12_GLOBAL__N_18offset_tEEE10hipError_tPvRmT1_PNSt15iterator_traitsISL_E10value_typeET2_T3_PNSM_ISR_E10value_typeET4_jRbjT5_SX_jjP12ihipStream_tbEUlT_E_NS1_11comp_targetILNS1_3genE10ELNS1_11target_archE1200ELNS1_3gpuE4ELNS1_3repE0EEENS1_30default_config_static_selectorELNS0_4arch9wavefront6targetE0EEEvSL_.num_named_barrier, 0
	.set _ZN7rocprim17ROCPRIM_400000_NS6detail17trampoline_kernelINS0_14default_configENS1_36segmented_radix_sort_config_selectorI6__halflEEZNS1_25segmented_radix_sort_implIS3_Lb0EPKS5_PS5_PKlPlN2at6native12_GLOBAL__N_18offset_tEEE10hipError_tPvRmT1_PNSt15iterator_traitsISL_E10value_typeET2_T3_PNSM_ISR_E10value_typeET4_jRbjT5_SX_jjP12ihipStream_tbEUlT_E_NS1_11comp_targetILNS1_3genE10ELNS1_11target_archE1200ELNS1_3gpuE4ELNS1_3repE0EEENS1_30default_config_static_selectorELNS0_4arch9wavefront6targetE0EEEvSL_.private_seg_size, 0
	.set _ZN7rocprim17ROCPRIM_400000_NS6detail17trampoline_kernelINS0_14default_configENS1_36segmented_radix_sort_config_selectorI6__halflEEZNS1_25segmented_radix_sort_implIS3_Lb0EPKS5_PS5_PKlPlN2at6native12_GLOBAL__N_18offset_tEEE10hipError_tPvRmT1_PNSt15iterator_traitsISL_E10value_typeET2_T3_PNSM_ISR_E10value_typeET4_jRbjT5_SX_jjP12ihipStream_tbEUlT_E_NS1_11comp_targetILNS1_3genE10ELNS1_11target_archE1200ELNS1_3gpuE4ELNS1_3repE0EEENS1_30default_config_static_selectorELNS0_4arch9wavefront6targetE0EEEvSL_.uses_vcc, 0
	.set _ZN7rocprim17ROCPRIM_400000_NS6detail17trampoline_kernelINS0_14default_configENS1_36segmented_radix_sort_config_selectorI6__halflEEZNS1_25segmented_radix_sort_implIS3_Lb0EPKS5_PS5_PKlPlN2at6native12_GLOBAL__N_18offset_tEEE10hipError_tPvRmT1_PNSt15iterator_traitsISL_E10value_typeET2_T3_PNSM_ISR_E10value_typeET4_jRbjT5_SX_jjP12ihipStream_tbEUlT_E_NS1_11comp_targetILNS1_3genE10ELNS1_11target_archE1200ELNS1_3gpuE4ELNS1_3repE0EEENS1_30default_config_static_selectorELNS0_4arch9wavefront6targetE0EEEvSL_.uses_flat_scratch, 0
	.set _ZN7rocprim17ROCPRIM_400000_NS6detail17trampoline_kernelINS0_14default_configENS1_36segmented_radix_sort_config_selectorI6__halflEEZNS1_25segmented_radix_sort_implIS3_Lb0EPKS5_PS5_PKlPlN2at6native12_GLOBAL__N_18offset_tEEE10hipError_tPvRmT1_PNSt15iterator_traitsISL_E10value_typeET2_T3_PNSM_ISR_E10value_typeET4_jRbjT5_SX_jjP12ihipStream_tbEUlT_E_NS1_11comp_targetILNS1_3genE10ELNS1_11target_archE1200ELNS1_3gpuE4ELNS1_3repE0EEENS1_30default_config_static_selectorELNS0_4arch9wavefront6targetE0EEEvSL_.has_dyn_sized_stack, 0
	.set _ZN7rocprim17ROCPRIM_400000_NS6detail17trampoline_kernelINS0_14default_configENS1_36segmented_radix_sort_config_selectorI6__halflEEZNS1_25segmented_radix_sort_implIS3_Lb0EPKS5_PS5_PKlPlN2at6native12_GLOBAL__N_18offset_tEEE10hipError_tPvRmT1_PNSt15iterator_traitsISL_E10value_typeET2_T3_PNSM_ISR_E10value_typeET4_jRbjT5_SX_jjP12ihipStream_tbEUlT_E_NS1_11comp_targetILNS1_3genE10ELNS1_11target_archE1200ELNS1_3gpuE4ELNS1_3repE0EEENS1_30default_config_static_selectorELNS0_4arch9wavefront6targetE0EEEvSL_.has_recursion, 0
	.set _ZN7rocprim17ROCPRIM_400000_NS6detail17trampoline_kernelINS0_14default_configENS1_36segmented_radix_sort_config_selectorI6__halflEEZNS1_25segmented_radix_sort_implIS3_Lb0EPKS5_PS5_PKlPlN2at6native12_GLOBAL__N_18offset_tEEE10hipError_tPvRmT1_PNSt15iterator_traitsISL_E10value_typeET2_T3_PNSM_ISR_E10value_typeET4_jRbjT5_SX_jjP12ihipStream_tbEUlT_E_NS1_11comp_targetILNS1_3genE10ELNS1_11target_archE1200ELNS1_3gpuE4ELNS1_3repE0EEENS1_30default_config_static_selectorELNS0_4arch9wavefront6targetE0EEEvSL_.has_indirect_call, 0
	.section	.AMDGPU.csdata,"",@progbits
; Kernel info:
; codeLenInByte = 0
; TotalNumSgprs: 0
; NumVgprs: 0
; ScratchSize: 0
; MemoryBound: 0
; FloatMode: 240
; IeeeMode: 1
; LDSByteSize: 0 bytes/workgroup (compile time only)
; SGPRBlocks: 0
; VGPRBlocks: 0
; NumSGPRsForWavesPerEU: 1
; NumVGPRsForWavesPerEU: 1
; Occupancy: 16
; WaveLimiterHint : 0
; COMPUTE_PGM_RSRC2:SCRATCH_EN: 0
; COMPUTE_PGM_RSRC2:USER_SGPR: 2
; COMPUTE_PGM_RSRC2:TRAP_HANDLER: 0
; COMPUTE_PGM_RSRC2:TGID_X_EN: 1
; COMPUTE_PGM_RSRC2:TGID_Y_EN: 0
; COMPUTE_PGM_RSRC2:TGID_Z_EN: 0
; COMPUTE_PGM_RSRC2:TIDIG_COMP_CNT: 0
	.section	.text._ZN7rocprim17ROCPRIM_400000_NS6detail17trampoline_kernelINS0_14default_configENS1_36segmented_radix_sort_config_selectorI6__halflEEZNS1_25segmented_radix_sort_implIS3_Lb0EPKS5_PS5_PKlPlN2at6native12_GLOBAL__N_18offset_tEEE10hipError_tPvRmT1_PNSt15iterator_traitsISL_E10value_typeET2_T3_PNSM_ISR_E10value_typeET4_jRbjT5_SX_jjP12ihipStream_tbEUlT_E_NS1_11comp_targetILNS1_3genE9ELNS1_11target_archE1100ELNS1_3gpuE3ELNS1_3repE0EEENS1_30default_config_static_selectorELNS0_4arch9wavefront6targetE0EEEvSL_,"axG",@progbits,_ZN7rocprim17ROCPRIM_400000_NS6detail17trampoline_kernelINS0_14default_configENS1_36segmented_radix_sort_config_selectorI6__halflEEZNS1_25segmented_radix_sort_implIS3_Lb0EPKS5_PS5_PKlPlN2at6native12_GLOBAL__N_18offset_tEEE10hipError_tPvRmT1_PNSt15iterator_traitsISL_E10value_typeET2_T3_PNSM_ISR_E10value_typeET4_jRbjT5_SX_jjP12ihipStream_tbEUlT_E_NS1_11comp_targetILNS1_3genE9ELNS1_11target_archE1100ELNS1_3gpuE3ELNS1_3repE0EEENS1_30default_config_static_selectorELNS0_4arch9wavefront6targetE0EEEvSL_,comdat
	.globl	_ZN7rocprim17ROCPRIM_400000_NS6detail17trampoline_kernelINS0_14default_configENS1_36segmented_radix_sort_config_selectorI6__halflEEZNS1_25segmented_radix_sort_implIS3_Lb0EPKS5_PS5_PKlPlN2at6native12_GLOBAL__N_18offset_tEEE10hipError_tPvRmT1_PNSt15iterator_traitsISL_E10value_typeET2_T3_PNSM_ISR_E10value_typeET4_jRbjT5_SX_jjP12ihipStream_tbEUlT_E_NS1_11comp_targetILNS1_3genE9ELNS1_11target_archE1100ELNS1_3gpuE3ELNS1_3repE0EEENS1_30default_config_static_selectorELNS0_4arch9wavefront6targetE0EEEvSL_ ; -- Begin function _ZN7rocprim17ROCPRIM_400000_NS6detail17trampoline_kernelINS0_14default_configENS1_36segmented_radix_sort_config_selectorI6__halflEEZNS1_25segmented_radix_sort_implIS3_Lb0EPKS5_PS5_PKlPlN2at6native12_GLOBAL__N_18offset_tEEE10hipError_tPvRmT1_PNSt15iterator_traitsISL_E10value_typeET2_T3_PNSM_ISR_E10value_typeET4_jRbjT5_SX_jjP12ihipStream_tbEUlT_E_NS1_11comp_targetILNS1_3genE9ELNS1_11target_archE1100ELNS1_3gpuE3ELNS1_3repE0EEENS1_30default_config_static_selectorELNS0_4arch9wavefront6targetE0EEEvSL_
	.p2align	8
	.type	_ZN7rocprim17ROCPRIM_400000_NS6detail17trampoline_kernelINS0_14default_configENS1_36segmented_radix_sort_config_selectorI6__halflEEZNS1_25segmented_radix_sort_implIS3_Lb0EPKS5_PS5_PKlPlN2at6native12_GLOBAL__N_18offset_tEEE10hipError_tPvRmT1_PNSt15iterator_traitsISL_E10value_typeET2_T3_PNSM_ISR_E10value_typeET4_jRbjT5_SX_jjP12ihipStream_tbEUlT_E_NS1_11comp_targetILNS1_3genE9ELNS1_11target_archE1100ELNS1_3gpuE3ELNS1_3repE0EEENS1_30default_config_static_selectorELNS0_4arch9wavefront6targetE0EEEvSL_,@function
_ZN7rocprim17ROCPRIM_400000_NS6detail17trampoline_kernelINS0_14default_configENS1_36segmented_radix_sort_config_selectorI6__halflEEZNS1_25segmented_radix_sort_implIS3_Lb0EPKS5_PS5_PKlPlN2at6native12_GLOBAL__N_18offset_tEEE10hipError_tPvRmT1_PNSt15iterator_traitsISL_E10value_typeET2_T3_PNSM_ISR_E10value_typeET4_jRbjT5_SX_jjP12ihipStream_tbEUlT_E_NS1_11comp_targetILNS1_3genE9ELNS1_11target_archE1100ELNS1_3gpuE3ELNS1_3repE0EEENS1_30default_config_static_selectorELNS0_4arch9wavefront6targetE0EEEvSL_: ; @_ZN7rocprim17ROCPRIM_400000_NS6detail17trampoline_kernelINS0_14default_configENS1_36segmented_radix_sort_config_selectorI6__halflEEZNS1_25segmented_radix_sort_implIS3_Lb0EPKS5_PS5_PKlPlN2at6native12_GLOBAL__N_18offset_tEEE10hipError_tPvRmT1_PNSt15iterator_traitsISL_E10value_typeET2_T3_PNSM_ISR_E10value_typeET4_jRbjT5_SX_jjP12ihipStream_tbEUlT_E_NS1_11comp_targetILNS1_3genE9ELNS1_11target_archE1100ELNS1_3gpuE3ELNS1_3repE0EEENS1_30default_config_static_selectorELNS0_4arch9wavefront6targetE0EEEvSL_
; %bb.0:
	.section	.rodata,"a",@progbits
	.p2align	6, 0x0
	.amdhsa_kernel _ZN7rocprim17ROCPRIM_400000_NS6detail17trampoline_kernelINS0_14default_configENS1_36segmented_radix_sort_config_selectorI6__halflEEZNS1_25segmented_radix_sort_implIS3_Lb0EPKS5_PS5_PKlPlN2at6native12_GLOBAL__N_18offset_tEEE10hipError_tPvRmT1_PNSt15iterator_traitsISL_E10value_typeET2_T3_PNSM_ISR_E10value_typeET4_jRbjT5_SX_jjP12ihipStream_tbEUlT_E_NS1_11comp_targetILNS1_3genE9ELNS1_11target_archE1100ELNS1_3gpuE3ELNS1_3repE0EEENS1_30default_config_static_selectorELNS0_4arch9wavefront6targetE0EEEvSL_
		.amdhsa_group_segment_fixed_size 0
		.amdhsa_private_segment_fixed_size 0
		.amdhsa_kernarg_size 96
		.amdhsa_user_sgpr_count 2
		.amdhsa_user_sgpr_dispatch_ptr 0
		.amdhsa_user_sgpr_queue_ptr 0
		.amdhsa_user_sgpr_kernarg_segment_ptr 1
		.amdhsa_user_sgpr_dispatch_id 0
		.amdhsa_user_sgpr_private_segment_size 0
		.amdhsa_wavefront_size32 1
		.amdhsa_uses_dynamic_stack 0
		.amdhsa_enable_private_segment 0
		.amdhsa_system_sgpr_workgroup_id_x 1
		.amdhsa_system_sgpr_workgroup_id_y 0
		.amdhsa_system_sgpr_workgroup_id_z 0
		.amdhsa_system_sgpr_workgroup_info 0
		.amdhsa_system_vgpr_workitem_id 0
		.amdhsa_next_free_vgpr 1
		.amdhsa_next_free_sgpr 1
		.amdhsa_reserve_vcc 0
		.amdhsa_float_round_mode_32 0
		.amdhsa_float_round_mode_16_64 0
		.amdhsa_float_denorm_mode_32 3
		.amdhsa_float_denorm_mode_16_64 3
		.amdhsa_fp16_overflow 0
		.amdhsa_workgroup_processor_mode 1
		.amdhsa_memory_ordered 1
		.amdhsa_forward_progress 1
		.amdhsa_inst_pref_size 0
		.amdhsa_round_robin_scheduling 0
		.amdhsa_exception_fp_ieee_invalid_op 0
		.amdhsa_exception_fp_denorm_src 0
		.amdhsa_exception_fp_ieee_div_zero 0
		.amdhsa_exception_fp_ieee_overflow 0
		.amdhsa_exception_fp_ieee_underflow 0
		.amdhsa_exception_fp_ieee_inexact 0
		.amdhsa_exception_int_div_zero 0
	.end_amdhsa_kernel
	.section	.text._ZN7rocprim17ROCPRIM_400000_NS6detail17trampoline_kernelINS0_14default_configENS1_36segmented_radix_sort_config_selectorI6__halflEEZNS1_25segmented_radix_sort_implIS3_Lb0EPKS5_PS5_PKlPlN2at6native12_GLOBAL__N_18offset_tEEE10hipError_tPvRmT1_PNSt15iterator_traitsISL_E10value_typeET2_T3_PNSM_ISR_E10value_typeET4_jRbjT5_SX_jjP12ihipStream_tbEUlT_E_NS1_11comp_targetILNS1_3genE9ELNS1_11target_archE1100ELNS1_3gpuE3ELNS1_3repE0EEENS1_30default_config_static_selectorELNS0_4arch9wavefront6targetE0EEEvSL_,"axG",@progbits,_ZN7rocprim17ROCPRIM_400000_NS6detail17trampoline_kernelINS0_14default_configENS1_36segmented_radix_sort_config_selectorI6__halflEEZNS1_25segmented_radix_sort_implIS3_Lb0EPKS5_PS5_PKlPlN2at6native12_GLOBAL__N_18offset_tEEE10hipError_tPvRmT1_PNSt15iterator_traitsISL_E10value_typeET2_T3_PNSM_ISR_E10value_typeET4_jRbjT5_SX_jjP12ihipStream_tbEUlT_E_NS1_11comp_targetILNS1_3genE9ELNS1_11target_archE1100ELNS1_3gpuE3ELNS1_3repE0EEENS1_30default_config_static_selectorELNS0_4arch9wavefront6targetE0EEEvSL_,comdat
.Lfunc_end1850:
	.size	_ZN7rocprim17ROCPRIM_400000_NS6detail17trampoline_kernelINS0_14default_configENS1_36segmented_radix_sort_config_selectorI6__halflEEZNS1_25segmented_radix_sort_implIS3_Lb0EPKS5_PS5_PKlPlN2at6native12_GLOBAL__N_18offset_tEEE10hipError_tPvRmT1_PNSt15iterator_traitsISL_E10value_typeET2_T3_PNSM_ISR_E10value_typeET4_jRbjT5_SX_jjP12ihipStream_tbEUlT_E_NS1_11comp_targetILNS1_3genE9ELNS1_11target_archE1100ELNS1_3gpuE3ELNS1_3repE0EEENS1_30default_config_static_selectorELNS0_4arch9wavefront6targetE0EEEvSL_, .Lfunc_end1850-_ZN7rocprim17ROCPRIM_400000_NS6detail17trampoline_kernelINS0_14default_configENS1_36segmented_radix_sort_config_selectorI6__halflEEZNS1_25segmented_radix_sort_implIS3_Lb0EPKS5_PS5_PKlPlN2at6native12_GLOBAL__N_18offset_tEEE10hipError_tPvRmT1_PNSt15iterator_traitsISL_E10value_typeET2_T3_PNSM_ISR_E10value_typeET4_jRbjT5_SX_jjP12ihipStream_tbEUlT_E_NS1_11comp_targetILNS1_3genE9ELNS1_11target_archE1100ELNS1_3gpuE3ELNS1_3repE0EEENS1_30default_config_static_selectorELNS0_4arch9wavefront6targetE0EEEvSL_
                                        ; -- End function
	.set _ZN7rocprim17ROCPRIM_400000_NS6detail17trampoline_kernelINS0_14default_configENS1_36segmented_radix_sort_config_selectorI6__halflEEZNS1_25segmented_radix_sort_implIS3_Lb0EPKS5_PS5_PKlPlN2at6native12_GLOBAL__N_18offset_tEEE10hipError_tPvRmT1_PNSt15iterator_traitsISL_E10value_typeET2_T3_PNSM_ISR_E10value_typeET4_jRbjT5_SX_jjP12ihipStream_tbEUlT_E_NS1_11comp_targetILNS1_3genE9ELNS1_11target_archE1100ELNS1_3gpuE3ELNS1_3repE0EEENS1_30default_config_static_selectorELNS0_4arch9wavefront6targetE0EEEvSL_.num_vgpr, 0
	.set _ZN7rocprim17ROCPRIM_400000_NS6detail17trampoline_kernelINS0_14default_configENS1_36segmented_radix_sort_config_selectorI6__halflEEZNS1_25segmented_radix_sort_implIS3_Lb0EPKS5_PS5_PKlPlN2at6native12_GLOBAL__N_18offset_tEEE10hipError_tPvRmT1_PNSt15iterator_traitsISL_E10value_typeET2_T3_PNSM_ISR_E10value_typeET4_jRbjT5_SX_jjP12ihipStream_tbEUlT_E_NS1_11comp_targetILNS1_3genE9ELNS1_11target_archE1100ELNS1_3gpuE3ELNS1_3repE0EEENS1_30default_config_static_selectorELNS0_4arch9wavefront6targetE0EEEvSL_.num_agpr, 0
	.set _ZN7rocprim17ROCPRIM_400000_NS6detail17trampoline_kernelINS0_14default_configENS1_36segmented_radix_sort_config_selectorI6__halflEEZNS1_25segmented_radix_sort_implIS3_Lb0EPKS5_PS5_PKlPlN2at6native12_GLOBAL__N_18offset_tEEE10hipError_tPvRmT1_PNSt15iterator_traitsISL_E10value_typeET2_T3_PNSM_ISR_E10value_typeET4_jRbjT5_SX_jjP12ihipStream_tbEUlT_E_NS1_11comp_targetILNS1_3genE9ELNS1_11target_archE1100ELNS1_3gpuE3ELNS1_3repE0EEENS1_30default_config_static_selectorELNS0_4arch9wavefront6targetE0EEEvSL_.numbered_sgpr, 0
	.set _ZN7rocprim17ROCPRIM_400000_NS6detail17trampoline_kernelINS0_14default_configENS1_36segmented_radix_sort_config_selectorI6__halflEEZNS1_25segmented_radix_sort_implIS3_Lb0EPKS5_PS5_PKlPlN2at6native12_GLOBAL__N_18offset_tEEE10hipError_tPvRmT1_PNSt15iterator_traitsISL_E10value_typeET2_T3_PNSM_ISR_E10value_typeET4_jRbjT5_SX_jjP12ihipStream_tbEUlT_E_NS1_11comp_targetILNS1_3genE9ELNS1_11target_archE1100ELNS1_3gpuE3ELNS1_3repE0EEENS1_30default_config_static_selectorELNS0_4arch9wavefront6targetE0EEEvSL_.num_named_barrier, 0
	.set _ZN7rocprim17ROCPRIM_400000_NS6detail17trampoline_kernelINS0_14default_configENS1_36segmented_radix_sort_config_selectorI6__halflEEZNS1_25segmented_radix_sort_implIS3_Lb0EPKS5_PS5_PKlPlN2at6native12_GLOBAL__N_18offset_tEEE10hipError_tPvRmT1_PNSt15iterator_traitsISL_E10value_typeET2_T3_PNSM_ISR_E10value_typeET4_jRbjT5_SX_jjP12ihipStream_tbEUlT_E_NS1_11comp_targetILNS1_3genE9ELNS1_11target_archE1100ELNS1_3gpuE3ELNS1_3repE0EEENS1_30default_config_static_selectorELNS0_4arch9wavefront6targetE0EEEvSL_.private_seg_size, 0
	.set _ZN7rocprim17ROCPRIM_400000_NS6detail17trampoline_kernelINS0_14default_configENS1_36segmented_radix_sort_config_selectorI6__halflEEZNS1_25segmented_radix_sort_implIS3_Lb0EPKS5_PS5_PKlPlN2at6native12_GLOBAL__N_18offset_tEEE10hipError_tPvRmT1_PNSt15iterator_traitsISL_E10value_typeET2_T3_PNSM_ISR_E10value_typeET4_jRbjT5_SX_jjP12ihipStream_tbEUlT_E_NS1_11comp_targetILNS1_3genE9ELNS1_11target_archE1100ELNS1_3gpuE3ELNS1_3repE0EEENS1_30default_config_static_selectorELNS0_4arch9wavefront6targetE0EEEvSL_.uses_vcc, 0
	.set _ZN7rocprim17ROCPRIM_400000_NS6detail17trampoline_kernelINS0_14default_configENS1_36segmented_radix_sort_config_selectorI6__halflEEZNS1_25segmented_radix_sort_implIS3_Lb0EPKS5_PS5_PKlPlN2at6native12_GLOBAL__N_18offset_tEEE10hipError_tPvRmT1_PNSt15iterator_traitsISL_E10value_typeET2_T3_PNSM_ISR_E10value_typeET4_jRbjT5_SX_jjP12ihipStream_tbEUlT_E_NS1_11comp_targetILNS1_3genE9ELNS1_11target_archE1100ELNS1_3gpuE3ELNS1_3repE0EEENS1_30default_config_static_selectorELNS0_4arch9wavefront6targetE0EEEvSL_.uses_flat_scratch, 0
	.set _ZN7rocprim17ROCPRIM_400000_NS6detail17trampoline_kernelINS0_14default_configENS1_36segmented_radix_sort_config_selectorI6__halflEEZNS1_25segmented_radix_sort_implIS3_Lb0EPKS5_PS5_PKlPlN2at6native12_GLOBAL__N_18offset_tEEE10hipError_tPvRmT1_PNSt15iterator_traitsISL_E10value_typeET2_T3_PNSM_ISR_E10value_typeET4_jRbjT5_SX_jjP12ihipStream_tbEUlT_E_NS1_11comp_targetILNS1_3genE9ELNS1_11target_archE1100ELNS1_3gpuE3ELNS1_3repE0EEENS1_30default_config_static_selectorELNS0_4arch9wavefront6targetE0EEEvSL_.has_dyn_sized_stack, 0
	.set _ZN7rocprim17ROCPRIM_400000_NS6detail17trampoline_kernelINS0_14default_configENS1_36segmented_radix_sort_config_selectorI6__halflEEZNS1_25segmented_radix_sort_implIS3_Lb0EPKS5_PS5_PKlPlN2at6native12_GLOBAL__N_18offset_tEEE10hipError_tPvRmT1_PNSt15iterator_traitsISL_E10value_typeET2_T3_PNSM_ISR_E10value_typeET4_jRbjT5_SX_jjP12ihipStream_tbEUlT_E_NS1_11comp_targetILNS1_3genE9ELNS1_11target_archE1100ELNS1_3gpuE3ELNS1_3repE0EEENS1_30default_config_static_selectorELNS0_4arch9wavefront6targetE0EEEvSL_.has_recursion, 0
	.set _ZN7rocprim17ROCPRIM_400000_NS6detail17trampoline_kernelINS0_14default_configENS1_36segmented_radix_sort_config_selectorI6__halflEEZNS1_25segmented_radix_sort_implIS3_Lb0EPKS5_PS5_PKlPlN2at6native12_GLOBAL__N_18offset_tEEE10hipError_tPvRmT1_PNSt15iterator_traitsISL_E10value_typeET2_T3_PNSM_ISR_E10value_typeET4_jRbjT5_SX_jjP12ihipStream_tbEUlT_E_NS1_11comp_targetILNS1_3genE9ELNS1_11target_archE1100ELNS1_3gpuE3ELNS1_3repE0EEENS1_30default_config_static_selectorELNS0_4arch9wavefront6targetE0EEEvSL_.has_indirect_call, 0
	.section	.AMDGPU.csdata,"",@progbits
; Kernel info:
; codeLenInByte = 0
; TotalNumSgprs: 0
; NumVgprs: 0
; ScratchSize: 0
; MemoryBound: 0
; FloatMode: 240
; IeeeMode: 1
; LDSByteSize: 0 bytes/workgroup (compile time only)
; SGPRBlocks: 0
; VGPRBlocks: 0
; NumSGPRsForWavesPerEU: 1
; NumVGPRsForWavesPerEU: 1
; Occupancy: 16
; WaveLimiterHint : 0
; COMPUTE_PGM_RSRC2:SCRATCH_EN: 0
; COMPUTE_PGM_RSRC2:USER_SGPR: 2
; COMPUTE_PGM_RSRC2:TRAP_HANDLER: 0
; COMPUTE_PGM_RSRC2:TGID_X_EN: 1
; COMPUTE_PGM_RSRC2:TGID_Y_EN: 0
; COMPUTE_PGM_RSRC2:TGID_Z_EN: 0
; COMPUTE_PGM_RSRC2:TIDIG_COMP_CNT: 0
	.section	.text._ZN7rocprim17ROCPRIM_400000_NS6detail17trampoline_kernelINS0_14default_configENS1_36segmented_radix_sort_config_selectorI6__halflEEZNS1_25segmented_radix_sort_implIS3_Lb0EPKS5_PS5_PKlPlN2at6native12_GLOBAL__N_18offset_tEEE10hipError_tPvRmT1_PNSt15iterator_traitsISL_E10value_typeET2_T3_PNSM_ISR_E10value_typeET4_jRbjT5_SX_jjP12ihipStream_tbEUlT_E_NS1_11comp_targetILNS1_3genE8ELNS1_11target_archE1030ELNS1_3gpuE2ELNS1_3repE0EEENS1_30default_config_static_selectorELNS0_4arch9wavefront6targetE0EEEvSL_,"axG",@progbits,_ZN7rocprim17ROCPRIM_400000_NS6detail17trampoline_kernelINS0_14default_configENS1_36segmented_radix_sort_config_selectorI6__halflEEZNS1_25segmented_radix_sort_implIS3_Lb0EPKS5_PS5_PKlPlN2at6native12_GLOBAL__N_18offset_tEEE10hipError_tPvRmT1_PNSt15iterator_traitsISL_E10value_typeET2_T3_PNSM_ISR_E10value_typeET4_jRbjT5_SX_jjP12ihipStream_tbEUlT_E_NS1_11comp_targetILNS1_3genE8ELNS1_11target_archE1030ELNS1_3gpuE2ELNS1_3repE0EEENS1_30default_config_static_selectorELNS0_4arch9wavefront6targetE0EEEvSL_,comdat
	.globl	_ZN7rocprim17ROCPRIM_400000_NS6detail17trampoline_kernelINS0_14default_configENS1_36segmented_radix_sort_config_selectorI6__halflEEZNS1_25segmented_radix_sort_implIS3_Lb0EPKS5_PS5_PKlPlN2at6native12_GLOBAL__N_18offset_tEEE10hipError_tPvRmT1_PNSt15iterator_traitsISL_E10value_typeET2_T3_PNSM_ISR_E10value_typeET4_jRbjT5_SX_jjP12ihipStream_tbEUlT_E_NS1_11comp_targetILNS1_3genE8ELNS1_11target_archE1030ELNS1_3gpuE2ELNS1_3repE0EEENS1_30default_config_static_selectorELNS0_4arch9wavefront6targetE0EEEvSL_ ; -- Begin function _ZN7rocprim17ROCPRIM_400000_NS6detail17trampoline_kernelINS0_14default_configENS1_36segmented_radix_sort_config_selectorI6__halflEEZNS1_25segmented_radix_sort_implIS3_Lb0EPKS5_PS5_PKlPlN2at6native12_GLOBAL__N_18offset_tEEE10hipError_tPvRmT1_PNSt15iterator_traitsISL_E10value_typeET2_T3_PNSM_ISR_E10value_typeET4_jRbjT5_SX_jjP12ihipStream_tbEUlT_E_NS1_11comp_targetILNS1_3genE8ELNS1_11target_archE1030ELNS1_3gpuE2ELNS1_3repE0EEENS1_30default_config_static_selectorELNS0_4arch9wavefront6targetE0EEEvSL_
	.p2align	8
	.type	_ZN7rocprim17ROCPRIM_400000_NS6detail17trampoline_kernelINS0_14default_configENS1_36segmented_radix_sort_config_selectorI6__halflEEZNS1_25segmented_radix_sort_implIS3_Lb0EPKS5_PS5_PKlPlN2at6native12_GLOBAL__N_18offset_tEEE10hipError_tPvRmT1_PNSt15iterator_traitsISL_E10value_typeET2_T3_PNSM_ISR_E10value_typeET4_jRbjT5_SX_jjP12ihipStream_tbEUlT_E_NS1_11comp_targetILNS1_3genE8ELNS1_11target_archE1030ELNS1_3gpuE2ELNS1_3repE0EEENS1_30default_config_static_selectorELNS0_4arch9wavefront6targetE0EEEvSL_,@function
_ZN7rocprim17ROCPRIM_400000_NS6detail17trampoline_kernelINS0_14default_configENS1_36segmented_radix_sort_config_selectorI6__halflEEZNS1_25segmented_radix_sort_implIS3_Lb0EPKS5_PS5_PKlPlN2at6native12_GLOBAL__N_18offset_tEEE10hipError_tPvRmT1_PNSt15iterator_traitsISL_E10value_typeET2_T3_PNSM_ISR_E10value_typeET4_jRbjT5_SX_jjP12ihipStream_tbEUlT_E_NS1_11comp_targetILNS1_3genE8ELNS1_11target_archE1030ELNS1_3gpuE2ELNS1_3repE0EEENS1_30default_config_static_selectorELNS0_4arch9wavefront6targetE0EEEvSL_: ; @_ZN7rocprim17ROCPRIM_400000_NS6detail17trampoline_kernelINS0_14default_configENS1_36segmented_radix_sort_config_selectorI6__halflEEZNS1_25segmented_radix_sort_implIS3_Lb0EPKS5_PS5_PKlPlN2at6native12_GLOBAL__N_18offset_tEEE10hipError_tPvRmT1_PNSt15iterator_traitsISL_E10value_typeET2_T3_PNSM_ISR_E10value_typeET4_jRbjT5_SX_jjP12ihipStream_tbEUlT_E_NS1_11comp_targetILNS1_3genE8ELNS1_11target_archE1030ELNS1_3gpuE2ELNS1_3repE0EEENS1_30default_config_static_selectorELNS0_4arch9wavefront6targetE0EEEvSL_
; %bb.0:
	.section	.rodata,"a",@progbits
	.p2align	6, 0x0
	.amdhsa_kernel _ZN7rocprim17ROCPRIM_400000_NS6detail17trampoline_kernelINS0_14default_configENS1_36segmented_radix_sort_config_selectorI6__halflEEZNS1_25segmented_radix_sort_implIS3_Lb0EPKS5_PS5_PKlPlN2at6native12_GLOBAL__N_18offset_tEEE10hipError_tPvRmT1_PNSt15iterator_traitsISL_E10value_typeET2_T3_PNSM_ISR_E10value_typeET4_jRbjT5_SX_jjP12ihipStream_tbEUlT_E_NS1_11comp_targetILNS1_3genE8ELNS1_11target_archE1030ELNS1_3gpuE2ELNS1_3repE0EEENS1_30default_config_static_selectorELNS0_4arch9wavefront6targetE0EEEvSL_
		.amdhsa_group_segment_fixed_size 0
		.amdhsa_private_segment_fixed_size 0
		.amdhsa_kernarg_size 96
		.amdhsa_user_sgpr_count 2
		.amdhsa_user_sgpr_dispatch_ptr 0
		.amdhsa_user_sgpr_queue_ptr 0
		.amdhsa_user_sgpr_kernarg_segment_ptr 1
		.amdhsa_user_sgpr_dispatch_id 0
		.amdhsa_user_sgpr_private_segment_size 0
		.amdhsa_wavefront_size32 1
		.amdhsa_uses_dynamic_stack 0
		.amdhsa_enable_private_segment 0
		.amdhsa_system_sgpr_workgroup_id_x 1
		.amdhsa_system_sgpr_workgroup_id_y 0
		.amdhsa_system_sgpr_workgroup_id_z 0
		.amdhsa_system_sgpr_workgroup_info 0
		.amdhsa_system_vgpr_workitem_id 0
		.amdhsa_next_free_vgpr 1
		.amdhsa_next_free_sgpr 1
		.amdhsa_reserve_vcc 0
		.amdhsa_float_round_mode_32 0
		.amdhsa_float_round_mode_16_64 0
		.amdhsa_float_denorm_mode_32 3
		.amdhsa_float_denorm_mode_16_64 3
		.amdhsa_fp16_overflow 0
		.amdhsa_workgroup_processor_mode 1
		.amdhsa_memory_ordered 1
		.amdhsa_forward_progress 1
		.amdhsa_inst_pref_size 0
		.amdhsa_round_robin_scheduling 0
		.amdhsa_exception_fp_ieee_invalid_op 0
		.amdhsa_exception_fp_denorm_src 0
		.amdhsa_exception_fp_ieee_div_zero 0
		.amdhsa_exception_fp_ieee_overflow 0
		.amdhsa_exception_fp_ieee_underflow 0
		.amdhsa_exception_fp_ieee_inexact 0
		.amdhsa_exception_int_div_zero 0
	.end_amdhsa_kernel
	.section	.text._ZN7rocprim17ROCPRIM_400000_NS6detail17trampoline_kernelINS0_14default_configENS1_36segmented_radix_sort_config_selectorI6__halflEEZNS1_25segmented_radix_sort_implIS3_Lb0EPKS5_PS5_PKlPlN2at6native12_GLOBAL__N_18offset_tEEE10hipError_tPvRmT1_PNSt15iterator_traitsISL_E10value_typeET2_T3_PNSM_ISR_E10value_typeET4_jRbjT5_SX_jjP12ihipStream_tbEUlT_E_NS1_11comp_targetILNS1_3genE8ELNS1_11target_archE1030ELNS1_3gpuE2ELNS1_3repE0EEENS1_30default_config_static_selectorELNS0_4arch9wavefront6targetE0EEEvSL_,"axG",@progbits,_ZN7rocprim17ROCPRIM_400000_NS6detail17trampoline_kernelINS0_14default_configENS1_36segmented_radix_sort_config_selectorI6__halflEEZNS1_25segmented_radix_sort_implIS3_Lb0EPKS5_PS5_PKlPlN2at6native12_GLOBAL__N_18offset_tEEE10hipError_tPvRmT1_PNSt15iterator_traitsISL_E10value_typeET2_T3_PNSM_ISR_E10value_typeET4_jRbjT5_SX_jjP12ihipStream_tbEUlT_E_NS1_11comp_targetILNS1_3genE8ELNS1_11target_archE1030ELNS1_3gpuE2ELNS1_3repE0EEENS1_30default_config_static_selectorELNS0_4arch9wavefront6targetE0EEEvSL_,comdat
.Lfunc_end1851:
	.size	_ZN7rocprim17ROCPRIM_400000_NS6detail17trampoline_kernelINS0_14default_configENS1_36segmented_radix_sort_config_selectorI6__halflEEZNS1_25segmented_radix_sort_implIS3_Lb0EPKS5_PS5_PKlPlN2at6native12_GLOBAL__N_18offset_tEEE10hipError_tPvRmT1_PNSt15iterator_traitsISL_E10value_typeET2_T3_PNSM_ISR_E10value_typeET4_jRbjT5_SX_jjP12ihipStream_tbEUlT_E_NS1_11comp_targetILNS1_3genE8ELNS1_11target_archE1030ELNS1_3gpuE2ELNS1_3repE0EEENS1_30default_config_static_selectorELNS0_4arch9wavefront6targetE0EEEvSL_, .Lfunc_end1851-_ZN7rocprim17ROCPRIM_400000_NS6detail17trampoline_kernelINS0_14default_configENS1_36segmented_radix_sort_config_selectorI6__halflEEZNS1_25segmented_radix_sort_implIS3_Lb0EPKS5_PS5_PKlPlN2at6native12_GLOBAL__N_18offset_tEEE10hipError_tPvRmT1_PNSt15iterator_traitsISL_E10value_typeET2_T3_PNSM_ISR_E10value_typeET4_jRbjT5_SX_jjP12ihipStream_tbEUlT_E_NS1_11comp_targetILNS1_3genE8ELNS1_11target_archE1030ELNS1_3gpuE2ELNS1_3repE0EEENS1_30default_config_static_selectorELNS0_4arch9wavefront6targetE0EEEvSL_
                                        ; -- End function
	.set _ZN7rocprim17ROCPRIM_400000_NS6detail17trampoline_kernelINS0_14default_configENS1_36segmented_radix_sort_config_selectorI6__halflEEZNS1_25segmented_radix_sort_implIS3_Lb0EPKS5_PS5_PKlPlN2at6native12_GLOBAL__N_18offset_tEEE10hipError_tPvRmT1_PNSt15iterator_traitsISL_E10value_typeET2_T3_PNSM_ISR_E10value_typeET4_jRbjT5_SX_jjP12ihipStream_tbEUlT_E_NS1_11comp_targetILNS1_3genE8ELNS1_11target_archE1030ELNS1_3gpuE2ELNS1_3repE0EEENS1_30default_config_static_selectorELNS0_4arch9wavefront6targetE0EEEvSL_.num_vgpr, 0
	.set _ZN7rocprim17ROCPRIM_400000_NS6detail17trampoline_kernelINS0_14default_configENS1_36segmented_radix_sort_config_selectorI6__halflEEZNS1_25segmented_radix_sort_implIS3_Lb0EPKS5_PS5_PKlPlN2at6native12_GLOBAL__N_18offset_tEEE10hipError_tPvRmT1_PNSt15iterator_traitsISL_E10value_typeET2_T3_PNSM_ISR_E10value_typeET4_jRbjT5_SX_jjP12ihipStream_tbEUlT_E_NS1_11comp_targetILNS1_3genE8ELNS1_11target_archE1030ELNS1_3gpuE2ELNS1_3repE0EEENS1_30default_config_static_selectorELNS0_4arch9wavefront6targetE0EEEvSL_.num_agpr, 0
	.set _ZN7rocprim17ROCPRIM_400000_NS6detail17trampoline_kernelINS0_14default_configENS1_36segmented_radix_sort_config_selectorI6__halflEEZNS1_25segmented_radix_sort_implIS3_Lb0EPKS5_PS5_PKlPlN2at6native12_GLOBAL__N_18offset_tEEE10hipError_tPvRmT1_PNSt15iterator_traitsISL_E10value_typeET2_T3_PNSM_ISR_E10value_typeET4_jRbjT5_SX_jjP12ihipStream_tbEUlT_E_NS1_11comp_targetILNS1_3genE8ELNS1_11target_archE1030ELNS1_3gpuE2ELNS1_3repE0EEENS1_30default_config_static_selectorELNS0_4arch9wavefront6targetE0EEEvSL_.numbered_sgpr, 0
	.set _ZN7rocprim17ROCPRIM_400000_NS6detail17trampoline_kernelINS0_14default_configENS1_36segmented_radix_sort_config_selectorI6__halflEEZNS1_25segmented_radix_sort_implIS3_Lb0EPKS5_PS5_PKlPlN2at6native12_GLOBAL__N_18offset_tEEE10hipError_tPvRmT1_PNSt15iterator_traitsISL_E10value_typeET2_T3_PNSM_ISR_E10value_typeET4_jRbjT5_SX_jjP12ihipStream_tbEUlT_E_NS1_11comp_targetILNS1_3genE8ELNS1_11target_archE1030ELNS1_3gpuE2ELNS1_3repE0EEENS1_30default_config_static_selectorELNS0_4arch9wavefront6targetE0EEEvSL_.num_named_barrier, 0
	.set _ZN7rocprim17ROCPRIM_400000_NS6detail17trampoline_kernelINS0_14default_configENS1_36segmented_radix_sort_config_selectorI6__halflEEZNS1_25segmented_radix_sort_implIS3_Lb0EPKS5_PS5_PKlPlN2at6native12_GLOBAL__N_18offset_tEEE10hipError_tPvRmT1_PNSt15iterator_traitsISL_E10value_typeET2_T3_PNSM_ISR_E10value_typeET4_jRbjT5_SX_jjP12ihipStream_tbEUlT_E_NS1_11comp_targetILNS1_3genE8ELNS1_11target_archE1030ELNS1_3gpuE2ELNS1_3repE0EEENS1_30default_config_static_selectorELNS0_4arch9wavefront6targetE0EEEvSL_.private_seg_size, 0
	.set _ZN7rocprim17ROCPRIM_400000_NS6detail17trampoline_kernelINS0_14default_configENS1_36segmented_radix_sort_config_selectorI6__halflEEZNS1_25segmented_radix_sort_implIS3_Lb0EPKS5_PS5_PKlPlN2at6native12_GLOBAL__N_18offset_tEEE10hipError_tPvRmT1_PNSt15iterator_traitsISL_E10value_typeET2_T3_PNSM_ISR_E10value_typeET4_jRbjT5_SX_jjP12ihipStream_tbEUlT_E_NS1_11comp_targetILNS1_3genE8ELNS1_11target_archE1030ELNS1_3gpuE2ELNS1_3repE0EEENS1_30default_config_static_selectorELNS0_4arch9wavefront6targetE0EEEvSL_.uses_vcc, 0
	.set _ZN7rocprim17ROCPRIM_400000_NS6detail17trampoline_kernelINS0_14default_configENS1_36segmented_radix_sort_config_selectorI6__halflEEZNS1_25segmented_radix_sort_implIS3_Lb0EPKS5_PS5_PKlPlN2at6native12_GLOBAL__N_18offset_tEEE10hipError_tPvRmT1_PNSt15iterator_traitsISL_E10value_typeET2_T3_PNSM_ISR_E10value_typeET4_jRbjT5_SX_jjP12ihipStream_tbEUlT_E_NS1_11comp_targetILNS1_3genE8ELNS1_11target_archE1030ELNS1_3gpuE2ELNS1_3repE0EEENS1_30default_config_static_selectorELNS0_4arch9wavefront6targetE0EEEvSL_.uses_flat_scratch, 0
	.set _ZN7rocprim17ROCPRIM_400000_NS6detail17trampoline_kernelINS0_14default_configENS1_36segmented_radix_sort_config_selectorI6__halflEEZNS1_25segmented_radix_sort_implIS3_Lb0EPKS5_PS5_PKlPlN2at6native12_GLOBAL__N_18offset_tEEE10hipError_tPvRmT1_PNSt15iterator_traitsISL_E10value_typeET2_T3_PNSM_ISR_E10value_typeET4_jRbjT5_SX_jjP12ihipStream_tbEUlT_E_NS1_11comp_targetILNS1_3genE8ELNS1_11target_archE1030ELNS1_3gpuE2ELNS1_3repE0EEENS1_30default_config_static_selectorELNS0_4arch9wavefront6targetE0EEEvSL_.has_dyn_sized_stack, 0
	.set _ZN7rocprim17ROCPRIM_400000_NS6detail17trampoline_kernelINS0_14default_configENS1_36segmented_radix_sort_config_selectorI6__halflEEZNS1_25segmented_radix_sort_implIS3_Lb0EPKS5_PS5_PKlPlN2at6native12_GLOBAL__N_18offset_tEEE10hipError_tPvRmT1_PNSt15iterator_traitsISL_E10value_typeET2_T3_PNSM_ISR_E10value_typeET4_jRbjT5_SX_jjP12ihipStream_tbEUlT_E_NS1_11comp_targetILNS1_3genE8ELNS1_11target_archE1030ELNS1_3gpuE2ELNS1_3repE0EEENS1_30default_config_static_selectorELNS0_4arch9wavefront6targetE0EEEvSL_.has_recursion, 0
	.set _ZN7rocprim17ROCPRIM_400000_NS6detail17trampoline_kernelINS0_14default_configENS1_36segmented_radix_sort_config_selectorI6__halflEEZNS1_25segmented_radix_sort_implIS3_Lb0EPKS5_PS5_PKlPlN2at6native12_GLOBAL__N_18offset_tEEE10hipError_tPvRmT1_PNSt15iterator_traitsISL_E10value_typeET2_T3_PNSM_ISR_E10value_typeET4_jRbjT5_SX_jjP12ihipStream_tbEUlT_E_NS1_11comp_targetILNS1_3genE8ELNS1_11target_archE1030ELNS1_3gpuE2ELNS1_3repE0EEENS1_30default_config_static_selectorELNS0_4arch9wavefront6targetE0EEEvSL_.has_indirect_call, 0
	.section	.AMDGPU.csdata,"",@progbits
; Kernel info:
; codeLenInByte = 0
; TotalNumSgprs: 0
; NumVgprs: 0
; ScratchSize: 0
; MemoryBound: 0
; FloatMode: 240
; IeeeMode: 1
; LDSByteSize: 0 bytes/workgroup (compile time only)
; SGPRBlocks: 0
; VGPRBlocks: 0
; NumSGPRsForWavesPerEU: 1
; NumVGPRsForWavesPerEU: 1
; Occupancy: 16
; WaveLimiterHint : 0
; COMPUTE_PGM_RSRC2:SCRATCH_EN: 0
; COMPUTE_PGM_RSRC2:USER_SGPR: 2
; COMPUTE_PGM_RSRC2:TRAP_HANDLER: 0
; COMPUTE_PGM_RSRC2:TGID_X_EN: 1
; COMPUTE_PGM_RSRC2:TGID_Y_EN: 0
; COMPUTE_PGM_RSRC2:TGID_Z_EN: 0
; COMPUTE_PGM_RSRC2:TIDIG_COMP_CNT: 0
	.section	.text._ZN7rocprim17ROCPRIM_400000_NS6detail17trampoline_kernelINS0_14default_configENS1_36segmented_radix_sort_config_selectorI6__halflEEZNS1_25segmented_radix_sort_implIS3_Lb0EPKS5_PS5_PKlPlN2at6native12_GLOBAL__N_18offset_tEEE10hipError_tPvRmT1_PNSt15iterator_traitsISL_E10value_typeET2_T3_PNSM_ISR_E10value_typeET4_jRbjT5_SX_jjP12ihipStream_tbEUlT_E0_NS1_11comp_targetILNS1_3genE0ELNS1_11target_archE4294967295ELNS1_3gpuE0ELNS1_3repE0EEENS1_60segmented_radix_sort_warp_sort_medium_config_static_selectorELNS0_4arch9wavefront6targetE0EEEvSL_,"axG",@progbits,_ZN7rocprim17ROCPRIM_400000_NS6detail17trampoline_kernelINS0_14default_configENS1_36segmented_radix_sort_config_selectorI6__halflEEZNS1_25segmented_radix_sort_implIS3_Lb0EPKS5_PS5_PKlPlN2at6native12_GLOBAL__N_18offset_tEEE10hipError_tPvRmT1_PNSt15iterator_traitsISL_E10value_typeET2_T3_PNSM_ISR_E10value_typeET4_jRbjT5_SX_jjP12ihipStream_tbEUlT_E0_NS1_11comp_targetILNS1_3genE0ELNS1_11target_archE4294967295ELNS1_3gpuE0ELNS1_3repE0EEENS1_60segmented_radix_sort_warp_sort_medium_config_static_selectorELNS0_4arch9wavefront6targetE0EEEvSL_,comdat
	.globl	_ZN7rocprim17ROCPRIM_400000_NS6detail17trampoline_kernelINS0_14default_configENS1_36segmented_radix_sort_config_selectorI6__halflEEZNS1_25segmented_radix_sort_implIS3_Lb0EPKS5_PS5_PKlPlN2at6native12_GLOBAL__N_18offset_tEEE10hipError_tPvRmT1_PNSt15iterator_traitsISL_E10value_typeET2_T3_PNSM_ISR_E10value_typeET4_jRbjT5_SX_jjP12ihipStream_tbEUlT_E0_NS1_11comp_targetILNS1_3genE0ELNS1_11target_archE4294967295ELNS1_3gpuE0ELNS1_3repE0EEENS1_60segmented_radix_sort_warp_sort_medium_config_static_selectorELNS0_4arch9wavefront6targetE0EEEvSL_ ; -- Begin function _ZN7rocprim17ROCPRIM_400000_NS6detail17trampoline_kernelINS0_14default_configENS1_36segmented_radix_sort_config_selectorI6__halflEEZNS1_25segmented_radix_sort_implIS3_Lb0EPKS5_PS5_PKlPlN2at6native12_GLOBAL__N_18offset_tEEE10hipError_tPvRmT1_PNSt15iterator_traitsISL_E10value_typeET2_T3_PNSM_ISR_E10value_typeET4_jRbjT5_SX_jjP12ihipStream_tbEUlT_E0_NS1_11comp_targetILNS1_3genE0ELNS1_11target_archE4294967295ELNS1_3gpuE0ELNS1_3repE0EEENS1_60segmented_radix_sort_warp_sort_medium_config_static_selectorELNS0_4arch9wavefront6targetE0EEEvSL_
	.p2align	8
	.type	_ZN7rocprim17ROCPRIM_400000_NS6detail17trampoline_kernelINS0_14default_configENS1_36segmented_radix_sort_config_selectorI6__halflEEZNS1_25segmented_radix_sort_implIS3_Lb0EPKS5_PS5_PKlPlN2at6native12_GLOBAL__N_18offset_tEEE10hipError_tPvRmT1_PNSt15iterator_traitsISL_E10value_typeET2_T3_PNSM_ISR_E10value_typeET4_jRbjT5_SX_jjP12ihipStream_tbEUlT_E0_NS1_11comp_targetILNS1_3genE0ELNS1_11target_archE4294967295ELNS1_3gpuE0ELNS1_3repE0EEENS1_60segmented_radix_sort_warp_sort_medium_config_static_selectorELNS0_4arch9wavefront6targetE0EEEvSL_,@function
_ZN7rocprim17ROCPRIM_400000_NS6detail17trampoline_kernelINS0_14default_configENS1_36segmented_radix_sort_config_selectorI6__halflEEZNS1_25segmented_radix_sort_implIS3_Lb0EPKS5_PS5_PKlPlN2at6native12_GLOBAL__N_18offset_tEEE10hipError_tPvRmT1_PNSt15iterator_traitsISL_E10value_typeET2_T3_PNSM_ISR_E10value_typeET4_jRbjT5_SX_jjP12ihipStream_tbEUlT_E0_NS1_11comp_targetILNS1_3genE0ELNS1_11target_archE4294967295ELNS1_3gpuE0ELNS1_3repE0EEENS1_60segmented_radix_sort_warp_sort_medium_config_static_selectorELNS0_4arch9wavefront6targetE0EEEvSL_: ; @_ZN7rocprim17ROCPRIM_400000_NS6detail17trampoline_kernelINS0_14default_configENS1_36segmented_radix_sort_config_selectorI6__halflEEZNS1_25segmented_radix_sort_implIS3_Lb0EPKS5_PS5_PKlPlN2at6native12_GLOBAL__N_18offset_tEEE10hipError_tPvRmT1_PNSt15iterator_traitsISL_E10value_typeET2_T3_PNSM_ISR_E10value_typeET4_jRbjT5_SX_jjP12ihipStream_tbEUlT_E0_NS1_11comp_targetILNS1_3genE0ELNS1_11target_archE4294967295ELNS1_3gpuE0ELNS1_3repE0EEENS1_60segmented_radix_sort_warp_sort_medium_config_static_selectorELNS0_4arch9wavefront6targetE0EEEvSL_
; %bb.0:
	.section	.rodata,"a",@progbits
	.p2align	6, 0x0
	.amdhsa_kernel _ZN7rocprim17ROCPRIM_400000_NS6detail17trampoline_kernelINS0_14default_configENS1_36segmented_radix_sort_config_selectorI6__halflEEZNS1_25segmented_radix_sort_implIS3_Lb0EPKS5_PS5_PKlPlN2at6native12_GLOBAL__N_18offset_tEEE10hipError_tPvRmT1_PNSt15iterator_traitsISL_E10value_typeET2_T3_PNSM_ISR_E10value_typeET4_jRbjT5_SX_jjP12ihipStream_tbEUlT_E0_NS1_11comp_targetILNS1_3genE0ELNS1_11target_archE4294967295ELNS1_3gpuE0ELNS1_3repE0EEENS1_60segmented_radix_sort_warp_sort_medium_config_static_selectorELNS0_4arch9wavefront6targetE0EEEvSL_
		.amdhsa_group_segment_fixed_size 0
		.amdhsa_private_segment_fixed_size 0
		.amdhsa_kernarg_size 88
		.amdhsa_user_sgpr_count 2
		.amdhsa_user_sgpr_dispatch_ptr 0
		.amdhsa_user_sgpr_queue_ptr 0
		.amdhsa_user_sgpr_kernarg_segment_ptr 1
		.amdhsa_user_sgpr_dispatch_id 0
		.amdhsa_user_sgpr_private_segment_size 0
		.amdhsa_wavefront_size32 1
		.amdhsa_uses_dynamic_stack 0
		.amdhsa_enable_private_segment 0
		.amdhsa_system_sgpr_workgroup_id_x 1
		.amdhsa_system_sgpr_workgroup_id_y 0
		.amdhsa_system_sgpr_workgroup_id_z 0
		.amdhsa_system_sgpr_workgroup_info 0
		.amdhsa_system_vgpr_workitem_id 0
		.amdhsa_next_free_vgpr 1
		.amdhsa_next_free_sgpr 1
		.amdhsa_reserve_vcc 0
		.amdhsa_float_round_mode_32 0
		.amdhsa_float_round_mode_16_64 0
		.amdhsa_float_denorm_mode_32 3
		.amdhsa_float_denorm_mode_16_64 3
		.amdhsa_fp16_overflow 0
		.amdhsa_workgroup_processor_mode 1
		.amdhsa_memory_ordered 1
		.amdhsa_forward_progress 1
		.amdhsa_inst_pref_size 0
		.amdhsa_round_robin_scheduling 0
		.amdhsa_exception_fp_ieee_invalid_op 0
		.amdhsa_exception_fp_denorm_src 0
		.amdhsa_exception_fp_ieee_div_zero 0
		.amdhsa_exception_fp_ieee_overflow 0
		.amdhsa_exception_fp_ieee_underflow 0
		.amdhsa_exception_fp_ieee_inexact 0
		.amdhsa_exception_int_div_zero 0
	.end_amdhsa_kernel
	.section	.text._ZN7rocprim17ROCPRIM_400000_NS6detail17trampoline_kernelINS0_14default_configENS1_36segmented_radix_sort_config_selectorI6__halflEEZNS1_25segmented_radix_sort_implIS3_Lb0EPKS5_PS5_PKlPlN2at6native12_GLOBAL__N_18offset_tEEE10hipError_tPvRmT1_PNSt15iterator_traitsISL_E10value_typeET2_T3_PNSM_ISR_E10value_typeET4_jRbjT5_SX_jjP12ihipStream_tbEUlT_E0_NS1_11comp_targetILNS1_3genE0ELNS1_11target_archE4294967295ELNS1_3gpuE0ELNS1_3repE0EEENS1_60segmented_radix_sort_warp_sort_medium_config_static_selectorELNS0_4arch9wavefront6targetE0EEEvSL_,"axG",@progbits,_ZN7rocprim17ROCPRIM_400000_NS6detail17trampoline_kernelINS0_14default_configENS1_36segmented_radix_sort_config_selectorI6__halflEEZNS1_25segmented_radix_sort_implIS3_Lb0EPKS5_PS5_PKlPlN2at6native12_GLOBAL__N_18offset_tEEE10hipError_tPvRmT1_PNSt15iterator_traitsISL_E10value_typeET2_T3_PNSM_ISR_E10value_typeET4_jRbjT5_SX_jjP12ihipStream_tbEUlT_E0_NS1_11comp_targetILNS1_3genE0ELNS1_11target_archE4294967295ELNS1_3gpuE0ELNS1_3repE0EEENS1_60segmented_radix_sort_warp_sort_medium_config_static_selectorELNS0_4arch9wavefront6targetE0EEEvSL_,comdat
.Lfunc_end1852:
	.size	_ZN7rocprim17ROCPRIM_400000_NS6detail17trampoline_kernelINS0_14default_configENS1_36segmented_radix_sort_config_selectorI6__halflEEZNS1_25segmented_radix_sort_implIS3_Lb0EPKS5_PS5_PKlPlN2at6native12_GLOBAL__N_18offset_tEEE10hipError_tPvRmT1_PNSt15iterator_traitsISL_E10value_typeET2_T3_PNSM_ISR_E10value_typeET4_jRbjT5_SX_jjP12ihipStream_tbEUlT_E0_NS1_11comp_targetILNS1_3genE0ELNS1_11target_archE4294967295ELNS1_3gpuE0ELNS1_3repE0EEENS1_60segmented_radix_sort_warp_sort_medium_config_static_selectorELNS0_4arch9wavefront6targetE0EEEvSL_, .Lfunc_end1852-_ZN7rocprim17ROCPRIM_400000_NS6detail17trampoline_kernelINS0_14default_configENS1_36segmented_radix_sort_config_selectorI6__halflEEZNS1_25segmented_radix_sort_implIS3_Lb0EPKS5_PS5_PKlPlN2at6native12_GLOBAL__N_18offset_tEEE10hipError_tPvRmT1_PNSt15iterator_traitsISL_E10value_typeET2_T3_PNSM_ISR_E10value_typeET4_jRbjT5_SX_jjP12ihipStream_tbEUlT_E0_NS1_11comp_targetILNS1_3genE0ELNS1_11target_archE4294967295ELNS1_3gpuE0ELNS1_3repE0EEENS1_60segmented_radix_sort_warp_sort_medium_config_static_selectorELNS0_4arch9wavefront6targetE0EEEvSL_
                                        ; -- End function
	.set _ZN7rocprim17ROCPRIM_400000_NS6detail17trampoline_kernelINS0_14default_configENS1_36segmented_radix_sort_config_selectorI6__halflEEZNS1_25segmented_radix_sort_implIS3_Lb0EPKS5_PS5_PKlPlN2at6native12_GLOBAL__N_18offset_tEEE10hipError_tPvRmT1_PNSt15iterator_traitsISL_E10value_typeET2_T3_PNSM_ISR_E10value_typeET4_jRbjT5_SX_jjP12ihipStream_tbEUlT_E0_NS1_11comp_targetILNS1_3genE0ELNS1_11target_archE4294967295ELNS1_3gpuE0ELNS1_3repE0EEENS1_60segmented_radix_sort_warp_sort_medium_config_static_selectorELNS0_4arch9wavefront6targetE0EEEvSL_.num_vgpr, 0
	.set _ZN7rocprim17ROCPRIM_400000_NS6detail17trampoline_kernelINS0_14default_configENS1_36segmented_radix_sort_config_selectorI6__halflEEZNS1_25segmented_radix_sort_implIS3_Lb0EPKS5_PS5_PKlPlN2at6native12_GLOBAL__N_18offset_tEEE10hipError_tPvRmT1_PNSt15iterator_traitsISL_E10value_typeET2_T3_PNSM_ISR_E10value_typeET4_jRbjT5_SX_jjP12ihipStream_tbEUlT_E0_NS1_11comp_targetILNS1_3genE0ELNS1_11target_archE4294967295ELNS1_3gpuE0ELNS1_3repE0EEENS1_60segmented_radix_sort_warp_sort_medium_config_static_selectorELNS0_4arch9wavefront6targetE0EEEvSL_.num_agpr, 0
	.set _ZN7rocprim17ROCPRIM_400000_NS6detail17trampoline_kernelINS0_14default_configENS1_36segmented_radix_sort_config_selectorI6__halflEEZNS1_25segmented_radix_sort_implIS3_Lb0EPKS5_PS5_PKlPlN2at6native12_GLOBAL__N_18offset_tEEE10hipError_tPvRmT1_PNSt15iterator_traitsISL_E10value_typeET2_T3_PNSM_ISR_E10value_typeET4_jRbjT5_SX_jjP12ihipStream_tbEUlT_E0_NS1_11comp_targetILNS1_3genE0ELNS1_11target_archE4294967295ELNS1_3gpuE0ELNS1_3repE0EEENS1_60segmented_radix_sort_warp_sort_medium_config_static_selectorELNS0_4arch9wavefront6targetE0EEEvSL_.numbered_sgpr, 0
	.set _ZN7rocprim17ROCPRIM_400000_NS6detail17trampoline_kernelINS0_14default_configENS1_36segmented_radix_sort_config_selectorI6__halflEEZNS1_25segmented_radix_sort_implIS3_Lb0EPKS5_PS5_PKlPlN2at6native12_GLOBAL__N_18offset_tEEE10hipError_tPvRmT1_PNSt15iterator_traitsISL_E10value_typeET2_T3_PNSM_ISR_E10value_typeET4_jRbjT5_SX_jjP12ihipStream_tbEUlT_E0_NS1_11comp_targetILNS1_3genE0ELNS1_11target_archE4294967295ELNS1_3gpuE0ELNS1_3repE0EEENS1_60segmented_radix_sort_warp_sort_medium_config_static_selectorELNS0_4arch9wavefront6targetE0EEEvSL_.num_named_barrier, 0
	.set _ZN7rocprim17ROCPRIM_400000_NS6detail17trampoline_kernelINS0_14default_configENS1_36segmented_radix_sort_config_selectorI6__halflEEZNS1_25segmented_radix_sort_implIS3_Lb0EPKS5_PS5_PKlPlN2at6native12_GLOBAL__N_18offset_tEEE10hipError_tPvRmT1_PNSt15iterator_traitsISL_E10value_typeET2_T3_PNSM_ISR_E10value_typeET4_jRbjT5_SX_jjP12ihipStream_tbEUlT_E0_NS1_11comp_targetILNS1_3genE0ELNS1_11target_archE4294967295ELNS1_3gpuE0ELNS1_3repE0EEENS1_60segmented_radix_sort_warp_sort_medium_config_static_selectorELNS0_4arch9wavefront6targetE0EEEvSL_.private_seg_size, 0
	.set _ZN7rocprim17ROCPRIM_400000_NS6detail17trampoline_kernelINS0_14default_configENS1_36segmented_radix_sort_config_selectorI6__halflEEZNS1_25segmented_radix_sort_implIS3_Lb0EPKS5_PS5_PKlPlN2at6native12_GLOBAL__N_18offset_tEEE10hipError_tPvRmT1_PNSt15iterator_traitsISL_E10value_typeET2_T3_PNSM_ISR_E10value_typeET4_jRbjT5_SX_jjP12ihipStream_tbEUlT_E0_NS1_11comp_targetILNS1_3genE0ELNS1_11target_archE4294967295ELNS1_3gpuE0ELNS1_3repE0EEENS1_60segmented_radix_sort_warp_sort_medium_config_static_selectorELNS0_4arch9wavefront6targetE0EEEvSL_.uses_vcc, 0
	.set _ZN7rocprim17ROCPRIM_400000_NS6detail17trampoline_kernelINS0_14default_configENS1_36segmented_radix_sort_config_selectorI6__halflEEZNS1_25segmented_radix_sort_implIS3_Lb0EPKS5_PS5_PKlPlN2at6native12_GLOBAL__N_18offset_tEEE10hipError_tPvRmT1_PNSt15iterator_traitsISL_E10value_typeET2_T3_PNSM_ISR_E10value_typeET4_jRbjT5_SX_jjP12ihipStream_tbEUlT_E0_NS1_11comp_targetILNS1_3genE0ELNS1_11target_archE4294967295ELNS1_3gpuE0ELNS1_3repE0EEENS1_60segmented_radix_sort_warp_sort_medium_config_static_selectorELNS0_4arch9wavefront6targetE0EEEvSL_.uses_flat_scratch, 0
	.set _ZN7rocprim17ROCPRIM_400000_NS6detail17trampoline_kernelINS0_14default_configENS1_36segmented_radix_sort_config_selectorI6__halflEEZNS1_25segmented_radix_sort_implIS3_Lb0EPKS5_PS5_PKlPlN2at6native12_GLOBAL__N_18offset_tEEE10hipError_tPvRmT1_PNSt15iterator_traitsISL_E10value_typeET2_T3_PNSM_ISR_E10value_typeET4_jRbjT5_SX_jjP12ihipStream_tbEUlT_E0_NS1_11comp_targetILNS1_3genE0ELNS1_11target_archE4294967295ELNS1_3gpuE0ELNS1_3repE0EEENS1_60segmented_radix_sort_warp_sort_medium_config_static_selectorELNS0_4arch9wavefront6targetE0EEEvSL_.has_dyn_sized_stack, 0
	.set _ZN7rocprim17ROCPRIM_400000_NS6detail17trampoline_kernelINS0_14default_configENS1_36segmented_radix_sort_config_selectorI6__halflEEZNS1_25segmented_radix_sort_implIS3_Lb0EPKS5_PS5_PKlPlN2at6native12_GLOBAL__N_18offset_tEEE10hipError_tPvRmT1_PNSt15iterator_traitsISL_E10value_typeET2_T3_PNSM_ISR_E10value_typeET4_jRbjT5_SX_jjP12ihipStream_tbEUlT_E0_NS1_11comp_targetILNS1_3genE0ELNS1_11target_archE4294967295ELNS1_3gpuE0ELNS1_3repE0EEENS1_60segmented_radix_sort_warp_sort_medium_config_static_selectorELNS0_4arch9wavefront6targetE0EEEvSL_.has_recursion, 0
	.set _ZN7rocprim17ROCPRIM_400000_NS6detail17trampoline_kernelINS0_14default_configENS1_36segmented_radix_sort_config_selectorI6__halflEEZNS1_25segmented_radix_sort_implIS3_Lb0EPKS5_PS5_PKlPlN2at6native12_GLOBAL__N_18offset_tEEE10hipError_tPvRmT1_PNSt15iterator_traitsISL_E10value_typeET2_T3_PNSM_ISR_E10value_typeET4_jRbjT5_SX_jjP12ihipStream_tbEUlT_E0_NS1_11comp_targetILNS1_3genE0ELNS1_11target_archE4294967295ELNS1_3gpuE0ELNS1_3repE0EEENS1_60segmented_radix_sort_warp_sort_medium_config_static_selectorELNS0_4arch9wavefront6targetE0EEEvSL_.has_indirect_call, 0
	.section	.AMDGPU.csdata,"",@progbits
; Kernel info:
; codeLenInByte = 0
; TotalNumSgprs: 0
; NumVgprs: 0
; ScratchSize: 0
; MemoryBound: 0
; FloatMode: 240
; IeeeMode: 1
; LDSByteSize: 0 bytes/workgroup (compile time only)
; SGPRBlocks: 0
; VGPRBlocks: 0
; NumSGPRsForWavesPerEU: 1
; NumVGPRsForWavesPerEU: 1
; Occupancy: 16
; WaveLimiterHint : 0
; COMPUTE_PGM_RSRC2:SCRATCH_EN: 0
; COMPUTE_PGM_RSRC2:USER_SGPR: 2
; COMPUTE_PGM_RSRC2:TRAP_HANDLER: 0
; COMPUTE_PGM_RSRC2:TGID_X_EN: 1
; COMPUTE_PGM_RSRC2:TGID_Y_EN: 0
; COMPUTE_PGM_RSRC2:TGID_Z_EN: 0
; COMPUTE_PGM_RSRC2:TIDIG_COMP_CNT: 0
	.section	.text._ZN7rocprim17ROCPRIM_400000_NS6detail17trampoline_kernelINS0_14default_configENS1_36segmented_radix_sort_config_selectorI6__halflEEZNS1_25segmented_radix_sort_implIS3_Lb0EPKS5_PS5_PKlPlN2at6native12_GLOBAL__N_18offset_tEEE10hipError_tPvRmT1_PNSt15iterator_traitsISL_E10value_typeET2_T3_PNSM_ISR_E10value_typeET4_jRbjT5_SX_jjP12ihipStream_tbEUlT_E0_NS1_11comp_targetILNS1_3genE5ELNS1_11target_archE942ELNS1_3gpuE9ELNS1_3repE0EEENS1_60segmented_radix_sort_warp_sort_medium_config_static_selectorELNS0_4arch9wavefront6targetE0EEEvSL_,"axG",@progbits,_ZN7rocprim17ROCPRIM_400000_NS6detail17trampoline_kernelINS0_14default_configENS1_36segmented_radix_sort_config_selectorI6__halflEEZNS1_25segmented_radix_sort_implIS3_Lb0EPKS5_PS5_PKlPlN2at6native12_GLOBAL__N_18offset_tEEE10hipError_tPvRmT1_PNSt15iterator_traitsISL_E10value_typeET2_T3_PNSM_ISR_E10value_typeET4_jRbjT5_SX_jjP12ihipStream_tbEUlT_E0_NS1_11comp_targetILNS1_3genE5ELNS1_11target_archE942ELNS1_3gpuE9ELNS1_3repE0EEENS1_60segmented_radix_sort_warp_sort_medium_config_static_selectorELNS0_4arch9wavefront6targetE0EEEvSL_,comdat
	.globl	_ZN7rocprim17ROCPRIM_400000_NS6detail17trampoline_kernelINS0_14default_configENS1_36segmented_radix_sort_config_selectorI6__halflEEZNS1_25segmented_radix_sort_implIS3_Lb0EPKS5_PS5_PKlPlN2at6native12_GLOBAL__N_18offset_tEEE10hipError_tPvRmT1_PNSt15iterator_traitsISL_E10value_typeET2_T3_PNSM_ISR_E10value_typeET4_jRbjT5_SX_jjP12ihipStream_tbEUlT_E0_NS1_11comp_targetILNS1_3genE5ELNS1_11target_archE942ELNS1_3gpuE9ELNS1_3repE0EEENS1_60segmented_radix_sort_warp_sort_medium_config_static_selectorELNS0_4arch9wavefront6targetE0EEEvSL_ ; -- Begin function _ZN7rocprim17ROCPRIM_400000_NS6detail17trampoline_kernelINS0_14default_configENS1_36segmented_radix_sort_config_selectorI6__halflEEZNS1_25segmented_radix_sort_implIS3_Lb0EPKS5_PS5_PKlPlN2at6native12_GLOBAL__N_18offset_tEEE10hipError_tPvRmT1_PNSt15iterator_traitsISL_E10value_typeET2_T3_PNSM_ISR_E10value_typeET4_jRbjT5_SX_jjP12ihipStream_tbEUlT_E0_NS1_11comp_targetILNS1_3genE5ELNS1_11target_archE942ELNS1_3gpuE9ELNS1_3repE0EEENS1_60segmented_radix_sort_warp_sort_medium_config_static_selectorELNS0_4arch9wavefront6targetE0EEEvSL_
	.p2align	8
	.type	_ZN7rocprim17ROCPRIM_400000_NS6detail17trampoline_kernelINS0_14default_configENS1_36segmented_radix_sort_config_selectorI6__halflEEZNS1_25segmented_radix_sort_implIS3_Lb0EPKS5_PS5_PKlPlN2at6native12_GLOBAL__N_18offset_tEEE10hipError_tPvRmT1_PNSt15iterator_traitsISL_E10value_typeET2_T3_PNSM_ISR_E10value_typeET4_jRbjT5_SX_jjP12ihipStream_tbEUlT_E0_NS1_11comp_targetILNS1_3genE5ELNS1_11target_archE942ELNS1_3gpuE9ELNS1_3repE0EEENS1_60segmented_radix_sort_warp_sort_medium_config_static_selectorELNS0_4arch9wavefront6targetE0EEEvSL_,@function
_ZN7rocprim17ROCPRIM_400000_NS6detail17trampoline_kernelINS0_14default_configENS1_36segmented_radix_sort_config_selectorI6__halflEEZNS1_25segmented_radix_sort_implIS3_Lb0EPKS5_PS5_PKlPlN2at6native12_GLOBAL__N_18offset_tEEE10hipError_tPvRmT1_PNSt15iterator_traitsISL_E10value_typeET2_T3_PNSM_ISR_E10value_typeET4_jRbjT5_SX_jjP12ihipStream_tbEUlT_E0_NS1_11comp_targetILNS1_3genE5ELNS1_11target_archE942ELNS1_3gpuE9ELNS1_3repE0EEENS1_60segmented_radix_sort_warp_sort_medium_config_static_selectorELNS0_4arch9wavefront6targetE0EEEvSL_: ; @_ZN7rocprim17ROCPRIM_400000_NS6detail17trampoline_kernelINS0_14default_configENS1_36segmented_radix_sort_config_selectorI6__halflEEZNS1_25segmented_radix_sort_implIS3_Lb0EPKS5_PS5_PKlPlN2at6native12_GLOBAL__N_18offset_tEEE10hipError_tPvRmT1_PNSt15iterator_traitsISL_E10value_typeET2_T3_PNSM_ISR_E10value_typeET4_jRbjT5_SX_jjP12ihipStream_tbEUlT_E0_NS1_11comp_targetILNS1_3genE5ELNS1_11target_archE942ELNS1_3gpuE9ELNS1_3repE0EEENS1_60segmented_radix_sort_warp_sort_medium_config_static_selectorELNS0_4arch9wavefront6targetE0EEEvSL_
; %bb.0:
	.section	.rodata,"a",@progbits
	.p2align	6, 0x0
	.amdhsa_kernel _ZN7rocprim17ROCPRIM_400000_NS6detail17trampoline_kernelINS0_14default_configENS1_36segmented_radix_sort_config_selectorI6__halflEEZNS1_25segmented_radix_sort_implIS3_Lb0EPKS5_PS5_PKlPlN2at6native12_GLOBAL__N_18offset_tEEE10hipError_tPvRmT1_PNSt15iterator_traitsISL_E10value_typeET2_T3_PNSM_ISR_E10value_typeET4_jRbjT5_SX_jjP12ihipStream_tbEUlT_E0_NS1_11comp_targetILNS1_3genE5ELNS1_11target_archE942ELNS1_3gpuE9ELNS1_3repE0EEENS1_60segmented_radix_sort_warp_sort_medium_config_static_selectorELNS0_4arch9wavefront6targetE0EEEvSL_
		.amdhsa_group_segment_fixed_size 0
		.amdhsa_private_segment_fixed_size 0
		.amdhsa_kernarg_size 88
		.amdhsa_user_sgpr_count 2
		.amdhsa_user_sgpr_dispatch_ptr 0
		.amdhsa_user_sgpr_queue_ptr 0
		.amdhsa_user_sgpr_kernarg_segment_ptr 1
		.amdhsa_user_sgpr_dispatch_id 0
		.amdhsa_user_sgpr_private_segment_size 0
		.amdhsa_wavefront_size32 1
		.amdhsa_uses_dynamic_stack 0
		.amdhsa_enable_private_segment 0
		.amdhsa_system_sgpr_workgroup_id_x 1
		.amdhsa_system_sgpr_workgroup_id_y 0
		.amdhsa_system_sgpr_workgroup_id_z 0
		.amdhsa_system_sgpr_workgroup_info 0
		.amdhsa_system_vgpr_workitem_id 0
		.amdhsa_next_free_vgpr 1
		.amdhsa_next_free_sgpr 1
		.amdhsa_reserve_vcc 0
		.amdhsa_float_round_mode_32 0
		.amdhsa_float_round_mode_16_64 0
		.amdhsa_float_denorm_mode_32 3
		.amdhsa_float_denorm_mode_16_64 3
		.amdhsa_fp16_overflow 0
		.amdhsa_workgroup_processor_mode 1
		.amdhsa_memory_ordered 1
		.amdhsa_forward_progress 1
		.amdhsa_inst_pref_size 0
		.amdhsa_round_robin_scheduling 0
		.amdhsa_exception_fp_ieee_invalid_op 0
		.amdhsa_exception_fp_denorm_src 0
		.amdhsa_exception_fp_ieee_div_zero 0
		.amdhsa_exception_fp_ieee_overflow 0
		.amdhsa_exception_fp_ieee_underflow 0
		.amdhsa_exception_fp_ieee_inexact 0
		.amdhsa_exception_int_div_zero 0
	.end_amdhsa_kernel
	.section	.text._ZN7rocprim17ROCPRIM_400000_NS6detail17trampoline_kernelINS0_14default_configENS1_36segmented_radix_sort_config_selectorI6__halflEEZNS1_25segmented_radix_sort_implIS3_Lb0EPKS5_PS5_PKlPlN2at6native12_GLOBAL__N_18offset_tEEE10hipError_tPvRmT1_PNSt15iterator_traitsISL_E10value_typeET2_T3_PNSM_ISR_E10value_typeET4_jRbjT5_SX_jjP12ihipStream_tbEUlT_E0_NS1_11comp_targetILNS1_3genE5ELNS1_11target_archE942ELNS1_3gpuE9ELNS1_3repE0EEENS1_60segmented_radix_sort_warp_sort_medium_config_static_selectorELNS0_4arch9wavefront6targetE0EEEvSL_,"axG",@progbits,_ZN7rocprim17ROCPRIM_400000_NS6detail17trampoline_kernelINS0_14default_configENS1_36segmented_radix_sort_config_selectorI6__halflEEZNS1_25segmented_radix_sort_implIS3_Lb0EPKS5_PS5_PKlPlN2at6native12_GLOBAL__N_18offset_tEEE10hipError_tPvRmT1_PNSt15iterator_traitsISL_E10value_typeET2_T3_PNSM_ISR_E10value_typeET4_jRbjT5_SX_jjP12ihipStream_tbEUlT_E0_NS1_11comp_targetILNS1_3genE5ELNS1_11target_archE942ELNS1_3gpuE9ELNS1_3repE0EEENS1_60segmented_radix_sort_warp_sort_medium_config_static_selectorELNS0_4arch9wavefront6targetE0EEEvSL_,comdat
.Lfunc_end1853:
	.size	_ZN7rocprim17ROCPRIM_400000_NS6detail17trampoline_kernelINS0_14default_configENS1_36segmented_radix_sort_config_selectorI6__halflEEZNS1_25segmented_radix_sort_implIS3_Lb0EPKS5_PS5_PKlPlN2at6native12_GLOBAL__N_18offset_tEEE10hipError_tPvRmT1_PNSt15iterator_traitsISL_E10value_typeET2_T3_PNSM_ISR_E10value_typeET4_jRbjT5_SX_jjP12ihipStream_tbEUlT_E0_NS1_11comp_targetILNS1_3genE5ELNS1_11target_archE942ELNS1_3gpuE9ELNS1_3repE0EEENS1_60segmented_radix_sort_warp_sort_medium_config_static_selectorELNS0_4arch9wavefront6targetE0EEEvSL_, .Lfunc_end1853-_ZN7rocprim17ROCPRIM_400000_NS6detail17trampoline_kernelINS0_14default_configENS1_36segmented_radix_sort_config_selectorI6__halflEEZNS1_25segmented_radix_sort_implIS3_Lb0EPKS5_PS5_PKlPlN2at6native12_GLOBAL__N_18offset_tEEE10hipError_tPvRmT1_PNSt15iterator_traitsISL_E10value_typeET2_T3_PNSM_ISR_E10value_typeET4_jRbjT5_SX_jjP12ihipStream_tbEUlT_E0_NS1_11comp_targetILNS1_3genE5ELNS1_11target_archE942ELNS1_3gpuE9ELNS1_3repE0EEENS1_60segmented_radix_sort_warp_sort_medium_config_static_selectorELNS0_4arch9wavefront6targetE0EEEvSL_
                                        ; -- End function
	.set _ZN7rocprim17ROCPRIM_400000_NS6detail17trampoline_kernelINS0_14default_configENS1_36segmented_radix_sort_config_selectorI6__halflEEZNS1_25segmented_radix_sort_implIS3_Lb0EPKS5_PS5_PKlPlN2at6native12_GLOBAL__N_18offset_tEEE10hipError_tPvRmT1_PNSt15iterator_traitsISL_E10value_typeET2_T3_PNSM_ISR_E10value_typeET4_jRbjT5_SX_jjP12ihipStream_tbEUlT_E0_NS1_11comp_targetILNS1_3genE5ELNS1_11target_archE942ELNS1_3gpuE9ELNS1_3repE0EEENS1_60segmented_radix_sort_warp_sort_medium_config_static_selectorELNS0_4arch9wavefront6targetE0EEEvSL_.num_vgpr, 0
	.set _ZN7rocprim17ROCPRIM_400000_NS6detail17trampoline_kernelINS0_14default_configENS1_36segmented_radix_sort_config_selectorI6__halflEEZNS1_25segmented_radix_sort_implIS3_Lb0EPKS5_PS5_PKlPlN2at6native12_GLOBAL__N_18offset_tEEE10hipError_tPvRmT1_PNSt15iterator_traitsISL_E10value_typeET2_T3_PNSM_ISR_E10value_typeET4_jRbjT5_SX_jjP12ihipStream_tbEUlT_E0_NS1_11comp_targetILNS1_3genE5ELNS1_11target_archE942ELNS1_3gpuE9ELNS1_3repE0EEENS1_60segmented_radix_sort_warp_sort_medium_config_static_selectorELNS0_4arch9wavefront6targetE0EEEvSL_.num_agpr, 0
	.set _ZN7rocprim17ROCPRIM_400000_NS6detail17trampoline_kernelINS0_14default_configENS1_36segmented_radix_sort_config_selectorI6__halflEEZNS1_25segmented_radix_sort_implIS3_Lb0EPKS5_PS5_PKlPlN2at6native12_GLOBAL__N_18offset_tEEE10hipError_tPvRmT1_PNSt15iterator_traitsISL_E10value_typeET2_T3_PNSM_ISR_E10value_typeET4_jRbjT5_SX_jjP12ihipStream_tbEUlT_E0_NS1_11comp_targetILNS1_3genE5ELNS1_11target_archE942ELNS1_3gpuE9ELNS1_3repE0EEENS1_60segmented_radix_sort_warp_sort_medium_config_static_selectorELNS0_4arch9wavefront6targetE0EEEvSL_.numbered_sgpr, 0
	.set _ZN7rocprim17ROCPRIM_400000_NS6detail17trampoline_kernelINS0_14default_configENS1_36segmented_radix_sort_config_selectorI6__halflEEZNS1_25segmented_radix_sort_implIS3_Lb0EPKS5_PS5_PKlPlN2at6native12_GLOBAL__N_18offset_tEEE10hipError_tPvRmT1_PNSt15iterator_traitsISL_E10value_typeET2_T3_PNSM_ISR_E10value_typeET4_jRbjT5_SX_jjP12ihipStream_tbEUlT_E0_NS1_11comp_targetILNS1_3genE5ELNS1_11target_archE942ELNS1_3gpuE9ELNS1_3repE0EEENS1_60segmented_radix_sort_warp_sort_medium_config_static_selectorELNS0_4arch9wavefront6targetE0EEEvSL_.num_named_barrier, 0
	.set _ZN7rocprim17ROCPRIM_400000_NS6detail17trampoline_kernelINS0_14default_configENS1_36segmented_radix_sort_config_selectorI6__halflEEZNS1_25segmented_radix_sort_implIS3_Lb0EPKS5_PS5_PKlPlN2at6native12_GLOBAL__N_18offset_tEEE10hipError_tPvRmT1_PNSt15iterator_traitsISL_E10value_typeET2_T3_PNSM_ISR_E10value_typeET4_jRbjT5_SX_jjP12ihipStream_tbEUlT_E0_NS1_11comp_targetILNS1_3genE5ELNS1_11target_archE942ELNS1_3gpuE9ELNS1_3repE0EEENS1_60segmented_radix_sort_warp_sort_medium_config_static_selectorELNS0_4arch9wavefront6targetE0EEEvSL_.private_seg_size, 0
	.set _ZN7rocprim17ROCPRIM_400000_NS6detail17trampoline_kernelINS0_14default_configENS1_36segmented_radix_sort_config_selectorI6__halflEEZNS1_25segmented_radix_sort_implIS3_Lb0EPKS5_PS5_PKlPlN2at6native12_GLOBAL__N_18offset_tEEE10hipError_tPvRmT1_PNSt15iterator_traitsISL_E10value_typeET2_T3_PNSM_ISR_E10value_typeET4_jRbjT5_SX_jjP12ihipStream_tbEUlT_E0_NS1_11comp_targetILNS1_3genE5ELNS1_11target_archE942ELNS1_3gpuE9ELNS1_3repE0EEENS1_60segmented_radix_sort_warp_sort_medium_config_static_selectorELNS0_4arch9wavefront6targetE0EEEvSL_.uses_vcc, 0
	.set _ZN7rocprim17ROCPRIM_400000_NS6detail17trampoline_kernelINS0_14default_configENS1_36segmented_radix_sort_config_selectorI6__halflEEZNS1_25segmented_radix_sort_implIS3_Lb0EPKS5_PS5_PKlPlN2at6native12_GLOBAL__N_18offset_tEEE10hipError_tPvRmT1_PNSt15iterator_traitsISL_E10value_typeET2_T3_PNSM_ISR_E10value_typeET4_jRbjT5_SX_jjP12ihipStream_tbEUlT_E0_NS1_11comp_targetILNS1_3genE5ELNS1_11target_archE942ELNS1_3gpuE9ELNS1_3repE0EEENS1_60segmented_radix_sort_warp_sort_medium_config_static_selectorELNS0_4arch9wavefront6targetE0EEEvSL_.uses_flat_scratch, 0
	.set _ZN7rocprim17ROCPRIM_400000_NS6detail17trampoline_kernelINS0_14default_configENS1_36segmented_radix_sort_config_selectorI6__halflEEZNS1_25segmented_radix_sort_implIS3_Lb0EPKS5_PS5_PKlPlN2at6native12_GLOBAL__N_18offset_tEEE10hipError_tPvRmT1_PNSt15iterator_traitsISL_E10value_typeET2_T3_PNSM_ISR_E10value_typeET4_jRbjT5_SX_jjP12ihipStream_tbEUlT_E0_NS1_11comp_targetILNS1_3genE5ELNS1_11target_archE942ELNS1_3gpuE9ELNS1_3repE0EEENS1_60segmented_radix_sort_warp_sort_medium_config_static_selectorELNS0_4arch9wavefront6targetE0EEEvSL_.has_dyn_sized_stack, 0
	.set _ZN7rocprim17ROCPRIM_400000_NS6detail17trampoline_kernelINS0_14default_configENS1_36segmented_radix_sort_config_selectorI6__halflEEZNS1_25segmented_radix_sort_implIS3_Lb0EPKS5_PS5_PKlPlN2at6native12_GLOBAL__N_18offset_tEEE10hipError_tPvRmT1_PNSt15iterator_traitsISL_E10value_typeET2_T3_PNSM_ISR_E10value_typeET4_jRbjT5_SX_jjP12ihipStream_tbEUlT_E0_NS1_11comp_targetILNS1_3genE5ELNS1_11target_archE942ELNS1_3gpuE9ELNS1_3repE0EEENS1_60segmented_radix_sort_warp_sort_medium_config_static_selectorELNS0_4arch9wavefront6targetE0EEEvSL_.has_recursion, 0
	.set _ZN7rocprim17ROCPRIM_400000_NS6detail17trampoline_kernelINS0_14default_configENS1_36segmented_radix_sort_config_selectorI6__halflEEZNS1_25segmented_radix_sort_implIS3_Lb0EPKS5_PS5_PKlPlN2at6native12_GLOBAL__N_18offset_tEEE10hipError_tPvRmT1_PNSt15iterator_traitsISL_E10value_typeET2_T3_PNSM_ISR_E10value_typeET4_jRbjT5_SX_jjP12ihipStream_tbEUlT_E0_NS1_11comp_targetILNS1_3genE5ELNS1_11target_archE942ELNS1_3gpuE9ELNS1_3repE0EEENS1_60segmented_radix_sort_warp_sort_medium_config_static_selectorELNS0_4arch9wavefront6targetE0EEEvSL_.has_indirect_call, 0
	.section	.AMDGPU.csdata,"",@progbits
; Kernel info:
; codeLenInByte = 0
; TotalNumSgprs: 0
; NumVgprs: 0
; ScratchSize: 0
; MemoryBound: 0
; FloatMode: 240
; IeeeMode: 1
; LDSByteSize: 0 bytes/workgroup (compile time only)
; SGPRBlocks: 0
; VGPRBlocks: 0
; NumSGPRsForWavesPerEU: 1
; NumVGPRsForWavesPerEU: 1
; Occupancy: 16
; WaveLimiterHint : 0
; COMPUTE_PGM_RSRC2:SCRATCH_EN: 0
; COMPUTE_PGM_RSRC2:USER_SGPR: 2
; COMPUTE_PGM_RSRC2:TRAP_HANDLER: 0
; COMPUTE_PGM_RSRC2:TGID_X_EN: 1
; COMPUTE_PGM_RSRC2:TGID_Y_EN: 0
; COMPUTE_PGM_RSRC2:TGID_Z_EN: 0
; COMPUTE_PGM_RSRC2:TIDIG_COMP_CNT: 0
	.section	.text._ZN7rocprim17ROCPRIM_400000_NS6detail17trampoline_kernelINS0_14default_configENS1_36segmented_radix_sort_config_selectorI6__halflEEZNS1_25segmented_radix_sort_implIS3_Lb0EPKS5_PS5_PKlPlN2at6native12_GLOBAL__N_18offset_tEEE10hipError_tPvRmT1_PNSt15iterator_traitsISL_E10value_typeET2_T3_PNSM_ISR_E10value_typeET4_jRbjT5_SX_jjP12ihipStream_tbEUlT_E0_NS1_11comp_targetILNS1_3genE4ELNS1_11target_archE910ELNS1_3gpuE8ELNS1_3repE0EEENS1_60segmented_radix_sort_warp_sort_medium_config_static_selectorELNS0_4arch9wavefront6targetE0EEEvSL_,"axG",@progbits,_ZN7rocprim17ROCPRIM_400000_NS6detail17trampoline_kernelINS0_14default_configENS1_36segmented_radix_sort_config_selectorI6__halflEEZNS1_25segmented_radix_sort_implIS3_Lb0EPKS5_PS5_PKlPlN2at6native12_GLOBAL__N_18offset_tEEE10hipError_tPvRmT1_PNSt15iterator_traitsISL_E10value_typeET2_T3_PNSM_ISR_E10value_typeET4_jRbjT5_SX_jjP12ihipStream_tbEUlT_E0_NS1_11comp_targetILNS1_3genE4ELNS1_11target_archE910ELNS1_3gpuE8ELNS1_3repE0EEENS1_60segmented_radix_sort_warp_sort_medium_config_static_selectorELNS0_4arch9wavefront6targetE0EEEvSL_,comdat
	.globl	_ZN7rocprim17ROCPRIM_400000_NS6detail17trampoline_kernelINS0_14default_configENS1_36segmented_radix_sort_config_selectorI6__halflEEZNS1_25segmented_radix_sort_implIS3_Lb0EPKS5_PS5_PKlPlN2at6native12_GLOBAL__N_18offset_tEEE10hipError_tPvRmT1_PNSt15iterator_traitsISL_E10value_typeET2_T3_PNSM_ISR_E10value_typeET4_jRbjT5_SX_jjP12ihipStream_tbEUlT_E0_NS1_11comp_targetILNS1_3genE4ELNS1_11target_archE910ELNS1_3gpuE8ELNS1_3repE0EEENS1_60segmented_radix_sort_warp_sort_medium_config_static_selectorELNS0_4arch9wavefront6targetE0EEEvSL_ ; -- Begin function _ZN7rocprim17ROCPRIM_400000_NS6detail17trampoline_kernelINS0_14default_configENS1_36segmented_radix_sort_config_selectorI6__halflEEZNS1_25segmented_radix_sort_implIS3_Lb0EPKS5_PS5_PKlPlN2at6native12_GLOBAL__N_18offset_tEEE10hipError_tPvRmT1_PNSt15iterator_traitsISL_E10value_typeET2_T3_PNSM_ISR_E10value_typeET4_jRbjT5_SX_jjP12ihipStream_tbEUlT_E0_NS1_11comp_targetILNS1_3genE4ELNS1_11target_archE910ELNS1_3gpuE8ELNS1_3repE0EEENS1_60segmented_radix_sort_warp_sort_medium_config_static_selectorELNS0_4arch9wavefront6targetE0EEEvSL_
	.p2align	8
	.type	_ZN7rocprim17ROCPRIM_400000_NS6detail17trampoline_kernelINS0_14default_configENS1_36segmented_radix_sort_config_selectorI6__halflEEZNS1_25segmented_radix_sort_implIS3_Lb0EPKS5_PS5_PKlPlN2at6native12_GLOBAL__N_18offset_tEEE10hipError_tPvRmT1_PNSt15iterator_traitsISL_E10value_typeET2_T3_PNSM_ISR_E10value_typeET4_jRbjT5_SX_jjP12ihipStream_tbEUlT_E0_NS1_11comp_targetILNS1_3genE4ELNS1_11target_archE910ELNS1_3gpuE8ELNS1_3repE0EEENS1_60segmented_radix_sort_warp_sort_medium_config_static_selectorELNS0_4arch9wavefront6targetE0EEEvSL_,@function
_ZN7rocprim17ROCPRIM_400000_NS6detail17trampoline_kernelINS0_14default_configENS1_36segmented_radix_sort_config_selectorI6__halflEEZNS1_25segmented_radix_sort_implIS3_Lb0EPKS5_PS5_PKlPlN2at6native12_GLOBAL__N_18offset_tEEE10hipError_tPvRmT1_PNSt15iterator_traitsISL_E10value_typeET2_T3_PNSM_ISR_E10value_typeET4_jRbjT5_SX_jjP12ihipStream_tbEUlT_E0_NS1_11comp_targetILNS1_3genE4ELNS1_11target_archE910ELNS1_3gpuE8ELNS1_3repE0EEENS1_60segmented_radix_sort_warp_sort_medium_config_static_selectorELNS0_4arch9wavefront6targetE0EEEvSL_: ; @_ZN7rocprim17ROCPRIM_400000_NS6detail17trampoline_kernelINS0_14default_configENS1_36segmented_radix_sort_config_selectorI6__halflEEZNS1_25segmented_radix_sort_implIS3_Lb0EPKS5_PS5_PKlPlN2at6native12_GLOBAL__N_18offset_tEEE10hipError_tPvRmT1_PNSt15iterator_traitsISL_E10value_typeET2_T3_PNSM_ISR_E10value_typeET4_jRbjT5_SX_jjP12ihipStream_tbEUlT_E0_NS1_11comp_targetILNS1_3genE4ELNS1_11target_archE910ELNS1_3gpuE8ELNS1_3repE0EEENS1_60segmented_radix_sort_warp_sort_medium_config_static_selectorELNS0_4arch9wavefront6targetE0EEEvSL_
; %bb.0:
	.section	.rodata,"a",@progbits
	.p2align	6, 0x0
	.amdhsa_kernel _ZN7rocprim17ROCPRIM_400000_NS6detail17trampoline_kernelINS0_14default_configENS1_36segmented_radix_sort_config_selectorI6__halflEEZNS1_25segmented_radix_sort_implIS3_Lb0EPKS5_PS5_PKlPlN2at6native12_GLOBAL__N_18offset_tEEE10hipError_tPvRmT1_PNSt15iterator_traitsISL_E10value_typeET2_T3_PNSM_ISR_E10value_typeET4_jRbjT5_SX_jjP12ihipStream_tbEUlT_E0_NS1_11comp_targetILNS1_3genE4ELNS1_11target_archE910ELNS1_3gpuE8ELNS1_3repE0EEENS1_60segmented_radix_sort_warp_sort_medium_config_static_selectorELNS0_4arch9wavefront6targetE0EEEvSL_
		.amdhsa_group_segment_fixed_size 0
		.amdhsa_private_segment_fixed_size 0
		.amdhsa_kernarg_size 88
		.amdhsa_user_sgpr_count 2
		.amdhsa_user_sgpr_dispatch_ptr 0
		.amdhsa_user_sgpr_queue_ptr 0
		.amdhsa_user_sgpr_kernarg_segment_ptr 1
		.amdhsa_user_sgpr_dispatch_id 0
		.amdhsa_user_sgpr_private_segment_size 0
		.amdhsa_wavefront_size32 1
		.amdhsa_uses_dynamic_stack 0
		.amdhsa_enable_private_segment 0
		.amdhsa_system_sgpr_workgroup_id_x 1
		.amdhsa_system_sgpr_workgroup_id_y 0
		.amdhsa_system_sgpr_workgroup_id_z 0
		.amdhsa_system_sgpr_workgroup_info 0
		.amdhsa_system_vgpr_workitem_id 0
		.amdhsa_next_free_vgpr 1
		.amdhsa_next_free_sgpr 1
		.amdhsa_reserve_vcc 0
		.amdhsa_float_round_mode_32 0
		.amdhsa_float_round_mode_16_64 0
		.amdhsa_float_denorm_mode_32 3
		.amdhsa_float_denorm_mode_16_64 3
		.amdhsa_fp16_overflow 0
		.amdhsa_workgroup_processor_mode 1
		.amdhsa_memory_ordered 1
		.amdhsa_forward_progress 1
		.amdhsa_inst_pref_size 0
		.amdhsa_round_robin_scheduling 0
		.amdhsa_exception_fp_ieee_invalid_op 0
		.amdhsa_exception_fp_denorm_src 0
		.amdhsa_exception_fp_ieee_div_zero 0
		.amdhsa_exception_fp_ieee_overflow 0
		.amdhsa_exception_fp_ieee_underflow 0
		.amdhsa_exception_fp_ieee_inexact 0
		.amdhsa_exception_int_div_zero 0
	.end_amdhsa_kernel
	.section	.text._ZN7rocprim17ROCPRIM_400000_NS6detail17trampoline_kernelINS0_14default_configENS1_36segmented_radix_sort_config_selectorI6__halflEEZNS1_25segmented_radix_sort_implIS3_Lb0EPKS5_PS5_PKlPlN2at6native12_GLOBAL__N_18offset_tEEE10hipError_tPvRmT1_PNSt15iterator_traitsISL_E10value_typeET2_T3_PNSM_ISR_E10value_typeET4_jRbjT5_SX_jjP12ihipStream_tbEUlT_E0_NS1_11comp_targetILNS1_3genE4ELNS1_11target_archE910ELNS1_3gpuE8ELNS1_3repE0EEENS1_60segmented_radix_sort_warp_sort_medium_config_static_selectorELNS0_4arch9wavefront6targetE0EEEvSL_,"axG",@progbits,_ZN7rocprim17ROCPRIM_400000_NS6detail17trampoline_kernelINS0_14default_configENS1_36segmented_radix_sort_config_selectorI6__halflEEZNS1_25segmented_radix_sort_implIS3_Lb0EPKS5_PS5_PKlPlN2at6native12_GLOBAL__N_18offset_tEEE10hipError_tPvRmT1_PNSt15iterator_traitsISL_E10value_typeET2_T3_PNSM_ISR_E10value_typeET4_jRbjT5_SX_jjP12ihipStream_tbEUlT_E0_NS1_11comp_targetILNS1_3genE4ELNS1_11target_archE910ELNS1_3gpuE8ELNS1_3repE0EEENS1_60segmented_radix_sort_warp_sort_medium_config_static_selectorELNS0_4arch9wavefront6targetE0EEEvSL_,comdat
.Lfunc_end1854:
	.size	_ZN7rocprim17ROCPRIM_400000_NS6detail17trampoline_kernelINS0_14default_configENS1_36segmented_radix_sort_config_selectorI6__halflEEZNS1_25segmented_radix_sort_implIS3_Lb0EPKS5_PS5_PKlPlN2at6native12_GLOBAL__N_18offset_tEEE10hipError_tPvRmT1_PNSt15iterator_traitsISL_E10value_typeET2_T3_PNSM_ISR_E10value_typeET4_jRbjT5_SX_jjP12ihipStream_tbEUlT_E0_NS1_11comp_targetILNS1_3genE4ELNS1_11target_archE910ELNS1_3gpuE8ELNS1_3repE0EEENS1_60segmented_radix_sort_warp_sort_medium_config_static_selectorELNS0_4arch9wavefront6targetE0EEEvSL_, .Lfunc_end1854-_ZN7rocprim17ROCPRIM_400000_NS6detail17trampoline_kernelINS0_14default_configENS1_36segmented_radix_sort_config_selectorI6__halflEEZNS1_25segmented_radix_sort_implIS3_Lb0EPKS5_PS5_PKlPlN2at6native12_GLOBAL__N_18offset_tEEE10hipError_tPvRmT1_PNSt15iterator_traitsISL_E10value_typeET2_T3_PNSM_ISR_E10value_typeET4_jRbjT5_SX_jjP12ihipStream_tbEUlT_E0_NS1_11comp_targetILNS1_3genE4ELNS1_11target_archE910ELNS1_3gpuE8ELNS1_3repE0EEENS1_60segmented_radix_sort_warp_sort_medium_config_static_selectorELNS0_4arch9wavefront6targetE0EEEvSL_
                                        ; -- End function
	.set _ZN7rocprim17ROCPRIM_400000_NS6detail17trampoline_kernelINS0_14default_configENS1_36segmented_radix_sort_config_selectorI6__halflEEZNS1_25segmented_radix_sort_implIS3_Lb0EPKS5_PS5_PKlPlN2at6native12_GLOBAL__N_18offset_tEEE10hipError_tPvRmT1_PNSt15iterator_traitsISL_E10value_typeET2_T3_PNSM_ISR_E10value_typeET4_jRbjT5_SX_jjP12ihipStream_tbEUlT_E0_NS1_11comp_targetILNS1_3genE4ELNS1_11target_archE910ELNS1_3gpuE8ELNS1_3repE0EEENS1_60segmented_radix_sort_warp_sort_medium_config_static_selectorELNS0_4arch9wavefront6targetE0EEEvSL_.num_vgpr, 0
	.set _ZN7rocprim17ROCPRIM_400000_NS6detail17trampoline_kernelINS0_14default_configENS1_36segmented_radix_sort_config_selectorI6__halflEEZNS1_25segmented_radix_sort_implIS3_Lb0EPKS5_PS5_PKlPlN2at6native12_GLOBAL__N_18offset_tEEE10hipError_tPvRmT1_PNSt15iterator_traitsISL_E10value_typeET2_T3_PNSM_ISR_E10value_typeET4_jRbjT5_SX_jjP12ihipStream_tbEUlT_E0_NS1_11comp_targetILNS1_3genE4ELNS1_11target_archE910ELNS1_3gpuE8ELNS1_3repE0EEENS1_60segmented_radix_sort_warp_sort_medium_config_static_selectorELNS0_4arch9wavefront6targetE0EEEvSL_.num_agpr, 0
	.set _ZN7rocprim17ROCPRIM_400000_NS6detail17trampoline_kernelINS0_14default_configENS1_36segmented_radix_sort_config_selectorI6__halflEEZNS1_25segmented_radix_sort_implIS3_Lb0EPKS5_PS5_PKlPlN2at6native12_GLOBAL__N_18offset_tEEE10hipError_tPvRmT1_PNSt15iterator_traitsISL_E10value_typeET2_T3_PNSM_ISR_E10value_typeET4_jRbjT5_SX_jjP12ihipStream_tbEUlT_E0_NS1_11comp_targetILNS1_3genE4ELNS1_11target_archE910ELNS1_3gpuE8ELNS1_3repE0EEENS1_60segmented_radix_sort_warp_sort_medium_config_static_selectorELNS0_4arch9wavefront6targetE0EEEvSL_.numbered_sgpr, 0
	.set _ZN7rocprim17ROCPRIM_400000_NS6detail17trampoline_kernelINS0_14default_configENS1_36segmented_radix_sort_config_selectorI6__halflEEZNS1_25segmented_radix_sort_implIS3_Lb0EPKS5_PS5_PKlPlN2at6native12_GLOBAL__N_18offset_tEEE10hipError_tPvRmT1_PNSt15iterator_traitsISL_E10value_typeET2_T3_PNSM_ISR_E10value_typeET4_jRbjT5_SX_jjP12ihipStream_tbEUlT_E0_NS1_11comp_targetILNS1_3genE4ELNS1_11target_archE910ELNS1_3gpuE8ELNS1_3repE0EEENS1_60segmented_radix_sort_warp_sort_medium_config_static_selectorELNS0_4arch9wavefront6targetE0EEEvSL_.num_named_barrier, 0
	.set _ZN7rocprim17ROCPRIM_400000_NS6detail17trampoline_kernelINS0_14default_configENS1_36segmented_radix_sort_config_selectorI6__halflEEZNS1_25segmented_radix_sort_implIS3_Lb0EPKS5_PS5_PKlPlN2at6native12_GLOBAL__N_18offset_tEEE10hipError_tPvRmT1_PNSt15iterator_traitsISL_E10value_typeET2_T3_PNSM_ISR_E10value_typeET4_jRbjT5_SX_jjP12ihipStream_tbEUlT_E0_NS1_11comp_targetILNS1_3genE4ELNS1_11target_archE910ELNS1_3gpuE8ELNS1_3repE0EEENS1_60segmented_radix_sort_warp_sort_medium_config_static_selectorELNS0_4arch9wavefront6targetE0EEEvSL_.private_seg_size, 0
	.set _ZN7rocprim17ROCPRIM_400000_NS6detail17trampoline_kernelINS0_14default_configENS1_36segmented_radix_sort_config_selectorI6__halflEEZNS1_25segmented_radix_sort_implIS3_Lb0EPKS5_PS5_PKlPlN2at6native12_GLOBAL__N_18offset_tEEE10hipError_tPvRmT1_PNSt15iterator_traitsISL_E10value_typeET2_T3_PNSM_ISR_E10value_typeET4_jRbjT5_SX_jjP12ihipStream_tbEUlT_E0_NS1_11comp_targetILNS1_3genE4ELNS1_11target_archE910ELNS1_3gpuE8ELNS1_3repE0EEENS1_60segmented_radix_sort_warp_sort_medium_config_static_selectorELNS0_4arch9wavefront6targetE0EEEvSL_.uses_vcc, 0
	.set _ZN7rocprim17ROCPRIM_400000_NS6detail17trampoline_kernelINS0_14default_configENS1_36segmented_radix_sort_config_selectorI6__halflEEZNS1_25segmented_radix_sort_implIS3_Lb0EPKS5_PS5_PKlPlN2at6native12_GLOBAL__N_18offset_tEEE10hipError_tPvRmT1_PNSt15iterator_traitsISL_E10value_typeET2_T3_PNSM_ISR_E10value_typeET4_jRbjT5_SX_jjP12ihipStream_tbEUlT_E0_NS1_11comp_targetILNS1_3genE4ELNS1_11target_archE910ELNS1_3gpuE8ELNS1_3repE0EEENS1_60segmented_radix_sort_warp_sort_medium_config_static_selectorELNS0_4arch9wavefront6targetE0EEEvSL_.uses_flat_scratch, 0
	.set _ZN7rocprim17ROCPRIM_400000_NS6detail17trampoline_kernelINS0_14default_configENS1_36segmented_radix_sort_config_selectorI6__halflEEZNS1_25segmented_radix_sort_implIS3_Lb0EPKS5_PS5_PKlPlN2at6native12_GLOBAL__N_18offset_tEEE10hipError_tPvRmT1_PNSt15iterator_traitsISL_E10value_typeET2_T3_PNSM_ISR_E10value_typeET4_jRbjT5_SX_jjP12ihipStream_tbEUlT_E0_NS1_11comp_targetILNS1_3genE4ELNS1_11target_archE910ELNS1_3gpuE8ELNS1_3repE0EEENS1_60segmented_radix_sort_warp_sort_medium_config_static_selectorELNS0_4arch9wavefront6targetE0EEEvSL_.has_dyn_sized_stack, 0
	.set _ZN7rocprim17ROCPRIM_400000_NS6detail17trampoline_kernelINS0_14default_configENS1_36segmented_radix_sort_config_selectorI6__halflEEZNS1_25segmented_radix_sort_implIS3_Lb0EPKS5_PS5_PKlPlN2at6native12_GLOBAL__N_18offset_tEEE10hipError_tPvRmT1_PNSt15iterator_traitsISL_E10value_typeET2_T3_PNSM_ISR_E10value_typeET4_jRbjT5_SX_jjP12ihipStream_tbEUlT_E0_NS1_11comp_targetILNS1_3genE4ELNS1_11target_archE910ELNS1_3gpuE8ELNS1_3repE0EEENS1_60segmented_radix_sort_warp_sort_medium_config_static_selectorELNS0_4arch9wavefront6targetE0EEEvSL_.has_recursion, 0
	.set _ZN7rocprim17ROCPRIM_400000_NS6detail17trampoline_kernelINS0_14default_configENS1_36segmented_radix_sort_config_selectorI6__halflEEZNS1_25segmented_radix_sort_implIS3_Lb0EPKS5_PS5_PKlPlN2at6native12_GLOBAL__N_18offset_tEEE10hipError_tPvRmT1_PNSt15iterator_traitsISL_E10value_typeET2_T3_PNSM_ISR_E10value_typeET4_jRbjT5_SX_jjP12ihipStream_tbEUlT_E0_NS1_11comp_targetILNS1_3genE4ELNS1_11target_archE910ELNS1_3gpuE8ELNS1_3repE0EEENS1_60segmented_radix_sort_warp_sort_medium_config_static_selectorELNS0_4arch9wavefront6targetE0EEEvSL_.has_indirect_call, 0
	.section	.AMDGPU.csdata,"",@progbits
; Kernel info:
; codeLenInByte = 0
; TotalNumSgprs: 0
; NumVgprs: 0
; ScratchSize: 0
; MemoryBound: 0
; FloatMode: 240
; IeeeMode: 1
; LDSByteSize: 0 bytes/workgroup (compile time only)
; SGPRBlocks: 0
; VGPRBlocks: 0
; NumSGPRsForWavesPerEU: 1
; NumVGPRsForWavesPerEU: 1
; Occupancy: 16
; WaveLimiterHint : 0
; COMPUTE_PGM_RSRC2:SCRATCH_EN: 0
; COMPUTE_PGM_RSRC2:USER_SGPR: 2
; COMPUTE_PGM_RSRC2:TRAP_HANDLER: 0
; COMPUTE_PGM_RSRC2:TGID_X_EN: 1
; COMPUTE_PGM_RSRC2:TGID_Y_EN: 0
; COMPUTE_PGM_RSRC2:TGID_Z_EN: 0
; COMPUTE_PGM_RSRC2:TIDIG_COMP_CNT: 0
	.section	.text._ZN7rocprim17ROCPRIM_400000_NS6detail17trampoline_kernelINS0_14default_configENS1_36segmented_radix_sort_config_selectorI6__halflEEZNS1_25segmented_radix_sort_implIS3_Lb0EPKS5_PS5_PKlPlN2at6native12_GLOBAL__N_18offset_tEEE10hipError_tPvRmT1_PNSt15iterator_traitsISL_E10value_typeET2_T3_PNSM_ISR_E10value_typeET4_jRbjT5_SX_jjP12ihipStream_tbEUlT_E0_NS1_11comp_targetILNS1_3genE3ELNS1_11target_archE908ELNS1_3gpuE7ELNS1_3repE0EEENS1_60segmented_radix_sort_warp_sort_medium_config_static_selectorELNS0_4arch9wavefront6targetE0EEEvSL_,"axG",@progbits,_ZN7rocprim17ROCPRIM_400000_NS6detail17trampoline_kernelINS0_14default_configENS1_36segmented_radix_sort_config_selectorI6__halflEEZNS1_25segmented_radix_sort_implIS3_Lb0EPKS5_PS5_PKlPlN2at6native12_GLOBAL__N_18offset_tEEE10hipError_tPvRmT1_PNSt15iterator_traitsISL_E10value_typeET2_T3_PNSM_ISR_E10value_typeET4_jRbjT5_SX_jjP12ihipStream_tbEUlT_E0_NS1_11comp_targetILNS1_3genE3ELNS1_11target_archE908ELNS1_3gpuE7ELNS1_3repE0EEENS1_60segmented_radix_sort_warp_sort_medium_config_static_selectorELNS0_4arch9wavefront6targetE0EEEvSL_,comdat
	.globl	_ZN7rocprim17ROCPRIM_400000_NS6detail17trampoline_kernelINS0_14default_configENS1_36segmented_radix_sort_config_selectorI6__halflEEZNS1_25segmented_radix_sort_implIS3_Lb0EPKS5_PS5_PKlPlN2at6native12_GLOBAL__N_18offset_tEEE10hipError_tPvRmT1_PNSt15iterator_traitsISL_E10value_typeET2_T3_PNSM_ISR_E10value_typeET4_jRbjT5_SX_jjP12ihipStream_tbEUlT_E0_NS1_11comp_targetILNS1_3genE3ELNS1_11target_archE908ELNS1_3gpuE7ELNS1_3repE0EEENS1_60segmented_radix_sort_warp_sort_medium_config_static_selectorELNS0_4arch9wavefront6targetE0EEEvSL_ ; -- Begin function _ZN7rocprim17ROCPRIM_400000_NS6detail17trampoline_kernelINS0_14default_configENS1_36segmented_radix_sort_config_selectorI6__halflEEZNS1_25segmented_radix_sort_implIS3_Lb0EPKS5_PS5_PKlPlN2at6native12_GLOBAL__N_18offset_tEEE10hipError_tPvRmT1_PNSt15iterator_traitsISL_E10value_typeET2_T3_PNSM_ISR_E10value_typeET4_jRbjT5_SX_jjP12ihipStream_tbEUlT_E0_NS1_11comp_targetILNS1_3genE3ELNS1_11target_archE908ELNS1_3gpuE7ELNS1_3repE0EEENS1_60segmented_radix_sort_warp_sort_medium_config_static_selectorELNS0_4arch9wavefront6targetE0EEEvSL_
	.p2align	8
	.type	_ZN7rocprim17ROCPRIM_400000_NS6detail17trampoline_kernelINS0_14default_configENS1_36segmented_radix_sort_config_selectorI6__halflEEZNS1_25segmented_radix_sort_implIS3_Lb0EPKS5_PS5_PKlPlN2at6native12_GLOBAL__N_18offset_tEEE10hipError_tPvRmT1_PNSt15iterator_traitsISL_E10value_typeET2_T3_PNSM_ISR_E10value_typeET4_jRbjT5_SX_jjP12ihipStream_tbEUlT_E0_NS1_11comp_targetILNS1_3genE3ELNS1_11target_archE908ELNS1_3gpuE7ELNS1_3repE0EEENS1_60segmented_radix_sort_warp_sort_medium_config_static_selectorELNS0_4arch9wavefront6targetE0EEEvSL_,@function
_ZN7rocprim17ROCPRIM_400000_NS6detail17trampoline_kernelINS0_14default_configENS1_36segmented_radix_sort_config_selectorI6__halflEEZNS1_25segmented_radix_sort_implIS3_Lb0EPKS5_PS5_PKlPlN2at6native12_GLOBAL__N_18offset_tEEE10hipError_tPvRmT1_PNSt15iterator_traitsISL_E10value_typeET2_T3_PNSM_ISR_E10value_typeET4_jRbjT5_SX_jjP12ihipStream_tbEUlT_E0_NS1_11comp_targetILNS1_3genE3ELNS1_11target_archE908ELNS1_3gpuE7ELNS1_3repE0EEENS1_60segmented_radix_sort_warp_sort_medium_config_static_selectorELNS0_4arch9wavefront6targetE0EEEvSL_: ; @_ZN7rocprim17ROCPRIM_400000_NS6detail17trampoline_kernelINS0_14default_configENS1_36segmented_radix_sort_config_selectorI6__halflEEZNS1_25segmented_radix_sort_implIS3_Lb0EPKS5_PS5_PKlPlN2at6native12_GLOBAL__N_18offset_tEEE10hipError_tPvRmT1_PNSt15iterator_traitsISL_E10value_typeET2_T3_PNSM_ISR_E10value_typeET4_jRbjT5_SX_jjP12ihipStream_tbEUlT_E0_NS1_11comp_targetILNS1_3genE3ELNS1_11target_archE908ELNS1_3gpuE7ELNS1_3repE0EEENS1_60segmented_radix_sort_warp_sort_medium_config_static_selectorELNS0_4arch9wavefront6targetE0EEEvSL_
; %bb.0:
	.section	.rodata,"a",@progbits
	.p2align	6, 0x0
	.amdhsa_kernel _ZN7rocprim17ROCPRIM_400000_NS6detail17trampoline_kernelINS0_14default_configENS1_36segmented_radix_sort_config_selectorI6__halflEEZNS1_25segmented_radix_sort_implIS3_Lb0EPKS5_PS5_PKlPlN2at6native12_GLOBAL__N_18offset_tEEE10hipError_tPvRmT1_PNSt15iterator_traitsISL_E10value_typeET2_T3_PNSM_ISR_E10value_typeET4_jRbjT5_SX_jjP12ihipStream_tbEUlT_E0_NS1_11comp_targetILNS1_3genE3ELNS1_11target_archE908ELNS1_3gpuE7ELNS1_3repE0EEENS1_60segmented_radix_sort_warp_sort_medium_config_static_selectorELNS0_4arch9wavefront6targetE0EEEvSL_
		.amdhsa_group_segment_fixed_size 0
		.amdhsa_private_segment_fixed_size 0
		.amdhsa_kernarg_size 88
		.amdhsa_user_sgpr_count 2
		.amdhsa_user_sgpr_dispatch_ptr 0
		.amdhsa_user_sgpr_queue_ptr 0
		.amdhsa_user_sgpr_kernarg_segment_ptr 1
		.amdhsa_user_sgpr_dispatch_id 0
		.amdhsa_user_sgpr_private_segment_size 0
		.amdhsa_wavefront_size32 1
		.amdhsa_uses_dynamic_stack 0
		.amdhsa_enable_private_segment 0
		.amdhsa_system_sgpr_workgroup_id_x 1
		.amdhsa_system_sgpr_workgroup_id_y 0
		.amdhsa_system_sgpr_workgroup_id_z 0
		.amdhsa_system_sgpr_workgroup_info 0
		.amdhsa_system_vgpr_workitem_id 0
		.amdhsa_next_free_vgpr 1
		.amdhsa_next_free_sgpr 1
		.amdhsa_reserve_vcc 0
		.amdhsa_float_round_mode_32 0
		.amdhsa_float_round_mode_16_64 0
		.amdhsa_float_denorm_mode_32 3
		.amdhsa_float_denorm_mode_16_64 3
		.amdhsa_fp16_overflow 0
		.amdhsa_workgroup_processor_mode 1
		.amdhsa_memory_ordered 1
		.amdhsa_forward_progress 1
		.amdhsa_inst_pref_size 0
		.amdhsa_round_robin_scheduling 0
		.amdhsa_exception_fp_ieee_invalid_op 0
		.amdhsa_exception_fp_denorm_src 0
		.amdhsa_exception_fp_ieee_div_zero 0
		.amdhsa_exception_fp_ieee_overflow 0
		.amdhsa_exception_fp_ieee_underflow 0
		.amdhsa_exception_fp_ieee_inexact 0
		.amdhsa_exception_int_div_zero 0
	.end_amdhsa_kernel
	.section	.text._ZN7rocprim17ROCPRIM_400000_NS6detail17trampoline_kernelINS0_14default_configENS1_36segmented_radix_sort_config_selectorI6__halflEEZNS1_25segmented_radix_sort_implIS3_Lb0EPKS5_PS5_PKlPlN2at6native12_GLOBAL__N_18offset_tEEE10hipError_tPvRmT1_PNSt15iterator_traitsISL_E10value_typeET2_T3_PNSM_ISR_E10value_typeET4_jRbjT5_SX_jjP12ihipStream_tbEUlT_E0_NS1_11comp_targetILNS1_3genE3ELNS1_11target_archE908ELNS1_3gpuE7ELNS1_3repE0EEENS1_60segmented_radix_sort_warp_sort_medium_config_static_selectorELNS0_4arch9wavefront6targetE0EEEvSL_,"axG",@progbits,_ZN7rocprim17ROCPRIM_400000_NS6detail17trampoline_kernelINS0_14default_configENS1_36segmented_radix_sort_config_selectorI6__halflEEZNS1_25segmented_radix_sort_implIS3_Lb0EPKS5_PS5_PKlPlN2at6native12_GLOBAL__N_18offset_tEEE10hipError_tPvRmT1_PNSt15iterator_traitsISL_E10value_typeET2_T3_PNSM_ISR_E10value_typeET4_jRbjT5_SX_jjP12ihipStream_tbEUlT_E0_NS1_11comp_targetILNS1_3genE3ELNS1_11target_archE908ELNS1_3gpuE7ELNS1_3repE0EEENS1_60segmented_radix_sort_warp_sort_medium_config_static_selectorELNS0_4arch9wavefront6targetE0EEEvSL_,comdat
.Lfunc_end1855:
	.size	_ZN7rocprim17ROCPRIM_400000_NS6detail17trampoline_kernelINS0_14default_configENS1_36segmented_radix_sort_config_selectorI6__halflEEZNS1_25segmented_radix_sort_implIS3_Lb0EPKS5_PS5_PKlPlN2at6native12_GLOBAL__N_18offset_tEEE10hipError_tPvRmT1_PNSt15iterator_traitsISL_E10value_typeET2_T3_PNSM_ISR_E10value_typeET4_jRbjT5_SX_jjP12ihipStream_tbEUlT_E0_NS1_11comp_targetILNS1_3genE3ELNS1_11target_archE908ELNS1_3gpuE7ELNS1_3repE0EEENS1_60segmented_radix_sort_warp_sort_medium_config_static_selectorELNS0_4arch9wavefront6targetE0EEEvSL_, .Lfunc_end1855-_ZN7rocprim17ROCPRIM_400000_NS6detail17trampoline_kernelINS0_14default_configENS1_36segmented_radix_sort_config_selectorI6__halflEEZNS1_25segmented_radix_sort_implIS3_Lb0EPKS5_PS5_PKlPlN2at6native12_GLOBAL__N_18offset_tEEE10hipError_tPvRmT1_PNSt15iterator_traitsISL_E10value_typeET2_T3_PNSM_ISR_E10value_typeET4_jRbjT5_SX_jjP12ihipStream_tbEUlT_E0_NS1_11comp_targetILNS1_3genE3ELNS1_11target_archE908ELNS1_3gpuE7ELNS1_3repE0EEENS1_60segmented_radix_sort_warp_sort_medium_config_static_selectorELNS0_4arch9wavefront6targetE0EEEvSL_
                                        ; -- End function
	.set _ZN7rocprim17ROCPRIM_400000_NS6detail17trampoline_kernelINS0_14default_configENS1_36segmented_radix_sort_config_selectorI6__halflEEZNS1_25segmented_radix_sort_implIS3_Lb0EPKS5_PS5_PKlPlN2at6native12_GLOBAL__N_18offset_tEEE10hipError_tPvRmT1_PNSt15iterator_traitsISL_E10value_typeET2_T3_PNSM_ISR_E10value_typeET4_jRbjT5_SX_jjP12ihipStream_tbEUlT_E0_NS1_11comp_targetILNS1_3genE3ELNS1_11target_archE908ELNS1_3gpuE7ELNS1_3repE0EEENS1_60segmented_radix_sort_warp_sort_medium_config_static_selectorELNS0_4arch9wavefront6targetE0EEEvSL_.num_vgpr, 0
	.set _ZN7rocprim17ROCPRIM_400000_NS6detail17trampoline_kernelINS0_14default_configENS1_36segmented_radix_sort_config_selectorI6__halflEEZNS1_25segmented_radix_sort_implIS3_Lb0EPKS5_PS5_PKlPlN2at6native12_GLOBAL__N_18offset_tEEE10hipError_tPvRmT1_PNSt15iterator_traitsISL_E10value_typeET2_T3_PNSM_ISR_E10value_typeET4_jRbjT5_SX_jjP12ihipStream_tbEUlT_E0_NS1_11comp_targetILNS1_3genE3ELNS1_11target_archE908ELNS1_3gpuE7ELNS1_3repE0EEENS1_60segmented_radix_sort_warp_sort_medium_config_static_selectorELNS0_4arch9wavefront6targetE0EEEvSL_.num_agpr, 0
	.set _ZN7rocprim17ROCPRIM_400000_NS6detail17trampoline_kernelINS0_14default_configENS1_36segmented_radix_sort_config_selectorI6__halflEEZNS1_25segmented_radix_sort_implIS3_Lb0EPKS5_PS5_PKlPlN2at6native12_GLOBAL__N_18offset_tEEE10hipError_tPvRmT1_PNSt15iterator_traitsISL_E10value_typeET2_T3_PNSM_ISR_E10value_typeET4_jRbjT5_SX_jjP12ihipStream_tbEUlT_E0_NS1_11comp_targetILNS1_3genE3ELNS1_11target_archE908ELNS1_3gpuE7ELNS1_3repE0EEENS1_60segmented_radix_sort_warp_sort_medium_config_static_selectorELNS0_4arch9wavefront6targetE0EEEvSL_.numbered_sgpr, 0
	.set _ZN7rocprim17ROCPRIM_400000_NS6detail17trampoline_kernelINS0_14default_configENS1_36segmented_radix_sort_config_selectorI6__halflEEZNS1_25segmented_radix_sort_implIS3_Lb0EPKS5_PS5_PKlPlN2at6native12_GLOBAL__N_18offset_tEEE10hipError_tPvRmT1_PNSt15iterator_traitsISL_E10value_typeET2_T3_PNSM_ISR_E10value_typeET4_jRbjT5_SX_jjP12ihipStream_tbEUlT_E0_NS1_11comp_targetILNS1_3genE3ELNS1_11target_archE908ELNS1_3gpuE7ELNS1_3repE0EEENS1_60segmented_radix_sort_warp_sort_medium_config_static_selectorELNS0_4arch9wavefront6targetE0EEEvSL_.num_named_barrier, 0
	.set _ZN7rocprim17ROCPRIM_400000_NS6detail17trampoline_kernelINS0_14default_configENS1_36segmented_radix_sort_config_selectorI6__halflEEZNS1_25segmented_radix_sort_implIS3_Lb0EPKS5_PS5_PKlPlN2at6native12_GLOBAL__N_18offset_tEEE10hipError_tPvRmT1_PNSt15iterator_traitsISL_E10value_typeET2_T3_PNSM_ISR_E10value_typeET4_jRbjT5_SX_jjP12ihipStream_tbEUlT_E0_NS1_11comp_targetILNS1_3genE3ELNS1_11target_archE908ELNS1_3gpuE7ELNS1_3repE0EEENS1_60segmented_radix_sort_warp_sort_medium_config_static_selectorELNS0_4arch9wavefront6targetE0EEEvSL_.private_seg_size, 0
	.set _ZN7rocprim17ROCPRIM_400000_NS6detail17trampoline_kernelINS0_14default_configENS1_36segmented_radix_sort_config_selectorI6__halflEEZNS1_25segmented_radix_sort_implIS3_Lb0EPKS5_PS5_PKlPlN2at6native12_GLOBAL__N_18offset_tEEE10hipError_tPvRmT1_PNSt15iterator_traitsISL_E10value_typeET2_T3_PNSM_ISR_E10value_typeET4_jRbjT5_SX_jjP12ihipStream_tbEUlT_E0_NS1_11comp_targetILNS1_3genE3ELNS1_11target_archE908ELNS1_3gpuE7ELNS1_3repE0EEENS1_60segmented_radix_sort_warp_sort_medium_config_static_selectorELNS0_4arch9wavefront6targetE0EEEvSL_.uses_vcc, 0
	.set _ZN7rocprim17ROCPRIM_400000_NS6detail17trampoline_kernelINS0_14default_configENS1_36segmented_radix_sort_config_selectorI6__halflEEZNS1_25segmented_radix_sort_implIS3_Lb0EPKS5_PS5_PKlPlN2at6native12_GLOBAL__N_18offset_tEEE10hipError_tPvRmT1_PNSt15iterator_traitsISL_E10value_typeET2_T3_PNSM_ISR_E10value_typeET4_jRbjT5_SX_jjP12ihipStream_tbEUlT_E0_NS1_11comp_targetILNS1_3genE3ELNS1_11target_archE908ELNS1_3gpuE7ELNS1_3repE0EEENS1_60segmented_radix_sort_warp_sort_medium_config_static_selectorELNS0_4arch9wavefront6targetE0EEEvSL_.uses_flat_scratch, 0
	.set _ZN7rocprim17ROCPRIM_400000_NS6detail17trampoline_kernelINS0_14default_configENS1_36segmented_radix_sort_config_selectorI6__halflEEZNS1_25segmented_radix_sort_implIS3_Lb0EPKS5_PS5_PKlPlN2at6native12_GLOBAL__N_18offset_tEEE10hipError_tPvRmT1_PNSt15iterator_traitsISL_E10value_typeET2_T3_PNSM_ISR_E10value_typeET4_jRbjT5_SX_jjP12ihipStream_tbEUlT_E0_NS1_11comp_targetILNS1_3genE3ELNS1_11target_archE908ELNS1_3gpuE7ELNS1_3repE0EEENS1_60segmented_radix_sort_warp_sort_medium_config_static_selectorELNS0_4arch9wavefront6targetE0EEEvSL_.has_dyn_sized_stack, 0
	.set _ZN7rocprim17ROCPRIM_400000_NS6detail17trampoline_kernelINS0_14default_configENS1_36segmented_radix_sort_config_selectorI6__halflEEZNS1_25segmented_radix_sort_implIS3_Lb0EPKS5_PS5_PKlPlN2at6native12_GLOBAL__N_18offset_tEEE10hipError_tPvRmT1_PNSt15iterator_traitsISL_E10value_typeET2_T3_PNSM_ISR_E10value_typeET4_jRbjT5_SX_jjP12ihipStream_tbEUlT_E0_NS1_11comp_targetILNS1_3genE3ELNS1_11target_archE908ELNS1_3gpuE7ELNS1_3repE0EEENS1_60segmented_radix_sort_warp_sort_medium_config_static_selectorELNS0_4arch9wavefront6targetE0EEEvSL_.has_recursion, 0
	.set _ZN7rocprim17ROCPRIM_400000_NS6detail17trampoline_kernelINS0_14default_configENS1_36segmented_radix_sort_config_selectorI6__halflEEZNS1_25segmented_radix_sort_implIS3_Lb0EPKS5_PS5_PKlPlN2at6native12_GLOBAL__N_18offset_tEEE10hipError_tPvRmT1_PNSt15iterator_traitsISL_E10value_typeET2_T3_PNSM_ISR_E10value_typeET4_jRbjT5_SX_jjP12ihipStream_tbEUlT_E0_NS1_11comp_targetILNS1_3genE3ELNS1_11target_archE908ELNS1_3gpuE7ELNS1_3repE0EEENS1_60segmented_radix_sort_warp_sort_medium_config_static_selectorELNS0_4arch9wavefront6targetE0EEEvSL_.has_indirect_call, 0
	.section	.AMDGPU.csdata,"",@progbits
; Kernel info:
; codeLenInByte = 0
; TotalNumSgprs: 0
; NumVgprs: 0
; ScratchSize: 0
; MemoryBound: 0
; FloatMode: 240
; IeeeMode: 1
; LDSByteSize: 0 bytes/workgroup (compile time only)
; SGPRBlocks: 0
; VGPRBlocks: 0
; NumSGPRsForWavesPerEU: 1
; NumVGPRsForWavesPerEU: 1
; Occupancy: 16
; WaveLimiterHint : 0
; COMPUTE_PGM_RSRC2:SCRATCH_EN: 0
; COMPUTE_PGM_RSRC2:USER_SGPR: 2
; COMPUTE_PGM_RSRC2:TRAP_HANDLER: 0
; COMPUTE_PGM_RSRC2:TGID_X_EN: 1
; COMPUTE_PGM_RSRC2:TGID_Y_EN: 0
; COMPUTE_PGM_RSRC2:TGID_Z_EN: 0
; COMPUTE_PGM_RSRC2:TIDIG_COMP_CNT: 0
	.section	.text._ZN7rocprim17ROCPRIM_400000_NS6detail17trampoline_kernelINS0_14default_configENS1_36segmented_radix_sort_config_selectorI6__halflEEZNS1_25segmented_radix_sort_implIS3_Lb0EPKS5_PS5_PKlPlN2at6native12_GLOBAL__N_18offset_tEEE10hipError_tPvRmT1_PNSt15iterator_traitsISL_E10value_typeET2_T3_PNSM_ISR_E10value_typeET4_jRbjT5_SX_jjP12ihipStream_tbEUlT_E0_NS1_11comp_targetILNS1_3genE2ELNS1_11target_archE906ELNS1_3gpuE6ELNS1_3repE0EEENS1_60segmented_radix_sort_warp_sort_medium_config_static_selectorELNS0_4arch9wavefront6targetE0EEEvSL_,"axG",@progbits,_ZN7rocprim17ROCPRIM_400000_NS6detail17trampoline_kernelINS0_14default_configENS1_36segmented_radix_sort_config_selectorI6__halflEEZNS1_25segmented_radix_sort_implIS3_Lb0EPKS5_PS5_PKlPlN2at6native12_GLOBAL__N_18offset_tEEE10hipError_tPvRmT1_PNSt15iterator_traitsISL_E10value_typeET2_T3_PNSM_ISR_E10value_typeET4_jRbjT5_SX_jjP12ihipStream_tbEUlT_E0_NS1_11comp_targetILNS1_3genE2ELNS1_11target_archE906ELNS1_3gpuE6ELNS1_3repE0EEENS1_60segmented_radix_sort_warp_sort_medium_config_static_selectorELNS0_4arch9wavefront6targetE0EEEvSL_,comdat
	.globl	_ZN7rocprim17ROCPRIM_400000_NS6detail17trampoline_kernelINS0_14default_configENS1_36segmented_radix_sort_config_selectorI6__halflEEZNS1_25segmented_radix_sort_implIS3_Lb0EPKS5_PS5_PKlPlN2at6native12_GLOBAL__N_18offset_tEEE10hipError_tPvRmT1_PNSt15iterator_traitsISL_E10value_typeET2_T3_PNSM_ISR_E10value_typeET4_jRbjT5_SX_jjP12ihipStream_tbEUlT_E0_NS1_11comp_targetILNS1_3genE2ELNS1_11target_archE906ELNS1_3gpuE6ELNS1_3repE0EEENS1_60segmented_radix_sort_warp_sort_medium_config_static_selectorELNS0_4arch9wavefront6targetE0EEEvSL_ ; -- Begin function _ZN7rocprim17ROCPRIM_400000_NS6detail17trampoline_kernelINS0_14default_configENS1_36segmented_radix_sort_config_selectorI6__halflEEZNS1_25segmented_radix_sort_implIS3_Lb0EPKS5_PS5_PKlPlN2at6native12_GLOBAL__N_18offset_tEEE10hipError_tPvRmT1_PNSt15iterator_traitsISL_E10value_typeET2_T3_PNSM_ISR_E10value_typeET4_jRbjT5_SX_jjP12ihipStream_tbEUlT_E0_NS1_11comp_targetILNS1_3genE2ELNS1_11target_archE906ELNS1_3gpuE6ELNS1_3repE0EEENS1_60segmented_radix_sort_warp_sort_medium_config_static_selectorELNS0_4arch9wavefront6targetE0EEEvSL_
	.p2align	8
	.type	_ZN7rocprim17ROCPRIM_400000_NS6detail17trampoline_kernelINS0_14default_configENS1_36segmented_radix_sort_config_selectorI6__halflEEZNS1_25segmented_radix_sort_implIS3_Lb0EPKS5_PS5_PKlPlN2at6native12_GLOBAL__N_18offset_tEEE10hipError_tPvRmT1_PNSt15iterator_traitsISL_E10value_typeET2_T3_PNSM_ISR_E10value_typeET4_jRbjT5_SX_jjP12ihipStream_tbEUlT_E0_NS1_11comp_targetILNS1_3genE2ELNS1_11target_archE906ELNS1_3gpuE6ELNS1_3repE0EEENS1_60segmented_radix_sort_warp_sort_medium_config_static_selectorELNS0_4arch9wavefront6targetE0EEEvSL_,@function
_ZN7rocprim17ROCPRIM_400000_NS6detail17trampoline_kernelINS0_14default_configENS1_36segmented_radix_sort_config_selectorI6__halflEEZNS1_25segmented_radix_sort_implIS3_Lb0EPKS5_PS5_PKlPlN2at6native12_GLOBAL__N_18offset_tEEE10hipError_tPvRmT1_PNSt15iterator_traitsISL_E10value_typeET2_T3_PNSM_ISR_E10value_typeET4_jRbjT5_SX_jjP12ihipStream_tbEUlT_E0_NS1_11comp_targetILNS1_3genE2ELNS1_11target_archE906ELNS1_3gpuE6ELNS1_3repE0EEENS1_60segmented_radix_sort_warp_sort_medium_config_static_selectorELNS0_4arch9wavefront6targetE0EEEvSL_: ; @_ZN7rocprim17ROCPRIM_400000_NS6detail17trampoline_kernelINS0_14default_configENS1_36segmented_radix_sort_config_selectorI6__halflEEZNS1_25segmented_radix_sort_implIS3_Lb0EPKS5_PS5_PKlPlN2at6native12_GLOBAL__N_18offset_tEEE10hipError_tPvRmT1_PNSt15iterator_traitsISL_E10value_typeET2_T3_PNSM_ISR_E10value_typeET4_jRbjT5_SX_jjP12ihipStream_tbEUlT_E0_NS1_11comp_targetILNS1_3genE2ELNS1_11target_archE906ELNS1_3gpuE6ELNS1_3repE0EEENS1_60segmented_radix_sort_warp_sort_medium_config_static_selectorELNS0_4arch9wavefront6targetE0EEEvSL_
; %bb.0:
	.section	.rodata,"a",@progbits
	.p2align	6, 0x0
	.amdhsa_kernel _ZN7rocprim17ROCPRIM_400000_NS6detail17trampoline_kernelINS0_14default_configENS1_36segmented_radix_sort_config_selectorI6__halflEEZNS1_25segmented_radix_sort_implIS3_Lb0EPKS5_PS5_PKlPlN2at6native12_GLOBAL__N_18offset_tEEE10hipError_tPvRmT1_PNSt15iterator_traitsISL_E10value_typeET2_T3_PNSM_ISR_E10value_typeET4_jRbjT5_SX_jjP12ihipStream_tbEUlT_E0_NS1_11comp_targetILNS1_3genE2ELNS1_11target_archE906ELNS1_3gpuE6ELNS1_3repE0EEENS1_60segmented_radix_sort_warp_sort_medium_config_static_selectorELNS0_4arch9wavefront6targetE0EEEvSL_
		.amdhsa_group_segment_fixed_size 0
		.amdhsa_private_segment_fixed_size 0
		.amdhsa_kernarg_size 88
		.amdhsa_user_sgpr_count 2
		.amdhsa_user_sgpr_dispatch_ptr 0
		.amdhsa_user_sgpr_queue_ptr 0
		.amdhsa_user_sgpr_kernarg_segment_ptr 1
		.amdhsa_user_sgpr_dispatch_id 0
		.amdhsa_user_sgpr_private_segment_size 0
		.amdhsa_wavefront_size32 1
		.amdhsa_uses_dynamic_stack 0
		.amdhsa_enable_private_segment 0
		.amdhsa_system_sgpr_workgroup_id_x 1
		.amdhsa_system_sgpr_workgroup_id_y 0
		.amdhsa_system_sgpr_workgroup_id_z 0
		.amdhsa_system_sgpr_workgroup_info 0
		.amdhsa_system_vgpr_workitem_id 0
		.amdhsa_next_free_vgpr 1
		.amdhsa_next_free_sgpr 1
		.amdhsa_reserve_vcc 0
		.amdhsa_float_round_mode_32 0
		.amdhsa_float_round_mode_16_64 0
		.amdhsa_float_denorm_mode_32 3
		.amdhsa_float_denorm_mode_16_64 3
		.amdhsa_fp16_overflow 0
		.amdhsa_workgroup_processor_mode 1
		.amdhsa_memory_ordered 1
		.amdhsa_forward_progress 1
		.amdhsa_inst_pref_size 0
		.amdhsa_round_robin_scheduling 0
		.amdhsa_exception_fp_ieee_invalid_op 0
		.amdhsa_exception_fp_denorm_src 0
		.amdhsa_exception_fp_ieee_div_zero 0
		.amdhsa_exception_fp_ieee_overflow 0
		.amdhsa_exception_fp_ieee_underflow 0
		.amdhsa_exception_fp_ieee_inexact 0
		.amdhsa_exception_int_div_zero 0
	.end_amdhsa_kernel
	.section	.text._ZN7rocprim17ROCPRIM_400000_NS6detail17trampoline_kernelINS0_14default_configENS1_36segmented_radix_sort_config_selectorI6__halflEEZNS1_25segmented_radix_sort_implIS3_Lb0EPKS5_PS5_PKlPlN2at6native12_GLOBAL__N_18offset_tEEE10hipError_tPvRmT1_PNSt15iterator_traitsISL_E10value_typeET2_T3_PNSM_ISR_E10value_typeET4_jRbjT5_SX_jjP12ihipStream_tbEUlT_E0_NS1_11comp_targetILNS1_3genE2ELNS1_11target_archE906ELNS1_3gpuE6ELNS1_3repE0EEENS1_60segmented_radix_sort_warp_sort_medium_config_static_selectorELNS0_4arch9wavefront6targetE0EEEvSL_,"axG",@progbits,_ZN7rocprim17ROCPRIM_400000_NS6detail17trampoline_kernelINS0_14default_configENS1_36segmented_radix_sort_config_selectorI6__halflEEZNS1_25segmented_radix_sort_implIS3_Lb0EPKS5_PS5_PKlPlN2at6native12_GLOBAL__N_18offset_tEEE10hipError_tPvRmT1_PNSt15iterator_traitsISL_E10value_typeET2_T3_PNSM_ISR_E10value_typeET4_jRbjT5_SX_jjP12ihipStream_tbEUlT_E0_NS1_11comp_targetILNS1_3genE2ELNS1_11target_archE906ELNS1_3gpuE6ELNS1_3repE0EEENS1_60segmented_radix_sort_warp_sort_medium_config_static_selectorELNS0_4arch9wavefront6targetE0EEEvSL_,comdat
.Lfunc_end1856:
	.size	_ZN7rocprim17ROCPRIM_400000_NS6detail17trampoline_kernelINS0_14default_configENS1_36segmented_radix_sort_config_selectorI6__halflEEZNS1_25segmented_radix_sort_implIS3_Lb0EPKS5_PS5_PKlPlN2at6native12_GLOBAL__N_18offset_tEEE10hipError_tPvRmT1_PNSt15iterator_traitsISL_E10value_typeET2_T3_PNSM_ISR_E10value_typeET4_jRbjT5_SX_jjP12ihipStream_tbEUlT_E0_NS1_11comp_targetILNS1_3genE2ELNS1_11target_archE906ELNS1_3gpuE6ELNS1_3repE0EEENS1_60segmented_radix_sort_warp_sort_medium_config_static_selectorELNS0_4arch9wavefront6targetE0EEEvSL_, .Lfunc_end1856-_ZN7rocprim17ROCPRIM_400000_NS6detail17trampoline_kernelINS0_14default_configENS1_36segmented_radix_sort_config_selectorI6__halflEEZNS1_25segmented_radix_sort_implIS3_Lb0EPKS5_PS5_PKlPlN2at6native12_GLOBAL__N_18offset_tEEE10hipError_tPvRmT1_PNSt15iterator_traitsISL_E10value_typeET2_T3_PNSM_ISR_E10value_typeET4_jRbjT5_SX_jjP12ihipStream_tbEUlT_E0_NS1_11comp_targetILNS1_3genE2ELNS1_11target_archE906ELNS1_3gpuE6ELNS1_3repE0EEENS1_60segmented_radix_sort_warp_sort_medium_config_static_selectorELNS0_4arch9wavefront6targetE0EEEvSL_
                                        ; -- End function
	.set _ZN7rocprim17ROCPRIM_400000_NS6detail17trampoline_kernelINS0_14default_configENS1_36segmented_radix_sort_config_selectorI6__halflEEZNS1_25segmented_radix_sort_implIS3_Lb0EPKS5_PS5_PKlPlN2at6native12_GLOBAL__N_18offset_tEEE10hipError_tPvRmT1_PNSt15iterator_traitsISL_E10value_typeET2_T3_PNSM_ISR_E10value_typeET4_jRbjT5_SX_jjP12ihipStream_tbEUlT_E0_NS1_11comp_targetILNS1_3genE2ELNS1_11target_archE906ELNS1_3gpuE6ELNS1_3repE0EEENS1_60segmented_radix_sort_warp_sort_medium_config_static_selectorELNS0_4arch9wavefront6targetE0EEEvSL_.num_vgpr, 0
	.set _ZN7rocprim17ROCPRIM_400000_NS6detail17trampoline_kernelINS0_14default_configENS1_36segmented_radix_sort_config_selectorI6__halflEEZNS1_25segmented_radix_sort_implIS3_Lb0EPKS5_PS5_PKlPlN2at6native12_GLOBAL__N_18offset_tEEE10hipError_tPvRmT1_PNSt15iterator_traitsISL_E10value_typeET2_T3_PNSM_ISR_E10value_typeET4_jRbjT5_SX_jjP12ihipStream_tbEUlT_E0_NS1_11comp_targetILNS1_3genE2ELNS1_11target_archE906ELNS1_3gpuE6ELNS1_3repE0EEENS1_60segmented_radix_sort_warp_sort_medium_config_static_selectorELNS0_4arch9wavefront6targetE0EEEvSL_.num_agpr, 0
	.set _ZN7rocprim17ROCPRIM_400000_NS6detail17trampoline_kernelINS0_14default_configENS1_36segmented_radix_sort_config_selectorI6__halflEEZNS1_25segmented_radix_sort_implIS3_Lb0EPKS5_PS5_PKlPlN2at6native12_GLOBAL__N_18offset_tEEE10hipError_tPvRmT1_PNSt15iterator_traitsISL_E10value_typeET2_T3_PNSM_ISR_E10value_typeET4_jRbjT5_SX_jjP12ihipStream_tbEUlT_E0_NS1_11comp_targetILNS1_3genE2ELNS1_11target_archE906ELNS1_3gpuE6ELNS1_3repE0EEENS1_60segmented_radix_sort_warp_sort_medium_config_static_selectorELNS0_4arch9wavefront6targetE0EEEvSL_.numbered_sgpr, 0
	.set _ZN7rocprim17ROCPRIM_400000_NS6detail17trampoline_kernelINS0_14default_configENS1_36segmented_radix_sort_config_selectorI6__halflEEZNS1_25segmented_radix_sort_implIS3_Lb0EPKS5_PS5_PKlPlN2at6native12_GLOBAL__N_18offset_tEEE10hipError_tPvRmT1_PNSt15iterator_traitsISL_E10value_typeET2_T3_PNSM_ISR_E10value_typeET4_jRbjT5_SX_jjP12ihipStream_tbEUlT_E0_NS1_11comp_targetILNS1_3genE2ELNS1_11target_archE906ELNS1_3gpuE6ELNS1_3repE0EEENS1_60segmented_radix_sort_warp_sort_medium_config_static_selectorELNS0_4arch9wavefront6targetE0EEEvSL_.num_named_barrier, 0
	.set _ZN7rocprim17ROCPRIM_400000_NS6detail17trampoline_kernelINS0_14default_configENS1_36segmented_radix_sort_config_selectorI6__halflEEZNS1_25segmented_radix_sort_implIS3_Lb0EPKS5_PS5_PKlPlN2at6native12_GLOBAL__N_18offset_tEEE10hipError_tPvRmT1_PNSt15iterator_traitsISL_E10value_typeET2_T3_PNSM_ISR_E10value_typeET4_jRbjT5_SX_jjP12ihipStream_tbEUlT_E0_NS1_11comp_targetILNS1_3genE2ELNS1_11target_archE906ELNS1_3gpuE6ELNS1_3repE0EEENS1_60segmented_radix_sort_warp_sort_medium_config_static_selectorELNS0_4arch9wavefront6targetE0EEEvSL_.private_seg_size, 0
	.set _ZN7rocprim17ROCPRIM_400000_NS6detail17trampoline_kernelINS0_14default_configENS1_36segmented_radix_sort_config_selectorI6__halflEEZNS1_25segmented_radix_sort_implIS3_Lb0EPKS5_PS5_PKlPlN2at6native12_GLOBAL__N_18offset_tEEE10hipError_tPvRmT1_PNSt15iterator_traitsISL_E10value_typeET2_T3_PNSM_ISR_E10value_typeET4_jRbjT5_SX_jjP12ihipStream_tbEUlT_E0_NS1_11comp_targetILNS1_3genE2ELNS1_11target_archE906ELNS1_3gpuE6ELNS1_3repE0EEENS1_60segmented_radix_sort_warp_sort_medium_config_static_selectorELNS0_4arch9wavefront6targetE0EEEvSL_.uses_vcc, 0
	.set _ZN7rocprim17ROCPRIM_400000_NS6detail17trampoline_kernelINS0_14default_configENS1_36segmented_radix_sort_config_selectorI6__halflEEZNS1_25segmented_radix_sort_implIS3_Lb0EPKS5_PS5_PKlPlN2at6native12_GLOBAL__N_18offset_tEEE10hipError_tPvRmT1_PNSt15iterator_traitsISL_E10value_typeET2_T3_PNSM_ISR_E10value_typeET4_jRbjT5_SX_jjP12ihipStream_tbEUlT_E0_NS1_11comp_targetILNS1_3genE2ELNS1_11target_archE906ELNS1_3gpuE6ELNS1_3repE0EEENS1_60segmented_radix_sort_warp_sort_medium_config_static_selectorELNS0_4arch9wavefront6targetE0EEEvSL_.uses_flat_scratch, 0
	.set _ZN7rocprim17ROCPRIM_400000_NS6detail17trampoline_kernelINS0_14default_configENS1_36segmented_radix_sort_config_selectorI6__halflEEZNS1_25segmented_radix_sort_implIS3_Lb0EPKS5_PS5_PKlPlN2at6native12_GLOBAL__N_18offset_tEEE10hipError_tPvRmT1_PNSt15iterator_traitsISL_E10value_typeET2_T3_PNSM_ISR_E10value_typeET4_jRbjT5_SX_jjP12ihipStream_tbEUlT_E0_NS1_11comp_targetILNS1_3genE2ELNS1_11target_archE906ELNS1_3gpuE6ELNS1_3repE0EEENS1_60segmented_radix_sort_warp_sort_medium_config_static_selectorELNS0_4arch9wavefront6targetE0EEEvSL_.has_dyn_sized_stack, 0
	.set _ZN7rocprim17ROCPRIM_400000_NS6detail17trampoline_kernelINS0_14default_configENS1_36segmented_radix_sort_config_selectorI6__halflEEZNS1_25segmented_radix_sort_implIS3_Lb0EPKS5_PS5_PKlPlN2at6native12_GLOBAL__N_18offset_tEEE10hipError_tPvRmT1_PNSt15iterator_traitsISL_E10value_typeET2_T3_PNSM_ISR_E10value_typeET4_jRbjT5_SX_jjP12ihipStream_tbEUlT_E0_NS1_11comp_targetILNS1_3genE2ELNS1_11target_archE906ELNS1_3gpuE6ELNS1_3repE0EEENS1_60segmented_radix_sort_warp_sort_medium_config_static_selectorELNS0_4arch9wavefront6targetE0EEEvSL_.has_recursion, 0
	.set _ZN7rocprim17ROCPRIM_400000_NS6detail17trampoline_kernelINS0_14default_configENS1_36segmented_radix_sort_config_selectorI6__halflEEZNS1_25segmented_radix_sort_implIS3_Lb0EPKS5_PS5_PKlPlN2at6native12_GLOBAL__N_18offset_tEEE10hipError_tPvRmT1_PNSt15iterator_traitsISL_E10value_typeET2_T3_PNSM_ISR_E10value_typeET4_jRbjT5_SX_jjP12ihipStream_tbEUlT_E0_NS1_11comp_targetILNS1_3genE2ELNS1_11target_archE906ELNS1_3gpuE6ELNS1_3repE0EEENS1_60segmented_radix_sort_warp_sort_medium_config_static_selectorELNS0_4arch9wavefront6targetE0EEEvSL_.has_indirect_call, 0
	.section	.AMDGPU.csdata,"",@progbits
; Kernel info:
; codeLenInByte = 0
; TotalNumSgprs: 0
; NumVgprs: 0
; ScratchSize: 0
; MemoryBound: 0
; FloatMode: 240
; IeeeMode: 1
; LDSByteSize: 0 bytes/workgroup (compile time only)
; SGPRBlocks: 0
; VGPRBlocks: 0
; NumSGPRsForWavesPerEU: 1
; NumVGPRsForWavesPerEU: 1
; Occupancy: 16
; WaveLimiterHint : 0
; COMPUTE_PGM_RSRC2:SCRATCH_EN: 0
; COMPUTE_PGM_RSRC2:USER_SGPR: 2
; COMPUTE_PGM_RSRC2:TRAP_HANDLER: 0
; COMPUTE_PGM_RSRC2:TGID_X_EN: 1
; COMPUTE_PGM_RSRC2:TGID_Y_EN: 0
; COMPUTE_PGM_RSRC2:TGID_Z_EN: 0
; COMPUTE_PGM_RSRC2:TIDIG_COMP_CNT: 0
	.text
	.p2align	2                               ; -- Begin function _ZN7rocprim17ROCPRIM_400000_NS6detail26segmented_warp_sort_helperINS1_20WarpSortHelperConfigILj16ELj8ELj256EEE6__halflLi256ELb0EvE4sortIPKS5_PS5_PKlPlEEvT_T0_T1_T2_jjjjRNS6_12storage_typeE
	.type	_ZN7rocprim17ROCPRIM_400000_NS6detail26segmented_warp_sort_helperINS1_20WarpSortHelperConfigILj16ELj8ELj256EEE6__halflLi256ELb0EvE4sortIPKS5_PS5_PKlPlEEvT_T0_T1_T2_jjjjRNS6_12storage_typeE,@function
_ZN7rocprim17ROCPRIM_400000_NS6detail26segmented_warp_sort_helperINS1_20WarpSortHelperConfigILj16ELj8ELj256EEE6__halflLi256ELb0EvE4sortIPKS5_PS5_PKlPlEEvT_T0_T1_T2_jjjjRNS6_12storage_typeE: ; @_ZN7rocprim17ROCPRIM_400000_NS6detail26segmented_warp_sort_helperINS1_20WarpSortHelperConfigILj16ELj8ELj256EEE6__halflLi256ELb0EvE4sortIPKS5_PS5_PKlPlEEvT_T0_T1_T2_jjjjRNS6_12storage_typeE
; %bb.0:
	s_wait_loadcnt_dscnt 0x0
	s_wait_expcnt 0x0
	s_wait_samplecnt 0x0
	s_wait_bvhcnt 0x0
	s_wait_kmcnt 0x0
	v_mov_b32_e32 v10, v9
	v_mbcnt_lo_u32_b32 v9, -1, 0
	v_dual_mov_b32 v36, 0x7fff :: v_dual_mov_b32 v39, 0x7fff
	s_delay_alu instid0(VALU_DEP_2) | instskip(SKIP_2) | instid1(VALU_DEP_3)
	v_lshlrev_b32_e32 v35, 3, v9
	v_mov_b32_e32 v9, 0
	v_sub_nc_u32_e32 v10, v10, v8
	v_and_b32_e32 v34, 0x78, v35
	s_delay_alu instid0(VALU_DEP_3) | instskip(NEXT) | instid1(VALU_DEP_2)
	v_lshlrev_b64_e32 v[11:12], 1, v[8:9]
	v_lshlrev_b32_e32 v32, 1, v34
	s_delay_alu instid0(VALU_DEP_2) | instskip(SKIP_1) | instid1(VALU_DEP_3)
	v_add_co_u32 v0, vcc_lo, v0, v11
	s_wait_alu 0xfffd
	v_add_co_ci_u32_e64 v1, null, v1, v12, vcc_lo
	s_delay_alu instid0(VALU_DEP_2) | instskip(SKIP_1) | instid1(VALU_DEP_2)
	v_add_co_u32 v0, vcc_lo, v0, v32
	s_wait_alu 0xfffd
	v_add_co_ci_u32_e64 v1, null, 0, v1, vcc_lo
	v_cmp_lt_u32_e32 vcc_lo, v34, v10
	s_and_saveexec_b32 s0, vcc_lo
	s_cbranch_execz .LBB1857_2
; %bb.1:
	flat_load_u16 v36, v[0:1]
.LBB1857_2:
	s_wait_alu 0xfffe
	s_or_b32 exec_lo, exec_lo, s0
	v_or_b32_e32 v13, 1, v34
	s_delay_alu instid0(VALU_DEP_1)
	v_cmp_lt_u32_e64 s0, v13, v10
	s_and_saveexec_b32 s1, s0
	s_cbranch_execz .LBB1857_4
; %bb.3:
	flat_load_u16 v39, v[0:1] offset:2
.LBB1857_4:
	s_wait_alu 0xfffe
	s_or_b32 exec_lo, exec_lo, s1
	v_or_b32_e32 v13, 2, v34
	v_dual_mov_b32 v51, 0x7fff :: v_dual_mov_b32 v48, 0x7fff
	s_delay_alu instid0(VALU_DEP_2)
	v_cmp_lt_u32_e64 s1, v13, v10
	s_and_saveexec_b32 s2, s1
	s_cbranch_execz .LBB1857_6
; %bb.5:
	flat_load_u16 v48, v[0:1] offset:4
.LBB1857_6:
	s_wait_alu 0xfffe
	s_or_b32 exec_lo, exec_lo, s2
	v_or_b32_e32 v13, 3, v34
	s_delay_alu instid0(VALU_DEP_1)
	v_cmp_lt_u32_e64 s2, v13, v10
	s_and_saveexec_b32 s3, s2
	s_cbranch_execz .LBB1857_8
; %bb.7:
	flat_load_u16 v51, v[0:1] offset:6
.LBB1857_8:
	s_wait_alu 0xfffe
	s_or_b32 exec_lo, exec_lo, s3
	v_or_b32_e32 v13, 4, v34
	v_dual_mov_b32 v38, 0x7fff :: v_dual_mov_b32 v49, 0x7fff
	s_delay_alu instid0(VALU_DEP_2)
	v_cmp_lt_u32_e64 s3, v13, v10
	s_and_saveexec_b32 s4, s3
	s_cbranch_execz .LBB1857_10
; %bb.9:
	flat_load_u16 v49, v[0:1] offset:8
.LBB1857_10:
	;; [unrolled: 21-line block ×3, first 2 shown]
	s_wait_alu 0xfffe
	s_or_b32 exec_lo, exec_lo, s6
	v_or_b32_e32 v13, 7, v34
	s_delay_alu instid0(VALU_DEP_1)
	v_cmp_lt_u32_e64 s6, v13, v10
	s_and_saveexec_b32 s7, s6
	s_cbranch_execz .LBB1857_16
; %bb.15:
	flat_load_u16 v37, v[0:1] offset:14
.LBB1857_16:
	s_wait_alu 0xfffe
	s_or_b32 exec_lo, exec_lo, s7
	v_lshlrev_b64_e32 v[0:1], 3, v[8:9]
	v_lshlrev_b32_e32 v33, 3, v34
	; wave barrier
	s_delay_alu instid0(VALU_DEP_2) | instskip(SKIP_1) | instid1(VALU_DEP_3)
	v_add_co_u32 v4, s7, v4, v0
	s_wait_alu 0xf1ff
	v_add_co_ci_u32_e64 v5, null, v5, v1, s7
	s_delay_alu instid0(VALU_DEP_2) | instskip(SKIP_1) | instid1(VALU_DEP_2)
	v_add_co_u32 v13, s7, v4, v33
	s_wait_alu 0xf1ff
	v_add_co_ci_u32_e64 v14, null, 0, v5, s7
                                        ; implicit-def: $vgpr4_vgpr5
	s_and_saveexec_b32 s7, vcc_lo
	s_cbranch_execnz .LBB1857_261
; %bb.17:
	s_wait_alu 0xfffe
	s_or_b32 exec_lo, exec_lo, s7
                                        ; implicit-def: $vgpr8_vgpr9
	s_and_saveexec_b32 s7, s0
	s_cbranch_execnz .LBB1857_262
.LBB1857_18:
	s_wait_alu 0xfffe
	s_or_b32 exec_lo, exec_lo, s7
                                        ; implicit-def: $vgpr15_vgpr16
	s_and_saveexec_b32 s7, s1
	s_cbranch_execnz .LBB1857_263
.LBB1857_19:
	s_wait_alu 0xfffe
	s_or_b32 exec_lo, exec_lo, s7
                                        ; implicit-def: $vgpr17_vgpr18
	s_and_saveexec_b32 s7, s2
	s_cbranch_execnz .LBB1857_264
.LBB1857_20:
	s_wait_alu 0xfffe
	s_or_b32 exec_lo, exec_lo, s7
                                        ; implicit-def: $vgpr19_vgpr20
	s_and_saveexec_b32 s7, s3
	s_cbranch_execnz .LBB1857_265
.LBB1857_21:
	s_wait_alu 0xfffe
	s_or_b32 exec_lo, exec_lo, s7
                                        ; implicit-def: $vgpr23_vgpr24
	s_and_saveexec_b32 s7, s4
	s_cbranch_execnz .LBB1857_266
.LBB1857_22:
	s_wait_alu 0xfffe
	s_or_b32 exec_lo, exec_lo, s7
                                        ; implicit-def: $vgpr21_vgpr22
	s_and_saveexec_b32 s7, s5
	s_cbranch_execnz .LBB1857_267
.LBB1857_23:
	s_wait_alu 0xfffe
	s_or_b32 exec_lo, exec_lo, s7
                                        ; implicit-def: $vgpr25_vgpr26
	s_and_saveexec_b32 s7, s6
	s_cbranch_execz .LBB1857_25
.LBB1857_24:
	flat_load_b64 v[25:26], v[13:14] offset:56
.LBB1857_25:
	s_wait_alu 0xfffe
	s_or_b32 exec_lo, exec_lo, s7
	; wave barrier
	s_load_b64 s[10:11], s[8:9], 0x0
	s_and_b32 s7, ttmp7, 0xffff
	s_mov_b32 s13, 0
	v_bfe_u32 v10, v31, 10, 10
	v_bfe_u32 v13, v31, 20, 10
	s_wait_kmcnt 0x0
	s_wait_alu 0xfffe
	s_cmp_lt_u32 s7, s11
	s_cselect_b32 s12, 14, 20
	s_cmp_lt_u32 ttmp9, s10
	s_wait_alu 0xfffe
	s_add_nc_u64 s[14:15], s[8:9], s[12:13]
	s_cselect_b32 s12, 12, 18
	s_load_u16 s7, s[14:15], 0x0
	s_add_nc_u64 s[8:9], s[8:9], s[12:13]
	s_load_u16 s8, s[8:9], 0x0
	s_wait_kmcnt 0x0
	v_mad_u32_u24 v10, v13, s7, v10
	v_and_b32_e32 v13, 0x3ff, v31
	s_delay_alu instid0(VALU_DEP_2) | instskip(SKIP_1) | instid1(VALU_DEP_1)
	v_mul_lo_u32 v10, v10, s8
	s_mov_b32 s8, exec_lo
	v_add_lshl_u32 v10, v10, v13, 3
	s_delay_alu instid0(VALU_DEP_1)
	v_cmpx_gt_u32_e32 0x800, v10
	s_cbranch_execz .LBB1857_83
; %bb.26:
	s_wait_loadcnt_dscnt 0x0
	v_add_f16_e32 v13, 0, v36
	v_add_f16_e32 v14, 0, v39
	v_mov_b32_e32 v31, v39
	s_mov_b32 s9, exec_lo
	s_delay_alu instid0(VALU_DEP_3) | instskip(SKIP_1) | instid1(VALU_DEP_1)
	v_cmp_lt_i16_e64 s7, -1, v13
	s_wait_alu 0xf1ff
	v_cndmask_b32_e64 v27, -1, 0xffff8000, s7
	v_cmp_lt_i16_e64 s7, -1, v14
	s_delay_alu instid0(VALU_DEP_2) | instskip(SKIP_1) | instid1(VALU_DEP_2)
	v_xor_b32_e32 v13, v27, v13
	s_wait_alu 0xf1ff
	v_cndmask_b32_e64 v28, -1, 0xffff8000, s7
	s_delay_alu instid0(VALU_DEP_1) | instskip(SKIP_1) | instid1(VALU_DEP_2)
	v_xor_b32_e32 v14, v28, v14
	v_dual_mov_b32 v28, v9 :: v_dual_mov_b32 v27, v8
	v_cmpx_gt_u16_e64 v13, v14
; %bb.27:
	v_dual_mov_b32 v31, v36 :: v_dual_mov_b32 v36, v39
	v_dual_mov_b32 v28, v5 :: v_dual_mov_b32 v27, v4
	;; [unrolled: 1-line block ×3, first 2 shown]
; %bb.28:
	s_wait_alu 0xfffe
	s_or_b32 exec_lo, exec_lo, s9
	v_add_f16_e32 v8, 0, v48
	v_add_f16_e32 v9, 0, v51
	v_mov_b32_e32 v30, v18
	v_dual_mov_b32 v52, v51 :: v_dual_mov_b32 v29, v17
	s_delay_alu instid0(VALU_DEP_4) | instskip(SKIP_4) | instid1(VALU_DEP_2)
	v_cmp_lt_i16_e64 s7, -1, v8
	s_mov_b32 s9, exec_lo
	s_wait_alu 0xf1ff
	v_cndmask_b32_e64 v13, -1, 0xffff8000, s7
	v_cmp_lt_i16_e64 s7, -1, v9
	v_xor_b32_e32 v8, v13, v8
	s_wait_alu 0xf1ff
	s_delay_alu instid0(VALU_DEP_2) | instskip(NEXT) | instid1(VALU_DEP_1)
	v_cndmask_b32_e64 v14, -1, 0xffff8000, s7
	v_xor_b32_e32 v9, v14, v9
	s_delay_alu instid0(VALU_DEP_1)
	v_cmpx_gt_u16_e64 v8, v9
; %bb.29:
	v_mov_b32_e32 v30, v16
	v_dual_mov_b32 v52, v48 :: v_dual_mov_b32 v29, v15
	v_dual_mov_b32 v48, v51 :: v_dual_mov_b32 v15, v17
	v_mov_b32_e32 v16, v18
; %bb.30:
	s_wait_alu 0xfffe
	s_or_b32 exec_lo, exec_lo, s9
	v_add_f16_e32 v8, 0, v49
	v_add_f16_e32 v9, 0, v38
	v_mov_b32_e32 v51, v49
	s_mov_b32 s9, exec_lo
	s_delay_alu instid0(VALU_DEP_3) | instskip(SKIP_1) | instid1(VALU_DEP_1)
	v_cmp_lt_i16_e64 s7, -1, v8
	s_wait_alu 0xf1ff
	v_cndmask_b32_e64 v13, -1, 0xffff8000, s7
	v_cmp_lt_i16_e64 s7, -1, v9
	s_delay_alu instid0(VALU_DEP_2) | instskip(SKIP_1) | instid1(VALU_DEP_2)
	v_xor_b32_e32 v8, v13, v8
	s_wait_alu 0xf1ff
	v_cndmask_b32_e64 v14, -1, 0xffff8000, s7
	s_delay_alu instid0(VALU_DEP_1) | instskip(SKIP_1) | instid1(VALU_DEP_2)
	v_xor_b32_e32 v9, v14, v9
	v_dual_mov_b32 v13, v23 :: v_dual_mov_b32 v14, v24
	v_cmpx_gt_u16_e64 v8, v9
; %bb.31:
	v_dual_mov_b32 v13, v19 :: v_dual_mov_b32 v14, v20
	v_dual_mov_b32 v19, v23 :: v_dual_mov_b32 v20, v24
	;; [unrolled: 1-line block ×3, first 2 shown]
; %bb.32:
	s_wait_alu 0xfffe
	s_or_b32 exec_lo, exec_lo, s9
	v_add_f16_e32 v8, 0, v50
	v_add_f16_e32 v9, 0, v37
	v_mov_b32_e32 v49, v50
	s_mov_b32 s9, exec_lo
	s_delay_alu instid0(VALU_DEP_3) | instskip(SKIP_1) | instid1(VALU_DEP_1)
	v_cmp_lt_i16_e64 s7, -1, v8
	s_wait_alu 0xf1ff
	v_cndmask_b32_e64 v17, -1, 0xffff8000, s7
	v_cmp_lt_i16_e64 s7, -1, v9
	s_delay_alu instid0(VALU_DEP_2) | instskip(SKIP_1) | instid1(VALU_DEP_2)
	v_xor_b32_e32 v17, v17, v8
	s_wait_alu 0xf1ff
	v_cndmask_b32_e64 v18, -1, 0xffff8000, s7
	s_delay_alu instid0(VALU_DEP_1) | instskip(SKIP_1) | instid1(VALU_DEP_2)
	v_xor_b32_e32 v18, v18, v9
	v_dual_mov_b32 v8, v25 :: v_dual_mov_b32 v9, v26
	v_cmpx_gt_u16_e64 v17, v18
; %bb.33:
	v_dual_mov_b32 v8, v21 :: v_dual_mov_b32 v9, v22
	v_dual_mov_b32 v21, v25 :: v_dual_mov_b32 v22, v26
	v_mov_b32_e32 v49, v37
	v_mov_b32_e32 v37, v50
; %bb.34:
	s_wait_alu 0xfffe
	s_or_b32 exec_lo, exec_lo, s9
	v_add_f16_e32 v17, 0, v31
	v_add_f16_e32 v18, 0, v48
	v_mov_b32_e32 v39, v48
	s_delay_alu instid0(VALU_DEP_3) | instskip(SKIP_1) | instid1(VALU_DEP_1)
	v_cmp_lt_i16_e64 s7, -1, v17
	s_wait_alu 0xf1ff
	v_cndmask_b32_e64 v23, -1, 0xffff8000, s7
	v_cmp_lt_i16_e64 s7, -1, v18
	s_delay_alu instid0(VALU_DEP_2) | instskip(SKIP_1) | instid1(VALU_DEP_2)
	v_xor_b32_e32 v17, v23, v17
	s_wait_alu 0xf1ff
	v_cndmask_b32_e64 v24, -1, 0xffff8000, s7
	s_delay_alu instid0(VALU_DEP_1) | instskip(SKIP_1) | instid1(VALU_DEP_2)
	v_xor_b32_e32 v18, v24, v18
	v_dual_mov_b32 v24, v16 :: v_dual_mov_b32 v23, v15
	v_cmp_gt_u16_e64 s7, v17, v18
	s_and_saveexec_b32 s9, s7
	s_wait_alu 0xfffe
	s_xor_b32 s7, exec_lo, s9
; %bb.35:
	v_mov_b32_e32 v23, v27
	v_dual_mov_b32 v39, v31 :: v_dual_mov_b32 v24, v28
	v_dual_mov_b32 v31, v48 :: v_dual_mov_b32 v28, v16
	v_mov_b32_e32 v27, v15
; %bb.36:
	s_wait_alu 0xfffe
	s_or_b32 exec_lo, exec_lo, s7
	v_add_f16_e32 v15, 0, v52
	v_add_f16_e32 v16, 0, v51
	s_mov_b32 s9, exec_lo
	v_dual_mov_b32 v26, v20 :: v_dual_mov_b32 v25, v19
	s_delay_alu instid0(VALU_DEP_3) | instskip(SKIP_1) | instid1(VALU_DEP_1)
	v_cmp_lt_i16_e64 s7, -1, v15
	s_wait_alu 0xf1ff
	v_cndmask_b32_e64 v17, -1, 0xffff8000, s7
	v_cmp_lt_i16_e64 s7, -1, v16
	s_delay_alu instid0(VALU_DEP_2) | instskip(SKIP_1) | instid1(VALU_DEP_2)
	v_xor_b32_e32 v15, v17, v15
	s_wait_alu 0xf1ff
	v_cndmask_b32_e64 v18, -1, 0xffff8000, s7
	v_mov_b32_e32 v17, v52
	s_delay_alu instid0(VALU_DEP_2) | instskip(NEXT) | instid1(VALU_DEP_1)
	v_xor_b32_e32 v16, v18, v16
	v_cmpx_gt_u16_e64 v15, v16
; %bb.37:
	v_mov_b32_e32 v25, v29
	v_dual_mov_b32 v17, v51 :: v_dual_mov_b32 v26, v30
	v_dual_mov_b32 v30, v20 :: v_dual_mov_b32 v29, v19
	v_mov_b32_e32 v51, v52
; %bb.38:
	s_wait_alu 0xfffe
	s_or_b32 exec_lo, exec_lo, s9
	v_add_f16_e32 v15, 0, v38
	v_add_f16_e32 v16, 0, v49
	v_mov_b32_e32 v48, v38
	s_mov_b32 s9, exec_lo
	s_delay_alu instid0(VALU_DEP_3) | instskip(SKIP_1) | instid1(VALU_DEP_1)
	v_cmp_lt_i16_e64 s7, -1, v15
	s_wait_alu 0xf1ff
	v_cndmask_b32_e64 v18, -1, 0xffff8000, s7
	v_cmp_lt_i16_e64 s7, -1, v16
	s_delay_alu instid0(VALU_DEP_2) | instskip(SKIP_1) | instid1(VALU_DEP_2)
	v_xor_b32_e32 v18, v18, v15
	s_wait_alu 0xf1ff
	v_cndmask_b32_e64 v19, -1, 0xffff8000, s7
	s_delay_alu instid0(VALU_DEP_1) | instskip(SKIP_1) | instid1(VALU_DEP_2)
	v_xor_b32_e32 v19, v19, v16
	v_dual_mov_b32 v15, v21 :: v_dual_mov_b32 v16, v22
	v_cmpx_gt_u16_e64 v18, v19
; %bb.39:
	v_dual_mov_b32 v16, v14 :: v_dual_mov_b32 v15, v13
	v_dual_mov_b32 v13, v21 :: v_dual_mov_b32 v14, v22
	v_dual_mov_b32 v48, v49 :: v_dual_mov_b32 v49, v38
; %bb.40:
	s_wait_alu 0xfffe
	s_or_b32 exec_lo, exec_lo, s9
	v_add_f16_e32 v18, 0, v36
	v_add_f16_e32 v19, 0, v31
	v_mov_b32_e32 v38, v31
	s_delay_alu instid0(VALU_DEP_3) | instskip(SKIP_1) | instid1(VALU_DEP_1)
	v_cmp_lt_i16_e64 s7, -1, v18
	s_wait_alu 0xf1ff
	v_cndmask_b32_e64 v20, -1, 0xffff8000, s7
	v_cmp_lt_i16_e64 s7, -1, v19
	s_delay_alu instid0(VALU_DEP_2) | instskip(SKIP_1) | instid1(VALU_DEP_2)
	v_xor_b32_e32 v18, v20, v18
	s_wait_alu 0xf1ff
	v_cndmask_b32_e64 v21, -1, 0xffff8000, s7
	s_delay_alu instid0(VALU_DEP_1) | instskip(NEXT) | instid1(VALU_DEP_1)
	v_xor_b32_e32 v19, v21, v19
	v_cmp_gt_u16_e64 s7, v18, v19
	v_dual_mov_b32 v19, v27 :: v_dual_mov_b32 v20, v28
	s_and_saveexec_b32 s9, s7
; %bb.41:
	v_mov_b32_e32 v20, v5
	v_dual_mov_b32 v38, v36 :: v_dual_mov_b32 v19, v4
	v_mov_b32_e32 v4, v27
	v_dual_mov_b32 v36, v31 :: v_dual_mov_b32 v5, v28
; %bb.42:
	s_wait_alu 0xfffe
	s_or_b32 exec_lo, exec_lo, s9
	v_add_f16_e32 v18, 0, v39
	v_add_f16_e32 v21, 0, v17
	v_mov_b32_e32 v53, v17
	s_mov_b32 s9, exec_lo
	s_delay_alu instid0(VALU_DEP_3) | instskip(SKIP_1) | instid1(VALU_DEP_1)
	v_cmp_lt_i16_e64 s7, -1, v18
	s_wait_alu 0xf1ff
	v_cndmask_b32_e64 v22, -1, 0xffff8000, s7
	v_cmp_lt_i16_e64 s7, -1, v21
	s_delay_alu instid0(VALU_DEP_2) | instskip(SKIP_1) | instid1(VALU_DEP_2)
	v_xor_b32_e32 v18, v22, v18
	s_wait_alu 0xf1ff
	v_cndmask_b32_e64 v27, -1, 0xffff8000, s7
	s_delay_alu instid0(VALU_DEP_1) | instskip(SKIP_1) | instid1(VALU_DEP_2)
	v_xor_b32_e32 v21, v27, v21
	v_dual_mov_b32 v27, v29 :: v_dual_mov_b32 v28, v30
	v_cmpx_gt_u16_e64 v18, v21
; %bb.43:
	v_dual_mov_b32 v53, v39 :: v_dual_mov_b32 v28, v24
	v_mov_b32_e32 v27, v23
	v_mov_b32_e32 v23, v29
	v_dual_mov_b32 v39, v17 :: v_dual_mov_b32 v24, v30
; %bb.44:
	s_wait_alu 0xfffe
	s_or_b32 exec_lo, exec_lo, s9
	v_add_f16_e32 v17, 0, v51
	v_add_f16_e32 v18, 0, v48
	v_mov_b32_e32 v52, v51
	s_mov_b32 s9, exec_lo
	s_delay_alu instid0(VALU_DEP_3) | instskip(SKIP_1) | instid1(VALU_DEP_1)
	v_cmp_lt_i16_e64 s7, -1, v17
	s_wait_alu 0xf1ff
	v_cndmask_b32_e64 v21, -1, 0xffff8000, s7
	v_cmp_lt_i16_e64 s7, -1, v18
	s_delay_alu instid0(VALU_DEP_2) | instskip(SKIP_1) | instid1(VALU_DEP_2)
	v_xor_b32_e32 v21, v21, v17
	s_wait_alu 0xf1ff
	v_cndmask_b32_e64 v22, -1, 0xffff8000, s7
	s_delay_alu instid0(VALU_DEP_1) | instskip(SKIP_1) | instid1(VALU_DEP_2)
	v_xor_b32_e32 v22, v22, v18
	v_dual_mov_b32 v18, v14 :: v_dual_mov_b32 v17, v13
	v_cmpx_gt_u16_e64 v21, v22
; %bb.45:
	v_dual_mov_b32 v17, v25 :: v_dual_mov_b32 v18, v26
	v_dual_mov_b32 v26, v14 :: v_dual_mov_b32 v25, v13
	v_mov_b32_e32 v52, v48
	v_mov_b32_e32 v48, v51
; %bb.46:
	s_wait_alu 0xfffe
	s_or_b32 exec_lo, exec_lo, s9
	v_add_f16_e32 v13, 0, v49
	v_add_f16_e32 v14, 0, v37
	v_mov_b32_e32 v50, v49
	s_mov_b32 s9, exec_lo
	s_delay_alu instid0(VALU_DEP_3) | instskip(SKIP_1) | instid1(VALU_DEP_1)
	v_cmp_lt_i16_e64 s7, -1, v13
	s_wait_alu 0xf1ff
	v_cndmask_b32_e64 v21, -1, 0xffff8000, s7
	v_cmp_lt_i16_e64 s7, -1, v14
	s_delay_alu instid0(VALU_DEP_2) | instskip(SKIP_1) | instid1(VALU_DEP_2)
	v_xor_b32_e32 v21, v21, v13
	s_wait_alu 0xf1ff
	v_cndmask_b32_e64 v22, -1, 0xffff8000, s7
	s_delay_alu instid0(VALU_DEP_1) | instskip(SKIP_1) | instid1(VALU_DEP_2)
	v_xor_b32_e32 v22, v22, v14
	v_dual_mov_b32 v14, v9 :: v_dual_mov_b32 v13, v8
	v_cmpx_gt_u16_e64 v21, v22
; %bb.47:
	v_dual_mov_b32 v13, v15 :: v_dual_mov_b32 v14, v16
	v_dual_mov_b32 v16, v9 :: v_dual_mov_b32 v15, v8
	v_dual_mov_b32 v50, v37 :: v_dual_mov_b32 v37, v49
; %bb.48:
	s_wait_alu 0xfffe
	s_or_b32 exec_lo, exec_lo, s9
	v_add_f16_e32 v8, 0, v38
	v_add_f16_e32 v9, 0, v39
	v_dual_mov_b32 v31, v39 :: v_dual_mov_b32 v30, v24
	v_mov_b32_e32 v29, v23
	s_delay_alu instid0(VALU_DEP_4) | instskip(SKIP_4) | instid1(VALU_DEP_2)
	v_cmp_lt_i16_e64 s7, -1, v8
	s_mov_b32 s9, exec_lo
	s_wait_alu 0xf1ff
	v_cndmask_b32_e64 v21, -1, 0xffff8000, s7
	v_cmp_lt_i16_e64 s7, -1, v9
	v_xor_b32_e32 v8, v21, v8
	s_wait_alu 0xf1ff
	s_delay_alu instid0(VALU_DEP_2) | instskip(NEXT) | instid1(VALU_DEP_1)
	v_cndmask_b32_e64 v22, -1, 0xffff8000, s7
	v_xor_b32_e32 v9, v22, v9
	s_delay_alu instid0(VALU_DEP_1)
	v_cmpx_gt_u16_e64 v8, v9
; %bb.49:
	v_dual_mov_b32 v31, v38 :: v_dual_mov_b32 v38, v39
	v_dual_mov_b32 v30, v20 :: v_dual_mov_b32 v29, v19
	;; [unrolled: 1-line block ×3, first 2 shown]
; %bb.50:
	s_wait_alu 0xfffe
	s_or_b32 exec_lo, exec_lo, s9
	v_add_f16_e32 v8, 0, v53
	v_add_f16_e32 v9, 0, v52
	v_mov_b32_e32 v49, v53
	s_mov_b32 s9, exec_lo
	s_delay_alu instid0(VALU_DEP_3) | instskip(SKIP_1) | instid1(VALU_DEP_1)
	v_cmp_lt_i16_e64 s7, -1, v8
	s_wait_alu 0xf1ff
	v_cndmask_b32_e64 v21, -1, 0xffff8000, s7
	v_cmp_lt_i16_e64 s7, -1, v9
	s_delay_alu instid0(VALU_DEP_2) | instskip(SKIP_1) | instid1(VALU_DEP_2)
	v_xor_b32_e32 v8, v21, v8
	s_wait_alu 0xf1ff
	v_cndmask_b32_e64 v22, -1, 0xffff8000, s7
	s_delay_alu instid0(VALU_DEP_1) | instskip(SKIP_1) | instid1(VALU_DEP_2)
	v_xor_b32_e32 v9, v22, v9
	v_dual_mov_b32 v21, v25 :: v_dual_mov_b32 v22, v26
	v_cmpx_gt_u16_e64 v8, v9
; %bb.51:
	v_mov_b32_e32 v21, v27
	v_dual_mov_b32 v49, v52 :: v_dual_mov_b32 v22, v28
	v_dual_mov_b32 v28, v26 :: v_dual_mov_b32 v27, v25
	v_mov_b32_e32 v52, v53
; %bb.52:
	s_wait_alu 0xfffe
	s_or_b32 exec_lo, exec_lo, s9
	v_add_f16_e32 v8, 0, v48
	v_add_f16_e32 v9, 0, v50
	v_mov_b32_e32 v39, v48
	s_mov_b32 s9, exec_lo
	s_delay_alu instid0(VALU_DEP_3) | instskip(SKIP_1) | instid1(VALU_DEP_1)
	v_cmp_lt_i16_e64 s7, -1, v8
	s_wait_alu 0xf1ff
	v_cndmask_b32_e64 v23, -1, 0xffff8000, s7
	v_cmp_lt_i16_e64 s7, -1, v9
	s_delay_alu instid0(VALU_DEP_2) | instskip(SKIP_1) | instid1(VALU_DEP_2)
	v_xor_b32_e32 v23, v23, v8
	s_wait_alu 0xf1ff
	v_cndmask_b32_e64 v24, -1, 0xffff8000, s7
	s_delay_alu instid0(VALU_DEP_1) | instskip(SKIP_1) | instid1(VALU_DEP_2)
	v_xor_b32_e32 v24, v24, v9
	v_dual_mov_b32 v8, v15 :: v_dual_mov_b32 v9, v16
	v_cmpx_gt_u16_e64 v23, v24
; %bb.53:
	v_dual_mov_b32 v8, v17 :: v_dual_mov_b32 v9, v18
	v_dual_mov_b32 v18, v16 :: v_dual_mov_b32 v17, v15
	;; [unrolled: 1-line block ×3, first 2 shown]
; %bb.54:
	s_wait_alu 0xfffe
	s_or_b32 exec_lo, exec_lo, s9
	v_add_f16_e32 v15, 0, v36
	v_add_f16_e32 v16, 0, v38
	v_mov_b32_e32 v48, v38
	s_mov_b32 s9, exec_lo
	s_delay_alu instid0(VALU_DEP_3) | instskip(SKIP_1) | instid1(VALU_DEP_1)
	v_cmp_lt_i16_e64 s7, -1, v15
	s_wait_alu 0xf1ff
	v_cndmask_b32_e64 v23, -1, 0xffff8000, s7
	v_cmp_lt_i16_e64 s7, -1, v16
	s_delay_alu instid0(VALU_DEP_2) | instskip(SKIP_1) | instid1(VALU_DEP_2)
	v_xor_b32_e32 v15, v23, v15
	s_wait_alu 0xf1ff
	v_cndmask_b32_e64 v24, -1, 0xffff8000, s7
	s_delay_alu instid0(VALU_DEP_1) | instskip(SKIP_1) | instid1(VALU_DEP_2)
	v_xor_b32_e32 v16, v24, v16
	v_dual_mov_b32 v24, v20 :: v_dual_mov_b32 v23, v19
	v_cmpx_gt_u16_e64 v15, v16
; %bb.55:
	v_mov_b32_e32 v24, v5
	v_dual_mov_b32 v48, v36 :: v_dual_mov_b32 v23, v4
	v_mov_b32_e32 v4, v19
	v_dual_mov_b32 v36, v38 :: v_dual_mov_b32 v5, v20
; %bb.56:
	s_wait_alu 0xfffe
	s_or_b32 exec_lo, exec_lo, s9
	v_add_f16_e32 v15, 0, v31
	v_add_f16_e32 v16, 0, v49
	v_dual_mov_b32 v38, v49 :: v_dual_mov_b32 v25, v27
	v_mov_b32_e32 v26, v28
	s_delay_alu instid0(VALU_DEP_4) | instskip(SKIP_4) | instid1(VALU_DEP_2)
	v_cmp_lt_i16_e64 s7, -1, v15
	s_mov_b32 s9, exec_lo
	s_wait_alu 0xf1ff
	v_cndmask_b32_e64 v19, -1, 0xffff8000, s7
	v_cmp_lt_i16_e64 s7, -1, v16
	v_xor_b32_e32 v15, v19, v15
	s_wait_alu 0xf1ff
	s_delay_alu instid0(VALU_DEP_2) | instskip(NEXT) | instid1(VALU_DEP_1)
	v_cndmask_b32_e64 v20, -1, 0xffff8000, s7
	v_xor_b32_e32 v16, v20, v16
	s_delay_alu instid0(VALU_DEP_1)
	v_cmpx_gt_u16_e64 v15, v16
; %bb.57:
	v_dual_mov_b32 v38, v31 :: v_dual_mov_b32 v31, v49
	v_dual_mov_b32 v25, v29 :: v_dual_mov_b32 v26, v30
	;; [unrolled: 1-line block ×3, first 2 shown]
; %bb.58:
	s_wait_alu 0xfffe
	s_or_b32 exec_lo, exec_lo, s9
	v_add_f16_e32 v15, 0, v52
	v_add_f16_e32 v16, 0, v39
	v_mov_b32_e32 v53, v52
	s_mov_b32 s9, exec_lo
	s_delay_alu instid0(VALU_DEP_3) | instskip(SKIP_1) | instid1(VALU_DEP_1)
	v_cmp_lt_i16_e64 s7, -1, v15
	s_wait_alu 0xf1ff
	v_cndmask_b32_e64 v19, -1, 0xffff8000, s7
	v_cmp_lt_i16_e64 s7, -1, v16
	s_delay_alu instid0(VALU_DEP_2) | instskip(SKIP_1) | instid1(VALU_DEP_2)
	v_xor_b32_e32 v15, v19, v15
	s_wait_alu 0xf1ff
	v_cndmask_b32_e64 v20, -1, 0xffff8000, s7
	s_delay_alu instid0(VALU_DEP_1) | instskip(SKIP_1) | instid1(VALU_DEP_2)
	v_xor_b32_e32 v16, v20, v16
	v_dual_mov_b32 v20, v18 :: v_dual_mov_b32 v19, v17
	v_cmpx_gt_u16_e64 v15, v16
; %bb.59:
	v_dual_mov_b32 v19, v21 :: v_dual_mov_b32 v20, v22
	v_dual_mov_b32 v22, v18 :: v_dual_mov_b32 v21, v17
	v_mov_b32_e32 v53, v39
	v_mov_b32_e32 v39, v52
; %bb.60:
	s_wait_alu 0xfffe
	s_or_b32 exec_lo, exec_lo, s9
	v_add_f16_e32 v15, 0, v50
	v_add_f16_e32 v16, 0, v37
	v_mov_b32_e32 v51, v50
	s_mov_b32 s9, exec_lo
	s_delay_alu instid0(VALU_DEP_3) | instskip(SKIP_1) | instid1(VALU_DEP_1)
	v_cmp_lt_i16_e64 s7, -1, v15
	s_wait_alu 0xf1ff
	v_cndmask_b32_e64 v17, -1, 0xffff8000, s7
	v_cmp_lt_i16_e64 s7, -1, v16
	s_delay_alu instid0(VALU_DEP_2) | instskip(SKIP_1) | instid1(VALU_DEP_2)
	v_xor_b32_e32 v17, v17, v15
	s_wait_alu 0xf1ff
	v_cndmask_b32_e64 v18, -1, 0xffff8000, s7
	s_delay_alu instid0(VALU_DEP_1) | instskip(SKIP_1) | instid1(VALU_DEP_2)
	v_xor_b32_e32 v18, v18, v16
	v_dual_mov_b32 v16, v14 :: v_dual_mov_b32 v15, v13
	v_cmpx_gt_u16_e64 v17, v18
; %bb.61:
	v_dual_mov_b32 v16, v9 :: v_dual_mov_b32 v15, v8
	v_dual_mov_b32 v8, v13 :: v_dual_mov_b32 v9, v14
	v_mov_b32_e32 v51, v37
	v_mov_b32_e32 v37, v50
; %bb.62:
	s_wait_alu 0xfffe
	s_or_b32 exec_lo, exec_lo, s9
	v_add_f16_e32 v13, 0, v48
	v_add_f16_e32 v14, 0, v31
	v_dual_mov_b32 v50, v31 :: v_dual_mov_b32 v27, v29
	v_mov_b32_e32 v28, v30
	s_delay_alu instid0(VALU_DEP_4) | instskip(SKIP_4) | instid1(VALU_DEP_2)
	v_cmp_lt_i16_e64 s7, -1, v13
	s_mov_b32 s9, exec_lo
	s_wait_alu 0xf1ff
	v_cndmask_b32_e64 v17, -1, 0xffff8000, s7
	v_cmp_lt_i16_e64 s7, -1, v14
	v_xor_b32_e32 v13, v17, v13
	s_wait_alu 0xf1ff
	s_delay_alu instid0(VALU_DEP_2) | instskip(NEXT) | instid1(VALU_DEP_1)
	v_cndmask_b32_e64 v18, -1, 0xffff8000, s7
	v_xor_b32_e32 v14, v18, v14
	s_delay_alu instid0(VALU_DEP_1)
	v_cmpx_gt_u16_e64 v13, v14
; %bb.63:
	v_mov_b32_e32 v28, v24
	v_dual_mov_b32 v50, v48 :: v_dual_mov_b32 v27, v23
	v_dual_mov_b32 v48, v31 :: v_dual_mov_b32 v23, v29
	v_mov_b32_e32 v24, v30
; %bb.64:
	s_wait_alu 0xfffe
	s_or_b32 exec_lo, exec_lo, s9
	v_add_f16_e32 v13, 0, v38
	v_add_f16_e32 v14, 0, v53
	v_mov_b32_e32 v29, v38
	s_delay_alu instid0(VALU_DEP_3) | instskip(SKIP_1) | instid1(VALU_DEP_1)
	v_cmp_lt_i16_e64 s7, -1, v13
	s_wait_alu 0xf1ff
	v_cndmask_b32_e64 v17, -1, 0xffff8000, s7
	v_cmp_lt_i16_e64 s7, -1, v14
	s_delay_alu instid0(VALU_DEP_2) | instskip(SKIP_1) | instid1(VALU_DEP_2)
	v_xor_b32_e32 v13, v17, v13
	s_wait_alu 0xf1ff
	v_cndmask_b32_e64 v18, -1, 0xffff8000, s7
	s_delay_alu instid0(VALU_DEP_1) | instskip(NEXT) | instid1(VALU_DEP_1)
	v_xor_b32_e32 v14, v18, v14
	v_cmp_gt_u16_e64 s7, v13, v14
	v_dual_mov_b32 v13, v21 :: v_dual_mov_b32 v14, v22
	s_and_saveexec_b32 s9, s7
; %bb.65:
	v_mov_b32_e32 v13, v25
	v_dual_mov_b32 v29, v53 :: v_dual_mov_b32 v14, v26
	v_dual_mov_b32 v26, v22 :: v_dual_mov_b32 v25, v21
	v_mov_b32_e32 v53, v38
; %bb.66:
	s_wait_alu 0xfffe
	s_or_b32 exec_lo, exec_lo, s9
	v_add_f16_e32 v17, 0, v39
	v_add_f16_e32 v18, 0, v51
	v_mov_b32_e32 v38, v39
	s_mov_b32 s9, exec_lo
	s_delay_alu instid0(VALU_DEP_3) | instskip(SKIP_1) | instid1(VALU_DEP_1)
	v_cmp_lt_i16_e64 s7, -1, v17
	s_wait_alu 0xf1ff
	v_cndmask_b32_e64 v21, -1, 0xffff8000, s7
	v_cmp_lt_i16_e64 s7, -1, v18
	s_delay_alu instid0(VALU_DEP_2) | instskip(SKIP_1) | instid1(VALU_DEP_2)
	v_xor_b32_e32 v17, v21, v17
	s_wait_alu 0xf1ff
	v_cndmask_b32_e64 v22, -1, 0xffff8000, s7
	s_delay_alu instid0(VALU_DEP_1) | instskip(SKIP_1) | instid1(VALU_DEP_2)
	v_xor_b32_e32 v18, v22, v18
	v_dual_mov_b32 v22, v9 :: v_dual_mov_b32 v21, v8
	v_cmpx_gt_u16_e64 v17, v18
; %bb.67:
	v_dual_mov_b32 v22, v20 :: v_dual_mov_b32 v21, v19
	v_dual_mov_b32 v20, v9 :: v_dual_mov_b32 v19, v8
	;; [unrolled: 1-line block ×3, first 2 shown]
; %bb.68:
	s_wait_alu 0xfffe
	s_or_b32 exec_lo, exec_lo, s9
	v_add_f16_e32 v8, 0, v36
	v_add_f16_e32 v9, 0, v48
	v_mov_b32_e32 v39, v48
	s_delay_alu instid0(VALU_DEP_3) | instskip(SKIP_1) | instid1(VALU_DEP_1)
	v_cmp_lt_i16_e64 s7, -1, v8
	s_wait_alu 0xf1ff
	v_cndmask_b32_e64 v17, -1, 0xffff8000, s7
	v_cmp_lt_i16_e64 s7, -1, v9
	s_delay_alu instid0(VALU_DEP_2) | instskip(SKIP_1) | instid1(VALU_DEP_2)
	v_xor_b32_e32 v8, v17, v8
	s_wait_alu 0xf1ff
	v_cndmask_b32_e64 v18, -1, 0xffff8000, s7
	s_delay_alu instid0(VALU_DEP_1) | instskip(NEXT) | instid1(VALU_DEP_1)
	v_xor_b32_e32 v9, v18, v9
	v_cmp_gt_u16_e64 s7, v8, v9
	v_dual_mov_b32 v8, v23 :: v_dual_mov_b32 v9, v24
	s_and_saveexec_b32 s9, s7
; %bb.69:
	v_dual_mov_b32 v39, v36 :: v_dual_mov_b32 v36, v48
	v_dual_mov_b32 v9, v5 :: v_dual_mov_b32 v8, v4
	;; [unrolled: 1-line block ×3, first 2 shown]
; %bb.70:
	s_wait_alu 0xfffe
	s_or_b32 exec_lo, exec_lo, s9
	v_add_f16_e32 v17, 0, v50
	v_add_f16_e32 v18, 0, v29
	s_delay_alu instid0(VALU_DEP_2) | instskip(SKIP_1) | instid1(VALU_DEP_1)
	v_cmp_lt_i16_e64 s7, -1, v17
	s_wait_alu 0xf1ff
	v_cndmask_b32_e64 v23, -1, 0xffff8000, s7
	s_delay_alu instid0(VALU_DEP_3) | instskip(NEXT) | instid1(VALU_DEP_2)
	v_cmp_lt_i16_e64 s7, -1, v18
	v_xor_b32_e32 v17, v23, v17
	s_wait_alu 0xf1ff
	s_delay_alu instid0(VALU_DEP_2) | instskip(SKIP_1) | instid1(VALU_DEP_2)
	v_cndmask_b32_e64 v24, -1, 0xffff8000, s7
	v_mov_b32_e32 v23, v29
	v_xor_b32_e32 v18, v24, v18
	s_delay_alu instid0(VALU_DEP_1)
	v_cmp_gt_u16_e64 s7, v17, v18
	v_dual_mov_b32 v17, v25 :: v_dual_mov_b32 v18, v26
	s_and_saveexec_b32 s9, s7
; %bb.71:
	v_dual_mov_b32 v23, v50 :: v_dual_mov_b32 v50, v29
	v_dual_mov_b32 v17, v27 :: v_dual_mov_b32 v18, v28
	;; [unrolled: 1-line block ×3, first 2 shown]
; %bb.72:
	s_wait_alu 0xfffe
	s_or_b32 exec_lo, exec_lo, s9
	v_add_f16_e32 v24, 0, v53
	v_add_f16_e32 v25, 0, v38
	v_mov_b32_e32 v49, v53
	s_mov_b32 s9, exec_lo
	s_delay_alu instid0(VALU_DEP_3) | instskip(SKIP_1) | instid1(VALU_DEP_1)
	v_cmp_lt_i16_e64 s7, -1, v24
	s_wait_alu 0xf1ff
	v_cndmask_b32_e64 v26, -1, 0xffff8000, s7
	v_cmp_lt_i16_e64 s7, -1, v25
	s_delay_alu instid0(VALU_DEP_2) | instskip(SKIP_1) | instid1(VALU_DEP_2)
	v_xor_b32_e32 v24, v26, v24
	s_wait_alu 0xf1ff
	v_cndmask_b32_e64 v29, -1, 0xffff8000, s7
	s_delay_alu instid0(VALU_DEP_1) | instskip(SKIP_1) | instid1(VALU_DEP_2)
	v_xor_b32_e32 v25, v29, v25
	v_dual_mov_b32 v30, v20 :: v_dual_mov_b32 v29, v19
	v_cmpx_gt_u16_e64 v24, v25
; %bb.73:
	v_dual_mov_b32 v30, v14 :: v_dual_mov_b32 v29, v13
	v_dual_mov_b32 v13, v19 :: v_dual_mov_b32 v14, v20
	;; [unrolled: 1-line block ×3, first 2 shown]
; %bb.74:
	s_wait_alu 0xfffe
	s_or_b32 exec_lo, exec_lo, s9
	v_add_f16_e32 v19, 0, v51
	v_add_f16_e32 v20, 0, v37
	v_mov_b32_e32 v31, v51
	s_mov_b32 s9, exec_lo
	s_delay_alu instid0(VALU_DEP_3) | instskip(SKIP_1) | instid1(VALU_DEP_1)
	v_cmp_lt_i16_e64 s7, -1, v19
	s_wait_alu 0xf1ff
	v_cndmask_b32_e64 v24, -1, 0xffff8000, s7
	v_cmp_lt_i16_e64 s7, -1, v20
	s_delay_alu instid0(VALU_DEP_2) | instskip(SKIP_1) | instid1(VALU_DEP_2)
	v_xor_b32_e32 v19, v24, v19
	s_wait_alu 0xf1ff
	v_cndmask_b32_e64 v25, -1, 0xffff8000, s7
	s_delay_alu instid0(VALU_DEP_1) | instskip(SKIP_1) | instid1(VALU_DEP_2)
	v_xor_b32_e32 v20, v25, v20
	v_dual_mov_b32 v26, v16 :: v_dual_mov_b32 v25, v15
	v_cmpx_gt_u16_e64 v19, v20
; %bb.75:
	v_dual_mov_b32 v26, v22 :: v_dual_mov_b32 v25, v21
	v_dual_mov_b32 v22, v16 :: v_dual_mov_b32 v21, v15
	v_mov_b32_e32 v31, v37
	v_mov_b32_e32 v37, v51
; %bb.76:
	s_wait_alu 0xfffe
	s_or_b32 exec_lo, exec_lo, s9
	v_add_f16_e32 v15, 0, v39
	v_add_f16_e32 v16, 0, v50
	v_mov_b32_e32 v48, v50
	s_delay_alu instid0(VALU_DEP_3) | instskip(SKIP_1) | instid1(VALU_DEP_1)
	v_cmp_lt_i16_e64 s7, -1, v15
	s_wait_alu 0xf1ff
	v_cndmask_b32_e64 v19, -1, 0xffff8000, s7
	v_cmp_lt_i16_e64 s7, -1, v16
	s_delay_alu instid0(VALU_DEP_2) | instskip(SKIP_1) | instid1(VALU_DEP_2)
	v_xor_b32_e32 v15, v19, v15
	s_wait_alu 0xf1ff
	v_cndmask_b32_e64 v20, -1, 0xffff8000, s7
	s_delay_alu instid0(VALU_DEP_1) | instskip(NEXT) | instid1(VALU_DEP_1)
	v_xor_b32_e32 v16, v20, v16
	v_cmp_gt_u16_e64 s7, v15, v16
	v_dual_mov_b32 v15, v27 :: v_dual_mov_b32 v16, v28
	s_and_saveexec_b32 s9, s7
; %bb.77:
	v_dual_mov_b32 v48, v39 :: v_dual_mov_b32 v39, v50
	v_dual_mov_b32 v16, v9 :: v_dual_mov_b32 v15, v8
	;; [unrolled: 1-line block ×3, first 2 shown]
; %bb.78:
	s_wait_alu 0xfffe
	s_or_b32 exec_lo, exec_lo, s9
	v_add_f16_e32 v19, 0, v23
	v_add_f16_e32 v20, 0, v49
	v_mov_b32_e32 v51, v23
	s_delay_alu instid0(VALU_DEP_3) | instskip(SKIP_1) | instid1(VALU_DEP_1)
	v_cmp_lt_i16_e64 s7, -1, v19
	s_wait_alu 0xf1ff
	v_cndmask_b32_e64 v24, -1, 0xffff8000, s7
	v_cmp_lt_i16_e64 s7, -1, v20
	s_delay_alu instid0(VALU_DEP_2) | instskip(SKIP_1) | instid1(VALU_DEP_2)
	v_xor_b32_e32 v19, v24, v19
	s_wait_alu 0xf1ff
	v_cndmask_b32_e64 v27, -1, 0xffff8000, s7
	s_delay_alu instid0(VALU_DEP_1) | instskip(NEXT) | instid1(VALU_DEP_1)
	v_xor_b32_e32 v20, v27, v20
	v_cmp_gt_u16_e64 s7, v19, v20
	v_dual_mov_b32 v20, v14 :: v_dual_mov_b32 v19, v13
	s_and_saveexec_b32 s9, s7
; %bb.79:
	v_dual_mov_b32 v51, v49 :: v_dual_mov_b32 v20, v18
	v_dual_mov_b32 v19, v17 :: v_dual_mov_b32 v18, v14
	v_mov_b32_e32 v17, v13
	v_mov_b32_e32 v49, v23
; %bb.80:
	s_wait_alu 0xfffe
	s_or_b32 exec_lo, exec_lo, s9
	v_add_f16_e32 v13, 0, v38
	v_add_f16_e32 v14, 0, v31
	v_mov_b32_e32 v50, v31
	s_mov_b32 s9, exec_lo
	s_delay_alu instid0(VALU_DEP_3) | instskip(SKIP_1) | instid1(VALU_DEP_1)
	v_cmp_lt_i16_e64 s7, -1, v13
	s_wait_alu 0xf1ff
	v_cndmask_b32_e64 v23, -1, 0xffff8000, s7
	v_cmp_lt_i16_e64 s7, -1, v14
	s_delay_alu instid0(VALU_DEP_2) | instskip(SKIP_1) | instid1(VALU_DEP_2)
	v_xor_b32_e32 v13, v23, v13
	s_wait_alu 0xf1ff
	v_cndmask_b32_e64 v24, -1, 0xffff8000, s7
	s_delay_alu instid0(VALU_DEP_1) | instskip(SKIP_1) | instid1(VALU_DEP_2)
	v_xor_b32_e32 v14, v24, v14
	v_dual_mov_b32 v23, v29 :: v_dual_mov_b32 v24, v30
	v_cmpx_gt_u16_e64 v13, v14
; %bb.81:
	v_mov_b32_e32 v24, v22
	v_dual_mov_b32 v50, v38 :: v_dual_mov_b32 v23, v21
	v_dual_mov_b32 v38, v31 :: v_dual_mov_b32 v21, v29
	v_mov_b32_e32 v22, v30
; %bb.82:
	s_wait_alu 0xfffe
	s_or_b32 exec_lo, exec_lo, s9
.LBB1857_83:
	s_wait_alu 0xfffe
	s_or_b32 exec_lo, exec_lo, s8
	v_and_b32_e32 v13, 0xffffff00, v10
	v_or_b32_e32 v27, 8, v35
	v_and_b32_e32 v30, 8, v35
	v_and_b32_e32 v31, 0xf0, v35
	s_mov_b32 s8, exec_lo
	v_sub_nc_u32_e64 v28, 0x800, v13 clamp
	v_lshlrev_b32_e32 v10, 1, v13
	s_delay_alu instid0(VALU_DEP_2) | instskip(SKIP_1) | instid1(VALU_DEP_3)
	v_min_u32_e32 v29, v28, v27
	v_min_u32_e32 v54, v28, v30
	v_mad_co_u64_u32 v[13:14], null, v13, 6, v[10:11]
	v_lshl_or_b32 v14, v35, 1, v10
	s_delay_alu instid0(VALU_DEP_4)
	v_add_nc_u32_e32 v52, 8, v29
	v_sub_nc_u32_e32 v53, v29, v31
	s_wait_loadcnt_dscnt 0x0
	ds_store_b16 v14, v36
	v_min_u32_e32 v30, v28, v52
	v_lshl_add_u32 v27, v35, 3, v13
	v_min_u32_e32 v55, v54, v53
	v_lshl_or_b32 v53, v31, 1, v10
	ds_store_b64 v27, v[4:5] offset:4096
	ds_store_b16 v14, v39 offset:2
	ds_store_b64 v27, v[8:9] offset:4104
	ds_store_b16 v14, v48 offset:4
	;; [unrolled: 2-line block ×3, first 2 shown]
	v_sub_nc_u32_e32 v52, v30, v29
	ds_store_b64 v27, v[17:18] offset:4120
	ds_store_b16 v14, v49 offset:8
	ds_store_b64 v27, v[19:20] offset:4128
	ds_store_b16 v14, v38 offset:10
	;; [unrolled: 2-line block ×4, first 2 shown]
	ds_store_b64 v27, v[25:26] offset:4152
	v_sub_nc_u32_e64 v52, v54, v52 clamp
	; wave barrier
	s_delay_alu instid0(VALU_DEP_1)
	v_cmpx_lt_u32_e64 v52, v55
	s_cbranch_execz .LBB1857_87
; %bb.84:
	v_lshlrev_b32_e32 v64, 1, v29
	v_lshlrev_b32_e32 v65, 1, v54
	s_mov_b32 s9, 0
	s_delay_alu instid0(VALU_DEP_1)
	v_add3_u32 v64, v10, v64, v65
.LBB1857_85:                            ; =>This Inner Loop Header: Depth=1
	v_add_nc_u32_e32 v65, v55, v52
	s_delay_alu instid0(VALU_DEP_1) | instskip(SKIP_1) | instid1(VALU_DEP_2)
	v_lshrrev_b32_e32 v66, 1, v65
	v_and_b32_e32 v65, -2, v65
	v_not_b32_e32 v67, v66
	s_delay_alu instid0(VALU_DEP_2) | instskip(NEXT) | instid1(VALU_DEP_2)
	v_add_nc_u32_e32 v65, v53, v65
	v_lshl_add_u32 v67, v67, 1, v64
	ds_load_u16 v65, v65
	ds_load_u16 v67, v67
	s_wait_dscnt 0x1
	v_add_f16_e32 v65, 0, v65
	s_wait_dscnt 0x0
	v_add_f16_e32 v67, 0, v67
	s_delay_alu instid0(VALU_DEP_2) | instskip(SKIP_1) | instid1(VALU_DEP_1)
	v_cmp_lt_i16_e64 s7, -1, v65
	s_wait_alu 0xf1ff
	v_cndmask_b32_e64 v68, -1, 0xffff8000, s7
	s_delay_alu instid0(VALU_DEP_3) | instskip(NEXT) | instid1(VALU_DEP_2)
	v_cmp_lt_i16_e64 s7, -1, v67
	v_xor_b32_e32 v65, v68, v65
	s_wait_alu 0xf1ff
	s_delay_alu instid0(VALU_DEP_2) | instskip(SKIP_1) | instid1(VALU_DEP_2)
	v_cndmask_b32_e64 v69, -1, 0xffff8000, s7
	v_add_nc_u32_e32 v68, 1, v66
	v_xor_b32_e32 v67, v69, v67
	s_delay_alu instid0(VALU_DEP_1) | instskip(SKIP_1) | instid1(VALU_DEP_1)
	v_cmp_gt_u16_e64 s7, v65, v67
	s_wait_alu 0xf1ff
	v_cndmask_b32_e64 v55, v55, v66, s7
	v_cndmask_b32_e64 v52, v68, v52, s7
	s_delay_alu instid0(VALU_DEP_1)
	v_cmp_ge_u32_e64 s7, v52, v55
	s_wait_alu 0xfffe
	s_or_b32 s9, s7, s9
	s_wait_alu 0xfffe
	s_and_not1_b32 exec_lo, exec_lo, s9
	s_cbranch_execnz .LBB1857_85
; %bb.86:
	s_or_b32 exec_lo, exec_lo, s9
.LBB1857_87:
	s_wait_alu 0xfffe
	s_or_b32 exec_lo, exec_lo, s8
	v_add_nc_u32_e32 v55, v29, v54
	v_add_nc_u32_e32 v54, v52, v31
	s_delay_alu instid0(VALU_DEP_2) | instskip(NEXT) | instid1(VALU_DEP_2)
	v_sub_nc_u32_e32 v55, v55, v52
	v_cmp_le_u32_e64 s7, v54, v29
	s_delay_alu instid0(VALU_DEP_2)
	v_cmp_le_u32_e64 s8, v55, v30
	s_or_b32 s7, s7, s8
	s_wait_alu 0xfffe
	s_and_saveexec_b32 s9, s7
	s_cbranch_execz .LBB1857_123
; %bb.88:
	v_cmp_ge_u32_e64 s7, v54, v29
	s_mov_b32 s10, exec_lo
                                        ; implicit-def: $vgpr31
	v_cmpx_lt_u32_e64 v54, v29
; %bb.89:
	v_lshl_add_u32 v4, v52, 1, v53
	ds_load_u16 v31, v4
; %bb.90:
	s_wait_alu 0xfffe
	s_or_b32 exec_lo, exec_lo, s10
	v_cmp_ge_u32_e64 s10, v55, v30
	s_mov_b32 s11, exec_lo
                                        ; implicit-def: $vgpr36
	v_cmpx_lt_u32_e64 v55, v30
; %bb.91:
	v_lshl_add_u32 v4, v55, 1, v10
	ds_load_u16 v36, v4
; %bb.92:
	s_wait_alu 0xfffe
	s_or_b32 exec_lo, exec_lo, s11
	s_nor_b32 s7, s7, s10
	s_wait_alu 0xfffe
	s_and_saveexec_b32 s8, s7
	s_cbranch_execz .LBB1857_94
; %bb.93:
	s_wait_dscnt 0x0
	v_add_f16_e32 v4, 0, v31
	v_add_f16_e32 v5, 0, v36
	s_and_not1_b32 s10, s10, exec_lo
	s_delay_alu instid0(VALU_DEP_2) | instskip(SKIP_1) | instid1(VALU_DEP_1)
	v_cmp_lt_i16_e64 s7, -1, v4
	s_wait_alu 0xf1ff
	v_cndmask_b32_e64 v8, -1, 0xffff8000, s7
	v_cmp_lt_i16_e64 s7, -1, v5
	s_delay_alu instid0(VALU_DEP_2) | instskip(SKIP_1) | instid1(VALU_DEP_2)
	v_xor_b32_e32 v4, v8, v4
	s_wait_alu 0xf1ff
	v_cndmask_b32_e64 v9, -1, 0xffff8000, s7
	s_delay_alu instid0(VALU_DEP_1) | instskip(NEXT) | instid1(VALU_DEP_1)
	v_xor_b32_e32 v5, v9, v5
	v_cmp_le_u16_e64 s7, v4, v5
	s_and_b32 s7, s7, exec_lo
	s_wait_alu 0xfffe
	s_or_b32 s10, s10, s7
.LBB1857_94:
	s_wait_alu 0xfffe
	s_or_b32 exec_lo, exec_lo, s8
	v_cndmask_b32_e64 v4, v55, v54, s10
	v_cndmask_b32_e64 v5, v30, v29, s10
	s_mov_b32 s11, -1
	s_mov_b32 s8, -1
	s_mov_b32 s12, exec_lo
	v_add_nc_u32_e32 v8, 1, v4
	v_add_nc_u32_e32 v5, -1, v5
	v_lshl_add_u32 v4, v4, 3, v13
	s_delay_alu instid0(VALU_DEP_3) | instskip(NEXT) | instid1(VALU_DEP_3)
	v_cndmask_b32_e64 v15, v8, v55, s10
	v_min_u32_e32 v5, v8, v5
	v_cndmask_b32_e64 v16, v54, v8, s10
	s_delay_alu instid0(VALU_DEP_2)
	v_lshl_add_u32 v5, v5, 1, v10
	ds_load_u16 v9, v5
	ds_load_b64 v[4:5], v4 offset:4096
	s_wait_dscnt 0x1
	v_cndmask_b32_e64 v37, v9, v36, s10
	v_cndmask_b32_e64 v39, v31, v9, s10
	v_cmpx_lt_u32_e64 v15, v30
	s_cbranch_execz .LBB1857_98
; %bb.95:
	s_mov_b32 s13, 0
	s_mov_b32 s8, exec_lo
	v_cmpx_lt_u32_e64 v16, v29
	s_cbranch_execz .LBB1857_97
; %bb.96:
	v_add_f16_e32 v8, 0, v39
	v_add_f16_e32 v9, 0, v37
	s_delay_alu instid0(VALU_DEP_2) | instskip(SKIP_1) | instid1(VALU_DEP_1)
	v_cmp_lt_i16_e64 s7, -1, v8
	s_wait_alu 0xf1ff
	v_cndmask_b32_e64 v17, -1, 0xffff8000, s7
	s_delay_alu instid0(VALU_DEP_3) | instskip(NEXT) | instid1(VALU_DEP_2)
	v_cmp_lt_i16_e64 s7, -1, v9
	v_xor_b32_e32 v8, v17, v8
	s_wait_alu 0xf1ff
	s_delay_alu instid0(VALU_DEP_2) | instskip(NEXT) | instid1(VALU_DEP_1)
	v_cndmask_b32_e64 v18, -1, 0xffff8000, s7
	v_xor_b32_e32 v9, v18, v9
	s_delay_alu instid0(VALU_DEP_1)
	v_cmp_le_u16_e64 s7, v8, v9
	s_and_b32 s13, s7, exec_lo
.LBB1857_97:
	s_wait_alu 0xfffe
	s_or_b32 exec_lo, exec_lo, s8
	s_delay_alu instid0(SALU_CYCLE_1)
	s_or_not1_b32 s8, s13, exec_lo
.LBB1857_98:
	s_wait_alu 0xfffe
	s_or_b32 exec_lo, exec_lo, s12
	v_cndmask_b32_e64 v8, v15, v16, s8
	v_cndmask_b32_e64 v9, v30, v29, s8
	s_mov_b32 s12, exec_lo
	s_delay_alu instid0(VALU_DEP_2) | instskip(NEXT) | instid1(VALU_DEP_2)
	v_add_nc_u32_e32 v18, 1, v8
	v_add_nc_u32_e32 v9, -1, v9
	v_lshl_add_u32 v8, v8, 3, v13
	s_delay_alu instid0(VALU_DEP_3) | instskip(NEXT) | instid1(VALU_DEP_3)
	v_cndmask_b32_e64 v17, v18, v15, s8
	v_min_u32_e32 v9, v18, v9
	v_cndmask_b32_e64 v18, v16, v18, s8
	s_delay_alu instid0(VALU_DEP_2)
	v_lshl_add_u32 v9, v9, 1, v10
	ds_load_u16 v19, v9
	ds_load_b64 v[8:9], v8 offset:4096
	s_wait_dscnt 0x1
	v_cndmask_b32_e64 v48, v19, v37, s8
	v_cndmask_b32_e64 v52, v39, v19, s8
	v_cmpx_lt_u32_e64 v17, v30
	s_cbranch_execz .LBB1857_102
; %bb.99:
	s_mov_b32 s13, 0
	s_mov_b32 s11, exec_lo
	v_cmpx_lt_u32_e64 v18, v29
	s_cbranch_execz .LBB1857_101
; %bb.100:
	v_add_f16_e32 v15, 0, v52
	v_add_f16_e32 v16, 0, v48
	s_delay_alu instid0(VALU_DEP_2) | instskip(SKIP_1) | instid1(VALU_DEP_1)
	v_cmp_lt_i16_e64 s7, -1, v15
	s_wait_alu 0xf1ff
	v_cndmask_b32_e64 v19, -1, 0xffff8000, s7
	s_delay_alu instid0(VALU_DEP_3) | instskip(NEXT) | instid1(VALU_DEP_2)
	v_cmp_lt_i16_e64 s7, -1, v16
	v_xor_b32_e32 v15, v19, v15
	s_wait_alu 0xf1ff
	s_delay_alu instid0(VALU_DEP_2) | instskip(NEXT) | instid1(VALU_DEP_1)
	v_cndmask_b32_e64 v20, -1, 0xffff8000, s7
	v_xor_b32_e32 v16, v20, v16
	s_delay_alu instid0(VALU_DEP_1)
	v_cmp_le_u16_e64 s7, v15, v16
	s_and_b32 s13, s7, exec_lo
.LBB1857_101:
	s_wait_alu 0xfffe
	s_or_b32 exec_lo, exec_lo, s11
	s_delay_alu instid0(SALU_CYCLE_1)
	s_or_not1_b32 s11, s13, exec_lo
.LBB1857_102:
	s_wait_alu 0xfffe
	s_or_b32 exec_lo, exec_lo, s12
	v_cndmask_b32_e64 v15, v17, v18, s11
	v_cndmask_b32_e64 v16, v30, v29, s11
	s_mov_b32 s13, -1
	s_mov_b32 s12, -1
	s_mov_b32 s14, exec_lo
	v_add_nc_u32_e32 v20, 1, v15
	v_add_nc_u32_e32 v16, -1, v16
	v_lshl_add_u32 v15, v15, 3, v13
	s_delay_alu instid0(VALU_DEP_3) | instskip(NEXT) | instid1(VALU_DEP_3)
	v_cndmask_b32_e64 v19, v20, v17, s11
	v_min_u32_e32 v16, v20, v16
	v_cndmask_b32_e64 v20, v18, v20, s11
	s_delay_alu instid0(VALU_DEP_2)
	v_lshl_add_u32 v16, v16, 1, v10
	ds_load_u16 v21, v16
	ds_load_b64 v[15:16], v15 offset:4096
	s_wait_dscnt 0x1
	v_cndmask_b32_e64 v51, v21, v48, s11
	v_cndmask_b32_e64 v53, v52, v21, s11
	v_cmpx_lt_u32_e64 v19, v30
	s_cbranch_execz .LBB1857_106
; %bb.103:
	s_mov_b32 s15, 0
	s_mov_b32 s12, exec_lo
	v_cmpx_lt_u32_e64 v20, v29
	s_cbranch_execz .LBB1857_105
; %bb.104:
	v_add_f16_e32 v17, 0, v53
	v_add_f16_e32 v18, 0, v51
	s_delay_alu instid0(VALU_DEP_2) | instskip(SKIP_1) | instid1(VALU_DEP_1)
	v_cmp_lt_i16_e64 s7, -1, v17
	s_wait_alu 0xf1ff
	v_cndmask_b32_e64 v21, -1, 0xffff8000, s7
	s_delay_alu instid0(VALU_DEP_3) | instskip(NEXT) | instid1(VALU_DEP_2)
	v_cmp_lt_i16_e64 s7, -1, v18
	v_xor_b32_e32 v17, v21, v17
	s_wait_alu 0xf1ff
	s_delay_alu instid0(VALU_DEP_2) | instskip(NEXT) | instid1(VALU_DEP_1)
	v_cndmask_b32_e64 v22, -1, 0xffff8000, s7
	v_xor_b32_e32 v18, v22, v18
	s_delay_alu instid0(VALU_DEP_1)
	v_cmp_le_u16_e64 s7, v17, v18
	s_and_b32 s15, s7, exec_lo
.LBB1857_105:
	s_wait_alu 0xfffe
	s_or_b32 exec_lo, exec_lo, s12
	s_delay_alu instid0(SALU_CYCLE_1)
	s_or_not1_b32 s12, s15, exec_lo
.LBB1857_106:
	s_wait_alu 0xfffe
	s_or_b32 exec_lo, exec_lo, s14
	v_cndmask_b32_e64 v17, v19, v20, s12
	v_cndmask_b32_e64 v18, v30, v29, s12
	s_mov_b32 s14, exec_lo
	s_delay_alu instid0(VALU_DEP_2) | instskip(NEXT) | instid1(VALU_DEP_2)
	v_add_nc_u32_e32 v22, 1, v17
	v_add_nc_u32_e32 v18, -1, v18
	v_lshl_add_u32 v17, v17, 3, v13
	s_delay_alu instid0(VALU_DEP_3) | instskip(NEXT) | instid1(VALU_DEP_3)
	v_cndmask_b32_e64 v21, v22, v19, s12
	v_min_u32_e32 v18, v22, v18
	v_cndmask_b32_e64 v22, v20, v22, s12
	s_delay_alu instid0(VALU_DEP_2)
	v_lshl_add_u32 v18, v18, 1, v10
	ds_load_u16 v23, v18
	ds_load_b64 v[17:18], v17 offset:4096
	s_wait_dscnt 0x1
	v_cndmask_b32_e64 v49, v23, v51, s12
	v_cndmask_b32_e64 v54, v53, v23, s12
	v_cmpx_lt_u32_e64 v21, v30
	s_cbranch_execz .LBB1857_110
; %bb.107:
	s_mov_b32 s15, 0
	s_mov_b32 s13, exec_lo
	v_cmpx_lt_u32_e64 v22, v29
	s_cbranch_execz .LBB1857_109
; %bb.108:
	v_add_f16_e32 v19, 0, v54
	v_add_f16_e32 v20, 0, v49
	s_delay_alu instid0(VALU_DEP_2) | instskip(SKIP_1) | instid1(VALU_DEP_1)
	v_cmp_lt_i16_e64 s7, -1, v19
	s_wait_alu 0xf1ff
	v_cndmask_b32_e64 v23, -1, 0xffff8000, s7
	s_delay_alu instid0(VALU_DEP_3) | instskip(NEXT) | instid1(VALU_DEP_2)
	v_cmp_lt_i16_e64 s7, -1, v20
	v_xor_b32_e32 v19, v23, v19
	s_wait_alu 0xf1ff
	s_delay_alu instid0(VALU_DEP_2) | instskip(NEXT) | instid1(VALU_DEP_1)
	v_cndmask_b32_e64 v24, -1, 0xffff8000, s7
	v_xor_b32_e32 v20, v24, v20
	s_delay_alu instid0(VALU_DEP_1)
	v_cmp_le_u16_e64 s7, v19, v20
	s_and_b32 s15, s7, exec_lo
.LBB1857_109:
	s_wait_alu 0xfffe
	s_or_b32 exec_lo, exec_lo, s13
	s_delay_alu instid0(SALU_CYCLE_1)
	s_or_not1_b32 s13, s15, exec_lo
.LBB1857_110:
	s_wait_alu 0xfffe
	s_or_b32 exec_lo, exec_lo, s14
	v_cndmask_b32_e64 v19, v21, v22, s13
	v_cndmask_b32_e64 v20, v30, v29, s13
	s_mov_b32 s15, -1
	s_mov_b32 s14, -1
	s_mov_b32 s16, exec_lo
	v_add_nc_u32_e32 v23, 1, v19
	v_add_nc_u32_e32 v20, -1, v20
	v_lshl_add_u32 v19, v19, 3, v13
	s_delay_alu instid0(VALU_DEP_3) | instskip(NEXT) | instid1(VALU_DEP_3)
	v_cndmask_b32_e64 v21, v23, v21, s13
	v_min_u32_e32 v20, v23, v20
	v_cndmask_b32_e64 v22, v22, v23, s13
	s_delay_alu instid0(VALU_DEP_2)
	v_lshl_add_u32 v20, v20, 1, v10
	ds_load_u16 v24, v20
	ds_load_b64 v[19:20], v19 offset:4096
	s_wait_dscnt 0x1
	v_cndmask_b32_e64 v38, v24, v49, s13
	v_cndmask_b32_e64 v55, v54, v24, s13
	v_cmpx_lt_u32_e64 v21, v30
	s_cbranch_execz .LBB1857_114
; %bb.111:
	s_mov_b32 s17, 0
	s_mov_b32 s14, exec_lo
	v_cmpx_lt_u32_e64 v22, v29
	s_cbranch_execz .LBB1857_113
; %bb.112:
	v_add_f16_e32 v23, 0, v55
	v_add_f16_e32 v24, 0, v38
	s_delay_alu instid0(VALU_DEP_2) | instskip(SKIP_1) | instid1(VALU_DEP_1)
	v_cmp_lt_i16_e64 s7, -1, v23
	s_wait_alu 0xf1ff
	v_cndmask_b32_e64 v25, -1, 0xffff8000, s7
	s_delay_alu instid0(VALU_DEP_3) | instskip(NEXT) | instid1(VALU_DEP_2)
	v_cmp_lt_i16_e64 s7, -1, v24
	v_xor_b32_e32 v23, v25, v23
	s_wait_alu 0xf1ff
	s_delay_alu instid0(VALU_DEP_2) | instskip(NEXT) | instid1(VALU_DEP_1)
	v_cndmask_b32_e64 v26, -1, 0xffff8000, s7
	v_xor_b32_e32 v24, v26, v24
	s_delay_alu instid0(VALU_DEP_1)
	v_cmp_le_u16_e64 s7, v23, v24
	s_and_b32 s17, s7, exec_lo
.LBB1857_113:
	s_wait_alu 0xfffe
	s_or_b32 exec_lo, exec_lo, s14
	s_delay_alu instid0(SALU_CYCLE_1)
	s_or_not1_b32 s14, s17, exec_lo
.LBB1857_114:
	s_wait_alu 0xfffe
	s_or_b32 exec_lo, exec_lo, s16
	v_cndmask_b32_e64 v23, v21, v22, s14
	v_cndmask_b32_e64 v24, v30, v29, s14
	s_mov_b32 s16, exec_lo
	s_delay_alu instid0(VALU_DEP_2) | instskip(NEXT) | instid1(VALU_DEP_2)
	v_add_nc_u32_e32 v26, 1, v23
	v_add_nc_u32_e32 v24, -1, v24
	v_lshl_add_u32 v23, v23, 3, v13
	s_delay_alu instid0(VALU_DEP_3) | instskip(NEXT) | instid1(VALU_DEP_3)
	v_cndmask_b32_e64 v25, v26, v21, s14
	v_min_u32_e32 v24, v26, v24
	v_cndmask_b32_e64 v26, v22, v26, s14
	s_delay_alu instid0(VALU_DEP_2)
	v_lshl_add_u32 v24, v24, 1, v10
	ds_load_u16 v64, v24
	ds_load_b64 v[23:24], v23 offset:4096
	s_wait_dscnt 0x1
	v_cndmask_b32_e64 v50, v64, v38, s14
	v_cndmask_b32_e64 v64, v55, v64, s14
	v_cmpx_lt_u32_e64 v25, v30
	s_cbranch_execz .LBB1857_118
; %bb.115:
	s_mov_b32 s17, 0
	s_mov_b32 s15, exec_lo
	v_cmpx_lt_u32_e64 v26, v29
	s_cbranch_execz .LBB1857_117
; %bb.116:
	v_add_f16_e32 v21, 0, v64
	v_add_f16_e32 v22, 0, v50
	s_delay_alu instid0(VALU_DEP_2) | instskip(SKIP_1) | instid1(VALU_DEP_1)
	v_cmp_lt_i16_e64 s7, -1, v21
	s_wait_alu 0xf1ff
	v_cndmask_b32_e64 v65, -1, 0xffff8000, s7
	s_delay_alu instid0(VALU_DEP_3) | instskip(NEXT) | instid1(VALU_DEP_2)
	v_cmp_lt_i16_e64 s7, -1, v22
	v_xor_b32_e32 v21, v65, v21
	s_wait_alu 0xf1ff
	s_delay_alu instid0(VALU_DEP_2) | instskip(NEXT) | instid1(VALU_DEP_1)
	v_cndmask_b32_e64 v66, -1, 0xffff8000, s7
	v_xor_b32_e32 v22, v66, v22
	s_delay_alu instid0(VALU_DEP_1)
	v_cmp_le_u16_e64 s7, v21, v22
	s_and_b32 s17, s7, exec_lo
.LBB1857_117:
	s_wait_alu 0xfffe
	s_or_b32 exec_lo, exec_lo, s15
	s_delay_alu instid0(SALU_CYCLE_1)
	s_or_not1_b32 s15, s17, exec_lo
.LBB1857_118:
	s_wait_alu 0xfffe
	s_or_b32 exec_lo, exec_lo, s16
	v_cndmask_b32_e64 v21, v25, v26, s15
	v_cndmask_b32_e64 v22, v30, v29, s15
	s_mov_b32 s17, -1
	s_mov_b32 s16, exec_lo
	s_delay_alu instid0(VALU_DEP_2) | instskip(NEXT) | instid1(VALU_DEP_2)
	v_add_nc_u32_e32 v65, 1, v21
	v_add_nc_u32_e32 v22, -1, v22
	v_lshl_add_u32 v21, v21, 3, v13
	s_delay_alu instid0(VALU_DEP_3) | instskip(NEXT) | instid1(VALU_DEP_3)
	v_cndmask_b32_e64 v25, v65, v25, s15
	v_min_u32_e32 v22, v65, v22
	v_cndmask_b32_e64 v26, v26, v65, s15
	s_delay_alu instid0(VALU_DEP_2)
	v_lshl_add_u32 v22, v22, 1, v10
	ds_load_u16 v66, v22
	ds_load_b64 v[21:22], v21 offset:4096
	s_wait_dscnt 0x1
	v_cndmask_b32_e64 v65, v66, v50, s15
	v_cndmask_b32_e64 v66, v64, v66, s15
	v_cmpx_lt_u32_e64 v25, v30
	s_cbranch_execz .LBB1857_122
; %bb.119:
	s_mov_b32 s18, 0
	s_mov_b32 s17, exec_lo
	v_cmpx_lt_u32_e64 v26, v29
	s_cbranch_execz .LBB1857_121
; %bb.120:
	v_add_f16_e32 v29, 0, v66
	v_add_f16_e32 v30, 0, v65
	s_delay_alu instid0(VALU_DEP_2) | instskip(SKIP_1) | instid1(VALU_DEP_1)
	v_cmp_lt_i16_e64 s7, -1, v29
	s_wait_alu 0xf1ff
	v_cndmask_b32_e64 v67, -1, 0xffff8000, s7
	s_delay_alu instid0(VALU_DEP_3) | instskip(NEXT) | instid1(VALU_DEP_2)
	v_cmp_lt_i16_e64 s7, -1, v30
	v_xor_b32_e32 v29, v67, v29
	s_wait_alu 0xf1ff
	s_delay_alu instid0(VALU_DEP_2) | instskip(NEXT) | instid1(VALU_DEP_1)
	v_cndmask_b32_e64 v68, -1, 0xffff8000, s7
	v_xor_b32_e32 v30, v68, v30
	s_delay_alu instid0(VALU_DEP_1)
	v_cmp_le_u16_e64 s7, v29, v30
	s_and_b32 s18, s7, exec_lo
.LBB1857_121:
	s_wait_alu 0xfffe
	s_or_b32 exec_lo, exec_lo, s17
	s_delay_alu instid0(SALU_CYCLE_1)
	s_or_not1_b32 s17, s18, exec_lo
.LBB1857_122:
	s_wait_alu 0xfffe
	s_or_b32 exec_lo, exec_lo, s16
	v_cndmask_b32_e64 v25, v25, v26, s17
	v_cndmask_b32_e64 v50, v50, v64, s15
	;; [unrolled: 1-line block ×5, first 2 shown]
	v_lshl_add_u32 v25, v25, 3, v13
	v_cndmask_b32_e64 v48, v48, v52, s11
	v_cndmask_b32_e64 v39, v37, v39, s8
	;; [unrolled: 1-line block ×4, first 2 shown]
	ds_load_b64 v[25:26], v25 offset:4096
.LBB1857_123:
	s_wait_alu 0xfffe
	s_or_b32 exec_lo, exec_lo, s9
	v_and_b32_e32 v31, 0xe0, v35
	v_and_b32_e32 v52, 24, v35
	s_mov_b32 s8, exec_lo
	; wave barrier
	s_delay_alu instid0(VALU_DEP_2) | instskip(NEXT) | instid1(VALU_DEP_2)
	v_or_b32_e32 v29, 16, v31
	v_min_u32_e32 v54, v28, v52
	ds_store_b16 v14, v36
	ds_store_b64 v27, v[4:5] offset:4096
	ds_store_b16 v14, v39 offset:2
	ds_store_b64 v27, v[8:9] offset:4104
	ds_store_b16 v14, v48 offset:4
	;; [unrolled: 2-line block ×3, first 2 shown]
	ds_store_b64 v27, v[17:18] offset:4120
	v_min_u32_e32 v29, v28, v29
	ds_store_b16 v14, v49 offset:8
	ds_store_b64 v27, v[19:20] offset:4128
	ds_store_b16 v14, v38 offset:10
	ds_store_b64 v27, v[23:24] offset:4136
	ds_store_b16 v14, v50 offset:12
	s_wait_dscnt 0xe
	ds_store_b64 v27, v[21:22] offset:4144
	ds_store_b16 v14, v37 offset:14
	s_wait_dscnt 0xf
	ds_store_b64 v27, v[25:26] offset:4152
	v_add_nc_u32_e32 v30, 16, v29
	v_sub_nc_u32_e32 v53, v29, v31
	; wave barrier
	s_delay_alu instid0(VALU_DEP_2) | instskip(NEXT) | instid1(VALU_DEP_2)
	v_min_u32_e32 v30, v28, v30
	v_min_u32_e32 v55, v54, v53
	v_lshl_add_u32 v53, v31, 1, v10
	s_delay_alu instid0(VALU_DEP_3) | instskip(NEXT) | instid1(VALU_DEP_1)
	v_sub_nc_u32_e32 v52, v30, v29
	v_sub_nc_u32_e64 v52, v54, v52 clamp
	s_delay_alu instid0(VALU_DEP_1)
	v_cmpx_lt_u32_e64 v52, v55
	s_cbranch_execz .LBB1857_127
; %bb.124:
	v_lshlrev_b32_e32 v64, 1, v29
	v_lshlrev_b32_e32 v65, 1, v54
	s_mov_b32 s9, 0
	s_delay_alu instid0(VALU_DEP_1)
	v_add3_u32 v64, v10, v64, v65
.LBB1857_125:                           ; =>This Inner Loop Header: Depth=1
	v_add_nc_u32_e32 v65, v55, v52
	s_delay_alu instid0(VALU_DEP_1) | instskip(SKIP_1) | instid1(VALU_DEP_2)
	v_lshrrev_b32_e32 v66, 1, v65
	v_and_b32_e32 v65, -2, v65
	v_not_b32_e32 v67, v66
	s_delay_alu instid0(VALU_DEP_2) | instskip(NEXT) | instid1(VALU_DEP_2)
	v_add_nc_u32_e32 v65, v53, v65
	v_lshl_add_u32 v67, v67, 1, v64
	ds_load_u16 v65, v65
	ds_load_u16 v67, v67
	s_wait_dscnt 0x1
	v_add_f16_e32 v65, 0, v65
	s_wait_dscnt 0x0
	v_add_f16_e32 v67, 0, v67
	s_delay_alu instid0(VALU_DEP_2) | instskip(SKIP_1) | instid1(VALU_DEP_1)
	v_cmp_lt_i16_e64 s7, -1, v65
	s_wait_alu 0xf1ff
	v_cndmask_b32_e64 v68, -1, 0xffff8000, s7
	s_delay_alu instid0(VALU_DEP_3) | instskip(NEXT) | instid1(VALU_DEP_2)
	v_cmp_lt_i16_e64 s7, -1, v67
	v_xor_b32_e32 v65, v68, v65
	s_wait_alu 0xf1ff
	s_delay_alu instid0(VALU_DEP_2) | instskip(SKIP_1) | instid1(VALU_DEP_2)
	v_cndmask_b32_e64 v69, -1, 0xffff8000, s7
	v_add_nc_u32_e32 v68, 1, v66
	v_xor_b32_e32 v67, v69, v67
	s_delay_alu instid0(VALU_DEP_1) | instskip(SKIP_1) | instid1(VALU_DEP_1)
	v_cmp_gt_u16_e64 s7, v65, v67
	s_wait_alu 0xf1ff
	v_cndmask_b32_e64 v55, v55, v66, s7
	v_cndmask_b32_e64 v52, v68, v52, s7
	s_delay_alu instid0(VALU_DEP_1)
	v_cmp_ge_u32_e64 s7, v52, v55
	s_wait_alu 0xfffe
	s_or_b32 s9, s7, s9
	s_wait_alu 0xfffe
	s_and_not1_b32 exec_lo, exec_lo, s9
	s_cbranch_execnz .LBB1857_125
; %bb.126:
	s_or_b32 exec_lo, exec_lo, s9
.LBB1857_127:
	s_wait_alu 0xfffe
	s_or_b32 exec_lo, exec_lo, s8
	v_add_nc_u32_e32 v55, v29, v54
	v_add_nc_u32_e32 v54, v52, v31
	s_delay_alu instid0(VALU_DEP_2) | instskip(NEXT) | instid1(VALU_DEP_2)
	v_sub_nc_u32_e32 v55, v55, v52
	v_cmp_le_u32_e64 s7, v54, v29
	s_delay_alu instid0(VALU_DEP_2)
	v_cmp_le_u32_e64 s8, v55, v30
	s_or_b32 s7, s7, s8
	s_wait_alu 0xfffe
	s_and_saveexec_b32 s9, s7
	s_cbranch_execz .LBB1857_163
; %bb.128:
	v_cmp_ge_u32_e64 s7, v54, v29
	s_mov_b32 s10, exec_lo
                                        ; implicit-def: $vgpr31
	v_cmpx_lt_u32_e64 v54, v29
; %bb.129:
	v_lshl_add_u32 v4, v52, 1, v53
	ds_load_u16 v31, v4
; %bb.130:
	s_wait_alu 0xfffe
	s_or_b32 exec_lo, exec_lo, s10
	v_cmp_ge_u32_e64 s10, v55, v30
	s_mov_b32 s11, exec_lo
                                        ; implicit-def: $vgpr36
	v_cmpx_lt_u32_e64 v55, v30
; %bb.131:
	v_lshl_add_u32 v4, v55, 1, v10
	ds_load_u16 v36, v4
; %bb.132:
	s_wait_alu 0xfffe
	s_or_b32 exec_lo, exec_lo, s11
	s_nor_b32 s7, s7, s10
	s_wait_alu 0xfffe
	s_and_saveexec_b32 s8, s7
	s_cbranch_execz .LBB1857_134
; %bb.133:
	s_wait_dscnt 0x0
	v_add_f16_e32 v4, 0, v31
	v_add_f16_e32 v5, 0, v36
	s_and_not1_b32 s10, s10, exec_lo
	s_delay_alu instid0(VALU_DEP_2) | instskip(SKIP_1) | instid1(VALU_DEP_1)
	v_cmp_lt_i16_e64 s7, -1, v4
	s_wait_alu 0xf1ff
	v_cndmask_b32_e64 v8, -1, 0xffff8000, s7
	v_cmp_lt_i16_e64 s7, -1, v5
	s_delay_alu instid0(VALU_DEP_2) | instskip(SKIP_1) | instid1(VALU_DEP_2)
	v_xor_b32_e32 v4, v8, v4
	s_wait_alu 0xf1ff
	v_cndmask_b32_e64 v9, -1, 0xffff8000, s7
	s_delay_alu instid0(VALU_DEP_1) | instskip(NEXT) | instid1(VALU_DEP_1)
	v_xor_b32_e32 v5, v9, v5
	v_cmp_le_u16_e64 s7, v4, v5
	s_and_b32 s7, s7, exec_lo
	s_wait_alu 0xfffe
	s_or_b32 s10, s10, s7
.LBB1857_134:
	s_wait_alu 0xfffe
	s_or_b32 exec_lo, exec_lo, s8
	v_cndmask_b32_e64 v4, v55, v54, s10
	v_cndmask_b32_e64 v5, v30, v29, s10
	s_mov_b32 s11, -1
	s_mov_b32 s8, -1
	s_mov_b32 s12, exec_lo
	v_add_nc_u32_e32 v8, 1, v4
	v_add_nc_u32_e32 v5, -1, v5
	v_lshl_add_u32 v4, v4, 3, v13
	s_delay_alu instid0(VALU_DEP_3) | instskip(NEXT) | instid1(VALU_DEP_3)
	v_cndmask_b32_e64 v15, v8, v55, s10
	v_min_u32_e32 v5, v8, v5
	v_cndmask_b32_e64 v16, v54, v8, s10
	s_delay_alu instid0(VALU_DEP_2)
	v_lshl_add_u32 v5, v5, 1, v10
	ds_load_u16 v9, v5
	ds_load_b64 v[4:5], v4 offset:4096
	s_wait_dscnt 0x1
	v_cndmask_b32_e64 v37, v9, v36, s10
	v_cndmask_b32_e64 v39, v31, v9, s10
	v_cmpx_lt_u32_e64 v15, v30
	s_cbranch_execz .LBB1857_138
; %bb.135:
	s_mov_b32 s13, 0
	s_mov_b32 s8, exec_lo
	v_cmpx_lt_u32_e64 v16, v29
	s_cbranch_execz .LBB1857_137
; %bb.136:
	v_add_f16_e32 v8, 0, v39
	v_add_f16_e32 v9, 0, v37
	s_delay_alu instid0(VALU_DEP_2) | instskip(SKIP_1) | instid1(VALU_DEP_1)
	v_cmp_lt_i16_e64 s7, -1, v8
	s_wait_alu 0xf1ff
	v_cndmask_b32_e64 v17, -1, 0xffff8000, s7
	s_delay_alu instid0(VALU_DEP_3) | instskip(NEXT) | instid1(VALU_DEP_2)
	v_cmp_lt_i16_e64 s7, -1, v9
	v_xor_b32_e32 v8, v17, v8
	s_wait_alu 0xf1ff
	s_delay_alu instid0(VALU_DEP_2) | instskip(NEXT) | instid1(VALU_DEP_1)
	v_cndmask_b32_e64 v18, -1, 0xffff8000, s7
	v_xor_b32_e32 v9, v18, v9
	s_delay_alu instid0(VALU_DEP_1)
	v_cmp_le_u16_e64 s7, v8, v9
	s_and_b32 s13, s7, exec_lo
.LBB1857_137:
	s_wait_alu 0xfffe
	s_or_b32 exec_lo, exec_lo, s8
	s_delay_alu instid0(SALU_CYCLE_1)
	s_or_not1_b32 s8, s13, exec_lo
.LBB1857_138:
	s_wait_alu 0xfffe
	s_or_b32 exec_lo, exec_lo, s12
	v_cndmask_b32_e64 v8, v15, v16, s8
	v_cndmask_b32_e64 v9, v30, v29, s8
	s_mov_b32 s12, exec_lo
	s_delay_alu instid0(VALU_DEP_2) | instskip(NEXT) | instid1(VALU_DEP_2)
	v_add_nc_u32_e32 v18, 1, v8
	v_add_nc_u32_e32 v9, -1, v9
	v_lshl_add_u32 v8, v8, 3, v13
	s_delay_alu instid0(VALU_DEP_3) | instskip(NEXT) | instid1(VALU_DEP_3)
	v_cndmask_b32_e64 v17, v18, v15, s8
	v_min_u32_e32 v9, v18, v9
	v_cndmask_b32_e64 v18, v16, v18, s8
	s_delay_alu instid0(VALU_DEP_2)
	v_lshl_add_u32 v9, v9, 1, v10
	ds_load_u16 v19, v9
	ds_load_b64 v[8:9], v8 offset:4096
	s_wait_dscnt 0x1
	v_cndmask_b32_e64 v48, v19, v37, s8
	v_cndmask_b32_e64 v52, v39, v19, s8
	v_cmpx_lt_u32_e64 v17, v30
	s_cbranch_execz .LBB1857_142
; %bb.139:
	s_mov_b32 s13, 0
	s_mov_b32 s11, exec_lo
	v_cmpx_lt_u32_e64 v18, v29
	s_cbranch_execz .LBB1857_141
; %bb.140:
	v_add_f16_e32 v15, 0, v52
	v_add_f16_e32 v16, 0, v48
	s_delay_alu instid0(VALU_DEP_2) | instskip(SKIP_1) | instid1(VALU_DEP_1)
	v_cmp_lt_i16_e64 s7, -1, v15
	s_wait_alu 0xf1ff
	v_cndmask_b32_e64 v19, -1, 0xffff8000, s7
	s_delay_alu instid0(VALU_DEP_3) | instskip(NEXT) | instid1(VALU_DEP_2)
	v_cmp_lt_i16_e64 s7, -1, v16
	v_xor_b32_e32 v15, v19, v15
	s_wait_alu 0xf1ff
	s_delay_alu instid0(VALU_DEP_2) | instskip(NEXT) | instid1(VALU_DEP_1)
	v_cndmask_b32_e64 v20, -1, 0xffff8000, s7
	v_xor_b32_e32 v16, v20, v16
	s_delay_alu instid0(VALU_DEP_1)
	v_cmp_le_u16_e64 s7, v15, v16
	s_and_b32 s13, s7, exec_lo
.LBB1857_141:
	s_wait_alu 0xfffe
	s_or_b32 exec_lo, exec_lo, s11
	s_delay_alu instid0(SALU_CYCLE_1)
	s_or_not1_b32 s11, s13, exec_lo
.LBB1857_142:
	s_wait_alu 0xfffe
	s_or_b32 exec_lo, exec_lo, s12
	v_cndmask_b32_e64 v15, v17, v18, s11
	v_cndmask_b32_e64 v16, v30, v29, s11
	s_mov_b32 s13, -1
	s_mov_b32 s12, -1
	s_mov_b32 s14, exec_lo
	v_add_nc_u32_e32 v20, 1, v15
	v_add_nc_u32_e32 v16, -1, v16
	v_lshl_add_u32 v15, v15, 3, v13
	s_delay_alu instid0(VALU_DEP_3) | instskip(NEXT) | instid1(VALU_DEP_3)
	v_cndmask_b32_e64 v19, v20, v17, s11
	v_min_u32_e32 v16, v20, v16
	v_cndmask_b32_e64 v20, v18, v20, s11
	s_delay_alu instid0(VALU_DEP_2)
	v_lshl_add_u32 v16, v16, 1, v10
	ds_load_u16 v21, v16
	ds_load_b64 v[15:16], v15 offset:4096
	s_wait_dscnt 0x1
	v_cndmask_b32_e64 v51, v21, v48, s11
	v_cndmask_b32_e64 v53, v52, v21, s11
	v_cmpx_lt_u32_e64 v19, v30
	s_cbranch_execz .LBB1857_146
; %bb.143:
	s_mov_b32 s15, 0
	s_mov_b32 s12, exec_lo
	v_cmpx_lt_u32_e64 v20, v29
	s_cbranch_execz .LBB1857_145
; %bb.144:
	v_add_f16_e32 v17, 0, v53
	v_add_f16_e32 v18, 0, v51
	s_delay_alu instid0(VALU_DEP_2) | instskip(SKIP_1) | instid1(VALU_DEP_1)
	v_cmp_lt_i16_e64 s7, -1, v17
	s_wait_alu 0xf1ff
	v_cndmask_b32_e64 v21, -1, 0xffff8000, s7
	s_delay_alu instid0(VALU_DEP_3) | instskip(NEXT) | instid1(VALU_DEP_2)
	v_cmp_lt_i16_e64 s7, -1, v18
	v_xor_b32_e32 v17, v21, v17
	s_wait_alu 0xf1ff
	s_delay_alu instid0(VALU_DEP_2) | instskip(NEXT) | instid1(VALU_DEP_1)
	v_cndmask_b32_e64 v22, -1, 0xffff8000, s7
	v_xor_b32_e32 v18, v22, v18
	s_delay_alu instid0(VALU_DEP_1)
	v_cmp_le_u16_e64 s7, v17, v18
	s_and_b32 s15, s7, exec_lo
.LBB1857_145:
	s_wait_alu 0xfffe
	s_or_b32 exec_lo, exec_lo, s12
	s_delay_alu instid0(SALU_CYCLE_1)
	s_or_not1_b32 s12, s15, exec_lo
.LBB1857_146:
	s_wait_alu 0xfffe
	s_or_b32 exec_lo, exec_lo, s14
	v_cndmask_b32_e64 v17, v19, v20, s12
	v_cndmask_b32_e64 v18, v30, v29, s12
	s_mov_b32 s14, exec_lo
	s_delay_alu instid0(VALU_DEP_2) | instskip(NEXT) | instid1(VALU_DEP_2)
	v_add_nc_u32_e32 v22, 1, v17
	v_add_nc_u32_e32 v18, -1, v18
	v_lshl_add_u32 v17, v17, 3, v13
	s_delay_alu instid0(VALU_DEP_3) | instskip(NEXT) | instid1(VALU_DEP_3)
	v_cndmask_b32_e64 v21, v22, v19, s12
	v_min_u32_e32 v18, v22, v18
	v_cndmask_b32_e64 v22, v20, v22, s12
	s_delay_alu instid0(VALU_DEP_2)
	v_lshl_add_u32 v18, v18, 1, v10
	ds_load_u16 v23, v18
	ds_load_b64 v[17:18], v17 offset:4096
	s_wait_dscnt 0x1
	v_cndmask_b32_e64 v49, v23, v51, s12
	v_cndmask_b32_e64 v54, v53, v23, s12
	v_cmpx_lt_u32_e64 v21, v30
	s_cbranch_execz .LBB1857_150
; %bb.147:
	s_mov_b32 s15, 0
	s_mov_b32 s13, exec_lo
	v_cmpx_lt_u32_e64 v22, v29
	s_cbranch_execz .LBB1857_149
; %bb.148:
	v_add_f16_e32 v19, 0, v54
	v_add_f16_e32 v20, 0, v49
	s_delay_alu instid0(VALU_DEP_2) | instskip(SKIP_1) | instid1(VALU_DEP_1)
	v_cmp_lt_i16_e64 s7, -1, v19
	s_wait_alu 0xf1ff
	v_cndmask_b32_e64 v23, -1, 0xffff8000, s7
	s_delay_alu instid0(VALU_DEP_3) | instskip(NEXT) | instid1(VALU_DEP_2)
	v_cmp_lt_i16_e64 s7, -1, v20
	v_xor_b32_e32 v19, v23, v19
	s_wait_alu 0xf1ff
	s_delay_alu instid0(VALU_DEP_2) | instskip(NEXT) | instid1(VALU_DEP_1)
	v_cndmask_b32_e64 v24, -1, 0xffff8000, s7
	v_xor_b32_e32 v20, v24, v20
	s_delay_alu instid0(VALU_DEP_1)
	v_cmp_le_u16_e64 s7, v19, v20
	s_and_b32 s15, s7, exec_lo
.LBB1857_149:
	s_wait_alu 0xfffe
	s_or_b32 exec_lo, exec_lo, s13
	s_delay_alu instid0(SALU_CYCLE_1)
	s_or_not1_b32 s13, s15, exec_lo
.LBB1857_150:
	s_wait_alu 0xfffe
	s_or_b32 exec_lo, exec_lo, s14
	v_cndmask_b32_e64 v19, v21, v22, s13
	v_cndmask_b32_e64 v20, v30, v29, s13
	s_mov_b32 s15, -1
	s_mov_b32 s14, -1
	s_mov_b32 s16, exec_lo
	v_add_nc_u32_e32 v23, 1, v19
	v_add_nc_u32_e32 v20, -1, v20
	v_lshl_add_u32 v19, v19, 3, v13
	s_delay_alu instid0(VALU_DEP_3) | instskip(NEXT) | instid1(VALU_DEP_3)
	v_cndmask_b32_e64 v21, v23, v21, s13
	v_min_u32_e32 v20, v23, v20
	v_cndmask_b32_e64 v22, v22, v23, s13
	s_delay_alu instid0(VALU_DEP_2)
	v_lshl_add_u32 v20, v20, 1, v10
	ds_load_u16 v24, v20
	ds_load_b64 v[19:20], v19 offset:4096
	s_wait_dscnt 0x1
	v_cndmask_b32_e64 v38, v24, v49, s13
	v_cndmask_b32_e64 v55, v54, v24, s13
	v_cmpx_lt_u32_e64 v21, v30
	s_cbranch_execz .LBB1857_154
; %bb.151:
	s_mov_b32 s17, 0
	s_mov_b32 s14, exec_lo
	v_cmpx_lt_u32_e64 v22, v29
	s_cbranch_execz .LBB1857_153
; %bb.152:
	v_add_f16_e32 v23, 0, v55
	v_add_f16_e32 v24, 0, v38
	s_delay_alu instid0(VALU_DEP_2) | instskip(SKIP_1) | instid1(VALU_DEP_1)
	v_cmp_lt_i16_e64 s7, -1, v23
	s_wait_alu 0xf1ff
	v_cndmask_b32_e64 v25, -1, 0xffff8000, s7
	s_delay_alu instid0(VALU_DEP_3) | instskip(NEXT) | instid1(VALU_DEP_2)
	v_cmp_lt_i16_e64 s7, -1, v24
	v_xor_b32_e32 v23, v25, v23
	s_wait_alu 0xf1ff
	s_delay_alu instid0(VALU_DEP_2) | instskip(NEXT) | instid1(VALU_DEP_1)
	v_cndmask_b32_e64 v26, -1, 0xffff8000, s7
	v_xor_b32_e32 v24, v26, v24
	s_delay_alu instid0(VALU_DEP_1)
	v_cmp_le_u16_e64 s7, v23, v24
	s_and_b32 s17, s7, exec_lo
.LBB1857_153:
	s_wait_alu 0xfffe
	s_or_b32 exec_lo, exec_lo, s14
	s_delay_alu instid0(SALU_CYCLE_1)
	s_or_not1_b32 s14, s17, exec_lo
.LBB1857_154:
	s_wait_alu 0xfffe
	s_or_b32 exec_lo, exec_lo, s16
	v_cndmask_b32_e64 v23, v21, v22, s14
	v_cndmask_b32_e64 v24, v30, v29, s14
	s_mov_b32 s16, exec_lo
	s_delay_alu instid0(VALU_DEP_2) | instskip(NEXT) | instid1(VALU_DEP_2)
	v_add_nc_u32_e32 v26, 1, v23
	v_add_nc_u32_e32 v24, -1, v24
	v_lshl_add_u32 v23, v23, 3, v13
	s_delay_alu instid0(VALU_DEP_3) | instskip(NEXT) | instid1(VALU_DEP_3)
	v_cndmask_b32_e64 v25, v26, v21, s14
	v_min_u32_e32 v24, v26, v24
	v_cndmask_b32_e64 v26, v22, v26, s14
	s_delay_alu instid0(VALU_DEP_2)
	v_lshl_add_u32 v24, v24, 1, v10
	ds_load_u16 v64, v24
	ds_load_b64 v[23:24], v23 offset:4096
	s_wait_dscnt 0x1
	v_cndmask_b32_e64 v50, v64, v38, s14
	v_cndmask_b32_e64 v64, v55, v64, s14
	v_cmpx_lt_u32_e64 v25, v30
	s_cbranch_execz .LBB1857_158
; %bb.155:
	s_mov_b32 s17, 0
	s_mov_b32 s15, exec_lo
	v_cmpx_lt_u32_e64 v26, v29
	s_cbranch_execz .LBB1857_157
; %bb.156:
	v_add_f16_e32 v21, 0, v64
	v_add_f16_e32 v22, 0, v50
	s_delay_alu instid0(VALU_DEP_2) | instskip(SKIP_1) | instid1(VALU_DEP_1)
	v_cmp_lt_i16_e64 s7, -1, v21
	s_wait_alu 0xf1ff
	v_cndmask_b32_e64 v65, -1, 0xffff8000, s7
	s_delay_alu instid0(VALU_DEP_3) | instskip(NEXT) | instid1(VALU_DEP_2)
	v_cmp_lt_i16_e64 s7, -1, v22
	v_xor_b32_e32 v21, v65, v21
	s_wait_alu 0xf1ff
	s_delay_alu instid0(VALU_DEP_2) | instskip(NEXT) | instid1(VALU_DEP_1)
	v_cndmask_b32_e64 v66, -1, 0xffff8000, s7
	v_xor_b32_e32 v22, v66, v22
	s_delay_alu instid0(VALU_DEP_1)
	v_cmp_le_u16_e64 s7, v21, v22
	s_and_b32 s17, s7, exec_lo
.LBB1857_157:
	s_wait_alu 0xfffe
	s_or_b32 exec_lo, exec_lo, s15
	s_delay_alu instid0(SALU_CYCLE_1)
	s_or_not1_b32 s15, s17, exec_lo
.LBB1857_158:
	s_wait_alu 0xfffe
	s_or_b32 exec_lo, exec_lo, s16
	v_cndmask_b32_e64 v21, v25, v26, s15
	v_cndmask_b32_e64 v22, v30, v29, s15
	s_mov_b32 s17, -1
	s_mov_b32 s16, exec_lo
	s_delay_alu instid0(VALU_DEP_2) | instskip(NEXT) | instid1(VALU_DEP_2)
	v_add_nc_u32_e32 v65, 1, v21
	v_add_nc_u32_e32 v22, -1, v22
	v_lshl_add_u32 v21, v21, 3, v13
	s_delay_alu instid0(VALU_DEP_3) | instskip(NEXT) | instid1(VALU_DEP_3)
	v_cndmask_b32_e64 v25, v65, v25, s15
	v_min_u32_e32 v22, v65, v22
	v_cndmask_b32_e64 v26, v26, v65, s15
	s_delay_alu instid0(VALU_DEP_2)
	v_lshl_add_u32 v22, v22, 1, v10
	ds_load_u16 v66, v22
	ds_load_b64 v[21:22], v21 offset:4096
	s_wait_dscnt 0x1
	v_cndmask_b32_e64 v65, v66, v50, s15
	v_cndmask_b32_e64 v66, v64, v66, s15
	v_cmpx_lt_u32_e64 v25, v30
	s_cbranch_execz .LBB1857_162
; %bb.159:
	s_mov_b32 s18, 0
	s_mov_b32 s17, exec_lo
	v_cmpx_lt_u32_e64 v26, v29
	s_cbranch_execz .LBB1857_161
; %bb.160:
	v_add_f16_e32 v29, 0, v66
	v_add_f16_e32 v30, 0, v65
	s_delay_alu instid0(VALU_DEP_2) | instskip(SKIP_1) | instid1(VALU_DEP_1)
	v_cmp_lt_i16_e64 s7, -1, v29
	s_wait_alu 0xf1ff
	v_cndmask_b32_e64 v67, -1, 0xffff8000, s7
	s_delay_alu instid0(VALU_DEP_3) | instskip(NEXT) | instid1(VALU_DEP_2)
	v_cmp_lt_i16_e64 s7, -1, v30
	v_xor_b32_e32 v29, v67, v29
	s_wait_alu 0xf1ff
	s_delay_alu instid0(VALU_DEP_2) | instskip(NEXT) | instid1(VALU_DEP_1)
	v_cndmask_b32_e64 v68, -1, 0xffff8000, s7
	v_xor_b32_e32 v30, v68, v30
	s_delay_alu instid0(VALU_DEP_1)
	v_cmp_le_u16_e64 s7, v29, v30
	s_and_b32 s18, s7, exec_lo
.LBB1857_161:
	s_wait_alu 0xfffe
	s_or_b32 exec_lo, exec_lo, s17
	s_delay_alu instid0(SALU_CYCLE_1)
	s_or_not1_b32 s17, s18, exec_lo
.LBB1857_162:
	s_wait_alu 0xfffe
	s_or_b32 exec_lo, exec_lo, s16
	v_cndmask_b32_e64 v25, v25, v26, s17
	v_cndmask_b32_e64 v50, v50, v64, s15
	;; [unrolled: 1-line block ×5, first 2 shown]
	v_lshl_add_u32 v25, v25, 3, v13
	v_cndmask_b32_e64 v48, v48, v52, s11
	v_cndmask_b32_e64 v39, v37, v39, s8
	;; [unrolled: 1-line block ×4, first 2 shown]
	ds_load_b64 v[25:26], v25 offset:4096
.LBB1857_163:
	s_wait_alu 0xfffe
	s_or_b32 exec_lo, exec_lo, s9
	v_and_b32_e32 v31, 0xc0, v35
	v_and_b32_e32 v52, 56, v35
	s_mov_b32 s8, exec_lo
	; wave barrier
	s_delay_alu instid0(VALU_DEP_2) | instskip(NEXT) | instid1(VALU_DEP_2)
	v_or_b32_e32 v29, 32, v31
	v_min_u32_e32 v54, v28, v52
	ds_store_b16 v14, v36
	ds_store_b64 v27, v[4:5] offset:4096
	ds_store_b16 v14, v39 offset:2
	ds_store_b64 v27, v[8:9] offset:4104
	ds_store_b16 v14, v48 offset:4
	;; [unrolled: 2-line block ×3, first 2 shown]
	ds_store_b64 v27, v[17:18] offset:4120
	v_min_u32_e32 v29, v28, v29
	ds_store_b16 v14, v49 offset:8
	ds_store_b64 v27, v[19:20] offset:4128
	ds_store_b16 v14, v38 offset:10
	ds_store_b64 v27, v[23:24] offset:4136
	ds_store_b16 v14, v50 offset:12
	s_wait_dscnt 0xe
	ds_store_b64 v27, v[21:22] offset:4144
	ds_store_b16 v14, v37 offset:14
	s_wait_dscnt 0xf
	ds_store_b64 v27, v[25:26] offset:4152
	v_add_nc_u32_e32 v30, 32, v29
	v_sub_nc_u32_e32 v53, v29, v31
	; wave barrier
	s_delay_alu instid0(VALU_DEP_2) | instskip(NEXT) | instid1(VALU_DEP_2)
	v_min_u32_e32 v30, v28, v30
	v_min_u32_e32 v55, v54, v53
	v_lshl_add_u32 v53, v31, 1, v10
	s_delay_alu instid0(VALU_DEP_3) | instskip(NEXT) | instid1(VALU_DEP_1)
	v_sub_nc_u32_e32 v52, v30, v29
	v_sub_nc_u32_e64 v52, v54, v52 clamp
	s_delay_alu instid0(VALU_DEP_1)
	v_cmpx_lt_u32_e64 v52, v55
	s_cbranch_execz .LBB1857_167
; %bb.164:
	v_lshlrev_b32_e32 v64, 1, v29
	v_lshlrev_b32_e32 v65, 1, v54
	s_mov_b32 s9, 0
	s_delay_alu instid0(VALU_DEP_1)
	v_add3_u32 v64, v10, v64, v65
.LBB1857_165:                           ; =>This Inner Loop Header: Depth=1
	v_add_nc_u32_e32 v65, v55, v52
	s_delay_alu instid0(VALU_DEP_1) | instskip(SKIP_1) | instid1(VALU_DEP_2)
	v_lshrrev_b32_e32 v66, 1, v65
	v_and_b32_e32 v65, -2, v65
	v_not_b32_e32 v67, v66
	s_delay_alu instid0(VALU_DEP_2) | instskip(NEXT) | instid1(VALU_DEP_2)
	v_add_nc_u32_e32 v65, v53, v65
	v_lshl_add_u32 v67, v67, 1, v64
	ds_load_u16 v65, v65
	ds_load_u16 v67, v67
	s_wait_dscnt 0x1
	v_add_f16_e32 v65, 0, v65
	s_wait_dscnt 0x0
	v_add_f16_e32 v67, 0, v67
	s_delay_alu instid0(VALU_DEP_2) | instskip(SKIP_1) | instid1(VALU_DEP_1)
	v_cmp_lt_i16_e64 s7, -1, v65
	s_wait_alu 0xf1ff
	v_cndmask_b32_e64 v68, -1, 0xffff8000, s7
	s_delay_alu instid0(VALU_DEP_3) | instskip(NEXT) | instid1(VALU_DEP_2)
	v_cmp_lt_i16_e64 s7, -1, v67
	v_xor_b32_e32 v65, v68, v65
	s_wait_alu 0xf1ff
	s_delay_alu instid0(VALU_DEP_2) | instskip(SKIP_1) | instid1(VALU_DEP_2)
	v_cndmask_b32_e64 v69, -1, 0xffff8000, s7
	v_add_nc_u32_e32 v68, 1, v66
	v_xor_b32_e32 v67, v69, v67
	s_delay_alu instid0(VALU_DEP_1) | instskip(SKIP_1) | instid1(VALU_DEP_1)
	v_cmp_gt_u16_e64 s7, v65, v67
	s_wait_alu 0xf1ff
	v_cndmask_b32_e64 v55, v55, v66, s7
	v_cndmask_b32_e64 v52, v68, v52, s7
	s_delay_alu instid0(VALU_DEP_1)
	v_cmp_ge_u32_e64 s7, v52, v55
	s_wait_alu 0xfffe
	s_or_b32 s9, s7, s9
	s_wait_alu 0xfffe
	s_and_not1_b32 exec_lo, exec_lo, s9
	s_cbranch_execnz .LBB1857_165
; %bb.166:
	s_or_b32 exec_lo, exec_lo, s9
.LBB1857_167:
	s_wait_alu 0xfffe
	s_or_b32 exec_lo, exec_lo, s8
	v_add_nc_u32_e32 v55, v29, v54
	v_add_nc_u32_e32 v54, v52, v31
	s_delay_alu instid0(VALU_DEP_2) | instskip(NEXT) | instid1(VALU_DEP_2)
	v_sub_nc_u32_e32 v55, v55, v52
	v_cmp_le_u32_e64 s7, v54, v29
	s_delay_alu instid0(VALU_DEP_2)
	v_cmp_le_u32_e64 s8, v55, v30
	s_or_b32 s7, s7, s8
	s_wait_alu 0xfffe
	s_and_saveexec_b32 s9, s7
	s_cbranch_execz .LBB1857_203
; %bb.168:
	v_cmp_ge_u32_e64 s7, v54, v29
	s_mov_b32 s10, exec_lo
                                        ; implicit-def: $vgpr31
	v_cmpx_lt_u32_e64 v54, v29
; %bb.169:
	v_lshl_add_u32 v4, v52, 1, v53
	ds_load_u16 v31, v4
; %bb.170:
	s_wait_alu 0xfffe
	s_or_b32 exec_lo, exec_lo, s10
	v_cmp_ge_u32_e64 s10, v55, v30
	s_mov_b32 s11, exec_lo
                                        ; implicit-def: $vgpr36
	v_cmpx_lt_u32_e64 v55, v30
; %bb.171:
	v_lshl_add_u32 v4, v55, 1, v10
	ds_load_u16 v36, v4
; %bb.172:
	s_wait_alu 0xfffe
	s_or_b32 exec_lo, exec_lo, s11
	s_nor_b32 s7, s7, s10
	s_wait_alu 0xfffe
	s_and_saveexec_b32 s8, s7
	s_cbranch_execz .LBB1857_174
; %bb.173:
	s_wait_dscnt 0x0
	v_add_f16_e32 v4, 0, v31
	v_add_f16_e32 v5, 0, v36
	s_and_not1_b32 s10, s10, exec_lo
	s_delay_alu instid0(VALU_DEP_2) | instskip(SKIP_1) | instid1(VALU_DEP_1)
	v_cmp_lt_i16_e64 s7, -1, v4
	s_wait_alu 0xf1ff
	v_cndmask_b32_e64 v8, -1, 0xffff8000, s7
	v_cmp_lt_i16_e64 s7, -1, v5
	s_delay_alu instid0(VALU_DEP_2) | instskip(SKIP_1) | instid1(VALU_DEP_2)
	v_xor_b32_e32 v4, v8, v4
	s_wait_alu 0xf1ff
	v_cndmask_b32_e64 v9, -1, 0xffff8000, s7
	s_delay_alu instid0(VALU_DEP_1) | instskip(NEXT) | instid1(VALU_DEP_1)
	v_xor_b32_e32 v5, v9, v5
	v_cmp_le_u16_e64 s7, v4, v5
	s_and_b32 s7, s7, exec_lo
	s_wait_alu 0xfffe
	s_or_b32 s10, s10, s7
.LBB1857_174:
	s_wait_alu 0xfffe
	s_or_b32 exec_lo, exec_lo, s8
	v_cndmask_b32_e64 v4, v55, v54, s10
	v_cndmask_b32_e64 v5, v30, v29, s10
	s_mov_b32 s11, -1
	s_mov_b32 s8, -1
	s_mov_b32 s12, exec_lo
	v_add_nc_u32_e32 v8, 1, v4
	v_add_nc_u32_e32 v5, -1, v5
	v_lshl_add_u32 v4, v4, 3, v13
	s_delay_alu instid0(VALU_DEP_3) | instskip(NEXT) | instid1(VALU_DEP_3)
	v_cndmask_b32_e64 v15, v8, v55, s10
	v_min_u32_e32 v5, v8, v5
	v_cndmask_b32_e64 v16, v54, v8, s10
	s_delay_alu instid0(VALU_DEP_2)
	v_lshl_add_u32 v5, v5, 1, v10
	ds_load_u16 v9, v5
	ds_load_b64 v[4:5], v4 offset:4096
	s_wait_dscnt 0x1
	v_cndmask_b32_e64 v37, v9, v36, s10
	v_cndmask_b32_e64 v39, v31, v9, s10
	v_cmpx_lt_u32_e64 v15, v30
	s_cbranch_execz .LBB1857_178
; %bb.175:
	s_mov_b32 s13, 0
	s_mov_b32 s8, exec_lo
	v_cmpx_lt_u32_e64 v16, v29
	s_cbranch_execz .LBB1857_177
; %bb.176:
	v_add_f16_e32 v8, 0, v39
	v_add_f16_e32 v9, 0, v37
	s_delay_alu instid0(VALU_DEP_2) | instskip(SKIP_1) | instid1(VALU_DEP_1)
	v_cmp_lt_i16_e64 s7, -1, v8
	s_wait_alu 0xf1ff
	v_cndmask_b32_e64 v17, -1, 0xffff8000, s7
	s_delay_alu instid0(VALU_DEP_3) | instskip(NEXT) | instid1(VALU_DEP_2)
	v_cmp_lt_i16_e64 s7, -1, v9
	v_xor_b32_e32 v8, v17, v8
	s_wait_alu 0xf1ff
	s_delay_alu instid0(VALU_DEP_2) | instskip(NEXT) | instid1(VALU_DEP_1)
	v_cndmask_b32_e64 v18, -1, 0xffff8000, s7
	v_xor_b32_e32 v9, v18, v9
	s_delay_alu instid0(VALU_DEP_1)
	v_cmp_le_u16_e64 s7, v8, v9
	s_and_b32 s13, s7, exec_lo
.LBB1857_177:
	s_wait_alu 0xfffe
	s_or_b32 exec_lo, exec_lo, s8
	s_delay_alu instid0(SALU_CYCLE_1)
	s_or_not1_b32 s8, s13, exec_lo
.LBB1857_178:
	s_wait_alu 0xfffe
	s_or_b32 exec_lo, exec_lo, s12
	v_cndmask_b32_e64 v8, v15, v16, s8
	v_cndmask_b32_e64 v9, v30, v29, s8
	s_mov_b32 s12, exec_lo
	s_delay_alu instid0(VALU_DEP_2) | instskip(NEXT) | instid1(VALU_DEP_2)
	v_add_nc_u32_e32 v18, 1, v8
	v_add_nc_u32_e32 v9, -1, v9
	v_lshl_add_u32 v8, v8, 3, v13
	s_delay_alu instid0(VALU_DEP_3) | instskip(NEXT) | instid1(VALU_DEP_3)
	v_cndmask_b32_e64 v17, v18, v15, s8
	v_min_u32_e32 v9, v18, v9
	v_cndmask_b32_e64 v18, v16, v18, s8
	s_delay_alu instid0(VALU_DEP_2)
	v_lshl_add_u32 v9, v9, 1, v10
	ds_load_u16 v19, v9
	ds_load_b64 v[8:9], v8 offset:4096
	s_wait_dscnt 0x1
	v_cndmask_b32_e64 v48, v19, v37, s8
	v_cndmask_b32_e64 v52, v39, v19, s8
	v_cmpx_lt_u32_e64 v17, v30
	s_cbranch_execz .LBB1857_182
; %bb.179:
	s_mov_b32 s13, 0
	s_mov_b32 s11, exec_lo
	v_cmpx_lt_u32_e64 v18, v29
	s_cbranch_execz .LBB1857_181
; %bb.180:
	v_add_f16_e32 v15, 0, v52
	v_add_f16_e32 v16, 0, v48
	s_delay_alu instid0(VALU_DEP_2) | instskip(SKIP_1) | instid1(VALU_DEP_1)
	v_cmp_lt_i16_e64 s7, -1, v15
	s_wait_alu 0xf1ff
	v_cndmask_b32_e64 v19, -1, 0xffff8000, s7
	s_delay_alu instid0(VALU_DEP_3) | instskip(NEXT) | instid1(VALU_DEP_2)
	v_cmp_lt_i16_e64 s7, -1, v16
	v_xor_b32_e32 v15, v19, v15
	s_wait_alu 0xf1ff
	s_delay_alu instid0(VALU_DEP_2) | instskip(NEXT) | instid1(VALU_DEP_1)
	v_cndmask_b32_e64 v20, -1, 0xffff8000, s7
	v_xor_b32_e32 v16, v20, v16
	s_delay_alu instid0(VALU_DEP_1)
	v_cmp_le_u16_e64 s7, v15, v16
	s_and_b32 s13, s7, exec_lo
.LBB1857_181:
	s_wait_alu 0xfffe
	s_or_b32 exec_lo, exec_lo, s11
	s_delay_alu instid0(SALU_CYCLE_1)
	s_or_not1_b32 s11, s13, exec_lo
.LBB1857_182:
	s_wait_alu 0xfffe
	s_or_b32 exec_lo, exec_lo, s12
	v_cndmask_b32_e64 v15, v17, v18, s11
	v_cndmask_b32_e64 v16, v30, v29, s11
	s_mov_b32 s13, -1
	s_mov_b32 s12, -1
	s_mov_b32 s14, exec_lo
	v_add_nc_u32_e32 v20, 1, v15
	v_add_nc_u32_e32 v16, -1, v16
	v_lshl_add_u32 v15, v15, 3, v13
	s_delay_alu instid0(VALU_DEP_3) | instskip(NEXT) | instid1(VALU_DEP_3)
	v_cndmask_b32_e64 v19, v20, v17, s11
	v_min_u32_e32 v16, v20, v16
	v_cndmask_b32_e64 v20, v18, v20, s11
	s_delay_alu instid0(VALU_DEP_2)
	v_lshl_add_u32 v16, v16, 1, v10
	ds_load_u16 v21, v16
	ds_load_b64 v[15:16], v15 offset:4096
	s_wait_dscnt 0x1
	v_cndmask_b32_e64 v51, v21, v48, s11
	v_cndmask_b32_e64 v53, v52, v21, s11
	v_cmpx_lt_u32_e64 v19, v30
	s_cbranch_execz .LBB1857_186
; %bb.183:
	s_mov_b32 s15, 0
	s_mov_b32 s12, exec_lo
	v_cmpx_lt_u32_e64 v20, v29
	s_cbranch_execz .LBB1857_185
; %bb.184:
	v_add_f16_e32 v17, 0, v53
	v_add_f16_e32 v18, 0, v51
	s_delay_alu instid0(VALU_DEP_2) | instskip(SKIP_1) | instid1(VALU_DEP_1)
	v_cmp_lt_i16_e64 s7, -1, v17
	s_wait_alu 0xf1ff
	v_cndmask_b32_e64 v21, -1, 0xffff8000, s7
	s_delay_alu instid0(VALU_DEP_3) | instskip(NEXT) | instid1(VALU_DEP_2)
	v_cmp_lt_i16_e64 s7, -1, v18
	v_xor_b32_e32 v17, v21, v17
	s_wait_alu 0xf1ff
	s_delay_alu instid0(VALU_DEP_2) | instskip(NEXT) | instid1(VALU_DEP_1)
	v_cndmask_b32_e64 v22, -1, 0xffff8000, s7
	v_xor_b32_e32 v18, v22, v18
	s_delay_alu instid0(VALU_DEP_1)
	v_cmp_le_u16_e64 s7, v17, v18
	s_and_b32 s15, s7, exec_lo
.LBB1857_185:
	s_wait_alu 0xfffe
	s_or_b32 exec_lo, exec_lo, s12
	s_delay_alu instid0(SALU_CYCLE_1)
	s_or_not1_b32 s12, s15, exec_lo
.LBB1857_186:
	s_wait_alu 0xfffe
	s_or_b32 exec_lo, exec_lo, s14
	v_cndmask_b32_e64 v17, v19, v20, s12
	v_cndmask_b32_e64 v18, v30, v29, s12
	s_mov_b32 s14, exec_lo
	s_delay_alu instid0(VALU_DEP_2) | instskip(NEXT) | instid1(VALU_DEP_2)
	v_add_nc_u32_e32 v22, 1, v17
	v_add_nc_u32_e32 v18, -1, v18
	v_lshl_add_u32 v17, v17, 3, v13
	s_delay_alu instid0(VALU_DEP_3) | instskip(NEXT) | instid1(VALU_DEP_3)
	v_cndmask_b32_e64 v21, v22, v19, s12
	v_min_u32_e32 v18, v22, v18
	v_cndmask_b32_e64 v22, v20, v22, s12
	s_delay_alu instid0(VALU_DEP_2)
	v_lshl_add_u32 v18, v18, 1, v10
	ds_load_u16 v23, v18
	ds_load_b64 v[17:18], v17 offset:4096
	s_wait_dscnt 0x1
	v_cndmask_b32_e64 v49, v23, v51, s12
	v_cndmask_b32_e64 v54, v53, v23, s12
	v_cmpx_lt_u32_e64 v21, v30
	s_cbranch_execz .LBB1857_190
; %bb.187:
	s_mov_b32 s15, 0
	s_mov_b32 s13, exec_lo
	v_cmpx_lt_u32_e64 v22, v29
	s_cbranch_execz .LBB1857_189
; %bb.188:
	v_add_f16_e32 v19, 0, v54
	v_add_f16_e32 v20, 0, v49
	s_delay_alu instid0(VALU_DEP_2) | instskip(SKIP_1) | instid1(VALU_DEP_1)
	v_cmp_lt_i16_e64 s7, -1, v19
	s_wait_alu 0xf1ff
	v_cndmask_b32_e64 v23, -1, 0xffff8000, s7
	s_delay_alu instid0(VALU_DEP_3) | instskip(NEXT) | instid1(VALU_DEP_2)
	v_cmp_lt_i16_e64 s7, -1, v20
	v_xor_b32_e32 v19, v23, v19
	s_wait_alu 0xf1ff
	s_delay_alu instid0(VALU_DEP_2) | instskip(NEXT) | instid1(VALU_DEP_1)
	v_cndmask_b32_e64 v24, -1, 0xffff8000, s7
	v_xor_b32_e32 v20, v24, v20
	s_delay_alu instid0(VALU_DEP_1)
	v_cmp_le_u16_e64 s7, v19, v20
	s_and_b32 s15, s7, exec_lo
.LBB1857_189:
	s_wait_alu 0xfffe
	s_or_b32 exec_lo, exec_lo, s13
	s_delay_alu instid0(SALU_CYCLE_1)
	s_or_not1_b32 s13, s15, exec_lo
.LBB1857_190:
	s_wait_alu 0xfffe
	s_or_b32 exec_lo, exec_lo, s14
	v_cndmask_b32_e64 v19, v21, v22, s13
	v_cndmask_b32_e64 v20, v30, v29, s13
	s_mov_b32 s15, -1
	s_mov_b32 s14, -1
	s_mov_b32 s16, exec_lo
	v_add_nc_u32_e32 v23, 1, v19
	v_add_nc_u32_e32 v20, -1, v20
	v_lshl_add_u32 v19, v19, 3, v13
	s_delay_alu instid0(VALU_DEP_3) | instskip(NEXT) | instid1(VALU_DEP_3)
	v_cndmask_b32_e64 v21, v23, v21, s13
	v_min_u32_e32 v20, v23, v20
	v_cndmask_b32_e64 v22, v22, v23, s13
	s_delay_alu instid0(VALU_DEP_2)
	v_lshl_add_u32 v20, v20, 1, v10
	ds_load_u16 v24, v20
	ds_load_b64 v[19:20], v19 offset:4096
	s_wait_dscnt 0x1
	v_cndmask_b32_e64 v38, v24, v49, s13
	v_cndmask_b32_e64 v55, v54, v24, s13
	v_cmpx_lt_u32_e64 v21, v30
	s_cbranch_execz .LBB1857_194
; %bb.191:
	s_mov_b32 s17, 0
	s_mov_b32 s14, exec_lo
	v_cmpx_lt_u32_e64 v22, v29
	s_cbranch_execz .LBB1857_193
; %bb.192:
	v_add_f16_e32 v23, 0, v55
	v_add_f16_e32 v24, 0, v38
	s_delay_alu instid0(VALU_DEP_2) | instskip(SKIP_1) | instid1(VALU_DEP_1)
	v_cmp_lt_i16_e64 s7, -1, v23
	s_wait_alu 0xf1ff
	v_cndmask_b32_e64 v25, -1, 0xffff8000, s7
	s_delay_alu instid0(VALU_DEP_3) | instskip(NEXT) | instid1(VALU_DEP_2)
	v_cmp_lt_i16_e64 s7, -1, v24
	v_xor_b32_e32 v23, v25, v23
	s_wait_alu 0xf1ff
	s_delay_alu instid0(VALU_DEP_2) | instskip(NEXT) | instid1(VALU_DEP_1)
	v_cndmask_b32_e64 v26, -1, 0xffff8000, s7
	v_xor_b32_e32 v24, v26, v24
	s_delay_alu instid0(VALU_DEP_1)
	v_cmp_le_u16_e64 s7, v23, v24
	s_and_b32 s17, s7, exec_lo
.LBB1857_193:
	s_wait_alu 0xfffe
	s_or_b32 exec_lo, exec_lo, s14
	s_delay_alu instid0(SALU_CYCLE_1)
	s_or_not1_b32 s14, s17, exec_lo
.LBB1857_194:
	s_wait_alu 0xfffe
	s_or_b32 exec_lo, exec_lo, s16
	v_cndmask_b32_e64 v23, v21, v22, s14
	v_cndmask_b32_e64 v24, v30, v29, s14
	s_mov_b32 s16, exec_lo
	s_delay_alu instid0(VALU_DEP_2) | instskip(NEXT) | instid1(VALU_DEP_2)
	v_add_nc_u32_e32 v26, 1, v23
	v_add_nc_u32_e32 v24, -1, v24
	v_lshl_add_u32 v23, v23, 3, v13
	s_delay_alu instid0(VALU_DEP_3) | instskip(NEXT) | instid1(VALU_DEP_3)
	v_cndmask_b32_e64 v25, v26, v21, s14
	v_min_u32_e32 v24, v26, v24
	v_cndmask_b32_e64 v26, v22, v26, s14
	s_delay_alu instid0(VALU_DEP_2)
	v_lshl_add_u32 v24, v24, 1, v10
	ds_load_u16 v64, v24
	ds_load_b64 v[23:24], v23 offset:4096
	s_wait_dscnt 0x1
	v_cndmask_b32_e64 v50, v64, v38, s14
	v_cndmask_b32_e64 v64, v55, v64, s14
	v_cmpx_lt_u32_e64 v25, v30
	s_cbranch_execz .LBB1857_198
; %bb.195:
	s_mov_b32 s17, 0
	s_mov_b32 s15, exec_lo
	v_cmpx_lt_u32_e64 v26, v29
	s_cbranch_execz .LBB1857_197
; %bb.196:
	v_add_f16_e32 v21, 0, v64
	v_add_f16_e32 v22, 0, v50
	s_delay_alu instid0(VALU_DEP_2) | instskip(SKIP_1) | instid1(VALU_DEP_1)
	v_cmp_lt_i16_e64 s7, -1, v21
	s_wait_alu 0xf1ff
	v_cndmask_b32_e64 v65, -1, 0xffff8000, s7
	s_delay_alu instid0(VALU_DEP_3) | instskip(NEXT) | instid1(VALU_DEP_2)
	v_cmp_lt_i16_e64 s7, -1, v22
	v_xor_b32_e32 v21, v65, v21
	s_wait_alu 0xf1ff
	s_delay_alu instid0(VALU_DEP_2) | instskip(NEXT) | instid1(VALU_DEP_1)
	v_cndmask_b32_e64 v66, -1, 0xffff8000, s7
	v_xor_b32_e32 v22, v66, v22
	s_delay_alu instid0(VALU_DEP_1)
	v_cmp_le_u16_e64 s7, v21, v22
	s_and_b32 s17, s7, exec_lo
.LBB1857_197:
	s_wait_alu 0xfffe
	s_or_b32 exec_lo, exec_lo, s15
	s_delay_alu instid0(SALU_CYCLE_1)
	s_or_not1_b32 s15, s17, exec_lo
.LBB1857_198:
	s_wait_alu 0xfffe
	s_or_b32 exec_lo, exec_lo, s16
	v_cndmask_b32_e64 v21, v25, v26, s15
	v_cndmask_b32_e64 v22, v30, v29, s15
	s_mov_b32 s17, -1
	s_mov_b32 s16, exec_lo
	s_delay_alu instid0(VALU_DEP_2) | instskip(NEXT) | instid1(VALU_DEP_2)
	v_add_nc_u32_e32 v65, 1, v21
	v_add_nc_u32_e32 v22, -1, v22
	v_lshl_add_u32 v21, v21, 3, v13
	s_delay_alu instid0(VALU_DEP_3) | instskip(NEXT) | instid1(VALU_DEP_3)
	v_cndmask_b32_e64 v25, v65, v25, s15
	v_min_u32_e32 v22, v65, v22
	v_cndmask_b32_e64 v26, v26, v65, s15
	s_delay_alu instid0(VALU_DEP_2)
	v_lshl_add_u32 v22, v22, 1, v10
	ds_load_u16 v66, v22
	ds_load_b64 v[21:22], v21 offset:4096
	s_wait_dscnt 0x1
	v_cndmask_b32_e64 v65, v66, v50, s15
	v_cndmask_b32_e64 v66, v64, v66, s15
	v_cmpx_lt_u32_e64 v25, v30
	s_cbranch_execz .LBB1857_202
; %bb.199:
	s_mov_b32 s18, 0
	s_mov_b32 s17, exec_lo
	v_cmpx_lt_u32_e64 v26, v29
	s_cbranch_execz .LBB1857_201
; %bb.200:
	v_add_f16_e32 v29, 0, v66
	v_add_f16_e32 v30, 0, v65
	s_delay_alu instid0(VALU_DEP_2) | instskip(SKIP_1) | instid1(VALU_DEP_1)
	v_cmp_lt_i16_e64 s7, -1, v29
	s_wait_alu 0xf1ff
	v_cndmask_b32_e64 v67, -1, 0xffff8000, s7
	s_delay_alu instid0(VALU_DEP_3) | instskip(NEXT) | instid1(VALU_DEP_2)
	v_cmp_lt_i16_e64 s7, -1, v30
	v_xor_b32_e32 v29, v67, v29
	s_wait_alu 0xf1ff
	s_delay_alu instid0(VALU_DEP_2) | instskip(NEXT) | instid1(VALU_DEP_1)
	v_cndmask_b32_e64 v68, -1, 0xffff8000, s7
	v_xor_b32_e32 v30, v68, v30
	s_delay_alu instid0(VALU_DEP_1)
	v_cmp_le_u16_e64 s7, v29, v30
	s_and_b32 s18, s7, exec_lo
.LBB1857_201:
	s_wait_alu 0xfffe
	s_or_b32 exec_lo, exec_lo, s17
	s_delay_alu instid0(SALU_CYCLE_1)
	s_or_not1_b32 s17, s18, exec_lo
.LBB1857_202:
	s_wait_alu 0xfffe
	s_or_b32 exec_lo, exec_lo, s16
	v_cndmask_b32_e64 v25, v25, v26, s17
	v_cndmask_b32_e64 v50, v50, v64, s15
	v_cndmask_b32_e64 v38, v38, v55, s14
	v_cndmask_b32_e64 v49, v49, v54, s13
	v_cndmask_b32_e64 v51, v51, v53, s12
	v_lshl_add_u32 v25, v25, 3, v13
	v_cndmask_b32_e64 v48, v48, v52, s11
	v_cndmask_b32_e64 v39, v37, v39, s8
	;; [unrolled: 1-line block ×4, first 2 shown]
	ds_load_b64 v[25:26], v25 offset:4096
.LBB1857_203:
	s_wait_alu 0xfffe
	s_or_b32 exec_lo, exec_lo, s9
	v_and_b32_e32 v35, 0x80, v35
	v_min_u32_e32 v34, v28, v34
	s_mov_b32 s8, exec_lo
	; wave barrier
	s_delay_alu instid0(VALU_DEP_2)
	v_or_b32_e32 v29, 64, v35
	ds_store_b16 v14, v36
	ds_store_b64 v27, v[4:5] offset:4096
	ds_store_b16 v14, v39 offset:2
	ds_store_b64 v27, v[8:9] offset:4104
	ds_store_b16 v14, v48 offset:4
	;; [unrolled: 2-line block ×5, first 2 shown]
	v_min_u32_e32 v29, v28, v29
	ds_store_b64 v27, v[23:24] offset:4136
	ds_store_b16 v14, v50 offset:12
	s_wait_dscnt 0xe
	ds_store_b64 v27, v[21:22] offset:4144
	ds_store_b16 v14, v37 offset:14
	s_wait_dscnt 0xf
	ds_store_b64 v27, v[25:26] offset:4152
	; wave barrier
	v_add_nc_u32_e32 v30, 64, v29
	v_sub_nc_u32_e32 v31, v29, v35
	s_delay_alu instid0(VALU_DEP_2) | instskip(NEXT) | instid1(VALU_DEP_2)
	v_min_u32_e32 v30, v28, v30
	v_min_u32_e32 v52, v34, v31
	v_lshl_add_u32 v31, v35, 1, v10
	s_delay_alu instid0(VALU_DEP_3) | instskip(NEXT) | instid1(VALU_DEP_1)
	v_sub_nc_u32_e32 v28, v30, v29
	v_sub_nc_u32_e64 v28, v34, v28 clamp
	s_delay_alu instid0(VALU_DEP_1)
	v_cmpx_lt_u32_e64 v28, v52
	s_cbranch_execz .LBB1857_207
; %bb.204:
	v_lshlrev_b32_e32 v14, 1, v29
	v_lshlrev_b32_e32 v27, 1, v34
	s_mov_b32 s9, 0
	s_delay_alu instid0(VALU_DEP_1)
	v_add3_u32 v14, v10, v14, v27
.LBB1857_205:                           ; =>This Inner Loop Header: Depth=1
	v_add_nc_u32_e32 v27, v52, v28
	s_delay_alu instid0(VALU_DEP_1) | instskip(SKIP_1) | instid1(VALU_DEP_2)
	v_lshrrev_b32_e32 v53, 1, v27
	v_and_b32_e32 v27, -2, v27
	v_not_b32_e32 v54, v53
	s_delay_alu instid0(VALU_DEP_2) | instskip(NEXT) | instid1(VALU_DEP_2)
	v_add_nc_u32_e32 v27, v31, v27
	v_lshl_add_u32 v54, v54, 1, v14
	ds_load_u16 v27, v27
	ds_load_u16 v54, v54
	s_wait_dscnt 0x1
	v_add_f16_e32 v27, 0, v27
	s_wait_dscnt 0x0
	v_add_f16_e32 v54, 0, v54
	s_delay_alu instid0(VALU_DEP_2) | instskip(SKIP_1) | instid1(VALU_DEP_1)
	v_cmp_lt_i16_e64 s7, -1, v27
	s_wait_alu 0xf1ff
	v_cndmask_b32_e64 v55, -1, 0xffff8000, s7
	s_delay_alu instid0(VALU_DEP_3) | instskip(NEXT) | instid1(VALU_DEP_2)
	v_cmp_lt_i16_e64 s7, -1, v54
	v_xor_b32_e32 v27, v55, v27
	s_wait_alu 0xf1ff
	s_delay_alu instid0(VALU_DEP_2) | instskip(SKIP_1) | instid1(VALU_DEP_2)
	v_cndmask_b32_e64 v64, -1, 0xffff8000, s7
	v_add_nc_u32_e32 v55, 1, v53
	v_xor_b32_e32 v54, v64, v54
	s_delay_alu instid0(VALU_DEP_1) | instskip(SKIP_1) | instid1(VALU_DEP_1)
	v_cmp_gt_u16_e64 s7, v27, v54
	s_wait_alu 0xf1ff
	v_cndmask_b32_e64 v52, v52, v53, s7
	v_cndmask_b32_e64 v28, v55, v28, s7
	s_delay_alu instid0(VALU_DEP_1)
	v_cmp_ge_u32_e64 s7, v28, v52
	s_wait_alu 0xfffe
	s_or_b32 s9, s7, s9
	s_wait_alu 0xfffe
	s_and_not1_b32 exec_lo, exec_lo, s9
	s_cbranch_execnz .LBB1857_205
; %bb.206:
	s_or_b32 exec_lo, exec_lo, s9
.LBB1857_207:
	s_wait_alu 0xfffe
	s_or_b32 exec_lo, exec_lo, s8
	v_add_nc_u32_e32 v14, v29, v34
	v_add_nc_u32_e32 v34, v28, v35
	s_delay_alu instid0(VALU_DEP_2) | instskip(NEXT) | instid1(VALU_DEP_2)
	v_sub_nc_u32_e32 v35, v14, v28
	v_cmp_le_u32_e64 s7, v34, v29
	s_delay_alu instid0(VALU_DEP_2)
	v_cmp_le_u32_e64 s8, v35, v30
	s_or_b32 s7, s7, s8
	s_wait_alu 0xfffe
	s_and_saveexec_b32 s9, s7
	s_cbranch_execz .LBB1857_243
; %bb.208:
	v_cmp_ge_u32_e64 s7, v34, v29
	s_mov_b32 s10, exec_lo
                                        ; implicit-def: $vgpr14
	v_cmpx_lt_u32_e64 v34, v29
; %bb.209:
	v_lshl_add_u32 v4, v28, 1, v31
	ds_load_u16 v14, v4
; %bb.210:
	s_wait_alu 0xfffe
	s_or_b32 exec_lo, exec_lo, s10
	v_cmp_ge_u32_e64 s10, v35, v30
	s_mov_b32 s11, exec_lo
                                        ; implicit-def: $vgpr27
	v_cmpx_lt_u32_e64 v35, v30
; %bb.211:
	v_lshl_add_u32 v4, v35, 1, v10
	ds_load_u16 v27, v4
; %bb.212:
	s_wait_alu 0xfffe
	s_or_b32 exec_lo, exec_lo, s11
	s_nor_b32 s7, s7, s10
	s_wait_alu 0xfffe
	s_and_saveexec_b32 s8, s7
	s_cbranch_execz .LBB1857_214
; %bb.213:
	s_wait_dscnt 0x0
	v_add_f16_e32 v4, 0, v14
	v_add_f16_e32 v5, 0, v27
	s_and_not1_b32 s10, s10, exec_lo
	s_delay_alu instid0(VALU_DEP_2) | instskip(SKIP_1) | instid1(VALU_DEP_1)
	v_cmp_lt_i16_e64 s7, -1, v4
	s_wait_alu 0xf1ff
	v_cndmask_b32_e64 v8, -1, 0xffff8000, s7
	v_cmp_lt_i16_e64 s7, -1, v5
	s_delay_alu instid0(VALU_DEP_2) | instskip(SKIP_1) | instid1(VALU_DEP_2)
	v_xor_b32_e32 v4, v8, v4
	s_wait_alu 0xf1ff
	v_cndmask_b32_e64 v9, -1, 0xffff8000, s7
	s_delay_alu instid0(VALU_DEP_1) | instskip(NEXT) | instid1(VALU_DEP_1)
	v_xor_b32_e32 v5, v9, v5
	v_cmp_le_u16_e64 s7, v4, v5
	s_and_b32 s7, s7, exec_lo
	s_wait_alu 0xfffe
	s_or_b32 s10, s10, s7
.LBB1857_214:
	s_wait_alu 0xfffe
	s_or_b32 exec_lo, exec_lo, s8
	v_cndmask_b32_e64 v4, v35, v34, s10
	v_cndmask_b32_e64 v5, v30, v29, s10
	s_mov_b32 s11, -1
	s_mov_b32 s8, -1
	s_mov_b32 s12, exec_lo
	v_add_nc_u32_e32 v8, 1, v4
	v_add_nc_u32_e32 v5, -1, v5
	v_lshl_add_u32 v4, v4, 3, v13
	s_delay_alu instid0(VALU_DEP_3) | instskip(NEXT) | instid1(VALU_DEP_3)
	v_cndmask_b32_e64 v15, v8, v35, s10
	v_min_u32_e32 v5, v8, v5
	v_cndmask_b32_e64 v16, v34, v8, s10
	s_delay_alu instid0(VALU_DEP_2)
	v_lshl_add_u32 v5, v5, 1, v10
	ds_load_u16 v9, v5
	ds_load_b64 v[4:5], v4 offset:4096
	s_wait_dscnt 0x1
	v_cndmask_b32_e64 v28, v9, v27, s10
	v_cndmask_b32_e64 v31, v14, v9, s10
	v_cmpx_lt_u32_e64 v15, v30
	s_cbranch_execz .LBB1857_218
; %bb.215:
	s_mov_b32 s13, 0
	s_mov_b32 s8, exec_lo
	v_cmpx_lt_u32_e64 v16, v29
	s_cbranch_execz .LBB1857_217
; %bb.216:
	v_add_f16_e32 v8, 0, v31
	v_add_f16_e32 v9, 0, v28
	s_delay_alu instid0(VALU_DEP_2) | instskip(SKIP_1) | instid1(VALU_DEP_1)
	v_cmp_lt_i16_e64 s7, -1, v8
	s_wait_alu 0xf1ff
	v_cndmask_b32_e64 v17, -1, 0xffff8000, s7
	s_delay_alu instid0(VALU_DEP_3) | instskip(NEXT) | instid1(VALU_DEP_2)
	v_cmp_lt_i16_e64 s7, -1, v9
	v_xor_b32_e32 v8, v17, v8
	s_wait_alu 0xf1ff
	s_delay_alu instid0(VALU_DEP_2) | instskip(NEXT) | instid1(VALU_DEP_1)
	v_cndmask_b32_e64 v18, -1, 0xffff8000, s7
	v_xor_b32_e32 v9, v18, v9
	s_delay_alu instid0(VALU_DEP_1)
	v_cmp_le_u16_e64 s7, v8, v9
	s_and_b32 s13, s7, exec_lo
.LBB1857_217:
	s_wait_alu 0xfffe
	s_or_b32 exec_lo, exec_lo, s8
	s_delay_alu instid0(SALU_CYCLE_1)
	s_or_not1_b32 s8, s13, exec_lo
.LBB1857_218:
	s_wait_alu 0xfffe
	s_or_b32 exec_lo, exec_lo, s12
	v_cndmask_b32_e64 v8, v15, v16, s8
	v_cndmask_b32_e64 v9, v30, v29, s8
	s_mov_b32 s12, exec_lo
	s_delay_alu instid0(VALU_DEP_2) | instskip(NEXT) | instid1(VALU_DEP_2)
	v_add_nc_u32_e32 v18, 1, v8
	v_add_nc_u32_e32 v9, -1, v9
	v_lshl_add_u32 v8, v8, 3, v13
	s_delay_alu instid0(VALU_DEP_3) | instskip(NEXT) | instid1(VALU_DEP_3)
	v_cndmask_b32_e64 v17, v18, v15, s8
	v_min_u32_e32 v9, v18, v9
	v_cndmask_b32_e64 v18, v16, v18, s8
	s_delay_alu instid0(VALU_DEP_2)
	v_lshl_add_u32 v9, v9, 1, v10
	ds_load_u16 v19, v9
	ds_load_b64 v[8:9], v8 offset:4096
	s_wait_dscnt 0x1
	v_cndmask_b32_e64 v34, v19, v28, s8
	v_cndmask_b32_e64 v35, v31, v19, s8
	v_cmpx_lt_u32_e64 v17, v30
	s_cbranch_execz .LBB1857_222
; %bb.219:
	s_mov_b32 s13, 0
	s_mov_b32 s11, exec_lo
	v_cmpx_lt_u32_e64 v18, v29
	s_cbranch_execz .LBB1857_221
; %bb.220:
	v_add_f16_e32 v15, 0, v35
	v_add_f16_e32 v16, 0, v34
	s_delay_alu instid0(VALU_DEP_2) | instskip(SKIP_1) | instid1(VALU_DEP_1)
	v_cmp_lt_i16_e64 s7, -1, v15
	s_wait_alu 0xf1ff
	v_cndmask_b32_e64 v19, -1, 0xffff8000, s7
	s_delay_alu instid0(VALU_DEP_3) | instskip(NEXT) | instid1(VALU_DEP_2)
	v_cmp_lt_i16_e64 s7, -1, v16
	v_xor_b32_e32 v15, v19, v15
	s_wait_alu 0xf1ff
	s_delay_alu instid0(VALU_DEP_2) | instskip(NEXT) | instid1(VALU_DEP_1)
	v_cndmask_b32_e64 v20, -1, 0xffff8000, s7
	v_xor_b32_e32 v16, v20, v16
	s_delay_alu instid0(VALU_DEP_1)
	v_cmp_le_u16_e64 s7, v15, v16
	s_and_b32 s13, s7, exec_lo
.LBB1857_221:
	s_wait_alu 0xfffe
	s_or_b32 exec_lo, exec_lo, s11
	s_delay_alu instid0(SALU_CYCLE_1)
	s_or_not1_b32 s11, s13, exec_lo
.LBB1857_222:
	s_wait_alu 0xfffe
	s_or_b32 exec_lo, exec_lo, s12
	v_cndmask_b32_e64 v15, v17, v18, s11
	v_cndmask_b32_e64 v16, v30, v29, s11
	s_mov_b32 s13, -1
	s_mov_b32 s12, -1
	s_mov_b32 s14, exec_lo
	v_add_nc_u32_e32 v20, 1, v15
	v_add_nc_u32_e32 v16, -1, v16
	v_lshl_add_u32 v15, v15, 3, v13
	s_delay_alu instid0(VALU_DEP_3) | instskip(NEXT) | instid1(VALU_DEP_3)
	v_cndmask_b32_e64 v19, v20, v17, s11
	v_min_u32_e32 v16, v20, v16
	v_cndmask_b32_e64 v20, v18, v20, s11
	s_delay_alu instid0(VALU_DEP_2)
	v_lshl_add_u32 v16, v16, 1, v10
	ds_load_u16 v21, v16
	ds_load_b64 v[15:16], v15 offset:4096
	s_wait_dscnt 0x1
	v_cndmask_b32_e64 v36, v21, v34, s11
	v_cndmask_b32_e64 v37, v35, v21, s11
	v_cmpx_lt_u32_e64 v19, v30
	s_cbranch_execz .LBB1857_226
; %bb.223:
	s_mov_b32 s15, 0
	s_mov_b32 s12, exec_lo
	v_cmpx_lt_u32_e64 v20, v29
	s_cbranch_execz .LBB1857_225
; %bb.224:
	v_add_f16_e32 v17, 0, v37
	v_add_f16_e32 v18, 0, v36
	s_delay_alu instid0(VALU_DEP_2) | instskip(SKIP_1) | instid1(VALU_DEP_1)
	v_cmp_lt_i16_e64 s7, -1, v17
	s_wait_alu 0xf1ff
	v_cndmask_b32_e64 v21, -1, 0xffff8000, s7
	s_delay_alu instid0(VALU_DEP_3) | instskip(NEXT) | instid1(VALU_DEP_2)
	v_cmp_lt_i16_e64 s7, -1, v18
	v_xor_b32_e32 v17, v21, v17
	s_wait_alu 0xf1ff
	s_delay_alu instid0(VALU_DEP_2) | instskip(NEXT) | instid1(VALU_DEP_1)
	v_cndmask_b32_e64 v22, -1, 0xffff8000, s7
	v_xor_b32_e32 v18, v22, v18
	s_delay_alu instid0(VALU_DEP_1)
	v_cmp_le_u16_e64 s7, v17, v18
	s_and_b32 s15, s7, exec_lo
.LBB1857_225:
	s_wait_alu 0xfffe
	s_or_b32 exec_lo, exec_lo, s12
	s_delay_alu instid0(SALU_CYCLE_1)
	s_or_not1_b32 s12, s15, exec_lo
.LBB1857_226:
	s_wait_alu 0xfffe
	s_or_b32 exec_lo, exec_lo, s14
	v_cndmask_b32_e64 v17, v19, v20, s12
	v_cndmask_b32_e64 v18, v30, v29, s12
	s_mov_b32 s14, exec_lo
	s_delay_alu instid0(VALU_DEP_2) | instskip(NEXT) | instid1(VALU_DEP_2)
	v_add_nc_u32_e32 v22, 1, v17
	v_add_nc_u32_e32 v18, -1, v18
	v_lshl_add_u32 v17, v17, 3, v13
	s_delay_alu instid0(VALU_DEP_3) | instskip(NEXT) | instid1(VALU_DEP_3)
	v_cndmask_b32_e64 v21, v22, v19, s12
	v_min_u32_e32 v18, v22, v18
	v_cndmask_b32_e64 v22, v20, v22, s12
	s_delay_alu instid0(VALU_DEP_2)
	v_lshl_add_u32 v18, v18, 1, v10
	ds_load_u16 v23, v18
	ds_load_b64 v[17:18], v17 offset:4096
	s_wait_dscnt 0x1
	v_cndmask_b32_e64 v39, v23, v36, s12
	v_cndmask_b32_e64 v48, v37, v23, s12
	v_cmpx_lt_u32_e64 v21, v30
	s_cbranch_execz .LBB1857_230
; %bb.227:
	s_mov_b32 s15, 0
	s_mov_b32 s13, exec_lo
	v_cmpx_lt_u32_e64 v22, v29
	s_cbranch_execz .LBB1857_229
; %bb.228:
	v_add_f16_e32 v19, 0, v48
	v_add_f16_e32 v20, 0, v39
	s_delay_alu instid0(VALU_DEP_2) | instskip(SKIP_1) | instid1(VALU_DEP_1)
	v_cmp_lt_i16_e64 s7, -1, v19
	s_wait_alu 0xf1ff
	v_cndmask_b32_e64 v23, -1, 0xffff8000, s7
	s_delay_alu instid0(VALU_DEP_3) | instskip(NEXT) | instid1(VALU_DEP_2)
	v_cmp_lt_i16_e64 s7, -1, v20
	v_xor_b32_e32 v19, v23, v19
	s_wait_alu 0xf1ff
	s_delay_alu instid0(VALU_DEP_2) | instskip(NEXT) | instid1(VALU_DEP_1)
	v_cndmask_b32_e64 v24, -1, 0xffff8000, s7
	v_xor_b32_e32 v20, v24, v20
	s_delay_alu instid0(VALU_DEP_1)
	v_cmp_le_u16_e64 s7, v19, v20
	s_and_b32 s15, s7, exec_lo
.LBB1857_229:
	s_wait_alu 0xfffe
	s_or_b32 exec_lo, exec_lo, s13
	s_delay_alu instid0(SALU_CYCLE_1)
	s_or_not1_b32 s13, s15, exec_lo
.LBB1857_230:
	s_wait_alu 0xfffe
	s_or_b32 exec_lo, exec_lo, s14
	v_cndmask_b32_e64 v19, v21, v22, s13
	v_cndmask_b32_e64 v20, v30, v29, s13
	s_mov_b32 s15, -1
	s_mov_b32 s14, -1
	s_mov_b32 s16, exec_lo
	v_add_nc_u32_e32 v23, 1, v19
	v_add_nc_u32_e32 v20, -1, v20
	v_lshl_add_u32 v19, v19, 3, v13
	s_delay_alu instid0(VALU_DEP_3) | instskip(NEXT) | instid1(VALU_DEP_3)
	v_cndmask_b32_e64 v21, v23, v21, s13
	v_min_u32_e32 v20, v23, v20
	v_cndmask_b32_e64 v22, v22, v23, s13
	s_delay_alu instid0(VALU_DEP_2)
	v_lshl_add_u32 v20, v20, 1, v10
	ds_load_u16 v24, v20
	ds_load_b64 v[19:20], v19 offset:4096
	s_wait_dscnt 0x1
	v_cndmask_b32_e64 v38, v24, v39, s13
	v_cndmask_b32_e64 v49, v48, v24, s13
	v_cmpx_lt_u32_e64 v21, v30
	s_cbranch_execz .LBB1857_234
; %bb.231:
	s_mov_b32 s17, 0
	s_mov_b32 s14, exec_lo
	v_cmpx_lt_u32_e64 v22, v29
	s_cbranch_execz .LBB1857_233
; %bb.232:
	v_add_f16_e32 v23, 0, v49
	v_add_f16_e32 v24, 0, v38
	s_delay_alu instid0(VALU_DEP_2) | instskip(SKIP_1) | instid1(VALU_DEP_1)
	v_cmp_lt_i16_e64 s7, -1, v23
	s_wait_alu 0xf1ff
	v_cndmask_b32_e64 v25, -1, 0xffff8000, s7
	s_delay_alu instid0(VALU_DEP_3) | instskip(NEXT) | instid1(VALU_DEP_2)
	v_cmp_lt_i16_e64 s7, -1, v24
	v_xor_b32_e32 v23, v25, v23
	s_wait_alu 0xf1ff
	s_delay_alu instid0(VALU_DEP_2) | instskip(NEXT) | instid1(VALU_DEP_1)
	v_cndmask_b32_e64 v26, -1, 0xffff8000, s7
	v_xor_b32_e32 v24, v26, v24
	s_delay_alu instid0(VALU_DEP_1)
	v_cmp_le_u16_e64 s7, v23, v24
	s_and_b32 s17, s7, exec_lo
.LBB1857_233:
	s_wait_alu 0xfffe
	s_or_b32 exec_lo, exec_lo, s14
	s_delay_alu instid0(SALU_CYCLE_1)
	s_or_not1_b32 s14, s17, exec_lo
.LBB1857_234:
	s_wait_alu 0xfffe
	s_or_b32 exec_lo, exec_lo, s16
	v_cndmask_b32_e64 v23, v21, v22, s14
	v_cndmask_b32_e64 v24, v30, v29, s14
	s_mov_b32 s16, exec_lo
	s_delay_alu instid0(VALU_DEP_2) | instskip(NEXT) | instid1(VALU_DEP_2)
	v_add_nc_u32_e32 v26, 1, v23
	v_add_nc_u32_e32 v24, -1, v24
	v_lshl_add_u32 v23, v23, 3, v13
	s_delay_alu instid0(VALU_DEP_3) | instskip(NEXT) | instid1(VALU_DEP_3)
	v_cndmask_b32_e64 v25, v26, v21, s14
	v_min_u32_e32 v24, v26, v24
	v_cndmask_b32_e64 v26, v22, v26, s14
	s_delay_alu instid0(VALU_DEP_2)
	v_lshl_add_u32 v24, v24, 1, v10
	ds_load_u16 v51, v24
	ds_load_b64 v[23:24], v23 offset:4096
	s_wait_dscnt 0x1
	v_cndmask_b32_e64 v50, v51, v38, s14
	v_cndmask_b32_e64 v51, v49, v51, s14
	v_cmpx_lt_u32_e64 v25, v30
	s_cbranch_execz .LBB1857_238
; %bb.235:
	s_mov_b32 s17, 0
	s_mov_b32 s15, exec_lo
	v_cmpx_lt_u32_e64 v26, v29
	s_cbranch_execz .LBB1857_237
; %bb.236:
	v_add_f16_e32 v21, 0, v51
	v_add_f16_e32 v22, 0, v50
	s_delay_alu instid0(VALU_DEP_2) | instskip(SKIP_1) | instid1(VALU_DEP_1)
	v_cmp_lt_i16_e64 s7, -1, v21
	s_wait_alu 0xf1ff
	v_cndmask_b32_e64 v52, -1, 0xffff8000, s7
	s_delay_alu instid0(VALU_DEP_3) | instskip(NEXT) | instid1(VALU_DEP_2)
	v_cmp_lt_i16_e64 s7, -1, v22
	v_xor_b32_e32 v21, v52, v21
	s_wait_alu 0xf1ff
	s_delay_alu instid0(VALU_DEP_2) | instskip(NEXT) | instid1(VALU_DEP_1)
	v_cndmask_b32_e64 v53, -1, 0xffff8000, s7
	v_xor_b32_e32 v22, v53, v22
	s_delay_alu instid0(VALU_DEP_1)
	v_cmp_le_u16_e64 s7, v21, v22
	s_and_b32 s17, s7, exec_lo
.LBB1857_237:
	s_wait_alu 0xfffe
	s_or_b32 exec_lo, exec_lo, s15
	s_delay_alu instid0(SALU_CYCLE_1)
	s_or_not1_b32 s15, s17, exec_lo
.LBB1857_238:
	s_wait_alu 0xfffe
	s_or_b32 exec_lo, exec_lo, s16
	v_cndmask_b32_e64 v21, v25, v26, s15
	v_cndmask_b32_e64 v22, v30, v29, s15
	s_mov_b32 s17, -1
	s_mov_b32 s16, exec_lo
	s_delay_alu instid0(VALU_DEP_2) | instskip(NEXT) | instid1(VALU_DEP_2)
	v_add_nc_u32_e32 v52, 1, v21
	v_add_nc_u32_e32 v22, -1, v22
	s_delay_alu instid0(VALU_DEP_2) | instskip(NEXT) | instid1(VALU_DEP_2)
	v_cndmask_b32_e64 v25, v52, v25, s15
	v_min_u32_e32 v22, v52, v22
	v_cndmask_b32_e64 v26, v26, v52, s15
	s_delay_alu instid0(VALU_DEP_2)
	v_lshl_add_u32 v10, v22, 1, v10
	ds_load_u16 v53, v10
	v_lshl_add_u32 v10, v21, 3, v13
	ds_load_b64 v[21:22], v10 offset:4096
	s_wait_dscnt 0x1
	v_cndmask_b32_e64 v10, v53, v50, s15
	v_cndmask_b32_e64 v52, v51, v53, s15
	v_cmpx_lt_u32_e64 v25, v30
	s_cbranch_execz .LBB1857_242
; %bb.239:
	s_mov_b32 s18, 0
	s_mov_b32 s17, exec_lo
	v_cmpx_lt_u32_e64 v26, v29
	s_cbranch_execz .LBB1857_241
; %bb.240:
	v_add_f16_e32 v29, 0, v52
	v_add_f16_e32 v30, 0, v10
	s_delay_alu instid0(VALU_DEP_2) | instskip(SKIP_1) | instid1(VALU_DEP_1)
	v_cmp_lt_i16_e64 s7, -1, v29
	s_wait_alu 0xf1ff
	v_cndmask_b32_e64 v53, -1, 0xffff8000, s7
	s_delay_alu instid0(VALU_DEP_3) | instskip(NEXT) | instid1(VALU_DEP_2)
	v_cmp_lt_i16_e64 s7, -1, v30
	v_xor_b32_e32 v29, v53, v29
	s_wait_alu 0xf1ff
	s_delay_alu instid0(VALU_DEP_2) | instskip(NEXT) | instid1(VALU_DEP_1)
	v_cndmask_b32_e64 v54, -1, 0xffff8000, s7
	v_xor_b32_e32 v30, v54, v30
	s_delay_alu instid0(VALU_DEP_1)
	v_cmp_le_u16_e64 s7, v29, v30
	s_and_b32 s18, s7, exec_lo
.LBB1857_241:
	s_wait_alu 0xfffe
	s_or_b32 exec_lo, exec_lo, s17
	s_delay_alu instid0(SALU_CYCLE_1)
	s_or_not1_b32 s17, s18, exec_lo
.LBB1857_242:
	s_wait_alu 0xfffe
	s_or_b32 exec_lo, exec_lo, s16
	v_cndmask_b32_e64 v25, v25, v26, s17
	v_cndmask_b32_e64 v50, v50, v51, s15
	;; [unrolled: 1-line block ×5, first 2 shown]
	v_lshl_add_u32 v13, v25, 3, v13
	v_cndmask_b32_e64 v48, v34, v35, s11
	v_cndmask_b32_e64 v39, v28, v31, s8
	;; [unrolled: 1-line block ×4, first 2 shown]
	ds_load_b64 v[25:26], v13 offset:4096
.LBB1857_243:
	s_wait_alu 0xfffe
	s_or_b32 exec_lo, exec_lo, s9
	v_add_co_u32 v2, s7, v2, v11
	s_wait_alu 0xf1ff
	v_add_co_ci_u32_e64 v3, null, v3, v12, s7
	s_delay_alu instid0(VALU_DEP_2) | instskip(SKIP_1) | instid1(VALU_DEP_2)
	v_add_co_u32 v2, s7, v2, v32
	s_wait_alu 0xf1ff
	v_add_co_ci_u32_e64 v3, null, 0, v3, s7
	; wave barrier
	s_wait_storecnt_dscnt 0x0
	s_barrier_signal -1
	s_barrier_wait -1
	global_inv scope:SCOPE_SE
	; wave barrier
	s_and_saveexec_b32 s7, vcc_lo
	s_cbranch_execnz .LBB1857_268
; %bb.244:
	s_wait_alu 0xfffe
	s_or_b32 exec_lo, exec_lo, s7
	s_and_saveexec_b32 s7, s0
	s_cbranch_execnz .LBB1857_269
.LBB1857_245:
	s_wait_alu 0xfffe
	s_or_b32 exec_lo, exec_lo, s7
	s_and_saveexec_b32 s7, s1
	s_cbranch_execnz .LBB1857_270
.LBB1857_246:
	s_wait_alu 0xfffe
	s_or_b32 exec_lo, exec_lo, s7
	s_and_saveexec_b32 s7, s2
	s_cbranch_execnz .LBB1857_271
.LBB1857_247:
	s_wait_alu 0xfffe
	s_or_b32 exec_lo, exec_lo, s7
	s_and_saveexec_b32 s7, s3
	s_cbranch_execnz .LBB1857_272
.LBB1857_248:
	s_wait_alu 0xfffe
	s_or_b32 exec_lo, exec_lo, s7
	s_and_saveexec_b32 s7, s4
	s_cbranch_execnz .LBB1857_273
.LBB1857_249:
	s_wait_alu 0xfffe
	s_or_b32 exec_lo, exec_lo, s7
	s_and_saveexec_b32 s7, s5
	s_cbranch_execnz .LBB1857_274
.LBB1857_250:
	s_wait_alu 0xfffe
	s_or_b32 exec_lo, exec_lo, s7
	s_and_saveexec_b32 s7, s6
	s_cbranch_execz .LBB1857_252
.LBB1857_251:
	flat_store_b16 v[2:3], v37 offset:14
.LBB1857_252:
	s_wait_alu 0xfffe
	s_or_b32 exec_lo, exec_lo, s7
	v_add_co_u32 v0, s7, v6, v0
	s_wait_alu 0xf1ff
	v_add_co_ci_u32_e64 v1, null, v7, v1, s7
	s_delay_alu instid0(VALU_DEP_2) | instskip(SKIP_1) | instid1(VALU_DEP_2)
	v_add_co_u32 v0, s7, v0, v33
	s_wait_alu 0xf1ff
	v_add_co_ci_u32_e64 v1, null, 0, v1, s7
	; wave barrier
	s_and_saveexec_b32 s7, vcc_lo
	s_cbranch_execnz .LBB1857_275
; %bb.253:
	s_wait_alu 0xfffe
	s_or_b32 exec_lo, exec_lo, s7
	s_and_saveexec_b32 s7, s0
	s_cbranch_execnz .LBB1857_276
.LBB1857_254:
	s_wait_alu 0xfffe
	s_or_b32 exec_lo, exec_lo, s7
	s_and_saveexec_b32 s0, s1
	s_cbranch_execnz .LBB1857_277
.LBB1857_255:
	s_wait_alu 0xfffe
	s_or_b32 exec_lo, exec_lo, s0
	s_and_saveexec_b32 s0, s2
	s_cbranch_execnz .LBB1857_278
.LBB1857_256:
	s_wait_alu 0xfffe
	s_or_b32 exec_lo, exec_lo, s0
	s_and_saveexec_b32 s0, s3
	s_cbranch_execnz .LBB1857_279
.LBB1857_257:
	s_wait_alu 0xfffe
	s_or_b32 exec_lo, exec_lo, s0
	s_and_saveexec_b32 s0, s4
	s_cbranch_execnz .LBB1857_280
.LBB1857_258:
	s_wait_alu 0xfffe
	s_or_b32 exec_lo, exec_lo, s0
	s_and_saveexec_b32 s0, s5
	s_cbranch_execnz .LBB1857_281
.LBB1857_259:
	s_wait_alu 0xfffe
	s_or_b32 exec_lo, exec_lo, s0
	s_and_saveexec_b32 s0, s6
	s_cbranch_execnz .LBB1857_282
.LBB1857_260:
	s_wait_alu 0xfffe
	s_or_b32 exec_lo, exec_lo, s0
	s_wait_loadcnt_dscnt 0x0
	s_setpc_b64 s[30:31]
.LBB1857_261:
	flat_load_b64 v[4:5], v[13:14]
	s_wait_alu 0xfffe
	s_or_b32 exec_lo, exec_lo, s7
                                        ; implicit-def: $vgpr8_vgpr9
	s_and_saveexec_b32 s7, s0
	s_cbranch_execz .LBB1857_18
.LBB1857_262:
	flat_load_b64 v[8:9], v[13:14] offset:8
	s_wait_alu 0xfffe
	s_or_b32 exec_lo, exec_lo, s7
                                        ; implicit-def: $vgpr15_vgpr16
	s_and_saveexec_b32 s7, s1
	s_cbranch_execz .LBB1857_19
.LBB1857_263:
	flat_load_b64 v[15:16], v[13:14] offset:16
	s_wait_alu 0xfffe
	s_or_b32 exec_lo, exec_lo, s7
                                        ; implicit-def: $vgpr17_vgpr18
	s_and_saveexec_b32 s7, s2
	s_cbranch_execz .LBB1857_20
.LBB1857_264:
	flat_load_b64 v[17:18], v[13:14] offset:24
	s_wait_alu 0xfffe
	s_or_b32 exec_lo, exec_lo, s7
                                        ; implicit-def: $vgpr19_vgpr20
	s_and_saveexec_b32 s7, s3
	s_cbranch_execz .LBB1857_21
.LBB1857_265:
	flat_load_b64 v[19:20], v[13:14] offset:32
	s_wait_alu 0xfffe
	s_or_b32 exec_lo, exec_lo, s7
                                        ; implicit-def: $vgpr23_vgpr24
	s_and_saveexec_b32 s7, s4
	s_cbranch_execz .LBB1857_22
.LBB1857_266:
	flat_load_b64 v[23:24], v[13:14] offset:40
	s_wait_alu 0xfffe
	s_or_b32 exec_lo, exec_lo, s7
                                        ; implicit-def: $vgpr21_vgpr22
	s_and_saveexec_b32 s7, s5
	s_cbranch_execz .LBB1857_23
.LBB1857_267:
	flat_load_b64 v[21:22], v[13:14] offset:48
	s_wait_alu 0xfffe
	s_or_b32 exec_lo, exec_lo, s7
                                        ; implicit-def: $vgpr25_vgpr26
	s_and_saveexec_b32 s7, s6
	s_cbranch_execnz .LBB1857_24
	s_branch .LBB1857_25
.LBB1857_268:
	flat_store_b16 v[2:3], v36
	s_wait_alu 0xfffe
	s_or_b32 exec_lo, exec_lo, s7
	s_and_saveexec_b32 s7, s0
	s_cbranch_execz .LBB1857_245
.LBB1857_269:
	flat_store_b16 v[2:3], v39 offset:2
	s_wait_alu 0xfffe
	s_or_b32 exec_lo, exec_lo, s7
	s_and_saveexec_b32 s7, s1
	s_cbranch_execz .LBB1857_246
.LBB1857_270:
	flat_store_b16 v[2:3], v48 offset:4
	s_wait_alu 0xfffe
	s_or_b32 exec_lo, exec_lo, s7
	s_and_saveexec_b32 s7, s2
	s_cbranch_execz .LBB1857_247
.LBB1857_271:
	flat_store_b16 v[2:3], v51 offset:6
	s_wait_alu 0xfffe
	s_or_b32 exec_lo, exec_lo, s7
	s_and_saveexec_b32 s7, s3
	s_cbranch_execz .LBB1857_248
.LBB1857_272:
	flat_store_b16 v[2:3], v49 offset:8
	s_wait_alu 0xfffe
	s_or_b32 exec_lo, exec_lo, s7
	s_and_saveexec_b32 s7, s4
	s_cbranch_execz .LBB1857_249
.LBB1857_273:
	flat_store_b16 v[2:3], v38 offset:10
	s_wait_alu 0xfffe
	s_or_b32 exec_lo, exec_lo, s7
	s_and_saveexec_b32 s7, s5
	s_cbranch_execz .LBB1857_250
.LBB1857_274:
	flat_store_b16 v[2:3], v50 offset:12
	s_wait_alu 0xfffe
	s_or_b32 exec_lo, exec_lo, s7
	s_and_saveexec_b32 s7, s6
	s_cbranch_execnz .LBB1857_251
	s_branch .LBB1857_252
.LBB1857_275:
	flat_store_b64 v[0:1], v[4:5]
	s_wait_alu 0xfffe
	s_or_b32 exec_lo, exec_lo, s7
	s_and_saveexec_b32 s7, s0
	s_cbranch_execz .LBB1857_254
.LBB1857_276:
	flat_store_b64 v[0:1], v[8:9] offset:8
	s_wait_alu 0xfffe
	s_or_b32 exec_lo, exec_lo, s7
	s_and_saveexec_b32 s0, s1
	s_cbranch_execz .LBB1857_255
.LBB1857_277:
	flat_store_b64 v[0:1], v[15:16] offset:16
	s_wait_alu 0xfffe
	s_or_b32 exec_lo, exec_lo, s0
	s_and_saveexec_b32 s0, s2
	s_cbranch_execz .LBB1857_256
.LBB1857_278:
	flat_store_b64 v[0:1], v[17:18] offset:24
	s_wait_alu 0xfffe
	s_or_b32 exec_lo, exec_lo, s0
	s_and_saveexec_b32 s0, s3
	s_cbranch_execz .LBB1857_257
.LBB1857_279:
	flat_store_b64 v[0:1], v[19:20] offset:32
	s_wait_alu 0xfffe
	s_or_b32 exec_lo, exec_lo, s0
	s_and_saveexec_b32 s0, s4
	s_cbranch_execz .LBB1857_258
.LBB1857_280:
	flat_store_b64 v[0:1], v[23:24] offset:40
	s_wait_alu 0xfffe
	s_or_b32 exec_lo, exec_lo, s0
	s_and_saveexec_b32 s0, s5
	s_cbranch_execz .LBB1857_259
.LBB1857_281:
	flat_store_b64 v[0:1], v[21:22] offset:48
	s_wait_alu 0xfffe
	s_or_b32 exec_lo, exec_lo, s0
	s_and_saveexec_b32 s0, s6
	s_cbranch_execz .LBB1857_260
.LBB1857_282:
	flat_store_b64 v[0:1], v[25:26] offset:56
	s_wait_alu 0xfffe
	s_or_b32 exec_lo, exec_lo, s0
	s_wait_loadcnt_dscnt 0x0
	s_setpc_b64 s[30:31]
.Lfunc_end1857:
	.size	_ZN7rocprim17ROCPRIM_400000_NS6detail26segmented_warp_sort_helperINS1_20WarpSortHelperConfigILj16ELj8ELj256EEE6__halflLi256ELb0EvE4sortIPKS5_PS5_PKlPlEEvT_T0_T1_T2_jjjjRNS6_12storage_typeE, .Lfunc_end1857-_ZN7rocprim17ROCPRIM_400000_NS6detail26segmented_warp_sort_helperINS1_20WarpSortHelperConfigILj16ELj8ELj256EEE6__halflLi256ELb0EvE4sortIPKS5_PS5_PKlPlEEvT_T0_T1_T2_jjjjRNS6_12storage_typeE
                                        ; -- End function
	.set .L_ZN7rocprim17ROCPRIM_400000_NS6detail26segmented_warp_sort_helperINS1_20WarpSortHelperConfigILj16ELj8ELj256EEE6__halflLi256ELb0EvE4sortIPKS5_PS5_PKlPlEEvT_T0_T1_T2_jjjjRNS6_12storage_typeE.num_vgpr, 70
	.set .L_ZN7rocprim17ROCPRIM_400000_NS6detail26segmented_warp_sort_helperINS1_20WarpSortHelperConfigILj16ELj8ELj256EEE6__halflLi256ELb0EvE4sortIPKS5_PS5_PKlPlEEvT_T0_T1_T2_jjjjRNS6_12storage_typeE.num_agpr, 0
	.set .L_ZN7rocprim17ROCPRIM_400000_NS6detail26segmented_warp_sort_helperINS1_20WarpSortHelperConfigILj16ELj8ELj256EEE6__halflLi256ELb0EvE4sortIPKS5_PS5_PKlPlEEvT_T0_T1_T2_jjjjRNS6_12storage_typeE.numbered_sgpr, 32
	.set .L_ZN7rocprim17ROCPRIM_400000_NS6detail26segmented_warp_sort_helperINS1_20WarpSortHelperConfigILj16ELj8ELj256EEE6__halflLi256ELb0EvE4sortIPKS5_PS5_PKlPlEEvT_T0_T1_T2_jjjjRNS6_12storage_typeE.num_named_barrier, 0
	.set .L_ZN7rocprim17ROCPRIM_400000_NS6detail26segmented_warp_sort_helperINS1_20WarpSortHelperConfigILj16ELj8ELj256EEE6__halflLi256ELb0EvE4sortIPKS5_PS5_PKlPlEEvT_T0_T1_T2_jjjjRNS6_12storage_typeE.private_seg_size, 0
	.set .L_ZN7rocprim17ROCPRIM_400000_NS6detail26segmented_warp_sort_helperINS1_20WarpSortHelperConfigILj16ELj8ELj256EEE6__halflLi256ELb0EvE4sortIPKS5_PS5_PKlPlEEvT_T0_T1_T2_jjjjRNS6_12storage_typeE.uses_vcc, 1
	.set .L_ZN7rocprim17ROCPRIM_400000_NS6detail26segmented_warp_sort_helperINS1_20WarpSortHelperConfigILj16ELj8ELj256EEE6__halflLi256ELb0EvE4sortIPKS5_PS5_PKlPlEEvT_T0_T1_T2_jjjjRNS6_12storage_typeE.uses_flat_scratch, 0
	.set .L_ZN7rocprim17ROCPRIM_400000_NS6detail26segmented_warp_sort_helperINS1_20WarpSortHelperConfigILj16ELj8ELj256EEE6__halflLi256ELb0EvE4sortIPKS5_PS5_PKlPlEEvT_T0_T1_T2_jjjjRNS6_12storage_typeE.has_dyn_sized_stack, 0
	.set .L_ZN7rocprim17ROCPRIM_400000_NS6detail26segmented_warp_sort_helperINS1_20WarpSortHelperConfigILj16ELj8ELj256EEE6__halflLi256ELb0EvE4sortIPKS5_PS5_PKlPlEEvT_T0_T1_T2_jjjjRNS6_12storage_typeE.has_recursion, 0
	.set .L_ZN7rocprim17ROCPRIM_400000_NS6detail26segmented_warp_sort_helperINS1_20WarpSortHelperConfigILj16ELj8ELj256EEE6__halflLi256ELb0EvE4sortIPKS5_PS5_PKlPlEEvT_T0_T1_T2_jjjjRNS6_12storage_typeE.has_indirect_call, 0
	.section	.AMDGPU.csdata,"",@progbits
; Function info:
; codeLenInByte = 16288
; TotalNumSgprs: 34
; NumVgprs: 70
; ScratchSize: 0
; MemoryBound: 0
	.section	.text._ZN7rocprim17ROCPRIM_400000_NS6detail17trampoline_kernelINS0_14default_configENS1_36segmented_radix_sort_config_selectorI6__halflEEZNS1_25segmented_radix_sort_implIS3_Lb0EPKS5_PS5_PKlPlN2at6native12_GLOBAL__N_18offset_tEEE10hipError_tPvRmT1_PNSt15iterator_traitsISL_E10value_typeET2_T3_PNSM_ISR_E10value_typeET4_jRbjT5_SX_jjP12ihipStream_tbEUlT_E0_NS1_11comp_targetILNS1_3genE10ELNS1_11target_archE1201ELNS1_3gpuE5ELNS1_3repE0EEENS1_60segmented_radix_sort_warp_sort_medium_config_static_selectorELNS0_4arch9wavefront6targetE0EEEvSL_,"axG",@progbits,_ZN7rocprim17ROCPRIM_400000_NS6detail17trampoline_kernelINS0_14default_configENS1_36segmented_radix_sort_config_selectorI6__halflEEZNS1_25segmented_radix_sort_implIS3_Lb0EPKS5_PS5_PKlPlN2at6native12_GLOBAL__N_18offset_tEEE10hipError_tPvRmT1_PNSt15iterator_traitsISL_E10value_typeET2_T3_PNSM_ISR_E10value_typeET4_jRbjT5_SX_jjP12ihipStream_tbEUlT_E0_NS1_11comp_targetILNS1_3genE10ELNS1_11target_archE1201ELNS1_3gpuE5ELNS1_3repE0EEENS1_60segmented_radix_sort_warp_sort_medium_config_static_selectorELNS0_4arch9wavefront6targetE0EEEvSL_,comdat
	.globl	_ZN7rocprim17ROCPRIM_400000_NS6detail17trampoline_kernelINS0_14default_configENS1_36segmented_radix_sort_config_selectorI6__halflEEZNS1_25segmented_radix_sort_implIS3_Lb0EPKS5_PS5_PKlPlN2at6native12_GLOBAL__N_18offset_tEEE10hipError_tPvRmT1_PNSt15iterator_traitsISL_E10value_typeET2_T3_PNSM_ISR_E10value_typeET4_jRbjT5_SX_jjP12ihipStream_tbEUlT_E0_NS1_11comp_targetILNS1_3genE10ELNS1_11target_archE1201ELNS1_3gpuE5ELNS1_3repE0EEENS1_60segmented_radix_sort_warp_sort_medium_config_static_selectorELNS0_4arch9wavefront6targetE0EEEvSL_ ; -- Begin function _ZN7rocprim17ROCPRIM_400000_NS6detail17trampoline_kernelINS0_14default_configENS1_36segmented_radix_sort_config_selectorI6__halflEEZNS1_25segmented_radix_sort_implIS3_Lb0EPKS5_PS5_PKlPlN2at6native12_GLOBAL__N_18offset_tEEE10hipError_tPvRmT1_PNSt15iterator_traitsISL_E10value_typeET2_T3_PNSM_ISR_E10value_typeET4_jRbjT5_SX_jjP12ihipStream_tbEUlT_E0_NS1_11comp_targetILNS1_3genE10ELNS1_11target_archE1201ELNS1_3gpuE5ELNS1_3repE0EEENS1_60segmented_radix_sort_warp_sort_medium_config_static_selectorELNS0_4arch9wavefront6targetE0EEEvSL_
	.p2align	8
	.type	_ZN7rocprim17ROCPRIM_400000_NS6detail17trampoline_kernelINS0_14default_configENS1_36segmented_radix_sort_config_selectorI6__halflEEZNS1_25segmented_radix_sort_implIS3_Lb0EPKS5_PS5_PKlPlN2at6native12_GLOBAL__N_18offset_tEEE10hipError_tPvRmT1_PNSt15iterator_traitsISL_E10value_typeET2_T3_PNSM_ISR_E10value_typeET4_jRbjT5_SX_jjP12ihipStream_tbEUlT_E0_NS1_11comp_targetILNS1_3genE10ELNS1_11target_archE1201ELNS1_3gpuE5ELNS1_3repE0EEENS1_60segmented_radix_sort_warp_sort_medium_config_static_selectorELNS0_4arch9wavefront6targetE0EEEvSL_,@function
_ZN7rocprim17ROCPRIM_400000_NS6detail17trampoline_kernelINS0_14default_configENS1_36segmented_radix_sort_config_selectorI6__halflEEZNS1_25segmented_radix_sort_implIS3_Lb0EPKS5_PS5_PKlPlN2at6native12_GLOBAL__N_18offset_tEEE10hipError_tPvRmT1_PNSt15iterator_traitsISL_E10value_typeET2_T3_PNSM_ISR_E10value_typeET4_jRbjT5_SX_jjP12ihipStream_tbEUlT_E0_NS1_11comp_targetILNS1_3genE10ELNS1_11target_archE1201ELNS1_3gpuE5ELNS1_3repE0EEENS1_60segmented_radix_sort_warp_sort_medium_config_static_selectorELNS0_4arch9wavefront6targetE0EEEvSL_: ; @_ZN7rocprim17ROCPRIM_400000_NS6detail17trampoline_kernelINS0_14default_configENS1_36segmented_radix_sort_config_selectorI6__halflEEZNS1_25segmented_radix_sort_implIS3_Lb0EPKS5_PS5_PKlPlN2at6native12_GLOBAL__N_18offset_tEEE10hipError_tPvRmT1_PNSt15iterator_traitsISL_E10value_typeET2_T3_PNSM_ISR_E10value_typeET4_jRbjT5_SX_jjP12ihipStream_tbEUlT_E0_NS1_11comp_targetILNS1_3genE10ELNS1_11target_archE1201ELNS1_3gpuE5ELNS1_3repE0EEENS1_60segmented_radix_sort_warp_sort_medium_config_static_selectorELNS0_4arch9wavefront6targetE0EEEvSL_
; %bb.0:
	s_load_b32 s2, s[0:1], 0x64
	v_bfe_u32 v1, v0, 10, 10
	v_bfe_u32 v2, v0, 20, 10
	s_mov_b32 s32, 0
	s_wait_kmcnt 0x0
	s_lshr_b32 s3, s2, 16
	s_and_b32 s2, s2, 0xffff
	v_mad_u32_u24 v2, v2, s3, v1
	v_and_b32_e32 v1, 0x3ff, v0
	s_load_b32 s3, s[0:1], 0x34
	s_delay_alu instid0(VALU_DEP_1) | instskip(SKIP_2) | instid1(VALU_DEP_1)
	v_mad_co_u64_u32 v[1:2], null, v2, s2, v[1:2]
	s_mov_b32 s2, exec_lo
	v_lshrrev_b32_e32 v1, 4, v1
	v_lshl_add_u32 v1, ttmp9, 4, v1
	s_wait_kmcnt 0x0
	s_delay_alu instid0(VALU_DEP_1)
	v_cmpx_gt_u32_e64 s3, v1
	s_cbranch_execz .LBB1858_6
; %bb.1:
	s_clause 0x1
	s_load_b64 s[2:3], s[0:1], 0x38
	s_load_b128 s[4:7], s[0:1], 0x40
	v_mov_b32_e32 v2, 0
	s_delay_alu instid0(VALU_DEP_1) | instskip(SKIP_1) | instid1(VALU_DEP_1)
	v_lshlrev_b64_e32 v[1:2], 2, v[1:2]
	s_wait_kmcnt 0x0
	v_add_co_u32 v1, vcc_lo, s2, v1
	s_delay_alu instid0(VALU_DEP_1) | instskip(SKIP_4) | instid1(VALU_DEP_2)
	v_add_co_ci_u32_e64 v2, null, s3, v2, vcc_lo
	global_load_b32 v1, v[1:2], off
	s_wait_loadcnt 0x0
	v_add_nc_u32_e32 v2, s5, v1
	v_add_nc_u32_e32 v1, s7, v1
	v_mul_lo_u32 v40, v2, s4
	s_delay_alu instid0(VALU_DEP_2) | instskip(NEXT) | instid1(VALU_DEP_1)
	v_mul_lo_u32 v41, v1, s6
	v_cmp_gt_u32_e32 vcc_lo, v41, v40
	s_and_b32 exec_lo, exec_lo, vcc_lo
	s_cbranch_execz .LBB1858_6
; %bb.2:
	s_clause 0x2
	s_load_b32 s2, s[0:1], 0x30
	s_load_b128 s[24:27], s[0:1], 0x20
	s_load_b256 s[36:43], s[0:1], 0x0
	s_add_nc_u64 s[20:21], s[0:1], 0x58
	s_wait_kmcnt 0x0
	s_bitcmp0_b32 s2, 0
	s_mov_b32 s2, -1
	s_cbranch_scc0 .LBB1858_4
; %bb.3:
	v_dual_mov_b32 v31, v0 :: v_dual_mov_b32 v42, v0
	v_dual_mov_b32 v0, s36 :: v_dual_mov_b32 v1, s37
	v_dual_mov_b32 v2, s38 :: v_dual_mov_b32 v3, s39
	v_dual_mov_b32 v4, s42 :: v_dual_mov_b32 v5, s43
	v_dual_mov_b32 v6, s24 :: v_dual_mov_b32 v7, s25
	v_dual_mov_b32 v8, v40 :: v_dual_mov_b32 v9, v41
	s_getpc_b64 s[0:1]
	s_wait_alu 0xfffe
	s_sext_i32_i16 s1, s1
	s_add_co_u32 s0, s0, _ZN7rocprim17ROCPRIM_400000_NS6detail26segmented_warp_sort_helperINS1_20WarpSortHelperConfigILj16ELj8ELj256EEE6__halflLi256ELb0EvE4sortIPKS5_PS5_PKlPlEEvT_T0_T1_T2_jjjjRNS6_12storage_typeE@rel32@lo+12
	s_wait_alu 0xfffe
	s_add_co_ci_u32 s1, s1, _ZN7rocprim17ROCPRIM_400000_NS6detail26segmented_warp_sort_helperINS1_20WarpSortHelperConfigILj16ELj8ELj256EEE6__halflLi256ELb0EvE4sortIPKS5_PS5_PKlPlEEvT_T0_T1_T2_jjjjRNS6_12storage_typeE@rel32@hi+24
	s_mov_b64 s[8:9], s[20:21]
	s_wait_alu 0xfffe
	s_swappc_b64 s[30:31], s[0:1]
	v_mov_b32_e32 v0, v42
	s_mov_b32 s2, 0
.LBB1858_4:
	s_wait_alu 0xfffe
	s_and_not1_b32 vcc_lo, exec_lo, s2
	s_wait_alu 0xfffe
	s_cbranch_vccnz .LBB1858_6
; %bb.5:
	v_dual_mov_b32 v31, v0 :: v_dual_mov_b32 v0, s36
	v_dual_mov_b32 v1, s37 :: v_dual_mov_b32 v2, s40
	;; [unrolled: 1-line block ×5, first 2 shown]
	v_mov_b32_e32 v9, v41
	s_getpc_b64 s[0:1]
	s_wait_alu 0xfffe
	s_sext_i32_i16 s1, s1
	s_add_co_u32 s0, s0, _ZN7rocprim17ROCPRIM_400000_NS6detail26segmented_warp_sort_helperINS1_20WarpSortHelperConfigILj16ELj8ELj256EEE6__halflLi256ELb0EvE4sortIPKS5_PS5_PKlPlEEvT_T0_T1_T2_jjjjRNS6_12storage_typeE@rel32@lo+12
	s_wait_alu 0xfffe
	s_add_co_ci_u32 s1, s1, _ZN7rocprim17ROCPRIM_400000_NS6detail26segmented_warp_sort_helperINS1_20WarpSortHelperConfigILj16ELj8ELj256EEE6__halflLi256ELb0EvE4sortIPKS5_PS5_PKlPlEEvT_T0_T1_T2_jjjjRNS6_12storage_typeE@rel32@hi+24
	s_mov_b64 s[8:9], s[20:21]
	s_wait_alu 0xfffe
	s_swappc_b64 s[30:31], s[0:1]
.LBB1858_6:
	s_endpgm
	.section	.rodata,"a",@progbits
	.p2align	6, 0x0
	.amdhsa_kernel _ZN7rocprim17ROCPRIM_400000_NS6detail17trampoline_kernelINS0_14default_configENS1_36segmented_radix_sort_config_selectorI6__halflEEZNS1_25segmented_radix_sort_implIS3_Lb0EPKS5_PS5_PKlPlN2at6native12_GLOBAL__N_18offset_tEEE10hipError_tPvRmT1_PNSt15iterator_traitsISL_E10value_typeET2_T3_PNSM_ISR_E10value_typeET4_jRbjT5_SX_jjP12ihipStream_tbEUlT_E0_NS1_11comp_targetILNS1_3genE10ELNS1_11target_archE1201ELNS1_3gpuE5ELNS1_3repE0EEENS1_60segmented_radix_sort_warp_sort_medium_config_static_selectorELNS0_4arch9wavefront6targetE0EEEvSL_
		.amdhsa_group_segment_fixed_size 20480
		.amdhsa_private_segment_fixed_size 0
		.amdhsa_kernarg_size 344
		.amdhsa_user_sgpr_count 2
		.amdhsa_user_sgpr_dispatch_ptr 0
		.amdhsa_user_sgpr_queue_ptr 0
		.amdhsa_user_sgpr_kernarg_segment_ptr 1
		.amdhsa_user_sgpr_dispatch_id 0
		.amdhsa_user_sgpr_private_segment_size 0
		.amdhsa_wavefront_size32 1
		.amdhsa_uses_dynamic_stack 0
		.amdhsa_enable_private_segment 0
		.amdhsa_system_sgpr_workgroup_id_x 1
		.amdhsa_system_sgpr_workgroup_id_y 1
		.amdhsa_system_sgpr_workgroup_id_z 0
		.amdhsa_system_sgpr_workgroup_info 0
		.amdhsa_system_vgpr_workitem_id 2
		.amdhsa_next_free_vgpr 97
		.amdhsa_next_free_sgpr 44
		.amdhsa_reserve_vcc 1
		.amdhsa_float_round_mode_32 0
		.amdhsa_float_round_mode_16_64 0
		.amdhsa_float_denorm_mode_32 3
		.amdhsa_float_denorm_mode_16_64 3
		.amdhsa_fp16_overflow 0
		.amdhsa_workgroup_processor_mode 1
		.amdhsa_memory_ordered 1
		.amdhsa_forward_progress 1
		.amdhsa_inst_pref_size 4
		.amdhsa_round_robin_scheduling 0
		.amdhsa_exception_fp_ieee_invalid_op 0
		.amdhsa_exception_fp_denorm_src 0
		.amdhsa_exception_fp_ieee_div_zero 0
		.amdhsa_exception_fp_ieee_overflow 0
		.amdhsa_exception_fp_ieee_underflow 0
		.amdhsa_exception_fp_ieee_inexact 0
		.amdhsa_exception_int_div_zero 0
	.end_amdhsa_kernel
	.section	.text._ZN7rocprim17ROCPRIM_400000_NS6detail17trampoline_kernelINS0_14default_configENS1_36segmented_radix_sort_config_selectorI6__halflEEZNS1_25segmented_radix_sort_implIS3_Lb0EPKS5_PS5_PKlPlN2at6native12_GLOBAL__N_18offset_tEEE10hipError_tPvRmT1_PNSt15iterator_traitsISL_E10value_typeET2_T3_PNSM_ISR_E10value_typeET4_jRbjT5_SX_jjP12ihipStream_tbEUlT_E0_NS1_11comp_targetILNS1_3genE10ELNS1_11target_archE1201ELNS1_3gpuE5ELNS1_3repE0EEENS1_60segmented_radix_sort_warp_sort_medium_config_static_selectorELNS0_4arch9wavefront6targetE0EEEvSL_,"axG",@progbits,_ZN7rocprim17ROCPRIM_400000_NS6detail17trampoline_kernelINS0_14default_configENS1_36segmented_radix_sort_config_selectorI6__halflEEZNS1_25segmented_radix_sort_implIS3_Lb0EPKS5_PS5_PKlPlN2at6native12_GLOBAL__N_18offset_tEEE10hipError_tPvRmT1_PNSt15iterator_traitsISL_E10value_typeET2_T3_PNSM_ISR_E10value_typeET4_jRbjT5_SX_jjP12ihipStream_tbEUlT_E0_NS1_11comp_targetILNS1_3genE10ELNS1_11target_archE1201ELNS1_3gpuE5ELNS1_3repE0EEENS1_60segmented_radix_sort_warp_sort_medium_config_static_selectorELNS0_4arch9wavefront6targetE0EEEvSL_,comdat
.Lfunc_end1858:
	.size	_ZN7rocprim17ROCPRIM_400000_NS6detail17trampoline_kernelINS0_14default_configENS1_36segmented_radix_sort_config_selectorI6__halflEEZNS1_25segmented_radix_sort_implIS3_Lb0EPKS5_PS5_PKlPlN2at6native12_GLOBAL__N_18offset_tEEE10hipError_tPvRmT1_PNSt15iterator_traitsISL_E10value_typeET2_T3_PNSM_ISR_E10value_typeET4_jRbjT5_SX_jjP12ihipStream_tbEUlT_E0_NS1_11comp_targetILNS1_3genE10ELNS1_11target_archE1201ELNS1_3gpuE5ELNS1_3repE0EEENS1_60segmented_radix_sort_warp_sort_medium_config_static_selectorELNS0_4arch9wavefront6targetE0EEEvSL_, .Lfunc_end1858-_ZN7rocprim17ROCPRIM_400000_NS6detail17trampoline_kernelINS0_14default_configENS1_36segmented_radix_sort_config_selectorI6__halflEEZNS1_25segmented_radix_sort_implIS3_Lb0EPKS5_PS5_PKlPlN2at6native12_GLOBAL__N_18offset_tEEE10hipError_tPvRmT1_PNSt15iterator_traitsISL_E10value_typeET2_T3_PNSM_ISR_E10value_typeET4_jRbjT5_SX_jjP12ihipStream_tbEUlT_E0_NS1_11comp_targetILNS1_3genE10ELNS1_11target_archE1201ELNS1_3gpuE5ELNS1_3repE0EEENS1_60segmented_radix_sort_warp_sort_medium_config_static_selectorELNS0_4arch9wavefront6targetE0EEEvSL_
                                        ; -- End function
	.set _ZN7rocprim17ROCPRIM_400000_NS6detail17trampoline_kernelINS0_14default_configENS1_36segmented_radix_sort_config_selectorI6__halflEEZNS1_25segmented_radix_sort_implIS3_Lb0EPKS5_PS5_PKlPlN2at6native12_GLOBAL__N_18offset_tEEE10hipError_tPvRmT1_PNSt15iterator_traitsISL_E10value_typeET2_T3_PNSM_ISR_E10value_typeET4_jRbjT5_SX_jjP12ihipStream_tbEUlT_E0_NS1_11comp_targetILNS1_3genE10ELNS1_11target_archE1201ELNS1_3gpuE5ELNS1_3repE0EEENS1_60segmented_radix_sort_warp_sort_medium_config_static_selectorELNS0_4arch9wavefront6targetE0EEEvSL_.num_vgpr, max(43, .L_ZN7rocprim17ROCPRIM_400000_NS6detail26segmented_warp_sort_helperINS1_20WarpSortHelperConfigILj16ELj8ELj256EEE6__halflLi256ELb0EvE4sortIPKS5_PS5_PKlPlEEvT_T0_T1_T2_jjjjRNS6_12storage_typeE.num_vgpr)
	.set _ZN7rocprim17ROCPRIM_400000_NS6detail17trampoline_kernelINS0_14default_configENS1_36segmented_radix_sort_config_selectorI6__halflEEZNS1_25segmented_radix_sort_implIS3_Lb0EPKS5_PS5_PKlPlN2at6native12_GLOBAL__N_18offset_tEEE10hipError_tPvRmT1_PNSt15iterator_traitsISL_E10value_typeET2_T3_PNSM_ISR_E10value_typeET4_jRbjT5_SX_jjP12ihipStream_tbEUlT_E0_NS1_11comp_targetILNS1_3genE10ELNS1_11target_archE1201ELNS1_3gpuE5ELNS1_3repE0EEENS1_60segmented_radix_sort_warp_sort_medium_config_static_selectorELNS0_4arch9wavefront6targetE0EEEvSL_.num_agpr, max(0, .L_ZN7rocprim17ROCPRIM_400000_NS6detail26segmented_warp_sort_helperINS1_20WarpSortHelperConfigILj16ELj8ELj256EEE6__halflLi256ELb0EvE4sortIPKS5_PS5_PKlPlEEvT_T0_T1_T2_jjjjRNS6_12storage_typeE.num_agpr)
	.set _ZN7rocprim17ROCPRIM_400000_NS6detail17trampoline_kernelINS0_14default_configENS1_36segmented_radix_sort_config_selectorI6__halflEEZNS1_25segmented_radix_sort_implIS3_Lb0EPKS5_PS5_PKlPlN2at6native12_GLOBAL__N_18offset_tEEE10hipError_tPvRmT1_PNSt15iterator_traitsISL_E10value_typeET2_T3_PNSM_ISR_E10value_typeET4_jRbjT5_SX_jjP12ihipStream_tbEUlT_E0_NS1_11comp_targetILNS1_3genE10ELNS1_11target_archE1201ELNS1_3gpuE5ELNS1_3repE0EEENS1_60segmented_radix_sort_warp_sort_medium_config_static_selectorELNS0_4arch9wavefront6targetE0EEEvSL_.numbered_sgpr, max(44, .L_ZN7rocprim17ROCPRIM_400000_NS6detail26segmented_warp_sort_helperINS1_20WarpSortHelperConfigILj16ELj8ELj256EEE6__halflLi256ELb0EvE4sortIPKS5_PS5_PKlPlEEvT_T0_T1_T2_jjjjRNS6_12storage_typeE.numbered_sgpr)
	.set _ZN7rocprim17ROCPRIM_400000_NS6detail17trampoline_kernelINS0_14default_configENS1_36segmented_radix_sort_config_selectorI6__halflEEZNS1_25segmented_radix_sort_implIS3_Lb0EPKS5_PS5_PKlPlN2at6native12_GLOBAL__N_18offset_tEEE10hipError_tPvRmT1_PNSt15iterator_traitsISL_E10value_typeET2_T3_PNSM_ISR_E10value_typeET4_jRbjT5_SX_jjP12ihipStream_tbEUlT_E0_NS1_11comp_targetILNS1_3genE10ELNS1_11target_archE1201ELNS1_3gpuE5ELNS1_3repE0EEENS1_60segmented_radix_sort_warp_sort_medium_config_static_selectorELNS0_4arch9wavefront6targetE0EEEvSL_.num_named_barrier, max(0, .L_ZN7rocprim17ROCPRIM_400000_NS6detail26segmented_warp_sort_helperINS1_20WarpSortHelperConfigILj16ELj8ELj256EEE6__halflLi256ELb0EvE4sortIPKS5_PS5_PKlPlEEvT_T0_T1_T2_jjjjRNS6_12storage_typeE.num_named_barrier)
	.set _ZN7rocprim17ROCPRIM_400000_NS6detail17trampoline_kernelINS0_14default_configENS1_36segmented_radix_sort_config_selectorI6__halflEEZNS1_25segmented_radix_sort_implIS3_Lb0EPKS5_PS5_PKlPlN2at6native12_GLOBAL__N_18offset_tEEE10hipError_tPvRmT1_PNSt15iterator_traitsISL_E10value_typeET2_T3_PNSM_ISR_E10value_typeET4_jRbjT5_SX_jjP12ihipStream_tbEUlT_E0_NS1_11comp_targetILNS1_3genE10ELNS1_11target_archE1201ELNS1_3gpuE5ELNS1_3repE0EEENS1_60segmented_radix_sort_warp_sort_medium_config_static_selectorELNS0_4arch9wavefront6targetE0EEEvSL_.private_seg_size, 0+max(.L_ZN7rocprim17ROCPRIM_400000_NS6detail26segmented_warp_sort_helperINS1_20WarpSortHelperConfigILj16ELj8ELj256EEE6__halflLi256ELb0EvE4sortIPKS5_PS5_PKlPlEEvT_T0_T1_T2_jjjjRNS6_12storage_typeE.private_seg_size)
	.set _ZN7rocprim17ROCPRIM_400000_NS6detail17trampoline_kernelINS0_14default_configENS1_36segmented_radix_sort_config_selectorI6__halflEEZNS1_25segmented_radix_sort_implIS3_Lb0EPKS5_PS5_PKlPlN2at6native12_GLOBAL__N_18offset_tEEE10hipError_tPvRmT1_PNSt15iterator_traitsISL_E10value_typeET2_T3_PNSM_ISR_E10value_typeET4_jRbjT5_SX_jjP12ihipStream_tbEUlT_E0_NS1_11comp_targetILNS1_3genE10ELNS1_11target_archE1201ELNS1_3gpuE5ELNS1_3repE0EEENS1_60segmented_radix_sort_warp_sort_medium_config_static_selectorELNS0_4arch9wavefront6targetE0EEEvSL_.uses_vcc, or(1, .L_ZN7rocprim17ROCPRIM_400000_NS6detail26segmented_warp_sort_helperINS1_20WarpSortHelperConfigILj16ELj8ELj256EEE6__halflLi256ELb0EvE4sortIPKS5_PS5_PKlPlEEvT_T0_T1_T2_jjjjRNS6_12storage_typeE.uses_vcc)
	.set _ZN7rocprim17ROCPRIM_400000_NS6detail17trampoline_kernelINS0_14default_configENS1_36segmented_radix_sort_config_selectorI6__halflEEZNS1_25segmented_radix_sort_implIS3_Lb0EPKS5_PS5_PKlPlN2at6native12_GLOBAL__N_18offset_tEEE10hipError_tPvRmT1_PNSt15iterator_traitsISL_E10value_typeET2_T3_PNSM_ISR_E10value_typeET4_jRbjT5_SX_jjP12ihipStream_tbEUlT_E0_NS1_11comp_targetILNS1_3genE10ELNS1_11target_archE1201ELNS1_3gpuE5ELNS1_3repE0EEENS1_60segmented_radix_sort_warp_sort_medium_config_static_selectorELNS0_4arch9wavefront6targetE0EEEvSL_.uses_flat_scratch, or(0, .L_ZN7rocprim17ROCPRIM_400000_NS6detail26segmented_warp_sort_helperINS1_20WarpSortHelperConfigILj16ELj8ELj256EEE6__halflLi256ELb0EvE4sortIPKS5_PS5_PKlPlEEvT_T0_T1_T2_jjjjRNS6_12storage_typeE.uses_flat_scratch)
	.set _ZN7rocprim17ROCPRIM_400000_NS6detail17trampoline_kernelINS0_14default_configENS1_36segmented_radix_sort_config_selectorI6__halflEEZNS1_25segmented_radix_sort_implIS3_Lb0EPKS5_PS5_PKlPlN2at6native12_GLOBAL__N_18offset_tEEE10hipError_tPvRmT1_PNSt15iterator_traitsISL_E10value_typeET2_T3_PNSM_ISR_E10value_typeET4_jRbjT5_SX_jjP12ihipStream_tbEUlT_E0_NS1_11comp_targetILNS1_3genE10ELNS1_11target_archE1201ELNS1_3gpuE5ELNS1_3repE0EEENS1_60segmented_radix_sort_warp_sort_medium_config_static_selectorELNS0_4arch9wavefront6targetE0EEEvSL_.has_dyn_sized_stack, or(0, .L_ZN7rocprim17ROCPRIM_400000_NS6detail26segmented_warp_sort_helperINS1_20WarpSortHelperConfigILj16ELj8ELj256EEE6__halflLi256ELb0EvE4sortIPKS5_PS5_PKlPlEEvT_T0_T1_T2_jjjjRNS6_12storage_typeE.has_dyn_sized_stack)
	.set _ZN7rocprim17ROCPRIM_400000_NS6detail17trampoline_kernelINS0_14default_configENS1_36segmented_radix_sort_config_selectorI6__halflEEZNS1_25segmented_radix_sort_implIS3_Lb0EPKS5_PS5_PKlPlN2at6native12_GLOBAL__N_18offset_tEEE10hipError_tPvRmT1_PNSt15iterator_traitsISL_E10value_typeET2_T3_PNSM_ISR_E10value_typeET4_jRbjT5_SX_jjP12ihipStream_tbEUlT_E0_NS1_11comp_targetILNS1_3genE10ELNS1_11target_archE1201ELNS1_3gpuE5ELNS1_3repE0EEENS1_60segmented_radix_sort_warp_sort_medium_config_static_selectorELNS0_4arch9wavefront6targetE0EEEvSL_.has_recursion, or(0, .L_ZN7rocprim17ROCPRIM_400000_NS6detail26segmented_warp_sort_helperINS1_20WarpSortHelperConfigILj16ELj8ELj256EEE6__halflLi256ELb0EvE4sortIPKS5_PS5_PKlPlEEvT_T0_T1_T2_jjjjRNS6_12storage_typeE.has_recursion)
	.set _ZN7rocprim17ROCPRIM_400000_NS6detail17trampoline_kernelINS0_14default_configENS1_36segmented_radix_sort_config_selectorI6__halflEEZNS1_25segmented_radix_sort_implIS3_Lb0EPKS5_PS5_PKlPlN2at6native12_GLOBAL__N_18offset_tEEE10hipError_tPvRmT1_PNSt15iterator_traitsISL_E10value_typeET2_T3_PNSM_ISR_E10value_typeET4_jRbjT5_SX_jjP12ihipStream_tbEUlT_E0_NS1_11comp_targetILNS1_3genE10ELNS1_11target_archE1201ELNS1_3gpuE5ELNS1_3repE0EEENS1_60segmented_radix_sort_warp_sort_medium_config_static_selectorELNS0_4arch9wavefront6targetE0EEEvSL_.has_indirect_call, or(0, .L_ZN7rocprim17ROCPRIM_400000_NS6detail26segmented_warp_sort_helperINS1_20WarpSortHelperConfigILj16ELj8ELj256EEE6__halflLi256ELb0EvE4sortIPKS5_PS5_PKlPlEEvT_T0_T1_T2_jjjjRNS6_12storage_typeE.has_indirect_call)
	.section	.AMDGPU.csdata,"",@progbits
; Kernel info:
; codeLenInByte = 488
; TotalNumSgprs: 46
; NumVgprs: 70
; ScratchSize: 0
; MemoryBound: 0
; FloatMode: 240
; IeeeMode: 1
; LDSByteSize: 20480 bytes/workgroup (compile time only)
; SGPRBlocks: 0
; VGPRBlocks: 12
; NumSGPRsForWavesPerEU: 46
; NumVGPRsForWavesPerEU: 97
; Occupancy: 12
; WaveLimiterHint : 0
; COMPUTE_PGM_RSRC2:SCRATCH_EN: 0
; COMPUTE_PGM_RSRC2:USER_SGPR: 2
; COMPUTE_PGM_RSRC2:TRAP_HANDLER: 0
; COMPUTE_PGM_RSRC2:TGID_X_EN: 1
; COMPUTE_PGM_RSRC2:TGID_Y_EN: 1
; COMPUTE_PGM_RSRC2:TGID_Z_EN: 0
; COMPUTE_PGM_RSRC2:TIDIG_COMP_CNT: 2
	.section	.text._ZN7rocprim17ROCPRIM_400000_NS6detail17trampoline_kernelINS0_14default_configENS1_36segmented_radix_sort_config_selectorI6__halflEEZNS1_25segmented_radix_sort_implIS3_Lb0EPKS5_PS5_PKlPlN2at6native12_GLOBAL__N_18offset_tEEE10hipError_tPvRmT1_PNSt15iterator_traitsISL_E10value_typeET2_T3_PNSM_ISR_E10value_typeET4_jRbjT5_SX_jjP12ihipStream_tbEUlT_E0_NS1_11comp_targetILNS1_3genE10ELNS1_11target_archE1200ELNS1_3gpuE4ELNS1_3repE0EEENS1_60segmented_radix_sort_warp_sort_medium_config_static_selectorELNS0_4arch9wavefront6targetE0EEEvSL_,"axG",@progbits,_ZN7rocprim17ROCPRIM_400000_NS6detail17trampoline_kernelINS0_14default_configENS1_36segmented_radix_sort_config_selectorI6__halflEEZNS1_25segmented_radix_sort_implIS3_Lb0EPKS5_PS5_PKlPlN2at6native12_GLOBAL__N_18offset_tEEE10hipError_tPvRmT1_PNSt15iterator_traitsISL_E10value_typeET2_T3_PNSM_ISR_E10value_typeET4_jRbjT5_SX_jjP12ihipStream_tbEUlT_E0_NS1_11comp_targetILNS1_3genE10ELNS1_11target_archE1200ELNS1_3gpuE4ELNS1_3repE0EEENS1_60segmented_radix_sort_warp_sort_medium_config_static_selectorELNS0_4arch9wavefront6targetE0EEEvSL_,comdat
	.globl	_ZN7rocprim17ROCPRIM_400000_NS6detail17trampoline_kernelINS0_14default_configENS1_36segmented_radix_sort_config_selectorI6__halflEEZNS1_25segmented_radix_sort_implIS3_Lb0EPKS5_PS5_PKlPlN2at6native12_GLOBAL__N_18offset_tEEE10hipError_tPvRmT1_PNSt15iterator_traitsISL_E10value_typeET2_T3_PNSM_ISR_E10value_typeET4_jRbjT5_SX_jjP12ihipStream_tbEUlT_E0_NS1_11comp_targetILNS1_3genE10ELNS1_11target_archE1200ELNS1_3gpuE4ELNS1_3repE0EEENS1_60segmented_radix_sort_warp_sort_medium_config_static_selectorELNS0_4arch9wavefront6targetE0EEEvSL_ ; -- Begin function _ZN7rocprim17ROCPRIM_400000_NS6detail17trampoline_kernelINS0_14default_configENS1_36segmented_radix_sort_config_selectorI6__halflEEZNS1_25segmented_radix_sort_implIS3_Lb0EPKS5_PS5_PKlPlN2at6native12_GLOBAL__N_18offset_tEEE10hipError_tPvRmT1_PNSt15iterator_traitsISL_E10value_typeET2_T3_PNSM_ISR_E10value_typeET4_jRbjT5_SX_jjP12ihipStream_tbEUlT_E0_NS1_11comp_targetILNS1_3genE10ELNS1_11target_archE1200ELNS1_3gpuE4ELNS1_3repE0EEENS1_60segmented_radix_sort_warp_sort_medium_config_static_selectorELNS0_4arch9wavefront6targetE0EEEvSL_
	.p2align	8
	.type	_ZN7rocprim17ROCPRIM_400000_NS6detail17trampoline_kernelINS0_14default_configENS1_36segmented_radix_sort_config_selectorI6__halflEEZNS1_25segmented_radix_sort_implIS3_Lb0EPKS5_PS5_PKlPlN2at6native12_GLOBAL__N_18offset_tEEE10hipError_tPvRmT1_PNSt15iterator_traitsISL_E10value_typeET2_T3_PNSM_ISR_E10value_typeET4_jRbjT5_SX_jjP12ihipStream_tbEUlT_E0_NS1_11comp_targetILNS1_3genE10ELNS1_11target_archE1200ELNS1_3gpuE4ELNS1_3repE0EEENS1_60segmented_radix_sort_warp_sort_medium_config_static_selectorELNS0_4arch9wavefront6targetE0EEEvSL_,@function
_ZN7rocprim17ROCPRIM_400000_NS6detail17trampoline_kernelINS0_14default_configENS1_36segmented_radix_sort_config_selectorI6__halflEEZNS1_25segmented_radix_sort_implIS3_Lb0EPKS5_PS5_PKlPlN2at6native12_GLOBAL__N_18offset_tEEE10hipError_tPvRmT1_PNSt15iterator_traitsISL_E10value_typeET2_T3_PNSM_ISR_E10value_typeET4_jRbjT5_SX_jjP12ihipStream_tbEUlT_E0_NS1_11comp_targetILNS1_3genE10ELNS1_11target_archE1200ELNS1_3gpuE4ELNS1_3repE0EEENS1_60segmented_radix_sort_warp_sort_medium_config_static_selectorELNS0_4arch9wavefront6targetE0EEEvSL_: ; @_ZN7rocprim17ROCPRIM_400000_NS6detail17trampoline_kernelINS0_14default_configENS1_36segmented_radix_sort_config_selectorI6__halflEEZNS1_25segmented_radix_sort_implIS3_Lb0EPKS5_PS5_PKlPlN2at6native12_GLOBAL__N_18offset_tEEE10hipError_tPvRmT1_PNSt15iterator_traitsISL_E10value_typeET2_T3_PNSM_ISR_E10value_typeET4_jRbjT5_SX_jjP12ihipStream_tbEUlT_E0_NS1_11comp_targetILNS1_3genE10ELNS1_11target_archE1200ELNS1_3gpuE4ELNS1_3repE0EEENS1_60segmented_radix_sort_warp_sort_medium_config_static_selectorELNS0_4arch9wavefront6targetE0EEEvSL_
; %bb.0:
	.section	.rodata,"a",@progbits
	.p2align	6, 0x0
	.amdhsa_kernel _ZN7rocprim17ROCPRIM_400000_NS6detail17trampoline_kernelINS0_14default_configENS1_36segmented_radix_sort_config_selectorI6__halflEEZNS1_25segmented_radix_sort_implIS3_Lb0EPKS5_PS5_PKlPlN2at6native12_GLOBAL__N_18offset_tEEE10hipError_tPvRmT1_PNSt15iterator_traitsISL_E10value_typeET2_T3_PNSM_ISR_E10value_typeET4_jRbjT5_SX_jjP12ihipStream_tbEUlT_E0_NS1_11comp_targetILNS1_3genE10ELNS1_11target_archE1200ELNS1_3gpuE4ELNS1_3repE0EEENS1_60segmented_radix_sort_warp_sort_medium_config_static_selectorELNS0_4arch9wavefront6targetE0EEEvSL_
		.amdhsa_group_segment_fixed_size 0
		.amdhsa_private_segment_fixed_size 0
		.amdhsa_kernarg_size 88
		.amdhsa_user_sgpr_count 2
		.amdhsa_user_sgpr_dispatch_ptr 0
		.amdhsa_user_sgpr_queue_ptr 0
		.amdhsa_user_sgpr_kernarg_segment_ptr 1
		.amdhsa_user_sgpr_dispatch_id 0
		.amdhsa_user_sgpr_private_segment_size 0
		.amdhsa_wavefront_size32 1
		.amdhsa_uses_dynamic_stack 0
		.amdhsa_enable_private_segment 0
		.amdhsa_system_sgpr_workgroup_id_x 1
		.amdhsa_system_sgpr_workgroup_id_y 0
		.amdhsa_system_sgpr_workgroup_id_z 0
		.amdhsa_system_sgpr_workgroup_info 0
		.amdhsa_system_vgpr_workitem_id 0
		.amdhsa_next_free_vgpr 1
		.amdhsa_next_free_sgpr 1
		.amdhsa_reserve_vcc 0
		.amdhsa_float_round_mode_32 0
		.amdhsa_float_round_mode_16_64 0
		.amdhsa_float_denorm_mode_32 3
		.amdhsa_float_denorm_mode_16_64 3
		.amdhsa_fp16_overflow 0
		.amdhsa_workgroup_processor_mode 1
		.amdhsa_memory_ordered 1
		.amdhsa_forward_progress 1
		.amdhsa_inst_pref_size 0
		.amdhsa_round_robin_scheduling 0
		.amdhsa_exception_fp_ieee_invalid_op 0
		.amdhsa_exception_fp_denorm_src 0
		.amdhsa_exception_fp_ieee_div_zero 0
		.amdhsa_exception_fp_ieee_overflow 0
		.amdhsa_exception_fp_ieee_underflow 0
		.amdhsa_exception_fp_ieee_inexact 0
		.amdhsa_exception_int_div_zero 0
	.end_amdhsa_kernel
	.section	.text._ZN7rocprim17ROCPRIM_400000_NS6detail17trampoline_kernelINS0_14default_configENS1_36segmented_radix_sort_config_selectorI6__halflEEZNS1_25segmented_radix_sort_implIS3_Lb0EPKS5_PS5_PKlPlN2at6native12_GLOBAL__N_18offset_tEEE10hipError_tPvRmT1_PNSt15iterator_traitsISL_E10value_typeET2_T3_PNSM_ISR_E10value_typeET4_jRbjT5_SX_jjP12ihipStream_tbEUlT_E0_NS1_11comp_targetILNS1_3genE10ELNS1_11target_archE1200ELNS1_3gpuE4ELNS1_3repE0EEENS1_60segmented_radix_sort_warp_sort_medium_config_static_selectorELNS0_4arch9wavefront6targetE0EEEvSL_,"axG",@progbits,_ZN7rocprim17ROCPRIM_400000_NS6detail17trampoline_kernelINS0_14default_configENS1_36segmented_radix_sort_config_selectorI6__halflEEZNS1_25segmented_radix_sort_implIS3_Lb0EPKS5_PS5_PKlPlN2at6native12_GLOBAL__N_18offset_tEEE10hipError_tPvRmT1_PNSt15iterator_traitsISL_E10value_typeET2_T3_PNSM_ISR_E10value_typeET4_jRbjT5_SX_jjP12ihipStream_tbEUlT_E0_NS1_11comp_targetILNS1_3genE10ELNS1_11target_archE1200ELNS1_3gpuE4ELNS1_3repE0EEENS1_60segmented_radix_sort_warp_sort_medium_config_static_selectorELNS0_4arch9wavefront6targetE0EEEvSL_,comdat
.Lfunc_end1859:
	.size	_ZN7rocprim17ROCPRIM_400000_NS6detail17trampoline_kernelINS0_14default_configENS1_36segmented_radix_sort_config_selectorI6__halflEEZNS1_25segmented_radix_sort_implIS3_Lb0EPKS5_PS5_PKlPlN2at6native12_GLOBAL__N_18offset_tEEE10hipError_tPvRmT1_PNSt15iterator_traitsISL_E10value_typeET2_T3_PNSM_ISR_E10value_typeET4_jRbjT5_SX_jjP12ihipStream_tbEUlT_E0_NS1_11comp_targetILNS1_3genE10ELNS1_11target_archE1200ELNS1_3gpuE4ELNS1_3repE0EEENS1_60segmented_radix_sort_warp_sort_medium_config_static_selectorELNS0_4arch9wavefront6targetE0EEEvSL_, .Lfunc_end1859-_ZN7rocprim17ROCPRIM_400000_NS6detail17trampoline_kernelINS0_14default_configENS1_36segmented_radix_sort_config_selectorI6__halflEEZNS1_25segmented_radix_sort_implIS3_Lb0EPKS5_PS5_PKlPlN2at6native12_GLOBAL__N_18offset_tEEE10hipError_tPvRmT1_PNSt15iterator_traitsISL_E10value_typeET2_T3_PNSM_ISR_E10value_typeET4_jRbjT5_SX_jjP12ihipStream_tbEUlT_E0_NS1_11comp_targetILNS1_3genE10ELNS1_11target_archE1200ELNS1_3gpuE4ELNS1_3repE0EEENS1_60segmented_radix_sort_warp_sort_medium_config_static_selectorELNS0_4arch9wavefront6targetE0EEEvSL_
                                        ; -- End function
	.set _ZN7rocprim17ROCPRIM_400000_NS6detail17trampoline_kernelINS0_14default_configENS1_36segmented_radix_sort_config_selectorI6__halflEEZNS1_25segmented_radix_sort_implIS3_Lb0EPKS5_PS5_PKlPlN2at6native12_GLOBAL__N_18offset_tEEE10hipError_tPvRmT1_PNSt15iterator_traitsISL_E10value_typeET2_T3_PNSM_ISR_E10value_typeET4_jRbjT5_SX_jjP12ihipStream_tbEUlT_E0_NS1_11comp_targetILNS1_3genE10ELNS1_11target_archE1200ELNS1_3gpuE4ELNS1_3repE0EEENS1_60segmented_radix_sort_warp_sort_medium_config_static_selectorELNS0_4arch9wavefront6targetE0EEEvSL_.num_vgpr, 0
	.set _ZN7rocprim17ROCPRIM_400000_NS6detail17trampoline_kernelINS0_14default_configENS1_36segmented_radix_sort_config_selectorI6__halflEEZNS1_25segmented_radix_sort_implIS3_Lb0EPKS5_PS5_PKlPlN2at6native12_GLOBAL__N_18offset_tEEE10hipError_tPvRmT1_PNSt15iterator_traitsISL_E10value_typeET2_T3_PNSM_ISR_E10value_typeET4_jRbjT5_SX_jjP12ihipStream_tbEUlT_E0_NS1_11comp_targetILNS1_3genE10ELNS1_11target_archE1200ELNS1_3gpuE4ELNS1_3repE0EEENS1_60segmented_radix_sort_warp_sort_medium_config_static_selectorELNS0_4arch9wavefront6targetE0EEEvSL_.num_agpr, 0
	.set _ZN7rocprim17ROCPRIM_400000_NS6detail17trampoline_kernelINS0_14default_configENS1_36segmented_radix_sort_config_selectorI6__halflEEZNS1_25segmented_radix_sort_implIS3_Lb0EPKS5_PS5_PKlPlN2at6native12_GLOBAL__N_18offset_tEEE10hipError_tPvRmT1_PNSt15iterator_traitsISL_E10value_typeET2_T3_PNSM_ISR_E10value_typeET4_jRbjT5_SX_jjP12ihipStream_tbEUlT_E0_NS1_11comp_targetILNS1_3genE10ELNS1_11target_archE1200ELNS1_3gpuE4ELNS1_3repE0EEENS1_60segmented_radix_sort_warp_sort_medium_config_static_selectorELNS0_4arch9wavefront6targetE0EEEvSL_.numbered_sgpr, 0
	.set _ZN7rocprim17ROCPRIM_400000_NS6detail17trampoline_kernelINS0_14default_configENS1_36segmented_radix_sort_config_selectorI6__halflEEZNS1_25segmented_radix_sort_implIS3_Lb0EPKS5_PS5_PKlPlN2at6native12_GLOBAL__N_18offset_tEEE10hipError_tPvRmT1_PNSt15iterator_traitsISL_E10value_typeET2_T3_PNSM_ISR_E10value_typeET4_jRbjT5_SX_jjP12ihipStream_tbEUlT_E0_NS1_11comp_targetILNS1_3genE10ELNS1_11target_archE1200ELNS1_3gpuE4ELNS1_3repE0EEENS1_60segmented_radix_sort_warp_sort_medium_config_static_selectorELNS0_4arch9wavefront6targetE0EEEvSL_.num_named_barrier, 0
	.set _ZN7rocprim17ROCPRIM_400000_NS6detail17trampoline_kernelINS0_14default_configENS1_36segmented_radix_sort_config_selectorI6__halflEEZNS1_25segmented_radix_sort_implIS3_Lb0EPKS5_PS5_PKlPlN2at6native12_GLOBAL__N_18offset_tEEE10hipError_tPvRmT1_PNSt15iterator_traitsISL_E10value_typeET2_T3_PNSM_ISR_E10value_typeET4_jRbjT5_SX_jjP12ihipStream_tbEUlT_E0_NS1_11comp_targetILNS1_3genE10ELNS1_11target_archE1200ELNS1_3gpuE4ELNS1_3repE0EEENS1_60segmented_radix_sort_warp_sort_medium_config_static_selectorELNS0_4arch9wavefront6targetE0EEEvSL_.private_seg_size, 0
	.set _ZN7rocprim17ROCPRIM_400000_NS6detail17trampoline_kernelINS0_14default_configENS1_36segmented_radix_sort_config_selectorI6__halflEEZNS1_25segmented_radix_sort_implIS3_Lb0EPKS5_PS5_PKlPlN2at6native12_GLOBAL__N_18offset_tEEE10hipError_tPvRmT1_PNSt15iterator_traitsISL_E10value_typeET2_T3_PNSM_ISR_E10value_typeET4_jRbjT5_SX_jjP12ihipStream_tbEUlT_E0_NS1_11comp_targetILNS1_3genE10ELNS1_11target_archE1200ELNS1_3gpuE4ELNS1_3repE0EEENS1_60segmented_radix_sort_warp_sort_medium_config_static_selectorELNS0_4arch9wavefront6targetE0EEEvSL_.uses_vcc, 0
	.set _ZN7rocprim17ROCPRIM_400000_NS6detail17trampoline_kernelINS0_14default_configENS1_36segmented_radix_sort_config_selectorI6__halflEEZNS1_25segmented_radix_sort_implIS3_Lb0EPKS5_PS5_PKlPlN2at6native12_GLOBAL__N_18offset_tEEE10hipError_tPvRmT1_PNSt15iterator_traitsISL_E10value_typeET2_T3_PNSM_ISR_E10value_typeET4_jRbjT5_SX_jjP12ihipStream_tbEUlT_E0_NS1_11comp_targetILNS1_3genE10ELNS1_11target_archE1200ELNS1_3gpuE4ELNS1_3repE0EEENS1_60segmented_radix_sort_warp_sort_medium_config_static_selectorELNS0_4arch9wavefront6targetE0EEEvSL_.uses_flat_scratch, 0
	.set _ZN7rocprim17ROCPRIM_400000_NS6detail17trampoline_kernelINS0_14default_configENS1_36segmented_radix_sort_config_selectorI6__halflEEZNS1_25segmented_radix_sort_implIS3_Lb0EPKS5_PS5_PKlPlN2at6native12_GLOBAL__N_18offset_tEEE10hipError_tPvRmT1_PNSt15iterator_traitsISL_E10value_typeET2_T3_PNSM_ISR_E10value_typeET4_jRbjT5_SX_jjP12ihipStream_tbEUlT_E0_NS1_11comp_targetILNS1_3genE10ELNS1_11target_archE1200ELNS1_3gpuE4ELNS1_3repE0EEENS1_60segmented_radix_sort_warp_sort_medium_config_static_selectorELNS0_4arch9wavefront6targetE0EEEvSL_.has_dyn_sized_stack, 0
	.set _ZN7rocprim17ROCPRIM_400000_NS6detail17trampoline_kernelINS0_14default_configENS1_36segmented_radix_sort_config_selectorI6__halflEEZNS1_25segmented_radix_sort_implIS3_Lb0EPKS5_PS5_PKlPlN2at6native12_GLOBAL__N_18offset_tEEE10hipError_tPvRmT1_PNSt15iterator_traitsISL_E10value_typeET2_T3_PNSM_ISR_E10value_typeET4_jRbjT5_SX_jjP12ihipStream_tbEUlT_E0_NS1_11comp_targetILNS1_3genE10ELNS1_11target_archE1200ELNS1_3gpuE4ELNS1_3repE0EEENS1_60segmented_radix_sort_warp_sort_medium_config_static_selectorELNS0_4arch9wavefront6targetE0EEEvSL_.has_recursion, 0
	.set _ZN7rocprim17ROCPRIM_400000_NS6detail17trampoline_kernelINS0_14default_configENS1_36segmented_radix_sort_config_selectorI6__halflEEZNS1_25segmented_radix_sort_implIS3_Lb0EPKS5_PS5_PKlPlN2at6native12_GLOBAL__N_18offset_tEEE10hipError_tPvRmT1_PNSt15iterator_traitsISL_E10value_typeET2_T3_PNSM_ISR_E10value_typeET4_jRbjT5_SX_jjP12ihipStream_tbEUlT_E0_NS1_11comp_targetILNS1_3genE10ELNS1_11target_archE1200ELNS1_3gpuE4ELNS1_3repE0EEENS1_60segmented_radix_sort_warp_sort_medium_config_static_selectorELNS0_4arch9wavefront6targetE0EEEvSL_.has_indirect_call, 0
	.section	.AMDGPU.csdata,"",@progbits
; Kernel info:
; codeLenInByte = 0
; TotalNumSgprs: 0
; NumVgprs: 0
; ScratchSize: 0
; MemoryBound: 0
; FloatMode: 240
; IeeeMode: 1
; LDSByteSize: 0 bytes/workgroup (compile time only)
; SGPRBlocks: 0
; VGPRBlocks: 0
; NumSGPRsForWavesPerEU: 1
; NumVGPRsForWavesPerEU: 1
; Occupancy: 16
; WaveLimiterHint : 0
; COMPUTE_PGM_RSRC2:SCRATCH_EN: 0
; COMPUTE_PGM_RSRC2:USER_SGPR: 2
; COMPUTE_PGM_RSRC2:TRAP_HANDLER: 0
; COMPUTE_PGM_RSRC2:TGID_X_EN: 1
; COMPUTE_PGM_RSRC2:TGID_Y_EN: 0
; COMPUTE_PGM_RSRC2:TGID_Z_EN: 0
; COMPUTE_PGM_RSRC2:TIDIG_COMP_CNT: 0
	.section	.text._ZN7rocprim17ROCPRIM_400000_NS6detail17trampoline_kernelINS0_14default_configENS1_36segmented_radix_sort_config_selectorI6__halflEEZNS1_25segmented_radix_sort_implIS3_Lb0EPKS5_PS5_PKlPlN2at6native12_GLOBAL__N_18offset_tEEE10hipError_tPvRmT1_PNSt15iterator_traitsISL_E10value_typeET2_T3_PNSM_ISR_E10value_typeET4_jRbjT5_SX_jjP12ihipStream_tbEUlT_E0_NS1_11comp_targetILNS1_3genE9ELNS1_11target_archE1100ELNS1_3gpuE3ELNS1_3repE0EEENS1_60segmented_radix_sort_warp_sort_medium_config_static_selectorELNS0_4arch9wavefront6targetE0EEEvSL_,"axG",@progbits,_ZN7rocprim17ROCPRIM_400000_NS6detail17trampoline_kernelINS0_14default_configENS1_36segmented_radix_sort_config_selectorI6__halflEEZNS1_25segmented_radix_sort_implIS3_Lb0EPKS5_PS5_PKlPlN2at6native12_GLOBAL__N_18offset_tEEE10hipError_tPvRmT1_PNSt15iterator_traitsISL_E10value_typeET2_T3_PNSM_ISR_E10value_typeET4_jRbjT5_SX_jjP12ihipStream_tbEUlT_E0_NS1_11comp_targetILNS1_3genE9ELNS1_11target_archE1100ELNS1_3gpuE3ELNS1_3repE0EEENS1_60segmented_radix_sort_warp_sort_medium_config_static_selectorELNS0_4arch9wavefront6targetE0EEEvSL_,comdat
	.globl	_ZN7rocprim17ROCPRIM_400000_NS6detail17trampoline_kernelINS0_14default_configENS1_36segmented_radix_sort_config_selectorI6__halflEEZNS1_25segmented_radix_sort_implIS3_Lb0EPKS5_PS5_PKlPlN2at6native12_GLOBAL__N_18offset_tEEE10hipError_tPvRmT1_PNSt15iterator_traitsISL_E10value_typeET2_T3_PNSM_ISR_E10value_typeET4_jRbjT5_SX_jjP12ihipStream_tbEUlT_E0_NS1_11comp_targetILNS1_3genE9ELNS1_11target_archE1100ELNS1_3gpuE3ELNS1_3repE0EEENS1_60segmented_radix_sort_warp_sort_medium_config_static_selectorELNS0_4arch9wavefront6targetE0EEEvSL_ ; -- Begin function _ZN7rocprim17ROCPRIM_400000_NS6detail17trampoline_kernelINS0_14default_configENS1_36segmented_radix_sort_config_selectorI6__halflEEZNS1_25segmented_radix_sort_implIS3_Lb0EPKS5_PS5_PKlPlN2at6native12_GLOBAL__N_18offset_tEEE10hipError_tPvRmT1_PNSt15iterator_traitsISL_E10value_typeET2_T3_PNSM_ISR_E10value_typeET4_jRbjT5_SX_jjP12ihipStream_tbEUlT_E0_NS1_11comp_targetILNS1_3genE9ELNS1_11target_archE1100ELNS1_3gpuE3ELNS1_3repE0EEENS1_60segmented_radix_sort_warp_sort_medium_config_static_selectorELNS0_4arch9wavefront6targetE0EEEvSL_
	.p2align	8
	.type	_ZN7rocprim17ROCPRIM_400000_NS6detail17trampoline_kernelINS0_14default_configENS1_36segmented_radix_sort_config_selectorI6__halflEEZNS1_25segmented_radix_sort_implIS3_Lb0EPKS5_PS5_PKlPlN2at6native12_GLOBAL__N_18offset_tEEE10hipError_tPvRmT1_PNSt15iterator_traitsISL_E10value_typeET2_T3_PNSM_ISR_E10value_typeET4_jRbjT5_SX_jjP12ihipStream_tbEUlT_E0_NS1_11comp_targetILNS1_3genE9ELNS1_11target_archE1100ELNS1_3gpuE3ELNS1_3repE0EEENS1_60segmented_radix_sort_warp_sort_medium_config_static_selectorELNS0_4arch9wavefront6targetE0EEEvSL_,@function
_ZN7rocprim17ROCPRIM_400000_NS6detail17trampoline_kernelINS0_14default_configENS1_36segmented_radix_sort_config_selectorI6__halflEEZNS1_25segmented_radix_sort_implIS3_Lb0EPKS5_PS5_PKlPlN2at6native12_GLOBAL__N_18offset_tEEE10hipError_tPvRmT1_PNSt15iterator_traitsISL_E10value_typeET2_T3_PNSM_ISR_E10value_typeET4_jRbjT5_SX_jjP12ihipStream_tbEUlT_E0_NS1_11comp_targetILNS1_3genE9ELNS1_11target_archE1100ELNS1_3gpuE3ELNS1_3repE0EEENS1_60segmented_radix_sort_warp_sort_medium_config_static_selectorELNS0_4arch9wavefront6targetE0EEEvSL_: ; @_ZN7rocprim17ROCPRIM_400000_NS6detail17trampoline_kernelINS0_14default_configENS1_36segmented_radix_sort_config_selectorI6__halflEEZNS1_25segmented_radix_sort_implIS3_Lb0EPKS5_PS5_PKlPlN2at6native12_GLOBAL__N_18offset_tEEE10hipError_tPvRmT1_PNSt15iterator_traitsISL_E10value_typeET2_T3_PNSM_ISR_E10value_typeET4_jRbjT5_SX_jjP12ihipStream_tbEUlT_E0_NS1_11comp_targetILNS1_3genE9ELNS1_11target_archE1100ELNS1_3gpuE3ELNS1_3repE0EEENS1_60segmented_radix_sort_warp_sort_medium_config_static_selectorELNS0_4arch9wavefront6targetE0EEEvSL_
; %bb.0:
	.section	.rodata,"a",@progbits
	.p2align	6, 0x0
	.amdhsa_kernel _ZN7rocprim17ROCPRIM_400000_NS6detail17trampoline_kernelINS0_14default_configENS1_36segmented_radix_sort_config_selectorI6__halflEEZNS1_25segmented_radix_sort_implIS3_Lb0EPKS5_PS5_PKlPlN2at6native12_GLOBAL__N_18offset_tEEE10hipError_tPvRmT1_PNSt15iterator_traitsISL_E10value_typeET2_T3_PNSM_ISR_E10value_typeET4_jRbjT5_SX_jjP12ihipStream_tbEUlT_E0_NS1_11comp_targetILNS1_3genE9ELNS1_11target_archE1100ELNS1_3gpuE3ELNS1_3repE0EEENS1_60segmented_radix_sort_warp_sort_medium_config_static_selectorELNS0_4arch9wavefront6targetE0EEEvSL_
		.amdhsa_group_segment_fixed_size 0
		.amdhsa_private_segment_fixed_size 0
		.amdhsa_kernarg_size 88
		.amdhsa_user_sgpr_count 2
		.amdhsa_user_sgpr_dispatch_ptr 0
		.amdhsa_user_sgpr_queue_ptr 0
		.amdhsa_user_sgpr_kernarg_segment_ptr 1
		.amdhsa_user_sgpr_dispatch_id 0
		.amdhsa_user_sgpr_private_segment_size 0
		.amdhsa_wavefront_size32 1
		.amdhsa_uses_dynamic_stack 0
		.amdhsa_enable_private_segment 0
		.amdhsa_system_sgpr_workgroup_id_x 1
		.amdhsa_system_sgpr_workgroup_id_y 0
		.amdhsa_system_sgpr_workgroup_id_z 0
		.amdhsa_system_sgpr_workgroup_info 0
		.amdhsa_system_vgpr_workitem_id 0
		.amdhsa_next_free_vgpr 1
		.amdhsa_next_free_sgpr 1
		.amdhsa_reserve_vcc 0
		.amdhsa_float_round_mode_32 0
		.amdhsa_float_round_mode_16_64 0
		.amdhsa_float_denorm_mode_32 3
		.amdhsa_float_denorm_mode_16_64 3
		.amdhsa_fp16_overflow 0
		.amdhsa_workgroup_processor_mode 1
		.amdhsa_memory_ordered 1
		.amdhsa_forward_progress 1
		.amdhsa_inst_pref_size 0
		.amdhsa_round_robin_scheduling 0
		.amdhsa_exception_fp_ieee_invalid_op 0
		.amdhsa_exception_fp_denorm_src 0
		.amdhsa_exception_fp_ieee_div_zero 0
		.amdhsa_exception_fp_ieee_overflow 0
		.amdhsa_exception_fp_ieee_underflow 0
		.amdhsa_exception_fp_ieee_inexact 0
		.amdhsa_exception_int_div_zero 0
	.end_amdhsa_kernel
	.section	.text._ZN7rocprim17ROCPRIM_400000_NS6detail17trampoline_kernelINS0_14default_configENS1_36segmented_radix_sort_config_selectorI6__halflEEZNS1_25segmented_radix_sort_implIS3_Lb0EPKS5_PS5_PKlPlN2at6native12_GLOBAL__N_18offset_tEEE10hipError_tPvRmT1_PNSt15iterator_traitsISL_E10value_typeET2_T3_PNSM_ISR_E10value_typeET4_jRbjT5_SX_jjP12ihipStream_tbEUlT_E0_NS1_11comp_targetILNS1_3genE9ELNS1_11target_archE1100ELNS1_3gpuE3ELNS1_3repE0EEENS1_60segmented_radix_sort_warp_sort_medium_config_static_selectorELNS0_4arch9wavefront6targetE0EEEvSL_,"axG",@progbits,_ZN7rocprim17ROCPRIM_400000_NS6detail17trampoline_kernelINS0_14default_configENS1_36segmented_radix_sort_config_selectorI6__halflEEZNS1_25segmented_radix_sort_implIS3_Lb0EPKS5_PS5_PKlPlN2at6native12_GLOBAL__N_18offset_tEEE10hipError_tPvRmT1_PNSt15iterator_traitsISL_E10value_typeET2_T3_PNSM_ISR_E10value_typeET4_jRbjT5_SX_jjP12ihipStream_tbEUlT_E0_NS1_11comp_targetILNS1_3genE9ELNS1_11target_archE1100ELNS1_3gpuE3ELNS1_3repE0EEENS1_60segmented_radix_sort_warp_sort_medium_config_static_selectorELNS0_4arch9wavefront6targetE0EEEvSL_,comdat
.Lfunc_end1860:
	.size	_ZN7rocprim17ROCPRIM_400000_NS6detail17trampoline_kernelINS0_14default_configENS1_36segmented_radix_sort_config_selectorI6__halflEEZNS1_25segmented_radix_sort_implIS3_Lb0EPKS5_PS5_PKlPlN2at6native12_GLOBAL__N_18offset_tEEE10hipError_tPvRmT1_PNSt15iterator_traitsISL_E10value_typeET2_T3_PNSM_ISR_E10value_typeET4_jRbjT5_SX_jjP12ihipStream_tbEUlT_E0_NS1_11comp_targetILNS1_3genE9ELNS1_11target_archE1100ELNS1_3gpuE3ELNS1_3repE0EEENS1_60segmented_radix_sort_warp_sort_medium_config_static_selectorELNS0_4arch9wavefront6targetE0EEEvSL_, .Lfunc_end1860-_ZN7rocprim17ROCPRIM_400000_NS6detail17trampoline_kernelINS0_14default_configENS1_36segmented_radix_sort_config_selectorI6__halflEEZNS1_25segmented_radix_sort_implIS3_Lb0EPKS5_PS5_PKlPlN2at6native12_GLOBAL__N_18offset_tEEE10hipError_tPvRmT1_PNSt15iterator_traitsISL_E10value_typeET2_T3_PNSM_ISR_E10value_typeET4_jRbjT5_SX_jjP12ihipStream_tbEUlT_E0_NS1_11comp_targetILNS1_3genE9ELNS1_11target_archE1100ELNS1_3gpuE3ELNS1_3repE0EEENS1_60segmented_radix_sort_warp_sort_medium_config_static_selectorELNS0_4arch9wavefront6targetE0EEEvSL_
                                        ; -- End function
	.set _ZN7rocprim17ROCPRIM_400000_NS6detail17trampoline_kernelINS0_14default_configENS1_36segmented_radix_sort_config_selectorI6__halflEEZNS1_25segmented_radix_sort_implIS3_Lb0EPKS5_PS5_PKlPlN2at6native12_GLOBAL__N_18offset_tEEE10hipError_tPvRmT1_PNSt15iterator_traitsISL_E10value_typeET2_T3_PNSM_ISR_E10value_typeET4_jRbjT5_SX_jjP12ihipStream_tbEUlT_E0_NS1_11comp_targetILNS1_3genE9ELNS1_11target_archE1100ELNS1_3gpuE3ELNS1_3repE0EEENS1_60segmented_radix_sort_warp_sort_medium_config_static_selectorELNS0_4arch9wavefront6targetE0EEEvSL_.num_vgpr, 0
	.set _ZN7rocprim17ROCPRIM_400000_NS6detail17trampoline_kernelINS0_14default_configENS1_36segmented_radix_sort_config_selectorI6__halflEEZNS1_25segmented_radix_sort_implIS3_Lb0EPKS5_PS5_PKlPlN2at6native12_GLOBAL__N_18offset_tEEE10hipError_tPvRmT1_PNSt15iterator_traitsISL_E10value_typeET2_T3_PNSM_ISR_E10value_typeET4_jRbjT5_SX_jjP12ihipStream_tbEUlT_E0_NS1_11comp_targetILNS1_3genE9ELNS1_11target_archE1100ELNS1_3gpuE3ELNS1_3repE0EEENS1_60segmented_radix_sort_warp_sort_medium_config_static_selectorELNS0_4arch9wavefront6targetE0EEEvSL_.num_agpr, 0
	.set _ZN7rocprim17ROCPRIM_400000_NS6detail17trampoline_kernelINS0_14default_configENS1_36segmented_radix_sort_config_selectorI6__halflEEZNS1_25segmented_radix_sort_implIS3_Lb0EPKS5_PS5_PKlPlN2at6native12_GLOBAL__N_18offset_tEEE10hipError_tPvRmT1_PNSt15iterator_traitsISL_E10value_typeET2_T3_PNSM_ISR_E10value_typeET4_jRbjT5_SX_jjP12ihipStream_tbEUlT_E0_NS1_11comp_targetILNS1_3genE9ELNS1_11target_archE1100ELNS1_3gpuE3ELNS1_3repE0EEENS1_60segmented_radix_sort_warp_sort_medium_config_static_selectorELNS0_4arch9wavefront6targetE0EEEvSL_.numbered_sgpr, 0
	.set _ZN7rocprim17ROCPRIM_400000_NS6detail17trampoline_kernelINS0_14default_configENS1_36segmented_radix_sort_config_selectorI6__halflEEZNS1_25segmented_radix_sort_implIS3_Lb0EPKS5_PS5_PKlPlN2at6native12_GLOBAL__N_18offset_tEEE10hipError_tPvRmT1_PNSt15iterator_traitsISL_E10value_typeET2_T3_PNSM_ISR_E10value_typeET4_jRbjT5_SX_jjP12ihipStream_tbEUlT_E0_NS1_11comp_targetILNS1_3genE9ELNS1_11target_archE1100ELNS1_3gpuE3ELNS1_3repE0EEENS1_60segmented_radix_sort_warp_sort_medium_config_static_selectorELNS0_4arch9wavefront6targetE0EEEvSL_.num_named_barrier, 0
	.set _ZN7rocprim17ROCPRIM_400000_NS6detail17trampoline_kernelINS0_14default_configENS1_36segmented_radix_sort_config_selectorI6__halflEEZNS1_25segmented_radix_sort_implIS3_Lb0EPKS5_PS5_PKlPlN2at6native12_GLOBAL__N_18offset_tEEE10hipError_tPvRmT1_PNSt15iterator_traitsISL_E10value_typeET2_T3_PNSM_ISR_E10value_typeET4_jRbjT5_SX_jjP12ihipStream_tbEUlT_E0_NS1_11comp_targetILNS1_3genE9ELNS1_11target_archE1100ELNS1_3gpuE3ELNS1_3repE0EEENS1_60segmented_radix_sort_warp_sort_medium_config_static_selectorELNS0_4arch9wavefront6targetE0EEEvSL_.private_seg_size, 0
	.set _ZN7rocprim17ROCPRIM_400000_NS6detail17trampoline_kernelINS0_14default_configENS1_36segmented_radix_sort_config_selectorI6__halflEEZNS1_25segmented_radix_sort_implIS3_Lb0EPKS5_PS5_PKlPlN2at6native12_GLOBAL__N_18offset_tEEE10hipError_tPvRmT1_PNSt15iterator_traitsISL_E10value_typeET2_T3_PNSM_ISR_E10value_typeET4_jRbjT5_SX_jjP12ihipStream_tbEUlT_E0_NS1_11comp_targetILNS1_3genE9ELNS1_11target_archE1100ELNS1_3gpuE3ELNS1_3repE0EEENS1_60segmented_radix_sort_warp_sort_medium_config_static_selectorELNS0_4arch9wavefront6targetE0EEEvSL_.uses_vcc, 0
	.set _ZN7rocprim17ROCPRIM_400000_NS6detail17trampoline_kernelINS0_14default_configENS1_36segmented_radix_sort_config_selectorI6__halflEEZNS1_25segmented_radix_sort_implIS3_Lb0EPKS5_PS5_PKlPlN2at6native12_GLOBAL__N_18offset_tEEE10hipError_tPvRmT1_PNSt15iterator_traitsISL_E10value_typeET2_T3_PNSM_ISR_E10value_typeET4_jRbjT5_SX_jjP12ihipStream_tbEUlT_E0_NS1_11comp_targetILNS1_3genE9ELNS1_11target_archE1100ELNS1_3gpuE3ELNS1_3repE0EEENS1_60segmented_radix_sort_warp_sort_medium_config_static_selectorELNS0_4arch9wavefront6targetE0EEEvSL_.uses_flat_scratch, 0
	.set _ZN7rocprim17ROCPRIM_400000_NS6detail17trampoline_kernelINS0_14default_configENS1_36segmented_radix_sort_config_selectorI6__halflEEZNS1_25segmented_radix_sort_implIS3_Lb0EPKS5_PS5_PKlPlN2at6native12_GLOBAL__N_18offset_tEEE10hipError_tPvRmT1_PNSt15iterator_traitsISL_E10value_typeET2_T3_PNSM_ISR_E10value_typeET4_jRbjT5_SX_jjP12ihipStream_tbEUlT_E0_NS1_11comp_targetILNS1_3genE9ELNS1_11target_archE1100ELNS1_3gpuE3ELNS1_3repE0EEENS1_60segmented_radix_sort_warp_sort_medium_config_static_selectorELNS0_4arch9wavefront6targetE0EEEvSL_.has_dyn_sized_stack, 0
	.set _ZN7rocprim17ROCPRIM_400000_NS6detail17trampoline_kernelINS0_14default_configENS1_36segmented_radix_sort_config_selectorI6__halflEEZNS1_25segmented_radix_sort_implIS3_Lb0EPKS5_PS5_PKlPlN2at6native12_GLOBAL__N_18offset_tEEE10hipError_tPvRmT1_PNSt15iterator_traitsISL_E10value_typeET2_T3_PNSM_ISR_E10value_typeET4_jRbjT5_SX_jjP12ihipStream_tbEUlT_E0_NS1_11comp_targetILNS1_3genE9ELNS1_11target_archE1100ELNS1_3gpuE3ELNS1_3repE0EEENS1_60segmented_radix_sort_warp_sort_medium_config_static_selectorELNS0_4arch9wavefront6targetE0EEEvSL_.has_recursion, 0
	.set _ZN7rocprim17ROCPRIM_400000_NS6detail17trampoline_kernelINS0_14default_configENS1_36segmented_radix_sort_config_selectorI6__halflEEZNS1_25segmented_radix_sort_implIS3_Lb0EPKS5_PS5_PKlPlN2at6native12_GLOBAL__N_18offset_tEEE10hipError_tPvRmT1_PNSt15iterator_traitsISL_E10value_typeET2_T3_PNSM_ISR_E10value_typeET4_jRbjT5_SX_jjP12ihipStream_tbEUlT_E0_NS1_11comp_targetILNS1_3genE9ELNS1_11target_archE1100ELNS1_3gpuE3ELNS1_3repE0EEENS1_60segmented_radix_sort_warp_sort_medium_config_static_selectorELNS0_4arch9wavefront6targetE0EEEvSL_.has_indirect_call, 0
	.section	.AMDGPU.csdata,"",@progbits
; Kernel info:
; codeLenInByte = 0
; TotalNumSgprs: 0
; NumVgprs: 0
; ScratchSize: 0
; MemoryBound: 0
; FloatMode: 240
; IeeeMode: 1
; LDSByteSize: 0 bytes/workgroup (compile time only)
; SGPRBlocks: 0
; VGPRBlocks: 0
; NumSGPRsForWavesPerEU: 1
; NumVGPRsForWavesPerEU: 1
; Occupancy: 16
; WaveLimiterHint : 0
; COMPUTE_PGM_RSRC2:SCRATCH_EN: 0
; COMPUTE_PGM_RSRC2:USER_SGPR: 2
; COMPUTE_PGM_RSRC2:TRAP_HANDLER: 0
; COMPUTE_PGM_RSRC2:TGID_X_EN: 1
; COMPUTE_PGM_RSRC2:TGID_Y_EN: 0
; COMPUTE_PGM_RSRC2:TGID_Z_EN: 0
; COMPUTE_PGM_RSRC2:TIDIG_COMP_CNT: 0
	.section	.text._ZN7rocprim17ROCPRIM_400000_NS6detail17trampoline_kernelINS0_14default_configENS1_36segmented_radix_sort_config_selectorI6__halflEEZNS1_25segmented_radix_sort_implIS3_Lb0EPKS5_PS5_PKlPlN2at6native12_GLOBAL__N_18offset_tEEE10hipError_tPvRmT1_PNSt15iterator_traitsISL_E10value_typeET2_T3_PNSM_ISR_E10value_typeET4_jRbjT5_SX_jjP12ihipStream_tbEUlT_E0_NS1_11comp_targetILNS1_3genE8ELNS1_11target_archE1030ELNS1_3gpuE2ELNS1_3repE0EEENS1_60segmented_radix_sort_warp_sort_medium_config_static_selectorELNS0_4arch9wavefront6targetE0EEEvSL_,"axG",@progbits,_ZN7rocprim17ROCPRIM_400000_NS6detail17trampoline_kernelINS0_14default_configENS1_36segmented_radix_sort_config_selectorI6__halflEEZNS1_25segmented_radix_sort_implIS3_Lb0EPKS5_PS5_PKlPlN2at6native12_GLOBAL__N_18offset_tEEE10hipError_tPvRmT1_PNSt15iterator_traitsISL_E10value_typeET2_T3_PNSM_ISR_E10value_typeET4_jRbjT5_SX_jjP12ihipStream_tbEUlT_E0_NS1_11comp_targetILNS1_3genE8ELNS1_11target_archE1030ELNS1_3gpuE2ELNS1_3repE0EEENS1_60segmented_radix_sort_warp_sort_medium_config_static_selectorELNS0_4arch9wavefront6targetE0EEEvSL_,comdat
	.globl	_ZN7rocprim17ROCPRIM_400000_NS6detail17trampoline_kernelINS0_14default_configENS1_36segmented_radix_sort_config_selectorI6__halflEEZNS1_25segmented_radix_sort_implIS3_Lb0EPKS5_PS5_PKlPlN2at6native12_GLOBAL__N_18offset_tEEE10hipError_tPvRmT1_PNSt15iterator_traitsISL_E10value_typeET2_T3_PNSM_ISR_E10value_typeET4_jRbjT5_SX_jjP12ihipStream_tbEUlT_E0_NS1_11comp_targetILNS1_3genE8ELNS1_11target_archE1030ELNS1_3gpuE2ELNS1_3repE0EEENS1_60segmented_radix_sort_warp_sort_medium_config_static_selectorELNS0_4arch9wavefront6targetE0EEEvSL_ ; -- Begin function _ZN7rocprim17ROCPRIM_400000_NS6detail17trampoline_kernelINS0_14default_configENS1_36segmented_radix_sort_config_selectorI6__halflEEZNS1_25segmented_radix_sort_implIS3_Lb0EPKS5_PS5_PKlPlN2at6native12_GLOBAL__N_18offset_tEEE10hipError_tPvRmT1_PNSt15iterator_traitsISL_E10value_typeET2_T3_PNSM_ISR_E10value_typeET4_jRbjT5_SX_jjP12ihipStream_tbEUlT_E0_NS1_11comp_targetILNS1_3genE8ELNS1_11target_archE1030ELNS1_3gpuE2ELNS1_3repE0EEENS1_60segmented_radix_sort_warp_sort_medium_config_static_selectorELNS0_4arch9wavefront6targetE0EEEvSL_
	.p2align	8
	.type	_ZN7rocprim17ROCPRIM_400000_NS6detail17trampoline_kernelINS0_14default_configENS1_36segmented_radix_sort_config_selectorI6__halflEEZNS1_25segmented_radix_sort_implIS3_Lb0EPKS5_PS5_PKlPlN2at6native12_GLOBAL__N_18offset_tEEE10hipError_tPvRmT1_PNSt15iterator_traitsISL_E10value_typeET2_T3_PNSM_ISR_E10value_typeET4_jRbjT5_SX_jjP12ihipStream_tbEUlT_E0_NS1_11comp_targetILNS1_3genE8ELNS1_11target_archE1030ELNS1_3gpuE2ELNS1_3repE0EEENS1_60segmented_radix_sort_warp_sort_medium_config_static_selectorELNS0_4arch9wavefront6targetE0EEEvSL_,@function
_ZN7rocprim17ROCPRIM_400000_NS6detail17trampoline_kernelINS0_14default_configENS1_36segmented_radix_sort_config_selectorI6__halflEEZNS1_25segmented_radix_sort_implIS3_Lb0EPKS5_PS5_PKlPlN2at6native12_GLOBAL__N_18offset_tEEE10hipError_tPvRmT1_PNSt15iterator_traitsISL_E10value_typeET2_T3_PNSM_ISR_E10value_typeET4_jRbjT5_SX_jjP12ihipStream_tbEUlT_E0_NS1_11comp_targetILNS1_3genE8ELNS1_11target_archE1030ELNS1_3gpuE2ELNS1_3repE0EEENS1_60segmented_radix_sort_warp_sort_medium_config_static_selectorELNS0_4arch9wavefront6targetE0EEEvSL_: ; @_ZN7rocprim17ROCPRIM_400000_NS6detail17trampoline_kernelINS0_14default_configENS1_36segmented_radix_sort_config_selectorI6__halflEEZNS1_25segmented_radix_sort_implIS3_Lb0EPKS5_PS5_PKlPlN2at6native12_GLOBAL__N_18offset_tEEE10hipError_tPvRmT1_PNSt15iterator_traitsISL_E10value_typeET2_T3_PNSM_ISR_E10value_typeET4_jRbjT5_SX_jjP12ihipStream_tbEUlT_E0_NS1_11comp_targetILNS1_3genE8ELNS1_11target_archE1030ELNS1_3gpuE2ELNS1_3repE0EEENS1_60segmented_radix_sort_warp_sort_medium_config_static_selectorELNS0_4arch9wavefront6targetE0EEEvSL_
; %bb.0:
	.section	.rodata,"a",@progbits
	.p2align	6, 0x0
	.amdhsa_kernel _ZN7rocprim17ROCPRIM_400000_NS6detail17trampoline_kernelINS0_14default_configENS1_36segmented_radix_sort_config_selectorI6__halflEEZNS1_25segmented_radix_sort_implIS3_Lb0EPKS5_PS5_PKlPlN2at6native12_GLOBAL__N_18offset_tEEE10hipError_tPvRmT1_PNSt15iterator_traitsISL_E10value_typeET2_T3_PNSM_ISR_E10value_typeET4_jRbjT5_SX_jjP12ihipStream_tbEUlT_E0_NS1_11comp_targetILNS1_3genE8ELNS1_11target_archE1030ELNS1_3gpuE2ELNS1_3repE0EEENS1_60segmented_radix_sort_warp_sort_medium_config_static_selectorELNS0_4arch9wavefront6targetE0EEEvSL_
		.amdhsa_group_segment_fixed_size 0
		.amdhsa_private_segment_fixed_size 0
		.amdhsa_kernarg_size 88
		.amdhsa_user_sgpr_count 2
		.amdhsa_user_sgpr_dispatch_ptr 0
		.amdhsa_user_sgpr_queue_ptr 0
		.amdhsa_user_sgpr_kernarg_segment_ptr 1
		.amdhsa_user_sgpr_dispatch_id 0
		.amdhsa_user_sgpr_private_segment_size 0
		.amdhsa_wavefront_size32 1
		.amdhsa_uses_dynamic_stack 0
		.amdhsa_enable_private_segment 0
		.amdhsa_system_sgpr_workgroup_id_x 1
		.amdhsa_system_sgpr_workgroup_id_y 0
		.amdhsa_system_sgpr_workgroup_id_z 0
		.amdhsa_system_sgpr_workgroup_info 0
		.amdhsa_system_vgpr_workitem_id 0
		.amdhsa_next_free_vgpr 1
		.amdhsa_next_free_sgpr 1
		.amdhsa_reserve_vcc 0
		.amdhsa_float_round_mode_32 0
		.amdhsa_float_round_mode_16_64 0
		.amdhsa_float_denorm_mode_32 3
		.amdhsa_float_denorm_mode_16_64 3
		.amdhsa_fp16_overflow 0
		.amdhsa_workgroup_processor_mode 1
		.amdhsa_memory_ordered 1
		.amdhsa_forward_progress 1
		.amdhsa_inst_pref_size 0
		.amdhsa_round_robin_scheduling 0
		.amdhsa_exception_fp_ieee_invalid_op 0
		.amdhsa_exception_fp_denorm_src 0
		.amdhsa_exception_fp_ieee_div_zero 0
		.amdhsa_exception_fp_ieee_overflow 0
		.amdhsa_exception_fp_ieee_underflow 0
		.amdhsa_exception_fp_ieee_inexact 0
		.amdhsa_exception_int_div_zero 0
	.end_amdhsa_kernel
	.section	.text._ZN7rocprim17ROCPRIM_400000_NS6detail17trampoline_kernelINS0_14default_configENS1_36segmented_radix_sort_config_selectorI6__halflEEZNS1_25segmented_radix_sort_implIS3_Lb0EPKS5_PS5_PKlPlN2at6native12_GLOBAL__N_18offset_tEEE10hipError_tPvRmT1_PNSt15iterator_traitsISL_E10value_typeET2_T3_PNSM_ISR_E10value_typeET4_jRbjT5_SX_jjP12ihipStream_tbEUlT_E0_NS1_11comp_targetILNS1_3genE8ELNS1_11target_archE1030ELNS1_3gpuE2ELNS1_3repE0EEENS1_60segmented_radix_sort_warp_sort_medium_config_static_selectorELNS0_4arch9wavefront6targetE0EEEvSL_,"axG",@progbits,_ZN7rocprim17ROCPRIM_400000_NS6detail17trampoline_kernelINS0_14default_configENS1_36segmented_radix_sort_config_selectorI6__halflEEZNS1_25segmented_radix_sort_implIS3_Lb0EPKS5_PS5_PKlPlN2at6native12_GLOBAL__N_18offset_tEEE10hipError_tPvRmT1_PNSt15iterator_traitsISL_E10value_typeET2_T3_PNSM_ISR_E10value_typeET4_jRbjT5_SX_jjP12ihipStream_tbEUlT_E0_NS1_11comp_targetILNS1_3genE8ELNS1_11target_archE1030ELNS1_3gpuE2ELNS1_3repE0EEENS1_60segmented_radix_sort_warp_sort_medium_config_static_selectorELNS0_4arch9wavefront6targetE0EEEvSL_,comdat
.Lfunc_end1861:
	.size	_ZN7rocprim17ROCPRIM_400000_NS6detail17trampoline_kernelINS0_14default_configENS1_36segmented_radix_sort_config_selectorI6__halflEEZNS1_25segmented_radix_sort_implIS3_Lb0EPKS5_PS5_PKlPlN2at6native12_GLOBAL__N_18offset_tEEE10hipError_tPvRmT1_PNSt15iterator_traitsISL_E10value_typeET2_T3_PNSM_ISR_E10value_typeET4_jRbjT5_SX_jjP12ihipStream_tbEUlT_E0_NS1_11comp_targetILNS1_3genE8ELNS1_11target_archE1030ELNS1_3gpuE2ELNS1_3repE0EEENS1_60segmented_radix_sort_warp_sort_medium_config_static_selectorELNS0_4arch9wavefront6targetE0EEEvSL_, .Lfunc_end1861-_ZN7rocprim17ROCPRIM_400000_NS6detail17trampoline_kernelINS0_14default_configENS1_36segmented_radix_sort_config_selectorI6__halflEEZNS1_25segmented_radix_sort_implIS3_Lb0EPKS5_PS5_PKlPlN2at6native12_GLOBAL__N_18offset_tEEE10hipError_tPvRmT1_PNSt15iterator_traitsISL_E10value_typeET2_T3_PNSM_ISR_E10value_typeET4_jRbjT5_SX_jjP12ihipStream_tbEUlT_E0_NS1_11comp_targetILNS1_3genE8ELNS1_11target_archE1030ELNS1_3gpuE2ELNS1_3repE0EEENS1_60segmented_radix_sort_warp_sort_medium_config_static_selectorELNS0_4arch9wavefront6targetE0EEEvSL_
                                        ; -- End function
	.set _ZN7rocprim17ROCPRIM_400000_NS6detail17trampoline_kernelINS0_14default_configENS1_36segmented_radix_sort_config_selectorI6__halflEEZNS1_25segmented_radix_sort_implIS3_Lb0EPKS5_PS5_PKlPlN2at6native12_GLOBAL__N_18offset_tEEE10hipError_tPvRmT1_PNSt15iterator_traitsISL_E10value_typeET2_T3_PNSM_ISR_E10value_typeET4_jRbjT5_SX_jjP12ihipStream_tbEUlT_E0_NS1_11comp_targetILNS1_3genE8ELNS1_11target_archE1030ELNS1_3gpuE2ELNS1_3repE0EEENS1_60segmented_radix_sort_warp_sort_medium_config_static_selectorELNS0_4arch9wavefront6targetE0EEEvSL_.num_vgpr, 0
	.set _ZN7rocprim17ROCPRIM_400000_NS6detail17trampoline_kernelINS0_14default_configENS1_36segmented_radix_sort_config_selectorI6__halflEEZNS1_25segmented_radix_sort_implIS3_Lb0EPKS5_PS5_PKlPlN2at6native12_GLOBAL__N_18offset_tEEE10hipError_tPvRmT1_PNSt15iterator_traitsISL_E10value_typeET2_T3_PNSM_ISR_E10value_typeET4_jRbjT5_SX_jjP12ihipStream_tbEUlT_E0_NS1_11comp_targetILNS1_3genE8ELNS1_11target_archE1030ELNS1_3gpuE2ELNS1_3repE0EEENS1_60segmented_radix_sort_warp_sort_medium_config_static_selectorELNS0_4arch9wavefront6targetE0EEEvSL_.num_agpr, 0
	.set _ZN7rocprim17ROCPRIM_400000_NS6detail17trampoline_kernelINS0_14default_configENS1_36segmented_radix_sort_config_selectorI6__halflEEZNS1_25segmented_radix_sort_implIS3_Lb0EPKS5_PS5_PKlPlN2at6native12_GLOBAL__N_18offset_tEEE10hipError_tPvRmT1_PNSt15iterator_traitsISL_E10value_typeET2_T3_PNSM_ISR_E10value_typeET4_jRbjT5_SX_jjP12ihipStream_tbEUlT_E0_NS1_11comp_targetILNS1_3genE8ELNS1_11target_archE1030ELNS1_3gpuE2ELNS1_3repE0EEENS1_60segmented_radix_sort_warp_sort_medium_config_static_selectorELNS0_4arch9wavefront6targetE0EEEvSL_.numbered_sgpr, 0
	.set _ZN7rocprim17ROCPRIM_400000_NS6detail17trampoline_kernelINS0_14default_configENS1_36segmented_radix_sort_config_selectorI6__halflEEZNS1_25segmented_radix_sort_implIS3_Lb0EPKS5_PS5_PKlPlN2at6native12_GLOBAL__N_18offset_tEEE10hipError_tPvRmT1_PNSt15iterator_traitsISL_E10value_typeET2_T3_PNSM_ISR_E10value_typeET4_jRbjT5_SX_jjP12ihipStream_tbEUlT_E0_NS1_11comp_targetILNS1_3genE8ELNS1_11target_archE1030ELNS1_3gpuE2ELNS1_3repE0EEENS1_60segmented_radix_sort_warp_sort_medium_config_static_selectorELNS0_4arch9wavefront6targetE0EEEvSL_.num_named_barrier, 0
	.set _ZN7rocprim17ROCPRIM_400000_NS6detail17trampoline_kernelINS0_14default_configENS1_36segmented_radix_sort_config_selectorI6__halflEEZNS1_25segmented_radix_sort_implIS3_Lb0EPKS5_PS5_PKlPlN2at6native12_GLOBAL__N_18offset_tEEE10hipError_tPvRmT1_PNSt15iterator_traitsISL_E10value_typeET2_T3_PNSM_ISR_E10value_typeET4_jRbjT5_SX_jjP12ihipStream_tbEUlT_E0_NS1_11comp_targetILNS1_3genE8ELNS1_11target_archE1030ELNS1_3gpuE2ELNS1_3repE0EEENS1_60segmented_radix_sort_warp_sort_medium_config_static_selectorELNS0_4arch9wavefront6targetE0EEEvSL_.private_seg_size, 0
	.set _ZN7rocprim17ROCPRIM_400000_NS6detail17trampoline_kernelINS0_14default_configENS1_36segmented_radix_sort_config_selectorI6__halflEEZNS1_25segmented_radix_sort_implIS3_Lb0EPKS5_PS5_PKlPlN2at6native12_GLOBAL__N_18offset_tEEE10hipError_tPvRmT1_PNSt15iterator_traitsISL_E10value_typeET2_T3_PNSM_ISR_E10value_typeET4_jRbjT5_SX_jjP12ihipStream_tbEUlT_E0_NS1_11comp_targetILNS1_3genE8ELNS1_11target_archE1030ELNS1_3gpuE2ELNS1_3repE0EEENS1_60segmented_radix_sort_warp_sort_medium_config_static_selectorELNS0_4arch9wavefront6targetE0EEEvSL_.uses_vcc, 0
	.set _ZN7rocprim17ROCPRIM_400000_NS6detail17trampoline_kernelINS0_14default_configENS1_36segmented_radix_sort_config_selectorI6__halflEEZNS1_25segmented_radix_sort_implIS3_Lb0EPKS5_PS5_PKlPlN2at6native12_GLOBAL__N_18offset_tEEE10hipError_tPvRmT1_PNSt15iterator_traitsISL_E10value_typeET2_T3_PNSM_ISR_E10value_typeET4_jRbjT5_SX_jjP12ihipStream_tbEUlT_E0_NS1_11comp_targetILNS1_3genE8ELNS1_11target_archE1030ELNS1_3gpuE2ELNS1_3repE0EEENS1_60segmented_radix_sort_warp_sort_medium_config_static_selectorELNS0_4arch9wavefront6targetE0EEEvSL_.uses_flat_scratch, 0
	.set _ZN7rocprim17ROCPRIM_400000_NS6detail17trampoline_kernelINS0_14default_configENS1_36segmented_radix_sort_config_selectorI6__halflEEZNS1_25segmented_radix_sort_implIS3_Lb0EPKS5_PS5_PKlPlN2at6native12_GLOBAL__N_18offset_tEEE10hipError_tPvRmT1_PNSt15iterator_traitsISL_E10value_typeET2_T3_PNSM_ISR_E10value_typeET4_jRbjT5_SX_jjP12ihipStream_tbEUlT_E0_NS1_11comp_targetILNS1_3genE8ELNS1_11target_archE1030ELNS1_3gpuE2ELNS1_3repE0EEENS1_60segmented_radix_sort_warp_sort_medium_config_static_selectorELNS0_4arch9wavefront6targetE0EEEvSL_.has_dyn_sized_stack, 0
	.set _ZN7rocprim17ROCPRIM_400000_NS6detail17trampoline_kernelINS0_14default_configENS1_36segmented_radix_sort_config_selectorI6__halflEEZNS1_25segmented_radix_sort_implIS3_Lb0EPKS5_PS5_PKlPlN2at6native12_GLOBAL__N_18offset_tEEE10hipError_tPvRmT1_PNSt15iterator_traitsISL_E10value_typeET2_T3_PNSM_ISR_E10value_typeET4_jRbjT5_SX_jjP12ihipStream_tbEUlT_E0_NS1_11comp_targetILNS1_3genE8ELNS1_11target_archE1030ELNS1_3gpuE2ELNS1_3repE0EEENS1_60segmented_radix_sort_warp_sort_medium_config_static_selectorELNS0_4arch9wavefront6targetE0EEEvSL_.has_recursion, 0
	.set _ZN7rocprim17ROCPRIM_400000_NS6detail17trampoline_kernelINS0_14default_configENS1_36segmented_radix_sort_config_selectorI6__halflEEZNS1_25segmented_radix_sort_implIS3_Lb0EPKS5_PS5_PKlPlN2at6native12_GLOBAL__N_18offset_tEEE10hipError_tPvRmT1_PNSt15iterator_traitsISL_E10value_typeET2_T3_PNSM_ISR_E10value_typeET4_jRbjT5_SX_jjP12ihipStream_tbEUlT_E0_NS1_11comp_targetILNS1_3genE8ELNS1_11target_archE1030ELNS1_3gpuE2ELNS1_3repE0EEENS1_60segmented_radix_sort_warp_sort_medium_config_static_selectorELNS0_4arch9wavefront6targetE0EEEvSL_.has_indirect_call, 0
	.section	.AMDGPU.csdata,"",@progbits
; Kernel info:
; codeLenInByte = 0
; TotalNumSgprs: 0
; NumVgprs: 0
; ScratchSize: 0
; MemoryBound: 0
; FloatMode: 240
; IeeeMode: 1
; LDSByteSize: 0 bytes/workgroup (compile time only)
; SGPRBlocks: 0
; VGPRBlocks: 0
; NumSGPRsForWavesPerEU: 1
; NumVGPRsForWavesPerEU: 1
; Occupancy: 16
; WaveLimiterHint : 0
; COMPUTE_PGM_RSRC2:SCRATCH_EN: 0
; COMPUTE_PGM_RSRC2:USER_SGPR: 2
; COMPUTE_PGM_RSRC2:TRAP_HANDLER: 0
; COMPUTE_PGM_RSRC2:TGID_X_EN: 1
; COMPUTE_PGM_RSRC2:TGID_Y_EN: 0
; COMPUTE_PGM_RSRC2:TGID_Z_EN: 0
; COMPUTE_PGM_RSRC2:TIDIG_COMP_CNT: 0
	.section	.text._ZN7rocprim17ROCPRIM_400000_NS6detail17trampoline_kernelINS0_14default_configENS1_36segmented_radix_sort_config_selectorI6__halflEEZNS1_25segmented_radix_sort_implIS3_Lb0EPKS5_PS5_PKlPlN2at6native12_GLOBAL__N_18offset_tEEE10hipError_tPvRmT1_PNSt15iterator_traitsISL_E10value_typeET2_T3_PNSM_ISR_E10value_typeET4_jRbjT5_SX_jjP12ihipStream_tbEUlT_E1_NS1_11comp_targetILNS1_3genE0ELNS1_11target_archE4294967295ELNS1_3gpuE0ELNS1_3repE0EEENS1_59segmented_radix_sort_warp_sort_small_config_static_selectorELNS0_4arch9wavefront6targetE0EEEvSL_,"axG",@progbits,_ZN7rocprim17ROCPRIM_400000_NS6detail17trampoline_kernelINS0_14default_configENS1_36segmented_radix_sort_config_selectorI6__halflEEZNS1_25segmented_radix_sort_implIS3_Lb0EPKS5_PS5_PKlPlN2at6native12_GLOBAL__N_18offset_tEEE10hipError_tPvRmT1_PNSt15iterator_traitsISL_E10value_typeET2_T3_PNSM_ISR_E10value_typeET4_jRbjT5_SX_jjP12ihipStream_tbEUlT_E1_NS1_11comp_targetILNS1_3genE0ELNS1_11target_archE4294967295ELNS1_3gpuE0ELNS1_3repE0EEENS1_59segmented_radix_sort_warp_sort_small_config_static_selectorELNS0_4arch9wavefront6targetE0EEEvSL_,comdat
	.globl	_ZN7rocprim17ROCPRIM_400000_NS6detail17trampoline_kernelINS0_14default_configENS1_36segmented_radix_sort_config_selectorI6__halflEEZNS1_25segmented_radix_sort_implIS3_Lb0EPKS5_PS5_PKlPlN2at6native12_GLOBAL__N_18offset_tEEE10hipError_tPvRmT1_PNSt15iterator_traitsISL_E10value_typeET2_T3_PNSM_ISR_E10value_typeET4_jRbjT5_SX_jjP12ihipStream_tbEUlT_E1_NS1_11comp_targetILNS1_3genE0ELNS1_11target_archE4294967295ELNS1_3gpuE0ELNS1_3repE0EEENS1_59segmented_radix_sort_warp_sort_small_config_static_selectorELNS0_4arch9wavefront6targetE0EEEvSL_ ; -- Begin function _ZN7rocprim17ROCPRIM_400000_NS6detail17trampoline_kernelINS0_14default_configENS1_36segmented_radix_sort_config_selectorI6__halflEEZNS1_25segmented_radix_sort_implIS3_Lb0EPKS5_PS5_PKlPlN2at6native12_GLOBAL__N_18offset_tEEE10hipError_tPvRmT1_PNSt15iterator_traitsISL_E10value_typeET2_T3_PNSM_ISR_E10value_typeET4_jRbjT5_SX_jjP12ihipStream_tbEUlT_E1_NS1_11comp_targetILNS1_3genE0ELNS1_11target_archE4294967295ELNS1_3gpuE0ELNS1_3repE0EEENS1_59segmented_radix_sort_warp_sort_small_config_static_selectorELNS0_4arch9wavefront6targetE0EEEvSL_
	.p2align	8
	.type	_ZN7rocprim17ROCPRIM_400000_NS6detail17trampoline_kernelINS0_14default_configENS1_36segmented_radix_sort_config_selectorI6__halflEEZNS1_25segmented_radix_sort_implIS3_Lb0EPKS5_PS5_PKlPlN2at6native12_GLOBAL__N_18offset_tEEE10hipError_tPvRmT1_PNSt15iterator_traitsISL_E10value_typeET2_T3_PNSM_ISR_E10value_typeET4_jRbjT5_SX_jjP12ihipStream_tbEUlT_E1_NS1_11comp_targetILNS1_3genE0ELNS1_11target_archE4294967295ELNS1_3gpuE0ELNS1_3repE0EEENS1_59segmented_radix_sort_warp_sort_small_config_static_selectorELNS0_4arch9wavefront6targetE0EEEvSL_,@function
_ZN7rocprim17ROCPRIM_400000_NS6detail17trampoline_kernelINS0_14default_configENS1_36segmented_radix_sort_config_selectorI6__halflEEZNS1_25segmented_radix_sort_implIS3_Lb0EPKS5_PS5_PKlPlN2at6native12_GLOBAL__N_18offset_tEEE10hipError_tPvRmT1_PNSt15iterator_traitsISL_E10value_typeET2_T3_PNSM_ISR_E10value_typeET4_jRbjT5_SX_jjP12ihipStream_tbEUlT_E1_NS1_11comp_targetILNS1_3genE0ELNS1_11target_archE4294967295ELNS1_3gpuE0ELNS1_3repE0EEENS1_59segmented_radix_sort_warp_sort_small_config_static_selectorELNS0_4arch9wavefront6targetE0EEEvSL_: ; @_ZN7rocprim17ROCPRIM_400000_NS6detail17trampoline_kernelINS0_14default_configENS1_36segmented_radix_sort_config_selectorI6__halflEEZNS1_25segmented_radix_sort_implIS3_Lb0EPKS5_PS5_PKlPlN2at6native12_GLOBAL__N_18offset_tEEE10hipError_tPvRmT1_PNSt15iterator_traitsISL_E10value_typeET2_T3_PNSM_ISR_E10value_typeET4_jRbjT5_SX_jjP12ihipStream_tbEUlT_E1_NS1_11comp_targetILNS1_3genE0ELNS1_11target_archE4294967295ELNS1_3gpuE0ELNS1_3repE0EEENS1_59segmented_radix_sort_warp_sort_small_config_static_selectorELNS0_4arch9wavefront6targetE0EEEvSL_
; %bb.0:
	.section	.rodata,"a",@progbits
	.p2align	6, 0x0
	.amdhsa_kernel _ZN7rocprim17ROCPRIM_400000_NS6detail17trampoline_kernelINS0_14default_configENS1_36segmented_radix_sort_config_selectorI6__halflEEZNS1_25segmented_radix_sort_implIS3_Lb0EPKS5_PS5_PKlPlN2at6native12_GLOBAL__N_18offset_tEEE10hipError_tPvRmT1_PNSt15iterator_traitsISL_E10value_typeET2_T3_PNSM_ISR_E10value_typeET4_jRbjT5_SX_jjP12ihipStream_tbEUlT_E1_NS1_11comp_targetILNS1_3genE0ELNS1_11target_archE4294967295ELNS1_3gpuE0ELNS1_3repE0EEENS1_59segmented_radix_sort_warp_sort_small_config_static_selectorELNS0_4arch9wavefront6targetE0EEEvSL_
		.amdhsa_group_segment_fixed_size 0
		.amdhsa_private_segment_fixed_size 0
		.amdhsa_kernarg_size 88
		.amdhsa_user_sgpr_count 2
		.amdhsa_user_sgpr_dispatch_ptr 0
		.amdhsa_user_sgpr_queue_ptr 0
		.amdhsa_user_sgpr_kernarg_segment_ptr 1
		.amdhsa_user_sgpr_dispatch_id 0
		.amdhsa_user_sgpr_private_segment_size 0
		.amdhsa_wavefront_size32 1
		.amdhsa_uses_dynamic_stack 0
		.amdhsa_enable_private_segment 0
		.amdhsa_system_sgpr_workgroup_id_x 1
		.amdhsa_system_sgpr_workgroup_id_y 0
		.amdhsa_system_sgpr_workgroup_id_z 0
		.amdhsa_system_sgpr_workgroup_info 0
		.amdhsa_system_vgpr_workitem_id 0
		.amdhsa_next_free_vgpr 1
		.amdhsa_next_free_sgpr 1
		.amdhsa_reserve_vcc 0
		.amdhsa_float_round_mode_32 0
		.amdhsa_float_round_mode_16_64 0
		.amdhsa_float_denorm_mode_32 3
		.amdhsa_float_denorm_mode_16_64 3
		.amdhsa_fp16_overflow 0
		.amdhsa_workgroup_processor_mode 1
		.amdhsa_memory_ordered 1
		.amdhsa_forward_progress 1
		.amdhsa_inst_pref_size 0
		.amdhsa_round_robin_scheduling 0
		.amdhsa_exception_fp_ieee_invalid_op 0
		.amdhsa_exception_fp_denorm_src 0
		.amdhsa_exception_fp_ieee_div_zero 0
		.amdhsa_exception_fp_ieee_overflow 0
		.amdhsa_exception_fp_ieee_underflow 0
		.amdhsa_exception_fp_ieee_inexact 0
		.amdhsa_exception_int_div_zero 0
	.end_amdhsa_kernel
	.section	.text._ZN7rocprim17ROCPRIM_400000_NS6detail17trampoline_kernelINS0_14default_configENS1_36segmented_radix_sort_config_selectorI6__halflEEZNS1_25segmented_radix_sort_implIS3_Lb0EPKS5_PS5_PKlPlN2at6native12_GLOBAL__N_18offset_tEEE10hipError_tPvRmT1_PNSt15iterator_traitsISL_E10value_typeET2_T3_PNSM_ISR_E10value_typeET4_jRbjT5_SX_jjP12ihipStream_tbEUlT_E1_NS1_11comp_targetILNS1_3genE0ELNS1_11target_archE4294967295ELNS1_3gpuE0ELNS1_3repE0EEENS1_59segmented_radix_sort_warp_sort_small_config_static_selectorELNS0_4arch9wavefront6targetE0EEEvSL_,"axG",@progbits,_ZN7rocprim17ROCPRIM_400000_NS6detail17trampoline_kernelINS0_14default_configENS1_36segmented_radix_sort_config_selectorI6__halflEEZNS1_25segmented_radix_sort_implIS3_Lb0EPKS5_PS5_PKlPlN2at6native12_GLOBAL__N_18offset_tEEE10hipError_tPvRmT1_PNSt15iterator_traitsISL_E10value_typeET2_T3_PNSM_ISR_E10value_typeET4_jRbjT5_SX_jjP12ihipStream_tbEUlT_E1_NS1_11comp_targetILNS1_3genE0ELNS1_11target_archE4294967295ELNS1_3gpuE0ELNS1_3repE0EEENS1_59segmented_radix_sort_warp_sort_small_config_static_selectorELNS0_4arch9wavefront6targetE0EEEvSL_,comdat
.Lfunc_end1862:
	.size	_ZN7rocprim17ROCPRIM_400000_NS6detail17trampoline_kernelINS0_14default_configENS1_36segmented_radix_sort_config_selectorI6__halflEEZNS1_25segmented_radix_sort_implIS3_Lb0EPKS5_PS5_PKlPlN2at6native12_GLOBAL__N_18offset_tEEE10hipError_tPvRmT1_PNSt15iterator_traitsISL_E10value_typeET2_T3_PNSM_ISR_E10value_typeET4_jRbjT5_SX_jjP12ihipStream_tbEUlT_E1_NS1_11comp_targetILNS1_3genE0ELNS1_11target_archE4294967295ELNS1_3gpuE0ELNS1_3repE0EEENS1_59segmented_radix_sort_warp_sort_small_config_static_selectorELNS0_4arch9wavefront6targetE0EEEvSL_, .Lfunc_end1862-_ZN7rocprim17ROCPRIM_400000_NS6detail17trampoline_kernelINS0_14default_configENS1_36segmented_radix_sort_config_selectorI6__halflEEZNS1_25segmented_radix_sort_implIS3_Lb0EPKS5_PS5_PKlPlN2at6native12_GLOBAL__N_18offset_tEEE10hipError_tPvRmT1_PNSt15iterator_traitsISL_E10value_typeET2_T3_PNSM_ISR_E10value_typeET4_jRbjT5_SX_jjP12ihipStream_tbEUlT_E1_NS1_11comp_targetILNS1_3genE0ELNS1_11target_archE4294967295ELNS1_3gpuE0ELNS1_3repE0EEENS1_59segmented_radix_sort_warp_sort_small_config_static_selectorELNS0_4arch9wavefront6targetE0EEEvSL_
                                        ; -- End function
	.set _ZN7rocprim17ROCPRIM_400000_NS6detail17trampoline_kernelINS0_14default_configENS1_36segmented_radix_sort_config_selectorI6__halflEEZNS1_25segmented_radix_sort_implIS3_Lb0EPKS5_PS5_PKlPlN2at6native12_GLOBAL__N_18offset_tEEE10hipError_tPvRmT1_PNSt15iterator_traitsISL_E10value_typeET2_T3_PNSM_ISR_E10value_typeET4_jRbjT5_SX_jjP12ihipStream_tbEUlT_E1_NS1_11comp_targetILNS1_3genE0ELNS1_11target_archE4294967295ELNS1_3gpuE0ELNS1_3repE0EEENS1_59segmented_radix_sort_warp_sort_small_config_static_selectorELNS0_4arch9wavefront6targetE0EEEvSL_.num_vgpr, 0
	.set _ZN7rocprim17ROCPRIM_400000_NS6detail17trampoline_kernelINS0_14default_configENS1_36segmented_radix_sort_config_selectorI6__halflEEZNS1_25segmented_radix_sort_implIS3_Lb0EPKS5_PS5_PKlPlN2at6native12_GLOBAL__N_18offset_tEEE10hipError_tPvRmT1_PNSt15iterator_traitsISL_E10value_typeET2_T3_PNSM_ISR_E10value_typeET4_jRbjT5_SX_jjP12ihipStream_tbEUlT_E1_NS1_11comp_targetILNS1_3genE0ELNS1_11target_archE4294967295ELNS1_3gpuE0ELNS1_3repE0EEENS1_59segmented_radix_sort_warp_sort_small_config_static_selectorELNS0_4arch9wavefront6targetE0EEEvSL_.num_agpr, 0
	.set _ZN7rocprim17ROCPRIM_400000_NS6detail17trampoline_kernelINS0_14default_configENS1_36segmented_radix_sort_config_selectorI6__halflEEZNS1_25segmented_radix_sort_implIS3_Lb0EPKS5_PS5_PKlPlN2at6native12_GLOBAL__N_18offset_tEEE10hipError_tPvRmT1_PNSt15iterator_traitsISL_E10value_typeET2_T3_PNSM_ISR_E10value_typeET4_jRbjT5_SX_jjP12ihipStream_tbEUlT_E1_NS1_11comp_targetILNS1_3genE0ELNS1_11target_archE4294967295ELNS1_3gpuE0ELNS1_3repE0EEENS1_59segmented_radix_sort_warp_sort_small_config_static_selectorELNS0_4arch9wavefront6targetE0EEEvSL_.numbered_sgpr, 0
	.set _ZN7rocprim17ROCPRIM_400000_NS6detail17trampoline_kernelINS0_14default_configENS1_36segmented_radix_sort_config_selectorI6__halflEEZNS1_25segmented_radix_sort_implIS3_Lb0EPKS5_PS5_PKlPlN2at6native12_GLOBAL__N_18offset_tEEE10hipError_tPvRmT1_PNSt15iterator_traitsISL_E10value_typeET2_T3_PNSM_ISR_E10value_typeET4_jRbjT5_SX_jjP12ihipStream_tbEUlT_E1_NS1_11comp_targetILNS1_3genE0ELNS1_11target_archE4294967295ELNS1_3gpuE0ELNS1_3repE0EEENS1_59segmented_radix_sort_warp_sort_small_config_static_selectorELNS0_4arch9wavefront6targetE0EEEvSL_.num_named_barrier, 0
	.set _ZN7rocprim17ROCPRIM_400000_NS6detail17trampoline_kernelINS0_14default_configENS1_36segmented_radix_sort_config_selectorI6__halflEEZNS1_25segmented_radix_sort_implIS3_Lb0EPKS5_PS5_PKlPlN2at6native12_GLOBAL__N_18offset_tEEE10hipError_tPvRmT1_PNSt15iterator_traitsISL_E10value_typeET2_T3_PNSM_ISR_E10value_typeET4_jRbjT5_SX_jjP12ihipStream_tbEUlT_E1_NS1_11comp_targetILNS1_3genE0ELNS1_11target_archE4294967295ELNS1_3gpuE0ELNS1_3repE0EEENS1_59segmented_radix_sort_warp_sort_small_config_static_selectorELNS0_4arch9wavefront6targetE0EEEvSL_.private_seg_size, 0
	.set _ZN7rocprim17ROCPRIM_400000_NS6detail17trampoline_kernelINS0_14default_configENS1_36segmented_radix_sort_config_selectorI6__halflEEZNS1_25segmented_radix_sort_implIS3_Lb0EPKS5_PS5_PKlPlN2at6native12_GLOBAL__N_18offset_tEEE10hipError_tPvRmT1_PNSt15iterator_traitsISL_E10value_typeET2_T3_PNSM_ISR_E10value_typeET4_jRbjT5_SX_jjP12ihipStream_tbEUlT_E1_NS1_11comp_targetILNS1_3genE0ELNS1_11target_archE4294967295ELNS1_3gpuE0ELNS1_3repE0EEENS1_59segmented_radix_sort_warp_sort_small_config_static_selectorELNS0_4arch9wavefront6targetE0EEEvSL_.uses_vcc, 0
	.set _ZN7rocprim17ROCPRIM_400000_NS6detail17trampoline_kernelINS0_14default_configENS1_36segmented_radix_sort_config_selectorI6__halflEEZNS1_25segmented_radix_sort_implIS3_Lb0EPKS5_PS5_PKlPlN2at6native12_GLOBAL__N_18offset_tEEE10hipError_tPvRmT1_PNSt15iterator_traitsISL_E10value_typeET2_T3_PNSM_ISR_E10value_typeET4_jRbjT5_SX_jjP12ihipStream_tbEUlT_E1_NS1_11comp_targetILNS1_3genE0ELNS1_11target_archE4294967295ELNS1_3gpuE0ELNS1_3repE0EEENS1_59segmented_radix_sort_warp_sort_small_config_static_selectorELNS0_4arch9wavefront6targetE0EEEvSL_.uses_flat_scratch, 0
	.set _ZN7rocprim17ROCPRIM_400000_NS6detail17trampoline_kernelINS0_14default_configENS1_36segmented_radix_sort_config_selectorI6__halflEEZNS1_25segmented_radix_sort_implIS3_Lb0EPKS5_PS5_PKlPlN2at6native12_GLOBAL__N_18offset_tEEE10hipError_tPvRmT1_PNSt15iterator_traitsISL_E10value_typeET2_T3_PNSM_ISR_E10value_typeET4_jRbjT5_SX_jjP12ihipStream_tbEUlT_E1_NS1_11comp_targetILNS1_3genE0ELNS1_11target_archE4294967295ELNS1_3gpuE0ELNS1_3repE0EEENS1_59segmented_radix_sort_warp_sort_small_config_static_selectorELNS0_4arch9wavefront6targetE0EEEvSL_.has_dyn_sized_stack, 0
	.set _ZN7rocprim17ROCPRIM_400000_NS6detail17trampoline_kernelINS0_14default_configENS1_36segmented_radix_sort_config_selectorI6__halflEEZNS1_25segmented_radix_sort_implIS3_Lb0EPKS5_PS5_PKlPlN2at6native12_GLOBAL__N_18offset_tEEE10hipError_tPvRmT1_PNSt15iterator_traitsISL_E10value_typeET2_T3_PNSM_ISR_E10value_typeET4_jRbjT5_SX_jjP12ihipStream_tbEUlT_E1_NS1_11comp_targetILNS1_3genE0ELNS1_11target_archE4294967295ELNS1_3gpuE0ELNS1_3repE0EEENS1_59segmented_radix_sort_warp_sort_small_config_static_selectorELNS0_4arch9wavefront6targetE0EEEvSL_.has_recursion, 0
	.set _ZN7rocprim17ROCPRIM_400000_NS6detail17trampoline_kernelINS0_14default_configENS1_36segmented_radix_sort_config_selectorI6__halflEEZNS1_25segmented_radix_sort_implIS3_Lb0EPKS5_PS5_PKlPlN2at6native12_GLOBAL__N_18offset_tEEE10hipError_tPvRmT1_PNSt15iterator_traitsISL_E10value_typeET2_T3_PNSM_ISR_E10value_typeET4_jRbjT5_SX_jjP12ihipStream_tbEUlT_E1_NS1_11comp_targetILNS1_3genE0ELNS1_11target_archE4294967295ELNS1_3gpuE0ELNS1_3repE0EEENS1_59segmented_radix_sort_warp_sort_small_config_static_selectorELNS0_4arch9wavefront6targetE0EEEvSL_.has_indirect_call, 0
	.section	.AMDGPU.csdata,"",@progbits
; Kernel info:
; codeLenInByte = 0
; TotalNumSgprs: 0
; NumVgprs: 0
; ScratchSize: 0
; MemoryBound: 0
; FloatMode: 240
; IeeeMode: 1
; LDSByteSize: 0 bytes/workgroup (compile time only)
; SGPRBlocks: 0
; VGPRBlocks: 0
; NumSGPRsForWavesPerEU: 1
; NumVGPRsForWavesPerEU: 1
; Occupancy: 16
; WaveLimiterHint : 0
; COMPUTE_PGM_RSRC2:SCRATCH_EN: 0
; COMPUTE_PGM_RSRC2:USER_SGPR: 2
; COMPUTE_PGM_RSRC2:TRAP_HANDLER: 0
; COMPUTE_PGM_RSRC2:TGID_X_EN: 1
; COMPUTE_PGM_RSRC2:TGID_Y_EN: 0
; COMPUTE_PGM_RSRC2:TGID_Z_EN: 0
; COMPUTE_PGM_RSRC2:TIDIG_COMP_CNT: 0
	.section	.text._ZN7rocprim17ROCPRIM_400000_NS6detail17trampoline_kernelINS0_14default_configENS1_36segmented_radix_sort_config_selectorI6__halflEEZNS1_25segmented_radix_sort_implIS3_Lb0EPKS5_PS5_PKlPlN2at6native12_GLOBAL__N_18offset_tEEE10hipError_tPvRmT1_PNSt15iterator_traitsISL_E10value_typeET2_T3_PNSM_ISR_E10value_typeET4_jRbjT5_SX_jjP12ihipStream_tbEUlT_E1_NS1_11comp_targetILNS1_3genE5ELNS1_11target_archE942ELNS1_3gpuE9ELNS1_3repE0EEENS1_59segmented_radix_sort_warp_sort_small_config_static_selectorELNS0_4arch9wavefront6targetE0EEEvSL_,"axG",@progbits,_ZN7rocprim17ROCPRIM_400000_NS6detail17trampoline_kernelINS0_14default_configENS1_36segmented_radix_sort_config_selectorI6__halflEEZNS1_25segmented_radix_sort_implIS3_Lb0EPKS5_PS5_PKlPlN2at6native12_GLOBAL__N_18offset_tEEE10hipError_tPvRmT1_PNSt15iterator_traitsISL_E10value_typeET2_T3_PNSM_ISR_E10value_typeET4_jRbjT5_SX_jjP12ihipStream_tbEUlT_E1_NS1_11comp_targetILNS1_3genE5ELNS1_11target_archE942ELNS1_3gpuE9ELNS1_3repE0EEENS1_59segmented_radix_sort_warp_sort_small_config_static_selectorELNS0_4arch9wavefront6targetE0EEEvSL_,comdat
	.globl	_ZN7rocprim17ROCPRIM_400000_NS6detail17trampoline_kernelINS0_14default_configENS1_36segmented_radix_sort_config_selectorI6__halflEEZNS1_25segmented_radix_sort_implIS3_Lb0EPKS5_PS5_PKlPlN2at6native12_GLOBAL__N_18offset_tEEE10hipError_tPvRmT1_PNSt15iterator_traitsISL_E10value_typeET2_T3_PNSM_ISR_E10value_typeET4_jRbjT5_SX_jjP12ihipStream_tbEUlT_E1_NS1_11comp_targetILNS1_3genE5ELNS1_11target_archE942ELNS1_3gpuE9ELNS1_3repE0EEENS1_59segmented_radix_sort_warp_sort_small_config_static_selectorELNS0_4arch9wavefront6targetE0EEEvSL_ ; -- Begin function _ZN7rocprim17ROCPRIM_400000_NS6detail17trampoline_kernelINS0_14default_configENS1_36segmented_radix_sort_config_selectorI6__halflEEZNS1_25segmented_radix_sort_implIS3_Lb0EPKS5_PS5_PKlPlN2at6native12_GLOBAL__N_18offset_tEEE10hipError_tPvRmT1_PNSt15iterator_traitsISL_E10value_typeET2_T3_PNSM_ISR_E10value_typeET4_jRbjT5_SX_jjP12ihipStream_tbEUlT_E1_NS1_11comp_targetILNS1_3genE5ELNS1_11target_archE942ELNS1_3gpuE9ELNS1_3repE0EEENS1_59segmented_radix_sort_warp_sort_small_config_static_selectorELNS0_4arch9wavefront6targetE0EEEvSL_
	.p2align	8
	.type	_ZN7rocprim17ROCPRIM_400000_NS6detail17trampoline_kernelINS0_14default_configENS1_36segmented_radix_sort_config_selectorI6__halflEEZNS1_25segmented_radix_sort_implIS3_Lb0EPKS5_PS5_PKlPlN2at6native12_GLOBAL__N_18offset_tEEE10hipError_tPvRmT1_PNSt15iterator_traitsISL_E10value_typeET2_T3_PNSM_ISR_E10value_typeET4_jRbjT5_SX_jjP12ihipStream_tbEUlT_E1_NS1_11comp_targetILNS1_3genE5ELNS1_11target_archE942ELNS1_3gpuE9ELNS1_3repE0EEENS1_59segmented_radix_sort_warp_sort_small_config_static_selectorELNS0_4arch9wavefront6targetE0EEEvSL_,@function
_ZN7rocprim17ROCPRIM_400000_NS6detail17trampoline_kernelINS0_14default_configENS1_36segmented_radix_sort_config_selectorI6__halflEEZNS1_25segmented_radix_sort_implIS3_Lb0EPKS5_PS5_PKlPlN2at6native12_GLOBAL__N_18offset_tEEE10hipError_tPvRmT1_PNSt15iterator_traitsISL_E10value_typeET2_T3_PNSM_ISR_E10value_typeET4_jRbjT5_SX_jjP12ihipStream_tbEUlT_E1_NS1_11comp_targetILNS1_3genE5ELNS1_11target_archE942ELNS1_3gpuE9ELNS1_3repE0EEENS1_59segmented_radix_sort_warp_sort_small_config_static_selectorELNS0_4arch9wavefront6targetE0EEEvSL_: ; @_ZN7rocprim17ROCPRIM_400000_NS6detail17trampoline_kernelINS0_14default_configENS1_36segmented_radix_sort_config_selectorI6__halflEEZNS1_25segmented_radix_sort_implIS3_Lb0EPKS5_PS5_PKlPlN2at6native12_GLOBAL__N_18offset_tEEE10hipError_tPvRmT1_PNSt15iterator_traitsISL_E10value_typeET2_T3_PNSM_ISR_E10value_typeET4_jRbjT5_SX_jjP12ihipStream_tbEUlT_E1_NS1_11comp_targetILNS1_3genE5ELNS1_11target_archE942ELNS1_3gpuE9ELNS1_3repE0EEENS1_59segmented_radix_sort_warp_sort_small_config_static_selectorELNS0_4arch9wavefront6targetE0EEEvSL_
; %bb.0:
	.section	.rodata,"a",@progbits
	.p2align	6, 0x0
	.amdhsa_kernel _ZN7rocprim17ROCPRIM_400000_NS6detail17trampoline_kernelINS0_14default_configENS1_36segmented_radix_sort_config_selectorI6__halflEEZNS1_25segmented_radix_sort_implIS3_Lb0EPKS5_PS5_PKlPlN2at6native12_GLOBAL__N_18offset_tEEE10hipError_tPvRmT1_PNSt15iterator_traitsISL_E10value_typeET2_T3_PNSM_ISR_E10value_typeET4_jRbjT5_SX_jjP12ihipStream_tbEUlT_E1_NS1_11comp_targetILNS1_3genE5ELNS1_11target_archE942ELNS1_3gpuE9ELNS1_3repE0EEENS1_59segmented_radix_sort_warp_sort_small_config_static_selectorELNS0_4arch9wavefront6targetE0EEEvSL_
		.amdhsa_group_segment_fixed_size 0
		.amdhsa_private_segment_fixed_size 0
		.amdhsa_kernarg_size 88
		.amdhsa_user_sgpr_count 2
		.amdhsa_user_sgpr_dispatch_ptr 0
		.amdhsa_user_sgpr_queue_ptr 0
		.amdhsa_user_sgpr_kernarg_segment_ptr 1
		.amdhsa_user_sgpr_dispatch_id 0
		.amdhsa_user_sgpr_private_segment_size 0
		.amdhsa_wavefront_size32 1
		.amdhsa_uses_dynamic_stack 0
		.amdhsa_enable_private_segment 0
		.amdhsa_system_sgpr_workgroup_id_x 1
		.amdhsa_system_sgpr_workgroup_id_y 0
		.amdhsa_system_sgpr_workgroup_id_z 0
		.amdhsa_system_sgpr_workgroup_info 0
		.amdhsa_system_vgpr_workitem_id 0
		.amdhsa_next_free_vgpr 1
		.amdhsa_next_free_sgpr 1
		.amdhsa_reserve_vcc 0
		.amdhsa_float_round_mode_32 0
		.amdhsa_float_round_mode_16_64 0
		.amdhsa_float_denorm_mode_32 3
		.amdhsa_float_denorm_mode_16_64 3
		.amdhsa_fp16_overflow 0
		.amdhsa_workgroup_processor_mode 1
		.amdhsa_memory_ordered 1
		.amdhsa_forward_progress 1
		.amdhsa_inst_pref_size 0
		.amdhsa_round_robin_scheduling 0
		.amdhsa_exception_fp_ieee_invalid_op 0
		.amdhsa_exception_fp_denorm_src 0
		.amdhsa_exception_fp_ieee_div_zero 0
		.amdhsa_exception_fp_ieee_overflow 0
		.amdhsa_exception_fp_ieee_underflow 0
		.amdhsa_exception_fp_ieee_inexact 0
		.amdhsa_exception_int_div_zero 0
	.end_amdhsa_kernel
	.section	.text._ZN7rocprim17ROCPRIM_400000_NS6detail17trampoline_kernelINS0_14default_configENS1_36segmented_radix_sort_config_selectorI6__halflEEZNS1_25segmented_radix_sort_implIS3_Lb0EPKS5_PS5_PKlPlN2at6native12_GLOBAL__N_18offset_tEEE10hipError_tPvRmT1_PNSt15iterator_traitsISL_E10value_typeET2_T3_PNSM_ISR_E10value_typeET4_jRbjT5_SX_jjP12ihipStream_tbEUlT_E1_NS1_11comp_targetILNS1_3genE5ELNS1_11target_archE942ELNS1_3gpuE9ELNS1_3repE0EEENS1_59segmented_radix_sort_warp_sort_small_config_static_selectorELNS0_4arch9wavefront6targetE0EEEvSL_,"axG",@progbits,_ZN7rocprim17ROCPRIM_400000_NS6detail17trampoline_kernelINS0_14default_configENS1_36segmented_radix_sort_config_selectorI6__halflEEZNS1_25segmented_radix_sort_implIS3_Lb0EPKS5_PS5_PKlPlN2at6native12_GLOBAL__N_18offset_tEEE10hipError_tPvRmT1_PNSt15iterator_traitsISL_E10value_typeET2_T3_PNSM_ISR_E10value_typeET4_jRbjT5_SX_jjP12ihipStream_tbEUlT_E1_NS1_11comp_targetILNS1_3genE5ELNS1_11target_archE942ELNS1_3gpuE9ELNS1_3repE0EEENS1_59segmented_radix_sort_warp_sort_small_config_static_selectorELNS0_4arch9wavefront6targetE0EEEvSL_,comdat
.Lfunc_end1863:
	.size	_ZN7rocprim17ROCPRIM_400000_NS6detail17trampoline_kernelINS0_14default_configENS1_36segmented_radix_sort_config_selectorI6__halflEEZNS1_25segmented_radix_sort_implIS3_Lb0EPKS5_PS5_PKlPlN2at6native12_GLOBAL__N_18offset_tEEE10hipError_tPvRmT1_PNSt15iterator_traitsISL_E10value_typeET2_T3_PNSM_ISR_E10value_typeET4_jRbjT5_SX_jjP12ihipStream_tbEUlT_E1_NS1_11comp_targetILNS1_3genE5ELNS1_11target_archE942ELNS1_3gpuE9ELNS1_3repE0EEENS1_59segmented_radix_sort_warp_sort_small_config_static_selectorELNS0_4arch9wavefront6targetE0EEEvSL_, .Lfunc_end1863-_ZN7rocprim17ROCPRIM_400000_NS6detail17trampoline_kernelINS0_14default_configENS1_36segmented_radix_sort_config_selectorI6__halflEEZNS1_25segmented_radix_sort_implIS3_Lb0EPKS5_PS5_PKlPlN2at6native12_GLOBAL__N_18offset_tEEE10hipError_tPvRmT1_PNSt15iterator_traitsISL_E10value_typeET2_T3_PNSM_ISR_E10value_typeET4_jRbjT5_SX_jjP12ihipStream_tbEUlT_E1_NS1_11comp_targetILNS1_3genE5ELNS1_11target_archE942ELNS1_3gpuE9ELNS1_3repE0EEENS1_59segmented_radix_sort_warp_sort_small_config_static_selectorELNS0_4arch9wavefront6targetE0EEEvSL_
                                        ; -- End function
	.set _ZN7rocprim17ROCPRIM_400000_NS6detail17trampoline_kernelINS0_14default_configENS1_36segmented_radix_sort_config_selectorI6__halflEEZNS1_25segmented_radix_sort_implIS3_Lb0EPKS5_PS5_PKlPlN2at6native12_GLOBAL__N_18offset_tEEE10hipError_tPvRmT1_PNSt15iterator_traitsISL_E10value_typeET2_T3_PNSM_ISR_E10value_typeET4_jRbjT5_SX_jjP12ihipStream_tbEUlT_E1_NS1_11comp_targetILNS1_3genE5ELNS1_11target_archE942ELNS1_3gpuE9ELNS1_3repE0EEENS1_59segmented_radix_sort_warp_sort_small_config_static_selectorELNS0_4arch9wavefront6targetE0EEEvSL_.num_vgpr, 0
	.set _ZN7rocprim17ROCPRIM_400000_NS6detail17trampoline_kernelINS0_14default_configENS1_36segmented_radix_sort_config_selectorI6__halflEEZNS1_25segmented_radix_sort_implIS3_Lb0EPKS5_PS5_PKlPlN2at6native12_GLOBAL__N_18offset_tEEE10hipError_tPvRmT1_PNSt15iterator_traitsISL_E10value_typeET2_T3_PNSM_ISR_E10value_typeET4_jRbjT5_SX_jjP12ihipStream_tbEUlT_E1_NS1_11comp_targetILNS1_3genE5ELNS1_11target_archE942ELNS1_3gpuE9ELNS1_3repE0EEENS1_59segmented_radix_sort_warp_sort_small_config_static_selectorELNS0_4arch9wavefront6targetE0EEEvSL_.num_agpr, 0
	.set _ZN7rocprim17ROCPRIM_400000_NS6detail17trampoline_kernelINS0_14default_configENS1_36segmented_radix_sort_config_selectorI6__halflEEZNS1_25segmented_radix_sort_implIS3_Lb0EPKS5_PS5_PKlPlN2at6native12_GLOBAL__N_18offset_tEEE10hipError_tPvRmT1_PNSt15iterator_traitsISL_E10value_typeET2_T3_PNSM_ISR_E10value_typeET4_jRbjT5_SX_jjP12ihipStream_tbEUlT_E1_NS1_11comp_targetILNS1_3genE5ELNS1_11target_archE942ELNS1_3gpuE9ELNS1_3repE0EEENS1_59segmented_radix_sort_warp_sort_small_config_static_selectorELNS0_4arch9wavefront6targetE0EEEvSL_.numbered_sgpr, 0
	.set _ZN7rocprim17ROCPRIM_400000_NS6detail17trampoline_kernelINS0_14default_configENS1_36segmented_radix_sort_config_selectorI6__halflEEZNS1_25segmented_radix_sort_implIS3_Lb0EPKS5_PS5_PKlPlN2at6native12_GLOBAL__N_18offset_tEEE10hipError_tPvRmT1_PNSt15iterator_traitsISL_E10value_typeET2_T3_PNSM_ISR_E10value_typeET4_jRbjT5_SX_jjP12ihipStream_tbEUlT_E1_NS1_11comp_targetILNS1_3genE5ELNS1_11target_archE942ELNS1_3gpuE9ELNS1_3repE0EEENS1_59segmented_radix_sort_warp_sort_small_config_static_selectorELNS0_4arch9wavefront6targetE0EEEvSL_.num_named_barrier, 0
	.set _ZN7rocprim17ROCPRIM_400000_NS6detail17trampoline_kernelINS0_14default_configENS1_36segmented_radix_sort_config_selectorI6__halflEEZNS1_25segmented_radix_sort_implIS3_Lb0EPKS5_PS5_PKlPlN2at6native12_GLOBAL__N_18offset_tEEE10hipError_tPvRmT1_PNSt15iterator_traitsISL_E10value_typeET2_T3_PNSM_ISR_E10value_typeET4_jRbjT5_SX_jjP12ihipStream_tbEUlT_E1_NS1_11comp_targetILNS1_3genE5ELNS1_11target_archE942ELNS1_3gpuE9ELNS1_3repE0EEENS1_59segmented_radix_sort_warp_sort_small_config_static_selectorELNS0_4arch9wavefront6targetE0EEEvSL_.private_seg_size, 0
	.set _ZN7rocprim17ROCPRIM_400000_NS6detail17trampoline_kernelINS0_14default_configENS1_36segmented_radix_sort_config_selectorI6__halflEEZNS1_25segmented_radix_sort_implIS3_Lb0EPKS5_PS5_PKlPlN2at6native12_GLOBAL__N_18offset_tEEE10hipError_tPvRmT1_PNSt15iterator_traitsISL_E10value_typeET2_T3_PNSM_ISR_E10value_typeET4_jRbjT5_SX_jjP12ihipStream_tbEUlT_E1_NS1_11comp_targetILNS1_3genE5ELNS1_11target_archE942ELNS1_3gpuE9ELNS1_3repE0EEENS1_59segmented_radix_sort_warp_sort_small_config_static_selectorELNS0_4arch9wavefront6targetE0EEEvSL_.uses_vcc, 0
	.set _ZN7rocprim17ROCPRIM_400000_NS6detail17trampoline_kernelINS0_14default_configENS1_36segmented_radix_sort_config_selectorI6__halflEEZNS1_25segmented_radix_sort_implIS3_Lb0EPKS5_PS5_PKlPlN2at6native12_GLOBAL__N_18offset_tEEE10hipError_tPvRmT1_PNSt15iterator_traitsISL_E10value_typeET2_T3_PNSM_ISR_E10value_typeET4_jRbjT5_SX_jjP12ihipStream_tbEUlT_E1_NS1_11comp_targetILNS1_3genE5ELNS1_11target_archE942ELNS1_3gpuE9ELNS1_3repE0EEENS1_59segmented_radix_sort_warp_sort_small_config_static_selectorELNS0_4arch9wavefront6targetE0EEEvSL_.uses_flat_scratch, 0
	.set _ZN7rocprim17ROCPRIM_400000_NS6detail17trampoline_kernelINS0_14default_configENS1_36segmented_radix_sort_config_selectorI6__halflEEZNS1_25segmented_radix_sort_implIS3_Lb0EPKS5_PS5_PKlPlN2at6native12_GLOBAL__N_18offset_tEEE10hipError_tPvRmT1_PNSt15iterator_traitsISL_E10value_typeET2_T3_PNSM_ISR_E10value_typeET4_jRbjT5_SX_jjP12ihipStream_tbEUlT_E1_NS1_11comp_targetILNS1_3genE5ELNS1_11target_archE942ELNS1_3gpuE9ELNS1_3repE0EEENS1_59segmented_radix_sort_warp_sort_small_config_static_selectorELNS0_4arch9wavefront6targetE0EEEvSL_.has_dyn_sized_stack, 0
	.set _ZN7rocprim17ROCPRIM_400000_NS6detail17trampoline_kernelINS0_14default_configENS1_36segmented_radix_sort_config_selectorI6__halflEEZNS1_25segmented_radix_sort_implIS3_Lb0EPKS5_PS5_PKlPlN2at6native12_GLOBAL__N_18offset_tEEE10hipError_tPvRmT1_PNSt15iterator_traitsISL_E10value_typeET2_T3_PNSM_ISR_E10value_typeET4_jRbjT5_SX_jjP12ihipStream_tbEUlT_E1_NS1_11comp_targetILNS1_3genE5ELNS1_11target_archE942ELNS1_3gpuE9ELNS1_3repE0EEENS1_59segmented_radix_sort_warp_sort_small_config_static_selectorELNS0_4arch9wavefront6targetE0EEEvSL_.has_recursion, 0
	.set _ZN7rocprim17ROCPRIM_400000_NS6detail17trampoline_kernelINS0_14default_configENS1_36segmented_radix_sort_config_selectorI6__halflEEZNS1_25segmented_radix_sort_implIS3_Lb0EPKS5_PS5_PKlPlN2at6native12_GLOBAL__N_18offset_tEEE10hipError_tPvRmT1_PNSt15iterator_traitsISL_E10value_typeET2_T3_PNSM_ISR_E10value_typeET4_jRbjT5_SX_jjP12ihipStream_tbEUlT_E1_NS1_11comp_targetILNS1_3genE5ELNS1_11target_archE942ELNS1_3gpuE9ELNS1_3repE0EEENS1_59segmented_radix_sort_warp_sort_small_config_static_selectorELNS0_4arch9wavefront6targetE0EEEvSL_.has_indirect_call, 0
	.section	.AMDGPU.csdata,"",@progbits
; Kernel info:
; codeLenInByte = 0
; TotalNumSgprs: 0
; NumVgprs: 0
; ScratchSize: 0
; MemoryBound: 0
; FloatMode: 240
; IeeeMode: 1
; LDSByteSize: 0 bytes/workgroup (compile time only)
; SGPRBlocks: 0
; VGPRBlocks: 0
; NumSGPRsForWavesPerEU: 1
; NumVGPRsForWavesPerEU: 1
; Occupancy: 16
; WaveLimiterHint : 0
; COMPUTE_PGM_RSRC2:SCRATCH_EN: 0
; COMPUTE_PGM_RSRC2:USER_SGPR: 2
; COMPUTE_PGM_RSRC2:TRAP_HANDLER: 0
; COMPUTE_PGM_RSRC2:TGID_X_EN: 1
; COMPUTE_PGM_RSRC2:TGID_Y_EN: 0
; COMPUTE_PGM_RSRC2:TGID_Z_EN: 0
; COMPUTE_PGM_RSRC2:TIDIG_COMP_CNT: 0
	.section	.text._ZN7rocprim17ROCPRIM_400000_NS6detail17trampoline_kernelINS0_14default_configENS1_36segmented_radix_sort_config_selectorI6__halflEEZNS1_25segmented_radix_sort_implIS3_Lb0EPKS5_PS5_PKlPlN2at6native12_GLOBAL__N_18offset_tEEE10hipError_tPvRmT1_PNSt15iterator_traitsISL_E10value_typeET2_T3_PNSM_ISR_E10value_typeET4_jRbjT5_SX_jjP12ihipStream_tbEUlT_E1_NS1_11comp_targetILNS1_3genE4ELNS1_11target_archE910ELNS1_3gpuE8ELNS1_3repE0EEENS1_59segmented_radix_sort_warp_sort_small_config_static_selectorELNS0_4arch9wavefront6targetE0EEEvSL_,"axG",@progbits,_ZN7rocprim17ROCPRIM_400000_NS6detail17trampoline_kernelINS0_14default_configENS1_36segmented_radix_sort_config_selectorI6__halflEEZNS1_25segmented_radix_sort_implIS3_Lb0EPKS5_PS5_PKlPlN2at6native12_GLOBAL__N_18offset_tEEE10hipError_tPvRmT1_PNSt15iterator_traitsISL_E10value_typeET2_T3_PNSM_ISR_E10value_typeET4_jRbjT5_SX_jjP12ihipStream_tbEUlT_E1_NS1_11comp_targetILNS1_3genE4ELNS1_11target_archE910ELNS1_3gpuE8ELNS1_3repE0EEENS1_59segmented_radix_sort_warp_sort_small_config_static_selectorELNS0_4arch9wavefront6targetE0EEEvSL_,comdat
	.globl	_ZN7rocprim17ROCPRIM_400000_NS6detail17trampoline_kernelINS0_14default_configENS1_36segmented_radix_sort_config_selectorI6__halflEEZNS1_25segmented_radix_sort_implIS3_Lb0EPKS5_PS5_PKlPlN2at6native12_GLOBAL__N_18offset_tEEE10hipError_tPvRmT1_PNSt15iterator_traitsISL_E10value_typeET2_T3_PNSM_ISR_E10value_typeET4_jRbjT5_SX_jjP12ihipStream_tbEUlT_E1_NS1_11comp_targetILNS1_3genE4ELNS1_11target_archE910ELNS1_3gpuE8ELNS1_3repE0EEENS1_59segmented_radix_sort_warp_sort_small_config_static_selectorELNS0_4arch9wavefront6targetE0EEEvSL_ ; -- Begin function _ZN7rocprim17ROCPRIM_400000_NS6detail17trampoline_kernelINS0_14default_configENS1_36segmented_radix_sort_config_selectorI6__halflEEZNS1_25segmented_radix_sort_implIS3_Lb0EPKS5_PS5_PKlPlN2at6native12_GLOBAL__N_18offset_tEEE10hipError_tPvRmT1_PNSt15iterator_traitsISL_E10value_typeET2_T3_PNSM_ISR_E10value_typeET4_jRbjT5_SX_jjP12ihipStream_tbEUlT_E1_NS1_11comp_targetILNS1_3genE4ELNS1_11target_archE910ELNS1_3gpuE8ELNS1_3repE0EEENS1_59segmented_radix_sort_warp_sort_small_config_static_selectorELNS0_4arch9wavefront6targetE0EEEvSL_
	.p2align	8
	.type	_ZN7rocprim17ROCPRIM_400000_NS6detail17trampoline_kernelINS0_14default_configENS1_36segmented_radix_sort_config_selectorI6__halflEEZNS1_25segmented_radix_sort_implIS3_Lb0EPKS5_PS5_PKlPlN2at6native12_GLOBAL__N_18offset_tEEE10hipError_tPvRmT1_PNSt15iterator_traitsISL_E10value_typeET2_T3_PNSM_ISR_E10value_typeET4_jRbjT5_SX_jjP12ihipStream_tbEUlT_E1_NS1_11comp_targetILNS1_3genE4ELNS1_11target_archE910ELNS1_3gpuE8ELNS1_3repE0EEENS1_59segmented_radix_sort_warp_sort_small_config_static_selectorELNS0_4arch9wavefront6targetE0EEEvSL_,@function
_ZN7rocprim17ROCPRIM_400000_NS6detail17trampoline_kernelINS0_14default_configENS1_36segmented_radix_sort_config_selectorI6__halflEEZNS1_25segmented_radix_sort_implIS3_Lb0EPKS5_PS5_PKlPlN2at6native12_GLOBAL__N_18offset_tEEE10hipError_tPvRmT1_PNSt15iterator_traitsISL_E10value_typeET2_T3_PNSM_ISR_E10value_typeET4_jRbjT5_SX_jjP12ihipStream_tbEUlT_E1_NS1_11comp_targetILNS1_3genE4ELNS1_11target_archE910ELNS1_3gpuE8ELNS1_3repE0EEENS1_59segmented_radix_sort_warp_sort_small_config_static_selectorELNS0_4arch9wavefront6targetE0EEEvSL_: ; @_ZN7rocprim17ROCPRIM_400000_NS6detail17trampoline_kernelINS0_14default_configENS1_36segmented_radix_sort_config_selectorI6__halflEEZNS1_25segmented_radix_sort_implIS3_Lb0EPKS5_PS5_PKlPlN2at6native12_GLOBAL__N_18offset_tEEE10hipError_tPvRmT1_PNSt15iterator_traitsISL_E10value_typeET2_T3_PNSM_ISR_E10value_typeET4_jRbjT5_SX_jjP12ihipStream_tbEUlT_E1_NS1_11comp_targetILNS1_3genE4ELNS1_11target_archE910ELNS1_3gpuE8ELNS1_3repE0EEENS1_59segmented_radix_sort_warp_sort_small_config_static_selectorELNS0_4arch9wavefront6targetE0EEEvSL_
; %bb.0:
	.section	.rodata,"a",@progbits
	.p2align	6, 0x0
	.amdhsa_kernel _ZN7rocprim17ROCPRIM_400000_NS6detail17trampoline_kernelINS0_14default_configENS1_36segmented_radix_sort_config_selectorI6__halflEEZNS1_25segmented_radix_sort_implIS3_Lb0EPKS5_PS5_PKlPlN2at6native12_GLOBAL__N_18offset_tEEE10hipError_tPvRmT1_PNSt15iterator_traitsISL_E10value_typeET2_T3_PNSM_ISR_E10value_typeET4_jRbjT5_SX_jjP12ihipStream_tbEUlT_E1_NS1_11comp_targetILNS1_3genE4ELNS1_11target_archE910ELNS1_3gpuE8ELNS1_3repE0EEENS1_59segmented_radix_sort_warp_sort_small_config_static_selectorELNS0_4arch9wavefront6targetE0EEEvSL_
		.amdhsa_group_segment_fixed_size 0
		.amdhsa_private_segment_fixed_size 0
		.amdhsa_kernarg_size 88
		.amdhsa_user_sgpr_count 2
		.amdhsa_user_sgpr_dispatch_ptr 0
		.amdhsa_user_sgpr_queue_ptr 0
		.amdhsa_user_sgpr_kernarg_segment_ptr 1
		.amdhsa_user_sgpr_dispatch_id 0
		.amdhsa_user_sgpr_private_segment_size 0
		.amdhsa_wavefront_size32 1
		.amdhsa_uses_dynamic_stack 0
		.amdhsa_enable_private_segment 0
		.amdhsa_system_sgpr_workgroup_id_x 1
		.amdhsa_system_sgpr_workgroup_id_y 0
		.amdhsa_system_sgpr_workgroup_id_z 0
		.amdhsa_system_sgpr_workgroup_info 0
		.amdhsa_system_vgpr_workitem_id 0
		.amdhsa_next_free_vgpr 1
		.amdhsa_next_free_sgpr 1
		.amdhsa_reserve_vcc 0
		.amdhsa_float_round_mode_32 0
		.amdhsa_float_round_mode_16_64 0
		.amdhsa_float_denorm_mode_32 3
		.amdhsa_float_denorm_mode_16_64 3
		.amdhsa_fp16_overflow 0
		.amdhsa_workgroup_processor_mode 1
		.amdhsa_memory_ordered 1
		.amdhsa_forward_progress 1
		.amdhsa_inst_pref_size 0
		.amdhsa_round_robin_scheduling 0
		.amdhsa_exception_fp_ieee_invalid_op 0
		.amdhsa_exception_fp_denorm_src 0
		.amdhsa_exception_fp_ieee_div_zero 0
		.amdhsa_exception_fp_ieee_overflow 0
		.amdhsa_exception_fp_ieee_underflow 0
		.amdhsa_exception_fp_ieee_inexact 0
		.amdhsa_exception_int_div_zero 0
	.end_amdhsa_kernel
	.section	.text._ZN7rocprim17ROCPRIM_400000_NS6detail17trampoline_kernelINS0_14default_configENS1_36segmented_radix_sort_config_selectorI6__halflEEZNS1_25segmented_radix_sort_implIS3_Lb0EPKS5_PS5_PKlPlN2at6native12_GLOBAL__N_18offset_tEEE10hipError_tPvRmT1_PNSt15iterator_traitsISL_E10value_typeET2_T3_PNSM_ISR_E10value_typeET4_jRbjT5_SX_jjP12ihipStream_tbEUlT_E1_NS1_11comp_targetILNS1_3genE4ELNS1_11target_archE910ELNS1_3gpuE8ELNS1_3repE0EEENS1_59segmented_radix_sort_warp_sort_small_config_static_selectorELNS0_4arch9wavefront6targetE0EEEvSL_,"axG",@progbits,_ZN7rocprim17ROCPRIM_400000_NS6detail17trampoline_kernelINS0_14default_configENS1_36segmented_radix_sort_config_selectorI6__halflEEZNS1_25segmented_radix_sort_implIS3_Lb0EPKS5_PS5_PKlPlN2at6native12_GLOBAL__N_18offset_tEEE10hipError_tPvRmT1_PNSt15iterator_traitsISL_E10value_typeET2_T3_PNSM_ISR_E10value_typeET4_jRbjT5_SX_jjP12ihipStream_tbEUlT_E1_NS1_11comp_targetILNS1_3genE4ELNS1_11target_archE910ELNS1_3gpuE8ELNS1_3repE0EEENS1_59segmented_radix_sort_warp_sort_small_config_static_selectorELNS0_4arch9wavefront6targetE0EEEvSL_,comdat
.Lfunc_end1864:
	.size	_ZN7rocprim17ROCPRIM_400000_NS6detail17trampoline_kernelINS0_14default_configENS1_36segmented_radix_sort_config_selectorI6__halflEEZNS1_25segmented_radix_sort_implIS3_Lb0EPKS5_PS5_PKlPlN2at6native12_GLOBAL__N_18offset_tEEE10hipError_tPvRmT1_PNSt15iterator_traitsISL_E10value_typeET2_T3_PNSM_ISR_E10value_typeET4_jRbjT5_SX_jjP12ihipStream_tbEUlT_E1_NS1_11comp_targetILNS1_3genE4ELNS1_11target_archE910ELNS1_3gpuE8ELNS1_3repE0EEENS1_59segmented_radix_sort_warp_sort_small_config_static_selectorELNS0_4arch9wavefront6targetE0EEEvSL_, .Lfunc_end1864-_ZN7rocprim17ROCPRIM_400000_NS6detail17trampoline_kernelINS0_14default_configENS1_36segmented_radix_sort_config_selectorI6__halflEEZNS1_25segmented_radix_sort_implIS3_Lb0EPKS5_PS5_PKlPlN2at6native12_GLOBAL__N_18offset_tEEE10hipError_tPvRmT1_PNSt15iterator_traitsISL_E10value_typeET2_T3_PNSM_ISR_E10value_typeET4_jRbjT5_SX_jjP12ihipStream_tbEUlT_E1_NS1_11comp_targetILNS1_3genE4ELNS1_11target_archE910ELNS1_3gpuE8ELNS1_3repE0EEENS1_59segmented_radix_sort_warp_sort_small_config_static_selectorELNS0_4arch9wavefront6targetE0EEEvSL_
                                        ; -- End function
	.set _ZN7rocprim17ROCPRIM_400000_NS6detail17trampoline_kernelINS0_14default_configENS1_36segmented_radix_sort_config_selectorI6__halflEEZNS1_25segmented_radix_sort_implIS3_Lb0EPKS5_PS5_PKlPlN2at6native12_GLOBAL__N_18offset_tEEE10hipError_tPvRmT1_PNSt15iterator_traitsISL_E10value_typeET2_T3_PNSM_ISR_E10value_typeET4_jRbjT5_SX_jjP12ihipStream_tbEUlT_E1_NS1_11comp_targetILNS1_3genE4ELNS1_11target_archE910ELNS1_3gpuE8ELNS1_3repE0EEENS1_59segmented_radix_sort_warp_sort_small_config_static_selectorELNS0_4arch9wavefront6targetE0EEEvSL_.num_vgpr, 0
	.set _ZN7rocprim17ROCPRIM_400000_NS6detail17trampoline_kernelINS0_14default_configENS1_36segmented_radix_sort_config_selectorI6__halflEEZNS1_25segmented_radix_sort_implIS3_Lb0EPKS5_PS5_PKlPlN2at6native12_GLOBAL__N_18offset_tEEE10hipError_tPvRmT1_PNSt15iterator_traitsISL_E10value_typeET2_T3_PNSM_ISR_E10value_typeET4_jRbjT5_SX_jjP12ihipStream_tbEUlT_E1_NS1_11comp_targetILNS1_3genE4ELNS1_11target_archE910ELNS1_3gpuE8ELNS1_3repE0EEENS1_59segmented_radix_sort_warp_sort_small_config_static_selectorELNS0_4arch9wavefront6targetE0EEEvSL_.num_agpr, 0
	.set _ZN7rocprim17ROCPRIM_400000_NS6detail17trampoline_kernelINS0_14default_configENS1_36segmented_radix_sort_config_selectorI6__halflEEZNS1_25segmented_radix_sort_implIS3_Lb0EPKS5_PS5_PKlPlN2at6native12_GLOBAL__N_18offset_tEEE10hipError_tPvRmT1_PNSt15iterator_traitsISL_E10value_typeET2_T3_PNSM_ISR_E10value_typeET4_jRbjT5_SX_jjP12ihipStream_tbEUlT_E1_NS1_11comp_targetILNS1_3genE4ELNS1_11target_archE910ELNS1_3gpuE8ELNS1_3repE0EEENS1_59segmented_radix_sort_warp_sort_small_config_static_selectorELNS0_4arch9wavefront6targetE0EEEvSL_.numbered_sgpr, 0
	.set _ZN7rocprim17ROCPRIM_400000_NS6detail17trampoline_kernelINS0_14default_configENS1_36segmented_radix_sort_config_selectorI6__halflEEZNS1_25segmented_radix_sort_implIS3_Lb0EPKS5_PS5_PKlPlN2at6native12_GLOBAL__N_18offset_tEEE10hipError_tPvRmT1_PNSt15iterator_traitsISL_E10value_typeET2_T3_PNSM_ISR_E10value_typeET4_jRbjT5_SX_jjP12ihipStream_tbEUlT_E1_NS1_11comp_targetILNS1_3genE4ELNS1_11target_archE910ELNS1_3gpuE8ELNS1_3repE0EEENS1_59segmented_radix_sort_warp_sort_small_config_static_selectorELNS0_4arch9wavefront6targetE0EEEvSL_.num_named_barrier, 0
	.set _ZN7rocprim17ROCPRIM_400000_NS6detail17trampoline_kernelINS0_14default_configENS1_36segmented_radix_sort_config_selectorI6__halflEEZNS1_25segmented_radix_sort_implIS3_Lb0EPKS5_PS5_PKlPlN2at6native12_GLOBAL__N_18offset_tEEE10hipError_tPvRmT1_PNSt15iterator_traitsISL_E10value_typeET2_T3_PNSM_ISR_E10value_typeET4_jRbjT5_SX_jjP12ihipStream_tbEUlT_E1_NS1_11comp_targetILNS1_3genE4ELNS1_11target_archE910ELNS1_3gpuE8ELNS1_3repE0EEENS1_59segmented_radix_sort_warp_sort_small_config_static_selectorELNS0_4arch9wavefront6targetE0EEEvSL_.private_seg_size, 0
	.set _ZN7rocprim17ROCPRIM_400000_NS6detail17trampoline_kernelINS0_14default_configENS1_36segmented_radix_sort_config_selectorI6__halflEEZNS1_25segmented_radix_sort_implIS3_Lb0EPKS5_PS5_PKlPlN2at6native12_GLOBAL__N_18offset_tEEE10hipError_tPvRmT1_PNSt15iterator_traitsISL_E10value_typeET2_T3_PNSM_ISR_E10value_typeET4_jRbjT5_SX_jjP12ihipStream_tbEUlT_E1_NS1_11comp_targetILNS1_3genE4ELNS1_11target_archE910ELNS1_3gpuE8ELNS1_3repE0EEENS1_59segmented_radix_sort_warp_sort_small_config_static_selectorELNS0_4arch9wavefront6targetE0EEEvSL_.uses_vcc, 0
	.set _ZN7rocprim17ROCPRIM_400000_NS6detail17trampoline_kernelINS0_14default_configENS1_36segmented_radix_sort_config_selectorI6__halflEEZNS1_25segmented_radix_sort_implIS3_Lb0EPKS5_PS5_PKlPlN2at6native12_GLOBAL__N_18offset_tEEE10hipError_tPvRmT1_PNSt15iterator_traitsISL_E10value_typeET2_T3_PNSM_ISR_E10value_typeET4_jRbjT5_SX_jjP12ihipStream_tbEUlT_E1_NS1_11comp_targetILNS1_3genE4ELNS1_11target_archE910ELNS1_3gpuE8ELNS1_3repE0EEENS1_59segmented_radix_sort_warp_sort_small_config_static_selectorELNS0_4arch9wavefront6targetE0EEEvSL_.uses_flat_scratch, 0
	.set _ZN7rocprim17ROCPRIM_400000_NS6detail17trampoline_kernelINS0_14default_configENS1_36segmented_radix_sort_config_selectorI6__halflEEZNS1_25segmented_radix_sort_implIS3_Lb0EPKS5_PS5_PKlPlN2at6native12_GLOBAL__N_18offset_tEEE10hipError_tPvRmT1_PNSt15iterator_traitsISL_E10value_typeET2_T3_PNSM_ISR_E10value_typeET4_jRbjT5_SX_jjP12ihipStream_tbEUlT_E1_NS1_11comp_targetILNS1_3genE4ELNS1_11target_archE910ELNS1_3gpuE8ELNS1_3repE0EEENS1_59segmented_radix_sort_warp_sort_small_config_static_selectorELNS0_4arch9wavefront6targetE0EEEvSL_.has_dyn_sized_stack, 0
	.set _ZN7rocprim17ROCPRIM_400000_NS6detail17trampoline_kernelINS0_14default_configENS1_36segmented_radix_sort_config_selectorI6__halflEEZNS1_25segmented_radix_sort_implIS3_Lb0EPKS5_PS5_PKlPlN2at6native12_GLOBAL__N_18offset_tEEE10hipError_tPvRmT1_PNSt15iterator_traitsISL_E10value_typeET2_T3_PNSM_ISR_E10value_typeET4_jRbjT5_SX_jjP12ihipStream_tbEUlT_E1_NS1_11comp_targetILNS1_3genE4ELNS1_11target_archE910ELNS1_3gpuE8ELNS1_3repE0EEENS1_59segmented_radix_sort_warp_sort_small_config_static_selectorELNS0_4arch9wavefront6targetE0EEEvSL_.has_recursion, 0
	.set _ZN7rocprim17ROCPRIM_400000_NS6detail17trampoline_kernelINS0_14default_configENS1_36segmented_radix_sort_config_selectorI6__halflEEZNS1_25segmented_radix_sort_implIS3_Lb0EPKS5_PS5_PKlPlN2at6native12_GLOBAL__N_18offset_tEEE10hipError_tPvRmT1_PNSt15iterator_traitsISL_E10value_typeET2_T3_PNSM_ISR_E10value_typeET4_jRbjT5_SX_jjP12ihipStream_tbEUlT_E1_NS1_11comp_targetILNS1_3genE4ELNS1_11target_archE910ELNS1_3gpuE8ELNS1_3repE0EEENS1_59segmented_radix_sort_warp_sort_small_config_static_selectorELNS0_4arch9wavefront6targetE0EEEvSL_.has_indirect_call, 0
	.section	.AMDGPU.csdata,"",@progbits
; Kernel info:
; codeLenInByte = 0
; TotalNumSgprs: 0
; NumVgprs: 0
; ScratchSize: 0
; MemoryBound: 0
; FloatMode: 240
; IeeeMode: 1
; LDSByteSize: 0 bytes/workgroup (compile time only)
; SGPRBlocks: 0
; VGPRBlocks: 0
; NumSGPRsForWavesPerEU: 1
; NumVGPRsForWavesPerEU: 1
; Occupancy: 16
; WaveLimiterHint : 0
; COMPUTE_PGM_RSRC2:SCRATCH_EN: 0
; COMPUTE_PGM_RSRC2:USER_SGPR: 2
; COMPUTE_PGM_RSRC2:TRAP_HANDLER: 0
; COMPUTE_PGM_RSRC2:TGID_X_EN: 1
; COMPUTE_PGM_RSRC2:TGID_Y_EN: 0
; COMPUTE_PGM_RSRC2:TGID_Z_EN: 0
; COMPUTE_PGM_RSRC2:TIDIG_COMP_CNT: 0
	.section	.text._ZN7rocprim17ROCPRIM_400000_NS6detail17trampoline_kernelINS0_14default_configENS1_36segmented_radix_sort_config_selectorI6__halflEEZNS1_25segmented_radix_sort_implIS3_Lb0EPKS5_PS5_PKlPlN2at6native12_GLOBAL__N_18offset_tEEE10hipError_tPvRmT1_PNSt15iterator_traitsISL_E10value_typeET2_T3_PNSM_ISR_E10value_typeET4_jRbjT5_SX_jjP12ihipStream_tbEUlT_E1_NS1_11comp_targetILNS1_3genE3ELNS1_11target_archE908ELNS1_3gpuE7ELNS1_3repE0EEENS1_59segmented_radix_sort_warp_sort_small_config_static_selectorELNS0_4arch9wavefront6targetE0EEEvSL_,"axG",@progbits,_ZN7rocprim17ROCPRIM_400000_NS6detail17trampoline_kernelINS0_14default_configENS1_36segmented_radix_sort_config_selectorI6__halflEEZNS1_25segmented_radix_sort_implIS3_Lb0EPKS5_PS5_PKlPlN2at6native12_GLOBAL__N_18offset_tEEE10hipError_tPvRmT1_PNSt15iterator_traitsISL_E10value_typeET2_T3_PNSM_ISR_E10value_typeET4_jRbjT5_SX_jjP12ihipStream_tbEUlT_E1_NS1_11comp_targetILNS1_3genE3ELNS1_11target_archE908ELNS1_3gpuE7ELNS1_3repE0EEENS1_59segmented_radix_sort_warp_sort_small_config_static_selectorELNS0_4arch9wavefront6targetE0EEEvSL_,comdat
	.globl	_ZN7rocprim17ROCPRIM_400000_NS6detail17trampoline_kernelINS0_14default_configENS1_36segmented_radix_sort_config_selectorI6__halflEEZNS1_25segmented_radix_sort_implIS3_Lb0EPKS5_PS5_PKlPlN2at6native12_GLOBAL__N_18offset_tEEE10hipError_tPvRmT1_PNSt15iterator_traitsISL_E10value_typeET2_T3_PNSM_ISR_E10value_typeET4_jRbjT5_SX_jjP12ihipStream_tbEUlT_E1_NS1_11comp_targetILNS1_3genE3ELNS1_11target_archE908ELNS1_3gpuE7ELNS1_3repE0EEENS1_59segmented_radix_sort_warp_sort_small_config_static_selectorELNS0_4arch9wavefront6targetE0EEEvSL_ ; -- Begin function _ZN7rocprim17ROCPRIM_400000_NS6detail17trampoline_kernelINS0_14default_configENS1_36segmented_radix_sort_config_selectorI6__halflEEZNS1_25segmented_radix_sort_implIS3_Lb0EPKS5_PS5_PKlPlN2at6native12_GLOBAL__N_18offset_tEEE10hipError_tPvRmT1_PNSt15iterator_traitsISL_E10value_typeET2_T3_PNSM_ISR_E10value_typeET4_jRbjT5_SX_jjP12ihipStream_tbEUlT_E1_NS1_11comp_targetILNS1_3genE3ELNS1_11target_archE908ELNS1_3gpuE7ELNS1_3repE0EEENS1_59segmented_radix_sort_warp_sort_small_config_static_selectorELNS0_4arch9wavefront6targetE0EEEvSL_
	.p2align	8
	.type	_ZN7rocprim17ROCPRIM_400000_NS6detail17trampoline_kernelINS0_14default_configENS1_36segmented_radix_sort_config_selectorI6__halflEEZNS1_25segmented_radix_sort_implIS3_Lb0EPKS5_PS5_PKlPlN2at6native12_GLOBAL__N_18offset_tEEE10hipError_tPvRmT1_PNSt15iterator_traitsISL_E10value_typeET2_T3_PNSM_ISR_E10value_typeET4_jRbjT5_SX_jjP12ihipStream_tbEUlT_E1_NS1_11comp_targetILNS1_3genE3ELNS1_11target_archE908ELNS1_3gpuE7ELNS1_3repE0EEENS1_59segmented_radix_sort_warp_sort_small_config_static_selectorELNS0_4arch9wavefront6targetE0EEEvSL_,@function
_ZN7rocprim17ROCPRIM_400000_NS6detail17trampoline_kernelINS0_14default_configENS1_36segmented_radix_sort_config_selectorI6__halflEEZNS1_25segmented_radix_sort_implIS3_Lb0EPKS5_PS5_PKlPlN2at6native12_GLOBAL__N_18offset_tEEE10hipError_tPvRmT1_PNSt15iterator_traitsISL_E10value_typeET2_T3_PNSM_ISR_E10value_typeET4_jRbjT5_SX_jjP12ihipStream_tbEUlT_E1_NS1_11comp_targetILNS1_3genE3ELNS1_11target_archE908ELNS1_3gpuE7ELNS1_3repE0EEENS1_59segmented_radix_sort_warp_sort_small_config_static_selectorELNS0_4arch9wavefront6targetE0EEEvSL_: ; @_ZN7rocprim17ROCPRIM_400000_NS6detail17trampoline_kernelINS0_14default_configENS1_36segmented_radix_sort_config_selectorI6__halflEEZNS1_25segmented_radix_sort_implIS3_Lb0EPKS5_PS5_PKlPlN2at6native12_GLOBAL__N_18offset_tEEE10hipError_tPvRmT1_PNSt15iterator_traitsISL_E10value_typeET2_T3_PNSM_ISR_E10value_typeET4_jRbjT5_SX_jjP12ihipStream_tbEUlT_E1_NS1_11comp_targetILNS1_3genE3ELNS1_11target_archE908ELNS1_3gpuE7ELNS1_3repE0EEENS1_59segmented_radix_sort_warp_sort_small_config_static_selectorELNS0_4arch9wavefront6targetE0EEEvSL_
; %bb.0:
	.section	.rodata,"a",@progbits
	.p2align	6, 0x0
	.amdhsa_kernel _ZN7rocprim17ROCPRIM_400000_NS6detail17trampoline_kernelINS0_14default_configENS1_36segmented_radix_sort_config_selectorI6__halflEEZNS1_25segmented_radix_sort_implIS3_Lb0EPKS5_PS5_PKlPlN2at6native12_GLOBAL__N_18offset_tEEE10hipError_tPvRmT1_PNSt15iterator_traitsISL_E10value_typeET2_T3_PNSM_ISR_E10value_typeET4_jRbjT5_SX_jjP12ihipStream_tbEUlT_E1_NS1_11comp_targetILNS1_3genE3ELNS1_11target_archE908ELNS1_3gpuE7ELNS1_3repE0EEENS1_59segmented_radix_sort_warp_sort_small_config_static_selectorELNS0_4arch9wavefront6targetE0EEEvSL_
		.amdhsa_group_segment_fixed_size 0
		.amdhsa_private_segment_fixed_size 0
		.amdhsa_kernarg_size 88
		.amdhsa_user_sgpr_count 2
		.amdhsa_user_sgpr_dispatch_ptr 0
		.amdhsa_user_sgpr_queue_ptr 0
		.amdhsa_user_sgpr_kernarg_segment_ptr 1
		.amdhsa_user_sgpr_dispatch_id 0
		.amdhsa_user_sgpr_private_segment_size 0
		.amdhsa_wavefront_size32 1
		.amdhsa_uses_dynamic_stack 0
		.amdhsa_enable_private_segment 0
		.amdhsa_system_sgpr_workgroup_id_x 1
		.amdhsa_system_sgpr_workgroup_id_y 0
		.amdhsa_system_sgpr_workgroup_id_z 0
		.amdhsa_system_sgpr_workgroup_info 0
		.amdhsa_system_vgpr_workitem_id 0
		.amdhsa_next_free_vgpr 1
		.amdhsa_next_free_sgpr 1
		.amdhsa_reserve_vcc 0
		.amdhsa_float_round_mode_32 0
		.amdhsa_float_round_mode_16_64 0
		.amdhsa_float_denorm_mode_32 3
		.amdhsa_float_denorm_mode_16_64 3
		.amdhsa_fp16_overflow 0
		.amdhsa_workgroup_processor_mode 1
		.amdhsa_memory_ordered 1
		.amdhsa_forward_progress 1
		.amdhsa_inst_pref_size 0
		.amdhsa_round_robin_scheduling 0
		.amdhsa_exception_fp_ieee_invalid_op 0
		.amdhsa_exception_fp_denorm_src 0
		.amdhsa_exception_fp_ieee_div_zero 0
		.amdhsa_exception_fp_ieee_overflow 0
		.amdhsa_exception_fp_ieee_underflow 0
		.amdhsa_exception_fp_ieee_inexact 0
		.amdhsa_exception_int_div_zero 0
	.end_amdhsa_kernel
	.section	.text._ZN7rocprim17ROCPRIM_400000_NS6detail17trampoline_kernelINS0_14default_configENS1_36segmented_radix_sort_config_selectorI6__halflEEZNS1_25segmented_radix_sort_implIS3_Lb0EPKS5_PS5_PKlPlN2at6native12_GLOBAL__N_18offset_tEEE10hipError_tPvRmT1_PNSt15iterator_traitsISL_E10value_typeET2_T3_PNSM_ISR_E10value_typeET4_jRbjT5_SX_jjP12ihipStream_tbEUlT_E1_NS1_11comp_targetILNS1_3genE3ELNS1_11target_archE908ELNS1_3gpuE7ELNS1_3repE0EEENS1_59segmented_radix_sort_warp_sort_small_config_static_selectorELNS0_4arch9wavefront6targetE0EEEvSL_,"axG",@progbits,_ZN7rocprim17ROCPRIM_400000_NS6detail17trampoline_kernelINS0_14default_configENS1_36segmented_radix_sort_config_selectorI6__halflEEZNS1_25segmented_radix_sort_implIS3_Lb0EPKS5_PS5_PKlPlN2at6native12_GLOBAL__N_18offset_tEEE10hipError_tPvRmT1_PNSt15iterator_traitsISL_E10value_typeET2_T3_PNSM_ISR_E10value_typeET4_jRbjT5_SX_jjP12ihipStream_tbEUlT_E1_NS1_11comp_targetILNS1_3genE3ELNS1_11target_archE908ELNS1_3gpuE7ELNS1_3repE0EEENS1_59segmented_radix_sort_warp_sort_small_config_static_selectorELNS0_4arch9wavefront6targetE0EEEvSL_,comdat
.Lfunc_end1865:
	.size	_ZN7rocprim17ROCPRIM_400000_NS6detail17trampoline_kernelINS0_14default_configENS1_36segmented_radix_sort_config_selectorI6__halflEEZNS1_25segmented_radix_sort_implIS3_Lb0EPKS5_PS5_PKlPlN2at6native12_GLOBAL__N_18offset_tEEE10hipError_tPvRmT1_PNSt15iterator_traitsISL_E10value_typeET2_T3_PNSM_ISR_E10value_typeET4_jRbjT5_SX_jjP12ihipStream_tbEUlT_E1_NS1_11comp_targetILNS1_3genE3ELNS1_11target_archE908ELNS1_3gpuE7ELNS1_3repE0EEENS1_59segmented_radix_sort_warp_sort_small_config_static_selectorELNS0_4arch9wavefront6targetE0EEEvSL_, .Lfunc_end1865-_ZN7rocprim17ROCPRIM_400000_NS6detail17trampoline_kernelINS0_14default_configENS1_36segmented_radix_sort_config_selectorI6__halflEEZNS1_25segmented_radix_sort_implIS3_Lb0EPKS5_PS5_PKlPlN2at6native12_GLOBAL__N_18offset_tEEE10hipError_tPvRmT1_PNSt15iterator_traitsISL_E10value_typeET2_T3_PNSM_ISR_E10value_typeET4_jRbjT5_SX_jjP12ihipStream_tbEUlT_E1_NS1_11comp_targetILNS1_3genE3ELNS1_11target_archE908ELNS1_3gpuE7ELNS1_3repE0EEENS1_59segmented_radix_sort_warp_sort_small_config_static_selectorELNS0_4arch9wavefront6targetE0EEEvSL_
                                        ; -- End function
	.set _ZN7rocprim17ROCPRIM_400000_NS6detail17trampoline_kernelINS0_14default_configENS1_36segmented_radix_sort_config_selectorI6__halflEEZNS1_25segmented_radix_sort_implIS3_Lb0EPKS5_PS5_PKlPlN2at6native12_GLOBAL__N_18offset_tEEE10hipError_tPvRmT1_PNSt15iterator_traitsISL_E10value_typeET2_T3_PNSM_ISR_E10value_typeET4_jRbjT5_SX_jjP12ihipStream_tbEUlT_E1_NS1_11comp_targetILNS1_3genE3ELNS1_11target_archE908ELNS1_3gpuE7ELNS1_3repE0EEENS1_59segmented_radix_sort_warp_sort_small_config_static_selectorELNS0_4arch9wavefront6targetE0EEEvSL_.num_vgpr, 0
	.set _ZN7rocprim17ROCPRIM_400000_NS6detail17trampoline_kernelINS0_14default_configENS1_36segmented_radix_sort_config_selectorI6__halflEEZNS1_25segmented_radix_sort_implIS3_Lb0EPKS5_PS5_PKlPlN2at6native12_GLOBAL__N_18offset_tEEE10hipError_tPvRmT1_PNSt15iterator_traitsISL_E10value_typeET2_T3_PNSM_ISR_E10value_typeET4_jRbjT5_SX_jjP12ihipStream_tbEUlT_E1_NS1_11comp_targetILNS1_3genE3ELNS1_11target_archE908ELNS1_3gpuE7ELNS1_3repE0EEENS1_59segmented_radix_sort_warp_sort_small_config_static_selectorELNS0_4arch9wavefront6targetE0EEEvSL_.num_agpr, 0
	.set _ZN7rocprim17ROCPRIM_400000_NS6detail17trampoline_kernelINS0_14default_configENS1_36segmented_radix_sort_config_selectorI6__halflEEZNS1_25segmented_radix_sort_implIS3_Lb0EPKS5_PS5_PKlPlN2at6native12_GLOBAL__N_18offset_tEEE10hipError_tPvRmT1_PNSt15iterator_traitsISL_E10value_typeET2_T3_PNSM_ISR_E10value_typeET4_jRbjT5_SX_jjP12ihipStream_tbEUlT_E1_NS1_11comp_targetILNS1_3genE3ELNS1_11target_archE908ELNS1_3gpuE7ELNS1_3repE0EEENS1_59segmented_radix_sort_warp_sort_small_config_static_selectorELNS0_4arch9wavefront6targetE0EEEvSL_.numbered_sgpr, 0
	.set _ZN7rocprim17ROCPRIM_400000_NS6detail17trampoline_kernelINS0_14default_configENS1_36segmented_radix_sort_config_selectorI6__halflEEZNS1_25segmented_radix_sort_implIS3_Lb0EPKS5_PS5_PKlPlN2at6native12_GLOBAL__N_18offset_tEEE10hipError_tPvRmT1_PNSt15iterator_traitsISL_E10value_typeET2_T3_PNSM_ISR_E10value_typeET4_jRbjT5_SX_jjP12ihipStream_tbEUlT_E1_NS1_11comp_targetILNS1_3genE3ELNS1_11target_archE908ELNS1_3gpuE7ELNS1_3repE0EEENS1_59segmented_radix_sort_warp_sort_small_config_static_selectorELNS0_4arch9wavefront6targetE0EEEvSL_.num_named_barrier, 0
	.set _ZN7rocprim17ROCPRIM_400000_NS6detail17trampoline_kernelINS0_14default_configENS1_36segmented_radix_sort_config_selectorI6__halflEEZNS1_25segmented_radix_sort_implIS3_Lb0EPKS5_PS5_PKlPlN2at6native12_GLOBAL__N_18offset_tEEE10hipError_tPvRmT1_PNSt15iterator_traitsISL_E10value_typeET2_T3_PNSM_ISR_E10value_typeET4_jRbjT5_SX_jjP12ihipStream_tbEUlT_E1_NS1_11comp_targetILNS1_3genE3ELNS1_11target_archE908ELNS1_3gpuE7ELNS1_3repE0EEENS1_59segmented_radix_sort_warp_sort_small_config_static_selectorELNS0_4arch9wavefront6targetE0EEEvSL_.private_seg_size, 0
	.set _ZN7rocprim17ROCPRIM_400000_NS6detail17trampoline_kernelINS0_14default_configENS1_36segmented_radix_sort_config_selectorI6__halflEEZNS1_25segmented_radix_sort_implIS3_Lb0EPKS5_PS5_PKlPlN2at6native12_GLOBAL__N_18offset_tEEE10hipError_tPvRmT1_PNSt15iterator_traitsISL_E10value_typeET2_T3_PNSM_ISR_E10value_typeET4_jRbjT5_SX_jjP12ihipStream_tbEUlT_E1_NS1_11comp_targetILNS1_3genE3ELNS1_11target_archE908ELNS1_3gpuE7ELNS1_3repE0EEENS1_59segmented_radix_sort_warp_sort_small_config_static_selectorELNS0_4arch9wavefront6targetE0EEEvSL_.uses_vcc, 0
	.set _ZN7rocprim17ROCPRIM_400000_NS6detail17trampoline_kernelINS0_14default_configENS1_36segmented_radix_sort_config_selectorI6__halflEEZNS1_25segmented_radix_sort_implIS3_Lb0EPKS5_PS5_PKlPlN2at6native12_GLOBAL__N_18offset_tEEE10hipError_tPvRmT1_PNSt15iterator_traitsISL_E10value_typeET2_T3_PNSM_ISR_E10value_typeET4_jRbjT5_SX_jjP12ihipStream_tbEUlT_E1_NS1_11comp_targetILNS1_3genE3ELNS1_11target_archE908ELNS1_3gpuE7ELNS1_3repE0EEENS1_59segmented_radix_sort_warp_sort_small_config_static_selectorELNS0_4arch9wavefront6targetE0EEEvSL_.uses_flat_scratch, 0
	.set _ZN7rocprim17ROCPRIM_400000_NS6detail17trampoline_kernelINS0_14default_configENS1_36segmented_radix_sort_config_selectorI6__halflEEZNS1_25segmented_radix_sort_implIS3_Lb0EPKS5_PS5_PKlPlN2at6native12_GLOBAL__N_18offset_tEEE10hipError_tPvRmT1_PNSt15iterator_traitsISL_E10value_typeET2_T3_PNSM_ISR_E10value_typeET4_jRbjT5_SX_jjP12ihipStream_tbEUlT_E1_NS1_11comp_targetILNS1_3genE3ELNS1_11target_archE908ELNS1_3gpuE7ELNS1_3repE0EEENS1_59segmented_radix_sort_warp_sort_small_config_static_selectorELNS0_4arch9wavefront6targetE0EEEvSL_.has_dyn_sized_stack, 0
	.set _ZN7rocprim17ROCPRIM_400000_NS6detail17trampoline_kernelINS0_14default_configENS1_36segmented_radix_sort_config_selectorI6__halflEEZNS1_25segmented_radix_sort_implIS3_Lb0EPKS5_PS5_PKlPlN2at6native12_GLOBAL__N_18offset_tEEE10hipError_tPvRmT1_PNSt15iterator_traitsISL_E10value_typeET2_T3_PNSM_ISR_E10value_typeET4_jRbjT5_SX_jjP12ihipStream_tbEUlT_E1_NS1_11comp_targetILNS1_3genE3ELNS1_11target_archE908ELNS1_3gpuE7ELNS1_3repE0EEENS1_59segmented_radix_sort_warp_sort_small_config_static_selectorELNS0_4arch9wavefront6targetE0EEEvSL_.has_recursion, 0
	.set _ZN7rocprim17ROCPRIM_400000_NS6detail17trampoline_kernelINS0_14default_configENS1_36segmented_radix_sort_config_selectorI6__halflEEZNS1_25segmented_radix_sort_implIS3_Lb0EPKS5_PS5_PKlPlN2at6native12_GLOBAL__N_18offset_tEEE10hipError_tPvRmT1_PNSt15iterator_traitsISL_E10value_typeET2_T3_PNSM_ISR_E10value_typeET4_jRbjT5_SX_jjP12ihipStream_tbEUlT_E1_NS1_11comp_targetILNS1_3genE3ELNS1_11target_archE908ELNS1_3gpuE7ELNS1_3repE0EEENS1_59segmented_radix_sort_warp_sort_small_config_static_selectorELNS0_4arch9wavefront6targetE0EEEvSL_.has_indirect_call, 0
	.section	.AMDGPU.csdata,"",@progbits
; Kernel info:
; codeLenInByte = 0
; TotalNumSgprs: 0
; NumVgprs: 0
; ScratchSize: 0
; MemoryBound: 0
; FloatMode: 240
; IeeeMode: 1
; LDSByteSize: 0 bytes/workgroup (compile time only)
; SGPRBlocks: 0
; VGPRBlocks: 0
; NumSGPRsForWavesPerEU: 1
; NumVGPRsForWavesPerEU: 1
; Occupancy: 16
; WaveLimiterHint : 0
; COMPUTE_PGM_RSRC2:SCRATCH_EN: 0
; COMPUTE_PGM_RSRC2:USER_SGPR: 2
; COMPUTE_PGM_RSRC2:TRAP_HANDLER: 0
; COMPUTE_PGM_RSRC2:TGID_X_EN: 1
; COMPUTE_PGM_RSRC2:TGID_Y_EN: 0
; COMPUTE_PGM_RSRC2:TGID_Z_EN: 0
; COMPUTE_PGM_RSRC2:TIDIG_COMP_CNT: 0
	.section	.text._ZN7rocprim17ROCPRIM_400000_NS6detail17trampoline_kernelINS0_14default_configENS1_36segmented_radix_sort_config_selectorI6__halflEEZNS1_25segmented_radix_sort_implIS3_Lb0EPKS5_PS5_PKlPlN2at6native12_GLOBAL__N_18offset_tEEE10hipError_tPvRmT1_PNSt15iterator_traitsISL_E10value_typeET2_T3_PNSM_ISR_E10value_typeET4_jRbjT5_SX_jjP12ihipStream_tbEUlT_E1_NS1_11comp_targetILNS1_3genE2ELNS1_11target_archE906ELNS1_3gpuE6ELNS1_3repE0EEENS1_59segmented_radix_sort_warp_sort_small_config_static_selectorELNS0_4arch9wavefront6targetE0EEEvSL_,"axG",@progbits,_ZN7rocprim17ROCPRIM_400000_NS6detail17trampoline_kernelINS0_14default_configENS1_36segmented_radix_sort_config_selectorI6__halflEEZNS1_25segmented_radix_sort_implIS3_Lb0EPKS5_PS5_PKlPlN2at6native12_GLOBAL__N_18offset_tEEE10hipError_tPvRmT1_PNSt15iterator_traitsISL_E10value_typeET2_T3_PNSM_ISR_E10value_typeET4_jRbjT5_SX_jjP12ihipStream_tbEUlT_E1_NS1_11comp_targetILNS1_3genE2ELNS1_11target_archE906ELNS1_3gpuE6ELNS1_3repE0EEENS1_59segmented_radix_sort_warp_sort_small_config_static_selectorELNS0_4arch9wavefront6targetE0EEEvSL_,comdat
	.globl	_ZN7rocprim17ROCPRIM_400000_NS6detail17trampoline_kernelINS0_14default_configENS1_36segmented_radix_sort_config_selectorI6__halflEEZNS1_25segmented_radix_sort_implIS3_Lb0EPKS5_PS5_PKlPlN2at6native12_GLOBAL__N_18offset_tEEE10hipError_tPvRmT1_PNSt15iterator_traitsISL_E10value_typeET2_T3_PNSM_ISR_E10value_typeET4_jRbjT5_SX_jjP12ihipStream_tbEUlT_E1_NS1_11comp_targetILNS1_3genE2ELNS1_11target_archE906ELNS1_3gpuE6ELNS1_3repE0EEENS1_59segmented_radix_sort_warp_sort_small_config_static_selectorELNS0_4arch9wavefront6targetE0EEEvSL_ ; -- Begin function _ZN7rocprim17ROCPRIM_400000_NS6detail17trampoline_kernelINS0_14default_configENS1_36segmented_radix_sort_config_selectorI6__halflEEZNS1_25segmented_radix_sort_implIS3_Lb0EPKS5_PS5_PKlPlN2at6native12_GLOBAL__N_18offset_tEEE10hipError_tPvRmT1_PNSt15iterator_traitsISL_E10value_typeET2_T3_PNSM_ISR_E10value_typeET4_jRbjT5_SX_jjP12ihipStream_tbEUlT_E1_NS1_11comp_targetILNS1_3genE2ELNS1_11target_archE906ELNS1_3gpuE6ELNS1_3repE0EEENS1_59segmented_radix_sort_warp_sort_small_config_static_selectorELNS0_4arch9wavefront6targetE0EEEvSL_
	.p2align	8
	.type	_ZN7rocprim17ROCPRIM_400000_NS6detail17trampoline_kernelINS0_14default_configENS1_36segmented_radix_sort_config_selectorI6__halflEEZNS1_25segmented_radix_sort_implIS3_Lb0EPKS5_PS5_PKlPlN2at6native12_GLOBAL__N_18offset_tEEE10hipError_tPvRmT1_PNSt15iterator_traitsISL_E10value_typeET2_T3_PNSM_ISR_E10value_typeET4_jRbjT5_SX_jjP12ihipStream_tbEUlT_E1_NS1_11comp_targetILNS1_3genE2ELNS1_11target_archE906ELNS1_3gpuE6ELNS1_3repE0EEENS1_59segmented_radix_sort_warp_sort_small_config_static_selectorELNS0_4arch9wavefront6targetE0EEEvSL_,@function
_ZN7rocprim17ROCPRIM_400000_NS6detail17trampoline_kernelINS0_14default_configENS1_36segmented_radix_sort_config_selectorI6__halflEEZNS1_25segmented_radix_sort_implIS3_Lb0EPKS5_PS5_PKlPlN2at6native12_GLOBAL__N_18offset_tEEE10hipError_tPvRmT1_PNSt15iterator_traitsISL_E10value_typeET2_T3_PNSM_ISR_E10value_typeET4_jRbjT5_SX_jjP12ihipStream_tbEUlT_E1_NS1_11comp_targetILNS1_3genE2ELNS1_11target_archE906ELNS1_3gpuE6ELNS1_3repE0EEENS1_59segmented_radix_sort_warp_sort_small_config_static_selectorELNS0_4arch9wavefront6targetE0EEEvSL_: ; @_ZN7rocprim17ROCPRIM_400000_NS6detail17trampoline_kernelINS0_14default_configENS1_36segmented_radix_sort_config_selectorI6__halflEEZNS1_25segmented_radix_sort_implIS3_Lb0EPKS5_PS5_PKlPlN2at6native12_GLOBAL__N_18offset_tEEE10hipError_tPvRmT1_PNSt15iterator_traitsISL_E10value_typeET2_T3_PNSM_ISR_E10value_typeET4_jRbjT5_SX_jjP12ihipStream_tbEUlT_E1_NS1_11comp_targetILNS1_3genE2ELNS1_11target_archE906ELNS1_3gpuE6ELNS1_3repE0EEENS1_59segmented_radix_sort_warp_sort_small_config_static_selectorELNS0_4arch9wavefront6targetE0EEEvSL_
; %bb.0:
	.section	.rodata,"a",@progbits
	.p2align	6, 0x0
	.amdhsa_kernel _ZN7rocprim17ROCPRIM_400000_NS6detail17trampoline_kernelINS0_14default_configENS1_36segmented_radix_sort_config_selectorI6__halflEEZNS1_25segmented_radix_sort_implIS3_Lb0EPKS5_PS5_PKlPlN2at6native12_GLOBAL__N_18offset_tEEE10hipError_tPvRmT1_PNSt15iterator_traitsISL_E10value_typeET2_T3_PNSM_ISR_E10value_typeET4_jRbjT5_SX_jjP12ihipStream_tbEUlT_E1_NS1_11comp_targetILNS1_3genE2ELNS1_11target_archE906ELNS1_3gpuE6ELNS1_3repE0EEENS1_59segmented_radix_sort_warp_sort_small_config_static_selectorELNS0_4arch9wavefront6targetE0EEEvSL_
		.amdhsa_group_segment_fixed_size 0
		.amdhsa_private_segment_fixed_size 0
		.amdhsa_kernarg_size 88
		.amdhsa_user_sgpr_count 2
		.amdhsa_user_sgpr_dispatch_ptr 0
		.amdhsa_user_sgpr_queue_ptr 0
		.amdhsa_user_sgpr_kernarg_segment_ptr 1
		.amdhsa_user_sgpr_dispatch_id 0
		.amdhsa_user_sgpr_private_segment_size 0
		.amdhsa_wavefront_size32 1
		.amdhsa_uses_dynamic_stack 0
		.amdhsa_enable_private_segment 0
		.amdhsa_system_sgpr_workgroup_id_x 1
		.amdhsa_system_sgpr_workgroup_id_y 0
		.amdhsa_system_sgpr_workgroup_id_z 0
		.amdhsa_system_sgpr_workgroup_info 0
		.amdhsa_system_vgpr_workitem_id 0
		.amdhsa_next_free_vgpr 1
		.amdhsa_next_free_sgpr 1
		.amdhsa_reserve_vcc 0
		.amdhsa_float_round_mode_32 0
		.amdhsa_float_round_mode_16_64 0
		.amdhsa_float_denorm_mode_32 3
		.amdhsa_float_denorm_mode_16_64 3
		.amdhsa_fp16_overflow 0
		.amdhsa_workgroup_processor_mode 1
		.amdhsa_memory_ordered 1
		.amdhsa_forward_progress 1
		.amdhsa_inst_pref_size 0
		.amdhsa_round_robin_scheduling 0
		.amdhsa_exception_fp_ieee_invalid_op 0
		.amdhsa_exception_fp_denorm_src 0
		.amdhsa_exception_fp_ieee_div_zero 0
		.amdhsa_exception_fp_ieee_overflow 0
		.amdhsa_exception_fp_ieee_underflow 0
		.amdhsa_exception_fp_ieee_inexact 0
		.amdhsa_exception_int_div_zero 0
	.end_amdhsa_kernel
	.section	.text._ZN7rocprim17ROCPRIM_400000_NS6detail17trampoline_kernelINS0_14default_configENS1_36segmented_radix_sort_config_selectorI6__halflEEZNS1_25segmented_radix_sort_implIS3_Lb0EPKS5_PS5_PKlPlN2at6native12_GLOBAL__N_18offset_tEEE10hipError_tPvRmT1_PNSt15iterator_traitsISL_E10value_typeET2_T3_PNSM_ISR_E10value_typeET4_jRbjT5_SX_jjP12ihipStream_tbEUlT_E1_NS1_11comp_targetILNS1_3genE2ELNS1_11target_archE906ELNS1_3gpuE6ELNS1_3repE0EEENS1_59segmented_radix_sort_warp_sort_small_config_static_selectorELNS0_4arch9wavefront6targetE0EEEvSL_,"axG",@progbits,_ZN7rocprim17ROCPRIM_400000_NS6detail17trampoline_kernelINS0_14default_configENS1_36segmented_radix_sort_config_selectorI6__halflEEZNS1_25segmented_radix_sort_implIS3_Lb0EPKS5_PS5_PKlPlN2at6native12_GLOBAL__N_18offset_tEEE10hipError_tPvRmT1_PNSt15iterator_traitsISL_E10value_typeET2_T3_PNSM_ISR_E10value_typeET4_jRbjT5_SX_jjP12ihipStream_tbEUlT_E1_NS1_11comp_targetILNS1_3genE2ELNS1_11target_archE906ELNS1_3gpuE6ELNS1_3repE0EEENS1_59segmented_radix_sort_warp_sort_small_config_static_selectorELNS0_4arch9wavefront6targetE0EEEvSL_,comdat
.Lfunc_end1866:
	.size	_ZN7rocprim17ROCPRIM_400000_NS6detail17trampoline_kernelINS0_14default_configENS1_36segmented_radix_sort_config_selectorI6__halflEEZNS1_25segmented_radix_sort_implIS3_Lb0EPKS5_PS5_PKlPlN2at6native12_GLOBAL__N_18offset_tEEE10hipError_tPvRmT1_PNSt15iterator_traitsISL_E10value_typeET2_T3_PNSM_ISR_E10value_typeET4_jRbjT5_SX_jjP12ihipStream_tbEUlT_E1_NS1_11comp_targetILNS1_3genE2ELNS1_11target_archE906ELNS1_3gpuE6ELNS1_3repE0EEENS1_59segmented_radix_sort_warp_sort_small_config_static_selectorELNS0_4arch9wavefront6targetE0EEEvSL_, .Lfunc_end1866-_ZN7rocprim17ROCPRIM_400000_NS6detail17trampoline_kernelINS0_14default_configENS1_36segmented_radix_sort_config_selectorI6__halflEEZNS1_25segmented_radix_sort_implIS3_Lb0EPKS5_PS5_PKlPlN2at6native12_GLOBAL__N_18offset_tEEE10hipError_tPvRmT1_PNSt15iterator_traitsISL_E10value_typeET2_T3_PNSM_ISR_E10value_typeET4_jRbjT5_SX_jjP12ihipStream_tbEUlT_E1_NS1_11comp_targetILNS1_3genE2ELNS1_11target_archE906ELNS1_3gpuE6ELNS1_3repE0EEENS1_59segmented_radix_sort_warp_sort_small_config_static_selectorELNS0_4arch9wavefront6targetE0EEEvSL_
                                        ; -- End function
	.set _ZN7rocprim17ROCPRIM_400000_NS6detail17trampoline_kernelINS0_14default_configENS1_36segmented_radix_sort_config_selectorI6__halflEEZNS1_25segmented_radix_sort_implIS3_Lb0EPKS5_PS5_PKlPlN2at6native12_GLOBAL__N_18offset_tEEE10hipError_tPvRmT1_PNSt15iterator_traitsISL_E10value_typeET2_T3_PNSM_ISR_E10value_typeET4_jRbjT5_SX_jjP12ihipStream_tbEUlT_E1_NS1_11comp_targetILNS1_3genE2ELNS1_11target_archE906ELNS1_3gpuE6ELNS1_3repE0EEENS1_59segmented_radix_sort_warp_sort_small_config_static_selectorELNS0_4arch9wavefront6targetE0EEEvSL_.num_vgpr, 0
	.set _ZN7rocprim17ROCPRIM_400000_NS6detail17trampoline_kernelINS0_14default_configENS1_36segmented_radix_sort_config_selectorI6__halflEEZNS1_25segmented_radix_sort_implIS3_Lb0EPKS5_PS5_PKlPlN2at6native12_GLOBAL__N_18offset_tEEE10hipError_tPvRmT1_PNSt15iterator_traitsISL_E10value_typeET2_T3_PNSM_ISR_E10value_typeET4_jRbjT5_SX_jjP12ihipStream_tbEUlT_E1_NS1_11comp_targetILNS1_3genE2ELNS1_11target_archE906ELNS1_3gpuE6ELNS1_3repE0EEENS1_59segmented_radix_sort_warp_sort_small_config_static_selectorELNS0_4arch9wavefront6targetE0EEEvSL_.num_agpr, 0
	.set _ZN7rocprim17ROCPRIM_400000_NS6detail17trampoline_kernelINS0_14default_configENS1_36segmented_radix_sort_config_selectorI6__halflEEZNS1_25segmented_radix_sort_implIS3_Lb0EPKS5_PS5_PKlPlN2at6native12_GLOBAL__N_18offset_tEEE10hipError_tPvRmT1_PNSt15iterator_traitsISL_E10value_typeET2_T3_PNSM_ISR_E10value_typeET4_jRbjT5_SX_jjP12ihipStream_tbEUlT_E1_NS1_11comp_targetILNS1_3genE2ELNS1_11target_archE906ELNS1_3gpuE6ELNS1_3repE0EEENS1_59segmented_radix_sort_warp_sort_small_config_static_selectorELNS0_4arch9wavefront6targetE0EEEvSL_.numbered_sgpr, 0
	.set _ZN7rocprim17ROCPRIM_400000_NS6detail17trampoline_kernelINS0_14default_configENS1_36segmented_radix_sort_config_selectorI6__halflEEZNS1_25segmented_radix_sort_implIS3_Lb0EPKS5_PS5_PKlPlN2at6native12_GLOBAL__N_18offset_tEEE10hipError_tPvRmT1_PNSt15iterator_traitsISL_E10value_typeET2_T3_PNSM_ISR_E10value_typeET4_jRbjT5_SX_jjP12ihipStream_tbEUlT_E1_NS1_11comp_targetILNS1_3genE2ELNS1_11target_archE906ELNS1_3gpuE6ELNS1_3repE0EEENS1_59segmented_radix_sort_warp_sort_small_config_static_selectorELNS0_4arch9wavefront6targetE0EEEvSL_.num_named_barrier, 0
	.set _ZN7rocprim17ROCPRIM_400000_NS6detail17trampoline_kernelINS0_14default_configENS1_36segmented_radix_sort_config_selectorI6__halflEEZNS1_25segmented_radix_sort_implIS3_Lb0EPKS5_PS5_PKlPlN2at6native12_GLOBAL__N_18offset_tEEE10hipError_tPvRmT1_PNSt15iterator_traitsISL_E10value_typeET2_T3_PNSM_ISR_E10value_typeET4_jRbjT5_SX_jjP12ihipStream_tbEUlT_E1_NS1_11comp_targetILNS1_3genE2ELNS1_11target_archE906ELNS1_3gpuE6ELNS1_3repE0EEENS1_59segmented_radix_sort_warp_sort_small_config_static_selectorELNS0_4arch9wavefront6targetE0EEEvSL_.private_seg_size, 0
	.set _ZN7rocprim17ROCPRIM_400000_NS6detail17trampoline_kernelINS0_14default_configENS1_36segmented_radix_sort_config_selectorI6__halflEEZNS1_25segmented_radix_sort_implIS3_Lb0EPKS5_PS5_PKlPlN2at6native12_GLOBAL__N_18offset_tEEE10hipError_tPvRmT1_PNSt15iterator_traitsISL_E10value_typeET2_T3_PNSM_ISR_E10value_typeET4_jRbjT5_SX_jjP12ihipStream_tbEUlT_E1_NS1_11comp_targetILNS1_3genE2ELNS1_11target_archE906ELNS1_3gpuE6ELNS1_3repE0EEENS1_59segmented_radix_sort_warp_sort_small_config_static_selectorELNS0_4arch9wavefront6targetE0EEEvSL_.uses_vcc, 0
	.set _ZN7rocprim17ROCPRIM_400000_NS6detail17trampoline_kernelINS0_14default_configENS1_36segmented_radix_sort_config_selectorI6__halflEEZNS1_25segmented_radix_sort_implIS3_Lb0EPKS5_PS5_PKlPlN2at6native12_GLOBAL__N_18offset_tEEE10hipError_tPvRmT1_PNSt15iterator_traitsISL_E10value_typeET2_T3_PNSM_ISR_E10value_typeET4_jRbjT5_SX_jjP12ihipStream_tbEUlT_E1_NS1_11comp_targetILNS1_3genE2ELNS1_11target_archE906ELNS1_3gpuE6ELNS1_3repE0EEENS1_59segmented_radix_sort_warp_sort_small_config_static_selectorELNS0_4arch9wavefront6targetE0EEEvSL_.uses_flat_scratch, 0
	.set _ZN7rocprim17ROCPRIM_400000_NS6detail17trampoline_kernelINS0_14default_configENS1_36segmented_radix_sort_config_selectorI6__halflEEZNS1_25segmented_radix_sort_implIS3_Lb0EPKS5_PS5_PKlPlN2at6native12_GLOBAL__N_18offset_tEEE10hipError_tPvRmT1_PNSt15iterator_traitsISL_E10value_typeET2_T3_PNSM_ISR_E10value_typeET4_jRbjT5_SX_jjP12ihipStream_tbEUlT_E1_NS1_11comp_targetILNS1_3genE2ELNS1_11target_archE906ELNS1_3gpuE6ELNS1_3repE0EEENS1_59segmented_radix_sort_warp_sort_small_config_static_selectorELNS0_4arch9wavefront6targetE0EEEvSL_.has_dyn_sized_stack, 0
	.set _ZN7rocprim17ROCPRIM_400000_NS6detail17trampoline_kernelINS0_14default_configENS1_36segmented_radix_sort_config_selectorI6__halflEEZNS1_25segmented_radix_sort_implIS3_Lb0EPKS5_PS5_PKlPlN2at6native12_GLOBAL__N_18offset_tEEE10hipError_tPvRmT1_PNSt15iterator_traitsISL_E10value_typeET2_T3_PNSM_ISR_E10value_typeET4_jRbjT5_SX_jjP12ihipStream_tbEUlT_E1_NS1_11comp_targetILNS1_3genE2ELNS1_11target_archE906ELNS1_3gpuE6ELNS1_3repE0EEENS1_59segmented_radix_sort_warp_sort_small_config_static_selectorELNS0_4arch9wavefront6targetE0EEEvSL_.has_recursion, 0
	.set _ZN7rocprim17ROCPRIM_400000_NS6detail17trampoline_kernelINS0_14default_configENS1_36segmented_radix_sort_config_selectorI6__halflEEZNS1_25segmented_radix_sort_implIS3_Lb0EPKS5_PS5_PKlPlN2at6native12_GLOBAL__N_18offset_tEEE10hipError_tPvRmT1_PNSt15iterator_traitsISL_E10value_typeET2_T3_PNSM_ISR_E10value_typeET4_jRbjT5_SX_jjP12ihipStream_tbEUlT_E1_NS1_11comp_targetILNS1_3genE2ELNS1_11target_archE906ELNS1_3gpuE6ELNS1_3repE0EEENS1_59segmented_radix_sort_warp_sort_small_config_static_selectorELNS0_4arch9wavefront6targetE0EEEvSL_.has_indirect_call, 0
	.section	.AMDGPU.csdata,"",@progbits
; Kernel info:
; codeLenInByte = 0
; TotalNumSgprs: 0
; NumVgprs: 0
; ScratchSize: 0
; MemoryBound: 0
; FloatMode: 240
; IeeeMode: 1
; LDSByteSize: 0 bytes/workgroup (compile time only)
; SGPRBlocks: 0
; VGPRBlocks: 0
; NumSGPRsForWavesPerEU: 1
; NumVGPRsForWavesPerEU: 1
; Occupancy: 16
; WaveLimiterHint : 0
; COMPUTE_PGM_RSRC2:SCRATCH_EN: 0
; COMPUTE_PGM_RSRC2:USER_SGPR: 2
; COMPUTE_PGM_RSRC2:TRAP_HANDLER: 0
; COMPUTE_PGM_RSRC2:TGID_X_EN: 1
; COMPUTE_PGM_RSRC2:TGID_Y_EN: 0
; COMPUTE_PGM_RSRC2:TGID_Z_EN: 0
; COMPUTE_PGM_RSRC2:TIDIG_COMP_CNT: 0
	.text
	.p2align	2                               ; -- Begin function _ZN7rocprim17ROCPRIM_400000_NS6detail26segmented_warp_sort_helperINS1_20WarpSortHelperConfigILj8ELj4ELj256EEE6__halflLi256ELb0EvE4sortIPKS5_PS5_PKlPlEEvT_SA_T0_T1_SD_T2_bjjjjRNS6_12storage_typeE
	.type	_ZN7rocprim17ROCPRIM_400000_NS6detail26segmented_warp_sort_helperINS1_20WarpSortHelperConfigILj8ELj4ELj256EEE6__halflLi256ELb0EvE4sortIPKS5_PS5_PKlPlEEvT_SA_T0_T1_SD_T2_bjjjjRNS6_12storage_typeE,@function
_ZN7rocprim17ROCPRIM_400000_NS6detail26segmented_warp_sort_helperINS1_20WarpSortHelperConfigILj8ELj4ELj256EEE6__halflLi256ELb0EvE4sortIPKS5_PS5_PKlPlEEvT_SA_T0_T1_SD_T2_bjjjjRNS6_12storage_typeE: ; @_ZN7rocprim17ROCPRIM_400000_NS6detail26segmented_warp_sort_helperINS1_20WarpSortHelperConfigILj8ELj4ELj256EEE6__halflLi256ELb0EvE4sortIPKS5_PS5_PKlPlEEvT_SA_T0_T1_SD_T2_bjjjjRNS6_12storage_typeE
; %bb.0:
	s_wait_loadcnt_dscnt 0x0
	s_wait_expcnt 0x0
	s_wait_samplecnt 0x0
	s_wait_bvhcnt 0x0
	s_wait_kmcnt 0x0
	v_mov_b32_e32 v17, v14
	v_mbcnt_lo_u32_b32 v14, -1, 0
	v_and_b32_e32 v18, 1, v12
	s_mov_b32 s5, 0
	s_delay_alu instid0(VALU_DEP_2) | instskip(NEXT) | instid1(VALU_DEP_2)
	v_lshlrev_b32_e32 v36, 2, v14
	v_cmp_ne_u32_e64 s0, 1, v18
	v_sub_nc_u32_e32 v25, v17, v13
                                        ; implicit-def: $vgpr17_vgpr18_vgpr19_vgpr20_vgpr21_vgpr22_vgpr23_vgpr24
	s_delay_alu instid0(VALU_DEP_3) | instskip(NEXT) | instid1(VALU_DEP_1)
	v_and_b32_e32 v12, 28, v36
	v_dual_mov_b32 v14, 0 :: v_dual_lshlrev_b32 v35, 1, v12
	s_delay_alu instid0(VALU_DEP_1) | instskip(NEXT) | instid1(VALU_DEP_1)
	v_lshlrev_b64_e32 v[33:34], 1, v[13:14]
	v_add_co_u32 v0, vcc_lo, v0, v33
	s_wait_alu 0xfffd
	s_delay_alu instid0(VALU_DEP_2) | instskip(NEXT) | instid1(VALU_DEP_2)
	v_add_co_ci_u32_e64 v1, null, v1, v34, vcc_lo
	v_add_co_u32 v0, vcc_lo, v0, v35
	s_wait_alu 0xfffd
	s_delay_alu instid0(VALU_DEP_2)
	v_add_co_ci_u32_e64 v1, null, 0, v1, vcc_lo
	v_cmp_lt_u32_e32 vcc_lo, v12, v25
	s_and_saveexec_b32 s1, s0
	s_wait_alu 0xfffe
	s_xor_b32 s6, exec_lo, s1
	s_cbranch_execnz .LBB1867_4
; %bb.1:
	s_wait_alu 0xfffe
	s_and_not1_saveexec_b32 s6, s6
	s_cbranch_execnz .LBB1867_109
.LBB1867_2:
	s_wait_alu 0xfffe
	s_or_b32 exec_lo, exec_lo, s6
	s_and_saveexec_b32 s0, s5
	s_cbranch_execnz .LBB1867_214
.LBB1867_3:
	s_wait_alu 0xfffe
	s_or_b32 exec_lo, exec_lo, s0
	s_wait_loadcnt_dscnt 0x0
	s_wait_alu 0xfffd
	s_setpc_b64 s[30:31]
.LBB1867_4:
	v_dual_mov_b32 v37, 0x7fff :: v_dual_mov_b32 v38, 0x7fff
	s_and_saveexec_b32 s0, vcc_lo
	s_cbranch_execz .LBB1867_6
; %bb.5:
	flat_load_u16 v38, v[0:1]
.LBB1867_6:
	s_wait_alu 0xfffe
	s_or_b32 exec_lo, exec_lo, s0
	v_or_b32_e32 v4, 1, v12
	s_delay_alu instid0(VALU_DEP_1)
	v_cmp_lt_u32_e64 s0, v4, v25
	s_and_saveexec_b32 s1, s0
	s_cbranch_execz .LBB1867_8
; %bb.7:
	flat_load_u16 v37, v[0:1] offset:2
.LBB1867_8:
	s_wait_alu 0xfffe
	s_or_b32 exec_lo, exec_lo, s1
	v_or_b32_e32 v4, 2, v12
	v_mov_b32_e32 v11, 0x7fff
	v_mov_b32_e32 v39, 0x7fff
	s_delay_alu instid0(VALU_DEP_3)
	v_cmp_lt_u32_e64 s1, v4, v25
	s_and_saveexec_b32 s2, s1
	s_cbranch_execz .LBB1867_10
; %bb.9:
	flat_load_u16 v39, v[0:1] offset:4
.LBB1867_10:
	s_wait_alu 0xfffe
	s_or_b32 exec_lo, exec_lo, s2
	v_or_b32_e32 v4, 3, v12
	s_delay_alu instid0(VALU_DEP_1)
	v_cmp_lt_u32_e64 s2, v4, v25
	s_and_saveexec_b32 s3, s2
	s_cbranch_execz .LBB1867_12
; %bb.11:
	flat_load_u16 v11, v[0:1] offset:6
.LBB1867_12:
	s_wait_alu 0xfffe
	s_or_b32 exec_lo, exec_lo, s3
	v_lshlrev_b64_e32 v[0:1], 3, v[13:14]
	v_dual_mov_b32 v17, 0 :: v_dual_lshlrev_b32 v10, 3, v12
	; wave barrier
	s_delay_alu instid0(VALU_DEP_2) | instskip(SKIP_1) | instid1(VALU_DEP_3)
	v_add_co_u32 v4, s3, v6, v0
	s_wait_alu 0xf1ff
	v_add_co_ci_u32_e64 v5, null, v7, v1, s3
	s_delay_alu instid0(VALU_DEP_3) | instskip(NEXT) | instid1(VALU_DEP_3)
	v_dual_mov_b32 v18, v17 :: v_dual_mov_b32 v19, v17
	v_add_co_u32 v4, s3, v4, v10
	s_wait_alu 0xf1ff
	s_delay_alu instid0(VALU_DEP_3)
	v_add_co_ci_u32_e64 v5, null, 0, v5, s3
	v_dual_mov_b32 v20, v17 :: v_dual_mov_b32 v21, v17
	v_dual_mov_b32 v22, v17 :: v_dual_mov_b32 v23, v17
	v_mov_b32_e32 v24, v17
	s_and_saveexec_b32 s3, vcc_lo
	s_cbranch_execnz .LBB1867_215
; %bb.13:
	s_wait_alu 0xfffe
	s_or_b32 exec_lo, exec_lo, s3
	s_and_saveexec_b32 s3, s0
	s_cbranch_execnz .LBB1867_216
.LBB1867_14:
	s_wait_alu 0xfffe
	s_or_b32 exec_lo, exec_lo, s3
	s_and_saveexec_b32 s3, s1
	s_cbranch_execnz .LBB1867_217
.LBB1867_15:
	s_wait_alu 0xfffe
	s_or_b32 exec_lo, exec_lo, s3
	s_and_saveexec_b32 s3, s2
	s_cbranch_execz .LBB1867_17
.LBB1867_16:
	flat_load_b64 v[23:24], v[4:5] offset:24
.LBB1867_17:
	s_wait_alu 0xfffe
	s_or_b32 exec_lo, exec_lo, s3
	; wave barrier
	s_load_b64 s[4:5], s[8:9], 0x0
	s_and_b32 s3, ttmp7, 0xffff
	s_mov_b32 s11, 0
	v_bfe_u32 v4, v31, 10, 10
	v_bfe_u32 v5, v31, 20, 10
	s_wait_kmcnt 0x0
	s_wait_alu 0xfffe
	s_cmp_lt_u32 s3, s5
	s_cselect_b32 s10, 14, 20
	s_cmp_lt_u32 ttmp9, s4
	s_wait_alu 0xfffe
	s_add_nc_u64 s[12:13], s[8:9], s[10:11]
	s_cselect_b32 s10, 12, 18
	s_load_u16 s3, s[12:13], 0x0
	s_add_nc_u64 s[4:5], s[8:9], s[10:11]
	s_load_u16 s4, s[4:5], 0x0
	s_mov_b32 s5, exec_lo
	s_wait_kmcnt 0x0
	v_mad_u32_u24 v4, v5, s3, v4
	v_and_b32_e32 v5, 0x3ff, v31
	s_delay_alu instid0(VALU_DEP_2) | instskip(NEXT) | instid1(VALU_DEP_1)
	v_mul_lo_u32 v4, v4, s4
	v_add_lshl_u32 v4, v4, v5, 2
	s_delay_alu instid0(VALU_DEP_1)
	v_cmpx_gt_u32_e32 0x400, v4
	s_cbranch_execz .LBB1867_27
; %bb.18:
	s_wait_loadcnt_dscnt 0x0
	v_add_f16_e32 v5, 0, v38
	v_add_f16_e32 v6, 0, v37
	;; [unrolled: 1-line block ×4, first 2 shown]
	s_mov_b32 s7, exec_lo
	v_cmp_lt_i16_e64 s3, -1, v5
	v_dual_mov_b32 v30, v22 :: v_dual_mov_b32 v29, v21
	v_dual_mov_b32 v32, v24 :: v_dual_mov_b32 v31, v23
	s_wait_alu 0xf1ff
	s_delay_alu instid0(VALU_DEP_3) | instskip(SKIP_1) | instid1(VALU_DEP_2)
	v_cndmask_b32_e64 v25, -1, 0xffff8000, s3
	v_cmp_lt_i16_e64 s3, -1, v6
	v_xor_b32_e32 v5, v25, v5
	s_wait_alu 0xf1ff
	s_delay_alu instid0(VALU_DEP_2) | instskip(SKIP_1) | instid1(VALU_DEP_2)
	v_cndmask_b32_e64 v26, -1, 0xffff8000, s3
	v_cmp_lt_i16_e64 s3, -1, v7
	v_xor_b32_e32 v6, v26, v6
	s_wait_alu 0xf1ff
	s_delay_alu instid0(VALU_DEP_2) | instskip(SKIP_2) | instid1(VALU_DEP_1)
	v_cndmask_b32_e64 v25, -1, 0xffff8000, s3
	v_cmp_lt_i16_e64 s3, -1, v48
	s_wait_alu 0xf1ff
	v_cndmask_b32_e64 v26, -1, 0xffff8000, s3
	v_cmp_gt_u16_e64 s3, v5, v6
	v_mov_b32_e32 v5, v39
	v_xor_b32_e32 v6, v25, v7
	s_delay_alu instid0(VALU_DEP_4)
	v_xor_b32_e32 v49, v26, v48
	s_wait_alu 0xf1ff
	v_cndmask_b32_e64 v28, v20, v18, s3
	v_cndmask_b32_e64 v27, v19, v17, s3
	;; [unrolled: 1-line block ×4, first 2 shown]
	v_cmpx_gt_u16_e64 v6, v49
; %bb.19:
	v_dual_mov_b32 v5, v11 :: v_dual_mov_b32 v30, v24
	v_dual_mov_b32 v11, v39 :: v_dual_mov_b32 v32, v22
	;; [unrolled: 1-line block ×3, first 2 shown]
	v_mov_b32_e32 v29, v23
	v_mov_b32_e32 v31, v21
; %bb.20:
	s_wait_alu 0xfffe
	s_or_b32 exec_lo, exec_lo, s7
	v_cndmask_b32_e64 v19, v37, v38, s3
	s_delay_alu instid0(VALU_DEP_1) | instskip(NEXT) | instid1(VALU_DEP_1)
	v_add_f16_e32 v17, 0, v19
	v_cmp_lt_i16_e64 s4, -1, v17
	s_wait_alu 0xf1ff
	s_delay_alu instid0(VALU_DEP_1) | instskip(NEXT) | instid1(VALU_DEP_1)
	v_cndmask_b32_e64 v18, -1, 0xffff8000, s4
	v_xor_b32_e32 v20, v18, v17
	v_mov_b32_e32 v18, v7
	s_delay_alu instid0(VALU_DEP_2)
	v_cmp_gt_u16_e64 s4, v20, v6
	v_mov_b32_e32 v6, v19
	s_and_saveexec_b32 s7, s4
	s_wait_alu 0xfffe
	s_xor_b32 s4, exec_lo, s7
	s_cbranch_execz .LBB1867_22
; %bb.21:
	v_dual_mov_b32 v55, v32 :: v_dual_mov_b32 v54, v31
	v_dual_mov_b32 v53, v30 :: v_dual_mov_b32 v52, v29
	;; [unrolled: 1-line block ×7, first 2 shown]
	s_delay_alu instid0(VALU_DEP_4) | instskip(NEXT) | instid1(VALU_DEP_4)
	v_dual_mov_b32 v25, v48 :: v_dual_mov_b32 v26, v49
	v_dual_mov_b32 v27, v50 :: v_dual_mov_b32 v28, v51
	s_delay_alu instid0(VALU_DEP_4) | instskip(NEXT) | instid1(VALU_DEP_4)
	v_dual_mov_b32 v29, v52 :: v_dual_mov_b32 v30, v53
	v_dual_mov_b32 v31, v54 :: v_dual_mov_b32 v32, v55
	v_mov_b32_e32 v18, v17
	v_dual_mov_b32 v6, v5 :: v_dual_mov_b32 v17, v7
	v_mov_b32_e32 v5, v19
.LBB1867_22:
	s_wait_alu 0xfffe
	s_or_b32 exec_lo, exec_lo, s4
	v_cndmask_b32_e64 v7, v38, v37, s3
	v_cmp_lt_i16_e64 s3, -1, v17
	v_add_f16_e32 v22, 0, v11
	s_mov_b32 s7, exec_lo
	v_add_f16_e32 v19, 0, v7
	s_wait_alu 0xf1ff
	v_cndmask_b32_e64 v20, -1, 0xffff8000, s3
	s_delay_alu instid0(VALU_DEP_2) | instskip(NEXT) | instid1(VALU_DEP_2)
	v_cmp_lt_i16_e64 s3, -1, v19
	v_xor_b32_e32 v17, v20, v17
	s_wait_alu 0xf1ff
	s_delay_alu instid0(VALU_DEP_2) | instskip(SKIP_1) | instid1(VALU_DEP_2)
	v_cndmask_b32_e64 v21, -1, 0xffff8000, s3
	v_cmp_lt_i16_e64 s3, -1, v18
	v_xor_b32_e32 v19, v21, v19
	s_wait_alu 0xf1ff
	s_delay_alu instid0(VALU_DEP_2) | instskip(SKIP_2) | instid1(VALU_DEP_3)
	v_cndmask_b32_e64 v23, -1, 0xffff8000, s3
	v_cmp_lt_i16_e64 s3, -1, v22
	v_mov_b32_e32 v21, v29
	v_xor_b32_e32 v38, v23, v18
	s_wait_alu 0xf1ff
	s_delay_alu instid0(VALU_DEP_3) | instskip(SKIP_2) | instid1(VALU_DEP_3)
	v_cndmask_b32_e64 v24, -1, 0xffff8000, s3
	v_cmp_gt_u16_e64 s3, v19, v17
	v_mov_b32_e32 v23, v31
	v_xor_b32_e32 v37, v24, v22
	v_mov_b32_e32 v22, v30
	v_mov_b32_e32 v24, v32
	s_wait_alu 0xf1ff
	v_cndmask_b32_e64 v20, v28, v26, s3
	v_cndmask_b32_e64 v19, v27, v25, s3
	;; [unrolled: 1-line block ×4, first 2 shown]
	v_mov_b32_e32 v25, v5
	v_cmpx_gt_u16_e64 v38, v37
; %bb.23:
	v_dual_mov_b32 v21, v31 :: v_dual_mov_b32 v22, v32
	v_dual_mov_b32 v23, v29 :: v_dual_mov_b32 v24, v30
	;; [unrolled: 1-line block ×3, first 2 shown]
	v_mov_b32_e32 v11, v5
; %bb.24:
	s_wait_alu 0xfffe
	s_or_b32 exec_lo, exec_lo, s7
	v_cndmask_b32_e64 v37, v6, v7, s3
	v_mov_b32_e32 v39, v25
	s_mov_b32 s7, exec_lo
	s_delay_alu instid0(VALU_DEP_2) | instskip(NEXT) | instid1(VALU_DEP_1)
	v_add_f16_e32 v5, 0, v37
	v_cmp_lt_i16_e64 s4, -1, v5
	s_wait_alu 0xf1ff
	s_delay_alu instid0(VALU_DEP_1) | instskip(NEXT) | instid1(VALU_DEP_1)
	v_cndmask_b32_e64 v26, -1, 0xffff8000, s4
	v_xor_b32_e32 v5, v26, v5
	s_delay_alu instid0(VALU_DEP_1)
	v_cmpx_gt_u16_e64 v5, v38
	s_cbranch_execz .LBB1867_26
; %bb.25:
	v_dual_mov_b32 v48, v17 :: v_dual_mov_b32 v49, v18
	v_dual_mov_b32 v50, v21 :: v_dual_mov_b32 v51, v22
	;; [unrolled: 1-line block ×4, first 2 shown]
	s_delay_alu instid0(VALU_DEP_4) | instskip(NEXT) | instid1(VALU_DEP_4)
	v_dual_mov_b32 v17, v48 :: v_dual_mov_b32 v18, v49
	v_dual_mov_b32 v19, v50 :: v_dual_mov_b32 v20, v51
	s_delay_alu instid0(VALU_DEP_4) | instskip(NEXT) | instid1(VALU_DEP_4)
	v_dual_mov_b32 v21, v52 :: v_dual_mov_b32 v22, v53
	v_dual_mov_b32 v23, v54 :: v_dual_mov_b32 v24, v55
	v_mov_b32_e32 v39, v37
	v_mov_b32_e32 v37, v25
.LBB1867_26:
	s_wait_alu 0xfffe
	s_or_b32 exec_lo, exec_lo, s7
	v_cndmask_b32_e64 v38, v7, v6, s3
.LBB1867_27:
	s_wait_alu 0xfffe
	s_or_b32 exec_lo, exec_lo, s5
	v_dual_mov_b32 v5, 0 :: v_dual_and_b32 v4, 0xffffff80, v4
	v_or_b32_e32 v26, 4, v36
	v_and_b32_e32 v32, 0x78, v36
	s_mov_b32 s4, exec_lo
	s_delay_alu instid0(VALU_DEP_3) | instskip(SKIP_1) | instid1(VALU_DEP_2)
	v_sub_nc_u32_e64 v25, 0x400, v4 clamp
	v_lshlrev_b64_e32 v[6:7], 1, v[4:5]
	v_min_u32_e32 v30, v25, v26
	s_delay_alu instid0(VALU_DEP_2) | instskip(SKIP_1) | instid1(VALU_DEP_3)
	v_add_co_u32 v6, s3, v15, v6
	s_wait_alu 0xf1ff
	v_add_co_ci_u32_e64 v7, null, v16, v7, s3
	s_delay_alu instid0(VALU_DEP_3) | instskip(NEXT) | instid1(VALU_DEP_2)
	v_add_nc_u32_e32 v15, 4, v30
	v_mad_co_u64_u32 v[4:5], null, v4, 6, v[6:7]
	v_and_b32_e32 v5, 4, v36
	s_delay_alu instid0(VALU_DEP_3) | instskip(SKIP_1) | instid1(VALU_DEP_3)
	v_min_u32_e32 v31, v25, v15
	v_sub_nc_u32_e32 v15, v30, v32
	v_min_u32_e32 v48, v25, v5
	s_delay_alu instid0(VALU_DEP_3)
	v_sub_nc_u32_e32 v7, v31, v30
	v_lshl_add_u32 v5, v36, 1, v6
	v_lshl_add_u32 v29, v36, 3, v4
	s_wait_loadcnt_dscnt 0x0
	ds_store_b16 v5, v38
	ds_store_b64 v29, v[17:18] offset:2048
	v_sub_nc_u32_e64 v49, v48, v7 clamp
	v_min_u32_e32 v7, v48, v15
	ds_store_b16 v5, v37 offset:2
	ds_store_b64 v29, v[19:20] offset:2056
	ds_store_b16 v5, v39 offset:4
	ds_store_b64 v29, v[21:22] offset:2064
	;; [unrolled: 2-line block ×3, first 2 shown]
	; wave barrier
	v_cmpx_lt_u32_e64 v49, v7
	s_cbranch_execz .LBB1867_31
; %bb.28:
	v_lshlrev_b32_e32 v15, 1, v32
	v_lshlrev_b32_e32 v16, 1, v30
	s_mov_b32 s5, 0
	s_delay_alu instid0(VALU_DEP_2) | instskip(NEXT) | instid1(VALU_DEP_2)
	v_add_co_u32 v15, null, v6, v15
	v_add_co_u32 v16, null, v6, v16
.LBB1867_29:                            ; =>This Inner Loop Header: Depth=1
	v_add_nc_u32_e32 v26, v7, v49
	s_delay_alu instid0(VALU_DEP_1) | instskip(SKIP_1) | instid1(VALU_DEP_2)
	v_lshrrev_b32_e32 v27, 1, v26
	v_and_b32_e32 v26, -2, v26
	v_xad_u32 v28, v27, -1, v48
	s_delay_alu instid0(VALU_DEP_2) | instskip(NEXT) | instid1(VALU_DEP_2)
	v_add_nc_u32_e32 v26, v15, v26
	v_lshl_add_u32 v28, v28, 1, v16
	ds_load_u16 v26, v26
	ds_load_u16 v28, v28
	s_wait_dscnt 0x1
	v_add_f16_e32 v26, 0, v26
	s_wait_dscnt 0x0
	v_add_f16_e32 v28, 0, v28
	s_delay_alu instid0(VALU_DEP_2) | instskip(SKIP_1) | instid1(VALU_DEP_1)
	v_cmp_lt_i16_e64 s3, -1, v26
	s_wait_alu 0xf1ff
	v_cndmask_b32_e64 v50, -1, 0xffff8000, s3
	s_delay_alu instid0(VALU_DEP_3) | instskip(NEXT) | instid1(VALU_DEP_2)
	v_cmp_lt_i16_e64 s3, -1, v28
	v_xor_b32_e32 v26, v50, v26
	s_wait_alu 0xf1ff
	s_delay_alu instid0(VALU_DEP_2) | instskip(SKIP_1) | instid1(VALU_DEP_2)
	v_cndmask_b32_e64 v51, -1, 0xffff8000, s3
	v_add_nc_u32_e32 v50, 1, v27
	v_xor_b32_e32 v28, v51, v28
	s_delay_alu instid0(VALU_DEP_1) | instskip(SKIP_1) | instid1(VALU_DEP_1)
	v_cmp_gt_u16_e64 s3, v26, v28
	s_wait_alu 0xf1ff
	v_cndmask_b32_e64 v7, v7, v27, s3
	v_cndmask_b32_e64 v49, v50, v49, s3
	s_delay_alu instid0(VALU_DEP_1)
	v_cmp_ge_u32_e64 s3, v49, v7
	s_wait_alu 0xfffe
	s_or_b32 s5, s3, s5
	s_wait_alu 0xfffe
	s_and_not1_b32 exec_lo, exec_lo, s5
	s_cbranch_execnz .LBB1867_29
; %bb.30:
	s_or_b32 exec_lo, exec_lo, s5
.LBB1867_31:
	s_wait_alu 0xfffe
	s_or_b32 exec_lo, exec_lo, s4
	v_add_nc_u32_e32 v50, v30, v48
	v_add_nc_u32_e32 v48, v49, v32
	v_add_nc_u32_e32 v27, 0x800, v29
	v_add_nc_u32_e32 v7, 2, v5
	v_add_nc_u32_e32 v15, 0x808, v29
	v_sub_nc_u32_e32 v49, v50, v49
	v_cmp_le_u32_e64 s3, v48, v30
	v_add_nc_u32_e32 v16, 4, v5
	v_add_nc_u32_e32 v28, 0x810, v29
	;; [unrolled: 1-line block ×3, first 2 shown]
	v_cmp_le_u32_e64 s4, v49, v31
	v_add_nc_u32_e32 v29, 0x818, v29
	s_or_b32 s3, s3, s4
	s_wait_alu 0xfffe
	s_and_saveexec_b32 s5, s3
	s_cbranch_execz .LBB1867_51
; %bb.32:
	v_cmp_ge_u32_e64 s3, v48, v30
	s_mov_b32 s7, exec_lo
                                        ; implicit-def: $vgpr11
	v_cmpx_lt_u32_e64 v48, v30
; %bb.33:
	v_lshl_add_u32 v11, v48, 1, v6
	ds_load_u16 v11, v11
; %bb.34:
	s_wait_alu 0xfffe
	s_or_b32 exec_lo, exec_lo, s7
	v_cmp_ge_u32_e64 s7, v49, v31
	s_mov_b32 s10, exec_lo
                                        ; implicit-def: $vgpr32
	v_cmpx_lt_u32_e64 v49, v31
; %bb.35:
	v_lshl_add_u32 v17, v49, 1, v6
	ds_load_u16 v32, v17
; %bb.36:
	s_wait_alu 0xfffe
	s_or_b32 exec_lo, exec_lo, s10
	s_nor_b32 s3, s3, s7
	s_wait_alu 0xfffe
	s_and_saveexec_b32 s4, s3
	s_cbranch_execz .LBB1867_38
; %bb.37:
	s_wait_dscnt 0x0
	v_add_f16_e32 v17, 0, v11
	v_add_f16_e32 v18, 0, v32
	s_and_not1_b32 s7, s7, exec_lo
	s_delay_alu instid0(VALU_DEP_2) | instskip(SKIP_1) | instid1(VALU_DEP_1)
	v_cmp_lt_i16_e64 s3, -1, v17
	s_wait_alu 0xf1ff
	v_cndmask_b32_e64 v19, -1, 0xffff8000, s3
	v_cmp_lt_i16_e64 s3, -1, v18
	s_delay_alu instid0(VALU_DEP_2) | instskip(SKIP_1) | instid1(VALU_DEP_2)
	v_xor_b32_e32 v17, v19, v17
	s_wait_alu 0xf1ff
	v_cndmask_b32_e64 v20, -1, 0xffff8000, s3
	s_delay_alu instid0(VALU_DEP_1) | instskip(NEXT) | instid1(VALU_DEP_1)
	v_xor_b32_e32 v18, v20, v18
	v_cmp_le_u16_e64 s3, v17, v18
	s_and_b32 s3, s3, exec_lo
	s_wait_alu 0xfffe
	s_or_b32 s7, s7, s3
.LBB1867_38:
	s_wait_alu 0xfffe
	s_or_b32 exec_lo, exec_lo, s4
	v_cndmask_b32_e64 v17, v49, v48, s7
	v_cndmask_b32_e64 v18, v31, v30, s7
	s_mov_b32 s10, -1
	s_mov_b32 s4, -1
	s_mov_b32 s11, exec_lo
	v_add_nc_u32_e32 v19, 1, v17
	v_add_nc_u32_e32 v18, -1, v18
	v_lshl_add_u32 v17, v17, 3, v4
	s_delay_alu instid0(VALU_DEP_3) | instskip(NEXT) | instid1(VALU_DEP_3)
	v_cndmask_b32_e64 v21, v19, v49, s7
	v_min_u32_e32 v18, v19, v18
	v_cndmask_b32_e64 v22, v48, v19, s7
	s_delay_alu instid0(VALU_DEP_2)
	v_lshl_add_u32 v18, v18, 1, v6
	ds_load_u16 v20, v18
	ds_load_b64 v[17:18], v17 offset:2048
	s_wait_dscnt 0x1
	v_cndmask_b32_e64 v37, v20, v32, s7
	v_cndmask_b32_e64 v38, v11, v20, s7
	v_cmpx_lt_u32_e64 v21, v31
	s_cbranch_execz .LBB1867_42
; %bb.39:
	s_mov_b32 s12, 0
	s_mov_b32 s4, exec_lo
	v_cmpx_lt_u32_e64 v22, v30
	s_cbranch_execz .LBB1867_41
; %bb.40:
	v_add_f16_e32 v19, 0, v38
	v_add_f16_e32 v20, 0, v37
	s_delay_alu instid0(VALU_DEP_2) | instskip(SKIP_1) | instid1(VALU_DEP_1)
	v_cmp_lt_i16_e64 s3, -1, v19
	s_wait_alu 0xf1ff
	v_cndmask_b32_e64 v23, -1, 0xffff8000, s3
	s_delay_alu instid0(VALU_DEP_3) | instskip(NEXT) | instid1(VALU_DEP_2)
	v_cmp_lt_i16_e64 s3, -1, v20
	v_xor_b32_e32 v19, v23, v19
	s_wait_alu 0xf1ff
	s_delay_alu instid0(VALU_DEP_2) | instskip(NEXT) | instid1(VALU_DEP_1)
	v_cndmask_b32_e64 v24, -1, 0xffff8000, s3
	v_xor_b32_e32 v20, v24, v20
	s_delay_alu instid0(VALU_DEP_1)
	v_cmp_le_u16_e64 s3, v19, v20
	s_and_b32 s12, s3, exec_lo
.LBB1867_41:
	s_wait_alu 0xfffe
	s_or_b32 exec_lo, exec_lo, s4
	s_delay_alu instid0(SALU_CYCLE_1)
	s_or_not1_b32 s4, s12, exec_lo
.LBB1867_42:
	s_wait_alu 0xfffe
	s_or_b32 exec_lo, exec_lo, s11
	v_cndmask_b32_e64 v19, v21, v22, s4
	v_cndmask_b32_e64 v20, v31, v30, s4
	s_mov_b32 s11, exec_lo
	s_delay_alu instid0(VALU_DEP_2) | instskip(NEXT) | instid1(VALU_DEP_2)
	v_add_nc_u32_e32 v24, 1, v19
	v_add_nc_u32_e32 v20, -1, v20
	v_lshl_add_u32 v19, v19, 3, v4
	s_delay_alu instid0(VALU_DEP_3) | instskip(NEXT) | instid1(VALU_DEP_3)
	v_cndmask_b32_e64 v23, v24, v21, s4
	v_min_u32_e32 v20, v24, v20
	v_cndmask_b32_e64 v24, v22, v24, s4
	s_delay_alu instid0(VALU_DEP_2)
	v_lshl_add_u32 v20, v20, 1, v6
	ds_load_u16 v48, v20
	ds_load_b64 v[19:20], v19 offset:2048
	s_wait_dscnt 0x1
	v_cndmask_b32_e64 v39, v48, v37, s4
	v_cndmask_b32_e64 v48, v38, v48, s4
	v_cmpx_lt_u32_e64 v23, v31
	s_cbranch_execz .LBB1867_46
; %bb.43:
	s_mov_b32 s12, 0
	s_mov_b32 s10, exec_lo
	v_cmpx_lt_u32_e64 v24, v30
	s_cbranch_execz .LBB1867_45
; %bb.44:
	v_add_f16_e32 v21, 0, v48
	v_add_f16_e32 v22, 0, v39
	s_delay_alu instid0(VALU_DEP_2) | instskip(SKIP_1) | instid1(VALU_DEP_1)
	v_cmp_lt_i16_e64 s3, -1, v21
	s_wait_alu 0xf1ff
	v_cndmask_b32_e64 v49, -1, 0xffff8000, s3
	s_delay_alu instid0(VALU_DEP_3) | instskip(NEXT) | instid1(VALU_DEP_2)
	v_cmp_lt_i16_e64 s3, -1, v22
	v_xor_b32_e32 v21, v49, v21
	s_wait_alu 0xf1ff
	s_delay_alu instid0(VALU_DEP_2) | instskip(NEXT) | instid1(VALU_DEP_1)
	v_cndmask_b32_e64 v50, -1, 0xffff8000, s3
	v_xor_b32_e32 v22, v50, v22
	s_delay_alu instid0(VALU_DEP_1)
	v_cmp_le_u16_e64 s3, v21, v22
	s_and_b32 s12, s3, exec_lo
.LBB1867_45:
	s_wait_alu 0xfffe
	s_or_b32 exec_lo, exec_lo, s10
	s_delay_alu instid0(SALU_CYCLE_1)
	s_or_not1_b32 s10, s12, exec_lo
.LBB1867_46:
	s_wait_alu 0xfffe
	s_or_b32 exec_lo, exec_lo, s11
	v_cndmask_b32_e64 v21, v23, v24, s10
	v_cndmask_b32_e64 v22, v31, v30, s10
	s_mov_b32 s12, -1
	s_mov_b32 s11, exec_lo
	s_delay_alu instid0(VALU_DEP_2) | instskip(NEXT) | instid1(VALU_DEP_2)
	v_add_nc_u32_e32 v49, 1, v21
	v_add_nc_u32_e32 v22, -1, v22
	v_lshl_add_u32 v21, v21, 3, v4
	s_delay_alu instid0(VALU_DEP_3) | instskip(NEXT) | instid1(VALU_DEP_3)
	v_cndmask_b32_e64 v23, v49, v23, s10
	v_min_u32_e32 v22, v49, v22
	v_cndmask_b32_e64 v24, v24, v49, s10
	s_delay_alu instid0(VALU_DEP_2)
	v_lshl_add_u32 v22, v22, 1, v6
	ds_load_u16 v50, v22
	ds_load_b64 v[21:22], v21 offset:2048
	s_wait_dscnt 0x1
	v_cndmask_b32_e64 v49, v50, v39, s10
	v_cndmask_b32_e64 v50, v48, v50, s10
	v_cmpx_lt_u32_e64 v23, v31
	s_cbranch_execz .LBB1867_50
; %bb.47:
	s_mov_b32 s13, 0
	s_mov_b32 s12, exec_lo
	v_cmpx_lt_u32_e64 v24, v30
	s_cbranch_execz .LBB1867_49
; %bb.48:
	v_add_f16_e32 v30, 0, v50
	v_add_f16_e32 v31, 0, v49
	s_delay_alu instid0(VALU_DEP_2) | instskip(SKIP_1) | instid1(VALU_DEP_1)
	v_cmp_lt_i16_e64 s3, -1, v30
	s_wait_alu 0xf1ff
	v_cndmask_b32_e64 v51, -1, 0xffff8000, s3
	s_delay_alu instid0(VALU_DEP_3) | instskip(NEXT) | instid1(VALU_DEP_2)
	v_cmp_lt_i16_e64 s3, -1, v31
	v_xor_b32_e32 v30, v51, v30
	s_wait_alu 0xf1ff
	s_delay_alu instid0(VALU_DEP_2) | instskip(NEXT) | instid1(VALU_DEP_1)
	v_cndmask_b32_e64 v52, -1, 0xffff8000, s3
	v_xor_b32_e32 v31, v52, v31
	s_delay_alu instid0(VALU_DEP_1)
	v_cmp_le_u16_e64 s3, v30, v31
	s_and_b32 s13, s3, exec_lo
.LBB1867_49:
	s_wait_alu 0xfffe
	s_or_b32 exec_lo, exec_lo, s12
	s_delay_alu instid0(SALU_CYCLE_1)
	s_or_not1_b32 s12, s13, exec_lo
.LBB1867_50:
	s_wait_alu 0xfffe
	s_or_b32 exec_lo, exec_lo, s11
	v_cndmask_b32_e64 v23, v23, v24, s12
	v_cndmask_b32_e64 v39, v39, v48, s10
	;; [unrolled: 1-line block ×5, first 2 shown]
	v_lshl_add_u32 v23, v23, 3, v4
	ds_load_b64 v[23:24], v23 offset:2048
.LBB1867_51:
	s_wait_alu 0xfffe
	s_or_b32 exec_lo, exec_lo, s5
	v_and_b32_e32 v32, 0x70, v36
	v_and_b32_e32 v48, 12, v36
	s_mov_b32 s4, exec_lo
	; wave barrier
	s_delay_alu instid0(VALU_DEP_2) | instskip(NEXT) | instid1(VALU_DEP_2)
	v_or_b32_e32 v30, 8, v32
	v_min_u32_e32 v48, v25, v48
	ds_store_b16 v5, v38
	ds_store_b64 v27, v[17:18]
	ds_store_b16 v7, v37
	ds_store_b64 v15, v[19:20]
	ds_store_b16 v16, v39
	s_wait_dscnt 0x6
	ds_store_b64 v28, v[21:22]
	ds_store_b16 v26, v11
	s_wait_dscnt 0x7
	ds_store_b64 v29, v[23:24]
	v_min_u32_e32 v30, v25, v30
	; wave barrier
	s_delay_alu instid0(VALU_DEP_1) | instskip(SKIP_1) | instid1(VALU_DEP_2)
	v_add_nc_u32_e32 v31, 8, v30
	v_sub_nc_u32_e32 v50, v30, v32
	v_min_u32_e32 v31, v25, v31
	s_delay_alu instid0(VALU_DEP_2) | instskip(NEXT) | instid1(VALU_DEP_2)
	v_min_u32_e32 v50, v48, v50
	v_sub_nc_u32_e32 v49, v31, v30
	s_delay_alu instid0(VALU_DEP_1) | instskip(NEXT) | instid1(VALU_DEP_1)
	v_sub_nc_u32_e64 v49, v48, v49 clamp
	v_cmpx_lt_u32_e64 v49, v50
	s_cbranch_execz .LBB1867_55
; %bb.52:
	v_lshlrev_b32_e32 v51, 1, v32
	v_lshlrev_b32_e32 v52, 1, v30
	s_mov_b32 s5, 0
	s_delay_alu instid0(VALU_DEP_2) | instskip(NEXT) | instid1(VALU_DEP_2)
	v_add_co_u32 v51, null, v6, v51
	v_add_co_u32 v52, null, v6, v52
.LBB1867_53:                            ; =>This Inner Loop Header: Depth=1
	v_add_nc_u32_e32 v53, v50, v49
	s_delay_alu instid0(VALU_DEP_1) | instskip(SKIP_1) | instid1(VALU_DEP_2)
	v_lshrrev_b32_e32 v54, 1, v53
	v_and_b32_e32 v53, -2, v53
	v_xad_u32 v55, v54, -1, v48
	s_delay_alu instid0(VALU_DEP_2) | instskip(NEXT) | instid1(VALU_DEP_2)
	v_add_nc_u32_e32 v53, v51, v53
	v_lshl_add_u32 v55, v55, 1, v52
	ds_load_u16 v53, v53
	ds_load_u16 v55, v55
	s_wait_dscnt 0x1
	v_add_f16_e32 v53, 0, v53
	s_wait_dscnt 0x0
	v_add_f16_e32 v55, 0, v55
	s_delay_alu instid0(VALU_DEP_2) | instskip(SKIP_1) | instid1(VALU_DEP_1)
	v_cmp_lt_i16_e64 s3, -1, v53
	s_wait_alu 0xf1ff
	v_cndmask_b32_e64 v64, -1, 0xffff8000, s3
	s_delay_alu instid0(VALU_DEP_3) | instskip(NEXT) | instid1(VALU_DEP_2)
	v_cmp_lt_i16_e64 s3, -1, v55
	v_xor_b32_e32 v53, v64, v53
	s_wait_alu 0xf1ff
	s_delay_alu instid0(VALU_DEP_2) | instskip(SKIP_1) | instid1(VALU_DEP_2)
	v_cndmask_b32_e64 v65, -1, 0xffff8000, s3
	v_add_nc_u32_e32 v64, 1, v54
	v_xor_b32_e32 v55, v65, v55
	s_delay_alu instid0(VALU_DEP_1) | instskip(SKIP_1) | instid1(VALU_DEP_1)
	v_cmp_gt_u16_e64 s3, v53, v55
	s_wait_alu 0xf1ff
	v_cndmask_b32_e64 v50, v50, v54, s3
	v_cndmask_b32_e64 v49, v64, v49, s3
	s_delay_alu instid0(VALU_DEP_1)
	v_cmp_ge_u32_e64 s3, v49, v50
	s_wait_alu 0xfffe
	s_or_b32 s5, s3, s5
	s_wait_alu 0xfffe
	s_and_not1_b32 exec_lo, exec_lo, s5
	s_cbranch_execnz .LBB1867_53
; %bb.54:
	s_or_b32 exec_lo, exec_lo, s5
.LBB1867_55:
	s_wait_alu 0xfffe
	s_or_b32 exec_lo, exec_lo, s4
	v_add_nc_u32_e32 v50, v30, v48
	v_add_nc_u32_e32 v48, v49, v32
	s_delay_alu instid0(VALU_DEP_2) | instskip(NEXT) | instid1(VALU_DEP_2)
	v_sub_nc_u32_e32 v49, v50, v49
	v_cmp_le_u32_e64 s3, v48, v30
	s_delay_alu instid0(VALU_DEP_2)
	v_cmp_le_u32_e64 s4, v49, v31
	s_or_b32 s3, s3, s4
	s_wait_alu 0xfffe
	s_and_saveexec_b32 s5, s3
	s_cbranch_execz .LBB1867_75
; %bb.56:
	v_cmp_ge_u32_e64 s3, v48, v30
	s_mov_b32 s7, exec_lo
                                        ; implicit-def: $vgpr11
	v_cmpx_lt_u32_e64 v48, v30
; %bb.57:
	v_lshl_add_u32 v11, v48, 1, v6
	ds_load_u16 v11, v11
; %bb.58:
	s_wait_alu 0xfffe
	s_or_b32 exec_lo, exec_lo, s7
	v_cmp_ge_u32_e64 s7, v49, v31
	s_mov_b32 s10, exec_lo
                                        ; implicit-def: $vgpr32
	v_cmpx_lt_u32_e64 v49, v31
; %bb.59:
	v_lshl_add_u32 v17, v49, 1, v6
	ds_load_u16 v32, v17
; %bb.60:
	s_wait_alu 0xfffe
	s_or_b32 exec_lo, exec_lo, s10
	s_nor_b32 s3, s3, s7
	s_wait_alu 0xfffe
	s_and_saveexec_b32 s4, s3
	s_cbranch_execz .LBB1867_62
; %bb.61:
	s_wait_dscnt 0x0
	v_add_f16_e32 v17, 0, v11
	v_add_f16_e32 v18, 0, v32
	s_and_not1_b32 s7, s7, exec_lo
	s_delay_alu instid0(VALU_DEP_2) | instskip(SKIP_1) | instid1(VALU_DEP_1)
	v_cmp_lt_i16_e64 s3, -1, v17
	s_wait_alu 0xf1ff
	v_cndmask_b32_e64 v19, -1, 0xffff8000, s3
	v_cmp_lt_i16_e64 s3, -1, v18
	s_delay_alu instid0(VALU_DEP_2) | instskip(SKIP_1) | instid1(VALU_DEP_2)
	v_xor_b32_e32 v17, v19, v17
	s_wait_alu 0xf1ff
	v_cndmask_b32_e64 v20, -1, 0xffff8000, s3
	s_delay_alu instid0(VALU_DEP_1) | instskip(NEXT) | instid1(VALU_DEP_1)
	v_xor_b32_e32 v18, v20, v18
	v_cmp_le_u16_e64 s3, v17, v18
	s_and_b32 s3, s3, exec_lo
	s_wait_alu 0xfffe
	s_or_b32 s7, s7, s3
.LBB1867_62:
	s_wait_alu 0xfffe
	s_or_b32 exec_lo, exec_lo, s4
	v_cndmask_b32_e64 v17, v49, v48, s7
	v_cndmask_b32_e64 v18, v31, v30, s7
	s_mov_b32 s10, -1
	s_mov_b32 s4, -1
	s_mov_b32 s11, exec_lo
	v_add_nc_u32_e32 v19, 1, v17
	v_add_nc_u32_e32 v18, -1, v18
	v_lshl_add_u32 v17, v17, 3, v4
	s_delay_alu instid0(VALU_DEP_3) | instskip(NEXT) | instid1(VALU_DEP_3)
	v_cndmask_b32_e64 v21, v19, v49, s7
	v_min_u32_e32 v18, v19, v18
	v_cndmask_b32_e64 v22, v48, v19, s7
	s_delay_alu instid0(VALU_DEP_2)
	v_lshl_add_u32 v18, v18, 1, v6
	ds_load_u16 v20, v18
	ds_load_b64 v[17:18], v17 offset:2048
	s_wait_dscnt 0x1
	v_cndmask_b32_e64 v37, v20, v32, s7
	v_cndmask_b32_e64 v38, v11, v20, s7
	v_cmpx_lt_u32_e64 v21, v31
	s_cbranch_execz .LBB1867_66
; %bb.63:
	s_mov_b32 s12, 0
	s_mov_b32 s4, exec_lo
	v_cmpx_lt_u32_e64 v22, v30
	s_cbranch_execz .LBB1867_65
; %bb.64:
	v_add_f16_e32 v19, 0, v38
	v_add_f16_e32 v20, 0, v37
	s_delay_alu instid0(VALU_DEP_2) | instskip(SKIP_1) | instid1(VALU_DEP_1)
	v_cmp_lt_i16_e64 s3, -1, v19
	s_wait_alu 0xf1ff
	v_cndmask_b32_e64 v23, -1, 0xffff8000, s3
	s_delay_alu instid0(VALU_DEP_3) | instskip(NEXT) | instid1(VALU_DEP_2)
	v_cmp_lt_i16_e64 s3, -1, v20
	v_xor_b32_e32 v19, v23, v19
	s_wait_alu 0xf1ff
	s_delay_alu instid0(VALU_DEP_2) | instskip(NEXT) | instid1(VALU_DEP_1)
	v_cndmask_b32_e64 v24, -1, 0xffff8000, s3
	v_xor_b32_e32 v20, v24, v20
	s_delay_alu instid0(VALU_DEP_1)
	v_cmp_le_u16_e64 s3, v19, v20
	s_and_b32 s12, s3, exec_lo
.LBB1867_65:
	s_wait_alu 0xfffe
	s_or_b32 exec_lo, exec_lo, s4
	s_delay_alu instid0(SALU_CYCLE_1)
	s_or_not1_b32 s4, s12, exec_lo
.LBB1867_66:
	s_wait_alu 0xfffe
	s_or_b32 exec_lo, exec_lo, s11
	v_cndmask_b32_e64 v19, v21, v22, s4
	v_cndmask_b32_e64 v20, v31, v30, s4
	s_mov_b32 s11, exec_lo
	s_delay_alu instid0(VALU_DEP_2) | instskip(NEXT) | instid1(VALU_DEP_2)
	v_add_nc_u32_e32 v24, 1, v19
	v_add_nc_u32_e32 v20, -1, v20
	v_lshl_add_u32 v19, v19, 3, v4
	s_delay_alu instid0(VALU_DEP_3) | instskip(NEXT) | instid1(VALU_DEP_3)
	v_cndmask_b32_e64 v23, v24, v21, s4
	v_min_u32_e32 v20, v24, v20
	v_cndmask_b32_e64 v24, v22, v24, s4
	s_delay_alu instid0(VALU_DEP_2)
	v_lshl_add_u32 v20, v20, 1, v6
	ds_load_u16 v48, v20
	ds_load_b64 v[19:20], v19 offset:2048
	s_wait_dscnt 0x1
	v_cndmask_b32_e64 v39, v48, v37, s4
	v_cndmask_b32_e64 v48, v38, v48, s4
	v_cmpx_lt_u32_e64 v23, v31
	s_cbranch_execz .LBB1867_70
; %bb.67:
	s_mov_b32 s12, 0
	s_mov_b32 s10, exec_lo
	v_cmpx_lt_u32_e64 v24, v30
	s_cbranch_execz .LBB1867_69
; %bb.68:
	v_add_f16_e32 v21, 0, v48
	v_add_f16_e32 v22, 0, v39
	s_delay_alu instid0(VALU_DEP_2) | instskip(SKIP_1) | instid1(VALU_DEP_1)
	v_cmp_lt_i16_e64 s3, -1, v21
	s_wait_alu 0xf1ff
	v_cndmask_b32_e64 v49, -1, 0xffff8000, s3
	s_delay_alu instid0(VALU_DEP_3) | instskip(NEXT) | instid1(VALU_DEP_2)
	v_cmp_lt_i16_e64 s3, -1, v22
	v_xor_b32_e32 v21, v49, v21
	s_wait_alu 0xf1ff
	s_delay_alu instid0(VALU_DEP_2) | instskip(NEXT) | instid1(VALU_DEP_1)
	v_cndmask_b32_e64 v50, -1, 0xffff8000, s3
	v_xor_b32_e32 v22, v50, v22
	s_delay_alu instid0(VALU_DEP_1)
	v_cmp_le_u16_e64 s3, v21, v22
	s_and_b32 s12, s3, exec_lo
.LBB1867_69:
	s_wait_alu 0xfffe
	s_or_b32 exec_lo, exec_lo, s10
	s_delay_alu instid0(SALU_CYCLE_1)
	s_or_not1_b32 s10, s12, exec_lo
.LBB1867_70:
	s_wait_alu 0xfffe
	s_or_b32 exec_lo, exec_lo, s11
	v_cndmask_b32_e64 v21, v23, v24, s10
	v_cndmask_b32_e64 v22, v31, v30, s10
	s_mov_b32 s12, -1
	s_mov_b32 s11, exec_lo
	s_delay_alu instid0(VALU_DEP_2) | instskip(NEXT) | instid1(VALU_DEP_2)
	v_add_nc_u32_e32 v49, 1, v21
	v_add_nc_u32_e32 v22, -1, v22
	v_lshl_add_u32 v21, v21, 3, v4
	s_delay_alu instid0(VALU_DEP_3) | instskip(NEXT) | instid1(VALU_DEP_3)
	v_cndmask_b32_e64 v23, v49, v23, s10
	v_min_u32_e32 v22, v49, v22
	v_cndmask_b32_e64 v24, v24, v49, s10
	s_delay_alu instid0(VALU_DEP_2)
	v_lshl_add_u32 v22, v22, 1, v6
	ds_load_u16 v50, v22
	ds_load_b64 v[21:22], v21 offset:2048
	s_wait_dscnt 0x1
	v_cndmask_b32_e64 v49, v50, v39, s10
	v_cndmask_b32_e64 v50, v48, v50, s10
	v_cmpx_lt_u32_e64 v23, v31
	s_cbranch_execz .LBB1867_74
; %bb.71:
	s_mov_b32 s13, 0
	s_mov_b32 s12, exec_lo
	v_cmpx_lt_u32_e64 v24, v30
	s_cbranch_execz .LBB1867_73
; %bb.72:
	v_add_f16_e32 v30, 0, v50
	v_add_f16_e32 v31, 0, v49
	s_delay_alu instid0(VALU_DEP_2) | instskip(SKIP_1) | instid1(VALU_DEP_1)
	v_cmp_lt_i16_e64 s3, -1, v30
	s_wait_alu 0xf1ff
	v_cndmask_b32_e64 v51, -1, 0xffff8000, s3
	s_delay_alu instid0(VALU_DEP_3) | instskip(NEXT) | instid1(VALU_DEP_2)
	v_cmp_lt_i16_e64 s3, -1, v31
	v_xor_b32_e32 v30, v51, v30
	s_wait_alu 0xf1ff
	s_delay_alu instid0(VALU_DEP_2) | instskip(NEXT) | instid1(VALU_DEP_1)
	v_cndmask_b32_e64 v52, -1, 0xffff8000, s3
	v_xor_b32_e32 v31, v52, v31
	s_delay_alu instid0(VALU_DEP_1)
	v_cmp_le_u16_e64 s3, v30, v31
	s_and_b32 s13, s3, exec_lo
.LBB1867_73:
	s_wait_alu 0xfffe
	s_or_b32 exec_lo, exec_lo, s12
	s_delay_alu instid0(SALU_CYCLE_1)
	s_or_not1_b32 s12, s13, exec_lo
.LBB1867_74:
	s_wait_alu 0xfffe
	s_or_b32 exec_lo, exec_lo, s11
	v_cndmask_b32_e64 v23, v23, v24, s12
	v_cndmask_b32_e64 v39, v39, v48, s10
	;; [unrolled: 1-line block ×5, first 2 shown]
	v_lshl_add_u32 v23, v23, 3, v4
	ds_load_b64 v[23:24], v23 offset:2048
.LBB1867_75:
	s_wait_alu 0xfffe
	s_or_b32 exec_lo, exec_lo, s5
	v_and_b32_e32 v32, 0x60, v36
	; wave barrier
	ds_store_b16 v5, v38
	ds_store_b64 v27, v[17:18]
	s_mov_b32 s4, exec_lo
	v_or_b32_e32 v30, 16, v32
	ds_store_b16 v7, v37
	ds_store_b64 v15, v[19:20]
	ds_store_b16 v16, v39
	s_wait_dscnt 0x6
	ds_store_b64 v28, v[21:22]
	ds_store_b16 v26, v11
	s_wait_dscnt 0x7
	ds_store_b64 v29, v[23:24]
	; wave barrier
	v_min_u32_e32 v30, v25, v30
	s_delay_alu instid0(VALU_DEP_1) | instskip(SKIP_1) | instid1(VALU_DEP_2)
	v_add_nc_u32_e32 v31, 16, v30
	v_sub_nc_u32_e32 v48, v30, v32
	v_min_u32_e32 v31, v25, v31
	v_min_u32_e32 v25, v25, v12
	s_delay_alu instid0(VALU_DEP_2) | instskip(NEXT) | instid1(VALU_DEP_2)
	v_sub_nc_u32_e32 v36, v31, v30
	v_min_u32_e32 v27, v25, v48
	s_delay_alu instid0(VALU_DEP_2) | instskip(NEXT) | instid1(VALU_DEP_1)
	v_sub_nc_u32_e64 v5, v25, v36 clamp
	v_cmpx_lt_u32_e64 v5, v27
	s_cbranch_execz .LBB1867_79
; %bb.76:
	v_lshlrev_b32_e32 v7, 1, v32
	v_lshlrev_b32_e32 v15, 1, v30
	s_mov_b32 s5, 0
	s_delay_alu instid0(VALU_DEP_2) | instskip(NEXT) | instid1(VALU_DEP_2)
	v_add_co_u32 v7, null, v6, v7
	v_add_co_u32 v15, null, v6, v15
.LBB1867_77:                            ; =>This Inner Loop Header: Depth=1
	v_add_nc_u32_e32 v16, v27, v5
	s_delay_alu instid0(VALU_DEP_1) | instskip(SKIP_1) | instid1(VALU_DEP_2)
	v_lshrrev_b32_e32 v26, 1, v16
	v_and_b32_e32 v16, -2, v16
	v_xad_u32 v28, v26, -1, v25
	s_delay_alu instid0(VALU_DEP_2) | instskip(NEXT) | instid1(VALU_DEP_2)
	v_add_nc_u32_e32 v16, v7, v16
	v_lshl_add_u32 v28, v28, 1, v15
	ds_load_u16 v16, v16
	ds_load_u16 v28, v28
	s_wait_dscnt 0x1
	v_add_f16_e32 v16, 0, v16
	s_wait_dscnt 0x0
	v_add_f16_e32 v28, 0, v28
	s_delay_alu instid0(VALU_DEP_2) | instskip(SKIP_1) | instid1(VALU_DEP_1)
	v_cmp_lt_i16_e64 s3, -1, v16
	s_wait_alu 0xf1ff
	v_cndmask_b32_e64 v29, -1, 0xffff8000, s3
	s_delay_alu instid0(VALU_DEP_3) | instskip(NEXT) | instid1(VALU_DEP_2)
	v_cmp_lt_i16_e64 s3, -1, v28
	v_xor_b32_e32 v16, v29, v16
	s_wait_alu 0xf1ff
	s_delay_alu instid0(VALU_DEP_2) | instskip(SKIP_1) | instid1(VALU_DEP_2)
	v_cndmask_b32_e64 v36, -1, 0xffff8000, s3
	v_add_nc_u32_e32 v29, 1, v26
	v_xor_b32_e32 v28, v36, v28
	s_delay_alu instid0(VALU_DEP_1) | instskip(SKIP_1) | instid1(VALU_DEP_1)
	v_cmp_gt_u16_e64 s3, v16, v28
	s_wait_alu 0xf1ff
	v_cndmask_b32_e64 v27, v27, v26, s3
	v_cndmask_b32_e64 v5, v29, v5, s3
	s_delay_alu instid0(VALU_DEP_1)
	v_cmp_ge_u32_e64 s3, v5, v27
	s_wait_alu 0xfffe
	s_or_b32 s5, s3, s5
	s_wait_alu 0xfffe
	s_and_not1_b32 exec_lo, exec_lo, s5
	s_cbranch_execnz .LBB1867_77
; %bb.78:
	s_or_b32 exec_lo, exec_lo, s5
.LBB1867_79:
	s_wait_alu 0xfffe
	s_or_b32 exec_lo, exec_lo, s4
	v_add_nc_u32_e32 v7, v30, v25
	v_add_nc_u32_e32 v15, v5, v32
	s_delay_alu instid0(VALU_DEP_2) | instskip(NEXT) | instid1(VALU_DEP_2)
	v_sub_nc_u32_e32 v16, v7, v5
	v_cmp_le_u32_e64 s3, v15, v30
	s_delay_alu instid0(VALU_DEP_2)
	v_cmp_le_u32_e64 s4, v16, v31
	s_or_b32 s3, s3, s4
	s_wait_alu 0xfffe
	s_and_saveexec_b32 s5, s3
	s_cbranch_execz .LBB1867_99
; %bb.80:
	v_cmp_ge_u32_e64 s3, v15, v30
	s_mov_b32 s7, exec_lo
                                        ; implicit-def: $vgpr5
	v_cmpx_lt_u32_e64 v15, v30
; %bb.81:
	v_lshl_add_u32 v5, v15, 1, v6
	ds_load_u16 v5, v5
; %bb.82:
	s_wait_alu 0xfffe
	s_or_b32 exec_lo, exec_lo, s7
	v_cmp_ge_u32_e64 s7, v16, v31
	s_mov_b32 s10, exec_lo
                                        ; implicit-def: $vgpr7
	v_cmpx_lt_u32_e64 v16, v31
; %bb.83:
	v_lshl_add_u32 v7, v16, 1, v6
	ds_load_u16 v7, v7
; %bb.84:
	s_wait_alu 0xfffe
	s_or_b32 exec_lo, exec_lo, s10
	s_nor_b32 s3, s3, s7
	s_wait_alu 0xfffe
	s_and_saveexec_b32 s4, s3
	s_cbranch_execz .LBB1867_86
; %bb.85:
	s_wait_dscnt 0x0
	v_add_f16_e32 v11, 0, v5
	v_add_f16_e32 v17, 0, v7
	s_and_not1_b32 s7, s7, exec_lo
	s_delay_alu instid0(VALU_DEP_2) | instskip(SKIP_1) | instid1(VALU_DEP_1)
	v_cmp_lt_i16_e64 s3, -1, v11
	s_wait_alu 0xf1ff
	v_cndmask_b32_e64 v18, -1, 0xffff8000, s3
	v_cmp_lt_i16_e64 s3, -1, v17
	s_delay_alu instid0(VALU_DEP_2) | instskip(SKIP_1) | instid1(VALU_DEP_2)
	v_xor_b32_e32 v11, v18, v11
	s_wait_alu 0xf1ff
	v_cndmask_b32_e64 v19, -1, 0xffff8000, s3
	s_delay_alu instid0(VALU_DEP_1) | instskip(NEXT) | instid1(VALU_DEP_1)
	v_xor_b32_e32 v17, v19, v17
	v_cmp_le_u16_e64 s3, v11, v17
	s_and_b32 s3, s3, exec_lo
	s_wait_alu 0xfffe
	s_or_b32 s7, s7, s3
.LBB1867_86:
	s_wait_alu 0xfffe
	s_or_b32 exec_lo, exec_lo, s4
	v_cndmask_b32_e64 v11, v16, v15, s7
	v_cndmask_b32_e64 v17, v31, v30, s7
	s_mov_b32 s10, -1
	s_mov_b32 s4, -1
	s_mov_b32 s11, exec_lo
	v_add_nc_u32_e32 v19, 1, v11
	v_add_nc_u32_e32 v17, -1, v17
	v_lshl_add_u32 v11, v11, 3, v4
	s_delay_alu instid0(VALU_DEP_3) | instskip(NEXT) | instid1(VALU_DEP_3)
	v_cndmask_b32_e64 v16, v19, v16, s7
	v_min_u32_e32 v17, v19, v17
	v_cndmask_b32_e64 v21, v15, v19, s7
	s_delay_alu instid0(VALU_DEP_2)
	v_lshl_add_u32 v17, v17, 1, v6
	ds_load_u16 v20, v17
	ds_load_b64 v[17:18], v11 offset:2048
	s_wait_dscnt 0x1
	v_cndmask_b32_e64 v11, v20, v7, s7
	v_cndmask_b32_e64 v15, v5, v20, s7
	v_cmpx_lt_u32_e64 v16, v31
	s_cbranch_execz .LBB1867_90
; %bb.87:
	s_mov_b32 s12, 0
	s_mov_b32 s4, exec_lo
	v_cmpx_lt_u32_e64 v21, v30
	s_cbranch_execz .LBB1867_89
; %bb.88:
	v_add_f16_e32 v19, 0, v15
	v_add_f16_e32 v20, 0, v11
	s_delay_alu instid0(VALU_DEP_2) | instskip(SKIP_1) | instid1(VALU_DEP_1)
	v_cmp_lt_i16_e64 s3, -1, v19
	s_wait_alu 0xf1ff
	v_cndmask_b32_e64 v22, -1, 0xffff8000, s3
	s_delay_alu instid0(VALU_DEP_3) | instskip(NEXT) | instid1(VALU_DEP_2)
	v_cmp_lt_i16_e64 s3, -1, v20
	v_xor_b32_e32 v19, v22, v19
	s_wait_alu 0xf1ff
	s_delay_alu instid0(VALU_DEP_2) | instskip(NEXT) | instid1(VALU_DEP_1)
	v_cndmask_b32_e64 v23, -1, 0xffff8000, s3
	v_xor_b32_e32 v20, v23, v20
	s_delay_alu instid0(VALU_DEP_1)
	v_cmp_le_u16_e64 s3, v19, v20
	s_and_b32 s12, s3, exec_lo
.LBB1867_89:
	s_wait_alu 0xfffe
	s_or_b32 exec_lo, exec_lo, s4
	s_delay_alu instid0(SALU_CYCLE_1)
	s_or_not1_b32 s4, s12, exec_lo
.LBB1867_90:
	s_wait_alu 0xfffe
	s_or_b32 exec_lo, exec_lo, s11
	v_cndmask_b32_e64 v19, v16, v21, s4
	v_cndmask_b32_e64 v20, v31, v30, s4
	s_mov_b32 s11, exec_lo
	s_delay_alu instid0(VALU_DEP_2) | instskip(NEXT) | instid1(VALU_DEP_2)
	v_add_nc_u32_e32 v22, 1, v19
	v_add_nc_u32_e32 v20, -1, v20
	v_lshl_add_u32 v19, v19, 3, v4
	s_delay_alu instid0(VALU_DEP_3) | instskip(NEXT) | instid1(VALU_DEP_3)
	v_cndmask_b32_e64 v23, v22, v16, s4
	v_min_u32_e32 v20, v22, v20
	v_cndmask_b32_e64 v24, v21, v22, s4
	s_delay_alu instid0(VALU_DEP_2)
	v_lshl_add_u32 v20, v20, 1, v6
	ds_load_u16 v25, v20
	ds_load_b64 v[19:20], v19 offset:2048
	s_wait_dscnt 0x1
	v_cndmask_b32_e64 v16, v25, v11, s4
	v_cndmask_b32_e64 v25, v15, v25, s4
	v_cmpx_lt_u32_e64 v23, v31
	s_cbranch_execz .LBB1867_94
; %bb.91:
	s_mov_b32 s12, 0
	s_mov_b32 s10, exec_lo
	v_cmpx_lt_u32_e64 v24, v30
	s_cbranch_execz .LBB1867_93
; %bb.92:
	v_add_f16_e32 v21, 0, v25
	v_add_f16_e32 v22, 0, v16
	s_delay_alu instid0(VALU_DEP_2) | instskip(SKIP_1) | instid1(VALU_DEP_1)
	v_cmp_lt_i16_e64 s3, -1, v21
	s_wait_alu 0xf1ff
	v_cndmask_b32_e64 v26, -1, 0xffff8000, s3
	s_delay_alu instid0(VALU_DEP_3) | instskip(NEXT) | instid1(VALU_DEP_2)
	v_cmp_lt_i16_e64 s3, -1, v22
	v_xor_b32_e32 v21, v26, v21
	s_wait_alu 0xf1ff
	s_delay_alu instid0(VALU_DEP_2) | instskip(NEXT) | instid1(VALU_DEP_1)
	v_cndmask_b32_e64 v27, -1, 0xffff8000, s3
	v_xor_b32_e32 v22, v27, v22
	s_delay_alu instid0(VALU_DEP_1)
	v_cmp_le_u16_e64 s3, v21, v22
	s_and_b32 s12, s3, exec_lo
.LBB1867_93:
	s_wait_alu 0xfffe
	s_or_b32 exec_lo, exec_lo, s10
	s_delay_alu instid0(SALU_CYCLE_1)
	s_or_not1_b32 s10, s12, exec_lo
.LBB1867_94:
	s_wait_alu 0xfffe
	s_or_b32 exec_lo, exec_lo, s11
	v_cndmask_b32_e64 v21, v23, v24, s10
	v_cndmask_b32_e64 v22, v31, v30, s10
	s_mov_b32 s12, -1
	s_mov_b32 s11, exec_lo
	s_delay_alu instid0(VALU_DEP_2) | instskip(NEXT) | instid1(VALU_DEP_2)
	v_add_nc_u32_e32 v26, 1, v21
	v_add_nc_u32_e32 v22, -1, v22
	s_delay_alu instid0(VALU_DEP_2) | instskip(NEXT) | instid1(VALU_DEP_2)
	v_cndmask_b32_e64 v23, v26, v23, s10
	v_min_u32_e32 v22, v26, v22
	v_cndmask_b32_e64 v24, v24, v26, s10
	s_delay_alu instid0(VALU_DEP_2)
	v_lshl_add_u32 v6, v22, 1, v6
	ds_load_u16 v27, v6
	v_lshl_add_u32 v6, v21, 3, v4
	ds_load_b64 v[21:22], v6 offset:2048
	s_wait_dscnt 0x1
	v_cndmask_b32_e64 v6, v27, v16, s10
	v_cndmask_b32_e64 v26, v25, v27, s10
	v_cmpx_lt_u32_e64 v23, v31
	s_cbranch_execz .LBB1867_98
; %bb.95:
	s_mov_b32 s13, 0
	s_mov_b32 s12, exec_lo
	v_cmpx_lt_u32_e64 v24, v30
	s_cbranch_execz .LBB1867_97
; %bb.96:
	v_add_f16_e32 v27, 0, v26
	v_add_f16_e32 v28, 0, v6
	s_delay_alu instid0(VALU_DEP_2) | instskip(SKIP_1) | instid1(VALU_DEP_1)
	v_cmp_lt_i16_e64 s3, -1, v27
	s_wait_alu 0xf1ff
	v_cndmask_b32_e64 v29, -1, 0xffff8000, s3
	s_delay_alu instid0(VALU_DEP_3) | instskip(NEXT) | instid1(VALU_DEP_2)
	v_cmp_lt_i16_e64 s3, -1, v28
	v_xor_b32_e32 v27, v29, v27
	s_wait_alu 0xf1ff
	s_delay_alu instid0(VALU_DEP_2) | instskip(NEXT) | instid1(VALU_DEP_1)
	v_cndmask_b32_e64 v30, -1, 0xffff8000, s3
	v_xor_b32_e32 v28, v30, v28
	s_delay_alu instid0(VALU_DEP_1)
	v_cmp_le_u16_e64 s3, v27, v28
	s_and_b32 s13, s3, exec_lo
.LBB1867_97:
	s_wait_alu 0xfffe
	s_or_b32 exec_lo, exec_lo, s12
	s_delay_alu instid0(SALU_CYCLE_1)
	s_or_not1_b32 s12, s13, exec_lo
.LBB1867_98:
	s_wait_alu 0xfffe
	s_or_b32 exec_lo, exec_lo, s11
	v_cndmask_b32_e64 v23, v23, v24, s12
	v_cndmask_b32_e64 v39, v16, v25, s10
	;; [unrolled: 1-line block ×5, first 2 shown]
	v_lshl_add_u32 v4, v23, 3, v4
	ds_load_b64 v[23:24], v4 offset:2048
.LBB1867_99:
	s_wait_alu 0xfffe
	s_or_b32 exec_lo, exec_lo, s5
	v_add_co_u32 v2, s3, v2, v33
	s_wait_alu 0xf1ff
	v_add_co_ci_u32_e64 v3, null, v3, v34, s3
	s_delay_alu instid0(VALU_DEP_2) | instskip(SKIP_1) | instid1(VALU_DEP_2)
	v_add_co_u32 v2, s3, v2, v35
	s_wait_alu 0xf1ff
	v_add_co_ci_u32_e64 v3, null, 0, v3, s3
	; wave barrier
	s_wait_storecnt_dscnt 0x0
	s_barrier_signal -1
	s_barrier_wait -1
	global_inv scope:SCOPE_SE
	; wave barrier
	s_and_saveexec_b32 s3, vcc_lo
	s_cbranch_execnz .LBB1867_218
; %bb.100:
	s_wait_alu 0xfffe
	s_or_b32 exec_lo, exec_lo, s3
	s_and_saveexec_b32 s3, s0
	s_cbranch_execnz .LBB1867_219
.LBB1867_101:
	s_wait_alu 0xfffe
	s_or_b32 exec_lo, exec_lo, s3
	s_and_saveexec_b32 s3, s1
	s_cbranch_execnz .LBB1867_220
.LBB1867_102:
	s_wait_alu 0xfffe
	s_or_b32 exec_lo, exec_lo, s3
	s_and_saveexec_b32 s3, s2
	s_cbranch_execz .LBB1867_104
.LBB1867_103:
	flat_store_b16 v[2:3], v11 offset:6
.LBB1867_104:
	s_wait_alu 0xfffe
	s_or_b32 exec_lo, exec_lo, s3
	v_add_co_u32 v0, s3, v8, v0
	s_wait_alu 0xf1ff
	v_add_co_ci_u32_e64 v1, null, v9, v1, s3
	s_delay_alu instid0(VALU_DEP_2) | instskip(SKIP_1) | instid1(VALU_DEP_2)
	v_add_co_u32 v0, s3, v0, v10
	s_wait_alu 0xf1ff
	v_add_co_ci_u32_e64 v1, null, 0, v1, s3
	; wave barrier
	s_and_saveexec_b32 s3, vcc_lo
	s_cbranch_execnz .LBB1867_221
; %bb.105:
	s_wait_alu 0xfffe
	s_or_b32 exec_lo, exec_lo, s3
	s_and_saveexec_b32 s3, s0
	s_cbranch_execnz .LBB1867_222
.LBB1867_106:
	s_wait_alu 0xfffe
	s_or_b32 exec_lo, exec_lo, s3
	s_and_saveexec_b32 s0, s1
	s_cbranch_execz .LBB1867_108
.LBB1867_107:
	flat_store_b64 v[0:1], v[21:22] offset:16
.LBB1867_108:
	s_wait_alu 0xfffe
	s_or_b32 exec_lo, exec_lo, s0
	s_delay_alu instid0(SALU_CYCLE_1)
	s_and_b32 s5, s2, exec_lo
                                        ; implicit-def: $vgpr25
                                        ; implicit-def: $vgpr36
                                        ; implicit-def: $vgpr0_vgpr1
                                        ; implicit-def: $vgpr4
                                        ; implicit-def: $vgpr5
                                        ; implicit-def: $vgpr6
                                        ; implicit-def: $vgpr7
                                        ; implicit-def: $vgpr10
                                        ; implicit-def: $vgpr15
                                        ; implicit-def: $vgpr16
                                        ; implicit-def: $vgpr33_vgpr34
                                        ; implicit-def: $vgpr35
                                        ; implicit-def: $vgpr31
	s_and_not1_saveexec_b32 s6, s6
	s_cbranch_execz .LBB1867_2
.LBB1867_109:
	v_dual_mov_b32 v37, 0x7fff :: v_dual_mov_b32 v38, 0x7fff
	s_and_saveexec_b32 s0, vcc_lo
	s_cbranch_execz .LBB1867_111
; %bb.110:
	flat_load_u16 v38, v[0:1]
.LBB1867_111:
	s_wait_alu 0xfffe
	s_or_b32 exec_lo, exec_lo, s0
	v_or_b32_e32 v2, 1, v12
	s_delay_alu instid0(VALU_DEP_1)
	v_cmp_lt_u32_e64 s0, v2, v25
	s_and_saveexec_b32 s1, s0
	s_cbranch_execz .LBB1867_113
; %bb.112:
	flat_load_u16 v37, v[0:1] offset:2
.LBB1867_113:
	s_wait_alu 0xfffe
	s_or_b32 exec_lo, exec_lo, s1
	v_or_b32_e32 v2, 2, v12
	v_mov_b32_e32 v9, 0x7fff
	v_mov_b32_e32 v39, 0x7fff
	s_delay_alu instid0(VALU_DEP_3)
	v_cmp_lt_u32_e64 s2, v2, v25
	s_and_saveexec_b32 s1, s2
	s_cbranch_execz .LBB1867_115
; %bb.114:
	flat_load_u16 v39, v[0:1] offset:4
.LBB1867_115:
	s_wait_alu 0xfffe
	s_or_b32 exec_lo, exec_lo, s1
	v_or_b32_e32 v2, 3, v12
	s_delay_alu instid0(VALU_DEP_1)
	v_cmp_lt_u32_e64 s1, v2, v25
	s_and_saveexec_b32 s3, s1
	s_cbranch_execz .LBB1867_117
; %bb.116:
	flat_load_u16 v9, v[0:1] offset:6
.LBB1867_117:
	s_wait_alu 0xfffe
	s_or_b32 exec_lo, exec_lo, s3
	v_lshlrev_b64_e32 v[0:1], 3, v[13:14]
	v_dual_mov_b32 v17, 0 :: v_dual_lshlrev_b32 v8, 3, v12
	; wave barrier
	s_delay_alu instid0(VALU_DEP_2) | instskip(SKIP_1) | instid1(VALU_DEP_3)
	v_add_co_u32 v2, s3, v6, v0
	s_wait_alu 0xf1ff
	v_add_co_ci_u32_e64 v3, null, v7, v1, s3
	s_delay_alu instid0(VALU_DEP_3) | instskip(NEXT) | instid1(VALU_DEP_3)
	v_dual_mov_b32 v18, v17 :: v_dual_mov_b32 v19, v17
	v_add_co_u32 v2, s3, v2, v8
	s_wait_alu 0xf1ff
	s_delay_alu instid0(VALU_DEP_3)
	v_add_co_ci_u32_e64 v3, null, 0, v3, s3
	v_dual_mov_b32 v20, v17 :: v_dual_mov_b32 v21, v17
	v_dual_mov_b32 v22, v17 :: v_dual_mov_b32 v23, v17
	v_mov_b32_e32 v24, v17
	s_and_saveexec_b32 s3, vcc_lo
	s_cbranch_execnz .LBB1867_223
; %bb.118:
	s_wait_alu 0xfffe
	s_or_b32 exec_lo, exec_lo, s3
	s_and_saveexec_b32 s3, s0
	s_cbranch_execnz .LBB1867_224
.LBB1867_119:
	s_wait_alu 0xfffe
	s_or_b32 exec_lo, exec_lo, s3
	s_and_saveexec_b32 s3, s2
	s_cbranch_execnz .LBB1867_225
.LBB1867_120:
	s_wait_alu 0xfffe
	s_or_b32 exec_lo, exec_lo, s3
	s_and_saveexec_b32 s3, s1
	s_cbranch_execz .LBB1867_122
.LBB1867_121:
	flat_load_b64 v[23:24], v[2:3] offset:24
.LBB1867_122:
	s_wait_alu 0xfffe
	s_or_b32 exec_lo, exec_lo, s3
	; wave barrier
	s_load_b64 s[10:11], s[8:9], 0x0
	s_and_b32 s3, ttmp7, 0xffff
	s_mov_b32 s13, 0
	v_bfe_u32 v2, v31, 10, 10
	v_bfe_u32 v3, v31, 20, 10
	s_mov_b32 s7, exec_lo
	s_wait_kmcnt 0x0
	s_wait_alu 0xfffe
	s_cmp_lt_u32 s3, s11
	s_cselect_b32 s12, 14, 20
	s_cmp_lt_u32 ttmp9, s10
	s_wait_alu 0xfffe
	s_add_nc_u64 s[14:15], s[8:9], s[12:13]
	s_cselect_b32 s12, 12, 18
	s_load_u16 s3, s[14:15], 0x0
	s_add_nc_u64 s[8:9], s[8:9], s[12:13]
	s_load_u16 s4, s[8:9], 0x0
	s_wait_kmcnt 0x0
	v_mad_u32_u24 v2, v3, s3, v2
	v_and_b32_e32 v3, 0x3ff, v31
	s_delay_alu instid0(VALU_DEP_2) | instskip(NEXT) | instid1(VALU_DEP_1)
	v_mul_lo_u32 v2, v2, s4
	v_add_lshl_u32 v2, v2, v3, 2
	s_delay_alu instid0(VALU_DEP_1)
	v_cmpx_gt_u32_e32 0x400, v2
	s_cbranch_execz .LBB1867_132
; %bb.123:
	s_wait_loadcnt_dscnt 0x0
	v_add_f16_e32 v3, 0, v38
	v_add_f16_e32 v6, 0, v37
	;; [unrolled: 1-line block ×4, first 2 shown]
	s_mov_b32 s8, exec_lo
	v_cmp_lt_i16_e64 s3, -1, v3
	v_dual_mov_b32 v30, v22 :: v_dual_mov_b32 v29, v21
	v_dual_mov_b32 v32, v24 :: v_dual_mov_b32 v31, v23
	s_wait_alu 0xf1ff
	s_delay_alu instid0(VALU_DEP_3) | instskip(SKIP_1) | instid1(VALU_DEP_2)
	v_cndmask_b32_e64 v25, -1, 0xffff8000, s3
	v_cmp_lt_i16_e64 s3, -1, v6
	v_xor_b32_e32 v3, v25, v3
	s_wait_alu 0xf1ff
	s_delay_alu instid0(VALU_DEP_2) | instskip(SKIP_1) | instid1(VALU_DEP_2)
	v_cndmask_b32_e64 v26, -1, 0xffff8000, s3
	v_cmp_lt_i16_e64 s3, -1, v7
	v_xor_b32_e32 v6, v26, v6
	s_wait_alu 0xf1ff
	s_delay_alu instid0(VALU_DEP_2) | instskip(SKIP_2) | instid1(VALU_DEP_1)
	v_cndmask_b32_e64 v25, -1, 0xffff8000, s3
	v_cmp_lt_i16_e64 s3, -1, v48
	s_wait_alu 0xf1ff
	v_cndmask_b32_e64 v26, -1, 0xffff8000, s3
	v_cmp_gt_u16_e64 s3, v3, v6
	v_mov_b32_e32 v3, v39
	v_xor_b32_e32 v6, v25, v7
	s_delay_alu instid0(VALU_DEP_4)
	v_xor_b32_e32 v49, v26, v48
	s_wait_alu 0xf1ff
	v_cndmask_b32_e64 v28, v20, v18, s3
	v_cndmask_b32_e64 v27, v19, v17, s3
	;; [unrolled: 1-line block ×4, first 2 shown]
	v_cmpx_gt_u16_e64 v6, v49
; %bb.124:
	v_dual_mov_b32 v3, v9 :: v_dual_mov_b32 v30, v24
	v_dual_mov_b32 v9, v39 :: v_dual_mov_b32 v32, v22
	v_dual_mov_b32 v7, v48 :: v_dual_mov_b32 v6, v49
	v_mov_b32_e32 v29, v23
	v_mov_b32_e32 v31, v21
; %bb.125:
	s_wait_alu 0xfffe
	s_or_b32 exec_lo, exec_lo, s8
	v_cndmask_b32_e64 v19, v37, v38, s3
	s_delay_alu instid0(VALU_DEP_1) | instskip(NEXT) | instid1(VALU_DEP_1)
	v_add_f16_e32 v17, 0, v19
	v_cmp_lt_i16_e64 s4, -1, v17
	s_wait_alu 0xf1ff
	s_delay_alu instid0(VALU_DEP_1) | instskip(NEXT) | instid1(VALU_DEP_1)
	v_cndmask_b32_e64 v18, -1, 0xffff8000, s4
	v_xor_b32_e32 v20, v18, v17
	v_mov_b32_e32 v18, v7
	s_delay_alu instid0(VALU_DEP_2)
	v_cmp_gt_u16_e64 s4, v20, v6
	v_mov_b32_e32 v6, v19
	s_and_saveexec_b32 s8, s4
	s_wait_alu 0xfffe
	s_xor_b32 s4, exec_lo, s8
	s_cbranch_execz .LBB1867_127
; %bb.126:
	v_dual_mov_b32 v55, v32 :: v_dual_mov_b32 v54, v31
	v_dual_mov_b32 v53, v30 :: v_dual_mov_b32 v52, v29
	v_dual_mov_b32 v51, v28 :: v_dual_mov_b32 v50, v27
	v_dual_mov_b32 v49, v26 :: v_dual_mov_b32 v48, v25
	v_dual_mov_b32 v50, v29 :: v_dual_mov_b32 v51, v30
	v_dual_mov_b32 v52, v27 :: v_dual_mov_b32 v53, v28
	v_dual_mov_b32 v54, v31 :: v_dual_mov_b32 v55, v32
	s_delay_alu instid0(VALU_DEP_4) | instskip(NEXT) | instid1(VALU_DEP_4)
	v_dual_mov_b32 v25, v48 :: v_dual_mov_b32 v26, v49
	v_dual_mov_b32 v27, v50 :: v_dual_mov_b32 v28, v51
	s_delay_alu instid0(VALU_DEP_4) | instskip(NEXT) | instid1(VALU_DEP_4)
	v_dual_mov_b32 v29, v52 :: v_dual_mov_b32 v30, v53
	v_dual_mov_b32 v31, v54 :: v_dual_mov_b32 v32, v55
	v_mov_b32_e32 v18, v17
	v_dual_mov_b32 v6, v3 :: v_dual_mov_b32 v17, v7
	v_mov_b32_e32 v3, v19
.LBB1867_127:
	s_wait_alu 0xfffe
	s_or_b32 exec_lo, exec_lo, s4
	v_cndmask_b32_e64 v7, v38, v37, s3
	v_cmp_lt_i16_e64 s3, -1, v17
	v_add_f16_e32 v22, 0, v9
	s_mov_b32 s8, exec_lo
	v_add_f16_e32 v19, 0, v7
	s_wait_alu 0xf1ff
	v_cndmask_b32_e64 v20, -1, 0xffff8000, s3
	s_delay_alu instid0(VALU_DEP_2) | instskip(NEXT) | instid1(VALU_DEP_2)
	v_cmp_lt_i16_e64 s3, -1, v19
	v_xor_b32_e32 v17, v20, v17
	s_wait_alu 0xf1ff
	s_delay_alu instid0(VALU_DEP_2) | instskip(SKIP_1) | instid1(VALU_DEP_2)
	v_cndmask_b32_e64 v21, -1, 0xffff8000, s3
	v_cmp_lt_i16_e64 s3, -1, v18
	v_xor_b32_e32 v19, v21, v19
	s_wait_alu 0xf1ff
	s_delay_alu instid0(VALU_DEP_2) | instskip(SKIP_2) | instid1(VALU_DEP_3)
	v_cndmask_b32_e64 v23, -1, 0xffff8000, s3
	v_cmp_lt_i16_e64 s3, -1, v22
	v_mov_b32_e32 v21, v29
	v_xor_b32_e32 v38, v23, v18
	s_wait_alu 0xf1ff
	s_delay_alu instid0(VALU_DEP_3) | instskip(SKIP_2) | instid1(VALU_DEP_3)
	v_cndmask_b32_e64 v24, -1, 0xffff8000, s3
	v_cmp_gt_u16_e64 s3, v19, v17
	v_mov_b32_e32 v23, v31
	v_xor_b32_e32 v37, v24, v22
	v_mov_b32_e32 v22, v30
	v_mov_b32_e32 v24, v32
	s_wait_alu 0xf1ff
	v_cndmask_b32_e64 v20, v28, v26, s3
	v_cndmask_b32_e64 v19, v27, v25, s3
	;; [unrolled: 1-line block ×4, first 2 shown]
	v_mov_b32_e32 v25, v3
	v_cmpx_gt_u16_e64 v38, v37
; %bb.128:
	v_dual_mov_b32 v21, v31 :: v_dual_mov_b32 v22, v32
	v_dual_mov_b32 v23, v29 :: v_dual_mov_b32 v24, v30
	;; [unrolled: 1-line block ×3, first 2 shown]
	v_mov_b32_e32 v9, v3
; %bb.129:
	s_wait_alu 0xfffe
	s_or_b32 exec_lo, exec_lo, s8
	v_cndmask_b32_e64 v37, v6, v7, s3
	v_mov_b32_e32 v39, v25
	s_mov_b32 s8, exec_lo
	s_delay_alu instid0(VALU_DEP_2) | instskip(NEXT) | instid1(VALU_DEP_1)
	v_add_f16_e32 v3, 0, v37
	v_cmp_lt_i16_e64 s4, -1, v3
	s_wait_alu 0xf1ff
	s_delay_alu instid0(VALU_DEP_1) | instskip(NEXT) | instid1(VALU_DEP_1)
	v_cndmask_b32_e64 v26, -1, 0xffff8000, s4
	v_xor_b32_e32 v3, v26, v3
	s_delay_alu instid0(VALU_DEP_1)
	v_cmpx_gt_u16_e64 v3, v38
	s_cbranch_execz .LBB1867_131
; %bb.130:
	v_dual_mov_b32 v48, v17 :: v_dual_mov_b32 v49, v18
	v_dual_mov_b32 v50, v21 :: v_dual_mov_b32 v51, v22
	;; [unrolled: 1-line block ×4, first 2 shown]
	s_delay_alu instid0(VALU_DEP_4) | instskip(NEXT) | instid1(VALU_DEP_4)
	v_dual_mov_b32 v17, v48 :: v_dual_mov_b32 v18, v49
	v_dual_mov_b32 v19, v50 :: v_dual_mov_b32 v20, v51
	s_delay_alu instid0(VALU_DEP_4) | instskip(NEXT) | instid1(VALU_DEP_4)
	v_dual_mov_b32 v21, v52 :: v_dual_mov_b32 v22, v53
	v_dual_mov_b32 v23, v54 :: v_dual_mov_b32 v24, v55
	v_mov_b32_e32 v39, v37
	v_mov_b32_e32 v37, v25
.LBB1867_131:
	s_wait_alu 0xfffe
	s_or_b32 exec_lo, exec_lo, s8
	v_cndmask_b32_e64 v38, v7, v6, s3
.LBB1867_132:
	s_or_b32 exec_lo, exec_lo, s7
	v_dual_mov_b32 v3, 0 :: v_dual_and_b32 v2, 0xffffff80, v2
	v_or_b32_e32 v26, 4, v36
	v_and_b32_e32 v32, 0x78, v36
	s_mov_b32 s4, exec_lo
	s_delay_alu instid0(VALU_DEP_3) | instskip(SKIP_1) | instid1(VALU_DEP_2)
	v_sub_nc_u32_e64 v25, 0x400, v2 clamp
	v_lshlrev_b64_e32 v[6:7], 1, v[2:3]
	v_min_u32_e32 v30, v25, v26
	s_delay_alu instid0(VALU_DEP_2) | instskip(SKIP_1) | instid1(VALU_DEP_3)
	v_add_co_u32 v6, s3, v15, v6
	s_wait_alu 0xf1ff
	v_add_co_ci_u32_e64 v7, null, v16, v7, s3
	s_delay_alu instid0(VALU_DEP_3) | instskip(NEXT) | instid1(VALU_DEP_2)
	v_add_nc_u32_e32 v15, 4, v30
	v_mad_co_u64_u32 v[2:3], null, v2, 6, v[6:7]
	v_and_b32_e32 v3, 4, v36
	s_delay_alu instid0(VALU_DEP_3) | instskip(SKIP_1) | instid1(VALU_DEP_3)
	v_min_u32_e32 v31, v25, v15
	v_sub_nc_u32_e32 v15, v30, v32
	v_min_u32_e32 v48, v25, v3
	s_delay_alu instid0(VALU_DEP_3)
	v_sub_nc_u32_e32 v7, v31, v30
	v_lshl_add_u32 v3, v36, 1, v6
	v_lshl_add_u32 v29, v36, 3, v2
	s_wait_loadcnt_dscnt 0x0
	ds_store_b16 v3, v38
	ds_store_b64 v29, v[17:18] offset:2048
	v_sub_nc_u32_e64 v49, v48, v7 clamp
	v_min_u32_e32 v7, v48, v15
	ds_store_b16 v3, v37 offset:2
	ds_store_b64 v29, v[19:20] offset:2056
	ds_store_b16 v3, v39 offset:4
	ds_store_b64 v29, v[21:22] offset:2064
	;; [unrolled: 2-line block ×3, first 2 shown]
	; wave barrier
	v_cmpx_lt_u32_e64 v49, v7
	s_cbranch_execz .LBB1867_136
; %bb.133:
	v_lshlrev_b32_e32 v15, 1, v32
	v_lshlrev_b32_e32 v16, 1, v30
	s_mov_b32 s7, 0
	s_delay_alu instid0(VALU_DEP_2) | instskip(NEXT) | instid1(VALU_DEP_2)
	v_add_co_u32 v15, null, v6, v15
	v_add_co_u32 v16, null, v6, v16
.LBB1867_134:                           ; =>This Inner Loop Header: Depth=1
	v_add_nc_u32_e32 v26, v7, v49
	s_delay_alu instid0(VALU_DEP_1) | instskip(SKIP_1) | instid1(VALU_DEP_2)
	v_lshrrev_b32_e32 v27, 1, v26
	v_and_b32_e32 v26, -2, v26
	v_xad_u32 v28, v27, -1, v48
	s_delay_alu instid0(VALU_DEP_2) | instskip(NEXT) | instid1(VALU_DEP_2)
	v_add_nc_u32_e32 v26, v15, v26
	v_lshl_add_u32 v28, v28, 1, v16
	ds_load_u16 v26, v26
	ds_load_u16 v28, v28
	s_wait_dscnt 0x1
	v_add_f16_e32 v26, 0, v26
	s_wait_dscnt 0x0
	v_add_f16_e32 v28, 0, v28
	s_delay_alu instid0(VALU_DEP_2) | instskip(SKIP_1) | instid1(VALU_DEP_1)
	v_cmp_lt_i16_e64 s3, -1, v26
	s_wait_alu 0xf1ff
	v_cndmask_b32_e64 v50, -1, 0xffff8000, s3
	s_delay_alu instid0(VALU_DEP_3) | instskip(NEXT) | instid1(VALU_DEP_2)
	v_cmp_lt_i16_e64 s3, -1, v28
	v_xor_b32_e32 v26, v50, v26
	s_wait_alu 0xf1ff
	s_delay_alu instid0(VALU_DEP_2) | instskip(SKIP_1) | instid1(VALU_DEP_2)
	v_cndmask_b32_e64 v51, -1, 0xffff8000, s3
	v_add_nc_u32_e32 v50, 1, v27
	v_xor_b32_e32 v28, v51, v28
	s_delay_alu instid0(VALU_DEP_1) | instskip(SKIP_1) | instid1(VALU_DEP_1)
	v_cmp_gt_u16_e64 s3, v26, v28
	s_wait_alu 0xf1ff
	v_cndmask_b32_e64 v7, v7, v27, s3
	v_cndmask_b32_e64 v49, v50, v49, s3
	s_delay_alu instid0(VALU_DEP_1)
	v_cmp_ge_u32_e64 s3, v49, v7
	s_wait_alu 0xfffe
	s_or_b32 s7, s3, s7
	s_wait_alu 0xfffe
	s_and_not1_b32 exec_lo, exec_lo, s7
	s_cbranch_execnz .LBB1867_134
; %bb.135:
	s_or_b32 exec_lo, exec_lo, s7
.LBB1867_136:
	s_wait_alu 0xfffe
	s_or_b32 exec_lo, exec_lo, s4
	v_add_nc_u32_e32 v50, v30, v48
	v_add_nc_u32_e32 v48, v49, v32
	;; [unrolled: 1-line block ×5, first 2 shown]
	v_sub_nc_u32_e32 v49, v50, v49
	v_cmp_le_u32_e64 s3, v48, v30
	v_add_nc_u32_e32 v16, 4, v3
	v_add_nc_u32_e32 v28, 0x810, v29
	;; [unrolled: 1-line block ×3, first 2 shown]
	v_cmp_le_u32_e64 s4, v49, v31
	v_add_nc_u32_e32 v29, 0x818, v29
	s_or_b32 s3, s3, s4
	s_wait_alu 0xfffe
	s_and_saveexec_b32 s7, s3
	s_cbranch_execz .LBB1867_156
; %bb.137:
	v_cmp_ge_u32_e64 s3, v48, v30
	s_mov_b32 s8, exec_lo
                                        ; implicit-def: $vgpr9
	v_cmpx_lt_u32_e64 v48, v30
; %bb.138:
	v_lshl_add_u32 v9, v48, 1, v6
	ds_load_u16 v9, v9
; %bb.139:
	s_wait_alu 0xfffe
	s_or_b32 exec_lo, exec_lo, s8
	v_cmp_ge_u32_e64 s8, v49, v31
	s_mov_b32 s9, exec_lo
                                        ; implicit-def: $vgpr32
	v_cmpx_lt_u32_e64 v49, v31
; %bb.140:
	v_lshl_add_u32 v17, v49, 1, v6
	ds_load_u16 v32, v17
; %bb.141:
	s_wait_alu 0xfffe
	s_or_b32 exec_lo, exec_lo, s9
	s_nor_b32 s3, s3, s8
	s_wait_alu 0xfffe
	s_and_saveexec_b32 s4, s3
	s_cbranch_execz .LBB1867_143
; %bb.142:
	s_wait_dscnt 0x0
	v_add_f16_e32 v17, 0, v9
	v_add_f16_e32 v18, 0, v32
	s_and_not1_b32 s8, s8, exec_lo
	s_delay_alu instid0(VALU_DEP_2) | instskip(SKIP_1) | instid1(VALU_DEP_1)
	v_cmp_lt_i16_e64 s3, -1, v17
	s_wait_alu 0xf1ff
	v_cndmask_b32_e64 v19, -1, 0xffff8000, s3
	v_cmp_lt_i16_e64 s3, -1, v18
	s_delay_alu instid0(VALU_DEP_2) | instskip(SKIP_1) | instid1(VALU_DEP_2)
	v_xor_b32_e32 v17, v19, v17
	s_wait_alu 0xf1ff
	v_cndmask_b32_e64 v20, -1, 0xffff8000, s3
	s_delay_alu instid0(VALU_DEP_1) | instskip(NEXT) | instid1(VALU_DEP_1)
	v_xor_b32_e32 v18, v20, v18
	v_cmp_le_u16_e64 s3, v17, v18
	s_and_b32 s3, s3, exec_lo
	s_wait_alu 0xfffe
	s_or_b32 s8, s8, s3
.LBB1867_143:
	s_wait_alu 0xfffe
	s_or_b32 exec_lo, exec_lo, s4
	v_cndmask_b32_e64 v17, v49, v48, s8
	v_cndmask_b32_e64 v18, v31, v30, s8
	s_mov_b32 s9, -1
	s_mov_b32 s4, -1
	s_mov_b32 s10, exec_lo
	v_add_nc_u32_e32 v19, 1, v17
	v_add_nc_u32_e32 v18, -1, v18
	v_lshl_add_u32 v17, v17, 3, v2
	s_delay_alu instid0(VALU_DEP_3) | instskip(NEXT) | instid1(VALU_DEP_3)
	v_cndmask_b32_e64 v21, v19, v49, s8
	v_min_u32_e32 v18, v19, v18
	v_cndmask_b32_e64 v22, v48, v19, s8
	s_delay_alu instid0(VALU_DEP_2)
	v_lshl_add_u32 v18, v18, 1, v6
	ds_load_u16 v20, v18
	ds_load_b64 v[17:18], v17 offset:2048
	s_wait_dscnt 0x1
	v_cndmask_b32_e64 v37, v20, v32, s8
	v_cndmask_b32_e64 v38, v9, v20, s8
	v_cmpx_lt_u32_e64 v21, v31
	s_cbranch_execz .LBB1867_147
; %bb.144:
	s_mov_b32 s11, 0
	s_mov_b32 s4, exec_lo
	v_cmpx_lt_u32_e64 v22, v30
	s_cbranch_execz .LBB1867_146
; %bb.145:
	v_add_f16_e32 v19, 0, v38
	v_add_f16_e32 v20, 0, v37
	s_delay_alu instid0(VALU_DEP_2) | instskip(SKIP_1) | instid1(VALU_DEP_1)
	v_cmp_lt_i16_e64 s3, -1, v19
	s_wait_alu 0xf1ff
	v_cndmask_b32_e64 v23, -1, 0xffff8000, s3
	s_delay_alu instid0(VALU_DEP_3) | instskip(NEXT) | instid1(VALU_DEP_2)
	v_cmp_lt_i16_e64 s3, -1, v20
	v_xor_b32_e32 v19, v23, v19
	s_wait_alu 0xf1ff
	s_delay_alu instid0(VALU_DEP_2) | instskip(NEXT) | instid1(VALU_DEP_1)
	v_cndmask_b32_e64 v24, -1, 0xffff8000, s3
	v_xor_b32_e32 v20, v24, v20
	s_delay_alu instid0(VALU_DEP_1)
	v_cmp_le_u16_e64 s3, v19, v20
	s_and_b32 s11, s3, exec_lo
.LBB1867_146:
	s_wait_alu 0xfffe
	s_or_b32 exec_lo, exec_lo, s4
	s_delay_alu instid0(SALU_CYCLE_1)
	s_or_not1_b32 s4, s11, exec_lo
.LBB1867_147:
	s_wait_alu 0xfffe
	s_or_b32 exec_lo, exec_lo, s10
	v_cndmask_b32_e64 v19, v21, v22, s4
	v_cndmask_b32_e64 v20, v31, v30, s4
	s_mov_b32 s10, exec_lo
	s_delay_alu instid0(VALU_DEP_2) | instskip(NEXT) | instid1(VALU_DEP_2)
	v_add_nc_u32_e32 v24, 1, v19
	v_add_nc_u32_e32 v20, -1, v20
	v_lshl_add_u32 v19, v19, 3, v2
	s_delay_alu instid0(VALU_DEP_3) | instskip(NEXT) | instid1(VALU_DEP_3)
	v_cndmask_b32_e64 v23, v24, v21, s4
	v_min_u32_e32 v20, v24, v20
	v_cndmask_b32_e64 v24, v22, v24, s4
	s_delay_alu instid0(VALU_DEP_2)
	v_lshl_add_u32 v20, v20, 1, v6
	ds_load_u16 v48, v20
	ds_load_b64 v[19:20], v19 offset:2048
	s_wait_dscnt 0x1
	v_cndmask_b32_e64 v39, v48, v37, s4
	v_cndmask_b32_e64 v48, v38, v48, s4
	v_cmpx_lt_u32_e64 v23, v31
	s_cbranch_execz .LBB1867_151
; %bb.148:
	s_mov_b32 s11, 0
	s_mov_b32 s9, exec_lo
	v_cmpx_lt_u32_e64 v24, v30
	s_cbranch_execz .LBB1867_150
; %bb.149:
	v_add_f16_e32 v21, 0, v48
	v_add_f16_e32 v22, 0, v39
	s_delay_alu instid0(VALU_DEP_2) | instskip(SKIP_1) | instid1(VALU_DEP_1)
	v_cmp_lt_i16_e64 s3, -1, v21
	s_wait_alu 0xf1ff
	v_cndmask_b32_e64 v49, -1, 0xffff8000, s3
	s_delay_alu instid0(VALU_DEP_3) | instskip(NEXT) | instid1(VALU_DEP_2)
	v_cmp_lt_i16_e64 s3, -1, v22
	v_xor_b32_e32 v21, v49, v21
	s_wait_alu 0xf1ff
	s_delay_alu instid0(VALU_DEP_2) | instskip(NEXT) | instid1(VALU_DEP_1)
	v_cndmask_b32_e64 v50, -1, 0xffff8000, s3
	v_xor_b32_e32 v22, v50, v22
	s_delay_alu instid0(VALU_DEP_1)
	v_cmp_le_u16_e64 s3, v21, v22
	s_and_b32 s11, s3, exec_lo
.LBB1867_150:
	s_wait_alu 0xfffe
	s_or_b32 exec_lo, exec_lo, s9
	s_delay_alu instid0(SALU_CYCLE_1)
	s_or_not1_b32 s9, s11, exec_lo
.LBB1867_151:
	s_wait_alu 0xfffe
	s_or_b32 exec_lo, exec_lo, s10
	v_cndmask_b32_e64 v21, v23, v24, s9
	v_cndmask_b32_e64 v22, v31, v30, s9
	s_mov_b32 s11, -1
	s_mov_b32 s10, exec_lo
	s_delay_alu instid0(VALU_DEP_2) | instskip(NEXT) | instid1(VALU_DEP_2)
	v_add_nc_u32_e32 v49, 1, v21
	v_add_nc_u32_e32 v22, -1, v22
	v_lshl_add_u32 v21, v21, 3, v2
	s_delay_alu instid0(VALU_DEP_3) | instskip(NEXT) | instid1(VALU_DEP_3)
	v_cndmask_b32_e64 v23, v49, v23, s9
	v_min_u32_e32 v22, v49, v22
	v_cndmask_b32_e64 v24, v24, v49, s9
	s_delay_alu instid0(VALU_DEP_2)
	v_lshl_add_u32 v22, v22, 1, v6
	ds_load_u16 v50, v22
	ds_load_b64 v[21:22], v21 offset:2048
	s_wait_dscnt 0x1
	v_cndmask_b32_e64 v49, v50, v39, s9
	v_cndmask_b32_e64 v50, v48, v50, s9
	v_cmpx_lt_u32_e64 v23, v31
	s_cbranch_execz .LBB1867_155
; %bb.152:
	s_mov_b32 s12, 0
	s_mov_b32 s11, exec_lo
	v_cmpx_lt_u32_e64 v24, v30
	s_cbranch_execz .LBB1867_154
; %bb.153:
	v_add_f16_e32 v30, 0, v50
	v_add_f16_e32 v31, 0, v49
	s_delay_alu instid0(VALU_DEP_2) | instskip(SKIP_1) | instid1(VALU_DEP_1)
	v_cmp_lt_i16_e64 s3, -1, v30
	s_wait_alu 0xf1ff
	v_cndmask_b32_e64 v51, -1, 0xffff8000, s3
	s_delay_alu instid0(VALU_DEP_3) | instskip(NEXT) | instid1(VALU_DEP_2)
	v_cmp_lt_i16_e64 s3, -1, v31
	v_xor_b32_e32 v30, v51, v30
	s_wait_alu 0xf1ff
	s_delay_alu instid0(VALU_DEP_2) | instskip(NEXT) | instid1(VALU_DEP_1)
	v_cndmask_b32_e64 v52, -1, 0xffff8000, s3
	v_xor_b32_e32 v31, v52, v31
	s_delay_alu instid0(VALU_DEP_1)
	v_cmp_le_u16_e64 s3, v30, v31
	s_and_b32 s12, s3, exec_lo
.LBB1867_154:
	s_wait_alu 0xfffe
	s_or_b32 exec_lo, exec_lo, s11
	s_delay_alu instid0(SALU_CYCLE_1)
	s_or_not1_b32 s11, s12, exec_lo
.LBB1867_155:
	s_wait_alu 0xfffe
	s_or_b32 exec_lo, exec_lo, s10
	v_cndmask_b32_e64 v23, v23, v24, s11
	v_cndmask_b32_e64 v39, v39, v48, s9
	;; [unrolled: 1-line block ×5, first 2 shown]
	v_lshl_add_u32 v23, v23, 3, v2
	ds_load_b64 v[23:24], v23 offset:2048
.LBB1867_156:
	s_wait_alu 0xfffe
	s_or_b32 exec_lo, exec_lo, s7
	v_and_b32_e32 v32, 0x70, v36
	v_and_b32_e32 v48, 12, v36
	s_mov_b32 s4, exec_lo
	; wave barrier
	s_delay_alu instid0(VALU_DEP_2) | instskip(NEXT) | instid1(VALU_DEP_2)
	v_or_b32_e32 v30, 8, v32
	v_min_u32_e32 v48, v25, v48
	ds_store_b16 v3, v38
	ds_store_b64 v27, v[17:18]
	ds_store_b16 v7, v37
	ds_store_b64 v15, v[19:20]
	ds_store_b16 v16, v39
	s_wait_dscnt 0x6
	ds_store_b64 v28, v[21:22]
	ds_store_b16 v26, v9
	s_wait_dscnt 0x7
	ds_store_b64 v29, v[23:24]
	v_min_u32_e32 v30, v25, v30
	; wave barrier
	s_delay_alu instid0(VALU_DEP_1) | instskip(SKIP_1) | instid1(VALU_DEP_2)
	v_add_nc_u32_e32 v31, 8, v30
	v_sub_nc_u32_e32 v50, v30, v32
	v_min_u32_e32 v31, v25, v31
	s_delay_alu instid0(VALU_DEP_2) | instskip(NEXT) | instid1(VALU_DEP_2)
	v_min_u32_e32 v50, v48, v50
	v_sub_nc_u32_e32 v49, v31, v30
	s_delay_alu instid0(VALU_DEP_1) | instskip(NEXT) | instid1(VALU_DEP_1)
	v_sub_nc_u32_e64 v49, v48, v49 clamp
	v_cmpx_lt_u32_e64 v49, v50
	s_cbranch_execz .LBB1867_160
; %bb.157:
	v_lshlrev_b32_e32 v51, 1, v32
	v_lshlrev_b32_e32 v52, 1, v30
	s_mov_b32 s7, 0
	s_delay_alu instid0(VALU_DEP_2) | instskip(NEXT) | instid1(VALU_DEP_2)
	v_add_co_u32 v51, null, v6, v51
	v_add_co_u32 v52, null, v6, v52
.LBB1867_158:                           ; =>This Inner Loop Header: Depth=1
	v_add_nc_u32_e32 v53, v50, v49
	s_delay_alu instid0(VALU_DEP_1) | instskip(SKIP_1) | instid1(VALU_DEP_2)
	v_lshrrev_b32_e32 v54, 1, v53
	v_and_b32_e32 v53, -2, v53
	v_xad_u32 v55, v54, -1, v48
	s_delay_alu instid0(VALU_DEP_2) | instskip(NEXT) | instid1(VALU_DEP_2)
	v_add_nc_u32_e32 v53, v51, v53
	v_lshl_add_u32 v55, v55, 1, v52
	ds_load_u16 v53, v53
	ds_load_u16 v55, v55
	s_wait_dscnt 0x1
	v_add_f16_e32 v53, 0, v53
	s_wait_dscnt 0x0
	v_add_f16_e32 v55, 0, v55
	s_delay_alu instid0(VALU_DEP_2) | instskip(SKIP_1) | instid1(VALU_DEP_1)
	v_cmp_lt_i16_e64 s3, -1, v53
	s_wait_alu 0xf1ff
	v_cndmask_b32_e64 v64, -1, 0xffff8000, s3
	s_delay_alu instid0(VALU_DEP_3) | instskip(NEXT) | instid1(VALU_DEP_2)
	v_cmp_lt_i16_e64 s3, -1, v55
	v_xor_b32_e32 v53, v64, v53
	s_wait_alu 0xf1ff
	s_delay_alu instid0(VALU_DEP_2) | instskip(SKIP_1) | instid1(VALU_DEP_2)
	v_cndmask_b32_e64 v65, -1, 0xffff8000, s3
	v_add_nc_u32_e32 v64, 1, v54
	v_xor_b32_e32 v55, v65, v55
	s_delay_alu instid0(VALU_DEP_1) | instskip(SKIP_1) | instid1(VALU_DEP_1)
	v_cmp_gt_u16_e64 s3, v53, v55
	s_wait_alu 0xf1ff
	v_cndmask_b32_e64 v50, v50, v54, s3
	v_cndmask_b32_e64 v49, v64, v49, s3
	s_delay_alu instid0(VALU_DEP_1)
	v_cmp_ge_u32_e64 s3, v49, v50
	s_wait_alu 0xfffe
	s_or_b32 s7, s3, s7
	s_wait_alu 0xfffe
	s_and_not1_b32 exec_lo, exec_lo, s7
	s_cbranch_execnz .LBB1867_158
; %bb.159:
	s_or_b32 exec_lo, exec_lo, s7
.LBB1867_160:
	s_wait_alu 0xfffe
	s_or_b32 exec_lo, exec_lo, s4
	v_add_nc_u32_e32 v50, v30, v48
	v_add_nc_u32_e32 v48, v49, v32
	s_delay_alu instid0(VALU_DEP_2) | instskip(NEXT) | instid1(VALU_DEP_2)
	v_sub_nc_u32_e32 v49, v50, v49
	v_cmp_le_u32_e64 s3, v48, v30
	s_delay_alu instid0(VALU_DEP_2)
	v_cmp_le_u32_e64 s4, v49, v31
	s_or_b32 s3, s3, s4
	s_wait_alu 0xfffe
	s_and_saveexec_b32 s7, s3
	s_cbranch_execz .LBB1867_180
; %bb.161:
	v_cmp_ge_u32_e64 s3, v48, v30
	s_mov_b32 s8, exec_lo
                                        ; implicit-def: $vgpr9
	v_cmpx_lt_u32_e64 v48, v30
; %bb.162:
	v_lshl_add_u32 v9, v48, 1, v6
	ds_load_u16 v9, v9
; %bb.163:
	s_wait_alu 0xfffe
	s_or_b32 exec_lo, exec_lo, s8
	v_cmp_ge_u32_e64 s8, v49, v31
	s_mov_b32 s9, exec_lo
                                        ; implicit-def: $vgpr32
	v_cmpx_lt_u32_e64 v49, v31
; %bb.164:
	v_lshl_add_u32 v17, v49, 1, v6
	ds_load_u16 v32, v17
; %bb.165:
	s_wait_alu 0xfffe
	s_or_b32 exec_lo, exec_lo, s9
	s_nor_b32 s3, s3, s8
	s_wait_alu 0xfffe
	s_and_saveexec_b32 s4, s3
	s_cbranch_execz .LBB1867_167
; %bb.166:
	s_wait_dscnt 0x0
	v_add_f16_e32 v17, 0, v9
	v_add_f16_e32 v18, 0, v32
	s_and_not1_b32 s8, s8, exec_lo
	s_delay_alu instid0(VALU_DEP_2) | instskip(SKIP_1) | instid1(VALU_DEP_1)
	v_cmp_lt_i16_e64 s3, -1, v17
	s_wait_alu 0xf1ff
	v_cndmask_b32_e64 v19, -1, 0xffff8000, s3
	v_cmp_lt_i16_e64 s3, -1, v18
	s_delay_alu instid0(VALU_DEP_2) | instskip(SKIP_1) | instid1(VALU_DEP_2)
	v_xor_b32_e32 v17, v19, v17
	s_wait_alu 0xf1ff
	v_cndmask_b32_e64 v20, -1, 0xffff8000, s3
	s_delay_alu instid0(VALU_DEP_1) | instskip(NEXT) | instid1(VALU_DEP_1)
	v_xor_b32_e32 v18, v20, v18
	v_cmp_le_u16_e64 s3, v17, v18
	s_and_b32 s3, s3, exec_lo
	s_wait_alu 0xfffe
	s_or_b32 s8, s8, s3
.LBB1867_167:
	s_wait_alu 0xfffe
	s_or_b32 exec_lo, exec_lo, s4
	v_cndmask_b32_e64 v17, v49, v48, s8
	v_cndmask_b32_e64 v18, v31, v30, s8
	s_mov_b32 s9, -1
	s_mov_b32 s4, -1
	s_mov_b32 s10, exec_lo
	v_add_nc_u32_e32 v19, 1, v17
	v_add_nc_u32_e32 v18, -1, v18
	v_lshl_add_u32 v17, v17, 3, v2
	s_delay_alu instid0(VALU_DEP_3) | instskip(NEXT) | instid1(VALU_DEP_3)
	v_cndmask_b32_e64 v21, v19, v49, s8
	v_min_u32_e32 v18, v19, v18
	v_cndmask_b32_e64 v22, v48, v19, s8
	s_delay_alu instid0(VALU_DEP_2)
	v_lshl_add_u32 v18, v18, 1, v6
	ds_load_u16 v20, v18
	ds_load_b64 v[17:18], v17 offset:2048
	s_wait_dscnt 0x1
	v_cndmask_b32_e64 v37, v20, v32, s8
	v_cndmask_b32_e64 v38, v9, v20, s8
	v_cmpx_lt_u32_e64 v21, v31
	s_cbranch_execz .LBB1867_171
; %bb.168:
	s_mov_b32 s11, 0
	s_mov_b32 s4, exec_lo
	v_cmpx_lt_u32_e64 v22, v30
	s_cbranch_execz .LBB1867_170
; %bb.169:
	v_add_f16_e32 v19, 0, v38
	v_add_f16_e32 v20, 0, v37
	s_delay_alu instid0(VALU_DEP_2) | instskip(SKIP_1) | instid1(VALU_DEP_1)
	v_cmp_lt_i16_e64 s3, -1, v19
	s_wait_alu 0xf1ff
	v_cndmask_b32_e64 v23, -1, 0xffff8000, s3
	s_delay_alu instid0(VALU_DEP_3) | instskip(NEXT) | instid1(VALU_DEP_2)
	v_cmp_lt_i16_e64 s3, -1, v20
	v_xor_b32_e32 v19, v23, v19
	s_wait_alu 0xf1ff
	s_delay_alu instid0(VALU_DEP_2) | instskip(NEXT) | instid1(VALU_DEP_1)
	v_cndmask_b32_e64 v24, -1, 0xffff8000, s3
	v_xor_b32_e32 v20, v24, v20
	s_delay_alu instid0(VALU_DEP_1)
	v_cmp_le_u16_e64 s3, v19, v20
	s_and_b32 s11, s3, exec_lo
.LBB1867_170:
	s_wait_alu 0xfffe
	s_or_b32 exec_lo, exec_lo, s4
	s_delay_alu instid0(SALU_CYCLE_1)
	s_or_not1_b32 s4, s11, exec_lo
.LBB1867_171:
	s_wait_alu 0xfffe
	s_or_b32 exec_lo, exec_lo, s10
	v_cndmask_b32_e64 v19, v21, v22, s4
	v_cndmask_b32_e64 v20, v31, v30, s4
	s_mov_b32 s10, exec_lo
	s_delay_alu instid0(VALU_DEP_2) | instskip(NEXT) | instid1(VALU_DEP_2)
	v_add_nc_u32_e32 v24, 1, v19
	v_add_nc_u32_e32 v20, -1, v20
	v_lshl_add_u32 v19, v19, 3, v2
	s_delay_alu instid0(VALU_DEP_3) | instskip(NEXT) | instid1(VALU_DEP_3)
	v_cndmask_b32_e64 v23, v24, v21, s4
	v_min_u32_e32 v20, v24, v20
	v_cndmask_b32_e64 v24, v22, v24, s4
	s_delay_alu instid0(VALU_DEP_2)
	v_lshl_add_u32 v20, v20, 1, v6
	ds_load_u16 v48, v20
	ds_load_b64 v[19:20], v19 offset:2048
	s_wait_dscnt 0x1
	v_cndmask_b32_e64 v39, v48, v37, s4
	v_cndmask_b32_e64 v48, v38, v48, s4
	v_cmpx_lt_u32_e64 v23, v31
	s_cbranch_execz .LBB1867_175
; %bb.172:
	s_mov_b32 s11, 0
	s_mov_b32 s9, exec_lo
	v_cmpx_lt_u32_e64 v24, v30
	s_cbranch_execz .LBB1867_174
; %bb.173:
	v_add_f16_e32 v21, 0, v48
	v_add_f16_e32 v22, 0, v39
	s_delay_alu instid0(VALU_DEP_2) | instskip(SKIP_1) | instid1(VALU_DEP_1)
	v_cmp_lt_i16_e64 s3, -1, v21
	s_wait_alu 0xf1ff
	v_cndmask_b32_e64 v49, -1, 0xffff8000, s3
	s_delay_alu instid0(VALU_DEP_3) | instskip(NEXT) | instid1(VALU_DEP_2)
	v_cmp_lt_i16_e64 s3, -1, v22
	v_xor_b32_e32 v21, v49, v21
	s_wait_alu 0xf1ff
	s_delay_alu instid0(VALU_DEP_2) | instskip(NEXT) | instid1(VALU_DEP_1)
	v_cndmask_b32_e64 v50, -1, 0xffff8000, s3
	v_xor_b32_e32 v22, v50, v22
	s_delay_alu instid0(VALU_DEP_1)
	v_cmp_le_u16_e64 s3, v21, v22
	s_and_b32 s11, s3, exec_lo
.LBB1867_174:
	s_wait_alu 0xfffe
	s_or_b32 exec_lo, exec_lo, s9
	s_delay_alu instid0(SALU_CYCLE_1)
	s_or_not1_b32 s9, s11, exec_lo
.LBB1867_175:
	s_wait_alu 0xfffe
	s_or_b32 exec_lo, exec_lo, s10
	v_cndmask_b32_e64 v21, v23, v24, s9
	v_cndmask_b32_e64 v22, v31, v30, s9
	s_mov_b32 s11, -1
	s_mov_b32 s10, exec_lo
	s_delay_alu instid0(VALU_DEP_2) | instskip(NEXT) | instid1(VALU_DEP_2)
	v_add_nc_u32_e32 v49, 1, v21
	v_add_nc_u32_e32 v22, -1, v22
	v_lshl_add_u32 v21, v21, 3, v2
	s_delay_alu instid0(VALU_DEP_3) | instskip(NEXT) | instid1(VALU_DEP_3)
	v_cndmask_b32_e64 v23, v49, v23, s9
	v_min_u32_e32 v22, v49, v22
	v_cndmask_b32_e64 v24, v24, v49, s9
	s_delay_alu instid0(VALU_DEP_2)
	v_lshl_add_u32 v22, v22, 1, v6
	ds_load_u16 v50, v22
	ds_load_b64 v[21:22], v21 offset:2048
	s_wait_dscnt 0x1
	v_cndmask_b32_e64 v49, v50, v39, s9
	v_cndmask_b32_e64 v50, v48, v50, s9
	v_cmpx_lt_u32_e64 v23, v31
	s_cbranch_execz .LBB1867_179
; %bb.176:
	s_mov_b32 s12, 0
	s_mov_b32 s11, exec_lo
	v_cmpx_lt_u32_e64 v24, v30
	s_cbranch_execz .LBB1867_178
; %bb.177:
	v_add_f16_e32 v30, 0, v50
	v_add_f16_e32 v31, 0, v49
	s_delay_alu instid0(VALU_DEP_2) | instskip(SKIP_1) | instid1(VALU_DEP_1)
	v_cmp_lt_i16_e64 s3, -1, v30
	s_wait_alu 0xf1ff
	v_cndmask_b32_e64 v51, -1, 0xffff8000, s3
	s_delay_alu instid0(VALU_DEP_3) | instskip(NEXT) | instid1(VALU_DEP_2)
	v_cmp_lt_i16_e64 s3, -1, v31
	v_xor_b32_e32 v30, v51, v30
	s_wait_alu 0xf1ff
	s_delay_alu instid0(VALU_DEP_2) | instskip(NEXT) | instid1(VALU_DEP_1)
	v_cndmask_b32_e64 v52, -1, 0xffff8000, s3
	v_xor_b32_e32 v31, v52, v31
	s_delay_alu instid0(VALU_DEP_1)
	v_cmp_le_u16_e64 s3, v30, v31
	s_and_b32 s12, s3, exec_lo
.LBB1867_178:
	s_wait_alu 0xfffe
	s_or_b32 exec_lo, exec_lo, s11
	s_delay_alu instid0(SALU_CYCLE_1)
	s_or_not1_b32 s11, s12, exec_lo
.LBB1867_179:
	s_wait_alu 0xfffe
	s_or_b32 exec_lo, exec_lo, s10
	v_cndmask_b32_e64 v23, v23, v24, s11
	v_cndmask_b32_e64 v39, v39, v48, s9
	;; [unrolled: 1-line block ×5, first 2 shown]
	v_lshl_add_u32 v23, v23, 3, v2
	ds_load_b64 v[23:24], v23 offset:2048
.LBB1867_180:
	s_wait_alu 0xfffe
	s_or_b32 exec_lo, exec_lo, s7
	v_and_b32_e32 v32, 0x60, v36
	; wave barrier
	ds_store_b16 v3, v38
	ds_store_b64 v27, v[17:18]
	s_mov_b32 s4, exec_lo
	v_or_b32_e32 v30, 16, v32
	ds_store_b16 v7, v37
	ds_store_b64 v15, v[19:20]
	ds_store_b16 v16, v39
	s_wait_dscnt 0x6
	ds_store_b64 v28, v[21:22]
	ds_store_b16 v26, v9
	s_wait_dscnt 0x7
	ds_store_b64 v29, v[23:24]
	; wave barrier
	v_min_u32_e32 v30, v25, v30
	s_delay_alu instid0(VALU_DEP_1) | instskip(SKIP_1) | instid1(VALU_DEP_2)
	v_add_nc_u32_e32 v31, 16, v30
	v_sub_nc_u32_e32 v48, v30, v32
	v_min_u32_e32 v31, v25, v31
	v_min_u32_e32 v25, v25, v12
	s_delay_alu instid0(VALU_DEP_2) | instskip(NEXT) | instid1(VALU_DEP_2)
	v_sub_nc_u32_e32 v36, v31, v30
	v_min_u32_e32 v27, v25, v48
	s_delay_alu instid0(VALU_DEP_2) | instskip(NEXT) | instid1(VALU_DEP_1)
	v_sub_nc_u32_e64 v3, v25, v36 clamp
	v_cmpx_lt_u32_e64 v3, v27
	s_cbranch_execz .LBB1867_184
; %bb.181:
	v_lshlrev_b32_e32 v7, 1, v32
	v_lshlrev_b32_e32 v15, 1, v30
	s_mov_b32 s7, 0
	s_delay_alu instid0(VALU_DEP_2) | instskip(NEXT) | instid1(VALU_DEP_2)
	v_add_co_u32 v7, null, v6, v7
	v_add_co_u32 v15, null, v6, v15
.LBB1867_182:                           ; =>This Inner Loop Header: Depth=1
	v_add_nc_u32_e32 v16, v27, v3
	s_delay_alu instid0(VALU_DEP_1) | instskip(SKIP_1) | instid1(VALU_DEP_2)
	v_lshrrev_b32_e32 v26, 1, v16
	v_and_b32_e32 v16, -2, v16
	v_xad_u32 v28, v26, -1, v25
	s_delay_alu instid0(VALU_DEP_2) | instskip(NEXT) | instid1(VALU_DEP_2)
	v_add_nc_u32_e32 v16, v7, v16
	v_lshl_add_u32 v28, v28, 1, v15
	ds_load_u16 v16, v16
	ds_load_u16 v28, v28
	s_wait_dscnt 0x1
	v_add_f16_e32 v16, 0, v16
	s_wait_dscnt 0x0
	v_add_f16_e32 v28, 0, v28
	s_delay_alu instid0(VALU_DEP_2) | instskip(SKIP_1) | instid1(VALU_DEP_1)
	v_cmp_lt_i16_e64 s3, -1, v16
	s_wait_alu 0xf1ff
	v_cndmask_b32_e64 v29, -1, 0xffff8000, s3
	s_delay_alu instid0(VALU_DEP_3) | instskip(NEXT) | instid1(VALU_DEP_2)
	v_cmp_lt_i16_e64 s3, -1, v28
	v_xor_b32_e32 v16, v29, v16
	s_wait_alu 0xf1ff
	s_delay_alu instid0(VALU_DEP_2) | instskip(SKIP_1) | instid1(VALU_DEP_2)
	v_cndmask_b32_e64 v36, -1, 0xffff8000, s3
	v_add_nc_u32_e32 v29, 1, v26
	v_xor_b32_e32 v28, v36, v28
	s_delay_alu instid0(VALU_DEP_1) | instskip(SKIP_1) | instid1(VALU_DEP_1)
	v_cmp_gt_u16_e64 s3, v16, v28
	s_wait_alu 0xf1ff
	v_cndmask_b32_e64 v27, v27, v26, s3
	v_cndmask_b32_e64 v3, v29, v3, s3
	s_delay_alu instid0(VALU_DEP_1)
	v_cmp_ge_u32_e64 s3, v3, v27
	s_wait_alu 0xfffe
	s_or_b32 s7, s3, s7
	s_wait_alu 0xfffe
	s_and_not1_b32 exec_lo, exec_lo, s7
	s_cbranch_execnz .LBB1867_182
; %bb.183:
	s_or_b32 exec_lo, exec_lo, s7
.LBB1867_184:
	s_wait_alu 0xfffe
	s_or_b32 exec_lo, exec_lo, s4
	v_add_nc_u32_e32 v7, v30, v25
	v_add_nc_u32_e32 v15, v3, v32
	s_delay_alu instid0(VALU_DEP_2) | instskip(NEXT) | instid1(VALU_DEP_2)
	v_sub_nc_u32_e32 v16, v7, v3
	v_cmp_le_u32_e64 s3, v15, v30
	s_delay_alu instid0(VALU_DEP_2)
	v_cmp_le_u32_e64 s4, v16, v31
	s_or_b32 s3, s3, s4
	s_wait_alu 0xfffe
	s_and_saveexec_b32 s7, s3
	s_cbranch_execz .LBB1867_204
; %bb.185:
	v_cmp_ge_u32_e64 s3, v15, v30
	s_mov_b32 s8, exec_lo
                                        ; implicit-def: $vgpr3
	v_cmpx_lt_u32_e64 v15, v30
; %bb.186:
	v_lshl_add_u32 v3, v15, 1, v6
	ds_load_u16 v3, v3
; %bb.187:
	s_wait_alu 0xfffe
	s_or_b32 exec_lo, exec_lo, s8
	v_cmp_ge_u32_e64 s8, v16, v31
	s_mov_b32 s9, exec_lo
                                        ; implicit-def: $vgpr7
	v_cmpx_lt_u32_e64 v16, v31
; %bb.188:
	v_lshl_add_u32 v7, v16, 1, v6
	ds_load_u16 v7, v7
; %bb.189:
	s_wait_alu 0xfffe
	s_or_b32 exec_lo, exec_lo, s9
	s_nor_b32 s3, s3, s8
	s_wait_alu 0xfffe
	s_and_saveexec_b32 s4, s3
	s_cbranch_execz .LBB1867_191
; %bb.190:
	s_wait_dscnt 0x0
	v_add_f16_e32 v9, 0, v3
	v_add_f16_e32 v17, 0, v7
	s_and_not1_b32 s8, s8, exec_lo
	s_delay_alu instid0(VALU_DEP_2) | instskip(SKIP_1) | instid1(VALU_DEP_1)
	v_cmp_lt_i16_e64 s3, -1, v9
	s_wait_alu 0xf1ff
	v_cndmask_b32_e64 v18, -1, 0xffff8000, s3
	v_cmp_lt_i16_e64 s3, -1, v17
	s_delay_alu instid0(VALU_DEP_2) | instskip(SKIP_1) | instid1(VALU_DEP_2)
	v_xor_b32_e32 v9, v18, v9
	s_wait_alu 0xf1ff
	v_cndmask_b32_e64 v19, -1, 0xffff8000, s3
	s_delay_alu instid0(VALU_DEP_1) | instskip(NEXT) | instid1(VALU_DEP_1)
	v_xor_b32_e32 v17, v19, v17
	v_cmp_le_u16_e64 s3, v9, v17
	s_and_b32 s3, s3, exec_lo
	s_wait_alu 0xfffe
	s_or_b32 s8, s8, s3
.LBB1867_191:
	s_wait_alu 0xfffe
	s_or_b32 exec_lo, exec_lo, s4
	v_cndmask_b32_e64 v9, v16, v15, s8
	v_cndmask_b32_e64 v17, v31, v30, s8
	s_mov_b32 s9, -1
	s_mov_b32 s4, -1
	s_mov_b32 s10, exec_lo
	v_add_nc_u32_e32 v19, 1, v9
	v_add_nc_u32_e32 v17, -1, v17
	v_lshl_add_u32 v9, v9, 3, v2
	s_delay_alu instid0(VALU_DEP_3) | instskip(NEXT) | instid1(VALU_DEP_3)
	v_cndmask_b32_e64 v16, v19, v16, s8
	v_min_u32_e32 v17, v19, v17
	v_cndmask_b32_e64 v21, v15, v19, s8
	s_delay_alu instid0(VALU_DEP_2)
	v_lshl_add_u32 v17, v17, 1, v6
	ds_load_u16 v20, v17
	ds_load_b64 v[17:18], v9 offset:2048
	s_wait_dscnt 0x1
	v_cndmask_b32_e64 v9, v20, v7, s8
	v_cndmask_b32_e64 v15, v3, v20, s8
	v_cmpx_lt_u32_e64 v16, v31
	s_cbranch_execz .LBB1867_195
; %bb.192:
	s_mov_b32 s11, 0
	s_mov_b32 s4, exec_lo
	v_cmpx_lt_u32_e64 v21, v30
	s_cbranch_execz .LBB1867_194
; %bb.193:
	v_add_f16_e32 v19, 0, v15
	v_add_f16_e32 v20, 0, v9
	s_delay_alu instid0(VALU_DEP_2) | instskip(SKIP_1) | instid1(VALU_DEP_1)
	v_cmp_lt_i16_e64 s3, -1, v19
	s_wait_alu 0xf1ff
	v_cndmask_b32_e64 v22, -1, 0xffff8000, s3
	s_delay_alu instid0(VALU_DEP_3) | instskip(NEXT) | instid1(VALU_DEP_2)
	v_cmp_lt_i16_e64 s3, -1, v20
	v_xor_b32_e32 v19, v22, v19
	s_wait_alu 0xf1ff
	s_delay_alu instid0(VALU_DEP_2) | instskip(NEXT) | instid1(VALU_DEP_1)
	v_cndmask_b32_e64 v23, -1, 0xffff8000, s3
	v_xor_b32_e32 v20, v23, v20
	s_delay_alu instid0(VALU_DEP_1)
	v_cmp_le_u16_e64 s3, v19, v20
	s_and_b32 s11, s3, exec_lo
.LBB1867_194:
	s_wait_alu 0xfffe
	s_or_b32 exec_lo, exec_lo, s4
	s_delay_alu instid0(SALU_CYCLE_1)
	s_or_not1_b32 s4, s11, exec_lo
.LBB1867_195:
	s_wait_alu 0xfffe
	s_or_b32 exec_lo, exec_lo, s10
	v_cndmask_b32_e64 v19, v16, v21, s4
	v_cndmask_b32_e64 v20, v31, v30, s4
	s_mov_b32 s10, exec_lo
	s_delay_alu instid0(VALU_DEP_2) | instskip(NEXT) | instid1(VALU_DEP_2)
	v_add_nc_u32_e32 v22, 1, v19
	v_add_nc_u32_e32 v20, -1, v20
	v_lshl_add_u32 v19, v19, 3, v2
	s_delay_alu instid0(VALU_DEP_3) | instskip(NEXT) | instid1(VALU_DEP_3)
	v_cndmask_b32_e64 v23, v22, v16, s4
	v_min_u32_e32 v20, v22, v20
	v_cndmask_b32_e64 v24, v21, v22, s4
	s_delay_alu instid0(VALU_DEP_2)
	v_lshl_add_u32 v20, v20, 1, v6
	ds_load_u16 v25, v20
	ds_load_b64 v[19:20], v19 offset:2048
	s_wait_dscnt 0x1
	v_cndmask_b32_e64 v16, v25, v9, s4
	v_cndmask_b32_e64 v25, v15, v25, s4
	v_cmpx_lt_u32_e64 v23, v31
	s_cbranch_execz .LBB1867_199
; %bb.196:
	s_mov_b32 s11, 0
	s_mov_b32 s9, exec_lo
	v_cmpx_lt_u32_e64 v24, v30
	s_cbranch_execz .LBB1867_198
; %bb.197:
	v_add_f16_e32 v21, 0, v25
	v_add_f16_e32 v22, 0, v16
	s_delay_alu instid0(VALU_DEP_2) | instskip(SKIP_1) | instid1(VALU_DEP_1)
	v_cmp_lt_i16_e64 s3, -1, v21
	s_wait_alu 0xf1ff
	v_cndmask_b32_e64 v26, -1, 0xffff8000, s3
	s_delay_alu instid0(VALU_DEP_3) | instskip(NEXT) | instid1(VALU_DEP_2)
	v_cmp_lt_i16_e64 s3, -1, v22
	v_xor_b32_e32 v21, v26, v21
	s_wait_alu 0xf1ff
	s_delay_alu instid0(VALU_DEP_2) | instskip(NEXT) | instid1(VALU_DEP_1)
	v_cndmask_b32_e64 v27, -1, 0xffff8000, s3
	v_xor_b32_e32 v22, v27, v22
	s_delay_alu instid0(VALU_DEP_1)
	v_cmp_le_u16_e64 s3, v21, v22
	s_and_b32 s11, s3, exec_lo
.LBB1867_198:
	s_wait_alu 0xfffe
	s_or_b32 exec_lo, exec_lo, s9
	s_delay_alu instid0(SALU_CYCLE_1)
	s_or_not1_b32 s9, s11, exec_lo
.LBB1867_199:
	s_wait_alu 0xfffe
	s_or_b32 exec_lo, exec_lo, s10
	v_cndmask_b32_e64 v21, v23, v24, s9
	v_cndmask_b32_e64 v22, v31, v30, s9
	s_mov_b32 s11, -1
	s_mov_b32 s10, exec_lo
	s_delay_alu instid0(VALU_DEP_2) | instskip(NEXT) | instid1(VALU_DEP_2)
	v_add_nc_u32_e32 v26, 1, v21
	v_add_nc_u32_e32 v22, -1, v22
	s_delay_alu instid0(VALU_DEP_2) | instskip(NEXT) | instid1(VALU_DEP_2)
	v_cndmask_b32_e64 v23, v26, v23, s9
	v_min_u32_e32 v22, v26, v22
	v_cndmask_b32_e64 v24, v24, v26, s9
	s_delay_alu instid0(VALU_DEP_2)
	v_lshl_add_u32 v6, v22, 1, v6
	ds_load_u16 v27, v6
	v_lshl_add_u32 v6, v21, 3, v2
	ds_load_b64 v[21:22], v6 offset:2048
	s_wait_dscnt 0x1
	v_cndmask_b32_e64 v6, v27, v16, s9
	v_cndmask_b32_e64 v26, v25, v27, s9
	v_cmpx_lt_u32_e64 v23, v31
	s_cbranch_execz .LBB1867_203
; %bb.200:
	s_mov_b32 s12, 0
	s_mov_b32 s11, exec_lo
	v_cmpx_lt_u32_e64 v24, v30
	s_cbranch_execz .LBB1867_202
; %bb.201:
	v_add_f16_e32 v27, 0, v26
	v_add_f16_e32 v28, 0, v6
	s_delay_alu instid0(VALU_DEP_2) | instskip(SKIP_1) | instid1(VALU_DEP_1)
	v_cmp_lt_i16_e64 s3, -1, v27
	s_wait_alu 0xf1ff
	v_cndmask_b32_e64 v29, -1, 0xffff8000, s3
	s_delay_alu instid0(VALU_DEP_3) | instskip(NEXT) | instid1(VALU_DEP_2)
	v_cmp_lt_i16_e64 s3, -1, v28
	v_xor_b32_e32 v27, v29, v27
	s_wait_alu 0xf1ff
	s_delay_alu instid0(VALU_DEP_2) | instskip(NEXT) | instid1(VALU_DEP_1)
	v_cndmask_b32_e64 v30, -1, 0xffff8000, s3
	v_xor_b32_e32 v28, v30, v28
	s_delay_alu instid0(VALU_DEP_1)
	v_cmp_le_u16_e64 s3, v27, v28
	s_and_b32 s12, s3, exec_lo
.LBB1867_202:
	s_wait_alu 0xfffe
	s_or_b32 exec_lo, exec_lo, s11
	s_delay_alu instid0(SALU_CYCLE_1)
	s_or_not1_b32 s11, s12, exec_lo
.LBB1867_203:
	s_wait_alu 0xfffe
	s_or_b32 exec_lo, exec_lo, s10
	v_cndmask_b32_e64 v23, v23, v24, s11
	v_cndmask_b32_e64 v39, v16, v25, s9
	;; [unrolled: 1-line block ×5, first 2 shown]
	v_lshl_add_u32 v2, v23, 3, v2
	ds_load_b64 v[23:24], v2 offset:2048
.LBB1867_204:
	s_wait_alu 0xfffe
	s_or_b32 exec_lo, exec_lo, s7
	v_add_co_u32 v2, s3, v4, v33
	s_wait_alu 0xf1ff
	v_add_co_ci_u32_e64 v3, null, v5, v34, s3
	s_delay_alu instid0(VALU_DEP_2) | instskip(SKIP_1) | instid1(VALU_DEP_2)
	v_add_co_u32 v2, s3, v2, v35
	s_wait_alu 0xf1ff
	v_add_co_ci_u32_e64 v3, null, 0, v3, s3
	; wave barrier
	s_wait_storecnt_dscnt 0x0
	s_barrier_signal -1
	s_barrier_wait -1
	global_inv scope:SCOPE_SE
	; wave barrier
	s_and_saveexec_b32 s3, vcc_lo
	s_cbranch_execnz .LBB1867_226
; %bb.205:
	s_wait_alu 0xfffe
	s_or_b32 exec_lo, exec_lo, s3
	s_and_saveexec_b32 s3, s0
	s_cbranch_execnz .LBB1867_227
.LBB1867_206:
	s_wait_alu 0xfffe
	s_or_b32 exec_lo, exec_lo, s3
	s_and_saveexec_b32 s3, s2
	s_cbranch_execnz .LBB1867_228
.LBB1867_207:
	s_wait_alu 0xfffe
	s_or_b32 exec_lo, exec_lo, s3
	s_and_saveexec_b32 s3, s1
	s_cbranch_execz .LBB1867_209
.LBB1867_208:
	flat_store_b16 v[2:3], v9 offset:6
.LBB1867_209:
	s_wait_alu 0xfffe
	s_or_b32 exec_lo, exec_lo, s3
	v_add_co_u32 v0, s3, v10, v0
	s_wait_alu 0xf1ff
	v_add_co_ci_u32_e64 v1, null, v11, v1, s3
	s_delay_alu instid0(VALU_DEP_2) | instskip(SKIP_1) | instid1(VALU_DEP_2)
	v_add_co_u32 v0, s3, v0, v8
	s_wait_alu 0xf1ff
	v_add_co_ci_u32_e64 v1, null, 0, v1, s3
	; wave barrier
	s_and_saveexec_b32 s3, vcc_lo
	s_cbranch_execnz .LBB1867_229
; %bb.210:
	s_wait_alu 0xfffe
	s_or_b32 exec_lo, exec_lo, s3
	s_and_saveexec_b32 s3, s0
	s_cbranch_execnz .LBB1867_230
.LBB1867_211:
	s_wait_alu 0xfffe
	s_or_b32 exec_lo, exec_lo, s3
	s_and_saveexec_b32 s0, s2
	s_cbranch_execz .LBB1867_213
.LBB1867_212:
	flat_store_b64 v[0:1], v[21:22] offset:16
.LBB1867_213:
	s_wait_alu 0xfffe
	s_or_b32 exec_lo, exec_lo, s0
	v_dual_mov_b32 v8, v10 :: v_dual_mov_b32 v9, v11
	s_and_not1_b32 s0, s5, exec_lo
	s_and_b32 s1, s1, exec_lo
	s_wait_alu 0xfffe
	s_or_b32 s5, s0, s1
	s_or_b32 exec_lo, exec_lo, s6
	s_wait_alu 0xfffe
	s_and_saveexec_b32 s0, s5
	s_cbranch_execz .LBB1867_3
.LBB1867_214:
	v_lshlrev_b64_e32 v[0:1], 3, v[13:14]
	v_lshlrev_b32_e32 v2, 3, v12
	s_delay_alu instid0(VALU_DEP_2) | instskip(SKIP_1) | instid1(VALU_DEP_3)
	v_add_co_u32 v0, vcc_lo, v8, v0
	s_wait_alu 0xfffd
	v_add_co_ci_u32_e64 v1, null, v9, v1, vcc_lo
	s_delay_alu instid0(VALU_DEP_2) | instskip(SKIP_1) | instid1(VALU_DEP_2)
	v_add_co_u32 v0, vcc_lo, v0, v2
	s_wait_alu 0xfffd
	v_add_co_ci_u32_e64 v1, null, 0, v1, vcc_lo
	flat_store_b64 v[0:1], v[23:24] offset:24
	s_wait_alu 0xfffe
	s_or_b32 exec_lo, exec_lo, s0
	s_wait_loadcnt_dscnt 0x0
	s_setpc_b64 s[30:31]
.LBB1867_215:
	flat_load_b64 v[18:19], v[4:5]
	v_dual_mov_b32 v24, v17 :: v_dual_mov_b32 v25, v17
	v_dual_mov_b32 v20, v17 :: v_dual_mov_b32 v21, v17
	;; [unrolled: 1-line block ×3, first 2 shown]
	s_wait_loadcnt_dscnt 0x0
	v_mov_b32_e32 v17, v18
	v_mov_b32_e32 v18, v19
	;; [unrolled: 1-line block ×8, first 2 shown]
	s_wait_alu 0xfffe
	s_or_b32 exec_lo, exec_lo, s3
	s_and_saveexec_b32 s3, s0
	s_cbranch_execz .LBB1867_14
.LBB1867_216:
	flat_load_b64 v[19:20], v[4:5] offset:8
	s_wait_alu 0xfffe
	s_or_b32 exec_lo, exec_lo, s3
	s_and_saveexec_b32 s3, s1
	s_cbranch_execz .LBB1867_15
.LBB1867_217:
	flat_load_b64 v[21:22], v[4:5] offset:16
	s_wait_alu 0xfffe
	s_or_b32 exec_lo, exec_lo, s3
	s_and_saveexec_b32 s3, s2
	s_cbranch_execnz .LBB1867_16
	s_branch .LBB1867_17
.LBB1867_218:
	flat_store_b16 v[2:3], v38
	s_wait_alu 0xfffe
	s_or_b32 exec_lo, exec_lo, s3
	s_and_saveexec_b32 s3, s0
	s_cbranch_execz .LBB1867_101
.LBB1867_219:
	flat_store_b16 v[2:3], v37 offset:2
	s_wait_alu 0xfffe
	s_or_b32 exec_lo, exec_lo, s3
	s_and_saveexec_b32 s3, s1
	s_cbranch_execz .LBB1867_102
.LBB1867_220:
	flat_store_b16 v[2:3], v39 offset:4
	s_wait_alu 0xfffe
	s_or_b32 exec_lo, exec_lo, s3
	s_and_saveexec_b32 s3, s2
	s_cbranch_execnz .LBB1867_103
	s_branch .LBB1867_104
.LBB1867_221:
	flat_store_b64 v[0:1], v[17:18]
	s_wait_alu 0xfffe
	s_or_b32 exec_lo, exec_lo, s3
	s_and_saveexec_b32 s3, s0
	s_cbranch_execz .LBB1867_106
.LBB1867_222:
	flat_store_b64 v[0:1], v[19:20] offset:8
	s_wait_alu 0xfffe
	s_or_b32 exec_lo, exec_lo, s3
	s_and_saveexec_b32 s0, s1
	s_cbranch_execnz .LBB1867_107
	s_branch .LBB1867_108
.LBB1867_223:
	flat_load_b64 v[18:19], v[2:3]
	v_dual_mov_b32 v24, v17 :: v_dual_mov_b32 v25, v17
	v_dual_mov_b32 v20, v17 :: v_dual_mov_b32 v21, v17
	;; [unrolled: 1-line block ×3, first 2 shown]
	s_wait_loadcnt_dscnt 0x0
	v_mov_b32_e32 v17, v18
	v_mov_b32_e32 v18, v19
	v_mov_b32_e32 v19, v20
	v_mov_b32_e32 v20, v21
	v_mov_b32_e32 v21, v22
	v_mov_b32_e32 v22, v23
	v_mov_b32_e32 v23, v24
	v_mov_b32_e32 v24, v25
	s_wait_alu 0xfffe
	s_or_b32 exec_lo, exec_lo, s3
	s_and_saveexec_b32 s3, s0
	s_cbranch_execz .LBB1867_119
.LBB1867_224:
	flat_load_b64 v[19:20], v[2:3] offset:8
	s_wait_alu 0xfffe
	s_or_b32 exec_lo, exec_lo, s3
	s_and_saveexec_b32 s3, s2
	s_cbranch_execz .LBB1867_120
.LBB1867_225:
	flat_load_b64 v[21:22], v[2:3] offset:16
	s_wait_alu 0xfffe
	s_or_b32 exec_lo, exec_lo, s3
	s_and_saveexec_b32 s3, s1
	s_cbranch_execnz .LBB1867_121
	s_branch .LBB1867_122
.LBB1867_226:
	flat_store_b16 v[2:3], v38
	s_wait_alu 0xfffe
	s_or_b32 exec_lo, exec_lo, s3
	s_and_saveexec_b32 s3, s0
	s_cbranch_execz .LBB1867_206
.LBB1867_227:
	flat_store_b16 v[2:3], v37 offset:2
	s_wait_alu 0xfffe
	s_or_b32 exec_lo, exec_lo, s3
	s_and_saveexec_b32 s3, s2
	s_cbranch_execz .LBB1867_207
.LBB1867_228:
	flat_store_b16 v[2:3], v39 offset:4
	s_wait_alu 0xfffe
	s_or_b32 exec_lo, exec_lo, s3
	s_and_saveexec_b32 s3, s1
	s_cbranch_execnz .LBB1867_208
	s_branch .LBB1867_209
.LBB1867_229:
	flat_store_b64 v[0:1], v[17:18]
	s_wait_alu 0xfffe
	s_or_b32 exec_lo, exec_lo, s3
	s_and_saveexec_b32 s3, s0
	s_cbranch_execz .LBB1867_211
.LBB1867_230:
	flat_store_b64 v[0:1], v[19:20] offset:8
	s_wait_alu 0xfffe
	s_or_b32 exec_lo, exec_lo, s3
	s_and_saveexec_b32 s0, s2
	s_cbranch_execnz .LBB1867_212
	s_branch .LBB1867_213
.Lfunc_end1867:
	.size	_ZN7rocprim17ROCPRIM_400000_NS6detail26segmented_warp_sort_helperINS1_20WarpSortHelperConfigILj8ELj4ELj256EEE6__halflLi256ELb0EvE4sortIPKS5_PS5_PKlPlEEvT_SA_T0_T1_SD_T2_bjjjjRNS6_12storage_typeE, .Lfunc_end1867-_ZN7rocprim17ROCPRIM_400000_NS6detail26segmented_warp_sort_helperINS1_20WarpSortHelperConfigILj8ELj4ELj256EEE6__halflLi256ELb0EvE4sortIPKS5_PS5_PKlPlEEvT_SA_T0_T1_SD_T2_bjjjjRNS6_12storage_typeE
                                        ; -- End function
	.set .L_ZN7rocprim17ROCPRIM_400000_NS6detail26segmented_warp_sort_helperINS1_20WarpSortHelperConfigILj8ELj4ELj256EEE6__halflLi256ELb0EvE4sortIPKS5_PS5_PKlPlEEvT_SA_T0_T1_SD_T2_bjjjjRNS6_12storage_typeE.num_vgpr, 66
	.set .L_ZN7rocprim17ROCPRIM_400000_NS6detail26segmented_warp_sort_helperINS1_20WarpSortHelperConfigILj8ELj4ELj256EEE6__halflLi256ELb0EvE4sortIPKS5_PS5_PKlPlEEvT_SA_T0_T1_SD_T2_bjjjjRNS6_12storage_typeE.num_agpr, 0
	.set .L_ZN7rocprim17ROCPRIM_400000_NS6detail26segmented_warp_sort_helperINS1_20WarpSortHelperConfigILj8ELj4ELj256EEE6__halflLi256ELb0EvE4sortIPKS5_PS5_PKlPlEEvT_SA_T0_T1_SD_T2_bjjjjRNS6_12storage_typeE.numbered_sgpr, 32
	.set .L_ZN7rocprim17ROCPRIM_400000_NS6detail26segmented_warp_sort_helperINS1_20WarpSortHelperConfigILj8ELj4ELj256EEE6__halflLi256ELb0EvE4sortIPKS5_PS5_PKlPlEEvT_SA_T0_T1_SD_T2_bjjjjRNS6_12storage_typeE.num_named_barrier, 0
	.set .L_ZN7rocprim17ROCPRIM_400000_NS6detail26segmented_warp_sort_helperINS1_20WarpSortHelperConfigILj8ELj4ELj256EEE6__halflLi256ELb0EvE4sortIPKS5_PS5_PKlPlEEvT_SA_T0_T1_SD_T2_bjjjjRNS6_12storage_typeE.private_seg_size, 0
	.set .L_ZN7rocprim17ROCPRIM_400000_NS6detail26segmented_warp_sort_helperINS1_20WarpSortHelperConfigILj8ELj4ELj256EEE6__halflLi256ELb0EvE4sortIPKS5_PS5_PKlPlEEvT_SA_T0_T1_SD_T2_bjjjjRNS6_12storage_typeE.uses_vcc, 1
	.set .L_ZN7rocprim17ROCPRIM_400000_NS6detail26segmented_warp_sort_helperINS1_20WarpSortHelperConfigILj8ELj4ELj256EEE6__halflLi256ELb0EvE4sortIPKS5_PS5_PKlPlEEvT_SA_T0_T1_SD_T2_bjjjjRNS6_12storage_typeE.uses_flat_scratch, 0
	.set .L_ZN7rocprim17ROCPRIM_400000_NS6detail26segmented_warp_sort_helperINS1_20WarpSortHelperConfigILj8ELj4ELj256EEE6__halflLi256ELb0EvE4sortIPKS5_PS5_PKlPlEEvT_SA_T0_T1_SD_T2_bjjjjRNS6_12storage_typeE.has_dyn_sized_stack, 0
	.set .L_ZN7rocprim17ROCPRIM_400000_NS6detail26segmented_warp_sort_helperINS1_20WarpSortHelperConfigILj8ELj4ELj256EEE6__halflLi256ELb0EvE4sortIPKS5_PS5_PKlPlEEvT_SA_T0_T1_SD_T2_bjjjjRNS6_12storage_typeE.has_recursion, 0
	.set .L_ZN7rocprim17ROCPRIM_400000_NS6detail26segmented_warp_sort_helperINS1_20WarpSortHelperConfigILj8ELj4ELj256EEE6__halflLi256ELb0EvE4sortIPKS5_PS5_PKlPlEEvT_SA_T0_T1_SD_T2_bjjjjRNS6_12storage_typeE.has_indirect_call, 0
	.section	.AMDGPU.csdata,"",@progbits
; Function info:
; codeLenInByte = 13600
; TotalNumSgprs: 34
; NumVgprs: 66
; ScratchSize: 0
; MemoryBound: 1
	.section	.text._ZN7rocprim17ROCPRIM_400000_NS6detail17trampoline_kernelINS0_14default_configENS1_36segmented_radix_sort_config_selectorI6__halflEEZNS1_25segmented_radix_sort_implIS3_Lb0EPKS5_PS5_PKlPlN2at6native12_GLOBAL__N_18offset_tEEE10hipError_tPvRmT1_PNSt15iterator_traitsISL_E10value_typeET2_T3_PNSM_ISR_E10value_typeET4_jRbjT5_SX_jjP12ihipStream_tbEUlT_E1_NS1_11comp_targetILNS1_3genE10ELNS1_11target_archE1201ELNS1_3gpuE5ELNS1_3repE0EEENS1_59segmented_radix_sort_warp_sort_small_config_static_selectorELNS0_4arch9wavefront6targetE0EEEvSL_,"axG",@progbits,_ZN7rocprim17ROCPRIM_400000_NS6detail17trampoline_kernelINS0_14default_configENS1_36segmented_radix_sort_config_selectorI6__halflEEZNS1_25segmented_radix_sort_implIS3_Lb0EPKS5_PS5_PKlPlN2at6native12_GLOBAL__N_18offset_tEEE10hipError_tPvRmT1_PNSt15iterator_traitsISL_E10value_typeET2_T3_PNSM_ISR_E10value_typeET4_jRbjT5_SX_jjP12ihipStream_tbEUlT_E1_NS1_11comp_targetILNS1_3genE10ELNS1_11target_archE1201ELNS1_3gpuE5ELNS1_3repE0EEENS1_59segmented_radix_sort_warp_sort_small_config_static_selectorELNS0_4arch9wavefront6targetE0EEEvSL_,comdat
	.globl	_ZN7rocprim17ROCPRIM_400000_NS6detail17trampoline_kernelINS0_14default_configENS1_36segmented_radix_sort_config_selectorI6__halflEEZNS1_25segmented_radix_sort_implIS3_Lb0EPKS5_PS5_PKlPlN2at6native12_GLOBAL__N_18offset_tEEE10hipError_tPvRmT1_PNSt15iterator_traitsISL_E10value_typeET2_T3_PNSM_ISR_E10value_typeET4_jRbjT5_SX_jjP12ihipStream_tbEUlT_E1_NS1_11comp_targetILNS1_3genE10ELNS1_11target_archE1201ELNS1_3gpuE5ELNS1_3repE0EEENS1_59segmented_radix_sort_warp_sort_small_config_static_selectorELNS0_4arch9wavefront6targetE0EEEvSL_ ; -- Begin function _ZN7rocprim17ROCPRIM_400000_NS6detail17trampoline_kernelINS0_14default_configENS1_36segmented_radix_sort_config_selectorI6__halflEEZNS1_25segmented_radix_sort_implIS3_Lb0EPKS5_PS5_PKlPlN2at6native12_GLOBAL__N_18offset_tEEE10hipError_tPvRmT1_PNSt15iterator_traitsISL_E10value_typeET2_T3_PNSM_ISR_E10value_typeET4_jRbjT5_SX_jjP12ihipStream_tbEUlT_E1_NS1_11comp_targetILNS1_3genE10ELNS1_11target_archE1201ELNS1_3gpuE5ELNS1_3repE0EEENS1_59segmented_radix_sort_warp_sort_small_config_static_selectorELNS0_4arch9wavefront6targetE0EEEvSL_
	.p2align	8
	.type	_ZN7rocprim17ROCPRIM_400000_NS6detail17trampoline_kernelINS0_14default_configENS1_36segmented_radix_sort_config_selectorI6__halflEEZNS1_25segmented_radix_sort_implIS3_Lb0EPKS5_PS5_PKlPlN2at6native12_GLOBAL__N_18offset_tEEE10hipError_tPvRmT1_PNSt15iterator_traitsISL_E10value_typeET2_T3_PNSM_ISR_E10value_typeET4_jRbjT5_SX_jjP12ihipStream_tbEUlT_E1_NS1_11comp_targetILNS1_3genE10ELNS1_11target_archE1201ELNS1_3gpuE5ELNS1_3repE0EEENS1_59segmented_radix_sort_warp_sort_small_config_static_selectorELNS0_4arch9wavefront6targetE0EEEvSL_,@function
_ZN7rocprim17ROCPRIM_400000_NS6detail17trampoline_kernelINS0_14default_configENS1_36segmented_radix_sort_config_selectorI6__halflEEZNS1_25segmented_radix_sort_implIS3_Lb0EPKS5_PS5_PKlPlN2at6native12_GLOBAL__N_18offset_tEEE10hipError_tPvRmT1_PNSt15iterator_traitsISL_E10value_typeET2_T3_PNSM_ISR_E10value_typeET4_jRbjT5_SX_jjP12ihipStream_tbEUlT_E1_NS1_11comp_targetILNS1_3genE10ELNS1_11target_archE1201ELNS1_3gpuE5ELNS1_3repE0EEENS1_59segmented_radix_sort_warp_sort_small_config_static_selectorELNS0_4arch9wavefront6targetE0EEEvSL_: ; @_ZN7rocprim17ROCPRIM_400000_NS6detail17trampoline_kernelINS0_14default_configENS1_36segmented_radix_sort_config_selectorI6__halflEEZNS1_25segmented_radix_sort_implIS3_Lb0EPKS5_PS5_PKlPlN2at6native12_GLOBAL__N_18offset_tEEE10hipError_tPvRmT1_PNSt15iterator_traitsISL_E10value_typeET2_T3_PNSM_ISR_E10value_typeET4_jRbjT5_SX_jjP12ihipStream_tbEUlT_E1_NS1_11comp_targetILNS1_3genE10ELNS1_11target_archE1201ELNS1_3gpuE5ELNS1_3repE0EEENS1_59segmented_radix_sort_warp_sort_small_config_static_selectorELNS0_4arch9wavefront6targetE0EEEvSL_
; %bb.0:
	s_load_b32 s2, s[0:1], 0x64
	v_bfe_u32 v1, v0, 10, 10
	v_bfe_u32 v2, v0, 20, 10
	s_mov_b32 s32, 0
	s_wait_kmcnt 0x0
	s_lshr_b32 s3, s2, 16
	s_and_b32 s2, s2, 0xffff
	v_mad_u32_u24 v2, v2, s3, v1
	v_and_b32_e32 v1, 0x3ff, v0
	s_load_b32 s3, s[0:1], 0x34
	s_delay_alu instid0(VALU_DEP_1) | instskip(SKIP_2) | instid1(VALU_DEP_1)
	v_mad_co_u64_u32 v[1:2], null, v2, s2, v[1:2]
	s_mov_b32 s2, exec_lo
	v_lshrrev_b32_e32 v1, 3, v1
	v_lshl_add_u32 v1, ttmp9, 5, v1
	s_wait_kmcnt 0x0
	s_delay_alu instid0(VALU_DEP_1)
	v_cmpx_gt_u32_e64 s3, v1
	s_cbranch_execz .LBB1868_3
; %bb.1:
	s_clause 0x1
	s_load_b64 s[2:3], s[0:1], 0x38
	s_load_b128 s[4:7], s[0:1], 0x40
	v_mov_b32_e32 v2, 0
	s_delay_alu instid0(VALU_DEP_1) | instskip(SKIP_1) | instid1(VALU_DEP_1)
	v_lshlrev_b64_e32 v[1:2], 2, v[1:2]
	s_wait_kmcnt 0x0
	v_sub_co_u32 v1, vcc_lo, s2, v1
	s_delay_alu instid0(VALU_DEP_1) | instskip(SKIP_4) | instid1(VALU_DEP_2)
	v_sub_co_ci_u32_e64 v2, null, s3, v2, vcc_lo
	global_load_b32 v1, v[1:2], off offset:-4
	s_wait_loadcnt 0x0
	v_add_nc_u32_e32 v2, s5, v1
	v_add_nc_u32_e32 v1, s7, v1
	v_mul_lo_u32 v13, v2, s4
	s_delay_alu instid0(VALU_DEP_2) | instskip(NEXT) | instid1(VALU_DEP_1)
	v_mul_lo_u32 v14, v1, s6
	v_cmp_gt_u32_e32 vcc_lo, v14, v13
	s_and_b32 exec_lo, exec_lo, vcc_lo
	s_cbranch_execz .LBB1868_3
; %bb.2:
	s_mov_b64 s[2:3], src_shared_base
	s_clause 0x2
	s_load_b32 s2, s[0:1], 0x30
	s_load_b256 s[12:19], s[0:1], 0x0
	s_load_b128 s[4:7], s[0:1], 0x20
	s_add_nc_u64 s[8:9], s[0:1], 0x58
	s_getpc_b64 s[0:1]
	s_wait_alu 0xfffe
	s_sext_i32_i16 s1, s1
	s_add_co_u32 s0, s0, _ZN7rocprim17ROCPRIM_400000_NS6detail26segmented_warp_sort_helperINS1_20WarpSortHelperConfigILj8ELj4ELj256EEE6__halflLi256ELb0EvE4sortIPKS5_PS5_PKlPlEEvT_SA_T0_T1_SD_T2_bjjjjRNS6_12storage_typeE@rel32@lo+12
	s_wait_alu 0xfffe
	s_add_co_ci_u32 s1, s1, _ZN7rocprim17ROCPRIM_400000_NS6detail26segmented_warp_sort_helperINS1_20WarpSortHelperConfigILj8ELj4ELj256EEE6__halflLi256ELb0EvE4sortIPKS5_PS5_PKlPlEEvT_SA_T0_T1_SD_T2_bjjjjRNS6_12storage_typeE@rel32@hi+24
	v_mov_b32_e32 v31, v0
	v_dual_mov_b32 v15, 0 :: v_dual_mov_b32 v16, s3
	s_wait_kmcnt 0x0
	s_and_b32 s2, s2, 0xff
	v_dual_mov_b32 v0, s12 :: v_dual_mov_b32 v1, s13
	v_dual_mov_b32 v2, s14 :: v_dual_mov_b32 v3, s15
	;; [unrolled: 1-line block ×6, first 2 shown]
	s_wait_alu 0xfffe
	v_mov_b32_e32 v12, s2
	s_swappc_b64 s[30:31], s[0:1]
.LBB1868_3:
	s_endpgm
	.section	.rodata,"a",@progbits
	.p2align	6, 0x0
	.amdhsa_kernel _ZN7rocprim17ROCPRIM_400000_NS6detail17trampoline_kernelINS0_14default_configENS1_36segmented_radix_sort_config_selectorI6__halflEEZNS1_25segmented_radix_sort_implIS3_Lb0EPKS5_PS5_PKlPlN2at6native12_GLOBAL__N_18offset_tEEE10hipError_tPvRmT1_PNSt15iterator_traitsISL_E10value_typeET2_T3_PNSM_ISR_E10value_typeET4_jRbjT5_SX_jjP12ihipStream_tbEUlT_E1_NS1_11comp_targetILNS1_3genE10ELNS1_11target_archE1201ELNS1_3gpuE5ELNS1_3repE0EEENS1_59segmented_radix_sort_warp_sort_small_config_static_selectorELNS0_4arch9wavefront6targetE0EEEvSL_
		.amdhsa_group_segment_fixed_size 10240
		.amdhsa_private_segment_fixed_size 0
		.amdhsa_kernarg_size 344
		.amdhsa_user_sgpr_count 2
		.amdhsa_user_sgpr_dispatch_ptr 0
		.amdhsa_user_sgpr_queue_ptr 0
		.amdhsa_user_sgpr_kernarg_segment_ptr 1
		.amdhsa_user_sgpr_dispatch_id 0
		.amdhsa_user_sgpr_private_segment_size 0
		.amdhsa_wavefront_size32 1
		.amdhsa_uses_dynamic_stack 0
		.amdhsa_enable_private_segment 0
		.amdhsa_system_sgpr_workgroup_id_x 1
		.amdhsa_system_sgpr_workgroup_id_y 1
		.amdhsa_system_sgpr_workgroup_id_z 0
		.amdhsa_system_sgpr_workgroup_info 0
		.amdhsa_system_vgpr_workitem_id 2
		.amdhsa_next_free_vgpr 66
		.amdhsa_next_free_sgpr 33
		.amdhsa_reserve_vcc 1
		.amdhsa_float_round_mode_32 0
		.amdhsa_float_round_mode_16_64 0
		.amdhsa_float_denorm_mode_32 3
		.amdhsa_float_denorm_mode_16_64 3
		.amdhsa_fp16_overflow 0
		.amdhsa_workgroup_processor_mode 1
		.amdhsa_memory_ordered 1
		.amdhsa_forward_progress 1
		.amdhsa_inst_pref_size 4
		.amdhsa_round_robin_scheduling 0
		.amdhsa_exception_fp_ieee_invalid_op 0
		.amdhsa_exception_fp_denorm_src 0
		.amdhsa_exception_fp_ieee_div_zero 0
		.amdhsa_exception_fp_ieee_overflow 0
		.amdhsa_exception_fp_ieee_underflow 0
		.amdhsa_exception_fp_ieee_inexact 0
		.amdhsa_exception_int_div_zero 0
	.end_amdhsa_kernel
	.section	.text._ZN7rocprim17ROCPRIM_400000_NS6detail17trampoline_kernelINS0_14default_configENS1_36segmented_radix_sort_config_selectorI6__halflEEZNS1_25segmented_radix_sort_implIS3_Lb0EPKS5_PS5_PKlPlN2at6native12_GLOBAL__N_18offset_tEEE10hipError_tPvRmT1_PNSt15iterator_traitsISL_E10value_typeET2_T3_PNSM_ISR_E10value_typeET4_jRbjT5_SX_jjP12ihipStream_tbEUlT_E1_NS1_11comp_targetILNS1_3genE10ELNS1_11target_archE1201ELNS1_3gpuE5ELNS1_3repE0EEENS1_59segmented_radix_sort_warp_sort_small_config_static_selectorELNS0_4arch9wavefront6targetE0EEEvSL_,"axG",@progbits,_ZN7rocprim17ROCPRIM_400000_NS6detail17trampoline_kernelINS0_14default_configENS1_36segmented_radix_sort_config_selectorI6__halflEEZNS1_25segmented_radix_sort_implIS3_Lb0EPKS5_PS5_PKlPlN2at6native12_GLOBAL__N_18offset_tEEE10hipError_tPvRmT1_PNSt15iterator_traitsISL_E10value_typeET2_T3_PNSM_ISR_E10value_typeET4_jRbjT5_SX_jjP12ihipStream_tbEUlT_E1_NS1_11comp_targetILNS1_3genE10ELNS1_11target_archE1201ELNS1_3gpuE5ELNS1_3repE0EEENS1_59segmented_radix_sort_warp_sort_small_config_static_selectorELNS0_4arch9wavefront6targetE0EEEvSL_,comdat
.Lfunc_end1868:
	.size	_ZN7rocprim17ROCPRIM_400000_NS6detail17trampoline_kernelINS0_14default_configENS1_36segmented_radix_sort_config_selectorI6__halflEEZNS1_25segmented_radix_sort_implIS3_Lb0EPKS5_PS5_PKlPlN2at6native12_GLOBAL__N_18offset_tEEE10hipError_tPvRmT1_PNSt15iterator_traitsISL_E10value_typeET2_T3_PNSM_ISR_E10value_typeET4_jRbjT5_SX_jjP12ihipStream_tbEUlT_E1_NS1_11comp_targetILNS1_3genE10ELNS1_11target_archE1201ELNS1_3gpuE5ELNS1_3repE0EEENS1_59segmented_radix_sort_warp_sort_small_config_static_selectorELNS0_4arch9wavefront6targetE0EEEvSL_, .Lfunc_end1868-_ZN7rocprim17ROCPRIM_400000_NS6detail17trampoline_kernelINS0_14default_configENS1_36segmented_radix_sort_config_selectorI6__halflEEZNS1_25segmented_radix_sort_implIS3_Lb0EPKS5_PS5_PKlPlN2at6native12_GLOBAL__N_18offset_tEEE10hipError_tPvRmT1_PNSt15iterator_traitsISL_E10value_typeET2_T3_PNSM_ISR_E10value_typeET4_jRbjT5_SX_jjP12ihipStream_tbEUlT_E1_NS1_11comp_targetILNS1_3genE10ELNS1_11target_archE1201ELNS1_3gpuE5ELNS1_3repE0EEENS1_59segmented_radix_sort_warp_sort_small_config_static_selectorELNS0_4arch9wavefront6targetE0EEEvSL_
                                        ; -- End function
	.set _ZN7rocprim17ROCPRIM_400000_NS6detail17trampoline_kernelINS0_14default_configENS1_36segmented_radix_sort_config_selectorI6__halflEEZNS1_25segmented_radix_sort_implIS3_Lb0EPKS5_PS5_PKlPlN2at6native12_GLOBAL__N_18offset_tEEE10hipError_tPvRmT1_PNSt15iterator_traitsISL_E10value_typeET2_T3_PNSM_ISR_E10value_typeET4_jRbjT5_SX_jjP12ihipStream_tbEUlT_E1_NS1_11comp_targetILNS1_3genE10ELNS1_11target_archE1201ELNS1_3gpuE5ELNS1_3repE0EEENS1_59segmented_radix_sort_warp_sort_small_config_static_selectorELNS0_4arch9wavefront6targetE0EEEvSL_.num_vgpr, max(32, .L_ZN7rocprim17ROCPRIM_400000_NS6detail26segmented_warp_sort_helperINS1_20WarpSortHelperConfigILj8ELj4ELj256EEE6__halflLi256ELb0EvE4sortIPKS5_PS5_PKlPlEEvT_SA_T0_T1_SD_T2_bjjjjRNS6_12storage_typeE.num_vgpr)
	.set _ZN7rocprim17ROCPRIM_400000_NS6detail17trampoline_kernelINS0_14default_configENS1_36segmented_radix_sort_config_selectorI6__halflEEZNS1_25segmented_radix_sort_implIS3_Lb0EPKS5_PS5_PKlPlN2at6native12_GLOBAL__N_18offset_tEEE10hipError_tPvRmT1_PNSt15iterator_traitsISL_E10value_typeET2_T3_PNSM_ISR_E10value_typeET4_jRbjT5_SX_jjP12ihipStream_tbEUlT_E1_NS1_11comp_targetILNS1_3genE10ELNS1_11target_archE1201ELNS1_3gpuE5ELNS1_3repE0EEENS1_59segmented_radix_sort_warp_sort_small_config_static_selectorELNS0_4arch9wavefront6targetE0EEEvSL_.num_agpr, max(0, .L_ZN7rocprim17ROCPRIM_400000_NS6detail26segmented_warp_sort_helperINS1_20WarpSortHelperConfigILj8ELj4ELj256EEE6__halflLi256ELb0EvE4sortIPKS5_PS5_PKlPlEEvT_SA_T0_T1_SD_T2_bjjjjRNS6_12storage_typeE.num_agpr)
	.set _ZN7rocprim17ROCPRIM_400000_NS6detail17trampoline_kernelINS0_14default_configENS1_36segmented_radix_sort_config_selectorI6__halflEEZNS1_25segmented_radix_sort_implIS3_Lb0EPKS5_PS5_PKlPlN2at6native12_GLOBAL__N_18offset_tEEE10hipError_tPvRmT1_PNSt15iterator_traitsISL_E10value_typeET2_T3_PNSM_ISR_E10value_typeET4_jRbjT5_SX_jjP12ihipStream_tbEUlT_E1_NS1_11comp_targetILNS1_3genE10ELNS1_11target_archE1201ELNS1_3gpuE5ELNS1_3repE0EEENS1_59segmented_radix_sort_warp_sort_small_config_static_selectorELNS0_4arch9wavefront6targetE0EEEvSL_.numbered_sgpr, max(33, .L_ZN7rocprim17ROCPRIM_400000_NS6detail26segmented_warp_sort_helperINS1_20WarpSortHelperConfigILj8ELj4ELj256EEE6__halflLi256ELb0EvE4sortIPKS5_PS5_PKlPlEEvT_SA_T0_T1_SD_T2_bjjjjRNS6_12storage_typeE.numbered_sgpr)
	.set _ZN7rocprim17ROCPRIM_400000_NS6detail17trampoline_kernelINS0_14default_configENS1_36segmented_radix_sort_config_selectorI6__halflEEZNS1_25segmented_radix_sort_implIS3_Lb0EPKS5_PS5_PKlPlN2at6native12_GLOBAL__N_18offset_tEEE10hipError_tPvRmT1_PNSt15iterator_traitsISL_E10value_typeET2_T3_PNSM_ISR_E10value_typeET4_jRbjT5_SX_jjP12ihipStream_tbEUlT_E1_NS1_11comp_targetILNS1_3genE10ELNS1_11target_archE1201ELNS1_3gpuE5ELNS1_3repE0EEENS1_59segmented_radix_sort_warp_sort_small_config_static_selectorELNS0_4arch9wavefront6targetE0EEEvSL_.num_named_barrier, max(0, .L_ZN7rocprim17ROCPRIM_400000_NS6detail26segmented_warp_sort_helperINS1_20WarpSortHelperConfigILj8ELj4ELj256EEE6__halflLi256ELb0EvE4sortIPKS5_PS5_PKlPlEEvT_SA_T0_T1_SD_T2_bjjjjRNS6_12storage_typeE.num_named_barrier)
	.set _ZN7rocprim17ROCPRIM_400000_NS6detail17trampoline_kernelINS0_14default_configENS1_36segmented_radix_sort_config_selectorI6__halflEEZNS1_25segmented_radix_sort_implIS3_Lb0EPKS5_PS5_PKlPlN2at6native12_GLOBAL__N_18offset_tEEE10hipError_tPvRmT1_PNSt15iterator_traitsISL_E10value_typeET2_T3_PNSM_ISR_E10value_typeET4_jRbjT5_SX_jjP12ihipStream_tbEUlT_E1_NS1_11comp_targetILNS1_3genE10ELNS1_11target_archE1201ELNS1_3gpuE5ELNS1_3repE0EEENS1_59segmented_radix_sort_warp_sort_small_config_static_selectorELNS0_4arch9wavefront6targetE0EEEvSL_.private_seg_size, 0+max(.L_ZN7rocprim17ROCPRIM_400000_NS6detail26segmented_warp_sort_helperINS1_20WarpSortHelperConfigILj8ELj4ELj256EEE6__halflLi256ELb0EvE4sortIPKS5_PS5_PKlPlEEvT_SA_T0_T1_SD_T2_bjjjjRNS6_12storage_typeE.private_seg_size)
	.set _ZN7rocprim17ROCPRIM_400000_NS6detail17trampoline_kernelINS0_14default_configENS1_36segmented_radix_sort_config_selectorI6__halflEEZNS1_25segmented_radix_sort_implIS3_Lb0EPKS5_PS5_PKlPlN2at6native12_GLOBAL__N_18offset_tEEE10hipError_tPvRmT1_PNSt15iterator_traitsISL_E10value_typeET2_T3_PNSM_ISR_E10value_typeET4_jRbjT5_SX_jjP12ihipStream_tbEUlT_E1_NS1_11comp_targetILNS1_3genE10ELNS1_11target_archE1201ELNS1_3gpuE5ELNS1_3repE0EEENS1_59segmented_radix_sort_warp_sort_small_config_static_selectorELNS0_4arch9wavefront6targetE0EEEvSL_.uses_vcc, or(1, .L_ZN7rocprim17ROCPRIM_400000_NS6detail26segmented_warp_sort_helperINS1_20WarpSortHelperConfigILj8ELj4ELj256EEE6__halflLi256ELb0EvE4sortIPKS5_PS5_PKlPlEEvT_SA_T0_T1_SD_T2_bjjjjRNS6_12storage_typeE.uses_vcc)
	.set _ZN7rocprim17ROCPRIM_400000_NS6detail17trampoline_kernelINS0_14default_configENS1_36segmented_radix_sort_config_selectorI6__halflEEZNS1_25segmented_radix_sort_implIS3_Lb0EPKS5_PS5_PKlPlN2at6native12_GLOBAL__N_18offset_tEEE10hipError_tPvRmT1_PNSt15iterator_traitsISL_E10value_typeET2_T3_PNSM_ISR_E10value_typeET4_jRbjT5_SX_jjP12ihipStream_tbEUlT_E1_NS1_11comp_targetILNS1_3genE10ELNS1_11target_archE1201ELNS1_3gpuE5ELNS1_3repE0EEENS1_59segmented_radix_sort_warp_sort_small_config_static_selectorELNS0_4arch9wavefront6targetE0EEEvSL_.uses_flat_scratch, or(0, .L_ZN7rocprim17ROCPRIM_400000_NS6detail26segmented_warp_sort_helperINS1_20WarpSortHelperConfigILj8ELj4ELj256EEE6__halflLi256ELb0EvE4sortIPKS5_PS5_PKlPlEEvT_SA_T0_T1_SD_T2_bjjjjRNS6_12storage_typeE.uses_flat_scratch)
	.set _ZN7rocprim17ROCPRIM_400000_NS6detail17trampoline_kernelINS0_14default_configENS1_36segmented_radix_sort_config_selectorI6__halflEEZNS1_25segmented_radix_sort_implIS3_Lb0EPKS5_PS5_PKlPlN2at6native12_GLOBAL__N_18offset_tEEE10hipError_tPvRmT1_PNSt15iterator_traitsISL_E10value_typeET2_T3_PNSM_ISR_E10value_typeET4_jRbjT5_SX_jjP12ihipStream_tbEUlT_E1_NS1_11comp_targetILNS1_3genE10ELNS1_11target_archE1201ELNS1_3gpuE5ELNS1_3repE0EEENS1_59segmented_radix_sort_warp_sort_small_config_static_selectorELNS0_4arch9wavefront6targetE0EEEvSL_.has_dyn_sized_stack, or(0, .L_ZN7rocprim17ROCPRIM_400000_NS6detail26segmented_warp_sort_helperINS1_20WarpSortHelperConfigILj8ELj4ELj256EEE6__halflLi256ELb0EvE4sortIPKS5_PS5_PKlPlEEvT_SA_T0_T1_SD_T2_bjjjjRNS6_12storage_typeE.has_dyn_sized_stack)
	.set _ZN7rocprim17ROCPRIM_400000_NS6detail17trampoline_kernelINS0_14default_configENS1_36segmented_radix_sort_config_selectorI6__halflEEZNS1_25segmented_radix_sort_implIS3_Lb0EPKS5_PS5_PKlPlN2at6native12_GLOBAL__N_18offset_tEEE10hipError_tPvRmT1_PNSt15iterator_traitsISL_E10value_typeET2_T3_PNSM_ISR_E10value_typeET4_jRbjT5_SX_jjP12ihipStream_tbEUlT_E1_NS1_11comp_targetILNS1_3genE10ELNS1_11target_archE1201ELNS1_3gpuE5ELNS1_3repE0EEENS1_59segmented_radix_sort_warp_sort_small_config_static_selectorELNS0_4arch9wavefront6targetE0EEEvSL_.has_recursion, or(0, .L_ZN7rocprim17ROCPRIM_400000_NS6detail26segmented_warp_sort_helperINS1_20WarpSortHelperConfigILj8ELj4ELj256EEE6__halflLi256ELb0EvE4sortIPKS5_PS5_PKlPlEEvT_SA_T0_T1_SD_T2_bjjjjRNS6_12storage_typeE.has_recursion)
	.set _ZN7rocprim17ROCPRIM_400000_NS6detail17trampoline_kernelINS0_14default_configENS1_36segmented_radix_sort_config_selectorI6__halflEEZNS1_25segmented_radix_sort_implIS3_Lb0EPKS5_PS5_PKlPlN2at6native12_GLOBAL__N_18offset_tEEE10hipError_tPvRmT1_PNSt15iterator_traitsISL_E10value_typeET2_T3_PNSM_ISR_E10value_typeET4_jRbjT5_SX_jjP12ihipStream_tbEUlT_E1_NS1_11comp_targetILNS1_3genE10ELNS1_11target_archE1201ELNS1_3gpuE5ELNS1_3repE0EEENS1_59segmented_radix_sort_warp_sort_small_config_static_selectorELNS0_4arch9wavefront6targetE0EEEvSL_.has_indirect_call, or(0, .L_ZN7rocprim17ROCPRIM_400000_NS6detail26segmented_warp_sort_helperINS1_20WarpSortHelperConfigILj8ELj4ELj256EEE6__halflLi256ELb0EvE4sortIPKS5_PS5_PKlPlEEvT_SA_T0_T1_SD_T2_bjjjjRNS6_12storage_typeE.has_indirect_call)
	.section	.AMDGPU.csdata,"",@progbits
; Kernel info:
; codeLenInByte = 388
; TotalNumSgprs: 35
; NumVgprs: 66
; ScratchSize: 0
; MemoryBound: 0
; FloatMode: 240
; IeeeMode: 1
; LDSByteSize: 10240 bytes/workgroup (compile time only)
; SGPRBlocks: 0
; VGPRBlocks: 8
; NumSGPRsForWavesPerEU: 35
; NumVGPRsForWavesPerEU: 66
; Occupancy: 16
; WaveLimiterHint : 0
; COMPUTE_PGM_RSRC2:SCRATCH_EN: 0
; COMPUTE_PGM_RSRC2:USER_SGPR: 2
; COMPUTE_PGM_RSRC2:TRAP_HANDLER: 0
; COMPUTE_PGM_RSRC2:TGID_X_EN: 1
; COMPUTE_PGM_RSRC2:TGID_Y_EN: 1
; COMPUTE_PGM_RSRC2:TGID_Z_EN: 0
; COMPUTE_PGM_RSRC2:TIDIG_COMP_CNT: 2
	.section	.text._ZN7rocprim17ROCPRIM_400000_NS6detail17trampoline_kernelINS0_14default_configENS1_36segmented_radix_sort_config_selectorI6__halflEEZNS1_25segmented_radix_sort_implIS3_Lb0EPKS5_PS5_PKlPlN2at6native12_GLOBAL__N_18offset_tEEE10hipError_tPvRmT1_PNSt15iterator_traitsISL_E10value_typeET2_T3_PNSM_ISR_E10value_typeET4_jRbjT5_SX_jjP12ihipStream_tbEUlT_E1_NS1_11comp_targetILNS1_3genE10ELNS1_11target_archE1200ELNS1_3gpuE4ELNS1_3repE0EEENS1_59segmented_radix_sort_warp_sort_small_config_static_selectorELNS0_4arch9wavefront6targetE0EEEvSL_,"axG",@progbits,_ZN7rocprim17ROCPRIM_400000_NS6detail17trampoline_kernelINS0_14default_configENS1_36segmented_radix_sort_config_selectorI6__halflEEZNS1_25segmented_radix_sort_implIS3_Lb0EPKS5_PS5_PKlPlN2at6native12_GLOBAL__N_18offset_tEEE10hipError_tPvRmT1_PNSt15iterator_traitsISL_E10value_typeET2_T3_PNSM_ISR_E10value_typeET4_jRbjT5_SX_jjP12ihipStream_tbEUlT_E1_NS1_11comp_targetILNS1_3genE10ELNS1_11target_archE1200ELNS1_3gpuE4ELNS1_3repE0EEENS1_59segmented_radix_sort_warp_sort_small_config_static_selectorELNS0_4arch9wavefront6targetE0EEEvSL_,comdat
	.globl	_ZN7rocprim17ROCPRIM_400000_NS6detail17trampoline_kernelINS0_14default_configENS1_36segmented_radix_sort_config_selectorI6__halflEEZNS1_25segmented_radix_sort_implIS3_Lb0EPKS5_PS5_PKlPlN2at6native12_GLOBAL__N_18offset_tEEE10hipError_tPvRmT1_PNSt15iterator_traitsISL_E10value_typeET2_T3_PNSM_ISR_E10value_typeET4_jRbjT5_SX_jjP12ihipStream_tbEUlT_E1_NS1_11comp_targetILNS1_3genE10ELNS1_11target_archE1200ELNS1_3gpuE4ELNS1_3repE0EEENS1_59segmented_radix_sort_warp_sort_small_config_static_selectorELNS0_4arch9wavefront6targetE0EEEvSL_ ; -- Begin function _ZN7rocprim17ROCPRIM_400000_NS6detail17trampoline_kernelINS0_14default_configENS1_36segmented_radix_sort_config_selectorI6__halflEEZNS1_25segmented_radix_sort_implIS3_Lb0EPKS5_PS5_PKlPlN2at6native12_GLOBAL__N_18offset_tEEE10hipError_tPvRmT1_PNSt15iterator_traitsISL_E10value_typeET2_T3_PNSM_ISR_E10value_typeET4_jRbjT5_SX_jjP12ihipStream_tbEUlT_E1_NS1_11comp_targetILNS1_3genE10ELNS1_11target_archE1200ELNS1_3gpuE4ELNS1_3repE0EEENS1_59segmented_radix_sort_warp_sort_small_config_static_selectorELNS0_4arch9wavefront6targetE0EEEvSL_
	.p2align	8
	.type	_ZN7rocprim17ROCPRIM_400000_NS6detail17trampoline_kernelINS0_14default_configENS1_36segmented_radix_sort_config_selectorI6__halflEEZNS1_25segmented_radix_sort_implIS3_Lb0EPKS5_PS5_PKlPlN2at6native12_GLOBAL__N_18offset_tEEE10hipError_tPvRmT1_PNSt15iterator_traitsISL_E10value_typeET2_T3_PNSM_ISR_E10value_typeET4_jRbjT5_SX_jjP12ihipStream_tbEUlT_E1_NS1_11comp_targetILNS1_3genE10ELNS1_11target_archE1200ELNS1_3gpuE4ELNS1_3repE0EEENS1_59segmented_radix_sort_warp_sort_small_config_static_selectorELNS0_4arch9wavefront6targetE0EEEvSL_,@function
_ZN7rocprim17ROCPRIM_400000_NS6detail17trampoline_kernelINS0_14default_configENS1_36segmented_radix_sort_config_selectorI6__halflEEZNS1_25segmented_radix_sort_implIS3_Lb0EPKS5_PS5_PKlPlN2at6native12_GLOBAL__N_18offset_tEEE10hipError_tPvRmT1_PNSt15iterator_traitsISL_E10value_typeET2_T3_PNSM_ISR_E10value_typeET4_jRbjT5_SX_jjP12ihipStream_tbEUlT_E1_NS1_11comp_targetILNS1_3genE10ELNS1_11target_archE1200ELNS1_3gpuE4ELNS1_3repE0EEENS1_59segmented_radix_sort_warp_sort_small_config_static_selectorELNS0_4arch9wavefront6targetE0EEEvSL_: ; @_ZN7rocprim17ROCPRIM_400000_NS6detail17trampoline_kernelINS0_14default_configENS1_36segmented_radix_sort_config_selectorI6__halflEEZNS1_25segmented_radix_sort_implIS3_Lb0EPKS5_PS5_PKlPlN2at6native12_GLOBAL__N_18offset_tEEE10hipError_tPvRmT1_PNSt15iterator_traitsISL_E10value_typeET2_T3_PNSM_ISR_E10value_typeET4_jRbjT5_SX_jjP12ihipStream_tbEUlT_E1_NS1_11comp_targetILNS1_3genE10ELNS1_11target_archE1200ELNS1_3gpuE4ELNS1_3repE0EEENS1_59segmented_radix_sort_warp_sort_small_config_static_selectorELNS0_4arch9wavefront6targetE0EEEvSL_
; %bb.0:
	.section	.rodata,"a",@progbits
	.p2align	6, 0x0
	.amdhsa_kernel _ZN7rocprim17ROCPRIM_400000_NS6detail17trampoline_kernelINS0_14default_configENS1_36segmented_radix_sort_config_selectorI6__halflEEZNS1_25segmented_radix_sort_implIS3_Lb0EPKS5_PS5_PKlPlN2at6native12_GLOBAL__N_18offset_tEEE10hipError_tPvRmT1_PNSt15iterator_traitsISL_E10value_typeET2_T3_PNSM_ISR_E10value_typeET4_jRbjT5_SX_jjP12ihipStream_tbEUlT_E1_NS1_11comp_targetILNS1_3genE10ELNS1_11target_archE1200ELNS1_3gpuE4ELNS1_3repE0EEENS1_59segmented_radix_sort_warp_sort_small_config_static_selectorELNS0_4arch9wavefront6targetE0EEEvSL_
		.amdhsa_group_segment_fixed_size 0
		.amdhsa_private_segment_fixed_size 0
		.amdhsa_kernarg_size 88
		.amdhsa_user_sgpr_count 2
		.amdhsa_user_sgpr_dispatch_ptr 0
		.amdhsa_user_sgpr_queue_ptr 0
		.amdhsa_user_sgpr_kernarg_segment_ptr 1
		.amdhsa_user_sgpr_dispatch_id 0
		.amdhsa_user_sgpr_private_segment_size 0
		.amdhsa_wavefront_size32 1
		.amdhsa_uses_dynamic_stack 0
		.amdhsa_enable_private_segment 0
		.amdhsa_system_sgpr_workgroup_id_x 1
		.amdhsa_system_sgpr_workgroup_id_y 0
		.amdhsa_system_sgpr_workgroup_id_z 0
		.amdhsa_system_sgpr_workgroup_info 0
		.amdhsa_system_vgpr_workitem_id 0
		.amdhsa_next_free_vgpr 1
		.amdhsa_next_free_sgpr 1
		.amdhsa_reserve_vcc 0
		.amdhsa_float_round_mode_32 0
		.amdhsa_float_round_mode_16_64 0
		.amdhsa_float_denorm_mode_32 3
		.amdhsa_float_denorm_mode_16_64 3
		.amdhsa_fp16_overflow 0
		.amdhsa_workgroup_processor_mode 1
		.amdhsa_memory_ordered 1
		.amdhsa_forward_progress 1
		.amdhsa_inst_pref_size 0
		.amdhsa_round_robin_scheduling 0
		.amdhsa_exception_fp_ieee_invalid_op 0
		.amdhsa_exception_fp_denorm_src 0
		.amdhsa_exception_fp_ieee_div_zero 0
		.amdhsa_exception_fp_ieee_overflow 0
		.amdhsa_exception_fp_ieee_underflow 0
		.amdhsa_exception_fp_ieee_inexact 0
		.amdhsa_exception_int_div_zero 0
	.end_amdhsa_kernel
	.section	.text._ZN7rocprim17ROCPRIM_400000_NS6detail17trampoline_kernelINS0_14default_configENS1_36segmented_radix_sort_config_selectorI6__halflEEZNS1_25segmented_radix_sort_implIS3_Lb0EPKS5_PS5_PKlPlN2at6native12_GLOBAL__N_18offset_tEEE10hipError_tPvRmT1_PNSt15iterator_traitsISL_E10value_typeET2_T3_PNSM_ISR_E10value_typeET4_jRbjT5_SX_jjP12ihipStream_tbEUlT_E1_NS1_11comp_targetILNS1_3genE10ELNS1_11target_archE1200ELNS1_3gpuE4ELNS1_3repE0EEENS1_59segmented_radix_sort_warp_sort_small_config_static_selectorELNS0_4arch9wavefront6targetE0EEEvSL_,"axG",@progbits,_ZN7rocprim17ROCPRIM_400000_NS6detail17trampoline_kernelINS0_14default_configENS1_36segmented_radix_sort_config_selectorI6__halflEEZNS1_25segmented_radix_sort_implIS3_Lb0EPKS5_PS5_PKlPlN2at6native12_GLOBAL__N_18offset_tEEE10hipError_tPvRmT1_PNSt15iterator_traitsISL_E10value_typeET2_T3_PNSM_ISR_E10value_typeET4_jRbjT5_SX_jjP12ihipStream_tbEUlT_E1_NS1_11comp_targetILNS1_3genE10ELNS1_11target_archE1200ELNS1_3gpuE4ELNS1_3repE0EEENS1_59segmented_radix_sort_warp_sort_small_config_static_selectorELNS0_4arch9wavefront6targetE0EEEvSL_,comdat
.Lfunc_end1869:
	.size	_ZN7rocprim17ROCPRIM_400000_NS6detail17trampoline_kernelINS0_14default_configENS1_36segmented_radix_sort_config_selectorI6__halflEEZNS1_25segmented_radix_sort_implIS3_Lb0EPKS5_PS5_PKlPlN2at6native12_GLOBAL__N_18offset_tEEE10hipError_tPvRmT1_PNSt15iterator_traitsISL_E10value_typeET2_T3_PNSM_ISR_E10value_typeET4_jRbjT5_SX_jjP12ihipStream_tbEUlT_E1_NS1_11comp_targetILNS1_3genE10ELNS1_11target_archE1200ELNS1_3gpuE4ELNS1_3repE0EEENS1_59segmented_radix_sort_warp_sort_small_config_static_selectorELNS0_4arch9wavefront6targetE0EEEvSL_, .Lfunc_end1869-_ZN7rocprim17ROCPRIM_400000_NS6detail17trampoline_kernelINS0_14default_configENS1_36segmented_radix_sort_config_selectorI6__halflEEZNS1_25segmented_radix_sort_implIS3_Lb0EPKS5_PS5_PKlPlN2at6native12_GLOBAL__N_18offset_tEEE10hipError_tPvRmT1_PNSt15iterator_traitsISL_E10value_typeET2_T3_PNSM_ISR_E10value_typeET4_jRbjT5_SX_jjP12ihipStream_tbEUlT_E1_NS1_11comp_targetILNS1_3genE10ELNS1_11target_archE1200ELNS1_3gpuE4ELNS1_3repE0EEENS1_59segmented_radix_sort_warp_sort_small_config_static_selectorELNS0_4arch9wavefront6targetE0EEEvSL_
                                        ; -- End function
	.set _ZN7rocprim17ROCPRIM_400000_NS6detail17trampoline_kernelINS0_14default_configENS1_36segmented_radix_sort_config_selectorI6__halflEEZNS1_25segmented_radix_sort_implIS3_Lb0EPKS5_PS5_PKlPlN2at6native12_GLOBAL__N_18offset_tEEE10hipError_tPvRmT1_PNSt15iterator_traitsISL_E10value_typeET2_T3_PNSM_ISR_E10value_typeET4_jRbjT5_SX_jjP12ihipStream_tbEUlT_E1_NS1_11comp_targetILNS1_3genE10ELNS1_11target_archE1200ELNS1_3gpuE4ELNS1_3repE0EEENS1_59segmented_radix_sort_warp_sort_small_config_static_selectorELNS0_4arch9wavefront6targetE0EEEvSL_.num_vgpr, 0
	.set _ZN7rocprim17ROCPRIM_400000_NS6detail17trampoline_kernelINS0_14default_configENS1_36segmented_radix_sort_config_selectorI6__halflEEZNS1_25segmented_radix_sort_implIS3_Lb0EPKS5_PS5_PKlPlN2at6native12_GLOBAL__N_18offset_tEEE10hipError_tPvRmT1_PNSt15iterator_traitsISL_E10value_typeET2_T3_PNSM_ISR_E10value_typeET4_jRbjT5_SX_jjP12ihipStream_tbEUlT_E1_NS1_11comp_targetILNS1_3genE10ELNS1_11target_archE1200ELNS1_3gpuE4ELNS1_3repE0EEENS1_59segmented_radix_sort_warp_sort_small_config_static_selectorELNS0_4arch9wavefront6targetE0EEEvSL_.num_agpr, 0
	.set _ZN7rocprim17ROCPRIM_400000_NS6detail17trampoline_kernelINS0_14default_configENS1_36segmented_radix_sort_config_selectorI6__halflEEZNS1_25segmented_radix_sort_implIS3_Lb0EPKS5_PS5_PKlPlN2at6native12_GLOBAL__N_18offset_tEEE10hipError_tPvRmT1_PNSt15iterator_traitsISL_E10value_typeET2_T3_PNSM_ISR_E10value_typeET4_jRbjT5_SX_jjP12ihipStream_tbEUlT_E1_NS1_11comp_targetILNS1_3genE10ELNS1_11target_archE1200ELNS1_3gpuE4ELNS1_3repE0EEENS1_59segmented_radix_sort_warp_sort_small_config_static_selectorELNS0_4arch9wavefront6targetE0EEEvSL_.numbered_sgpr, 0
	.set _ZN7rocprim17ROCPRIM_400000_NS6detail17trampoline_kernelINS0_14default_configENS1_36segmented_radix_sort_config_selectorI6__halflEEZNS1_25segmented_radix_sort_implIS3_Lb0EPKS5_PS5_PKlPlN2at6native12_GLOBAL__N_18offset_tEEE10hipError_tPvRmT1_PNSt15iterator_traitsISL_E10value_typeET2_T3_PNSM_ISR_E10value_typeET4_jRbjT5_SX_jjP12ihipStream_tbEUlT_E1_NS1_11comp_targetILNS1_3genE10ELNS1_11target_archE1200ELNS1_3gpuE4ELNS1_3repE0EEENS1_59segmented_radix_sort_warp_sort_small_config_static_selectorELNS0_4arch9wavefront6targetE0EEEvSL_.num_named_barrier, 0
	.set _ZN7rocprim17ROCPRIM_400000_NS6detail17trampoline_kernelINS0_14default_configENS1_36segmented_radix_sort_config_selectorI6__halflEEZNS1_25segmented_radix_sort_implIS3_Lb0EPKS5_PS5_PKlPlN2at6native12_GLOBAL__N_18offset_tEEE10hipError_tPvRmT1_PNSt15iterator_traitsISL_E10value_typeET2_T3_PNSM_ISR_E10value_typeET4_jRbjT5_SX_jjP12ihipStream_tbEUlT_E1_NS1_11comp_targetILNS1_3genE10ELNS1_11target_archE1200ELNS1_3gpuE4ELNS1_3repE0EEENS1_59segmented_radix_sort_warp_sort_small_config_static_selectorELNS0_4arch9wavefront6targetE0EEEvSL_.private_seg_size, 0
	.set _ZN7rocprim17ROCPRIM_400000_NS6detail17trampoline_kernelINS0_14default_configENS1_36segmented_radix_sort_config_selectorI6__halflEEZNS1_25segmented_radix_sort_implIS3_Lb0EPKS5_PS5_PKlPlN2at6native12_GLOBAL__N_18offset_tEEE10hipError_tPvRmT1_PNSt15iterator_traitsISL_E10value_typeET2_T3_PNSM_ISR_E10value_typeET4_jRbjT5_SX_jjP12ihipStream_tbEUlT_E1_NS1_11comp_targetILNS1_3genE10ELNS1_11target_archE1200ELNS1_3gpuE4ELNS1_3repE0EEENS1_59segmented_radix_sort_warp_sort_small_config_static_selectorELNS0_4arch9wavefront6targetE0EEEvSL_.uses_vcc, 0
	.set _ZN7rocprim17ROCPRIM_400000_NS6detail17trampoline_kernelINS0_14default_configENS1_36segmented_radix_sort_config_selectorI6__halflEEZNS1_25segmented_radix_sort_implIS3_Lb0EPKS5_PS5_PKlPlN2at6native12_GLOBAL__N_18offset_tEEE10hipError_tPvRmT1_PNSt15iterator_traitsISL_E10value_typeET2_T3_PNSM_ISR_E10value_typeET4_jRbjT5_SX_jjP12ihipStream_tbEUlT_E1_NS1_11comp_targetILNS1_3genE10ELNS1_11target_archE1200ELNS1_3gpuE4ELNS1_3repE0EEENS1_59segmented_radix_sort_warp_sort_small_config_static_selectorELNS0_4arch9wavefront6targetE0EEEvSL_.uses_flat_scratch, 0
	.set _ZN7rocprim17ROCPRIM_400000_NS6detail17trampoline_kernelINS0_14default_configENS1_36segmented_radix_sort_config_selectorI6__halflEEZNS1_25segmented_radix_sort_implIS3_Lb0EPKS5_PS5_PKlPlN2at6native12_GLOBAL__N_18offset_tEEE10hipError_tPvRmT1_PNSt15iterator_traitsISL_E10value_typeET2_T3_PNSM_ISR_E10value_typeET4_jRbjT5_SX_jjP12ihipStream_tbEUlT_E1_NS1_11comp_targetILNS1_3genE10ELNS1_11target_archE1200ELNS1_3gpuE4ELNS1_3repE0EEENS1_59segmented_radix_sort_warp_sort_small_config_static_selectorELNS0_4arch9wavefront6targetE0EEEvSL_.has_dyn_sized_stack, 0
	.set _ZN7rocprim17ROCPRIM_400000_NS6detail17trampoline_kernelINS0_14default_configENS1_36segmented_radix_sort_config_selectorI6__halflEEZNS1_25segmented_radix_sort_implIS3_Lb0EPKS5_PS5_PKlPlN2at6native12_GLOBAL__N_18offset_tEEE10hipError_tPvRmT1_PNSt15iterator_traitsISL_E10value_typeET2_T3_PNSM_ISR_E10value_typeET4_jRbjT5_SX_jjP12ihipStream_tbEUlT_E1_NS1_11comp_targetILNS1_3genE10ELNS1_11target_archE1200ELNS1_3gpuE4ELNS1_3repE0EEENS1_59segmented_radix_sort_warp_sort_small_config_static_selectorELNS0_4arch9wavefront6targetE0EEEvSL_.has_recursion, 0
	.set _ZN7rocprim17ROCPRIM_400000_NS6detail17trampoline_kernelINS0_14default_configENS1_36segmented_radix_sort_config_selectorI6__halflEEZNS1_25segmented_radix_sort_implIS3_Lb0EPKS5_PS5_PKlPlN2at6native12_GLOBAL__N_18offset_tEEE10hipError_tPvRmT1_PNSt15iterator_traitsISL_E10value_typeET2_T3_PNSM_ISR_E10value_typeET4_jRbjT5_SX_jjP12ihipStream_tbEUlT_E1_NS1_11comp_targetILNS1_3genE10ELNS1_11target_archE1200ELNS1_3gpuE4ELNS1_3repE0EEENS1_59segmented_radix_sort_warp_sort_small_config_static_selectorELNS0_4arch9wavefront6targetE0EEEvSL_.has_indirect_call, 0
	.section	.AMDGPU.csdata,"",@progbits
; Kernel info:
; codeLenInByte = 0
; TotalNumSgprs: 0
; NumVgprs: 0
; ScratchSize: 0
; MemoryBound: 0
; FloatMode: 240
; IeeeMode: 1
; LDSByteSize: 0 bytes/workgroup (compile time only)
; SGPRBlocks: 0
; VGPRBlocks: 0
; NumSGPRsForWavesPerEU: 1
; NumVGPRsForWavesPerEU: 1
; Occupancy: 16
; WaveLimiterHint : 0
; COMPUTE_PGM_RSRC2:SCRATCH_EN: 0
; COMPUTE_PGM_RSRC2:USER_SGPR: 2
; COMPUTE_PGM_RSRC2:TRAP_HANDLER: 0
; COMPUTE_PGM_RSRC2:TGID_X_EN: 1
; COMPUTE_PGM_RSRC2:TGID_Y_EN: 0
; COMPUTE_PGM_RSRC2:TGID_Z_EN: 0
; COMPUTE_PGM_RSRC2:TIDIG_COMP_CNT: 0
	.section	.text._ZN7rocprim17ROCPRIM_400000_NS6detail17trampoline_kernelINS0_14default_configENS1_36segmented_radix_sort_config_selectorI6__halflEEZNS1_25segmented_radix_sort_implIS3_Lb0EPKS5_PS5_PKlPlN2at6native12_GLOBAL__N_18offset_tEEE10hipError_tPvRmT1_PNSt15iterator_traitsISL_E10value_typeET2_T3_PNSM_ISR_E10value_typeET4_jRbjT5_SX_jjP12ihipStream_tbEUlT_E1_NS1_11comp_targetILNS1_3genE9ELNS1_11target_archE1100ELNS1_3gpuE3ELNS1_3repE0EEENS1_59segmented_radix_sort_warp_sort_small_config_static_selectorELNS0_4arch9wavefront6targetE0EEEvSL_,"axG",@progbits,_ZN7rocprim17ROCPRIM_400000_NS6detail17trampoline_kernelINS0_14default_configENS1_36segmented_radix_sort_config_selectorI6__halflEEZNS1_25segmented_radix_sort_implIS3_Lb0EPKS5_PS5_PKlPlN2at6native12_GLOBAL__N_18offset_tEEE10hipError_tPvRmT1_PNSt15iterator_traitsISL_E10value_typeET2_T3_PNSM_ISR_E10value_typeET4_jRbjT5_SX_jjP12ihipStream_tbEUlT_E1_NS1_11comp_targetILNS1_3genE9ELNS1_11target_archE1100ELNS1_3gpuE3ELNS1_3repE0EEENS1_59segmented_radix_sort_warp_sort_small_config_static_selectorELNS0_4arch9wavefront6targetE0EEEvSL_,comdat
	.globl	_ZN7rocprim17ROCPRIM_400000_NS6detail17trampoline_kernelINS0_14default_configENS1_36segmented_radix_sort_config_selectorI6__halflEEZNS1_25segmented_radix_sort_implIS3_Lb0EPKS5_PS5_PKlPlN2at6native12_GLOBAL__N_18offset_tEEE10hipError_tPvRmT1_PNSt15iterator_traitsISL_E10value_typeET2_T3_PNSM_ISR_E10value_typeET4_jRbjT5_SX_jjP12ihipStream_tbEUlT_E1_NS1_11comp_targetILNS1_3genE9ELNS1_11target_archE1100ELNS1_3gpuE3ELNS1_3repE0EEENS1_59segmented_radix_sort_warp_sort_small_config_static_selectorELNS0_4arch9wavefront6targetE0EEEvSL_ ; -- Begin function _ZN7rocprim17ROCPRIM_400000_NS6detail17trampoline_kernelINS0_14default_configENS1_36segmented_radix_sort_config_selectorI6__halflEEZNS1_25segmented_radix_sort_implIS3_Lb0EPKS5_PS5_PKlPlN2at6native12_GLOBAL__N_18offset_tEEE10hipError_tPvRmT1_PNSt15iterator_traitsISL_E10value_typeET2_T3_PNSM_ISR_E10value_typeET4_jRbjT5_SX_jjP12ihipStream_tbEUlT_E1_NS1_11comp_targetILNS1_3genE9ELNS1_11target_archE1100ELNS1_3gpuE3ELNS1_3repE0EEENS1_59segmented_radix_sort_warp_sort_small_config_static_selectorELNS0_4arch9wavefront6targetE0EEEvSL_
	.p2align	8
	.type	_ZN7rocprim17ROCPRIM_400000_NS6detail17trampoline_kernelINS0_14default_configENS1_36segmented_radix_sort_config_selectorI6__halflEEZNS1_25segmented_radix_sort_implIS3_Lb0EPKS5_PS5_PKlPlN2at6native12_GLOBAL__N_18offset_tEEE10hipError_tPvRmT1_PNSt15iterator_traitsISL_E10value_typeET2_T3_PNSM_ISR_E10value_typeET4_jRbjT5_SX_jjP12ihipStream_tbEUlT_E1_NS1_11comp_targetILNS1_3genE9ELNS1_11target_archE1100ELNS1_3gpuE3ELNS1_3repE0EEENS1_59segmented_radix_sort_warp_sort_small_config_static_selectorELNS0_4arch9wavefront6targetE0EEEvSL_,@function
_ZN7rocprim17ROCPRIM_400000_NS6detail17trampoline_kernelINS0_14default_configENS1_36segmented_radix_sort_config_selectorI6__halflEEZNS1_25segmented_radix_sort_implIS3_Lb0EPKS5_PS5_PKlPlN2at6native12_GLOBAL__N_18offset_tEEE10hipError_tPvRmT1_PNSt15iterator_traitsISL_E10value_typeET2_T3_PNSM_ISR_E10value_typeET4_jRbjT5_SX_jjP12ihipStream_tbEUlT_E1_NS1_11comp_targetILNS1_3genE9ELNS1_11target_archE1100ELNS1_3gpuE3ELNS1_3repE0EEENS1_59segmented_radix_sort_warp_sort_small_config_static_selectorELNS0_4arch9wavefront6targetE0EEEvSL_: ; @_ZN7rocprim17ROCPRIM_400000_NS6detail17trampoline_kernelINS0_14default_configENS1_36segmented_radix_sort_config_selectorI6__halflEEZNS1_25segmented_radix_sort_implIS3_Lb0EPKS5_PS5_PKlPlN2at6native12_GLOBAL__N_18offset_tEEE10hipError_tPvRmT1_PNSt15iterator_traitsISL_E10value_typeET2_T3_PNSM_ISR_E10value_typeET4_jRbjT5_SX_jjP12ihipStream_tbEUlT_E1_NS1_11comp_targetILNS1_3genE9ELNS1_11target_archE1100ELNS1_3gpuE3ELNS1_3repE0EEENS1_59segmented_radix_sort_warp_sort_small_config_static_selectorELNS0_4arch9wavefront6targetE0EEEvSL_
; %bb.0:
	.section	.rodata,"a",@progbits
	.p2align	6, 0x0
	.amdhsa_kernel _ZN7rocprim17ROCPRIM_400000_NS6detail17trampoline_kernelINS0_14default_configENS1_36segmented_radix_sort_config_selectorI6__halflEEZNS1_25segmented_radix_sort_implIS3_Lb0EPKS5_PS5_PKlPlN2at6native12_GLOBAL__N_18offset_tEEE10hipError_tPvRmT1_PNSt15iterator_traitsISL_E10value_typeET2_T3_PNSM_ISR_E10value_typeET4_jRbjT5_SX_jjP12ihipStream_tbEUlT_E1_NS1_11comp_targetILNS1_3genE9ELNS1_11target_archE1100ELNS1_3gpuE3ELNS1_3repE0EEENS1_59segmented_radix_sort_warp_sort_small_config_static_selectorELNS0_4arch9wavefront6targetE0EEEvSL_
		.amdhsa_group_segment_fixed_size 0
		.amdhsa_private_segment_fixed_size 0
		.amdhsa_kernarg_size 88
		.amdhsa_user_sgpr_count 2
		.amdhsa_user_sgpr_dispatch_ptr 0
		.amdhsa_user_sgpr_queue_ptr 0
		.amdhsa_user_sgpr_kernarg_segment_ptr 1
		.amdhsa_user_sgpr_dispatch_id 0
		.amdhsa_user_sgpr_private_segment_size 0
		.amdhsa_wavefront_size32 1
		.amdhsa_uses_dynamic_stack 0
		.amdhsa_enable_private_segment 0
		.amdhsa_system_sgpr_workgroup_id_x 1
		.amdhsa_system_sgpr_workgroup_id_y 0
		.amdhsa_system_sgpr_workgroup_id_z 0
		.amdhsa_system_sgpr_workgroup_info 0
		.amdhsa_system_vgpr_workitem_id 0
		.amdhsa_next_free_vgpr 1
		.amdhsa_next_free_sgpr 1
		.amdhsa_reserve_vcc 0
		.amdhsa_float_round_mode_32 0
		.amdhsa_float_round_mode_16_64 0
		.amdhsa_float_denorm_mode_32 3
		.amdhsa_float_denorm_mode_16_64 3
		.amdhsa_fp16_overflow 0
		.amdhsa_workgroup_processor_mode 1
		.amdhsa_memory_ordered 1
		.amdhsa_forward_progress 1
		.amdhsa_inst_pref_size 0
		.amdhsa_round_robin_scheduling 0
		.amdhsa_exception_fp_ieee_invalid_op 0
		.amdhsa_exception_fp_denorm_src 0
		.amdhsa_exception_fp_ieee_div_zero 0
		.amdhsa_exception_fp_ieee_overflow 0
		.amdhsa_exception_fp_ieee_underflow 0
		.amdhsa_exception_fp_ieee_inexact 0
		.amdhsa_exception_int_div_zero 0
	.end_amdhsa_kernel
	.section	.text._ZN7rocprim17ROCPRIM_400000_NS6detail17trampoline_kernelINS0_14default_configENS1_36segmented_radix_sort_config_selectorI6__halflEEZNS1_25segmented_radix_sort_implIS3_Lb0EPKS5_PS5_PKlPlN2at6native12_GLOBAL__N_18offset_tEEE10hipError_tPvRmT1_PNSt15iterator_traitsISL_E10value_typeET2_T3_PNSM_ISR_E10value_typeET4_jRbjT5_SX_jjP12ihipStream_tbEUlT_E1_NS1_11comp_targetILNS1_3genE9ELNS1_11target_archE1100ELNS1_3gpuE3ELNS1_3repE0EEENS1_59segmented_radix_sort_warp_sort_small_config_static_selectorELNS0_4arch9wavefront6targetE0EEEvSL_,"axG",@progbits,_ZN7rocprim17ROCPRIM_400000_NS6detail17trampoline_kernelINS0_14default_configENS1_36segmented_radix_sort_config_selectorI6__halflEEZNS1_25segmented_radix_sort_implIS3_Lb0EPKS5_PS5_PKlPlN2at6native12_GLOBAL__N_18offset_tEEE10hipError_tPvRmT1_PNSt15iterator_traitsISL_E10value_typeET2_T3_PNSM_ISR_E10value_typeET4_jRbjT5_SX_jjP12ihipStream_tbEUlT_E1_NS1_11comp_targetILNS1_3genE9ELNS1_11target_archE1100ELNS1_3gpuE3ELNS1_3repE0EEENS1_59segmented_radix_sort_warp_sort_small_config_static_selectorELNS0_4arch9wavefront6targetE0EEEvSL_,comdat
.Lfunc_end1870:
	.size	_ZN7rocprim17ROCPRIM_400000_NS6detail17trampoline_kernelINS0_14default_configENS1_36segmented_radix_sort_config_selectorI6__halflEEZNS1_25segmented_radix_sort_implIS3_Lb0EPKS5_PS5_PKlPlN2at6native12_GLOBAL__N_18offset_tEEE10hipError_tPvRmT1_PNSt15iterator_traitsISL_E10value_typeET2_T3_PNSM_ISR_E10value_typeET4_jRbjT5_SX_jjP12ihipStream_tbEUlT_E1_NS1_11comp_targetILNS1_3genE9ELNS1_11target_archE1100ELNS1_3gpuE3ELNS1_3repE0EEENS1_59segmented_radix_sort_warp_sort_small_config_static_selectorELNS0_4arch9wavefront6targetE0EEEvSL_, .Lfunc_end1870-_ZN7rocprim17ROCPRIM_400000_NS6detail17trampoline_kernelINS0_14default_configENS1_36segmented_radix_sort_config_selectorI6__halflEEZNS1_25segmented_radix_sort_implIS3_Lb0EPKS5_PS5_PKlPlN2at6native12_GLOBAL__N_18offset_tEEE10hipError_tPvRmT1_PNSt15iterator_traitsISL_E10value_typeET2_T3_PNSM_ISR_E10value_typeET4_jRbjT5_SX_jjP12ihipStream_tbEUlT_E1_NS1_11comp_targetILNS1_3genE9ELNS1_11target_archE1100ELNS1_3gpuE3ELNS1_3repE0EEENS1_59segmented_radix_sort_warp_sort_small_config_static_selectorELNS0_4arch9wavefront6targetE0EEEvSL_
                                        ; -- End function
	.set _ZN7rocprim17ROCPRIM_400000_NS6detail17trampoline_kernelINS0_14default_configENS1_36segmented_radix_sort_config_selectorI6__halflEEZNS1_25segmented_radix_sort_implIS3_Lb0EPKS5_PS5_PKlPlN2at6native12_GLOBAL__N_18offset_tEEE10hipError_tPvRmT1_PNSt15iterator_traitsISL_E10value_typeET2_T3_PNSM_ISR_E10value_typeET4_jRbjT5_SX_jjP12ihipStream_tbEUlT_E1_NS1_11comp_targetILNS1_3genE9ELNS1_11target_archE1100ELNS1_3gpuE3ELNS1_3repE0EEENS1_59segmented_radix_sort_warp_sort_small_config_static_selectorELNS0_4arch9wavefront6targetE0EEEvSL_.num_vgpr, 0
	.set _ZN7rocprim17ROCPRIM_400000_NS6detail17trampoline_kernelINS0_14default_configENS1_36segmented_radix_sort_config_selectorI6__halflEEZNS1_25segmented_radix_sort_implIS3_Lb0EPKS5_PS5_PKlPlN2at6native12_GLOBAL__N_18offset_tEEE10hipError_tPvRmT1_PNSt15iterator_traitsISL_E10value_typeET2_T3_PNSM_ISR_E10value_typeET4_jRbjT5_SX_jjP12ihipStream_tbEUlT_E1_NS1_11comp_targetILNS1_3genE9ELNS1_11target_archE1100ELNS1_3gpuE3ELNS1_3repE0EEENS1_59segmented_radix_sort_warp_sort_small_config_static_selectorELNS0_4arch9wavefront6targetE0EEEvSL_.num_agpr, 0
	.set _ZN7rocprim17ROCPRIM_400000_NS6detail17trampoline_kernelINS0_14default_configENS1_36segmented_radix_sort_config_selectorI6__halflEEZNS1_25segmented_radix_sort_implIS3_Lb0EPKS5_PS5_PKlPlN2at6native12_GLOBAL__N_18offset_tEEE10hipError_tPvRmT1_PNSt15iterator_traitsISL_E10value_typeET2_T3_PNSM_ISR_E10value_typeET4_jRbjT5_SX_jjP12ihipStream_tbEUlT_E1_NS1_11comp_targetILNS1_3genE9ELNS1_11target_archE1100ELNS1_3gpuE3ELNS1_3repE0EEENS1_59segmented_radix_sort_warp_sort_small_config_static_selectorELNS0_4arch9wavefront6targetE0EEEvSL_.numbered_sgpr, 0
	.set _ZN7rocprim17ROCPRIM_400000_NS6detail17trampoline_kernelINS0_14default_configENS1_36segmented_radix_sort_config_selectorI6__halflEEZNS1_25segmented_radix_sort_implIS3_Lb0EPKS5_PS5_PKlPlN2at6native12_GLOBAL__N_18offset_tEEE10hipError_tPvRmT1_PNSt15iterator_traitsISL_E10value_typeET2_T3_PNSM_ISR_E10value_typeET4_jRbjT5_SX_jjP12ihipStream_tbEUlT_E1_NS1_11comp_targetILNS1_3genE9ELNS1_11target_archE1100ELNS1_3gpuE3ELNS1_3repE0EEENS1_59segmented_radix_sort_warp_sort_small_config_static_selectorELNS0_4arch9wavefront6targetE0EEEvSL_.num_named_barrier, 0
	.set _ZN7rocprim17ROCPRIM_400000_NS6detail17trampoline_kernelINS0_14default_configENS1_36segmented_radix_sort_config_selectorI6__halflEEZNS1_25segmented_radix_sort_implIS3_Lb0EPKS5_PS5_PKlPlN2at6native12_GLOBAL__N_18offset_tEEE10hipError_tPvRmT1_PNSt15iterator_traitsISL_E10value_typeET2_T3_PNSM_ISR_E10value_typeET4_jRbjT5_SX_jjP12ihipStream_tbEUlT_E1_NS1_11comp_targetILNS1_3genE9ELNS1_11target_archE1100ELNS1_3gpuE3ELNS1_3repE0EEENS1_59segmented_radix_sort_warp_sort_small_config_static_selectorELNS0_4arch9wavefront6targetE0EEEvSL_.private_seg_size, 0
	.set _ZN7rocprim17ROCPRIM_400000_NS6detail17trampoline_kernelINS0_14default_configENS1_36segmented_radix_sort_config_selectorI6__halflEEZNS1_25segmented_radix_sort_implIS3_Lb0EPKS5_PS5_PKlPlN2at6native12_GLOBAL__N_18offset_tEEE10hipError_tPvRmT1_PNSt15iterator_traitsISL_E10value_typeET2_T3_PNSM_ISR_E10value_typeET4_jRbjT5_SX_jjP12ihipStream_tbEUlT_E1_NS1_11comp_targetILNS1_3genE9ELNS1_11target_archE1100ELNS1_3gpuE3ELNS1_3repE0EEENS1_59segmented_radix_sort_warp_sort_small_config_static_selectorELNS0_4arch9wavefront6targetE0EEEvSL_.uses_vcc, 0
	.set _ZN7rocprim17ROCPRIM_400000_NS6detail17trampoline_kernelINS0_14default_configENS1_36segmented_radix_sort_config_selectorI6__halflEEZNS1_25segmented_radix_sort_implIS3_Lb0EPKS5_PS5_PKlPlN2at6native12_GLOBAL__N_18offset_tEEE10hipError_tPvRmT1_PNSt15iterator_traitsISL_E10value_typeET2_T3_PNSM_ISR_E10value_typeET4_jRbjT5_SX_jjP12ihipStream_tbEUlT_E1_NS1_11comp_targetILNS1_3genE9ELNS1_11target_archE1100ELNS1_3gpuE3ELNS1_3repE0EEENS1_59segmented_radix_sort_warp_sort_small_config_static_selectorELNS0_4arch9wavefront6targetE0EEEvSL_.uses_flat_scratch, 0
	.set _ZN7rocprim17ROCPRIM_400000_NS6detail17trampoline_kernelINS0_14default_configENS1_36segmented_radix_sort_config_selectorI6__halflEEZNS1_25segmented_radix_sort_implIS3_Lb0EPKS5_PS5_PKlPlN2at6native12_GLOBAL__N_18offset_tEEE10hipError_tPvRmT1_PNSt15iterator_traitsISL_E10value_typeET2_T3_PNSM_ISR_E10value_typeET4_jRbjT5_SX_jjP12ihipStream_tbEUlT_E1_NS1_11comp_targetILNS1_3genE9ELNS1_11target_archE1100ELNS1_3gpuE3ELNS1_3repE0EEENS1_59segmented_radix_sort_warp_sort_small_config_static_selectorELNS0_4arch9wavefront6targetE0EEEvSL_.has_dyn_sized_stack, 0
	.set _ZN7rocprim17ROCPRIM_400000_NS6detail17trampoline_kernelINS0_14default_configENS1_36segmented_radix_sort_config_selectorI6__halflEEZNS1_25segmented_radix_sort_implIS3_Lb0EPKS5_PS5_PKlPlN2at6native12_GLOBAL__N_18offset_tEEE10hipError_tPvRmT1_PNSt15iterator_traitsISL_E10value_typeET2_T3_PNSM_ISR_E10value_typeET4_jRbjT5_SX_jjP12ihipStream_tbEUlT_E1_NS1_11comp_targetILNS1_3genE9ELNS1_11target_archE1100ELNS1_3gpuE3ELNS1_3repE0EEENS1_59segmented_radix_sort_warp_sort_small_config_static_selectorELNS0_4arch9wavefront6targetE0EEEvSL_.has_recursion, 0
	.set _ZN7rocprim17ROCPRIM_400000_NS6detail17trampoline_kernelINS0_14default_configENS1_36segmented_radix_sort_config_selectorI6__halflEEZNS1_25segmented_radix_sort_implIS3_Lb0EPKS5_PS5_PKlPlN2at6native12_GLOBAL__N_18offset_tEEE10hipError_tPvRmT1_PNSt15iterator_traitsISL_E10value_typeET2_T3_PNSM_ISR_E10value_typeET4_jRbjT5_SX_jjP12ihipStream_tbEUlT_E1_NS1_11comp_targetILNS1_3genE9ELNS1_11target_archE1100ELNS1_3gpuE3ELNS1_3repE0EEENS1_59segmented_radix_sort_warp_sort_small_config_static_selectorELNS0_4arch9wavefront6targetE0EEEvSL_.has_indirect_call, 0
	.section	.AMDGPU.csdata,"",@progbits
; Kernel info:
; codeLenInByte = 0
; TotalNumSgprs: 0
; NumVgprs: 0
; ScratchSize: 0
; MemoryBound: 0
; FloatMode: 240
; IeeeMode: 1
; LDSByteSize: 0 bytes/workgroup (compile time only)
; SGPRBlocks: 0
; VGPRBlocks: 0
; NumSGPRsForWavesPerEU: 1
; NumVGPRsForWavesPerEU: 1
; Occupancy: 16
; WaveLimiterHint : 0
; COMPUTE_PGM_RSRC2:SCRATCH_EN: 0
; COMPUTE_PGM_RSRC2:USER_SGPR: 2
; COMPUTE_PGM_RSRC2:TRAP_HANDLER: 0
; COMPUTE_PGM_RSRC2:TGID_X_EN: 1
; COMPUTE_PGM_RSRC2:TGID_Y_EN: 0
; COMPUTE_PGM_RSRC2:TGID_Z_EN: 0
; COMPUTE_PGM_RSRC2:TIDIG_COMP_CNT: 0
	.section	.text._ZN7rocprim17ROCPRIM_400000_NS6detail17trampoline_kernelINS0_14default_configENS1_36segmented_radix_sort_config_selectorI6__halflEEZNS1_25segmented_radix_sort_implIS3_Lb0EPKS5_PS5_PKlPlN2at6native12_GLOBAL__N_18offset_tEEE10hipError_tPvRmT1_PNSt15iterator_traitsISL_E10value_typeET2_T3_PNSM_ISR_E10value_typeET4_jRbjT5_SX_jjP12ihipStream_tbEUlT_E1_NS1_11comp_targetILNS1_3genE8ELNS1_11target_archE1030ELNS1_3gpuE2ELNS1_3repE0EEENS1_59segmented_radix_sort_warp_sort_small_config_static_selectorELNS0_4arch9wavefront6targetE0EEEvSL_,"axG",@progbits,_ZN7rocprim17ROCPRIM_400000_NS6detail17trampoline_kernelINS0_14default_configENS1_36segmented_radix_sort_config_selectorI6__halflEEZNS1_25segmented_radix_sort_implIS3_Lb0EPKS5_PS5_PKlPlN2at6native12_GLOBAL__N_18offset_tEEE10hipError_tPvRmT1_PNSt15iterator_traitsISL_E10value_typeET2_T3_PNSM_ISR_E10value_typeET4_jRbjT5_SX_jjP12ihipStream_tbEUlT_E1_NS1_11comp_targetILNS1_3genE8ELNS1_11target_archE1030ELNS1_3gpuE2ELNS1_3repE0EEENS1_59segmented_radix_sort_warp_sort_small_config_static_selectorELNS0_4arch9wavefront6targetE0EEEvSL_,comdat
	.globl	_ZN7rocprim17ROCPRIM_400000_NS6detail17trampoline_kernelINS0_14default_configENS1_36segmented_radix_sort_config_selectorI6__halflEEZNS1_25segmented_radix_sort_implIS3_Lb0EPKS5_PS5_PKlPlN2at6native12_GLOBAL__N_18offset_tEEE10hipError_tPvRmT1_PNSt15iterator_traitsISL_E10value_typeET2_T3_PNSM_ISR_E10value_typeET4_jRbjT5_SX_jjP12ihipStream_tbEUlT_E1_NS1_11comp_targetILNS1_3genE8ELNS1_11target_archE1030ELNS1_3gpuE2ELNS1_3repE0EEENS1_59segmented_radix_sort_warp_sort_small_config_static_selectorELNS0_4arch9wavefront6targetE0EEEvSL_ ; -- Begin function _ZN7rocprim17ROCPRIM_400000_NS6detail17trampoline_kernelINS0_14default_configENS1_36segmented_radix_sort_config_selectorI6__halflEEZNS1_25segmented_radix_sort_implIS3_Lb0EPKS5_PS5_PKlPlN2at6native12_GLOBAL__N_18offset_tEEE10hipError_tPvRmT1_PNSt15iterator_traitsISL_E10value_typeET2_T3_PNSM_ISR_E10value_typeET4_jRbjT5_SX_jjP12ihipStream_tbEUlT_E1_NS1_11comp_targetILNS1_3genE8ELNS1_11target_archE1030ELNS1_3gpuE2ELNS1_3repE0EEENS1_59segmented_radix_sort_warp_sort_small_config_static_selectorELNS0_4arch9wavefront6targetE0EEEvSL_
	.p2align	8
	.type	_ZN7rocprim17ROCPRIM_400000_NS6detail17trampoline_kernelINS0_14default_configENS1_36segmented_radix_sort_config_selectorI6__halflEEZNS1_25segmented_radix_sort_implIS3_Lb0EPKS5_PS5_PKlPlN2at6native12_GLOBAL__N_18offset_tEEE10hipError_tPvRmT1_PNSt15iterator_traitsISL_E10value_typeET2_T3_PNSM_ISR_E10value_typeET4_jRbjT5_SX_jjP12ihipStream_tbEUlT_E1_NS1_11comp_targetILNS1_3genE8ELNS1_11target_archE1030ELNS1_3gpuE2ELNS1_3repE0EEENS1_59segmented_radix_sort_warp_sort_small_config_static_selectorELNS0_4arch9wavefront6targetE0EEEvSL_,@function
_ZN7rocprim17ROCPRIM_400000_NS6detail17trampoline_kernelINS0_14default_configENS1_36segmented_radix_sort_config_selectorI6__halflEEZNS1_25segmented_radix_sort_implIS3_Lb0EPKS5_PS5_PKlPlN2at6native12_GLOBAL__N_18offset_tEEE10hipError_tPvRmT1_PNSt15iterator_traitsISL_E10value_typeET2_T3_PNSM_ISR_E10value_typeET4_jRbjT5_SX_jjP12ihipStream_tbEUlT_E1_NS1_11comp_targetILNS1_3genE8ELNS1_11target_archE1030ELNS1_3gpuE2ELNS1_3repE0EEENS1_59segmented_radix_sort_warp_sort_small_config_static_selectorELNS0_4arch9wavefront6targetE0EEEvSL_: ; @_ZN7rocprim17ROCPRIM_400000_NS6detail17trampoline_kernelINS0_14default_configENS1_36segmented_radix_sort_config_selectorI6__halflEEZNS1_25segmented_radix_sort_implIS3_Lb0EPKS5_PS5_PKlPlN2at6native12_GLOBAL__N_18offset_tEEE10hipError_tPvRmT1_PNSt15iterator_traitsISL_E10value_typeET2_T3_PNSM_ISR_E10value_typeET4_jRbjT5_SX_jjP12ihipStream_tbEUlT_E1_NS1_11comp_targetILNS1_3genE8ELNS1_11target_archE1030ELNS1_3gpuE2ELNS1_3repE0EEENS1_59segmented_radix_sort_warp_sort_small_config_static_selectorELNS0_4arch9wavefront6targetE0EEEvSL_
; %bb.0:
	.section	.rodata,"a",@progbits
	.p2align	6, 0x0
	.amdhsa_kernel _ZN7rocprim17ROCPRIM_400000_NS6detail17trampoline_kernelINS0_14default_configENS1_36segmented_radix_sort_config_selectorI6__halflEEZNS1_25segmented_radix_sort_implIS3_Lb0EPKS5_PS5_PKlPlN2at6native12_GLOBAL__N_18offset_tEEE10hipError_tPvRmT1_PNSt15iterator_traitsISL_E10value_typeET2_T3_PNSM_ISR_E10value_typeET4_jRbjT5_SX_jjP12ihipStream_tbEUlT_E1_NS1_11comp_targetILNS1_3genE8ELNS1_11target_archE1030ELNS1_3gpuE2ELNS1_3repE0EEENS1_59segmented_radix_sort_warp_sort_small_config_static_selectorELNS0_4arch9wavefront6targetE0EEEvSL_
		.amdhsa_group_segment_fixed_size 0
		.amdhsa_private_segment_fixed_size 0
		.amdhsa_kernarg_size 88
		.amdhsa_user_sgpr_count 2
		.amdhsa_user_sgpr_dispatch_ptr 0
		.amdhsa_user_sgpr_queue_ptr 0
		.amdhsa_user_sgpr_kernarg_segment_ptr 1
		.amdhsa_user_sgpr_dispatch_id 0
		.amdhsa_user_sgpr_private_segment_size 0
		.amdhsa_wavefront_size32 1
		.amdhsa_uses_dynamic_stack 0
		.amdhsa_enable_private_segment 0
		.amdhsa_system_sgpr_workgroup_id_x 1
		.amdhsa_system_sgpr_workgroup_id_y 0
		.amdhsa_system_sgpr_workgroup_id_z 0
		.amdhsa_system_sgpr_workgroup_info 0
		.amdhsa_system_vgpr_workitem_id 0
		.amdhsa_next_free_vgpr 1
		.amdhsa_next_free_sgpr 1
		.amdhsa_reserve_vcc 0
		.amdhsa_float_round_mode_32 0
		.amdhsa_float_round_mode_16_64 0
		.amdhsa_float_denorm_mode_32 3
		.amdhsa_float_denorm_mode_16_64 3
		.amdhsa_fp16_overflow 0
		.amdhsa_workgroup_processor_mode 1
		.amdhsa_memory_ordered 1
		.amdhsa_forward_progress 1
		.amdhsa_inst_pref_size 0
		.amdhsa_round_robin_scheduling 0
		.amdhsa_exception_fp_ieee_invalid_op 0
		.amdhsa_exception_fp_denorm_src 0
		.amdhsa_exception_fp_ieee_div_zero 0
		.amdhsa_exception_fp_ieee_overflow 0
		.amdhsa_exception_fp_ieee_underflow 0
		.amdhsa_exception_fp_ieee_inexact 0
		.amdhsa_exception_int_div_zero 0
	.end_amdhsa_kernel
	.section	.text._ZN7rocprim17ROCPRIM_400000_NS6detail17trampoline_kernelINS0_14default_configENS1_36segmented_radix_sort_config_selectorI6__halflEEZNS1_25segmented_radix_sort_implIS3_Lb0EPKS5_PS5_PKlPlN2at6native12_GLOBAL__N_18offset_tEEE10hipError_tPvRmT1_PNSt15iterator_traitsISL_E10value_typeET2_T3_PNSM_ISR_E10value_typeET4_jRbjT5_SX_jjP12ihipStream_tbEUlT_E1_NS1_11comp_targetILNS1_3genE8ELNS1_11target_archE1030ELNS1_3gpuE2ELNS1_3repE0EEENS1_59segmented_radix_sort_warp_sort_small_config_static_selectorELNS0_4arch9wavefront6targetE0EEEvSL_,"axG",@progbits,_ZN7rocprim17ROCPRIM_400000_NS6detail17trampoline_kernelINS0_14default_configENS1_36segmented_radix_sort_config_selectorI6__halflEEZNS1_25segmented_radix_sort_implIS3_Lb0EPKS5_PS5_PKlPlN2at6native12_GLOBAL__N_18offset_tEEE10hipError_tPvRmT1_PNSt15iterator_traitsISL_E10value_typeET2_T3_PNSM_ISR_E10value_typeET4_jRbjT5_SX_jjP12ihipStream_tbEUlT_E1_NS1_11comp_targetILNS1_3genE8ELNS1_11target_archE1030ELNS1_3gpuE2ELNS1_3repE0EEENS1_59segmented_radix_sort_warp_sort_small_config_static_selectorELNS0_4arch9wavefront6targetE0EEEvSL_,comdat
.Lfunc_end1871:
	.size	_ZN7rocprim17ROCPRIM_400000_NS6detail17trampoline_kernelINS0_14default_configENS1_36segmented_radix_sort_config_selectorI6__halflEEZNS1_25segmented_radix_sort_implIS3_Lb0EPKS5_PS5_PKlPlN2at6native12_GLOBAL__N_18offset_tEEE10hipError_tPvRmT1_PNSt15iterator_traitsISL_E10value_typeET2_T3_PNSM_ISR_E10value_typeET4_jRbjT5_SX_jjP12ihipStream_tbEUlT_E1_NS1_11comp_targetILNS1_3genE8ELNS1_11target_archE1030ELNS1_3gpuE2ELNS1_3repE0EEENS1_59segmented_radix_sort_warp_sort_small_config_static_selectorELNS0_4arch9wavefront6targetE0EEEvSL_, .Lfunc_end1871-_ZN7rocprim17ROCPRIM_400000_NS6detail17trampoline_kernelINS0_14default_configENS1_36segmented_radix_sort_config_selectorI6__halflEEZNS1_25segmented_radix_sort_implIS3_Lb0EPKS5_PS5_PKlPlN2at6native12_GLOBAL__N_18offset_tEEE10hipError_tPvRmT1_PNSt15iterator_traitsISL_E10value_typeET2_T3_PNSM_ISR_E10value_typeET4_jRbjT5_SX_jjP12ihipStream_tbEUlT_E1_NS1_11comp_targetILNS1_3genE8ELNS1_11target_archE1030ELNS1_3gpuE2ELNS1_3repE0EEENS1_59segmented_radix_sort_warp_sort_small_config_static_selectorELNS0_4arch9wavefront6targetE0EEEvSL_
                                        ; -- End function
	.set _ZN7rocprim17ROCPRIM_400000_NS6detail17trampoline_kernelINS0_14default_configENS1_36segmented_radix_sort_config_selectorI6__halflEEZNS1_25segmented_radix_sort_implIS3_Lb0EPKS5_PS5_PKlPlN2at6native12_GLOBAL__N_18offset_tEEE10hipError_tPvRmT1_PNSt15iterator_traitsISL_E10value_typeET2_T3_PNSM_ISR_E10value_typeET4_jRbjT5_SX_jjP12ihipStream_tbEUlT_E1_NS1_11comp_targetILNS1_3genE8ELNS1_11target_archE1030ELNS1_3gpuE2ELNS1_3repE0EEENS1_59segmented_radix_sort_warp_sort_small_config_static_selectorELNS0_4arch9wavefront6targetE0EEEvSL_.num_vgpr, 0
	.set _ZN7rocprim17ROCPRIM_400000_NS6detail17trampoline_kernelINS0_14default_configENS1_36segmented_radix_sort_config_selectorI6__halflEEZNS1_25segmented_radix_sort_implIS3_Lb0EPKS5_PS5_PKlPlN2at6native12_GLOBAL__N_18offset_tEEE10hipError_tPvRmT1_PNSt15iterator_traitsISL_E10value_typeET2_T3_PNSM_ISR_E10value_typeET4_jRbjT5_SX_jjP12ihipStream_tbEUlT_E1_NS1_11comp_targetILNS1_3genE8ELNS1_11target_archE1030ELNS1_3gpuE2ELNS1_3repE0EEENS1_59segmented_radix_sort_warp_sort_small_config_static_selectorELNS0_4arch9wavefront6targetE0EEEvSL_.num_agpr, 0
	.set _ZN7rocprim17ROCPRIM_400000_NS6detail17trampoline_kernelINS0_14default_configENS1_36segmented_radix_sort_config_selectorI6__halflEEZNS1_25segmented_radix_sort_implIS3_Lb0EPKS5_PS5_PKlPlN2at6native12_GLOBAL__N_18offset_tEEE10hipError_tPvRmT1_PNSt15iterator_traitsISL_E10value_typeET2_T3_PNSM_ISR_E10value_typeET4_jRbjT5_SX_jjP12ihipStream_tbEUlT_E1_NS1_11comp_targetILNS1_3genE8ELNS1_11target_archE1030ELNS1_3gpuE2ELNS1_3repE0EEENS1_59segmented_radix_sort_warp_sort_small_config_static_selectorELNS0_4arch9wavefront6targetE0EEEvSL_.numbered_sgpr, 0
	.set _ZN7rocprim17ROCPRIM_400000_NS6detail17trampoline_kernelINS0_14default_configENS1_36segmented_radix_sort_config_selectorI6__halflEEZNS1_25segmented_radix_sort_implIS3_Lb0EPKS5_PS5_PKlPlN2at6native12_GLOBAL__N_18offset_tEEE10hipError_tPvRmT1_PNSt15iterator_traitsISL_E10value_typeET2_T3_PNSM_ISR_E10value_typeET4_jRbjT5_SX_jjP12ihipStream_tbEUlT_E1_NS1_11comp_targetILNS1_3genE8ELNS1_11target_archE1030ELNS1_3gpuE2ELNS1_3repE0EEENS1_59segmented_radix_sort_warp_sort_small_config_static_selectorELNS0_4arch9wavefront6targetE0EEEvSL_.num_named_barrier, 0
	.set _ZN7rocprim17ROCPRIM_400000_NS6detail17trampoline_kernelINS0_14default_configENS1_36segmented_radix_sort_config_selectorI6__halflEEZNS1_25segmented_radix_sort_implIS3_Lb0EPKS5_PS5_PKlPlN2at6native12_GLOBAL__N_18offset_tEEE10hipError_tPvRmT1_PNSt15iterator_traitsISL_E10value_typeET2_T3_PNSM_ISR_E10value_typeET4_jRbjT5_SX_jjP12ihipStream_tbEUlT_E1_NS1_11comp_targetILNS1_3genE8ELNS1_11target_archE1030ELNS1_3gpuE2ELNS1_3repE0EEENS1_59segmented_radix_sort_warp_sort_small_config_static_selectorELNS0_4arch9wavefront6targetE0EEEvSL_.private_seg_size, 0
	.set _ZN7rocprim17ROCPRIM_400000_NS6detail17trampoline_kernelINS0_14default_configENS1_36segmented_radix_sort_config_selectorI6__halflEEZNS1_25segmented_radix_sort_implIS3_Lb0EPKS5_PS5_PKlPlN2at6native12_GLOBAL__N_18offset_tEEE10hipError_tPvRmT1_PNSt15iterator_traitsISL_E10value_typeET2_T3_PNSM_ISR_E10value_typeET4_jRbjT5_SX_jjP12ihipStream_tbEUlT_E1_NS1_11comp_targetILNS1_3genE8ELNS1_11target_archE1030ELNS1_3gpuE2ELNS1_3repE0EEENS1_59segmented_radix_sort_warp_sort_small_config_static_selectorELNS0_4arch9wavefront6targetE0EEEvSL_.uses_vcc, 0
	.set _ZN7rocprim17ROCPRIM_400000_NS6detail17trampoline_kernelINS0_14default_configENS1_36segmented_radix_sort_config_selectorI6__halflEEZNS1_25segmented_radix_sort_implIS3_Lb0EPKS5_PS5_PKlPlN2at6native12_GLOBAL__N_18offset_tEEE10hipError_tPvRmT1_PNSt15iterator_traitsISL_E10value_typeET2_T3_PNSM_ISR_E10value_typeET4_jRbjT5_SX_jjP12ihipStream_tbEUlT_E1_NS1_11comp_targetILNS1_3genE8ELNS1_11target_archE1030ELNS1_3gpuE2ELNS1_3repE0EEENS1_59segmented_radix_sort_warp_sort_small_config_static_selectorELNS0_4arch9wavefront6targetE0EEEvSL_.uses_flat_scratch, 0
	.set _ZN7rocprim17ROCPRIM_400000_NS6detail17trampoline_kernelINS0_14default_configENS1_36segmented_radix_sort_config_selectorI6__halflEEZNS1_25segmented_radix_sort_implIS3_Lb0EPKS5_PS5_PKlPlN2at6native12_GLOBAL__N_18offset_tEEE10hipError_tPvRmT1_PNSt15iterator_traitsISL_E10value_typeET2_T3_PNSM_ISR_E10value_typeET4_jRbjT5_SX_jjP12ihipStream_tbEUlT_E1_NS1_11comp_targetILNS1_3genE8ELNS1_11target_archE1030ELNS1_3gpuE2ELNS1_3repE0EEENS1_59segmented_radix_sort_warp_sort_small_config_static_selectorELNS0_4arch9wavefront6targetE0EEEvSL_.has_dyn_sized_stack, 0
	.set _ZN7rocprim17ROCPRIM_400000_NS6detail17trampoline_kernelINS0_14default_configENS1_36segmented_radix_sort_config_selectorI6__halflEEZNS1_25segmented_radix_sort_implIS3_Lb0EPKS5_PS5_PKlPlN2at6native12_GLOBAL__N_18offset_tEEE10hipError_tPvRmT1_PNSt15iterator_traitsISL_E10value_typeET2_T3_PNSM_ISR_E10value_typeET4_jRbjT5_SX_jjP12ihipStream_tbEUlT_E1_NS1_11comp_targetILNS1_3genE8ELNS1_11target_archE1030ELNS1_3gpuE2ELNS1_3repE0EEENS1_59segmented_radix_sort_warp_sort_small_config_static_selectorELNS0_4arch9wavefront6targetE0EEEvSL_.has_recursion, 0
	.set _ZN7rocprim17ROCPRIM_400000_NS6detail17trampoline_kernelINS0_14default_configENS1_36segmented_radix_sort_config_selectorI6__halflEEZNS1_25segmented_radix_sort_implIS3_Lb0EPKS5_PS5_PKlPlN2at6native12_GLOBAL__N_18offset_tEEE10hipError_tPvRmT1_PNSt15iterator_traitsISL_E10value_typeET2_T3_PNSM_ISR_E10value_typeET4_jRbjT5_SX_jjP12ihipStream_tbEUlT_E1_NS1_11comp_targetILNS1_3genE8ELNS1_11target_archE1030ELNS1_3gpuE2ELNS1_3repE0EEENS1_59segmented_radix_sort_warp_sort_small_config_static_selectorELNS0_4arch9wavefront6targetE0EEEvSL_.has_indirect_call, 0
	.section	.AMDGPU.csdata,"",@progbits
; Kernel info:
; codeLenInByte = 0
; TotalNumSgprs: 0
; NumVgprs: 0
; ScratchSize: 0
; MemoryBound: 0
; FloatMode: 240
; IeeeMode: 1
; LDSByteSize: 0 bytes/workgroup (compile time only)
; SGPRBlocks: 0
; VGPRBlocks: 0
; NumSGPRsForWavesPerEU: 1
; NumVGPRsForWavesPerEU: 1
; Occupancy: 16
; WaveLimiterHint : 0
; COMPUTE_PGM_RSRC2:SCRATCH_EN: 0
; COMPUTE_PGM_RSRC2:USER_SGPR: 2
; COMPUTE_PGM_RSRC2:TRAP_HANDLER: 0
; COMPUTE_PGM_RSRC2:TGID_X_EN: 1
; COMPUTE_PGM_RSRC2:TGID_Y_EN: 0
; COMPUTE_PGM_RSRC2:TGID_Z_EN: 0
; COMPUTE_PGM_RSRC2:TIDIG_COMP_CNT: 0
	.section	.text._ZN7rocprim17ROCPRIM_400000_NS6detail17trampoline_kernelINS0_14default_configENS1_36segmented_radix_sort_config_selectorI6__halflEEZNS1_25segmented_radix_sort_implIS3_Lb0EPKS5_PS5_PKlPlN2at6native12_GLOBAL__N_18offset_tEEE10hipError_tPvRmT1_PNSt15iterator_traitsISL_E10value_typeET2_T3_PNSM_ISR_E10value_typeET4_jRbjT5_SX_jjP12ihipStream_tbEUlT_E2_NS1_11comp_targetILNS1_3genE0ELNS1_11target_archE4294967295ELNS1_3gpuE0ELNS1_3repE0EEENS1_30default_config_static_selectorELNS0_4arch9wavefront6targetE0EEEvSL_,"axG",@progbits,_ZN7rocprim17ROCPRIM_400000_NS6detail17trampoline_kernelINS0_14default_configENS1_36segmented_radix_sort_config_selectorI6__halflEEZNS1_25segmented_radix_sort_implIS3_Lb0EPKS5_PS5_PKlPlN2at6native12_GLOBAL__N_18offset_tEEE10hipError_tPvRmT1_PNSt15iterator_traitsISL_E10value_typeET2_T3_PNSM_ISR_E10value_typeET4_jRbjT5_SX_jjP12ihipStream_tbEUlT_E2_NS1_11comp_targetILNS1_3genE0ELNS1_11target_archE4294967295ELNS1_3gpuE0ELNS1_3repE0EEENS1_30default_config_static_selectorELNS0_4arch9wavefront6targetE0EEEvSL_,comdat
	.globl	_ZN7rocprim17ROCPRIM_400000_NS6detail17trampoline_kernelINS0_14default_configENS1_36segmented_radix_sort_config_selectorI6__halflEEZNS1_25segmented_radix_sort_implIS3_Lb0EPKS5_PS5_PKlPlN2at6native12_GLOBAL__N_18offset_tEEE10hipError_tPvRmT1_PNSt15iterator_traitsISL_E10value_typeET2_T3_PNSM_ISR_E10value_typeET4_jRbjT5_SX_jjP12ihipStream_tbEUlT_E2_NS1_11comp_targetILNS1_3genE0ELNS1_11target_archE4294967295ELNS1_3gpuE0ELNS1_3repE0EEENS1_30default_config_static_selectorELNS0_4arch9wavefront6targetE0EEEvSL_ ; -- Begin function _ZN7rocprim17ROCPRIM_400000_NS6detail17trampoline_kernelINS0_14default_configENS1_36segmented_radix_sort_config_selectorI6__halflEEZNS1_25segmented_radix_sort_implIS3_Lb0EPKS5_PS5_PKlPlN2at6native12_GLOBAL__N_18offset_tEEE10hipError_tPvRmT1_PNSt15iterator_traitsISL_E10value_typeET2_T3_PNSM_ISR_E10value_typeET4_jRbjT5_SX_jjP12ihipStream_tbEUlT_E2_NS1_11comp_targetILNS1_3genE0ELNS1_11target_archE4294967295ELNS1_3gpuE0ELNS1_3repE0EEENS1_30default_config_static_selectorELNS0_4arch9wavefront6targetE0EEEvSL_
	.p2align	8
	.type	_ZN7rocprim17ROCPRIM_400000_NS6detail17trampoline_kernelINS0_14default_configENS1_36segmented_radix_sort_config_selectorI6__halflEEZNS1_25segmented_radix_sort_implIS3_Lb0EPKS5_PS5_PKlPlN2at6native12_GLOBAL__N_18offset_tEEE10hipError_tPvRmT1_PNSt15iterator_traitsISL_E10value_typeET2_T3_PNSM_ISR_E10value_typeET4_jRbjT5_SX_jjP12ihipStream_tbEUlT_E2_NS1_11comp_targetILNS1_3genE0ELNS1_11target_archE4294967295ELNS1_3gpuE0ELNS1_3repE0EEENS1_30default_config_static_selectorELNS0_4arch9wavefront6targetE0EEEvSL_,@function
_ZN7rocprim17ROCPRIM_400000_NS6detail17trampoline_kernelINS0_14default_configENS1_36segmented_radix_sort_config_selectorI6__halflEEZNS1_25segmented_radix_sort_implIS3_Lb0EPKS5_PS5_PKlPlN2at6native12_GLOBAL__N_18offset_tEEE10hipError_tPvRmT1_PNSt15iterator_traitsISL_E10value_typeET2_T3_PNSM_ISR_E10value_typeET4_jRbjT5_SX_jjP12ihipStream_tbEUlT_E2_NS1_11comp_targetILNS1_3genE0ELNS1_11target_archE4294967295ELNS1_3gpuE0ELNS1_3repE0EEENS1_30default_config_static_selectorELNS0_4arch9wavefront6targetE0EEEvSL_: ; @_ZN7rocprim17ROCPRIM_400000_NS6detail17trampoline_kernelINS0_14default_configENS1_36segmented_radix_sort_config_selectorI6__halflEEZNS1_25segmented_radix_sort_implIS3_Lb0EPKS5_PS5_PKlPlN2at6native12_GLOBAL__N_18offset_tEEE10hipError_tPvRmT1_PNSt15iterator_traitsISL_E10value_typeET2_T3_PNSM_ISR_E10value_typeET4_jRbjT5_SX_jjP12ihipStream_tbEUlT_E2_NS1_11comp_targetILNS1_3genE0ELNS1_11target_archE4294967295ELNS1_3gpuE0ELNS1_3repE0EEENS1_30default_config_static_selectorELNS0_4arch9wavefront6targetE0EEEvSL_
; %bb.0:
	.section	.rodata,"a",@progbits
	.p2align	6, 0x0
	.amdhsa_kernel _ZN7rocprim17ROCPRIM_400000_NS6detail17trampoline_kernelINS0_14default_configENS1_36segmented_radix_sort_config_selectorI6__halflEEZNS1_25segmented_radix_sort_implIS3_Lb0EPKS5_PS5_PKlPlN2at6native12_GLOBAL__N_18offset_tEEE10hipError_tPvRmT1_PNSt15iterator_traitsISL_E10value_typeET2_T3_PNSM_ISR_E10value_typeET4_jRbjT5_SX_jjP12ihipStream_tbEUlT_E2_NS1_11comp_targetILNS1_3genE0ELNS1_11target_archE4294967295ELNS1_3gpuE0ELNS1_3repE0EEENS1_30default_config_static_selectorELNS0_4arch9wavefront6targetE0EEEvSL_
		.amdhsa_group_segment_fixed_size 0
		.amdhsa_private_segment_fixed_size 0
		.amdhsa_kernarg_size 80
		.amdhsa_user_sgpr_count 2
		.amdhsa_user_sgpr_dispatch_ptr 0
		.amdhsa_user_sgpr_queue_ptr 0
		.amdhsa_user_sgpr_kernarg_segment_ptr 1
		.amdhsa_user_sgpr_dispatch_id 0
		.amdhsa_user_sgpr_private_segment_size 0
		.amdhsa_wavefront_size32 1
		.amdhsa_uses_dynamic_stack 0
		.amdhsa_enable_private_segment 0
		.amdhsa_system_sgpr_workgroup_id_x 1
		.amdhsa_system_sgpr_workgroup_id_y 0
		.amdhsa_system_sgpr_workgroup_id_z 0
		.amdhsa_system_sgpr_workgroup_info 0
		.amdhsa_system_vgpr_workitem_id 0
		.amdhsa_next_free_vgpr 1
		.amdhsa_next_free_sgpr 1
		.amdhsa_reserve_vcc 0
		.amdhsa_float_round_mode_32 0
		.amdhsa_float_round_mode_16_64 0
		.amdhsa_float_denorm_mode_32 3
		.amdhsa_float_denorm_mode_16_64 3
		.amdhsa_fp16_overflow 0
		.amdhsa_workgroup_processor_mode 1
		.amdhsa_memory_ordered 1
		.amdhsa_forward_progress 1
		.amdhsa_inst_pref_size 0
		.amdhsa_round_robin_scheduling 0
		.amdhsa_exception_fp_ieee_invalid_op 0
		.amdhsa_exception_fp_denorm_src 0
		.amdhsa_exception_fp_ieee_div_zero 0
		.amdhsa_exception_fp_ieee_overflow 0
		.amdhsa_exception_fp_ieee_underflow 0
		.amdhsa_exception_fp_ieee_inexact 0
		.amdhsa_exception_int_div_zero 0
	.end_amdhsa_kernel
	.section	.text._ZN7rocprim17ROCPRIM_400000_NS6detail17trampoline_kernelINS0_14default_configENS1_36segmented_radix_sort_config_selectorI6__halflEEZNS1_25segmented_radix_sort_implIS3_Lb0EPKS5_PS5_PKlPlN2at6native12_GLOBAL__N_18offset_tEEE10hipError_tPvRmT1_PNSt15iterator_traitsISL_E10value_typeET2_T3_PNSM_ISR_E10value_typeET4_jRbjT5_SX_jjP12ihipStream_tbEUlT_E2_NS1_11comp_targetILNS1_3genE0ELNS1_11target_archE4294967295ELNS1_3gpuE0ELNS1_3repE0EEENS1_30default_config_static_selectorELNS0_4arch9wavefront6targetE0EEEvSL_,"axG",@progbits,_ZN7rocprim17ROCPRIM_400000_NS6detail17trampoline_kernelINS0_14default_configENS1_36segmented_radix_sort_config_selectorI6__halflEEZNS1_25segmented_radix_sort_implIS3_Lb0EPKS5_PS5_PKlPlN2at6native12_GLOBAL__N_18offset_tEEE10hipError_tPvRmT1_PNSt15iterator_traitsISL_E10value_typeET2_T3_PNSM_ISR_E10value_typeET4_jRbjT5_SX_jjP12ihipStream_tbEUlT_E2_NS1_11comp_targetILNS1_3genE0ELNS1_11target_archE4294967295ELNS1_3gpuE0ELNS1_3repE0EEENS1_30default_config_static_selectorELNS0_4arch9wavefront6targetE0EEEvSL_,comdat
.Lfunc_end1872:
	.size	_ZN7rocprim17ROCPRIM_400000_NS6detail17trampoline_kernelINS0_14default_configENS1_36segmented_radix_sort_config_selectorI6__halflEEZNS1_25segmented_radix_sort_implIS3_Lb0EPKS5_PS5_PKlPlN2at6native12_GLOBAL__N_18offset_tEEE10hipError_tPvRmT1_PNSt15iterator_traitsISL_E10value_typeET2_T3_PNSM_ISR_E10value_typeET4_jRbjT5_SX_jjP12ihipStream_tbEUlT_E2_NS1_11comp_targetILNS1_3genE0ELNS1_11target_archE4294967295ELNS1_3gpuE0ELNS1_3repE0EEENS1_30default_config_static_selectorELNS0_4arch9wavefront6targetE0EEEvSL_, .Lfunc_end1872-_ZN7rocprim17ROCPRIM_400000_NS6detail17trampoline_kernelINS0_14default_configENS1_36segmented_radix_sort_config_selectorI6__halflEEZNS1_25segmented_radix_sort_implIS3_Lb0EPKS5_PS5_PKlPlN2at6native12_GLOBAL__N_18offset_tEEE10hipError_tPvRmT1_PNSt15iterator_traitsISL_E10value_typeET2_T3_PNSM_ISR_E10value_typeET4_jRbjT5_SX_jjP12ihipStream_tbEUlT_E2_NS1_11comp_targetILNS1_3genE0ELNS1_11target_archE4294967295ELNS1_3gpuE0ELNS1_3repE0EEENS1_30default_config_static_selectorELNS0_4arch9wavefront6targetE0EEEvSL_
                                        ; -- End function
	.set _ZN7rocprim17ROCPRIM_400000_NS6detail17trampoline_kernelINS0_14default_configENS1_36segmented_radix_sort_config_selectorI6__halflEEZNS1_25segmented_radix_sort_implIS3_Lb0EPKS5_PS5_PKlPlN2at6native12_GLOBAL__N_18offset_tEEE10hipError_tPvRmT1_PNSt15iterator_traitsISL_E10value_typeET2_T3_PNSM_ISR_E10value_typeET4_jRbjT5_SX_jjP12ihipStream_tbEUlT_E2_NS1_11comp_targetILNS1_3genE0ELNS1_11target_archE4294967295ELNS1_3gpuE0ELNS1_3repE0EEENS1_30default_config_static_selectorELNS0_4arch9wavefront6targetE0EEEvSL_.num_vgpr, 0
	.set _ZN7rocprim17ROCPRIM_400000_NS6detail17trampoline_kernelINS0_14default_configENS1_36segmented_radix_sort_config_selectorI6__halflEEZNS1_25segmented_radix_sort_implIS3_Lb0EPKS5_PS5_PKlPlN2at6native12_GLOBAL__N_18offset_tEEE10hipError_tPvRmT1_PNSt15iterator_traitsISL_E10value_typeET2_T3_PNSM_ISR_E10value_typeET4_jRbjT5_SX_jjP12ihipStream_tbEUlT_E2_NS1_11comp_targetILNS1_3genE0ELNS1_11target_archE4294967295ELNS1_3gpuE0ELNS1_3repE0EEENS1_30default_config_static_selectorELNS0_4arch9wavefront6targetE0EEEvSL_.num_agpr, 0
	.set _ZN7rocprim17ROCPRIM_400000_NS6detail17trampoline_kernelINS0_14default_configENS1_36segmented_radix_sort_config_selectorI6__halflEEZNS1_25segmented_radix_sort_implIS3_Lb0EPKS5_PS5_PKlPlN2at6native12_GLOBAL__N_18offset_tEEE10hipError_tPvRmT1_PNSt15iterator_traitsISL_E10value_typeET2_T3_PNSM_ISR_E10value_typeET4_jRbjT5_SX_jjP12ihipStream_tbEUlT_E2_NS1_11comp_targetILNS1_3genE0ELNS1_11target_archE4294967295ELNS1_3gpuE0ELNS1_3repE0EEENS1_30default_config_static_selectorELNS0_4arch9wavefront6targetE0EEEvSL_.numbered_sgpr, 0
	.set _ZN7rocprim17ROCPRIM_400000_NS6detail17trampoline_kernelINS0_14default_configENS1_36segmented_radix_sort_config_selectorI6__halflEEZNS1_25segmented_radix_sort_implIS3_Lb0EPKS5_PS5_PKlPlN2at6native12_GLOBAL__N_18offset_tEEE10hipError_tPvRmT1_PNSt15iterator_traitsISL_E10value_typeET2_T3_PNSM_ISR_E10value_typeET4_jRbjT5_SX_jjP12ihipStream_tbEUlT_E2_NS1_11comp_targetILNS1_3genE0ELNS1_11target_archE4294967295ELNS1_3gpuE0ELNS1_3repE0EEENS1_30default_config_static_selectorELNS0_4arch9wavefront6targetE0EEEvSL_.num_named_barrier, 0
	.set _ZN7rocprim17ROCPRIM_400000_NS6detail17trampoline_kernelINS0_14default_configENS1_36segmented_radix_sort_config_selectorI6__halflEEZNS1_25segmented_radix_sort_implIS3_Lb0EPKS5_PS5_PKlPlN2at6native12_GLOBAL__N_18offset_tEEE10hipError_tPvRmT1_PNSt15iterator_traitsISL_E10value_typeET2_T3_PNSM_ISR_E10value_typeET4_jRbjT5_SX_jjP12ihipStream_tbEUlT_E2_NS1_11comp_targetILNS1_3genE0ELNS1_11target_archE4294967295ELNS1_3gpuE0ELNS1_3repE0EEENS1_30default_config_static_selectorELNS0_4arch9wavefront6targetE0EEEvSL_.private_seg_size, 0
	.set _ZN7rocprim17ROCPRIM_400000_NS6detail17trampoline_kernelINS0_14default_configENS1_36segmented_radix_sort_config_selectorI6__halflEEZNS1_25segmented_radix_sort_implIS3_Lb0EPKS5_PS5_PKlPlN2at6native12_GLOBAL__N_18offset_tEEE10hipError_tPvRmT1_PNSt15iterator_traitsISL_E10value_typeET2_T3_PNSM_ISR_E10value_typeET4_jRbjT5_SX_jjP12ihipStream_tbEUlT_E2_NS1_11comp_targetILNS1_3genE0ELNS1_11target_archE4294967295ELNS1_3gpuE0ELNS1_3repE0EEENS1_30default_config_static_selectorELNS0_4arch9wavefront6targetE0EEEvSL_.uses_vcc, 0
	.set _ZN7rocprim17ROCPRIM_400000_NS6detail17trampoline_kernelINS0_14default_configENS1_36segmented_radix_sort_config_selectorI6__halflEEZNS1_25segmented_radix_sort_implIS3_Lb0EPKS5_PS5_PKlPlN2at6native12_GLOBAL__N_18offset_tEEE10hipError_tPvRmT1_PNSt15iterator_traitsISL_E10value_typeET2_T3_PNSM_ISR_E10value_typeET4_jRbjT5_SX_jjP12ihipStream_tbEUlT_E2_NS1_11comp_targetILNS1_3genE0ELNS1_11target_archE4294967295ELNS1_3gpuE0ELNS1_3repE0EEENS1_30default_config_static_selectorELNS0_4arch9wavefront6targetE0EEEvSL_.uses_flat_scratch, 0
	.set _ZN7rocprim17ROCPRIM_400000_NS6detail17trampoline_kernelINS0_14default_configENS1_36segmented_radix_sort_config_selectorI6__halflEEZNS1_25segmented_radix_sort_implIS3_Lb0EPKS5_PS5_PKlPlN2at6native12_GLOBAL__N_18offset_tEEE10hipError_tPvRmT1_PNSt15iterator_traitsISL_E10value_typeET2_T3_PNSM_ISR_E10value_typeET4_jRbjT5_SX_jjP12ihipStream_tbEUlT_E2_NS1_11comp_targetILNS1_3genE0ELNS1_11target_archE4294967295ELNS1_3gpuE0ELNS1_3repE0EEENS1_30default_config_static_selectorELNS0_4arch9wavefront6targetE0EEEvSL_.has_dyn_sized_stack, 0
	.set _ZN7rocprim17ROCPRIM_400000_NS6detail17trampoline_kernelINS0_14default_configENS1_36segmented_radix_sort_config_selectorI6__halflEEZNS1_25segmented_radix_sort_implIS3_Lb0EPKS5_PS5_PKlPlN2at6native12_GLOBAL__N_18offset_tEEE10hipError_tPvRmT1_PNSt15iterator_traitsISL_E10value_typeET2_T3_PNSM_ISR_E10value_typeET4_jRbjT5_SX_jjP12ihipStream_tbEUlT_E2_NS1_11comp_targetILNS1_3genE0ELNS1_11target_archE4294967295ELNS1_3gpuE0ELNS1_3repE0EEENS1_30default_config_static_selectorELNS0_4arch9wavefront6targetE0EEEvSL_.has_recursion, 0
	.set _ZN7rocprim17ROCPRIM_400000_NS6detail17trampoline_kernelINS0_14default_configENS1_36segmented_radix_sort_config_selectorI6__halflEEZNS1_25segmented_radix_sort_implIS3_Lb0EPKS5_PS5_PKlPlN2at6native12_GLOBAL__N_18offset_tEEE10hipError_tPvRmT1_PNSt15iterator_traitsISL_E10value_typeET2_T3_PNSM_ISR_E10value_typeET4_jRbjT5_SX_jjP12ihipStream_tbEUlT_E2_NS1_11comp_targetILNS1_3genE0ELNS1_11target_archE4294967295ELNS1_3gpuE0ELNS1_3repE0EEENS1_30default_config_static_selectorELNS0_4arch9wavefront6targetE0EEEvSL_.has_indirect_call, 0
	.section	.AMDGPU.csdata,"",@progbits
; Kernel info:
; codeLenInByte = 0
; TotalNumSgprs: 0
; NumVgprs: 0
; ScratchSize: 0
; MemoryBound: 0
; FloatMode: 240
; IeeeMode: 1
; LDSByteSize: 0 bytes/workgroup (compile time only)
; SGPRBlocks: 0
; VGPRBlocks: 0
; NumSGPRsForWavesPerEU: 1
; NumVGPRsForWavesPerEU: 1
; Occupancy: 16
; WaveLimiterHint : 0
; COMPUTE_PGM_RSRC2:SCRATCH_EN: 0
; COMPUTE_PGM_RSRC2:USER_SGPR: 2
; COMPUTE_PGM_RSRC2:TRAP_HANDLER: 0
; COMPUTE_PGM_RSRC2:TGID_X_EN: 1
; COMPUTE_PGM_RSRC2:TGID_Y_EN: 0
; COMPUTE_PGM_RSRC2:TGID_Z_EN: 0
; COMPUTE_PGM_RSRC2:TIDIG_COMP_CNT: 0
	.section	.text._ZN7rocprim17ROCPRIM_400000_NS6detail17trampoline_kernelINS0_14default_configENS1_36segmented_radix_sort_config_selectorI6__halflEEZNS1_25segmented_radix_sort_implIS3_Lb0EPKS5_PS5_PKlPlN2at6native12_GLOBAL__N_18offset_tEEE10hipError_tPvRmT1_PNSt15iterator_traitsISL_E10value_typeET2_T3_PNSM_ISR_E10value_typeET4_jRbjT5_SX_jjP12ihipStream_tbEUlT_E2_NS1_11comp_targetILNS1_3genE5ELNS1_11target_archE942ELNS1_3gpuE9ELNS1_3repE0EEENS1_30default_config_static_selectorELNS0_4arch9wavefront6targetE0EEEvSL_,"axG",@progbits,_ZN7rocprim17ROCPRIM_400000_NS6detail17trampoline_kernelINS0_14default_configENS1_36segmented_radix_sort_config_selectorI6__halflEEZNS1_25segmented_radix_sort_implIS3_Lb0EPKS5_PS5_PKlPlN2at6native12_GLOBAL__N_18offset_tEEE10hipError_tPvRmT1_PNSt15iterator_traitsISL_E10value_typeET2_T3_PNSM_ISR_E10value_typeET4_jRbjT5_SX_jjP12ihipStream_tbEUlT_E2_NS1_11comp_targetILNS1_3genE5ELNS1_11target_archE942ELNS1_3gpuE9ELNS1_3repE0EEENS1_30default_config_static_selectorELNS0_4arch9wavefront6targetE0EEEvSL_,comdat
	.globl	_ZN7rocprim17ROCPRIM_400000_NS6detail17trampoline_kernelINS0_14default_configENS1_36segmented_radix_sort_config_selectorI6__halflEEZNS1_25segmented_radix_sort_implIS3_Lb0EPKS5_PS5_PKlPlN2at6native12_GLOBAL__N_18offset_tEEE10hipError_tPvRmT1_PNSt15iterator_traitsISL_E10value_typeET2_T3_PNSM_ISR_E10value_typeET4_jRbjT5_SX_jjP12ihipStream_tbEUlT_E2_NS1_11comp_targetILNS1_3genE5ELNS1_11target_archE942ELNS1_3gpuE9ELNS1_3repE0EEENS1_30default_config_static_selectorELNS0_4arch9wavefront6targetE0EEEvSL_ ; -- Begin function _ZN7rocprim17ROCPRIM_400000_NS6detail17trampoline_kernelINS0_14default_configENS1_36segmented_radix_sort_config_selectorI6__halflEEZNS1_25segmented_radix_sort_implIS3_Lb0EPKS5_PS5_PKlPlN2at6native12_GLOBAL__N_18offset_tEEE10hipError_tPvRmT1_PNSt15iterator_traitsISL_E10value_typeET2_T3_PNSM_ISR_E10value_typeET4_jRbjT5_SX_jjP12ihipStream_tbEUlT_E2_NS1_11comp_targetILNS1_3genE5ELNS1_11target_archE942ELNS1_3gpuE9ELNS1_3repE0EEENS1_30default_config_static_selectorELNS0_4arch9wavefront6targetE0EEEvSL_
	.p2align	8
	.type	_ZN7rocprim17ROCPRIM_400000_NS6detail17trampoline_kernelINS0_14default_configENS1_36segmented_radix_sort_config_selectorI6__halflEEZNS1_25segmented_radix_sort_implIS3_Lb0EPKS5_PS5_PKlPlN2at6native12_GLOBAL__N_18offset_tEEE10hipError_tPvRmT1_PNSt15iterator_traitsISL_E10value_typeET2_T3_PNSM_ISR_E10value_typeET4_jRbjT5_SX_jjP12ihipStream_tbEUlT_E2_NS1_11comp_targetILNS1_3genE5ELNS1_11target_archE942ELNS1_3gpuE9ELNS1_3repE0EEENS1_30default_config_static_selectorELNS0_4arch9wavefront6targetE0EEEvSL_,@function
_ZN7rocprim17ROCPRIM_400000_NS6detail17trampoline_kernelINS0_14default_configENS1_36segmented_radix_sort_config_selectorI6__halflEEZNS1_25segmented_radix_sort_implIS3_Lb0EPKS5_PS5_PKlPlN2at6native12_GLOBAL__N_18offset_tEEE10hipError_tPvRmT1_PNSt15iterator_traitsISL_E10value_typeET2_T3_PNSM_ISR_E10value_typeET4_jRbjT5_SX_jjP12ihipStream_tbEUlT_E2_NS1_11comp_targetILNS1_3genE5ELNS1_11target_archE942ELNS1_3gpuE9ELNS1_3repE0EEENS1_30default_config_static_selectorELNS0_4arch9wavefront6targetE0EEEvSL_: ; @_ZN7rocprim17ROCPRIM_400000_NS6detail17trampoline_kernelINS0_14default_configENS1_36segmented_radix_sort_config_selectorI6__halflEEZNS1_25segmented_radix_sort_implIS3_Lb0EPKS5_PS5_PKlPlN2at6native12_GLOBAL__N_18offset_tEEE10hipError_tPvRmT1_PNSt15iterator_traitsISL_E10value_typeET2_T3_PNSM_ISR_E10value_typeET4_jRbjT5_SX_jjP12ihipStream_tbEUlT_E2_NS1_11comp_targetILNS1_3genE5ELNS1_11target_archE942ELNS1_3gpuE9ELNS1_3repE0EEENS1_30default_config_static_selectorELNS0_4arch9wavefront6targetE0EEEvSL_
; %bb.0:
	.section	.rodata,"a",@progbits
	.p2align	6, 0x0
	.amdhsa_kernel _ZN7rocprim17ROCPRIM_400000_NS6detail17trampoline_kernelINS0_14default_configENS1_36segmented_radix_sort_config_selectorI6__halflEEZNS1_25segmented_radix_sort_implIS3_Lb0EPKS5_PS5_PKlPlN2at6native12_GLOBAL__N_18offset_tEEE10hipError_tPvRmT1_PNSt15iterator_traitsISL_E10value_typeET2_T3_PNSM_ISR_E10value_typeET4_jRbjT5_SX_jjP12ihipStream_tbEUlT_E2_NS1_11comp_targetILNS1_3genE5ELNS1_11target_archE942ELNS1_3gpuE9ELNS1_3repE0EEENS1_30default_config_static_selectorELNS0_4arch9wavefront6targetE0EEEvSL_
		.amdhsa_group_segment_fixed_size 0
		.amdhsa_private_segment_fixed_size 0
		.amdhsa_kernarg_size 80
		.amdhsa_user_sgpr_count 2
		.amdhsa_user_sgpr_dispatch_ptr 0
		.amdhsa_user_sgpr_queue_ptr 0
		.amdhsa_user_sgpr_kernarg_segment_ptr 1
		.amdhsa_user_sgpr_dispatch_id 0
		.amdhsa_user_sgpr_private_segment_size 0
		.amdhsa_wavefront_size32 1
		.amdhsa_uses_dynamic_stack 0
		.amdhsa_enable_private_segment 0
		.amdhsa_system_sgpr_workgroup_id_x 1
		.amdhsa_system_sgpr_workgroup_id_y 0
		.amdhsa_system_sgpr_workgroup_id_z 0
		.amdhsa_system_sgpr_workgroup_info 0
		.amdhsa_system_vgpr_workitem_id 0
		.amdhsa_next_free_vgpr 1
		.amdhsa_next_free_sgpr 1
		.amdhsa_reserve_vcc 0
		.amdhsa_float_round_mode_32 0
		.amdhsa_float_round_mode_16_64 0
		.amdhsa_float_denorm_mode_32 3
		.amdhsa_float_denorm_mode_16_64 3
		.amdhsa_fp16_overflow 0
		.amdhsa_workgroup_processor_mode 1
		.amdhsa_memory_ordered 1
		.amdhsa_forward_progress 1
		.amdhsa_inst_pref_size 0
		.amdhsa_round_robin_scheduling 0
		.amdhsa_exception_fp_ieee_invalid_op 0
		.amdhsa_exception_fp_denorm_src 0
		.amdhsa_exception_fp_ieee_div_zero 0
		.amdhsa_exception_fp_ieee_overflow 0
		.amdhsa_exception_fp_ieee_underflow 0
		.amdhsa_exception_fp_ieee_inexact 0
		.amdhsa_exception_int_div_zero 0
	.end_amdhsa_kernel
	.section	.text._ZN7rocprim17ROCPRIM_400000_NS6detail17trampoline_kernelINS0_14default_configENS1_36segmented_radix_sort_config_selectorI6__halflEEZNS1_25segmented_radix_sort_implIS3_Lb0EPKS5_PS5_PKlPlN2at6native12_GLOBAL__N_18offset_tEEE10hipError_tPvRmT1_PNSt15iterator_traitsISL_E10value_typeET2_T3_PNSM_ISR_E10value_typeET4_jRbjT5_SX_jjP12ihipStream_tbEUlT_E2_NS1_11comp_targetILNS1_3genE5ELNS1_11target_archE942ELNS1_3gpuE9ELNS1_3repE0EEENS1_30default_config_static_selectorELNS0_4arch9wavefront6targetE0EEEvSL_,"axG",@progbits,_ZN7rocprim17ROCPRIM_400000_NS6detail17trampoline_kernelINS0_14default_configENS1_36segmented_radix_sort_config_selectorI6__halflEEZNS1_25segmented_radix_sort_implIS3_Lb0EPKS5_PS5_PKlPlN2at6native12_GLOBAL__N_18offset_tEEE10hipError_tPvRmT1_PNSt15iterator_traitsISL_E10value_typeET2_T3_PNSM_ISR_E10value_typeET4_jRbjT5_SX_jjP12ihipStream_tbEUlT_E2_NS1_11comp_targetILNS1_3genE5ELNS1_11target_archE942ELNS1_3gpuE9ELNS1_3repE0EEENS1_30default_config_static_selectorELNS0_4arch9wavefront6targetE0EEEvSL_,comdat
.Lfunc_end1873:
	.size	_ZN7rocprim17ROCPRIM_400000_NS6detail17trampoline_kernelINS0_14default_configENS1_36segmented_radix_sort_config_selectorI6__halflEEZNS1_25segmented_radix_sort_implIS3_Lb0EPKS5_PS5_PKlPlN2at6native12_GLOBAL__N_18offset_tEEE10hipError_tPvRmT1_PNSt15iterator_traitsISL_E10value_typeET2_T3_PNSM_ISR_E10value_typeET4_jRbjT5_SX_jjP12ihipStream_tbEUlT_E2_NS1_11comp_targetILNS1_3genE5ELNS1_11target_archE942ELNS1_3gpuE9ELNS1_3repE0EEENS1_30default_config_static_selectorELNS0_4arch9wavefront6targetE0EEEvSL_, .Lfunc_end1873-_ZN7rocprim17ROCPRIM_400000_NS6detail17trampoline_kernelINS0_14default_configENS1_36segmented_radix_sort_config_selectorI6__halflEEZNS1_25segmented_radix_sort_implIS3_Lb0EPKS5_PS5_PKlPlN2at6native12_GLOBAL__N_18offset_tEEE10hipError_tPvRmT1_PNSt15iterator_traitsISL_E10value_typeET2_T3_PNSM_ISR_E10value_typeET4_jRbjT5_SX_jjP12ihipStream_tbEUlT_E2_NS1_11comp_targetILNS1_3genE5ELNS1_11target_archE942ELNS1_3gpuE9ELNS1_3repE0EEENS1_30default_config_static_selectorELNS0_4arch9wavefront6targetE0EEEvSL_
                                        ; -- End function
	.set _ZN7rocprim17ROCPRIM_400000_NS6detail17trampoline_kernelINS0_14default_configENS1_36segmented_radix_sort_config_selectorI6__halflEEZNS1_25segmented_radix_sort_implIS3_Lb0EPKS5_PS5_PKlPlN2at6native12_GLOBAL__N_18offset_tEEE10hipError_tPvRmT1_PNSt15iterator_traitsISL_E10value_typeET2_T3_PNSM_ISR_E10value_typeET4_jRbjT5_SX_jjP12ihipStream_tbEUlT_E2_NS1_11comp_targetILNS1_3genE5ELNS1_11target_archE942ELNS1_3gpuE9ELNS1_3repE0EEENS1_30default_config_static_selectorELNS0_4arch9wavefront6targetE0EEEvSL_.num_vgpr, 0
	.set _ZN7rocprim17ROCPRIM_400000_NS6detail17trampoline_kernelINS0_14default_configENS1_36segmented_radix_sort_config_selectorI6__halflEEZNS1_25segmented_radix_sort_implIS3_Lb0EPKS5_PS5_PKlPlN2at6native12_GLOBAL__N_18offset_tEEE10hipError_tPvRmT1_PNSt15iterator_traitsISL_E10value_typeET2_T3_PNSM_ISR_E10value_typeET4_jRbjT5_SX_jjP12ihipStream_tbEUlT_E2_NS1_11comp_targetILNS1_3genE5ELNS1_11target_archE942ELNS1_3gpuE9ELNS1_3repE0EEENS1_30default_config_static_selectorELNS0_4arch9wavefront6targetE0EEEvSL_.num_agpr, 0
	.set _ZN7rocprim17ROCPRIM_400000_NS6detail17trampoline_kernelINS0_14default_configENS1_36segmented_radix_sort_config_selectorI6__halflEEZNS1_25segmented_radix_sort_implIS3_Lb0EPKS5_PS5_PKlPlN2at6native12_GLOBAL__N_18offset_tEEE10hipError_tPvRmT1_PNSt15iterator_traitsISL_E10value_typeET2_T3_PNSM_ISR_E10value_typeET4_jRbjT5_SX_jjP12ihipStream_tbEUlT_E2_NS1_11comp_targetILNS1_3genE5ELNS1_11target_archE942ELNS1_3gpuE9ELNS1_3repE0EEENS1_30default_config_static_selectorELNS0_4arch9wavefront6targetE0EEEvSL_.numbered_sgpr, 0
	.set _ZN7rocprim17ROCPRIM_400000_NS6detail17trampoline_kernelINS0_14default_configENS1_36segmented_radix_sort_config_selectorI6__halflEEZNS1_25segmented_radix_sort_implIS3_Lb0EPKS5_PS5_PKlPlN2at6native12_GLOBAL__N_18offset_tEEE10hipError_tPvRmT1_PNSt15iterator_traitsISL_E10value_typeET2_T3_PNSM_ISR_E10value_typeET4_jRbjT5_SX_jjP12ihipStream_tbEUlT_E2_NS1_11comp_targetILNS1_3genE5ELNS1_11target_archE942ELNS1_3gpuE9ELNS1_3repE0EEENS1_30default_config_static_selectorELNS0_4arch9wavefront6targetE0EEEvSL_.num_named_barrier, 0
	.set _ZN7rocprim17ROCPRIM_400000_NS6detail17trampoline_kernelINS0_14default_configENS1_36segmented_radix_sort_config_selectorI6__halflEEZNS1_25segmented_radix_sort_implIS3_Lb0EPKS5_PS5_PKlPlN2at6native12_GLOBAL__N_18offset_tEEE10hipError_tPvRmT1_PNSt15iterator_traitsISL_E10value_typeET2_T3_PNSM_ISR_E10value_typeET4_jRbjT5_SX_jjP12ihipStream_tbEUlT_E2_NS1_11comp_targetILNS1_3genE5ELNS1_11target_archE942ELNS1_3gpuE9ELNS1_3repE0EEENS1_30default_config_static_selectorELNS0_4arch9wavefront6targetE0EEEvSL_.private_seg_size, 0
	.set _ZN7rocprim17ROCPRIM_400000_NS6detail17trampoline_kernelINS0_14default_configENS1_36segmented_radix_sort_config_selectorI6__halflEEZNS1_25segmented_radix_sort_implIS3_Lb0EPKS5_PS5_PKlPlN2at6native12_GLOBAL__N_18offset_tEEE10hipError_tPvRmT1_PNSt15iterator_traitsISL_E10value_typeET2_T3_PNSM_ISR_E10value_typeET4_jRbjT5_SX_jjP12ihipStream_tbEUlT_E2_NS1_11comp_targetILNS1_3genE5ELNS1_11target_archE942ELNS1_3gpuE9ELNS1_3repE0EEENS1_30default_config_static_selectorELNS0_4arch9wavefront6targetE0EEEvSL_.uses_vcc, 0
	.set _ZN7rocprim17ROCPRIM_400000_NS6detail17trampoline_kernelINS0_14default_configENS1_36segmented_radix_sort_config_selectorI6__halflEEZNS1_25segmented_radix_sort_implIS3_Lb0EPKS5_PS5_PKlPlN2at6native12_GLOBAL__N_18offset_tEEE10hipError_tPvRmT1_PNSt15iterator_traitsISL_E10value_typeET2_T3_PNSM_ISR_E10value_typeET4_jRbjT5_SX_jjP12ihipStream_tbEUlT_E2_NS1_11comp_targetILNS1_3genE5ELNS1_11target_archE942ELNS1_3gpuE9ELNS1_3repE0EEENS1_30default_config_static_selectorELNS0_4arch9wavefront6targetE0EEEvSL_.uses_flat_scratch, 0
	.set _ZN7rocprim17ROCPRIM_400000_NS6detail17trampoline_kernelINS0_14default_configENS1_36segmented_radix_sort_config_selectorI6__halflEEZNS1_25segmented_radix_sort_implIS3_Lb0EPKS5_PS5_PKlPlN2at6native12_GLOBAL__N_18offset_tEEE10hipError_tPvRmT1_PNSt15iterator_traitsISL_E10value_typeET2_T3_PNSM_ISR_E10value_typeET4_jRbjT5_SX_jjP12ihipStream_tbEUlT_E2_NS1_11comp_targetILNS1_3genE5ELNS1_11target_archE942ELNS1_3gpuE9ELNS1_3repE0EEENS1_30default_config_static_selectorELNS0_4arch9wavefront6targetE0EEEvSL_.has_dyn_sized_stack, 0
	.set _ZN7rocprim17ROCPRIM_400000_NS6detail17trampoline_kernelINS0_14default_configENS1_36segmented_radix_sort_config_selectorI6__halflEEZNS1_25segmented_radix_sort_implIS3_Lb0EPKS5_PS5_PKlPlN2at6native12_GLOBAL__N_18offset_tEEE10hipError_tPvRmT1_PNSt15iterator_traitsISL_E10value_typeET2_T3_PNSM_ISR_E10value_typeET4_jRbjT5_SX_jjP12ihipStream_tbEUlT_E2_NS1_11comp_targetILNS1_3genE5ELNS1_11target_archE942ELNS1_3gpuE9ELNS1_3repE0EEENS1_30default_config_static_selectorELNS0_4arch9wavefront6targetE0EEEvSL_.has_recursion, 0
	.set _ZN7rocprim17ROCPRIM_400000_NS6detail17trampoline_kernelINS0_14default_configENS1_36segmented_radix_sort_config_selectorI6__halflEEZNS1_25segmented_radix_sort_implIS3_Lb0EPKS5_PS5_PKlPlN2at6native12_GLOBAL__N_18offset_tEEE10hipError_tPvRmT1_PNSt15iterator_traitsISL_E10value_typeET2_T3_PNSM_ISR_E10value_typeET4_jRbjT5_SX_jjP12ihipStream_tbEUlT_E2_NS1_11comp_targetILNS1_3genE5ELNS1_11target_archE942ELNS1_3gpuE9ELNS1_3repE0EEENS1_30default_config_static_selectorELNS0_4arch9wavefront6targetE0EEEvSL_.has_indirect_call, 0
	.section	.AMDGPU.csdata,"",@progbits
; Kernel info:
; codeLenInByte = 0
; TotalNumSgprs: 0
; NumVgprs: 0
; ScratchSize: 0
; MemoryBound: 0
; FloatMode: 240
; IeeeMode: 1
; LDSByteSize: 0 bytes/workgroup (compile time only)
; SGPRBlocks: 0
; VGPRBlocks: 0
; NumSGPRsForWavesPerEU: 1
; NumVGPRsForWavesPerEU: 1
; Occupancy: 16
; WaveLimiterHint : 0
; COMPUTE_PGM_RSRC2:SCRATCH_EN: 0
; COMPUTE_PGM_RSRC2:USER_SGPR: 2
; COMPUTE_PGM_RSRC2:TRAP_HANDLER: 0
; COMPUTE_PGM_RSRC2:TGID_X_EN: 1
; COMPUTE_PGM_RSRC2:TGID_Y_EN: 0
; COMPUTE_PGM_RSRC2:TGID_Z_EN: 0
; COMPUTE_PGM_RSRC2:TIDIG_COMP_CNT: 0
	.section	.text._ZN7rocprim17ROCPRIM_400000_NS6detail17trampoline_kernelINS0_14default_configENS1_36segmented_radix_sort_config_selectorI6__halflEEZNS1_25segmented_radix_sort_implIS3_Lb0EPKS5_PS5_PKlPlN2at6native12_GLOBAL__N_18offset_tEEE10hipError_tPvRmT1_PNSt15iterator_traitsISL_E10value_typeET2_T3_PNSM_ISR_E10value_typeET4_jRbjT5_SX_jjP12ihipStream_tbEUlT_E2_NS1_11comp_targetILNS1_3genE4ELNS1_11target_archE910ELNS1_3gpuE8ELNS1_3repE0EEENS1_30default_config_static_selectorELNS0_4arch9wavefront6targetE0EEEvSL_,"axG",@progbits,_ZN7rocprim17ROCPRIM_400000_NS6detail17trampoline_kernelINS0_14default_configENS1_36segmented_radix_sort_config_selectorI6__halflEEZNS1_25segmented_radix_sort_implIS3_Lb0EPKS5_PS5_PKlPlN2at6native12_GLOBAL__N_18offset_tEEE10hipError_tPvRmT1_PNSt15iterator_traitsISL_E10value_typeET2_T3_PNSM_ISR_E10value_typeET4_jRbjT5_SX_jjP12ihipStream_tbEUlT_E2_NS1_11comp_targetILNS1_3genE4ELNS1_11target_archE910ELNS1_3gpuE8ELNS1_3repE0EEENS1_30default_config_static_selectorELNS0_4arch9wavefront6targetE0EEEvSL_,comdat
	.globl	_ZN7rocprim17ROCPRIM_400000_NS6detail17trampoline_kernelINS0_14default_configENS1_36segmented_radix_sort_config_selectorI6__halflEEZNS1_25segmented_radix_sort_implIS3_Lb0EPKS5_PS5_PKlPlN2at6native12_GLOBAL__N_18offset_tEEE10hipError_tPvRmT1_PNSt15iterator_traitsISL_E10value_typeET2_T3_PNSM_ISR_E10value_typeET4_jRbjT5_SX_jjP12ihipStream_tbEUlT_E2_NS1_11comp_targetILNS1_3genE4ELNS1_11target_archE910ELNS1_3gpuE8ELNS1_3repE0EEENS1_30default_config_static_selectorELNS0_4arch9wavefront6targetE0EEEvSL_ ; -- Begin function _ZN7rocprim17ROCPRIM_400000_NS6detail17trampoline_kernelINS0_14default_configENS1_36segmented_radix_sort_config_selectorI6__halflEEZNS1_25segmented_radix_sort_implIS3_Lb0EPKS5_PS5_PKlPlN2at6native12_GLOBAL__N_18offset_tEEE10hipError_tPvRmT1_PNSt15iterator_traitsISL_E10value_typeET2_T3_PNSM_ISR_E10value_typeET4_jRbjT5_SX_jjP12ihipStream_tbEUlT_E2_NS1_11comp_targetILNS1_3genE4ELNS1_11target_archE910ELNS1_3gpuE8ELNS1_3repE0EEENS1_30default_config_static_selectorELNS0_4arch9wavefront6targetE0EEEvSL_
	.p2align	8
	.type	_ZN7rocprim17ROCPRIM_400000_NS6detail17trampoline_kernelINS0_14default_configENS1_36segmented_radix_sort_config_selectorI6__halflEEZNS1_25segmented_radix_sort_implIS3_Lb0EPKS5_PS5_PKlPlN2at6native12_GLOBAL__N_18offset_tEEE10hipError_tPvRmT1_PNSt15iterator_traitsISL_E10value_typeET2_T3_PNSM_ISR_E10value_typeET4_jRbjT5_SX_jjP12ihipStream_tbEUlT_E2_NS1_11comp_targetILNS1_3genE4ELNS1_11target_archE910ELNS1_3gpuE8ELNS1_3repE0EEENS1_30default_config_static_selectorELNS0_4arch9wavefront6targetE0EEEvSL_,@function
_ZN7rocprim17ROCPRIM_400000_NS6detail17trampoline_kernelINS0_14default_configENS1_36segmented_radix_sort_config_selectorI6__halflEEZNS1_25segmented_radix_sort_implIS3_Lb0EPKS5_PS5_PKlPlN2at6native12_GLOBAL__N_18offset_tEEE10hipError_tPvRmT1_PNSt15iterator_traitsISL_E10value_typeET2_T3_PNSM_ISR_E10value_typeET4_jRbjT5_SX_jjP12ihipStream_tbEUlT_E2_NS1_11comp_targetILNS1_3genE4ELNS1_11target_archE910ELNS1_3gpuE8ELNS1_3repE0EEENS1_30default_config_static_selectorELNS0_4arch9wavefront6targetE0EEEvSL_: ; @_ZN7rocprim17ROCPRIM_400000_NS6detail17trampoline_kernelINS0_14default_configENS1_36segmented_radix_sort_config_selectorI6__halflEEZNS1_25segmented_radix_sort_implIS3_Lb0EPKS5_PS5_PKlPlN2at6native12_GLOBAL__N_18offset_tEEE10hipError_tPvRmT1_PNSt15iterator_traitsISL_E10value_typeET2_T3_PNSM_ISR_E10value_typeET4_jRbjT5_SX_jjP12ihipStream_tbEUlT_E2_NS1_11comp_targetILNS1_3genE4ELNS1_11target_archE910ELNS1_3gpuE8ELNS1_3repE0EEENS1_30default_config_static_selectorELNS0_4arch9wavefront6targetE0EEEvSL_
; %bb.0:
	.section	.rodata,"a",@progbits
	.p2align	6, 0x0
	.amdhsa_kernel _ZN7rocprim17ROCPRIM_400000_NS6detail17trampoline_kernelINS0_14default_configENS1_36segmented_radix_sort_config_selectorI6__halflEEZNS1_25segmented_radix_sort_implIS3_Lb0EPKS5_PS5_PKlPlN2at6native12_GLOBAL__N_18offset_tEEE10hipError_tPvRmT1_PNSt15iterator_traitsISL_E10value_typeET2_T3_PNSM_ISR_E10value_typeET4_jRbjT5_SX_jjP12ihipStream_tbEUlT_E2_NS1_11comp_targetILNS1_3genE4ELNS1_11target_archE910ELNS1_3gpuE8ELNS1_3repE0EEENS1_30default_config_static_selectorELNS0_4arch9wavefront6targetE0EEEvSL_
		.amdhsa_group_segment_fixed_size 0
		.amdhsa_private_segment_fixed_size 0
		.amdhsa_kernarg_size 80
		.amdhsa_user_sgpr_count 2
		.amdhsa_user_sgpr_dispatch_ptr 0
		.amdhsa_user_sgpr_queue_ptr 0
		.amdhsa_user_sgpr_kernarg_segment_ptr 1
		.amdhsa_user_sgpr_dispatch_id 0
		.amdhsa_user_sgpr_private_segment_size 0
		.amdhsa_wavefront_size32 1
		.amdhsa_uses_dynamic_stack 0
		.amdhsa_enable_private_segment 0
		.amdhsa_system_sgpr_workgroup_id_x 1
		.amdhsa_system_sgpr_workgroup_id_y 0
		.amdhsa_system_sgpr_workgroup_id_z 0
		.amdhsa_system_sgpr_workgroup_info 0
		.amdhsa_system_vgpr_workitem_id 0
		.amdhsa_next_free_vgpr 1
		.amdhsa_next_free_sgpr 1
		.amdhsa_reserve_vcc 0
		.amdhsa_float_round_mode_32 0
		.amdhsa_float_round_mode_16_64 0
		.amdhsa_float_denorm_mode_32 3
		.amdhsa_float_denorm_mode_16_64 3
		.amdhsa_fp16_overflow 0
		.amdhsa_workgroup_processor_mode 1
		.amdhsa_memory_ordered 1
		.amdhsa_forward_progress 1
		.amdhsa_inst_pref_size 0
		.amdhsa_round_robin_scheduling 0
		.amdhsa_exception_fp_ieee_invalid_op 0
		.amdhsa_exception_fp_denorm_src 0
		.amdhsa_exception_fp_ieee_div_zero 0
		.amdhsa_exception_fp_ieee_overflow 0
		.amdhsa_exception_fp_ieee_underflow 0
		.amdhsa_exception_fp_ieee_inexact 0
		.amdhsa_exception_int_div_zero 0
	.end_amdhsa_kernel
	.section	.text._ZN7rocprim17ROCPRIM_400000_NS6detail17trampoline_kernelINS0_14default_configENS1_36segmented_radix_sort_config_selectorI6__halflEEZNS1_25segmented_radix_sort_implIS3_Lb0EPKS5_PS5_PKlPlN2at6native12_GLOBAL__N_18offset_tEEE10hipError_tPvRmT1_PNSt15iterator_traitsISL_E10value_typeET2_T3_PNSM_ISR_E10value_typeET4_jRbjT5_SX_jjP12ihipStream_tbEUlT_E2_NS1_11comp_targetILNS1_3genE4ELNS1_11target_archE910ELNS1_3gpuE8ELNS1_3repE0EEENS1_30default_config_static_selectorELNS0_4arch9wavefront6targetE0EEEvSL_,"axG",@progbits,_ZN7rocprim17ROCPRIM_400000_NS6detail17trampoline_kernelINS0_14default_configENS1_36segmented_radix_sort_config_selectorI6__halflEEZNS1_25segmented_radix_sort_implIS3_Lb0EPKS5_PS5_PKlPlN2at6native12_GLOBAL__N_18offset_tEEE10hipError_tPvRmT1_PNSt15iterator_traitsISL_E10value_typeET2_T3_PNSM_ISR_E10value_typeET4_jRbjT5_SX_jjP12ihipStream_tbEUlT_E2_NS1_11comp_targetILNS1_3genE4ELNS1_11target_archE910ELNS1_3gpuE8ELNS1_3repE0EEENS1_30default_config_static_selectorELNS0_4arch9wavefront6targetE0EEEvSL_,comdat
.Lfunc_end1874:
	.size	_ZN7rocprim17ROCPRIM_400000_NS6detail17trampoline_kernelINS0_14default_configENS1_36segmented_radix_sort_config_selectorI6__halflEEZNS1_25segmented_radix_sort_implIS3_Lb0EPKS5_PS5_PKlPlN2at6native12_GLOBAL__N_18offset_tEEE10hipError_tPvRmT1_PNSt15iterator_traitsISL_E10value_typeET2_T3_PNSM_ISR_E10value_typeET4_jRbjT5_SX_jjP12ihipStream_tbEUlT_E2_NS1_11comp_targetILNS1_3genE4ELNS1_11target_archE910ELNS1_3gpuE8ELNS1_3repE0EEENS1_30default_config_static_selectorELNS0_4arch9wavefront6targetE0EEEvSL_, .Lfunc_end1874-_ZN7rocprim17ROCPRIM_400000_NS6detail17trampoline_kernelINS0_14default_configENS1_36segmented_radix_sort_config_selectorI6__halflEEZNS1_25segmented_radix_sort_implIS3_Lb0EPKS5_PS5_PKlPlN2at6native12_GLOBAL__N_18offset_tEEE10hipError_tPvRmT1_PNSt15iterator_traitsISL_E10value_typeET2_T3_PNSM_ISR_E10value_typeET4_jRbjT5_SX_jjP12ihipStream_tbEUlT_E2_NS1_11comp_targetILNS1_3genE4ELNS1_11target_archE910ELNS1_3gpuE8ELNS1_3repE0EEENS1_30default_config_static_selectorELNS0_4arch9wavefront6targetE0EEEvSL_
                                        ; -- End function
	.set _ZN7rocprim17ROCPRIM_400000_NS6detail17trampoline_kernelINS0_14default_configENS1_36segmented_radix_sort_config_selectorI6__halflEEZNS1_25segmented_radix_sort_implIS3_Lb0EPKS5_PS5_PKlPlN2at6native12_GLOBAL__N_18offset_tEEE10hipError_tPvRmT1_PNSt15iterator_traitsISL_E10value_typeET2_T3_PNSM_ISR_E10value_typeET4_jRbjT5_SX_jjP12ihipStream_tbEUlT_E2_NS1_11comp_targetILNS1_3genE4ELNS1_11target_archE910ELNS1_3gpuE8ELNS1_3repE0EEENS1_30default_config_static_selectorELNS0_4arch9wavefront6targetE0EEEvSL_.num_vgpr, 0
	.set _ZN7rocprim17ROCPRIM_400000_NS6detail17trampoline_kernelINS0_14default_configENS1_36segmented_radix_sort_config_selectorI6__halflEEZNS1_25segmented_radix_sort_implIS3_Lb0EPKS5_PS5_PKlPlN2at6native12_GLOBAL__N_18offset_tEEE10hipError_tPvRmT1_PNSt15iterator_traitsISL_E10value_typeET2_T3_PNSM_ISR_E10value_typeET4_jRbjT5_SX_jjP12ihipStream_tbEUlT_E2_NS1_11comp_targetILNS1_3genE4ELNS1_11target_archE910ELNS1_3gpuE8ELNS1_3repE0EEENS1_30default_config_static_selectorELNS0_4arch9wavefront6targetE0EEEvSL_.num_agpr, 0
	.set _ZN7rocprim17ROCPRIM_400000_NS6detail17trampoline_kernelINS0_14default_configENS1_36segmented_radix_sort_config_selectorI6__halflEEZNS1_25segmented_radix_sort_implIS3_Lb0EPKS5_PS5_PKlPlN2at6native12_GLOBAL__N_18offset_tEEE10hipError_tPvRmT1_PNSt15iterator_traitsISL_E10value_typeET2_T3_PNSM_ISR_E10value_typeET4_jRbjT5_SX_jjP12ihipStream_tbEUlT_E2_NS1_11comp_targetILNS1_3genE4ELNS1_11target_archE910ELNS1_3gpuE8ELNS1_3repE0EEENS1_30default_config_static_selectorELNS0_4arch9wavefront6targetE0EEEvSL_.numbered_sgpr, 0
	.set _ZN7rocprim17ROCPRIM_400000_NS6detail17trampoline_kernelINS0_14default_configENS1_36segmented_radix_sort_config_selectorI6__halflEEZNS1_25segmented_radix_sort_implIS3_Lb0EPKS5_PS5_PKlPlN2at6native12_GLOBAL__N_18offset_tEEE10hipError_tPvRmT1_PNSt15iterator_traitsISL_E10value_typeET2_T3_PNSM_ISR_E10value_typeET4_jRbjT5_SX_jjP12ihipStream_tbEUlT_E2_NS1_11comp_targetILNS1_3genE4ELNS1_11target_archE910ELNS1_3gpuE8ELNS1_3repE0EEENS1_30default_config_static_selectorELNS0_4arch9wavefront6targetE0EEEvSL_.num_named_barrier, 0
	.set _ZN7rocprim17ROCPRIM_400000_NS6detail17trampoline_kernelINS0_14default_configENS1_36segmented_radix_sort_config_selectorI6__halflEEZNS1_25segmented_radix_sort_implIS3_Lb0EPKS5_PS5_PKlPlN2at6native12_GLOBAL__N_18offset_tEEE10hipError_tPvRmT1_PNSt15iterator_traitsISL_E10value_typeET2_T3_PNSM_ISR_E10value_typeET4_jRbjT5_SX_jjP12ihipStream_tbEUlT_E2_NS1_11comp_targetILNS1_3genE4ELNS1_11target_archE910ELNS1_3gpuE8ELNS1_3repE0EEENS1_30default_config_static_selectorELNS0_4arch9wavefront6targetE0EEEvSL_.private_seg_size, 0
	.set _ZN7rocprim17ROCPRIM_400000_NS6detail17trampoline_kernelINS0_14default_configENS1_36segmented_radix_sort_config_selectorI6__halflEEZNS1_25segmented_radix_sort_implIS3_Lb0EPKS5_PS5_PKlPlN2at6native12_GLOBAL__N_18offset_tEEE10hipError_tPvRmT1_PNSt15iterator_traitsISL_E10value_typeET2_T3_PNSM_ISR_E10value_typeET4_jRbjT5_SX_jjP12ihipStream_tbEUlT_E2_NS1_11comp_targetILNS1_3genE4ELNS1_11target_archE910ELNS1_3gpuE8ELNS1_3repE0EEENS1_30default_config_static_selectorELNS0_4arch9wavefront6targetE0EEEvSL_.uses_vcc, 0
	.set _ZN7rocprim17ROCPRIM_400000_NS6detail17trampoline_kernelINS0_14default_configENS1_36segmented_radix_sort_config_selectorI6__halflEEZNS1_25segmented_radix_sort_implIS3_Lb0EPKS5_PS5_PKlPlN2at6native12_GLOBAL__N_18offset_tEEE10hipError_tPvRmT1_PNSt15iterator_traitsISL_E10value_typeET2_T3_PNSM_ISR_E10value_typeET4_jRbjT5_SX_jjP12ihipStream_tbEUlT_E2_NS1_11comp_targetILNS1_3genE4ELNS1_11target_archE910ELNS1_3gpuE8ELNS1_3repE0EEENS1_30default_config_static_selectorELNS0_4arch9wavefront6targetE0EEEvSL_.uses_flat_scratch, 0
	.set _ZN7rocprim17ROCPRIM_400000_NS6detail17trampoline_kernelINS0_14default_configENS1_36segmented_radix_sort_config_selectorI6__halflEEZNS1_25segmented_radix_sort_implIS3_Lb0EPKS5_PS5_PKlPlN2at6native12_GLOBAL__N_18offset_tEEE10hipError_tPvRmT1_PNSt15iterator_traitsISL_E10value_typeET2_T3_PNSM_ISR_E10value_typeET4_jRbjT5_SX_jjP12ihipStream_tbEUlT_E2_NS1_11comp_targetILNS1_3genE4ELNS1_11target_archE910ELNS1_3gpuE8ELNS1_3repE0EEENS1_30default_config_static_selectorELNS0_4arch9wavefront6targetE0EEEvSL_.has_dyn_sized_stack, 0
	.set _ZN7rocprim17ROCPRIM_400000_NS6detail17trampoline_kernelINS0_14default_configENS1_36segmented_radix_sort_config_selectorI6__halflEEZNS1_25segmented_radix_sort_implIS3_Lb0EPKS5_PS5_PKlPlN2at6native12_GLOBAL__N_18offset_tEEE10hipError_tPvRmT1_PNSt15iterator_traitsISL_E10value_typeET2_T3_PNSM_ISR_E10value_typeET4_jRbjT5_SX_jjP12ihipStream_tbEUlT_E2_NS1_11comp_targetILNS1_3genE4ELNS1_11target_archE910ELNS1_3gpuE8ELNS1_3repE0EEENS1_30default_config_static_selectorELNS0_4arch9wavefront6targetE0EEEvSL_.has_recursion, 0
	.set _ZN7rocprim17ROCPRIM_400000_NS6detail17trampoline_kernelINS0_14default_configENS1_36segmented_radix_sort_config_selectorI6__halflEEZNS1_25segmented_radix_sort_implIS3_Lb0EPKS5_PS5_PKlPlN2at6native12_GLOBAL__N_18offset_tEEE10hipError_tPvRmT1_PNSt15iterator_traitsISL_E10value_typeET2_T3_PNSM_ISR_E10value_typeET4_jRbjT5_SX_jjP12ihipStream_tbEUlT_E2_NS1_11comp_targetILNS1_3genE4ELNS1_11target_archE910ELNS1_3gpuE8ELNS1_3repE0EEENS1_30default_config_static_selectorELNS0_4arch9wavefront6targetE0EEEvSL_.has_indirect_call, 0
	.section	.AMDGPU.csdata,"",@progbits
; Kernel info:
; codeLenInByte = 0
; TotalNumSgprs: 0
; NumVgprs: 0
; ScratchSize: 0
; MemoryBound: 0
; FloatMode: 240
; IeeeMode: 1
; LDSByteSize: 0 bytes/workgroup (compile time only)
; SGPRBlocks: 0
; VGPRBlocks: 0
; NumSGPRsForWavesPerEU: 1
; NumVGPRsForWavesPerEU: 1
; Occupancy: 16
; WaveLimiterHint : 0
; COMPUTE_PGM_RSRC2:SCRATCH_EN: 0
; COMPUTE_PGM_RSRC2:USER_SGPR: 2
; COMPUTE_PGM_RSRC2:TRAP_HANDLER: 0
; COMPUTE_PGM_RSRC2:TGID_X_EN: 1
; COMPUTE_PGM_RSRC2:TGID_Y_EN: 0
; COMPUTE_PGM_RSRC2:TGID_Z_EN: 0
; COMPUTE_PGM_RSRC2:TIDIG_COMP_CNT: 0
	.section	.text._ZN7rocprim17ROCPRIM_400000_NS6detail17trampoline_kernelINS0_14default_configENS1_36segmented_radix_sort_config_selectorI6__halflEEZNS1_25segmented_radix_sort_implIS3_Lb0EPKS5_PS5_PKlPlN2at6native12_GLOBAL__N_18offset_tEEE10hipError_tPvRmT1_PNSt15iterator_traitsISL_E10value_typeET2_T3_PNSM_ISR_E10value_typeET4_jRbjT5_SX_jjP12ihipStream_tbEUlT_E2_NS1_11comp_targetILNS1_3genE3ELNS1_11target_archE908ELNS1_3gpuE7ELNS1_3repE0EEENS1_30default_config_static_selectorELNS0_4arch9wavefront6targetE0EEEvSL_,"axG",@progbits,_ZN7rocprim17ROCPRIM_400000_NS6detail17trampoline_kernelINS0_14default_configENS1_36segmented_radix_sort_config_selectorI6__halflEEZNS1_25segmented_radix_sort_implIS3_Lb0EPKS5_PS5_PKlPlN2at6native12_GLOBAL__N_18offset_tEEE10hipError_tPvRmT1_PNSt15iterator_traitsISL_E10value_typeET2_T3_PNSM_ISR_E10value_typeET4_jRbjT5_SX_jjP12ihipStream_tbEUlT_E2_NS1_11comp_targetILNS1_3genE3ELNS1_11target_archE908ELNS1_3gpuE7ELNS1_3repE0EEENS1_30default_config_static_selectorELNS0_4arch9wavefront6targetE0EEEvSL_,comdat
	.globl	_ZN7rocprim17ROCPRIM_400000_NS6detail17trampoline_kernelINS0_14default_configENS1_36segmented_radix_sort_config_selectorI6__halflEEZNS1_25segmented_radix_sort_implIS3_Lb0EPKS5_PS5_PKlPlN2at6native12_GLOBAL__N_18offset_tEEE10hipError_tPvRmT1_PNSt15iterator_traitsISL_E10value_typeET2_T3_PNSM_ISR_E10value_typeET4_jRbjT5_SX_jjP12ihipStream_tbEUlT_E2_NS1_11comp_targetILNS1_3genE3ELNS1_11target_archE908ELNS1_3gpuE7ELNS1_3repE0EEENS1_30default_config_static_selectorELNS0_4arch9wavefront6targetE0EEEvSL_ ; -- Begin function _ZN7rocprim17ROCPRIM_400000_NS6detail17trampoline_kernelINS0_14default_configENS1_36segmented_radix_sort_config_selectorI6__halflEEZNS1_25segmented_radix_sort_implIS3_Lb0EPKS5_PS5_PKlPlN2at6native12_GLOBAL__N_18offset_tEEE10hipError_tPvRmT1_PNSt15iterator_traitsISL_E10value_typeET2_T3_PNSM_ISR_E10value_typeET4_jRbjT5_SX_jjP12ihipStream_tbEUlT_E2_NS1_11comp_targetILNS1_3genE3ELNS1_11target_archE908ELNS1_3gpuE7ELNS1_3repE0EEENS1_30default_config_static_selectorELNS0_4arch9wavefront6targetE0EEEvSL_
	.p2align	8
	.type	_ZN7rocprim17ROCPRIM_400000_NS6detail17trampoline_kernelINS0_14default_configENS1_36segmented_radix_sort_config_selectorI6__halflEEZNS1_25segmented_radix_sort_implIS3_Lb0EPKS5_PS5_PKlPlN2at6native12_GLOBAL__N_18offset_tEEE10hipError_tPvRmT1_PNSt15iterator_traitsISL_E10value_typeET2_T3_PNSM_ISR_E10value_typeET4_jRbjT5_SX_jjP12ihipStream_tbEUlT_E2_NS1_11comp_targetILNS1_3genE3ELNS1_11target_archE908ELNS1_3gpuE7ELNS1_3repE0EEENS1_30default_config_static_selectorELNS0_4arch9wavefront6targetE0EEEvSL_,@function
_ZN7rocprim17ROCPRIM_400000_NS6detail17trampoline_kernelINS0_14default_configENS1_36segmented_radix_sort_config_selectorI6__halflEEZNS1_25segmented_radix_sort_implIS3_Lb0EPKS5_PS5_PKlPlN2at6native12_GLOBAL__N_18offset_tEEE10hipError_tPvRmT1_PNSt15iterator_traitsISL_E10value_typeET2_T3_PNSM_ISR_E10value_typeET4_jRbjT5_SX_jjP12ihipStream_tbEUlT_E2_NS1_11comp_targetILNS1_3genE3ELNS1_11target_archE908ELNS1_3gpuE7ELNS1_3repE0EEENS1_30default_config_static_selectorELNS0_4arch9wavefront6targetE0EEEvSL_: ; @_ZN7rocprim17ROCPRIM_400000_NS6detail17trampoline_kernelINS0_14default_configENS1_36segmented_radix_sort_config_selectorI6__halflEEZNS1_25segmented_radix_sort_implIS3_Lb0EPKS5_PS5_PKlPlN2at6native12_GLOBAL__N_18offset_tEEE10hipError_tPvRmT1_PNSt15iterator_traitsISL_E10value_typeET2_T3_PNSM_ISR_E10value_typeET4_jRbjT5_SX_jjP12ihipStream_tbEUlT_E2_NS1_11comp_targetILNS1_3genE3ELNS1_11target_archE908ELNS1_3gpuE7ELNS1_3repE0EEENS1_30default_config_static_selectorELNS0_4arch9wavefront6targetE0EEEvSL_
; %bb.0:
	.section	.rodata,"a",@progbits
	.p2align	6, 0x0
	.amdhsa_kernel _ZN7rocprim17ROCPRIM_400000_NS6detail17trampoline_kernelINS0_14default_configENS1_36segmented_radix_sort_config_selectorI6__halflEEZNS1_25segmented_radix_sort_implIS3_Lb0EPKS5_PS5_PKlPlN2at6native12_GLOBAL__N_18offset_tEEE10hipError_tPvRmT1_PNSt15iterator_traitsISL_E10value_typeET2_T3_PNSM_ISR_E10value_typeET4_jRbjT5_SX_jjP12ihipStream_tbEUlT_E2_NS1_11comp_targetILNS1_3genE3ELNS1_11target_archE908ELNS1_3gpuE7ELNS1_3repE0EEENS1_30default_config_static_selectorELNS0_4arch9wavefront6targetE0EEEvSL_
		.amdhsa_group_segment_fixed_size 0
		.amdhsa_private_segment_fixed_size 0
		.amdhsa_kernarg_size 80
		.amdhsa_user_sgpr_count 2
		.amdhsa_user_sgpr_dispatch_ptr 0
		.amdhsa_user_sgpr_queue_ptr 0
		.amdhsa_user_sgpr_kernarg_segment_ptr 1
		.amdhsa_user_sgpr_dispatch_id 0
		.amdhsa_user_sgpr_private_segment_size 0
		.amdhsa_wavefront_size32 1
		.amdhsa_uses_dynamic_stack 0
		.amdhsa_enable_private_segment 0
		.amdhsa_system_sgpr_workgroup_id_x 1
		.amdhsa_system_sgpr_workgroup_id_y 0
		.amdhsa_system_sgpr_workgroup_id_z 0
		.amdhsa_system_sgpr_workgroup_info 0
		.amdhsa_system_vgpr_workitem_id 0
		.amdhsa_next_free_vgpr 1
		.amdhsa_next_free_sgpr 1
		.amdhsa_reserve_vcc 0
		.amdhsa_float_round_mode_32 0
		.amdhsa_float_round_mode_16_64 0
		.amdhsa_float_denorm_mode_32 3
		.amdhsa_float_denorm_mode_16_64 3
		.amdhsa_fp16_overflow 0
		.amdhsa_workgroup_processor_mode 1
		.amdhsa_memory_ordered 1
		.amdhsa_forward_progress 1
		.amdhsa_inst_pref_size 0
		.amdhsa_round_robin_scheduling 0
		.amdhsa_exception_fp_ieee_invalid_op 0
		.amdhsa_exception_fp_denorm_src 0
		.amdhsa_exception_fp_ieee_div_zero 0
		.amdhsa_exception_fp_ieee_overflow 0
		.amdhsa_exception_fp_ieee_underflow 0
		.amdhsa_exception_fp_ieee_inexact 0
		.amdhsa_exception_int_div_zero 0
	.end_amdhsa_kernel
	.section	.text._ZN7rocprim17ROCPRIM_400000_NS6detail17trampoline_kernelINS0_14default_configENS1_36segmented_radix_sort_config_selectorI6__halflEEZNS1_25segmented_radix_sort_implIS3_Lb0EPKS5_PS5_PKlPlN2at6native12_GLOBAL__N_18offset_tEEE10hipError_tPvRmT1_PNSt15iterator_traitsISL_E10value_typeET2_T3_PNSM_ISR_E10value_typeET4_jRbjT5_SX_jjP12ihipStream_tbEUlT_E2_NS1_11comp_targetILNS1_3genE3ELNS1_11target_archE908ELNS1_3gpuE7ELNS1_3repE0EEENS1_30default_config_static_selectorELNS0_4arch9wavefront6targetE0EEEvSL_,"axG",@progbits,_ZN7rocprim17ROCPRIM_400000_NS6detail17trampoline_kernelINS0_14default_configENS1_36segmented_radix_sort_config_selectorI6__halflEEZNS1_25segmented_radix_sort_implIS3_Lb0EPKS5_PS5_PKlPlN2at6native12_GLOBAL__N_18offset_tEEE10hipError_tPvRmT1_PNSt15iterator_traitsISL_E10value_typeET2_T3_PNSM_ISR_E10value_typeET4_jRbjT5_SX_jjP12ihipStream_tbEUlT_E2_NS1_11comp_targetILNS1_3genE3ELNS1_11target_archE908ELNS1_3gpuE7ELNS1_3repE0EEENS1_30default_config_static_selectorELNS0_4arch9wavefront6targetE0EEEvSL_,comdat
.Lfunc_end1875:
	.size	_ZN7rocprim17ROCPRIM_400000_NS6detail17trampoline_kernelINS0_14default_configENS1_36segmented_radix_sort_config_selectorI6__halflEEZNS1_25segmented_radix_sort_implIS3_Lb0EPKS5_PS5_PKlPlN2at6native12_GLOBAL__N_18offset_tEEE10hipError_tPvRmT1_PNSt15iterator_traitsISL_E10value_typeET2_T3_PNSM_ISR_E10value_typeET4_jRbjT5_SX_jjP12ihipStream_tbEUlT_E2_NS1_11comp_targetILNS1_3genE3ELNS1_11target_archE908ELNS1_3gpuE7ELNS1_3repE0EEENS1_30default_config_static_selectorELNS0_4arch9wavefront6targetE0EEEvSL_, .Lfunc_end1875-_ZN7rocprim17ROCPRIM_400000_NS6detail17trampoline_kernelINS0_14default_configENS1_36segmented_radix_sort_config_selectorI6__halflEEZNS1_25segmented_radix_sort_implIS3_Lb0EPKS5_PS5_PKlPlN2at6native12_GLOBAL__N_18offset_tEEE10hipError_tPvRmT1_PNSt15iterator_traitsISL_E10value_typeET2_T3_PNSM_ISR_E10value_typeET4_jRbjT5_SX_jjP12ihipStream_tbEUlT_E2_NS1_11comp_targetILNS1_3genE3ELNS1_11target_archE908ELNS1_3gpuE7ELNS1_3repE0EEENS1_30default_config_static_selectorELNS0_4arch9wavefront6targetE0EEEvSL_
                                        ; -- End function
	.set _ZN7rocprim17ROCPRIM_400000_NS6detail17trampoline_kernelINS0_14default_configENS1_36segmented_radix_sort_config_selectorI6__halflEEZNS1_25segmented_radix_sort_implIS3_Lb0EPKS5_PS5_PKlPlN2at6native12_GLOBAL__N_18offset_tEEE10hipError_tPvRmT1_PNSt15iterator_traitsISL_E10value_typeET2_T3_PNSM_ISR_E10value_typeET4_jRbjT5_SX_jjP12ihipStream_tbEUlT_E2_NS1_11comp_targetILNS1_3genE3ELNS1_11target_archE908ELNS1_3gpuE7ELNS1_3repE0EEENS1_30default_config_static_selectorELNS0_4arch9wavefront6targetE0EEEvSL_.num_vgpr, 0
	.set _ZN7rocprim17ROCPRIM_400000_NS6detail17trampoline_kernelINS0_14default_configENS1_36segmented_radix_sort_config_selectorI6__halflEEZNS1_25segmented_radix_sort_implIS3_Lb0EPKS5_PS5_PKlPlN2at6native12_GLOBAL__N_18offset_tEEE10hipError_tPvRmT1_PNSt15iterator_traitsISL_E10value_typeET2_T3_PNSM_ISR_E10value_typeET4_jRbjT5_SX_jjP12ihipStream_tbEUlT_E2_NS1_11comp_targetILNS1_3genE3ELNS1_11target_archE908ELNS1_3gpuE7ELNS1_3repE0EEENS1_30default_config_static_selectorELNS0_4arch9wavefront6targetE0EEEvSL_.num_agpr, 0
	.set _ZN7rocprim17ROCPRIM_400000_NS6detail17trampoline_kernelINS0_14default_configENS1_36segmented_radix_sort_config_selectorI6__halflEEZNS1_25segmented_radix_sort_implIS3_Lb0EPKS5_PS5_PKlPlN2at6native12_GLOBAL__N_18offset_tEEE10hipError_tPvRmT1_PNSt15iterator_traitsISL_E10value_typeET2_T3_PNSM_ISR_E10value_typeET4_jRbjT5_SX_jjP12ihipStream_tbEUlT_E2_NS1_11comp_targetILNS1_3genE3ELNS1_11target_archE908ELNS1_3gpuE7ELNS1_3repE0EEENS1_30default_config_static_selectorELNS0_4arch9wavefront6targetE0EEEvSL_.numbered_sgpr, 0
	.set _ZN7rocprim17ROCPRIM_400000_NS6detail17trampoline_kernelINS0_14default_configENS1_36segmented_radix_sort_config_selectorI6__halflEEZNS1_25segmented_radix_sort_implIS3_Lb0EPKS5_PS5_PKlPlN2at6native12_GLOBAL__N_18offset_tEEE10hipError_tPvRmT1_PNSt15iterator_traitsISL_E10value_typeET2_T3_PNSM_ISR_E10value_typeET4_jRbjT5_SX_jjP12ihipStream_tbEUlT_E2_NS1_11comp_targetILNS1_3genE3ELNS1_11target_archE908ELNS1_3gpuE7ELNS1_3repE0EEENS1_30default_config_static_selectorELNS0_4arch9wavefront6targetE0EEEvSL_.num_named_barrier, 0
	.set _ZN7rocprim17ROCPRIM_400000_NS6detail17trampoline_kernelINS0_14default_configENS1_36segmented_radix_sort_config_selectorI6__halflEEZNS1_25segmented_radix_sort_implIS3_Lb0EPKS5_PS5_PKlPlN2at6native12_GLOBAL__N_18offset_tEEE10hipError_tPvRmT1_PNSt15iterator_traitsISL_E10value_typeET2_T3_PNSM_ISR_E10value_typeET4_jRbjT5_SX_jjP12ihipStream_tbEUlT_E2_NS1_11comp_targetILNS1_3genE3ELNS1_11target_archE908ELNS1_3gpuE7ELNS1_3repE0EEENS1_30default_config_static_selectorELNS0_4arch9wavefront6targetE0EEEvSL_.private_seg_size, 0
	.set _ZN7rocprim17ROCPRIM_400000_NS6detail17trampoline_kernelINS0_14default_configENS1_36segmented_radix_sort_config_selectorI6__halflEEZNS1_25segmented_radix_sort_implIS3_Lb0EPKS5_PS5_PKlPlN2at6native12_GLOBAL__N_18offset_tEEE10hipError_tPvRmT1_PNSt15iterator_traitsISL_E10value_typeET2_T3_PNSM_ISR_E10value_typeET4_jRbjT5_SX_jjP12ihipStream_tbEUlT_E2_NS1_11comp_targetILNS1_3genE3ELNS1_11target_archE908ELNS1_3gpuE7ELNS1_3repE0EEENS1_30default_config_static_selectorELNS0_4arch9wavefront6targetE0EEEvSL_.uses_vcc, 0
	.set _ZN7rocprim17ROCPRIM_400000_NS6detail17trampoline_kernelINS0_14default_configENS1_36segmented_radix_sort_config_selectorI6__halflEEZNS1_25segmented_radix_sort_implIS3_Lb0EPKS5_PS5_PKlPlN2at6native12_GLOBAL__N_18offset_tEEE10hipError_tPvRmT1_PNSt15iterator_traitsISL_E10value_typeET2_T3_PNSM_ISR_E10value_typeET4_jRbjT5_SX_jjP12ihipStream_tbEUlT_E2_NS1_11comp_targetILNS1_3genE3ELNS1_11target_archE908ELNS1_3gpuE7ELNS1_3repE0EEENS1_30default_config_static_selectorELNS0_4arch9wavefront6targetE0EEEvSL_.uses_flat_scratch, 0
	.set _ZN7rocprim17ROCPRIM_400000_NS6detail17trampoline_kernelINS0_14default_configENS1_36segmented_radix_sort_config_selectorI6__halflEEZNS1_25segmented_radix_sort_implIS3_Lb0EPKS5_PS5_PKlPlN2at6native12_GLOBAL__N_18offset_tEEE10hipError_tPvRmT1_PNSt15iterator_traitsISL_E10value_typeET2_T3_PNSM_ISR_E10value_typeET4_jRbjT5_SX_jjP12ihipStream_tbEUlT_E2_NS1_11comp_targetILNS1_3genE3ELNS1_11target_archE908ELNS1_3gpuE7ELNS1_3repE0EEENS1_30default_config_static_selectorELNS0_4arch9wavefront6targetE0EEEvSL_.has_dyn_sized_stack, 0
	.set _ZN7rocprim17ROCPRIM_400000_NS6detail17trampoline_kernelINS0_14default_configENS1_36segmented_radix_sort_config_selectorI6__halflEEZNS1_25segmented_radix_sort_implIS3_Lb0EPKS5_PS5_PKlPlN2at6native12_GLOBAL__N_18offset_tEEE10hipError_tPvRmT1_PNSt15iterator_traitsISL_E10value_typeET2_T3_PNSM_ISR_E10value_typeET4_jRbjT5_SX_jjP12ihipStream_tbEUlT_E2_NS1_11comp_targetILNS1_3genE3ELNS1_11target_archE908ELNS1_3gpuE7ELNS1_3repE0EEENS1_30default_config_static_selectorELNS0_4arch9wavefront6targetE0EEEvSL_.has_recursion, 0
	.set _ZN7rocprim17ROCPRIM_400000_NS6detail17trampoline_kernelINS0_14default_configENS1_36segmented_radix_sort_config_selectorI6__halflEEZNS1_25segmented_radix_sort_implIS3_Lb0EPKS5_PS5_PKlPlN2at6native12_GLOBAL__N_18offset_tEEE10hipError_tPvRmT1_PNSt15iterator_traitsISL_E10value_typeET2_T3_PNSM_ISR_E10value_typeET4_jRbjT5_SX_jjP12ihipStream_tbEUlT_E2_NS1_11comp_targetILNS1_3genE3ELNS1_11target_archE908ELNS1_3gpuE7ELNS1_3repE0EEENS1_30default_config_static_selectorELNS0_4arch9wavefront6targetE0EEEvSL_.has_indirect_call, 0
	.section	.AMDGPU.csdata,"",@progbits
; Kernel info:
; codeLenInByte = 0
; TotalNumSgprs: 0
; NumVgprs: 0
; ScratchSize: 0
; MemoryBound: 0
; FloatMode: 240
; IeeeMode: 1
; LDSByteSize: 0 bytes/workgroup (compile time only)
; SGPRBlocks: 0
; VGPRBlocks: 0
; NumSGPRsForWavesPerEU: 1
; NumVGPRsForWavesPerEU: 1
; Occupancy: 16
; WaveLimiterHint : 0
; COMPUTE_PGM_RSRC2:SCRATCH_EN: 0
; COMPUTE_PGM_RSRC2:USER_SGPR: 2
; COMPUTE_PGM_RSRC2:TRAP_HANDLER: 0
; COMPUTE_PGM_RSRC2:TGID_X_EN: 1
; COMPUTE_PGM_RSRC2:TGID_Y_EN: 0
; COMPUTE_PGM_RSRC2:TGID_Z_EN: 0
; COMPUTE_PGM_RSRC2:TIDIG_COMP_CNT: 0
	.section	.text._ZN7rocprim17ROCPRIM_400000_NS6detail17trampoline_kernelINS0_14default_configENS1_36segmented_radix_sort_config_selectorI6__halflEEZNS1_25segmented_radix_sort_implIS3_Lb0EPKS5_PS5_PKlPlN2at6native12_GLOBAL__N_18offset_tEEE10hipError_tPvRmT1_PNSt15iterator_traitsISL_E10value_typeET2_T3_PNSM_ISR_E10value_typeET4_jRbjT5_SX_jjP12ihipStream_tbEUlT_E2_NS1_11comp_targetILNS1_3genE2ELNS1_11target_archE906ELNS1_3gpuE6ELNS1_3repE0EEENS1_30default_config_static_selectorELNS0_4arch9wavefront6targetE0EEEvSL_,"axG",@progbits,_ZN7rocprim17ROCPRIM_400000_NS6detail17trampoline_kernelINS0_14default_configENS1_36segmented_radix_sort_config_selectorI6__halflEEZNS1_25segmented_radix_sort_implIS3_Lb0EPKS5_PS5_PKlPlN2at6native12_GLOBAL__N_18offset_tEEE10hipError_tPvRmT1_PNSt15iterator_traitsISL_E10value_typeET2_T3_PNSM_ISR_E10value_typeET4_jRbjT5_SX_jjP12ihipStream_tbEUlT_E2_NS1_11comp_targetILNS1_3genE2ELNS1_11target_archE906ELNS1_3gpuE6ELNS1_3repE0EEENS1_30default_config_static_selectorELNS0_4arch9wavefront6targetE0EEEvSL_,comdat
	.globl	_ZN7rocprim17ROCPRIM_400000_NS6detail17trampoline_kernelINS0_14default_configENS1_36segmented_radix_sort_config_selectorI6__halflEEZNS1_25segmented_radix_sort_implIS3_Lb0EPKS5_PS5_PKlPlN2at6native12_GLOBAL__N_18offset_tEEE10hipError_tPvRmT1_PNSt15iterator_traitsISL_E10value_typeET2_T3_PNSM_ISR_E10value_typeET4_jRbjT5_SX_jjP12ihipStream_tbEUlT_E2_NS1_11comp_targetILNS1_3genE2ELNS1_11target_archE906ELNS1_3gpuE6ELNS1_3repE0EEENS1_30default_config_static_selectorELNS0_4arch9wavefront6targetE0EEEvSL_ ; -- Begin function _ZN7rocprim17ROCPRIM_400000_NS6detail17trampoline_kernelINS0_14default_configENS1_36segmented_radix_sort_config_selectorI6__halflEEZNS1_25segmented_radix_sort_implIS3_Lb0EPKS5_PS5_PKlPlN2at6native12_GLOBAL__N_18offset_tEEE10hipError_tPvRmT1_PNSt15iterator_traitsISL_E10value_typeET2_T3_PNSM_ISR_E10value_typeET4_jRbjT5_SX_jjP12ihipStream_tbEUlT_E2_NS1_11comp_targetILNS1_3genE2ELNS1_11target_archE906ELNS1_3gpuE6ELNS1_3repE0EEENS1_30default_config_static_selectorELNS0_4arch9wavefront6targetE0EEEvSL_
	.p2align	8
	.type	_ZN7rocprim17ROCPRIM_400000_NS6detail17trampoline_kernelINS0_14default_configENS1_36segmented_radix_sort_config_selectorI6__halflEEZNS1_25segmented_radix_sort_implIS3_Lb0EPKS5_PS5_PKlPlN2at6native12_GLOBAL__N_18offset_tEEE10hipError_tPvRmT1_PNSt15iterator_traitsISL_E10value_typeET2_T3_PNSM_ISR_E10value_typeET4_jRbjT5_SX_jjP12ihipStream_tbEUlT_E2_NS1_11comp_targetILNS1_3genE2ELNS1_11target_archE906ELNS1_3gpuE6ELNS1_3repE0EEENS1_30default_config_static_selectorELNS0_4arch9wavefront6targetE0EEEvSL_,@function
_ZN7rocprim17ROCPRIM_400000_NS6detail17trampoline_kernelINS0_14default_configENS1_36segmented_radix_sort_config_selectorI6__halflEEZNS1_25segmented_radix_sort_implIS3_Lb0EPKS5_PS5_PKlPlN2at6native12_GLOBAL__N_18offset_tEEE10hipError_tPvRmT1_PNSt15iterator_traitsISL_E10value_typeET2_T3_PNSM_ISR_E10value_typeET4_jRbjT5_SX_jjP12ihipStream_tbEUlT_E2_NS1_11comp_targetILNS1_3genE2ELNS1_11target_archE906ELNS1_3gpuE6ELNS1_3repE0EEENS1_30default_config_static_selectorELNS0_4arch9wavefront6targetE0EEEvSL_: ; @_ZN7rocprim17ROCPRIM_400000_NS6detail17trampoline_kernelINS0_14default_configENS1_36segmented_radix_sort_config_selectorI6__halflEEZNS1_25segmented_radix_sort_implIS3_Lb0EPKS5_PS5_PKlPlN2at6native12_GLOBAL__N_18offset_tEEE10hipError_tPvRmT1_PNSt15iterator_traitsISL_E10value_typeET2_T3_PNSM_ISR_E10value_typeET4_jRbjT5_SX_jjP12ihipStream_tbEUlT_E2_NS1_11comp_targetILNS1_3genE2ELNS1_11target_archE906ELNS1_3gpuE6ELNS1_3repE0EEENS1_30default_config_static_selectorELNS0_4arch9wavefront6targetE0EEEvSL_
; %bb.0:
	.section	.rodata,"a",@progbits
	.p2align	6, 0x0
	.amdhsa_kernel _ZN7rocprim17ROCPRIM_400000_NS6detail17trampoline_kernelINS0_14default_configENS1_36segmented_radix_sort_config_selectorI6__halflEEZNS1_25segmented_radix_sort_implIS3_Lb0EPKS5_PS5_PKlPlN2at6native12_GLOBAL__N_18offset_tEEE10hipError_tPvRmT1_PNSt15iterator_traitsISL_E10value_typeET2_T3_PNSM_ISR_E10value_typeET4_jRbjT5_SX_jjP12ihipStream_tbEUlT_E2_NS1_11comp_targetILNS1_3genE2ELNS1_11target_archE906ELNS1_3gpuE6ELNS1_3repE0EEENS1_30default_config_static_selectorELNS0_4arch9wavefront6targetE0EEEvSL_
		.amdhsa_group_segment_fixed_size 0
		.amdhsa_private_segment_fixed_size 0
		.amdhsa_kernarg_size 80
		.amdhsa_user_sgpr_count 2
		.amdhsa_user_sgpr_dispatch_ptr 0
		.amdhsa_user_sgpr_queue_ptr 0
		.amdhsa_user_sgpr_kernarg_segment_ptr 1
		.amdhsa_user_sgpr_dispatch_id 0
		.amdhsa_user_sgpr_private_segment_size 0
		.amdhsa_wavefront_size32 1
		.amdhsa_uses_dynamic_stack 0
		.amdhsa_enable_private_segment 0
		.amdhsa_system_sgpr_workgroup_id_x 1
		.amdhsa_system_sgpr_workgroup_id_y 0
		.amdhsa_system_sgpr_workgroup_id_z 0
		.amdhsa_system_sgpr_workgroup_info 0
		.amdhsa_system_vgpr_workitem_id 0
		.amdhsa_next_free_vgpr 1
		.amdhsa_next_free_sgpr 1
		.amdhsa_reserve_vcc 0
		.amdhsa_float_round_mode_32 0
		.amdhsa_float_round_mode_16_64 0
		.amdhsa_float_denorm_mode_32 3
		.amdhsa_float_denorm_mode_16_64 3
		.amdhsa_fp16_overflow 0
		.amdhsa_workgroup_processor_mode 1
		.amdhsa_memory_ordered 1
		.amdhsa_forward_progress 1
		.amdhsa_inst_pref_size 0
		.amdhsa_round_robin_scheduling 0
		.amdhsa_exception_fp_ieee_invalid_op 0
		.amdhsa_exception_fp_denorm_src 0
		.amdhsa_exception_fp_ieee_div_zero 0
		.amdhsa_exception_fp_ieee_overflow 0
		.amdhsa_exception_fp_ieee_underflow 0
		.amdhsa_exception_fp_ieee_inexact 0
		.amdhsa_exception_int_div_zero 0
	.end_amdhsa_kernel
	.section	.text._ZN7rocprim17ROCPRIM_400000_NS6detail17trampoline_kernelINS0_14default_configENS1_36segmented_radix_sort_config_selectorI6__halflEEZNS1_25segmented_radix_sort_implIS3_Lb0EPKS5_PS5_PKlPlN2at6native12_GLOBAL__N_18offset_tEEE10hipError_tPvRmT1_PNSt15iterator_traitsISL_E10value_typeET2_T3_PNSM_ISR_E10value_typeET4_jRbjT5_SX_jjP12ihipStream_tbEUlT_E2_NS1_11comp_targetILNS1_3genE2ELNS1_11target_archE906ELNS1_3gpuE6ELNS1_3repE0EEENS1_30default_config_static_selectorELNS0_4arch9wavefront6targetE0EEEvSL_,"axG",@progbits,_ZN7rocprim17ROCPRIM_400000_NS6detail17trampoline_kernelINS0_14default_configENS1_36segmented_radix_sort_config_selectorI6__halflEEZNS1_25segmented_radix_sort_implIS3_Lb0EPKS5_PS5_PKlPlN2at6native12_GLOBAL__N_18offset_tEEE10hipError_tPvRmT1_PNSt15iterator_traitsISL_E10value_typeET2_T3_PNSM_ISR_E10value_typeET4_jRbjT5_SX_jjP12ihipStream_tbEUlT_E2_NS1_11comp_targetILNS1_3genE2ELNS1_11target_archE906ELNS1_3gpuE6ELNS1_3repE0EEENS1_30default_config_static_selectorELNS0_4arch9wavefront6targetE0EEEvSL_,comdat
.Lfunc_end1876:
	.size	_ZN7rocprim17ROCPRIM_400000_NS6detail17trampoline_kernelINS0_14default_configENS1_36segmented_radix_sort_config_selectorI6__halflEEZNS1_25segmented_radix_sort_implIS3_Lb0EPKS5_PS5_PKlPlN2at6native12_GLOBAL__N_18offset_tEEE10hipError_tPvRmT1_PNSt15iterator_traitsISL_E10value_typeET2_T3_PNSM_ISR_E10value_typeET4_jRbjT5_SX_jjP12ihipStream_tbEUlT_E2_NS1_11comp_targetILNS1_3genE2ELNS1_11target_archE906ELNS1_3gpuE6ELNS1_3repE0EEENS1_30default_config_static_selectorELNS0_4arch9wavefront6targetE0EEEvSL_, .Lfunc_end1876-_ZN7rocprim17ROCPRIM_400000_NS6detail17trampoline_kernelINS0_14default_configENS1_36segmented_radix_sort_config_selectorI6__halflEEZNS1_25segmented_radix_sort_implIS3_Lb0EPKS5_PS5_PKlPlN2at6native12_GLOBAL__N_18offset_tEEE10hipError_tPvRmT1_PNSt15iterator_traitsISL_E10value_typeET2_T3_PNSM_ISR_E10value_typeET4_jRbjT5_SX_jjP12ihipStream_tbEUlT_E2_NS1_11comp_targetILNS1_3genE2ELNS1_11target_archE906ELNS1_3gpuE6ELNS1_3repE0EEENS1_30default_config_static_selectorELNS0_4arch9wavefront6targetE0EEEvSL_
                                        ; -- End function
	.set _ZN7rocprim17ROCPRIM_400000_NS6detail17trampoline_kernelINS0_14default_configENS1_36segmented_radix_sort_config_selectorI6__halflEEZNS1_25segmented_radix_sort_implIS3_Lb0EPKS5_PS5_PKlPlN2at6native12_GLOBAL__N_18offset_tEEE10hipError_tPvRmT1_PNSt15iterator_traitsISL_E10value_typeET2_T3_PNSM_ISR_E10value_typeET4_jRbjT5_SX_jjP12ihipStream_tbEUlT_E2_NS1_11comp_targetILNS1_3genE2ELNS1_11target_archE906ELNS1_3gpuE6ELNS1_3repE0EEENS1_30default_config_static_selectorELNS0_4arch9wavefront6targetE0EEEvSL_.num_vgpr, 0
	.set _ZN7rocprim17ROCPRIM_400000_NS6detail17trampoline_kernelINS0_14default_configENS1_36segmented_radix_sort_config_selectorI6__halflEEZNS1_25segmented_radix_sort_implIS3_Lb0EPKS5_PS5_PKlPlN2at6native12_GLOBAL__N_18offset_tEEE10hipError_tPvRmT1_PNSt15iterator_traitsISL_E10value_typeET2_T3_PNSM_ISR_E10value_typeET4_jRbjT5_SX_jjP12ihipStream_tbEUlT_E2_NS1_11comp_targetILNS1_3genE2ELNS1_11target_archE906ELNS1_3gpuE6ELNS1_3repE0EEENS1_30default_config_static_selectorELNS0_4arch9wavefront6targetE0EEEvSL_.num_agpr, 0
	.set _ZN7rocprim17ROCPRIM_400000_NS6detail17trampoline_kernelINS0_14default_configENS1_36segmented_radix_sort_config_selectorI6__halflEEZNS1_25segmented_radix_sort_implIS3_Lb0EPKS5_PS5_PKlPlN2at6native12_GLOBAL__N_18offset_tEEE10hipError_tPvRmT1_PNSt15iterator_traitsISL_E10value_typeET2_T3_PNSM_ISR_E10value_typeET4_jRbjT5_SX_jjP12ihipStream_tbEUlT_E2_NS1_11comp_targetILNS1_3genE2ELNS1_11target_archE906ELNS1_3gpuE6ELNS1_3repE0EEENS1_30default_config_static_selectorELNS0_4arch9wavefront6targetE0EEEvSL_.numbered_sgpr, 0
	.set _ZN7rocprim17ROCPRIM_400000_NS6detail17trampoline_kernelINS0_14default_configENS1_36segmented_radix_sort_config_selectorI6__halflEEZNS1_25segmented_radix_sort_implIS3_Lb0EPKS5_PS5_PKlPlN2at6native12_GLOBAL__N_18offset_tEEE10hipError_tPvRmT1_PNSt15iterator_traitsISL_E10value_typeET2_T3_PNSM_ISR_E10value_typeET4_jRbjT5_SX_jjP12ihipStream_tbEUlT_E2_NS1_11comp_targetILNS1_3genE2ELNS1_11target_archE906ELNS1_3gpuE6ELNS1_3repE0EEENS1_30default_config_static_selectorELNS0_4arch9wavefront6targetE0EEEvSL_.num_named_barrier, 0
	.set _ZN7rocprim17ROCPRIM_400000_NS6detail17trampoline_kernelINS0_14default_configENS1_36segmented_radix_sort_config_selectorI6__halflEEZNS1_25segmented_radix_sort_implIS3_Lb0EPKS5_PS5_PKlPlN2at6native12_GLOBAL__N_18offset_tEEE10hipError_tPvRmT1_PNSt15iterator_traitsISL_E10value_typeET2_T3_PNSM_ISR_E10value_typeET4_jRbjT5_SX_jjP12ihipStream_tbEUlT_E2_NS1_11comp_targetILNS1_3genE2ELNS1_11target_archE906ELNS1_3gpuE6ELNS1_3repE0EEENS1_30default_config_static_selectorELNS0_4arch9wavefront6targetE0EEEvSL_.private_seg_size, 0
	.set _ZN7rocprim17ROCPRIM_400000_NS6detail17trampoline_kernelINS0_14default_configENS1_36segmented_radix_sort_config_selectorI6__halflEEZNS1_25segmented_radix_sort_implIS3_Lb0EPKS5_PS5_PKlPlN2at6native12_GLOBAL__N_18offset_tEEE10hipError_tPvRmT1_PNSt15iterator_traitsISL_E10value_typeET2_T3_PNSM_ISR_E10value_typeET4_jRbjT5_SX_jjP12ihipStream_tbEUlT_E2_NS1_11comp_targetILNS1_3genE2ELNS1_11target_archE906ELNS1_3gpuE6ELNS1_3repE0EEENS1_30default_config_static_selectorELNS0_4arch9wavefront6targetE0EEEvSL_.uses_vcc, 0
	.set _ZN7rocprim17ROCPRIM_400000_NS6detail17trampoline_kernelINS0_14default_configENS1_36segmented_radix_sort_config_selectorI6__halflEEZNS1_25segmented_radix_sort_implIS3_Lb0EPKS5_PS5_PKlPlN2at6native12_GLOBAL__N_18offset_tEEE10hipError_tPvRmT1_PNSt15iterator_traitsISL_E10value_typeET2_T3_PNSM_ISR_E10value_typeET4_jRbjT5_SX_jjP12ihipStream_tbEUlT_E2_NS1_11comp_targetILNS1_3genE2ELNS1_11target_archE906ELNS1_3gpuE6ELNS1_3repE0EEENS1_30default_config_static_selectorELNS0_4arch9wavefront6targetE0EEEvSL_.uses_flat_scratch, 0
	.set _ZN7rocprim17ROCPRIM_400000_NS6detail17trampoline_kernelINS0_14default_configENS1_36segmented_radix_sort_config_selectorI6__halflEEZNS1_25segmented_radix_sort_implIS3_Lb0EPKS5_PS5_PKlPlN2at6native12_GLOBAL__N_18offset_tEEE10hipError_tPvRmT1_PNSt15iterator_traitsISL_E10value_typeET2_T3_PNSM_ISR_E10value_typeET4_jRbjT5_SX_jjP12ihipStream_tbEUlT_E2_NS1_11comp_targetILNS1_3genE2ELNS1_11target_archE906ELNS1_3gpuE6ELNS1_3repE0EEENS1_30default_config_static_selectorELNS0_4arch9wavefront6targetE0EEEvSL_.has_dyn_sized_stack, 0
	.set _ZN7rocprim17ROCPRIM_400000_NS6detail17trampoline_kernelINS0_14default_configENS1_36segmented_radix_sort_config_selectorI6__halflEEZNS1_25segmented_radix_sort_implIS3_Lb0EPKS5_PS5_PKlPlN2at6native12_GLOBAL__N_18offset_tEEE10hipError_tPvRmT1_PNSt15iterator_traitsISL_E10value_typeET2_T3_PNSM_ISR_E10value_typeET4_jRbjT5_SX_jjP12ihipStream_tbEUlT_E2_NS1_11comp_targetILNS1_3genE2ELNS1_11target_archE906ELNS1_3gpuE6ELNS1_3repE0EEENS1_30default_config_static_selectorELNS0_4arch9wavefront6targetE0EEEvSL_.has_recursion, 0
	.set _ZN7rocprim17ROCPRIM_400000_NS6detail17trampoline_kernelINS0_14default_configENS1_36segmented_radix_sort_config_selectorI6__halflEEZNS1_25segmented_radix_sort_implIS3_Lb0EPKS5_PS5_PKlPlN2at6native12_GLOBAL__N_18offset_tEEE10hipError_tPvRmT1_PNSt15iterator_traitsISL_E10value_typeET2_T3_PNSM_ISR_E10value_typeET4_jRbjT5_SX_jjP12ihipStream_tbEUlT_E2_NS1_11comp_targetILNS1_3genE2ELNS1_11target_archE906ELNS1_3gpuE6ELNS1_3repE0EEENS1_30default_config_static_selectorELNS0_4arch9wavefront6targetE0EEEvSL_.has_indirect_call, 0
	.section	.AMDGPU.csdata,"",@progbits
; Kernel info:
; codeLenInByte = 0
; TotalNumSgprs: 0
; NumVgprs: 0
; ScratchSize: 0
; MemoryBound: 0
; FloatMode: 240
; IeeeMode: 1
; LDSByteSize: 0 bytes/workgroup (compile time only)
; SGPRBlocks: 0
; VGPRBlocks: 0
; NumSGPRsForWavesPerEU: 1
; NumVGPRsForWavesPerEU: 1
; Occupancy: 16
; WaveLimiterHint : 0
; COMPUTE_PGM_RSRC2:SCRATCH_EN: 0
; COMPUTE_PGM_RSRC2:USER_SGPR: 2
; COMPUTE_PGM_RSRC2:TRAP_HANDLER: 0
; COMPUTE_PGM_RSRC2:TGID_X_EN: 1
; COMPUTE_PGM_RSRC2:TGID_Y_EN: 0
; COMPUTE_PGM_RSRC2:TGID_Z_EN: 0
; COMPUTE_PGM_RSRC2:TIDIG_COMP_CNT: 0
	.section	.text._ZN7rocprim17ROCPRIM_400000_NS6detail17trampoline_kernelINS0_14default_configENS1_36segmented_radix_sort_config_selectorI6__halflEEZNS1_25segmented_radix_sort_implIS3_Lb0EPKS5_PS5_PKlPlN2at6native12_GLOBAL__N_18offset_tEEE10hipError_tPvRmT1_PNSt15iterator_traitsISL_E10value_typeET2_T3_PNSM_ISR_E10value_typeET4_jRbjT5_SX_jjP12ihipStream_tbEUlT_E2_NS1_11comp_targetILNS1_3genE10ELNS1_11target_archE1201ELNS1_3gpuE5ELNS1_3repE0EEENS1_30default_config_static_selectorELNS0_4arch9wavefront6targetE0EEEvSL_,"axG",@progbits,_ZN7rocprim17ROCPRIM_400000_NS6detail17trampoline_kernelINS0_14default_configENS1_36segmented_radix_sort_config_selectorI6__halflEEZNS1_25segmented_radix_sort_implIS3_Lb0EPKS5_PS5_PKlPlN2at6native12_GLOBAL__N_18offset_tEEE10hipError_tPvRmT1_PNSt15iterator_traitsISL_E10value_typeET2_T3_PNSM_ISR_E10value_typeET4_jRbjT5_SX_jjP12ihipStream_tbEUlT_E2_NS1_11comp_targetILNS1_3genE10ELNS1_11target_archE1201ELNS1_3gpuE5ELNS1_3repE0EEENS1_30default_config_static_selectorELNS0_4arch9wavefront6targetE0EEEvSL_,comdat
	.globl	_ZN7rocprim17ROCPRIM_400000_NS6detail17trampoline_kernelINS0_14default_configENS1_36segmented_radix_sort_config_selectorI6__halflEEZNS1_25segmented_radix_sort_implIS3_Lb0EPKS5_PS5_PKlPlN2at6native12_GLOBAL__N_18offset_tEEE10hipError_tPvRmT1_PNSt15iterator_traitsISL_E10value_typeET2_T3_PNSM_ISR_E10value_typeET4_jRbjT5_SX_jjP12ihipStream_tbEUlT_E2_NS1_11comp_targetILNS1_3genE10ELNS1_11target_archE1201ELNS1_3gpuE5ELNS1_3repE0EEENS1_30default_config_static_selectorELNS0_4arch9wavefront6targetE0EEEvSL_ ; -- Begin function _ZN7rocprim17ROCPRIM_400000_NS6detail17trampoline_kernelINS0_14default_configENS1_36segmented_radix_sort_config_selectorI6__halflEEZNS1_25segmented_radix_sort_implIS3_Lb0EPKS5_PS5_PKlPlN2at6native12_GLOBAL__N_18offset_tEEE10hipError_tPvRmT1_PNSt15iterator_traitsISL_E10value_typeET2_T3_PNSM_ISR_E10value_typeET4_jRbjT5_SX_jjP12ihipStream_tbEUlT_E2_NS1_11comp_targetILNS1_3genE10ELNS1_11target_archE1201ELNS1_3gpuE5ELNS1_3repE0EEENS1_30default_config_static_selectorELNS0_4arch9wavefront6targetE0EEEvSL_
	.p2align	8
	.type	_ZN7rocprim17ROCPRIM_400000_NS6detail17trampoline_kernelINS0_14default_configENS1_36segmented_radix_sort_config_selectorI6__halflEEZNS1_25segmented_radix_sort_implIS3_Lb0EPKS5_PS5_PKlPlN2at6native12_GLOBAL__N_18offset_tEEE10hipError_tPvRmT1_PNSt15iterator_traitsISL_E10value_typeET2_T3_PNSM_ISR_E10value_typeET4_jRbjT5_SX_jjP12ihipStream_tbEUlT_E2_NS1_11comp_targetILNS1_3genE10ELNS1_11target_archE1201ELNS1_3gpuE5ELNS1_3repE0EEENS1_30default_config_static_selectorELNS0_4arch9wavefront6targetE0EEEvSL_,@function
_ZN7rocprim17ROCPRIM_400000_NS6detail17trampoline_kernelINS0_14default_configENS1_36segmented_radix_sort_config_selectorI6__halflEEZNS1_25segmented_radix_sort_implIS3_Lb0EPKS5_PS5_PKlPlN2at6native12_GLOBAL__N_18offset_tEEE10hipError_tPvRmT1_PNSt15iterator_traitsISL_E10value_typeET2_T3_PNSM_ISR_E10value_typeET4_jRbjT5_SX_jjP12ihipStream_tbEUlT_E2_NS1_11comp_targetILNS1_3genE10ELNS1_11target_archE1201ELNS1_3gpuE5ELNS1_3repE0EEENS1_30default_config_static_selectorELNS0_4arch9wavefront6targetE0EEEvSL_: ; @_ZN7rocprim17ROCPRIM_400000_NS6detail17trampoline_kernelINS0_14default_configENS1_36segmented_radix_sort_config_selectorI6__halflEEZNS1_25segmented_radix_sort_implIS3_Lb0EPKS5_PS5_PKlPlN2at6native12_GLOBAL__N_18offset_tEEE10hipError_tPvRmT1_PNSt15iterator_traitsISL_E10value_typeET2_T3_PNSM_ISR_E10value_typeET4_jRbjT5_SX_jjP12ihipStream_tbEUlT_E2_NS1_11comp_targetILNS1_3genE10ELNS1_11target_archE1201ELNS1_3gpuE5ELNS1_3repE0EEENS1_30default_config_static_selectorELNS0_4arch9wavefront6targetE0EEEvSL_
; %bb.0:
	s_load_b128 s[4:7], s[0:1], 0x34
	s_mov_b32 s32, 0
	s_wait_kmcnt 0x0
	s_add_co_i32 s33, s5, ttmp9
	s_add_co_i32 s34, s7, ttmp9
	s_mul_i32 s33, s33, s4
	s_mul_i32 s34, s34, s6
	s_delay_alu instid0(SALU_CYCLE_1)
	s_cmp_le_u32 s34, s33
	s_cbranch_scc1 .LBB1877_675
; %bb.1:
	s_clause 0x3
	s_load_b32 s2, s[0:1], 0x30
	s_load_b128 s[24:27], s[0:1], 0x20
	s_load_b96 s[44:46], s[0:1], 0x44
	s_load_b256 s[36:43], s[0:1], 0x0
	s_wait_kmcnt 0x0
	s_bitcmp1_b32 s2, 0
	s_mov_b32 s2, -1
	s_cselect_b32 s35, -1, 0
	s_sub_co_i32 s47, s34, s33
	s_delay_alu instid0(SALU_CYCLE_1)
	s_cmp_lt_u32 s47, 0x801
	s_cbranch_scc0 .LBB1877_12
; %bb.2:
	s_cmp_lt_u32 s47, 33
	s_cbranch_scc0 .LBB1877_6
; %bb.3:
	s_load_b32 s2, s[0:1], 0x5c
	v_bfe_u32 v1, v0, 10, 10
	v_bfe_u32 v2, v0, 20, 10
	s_mov_b32 s18, exec_lo
	s_wait_kmcnt 0x0
	s_lshr_b32 s3, s2, 16
	s_and_b32 s2, s2, 0xffff
	v_mad_u32_u24 v2, v2, s3, v1
	v_and_b32_e32 v1, 0x3ff, v0
	s_delay_alu instid0(VALU_DEP_1) | instskip(NEXT) | instid1(VALU_DEP_1)
	v_mad_co_u64_u32 v[1:2], null, v2, s2, v[1:2]
	v_cmpx_gt_u32_e32 8, v1
	s_cbranch_execz .LBB1877_5
; %bb.4:
	s_bitcmp1_b32 s44, 0
	s_mov_b64 s[2:3], src_shared_base
	s_cselect_b32 s2, -1, 0
	v_dual_mov_b32 v31, v0 :: v_dual_mov_b32 v40, v0
	s_wait_alu 0xfffe
	s_xor_b32 s2, s35, s2
	v_dual_mov_b32 v0, s36 :: v_dual_mov_b32 v1, s37
	s_wait_alu 0xfffe
	s_xor_b32 s2, s2, -1
	v_dual_mov_b32 v2, s38 :: v_dual_mov_b32 v3, s39
	s_wait_alu 0xfffe
	v_cndmask_b32_e64 v12, 0, 1, s2
	v_dual_mov_b32 v4, s40 :: v_dual_mov_b32 v5, s41
	v_dual_mov_b32 v6, s42 :: v_dual_mov_b32 v7, s43
	;; [unrolled: 1-line block ×6, first 2 shown]
	s_add_nc_u64 s[8:9], s[0:1], 0x50
	s_getpc_b64 s[4:5]
	s_sext_i32_i16 s5, s5
	s_add_co_u32 s4, s4, _ZN7rocprim17ROCPRIM_400000_NS6detail26segmented_warp_sort_helperINS1_20WarpSortHelperConfigILj8ELj4ELj256EEE6__halflLi256ELb0EvE4sortIPKS5_PS5_PKlPlEEvT_SA_T0_T1_SD_T2_bjjjjRNS6_12storage_typeE@rel32@lo+8
	s_add_co_ci_u32 s5, s5, _ZN7rocprim17ROCPRIM_400000_NS6detail26segmented_warp_sort_helperINS1_20WarpSortHelperConfigILj8ELj4ELj256EEE6__halflLi256ELb0EvE4sortIPKS5_PS5_PKlPlEEvT_SA_T0_T1_SD_T2_bjjjjRNS6_12storage_typeE@rel32@hi+16
	s_mov_b64 s[16:17], s[0:1]
	s_swappc_b64 s[30:31], s[4:5]
	v_mov_b32_e32 v0, v40
	s_mov_b64 s[0:1], s[16:17]
.LBB1877_5:
	s_or_b32 exec_lo, exec_lo, s18
	s_mov_b32 s2, 0
.LBB1877_6:
	s_wait_alu 0xfffe
	s_and_not1_b32 vcc_lo, exec_lo, s2
	s_wait_alu 0xfffe
	s_cbranch_vccnz .LBB1877_11
; %bb.7:
	v_cndmask_b32_e64 v1, 0, 1, s35
	s_and_b32 s2, s44, 1
	s_wait_alu 0xfffe
	s_delay_alu instid0(VALU_DEP_1)
	v_cmp_ne_u32_e32 vcc_lo, s2, v1
	s_mov_b32 s2, -1
	s_cbranch_vccnz .LBB1877_9
; %bb.8:
	s_mov_b64 s[2:3], src_shared_base
	v_dual_mov_b32 v31, v0 :: v_dual_mov_b32 v40, v0
	v_dual_mov_b32 v0, s36 :: v_dual_mov_b32 v1, s37
	;; [unrolled: 1-line block ×7, first 2 shown]
	s_wait_alu 0xfffe
	v_dual_mov_b32 v12, 0 :: v_dual_mov_b32 v13, s3
	s_add_nc_u64 s[8:9], s[0:1], 0x50
	s_getpc_b64 s[4:5]
	s_wait_alu 0xfffe
	s_sext_i32_i16 s5, s5
	s_add_co_u32 s4, s4, _ZN7rocprim17ROCPRIM_400000_NS6detail40segmented_radix_sort_single_block_helperI6__halflLj256ELj8ELb0EE4sortIPKS3_PS3_PKlPlEEbT_T0_T1_T2_jjjjRNS4_12storage_typeE@rel32@lo+12
	s_wait_alu 0xfffe
	s_add_co_ci_u32 s5, s5, _ZN7rocprim17ROCPRIM_400000_NS6detail40segmented_radix_sort_single_block_helperI6__halflLj256ELj8ELb0EE4sortIPKS3_PS3_PKlPlEEbT_T0_T1_T2_jjjjRNS4_12storage_typeE@rel32@hi+24
	s_mov_b64 s[22:23], s[0:1]
	s_wait_alu 0xfffe
	s_swappc_b64 s[30:31], s[4:5]
	v_mov_b32_e32 v0, v40
	s_mov_b64 s[0:1], s[22:23]
	s_mov_b32 s2, 0
.LBB1877_9:
	s_wait_alu 0xfffe
	s_and_not1_b32 vcc_lo, exec_lo, s2
	s_wait_alu 0xfffe
	s_cbranch_vccnz .LBB1877_11
; %bb.10:
	s_mov_b64 s[2:3], src_shared_base
	v_dual_mov_b32 v31, v0 :: v_dual_mov_b32 v40, v0
	v_dual_mov_b32 v0, s36 :: v_dual_mov_b32 v1, s37
	;; [unrolled: 1-line block ×7, first 2 shown]
	s_wait_alu 0xfffe
	v_dual_mov_b32 v12, 0 :: v_dual_mov_b32 v13, s3
	s_add_nc_u64 s[8:9], s[0:1], 0x50
	s_getpc_b64 s[4:5]
	s_wait_alu 0xfffe
	s_sext_i32_i16 s5, s5
	s_add_co_u32 s4, s4, _ZN7rocprim17ROCPRIM_400000_NS6detail40segmented_radix_sort_single_block_helperI6__halflLj256ELj8ELb0EE4sortIPKS3_PS3_PKlPlEEbT_T0_T1_T2_jjjjRNS4_12storage_typeE@rel32@lo+12
	s_wait_alu 0xfffe
	s_add_co_ci_u32 s5, s5, _ZN7rocprim17ROCPRIM_400000_NS6detail40segmented_radix_sort_single_block_helperI6__halflLj256ELj8ELb0EE4sortIPKS3_PS3_PKlPlEEbT_T0_T1_T2_jjjjRNS4_12storage_typeE@rel32@hi+24
	s_mov_b64 s[22:23], s[0:1]
	s_wait_alu 0xfffe
	s_swappc_b64 s[30:31], s[4:5]
	v_mov_b32_e32 v0, v40
	s_mov_b64 s[0:1], s[22:23]
.LBB1877_11:
	s_mov_b32 s2, 0
.LBB1877_12:
	s_wait_alu 0xfffe
	s_and_not1_b32 vcc_lo, exec_lo, s2
	s_wait_alu 0xfffe
	s_cbranch_vccnz .LBB1877_675
; %bb.13:
	s_cmp_ge_u32 s45, s46
	s_cbranch_scc1 .LBB1877_675
; %bb.14:
	v_dual_mov_b32 v62, 1 :: v_dual_and_b32 v1, 0x3ff, v0
	v_dual_mov_b32 v3, 0 :: v_dual_and_b32 v2, 3, v0
	v_lshrrev_b32_e32 v5, 3, v0
	s_delay_alu instid0(VALU_DEP_3)
	v_lshlrev_b32_e32 v28, 2, v1
	v_or_b32_e32 v6, 31, v1
	v_lshlrev_b32_e32 v4, 1, v1
	v_lshlrev_b32_e32 v39, 2, v2
	;; [unrolled: 1-line block ×3, first 2 shown]
	v_mad_u32_u24 v40, v1, 12, v28
	v_and_b32_e32 v38, 28, v5
	v_lshlrev_b32_e32 v5, 5, v1
	v_cmp_eq_u32_e64 s3, v1, v6
	v_and_b32_e32 v2, 0x700, v2
	v_mad_u32_u24 v43, v1, 20, v40
	v_mbcnt_lo_u32_b32 v59, -1, 0
	v_add_co_u32 v32, s2, s40, v4
	s_delay_alu instid0(VALU_DEP_4) | instskip(NEXT) | instid1(VALU_DEP_4)
	v_lshlrev_b32_e32 v6, 1, v2
	v_sub_nc_u32_e32 v46, v43, v5
	v_lshlrev_b32_e32 v5, 3, v2
	v_lshlrev_b32_e32 v69, 3, v59
	;; [unrolled: 1-line block ×3, first 2 shown]
	v_or_b32_e32 v66, v59, v2
	v_or_b32_e32 v29, 0x100, v1
	v_add_co_u32 v7, s8, s26, v5
	s_wait_alu 0xf1ff
	v_add_co_ci_u32_e64 v8, null, s27, 0, s8
	v_add_co_u32 v9, s8, s40, v6
	s_wait_alu 0xf1ff
	v_add_co_ci_u32_e64 v10, null, s41, 0, s8
	;; [unrolled: 3-line block ×6, first 2 shown]
	v_add_co_u32 v57, s8, s42, v5
	v_add_co_u32 v83, vcc_lo, v7, v69
	s_wait_alu 0xf1ff
	v_add_co_ci_u32_e64 v58, null, s43, 0, s8
	v_add_co_u32 v60, s8, s36, v6
	s_wait_alu 0xfffd
	v_add_co_ci_u32_e64 v84, null, 0, v8, vcc_lo
	v_add_co_u32 v85, vcc_lo, v9, v77
	v_or_b32_e32 v30, 0x200, v1
	v_or_b32_e32 v31, 0x300, v1
	v_add_co_ci_u32_e64 v33, null, s41, 0, s2
	v_or_b32_e32 v34, 0x400, v1
	v_or_b32_e32 v35, 0x500, v1
	;; [unrolled: 1-line block ×4, first 2 shown]
	v_cmp_gt_u32_e64 s2, 0x100, v1
	v_or_b32_e32 v41, 0x4400, v38
	v_cmp_gt_u32_e64 s4, 8, v1
	v_add_nc_u32_e32 v42, 0x4400, v28
	v_cmp_lt_u32_e64 s5, 31, v1
	v_add_nc_u32_e32 v44, 0x43fc, v38
	v_bfe_u32 v45, v0, 20, 10
	v_bfe_u32 v0, v0, 10, 10
	v_cmp_eq_u32_e64 s6, 0, v1
	v_cmp_ne_u32_e64 s7, 0xff, v1
	v_sub_nc_u32_e32 v47, v46, v4
	v_mul_u32_u24_e32 v48, 6, v1
	s_wait_alu 0xf1ff
	v_add_co_ci_u32_e64 v61, null, s37, 0, s8
	v_and_b32_e32 v63, 15, v59
	v_bfe_i32 v64, v59, 4, 1
	v_and_b32_e32 v65, 16, v59
	v_and_b32_e32 v67, 7, v59
	v_sub_co_u32 v68, s8, v59, 1
	v_or_b32_e32 v70, 32, v66
	v_or_b32_e32 v71, 64, v66
	v_or_b32_e32 v72, 0x60, v66
	v_or_b32_e32 v73, 0x80, v66
	v_or_b32_e32 v74, 0xa0, v66
	v_or_b32_e32 v75, 0xc0, v66
	v_or_b32_e32 v76, 0xe0, v66
	v_add_nc_u32_e32 v78, 0x420, v43
	v_add_nc_u32_e32 v79, 0x428, v43
	;; [unrolled: 1-line block ×4, first 2 shown]
	v_lshlrev_b32_e32 v82, 1, v1
	s_wait_alu 0xfffd
	v_add_co_ci_u32_e64 v86, null, 0, v10, vcc_lo
	s_add_nc_u64 s[28:29], s[0:1], 0x50
	s_mov_b32 s31, 0
	s_mov_b32 s23, s45
	s_branch .LBB1877_17
.LBB1877_15:                            ;   in Loop: Header=BB1877_17 Depth=1
	s_wait_loadcnt_dscnt 0x0
	s_barrier_signal -1
	s_barrier_wait -1
.LBB1877_16:                            ;   in Loop: Header=BB1877_17 Depth=1
	s_add_co_i32 s23, s23, 8
	global_inv scope:SCOPE_SE
	s_wait_alu 0xfffe
	s_cmp_ge_u32 s23, s46
	s_cbranch_scc1 .LBB1877_675
.LBB1877_17:                            ; =>This Loop Header: Depth=1
                                        ;     Child Loop BB1877_21 Depth 2
                                        ;     Child Loop BB1877_69 Depth 2
	;; [unrolled: 1-line block ×8, first 2 shown]
	s_wait_alu 0xfffe
	s_sub_co_i32 s0, s46, s23
	s_xor_b32 s35, s35, -1
	s_wait_alu 0xfffe
	s_min_u32 s0, s0, 8
	ds_store_2addr_stride64_b32 v28, v3, v3 offset1:4
	s_wait_alu 0xfffe
	s_lshl_b32 s0, -1, s0
	ds_store_2addr_stride64_b32 v28, v3, v3 offset0:8 offset1:12
	s_wait_alu 0xfffe
	s_not_b32 s42, s0
	s_cmp_lg_u32 s23, s45
	s_mov_b32 s0, -1
	s_wait_storecnt_dscnt 0x0
	s_cbranch_scc0 .LBB1877_347
; %bb.18:                               ;   in Loop: Header=BB1877_17 Depth=1
	s_and_b32 vcc_lo, exec_lo, s35
	s_wait_alu 0xfffe
	s_cbranch_vccz .LBB1877_182
; %bb.19:                               ;   in Loop: Header=BB1877_17 Depth=1
	s_mov_b32 s9, s47
	s_mov_b32 s30, s33
	s_barrier_signal -1
	s_barrier_wait -1
	global_inv scope:SCOPE_SE
                                        ; implicit-def: $vgpr2
                                        ; implicit-def: $vgpr4
                                        ; implicit-def: $vgpr5
                                        ; implicit-def: $vgpr6
                                        ; implicit-def: $vgpr7
                                        ; implicit-def: $vgpr8
                                        ; implicit-def: $vgpr9
                                        ; implicit-def: $vgpr10
	s_branch .LBB1877_21
.LBB1877_20:                            ;   in Loop: Header=BB1877_21 Depth=2
	s_wait_alu 0xfffe
	s_or_b32 exec_lo, exec_lo, s0
	s_addk_co_i32 s9, 0xf800
	s_cmp_ge_u32 s10, s34
	s_mov_b32 s30, s10
	s_cbranch_scc1 .LBB1877_57
.LBB1877_21:                            ;   Parent Loop BB1877_17 Depth=1
                                        ; =>  This Inner Loop Header: Depth=2
	s_wait_alu 0xfffe
	s_add_co_i32 s10, s30, 0x800
	s_mov_b32 s0, -1
	s_wait_alu 0xfffe
	s_cmp_gt_u32 s10, s34
                                        ; implicit-def: $vgpr11
                                        ; implicit-def: $vgpr12
                                        ; implicit-def: $vgpr13
                                        ; implicit-def: $vgpr14
                                        ; implicit-def: $vgpr15
                                        ; implicit-def: $vgpr16
                                        ; implicit-def: $vgpr17
                                        ; implicit-def: $vgpr18
	s_cbranch_scc1 .LBB1877_23
; %bb.22:                               ;   in Loop: Header=BB1877_21 Depth=2
	s_lshl_b64 s[0:1], s[30:31], 1
	s_wait_alu 0xfffe
	v_add_co_u32 v18, vcc_lo, v32, s0
	s_wait_alu 0xfffd
	v_add_co_ci_u32_e64 v19, null, s1, v33, vcc_lo
	s_mov_b32 s0, 0
	s_clause 0x7
	global_load_u16 v11, v[18:19], off
	global_load_u16 v12, v[18:19], off offset:512
	global_load_u16 v13, v[18:19], off offset:1024
	;; [unrolled: 1-line block ×7, first 2 shown]
.LBB1877_23:                            ;   in Loop: Header=BB1877_21 Depth=2
	s_wait_alu 0xfffe
	s_and_not1_b32 vcc_lo, exec_lo, s0
	s_movk_i32 s0, 0x800
	s_wait_alu 0xfffe
	s_cbranch_vccnz .LBB1877_34
; %bb.24:                               ;   in Loop: Header=BB1877_21 Depth=2
	s_lshl_b64 s[0:1], s[30:31], 1
	s_mov_b32 s11, exec_lo
	s_wait_alu 0xfffe
	s_add_nc_u64 s[0:1], s[40:41], s[0:1]
	v_cmpx_gt_u32_e64 s9, v1
	s_cbranch_execnz .LBB1877_50
; %bb.25:                               ;   in Loop: Header=BB1877_21 Depth=2
	s_or_b32 exec_lo, exec_lo, s11
	s_delay_alu instid0(SALU_CYCLE_1)
	s_mov_b32 s11, exec_lo
	v_cmpx_gt_u32_e64 s9, v29
	s_cbranch_execnz .LBB1877_51
.LBB1877_26:                            ;   in Loop: Header=BB1877_21 Depth=2
	s_wait_alu 0xfffe
	s_or_b32 exec_lo, exec_lo, s11
	s_delay_alu instid0(SALU_CYCLE_1)
	s_mov_b32 s11, exec_lo
	v_cmpx_gt_u32_e64 s9, v30
	s_cbranch_execnz .LBB1877_52
.LBB1877_27:                            ;   in Loop: Header=BB1877_21 Depth=2
	s_wait_alu 0xfffe
	s_or_b32 exec_lo, exec_lo, s11
	s_delay_alu instid0(SALU_CYCLE_1)
	s_mov_b32 s11, exec_lo
	v_cmpx_gt_u32_e64 s9, v31
	s_cbranch_execnz .LBB1877_53
.LBB1877_28:                            ;   in Loop: Header=BB1877_21 Depth=2
	s_wait_alu 0xfffe
	s_or_b32 exec_lo, exec_lo, s11
	s_delay_alu instid0(SALU_CYCLE_1)
	s_mov_b32 s11, exec_lo
	v_cmpx_gt_u32_e64 s9, v34
	s_cbranch_execnz .LBB1877_54
.LBB1877_29:                            ;   in Loop: Header=BB1877_21 Depth=2
	s_wait_alu 0xfffe
	s_or_b32 exec_lo, exec_lo, s11
	s_delay_alu instid0(SALU_CYCLE_1)
	s_mov_b32 s11, exec_lo
	v_cmpx_gt_u32_e64 s9, v35
	s_cbranch_execnz .LBB1877_55
.LBB1877_30:                            ;   in Loop: Header=BB1877_21 Depth=2
	s_wait_alu 0xfffe
	s_or_b32 exec_lo, exec_lo, s11
	s_delay_alu instid0(SALU_CYCLE_1)
	s_mov_b32 s11, exec_lo
	v_cmpx_gt_u32_e64 s9, v36
	s_cbranch_execnz .LBB1877_56
.LBB1877_31:                            ;   in Loop: Header=BB1877_21 Depth=2
	s_wait_alu 0xfffe
	s_or_b32 exec_lo, exec_lo, s11
	s_delay_alu instid0(SALU_CYCLE_1)
	s_mov_b32 s11, exec_lo
	v_cmpx_gt_u32_e64 s9, v37
	s_cbranch_execz .LBB1877_33
.LBB1877_32:                            ;   in Loop: Header=BB1877_21 Depth=2
	global_load_u16 v2, v82, s[0:1] offset:3584
.LBB1877_33:                            ;   in Loop: Header=BB1877_21 Depth=2
	s_wait_alu 0xfffe
	s_or_b32 exec_lo, exec_lo, s11
	s_wait_loadcnt 0x0
	v_dual_mov_b32 v11, v10 :: v_dual_mov_b32 v12, v9
	v_dual_mov_b32 v13, v8 :: v_dual_mov_b32 v14, v7
	;; [unrolled: 1-line block ×4, first 2 shown]
	s_mov_b32 s0, s9
.LBB1877_34:                            ;   in Loop: Header=BB1877_21 Depth=2
	s_wait_loadcnt 0x0
	s_delay_alu instid0(VALU_DEP_1) | instskip(NEXT) | instid1(VALU_DEP_2)
	v_dual_mov_b32 v2, v18 :: v_dual_mov_b32 v5, v16
	v_dual_mov_b32 v4, v17 :: v_dual_mov_b32 v7, v14
	;; [unrolled: 1-line block ×3, first 2 shown]
	v_mov_b32_e32 v8, v13
	v_mov_b32_e32 v10, v11
	s_mov_b32 s1, exec_lo
	s_wait_alu 0xfffe
	v_cmpx_gt_u32_e64 s0, v1
	s_cbranch_execnz .LBB1877_42
; %bb.35:                               ;   in Loop: Header=BB1877_21 Depth=2
	s_or_b32 exec_lo, exec_lo, s1
	s_delay_alu instid0(SALU_CYCLE_1)
	s_mov_b32 s1, exec_lo
	v_cmpx_gt_u32_e64 s0, v29
	s_cbranch_execnz .LBB1877_43
.LBB1877_36:                            ;   in Loop: Header=BB1877_21 Depth=2
	s_wait_alu 0xfffe
	s_or_b32 exec_lo, exec_lo, s1
	s_delay_alu instid0(SALU_CYCLE_1)
	s_mov_b32 s1, exec_lo
	v_cmpx_gt_u32_e64 s0, v30
	s_cbranch_execnz .LBB1877_44
.LBB1877_37:                            ;   in Loop: Header=BB1877_21 Depth=2
	s_wait_alu 0xfffe
	s_or_b32 exec_lo, exec_lo, s1
	s_delay_alu instid0(SALU_CYCLE_1)
	s_mov_b32 s1, exec_lo
	v_cmpx_gt_u32_e64 s0, v31
	s_cbranch_execnz .LBB1877_45
.LBB1877_38:                            ;   in Loop: Header=BB1877_21 Depth=2
	s_wait_alu 0xfffe
	s_or_b32 exec_lo, exec_lo, s1
	s_delay_alu instid0(SALU_CYCLE_1)
	s_mov_b32 s1, exec_lo
	v_cmpx_gt_u32_e64 s0, v34
	s_cbranch_execnz .LBB1877_46
.LBB1877_39:                            ;   in Loop: Header=BB1877_21 Depth=2
	s_wait_alu 0xfffe
	s_or_b32 exec_lo, exec_lo, s1
	s_delay_alu instid0(SALU_CYCLE_1)
	s_mov_b32 s1, exec_lo
	v_cmpx_gt_u32_e64 s0, v35
	s_cbranch_execnz .LBB1877_47
.LBB1877_40:                            ;   in Loop: Header=BB1877_21 Depth=2
	s_wait_alu 0xfffe
	s_or_b32 exec_lo, exec_lo, s1
	s_delay_alu instid0(SALU_CYCLE_1)
	s_mov_b32 s1, exec_lo
	v_cmpx_gt_u32_e64 s0, v36
	s_cbranch_execnz .LBB1877_48
.LBB1877_41:                            ;   in Loop: Header=BB1877_21 Depth=2
	s_wait_alu 0xfffe
	s_or_b32 exec_lo, exec_lo, s1
	v_cmp_gt_u32_e32 vcc_lo, s0, v37
	s_and_saveexec_b32 s0, vcc_lo
	s_cbranch_execz .LBB1877_20
	s_branch .LBB1877_49
.LBB1877_42:                            ;   in Loop: Header=BB1877_21 Depth=2
	v_cmp_lt_i16_e32 vcc_lo, -1, v10
	s_wait_alu 0xfffd
	v_cndmask_b32_e64 v11, -1, 0xffff8000, vcc_lo
	s_delay_alu instid0(VALU_DEP_1) | instskip(NEXT) | instid1(VALU_DEP_1)
	v_xor_b32_e32 v11, v11, v10
	v_cmp_ne_u16_e32 vcc_lo, 0x7fff, v11
	s_wait_alu 0xfffd
	v_cndmask_b32_e32 v11, 0xffff8000, v11, vcc_lo
	s_delay_alu instid0(VALU_DEP_1) | instskip(NEXT) | instid1(VALU_DEP_1)
	v_and_b32_e32 v11, 0xffff, v11
	v_lshrrev_b32_e32 v11, s23, v11
	s_delay_alu instid0(VALU_DEP_1) | instskip(NEXT) | instid1(VALU_DEP_1)
	v_and_b32_e32 v11, s42, v11
	v_lshl_or_b32 v11, v11, 4, v39
	ds_add_u32 v11, v62
	s_or_b32 exec_lo, exec_lo, s1
	s_delay_alu instid0(SALU_CYCLE_1)
	s_mov_b32 s1, exec_lo
	v_cmpx_gt_u32_e64 s0, v29
	s_cbranch_execz .LBB1877_36
.LBB1877_43:                            ;   in Loop: Header=BB1877_21 Depth=2
	v_cmp_lt_i16_e32 vcc_lo, -1, v9
	s_wait_alu 0xfffd
	v_cndmask_b32_e64 v11, -1, 0xffff8000, vcc_lo
	s_delay_alu instid0(VALU_DEP_1) | instskip(NEXT) | instid1(VALU_DEP_1)
	v_xor_b32_e32 v11, v11, v9
	v_cmp_ne_u16_e32 vcc_lo, 0x7fff, v11
	s_wait_alu 0xfffd
	v_cndmask_b32_e32 v11, 0xffff8000, v11, vcc_lo
	s_delay_alu instid0(VALU_DEP_1) | instskip(NEXT) | instid1(VALU_DEP_1)
	v_and_b32_e32 v11, 0xffff, v11
	v_lshrrev_b32_e32 v11, s23, v11
	s_delay_alu instid0(VALU_DEP_1) | instskip(NEXT) | instid1(VALU_DEP_1)
	v_and_b32_e32 v11, s42, v11
	v_lshl_or_b32 v11, v11, 4, v39
	ds_add_u32 v11, v62
	s_wait_alu 0xfffe
	s_or_b32 exec_lo, exec_lo, s1
	s_delay_alu instid0(SALU_CYCLE_1)
	s_mov_b32 s1, exec_lo
	v_cmpx_gt_u32_e64 s0, v30
	s_cbranch_execz .LBB1877_37
.LBB1877_44:                            ;   in Loop: Header=BB1877_21 Depth=2
	v_cmp_lt_i16_e32 vcc_lo, -1, v8
	s_wait_alu 0xfffd
	v_cndmask_b32_e64 v11, -1, 0xffff8000, vcc_lo
	s_delay_alu instid0(VALU_DEP_1) | instskip(NEXT) | instid1(VALU_DEP_1)
	v_xor_b32_e32 v11, v11, v8
	v_cmp_ne_u16_e32 vcc_lo, 0x7fff, v11
	s_wait_alu 0xfffd
	v_cndmask_b32_e32 v11, 0xffff8000, v11, vcc_lo
	s_delay_alu instid0(VALU_DEP_1) | instskip(NEXT) | instid1(VALU_DEP_1)
	v_and_b32_e32 v11, 0xffff, v11
	v_lshrrev_b32_e32 v11, s23, v11
	s_delay_alu instid0(VALU_DEP_1) | instskip(NEXT) | instid1(VALU_DEP_1)
	v_and_b32_e32 v11, s42, v11
	v_lshl_or_b32 v11, v11, 4, v39
	ds_add_u32 v11, v62
	s_wait_alu 0xfffe
	s_or_b32 exec_lo, exec_lo, s1
	s_delay_alu instid0(SALU_CYCLE_1)
	s_mov_b32 s1, exec_lo
	v_cmpx_gt_u32_e64 s0, v31
	s_cbranch_execz .LBB1877_38
.LBB1877_45:                            ;   in Loop: Header=BB1877_21 Depth=2
	v_cmp_lt_i16_e32 vcc_lo, -1, v7
	s_wait_alu 0xfffd
	v_cndmask_b32_e64 v11, -1, 0xffff8000, vcc_lo
	s_delay_alu instid0(VALU_DEP_1) | instskip(NEXT) | instid1(VALU_DEP_1)
	v_xor_b32_e32 v11, v11, v7
	v_cmp_ne_u16_e32 vcc_lo, 0x7fff, v11
	s_wait_alu 0xfffd
	v_cndmask_b32_e32 v11, 0xffff8000, v11, vcc_lo
	s_delay_alu instid0(VALU_DEP_1) | instskip(NEXT) | instid1(VALU_DEP_1)
	v_and_b32_e32 v11, 0xffff, v11
	v_lshrrev_b32_e32 v11, s23, v11
	s_delay_alu instid0(VALU_DEP_1) | instskip(NEXT) | instid1(VALU_DEP_1)
	v_and_b32_e32 v11, s42, v11
	v_lshl_or_b32 v11, v11, 4, v39
	ds_add_u32 v11, v62
	s_wait_alu 0xfffe
	s_or_b32 exec_lo, exec_lo, s1
	s_delay_alu instid0(SALU_CYCLE_1)
	s_mov_b32 s1, exec_lo
	v_cmpx_gt_u32_e64 s0, v34
	s_cbranch_execz .LBB1877_39
.LBB1877_46:                            ;   in Loop: Header=BB1877_21 Depth=2
	v_cmp_lt_i16_e32 vcc_lo, -1, v6
	s_wait_alu 0xfffd
	v_cndmask_b32_e64 v11, -1, 0xffff8000, vcc_lo
	s_delay_alu instid0(VALU_DEP_1) | instskip(NEXT) | instid1(VALU_DEP_1)
	v_xor_b32_e32 v11, v11, v6
	v_cmp_ne_u16_e32 vcc_lo, 0x7fff, v11
	s_wait_alu 0xfffd
	v_cndmask_b32_e32 v11, 0xffff8000, v11, vcc_lo
	s_delay_alu instid0(VALU_DEP_1) | instskip(NEXT) | instid1(VALU_DEP_1)
	v_and_b32_e32 v11, 0xffff, v11
	v_lshrrev_b32_e32 v11, s23, v11
	s_delay_alu instid0(VALU_DEP_1) | instskip(NEXT) | instid1(VALU_DEP_1)
	v_and_b32_e32 v11, s42, v11
	v_lshl_or_b32 v11, v11, 4, v39
	ds_add_u32 v11, v62
	s_wait_alu 0xfffe
	s_or_b32 exec_lo, exec_lo, s1
	s_delay_alu instid0(SALU_CYCLE_1)
	s_mov_b32 s1, exec_lo
	v_cmpx_gt_u32_e64 s0, v35
	s_cbranch_execz .LBB1877_40
.LBB1877_47:                            ;   in Loop: Header=BB1877_21 Depth=2
	v_cmp_lt_i16_e32 vcc_lo, -1, v5
	s_wait_alu 0xfffd
	v_cndmask_b32_e64 v11, -1, 0xffff8000, vcc_lo
	s_delay_alu instid0(VALU_DEP_1) | instskip(NEXT) | instid1(VALU_DEP_1)
	v_xor_b32_e32 v11, v11, v5
	v_cmp_ne_u16_e32 vcc_lo, 0x7fff, v11
	s_wait_alu 0xfffd
	v_cndmask_b32_e32 v11, 0xffff8000, v11, vcc_lo
	s_delay_alu instid0(VALU_DEP_1) | instskip(NEXT) | instid1(VALU_DEP_1)
	v_and_b32_e32 v11, 0xffff, v11
	v_lshrrev_b32_e32 v11, s23, v11
	s_delay_alu instid0(VALU_DEP_1) | instskip(NEXT) | instid1(VALU_DEP_1)
	v_and_b32_e32 v11, s42, v11
	v_lshl_or_b32 v11, v11, 4, v39
	ds_add_u32 v11, v62
	s_wait_alu 0xfffe
	s_or_b32 exec_lo, exec_lo, s1
	s_delay_alu instid0(SALU_CYCLE_1)
	s_mov_b32 s1, exec_lo
	v_cmpx_gt_u32_e64 s0, v36
	s_cbranch_execz .LBB1877_41
.LBB1877_48:                            ;   in Loop: Header=BB1877_21 Depth=2
	v_cmp_lt_i16_e32 vcc_lo, -1, v4
	s_wait_alu 0xfffd
	v_cndmask_b32_e64 v11, -1, 0xffff8000, vcc_lo
	s_delay_alu instid0(VALU_DEP_1) | instskip(NEXT) | instid1(VALU_DEP_1)
	v_xor_b32_e32 v11, v11, v4
	v_cmp_ne_u16_e32 vcc_lo, 0x7fff, v11
	s_wait_alu 0xfffd
	v_cndmask_b32_e32 v11, 0xffff8000, v11, vcc_lo
	s_delay_alu instid0(VALU_DEP_1) | instskip(NEXT) | instid1(VALU_DEP_1)
	v_and_b32_e32 v11, 0xffff, v11
	v_lshrrev_b32_e32 v11, s23, v11
	s_delay_alu instid0(VALU_DEP_1) | instskip(NEXT) | instid1(VALU_DEP_1)
	v_and_b32_e32 v11, s42, v11
	v_lshl_or_b32 v11, v11, 4, v39
	ds_add_u32 v11, v62
	s_wait_alu 0xfffe
	s_or_b32 exec_lo, exec_lo, s1
	v_cmp_gt_u32_e32 vcc_lo, s0, v37
	s_and_saveexec_b32 s0, vcc_lo
	s_cbranch_execz .LBB1877_20
.LBB1877_49:                            ;   in Loop: Header=BB1877_21 Depth=2
	v_cmp_lt_i16_e32 vcc_lo, -1, v2
	s_wait_alu 0xfffd
	v_cndmask_b32_e64 v11, -1, 0xffff8000, vcc_lo
	s_delay_alu instid0(VALU_DEP_1) | instskip(NEXT) | instid1(VALU_DEP_1)
	v_xor_b32_e32 v11, v11, v2
	v_cmp_ne_u16_e32 vcc_lo, 0x7fff, v11
	s_wait_alu 0xfffd
	v_cndmask_b32_e32 v11, 0xffff8000, v11, vcc_lo
	s_delay_alu instid0(VALU_DEP_1) | instskip(NEXT) | instid1(VALU_DEP_1)
	v_and_b32_e32 v11, 0xffff, v11
	v_lshrrev_b32_e32 v11, s23, v11
	s_delay_alu instid0(VALU_DEP_1) | instskip(NEXT) | instid1(VALU_DEP_1)
	v_and_b32_e32 v11, s42, v11
	v_lshl_or_b32 v11, v11, 4, v39
	ds_add_u32 v11, v62
	s_branch .LBB1877_20
.LBB1877_50:                            ;   in Loop: Header=BB1877_21 Depth=2
	global_load_u16 v10, v82, s[0:1]
	s_or_b32 exec_lo, exec_lo, s11
	s_delay_alu instid0(SALU_CYCLE_1)
	s_mov_b32 s11, exec_lo
	v_cmpx_gt_u32_e64 s9, v29
	s_cbranch_execz .LBB1877_26
.LBB1877_51:                            ;   in Loop: Header=BB1877_21 Depth=2
	global_load_u16 v9, v82, s[0:1] offset:512
	s_wait_alu 0xfffe
	s_or_b32 exec_lo, exec_lo, s11
	s_delay_alu instid0(SALU_CYCLE_1)
	s_mov_b32 s11, exec_lo
	v_cmpx_gt_u32_e64 s9, v30
	s_cbranch_execz .LBB1877_27
.LBB1877_52:                            ;   in Loop: Header=BB1877_21 Depth=2
	global_load_u16 v8, v82, s[0:1] offset:1024
	s_wait_alu 0xfffe
	s_or_b32 exec_lo, exec_lo, s11
	s_delay_alu instid0(SALU_CYCLE_1)
	s_mov_b32 s11, exec_lo
	v_cmpx_gt_u32_e64 s9, v31
	s_cbranch_execz .LBB1877_28
.LBB1877_53:                            ;   in Loop: Header=BB1877_21 Depth=2
	global_load_u16 v7, v82, s[0:1] offset:1536
	s_wait_alu 0xfffe
	s_or_b32 exec_lo, exec_lo, s11
	s_delay_alu instid0(SALU_CYCLE_1)
	s_mov_b32 s11, exec_lo
	v_cmpx_gt_u32_e64 s9, v34
	s_cbranch_execz .LBB1877_29
.LBB1877_54:                            ;   in Loop: Header=BB1877_21 Depth=2
	global_load_u16 v6, v82, s[0:1] offset:2048
	s_wait_alu 0xfffe
	s_or_b32 exec_lo, exec_lo, s11
	s_delay_alu instid0(SALU_CYCLE_1)
	s_mov_b32 s11, exec_lo
	v_cmpx_gt_u32_e64 s9, v35
	s_cbranch_execz .LBB1877_30
.LBB1877_55:                            ;   in Loop: Header=BB1877_21 Depth=2
	global_load_u16 v5, v82, s[0:1] offset:2560
	s_wait_alu 0xfffe
	s_or_b32 exec_lo, exec_lo, s11
	s_delay_alu instid0(SALU_CYCLE_1)
	s_mov_b32 s11, exec_lo
	v_cmpx_gt_u32_e64 s9, v36
	s_cbranch_execz .LBB1877_31
.LBB1877_56:                            ;   in Loop: Header=BB1877_21 Depth=2
	global_load_u16 v4, v82, s[0:1] offset:3072
	s_wait_alu 0xfffe
	s_or_b32 exec_lo, exec_lo, s11
	s_delay_alu instid0(SALU_CYCLE_1)
	s_mov_b32 s11, exec_lo
	v_cmpx_gt_u32_e64 s9, v37
	s_cbranch_execnz .LBB1877_32
	s_branch .LBB1877_33
.LBB1877_57:                            ;   in Loop: Header=BB1877_17 Depth=1
	v_mov_b32_e32 v2, 0
	s_wait_dscnt 0x0
	s_barrier_signal -1
	s_barrier_wait -1
	global_inv scope:SCOPE_SE
	s_and_saveexec_b32 s0, s2
	s_cbranch_execz .LBB1877_59
; %bb.58:                               ;   in Loop: Header=BB1877_17 Depth=1
	ds_load_2addr_b64 v[4:7], v40 offset1:1
	s_wait_dscnt 0x0
	v_add_nc_u32_e32 v2, v5, v4
	s_delay_alu instid0(VALU_DEP_1)
	v_add3_u32 v2, v2, v6, v7
.LBB1877_59:                            ;   in Loop: Header=BB1877_17 Depth=1
	s_wait_alu 0xfffe
	s_or_b32 exec_lo, exec_lo, s0
	s_delay_alu instid0(VALU_DEP_1)
	v_mov_b32_dpp v4, v2 row_shr:1 row_mask:0xf bank_mask:0xf
	v_cmp_eq_u32_e64 s0, 0, v63
	v_cmp_lt_u32_e64 s1, 1, v63
	v_cmp_lt_u32_e64 s9, 3, v63
	;; [unrolled: 1-line block ×3, first 2 shown]
	v_cmp_eq_u32_e64 s11, 0, v65
	s_wait_alu 0xf1ff
	v_cndmask_b32_e64 v4, v4, 0, s0
	s_delay_alu instid0(VALU_DEP_1) | instskip(NEXT) | instid1(VALU_DEP_1)
	v_add_nc_u32_e32 v2, v4, v2
	v_mov_b32_dpp v4, v2 row_shr:2 row_mask:0xf bank_mask:0xf
	s_delay_alu instid0(VALU_DEP_1) | instskip(NEXT) | instid1(VALU_DEP_1)
	v_cndmask_b32_e64 v4, 0, v4, s1
	v_add_nc_u32_e32 v2, v2, v4
	s_delay_alu instid0(VALU_DEP_1) | instskip(NEXT) | instid1(VALU_DEP_1)
	v_mov_b32_dpp v4, v2 row_shr:4 row_mask:0xf bank_mask:0xf
	v_cndmask_b32_e64 v4, 0, v4, s9
	s_delay_alu instid0(VALU_DEP_1) | instskip(NEXT) | instid1(VALU_DEP_1)
	v_add_nc_u32_e32 v2, v2, v4
	v_mov_b32_dpp v4, v2 row_shr:8 row_mask:0xf bank_mask:0xf
	s_delay_alu instid0(VALU_DEP_1) | instskip(NEXT) | instid1(VALU_DEP_1)
	v_cndmask_b32_e64 v4, 0, v4, s10
	v_add_nc_u32_e32 v2, v2, v4
	ds_swizzle_b32 v4, v2 offset:swizzle(BROADCAST,32,15)
	s_wait_dscnt 0x0
	v_and_b32_e32 v4, v64, v4
	s_delay_alu instid0(VALU_DEP_1)
	v_add_nc_u32_e32 v2, v2, v4
	s_and_saveexec_b32 s12, s3
; %bb.60:                               ;   in Loop: Header=BB1877_17 Depth=1
	ds_store_b32 v41, v2
; %bb.61:                               ;   in Loop: Header=BB1877_17 Depth=1
	s_wait_alu 0xfffe
	s_or_b32 exec_lo, exec_lo, s12
	s_wait_loadcnt_dscnt 0x0
	s_barrier_signal -1
	s_barrier_wait -1
	global_inv scope:SCOPE_SE
	s_and_saveexec_b32 s12, s4
	s_cbranch_execz .LBB1877_63
; %bb.62:                               ;   in Loop: Header=BB1877_17 Depth=1
	ds_load_b32 v4, v42
	v_cmp_ne_u32_e32 vcc_lo, 0, v67
	s_wait_dscnt 0x0
	v_mov_b32_dpp v5, v4 row_shr:1 row_mask:0xf bank_mask:0xf
	s_wait_alu 0xfffd
	s_delay_alu instid0(VALU_DEP_1) | instskip(SKIP_1) | instid1(VALU_DEP_2)
	v_cndmask_b32_e32 v5, 0, v5, vcc_lo
	v_cmp_lt_u32_e32 vcc_lo, 1, v67
	v_add_nc_u32_e32 v4, v5, v4
	s_delay_alu instid0(VALU_DEP_1) | instskip(SKIP_1) | instid1(VALU_DEP_1)
	v_mov_b32_dpp v5, v4 row_shr:2 row_mask:0xf bank_mask:0xf
	s_wait_alu 0xfffd
	v_cndmask_b32_e32 v5, 0, v5, vcc_lo
	v_cmp_lt_u32_e32 vcc_lo, 3, v67
	s_delay_alu instid0(VALU_DEP_2) | instskip(NEXT) | instid1(VALU_DEP_1)
	v_add_nc_u32_e32 v4, v4, v5
	v_mov_b32_dpp v5, v4 row_shr:4 row_mask:0xf bank_mask:0xf
	s_wait_alu 0xfffd
	s_delay_alu instid0(VALU_DEP_1) | instskip(NEXT) | instid1(VALU_DEP_1)
	v_cndmask_b32_e32 v5, 0, v5, vcc_lo
	v_add_nc_u32_e32 v4, v4, v5
	ds_store_b32 v42, v4
.LBB1877_63:                            ;   in Loop: Header=BB1877_17 Depth=1
	s_wait_alu 0xfffe
	s_or_b32 exec_lo, exec_lo, s12
	v_mov_b32_e32 v4, 0
	s_wait_loadcnt_dscnt 0x0
	s_barrier_signal -1
	s_barrier_wait -1
	global_inv scope:SCOPE_SE
	s_and_saveexec_b32 s12, s5
; %bb.64:                               ;   in Loop: Header=BB1877_17 Depth=1
	ds_load_b32 v4, v44
; %bb.65:                               ;   in Loop: Header=BB1877_17 Depth=1
	s_wait_alu 0xfffe
	s_or_b32 exec_lo, exec_lo, s12
	v_cmp_gt_i32_e32 vcc_lo, 0, v68
	s_wait_dscnt 0x0
	v_add_nc_u32_e32 v2, v4, v2
	s_wait_loadcnt 0x0
	s_barrier_signal -1
	s_barrier_wait -1
	s_wait_alu 0xfffd
	v_cndmask_b32_e32 v5, v68, v59, vcc_lo
	global_inv scope:SCOPE_SE
	v_lshlrev_b32_e32 v87, 2, v5
	ds_bpermute_b32 v2, v87, v2
	s_and_saveexec_b32 s12, s2
	s_cbranch_execz .LBB1877_67
; %bb.66:                               ;   in Loop: Header=BB1877_17 Depth=1
	s_wait_dscnt 0x0
	v_cndmask_b32_e64 v2, v2, v4, s8
	s_delay_alu instid0(VALU_DEP_1)
	v_add_nc_u32_e32 v2, s33, v2
	ds_store_b32 v28, v2
.LBB1877_67:                            ;   in Loop: Header=BB1877_17 Depth=1
	s_wait_alu 0xfffe
	s_or_b32 exec_lo, exec_lo, s12
	s_clause 0x1
	s_load_b32 s12, s[28:29], 0x4
	s_load_b32 s14, s[28:29], 0xc
	s_mov_b32 s43, s47
                                        ; implicit-def: $vgpr6_vgpr7
                                        ; implicit-def: $vgpr8_vgpr9
                                        ; implicit-def: $vgpr10_vgpr11
                                        ; implicit-def: $vgpr12_vgpr13
                                        ; implicit-def: $vgpr14_vgpr15
                                        ; implicit-def: $vgpr16_vgpr17
                                        ; implicit-def: $vgpr18_vgpr19
                                        ; implicit-def: $vgpr89
                                        ; implicit-def: $vgpr90
                                        ; implicit-def: $vgpr91
                                        ; implicit-def: $vgpr92
                                        ; implicit-def: $vgpr93
                                        ; implicit-def: $vgpr94
                                        ; implicit-def: $vgpr95
                                        ; implicit-def: $vgpr96
	s_wait_kmcnt 0x0
	s_cmp_lt_u32 ttmp7, s12
	s_cselect_b32 s30, 14, 20
	s_wait_alu 0xfffe
	s_add_nc_u64 s[12:13], s[28:29], s[30:31]
	s_mov_b32 s30, s33
	s_load_u16 s12, s[12:13], 0x0
	v_cmp_lt_u32_e64 s13, 1, v67
	s_wait_dscnt 0x0
	s_wait_kmcnt 0x0
	v_mad_u32_u24 v2, v45, s12, v0
	s_and_b32 s12, s14, 0xffff
	v_cmp_lt_u32_e64 s14, 3, v67
	s_wait_alu 0xfffe
	s_delay_alu instid0(VALU_DEP_2) | instskip(SKIP_1) | instid1(VALU_DEP_2)
	v_mad_co_u64_u32 v[4:5], null, v2, s12, v[1:2]
	v_cmp_eq_u32_e64 s12, 0, v67
	v_lshrrev_b32_e32 v2, 3, v4
                                        ; implicit-def: $vgpr4_vgpr5
	s_delay_alu instid0(VALU_DEP_1)
	v_and_b32_e32 v88, 0x1ffffffc, v2
	s_branch .LBB1877_69
.LBB1877_68:                            ;   in Loop: Header=BB1877_69 Depth=2
	s_wait_alu 0xfffe
	s_or_b32 exec_lo, exec_lo, s15
	s_addk_co_i32 s43, 0xf800
	s_cmp_lt_u32 s44, s34
	s_mov_b32 s30, s44
	s_cbranch_scc0 .LBB1877_181
.LBB1877_69:                            ;   Parent Loop BB1877_17 Depth=1
                                        ; =>  This Inner Loop Header: Depth=2
	s_wait_alu 0xfffe
	s_add_co_i32 s44, s30, 0x800
	s_wait_alu 0xfffe
	s_cmp_gt_u32 s44, s34
	s_cbranch_scc1 .LBB1877_71
; %bb.70:                               ;   in Loop: Header=BB1877_69 Depth=2
	s_lshl_b64 s[16:17], s[30:31], 1
	s_mov_b32 s15, -1
	s_wait_alu 0xfffe
	v_add_co_u32 v20, vcc_lo, v85, s16
	s_wait_alu 0xfffd
	v_add_co_ci_u32_e64 v21, null, s17, v86, vcc_lo
	s_clause 0x6
	global_load_u16 v2, v[20:21], off
	global_load_u16 v27, v[20:21], off offset:64
	global_load_u16 v26, v[20:21], off offset:128
	;; [unrolled: 1-line block ×6, first 2 shown]
	s_movk_i32 s16, 0x800
	s_cbranch_execz .LBB1877_72
	s_branch .LBB1877_87
.LBB1877_71:                            ;   in Loop: Header=BB1877_69 Depth=2
	s_mov_b32 s15, 0
                                        ; implicit-def: $vgpr2
                                        ; implicit-def: $vgpr27
                                        ; implicit-def: $vgpr26
                                        ; implicit-def: $vgpr25
                                        ; implicit-def: $vgpr24
                                        ; implicit-def: $vgpr23
                                        ; implicit-def: $vgpr22
	s_movk_i32 s16, 0x800
.LBB1877_72:                            ;   in Loop: Header=BB1877_69 Depth=2
	s_lshl_b64 s[16:17], s[30:31], 1
	s_wait_loadcnt 0x5
	v_dual_mov_b32 v27, 0x7fff :: v_dual_mov_b32 v2, 0x7fff
	s_wait_alu 0xfffe
	v_add_co_u32 v20, vcc_lo, v85, s16
	s_wait_alu 0xfffd
	v_add_co_ci_u32_e64 v21, null, s17, v86, vcc_lo
	s_mov_b32 s15, exec_lo
	v_cmpx_gt_u32_e64 s43, v66
	s_cbranch_execz .LBB1877_74
; %bb.73:                               ;   in Loop: Header=BB1877_69 Depth=2
	global_load_u16 v2, v[20:21], off
.LBB1877_74:                            ;   in Loop: Header=BB1877_69 Depth=2
	s_wait_alu 0xfffe
	s_or_b32 exec_lo, exec_lo, s15
	s_delay_alu instid0(SALU_CYCLE_1)
	s_mov_b32 s15, exec_lo
	v_cmpx_gt_u32_e64 s43, v70
	s_cbranch_execz .LBB1877_76
; %bb.75:                               ;   in Loop: Header=BB1877_69 Depth=2
	global_load_u16 v27, v[20:21], off offset:64
.LBB1877_76:                            ;   in Loop: Header=BB1877_69 Depth=2
	s_wait_alu 0xfffe
	s_or_b32 exec_lo, exec_lo, s15
	s_wait_loadcnt 0x3
	v_dual_mov_b32 v25, 0x7fff :: v_dual_mov_b32 v26, 0x7fff
	s_mov_b32 s15, exec_lo
	v_cmpx_gt_u32_e64 s43, v71
	s_cbranch_execz .LBB1877_78
; %bb.77:                               ;   in Loop: Header=BB1877_69 Depth=2
	global_load_u16 v26, v[20:21], off offset:128
.LBB1877_78:                            ;   in Loop: Header=BB1877_69 Depth=2
	s_wait_alu 0xfffe
	s_or_b32 exec_lo, exec_lo, s15
	s_delay_alu instid0(SALU_CYCLE_1)
	s_mov_b32 s15, exec_lo
	v_cmpx_gt_u32_e64 s43, v72
	s_cbranch_execz .LBB1877_80
; %bb.79:                               ;   in Loop: Header=BB1877_69 Depth=2
	global_load_u16 v25, v[20:21], off offset:192
.LBB1877_80:                            ;   in Loop: Header=BB1877_69 Depth=2
	s_wait_alu 0xfffe
	s_or_b32 exec_lo, exec_lo, s15
	s_wait_loadcnt 0x1
	v_dual_mov_b32 v23, 0x7fff :: v_dual_mov_b32 v24, 0x7fff
	s_mov_b32 s15, exec_lo
	v_cmpx_gt_u32_e64 s43, v73
	s_cbranch_execz .LBB1877_82
; %bb.81:                               ;   in Loop: Header=BB1877_69 Depth=2
	global_load_u16 v24, v[20:21], off offset:256
.LBB1877_82:                            ;   in Loop: Header=BB1877_69 Depth=2
	s_wait_alu 0xfffe
	s_or_b32 exec_lo, exec_lo, s15
	s_delay_alu instid0(SALU_CYCLE_1)
	s_mov_b32 s15, exec_lo
	v_cmpx_gt_u32_e64 s43, v74
	s_cbranch_execz .LBB1877_84
; %bb.83:                               ;   in Loop: Header=BB1877_69 Depth=2
	global_load_u16 v23, v[20:21], off offset:320
.LBB1877_84:                            ;   in Loop: Header=BB1877_69 Depth=2
	s_wait_alu 0xfffe
	s_or_b32 exec_lo, exec_lo, s15
	s_wait_loadcnt 0x0
	v_mov_b32_e32 v22, 0x7fff
	s_mov_b32 s15, exec_lo
	v_cmpx_gt_u32_e64 s43, v75
	s_cbranch_execz .LBB1877_86
; %bb.85:                               ;   in Loop: Header=BB1877_69 Depth=2
	global_load_u16 v22, v[20:21], off offset:384
.LBB1877_86:                            ;   in Loop: Header=BB1877_69 Depth=2
	s_wait_alu 0xfffe
	s_or_b32 exec_lo, exec_lo, s15
	v_cmp_gt_u32_e64 s15, s43, v76
	s_sub_co_i32 s16, s34, s30
.LBB1877_87:                            ;   in Loop: Header=BB1877_69 Depth=2
	v_dual_mov_b32 v20, 0x7fff :: v_dual_mov_b32 v97, s43
	s_and_saveexec_b32 s17, s15
	s_cbranch_execz .LBB1877_89
; %bb.88:                               ;   in Loop: Header=BB1877_69 Depth=2
	s_lshl_b64 s[18:19], s[30:31], 1
	s_wait_alu 0xfffe
	v_mov_b32_e32 v97, s16
	v_add_co_u32 v20, vcc_lo, v85, s18
	s_wait_alu 0xfffd
	v_add_co_ci_u32_e64 v21, null, s19, v86, vcc_lo
	global_load_u16 v20, v[20:21], off offset:448
.LBB1877_89:                            ;   in Loop: Header=BB1877_69 Depth=2
	s_wait_alu 0xfffe
	s_or_b32 exec_lo, exec_lo, s17
	s_wait_loadcnt 0x6
	v_cmp_lt_i16_e32 vcc_lo, -1, v2
	ds_store_2addr_b32 v81, v3, v3 offset1:1
	ds_store_2addr_b32 v78, v3, v3 offset1:1
	;; [unrolled: 1-line block ×4, first 2 shown]
	ds_store_b32 v43, v3 offset:1088
	s_wait_loadcnt_dscnt 0x0
	s_barrier_signal -1
	s_wait_alu 0xfffd
	v_cndmask_b32_e64 v21, -1, 0xffff8000, vcc_lo
	s_barrier_wait -1
	global_inv scope:SCOPE_SE
	; wave barrier
	v_xor_b32_e32 v2, v21, v2
	s_delay_alu instid0(VALU_DEP_1) | instskip(SKIP_2) | instid1(VALU_DEP_1)
	v_cmp_ne_u16_e32 vcc_lo, 0x7fff, v2
	s_wait_alu 0xfffd
	v_cndmask_b32_e32 v21, 0xffff8000, v2, vcc_lo
	v_and_b32_e32 v21, 0xffff, v21
	s_delay_alu instid0(VALU_DEP_1) | instskip(NEXT) | instid1(VALU_DEP_1)
	v_lshrrev_b32_e32 v21, s23, v21
	v_and_b32_e32 v99, s42, v21
	s_delay_alu instid0(VALU_DEP_1)
	v_and_b32_e32 v21, 1, v99
	v_lshlrev_b32_e32 v98, 30, v99
	v_lshlrev_b32_e32 v100, 29, v99
	;; [unrolled: 1-line block ×4, first 2 shown]
	v_add_co_u32 v21, s15, v21, -1
	s_wait_alu 0xf1ff
	v_cndmask_b32_e64 v102, 0, 1, s15
	v_not_b32_e32 v106, v98
	v_cmp_gt_i32_e64 s15, 0, v98
	v_not_b32_e32 v98, v100
	v_lshlrev_b32_e32 v104, 26, v99
	v_cmp_ne_u32_e32 vcc_lo, 0, v102
	v_ashrrev_i32_e32 v106, 31, v106
	v_lshlrev_b32_e32 v105, 25, v99
	v_ashrrev_i32_e32 v98, 31, v98
	v_lshlrev_b32_e32 v102, 24, v99
	s_wait_alu 0xfffd
	v_xor_b32_e32 v21, vcc_lo, v21
	v_cmp_gt_i32_e32 vcc_lo, 0, v100
	v_not_b32_e32 v100, v101
	s_wait_alu 0xf1ff
	v_xor_b32_e32 v106, s15, v106
	v_cmp_gt_i32_e64 s15, 0, v101
	v_and_b32_e32 v21, exec_lo, v21
	v_not_b32_e32 v101, v103
	v_ashrrev_i32_e32 v100, 31, v100
	s_wait_alu 0xfffd
	v_xor_b32_e32 v98, vcc_lo, v98
	v_cmp_gt_i32_e32 vcc_lo, 0, v103
	v_and_b32_e32 v21, v21, v106
	v_not_b32_e32 v103, v104
	v_ashrrev_i32_e32 v101, 31, v101
	s_wait_alu 0xf1ff
	v_xor_b32_e32 v100, s15, v100
	v_cmp_gt_i32_e64 s15, 0, v104
	v_and_b32_e32 v21, v21, v98
	v_not_b32_e32 v98, v105
	v_ashrrev_i32_e32 v103, 31, v103
	s_wait_alu 0xfffd
	v_xor_b32_e32 v101, vcc_lo, v101
	v_cmp_gt_i32_e32 vcc_lo, 0, v105
	v_and_b32_e32 v21, v21, v100
	v_not_b32_e32 v100, v102
	v_ashrrev_i32_e32 v98, 31, v98
	s_wait_alu 0xf1ff
	v_xor_b32_e32 v103, s15, v103
	v_cmp_gt_i32_e64 s15, 0, v102
	v_and_b32_e32 v21, v21, v101
	v_ashrrev_i32_e32 v100, 31, v100
	s_wait_alu 0xfffd
	v_xor_b32_e32 v98, vcc_lo, v98
	v_mul_u32_u24_e32 v99, 36, v99
	v_and_b32_e32 v21, v21, v103
	s_wait_alu 0xf1ff
	v_xor_b32_e32 v100, s15, v100
	s_delay_alu instid0(VALU_DEP_2) | instskip(NEXT) | instid1(VALU_DEP_1)
	v_and_b32_e32 v21, v21, v98
	v_and_b32_e32 v21, v21, v100
	v_add_nc_u32_e32 v100, v88, v99
	s_delay_alu instid0(VALU_DEP_2) | instskip(SKIP_1) | instid1(VALU_DEP_2)
	v_mbcnt_lo_u32_b32 v98, v21, 0
	v_cmp_ne_u32_e64 s15, 0, v21
	v_cmp_eq_u32_e32 vcc_lo, 0, v98
	s_and_b32 s16, s15, vcc_lo
	s_wait_alu 0xfffe
	s_and_saveexec_b32 s15, s16
; %bb.90:                               ;   in Loop: Header=BB1877_69 Depth=2
	v_bcnt_u32_b32 v21, v21, 0
	ds_store_b32 v100, v21 offset:1056
; %bb.91:                               ;   in Loop: Header=BB1877_69 Depth=2
	s_wait_alu 0xfffe
	s_or_b32 exec_lo, exec_lo, s15
	v_cmp_lt_i16_e32 vcc_lo, -1, v27
	; wave barrier
	s_wait_alu 0xfffd
	v_cndmask_b32_e64 v21, -1, 0xffff8000, vcc_lo
	s_delay_alu instid0(VALU_DEP_1) | instskip(NEXT) | instid1(VALU_DEP_1)
	v_xor_b32_e32 v99, v21, v27
	v_cmp_ne_u16_e32 vcc_lo, 0x7fff, v99
	s_wait_alu 0xfffd
	v_cndmask_b32_e32 v21, 0xffff8000, v99, vcc_lo
	s_delay_alu instid0(VALU_DEP_1) | instskip(NEXT) | instid1(VALU_DEP_1)
	v_and_b32_e32 v21, 0xffff, v21
	v_lshrrev_b32_e32 v21, s23, v21
	s_delay_alu instid0(VALU_DEP_1) | instskip(NEXT) | instid1(VALU_DEP_1)
	v_and_b32_e32 v27, s42, v21
	v_and_b32_e32 v21, 1, v27
	v_lshlrev_b32_e32 v101, 30, v27
	v_lshlrev_b32_e32 v102, 29, v27
	v_lshlrev_b32_e32 v103, 28, v27
	v_lshlrev_b32_e32 v105, 27, v27
	v_add_co_u32 v21, s15, v21, -1
	s_wait_alu 0xf1ff
	v_cndmask_b32_e64 v104, 0, 1, s15
	v_not_b32_e32 v108, v101
	v_cmp_gt_i32_e64 s15, 0, v101
	v_not_b32_e32 v101, v102
	v_lshlrev_b32_e32 v106, 26, v27
	v_cmp_ne_u32_e32 vcc_lo, 0, v104
	v_ashrrev_i32_e32 v108, 31, v108
	v_lshlrev_b32_e32 v107, 25, v27
	v_ashrrev_i32_e32 v101, 31, v101
	v_lshlrev_b32_e32 v104, 24, v27
	s_wait_alu 0xfffd
	v_xor_b32_e32 v21, vcc_lo, v21
	v_cmp_gt_i32_e32 vcc_lo, 0, v102
	v_not_b32_e32 v102, v103
	s_wait_alu 0xf1ff
	v_xor_b32_e32 v108, s15, v108
	v_cmp_gt_i32_e64 s15, 0, v103
	v_and_b32_e32 v21, exec_lo, v21
	v_not_b32_e32 v103, v105
	v_ashrrev_i32_e32 v102, 31, v102
	s_wait_alu 0xfffd
	v_xor_b32_e32 v101, vcc_lo, v101
	v_cmp_gt_i32_e32 vcc_lo, 0, v105
	v_and_b32_e32 v21, v21, v108
	v_not_b32_e32 v105, v106
	v_ashrrev_i32_e32 v103, 31, v103
	s_wait_alu 0xf1ff
	v_xor_b32_e32 v102, s15, v102
	v_cmp_gt_i32_e64 s15, 0, v106
	v_and_b32_e32 v21, v21, v101
	v_not_b32_e32 v101, v107
	v_ashrrev_i32_e32 v105, 31, v105
	s_wait_alu 0xfffd
	v_xor_b32_e32 v103, vcc_lo, v103
	v_cmp_gt_i32_e32 vcc_lo, 0, v107
	v_and_b32_e32 v21, v21, v102
	v_not_b32_e32 v102, v104
	v_ashrrev_i32_e32 v101, 31, v101
	s_wait_alu 0xf1ff
	v_xor_b32_e32 v105, s15, v105
	v_cmp_gt_i32_e64 s15, 0, v104
	v_and_b32_e32 v21, v21, v103
	v_ashrrev_i32_e32 v102, 31, v102
	s_wait_alu 0xfffd
	v_xor_b32_e32 v101, vcc_lo, v101
	v_mad_u32_u24 v103, v27, 36, v88
	v_mul_u32_u24_e32 v27, 36, v27
	v_and_b32_e32 v21, v21, v105
	s_wait_alu 0xf1ff
	v_xor_b32_e32 v102, s15, v102
	s_delay_alu instid0(VALU_DEP_3) | instskip(NEXT) | instid1(VALU_DEP_3)
	v_add_nc_u32_e32 v104, v88, v27
	v_and_b32_e32 v21, v21, v101
	ds_load_b32 v101, v103 offset:1056
	; wave barrier
	v_and_b32_e32 v21, v21, v102
	s_delay_alu instid0(VALU_DEP_1) | instskip(SKIP_1) | instid1(VALU_DEP_2)
	v_mbcnt_lo_u32_b32 v102, v21, 0
	v_cmp_ne_u32_e64 s15, 0, v21
	v_cmp_eq_u32_e32 vcc_lo, 0, v102
	s_and_b32 s16, s15, vcc_lo
	s_wait_alu 0xfffe
	s_and_saveexec_b32 s15, s16
	s_cbranch_execz .LBB1877_93
; %bb.92:                               ;   in Loop: Header=BB1877_69 Depth=2
	s_wait_dscnt 0x0
	v_bcnt_u32_b32 v21, v21, v101
	ds_store_b32 v104, v21 offset:1056
.LBB1877_93:                            ;   in Loop: Header=BB1877_69 Depth=2
	s_wait_alu 0xfffe
	s_or_b32 exec_lo, exec_lo, s15
	v_cmp_lt_i16_e32 vcc_lo, -1, v26
	; wave barrier
	s_wait_alu 0xfffd
	v_cndmask_b32_e64 v21, -1, 0xffff8000, vcc_lo
	s_delay_alu instid0(VALU_DEP_1) | instskip(NEXT) | instid1(VALU_DEP_1)
	v_xor_b32_e32 v103, v21, v26
	v_cmp_ne_u16_e32 vcc_lo, 0x7fff, v103
	s_wait_alu 0xfffd
	v_cndmask_b32_e32 v21, 0xffff8000, v103, vcc_lo
	s_delay_alu instid0(VALU_DEP_1) | instskip(NEXT) | instid1(VALU_DEP_1)
	v_and_b32_e32 v21, 0xffff, v21
	v_lshrrev_b32_e32 v21, s23, v21
	s_delay_alu instid0(VALU_DEP_1) | instskip(NEXT) | instid1(VALU_DEP_1)
	v_and_b32_e32 v26, s42, v21
	v_and_b32_e32 v21, 1, v26
	v_lshlrev_b32_e32 v27, 30, v26
	v_lshlrev_b32_e32 v105, 29, v26
	;; [unrolled: 1-line block ×4, first 2 shown]
	v_add_co_u32 v21, s15, v21, -1
	s_wait_alu 0xf1ff
	v_cndmask_b32_e64 v107, 0, 1, s15
	v_not_b32_e32 v111, v27
	v_cmp_gt_i32_e64 s15, 0, v27
	v_not_b32_e32 v27, v105
	v_lshlrev_b32_e32 v109, 26, v26
	v_cmp_ne_u32_e32 vcc_lo, 0, v107
	v_ashrrev_i32_e32 v111, 31, v111
	v_lshlrev_b32_e32 v110, 25, v26
	v_ashrrev_i32_e32 v27, 31, v27
	v_lshlrev_b32_e32 v107, 24, v26
	s_wait_alu 0xfffd
	v_xor_b32_e32 v21, vcc_lo, v21
	v_cmp_gt_i32_e32 vcc_lo, 0, v105
	v_not_b32_e32 v105, v106
	s_wait_alu 0xf1ff
	v_xor_b32_e32 v111, s15, v111
	v_cmp_gt_i32_e64 s15, 0, v106
	v_and_b32_e32 v21, exec_lo, v21
	v_not_b32_e32 v106, v108
	v_ashrrev_i32_e32 v105, 31, v105
	s_wait_alu 0xfffd
	v_xor_b32_e32 v27, vcc_lo, v27
	v_cmp_gt_i32_e32 vcc_lo, 0, v108
	v_and_b32_e32 v21, v21, v111
	v_not_b32_e32 v108, v109
	v_ashrrev_i32_e32 v106, 31, v106
	s_wait_alu 0xf1ff
	v_xor_b32_e32 v105, s15, v105
	v_cmp_gt_i32_e64 s15, 0, v109
	v_and_b32_e32 v21, v21, v27
	v_not_b32_e32 v27, v110
	v_ashrrev_i32_e32 v108, 31, v108
	s_wait_alu 0xfffd
	v_xor_b32_e32 v106, vcc_lo, v106
	v_cmp_gt_i32_e32 vcc_lo, 0, v110
	v_and_b32_e32 v21, v21, v105
	v_not_b32_e32 v105, v107
	v_ashrrev_i32_e32 v27, 31, v27
	s_wait_alu 0xf1ff
	v_xor_b32_e32 v108, s15, v108
	v_cmp_gt_i32_e64 s15, 0, v107
	v_and_b32_e32 v21, v21, v106
	v_ashrrev_i32_e32 v105, 31, v105
	s_wait_alu 0xfffd
	v_xor_b32_e32 v27, vcc_lo, v27
	v_mad_u32_u24 v106, v26, 36, v88
	v_mul_u32_u24_e32 v26, 36, v26
	v_and_b32_e32 v21, v21, v108
	s_wait_alu 0xf1ff
	v_xor_b32_e32 v107, s15, v105
	ds_load_b32 v105, v106 offset:1056
	v_add_nc_u32_e32 v108, v88, v26
	v_and_b32_e32 v21, v21, v27
	; wave barrier
	s_delay_alu instid0(VALU_DEP_1) | instskip(NEXT) | instid1(VALU_DEP_1)
	v_and_b32_e32 v21, v21, v107
	v_mbcnt_lo_u32_b32 v107, v21, 0
	v_cmp_ne_u32_e64 s15, 0, v21
	s_delay_alu instid0(VALU_DEP_2)
	v_cmp_eq_u32_e32 vcc_lo, 0, v107
	s_and_b32 s16, s15, vcc_lo
	s_wait_alu 0xfffe
	s_and_saveexec_b32 s15, s16
	s_cbranch_execz .LBB1877_95
; %bb.94:                               ;   in Loop: Header=BB1877_69 Depth=2
	s_wait_dscnt 0x0
	v_bcnt_u32_b32 v21, v21, v105
	ds_store_b32 v108, v21 offset:1056
.LBB1877_95:                            ;   in Loop: Header=BB1877_69 Depth=2
	s_wait_alu 0xfffe
	s_or_b32 exec_lo, exec_lo, s15
	v_cmp_lt_i16_e32 vcc_lo, -1, v25
	; wave barrier
	s_wait_alu 0xfffd
	v_cndmask_b32_e64 v21, -1, 0xffff8000, vcc_lo
	s_delay_alu instid0(VALU_DEP_1) | instskip(NEXT) | instid1(VALU_DEP_1)
	v_xor_b32_e32 v106, v21, v25
	v_cmp_ne_u16_e32 vcc_lo, 0x7fff, v106
	s_wait_alu 0xfffd
	v_cndmask_b32_e32 v21, 0xffff8000, v106, vcc_lo
	s_delay_alu instid0(VALU_DEP_1) | instskip(NEXT) | instid1(VALU_DEP_1)
	v_and_b32_e32 v21, 0xffff, v21
	v_lshrrev_b32_e32 v21, s23, v21
	s_delay_alu instid0(VALU_DEP_1) | instskip(NEXT) | instid1(VALU_DEP_1)
	v_and_b32_e32 v25, s42, v21
	v_and_b32_e32 v21, 1, v25
	v_lshlrev_b32_e32 v26, 30, v25
	v_lshlrev_b32_e32 v27, 29, v25
	;; [unrolled: 1-line block ×4, first 2 shown]
	v_add_co_u32 v21, s15, v21, -1
	s_wait_alu 0xf1ff
	v_cndmask_b32_e64 v110, 0, 1, s15
	v_not_b32_e32 v114, v26
	v_cmp_gt_i32_e64 s15, 0, v26
	v_not_b32_e32 v26, v27
	v_lshlrev_b32_e32 v112, 26, v25
	v_cmp_ne_u32_e32 vcc_lo, 0, v110
	v_ashrrev_i32_e32 v114, 31, v114
	v_lshlrev_b32_e32 v113, 25, v25
	v_ashrrev_i32_e32 v26, 31, v26
	v_lshlrev_b32_e32 v110, 24, v25
	s_wait_alu 0xfffd
	v_xor_b32_e32 v21, vcc_lo, v21
	v_cmp_gt_i32_e32 vcc_lo, 0, v27
	v_not_b32_e32 v27, v109
	s_wait_alu 0xf1ff
	v_xor_b32_e32 v114, s15, v114
	v_cmp_gt_i32_e64 s15, 0, v109
	v_and_b32_e32 v21, exec_lo, v21
	v_not_b32_e32 v109, v111
	v_ashrrev_i32_e32 v27, 31, v27
	s_wait_alu 0xfffd
	v_xor_b32_e32 v26, vcc_lo, v26
	v_cmp_gt_i32_e32 vcc_lo, 0, v111
	v_and_b32_e32 v21, v21, v114
	v_not_b32_e32 v111, v112
	v_ashrrev_i32_e32 v109, 31, v109
	s_wait_alu 0xf1ff
	v_xor_b32_e32 v27, s15, v27
	v_cmp_gt_i32_e64 s15, 0, v112
	v_and_b32_e32 v21, v21, v26
	v_not_b32_e32 v26, v113
	v_ashrrev_i32_e32 v111, 31, v111
	s_wait_alu 0xfffd
	v_xor_b32_e32 v109, vcc_lo, v109
	v_cmp_gt_i32_e32 vcc_lo, 0, v113
	v_and_b32_e32 v21, v21, v27
	v_not_b32_e32 v27, v110
	v_ashrrev_i32_e32 v26, 31, v26
	s_wait_alu 0xf1ff
	v_xor_b32_e32 v111, s15, v111
	v_cmp_gt_i32_e64 s15, 0, v110
	v_and_b32_e32 v21, v21, v109
	v_ashrrev_i32_e32 v27, 31, v27
	s_wait_alu 0xfffd
	v_xor_b32_e32 v26, vcc_lo, v26
	v_mad_u32_u24 v109, v25, 36, v88
	v_mul_u32_u24_e32 v25, 36, v25
	v_and_b32_e32 v21, v21, v111
	s_wait_alu 0xf1ff
	v_xor_b32_e32 v27, s15, v27
	ds_load_b32 v109, v109 offset:1056
	v_add_nc_u32_e32 v112, v88, v25
	v_and_b32_e32 v21, v21, v26
	; wave barrier
	s_delay_alu instid0(VALU_DEP_1) | instskip(NEXT) | instid1(VALU_DEP_1)
	v_and_b32_e32 v21, v21, v27
	v_mbcnt_lo_u32_b32 v111, v21, 0
	v_cmp_ne_u32_e64 s15, 0, v21
	s_delay_alu instid0(VALU_DEP_2)
	v_cmp_eq_u32_e32 vcc_lo, 0, v111
	s_and_b32 s16, s15, vcc_lo
	s_wait_alu 0xfffe
	s_and_saveexec_b32 s15, s16
	s_cbranch_execz .LBB1877_97
; %bb.96:                               ;   in Loop: Header=BB1877_69 Depth=2
	s_wait_dscnt 0x0
	v_bcnt_u32_b32 v21, v21, v109
	ds_store_b32 v112, v21 offset:1056
.LBB1877_97:                            ;   in Loop: Header=BB1877_69 Depth=2
	s_wait_alu 0xfffe
	s_or_b32 exec_lo, exec_lo, s15
	v_cmp_lt_i16_e32 vcc_lo, -1, v24
	; wave barrier
	s_wait_alu 0xfffd
	v_cndmask_b32_e64 v21, -1, 0xffff8000, vcc_lo
	s_delay_alu instid0(VALU_DEP_1) | instskip(NEXT) | instid1(VALU_DEP_1)
	v_xor_b32_e32 v110, v21, v24
	v_cmp_ne_u16_e32 vcc_lo, 0x7fff, v110
	s_wait_alu 0xfffd
	v_cndmask_b32_e32 v21, 0xffff8000, v110, vcc_lo
	s_delay_alu instid0(VALU_DEP_1) | instskip(NEXT) | instid1(VALU_DEP_1)
	v_and_b32_e32 v21, 0xffff, v21
	v_lshrrev_b32_e32 v21, s23, v21
	s_delay_alu instid0(VALU_DEP_1) | instskip(NEXT) | instid1(VALU_DEP_1)
	v_and_b32_e32 v24, s42, v21
	v_and_b32_e32 v21, 1, v24
	v_lshlrev_b32_e32 v25, 30, v24
	v_lshlrev_b32_e32 v26, 29, v24
	;; [unrolled: 1-line block ×4, first 2 shown]
	v_add_co_u32 v21, s15, v21, -1
	s_wait_alu 0xf1ff
	v_cndmask_b32_e64 v113, 0, 1, s15
	v_not_b32_e32 v117, v25
	v_cmp_gt_i32_e64 s15, 0, v25
	v_not_b32_e32 v25, v26
	v_lshlrev_b32_e32 v115, 26, v24
	v_cmp_ne_u32_e32 vcc_lo, 0, v113
	v_ashrrev_i32_e32 v117, 31, v117
	v_lshlrev_b32_e32 v116, 25, v24
	v_ashrrev_i32_e32 v25, 31, v25
	v_lshlrev_b32_e32 v113, 24, v24
	s_wait_alu 0xfffd
	v_xor_b32_e32 v21, vcc_lo, v21
	v_cmp_gt_i32_e32 vcc_lo, 0, v26
	v_not_b32_e32 v26, v27
	s_wait_alu 0xf1ff
	v_xor_b32_e32 v117, s15, v117
	v_cmp_gt_i32_e64 s15, 0, v27
	v_and_b32_e32 v21, exec_lo, v21
	v_not_b32_e32 v27, v114
	v_ashrrev_i32_e32 v26, 31, v26
	s_wait_alu 0xfffd
	v_xor_b32_e32 v25, vcc_lo, v25
	v_cmp_gt_i32_e32 vcc_lo, 0, v114
	v_and_b32_e32 v21, v21, v117
	v_not_b32_e32 v114, v115
	v_ashrrev_i32_e32 v27, 31, v27
	s_wait_alu 0xf1ff
	v_xor_b32_e32 v26, s15, v26
	v_cmp_gt_i32_e64 s15, 0, v115
	v_and_b32_e32 v21, v21, v25
	v_not_b32_e32 v25, v116
	v_ashrrev_i32_e32 v114, 31, v114
	s_wait_alu 0xfffd
	v_xor_b32_e32 v27, vcc_lo, v27
	v_cmp_gt_i32_e32 vcc_lo, 0, v116
	v_and_b32_e32 v21, v21, v26
	v_not_b32_e32 v26, v113
	v_ashrrev_i32_e32 v25, 31, v25
	s_wait_alu 0xf1ff
	v_xor_b32_e32 v114, s15, v114
	v_cmp_gt_i32_e64 s15, 0, v113
	v_and_b32_e32 v21, v21, v27
	v_ashrrev_i32_e32 v26, 31, v26
	s_wait_alu 0xfffd
	v_xor_b32_e32 v25, vcc_lo, v25
	v_mad_u32_u24 v27, v24, 36, v88
	v_mul_u32_u24_e32 v24, 36, v24
	v_and_b32_e32 v21, v21, v114
	s_wait_alu 0xf1ff
	v_xor_b32_e32 v26, s15, v26
	ds_load_b32 v113, v27 offset:1056
	v_add_nc_u32_e32 v116, v88, v24
	v_and_b32_e32 v21, v21, v25
	; wave barrier
	s_delay_alu instid0(VALU_DEP_1) | instskip(NEXT) | instid1(VALU_DEP_1)
	v_and_b32_e32 v21, v21, v26
	v_mbcnt_lo_u32_b32 v115, v21, 0
	v_cmp_ne_u32_e64 s15, 0, v21
	s_delay_alu instid0(VALU_DEP_2)
	v_cmp_eq_u32_e32 vcc_lo, 0, v115
	s_and_b32 s16, s15, vcc_lo
	s_wait_alu 0xfffe
	s_and_saveexec_b32 s15, s16
	s_cbranch_execz .LBB1877_99
; %bb.98:                               ;   in Loop: Header=BB1877_69 Depth=2
	s_wait_dscnt 0x0
	v_bcnt_u32_b32 v21, v21, v113
	ds_store_b32 v116, v21 offset:1056
.LBB1877_99:                            ;   in Loop: Header=BB1877_69 Depth=2
	s_wait_alu 0xfffe
	s_or_b32 exec_lo, exec_lo, s15
	v_cmp_lt_i16_e32 vcc_lo, -1, v23
	; wave barrier
	s_wait_alu 0xfffd
	v_cndmask_b32_e64 v21, -1, 0xffff8000, vcc_lo
	s_delay_alu instid0(VALU_DEP_1) | instskip(NEXT) | instid1(VALU_DEP_1)
	v_xor_b32_e32 v114, v21, v23
	v_cmp_ne_u16_e32 vcc_lo, 0x7fff, v114
	s_wait_alu 0xfffd
	v_cndmask_b32_e32 v21, 0xffff8000, v114, vcc_lo
	s_delay_alu instid0(VALU_DEP_1) | instskip(NEXT) | instid1(VALU_DEP_1)
	v_and_b32_e32 v21, 0xffff, v21
	v_lshrrev_b32_e32 v21, s23, v21
	s_delay_alu instid0(VALU_DEP_1) | instskip(NEXT) | instid1(VALU_DEP_1)
	v_and_b32_e32 v23, s42, v21
	v_and_b32_e32 v21, 1, v23
	v_lshlrev_b32_e32 v24, 30, v23
	v_lshlrev_b32_e32 v25, 29, v23
	v_lshlrev_b32_e32 v26, 28, v23
	v_lshlrev_b32_e32 v117, 27, v23
	v_add_co_u32 v21, s15, v21, -1
	s_wait_alu 0xf1ff
	v_cndmask_b32_e64 v27, 0, 1, s15
	v_not_b32_e32 v120, v24
	v_cmp_gt_i32_e64 s15, 0, v24
	v_not_b32_e32 v24, v25
	v_lshlrev_b32_e32 v118, 26, v23
	v_cmp_ne_u32_e32 vcc_lo, 0, v27
	v_ashrrev_i32_e32 v120, 31, v120
	v_lshlrev_b32_e32 v119, 25, v23
	v_ashrrev_i32_e32 v24, 31, v24
	v_lshlrev_b32_e32 v27, 24, v23
	s_wait_alu 0xfffd
	v_xor_b32_e32 v21, vcc_lo, v21
	v_cmp_gt_i32_e32 vcc_lo, 0, v25
	v_not_b32_e32 v25, v26
	s_wait_alu 0xf1ff
	v_xor_b32_e32 v120, s15, v120
	v_cmp_gt_i32_e64 s15, 0, v26
	v_and_b32_e32 v21, exec_lo, v21
	v_not_b32_e32 v26, v117
	v_ashrrev_i32_e32 v25, 31, v25
	s_wait_alu 0xfffd
	v_xor_b32_e32 v24, vcc_lo, v24
	v_cmp_gt_i32_e32 vcc_lo, 0, v117
	v_and_b32_e32 v21, v21, v120
	v_not_b32_e32 v117, v118
	v_ashrrev_i32_e32 v26, 31, v26
	s_wait_alu 0xf1ff
	v_xor_b32_e32 v25, s15, v25
	v_cmp_gt_i32_e64 s15, 0, v118
	v_and_b32_e32 v21, v21, v24
	v_not_b32_e32 v24, v119
	v_ashrrev_i32_e32 v117, 31, v117
	s_wait_alu 0xfffd
	v_xor_b32_e32 v26, vcc_lo, v26
	v_cmp_gt_i32_e32 vcc_lo, 0, v119
	v_and_b32_e32 v21, v21, v25
	v_not_b32_e32 v25, v27
	v_ashrrev_i32_e32 v24, 31, v24
	s_wait_alu 0xf1ff
	v_xor_b32_e32 v117, s15, v117
	v_cmp_gt_i32_e64 s15, 0, v27
	v_and_b32_e32 v21, v21, v26
	v_ashrrev_i32_e32 v25, 31, v25
	s_wait_alu 0xfffd
	v_xor_b32_e32 v24, vcc_lo, v24
	v_mad_u32_u24 v26, v23, 36, v88
	v_mul_u32_u24_e32 v23, 36, v23
	v_and_b32_e32 v21, v21, v117
	s_wait_alu 0xf1ff
	v_xor_b32_e32 v25, s15, v25
	ds_load_b32 v117, v26 offset:1056
	v_add_nc_u32_e32 v120, v88, v23
	v_and_b32_e32 v21, v21, v24
	; wave barrier
	s_delay_alu instid0(VALU_DEP_1) | instskip(NEXT) | instid1(VALU_DEP_1)
	v_and_b32_e32 v21, v21, v25
	v_mbcnt_lo_u32_b32 v119, v21, 0
	v_cmp_ne_u32_e64 s15, 0, v21
	s_delay_alu instid0(VALU_DEP_2)
	v_cmp_eq_u32_e32 vcc_lo, 0, v119
	s_and_b32 s16, s15, vcc_lo
	s_wait_alu 0xfffe
	s_and_saveexec_b32 s15, s16
	s_cbranch_execz .LBB1877_101
; %bb.100:                              ;   in Loop: Header=BB1877_69 Depth=2
	s_wait_dscnt 0x0
	v_bcnt_u32_b32 v21, v21, v117
	ds_store_b32 v120, v21 offset:1056
.LBB1877_101:                           ;   in Loop: Header=BB1877_69 Depth=2
	s_wait_alu 0xfffe
	s_or_b32 exec_lo, exec_lo, s15
	v_cmp_lt_i16_e32 vcc_lo, -1, v22
	; wave barrier
	s_wait_alu 0xfffd
	v_cndmask_b32_e64 v21, -1, 0xffff8000, vcc_lo
	s_delay_alu instid0(VALU_DEP_1) | instskip(NEXT) | instid1(VALU_DEP_1)
	v_xor_b32_e32 v118, v21, v22
	v_cmp_ne_u16_e32 vcc_lo, 0x7fff, v118
	s_wait_alu 0xfffd
	v_cndmask_b32_e32 v21, 0xffff8000, v118, vcc_lo
	s_delay_alu instid0(VALU_DEP_1) | instskip(NEXT) | instid1(VALU_DEP_1)
	v_and_b32_e32 v21, 0xffff, v21
	v_lshrrev_b32_e32 v21, s23, v21
	s_delay_alu instid0(VALU_DEP_1) | instskip(NEXT) | instid1(VALU_DEP_1)
	v_and_b32_e32 v22, s42, v21
	v_and_b32_e32 v21, 1, v22
	v_lshlrev_b32_e32 v23, 30, v22
	v_lshlrev_b32_e32 v24, 29, v22
	;; [unrolled: 1-line block ×4, first 2 shown]
	v_add_co_u32 v21, s15, v21, -1
	s_wait_alu 0xf1ff
	v_cndmask_b32_e64 v26, 0, 1, s15
	v_not_b32_e32 v123, v23
	v_cmp_gt_i32_e64 s15, 0, v23
	v_not_b32_e32 v23, v24
	v_lshlrev_b32_e32 v121, 26, v22
	v_cmp_ne_u32_e32 vcc_lo, 0, v26
	v_ashrrev_i32_e32 v123, 31, v123
	v_lshlrev_b32_e32 v122, 25, v22
	v_ashrrev_i32_e32 v23, 31, v23
	v_lshlrev_b32_e32 v26, 24, v22
	s_wait_alu 0xfffd
	v_xor_b32_e32 v21, vcc_lo, v21
	v_cmp_gt_i32_e32 vcc_lo, 0, v24
	v_not_b32_e32 v24, v25
	s_wait_alu 0xf1ff
	v_xor_b32_e32 v123, s15, v123
	v_cmp_gt_i32_e64 s15, 0, v25
	v_and_b32_e32 v21, exec_lo, v21
	v_not_b32_e32 v25, v27
	v_ashrrev_i32_e32 v24, 31, v24
	s_wait_alu 0xfffd
	v_xor_b32_e32 v23, vcc_lo, v23
	v_cmp_gt_i32_e32 vcc_lo, 0, v27
	v_and_b32_e32 v21, v21, v123
	v_not_b32_e32 v27, v121
	v_ashrrev_i32_e32 v25, 31, v25
	s_wait_alu 0xf1ff
	v_xor_b32_e32 v24, s15, v24
	v_cmp_gt_i32_e64 s15, 0, v121
	v_and_b32_e32 v21, v21, v23
	v_not_b32_e32 v23, v122
	v_ashrrev_i32_e32 v27, 31, v27
	s_wait_alu 0xfffd
	v_xor_b32_e32 v25, vcc_lo, v25
	v_cmp_gt_i32_e32 vcc_lo, 0, v122
	v_and_b32_e32 v21, v21, v24
	v_not_b32_e32 v24, v26
	v_ashrrev_i32_e32 v23, 31, v23
	s_wait_alu 0xf1ff
	v_xor_b32_e32 v27, s15, v27
	v_cmp_gt_i32_e64 s15, 0, v26
	v_and_b32_e32 v21, v21, v25
	v_ashrrev_i32_e32 v24, 31, v24
	s_wait_alu 0xfffd
	v_xor_b32_e32 v23, vcc_lo, v23
	v_mad_u32_u24 v25, v22, 36, v88
	v_mul_u32_u24_e32 v22, 36, v22
	v_and_b32_e32 v21, v21, v27
	s_wait_alu 0xf1ff
	v_xor_b32_e32 v24, s15, v24
	ds_load_b32 v121, v25 offset:1056
	v_add_nc_u32_e32 v124, v88, v22
	v_and_b32_e32 v21, v21, v23
	; wave barrier
	s_delay_alu instid0(VALU_DEP_1) | instskip(NEXT) | instid1(VALU_DEP_1)
	v_and_b32_e32 v21, v21, v24
	v_mbcnt_lo_u32_b32 v122, v21, 0
	v_cmp_ne_u32_e64 s15, 0, v21
	s_delay_alu instid0(VALU_DEP_2)
	v_cmp_eq_u32_e32 vcc_lo, 0, v122
	s_and_b32 s16, s15, vcc_lo
	s_wait_alu 0xfffe
	s_and_saveexec_b32 s15, s16
	s_cbranch_execz .LBB1877_103
; %bb.102:                              ;   in Loop: Header=BB1877_69 Depth=2
	s_wait_dscnt 0x0
	v_bcnt_u32_b32 v21, v21, v121
	ds_store_b32 v124, v21 offset:1056
.LBB1877_103:                           ;   in Loop: Header=BB1877_69 Depth=2
	s_wait_alu 0xfffe
	s_or_b32 exec_lo, exec_lo, s15
	v_cmp_lt_i16_e32 vcc_lo, -1, v20
	; wave barrier
	s_wait_alu 0xfffd
	v_cndmask_b32_e64 v21, -1, 0xffff8000, vcc_lo
	s_delay_alu instid0(VALU_DEP_1) | instskip(NEXT) | instid1(VALU_DEP_1)
	v_xor_b32_e32 v123, v21, v20
	v_cmp_ne_u16_e32 vcc_lo, 0x7fff, v123
	s_wait_alu 0xfffd
	v_cndmask_b32_e32 v20, 0xffff8000, v123, vcc_lo
	s_delay_alu instid0(VALU_DEP_1) | instskip(NEXT) | instid1(VALU_DEP_1)
	v_and_b32_e32 v20, 0xffff, v20
	v_lshrrev_b32_e32 v20, s23, v20
	s_delay_alu instid0(VALU_DEP_1) | instskip(NEXT) | instid1(VALU_DEP_1)
	v_and_b32_e32 v21, s42, v20
	v_and_b32_e32 v20, 1, v21
	v_lshlrev_b32_e32 v22, 30, v21
	v_lshlrev_b32_e32 v23, 29, v21
	;; [unrolled: 1-line block ×4, first 2 shown]
	v_add_co_u32 v20, s15, v20, -1
	s_wait_alu 0xf1ff
	v_cndmask_b32_e64 v25, 0, 1, s15
	v_not_b32_e32 v126, v22
	v_cmp_gt_i32_e64 s15, 0, v22
	v_not_b32_e32 v22, v23
	v_lshlrev_b32_e32 v27, 26, v21
	v_cmp_ne_u32_e32 vcc_lo, 0, v25
	v_ashrrev_i32_e32 v126, 31, v126
	v_lshlrev_b32_e32 v125, 25, v21
	v_ashrrev_i32_e32 v22, 31, v22
	v_lshlrev_b32_e32 v25, 24, v21
	s_wait_alu 0xfffd
	v_xor_b32_e32 v20, vcc_lo, v20
	v_cmp_gt_i32_e32 vcc_lo, 0, v23
	v_not_b32_e32 v23, v24
	s_wait_alu 0xf1ff
	v_xor_b32_e32 v126, s15, v126
	v_cmp_gt_i32_e64 s15, 0, v24
	v_and_b32_e32 v20, exec_lo, v20
	v_not_b32_e32 v24, v26
	v_ashrrev_i32_e32 v23, 31, v23
	s_wait_alu 0xfffd
	v_xor_b32_e32 v22, vcc_lo, v22
	v_cmp_gt_i32_e32 vcc_lo, 0, v26
	v_and_b32_e32 v20, v20, v126
	v_not_b32_e32 v26, v27
	v_ashrrev_i32_e32 v24, 31, v24
	s_wait_alu 0xf1ff
	v_xor_b32_e32 v23, s15, v23
	v_cmp_gt_i32_e64 s15, 0, v27
	v_and_b32_e32 v20, v20, v22
	v_not_b32_e32 v22, v125
	v_ashrrev_i32_e32 v26, 31, v26
	s_wait_alu 0xfffd
	v_xor_b32_e32 v24, vcc_lo, v24
	v_cmp_gt_i32_e32 vcc_lo, 0, v125
	v_and_b32_e32 v20, v20, v23
	v_not_b32_e32 v23, v25
	v_ashrrev_i32_e32 v22, 31, v22
	s_wait_alu 0xf1ff
	v_xor_b32_e32 v26, s15, v26
	v_cmp_gt_i32_e64 s15, 0, v25
	v_and_b32_e32 v20, v20, v24
	v_ashrrev_i32_e32 v23, 31, v23
	s_wait_alu 0xfffd
	v_xor_b32_e32 v22, vcc_lo, v22
	v_mad_u32_u24 v24, v21, 36, v88
	v_mul_u32_u24_e32 v21, 36, v21
	v_and_b32_e32 v20, v20, v26
	s_wait_alu 0xf1ff
	v_xor_b32_e32 v23, s15, v23
	ds_load_b32 v125, v24 offset:1056
	v_add_nc_u32_e32 v127, v88, v21
	v_and_b32_e32 v20, v20, v22
	; wave barrier
	s_delay_alu instid0(VALU_DEP_1) | instskip(NEXT) | instid1(VALU_DEP_1)
	v_and_b32_e32 v20, v20, v23
	v_mbcnt_lo_u32_b32 v126, v20, 0
	v_cmp_ne_u32_e64 s15, 0, v20
	s_delay_alu instid0(VALU_DEP_2)
	v_cmp_eq_u32_e32 vcc_lo, 0, v126
	s_and_b32 s16, s15, vcc_lo
	s_wait_alu 0xfffe
	s_and_saveexec_b32 s15, s16
	s_cbranch_execz .LBB1877_105
; %bb.104:                              ;   in Loop: Header=BB1877_69 Depth=2
	s_wait_dscnt 0x0
	v_bcnt_u32_b32 v20, v20, v125
	ds_store_b32 v127, v20 offset:1056
.LBB1877_105:                           ;   in Loop: Header=BB1877_69 Depth=2
	s_wait_alu 0xfffe
	s_or_b32 exec_lo, exec_lo, s15
	; wave barrier
	s_wait_loadcnt_dscnt 0x0
	s_barrier_signal -1
	s_barrier_wait -1
	global_inv scope:SCOPE_SE
	ds_load_2addr_b32 v[26:27], v78 offset1:1
	ds_load_2addr_b32 v[24:25], v79 offset1:1
	;; [unrolled: 1-line block ×4, first 2 shown]
	ds_load_b32 v128, v43 offset:1088
	s_wait_dscnt 0x3
	v_add3_u32 v129, v27, v26, v24
	s_wait_dscnt 0x2
	s_delay_alu instid0(VALU_DEP_1) | instskip(SKIP_1) | instid1(VALU_DEP_1)
	v_add3_u32 v129, v129, v25, v22
	s_wait_dscnt 0x1
	v_add3_u32 v129, v129, v23, v20
	s_wait_dscnt 0x0
	s_delay_alu instid0(VALU_DEP_1) | instskip(NEXT) | instid1(VALU_DEP_1)
	v_add3_u32 v128, v129, v21, v128
	v_mov_b32_dpp v129, v128 row_shr:1 row_mask:0xf bank_mask:0xf
	s_delay_alu instid0(VALU_DEP_1) | instskip(NEXT) | instid1(VALU_DEP_1)
	v_cndmask_b32_e64 v129, v129, 0, s0
	v_add_nc_u32_e32 v128, v129, v128
	s_delay_alu instid0(VALU_DEP_1) | instskip(NEXT) | instid1(VALU_DEP_1)
	v_mov_b32_dpp v129, v128 row_shr:2 row_mask:0xf bank_mask:0xf
	v_cndmask_b32_e64 v129, 0, v129, s1
	s_delay_alu instid0(VALU_DEP_1) | instskip(NEXT) | instid1(VALU_DEP_1)
	v_add_nc_u32_e32 v128, v128, v129
	v_mov_b32_dpp v129, v128 row_shr:4 row_mask:0xf bank_mask:0xf
	s_delay_alu instid0(VALU_DEP_1) | instskip(NEXT) | instid1(VALU_DEP_1)
	v_cndmask_b32_e64 v129, 0, v129, s9
	v_add_nc_u32_e32 v128, v128, v129
	s_delay_alu instid0(VALU_DEP_1) | instskip(NEXT) | instid1(VALU_DEP_1)
	v_mov_b32_dpp v129, v128 row_shr:8 row_mask:0xf bank_mask:0xf
	v_cndmask_b32_e64 v129, 0, v129, s10
	s_delay_alu instid0(VALU_DEP_1) | instskip(SKIP_3) | instid1(VALU_DEP_1)
	v_add_nc_u32_e32 v128, v128, v129
	ds_swizzle_b32 v129, v128 offset:swizzle(BROADCAST,32,15)
	s_wait_dscnt 0x0
	v_cndmask_b32_e64 v129, v129, 0, s11
	v_add_nc_u32_e32 v128, v128, v129
	s_and_saveexec_b32 s15, s3
; %bb.106:                              ;   in Loop: Header=BB1877_69 Depth=2
	ds_store_b32 v38, v128 offset:1024
; %bb.107:                              ;   in Loop: Header=BB1877_69 Depth=2
	s_wait_alu 0xfffe
	s_or_b32 exec_lo, exec_lo, s15
	s_wait_loadcnt_dscnt 0x0
	s_barrier_signal -1
	s_barrier_wait -1
	global_inv scope:SCOPE_SE
	s_and_saveexec_b32 s15, s4
	s_cbranch_execz .LBB1877_109
; %bb.108:                              ;   in Loop: Header=BB1877_69 Depth=2
	ds_load_b32 v129, v46 offset:1024
	s_wait_dscnt 0x0
	v_mov_b32_dpp v130, v129 row_shr:1 row_mask:0xf bank_mask:0xf
	s_delay_alu instid0(VALU_DEP_1) | instskip(NEXT) | instid1(VALU_DEP_1)
	v_cndmask_b32_e64 v130, v130, 0, s12
	v_add_nc_u32_e32 v129, v130, v129
	s_delay_alu instid0(VALU_DEP_1) | instskip(NEXT) | instid1(VALU_DEP_1)
	v_mov_b32_dpp v130, v129 row_shr:2 row_mask:0xf bank_mask:0xf
	v_cndmask_b32_e64 v130, 0, v130, s13
	s_delay_alu instid0(VALU_DEP_1) | instskip(NEXT) | instid1(VALU_DEP_1)
	v_add_nc_u32_e32 v129, v129, v130
	v_mov_b32_dpp v130, v129 row_shr:4 row_mask:0xf bank_mask:0xf
	s_delay_alu instid0(VALU_DEP_1) | instskip(NEXT) | instid1(VALU_DEP_1)
	v_cndmask_b32_e64 v130, 0, v130, s14
	v_add_nc_u32_e32 v129, v129, v130
	ds_store_b32 v46, v129 offset:1024
.LBB1877_109:                           ;   in Loop: Header=BB1877_69 Depth=2
	s_wait_alu 0xfffe
	s_or_b32 exec_lo, exec_lo, s15
	v_mov_b32_e32 v129, 0
	s_wait_loadcnt_dscnt 0x0
	s_barrier_signal -1
	s_barrier_wait -1
	global_inv scope:SCOPE_SE
	s_and_saveexec_b32 s15, s5
; %bb.110:                              ;   in Loop: Header=BB1877_69 Depth=2
	ds_load_b32 v129, v38 offset:1020
; %bb.111:                              ;   in Loop: Header=BB1877_69 Depth=2
	s_wait_alu 0xfffe
	s_or_b32 exec_lo, exec_lo, s15
	s_wait_dscnt 0x0
	v_add_nc_u32_e32 v128, v129, v128
	ds_bpermute_b32 v128, v87, v128
	s_wait_dscnt 0x0
	v_cndmask_b32_e64 v128, v128, v129, s8
	s_delay_alu instid0(VALU_DEP_1) | instskip(NEXT) | instid1(VALU_DEP_1)
	v_cndmask_b32_e64 v128, v128, 0, s6
	v_add_nc_u32_e32 v26, v128, v26
	s_delay_alu instid0(VALU_DEP_1) | instskip(NEXT) | instid1(VALU_DEP_1)
	v_add_nc_u32_e32 v27, v26, v27
	v_add_nc_u32_e32 v24, v27, v24
	s_delay_alu instid0(VALU_DEP_1) | instskip(NEXT) | instid1(VALU_DEP_1)
	v_add_nc_u32_e32 v25, v24, v25
	;; [unrolled: 3-line block ×3, first 2 shown]
	v_add_nc_u32_e32 v20, v23, v20
	s_delay_alu instid0(VALU_DEP_1)
	v_add_nc_u32_e32 v21, v20, v21
	ds_store_2addr_b32 v81, v23, v20 offset1:1
	ds_store_2addr_b32 v78, v128, v26 offset1:1
	ds_store_2addr_b32 v79, v27, v24 offset1:1
	ds_store_2addr_b32 v80, v25, v22 offset1:1
	ds_store_b32 v43, v21 offset:1088
	s_wait_loadcnt_dscnt 0x0
	s_barrier_signal -1
	s_barrier_wait -1
	global_inv scope:SCOPE_SE
	ds_load_b32 v23, v100 offset:1056
	ds_load_b32 v24, v104 offset:1056
	;; [unrolled: 1-line block ×9, first 2 shown]
	v_mov_b32_e32 v22, 0x800
	s_and_saveexec_b32 s15, s7
; %bb.112:                              ;   in Loop: Header=BB1877_69 Depth=2
	ds_load_b32 v22, v43 offset:1092
; %bb.113:                              ;   in Loop: Header=BB1877_69 Depth=2
	s_wait_alu 0xfffe
	s_or_b32 exec_lo, exec_lo, s15
	s_wait_loadcnt_dscnt 0x0
	s_barrier_signal -1
	s_barrier_wait -1
	global_inv scope:SCOPE_SE
	s_and_saveexec_b32 s15, s2
	s_cbranch_execz .LBB1877_115
; %bb.114:                              ;   in Loop: Header=BB1877_69 Depth=2
	ds_load_b32 v104, v28
	s_wait_dscnt 0x0
	v_sub_nc_u32_e32 v100, v104, v100
	ds_store_b32 v28, v100
.LBB1877_115:                           ;   in Loop: Header=BB1877_69 Depth=2
	s_wait_alu 0xfffe
	s_or_b32 exec_lo, exec_lo, s15
	v_add_nc_u32_e32 v104, v23, v98
	v_add3_u32 v100, v102, v101, v24
	v_add3_u32 v98, v107, v105, v25
	;; [unrolled: 1-line block ×4, first 2 shown]
	v_lshlrev_b32_e32 v101, 1, v104
	v_lshlrev_b32_e32 v102, 1, v100
	v_add3_u32 v23, v119, v117, v108
	v_lshlrev_b32_e32 v105, 1, v98
	v_add3_u32 v27, v122, v121, v20
	v_add3_u32 v26, v126, v125, v21
	ds_store_b16 v101, v2 offset:1024
	ds_store_b16 v102, v99 offset:1024
	;; [unrolled: 1-line block ×3, first 2 shown]
	v_lshlrev_b32_e32 v2, 1, v25
	v_cmp_lt_u32_e32 vcc_lo, v1, v97
	v_lshlrev_b32_e32 v20, 1, v24
	v_lshlrev_b32_e32 v21, 1, v23
	;; [unrolled: 1-line block ×4, first 2 shown]
	ds_store_b16 v2, v106 offset:1024
	ds_store_b16 v20, v110 offset:1024
	;; [unrolled: 1-line block ×5, first 2 shown]
	s_wait_loadcnt_dscnt 0x0
	s_barrier_signal -1
	s_barrier_wait -1
	global_inv scope:SCOPE_SE
	s_and_saveexec_b32 s16, vcc_lo
	s_cbranch_execnz .LBB1877_152
; %bb.116:                              ;   in Loop: Header=BB1877_69 Depth=2
	s_wait_alu 0xfffe
	s_or_b32 exec_lo, exec_lo, s16
	v_cmp_lt_u32_e64 s15, v29, v97
	s_and_saveexec_b32 s17, s15
	s_cbranch_execnz .LBB1877_153
.LBB1877_117:                           ;   in Loop: Header=BB1877_69 Depth=2
	s_wait_alu 0xfffe
	s_or_b32 exec_lo, exec_lo, s17
	v_cmp_lt_u32_e64 s16, v30, v97
	s_and_saveexec_b32 s18, s16
	s_cbranch_execnz .LBB1877_154
.LBB1877_118:                           ;   in Loop: Header=BB1877_69 Depth=2
	s_wait_alu 0xfffe
	s_or_b32 exec_lo, exec_lo, s18
	v_cmp_lt_u32_e64 s17, v31, v97
	s_and_saveexec_b32 s19, s17
	s_cbranch_execnz .LBB1877_155
.LBB1877_119:                           ;   in Loop: Header=BB1877_69 Depth=2
	s_wait_alu 0xfffe
	s_or_b32 exec_lo, exec_lo, s19
	v_cmp_lt_u32_e64 s18, v34, v97
	s_and_saveexec_b32 s20, s18
	s_cbranch_execnz .LBB1877_156
.LBB1877_120:                           ;   in Loop: Header=BB1877_69 Depth=2
	s_wait_alu 0xfffe
	s_or_b32 exec_lo, exec_lo, s20
	v_cmp_lt_u32_e64 s19, v35, v97
	s_and_saveexec_b32 s21, s19
	s_cbranch_execnz .LBB1877_157
.LBB1877_121:                           ;   in Loop: Header=BB1877_69 Depth=2
	s_wait_alu 0xfffe
	s_or_b32 exec_lo, exec_lo, s21
	v_cmp_lt_u32_e64 s20, v36, v97
	s_and_saveexec_b32 s22, s20
	s_cbranch_execnz .LBB1877_158
.LBB1877_122:                           ;   in Loop: Header=BB1877_69 Depth=2
	s_wait_alu 0xfffe
	s_or_b32 exec_lo, exec_lo, s22
	v_cmp_lt_u32_e64 s21, v37, v97
	s_and_saveexec_b32 s48, s21
	s_cbranch_execz .LBB1877_124
.LBB1877_123:                           ;   in Loop: Header=BB1877_69 Depth=2
	ds_load_u16 v99, v47 offset:4608
	s_wait_dscnt 0x0
	v_cmp_ne_u16_e64 s22, 0x7fff, v99
	s_wait_alu 0xf1ff
	s_delay_alu instid0(VALU_DEP_1) | instskip(SKIP_1) | instid1(VALU_DEP_2)
	v_cndmask_b32_e64 v2, 0xffff8000, v99, s22
	v_cmp_lt_i16_e64 s22, -1, v99
	v_and_b32_e32 v2, 0xffff, v2
	s_wait_alu 0xf1ff
	s_delay_alu instid0(VALU_DEP_2) | instskip(NEXT) | instid1(VALU_DEP_2)
	v_cndmask_b32_e64 v101, 0xffff8000, -1, s22
	v_lshrrev_b32_e32 v2, s23, v2
	s_delay_alu instid0(VALU_DEP_1) | instskip(NEXT) | instid1(VALU_DEP_1)
	v_and_b32_e32 v2, s42, v2
	v_lshlrev_b32_e32 v2, 2, v2
	ds_load_b32 v2, v2
	s_wait_dscnt 0x0
	v_add_nc_u32_e32 v2, v2, v37
	s_delay_alu instid0(VALU_DEP_1) | instskip(SKIP_1) | instid1(VALU_DEP_2)
	v_lshlrev_b64_e32 v[20:21], 1, v[2:3]
	v_xor_b32_e32 v2, v101, v99
	v_add_co_u32 v20, s22, s38, v20
	s_wait_alu 0xf1ff
	s_delay_alu instid0(VALU_DEP_3)
	v_add_co_ci_u32_e64 v21, null, s39, v21, s22
	global_store_b16 v[20:21], v2, off
.LBB1877_124:                           ;   in Loop: Header=BB1877_69 Depth=2
	s_wait_alu 0xfffe
	s_or_b32 exec_lo, exec_lo, s48
	s_lshl_b64 s[48:49], s[30:31], 3
	s_wait_alu 0xfffe
	v_add_co_u32 v20, s22, v83, s48
	s_wait_alu 0xf1ff
	v_add_co_ci_u32_e64 v21, null, s49, v84, s22
	v_cmp_lt_u32_e64 s22, v66, v97
	s_and_saveexec_b32 s30, s22
	s_wait_alu 0xfffe
	s_xor_b32 s22, exec_lo, s30
	s_cbranch_execnz .LBB1877_159
; %bb.125:                              ;   in Loop: Header=BB1877_69 Depth=2
	s_wait_alu 0xfffe
	s_or_b32 exec_lo, exec_lo, s22
	s_delay_alu instid0(SALU_CYCLE_1)
	s_mov_b32 s30, exec_lo
	v_cmpx_lt_u32_e64 v70, v97
	s_cbranch_execnz .LBB1877_160
.LBB1877_126:                           ;   in Loop: Header=BB1877_69 Depth=2
	s_wait_alu 0xfffe
	s_or_b32 exec_lo, exec_lo, s30
	s_delay_alu instid0(SALU_CYCLE_1)
	s_mov_b32 s30, exec_lo
	v_cmpx_lt_u32_e64 v71, v97
	s_cbranch_execnz .LBB1877_161
.LBB1877_127:                           ;   in Loop: Header=BB1877_69 Depth=2
	s_wait_alu 0xfffe
	s_or_b32 exec_lo, exec_lo, s30
	s_delay_alu instid0(SALU_CYCLE_1)
	s_mov_b32 s30, exec_lo
	v_cmpx_lt_u32_e64 v72, v97
	s_cbranch_execnz .LBB1877_162
.LBB1877_128:                           ;   in Loop: Header=BB1877_69 Depth=2
	s_wait_alu 0xfffe
	s_or_b32 exec_lo, exec_lo, s30
	s_delay_alu instid0(SALU_CYCLE_1)
	s_mov_b32 s30, exec_lo
	v_cmpx_lt_u32_e64 v73, v97
	s_cbranch_execnz .LBB1877_163
.LBB1877_129:                           ;   in Loop: Header=BB1877_69 Depth=2
	s_wait_alu 0xfffe
	s_or_b32 exec_lo, exec_lo, s30
	s_delay_alu instid0(SALU_CYCLE_1)
	s_mov_b32 s30, exec_lo
	v_cmpx_lt_u32_e64 v74, v97
	s_cbranch_execnz .LBB1877_164
.LBB1877_130:                           ;   in Loop: Header=BB1877_69 Depth=2
	s_wait_alu 0xfffe
	s_or_b32 exec_lo, exec_lo, s30
	s_delay_alu instid0(SALU_CYCLE_1)
	s_mov_b32 s30, exec_lo
	v_cmpx_lt_u32_e64 v75, v97
	s_cbranch_execnz .LBB1877_165
.LBB1877_131:                           ;   in Loop: Header=BB1877_69 Depth=2
	s_wait_alu 0xfffe
	s_or_b32 exec_lo, exec_lo, s30
	s_delay_alu instid0(SALU_CYCLE_1)
	s_mov_b32 s30, exec_lo
	v_cmpx_lt_u32_e64 v76, v97
	s_cbranch_execnz .LBB1877_166
.LBB1877_132:                           ;   in Loop: Header=BB1877_69 Depth=2
	s_wait_alu 0xfffe
	s_or_b32 exec_lo, exec_lo, s30
	s_and_saveexec_b32 s30, vcc_lo
	s_cbranch_execnz .LBB1877_167
.LBB1877_133:                           ;   in Loop: Header=BB1877_69 Depth=2
	s_wait_alu 0xfffe
	s_or_b32 exec_lo, exec_lo, s30
	s_and_saveexec_b32 s30, s15
	s_cbranch_execnz .LBB1877_168
.LBB1877_134:                           ;   in Loop: Header=BB1877_69 Depth=2
	s_wait_alu 0xfffe
	s_or_b32 exec_lo, exec_lo, s30
	s_and_saveexec_b32 s30, s16
	s_cbranch_execnz .LBB1877_169
.LBB1877_135:                           ;   in Loop: Header=BB1877_69 Depth=2
	s_wait_alu 0xfffe
	s_or_b32 exec_lo, exec_lo, s30
	s_and_saveexec_b32 s30, s17
	s_cbranch_execnz .LBB1877_170
.LBB1877_136:                           ;   in Loop: Header=BB1877_69 Depth=2
	s_wait_alu 0xfffe
	s_or_b32 exec_lo, exec_lo, s30
	s_and_saveexec_b32 s30, s18
	s_cbranch_execnz .LBB1877_171
.LBB1877_137:                           ;   in Loop: Header=BB1877_69 Depth=2
	s_wait_alu 0xfffe
	s_or_b32 exec_lo, exec_lo, s30
	s_and_saveexec_b32 s30, s19
	s_cbranch_execnz .LBB1877_172
.LBB1877_138:                           ;   in Loop: Header=BB1877_69 Depth=2
	s_wait_alu 0xfffe
	s_or_b32 exec_lo, exec_lo, s30
	s_and_saveexec_b32 s30, s20
	s_cbranch_execnz .LBB1877_173
.LBB1877_139:                           ;   in Loop: Header=BB1877_69 Depth=2
	s_wait_alu 0xfffe
	s_or_b32 exec_lo, exec_lo, s30
	s_and_saveexec_b32 s30, s21
	s_cbranch_execz .LBB1877_141
.LBB1877_140:                           ;   in Loop: Header=BB1877_69 Depth=2
	ds_load_u16 v2, v47 offset:4608
	s_wait_dscnt 0x0
	v_cmp_ne_u16_e64 s22, 0x7fff, v2
	s_wait_alu 0xf1ff
	s_delay_alu instid0(VALU_DEP_1) | instskip(NEXT) | instid1(VALU_DEP_1)
	v_cndmask_b32_e64 v2, 0xffff8000, v2, s22
	v_and_b32_e32 v2, 0xffff, v2
	s_delay_alu instid0(VALU_DEP_1) | instskip(NEXT) | instid1(VALU_DEP_1)
	v_lshrrev_b32_e32 v2, s23, v2
	v_and_b32_e32 v89, s42, v2
.LBB1877_141:                           ;   in Loop: Header=BB1877_69 Depth=2
	s_wait_alu 0xfffe
	s_or_b32 exec_lo, exec_lo, s30
	v_lshlrev_b32_e32 v2, 3, v104
	v_lshlrev_b32_e32 v20, 3, v100
	;; [unrolled: 1-line block ×3, first 2 shown]
	s_wait_loadcnt 0x0
	s_wait_storecnt 0x0
	s_barrier_signal -1
	s_barrier_wait -1
	global_inv scope:SCOPE_SE
	ds_store_b64 v2, v[18:19] offset:1024
	ds_store_b64 v20, v[16:17] offset:1024
	;; [unrolled: 1-line block ×3, first 2 shown]
	v_lshlrev_b32_e32 v2, 3, v25
	v_lshlrev_b32_e32 v20, 3, v24
	;; [unrolled: 1-line block ×5, first 2 shown]
	ds_store_b64 v2, v[12:13] offset:1024
	ds_store_b64 v20, v[10:11] offset:1024
	;; [unrolled: 1-line block ×5, first 2 shown]
	s_wait_loadcnt_dscnt 0x0
	s_barrier_signal -1
	s_barrier_wait -1
	global_inv scope:SCOPE_SE
	s_and_saveexec_b32 s22, vcc_lo
	s_cbranch_execnz .LBB1877_174
; %bb.142:                              ;   in Loop: Header=BB1877_69 Depth=2
	s_wait_alu 0xfffe
	s_or_b32 exec_lo, exec_lo, s22
	s_and_saveexec_b32 s22, s15
	s_cbranch_execnz .LBB1877_175
.LBB1877_143:                           ;   in Loop: Header=BB1877_69 Depth=2
	s_wait_alu 0xfffe
	s_or_b32 exec_lo, exec_lo, s22
	s_and_saveexec_b32 s15, s16
	s_cbranch_execnz .LBB1877_176
.LBB1877_144:                           ;   in Loop: Header=BB1877_69 Depth=2
	s_wait_alu 0xfffe
	s_or_b32 exec_lo, exec_lo, s15
	s_and_saveexec_b32 s15, s17
	s_cbranch_execnz .LBB1877_177
.LBB1877_145:                           ;   in Loop: Header=BB1877_69 Depth=2
	s_wait_alu 0xfffe
	s_or_b32 exec_lo, exec_lo, s15
	s_and_saveexec_b32 s15, s18
	s_cbranch_execnz .LBB1877_178
.LBB1877_146:                           ;   in Loop: Header=BB1877_69 Depth=2
	s_wait_alu 0xfffe
	s_or_b32 exec_lo, exec_lo, s15
	s_and_saveexec_b32 s15, s19
	s_cbranch_execnz .LBB1877_179
.LBB1877_147:                           ;   in Loop: Header=BB1877_69 Depth=2
	s_wait_alu 0xfffe
	s_or_b32 exec_lo, exec_lo, s15
	s_and_saveexec_b32 s15, s20
	s_cbranch_execnz .LBB1877_180
.LBB1877_148:                           ;   in Loop: Header=BB1877_69 Depth=2
	s_wait_alu 0xfffe
	s_or_b32 exec_lo, exec_lo, s15
	s_and_saveexec_b32 s15, s21
	s_cbranch_execz .LBB1877_150
.LBB1877_149:                           ;   in Loop: Header=BB1877_69 Depth=2
	v_lshlrev_b32_e32 v2, 2, v89
	v_add_nc_u32_e32 v20, v47, v48
	ds_load_b32 v2, v2
	ds_load_b64 v[20:21], v20 offset:15360
	s_wait_dscnt 0x1
	v_add_nc_u32_e32 v2, v2, v37
	s_delay_alu instid0(VALU_DEP_1) | instskip(NEXT) | instid1(VALU_DEP_1)
	v_lshlrev_b64_e32 v[23:24], 3, v[2:3]
	v_add_co_u32 v23, vcc_lo, s24, v23
	s_wait_alu 0xfffd
	s_delay_alu instid0(VALU_DEP_2)
	v_add_co_ci_u32_e64 v24, null, s25, v24, vcc_lo
	s_wait_dscnt 0x0
	global_store_b64 v[23:24], v[20:21], off
.LBB1877_150:                           ;   in Loop: Header=BB1877_69 Depth=2
	s_wait_alu 0xfffe
	s_or_b32 exec_lo, exec_lo, s15
	s_wait_loadcnt 0x0
	s_wait_storecnt 0x0
	s_barrier_signal -1
	s_barrier_wait -1
	global_inv scope:SCOPE_SE
	s_and_saveexec_b32 s15, s2
	s_cbranch_execz .LBB1877_68
; %bb.151:                              ;   in Loop: Header=BB1877_69 Depth=2
	ds_load_b32 v2, v28
	s_wait_dscnt 0x0
	v_add_nc_u32_e32 v2, v2, v22
	ds_store_b32 v28, v2
	s_branch .LBB1877_68
.LBB1877_152:                           ;   in Loop: Header=BB1877_69 Depth=2
	ds_load_u16 v99, v47 offset:1024
	s_wait_dscnt 0x0
	v_cmp_ne_u16_e64 s15, 0x7fff, v99
	s_wait_alu 0xf1ff
	s_delay_alu instid0(VALU_DEP_1) | instskip(SKIP_1) | instid1(VALU_DEP_2)
	v_cndmask_b32_e64 v2, 0xffff8000, v99, s15
	v_cmp_lt_i16_e64 s15, -1, v99
	v_and_b32_e32 v2, 0xffff, v2
	s_wait_alu 0xf1ff
	s_delay_alu instid0(VALU_DEP_2) | instskip(NEXT) | instid1(VALU_DEP_2)
	v_cndmask_b32_e64 v101, 0xffff8000, -1, s15
	v_lshrrev_b32_e32 v2, s23, v2
	s_delay_alu instid0(VALU_DEP_1) | instskip(NEXT) | instid1(VALU_DEP_1)
	v_and_b32_e32 v2, s42, v2
	v_lshlrev_b32_e32 v2, 2, v2
	ds_load_b32 v2, v2
	s_wait_dscnt 0x0
	v_add_nc_u32_e32 v2, v2, v1
	s_delay_alu instid0(VALU_DEP_1) | instskip(SKIP_1) | instid1(VALU_DEP_2)
	v_lshlrev_b64_e32 v[20:21], 1, v[2:3]
	v_xor_b32_e32 v2, v101, v99
	v_add_co_u32 v20, s15, s38, v20
	s_wait_alu 0xf1ff
	s_delay_alu instid0(VALU_DEP_3)
	v_add_co_ci_u32_e64 v21, null, s39, v21, s15
	global_store_b16 v[20:21], v2, off
	s_wait_alu 0xfffe
	s_or_b32 exec_lo, exec_lo, s16
	v_cmp_lt_u32_e64 s15, v29, v97
	s_and_saveexec_b32 s17, s15
	s_cbranch_execz .LBB1877_117
.LBB1877_153:                           ;   in Loop: Header=BB1877_69 Depth=2
	ds_load_u16 v99, v47 offset:1536
	s_wait_dscnt 0x0
	v_cmp_ne_u16_e64 s16, 0x7fff, v99
	s_wait_alu 0xf1ff
	s_delay_alu instid0(VALU_DEP_1) | instskip(SKIP_1) | instid1(VALU_DEP_2)
	v_cndmask_b32_e64 v2, 0xffff8000, v99, s16
	v_cmp_lt_i16_e64 s16, -1, v99
	v_and_b32_e32 v2, 0xffff, v2
	s_wait_alu 0xf1ff
	s_delay_alu instid0(VALU_DEP_2) | instskip(NEXT) | instid1(VALU_DEP_2)
	v_cndmask_b32_e64 v101, 0xffff8000, -1, s16
	v_lshrrev_b32_e32 v2, s23, v2
	s_delay_alu instid0(VALU_DEP_1) | instskip(NEXT) | instid1(VALU_DEP_1)
	v_and_b32_e32 v2, s42, v2
	v_lshlrev_b32_e32 v2, 2, v2
	ds_load_b32 v2, v2
	s_wait_dscnt 0x0
	v_add_nc_u32_e32 v2, v2, v29
	s_delay_alu instid0(VALU_DEP_1) | instskip(SKIP_1) | instid1(VALU_DEP_2)
	v_lshlrev_b64_e32 v[20:21], 1, v[2:3]
	v_xor_b32_e32 v2, v101, v99
	v_add_co_u32 v20, s16, s38, v20
	s_wait_alu 0xf1ff
	s_delay_alu instid0(VALU_DEP_3)
	v_add_co_ci_u32_e64 v21, null, s39, v21, s16
	global_store_b16 v[20:21], v2, off
	s_wait_alu 0xfffe
	s_or_b32 exec_lo, exec_lo, s17
	v_cmp_lt_u32_e64 s16, v30, v97
	s_and_saveexec_b32 s18, s16
	s_cbranch_execz .LBB1877_118
.LBB1877_154:                           ;   in Loop: Header=BB1877_69 Depth=2
	ds_load_u16 v99, v47 offset:2048
	s_wait_dscnt 0x0
	v_cmp_ne_u16_e64 s17, 0x7fff, v99
	s_wait_alu 0xf1ff
	s_delay_alu instid0(VALU_DEP_1) | instskip(SKIP_1) | instid1(VALU_DEP_2)
	v_cndmask_b32_e64 v2, 0xffff8000, v99, s17
	v_cmp_lt_i16_e64 s17, -1, v99
	v_and_b32_e32 v2, 0xffff, v2
	s_wait_alu 0xf1ff
	s_delay_alu instid0(VALU_DEP_2) | instskip(NEXT) | instid1(VALU_DEP_2)
	v_cndmask_b32_e64 v101, 0xffff8000, -1, s17
	v_lshrrev_b32_e32 v2, s23, v2
	s_delay_alu instid0(VALU_DEP_1) | instskip(NEXT) | instid1(VALU_DEP_1)
	v_and_b32_e32 v2, s42, v2
	v_lshlrev_b32_e32 v2, 2, v2
	ds_load_b32 v2, v2
	s_wait_dscnt 0x0
	v_add_nc_u32_e32 v2, v2, v30
	s_delay_alu instid0(VALU_DEP_1) | instskip(SKIP_1) | instid1(VALU_DEP_2)
	v_lshlrev_b64_e32 v[20:21], 1, v[2:3]
	v_xor_b32_e32 v2, v101, v99
	v_add_co_u32 v20, s17, s38, v20
	s_wait_alu 0xf1ff
	s_delay_alu instid0(VALU_DEP_3)
	v_add_co_ci_u32_e64 v21, null, s39, v21, s17
	global_store_b16 v[20:21], v2, off
	s_wait_alu 0xfffe
	s_or_b32 exec_lo, exec_lo, s18
	v_cmp_lt_u32_e64 s17, v31, v97
	s_and_saveexec_b32 s19, s17
	s_cbranch_execz .LBB1877_119
.LBB1877_155:                           ;   in Loop: Header=BB1877_69 Depth=2
	ds_load_u16 v99, v47 offset:2560
	s_wait_dscnt 0x0
	v_cmp_ne_u16_e64 s18, 0x7fff, v99
	s_wait_alu 0xf1ff
	s_delay_alu instid0(VALU_DEP_1) | instskip(SKIP_1) | instid1(VALU_DEP_2)
	v_cndmask_b32_e64 v2, 0xffff8000, v99, s18
	v_cmp_lt_i16_e64 s18, -1, v99
	v_and_b32_e32 v2, 0xffff, v2
	s_wait_alu 0xf1ff
	s_delay_alu instid0(VALU_DEP_2) | instskip(NEXT) | instid1(VALU_DEP_2)
	v_cndmask_b32_e64 v101, 0xffff8000, -1, s18
	v_lshrrev_b32_e32 v2, s23, v2
	s_delay_alu instid0(VALU_DEP_1) | instskip(NEXT) | instid1(VALU_DEP_1)
	v_and_b32_e32 v2, s42, v2
	v_lshlrev_b32_e32 v2, 2, v2
	ds_load_b32 v2, v2
	s_wait_dscnt 0x0
	v_add_nc_u32_e32 v2, v2, v31
	s_delay_alu instid0(VALU_DEP_1) | instskip(SKIP_1) | instid1(VALU_DEP_2)
	v_lshlrev_b64_e32 v[20:21], 1, v[2:3]
	v_xor_b32_e32 v2, v101, v99
	v_add_co_u32 v20, s18, s38, v20
	s_wait_alu 0xf1ff
	s_delay_alu instid0(VALU_DEP_3)
	v_add_co_ci_u32_e64 v21, null, s39, v21, s18
	global_store_b16 v[20:21], v2, off
	s_wait_alu 0xfffe
	s_or_b32 exec_lo, exec_lo, s19
	v_cmp_lt_u32_e64 s18, v34, v97
	s_and_saveexec_b32 s20, s18
	s_cbranch_execz .LBB1877_120
.LBB1877_156:                           ;   in Loop: Header=BB1877_69 Depth=2
	ds_load_u16 v99, v47 offset:3072
	s_wait_dscnt 0x0
	v_cmp_ne_u16_e64 s19, 0x7fff, v99
	s_wait_alu 0xf1ff
	s_delay_alu instid0(VALU_DEP_1) | instskip(SKIP_1) | instid1(VALU_DEP_2)
	v_cndmask_b32_e64 v2, 0xffff8000, v99, s19
	v_cmp_lt_i16_e64 s19, -1, v99
	v_and_b32_e32 v2, 0xffff, v2
	s_wait_alu 0xf1ff
	s_delay_alu instid0(VALU_DEP_2) | instskip(NEXT) | instid1(VALU_DEP_2)
	v_cndmask_b32_e64 v101, 0xffff8000, -1, s19
	v_lshrrev_b32_e32 v2, s23, v2
	s_delay_alu instid0(VALU_DEP_1) | instskip(NEXT) | instid1(VALU_DEP_1)
	v_and_b32_e32 v2, s42, v2
	v_lshlrev_b32_e32 v2, 2, v2
	ds_load_b32 v2, v2
	s_wait_dscnt 0x0
	v_add_nc_u32_e32 v2, v2, v34
	s_delay_alu instid0(VALU_DEP_1) | instskip(SKIP_1) | instid1(VALU_DEP_2)
	v_lshlrev_b64_e32 v[20:21], 1, v[2:3]
	v_xor_b32_e32 v2, v101, v99
	v_add_co_u32 v20, s19, s38, v20
	s_wait_alu 0xf1ff
	s_delay_alu instid0(VALU_DEP_3)
	v_add_co_ci_u32_e64 v21, null, s39, v21, s19
	global_store_b16 v[20:21], v2, off
	s_wait_alu 0xfffe
	s_or_b32 exec_lo, exec_lo, s20
	v_cmp_lt_u32_e64 s19, v35, v97
	s_and_saveexec_b32 s21, s19
	s_cbranch_execz .LBB1877_121
.LBB1877_157:                           ;   in Loop: Header=BB1877_69 Depth=2
	ds_load_u16 v99, v47 offset:3584
	s_wait_dscnt 0x0
	v_cmp_ne_u16_e64 s20, 0x7fff, v99
	s_wait_alu 0xf1ff
	s_delay_alu instid0(VALU_DEP_1) | instskip(SKIP_1) | instid1(VALU_DEP_2)
	v_cndmask_b32_e64 v2, 0xffff8000, v99, s20
	v_cmp_lt_i16_e64 s20, -1, v99
	v_and_b32_e32 v2, 0xffff, v2
	s_wait_alu 0xf1ff
	s_delay_alu instid0(VALU_DEP_2) | instskip(NEXT) | instid1(VALU_DEP_2)
	v_cndmask_b32_e64 v101, 0xffff8000, -1, s20
	v_lshrrev_b32_e32 v2, s23, v2
	s_delay_alu instid0(VALU_DEP_1) | instskip(NEXT) | instid1(VALU_DEP_1)
	v_and_b32_e32 v2, s42, v2
	v_lshlrev_b32_e32 v2, 2, v2
	ds_load_b32 v2, v2
	s_wait_dscnt 0x0
	v_add_nc_u32_e32 v2, v2, v35
	s_delay_alu instid0(VALU_DEP_1) | instskip(SKIP_1) | instid1(VALU_DEP_2)
	v_lshlrev_b64_e32 v[20:21], 1, v[2:3]
	v_xor_b32_e32 v2, v101, v99
	v_add_co_u32 v20, s20, s38, v20
	s_wait_alu 0xf1ff
	s_delay_alu instid0(VALU_DEP_3)
	v_add_co_ci_u32_e64 v21, null, s39, v21, s20
	global_store_b16 v[20:21], v2, off
	s_wait_alu 0xfffe
	s_or_b32 exec_lo, exec_lo, s21
	v_cmp_lt_u32_e64 s20, v36, v97
	s_and_saveexec_b32 s22, s20
	s_cbranch_execz .LBB1877_122
.LBB1877_158:                           ;   in Loop: Header=BB1877_69 Depth=2
	ds_load_u16 v99, v47 offset:4096
	s_wait_dscnt 0x0
	v_cmp_ne_u16_e64 s21, 0x7fff, v99
	s_wait_alu 0xf1ff
	s_delay_alu instid0(VALU_DEP_1) | instskip(SKIP_1) | instid1(VALU_DEP_2)
	v_cndmask_b32_e64 v2, 0xffff8000, v99, s21
	v_cmp_lt_i16_e64 s21, -1, v99
	v_and_b32_e32 v2, 0xffff, v2
	s_wait_alu 0xf1ff
	s_delay_alu instid0(VALU_DEP_2) | instskip(NEXT) | instid1(VALU_DEP_2)
	v_cndmask_b32_e64 v101, 0xffff8000, -1, s21
	v_lshrrev_b32_e32 v2, s23, v2
	s_delay_alu instid0(VALU_DEP_1) | instskip(NEXT) | instid1(VALU_DEP_1)
	v_and_b32_e32 v2, s42, v2
	v_lshlrev_b32_e32 v2, 2, v2
	ds_load_b32 v2, v2
	s_wait_dscnt 0x0
	v_add_nc_u32_e32 v2, v2, v36
	s_delay_alu instid0(VALU_DEP_1) | instskip(SKIP_1) | instid1(VALU_DEP_2)
	v_lshlrev_b64_e32 v[20:21], 1, v[2:3]
	v_xor_b32_e32 v2, v101, v99
	v_add_co_u32 v20, s21, s38, v20
	s_wait_alu 0xf1ff
	s_delay_alu instid0(VALU_DEP_3)
	v_add_co_ci_u32_e64 v21, null, s39, v21, s21
	global_store_b16 v[20:21], v2, off
	s_wait_alu 0xfffe
	s_or_b32 exec_lo, exec_lo, s22
	v_cmp_lt_u32_e64 s21, v37, v97
	s_and_saveexec_b32 s48, s21
	s_cbranch_execnz .LBB1877_123
	s_branch .LBB1877_124
.LBB1877_159:                           ;   in Loop: Header=BB1877_69 Depth=2
	global_load_b64 v[18:19], v[20:21], off
	s_wait_alu 0xfffe
	s_or_b32 exec_lo, exec_lo, s22
	s_delay_alu instid0(SALU_CYCLE_1)
	s_mov_b32 s30, exec_lo
	v_cmpx_lt_u32_e64 v70, v97
	s_cbranch_execz .LBB1877_126
.LBB1877_160:                           ;   in Loop: Header=BB1877_69 Depth=2
	global_load_b64 v[16:17], v[20:21], off offset:256
	s_wait_alu 0xfffe
	s_or_b32 exec_lo, exec_lo, s30
	s_delay_alu instid0(SALU_CYCLE_1)
	s_mov_b32 s30, exec_lo
	v_cmpx_lt_u32_e64 v71, v97
	s_cbranch_execz .LBB1877_127
.LBB1877_161:                           ;   in Loop: Header=BB1877_69 Depth=2
	global_load_b64 v[14:15], v[20:21], off offset:512
	s_wait_alu 0xfffe
	s_or_b32 exec_lo, exec_lo, s30
	s_delay_alu instid0(SALU_CYCLE_1)
	s_mov_b32 s30, exec_lo
	v_cmpx_lt_u32_e64 v72, v97
	s_cbranch_execz .LBB1877_128
.LBB1877_162:                           ;   in Loop: Header=BB1877_69 Depth=2
	global_load_b64 v[12:13], v[20:21], off offset:768
	s_wait_alu 0xfffe
	s_or_b32 exec_lo, exec_lo, s30
	s_delay_alu instid0(SALU_CYCLE_1)
	s_mov_b32 s30, exec_lo
	v_cmpx_lt_u32_e64 v73, v97
	s_cbranch_execz .LBB1877_129
.LBB1877_163:                           ;   in Loop: Header=BB1877_69 Depth=2
	global_load_b64 v[10:11], v[20:21], off offset:1024
	s_wait_alu 0xfffe
	s_or_b32 exec_lo, exec_lo, s30
	s_delay_alu instid0(SALU_CYCLE_1)
	s_mov_b32 s30, exec_lo
	v_cmpx_lt_u32_e64 v74, v97
	s_cbranch_execz .LBB1877_130
.LBB1877_164:                           ;   in Loop: Header=BB1877_69 Depth=2
	global_load_b64 v[8:9], v[20:21], off offset:1280
	s_wait_alu 0xfffe
	s_or_b32 exec_lo, exec_lo, s30
	s_delay_alu instid0(SALU_CYCLE_1)
	s_mov_b32 s30, exec_lo
	v_cmpx_lt_u32_e64 v75, v97
	s_cbranch_execz .LBB1877_131
.LBB1877_165:                           ;   in Loop: Header=BB1877_69 Depth=2
	global_load_b64 v[6:7], v[20:21], off offset:1536
	s_wait_alu 0xfffe
	s_or_b32 exec_lo, exec_lo, s30
	s_delay_alu instid0(SALU_CYCLE_1)
	s_mov_b32 s30, exec_lo
	v_cmpx_lt_u32_e64 v76, v97
	s_cbranch_execz .LBB1877_132
.LBB1877_166:                           ;   in Loop: Header=BB1877_69 Depth=2
	global_load_b64 v[4:5], v[20:21], off offset:1792
	s_wait_alu 0xfffe
	s_or_b32 exec_lo, exec_lo, s30
	s_and_saveexec_b32 s30, vcc_lo
	s_cbranch_execz .LBB1877_133
.LBB1877_167:                           ;   in Loop: Header=BB1877_69 Depth=2
	ds_load_u16 v2, v47 offset:1024
	s_wait_dscnt 0x0
	v_cmp_ne_u16_e64 s22, 0x7fff, v2
	s_wait_alu 0xf1ff
	s_delay_alu instid0(VALU_DEP_1) | instskip(NEXT) | instid1(VALU_DEP_1)
	v_cndmask_b32_e64 v2, 0xffff8000, v2, s22
	v_and_b32_e32 v2, 0xffff, v2
	s_delay_alu instid0(VALU_DEP_1) | instskip(NEXT) | instid1(VALU_DEP_1)
	v_lshrrev_b32_e32 v2, s23, v2
	v_and_b32_e32 v96, s42, v2
	s_wait_alu 0xfffe
	s_or_b32 exec_lo, exec_lo, s30
	s_and_saveexec_b32 s30, s15
	s_cbranch_execz .LBB1877_134
.LBB1877_168:                           ;   in Loop: Header=BB1877_69 Depth=2
	ds_load_u16 v2, v47 offset:1536
	s_wait_dscnt 0x0
	v_cmp_ne_u16_e64 s22, 0x7fff, v2
	s_wait_alu 0xf1ff
	s_delay_alu instid0(VALU_DEP_1) | instskip(NEXT) | instid1(VALU_DEP_1)
	v_cndmask_b32_e64 v2, 0xffff8000, v2, s22
	v_and_b32_e32 v2, 0xffff, v2
	s_delay_alu instid0(VALU_DEP_1) | instskip(NEXT) | instid1(VALU_DEP_1)
	v_lshrrev_b32_e32 v2, s23, v2
	v_and_b32_e32 v95, s42, v2
	s_wait_alu 0xfffe
	s_or_b32 exec_lo, exec_lo, s30
	s_and_saveexec_b32 s30, s16
	s_cbranch_execz .LBB1877_135
.LBB1877_169:                           ;   in Loop: Header=BB1877_69 Depth=2
	ds_load_u16 v2, v47 offset:2048
	s_wait_dscnt 0x0
	v_cmp_ne_u16_e64 s22, 0x7fff, v2
	s_wait_alu 0xf1ff
	s_delay_alu instid0(VALU_DEP_1) | instskip(NEXT) | instid1(VALU_DEP_1)
	v_cndmask_b32_e64 v2, 0xffff8000, v2, s22
	v_and_b32_e32 v2, 0xffff, v2
	s_delay_alu instid0(VALU_DEP_1) | instskip(NEXT) | instid1(VALU_DEP_1)
	v_lshrrev_b32_e32 v2, s23, v2
	v_and_b32_e32 v94, s42, v2
	s_wait_alu 0xfffe
	s_or_b32 exec_lo, exec_lo, s30
	s_and_saveexec_b32 s30, s17
	s_cbranch_execz .LBB1877_136
.LBB1877_170:                           ;   in Loop: Header=BB1877_69 Depth=2
	ds_load_u16 v2, v47 offset:2560
	s_wait_dscnt 0x0
	v_cmp_ne_u16_e64 s22, 0x7fff, v2
	s_wait_alu 0xf1ff
	s_delay_alu instid0(VALU_DEP_1) | instskip(NEXT) | instid1(VALU_DEP_1)
	v_cndmask_b32_e64 v2, 0xffff8000, v2, s22
	v_and_b32_e32 v2, 0xffff, v2
	s_delay_alu instid0(VALU_DEP_1) | instskip(NEXT) | instid1(VALU_DEP_1)
	v_lshrrev_b32_e32 v2, s23, v2
	v_and_b32_e32 v93, s42, v2
	s_wait_alu 0xfffe
	s_or_b32 exec_lo, exec_lo, s30
	s_and_saveexec_b32 s30, s18
	s_cbranch_execz .LBB1877_137
.LBB1877_171:                           ;   in Loop: Header=BB1877_69 Depth=2
	ds_load_u16 v2, v47 offset:3072
	s_wait_dscnt 0x0
	v_cmp_ne_u16_e64 s22, 0x7fff, v2
	s_wait_alu 0xf1ff
	s_delay_alu instid0(VALU_DEP_1) | instskip(NEXT) | instid1(VALU_DEP_1)
	v_cndmask_b32_e64 v2, 0xffff8000, v2, s22
	v_and_b32_e32 v2, 0xffff, v2
	s_delay_alu instid0(VALU_DEP_1) | instskip(NEXT) | instid1(VALU_DEP_1)
	v_lshrrev_b32_e32 v2, s23, v2
	v_and_b32_e32 v92, s42, v2
	s_wait_alu 0xfffe
	s_or_b32 exec_lo, exec_lo, s30
	s_and_saveexec_b32 s30, s19
	s_cbranch_execz .LBB1877_138
.LBB1877_172:                           ;   in Loop: Header=BB1877_69 Depth=2
	ds_load_u16 v2, v47 offset:3584
	s_wait_dscnt 0x0
	v_cmp_ne_u16_e64 s22, 0x7fff, v2
	s_wait_alu 0xf1ff
	s_delay_alu instid0(VALU_DEP_1) | instskip(NEXT) | instid1(VALU_DEP_1)
	v_cndmask_b32_e64 v2, 0xffff8000, v2, s22
	v_and_b32_e32 v2, 0xffff, v2
	s_delay_alu instid0(VALU_DEP_1) | instskip(NEXT) | instid1(VALU_DEP_1)
	v_lshrrev_b32_e32 v2, s23, v2
	v_and_b32_e32 v91, s42, v2
	s_wait_alu 0xfffe
	s_or_b32 exec_lo, exec_lo, s30
	s_and_saveexec_b32 s30, s20
	s_cbranch_execz .LBB1877_139
.LBB1877_173:                           ;   in Loop: Header=BB1877_69 Depth=2
	ds_load_u16 v2, v47 offset:4096
	s_wait_dscnt 0x0
	v_cmp_ne_u16_e64 s22, 0x7fff, v2
	s_wait_alu 0xf1ff
	s_delay_alu instid0(VALU_DEP_1) | instskip(NEXT) | instid1(VALU_DEP_1)
	v_cndmask_b32_e64 v2, 0xffff8000, v2, s22
	v_and_b32_e32 v2, 0xffff, v2
	s_delay_alu instid0(VALU_DEP_1) | instskip(NEXT) | instid1(VALU_DEP_1)
	v_lshrrev_b32_e32 v2, s23, v2
	v_and_b32_e32 v90, s42, v2
	s_wait_alu 0xfffe
	s_or_b32 exec_lo, exec_lo, s30
	s_and_saveexec_b32 s30, s21
	s_cbranch_execnz .LBB1877_140
	s_branch .LBB1877_141
.LBB1877_174:                           ;   in Loop: Header=BB1877_69 Depth=2
	v_lshlrev_b32_e32 v2, 2, v96
	v_add_nc_u32_e32 v20, v47, v48
	ds_load_b32 v2, v2
	ds_load_b64 v[20:21], v20 offset:1024
	s_wait_dscnt 0x1
	v_add_nc_u32_e32 v2, v2, v1
	s_delay_alu instid0(VALU_DEP_1) | instskip(NEXT) | instid1(VALU_DEP_1)
	v_lshlrev_b64_e32 v[23:24], 3, v[2:3]
	v_add_co_u32 v23, vcc_lo, s24, v23
	s_wait_alu 0xfffd
	s_delay_alu instid0(VALU_DEP_2)
	v_add_co_ci_u32_e64 v24, null, s25, v24, vcc_lo
	s_wait_dscnt 0x0
	global_store_b64 v[23:24], v[20:21], off
	s_wait_alu 0xfffe
	s_or_b32 exec_lo, exec_lo, s22
	s_and_saveexec_b32 s22, s15
	s_cbranch_execz .LBB1877_143
.LBB1877_175:                           ;   in Loop: Header=BB1877_69 Depth=2
	v_lshlrev_b32_e32 v2, 2, v95
	v_add_nc_u32_e32 v20, v47, v48
	ds_load_b32 v2, v2
	ds_load_b64 v[20:21], v20 offset:3072
	s_wait_dscnt 0x1
	v_add_nc_u32_e32 v2, v2, v29
	s_delay_alu instid0(VALU_DEP_1) | instskip(NEXT) | instid1(VALU_DEP_1)
	v_lshlrev_b64_e32 v[23:24], 3, v[2:3]
	v_add_co_u32 v23, vcc_lo, s24, v23
	s_wait_alu 0xfffd
	s_delay_alu instid0(VALU_DEP_2)
	v_add_co_ci_u32_e64 v24, null, s25, v24, vcc_lo
	s_wait_dscnt 0x0
	global_store_b64 v[23:24], v[20:21], off
	s_wait_alu 0xfffe
	s_or_b32 exec_lo, exec_lo, s22
	s_and_saveexec_b32 s15, s16
	s_cbranch_execz .LBB1877_144
.LBB1877_176:                           ;   in Loop: Header=BB1877_69 Depth=2
	v_lshlrev_b32_e32 v2, 2, v94
	v_add_nc_u32_e32 v20, v47, v48
	ds_load_b32 v2, v2
	ds_load_b64 v[20:21], v20 offset:5120
	s_wait_dscnt 0x1
	v_add_nc_u32_e32 v2, v2, v30
	s_delay_alu instid0(VALU_DEP_1) | instskip(NEXT) | instid1(VALU_DEP_1)
	v_lshlrev_b64_e32 v[23:24], 3, v[2:3]
	v_add_co_u32 v23, vcc_lo, s24, v23
	s_wait_alu 0xfffd
	s_delay_alu instid0(VALU_DEP_2)
	v_add_co_ci_u32_e64 v24, null, s25, v24, vcc_lo
	s_wait_dscnt 0x0
	global_store_b64 v[23:24], v[20:21], off
	s_wait_alu 0xfffe
	s_or_b32 exec_lo, exec_lo, s15
	s_and_saveexec_b32 s15, s17
	s_cbranch_execz .LBB1877_145
.LBB1877_177:                           ;   in Loop: Header=BB1877_69 Depth=2
	v_lshlrev_b32_e32 v2, 2, v93
	v_add_nc_u32_e32 v20, v47, v48
	ds_load_b32 v2, v2
	ds_load_b64 v[20:21], v20 offset:7168
	s_wait_dscnt 0x1
	v_add_nc_u32_e32 v2, v2, v31
	s_delay_alu instid0(VALU_DEP_1) | instskip(NEXT) | instid1(VALU_DEP_1)
	v_lshlrev_b64_e32 v[23:24], 3, v[2:3]
	v_add_co_u32 v23, vcc_lo, s24, v23
	s_wait_alu 0xfffd
	s_delay_alu instid0(VALU_DEP_2)
	v_add_co_ci_u32_e64 v24, null, s25, v24, vcc_lo
	s_wait_dscnt 0x0
	global_store_b64 v[23:24], v[20:21], off
	s_wait_alu 0xfffe
	s_or_b32 exec_lo, exec_lo, s15
	s_and_saveexec_b32 s15, s18
	s_cbranch_execz .LBB1877_146
.LBB1877_178:                           ;   in Loop: Header=BB1877_69 Depth=2
	v_lshlrev_b32_e32 v2, 2, v92
	v_add_nc_u32_e32 v20, v47, v48
	ds_load_b32 v2, v2
	ds_load_b64 v[20:21], v20 offset:9216
	s_wait_dscnt 0x1
	v_add_nc_u32_e32 v2, v2, v34
	s_delay_alu instid0(VALU_DEP_1) | instskip(NEXT) | instid1(VALU_DEP_1)
	v_lshlrev_b64_e32 v[23:24], 3, v[2:3]
	v_add_co_u32 v23, vcc_lo, s24, v23
	s_wait_alu 0xfffd
	s_delay_alu instid0(VALU_DEP_2)
	v_add_co_ci_u32_e64 v24, null, s25, v24, vcc_lo
	s_wait_dscnt 0x0
	global_store_b64 v[23:24], v[20:21], off
	s_wait_alu 0xfffe
	s_or_b32 exec_lo, exec_lo, s15
	s_and_saveexec_b32 s15, s19
	s_cbranch_execz .LBB1877_147
.LBB1877_179:                           ;   in Loop: Header=BB1877_69 Depth=2
	v_lshlrev_b32_e32 v2, 2, v91
	v_add_nc_u32_e32 v20, v47, v48
	ds_load_b32 v2, v2
	ds_load_b64 v[20:21], v20 offset:11264
	s_wait_dscnt 0x1
	v_add_nc_u32_e32 v2, v2, v35
	s_delay_alu instid0(VALU_DEP_1) | instskip(NEXT) | instid1(VALU_DEP_1)
	v_lshlrev_b64_e32 v[23:24], 3, v[2:3]
	v_add_co_u32 v23, vcc_lo, s24, v23
	s_wait_alu 0xfffd
	s_delay_alu instid0(VALU_DEP_2)
	v_add_co_ci_u32_e64 v24, null, s25, v24, vcc_lo
	s_wait_dscnt 0x0
	global_store_b64 v[23:24], v[20:21], off
	s_wait_alu 0xfffe
	s_or_b32 exec_lo, exec_lo, s15
	s_and_saveexec_b32 s15, s20
	s_cbranch_execz .LBB1877_148
.LBB1877_180:                           ;   in Loop: Header=BB1877_69 Depth=2
	v_lshlrev_b32_e32 v2, 2, v90
	v_add_nc_u32_e32 v20, v47, v48
	ds_load_b32 v2, v2
	ds_load_b64 v[20:21], v20 offset:13312
	s_wait_dscnt 0x1
	v_add_nc_u32_e32 v2, v2, v36
	s_delay_alu instid0(VALU_DEP_1) | instskip(NEXT) | instid1(VALU_DEP_1)
	v_lshlrev_b64_e32 v[23:24], 3, v[2:3]
	v_add_co_u32 v23, vcc_lo, s24, v23
	s_wait_alu 0xfffd
	s_delay_alu instid0(VALU_DEP_2)
	v_add_co_ci_u32_e64 v24, null, s25, v24, vcc_lo
	s_wait_dscnt 0x0
	global_store_b64 v[23:24], v[20:21], off
	s_wait_alu 0xfffe
	s_or_b32 exec_lo, exec_lo, s15
	s_and_saveexec_b32 s15, s21
	s_cbranch_execnz .LBB1877_149
	s_branch .LBB1877_150
.LBB1877_181:                           ;   in Loop: Header=BB1877_17 Depth=1
	s_wait_loadcnt_dscnt 0x0
	s_barrier_signal -1
	s_mov_b32 s0, 0
	s_barrier_wait -1
.LBB1877_182:                           ;   in Loop: Header=BB1877_17 Depth=1
	s_wait_alu 0xfffe
	s_and_b32 vcc_lo, exec_lo, s0
	s_wait_alu 0xfffe
	s_cbranch_vccz .LBB1877_346
; %bb.183:                              ;   in Loop: Header=BB1877_17 Depth=1
	s_mov_b32 s9, s47
	s_mov_b32 s30, s33
	s_barrier_signal -1
	s_barrier_wait -1
	global_inv scope:SCOPE_SE
                                        ; implicit-def: $vgpr2
                                        ; implicit-def: $vgpr4
                                        ; implicit-def: $vgpr5
                                        ; implicit-def: $vgpr6
                                        ; implicit-def: $vgpr7
                                        ; implicit-def: $vgpr8
                                        ; implicit-def: $vgpr9
                                        ; implicit-def: $vgpr10
	s_branch .LBB1877_185
.LBB1877_184:                           ;   in Loop: Header=BB1877_185 Depth=2
	s_wait_alu 0xfffe
	s_or_b32 exec_lo, exec_lo, s0
	s_addk_co_i32 s9, 0xf800
	s_cmp_ge_u32 s10, s34
	s_mov_b32 s30, s10
	s_cbranch_scc1 .LBB1877_221
.LBB1877_185:                           ;   Parent Loop BB1877_17 Depth=1
                                        ; =>  This Inner Loop Header: Depth=2
	s_wait_alu 0xfffe
	s_add_co_i32 s10, s30, 0x800
	s_mov_b32 s0, -1
	s_wait_alu 0xfffe
	s_cmp_gt_u32 s10, s34
                                        ; implicit-def: $vgpr11
                                        ; implicit-def: $vgpr12
                                        ; implicit-def: $vgpr13
                                        ; implicit-def: $vgpr14
                                        ; implicit-def: $vgpr15
                                        ; implicit-def: $vgpr16
                                        ; implicit-def: $vgpr17
                                        ; implicit-def: $vgpr18
	s_cbranch_scc1 .LBB1877_187
; %bb.186:                              ;   in Loop: Header=BB1877_185 Depth=2
	s_lshl_b64 s[0:1], s[30:31], 1
	s_wait_alu 0xfffe
	v_add_co_u32 v18, vcc_lo, v49, s0
	s_wait_alu 0xfffd
	v_add_co_ci_u32_e64 v19, null, s1, v50, vcc_lo
	s_mov_b32 s0, 0
	s_clause 0x7
	global_load_u16 v11, v[18:19], off
	global_load_u16 v12, v[18:19], off offset:512
	global_load_u16 v13, v[18:19], off offset:1024
	;; [unrolled: 1-line block ×7, first 2 shown]
.LBB1877_187:                           ;   in Loop: Header=BB1877_185 Depth=2
	s_wait_alu 0xfffe
	s_and_not1_b32 vcc_lo, exec_lo, s0
	s_movk_i32 s0, 0x800
	s_wait_alu 0xfffe
	s_cbranch_vccnz .LBB1877_198
; %bb.188:                              ;   in Loop: Header=BB1877_185 Depth=2
	s_lshl_b64 s[0:1], s[30:31], 1
	s_mov_b32 s11, exec_lo
	s_wait_alu 0xfffe
	s_add_nc_u64 s[0:1], s[38:39], s[0:1]
	v_cmpx_gt_u32_e64 s9, v1
	s_cbranch_execnz .LBB1877_214
; %bb.189:                              ;   in Loop: Header=BB1877_185 Depth=2
	s_or_b32 exec_lo, exec_lo, s11
	s_delay_alu instid0(SALU_CYCLE_1)
	s_mov_b32 s11, exec_lo
	v_cmpx_gt_u32_e64 s9, v29
	s_cbranch_execnz .LBB1877_215
.LBB1877_190:                           ;   in Loop: Header=BB1877_185 Depth=2
	s_wait_alu 0xfffe
	s_or_b32 exec_lo, exec_lo, s11
	s_delay_alu instid0(SALU_CYCLE_1)
	s_mov_b32 s11, exec_lo
	v_cmpx_gt_u32_e64 s9, v30
	s_cbranch_execnz .LBB1877_216
.LBB1877_191:                           ;   in Loop: Header=BB1877_185 Depth=2
	s_wait_alu 0xfffe
	s_or_b32 exec_lo, exec_lo, s11
	s_delay_alu instid0(SALU_CYCLE_1)
	s_mov_b32 s11, exec_lo
	v_cmpx_gt_u32_e64 s9, v31
	s_cbranch_execnz .LBB1877_217
.LBB1877_192:                           ;   in Loop: Header=BB1877_185 Depth=2
	s_wait_alu 0xfffe
	s_or_b32 exec_lo, exec_lo, s11
	s_delay_alu instid0(SALU_CYCLE_1)
	s_mov_b32 s11, exec_lo
	v_cmpx_gt_u32_e64 s9, v34
	s_cbranch_execnz .LBB1877_218
.LBB1877_193:                           ;   in Loop: Header=BB1877_185 Depth=2
	s_wait_alu 0xfffe
	s_or_b32 exec_lo, exec_lo, s11
	s_delay_alu instid0(SALU_CYCLE_1)
	s_mov_b32 s11, exec_lo
	v_cmpx_gt_u32_e64 s9, v35
	s_cbranch_execnz .LBB1877_219
.LBB1877_194:                           ;   in Loop: Header=BB1877_185 Depth=2
	s_wait_alu 0xfffe
	s_or_b32 exec_lo, exec_lo, s11
	s_delay_alu instid0(SALU_CYCLE_1)
	s_mov_b32 s11, exec_lo
	v_cmpx_gt_u32_e64 s9, v36
	s_cbranch_execnz .LBB1877_220
.LBB1877_195:                           ;   in Loop: Header=BB1877_185 Depth=2
	s_wait_alu 0xfffe
	s_or_b32 exec_lo, exec_lo, s11
	s_delay_alu instid0(SALU_CYCLE_1)
	s_mov_b32 s11, exec_lo
	v_cmpx_gt_u32_e64 s9, v37
	s_cbranch_execz .LBB1877_197
.LBB1877_196:                           ;   in Loop: Header=BB1877_185 Depth=2
	global_load_u16 v2, v82, s[0:1] offset:3584
.LBB1877_197:                           ;   in Loop: Header=BB1877_185 Depth=2
	s_wait_alu 0xfffe
	s_or_b32 exec_lo, exec_lo, s11
	s_wait_loadcnt 0x0
	v_dual_mov_b32 v11, v10 :: v_dual_mov_b32 v12, v9
	v_dual_mov_b32 v13, v8 :: v_dual_mov_b32 v14, v7
	;; [unrolled: 1-line block ×4, first 2 shown]
	s_mov_b32 s0, s9
.LBB1877_198:                           ;   in Loop: Header=BB1877_185 Depth=2
	s_wait_loadcnt 0x0
	s_delay_alu instid0(VALU_DEP_1) | instskip(NEXT) | instid1(VALU_DEP_2)
	v_dual_mov_b32 v2, v18 :: v_dual_mov_b32 v5, v16
	v_dual_mov_b32 v4, v17 :: v_dual_mov_b32 v7, v14
	;; [unrolled: 1-line block ×3, first 2 shown]
	v_mov_b32_e32 v8, v13
	v_mov_b32_e32 v10, v11
	s_mov_b32 s1, exec_lo
	s_wait_alu 0xfffe
	v_cmpx_gt_u32_e64 s0, v1
	s_cbranch_execnz .LBB1877_206
; %bb.199:                              ;   in Loop: Header=BB1877_185 Depth=2
	s_or_b32 exec_lo, exec_lo, s1
	s_delay_alu instid0(SALU_CYCLE_1)
	s_mov_b32 s1, exec_lo
	v_cmpx_gt_u32_e64 s0, v29
	s_cbranch_execnz .LBB1877_207
.LBB1877_200:                           ;   in Loop: Header=BB1877_185 Depth=2
	s_wait_alu 0xfffe
	s_or_b32 exec_lo, exec_lo, s1
	s_delay_alu instid0(SALU_CYCLE_1)
	s_mov_b32 s1, exec_lo
	v_cmpx_gt_u32_e64 s0, v30
	s_cbranch_execnz .LBB1877_208
.LBB1877_201:                           ;   in Loop: Header=BB1877_185 Depth=2
	s_wait_alu 0xfffe
	s_or_b32 exec_lo, exec_lo, s1
	s_delay_alu instid0(SALU_CYCLE_1)
	s_mov_b32 s1, exec_lo
	v_cmpx_gt_u32_e64 s0, v31
	s_cbranch_execnz .LBB1877_209
.LBB1877_202:                           ;   in Loop: Header=BB1877_185 Depth=2
	s_wait_alu 0xfffe
	s_or_b32 exec_lo, exec_lo, s1
	s_delay_alu instid0(SALU_CYCLE_1)
	s_mov_b32 s1, exec_lo
	v_cmpx_gt_u32_e64 s0, v34
	s_cbranch_execnz .LBB1877_210
.LBB1877_203:                           ;   in Loop: Header=BB1877_185 Depth=2
	s_wait_alu 0xfffe
	s_or_b32 exec_lo, exec_lo, s1
	s_delay_alu instid0(SALU_CYCLE_1)
	s_mov_b32 s1, exec_lo
	v_cmpx_gt_u32_e64 s0, v35
	s_cbranch_execnz .LBB1877_211
.LBB1877_204:                           ;   in Loop: Header=BB1877_185 Depth=2
	s_wait_alu 0xfffe
	s_or_b32 exec_lo, exec_lo, s1
	s_delay_alu instid0(SALU_CYCLE_1)
	s_mov_b32 s1, exec_lo
	v_cmpx_gt_u32_e64 s0, v36
	s_cbranch_execnz .LBB1877_212
.LBB1877_205:                           ;   in Loop: Header=BB1877_185 Depth=2
	s_wait_alu 0xfffe
	s_or_b32 exec_lo, exec_lo, s1
	v_cmp_gt_u32_e32 vcc_lo, s0, v37
	s_and_saveexec_b32 s0, vcc_lo
	s_cbranch_execz .LBB1877_184
	s_branch .LBB1877_213
.LBB1877_206:                           ;   in Loop: Header=BB1877_185 Depth=2
	v_cmp_lt_i16_e32 vcc_lo, -1, v10
	s_wait_alu 0xfffd
	v_cndmask_b32_e64 v11, -1, 0xffff8000, vcc_lo
	s_delay_alu instid0(VALU_DEP_1) | instskip(NEXT) | instid1(VALU_DEP_1)
	v_xor_b32_e32 v11, v11, v10
	v_cmp_ne_u16_e32 vcc_lo, 0x7fff, v11
	s_wait_alu 0xfffd
	v_cndmask_b32_e32 v11, 0xffff8000, v11, vcc_lo
	s_delay_alu instid0(VALU_DEP_1) | instskip(NEXT) | instid1(VALU_DEP_1)
	v_and_b32_e32 v11, 0xffff, v11
	v_lshrrev_b32_e32 v11, s23, v11
	s_delay_alu instid0(VALU_DEP_1) | instskip(NEXT) | instid1(VALU_DEP_1)
	v_and_b32_e32 v11, s42, v11
	v_lshl_or_b32 v11, v11, 4, v39
	ds_add_u32 v11, v62
	s_or_b32 exec_lo, exec_lo, s1
	s_delay_alu instid0(SALU_CYCLE_1)
	s_mov_b32 s1, exec_lo
	v_cmpx_gt_u32_e64 s0, v29
	s_cbranch_execz .LBB1877_200
.LBB1877_207:                           ;   in Loop: Header=BB1877_185 Depth=2
	v_cmp_lt_i16_e32 vcc_lo, -1, v9
	s_wait_alu 0xfffd
	v_cndmask_b32_e64 v11, -1, 0xffff8000, vcc_lo
	s_delay_alu instid0(VALU_DEP_1) | instskip(NEXT) | instid1(VALU_DEP_1)
	v_xor_b32_e32 v11, v11, v9
	v_cmp_ne_u16_e32 vcc_lo, 0x7fff, v11
	s_wait_alu 0xfffd
	v_cndmask_b32_e32 v11, 0xffff8000, v11, vcc_lo
	s_delay_alu instid0(VALU_DEP_1) | instskip(NEXT) | instid1(VALU_DEP_1)
	v_and_b32_e32 v11, 0xffff, v11
	v_lshrrev_b32_e32 v11, s23, v11
	s_delay_alu instid0(VALU_DEP_1) | instskip(NEXT) | instid1(VALU_DEP_1)
	v_and_b32_e32 v11, s42, v11
	v_lshl_or_b32 v11, v11, 4, v39
	ds_add_u32 v11, v62
	s_wait_alu 0xfffe
	s_or_b32 exec_lo, exec_lo, s1
	s_delay_alu instid0(SALU_CYCLE_1)
	s_mov_b32 s1, exec_lo
	v_cmpx_gt_u32_e64 s0, v30
	s_cbranch_execz .LBB1877_201
.LBB1877_208:                           ;   in Loop: Header=BB1877_185 Depth=2
	v_cmp_lt_i16_e32 vcc_lo, -1, v8
	s_wait_alu 0xfffd
	v_cndmask_b32_e64 v11, -1, 0xffff8000, vcc_lo
	s_delay_alu instid0(VALU_DEP_1) | instskip(NEXT) | instid1(VALU_DEP_1)
	v_xor_b32_e32 v11, v11, v8
	v_cmp_ne_u16_e32 vcc_lo, 0x7fff, v11
	s_wait_alu 0xfffd
	v_cndmask_b32_e32 v11, 0xffff8000, v11, vcc_lo
	s_delay_alu instid0(VALU_DEP_1) | instskip(NEXT) | instid1(VALU_DEP_1)
	v_and_b32_e32 v11, 0xffff, v11
	v_lshrrev_b32_e32 v11, s23, v11
	s_delay_alu instid0(VALU_DEP_1) | instskip(NEXT) | instid1(VALU_DEP_1)
	v_and_b32_e32 v11, s42, v11
	v_lshl_or_b32 v11, v11, 4, v39
	ds_add_u32 v11, v62
	s_wait_alu 0xfffe
	s_or_b32 exec_lo, exec_lo, s1
	s_delay_alu instid0(SALU_CYCLE_1)
	s_mov_b32 s1, exec_lo
	v_cmpx_gt_u32_e64 s0, v31
	s_cbranch_execz .LBB1877_202
.LBB1877_209:                           ;   in Loop: Header=BB1877_185 Depth=2
	v_cmp_lt_i16_e32 vcc_lo, -1, v7
	s_wait_alu 0xfffd
	v_cndmask_b32_e64 v11, -1, 0xffff8000, vcc_lo
	s_delay_alu instid0(VALU_DEP_1) | instskip(NEXT) | instid1(VALU_DEP_1)
	v_xor_b32_e32 v11, v11, v7
	v_cmp_ne_u16_e32 vcc_lo, 0x7fff, v11
	s_wait_alu 0xfffd
	v_cndmask_b32_e32 v11, 0xffff8000, v11, vcc_lo
	s_delay_alu instid0(VALU_DEP_1) | instskip(NEXT) | instid1(VALU_DEP_1)
	v_and_b32_e32 v11, 0xffff, v11
	v_lshrrev_b32_e32 v11, s23, v11
	s_delay_alu instid0(VALU_DEP_1) | instskip(NEXT) | instid1(VALU_DEP_1)
	v_and_b32_e32 v11, s42, v11
	v_lshl_or_b32 v11, v11, 4, v39
	ds_add_u32 v11, v62
	s_wait_alu 0xfffe
	s_or_b32 exec_lo, exec_lo, s1
	s_delay_alu instid0(SALU_CYCLE_1)
	s_mov_b32 s1, exec_lo
	v_cmpx_gt_u32_e64 s0, v34
	s_cbranch_execz .LBB1877_203
.LBB1877_210:                           ;   in Loop: Header=BB1877_185 Depth=2
	v_cmp_lt_i16_e32 vcc_lo, -1, v6
	s_wait_alu 0xfffd
	v_cndmask_b32_e64 v11, -1, 0xffff8000, vcc_lo
	s_delay_alu instid0(VALU_DEP_1) | instskip(NEXT) | instid1(VALU_DEP_1)
	v_xor_b32_e32 v11, v11, v6
	v_cmp_ne_u16_e32 vcc_lo, 0x7fff, v11
	s_wait_alu 0xfffd
	v_cndmask_b32_e32 v11, 0xffff8000, v11, vcc_lo
	s_delay_alu instid0(VALU_DEP_1) | instskip(NEXT) | instid1(VALU_DEP_1)
	v_and_b32_e32 v11, 0xffff, v11
	v_lshrrev_b32_e32 v11, s23, v11
	s_delay_alu instid0(VALU_DEP_1) | instskip(NEXT) | instid1(VALU_DEP_1)
	v_and_b32_e32 v11, s42, v11
	v_lshl_or_b32 v11, v11, 4, v39
	ds_add_u32 v11, v62
	s_wait_alu 0xfffe
	s_or_b32 exec_lo, exec_lo, s1
	s_delay_alu instid0(SALU_CYCLE_1)
	s_mov_b32 s1, exec_lo
	v_cmpx_gt_u32_e64 s0, v35
	s_cbranch_execz .LBB1877_204
.LBB1877_211:                           ;   in Loop: Header=BB1877_185 Depth=2
	v_cmp_lt_i16_e32 vcc_lo, -1, v5
	s_wait_alu 0xfffd
	v_cndmask_b32_e64 v11, -1, 0xffff8000, vcc_lo
	s_delay_alu instid0(VALU_DEP_1) | instskip(NEXT) | instid1(VALU_DEP_1)
	v_xor_b32_e32 v11, v11, v5
	v_cmp_ne_u16_e32 vcc_lo, 0x7fff, v11
	s_wait_alu 0xfffd
	v_cndmask_b32_e32 v11, 0xffff8000, v11, vcc_lo
	s_delay_alu instid0(VALU_DEP_1) | instskip(NEXT) | instid1(VALU_DEP_1)
	v_and_b32_e32 v11, 0xffff, v11
	v_lshrrev_b32_e32 v11, s23, v11
	s_delay_alu instid0(VALU_DEP_1) | instskip(NEXT) | instid1(VALU_DEP_1)
	v_and_b32_e32 v11, s42, v11
	v_lshl_or_b32 v11, v11, 4, v39
	ds_add_u32 v11, v62
	s_wait_alu 0xfffe
	s_or_b32 exec_lo, exec_lo, s1
	s_delay_alu instid0(SALU_CYCLE_1)
	s_mov_b32 s1, exec_lo
	v_cmpx_gt_u32_e64 s0, v36
	s_cbranch_execz .LBB1877_205
.LBB1877_212:                           ;   in Loop: Header=BB1877_185 Depth=2
	v_cmp_lt_i16_e32 vcc_lo, -1, v4
	s_wait_alu 0xfffd
	v_cndmask_b32_e64 v11, -1, 0xffff8000, vcc_lo
	s_delay_alu instid0(VALU_DEP_1) | instskip(NEXT) | instid1(VALU_DEP_1)
	v_xor_b32_e32 v11, v11, v4
	v_cmp_ne_u16_e32 vcc_lo, 0x7fff, v11
	s_wait_alu 0xfffd
	v_cndmask_b32_e32 v11, 0xffff8000, v11, vcc_lo
	s_delay_alu instid0(VALU_DEP_1) | instskip(NEXT) | instid1(VALU_DEP_1)
	v_and_b32_e32 v11, 0xffff, v11
	v_lshrrev_b32_e32 v11, s23, v11
	s_delay_alu instid0(VALU_DEP_1) | instskip(NEXT) | instid1(VALU_DEP_1)
	v_and_b32_e32 v11, s42, v11
	v_lshl_or_b32 v11, v11, 4, v39
	ds_add_u32 v11, v62
	s_wait_alu 0xfffe
	s_or_b32 exec_lo, exec_lo, s1
	v_cmp_gt_u32_e32 vcc_lo, s0, v37
	s_and_saveexec_b32 s0, vcc_lo
	s_cbranch_execz .LBB1877_184
.LBB1877_213:                           ;   in Loop: Header=BB1877_185 Depth=2
	v_cmp_lt_i16_e32 vcc_lo, -1, v2
	s_wait_alu 0xfffd
	v_cndmask_b32_e64 v11, -1, 0xffff8000, vcc_lo
	s_delay_alu instid0(VALU_DEP_1) | instskip(NEXT) | instid1(VALU_DEP_1)
	v_xor_b32_e32 v11, v11, v2
	v_cmp_ne_u16_e32 vcc_lo, 0x7fff, v11
	s_wait_alu 0xfffd
	v_cndmask_b32_e32 v11, 0xffff8000, v11, vcc_lo
	s_delay_alu instid0(VALU_DEP_1) | instskip(NEXT) | instid1(VALU_DEP_1)
	v_and_b32_e32 v11, 0xffff, v11
	v_lshrrev_b32_e32 v11, s23, v11
	s_delay_alu instid0(VALU_DEP_1) | instskip(NEXT) | instid1(VALU_DEP_1)
	v_and_b32_e32 v11, s42, v11
	v_lshl_or_b32 v11, v11, 4, v39
	ds_add_u32 v11, v62
	s_branch .LBB1877_184
.LBB1877_214:                           ;   in Loop: Header=BB1877_185 Depth=2
	global_load_u16 v10, v82, s[0:1]
	s_or_b32 exec_lo, exec_lo, s11
	s_delay_alu instid0(SALU_CYCLE_1)
	s_mov_b32 s11, exec_lo
	v_cmpx_gt_u32_e64 s9, v29
	s_cbranch_execz .LBB1877_190
.LBB1877_215:                           ;   in Loop: Header=BB1877_185 Depth=2
	global_load_u16 v9, v82, s[0:1] offset:512
	s_wait_alu 0xfffe
	s_or_b32 exec_lo, exec_lo, s11
	s_delay_alu instid0(SALU_CYCLE_1)
	s_mov_b32 s11, exec_lo
	v_cmpx_gt_u32_e64 s9, v30
	s_cbranch_execz .LBB1877_191
.LBB1877_216:                           ;   in Loop: Header=BB1877_185 Depth=2
	global_load_u16 v8, v82, s[0:1] offset:1024
	s_wait_alu 0xfffe
	s_or_b32 exec_lo, exec_lo, s11
	s_delay_alu instid0(SALU_CYCLE_1)
	s_mov_b32 s11, exec_lo
	v_cmpx_gt_u32_e64 s9, v31
	s_cbranch_execz .LBB1877_192
.LBB1877_217:                           ;   in Loop: Header=BB1877_185 Depth=2
	global_load_u16 v7, v82, s[0:1] offset:1536
	s_wait_alu 0xfffe
	s_or_b32 exec_lo, exec_lo, s11
	s_delay_alu instid0(SALU_CYCLE_1)
	s_mov_b32 s11, exec_lo
	v_cmpx_gt_u32_e64 s9, v34
	s_cbranch_execz .LBB1877_193
.LBB1877_218:                           ;   in Loop: Header=BB1877_185 Depth=2
	global_load_u16 v6, v82, s[0:1] offset:2048
	s_wait_alu 0xfffe
	s_or_b32 exec_lo, exec_lo, s11
	s_delay_alu instid0(SALU_CYCLE_1)
	s_mov_b32 s11, exec_lo
	v_cmpx_gt_u32_e64 s9, v35
	s_cbranch_execz .LBB1877_194
.LBB1877_219:                           ;   in Loop: Header=BB1877_185 Depth=2
	global_load_u16 v5, v82, s[0:1] offset:2560
	s_wait_alu 0xfffe
	s_or_b32 exec_lo, exec_lo, s11
	s_delay_alu instid0(SALU_CYCLE_1)
	s_mov_b32 s11, exec_lo
	v_cmpx_gt_u32_e64 s9, v36
	s_cbranch_execz .LBB1877_195
.LBB1877_220:                           ;   in Loop: Header=BB1877_185 Depth=2
	global_load_u16 v4, v82, s[0:1] offset:3072
	s_wait_alu 0xfffe
	s_or_b32 exec_lo, exec_lo, s11
	s_delay_alu instid0(SALU_CYCLE_1)
	s_mov_b32 s11, exec_lo
	v_cmpx_gt_u32_e64 s9, v37
	s_cbranch_execnz .LBB1877_196
	s_branch .LBB1877_197
.LBB1877_221:                           ;   in Loop: Header=BB1877_17 Depth=1
	v_mov_b32_e32 v2, 0
	s_wait_dscnt 0x0
	s_barrier_signal -1
	s_barrier_wait -1
	global_inv scope:SCOPE_SE
	s_and_saveexec_b32 s0, s2
	s_cbranch_execz .LBB1877_223
; %bb.222:                              ;   in Loop: Header=BB1877_17 Depth=1
	ds_load_2addr_b64 v[4:7], v40 offset1:1
	s_wait_dscnt 0x0
	v_add_nc_u32_e32 v2, v5, v4
	s_delay_alu instid0(VALU_DEP_1)
	v_add3_u32 v2, v2, v6, v7
.LBB1877_223:                           ;   in Loop: Header=BB1877_17 Depth=1
	s_wait_alu 0xfffe
	s_or_b32 exec_lo, exec_lo, s0
	s_delay_alu instid0(VALU_DEP_1)
	v_mov_b32_dpp v4, v2 row_shr:1 row_mask:0xf bank_mask:0xf
	v_cmp_eq_u32_e64 s0, 0, v63
	v_cmp_lt_u32_e64 s1, 1, v63
	v_cmp_lt_u32_e64 s9, 3, v63
	;; [unrolled: 1-line block ×3, first 2 shown]
	v_cmp_eq_u32_e64 s11, 0, v65
	s_wait_alu 0xf1ff
	v_cndmask_b32_e64 v4, v4, 0, s0
	s_delay_alu instid0(VALU_DEP_1) | instskip(NEXT) | instid1(VALU_DEP_1)
	v_add_nc_u32_e32 v2, v4, v2
	v_mov_b32_dpp v4, v2 row_shr:2 row_mask:0xf bank_mask:0xf
	s_delay_alu instid0(VALU_DEP_1) | instskip(NEXT) | instid1(VALU_DEP_1)
	v_cndmask_b32_e64 v4, 0, v4, s1
	v_add_nc_u32_e32 v2, v2, v4
	s_delay_alu instid0(VALU_DEP_1) | instskip(NEXT) | instid1(VALU_DEP_1)
	v_mov_b32_dpp v4, v2 row_shr:4 row_mask:0xf bank_mask:0xf
	v_cndmask_b32_e64 v4, 0, v4, s9
	s_delay_alu instid0(VALU_DEP_1) | instskip(NEXT) | instid1(VALU_DEP_1)
	v_add_nc_u32_e32 v2, v2, v4
	v_mov_b32_dpp v4, v2 row_shr:8 row_mask:0xf bank_mask:0xf
	s_delay_alu instid0(VALU_DEP_1) | instskip(NEXT) | instid1(VALU_DEP_1)
	v_cndmask_b32_e64 v4, 0, v4, s10
	v_add_nc_u32_e32 v2, v2, v4
	ds_swizzle_b32 v4, v2 offset:swizzle(BROADCAST,32,15)
	s_wait_dscnt 0x0
	v_and_b32_e32 v4, v64, v4
	s_delay_alu instid0(VALU_DEP_1)
	v_add_nc_u32_e32 v2, v2, v4
	s_and_saveexec_b32 s12, s3
; %bb.224:                              ;   in Loop: Header=BB1877_17 Depth=1
	ds_store_b32 v41, v2
; %bb.225:                              ;   in Loop: Header=BB1877_17 Depth=1
	s_wait_alu 0xfffe
	s_or_b32 exec_lo, exec_lo, s12
	s_wait_loadcnt_dscnt 0x0
	s_barrier_signal -1
	s_barrier_wait -1
	global_inv scope:SCOPE_SE
	s_and_saveexec_b32 s12, s4
	s_cbranch_execz .LBB1877_227
; %bb.226:                              ;   in Loop: Header=BB1877_17 Depth=1
	ds_load_b32 v4, v42
	v_cmp_ne_u32_e32 vcc_lo, 0, v67
	s_wait_dscnt 0x0
	v_mov_b32_dpp v5, v4 row_shr:1 row_mask:0xf bank_mask:0xf
	s_wait_alu 0xfffd
	s_delay_alu instid0(VALU_DEP_1) | instskip(SKIP_1) | instid1(VALU_DEP_2)
	v_cndmask_b32_e32 v5, 0, v5, vcc_lo
	v_cmp_lt_u32_e32 vcc_lo, 1, v67
	v_add_nc_u32_e32 v4, v5, v4
	s_delay_alu instid0(VALU_DEP_1) | instskip(SKIP_1) | instid1(VALU_DEP_1)
	v_mov_b32_dpp v5, v4 row_shr:2 row_mask:0xf bank_mask:0xf
	s_wait_alu 0xfffd
	v_cndmask_b32_e32 v5, 0, v5, vcc_lo
	v_cmp_lt_u32_e32 vcc_lo, 3, v67
	s_delay_alu instid0(VALU_DEP_2) | instskip(NEXT) | instid1(VALU_DEP_1)
	v_add_nc_u32_e32 v4, v4, v5
	v_mov_b32_dpp v5, v4 row_shr:4 row_mask:0xf bank_mask:0xf
	s_wait_alu 0xfffd
	s_delay_alu instid0(VALU_DEP_1) | instskip(NEXT) | instid1(VALU_DEP_1)
	v_cndmask_b32_e32 v5, 0, v5, vcc_lo
	v_add_nc_u32_e32 v4, v4, v5
	ds_store_b32 v42, v4
.LBB1877_227:                           ;   in Loop: Header=BB1877_17 Depth=1
	s_wait_alu 0xfffe
	s_or_b32 exec_lo, exec_lo, s12
	v_mov_b32_e32 v4, 0
	s_wait_loadcnt_dscnt 0x0
	s_barrier_signal -1
	s_barrier_wait -1
	global_inv scope:SCOPE_SE
	s_and_saveexec_b32 s12, s5
; %bb.228:                              ;   in Loop: Header=BB1877_17 Depth=1
	ds_load_b32 v4, v44
; %bb.229:                              ;   in Loop: Header=BB1877_17 Depth=1
	s_wait_alu 0xfffe
	s_or_b32 exec_lo, exec_lo, s12
	v_cmp_gt_i32_e32 vcc_lo, 0, v68
	s_wait_dscnt 0x0
	v_add_nc_u32_e32 v2, v4, v2
	s_wait_loadcnt 0x0
	s_barrier_signal -1
	s_barrier_wait -1
	s_wait_alu 0xfffd
	v_cndmask_b32_e32 v5, v68, v59, vcc_lo
	global_inv scope:SCOPE_SE
	v_lshlrev_b32_e32 v87, 2, v5
	ds_bpermute_b32 v2, v87, v2
	s_and_saveexec_b32 s12, s2
	s_cbranch_execz .LBB1877_231
; %bb.230:                              ;   in Loop: Header=BB1877_17 Depth=1
	s_wait_dscnt 0x0
	v_cndmask_b32_e64 v2, v2, v4, s8
	s_delay_alu instid0(VALU_DEP_1)
	v_add_nc_u32_e32 v2, s33, v2
	ds_store_b32 v28, v2
.LBB1877_231:                           ;   in Loop: Header=BB1877_17 Depth=1
	s_wait_alu 0xfffe
	s_or_b32 exec_lo, exec_lo, s12
	s_load_b64 s[12:13], s[28:29], 0x0
	v_add_co_u32 v88, vcc_lo, v51, v69
	s_wait_alu 0xfffd
	v_add_co_ci_u32_e64 v89, null, 0, v52, vcc_lo
	v_add_co_u32 v90, vcc_lo, v53, v77
	s_wait_alu 0xfffd
	v_add_co_ci_u32_e64 v91, null, 0, v54, vcc_lo
	s_mov_b32 s43, s47
                                        ; implicit-def: $vgpr6_vgpr7
                                        ; implicit-def: $vgpr8_vgpr9
                                        ; implicit-def: $vgpr10_vgpr11
                                        ; implicit-def: $vgpr12_vgpr13
                                        ; implicit-def: $vgpr14_vgpr15
                                        ; implicit-def: $vgpr16_vgpr17
                                        ; implicit-def: $vgpr18_vgpr19
                                        ; implicit-def: $vgpr93
                                        ; implicit-def: $vgpr94
                                        ; implicit-def: $vgpr95
                                        ; implicit-def: $vgpr96
                                        ; implicit-def: $vgpr97
                                        ; implicit-def: $vgpr98
                                        ; implicit-def: $vgpr99
                                        ; implicit-def: $vgpr100
	s_wait_kmcnt 0x0
	s_cmp_lt_u32 ttmp7, s13
	s_cselect_b32 s30, 14, 20
	s_cmp_lt_u32 ttmp9, s12
	s_wait_alu 0xfffe
	s_add_nc_u64 s[14:15], s[28:29], s[30:31]
	s_cselect_b32 s30, 12, 18
	s_load_u16 s14, s[14:15], 0x0
	s_add_nc_u64 s[12:13], s[28:29], s[30:31]
	s_mov_b32 s30, s33
	s_load_u16 s12, s[12:13], 0x0
	v_cmp_lt_u32_e64 s13, 1, v67
	s_wait_dscnt 0x0
	s_wait_kmcnt 0x0
	v_mad_u32_u24 v2, v45, s14, v0
	v_cmp_lt_u32_e64 s14, 3, v67
	s_delay_alu instid0(VALU_DEP_2) | instskip(SKIP_1) | instid1(VALU_DEP_2)
	v_mad_co_u64_u32 v[4:5], null, v2, s12, v[1:2]
	v_cmp_eq_u32_e64 s12, 0, v67
	v_lshrrev_b32_e32 v2, 3, v4
                                        ; implicit-def: $vgpr4_vgpr5
	s_delay_alu instid0(VALU_DEP_1)
	v_and_b32_e32 v92, 0x1ffffffc, v2
	s_branch .LBB1877_233
.LBB1877_232:                           ;   in Loop: Header=BB1877_233 Depth=2
	s_wait_alu 0xfffe
	s_or_b32 exec_lo, exec_lo, s15
	s_addk_co_i32 s43, 0xf800
	s_cmp_lt_u32 s44, s34
	s_mov_b32 s30, s44
	s_cbranch_scc0 .LBB1877_345
.LBB1877_233:                           ;   Parent Loop BB1877_17 Depth=1
                                        ; =>  This Inner Loop Header: Depth=2
	s_wait_alu 0xfffe
	s_add_co_i32 s44, s30, 0x800
	s_wait_alu 0xfffe
	s_cmp_gt_u32 s44, s34
	s_cbranch_scc1 .LBB1877_235
; %bb.234:                              ;   in Loop: Header=BB1877_233 Depth=2
	s_lshl_b64 s[16:17], s[30:31], 1
	s_mov_b32 s15, -1
	s_wait_alu 0xfffe
	v_add_co_u32 v20, vcc_lo, v90, s16
	s_wait_alu 0xfffd
	v_add_co_ci_u32_e64 v21, null, s17, v91, vcc_lo
	s_clause 0x6
	global_load_u16 v2, v[20:21], off
	global_load_u16 v27, v[20:21], off offset:64
	global_load_u16 v26, v[20:21], off offset:128
	;; [unrolled: 1-line block ×6, first 2 shown]
	s_movk_i32 s16, 0x800
	s_cbranch_execz .LBB1877_236
	s_branch .LBB1877_251
.LBB1877_235:                           ;   in Loop: Header=BB1877_233 Depth=2
	s_mov_b32 s15, 0
                                        ; implicit-def: $vgpr2
                                        ; implicit-def: $vgpr27
                                        ; implicit-def: $vgpr26
                                        ; implicit-def: $vgpr25
                                        ; implicit-def: $vgpr24
                                        ; implicit-def: $vgpr23
                                        ; implicit-def: $vgpr22
	s_movk_i32 s16, 0x800
.LBB1877_236:                           ;   in Loop: Header=BB1877_233 Depth=2
	s_lshl_b64 s[16:17], s[30:31], 1
	s_wait_loadcnt 0x5
	v_dual_mov_b32 v27, 0x7fff :: v_dual_mov_b32 v2, 0x7fff
	s_wait_alu 0xfffe
	v_add_co_u32 v20, vcc_lo, v90, s16
	s_wait_alu 0xfffd
	v_add_co_ci_u32_e64 v21, null, s17, v91, vcc_lo
	s_mov_b32 s15, exec_lo
	v_cmpx_gt_u32_e64 s43, v66
	s_cbranch_execz .LBB1877_238
; %bb.237:                              ;   in Loop: Header=BB1877_233 Depth=2
	global_load_u16 v2, v[20:21], off
.LBB1877_238:                           ;   in Loop: Header=BB1877_233 Depth=2
	s_wait_alu 0xfffe
	s_or_b32 exec_lo, exec_lo, s15
	s_delay_alu instid0(SALU_CYCLE_1)
	s_mov_b32 s15, exec_lo
	v_cmpx_gt_u32_e64 s43, v70
	s_cbranch_execz .LBB1877_240
; %bb.239:                              ;   in Loop: Header=BB1877_233 Depth=2
	global_load_u16 v27, v[20:21], off offset:64
.LBB1877_240:                           ;   in Loop: Header=BB1877_233 Depth=2
	s_wait_alu 0xfffe
	s_or_b32 exec_lo, exec_lo, s15
	s_wait_loadcnt 0x3
	v_dual_mov_b32 v25, 0x7fff :: v_dual_mov_b32 v26, 0x7fff
	s_mov_b32 s15, exec_lo
	v_cmpx_gt_u32_e64 s43, v71
	s_cbranch_execz .LBB1877_242
; %bb.241:                              ;   in Loop: Header=BB1877_233 Depth=2
	global_load_u16 v26, v[20:21], off offset:128
.LBB1877_242:                           ;   in Loop: Header=BB1877_233 Depth=2
	s_wait_alu 0xfffe
	s_or_b32 exec_lo, exec_lo, s15
	s_delay_alu instid0(SALU_CYCLE_1)
	s_mov_b32 s15, exec_lo
	v_cmpx_gt_u32_e64 s43, v72
	s_cbranch_execz .LBB1877_244
; %bb.243:                              ;   in Loop: Header=BB1877_233 Depth=2
	global_load_u16 v25, v[20:21], off offset:192
.LBB1877_244:                           ;   in Loop: Header=BB1877_233 Depth=2
	s_wait_alu 0xfffe
	s_or_b32 exec_lo, exec_lo, s15
	s_wait_loadcnt 0x1
	v_dual_mov_b32 v23, 0x7fff :: v_dual_mov_b32 v24, 0x7fff
	s_mov_b32 s15, exec_lo
	v_cmpx_gt_u32_e64 s43, v73
	s_cbranch_execz .LBB1877_246
; %bb.245:                              ;   in Loop: Header=BB1877_233 Depth=2
	global_load_u16 v24, v[20:21], off offset:256
.LBB1877_246:                           ;   in Loop: Header=BB1877_233 Depth=2
	s_wait_alu 0xfffe
	s_or_b32 exec_lo, exec_lo, s15
	s_delay_alu instid0(SALU_CYCLE_1)
	s_mov_b32 s15, exec_lo
	v_cmpx_gt_u32_e64 s43, v74
	s_cbranch_execz .LBB1877_248
; %bb.247:                              ;   in Loop: Header=BB1877_233 Depth=2
	global_load_u16 v23, v[20:21], off offset:320
.LBB1877_248:                           ;   in Loop: Header=BB1877_233 Depth=2
	s_wait_alu 0xfffe
	s_or_b32 exec_lo, exec_lo, s15
	s_wait_loadcnt 0x0
	v_mov_b32_e32 v22, 0x7fff
	s_mov_b32 s15, exec_lo
	v_cmpx_gt_u32_e64 s43, v75
	s_cbranch_execz .LBB1877_250
; %bb.249:                              ;   in Loop: Header=BB1877_233 Depth=2
	global_load_u16 v22, v[20:21], off offset:384
.LBB1877_250:                           ;   in Loop: Header=BB1877_233 Depth=2
	s_wait_alu 0xfffe
	s_or_b32 exec_lo, exec_lo, s15
	v_cmp_gt_u32_e64 s15, s43, v76
	s_sub_co_i32 s16, s34, s30
.LBB1877_251:                           ;   in Loop: Header=BB1877_233 Depth=2
	v_dual_mov_b32 v20, 0x7fff :: v_dual_mov_b32 v101, s43
	s_and_saveexec_b32 s17, s15
	s_cbranch_execz .LBB1877_253
; %bb.252:                              ;   in Loop: Header=BB1877_233 Depth=2
	s_lshl_b64 s[18:19], s[30:31], 1
	s_wait_alu 0xfffe
	v_mov_b32_e32 v101, s16
	v_add_co_u32 v20, vcc_lo, v90, s18
	s_wait_alu 0xfffd
	v_add_co_ci_u32_e64 v21, null, s19, v91, vcc_lo
	global_load_u16 v20, v[20:21], off offset:448
.LBB1877_253:                           ;   in Loop: Header=BB1877_233 Depth=2
	s_wait_alu 0xfffe
	s_or_b32 exec_lo, exec_lo, s17
	s_wait_loadcnt 0x6
	v_cmp_lt_i16_e32 vcc_lo, -1, v2
	ds_store_2addr_b32 v81, v3, v3 offset1:1
	ds_store_2addr_b32 v78, v3, v3 offset1:1
	ds_store_2addr_b32 v79, v3, v3 offset1:1
	ds_store_2addr_b32 v80, v3, v3 offset1:1
	ds_store_b32 v43, v3 offset:1088
	s_wait_loadcnt_dscnt 0x0
	s_barrier_signal -1
	s_wait_alu 0xfffd
	v_cndmask_b32_e64 v21, -1, 0xffff8000, vcc_lo
	s_barrier_wait -1
	global_inv scope:SCOPE_SE
	; wave barrier
	v_xor_b32_e32 v2, v21, v2
	s_delay_alu instid0(VALU_DEP_1) | instskip(SKIP_2) | instid1(VALU_DEP_1)
	v_cmp_ne_u16_e32 vcc_lo, 0x7fff, v2
	s_wait_alu 0xfffd
	v_cndmask_b32_e32 v21, 0xffff8000, v2, vcc_lo
	v_and_b32_e32 v21, 0xffff, v21
	s_delay_alu instid0(VALU_DEP_1) | instskip(NEXT) | instid1(VALU_DEP_1)
	v_lshrrev_b32_e32 v21, s23, v21
	v_and_b32_e32 v103, s42, v21
	s_delay_alu instid0(VALU_DEP_1)
	v_and_b32_e32 v21, 1, v103
	v_lshlrev_b32_e32 v102, 30, v103
	v_lshlrev_b32_e32 v104, 29, v103
	;; [unrolled: 1-line block ×4, first 2 shown]
	v_add_co_u32 v21, s15, v21, -1
	s_wait_alu 0xf1ff
	v_cndmask_b32_e64 v106, 0, 1, s15
	v_not_b32_e32 v110, v102
	v_cmp_gt_i32_e64 s15, 0, v102
	v_not_b32_e32 v102, v104
	v_lshlrev_b32_e32 v108, 26, v103
	v_cmp_ne_u32_e32 vcc_lo, 0, v106
	v_ashrrev_i32_e32 v110, 31, v110
	v_lshlrev_b32_e32 v109, 25, v103
	v_ashrrev_i32_e32 v102, 31, v102
	v_lshlrev_b32_e32 v106, 24, v103
	s_wait_alu 0xfffd
	v_xor_b32_e32 v21, vcc_lo, v21
	v_cmp_gt_i32_e32 vcc_lo, 0, v104
	v_not_b32_e32 v104, v105
	s_wait_alu 0xf1ff
	v_xor_b32_e32 v110, s15, v110
	v_cmp_gt_i32_e64 s15, 0, v105
	v_and_b32_e32 v21, exec_lo, v21
	v_not_b32_e32 v105, v107
	v_ashrrev_i32_e32 v104, 31, v104
	s_wait_alu 0xfffd
	v_xor_b32_e32 v102, vcc_lo, v102
	v_cmp_gt_i32_e32 vcc_lo, 0, v107
	v_and_b32_e32 v21, v21, v110
	v_not_b32_e32 v107, v108
	v_ashrrev_i32_e32 v105, 31, v105
	s_wait_alu 0xf1ff
	v_xor_b32_e32 v104, s15, v104
	v_cmp_gt_i32_e64 s15, 0, v108
	v_and_b32_e32 v21, v21, v102
	v_not_b32_e32 v102, v109
	v_ashrrev_i32_e32 v107, 31, v107
	s_wait_alu 0xfffd
	v_xor_b32_e32 v105, vcc_lo, v105
	v_cmp_gt_i32_e32 vcc_lo, 0, v109
	v_and_b32_e32 v21, v21, v104
	v_not_b32_e32 v104, v106
	v_ashrrev_i32_e32 v102, 31, v102
	s_wait_alu 0xf1ff
	v_xor_b32_e32 v107, s15, v107
	v_cmp_gt_i32_e64 s15, 0, v106
	v_and_b32_e32 v21, v21, v105
	v_ashrrev_i32_e32 v104, 31, v104
	s_wait_alu 0xfffd
	v_xor_b32_e32 v102, vcc_lo, v102
	v_mul_u32_u24_e32 v103, 36, v103
	v_and_b32_e32 v21, v21, v107
	s_wait_alu 0xf1ff
	v_xor_b32_e32 v104, s15, v104
	s_delay_alu instid0(VALU_DEP_2) | instskip(NEXT) | instid1(VALU_DEP_1)
	v_and_b32_e32 v21, v21, v102
	v_and_b32_e32 v21, v21, v104
	v_add_nc_u32_e32 v104, v92, v103
	s_delay_alu instid0(VALU_DEP_2) | instskip(SKIP_1) | instid1(VALU_DEP_2)
	v_mbcnt_lo_u32_b32 v102, v21, 0
	v_cmp_ne_u32_e64 s15, 0, v21
	v_cmp_eq_u32_e32 vcc_lo, 0, v102
	s_and_b32 s16, s15, vcc_lo
	s_wait_alu 0xfffe
	s_and_saveexec_b32 s15, s16
; %bb.254:                              ;   in Loop: Header=BB1877_233 Depth=2
	v_bcnt_u32_b32 v21, v21, 0
	ds_store_b32 v104, v21 offset:1056
; %bb.255:                              ;   in Loop: Header=BB1877_233 Depth=2
	s_wait_alu 0xfffe
	s_or_b32 exec_lo, exec_lo, s15
	v_cmp_lt_i16_e32 vcc_lo, -1, v27
	; wave barrier
	s_wait_alu 0xfffd
	v_cndmask_b32_e64 v21, -1, 0xffff8000, vcc_lo
	s_delay_alu instid0(VALU_DEP_1) | instskip(NEXT) | instid1(VALU_DEP_1)
	v_xor_b32_e32 v103, v21, v27
	v_cmp_ne_u16_e32 vcc_lo, 0x7fff, v103
	s_wait_alu 0xfffd
	v_cndmask_b32_e32 v21, 0xffff8000, v103, vcc_lo
	s_delay_alu instid0(VALU_DEP_1) | instskip(NEXT) | instid1(VALU_DEP_1)
	v_and_b32_e32 v21, 0xffff, v21
	v_lshrrev_b32_e32 v21, s23, v21
	s_delay_alu instid0(VALU_DEP_1) | instskip(NEXT) | instid1(VALU_DEP_1)
	v_and_b32_e32 v27, s42, v21
	v_and_b32_e32 v21, 1, v27
	v_lshlrev_b32_e32 v105, 30, v27
	v_lshlrev_b32_e32 v106, 29, v27
	;; [unrolled: 1-line block ×4, first 2 shown]
	v_add_co_u32 v21, s15, v21, -1
	s_wait_alu 0xf1ff
	v_cndmask_b32_e64 v108, 0, 1, s15
	v_not_b32_e32 v112, v105
	v_cmp_gt_i32_e64 s15, 0, v105
	v_not_b32_e32 v105, v106
	v_lshlrev_b32_e32 v110, 26, v27
	v_cmp_ne_u32_e32 vcc_lo, 0, v108
	v_ashrrev_i32_e32 v112, 31, v112
	v_lshlrev_b32_e32 v111, 25, v27
	v_ashrrev_i32_e32 v105, 31, v105
	v_lshlrev_b32_e32 v108, 24, v27
	s_wait_alu 0xfffd
	v_xor_b32_e32 v21, vcc_lo, v21
	v_cmp_gt_i32_e32 vcc_lo, 0, v106
	v_not_b32_e32 v106, v107
	s_wait_alu 0xf1ff
	v_xor_b32_e32 v112, s15, v112
	v_cmp_gt_i32_e64 s15, 0, v107
	v_and_b32_e32 v21, exec_lo, v21
	v_not_b32_e32 v107, v109
	v_ashrrev_i32_e32 v106, 31, v106
	s_wait_alu 0xfffd
	v_xor_b32_e32 v105, vcc_lo, v105
	v_cmp_gt_i32_e32 vcc_lo, 0, v109
	v_and_b32_e32 v21, v21, v112
	v_not_b32_e32 v109, v110
	v_ashrrev_i32_e32 v107, 31, v107
	s_wait_alu 0xf1ff
	v_xor_b32_e32 v106, s15, v106
	v_cmp_gt_i32_e64 s15, 0, v110
	v_and_b32_e32 v21, v21, v105
	v_not_b32_e32 v105, v111
	v_ashrrev_i32_e32 v109, 31, v109
	s_wait_alu 0xfffd
	v_xor_b32_e32 v107, vcc_lo, v107
	v_cmp_gt_i32_e32 vcc_lo, 0, v111
	v_and_b32_e32 v21, v21, v106
	v_not_b32_e32 v106, v108
	v_ashrrev_i32_e32 v105, 31, v105
	s_wait_alu 0xf1ff
	v_xor_b32_e32 v109, s15, v109
	v_cmp_gt_i32_e64 s15, 0, v108
	v_and_b32_e32 v21, v21, v107
	v_ashrrev_i32_e32 v106, 31, v106
	s_wait_alu 0xfffd
	v_xor_b32_e32 v105, vcc_lo, v105
	v_mad_u32_u24 v107, v27, 36, v92
	v_mul_u32_u24_e32 v27, 36, v27
	v_and_b32_e32 v21, v21, v109
	s_wait_alu 0xf1ff
	v_xor_b32_e32 v106, s15, v106
	s_delay_alu instid0(VALU_DEP_3) | instskip(NEXT) | instid1(VALU_DEP_3)
	v_add_nc_u32_e32 v108, v92, v27
	v_and_b32_e32 v21, v21, v105
	ds_load_b32 v105, v107 offset:1056
	; wave barrier
	v_and_b32_e32 v21, v21, v106
	s_delay_alu instid0(VALU_DEP_1) | instskip(SKIP_1) | instid1(VALU_DEP_2)
	v_mbcnt_lo_u32_b32 v106, v21, 0
	v_cmp_ne_u32_e64 s15, 0, v21
	v_cmp_eq_u32_e32 vcc_lo, 0, v106
	s_and_b32 s16, s15, vcc_lo
	s_wait_alu 0xfffe
	s_and_saveexec_b32 s15, s16
	s_cbranch_execz .LBB1877_257
; %bb.256:                              ;   in Loop: Header=BB1877_233 Depth=2
	s_wait_dscnt 0x0
	v_bcnt_u32_b32 v21, v21, v105
	ds_store_b32 v108, v21 offset:1056
.LBB1877_257:                           ;   in Loop: Header=BB1877_233 Depth=2
	s_wait_alu 0xfffe
	s_or_b32 exec_lo, exec_lo, s15
	v_cmp_lt_i16_e32 vcc_lo, -1, v26
	; wave barrier
	s_wait_alu 0xfffd
	v_cndmask_b32_e64 v21, -1, 0xffff8000, vcc_lo
	s_delay_alu instid0(VALU_DEP_1) | instskip(NEXT) | instid1(VALU_DEP_1)
	v_xor_b32_e32 v107, v21, v26
	v_cmp_ne_u16_e32 vcc_lo, 0x7fff, v107
	s_wait_alu 0xfffd
	v_cndmask_b32_e32 v21, 0xffff8000, v107, vcc_lo
	s_delay_alu instid0(VALU_DEP_1) | instskip(NEXT) | instid1(VALU_DEP_1)
	v_and_b32_e32 v21, 0xffff, v21
	v_lshrrev_b32_e32 v21, s23, v21
	s_delay_alu instid0(VALU_DEP_1) | instskip(NEXT) | instid1(VALU_DEP_1)
	v_and_b32_e32 v26, s42, v21
	v_and_b32_e32 v21, 1, v26
	v_lshlrev_b32_e32 v27, 30, v26
	v_lshlrev_b32_e32 v109, 29, v26
	;; [unrolled: 1-line block ×4, first 2 shown]
	v_add_co_u32 v21, s15, v21, -1
	s_wait_alu 0xf1ff
	v_cndmask_b32_e64 v111, 0, 1, s15
	v_not_b32_e32 v115, v27
	v_cmp_gt_i32_e64 s15, 0, v27
	v_not_b32_e32 v27, v109
	v_lshlrev_b32_e32 v113, 26, v26
	v_cmp_ne_u32_e32 vcc_lo, 0, v111
	v_ashrrev_i32_e32 v115, 31, v115
	v_lshlrev_b32_e32 v114, 25, v26
	v_ashrrev_i32_e32 v27, 31, v27
	v_lshlrev_b32_e32 v111, 24, v26
	s_wait_alu 0xfffd
	v_xor_b32_e32 v21, vcc_lo, v21
	v_cmp_gt_i32_e32 vcc_lo, 0, v109
	v_not_b32_e32 v109, v110
	s_wait_alu 0xf1ff
	v_xor_b32_e32 v115, s15, v115
	v_cmp_gt_i32_e64 s15, 0, v110
	v_and_b32_e32 v21, exec_lo, v21
	v_not_b32_e32 v110, v112
	v_ashrrev_i32_e32 v109, 31, v109
	s_wait_alu 0xfffd
	v_xor_b32_e32 v27, vcc_lo, v27
	v_cmp_gt_i32_e32 vcc_lo, 0, v112
	v_and_b32_e32 v21, v21, v115
	v_not_b32_e32 v112, v113
	v_ashrrev_i32_e32 v110, 31, v110
	s_wait_alu 0xf1ff
	v_xor_b32_e32 v109, s15, v109
	v_cmp_gt_i32_e64 s15, 0, v113
	v_and_b32_e32 v21, v21, v27
	v_not_b32_e32 v27, v114
	v_ashrrev_i32_e32 v112, 31, v112
	s_wait_alu 0xfffd
	v_xor_b32_e32 v110, vcc_lo, v110
	v_cmp_gt_i32_e32 vcc_lo, 0, v114
	v_and_b32_e32 v21, v21, v109
	v_not_b32_e32 v109, v111
	v_ashrrev_i32_e32 v27, 31, v27
	s_wait_alu 0xf1ff
	v_xor_b32_e32 v112, s15, v112
	v_cmp_gt_i32_e64 s15, 0, v111
	v_and_b32_e32 v21, v21, v110
	v_ashrrev_i32_e32 v109, 31, v109
	s_wait_alu 0xfffd
	v_xor_b32_e32 v27, vcc_lo, v27
	v_mad_u32_u24 v110, v26, 36, v92
	v_mul_u32_u24_e32 v26, 36, v26
	v_and_b32_e32 v21, v21, v112
	s_wait_alu 0xf1ff
	v_xor_b32_e32 v111, s15, v109
	ds_load_b32 v109, v110 offset:1056
	v_add_nc_u32_e32 v112, v92, v26
	v_and_b32_e32 v21, v21, v27
	; wave barrier
	s_delay_alu instid0(VALU_DEP_1) | instskip(NEXT) | instid1(VALU_DEP_1)
	v_and_b32_e32 v21, v21, v111
	v_mbcnt_lo_u32_b32 v111, v21, 0
	v_cmp_ne_u32_e64 s15, 0, v21
	s_delay_alu instid0(VALU_DEP_2)
	v_cmp_eq_u32_e32 vcc_lo, 0, v111
	s_and_b32 s16, s15, vcc_lo
	s_wait_alu 0xfffe
	s_and_saveexec_b32 s15, s16
	s_cbranch_execz .LBB1877_259
; %bb.258:                              ;   in Loop: Header=BB1877_233 Depth=2
	s_wait_dscnt 0x0
	v_bcnt_u32_b32 v21, v21, v109
	ds_store_b32 v112, v21 offset:1056
.LBB1877_259:                           ;   in Loop: Header=BB1877_233 Depth=2
	s_wait_alu 0xfffe
	s_or_b32 exec_lo, exec_lo, s15
	v_cmp_lt_i16_e32 vcc_lo, -1, v25
	; wave barrier
	s_wait_alu 0xfffd
	v_cndmask_b32_e64 v21, -1, 0xffff8000, vcc_lo
	s_delay_alu instid0(VALU_DEP_1) | instskip(NEXT) | instid1(VALU_DEP_1)
	v_xor_b32_e32 v110, v21, v25
	v_cmp_ne_u16_e32 vcc_lo, 0x7fff, v110
	s_wait_alu 0xfffd
	v_cndmask_b32_e32 v21, 0xffff8000, v110, vcc_lo
	s_delay_alu instid0(VALU_DEP_1) | instskip(NEXT) | instid1(VALU_DEP_1)
	v_and_b32_e32 v21, 0xffff, v21
	v_lshrrev_b32_e32 v21, s23, v21
	s_delay_alu instid0(VALU_DEP_1) | instskip(NEXT) | instid1(VALU_DEP_1)
	v_and_b32_e32 v25, s42, v21
	v_and_b32_e32 v21, 1, v25
	v_lshlrev_b32_e32 v26, 30, v25
	v_lshlrev_b32_e32 v27, 29, v25
	;; [unrolled: 1-line block ×4, first 2 shown]
	v_add_co_u32 v21, s15, v21, -1
	s_wait_alu 0xf1ff
	v_cndmask_b32_e64 v114, 0, 1, s15
	v_not_b32_e32 v118, v26
	v_cmp_gt_i32_e64 s15, 0, v26
	v_not_b32_e32 v26, v27
	v_lshlrev_b32_e32 v116, 26, v25
	v_cmp_ne_u32_e32 vcc_lo, 0, v114
	v_ashrrev_i32_e32 v118, 31, v118
	v_lshlrev_b32_e32 v117, 25, v25
	v_ashrrev_i32_e32 v26, 31, v26
	v_lshlrev_b32_e32 v114, 24, v25
	s_wait_alu 0xfffd
	v_xor_b32_e32 v21, vcc_lo, v21
	v_cmp_gt_i32_e32 vcc_lo, 0, v27
	v_not_b32_e32 v27, v113
	s_wait_alu 0xf1ff
	v_xor_b32_e32 v118, s15, v118
	v_cmp_gt_i32_e64 s15, 0, v113
	v_and_b32_e32 v21, exec_lo, v21
	v_not_b32_e32 v113, v115
	v_ashrrev_i32_e32 v27, 31, v27
	s_wait_alu 0xfffd
	v_xor_b32_e32 v26, vcc_lo, v26
	v_cmp_gt_i32_e32 vcc_lo, 0, v115
	v_and_b32_e32 v21, v21, v118
	v_not_b32_e32 v115, v116
	v_ashrrev_i32_e32 v113, 31, v113
	s_wait_alu 0xf1ff
	v_xor_b32_e32 v27, s15, v27
	v_cmp_gt_i32_e64 s15, 0, v116
	v_and_b32_e32 v21, v21, v26
	v_not_b32_e32 v26, v117
	v_ashrrev_i32_e32 v115, 31, v115
	s_wait_alu 0xfffd
	v_xor_b32_e32 v113, vcc_lo, v113
	v_cmp_gt_i32_e32 vcc_lo, 0, v117
	v_and_b32_e32 v21, v21, v27
	v_not_b32_e32 v27, v114
	v_ashrrev_i32_e32 v26, 31, v26
	s_wait_alu 0xf1ff
	v_xor_b32_e32 v115, s15, v115
	v_cmp_gt_i32_e64 s15, 0, v114
	v_and_b32_e32 v21, v21, v113
	v_ashrrev_i32_e32 v27, 31, v27
	s_wait_alu 0xfffd
	v_xor_b32_e32 v26, vcc_lo, v26
	v_mad_u32_u24 v113, v25, 36, v92
	v_mul_u32_u24_e32 v25, 36, v25
	v_and_b32_e32 v21, v21, v115
	s_wait_alu 0xf1ff
	v_xor_b32_e32 v27, s15, v27
	ds_load_b32 v113, v113 offset:1056
	v_add_nc_u32_e32 v116, v92, v25
	v_and_b32_e32 v21, v21, v26
	; wave barrier
	s_delay_alu instid0(VALU_DEP_1) | instskip(NEXT) | instid1(VALU_DEP_1)
	v_and_b32_e32 v21, v21, v27
	v_mbcnt_lo_u32_b32 v115, v21, 0
	v_cmp_ne_u32_e64 s15, 0, v21
	s_delay_alu instid0(VALU_DEP_2)
	v_cmp_eq_u32_e32 vcc_lo, 0, v115
	s_and_b32 s16, s15, vcc_lo
	s_wait_alu 0xfffe
	s_and_saveexec_b32 s15, s16
	s_cbranch_execz .LBB1877_261
; %bb.260:                              ;   in Loop: Header=BB1877_233 Depth=2
	s_wait_dscnt 0x0
	v_bcnt_u32_b32 v21, v21, v113
	ds_store_b32 v116, v21 offset:1056
.LBB1877_261:                           ;   in Loop: Header=BB1877_233 Depth=2
	s_wait_alu 0xfffe
	s_or_b32 exec_lo, exec_lo, s15
	v_cmp_lt_i16_e32 vcc_lo, -1, v24
	; wave barrier
	s_wait_alu 0xfffd
	v_cndmask_b32_e64 v21, -1, 0xffff8000, vcc_lo
	s_delay_alu instid0(VALU_DEP_1) | instskip(NEXT) | instid1(VALU_DEP_1)
	v_xor_b32_e32 v114, v21, v24
	v_cmp_ne_u16_e32 vcc_lo, 0x7fff, v114
	s_wait_alu 0xfffd
	v_cndmask_b32_e32 v21, 0xffff8000, v114, vcc_lo
	s_delay_alu instid0(VALU_DEP_1) | instskip(NEXT) | instid1(VALU_DEP_1)
	v_and_b32_e32 v21, 0xffff, v21
	v_lshrrev_b32_e32 v21, s23, v21
	s_delay_alu instid0(VALU_DEP_1) | instskip(NEXT) | instid1(VALU_DEP_1)
	v_and_b32_e32 v24, s42, v21
	v_and_b32_e32 v21, 1, v24
	v_lshlrev_b32_e32 v25, 30, v24
	v_lshlrev_b32_e32 v26, 29, v24
	;; [unrolled: 1-line block ×4, first 2 shown]
	v_add_co_u32 v21, s15, v21, -1
	s_wait_alu 0xf1ff
	v_cndmask_b32_e64 v117, 0, 1, s15
	v_not_b32_e32 v121, v25
	v_cmp_gt_i32_e64 s15, 0, v25
	v_not_b32_e32 v25, v26
	v_lshlrev_b32_e32 v119, 26, v24
	v_cmp_ne_u32_e32 vcc_lo, 0, v117
	v_ashrrev_i32_e32 v121, 31, v121
	v_lshlrev_b32_e32 v120, 25, v24
	v_ashrrev_i32_e32 v25, 31, v25
	v_lshlrev_b32_e32 v117, 24, v24
	s_wait_alu 0xfffd
	v_xor_b32_e32 v21, vcc_lo, v21
	v_cmp_gt_i32_e32 vcc_lo, 0, v26
	v_not_b32_e32 v26, v27
	s_wait_alu 0xf1ff
	v_xor_b32_e32 v121, s15, v121
	v_cmp_gt_i32_e64 s15, 0, v27
	v_and_b32_e32 v21, exec_lo, v21
	v_not_b32_e32 v27, v118
	v_ashrrev_i32_e32 v26, 31, v26
	s_wait_alu 0xfffd
	v_xor_b32_e32 v25, vcc_lo, v25
	v_cmp_gt_i32_e32 vcc_lo, 0, v118
	v_and_b32_e32 v21, v21, v121
	v_not_b32_e32 v118, v119
	v_ashrrev_i32_e32 v27, 31, v27
	s_wait_alu 0xf1ff
	v_xor_b32_e32 v26, s15, v26
	v_cmp_gt_i32_e64 s15, 0, v119
	v_and_b32_e32 v21, v21, v25
	v_not_b32_e32 v25, v120
	v_ashrrev_i32_e32 v118, 31, v118
	s_wait_alu 0xfffd
	v_xor_b32_e32 v27, vcc_lo, v27
	v_cmp_gt_i32_e32 vcc_lo, 0, v120
	v_and_b32_e32 v21, v21, v26
	v_not_b32_e32 v26, v117
	v_ashrrev_i32_e32 v25, 31, v25
	s_wait_alu 0xf1ff
	v_xor_b32_e32 v118, s15, v118
	v_cmp_gt_i32_e64 s15, 0, v117
	v_and_b32_e32 v21, v21, v27
	v_ashrrev_i32_e32 v26, 31, v26
	s_wait_alu 0xfffd
	v_xor_b32_e32 v25, vcc_lo, v25
	v_mad_u32_u24 v27, v24, 36, v92
	v_mul_u32_u24_e32 v24, 36, v24
	v_and_b32_e32 v21, v21, v118
	s_wait_alu 0xf1ff
	v_xor_b32_e32 v26, s15, v26
	ds_load_b32 v117, v27 offset:1056
	v_add_nc_u32_e32 v120, v92, v24
	v_and_b32_e32 v21, v21, v25
	; wave barrier
	s_delay_alu instid0(VALU_DEP_1) | instskip(NEXT) | instid1(VALU_DEP_1)
	v_and_b32_e32 v21, v21, v26
	v_mbcnt_lo_u32_b32 v119, v21, 0
	v_cmp_ne_u32_e64 s15, 0, v21
	s_delay_alu instid0(VALU_DEP_2)
	v_cmp_eq_u32_e32 vcc_lo, 0, v119
	s_and_b32 s16, s15, vcc_lo
	s_wait_alu 0xfffe
	s_and_saveexec_b32 s15, s16
	s_cbranch_execz .LBB1877_263
; %bb.262:                              ;   in Loop: Header=BB1877_233 Depth=2
	s_wait_dscnt 0x0
	v_bcnt_u32_b32 v21, v21, v117
	ds_store_b32 v120, v21 offset:1056
.LBB1877_263:                           ;   in Loop: Header=BB1877_233 Depth=2
	s_wait_alu 0xfffe
	s_or_b32 exec_lo, exec_lo, s15
	v_cmp_lt_i16_e32 vcc_lo, -1, v23
	; wave barrier
	s_wait_alu 0xfffd
	v_cndmask_b32_e64 v21, -1, 0xffff8000, vcc_lo
	s_delay_alu instid0(VALU_DEP_1) | instskip(NEXT) | instid1(VALU_DEP_1)
	v_xor_b32_e32 v118, v21, v23
	v_cmp_ne_u16_e32 vcc_lo, 0x7fff, v118
	s_wait_alu 0xfffd
	v_cndmask_b32_e32 v21, 0xffff8000, v118, vcc_lo
	s_delay_alu instid0(VALU_DEP_1) | instskip(NEXT) | instid1(VALU_DEP_1)
	v_and_b32_e32 v21, 0xffff, v21
	v_lshrrev_b32_e32 v21, s23, v21
	s_delay_alu instid0(VALU_DEP_1) | instskip(NEXT) | instid1(VALU_DEP_1)
	v_and_b32_e32 v23, s42, v21
	v_and_b32_e32 v21, 1, v23
	v_lshlrev_b32_e32 v24, 30, v23
	v_lshlrev_b32_e32 v25, 29, v23
	;; [unrolled: 1-line block ×4, first 2 shown]
	v_add_co_u32 v21, s15, v21, -1
	s_wait_alu 0xf1ff
	v_cndmask_b32_e64 v27, 0, 1, s15
	v_not_b32_e32 v124, v24
	v_cmp_gt_i32_e64 s15, 0, v24
	v_not_b32_e32 v24, v25
	v_lshlrev_b32_e32 v122, 26, v23
	v_cmp_ne_u32_e32 vcc_lo, 0, v27
	v_ashrrev_i32_e32 v124, 31, v124
	v_lshlrev_b32_e32 v123, 25, v23
	v_ashrrev_i32_e32 v24, 31, v24
	v_lshlrev_b32_e32 v27, 24, v23
	s_wait_alu 0xfffd
	v_xor_b32_e32 v21, vcc_lo, v21
	v_cmp_gt_i32_e32 vcc_lo, 0, v25
	v_not_b32_e32 v25, v26
	s_wait_alu 0xf1ff
	v_xor_b32_e32 v124, s15, v124
	v_cmp_gt_i32_e64 s15, 0, v26
	v_and_b32_e32 v21, exec_lo, v21
	v_not_b32_e32 v26, v121
	v_ashrrev_i32_e32 v25, 31, v25
	s_wait_alu 0xfffd
	v_xor_b32_e32 v24, vcc_lo, v24
	v_cmp_gt_i32_e32 vcc_lo, 0, v121
	v_and_b32_e32 v21, v21, v124
	v_not_b32_e32 v121, v122
	v_ashrrev_i32_e32 v26, 31, v26
	s_wait_alu 0xf1ff
	v_xor_b32_e32 v25, s15, v25
	v_cmp_gt_i32_e64 s15, 0, v122
	v_and_b32_e32 v21, v21, v24
	v_not_b32_e32 v24, v123
	v_ashrrev_i32_e32 v121, 31, v121
	s_wait_alu 0xfffd
	v_xor_b32_e32 v26, vcc_lo, v26
	v_cmp_gt_i32_e32 vcc_lo, 0, v123
	v_and_b32_e32 v21, v21, v25
	v_not_b32_e32 v25, v27
	v_ashrrev_i32_e32 v24, 31, v24
	s_wait_alu 0xf1ff
	v_xor_b32_e32 v121, s15, v121
	v_cmp_gt_i32_e64 s15, 0, v27
	v_and_b32_e32 v21, v21, v26
	v_ashrrev_i32_e32 v25, 31, v25
	s_wait_alu 0xfffd
	v_xor_b32_e32 v24, vcc_lo, v24
	v_mad_u32_u24 v26, v23, 36, v92
	v_mul_u32_u24_e32 v23, 36, v23
	v_and_b32_e32 v21, v21, v121
	s_wait_alu 0xf1ff
	v_xor_b32_e32 v25, s15, v25
	ds_load_b32 v121, v26 offset:1056
	v_add_nc_u32_e32 v124, v92, v23
	v_and_b32_e32 v21, v21, v24
	; wave barrier
	s_delay_alu instid0(VALU_DEP_1) | instskip(NEXT) | instid1(VALU_DEP_1)
	v_and_b32_e32 v21, v21, v25
	v_mbcnt_lo_u32_b32 v123, v21, 0
	v_cmp_ne_u32_e64 s15, 0, v21
	s_delay_alu instid0(VALU_DEP_2)
	v_cmp_eq_u32_e32 vcc_lo, 0, v123
	s_and_b32 s16, s15, vcc_lo
	s_wait_alu 0xfffe
	s_and_saveexec_b32 s15, s16
	s_cbranch_execz .LBB1877_265
; %bb.264:                              ;   in Loop: Header=BB1877_233 Depth=2
	s_wait_dscnt 0x0
	v_bcnt_u32_b32 v21, v21, v121
	ds_store_b32 v124, v21 offset:1056
.LBB1877_265:                           ;   in Loop: Header=BB1877_233 Depth=2
	s_wait_alu 0xfffe
	s_or_b32 exec_lo, exec_lo, s15
	v_cmp_lt_i16_e32 vcc_lo, -1, v22
	; wave barrier
	s_wait_alu 0xfffd
	v_cndmask_b32_e64 v21, -1, 0xffff8000, vcc_lo
	s_delay_alu instid0(VALU_DEP_1) | instskip(NEXT) | instid1(VALU_DEP_1)
	v_xor_b32_e32 v122, v21, v22
	v_cmp_ne_u16_e32 vcc_lo, 0x7fff, v122
	s_wait_alu 0xfffd
	v_cndmask_b32_e32 v21, 0xffff8000, v122, vcc_lo
	s_delay_alu instid0(VALU_DEP_1) | instskip(NEXT) | instid1(VALU_DEP_1)
	v_and_b32_e32 v21, 0xffff, v21
	v_lshrrev_b32_e32 v21, s23, v21
	s_delay_alu instid0(VALU_DEP_1) | instskip(NEXT) | instid1(VALU_DEP_1)
	v_and_b32_e32 v22, s42, v21
	v_and_b32_e32 v21, 1, v22
	v_lshlrev_b32_e32 v23, 30, v22
	v_lshlrev_b32_e32 v24, 29, v22
	;; [unrolled: 1-line block ×4, first 2 shown]
	v_add_co_u32 v21, s15, v21, -1
	s_wait_alu 0xf1ff
	v_cndmask_b32_e64 v26, 0, 1, s15
	v_not_b32_e32 v127, v23
	v_cmp_gt_i32_e64 s15, 0, v23
	v_not_b32_e32 v23, v24
	v_lshlrev_b32_e32 v125, 26, v22
	v_cmp_ne_u32_e32 vcc_lo, 0, v26
	v_ashrrev_i32_e32 v127, 31, v127
	v_lshlrev_b32_e32 v126, 25, v22
	v_ashrrev_i32_e32 v23, 31, v23
	v_lshlrev_b32_e32 v26, 24, v22
	s_wait_alu 0xfffd
	v_xor_b32_e32 v21, vcc_lo, v21
	v_cmp_gt_i32_e32 vcc_lo, 0, v24
	v_not_b32_e32 v24, v25
	s_wait_alu 0xf1ff
	v_xor_b32_e32 v127, s15, v127
	v_cmp_gt_i32_e64 s15, 0, v25
	v_and_b32_e32 v21, exec_lo, v21
	v_not_b32_e32 v25, v27
	v_ashrrev_i32_e32 v24, 31, v24
	s_wait_alu 0xfffd
	v_xor_b32_e32 v23, vcc_lo, v23
	v_cmp_gt_i32_e32 vcc_lo, 0, v27
	v_and_b32_e32 v21, v21, v127
	v_not_b32_e32 v27, v125
	v_ashrrev_i32_e32 v25, 31, v25
	s_wait_alu 0xf1ff
	v_xor_b32_e32 v24, s15, v24
	v_cmp_gt_i32_e64 s15, 0, v125
	v_and_b32_e32 v21, v21, v23
	v_not_b32_e32 v23, v126
	v_ashrrev_i32_e32 v27, 31, v27
	s_wait_alu 0xfffd
	v_xor_b32_e32 v25, vcc_lo, v25
	v_cmp_gt_i32_e32 vcc_lo, 0, v126
	v_and_b32_e32 v21, v21, v24
	v_not_b32_e32 v24, v26
	v_ashrrev_i32_e32 v23, 31, v23
	s_wait_alu 0xf1ff
	v_xor_b32_e32 v27, s15, v27
	v_cmp_gt_i32_e64 s15, 0, v26
	v_and_b32_e32 v21, v21, v25
	v_ashrrev_i32_e32 v24, 31, v24
	s_wait_alu 0xfffd
	v_xor_b32_e32 v23, vcc_lo, v23
	v_mad_u32_u24 v25, v22, 36, v92
	v_mul_u32_u24_e32 v22, 36, v22
	v_and_b32_e32 v21, v21, v27
	s_wait_alu 0xf1ff
	v_xor_b32_e32 v24, s15, v24
	ds_load_b32 v125, v25 offset:1056
	v_add_nc_u32_e32 v128, v92, v22
	v_and_b32_e32 v21, v21, v23
	; wave barrier
	s_delay_alu instid0(VALU_DEP_1) | instskip(NEXT) | instid1(VALU_DEP_1)
	v_and_b32_e32 v21, v21, v24
	v_mbcnt_lo_u32_b32 v126, v21, 0
	v_cmp_ne_u32_e64 s15, 0, v21
	s_delay_alu instid0(VALU_DEP_2)
	v_cmp_eq_u32_e32 vcc_lo, 0, v126
	s_and_b32 s16, s15, vcc_lo
	s_wait_alu 0xfffe
	s_and_saveexec_b32 s15, s16
	s_cbranch_execz .LBB1877_267
; %bb.266:                              ;   in Loop: Header=BB1877_233 Depth=2
	s_wait_dscnt 0x0
	v_bcnt_u32_b32 v21, v21, v125
	ds_store_b32 v128, v21 offset:1056
.LBB1877_267:                           ;   in Loop: Header=BB1877_233 Depth=2
	s_wait_alu 0xfffe
	s_or_b32 exec_lo, exec_lo, s15
	v_cmp_lt_i16_e32 vcc_lo, -1, v20
	; wave barrier
	s_wait_alu 0xfffd
	v_cndmask_b32_e64 v21, -1, 0xffff8000, vcc_lo
	s_delay_alu instid0(VALU_DEP_1) | instskip(NEXT) | instid1(VALU_DEP_1)
	v_xor_b32_e32 v127, v21, v20
	v_cmp_ne_u16_e32 vcc_lo, 0x7fff, v127
	s_wait_alu 0xfffd
	v_cndmask_b32_e32 v20, 0xffff8000, v127, vcc_lo
	s_delay_alu instid0(VALU_DEP_1) | instskip(NEXT) | instid1(VALU_DEP_1)
	v_and_b32_e32 v20, 0xffff, v20
	v_lshrrev_b32_e32 v20, s23, v20
	s_delay_alu instid0(VALU_DEP_1) | instskip(NEXT) | instid1(VALU_DEP_1)
	v_and_b32_e32 v21, s42, v20
	v_and_b32_e32 v20, 1, v21
	v_lshlrev_b32_e32 v22, 30, v21
	v_lshlrev_b32_e32 v23, 29, v21
	;; [unrolled: 1-line block ×4, first 2 shown]
	v_add_co_u32 v20, s15, v20, -1
	s_wait_alu 0xf1ff
	v_cndmask_b32_e64 v25, 0, 1, s15
	v_not_b32_e32 v130, v22
	v_cmp_gt_i32_e64 s15, 0, v22
	v_not_b32_e32 v22, v23
	v_lshlrev_b32_e32 v27, 26, v21
	v_cmp_ne_u32_e32 vcc_lo, 0, v25
	v_ashrrev_i32_e32 v130, 31, v130
	v_lshlrev_b32_e32 v129, 25, v21
	v_ashrrev_i32_e32 v22, 31, v22
	v_lshlrev_b32_e32 v25, 24, v21
	s_wait_alu 0xfffd
	v_xor_b32_e32 v20, vcc_lo, v20
	v_cmp_gt_i32_e32 vcc_lo, 0, v23
	v_not_b32_e32 v23, v24
	s_wait_alu 0xf1ff
	v_xor_b32_e32 v130, s15, v130
	v_cmp_gt_i32_e64 s15, 0, v24
	v_and_b32_e32 v20, exec_lo, v20
	v_not_b32_e32 v24, v26
	v_ashrrev_i32_e32 v23, 31, v23
	s_wait_alu 0xfffd
	v_xor_b32_e32 v22, vcc_lo, v22
	v_cmp_gt_i32_e32 vcc_lo, 0, v26
	v_and_b32_e32 v20, v20, v130
	v_not_b32_e32 v26, v27
	v_ashrrev_i32_e32 v24, 31, v24
	s_wait_alu 0xf1ff
	v_xor_b32_e32 v23, s15, v23
	v_cmp_gt_i32_e64 s15, 0, v27
	v_and_b32_e32 v20, v20, v22
	v_not_b32_e32 v22, v129
	v_ashrrev_i32_e32 v26, 31, v26
	s_wait_alu 0xfffd
	v_xor_b32_e32 v24, vcc_lo, v24
	v_cmp_gt_i32_e32 vcc_lo, 0, v129
	v_and_b32_e32 v20, v20, v23
	v_not_b32_e32 v23, v25
	v_ashrrev_i32_e32 v22, 31, v22
	s_wait_alu 0xf1ff
	v_xor_b32_e32 v26, s15, v26
	v_cmp_gt_i32_e64 s15, 0, v25
	v_and_b32_e32 v20, v20, v24
	v_ashrrev_i32_e32 v23, 31, v23
	s_wait_alu 0xfffd
	v_xor_b32_e32 v22, vcc_lo, v22
	v_mad_u32_u24 v24, v21, 36, v92
	v_mul_u32_u24_e32 v21, 36, v21
	v_and_b32_e32 v20, v20, v26
	s_wait_alu 0xf1ff
	v_xor_b32_e32 v23, s15, v23
	ds_load_b32 v129, v24 offset:1056
	v_add_nc_u32_e32 v131, v92, v21
	v_and_b32_e32 v20, v20, v22
	; wave barrier
	s_delay_alu instid0(VALU_DEP_1) | instskip(NEXT) | instid1(VALU_DEP_1)
	v_and_b32_e32 v20, v20, v23
	v_mbcnt_lo_u32_b32 v130, v20, 0
	v_cmp_ne_u32_e64 s15, 0, v20
	s_delay_alu instid0(VALU_DEP_2)
	v_cmp_eq_u32_e32 vcc_lo, 0, v130
	s_and_b32 s16, s15, vcc_lo
	s_wait_alu 0xfffe
	s_and_saveexec_b32 s15, s16
	s_cbranch_execz .LBB1877_269
; %bb.268:                              ;   in Loop: Header=BB1877_233 Depth=2
	s_wait_dscnt 0x0
	v_bcnt_u32_b32 v20, v20, v129
	ds_store_b32 v131, v20 offset:1056
.LBB1877_269:                           ;   in Loop: Header=BB1877_233 Depth=2
	s_wait_alu 0xfffe
	s_or_b32 exec_lo, exec_lo, s15
	; wave barrier
	s_wait_loadcnt_dscnt 0x0
	s_barrier_signal -1
	s_barrier_wait -1
	global_inv scope:SCOPE_SE
	ds_load_2addr_b32 v[26:27], v78 offset1:1
	ds_load_2addr_b32 v[24:25], v79 offset1:1
	;; [unrolled: 1-line block ×4, first 2 shown]
	ds_load_b32 v132, v43 offset:1088
	s_wait_dscnt 0x3
	v_add3_u32 v133, v27, v26, v24
	s_wait_dscnt 0x2
	s_delay_alu instid0(VALU_DEP_1) | instskip(SKIP_1) | instid1(VALU_DEP_1)
	v_add3_u32 v133, v133, v25, v22
	s_wait_dscnt 0x1
	v_add3_u32 v133, v133, v23, v20
	s_wait_dscnt 0x0
	s_delay_alu instid0(VALU_DEP_1) | instskip(NEXT) | instid1(VALU_DEP_1)
	v_add3_u32 v132, v133, v21, v132
	v_mov_b32_dpp v133, v132 row_shr:1 row_mask:0xf bank_mask:0xf
	s_delay_alu instid0(VALU_DEP_1) | instskip(NEXT) | instid1(VALU_DEP_1)
	v_cndmask_b32_e64 v133, v133, 0, s0
	v_add_nc_u32_e32 v132, v133, v132
	s_delay_alu instid0(VALU_DEP_1) | instskip(NEXT) | instid1(VALU_DEP_1)
	v_mov_b32_dpp v133, v132 row_shr:2 row_mask:0xf bank_mask:0xf
	v_cndmask_b32_e64 v133, 0, v133, s1
	s_delay_alu instid0(VALU_DEP_1) | instskip(NEXT) | instid1(VALU_DEP_1)
	v_add_nc_u32_e32 v132, v132, v133
	v_mov_b32_dpp v133, v132 row_shr:4 row_mask:0xf bank_mask:0xf
	s_delay_alu instid0(VALU_DEP_1) | instskip(NEXT) | instid1(VALU_DEP_1)
	v_cndmask_b32_e64 v133, 0, v133, s9
	v_add_nc_u32_e32 v132, v132, v133
	s_delay_alu instid0(VALU_DEP_1) | instskip(NEXT) | instid1(VALU_DEP_1)
	v_mov_b32_dpp v133, v132 row_shr:8 row_mask:0xf bank_mask:0xf
	v_cndmask_b32_e64 v133, 0, v133, s10
	s_delay_alu instid0(VALU_DEP_1) | instskip(SKIP_3) | instid1(VALU_DEP_1)
	v_add_nc_u32_e32 v132, v132, v133
	ds_swizzle_b32 v133, v132 offset:swizzle(BROADCAST,32,15)
	s_wait_dscnt 0x0
	v_cndmask_b32_e64 v133, v133, 0, s11
	v_add_nc_u32_e32 v132, v132, v133
	s_and_saveexec_b32 s15, s3
; %bb.270:                              ;   in Loop: Header=BB1877_233 Depth=2
	ds_store_b32 v38, v132 offset:1024
; %bb.271:                              ;   in Loop: Header=BB1877_233 Depth=2
	s_wait_alu 0xfffe
	s_or_b32 exec_lo, exec_lo, s15
	s_wait_loadcnt_dscnt 0x0
	s_barrier_signal -1
	s_barrier_wait -1
	global_inv scope:SCOPE_SE
	s_and_saveexec_b32 s15, s4
	s_cbranch_execz .LBB1877_273
; %bb.272:                              ;   in Loop: Header=BB1877_233 Depth=2
	ds_load_b32 v133, v46 offset:1024
	s_wait_dscnt 0x0
	v_mov_b32_dpp v134, v133 row_shr:1 row_mask:0xf bank_mask:0xf
	s_delay_alu instid0(VALU_DEP_1) | instskip(NEXT) | instid1(VALU_DEP_1)
	v_cndmask_b32_e64 v134, v134, 0, s12
	v_add_nc_u32_e32 v133, v134, v133
	s_delay_alu instid0(VALU_DEP_1) | instskip(NEXT) | instid1(VALU_DEP_1)
	v_mov_b32_dpp v134, v133 row_shr:2 row_mask:0xf bank_mask:0xf
	v_cndmask_b32_e64 v134, 0, v134, s13
	s_delay_alu instid0(VALU_DEP_1) | instskip(NEXT) | instid1(VALU_DEP_1)
	v_add_nc_u32_e32 v133, v133, v134
	v_mov_b32_dpp v134, v133 row_shr:4 row_mask:0xf bank_mask:0xf
	s_delay_alu instid0(VALU_DEP_1) | instskip(NEXT) | instid1(VALU_DEP_1)
	v_cndmask_b32_e64 v134, 0, v134, s14
	v_add_nc_u32_e32 v133, v133, v134
	ds_store_b32 v46, v133 offset:1024
.LBB1877_273:                           ;   in Loop: Header=BB1877_233 Depth=2
	s_wait_alu 0xfffe
	s_or_b32 exec_lo, exec_lo, s15
	v_mov_b32_e32 v133, 0
	s_wait_loadcnt_dscnt 0x0
	s_barrier_signal -1
	s_barrier_wait -1
	global_inv scope:SCOPE_SE
	s_and_saveexec_b32 s15, s5
; %bb.274:                              ;   in Loop: Header=BB1877_233 Depth=2
	ds_load_b32 v133, v38 offset:1020
; %bb.275:                              ;   in Loop: Header=BB1877_233 Depth=2
	s_wait_alu 0xfffe
	s_or_b32 exec_lo, exec_lo, s15
	s_wait_dscnt 0x0
	v_add_nc_u32_e32 v132, v133, v132
	ds_bpermute_b32 v132, v87, v132
	s_wait_dscnt 0x0
	v_cndmask_b32_e64 v132, v132, v133, s8
	s_delay_alu instid0(VALU_DEP_1) | instskip(NEXT) | instid1(VALU_DEP_1)
	v_cndmask_b32_e64 v132, v132, 0, s6
	v_add_nc_u32_e32 v26, v132, v26
	s_delay_alu instid0(VALU_DEP_1) | instskip(NEXT) | instid1(VALU_DEP_1)
	v_add_nc_u32_e32 v27, v26, v27
	v_add_nc_u32_e32 v24, v27, v24
	s_delay_alu instid0(VALU_DEP_1) | instskip(NEXT) | instid1(VALU_DEP_1)
	v_add_nc_u32_e32 v25, v24, v25
	;; [unrolled: 3-line block ×3, first 2 shown]
	v_add_nc_u32_e32 v20, v23, v20
	s_delay_alu instid0(VALU_DEP_1)
	v_add_nc_u32_e32 v21, v20, v21
	ds_store_2addr_b32 v81, v23, v20 offset1:1
	ds_store_2addr_b32 v78, v132, v26 offset1:1
	;; [unrolled: 1-line block ×4, first 2 shown]
	ds_store_b32 v43, v21 offset:1088
	s_wait_loadcnt_dscnt 0x0
	s_barrier_signal -1
	s_barrier_wait -1
	global_inv scope:SCOPE_SE
	ds_load_b32 v23, v104 offset:1056
	ds_load_b32 v24, v108 offset:1056
	;; [unrolled: 1-line block ×9, first 2 shown]
	v_mov_b32_e32 v22, 0x800
	s_and_saveexec_b32 s15, s7
; %bb.276:                              ;   in Loop: Header=BB1877_233 Depth=2
	ds_load_b32 v22, v43 offset:1092
; %bb.277:                              ;   in Loop: Header=BB1877_233 Depth=2
	s_wait_alu 0xfffe
	s_or_b32 exec_lo, exec_lo, s15
	s_wait_loadcnt_dscnt 0x0
	s_barrier_signal -1
	s_barrier_wait -1
	global_inv scope:SCOPE_SE
	s_and_saveexec_b32 s15, s2
	s_cbranch_execz .LBB1877_279
; %bb.278:                              ;   in Loop: Header=BB1877_233 Depth=2
	ds_load_b32 v108, v28
	s_wait_dscnt 0x0
	v_sub_nc_u32_e32 v104, v108, v104
	ds_store_b32 v28, v104
.LBB1877_279:                           ;   in Loop: Header=BB1877_233 Depth=2
	s_wait_alu 0xfffe
	s_or_b32 exec_lo, exec_lo, s15
	v_add_nc_u32_e32 v108, v23, v102
	v_add3_u32 v104, v106, v105, v24
	v_add3_u32 v102, v111, v109, v25
	;; [unrolled: 1-line block ×4, first 2 shown]
	v_lshlrev_b32_e32 v105, 1, v108
	v_lshlrev_b32_e32 v106, 1, v104
	v_add3_u32 v23, v123, v121, v112
	v_lshlrev_b32_e32 v109, 1, v102
	v_add3_u32 v27, v126, v125, v20
	v_add3_u32 v26, v130, v129, v21
	ds_store_b16 v105, v2 offset:1024
	ds_store_b16 v106, v103 offset:1024
	;; [unrolled: 1-line block ×3, first 2 shown]
	v_lshlrev_b32_e32 v2, 1, v25
	v_cmp_lt_u32_e32 vcc_lo, v1, v101
	v_lshlrev_b32_e32 v20, 1, v24
	v_lshlrev_b32_e32 v21, 1, v23
	v_lshlrev_b32_e32 v103, 1, v27
	v_lshlrev_b32_e32 v105, 1, v26
	ds_store_b16 v2, v110 offset:1024
	ds_store_b16 v20, v114 offset:1024
	;; [unrolled: 1-line block ×5, first 2 shown]
	s_wait_loadcnt_dscnt 0x0
	s_barrier_signal -1
	s_barrier_wait -1
	global_inv scope:SCOPE_SE
	s_and_saveexec_b32 s16, vcc_lo
	s_cbranch_execnz .LBB1877_316
; %bb.280:                              ;   in Loop: Header=BB1877_233 Depth=2
	s_wait_alu 0xfffe
	s_or_b32 exec_lo, exec_lo, s16
	v_cmp_lt_u32_e64 s15, v29, v101
	s_and_saveexec_b32 s17, s15
	s_cbranch_execnz .LBB1877_317
.LBB1877_281:                           ;   in Loop: Header=BB1877_233 Depth=2
	s_wait_alu 0xfffe
	s_or_b32 exec_lo, exec_lo, s17
	v_cmp_lt_u32_e64 s16, v30, v101
	s_and_saveexec_b32 s18, s16
	s_cbranch_execnz .LBB1877_318
.LBB1877_282:                           ;   in Loop: Header=BB1877_233 Depth=2
	s_wait_alu 0xfffe
	s_or_b32 exec_lo, exec_lo, s18
	v_cmp_lt_u32_e64 s17, v31, v101
	s_and_saveexec_b32 s19, s17
	s_cbranch_execnz .LBB1877_319
.LBB1877_283:                           ;   in Loop: Header=BB1877_233 Depth=2
	s_wait_alu 0xfffe
	s_or_b32 exec_lo, exec_lo, s19
	v_cmp_lt_u32_e64 s18, v34, v101
	s_and_saveexec_b32 s20, s18
	s_cbranch_execnz .LBB1877_320
.LBB1877_284:                           ;   in Loop: Header=BB1877_233 Depth=2
	s_wait_alu 0xfffe
	s_or_b32 exec_lo, exec_lo, s20
	v_cmp_lt_u32_e64 s19, v35, v101
	s_and_saveexec_b32 s21, s19
	s_cbranch_execnz .LBB1877_321
.LBB1877_285:                           ;   in Loop: Header=BB1877_233 Depth=2
	s_wait_alu 0xfffe
	s_or_b32 exec_lo, exec_lo, s21
	v_cmp_lt_u32_e64 s20, v36, v101
	s_and_saveexec_b32 s22, s20
	s_cbranch_execnz .LBB1877_322
.LBB1877_286:                           ;   in Loop: Header=BB1877_233 Depth=2
	s_wait_alu 0xfffe
	s_or_b32 exec_lo, exec_lo, s22
	v_cmp_lt_u32_e64 s21, v37, v101
	s_and_saveexec_b32 s48, s21
	s_cbranch_execz .LBB1877_288
.LBB1877_287:                           ;   in Loop: Header=BB1877_233 Depth=2
	ds_load_u16 v103, v47 offset:4608
	s_wait_dscnt 0x0
	v_cmp_ne_u16_e64 s22, 0x7fff, v103
	s_wait_alu 0xf1ff
	s_delay_alu instid0(VALU_DEP_1) | instskip(SKIP_1) | instid1(VALU_DEP_2)
	v_cndmask_b32_e64 v2, 0xffff8000, v103, s22
	v_cmp_lt_i16_e64 s22, -1, v103
	v_and_b32_e32 v2, 0xffff, v2
	s_wait_alu 0xf1ff
	s_delay_alu instid0(VALU_DEP_2) | instskip(NEXT) | instid1(VALU_DEP_2)
	v_cndmask_b32_e64 v105, 0xffff8000, -1, s22
	v_lshrrev_b32_e32 v2, s23, v2
	s_delay_alu instid0(VALU_DEP_1) | instskip(NEXT) | instid1(VALU_DEP_1)
	v_and_b32_e32 v2, s42, v2
	v_lshlrev_b32_e32 v2, 2, v2
	ds_load_b32 v2, v2
	s_wait_dscnt 0x0
	v_add_nc_u32_e32 v2, v2, v37
	s_delay_alu instid0(VALU_DEP_1) | instskip(SKIP_1) | instid1(VALU_DEP_2)
	v_lshlrev_b64_e32 v[20:21], 1, v[2:3]
	v_xor_b32_e32 v2, v105, v103
	v_add_co_u32 v20, s22, s40, v20
	s_wait_alu 0xf1ff
	s_delay_alu instid0(VALU_DEP_3)
	v_add_co_ci_u32_e64 v21, null, s41, v21, s22
	global_store_b16 v[20:21], v2, off
.LBB1877_288:                           ;   in Loop: Header=BB1877_233 Depth=2
	s_wait_alu 0xfffe
	s_or_b32 exec_lo, exec_lo, s48
	s_lshl_b64 s[48:49], s[30:31], 3
	s_wait_alu 0xfffe
	v_add_co_u32 v20, s22, v88, s48
	s_wait_alu 0xf1ff
	v_add_co_ci_u32_e64 v21, null, s49, v89, s22
	v_cmp_lt_u32_e64 s22, v66, v101
	s_and_saveexec_b32 s30, s22
	s_wait_alu 0xfffe
	s_xor_b32 s22, exec_lo, s30
	s_cbranch_execnz .LBB1877_323
; %bb.289:                              ;   in Loop: Header=BB1877_233 Depth=2
	s_wait_alu 0xfffe
	s_or_b32 exec_lo, exec_lo, s22
	s_delay_alu instid0(SALU_CYCLE_1)
	s_mov_b32 s30, exec_lo
	v_cmpx_lt_u32_e64 v70, v101
	s_cbranch_execnz .LBB1877_324
.LBB1877_290:                           ;   in Loop: Header=BB1877_233 Depth=2
	s_wait_alu 0xfffe
	s_or_b32 exec_lo, exec_lo, s30
	s_delay_alu instid0(SALU_CYCLE_1)
	s_mov_b32 s30, exec_lo
	v_cmpx_lt_u32_e64 v71, v101
	s_cbranch_execnz .LBB1877_325
.LBB1877_291:                           ;   in Loop: Header=BB1877_233 Depth=2
	s_wait_alu 0xfffe
	s_or_b32 exec_lo, exec_lo, s30
	s_delay_alu instid0(SALU_CYCLE_1)
	s_mov_b32 s30, exec_lo
	v_cmpx_lt_u32_e64 v72, v101
	s_cbranch_execnz .LBB1877_326
.LBB1877_292:                           ;   in Loop: Header=BB1877_233 Depth=2
	s_wait_alu 0xfffe
	s_or_b32 exec_lo, exec_lo, s30
	s_delay_alu instid0(SALU_CYCLE_1)
	s_mov_b32 s30, exec_lo
	v_cmpx_lt_u32_e64 v73, v101
	s_cbranch_execnz .LBB1877_327
.LBB1877_293:                           ;   in Loop: Header=BB1877_233 Depth=2
	s_wait_alu 0xfffe
	s_or_b32 exec_lo, exec_lo, s30
	s_delay_alu instid0(SALU_CYCLE_1)
	s_mov_b32 s30, exec_lo
	v_cmpx_lt_u32_e64 v74, v101
	s_cbranch_execnz .LBB1877_328
.LBB1877_294:                           ;   in Loop: Header=BB1877_233 Depth=2
	s_wait_alu 0xfffe
	s_or_b32 exec_lo, exec_lo, s30
	s_delay_alu instid0(SALU_CYCLE_1)
	s_mov_b32 s30, exec_lo
	v_cmpx_lt_u32_e64 v75, v101
	s_cbranch_execnz .LBB1877_329
.LBB1877_295:                           ;   in Loop: Header=BB1877_233 Depth=2
	s_wait_alu 0xfffe
	s_or_b32 exec_lo, exec_lo, s30
	s_delay_alu instid0(SALU_CYCLE_1)
	s_mov_b32 s30, exec_lo
	v_cmpx_lt_u32_e64 v76, v101
	s_cbranch_execnz .LBB1877_330
.LBB1877_296:                           ;   in Loop: Header=BB1877_233 Depth=2
	s_wait_alu 0xfffe
	s_or_b32 exec_lo, exec_lo, s30
	s_and_saveexec_b32 s30, vcc_lo
	s_cbranch_execnz .LBB1877_331
.LBB1877_297:                           ;   in Loop: Header=BB1877_233 Depth=2
	s_wait_alu 0xfffe
	s_or_b32 exec_lo, exec_lo, s30
	s_and_saveexec_b32 s30, s15
	s_cbranch_execnz .LBB1877_332
.LBB1877_298:                           ;   in Loop: Header=BB1877_233 Depth=2
	s_wait_alu 0xfffe
	s_or_b32 exec_lo, exec_lo, s30
	s_and_saveexec_b32 s30, s16
	s_cbranch_execnz .LBB1877_333
.LBB1877_299:                           ;   in Loop: Header=BB1877_233 Depth=2
	s_wait_alu 0xfffe
	s_or_b32 exec_lo, exec_lo, s30
	s_and_saveexec_b32 s30, s17
	s_cbranch_execnz .LBB1877_334
.LBB1877_300:                           ;   in Loop: Header=BB1877_233 Depth=2
	s_wait_alu 0xfffe
	s_or_b32 exec_lo, exec_lo, s30
	s_and_saveexec_b32 s30, s18
	s_cbranch_execnz .LBB1877_335
.LBB1877_301:                           ;   in Loop: Header=BB1877_233 Depth=2
	s_wait_alu 0xfffe
	s_or_b32 exec_lo, exec_lo, s30
	s_and_saveexec_b32 s30, s19
	s_cbranch_execnz .LBB1877_336
.LBB1877_302:                           ;   in Loop: Header=BB1877_233 Depth=2
	s_wait_alu 0xfffe
	s_or_b32 exec_lo, exec_lo, s30
	s_and_saveexec_b32 s30, s20
	s_cbranch_execnz .LBB1877_337
.LBB1877_303:                           ;   in Loop: Header=BB1877_233 Depth=2
	s_wait_alu 0xfffe
	s_or_b32 exec_lo, exec_lo, s30
	s_and_saveexec_b32 s30, s21
	s_cbranch_execz .LBB1877_305
.LBB1877_304:                           ;   in Loop: Header=BB1877_233 Depth=2
	ds_load_u16 v2, v47 offset:4608
	s_wait_dscnt 0x0
	v_cmp_ne_u16_e64 s22, 0x7fff, v2
	s_wait_alu 0xf1ff
	s_delay_alu instid0(VALU_DEP_1) | instskip(NEXT) | instid1(VALU_DEP_1)
	v_cndmask_b32_e64 v2, 0xffff8000, v2, s22
	v_and_b32_e32 v2, 0xffff, v2
	s_delay_alu instid0(VALU_DEP_1) | instskip(NEXT) | instid1(VALU_DEP_1)
	v_lshrrev_b32_e32 v2, s23, v2
	v_and_b32_e32 v93, s42, v2
.LBB1877_305:                           ;   in Loop: Header=BB1877_233 Depth=2
	s_wait_alu 0xfffe
	s_or_b32 exec_lo, exec_lo, s30
	v_lshlrev_b32_e32 v2, 3, v108
	v_lshlrev_b32_e32 v20, 3, v104
	v_lshlrev_b32_e32 v21, 3, v102
	s_wait_loadcnt 0x0
	s_wait_storecnt 0x0
	s_barrier_signal -1
	s_barrier_wait -1
	global_inv scope:SCOPE_SE
	ds_store_b64 v2, v[18:19] offset:1024
	ds_store_b64 v20, v[16:17] offset:1024
	;; [unrolled: 1-line block ×3, first 2 shown]
	v_lshlrev_b32_e32 v2, 3, v25
	v_lshlrev_b32_e32 v20, 3, v24
	;; [unrolled: 1-line block ×5, first 2 shown]
	ds_store_b64 v2, v[12:13] offset:1024
	ds_store_b64 v20, v[10:11] offset:1024
	;; [unrolled: 1-line block ×5, first 2 shown]
	s_wait_loadcnt_dscnt 0x0
	s_barrier_signal -1
	s_barrier_wait -1
	global_inv scope:SCOPE_SE
	s_and_saveexec_b32 s22, vcc_lo
	s_cbranch_execnz .LBB1877_338
; %bb.306:                              ;   in Loop: Header=BB1877_233 Depth=2
	s_wait_alu 0xfffe
	s_or_b32 exec_lo, exec_lo, s22
	s_and_saveexec_b32 s22, s15
	s_cbranch_execnz .LBB1877_339
.LBB1877_307:                           ;   in Loop: Header=BB1877_233 Depth=2
	s_wait_alu 0xfffe
	s_or_b32 exec_lo, exec_lo, s22
	s_and_saveexec_b32 s15, s16
	s_cbranch_execnz .LBB1877_340
.LBB1877_308:                           ;   in Loop: Header=BB1877_233 Depth=2
	s_wait_alu 0xfffe
	s_or_b32 exec_lo, exec_lo, s15
	s_and_saveexec_b32 s15, s17
	s_cbranch_execnz .LBB1877_341
.LBB1877_309:                           ;   in Loop: Header=BB1877_233 Depth=2
	s_wait_alu 0xfffe
	s_or_b32 exec_lo, exec_lo, s15
	s_and_saveexec_b32 s15, s18
	s_cbranch_execnz .LBB1877_342
.LBB1877_310:                           ;   in Loop: Header=BB1877_233 Depth=2
	s_wait_alu 0xfffe
	s_or_b32 exec_lo, exec_lo, s15
	s_and_saveexec_b32 s15, s19
	s_cbranch_execnz .LBB1877_343
.LBB1877_311:                           ;   in Loop: Header=BB1877_233 Depth=2
	s_wait_alu 0xfffe
	s_or_b32 exec_lo, exec_lo, s15
	s_and_saveexec_b32 s15, s20
	s_cbranch_execnz .LBB1877_344
.LBB1877_312:                           ;   in Loop: Header=BB1877_233 Depth=2
	s_wait_alu 0xfffe
	s_or_b32 exec_lo, exec_lo, s15
	s_and_saveexec_b32 s15, s21
	s_cbranch_execz .LBB1877_314
.LBB1877_313:                           ;   in Loop: Header=BB1877_233 Depth=2
	v_lshlrev_b32_e32 v2, 2, v93
	v_add_nc_u32_e32 v20, v47, v48
	ds_load_b32 v2, v2
	ds_load_b64 v[20:21], v20 offset:15360
	s_wait_dscnt 0x1
	v_add_nc_u32_e32 v2, v2, v37
	s_delay_alu instid0(VALU_DEP_1) | instskip(NEXT) | instid1(VALU_DEP_1)
	v_lshlrev_b64_e32 v[23:24], 3, v[2:3]
	v_add_co_u32 v23, vcc_lo, s26, v23
	s_wait_alu 0xfffd
	s_delay_alu instid0(VALU_DEP_2)
	v_add_co_ci_u32_e64 v24, null, s27, v24, vcc_lo
	s_wait_dscnt 0x0
	global_store_b64 v[23:24], v[20:21], off
.LBB1877_314:                           ;   in Loop: Header=BB1877_233 Depth=2
	s_wait_alu 0xfffe
	s_or_b32 exec_lo, exec_lo, s15
	s_wait_loadcnt 0x0
	s_wait_storecnt 0x0
	s_barrier_signal -1
	s_barrier_wait -1
	global_inv scope:SCOPE_SE
	s_and_saveexec_b32 s15, s2
	s_cbranch_execz .LBB1877_232
; %bb.315:                              ;   in Loop: Header=BB1877_233 Depth=2
	ds_load_b32 v2, v28
	s_wait_dscnt 0x0
	v_add_nc_u32_e32 v2, v2, v22
	ds_store_b32 v28, v2
	s_branch .LBB1877_232
.LBB1877_316:                           ;   in Loop: Header=BB1877_233 Depth=2
	ds_load_u16 v103, v47 offset:1024
	s_wait_dscnt 0x0
	v_cmp_ne_u16_e64 s15, 0x7fff, v103
	s_wait_alu 0xf1ff
	s_delay_alu instid0(VALU_DEP_1) | instskip(SKIP_1) | instid1(VALU_DEP_2)
	v_cndmask_b32_e64 v2, 0xffff8000, v103, s15
	v_cmp_lt_i16_e64 s15, -1, v103
	v_and_b32_e32 v2, 0xffff, v2
	s_wait_alu 0xf1ff
	s_delay_alu instid0(VALU_DEP_2) | instskip(NEXT) | instid1(VALU_DEP_2)
	v_cndmask_b32_e64 v105, 0xffff8000, -1, s15
	v_lshrrev_b32_e32 v2, s23, v2
	s_delay_alu instid0(VALU_DEP_1) | instskip(NEXT) | instid1(VALU_DEP_1)
	v_and_b32_e32 v2, s42, v2
	v_lshlrev_b32_e32 v2, 2, v2
	ds_load_b32 v2, v2
	s_wait_dscnt 0x0
	v_add_nc_u32_e32 v2, v2, v1
	s_delay_alu instid0(VALU_DEP_1) | instskip(SKIP_1) | instid1(VALU_DEP_2)
	v_lshlrev_b64_e32 v[20:21], 1, v[2:3]
	v_xor_b32_e32 v2, v105, v103
	v_add_co_u32 v20, s15, s40, v20
	s_wait_alu 0xf1ff
	s_delay_alu instid0(VALU_DEP_3)
	v_add_co_ci_u32_e64 v21, null, s41, v21, s15
	global_store_b16 v[20:21], v2, off
	s_wait_alu 0xfffe
	s_or_b32 exec_lo, exec_lo, s16
	v_cmp_lt_u32_e64 s15, v29, v101
	s_and_saveexec_b32 s17, s15
	s_cbranch_execz .LBB1877_281
.LBB1877_317:                           ;   in Loop: Header=BB1877_233 Depth=2
	ds_load_u16 v103, v47 offset:1536
	s_wait_dscnt 0x0
	v_cmp_ne_u16_e64 s16, 0x7fff, v103
	s_wait_alu 0xf1ff
	s_delay_alu instid0(VALU_DEP_1) | instskip(SKIP_1) | instid1(VALU_DEP_2)
	v_cndmask_b32_e64 v2, 0xffff8000, v103, s16
	v_cmp_lt_i16_e64 s16, -1, v103
	v_and_b32_e32 v2, 0xffff, v2
	s_wait_alu 0xf1ff
	s_delay_alu instid0(VALU_DEP_2) | instskip(NEXT) | instid1(VALU_DEP_2)
	v_cndmask_b32_e64 v105, 0xffff8000, -1, s16
	v_lshrrev_b32_e32 v2, s23, v2
	s_delay_alu instid0(VALU_DEP_1) | instskip(NEXT) | instid1(VALU_DEP_1)
	v_and_b32_e32 v2, s42, v2
	v_lshlrev_b32_e32 v2, 2, v2
	ds_load_b32 v2, v2
	s_wait_dscnt 0x0
	v_add_nc_u32_e32 v2, v2, v29
	s_delay_alu instid0(VALU_DEP_1) | instskip(SKIP_1) | instid1(VALU_DEP_2)
	v_lshlrev_b64_e32 v[20:21], 1, v[2:3]
	v_xor_b32_e32 v2, v105, v103
	v_add_co_u32 v20, s16, s40, v20
	s_wait_alu 0xf1ff
	s_delay_alu instid0(VALU_DEP_3)
	v_add_co_ci_u32_e64 v21, null, s41, v21, s16
	global_store_b16 v[20:21], v2, off
	s_wait_alu 0xfffe
	s_or_b32 exec_lo, exec_lo, s17
	v_cmp_lt_u32_e64 s16, v30, v101
	s_and_saveexec_b32 s18, s16
	s_cbranch_execz .LBB1877_282
.LBB1877_318:                           ;   in Loop: Header=BB1877_233 Depth=2
	ds_load_u16 v103, v47 offset:2048
	s_wait_dscnt 0x0
	v_cmp_ne_u16_e64 s17, 0x7fff, v103
	s_wait_alu 0xf1ff
	s_delay_alu instid0(VALU_DEP_1) | instskip(SKIP_1) | instid1(VALU_DEP_2)
	v_cndmask_b32_e64 v2, 0xffff8000, v103, s17
	v_cmp_lt_i16_e64 s17, -1, v103
	v_and_b32_e32 v2, 0xffff, v2
	s_wait_alu 0xf1ff
	s_delay_alu instid0(VALU_DEP_2) | instskip(NEXT) | instid1(VALU_DEP_2)
	v_cndmask_b32_e64 v105, 0xffff8000, -1, s17
	v_lshrrev_b32_e32 v2, s23, v2
	s_delay_alu instid0(VALU_DEP_1) | instskip(NEXT) | instid1(VALU_DEP_1)
	v_and_b32_e32 v2, s42, v2
	v_lshlrev_b32_e32 v2, 2, v2
	ds_load_b32 v2, v2
	s_wait_dscnt 0x0
	v_add_nc_u32_e32 v2, v2, v30
	s_delay_alu instid0(VALU_DEP_1) | instskip(SKIP_1) | instid1(VALU_DEP_2)
	v_lshlrev_b64_e32 v[20:21], 1, v[2:3]
	v_xor_b32_e32 v2, v105, v103
	v_add_co_u32 v20, s17, s40, v20
	s_wait_alu 0xf1ff
	s_delay_alu instid0(VALU_DEP_3)
	v_add_co_ci_u32_e64 v21, null, s41, v21, s17
	global_store_b16 v[20:21], v2, off
	s_wait_alu 0xfffe
	s_or_b32 exec_lo, exec_lo, s18
	v_cmp_lt_u32_e64 s17, v31, v101
	s_and_saveexec_b32 s19, s17
	s_cbranch_execz .LBB1877_283
.LBB1877_319:                           ;   in Loop: Header=BB1877_233 Depth=2
	ds_load_u16 v103, v47 offset:2560
	s_wait_dscnt 0x0
	v_cmp_ne_u16_e64 s18, 0x7fff, v103
	s_wait_alu 0xf1ff
	s_delay_alu instid0(VALU_DEP_1) | instskip(SKIP_1) | instid1(VALU_DEP_2)
	v_cndmask_b32_e64 v2, 0xffff8000, v103, s18
	v_cmp_lt_i16_e64 s18, -1, v103
	v_and_b32_e32 v2, 0xffff, v2
	s_wait_alu 0xf1ff
	s_delay_alu instid0(VALU_DEP_2) | instskip(NEXT) | instid1(VALU_DEP_2)
	v_cndmask_b32_e64 v105, 0xffff8000, -1, s18
	v_lshrrev_b32_e32 v2, s23, v2
	s_delay_alu instid0(VALU_DEP_1) | instskip(NEXT) | instid1(VALU_DEP_1)
	v_and_b32_e32 v2, s42, v2
	v_lshlrev_b32_e32 v2, 2, v2
	ds_load_b32 v2, v2
	s_wait_dscnt 0x0
	v_add_nc_u32_e32 v2, v2, v31
	s_delay_alu instid0(VALU_DEP_1) | instskip(SKIP_1) | instid1(VALU_DEP_2)
	v_lshlrev_b64_e32 v[20:21], 1, v[2:3]
	v_xor_b32_e32 v2, v105, v103
	v_add_co_u32 v20, s18, s40, v20
	s_wait_alu 0xf1ff
	s_delay_alu instid0(VALU_DEP_3)
	v_add_co_ci_u32_e64 v21, null, s41, v21, s18
	global_store_b16 v[20:21], v2, off
	s_wait_alu 0xfffe
	s_or_b32 exec_lo, exec_lo, s19
	v_cmp_lt_u32_e64 s18, v34, v101
	s_and_saveexec_b32 s20, s18
	s_cbranch_execz .LBB1877_284
.LBB1877_320:                           ;   in Loop: Header=BB1877_233 Depth=2
	ds_load_u16 v103, v47 offset:3072
	s_wait_dscnt 0x0
	v_cmp_ne_u16_e64 s19, 0x7fff, v103
	s_wait_alu 0xf1ff
	s_delay_alu instid0(VALU_DEP_1) | instskip(SKIP_1) | instid1(VALU_DEP_2)
	v_cndmask_b32_e64 v2, 0xffff8000, v103, s19
	v_cmp_lt_i16_e64 s19, -1, v103
	v_and_b32_e32 v2, 0xffff, v2
	s_wait_alu 0xf1ff
	s_delay_alu instid0(VALU_DEP_2) | instskip(NEXT) | instid1(VALU_DEP_2)
	v_cndmask_b32_e64 v105, 0xffff8000, -1, s19
	v_lshrrev_b32_e32 v2, s23, v2
	s_delay_alu instid0(VALU_DEP_1) | instskip(NEXT) | instid1(VALU_DEP_1)
	v_and_b32_e32 v2, s42, v2
	v_lshlrev_b32_e32 v2, 2, v2
	ds_load_b32 v2, v2
	s_wait_dscnt 0x0
	v_add_nc_u32_e32 v2, v2, v34
	s_delay_alu instid0(VALU_DEP_1) | instskip(SKIP_1) | instid1(VALU_DEP_2)
	v_lshlrev_b64_e32 v[20:21], 1, v[2:3]
	v_xor_b32_e32 v2, v105, v103
	v_add_co_u32 v20, s19, s40, v20
	s_wait_alu 0xf1ff
	s_delay_alu instid0(VALU_DEP_3)
	v_add_co_ci_u32_e64 v21, null, s41, v21, s19
	global_store_b16 v[20:21], v2, off
	s_wait_alu 0xfffe
	s_or_b32 exec_lo, exec_lo, s20
	v_cmp_lt_u32_e64 s19, v35, v101
	s_and_saveexec_b32 s21, s19
	s_cbranch_execz .LBB1877_285
.LBB1877_321:                           ;   in Loop: Header=BB1877_233 Depth=2
	ds_load_u16 v103, v47 offset:3584
	s_wait_dscnt 0x0
	v_cmp_ne_u16_e64 s20, 0x7fff, v103
	s_wait_alu 0xf1ff
	s_delay_alu instid0(VALU_DEP_1) | instskip(SKIP_1) | instid1(VALU_DEP_2)
	v_cndmask_b32_e64 v2, 0xffff8000, v103, s20
	v_cmp_lt_i16_e64 s20, -1, v103
	v_and_b32_e32 v2, 0xffff, v2
	s_wait_alu 0xf1ff
	s_delay_alu instid0(VALU_DEP_2) | instskip(NEXT) | instid1(VALU_DEP_2)
	v_cndmask_b32_e64 v105, 0xffff8000, -1, s20
	v_lshrrev_b32_e32 v2, s23, v2
	s_delay_alu instid0(VALU_DEP_1) | instskip(NEXT) | instid1(VALU_DEP_1)
	v_and_b32_e32 v2, s42, v2
	v_lshlrev_b32_e32 v2, 2, v2
	ds_load_b32 v2, v2
	s_wait_dscnt 0x0
	v_add_nc_u32_e32 v2, v2, v35
	s_delay_alu instid0(VALU_DEP_1) | instskip(SKIP_1) | instid1(VALU_DEP_2)
	v_lshlrev_b64_e32 v[20:21], 1, v[2:3]
	v_xor_b32_e32 v2, v105, v103
	v_add_co_u32 v20, s20, s40, v20
	s_wait_alu 0xf1ff
	s_delay_alu instid0(VALU_DEP_3)
	v_add_co_ci_u32_e64 v21, null, s41, v21, s20
	global_store_b16 v[20:21], v2, off
	s_wait_alu 0xfffe
	s_or_b32 exec_lo, exec_lo, s21
	v_cmp_lt_u32_e64 s20, v36, v101
	s_and_saveexec_b32 s22, s20
	s_cbranch_execz .LBB1877_286
.LBB1877_322:                           ;   in Loop: Header=BB1877_233 Depth=2
	ds_load_u16 v103, v47 offset:4096
	s_wait_dscnt 0x0
	v_cmp_ne_u16_e64 s21, 0x7fff, v103
	s_wait_alu 0xf1ff
	s_delay_alu instid0(VALU_DEP_1) | instskip(SKIP_1) | instid1(VALU_DEP_2)
	v_cndmask_b32_e64 v2, 0xffff8000, v103, s21
	v_cmp_lt_i16_e64 s21, -1, v103
	v_and_b32_e32 v2, 0xffff, v2
	s_wait_alu 0xf1ff
	s_delay_alu instid0(VALU_DEP_2) | instskip(NEXT) | instid1(VALU_DEP_2)
	v_cndmask_b32_e64 v105, 0xffff8000, -1, s21
	v_lshrrev_b32_e32 v2, s23, v2
	s_delay_alu instid0(VALU_DEP_1) | instskip(NEXT) | instid1(VALU_DEP_1)
	v_and_b32_e32 v2, s42, v2
	v_lshlrev_b32_e32 v2, 2, v2
	ds_load_b32 v2, v2
	s_wait_dscnt 0x0
	v_add_nc_u32_e32 v2, v2, v36
	s_delay_alu instid0(VALU_DEP_1) | instskip(SKIP_1) | instid1(VALU_DEP_2)
	v_lshlrev_b64_e32 v[20:21], 1, v[2:3]
	v_xor_b32_e32 v2, v105, v103
	v_add_co_u32 v20, s21, s40, v20
	s_wait_alu 0xf1ff
	s_delay_alu instid0(VALU_DEP_3)
	v_add_co_ci_u32_e64 v21, null, s41, v21, s21
	global_store_b16 v[20:21], v2, off
	s_wait_alu 0xfffe
	s_or_b32 exec_lo, exec_lo, s22
	v_cmp_lt_u32_e64 s21, v37, v101
	s_and_saveexec_b32 s48, s21
	s_cbranch_execnz .LBB1877_287
	s_branch .LBB1877_288
.LBB1877_323:                           ;   in Loop: Header=BB1877_233 Depth=2
	global_load_b64 v[18:19], v[20:21], off
	s_wait_alu 0xfffe
	s_or_b32 exec_lo, exec_lo, s22
	s_delay_alu instid0(SALU_CYCLE_1)
	s_mov_b32 s30, exec_lo
	v_cmpx_lt_u32_e64 v70, v101
	s_cbranch_execz .LBB1877_290
.LBB1877_324:                           ;   in Loop: Header=BB1877_233 Depth=2
	global_load_b64 v[16:17], v[20:21], off offset:256
	s_wait_alu 0xfffe
	s_or_b32 exec_lo, exec_lo, s30
	s_delay_alu instid0(SALU_CYCLE_1)
	s_mov_b32 s30, exec_lo
	v_cmpx_lt_u32_e64 v71, v101
	s_cbranch_execz .LBB1877_291
.LBB1877_325:                           ;   in Loop: Header=BB1877_233 Depth=2
	global_load_b64 v[14:15], v[20:21], off offset:512
	s_wait_alu 0xfffe
	s_or_b32 exec_lo, exec_lo, s30
	s_delay_alu instid0(SALU_CYCLE_1)
	s_mov_b32 s30, exec_lo
	v_cmpx_lt_u32_e64 v72, v101
	s_cbranch_execz .LBB1877_292
.LBB1877_326:                           ;   in Loop: Header=BB1877_233 Depth=2
	global_load_b64 v[12:13], v[20:21], off offset:768
	s_wait_alu 0xfffe
	s_or_b32 exec_lo, exec_lo, s30
	s_delay_alu instid0(SALU_CYCLE_1)
	s_mov_b32 s30, exec_lo
	v_cmpx_lt_u32_e64 v73, v101
	s_cbranch_execz .LBB1877_293
.LBB1877_327:                           ;   in Loop: Header=BB1877_233 Depth=2
	global_load_b64 v[10:11], v[20:21], off offset:1024
	s_wait_alu 0xfffe
	s_or_b32 exec_lo, exec_lo, s30
	s_delay_alu instid0(SALU_CYCLE_1)
	s_mov_b32 s30, exec_lo
	v_cmpx_lt_u32_e64 v74, v101
	s_cbranch_execz .LBB1877_294
.LBB1877_328:                           ;   in Loop: Header=BB1877_233 Depth=2
	global_load_b64 v[8:9], v[20:21], off offset:1280
	s_wait_alu 0xfffe
	s_or_b32 exec_lo, exec_lo, s30
	s_delay_alu instid0(SALU_CYCLE_1)
	s_mov_b32 s30, exec_lo
	v_cmpx_lt_u32_e64 v75, v101
	s_cbranch_execz .LBB1877_295
.LBB1877_329:                           ;   in Loop: Header=BB1877_233 Depth=2
	global_load_b64 v[6:7], v[20:21], off offset:1536
	s_wait_alu 0xfffe
	s_or_b32 exec_lo, exec_lo, s30
	s_delay_alu instid0(SALU_CYCLE_1)
	s_mov_b32 s30, exec_lo
	v_cmpx_lt_u32_e64 v76, v101
	s_cbranch_execz .LBB1877_296
.LBB1877_330:                           ;   in Loop: Header=BB1877_233 Depth=2
	global_load_b64 v[4:5], v[20:21], off offset:1792
	s_wait_alu 0xfffe
	s_or_b32 exec_lo, exec_lo, s30
	s_and_saveexec_b32 s30, vcc_lo
	s_cbranch_execz .LBB1877_297
.LBB1877_331:                           ;   in Loop: Header=BB1877_233 Depth=2
	ds_load_u16 v2, v47 offset:1024
	s_wait_dscnt 0x0
	v_cmp_ne_u16_e64 s22, 0x7fff, v2
	s_wait_alu 0xf1ff
	s_delay_alu instid0(VALU_DEP_1) | instskip(NEXT) | instid1(VALU_DEP_1)
	v_cndmask_b32_e64 v2, 0xffff8000, v2, s22
	v_and_b32_e32 v2, 0xffff, v2
	s_delay_alu instid0(VALU_DEP_1) | instskip(NEXT) | instid1(VALU_DEP_1)
	v_lshrrev_b32_e32 v2, s23, v2
	v_and_b32_e32 v100, s42, v2
	s_wait_alu 0xfffe
	s_or_b32 exec_lo, exec_lo, s30
	s_and_saveexec_b32 s30, s15
	s_cbranch_execz .LBB1877_298
.LBB1877_332:                           ;   in Loop: Header=BB1877_233 Depth=2
	ds_load_u16 v2, v47 offset:1536
	s_wait_dscnt 0x0
	v_cmp_ne_u16_e64 s22, 0x7fff, v2
	s_wait_alu 0xf1ff
	s_delay_alu instid0(VALU_DEP_1) | instskip(NEXT) | instid1(VALU_DEP_1)
	v_cndmask_b32_e64 v2, 0xffff8000, v2, s22
	v_and_b32_e32 v2, 0xffff, v2
	s_delay_alu instid0(VALU_DEP_1) | instskip(NEXT) | instid1(VALU_DEP_1)
	v_lshrrev_b32_e32 v2, s23, v2
	v_and_b32_e32 v99, s42, v2
	s_wait_alu 0xfffe
	s_or_b32 exec_lo, exec_lo, s30
	s_and_saveexec_b32 s30, s16
	s_cbranch_execz .LBB1877_299
.LBB1877_333:                           ;   in Loop: Header=BB1877_233 Depth=2
	ds_load_u16 v2, v47 offset:2048
	s_wait_dscnt 0x0
	v_cmp_ne_u16_e64 s22, 0x7fff, v2
	s_wait_alu 0xf1ff
	s_delay_alu instid0(VALU_DEP_1) | instskip(NEXT) | instid1(VALU_DEP_1)
	v_cndmask_b32_e64 v2, 0xffff8000, v2, s22
	v_and_b32_e32 v2, 0xffff, v2
	s_delay_alu instid0(VALU_DEP_1) | instskip(NEXT) | instid1(VALU_DEP_1)
	v_lshrrev_b32_e32 v2, s23, v2
	v_and_b32_e32 v98, s42, v2
	s_wait_alu 0xfffe
	s_or_b32 exec_lo, exec_lo, s30
	s_and_saveexec_b32 s30, s17
	s_cbranch_execz .LBB1877_300
.LBB1877_334:                           ;   in Loop: Header=BB1877_233 Depth=2
	ds_load_u16 v2, v47 offset:2560
	s_wait_dscnt 0x0
	v_cmp_ne_u16_e64 s22, 0x7fff, v2
	s_wait_alu 0xf1ff
	s_delay_alu instid0(VALU_DEP_1) | instskip(NEXT) | instid1(VALU_DEP_1)
	v_cndmask_b32_e64 v2, 0xffff8000, v2, s22
	v_and_b32_e32 v2, 0xffff, v2
	s_delay_alu instid0(VALU_DEP_1) | instskip(NEXT) | instid1(VALU_DEP_1)
	v_lshrrev_b32_e32 v2, s23, v2
	v_and_b32_e32 v97, s42, v2
	s_wait_alu 0xfffe
	s_or_b32 exec_lo, exec_lo, s30
	s_and_saveexec_b32 s30, s18
	s_cbranch_execz .LBB1877_301
.LBB1877_335:                           ;   in Loop: Header=BB1877_233 Depth=2
	ds_load_u16 v2, v47 offset:3072
	s_wait_dscnt 0x0
	v_cmp_ne_u16_e64 s22, 0x7fff, v2
	s_wait_alu 0xf1ff
	s_delay_alu instid0(VALU_DEP_1) | instskip(NEXT) | instid1(VALU_DEP_1)
	v_cndmask_b32_e64 v2, 0xffff8000, v2, s22
	v_and_b32_e32 v2, 0xffff, v2
	s_delay_alu instid0(VALU_DEP_1) | instskip(NEXT) | instid1(VALU_DEP_1)
	v_lshrrev_b32_e32 v2, s23, v2
	v_and_b32_e32 v96, s42, v2
	s_wait_alu 0xfffe
	s_or_b32 exec_lo, exec_lo, s30
	s_and_saveexec_b32 s30, s19
	s_cbranch_execz .LBB1877_302
.LBB1877_336:                           ;   in Loop: Header=BB1877_233 Depth=2
	ds_load_u16 v2, v47 offset:3584
	s_wait_dscnt 0x0
	v_cmp_ne_u16_e64 s22, 0x7fff, v2
	s_wait_alu 0xf1ff
	s_delay_alu instid0(VALU_DEP_1) | instskip(NEXT) | instid1(VALU_DEP_1)
	v_cndmask_b32_e64 v2, 0xffff8000, v2, s22
	v_and_b32_e32 v2, 0xffff, v2
	s_delay_alu instid0(VALU_DEP_1) | instskip(NEXT) | instid1(VALU_DEP_1)
	v_lshrrev_b32_e32 v2, s23, v2
	v_and_b32_e32 v95, s42, v2
	s_wait_alu 0xfffe
	s_or_b32 exec_lo, exec_lo, s30
	s_and_saveexec_b32 s30, s20
	s_cbranch_execz .LBB1877_303
.LBB1877_337:                           ;   in Loop: Header=BB1877_233 Depth=2
	ds_load_u16 v2, v47 offset:4096
	s_wait_dscnt 0x0
	v_cmp_ne_u16_e64 s22, 0x7fff, v2
	s_wait_alu 0xf1ff
	s_delay_alu instid0(VALU_DEP_1) | instskip(NEXT) | instid1(VALU_DEP_1)
	v_cndmask_b32_e64 v2, 0xffff8000, v2, s22
	v_and_b32_e32 v2, 0xffff, v2
	s_delay_alu instid0(VALU_DEP_1) | instskip(NEXT) | instid1(VALU_DEP_1)
	v_lshrrev_b32_e32 v2, s23, v2
	v_and_b32_e32 v94, s42, v2
	s_wait_alu 0xfffe
	s_or_b32 exec_lo, exec_lo, s30
	s_and_saveexec_b32 s30, s21
	s_cbranch_execnz .LBB1877_304
	s_branch .LBB1877_305
.LBB1877_338:                           ;   in Loop: Header=BB1877_233 Depth=2
	v_lshlrev_b32_e32 v2, 2, v100
	v_add_nc_u32_e32 v20, v47, v48
	ds_load_b32 v2, v2
	ds_load_b64 v[20:21], v20 offset:1024
	s_wait_dscnt 0x1
	v_add_nc_u32_e32 v2, v2, v1
	s_delay_alu instid0(VALU_DEP_1) | instskip(NEXT) | instid1(VALU_DEP_1)
	v_lshlrev_b64_e32 v[23:24], 3, v[2:3]
	v_add_co_u32 v23, vcc_lo, s26, v23
	s_wait_alu 0xfffd
	s_delay_alu instid0(VALU_DEP_2)
	v_add_co_ci_u32_e64 v24, null, s27, v24, vcc_lo
	s_wait_dscnt 0x0
	global_store_b64 v[23:24], v[20:21], off
	s_wait_alu 0xfffe
	s_or_b32 exec_lo, exec_lo, s22
	s_and_saveexec_b32 s22, s15
	s_cbranch_execz .LBB1877_307
.LBB1877_339:                           ;   in Loop: Header=BB1877_233 Depth=2
	v_lshlrev_b32_e32 v2, 2, v99
	v_add_nc_u32_e32 v20, v47, v48
	ds_load_b32 v2, v2
	ds_load_b64 v[20:21], v20 offset:3072
	s_wait_dscnt 0x1
	v_add_nc_u32_e32 v2, v2, v29
	s_delay_alu instid0(VALU_DEP_1) | instskip(NEXT) | instid1(VALU_DEP_1)
	v_lshlrev_b64_e32 v[23:24], 3, v[2:3]
	v_add_co_u32 v23, vcc_lo, s26, v23
	s_wait_alu 0xfffd
	s_delay_alu instid0(VALU_DEP_2)
	v_add_co_ci_u32_e64 v24, null, s27, v24, vcc_lo
	s_wait_dscnt 0x0
	global_store_b64 v[23:24], v[20:21], off
	s_wait_alu 0xfffe
	s_or_b32 exec_lo, exec_lo, s22
	s_and_saveexec_b32 s15, s16
	s_cbranch_execz .LBB1877_308
.LBB1877_340:                           ;   in Loop: Header=BB1877_233 Depth=2
	v_lshlrev_b32_e32 v2, 2, v98
	v_add_nc_u32_e32 v20, v47, v48
	ds_load_b32 v2, v2
	ds_load_b64 v[20:21], v20 offset:5120
	s_wait_dscnt 0x1
	v_add_nc_u32_e32 v2, v2, v30
	s_delay_alu instid0(VALU_DEP_1) | instskip(NEXT) | instid1(VALU_DEP_1)
	v_lshlrev_b64_e32 v[23:24], 3, v[2:3]
	v_add_co_u32 v23, vcc_lo, s26, v23
	s_wait_alu 0xfffd
	s_delay_alu instid0(VALU_DEP_2)
	v_add_co_ci_u32_e64 v24, null, s27, v24, vcc_lo
	s_wait_dscnt 0x0
	global_store_b64 v[23:24], v[20:21], off
	s_wait_alu 0xfffe
	s_or_b32 exec_lo, exec_lo, s15
	s_and_saveexec_b32 s15, s17
	s_cbranch_execz .LBB1877_309
.LBB1877_341:                           ;   in Loop: Header=BB1877_233 Depth=2
	v_lshlrev_b32_e32 v2, 2, v97
	v_add_nc_u32_e32 v20, v47, v48
	ds_load_b32 v2, v2
	ds_load_b64 v[20:21], v20 offset:7168
	s_wait_dscnt 0x1
	v_add_nc_u32_e32 v2, v2, v31
	s_delay_alu instid0(VALU_DEP_1) | instskip(NEXT) | instid1(VALU_DEP_1)
	v_lshlrev_b64_e32 v[23:24], 3, v[2:3]
	v_add_co_u32 v23, vcc_lo, s26, v23
	s_wait_alu 0xfffd
	s_delay_alu instid0(VALU_DEP_2)
	v_add_co_ci_u32_e64 v24, null, s27, v24, vcc_lo
	s_wait_dscnt 0x0
	global_store_b64 v[23:24], v[20:21], off
	s_wait_alu 0xfffe
	s_or_b32 exec_lo, exec_lo, s15
	s_and_saveexec_b32 s15, s18
	s_cbranch_execz .LBB1877_310
.LBB1877_342:                           ;   in Loop: Header=BB1877_233 Depth=2
	v_lshlrev_b32_e32 v2, 2, v96
	v_add_nc_u32_e32 v20, v47, v48
	ds_load_b32 v2, v2
	ds_load_b64 v[20:21], v20 offset:9216
	s_wait_dscnt 0x1
	v_add_nc_u32_e32 v2, v2, v34
	s_delay_alu instid0(VALU_DEP_1) | instskip(NEXT) | instid1(VALU_DEP_1)
	v_lshlrev_b64_e32 v[23:24], 3, v[2:3]
	v_add_co_u32 v23, vcc_lo, s26, v23
	s_wait_alu 0xfffd
	s_delay_alu instid0(VALU_DEP_2)
	v_add_co_ci_u32_e64 v24, null, s27, v24, vcc_lo
	s_wait_dscnt 0x0
	global_store_b64 v[23:24], v[20:21], off
	s_wait_alu 0xfffe
	s_or_b32 exec_lo, exec_lo, s15
	s_and_saveexec_b32 s15, s19
	s_cbranch_execz .LBB1877_311
.LBB1877_343:                           ;   in Loop: Header=BB1877_233 Depth=2
	v_lshlrev_b32_e32 v2, 2, v95
	v_add_nc_u32_e32 v20, v47, v48
	ds_load_b32 v2, v2
	ds_load_b64 v[20:21], v20 offset:11264
	s_wait_dscnt 0x1
	v_add_nc_u32_e32 v2, v2, v35
	s_delay_alu instid0(VALU_DEP_1) | instskip(NEXT) | instid1(VALU_DEP_1)
	v_lshlrev_b64_e32 v[23:24], 3, v[2:3]
	v_add_co_u32 v23, vcc_lo, s26, v23
	s_wait_alu 0xfffd
	s_delay_alu instid0(VALU_DEP_2)
	v_add_co_ci_u32_e64 v24, null, s27, v24, vcc_lo
	s_wait_dscnt 0x0
	global_store_b64 v[23:24], v[20:21], off
	s_wait_alu 0xfffe
	s_or_b32 exec_lo, exec_lo, s15
	s_and_saveexec_b32 s15, s20
	s_cbranch_execz .LBB1877_312
.LBB1877_344:                           ;   in Loop: Header=BB1877_233 Depth=2
	v_lshlrev_b32_e32 v2, 2, v94
	v_add_nc_u32_e32 v20, v47, v48
	ds_load_b32 v2, v2
	ds_load_b64 v[20:21], v20 offset:13312
	s_wait_dscnt 0x1
	v_add_nc_u32_e32 v2, v2, v36
	s_delay_alu instid0(VALU_DEP_1) | instskip(NEXT) | instid1(VALU_DEP_1)
	v_lshlrev_b64_e32 v[23:24], 3, v[2:3]
	v_add_co_u32 v23, vcc_lo, s26, v23
	s_wait_alu 0xfffd
	s_delay_alu instid0(VALU_DEP_2)
	v_add_co_ci_u32_e64 v24, null, s27, v24, vcc_lo
	s_wait_dscnt 0x0
	global_store_b64 v[23:24], v[20:21], off
	s_wait_alu 0xfffe
	s_or_b32 exec_lo, exec_lo, s15
	s_and_saveexec_b32 s15, s21
	s_cbranch_execnz .LBB1877_313
	s_branch .LBB1877_314
.LBB1877_345:                           ;   in Loop: Header=BB1877_17 Depth=1
	s_wait_loadcnt_dscnt 0x0
	s_barrier_signal -1
	s_barrier_wait -1
.LBB1877_346:                           ;   in Loop: Header=BB1877_17 Depth=1
	s_mov_b32 s0, 0
.LBB1877_347:                           ;   in Loop: Header=BB1877_17 Depth=1
	s_wait_alu 0xfffe
	s_and_not1_b32 vcc_lo, exec_lo, s0
	s_wait_alu 0xfffe
	s_cbranch_vccnz .LBB1877_16
; %bb.348:                              ;   in Loop: Header=BB1877_17 Depth=1
	s_and_b32 vcc_lo, exec_lo, s35
	s_mov_b32 s0, -1
	s_wait_alu 0xfffe
	s_cbranch_vccz .LBB1877_512
; %bb.349:                              ;   in Loop: Header=BB1877_17 Depth=1
	s_mov_b32 s9, s47
	s_mov_b32 s30, s33
	s_barrier_signal -1
	s_barrier_wait -1
	global_inv scope:SCOPE_SE
                                        ; implicit-def: $vgpr2
                                        ; implicit-def: $vgpr4
                                        ; implicit-def: $vgpr5
                                        ; implicit-def: $vgpr6
                                        ; implicit-def: $vgpr7
                                        ; implicit-def: $vgpr8
                                        ; implicit-def: $vgpr9
                                        ; implicit-def: $vgpr10
	s_branch .LBB1877_351
.LBB1877_350:                           ;   in Loop: Header=BB1877_351 Depth=2
	s_wait_alu 0xfffe
	s_or_b32 exec_lo, exec_lo, s0
	s_addk_co_i32 s9, 0xf800
	s_cmp_ge_u32 s10, s34
	s_mov_b32 s30, s10
	s_cbranch_scc1 .LBB1877_387
.LBB1877_351:                           ;   Parent Loop BB1877_17 Depth=1
                                        ; =>  This Inner Loop Header: Depth=2
	s_wait_alu 0xfffe
	s_add_co_i32 s10, s30, 0x800
	s_mov_b32 s0, -1
	s_wait_alu 0xfffe
	s_cmp_gt_u32 s10, s34
                                        ; implicit-def: $vgpr11
                                        ; implicit-def: $vgpr12
                                        ; implicit-def: $vgpr13
                                        ; implicit-def: $vgpr14
                                        ; implicit-def: $vgpr15
                                        ; implicit-def: $vgpr16
                                        ; implicit-def: $vgpr17
                                        ; implicit-def: $vgpr18
	s_cbranch_scc1 .LBB1877_353
; %bb.352:                              ;   in Loop: Header=BB1877_351 Depth=2
	s_lshl_b64 s[0:1], s[30:31], 1
	s_wait_alu 0xfffe
	v_add_co_u32 v18, vcc_lo, v55, s0
	s_wait_alu 0xfffd
	v_add_co_ci_u32_e64 v19, null, s1, v56, vcc_lo
	s_mov_b32 s0, 0
	s_clause 0x7
	global_load_u16 v11, v[18:19], off
	global_load_u16 v12, v[18:19], off offset:512
	global_load_u16 v13, v[18:19], off offset:1024
	global_load_u16 v14, v[18:19], off offset:1536
	global_load_u16 v15, v[18:19], off offset:2048
	global_load_u16 v16, v[18:19], off offset:2560
	global_load_u16 v17, v[18:19], off offset:3072
	global_load_u16 v18, v[18:19], off offset:3584
.LBB1877_353:                           ;   in Loop: Header=BB1877_351 Depth=2
	s_wait_alu 0xfffe
	s_and_not1_b32 vcc_lo, exec_lo, s0
	s_movk_i32 s0, 0x800
	s_wait_alu 0xfffe
	s_cbranch_vccnz .LBB1877_364
; %bb.354:                              ;   in Loop: Header=BB1877_351 Depth=2
	s_lshl_b64 s[0:1], s[30:31], 1
	s_mov_b32 s11, exec_lo
	s_wait_alu 0xfffe
	s_add_nc_u64 s[0:1], s[36:37], s[0:1]
	v_cmpx_gt_u32_e64 s9, v1
	s_cbranch_execnz .LBB1877_380
; %bb.355:                              ;   in Loop: Header=BB1877_351 Depth=2
	s_or_b32 exec_lo, exec_lo, s11
	s_delay_alu instid0(SALU_CYCLE_1)
	s_mov_b32 s11, exec_lo
	v_cmpx_gt_u32_e64 s9, v29
	s_cbranch_execnz .LBB1877_381
.LBB1877_356:                           ;   in Loop: Header=BB1877_351 Depth=2
	s_wait_alu 0xfffe
	s_or_b32 exec_lo, exec_lo, s11
	s_delay_alu instid0(SALU_CYCLE_1)
	s_mov_b32 s11, exec_lo
	v_cmpx_gt_u32_e64 s9, v30
	s_cbranch_execnz .LBB1877_382
.LBB1877_357:                           ;   in Loop: Header=BB1877_351 Depth=2
	s_wait_alu 0xfffe
	s_or_b32 exec_lo, exec_lo, s11
	s_delay_alu instid0(SALU_CYCLE_1)
	s_mov_b32 s11, exec_lo
	v_cmpx_gt_u32_e64 s9, v31
	s_cbranch_execnz .LBB1877_383
.LBB1877_358:                           ;   in Loop: Header=BB1877_351 Depth=2
	s_wait_alu 0xfffe
	s_or_b32 exec_lo, exec_lo, s11
	s_delay_alu instid0(SALU_CYCLE_1)
	s_mov_b32 s11, exec_lo
	v_cmpx_gt_u32_e64 s9, v34
	s_cbranch_execnz .LBB1877_384
.LBB1877_359:                           ;   in Loop: Header=BB1877_351 Depth=2
	s_wait_alu 0xfffe
	s_or_b32 exec_lo, exec_lo, s11
	s_delay_alu instid0(SALU_CYCLE_1)
	s_mov_b32 s11, exec_lo
	v_cmpx_gt_u32_e64 s9, v35
	s_cbranch_execnz .LBB1877_385
.LBB1877_360:                           ;   in Loop: Header=BB1877_351 Depth=2
	s_wait_alu 0xfffe
	s_or_b32 exec_lo, exec_lo, s11
	s_delay_alu instid0(SALU_CYCLE_1)
	s_mov_b32 s11, exec_lo
	v_cmpx_gt_u32_e64 s9, v36
	s_cbranch_execnz .LBB1877_386
.LBB1877_361:                           ;   in Loop: Header=BB1877_351 Depth=2
	s_wait_alu 0xfffe
	s_or_b32 exec_lo, exec_lo, s11
	s_delay_alu instid0(SALU_CYCLE_1)
	s_mov_b32 s11, exec_lo
	v_cmpx_gt_u32_e64 s9, v37
	s_cbranch_execz .LBB1877_363
.LBB1877_362:                           ;   in Loop: Header=BB1877_351 Depth=2
	global_load_u16 v2, v82, s[0:1] offset:3584
.LBB1877_363:                           ;   in Loop: Header=BB1877_351 Depth=2
	s_wait_alu 0xfffe
	s_or_b32 exec_lo, exec_lo, s11
	s_wait_loadcnt 0x0
	v_dual_mov_b32 v11, v10 :: v_dual_mov_b32 v12, v9
	v_dual_mov_b32 v13, v8 :: v_dual_mov_b32 v14, v7
	;; [unrolled: 1-line block ×4, first 2 shown]
	s_mov_b32 s0, s9
.LBB1877_364:                           ;   in Loop: Header=BB1877_351 Depth=2
	s_wait_loadcnt 0x0
	s_delay_alu instid0(VALU_DEP_1) | instskip(NEXT) | instid1(VALU_DEP_2)
	v_dual_mov_b32 v2, v18 :: v_dual_mov_b32 v5, v16
	v_dual_mov_b32 v4, v17 :: v_dual_mov_b32 v7, v14
	v_dual_mov_b32 v6, v15 :: v_dual_mov_b32 v9, v12
	v_mov_b32_e32 v8, v13
	v_mov_b32_e32 v10, v11
	s_mov_b32 s1, exec_lo
	s_wait_alu 0xfffe
	v_cmpx_gt_u32_e64 s0, v1
	s_cbranch_execnz .LBB1877_372
; %bb.365:                              ;   in Loop: Header=BB1877_351 Depth=2
	s_or_b32 exec_lo, exec_lo, s1
	s_delay_alu instid0(SALU_CYCLE_1)
	s_mov_b32 s1, exec_lo
	v_cmpx_gt_u32_e64 s0, v29
	s_cbranch_execnz .LBB1877_373
.LBB1877_366:                           ;   in Loop: Header=BB1877_351 Depth=2
	s_wait_alu 0xfffe
	s_or_b32 exec_lo, exec_lo, s1
	s_delay_alu instid0(SALU_CYCLE_1)
	s_mov_b32 s1, exec_lo
	v_cmpx_gt_u32_e64 s0, v30
	s_cbranch_execnz .LBB1877_374
.LBB1877_367:                           ;   in Loop: Header=BB1877_351 Depth=2
	s_wait_alu 0xfffe
	s_or_b32 exec_lo, exec_lo, s1
	s_delay_alu instid0(SALU_CYCLE_1)
	s_mov_b32 s1, exec_lo
	v_cmpx_gt_u32_e64 s0, v31
	s_cbranch_execnz .LBB1877_375
.LBB1877_368:                           ;   in Loop: Header=BB1877_351 Depth=2
	s_wait_alu 0xfffe
	s_or_b32 exec_lo, exec_lo, s1
	s_delay_alu instid0(SALU_CYCLE_1)
	s_mov_b32 s1, exec_lo
	v_cmpx_gt_u32_e64 s0, v34
	s_cbranch_execnz .LBB1877_376
.LBB1877_369:                           ;   in Loop: Header=BB1877_351 Depth=2
	s_wait_alu 0xfffe
	s_or_b32 exec_lo, exec_lo, s1
	s_delay_alu instid0(SALU_CYCLE_1)
	s_mov_b32 s1, exec_lo
	v_cmpx_gt_u32_e64 s0, v35
	s_cbranch_execnz .LBB1877_377
.LBB1877_370:                           ;   in Loop: Header=BB1877_351 Depth=2
	s_wait_alu 0xfffe
	s_or_b32 exec_lo, exec_lo, s1
	s_delay_alu instid0(SALU_CYCLE_1)
	s_mov_b32 s1, exec_lo
	v_cmpx_gt_u32_e64 s0, v36
	s_cbranch_execnz .LBB1877_378
.LBB1877_371:                           ;   in Loop: Header=BB1877_351 Depth=2
	s_wait_alu 0xfffe
	s_or_b32 exec_lo, exec_lo, s1
	v_cmp_gt_u32_e32 vcc_lo, s0, v37
	s_and_saveexec_b32 s0, vcc_lo
	s_cbranch_execz .LBB1877_350
	s_branch .LBB1877_379
.LBB1877_372:                           ;   in Loop: Header=BB1877_351 Depth=2
	v_cmp_lt_i16_e32 vcc_lo, -1, v10
	s_wait_alu 0xfffd
	v_cndmask_b32_e64 v11, -1, 0xffff8000, vcc_lo
	s_delay_alu instid0(VALU_DEP_1) | instskip(NEXT) | instid1(VALU_DEP_1)
	v_xor_b32_e32 v11, v11, v10
	v_cmp_ne_u16_e32 vcc_lo, 0x7fff, v11
	s_wait_alu 0xfffd
	v_cndmask_b32_e32 v11, 0xffff8000, v11, vcc_lo
	s_delay_alu instid0(VALU_DEP_1) | instskip(NEXT) | instid1(VALU_DEP_1)
	v_and_b32_e32 v11, 0xffff, v11
	v_lshrrev_b32_e32 v11, s45, v11
	s_delay_alu instid0(VALU_DEP_1) | instskip(NEXT) | instid1(VALU_DEP_1)
	v_and_b32_e32 v11, s42, v11
	v_lshl_or_b32 v11, v11, 4, v39
	ds_add_u32 v11, v62
	s_or_b32 exec_lo, exec_lo, s1
	s_delay_alu instid0(SALU_CYCLE_1)
	s_mov_b32 s1, exec_lo
	v_cmpx_gt_u32_e64 s0, v29
	s_cbranch_execz .LBB1877_366
.LBB1877_373:                           ;   in Loop: Header=BB1877_351 Depth=2
	v_cmp_lt_i16_e32 vcc_lo, -1, v9
	s_wait_alu 0xfffd
	v_cndmask_b32_e64 v11, -1, 0xffff8000, vcc_lo
	s_delay_alu instid0(VALU_DEP_1) | instskip(NEXT) | instid1(VALU_DEP_1)
	v_xor_b32_e32 v11, v11, v9
	v_cmp_ne_u16_e32 vcc_lo, 0x7fff, v11
	s_wait_alu 0xfffd
	v_cndmask_b32_e32 v11, 0xffff8000, v11, vcc_lo
	s_delay_alu instid0(VALU_DEP_1) | instskip(NEXT) | instid1(VALU_DEP_1)
	v_and_b32_e32 v11, 0xffff, v11
	v_lshrrev_b32_e32 v11, s45, v11
	s_delay_alu instid0(VALU_DEP_1) | instskip(NEXT) | instid1(VALU_DEP_1)
	v_and_b32_e32 v11, s42, v11
	v_lshl_or_b32 v11, v11, 4, v39
	ds_add_u32 v11, v62
	s_wait_alu 0xfffe
	s_or_b32 exec_lo, exec_lo, s1
	s_delay_alu instid0(SALU_CYCLE_1)
	s_mov_b32 s1, exec_lo
	v_cmpx_gt_u32_e64 s0, v30
	s_cbranch_execz .LBB1877_367
.LBB1877_374:                           ;   in Loop: Header=BB1877_351 Depth=2
	v_cmp_lt_i16_e32 vcc_lo, -1, v8
	s_wait_alu 0xfffd
	v_cndmask_b32_e64 v11, -1, 0xffff8000, vcc_lo
	s_delay_alu instid0(VALU_DEP_1) | instskip(NEXT) | instid1(VALU_DEP_1)
	v_xor_b32_e32 v11, v11, v8
	v_cmp_ne_u16_e32 vcc_lo, 0x7fff, v11
	s_wait_alu 0xfffd
	v_cndmask_b32_e32 v11, 0xffff8000, v11, vcc_lo
	s_delay_alu instid0(VALU_DEP_1) | instskip(NEXT) | instid1(VALU_DEP_1)
	v_and_b32_e32 v11, 0xffff, v11
	v_lshrrev_b32_e32 v11, s45, v11
	s_delay_alu instid0(VALU_DEP_1) | instskip(NEXT) | instid1(VALU_DEP_1)
	v_and_b32_e32 v11, s42, v11
	v_lshl_or_b32 v11, v11, 4, v39
	ds_add_u32 v11, v62
	s_wait_alu 0xfffe
	s_or_b32 exec_lo, exec_lo, s1
	s_delay_alu instid0(SALU_CYCLE_1)
	s_mov_b32 s1, exec_lo
	v_cmpx_gt_u32_e64 s0, v31
	s_cbranch_execz .LBB1877_368
.LBB1877_375:                           ;   in Loop: Header=BB1877_351 Depth=2
	v_cmp_lt_i16_e32 vcc_lo, -1, v7
	s_wait_alu 0xfffd
	v_cndmask_b32_e64 v11, -1, 0xffff8000, vcc_lo
	s_delay_alu instid0(VALU_DEP_1) | instskip(NEXT) | instid1(VALU_DEP_1)
	v_xor_b32_e32 v11, v11, v7
	v_cmp_ne_u16_e32 vcc_lo, 0x7fff, v11
	s_wait_alu 0xfffd
	v_cndmask_b32_e32 v11, 0xffff8000, v11, vcc_lo
	s_delay_alu instid0(VALU_DEP_1) | instskip(NEXT) | instid1(VALU_DEP_1)
	v_and_b32_e32 v11, 0xffff, v11
	v_lshrrev_b32_e32 v11, s45, v11
	s_delay_alu instid0(VALU_DEP_1) | instskip(NEXT) | instid1(VALU_DEP_1)
	v_and_b32_e32 v11, s42, v11
	v_lshl_or_b32 v11, v11, 4, v39
	ds_add_u32 v11, v62
	s_wait_alu 0xfffe
	s_or_b32 exec_lo, exec_lo, s1
	s_delay_alu instid0(SALU_CYCLE_1)
	s_mov_b32 s1, exec_lo
	v_cmpx_gt_u32_e64 s0, v34
	s_cbranch_execz .LBB1877_369
.LBB1877_376:                           ;   in Loop: Header=BB1877_351 Depth=2
	v_cmp_lt_i16_e32 vcc_lo, -1, v6
	s_wait_alu 0xfffd
	v_cndmask_b32_e64 v11, -1, 0xffff8000, vcc_lo
	s_delay_alu instid0(VALU_DEP_1) | instskip(NEXT) | instid1(VALU_DEP_1)
	v_xor_b32_e32 v11, v11, v6
	v_cmp_ne_u16_e32 vcc_lo, 0x7fff, v11
	s_wait_alu 0xfffd
	v_cndmask_b32_e32 v11, 0xffff8000, v11, vcc_lo
	s_delay_alu instid0(VALU_DEP_1) | instskip(NEXT) | instid1(VALU_DEP_1)
	v_and_b32_e32 v11, 0xffff, v11
	v_lshrrev_b32_e32 v11, s45, v11
	s_delay_alu instid0(VALU_DEP_1) | instskip(NEXT) | instid1(VALU_DEP_1)
	v_and_b32_e32 v11, s42, v11
	v_lshl_or_b32 v11, v11, 4, v39
	ds_add_u32 v11, v62
	s_wait_alu 0xfffe
	s_or_b32 exec_lo, exec_lo, s1
	s_delay_alu instid0(SALU_CYCLE_1)
	s_mov_b32 s1, exec_lo
	v_cmpx_gt_u32_e64 s0, v35
	s_cbranch_execz .LBB1877_370
.LBB1877_377:                           ;   in Loop: Header=BB1877_351 Depth=2
	v_cmp_lt_i16_e32 vcc_lo, -1, v5
	s_wait_alu 0xfffd
	v_cndmask_b32_e64 v11, -1, 0xffff8000, vcc_lo
	s_delay_alu instid0(VALU_DEP_1) | instskip(NEXT) | instid1(VALU_DEP_1)
	v_xor_b32_e32 v11, v11, v5
	v_cmp_ne_u16_e32 vcc_lo, 0x7fff, v11
	s_wait_alu 0xfffd
	v_cndmask_b32_e32 v11, 0xffff8000, v11, vcc_lo
	s_delay_alu instid0(VALU_DEP_1) | instskip(NEXT) | instid1(VALU_DEP_1)
	v_and_b32_e32 v11, 0xffff, v11
	v_lshrrev_b32_e32 v11, s45, v11
	s_delay_alu instid0(VALU_DEP_1) | instskip(NEXT) | instid1(VALU_DEP_1)
	v_and_b32_e32 v11, s42, v11
	v_lshl_or_b32 v11, v11, 4, v39
	ds_add_u32 v11, v62
	s_wait_alu 0xfffe
	s_or_b32 exec_lo, exec_lo, s1
	s_delay_alu instid0(SALU_CYCLE_1)
	s_mov_b32 s1, exec_lo
	v_cmpx_gt_u32_e64 s0, v36
	s_cbranch_execz .LBB1877_371
.LBB1877_378:                           ;   in Loop: Header=BB1877_351 Depth=2
	v_cmp_lt_i16_e32 vcc_lo, -1, v4
	s_wait_alu 0xfffd
	v_cndmask_b32_e64 v11, -1, 0xffff8000, vcc_lo
	s_delay_alu instid0(VALU_DEP_1) | instskip(NEXT) | instid1(VALU_DEP_1)
	v_xor_b32_e32 v11, v11, v4
	v_cmp_ne_u16_e32 vcc_lo, 0x7fff, v11
	s_wait_alu 0xfffd
	v_cndmask_b32_e32 v11, 0xffff8000, v11, vcc_lo
	s_delay_alu instid0(VALU_DEP_1) | instskip(NEXT) | instid1(VALU_DEP_1)
	v_and_b32_e32 v11, 0xffff, v11
	v_lshrrev_b32_e32 v11, s45, v11
	s_delay_alu instid0(VALU_DEP_1) | instskip(NEXT) | instid1(VALU_DEP_1)
	v_and_b32_e32 v11, s42, v11
	v_lshl_or_b32 v11, v11, 4, v39
	ds_add_u32 v11, v62
	s_wait_alu 0xfffe
	s_or_b32 exec_lo, exec_lo, s1
	v_cmp_gt_u32_e32 vcc_lo, s0, v37
	s_and_saveexec_b32 s0, vcc_lo
	s_cbranch_execz .LBB1877_350
.LBB1877_379:                           ;   in Loop: Header=BB1877_351 Depth=2
	v_cmp_lt_i16_e32 vcc_lo, -1, v2
	s_wait_alu 0xfffd
	v_cndmask_b32_e64 v11, -1, 0xffff8000, vcc_lo
	s_delay_alu instid0(VALU_DEP_1) | instskip(NEXT) | instid1(VALU_DEP_1)
	v_xor_b32_e32 v11, v11, v2
	v_cmp_ne_u16_e32 vcc_lo, 0x7fff, v11
	s_wait_alu 0xfffd
	v_cndmask_b32_e32 v11, 0xffff8000, v11, vcc_lo
	s_delay_alu instid0(VALU_DEP_1) | instskip(NEXT) | instid1(VALU_DEP_1)
	v_and_b32_e32 v11, 0xffff, v11
	v_lshrrev_b32_e32 v11, s45, v11
	s_delay_alu instid0(VALU_DEP_1) | instskip(NEXT) | instid1(VALU_DEP_1)
	v_and_b32_e32 v11, s42, v11
	v_lshl_or_b32 v11, v11, 4, v39
	ds_add_u32 v11, v62
	s_branch .LBB1877_350
.LBB1877_380:                           ;   in Loop: Header=BB1877_351 Depth=2
	global_load_u16 v10, v82, s[0:1]
	s_or_b32 exec_lo, exec_lo, s11
	s_delay_alu instid0(SALU_CYCLE_1)
	s_mov_b32 s11, exec_lo
	v_cmpx_gt_u32_e64 s9, v29
	s_cbranch_execz .LBB1877_356
.LBB1877_381:                           ;   in Loop: Header=BB1877_351 Depth=2
	global_load_u16 v9, v82, s[0:1] offset:512
	s_wait_alu 0xfffe
	s_or_b32 exec_lo, exec_lo, s11
	s_delay_alu instid0(SALU_CYCLE_1)
	s_mov_b32 s11, exec_lo
	v_cmpx_gt_u32_e64 s9, v30
	s_cbranch_execz .LBB1877_357
.LBB1877_382:                           ;   in Loop: Header=BB1877_351 Depth=2
	global_load_u16 v8, v82, s[0:1] offset:1024
	s_wait_alu 0xfffe
	s_or_b32 exec_lo, exec_lo, s11
	s_delay_alu instid0(SALU_CYCLE_1)
	s_mov_b32 s11, exec_lo
	v_cmpx_gt_u32_e64 s9, v31
	s_cbranch_execz .LBB1877_358
.LBB1877_383:                           ;   in Loop: Header=BB1877_351 Depth=2
	global_load_u16 v7, v82, s[0:1] offset:1536
	s_wait_alu 0xfffe
	s_or_b32 exec_lo, exec_lo, s11
	s_delay_alu instid0(SALU_CYCLE_1)
	s_mov_b32 s11, exec_lo
	v_cmpx_gt_u32_e64 s9, v34
	s_cbranch_execz .LBB1877_359
.LBB1877_384:                           ;   in Loop: Header=BB1877_351 Depth=2
	global_load_u16 v6, v82, s[0:1] offset:2048
	s_wait_alu 0xfffe
	s_or_b32 exec_lo, exec_lo, s11
	s_delay_alu instid0(SALU_CYCLE_1)
	s_mov_b32 s11, exec_lo
	v_cmpx_gt_u32_e64 s9, v35
	s_cbranch_execz .LBB1877_360
.LBB1877_385:                           ;   in Loop: Header=BB1877_351 Depth=2
	global_load_u16 v5, v82, s[0:1] offset:2560
	s_wait_alu 0xfffe
	s_or_b32 exec_lo, exec_lo, s11
	s_delay_alu instid0(SALU_CYCLE_1)
	s_mov_b32 s11, exec_lo
	v_cmpx_gt_u32_e64 s9, v36
	s_cbranch_execz .LBB1877_361
.LBB1877_386:                           ;   in Loop: Header=BB1877_351 Depth=2
	global_load_u16 v4, v82, s[0:1] offset:3072
	s_wait_alu 0xfffe
	s_or_b32 exec_lo, exec_lo, s11
	s_delay_alu instid0(SALU_CYCLE_1)
	s_mov_b32 s11, exec_lo
	v_cmpx_gt_u32_e64 s9, v37
	s_cbranch_execnz .LBB1877_362
	s_branch .LBB1877_363
.LBB1877_387:                           ;   in Loop: Header=BB1877_17 Depth=1
	v_mov_b32_e32 v2, 0
	s_wait_dscnt 0x0
	s_barrier_signal -1
	s_barrier_wait -1
	global_inv scope:SCOPE_SE
	s_and_saveexec_b32 s0, s2
	s_cbranch_execz .LBB1877_389
; %bb.388:                              ;   in Loop: Header=BB1877_17 Depth=1
	ds_load_2addr_b64 v[4:7], v40 offset1:1
	s_wait_dscnt 0x0
	v_add_nc_u32_e32 v2, v5, v4
	s_delay_alu instid0(VALU_DEP_1)
	v_add3_u32 v2, v2, v6, v7
.LBB1877_389:                           ;   in Loop: Header=BB1877_17 Depth=1
	s_wait_alu 0xfffe
	s_or_b32 exec_lo, exec_lo, s0
	s_delay_alu instid0(VALU_DEP_1)
	v_mov_b32_dpp v4, v2 row_shr:1 row_mask:0xf bank_mask:0xf
	v_cmp_eq_u32_e64 s0, 0, v63
	v_cmp_lt_u32_e64 s1, 1, v63
	v_cmp_lt_u32_e64 s9, 3, v63
	;; [unrolled: 1-line block ×3, first 2 shown]
	v_cmp_eq_u32_e64 s11, 0, v65
	s_wait_alu 0xf1ff
	v_cndmask_b32_e64 v4, v4, 0, s0
	s_delay_alu instid0(VALU_DEP_1) | instskip(NEXT) | instid1(VALU_DEP_1)
	v_add_nc_u32_e32 v2, v4, v2
	v_mov_b32_dpp v4, v2 row_shr:2 row_mask:0xf bank_mask:0xf
	s_delay_alu instid0(VALU_DEP_1) | instskip(NEXT) | instid1(VALU_DEP_1)
	v_cndmask_b32_e64 v4, 0, v4, s1
	v_add_nc_u32_e32 v2, v2, v4
	s_delay_alu instid0(VALU_DEP_1) | instskip(NEXT) | instid1(VALU_DEP_1)
	v_mov_b32_dpp v4, v2 row_shr:4 row_mask:0xf bank_mask:0xf
	v_cndmask_b32_e64 v4, 0, v4, s9
	s_delay_alu instid0(VALU_DEP_1) | instskip(NEXT) | instid1(VALU_DEP_1)
	v_add_nc_u32_e32 v2, v2, v4
	v_mov_b32_dpp v4, v2 row_shr:8 row_mask:0xf bank_mask:0xf
	s_delay_alu instid0(VALU_DEP_1) | instskip(NEXT) | instid1(VALU_DEP_1)
	v_cndmask_b32_e64 v4, 0, v4, s10
	v_add_nc_u32_e32 v2, v2, v4
	ds_swizzle_b32 v4, v2 offset:swizzle(BROADCAST,32,15)
	s_wait_dscnt 0x0
	v_and_b32_e32 v4, v64, v4
	s_delay_alu instid0(VALU_DEP_1)
	v_add_nc_u32_e32 v2, v2, v4
	s_and_saveexec_b32 s12, s3
; %bb.390:                              ;   in Loop: Header=BB1877_17 Depth=1
	ds_store_b32 v41, v2
; %bb.391:                              ;   in Loop: Header=BB1877_17 Depth=1
	s_wait_alu 0xfffe
	s_or_b32 exec_lo, exec_lo, s12
	s_wait_loadcnt_dscnt 0x0
	s_barrier_signal -1
	s_barrier_wait -1
	global_inv scope:SCOPE_SE
	s_and_saveexec_b32 s12, s4
	s_cbranch_execz .LBB1877_393
; %bb.392:                              ;   in Loop: Header=BB1877_17 Depth=1
	ds_load_b32 v4, v42
	v_cmp_ne_u32_e32 vcc_lo, 0, v67
	s_wait_dscnt 0x0
	v_mov_b32_dpp v5, v4 row_shr:1 row_mask:0xf bank_mask:0xf
	s_wait_alu 0xfffd
	s_delay_alu instid0(VALU_DEP_1) | instskip(SKIP_1) | instid1(VALU_DEP_2)
	v_cndmask_b32_e32 v5, 0, v5, vcc_lo
	v_cmp_lt_u32_e32 vcc_lo, 1, v67
	v_add_nc_u32_e32 v4, v5, v4
	s_delay_alu instid0(VALU_DEP_1) | instskip(SKIP_1) | instid1(VALU_DEP_1)
	v_mov_b32_dpp v5, v4 row_shr:2 row_mask:0xf bank_mask:0xf
	s_wait_alu 0xfffd
	v_cndmask_b32_e32 v5, 0, v5, vcc_lo
	v_cmp_lt_u32_e32 vcc_lo, 3, v67
	s_delay_alu instid0(VALU_DEP_2) | instskip(NEXT) | instid1(VALU_DEP_1)
	v_add_nc_u32_e32 v4, v4, v5
	v_mov_b32_dpp v5, v4 row_shr:4 row_mask:0xf bank_mask:0xf
	s_wait_alu 0xfffd
	s_delay_alu instid0(VALU_DEP_1) | instskip(NEXT) | instid1(VALU_DEP_1)
	v_cndmask_b32_e32 v5, 0, v5, vcc_lo
	v_add_nc_u32_e32 v4, v4, v5
	ds_store_b32 v42, v4
.LBB1877_393:                           ;   in Loop: Header=BB1877_17 Depth=1
	s_wait_alu 0xfffe
	s_or_b32 exec_lo, exec_lo, s12
	v_mov_b32_e32 v4, 0
	s_wait_loadcnt_dscnt 0x0
	s_barrier_signal -1
	s_barrier_wait -1
	global_inv scope:SCOPE_SE
	s_and_saveexec_b32 s12, s5
; %bb.394:                              ;   in Loop: Header=BB1877_17 Depth=1
	ds_load_b32 v4, v44
; %bb.395:                              ;   in Loop: Header=BB1877_17 Depth=1
	s_wait_alu 0xfffe
	s_or_b32 exec_lo, exec_lo, s12
	v_cmp_gt_i32_e32 vcc_lo, 0, v68
	s_wait_dscnt 0x0
	v_add_nc_u32_e32 v2, v4, v2
	s_wait_loadcnt 0x0
	s_barrier_signal -1
	s_barrier_wait -1
	s_wait_alu 0xfffd
	v_cndmask_b32_e32 v5, v68, v59, vcc_lo
	global_inv scope:SCOPE_SE
	v_lshlrev_b32_e32 v87, 2, v5
	ds_bpermute_b32 v2, v87, v2
	s_and_saveexec_b32 s12, s2
	s_cbranch_execz .LBB1877_397
; %bb.396:                              ;   in Loop: Header=BB1877_17 Depth=1
	s_wait_dscnt 0x0
	v_cndmask_b32_e64 v2, v2, v4, s8
	s_delay_alu instid0(VALU_DEP_1)
	v_add_nc_u32_e32 v2, s33, v2
	ds_store_b32 v28, v2
.LBB1877_397:                           ;   in Loop: Header=BB1877_17 Depth=1
	s_wait_alu 0xfffe
	s_or_b32 exec_lo, exec_lo, s12
	s_load_b64 s[12:13], s[28:29], 0x0
	v_add_co_u32 v88, vcc_lo, v57, v69
	s_wait_alu 0xfffd
	v_add_co_ci_u32_e64 v89, null, 0, v58, vcc_lo
	v_add_co_u32 v90, vcc_lo, v60, v77
	s_wait_alu 0xfffd
	v_add_co_ci_u32_e64 v91, null, 0, v61, vcc_lo
	s_mov_b32 s43, s47
                                        ; implicit-def: $vgpr6_vgpr7
                                        ; implicit-def: $vgpr8_vgpr9
                                        ; implicit-def: $vgpr10_vgpr11
                                        ; implicit-def: $vgpr12_vgpr13
                                        ; implicit-def: $vgpr14_vgpr15
                                        ; implicit-def: $vgpr16_vgpr17
                                        ; implicit-def: $vgpr18_vgpr19
                                        ; implicit-def: $vgpr93
                                        ; implicit-def: $vgpr94
                                        ; implicit-def: $vgpr95
                                        ; implicit-def: $vgpr96
                                        ; implicit-def: $vgpr97
                                        ; implicit-def: $vgpr98
                                        ; implicit-def: $vgpr99
                                        ; implicit-def: $vgpr100
	s_wait_kmcnt 0x0
	s_cmp_lt_u32 ttmp7, s13
	s_cselect_b32 s30, 14, 20
	s_cmp_lt_u32 ttmp9, s12
	s_wait_alu 0xfffe
	s_add_nc_u64 s[14:15], s[28:29], s[30:31]
	s_cselect_b32 s30, 12, 18
	s_load_u16 s14, s[14:15], 0x0
	s_add_nc_u64 s[12:13], s[28:29], s[30:31]
	s_mov_b32 s30, s33
	s_load_u16 s12, s[12:13], 0x0
	v_cmp_lt_u32_e64 s13, 1, v67
	s_wait_dscnt 0x0
	s_wait_kmcnt 0x0
	v_mad_u32_u24 v2, v45, s14, v0
	v_cmp_lt_u32_e64 s14, 3, v67
	s_delay_alu instid0(VALU_DEP_2) | instskip(SKIP_1) | instid1(VALU_DEP_2)
	v_mad_co_u64_u32 v[4:5], null, v2, s12, v[1:2]
	v_cmp_eq_u32_e64 s12, 0, v67
	v_lshrrev_b32_e32 v2, 3, v4
                                        ; implicit-def: $vgpr4_vgpr5
	s_delay_alu instid0(VALU_DEP_1)
	v_and_b32_e32 v92, 0x1ffffffc, v2
	s_branch .LBB1877_399
.LBB1877_398:                           ;   in Loop: Header=BB1877_399 Depth=2
	s_wait_alu 0xfffe
	s_or_b32 exec_lo, exec_lo, s15
	s_addk_co_i32 s43, 0xf800
	s_cmp_lt_u32 s44, s34
	s_mov_b32 s30, s44
	s_cbranch_scc0 .LBB1877_511
.LBB1877_399:                           ;   Parent Loop BB1877_17 Depth=1
                                        ; =>  This Inner Loop Header: Depth=2
	s_wait_alu 0xfffe
	s_add_co_i32 s44, s30, 0x800
	s_wait_alu 0xfffe
	s_cmp_gt_u32 s44, s34
	s_cbranch_scc1 .LBB1877_401
; %bb.400:                              ;   in Loop: Header=BB1877_399 Depth=2
	s_lshl_b64 s[16:17], s[30:31], 1
	s_mov_b32 s15, -1
	s_wait_alu 0xfffe
	v_add_co_u32 v20, vcc_lo, v90, s16
	s_wait_alu 0xfffd
	v_add_co_ci_u32_e64 v21, null, s17, v91, vcc_lo
	s_clause 0x6
	global_load_u16 v2, v[20:21], off
	global_load_u16 v27, v[20:21], off offset:64
	global_load_u16 v26, v[20:21], off offset:128
	;; [unrolled: 1-line block ×6, first 2 shown]
	s_movk_i32 s16, 0x800
	s_cbranch_execz .LBB1877_402
	s_branch .LBB1877_417
.LBB1877_401:                           ;   in Loop: Header=BB1877_399 Depth=2
	s_mov_b32 s15, 0
                                        ; implicit-def: $vgpr2
                                        ; implicit-def: $vgpr27
                                        ; implicit-def: $vgpr26
                                        ; implicit-def: $vgpr25
                                        ; implicit-def: $vgpr24
                                        ; implicit-def: $vgpr23
                                        ; implicit-def: $vgpr22
	s_movk_i32 s16, 0x800
.LBB1877_402:                           ;   in Loop: Header=BB1877_399 Depth=2
	s_lshl_b64 s[16:17], s[30:31], 1
	s_wait_loadcnt 0x5
	v_dual_mov_b32 v27, 0x7fff :: v_dual_mov_b32 v2, 0x7fff
	s_wait_alu 0xfffe
	v_add_co_u32 v20, vcc_lo, v90, s16
	s_wait_alu 0xfffd
	v_add_co_ci_u32_e64 v21, null, s17, v91, vcc_lo
	s_mov_b32 s15, exec_lo
	v_cmpx_gt_u32_e64 s43, v66
	s_cbranch_execz .LBB1877_404
; %bb.403:                              ;   in Loop: Header=BB1877_399 Depth=2
	global_load_u16 v2, v[20:21], off
.LBB1877_404:                           ;   in Loop: Header=BB1877_399 Depth=2
	s_wait_alu 0xfffe
	s_or_b32 exec_lo, exec_lo, s15
	s_delay_alu instid0(SALU_CYCLE_1)
	s_mov_b32 s15, exec_lo
	v_cmpx_gt_u32_e64 s43, v70
	s_cbranch_execz .LBB1877_406
; %bb.405:                              ;   in Loop: Header=BB1877_399 Depth=2
	global_load_u16 v27, v[20:21], off offset:64
.LBB1877_406:                           ;   in Loop: Header=BB1877_399 Depth=2
	s_wait_alu 0xfffe
	s_or_b32 exec_lo, exec_lo, s15
	s_wait_loadcnt 0x3
	v_dual_mov_b32 v25, 0x7fff :: v_dual_mov_b32 v26, 0x7fff
	s_mov_b32 s15, exec_lo
	v_cmpx_gt_u32_e64 s43, v71
	s_cbranch_execz .LBB1877_408
; %bb.407:                              ;   in Loop: Header=BB1877_399 Depth=2
	global_load_u16 v26, v[20:21], off offset:128
.LBB1877_408:                           ;   in Loop: Header=BB1877_399 Depth=2
	s_wait_alu 0xfffe
	s_or_b32 exec_lo, exec_lo, s15
	s_delay_alu instid0(SALU_CYCLE_1)
	s_mov_b32 s15, exec_lo
	v_cmpx_gt_u32_e64 s43, v72
	s_cbranch_execz .LBB1877_410
; %bb.409:                              ;   in Loop: Header=BB1877_399 Depth=2
	global_load_u16 v25, v[20:21], off offset:192
.LBB1877_410:                           ;   in Loop: Header=BB1877_399 Depth=2
	s_wait_alu 0xfffe
	s_or_b32 exec_lo, exec_lo, s15
	s_wait_loadcnt 0x1
	v_dual_mov_b32 v23, 0x7fff :: v_dual_mov_b32 v24, 0x7fff
	s_mov_b32 s15, exec_lo
	v_cmpx_gt_u32_e64 s43, v73
	s_cbranch_execz .LBB1877_412
; %bb.411:                              ;   in Loop: Header=BB1877_399 Depth=2
	global_load_u16 v24, v[20:21], off offset:256
.LBB1877_412:                           ;   in Loop: Header=BB1877_399 Depth=2
	s_wait_alu 0xfffe
	s_or_b32 exec_lo, exec_lo, s15
	s_delay_alu instid0(SALU_CYCLE_1)
	s_mov_b32 s15, exec_lo
	v_cmpx_gt_u32_e64 s43, v74
	s_cbranch_execz .LBB1877_414
; %bb.413:                              ;   in Loop: Header=BB1877_399 Depth=2
	global_load_u16 v23, v[20:21], off offset:320
.LBB1877_414:                           ;   in Loop: Header=BB1877_399 Depth=2
	s_wait_alu 0xfffe
	s_or_b32 exec_lo, exec_lo, s15
	s_wait_loadcnt 0x0
	v_mov_b32_e32 v22, 0x7fff
	s_mov_b32 s15, exec_lo
	v_cmpx_gt_u32_e64 s43, v75
	s_cbranch_execz .LBB1877_416
; %bb.415:                              ;   in Loop: Header=BB1877_399 Depth=2
	global_load_u16 v22, v[20:21], off offset:384
.LBB1877_416:                           ;   in Loop: Header=BB1877_399 Depth=2
	s_wait_alu 0xfffe
	s_or_b32 exec_lo, exec_lo, s15
	v_cmp_gt_u32_e64 s15, s43, v76
	s_sub_co_i32 s16, s34, s30
.LBB1877_417:                           ;   in Loop: Header=BB1877_399 Depth=2
	v_dual_mov_b32 v20, 0x7fff :: v_dual_mov_b32 v101, s43
	s_and_saveexec_b32 s17, s15
	s_cbranch_execz .LBB1877_419
; %bb.418:                              ;   in Loop: Header=BB1877_399 Depth=2
	s_lshl_b64 s[18:19], s[30:31], 1
	s_wait_alu 0xfffe
	v_mov_b32_e32 v101, s16
	v_add_co_u32 v20, vcc_lo, v90, s18
	s_wait_alu 0xfffd
	v_add_co_ci_u32_e64 v21, null, s19, v91, vcc_lo
	global_load_u16 v20, v[20:21], off offset:448
.LBB1877_419:                           ;   in Loop: Header=BB1877_399 Depth=2
	s_wait_alu 0xfffe
	s_or_b32 exec_lo, exec_lo, s17
	s_wait_loadcnt 0x6
	v_cmp_lt_i16_e32 vcc_lo, -1, v2
	ds_store_2addr_b32 v81, v3, v3 offset1:1
	ds_store_2addr_b32 v78, v3, v3 offset1:1
	;; [unrolled: 1-line block ×4, first 2 shown]
	ds_store_b32 v43, v3 offset:1088
	s_wait_loadcnt_dscnt 0x0
	s_barrier_signal -1
	s_wait_alu 0xfffd
	v_cndmask_b32_e64 v21, -1, 0xffff8000, vcc_lo
	s_barrier_wait -1
	global_inv scope:SCOPE_SE
	; wave barrier
	v_xor_b32_e32 v2, v21, v2
	s_delay_alu instid0(VALU_DEP_1) | instskip(SKIP_2) | instid1(VALU_DEP_1)
	v_cmp_ne_u16_e32 vcc_lo, 0x7fff, v2
	s_wait_alu 0xfffd
	v_cndmask_b32_e32 v21, 0xffff8000, v2, vcc_lo
	v_and_b32_e32 v21, 0xffff, v21
	s_delay_alu instid0(VALU_DEP_1) | instskip(NEXT) | instid1(VALU_DEP_1)
	v_lshrrev_b32_e32 v21, s45, v21
	v_and_b32_e32 v103, s42, v21
	s_delay_alu instid0(VALU_DEP_1)
	v_and_b32_e32 v21, 1, v103
	v_lshlrev_b32_e32 v102, 30, v103
	v_lshlrev_b32_e32 v104, 29, v103
	;; [unrolled: 1-line block ×4, first 2 shown]
	v_add_co_u32 v21, s15, v21, -1
	s_wait_alu 0xf1ff
	v_cndmask_b32_e64 v106, 0, 1, s15
	v_not_b32_e32 v110, v102
	v_cmp_gt_i32_e64 s15, 0, v102
	v_not_b32_e32 v102, v104
	v_lshlrev_b32_e32 v108, 26, v103
	v_cmp_ne_u32_e32 vcc_lo, 0, v106
	v_ashrrev_i32_e32 v110, 31, v110
	v_lshlrev_b32_e32 v109, 25, v103
	v_ashrrev_i32_e32 v102, 31, v102
	v_lshlrev_b32_e32 v106, 24, v103
	s_wait_alu 0xfffd
	v_xor_b32_e32 v21, vcc_lo, v21
	v_cmp_gt_i32_e32 vcc_lo, 0, v104
	v_not_b32_e32 v104, v105
	s_wait_alu 0xf1ff
	v_xor_b32_e32 v110, s15, v110
	v_cmp_gt_i32_e64 s15, 0, v105
	v_and_b32_e32 v21, exec_lo, v21
	v_not_b32_e32 v105, v107
	v_ashrrev_i32_e32 v104, 31, v104
	s_wait_alu 0xfffd
	v_xor_b32_e32 v102, vcc_lo, v102
	v_cmp_gt_i32_e32 vcc_lo, 0, v107
	v_and_b32_e32 v21, v21, v110
	v_not_b32_e32 v107, v108
	v_ashrrev_i32_e32 v105, 31, v105
	s_wait_alu 0xf1ff
	v_xor_b32_e32 v104, s15, v104
	v_cmp_gt_i32_e64 s15, 0, v108
	v_and_b32_e32 v21, v21, v102
	v_not_b32_e32 v102, v109
	v_ashrrev_i32_e32 v107, 31, v107
	s_wait_alu 0xfffd
	v_xor_b32_e32 v105, vcc_lo, v105
	v_cmp_gt_i32_e32 vcc_lo, 0, v109
	v_and_b32_e32 v21, v21, v104
	v_not_b32_e32 v104, v106
	v_ashrrev_i32_e32 v102, 31, v102
	s_wait_alu 0xf1ff
	v_xor_b32_e32 v107, s15, v107
	v_cmp_gt_i32_e64 s15, 0, v106
	v_and_b32_e32 v21, v21, v105
	v_ashrrev_i32_e32 v104, 31, v104
	s_wait_alu 0xfffd
	v_xor_b32_e32 v102, vcc_lo, v102
	v_mul_u32_u24_e32 v103, 36, v103
	v_and_b32_e32 v21, v21, v107
	s_wait_alu 0xf1ff
	v_xor_b32_e32 v104, s15, v104
	s_delay_alu instid0(VALU_DEP_2) | instskip(NEXT) | instid1(VALU_DEP_1)
	v_and_b32_e32 v21, v21, v102
	v_and_b32_e32 v21, v21, v104
	v_add_nc_u32_e32 v104, v92, v103
	s_delay_alu instid0(VALU_DEP_2) | instskip(SKIP_1) | instid1(VALU_DEP_2)
	v_mbcnt_lo_u32_b32 v102, v21, 0
	v_cmp_ne_u32_e64 s15, 0, v21
	v_cmp_eq_u32_e32 vcc_lo, 0, v102
	s_and_b32 s16, s15, vcc_lo
	s_wait_alu 0xfffe
	s_and_saveexec_b32 s15, s16
; %bb.420:                              ;   in Loop: Header=BB1877_399 Depth=2
	v_bcnt_u32_b32 v21, v21, 0
	ds_store_b32 v104, v21 offset:1056
; %bb.421:                              ;   in Loop: Header=BB1877_399 Depth=2
	s_wait_alu 0xfffe
	s_or_b32 exec_lo, exec_lo, s15
	v_cmp_lt_i16_e32 vcc_lo, -1, v27
	; wave barrier
	s_wait_alu 0xfffd
	v_cndmask_b32_e64 v21, -1, 0xffff8000, vcc_lo
	s_delay_alu instid0(VALU_DEP_1) | instskip(NEXT) | instid1(VALU_DEP_1)
	v_xor_b32_e32 v103, v21, v27
	v_cmp_ne_u16_e32 vcc_lo, 0x7fff, v103
	s_wait_alu 0xfffd
	v_cndmask_b32_e32 v21, 0xffff8000, v103, vcc_lo
	s_delay_alu instid0(VALU_DEP_1) | instskip(NEXT) | instid1(VALU_DEP_1)
	v_and_b32_e32 v21, 0xffff, v21
	v_lshrrev_b32_e32 v21, s45, v21
	s_delay_alu instid0(VALU_DEP_1) | instskip(NEXT) | instid1(VALU_DEP_1)
	v_and_b32_e32 v27, s42, v21
	v_and_b32_e32 v21, 1, v27
	v_lshlrev_b32_e32 v105, 30, v27
	v_lshlrev_b32_e32 v106, 29, v27
	;; [unrolled: 1-line block ×4, first 2 shown]
	v_add_co_u32 v21, s15, v21, -1
	s_wait_alu 0xf1ff
	v_cndmask_b32_e64 v108, 0, 1, s15
	v_not_b32_e32 v112, v105
	v_cmp_gt_i32_e64 s15, 0, v105
	v_not_b32_e32 v105, v106
	v_lshlrev_b32_e32 v110, 26, v27
	v_cmp_ne_u32_e32 vcc_lo, 0, v108
	v_ashrrev_i32_e32 v112, 31, v112
	v_lshlrev_b32_e32 v111, 25, v27
	v_ashrrev_i32_e32 v105, 31, v105
	v_lshlrev_b32_e32 v108, 24, v27
	s_wait_alu 0xfffd
	v_xor_b32_e32 v21, vcc_lo, v21
	v_cmp_gt_i32_e32 vcc_lo, 0, v106
	v_not_b32_e32 v106, v107
	s_wait_alu 0xf1ff
	v_xor_b32_e32 v112, s15, v112
	v_cmp_gt_i32_e64 s15, 0, v107
	v_and_b32_e32 v21, exec_lo, v21
	v_not_b32_e32 v107, v109
	v_ashrrev_i32_e32 v106, 31, v106
	s_wait_alu 0xfffd
	v_xor_b32_e32 v105, vcc_lo, v105
	v_cmp_gt_i32_e32 vcc_lo, 0, v109
	v_and_b32_e32 v21, v21, v112
	v_not_b32_e32 v109, v110
	v_ashrrev_i32_e32 v107, 31, v107
	s_wait_alu 0xf1ff
	v_xor_b32_e32 v106, s15, v106
	v_cmp_gt_i32_e64 s15, 0, v110
	v_and_b32_e32 v21, v21, v105
	v_not_b32_e32 v105, v111
	v_ashrrev_i32_e32 v109, 31, v109
	s_wait_alu 0xfffd
	v_xor_b32_e32 v107, vcc_lo, v107
	v_cmp_gt_i32_e32 vcc_lo, 0, v111
	v_and_b32_e32 v21, v21, v106
	v_not_b32_e32 v106, v108
	v_ashrrev_i32_e32 v105, 31, v105
	s_wait_alu 0xf1ff
	v_xor_b32_e32 v109, s15, v109
	v_cmp_gt_i32_e64 s15, 0, v108
	v_and_b32_e32 v21, v21, v107
	v_ashrrev_i32_e32 v106, 31, v106
	s_wait_alu 0xfffd
	v_xor_b32_e32 v105, vcc_lo, v105
	v_mad_u32_u24 v107, v27, 36, v92
	v_mul_u32_u24_e32 v27, 36, v27
	v_and_b32_e32 v21, v21, v109
	s_wait_alu 0xf1ff
	v_xor_b32_e32 v106, s15, v106
	s_delay_alu instid0(VALU_DEP_3) | instskip(NEXT) | instid1(VALU_DEP_3)
	v_add_nc_u32_e32 v108, v92, v27
	v_and_b32_e32 v21, v21, v105
	ds_load_b32 v105, v107 offset:1056
	; wave barrier
	v_and_b32_e32 v21, v21, v106
	s_delay_alu instid0(VALU_DEP_1) | instskip(SKIP_1) | instid1(VALU_DEP_2)
	v_mbcnt_lo_u32_b32 v106, v21, 0
	v_cmp_ne_u32_e64 s15, 0, v21
	v_cmp_eq_u32_e32 vcc_lo, 0, v106
	s_and_b32 s16, s15, vcc_lo
	s_wait_alu 0xfffe
	s_and_saveexec_b32 s15, s16
	s_cbranch_execz .LBB1877_423
; %bb.422:                              ;   in Loop: Header=BB1877_399 Depth=2
	s_wait_dscnt 0x0
	v_bcnt_u32_b32 v21, v21, v105
	ds_store_b32 v108, v21 offset:1056
.LBB1877_423:                           ;   in Loop: Header=BB1877_399 Depth=2
	s_wait_alu 0xfffe
	s_or_b32 exec_lo, exec_lo, s15
	v_cmp_lt_i16_e32 vcc_lo, -1, v26
	; wave barrier
	s_wait_alu 0xfffd
	v_cndmask_b32_e64 v21, -1, 0xffff8000, vcc_lo
	s_delay_alu instid0(VALU_DEP_1) | instskip(NEXT) | instid1(VALU_DEP_1)
	v_xor_b32_e32 v107, v21, v26
	v_cmp_ne_u16_e32 vcc_lo, 0x7fff, v107
	s_wait_alu 0xfffd
	v_cndmask_b32_e32 v21, 0xffff8000, v107, vcc_lo
	s_delay_alu instid0(VALU_DEP_1) | instskip(NEXT) | instid1(VALU_DEP_1)
	v_and_b32_e32 v21, 0xffff, v21
	v_lshrrev_b32_e32 v21, s45, v21
	s_delay_alu instid0(VALU_DEP_1) | instskip(NEXT) | instid1(VALU_DEP_1)
	v_and_b32_e32 v26, s42, v21
	v_and_b32_e32 v21, 1, v26
	v_lshlrev_b32_e32 v27, 30, v26
	v_lshlrev_b32_e32 v109, 29, v26
	;; [unrolled: 1-line block ×4, first 2 shown]
	v_add_co_u32 v21, s15, v21, -1
	s_wait_alu 0xf1ff
	v_cndmask_b32_e64 v111, 0, 1, s15
	v_not_b32_e32 v115, v27
	v_cmp_gt_i32_e64 s15, 0, v27
	v_not_b32_e32 v27, v109
	v_lshlrev_b32_e32 v113, 26, v26
	v_cmp_ne_u32_e32 vcc_lo, 0, v111
	v_ashrrev_i32_e32 v115, 31, v115
	v_lshlrev_b32_e32 v114, 25, v26
	v_ashrrev_i32_e32 v27, 31, v27
	v_lshlrev_b32_e32 v111, 24, v26
	s_wait_alu 0xfffd
	v_xor_b32_e32 v21, vcc_lo, v21
	v_cmp_gt_i32_e32 vcc_lo, 0, v109
	v_not_b32_e32 v109, v110
	s_wait_alu 0xf1ff
	v_xor_b32_e32 v115, s15, v115
	v_cmp_gt_i32_e64 s15, 0, v110
	v_and_b32_e32 v21, exec_lo, v21
	v_not_b32_e32 v110, v112
	v_ashrrev_i32_e32 v109, 31, v109
	s_wait_alu 0xfffd
	v_xor_b32_e32 v27, vcc_lo, v27
	v_cmp_gt_i32_e32 vcc_lo, 0, v112
	v_and_b32_e32 v21, v21, v115
	v_not_b32_e32 v112, v113
	v_ashrrev_i32_e32 v110, 31, v110
	s_wait_alu 0xf1ff
	v_xor_b32_e32 v109, s15, v109
	v_cmp_gt_i32_e64 s15, 0, v113
	v_and_b32_e32 v21, v21, v27
	v_not_b32_e32 v27, v114
	v_ashrrev_i32_e32 v112, 31, v112
	s_wait_alu 0xfffd
	v_xor_b32_e32 v110, vcc_lo, v110
	v_cmp_gt_i32_e32 vcc_lo, 0, v114
	v_and_b32_e32 v21, v21, v109
	v_not_b32_e32 v109, v111
	v_ashrrev_i32_e32 v27, 31, v27
	s_wait_alu 0xf1ff
	v_xor_b32_e32 v112, s15, v112
	v_cmp_gt_i32_e64 s15, 0, v111
	v_and_b32_e32 v21, v21, v110
	v_ashrrev_i32_e32 v109, 31, v109
	s_wait_alu 0xfffd
	v_xor_b32_e32 v27, vcc_lo, v27
	v_mad_u32_u24 v110, v26, 36, v92
	v_mul_u32_u24_e32 v26, 36, v26
	v_and_b32_e32 v21, v21, v112
	s_wait_alu 0xf1ff
	v_xor_b32_e32 v111, s15, v109
	ds_load_b32 v109, v110 offset:1056
	v_add_nc_u32_e32 v112, v92, v26
	v_and_b32_e32 v21, v21, v27
	; wave barrier
	s_delay_alu instid0(VALU_DEP_1) | instskip(NEXT) | instid1(VALU_DEP_1)
	v_and_b32_e32 v21, v21, v111
	v_mbcnt_lo_u32_b32 v111, v21, 0
	v_cmp_ne_u32_e64 s15, 0, v21
	s_delay_alu instid0(VALU_DEP_2)
	v_cmp_eq_u32_e32 vcc_lo, 0, v111
	s_and_b32 s16, s15, vcc_lo
	s_wait_alu 0xfffe
	s_and_saveexec_b32 s15, s16
	s_cbranch_execz .LBB1877_425
; %bb.424:                              ;   in Loop: Header=BB1877_399 Depth=2
	s_wait_dscnt 0x0
	v_bcnt_u32_b32 v21, v21, v109
	ds_store_b32 v112, v21 offset:1056
.LBB1877_425:                           ;   in Loop: Header=BB1877_399 Depth=2
	s_wait_alu 0xfffe
	s_or_b32 exec_lo, exec_lo, s15
	v_cmp_lt_i16_e32 vcc_lo, -1, v25
	; wave barrier
	s_wait_alu 0xfffd
	v_cndmask_b32_e64 v21, -1, 0xffff8000, vcc_lo
	s_delay_alu instid0(VALU_DEP_1) | instskip(NEXT) | instid1(VALU_DEP_1)
	v_xor_b32_e32 v110, v21, v25
	v_cmp_ne_u16_e32 vcc_lo, 0x7fff, v110
	s_wait_alu 0xfffd
	v_cndmask_b32_e32 v21, 0xffff8000, v110, vcc_lo
	s_delay_alu instid0(VALU_DEP_1) | instskip(NEXT) | instid1(VALU_DEP_1)
	v_and_b32_e32 v21, 0xffff, v21
	v_lshrrev_b32_e32 v21, s45, v21
	s_delay_alu instid0(VALU_DEP_1) | instskip(NEXT) | instid1(VALU_DEP_1)
	v_and_b32_e32 v25, s42, v21
	v_and_b32_e32 v21, 1, v25
	v_lshlrev_b32_e32 v26, 30, v25
	v_lshlrev_b32_e32 v27, 29, v25
	;; [unrolled: 1-line block ×4, first 2 shown]
	v_add_co_u32 v21, s15, v21, -1
	s_wait_alu 0xf1ff
	v_cndmask_b32_e64 v114, 0, 1, s15
	v_not_b32_e32 v118, v26
	v_cmp_gt_i32_e64 s15, 0, v26
	v_not_b32_e32 v26, v27
	v_lshlrev_b32_e32 v116, 26, v25
	v_cmp_ne_u32_e32 vcc_lo, 0, v114
	v_ashrrev_i32_e32 v118, 31, v118
	v_lshlrev_b32_e32 v117, 25, v25
	v_ashrrev_i32_e32 v26, 31, v26
	v_lshlrev_b32_e32 v114, 24, v25
	s_wait_alu 0xfffd
	v_xor_b32_e32 v21, vcc_lo, v21
	v_cmp_gt_i32_e32 vcc_lo, 0, v27
	v_not_b32_e32 v27, v113
	s_wait_alu 0xf1ff
	v_xor_b32_e32 v118, s15, v118
	v_cmp_gt_i32_e64 s15, 0, v113
	v_and_b32_e32 v21, exec_lo, v21
	v_not_b32_e32 v113, v115
	v_ashrrev_i32_e32 v27, 31, v27
	s_wait_alu 0xfffd
	v_xor_b32_e32 v26, vcc_lo, v26
	v_cmp_gt_i32_e32 vcc_lo, 0, v115
	v_and_b32_e32 v21, v21, v118
	v_not_b32_e32 v115, v116
	v_ashrrev_i32_e32 v113, 31, v113
	s_wait_alu 0xf1ff
	v_xor_b32_e32 v27, s15, v27
	v_cmp_gt_i32_e64 s15, 0, v116
	v_and_b32_e32 v21, v21, v26
	v_not_b32_e32 v26, v117
	v_ashrrev_i32_e32 v115, 31, v115
	s_wait_alu 0xfffd
	v_xor_b32_e32 v113, vcc_lo, v113
	v_cmp_gt_i32_e32 vcc_lo, 0, v117
	v_and_b32_e32 v21, v21, v27
	v_not_b32_e32 v27, v114
	v_ashrrev_i32_e32 v26, 31, v26
	s_wait_alu 0xf1ff
	v_xor_b32_e32 v115, s15, v115
	v_cmp_gt_i32_e64 s15, 0, v114
	v_and_b32_e32 v21, v21, v113
	v_ashrrev_i32_e32 v27, 31, v27
	s_wait_alu 0xfffd
	v_xor_b32_e32 v26, vcc_lo, v26
	v_mad_u32_u24 v113, v25, 36, v92
	v_mul_u32_u24_e32 v25, 36, v25
	v_and_b32_e32 v21, v21, v115
	s_wait_alu 0xf1ff
	v_xor_b32_e32 v27, s15, v27
	ds_load_b32 v113, v113 offset:1056
	v_add_nc_u32_e32 v116, v92, v25
	v_and_b32_e32 v21, v21, v26
	; wave barrier
	s_delay_alu instid0(VALU_DEP_1) | instskip(NEXT) | instid1(VALU_DEP_1)
	v_and_b32_e32 v21, v21, v27
	v_mbcnt_lo_u32_b32 v115, v21, 0
	v_cmp_ne_u32_e64 s15, 0, v21
	s_delay_alu instid0(VALU_DEP_2)
	v_cmp_eq_u32_e32 vcc_lo, 0, v115
	s_and_b32 s16, s15, vcc_lo
	s_wait_alu 0xfffe
	s_and_saveexec_b32 s15, s16
	s_cbranch_execz .LBB1877_427
; %bb.426:                              ;   in Loop: Header=BB1877_399 Depth=2
	s_wait_dscnt 0x0
	v_bcnt_u32_b32 v21, v21, v113
	ds_store_b32 v116, v21 offset:1056
.LBB1877_427:                           ;   in Loop: Header=BB1877_399 Depth=2
	s_wait_alu 0xfffe
	s_or_b32 exec_lo, exec_lo, s15
	v_cmp_lt_i16_e32 vcc_lo, -1, v24
	; wave barrier
	s_wait_alu 0xfffd
	v_cndmask_b32_e64 v21, -1, 0xffff8000, vcc_lo
	s_delay_alu instid0(VALU_DEP_1) | instskip(NEXT) | instid1(VALU_DEP_1)
	v_xor_b32_e32 v114, v21, v24
	v_cmp_ne_u16_e32 vcc_lo, 0x7fff, v114
	s_wait_alu 0xfffd
	v_cndmask_b32_e32 v21, 0xffff8000, v114, vcc_lo
	s_delay_alu instid0(VALU_DEP_1) | instskip(NEXT) | instid1(VALU_DEP_1)
	v_and_b32_e32 v21, 0xffff, v21
	v_lshrrev_b32_e32 v21, s45, v21
	s_delay_alu instid0(VALU_DEP_1) | instskip(NEXT) | instid1(VALU_DEP_1)
	v_and_b32_e32 v24, s42, v21
	v_and_b32_e32 v21, 1, v24
	v_lshlrev_b32_e32 v25, 30, v24
	v_lshlrev_b32_e32 v26, 29, v24
	v_lshlrev_b32_e32 v27, 28, v24
	v_lshlrev_b32_e32 v118, 27, v24
	v_add_co_u32 v21, s15, v21, -1
	s_wait_alu 0xf1ff
	v_cndmask_b32_e64 v117, 0, 1, s15
	v_not_b32_e32 v121, v25
	v_cmp_gt_i32_e64 s15, 0, v25
	v_not_b32_e32 v25, v26
	v_lshlrev_b32_e32 v119, 26, v24
	v_cmp_ne_u32_e32 vcc_lo, 0, v117
	v_ashrrev_i32_e32 v121, 31, v121
	v_lshlrev_b32_e32 v120, 25, v24
	v_ashrrev_i32_e32 v25, 31, v25
	v_lshlrev_b32_e32 v117, 24, v24
	s_wait_alu 0xfffd
	v_xor_b32_e32 v21, vcc_lo, v21
	v_cmp_gt_i32_e32 vcc_lo, 0, v26
	v_not_b32_e32 v26, v27
	s_wait_alu 0xf1ff
	v_xor_b32_e32 v121, s15, v121
	v_cmp_gt_i32_e64 s15, 0, v27
	v_and_b32_e32 v21, exec_lo, v21
	v_not_b32_e32 v27, v118
	v_ashrrev_i32_e32 v26, 31, v26
	s_wait_alu 0xfffd
	v_xor_b32_e32 v25, vcc_lo, v25
	v_cmp_gt_i32_e32 vcc_lo, 0, v118
	v_and_b32_e32 v21, v21, v121
	v_not_b32_e32 v118, v119
	v_ashrrev_i32_e32 v27, 31, v27
	s_wait_alu 0xf1ff
	v_xor_b32_e32 v26, s15, v26
	v_cmp_gt_i32_e64 s15, 0, v119
	v_and_b32_e32 v21, v21, v25
	v_not_b32_e32 v25, v120
	v_ashrrev_i32_e32 v118, 31, v118
	s_wait_alu 0xfffd
	v_xor_b32_e32 v27, vcc_lo, v27
	v_cmp_gt_i32_e32 vcc_lo, 0, v120
	v_and_b32_e32 v21, v21, v26
	v_not_b32_e32 v26, v117
	v_ashrrev_i32_e32 v25, 31, v25
	s_wait_alu 0xf1ff
	v_xor_b32_e32 v118, s15, v118
	v_cmp_gt_i32_e64 s15, 0, v117
	v_and_b32_e32 v21, v21, v27
	v_ashrrev_i32_e32 v26, 31, v26
	s_wait_alu 0xfffd
	v_xor_b32_e32 v25, vcc_lo, v25
	v_mad_u32_u24 v27, v24, 36, v92
	v_mul_u32_u24_e32 v24, 36, v24
	v_and_b32_e32 v21, v21, v118
	s_wait_alu 0xf1ff
	v_xor_b32_e32 v26, s15, v26
	ds_load_b32 v117, v27 offset:1056
	v_add_nc_u32_e32 v120, v92, v24
	v_and_b32_e32 v21, v21, v25
	; wave barrier
	s_delay_alu instid0(VALU_DEP_1) | instskip(NEXT) | instid1(VALU_DEP_1)
	v_and_b32_e32 v21, v21, v26
	v_mbcnt_lo_u32_b32 v119, v21, 0
	v_cmp_ne_u32_e64 s15, 0, v21
	s_delay_alu instid0(VALU_DEP_2)
	v_cmp_eq_u32_e32 vcc_lo, 0, v119
	s_and_b32 s16, s15, vcc_lo
	s_wait_alu 0xfffe
	s_and_saveexec_b32 s15, s16
	s_cbranch_execz .LBB1877_429
; %bb.428:                              ;   in Loop: Header=BB1877_399 Depth=2
	s_wait_dscnt 0x0
	v_bcnt_u32_b32 v21, v21, v117
	ds_store_b32 v120, v21 offset:1056
.LBB1877_429:                           ;   in Loop: Header=BB1877_399 Depth=2
	s_wait_alu 0xfffe
	s_or_b32 exec_lo, exec_lo, s15
	v_cmp_lt_i16_e32 vcc_lo, -1, v23
	; wave barrier
	s_wait_alu 0xfffd
	v_cndmask_b32_e64 v21, -1, 0xffff8000, vcc_lo
	s_delay_alu instid0(VALU_DEP_1) | instskip(NEXT) | instid1(VALU_DEP_1)
	v_xor_b32_e32 v118, v21, v23
	v_cmp_ne_u16_e32 vcc_lo, 0x7fff, v118
	s_wait_alu 0xfffd
	v_cndmask_b32_e32 v21, 0xffff8000, v118, vcc_lo
	s_delay_alu instid0(VALU_DEP_1) | instskip(NEXT) | instid1(VALU_DEP_1)
	v_and_b32_e32 v21, 0xffff, v21
	v_lshrrev_b32_e32 v21, s45, v21
	s_delay_alu instid0(VALU_DEP_1) | instskip(NEXT) | instid1(VALU_DEP_1)
	v_and_b32_e32 v23, s42, v21
	v_and_b32_e32 v21, 1, v23
	v_lshlrev_b32_e32 v24, 30, v23
	v_lshlrev_b32_e32 v25, 29, v23
	;; [unrolled: 1-line block ×4, first 2 shown]
	v_add_co_u32 v21, s15, v21, -1
	s_wait_alu 0xf1ff
	v_cndmask_b32_e64 v27, 0, 1, s15
	v_not_b32_e32 v124, v24
	v_cmp_gt_i32_e64 s15, 0, v24
	v_not_b32_e32 v24, v25
	v_lshlrev_b32_e32 v122, 26, v23
	v_cmp_ne_u32_e32 vcc_lo, 0, v27
	v_ashrrev_i32_e32 v124, 31, v124
	v_lshlrev_b32_e32 v123, 25, v23
	v_ashrrev_i32_e32 v24, 31, v24
	v_lshlrev_b32_e32 v27, 24, v23
	s_wait_alu 0xfffd
	v_xor_b32_e32 v21, vcc_lo, v21
	v_cmp_gt_i32_e32 vcc_lo, 0, v25
	v_not_b32_e32 v25, v26
	s_wait_alu 0xf1ff
	v_xor_b32_e32 v124, s15, v124
	v_cmp_gt_i32_e64 s15, 0, v26
	v_and_b32_e32 v21, exec_lo, v21
	v_not_b32_e32 v26, v121
	v_ashrrev_i32_e32 v25, 31, v25
	s_wait_alu 0xfffd
	v_xor_b32_e32 v24, vcc_lo, v24
	v_cmp_gt_i32_e32 vcc_lo, 0, v121
	v_and_b32_e32 v21, v21, v124
	v_not_b32_e32 v121, v122
	v_ashrrev_i32_e32 v26, 31, v26
	s_wait_alu 0xf1ff
	v_xor_b32_e32 v25, s15, v25
	v_cmp_gt_i32_e64 s15, 0, v122
	v_and_b32_e32 v21, v21, v24
	v_not_b32_e32 v24, v123
	v_ashrrev_i32_e32 v121, 31, v121
	s_wait_alu 0xfffd
	v_xor_b32_e32 v26, vcc_lo, v26
	v_cmp_gt_i32_e32 vcc_lo, 0, v123
	v_and_b32_e32 v21, v21, v25
	v_not_b32_e32 v25, v27
	v_ashrrev_i32_e32 v24, 31, v24
	s_wait_alu 0xf1ff
	v_xor_b32_e32 v121, s15, v121
	v_cmp_gt_i32_e64 s15, 0, v27
	v_and_b32_e32 v21, v21, v26
	v_ashrrev_i32_e32 v25, 31, v25
	s_wait_alu 0xfffd
	v_xor_b32_e32 v24, vcc_lo, v24
	v_mad_u32_u24 v26, v23, 36, v92
	v_mul_u32_u24_e32 v23, 36, v23
	v_and_b32_e32 v21, v21, v121
	s_wait_alu 0xf1ff
	v_xor_b32_e32 v25, s15, v25
	ds_load_b32 v121, v26 offset:1056
	v_add_nc_u32_e32 v124, v92, v23
	v_and_b32_e32 v21, v21, v24
	; wave barrier
	s_delay_alu instid0(VALU_DEP_1) | instskip(NEXT) | instid1(VALU_DEP_1)
	v_and_b32_e32 v21, v21, v25
	v_mbcnt_lo_u32_b32 v123, v21, 0
	v_cmp_ne_u32_e64 s15, 0, v21
	s_delay_alu instid0(VALU_DEP_2)
	v_cmp_eq_u32_e32 vcc_lo, 0, v123
	s_and_b32 s16, s15, vcc_lo
	s_wait_alu 0xfffe
	s_and_saveexec_b32 s15, s16
	s_cbranch_execz .LBB1877_431
; %bb.430:                              ;   in Loop: Header=BB1877_399 Depth=2
	s_wait_dscnt 0x0
	v_bcnt_u32_b32 v21, v21, v121
	ds_store_b32 v124, v21 offset:1056
.LBB1877_431:                           ;   in Loop: Header=BB1877_399 Depth=2
	s_wait_alu 0xfffe
	s_or_b32 exec_lo, exec_lo, s15
	v_cmp_lt_i16_e32 vcc_lo, -1, v22
	; wave barrier
	s_wait_alu 0xfffd
	v_cndmask_b32_e64 v21, -1, 0xffff8000, vcc_lo
	s_delay_alu instid0(VALU_DEP_1) | instskip(NEXT) | instid1(VALU_DEP_1)
	v_xor_b32_e32 v122, v21, v22
	v_cmp_ne_u16_e32 vcc_lo, 0x7fff, v122
	s_wait_alu 0xfffd
	v_cndmask_b32_e32 v21, 0xffff8000, v122, vcc_lo
	s_delay_alu instid0(VALU_DEP_1) | instskip(NEXT) | instid1(VALU_DEP_1)
	v_and_b32_e32 v21, 0xffff, v21
	v_lshrrev_b32_e32 v21, s45, v21
	s_delay_alu instid0(VALU_DEP_1) | instskip(NEXT) | instid1(VALU_DEP_1)
	v_and_b32_e32 v22, s42, v21
	v_and_b32_e32 v21, 1, v22
	v_lshlrev_b32_e32 v23, 30, v22
	v_lshlrev_b32_e32 v24, 29, v22
	;; [unrolled: 1-line block ×4, first 2 shown]
	v_add_co_u32 v21, s15, v21, -1
	s_wait_alu 0xf1ff
	v_cndmask_b32_e64 v26, 0, 1, s15
	v_not_b32_e32 v127, v23
	v_cmp_gt_i32_e64 s15, 0, v23
	v_not_b32_e32 v23, v24
	v_lshlrev_b32_e32 v125, 26, v22
	v_cmp_ne_u32_e32 vcc_lo, 0, v26
	v_ashrrev_i32_e32 v127, 31, v127
	v_lshlrev_b32_e32 v126, 25, v22
	v_ashrrev_i32_e32 v23, 31, v23
	v_lshlrev_b32_e32 v26, 24, v22
	s_wait_alu 0xfffd
	v_xor_b32_e32 v21, vcc_lo, v21
	v_cmp_gt_i32_e32 vcc_lo, 0, v24
	v_not_b32_e32 v24, v25
	s_wait_alu 0xf1ff
	v_xor_b32_e32 v127, s15, v127
	v_cmp_gt_i32_e64 s15, 0, v25
	v_and_b32_e32 v21, exec_lo, v21
	v_not_b32_e32 v25, v27
	v_ashrrev_i32_e32 v24, 31, v24
	s_wait_alu 0xfffd
	v_xor_b32_e32 v23, vcc_lo, v23
	v_cmp_gt_i32_e32 vcc_lo, 0, v27
	v_and_b32_e32 v21, v21, v127
	v_not_b32_e32 v27, v125
	v_ashrrev_i32_e32 v25, 31, v25
	s_wait_alu 0xf1ff
	v_xor_b32_e32 v24, s15, v24
	v_cmp_gt_i32_e64 s15, 0, v125
	v_and_b32_e32 v21, v21, v23
	v_not_b32_e32 v23, v126
	v_ashrrev_i32_e32 v27, 31, v27
	s_wait_alu 0xfffd
	v_xor_b32_e32 v25, vcc_lo, v25
	v_cmp_gt_i32_e32 vcc_lo, 0, v126
	v_and_b32_e32 v21, v21, v24
	v_not_b32_e32 v24, v26
	v_ashrrev_i32_e32 v23, 31, v23
	s_wait_alu 0xf1ff
	v_xor_b32_e32 v27, s15, v27
	v_cmp_gt_i32_e64 s15, 0, v26
	v_and_b32_e32 v21, v21, v25
	v_ashrrev_i32_e32 v24, 31, v24
	s_wait_alu 0xfffd
	v_xor_b32_e32 v23, vcc_lo, v23
	v_mad_u32_u24 v25, v22, 36, v92
	v_mul_u32_u24_e32 v22, 36, v22
	v_and_b32_e32 v21, v21, v27
	s_wait_alu 0xf1ff
	v_xor_b32_e32 v24, s15, v24
	ds_load_b32 v125, v25 offset:1056
	v_add_nc_u32_e32 v128, v92, v22
	v_and_b32_e32 v21, v21, v23
	; wave barrier
	s_delay_alu instid0(VALU_DEP_1) | instskip(NEXT) | instid1(VALU_DEP_1)
	v_and_b32_e32 v21, v21, v24
	v_mbcnt_lo_u32_b32 v126, v21, 0
	v_cmp_ne_u32_e64 s15, 0, v21
	s_delay_alu instid0(VALU_DEP_2)
	v_cmp_eq_u32_e32 vcc_lo, 0, v126
	s_and_b32 s16, s15, vcc_lo
	s_wait_alu 0xfffe
	s_and_saveexec_b32 s15, s16
	s_cbranch_execz .LBB1877_433
; %bb.432:                              ;   in Loop: Header=BB1877_399 Depth=2
	s_wait_dscnt 0x0
	v_bcnt_u32_b32 v21, v21, v125
	ds_store_b32 v128, v21 offset:1056
.LBB1877_433:                           ;   in Loop: Header=BB1877_399 Depth=2
	s_wait_alu 0xfffe
	s_or_b32 exec_lo, exec_lo, s15
	v_cmp_lt_i16_e32 vcc_lo, -1, v20
	; wave barrier
	s_wait_alu 0xfffd
	v_cndmask_b32_e64 v21, -1, 0xffff8000, vcc_lo
	s_delay_alu instid0(VALU_DEP_1) | instskip(NEXT) | instid1(VALU_DEP_1)
	v_xor_b32_e32 v127, v21, v20
	v_cmp_ne_u16_e32 vcc_lo, 0x7fff, v127
	s_wait_alu 0xfffd
	v_cndmask_b32_e32 v20, 0xffff8000, v127, vcc_lo
	s_delay_alu instid0(VALU_DEP_1) | instskip(NEXT) | instid1(VALU_DEP_1)
	v_and_b32_e32 v20, 0xffff, v20
	v_lshrrev_b32_e32 v20, s45, v20
	s_delay_alu instid0(VALU_DEP_1) | instskip(NEXT) | instid1(VALU_DEP_1)
	v_and_b32_e32 v21, s42, v20
	v_and_b32_e32 v20, 1, v21
	v_lshlrev_b32_e32 v22, 30, v21
	v_lshlrev_b32_e32 v23, 29, v21
	v_lshlrev_b32_e32 v24, 28, v21
	v_lshlrev_b32_e32 v26, 27, v21
	v_add_co_u32 v20, s15, v20, -1
	s_wait_alu 0xf1ff
	v_cndmask_b32_e64 v25, 0, 1, s15
	v_not_b32_e32 v130, v22
	v_cmp_gt_i32_e64 s15, 0, v22
	v_not_b32_e32 v22, v23
	v_lshlrev_b32_e32 v27, 26, v21
	v_cmp_ne_u32_e32 vcc_lo, 0, v25
	v_ashrrev_i32_e32 v130, 31, v130
	v_lshlrev_b32_e32 v129, 25, v21
	v_ashrrev_i32_e32 v22, 31, v22
	v_lshlrev_b32_e32 v25, 24, v21
	s_wait_alu 0xfffd
	v_xor_b32_e32 v20, vcc_lo, v20
	v_cmp_gt_i32_e32 vcc_lo, 0, v23
	v_not_b32_e32 v23, v24
	s_wait_alu 0xf1ff
	v_xor_b32_e32 v130, s15, v130
	v_cmp_gt_i32_e64 s15, 0, v24
	v_and_b32_e32 v20, exec_lo, v20
	v_not_b32_e32 v24, v26
	v_ashrrev_i32_e32 v23, 31, v23
	s_wait_alu 0xfffd
	v_xor_b32_e32 v22, vcc_lo, v22
	v_cmp_gt_i32_e32 vcc_lo, 0, v26
	v_and_b32_e32 v20, v20, v130
	v_not_b32_e32 v26, v27
	v_ashrrev_i32_e32 v24, 31, v24
	s_wait_alu 0xf1ff
	v_xor_b32_e32 v23, s15, v23
	v_cmp_gt_i32_e64 s15, 0, v27
	v_and_b32_e32 v20, v20, v22
	v_not_b32_e32 v22, v129
	v_ashrrev_i32_e32 v26, 31, v26
	s_wait_alu 0xfffd
	v_xor_b32_e32 v24, vcc_lo, v24
	v_cmp_gt_i32_e32 vcc_lo, 0, v129
	v_and_b32_e32 v20, v20, v23
	v_not_b32_e32 v23, v25
	v_ashrrev_i32_e32 v22, 31, v22
	s_wait_alu 0xf1ff
	v_xor_b32_e32 v26, s15, v26
	v_cmp_gt_i32_e64 s15, 0, v25
	v_and_b32_e32 v20, v20, v24
	v_ashrrev_i32_e32 v23, 31, v23
	s_wait_alu 0xfffd
	v_xor_b32_e32 v22, vcc_lo, v22
	v_mad_u32_u24 v24, v21, 36, v92
	v_mul_u32_u24_e32 v21, 36, v21
	v_and_b32_e32 v20, v20, v26
	s_wait_alu 0xf1ff
	v_xor_b32_e32 v23, s15, v23
	ds_load_b32 v129, v24 offset:1056
	v_add_nc_u32_e32 v131, v92, v21
	v_and_b32_e32 v20, v20, v22
	; wave barrier
	s_delay_alu instid0(VALU_DEP_1) | instskip(NEXT) | instid1(VALU_DEP_1)
	v_and_b32_e32 v20, v20, v23
	v_mbcnt_lo_u32_b32 v130, v20, 0
	v_cmp_ne_u32_e64 s15, 0, v20
	s_delay_alu instid0(VALU_DEP_2)
	v_cmp_eq_u32_e32 vcc_lo, 0, v130
	s_and_b32 s16, s15, vcc_lo
	s_wait_alu 0xfffe
	s_and_saveexec_b32 s15, s16
	s_cbranch_execz .LBB1877_435
; %bb.434:                              ;   in Loop: Header=BB1877_399 Depth=2
	s_wait_dscnt 0x0
	v_bcnt_u32_b32 v20, v20, v129
	ds_store_b32 v131, v20 offset:1056
.LBB1877_435:                           ;   in Loop: Header=BB1877_399 Depth=2
	s_wait_alu 0xfffe
	s_or_b32 exec_lo, exec_lo, s15
	; wave barrier
	s_wait_loadcnt_dscnt 0x0
	s_barrier_signal -1
	s_barrier_wait -1
	global_inv scope:SCOPE_SE
	ds_load_2addr_b32 v[26:27], v78 offset1:1
	ds_load_2addr_b32 v[24:25], v79 offset1:1
	;; [unrolled: 1-line block ×4, first 2 shown]
	ds_load_b32 v132, v43 offset:1088
	s_wait_dscnt 0x3
	v_add3_u32 v133, v27, v26, v24
	s_wait_dscnt 0x2
	s_delay_alu instid0(VALU_DEP_1) | instskip(SKIP_1) | instid1(VALU_DEP_1)
	v_add3_u32 v133, v133, v25, v22
	s_wait_dscnt 0x1
	v_add3_u32 v133, v133, v23, v20
	s_wait_dscnt 0x0
	s_delay_alu instid0(VALU_DEP_1) | instskip(NEXT) | instid1(VALU_DEP_1)
	v_add3_u32 v132, v133, v21, v132
	v_mov_b32_dpp v133, v132 row_shr:1 row_mask:0xf bank_mask:0xf
	s_delay_alu instid0(VALU_DEP_1) | instskip(NEXT) | instid1(VALU_DEP_1)
	v_cndmask_b32_e64 v133, v133, 0, s0
	v_add_nc_u32_e32 v132, v133, v132
	s_delay_alu instid0(VALU_DEP_1) | instskip(NEXT) | instid1(VALU_DEP_1)
	v_mov_b32_dpp v133, v132 row_shr:2 row_mask:0xf bank_mask:0xf
	v_cndmask_b32_e64 v133, 0, v133, s1
	s_delay_alu instid0(VALU_DEP_1) | instskip(NEXT) | instid1(VALU_DEP_1)
	v_add_nc_u32_e32 v132, v132, v133
	v_mov_b32_dpp v133, v132 row_shr:4 row_mask:0xf bank_mask:0xf
	s_delay_alu instid0(VALU_DEP_1) | instskip(NEXT) | instid1(VALU_DEP_1)
	v_cndmask_b32_e64 v133, 0, v133, s9
	v_add_nc_u32_e32 v132, v132, v133
	s_delay_alu instid0(VALU_DEP_1) | instskip(NEXT) | instid1(VALU_DEP_1)
	v_mov_b32_dpp v133, v132 row_shr:8 row_mask:0xf bank_mask:0xf
	v_cndmask_b32_e64 v133, 0, v133, s10
	s_delay_alu instid0(VALU_DEP_1) | instskip(SKIP_3) | instid1(VALU_DEP_1)
	v_add_nc_u32_e32 v132, v132, v133
	ds_swizzle_b32 v133, v132 offset:swizzle(BROADCAST,32,15)
	s_wait_dscnt 0x0
	v_cndmask_b32_e64 v133, v133, 0, s11
	v_add_nc_u32_e32 v132, v132, v133
	s_and_saveexec_b32 s15, s3
; %bb.436:                              ;   in Loop: Header=BB1877_399 Depth=2
	ds_store_b32 v38, v132 offset:1024
; %bb.437:                              ;   in Loop: Header=BB1877_399 Depth=2
	s_wait_alu 0xfffe
	s_or_b32 exec_lo, exec_lo, s15
	s_wait_loadcnt_dscnt 0x0
	s_barrier_signal -1
	s_barrier_wait -1
	global_inv scope:SCOPE_SE
	s_and_saveexec_b32 s15, s4
	s_cbranch_execz .LBB1877_439
; %bb.438:                              ;   in Loop: Header=BB1877_399 Depth=2
	ds_load_b32 v133, v46 offset:1024
	s_wait_dscnt 0x0
	v_mov_b32_dpp v134, v133 row_shr:1 row_mask:0xf bank_mask:0xf
	s_delay_alu instid0(VALU_DEP_1) | instskip(NEXT) | instid1(VALU_DEP_1)
	v_cndmask_b32_e64 v134, v134, 0, s12
	v_add_nc_u32_e32 v133, v134, v133
	s_delay_alu instid0(VALU_DEP_1) | instskip(NEXT) | instid1(VALU_DEP_1)
	v_mov_b32_dpp v134, v133 row_shr:2 row_mask:0xf bank_mask:0xf
	v_cndmask_b32_e64 v134, 0, v134, s13
	s_delay_alu instid0(VALU_DEP_1) | instskip(NEXT) | instid1(VALU_DEP_1)
	v_add_nc_u32_e32 v133, v133, v134
	v_mov_b32_dpp v134, v133 row_shr:4 row_mask:0xf bank_mask:0xf
	s_delay_alu instid0(VALU_DEP_1) | instskip(NEXT) | instid1(VALU_DEP_1)
	v_cndmask_b32_e64 v134, 0, v134, s14
	v_add_nc_u32_e32 v133, v133, v134
	ds_store_b32 v46, v133 offset:1024
.LBB1877_439:                           ;   in Loop: Header=BB1877_399 Depth=2
	s_wait_alu 0xfffe
	s_or_b32 exec_lo, exec_lo, s15
	v_mov_b32_e32 v133, 0
	s_wait_loadcnt_dscnt 0x0
	s_barrier_signal -1
	s_barrier_wait -1
	global_inv scope:SCOPE_SE
	s_and_saveexec_b32 s15, s5
; %bb.440:                              ;   in Loop: Header=BB1877_399 Depth=2
	ds_load_b32 v133, v38 offset:1020
; %bb.441:                              ;   in Loop: Header=BB1877_399 Depth=2
	s_wait_alu 0xfffe
	s_or_b32 exec_lo, exec_lo, s15
	s_wait_dscnt 0x0
	v_add_nc_u32_e32 v132, v133, v132
	ds_bpermute_b32 v132, v87, v132
	s_wait_dscnt 0x0
	v_cndmask_b32_e64 v132, v132, v133, s8
	s_delay_alu instid0(VALU_DEP_1) | instskip(NEXT) | instid1(VALU_DEP_1)
	v_cndmask_b32_e64 v132, v132, 0, s6
	v_add_nc_u32_e32 v26, v132, v26
	s_delay_alu instid0(VALU_DEP_1) | instskip(NEXT) | instid1(VALU_DEP_1)
	v_add_nc_u32_e32 v27, v26, v27
	v_add_nc_u32_e32 v24, v27, v24
	s_delay_alu instid0(VALU_DEP_1) | instskip(NEXT) | instid1(VALU_DEP_1)
	v_add_nc_u32_e32 v25, v24, v25
	;; [unrolled: 3-line block ×3, first 2 shown]
	v_add_nc_u32_e32 v20, v23, v20
	s_delay_alu instid0(VALU_DEP_1)
	v_add_nc_u32_e32 v21, v20, v21
	ds_store_2addr_b32 v81, v23, v20 offset1:1
	ds_store_2addr_b32 v78, v132, v26 offset1:1
	;; [unrolled: 1-line block ×4, first 2 shown]
	ds_store_b32 v43, v21 offset:1088
	s_wait_loadcnt_dscnt 0x0
	s_barrier_signal -1
	s_barrier_wait -1
	global_inv scope:SCOPE_SE
	ds_load_b32 v23, v104 offset:1056
	ds_load_b32 v24, v108 offset:1056
	;; [unrolled: 1-line block ×9, first 2 shown]
	v_mov_b32_e32 v22, 0x800
	s_and_saveexec_b32 s15, s7
; %bb.442:                              ;   in Loop: Header=BB1877_399 Depth=2
	ds_load_b32 v22, v43 offset:1092
; %bb.443:                              ;   in Loop: Header=BB1877_399 Depth=2
	s_wait_alu 0xfffe
	s_or_b32 exec_lo, exec_lo, s15
	s_wait_loadcnt_dscnt 0x0
	s_barrier_signal -1
	s_barrier_wait -1
	global_inv scope:SCOPE_SE
	s_and_saveexec_b32 s15, s2
	s_cbranch_execz .LBB1877_445
; %bb.444:                              ;   in Loop: Header=BB1877_399 Depth=2
	ds_load_b32 v108, v28
	s_wait_dscnt 0x0
	v_sub_nc_u32_e32 v104, v108, v104
	ds_store_b32 v28, v104
.LBB1877_445:                           ;   in Loop: Header=BB1877_399 Depth=2
	s_wait_alu 0xfffe
	s_or_b32 exec_lo, exec_lo, s15
	v_add_nc_u32_e32 v108, v23, v102
	v_add3_u32 v104, v106, v105, v24
	v_add3_u32 v102, v111, v109, v25
	v_add3_u32 v25, v115, v113, v26
	v_add3_u32 v24, v119, v117, v27
	v_lshlrev_b32_e32 v105, 1, v108
	v_lshlrev_b32_e32 v106, 1, v104
	v_add3_u32 v23, v123, v121, v112
	v_lshlrev_b32_e32 v109, 1, v102
	v_add3_u32 v27, v126, v125, v20
	v_add3_u32 v26, v130, v129, v21
	ds_store_b16 v105, v2 offset:1024
	ds_store_b16 v106, v103 offset:1024
	;; [unrolled: 1-line block ×3, first 2 shown]
	v_lshlrev_b32_e32 v2, 1, v25
	v_cmp_lt_u32_e32 vcc_lo, v1, v101
	v_lshlrev_b32_e32 v20, 1, v24
	v_lshlrev_b32_e32 v21, 1, v23
	;; [unrolled: 1-line block ×4, first 2 shown]
	ds_store_b16 v2, v110 offset:1024
	ds_store_b16 v20, v114 offset:1024
	;; [unrolled: 1-line block ×5, first 2 shown]
	s_wait_loadcnt_dscnt 0x0
	s_barrier_signal -1
	s_barrier_wait -1
	global_inv scope:SCOPE_SE
	s_and_saveexec_b32 s16, vcc_lo
	s_cbranch_execnz .LBB1877_482
; %bb.446:                              ;   in Loop: Header=BB1877_399 Depth=2
	s_wait_alu 0xfffe
	s_or_b32 exec_lo, exec_lo, s16
	v_cmp_lt_u32_e64 s15, v29, v101
	s_and_saveexec_b32 s17, s15
	s_cbranch_execnz .LBB1877_483
.LBB1877_447:                           ;   in Loop: Header=BB1877_399 Depth=2
	s_wait_alu 0xfffe
	s_or_b32 exec_lo, exec_lo, s17
	v_cmp_lt_u32_e64 s16, v30, v101
	s_and_saveexec_b32 s18, s16
	s_cbranch_execnz .LBB1877_484
.LBB1877_448:                           ;   in Loop: Header=BB1877_399 Depth=2
	s_wait_alu 0xfffe
	s_or_b32 exec_lo, exec_lo, s18
	v_cmp_lt_u32_e64 s17, v31, v101
	s_and_saveexec_b32 s19, s17
	s_cbranch_execnz .LBB1877_485
.LBB1877_449:                           ;   in Loop: Header=BB1877_399 Depth=2
	s_wait_alu 0xfffe
	s_or_b32 exec_lo, exec_lo, s19
	v_cmp_lt_u32_e64 s18, v34, v101
	s_and_saveexec_b32 s20, s18
	s_cbranch_execnz .LBB1877_486
.LBB1877_450:                           ;   in Loop: Header=BB1877_399 Depth=2
	s_wait_alu 0xfffe
	s_or_b32 exec_lo, exec_lo, s20
	v_cmp_lt_u32_e64 s19, v35, v101
	s_and_saveexec_b32 s21, s19
	s_cbranch_execnz .LBB1877_487
.LBB1877_451:                           ;   in Loop: Header=BB1877_399 Depth=2
	s_wait_alu 0xfffe
	s_or_b32 exec_lo, exec_lo, s21
	v_cmp_lt_u32_e64 s20, v36, v101
	s_and_saveexec_b32 s22, s20
	s_cbranch_execnz .LBB1877_488
.LBB1877_452:                           ;   in Loop: Header=BB1877_399 Depth=2
	s_wait_alu 0xfffe
	s_or_b32 exec_lo, exec_lo, s22
	v_cmp_lt_u32_e64 s21, v37, v101
	s_and_saveexec_b32 s48, s21
	s_cbranch_execz .LBB1877_454
.LBB1877_453:                           ;   in Loop: Header=BB1877_399 Depth=2
	ds_load_u16 v103, v47 offset:4608
	s_wait_dscnt 0x0
	v_cmp_ne_u16_e64 s22, 0x7fff, v103
	s_wait_alu 0xf1ff
	s_delay_alu instid0(VALU_DEP_1) | instskip(SKIP_1) | instid1(VALU_DEP_2)
	v_cndmask_b32_e64 v2, 0xffff8000, v103, s22
	v_cmp_lt_i16_e64 s22, -1, v103
	v_and_b32_e32 v2, 0xffff, v2
	s_wait_alu 0xf1ff
	s_delay_alu instid0(VALU_DEP_2) | instskip(NEXT) | instid1(VALU_DEP_2)
	v_cndmask_b32_e64 v105, 0xffff8000, -1, s22
	v_lshrrev_b32_e32 v2, s45, v2
	s_delay_alu instid0(VALU_DEP_1) | instskip(NEXT) | instid1(VALU_DEP_1)
	v_and_b32_e32 v2, s42, v2
	v_lshlrev_b32_e32 v2, 2, v2
	ds_load_b32 v2, v2
	s_wait_dscnt 0x0
	v_add_nc_u32_e32 v2, v2, v37
	s_delay_alu instid0(VALU_DEP_1) | instskip(SKIP_1) | instid1(VALU_DEP_2)
	v_lshlrev_b64_e32 v[20:21], 1, v[2:3]
	v_xor_b32_e32 v2, v105, v103
	v_add_co_u32 v20, s22, s38, v20
	s_wait_alu 0xf1ff
	s_delay_alu instid0(VALU_DEP_3)
	v_add_co_ci_u32_e64 v21, null, s39, v21, s22
	global_store_b16 v[20:21], v2, off
.LBB1877_454:                           ;   in Loop: Header=BB1877_399 Depth=2
	s_wait_alu 0xfffe
	s_or_b32 exec_lo, exec_lo, s48
	s_lshl_b64 s[48:49], s[30:31], 3
	s_wait_alu 0xfffe
	v_add_co_u32 v20, s22, v88, s48
	s_wait_alu 0xf1ff
	v_add_co_ci_u32_e64 v21, null, s49, v89, s22
	v_cmp_lt_u32_e64 s22, v66, v101
	s_and_saveexec_b32 s30, s22
	s_wait_alu 0xfffe
	s_xor_b32 s22, exec_lo, s30
	s_cbranch_execnz .LBB1877_489
; %bb.455:                              ;   in Loop: Header=BB1877_399 Depth=2
	s_wait_alu 0xfffe
	s_or_b32 exec_lo, exec_lo, s22
	s_delay_alu instid0(SALU_CYCLE_1)
	s_mov_b32 s30, exec_lo
	v_cmpx_lt_u32_e64 v70, v101
	s_cbranch_execnz .LBB1877_490
.LBB1877_456:                           ;   in Loop: Header=BB1877_399 Depth=2
	s_wait_alu 0xfffe
	s_or_b32 exec_lo, exec_lo, s30
	s_delay_alu instid0(SALU_CYCLE_1)
	s_mov_b32 s30, exec_lo
	v_cmpx_lt_u32_e64 v71, v101
	s_cbranch_execnz .LBB1877_491
.LBB1877_457:                           ;   in Loop: Header=BB1877_399 Depth=2
	s_wait_alu 0xfffe
	s_or_b32 exec_lo, exec_lo, s30
	s_delay_alu instid0(SALU_CYCLE_1)
	s_mov_b32 s30, exec_lo
	v_cmpx_lt_u32_e64 v72, v101
	s_cbranch_execnz .LBB1877_492
.LBB1877_458:                           ;   in Loop: Header=BB1877_399 Depth=2
	s_wait_alu 0xfffe
	s_or_b32 exec_lo, exec_lo, s30
	s_delay_alu instid0(SALU_CYCLE_1)
	s_mov_b32 s30, exec_lo
	v_cmpx_lt_u32_e64 v73, v101
	s_cbranch_execnz .LBB1877_493
.LBB1877_459:                           ;   in Loop: Header=BB1877_399 Depth=2
	s_wait_alu 0xfffe
	s_or_b32 exec_lo, exec_lo, s30
	s_delay_alu instid0(SALU_CYCLE_1)
	s_mov_b32 s30, exec_lo
	v_cmpx_lt_u32_e64 v74, v101
	s_cbranch_execnz .LBB1877_494
.LBB1877_460:                           ;   in Loop: Header=BB1877_399 Depth=2
	s_wait_alu 0xfffe
	s_or_b32 exec_lo, exec_lo, s30
	s_delay_alu instid0(SALU_CYCLE_1)
	s_mov_b32 s30, exec_lo
	v_cmpx_lt_u32_e64 v75, v101
	s_cbranch_execnz .LBB1877_495
.LBB1877_461:                           ;   in Loop: Header=BB1877_399 Depth=2
	s_wait_alu 0xfffe
	s_or_b32 exec_lo, exec_lo, s30
	s_delay_alu instid0(SALU_CYCLE_1)
	s_mov_b32 s30, exec_lo
	v_cmpx_lt_u32_e64 v76, v101
	s_cbranch_execnz .LBB1877_496
.LBB1877_462:                           ;   in Loop: Header=BB1877_399 Depth=2
	s_wait_alu 0xfffe
	s_or_b32 exec_lo, exec_lo, s30
	s_and_saveexec_b32 s30, vcc_lo
	s_cbranch_execnz .LBB1877_497
.LBB1877_463:                           ;   in Loop: Header=BB1877_399 Depth=2
	s_wait_alu 0xfffe
	s_or_b32 exec_lo, exec_lo, s30
	s_and_saveexec_b32 s30, s15
	s_cbranch_execnz .LBB1877_498
.LBB1877_464:                           ;   in Loop: Header=BB1877_399 Depth=2
	s_wait_alu 0xfffe
	s_or_b32 exec_lo, exec_lo, s30
	s_and_saveexec_b32 s30, s16
	s_cbranch_execnz .LBB1877_499
.LBB1877_465:                           ;   in Loop: Header=BB1877_399 Depth=2
	s_wait_alu 0xfffe
	s_or_b32 exec_lo, exec_lo, s30
	s_and_saveexec_b32 s30, s17
	s_cbranch_execnz .LBB1877_500
.LBB1877_466:                           ;   in Loop: Header=BB1877_399 Depth=2
	s_wait_alu 0xfffe
	s_or_b32 exec_lo, exec_lo, s30
	s_and_saveexec_b32 s30, s18
	s_cbranch_execnz .LBB1877_501
.LBB1877_467:                           ;   in Loop: Header=BB1877_399 Depth=2
	s_wait_alu 0xfffe
	s_or_b32 exec_lo, exec_lo, s30
	s_and_saveexec_b32 s30, s19
	s_cbranch_execnz .LBB1877_502
.LBB1877_468:                           ;   in Loop: Header=BB1877_399 Depth=2
	s_wait_alu 0xfffe
	s_or_b32 exec_lo, exec_lo, s30
	s_and_saveexec_b32 s30, s20
	s_cbranch_execnz .LBB1877_503
.LBB1877_469:                           ;   in Loop: Header=BB1877_399 Depth=2
	s_wait_alu 0xfffe
	s_or_b32 exec_lo, exec_lo, s30
	s_and_saveexec_b32 s30, s21
	s_cbranch_execz .LBB1877_471
.LBB1877_470:                           ;   in Loop: Header=BB1877_399 Depth=2
	ds_load_u16 v2, v47 offset:4608
	s_wait_dscnt 0x0
	v_cmp_ne_u16_e64 s22, 0x7fff, v2
	s_wait_alu 0xf1ff
	s_delay_alu instid0(VALU_DEP_1) | instskip(NEXT) | instid1(VALU_DEP_1)
	v_cndmask_b32_e64 v2, 0xffff8000, v2, s22
	v_and_b32_e32 v2, 0xffff, v2
	s_delay_alu instid0(VALU_DEP_1) | instskip(NEXT) | instid1(VALU_DEP_1)
	v_lshrrev_b32_e32 v2, s45, v2
	v_and_b32_e32 v93, s42, v2
.LBB1877_471:                           ;   in Loop: Header=BB1877_399 Depth=2
	s_wait_alu 0xfffe
	s_or_b32 exec_lo, exec_lo, s30
	v_lshlrev_b32_e32 v2, 3, v108
	v_lshlrev_b32_e32 v20, 3, v104
	;; [unrolled: 1-line block ×3, first 2 shown]
	s_wait_loadcnt 0x0
	s_wait_storecnt 0x0
	s_barrier_signal -1
	s_barrier_wait -1
	global_inv scope:SCOPE_SE
	ds_store_b64 v2, v[18:19] offset:1024
	ds_store_b64 v20, v[16:17] offset:1024
	;; [unrolled: 1-line block ×3, first 2 shown]
	v_lshlrev_b32_e32 v2, 3, v25
	v_lshlrev_b32_e32 v20, 3, v24
	;; [unrolled: 1-line block ×5, first 2 shown]
	ds_store_b64 v2, v[12:13] offset:1024
	ds_store_b64 v20, v[10:11] offset:1024
	;; [unrolled: 1-line block ×5, first 2 shown]
	s_wait_loadcnt_dscnt 0x0
	s_barrier_signal -1
	s_barrier_wait -1
	global_inv scope:SCOPE_SE
	s_and_saveexec_b32 s22, vcc_lo
	s_cbranch_execnz .LBB1877_504
; %bb.472:                              ;   in Loop: Header=BB1877_399 Depth=2
	s_wait_alu 0xfffe
	s_or_b32 exec_lo, exec_lo, s22
	s_and_saveexec_b32 s22, s15
	s_cbranch_execnz .LBB1877_505
.LBB1877_473:                           ;   in Loop: Header=BB1877_399 Depth=2
	s_wait_alu 0xfffe
	s_or_b32 exec_lo, exec_lo, s22
	s_and_saveexec_b32 s15, s16
	s_cbranch_execnz .LBB1877_506
.LBB1877_474:                           ;   in Loop: Header=BB1877_399 Depth=2
	s_wait_alu 0xfffe
	s_or_b32 exec_lo, exec_lo, s15
	s_and_saveexec_b32 s15, s17
	s_cbranch_execnz .LBB1877_507
.LBB1877_475:                           ;   in Loop: Header=BB1877_399 Depth=2
	s_wait_alu 0xfffe
	s_or_b32 exec_lo, exec_lo, s15
	s_and_saveexec_b32 s15, s18
	s_cbranch_execnz .LBB1877_508
.LBB1877_476:                           ;   in Loop: Header=BB1877_399 Depth=2
	s_wait_alu 0xfffe
	s_or_b32 exec_lo, exec_lo, s15
	s_and_saveexec_b32 s15, s19
	s_cbranch_execnz .LBB1877_509
.LBB1877_477:                           ;   in Loop: Header=BB1877_399 Depth=2
	s_wait_alu 0xfffe
	s_or_b32 exec_lo, exec_lo, s15
	s_and_saveexec_b32 s15, s20
	s_cbranch_execnz .LBB1877_510
.LBB1877_478:                           ;   in Loop: Header=BB1877_399 Depth=2
	s_wait_alu 0xfffe
	s_or_b32 exec_lo, exec_lo, s15
	s_and_saveexec_b32 s15, s21
	s_cbranch_execz .LBB1877_480
.LBB1877_479:                           ;   in Loop: Header=BB1877_399 Depth=2
	v_lshlrev_b32_e32 v2, 2, v93
	v_add_nc_u32_e32 v20, v47, v48
	ds_load_b32 v2, v2
	ds_load_b64 v[20:21], v20 offset:15360
	s_wait_dscnt 0x1
	v_add_nc_u32_e32 v2, v2, v37
	s_delay_alu instid0(VALU_DEP_1) | instskip(NEXT) | instid1(VALU_DEP_1)
	v_lshlrev_b64_e32 v[23:24], 3, v[2:3]
	v_add_co_u32 v23, vcc_lo, s24, v23
	s_wait_alu 0xfffd
	s_delay_alu instid0(VALU_DEP_2)
	v_add_co_ci_u32_e64 v24, null, s25, v24, vcc_lo
	s_wait_dscnt 0x0
	global_store_b64 v[23:24], v[20:21], off
.LBB1877_480:                           ;   in Loop: Header=BB1877_399 Depth=2
	s_wait_alu 0xfffe
	s_or_b32 exec_lo, exec_lo, s15
	s_wait_loadcnt 0x0
	s_wait_storecnt 0x0
	s_barrier_signal -1
	s_barrier_wait -1
	global_inv scope:SCOPE_SE
	s_and_saveexec_b32 s15, s2
	s_cbranch_execz .LBB1877_398
; %bb.481:                              ;   in Loop: Header=BB1877_399 Depth=2
	ds_load_b32 v2, v28
	s_wait_dscnt 0x0
	v_add_nc_u32_e32 v2, v2, v22
	ds_store_b32 v28, v2
	s_branch .LBB1877_398
.LBB1877_482:                           ;   in Loop: Header=BB1877_399 Depth=2
	ds_load_u16 v103, v47 offset:1024
	s_wait_dscnt 0x0
	v_cmp_ne_u16_e64 s15, 0x7fff, v103
	s_wait_alu 0xf1ff
	s_delay_alu instid0(VALU_DEP_1) | instskip(SKIP_1) | instid1(VALU_DEP_2)
	v_cndmask_b32_e64 v2, 0xffff8000, v103, s15
	v_cmp_lt_i16_e64 s15, -1, v103
	v_and_b32_e32 v2, 0xffff, v2
	s_wait_alu 0xf1ff
	s_delay_alu instid0(VALU_DEP_2) | instskip(NEXT) | instid1(VALU_DEP_2)
	v_cndmask_b32_e64 v105, 0xffff8000, -1, s15
	v_lshrrev_b32_e32 v2, s45, v2
	s_delay_alu instid0(VALU_DEP_1) | instskip(NEXT) | instid1(VALU_DEP_1)
	v_and_b32_e32 v2, s42, v2
	v_lshlrev_b32_e32 v2, 2, v2
	ds_load_b32 v2, v2
	s_wait_dscnt 0x0
	v_add_nc_u32_e32 v2, v2, v1
	s_delay_alu instid0(VALU_DEP_1) | instskip(SKIP_1) | instid1(VALU_DEP_2)
	v_lshlrev_b64_e32 v[20:21], 1, v[2:3]
	v_xor_b32_e32 v2, v105, v103
	v_add_co_u32 v20, s15, s38, v20
	s_wait_alu 0xf1ff
	s_delay_alu instid0(VALU_DEP_3)
	v_add_co_ci_u32_e64 v21, null, s39, v21, s15
	global_store_b16 v[20:21], v2, off
	s_wait_alu 0xfffe
	s_or_b32 exec_lo, exec_lo, s16
	v_cmp_lt_u32_e64 s15, v29, v101
	s_and_saveexec_b32 s17, s15
	s_cbranch_execz .LBB1877_447
.LBB1877_483:                           ;   in Loop: Header=BB1877_399 Depth=2
	ds_load_u16 v103, v47 offset:1536
	s_wait_dscnt 0x0
	v_cmp_ne_u16_e64 s16, 0x7fff, v103
	s_wait_alu 0xf1ff
	s_delay_alu instid0(VALU_DEP_1) | instskip(SKIP_1) | instid1(VALU_DEP_2)
	v_cndmask_b32_e64 v2, 0xffff8000, v103, s16
	v_cmp_lt_i16_e64 s16, -1, v103
	v_and_b32_e32 v2, 0xffff, v2
	s_wait_alu 0xf1ff
	s_delay_alu instid0(VALU_DEP_2) | instskip(NEXT) | instid1(VALU_DEP_2)
	v_cndmask_b32_e64 v105, 0xffff8000, -1, s16
	v_lshrrev_b32_e32 v2, s45, v2
	s_delay_alu instid0(VALU_DEP_1) | instskip(NEXT) | instid1(VALU_DEP_1)
	v_and_b32_e32 v2, s42, v2
	v_lshlrev_b32_e32 v2, 2, v2
	ds_load_b32 v2, v2
	s_wait_dscnt 0x0
	v_add_nc_u32_e32 v2, v2, v29
	s_delay_alu instid0(VALU_DEP_1) | instskip(SKIP_1) | instid1(VALU_DEP_2)
	v_lshlrev_b64_e32 v[20:21], 1, v[2:3]
	v_xor_b32_e32 v2, v105, v103
	v_add_co_u32 v20, s16, s38, v20
	s_wait_alu 0xf1ff
	s_delay_alu instid0(VALU_DEP_3)
	v_add_co_ci_u32_e64 v21, null, s39, v21, s16
	global_store_b16 v[20:21], v2, off
	s_wait_alu 0xfffe
	s_or_b32 exec_lo, exec_lo, s17
	v_cmp_lt_u32_e64 s16, v30, v101
	s_and_saveexec_b32 s18, s16
	s_cbranch_execz .LBB1877_448
.LBB1877_484:                           ;   in Loop: Header=BB1877_399 Depth=2
	ds_load_u16 v103, v47 offset:2048
	s_wait_dscnt 0x0
	v_cmp_ne_u16_e64 s17, 0x7fff, v103
	s_wait_alu 0xf1ff
	s_delay_alu instid0(VALU_DEP_1) | instskip(SKIP_1) | instid1(VALU_DEP_2)
	v_cndmask_b32_e64 v2, 0xffff8000, v103, s17
	v_cmp_lt_i16_e64 s17, -1, v103
	v_and_b32_e32 v2, 0xffff, v2
	s_wait_alu 0xf1ff
	s_delay_alu instid0(VALU_DEP_2) | instskip(NEXT) | instid1(VALU_DEP_2)
	v_cndmask_b32_e64 v105, 0xffff8000, -1, s17
	v_lshrrev_b32_e32 v2, s45, v2
	s_delay_alu instid0(VALU_DEP_1) | instskip(NEXT) | instid1(VALU_DEP_1)
	v_and_b32_e32 v2, s42, v2
	v_lshlrev_b32_e32 v2, 2, v2
	ds_load_b32 v2, v2
	s_wait_dscnt 0x0
	v_add_nc_u32_e32 v2, v2, v30
	s_delay_alu instid0(VALU_DEP_1) | instskip(SKIP_1) | instid1(VALU_DEP_2)
	v_lshlrev_b64_e32 v[20:21], 1, v[2:3]
	v_xor_b32_e32 v2, v105, v103
	v_add_co_u32 v20, s17, s38, v20
	s_wait_alu 0xf1ff
	s_delay_alu instid0(VALU_DEP_3)
	v_add_co_ci_u32_e64 v21, null, s39, v21, s17
	global_store_b16 v[20:21], v2, off
	s_wait_alu 0xfffe
	s_or_b32 exec_lo, exec_lo, s18
	v_cmp_lt_u32_e64 s17, v31, v101
	s_and_saveexec_b32 s19, s17
	s_cbranch_execz .LBB1877_449
.LBB1877_485:                           ;   in Loop: Header=BB1877_399 Depth=2
	ds_load_u16 v103, v47 offset:2560
	s_wait_dscnt 0x0
	v_cmp_ne_u16_e64 s18, 0x7fff, v103
	s_wait_alu 0xf1ff
	s_delay_alu instid0(VALU_DEP_1) | instskip(SKIP_1) | instid1(VALU_DEP_2)
	v_cndmask_b32_e64 v2, 0xffff8000, v103, s18
	v_cmp_lt_i16_e64 s18, -1, v103
	v_and_b32_e32 v2, 0xffff, v2
	s_wait_alu 0xf1ff
	s_delay_alu instid0(VALU_DEP_2) | instskip(NEXT) | instid1(VALU_DEP_2)
	v_cndmask_b32_e64 v105, 0xffff8000, -1, s18
	v_lshrrev_b32_e32 v2, s45, v2
	s_delay_alu instid0(VALU_DEP_1) | instskip(NEXT) | instid1(VALU_DEP_1)
	v_and_b32_e32 v2, s42, v2
	v_lshlrev_b32_e32 v2, 2, v2
	ds_load_b32 v2, v2
	s_wait_dscnt 0x0
	v_add_nc_u32_e32 v2, v2, v31
	s_delay_alu instid0(VALU_DEP_1) | instskip(SKIP_1) | instid1(VALU_DEP_2)
	v_lshlrev_b64_e32 v[20:21], 1, v[2:3]
	v_xor_b32_e32 v2, v105, v103
	v_add_co_u32 v20, s18, s38, v20
	s_wait_alu 0xf1ff
	s_delay_alu instid0(VALU_DEP_3)
	v_add_co_ci_u32_e64 v21, null, s39, v21, s18
	global_store_b16 v[20:21], v2, off
	s_wait_alu 0xfffe
	s_or_b32 exec_lo, exec_lo, s19
	v_cmp_lt_u32_e64 s18, v34, v101
	s_and_saveexec_b32 s20, s18
	s_cbranch_execz .LBB1877_450
.LBB1877_486:                           ;   in Loop: Header=BB1877_399 Depth=2
	ds_load_u16 v103, v47 offset:3072
	s_wait_dscnt 0x0
	v_cmp_ne_u16_e64 s19, 0x7fff, v103
	s_wait_alu 0xf1ff
	s_delay_alu instid0(VALU_DEP_1) | instskip(SKIP_1) | instid1(VALU_DEP_2)
	v_cndmask_b32_e64 v2, 0xffff8000, v103, s19
	v_cmp_lt_i16_e64 s19, -1, v103
	v_and_b32_e32 v2, 0xffff, v2
	s_wait_alu 0xf1ff
	s_delay_alu instid0(VALU_DEP_2) | instskip(NEXT) | instid1(VALU_DEP_2)
	v_cndmask_b32_e64 v105, 0xffff8000, -1, s19
	v_lshrrev_b32_e32 v2, s45, v2
	s_delay_alu instid0(VALU_DEP_1) | instskip(NEXT) | instid1(VALU_DEP_1)
	v_and_b32_e32 v2, s42, v2
	v_lshlrev_b32_e32 v2, 2, v2
	ds_load_b32 v2, v2
	s_wait_dscnt 0x0
	v_add_nc_u32_e32 v2, v2, v34
	s_delay_alu instid0(VALU_DEP_1) | instskip(SKIP_1) | instid1(VALU_DEP_2)
	v_lshlrev_b64_e32 v[20:21], 1, v[2:3]
	v_xor_b32_e32 v2, v105, v103
	v_add_co_u32 v20, s19, s38, v20
	s_wait_alu 0xf1ff
	s_delay_alu instid0(VALU_DEP_3)
	v_add_co_ci_u32_e64 v21, null, s39, v21, s19
	global_store_b16 v[20:21], v2, off
	s_wait_alu 0xfffe
	s_or_b32 exec_lo, exec_lo, s20
	v_cmp_lt_u32_e64 s19, v35, v101
	s_and_saveexec_b32 s21, s19
	s_cbranch_execz .LBB1877_451
.LBB1877_487:                           ;   in Loop: Header=BB1877_399 Depth=2
	ds_load_u16 v103, v47 offset:3584
	s_wait_dscnt 0x0
	v_cmp_ne_u16_e64 s20, 0x7fff, v103
	s_wait_alu 0xf1ff
	s_delay_alu instid0(VALU_DEP_1) | instskip(SKIP_1) | instid1(VALU_DEP_2)
	v_cndmask_b32_e64 v2, 0xffff8000, v103, s20
	v_cmp_lt_i16_e64 s20, -1, v103
	v_and_b32_e32 v2, 0xffff, v2
	s_wait_alu 0xf1ff
	s_delay_alu instid0(VALU_DEP_2) | instskip(NEXT) | instid1(VALU_DEP_2)
	v_cndmask_b32_e64 v105, 0xffff8000, -1, s20
	v_lshrrev_b32_e32 v2, s45, v2
	s_delay_alu instid0(VALU_DEP_1) | instskip(NEXT) | instid1(VALU_DEP_1)
	v_and_b32_e32 v2, s42, v2
	v_lshlrev_b32_e32 v2, 2, v2
	ds_load_b32 v2, v2
	s_wait_dscnt 0x0
	v_add_nc_u32_e32 v2, v2, v35
	s_delay_alu instid0(VALU_DEP_1) | instskip(SKIP_1) | instid1(VALU_DEP_2)
	v_lshlrev_b64_e32 v[20:21], 1, v[2:3]
	v_xor_b32_e32 v2, v105, v103
	v_add_co_u32 v20, s20, s38, v20
	s_wait_alu 0xf1ff
	s_delay_alu instid0(VALU_DEP_3)
	v_add_co_ci_u32_e64 v21, null, s39, v21, s20
	global_store_b16 v[20:21], v2, off
	s_wait_alu 0xfffe
	s_or_b32 exec_lo, exec_lo, s21
	v_cmp_lt_u32_e64 s20, v36, v101
	s_and_saveexec_b32 s22, s20
	s_cbranch_execz .LBB1877_452
.LBB1877_488:                           ;   in Loop: Header=BB1877_399 Depth=2
	ds_load_u16 v103, v47 offset:4096
	s_wait_dscnt 0x0
	v_cmp_ne_u16_e64 s21, 0x7fff, v103
	s_wait_alu 0xf1ff
	s_delay_alu instid0(VALU_DEP_1) | instskip(SKIP_1) | instid1(VALU_DEP_2)
	v_cndmask_b32_e64 v2, 0xffff8000, v103, s21
	v_cmp_lt_i16_e64 s21, -1, v103
	v_and_b32_e32 v2, 0xffff, v2
	s_wait_alu 0xf1ff
	s_delay_alu instid0(VALU_DEP_2) | instskip(NEXT) | instid1(VALU_DEP_2)
	v_cndmask_b32_e64 v105, 0xffff8000, -1, s21
	v_lshrrev_b32_e32 v2, s45, v2
	s_delay_alu instid0(VALU_DEP_1) | instskip(NEXT) | instid1(VALU_DEP_1)
	v_and_b32_e32 v2, s42, v2
	v_lshlrev_b32_e32 v2, 2, v2
	ds_load_b32 v2, v2
	s_wait_dscnt 0x0
	v_add_nc_u32_e32 v2, v2, v36
	s_delay_alu instid0(VALU_DEP_1) | instskip(SKIP_1) | instid1(VALU_DEP_2)
	v_lshlrev_b64_e32 v[20:21], 1, v[2:3]
	v_xor_b32_e32 v2, v105, v103
	v_add_co_u32 v20, s21, s38, v20
	s_wait_alu 0xf1ff
	s_delay_alu instid0(VALU_DEP_3)
	v_add_co_ci_u32_e64 v21, null, s39, v21, s21
	global_store_b16 v[20:21], v2, off
	s_wait_alu 0xfffe
	s_or_b32 exec_lo, exec_lo, s22
	v_cmp_lt_u32_e64 s21, v37, v101
	s_and_saveexec_b32 s48, s21
	s_cbranch_execnz .LBB1877_453
	s_branch .LBB1877_454
.LBB1877_489:                           ;   in Loop: Header=BB1877_399 Depth=2
	global_load_b64 v[18:19], v[20:21], off
	s_wait_alu 0xfffe
	s_or_b32 exec_lo, exec_lo, s22
	s_delay_alu instid0(SALU_CYCLE_1)
	s_mov_b32 s30, exec_lo
	v_cmpx_lt_u32_e64 v70, v101
	s_cbranch_execz .LBB1877_456
.LBB1877_490:                           ;   in Loop: Header=BB1877_399 Depth=2
	global_load_b64 v[16:17], v[20:21], off offset:256
	s_wait_alu 0xfffe
	s_or_b32 exec_lo, exec_lo, s30
	s_delay_alu instid0(SALU_CYCLE_1)
	s_mov_b32 s30, exec_lo
	v_cmpx_lt_u32_e64 v71, v101
	s_cbranch_execz .LBB1877_457
.LBB1877_491:                           ;   in Loop: Header=BB1877_399 Depth=2
	global_load_b64 v[14:15], v[20:21], off offset:512
	s_wait_alu 0xfffe
	s_or_b32 exec_lo, exec_lo, s30
	s_delay_alu instid0(SALU_CYCLE_1)
	s_mov_b32 s30, exec_lo
	v_cmpx_lt_u32_e64 v72, v101
	s_cbranch_execz .LBB1877_458
.LBB1877_492:                           ;   in Loop: Header=BB1877_399 Depth=2
	global_load_b64 v[12:13], v[20:21], off offset:768
	s_wait_alu 0xfffe
	s_or_b32 exec_lo, exec_lo, s30
	s_delay_alu instid0(SALU_CYCLE_1)
	s_mov_b32 s30, exec_lo
	v_cmpx_lt_u32_e64 v73, v101
	s_cbranch_execz .LBB1877_459
.LBB1877_493:                           ;   in Loop: Header=BB1877_399 Depth=2
	global_load_b64 v[10:11], v[20:21], off offset:1024
	s_wait_alu 0xfffe
	s_or_b32 exec_lo, exec_lo, s30
	s_delay_alu instid0(SALU_CYCLE_1)
	s_mov_b32 s30, exec_lo
	v_cmpx_lt_u32_e64 v74, v101
	s_cbranch_execz .LBB1877_460
.LBB1877_494:                           ;   in Loop: Header=BB1877_399 Depth=2
	global_load_b64 v[8:9], v[20:21], off offset:1280
	s_wait_alu 0xfffe
	s_or_b32 exec_lo, exec_lo, s30
	s_delay_alu instid0(SALU_CYCLE_1)
	s_mov_b32 s30, exec_lo
	v_cmpx_lt_u32_e64 v75, v101
	s_cbranch_execz .LBB1877_461
.LBB1877_495:                           ;   in Loop: Header=BB1877_399 Depth=2
	global_load_b64 v[6:7], v[20:21], off offset:1536
	s_wait_alu 0xfffe
	s_or_b32 exec_lo, exec_lo, s30
	s_delay_alu instid0(SALU_CYCLE_1)
	s_mov_b32 s30, exec_lo
	v_cmpx_lt_u32_e64 v76, v101
	s_cbranch_execz .LBB1877_462
.LBB1877_496:                           ;   in Loop: Header=BB1877_399 Depth=2
	global_load_b64 v[4:5], v[20:21], off offset:1792
	s_wait_alu 0xfffe
	s_or_b32 exec_lo, exec_lo, s30
	s_and_saveexec_b32 s30, vcc_lo
	s_cbranch_execz .LBB1877_463
.LBB1877_497:                           ;   in Loop: Header=BB1877_399 Depth=2
	ds_load_u16 v2, v47 offset:1024
	s_wait_dscnt 0x0
	v_cmp_ne_u16_e64 s22, 0x7fff, v2
	s_wait_alu 0xf1ff
	s_delay_alu instid0(VALU_DEP_1) | instskip(NEXT) | instid1(VALU_DEP_1)
	v_cndmask_b32_e64 v2, 0xffff8000, v2, s22
	v_and_b32_e32 v2, 0xffff, v2
	s_delay_alu instid0(VALU_DEP_1) | instskip(NEXT) | instid1(VALU_DEP_1)
	v_lshrrev_b32_e32 v2, s45, v2
	v_and_b32_e32 v100, s42, v2
	s_wait_alu 0xfffe
	s_or_b32 exec_lo, exec_lo, s30
	s_and_saveexec_b32 s30, s15
	s_cbranch_execz .LBB1877_464
.LBB1877_498:                           ;   in Loop: Header=BB1877_399 Depth=2
	ds_load_u16 v2, v47 offset:1536
	s_wait_dscnt 0x0
	v_cmp_ne_u16_e64 s22, 0x7fff, v2
	s_wait_alu 0xf1ff
	s_delay_alu instid0(VALU_DEP_1) | instskip(NEXT) | instid1(VALU_DEP_1)
	v_cndmask_b32_e64 v2, 0xffff8000, v2, s22
	v_and_b32_e32 v2, 0xffff, v2
	s_delay_alu instid0(VALU_DEP_1) | instskip(NEXT) | instid1(VALU_DEP_1)
	v_lshrrev_b32_e32 v2, s45, v2
	v_and_b32_e32 v99, s42, v2
	s_wait_alu 0xfffe
	s_or_b32 exec_lo, exec_lo, s30
	s_and_saveexec_b32 s30, s16
	s_cbranch_execz .LBB1877_465
.LBB1877_499:                           ;   in Loop: Header=BB1877_399 Depth=2
	ds_load_u16 v2, v47 offset:2048
	s_wait_dscnt 0x0
	v_cmp_ne_u16_e64 s22, 0x7fff, v2
	s_wait_alu 0xf1ff
	s_delay_alu instid0(VALU_DEP_1) | instskip(NEXT) | instid1(VALU_DEP_1)
	v_cndmask_b32_e64 v2, 0xffff8000, v2, s22
	v_and_b32_e32 v2, 0xffff, v2
	s_delay_alu instid0(VALU_DEP_1) | instskip(NEXT) | instid1(VALU_DEP_1)
	v_lshrrev_b32_e32 v2, s45, v2
	v_and_b32_e32 v98, s42, v2
	s_wait_alu 0xfffe
	s_or_b32 exec_lo, exec_lo, s30
	s_and_saveexec_b32 s30, s17
	s_cbranch_execz .LBB1877_466
.LBB1877_500:                           ;   in Loop: Header=BB1877_399 Depth=2
	ds_load_u16 v2, v47 offset:2560
	s_wait_dscnt 0x0
	v_cmp_ne_u16_e64 s22, 0x7fff, v2
	s_wait_alu 0xf1ff
	s_delay_alu instid0(VALU_DEP_1) | instskip(NEXT) | instid1(VALU_DEP_1)
	v_cndmask_b32_e64 v2, 0xffff8000, v2, s22
	v_and_b32_e32 v2, 0xffff, v2
	s_delay_alu instid0(VALU_DEP_1) | instskip(NEXT) | instid1(VALU_DEP_1)
	v_lshrrev_b32_e32 v2, s45, v2
	v_and_b32_e32 v97, s42, v2
	s_wait_alu 0xfffe
	s_or_b32 exec_lo, exec_lo, s30
	s_and_saveexec_b32 s30, s18
	s_cbranch_execz .LBB1877_467
.LBB1877_501:                           ;   in Loop: Header=BB1877_399 Depth=2
	ds_load_u16 v2, v47 offset:3072
	s_wait_dscnt 0x0
	v_cmp_ne_u16_e64 s22, 0x7fff, v2
	s_wait_alu 0xf1ff
	s_delay_alu instid0(VALU_DEP_1) | instskip(NEXT) | instid1(VALU_DEP_1)
	v_cndmask_b32_e64 v2, 0xffff8000, v2, s22
	v_and_b32_e32 v2, 0xffff, v2
	s_delay_alu instid0(VALU_DEP_1) | instskip(NEXT) | instid1(VALU_DEP_1)
	v_lshrrev_b32_e32 v2, s45, v2
	v_and_b32_e32 v96, s42, v2
	s_wait_alu 0xfffe
	s_or_b32 exec_lo, exec_lo, s30
	s_and_saveexec_b32 s30, s19
	s_cbranch_execz .LBB1877_468
.LBB1877_502:                           ;   in Loop: Header=BB1877_399 Depth=2
	ds_load_u16 v2, v47 offset:3584
	s_wait_dscnt 0x0
	v_cmp_ne_u16_e64 s22, 0x7fff, v2
	s_wait_alu 0xf1ff
	s_delay_alu instid0(VALU_DEP_1) | instskip(NEXT) | instid1(VALU_DEP_1)
	v_cndmask_b32_e64 v2, 0xffff8000, v2, s22
	v_and_b32_e32 v2, 0xffff, v2
	s_delay_alu instid0(VALU_DEP_1) | instskip(NEXT) | instid1(VALU_DEP_1)
	v_lshrrev_b32_e32 v2, s45, v2
	v_and_b32_e32 v95, s42, v2
	s_wait_alu 0xfffe
	s_or_b32 exec_lo, exec_lo, s30
	s_and_saveexec_b32 s30, s20
	s_cbranch_execz .LBB1877_469
.LBB1877_503:                           ;   in Loop: Header=BB1877_399 Depth=2
	ds_load_u16 v2, v47 offset:4096
	s_wait_dscnt 0x0
	v_cmp_ne_u16_e64 s22, 0x7fff, v2
	s_wait_alu 0xf1ff
	s_delay_alu instid0(VALU_DEP_1) | instskip(NEXT) | instid1(VALU_DEP_1)
	v_cndmask_b32_e64 v2, 0xffff8000, v2, s22
	v_and_b32_e32 v2, 0xffff, v2
	s_delay_alu instid0(VALU_DEP_1) | instskip(NEXT) | instid1(VALU_DEP_1)
	v_lshrrev_b32_e32 v2, s45, v2
	v_and_b32_e32 v94, s42, v2
	s_wait_alu 0xfffe
	s_or_b32 exec_lo, exec_lo, s30
	s_and_saveexec_b32 s30, s21
	s_cbranch_execnz .LBB1877_470
	s_branch .LBB1877_471
.LBB1877_504:                           ;   in Loop: Header=BB1877_399 Depth=2
	v_lshlrev_b32_e32 v2, 2, v100
	v_add_nc_u32_e32 v20, v47, v48
	ds_load_b32 v2, v2
	ds_load_b64 v[20:21], v20 offset:1024
	s_wait_dscnt 0x1
	v_add_nc_u32_e32 v2, v2, v1
	s_delay_alu instid0(VALU_DEP_1) | instskip(NEXT) | instid1(VALU_DEP_1)
	v_lshlrev_b64_e32 v[23:24], 3, v[2:3]
	v_add_co_u32 v23, vcc_lo, s24, v23
	s_wait_alu 0xfffd
	s_delay_alu instid0(VALU_DEP_2)
	v_add_co_ci_u32_e64 v24, null, s25, v24, vcc_lo
	s_wait_dscnt 0x0
	global_store_b64 v[23:24], v[20:21], off
	s_wait_alu 0xfffe
	s_or_b32 exec_lo, exec_lo, s22
	s_and_saveexec_b32 s22, s15
	s_cbranch_execz .LBB1877_473
.LBB1877_505:                           ;   in Loop: Header=BB1877_399 Depth=2
	v_lshlrev_b32_e32 v2, 2, v99
	v_add_nc_u32_e32 v20, v47, v48
	ds_load_b32 v2, v2
	ds_load_b64 v[20:21], v20 offset:3072
	s_wait_dscnt 0x1
	v_add_nc_u32_e32 v2, v2, v29
	s_delay_alu instid0(VALU_DEP_1) | instskip(NEXT) | instid1(VALU_DEP_1)
	v_lshlrev_b64_e32 v[23:24], 3, v[2:3]
	v_add_co_u32 v23, vcc_lo, s24, v23
	s_wait_alu 0xfffd
	s_delay_alu instid0(VALU_DEP_2)
	v_add_co_ci_u32_e64 v24, null, s25, v24, vcc_lo
	s_wait_dscnt 0x0
	global_store_b64 v[23:24], v[20:21], off
	s_wait_alu 0xfffe
	s_or_b32 exec_lo, exec_lo, s22
	s_and_saveexec_b32 s15, s16
	s_cbranch_execz .LBB1877_474
.LBB1877_506:                           ;   in Loop: Header=BB1877_399 Depth=2
	v_lshlrev_b32_e32 v2, 2, v98
	v_add_nc_u32_e32 v20, v47, v48
	ds_load_b32 v2, v2
	ds_load_b64 v[20:21], v20 offset:5120
	s_wait_dscnt 0x1
	v_add_nc_u32_e32 v2, v2, v30
	s_delay_alu instid0(VALU_DEP_1) | instskip(NEXT) | instid1(VALU_DEP_1)
	v_lshlrev_b64_e32 v[23:24], 3, v[2:3]
	v_add_co_u32 v23, vcc_lo, s24, v23
	s_wait_alu 0xfffd
	s_delay_alu instid0(VALU_DEP_2)
	v_add_co_ci_u32_e64 v24, null, s25, v24, vcc_lo
	s_wait_dscnt 0x0
	global_store_b64 v[23:24], v[20:21], off
	s_wait_alu 0xfffe
	s_or_b32 exec_lo, exec_lo, s15
	s_and_saveexec_b32 s15, s17
	s_cbranch_execz .LBB1877_475
.LBB1877_507:                           ;   in Loop: Header=BB1877_399 Depth=2
	v_lshlrev_b32_e32 v2, 2, v97
	v_add_nc_u32_e32 v20, v47, v48
	ds_load_b32 v2, v2
	ds_load_b64 v[20:21], v20 offset:7168
	s_wait_dscnt 0x1
	v_add_nc_u32_e32 v2, v2, v31
	s_delay_alu instid0(VALU_DEP_1) | instskip(NEXT) | instid1(VALU_DEP_1)
	v_lshlrev_b64_e32 v[23:24], 3, v[2:3]
	v_add_co_u32 v23, vcc_lo, s24, v23
	s_wait_alu 0xfffd
	s_delay_alu instid0(VALU_DEP_2)
	v_add_co_ci_u32_e64 v24, null, s25, v24, vcc_lo
	s_wait_dscnt 0x0
	global_store_b64 v[23:24], v[20:21], off
	s_wait_alu 0xfffe
	s_or_b32 exec_lo, exec_lo, s15
	s_and_saveexec_b32 s15, s18
	s_cbranch_execz .LBB1877_476
.LBB1877_508:                           ;   in Loop: Header=BB1877_399 Depth=2
	v_lshlrev_b32_e32 v2, 2, v96
	v_add_nc_u32_e32 v20, v47, v48
	ds_load_b32 v2, v2
	ds_load_b64 v[20:21], v20 offset:9216
	s_wait_dscnt 0x1
	v_add_nc_u32_e32 v2, v2, v34
	s_delay_alu instid0(VALU_DEP_1) | instskip(NEXT) | instid1(VALU_DEP_1)
	v_lshlrev_b64_e32 v[23:24], 3, v[2:3]
	v_add_co_u32 v23, vcc_lo, s24, v23
	s_wait_alu 0xfffd
	s_delay_alu instid0(VALU_DEP_2)
	v_add_co_ci_u32_e64 v24, null, s25, v24, vcc_lo
	s_wait_dscnt 0x0
	global_store_b64 v[23:24], v[20:21], off
	s_wait_alu 0xfffe
	s_or_b32 exec_lo, exec_lo, s15
	s_and_saveexec_b32 s15, s19
	s_cbranch_execz .LBB1877_477
.LBB1877_509:                           ;   in Loop: Header=BB1877_399 Depth=2
	v_lshlrev_b32_e32 v2, 2, v95
	v_add_nc_u32_e32 v20, v47, v48
	ds_load_b32 v2, v2
	ds_load_b64 v[20:21], v20 offset:11264
	s_wait_dscnt 0x1
	v_add_nc_u32_e32 v2, v2, v35
	s_delay_alu instid0(VALU_DEP_1) | instskip(NEXT) | instid1(VALU_DEP_1)
	v_lshlrev_b64_e32 v[23:24], 3, v[2:3]
	v_add_co_u32 v23, vcc_lo, s24, v23
	s_wait_alu 0xfffd
	s_delay_alu instid0(VALU_DEP_2)
	v_add_co_ci_u32_e64 v24, null, s25, v24, vcc_lo
	s_wait_dscnt 0x0
	global_store_b64 v[23:24], v[20:21], off
	s_wait_alu 0xfffe
	s_or_b32 exec_lo, exec_lo, s15
	s_and_saveexec_b32 s15, s20
	s_cbranch_execz .LBB1877_478
.LBB1877_510:                           ;   in Loop: Header=BB1877_399 Depth=2
	v_lshlrev_b32_e32 v2, 2, v94
	v_add_nc_u32_e32 v20, v47, v48
	ds_load_b32 v2, v2
	ds_load_b64 v[20:21], v20 offset:13312
	s_wait_dscnt 0x1
	v_add_nc_u32_e32 v2, v2, v36
	s_delay_alu instid0(VALU_DEP_1) | instskip(NEXT) | instid1(VALU_DEP_1)
	v_lshlrev_b64_e32 v[23:24], 3, v[2:3]
	v_add_co_u32 v23, vcc_lo, s24, v23
	s_wait_alu 0xfffd
	s_delay_alu instid0(VALU_DEP_2)
	v_add_co_ci_u32_e64 v24, null, s25, v24, vcc_lo
	s_wait_dscnt 0x0
	global_store_b64 v[23:24], v[20:21], off
	s_wait_alu 0xfffe
	s_or_b32 exec_lo, exec_lo, s15
	s_and_saveexec_b32 s15, s21
	s_cbranch_execnz .LBB1877_479
	s_branch .LBB1877_480
.LBB1877_511:                           ;   in Loop: Header=BB1877_17 Depth=1
	s_wait_loadcnt_dscnt 0x0
	s_barrier_signal -1
	s_mov_b32 s0, 0
	s_barrier_wait -1
.LBB1877_512:                           ;   in Loop: Header=BB1877_17 Depth=1
	s_wait_alu 0xfffe
	s_and_b32 vcc_lo, exec_lo, s0
	s_wait_alu 0xfffe
	s_cbranch_vccz .LBB1877_16
; %bb.513:                              ;   in Loop: Header=BB1877_17 Depth=1
	s_mov_b32 s9, s47
	s_mov_b32 s30, s33
	s_barrier_signal -1
	s_barrier_wait -1
	global_inv scope:SCOPE_SE
                                        ; implicit-def: $vgpr2
                                        ; implicit-def: $vgpr4
                                        ; implicit-def: $vgpr5
                                        ; implicit-def: $vgpr6
                                        ; implicit-def: $vgpr7
                                        ; implicit-def: $vgpr8
                                        ; implicit-def: $vgpr9
                                        ; implicit-def: $vgpr10
	s_branch .LBB1877_515
.LBB1877_514:                           ;   in Loop: Header=BB1877_515 Depth=2
	s_wait_alu 0xfffe
	s_or_b32 exec_lo, exec_lo, s0
	s_addk_co_i32 s9, 0xf800
	s_cmp_ge_u32 s10, s34
	s_mov_b32 s30, s10
	s_cbranch_scc1 .LBB1877_551
.LBB1877_515:                           ;   Parent Loop BB1877_17 Depth=1
                                        ; =>  This Inner Loop Header: Depth=2
	s_wait_alu 0xfffe
	s_add_co_i32 s10, s30, 0x800
	s_mov_b32 s0, -1
	s_wait_alu 0xfffe
	s_cmp_gt_u32 s10, s34
                                        ; implicit-def: $vgpr11
                                        ; implicit-def: $vgpr12
                                        ; implicit-def: $vgpr13
                                        ; implicit-def: $vgpr14
                                        ; implicit-def: $vgpr15
                                        ; implicit-def: $vgpr16
                                        ; implicit-def: $vgpr17
                                        ; implicit-def: $vgpr18
	s_cbranch_scc1 .LBB1877_517
; %bb.516:                              ;   in Loop: Header=BB1877_515 Depth=2
	s_lshl_b64 s[0:1], s[30:31], 1
	s_wait_alu 0xfffe
	v_add_co_u32 v18, vcc_lo, v55, s0
	s_wait_alu 0xfffd
	v_add_co_ci_u32_e64 v19, null, s1, v56, vcc_lo
	s_mov_b32 s0, 0
	s_clause 0x7
	global_load_u16 v11, v[18:19], off
	global_load_u16 v12, v[18:19], off offset:512
	global_load_u16 v13, v[18:19], off offset:1024
	;; [unrolled: 1-line block ×7, first 2 shown]
.LBB1877_517:                           ;   in Loop: Header=BB1877_515 Depth=2
	s_wait_alu 0xfffe
	s_and_not1_b32 vcc_lo, exec_lo, s0
	s_movk_i32 s0, 0x800
	s_wait_alu 0xfffe
	s_cbranch_vccnz .LBB1877_528
; %bb.518:                              ;   in Loop: Header=BB1877_515 Depth=2
	s_lshl_b64 s[0:1], s[30:31], 1
	s_mov_b32 s11, exec_lo
	s_wait_alu 0xfffe
	s_add_nc_u64 s[0:1], s[36:37], s[0:1]
	v_cmpx_gt_u32_e64 s9, v1
	s_cbranch_execnz .LBB1877_544
; %bb.519:                              ;   in Loop: Header=BB1877_515 Depth=2
	s_or_b32 exec_lo, exec_lo, s11
	s_delay_alu instid0(SALU_CYCLE_1)
	s_mov_b32 s11, exec_lo
	v_cmpx_gt_u32_e64 s9, v29
	s_cbranch_execnz .LBB1877_545
.LBB1877_520:                           ;   in Loop: Header=BB1877_515 Depth=2
	s_wait_alu 0xfffe
	s_or_b32 exec_lo, exec_lo, s11
	s_delay_alu instid0(SALU_CYCLE_1)
	s_mov_b32 s11, exec_lo
	v_cmpx_gt_u32_e64 s9, v30
	s_cbranch_execnz .LBB1877_546
.LBB1877_521:                           ;   in Loop: Header=BB1877_515 Depth=2
	s_wait_alu 0xfffe
	s_or_b32 exec_lo, exec_lo, s11
	s_delay_alu instid0(SALU_CYCLE_1)
	s_mov_b32 s11, exec_lo
	v_cmpx_gt_u32_e64 s9, v31
	s_cbranch_execnz .LBB1877_547
.LBB1877_522:                           ;   in Loop: Header=BB1877_515 Depth=2
	s_wait_alu 0xfffe
	s_or_b32 exec_lo, exec_lo, s11
	s_delay_alu instid0(SALU_CYCLE_1)
	s_mov_b32 s11, exec_lo
	v_cmpx_gt_u32_e64 s9, v34
	s_cbranch_execnz .LBB1877_548
.LBB1877_523:                           ;   in Loop: Header=BB1877_515 Depth=2
	s_wait_alu 0xfffe
	s_or_b32 exec_lo, exec_lo, s11
	s_delay_alu instid0(SALU_CYCLE_1)
	s_mov_b32 s11, exec_lo
	v_cmpx_gt_u32_e64 s9, v35
	s_cbranch_execnz .LBB1877_549
.LBB1877_524:                           ;   in Loop: Header=BB1877_515 Depth=2
	s_wait_alu 0xfffe
	s_or_b32 exec_lo, exec_lo, s11
	s_delay_alu instid0(SALU_CYCLE_1)
	s_mov_b32 s11, exec_lo
	v_cmpx_gt_u32_e64 s9, v36
	s_cbranch_execnz .LBB1877_550
.LBB1877_525:                           ;   in Loop: Header=BB1877_515 Depth=2
	s_wait_alu 0xfffe
	s_or_b32 exec_lo, exec_lo, s11
	s_delay_alu instid0(SALU_CYCLE_1)
	s_mov_b32 s11, exec_lo
	v_cmpx_gt_u32_e64 s9, v37
	s_cbranch_execz .LBB1877_527
.LBB1877_526:                           ;   in Loop: Header=BB1877_515 Depth=2
	global_load_u16 v2, v82, s[0:1] offset:3584
.LBB1877_527:                           ;   in Loop: Header=BB1877_515 Depth=2
	s_wait_alu 0xfffe
	s_or_b32 exec_lo, exec_lo, s11
	s_wait_loadcnt 0x0
	v_dual_mov_b32 v11, v10 :: v_dual_mov_b32 v12, v9
	v_dual_mov_b32 v13, v8 :: v_dual_mov_b32 v14, v7
	;; [unrolled: 1-line block ×4, first 2 shown]
	s_mov_b32 s0, s9
.LBB1877_528:                           ;   in Loop: Header=BB1877_515 Depth=2
	s_wait_loadcnt 0x0
	s_delay_alu instid0(VALU_DEP_1) | instskip(NEXT) | instid1(VALU_DEP_2)
	v_dual_mov_b32 v2, v18 :: v_dual_mov_b32 v5, v16
	v_dual_mov_b32 v4, v17 :: v_dual_mov_b32 v7, v14
	;; [unrolled: 1-line block ×3, first 2 shown]
	v_mov_b32_e32 v8, v13
	v_mov_b32_e32 v10, v11
	s_mov_b32 s1, exec_lo
	s_wait_alu 0xfffe
	v_cmpx_gt_u32_e64 s0, v1
	s_cbranch_execnz .LBB1877_536
; %bb.529:                              ;   in Loop: Header=BB1877_515 Depth=2
	s_or_b32 exec_lo, exec_lo, s1
	s_delay_alu instid0(SALU_CYCLE_1)
	s_mov_b32 s1, exec_lo
	v_cmpx_gt_u32_e64 s0, v29
	s_cbranch_execnz .LBB1877_537
.LBB1877_530:                           ;   in Loop: Header=BB1877_515 Depth=2
	s_wait_alu 0xfffe
	s_or_b32 exec_lo, exec_lo, s1
	s_delay_alu instid0(SALU_CYCLE_1)
	s_mov_b32 s1, exec_lo
	v_cmpx_gt_u32_e64 s0, v30
	s_cbranch_execnz .LBB1877_538
.LBB1877_531:                           ;   in Loop: Header=BB1877_515 Depth=2
	s_wait_alu 0xfffe
	s_or_b32 exec_lo, exec_lo, s1
	s_delay_alu instid0(SALU_CYCLE_1)
	s_mov_b32 s1, exec_lo
	v_cmpx_gt_u32_e64 s0, v31
	s_cbranch_execnz .LBB1877_539
.LBB1877_532:                           ;   in Loop: Header=BB1877_515 Depth=2
	s_wait_alu 0xfffe
	s_or_b32 exec_lo, exec_lo, s1
	s_delay_alu instid0(SALU_CYCLE_1)
	s_mov_b32 s1, exec_lo
	v_cmpx_gt_u32_e64 s0, v34
	s_cbranch_execnz .LBB1877_540
.LBB1877_533:                           ;   in Loop: Header=BB1877_515 Depth=2
	s_wait_alu 0xfffe
	s_or_b32 exec_lo, exec_lo, s1
	s_delay_alu instid0(SALU_CYCLE_1)
	s_mov_b32 s1, exec_lo
	v_cmpx_gt_u32_e64 s0, v35
	s_cbranch_execnz .LBB1877_541
.LBB1877_534:                           ;   in Loop: Header=BB1877_515 Depth=2
	s_wait_alu 0xfffe
	s_or_b32 exec_lo, exec_lo, s1
	s_delay_alu instid0(SALU_CYCLE_1)
	s_mov_b32 s1, exec_lo
	v_cmpx_gt_u32_e64 s0, v36
	s_cbranch_execnz .LBB1877_542
.LBB1877_535:                           ;   in Loop: Header=BB1877_515 Depth=2
	s_wait_alu 0xfffe
	s_or_b32 exec_lo, exec_lo, s1
	v_cmp_gt_u32_e32 vcc_lo, s0, v37
	s_and_saveexec_b32 s0, vcc_lo
	s_cbranch_execz .LBB1877_514
	s_branch .LBB1877_543
.LBB1877_536:                           ;   in Loop: Header=BB1877_515 Depth=2
	v_cmp_lt_i16_e32 vcc_lo, -1, v10
	s_wait_alu 0xfffd
	v_cndmask_b32_e64 v11, -1, 0xffff8000, vcc_lo
	s_delay_alu instid0(VALU_DEP_1) | instskip(NEXT) | instid1(VALU_DEP_1)
	v_xor_b32_e32 v11, v11, v10
	v_cmp_ne_u16_e32 vcc_lo, 0x7fff, v11
	s_wait_alu 0xfffd
	v_cndmask_b32_e32 v11, 0xffff8000, v11, vcc_lo
	s_delay_alu instid0(VALU_DEP_1) | instskip(NEXT) | instid1(VALU_DEP_1)
	v_and_b32_e32 v11, 0xffff, v11
	v_lshrrev_b32_e32 v11, s45, v11
	s_delay_alu instid0(VALU_DEP_1) | instskip(NEXT) | instid1(VALU_DEP_1)
	v_and_b32_e32 v11, s42, v11
	v_lshl_or_b32 v11, v11, 4, v39
	ds_add_u32 v11, v62
	s_or_b32 exec_lo, exec_lo, s1
	s_delay_alu instid0(SALU_CYCLE_1)
	s_mov_b32 s1, exec_lo
	v_cmpx_gt_u32_e64 s0, v29
	s_cbranch_execz .LBB1877_530
.LBB1877_537:                           ;   in Loop: Header=BB1877_515 Depth=2
	v_cmp_lt_i16_e32 vcc_lo, -1, v9
	s_wait_alu 0xfffd
	v_cndmask_b32_e64 v11, -1, 0xffff8000, vcc_lo
	s_delay_alu instid0(VALU_DEP_1) | instskip(NEXT) | instid1(VALU_DEP_1)
	v_xor_b32_e32 v11, v11, v9
	v_cmp_ne_u16_e32 vcc_lo, 0x7fff, v11
	s_wait_alu 0xfffd
	v_cndmask_b32_e32 v11, 0xffff8000, v11, vcc_lo
	s_delay_alu instid0(VALU_DEP_1) | instskip(NEXT) | instid1(VALU_DEP_1)
	v_and_b32_e32 v11, 0xffff, v11
	v_lshrrev_b32_e32 v11, s45, v11
	s_delay_alu instid0(VALU_DEP_1) | instskip(NEXT) | instid1(VALU_DEP_1)
	v_and_b32_e32 v11, s42, v11
	v_lshl_or_b32 v11, v11, 4, v39
	ds_add_u32 v11, v62
	s_wait_alu 0xfffe
	s_or_b32 exec_lo, exec_lo, s1
	s_delay_alu instid0(SALU_CYCLE_1)
	s_mov_b32 s1, exec_lo
	v_cmpx_gt_u32_e64 s0, v30
	s_cbranch_execz .LBB1877_531
.LBB1877_538:                           ;   in Loop: Header=BB1877_515 Depth=2
	v_cmp_lt_i16_e32 vcc_lo, -1, v8
	s_wait_alu 0xfffd
	v_cndmask_b32_e64 v11, -1, 0xffff8000, vcc_lo
	s_delay_alu instid0(VALU_DEP_1) | instskip(NEXT) | instid1(VALU_DEP_1)
	v_xor_b32_e32 v11, v11, v8
	v_cmp_ne_u16_e32 vcc_lo, 0x7fff, v11
	s_wait_alu 0xfffd
	v_cndmask_b32_e32 v11, 0xffff8000, v11, vcc_lo
	s_delay_alu instid0(VALU_DEP_1) | instskip(NEXT) | instid1(VALU_DEP_1)
	v_and_b32_e32 v11, 0xffff, v11
	v_lshrrev_b32_e32 v11, s45, v11
	s_delay_alu instid0(VALU_DEP_1) | instskip(NEXT) | instid1(VALU_DEP_1)
	v_and_b32_e32 v11, s42, v11
	v_lshl_or_b32 v11, v11, 4, v39
	ds_add_u32 v11, v62
	s_wait_alu 0xfffe
	s_or_b32 exec_lo, exec_lo, s1
	s_delay_alu instid0(SALU_CYCLE_1)
	s_mov_b32 s1, exec_lo
	v_cmpx_gt_u32_e64 s0, v31
	s_cbranch_execz .LBB1877_532
.LBB1877_539:                           ;   in Loop: Header=BB1877_515 Depth=2
	v_cmp_lt_i16_e32 vcc_lo, -1, v7
	s_wait_alu 0xfffd
	v_cndmask_b32_e64 v11, -1, 0xffff8000, vcc_lo
	s_delay_alu instid0(VALU_DEP_1) | instskip(NEXT) | instid1(VALU_DEP_1)
	v_xor_b32_e32 v11, v11, v7
	v_cmp_ne_u16_e32 vcc_lo, 0x7fff, v11
	s_wait_alu 0xfffd
	v_cndmask_b32_e32 v11, 0xffff8000, v11, vcc_lo
	s_delay_alu instid0(VALU_DEP_1) | instskip(NEXT) | instid1(VALU_DEP_1)
	v_and_b32_e32 v11, 0xffff, v11
	v_lshrrev_b32_e32 v11, s45, v11
	s_delay_alu instid0(VALU_DEP_1) | instskip(NEXT) | instid1(VALU_DEP_1)
	v_and_b32_e32 v11, s42, v11
	v_lshl_or_b32 v11, v11, 4, v39
	ds_add_u32 v11, v62
	s_wait_alu 0xfffe
	s_or_b32 exec_lo, exec_lo, s1
	s_delay_alu instid0(SALU_CYCLE_1)
	s_mov_b32 s1, exec_lo
	v_cmpx_gt_u32_e64 s0, v34
	s_cbranch_execz .LBB1877_533
.LBB1877_540:                           ;   in Loop: Header=BB1877_515 Depth=2
	v_cmp_lt_i16_e32 vcc_lo, -1, v6
	s_wait_alu 0xfffd
	v_cndmask_b32_e64 v11, -1, 0xffff8000, vcc_lo
	s_delay_alu instid0(VALU_DEP_1) | instskip(NEXT) | instid1(VALU_DEP_1)
	v_xor_b32_e32 v11, v11, v6
	v_cmp_ne_u16_e32 vcc_lo, 0x7fff, v11
	s_wait_alu 0xfffd
	v_cndmask_b32_e32 v11, 0xffff8000, v11, vcc_lo
	s_delay_alu instid0(VALU_DEP_1) | instskip(NEXT) | instid1(VALU_DEP_1)
	v_and_b32_e32 v11, 0xffff, v11
	v_lshrrev_b32_e32 v11, s45, v11
	s_delay_alu instid0(VALU_DEP_1) | instskip(NEXT) | instid1(VALU_DEP_1)
	v_and_b32_e32 v11, s42, v11
	v_lshl_or_b32 v11, v11, 4, v39
	ds_add_u32 v11, v62
	s_wait_alu 0xfffe
	s_or_b32 exec_lo, exec_lo, s1
	s_delay_alu instid0(SALU_CYCLE_1)
	s_mov_b32 s1, exec_lo
	v_cmpx_gt_u32_e64 s0, v35
	s_cbranch_execz .LBB1877_534
.LBB1877_541:                           ;   in Loop: Header=BB1877_515 Depth=2
	v_cmp_lt_i16_e32 vcc_lo, -1, v5
	s_wait_alu 0xfffd
	v_cndmask_b32_e64 v11, -1, 0xffff8000, vcc_lo
	s_delay_alu instid0(VALU_DEP_1) | instskip(NEXT) | instid1(VALU_DEP_1)
	v_xor_b32_e32 v11, v11, v5
	v_cmp_ne_u16_e32 vcc_lo, 0x7fff, v11
	s_wait_alu 0xfffd
	v_cndmask_b32_e32 v11, 0xffff8000, v11, vcc_lo
	s_delay_alu instid0(VALU_DEP_1) | instskip(NEXT) | instid1(VALU_DEP_1)
	v_and_b32_e32 v11, 0xffff, v11
	v_lshrrev_b32_e32 v11, s45, v11
	s_delay_alu instid0(VALU_DEP_1) | instskip(NEXT) | instid1(VALU_DEP_1)
	v_and_b32_e32 v11, s42, v11
	v_lshl_or_b32 v11, v11, 4, v39
	ds_add_u32 v11, v62
	s_wait_alu 0xfffe
	s_or_b32 exec_lo, exec_lo, s1
	s_delay_alu instid0(SALU_CYCLE_1)
	s_mov_b32 s1, exec_lo
	v_cmpx_gt_u32_e64 s0, v36
	s_cbranch_execz .LBB1877_535
.LBB1877_542:                           ;   in Loop: Header=BB1877_515 Depth=2
	v_cmp_lt_i16_e32 vcc_lo, -1, v4
	s_wait_alu 0xfffd
	v_cndmask_b32_e64 v11, -1, 0xffff8000, vcc_lo
	s_delay_alu instid0(VALU_DEP_1) | instskip(NEXT) | instid1(VALU_DEP_1)
	v_xor_b32_e32 v11, v11, v4
	v_cmp_ne_u16_e32 vcc_lo, 0x7fff, v11
	s_wait_alu 0xfffd
	v_cndmask_b32_e32 v11, 0xffff8000, v11, vcc_lo
	s_delay_alu instid0(VALU_DEP_1) | instskip(NEXT) | instid1(VALU_DEP_1)
	v_and_b32_e32 v11, 0xffff, v11
	v_lshrrev_b32_e32 v11, s45, v11
	s_delay_alu instid0(VALU_DEP_1) | instskip(NEXT) | instid1(VALU_DEP_1)
	v_and_b32_e32 v11, s42, v11
	v_lshl_or_b32 v11, v11, 4, v39
	ds_add_u32 v11, v62
	s_wait_alu 0xfffe
	s_or_b32 exec_lo, exec_lo, s1
	v_cmp_gt_u32_e32 vcc_lo, s0, v37
	s_and_saveexec_b32 s0, vcc_lo
	s_cbranch_execz .LBB1877_514
.LBB1877_543:                           ;   in Loop: Header=BB1877_515 Depth=2
	v_cmp_lt_i16_e32 vcc_lo, -1, v2
	s_wait_alu 0xfffd
	v_cndmask_b32_e64 v11, -1, 0xffff8000, vcc_lo
	s_delay_alu instid0(VALU_DEP_1) | instskip(NEXT) | instid1(VALU_DEP_1)
	v_xor_b32_e32 v11, v11, v2
	v_cmp_ne_u16_e32 vcc_lo, 0x7fff, v11
	s_wait_alu 0xfffd
	v_cndmask_b32_e32 v11, 0xffff8000, v11, vcc_lo
	s_delay_alu instid0(VALU_DEP_1) | instskip(NEXT) | instid1(VALU_DEP_1)
	v_and_b32_e32 v11, 0xffff, v11
	v_lshrrev_b32_e32 v11, s45, v11
	s_delay_alu instid0(VALU_DEP_1) | instskip(NEXT) | instid1(VALU_DEP_1)
	v_and_b32_e32 v11, s42, v11
	v_lshl_or_b32 v11, v11, 4, v39
	ds_add_u32 v11, v62
	s_branch .LBB1877_514
.LBB1877_544:                           ;   in Loop: Header=BB1877_515 Depth=2
	global_load_u16 v10, v82, s[0:1]
	s_or_b32 exec_lo, exec_lo, s11
	s_delay_alu instid0(SALU_CYCLE_1)
	s_mov_b32 s11, exec_lo
	v_cmpx_gt_u32_e64 s9, v29
	s_cbranch_execz .LBB1877_520
.LBB1877_545:                           ;   in Loop: Header=BB1877_515 Depth=2
	global_load_u16 v9, v82, s[0:1] offset:512
	s_wait_alu 0xfffe
	s_or_b32 exec_lo, exec_lo, s11
	s_delay_alu instid0(SALU_CYCLE_1)
	s_mov_b32 s11, exec_lo
	v_cmpx_gt_u32_e64 s9, v30
	s_cbranch_execz .LBB1877_521
.LBB1877_546:                           ;   in Loop: Header=BB1877_515 Depth=2
	global_load_u16 v8, v82, s[0:1] offset:1024
	s_wait_alu 0xfffe
	s_or_b32 exec_lo, exec_lo, s11
	s_delay_alu instid0(SALU_CYCLE_1)
	s_mov_b32 s11, exec_lo
	v_cmpx_gt_u32_e64 s9, v31
	s_cbranch_execz .LBB1877_522
.LBB1877_547:                           ;   in Loop: Header=BB1877_515 Depth=2
	global_load_u16 v7, v82, s[0:1] offset:1536
	s_wait_alu 0xfffe
	s_or_b32 exec_lo, exec_lo, s11
	s_delay_alu instid0(SALU_CYCLE_1)
	s_mov_b32 s11, exec_lo
	v_cmpx_gt_u32_e64 s9, v34
	s_cbranch_execz .LBB1877_523
.LBB1877_548:                           ;   in Loop: Header=BB1877_515 Depth=2
	global_load_u16 v6, v82, s[0:1] offset:2048
	s_wait_alu 0xfffe
	s_or_b32 exec_lo, exec_lo, s11
	s_delay_alu instid0(SALU_CYCLE_1)
	s_mov_b32 s11, exec_lo
	v_cmpx_gt_u32_e64 s9, v35
	s_cbranch_execz .LBB1877_524
.LBB1877_549:                           ;   in Loop: Header=BB1877_515 Depth=2
	global_load_u16 v5, v82, s[0:1] offset:2560
	s_wait_alu 0xfffe
	s_or_b32 exec_lo, exec_lo, s11
	s_delay_alu instid0(SALU_CYCLE_1)
	s_mov_b32 s11, exec_lo
	v_cmpx_gt_u32_e64 s9, v36
	s_cbranch_execz .LBB1877_525
.LBB1877_550:                           ;   in Loop: Header=BB1877_515 Depth=2
	global_load_u16 v4, v82, s[0:1] offset:3072
	s_wait_alu 0xfffe
	s_or_b32 exec_lo, exec_lo, s11
	s_delay_alu instid0(SALU_CYCLE_1)
	s_mov_b32 s11, exec_lo
	v_cmpx_gt_u32_e64 s9, v37
	s_cbranch_execnz .LBB1877_526
	s_branch .LBB1877_527
.LBB1877_551:                           ;   in Loop: Header=BB1877_17 Depth=1
	v_mov_b32_e32 v2, 0
	s_wait_dscnt 0x0
	s_barrier_signal -1
	s_barrier_wait -1
	global_inv scope:SCOPE_SE
	s_and_saveexec_b32 s0, s2
	s_cbranch_execz .LBB1877_553
; %bb.552:                              ;   in Loop: Header=BB1877_17 Depth=1
	ds_load_2addr_b64 v[4:7], v40 offset1:1
	s_wait_dscnt 0x0
	v_add_nc_u32_e32 v2, v5, v4
	s_delay_alu instid0(VALU_DEP_1)
	v_add3_u32 v2, v2, v6, v7
.LBB1877_553:                           ;   in Loop: Header=BB1877_17 Depth=1
	s_wait_alu 0xfffe
	s_or_b32 exec_lo, exec_lo, s0
	s_delay_alu instid0(VALU_DEP_1)
	v_mov_b32_dpp v4, v2 row_shr:1 row_mask:0xf bank_mask:0xf
	v_cmp_eq_u32_e64 s0, 0, v63
	v_cmp_lt_u32_e64 s1, 1, v63
	v_cmp_lt_u32_e64 s9, 3, v63
	;; [unrolled: 1-line block ×3, first 2 shown]
	v_cmp_eq_u32_e64 s11, 0, v65
	s_wait_alu 0xf1ff
	v_cndmask_b32_e64 v4, v4, 0, s0
	s_delay_alu instid0(VALU_DEP_1) | instskip(NEXT) | instid1(VALU_DEP_1)
	v_add_nc_u32_e32 v2, v4, v2
	v_mov_b32_dpp v4, v2 row_shr:2 row_mask:0xf bank_mask:0xf
	s_delay_alu instid0(VALU_DEP_1) | instskip(NEXT) | instid1(VALU_DEP_1)
	v_cndmask_b32_e64 v4, 0, v4, s1
	v_add_nc_u32_e32 v2, v2, v4
	s_delay_alu instid0(VALU_DEP_1) | instskip(NEXT) | instid1(VALU_DEP_1)
	v_mov_b32_dpp v4, v2 row_shr:4 row_mask:0xf bank_mask:0xf
	v_cndmask_b32_e64 v4, 0, v4, s9
	s_delay_alu instid0(VALU_DEP_1) | instskip(NEXT) | instid1(VALU_DEP_1)
	v_add_nc_u32_e32 v2, v2, v4
	v_mov_b32_dpp v4, v2 row_shr:8 row_mask:0xf bank_mask:0xf
	s_delay_alu instid0(VALU_DEP_1) | instskip(NEXT) | instid1(VALU_DEP_1)
	v_cndmask_b32_e64 v4, 0, v4, s10
	v_add_nc_u32_e32 v2, v2, v4
	ds_swizzle_b32 v4, v2 offset:swizzle(BROADCAST,32,15)
	s_wait_dscnt 0x0
	v_and_b32_e32 v4, v64, v4
	s_delay_alu instid0(VALU_DEP_1)
	v_add_nc_u32_e32 v2, v2, v4
	s_and_saveexec_b32 s12, s3
; %bb.554:                              ;   in Loop: Header=BB1877_17 Depth=1
	ds_store_b32 v41, v2
; %bb.555:                              ;   in Loop: Header=BB1877_17 Depth=1
	s_wait_alu 0xfffe
	s_or_b32 exec_lo, exec_lo, s12
	s_wait_loadcnt_dscnt 0x0
	s_barrier_signal -1
	s_barrier_wait -1
	global_inv scope:SCOPE_SE
	s_and_saveexec_b32 s12, s4
	s_cbranch_execz .LBB1877_557
; %bb.556:                              ;   in Loop: Header=BB1877_17 Depth=1
	ds_load_b32 v4, v42
	v_cmp_ne_u32_e32 vcc_lo, 0, v67
	s_wait_dscnt 0x0
	v_mov_b32_dpp v5, v4 row_shr:1 row_mask:0xf bank_mask:0xf
	s_wait_alu 0xfffd
	s_delay_alu instid0(VALU_DEP_1) | instskip(SKIP_1) | instid1(VALU_DEP_2)
	v_cndmask_b32_e32 v5, 0, v5, vcc_lo
	v_cmp_lt_u32_e32 vcc_lo, 1, v67
	v_add_nc_u32_e32 v4, v5, v4
	s_delay_alu instid0(VALU_DEP_1) | instskip(SKIP_1) | instid1(VALU_DEP_1)
	v_mov_b32_dpp v5, v4 row_shr:2 row_mask:0xf bank_mask:0xf
	s_wait_alu 0xfffd
	v_cndmask_b32_e32 v5, 0, v5, vcc_lo
	v_cmp_lt_u32_e32 vcc_lo, 3, v67
	s_delay_alu instid0(VALU_DEP_2) | instskip(NEXT) | instid1(VALU_DEP_1)
	v_add_nc_u32_e32 v4, v4, v5
	v_mov_b32_dpp v5, v4 row_shr:4 row_mask:0xf bank_mask:0xf
	s_wait_alu 0xfffd
	s_delay_alu instid0(VALU_DEP_1) | instskip(NEXT) | instid1(VALU_DEP_1)
	v_cndmask_b32_e32 v5, 0, v5, vcc_lo
	v_add_nc_u32_e32 v4, v4, v5
	ds_store_b32 v42, v4
.LBB1877_557:                           ;   in Loop: Header=BB1877_17 Depth=1
	s_wait_alu 0xfffe
	s_or_b32 exec_lo, exec_lo, s12
	v_mov_b32_e32 v4, 0
	s_wait_loadcnt_dscnt 0x0
	s_barrier_signal -1
	s_barrier_wait -1
	global_inv scope:SCOPE_SE
	s_and_saveexec_b32 s12, s5
; %bb.558:                              ;   in Loop: Header=BB1877_17 Depth=1
	ds_load_b32 v4, v44
; %bb.559:                              ;   in Loop: Header=BB1877_17 Depth=1
	s_wait_alu 0xfffe
	s_or_b32 exec_lo, exec_lo, s12
	v_cmp_gt_i32_e32 vcc_lo, 0, v68
	s_wait_dscnt 0x0
	v_add_nc_u32_e32 v2, v4, v2
	s_wait_loadcnt 0x0
	s_barrier_signal -1
	s_barrier_wait -1
	s_wait_alu 0xfffd
	v_cndmask_b32_e32 v5, v68, v59, vcc_lo
	global_inv scope:SCOPE_SE
	v_lshlrev_b32_e32 v87, 2, v5
	ds_bpermute_b32 v2, v87, v2
	s_and_saveexec_b32 s12, s2
	s_cbranch_execz .LBB1877_561
; %bb.560:                              ;   in Loop: Header=BB1877_17 Depth=1
	s_wait_dscnt 0x0
	v_cndmask_b32_e64 v2, v2, v4, s8
	s_delay_alu instid0(VALU_DEP_1)
	v_add_nc_u32_e32 v2, s33, v2
	ds_store_b32 v28, v2
.LBB1877_561:                           ;   in Loop: Header=BB1877_17 Depth=1
	s_wait_alu 0xfffe
	s_or_b32 exec_lo, exec_lo, s12
	s_load_b64 s[12:13], s[28:29], 0x0
	v_add_co_u32 v88, vcc_lo, v57, v69
	s_wait_alu 0xfffd
	v_add_co_ci_u32_e64 v89, null, 0, v58, vcc_lo
	v_add_co_u32 v90, vcc_lo, v60, v77
	s_wait_alu 0xfffd
	v_add_co_ci_u32_e64 v91, null, 0, v61, vcc_lo
	s_mov_b32 s43, s47
                                        ; implicit-def: $vgpr6_vgpr7
                                        ; implicit-def: $vgpr8_vgpr9
                                        ; implicit-def: $vgpr10_vgpr11
                                        ; implicit-def: $vgpr12_vgpr13
                                        ; implicit-def: $vgpr14_vgpr15
                                        ; implicit-def: $vgpr16_vgpr17
                                        ; implicit-def: $vgpr18_vgpr19
                                        ; implicit-def: $vgpr93
                                        ; implicit-def: $vgpr94
                                        ; implicit-def: $vgpr95
                                        ; implicit-def: $vgpr96
                                        ; implicit-def: $vgpr97
                                        ; implicit-def: $vgpr98
                                        ; implicit-def: $vgpr99
                                        ; implicit-def: $vgpr100
	s_wait_kmcnt 0x0
	s_cmp_lt_u32 ttmp7, s13
	s_cselect_b32 s30, 14, 20
	s_cmp_lt_u32 ttmp9, s12
	s_wait_alu 0xfffe
	s_add_nc_u64 s[14:15], s[28:29], s[30:31]
	s_cselect_b32 s30, 12, 18
	s_load_u16 s14, s[14:15], 0x0
	s_add_nc_u64 s[12:13], s[28:29], s[30:31]
	s_mov_b32 s30, s33
	s_load_u16 s12, s[12:13], 0x0
	v_cmp_lt_u32_e64 s13, 1, v67
	s_wait_dscnt 0x0
	s_wait_kmcnt 0x0
	v_mad_u32_u24 v2, v45, s14, v0
	v_cmp_lt_u32_e64 s14, 3, v67
	s_delay_alu instid0(VALU_DEP_2) | instskip(SKIP_1) | instid1(VALU_DEP_2)
	v_mad_co_u64_u32 v[4:5], null, v2, s12, v[1:2]
	v_cmp_eq_u32_e64 s12, 0, v67
	v_lshrrev_b32_e32 v2, 3, v4
                                        ; implicit-def: $vgpr4_vgpr5
	s_delay_alu instid0(VALU_DEP_1)
	v_and_b32_e32 v92, 0x1ffffffc, v2
	s_branch .LBB1877_563
.LBB1877_562:                           ;   in Loop: Header=BB1877_563 Depth=2
	s_wait_alu 0xfffe
	s_or_b32 exec_lo, exec_lo, s15
	s_addk_co_i32 s43, 0xf800
	s_cmp_lt_u32 s44, s34
	s_mov_b32 s30, s44
	s_cbranch_scc0 .LBB1877_15
.LBB1877_563:                           ;   Parent Loop BB1877_17 Depth=1
                                        ; =>  This Inner Loop Header: Depth=2
	s_wait_alu 0xfffe
	s_add_co_i32 s44, s30, 0x800
	s_wait_alu 0xfffe
	s_cmp_gt_u32 s44, s34
	s_cbranch_scc1 .LBB1877_565
; %bb.564:                              ;   in Loop: Header=BB1877_563 Depth=2
	s_lshl_b64 s[16:17], s[30:31], 1
	s_mov_b32 s15, -1
	s_wait_alu 0xfffe
	v_add_co_u32 v20, vcc_lo, v90, s16
	s_wait_alu 0xfffd
	v_add_co_ci_u32_e64 v21, null, s17, v91, vcc_lo
	s_clause 0x6
	global_load_u16 v2, v[20:21], off
	global_load_u16 v27, v[20:21], off offset:64
	global_load_u16 v26, v[20:21], off offset:128
	;; [unrolled: 1-line block ×6, first 2 shown]
	s_movk_i32 s16, 0x800
	s_cbranch_execz .LBB1877_566
	s_branch .LBB1877_581
.LBB1877_565:                           ;   in Loop: Header=BB1877_563 Depth=2
	s_mov_b32 s15, 0
                                        ; implicit-def: $vgpr2
                                        ; implicit-def: $vgpr27
                                        ; implicit-def: $vgpr26
                                        ; implicit-def: $vgpr25
                                        ; implicit-def: $vgpr24
                                        ; implicit-def: $vgpr23
                                        ; implicit-def: $vgpr22
	s_movk_i32 s16, 0x800
.LBB1877_566:                           ;   in Loop: Header=BB1877_563 Depth=2
	s_lshl_b64 s[16:17], s[30:31], 1
	s_wait_loadcnt 0x5
	v_dual_mov_b32 v27, 0x7fff :: v_dual_mov_b32 v2, 0x7fff
	s_wait_alu 0xfffe
	v_add_co_u32 v20, vcc_lo, v90, s16
	s_wait_alu 0xfffd
	v_add_co_ci_u32_e64 v21, null, s17, v91, vcc_lo
	s_mov_b32 s15, exec_lo
	v_cmpx_gt_u32_e64 s43, v66
	s_cbranch_execz .LBB1877_568
; %bb.567:                              ;   in Loop: Header=BB1877_563 Depth=2
	global_load_u16 v2, v[20:21], off
.LBB1877_568:                           ;   in Loop: Header=BB1877_563 Depth=2
	s_wait_alu 0xfffe
	s_or_b32 exec_lo, exec_lo, s15
	s_delay_alu instid0(SALU_CYCLE_1)
	s_mov_b32 s15, exec_lo
	v_cmpx_gt_u32_e64 s43, v70
	s_cbranch_execz .LBB1877_570
; %bb.569:                              ;   in Loop: Header=BB1877_563 Depth=2
	global_load_u16 v27, v[20:21], off offset:64
.LBB1877_570:                           ;   in Loop: Header=BB1877_563 Depth=2
	s_wait_alu 0xfffe
	s_or_b32 exec_lo, exec_lo, s15
	s_wait_loadcnt 0x3
	v_dual_mov_b32 v25, 0x7fff :: v_dual_mov_b32 v26, 0x7fff
	s_mov_b32 s15, exec_lo
	v_cmpx_gt_u32_e64 s43, v71
	s_cbranch_execz .LBB1877_572
; %bb.571:                              ;   in Loop: Header=BB1877_563 Depth=2
	global_load_u16 v26, v[20:21], off offset:128
.LBB1877_572:                           ;   in Loop: Header=BB1877_563 Depth=2
	s_wait_alu 0xfffe
	s_or_b32 exec_lo, exec_lo, s15
	s_delay_alu instid0(SALU_CYCLE_1)
	s_mov_b32 s15, exec_lo
	v_cmpx_gt_u32_e64 s43, v72
	s_cbranch_execz .LBB1877_574
; %bb.573:                              ;   in Loop: Header=BB1877_563 Depth=2
	global_load_u16 v25, v[20:21], off offset:192
.LBB1877_574:                           ;   in Loop: Header=BB1877_563 Depth=2
	s_wait_alu 0xfffe
	s_or_b32 exec_lo, exec_lo, s15
	s_wait_loadcnt 0x1
	v_dual_mov_b32 v23, 0x7fff :: v_dual_mov_b32 v24, 0x7fff
	s_mov_b32 s15, exec_lo
	v_cmpx_gt_u32_e64 s43, v73
	s_cbranch_execz .LBB1877_576
; %bb.575:                              ;   in Loop: Header=BB1877_563 Depth=2
	global_load_u16 v24, v[20:21], off offset:256
.LBB1877_576:                           ;   in Loop: Header=BB1877_563 Depth=2
	s_wait_alu 0xfffe
	s_or_b32 exec_lo, exec_lo, s15
	s_delay_alu instid0(SALU_CYCLE_1)
	s_mov_b32 s15, exec_lo
	v_cmpx_gt_u32_e64 s43, v74
	s_cbranch_execz .LBB1877_578
; %bb.577:                              ;   in Loop: Header=BB1877_563 Depth=2
	global_load_u16 v23, v[20:21], off offset:320
.LBB1877_578:                           ;   in Loop: Header=BB1877_563 Depth=2
	s_wait_alu 0xfffe
	s_or_b32 exec_lo, exec_lo, s15
	s_wait_loadcnt 0x0
	v_mov_b32_e32 v22, 0x7fff
	s_mov_b32 s15, exec_lo
	v_cmpx_gt_u32_e64 s43, v75
	s_cbranch_execz .LBB1877_580
; %bb.579:                              ;   in Loop: Header=BB1877_563 Depth=2
	global_load_u16 v22, v[20:21], off offset:384
.LBB1877_580:                           ;   in Loop: Header=BB1877_563 Depth=2
	s_wait_alu 0xfffe
	s_or_b32 exec_lo, exec_lo, s15
	v_cmp_gt_u32_e64 s15, s43, v76
	s_sub_co_i32 s16, s34, s30
.LBB1877_581:                           ;   in Loop: Header=BB1877_563 Depth=2
	v_dual_mov_b32 v20, 0x7fff :: v_dual_mov_b32 v101, s43
	s_and_saveexec_b32 s17, s15
	s_cbranch_execz .LBB1877_583
; %bb.582:                              ;   in Loop: Header=BB1877_563 Depth=2
	s_lshl_b64 s[18:19], s[30:31], 1
	s_wait_alu 0xfffe
	v_mov_b32_e32 v101, s16
	v_add_co_u32 v20, vcc_lo, v90, s18
	s_wait_alu 0xfffd
	v_add_co_ci_u32_e64 v21, null, s19, v91, vcc_lo
	global_load_u16 v20, v[20:21], off offset:448
.LBB1877_583:                           ;   in Loop: Header=BB1877_563 Depth=2
	s_wait_alu 0xfffe
	s_or_b32 exec_lo, exec_lo, s17
	s_wait_loadcnt 0x6
	v_cmp_lt_i16_e32 vcc_lo, -1, v2
	ds_store_2addr_b32 v81, v3, v3 offset1:1
	ds_store_2addr_b32 v78, v3, v3 offset1:1
	;; [unrolled: 1-line block ×4, first 2 shown]
	ds_store_b32 v43, v3 offset:1088
	s_wait_loadcnt_dscnt 0x0
	s_barrier_signal -1
	s_wait_alu 0xfffd
	v_cndmask_b32_e64 v21, -1, 0xffff8000, vcc_lo
	s_barrier_wait -1
	global_inv scope:SCOPE_SE
	; wave barrier
	v_xor_b32_e32 v2, v21, v2
	s_delay_alu instid0(VALU_DEP_1) | instskip(SKIP_2) | instid1(VALU_DEP_1)
	v_cmp_ne_u16_e32 vcc_lo, 0x7fff, v2
	s_wait_alu 0xfffd
	v_cndmask_b32_e32 v21, 0xffff8000, v2, vcc_lo
	v_and_b32_e32 v21, 0xffff, v21
	s_delay_alu instid0(VALU_DEP_1) | instskip(NEXT) | instid1(VALU_DEP_1)
	v_lshrrev_b32_e32 v21, s45, v21
	v_and_b32_e32 v103, s42, v21
	s_delay_alu instid0(VALU_DEP_1)
	v_and_b32_e32 v21, 1, v103
	v_lshlrev_b32_e32 v102, 30, v103
	v_lshlrev_b32_e32 v104, 29, v103
	;; [unrolled: 1-line block ×4, first 2 shown]
	v_add_co_u32 v21, s15, v21, -1
	s_wait_alu 0xf1ff
	v_cndmask_b32_e64 v106, 0, 1, s15
	v_not_b32_e32 v110, v102
	v_cmp_gt_i32_e64 s15, 0, v102
	v_not_b32_e32 v102, v104
	v_lshlrev_b32_e32 v108, 26, v103
	v_cmp_ne_u32_e32 vcc_lo, 0, v106
	v_ashrrev_i32_e32 v110, 31, v110
	v_lshlrev_b32_e32 v109, 25, v103
	v_ashrrev_i32_e32 v102, 31, v102
	v_lshlrev_b32_e32 v106, 24, v103
	s_wait_alu 0xfffd
	v_xor_b32_e32 v21, vcc_lo, v21
	v_cmp_gt_i32_e32 vcc_lo, 0, v104
	v_not_b32_e32 v104, v105
	s_wait_alu 0xf1ff
	v_xor_b32_e32 v110, s15, v110
	v_cmp_gt_i32_e64 s15, 0, v105
	v_and_b32_e32 v21, exec_lo, v21
	v_not_b32_e32 v105, v107
	v_ashrrev_i32_e32 v104, 31, v104
	s_wait_alu 0xfffd
	v_xor_b32_e32 v102, vcc_lo, v102
	v_cmp_gt_i32_e32 vcc_lo, 0, v107
	v_and_b32_e32 v21, v21, v110
	v_not_b32_e32 v107, v108
	v_ashrrev_i32_e32 v105, 31, v105
	s_wait_alu 0xf1ff
	v_xor_b32_e32 v104, s15, v104
	v_cmp_gt_i32_e64 s15, 0, v108
	v_and_b32_e32 v21, v21, v102
	v_not_b32_e32 v102, v109
	v_ashrrev_i32_e32 v107, 31, v107
	s_wait_alu 0xfffd
	v_xor_b32_e32 v105, vcc_lo, v105
	v_cmp_gt_i32_e32 vcc_lo, 0, v109
	v_and_b32_e32 v21, v21, v104
	v_not_b32_e32 v104, v106
	v_ashrrev_i32_e32 v102, 31, v102
	s_wait_alu 0xf1ff
	v_xor_b32_e32 v107, s15, v107
	v_cmp_gt_i32_e64 s15, 0, v106
	v_and_b32_e32 v21, v21, v105
	v_ashrrev_i32_e32 v104, 31, v104
	s_wait_alu 0xfffd
	v_xor_b32_e32 v102, vcc_lo, v102
	v_mul_u32_u24_e32 v103, 36, v103
	v_and_b32_e32 v21, v21, v107
	s_wait_alu 0xf1ff
	v_xor_b32_e32 v104, s15, v104
	s_delay_alu instid0(VALU_DEP_2) | instskip(NEXT) | instid1(VALU_DEP_1)
	v_and_b32_e32 v21, v21, v102
	v_and_b32_e32 v21, v21, v104
	v_add_nc_u32_e32 v104, v92, v103
	s_delay_alu instid0(VALU_DEP_2) | instskip(SKIP_1) | instid1(VALU_DEP_2)
	v_mbcnt_lo_u32_b32 v102, v21, 0
	v_cmp_ne_u32_e64 s15, 0, v21
	v_cmp_eq_u32_e32 vcc_lo, 0, v102
	s_and_b32 s16, s15, vcc_lo
	s_wait_alu 0xfffe
	s_and_saveexec_b32 s15, s16
; %bb.584:                              ;   in Loop: Header=BB1877_563 Depth=2
	v_bcnt_u32_b32 v21, v21, 0
	ds_store_b32 v104, v21 offset:1056
; %bb.585:                              ;   in Loop: Header=BB1877_563 Depth=2
	s_wait_alu 0xfffe
	s_or_b32 exec_lo, exec_lo, s15
	v_cmp_lt_i16_e32 vcc_lo, -1, v27
	; wave barrier
	s_wait_alu 0xfffd
	v_cndmask_b32_e64 v21, -1, 0xffff8000, vcc_lo
	s_delay_alu instid0(VALU_DEP_1) | instskip(NEXT) | instid1(VALU_DEP_1)
	v_xor_b32_e32 v103, v21, v27
	v_cmp_ne_u16_e32 vcc_lo, 0x7fff, v103
	s_wait_alu 0xfffd
	v_cndmask_b32_e32 v21, 0xffff8000, v103, vcc_lo
	s_delay_alu instid0(VALU_DEP_1) | instskip(NEXT) | instid1(VALU_DEP_1)
	v_and_b32_e32 v21, 0xffff, v21
	v_lshrrev_b32_e32 v21, s45, v21
	s_delay_alu instid0(VALU_DEP_1) | instskip(NEXT) | instid1(VALU_DEP_1)
	v_and_b32_e32 v27, s42, v21
	v_and_b32_e32 v21, 1, v27
	v_lshlrev_b32_e32 v105, 30, v27
	v_lshlrev_b32_e32 v106, 29, v27
	v_lshlrev_b32_e32 v107, 28, v27
	v_lshlrev_b32_e32 v109, 27, v27
	v_add_co_u32 v21, s15, v21, -1
	s_wait_alu 0xf1ff
	v_cndmask_b32_e64 v108, 0, 1, s15
	v_not_b32_e32 v112, v105
	v_cmp_gt_i32_e64 s15, 0, v105
	v_not_b32_e32 v105, v106
	v_lshlrev_b32_e32 v110, 26, v27
	v_cmp_ne_u32_e32 vcc_lo, 0, v108
	v_ashrrev_i32_e32 v112, 31, v112
	v_lshlrev_b32_e32 v111, 25, v27
	v_ashrrev_i32_e32 v105, 31, v105
	v_lshlrev_b32_e32 v108, 24, v27
	s_wait_alu 0xfffd
	v_xor_b32_e32 v21, vcc_lo, v21
	v_cmp_gt_i32_e32 vcc_lo, 0, v106
	v_not_b32_e32 v106, v107
	s_wait_alu 0xf1ff
	v_xor_b32_e32 v112, s15, v112
	v_cmp_gt_i32_e64 s15, 0, v107
	v_and_b32_e32 v21, exec_lo, v21
	v_not_b32_e32 v107, v109
	v_ashrrev_i32_e32 v106, 31, v106
	s_wait_alu 0xfffd
	v_xor_b32_e32 v105, vcc_lo, v105
	v_cmp_gt_i32_e32 vcc_lo, 0, v109
	v_and_b32_e32 v21, v21, v112
	v_not_b32_e32 v109, v110
	v_ashrrev_i32_e32 v107, 31, v107
	s_wait_alu 0xf1ff
	v_xor_b32_e32 v106, s15, v106
	v_cmp_gt_i32_e64 s15, 0, v110
	v_and_b32_e32 v21, v21, v105
	v_not_b32_e32 v105, v111
	v_ashrrev_i32_e32 v109, 31, v109
	s_wait_alu 0xfffd
	v_xor_b32_e32 v107, vcc_lo, v107
	v_cmp_gt_i32_e32 vcc_lo, 0, v111
	v_and_b32_e32 v21, v21, v106
	v_not_b32_e32 v106, v108
	v_ashrrev_i32_e32 v105, 31, v105
	s_wait_alu 0xf1ff
	v_xor_b32_e32 v109, s15, v109
	v_cmp_gt_i32_e64 s15, 0, v108
	v_and_b32_e32 v21, v21, v107
	v_ashrrev_i32_e32 v106, 31, v106
	s_wait_alu 0xfffd
	v_xor_b32_e32 v105, vcc_lo, v105
	v_mad_u32_u24 v107, v27, 36, v92
	v_mul_u32_u24_e32 v27, 36, v27
	v_and_b32_e32 v21, v21, v109
	s_wait_alu 0xf1ff
	v_xor_b32_e32 v106, s15, v106
	s_delay_alu instid0(VALU_DEP_3) | instskip(NEXT) | instid1(VALU_DEP_3)
	v_add_nc_u32_e32 v108, v92, v27
	v_and_b32_e32 v21, v21, v105
	ds_load_b32 v105, v107 offset:1056
	; wave barrier
	v_and_b32_e32 v21, v21, v106
	s_delay_alu instid0(VALU_DEP_1) | instskip(SKIP_1) | instid1(VALU_DEP_2)
	v_mbcnt_lo_u32_b32 v106, v21, 0
	v_cmp_ne_u32_e64 s15, 0, v21
	v_cmp_eq_u32_e32 vcc_lo, 0, v106
	s_and_b32 s16, s15, vcc_lo
	s_wait_alu 0xfffe
	s_and_saveexec_b32 s15, s16
	s_cbranch_execz .LBB1877_587
; %bb.586:                              ;   in Loop: Header=BB1877_563 Depth=2
	s_wait_dscnt 0x0
	v_bcnt_u32_b32 v21, v21, v105
	ds_store_b32 v108, v21 offset:1056
.LBB1877_587:                           ;   in Loop: Header=BB1877_563 Depth=2
	s_wait_alu 0xfffe
	s_or_b32 exec_lo, exec_lo, s15
	v_cmp_lt_i16_e32 vcc_lo, -1, v26
	; wave barrier
	s_wait_alu 0xfffd
	v_cndmask_b32_e64 v21, -1, 0xffff8000, vcc_lo
	s_delay_alu instid0(VALU_DEP_1) | instskip(NEXT) | instid1(VALU_DEP_1)
	v_xor_b32_e32 v107, v21, v26
	v_cmp_ne_u16_e32 vcc_lo, 0x7fff, v107
	s_wait_alu 0xfffd
	v_cndmask_b32_e32 v21, 0xffff8000, v107, vcc_lo
	s_delay_alu instid0(VALU_DEP_1) | instskip(NEXT) | instid1(VALU_DEP_1)
	v_and_b32_e32 v21, 0xffff, v21
	v_lshrrev_b32_e32 v21, s45, v21
	s_delay_alu instid0(VALU_DEP_1) | instskip(NEXT) | instid1(VALU_DEP_1)
	v_and_b32_e32 v26, s42, v21
	v_and_b32_e32 v21, 1, v26
	v_lshlrev_b32_e32 v27, 30, v26
	v_lshlrev_b32_e32 v109, 29, v26
	;; [unrolled: 1-line block ×4, first 2 shown]
	v_add_co_u32 v21, s15, v21, -1
	s_wait_alu 0xf1ff
	v_cndmask_b32_e64 v111, 0, 1, s15
	v_not_b32_e32 v115, v27
	v_cmp_gt_i32_e64 s15, 0, v27
	v_not_b32_e32 v27, v109
	v_lshlrev_b32_e32 v113, 26, v26
	v_cmp_ne_u32_e32 vcc_lo, 0, v111
	v_ashrrev_i32_e32 v115, 31, v115
	v_lshlrev_b32_e32 v114, 25, v26
	v_ashrrev_i32_e32 v27, 31, v27
	v_lshlrev_b32_e32 v111, 24, v26
	s_wait_alu 0xfffd
	v_xor_b32_e32 v21, vcc_lo, v21
	v_cmp_gt_i32_e32 vcc_lo, 0, v109
	v_not_b32_e32 v109, v110
	s_wait_alu 0xf1ff
	v_xor_b32_e32 v115, s15, v115
	v_cmp_gt_i32_e64 s15, 0, v110
	v_and_b32_e32 v21, exec_lo, v21
	v_not_b32_e32 v110, v112
	v_ashrrev_i32_e32 v109, 31, v109
	s_wait_alu 0xfffd
	v_xor_b32_e32 v27, vcc_lo, v27
	v_cmp_gt_i32_e32 vcc_lo, 0, v112
	v_and_b32_e32 v21, v21, v115
	v_not_b32_e32 v112, v113
	v_ashrrev_i32_e32 v110, 31, v110
	s_wait_alu 0xf1ff
	v_xor_b32_e32 v109, s15, v109
	v_cmp_gt_i32_e64 s15, 0, v113
	v_and_b32_e32 v21, v21, v27
	v_not_b32_e32 v27, v114
	v_ashrrev_i32_e32 v112, 31, v112
	s_wait_alu 0xfffd
	v_xor_b32_e32 v110, vcc_lo, v110
	v_cmp_gt_i32_e32 vcc_lo, 0, v114
	v_and_b32_e32 v21, v21, v109
	v_not_b32_e32 v109, v111
	v_ashrrev_i32_e32 v27, 31, v27
	s_wait_alu 0xf1ff
	v_xor_b32_e32 v112, s15, v112
	v_cmp_gt_i32_e64 s15, 0, v111
	v_and_b32_e32 v21, v21, v110
	v_ashrrev_i32_e32 v109, 31, v109
	s_wait_alu 0xfffd
	v_xor_b32_e32 v27, vcc_lo, v27
	v_mad_u32_u24 v110, v26, 36, v92
	v_mul_u32_u24_e32 v26, 36, v26
	v_and_b32_e32 v21, v21, v112
	s_wait_alu 0xf1ff
	v_xor_b32_e32 v111, s15, v109
	ds_load_b32 v109, v110 offset:1056
	v_add_nc_u32_e32 v112, v92, v26
	v_and_b32_e32 v21, v21, v27
	; wave barrier
	s_delay_alu instid0(VALU_DEP_1) | instskip(NEXT) | instid1(VALU_DEP_1)
	v_and_b32_e32 v21, v21, v111
	v_mbcnt_lo_u32_b32 v111, v21, 0
	v_cmp_ne_u32_e64 s15, 0, v21
	s_delay_alu instid0(VALU_DEP_2)
	v_cmp_eq_u32_e32 vcc_lo, 0, v111
	s_and_b32 s16, s15, vcc_lo
	s_wait_alu 0xfffe
	s_and_saveexec_b32 s15, s16
	s_cbranch_execz .LBB1877_589
; %bb.588:                              ;   in Loop: Header=BB1877_563 Depth=2
	s_wait_dscnt 0x0
	v_bcnt_u32_b32 v21, v21, v109
	ds_store_b32 v112, v21 offset:1056
.LBB1877_589:                           ;   in Loop: Header=BB1877_563 Depth=2
	s_wait_alu 0xfffe
	s_or_b32 exec_lo, exec_lo, s15
	v_cmp_lt_i16_e32 vcc_lo, -1, v25
	; wave barrier
	s_wait_alu 0xfffd
	v_cndmask_b32_e64 v21, -1, 0xffff8000, vcc_lo
	s_delay_alu instid0(VALU_DEP_1) | instskip(NEXT) | instid1(VALU_DEP_1)
	v_xor_b32_e32 v110, v21, v25
	v_cmp_ne_u16_e32 vcc_lo, 0x7fff, v110
	s_wait_alu 0xfffd
	v_cndmask_b32_e32 v21, 0xffff8000, v110, vcc_lo
	s_delay_alu instid0(VALU_DEP_1) | instskip(NEXT) | instid1(VALU_DEP_1)
	v_and_b32_e32 v21, 0xffff, v21
	v_lshrrev_b32_e32 v21, s45, v21
	s_delay_alu instid0(VALU_DEP_1) | instskip(NEXT) | instid1(VALU_DEP_1)
	v_and_b32_e32 v25, s42, v21
	v_and_b32_e32 v21, 1, v25
	v_lshlrev_b32_e32 v26, 30, v25
	v_lshlrev_b32_e32 v27, 29, v25
	;; [unrolled: 1-line block ×4, first 2 shown]
	v_add_co_u32 v21, s15, v21, -1
	s_wait_alu 0xf1ff
	v_cndmask_b32_e64 v114, 0, 1, s15
	v_not_b32_e32 v118, v26
	v_cmp_gt_i32_e64 s15, 0, v26
	v_not_b32_e32 v26, v27
	v_lshlrev_b32_e32 v116, 26, v25
	v_cmp_ne_u32_e32 vcc_lo, 0, v114
	v_ashrrev_i32_e32 v118, 31, v118
	v_lshlrev_b32_e32 v117, 25, v25
	v_ashrrev_i32_e32 v26, 31, v26
	v_lshlrev_b32_e32 v114, 24, v25
	s_wait_alu 0xfffd
	v_xor_b32_e32 v21, vcc_lo, v21
	v_cmp_gt_i32_e32 vcc_lo, 0, v27
	v_not_b32_e32 v27, v113
	s_wait_alu 0xf1ff
	v_xor_b32_e32 v118, s15, v118
	v_cmp_gt_i32_e64 s15, 0, v113
	v_and_b32_e32 v21, exec_lo, v21
	v_not_b32_e32 v113, v115
	v_ashrrev_i32_e32 v27, 31, v27
	s_wait_alu 0xfffd
	v_xor_b32_e32 v26, vcc_lo, v26
	v_cmp_gt_i32_e32 vcc_lo, 0, v115
	v_and_b32_e32 v21, v21, v118
	v_not_b32_e32 v115, v116
	v_ashrrev_i32_e32 v113, 31, v113
	s_wait_alu 0xf1ff
	v_xor_b32_e32 v27, s15, v27
	v_cmp_gt_i32_e64 s15, 0, v116
	v_and_b32_e32 v21, v21, v26
	v_not_b32_e32 v26, v117
	v_ashrrev_i32_e32 v115, 31, v115
	s_wait_alu 0xfffd
	v_xor_b32_e32 v113, vcc_lo, v113
	v_cmp_gt_i32_e32 vcc_lo, 0, v117
	v_and_b32_e32 v21, v21, v27
	v_not_b32_e32 v27, v114
	v_ashrrev_i32_e32 v26, 31, v26
	s_wait_alu 0xf1ff
	v_xor_b32_e32 v115, s15, v115
	v_cmp_gt_i32_e64 s15, 0, v114
	v_and_b32_e32 v21, v21, v113
	v_ashrrev_i32_e32 v27, 31, v27
	s_wait_alu 0xfffd
	v_xor_b32_e32 v26, vcc_lo, v26
	v_mad_u32_u24 v113, v25, 36, v92
	v_mul_u32_u24_e32 v25, 36, v25
	v_and_b32_e32 v21, v21, v115
	s_wait_alu 0xf1ff
	v_xor_b32_e32 v27, s15, v27
	ds_load_b32 v113, v113 offset:1056
	v_add_nc_u32_e32 v116, v92, v25
	v_and_b32_e32 v21, v21, v26
	; wave barrier
	s_delay_alu instid0(VALU_DEP_1) | instskip(NEXT) | instid1(VALU_DEP_1)
	v_and_b32_e32 v21, v21, v27
	v_mbcnt_lo_u32_b32 v115, v21, 0
	v_cmp_ne_u32_e64 s15, 0, v21
	s_delay_alu instid0(VALU_DEP_2)
	v_cmp_eq_u32_e32 vcc_lo, 0, v115
	s_and_b32 s16, s15, vcc_lo
	s_wait_alu 0xfffe
	s_and_saveexec_b32 s15, s16
	s_cbranch_execz .LBB1877_591
; %bb.590:                              ;   in Loop: Header=BB1877_563 Depth=2
	s_wait_dscnt 0x0
	v_bcnt_u32_b32 v21, v21, v113
	ds_store_b32 v116, v21 offset:1056
.LBB1877_591:                           ;   in Loop: Header=BB1877_563 Depth=2
	s_wait_alu 0xfffe
	s_or_b32 exec_lo, exec_lo, s15
	v_cmp_lt_i16_e32 vcc_lo, -1, v24
	; wave barrier
	s_wait_alu 0xfffd
	v_cndmask_b32_e64 v21, -1, 0xffff8000, vcc_lo
	s_delay_alu instid0(VALU_DEP_1) | instskip(NEXT) | instid1(VALU_DEP_1)
	v_xor_b32_e32 v114, v21, v24
	v_cmp_ne_u16_e32 vcc_lo, 0x7fff, v114
	s_wait_alu 0xfffd
	v_cndmask_b32_e32 v21, 0xffff8000, v114, vcc_lo
	s_delay_alu instid0(VALU_DEP_1) | instskip(NEXT) | instid1(VALU_DEP_1)
	v_and_b32_e32 v21, 0xffff, v21
	v_lshrrev_b32_e32 v21, s45, v21
	s_delay_alu instid0(VALU_DEP_1) | instskip(NEXT) | instid1(VALU_DEP_1)
	v_and_b32_e32 v24, s42, v21
	v_and_b32_e32 v21, 1, v24
	v_lshlrev_b32_e32 v25, 30, v24
	v_lshlrev_b32_e32 v26, 29, v24
	;; [unrolled: 1-line block ×4, first 2 shown]
	v_add_co_u32 v21, s15, v21, -1
	s_wait_alu 0xf1ff
	v_cndmask_b32_e64 v117, 0, 1, s15
	v_not_b32_e32 v121, v25
	v_cmp_gt_i32_e64 s15, 0, v25
	v_not_b32_e32 v25, v26
	v_lshlrev_b32_e32 v119, 26, v24
	v_cmp_ne_u32_e32 vcc_lo, 0, v117
	v_ashrrev_i32_e32 v121, 31, v121
	v_lshlrev_b32_e32 v120, 25, v24
	v_ashrrev_i32_e32 v25, 31, v25
	v_lshlrev_b32_e32 v117, 24, v24
	s_wait_alu 0xfffd
	v_xor_b32_e32 v21, vcc_lo, v21
	v_cmp_gt_i32_e32 vcc_lo, 0, v26
	v_not_b32_e32 v26, v27
	s_wait_alu 0xf1ff
	v_xor_b32_e32 v121, s15, v121
	v_cmp_gt_i32_e64 s15, 0, v27
	v_and_b32_e32 v21, exec_lo, v21
	v_not_b32_e32 v27, v118
	v_ashrrev_i32_e32 v26, 31, v26
	s_wait_alu 0xfffd
	v_xor_b32_e32 v25, vcc_lo, v25
	v_cmp_gt_i32_e32 vcc_lo, 0, v118
	v_and_b32_e32 v21, v21, v121
	v_not_b32_e32 v118, v119
	v_ashrrev_i32_e32 v27, 31, v27
	s_wait_alu 0xf1ff
	v_xor_b32_e32 v26, s15, v26
	v_cmp_gt_i32_e64 s15, 0, v119
	v_and_b32_e32 v21, v21, v25
	v_not_b32_e32 v25, v120
	v_ashrrev_i32_e32 v118, 31, v118
	s_wait_alu 0xfffd
	v_xor_b32_e32 v27, vcc_lo, v27
	v_cmp_gt_i32_e32 vcc_lo, 0, v120
	v_and_b32_e32 v21, v21, v26
	v_not_b32_e32 v26, v117
	v_ashrrev_i32_e32 v25, 31, v25
	s_wait_alu 0xf1ff
	v_xor_b32_e32 v118, s15, v118
	v_cmp_gt_i32_e64 s15, 0, v117
	v_and_b32_e32 v21, v21, v27
	v_ashrrev_i32_e32 v26, 31, v26
	s_wait_alu 0xfffd
	v_xor_b32_e32 v25, vcc_lo, v25
	v_mad_u32_u24 v27, v24, 36, v92
	v_mul_u32_u24_e32 v24, 36, v24
	v_and_b32_e32 v21, v21, v118
	s_wait_alu 0xf1ff
	v_xor_b32_e32 v26, s15, v26
	ds_load_b32 v117, v27 offset:1056
	v_add_nc_u32_e32 v120, v92, v24
	v_and_b32_e32 v21, v21, v25
	; wave barrier
	s_delay_alu instid0(VALU_DEP_1) | instskip(NEXT) | instid1(VALU_DEP_1)
	v_and_b32_e32 v21, v21, v26
	v_mbcnt_lo_u32_b32 v119, v21, 0
	v_cmp_ne_u32_e64 s15, 0, v21
	s_delay_alu instid0(VALU_DEP_2)
	v_cmp_eq_u32_e32 vcc_lo, 0, v119
	s_and_b32 s16, s15, vcc_lo
	s_wait_alu 0xfffe
	s_and_saveexec_b32 s15, s16
	s_cbranch_execz .LBB1877_593
; %bb.592:                              ;   in Loop: Header=BB1877_563 Depth=2
	s_wait_dscnt 0x0
	v_bcnt_u32_b32 v21, v21, v117
	ds_store_b32 v120, v21 offset:1056
.LBB1877_593:                           ;   in Loop: Header=BB1877_563 Depth=2
	s_wait_alu 0xfffe
	s_or_b32 exec_lo, exec_lo, s15
	v_cmp_lt_i16_e32 vcc_lo, -1, v23
	; wave barrier
	s_wait_alu 0xfffd
	v_cndmask_b32_e64 v21, -1, 0xffff8000, vcc_lo
	s_delay_alu instid0(VALU_DEP_1) | instskip(NEXT) | instid1(VALU_DEP_1)
	v_xor_b32_e32 v118, v21, v23
	v_cmp_ne_u16_e32 vcc_lo, 0x7fff, v118
	s_wait_alu 0xfffd
	v_cndmask_b32_e32 v21, 0xffff8000, v118, vcc_lo
	s_delay_alu instid0(VALU_DEP_1) | instskip(NEXT) | instid1(VALU_DEP_1)
	v_and_b32_e32 v21, 0xffff, v21
	v_lshrrev_b32_e32 v21, s45, v21
	s_delay_alu instid0(VALU_DEP_1) | instskip(NEXT) | instid1(VALU_DEP_1)
	v_and_b32_e32 v23, s42, v21
	v_and_b32_e32 v21, 1, v23
	v_lshlrev_b32_e32 v24, 30, v23
	v_lshlrev_b32_e32 v25, 29, v23
	v_lshlrev_b32_e32 v26, 28, v23
	v_lshlrev_b32_e32 v121, 27, v23
	v_add_co_u32 v21, s15, v21, -1
	s_wait_alu 0xf1ff
	v_cndmask_b32_e64 v27, 0, 1, s15
	v_not_b32_e32 v124, v24
	v_cmp_gt_i32_e64 s15, 0, v24
	v_not_b32_e32 v24, v25
	v_lshlrev_b32_e32 v122, 26, v23
	v_cmp_ne_u32_e32 vcc_lo, 0, v27
	v_ashrrev_i32_e32 v124, 31, v124
	v_lshlrev_b32_e32 v123, 25, v23
	v_ashrrev_i32_e32 v24, 31, v24
	v_lshlrev_b32_e32 v27, 24, v23
	s_wait_alu 0xfffd
	v_xor_b32_e32 v21, vcc_lo, v21
	v_cmp_gt_i32_e32 vcc_lo, 0, v25
	v_not_b32_e32 v25, v26
	s_wait_alu 0xf1ff
	v_xor_b32_e32 v124, s15, v124
	v_cmp_gt_i32_e64 s15, 0, v26
	v_and_b32_e32 v21, exec_lo, v21
	v_not_b32_e32 v26, v121
	v_ashrrev_i32_e32 v25, 31, v25
	s_wait_alu 0xfffd
	v_xor_b32_e32 v24, vcc_lo, v24
	v_cmp_gt_i32_e32 vcc_lo, 0, v121
	v_and_b32_e32 v21, v21, v124
	v_not_b32_e32 v121, v122
	v_ashrrev_i32_e32 v26, 31, v26
	s_wait_alu 0xf1ff
	v_xor_b32_e32 v25, s15, v25
	v_cmp_gt_i32_e64 s15, 0, v122
	v_and_b32_e32 v21, v21, v24
	v_not_b32_e32 v24, v123
	v_ashrrev_i32_e32 v121, 31, v121
	s_wait_alu 0xfffd
	v_xor_b32_e32 v26, vcc_lo, v26
	v_cmp_gt_i32_e32 vcc_lo, 0, v123
	v_and_b32_e32 v21, v21, v25
	v_not_b32_e32 v25, v27
	v_ashrrev_i32_e32 v24, 31, v24
	s_wait_alu 0xf1ff
	v_xor_b32_e32 v121, s15, v121
	v_cmp_gt_i32_e64 s15, 0, v27
	v_and_b32_e32 v21, v21, v26
	v_ashrrev_i32_e32 v25, 31, v25
	s_wait_alu 0xfffd
	v_xor_b32_e32 v24, vcc_lo, v24
	v_mad_u32_u24 v26, v23, 36, v92
	v_mul_u32_u24_e32 v23, 36, v23
	v_and_b32_e32 v21, v21, v121
	s_wait_alu 0xf1ff
	v_xor_b32_e32 v25, s15, v25
	ds_load_b32 v121, v26 offset:1056
	v_add_nc_u32_e32 v124, v92, v23
	v_and_b32_e32 v21, v21, v24
	; wave barrier
	s_delay_alu instid0(VALU_DEP_1) | instskip(NEXT) | instid1(VALU_DEP_1)
	v_and_b32_e32 v21, v21, v25
	v_mbcnt_lo_u32_b32 v123, v21, 0
	v_cmp_ne_u32_e64 s15, 0, v21
	s_delay_alu instid0(VALU_DEP_2)
	v_cmp_eq_u32_e32 vcc_lo, 0, v123
	s_and_b32 s16, s15, vcc_lo
	s_wait_alu 0xfffe
	s_and_saveexec_b32 s15, s16
	s_cbranch_execz .LBB1877_595
; %bb.594:                              ;   in Loop: Header=BB1877_563 Depth=2
	s_wait_dscnt 0x0
	v_bcnt_u32_b32 v21, v21, v121
	ds_store_b32 v124, v21 offset:1056
.LBB1877_595:                           ;   in Loop: Header=BB1877_563 Depth=2
	s_wait_alu 0xfffe
	s_or_b32 exec_lo, exec_lo, s15
	v_cmp_lt_i16_e32 vcc_lo, -1, v22
	; wave barrier
	s_wait_alu 0xfffd
	v_cndmask_b32_e64 v21, -1, 0xffff8000, vcc_lo
	s_delay_alu instid0(VALU_DEP_1) | instskip(NEXT) | instid1(VALU_DEP_1)
	v_xor_b32_e32 v122, v21, v22
	v_cmp_ne_u16_e32 vcc_lo, 0x7fff, v122
	s_wait_alu 0xfffd
	v_cndmask_b32_e32 v21, 0xffff8000, v122, vcc_lo
	s_delay_alu instid0(VALU_DEP_1) | instskip(NEXT) | instid1(VALU_DEP_1)
	v_and_b32_e32 v21, 0xffff, v21
	v_lshrrev_b32_e32 v21, s45, v21
	s_delay_alu instid0(VALU_DEP_1) | instskip(NEXT) | instid1(VALU_DEP_1)
	v_and_b32_e32 v22, s42, v21
	v_and_b32_e32 v21, 1, v22
	v_lshlrev_b32_e32 v23, 30, v22
	v_lshlrev_b32_e32 v24, 29, v22
	;; [unrolled: 1-line block ×4, first 2 shown]
	v_add_co_u32 v21, s15, v21, -1
	s_wait_alu 0xf1ff
	v_cndmask_b32_e64 v26, 0, 1, s15
	v_not_b32_e32 v127, v23
	v_cmp_gt_i32_e64 s15, 0, v23
	v_not_b32_e32 v23, v24
	v_lshlrev_b32_e32 v125, 26, v22
	v_cmp_ne_u32_e32 vcc_lo, 0, v26
	v_ashrrev_i32_e32 v127, 31, v127
	v_lshlrev_b32_e32 v126, 25, v22
	v_ashrrev_i32_e32 v23, 31, v23
	v_lshlrev_b32_e32 v26, 24, v22
	s_wait_alu 0xfffd
	v_xor_b32_e32 v21, vcc_lo, v21
	v_cmp_gt_i32_e32 vcc_lo, 0, v24
	v_not_b32_e32 v24, v25
	s_wait_alu 0xf1ff
	v_xor_b32_e32 v127, s15, v127
	v_cmp_gt_i32_e64 s15, 0, v25
	v_and_b32_e32 v21, exec_lo, v21
	v_not_b32_e32 v25, v27
	v_ashrrev_i32_e32 v24, 31, v24
	s_wait_alu 0xfffd
	v_xor_b32_e32 v23, vcc_lo, v23
	v_cmp_gt_i32_e32 vcc_lo, 0, v27
	v_and_b32_e32 v21, v21, v127
	v_not_b32_e32 v27, v125
	v_ashrrev_i32_e32 v25, 31, v25
	s_wait_alu 0xf1ff
	v_xor_b32_e32 v24, s15, v24
	v_cmp_gt_i32_e64 s15, 0, v125
	v_and_b32_e32 v21, v21, v23
	v_not_b32_e32 v23, v126
	v_ashrrev_i32_e32 v27, 31, v27
	s_wait_alu 0xfffd
	v_xor_b32_e32 v25, vcc_lo, v25
	v_cmp_gt_i32_e32 vcc_lo, 0, v126
	v_and_b32_e32 v21, v21, v24
	v_not_b32_e32 v24, v26
	v_ashrrev_i32_e32 v23, 31, v23
	s_wait_alu 0xf1ff
	v_xor_b32_e32 v27, s15, v27
	v_cmp_gt_i32_e64 s15, 0, v26
	v_and_b32_e32 v21, v21, v25
	v_ashrrev_i32_e32 v24, 31, v24
	s_wait_alu 0xfffd
	v_xor_b32_e32 v23, vcc_lo, v23
	v_mad_u32_u24 v25, v22, 36, v92
	v_mul_u32_u24_e32 v22, 36, v22
	v_and_b32_e32 v21, v21, v27
	s_wait_alu 0xf1ff
	v_xor_b32_e32 v24, s15, v24
	ds_load_b32 v125, v25 offset:1056
	v_add_nc_u32_e32 v128, v92, v22
	v_and_b32_e32 v21, v21, v23
	; wave barrier
	s_delay_alu instid0(VALU_DEP_1) | instskip(NEXT) | instid1(VALU_DEP_1)
	v_and_b32_e32 v21, v21, v24
	v_mbcnt_lo_u32_b32 v126, v21, 0
	v_cmp_ne_u32_e64 s15, 0, v21
	s_delay_alu instid0(VALU_DEP_2)
	v_cmp_eq_u32_e32 vcc_lo, 0, v126
	s_and_b32 s16, s15, vcc_lo
	s_wait_alu 0xfffe
	s_and_saveexec_b32 s15, s16
	s_cbranch_execz .LBB1877_597
; %bb.596:                              ;   in Loop: Header=BB1877_563 Depth=2
	s_wait_dscnt 0x0
	v_bcnt_u32_b32 v21, v21, v125
	ds_store_b32 v128, v21 offset:1056
.LBB1877_597:                           ;   in Loop: Header=BB1877_563 Depth=2
	s_wait_alu 0xfffe
	s_or_b32 exec_lo, exec_lo, s15
	v_cmp_lt_i16_e32 vcc_lo, -1, v20
	; wave barrier
	s_wait_alu 0xfffd
	v_cndmask_b32_e64 v21, -1, 0xffff8000, vcc_lo
	s_delay_alu instid0(VALU_DEP_1) | instskip(NEXT) | instid1(VALU_DEP_1)
	v_xor_b32_e32 v127, v21, v20
	v_cmp_ne_u16_e32 vcc_lo, 0x7fff, v127
	s_wait_alu 0xfffd
	v_cndmask_b32_e32 v20, 0xffff8000, v127, vcc_lo
	s_delay_alu instid0(VALU_DEP_1) | instskip(NEXT) | instid1(VALU_DEP_1)
	v_and_b32_e32 v20, 0xffff, v20
	v_lshrrev_b32_e32 v20, s45, v20
	s_delay_alu instid0(VALU_DEP_1) | instskip(NEXT) | instid1(VALU_DEP_1)
	v_and_b32_e32 v21, s42, v20
	v_and_b32_e32 v20, 1, v21
	v_lshlrev_b32_e32 v22, 30, v21
	v_lshlrev_b32_e32 v23, 29, v21
	;; [unrolled: 1-line block ×4, first 2 shown]
	v_add_co_u32 v20, s15, v20, -1
	s_wait_alu 0xf1ff
	v_cndmask_b32_e64 v25, 0, 1, s15
	v_not_b32_e32 v130, v22
	v_cmp_gt_i32_e64 s15, 0, v22
	v_not_b32_e32 v22, v23
	v_lshlrev_b32_e32 v27, 26, v21
	v_cmp_ne_u32_e32 vcc_lo, 0, v25
	v_ashrrev_i32_e32 v130, 31, v130
	v_lshlrev_b32_e32 v129, 25, v21
	v_ashrrev_i32_e32 v22, 31, v22
	v_lshlrev_b32_e32 v25, 24, v21
	s_wait_alu 0xfffd
	v_xor_b32_e32 v20, vcc_lo, v20
	v_cmp_gt_i32_e32 vcc_lo, 0, v23
	v_not_b32_e32 v23, v24
	s_wait_alu 0xf1ff
	v_xor_b32_e32 v130, s15, v130
	v_cmp_gt_i32_e64 s15, 0, v24
	v_and_b32_e32 v20, exec_lo, v20
	v_not_b32_e32 v24, v26
	v_ashrrev_i32_e32 v23, 31, v23
	s_wait_alu 0xfffd
	v_xor_b32_e32 v22, vcc_lo, v22
	v_cmp_gt_i32_e32 vcc_lo, 0, v26
	v_and_b32_e32 v20, v20, v130
	v_not_b32_e32 v26, v27
	v_ashrrev_i32_e32 v24, 31, v24
	s_wait_alu 0xf1ff
	v_xor_b32_e32 v23, s15, v23
	v_cmp_gt_i32_e64 s15, 0, v27
	v_and_b32_e32 v20, v20, v22
	v_not_b32_e32 v22, v129
	v_ashrrev_i32_e32 v26, 31, v26
	s_wait_alu 0xfffd
	v_xor_b32_e32 v24, vcc_lo, v24
	v_cmp_gt_i32_e32 vcc_lo, 0, v129
	v_and_b32_e32 v20, v20, v23
	v_not_b32_e32 v23, v25
	v_ashrrev_i32_e32 v22, 31, v22
	s_wait_alu 0xf1ff
	v_xor_b32_e32 v26, s15, v26
	v_cmp_gt_i32_e64 s15, 0, v25
	v_and_b32_e32 v20, v20, v24
	v_ashrrev_i32_e32 v23, 31, v23
	s_wait_alu 0xfffd
	v_xor_b32_e32 v22, vcc_lo, v22
	v_mad_u32_u24 v24, v21, 36, v92
	v_mul_u32_u24_e32 v21, 36, v21
	v_and_b32_e32 v20, v20, v26
	s_wait_alu 0xf1ff
	v_xor_b32_e32 v23, s15, v23
	ds_load_b32 v129, v24 offset:1056
	v_add_nc_u32_e32 v131, v92, v21
	v_and_b32_e32 v20, v20, v22
	; wave barrier
	s_delay_alu instid0(VALU_DEP_1) | instskip(NEXT) | instid1(VALU_DEP_1)
	v_and_b32_e32 v20, v20, v23
	v_mbcnt_lo_u32_b32 v130, v20, 0
	v_cmp_ne_u32_e64 s15, 0, v20
	s_delay_alu instid0(VALU_DEP_2)
	v_cmp_eq_u32_e32 vcc_lo, 0, v130
	s_and_b32 s16, s15, vcc_lo
	s_wait_alu 0xfffe
	s_and_saveexec_b32 s15, s16
	s_cbranch_execz .LBB1877_599
; %bb.598:                              ;   in Loop: Header=BB1877_563 Depth=2
	s_wait_dscnt 0x0
	v_bcnt_u32_b32 v20, v20, v129
	ds_store_b32 v131, v20 offset:1056
.LBB1877_599:                           ;   in Loop: Header=BB1877_563 Depth=2
	s_wait_alu 0xfffe
	s_or_b32 exec_lo, exec_lo, s15
	; wave barrier
	s_wait_loadcnt_dscnt 0x0
	s_barrier_signal -1
	s_barrier_wait -1
	global_inv scope:SCOPE_SE
	ds_load_2addr_b32 v[26:27], v78 offset1:1
	ds_load_2addr_b32 v[24:25], v79 offset1:1
	;; [unrolled: 1-line block ×4, first 2 shown]
	ds_load_b32 v132, v43 offset:1088
	s_wait_dscnt 0x3
	v_add3_u32 v133, v27, v26, v24
	s_wait_dscnt 0x2
	s_delay_alu instid0(VALU_DEP_1) | instskip(SKIP_1) | instid1(VALU_DEP_1)
	v_add3_u32 v133, v133, v25, v22
	s_wait_dscnt 0x1
	v_add3_u32 v133, v133, v23, v20
	s_wait_dscnt 0x0
	s_delay_alu instid0(VALU_DEP_1) | instskip(NEXT) | instid1(VALU_DEP_1)
	v_add3_u32 v132, v133, v21, v132
	v_mov_b32_dpp v133, v132 row_shr:1 row_mask:0xf bank_mask:0xf
	s_delay_alu instid0(VALU_DEP_1) | instskip(NEXT) | instid1(VALU_DEP_1)
	v_cndmask_b32_e64 v133, v133, 0, s0
	v_add_nc_u32_e32 v132, v133, v132
	s_delay_alu instid0(VALU_DEP_1) | instskip(NEXT) | instid1(VALU_DEP_1)
	v_mov_b32_dpp v133, v132 row_shr:2 row_mask:0xf bank_mask:0xf
	v_cndmask_b32_e64 v133, 0, v133, s1
	s_delay_alu instid0(VALU_DEP_1) | instskip(NEXT) | instid1(VALU_DEP_1)
	v_add_nc_u32_e32 v132, v132, v133
	v_mov_b32_dpp v133, v132 row_shr:4 row_mask:0xf bank_mask:0xf
	s_delay_alu instid0(VALU_DEP_1) | instskip(NEXT) | instid1(VALU_DEP_1)
	v_cndmask_b32_e64 v133, 0, v133, s9
	v_add_nc_u32_e32 v132, v132, v133
	s_delay_alu instid0(VALU_DEP_1) | instskip(NEXT) | instid1(VALU_DEP_1)
	v_mov_b32_dpp v133, v132 row_shr:8 row_mask:0xf bank_mask:0xf
	v_cndmask_b32_e64 v133, 0, v133, s10
	s_delay_alu instid0(VALU_DEP_1) | instskip(SKIP_3) | instid1(VALU_DEP_1)
	v_add_nc_u32_e32 v132, v132, v133
	ds_swizzle_b32 v133, v132 offset:swizzle(BROADCAST,32,15)
	s_wait_dscnt 0x0
	v_cndmask_b32_e64 v133, v133, 0, s11
	v_add_nc_u32_e32 v132, v132, v133
	s_and_saveexec_b32 s15, s3
; %bb.600:                              ;   in Loop: Header=BB1877_563 Depth=2
	ds_store_b32 v38, v132 offset:1024
; %bb.601:                              ;   in Loop: Header=BB1877_563 Depth=2
	s_wait_alu 0xfffe
	s_or_b32 exec_lo, exec_lo, s15
	s_wait_loadcnt_dscnt 0x0
	s_barrier_signal -1
	s_barrier_wait -1
	global_inv scope:SCOPE_SE
	s_and_saveexec_b32 s15, s4
	s_cbranch_execz .LBB1877_603
; %bb.602:                              ;   in Loop: Header=BB1877_563 Depth=2
	ds_load_b32 v133, v46 offset:1024
	s_wait_dscnt 0x0
	v_mov_b32_dpp v134, v133 row_shr:1 row_mask:0xf bank_mask:0xf
	s_delay_alu instid0(VALU_DEP_1) | instskip(NEXT) | instid1(VALU_DEP_1)
	v_cndmask_b32_e64 v134, v134, 0, s12
	v_add_nc_u32_e32 v133, v134, v133
	s_delay_alu instid0(VALU_DEP_1) | instskip(NEXT) | instid1(VALU_DEP_1)
	v_mov_b32_dpp v134, v133 row_shr:2 row_mask:0xf bank_mask:0xf
	v_cndmask_b32_e64 v134, 0, v134, s13
	s_delay_alu instid0(VALU_DEP_1) | instskip(NEXT) | instid1(VALU_DEP_1)
	v_add_nc_u32_e32 v133, v133, v134
	v_mov_b32_dpp v134, v133 row_shr:4 row_mask:0xf bank_mask:0xf
	s_delay_alu instid0(VALU_DEP_1) | instskip(NEXT) | instid1(VALU_DEP_1)
	v_cndmask_b32_e64 v134, 0, v134, s14
	v_add_nc_u32_e32 v133, v133, v134
	ds_store_b32 v46, v133 offset:1024
.LBB1877_603:                           ;   in Loop: Header=BB1877_563 Depth=2
	s_wait_alu 0xfffe
	s_or_b32 exec_lo, exec_lo, s15
	v_mov_b32_e32 v133, 0
	s_wait_loadcnt_dscnt 0x0
	s_barrier_signal -1
	s_barrier_wait -1
	global_inv scope:SCOPE_SE
	s_and_saveexec_b32 s15, s5
; %bb.604:                              ;   in Loop: Header=BB1877_563 Depth=2
	ds_load_b32 v133, v38 offset:1020
; %bb.605:                              ;   in Loop: Header=BB1877_563 Depth=2
	s_wait_alu 0xfffe
	s_or_b32 exec_lo, exec_lo, s15
	s_wait_dscnt 0x0
	v_add_nc_u32_e32 v132, v133, v132
	ds_bpermute_b32 v132, v87, v132
	s_wait_dscnt 0x0
	v_cndmask_b32_e64 v132, v132, v133, s8
	s_delay_alu instid0(VALU_DEP_1) | instskip(NEXT) | instid1(VALU_DEP_1)
	v_cndmask_b32_e64 v132, v132, 0, s6
	v_add_nc_u32_e32 v26, v132, v26
	s_delay_alu instid0(VALU_DEP_1) | instskip(NEXT) | instid1(VALU_DEP_1)
	v_add_nc_u32_e32 v27, v26, v27
	v_add_nc_u32_e32 v24, v27, v24
	s_delay_alu instid0(VALU_DEP_1) | instskip(NEXT) | instid1(VALU_DEP_1)
	v_add_nc_u32_e32 v25, v24, v25
	v_add_nc_u32_e32 v22, v25, v22
	s_delay_alu instid0(VALU_DEP_1) | instskip(NEXT) | instid1(VALU_DEP_1)
	v_add_nc_u32_e32 v23, v22, v23
	v_add_nc_u32_e32 v20, v23, v20
	s_delay_alu instid0(VALU_DEP_1)
	v_add_nc_u32_e32 v21, v20, v21
	ds_store_2addr_b32 v81, v23, v20 offset1:1
	ds_store_2addr_b32 v78, v132, v26 offset1:1
	;; [unrolled: 1-line block ×4, first 2 shown]
	ds_store_b32 v43, v21 offset:1088
	s_wait_loadcnt_dscnt 0x0
	s_barrier_signal -1
	s_barrier_wait -1
	global_inv scope:SCOPE_SE
	ds_load_b32 v23, v104 offset:1056
	ds_load_b32 v24, v108 offset:1056
	ds_load_b32 v25, v112 offset:1056
	ds_load_b32 v26, v116 offset:1056
	ds_load_b32 v27, v120 offset:1056
	ds_load_b32 v112, v124 offset:1056
	ds_load_b32 v20, v128 offset:1056
	ds_load_b32 v21, v131 offset:1056
	ds_load_b32 v104, v43 offset:1056
	v_mov_b32_e32 v22, 0x800
	s_and_saveexec_b32 s15, s7
; %bb.606:                              ;   in Loop: Header=BB1877_563 Depth=2
	ds_load_b32 v22, v43 offset:1092
; %bb.607:                              ;   in Loop: Header=BB1877_563 Depth=2
	s_wait_alu 0xfffe
	s_or_b32 exec_lo, exec_lo, s15
	s_wait_loadcnt_dscnt 0x0
	s_barrier_signal -1
	s_barrier_wait -1
	global_inv scope:SCOPE_SE
	s_and_saveexec_b32 s15, s2
	s_cbranch_execz .LBB1877_609
; %bb.608:                              ;   in Loop: Header=BB1877_563 Depth=2
	ds_load_b32 v108, v28
	s_wait_dscnt 0x0
	v_sub_nc_u32_e32 v104, v108, v104
	ds_store_b32 v28, v104
.LBB1877_609:                           ;   in Loop: Header=BB1877_563 Depth=2
	s_wait_alu 0xfffe
	s_or_b32 exec_lo, exec_lo, s15
	v_add_nc_u32_e32 v108, v23, v102
	v_add3_u32 v104, v106, v105, v24
	v_add3_u32 v102, v111, v109, v25
	;; [unrolled: 1-line block ×4, first 2 shown]
	v_lshlrev_b32_e32 v105, 1, v108
	v_lshlrev_b32_e32 v106, 1, v104
	v_add3_u32 v23, v123, v121, v112
	v_lshlrev_b32_e32 v109, 1, v102
	v_add3_u32 v27, v126, v125, v20
	v_add3_u32 v26, v130, v129, v21
	ds_store_b16 v105, v2 offset:1024
	ds_store_b16 v106, v103 offset:1024
	ds_store_b16 v109, v107 offset:1024
	v_lshlrev_b32_e32 v2, 1, v25
	v_cmp_lt_u32_e32 vcc_lo, v1, v101
	v_lshlrev_b32_e32 v20, 1, v24
	v_lshlrev_b32_e32 v21, 1, v23
	;; [unrolled: 1-line block ×4, first 2 shown]
	ds_store_b16 v2, v110 offset:1024
	ds_store_b16 v20, v114 offset:1024
	;; [unrolled: 1-line block ×5, first 2 shown]
	s_wait_loadcnt_dscnt 0x0
	s_barrier_signal -1
	s_barrier_wait -1
	global_inv scope:SCOPE_SE
	s_and_saveexec_b32 s16, vcc_lo
	s_cbranch_execnz .LBB1877_646
; %bb.610:                              ;   in Loop: Header=BB1877_563 Depth=2
	s_wait_alu 0xfffe
	s_or_b32 exec_lo, exec_lo, s16
	v_cmp_lt_u32_e64 s15, v29, v101
	s_and_saveexec_b32 s17, s15
	s_cbranch_execnz .LBB1877_647
.LBB1877_611:                           ;   in Loop: Header=BB1877_563 Depth=2
	s_wait_alu 0xfffe
	s_or_b32 exec_lo, exec_lo, s17
	v_cmp_lt_u32_e64 s16, v30, v101
	s_and_saveexec_b32 s18, s16
	s_cbranch_execnz .LBB1877_648
.LBB1877_612:                           ;   in Loop: Header=BB1877_563 Depth=2
	s_wait_alu 0xfffe
	s_or_b32 exec_lo, exec_lo, s18
	v_cmp_lt_u32_e64 s17, v31, v101
	s_and_saveexec_b32 s19, s17
	s_cbranch_execnz .LBB1877_649
.LBB1877_613:                           ;   in Loop: Header=BB1877_563 Depth=2
	s_wait_alu 0xfffe
	s_or_b32 exec_lo, exec_lo, s19
	v_cmp_lt_u32_e64 s18, v34, v101
	s_and_saveexec_b32 s20, s18
	s_cbranch_execnz .LBB1877_650
.LBB1877_614:                           ;   in Loop: Header=BB1877_563 Depth=2
	s_wait_alu 0xfffe
	s_or_b32 exec_lo, exec_lo, s20
	v_cmp_lt_u32_e64 s19, v35, v101
	s_and_saveexec_b32 s21, s19
	s_cbranch_execnz .LBB1877_651
.LBB1877_615:                           ;   in Loop: Header=BB1877_563 Depth=2
	s_wait_alu 0xfffe
	s_or_b32 exec_lo, exec_lo, s21
	v_cmp_lt_u32_e64 s20, v36, v101
	s_and_saveexec_b32 s22, s20
	s_cbranch_execnz .LBB1877_652
.LBB1877_616:                           ;   in Loop: Header=BB1877_563 Depth=2
	s_wait_alu 0xfffe
	s_or_b32 exec_lo, exec_lo, s22
	v_cmp_lt_u32_e64 s21, v37, v101
	s_and_saveexec_b32 s48, s21
	s_cbranch_execz .LBB1877_618
.LBB1877_617:                           ;   in Loop: Header=BB1877_563 Depth=2
	ds_load_u16 v103, v47 offset:4608
	s_wait_dscnt 0x0
	v_cmp_ne_u16_e64 s22, 0x7fff, v103
	s_wait_alu 0xf1ff
	s_delay_alu instid0(VALU_DEP_1) | instskip(SKIP_1) | instid1(VALU_DEP_2)
	v_cndmask_b32_e64 v2, 0xffff8000, v103, s22
	v_cmp_lt_i16_e64 s22, -1, v103
	v_and_b32_e32 v2, 0xffff, v2
	s_wait_alu 0xf1ff
	s_delay_alu instid0(VALU_DEP_2) | instskip(NEXT) | instid1(VALU_DEP_2)
	v_cndmask_b32_e64 v105, 0xffff8000, -1, s22
	v_lshrrev_b32_e32 v2, s45, v2
	s_delay_alu instid0(VALU_DEP_1) | instskip(NEXT) | instid1(VALU_DEP_1)
	v_and_b32_e32 v2, s42, v2
	v_lshlrev_b32_e32 v2, 2, v2
	ds_load_b32 v2, v2
	s_wait_dscnt 0x0
	v_add_nc_u32_e32 v2, v2, v37
	s_delay_alu instid0(VALU_DEP_1) | instskip(SKIP_1) | instid1(VALU_DEP_2)
	v_lshlrev_b64_e32 v[20:21], 1, v[2:3]
	v_xor_b32_e32 v2, v105, v103
	v_add_co_u32 v20, s22, s40, v20
	s_wait_alu 0xf1ff
	s_delay_alu instid0(VALU_DEP_3)
	v_add_co_ci_u32_e64 v21, null, s41, v21, s22
	global_store_b16 v[20:21], v2, off
.LBB1877_618:                           ;   in Loop: Header=BB1877_563 Depth=2
	s_wait_alu 0xfffe
	s_or_b32 exec_lo, exec_lo, s48
	s_lshl_b64 s[48:49], s[30:31], 3
	s_wait_alu 0xfffe
	v_add_co_u32 v20, s22, v88, s48
	s_wait_alu 0xf1ff
	v_add_co_ci_u32_e64 v21, null, s49, v89, s22
	v_cmp_lt_u32_e64 s22, v66, v101
	s_and_saveexec_b32 s30, s22
	s_wait_alu 0xfffe
	s_xor_b32 s22, exec_lo, s30
	s_cbranch_execnz .LBB1877_653
; %bb.619:                              ;   in Loop: Header=BB1877_563 Depth=2
	s_wait_alu 0xfffe
	s_or_b32 exec_lo, exec_lo, s22
	s_delay_alu instid0(SALU_CYCLE_1)
	s_mov_b32 s30, exec_lo
	v_cmpx_lt_u32_e64 v70, v101
	s_cbranch_execnz .LBB1877_654
.LBB1877_620:                           ;   in Loop: Header=BB1877_563 Depth=2
	s_wait_alu 0xfffe
	s_or_b32 exec_lo, exec_lo, s30
	s_delay_alu instid0(SALU_CYCLE_1)
	s_mov_b32 s30, exec_lo
	v_cmpx_lt_u32_e64 v71, v101
	s_cbranch_execnz .LBB1877_655
.LBB1877_621:                           ;   in Loop: Header=BB1877_563 Depth=2
	s_wait_alu 0xfffe
	s_or_b32 exec_lo, exec_lo, s30
	s_delay_alu instid0(SALU_CYCLE_1)
	s_mov_b32 s30, exec_lo
	v_cmpx_lt_u32_e64 v72, v101
	s_cbranch_execnz .LBB1877_656
.LBB1877_622:                           ;   in Loop: Header=BB1877_563 Depth=2
	s_wait_alu 0xfffe
	s_or_b32 exec_lo, exec_lo, s30
	s_delay_alu instid0(SALU_CYCLE_1)
	s_mov_b32 s30, exec_lo
	v_cmpx_lt_u32_e64 v73, v101
	s_cbranch_execnz .LBB1877_657
.LBB1877_623:                           ;   in Loop: Header=BB1877_563 Depth=2
	s_wait_alu 0xfffe
	s_or_b32 exec_lo, exec_lo, s30
	s_delay_alu instid0(SALU_CYCLE_1)
	s_mov_b32 s30, exec_lo
	v_cmpx_lt_u32_e64 v74, v101
	s_cbranch_execnz .LBB1877_658
.LBB1877_624:                           ;   in Loop: Header=BB1877_563 Depth=2
	s_wait_alu 0xfffe
	s_or_b32 exec_lo, exec_lo, s30
	s_delay_alu instid0(SALU_CYCLE_1)
	s_mov_b32 s30, exec_lo
	v_cmpx_lt_u32_e64 v75, v101
	s_cbranch_execnz .LBB1877_659
.LBB1877_625:                           ;   in Loop: Header=BB1877_563 Depth=2
	s_wait_alu 0xfffe
	s_or_b32 exec_lo, exec_lo, s30
	s_delay_alu instid0(SALU_CYCLE_1)
	s_mov_b32 s30, exec_lo
	v_cmpx_lt_u32_e64 v76, v101
	s_cbranch_execnz .LBB1877_660
.LBB1877_626:                           ;   in Loop: Header=BB1877_563 Depth=2
	s_wait_alu 0xfffe
	s_or_b32 exec_lo, exec_lo, s30
	s_and_saveexec_b32 s30, vcc_lo
	s_cbranch_execnz .LBB1877_661
.LBB1877_627:                           ;   in Loop: Header=BB1877_563 Depth=2
	s_wait_alu 0xfffe
	s_or_b32 exec_lo, exec_lo, s30
	s_and_saveexec_b32 s30, s15
	s_cbranch_execnz .LBB1877_662
.LBB1877_628:                           ;   in Loop: Header=BB1877_563 Depth=2
	s_wait_alu 0xfffe
	s_or_b32 exec_lo, exec_lo, s30
	s_and_saveexec_b32 s30, s16
	s_cbranch_execnz .LBB1877_663
.LBB1877_629:                           ;   in Loop: Header=BB1877_563 Depth=2
	s_wait_alu 0xfffe
	s_or_b32 exec_lo, exec_lo, s30
	s_and_saveexec_b32 s30, s17
	s_cbranch_execnz .LBB1877_664
.LBB1877_630:                           ;   in Loop: Header=BB1877_563 Depth=2
	s_wait_alu 0xfffe
	s_or_b32 exec_lo, exec_lo, s30
	s_and_saveexec_b32 s30, s18
	s_cbranch_execnz .LBB1877_665
.LBB1877_631:                           ;   in Loop: Header=BB1877_563 Depth=2
	s_wait_alu 0xfffe
	s_or_b32 exec_lo, exec_lo, s30
	s_and_saveexec_b32 s30, s19
	s_cbranch_execnz .LBB1877_666
.LBB1877_632:                           ;   in Loop: Header=BB1877_563 Depth=2
	s_wait_alu 0xfffe
	s_or_b32 exec_lo, exec_lo, s30
	s_and_saveexec_b32 s30, s20
	s_cbranch_execnz .LBB1877_667
.LBB1877_633:                           ;   in Loop: Header=BB1877_563 Depth=2
	s_wait_alu 0xfffe
	s_or_b32 exec_lo, exec_lo, s30
	s_and_saveexec_b32 s30, s21
	s_cbranch_execz .LBB1877_635
.LBB1877_634:                           ;   in Loop: Header=BB1877_563 Depth=2
	ds_load_u16 v2, v47 offset:4608
	s_wait_dscnt 0x0
	v_cmp_ne_u16_e64 s22, 0x7fff, v2
	s_wait_alu 0xf1ff
	s_delay_alu instid0(VALU_DEP_1) | instskip(NEXT) | instid1(VALU_DEP_1)
	v_cndmask_b32_e64 v2, 0xffff8000, v2, s22
	v_and_b32_e32 v2, 0xffff, v2
	s_delay_alu instid0(VALU_DEP_1) | instskip(NEXT) | instid1(VALU_DEP_1)
	v_lshrrev_b32_e32 v2, s45, v2
	v_and_b32_e32 v93, s42, v2
.LBB1877_635:                           ;   in Loop: Header=BB1877_563 Depth=2
	s_wait_alu 0xfffe
	s_or_b32 exec_lo, exec_lo, s30
	v_lshlrev_b32_e32 v2, 3, v108
	v_lshlrev_b32_e32 v20, 3, v104
	;; [unrolled: 1-line block ×3, first 2 shown]
	s_wait_loadcnt 0x0
	s_wait_storecnt 0x0
	s_barrier_signal -1
	s_barrier_wait -1
	global_inv scope:SCOPE_SE
	ds_store_b64 v2, v[18:19] offset:1024
	ds_store_b64 v20, v[16:17] offset:1024
	;; [unrolled: 1-line block ×3, first 2 shown]
	v_lshlrev_b32_e32 v2, 3, v25
	v_lshlrev_b32_e32 v20, 3, v24
	;; [unrolled: 1-line block ×5, first 2 shown]
	ds_store_b64 v2, v[12:13] offset:1024
	ds_store_b64 v20, v[10:11] offset:1024
	;; [unrolled: 1-line block ×5, first 2 shown]
	v_add_nc_u32_e32 v20, v47, v48
	s_wait_loadcnt_dscnt 0x0
	s_barrier_signal -1
	s_barrier_wait -1
	global_inv scope:SCOPE_SE
	s_and_saveexec_b32 s22, vcc_lo
	s_cbranch_execnz .LBB1877_668
; %bb.636:                              ;   in Loop: Header=BB1877_563 Depth=2
	s_wait_alu 0xfffe
	s_or_b32 exec_lo, exec_lo, s22
	s_and_saveexec_b32 s22, s15
	s_cbranch_execnz .LBB1877_669
.LBB1877_637:                           ;   in Loop: Header=BB1877_563 Depth=2
	s_wait_alu 0xfffe
	s_or_b32 exec_lo, exec_lo, s22
	s_and_saveexec_b32 s15, s16
	s_cbranch_execnz .LBB1877_670
.LBB1877_638:                           ;   in Loop: Header=BB1877_563 Depth=2
	s_wait_alu 0xfffe
	s_or_b32 exec_lo, exec_lo, s15
	s_and_saveexec_b32 s15, s17
	s_cbranch_execnz .LBB1877_671
.LBB1877_639:                           ;   in Loop: Header=BB1877_563 Depth=2
	s_wait_alu 0xfffe
	s_or_b32 exec_lo, exec_lo, s15
	s_and_saveexec_b32 s15, s18
	s_cbranch_execnz .LBB1877_672
.LBB1877_640:                           ;   in Loop: Header=BB1877_563 Depth=2
	s_wait_alu 0xfffe
	s_or_b32 exec_lo, exec_lo, s15
	s_and_saveexec_b32 s15, s19
	s_cbranch_execnz .LBB1877_673
.LBB1877_641:                           ;   in Loop: Header=BB1877_563 Depth=2
	s_wait_alu 0xfffe
	s_or_b32 exec_lo, exec_lo, s15
	s_and_saveexec_b32 s15, s20
	s_cbranch_execnz .LBB1877_674
.LBB1877_642:                           ;   in Loop: Header=BB1877_563 Depth=2
	s_wait_alu 0xfffe
	s_or_b32 exec_lo, exec_lo, s15
	s_and_saveexec_b32 s15, s21
	s_cbranch_execz .LBB1877_644
.LBB1877_643:                           ;   in Loop: Header=BB1877_563 Depth=2
	v_lshlrev_b32_e32 v2, 2, v93
	ds_load_b32 v2, v2
	ds_load_b64 v[20:21], v20 offset:15360
	s_wait_dscnt 0x1
	v_add_nc_u32_e32 v2, v2, v37
	s_delay_alu instid0(VALU_DEP_1) | instskip(NEXT) | instid1(VALU_DEP_1)
	v_lshlrev_b64_e32 v[23:24], 3, v[2:3]
	v_add_co_u32 v23, vcc_lo, s26, v23
	s_wait_alu 0xfffd
	s_delay_alu instid0(VALU_DEP_2)
	v_add_co_ci_u32_e64 v24, null, s27, v24, vcc_lo
	s_wait_dscnt 0x0
	global_store_b64 v[23:24], v[20:21], off
.LBB1877_644:                           ;   in Loop: Header=BB1877_563 Depth=2
	s_wait_alu 0xfffe
	s_or_b32 exec_lo, exec_lo, s15
	s_wait_loadcnt 0x0
	s_wait_storecnt 0x0
	s_barrier_signal -1
	s_barrier_wait -1
	global_inv scope:SCOPE_SE
	s_and_saveexec_b32 s15, s2
	s_cbranch_execz .LBB1877_562
; %bb.645:                              ;   in Loop: Header=BB1877_563 Depth=2
	ds_load_b32 v2, v28
	s_wait_dscnt 0x0
	v_add_nc_u32_e32 v2, v2, v22
	ds_store_b32 v28, v2
	s_branch .LBB1877_562
.LBB1877_646:                           ;   in Loop: Header=BB1877_563 Depth=2
	ds_load_u16 v103, v47 offset:1024
	s_wait_dscnt 0x0
	v_cmp_ne_u16_e64 s15, 0x7fff, v103
	s_wait_alu 0xf1ff
	s_delay_alu instid0(VALU_DEP_1) | instskip(SKIP_1) | instid1(VALU_DEP_2)
	v_cndmask_b32_e64 v2, 0xffff8000, v103, s15
	v_cmp_lt_i16_e64 s15, -1, v103
	v_and_b32_e32 v2, 0xffff, v2
	s_wait_alu 0xf1ff
	s_delay_alu instid0(VALU_DEP_2) | instskip(NEXT) | instid1(VALU_DEP_2)
	v_cndmask_b32_e64 v105, 0xffff8000, -1, s15
	v_lshrrev_b32_e32 v2, s45, v2
	s_delay_alu instid0(VALU_DEP_1) | instskip(NEXT) | instid1(VALU_DEP_1)
	v_and_b32_e32 v2, s42, v2
	v_lshlrev_b32_e32 v2, 2, v2
	ds_load_b32 v2, v2
	s_wait_dscnt 0x0
	v_add_nc_u32_e32 v2, v2, v1
	s_delay_alu instid0(VALU_DEP_1) | instskip(SKIP_1) | instid1(VALU_DEP_2)
	v_lshlrev_b64_e32 v[20:21], 1, v[2:3]
	v_xor_b32_e32 v2, v105, v103
	v_add_co_u32 v20, s15, s40, v20
	s_wait_alu 0xf1ff
	s_delay_alu instid0(VALU_DEP_3)
	v_add_co_ci_u32_e64 v21, null, s41, v21, s15
	global_store_b16 v[20:21], v2, off
	s_wait_alu 0xfffe
	s_or_b32 exec_lo, exec_lo, s16
	v_cmp_lt_u32_e64 s15, v29, v101
	s_and_saveexec_b32 s17, s15
	s_cbranch_execz .LBB1877_611
.LBB1877_647:                           ;   in Loop: Header=BB1877_563 Depth=2
	ds_load_u16 v103, v47 offset:1536
	s_wait_dscnt 0x0
	v_cmp_ne_u16_e64 s16, 0x7fff, v103
	s_wait_alu 0xf1ff
	s_delay_alu instid0(VALU_DEP_1) | instskip(SKIP_1) | instid1(VALU_DEP_2)
	v_cndmask_b32_e64 v2, 0xffff8000, v103, s16
	v_cmp_lt_i16_e64 s16, -1, v103
	v_and_b32_e32 v2, 0xffff, v2
	s_wait_alu 0xf1ff
	s_delay_alu instid0(VALU_DEP_2) | instskip(NEXT) | instid1(VALU_DEP_2)
	v_cndmask_b32_e64 v105, 0xffff8000, -1, s16
	v_lshrrev_b32_e32 v2, s45, v2
	s_delay_alu instid0(VALU_DEP_1) | instskip(NEXT) | instid1(VALU_DEP_1)
	v_and_b32_e32 v2, s42, v2
	v_lshlrev_b32_e32 v2, 2, v2
	ds_load_b32 v2, v2
	s_wait_dscnt 0x0
	v_add_nc_u32_e32 v2, v2, v29
	s_delay_alu instid0(VALU_DEP_1) | instskip(SKIP_1) | instid1(VALU_DEP_2)
	v_lshlrev_b64_e32 v[20:21], 1, v[2:3]
	v_xor_b32_e32 v2, v105, v103
	v_add_co_u32 v20, s16, s40, v20
	s_wait_alu 0xf1ff
	s_delay_alu instid0(VALU_DEP_3)
	v_add_co_ci_u32_e64 v21, null, s41, v21, s16
	global_store_b16 v[20:21], v2, off
	s_wait_alu 0xfffe
	s_or_b32 exec_lo, exec_lo, s17
	v_cmp_lt_u32_e64 s16, v30, v101
	s_and_saveexec_b32 s18, s16
	s_cbranch_execz .LBB1877_612
.LBB1877_648:                           ;   in Loop: Header=BB1877_563 Depth=2
	ds_load_u16 v103, v47 offset:2048
	s_wait_dscnt 0x0
	v_cmp_ne_u16_e64 s17, 0x7fff, v103
	s_wait_alu 0xf1ff
	s_delay_alu instid0(VALU_DEP_1) | instskip(SKIP_1) | instid1(VALU_DEP_2)
	v_cndmask_b32_e64 v2, 0xffff8000, v103, s17
	v_cmp_lt_i16_e64 s17, -1, v103
	v_and_b32_e32 v2, 0xffff, v2
	s_wait_alu 0xf1ff
	s_delay_alu instid0(VALU_DEP_2) | instskip(NEXT) | instid1(VALU_DEP_2)
	v_cndmask_b32_e64 v105, 0xffff8000, -1, s17
	v_lshrrev_b32_e32 v2, s45, v2
	s_delay_alu instid0(VALU_DEP_1) | instskip(NEXT) | instid1(VALU_DEP_1)
	v_and_b32_e32 v2, s42, v2
	v_lshlrev_b32_e32 v2, 2, v2
	ds_load_b32 v2, v2
	s_wait_dscnt 0x0
	v_add_nc_u32_e32 v2, v2, v30
	s_delay_alu instid0(VALU_DEP_1) | instskip(SKIP_1) | instid1(VALU_DEP_2)
	v_lshlrev_b64_e32 v[20:21], 1, v[2:3]
	v_xor_b32_e32 v2, v105, v103
	v_add_co_u32 v20, s17, s40, v20
	s_wait_alu 0xf1ff
	s_delay_alu instid0(VALU_DEP_3)
	v_add_co_ci_u32_e64 v21, null, s41, v21, s17
	global_store_b16 v[20:21], v2, off
	s_wait_alu 0xfffe
	s_or_b32 exec_lo, exec_lo, s18
	v_cmp_lt_u32_e64 s17, v31, v101
	s_and_saveexec_b32 s19, s17
	s_cbranch_execz .LBB1877_613
.LBB1877_649:                           ;   in Loop: Header=BB1877_563 Depth=2
	ds_load_u16 v103, v47 offset:2560
	s_wait_dscnt 0x0
	v_cmp_ne_u16_e64 s18, 0x7fff, v103
	s_wait_alu 0xf1ff
	s_delay_alu instid0(VALU_DEP_1) | instskip(SKIP_1) | instid1(VALU_DEP_2)
	v_cndmask_b32_e64 v2, 0xffff8000, v103, s18
	v_cmp_lt_i16_e64 s18, -1, v103
	v_and_b32_e32 v2, 0xffff, v2
	s_wait_alu 0xf1ff
	s_delay_alu instid0(VALU_DEP_2) | instskip(NEXT) | instid1(VALU_DEP_2)
	v_cndmask_b32_e64 v105, 0xffff8000, -1, s18
	v_lshrrev_b32_e32 v2, s45, v2
	s_delay_alu instid0(VALU_DEP_1) | instskip(NEXT) | instid1(VALU_DEP_1)
	v_and_b32_e32 v2, s42, v2
	v_lshlrev_b32_e32 v2, 2, v2
	ds_load_b32 v2, v2
	s_wait_dscnt 0x0
	v_add_nc_u32_e32 v2, v2, v31
	s_delay_alu instid0(VALU_DEP_1) | instskip(SKIP_1) | instid1(VALU_DEP_2)
	v_lshlrev_b64_e32 v[20:21], 1, v[2:3]
	v_xor_b32_e32 v2, v105, v103
	v_add_co_u32 v20, s18, s40, v20
	s_wait_alu 0xf1ff
	s_delay_alu instid0(VALU_DEP_3)
	v_add_co_ci_u32_e64 v21, null, s41, v21, s18
	global_store_b16 v[20:21], v2, off
	s_wait_alu 0xfffe
	s_or_b32 exec_lo, exec_lo, s19
	v_cmp_lt_u32_e64 s18, v34, v101
	s_and_saveexec_b32 s20, s18
	s_cbranch_execz .LBB1877_614
.LBB1877_650:                           ;   in Loop: Header=BB1877_563 Depth=2
	ds_load_u16 v103, v47 offset:3072
	s_wait_dscnt 0x0
	v_cmp_ne_u16_e64 s19, 0x7fff, v103
	s_wait_alu 0xf1ff
	s_delay_alu instid0(VALU_DEP_1) | instskip(SKIP_1) | instid1(VALU_DEP_2)
	v_cndmask_b32_e64 v2, 0xffff8000, v103, s19
	v_cmp_lt_i16_e64 s19, -1, v103
	v_and_b32_e32 v2, 0xffff, v2
	s_wait_alu 0xf1ff
	s_delay_alu instid0(VALU_DEP_2) | instskip(NEXT) | instid1(VALU_DEP_2)
	v_cndmask_b32_e64 v105, 0xffff8000, -1, s19
	v_lshrrev_b32_e32 v2, s45, v2
	s_delay_alu instid0(VALU_DEP_1) | instskip(NEXT) | instid1(VALU_DEP_1)
	v_and_b32_e32 v2, s42, v2
	v_lshlrev_b32_e32 v2, 2, v2
	ds_load_b32 v2, v2
	s_wait_dscnt 0x0
	v_add_nc_u32_e32 v2, v2, v34
	s_delay_alu instid0(VALU_DEP_1) | instskip(SKIP_1) | instid1(VALU_DEP_2)
	v_lshlrev_b64_e32 v[20:21], 1, v[2:3]
	v_xor_b32_e32 v2, v105, v103
	v_add_co_u32 v20, s19, s40, v20
	s_wait_alu 0xf1ff
	s_delay_alu instid0(VALU_DEP_3)
	v_add_co_ci_u32_e64 v21, null, s41, v21, s19
	global_store_b16 v[20:21], v2, off
	s_wait_alu 0xfffe
	s_or_b32 exec_lo, exec_lo, s20
	v_cmp_lt_u32_e64 s19, v35, v101
	s_and_saveexec_b32 s21, s19
	s_cbranch_execz .LBB1877_615
.LBB1877_651:                           ;   in Loop: Header=BB1877_563 Depth=2
	ds_load_u16 v103, v47 offset:3584
	s_wait_dscnt 0x0
	v_cmp_ne_u16_e64 s20, 0x7fff, v103
	s_wait_alu 0xf1ff
	s_delay_alu instid0(VALU_DEP_1) | instskip(SKIP_1) | instid1(VALU_DEP_2)
	v_cndmask_b32_e64 v2, 0xffff8000, v103, s20
	v_cmp_lt_i16_e64 s20, -1, v103
	v_and_b32_e32 v2, 0xffff, v2
	s_wait_alu 0xf1ff
	s_delay_alu instid0(VALU_DEP_2) | instskip(NEXT) | instid1(VALU_DEP_2)
	v_cndmask_b32_e64 v105, 0xffff8000, -1, s20
	v_lshrrev_b32_e32 v2, s45, v2
	s_delay_alu instid0(VALU_DEP_1) | instskip(NEXT) | instid1(VALU_DEP_1)
	v_and_b32_e32 v2, s42, v2
	v_lshlrev_b32_e32 v2, 2, v2
	ds_load_b32 v2, v2
	s_wait_dscnt 0x0
	v_add_nc_u32_e32 v2, v2, v35
	s_delay_alu instid0(VALU_DEP_1) | instskip(SKIP_1) | instid1(VALU_DEP_2)
	v_lshlrev_b64_e32 v[20:21], 1, v[2:3]
	v_xor_b32_e32 v2, v105, v103
	v_add_co_u32 v20, s20, s40, v20
	s_wait_alu 0xf1ff
	s_delay_alu instid0(VALU_DEP_3)
	v_add_co_ci_u32_e64 v21, null, s41, v21, s20
	global_store_b16 v[20:21], v2, off
	s_wait_alu 0xfffe
	s_or_b32 exec_lo, exec_lo, s21
	v_cmp_lt_u32_e64 s20, v36, v101
	s_and_saveexec_b32 s22, s20
	s_cbranch_execz .LBB1877_616
.LBB1877_652:                           ;   in Loop: Header=BB1877_563 Depth=2
	ds_load_u16 v103, v47 offset:4096
	s_wait_dscnt 0x0
	v_cmp_ne_u16_e64 s21, 0x7fff, v103
	s_wait_alu 0xf1ff
	s_delay_alu instid0(VALU_DEP_1) | instskip(SKIP_1) | instid1(VALU_DEP_2)
	v_cndmask_b32_e64 v2, 0xffff8000, v103, s21
	v_cmp_lt_i16_e64 s21, -1, v103
	v_and_b32_e32 v2, 0xffff, v2
	s_wait_alu 0xf1ff
	s_delay_alu instid0(VALU_DEP_2) | instskip(NEXT) | instid1(VALU_DEP_2)
	v_cndmask_b32_e64 v105, 0xffff8000, -1, s21
	v_lshrrev_b32_e32 v2, s45, v2
	s_delay_alu instid0(VALU_DEP_1) | instskip(NEXT) | instid1(VALU_DEP_1)
	v_and_b32_e32 v2, s42, v2
	v_lshlrev_b32_e32 v2, 2, v2
	ds_load_b32 v2, v2
	s_wait_dscnt 0x0
	v_add_nc_u32_e32 v2, v2, v36
	s_delay_alu instid0(VALU_DEP_1) | instskip(SKIP_1) | instid1(VALU_DEP_2)
	v_lshlrev_b64_e32 v[20:21], 1, v[2:3]
	v_xor_b32_e32 v2, v105, v103
	v_add_co_u32 v20, s21, s40, v20
	s_wait_alu 0xf1ff
	s_delay_alu instid0(VALU_DEP_3)
	v_add_co_ci_u32_e64 v21, null, s41, v21, s21
	global_store_b16 v[20:21], v2, off
	s_wait_alu 0xfffe
	s_or_b32 exec_lo, exec_lo, s22
	v_cmp_lt_u32_e64 s21, v37, v101
	s_and_saveexec_b32 s48, s21
	s_cbranch_execnz .LBB1877_617
	s_branch .LBB1877_618
.LBB1877_653:                           ;   in Loop: Header=BB1877_563 Depth=2
	global_load_b64 v[18:19], v[20:21], off
	s_wait_alu 0xfffe
	s_or_b32 exec_lo, exec_lo, s22
	s_delay_alu instid0(SALU_CYCLE_1)
	s_mov_b32 s30, exec_lo
	v_cmpx_lt_u32_e64 v70, v101
	s_cbranch_execz .LBB1877_620
.LBB1877_654:                           ;   in Loop: Header=BB1877_563 Depth=2
	global_load_b64 v[16:17], v[20:21], off offset:256
	s_wait_alu 0xfffe
	s_or_b32 exec_lo, exec_lo, s30
	s_delay_alu instid0(SALU_CYCLE_1)
	s_mov_b32 s30, exec_lo
	v_cmpx_lt_u32_e64 v71, v101
	s_cbranch_execz .LBB1877_621
.LBB1877_655:                           ;   in Loop: Header=BB1877_563 Depth=2
	global_load_b64 v[14:15], v[20:21], off offset:512
	s_wait_alu 0xfffe
	s_or_b32 exec_lo, exec_lo, s30
	s_delay_alu instid0(SALU_CYCLE_1)
	s_mov_b32 s30, exec_lo
	v_cmpx_lt_u32_e64 v72, v101
	s_cbranch_execz .LBB1877_622
.LBB1877_656:                           ;   in Loop: Header=BB1877_563 Depth=2
	global_load_b64 v[12:13], v[20:21], off offset:768
	s_wait_alu 0xfffe
	s_or_b32 exec_lo, exec_lo, s30
	s_delay_alu instid0(SALU_CYCLE_1)
	s_mov_b32 s30, exec_lo
	v_cmpx_lt_u32_e64 v73, v101
	s_cbranch_execz .LBB1877_623
.LBB1877_657:                           ;   in Loop: Header=BB1877_563 Depth=2
	global_load_b64 v[10:11], v[20:21], off offset:1024
	s_wait_alu 0xfffe
	s_or_b32 exec_lo, exec_lo, s30
	s_delay_alu instid0(SALU_CYCLE_1)
	s_mov_b32 s30, exec_lo
	v_cmpx_lt_u32_e64 v74, v101
	s_cbranch_execz .LBB1877_624
.LBB1877_658:                           ;   in Loop: Header=BB1877_563 Depth=2
	global_load_b64 v[8:9], v[20:21], off offset:1280
	s_wait_alu 0xfffe
	s_or_b32 exec_lo, exec_lo, s30
	s_delay_alu instid0(SALU_CYCLE_1)
	s_mov_b32 s30, exec_lo
	v_cmpx_lt_u32_e64 v75, v101
	s_cbranch_execz .LBB1877_625
.LBB1877_659:                           ;   in Loop: Header=BB1877_563 Depth=2
	global_load_b64 v[6:7], v[20:21], off offset:1536
	s_wait_alu 0xfffe
	s_or_b32 exec_lo, exec_lo, s30
	s_delay_alu instid0(SALU_CYCLE_1)
	s_mov_b32 s30, exec_lo
	v_cmpx_lt_u32_e64 v76, v101
	s_cbranch_execz .LBB1877_626
.LBB1877_660:                           ;   in Loop: Header=BB1877_563 Depth=2
	global_load_b64 v[4:5], v[20:21], off offset:1792
	s_wait_alu 0xfffe
	s_or_b32 exec_lo, exec_lo, s30
	s_and_saveexec_b32 s30, vcc_lo
	s_cbranch_execz .LBB1877_627
.LBB1877_661:                           ;   in Loop: Header=BB1877_563 Depth=2
	ds_load_u16 v2, v47 offset:1024
	s_wait_dscnt 0x0
	v_cmp_ne_u16_e64 s22, 0x7fff, v2
	s_wait_alu 0xf1ff
	s_delay_alu instid0(VALU_DEP_1) | instskip(NEXT) | instid1(VALU_DEP_1)
	v_cndmask_b32_e64 v2, 0xffff8000, v2, s22
	v_and_b32_e32 v2, 0xffff, v2
	s_delay_alu instid0(VALU_DEP_1) | instskip(NEXT) | instid1(VALU_DEP_1)
	v_lshrrev_b32_e32 v2, s45, v2
	v_and_b32_e32 v100, s42, v2
	s_wait_alu 0xfffe
	s_or_b32 exec_lo, exec_lo, s30
	s_and_saveexec_b32 s30, s15
	s_cbranch_execz .LBB1877_628
.LBB1877_662:                           ;   in Loop: Header=BB1877_563 Depth=2
	ds_load_u16 v2, v47 offset:1536
	s_wait_dscnt 0x0
	v_cmp_ne_u16_e64 s22, 0x7fff, v2
	s_wait_alu 0xf1ff
	s_delay_alu instid0(VALU_DEP_1) | instskip(NEXT) | instid1(VALU_DEP_1)
	v_cndmask_b32_e64 v2, 0xffff8000, v2, s22
	v_and_b32_e32 v2, 0xffff, v2
	s_delay_alu instid0(VALU_DEP_1) | instskip(NEXT) | instid1(VALU_DEP_1)
	v_lshrrev_b32_e32 v2, s45, v2
	v_and_b32_e32 v99, s42, v2
	s_wait_alu 0xfffe
	s_or_b32 exec_lo, exec_lo, s30
	s_and_saveexec_b32 s30, s16
	s_cbranch_execz .LBB1877_629
.LBB1877_663:                           ;   in Loop: Header=BB1877_563 Depth=2
	ds_load_u16 v2, v47 offset:2048
	s_wait_dscnt 0x0
	v_cmp_ne_u16_e64 s22, 0x7fff, v2
	s_wait_alu 0xf1ff
	s_delay_alu instid0(VALU_DEP_1) | instskip(NEXT) | instid1(VALU_DEP_1)
	v_cndmask_b32_e64 v2, 0xffff8000, v2, s22
	v_and_b32_e32 v2, 0xffff, v2
	s_delay_alu instid0(VALU_DEP_1) | instskip(NEXT) | instid1(VALU_DEP_1)
	v_lshrrev_b32_e32 v2, s45, v2
	v_and_b32_e32 v98, s42, v2
	s_wait_alu 0xfffe
	s_or_b32 exec_lo, exec_lo, s30
	s_and_saveexec_b32 s30, s17
	s_cbranch_execz .LBB1877_630
.LBB1877_664:                           ;   in Loop: Header=BB1877_563 Depth=2
	ds_load_u16 v2, v47 offset:2560
	s_wait_dscnt 0x0
	v_cmp_ne_u16_e64 s22, 0x7fff, v2
	s_wait_alu 0xf1ff
	s_delay_alu instid0(VALU_DEP_1) | instskip(NEXT) | instid1(VALU_DEP_1)
	v_cndmask_b32_e64 v2, 0xffff8000, v2, s22
	v_and_b32_e32 v2, 0xffff, v2
	s_delay_alu instid0(VALU_DEP_1) | instskip(NEXT) | instid1(VALU_DEP_1)
	v_lshrrev_b32_e32 v2, s45, v2
	v_and_b32_e32 v97, s42, v2
	s_wait_alu 0xfffe
	s_or_b32 exec_lo, exec_lo, s30
	s_and_saveexec_b32 s30, s18
	s_cbranch_execz .LBB1877_631
.LBB1877_665:                           ;   in Loop: Header=BB1877_563 Depth=2
	ds_load_u16 v2, v47 offset:3072
	s_wait_dscnt 0x0
	v_cmp_ne_u16_e64 s22, 0x7fff, v2
	s_wait_alu 0xf1ff
	s_delay_alu instid0(VALU_DEP_1) | instskip(NEXT) | instid1(VALU_DEP_1)
	v_cndmask_b32_e64 v2, 0xffff8000, v2, s22
	v_and_b32_e32 v2, 0xffff, v2
	s_delay_alu instid0(VALU_DEP_1) | instskip(NEXT) | instid1(VALU_DEP_1)
	v_lshrrev_b32_e32 v2, s45, v2
	v_and_b32_e32 v96, s42, v2
	s_wait_alu 0xfffe
	s_or_b32 exec_lo, exec_lo, s30
	s_and_saveexec_b32 s30, s19
	s_cbranch_execz .LBB1877_632
.LBB1877_666:                           ;   in Loop: Header=BB1877_563 Depth=2
	ds_load_u16 v2, v47 offset:3584
	s_wait_dscnt 0x0
	v_cmp_ne_u16_e64 s22, 0x7fff, v2
	s_wait_alu 0xf1ff
	s_delay_alu instid0(VALU_DEP_1) | instskip(NEXT) | instid1(VALU_DEP_1)
	v_cndmask_b32_e64 v2, 0xffff8000, v2, s22
	v_and_b32_e32 v2, 0xffff, v2
	s_delay_alu instid0(VALU_DEP_1) | instskip(NEXT) | instid1(VALU_DEP_1)
	v_lshrrev_b32_e32 v2, s45, v2
	v_and_b32_e32 v95, s42, v2
	s_wait_alu 0xfffe
	s_or_b32 exec_lo, exec_lo, s30
	s_and_saveexec_b32 s30, s20
	s_cbranch_execz .LBB1877_633
.LBB1877_667:                           ;   in Loop: Header=BB1877_563 Depth=2
	ds_load_u16 v2, v47 offset:4096
	s_wait_dscnt 0x0
	v_cmp_ne_u16_e64 s22, 0x7fff, v2
	s_wait_alu 0xf1ff
	s_delay_alu instid0(VALU_DEP_1) | instskip(NEXT) | instid1(VALU_DEP_1)
	v_cndmask_b32_e64 v2, 0xffff8000, v2, s22
	v_and_b32_e32 v2, 0xffff, v2
	s_delay_alu instid0(VALU_DEP_1) | instskip(NEXT) | instid1(VALU_DEP_1)
	v_lshrrev_b32_e32 v2, s45, v2
	v_and_b32_e32 v94, s42, v2
	s_wait_alu 0xfffe
	s_or_b32 exec_lo, exec_lo, s30
	s_and_saveexec_b32 s30, s21
	s_cbranch_execnz .LBB1877_634
	s_branch .LBB1877_635
.LBB1877_668:                           ;   in Loop: Header=BB1877_563 Depth=2
	v_lshlrev_b32_e32 v2, 2, v100
	ds_load_b32 v2, v2
	ds_load_b64 v[23:24], v20 offset:1024
	s_wait_dscnt 0x1
	v_add_nc_u32_e32 v2, v2, v1
	s_delay_alu instid0(VALU_DEP_1) | instskip(NEXT) | instid1(VALU_DEP_1)
	v_lshlrev_b64_e32 v[25:26], 3, v[2:3]
	v_add_co_u32 v25, vcc_lo, s26, v25
	s_wait_alu 0xfffd
	s_delay_alu instid0(VALU_DEP_2)
	v_add_co_ci_u32_e64 v26, null, s27, v26, vcc_lo
	s_wait_dscnt 0x0
	global_store_b64 v[25:26], v[23:24], off
	s_wait_alu 0xfffe
	s_or_b32 exec_lo, exec_lo, s22
	s_and_saveexec_b32 s22, s15
	s_cbranch_execz .LBB1877_637
.LBB1877_669:                           ;   in Loop: Header=BB1877_563 Depth=2
	v_lshlrev_b32_e32 v2, 2, v99
	ds_load_b32 v2, v2
	ds_load_b64 v[23:24], v20 offset:3072
	s_wait_dscnt 0x1
	v_add_nc_u32_e32 v2, v2, v29
	s_delay_alu instid0(VALU_DEP_1) | instskip(NEXT) | instid1(VALU_DEP_1)
	v_lshlrev_b64_e32 v[25:26], 3, v[2:3]
	v_add_co_u32 v25, vcc_lo, s26, v25
	s_wait_alu 0xfffd
	s_delay_alu instid0(VALU_DEP_2)
	v_add_co_ci_u32_e64 v26, null, s27, v26, vcc_lo
	s_wait_dscnt 0x0
	global_store_b64 v[25:26], v[23:24], off
	s_wait_alu 0xfffe
	s_or_b32 exec_lo, exec_lo, s22
	s_and_saveexec_b32 s15, s16
	s_cbranch_execz .LBB1877_638
.LBB1877_670:                           ;   in Loop: Header=BB1877_563 Depth=2
	v_lshlrev_b32_e32 v2, 2, v98
	ds_load_b32 v2, v2
	ds_load_b64 v[23:24], v20 offset:5120
	s_wait_dscnt 0x1
	v_add_nc_u32_e32 v2, v2, v30
	s_delay_alu instid0(VALU_DEP_1) | instskip(NEXT) | instid1(VALU_DEP_1)
	v_lshlrev_b64_e32 v[25:26], 3, v[2:3]
	v_add_co_u32 v25, vcc_lo, s26, v25
	s_wait_alu 0xfffd
	s_delay_alu instid0(VALU_DEP_2)
	v_add_co_ci_u32_e64 v26, null, s27, v26, vcc_lo
	s_wait_dscnt 0x0
	global_store_b64 v[25:26], v[23:24], off
	s_wait_alu 0xfffe
	s_or_b32 exec_lo, exec_lo, s15
	s_and_saveexec_b32 s15, s17
	s_cbranch_execz .LBB1877_639
.LBB1877_671:                           ;   in Loop: Header=BB1877_563 Depth=2
	v_lshlrev_b32_e32 v2, 2, v97
	ds_load_b32 v2, v2
	ds_load_b64 v[23:24], v20 offset:7168
	s_wait_dscnt 0x1
	v_add_nc_u32_e32 v2, v2, v31
	s_delay_alu instid0(VALU_DEP_1) | instskip(NEXT) | instid1(VALU_DEP_1)
	v_lshlrev_b64_e32 v[25:26], 3, v[2:3]
	v_add_co_u32 v25, vcc_lo, s26, v25
	s_wait_alu 0xfffd
	s_delay_alu instid0(VALU_DEP_2)
	v_add_co_ci_u32_e64 v26, null, s27, v26, vcc_lo
	s_wait_dscnt 0x0
	global_store_b64 v[25:26], v[23:24], off
	s_wait_alu 0xfffe
	s_or_b32 exec_lo, exec_lo, s15
	s_and_saveexec_b32 s15, s18
	s_cbranch_execz .LBB1877_640
.LBB1877_672:                           ;   in Loop: Header=BB1877_563 Depth=2
	v_lshlrev_b32_e32 v2, 2, v96
	ds_load_b32 v2, v2
	ds_load_b64 v[23:24], v20 offset:9216
	s_wait_dscnt 0x1
	v_add_nc_u32_e32 v2, v2, v34
	s_delay_alu instid0(VALU_DEP_1) | instskip(NEXT) | instid1(VALU_DEP_1)
	v_lshlrev_b64_e32 v[25:26], 3, v[2:3]
	v_add_co_u32 v25, vcc_lo, s26, v25
	s_wait_alu 0xfffd
	s_delay_alu instid0(VALU_DEP_2)
	v_add_co_ci_u32_e64 v26, null, s27, v26, vcc_lo
	s_wait_dscnt 0x0
	global_store_b64 v[25:26], v[23:24], off
	s_wait_alu 0xfffe
	s_or_b32 exec_lo, exec_lo, s15
	s_and_saveexec_b32 s15, s19
	s_cbranch_execz .LBB1877_641
.LBB1877_673:                           ;   in Loop: Header=BB1877_563 Depth=2
	v_lshlrev_b32_e32 v2, 2, v95
	ds_load_b32 v2, v2
	ds_load_b64 v[23:24], v20 offset:11264
	s_wait_dscnt 0x1
	v_add_nc_u32_e32 v2, v2, v35
	s_delay_alu instid0(VALU_DEP_1) | instskip(NEXT) | instid1(VALU_DEP_1)
	v_lshlrev_b64_e32 v[25:26], 3, v[2:3]
	v_add_co_u32 v25, vcc_lo, s26, v25
	s_wait_alu 0xfffd
	s_delay_alu instid0(VALU_DEP_2)
	v_add_co_ci_u32_e64 v26, null, s27, v26, vcc_lo
	s_wait_dscnt 0x0
	global_store_b64 v[25:26], v[23:24], off
	s_wait_alu 0xfffe
	s_or_b32 exec_lo, exec_lo, s15
	s_and_saveexec_b32 s15, s20
	s_cbranch_execz .LBB1877_642
.LBB1877_674:                           ;   in Loop: Header=BB1877_563 Depth=2
	v_lshlrev_b32_e32 v2, 2, v94
	ds_load_b32 v2, v2
	ds_load_b64 v[23:24], v20 offset:13312
	s_wait_dscnt 0x1
	v_add_nc_u32_e32 v2, v2, v36
	s_delay_alu instid0(VALU_DEP_1) | instskip(NEXT) | instid1(VALU_DEP_1)
	v_lshlrev_b64_e32 v[25:26], 3, v[2:3]
	v_add_co_u32 v25, vcc_lo, s26, v25
	s_wait_alu 0xfffd
	s_delay_alu instid0(VALU_DEP_2)
	v_add_co_ci_u32_e64 v26, null, s27, v26, vcc_lo
	s_wait_dscnt 0x0
	global_store_b64 v[25:26], v[23:24], off
	s_wait_alu 0xfffe
	s_or_b32 exec_lo, exec_lo, s15
	s_and_saveexec_b32 s15, s21
	s_cbranch_execnz .LBB1877_643
	s_branch .LBB1877_644
.LBB1877_675:
	s_endpgm
	.section	.rodata,"a",@progbits
	.p2align	6, 0x0
	.amdhsa_kernel _ZN7rocprim17ROCPRIM_400000_NS6detail17trampoline_kernelINS0_14default_configENS1_36segmented_radix_sort_config_selectorI6__halflEEZNS1_25segmented_radix_sort_implIS3_Lb0EPKS5_PS5_PKlPlN2at6native12_GLOBAL__N_18offset_tEEE10hipError_tPvRmT1_PNSt15iterator_traitsISL_E10value_typeET2_T3_PNSM_ISR_E10value_typeET4_jRbjT5_SX_jjP12ihipStream_tbEUlT_E2_NS1_11comp_targetILNS1_3genE10ELNS1_11target_archE1201ELNS1_3gpuE5ELNS1_3repE0EEENS1_30default_config_static_selectorELNS0_4arch9wavefront6targetE0EEEvSL_
		.amdhsa_group_segment_fixed_size 17440
		.amdhsa_private_segment_fixed_size 0
		.amdhsa_kernarg_size 336
		.amdhsa_user_sgpr_count 2
		.amdhsa_user_sgpr_dispatch_ptr 0
		.amdhsa_user_sgpr_queue_ptr 0
		.amdhsa_user_sgpr_kernarg_segment_ptr 1
		.amdhsa_user_sgpr_dispatch_id 0
		.amdhsa_user_sgpr_private_segment_size 0
		.amdhsa_wavefront_size32 1
		.amdhsa_uses_dynamic_stack 0
		.amdhsa_enable_private_segment 0
		.amdhsa_system_sgpr_workgroup_id_x 1
		.amdhsa_system_sgpr_workgroup_id_y 1
		.amdhsa_system_sgpr_workgroup_id_z 0
		.amdhsa_system_sgpr_workgroup_info 0
		.amdhsa_system_vgpr_workitem_id 2
		.amdhsa_next_free_vgpr 198
		.amdhsa_next_free_sgpr 50
		.amdhsa_reserve_vcc 1
		.amdhsa_float_round_mode_32 0
		.amdhsa_float_round_mode_16_64 0
		.amdhsa_float_denorm_mode_32 3
		.amdhsa_float_denorm_mode_16_64 3
		.amdhsa_fp16_overflow 0
		.amdhsa_workgroup_processor_mode 1
		.amdhsa_memory_ordered 1
		.amdhsa_forward_progress 1
		.amdhsa_inst_pref_size 255
		.amdhsa_round_robin_scheduling 0
		.amdhsa_exception_fp_ieee_invalid_op 0
		.amdhsa_exception_fp_denorm_src 0
		.amdhsa_exception_fp_ieee_div_zero 0
		.amdhsa_exception_fp_ieee_overflow 0
		.amdhsa_exception_fp_ieee_underflow 0
		.amdhsa_exception_fp_ieee_inexact 0
		.amdhsa_exception_int_div_zero 0
	.end_amdhsa_kernel
	.section	.text._ZN7rocprim17ROCPRIM_400000_NS6detail17trampoline_kernelINS0_14default_configENS1_36segmented_radix_sort_config_selectorI6__halflEEZNS1_25segmented_radix_sort_implIS3_Lb0EPKS5_PS5_PKlPlN2at6native12_GLOBAL__N_18offset_tEEE10hipError_tPvRmT1_PNSt15iterator_traitsISL_E10value_typeET2_T3_PNSM_ISR_E10value_typeET4_jRbjT5_SX_jjP12ihipStream_tbEUlT_E2_NS1_11comp_targetILNS1_3genE10ELNS1_11target_archE1201ELNS1_3gpuE5ELNS1_3repE0EEENS1_30default_config_static_selectorELNS0_4arch9wavefront6targetE0EEEvSL_,"axG",@progbits,_ZN7rocprim17ROCPRIM_400000_NS6detail17trampoline_kernelINS0_14default_configENS1_36segmented_radix_sort_config_selectorI6__halflEEZNS1_25segmented_radix_sort_implIS3_Lb0EPKS5_PS5_PKlPlN2at6native12_GLOBAL__N_18offset_tEEE10hipError_tPvRmT1_PNSt15iterator_traitsISL_E10value_typeET2_T3_PNSM_ISR_E10value_typeET4_jRbjT5_SX_jjP12ihipStream_tbEUlT_E2_NS1_11comp_targetILNS1_3genE10ELNS1_11target_archE1201ELNS1_3gpuE5ELNS1_3repE0EEENS1_30default_config_static_selectorELNS0_4arch9wavefront6targetE0EEEvSL_,comdat
.Lfunc_end1877:
	.size	_ZN7rocprim17ROCPRIM_400000_NS6detail17trampoline_kernelINS0_14default_configENS1_36segmented_radix_sort_config_selectorI6__halflEEZNS1_25segmented_radix_sort_implIS3_Lb0EPKS5_PS5_PKlPlN2at6native12_GLOBAL__N_18offset_tEEE10hipError_tPvRmT1_PNSt15iterator_traitsISL_E10value_typeET2_T3_PNSM_ISR_E10value_typeET4_jRbjT5_SX_jjP12ihipStream_tbEUlT_E2_NS1_11comp_targetILNS1_3genE10ELNS1_11target_archE1201ELNS1_3gpuE5ELNS1_3repE0EEENS1_30default_config_static_selectorELNS0_4arch9wavefront6targetE0EEEvSL_, .Lfunc_end1877-_ZN7rocprim17ROCPRIM_400000_NS6detail17trampoline_kernelINS0_14default_configENS1_36segmented_radix_sort_config_selectorI6__halflEEZNS1_25segmented_radix_sort_implIS3_Lb0EPKS5_PS5_PKlPlN2at6native12_GLOBAL__N_18offset_tEEE10hipError_tPvRmT1_PNSt15iterator_traitsISL_E10value_typeET2_T3_PNSM_ISR_E10value_typeET4_jRbjT5_SX_jjP12ihipStream_tbEUlT_E2_NS1_11comp_targetILNS1_3genE10ELNS1_11target_archE1201ELNS1_3gpuE5ELNS1_3repE0EEENS1_30default_config_static_selectorELNS0_4arch9wavefront6targetE0EEEvSL_
                                        ; -- End function
	.set _ZN7rocprim17ROCPRIM_400000_NS6detail17trampoline_kernelINS0_14default_configENS1_36segmented_radix_sort_config_selectorI6__halflEEZNS1_25segmented_radix_sort_implIS3_Lb0EPKS5_PS5_PKlPlN2at6native12_GLOBAL__N_18offset_tEEE10hipError_tPvRmT1_PNSt15iterator_traitsISL_E10value_typeET2_T3_PNSM_ISR_E10value_typeET4_jRbjT5_SX_jjP12ihipStream_tbEUlT_E2_NS1_11comp_targetILNS1_3genE10ELNS1_11target_archE1201ELNS1_3gpuE5ELNS1_3repE0EEENS1_30default_config_static_selectorELNS0_4arch9wavefront6targetE0EEEvSL_.num_vgpr, max(135, .L_ZN7rocprim17ROCPRIM_400000_NS6detail26segmented_warp_sort_helperINS1_20WarpSortHelperConfigILj8ELj4ELj256EEE6__halflLi256ELb0EvE4sortIPKS5_PS5_PKlPlEEvT_SA_T0_T1_SD_T2_bjjjjRNS6_12storage_typeE.num_vgpr, .L_ZN7rocprim17ROCPRIM_400000_NS6detail40segmented_radix_sort_single_block_helperI6__halflLj256ELj8ELb0EE4sortIPKS3_PS3_PKlPlEEbT_T0_T1_T2_jjjjRNS4_12storage_typeE.num_vgpr)
	.set _ZN7rocprim17ROCPRIM_400000_NS6detail17trampoline_kernelINS0_14default_configENS1_36segmented_radix_sort_config_selectorI6__halflEEZNS1_25segmented_radix_sort_implIS3_Lb0EPKS5_PS5_PKlPlN2at6native12_GLOBAL__N_18offset_tEEE10hipError_tPvRmT1_PNSt15iterator_traitsISL_E10value_typeET2_T3_PNSM_ISR_E10value_typeET4_jRbjT5_SX_jjP12ihipStream_tbEUlT_E2_NS1_11comp_targetILNS1_3genE10ELNS1_11target_archE1201ELNS1_3gpuE5ELNS1_3repE0EEENS1_30default_config_static_selectorELNS0_4arch9wavefront6targetE0EEEvSL_.num_agpr, max(0, .L_ZN7rocprim17ROCPRIM_400000_NS6detail26segmented_warp_sort_helperINS1_20WarpSortHelperConfigILj8ELj4ELj256EEE6__halflLi256ELb0EvE4sortIPKS5_PS5_PKlPlEEvT_SA_T0_T1_SD_T2_bjjjjRNS6_12storage_typeE.num_agpr, .L_ZN7rocprim17ROCPRIM_400000_NS6detail40segmented_radix_sort_single_block_helperI6__halflLj256ELj8ELb0EE4sortIPKS3_PS3_PKlPlEEbT_T0_T1_T2_jjjjRNS4_12storage_typeE.num_agpr)
	.set _ZN7rocprim17ROCPRIM_400000_NS6detail17trampoline_kernelINS0_14default_configENS1_36segmented_radix_sort_config_selectorI6__halflEEZNS1_25segmented_radix_sort_implIS3_Lb0EPKS5_PS5_PKlPlN2at6native12_GLOBAL__N_18offset_tEEE10hipError_tPvRmT1_PNSt15iterator_traitsISL_E10value_typeET2_T3_PNSM_ISR_E10value_typeET4_jRbjT5_SX_jjP12ihipStream_tbEUlT_E2_NS1_11comp_targetILNS1_3genE10ELNS1_11target_archE1201ELNS1_3gpuE5ELNS1_3repE0EEENS1_30default_config_static_selectorELNS0_4arch9wavefront6targetE0EEEvSL_.numbered_sgpr, max(50, .L_ZN7rocprim17ROCPRIM_400000_NS6detail26segmented_warp_sort_helperINS1_20WarpSortHelperConfigILj8ELj4ELj256EEE6__halflLi256ELb0EvE4sortIPKS5_PS5_PKlPlEEvT_SA_T0_T1_SD_T2_bjjjjRNS6_12storage_typeE.numbered_sgpr, .L_ZN7rocprim17ROCPRIM_400000_NS6detail40segmented_radix_sort_single_block_helperI6__halflLj256ELj8ELb0EE4sortIPKS3_PS3_PKlPlEEbT_T0_T1_T2_jjjjRNS4_12storage_typeE.numbered_sgpr)
	.set _ZN7rocprim17ROCPRIM_400000_NS6detail17trampoline_kernelINS0_14default_configENS1_36segmented_radix_sort_config_selectorI6__halflEEZNS1_25segmented_radix_sort_implIS3_Lb0EPKS5_PS5_PKlPlN2at6native12_GLOBAL__N_18offset_tEEE10hipError_tPvRmT1_PNSt15iterator_traitsISL_E10value_typeET2_T3_PNSM_ISR_E10value_typeET4_jRbjT5_SX_jjP12ihipStream_tbEUlT_E2_NS1_11comp_targetILNS1_3genE10ELNS1_11target_archE1201ELNS1_3gpuE5ELNS1_3repE0EEENS1_30default_config_static_selectorELNS0_4arch9wavefront6targetE0EEEvSL_.num_named_barrier, max(0, .L_ZN7rocprim17ROCPRIM_400000_NS6detail26segmented_warp_sort_helperINS1_20WarpSortHelperConfigILj8ELj4ELj256EEE6__halflLi256ELb0EvE4sortIPKS5_PS5_PKlPlEEvT_SA_T0_T1_SD_T2_bjjjjRNS6_12storage_typeE.num_named_barrier, .L_ZN7rocprim17ROCPRIM_400000_NS6detail40segmented_radix_sort_single_block_helperI6__halflLj256ELj8ELb0EE4sortIPKS3_PS3_PKlPlEEbT_T0_T1_T2_jjjjRNS4_12storage_typeE.num_named_barrier)
	.set _ZN7rocprim17ROCPRIM_400000_NS6detail17trampoline_kernelINS0_14default_configENS1_36segmented_radix_sort_config_selectorI6__halflEEZNS1_25segmented_radix_sort_implIS3_Lb0EPKS5_PS5_PKlPlN2at6native12_GLOBAL__N_18offset_tEEE10hipError_tPvRmT1_PNSt15iterator_traitsISL_E10value_typeET2_T3_PNSM_ISR_E10value_typeET4_jRbjT5_SX_jjP12ihipStream_tbEUlT_E2_NS1_11comp_targetILNS1_3genE10ELNS1_11target_archE1201ELNS1_3gpuE5ELNS1_3repE0EEENS1_30default_config_static_selectorELNS0_4arch9wavefront6targetE0EEEvSL_.private_seg_size, 0+max(.L_ZN7rocprim17ROCPRIM_400000_NS6detail26segmented_warp_sort_helperINS1_20WarpSortHelperConfigILj8ELj4ELj256EEE6__halflLi256ELb0EvE4sortIPKS5_PS5_PKlPlEEvT_SA_T0_T1_SD_T2_bjjjjRNS6_12storage_typeE.private_seg_size, .L_ZN7rocprim17ROCPRIM_400000_NS6detail40segmented_radix_sort_single_block_helperI6__halflLj256ELj8ELb0EE4sortIPKS3_PS3_PKlPlEEbT_T0_T1_T2_jjjjRNS4_12storage_typeE.private_seg_size)
	.set _ZN7rocprim17ROCPRIM_400000_NS6detail17trampoline_kernelINS0_14default_configENS1_36segmented_radix_sort_config_selectorI6__halflEEZNS1_25segmented_radix_sort_implIS3_Lb0EPKS5_PS5_PKlPlN2at6native12_GLOBAL__N_18offset_tEEE10hipError_tPvRmT1_PNSt15iterator_traitsISL_E10value_typeET2_T3_PNSM_ISR_E10value_typeET4_jRbjT5_SX_jjP12ihipStream_tbEUlT_E2_NS1_11comp_targetILNS1_3genE10ELNS1_11target_archE1201ELNS1_3gpuE5ELNS1_3repE0EEENS1_30default_config_static_selectorELNS0_4arch9wavefront6targetE0EEEvSL_.uses_vcc, or(1, .L_ZN7rocprim17ROCPRIM_400000_NS6detail26segmented_warp_sort_helperINS1_20WarpSortHelperConfigILj8ELj4ELj256EEE6__halflLi256ELb0EvE4sortIPKS5_PS5_PKlPlEEvT_SA_T0_T1_SD_T2_bjjjjRNS6_12storage_typeE.uses_vcc, .L_ZN7rocprim17ROCPRIM_400000_NS6detail40segmented_radix_sort_single_block_helperI6__halflLj256ELj8ELb0EE4sortIPKS3_PS3_PKlPlEEbT_T0_T1_T2_jjjjRNS4_12storage_typeE.uses_vcc)
	.set _ZN7rocprim17ROCPRIM_400000_NS6detail17trampoline_kernelINS0_14default_configENS1_36segmented_radix_sort_config_selectorI6__halflEEZNS1_25segmented_radix_sort_implIS3_Lb0EPKS5_PS5_PKlPlN2at6native12_GLOBAL__N_18offset_tEEE10hipError_tPvRmT1_PNSt15iterator_traitsISL_E10value_typeET2_T3_PNSM_ISR_E10value_typeET4_jRbjT5_SX_jjP12ihipStream_tbEUlT_E2_NS1_11comp_targetILNS1_3genE10ELNS1_11target_archE1201ELNS1_3gpuE5ELNS1_3repE0EEENS1_30default_config_static_selectorELNS0_4arch9wavefront6targetE0EEEvSL_.uses_flat_scratch, or(0, .L_ZN7rocprim17ROCPRIM_400000_NS6detail26segmented_warp_sort_helperINS1_20WarpSortHelperConfigILj8ELj4ELj256EEE6__halflLi256ELb0EvE4sortIPKS5_PS5_PKlPlEEvT_SA_T0_T1_SD_T2_bjjjjRNS6_12storage_typeE.uses_flat_scratch, .L_ZN7rocprim17ROCPRIM_400000_NS6detail40segmented_radix_sort_single_block_helperI6__halflLj256ELj8ELb0EE4sortIPKS3_PS3_PKlPlEEbT_T0_T1_T2_jjjjRNS4_12storage_typeE.uses_flat_scratch)
	.set _ZN7rocprim17ROCPRIM_400000_NS6detail17trampoline_kernelINS0_14default_configENS1_36segmented_radix_sort_config_selectorI6__halflEEZNS1_25segmented_radix_sort_implIS3_Lb0EPKS5_PS5_PKlPlN2at6native12_GLOBAL__N_18offset_tEEE10hipError_tPvRmT1_PNSt15iterator_traitsISL_E10value_typeET2_T3_PNSM_ISR_E10value_typeET4_jRbjT5_SX_jjP12ihipStream_tbEUlT_E2_NS1_11comp_targetILNS1_3genE10ELNS1_11target_archE1201ELNS1_3gpuE5ELNS1_3repE0EEENS1_30default_config_static_selectorELNS0_4arch9wavefront6targetE0EEEvSL_.has_dyn_sized_stack, or(0, .L_ZN7rocprim17ROCPRIM_400000_NS6detail26segmented_warp_sort_helperINS1_20WarpSortHelperConfigILj8ELj4ELj256EEE6__halflLi256ELb0EvE4sortIPKS5_PS5_PKlPlEEvT_SA_T0_T1_SD_T2_bjjjjRNS6_12storage_typeE.has_dyn_sized_stack, .L_ZN7rocprim17ROCPRIM_400000_NS6detail40segmented_radix_sort_single_block_helperI6__halflLj256ELj8ELb0EE4sortIPKS3_PS3_PKlPlEEbT_T0_T1_T2_jjjjRNS4_12storage_typeE.has_dyn_sized_stack)
	.set _ZN7rocprim17ROCPRIM_400000_NS6detail17trampoline_kernelINS0_14default_configENS1_36segmented_radix_sort_config_selectorI6__halflEEZNS1_25segmented_radix_sort_implIS3_Lb0EPKS5_PS5_PKlPlN2at6native12_GLOBAL__N_18offset_tEEE10hipError_tPvRmT1_PNSt15iterator_traitsISL_E10value_typeET2_T3_PNSM_ISR_E10value_typeET4_jRbjT5_SX_jjP12ihipStream_tbEUlT_E2_NS1_11comp_targetILNS1_3genE10ELNS1_11target_archE1201ELNS1_3gpuE5ELNS1_3repE0EEENS1_30default_config_static_selectorELNS0_4arch9wavefront6targetE0EEEvSL_.has_recursion, or(0, .L_ZN7rocprim17ROCPRIM_400000_NS6detail26segmented_warp_sort_helperINS1_20WarpSortHelperConfigILj8ELj4ELj256EEE6__halflLi256ELb0EvE4sortIPKS5_PS5_PKlPlEEvT_SA_T0_T1_SD_T2_bjjjjRNS6_12storage_typeE.has_recursion, .L_ZN7rocprim17ROCPRIM_400000_NS6detail40segmented_radix_sort_single_block_helperI6__halflLj256ELj8ELb0EE4sortIPKS3_PS3_PKlPlEEbT_T0_T1_T2_jjjjRNS4_12storage_typeE.has_recursion)
	.set _ZN7rocprim17ROCPRIM_400000_NS6detail17trampoline_kernelINS0_14default_configENS1_36segmented_radix_sort_config_selectorI6__halflEEZNS1_25segmented_radix_sort_implIS3_Lb0EPKS5_PS5_PKlPlN2at6native12_GLOBAL__N_18offset_tEEE10hipError_tPvRmT1_PNSt15iterator_traitsISL_E10value_typeET2_T3_PNSM_ISR_E10value_typeET4_jRbjT5_SX_jjP12ihipStream_tbEUlT_E2_NS1_11comp_targetILNS1_3genE10ELNS1_11target_archE1201ELNS1_3gpuE5ELNS1_3repE0EEENS1_30default_config_static_selectorELNS0_4arch9wavefront6targetE0EEEvSL_.has_indirect_call, or(0, .L_ZN7rocprim17ROCPRIM_400000_NS6detail26segmented_warp_sort_helperINS1_20WarpSortHelperConfigILj8ELj4ELj256EEE6__halflLi256ELb0EvE4sortIPKS5_PS5_PKlPlEEvT_SA_T0_T1_SD_T2_bjjjjRNS6_12storage_typeE.has_indirect_call, .L_ZN7rocprim17ROCPRIM_400000_NS6detail40segmented_radix_sort_single_block_helperI6__halflLj256ELj8ELb0EE4sortIPKS3_PS3_PKlPlEEbT_T0_T1_T2_jjjjRNS4_12storage_typeE.has_indirect_call)
	.section	.AMDGPU.csdata,"",@progbits
; Kernel info:
; codeLenInByte = 48344
; TotalNumSgprs: 52
; NumVgprs: 198
; ScratchSize: 0
; MemoryBound: 0
; FloatMode: 240
; IeeeMode: 1
; LDSByteSize: 17440 bytes/workgroup (compile time only)
; SGPRBlocks: 0
; VGPRBlocks: 24
; NumSGPRsForWavesPerEU: 52
; NumVGPRsForWavesPerEU: 198
; Occupancy: 7
; WaveLimiterHint : 1
; COMPUTE_PGM_RSRC2:SCRATCH_EN: 0
; COMPUTE_PGM_RSRC2:USER_SGPR: 2
; COMPUTE_PGM_RSRC2:TRAP_HANDLER: 0
; COMPUTE_PGM_RSRC2:TGID_X_EN: 1
; COMPUTE_PGM_RSRC2:TGID_Y_EN: 1
; COMPUTE_PGM_RSRC2:TGID_Z_EN: 0
; COMPUTE_PGM_RSRC2:TIDIG_COMP_CNT: 2
	.section	.text._ZN7rocprim17ROCPRIM_400000_NS6detail17trampoline_kernelINS0_14default_configENS1_36segmented_radix_sort_config_selectorI6__halflEEZNS1_25segmented_radix_sort_implIS3_Lb0EPKS5_PS5_PKlPlN2at6native12_GLOBAL__N_18offset_tEEE10hipError_tPvRmT1_PNSt15iterator_traitsISL_E10value_typeET2_T3_PNSM_ISR_E10value_typeET4_jRbjT5_SX_jjP12ihipStream_tbEUlT_E2_NS1_11comp_targetILNS1_3genE10ELNS1_11target_archE1200ELNS1_3gpuE4ELNS1_3repE0EEENS1_30default_config_static_selectorELNS0_4arch9wavefront6targetE0EEEvSL_,"axG",@progbits,_ZN7rocprim17ROCPRIM_400000_NS6detail17trampoline_kernelINS0_14default_configENS1_36segmented_radix_sort_config_selectorI6__halflEEZNS1_25segmented_radix_sort_implIS3_Lb0EPKS5_PS5_PKlPlN2at6native12_GLOBAL__N_18offset_tEEE10hipError_tPvRmT1_PNSt15iterator_traitsISL_E10value_typeET2_T3_PNSM_ISR_E10value_typeET4_jRbjT5_SX_jjP12ihipStream_tbEUlT_E2_NS1_11comp_targetILNS1_3genE10ELNS1_11target_archE1200ELNS1_3gpuE4ELNS1_3repE0EEENS1_30default_config_static_selectorELNS0_4arch9wavefront6targetE0EEEvSL_,comdat
	.globl	_ZN7rocprim17ROCPRIM_400000_NS6detail17trampoline_kernelINS0_14default_configENS1_36segmented_radix_sort_config_selectorI6__halflEEZNS1_25segmented_radix_sort_implIS3_Lb0EPKS5_PS5_PKlPlN2at6native12_GLOBAL__N_18offset_tEEE10hipError_tPvRmT1_PNSt15iterator_traitsISL_E10value_typeET2_T3_PNSM_ISR_E10value_typeET4_jRbjT5_SX_jjP12ihipStream_tbEUlT_E2_NS1_11comp_targetILNS1_3genE10ELNS1_11target_archE1200ELNS1_3gpuE4ELNS1_3repE0EEENS1_30default_config_static_selectorELNS0_4arch9wavefront6targetE0EEEvSL_ ; -- Begin function _ZN7rocprim17ROCPRIM_400000_NS6detail17trampoline_kernelINS0_14default_configENS1_36segmented_radix_sort_config_selectorI6__halflEEZNS1_25segmented_radix_sort_implIS3_Lb0EPKS5_PS5_PKlPlN2at6native12_GLOBAL__N_18offset_tEEE10hipError_tPvRmT1_PNSt15iterator_traitsISL_E10value_typeET2_T3_PNSM_ISR_E10value_typeET4_jRbjT5_SX_jjP12ihipStream_tbEUlT_E2_NS1_11comp_targetILNS1_3genE10ELNS1_11target_archE1200ELNS1_3gpuE4ELNS1_3repE0EEENS1_30default_config_static_selectorELNS0_4arch9wavefront6targetE0EEEvSL_
	.p2align	8
	.type	_ZN7rocprim17ROCPRIM_400000_NS6detail17trampoline_kernelINS0_14default_configENS1_36segmented_radix_sort_config_selectorI6__halflEEZNS1_25segmented_radix_sort_implIS3_Lb0EPKS5_PS5_PKlPlN2at6native12_GLOBAL__N_18offset_tEEE10hipError_tPvRmT1_PNSt15iterator_traitsISL_E10value_typeET2_T3_PNSM_ISR_E10value_typeET4_jRbjT5_SX_jjP12ihipStream_tbEUlT_E2_NS1_11comp_targetILNS1_3genE10ELNS1_11target_archE1200ELNS1_3gpuE4ELNS1_3repE0EEENS1_30default_config_static_selectorELNS0_4arch9wavefront6targetE0EEEvSL_,@function
_ZN7rocprim17ROCPRIM_400000_NS6detail17trampoline_kernelINS0_14default_configENS1_36segmented_radix_sort_config_selectorI6__halflEEZNS1_25segmented_radix_sort_implIS3_Lb0EPKS5_PS5_PKlPlN2at6native12_GLOBAL__N_18offset_tEEE10hipError_tPvRmT1_PNSt15iterator_traitsISL_E10value_typeET2_T3_PNSM_ISR_E10value_typeET4_jRbjT5_SX_jjP12ihipStream_tbEUlT_E2_NS1_11comp_targetILNS1_3genE10ELNS1_11target_archE1200ELNS1_3gpuE4ELNS1_3repE0EEENS1_30default_config_static_selectorELNS0_4arch9wavefront6targetE0EEEvSL_: ; @_ZN7rocprim17ROCPRIM_400000_NS6detail17trampoline_kernelINS0_14default_configENS1_36segmented_radix_sort_config_selectorI6__halflEEZNS1_25segmented_radix_sort_implIS3_Lb0EPKS5_PS5_PKlPlN2at6native12_GLOBAL__N_18offset_tEEE10hipError_tPvRmT1_PNSt15iterator_traitsISL_E10value_typeET2_T3_PNSM_ISR_E10value_typeET4_jRbjT5_SX_jjP12ihipStream_tbEUlT_E2_NS1_11comp_targetILNS1_3genE10ELNS1_11target_archE1200ELNS1_3gpuE4ELNS1_3repE0EEENS1_30default_config_static_selectorELNS0_4arch9wavefront6targetE0EEEvSL_
; %bb.0:
	.section	.rodata,"a",@progbits
	.p2align	6, 0x0
	.amdhsa_kernel _ZN7rocprim17ROCPRIM_400000_NS6detail17trampoline_kernelINS0_14default_configENS1_36segmented_radix_sort_config_selectorI6__halflEEZNS1_25segmented_radix_sort_implIS3_Lb0EPKS5_PS5_PKlPlN2at6native12_GLOBAL__N_18offset_tEEE10hipError_tPvRmT1_PNSt15iterator_traitsISL_E10value_typeET2_T3_PNSM_ISR_E10value_typeET4_jRbjT5_SX_jjP12ihipStream_tbEUlT_E2_NS1_11comp_targetILNS1_3genE10ELNS1_11target_archE1200ELNS1_3gpuE4ELNS1_3repE0EEENS1_30default_config_static_selectorELNS0_4arch9wavefront6targetE0EEEvSL_
		.amdhsa_group_segment_fixed_size 0
		.amdhsa_private_segment_fixed_size 0
		.amdhsa_kernarg_size 80
		.amdhsa_user_sgpr_count 2
		.amdhsa_user_sgpr_dispatch_ptr 0
		.amdhsa_user_sgpr_queue_ptr 0
		.amdhsa_user_sgpr_kernarg_segment_ptr 1
		.amdhsa_user_sgpr_dispatch_id 0
		.amdhsa_user_sgpr_private_segment_size 0
		.amdhsa_wavefront_size32 1
		.amdhsa_uses_dynamic_stack 0
		.amdhsa_enable_private_segment 0
		.amdhsa_system_sgpr_workgroup_id_x 1
		.amdhsa_system_sgpr_workgroup_id_y 0
		.amdhsa_system_sgpr_workgroup_id_z 0
		.amdhsa_system_sgpr_workgroup_info 0
		.amdhsa_system_vgpr_workitem_id 0
		.amdhsa_next_free_vgpr 1
		.amdhsa_next_free_sgpr 1
		.amdhsa_reserve_vcc 0
		.amdhsa_float_round_mode_32 0
		.amdhsa_float_round_mode_16_64 0
		.amdhsa_float_denorm_mode_32 3
		.amdhsa_float_denorm_mode_16_64 3
		.amdhsa_fp16_overflow 0
		.amdhsa_workgroup_processor_mode 1
		.amdhsa_memory_ordered 1
		.amdhsa_forward_progress 1
		.amdhsa_inst_pref_size 0
		.amdhsa_round_robin_scheduling 0
		.amdhsa_exception_fp_ieee_invalid_op 0
		.amdhsa_exception_fp_denorm_src 0
		.amdhsa_exception_fp_ieee_div_zero 0
		.amdhsa_exception_fp_ieee_overflow 0
		.amdhsa_exception_fp_ieee_underflow 0
		.amdhsa_exception_fp_ieee_inexact 0
		.amdhsa_exception_int_div_zero 0
	.end_amdhsa_kernel
	.section	.text._ZN7rocprim17ROCPRIM_400000_NS6detail17trampoline_kernelINS0_14default_configENS1_36segmented_radix_sort_config_selectorI6__halflEEZNS1_25segmented_radix_sort_implIS3_Lb0EPKS5_PS5_PKlPlN2at6native12_GLOBAL__N_18offset_tEEE10hipError_tPvRmT1_PNSt15iterator_traitsISL_E10value_typeET2_T3_PNSM_ISR_E10value_typeET4_jRbjT5_SX_jjP12ihipStream_tbEUlT_E2_NS1_11comp_targetILNS1_3genE10ELNS1_11target_archE1200ELNS1_3gpuE4ELNS1_3repE0EEENS1_30default_config_static_selectorELNS0_4arch9wavefront6targetE0EEEvSL_,"axG",@progbits,_ZN7rocprim17ROCPRIM_400000_NS6detail17trampoline_kernelINS0_14default_configENS1_36segmented_radix_sort_config_selectorI6__halflEEZNS1_25segmented_radix_sort_implIS3_Lb0EPKS5_PS5_PKlPlN2at6native12_GLOBAL__N_18offset_tEEE10hipError_tPvRmT1_PNSt15iterator_traitsISL_E10value_typeET2_T3_PNSM_ISR_E10value_typeET4_jRbjT5_SX_jjP12ihipStream_tbEUlT_E2_NS1_11comp_targetILNS1_3genE10ELNS1_11target_archE1200ELNS1_3gpuE4ELNS1_3repE0EEENS1_30default_config_static_selectorELNS0_4arch9wavefront6targetE0EEEvSL_,comdat
.Lfunc_end1878:
	.size	_ZN7rocprim17ROCPRIM_400000_NS6detail17trampoline_kernelINS0_14default_configENS1_36segmented_radix_sort_config_selectorI6__halflEEZNS1_25segmented_radix_sort_implIS3_Lb0EPKS5_PS5_PKlPlN2at6native12_GLOBAL__N_18offset_tEEE10hipError_tPvRmT1_PNSt15iterator_traitsISL_E10value_typeET2_T3_PNSM_ISR_E10value_typeET4_jRbjT5_SX_jjP12ihipStream_tbEUlT_E2_NS1_11comp_targetILNS1_3genE10ELNS1_11target_archE1200ELNS1_3gpuE4ELNS1_3repE0EEENS1_30default_config_static_selectorELNS0_4arch9wavefront6targetE0EEEvSL_, .Lfunc_end1878-_ZN7rocprim17ROCPRIM_400000_NS6detail17trampoline_kernelINS0_14default_configENS1_36segmented_radix_sort_config_selectorI6__halflEEZNS1_25segmented_radix_sort_implIS3_Lb0EPKS5_PS5_PKlPlN2at6native12_GLOBAL__N_18offset_tEEE10hipError_tPvRmT1_PNSt15iterator_traitsISL_E10value_typeET2_T3_PNSM_ISR_E10value_typeET4_jRbjT5_SX_jjP12ihipStream_tbEUlT_E2_NS1_11comp_targetILNS1_3genE10ELNS1_11target_archE1200ELNS1_3gpuE4ELNS1_3repE0EEENS1_30default_config_static_selectorELNS0_4arch9wavefront6targetE0EEEvSL_
                                        ; -- End function
	.set _ZN7rocprim17ROCPRIM_400000_NS6detail17trampoline_kernelINS0_14default_configENS1_36segmented_radix_sort_config_selectorI6__halflEEZNS1_25segmented_radix_sort_implIS3_Lb0EPKS5_PS5_PKlPlN2at6native12_GLOBAL__N_18offset_tEEE10hipError_tPvRmT1_PNSt15iterator_traitsISL_E10value_typeET2_T3_PNSM_ISR_E10value_typeET4_jRbjT5_SX_jjP12ihipStream_tbEUlT_E2_NS1_11comp_targetILNS1_3genE10ELNS1_11target_archE1200ELNS1_3gpuE4ELNS1_3repE0EEENS1_30default_config_static_selectorELNS0_4arch9wavefront6targetE0EEEvSL_.num_vgpr, 0
	.set _ZN7rocprim17ROCPRIM_400000_NS6detail17trampoline_kernelINS0_14default_configENS1_36segmented_radix_sort_config_selectorI6__halflEEZNS1_25segmented_radix_sort_implIS3_Lb0EPKS5_PS5_PKlPlN2at6native12_GLOBAL__N_18offset_tEEE10hipError_tPvRmT1_PNSt15iterator_traitsISL_E10value_typeET2_T3_PNSM_ISR_E10value_typeET4_jRbjT5_SX_jjP12ihipStream_tbEUlT_E2_NS1_11comp_targetILNS1_3genE10ELNS1_11target_archE1200ELNS1_3gpuE4ELNS1_3repE0EEENS1_30default_config_static_selectorELNS0_4arch9wavefront6targetE0EEEvSL_.num_agpr, 0
	.set _ZN7rocprim17ROCPRIM_400000_NS6detail17trampoline_kernelINS0_14default_configENS1_36segmented_radix_sort_config_selectorI6__halflEEZNS1_25segmented_radix_sort_implIS3_Lb0EPKS5_PS5_PKlPlN2at6native12_GLOBAL__N_18offset_tEEE10hipError_tPvRmT1_PNSt15iterator_traitsISL_E10value_typeET2_T3_PNSM_ISR_E10value_typeET4_jRbjT5_SX_jjP12ihipStream_tbEUlT_E2_NS1_11comp_targetILNS1_3genE10ELNS1_11target_archE1200ELNS1_3gpuE4ELNS1_3repE0EEENS1_30default_config_static_selectorELNS0_4arch9wavefront6targetE0EEEvSL_.numbered_sgpr, 0
	.set _ZN7rocprim17ROCPRIM_400000_NS6detail17trampoline_kernelINS0_14default_configENS1_36segmented_radix_sort_config_selectorI6__halflEEZNS1_25segmented_radix_sort_implIS3_Lb0EPKS5_PS5_PKlPlN2at6native12_GLOBAL__N_18offset_tEEE10hipError_tPvRmT1_PNSt15iterator_traitsISL_E10value_typeET2_T3_PNSM_ISR_E10value_typeET4_jRbjT5_SX_jjP12ihipStream_tbEUlT_E2_NS1_11comp_targetILNS1_3genE10ELNS1_11target_archE1200ELNS1_3gpuE4ELNS1_3repE0EEENS1_30default_config_static_selectorELNS0_4arch9wavefront6targetE0EEEvSL_.num_named_barrier, 0
	.set _ZN7rocprim17ROCPRIM_400000_NS6detail17trampoline_kernelINS0_14default_configENS1_36segmented_radix_sort_config_selectorI6__halflEEZNS1_25segmented_radix_sort_implIS3_Lb0EPKS5_PS5_PKlPlN2at6native12_GLOBAL__N_18offset_tEEE10hipError_tPvRmT1_PNSt15iterator_traitsISL_E10value_typeET2_T3_PNSM_ISR_E10value_typeET4_jRbjT5_SX_jjP12ihipStream_tbEUlT_E2_NS1_11comp_targetILNS1_3genE10ELNS1_11target_archE1200ELNS1_3gpuE4ELNS1_3repE0EEENS1_30default_config_static_selectorELNS0_4arch9wavefront6targetE0EEEvSL_.private_seg_size, 0
	.set _ZN7rocprim17ROCPRIM_400000_NS6detail17trampoline_kernelINS0_14default_configENS1_36segmented_radix_sort_config_selectorI6__halflEEZNS1_25segmented_radix_sort_implIS3_Lb0EPKS5_PS5_PKlPlN2at6native12_GLOBAL__N_18offset_tEEE10hipError_tPvRmT1_PNSt15iterator_traitsISL_E10value_typeET2_T3_PNSM_ISR_E10value_typeET4_jRbjT5_SX_jjP12ihipStream_tbEUlT_E2_NS1_11comp_targetILNS1_3genE10ELNS1_11target_archE1200ELNS1_3gpuE4ELNS1_3repE0EEENS1_30default_config_static_selectorELNS0_4arch9wavefront6targetE0EEEvSL_.uses_vcc, 0
	.set _ZN7rocprim17ROCPRIM_400000_NS6detail17trampoline_kernelINS0_14default_configENS1_36segmented_radix_sort_config_selectorI6__halflEEZNS1_25segmented_radix_sort_implIS3_Lb0EPKS5_PS5_PKlPlN2at6native12_GLOBAL__N_18offset_tEEE10hipError_tPvRmT1_PNSt15iterator_traitsISL_E10value_typeET2_T3_PNSM_ISR_E10value_typeET4_jRbjT5_SX_jjP12ihipStream_tbEUlT_E2_NS1_11comp_targetILNS1_3genE10ELNS1_11target_archE1200ELNS1_3gpuE4ELNS1_3repE0EEENS1_30default_config_static_selectorELNS0_4arch9wavefront6targetE0EEEvSL_.uses_flat_scratch, 0
	.set _ZN7rocprim17ROCPRIM_400000_NS6detail17trampoline_kernelINS0_14default_configENS1_36segmented_radix_sort_config_selectorI6__halflEEZNS1_25segmented_radix_sort_implIS3_Lb0EPKS5_PS5_PKlPlN2at6native12_GLOBAL__N_18offset_tEEE10hipError_tPvRmT1_PNSt15iterator_traitsISL_E10value_typeET2_T3_PNSM_ISR_E10value_typeET4_jRbjT5_SX_jjP12ihipStream_tbEUlT_E2_NS1_11comp_targetILNS1_3genE10ELNS1_11target_archE1200ELNS1_3gpuE4ELNS1_3repE0EEENS1_30default_config_static_selectorELNS0_4arch9wavefront6targetE0EEEvSL_.has_dyn_sized_stack, 0
	.set _ZN7rocprim17ROCPRIM_400000_NS6detail17trampoline_kernelINS0_14default_configENS1_36segmented_radix_sort_config_selectorI6__halflEEZNS1_25segmented_radix_sort_implIS3_Lb0EPKS5_PS5_PKlPlN2at6native12_GLOBAL__N_18offset_tEEE10hipError_tPvRmT1_PNSt15iterator_traitsISL_E10value_typeET2_T3_PNSM_ISR_E10value_typeET4_jRbjT5_SX_jjP12ihipStream_tbEUlT_E2_NS1_11comp_targetILNS1_3genE10ELNS1_11target_archE1200ELNS1_3gpuE4ELNS1_3repE0EEENS1_30default_config_static_selectorELNS0_4arch9wavefront6targetE0EEEvSL_.has_recursion, 0
	.set _ZN7rocprim17ROCPRIM_400000_NS6detail17trampoline_kernelINS0_14default_configENS1_36segmented_radix_sort_config_selectorI6__halflEEZNS1_25segmented_radix_sort_implIS3_Lb0EPKS5_PS5_PKlPlN2at6native12_GLOBAL__N_18offset_tEEE10hipError_tPvRmT1_PNSt15iterator_traitsISL_E10value_typeET2_T3_PNSM_ISR_E10value_typeET4_jRbjT5_SX_jjP12ihipStream_tbEUlT_E2_NS1_11comp_targetILNS1_3genE10ELNS1_11target_archE1200ELNS1_3gpuE4ELNS1_3repE0EEENS1_30default_config_static_selectorELNS0_4arch9wavefront6targetE0EEEvSL_.has_indirect_call, 0
	.section	.AMDGPU.csdata,"",@progbits
; Kernel info:
; codeLenInByte = 0
; TotalNumSgprs: 0
; NumVgprs: 0
; ScratchSize: 0
; MemoryBound: 0
; FloatMode: 240
; IeeeMode: 1
; LDSByteSize: 0 bytes/workgroup (compile time only)
; SGPRBlocks: 0
; VGPRBlocks: 0
; NumSGPRsForWavesPerEU: 1
; NumVGPRsForWavesPerEU: 1
; Occupancy: 16
; WaveLimiterHint : 0
; COMPUTE_PGM_RSRC2:SCRATCH_EN: 0
; COMPUTE_PGM_RSRC2:USER_SGPR: 2
; COMPUTE_PGM_RSRC2:TRAP_HANDLER: 0
; COMPUTE_PGM_RSRC2:TGID_X_EN: 1
; COMPUTE_PGM_RSRC2:TGID_Y_EN: 0
; COMPUTE_PGM_RSRC2:TGID_Z_EN: 0
; COMPUTE_PGM_RSRC2:TIDIG_COMP_CNT: 0
	.section	.text._ZN7rocprim17ROCPRIM_400000_NS6detail17trampoline_kernelINS0_14default_configENS1_36segmented_radix_sort_config_selectorI6__halflEEZNS1_25segmented_radix_sort_implIS3_Lb0EPKS5_PS5_PKlPlN2at6native12_GLOBAL__N_18offset_tEEE10hipError_tPvRmT1_PNSt15iterator_traitsISL_E10value_typeET2_T3_PNSM_ISR_E10value_typeET4_jRbjT5_SX_jjP12ihipStream_tbEUlT_E2_NS1_11comp_targetILNS1_3genE9ELNS1_11target_archE1100ELNS1_3gpuE3ELNS1_3repE0EEENS1_30default_config_static_selectorELNS0_4arch9wavefront6targetE0EEEvSL_,"axG",@progbits,_ZN7rocprim17ROCPRIM_400000_NS6detail17trampoline_kernelINS0_14default_configENS1_36segmented_radix_sort_config_selectorI6__halflEEZNS1_25segmented_radix_sort_implIS3_Lb0EPKS5_PS5_PKlPlN2at6native12_GLOBAL__N_18offset_tEEE10hipError_tPvRmT1_PNSt15iterator_traitsISL_E10value_typeET2_T3_PNSM_ISR_E10value_typeET4_jRbjT5_SX_jjP12ihipStream_tbEUlT_E2_NS1_11comp_targetILNS1_3genE9ELNS1_11target_archE1100ELNS1_3gpuE3ELNS1_3repE0EEENS1_30default_config_static_selectorELNS0_4arch9wavefront6targetE0EEEvSL_,comdat
	.globl	_ZN7rocprim17ROCPRIM_400000_NS6detail17trampoline_kernelINS0_14default_configENS1_36segmented_radix_sort_config_selectorI6__halflEEZNS1_25segmented_radix_sort_implIS3_Lb0EPKS5_PS5_PKlPlN2at6native12_GLOBAL__N_18offset_tEEE10hipError_tPvRmT1_PNSt15iterator_traitsISL_E10value_typeET2_T3_PNSM_ISR_E10value_typeET4_jRbjT5_SX_jjP12ihipStream_tbEUlT_E2_NS1_11comp_targetILNS1_3genE9ELNS1_11target_archE1100ELNS1_3gpuE3ELNS1_3repE0EEENS1_30default_config_static_selectorELNS0_4arch9wavefront6targetE0EEEvSL_ ; -- Begin function _ZN7rocprim17ROCPRIM_400000_NS6detail17trampoline_kernelINS0_14default_configENS1_36segmented_radix_sort_config_selectorI6__halflEEZNS1_25segmented_radix_sort_implIS3_Lb0EPKS5_PS5_PKlPlN2at6native12_GLOBAL__N_18offset_tEEE10hipError_tPvRmT1_PNSt15iterator_traitsISL_E10value_typeET2_T3_PNSM_ISR_E10value_typeET4_jRbjT5_SX_jjP12ihipStream_tbEUlT_E2_NS1_11comp_targetILNS1_3genE9ELNS1_11target_archE1100ELNS1_3gpuE3ELNS1_3repE0EEENS1_30default_config_static_selectorELNS0_4arch9wavefront6targetE0EEEvSL_
	.p2align	8
	.type	_ZN7rocprim17ROCPRIM_400000_NS6detail17trampoline_kernelINS0_14default_configENS1_36segmented_radix_sort_config_selectorI6__halflEEZNS1_25segmented_radix_sort_implIS3_Lb0EPKS5_PS5_PKlPlN2at6native12_GLOBAL__N_18offset_tEEE10hipError_tPvRmT1_PNSt15iterator_traitsISL_E10value_typeET2_T3_PNSM_ISR_E10value_typeET4_jRbjT5_SX_jjP12ihipStream_tbEUlT_E2_NS1_11comp_targetILNS1_3genE9ELNS1_11target_archE1100ELNS1_3gpuE3ELNS1_3repE0EEENS1_30default_config_static_selectorELNS0_4arch9wavefront6targetE0EEEvSL_,@function
_ZN7rocprim17ROCPRIM_400000_NS6detail17trampoline_kernelINS0_14default_configENS1_36segmented_radix_sort_config_selectorI6__halflEEZNS1_25segmented_radix_sort_implIS3_Lb0EPKS5_PS5_PKlPlN2at6native12_GLOBAL__N_18offset_tEEE10hipError_tPvRmT1_PNSt15iterator_traitsISL_E10value_typeET2_T3_PNSM_ISR_E10value_typeET4_jRbjT5_SX_jjP12ihipStream_tbEUlT_E2_NS1_11comp_targetILNS1_3genE9ELNS1_11target_archE1100ELNS1_3gpuE3ELNS1_3repE0EEENS1_30default_config_static_selectorELNS0_4arch9wavefront6targetE0EEEvSL_: ; @_ZN7rocprim17ROCPRIM_400000_NS6detail17trampoline_kernelINS0_14default_configENS1_36segmented_radix_sort_config_selectorI6__halflEEZNS1_25segmented_radix_sort_implIS3_Lb0EPKS5_PS5_PKlPlN2at6native12_GLOBAL__N_18offset_tEEE10hipError_tPvRmT1_PNSt15iterator_traitsISL_E10value_typeET2_T3_PNSM_ISR_E10value_typeET4_jRbjT5_SX_jjP12ihipStream_tbEUlT_E2_NS1_11comp_targetILNS1_3genE9ELNS1_11target_archE1100ELNS1_3gpuE3ELNS1_3repE0EEENS1_30default_config_static_selectorELNS0_4arch9wavefront6targetE0EEEvSL_
; %bb.0:
	.section	.rodata,"a",@progbits
	.p2align	6, 0x0
	.amdhsa_kernel _ZN7rocprim17ROCPRIM_400000_NS6detail17trampoline_kernelINS0_14default_configENS1_36segmented_radix_sort_config_selectorI6__halflEEZNS1_25segmented_radix_sort_implIS3_Lb0EPKS5_PS5_PKlPlN2at6native12_GLOBAL__N_18offset_tEEE10hipError_tPvRmT1_PNSt15iterator_traitsISL_E10value_typeET2_T3_PNSM_ISR_E10value_typeET4_jRbjT5_SX_jjP12ihipStream_tbEUlT_E2_NS1_11comp_targetILNS1_3genE9ELNS1_11target_archE1100ELNS1_3gpuE3ELNS1_3repE0EEENS1_30default_config_static_selectorELNS0_4arch9wavefront6targetE0EEEvSL_
		.amdhsa_group_segment_fixed_size 0
		.amdhsa_private_segment_fixed_size 0
		.amdhsa_kernarg_size 80
		.amdhsa_user_sgpr_count 2
		.amdhsa_user_sgpr_dispatch_ptr 0
		.amdhsa_user_sgpr_queue_ptr 0
		.amdhsa_user_sgpr_kernarg_segment_ptr 1
		.amdhsa_user_sgpr_dispatch_id 0
		.amdhsa_user_sgpr_private_segment_size 0
		.amdhsa_wavefront_size32 1
		.amdhsa_uses_dynamic_stack 0
		.amdhsa_enable_private_segment 0
		.amdhsa_system_sgpr_workgroup_id_x 1
		.amdhsa_system_sgpr_workgroup_id_y 0
		.amdhsa_system_sgpr_workgroup_id_z 0
		.amdhsa_system_sgpr_workgroup_info 0
		.amdhsa_system_vgpr_workitem_id 0
		.amdhsa_next_free_vgpr 1
		.amdhsa_next_free_sgpr 1
		.amdhsa_reserve_vcc 0
		.amdhsa_float_round_mode_32 0
		.amdhsa_float_round_mode_16_64 0
		.amdhsa_float_denorm_mode_32 3
		.amdhsa_float_denorm_mode_16_64 3
		.amdhsa_fp16_overflow 0
		.amdhsa_workgroup_processor_mode 1
		.amdhsa_memory_ordered 1
		.amdhsa_forward_progress 1
		.amdhsa_inst_pref_size 0
		.amdhsa_round_robin_scheduling 0
		.amdhsa_exception_fp_ieee_invalid_op 0
		.amdhsa_exception_fp_denorm_src 0
		.amdhsa_exception_fp_ieee_div_zero 0
		.amdhsa_exception_fp_ieee_overflow 0
		.amdhsa_exception_fp_ieee_underflow 0
		.amdhsa_exception_fp_ieee_inexact 0
		.amdhsa_exception_int_div_zero 0
	.end_amdhsa_kernel
	.section	.text._ZN7rocprim17ROCPRIM_400000_NS6detail17trampoline_kernelINS0_14default_configENS1_36segmented_radix_sort_config_selectorI6__halflEEZNS1_25segmented_radix_sort_implIS3_Lb0EPKS5_PS5_PKlPlN2at6native12_GLOBAL__N_18offset_tEEE10hipError_tPvRmT1_PNSt15iterator_traitsISL_E10value_typeET2_T3_PNSM_ISR_E10value_typeET4_jRbjT5_SX_jjP12ihipStream_tbEUlT_E2_NS1_11comp_targetILNS1_3genE9ELNS1_11target_archE1100ELNS1_3gpuE3ELNS1_3repE0EEENS1_30default_config_static_selectorELNS0_4arch9wavefront6targetE0EEEvSL_,"axG",@progbits,_ZN7rocprim17ROCPRIM_400000_NS6detail17trampoline_kernelINS0_14default_configENS1_36segmented_radix_sort_config_selectorI6__halflEEZNS1_25segmented_radix_sort_implIS3_Lb0EPKS5_PS5_PKlPlN2at6native12_GLOBAL__N_18offset_tEEE10hipError_tPvRmT1_PNSt15iterator_traitsISL_E10value_typeET2_T3_PNSM_ISR_E10value_typeET4_jRbjT5_SX_jjP12ihipStream_tbEUlT_E2_NS1_11comp_targetILNS1_3genE9ELNS1_11target_archE1100ELNS1_3gpuE3ELNS1_3repE0EEENS1_30default_config_static_selectorELNS0_4arch9wavefront6targetE0EEEvSL_,comdat
.Lfunc_end1879:
	.size	_ZN7rocprim17ROCPRIM_400000_NS6detail17trampoline_kernelINS0_14default_configENS1_36segmented_radix_sort_config_selectorI6__halflEEZNS1_25segmented_radix_sort_implIS3_Lb0EPKS5_PS5_PKlPlN2at6native12_GLOBAL__N_18offset_tEEE10hipError_tPvRmT1_PNSt15iterator_traitsISL_E10value_typeET2_T3_PNSM_ISR_E10value_typeET4_jRbjT5_SX_jjP12ihipStream_tbEUlT_E2_NS1_11comp_targetILNS1_3genE9ELNS1_11target_archE1100ELNS1_3gpuE3ELNS1_3repE0EEENS1_30default_config_static_selectorELNS0_4arch9wavefront6targetE0EEEvSL_, .Lfunc_end1879-_ZN7rocprim17ROCPRIM_400000_NS6detail17trampoline_kernelINS0_14default_configENS1_36segmented_radix_sort_config_selectorI6__halflEEZNS1_25segmented_radix_sort_implIS3_Lb0EPKS5_PS5_PKlPlN2at6native12_GLOBAL__N_18offset_tEEE10hipError_tPvRmT1_PNSt15iterator_traitsISL_E10value_typeET2_T3_PNSM_ISR_E10value_typeET4_jRbjT5_SX_jjP12ihipStream_tbEUlT_E2_NS1_11comp_targetILNS1_3genE9ELNS1_11target_archE1100ELNS1_3gpuE3ELNS1_3repE0EEENS1_30default_config_static_selectorELNS0_4arch9wavefront6targetE0EEEvSL_
                                        ; -- End function
	.set _ZN7rocprim17ROCPRIM_400000_NS6detail17trampoline_kernelINS0_14default_configENS1_36segmented_radix_sort_config_selectorI6__halflEEZNS1_25segmented_radix_sort_implIS3_Lb0EPKS5_PS5_PKlPlN2at6native12_GLOBAL__N_18offset_tEEE10hipError_tPvRmT1_PNSt15iterator_traitsISL_E10value_typeET2_T3_PNSM_ISR_E10value_typeET4_jRbjT5_SX_jjP12ihipStream_tbEUlT_E2_NS1_11comp_targetILNS1_3genE9ELNS1_11target_archE1100ELNS1_3gpuE3ELNS1_3repE0EEENS1_30default_config_static_selectorELNS0_4arch9wavefront6targetE0EEEvSL_.num_vgpr, 0
	.set _ZN7rocprim17ROCPRIM_400000_NS6detail17trampoline_kernelINS0_14default_configENS1_36segmented_radix_sort_config_selectorI6__halflEEZNS1_25segmented_radix_sort_implIS3_Lb0EPKS5_PS5_PKlPlN2at6native12_GLOBAL__N_18offset_tEEE10hipError_tPvRmT1_PNSt15iterator_traitsISL_E10value_typeET2_T3_PNSM_ISR_E10value_typeET4_jRbjT5_SX_jjP12ihipStream_tbEUlT_E2_NS1_11comp_targetILNS1_3genE9ELNS1_11target_archE1100ELNS1_3gpuE3ELNS1_3repE0EEENS1_30default_config_static_selectorELNS0_4arch9wavefront6targetE0EEEvSL_.num_agpr, 0
	.set _ZN7rocprim17ROCPRIM_400000_NS6detail17trampoline_kernelINS0_14default_configENS1_36segmented_radix_sort_config_selectorI6__halflEEZNS1_25segmented_radix_sort_implIS3_Lb0EPKS5_PS5_PKlPlN2at6native12_GLOBAL__N_18offset_tEEE10hipError_tPvRmT1_PNSt15iterator_traitsISL_E10value_typeET2_T3_PNSM_ISR_E10value_typeET4_jRbjT5_SX_jjP12ihipStream_tbEUlT_E2_NS1_11comp_targetILNS1_3genE9ELNS1_11target_archE1100ELNS1_3gpuE3ELNS1_3repE0EEENS1_30default_config_static_selectorELNS0_4arch9wavefront6targetE0EEEvSL_.numbered_sgpr, 0
	.set _ZN7rocprim17ROCPRIM_400000_NS6detail17trampoline_kernelINS0_14default_configENS1_36segmented_radix_sort_config_selectorI6__halflEEZNS1_25segmented_radix_sort_implIS3_Lb0EPKS5_PS5_PKlPlN2at6native12_GLOBAL__N_18offset_tEEE10hipError_tPvRmT1_PNSt15iterator_traitsISL_E10value_typeET2_T3_PNSM_ISR_E10value_typeET4_jRbjT5_SX_jjP12ihipStream_tbEUlT_E2_NS1_11comp_targetILNS1_3genE9ELNS1_11target_archE1100ELNS1_3gpuE3ELNS1_3repE0EEENS1_30default_config_static_selectorELNS0_4arch9wavefront6targetE0EEEvSL_.num_named_barrier, 0
	.set _ZN7rocprim17ROCPRIM_400000_NS6detail17trampoline_kernelINS0_14default_configENS1_36segmented_radix_sort_config_selectorI6__halflEEZNS1_25segmented_radix_sort_implIS3_Lb0EPKS5_PS5_PKlPlN2at6native12_GLOBAL__N_18offset_tEEE10hipError_tPvRmT1_PNSt15iterator_traitsISL_E10value_typeET2_T3_PNSM_ISR_E10value_typeET4_jRbjT5_SX_jjP12ihipStream_tbEUlT_E2_NS1_11comp_targetILNS1_3genE9ELNS1_11target_archE1100ELNS1_3gpuE3ELNS1_3repE0EEENS1_30default_config_static_selectorELNS0_4arch9wavefront6targetE0EEEvSL_.private_seg_size, 0
	.set _ZN7rocprim17ROCPRIM_400000_NS6detail17trampoline_kernelINS0_14default_configENS1_36segmented_radix_sort_config_selectorI6__halflEEZNS1_25segmented_radix_sort_implIS3_Lb0EPKS5_PS5_PKlPlN2at6native12_GLOBAL__N_18offset_tEEE10hipError_tPvRmT1_PNSt15iterator_traitsISL_E10value_typeET2_T3_PNSM_ISR_E10value_typeET4_jRbjT5_SX_jjP12ihipStream_tbEUlT_E2_NS1_11comp_targetILNS1_3genE9ELNS1_11target_archE1100ELNS1_3gpuE3ELNS1_3repE0EEENS1_30default_config_static_selectorELNS0_4arch9wavefront6targetE0EEEvSL_.uses_vcc, 0
	.set _ZN7rocprim17ROCPRIM_400000_NS6detail17trampoline_kernelINS0_14default_configENS1_36segmented_radix_sort_config_selectorI6__halflEEZNS1_25segmented_radix_sort_implIS3_Lb0EPKS5_PS5_PKlPlN2at6native12_GLOBAL__N_18offset_tEEE10hipError_tPvRmT1_PNSt15iterator_traitsISL_E10value_typeET2_T3_PNSM_ISR_E10value_typeET4_jRbjT5_SX_jjP12ihipStream_tbEUlT_E2_NS1_11comp_targetILNS1_3genE9ELNS1_11target_archE1100ELNS1_3gpuE3ELNS1_3repE0EEENS1_30default_config_static_selectorELNS0_4arch9wavefront6targetE0EEEvSL_.uses_flat_scratch, 0
	.set _ZN7rocprim17ROCPRIM_400000_NS6detail17trampoline_kernelINS0_14default_configENS1_36segmented_radix_sort_config_selectorI6__halflEEZNS1_25segmented_radix_sort_implIS3_Lb0EPKS5_PS5_PKlPlN2at6native12_GLOBAL__N_18offset_tEEE10hipError_tPvRmT1_PNSt15iterator_traitsISL_E10value_typeET2_T3_PNSM_ISR_E10value_typeET4_jRbjT5_SX_jjP12ihipStream_tbEUlT_E2_NS1_11comp_targetILNS1_3genE9ELNS1_11target_archE1100ELNS1_3gpuE3ELNS1_3repE0EEENS1_30default_config_static_selectorELNS0_4arch9wavefront6targetE0EEEvSL_.has_dyn_sized_stack, 0
	.set _ZN7rocprim17ROCPRIM_400000_NS6detail17trampoline_kernelINS0_14default_configENS1_36segmented_radix_sort_config_selectorI6__halflEEZNS1_25segmented_radix_sort_implIS3_Lb0EPKS5_PS5_PKlPlN2at6native12_GLOBAL__N_18offset_tEEE10hipError_tPvRmT1_PNSt15iterator_traitsISL_E10value_typeET2_T3_PNSM_ISR_E10value_typeET4_jRbjT5_SX_jjP12ihipStream_tbEUlT_E2_NS1_11comp_targetILNS1_3genE9ELNS1_11target_archE1100ELNS1_3gpuE3ELNS1_3repE0EEENS1_30default_config_static_selectorELNS0_4arch9wavefront6targetE0EEEvSL_.has_recursion, 0
	.set _ZN7rocprim17ROCPRIM_400000_NS6detail17trampoline_kernelINS0_14default_configENS1_36segmented_radix_sort_config_selectorI6__halflEEZNS1_25segmented_radix_sort_implIS3_Lb0EPKS5_PS5_PKlPlN2at6native12_GLOBAL__N_18offset_tEEE10hipError_tPvRmT1_PNSt15iterator_traitsISL_E10value_typeET2_T3_PNSM_ISR_E10value_typeET4_jRbjT5_SX_jjP12ihipStream_tbEUlT_E2_NS1_11comp_targetILNS1_3genE9ELNS1_11target_archE1100ELNS1_3gpuE3ELNS1_3repE0EEENS1_30default_config_static_selectorELNS0_4arch9wavefront6targetE0EEEvSL_.has_indirect_call, 0
	.section	.AMDGPU.csdata,"",@progbits
; Kernel info:
; codeLenInByte = 0
; TotalNumSgprs: 0
; NumVgprs: 0
; ScratchSize: 0
; MemoryBound: 0
; FloatMode: 240
; IeeeMode: 1
; LDSByteSize: 0 bytes/workgroup (compile time only)
; SGPRBlocks: 0
; VGPRBlocks: 0
; NumSGPRsForWavesPerEU: 1
; NumVGPRsForWavesPerEU: 1
; Occupancy: 16
; WaveLimiterHint : 0
; COMPUTE_PGM_RSRC2:SCRATCH_EN: 0
; COMPUTE_PGM_RSRC2:USER_SGPR: 2
; COMPUTE_PGM_RSRC2:TRAP_HANDLER: 0
; COMPUTE_PGM_RSRC2:TGID_X_EN: 1
; COMPUTE_PGM_RSRC2:TGID_Y_EN: 0
; COMPUTE_PGM_RSRC2:TGID_Z_EN: 0
; COMPUTE_PGM_RSRC2:TIDIG_COMP_CNT: 0
	.section	.text._ZN7rocprim17ROCPRIM_400000_NS6detail17trampoline_kernelINS0_14default_configENS1_36segmented_radix_sort_config_selectorI6__halflEEZNS1_25segmented_radix_sort_implIS3_Lb0EPKS5_PS5_PKlPlN2at6native12_GLOBAL__N_18offset_tEEE10hipError_tPvRmT1_PNSt15iterator_traitsISL_E10value_typeET2_T3_PNSM_ISR_E10value_typeET4_jRbjT5_SX_jjP12ihipStream_tbEUlT_E2_NS1_11comp_targetILNS1_3genE8ELNS1_11target_archE1030ELNS1_3gpuE2ELNS1_3repE0EEENS1_30default_config_static_selectorELNS0_4arch9wavefront6targetE0EEEvSL_,"axG",@progbits,_ZN7rocprim17ROCPRIM_400000_NS6detail17trampoline_kernelINS0_14default_configENS1_36segmented_radix_sort_config_selectorI6__halflEEZNS1_25segmented_radix_sort_implIS3_Lb0EPKS5_PS5_PKlPlN2at6native12_GLOBAL__N_18offset_tEEE10hipError_tPvRmT1_PNSt15iterator_traitsISL_E10value_typeET2_T3_PNSM_ISR_E10value_typeET4_jRbjT5_SX_jjP12ihipStream_tbEUlT_E2_NS1_11comp_targetILNS1_3genE8ELNS1_11target_archE1030ELNS1_3gpuE2ELNS1_3repE0EEENS1_30default_config_static_selectorELNS0_4arch9wavefront6targetE0EEEvSL_,comdat
	.globl	_ZN7rocprim17ROCPRIM_400000_NS6detail17trampoline_kernelINS0_14default_configENS1_36segmented_radix_sort_config_selectorI6__halflEEZNS1_25segmented_radix_sort_implIS3_Lb0EPKS5_PS5_PKlPlN2at6native12_GLOBAL__N_18offset_tEEE10hipError_tPvRmT1_PNSt15iterator_traitsISL_E10value_typeET2_T3_PNSM_ISR_E10value_typeET4_jRbjT5_SX_jjP12ihipStream_tbEUlT_E2_NS1_11comp_targetILNS1_3genE8ELNS1_11target_archE1030ELNS1_3gpuE2ELNS1_3repE0EEENS1_30default_config_static_selectorELNS0_4arch9wavefront6targetE0EEEvSL_ ; -- Begin function _ZN7rocprim17ROCPRIM_400000_NS6detail17trampoline_kernelINS0_14default_configENS1_36segmented_radix_sort_config_selectorI6__halflEEZNS1_25segmented_radix_sort_implIS3_Lb0EPKS5_PS5_PKlPlN2at6native12_GLOBAL__N_18offset_tEEE10hipError_tPvRmT1_PNSt15iterator_traitsISL_E10value_typeET2_T3_PNSM_ISR_E10value_typeET4_jRbjT5_SX_jjP12ihipStream_tbEUlT_E2_NS1_11comp_targetILNS1_3genE8ELNS1_11target_archE1030ELNS1_3gpuE2ELNS1_3repE0EEENS1_30default_config_static_selectorELNS0_4arch9wavefront6targetE0EEEvSL_
	.p2align	8
	.type	_ZN7rocprim17ROCPRIM_400000_NS6detail17trampoline_kernelINS0_14default_configENS1_36segmented_radix_sort_config_selectorI6__halflEEZNS1_25segmented_radix_sort_implIS3_Lb0EPKS5_PS5_PKlPlN2at6native12_GLOBAL__N_18offset_tEEE10hipError_tPvRmT1_PNSt15iterator_traitsISL_E10value_typeET2_T3_PNSM_ISR_E10value_typeET4_jRbjT5_SX_jjP12ihipStream_tbEUlT_E2_NS1_11comp_targetILNS1_3genE8ELNS1_11target_archE1030ELNS1_3gpuE2ELNS1_3repE0EEENS1_30default_config_static_selectorELNS0_4arch9wavefront6targetE0EEEvSL_,@function
_ZN7rocprim17ROCPRIM_400000_NS6detail17trampoline_kernelINS0_14default_configENS1_36segmented_radix_sort_config_selectorI6__halflEEZNS1_25segmented_radix_sort_implIS3_Lb0EPKS5_PS5_PKlPlN2at6native12_GLOBAL__N_18offset_tEEE10hipError_tPvRmT1_PNSt15iterator_traitsISL_E10value_typeET2_T3_PNSM_ISR_E10value_typeET4_jRbjT5_SX_jjP12ihipStream_tbEUlT_E2_NS1_11comp_targetILNS1_3genE8ELNS1_11target_archE1030ELNS1_3gpuE2ELNS1_3repE0EEENS1_30default_config_static_selectorELNS0_4arch9wavefront6targetE0EEEvSL_: ; @_ZN7rocprim17ROCPRIM_400000_NS6detail17trampoline_kernelINS0_14default_configENS1_36segmented_radix_sort_config_selectorI6__halflEEZNS1_25segmented_radix_sort_implIS3_Lb0EPKS5_PS5_PKlPlN2at6native12_GLOBAL__N_18offset_tEEE10hipError_tPvRmT1_PNSt15iterator_traitsISL_E10value_typeET2_T3_PNSM_ISR_E10value_typeET4_jRbjT5_SX_jjP12ihipStream_tbEUlT_E2_NS1_11comp_targetILNS1_3genE8ELNS1_11target_archE1030ELNS1_3gpuE2ELNS1_3repE0EEENS1_30default_config_static_selectorELNS0_4arch9wavefront6targetE0EEEvSL_
; %bb.0:
	.section	.rodata,"a",@progbits
	.p2align	6, 0x0
	.amdhsa_kernel _ZN7rocprim17ROCPRIM_400000_NS6detail17trampoline_kernelINS0_14default_configENS1_36segmented_radix_sort_config_selectorI6__halflEEZNS1_25segmented_radix_sort_implIS3_Lb0EPKS5_PS5_PKlPlN2at6native12_GLOBAL__N_18offset_tEEE10hipError_tPvRmT1_PNSt15iterator_traitsISL_E10value_typeET2_T3_PNSM_ISR_E10value_typeET4_jRbjT5_SX_jjP12ihipStream_tbEUlT_E2_NS1_11comp_targetILNS1_3genE8ELNS1_11target_archE1030ELNS1_3gpuE2ELNS1_3repE0EEENS1_30default_config_static_selectorELNS0_4arch9wavefront6targetE0EEEvSL_
		.amdhsa_group_segment_fixed_size 0
		.amdhsa_private_segment_fixed_size 0
		.amdhsa_kernarg_size 80
		.amdhsa_user_sgpr_count 2
		.amdhsa_user_sgpr_dispatch_ptr 0
		.amdhsa_user_sgpr_queue_ptr 0
		.amdhsa_user_sgpr_kernarg_segment_ptr 1
		.amdhsa_user_sgpr_dispatch_id 0
		.amdhsa_user_sgpr_private_segment_size 0
		.amdhsa_wavefront_size32 1
		.amdhsa_uses_dynamic_stack 0
		.amdhsa_enable_private_segment 0
		.amdhsa_system_sgpr_workgroup_id_x 1
		.amdhsa_system_sgpr_workgroup_id_y 0
		.amdhsa_system_sgpr_workgroup_id_z 0
		.amdhsa_system_sgpr_workgroup_info 0
		.amdhsa_system_vgpr_workitem_id 0
		.amdhsa_next_free_vgpr 1
		.amdhsa_next_free_sgpr 1
		.amdhsa_reserve_vcc 0
		.amdhsa_float_round_mode_32 0
		.amdhsa_float_round_mode_16_64 0
		.amdhsa_float_denorm_mode_32 3
		.amdhsa_float_denorm_mode_16_64 3
		.amdhsa_fp16_overflow 0
		.amdhsa_workgroup_processor_mode 1
		.amdhsa_memory_ordered 1
		.amdhsa_forward_progress 1
		.amdhsa_inst_pref_size 0
		.amdhsa_round_robin_scheduling 0
		.amdhsa_exception_fp_ieee_invalid_op 0
		.amdhsa_exception_fp_denorm_src 0
		.amdhsa_exception_fp_ieee_div_zero 0
		.amdhsa_exception_fp_ieee_overflow 0
		.amdhsa_exception_fp_ieee_underflow 0
		.amdhsa_exception_fp_ieee_inexact 0
		.amdhsa_exception_int_div_zero 0
	.end_amdhsa_kernel
	.section	.text._ZN7rocprim17ROCPRIM_400000_NS6detail17trampoline_kernelINS0_14default_configENS1_36segmented_radix_sort_config_selectorI6__halflEEZNS1_25segmented_radix_sort_implIS3_Lb0EPKS5_PS5_PKlPlN2at6native12_GLOBAL__N_18offset_tEEE10hipError_tPvRmT1_PNSt15iterator_traitsISL_E10value_typeET2_T3_PNSM_ISR_E10value_typeET4_jRbjT5_SX_jjP12ihipStream_tbEUlT_E2_NS1_11comp_targetILNS1_3genE8ELNS1_11target_archE1030ELNS1_3gpuE2ELNS1_3repE0EEENS1_30default_config_static_selectorELNS0_4arch9wavefront6targetE0EEEvSL_,"axG",@progbits,_ZN7rocprim17ROCPRIM_400000_NS6detail17trampoline_kernelINS0_14default_configENS1_36segmented_radix_sort_config_selectorI6__halflEEZNS1_25segmented_radix_sort_implIS3_Lb0EPKS5_PS5_PKlPlN2at6native12_GLOBAL__N_18offset_tEEE10hipError_tPvRmT1_PNSt15iterator_traitsISL_E10value_typeET2_T3_PNSM_ISR_E10value_typeET4_jRbjT5_SX_jjP12ihipStream_tbEUlT_E2_NS1_11comp_targetILNS1_3genE8ELNS1_11target_archE1030ELNS1_3gpuE2ELNS1_3repE0EEENS1_30default_config_static_selectorELNS0_4arch9wavefront6targetE0EEEvSL_,comdat
.Lfunc_end1880:
	.size	_ZN7rocprim17ROCPRIM_400000_NS6detail17trampoline_kernelINS0_14default_configENS1_36segmented_radix_sort_config_selectorI6__halflEEZNS1_25segmented_radix_sort_implIS3_Lb0EPKS5_PS5_PKlPlN2at6native12_GLOBAL__N_18offset_tEEE10hipError_tPvRmT1_PNSt15iterator_traitsISL_E10value_typeET2_T3_PNSM_ISR_E10value_typeET4_jRbjT5_SX_jjP12ihipStream_tbEUlT_E2_NS1_11comp_targetILNS1_3genE8ELNS1_11target_archE1030ELNS1_3gpuE2ELNS1_3repE0EEENS1_30default_config_static_selectorELNS0_4arch9wavefront6targetE0EEEvSL_, .Lfunc_end1880-_ZN7rocprim17ROCPRIM_400000_NS6detail17trampoline_kernelINS0_14default_configENS1_36segmented_radix_sort_config_selectorI6__halflEEZNS1_25segmented_radix_sort_implIS3_Lb0EPKS5_PS5_PKlPlN2at6native12_GLOBAL__N_18offset_tEEE10hipError_tPvRmT1_PNSt15iterator_traitsISL_E10value_typeET2_T3_PNSM_ISR_E10value_typeET4_jRbjT5_SX_jjP12ihipStream_tbEUlT_E2_NS1_11comp_targetILNS1_3genE8ELNS1_11target_archE1030ELNS1_3gpuE2ELNS1_3repE0EEENS1_30default_config_static_selectorELNS0_4arch9wavefront6targetE0EEEvSL_
                                        ; -- End function
	.set _ZN7rocprim17ROCPRIM_400000_NS6detail17trampoline_kernelINS0_14default_configENS1_36segmented_radix_sort_config_selectorI6__halflEEZNS1_25segmented_radix_sort_implIS3_Lb0EPKS5_PS5_PKlPlN2at6native12_GLOBAL__N_18offset_tEEE10hipError_tPvRmT1_PNSt15iterator_traitsISL_E10value_typeET2_T3_PNSM_ISR_E10value_typeET4_jRbjT5_SX_jjP12ihipStream_tbEUlT_E2_NS1_11comp_targetILNS1_3genE8ELNS1_11target_archE1030ELNS1_3gpuE2ELNS1_3repE0EEENS1_30default_config_static_selectorELNS0_4arch9wavefront6targetE0EEEvSL_.num_vgpr, 0
	.set _ZN7rocprim17ROCPRIM_400000_NS6detail17trampoline_kernelINS0_14default_configENS1_36segmented_radix_sort_config_selectorI6__halflEEZNS1_25segmented_radix_sort_implIS3_Lb0EPKS5_PS5_PKlPlN2at6native12_GLOBAL__N_18offset_tEEE10hipError_tPvRmT1_PNSt15iterator_traitsISL_E10value_typeET2_T3_PNSM_ISR_E10value_typeET4_jRbjT5_SX_jjP12ihipStream_tbEUlT_E2_NS1_11comp_targetILNS1_3genE8ELNS1_11target_archE1030ELNS1_3gpuE2ELNS1_3repE0EEENS1_30default_config_static_selectorELNS0_4arch9wavefront6targetE0EEEvSL_.num_agpr, 0
	.set _ZN7rocprim17ROCPRIM_400000_NS6detail17trampoline_kernelINS0_14default_configENS1_36segmented_radix_sort_config_selectorI6__halflEEZNS1_25segmented_radix_sort_implIS3_Lb0EPKS5_PS5_PKlPlN2at6native12_GLOBAL__N_18offset_tEEE10hipError_tPvRmT1_PNSt15iterator_traitsISL_E10value_typeET2_T3_PNSM_ISR_E10value_typeET4_jRbjT5_SX_jjP12ihipStream_tbEUlT_E2_NS1_11comp_targetILNS1_3genE8ELNS1_11target_archE1030ELNS1_3gpuE2ELNS1_3repE0EEENS1_30default_config_static_selectorELNS0_4arch9wavefront6targetE0EEEvSL_.numbered_sgpr, 0
	.set _ZN7rocprim17ROCPRIM_400000_NS6detail17trampoline_kernelINS0_14default_configENS1_36segmented_radix_sort_config_selectorI6__halflEEZNS1_25segmented_radix_sort_implIS3_Lb0EPKS5_PS5_PKlPlN2at6native12_GLOBAL__N_18offset_tEEE10hipError_tPvRmT1_PNSt15iterator_traitsISL_E10value_typeET2_T3_PNSM_ISR_E10value_typeET4_jRbjT5_SX_jjP12ihipStream_tbEUlT_E2_NS1_11comp_targetILNS1_3genE8ELNS1_11target_archE1030ELNS1_3gpuE2ELNS1_3repE0EEENS1_30default_config_static_selectorELNS0_4arch9wavefront6targetE0EEEvSL_.num_named_barrier, 0
	.set _ZN7rocprim17ROCPRIM_400000_NS6detail17trampoline_kernelINS0_14default_configENS1_36segmented_radix_sort_config_selectorI6__halflEEZNS1_25segmented_radix_sort_implIS3_Lb0EPKS5_PS5_PKlPlN2at6native12_GLOBAL__N_18offset_tEEE10hipError_tPvRmT1_PNSt15iterator_traitsISL_E10value_typeET2_T3_PNSM_ISR_E10value_typeET4_jRbjT5_SX_jjP12ihipStream_tbEUlT_E2_NS1_11comp_targetILNS1_3genE8ELNS1_11target_archE1030ELNS1_3gpuE2ELNS1_3repE0EEENS1_30default_config_static_selectorELNS0_4arch9wavefront6targetE0EEEvSL_.private_seg_size, 0
	.set _ZN7rocprim17ROCPRIM_400000_NS6detail17trampoline_kernelINS0_14default_configENS1_36segmented_radix_sort_config_selectorI6__halflEEZNS1_25segmented_radix_sort_implIS3_Lb0EPKS5_PS5_PKlPlN2at6native12_GLOBAL__N_18offset_tEEE10hipError_tPvRmT1_PNSt15iterator_traitsISL_E10value_typeET2_T3_PNSM_ISR_E10value_typeET4_jRbjT5_SX_jjP12ihipStream_tbEUlT_E2_NS1_11comp_targetILNS1_3genE8ELNS1_11target_archE1030ELNS1_3gpuE2ELNS1_3repE0EEENS1_30default_config_static_selectorELNS0_4arch9wavefront6targetE0EEEvSL_.uses_vcc, 0
	.set _ZN7rocprim17ROCPRIM_400000_NS6detail17trampoline_kernelINS0_14default_configENS1_36segmented_radix_sort_config_selectorI6__halflEEZNS1_25segmented_radix_sort_implIS3_Lb0EPKS5_PS5_PKlPlN2at6native12_GLOBAL__N_18offset_tEEE10hipError_tPvRmT1_PNSt15iterator_traitsISL_E10value_typeET2_T3_PNSM_ISR_E10value_typeET4_jRbjT5_SX_jjP12ihipStream_tbEUlT_E2_NS1_11comp_targetILNS1_3genE8ELNS1_11target_archE1030ELNS1_3gpuE2ELNS1_3repE0EEENS1_30default_config_static_selectorELNS0_4arch9wavefront6targetE0EEEvSL_.uses_flat_scratch, 0
	.set _ZN7rocprim17ROCPRIM_400000_NS6detail17trampoline_kernelINS0_14default_configENS1_36segmented_radix_sort_config_selectorI6__halflEEZNS1_25segmented_radix_sort_implIS3_Lb0EPKS5_PS5_PKlPlN2at6native12_GLOBAL__N_18offset_tEEE10hipError_tPvRmT1_PNSt15iterator_traitsISL_E10value_typeET2_T3_PNSM_ISR_E10value_typeET4_jRbjT5_SX_jjP12ihipStream_tbEUlT_E2_NS1_11comp_targetILNS1_3genE8ELNS1_11target_archE1030ELNS1_3gpuE2ELNS1_3repE0EEENS1_30default_config_static_selectorELNS0_4arch9wavefront6targetE0EEEvSL_.has_dyn_sized_stack, 0
	.set _ZN7rocprim17ROCPRIM_400000_NS6detail17trampoline_kernelINS0_14default_configENS1_36segmented_radix_sort_config_selectorI6__halflEEZNS1_25segmented_radix_sort_implIS3_Lb0EPKS5_PS5_PKlPlN2at6native12_GLOBAL__N_18offset_tEEE10hipError_tPvRmT1_PNSt15iterator_traitsISL_E10value_typeET2_T3_PNSM_ISR_E10value_typeET4_jRbjT5_SX_jjP12ihipStream_tbEUlT_E2_NS1_11comp_targetILNS1_3genE8ELNS1_11target_archE1030ELNS1_3gpuE2ELNS1_3repE0EEENS1_30default_config_static_selectorELNS0_4arch9wavefront6targetE0EEEvSL_.has_recursion, 0
	.set _ZN7rocprim17ROCPRIM_400000_NS6detail17trampoline_kernelINS0_14default_configENS1_36segmented_radix_sort_config_selectorI6__halflEEZNS1_25segmented_radix_sort_implIS3_Lb0EPKS5_PS5_PKlPlN2at6native12_GLOBAL__N_18offset_tEEE10hipError_tPvRmT1_PNSt15iterator_traitsISL_E10value_typeET2_T3_PNSM_ISR_E10value_typeET4_jRbjT5_SX_jjP12ihipStream_tbEUlT_E2_NS1_11comp_targetILNS1_3genE8ELNS1_11target_archE1030ELNS1_3gpuE2ELNS1_3repE0EEENS1_30default_config_static_selectorELNS0_4arch9wavefront6targetE0EEEvSL_.has_indirect_call, 0
	.section	.AMDGPU.csdata,"",@progbits
; Kernel info:
; codeLenInByte = 0
; TotalNumSgprs: 0
; NumVgprs: 0
; ScratchSize: 0
; MemoryBound: 0
; FloatMode: 240
; IeeeMode: 1
; LDSByteSize: 0 bytes/workgroup (compile time only)
; SGPRBlocks: 0
; VGPRBlocks: 0
; NumSGPRsForWavesPerEU: 1
; NumVGPRsForWavesPerEU: 1
; Occupancy: 16
; WaveLimiterHint : 0
; COMPUTE_PGM_RSRC2:SCRATCH_EN: 0
; COMPUTE_PGM_RSRC2:USER_SGPR: 2
; COMPUTE_PGM_RSRC2:TRAP_HANDLER: 0
; COMPUTE_PGM_RSRC2:TGID_X_EN: 1
; COMPUTE_PGM_RSRC2:TGID_Y_EN: 0
; COMPUTE_PGM_RSRC2:TGID_Z_EN: 0
; COMPUTE_PGM_RSRC2:TIDIG_COMP_CNT: 0
	.section	.text._ZN2at6native12_GLOBAL__N_123sort_postprocess_kernelIN3c108BFloat16EEEvPKT_PS5_PlPK15HIP_vector_typeIiLj2EEii,"axG",@progbits,_ZN2at6native12_GLOBAL__N_123sort_postprocess_kernelIN3c108BFloat16EEEvPKT_PS5_PlPK15HIP_vector_typeIiLj2EEii,comdat
	.globl	_ZN2at6native12_GLOBAL__N_123sort_postprocess_kernelIN3c108BFloat16EEEvPKT_PS5_PlPK15HIP_vector_typeIiLj2EEii ; -- Begin function _ZN2at6native12_GLOBAL__N_123sort_postprocess_kernelIN3c108BFloat16EEEvPKT_PS5_PlPK15HIP_vector_typeIiLj2EEii
	.p2align	8
	.type	_ZN2at6native12_GLOBAL__N_123sort_postprocess_kernelIN3c108BFloat16EEEvPKT_PS5_PlPK15HIP_vector_typeIiLj2EEii,@function
_ZN2at6native12_GLOBAL__N_123sort_postprocess_kernelIN3c108BFloat16EEEvPKT_PS5_PlPK15HIP_vector_typeIiLj2EEii: ; @_ZN2at6native12_GLOBAL__N_123sort_postprocess_kernelIN3c108BFloat16EEEvPKT_PS5_PlPK15HIP_vector_typeIiLj2EEii
; %bb.0:
	s_clause 0x1
	s_load_b32 s6, s[0:1], 0x34
	s_load_b64 s[4:5], s[0:1], 0x20
	s_mov_b32 s3, 0
	s_mov_b32 s2, ttmp9
	s_mov_b32 s17, s3
	s_wait_kmcnt 0x0
	s_and_b32 s16, s6, 0xffff
	s_mul_i32 s14, s5, s4
	s_mul_u64 s[12:13], s[16:17], s[2:3]
	s_ashr_i32 s15, s14, 31
	v_add_co_u32 v1, s2, s12, v0
	s_delay_alu instid0(VALU_DEP_1) | instskip(NEXT) | instid1(VALU_DEP_1)
	v_add_co_ci_u32_e64 v2, null, s13, 0, s2
	v_cmp_gt_i64_e32 vcc_lo, s[14:15], v[1:2]
	v_mov_b32_e32 v1, 0
	s_and_saveexec_b32 s2, vcc_lo
	s_cbranch_execz .LBB1881_3
; %bb.1:
	s_abs_i32 s2, s5
	s_wait_alu 0xfffe
	s_cvt_f32_u32 s4, s2
	s_delay_alu instid0(SALU_CYCLE_3) | instskip(SKIP_4) | instid1(TRANS32_DEP_1)
	v_rcp_iflag_f32_e32 v2, s4
	s_add_nc_u64 s[4:5], s[0:1], 40
	s_load_b32 s17, s[4:5], 0x0
	s_load_b256 s[4:11], s[0:1], 0x0
	s_sub_co_i32 s1, 0, s2
	v_readfirstlane_b32 s0, v2
	s_mul_f32 s0, s0, 0x4f7ffffe
	s_delay_alu instid0(SALU_CYCLE_3) | instskip(NEXT) | instid1(SALU_CYCLE_3)
	s_cvt_u32_f32 s0, s0
	s_mul_i32 s1, s1, s0
	s_delay_alu instid0(SALU_CYCLE_1)
	s_mul_hi_u32 s18, s0, s1
	s_wait_kmcnt 0x0
	s_mul_i32 s1, s17, s16
	s_add_co_i32 s17, s0, s18
	s_mul_i32 s16, ttmp9, s16
.LBB1881_2:                             ; =>This Inner Loop Header: Depth=1
	s_delay_alu instid0(SALU_CYCLE_1) | instskip(NEXT) | instid1(VALU_DEP_1)
	v_add_nc_u32_e32 v2, s16, v0
	v_sub_nc_u32_e32 v3, 0, v2
	v_ashrrev_i32_e32 v5, 31, v2
	s_delay_alu instid0(VALU_DEP_2) | instskip(NEXT) | instid1(VALU_DEP_1)
	v_max_i32_e32 v3, v2, v3
	v_mul_hi_u32 v4, v3, s17
	s_delay_alu instid0(VALU_DEP_1) | instskip(NEXT) | instid1(VALU_DEP_1)
	v_mul_lo_u32 v4, v4, s2
	v_sub_nc_u32_e32 v3, v3, v4
	s_delay_alu instid0(VALU_DEP_1) | instskip(SKIP_2) | instid1(VALU_DEP_2)
	v_subrev_nc_u32_e32 v4, s2, v3
	v_cmp_le_u32_e32 vcc_lo, s2, v3
	s_wait_alu 0xfffd
	v_dual_cndmask_b32 v3, v3, v4 :: v_dual_add_nc_u32 v2, v2, v5
	s_delay_alu instid0(VALU_DEP_1) | instskip(SKIP_2) | instid1(VALU_DEP_2)
	v_subrev_nc_u32_e32 v4, s2, v3
	v_cmp_le_u32_e32 vcc_lo, s2, v3
	s_wait_alu 0xfffd
	v_cndmask_b32_e32 v3, v3, v4, vcc_lo
	s_delay_alu instid0(VALU_DEP_1) | instskip(NEXT) | instid1(VALU_DEP_1)
	v_xor_b32_e32 v3, v3, v5
	v_sub_nc_u32_e32 v2, v2, v3
	v_sub_nc_u32_e32 v4, v3, v5
	s_delay_alu instid0(VALU_DEP_2) | instskip(NEXT) | instid1(VALU_DEP_2)
	v_ashrrev_i32_e32 v3, 31, v2
	v_ashrrev_i32_e32 v5, 31, v4
	s_delay_alu instid0(VALU_DEP_2) | instskip(NEXT) | instid1(VALU_DEP_2)
	v_lshlrev_b64_e32 v[6:7], 3, v[2:3]
	v_lshlrev_b64_e32 v[8:9], 3, v[4:5]
	;; [unrolled: 1-line block ×4, first 2 shown]
	s_delay_alu instid0(VALU_DEP_4) | instskip(SKIP_3) | instid1(VALU_DEP_3)
	v_add_co_u32 v10, vcc_lo, s10, v6
	s_wait_alu 0xfffd
	v_add_co_ci_u32_e64 v11, null, s11, v7, vcc_lo
	v_add_co_u32 v6, s0, s8, v6
	v_add_co_u32 v10, vcc_lo, v10, v8
	s_wait_alu 0xfffd
	s_delay_alu instid0(VALU_DEP_3)
	v_add_co_ci_u32_e64 v11, null, v11, v9, vcc_lo
	v_add_co_u32 v14, vcc_lo, s4, v2
	s_wait_alu 0xfffd
	v_add_co_ci_u32_e64 v15, null, s5, v3, vcc_lo
	global_load_b32 v10, v[10:11], off offset:4
	s_wait_alu 0xf1ff
	v_add_co_ci_u32_e64 v7, null, s9, v7, s0
	s_wait_loadcnt 0x0
	v_ashrrev_i32_e32 v11, 31, v10
	s_delay_alu instid0(VALU_DEP_1) | instskip(NEXT) | instid1(VALU_DEP_1)
	v_lshlrev_b64_e32 v[12:13], 1, v[10:11]
	v_add_co_u32 v12, vcc_lo, v14, v12
	s_wait_alu 0xfffd
	s_delay_alu instid0(VALU_DEP_2)
	v_add_co_ci_u32_e64 v13, null, v15, v13, vcc_lo
	v_add_co_u32 v0, vcc_lo, v0, s1
	s_wait_alu 0xfffd
	v_add_co_ci_u32_e64 v1, null, 0, v1, vcc_lo
	global_load_u16 v14, v[12:13], off
	v_add_co_u32 v12, vcc_lo, s12, v0
	s_wait_alu 0xfffd
	v_add_co_ci_u32_e64 v13, null, s13, v1, vcc_lo
	s_delay_alu instid0(VALU_DEP_1)
	v_cmp_le_i64_e32 vcc_lo, s[14:15], v[12:13]
	v_add_co_u32 v12, s0, s6, v2
	s_wait_alu 0xf1ff
	v_add_co_ci_u32_e64 v13, null, s7, v3, s0
	v_add_co_u32 v2, s0, v6, v8
	s_wait_alu 0xf1ff
	v_add_co_ci_u32_e64 v3, null, v7, v9, s0
	;; [unrolled: 3-line block ×3, first 2 shown]
	s_or_b32 s3, vcc_lo, s3
	global_store_b64 v[2:3], v[10:11], off
	s_wait_loadcnt 0x0
	global_store_b16 v[4:5], v14, off
	s_wait_alu 0xfffe
	s_and_not1_b32 exec_lo, exec_lo, s3
	s_cbranch_execnz .LBB1881_2
.LBB1881_3:
	s_endpgm
	.section	.rodata,"a",@progbits
	.p2align	6, 0x0
	.amdhsa_kernel _ZN2at6native12_GLOBAL__N_123sort_postprocess_kernelIN3c108BFloat16EEEvPKT_PS5_PlPK15HIP_vector_typeIiLj2EEii
		.amdhsa_group_segment_fixed_size 0
		.amdhsa_private_segment_fixed_size 0
		.amdhsa_kernarg_size 296
		.amdhsa_user_sgpr_count 2
		.amdhsa_user_sgpr_dispatch_ptr 0
		.amdhsa_user_sgpr_queue_ptr 0
		.amdhsa_user_sgpr_kernarg_segment_ptr 1
		.amdhsa_user_sgpr_dispatch_id 0
		.amdhsa_user_sgpr_private_segment_size 0
		.amdhsa_wavefront_size32 1
		.amdhsa_uses_dynamic_stack 0
		.amdhsa_enable_private_segment 0
		.amdhsa_system_sgpr_workgroup_id_x 1
		.amdhsa_system_sgpr_workgroup_id_y 0
		.amdhsa_system_sgpr_workgroup_id_z 0
		.amdhsa_system_sgpr_workgroup_info 0
		.amdhsa_system_vgpr_workitem_id 0
		.amdhsa_next_free_vgpr 16
		.amdhsa_next_free_sgpr 19
		.amdhsa_reserve_vcc 1
		.amdhsa_float_round_mode_32 0
		.amdhsa_float_round_mode_16_64 0
		.amdhsa_float_denorm_mode_32 3
		.amdhsa_float_denorm_mode_16_64 3
		.amdhsa_fp16_overflow 0
		.amdhsa_workgroup_processor_mode 1
		.amdhsa_memory_ordered 1
		.amdhsa_forward_progress 1
		.amdhsa_inst_pref_size 5
		.amdhsa_round_robin_scheduling 0
		.amdhsa_exception_fp_ieee_invalid_op 0
		.amdhsa_exception_fp_denorm_src 0
		.amdhsa_exception_fp_ieee_div_zero 0
		.amdhsa_exception_fp_ieee_overflow 0
		.amdhsa_exception_fp_ieee_underflow 0
		.amdhsa_exception_fp_ieee_inexact 0
		.amdhsa_exception_int_div_zero 0
	.end_amdhsa_kernel
	.section	.text._ZN2at6native12_GLOBAL__N_123sort_postprocess_kernelIN3c108BFloat16EEEvPKT_PS5_PlPK15HIP_vector_typeIiLj2EEii,"axG",@progbits,_ZN2at6native12_GLOBAL__N_123sort_postprocess_kernelIN3c108BFloat16EEEvPKT_PS5_PlPK15HIP_vector_typeIiLj2EEii,comdat
.Lfunc_end1881:
	.size	_ZN2at6native12_GLOBAL__N_123sort_postprocess_kernelIN3c108BFloat16EEEvPKT_PS5_PlPK15HIP_vector_typeIiLj2EEii, .Lfunc_end1881-_ZN2at6native12_GLOBAL__N_123sort_postprocess_kernelIN3c108BFloat16EEEvPKT_PS5_PlPK15HIP_vector_typeIiLj2EEii
                                        ; -- End function
	.set _ZN2at6native12_GLOBAL__N_123sort_postprocess_kernelIN3c108BFloat16EEEvPKT_PS5_PlPK15HIP_vector_typeIiLj2EEii.num_vgpr, 16
	.set _ZN2at6native12_GLOBAL__N_123sort_postprocess_kernelIN3c108BFloat16EEEvPKT_PS5_PlPK15HIP_vector_typeIiLj2EEii.num_agpr, 0
	.set _ZN2at6native12_GLOBAL__N_123sort_postprocess_kernelIN3c108BFloat16EEEvPKT_PS5_PlPK15HIP_vector_typeIiLj2EEii.numbered_sgpr, 19
	.set _ZN2at6native12_GLOBAL__N_123sort_postprocess_kernelIN3c108BFloat16EEEvPKT_PS5_PlPK15HIP_vector_typeIiLj2EEii.num_named_barrier, 0
	.set _ZN2at6native12_GLOBAL__N_123sort_postprocess_kernelIN3c108BFloat16EEEvPKT_PS5_PlPK15HIP_vector_typeIiLj2EEii.private_seg_size, 0
	.set _ZN2at6native12_GLOBAL__N_123sort_postprocess_kernelIN3c108BFloat16EEEvPKT_PS5_PlPK15HIP_vector_typeIiLj2EEii.uses_vcc, 1
	.set _ZN2at6native12_GLOBAL__N_123sort_postprocess_kernelIN3c108BFloat16EEEvPKT_PS5_PlPK15HIP_vector_typeIiLj2EEii.uses_flat_scratch, 0
	.set _ZN2at6native12_GLOBAL__N_123sort_postprocess_kernelIN3c108BFloat16EEEvPKT_PS5_PlPK15HIP_vector_typeIiLj2EEii.has_dyn_sized_stack, 0
	.set _ZN2at6native12_GLOBAL__N_123sort_postprocess_kernelIN3c108BFloat16EEEvPKT_PS5_PlPK15HIP_vector_typeIiLj2EEii.has_recursion, 0
	.set _ZN2at6native12_GLOBAL__N_123sort_postprocess_kernelIN3c108BFloat16EEEvPKT_PS5_PlPK15HIP_vector_typeIiLj2EEii.has_indirect_call, 0
	.section	.AMDGPU.csdata,"",@progbits
; Kernel info:
; codeLenInByte = 632
; TotalNumSgprs: 21
; NumVgprs: 16
; ScratchSize: 0
; MemoryBound: 0
; FloatMode: 240
; IeeeMode: 1
; LDSByteSize: 0 bytes/workgroup (compile time only)
; SGPRBlocks: 0
; VGPRBlocks: 1
; NumSGPRsForWavesPerEU: 21
; NumVGPRsForWavesPerEU: 16
; Occupancy: 16
; WaveLimiterHint : 1
; COMPUTE_PGM_RSRC2:SCRATCH_EN: 0
; COMPUTE_PGM_RSRC2:USER_SGPR: 2
; COMPUTE_PGM_RSRC2:TRAP_HANDLER: 0
; COMPUTE_PGM_RSRC2:TGID_X_EN: 1
; COMPUTE_PGM_RSRC2:TGID_Y_EN: 0
; COMPUTE_PGM_RSRC2:TGID_Z_EN: 0
; COMPUTE_PGM_RSRC2:TIDIG_COMP_CNT: 0
	.section	.text._ZN7rocprim17ROCPRIM_400000_NS6detail17trampoline_kernelINS0_13select_configILj256ELj13ELNS0_17block_load_methodE3ELS4_3ELS4_3ELNS0_20block_scan_algorithmE0ELj4294967295EEENS1_25partition_config_selectorILNS1_17partition_subalgoE4EjNS0_10empty_typeEbEEZZNS1_14partition_implILS8_4ELb0ES6_15HIP_vector_typeIjLj2EENS0_17counting_iteratorIjlEEPS9_SG_NS0_5tupleIJPjSI_NS0_16reverse_iteratorISI_EEEEENSH_IJSG_SG_SG_EEES9_SI_JZNS1_25segmented_radix_sort_implINS0_14default_configELb1EPK12hip_bfloat16PSP_PKlPlN2at6native12_GLOBAL__N_18offset_tEEE10hipError_tPvRmT1_PNSt15iterator_traitsIS13_E10value_typeET2_T3_PNS14_IS19_E10value_typeET4_jRbjT5_S1F_jjP12ihipStream_tbEUljE_ZNSN_ISO_Lb1ESR_SS_SU_SV_SZ_EES10_S11_S12_S13_S17_S18_S19_S1C_S1D_jS1E_jS1F_S1F_jjS1H_bEUljE0_EEES10_S11_S12_S19_S1D_S1F_T6_T7_T9_mT8_S1H_bDpT10_ENKUlT_T0_E_clISt17integral_constantIbLb0EES1V_EEDaS1Q_S1R_EUlS1Q_E_NS1_11comp_targetILNS1_3genE0ELNS1_11target_archE4294967295ELNS1_3gpuE0ELNS1_3repE0EEENS1_30default_config_static_selectorELNS0_4arch9wavefront6targetE0EEEvS13_,"axG",@progbits,_ZN7rocprim17ROCPRIM_400000_NS6detail17trampoline_kernelINS0_13select_configILj256ELj13ELNS0_17block_load_methodE3ELS4_3ELS4_3ELNS0_20block_scan_algorithmE0ELj4294967295EEENS1_25partition_config_selectorILNS1_17partition_subalgoE4EjNS0_10empty_typeEbEEZZNS1_14partition_implILS8_4ELb0ES6_15HIP_vector_typeIjLj2EENS0_17counting_iteratorIjlEEPS9_SG_NS0_5tupleIJPjSI_NS0_16reverse_iteratorISI_EEEEENSH_IJSG_SG_SG_EEES9_SI_JZNS1_25segmented_radix_sort_implINS0_14default_configELb1EPK12hip_bfloat16PSP_PKlPlN2at6native12_GLOBAL__N_18offset_tEEE10hipError_tPvRmT1_PNSt15iterator_traitsIS13_E10value_typeET2_T3_PNS14_IS19_E10value_typeET4_jRbjT5_S1F_jjP12ihipStream_tbEUljE_ZNSN_ISO_Lb1ESR_SS_SU_SV_SZ_EES10_S11_S12_S13_S17_S18_S19_S1C_S1D_jS1E_jS1F_S1F_jjS1H_bEUljE0_EEES10_S11_S12_S19_S1D_S1F_T6_T7_T9_mT8_S1H_bDpT10_ENKUlT_T0_E_clISt17integral_constantIbLb0EES1V_EEDaS1Q_S1R_EUlS1Q_E_NS1_11comp_targetILNS1_3genE0ELNS1_11target_archE4294967295ELNS1_3gpuE0ELNS1_3repE0EEENS1_30default_config_static_selectorELNS0_4arch9wavefront6targetE0EEEvS13_,comdat
	.globl	_ZN7rocprim17ROCPRIM_400000_NS6detail17trampoline_kernelINS0_13select_configILj256ELj13ELNS0_17block_load_methodE3ELS4_3ELS4_3ELNS0_20block_scan_algorithmE0ELj4294967295EEENS1_25partition_config_selectorILNS1_17partition_subalgoE4EjNS0_10empty_typeEbEEZZNS1_14partition_implILS8_4ELb0ES6_15HIP_vector_typeIjLj2EENS0_17counting_iteratorIjlEEPS9_SG_NS0_5tupleIJPjSI_NS0_16reverse_iteratorISI_EEEEENSH_IJSG_SG_SG_EEES9_SI_JZNS1_25segmented_radix_sort_implINS0_14default_configELb1EPK12hip_bfloat16PSP_PKlPlN2at6native12_GLOBAL__N_18offset_tEEE10hipError_tPvRmT1_PNSt15iterator_traitsIS13_E10value_typeET2_T3_PNS14_IS19_E10value_typeET4_jRbjT5_S1F_jjP12ihipStream_tbEUljE_ZNSN_ISO_Lb1ESR_SS_SU_SV_SZ_EES10_S11_S12_S13_S17_S18_S19_S1C_S1D_jS1E_jS1F_S1F_jjS1H_bEUljE0_EEES10_S11_S12_S19_S1D_S1F_T6_T7_T9_mT8_S1H_bDpT10_ENKUlT_T0_E_clISt17integral_constantIbLb0EES1V_EEDaS1Q_S1R_EUlS1Q_E_NS1_11comp_targetILNS1_3genE0ELNS1_11target_archE4294967295ELNS1_3gpuE0ELNS1_3repE0EEENS1_30default_config_static_selectorELNS0_4arch9wavefront6targetE0EEEvS13_ ; -- Begin function _ZN7rocprim17ROCPRIM_400000_NS6detail17trampoline_kernelINS0_13select_configILj256ELj13ELNS0_17block_load_methodE3ELS4_3ELS4_3ELNS0_20block_scan_algorithmE0ELj4294967295EEENS1_25partition_config_selectorILNS1_17partition_subalgoE4EjNS0_10empty_typeEbEEZZNS1_14partition_implILS8_4ELb0ES6_15HIP_vector_typeIjLj2EENS0_17counting_iteratorIjlEEPS9_SG_NS0_5tupleIJPjSI_NS0_16reverse_iteratorISI_EEEEENSH_IJSG_SG_SG_EEES9_SI_JZNS1_25segmented_radix_sort_implINS0_14default_configELb1EPK12hip_bfloat16PSP_PKlPlN2at6native12_GLOBAL__N_18offset_tEEE10hipError_tPvRmT1_PNSt15iterator_traitsIS13_E10value_typeET2_T3_PNS14_IS19_E10value_typeET4_jRbjT5_S1F_jjP12ihipStream_tbEUljE_ZNSN_ISO_Lb1ESR_SS_SU_SV_SZ_EES10_S11_S12_S13_S17_S18_S19_S1C_S1D_jS1E_jS1F_S1F_jjS1H_bEUljE0_EEES10_S11_S12_S19_S1D_S1F_T6_T7_T9_mT8_S1H_bDpT10_ENKUlT_T0_E_clISt17integral_constantIbLb0EES1V_EEDaS1Q_S1R_EUlS1Q_E_NS1_11comp_targetILNS1_3genE0ELNS1_11target_archE4294967295ELNS1_3gpuE0ELNS1_3repE0EEENS1_30default_config_static_selectorELNS0_4arch9wavefront6targetE0EEEvS13_
	.p2align	8
	.type	_ZN7rocprim17ROCPRIM_400000_NS6detail17trampoline_kernelINS0_13select_configILj256ELj13ELNS0_17block_load_methodE3ELS4_3ELS4_3ELNS0_20block_scan_algorithmE0ELj4294967295EEENS1_25partition_config_selectorILNS1_17partition_subalgoE4EjNS0_10empty_typeEbEEZZNS1_14partition_implILS8_4ELb0ES6_15HIP_vector_typeIjLj2EENS0_17counting_iteratorIjlEEPS9_SG_NS0_5tupleIJPjSI_NS0_16reverse_iteratorISI_EEEEENSH_IJSG_SG_SG_EEES9_SI_JZNS1_25segmented_radix_sort_implINS0_14default_configELb1EPK12hip_bfloat16PSP_PKlPlN2at6native12_GLOBAL__N_18offset_tEEE10hipError_tPvRmT1_PNSt15iterator_traitsIS13_E10value_typeET2_T3_PNS14_IS19_E10value_typeET4_jRbjT5_S1F_jjP12ihipStream_tbEUljE_ZNSN_ISO_Lb1ESR_SS_SU_SV_SZ_EES10_S11_S12_S13_S17_S18_S19_S1C_S1D_jS1E_jS1F_S1F_jjS1H_bEUljE0_EEES10_S11_S12_S19_S1D_S1F_T6_T7_T9_mT8_S1H_bDpT10_ENKUlT_T0_E_clISt17integral_constantIbLb0EES1V_EEDaS1Q_S1R_EUlS1Q_E_NS1_11comp_targetILNS1_3genE0ELNS1_11target_archE4294967295ELNS1_3gpuE0ELNS1_3repE0EEENS1_30default_config_static_selectorELNS0_4arch9wavefront6targetE0EEEvS13_,@function
_ZN7rocprim17ROCPRIM_400000_NS6detail17trampoline_kernelINS0_13select_configILj256ELj13ELNS0_17block_load_methodE3ELS4_3ELS4_3ELNS0_20block_scan_algorithmE0ELj4294967295EEENS1_25partition_config_selectorILNS1_17partition_subalgoE4EjNS0_10empty_typeEbEEZZNS1_14partition_implILS8_4ELb0ES6_15HIP_vector_typeIjLj2EENS0_17counting_iteratorIjlEEPS9_SG_NS0_5tupleIJPjSI_NS0_16reverse_iteratorISI_EEEEENSH_IJSG_SG_SG_EEES9_SI_JZNS1_25segmented_radix_sort_implINS0_14default_configELb1EPK12hip_bfloat16PSP_PKlPlN2at6native12_GLOBAL__N_18offset_tEEE10hipError_tPvRmT1_PNSt15iterator_traitsIS13_E10value_typeET2_T3_PNS14_IS19_E10value_typeET4_jRbjT5_S1F_jjP12ihipStream_tbEUljE_ZNSN_ISO_Lb1ESR_SS_SU_SV_SZ_EES10_S11_S12_S13_S17_S18_S19_S1C_S1D_jS1E_jS1F_S1F_jjS1H_bEUljE0_EEES10_S11_S12_S19_S1D_S1F_T6_T7_T9_mT8_S1H_bDpT10_ENKUlT_T0_E_clISt17integral_constantIbLb0EES1V_EEDaS1Q_S1R_EUlS1Q_E_NS1_11comp_targetILNS1_3genE0ELNS1_11target_archE4294967295ELNS1_3gpuE0ELNS1_3repE0EEENS1_30default_config_static_selectorELNS0_4arch9wavefront6targetE0EEEvS13_: ; @_ZN7rocprim17ROCPRIM_400000_NS6detail17trampoline_kernelINS0_13select_configILj256ELj13ELNS0_17block_load_methodE3ELS4_3ELS4_3ELNS0_20block_scan_algorithmE0ELj4294967295EEENS1_25partition_config_selectorILNS1_17partition_subalgoE4EjNS0_10empty_typeEbEEZZNS1_14partition_implILS8_4ELb0ES6_15HIP_vector_typeIjLj2EENS0_17counting_iteratorIjlEEPS9_SG_NS0_5tupleIJPjSI_NS0_16reverse_iteratorISI_EEEEENSH_IJSG_SG_SG_EEES9_SI_JZNS1_25segmented_radix_sort_implINS0_14default_configELb1EPK12hip_bfloat16PSP_PKlPlN2at6native12_GLOBAL__N_18offset_tEEE10hipError_tPvRmT1_PNSt15iterator_traitsIS13_E10value_typeET2_T3_PNS14_IS19_E10value_typeET4_jRbjT5_S1F_jjP12ihipStream_tbEUljE_ZNSN_ISO_Lb1ESR_SS_SU_SV_SZ_EES10_S11_S12_S13_S17_S18_S19_S1C_S1D_jS1E_jS1F_S1F_jjS1H_bEUljE0_EEES10_S11_S12_S19_S1D_S1F_T6_T7_T9_mT8_S1H_bDpT10_ENKUlT_T0_E_clISt17integral_constantIbLb0EES1V_EEDaS1Q_S1R_EUlS1Q_E_NS1_11comp_targetILNS1_3genE0ELNS1_11target_archE4294967295ELNS1_3gpuE0ELNS1_3repE0EEENS1_30default_config_static_selectorELNS0_4arch9wavefront6targetE0EEEvS13_
; %bb.0:
	.section	.rodata,"a",@progbits
	.p2align	6, 0x0
	.amdhsa_kernel _ZN7rocprim17ROCPRIM_400000_NS6detail17trampoline_kernelINS0_13select_configILj256ELj13ELNS0_17block_load_methodE3ELS4_3ELS4_3ELNS0_20block_scan_algorithmE0ELj4294967295EEENS1_25partition_config_selectorILNS1_17partition_subalgoE4EjNS0_10empty_typeEbEEZZNS1_14partition_implILS8_4ELb0ES6_15HIP_vector_typeIjLj2EENS0_17counting_iteratorIjlEEPS9_SG_NS0_5tupleIJPjSI_NS0_16reverse_iteratorISI_EEEEENSH_IJSG_SG_SG_EEES9_SI_JZNS1_25segmented_radix_sort_implINS0_14default_configELb1EPK12hip_bfloat16PSP_PKlPlN2at6native12_GLOBAL__N_18offset_tEEE10hipError_tPvRmT1_PNSt15iterator_traitsIS13_E10value_typeET2_T3_PNS14_IS19_E10value_typeET4_jRbjT5_S1F_jjP12ihipStream_tbEUljE_ZNSN_ISO_Lb1ESR_SS_SU_SV_SZ_EES10_S11_S12_S13_S17_S18_S19_S1C_S1D_jS1E_jS1F_S1F_jjS1H_bEUljE0_EEES10_S11_S12_S19_S1D_S1F_T6_T7_T9_mT8_S1H_bDpT10_ENKUlT_T0_E_clISt17integral_constantIbLb0EES1V_EEDaS1Q_S1R_EUlS1Q_E_NS1_11comp_targetILNS1_3genE0ELNS1_11target_archE4294967295ELNS1_3gpuE0ELNS1_3repE0EEENS1_30default_config_static_selectorELNS0_4arch9wavefront6targetE0EEEvS13_
		.amdhsa_group_segment_fixed_size 0
		.amdhsa_private_segment_fixed_size 0
		.amdhsa_kernarg_size 176
		.amdhsa_user_sgpr_count 2
		.amdhsa_user_sgpr_dispatch_ptr 0
		.amdhsa_user_sgpr_queue_ptr 0
		.amdhsa_user_sgpr_kernarg_segment_ptr 1
		.amdhsa_user_sgpr_dispatch_id 0
		.amdhsa_user_sgpr_private_segment_size 0
		.amdhsa_wavefront_size32 1
		.amdhsa_uses_dynamic_stack 0
		.amdhsa_enable_private_segment 0
		.amdhsa_system_sgpr_workgroup_id_x 1
		.amdhsa_system_sgpr_workgroup_id_y 0
		.amdhsa_system_sgpr_workgroup_id_z 0
		.amdhsa_system_sgpr_workgroup_info 0
		.amdhsa_system_vgpr_workitem_id 0
		.amdhsa_next_free_vgpr 1
		.amdhsa_next_free_sgpr 1
		.amdhsa_reserve_vcc 0
		.amdhsa_float_round_mode_32 0
		.amdhsa_float_round_mode_16_64 0
		.amdhsa_float_denorm_mode_32 3
		.amdhsa_float_denorm_mode_16_64 3
		.amdhsa_fp16_overflow 0
		.amdhsa_workgroup_processor_mode 1
		.amdhsa_memory_ordered 1
		.amdhsa_forward_progress 1
		.amdhsa_inst_pref_size 0
		.amdhsa_round_robin_scheduling 0
		.amdhsa_exception_fp_ieee_invalid_op 0
		.amdhsa_exception_fp_denorm_src 0
		.amdhsa_exception_fp_ieee_div_zero 0
		.amdhsa_exception_fp_ieee_overflow 0
		.amdhsa_exception_fp_ieee_underflow 0
		.amdhsa_exception_fp_ieee_inexact 0
		.amdhsa_exception_int_div_zero 0
	.end_amdhsa_kernel
	.section	.text._ZN7rocprim17ROCPRIM_400000_NS6detail17trampoline_kernelINS0_13select_configILj256ELj13ELNS0_17block_load_methodE3ELS4_3ELS4_3ELNS0_20block_scan_algorithmE0ELj4294967295EEENS1_25partition_config_selectorILNS1_17partition_subalgoE4EjNS0_10empty_typeEbEEZZNS1_14partition_implILS8_4ELb0ES6_15HIP_vector_typeIjLj2EENS0_17counting_iteratorIjlEEPS9_SG_NS0_5tupleIJPjSI_NS0_16reverse_iteratorISI_EEEEENSH_IJSG_SG_SG_EEES9_SI_JZNS1_25segmented_radix_sort_implINS0_14default_configELb1EPK12hip_bfloat16PSP_PKlPlN2at6native12_GLOBAL__N_18offset_tEEE10hipError_tPvRmT1_PNSt15iterator_traitsIS13_E10value_typeET2_T3_PNS14_IS19_E10value_typeET4_jRbjT5_S1F_jjP12ihipStream_tbEUljE_ZNSN_ISO_Lb1ESR_SS_SU_SV_SZ_EES10_S11_S12_S13_S17_S18_S19_S1C_S1D_jS1E_jS1F_S1F_jjS1H_bEUljE0_EEES10_S11_S12_S19_S1D_S1F_T6_T7_T9_mT8_S1H_bDpT10_ENKUlT_T0_E_clISt17integral_constantIbLb0EES1V_EEDaS1Q_S1R_EUlS1Q_E_NS1_11comp_targetILNS1_3genE0ELNS1_11target_archE4294967295ELNS1_3gpuE0ELNS1_3repE0EEENS1_30default_config_static_selectorELNS0_4arch9wavefront6targetE0EEEvS13_,"axG",@progbits,_ZN7rocprim17ROCPRIM_400000_NS6detail17trampoline_kernelINS0_13select_configILj256ELj13ELNS0_17block_load_methodE3ELS4_3ELS4_3ELNS0_20block_scan_algorithmE0ELj4294967295EEENS1_25partition_config_selectorILNS1_17partition_subalgoE4EjNS0_10empty_typeEbEEZZNS1_14partition_implILS8_4ELb0ES6_15HIP_vector_typeIjLj2EENS0_17counting_iteratorIjlEEPS9_SG_NS0_5tupleIJPjSI_NS0_16reverse_iteratorISI_EEEEENSH_IJSG_SG_SG_EEES9_SI_JZNS1_25segmented_radix_sort_implINS0_14default_configELb1EPK12hip_bfloat16PSP_PKlPlN2at6native12_GLOBAL__N_18offset_tEEE10hipError_tPvRmT1_PNSt15iterator_traitsIS13_E10value_typeET2_T3_PNS14_IS19_E10value_typeET4_jRbjT5_S1F_jjP12ihipStream_tbEUljE_ZNSN_ISO_Lb1ESR_SS_SU_SV_SZ_EES10_S11_S12_S13_S17_S18_S19_S1C_S1D_jS1E_jS1F_S1F_jjS1H_bEUljE0_EEES10_S11_S12_S19_S1D_S1F_T6_T7_T9_mT8_S1H_bDpT10_ENKUlT_T0_E_clISt17integral_constantIbLb0EES1V_EEDaS1Q_S1R_EUlS1Q_E_NS1_11comp_targetILNS1_3genE0ELNS1_11target_archE4294967295ELNS1_3gpuE0ELNS1_3repE0EEENS1_30default_config_static_selectorELNS0_4arch9wavefront6targetE0EEEvS13_,comdat
.Lfunc_end1882:
	.size	_ZN7rocprim17ROCPRIM_400000_NS6detail17trampoline_kernelINS0_13select_configILj256ELj13ELNS0_17block_load_methodE3ELS4_3ELS4_3ELNS0_20block_scan_algorithmE0ELj4294967295EEENS1_25partition_config_selectorILNS1_17partition_subalgoE4EjNS0_10empty_typeEbEEZZNS1_14partition_implILS8_4ELb0ES6_15HIP_vector_typeIjLj2EENS0_17counting_iteratorIjlEEPS9_SG_NS0_5tupleIJPjSI_NS0_16reverse_iteratorISI_EEEEENSH_IJSG_SG_SG_EEES9_SI_JZNS1_25segmented_radix_sort_implINS0_14default_configELb1EPK12hip_bfloat16PSP_PKlPlN2at6native12_GLOBAL__N_18offset_tEEE10hipError_tPvRmT1_PNSt15iterator_traitsIS13_E10value_typeET2_T3_PNS14_IS19_E10value_typeET4_jRbjT5_S1F_jjP12ihipStream_tbEUljE_ZNSN_ISO_Lb1ESR_SS_SU_SV_SZ_EES10_S11_S12_S13_S17_S18_S19_S1C_S1D_jS1E_jS1F_S1F_jjS1H_bEUljE0_EEES10_S11_S12_S19_S1D_S1F_T6_T7_T9_mT8_S1H_bDpT10_ENKUlT_T0_E_clISt17integral_constantIbLb0EES1V_EEDaS1Q_S1R_EUlS1Q_E_NS1_11comp_targetILNS1_3genE0ELNS1_11target_archE4294967295ELNS1_3gpuE0ELNS1_3repE0EEENS1_30default_config_static_selectorELNS0_4arch9wavefront6targetE0EEEvS13_, .Lfunc_end1882-_ZN7rocprim17ROCPRIM_400000_NS6detail17trampoline_kernelINS0_13select_configILj256ELj13ELNS0_17block_load_methodE3ELS4_3ELS4_3ELNS0_20block_scan_algorithmE0ELj4294967295EEENS1_25partition_config_selectorILNS1_17partition_subalgoE4EjNS0_10empty_typeEbEEZZNS1_14partition_implILS8_4ELb0ES6_15HIP_vector_typeIjLj2EENS0_17counting_iteratorIjlEEPS9_SG_NS0_5tupleIJPjSI_NS0_16reverse_iteratorISI_EEEEENSH_IJSG_SG_SG_EEES9_SI_JZNS1_25segmented_radix_sort_implINS0_14default_configELb1EPK12hip_bfloat16PSP_PKlPlN2at6native12_GLOBAL__N_18offset_tEEE10hipError_tPvRmT1_PNSt15iterator_traitsIS13_E10value_typeET2_T3_PNS14_IS19_E10value_typeET4_jRbjT5_S1F_jjP12ihipStream_tbEUljE_ZNSN_ISO_Lb1ESR_SS_SU_SV_SZ_EES10_S11_S12_S13_S17_S18_S19_S1C_S1D_jS1E_jS1F_S1F_jjS1H_bEUljE0_EEES10_S11_S12_S19_S1D_S1F_T6_T7_T9_mT8_S1H_bDpT10_ENKUlT_T0_E_clISt17integral_constantIbLb0EES1V_EEDaS1Q_S1R_EUlS1Q_E_NS1_11comp_targetILNS1_3genE0ELNS1_11target_archE4294967295ELNS1_3gpuE0ELNS1_3repE0EEENS1_30default_config_static_selectorELNS0_4arch9wavefront6targetE0EEEvS13_
                                        ; -- End function
	.set _ZN7rocprim17ROCPRIM_400000_NS6detail17trampoline_kernelINS0_13select_configILj256ELj13ELNS0_17block_load_methodE3ELS4_3ELS4_3ELNS0_20block_scan_algorithmE0ELj4294967295EEENS1_25partition_config_selectorILNS1_17partition_subalgoE4EjNS0_10empty_typeEbEEZZNS1_14partition_implILS8_4ELb0ES6_15HIP_vector_typeIjLj2EENS0_17counting_iteratorIjlEEPS9_SG_NS0_5tupleIJPjSI_NS0_16reverse_iteratorISI_EEEEENSH_IJSG_SG_SG_EEES9_SI_JZNS1_25segmented_radix_sort_implINS0_14default_configELb1EPK12hip_bfloat16PSP_PKlPlN2at6native12_GLOBAL__N_18offset_tEEE10hipError_tPvRmT1_PNSt15iterator_traitsIS13_E10value_typeET2_T3_PNS14_IS19_E10value_typeET4_jRbjT5_S1F_jjP12ihipStream_tbEUljE_ZNSN_ISO_Lb1ESR_SS_SU_SV_SZ_EES10_S11_S12_S13_S17_S18_S19_S1C_S1D_jS1E_jS1F_S1F_jjS1H_bEUljE0_EEES10_S11_S12_S19_S1D_S1F_T6_T7_T9_mT8_S1H_bDpT10_ENKUlT_T0_E_clISt17integral_constantIbLb0EES1V_EEDaS1Q_S1R_EUlS1Q_E_NS1_11comp_targetILNS1_3genE0ELNS1_11target_archE4294967295ELNS1_3gpuE0ELNS1_3repE0EEENS1_30default_config_static_selectorELNS0_4arch9wavefront6targetE0EEEvS13_.num_vgpr, 0
	.set _ZN7rocprim17ROCPRIM_400000_NS6detail17trampoline_kernelINS0_13select_configILj256ELj13ELNS0_17block_load_methodE3ELS4_3ELS4_3ELNS0_20block_scan_algorithmE0ELj4294967295EEENS1_25partition_config_selectorILNS1_17partition_subalgoE4EjNS0_10empty_typeEbEEZZNS1_14partition_implILS8_4ELb0ES6_15HIP_vector_typeIjLj2EENS0_17counting_iteratorIjlEEPS9_SG_NS0_5tupleIJPjSI_NS0_16reverse_iteratorISI_EEEEENSH_IJSG_SG_SG_EEES9_SI_JZNS1_25segmented_radix_sort_implINS0_14default_configELb1EPK12hip_bfloat16PSP_PKlPlN2at6native12_GLOBAL__N_18offset_tEEE10hipError_tPvRmT1_PNSt15iterator_traitsIS13_E10value_typeET2_T3_PNS14_IS19_E10value_typeET4_jRbjT5_S1F_jjP12ihipStream_tbEUljE_ZNSN_ISO_Lb1ESR_SS_SU_SV_SZ_EES10_S11_S12_S13_S17_S18_S19_S1C_S1D_jS1E_jS1F_S1F_jjS1H_bEUljE0_EEES10_S11_S12_S19_S1D_S1F_T6_T7_T9_mT8_S1H_bDpT10_ENKUlT_T0_E_clISt17integral_constantIbLb0EES1V_EEDaS1Q_S1R_EUlS1Q_E_NS1_11comp_targetILNS1_3genE0ELNS1_11target_archE4294967295ELNS1_3gpuE0ELNS1_3repE0EEENS1_30default_config_static_selectorELNS0_4arch9wavefront6targetE0EEEvS13_.num_agpr, 0
	.set _ZN7rocprim17ROCPRIM_400000_NS6detail17trampoline_kernelINS0_13select_configILj256ELj13ELNS0_17block_load_methodE3ELS4_3ELS4_3ELNS0_20block_scan_algorithmE0ELj4294967295EEENS1_25partition_config_selectorILNS1_17partition_subalgoE4EjNS0_10empty_typeEbEEZZNS1_14partition_implILS8_4ELb0ES6_15HIP_vector_typeIjLj2EENS0_17counting_iteratorIjlEEPS9_SG_NS0_5tupleIJPjSI_NS0_16reverse_iteratorISI_EEEEENSH_IJSG_SG_SG_EEES9_SI_JZNS1_25segmented_radix_sort_implINS0_14default_configELb1EPK12hip_bfloat16PSP_PKlPlN2at6native12_GLOBAL__N_18offset_tEEE10hipError_tPvRmT1_PNSt15iterator_traitsIS13_E10value_typeET2_T3_PNS14_IS19_E10value_typeET4_jRbjT5_S1F_jjP12ihipStream_tbEUljE_ZNSN_ISO_Lb1ESR_SS_SU_SV_SZ_EES10_S11_S12_S13_S17_S18_S19_S1C_S1D_jS1E_jS1F_S1F_jjS1H_bEUljE0_EEES10_S11_S12_S19_S1D_S1F_T6_T7_T9_mT8_S1H_bDpT10_ENKUlT_T0_E_clISt17integral_constantIbLb0EES1V_EEDaS1Q_S1R_EUlS1Q_E_NS1_11comp_targetILNS1_3genE0ELNS1_11target_archE4294967295ELNS1_3gpuE0ELNS1_3repE0EEENS1_30default_config_static_selectorELNS0_4arch9wavefront6targetE0EEEvS13_.numbered_sgpr, 0
	.set _ZN7rocprim17ROCPRIM_400000_NS6detail17trampoline_kernelINS0_13select_configILj256ELj13ELNS0_17block_load_methodE3ELS4_3ELS4_3ELNS0_20block_scan_algorithmE0ELj4294967295EEENS1_25partition_config_selectorILNS1_17partition_subalgoE4EjNS0_10empty_typeEbEEZZNS1_14partition_implILS8_4ELb0ES6_15HIP_vector_typeIjLj2EENS0_17counting_iteratorIjlEEPS9_SG_NS0_5tupleIJPjSI_NS0_16reverse_iteratorISI_EEEEENSH_IJSG_SG_SG_EEES9_SI_JZNS1_25segmented_radix_sort_implINS0_14default_configELb1EPK12hip_bfloat16PSP_PKlPlN2at6native12_GLOBAL__N_18offset_tEEE10hipError_tPvRmT1_PNSt15iterator_traitsIS13_E10value_typeET2_T3_PNS14_IS19_E10value_typeET4_jRbjT5_S1F_jjP12ihipStream_tbEUljE_ZNSN_ISO_Lb1ESR_SS_SU_SV_SZ_EES10_S11_S12_S13_S17_S18_S19_S1C_S1D_jS1E_jS1F_S1F_jjS1H_bEUljE0_EEES10_S11_S12_S19_S1D_S1F_T6_T7_T9_mT8_S1H_bDpT10_ENKUlT_T0_E_clISt17integral_constantIbLb0EES1V_EEDaS1Q_S1R_EUlS1Q_E_NS1_11comp_targetILNS1_3genE0ELNS1_11target_archE4294967295ELNS1_3gpuE0ELNS1_3repE0EEENS1_30default_config_static_selectorELNS0_4arch9wavefront6targetE0EEEvS13_.num_named_barrier, 0
	.set _ZN7rocprim17ROCPRIM_400000_NS6detail17trampoline_kernelINS0_13select_configILj256ELj13ELNS0_17block_load_methodE3ELS4_3ELS4_3ELNS0_20block_scan_algorithmE0ELj4294967295EEENS1_25partition_config_selectorILNS1_17partition_subalgoE4EjNS0_10empty_typeEbEEZZNS1_14partition_implILS8_4ELb0ES6_15HIP_vector_typeIjLj2EENS0_17counting_iteratorIjlEEPS9_SG_NS0_5tupleIJPjSI_NS0_16reverse_iteratorISI_EEEEENSH_IJSG_SG_SG_EEES9_SI_JZNS1_25segmented_radix_sort_implINS0_14default_configELb1EPK12hip_bfloat16PSP_PKlPlN2at6native12_GLOBAL__N_18offset_tEEE10hipError_tPvRmT1_PNSt15iterator_traitsIS13_E10value_typeET2_T3_PNS14_IS19_E10value_typeET4_jRbjT5_S1F_jjP12ihipStream_tbEUljE_ZNSN_ISO_Lb1ESR_SS_SU_SV_SZ_EES10_S11_S12_S13_S17_S18_S19_S1C_S1D_jS1E_jS1F_S1F_jjS1H_bEUljE0_EEES10_S11_S12_S19_S1D_S1F_T6_T7_T9_mT8_S1H_bDpT10_ENKUlT_T0_E_clISt17integral_constantIbLb0EES1V_EEDaS1Q_S1R_EUlS1Q_E_NS1_11comp_targetILNS1_3genE0ELNS1_11target_archE4294967295ELNS1_3gpuE0ELNS1_3repE0EEENS1_30default_config_static_selectorELNS0_4arch9wavefront6targetE0EEEvS13_.private_seg_size, 0
	.set _ZN7rocprim17ROCPRIM_400000_NS6detail17trampoline_kernelINS0_13select_configILj256ELj13ELNS0_17block_load_methodE3ELS4_3ELS4_3ELNS0_20block_scan_algorithmE0ELj4294967295EEENS1_25partition_config_selectorILNS1_17partition_subalgoE4EjNS0_10empty_typeEbEEZZNS1_14partition_implILS8_4ELb0ES6_15HIP_vector_typeIjLj2EENS0_17counting_iteratorIjlEEPS9_SG_NS0_5tupleIJPjSI_NS0_16reverse_iteratorISI_EEEEENSH_IJSG_SG_SG_EEES9_SI_JZNS1_25segmented_radix_sort_implINS0_14default_configELb1EPK12hip_bfloat16PSP_PKlPlN2at6native12_GLOBAL__N_18offset_tEEE10hipError_tPvRmT1_PNSt15iterator_traitsIS13_E10value_typeET2_T3_PNS14_IS19_E10value_typeET4_jRbjT5_S1F_jjP12ihipStream_tbEUljE_ZNSN_ISO_Lb1ESR_SS_SU_SV_SZ_EES10_S11_S12_S13_S17_S18_S19_S1C_S1D_jS1E_jS1F_S1F_jjS1H_bEUljE0_EEES10_S11_S12_S19_S1D_S1F_T6_T7_T9_mT8_S1H_bDpT10_ENKUlT_T0_E_clISt17integral_constantIbLb0EES1V_EEDaS1Q_S1R_EUlS1Q_E_NS1_11comp_targetILNS1_3genE0ELNS1_11target_archE4294967295ELNS1_3gpuE0ELNS1_3repE0EEENS1_30default_config_static_selectorELNS0_4arch9wavefront6targetE0EEEvS13_.uses_vcc, 0
	.set _ZN7rocprim17ROCPRIM_400000_NS6detail17trampoline_kernelINS0_13select_configILj256ELj13ELNS0_17block_load_methodE3ELS4_3ELS4_3ELNS0_20block_scan_algorithmE0ELj4294967295EEENS1_25partition_config_selectorILNS1_17partition_subalgoE4EjNS0_10empty_typeEbEEZZNS1_14partition_implILS8_4ELb0ES6_15HIP_vector_typeIjLj2EENS0_17counting_iteratorIjlEEPS9_SG_NS0_5tupleIJPjSI_NS0_16reverse_iteratorISI_EEEEENSH_IJSG_SG_SG_EEES9_SI_JZNS1_25segmented_radix_sort_implINS0_14default_configELb1EPK12hip_bfloat16PSP_PKlPlN2at6native12_GLOBAL__N_18offset_tEEE10hipError_tPvRmT1_PNSt15iterator_traitsIS13_E10value_typeET2_T3_PNS14_IS19_E10value_typeET4_jRbjT5_S1F_jjP12ihipStream_tbEUljE_ZNSN_ISO_Lb1ESR_SS_SU_SV_SZ_EES10_S11_S12_S13_S17_S18_S19_S1C_S1D_jS1E_jS1F_S1F_jjS1H_bEUljE0_EEES10_S11_S12_S19_S1D_S1F_T6_T7_T9_mT8_S1H_bDpT10_ENKUlT_T0_E_clISt17integral_constantIbLb0EES1V_EEDaS1Q_S1R_EUlS1Q_E_NS1_11comp_targetILNS1_3genE0ELNS1_11target_archE4294967295ELNS1_3gpuE0ELNS1_3repE0EEENS1_30default_config_static_selectorELNS0_4arch9wavefront6targetE0EEEvS13_.uses_flat_scratch, 0
	.set _ZN7rocprim17ROCPRIM_400000_NS6detail17trampoline_kernelINS0_13select_configILj256ELj13ELNS0_17block_load_methodE3ELS4_3ELS4_3ELNS0_20block_scan_algorithmE0ELj4294967295EEENS1_25partition_config_selectorILNS1_17partition_subalgoE4EjNS0_10empty_typeEbEEZZNS1_14partition_implILS8_4ELb0ES6_15HIP_vector_typeIjLj2EENS0_17counting_iteratorIjlEEPS9_SG_NS0_5tupleIJPjSI_NS0_16reverse_iteratorISI_EEEEENSH_IJSG_SG_SG_EEES9_SI_JZNS1_25segmented_radix_sort_implINS0_14default_configELb1EPK12hip_bfloat16PSP_PKlPlN2at6native12_GLOBAL__N_18offset_tEEE10hipError_tPvRmT1_PNSt15iterator_traitsIS13_E10value_typeET2_T3_PNS14_IS19_E10value_typeET4_jRbjT5_S1F_jjP12ihipStream_tbEUljE_ZNSN_ISO_Lb1ESR_SS_SU_SV_SZ_EES10_S11_S12_S13_S17_S18_S19_S1C_S1D_jS1E_jS1F_S1F_jjS1H_bEUljE0_EEES10_S11_S12_S19_S1D_S1F_T6_T7_T9_mT8_S1H_bDpT10_ENKUlT_T0_E_clISt17integral_constantIbLb0EES1V_EEDaS1Q_S1R_EUlS1Q_E_NS1_11comp_targetILNS1_3genE0ELNS1_11target_archE4294967295ELNS1_3gpuE0ELNS1_3repE0EEENS1_30default_config_static_selectorELNS0_4arch9wavefront6targetE0EEEvS13_.has_dyn_sized_stack, 0
	.set _ZN7rocprim17ROCPRIM_400000_NS6detail17trampoline_kernelINS0_13select_configILj256ELj13ELNS0_17block_load_methodE3ELS4_3ELS4_3ELNS0_20block_scan_algorithmE0ELj4294967295EEENS1_25partition_config_selectorILNS1_17partition_subalgoE4EjNS0_10empty_typeEbEEZZNS1_14partition_implILS8_4ELb0ES6_15HIP_vector_typeIjLj2EENS0_17counting_iteratorIjlEEPS9_SG_NS0_5tupleIJPjSI_NS0_16reverse_iteratorISI_EEEEENSH_IJSG_SG_SG_EEES9_SI_JZNS1_25segmented_radix_sort_implINS0_14default_configELb1EPK12hip_bfloat16PSP_PKlPlN2at6native12_GLOBAL__N_18offset_tEEE10hipError_tPvRmT1_PNSt15iterator_traitsIS13_E10value_typeET2_T3_PNS14_IS19_E10value_typeET4_jRbjT5_S1F_jjP12ihipStream_tbEUljE_ZNSN_ISO_Lb1ESR_SS_SU_SV_SZ_EES10_S11_S12_S13_S17_S18_S19_S1C_S1D_jS1E_jS1F_S1F_jjS1H_bEUljE0_EEES10_S11_S12_S19_S1D_S1F_T6_T7_T9_mT8_S1H_bDpT10_ENKUlT_T0_E_clISt17integral_constantIbLb0EES1V_EEDaS1Q_S1R_EUlS1Q_E_NS1_11comp_targetILNS1_3genE0ELNS1_11target_archE4294967295ELNS1_3gpuE0ELNS1_3repE0EEENS1_30default_config_static_selectorELNS0_4arch9wavefront6targetE0EEEvS13_.has_recursion, 0
	.set _ZN7rocprim17ROCPRIM_400000_NS6detail17trampoline_kernelINS0_13select_configILj256ELj13ELNS0_17block_load_methodE3ELS4_3ELS4_3ELNS0_20block_scan_algorithmE0ELj4294967295EEENS1_25partition_config_selectorILNS1_17partition_subalgoE4EjNS0_10empty_typeEbEEZZNS1_14partition_implILS8_4ELb0ES6_15HIP_vector_typeIjLj2EENS0_17counting_iteratorIjlEEPS9_SG_NS0_5tupleIJPjSI_NS0_16reverse_iteratorISI_EEEEENSH_IJSG_SG_SG_EEES9_SI_JZNS1_25segmented_radix_sort_implINS0_14default_configELb1EPK12hip_bfloat16PSP_PKlPlN2at6native12_GLOBAL__N_18offset_tEEE10hipError_tPvRmT1_PNSt15iterator_traitsIS13_E10value_typeET2_T3_PNS14_IS19_E10value_typeET4_jRbjT5_S1F_jjP12ihipStream_tbEUljE_ZNSN_ISO_Lb1ESR_SS_SU_SV_SZ_EES10_S11_S12_S13_S17_S18_S19_S1C_S1D_jS1E_jS1F_S1F_jjS1H_bEUljE0_EEES10_S11_S12_S19_S1D_S1F_T6_T7_T9_mT8_S1H_bDpT10_ENKUlT_T0_E_clISt17integral_constantIbLb0EES1V_EEDaS1Q_S1R_EUlS1Q_E_NS1_11comp_targetILNS1_3genE0ELNS1_11target_archE4294967295ELNS1_3gpuE0ELNS1_3repE0EEENS1_30default_config_static_selectorELNS0_4arch9wavefront6targetE0EEEvS13_.has_indirect_call, 0
	.section	.AMDGPU.csdata,"",@progbits
; Kernel info:
; codeLenInByte = 0
; TotalNumSgprs: 0
; NumVgprs: 0
; ScratchSize: 0
; MemoryBound: 0
; FloatMode: 240
; IeeeMode: 1
; LDSByteSize: 0 bytes/workgroup (compile time only)
; SGPRBlocks: 0
; VGPRBlocks: 0
; NumSGPRsForWavesPerEU: 1
; NumVGPRsForWavesPerEU: 1
; Occupancy: 16
; WaveLimiterHint : 0
; COMPUTE_PGM_RSRC2:SCRATCH_EN: 0
; COMPUTE_PGM_RSRC2:USER_SGPR: 2
; COMPUTE_PGM_RSRC2:TRAP_HANDLER: 0
; COMPUTE_PGM_RSRC2:TGID_X_EN: 1
; COMPUTE_PGM_RSRC2:TGID_Y_EN: 0
; COMPUTE_PGM_RSRC2:TGID_Z_EN: 0
; COMPUTE_PGM_RSRC2:TIDIG_COMP_CNT: 0
	.section	.text._ZN7rocprim17ROCPRIM_400000_NS6detail17trampoline_kernelINS0_13select_configILj256ELj13ELNS0_17block_load_methodE3ELS4_3ELS4_3ELNS0_20block_scan_algorithmE0ELj4294967295EEENS1_25partition_config_selectorILNS1_17partition_subalgoE4EjNS0_10empty_typeEbEEZZNS1_14partition_implILS8_4ELb0ES6_15HIP_vector_typeIjLj2EENS0_17counting_iteratorIjlEEPS9_SG_NS0_5tupleIJPjSI_NS0_16reverse_iteratorISI_EEEEENSH_IJSG_SG_SG_EEES9_SI_JZNS1_25segmented_radix_sort_implINS0_14default_configELb1EPK12hip_bfloat16PSP_PKlPlN2at6native12_GLOBAL__N_18offset_tEEE10hipError_tPvRmT1_PNSt15iterator_traitsIS13_E10value_typeET2_T3_PNS14_IS19_E10value_typeET4_jRbjT5_S1F_jjP12ihipStream_tbEUljE_ZNSN_ISO_Lb1ESR_SS_SU_SV_SZ_EES10_S11_S12_S13_S17_S18_S19_S1C_S1D_jS1E_jS1F_S1F_jjS1H_bEUljE0_EEES10_S11_S12_S19_S1D_S1F_T6_T7_T9_mT8_S1H_bDpT10_ENKUlT_T0_E_clISt17integral_constantIbLb0EES1V_EEDaS1Q_S1R_EUlS1Q_E_NS1_11comp_targetILNS1_3genE5ELNS1_11target_archE942ELNS1_3gpuE9ELNS1_3repE0EEENS1_30default_config_static_selectorELNS0_4arch9wavefront6targetE0EEEvS13_,"axG",@progbits,_ZN7rocprim17ROCPRIM_400000_NS6detail17trampoline_kernelINS0_13select_configILj256ELj13ELNS0_17block_load_methodE3ELS4_3ELS4_3ELNS0_20block_scan_algorithmE0ELj4294967295EEENS1_25partition_config_selectorILNS1_17partition_subalgoE4EjNS0_10empty_typeEbEEZZNS1_14partition_implILS8_4ELb0ES6_15HIP_vector_typeIjLj2EENS0_17counting_iteratorIjlEEPS9_SG_NS0_5tupleIJPjSI_NS0_16reverse_iteratorISI_EEEEENSH_IJSG_SG_SG_EEES9_SI_JZNS1_25segmented_radix_sort_implINS0_14default_configELb1EPK12hip_bfloat16PSP_PKlPlN2at6native12_GLOBAL__N_18offset_tEEE10hipError_tPvRmT1_PNSt15iterator_traitsIS13_E10value_typeET2_T3_PNS14_IS19_E10value_typeET4_jRbjT5_S1F_jjP12ihipStream_tbEUljE_ZNSN_ISO_Lb1ESR_SS_SU_SV_SZ_EES10_S11_S12_S13_S17_S18_S19_S1C_S1D_jS1E_jS1F_S1F_jjS1H_bEUljE0_EEES10_S11_S12_S19_S1D_S1F_T6_T7_T9_mT8_S1H_bDpT10_ENKUlT_T0_E_clISt17integral_constantIbLb0EES1V_EEDaS1Q_S1R_EUlS1Q_E_NS1_11comp_targetILNS1_3genE5ELNS1_11target_archE942ELNS1_3gpuE9ELNS1_3repE0EEENS1_30default_config_static_selectorELNS0_4arch9wavefront6targetE0EEEvS13_,comdat
	.globl	_ZN7rocprim17ROCPRIM_400000_NS6detail17trampoline_kernelINS0_13select_configILj256ELj13ELNS0_17block_load_methodE3ELS4_3ELS4_3ELNS0_20block_scan_algorithmE0ELj4294967295EEENS1_25partition_config_selectorILNS1_17partition_subalgoE4EjNS0_10empty_typeEbEEZZNS1_14partition_implILS8_4ELb0ES6_15HIP_vector_typeIjLj2EENS0_17counting_iteratorIjlEEPS9_SG_NS0_5tupleIJPjSI_NS0_16reverse_iteratorISI_EEEEENSH_IJSG_SG_SG_EEES9_SI_JZNS1_25segmented_radix_sort_implINS0_14default_configELb1EPK12hip_bfloat16PSP_PKlPlN2at6native12_GLOBAL__N_18offset_tEEE10hipError_tPvRmT1_PNSt15iterator_traitsIS13_E10value_typeET2_T3_PNS14_IS19_E10value_typeET4_jRbjT5_S1F_jjP12ihipStream_tbEUljE_ZNSN_ISO_Lb1ESR_SS_SU_SV_SZ_EES10_S11_S12_S13_S17_S18_S19_S1C_S1D_jS1E_jS1F_S1F_jjS1H_bEUljE0_EEES10_S11_S12_S19_S1D_S1F_T6_T7_T9_mT8_S1H_bDpT10_ENKUlT_T0_E_clISt17integral_constantIbLb0EES1V_EEDaS1Q_S1R_EUlS1Q_E_NS1_11comp_targetILNS1_3genE5ELNS1_11target_archE942ELNS1_3gpuE9ELNS1_3repE0EEENS1_30default_config_static_selectorELNS0_4arch9wavefront6targetE0EEEvS13_ ; -- Begin function _ZN7rocprim17ROCPRIM_400000_NS6detail17trampoline_kernelINS0_13select_configILj256ELj13ELNS0_17block_load_methodE3ELS4_3ELS4_3ELNS0_20block_scan_algorithmE0ELj4294967295EEENS1_25partition_config_selectorILNS1_17partition_subalgoE4EjNS0_10empty_typeEbEEZZNS1_14partition_implILS8_4ELb0ES6_15HIP_vector_typeIjLj2EENS0_17counting_iteratorIjlEEPS9_SG_NS0_5tupleIJPjSI_NS0_16reverse_iteratorISI_EEEEENSH_IJSG_SG_SG_EEES9_SI_JZNS1_25segmented_radix_sort_implINS0_14default_configELb1EPK12hip_bfloat16PSP_PKlPlN2at6native12_GLOBAL__N_18offset_tEEE10hipError_tPvRmT1_PNSt15iterator_traitsIS13_E10value_typeET2_T3_PNS14_IS19_E10value_typeET4_jRbjT5_S1F_jjP12ihipStream_tbEUljE_ZNSN_ISO_Lb1ESR_SS_SU_SV_SZ_EES10_S11_S12_S13_S17_S18_S19_S1C_S1D_jS1E_jS1F_S1F_jjS1H_bEUljE0_EEES10_S11_S12_S19_S1D_S1F_T6_T7_T9_mT8_S1H_bDpT10_ENKUlT_T0_E_clISt17integral_constantIbLb0EES1V_EEDaS1Q_S1R_EUlS1Q_E_NS1_11comp_targetILNS1_3genE5ELNS1_11target_archE942ELNS1_3gpuE9ELNS1_3repE0EEENS1_30default_config_static_selectorELNS0_4arch9wavefront6targetE0EEEvS13_
	.p2align	8
	.type	_ZN7rocprim17ROCPRIM_400000_NS6detail17trampoline_kernelINS0_13select_configILj256ELj13ELNS0_17block_load_methodE3ELS4_3ELS4_3ELNS0_20block_scan_algorithmE0ELj4294967295EEENS1_25partition_config_selectorILNS1_17partition_subalgoE4EjNS0_10empty_typeEbEEZZNS1_14partition_implILS8_4ELb0ES6_15HIP_vector_typeIjLj2EENS0_17counting_iteratorIjlEEPS9_SG_NS0_5tupleIJPjSI_NS0_16reverse_iteratorISI_EEEEENSH_IJSG_SG_SG_EEES9_SI_JZNS1_25segmented_radix_sort_implINS0_14default_configELb1EPK12hip_bfloat16PSP_PKlPlN2at6native12_GLOBAL__N_18offset_tEEE10hipError_tPvRmT1_PNSt15iterator_traitsIS13_E10value_typeET2_T3_PNS14_IS19_E10value_typeET4_jRbjT5_S1F_jjP12ihipStream_tbEUljE_ZNSN_ISO_Lb1ESR_SS_SU_SV_SZ_EES10_S11_S12_S13_S17_S18_S19_S1C_S1D_jS1E_jS1F_S1F_jjS1H_bEUljE0_EEES10_S11_S12_S19_S1D_S1F_T6_T7_T9_mT8_S1H_bDpT10_ENKUlT_T0_E_clISt17integral_constantIbLb0EES1V_EEDaS1Q_S1R_EUlS1Q_E_NS1_11comp_targetILNS1_3genE5ELNS1_11target_archE942ELNS1_3gpuE9ELNS1_3repE0EEENS1_30default_config_static_selectorELNS0_4arch9wavefront6targetE0EEEvS13_,@function
_ZN7rocprim17ROCPRIM_400000_NS6detail17trampoline_kernelINS0_13select_configILj256ELj13ELNS0_17block_load_methodE3ELS4_3ELS4_3ELNS0_20block_scan_algorithmE0ELj4294967295EEENS1_25partition_config_selectorILNS1_17partition_subalgoE4EjNS0_10empty_typeEbEEZZNS1_14partition_implILS8_4ELb0ES6_15HIP_vector_typeIjLj2EENS0_17counting_iteratorIjlEEPS9_SG_NS0_5tupleIJPjSI_NS0_16reverse_iteratorISI_EEEEENSH_IJSG_SG_SG_EEES9_SI_JZNS1_25segmented_radix_sort_implINS0_14default_configELb1EPK12hip_bfloat16PSP_PKlPlN2at6native12_GLOBAL__N_18offset_tEEE10hipError_tPvRmT1_PNSt15iterator_traitsIS13_E10value_typeET2_T3_PNS14_IS19_E10value_typeET4_jRbjT5_S1F_jjP12ihipStream_tbEUljE_ZNSN_ISO_Lb1ESR_SS_SU_SV_SZ_EES10_S11_S12_S13_S17_S18_S19_S1C_S1D_jS1E_jS1F_S1F_jjS1H_bEUljE0_EEES10_S11_S12_S19_S1D_S1F_T6_T7_T9_mT8_S1H_bDpT10_ENKUlT_T0_E_clISt17integral_constantIbLb0EES1V_EEDaS1Q_S1R_EUlS1Q_E_NS1_11comp_targetILNS1_3genE5ELNS1_11target_archE942ELNS1_3gpuE9ELNS1_3repE0EEENS1_30default_config_static_selectorELNS0_4arch9wavefront6targetE0EEEvS13_: ; @_ZN7rocprim17ROCPRIM_400000_NS6detail17trampoline_kernelINS0_13select_configILj256ELj13ELNS0_17block_load_methodE3ELS4_3ELS4_3ELNS0_20block_scan_algorithmE0ELj4294967295EEENS1_25partition_config_selectorILNS1_17partition_subalgoE4EjNS0_10empty_typeEbEEZZNS1_14partition_implILS8_4ELb0ES6_15HIP_vector_typeIjLj2EENS0_17counting_iteratorIjlEEPS9_SG_NS0_5tupleIJPjSI_NS0_16reverse_iteratorISI_EEEEENSH_IJSG_SG_SG_EEES9_SI_JZNS1_25segmented_radix_sort_implINS0_14default_configELb1EPK12hip_bfloat16PSP_PKlPlN2at6native12_GLOBAL__N_18offset_tEEE10hipError_tPvRmT1_PNSt15iterator_traitsIS13_E10value_typeET2_T3_PNS14_IS19_E10value_typeET4_jRbjT5_S1F_jjP12ihipStream_tbEUljE_ZNSN_ISO_Lb1ESR_SS_SU_SV_SZ_EES10_S11_S12_S13_S17_S18_S19_S1C_S1D_jS1E_jS1F_S1F_jjS1H_bEUljE0_EEES10_S11_S12_S19_S1D_S1F_T6_T7_T9_mT8_S1H_bDpT10_ENKUlT_T0_E_clISt17integral_constantIbLb0EES1V_EEDaS1Q_S1R_EUlS1Q_E_NS1_11comp_targetILNS1_3genE5ELNS1_11target_archE942ELNS1_3gpuE9ELNS1_3repE0EEENS1_30default_config_static_selectorELNS0_4arch9wavefront6targetE0EEEvS13_
; %bb.0:
	.section	.rodata,"a",@progbits
	.p2align	6, 0x0
	.amdhsa_kernel _ZN7rocprim17ROCPRIM_400000_NS6detail17trampoline_kernelINS0_13select_configILj256ELj13ELNS0_17block_load_methodE3ELS4_3ELS4_3ELNS0_20block_scan_algorithmE0ELj4294967295EEENS1_25partition_config_selectorILNS1_17partition_subalgoE4EjNS0_10empty_typeEbEEZZNS1_14partition_implILS8_4ELb0ES6_15HIP_vector_typeIjLj2EENS0_17counting_iteratorIjlEEPS9_SG_NS0_5tupleIJPjSI_NS0_16reverse_iteratorISI_EEEEENSH_IJSG_SG_SG_EEES9_SI_JZNS1_25segmented_radix_sort_implINS0_14default_configELb1EPK12hip_bfloat16PSP_PKlPlN2at6native12_GLOBAL__N_18offset_tEEE10hipError_tPvRmT1_PNSt15iterator_traitsIS13_E10value_typeET2_T3_PNS14_IS19_E10value_typeET4_jRbjT5_S1F_jjP12ihipStream_tbEUljE_ZNSN_ISO_Lb1ESR_SS_SU_SV_SZ_EES10_S11_S12_S13_S17_S18_S19_S1C_S1D_jS1E_jS1F_S1F_jjS1H_bEUljE0_EEES10_S11_S12_S19_S1D_S1F_T6_T7_T9_mT8_S1H_bDpT10_ENKUlT_T0_E_clISt17integral_constantIbLb0EES1V_EEDaS1Q_S1R_EUlS1Q_E_NS1_11comp_targetILNS1_3genE5ELNS1_11target_archE942ELNS1_3gpuE9ELNS1_3repE0EEENS1_30default_config_static_selectorELNS0_4arch9wavefront6targetE0EEEvS13_
		.amdhsa_group_segment_fixed_size 0
		.amdhsa_private_segment_fixed_size 0
		.amdhsa_kernarg_size 176
		.amdhsa_user_sgpr_count 2
		.amdhsa_user_sgpr_dispatch_ptr 0
		.amdhsa_user_sgpr_queue_ptr 0
		.amdhsa_user_sgpr_kernarg_segment_ptr 1
		.amdhsa_user_sgpr_dispatch_id 0
		.amdhsa_user_sgpr_private_segment_size 0
		.amdhsa_wavefront_size32 1
		.amdhsa_uses_dynamic_stack 0
		.amdhsa_enable_private_segment 0
		.amdhsa_system_sgpr_workgroup_id_x 1
		.amdhsa_system_sgpr_workgroup_id_y 0
		.amdhsa_system_sgpr_workgroup_id_z 0
		.amdhsa_system_sgpr_workgroup_info 0
		.amdhsa_system_vgpr_workitem_id 0
		.amdhsa_next_free_vgpr 1
		.amdhsa_next_free_sgpr 1
		.amdhsa_reserve_vcc 0
		.amdhsa_float_round_mode_32 0
		.amdhsa_float_round_mode_16_64 0
		.amdhsa_float_denorm_mode_32 3
		.amdhsa_float_denorm_mode_16_64 3
		.amdhsa_fp16_overflow 0
		.amdhsa_workgroup_processor_mode 1
		.amdhsa_memory_ordered 1
		.amdhsa_forward_progress 1
		.amdhsa_inst_pref_size 0
		.amdhsa_round_robin_scheduling 0
		.amdhsa_exception_fp_ieee_invalid_op 0
		.amdhsa_exception_fp_denorm_src 0
		.amdhsa_exception_fp_ieee_div_zero 0
		.amdhsa_exception_fp_ieee_overflow 0
		.amdhsa_exception_fp_ieee_underflow 0
		.amdhsa_exception_fp_ieee_inexact 0
		.amdhsa_exception_int_div_zero 0
	.end_amdhsa_kernel
	.section	.text._ZN7rocprim17ROCPRIM_400000_NS6detail17trampoline_kernelINS0_13select_configILj256ELj13ELNS0_17block_load_methodE3ELS4_3ELS4_3ELNS0_20block_scan_algorithmE0ELj4294967295EEENS1_25partition_config_selectorILNS1_17partition_subalgoE4EjNS0_10empty_typeEbEEZZNS1_14partition_implILS8_4ELb0ES6_15HIP_vector_typeIjLj2EENS0_17counting_iteratorIjlEEPS9_SG_NS0_5tupleIJPjSI_NS0_16reverse_iteratorISI_EEEEENSH_IJSG_SG_SG_EEES9_SI_JZNS1_25segmented_radix_sort_implINS0_14default_configELb1EPK12hip_bfloat16PSP_PKlPlN2at6native12_GLOBAL__N_18offset_tEEE10hipError_tPvRmT1_PNSt15iterator_traitsIS13_E10value_typeET2_T3_PNS14_IS19_E10value_typeET4_jRbjT5_S1F_jjP12ihipStream_tbEUljE_ZNSN_ISO_Lb1ESR_SS_SU_SV_SZ_EES10_S11_S12_S13_S17_S18_S19_S1C_S1D_jS1E_jS1F_S1F_jjS1H_bEUljE0_EEES10_S11_S12_S19_S1D_S1F_T6_T7_T9_mT8_S1H_bDpT10_ENKUlT_T0_E_clISt17integral_constantIbLb0EES1V_EEDaS1Q_S1R_EUlS1Q_E_NS1_11comp_targetILNS1_3genE5ELNS1_11target_archE942ELNS1_3gpuE9ELNS1_3repE0EEENS1_30default_config_static_selectorELNS0_4arch9wavefront6targetE0EEEvS13_,"axG",@progbits,_ZN7rocprim17ROCPRIM_400000_NS6detail17trampoline_kernelINS0_13select_configILj256ELj13ELNS0_17block_load_methodE3ELS4_3ELS4_3ELNS0_20block_scan_algorithmE0ELj4294967295EEENS1_25partition_config_selectorILNS1_17partition_subalgoE4EjNS0_10empty_typeEbEEZZNS1_14partition_implILS8_4ELb0ES6_15HIP_vector_typeIjLj2EENS0_17counting_iteratorIjlEEPS9_SG_NS0_5tupleIJPjSI_NS0_16reverse_iteratorISI_EEEEENSH_IJSG_SG_SG_EEES9_SI_JZNS1_25segmented_radix_sort_implINS0_14default_configELb1EPK12hip_bfloat16PSP_PKlPlN2at6native12_GLOBAL__N_18offset_tEEE10hipError_tPvRmT1_PNSt15iterator_traitsIS13_E10value_typeET2_T3_PNS14_IS19_E10value_typeET4_jRbjT5_S1F_jjP12ihipStream_tbEUljE_ZNSN_ISO_Lb1ESR_SS_SU_SV_SZ_EES10_S11_S12_S13_S17_S18_S19_S1C_S1D_jS1E_jS1F_S1F_jjS1H_bEUljE0_EEES10_S11_S12_S19_S1D_S1F_T6_T7_T9_mT8_S1H_bDpT10_ENKUlT_T0_E_clISt17integral_constantIbLb0EES1V_EEDaS1Q_S1R_EUlS1Q_E_NS1_11comp_targetILNS1_3genE5ELNS1_11target_archE942ELNS1_3gpuE9ELNS1_3repE0EEENS1_30default_config_static_selectorELNS0_4arch9wavefront6targetE0EEEvS13_,comdat
.Lfunc_end1883:
	.size	_ZN7rocprim17ROCPRIM_400000_NS6detail17trampoline_kernelINS0_13select_configILj256ELj13ELNS0_17block_load_methodE3ELS4_3ELS4_3ELNS0_20block_scan_algorithmE0ELj4294967295EEENS1_25partition_config_selectorILNS1_17partition_subalgoE4EjNS0_10empty_typeEbEEZZNS1_14partition_implILS8_4ELb0ES6_15HIP_vector_typeIjLj2EENS0_17counting_iteratorIjlEEPS9_SG_NS0_5tupleIJPjSI_NS0_16reverse_iteratorISI_EEEEENSH_IJSG_SG_SG_EEES9_SI_JZNS1_25segmented_radix_sort_implINS0_14default_configELb1EPK12hip_bfloat16PSP_PKlPlN2at6native12_GLOBAL__N_18offset_tEEE10hipError_tPvRmT1_PNSt15iterator_traitsIS13_E10value_typeET2_T3_PNS14_IS19_E10value_typeET4_jRbjT5_S1F_jjP12ihipStream_tbEUljE_ZNSN_ISO_Lb1ESR_SS_SU_SV_SZ_EES10_S11_S12_S13_S17_S18_S19_S1C_S1D_jS1E_jS1F_S1F_jjS1H_bEUljE0_EEES10_S11_S12_S19_S1D_S1F_T6_T7_T9_mT8_S1H_bDpT10_ENKUlT_T0_E_clISt17integral_constantIbLb0EES1V_EEDaS1Q_S1R_EUlS1Q_E_NS1_11comp_targetILNS1_3genE5ELNS1_11target_archE942ELNS1_3gpuE9ELNS1_3repE0EEENS1_30default_config_static_selectorELNS0_4arch9wavefront6targetE0EEEvS13_, .Lfunc_end1883-_ZN7rocprim17ROCPRIM_400000_NS6detail17trampoline_kernelINS0_13select_configILj256ELj13ELNS0_17block_load_methodE3ELS4_3ELS4_3ELNS0_20block_scan_algorithmE0ELj4294967295EEENS1_25partition_config_selectorILNS1_17partition_subalgoE4EjNS0_10empty_typeEbEEZZNS1_14partition_implILS8_4ELb0ES6_15HIP_vector_typeIjLj2EENS0_17counting_iteratorIjlEEPS9_SG_NS0_5tupleIJPjSI_NS0_16reverse_iteratorISI_EEEEENSH_IJSG_SG_SG_EEES9_SI_JZNS1_25segmented_radix_sort_implINS0_14default_configELb1EPK12hip_bfloat16PSP_PKlPlN2at6native12_GLOBAL__N_18offset_tEEE10hipError_tPvRmT1_PNSt15iterator_traitsIS13_E10value_typeET2_T3_PNS14_IS19_E10value_typeET4_jRbjT5_S1F_jjP12ihipStream_tbEUljE_ZNSN_ISO_Lb1ESR_SS_SU_SV_SZ_EES10_S11_S12_S13_S17_S18_S19_S1C_S1D_jS1E_jS1F_S1F_jjS1H_bEUljE0_EEES10_S11_S12_S19_S1D_S1F_T6_T7_T9_mT8_S1H_bDpT10_ENKUlT_T0_E_clISt17integral_constantIbLb0EES1V_EEDaS1Q_S1R_EUlS1Q_E_NS1_11comp_targetILNS1_3genE5ELNS1_11target_archE942ELNS1_3gpuE9ELNS1_3repE0EEENS1_30default_config_static_selectorELNS0_4arch9wavefront6targetE0EEEvS13_
                                        ; -- End function
	.set _ZN7rocprim17ROCPRIM_400000_NS6detail17trampoline_kernelINS0_13select_configILj256ELj13ELNS0_17block_load_methodE3ELS4_3ELS4_3ELNS0_20block_scan_algorithmE0ELj4294967295EEENS1_25partition_config_selectorILNS1_17partition_subalgoE4EjNS0_10empty_typeEbEEZZNS1_14partition_implILS8_4ELb0ES6_15HIP_vector_typeIjLj2EENS0_17counting_iteratorIjlEEPS9_SG_NS0_5tupleIJPjSI_NS0_16reverse_iteratorISI_EEEEENSH_IJSG_SG_SG_EEES9_SI_JZNS1_25segmented_radix_sort_implINS0_14default_configELb1EPK12hip_bfloat16PSP_PKlPlN2at6native12_GLOBAL__N_18offset_tEEE10hipError_tPvRmT1_PNSt15iterator_traitsIS13_E10value_typeET2_T3_PNS14_IS19_E10value_typeET4_jRbjT5_S1F_jjP12ihipStream_tbEUljE_ZNSN_ISO_Lb1ESR_SS_SU_SV_SZ_EES10_S11_S12_S13_S17_S18_S19_S1C_S1D_jS1E_jS1F_S1F_jjS1H_bEUljE0_EEES10_S11_S12_S19_S1D_S1F_T6_T7_T9_mT8_S1H_bDpT10_ENKUlT_T0_E_clISt17integral_constantIbLb0EES1V_EEDaS1Q_S1R_EUlS1Q_E_NS1_11comp_targetILNS1_3genE5ELNS1_11target_archE942ELNS1_3gpuE9ELNS1_3repE0EEENS1_30default_config_static_selectorELNS0_4arch9wavefront6targetE0EEEvS13_.num_vgpr, 0
	.set _ZN7rocprim17ROCPRIM_400000_NS6detail17trampoline_kernelINS0_13select_configILj256ELj13ELNS0_17block_load_methodE3ELS4_3ELS4_3ELNS0_20block_scan_algorithmE0ELj4294967295EEENS1_25partition_config_selectorILNS1_17partition_subalgoE4EjNS0_10empty_typeEbEEZZNS1_14partition_implILS8_4ELb0ES6_15HIP_vector_typeIjLj2EENS0_17counting_iteratorIjlEEPS9_SG_NS0_5tupleIJPjSI_NS0_16reverse_iteratorISI_EEEEENSH_IJSG_SG_SG_EEES9_SI_JZNS1_25segmented_radix_sort_implINS0_14default_configELb1EPK12hip_bfloat16PSP_PKlPlN2at6native12_GLOBAL__N_18offset_tEEE10hipError_tPvRmT1_PNSt15iterator_traitsIS13_E10value_typeET2_T3_PNS14_IS19_E10value_typeET4_jRbjT5_S1F_jjP12ihipStream_tbEUljE_ZNSN_ISO_Lb1ESR_SS_SU_SV_SZ_EES10_S11_S12_S13_S17_S18_S19_S1C_S1D_jS1E_jS1F_S1F_jjS1H_bEUljE0_EEES10_S11_S12_S19_S1D_S1F_T6_T7_T9_mT8_S1H_bDpT10_ENKUlT_T0_E_clISt17integral_constantIbLb0EES1V_EEDaS1Q_S1R_EUlS1Q_E_NS1_11comp_targetILNS1_3genE5ELNS1_11target_archE942ELNS1_3gpuE9ELNS1_3repE0EEENS1_30default_config_static_selectorELNS0_4arch9wavefront6targetE0EEEvS13_.num_agpr, 0
	.set _ZN7rocprim17ROCPRIM_400000_NS6detail17trampoline_kernelINS0_13select_configILj256ELj13ELNS0_17block_load_methodE3ELS4_3ELS4_3ELNS0_20block_scan_algorithmE0ELj4294967295EEENS1_25partition_config_selectorILNS1_17partition_subalgoE4EjNS0_10empty_typeEbEEZZNS1_14partition_implILS8_4ELb0ES6_15HIP_vector_typeIjLj2EENS0_17counting_iteratorIjlEEPS9_SG_NS0_5tupleIJPjSI_NS0_16reverse_iteratorISI_EEEEENSH_IJSG_SG_SG_EEES9_SI_JZNS1_25segmented_radix_sort_implINS0_14default_configELb1EPK12hip_bfloat16PSP_PKlPlN2at6native12_GLOBAL__N_18offset_tEEE10hipError_tPvRmT1_PNSt15iterator_traitsIS13_E10value_typeET2_T3_PNS14_IS19_E10value_typeET4_jRbjT5_S1F_jjP12ihipStream_tbEUljE_ZNSN_ISO_Lb1ESR_SS_SU_SV_SZ_EES10_S11_S12_S13_S17_S18_S19_S1C_S1D_jS1E_jS1F_S1F_jjS1H_bEUljE0_EEES10_S11_S12_S19_S1D_S1F_T6_T7_T9_mT8_S1H_bDpT10_ENKUlT_T0_E_clISt17integral_constantIbLb0EES1V_EEDaS1Q_S1R_EUlS1Q_E_NS1_11comp_targetILNS1_3genE5ELNS1_11target_archE942ELNS1_3gpuE9ELNS1_3repE0EEENS1_30default_config_static_selectorELNS0_4arch9wavefront6targetE0EEEvS13_.numbered_sgpr, 0
	.set _ZN7rocprim17ROCPRIM_400000_NS6detail17trampoline_kernelINS0_13select_configILj256ELj13ELNS0_17block_load_methodE3ELS4_3ELS4_3ELNS0_20block_scan_algorithmE0ELj4294967295EEENS1_25partition_config_selectorILNS1_17partition_subalgoE4EjNS0_10empty_typeEbEEZZNS1_14partition_implILS8_4ELb0ES6_15HIP_vector_typeIjLj2EENS0_17counting_iteratorIjlEEPS9_SG_NS0_5tupleIJPjSI_NS0_16reverse_iteratorISI_EEEEENSH_IJSG_SG_SG_EEES9_SI_JZNS1_25segmented_radix_sort_implINS0_14default_configELb1EPK12hip_bfloat16PSP_PKlPlN2at6native12_GLOBAL__N_18offset_tEEE10hipError_tPvRmT1_PNSt15iterator_traitsIS13_E10value_typeET2_T3_PNS14_IS19_E10value_typeET4_jRbjT5_S1F_jjP12ihipStream_tbEUljE_ZNSN_ISO_Lb1ESR_SS_SU_SV_SZ_EES10_S11_S12_S13_S17_S18_S19_S1C_S1D_jS1E_jS1F_S1F_jjS1H_bEUljE0_EEES10_S11_S12_S19_S1D_S1F_T6_T7_T9_mT8_S1H_bDpT10_ENKUlT_T0_E_clISt17integral_constantIbLb0EES1V_EEDaS1Q_S1R_EUlS1Q_E_NS1_11comp_targetILNS1_3genE5ELNS1_11target_archE942ELNS1_3gpuE9ELNS1_3repE0EEENS1_30default_config_static_selectorELNS0_4arch9wavefront6targetE0EEEvS13_.num_named_barrier, 0
	.set _ZN7rocprim17ROCPRIM_400000_NS6detail17trampoline_kernelINS0_13select_configILj256ELj13ELNS0_17block_load_methodE3ELS4_3ELS4_3ELNS0_20block_scan_algorithmE0ELj4294967295EEENS1_25partition_config_selectorILNS1_17partition_subalgoE4EjNS0_10empty_typeEbEEZZNS1_14partition_implILS8_4ELb0ES6_15HIP_vector_typeIjLj2EENS0_17counting_iteratorIjlEEPS9_SG_NS0_5tupleIJPjSI_NS0_16reverse_iteratorISI_EEEEENSH_IJSG_SG_SG_EEES9_SI_JZNS1_25segmented_radix_sort_implINS0_14default_configELb1EPK12hip_bfloat16PSP_PKlPlN2at6native12_GLOBAL__N_18offset_tEEE10hipError_tPvRmT1_PNSt15iterator_traitsIS13_E10value_typeET2_T3_PNS14_IS19_E10value_typeET4_jRbjT5_S1F_jjP12ihipStream_tbEUljE_ZNSN_ISO_Lb1ESR_SS_SU_SV_SZ_EES10_S11_S12_S13_S17_S18_S19_S1C_S1D_jS1E_jS1F_S1F_jjS1H_bEUljE0_EEES10_S11_S12_S19_S1D_S1F_T6_T7_T9_mT8_S1H_bDpT10_ENKUlT_T0_E_clISt17integral_constantIbLb0EES1V_EEDaS1Q_S1R_EUlS1Q_E_NS1_11comp_targetILNS1_3genE5ELNS1_11target_archE942ELNS1_3gpuE9ELNS1_3repE0EEENS1_30default_config_static_selectorELNS0_4arch9wavefront6targetE0EEEvS13_.private_seg_size, 0
	.set _ZN7rocprim17ROCPRIM_400000_NS6detail17trampoline_kernelINS0_13select_configILj256ELj13ELNS0_17block_load_methodE3ELS4_3ELS4_3ELNS0_20block_scan_algorithmE0ELj4294967295EEENS1_25partition_config_selectorILNS1_17partition_subalgoE4EjNS0_10empty_typeEbEEZZNS1_14partition_implILS8_4ELb0ES6_15HIP_vector_typeIjLj2EENS0_17counting_iteratorIjlEEPS9_SG_NS0_5tupleIJPjSI_NS0_16reverse_iteratorISI_EEEEENSH_IJSG_SG_SG_EEES9_SI_JZNS1_25segmented_radix_sort_implINS0_14default_configELb1EPK12hip_bfloat16PSP_PKlPlN2at6native12_GLOBAL__N_18offset_tEEE10hipError_tPvRmT1_PNSt15iterator_traitsIS13_E10value_typeET2_T3_PNS14_IS19_E10value_typeET4_jRbjT5_S1F_jjP12ihipStream_tbEUljE_ZNSN_ISO_Lb1ESR_SS_SU_SV_SZ_EES10_S11_S12_S13_S17_S18_S19_S1C_S1D_jS1E_jS1F_S1F_jjS1H_bEUljE0_EEES10_S11_S12_S19_S1D_S1F_T6_T7_T9_mT8_S1H_bDpT10_ENKUlT_T0_E_clISt17integral_constantIbLb0EES1V_EEDaS1Q_S1R_EUlS1Q_E_NS1_11comp_targetILNS1_3genE5ELNS1_11target_archE942ELNS1_3gpuE9ELNS1_3repE0EEENS1_30default_config_static_selectorELNS0_4arch9wavefront6targetE0EEEvS13_.uses_vcc, 0
	.set _ZN7rocprim17ROCPRIM_400000_NS6detail17trampoline_kernelINS0_13select_configILj256ELj13ELNS0_17block_load_methodE3ELS4_3ELS4_3ELNS0_20block_scan_algorithmE0ELj4294967295EEENS1_25partition_config_selectorILNS1_17partition_subalgoE4EjNS0_10empty_typeEbEEZZNS1_14partition_implILS8_4ELb0ES6_15HIP_vector_typeIjLj2EENS0_17counting_iteratorIjlEEPS9_SG_NS0_5tupleIJPjSI_NS0_16reverse_iteratorISI_EEEEENSH_IJSG_SG_SG_EEES9_SI_JZNS1_25segmented_radix_sort_implINS0_14default_configELb1EPK12hip_bfloat16PSP_PKlPlN2at6native12_GLOBAL__N_18offset_tEEE10hipError_tPvRmT1_PNSt15iterator_traitsIS13_E10value_typeET2_T3_PNS14_IS19_E10value_typeET4_jRbjT5_S1F_jjP12ihipStream_tbEUljE_ZNSN_ISO_Lb1ESR_SS_SU_SV_SZ_EES10_S11_S12_S13_S17_S18_S19_S1C_S1D_jS1E_jS1F_S1F_jjS1H_bEUljE0_EEES10_S11_S12_S19_S1D_S1F_T6_T7_T9_mT8_S1H_bDpT10_ENKUlT_T0_E_clISt17integral_constantIbLb0EES1V_EEDaS1Q_S1R_EUlS1Q_E_NS1_11comp_targetILNS1_3genE5ELNS1_11target_archE942ELNS1_3gpuE9ELNS1_3repE0EEENS1_30default_config_static_selectorELNS0_4arch9wavefront6targetE0EEEvS13_.uses_flat_scratch, 0
	.set _ZN7rocprim17ROCPRIM_400000_NS6detail17trampoline_kernelINS0_13select_configILj256ELj13ELNS0_17block_load_methodE3ELS4_3ELS4_3ELNS0_20block_scan_algorithmE0ELj4294967295EEENS1_25partition_config_selectorILNS1_17partition_subalgoE4EjNS0_10empty_typeEbEEZZNS1_14partition_implILS8_4ELb0ES6_15HIP_vector_typeIjLj2EENS0_17counting_iteratorIjlEEPS9_SG_NS0_5tupleIJPjSI_NS0_16reverse_iteratorISI_EEEEENSH_IJSG_SG_SG_EEES9_SI_JZNS1_25segmented_radix_sort_implINS0_14default_configELb1EPK12hip_bfloat16PSP_PKlPlN2at6native12_GLOBAL__N_18offset_tEEE10hipError_tPvRmT1_PNSt15iterator_traitsIS13_E10value_typeET2_T3_PNS14_IS19_E10value_typeET4_jRbjT5_S1F_jjP12ihipStream_tbEUljE_ZNSN_ISO_Lb1ESR_SS_SU_SV_SZ_EES10_S11_S12_S13_S17_S18_S19_S1C_S1D_jS1E_jS1F_S1F_jjS1H_bEUljE0_EEES10_S11_S12_S19_S1D_S1F_T6_T7_T9_mT8_S1H_bDpT10_ENKUlT_T0_E_clISt17integral_constantIbLb0EES1V_EEDaS1Q_S1R_EUlS1Q_E_NS1_11comp_targetILNS1_3genE5ELNS1_11target_archE942ELNS1_3gpuE9ELNS1_3repE0EEENS1_30default_config_static_selectorELNS0_4arch9wavefront6targetE0EEEvS13_.has_dyn_sized_stack, 0
	.set _ZN7rocprim17ROCPRIM_400000_NS6detail17trampoline_kernelINS0_13select_configILj256ELj13ELNS0_17block_load_methodE3ELS4_3ELS4_3ELNS0_20block_scan_algorithmE0ELj4294967295EEENS1_25partition_config_selectorILNS1_17partition_subalgoE4EjNS0_10empty_typeEbEEZZNS1_14partition_implILS8_4ELb0ES6_15HIP_vector_typeIjLj2EENS0_17counting_iteratorIjlEEPS9_SG_NS0_5tupleIJPjSI_NS0_16reverse_iteratorISI_EEEEENSH_IJSG_SG_SG_EEES9_SI_JZNS1_25segmented_radix_sort_implINS0_14default_configELb1EPK12hip_bfloat16PSP_PKlPlN2at6native12_GLOBAL__N_18offset_tEEE10hipError_tPvRmT1_PNSt15iterator_traitsIS13_E10value_typeET2_T3_PNS14_IS19_E10value_typeET4_jRbjT5_S1F_jjP12ihipStream_tbEUljE_ZNSN_ISO_Lb1ESR_SS_SU_SV_SZ_EES10_S11_S12_S13_S17_S18_S19_S1C_S1D_jS1E_jS1F_S1F_jjS1H_bEUljE0_EEES10_S11_S12_S19_S1D_S1F_T6_T7_T9_mT8_S1H_bDpT10_ENKUlT_T0_E_clISt17integral_constantIbLb0EES1V_EEDaS1Q_S1R_EUlS1Q_E_NS1_11comp_targetILNS1_3genE5ELNS1_11target_archE942ELNS1_3gpuE9ELNS1_3repE0EEENS1_30default_config_static_selectorELNS0_4arch9wavefront6targetE0EEEvS13_.has_recursion, 0
	.set _ZN7rocprim17ROCPRIM_400000_NS6detail17trampoline_kernelINS0_13select_configILj256ELj13ELNS0_17block_load_methodE3ELS4_3ELS4_3ELNS0_20block_scan_algorithmE0ELj4294967295EEENS1_25partition_config_selectorILNS1_17partition_subalgoE4EjNS0_10empty_typeEbEEZZNS1_14partition_implILS8_4ELb0ES6_15HIP_vector_typeIjLj2EENS0_17counting_iteratorIjlEEPS9_SG_NS0_5tupleIJPjSI_NS0_16reverse_iteratorISI_EEEEENSH_IJSG_SG_SG_EEES9_SI_JZNS1_25segmented_radix_sort_implINS0_14default_configELb1EPK12hip_bfloat16PSP_PKlPlN2at6native12_GLOBAL__N_18offset_tEEE10hipError_tPvRmT1_PNSt15iterator_traitsIS13_E10value_typeET2_T3_PNS14_IS19_E10value_typeET4_jRbjT5_S1F_jjP12ihipStream_tbEUljE_ZNSN_ISO_Lb1ESR_SS_SU_SV_SZ_EES10_S11_S12_S13_S17_S18_S19_S1C_S1D_jS1E_jS1F_S1F_jjS1H_bEUljE0_EEES10_S11_S12_S19_S1D_S1F_T6_T7_T9_mT8_S1H_bDpT10_ENKUlT_T0_E_clISt17integral_constantIbLb0EES1V_EEDaS1Q_S1R_EUlS1Q_E_NS1_11comp_targetILNS1_3genE5ELNS1_11target_archE942ELNS1_3gpuE9ELNS1_3repE0EEENS1_30default_config_static_selectorELNS0_4arch9wavefront6targetE0EEEvS13_.has_indirect_call, 0
	.section	.AMDGPU.csdata,"",@progbits
; Kernel info:
; codeLenInByte = 0
; TotalNumSgprs: 0
; NumVgprs: 0
; ScratchSize: 0
; MemoryBound: 0
; FloatMode: 240
; IeeeMode: 1
; LDSByteSize: 0 bytes/workgroup (compile time only)
; SGPRBlocks: 0
; VGPRBlocks: 0
; NumSGPRsForWavesPerEU: 1
; NumVGPRsForWavesPerEU: 1
; Occupancy: 16
; WaveLimiterHint : 0
; COMPUTE_PGM_RSRC2:SCRATCH_EN: 0
; COMPUTE_PGM_RSRC2:USER_SGPR: 2
; COMPUTE_PGM_RSRC2:TRAP_HANDLER: 0
; COMPUTE_PGM_RSRC2:TGID_X_EN: 1
; COMPUTE_PGM_RSRC2:TGID_Y_EN: 0
; COMPUTE_PGM_RSRC2:TGID_Z_EN: 0
; COMPUTE_PGM_RSRC2:TIDIG_COMP_CNT: 0
	.section	.text._ZN7rocprim17ROCPRIM_400000_NS6detail17trampoline_kernelINS0_13select_configILj256ELj13ELNS0_17block_load_methodE3ELS4_3ELS4_3ELNS0_20block_scan_algorithmE0ELj4294967295EEENS1_25partition_config_selectorILNS1_17partition_subalgoE4EjNS0_10empty_typeEbEEZZNS1_14partition_implILS8_4ELb0ES6_15HIP_vector_typeIjLj2EENS0_17counting_iteratorIjlEEPS9_SG_NS0_5tupleIJPjSI_NS0_16reverse_iteratorISI_EEEEENSH_IJSG_SG_SG_EEES9_SI_JZNS1_25segmented_radix_sort_implINS0_14default_configELb1EPK12hip_bfloat16PSP_PKlPlN2at6native12_GLOBAL__N_18offset_tEEE10hipError_tPvRmT1_PNSt15iterator_traitsIS13_E10value_typeET2_T3_PNS14_IS19_E10value_typeET4_jRbjT5_S1F_jjP12ihipStream_tbEUljE_ZNSN_ISO_Lb1ESR_SS_SU_SV_SZ_EES10_S11_S12_S13_S17_S18_S19_S1C_S1D_jS1E_jS1F_S1F_jjS1H_bEUljE0_EEES10_S11_S12_S19_S1D_S1F_T6_T7_T9_mT8_S1H_bDpT10_ENKUlT_T0_E_clISt17integral_constantIbLb0EES1V_EEDaS1Q_S1R_EUlS1Q_E_NS1_11comp_targetILNS1_3genE4ELNS1_11target_archE910ELNS1_3gpuE8ELNS1_3repE0EEENS1_30default_config_static_selectorELNS0_4arch9wavefront6targetE0EEEvS13_,"axG",@progbits,_ZN7rocprim17ROCPRIM_400000_NS6detail17trampoline_kernelINS0_13select_configILj256ELj13ELNS0_17block_load_methodE3ELS4_3ELS4_3ELNS0_20block_scan_algorithmE0ELj4294967295EEENS1_25partition_config_selectorILNS1_17partition_subalgoE4EjNS0_10empty_typeEbEEZZNS1_14partition_implILS8_4ELb0ES6_15HIP_vector_typeIjLj2EENS0_17counting_iteratorIjlEEPS9_SG_NS0_5tupleIJPjSI_NS0_16reverse_iteratorISI_EEEEENSH_IJSG_SG_SG_EEES9_SI_JZNS1_25segmented_radix_sort_implINS0_14default_configELb1EPK12hip_bfloat16PSP_PKlPlN2at6native12_GLOBAL__N_18offset_tEEE10hipError_tPvRmT1_PNSt15iterator_traitsIS13_E10value_typeET2_T3_PNS14_IS19_E10value_typeET4_jRbjT5_S1F_jjP12ihipStream_tbEUljE_ZNSN_ISO_Lb1ESR_SS_SU_SV_SZ_EES10_S11_S12_S13_S17_S18_S19_S1C_S1D_jS1E_jS1F_S1F_jjS1H_bEUljE0_EEES10_S11_S12_S19_S1D_S1F_T6_T7_T9_mT8_S1H_bDpT10_ENKUlT_T0_E_clISt17integral_constantIbLb0EES1V_EEDaS1Q_S1R_EUlS1Q_E_NS1_11comp_targetILNS1_3genE4ELNS1_11target_archE910ELNS1_3gpuE8ELNS1_3repE0EEENS1_30default_config_static_selectorELNS0_4arch9wavefront6targetE0EEEvS13_,comdat
	.globl	_ZN7rocprim17ROCPRIM_400000_NS6detail17trampoline_kernelINS0_13select_configILj256ELj13ELNS0_17block_load_methodE3ELS4_3ELS4_3ELNS0_20block_scan_algorithmE0ELj4294967295EEENS1_25partition_config_selectorILNS1_17partition_subalgoE4EjNS0_10empty_typeEbEEZZNS1_14partition_implILS8_4ELb0ES6_15HIP_vector_typeIjLj2EENS0_17counting_iteratorIjlEEPS9_SG_NS0_5tupleIJPjSI_NS0_16reverse_iteratorISI_EEEEENSH_IJSG_SG_SG_EEES9_SI_JZNS1_25segmented_radix_sort_implINS0_14default_configELb1EPK12hip_bfloat16PSP_PKlPlN2at6native12_GLOBAL__N_18offset_tEEE10hipError_tPvRmT1_PNSt15iterator_traitsIS13_E10value_typeET2_T3_PNS14_IS19_E10value_typeET4_jRbjT5_S1F_jjP12ihipStream_tbEUljE_ZNSN_ISO_Lb1ESR_SS_SU_SV_SZ_EES10_S11_S12_S13_S17_S18_S19_S1C_S1D_jS1E_jS1F_S1F_jjS1H_bEUljE0_EEES10_S11_S12_S19_S1D_S1F_T6_T7_T9_mT8_S1H_bDpT10_ENKUlT_T0_E_clISt17integral_constantIbLb0EES1V_EEDaS1Q_S1R_EUlS1Q_E_NS1_11comp_targetILNS1_3genE4ELNS1_11target_archE910ELNS1_3gpuE8ELNS1_3repE0EEENS1_30default_config_static_selectorELNS0_4arch9wavefront6targetE0EEEvS13_ ; -- Begin function _ZN7rocprim17ROCPRIM_400000_NS6detail17trampoline_kernelINS0_13select_configILj256ELj13ELNS0_17block_load_methodE3ELS4_3ELS4_3ELNS0_20block_scan_algorithmE0ELj4294967295EEENS1_25partition_config_selectorILNS1_17partition_subalgoE4EjNS0_10empty_typeEbEEZZNS1_14partition_implILS8_4ELb0ES6_15HIP_vector_typeIjLj2EENS0_17counting_iteratorIjlEEPS9_SG_NS0_5tupleIJPjSI_NS0_16reverse_iteratorISI_EEEEENSH_IJSG_SG_SG_EEES9_SI_JZNS1_25segmented_radix_sort_implINS0_14default_configELb1EPK12hip_bfloat16PSP_PKlPlN2at6native12_GLOBAL__N_18offset_tEEE10hipError_tPvRmT1_PNSt15iterator_traitsIS13_E10value_typeET2_T3_PNS14_IS19_E10value_typeET4_jRbjT5_S1F_jjP12ihipStream_tbEUljE_ZNSN_ISO_Lb1ESR_SS_SU_SV_SZ_EES10_S11_S12_S13_S17_S18_S19_S1C_S1D_jS1E_jS1F_S1F_jjS1H_bEUljE0_EEES10_S11_S12_S19_S1D_S1F_T6_T7_T9_mT8_S1H_bDpT10_ENKUlT_T0_E_clISt17integral_constantIbLb0EES1V_EEDaS1Q_S1R_EUlS1Q_E_NS1_11comp_targetILNS1_3genE4ELNS1_11target_archE910ELNS1_3gpuE8ELNS1_3repE0EEENS1_30default_config_static_selectorELNS0_4arch9wavefront6targetE0EEEvS13_
	.p2align	8
	.type	_ZN7rocprim17ROCPRIM_400000_NS6detail17trampoline_kernelINS0_13select_configILj256ELj13ELNS0_17block_load_methodE3ELS4_3ELS4_3ELNS0_20block_scan_algorithmE0ELj4294967295EEENS1_25partition_config_selectorILNS1_17partition_subalgoE4EjNS0_10empty_typeEbEEZZNS1_14partition_implILS8_4ELb0ES6_15HIP_vector_typeIjLj2EENS0_17counting_iteratorIjlEEPS9_SG_NS0_5tupleIJPjSI_NS0_16reverse_iteratorISI_EEEEENSH_IJSG_SG_SG_EEES9_SI_JZNS1_25segmented_radix_sort_implINS0_14default_configELb1EPK12hip_bfloat16PSP_PKlPlN2at6native12_GLOBAL__N_18offset_tEEE10hipError_tPvRmT1_PNSt15iterator_traitsIS13_E10value_typeET2_T3_PNS14_IS19_E10value_typeET4_jRbjT5_S1F_jjP12ihipStream_tbEUljE_ZNSN_ISO_Lb1ESR_SS_SU_SV_SZ_EES10_S11_S12_S13_S17_S18_S19_S1C_S1D_jS1E_jS1F_S1F_jjS1H_bEUljE0_EEES10_S11_S12_S19_S1D_S1F_T6_T7_T9_mT8_S1H_bDpT10_ENKUlT_T0_E_clISt17integral_constantIbLb0EES1V_EEDaS1Q_S1R_EUlS1Q_E_NS1_11comp_targetILNS1_3genE4ELNS1_11target_archE910ELNS1_3gpuE8ELNS1_3repE0EEENS1_30default_config_static_selectorELNS0_4arch9wavefront6targetE0EEEvS13_,@function
_ZN7rocprim17ROCPRIM_400000_NS6detail17trampoline_kernelINS0_13select_configILj256ELj13ELNS0_17block_load_methodE3ELS4_3ELS4_3ELNS0_20block_scan_algorithmE0ELj4294967295EEENS1_25partition_config_selectorILNS1_17partition_subalgoE4EjNS0_10empty_typeEbEEZZNS1_14partition_implILS8_4ELb0ES6_15HIP_vector_typeIjLj2EENS0_17counting_iteratorIjlEEPS9_SG_NS0_5tupleIJPjSI_NS0_16reverse_iteratorISI_EEEEENSH_IJSG_SG_SG_EEES9_SI_JZNS1_25segmented_radix_sort_implINS0_14default_configELb1EPK12hip_bfloat16PSP_PKlPlN2at6native12_GLOBAL__N_18offset_tEEE10hipError_tPvRmT1_PNSt15iterator_traitsIS13_E10value_typeET2_T3_PNS14_IS19_E10value_typeET4_jRbjT5_S1F_jjP12ihipStream_tbEUljE_ZNSN_ISO_Lb1ESR_SS_SU_SV_SZ_EES10_S11_S12_S13_S17_S18_S19_S1C_S1D_jS1E_jS1F_S1F_jjS1H_bEUljE0_EEES10_S11_S12_S19_S1D_S1F_T6_T7_T9_mT8_S1H_bDpT10_ENKUlT_T0_E_clISt17integral_constantIbLb0EES1V_EEDaS1Q_S1R_EUlS1Q_E_NS1_11comp_targetILNS1_3genE4ELNS1_11target_archE910ELNS1_3gpuE8ELNS1_3repE0EEENS1_30default_config_static_selectorELNS0_4arch9wavefront6targetE0EEEvS13_: ; @_ZN7rocprim17ROCPRIM_400000_NS6detail17trampoline_kernelINS0_13select_configILj256ELj13ELNS0_17block_load_methodE3ELS4_3ELS4_3ELNS0_20block_scan_algorithmE0ELj4294967295EEENS1_25partition_config_selectorILNS1_17partition_subalgoE4EjNS0_10empty_typeEbEEZZNS1_14partition_implILS8_4ELb0ES6_15HIP_vector_typeIjLj2EENS0_17counting_iteratorIjlEEPS9_SG_NS0_5tupleIJPjSI_NS0_16reverse_iteratorISI_EEEEENSH_IJSG_SG_SG_EEES9_SI_JZNS1_25segmented_radix_sort_implINS0_14default_configELb1EPK12hip_bfloat16PSP_PKlPlN2at6native12_GLOBAL__N_18offset_tEEE10hipError_tPvRmT1_PNSt15iterator_traitsIS13_E10value_typeET2_T3_PNS14_IS19_E10value_typeET4_jRbjT5_S1F_jjP12ihipStream_tbEUljE_ZNSN_ISO_Lb1ESR_SS_SU_SV_SZ_EES10_S11_S12_S13_S17_S18_S19_S1C_S1D_jS1E_jS1F_S1F_jjS1H_bEUljE0_EEES10_S11_S12_S19_S1D_S1F_T6_T7_T9_mT8_S1H_bDpT10_ENKUlT_T0_E_clISt17integral_constantIbLb0EES1V_EEDaS1Q_S1R_EUlS1Q_E_NS1_11comp_targetILNS1_3genE4ELNS1_11target_archE910ELNS1_3gpuE8ELNS1_3repE0EEENS1_30default_config_static_selectorELNS0_4arch9wavefront6targetE0EEEvS13_
; %bb.0:
	.section	.rodata,"a",@progbits
	.p2align	6, 0x0
	.amdhsa_kernel _ZN7rocprim17ROCPRIM_400000_NS6detail17trampoline_kernelINS0_13select_configILj256ELj13ELNS0_17block_load_methodE3ELS4_3ELS4_3ELNS0_20block_scan_algorithmE0ELj4294967295EEENS1_25partition_config_selectorILNS1_17partition_subalgoE4EjNS0_10empty_typeEbEEZZNS1_14partition_implILS8_4ELb0ES6_15HIP_vector_typeIjLj2EENS0_17counting_iteratorIjlEEPS9_SG_NS0_5tupleIJPjSI_NS0_16reverse_iteratorISI_EEEEENSH_IJSG_SG_SG_EEES9_SI_JZNS1_25segmented_radix_sort_implINS0_14default_configELb1EPK12hip_bfloat16PSP_PKlPlN2at6native12_GLOBAL__N_18offset_tEEE10hipError_tPvRmT1_PNSt15iterator_traitsIS13_E10value_typeET2_T3_PNS14_IS19_E10value_typeET4_jRbjT5_S1F_jjP12ihipStream_tbEUljE_ZNSN_ISO_Lb1ESR_SS_SU_SV_SZ_EES10_S11_S12_S13_S17_S18_S19_S1C_S1D_jS1E_jS1F_S1F_jjS1H_bEUljE0_EEES10_S11_S12_S19_S1D_S1F_T6_T7_T9_mT8_S1H_bDpT10_ENKUlT_T0_E_clISt17integral_constantIbLb0EES1V_EEDaS1Q_S1R_EUlS1Q_E_NS1_11comp_targetILNS1_3genE4ELNS1_11target_archE910ELNS1_3gpuE8ELNS1_3repE0EEENS1_30default_config_static_selectorELNS0_4arch9wavefront6targetE0EEEvS13_
		.amdhsa_group_segment_fixed_size 0
		.amdhsa_private_segment_fixed_size 0
		.amdhsa_kernarg_size 176
		.amdhsa_user_sgpr_count 2
		.amdhsa_user_sgpr_dispatch_ptr 0
		.amdhsa_user_sgpr_queue_ptr 0
		.amdhsa_user_sgpr_kernarg_segment_ptr 1
		.amdhsa_user_sgpr_dispatch_id 0
		.amdhsa_user_sgpr_private_segment_size 0
		.amdhsa_wavefront_size32 1
		.amdhsa_uses_dynamic_stack 0
		.amdhsa_enable_private_segment 0
		.amdhsa_system_sgpr_workgroup_id_x 1
		.amdhsa_system_sgpr_workgroup_id_y 0
		.amdhsa_system_sgpr_workgroup_id_z 0
		.amdhsa_system_sgpr_workgroup_info 0
		.amdhsa_system_vgpr_workitem_id 0
		.amdhsa_next_free_vgpr 1
		.amdhsa_next_free_sgpr 1
		.amdhsa_reserve_vcc 0
		.amdhsa_float_round_mode_32 0
		.amdhsa_float_round_mode_16_64 0
		.amdhsa_float_denorm_mode_32 3
		.amdhsa_float_denorm_mode_16_64 3
		.amdhsa_fp16_overflow 0
		.amdhsa_workgroup_processor_mode 1
		.amdhsa_memory_ordered 1
		.amdhsa_forward_progress 1
		.amdhsa_inst_pref_size 0
		.amdhsa_round_robin_scheduling 0
		.amdhsa_exception_fp_ieee_invalid_op 0
		.amdhsa_exception_fp_denorm_src 0
		.amdhsa_exception_fp_ieee_div_zero 0
		.amdhsa_exception_fp_ieee_overflow 0
		.amdhsa_exception_fp_ieee_underflow 0
		.amdhsa_exception_fp_ieee_inexact 0
		.amdhsa_exception_int_div_zero 0
	.end_amdhsa_kernel
	.section	.text._ZN7rocprim17ROCPRIM_400000_NS6detail17trampoline_kernelINS0_13select_configILj256ELj13ELNS0_17block_load_methodE3ELS4_3ELS4_3ELNS0_20block_scan_algorithmE0ELj4294967295EEENS1_25partition_config_selectorILNS1_17partition_subalgoE4EjNS0_10empty_typeEbEEZZNS1_14partition_implILS8_4ELb0ES6_15HIP_vector_typeIjLj2EENS0_17counting_iteratorIjlEEPS9_SG_NS0_5tupleIJPjSI_NS0_16reverse_iteratorISI_EEEEENSH_IJSG_SG_SG_EEES9_SI_JZNS1_25segmented_radix_sort_implINS0_14default_configELb1EPK12hip_bfloat16PSP_PKlPlN2at6native12_GLOBAL__N_18offset_tEEE10hipError_tPvRmT1_PNSt15iterator_traitsIS13_E10value_typeET2_T3_PNS14_IS19_E10value_typeET4_jRbjT5_S1F_jjP12ihipStream_tbEUljE_ZNSN_ISO_Lb1ESR_SS_SU_SV_SZ_EES10_S11_S12_S13_S17_S18_S19_S1C_S1D_jS1E_jS1F_S1F_jjS1H_bEUljE0_EEES10_S11_S12_S19_S1D_S1F_T6_T7_T9_mT8_S1H_bDpT10_ENKUlT_T0_E_clISt17integral_constantIbLb0EES1V_EEDaS1Q_S1R_EUlS1Q_E_NS1_11comp_targetILNS1_3genE4ELNS1_11target_archE910ELNS1_3gpuE8ELNS1_3repE0EEENS1_30default_config_static_selectorELNS0_4arch9wavefront6targetE0EEEvS13_,"axG",@progbits,_ZN7rocprim17ROCPRIM_400000_NS6detail17trampoline_kernelINS0_13select_configILj256ELj13ELNS0_17block_load_methodE3ELS4_3ELS4_3ELNS0_20block_scan_algorithmE0ELj4294967295EEENS1_25partition_config_selectorILNS1_17partition_subalgoE4EjNS0_10empty_typeEbEEZZNS1_14partition_implILS8_4ELb0ES6_15HIP_vector_typeIjLj2EENS0_17counting_iteratorIjlEEPS9_SG_NS0_5tupleIJPjSI_NS0_16reverse_iteratorISI_EEEEENSH_IJSG_SG_SG_EEES9_SI_JZNS1_25segmented_radix_sort_implINS0_14default_configELb1EPK12hip_bfloat16PSP_PKlPlN2at6native12_GLOBAL__N_18offset_tEEE10hipError_tPvRmT1_PNSt15iterator_traitsIS13_E10value_typeET2_T3_PNS14_IS19_E10value_typeET4_jRbjT5_S1F_jjP12ihipStream_tbEUljE_ZNSN_ISO_Lb1ESR_SS_SU_SV_SZ_EES10_S11_S12_S13_S17_S18_S19_S1C_S1D_jS1E_jS1F_S1F_jjS1H_bEUljE0_EEES10_S11_S12_S19_S1D_S1F_T6_T7_T9_mT8_S1H_bDpT10_ENKUlT_T0_E_clISt17integral_constantIbLb0EES1V_EEDaS1Q_S1R_EUlS1Q_E_NS1_11comp_targetILNS1_3genE4ELNS1_11target_archE910ELNS1_3gpuE8ELNS1_3repE0EEENS1_30default_config_static_selectorELNS0_4arch9wavefront6targetE0EEEvS13_,comdat
.Lfunc_end1884:
	.size	_ZN7rocprim17ROCPRIM_400000_NS6detail17trampoline_kernelINS0_13select_configILj256ELj13ELNS0_17block_load_methodE3ELS4_3ELS4_3ELNS0_20block_scan_algorithmE0ELj4294967295EEENS1_25partition_config_selectorILNS1_17partition_subalgoE4EjNS0_10empty_typeEbEEZZNS1_14partition_implILS8_4ELb0ES6_15HIP_vector_typeIjLj2EENS0_17counting_iteratorIjlEEPS9_SG_NS0_5tupleIJPjSI_NS0_16reverse_iteratorISI_EEEEENSH_IJSG_SG_SG_EEES9_SI_JZNS1_25segmented_radix_sort_implINS0_14default_configELb1EPK12hip_bfloat16PSP_PKlPlN2at6native12_GLOBAL__N_18offset_tEEE10hipError_tPvRmT1_PNSt15iterator_traitsIS13_E10value_typeET2_T3_PNS14_IS19_E10value_typeET4_jRbjT5_S1F_jjP12ihipStream_tbEUljE_ZNSN_ISO_Lb1ESR_SS_SU_SV_SZ_EES10_S11_S12_S13_S17_S18_S19_S1C_S1D_jS1E_jS1F_S1F_jjS1H_bEUljE0_EEES10_S11_S12_S19_S1D_S1F_T6_T7_T9_mT8_S1H_bDpT10_ENKUlT_T0_E_clISt17integral_constantIbLb0EES1V_EEDaS1Q_S1R_EUlS1Q_E_NS1_11comp_targetILNS1_3genE4ELNS1_11target_archE910ELNS1_3gpuE8ELNS1_3repE0EEENS1_30default_config_static_selectorELNS0_4arch9wavefront6targetE0EEEvS13_, .Lfunc_end1884-_ZN7rocprim17ROCPRIM_400000_NS6detail17trampoline_kernelINS0_13select_configILj256ELj13ELNS0_17block_load_methodE3ELS4_3ELS4_3ELNS0_20block_scan_algorithmE0ELj4294967295EEENS1_25partition_config_selectorILNS1_17partition_subalgoE4EjNS0_10empty_typeEbEEZZNS1_14partition_implILS8_4ELb0ES6_15HIP_vector_typeIjLj2EENS0_17counting_iteratorIjlEEPS9_SG_NS0_5tupleIJPjSI_NS0_16reverse_iteratorISI_EEEEENSH_IJSG_SG_SG_EEES9_SI_JZNS1_25segmented_radix_sort_implINS0_14default_configELb1EPK12hip_bfloat16PSP_PKlPlN2at6native12_GLOBAL__N_18offset_tEEE10hipError_tPvRmT1_PNSt15iterator_traitsIS13_E10value_typeET2_T3_PNS14_IS19_E10value_typeET4_jRbjT5_S1F_jjP12ihipStream_tbEUljE_ZNSN_ISO_Lb1ESR_SS_SU_SV_SZ_EES10_S11_S12_S13_S17_S18_S19_S1C_S1D_jS1E_jS1F_S1F_jjS1H_bEUljE0_EEES10_S11_S12_S19_S1D_S1F_T6_T7_T9_mT8_S1H_bDpT10_ENKUlT_T0_E_clISt17integral_constantIbLb0EES1V_EEDaS1Q_S1R_EUlS1Q_E_NS1_11comp_targetILNS1_3genE4ELNS1_11target_archE910ELNS1_3gpuE8ELNS1_3repE0EEENS1_30default_config_static_selectorELNS0_4arch9wavefront6targetE0EEEvS13_
                                        ; -- End function
	.set _ZN7rocprim17ROCPRIM_400000_NS6detail17trampoline_kernelINS0_13select_configILj256ELj13ELNS0_17block_load_methodE3ELS4_3ELS4_3ELNS0_20block_scan_algorithmE0ELj4294967295EEENS1_25partition_config_selectorILNS1_17partition_subalgoE4EjNS0_10empty_typeEbEEZZNS1_14partition_implILS8_4ELb0ES6_15HIP_vector_typeIjLj2EENS0_17counting_iteratorIjlEEPS9_SG_NS0_5tupleIJPjSI_NS0_16reverse_iteratorISI_EEEEENSH_IJSG_SG_SG_EEES9_SI_JZNS1_25segmented_radix_sort_implINS0_14default_configELb1EPK12hip_bfloat16PSP_PKlPlN2at6native12_GLOBAL__N_18offset_tEEE10hipError_tPvRmT1_PNSt15iterator_traitsIS13_E10value_typeET2_T3_PNS14_IS19_E10value_typeET4_jRbjT5_S1F_jjP12ihipStream_tbEUljE_ZNSN_ISO_Lb1ESR_SS_SU_SV_SZ_EES10_S11_S12_S13_S17_S18_S19_S1C_S1D_jS1E_jS1F_S1F_jjS1H_bEUljE0_EEES10_S11_S12_S19_S1D_S1F_T6_T7_T9_mT8_S1H_bDpT10_ENKUlT_T0_E_clISt17integral_constantIbLb0EES1V_EEDaS1Q_S1R_EUlS1Q_E_NS1_11comp_targetILNS1_3genE4ELNS1_11target_archE910ELNS1_3gpuE8ELNS1_3repE0EEENS1_30default_config_static_selectorELNS0_4arch9wavefront6targetE0EEEvS13_.num_vgpr, 0
	.set _ZN7rocprim17ROCPRIM_400000_NS6detail17trampoline_kernelINS0_13select_configILj256ELj13ELNS0_17block_load_methodE3ELS4_3ELS4_3ELNS0_20block_scan_algorithmE0ELj4294967295EEENS1_25partition_config_selectorILNS1_17partition_subalgoE4EjNS0_10empty_typeEbEEZZNS1_14partition_implILS8_4ELb0ES6_15HIP_vector_typeIjLj2EENS0_17counting_iteratorIjlEEPS9_SG_NS0_5tupleIJPjSI_NS0_16reverse_iteratorISI_EEEEENSH_IJSG_SG_SG_EEES9_SI_JZNS1_25segmented_radix_sort_implINS0_14default_configELb1EPK12hip_bfloat16PSP_PKlPlN2at6native12_GLOBAL__N_18offset_tEEE10hipError_tPvRmT1_PNSt15iterator_traitsIS13_E10value_typeET2_T3_PNS14_IS19_E10value_typeET4_jRbjT5_S1F_jjP12ihipStream_tbEUljE_ZNSN_ISO_Lb1ESR_SS_SU_SV_SZ_EES10_S11_S12_S13_S17_S18_S19_S1C_S1D_jS1E_jS1F_S1F_jjS1H_bEUljE0_EEES10_S11_S12_S19_S1D_S1F_T6_T7_T9_mT8_S1H_bDpT10_ENKUlT_T0_E_clISt17integral_constantIbLb0EES1V_EEDaS1Q_S1R_EUlS1Q_E_NS1_11comp_targetILNS1_3genE4ELNS1_11target_archE910ELNS1_3gpuE8ELNS1_3repE0EEENS1_30default_config_static_selectorELNS0_4arch9wavefront6targetE0EEEvS13_.num_agpr, 0
	.set _ZN7rocprim17ROCPRIM_400000_NS6detail17trampoline_kernelINS0_13select_configILj256ELj13ELNS0_17block_load_methodE3ELS4_3ELS4_3ELNS0_20block_scan_algorithmE0ELj4294967295EEENS1_25partition_config_selectorILNS1_17partition_subalgoE4EjNS0_10empty_typeEbEEZZNS1_14partition_implILS8_4ELb0ES6_15HIP_vector_typeIjLj2EENS0_17counting_iteratorIjlEEPS9_SG_NS0_5tupleIJPjSI_NS0_16reverse_iteratorISI_EEEEENSH_IJSG_SG_SG_EEES9_SI_JZNS1_25segmented_radix_sort_implINS0_14default_configELb1EPK12hip_bfloat16PSP_PKlPlN2at6native12_GLOBAL__N_18offset_tEEE10hipError_tPvRmT1_PNSt15iterator_traitsIS13_E10value_typeET2_T3_PNS14_IS19_E10value_typeET4_jRbjT5_S1F_jjP12ihipStream_tbEUljE_ZNSN_ISO_Lb1ESR_SS_SU_SV_SZ_EES10_S11_S12_S13_S17_S18_S19_S1C_S1D_jS1E_jS1F_S1F_jjS1H_bEUljE0_EEES10_S11_S12_S19_S1D_S1F_T6_T7_T9_mT8_S1H_bDpT10_ENKUlT_T0_E_clISt17integral_constantIbLb0EES1V_EEDaS1Q_S1R_EUlS1Q_E_NS1_11comp_targetILNS1_3genE4ELNS1_11target_archE910ELNS1_3gpuE8ELNS1_3repE0EEENS1_30default_config_static_selectorELNS0_4arch9wavefront6targetE0EEEvS13_.numbered_sgpr, 0
	.set _ZN7rocprim17ROCPRIM_400000_NS6detail17trampoline_kernelINS0_13select_configILj256ELj13ELNS0_17block_load_methodE3ELS4_3ELS4_3ELNS0_20block_scan_algorithmE0ELj4294967295EEENS1_25partition_config_selectorILNS1_17partition_subalgoE4EjNS0_10empty_typeEbEEZZNS1_14partition_implILS8_4ELb0ES6_15HIP_vector_typeIjLj2EENS0_17counting_iteratorIjlEEPS9_SG_NS0_5tupleIJPjSI_NS0_16reverse_iteratorISI_EEEEENSH_IJSG_SG_SG_EEES9_SI_JZNS1_25segmented_radix_sort_implINS0_14default_configELb1EPK12hip_bfloat16PSP_PKlPlN2at6native12_GLOBAL__N_18offset_tEEE10hipError_tPvRmT1_PNSt15iterator_traitsIS13_E10value_typeET2_T3_PNS14_IS19_E10value_typeET4_jRbjT5_S1F_jjP12ihipStream_tbEUljE_ZNSN_ISO_Lb1ESR_SS_SU_SV_SZ_EES10_S11_S12_S13_S17_S18_S19_S1C_S1D_jS1E_jS1F_S1F_jjS1H_bEUljE0_EEES10_S11_S12_S19_S1D_S1F_T6_T7_T9_mT8_S1H_bDpT10_ENKUlT_T0_E_clISt17integral_constantIbLb0EES1V_EEDaS1Q_S1R_EUlS1Q_E_NS1_11comp_targetILNS1_3genE4ELNS1_11target_archE910ELNS1_3gpuE8ELNS1_3repE0EEENS1_30default_config_static_selectorELNS0_4arch9wavefront6targetE0EEEvS13_.num_named_barrier, 0
	.set _ZN7rocprim17ROCPRIM_400000_NS6detail17trampoline_kernelINS0_13select_configILj256ELj13ELNS0_17block_load_methodE3ELS4_3ELS4_3ELNS0_20block_scan_algorithmE0ELj4294967295EEENS1_25partition_config_selectorILNS1_17partition_subalgoE4EjNS0_10empty_typeEbEEZZNS1_14partition_implILS8_4ELb0ES6_15HIP_vector_typeIjLj2EENS0_17counting_iteratorIjlEEPS9_SG_NS0_5tupleIJPjSI_NS0_16reverse_iteratorISI_EEEEENSH_IJSG_SG_SG_EEES9_SI_JZNS1_25segmented_radix_sort_implINS0_14default_configELb1EPK12hip_bfloat16PSP_PKlPlN2at6native12_GLOBAL__N_18offset_tEEE10hipError_tPvRmT1_PNSt15iterator_traitsIS13_E10value_typeET2_T3_PNS14_IS19_E10value_typeET4_jRbjT5_S1F_jjP12ihipStream_tbEUljE_ZNSN_ISO_Lb1ESR_SS_SU_SV_SZ_EES10_S11_S12_S13_S17_S18_S19_S1C_S1D_jS1E_jS1F_S1F_jjS1H_bEUljE0_EEES10_S11_S12_S19_S1D_S1F_T6_T7_T9_mT8_S1H_bDpT10_ENKUlT_T0_E_clISt17integral_constantIbLb0EES1V_EEDaS1Q_S1R_EUlS1Q_E_NS1_11comp_targetILNS1_3genE4ELNS1_11target_archE910ELNS1_3gpuE8ELNS1_3repE0EEENS1_30default_config_static_selectorELNS0_4arch9wavefront6targetE0EEEvS13_.private_seg_size, 0
	.set _ZN7rocprim17ROCPRIM_400000_NS6detail17trampoline_kernelINS0_13select_configILj256ELj13ELNS0_17block_load_methodE3ELS4_3ELS4_3ELNS0_20block_scan_algorithmE0ELj4294967295EEENS1_25partition_config_selectorILNS1_17partition_subalgoE4EjNS0_10empty_typeEbEEZZNS1_14partition_implILS8_4ELb0ES6_15HIP_vector_typeIjLj2EENS0_17counting_iteratorIjlEEPS9_SG_NS0_5tupleIJPjSI_NS0_16reverse_iteratorISI_EEEEENSH_IJSG_SG_SG_EEES9_SI_JZNS1_25segmented_radix_sort_implINS0_14default_configELb1EPK12hip_bfloat16PSP_PKlPlN2at6native12_GLOBAL__N_18offset_tEEE10hipError_tPvRmT1_PNSt15iterator_traitsIS13_E10value_typeET2_T3_PNS14_IS19_E10value_typeET4_jRbjT5_S1F_jjP12ihipStream_tbEUljE_ZNSN_ISO_Lb1ESR_SS_SU_SV_SZ_EES10_S11_S12_S13_S17_S18_S19_S1C_S1D_jS1E_jS1F_S1F_jjS1H_bEUljE0_EEES10_S11_S12_S19_S1D_S1F_T6_T7_T9_mT8_S1H_bDpT10_ENKUlT_T0_E_clISt17integral_constantIbLb0EES1V_EEDaS1Q_S1R_EUlS1Q_E_NS1_11comp_targetILNS1_3genE4ELNS1_11target_archE910ELNS1_3gpuE8ELNS1_3repE0EEENS1_30default_config_static_selectorELNS0_4arch9wavefront6targetE0EEEvS13_.uses_vcc, 0
	.set _ZN7rocprim17ROCPRIM_400000_NS6detail17trampoline_kernelINS0_13select_configILj256ELj13ELNS0_17block_load_methodE3ELS4_3ELS4_3ELNS0_20block_scan_algorithmE0ELj4294967295EEENS1_25partition_config_selectorILNS1_17partition_subalgoE4EjNS0_10empty_typeEbEEZZNS1_14partition_implILS8_4ELb0ES6_15HIP_vector_typeIjLj2EENS0_17counting_iteratorIjlEEPS9_SG_NS0_5tupleIJPjSI_NS0_16reverse_iteratorISI_EEEEENSH_IJSG_SG_SG_EEES9_SI_JZNS1_25segmented_radix_sort_implINS0_14default_configELb1EPK12hip_bfloat16PSP_PKlPlN2at6native12_GLOBAL__N_18offset_tEEE10hipError_tPvRmT1_PNSt15iterator_traitsIS13_E10value_typeET2_T3_PNS14_IS19_E10value_typeET4_jRbjT5_S1F_jjP12ihipStream_tbEUljE_ZNSN_ISO_Lb1ESR_SS_SU_SV_SZ_EES10_S11_S12_S13_S17_S18_S19_S1C_S1D_jS1E_jS1F_S1F_jjS1H_bEUljE0_EEES10_S11_S12_S19_S1D_S1F_T6_T7_T9_mT8_S1H_bDpT10_ENKUlT_T0_E_clISt17integral_constantIbLb0EES1V_EEDaS1Q_S1R_EUlS1Q_E_NS1_11comp_targetILNS1_3genE4ELNS1_11target_archE910ELNS1_3gpuE8ELNS1_3repE0EEENS1_30default_config_static_selectorELNS0_4arch9wavefront6targetE0EEEvS13_.uses_flat_scratch, 0
	.set _ZN7rocprim17ROCPRIM_400000_NS6detail17trampoline_kernelINS0_13select_configILj256ELj13ELNS0_17block_load_methodE3ELS4_3ELS4_3ELNS0_20block_scan_algorithmE0ELj4294967295EEENS1_25partition_config_selectorILNS1_17partition_subalgoE4EjNS0_10empty_typeEbEEZZNS1_14partition_implILS8_4ELb0ES6_15HIP_vector_typeIjLj2EENS0_17counting_iteratorIjlEEPS9_SG_NS0_5tupleIJPjSI_NS0_16reverse_iteratorISI_EEEEENSH_IJSG_SG_SG_EEES9_SI_JZNS1_25segmented_radix_sort_implINS0_14default_configELb1EPK12hip_bfloat16PSP_PKlPlN2at6native12_GLOBAL__N_18offset_tEEE10hipError_tPvRmT1_PNSt15iterator_traitsIS13_E10value_typeET2_T3_PNS14_IS19_E10value_typeET4_jRbjT5_S1F_jjP12ihipStream_tbEUljE_ZNSN_ISO_Lb1ESR_SS_SU_SV_SZ_EES10_S11_S12_S13_S17_S18_S19_S1C_S1D_jS1E_jS1F_S1F_jjS1H_bEUljE0_EEES10_S11_S12_S19_S1D_S1F_T6_T7_T9_mT8_S1H_bDpT10_ENKUlT_T0_E_clISt17integral_constantIbLb0EES1V_EEDaS1Q_S1R_EUlS1Q_E_NS1_11comp_targetILNS1_3genE4ELNS1_11target_archE910ELNS1_3gpuE8ELNS1_3repE0EEENS1_30default_config_static_selectorELNS0_4arch9wavefront6targetE0EEEvS13_.has_dyn_sized_stack, 0
	.set _ZN7rocprim17ROCPRIM_400000_NS6detail17trampoline_kernelINS0_13select_configILj256ELj13ELNS0_17block_load_methodE3ELS4_3ELS4_3ELNS0_20block_scan_algorithmE0ELj4294967295EEENS1_25partition_config_selectorILNS1_17partition_subalgoE4EjNS0_10empty_typeEbEEZZNS1_14partition_implILS8_4ELb0ES6_15HIP_vector_typeIjLj2EENS0_17counting_iteratorIjlEEPS9_SG_NS0_5tupleIJPjSI_NS0_16reverse_iteratorISI_EEEEENSH_IJSG_SG_SG_EEES9_SI_JZNS1_25segmented_radix_sort_implINS0_14default_configELb1EPK12hip_bfloat16PSP_PKlPlN2at6native12_GLOBAL__N_18offset_tEEE10hipError_tPvRmT1_PNSt15iterator_traitsIS13_E10value_typeET2_T3_PNS14_IS19_E10value_typeET4_jRbjT5_S1F_jjP12ihipStream_tbEUljE_ZNSN_ISO_Lb1ESR_SS_SU_SV_SZ_EES10_S11_S12_S13_S17_S18_S19_S1C_S1D_jS1E_jS1F_S1F_jjS1H_bEUljE0_EEES10_S11_S12_S19_S1D_S1F_T6_T7_T9_mT8_S1H_bDpT10_ENKUlT_T0_E_clISt17integral_constantIbLb0EES1V_EEDaS1Q_S1R_EUlS1Q_E_NS1_11comp_targetILNS1_3genE4ELNS1_11target_archE910ELNS1_3gpuE8ELNS1_3repE0EEENS1_30default_config_static_selectorELNS0_4arch9wavefront6targetE0EEEvS13_.has_recursion, 0
	.set _ZN7rocprim17ROCPRIM_400000_NS6detail17trampoline_kernelINS0_13select_configILj256ELj13ELNS0_17block_load_methodE3ELS4_3ELS4_3ELNS0_20block_scan_algorithmE0ELj4294967295EEENS1_25partition_config_selectorILNS1_17partition_subalgoE4EjNS0_10empty_typeEbEEZZNS1_14partition_implILS8_4ELb0ES6_15HIP_vector_typeIjLj2EENS0_17counting_iteratorIjlEEPS9_SG_NS0_5tupleIJPjSI_NS0_16reverse_iteratorISI_EEEEENSH_IJSG_SG_SG_EEES9_SI_JZNS1_25segmented_radix_sort_implINS0_14default_configELb1EPK12hip_bfloat16PSP_PKlPlN2at6native12_GLOBAL__N_18offset_tEEE10hipError_tPvRmT1_PNSt15iterator_traitsIS13_E10value_typeET2_T3_PNS14_IS19_E10value_typeET4_jRbjT5_S1F_jjP12ihipStream_tbEUljE_ZNSN_ISO_Lb1ESR_SS_SU_SV_SZ_EES10_S11_S12_S13_S17_S18_S19_S1C_S1D_jS1E_jS1F_S1F_jjS1H_bEUljE0_EEES10_S11_S12_S19_S1D_S1F_T6_T7_T9_mT8_S1H_bDpT10_ENKUlT_T0_E_clISt17integral_constantIbLb0EES1V_EEDaS1Q_S1R_EUlS1Q_E_NS1_11comp_targetILNS1_3genE4ELNS1_11target_archE910ELNS1_3gpuE8ELNS1_3repE0EEENS1_30default_config_static_selectorELNS0_4arch9wavefront6targetE0EEEvS13_.has_indirect_call, 0
	.section	.AMDGPU.csdata,"",@progbits
; Kernel info:
; codeLenInByte = 0
; TotalNumSgprs: 0
; NumVgprs: 0
; ScratchSize: 0
; MemoryBound: 0
; FloatMode: 240
; IeeeMode: 1
; LDSByteSize: 0 bytes/workgroup (compile time only)
; SGPRBlocks: 0
; VGPRBlocks: 0
; NumSGPRsForWavesPerEU: 1
; NumVGPRsForWavesPerEU: 1
; Occupancy: 16
; WaveLimiterHint : 0
; COMPUTE_PGM_RSRC2:SCRATCH_EN: 0
; COMPUTE_PGM_RSRC2:USER_SGPR: 2
; COMPUTE_PGM_RSRC2:TRAP_HANDLER: 0
; COMPUTE_PGM_RSRC2:TGID_X_EN: 1
; COMPUTE_PGM_RSRC2:TGID_Y_EN: 0
; COMPUTE_PGM_RSRC2:TGID_Z_EN: 0
; COMPUTE_PGM_RSRC2:TIDIG_COMP_CNT: 0
	.section	.text._ZN7rocprim17ROCPRIM_400000_NS6detail17trampoline_kernelINS0_13select_configILj256ELj13ELNS0_17block_load_methodE3ELS4_3ELS4_3ELNS0_20block_scan_algorithmE0ELj4294967295EEENS1_25partition_config_selectorILNS1_17partition_subalgoE4EjNS0_10empty_typeEbEEZZNS1_14partition_implILS8_4ELb0ES6_15HIP_vector_typeIjLj2EENS0_17counting_iteratorIjlEEPS9_SG_NS0_5tupleIJPjSI_NS0_16reverse_iteratorISI_EEEEENSH_IJSG_SG_SG_EEES9_SI_JZNS1_25segmented_radix_sort_implINS0_14default_configELb1EPK12hip_bfloat16PSP_PKlPlN2at6native12_GLOBAL__N_18offset_tEEE10hipError_tPvRmT1_PNSt15iterator_traitsIS13_E10value_typeET2_T3_PNS14_IS19_E10value_typeET4_jRbjT5_S1F_jjP12ihipStream_tbEUljE_ZNSN_ISO_Lb1ESR_SS_SU_SV_SZ_EES10_S11_S12_S13_S17_S18_S19_S1C_S1D_jS1E_jS1F_S1F_jjS1H_bEUljE0_EEES10_S11_S12_S19_S1D_S1F_T6_T7_T9_mT8_S1H_bDpT10_ENKUlT_T0_E_clISt17integral_constantIbLb0EES1V_EEDaS1Q_S1R_EUlS1Q_E_NS1_11comp_targetILNS1_3genE3ELNS1_11target_archE908ELNS1_3gpuE7ELNS1_3repE0EEENS1_30default_config_static_selectorELNS0_4arch9wavefront6targetE0EEEvS13_,"axG",@progbits,_ZN7rocprim17ROCPRIM_400000_NS6detail17trampoline_kernelINS0_13select_configILj256ELj13ELNS0_17block_load_methodE3ELS4_3ELS4_3ELNS0_20block_scan_algorithmE0ELj4294967295EEENS1_25partition_config_selectorILNS1_17partition_subalgoE4EjNS0_10empty_typeEbEEZZNS1_14partition_implILS8_4ELb0ES6_15HIP_vector_typeIjLj2EENS0_17counting_iteratorIjlEEPS9_SG_NS0_5tupleIJPjSI_NS0_16reverse_iteratorISI_EEEEENSH_IJSG_SG_SG_EEES9_SI_JZNS1_25segmented_radix_sort_implINS0_14default_configELb1EPK12hip_bfloat16PSP_PKlPlN2at6native12_GLOBAL__N_18offset_tEEE10hipError_tPvRmT1_PNSt15iterator_traitsIS13_E10value_typeET2_T3_PNS14_IS19_E10value_typeET4_jRbjT5_S1F_jjP12ihipStream_tbEUljE_ZNSN_ISO_Lb1ESR_SS_SU_SV_SZ_EES10_S11_S12_S13_S17_S18_S19_S1C_S1D_jS1E_jS1F_S1F_jjS1H_bEUljE0_EEES10_S11_S12_S19_S1D_S1F_T6_T7_T9_mT8_S1H_bDpT10_ENKUlT_T0_E_clISt17integral_constantIbLb0EES1V_EEDaS1Q_S1R_EUlS1Q_E_NS1_11comp_targetILNS1_3genE3ELNS1_11target_archE908ELNS1_3gpuE7ELNS1_3repE0EEENS1_30default_config_static_selectorELNS0_4arch9wavefront6targetE0EEEvS13_,comdat
	.globl	_ZN7rocprim17ROCPRIM_400000_NS6detail17trampoline_kernelINS0_13select_configILj256ELj13ELNS0_17block_load_methodE3ELS4_3ELS4_3ELNS0_20block_scan_algorithmE0ELj4294967295EEENS1_25partition_config_selectorILNS1_17partition_subalgoE4EjNS0_10empty_typeEbEEZZNS1_14partition_implILS8_4ELb0ES6_15HIP_vector_typeIjLj2EENS0_17counting_iteratorIjlEEPS9_SG_NS0_5tupleIJPjSI_NS0_16reverse_iteratorISI_EEEEENSH_IJSG_SG_SG_EEES9_SI_JZNS1_25segmented_radix_sort_implINS0_14default_configELb1EPK12hip_bfloat16PSP_PKlPlN2at6native12_GLOBAL__N_18offset_tEEE10hipError_tPvRmT1_PNSt15iterator_traitsIS13_E10value_typeET2_T3_PNS14_IS19_E10value_typeET4_jRbjT5_S1F_jjP12ihipStream_tbEUljE_ZNSN_ISO_Lb1ESR_SS_SU_SV_SZ_EES10_S11_S12_S13_S17_S18_S19_S1C_S1D_jS1E_jS1F_S1F_jjS1H_bEUljE0_EEES10_S11_S12_S19_S1D_S1F_T6_T7_T9_mT8_S1H_bDpT10_ENKUlT_T0_E_clISt17integral_constantIbLb0EES1V_EEDaS1Q_S1R_EUlS1Q_E_NS1_11comp_targetILNS1_3genE3ELNS1_11target_archE908ELNS1_3gpuE7ELNS1_3repE0EEENS1_30default_config_static_selectorELNS0_4arch9wavefront6targetE0EEEvS13_ ; -- Begin function _ZN7rocprim17ROCPRIM_400000_NS6detail17trampoline_kernelINS0_13select_configILj256ELj13ELNS0_17block_load_methodE3ELS4_3ELS4_3ELNS0_20block_scan_algorithmE0ELj4294967295EEENS1_25partition_config_selectorILNS1_17partition_subalgoE4EjNS0_10empty_typeEbEEZZNS1_14partition_implILS8_4ELb0ES6_15HIP_vector_typeIjLj2EENS0_17counting_iteratorIjlEEPS9_SG_NS0_5tupleIJPjSI_NS0_16reverse_iteratorISI_EEEEENSH_IJSG_SG_SG_EEES9_SI_JZNS1_25segmented_radix_sort_implINS0_14default_configELb1EPK12hip_bfloat16PSP_PKlPlN2at6native12_GLOBAL__N_18offset_tEEE10hipError_tPvRmT1_PNSt15iterator_traitsIS13_E10value_typeET2_T3_PNS14_IS19_E10value_typeET4_jRbjT5_S1F_jjP12ihipStream_tbEUljE_ZNSN_ISO_Lb1ESR_SS_SU_SV_SZ_EES10_S11_S12_S13_S17_S18_S19_S1C_S1D_jS1E_jS1F_S1F_jjS1H_bEUljE0_EEES10_S11_S12_S19_S1D_S1F_T6_T7_T9_mT8_S1H_bDpT10_ENKUlT_T0_E_clISt17integral_constantIbLb0EES1V_EEDaS1Q_S1R_EUlS1Q_E_NS1_11comp_targetILNS1_3genE3ELNS1_11target_archE908ELNS1_3gpuE7ELNS1_3repE0EEENS1_30default_config_static_selectorELNS0_4arch9wavefront6targetE0EEEvS13_
	.p2align	8
	.type	_ZN7rocprim17ROCPRIM_400000_NS6detail17trampoline_kernelINS0_13select_configILj256ELj13ELNS0_17block_load_methodE3ELS4_3ELS4_3ELNS0_20block_scan_algorithmE0ELj4294967295EEENS1_25partition_config_selectorILNS1_17partition_subalgoE4EjNS0_10empty_typeEbEEZZNS1_14partition_implILS8_4ELb0ES6_15HIP_vector_typeIjLj2EENS0_17counting_iteratorIjlEEPS9_SG_NS0_5tupleIJPjSI_NS0_16reverse_iteratorISI_EEEEENSH_IJSG_SG_SG_EEES9_SI_JZNS1_25segmented_radix_sort_implINS0_14default_configELb1EPK12hip_bfloat16PSP_PKlPlN2at6native12_GLOBAL__N_18offset_tEEE10hipError_tPvRmT1_PNSt15iterator_traitsIS13_E10value_typeET2_T3_PNS14_IS19_E10value_typeET4_jRbjT5_S1F_jjP12ihipStream_tbEUljE_ZNSN_ISO_Lb1ESR_SS_SU_SV_SZ_EES10_S11_S12_S13_S17_S18_S19_S1C_S1D_jS1E_jS1F_S1F_jjS1H_bEUljE0_EEES10_S11_S12_S19_S1D_S1F_T6_T7_T9_mT8_S1H_bDpT10_ENKUlT_T0_E_clISt17integral_constantIbLb0EES1V_EEDaS1Q_S1R_EUlS1Q_E_NS1_11comp_targetILNS1_3genE3ELNS1_11target_archE908ELNS1_3gpuE7ELNS1_3repE0EEENS1_30default_config_static_selectorELNS0_4arch9wavefront6targetE0EEEvS13_,@function
_ZN7rocprim17ROCPRIM_400000_NS6detail17trampoline_kernelINS0_13select_configILj256ELj13ELNS0_17block_load_methodE3ELS4_3ELS4_3ELNS0_20block_scan_algorithmE0ELj4294967295EEENS1_25partition_config_selectorILNS1_17partition_subalgoE4EjNS0_10empty_typeEbEEZZNS1_14partition_implILS8_4ELb0ES6_15HIP_vector_typeIjLj2EENS0_17counting_iteratorIjlEEPS9_SG_NS0_5tupleIJPjSI_NS0_16reverse_iteratorISI_EEEEENSH_IJSG_SG_SG_EEES9_SI_JZNS1_25segmented_radix_sort_implINS0_14default_configELb1EPK12hip_bfloat16PSP_PKlPlN2at6native12_GLOBAL__N_18offset_tEEE10hipError_tPvRmT1_PNSt15iterator_traitsIS13_E10value_typeET2_T3_PNS14_IS19_E10value_typeET4_jRbjT5_S1F_jjP12ihipStream_tbEUljE_ZNSN_ISO_Lb1ESR_SS_SU_SV_SZ_EES10_S11_S12_S13_S17_S18_S19_S1C_S1D_jS1E_jS1F_S1F_jjS1H_bEUljE0_EEES10_S11_S12_S19_S1D_S1F_T6_T7_T9_mT8_S1H_bDpT10_ENKUlT_T0_E_clISt17integral_constantIbLb0EES1V_EEDaS1Q_S1R_EUlS1Q_E_NS1_11comp_targetILNS1_3genE3ELNS1_11target_archE908ELNS1_3gpuE7ELNS1_3repE0EEENS1_30default_config_static_selectorELNS0_4arch9wavefront6targetE0EEEvS13_: ; @_ZN7rocprim17ROCPRIM_400000_NS6detail17trampoline_kernelINS0_13select_configILj256ELj13ELNS0_17block_load_methodE3ELS4_3ELS4_3ELNS0_20block_scan_algorithmE0ELj4294967295EEENS1_25partition_config_selectorILNS1_17partition_subalgoE4EjNS0_10empty_typeEbEEZZNS1_14partition_implILS8_4ELb0ES6_15HIP_vector_typeIjLj2EENS0_17counting_iteratorIjlEEPS9_SG_NS0_5tupleIJPjSI_NS0_16reverse_iteratorISI_EEEEENSH_IJSG_SG_SG_EEES9_SI_JZNS1_25segmented_radix_sort_implINS0_14default_configELb1EPK12hip_bfloat16PSP_PKlPlN2at6native12_GLOBAL__N_18offset_tEEE10hipError_tPvRmT1_PNSt15iterator_traitsIS13_E10value_typeET2_T3_PNS14_IS19_E10value_typeET4_jRbjT5_S1F_jjP12ihipStream_tbEUljE_ZNSN_ISO_Lb1ESR_SS_SU_SV_SZ_EES10_S11_S12_S13_S17_S18_S19_S1C_S1D_jS1E_jS1F_S1F_jjS1H_bEUljE0_EEES10_S11_S12_S19_S1D_S1F_T6_T7_T9_mT8_S1H_bDpT10_ENKUlT_T0_E_clISt17integral_constantIbLb0EES1V_EEDaS1Q_S1R_EUlS1Q_E_NS1_11comp_targetILNS1_3genE3ELNS1_11target_archE908ELNS1_3gpuE7ELNS1_3repE0EEENS1_30default_config_static_selectorELNS0_4arch9wavefront6targetE0EEEvS13_
; %bb.0:
	.section	.rodata,"a",@progbits
	.p2align	6, 0x0
	.amdhsa_kernel _ZN7rocprim17ROCPRIM_400000_NS6detail17trampoline_kernelINS0_13select_configILj256ELj13ELNS0_17block_load_methodE3ELS4_3ELS4_3ELNS0_20block_scan_algorithmE0ELj4294967295EEENS1_25partition_config_selectorILNS1_17partition_subalgoE4EjNS0_10empty_typeEbEEZZNS1_14partition_implILS8_4ELb0ES6_15HIP_vector_typeIjLj2EENS0_17counting_iteratorIjlEEPS9_SG_NS0_5tupleIJPjSI_NS0_16reverse_iteratorISI_EEEEENSH_IJSG_SG_SG_EEES9_SI_JZNS1_25segmented_radix_sort_implINS0_14default_configELb1EPK12hip_bfloat16PSP_PKlPlN2at6native12_GLOBAL__N_18offset_tEEE10hipError_tPvRmT1_PNSt15iterator_traitsIS13_E10value_typeET2_T3_PNS14_IS19_E10value_typeET4_jRbjT5_S1F_jjP12ihipStream_tbEUljE_ZNSN_ISO_Lb1ESR_SS_SU_SV_SZ_EES10_S11_S12_S13_S17_S18_S19_S1C_S1D_jS1E_jS1F_S1F_jjS1H_bEUljE0_EEES10_S11_S12_S19_S1D_S1F_T6_T7_T9_mT8_S1H_bDpT10_ENKUlT_T0_E_clISt17integral_constantIbLb0EES1V_EEDaS1Q_S1R_EUlS1Q_E_NS1_11comp_targetILNS1_3genE3ELNS1_11target_archE908ELNS1_3gpuE7ELNS1_3repE0EEENS1_30default_config_static_selectorELNS0_4arch9wavefront6targetE0EEEvS13_
		.amdhsa_group_segment_fixed_size 0
		.amdhsa_private_segment_fixed_size 0
		.amdhsa_kernarg_size 176
		.amdhsa_user_sgpr_count 2
		.amdhsa_user_sgpr_dispatch_ptr 0
		.amdhsa_user_sgpr_queue_ptr 0
		.amdhsa_user_sgpr_kernarg_segment_ptr 1
		.amdhsa_user_sgpr_dispatch_id 0
		.amdhsa_user_sgpr_private_segment_size 0
		.amdhsa_wavefront_size32 1
		.amdhsa_uses_dynamic_stack 0
		.amdhsa_enable_private_segment 0
		.amdhsa_system_sgpr_workgroup_id_x 1
		.amdhsa_system_sgpr_workgroup_id_y 0
		.amdhsa_system_sgpr_workgroup_id_z 0
		.amdhsa_system_sgpr_workgroup_info 0
		.amdhsa_system_vgpr_workitem_id 0
		.amdhsa_next_free_vgpr 1
		.amdhsa_next_free_sgpr 1
		.amdhsa_reserve_vcc 0
		.amdhsa_float_round_mode_32 0
		.amdhsa_float_round_mode_16_64 0
		.amdhsa_float_denorm_mode_32 3
		.amdhsa_float_denorm_mode_16_64 3
		.amdhsa_fp16_overflow 0
		.amdhsa_workgroup_processor_mode 1
		.amdhsa_memory_ordered 1
		.amdhsa_forward_progress 1
		.amdhsa_inst_pref_size 0
		.amdhsa_round_robin_scheduling 0
		.amdhsa_exception_fp_ieee_invalid_op 0
		.amdhsa_exception_fp_denorm_src 0
		.amdhsa_exception_fp_ieee_div_zero 0
		.amdhsa_exception_fp_ieee_overflow 0
		.amdhsa_exception_fp_ieee_underflow 0
		.amdhsa_exception_fp_ieee_inexact 0
		.amdhsa_exception_int_div_zero 0
	.end_amdhsa_kernel
	.section	.text._ZN7rocprim17ROCPRIM_400000_NS6detail17trampoline_kernelINS0_13select_configILj256ELj13ELNS0_17block_load_methodE3ELS4_3ELS4_3ELNS0_20block_scan_algorithmE0ELj4294967295EEENS1_25partition_config_selectorILNS1_17partition_subalgoE4EjNS0_10empty_typeEbEEZZNS1_14partition_implILS8_4ELb0ES6_15HIP_vector_typeIjLj2EENS0_17counting_iteratorIjlEEPS9_SG_NS0_5tupleIJPjSI_NS0_16reverse_iteratorISI_EEEEENSH_IJSG_SG_SG_EEES9_SI_JZNS1_25segmented_radix_sort_implINS0_14default_configELb1EPK12hip_bfloat16PSP_PKlPlN2at6native12_GLOBAL__N_18offset_tEEE10hipError_tPvRmT1_PNSt15iterator_traitsIS13_E10value_typeET2_T3_PNS14_IS19_E10value_typeET4_jRbjT5_S1F_jjP12ihipStream_tbEUljE_ZNSN_ISO_Lb1ESR_SS_SU_SV_SZ_EES10_S11_S12_S13_S17_S18_S19_S1C_S1D_jS1E_jS1F_S1F_jjS1H_bEUljE0_EEES10_S11_S12_S19_S1D_S1F_T6_T7_T9_mT8_S1H_bDpT10_ENKUlT_T0_E_clISt17integral_constantIbLb0EES1V_EEDaS1Q_S1R_EUlS1Q_E_NS1_11comp_targetILNS1_3genE3ELNS1_11target_archE908ELNS1_3gpuE7ELNS1_3repE0EEENS1_30default_config_static_selectorELNS0_4arch9wavefront6targetE0EEEvS13_,"axG",@progbits,_ZN7rocprim17ROCPRIM_400000_NS6detail17trampoline_kernelINS0_13select_configILj256ELj13ELNS0_17block_load_methodE3ELS4_3ELS4_3ELNS0_20block_scan_algorithmE0ELj4294967295EEENS1_25partition_config_selectorILNS1_17partition_subalgoE4EjNS0_10empty_typeEbEEZZNS1_14partition_implILS8_4ELb0ES6_15HIP_vector_typeIjLj2EENS0_17counting_iteratorIjlEEPS9_SG_NS0_5tupleIJPjSI_NS0_16reverse_iteratorISI_EEEEENSH_IJSG_SG_SG_EEES9_SI_JZNS1_25segmented_radix_sort_implINS0_14default_configELb1EPK12hip_bfloat16PSP_PKlPlN2at6native12_GLOBAL__N_18offset_tEEE10hipError_tPvRmT1_PNSt15iterator_traitsIS13_E10value_typeET2_T3_PNS14_IS19_E10value_typeET4_jRbjT5_S1F_jjP12ihipStream_tbEUljE_ZNSN_ISO_Lb1ESR_SS_SU_SV_SZ_EES10_S11_S12_S13_S17_S18_S19_S1C_S1D_jS1E_jS1F_S1F_jjS1H_bEUljE0_EEES10_S11_S12_S19_S1D_S1F_T6_T7_T9_mT8_S1H_bDpT10_ENKUlT_T0_E_clISt17integral_constantIbLb0EES1V_EEDaS1Q_S1R_EUlS1Q_E_NS1_11comp_targetILNS1_3genE3ELNS1_11target_archE908ELNS1_3gpuE7ELNS1_3repE0EEENS1_30default_config_static_selectorELNS0_4arch9wavefront6targetE0EEEvS13_,comdat
.Lfunc_end1885:
	.size	_ZN7rocprim17ROCPRIM_400000_NS6detail17trampoline_kernelINS0_13select_configILj256ELj13ELNS0_17block_load_methodE3ELS4_3ELS4_3ELNS0_20block_scan_algorithmE0ELj4294967295EEENS1_25partition_config_selectorILNS1_17partition_subalgoE4EjNS0_10empty_typeEbEEZZNS1_14partition_implILS8_4ELb0ES6_15HIP_vector_typeIjLj2EENS0_17counting_iteratorIjlEEPS9_SG_NS0_5tupleIJPjSI_NS0_16reverse_iteratorISI_EEEEENSH_IJSG_SG_SG_EEES9_SI_JZNS1_25segmented_radix_sort_implINS0_14default_configELb1EPK12hip_bfloat16PSP_PKlPlN2at6native12_GLOBAL__N_18offset_tEEE10hipError_tPvRmT1_PNSt15iterator_traitsIS13_E10value_typeET2_T3_PNS14_IS19_E10value_typeET4_jRbjT5_S1F_jjP12ihipStream_tbEUljE_ZNSN_ISO_Lb1ESR_SS_SU_SV_SZ_EES10_S11_S12_S13_S17_S18_S19_S1C_S1D_jS1E_jS1F_S1F_jjS1H_bEUljE0_EEES10_S11_S12_S19_S1D_S1F_T6_T7_T9_mT8_S1H_bDpT10_ENKUlT_T0_E_clISt17integral_constantIbLb0EES1V_EEDaS1Q_S1R_EUlS1Q_E_NS1_11comp_targetILNS1_3genE3ELNS1_11target_archE908ELNS1_3gpuE7ELNS1_3repE0EEENS1_30default_config_static_selectorELNS0_4arch9wavefront6targetE0EEEvS13_, .Lfunc_end1885-_ZN7rocprim17ROCPRIM_400000_NS6detail17trampoline_kernelINS0_13select_configILj256ELj13ELNS0_17block_load_methodE3ELS4_3ELS4_3ELNS0_20block_scan_algorithmE0ELj4294967295EEENS1_25partition_config_selectorILNS1_17partition_subalgoE4EjNS0_10empty_typeEbEEZZNS1_14partition_implILS8_4ELb0ES6_15HIP_vector_typeIjLj2EENS0_17counting_iteratorIjlEEPS9_SG_NS0_5tupleIJPjSI_NS0_16reverse_iteratorISI_EEEEENSH_IJSG_SG_SG_EEES9_SI_JZNS1_25segmented_radix_sort_implINS0_14default_configELb1EPK12hip_bfloat16PSP_PKlPlN2at6native12_GLOBAL__N_18offset_tEEE10hipError_tPvRmT1_PNSt15iterator_traitsIS13_E10value_typeET2_T3_PNS14_IS19_E10value_typeET4_jRbjT5_S1F_jjP12ihipStream_tbEUljE_ZNSN_ISO_Lb1ESR_SS_SU_SV_SZ_EES10_S11_S12_S13_S17_S18_S19_S1C_S1D_jS1E_jS1F_S1F_jjS1H_bEUljE0_EEES10_S11_S12_S19_S1D_S1F_T6_T7_T9_mT8_S1H_bDpT10_ENKUlT_T0_E_clISt17integral_constantIbLb0EES1V_EEDaS1Q_S1R_EUlS1Q_E_NS1_11comp_targetILNS1_3genE3ELNS1_11target_archE908ELNS1_3gpuE7ELNS1_3repE0EEENS1_30default_config_static_selectorELNS0_4arch9wavefront6targetE0EEEvS13_
                                        ; -- End function
	.set _ZN7rocprim17ROCPRIM_400000_NS6detail17trampoline_kernelINS0_13select_configILj256ELj13ELNS0_17block_load_methodE3ELS4_3ELS4_3ELNS0_20block_scan_algorithmE0ELj4294967295EEENS1_25partition_config_selectorILNS1_17partition_subalgoE4EjNS0_10empty_typeEbEEZZNS1_14partition_implILS8_4ELb0ES6_15HIP_vector_typeIjLj2EENS0_17counting_iteratorIjlEEPS9_SG_NS0_5tupleIJPjSI_NS0_16reverse_iteratorISI_EEEEENSH_IJSG_SG_SG_EEES9_SI_JZNS1_25segmented_radix_sort_implINS0_14default_configELb1EPK12hip_bfloat16PSP_PKlPlN2at6native12_GLOBAL__N_18offset_tEEE10hipError_tPvRmT1_PNSt15iterator_traitsIS13_E10value_typeET2_T3_PNS14_IS19_E10value_typeET4_jRbjT5_S1F_jjP12ihipStream_tbEUljE_ZNSN_ISO_Lb1ESR_SS_SU_SV_SZ_EES10_S11_S12_S13_S17_S18_S19_S1C_S1D_jS1E_jS1F_S1F_jjS1H_bEUljE0_EEES10_S11_S12_S19_S1D_S1F_T6_T7_T9_mT8_S1H_bDpT10_ENKUlT_T0_E_clISt17integral_constantIbLb0EES1V_EEDaS1Q_S1R_EUlS1Q_E_NS1_11comp_targetILNS1_3genE3ELNS1_11target_archE908ELNS1_3gpuE7ELNS1_3repE0EEENS1_30default_config_static_selectorELNS0_4arch9wavefront6targetE0EEEvS13_.num_vgpr, 0
	.set _ZN7rocprim17ROCPRIM_400000_NS6detail17trampoline_kernelINS0_13select_configILj256ELj13ELNS0_17block_load_methodE3ELS4_3ELS4_3ELNS0_20block_scan_algorithmE0ELj4294967295EEENS1_25partition_config_selectorILNS1_17partition_subalgoE4EjNS0_10empty_typeEbEEZZNS1_14partition_implILS8_4ELb0ES6_15HIP_vector_typeIjLj2EENS0_17counting_iteratorIjlEEPS9_SG_NS0_5tupleIJPjSI_NS0_16reverse_iteratorISI_EEEEENSH_IJSG_SG_SG_EEES9_SI_JZNS1_25segmented_radix_sort_implINS0_14default_configELb1EPK12hip_bfloat16PSP_PKlPlN2at6native12_GLOBAL__N_18offset_tEEE10hipError_tPvRmT1_PNSt15iterator_traitsIS13_E10value_typeET2_T3_PNS14_IS19_E10value_typeET4_jRbjT5_S1F_jjP12ihipStream_tbEUljE_ZNSN_ISO_Lb1ESR_SS_SU_SV_SZ_EES10_S11_S12_S13_S17_S18_S19_S1C_S1D_jS1E_jS1F_S1F_jjS1H_bEUljE0_EEES10_S11_S12_S19_S1D_S1F_T6_T7_T9_mT8_S1H_bDpT10_ENKUlT_T0_E_clISt17integral_constantIbLb0EES1V_EEDaS1Q_S1R_EUlS1Q_E_NS1_11comp_targetILNS1_3genE3ELNS1_11target_archE908ELNS1_3gpuE7ELNS1_3repE0EEENS1_30default_config_static_selectorELNS0_4arch9wavefront6targetE0EEEvS13_.num_agpr, 0
	.set _ZN7rocprim17ROCPRIM_400000_NS6detail17trampoline_kernelINS0_13select_configILj256ELj13ELNS0_17block_load_methodE3ELS4_3ELS4_3ELNS0_20block_scan_algorithmE0ELj4294967295EEENS1_25partition_config_selectorILNS1_17partition_subalgoE4EjNS0_10empty_typeEbEEZZNS1_14partition_implILS8_4ELb0ES6_15HIP_vector_typeIjLj2EENS0_17counting_iteratorIjlEEPS9_SG_NS0_5tupleIJPjSI_NS0_16reverse_iteratorISI_EEEEENSH_IJSG_SG_SG_EEES9_SI_JZNS1_25segmented_radix_sort_implINS0_14default_configELb1EPK12hip_bfloat16PSP_PKlPlN2at6native12_GLOBAL__N_18offset_tEEE10hipError_tPvRmT1_PNSt15iterator_traitsIS13_E10value_typeET2_T3_PNS14_IS19_E10value_typeET4_jRbjT5_S1F_jjP12ihipStream_tbEUljE_ZNSN_ISO_Lb1ESR_SS_SU_SV_SZ_EES10_S11_S12_S13_S17_S18_S19_S1C_S1D_jS1E_jS1F_S1F_jjS1H_bEUljE0_EEES10_S11_S12_S19_S1D_S1F_T6_T7_T9_mT8_S1H_bDpT10_ENKUlT_T0_E_clISt17integral_constantIbLb0EES1V_EEDaS1Q_S1R_EUlS1Q_E_NS1_11comp_targetILNS1_3genE3ELNS1_11target_archE908ELNS1_3gpuE7ELNS1_3repE0EEENS1_30default_config_static_selectorELNS0_4arch9wavefront6targetE0EEEvS13_.numbered_sgpr, 0
	.set _ZN7rocprim17ROCPRIM_400000_NS6detail17trampoline_kernelINS0_13select_configILj256ELj13ELNS0_17block_load_methodE3ELS4_3ELS4_3ELNS0_20block_scan_algorithmE0ELj4294967295EEENS1_25partition_config_selectorILNS1_17partition_subalgoE4EjNS0_10empty_typeEbEEZZNS1_14partition_implILS8_4ELb0ES6_15HIP_vector_typeIjLj2EENS0_17counting_iteratorIjlEEPS9_SG_NS0_5tupleIJPjSI_NS0_16reverse_iteratorISI_EEEEENSH_IJSG_SG_SG_EEES9_SI_JZNS1_25segmented_radix_sort_implINS0_14default_configELb1EPK12hip_bfloat16PSP_PKlPlN2at6native12_GLOBAL__N_18offset_tEEE10hipError_tPvRmT1_PNSt15iterator_traitsIS13_E10value_typeET2_T3_PNS14_IS19_E10value_typeET4_jRbjT5_S1F_jjP12ihipStream_tbEUljE_ZNSN_ISO_Lb1ESR_SS_SU_SV_SZ_EES10_S11_S12_S13_S17_S18_S19_S1C_S1D_jS1E_jS1F_S1F_jjS1H_bEUljE0_EEES10_S11_S12_S19_S1D_S1F_T6_T7_T9_mT8_S1H_bDpT10_ENKUlT_T0_E_clISt17integral_constantIbLb0EES1V_EEDaS1Q_S1R_EUlS1Q_E_NS1_11comp_targetILNS1_3genE3ELNS1_11target_archE908ELNS1_3gpuE7ELNS1_3repE0EEENS1_30default_config_static_selectorELNS0_4arch9wavefront6targetE0EEEvS13_.num_named_barrier, 0
	.set _ZN7rocprim17ROCPRIM_400000_NS6detail17trampoline_kernelINS0_13select_configILj256ELj13ELNS0_17block_load_methodE3ELS4_3ELS4_3ELNS0_20block_scan_algorithmE0ELj4294967295EEENS1_25partition_config_selectorILNS1_17partition_subalgoE4EjNS0_10empty_typeEbEEZZNS1_14partition_implILS8_4ELb0ES6_15HIP_vector_typeIjLj2EENS0_17counting_iteratorIjlEEPS9_SG_NS0_5tupleIJPjSI_NS0_16reverse_iteratorISI_EEEEENSH_IJSG_SG_SG_EEES9_SI_JZNS1_25segmented_radix_sort_implINS0_14default_configELb1EPK12hip_bfloat16PSP_PKlPlN2at6native12_GLOBAL__N_18offset_tEEE10hipError_tPvRmT1_PNSt15iterator_traitsIS13_E10value_typeET2_T3_PNS14_IS19_E10value_typeET4_jRbjT5_S1F_jjP12ihipStream_tbEUljE_ZNSN_ISO_Lb1ESR_SS_SU_SV_SZ_EES10_S11_S12_S13_S17_S18_S19_S1C_S1D_jS1E_jS1F_S1F_jjS1H_bEUljE0_EEES10_S11_S12_S19_S1D_S1F_T6_T7_T9_mT8_S1H_bDpT10_ENKUlT_T0_E_clISt17integral_constantIbLb0EES1V_EEDaS1Q_S1R_EUlS1Q_E_NS1_11comp_targetILNS1_3genE3ELNS1_11target_archE908ELNS1_3gpuE7ELNS1_3repE0EEENS1_30default_config_static_selectorELNS0_4arch9wavefront6targetE0EEEvS13_.private_seg_size, 0
	.set _ZN7rocprim17ROCPRIM_400000_NS6detail17trampoline_kernelINS0_13select_configILj256ELj13ELNS0_17block_load_methodE3ELS4_3ELS4_3ELNS0_20block_scan_algorithmE0ELj4294967295EEENS1_25partition_config_selectorILNS1_17partition_subalgoE4EjNS0_10empty_typeEbEEZZNS1_14partition_implILS8_4ELb0ES6_15HIP_vector_typeIjLj2EENS0_17counting_iteratorIjlEEPS9_SG_NS0_5tupleIJPjSI_NS0_16reverse_iteratorISI_EEEEENSH_IJSG_SG_SG_EEES9_SI_JZNS1_25segmented_radix_sort_implINS0_14default_configELb1EPK12hip_bfloat16PSP_PKlPlN2at6native12_GLOBAL__N_18offset_tEEE10hipError_tPvRmT1_PNSt15iterator_traitsIS13_E10value_typeET2_T3_PNS14_IS19_E10value_typeET4_jRbjT5_S1F_jjP12ihipStream_tbEUljE_ZNSN_ISO_Lb1ESR_SS_SU_SV_SZ_EES10_S11_S12_S13_S17_S18_S19_S1C_S1D_jS1E_jS1F_S1F_jjS1H_bEUljE0_EEES10_S11_S12_S19_S1D_S1F_T6_T7_T9_mT8_S1H_bDpT10_ENKUlT_T0_E_clISt17integral_constantIbLb0EES1V_EEDaS1Q_S1R_EUlS1Q_E_NS1_11comp_targetILNS1_3genE3ELNS1_11target_archE908ELNS1_3gpuE7ELNS1_3repE0EEENS1_30default_config_static_selectorELNS0_4arch9wavefront6targetE0EEEvS13_.uses_vcc, 0
	.set _ZN7rocprim17ROCPRIM_400000_NS6detail17trampoline_kernelINS0_13select_configILj256ELj13ELNS0_17block_load_methodE3ELS4_3ELS4_3ELNS0_20block_scan_algorithmE0ELj4294967295EEENS1_25partition_config_selectorILNS1_17partition_subalgoE4EjNS0_10empty_typeEbEEZZNS1_14partition_implILS8_4ELb0ES6_15HIP_vector_typeIjLj2EENS0_17counting_iteratorIjlEEPS9_SG_NS0_5tupleIJPjSI_NS0_16reverse_iteratorISI_EEEEENSH_IJSG_SG_SG_EEES9_SI_JZNS1_25segmented_radix_sort_implINS0_14default_configELb1EPK12hip_bfloat16PSP_PKlPlN2at6native12_GLOBAL__N_18offset_tEEE10hipError_tPvRmT1_PNSt15iterator_traitsIS13_E10value_typeET2_T3_PNS14_IS19_E10value_typeET4_jRbjT5_S1F_jjP12ihipStream_tbEUljE_ZNSN_ISO_Lb1ESR_SS_SU_SV_SZ_EES10_S11_S12_S13_S17_S18_S19_S1C_S1D_jS1E_jS1F_S1F_jjS1H_bEUljE0_EEES10_S11_S12_S19_S1D_S1F_T6_T7_T9_mT8_S1H_bDpT10_ENKUlT_T0_E_clISt17integral_constantIbLb0EES1V_EEDaS1Q_S1R_EUlS1Q_E_NS1_11comp_targetILNS1_3genE3ELNS1_11target_archE908ELNS1_3gpuE7ELNS1_3repE0EEENS1_30default_config_static_selectorELNS0_4arch9wavefront6targetE0EEEvS13_.uses_flat_scratch, 0
	.set _ZN7rocprim17ROCPRIM_400000_NS6detail17trampoline_kernelINS0_13select_configILj256ELj13ELNS0_17block_load_methodE3ELS4_3ELS4_3ELNS0_20block_scan_algorithmE0ELj4294967295EEENS1_25partition_config_selectorILNS1_17partition_subalgoE4EjNS0_10empty_typeEbEEZZNS1_14partition_implILS8_4ELb0ES6_15HIP_vector_typeIjLj2EENS0_17counting_iteratorIjlEEPS9_SG_NS0_5tupleIJPjSI_NS0_16reverse_iteratorISI_EEEEENSH_IJSG_SG_SG_EEES9_SI_JZNS1_25segmented_radix_sort_implINS0_14default_configELb1EPK12hip_bfloat16PSP_PKlPlN2at6native12_GLOBAL__N_18offset_tEEE10hipError_tPvRmT1_PNSt15iterator_traitsIS13_E10value_typeET2_T3_PNS14_IS19_E10value_typeET4_jRbjT5_S1F_jjP12ihipStream_tbEUljE_ZNSN_ISO_Lb1ESR_SS_SU_SV_SZ_EES10_S11_S12_S13_S17_S18_S19_S1C_S1D_jS1E_jS1F_S1F_jjS1H_bEUljE0_EEES10_S11_S12_S19_S1D_S1F_T6_T7_T9_mT8_S1H_bDpT10_ENKUlT_T0_E_clISt17integral_constantIbLb0EES1V_EEDaS1Q_S1R_EUlS1Q_E_NS1_11comp_targetILNS1_3genE3ELNS1_11target_archE908ELNS1_3gpuE7ELNS1_3repE0EEENS1_30default_config_static_selectorELNS0_4arch9wavefront6targetE0EEEvS13_.has_dyn_sized_stack, 0
	.set _ZN7rocprim17ROCPRIM_400000_NS6detail17trampoline_kernelINS0_13select_configILj256ELj13ELNS0_17block_load_methodE3ELS4_3ELS4_3ELNS0_20block_scan_algorithmE0ELj4294967295EEENS1_25partition_config_selectorILNS1_17partition_subalgoE4EjNS0_10empty_typeEbEEZZNS1_14partition_implILS8_4ELb0ES6_15HIP_vector_typeIjLj2EENS0_17counting_iteratorIjlEEPS9_SG_NS0_5tupleIJPjSI_NS0_16reverse_iteratorISI_EEEEENSH_IJSG_SG_SG_EEES9_SI_JZNS1_25segmented_radix_sort_implINS0_14default_configELb1EPK12hip_bfloat16PSP_PKlPlN2at6native12_GLOBAL__N_18offset_tEEE10hipError_tPvRmT1_PNSt15iterator_traitsIS13_E10value_typeET2_T3_PNS14_IS19_E10value_typeET4_jRbjT5_S1F_jjP12ihipStream_tbEUljE_ZNSN_ISO_Lb1ESR_SS_SU_SV_SZ_EES10_S11_S12_S13_S17_S18_S19_S1C_S1D_jS1E_jS1F_S1F_jjS1H_bEUljE0_EEES10_S11_S12_S19_S1D_S1F_T6_T7_T9_mT8_S1H_bDpT10_ENKUlT_T0_E_clISt17integral_constantIbLb0EES1V_EEDaS1Q_S1R_EUlS1Q_E_NS1_11comp_targetILNS1_3genE3ELNS1_11target_archE908ELNS1_3gpuE7ELNS1_3repE0EEENS1_30default_config_static_selectorELNS0_4arch9wavefront6targetE0EEEvS13_.has_recursion, 0
	.set _ZN7rocprim17ROCPRIM_400000_NS6detail17trampoline_kernelINS0_13select_configILj256ELj13ELNS0_17block_load_methodE3ELS4_3ELS4_3ELNS0_20block_scan_algorithmE0ELj4294967295EEENS1_25partition_config_selectorILNS1_17partition_subalgoE4EjNS0_10empty_typeEbEEZZNS1_14partition_implILS8_4ELb0ES6_15HIP_vector_typeIjLj2EENS0_17counting_iteratorIjlEEPS9_SG_NS0_5tupleIJPjSI_NS0_16reverse_iteratorISI_EEEEENSH_IJSG_SG_SG_EEES9_SI_JZNS1_25segmented_radix_sort_implINS0_14default_configELb1EPK12hip_bfloat16PSP_PKlPlN2at6native12_GLOBAL__N_18offset_tEEE10hipError_tPvRmT1_PNSt15iterator_traitsIS13_E10value_typeET2_T3_PNS14_IS19_E10value_typeET4_jRbjT5_S1F_jjP12ihipStream_tbEUljE_ZNSN_ISO_Lb1ESR_SS_SU_SV_SZ_EES10_S11_S12_S13_S17_S18_S19_S1C_S1D_jS1E_jS1F_S1F_jjS1H_bEUljE0_EEES10_S11_S12_S19_S1D_S1F_T6_T7_T9_mT8_S1H_bDpT10_ENKUlT_T0_E_clISt17integral_constantIbLb0EES1V_EEDaS1Q_S1R_EUlS1Q_E_NS1_11comp_targetILNS1_3genE3ELNS1_11target_archE908ELNS1_3gpuE7ELNS1_3repE0EEENS1_30default_config_static_selectorELNS0_4arch9wavefront6targetE0EEEvS13_.has_indirect_call, 0
	.section	.AMDGPU.csdata,"",@progbits
; Kernel info:
; codeLenInByte = 0
; TotalNumSgprs: 0
; NumVgprs: 0
; ScratchSize: 0
; MemoryBound: 0
; FloatMode: 240
; IeeeMode: 1
; LDSByteSize: 0 bytes/workgroup (compile time only)
; SGPRBlocks: 0
; VGPRBlocks: 0
; NumSGPRsForWavesPerEU: 1
; NumVGPRsForWavesPerEU: 1
; Occupancy: 16
; WaveLimiterHint : 0
; COMPUTE_PGM_RSRC2:SCRATCH_EN: 0
; COMPUTE_PGM_RSRC2:USER_SGPR: 2
; COMPUTE_PGM_RSRC2:TRAP_HANDLER: 0
; COMPUTE_PGM_RSRC2:TGID_X_EN: 1
; COMPUTE_PGM_RSRC2:TGID_Y_EN: 0
; COMPUTE_PGM_RSRC2:TGID_Z_EN: 0
; COMPUTE_PGM_RSRC2:TIDIG_COMP_CNT: 0
	.section	.text._ZN7rocprim17ROCPRIM_400000_NS6detail17trampoline_kernelINS0_13select_configILj256ELj13ELNS0_17block_load_methodE3ELS4_3ELS4_3ELNS0_20block_scan_algorithmE0ELj4294967295EEENS1_25partition_config_selectorILNS1_17partition_subalgoE4EjNS0_10empty_typeEbEEZZNS1_14partition_implILS8_4ELb0ES6_15HIP_vector_typeIjLj2EENS0_17counting_iteratorIjlEEPS9_SG_NS0_5tupleIJPjSI_NS0_16reverse_iteratorISI_EEEEENSH_IJSG_SG_SG_EEES9_SI_JZNS1_25segmented_radix_sort_implINS0_14default_configELb1EPK12hip_bfloat16PSP_PKlPlN2at6native12_GLOBAL__N_18offset_tEEE10hipError_tPvRmT1_PNSt15iterator_traitsIS13_E10value_typeET2_T3_PNS14_IS19_E10value_typeET4_jRbjT5_S1F_jjP12ihipStream_tbEUljE_ZNSN_ISO_Lb1ESR_SS_SU_SV_SZ_EES10_S11_S12_S13_S17_S18_S19_S1C_S1D_jS1E_jS1F_S1F_jjS1H_bEUljE0_EEES10_S11_S12_S19_S1D_S1F_T6_T7_T9_mT8_S1H_bDpT10_ENKUlT_T0_E_clISt17integral_constantIbLb0EES1V_EEDaS1Q_S1R_EUlS1Q_E_NS1_11comp_targetILNS1_3genE2ELNS1_11target_archE906ELNS1_3gpuE6ELNS1_3repE0EEENS1_30default_config_static_selectorELNS0_4arch9wavefront6targetE0EEEvS13_,"axG",@progbits,_ZN7rocprim17ROCPRIM_400000_NS6detail17trampoline_kernelINS0_13select_configILj256ELj13ELNS0_17block_load_methodE3ELS4_3ELS4_3ELNS0_20block_scan_algorithmE0ELj4294967295EEENS1_25partition_config_selectorILNS1_17partition_subalgoE4EjNS0_10empty_typeEbEEZZNS1_14partition_implILS8_4ELb0ES6_15HIP_vector_typeIjLj2EENS0_17counting_iteratorIjlEEPS9_SG_NS0_5tupleIJPjSI_NS0_16reverse_iteratorISI_EEEEENSH_IJSG_SG_SG_EEES9_SI_JZNS1_25segmented_radix_sort_implINS0_14default_configELb1EPK12hip_bfloat16PSP_PKlPlN2at6native12_GLOBAL__N_18offset_tEEE10hipError_tPvRmT1_PNSt15iterator_traitsIS13_E10value_typeET2_T3_PNS14_IS19_E10value_typeET4_jRbjT5_S1F_jjP12ihipStream_tbEUljE_ZNSN_ISO_Lb1ESR_SS_SU_SV_SZ_EES10_S11_S12_S13_S17_S18_S19_S1C_S1D_jS1E_jS1F_S1F_jjS1H_bEUljE0_EEES10_S11_S12_S19_S1D_S1F_T6_T7_T9_mT8_S1H_bDpT10_ENKUlT_T0_E_clISt17integral_constantIbLb0EES1V_EEDaS1Q_S1R_EUlS1Q_E_NS1_11comp_targetILNS1_3genE2ELNS1_11target_archE906ELNS1_3gpuE6ELNS1_3repE0EEENS1_30default_config_static_selectorELNS0_4arch9wavefront6targetE0EEEvS13_,comdat
	.globl	_ZN7rocprim17ROCPRIM_400000_NS6detail17trampoline_kernelINS0_13select_configILj256ELj13ELNS0_17block_load_methodE3ELS4_3ELS4_3ELNS0_20block_scan_algorithmE0ELj4294967295EEENS1_25partition_config_selectorILNS1_17partition_subalgoE4EjNS0_10empty_typeEbEEZZNS1_14partition_implILS8_4ELb0ES6_15HIP_vector_typeIjLj2EENS0_17counting_iteratorIjlEEPS9_SG_NS0_5tupleIJPjSI_NS0_16reverse_iteratorISI_EEEEENSH_IJSG_SG_SG_EEES9_SI_JZNS1_25segmented_radix_sort_implINS0_14default_configELb1EPK12hip_bfloat16PSP_PKlPlN2at6native12_GLOBAL__N_18offset_tEEE10hipError_tPvRmT1_PNSt15iterator_traitsIS13_E10value_typeET2_T3_PNS14_IS19_E10value_typeET4_jRbjT5_S1F_jjP12ihipStream_tbEUljE_ZNSN_ISO_Lb1ESR_SS_SU_SV_SZ_EES10_S11_S12_S13_S17_S18_S19_S1C_S1D_jS1E_jS1F_S1F_jjS1H_bEUljE0_EEES10_S11_S12_S19_S1D_S1F_T6_T7_T9_mT8_S1H_bDpT10_ENKUlT_T0_E_clISt17integral_constantIbLb0EES1V_EEDaS1Q_S1R_EUlS1Q_E_NS1_11comp_targetILNS1_3genE2ELNS1_11target_archE906ELNS1_3gpuE6ELNS1_3repE0EEENS1_30default_config_static_selectorELNS0_4arch9wavefront6targetE0EEEvS13_ ; -- Begin function _ZN7rocprim17ROCPRIM_400000_NS6detail17trampoline_kernelINS0_13select_configILj256ELj13ELNS0_17block_load_methodE3ELS4_3ELS4_3ELNS0_20block_scan_algorithmE0ELj4294967295EEENS1_25partition_config_selectorILNS1_17partition_subalgoE4EjNS0_10empty_typeEbEEZZNS1_14partition_implILS8_4ELb0ES6_15HIP_vector_typeIjLj2EENS0_17counting_iteratorIjlEEPS9_SG_NS0_5tupleIJPjSI_NS0_16reverse_iteratorISI_EEEEENSH_IJSG_SG_SG_EEES9_SI_JZNS1_25segmented_radix_sort_implINS0_14default_configELb1EPK12hip_bfloat16PSP_PKlPlN2at6native12_GLOBAL__N_18offset_tEEE10hipError_tPvRmT1_PNSt15iterator_traitsIS13_E10value_typeET2_T3_PNS14_IS19_E10value_typeET4_jRbjT5_S1F_jjP12ihipStream_tbEUljE_ZNSN_ISO_Lb1ESR_SS_SU_SV_SZ_EES10_S11_S12_S13_S17_S18_S19_S1C_S1D_jS1E_jS1F_S1F_jjS1H_bEUljE0_EEES10_S11_S12_S19_S1D_S1F_T6_T7_T9_mT8_S1H_bDpT10_ENKUlT_T0_E_clISt17integral_constantIbLb0EES1V_EEDaS1Q_S1R_EUlS1Q_E_NS1_11comp_targetILNS1_3genE2ELNS1_11target_archE906ELNS1_3gpuE6ELNS1_3repE0EEENS1_30default_config_static_selectorELNS0_4arch9wavefront6targetE0EEEvS13_
	.p2align	8
	.type	_ZN7rocprim17ROCPRIM_400000_NS6detail17trampoline_kernelINS0_13select_configILj256ELj13ELNS0_17block_load_methodE3ELS4_3ELS4_3ELNS0_20block_scan_algorithmE0ELj4294967295EEENS1_25partition_config_selectorILNS1_17partition_subalgoE4EjNS0_10empty_typeEbEEZZNS1_14partition_implILS8_4ELb0ES6_15HIP_vector_typeIjLj2EENS0_17counting_iteratorIjlEEPS9_SG_NS0_5tupleIJPjSI_NS0_16reverse_iteratorISI_EEEEENSH_IJSG_SG_SG_EEES9_SI_JZNS1_25segmented_radix_sort_implINS0_14default_configELb1EPK12hip_bfloat16PSP_PKlPlN2at6native12_GLOBAL__N_18offset_tEEE10hipError_tPvRmT1_PNSt15iterator_traitsIS13_E10value_typeET2_T3_PNS14_IS19_E10value_typeET4_jRbjT5_S1F_jjP12ihipStream_tbEUljE_ZNSN_ISO_Lb1ESR_SS_SU_SV_SZ_EES10_S11_S12_S13_S17_S18_S19_S1C_S1D_jS1E_jS1F_S1F_jjS1H_bEUljE0_EEES10_S11_S12_S19_S1D_S1F_T6_T7_T9_mT8_S1H_bDpT10_ENKUlT_T0_E_clISt17integral_constantIbLb0EES1V_EEDaS1Q_S1R_EUlS1Q_E_NS1_11comp_targetILNS1_3genE2ELNS1_11target_archE906ELNS1_3gpuE6ELNS1_3repE0EEENS1_30default_config_static_selectorELNS0_4arch9wavefront6targetE0EEEvS13_,@function
_ZN7rocprim17ROCPRIM_400000_NS6detail17trampoline_kernelINS0_13select_configILj256ELj13ELNS0_17block_load_methodE3ELS4_3ELS4_3ELNS0_20block_scan_algorithmE0ELj4294967295EEENS1_25partition_config_selectorILNS1_17partition_subalgoE4EjNS0_10empty_typeEbEEZZNS1_14partition_implILS8_4ELb0ES6_15HIP_vector_typeIjLj2EENS0_17counting_iteratorIjlEEPS9_SG_NS0_5tupleIJPjSI_NS0_16reverse_iteratorISI_EEEEENSH_IJSG_SG_SG_EEES9_SI_JZNS1_25segmented_radix_sort_implINS0_14default_configELb1EPK12hip_bfloat16PSP_PKlPlN2at6native12_GLOBAL__N_18offset_tEEE10hipError_tPvRmT1_PNSt15iterator_traitsIS13_E10value_typeET2_T3_PNS14_IS19_E10value_typeET4_jRbjT5_S1F_jjP12ihipStream_tbEUljE_ZNSN_ISO_Lb1ESR_SS_SU_SV_SZ_EES10_S11_S12_S13_S17_S18_S19_S1C_S1D_jS1E_jS1F_S1F_jjS1H_bEUljE0_EEES10_S11_S12_S19_S1D_S1F_T6_T7_T9_mT8_S1H_bDpT10_ENKUlT_T0_E_clISt17integral_constantIbLb0EES1V_EEDaS1Q_S1R_EUlS1Q_E_NS1_11comp_targetILNS1_3genE2ELNS1_11target_archE906ELNS1_3gpuE6ELNS1_3repE0EEENS1_30default_config_static_selectorELNS0_4arch9wavefront6targetE0EEEvS13_: ; @_ZN7rocprim17ROCPRIM_400000_NS6detail17trampoline_kernelINS0_13select_configILj256ELj13ELNS0_17block_load_methodE3ELS4_3ELS4_3ELNS0_20block_scan_algorithmE0ELj4294967295EEENS1_25partition_config_selectorILNS1_17partition_subalgoE4EjNS0_10empty_typeEbEEZZNS1_14partition_implILS8_4ELb0ES6_15HIP_vector_typeIjLj2EENS0_17counting_iteratorIjlEEPS9_SG_NS0_5tupleIJPjSI_NS0_16reverse_iteratorISI_EEEEENSH_IJSG_SG_SG_EEES9_SI_JZNS1_25segmented_radix_sort_implINS0_14default_configELb1EPK12hip_bfloat16PSP_PKlPlN2at6native12_GLOBAL__N_18offset_tEEE10hipError_tPvRmT1_PNSt15iterator_traitsIS13_E10value_typeET2_T3_PNS14_IS19_E10value_typeET4_jRbjT5_S1F_jjP12ihipStream_tbEUljE_ZNSN_ISO_Lb1ESR_SS_SU_SV_SZ_EES10_S11_S12_S13_S17_S18_S19_S1C_S1D_jS1E_jS1F_S1F_jjS1H_bEUljE0_EEES10_S11_S12_S19_S1D_S1F_T6_T7_T9_mT8_S1H_bDpT10_ENKUlT_T0_E_clISt17integral_constantIbLb0EES1V_EEDaS1Q_S1R_EUlS1Q_E_NS1_11comp_targetILNS1_3genE2ELNS1_11target_archE906ELNS1_3gpuE6ELNS1_3repE0EEENS1_30default_config_static_selectorELNS0_4arch9wavefront6targetE0EEEvS13_
; %bb.0:
	.section	.rodata,"a",@progbits
	.p2align	6, 0x0
	.amdhsa_kernel _ZN7rocprim17ROCPRIM_400000_NS6detail17trampoline_kernelINS0_13select_configILj256ELj13ELNS0_17block_load_methodE3ELS4_3ELS4_3ELNS0_20block_scan_algorithmE0ELj4294967295EEENS1_25partition_config_selectorILNS1_17partition_subalgoE4EjNS0_10empty_typeEbEEZZNS1_14partition_implILS8_4ELb0ES6_15HIP_vector_typeIjLj2EENS0_17counting_iteratorIjlEEPS9_SG_NS0_5tupleIJPjSI_NS0_16reverse_iteratorISI_EEEEENSH_IJSG_SG_SG_EEES9_SI_JZNS1_25segmented_radix_sort_implINS0_14default_configELb1EPK12hip_bfloat16PSP_PKlPlN2at6native12_GLOBAL__N_18offset_tEEE10hipError_tPvRmT1_PNSt15iterator_traitsIS13_E10value_typeET2_T3_PNS14_IS19_E10value_typeET4_jRbjT5_S1F_jjP12ihipStream_tbEUljE_ZNSN_ISO_Lb1ESR_SS_SU_SV_SZ_EES10_S11_S12_S13_S17_S18_S19_S1C_S1D_jS1E_jS1F_S1F_jjS1H_bEUljE0_EEES10_S11_S12_S19_S1D_S1F_T6_T7_T9_mT8_S1H_bDpT10_ENKUlT_T0_E_clISt17integral_constantIbLb0EES1V_EEDaS1Q_S1R_EUlS1Q_E_NS1_11comp_targetILNS1_3genE2ELNS1_11target_archE906ELNS1_3gpuE6ELNS1_3repE0EEENS1_30default_config_static_selectorELNS0_4arch9wavefront6targetE0EEEvS13_
		.amdhsa_group_segment_fixed_size 0
		.amdhsa_private_segment_fixed_size 0
		.amdhsa_kernarg_size 176
		.amdhsa_user_sgpr_count 2
		.amdhsa_user_sgpr_dispatch_ptr 0
		.amdhsa_user_sgpr_queue_ptr 0
		.amdhsa_user_sgpr_kernarg_segment_ptr 1
		.amdhsa_user_sgpr_dispatch_id 0
		.amdhsa_user_sgpr_private_segment_size 0
		.amdhsa_wavefront_size32 1
		.amdhsa_uses_dynamic_stack 0
		.amdhsa_enable_private_segment 0
		.amdhsa_system_sgpr_workgroup_id_x 1
		.amdhsa_system_sgpr_workgroup_id_y 0
		.amdhsa_system_sgpr_workgroup_id_z 0
		.amdhsa_system_sgpr_workgroup_info 0
		.amdhsa_system_vgpr_workitem_id 0
		.amdhsa_next_free_vgpr 1
		.amdhsa_next_free_sgpr 1
		.amdhsa_reserve_vcc 0
		.amdhsa_float_round_mode_32 0
		.amdhsa_float_round_mode_16_64 0
		.amdhsa_float_denorm_mode_32 3
		.amdhsa_float_denorm_mode_16_64 3
		.amdhsa_fp16_overflow 0
		.amdhsa_workgroup_processor_mode 1
		.amdhsa_memory_ordered 1
		.amdhsa_forward_progress 1
		.amdhsa_inst_pref_size 0
		.amdhsa_round_robin_scheduling 0
		.amdhsa_exception_fp_ieee_invalid_op 0
		.amdhsa_exception_fp_denorm_src 0
		.amdhsa_exception_fp_ieee_div_zero 0
		.amdhsa_exception_fp_ieee_overflow 0
		.amdhsa_exception_fp_ieee_underflow 0
		.amdhsa_exception_fp_ieee_inexact 0
		.amdhsa_exception_int_div_zero 0
	.end_amdhsa_kernel
	.section	.text._ZN7rocprim17ROCPRIM_400000_NS6detail17trampoline_kernelINS0_13select_configILj256ELj13ELNS0_17block_load_methodE3ELS4_3ELS4_3ELNS0_20block_scan_algorithmE0ELj4294967295EEENS1_25partition_config_selectorILNS1_17partition_subalgoE4EjNS0_10empty_typeEbEEZZNS1_14partition_implILS8_4ELb0ES6_15HIP_vector_typeIjLj2EENS0_17counting_iteratorIjlEEPS9_SG_NS0_5tupleIJPjSI_NS0_16reverse_iteratorISI_EEEEENSH_IJSG_SG_SG_EEES9_SI_JZNS1_25segmented_radix_sort_implINS0_14default_configELb1EPK12hip_bfloat16PSP_PKlPlN2at6native12_GLOBAL__N_18offset_tEEE10hipError_tPvRmT1_PNSt15iterator_traitsIS13_E10value_typeET2_T3_PNS14_IS19_E10value_typeET4_jRbjT5_S1F_jjP12ihipStream_tbEUljE_ZNSN_ISO_Lb1ESR_SS_SU_SV_SZ_EES10_S11_S12_S13_S17_S18_S19_S1C_S1D_jS1E_jS1F_S1F_jjS1H_bEUljE0_EEES10_S11_S12_S19_S1D_S1F_T6_T7_T9_mT8_S1H_bDpT10_ENKUlT_T0_E_clISt17integral_constantIbLb0EES1V_EEDaS1Q_S1R_EUlS1Q_E_NS1_11comp_targetILNS1_3genE2ELNS1_11target_archE906ELNS1_3gpuE6ELNS1_3repE0EEENS1_30default_config_static_selectorELNS0_4arch9wavefront6targetE0EEEvS13_,"axG",@progbits,_ZN7rocprim17ROCPRIM_400000_NS6detail17trampoline_kernelINS0_13select_configILj256ELj13ELNS0_17block_load_methodE3ELS4_3ELS4_3ELNS0_20block_scan_algorithmE0ELj4294967295EEENS1_25partition_config_selectorILNS1_17partition_subalgoE4EjNS0_10empty_typeEbEEZZNS1_14partition_implILS8_4ELb0ES6_15HIP_vector_typeIjLj2EENS0_17counting_iteratorIjlEEPS9_SG_NS0_5tupleIJPjSI_NS0_16reverse_iteratorISI_EEEEENSH_IJSG_SG_SG_EEES9_SI_JZNS1_25segmented_radix_sort_implINS0_14default_configELb1EPK12hip_bfloat16PSP_PKlPlN2at6native12_GLOBAL__N_18offset_tEEE10hipError_tPvRmT1_PNSt15iterator_traitsIS13_E10value_typeET2_T3_PNS14_IS19_E10value_typeET4_jRbjT5_S1F_jjP12ihipStream_tbEUljE_ZNSN_ISO_Lb1ESR_SS_SU_SV_SZ_EES10_S11_S12_S13_S17_S18_S19_S1C_S1D_jS1E_jS1F_S1F_jjS1H_bEUljE0_EEES10_S11_S12_S19_S1D_S1F_T6_T7_T9_mT8_S1H_bDpT10_ENKUlT_T0_E_clISt17integral_constantIbLb0EES1V_EEDaS1Q_S1R_EUlS1Q_E_NS1_11comp_targetILNS1_3genE2ELNS1_11target_archE906ELNS1_3gpuE6ELNS1_3repE0EEENS1_30default_config_static_selectorELNS0_4arch9wavefront6targetE0EEEvS13_,comdat
.Lfunc_end1886:
	.size	_ZN7rocprim17ROCPRIM_400000_NS6detail17trampoline_kernelINS0_13select_configILj256ELj13ELNS0_17block_load_methodE3ELS4_3ELS4_3ELNS0_20block_scan_algorithmE0ELj4294967295EEENS1_25partition_config_selectorILNS1_17partition_subalgoE4EjNS0_10empty_typeEbEEZZNS1_14partition_implILS8_4ELb0ES6_15HIP_vector_typeIjLj2EENS0_17counting_iteratorIjlEEPS9_SG_NS0_5tupleIJPjSI_NS0_16reverse_iteratorISI_EEEEENSH_IJSG_SG_SG_EEES9_SI_JZNS1_25segmented_radix_sort_implINS0_14default_configELb1EPK12hip_bfloat16PSP_PKlPlN2at6native12_GLOBAL__N_18offset_tEEE10hipError_tPvRmT1_PNSt15iterator_traitsIS13_E10value_typeET2_T3_PNS14_IS19_E10value_typeET4_jRbjT5_S1F_jjP12ihipStream_tbEUljE_ZNSN_ISO_Lb1ESR_SS_SU_SV_SZ_EES10_S11_S12_S13_S17_S18_S19_S1C_S1D_jS1E_jS1F_S1F_jjS1H_bEUljE0_EEES10_S11_S12_S19_S1D_S1F_T6_T7_T9_mT8_S1H_bDpT10_ENKUlT_T0_E_clISt17integral_constantIbLb0EES1V_EEDaS1Q_S1R_EUlS1Q_E_NS1_11comp_targetILNS1_3genE2ELNS1_11target_archE906ELNS1_3gpuE6ELNS1_3repE0EEENS1_30default_config_static_selectorELNS0_4arch9wavefront6targetE0EEEvS13_, .Lfunc_end1886-_ZN7rocprim17ROCPRIM_400000_NS6detail17trampoline_kernelINS0_13select_configILj256ELj13ELNS0_17block_load_methodE3ELS4_3ELS4_3ELNS0_20block_scan_algorithmE0ELj4294967295EEENS1_25partition_config_selectorILNS1_17partition_subalgoE4EjNS0_10empty_typeEbEEZZNS1_14partition_implILS8_4ELb0ES6_15HIP_vector_typeIjLj2EENS0_17counting_iteratorIjlEEPS9_SG_NS0_5tupleIJPjSI_NS0_16reverse_iteratorISI_EEEEENSH_IJSG_SG_SG_EEES9_SI_JZNS1_25segmented_radix_sort_implINS0_14default_configELb1EPK12hip_bfloat16PSP_PKlPlN2at6native12_GLOBAL__N_18offset_tEEE10hipError_tPvRmT1_PNSt15iterator_traitsIS13_E10value_typeET2_T3_PNS14_IS19_E10value_typeET4_jRbjT5_S1F_jjP12ihipStream_tbEUljE_ZNSN_ISO_Lb1ESR_SS_SU_SV_SZ_EES10_S11_S12_S13_S17_S18_S19_S1C_S1D_jS1E_jS1F_S1F_jjS1H_bEUljE0_EEES10_S11_S12_S19_S1D_S1F_T6_T7_T9_mT8_S1H_bDpT10_ENKUlT_T0_E_clISt17integral_constantIbLb0EES1V_EEDaS1Q_S1R_EUlS1Q_E_NS1_11comp_targetILNS1_3genE2ELNS1_11target_archE906ELNS1_3gpuE6ELNS1_3repE0EEENS1_30default_config_static_selectorELNS0_4arch9wavefront6targetE0EEEvS13_
                                        ; -- End function
	.set _ZN7rocprim17ROCPRIM_400000_NS6detail17trampoline_kernelINS0_13select_configILj256ELj13ELNS0_17block_load_methodE3ELS4_3ELS4_3ELNS0_20block_scan_algorithmE0ELj4294967295EEENS1_25partition_config_selectorILNS1_17partition_subalgoE4EjNS0_10empty_typeEbEEZZNS1_14partition_implILS8_4ELb0ES6_15HIP_vector_typeIjLj2EENS0_17counting_iteratorIjlEEPS9_SG_NS0_5tupleIJPjSI_NS0_16reverse_iteratorISI_EEEEENSH_IJSG_SG_SG_EEES9_SI_JZNS1_25segmented_radix_sort_implINS0_14default_configELb1EPK12hip_bfloat16PSP_PKlPlN2at6native12_GLOBAL__N_18offset_tEEE10hipError_tPvRmT1_PNSt15iterator_traitsIS13_E10value_typeET2_T3_PNS14_IS19_E10value_typeET4_jRbjT5_S1F_jjP12ihipStream_tbEUljE_ZNSN_ISO_Lb1ESR_SS_SU_SV_SZ_EES10_S11_S12_S13_S17_S18_S19_S1C_S1D_jS1E_jS1F_S1F_jjS1H_bEUljE0_EEES10_S11_S12_S19_S1D_S1F_T6_T7_T9_mT8_S1H_bDpT10_ENKUlT_T0_E_clISt17integral_constantIbLb0EES1V_EEDaS1Q_S1R_EUlS1Q_E_NS1_11comp_targetILNS1_3genE2ELNS1_11target_archE906ELNS1_3gpuE6ELNS1_3repE0EEENS1_30default_config_static_selectorELNS0_4arch9wavefront6targetE0EEEvS13_.num_vgpr, 0
	.set _ZN7rocprim17ROCPRIM_400000_NS6detail17trampoline_kernelINS0_13select_configILj256ELj13ELNS0_17block_load_methodE3ELS4_3ELS4_3ELNS0_20block_scan_algorithmE0ELj4294967295EEENS1_25partition_config_selectorILNS1_17partition_subalgoE4EjNS0_10empty_typeEbEEZZNS1_14partition_implILS8_4ELb0ES6_15HIP_vector_typeIjLj2EENS0_17counting_iteratorIjlEEPS9_SG_NS0_5tupleIJPjSI_NS0_16reverse_iteratorISI_EEEEENSH_IJSG_SG_SG_EEES9_SI_JZNS1_25segmented_radix_sort_implINS0_14default_configELb1EPK12hip_bfloat16PSP_PKlPlN2at6native12_GLOBAL__N_18offset_tEEE10hipError_tPvRmT1_PNSt15iterator_traitsIS13_E10value_typeET2_T3_PNS14_IS19_E10value_typeET4_jRbjT5_S1F_jjP12ihipStream_tbEUljE_ZNSN_ISO_Lb1ESR_SS_SU_SV_SZ_EES10_S11_S12_S13_S17_S18_S19_S1C_S1D_jS1E_jS1F_S1F_jjS1H_bEUljE0_EEES10_S11_S12_S19_S1D_S1F_T6_T7_T9_mT8_S1H_bDpT10_ENKUlT_T0_E_clISt17integral_constantIbLb0EES1V_EEDaS1Q_S1R_EUlS1Q_E_NS1_11comp_targetILNS1_3genE2ELNS1_11target_archE906ELNS1_3gpuE6ELNS1_3repE0EEENS1_30default_config_static_selectorELNS0_4arch9wavefront6targetE0EEEvS13_.num_agpr, 0
	.set _ZN7rocprim17ROCPRIM_400000_NS6detail17trampoline_kernelINS0_13select_configILj256ELj13ELNS0_17block_load_methodE3ELS4_3ELS4_3ELNS0_20block_scan_algorithmE0ELj4294967295EEENS1_25partition_config_selectorILNS1_17partition_subalgoE4EjNS0_10empty_typeEbEEZZNS1_14partition_implILS8_4ELb0ES6_15HIP_vector_typeIjLj2EENS0_17counting_iteratorIjlEEPS9_SG_NS0_5tupleIJPjSI_NS0_16reverse_iteratorISI_EEEEENSH_IJSG_SG_SG_EEES9_SI_JZNS1_25segmented_radix_sort_implINS0_14default_configELb1EPK12hip_bfloat16PSP_PKlPlN2at6native12_GLOBAL__N_18offset_tEEE10hipError_tPvRmT1_PNSt15iterator_traitsIS13_E10value_typeET2_T3_PNS14_IS19_E10value_typeET4_jRbjT5_S1F_jjP12ihipStream_tbEUljE_ZNSN_ISO_Lb1ESR_SS_SU_SV_SZ_EES10_S11_S12_S13_S17_S18_S19_S1C_S1D_jS1E_jS1F_S1F_jjS1H_bEUljE0_EEES10_S11_S12_S19_S1D_S1F_T6_T7_T9_mT8_S1H_bDpT10_ENKUlT_T0_E_clISt17integral_constantIbLb0EES1V_EEDaS1Q_S1R_EUlS1Q_E_NS1_11comp_targetILNS1_3genE2ELNS1_11target_archE906ELNS1_3gpuE6ELNS1_3repE0EEENS1_30default_config_static_selectorELNS0_4arch9wavefront6targetE0EEEvS13_.numbered_sgpr, 0
	.set _ZN7rocprim17ROCPRIM_400000_NS6detail17trampoline_kernelINS0_13select_configILj256ELj13ELNS0_17block_load_methodE3ELS4_3ELS4_3ELNS0_20block_scan_algorithmE0ELj4294967295EEENS1_25partition_config_selectorILNS1_17partition_subalgoE4EjNS0_10empty_typeEbEEZZNS1_14partition_implILS8_4ELb0ES6_15HIP_vector_typeIjLj2EENS0_17counting_iteratorIjlEEPS9_SG_NS0_5tupleIJPjSI_NS0_16reverse_iteratorISI_EEEEENSH_IJSG_SG_SG_EEES9_SI_JZNS1_25segmented_radix_sort_implINS0_14default_configELb1EPK12hip_bfloat16PSP_PKlPlN2at6native12_GLOBAL__N_18offset_tEEE10hipError_tPvRmT1_PNSt15iterator_traitsIS13_E10value_typeET2_T3_PNS14_IS19_E10value_typeET4_jRbjT5_S1F_jjP12ihipStream_tbEUljE_ZNSN_ISO_Lb1ESR_SS_SU_SV_SZ_EES10_S11_S12_S13_S17_S18_S19_S1C_S1D_jS1E_jS1F_S1F_jjS1H_bEUljE0_EEES10_S11_S12_S19_S1D_S1F_T6_T7_T9_mT8_S1H_bDpT10_ENKUlT_T0_E_clISt17integral_constantIbLb0EES1V_EEDaS1Q_S1R_EUlS1Q_E_NS1_11comp_targetILNS1_3genE2ELNS1_11target_archE906ELNS1_3gpuE6ELNS1_3repE0EEENS1_30default_config_static_selectorELNS0_4arch9wavefront6targetE0EEEvS13_.num_named_barrier, 0
	.set _ZN7rocprim17ROCPRIM_400000_NS6detail17trampoline_kernelINS0_13select_configILj256ELj13ELNS0_17block_load_methodE3ELS4_3ELS4_3ELNS0_20block_scan_algorithmE0ELj4294967295EEENS1_25partition_config_selectorILNS1_17partition_subalgoE4EjNS0_10empty_typeEbEEZZNS1_14partition_implILS8_4ELb0ES6_15HIP_vector_typeIjLj2EENS0_17counting_iteratorIjlEEPS9_SG_NS0_5tupleIJPjSI_NS0_16reverse_iteratorISI_EEEEENSH_IJSG_SG_SG_EEES9_SI_JZNS1_25segmented_radix_sort_implINS0_14default_configELb1EPK12hip_bfloat16PSP_PKlPlN2at6native12_GLOBAL__N_18offset_tEEE10hipError_tPvRmT1_PNSt15iterator_traitsIS13_E10value_typeET2_T3_PNS14_IS19_E10value_typeET4_jRbjT5_S1F_jjP12ihipStream_tbEUljE_ZNSN_ISO_Lb1ESR_SS_SU_SV_SZ_EES10_S11_S12_S13_S17_S18_S19_S1C_S1D_jS1E_jS1F_S1F_jjS1H_bEUljE0_EEES10_S11_S12_S19_S1D_S1F_T6_T7_T9_mT8_S1H_bDpT10_ENKUlT_T0_E_clISt17integral_constantIbLb0EES1V_EEDaS1Q_S1R_EUlS1Q_E_NS1_11comp_targetILNS1_3genE2ELNS1_11target_archE906ELNS1_3gpuE6ELNS1_3repE0EEENS1_30default_config_static_selectorELNS0_4arch9wavefront6targetE0EEEvS13_.private_seg_size, 0
	.set _ZN7rocprim17ROCPRIM_400000_NS6detail17trampoline_kernelINS0_13select_configILj256ELj13ELNS0_17block_load_methodE3ELS4_3ELS4_3ELNS0_20block_scan_algorithmE0ELj4294967295EEENS1_25partition_config_selectorILNS1_17partition_subalgoE4EjNS0_10empty_typeEbEEZZNS1_14partition_implILS8_4ELb0ES6_15HIP_vector_typeIjLj2EENS0_17counting_iteratorIjlEEPS9_SG_NS0_5tupleIJPjSI_NS0_16reverse_iteratorISI_EEEEENSH_IJSG_SG_SG_EEES9_SI_JZNS1_25segmented_radix_sort_implINS0_14default_configELb1EPK12hip_bfloat16PSP_PKlPlN2at6native12_GLOBAL__N_18offset_tEEE10hipError_tPvRmT1_PNSt15iterator_traitsIS13_E10value_typeET2_T3_PNS14_IS19_E10value_typeET4_jRbjT5_S1F_jjP12ihipStream_tbEUljE_ZNSN_ISO_Lb1ESR_SS_SU_SV_SZ_EES10_S11_S12_S13_S17_S18_S19_S1C_S1D_jS1E_jS1F_S1F_jjS1H_bEUljE0_EEES10_S11_S12_S19_S1D_S1F_T6_T7_T9_mT8_S1H_bDpT10_ENKUlT_T0_E_clISt17integral_constantIbLb0EES1V_EEDaS1Q_S1R_EUlS1Q_E_NS1_11comp_targetILNS1_3genE2ELNS1_11target_archE906ELNS1_3gpuE6ELNS1_3repE0EEENS1_30default_config_static_selectorELNS0_4arch9wavefront6targetE0EEEvS13_.uses_vcc, 0
	.set _ZN7rocprim17ROCPRIM_400000_NS6detail17trampoline_kernelINS0_13select_configILj256ELj13ELNS0_17block_load_methodE3ELS4_3ELS4_3ELNS0_20block_scan_algorithmE0ELj4294967295EEENS1_25partition_config_selectorILNS1_17partition_subalgoE4EjNS0_10empty_typeEbEEZZNS1_14partition_implILS8_4ELb0ES6_15HIP_vector_typeIjLj2EENS0_17counting_iteratorIjlEEPS9_SG_NS0_5tupleIJPjSI_NS0_16reverse_iteratorISI_EEEEENSH_IJSG_SG_SG_EEES9_SI_JZNS1_25segmented_radix_sort_implINS0_14default_configELb1EPK12hip_bfloat16PSP_PKlPlN2at6native12_GLOBAL__N_18offset_tEEE10hipError_tPvRmT1_PNSt15iterator_traitsIS13_E10value_typeET2_T3_PNS14_IS19_E10value_typeET4_jRbjT5_S1F_jjP12ihipStream_tbEUljE_ZNSN_ISO_Lb1ESR_SS_SU_SV_SZ_EES10_S11_S12_S13_S17_S18_S19_S1C_S1D_jS1E_jS1F_S1F_jjS1H_bEUljE0_EEES10_S11_S12_S19_S1D_S1F_T6_T7_T9_mT8_S1H_bDpT10_ENKUlT_T0_E_clISt17integral_constantIbLb0EES1V_EEDaS1Q_S1R_EUlS1Q_E_NS1_11comp_targetILNS1_3genE2ELNS1_11target_archE906ELNS1_3gpuE6ELNS1_3repE0EEENS1_30default_config_static_selectorELNS0_4arch9wavefront6targetE0EEEvS13_.uses_flat_scratch, 0
	.set _ZN7rocprim17ROCPRIM_400000_NS6detail17trampoline_kernelINS0_13select_configILj256ELj13ELNS0_17block_load_methodE3ELS4_3ELS4_3ELNS0_20block_scan_algorithmE0ELj4294967295EEENS1_25partition_config_selectorILNS1_17partition_subalgoE4EjNS0_10empty_typeEbEEZZNS1_14partition_implILS8_4ELb0ES6_15HIP_vector_typeIjLj2EENS0_17counting_iteratorIjlEEPS9_SG_NS0_5tupleIJPjSI_NS0_16reverse_iteratorISI_EEEEENSH_IJSG_SG_SG_EEES9_SI_JZNS1_25segmented_radix_sort_implINS0_14default_configELb1EPK12hip_bfloat16PSP_PKlPlN2at6native12_GLOBAL__N_18offset_tEEE10hipError_tPvRmT1_PNSt15iterator_traitsIS13_E10value_typeET2_T3_PNS14_IS19_E10value_typeET4_jRbjT5_S1F_jjP12ihipStream_tbEUljE_ZNSN_ISO_Lb1ESR_SS_SU_SV_SZ_EES10_S11_S12_S13_S17_S18_S19_S1C_S1D_jS1E_jS1F_S1F_jjS1H_bEUljE0_EEES10_S11_S12_S19_S1D_S1F_T6_T7_T9_mT8_S1H_bDpT10_ENKUlT_T0_E_clISt17integral_constantIbLb0EES1V_EEDaS1Q_S1R_EUlS1Q_E_NS1_11comp_targetILNS1_3genE2ELNS1_11target_archE906ELNS1_3gpuE6ELNS1_3repE0EEENS1_30default_config_static_selectorELNS0_4arch9wavefront6targetE0EEEvS13_.has_dyn_sized_stack, 0
	.set _ZN7rocprim17ROCPRIM_400000_NS6detail17trampoline_kernelINS0_13select_configILj256ELj13ELNS0_17block_load_methodE3ELS4_3ELS4_3ELNS0_20block_scan_algorithmE0ELj4294967295EEENS1_25partition_config_selectorILNS1_17partition_subalgoE4EjNS0_10empty_typeEbEEZZNS1_14partition_implILS8_4ELb0ES6_15HIP_vector_typeIjLj2EENS0_17counting_iteratorIjlEEPS9_SG_NS0_5tupleIJPjSI_NS0_16reverse_iteratorISI_EEEEENSH_IJSG_SG_SG_EEES9_SI_JZNS1_25segmented_radix_sort_implINS0_14default_configELb1EPK12hip_bfloat16PSP_PKlPlN2at6native12_GLOBAL__N_18offset_tEEE10hipError_tPvRmT1_PNSt15iterator_traitsIS13_E10value_typeET2_T3_PNS14_IS19_E10value_typeET4_jRbjT5_S1F_jjP12ihipStream_tbEUljE_ZNSN_ISO_Lb1ESR_SS_SU_SV_SZ_EES10_S11_S12_S13_S17_S18_S19_S1C_S1D_jS1E_jS1F_S1F_jjS1H_bEUljE0_EEES10_S11_S12_S19_S1D_S1F_T6_T7_T9_mT8_S1H_bDpT10_ENKUlT_T0_E_clISt17integral_constantIbLb0EES1V_EEDaS1Q_S1R_EUlS1Q_E_NS1_11comp_targetILNS1_3genE2ELNS1_11target_archE906ELNS1_3gpuE6ELNS1_3repE0EEENS1_30default_config_static_selectorELNS0_4arch9wavefront6targetE0EEEvS13_.has_recursion, 0
	.set _ZN7rocprim17ROCPRIM_400000_NS6detail17trampoline_kernelINS0_13select_configILj256ELj13ELNS0_17block_load_methodE3ELS4_3ELS4_3ELNS0_20block_scan_algorithmE0ELj4294967295EEENS1_25partition_config_selectorILNS1_17partition_subalgoE4EjNS0_10empty_typeEbEEZZNS1_14partition_implILS8_4ELb0ES6_15HIP_vector_typeIjLj2EENS0_17counting_iteratorIjlEEPS9_SG_NS0_5tupleIJPjSI_NS0_16reverse_iteratorISI_EEEEENSH_IJSG_SG_SG_EEES9_SI_JZNS1_25segmented_radix_sort_implINS0_14default_configELb1EPK12hip_bfloat16PSP_PKlPlN2at6native12_GLOBAL__N_18offset_tEEE10hipError_tPvRmT1_PNSt15iterator_traitsIS13_E10value_typeET2_T3_PNS14_IS19_E10value_typeET4_jRbjT5_S1F_jjP12ihipStream_tbEUljE_ZNSN_ISO_Lb1ESR_SS_SU_SV_SZ_EES10_S11_S12_S13_S17_S18_S19_S1C_S1D_jS1E_jS1F_S1F_jjS1H_bEUljE0_EEES10_S11_S12_S19_S1D_S1F_T6_T7_T9_mT8_S1H_bDpT10_ENKUlT_T0_E_clISt17integral_constantIbLb0EES1V_EEDaS1Q_S1R_EUlS1Q_E_NS1_11comp_targetILNS1_3genE2ELNS1_11target_archE906ELNS1_3gpuE6ELNS1_3repE0EEENS1_30default_config_static_selectorELNS0_4arch9wavefront6targetE0EEEvS13_.has_indirect_call, 0
	.section	.AMDGPU.csdata,"",@progbits
; Kernel info:
; codeLenInByte = 0
; TotalNumSgprs: 0
; NumVgprs: 0
; ScratchSize: 0
; MemoryBound: 0
; FloatMode: 240
; IeeeMode: 1
; LDSByteSize: 0 bytes/workgroup (compile time only)
; SGPRBlocks: 0
; VGPRBlocks: 0
; NumSGPRsForWavesPerEU: 1
; NumVGPRsForWavesPerEU: 1
; Occupancy: 16
; WaveLimiterHint : 0
; COMPUTE_PGM_RSRC2:SCRATCH_EN: 0
; COMPUTE_PGM_RSRC2:USER_SGPR: 2
; COMPUTE_PGM_RSRC2:TRAP_HANDLER: 0
; COMPUTE_PGM_RSRC2:TGID_X_EN: 1
; COMPUTE_PGM_RSRC2:TGID_Y_EN: 0
; COMPUTE_PGM_RSRC2:TGID_Z_EN: 0
; COMPUTE_PGM_RSRC2:TIDIG_COMP_CNT: 0
	.section	.text._ZN7rocprim17ROCPRIM_400000_NS6detail17trampoline_kernelINS0_13select_configILj256ELj13ELNS0_17block_load_methodE3ELS4_3ELS4_3ELNS0_20block_scan_algorithmE0ELj4294967295EEENS1_25partition_config_selectorILNS1_17partition_subalgoE4EjNS0_10empty_typeEbEEZZNS1_14partition_implILS8_4ELb0ES6_15HIP_vector_typeIjLj2EENS0_17counting_iteratorIjlEEPS9_SG_NS0_5tupleIJPjSI_NS0_16reverse_iteratorISI_EEEEENSH_IJSG_SG_SG_EEES9_SI_JZNS1_25segmented_radix_sort_implINS0_14default_configELb1EPK12hip_bfloat16PSP_PKlPlN2at6native12_GLOBAL__N_18offset_tEEE10hipError_tPvRmT1_PNSt15iterator_traitsIS13_E10value_typeET2_T3_PNS14_IS19_E10value_typeET4_jRbjT5_S1F_jjP12ihipStream_tbEUljE_ZNSN_ISO_Lb1ESR_SS_SU_SV_SZ_EES10_S11_S12_S13_S17_S18_S19_S1C_S1D_jS1E_jS1F_S1F_jjS1H_bEUljE0_EEES10_S11_S12_S19_S1D_S1F_T6_T7_T9_mT8_S1H_bDpT10_ENKUlT_T0_E_clISt17integral_constantIbLb0EES1V_EEDaS1Q_S1R_EUlS1Q_E_NS1_11comp_targetILNS1_3genE10ELNS1_11target_archE1200ELNS1_3gpuE4ELNS1_3repE0EEENS1_30default_config_static_selectorELNS0_4arch9wavefront6targetE0EEEvS13_,"axG",@progbits,_ZN7rocprim17ROCPRIM_400000_NS6detail17trampoline_kernelINS0_13select_configILj256ELj13ELNS0_17block_load_methodE3ELS4_3ELS4_3ELNS0_20block_scan_algorithmE0ELj4294967295EEENS1_25partition_config_selectorILNS1_17partition_subalgoE4EjNS0_10empty_typeEbEEZZNS1_14partition_implILS8_4ELb0ES6_15HIP_vector_typeIjLj2EENS0_17counting_iteratorIjlEEPS9_SG_NS0_5tupleIJPjSI_NS0_16reverse_iteratorISI_EEEEENSH_IJSG_SG_SG_EEES9_SI_JZNS1_25segmented_radix_sort_implINS0_14default_configELb1EPK12hip_bfloat16PSP_PKlPlN2at6native12_GLOBAL__N_18offset_tEEE10hipError_tPvRmT1_PNSt15iterator_traitsIS13_E10value_typeET2_T3_PNS14_IS19_E10value_typeET4_jRbjT5_S1F_jjP12ihipStream_tbEUljE_ZNSN_ISO_Lb1ESR_SS_SU_SV_SZ_EES10_S11_S12_S13_S17_S18_S19_S1C_S1D_jS1E_jS1F_S1F_jjS1H_bEUljE0_EEES10_S11_S12_S19_S1D_S1F_T6_T7_T9_mT8_S1H_bDpT10_ENKUlT_T0_E_clISt17integral_constantIbLb0EES1V_EEDaS1Q_S1R_EUlS1Q_E_NS1_11comp_targetILNS1_3genE10ELNS1_11target_archE1200ELNS1_3gpuE4ELNS1_3repE0EEENS1_30default_config_static_selectorELNS0_4arch9wavefront6targetE0EEEvS13_,comdat
	.globl	_ZN7rocprim17ROCPRIM_400000_NS6detail17trampoline_kernelINS0_13select_configILj256ELj13ELNS0_17block_load_methodE3ELS4_3ELS4_3ELNS0_20block_scan_algorithmE0ELj4294967295EEENS1_25partition_config_selectorILNS1_17partition_subalgoE4EjNS0_10empty_typeEbEEZZNS1_14partition_implILS8_4ELb0ES6_15HIP_vector_typeIjLj2EENS0_17counting_iteratorIjlEEPS9_SG_NS0_5tupleIJPjSI_NS0_16reverse_iteratorISI_EEEEENSH_IJSG_SG_SG_EEES9_SI_JZNS1_25segmented_radix_sort_implINS0_14default_configELb1EPK12hip_bfloat16PSP_PKlPlN2at6native12_GLOBAL__N_18offset_tEEE10hipError_tPvRmT1_PNSt15iterator_traitsIS13_E10value_typeET2_T3_PNS14_IS19_E10value_typeET4_jRbjT5_S1F_jjP12ihipStream_tbEUljE_ZNSN_ISO_Lb1ESR_SS_SU_SV_SZ_EES10_S11_S12_S13_S17_S18_S19_S1C_S1D_jS1E_jS1F_S1F_jjS1H_bEUljE0_EEES10_S11_S12_S19_S1D_S1F_T6_T7_T9_mT8_S1H_bDpT10_ENKUlT_T0_E_clISt17integral_constantIbLb0EES1V_EEDaS1Q_S1R_EUlS1Q_E_NS1_11comp_targetILNS1_3genE10ELNS1_11target_archE1200ELNS1_3gpuE4ELNS1_3repE0EEENS1_30default_config_static_selectorELNS0_4arch9wavefront6targetE0EEEvS13_ ; -- Begin function _ZN7rocprim17ROCPRIM_400000_NS6detail17trampoline_kernelINS0_13select_configILj256ELj13ELNS0_17block_load_methodE3ELS4_3ELS4_3ELNS0_20block_scan_algorithmE0ELj4294967295EEENS1_25partition_config_selectorILNS1_17partition_subalgoE4EjNS0_10empty_typeEbEEZZNS1_14partition_implILS8_4ELb0ES6_15HIP_vector_typeIjLj2EENS0_17counting_iteratorIjlEEPS9_SG_NS0_5tupleIJPjSI_NS0_16reverse_iteratorISI_EEEEENSH_IJSG_SG_SG_EEES9_SI_JZNS1_25segmented_radix_sort_implINS0_14default_configELb1EPK12hip_bfloat16PSP_PKlPlN2at6native12_GLOBAL__N_18offset_tEEE10hipError_tPvRmT1_PNSt15iterator_traitsIS13_E10value_typeET2_T3_PNS14_IS19_E10value_typeET4_jRbjT5_S1F_jjP12ihipStream_tbEUljE_ZNSN_ISO_Lb1ESR_SS_SU_SV_SZ_EES10_S11_S12_S13_S17_S18_S19_S1C_S1D_jS1E_jS1F_S1F_jjS1H_bEUljE0_EEES10_S11_S12_S19_S1D_S1F_T6_T7_T9_mT8_S1H_bDpT10_ENKUlT_T0_E_clISt17integral_constantIbLb0EES1V_EEDaS1Q_S1R_EUlS1Q_E_NS1_11comp_targetILNS1_3genE10ELNS1_11target_archE1200ELNS1_3gpuE4ELNS1_3repE0EEENS1_30default_config_static_selectorELNS0_4arch9wavefront6targetE0EEEvS13_
	.p2align	8
	.type	_ZN7rocprim17ROCPRIM_400000_NS6detail17trampoline_kernelINS0_13select_configILj256ELj13ELNS0_17block_load_methodE3ELS4_3ELS4_3ELNS0_20block_scan_algorithmE0ELj4294967295EEENS1_25partition_config_selectorILNS1_17partition_subalgoE4EjNS0_10empty_typeEbEEZZNS1_14partition_implILS8_4ELb0ES6_15HIP_vector_typeIjLj2EENS0_17counting_iteratorIjlEEPS9_SG_NS0_5tupleIJPjSI_NS0_16reverse_iteratorISI_EEEEENSH_IJSG_SG_SG_EEES9_SI_JZNS1_25segmented_radix_sort_implINS0_14default_configELb1EPK12hip_bfloat16PSP_PKlPlN2at6native12_GLOBAL__N_18offset_tEEE10hipError_tPvRmT1_PNSt15iterator_traitsIS13_E10value_typeET2_T3_PNS14_IS19_E10value_typeET4_jRbjT5_S1F_jjP12ihipStream_tbEUljE_ZNSN_ISO_Lb1ESR_SS_SU_SV_SZ_EES10_S11_S12_S13_S17_S18_S19_S1C_S1D_jS1E_jS1F_S1F_jjS1H_bEUljE0_EEES10_S11_S12_S19_S1D_S1F_T6_T7_T9_mT8_S1H_bDpT10_ENKUlT_T0_E_clISt17integral_constantIbLb0EES1V_EEDaS1Q_S1R_EUlS1Q_E_NS1_11comp_targetILNS1_3genE10ELNS1_11target_archE1200ELNS1_3gpuE4ELNS1_3repE0EEENS1_30default_config_static_selectorELNS0_4arch9wavefront6targetE0EEEvS13_,@function
_ZN7rocprim17ROCPRIM_400000_NS6detail17trampoline_kernelINS0_13select_configILj256ELj13ELNS0_17block_load_methodE3ELS4_3ELS4_3ELNS0_20block_scan_algorithmE0ELj4294967295EEENS1_25partition_config_selectorILNS1_17partition_subalgoE4EjNS0_10empty_typeEbEEZZNS1_14partition_implILS8_4ELb0ES6_15HIP_vector_typeIjLj2EENS0_17counting_iteratorIjlEEPS9_SG_NS0_5tupleIJPjSI_NS0_16reverse_iteratorISI_EEEEENSH_IJSG_SG_SG_EEES9_SI_JZNS1_25segmented_radix_sort_implINS0_14default_configELb1EPK12hip_bfloat16PSP_PKlPlN2at6native12_GLOBAL__N_18offset_tEEE10hipError_tPvRmT1_PNSt15iterator_traitsIS13_E10value_typeET2_T3_PNS14_IS19_E10value_typeET4_jRbjT5_S1F_jjP12ihipStream_tbEUljE_ZNSN_ISO_Lb1ESR_SS_SU_SV_SZ_EES10_S11_S12_S13_S17_S18_S19_S1C_S1D_jS1E_jS1F_S1F_jjS1H_bEUljE0_EEES10_S11_S12_S19_S1D_S1F_T6_T7_T9_mT8_S1H_bDpT10_ENKUlT_T0_E_clISt17integral_constantIbLb0EES1V_EEDaS1Q_S1R_EUlS1Q_E_NS1_11comp_targetILNS1_3genE10ELNS1_11target_archE1200ELNS1_3gpuE4ELNS1_3repE0EEENS1_30default_config_static_selectorELNS0_4arch9wavefront6targetE0EEEvS13_: ; @_ZN7rocprim17ROCPRIM_400000_NS6detail17trampoline_kernelINS0_13select_configILj256ELj13ELNS0_17block_load_methodE3ELS4_3ELS4_3ELNS0_20block_scan_algorithmE0ELj4294967295EEENS1_25partition_config_selectorILNS1_17partition_subalgoE4EjNS0_10empty_typeEbEEZZNS1_14partition_implILS8_4ELb0ES6_15HIP_vector_typeIjLj2EENS0_17counting_iteratorIjlEEPS9_SG_NS0_5tupleIJPjSI_NS0_16reverse_iteratorISI_EEEEENSH_IJSG_SG_SG_EEES9_SI_JZNS1_25segmented_radix_sort_implINS0_14default_configELb1EPK12hip_bfloat16PSP_PKlPlN2at6native12_GLOBAL__N_18offset_tEEE10hipError_tPvRmT1_PNSt15iterator_traitsIS13_E10value_typeET2_T3_PNS14_IS19_E10value_typeET4_jRbjT5_S1F_jjP12ihipStream_tbEUljE_ZNSN_ISO_Lb1ESR_SS_SU_SV_SZ_EES10_S11_S12_S13_S17_S18_S19_S1C_S1D_jS1E_jS1F_S1F_jjS1H_bEUljE0_EEES10_S11_S12_S19_S1D_S1F_T6_T7_T9_mT8_S1H_bDpT10_ENKUlT_T0_E_clISt17integral_constantIbLb0EES1V_EEDaS1Q_S1R_EUlS1Q_E_NS1_11comp_targetILNS1_3genE10ELNS1_11target_archE1200ELNS1_3gpuE4ELNS1_3repE0EEENS1_30default_config_static_selectorELNS0_4arch9wavefront6targetE0EEEvS13_
; %bb.0:
	s_clause 0x6
	s_load_b32 s6, s[0:1], 0x80
	s_load_b128 s[24:27], s[0:1], 0x58
	s_load_b64 s[34:35], s[0:1], 0x10
	s_load_b64 s[2:3], s[0:1], 0x68
	s_load_b32 s7, s[0:1], 0x8
	s_load_b64 s[42:43], s[0:1], 0xa8
	s_load_b256 s[16:23], s[0:1], 0x88
	s_mov_b32 s5, 0
	s_mul_i32 s40, ttmp9, 0xd00
	s_wait_kmcnt 0x0
	s_mul_i32 s4, s6, 0xd00
	s_load_b128 s[28:31], s[26:27], 0x0
	s_add_co_i32 s8, s4, s34
	s_add_co_i32 s6, s6, -1
	s_sub_co_i32 s33, s2, s8
	s_add_nc_u64 s[4:5], s[34:35], s[4:5]
	s_addk_co_i32 s33, 0xd00
	s_cmp_eq_u32 ttmp9, s6
	v_cmp_gt_u64_e64 s2, s[2:3], s[4:5]
	s_cselect_b32 s15, -1, 0
	s_cmp_lg_u32 ttmp9, s6
	s_mov_b32 s5, -1
	s_cselect_b32 s3, -1, 0
	s_add_co_i32 s4, s7, s40
	s_wait_alu 0xfffe
	s_or_b32 s3, s3, s2
	s_add_co_i32 s4, s4, s34
	s_wait_alu 0xfffe
	s_and_b32 vcc_lo, exec_lo, s3
	v_add_nc_u32_e32 v1, s4, v0
	s_cbranch_vccz .LBB1887_2
; %bb.1:
	s_delay_alu instid0(VALU_DEP_1)
	v_add_nc_u32_e32 v2, 0x100, v1
	v_lshlrev_b32_e32 v10, 2, v0
	v_add_nc_u32_e32 v3, 0x200, v1
	v_add_nc_u32_e32 v4, 0x300, v1
	;; [unrolled: 1-line block ×11, first 2 shown]
	ds_store_2addr_stride64_b32 v10, v1, v2 offset1:4
	ds_store_2addr_stride64_b32 v10, v3, v4 offset0:8 offset1:12
	ds_store_2addr_stride64_b32 v10, v5, v6 offset0:16 offset1:20
	;; [unrolled: 1-line block ×5, first 2 shown]
	ds_store_b32 v10, v14 offset:12288
	s_wait_dscnt 0x0
	s_barrier_signal -1
	s_mov_b32 s5, 0
	s_barrier_wait -1
.LBB1887_2:
	v_cmp_gt_u32_e64 s2, s33, v0
	v_or_b32_e32 v38, 0x100, v0
	v_or_b32_e32 v37, 0x200, v0
	;; [unrolled: 1-line block ×12, first 2 shown]
	s_wait_alu 0xfffe
	s_and_not1_b32 vcc_lo, exec_lo, s5
	s_cbranch_vccnz .LBB1887_4
; %bb.3:
	v_cmp_gt_u32_e32 vcc_lo, s33, v38
	v_add_nc_u32_e32 v3, s4, v37
	v_add_nc_u32_e32 v2, s4, v38
	v_cndmask_b32_e64 v1, 0, v1, s2
	v_lshlrev_b32_e32 v14, 2, v0
	s_delay_alu instid0(VALU_DEP_3)
	v_cndmask_b32_e32 v2, 0, v2, vcc_lo
	v_cmp_gt_u32_e32 vcc_lo, s33, v37
	s_wait_alu 0xfffd
	v_cndmask_b32_e32 v3, 0, v3, vcc_lo
	v_cmp_gt_u32_e32 vcc_lo, s33, v36
	v_add_nc_u32_e32 v5, s4, v35
	v_add_nc_u32_e32 v4, s4, v36
	s_wait_alu 0xfffd
	s_delay_alu instid0(VALU_DEP_1)
	v_cndmask_b32_e32 v4, 0, v4, vcc_lo
	v_cmp_gt_u32_e32 vcc_lo, s33, v35
	s_wait_alu 0xfffd
	v_cndmask_b32_e32 v5, 0, v5, vcc_lo
	v_cmp_gt_u32_e32 vcc_lo, s33, v34
	v_add_nc_u32_e32 v7, s4, v33
	v_add_nc_u32_e32 v6, s4, v34
	s_wait_alu 0xfffd
	s_delay_alu instid0(VALU_DEP_1)
	;; [unrolled: 9-line block ×5, first 2 shown]
	v_cndmask_b32_e32 v12, 0, v12, vcc_lo
	v_cmp_gt_u32_e32 vcc_lo, s33, v27
	s_wait_alu 0xfffd
	v_cndmask_b32_e32 v13, 0, v13, vcc_lo
	ds_store_2addr_stride64_b32 v14, v1, v2 offset1:4
	ds_store_2addr_stride64_b32 v14, v3, v4 offset0:8 offset1:12
	ds_store_2addr_stride64_b32 v14, v5, v6 offset0:16 offset1:20
	ds_store_2addr_stride64_b32 v14, v7, v8 offset0:24 offset1:28
	ds_store_2addr_stride64_b32 v14, v9, v10 offset0:32 offset1:36
	ds_store_2addr_stride64_b32 v14, v11, v12 offset0:40 offset1:44
	ds_store_b32 v14, v13 offset:12288
	s_wait_dscnt 0x0
	s_barrier_signal -1
	s_barrier_wait -1
.LBB1887_4:
	v_mul_u32_u24_e32 v41, 13, v0
	s_clause 0x1
	s_load_b128 s[36:39], s[0:1], 0x28
	s_load_b64 s[26:27], s[0:1], 0x38
	global_inv scope:SCOPE_SE
	v_cndmask_b32_e64 v39, 0, 1, s3
	s_and_not1_b32 vcc_lo, exec_lo, s3
	v_lshlrev_b32_e32 v1, 2, v41
	ds_load_2addr_b32 v[19:20], v1 offset1:1
	ds_load_2addr_b32 v[17:18], v1 offset0:2 offset1:3
	ds_load_2addr_b32 v[15:16], v1 offset0:4 offset1:5
	;; [unrolled: 1-line block ×5, first 2 shown]
	ds_load_b32 v40, v1 offset:48
	s_wait_loadcnt_dscnt 0x0
	s_barrier_signal -1
	s_barrier_wait -1
	global_inv scope:SCOPE_SE
	s_wait_alu 0xfffe
	s_cbranch_vccnz .LBB1887_32
; %bb.5:
	v_add_nc_u32_e32 v1, s17, v19
	v_add_nc_u32_e32 v2, s19, v19
	s_mov_b32 s44, 0
	s_mov_b32 s41, 0
	s_mov_b32 s3, exec_lo
	v_mul_lo_u32 v1, v1, s16
	v_mul_lo_u32 v2, v2, s18
	s_delay_alu instid0(VALU_DEP_1) | instskip(NEXT) | instid1(VALU_DEP_1)
	v_sub_nc_u32_e32 v1, v1, v2
	v_cmp_lt_u32_e32 vcc_lo, s20, v1
	v_cmpx_ge_u32_e64 s20, v1
	s_cbranch_execz .LBB1887_7
; %bb.6:
	v_add_nc_u32_e32 v1, s22, v19
	v_add_nc_u32_e32 v2, s42, v19
	s_delay_alu instid0(VALU_DEP_2) | instskip(NEXT) | instid1(VALU_DEP_2)
	v_mul_lo_u32 v1, v1, s21
	v_mul_lo_u32 v2, v2, s23
	s_delay_alu instid0(VALU_DEP_1) | instskip(NEXT) | instid1(VALU_DEP_1)
	v_sub_nc_u32_e32 v1, v1, v2
	v_cmp_lt_u32_e64 s2, s43, v1
	s_and_b32 s41, s2, exec_lo
.LBB1887_7:
	s_wait_alu 0xfffe
	s_or_b32 exec_lo, exec_lo, s3
	v_add_nc_u32_e32 v1, s17, v20
	v_add_nc_u32_e32 v2, s19, v20
	s_mov_b32 s4, exec_lo
	s_delay_alu instid0(VALU_DEP_2) | instskip(NEXT) | instid1(VALU_DEP_2)
	v_mul_lo_u32 v1, v1, s16
	v_mul_lo_u32 v2, v2, s18
	s_delay_alu instid0(VALU_DEP_1) | instskip(NEXT) | instid1(VALU_DEP_1)
	v_sub_nc_u32_e32 v1, v1, v2
	v_cmp_lt_u32_e64 s2, s20, v1
	v_cmpx_ge_u32_e64 s20, v1
	s_cbranch_execz .LBB1887_9
; %bb.8:
	v_add_nc_u32_e32 v1, s22, v20
	v_add_nc_u32_e32 v2, s42, v20
	s_delay_alu instid0(VALU_DEP_2) | instskip(NEXT) | instid1(VALU_DEP_2)
	v_mul_lo_u32 v1, v1, s21
	v_mul_lo_u32 v2, v2, s23
	s_delay_alu instid0(VALU_DEP_1) | instskip(NEXT) | instid1(VALU_DEP_1)
	v_sub_nc_u32_e32 v1, v1, v2
	v_cmp_lt_u32_e64 s3, s43, v1
	s_and_b32 s44, s3, exec_lo
.LBB1887_9:
	s_wait_alu 0xfffe
	s_or_b32 exec_lo, exec_lo, s4
	v_add_nc_u32_e32 v1, s17, v17
	v_add_nc_u32_e32 v2, s19, v17
	s_mov_b32 s46, 0
	s_mov_b32 s45, 0
	s_mov_b32 s5, exec_lo
	v_mul_lo_u32 v1, v1, s16
	v_mul_lo_u32 v2, v2, s18
	s_delay_alu instid0(VALU_DEP_1) | instskip(NEXT) | instid1(VALU_DEP_1)
	v_sub_nc_u32_e32 v1, v1, v2
	v_cmp_lt_u32_e64 s3, s20, v1
	v_cmpx_ge_u32_e64 s20, v1
	s_cbranch_execz .LBB1887_11
; %bb.10:
	v_add_nc_u32_e32 v1, s22, v17
	v_add_nc_u32_e32 v2, s42, v17
	s_delay_alu instid0(VALU_DEP_2) | instskip(NEXT) | instid1(VALU_DEP_2)
	v_mul_lo_u32 v1, v1, s21
	v_mul_lo_u32 v2, v2, s23
	s_delay_alu instid0(VALU_DEP_1) | instskip(NEXT) | instid1(VALU_DEP_1)
	v_sub_nc_u32_e32 v1, v1, v2
	v_cmp_lt_u32_e64 s4, s43, v1
	s_and_b32 s45, s4, exec_lo
.LBB1887_11:
	s_wait_alu 0xfffe
	s_or_b32 exec_lo, exec_lo, s5
	v_add_nc_u32_e32 v1, s17, v18
	v_add_nc_u32_e32 v2, s19, v18
	s_mov_b32 s6, exec_lo
	s_delay_alu instid0(VALU_DEP_2) | instskip(NEXT) | instid1(VALU_DEP_2)
	v_mul_lo_u32 v1, v1, s16
	v_mul_lo_u32 v2, v2, s18
	s_delay_alu instid0(VALU_DEP_1) | instskip(NEXT) | instid1(VALU_DEP_1)
	v_sub_nc_u32_e32 v1, v1, v2
	v_cmp_lt_u32_e64 s4, s20, v1
	v_cmpx_ge_u32_e64 s20, v1
	s_cbranch_execz .LBB1887_13
; %bb.12:
	v_add_nc_u32_e32 v1, s22, v18
	v_add_nc_u32_e32 v2, s42, v18
	s_delay_alu instid0(VALU_DEP_2) | instskip(NEXT) | instid1(VALU_DEP_2)
	v_mul_lo_u32 v1, v1, s21
	v_mul_lo_u32 v2, v2, s23
	s_delay_alu instid0(VALU_DEP_1) | instskip(NEXT) | instid1(VALU_DEP_1)
	v_sub_nc_u32_e32 v1, v1, v2
	v_cmp_lt_u32_e64 s5, s43, v1
	s_and_b32 s46, s5, exec_lo
.LBB1887_13:
	s_or_b32 exec_lo, exec_lo, s6
	v_add_nc_u32_e32 v1, s17, v15
	v_add_nc_u32_e32 v2, s19, v15
	s_mov_b32 s48, 0
	s_mov_b32 s47, 0
	s_mov_b32 s7, exec_lo
	v_mul_lo_u32 v1, v1, s16
	v_mul_lo_u32 v2, v2, s18
	s_delay_alu instid0(VALU_DEP_1) | instskip(NEXT) | instid1(VALU_DEP_1)
	v_sub_nc_u32_e32 v1, v1, v2
	v_cmp_lt_u32_e64 s5, s20, v1
	v_cmpx_ge_u32_e64 s20, v1
	s_cbranch_execz .LBB1887_15
; %bb.14:
	v_add_nc_u32_e32 v1, s22, v15
	v_add_nc_u32_e32 v2, s42, v15
	s_delay_alu instid0(VALU_DEP_2) | instskip(NEXT) | instid1(VALU_DEP_2)
	v_mul_lo_u32 v1, v1, s21
	v_mul_lo_u32 v2, v2, s23
	s_delay_alu instid0(VALU_DEP_1) | instskip(NEXT) | instid1(VALU_DEP_1)
	v_sub_nc_u32_e32 v1, v1, v2
	v_cmp_lt_u32_e64 s6, s43, v1
	s_and_b32 s47, s6, exec_lo
.LBB1887_15:
	s_or_b32 exec_lo, exec_lo, s7
	v_add_nc_u32_e32 v1, s17, v16
	v_add_nc_u32_e32 v2, s19, v16
	s_mov_b32 s8, exec_lo
	s_delay_alu instid0(VALU_DEP_2) | instskip(NEXT) | instid1(VALU_DEP_2)
	v_mul_lo_u32 v1, v1, s16
	v_mul_lo_u32 v2, v2, s18
	s_delay_alu instid0(VALU_DEP_1) | instskip(NEXT) | instid1(VALU_DEP_1)
	v_sub_nc_u32_e32 v1, v1, v2
	v_cmp_lt_u32_e64 s6, s20, v1
	v_cmpx_ge_u32_e64 s20, v1
	s_cbranch_execz .LBB1887_17
; %bb.16:
	v_add_nc_u32_e32 v1, s22, v16
	v_add_nc_u32_e32 v2, s42, v16
	s_delay_alu instid0(VALU_DEP_2) | instskip(NEXT) | instid1(VALU_DEP_2)
	v_mul_lo_u32 v1, v1, s21
	v_mul_lo_u32 v2, v2, s23
	s_delay_alu instid0(VALU_DEP_1) | instskip(NEXT) | instid1(VALU_DEP_1)
	v_sub_nc_u32_e32 v1, v1, v2
	v_cmp_lt_u32_e64 s7, s43, v1
	s_and_b32 s48, s7, exec_lo
.LBB1887_17:
	s_or_b32 exec_lo, exec_lo, s8
	v_add_nc_u32_e32 v1, s17, v13
	v_add_nc_u32_e32 v2, s19, v13
	s_mov_b32 s50, 0
	s_mov_b32 s49, 0
	s_mov_b32 s9, exec_lo
	v_mul_lo_u32 v1, v1, s16
	v_mul_lo_u32 v2, v2, s18
	s_delay_alu instid0(VALU_DEP_1) | instskip(NEXT) | instid1(VALU_DEP_1)
	v_sub_nc_u32_e32 v1, v1, v2
	v_cmp_lt_u32_e64 s7, s20, v1
	v_cmpx_ge_u32_e64 s20, v1
	s_cbranch_execz .LBB1887_19
; %bb.18:
	v_add_nc_u32_e32 v1, s22, v13
	v_add_nc_u32_e32 v2, s42, v13
	s_delay_alu instid0(VALU_DEP_2) | instskip(NEXT) | instid1(VALU_DEP_2)
	v_mul_lo_u32 v1, v1, s21
	v_mul_lo_u32 v2, v2, s23
	s_delay_alu instid0(VALU_DEP_1) | instskip(NEXT) | instid1(VALU_DEP_1)
	v_sub_nc_u32_e32 v1, v1, v2
	v_cmp_lt_u32_e64 s8, s43, v1
	s_and_b32 s49, s8, exec_lo
.LBB1887_19:
	s_or_b32 exec_lo, exec_lo, s9
	v_add_nc_u32_e32 v1, s17, v14
	v_add_nc_u32_e32 v2, s19, v14
	s_mov_b32 s10, exec_lo
	s_delay_alu instid0(VALU_DEP_2) | instskip(NEXT) | instid1(VALU_DEP_2)
	v_mul_lo_u32 v1, v1, s16
	v_mul_lo_u32 v2, v2, s18
	s_delay_alu instid0(VALU_DEP_1) | instskip(NEXT) | instid1(VALU_DEP_1)
	v_sub_nc_u32_e32 v1, v1, v2
	v_cmp_lt_u32_e64 s8, s20, v1
	v_cmpx_ge_u32_e64 s20, v1
	s_cbranch_execz .LBB1887_21
; %bb.20:
	v_add_nc_u32_e32 v1, s22, v14
	v_add_nc_u32_e32 v2, s42, v14
	s_delay_alu instid0(VALU_DEP_2) | instskip(NEXT) | instid1(VALU_DEP_2)
	v_mul_lo_u32 v1, v1, s21
	v_mul_lo_u32 v2, v2, s23
	s_delay_alu instid0(VALU_DEP_1) | instskip(NEXT) | instid1(VALU_DEP_1)
	v_sub_nc_u32_e32 v1, v1, v2
	v_cmp_lt_u32_e64 s9, s43, v1
	s_and_b32 s50, s9, exec_lo
.LBB1887_21:
	s_or_b32 exec_lo, exec_lo, s10
	v_add_nc_u32_e32 v1, s17, v11
	v_add_nc_u32_e32 v2, s19, v11
	s_mov_b32 s53, 0
	s_mov_b32 s52, 0
	s_mov_b32 s11, exec_lo
	v_mul_lo_u32 v1, v1, s16
	v_mul_lo_u32 v2, v2, s18
	s_delay_alu instid0(VALU_DEP_1) | instskip(NEXT) | instid1(VALU_DEP_1)
	v_sub_nc_u32_e32 v1, v1, v2
	v_cmp_lt_u32_e64 s9, s20, v1
	v_cmpx_ge_u32_e64 s20, v1
	s_cbranch_execz .LBB1887_23
; %bb.22:
	v_add_nc_u32_e32 v1, s22, v11
	v_add_nc_u32_e32 v2, s42, v11
	s_delay_alu instid0(VALU_DEP_2) | instskip(NEXT) | instid1(VALU_DEP_2)
	v_mul_lo_u32 v1, v1, s21
	v_mul_lo_u32 v2, v2, s23
	s_delay_alu instid0(VALU_DEP_1) | instskip(NEXT) | instid1(VALU_DEP_1)
	v_sub_nc_u32_e32 v1, v1, v2
	v_cmp_lt_u32_e64 s10, s43, v1
	s_and_b32 s52, s10, exec_lo
.LBB1887_23:
	s_or_b32 exec_lo, exec_lo, s11
	v_add_nc_u32_e32 v1, s17, v12
	v_add_nc_u32_e32 v2, s19, v12
	s_mov_b32 s12, exec_lo
	s_delay_alu instid0(VALU_DEP_2) | instskip(NEXT) | instid1(VALU_DEP_2)
	v_mul_lo_u32 v1, v1, s16
	v_mul_lo_u32 v2, v2, s18
	s_delay_alu instid0(VALU_DEP_1) | instskip(NEXT) | instid1(VALU_DEP_1)
	v_sub_nc_u32_e32 v1, v1, v2
	v_cmp_lt_u32_e64 s10, s20, v1
	v_cmpx_ge_u32_e64 s20, v1
	s_cbranch_execz .LBB1887_25
; %bb.24:
	v_add_nc_u32_e32 v1, s22, v12
	v_add_nc_u32_e32 v2, s42, v12
	s_delay_alu instid0(VALU_DEP_2) | instskip(NEXT) | instid1(VALU_DEP_2)
	v_mul_lo_u32 v1, v1, s21
	v_mul_lo_u32 v2, v2, s23
	s_delay_alu instid0(VALU_DEP_1) | instskip(NEXT) | instid1(VALU_DEP_1)
	v_sub_nc_u32_e32 v1, v1, v2
	v_cmp_lt_u32_e64 s11, s43, v1
	s_and_b32 s53, s11, exec_lo
.LBB1887_25:
	s_or_b32 exec_lo, exec_lo, s12
	v_add_nc_u32_e32 v1, s17, v9
	v_add_nc_u32_e32 v2, s19, v9
	s_mov_b32 s54, 0
	s_mov_b32 s55, 0
	s_mov_b32 s13, exec_lo
	v_mul_lo_u32 v1, v1, s16
	v_mul_lo_u32 v2, v2, s18
	s_delay_alu instid0(VALU_DEP_1) | instskip(NEXT) | instid1(VALU_DEP_1)
	v_sub_nc_u32_e32 v1, v1, v2
	v_cmp_lt_u32_e64 s11, s20, v1
	v_cmpx_ge_u32_e64 s20, v1
	s_cbranch_execz .LBB1887_27
; %bb.26:
	v_add_nc_u32_e32 v1, s22, v9
	v_add_nc_u32_e32 v2, s42, v9
	s_delay_alu instid0(VALU_DEP_2) | instskip(NEXT) | instid1(VALU_DEP_2)
	v_mul_lo_u32 v1, v1, s21
	v_mul_lo_u32 v2, v2, s23
	s_delay_alu instid0(VALU_DEP_1) | instskip(NEXT) | instid1(VALU_DEP_1)
	v_sub_nc_u32_e32 v1, v1, v2
	v_cmp_lt_u32_e64 s12, s43, v1
	s_and_b32 s55, s12, exec_lo
.LBB1887_27:
	s_or_b32 exec_lo, exec_lo, s13
	v_add_nc_u32_e32 v1, s17, v10
	v_add_nc_u32_e32 v2, s19, v10
	s_mov_b32 s14, exec_lo
	s_delay_alu instid0(VALU_DEP_2) | instskip(NEXT) | instid1(VALU_DEP_2)
	v_mul_lo_u32 v1, v1, s16
	v_mul_lo_u32 v2, v2, s18
	s_delay_alu instid0(VALU_DEP_1) | instskip(NEXT) | instid1(VALU_DEP_1)
	v_sub_nc_u32_e32 v1, v1, v2
	v_cmp_lt_u32_e64 s13, s20, v1
	v_cmpx_ge_u32_e64 s20, v1
	s_cbranch_execz .LBB1887_29
; %bb.28:
	v_add_nc_u32_e32 v1, s22, v10
	v_add_nc_u32_e32 v2, s42, v10
	s_delay_alu instid0(VALU_DEP_2) | instskip(NEXT) | instid1(VALU_DEP_2)
	v_mul_lo_u32 v1, v1, s21
	v_mul_lo_u32 v2, v2, s23
	s_delay_alu instid0(VALU_DEP_1) | instskip(NEXT) | instid1(VALU_DEP_1)
	v_sub_nc_u32_e32 v1, v1, v2
	v_cmp_lt_u32_e64 s12, s43, v1
	s_and_b32 s54, s12, exec_lo
.LBB1887_29:
	s_or_b32 exec_lo, exec_lo, s14
	v_add_nc_u32_e32 v1, s17, v40
	v_add_nc_u32_e32 v2, s19, v40
	s_mov_b32 s51, 0
	s_mov_b32 s56, 0
	s_mov_b32 s57, exec_lo
	v_mul_lo_u32 v1, v1, s16
	v_mul_lo_u32 v2, v2, s18
	s_delay_alu instid0(VALU_DEP_1) | instskip(NEXT) | instid1(VALU_DEP_1)
	v_sub_nc_u32_e32 v1, v1, v2
	v_cmp_lt_u32_e64 s12, s20, v1
	v_cmpx_ge_u32_e64 s20, v1
	s_cbranch_execz .LBB1887_31
; %bb.30:
	v_add_nc_u32_e32 v1, s22, v40
	v_add_nc_u32_e32 v2, s42, v40
	s_delay_alu instid0(VALU_DEP_2) | instskip(NEXT) | instid1(VALU_DEP_2)
	v_mul_lo_u32 v1, v1, s21
	v_mul_lo_u32 v2, v2, s23
	s_delay_alu instid0(VALU_DEP_1) | instskip(NEXT) | instid1(VALU_DEP_1)
	v_sub_nc_u32_e32 v1, v1, v2
	v_cmp_lt_u32_e64 s14, s43, v1
	s_and_b32 s56, s14, exec_lo
.LBB1887_31:
	s_or_b32 exec_lo, exec_lo, s57
	v_cndmask_b32_e64 v2, 0, 1, s2
	s_wait_alu 0xf1ff
	v_cndmask_b32_e64 v4, 0, 1, s4
	s_wait_alu 0xfffd
	v_cndmask_b32_e64 v1, 0, 1, vcc_lo
	v_cndmask_b32_e64 v3, 0, 1, s3
	v_cndmask_b32_e64 v6, 0, 1, s6
	v_lshlrev_b16 v2, 8, v2
	v_lshlrev_b16 v4, 8, v4
	v_cndmask_b32_e64 v8, 0, 1, s8
	v_cndmask_b32_e64 v22, 0, 1, s10
	;; [unrolled: 1-line block ×3, first 2 shown]
	v_or_b32_e32 v1, v1, v2
	v_or_b32_e32 v2, v3, v4
	v_cndmask_b32_e64 v51, 0, 1, s41
	v_cndmask_b32_e64 v5, 0, 1, s5
	;; [unrolled: 1-line block ×3, first 2 shown]
	v_and_b32_e32 v1, 0xffff, v1
	v_lshlrev_b32_e32 v2, 16, v2
	v_cndmask_b32_e64 v21, 0, 1, s9
	v_cndmask_b32_e64 v23, 0, 1, s11
	;; [unrolled: 1-line block ×8, first 2 shown]
	v_or_b32_e32 v42, v1, v2
	v_lshlrev_b16 v1, 8, v6
	v_lshlrev_b16 v2, 8, v8
	;; [unrolled: 1-line block ×5, first 2 shown]
	v_cndmask_b32_e64 v26, 0, 1, s53
	v_cndmask_b32_e64 v44, 0, 1, s50
	;; [unrolled: 1-line block ×5, first 2 shown]
	v_or_b32_e32 v1, v5, v1
	v_or_b32_e32 v2, v7, v2
	;; [unrolled: 1-line block ×5, first 2 shown]
	v_lshlrev_b16 v4, 8, v4
	v_lshlrev_b16 v8, 8, v49
	;; [unrolled: 1-line block ×5, first 2 shown]
	v_or_b32_e32 v4, v50, v4
	v_or_b32_e32 v3, v3, v8
	;; [unrolled: 1-line block ×5, first 2 shown]
	v_and_b32_e32 v1, 0xffff, v1
	v_lshlrev_b32_e32 v2, 16, v2
	v_and_b32_e32 v5, 0xffff, v5
	v_lshlrev_b32_e32 v6, 16, v6
	v_and_b32_e32 v7, 0xffff, v7
	v_lshlrev_b32_e32 v4, 16, v4
	v_and_b32_e32 v3, 0xffff, v3
	v_lshlrev_b32_e32 v8, 16, v8
	v_and_b32_e32 v21, 0xffff, v21
	v_lshlrev_b32_e32 v22, 16, v22
	v_cndmask_b32_e64 v45, 0, 1, s54
	v_cndmask_b32_e64 v48, 0, 1, s56
	v_or_b32_e32 v44, v1, v2
	v_or_b32_e32 v47, v5, v6
	;; [unrolled: 1-line block ×5, first 2 shown]
	s_load_b64 s[4:5], s[0:1], 0x78
	s_and_b32 vcc_lo, exec_lo, s51
	s_wait_alu 0xfffe
	s_cbranch_vccnz .LBB1887_33
	s_branch .LBB1887_110
.LBB1887_32:
                                        ; implicit-def: $vgpr48
                                        ; implicit-def: $vgpr45
                                        ; implicit-def: $vgpr46
                                        ; implicit-def: $vgpr43
                                        ; implicit-def: $vgpr49
                                        ; implicit-def: $vgpr47
                                        ; implicit-def: $vgpr44
                                        ; implicit-def: $vgpr42
	s_load_b64 s[4:5], s[0:1], 0x78
	s_cbranch_execz .LBB1887_110
.LBB1887_33:
	v_dual_mov_b32 v2, 0 :: v_dual_mov_b32 v1, 0
	s_mov_b32 s1, exec_lo
	v_cmpx_gt_u32_e64 s33, v41
	s_cbranch_execz .LBB1887_37
; %bb.34:
	v_add_nc_u32_e32 v1, s17, v19
	v_add_nc_u32_e32 v2, s19, v19
	s_mov_b32 s3, 0
	s_mov_b32 s2, exec_lo
	s_delay_alu instid0(VALU_DEP_2) | instskip(NEXT) | instid1(VALU_DEP_2)
	v_mul_lo_u32 v1, v1, s16
	v_mul_lo_u32 v2, v2, s18
	s_delay_alu instid0(VALU_DEP_1) | instskip(NEXT) | instid1(VALU_DEP_1)
	v_sub_nc_u32_e32 v1, v1, v2
	v_cmp_lt_u32_e32 vcc_lo, s20, v1
	v_cmpx_ge_u32_e64 s20, v1
	s_cbranch_execz .LBB1887_36
; %bb.35:
	v_add_nc_u32_e32 v1, s22, v19
	v_add_nc_u32_e32 v2, s42, v19
	s_delay_alu instid0(VALU_DEP_2) | instskip(NEXT) | instid1(VALU_DEP_2)
	v_mul_lo_u32 v1, v1, s21
	v_mul_lo_u32 v2, v2, s23
	s_delay_alu instid0(VALU_DEP_1) | instskip(NEXT) | instid1(VALU_DEP_1)
	v_sub_nc_u32_e32 v1, v1, v2
	v_cmp_lt_u32_e64 s0, s43, v1
	s_and_b32 s3, s0, exec_lo
.LBB1887_36:
	s_wait_alu 0xfffe
	s_or_b32 exec_lo, exec_lo, s2
	v_cndmask_b32_e64 v2, 0, 1, s3
	s_wait_alu 0xfffd
	v_cndmask_b32_e64 v1, 0, 1, vcc_lo
.LBB1887_37:
	s_or_b32 exec_lo, exec_lo, s1
	s_delay_alu instid0(VALU_DEP_2) | instskip(SKIP_1) | instid1(VALU_DEP_3)
	v_lshlrev_b16 v2, 8, v2
	v_add_nc_u32_e32 v3, 1, v41
	v_and_b32_e32 v6, 0xff, v1
	v_lshlrev_b16 v1, 8, 0
                                        ; implicit-def: $vgpr5
                                        ; implicit-def: $vgpr8
                                        ; implicit-def: $vgpr4
	s_delay_alu instid0(VALU_DEP_4) | instskip(NEXT) | instid1(VALU_DEP_4)
	v_and_b32_e32 v2, 0xffff, v2
	v_cmp_le_u32_e32 vcc_lo, s33, v3
                                        ; implicit-def: $vgpr3
	s_delay_alu instid0(VALU_DEP_2) | instskip(SKIP_2) | instid1(SALU_CYCLE_1)
	v_lshrrev_b32_e32 v21, 8, v2
	v_and_b32_e32 v7, 0xff, v2
                                        ; implicit-def: $vgpr2
	s_and_saveexec_b32 s0, vcc_lo
	s_xor_b32 s0, exec_lo, s0
	s_cbranch_execz .LBB1887_39
; %bb.38:
	v_lshlrev_b16 v2, 8, v21
	v_and_b32_e32 v4, 0xffff, v1
                                        ; implicit-def: $vgpr21
	v_mov_b32_e32 v5, 0
	s_delay_alu instid0(VALU_DEP_3) | instskip(SKIP_1) | instid1(VALU_DEP_2)
	v_or_b32_e32 v3, v7, v2
	v_mov_b32_e32 v2, 0
                                        ; implicit-def: $vgpr7
	v_and_b32_e32 v8, 0xffff, v3
	v_and_b32_e32 v3, 0xffff, v1
                                        ; implicit-def: $vgpr1
.LBB1887_39:
	s_and_not1_saveexec_b32 s1, s0
	s_cbranch_execz .LBB1887_43
; %bb.40:
	v_add_nc_u32_e32 v2, s17, v20
	v_add_nc_u32_e32 v3, s19, v20
	s_mov_b32 s2, 0
	s_mov_b32 s3, exec_lo
	s_delay_alu instid0(VALU_DEP_2) | instskip(NEXT) | instid1(VALU_DEP_2)
	v_mul_lo_u32 v2, v2, s16
	v_mul_lo_u32 v3, v3, s18
	s_delay_alu instid0(VALU_DEP_1) | instskip(NEXT) | instid1(VALU_DEP_1)
	v_sub_nc_u32_e32 v2, v2, v3
	v_cmp_lt_u32_e32 vcc_lo, s20, v2
	v_cmpx_ge_u32_e64 s20, v2
	s_cbranch_execz .LBB1887_42
; %bb.41:
	v_add_nc_u32_e32 v2, s22, v20
	v_add_nc_u32_e32 v3, s42, v20
	s_delay_alu instid0(VALU_DEP_2) | instskip(NEXT) | instid1(VALU_DEP_2)
	v_mul_lo_u32 v2, v2, s21
	v_mul_lo_u32 v3, v3, s23
	s_delay_alu instid0(VALU_DEP_1) | instskip(NEXT) | instid1(VALU_DEP_1)
	v_sub_nc_u32_e32 v2, v2, v3
	v_cmp_lt_u32_e64 s0, s43, v2
	s_and_b32 s2, s0, exec_lo
.LBB1887_42:
	s_wait_alu 0xfffe
	s_or_b32 exec_lo, exec_lo, s3
	s_wait_alu 0xfffd
	v_cndmask_b32_e64 v2, 0, 1, vcc_lo
	v_lshlrev_b16 v3, 8, v21
	v_dual_mov_b32 v5, 0 :: v_dual_and_b32 v4, 0xffff, v1
	s_delay_alu instid0(VALU_DEP_3) | instskip(NEXT) | instid1(VALU_DEP_3)
	v_lshlrev_b16 v2, 8, v2
	v_or_b32_e32 v3, v7, v3
	v_cndmask_b32_e64 v7, 0, 1, s2
	s_delay_alu instid0(VALU_DEP_3) | instskip(NEXT) | instid1(VALU_DEP_3)
	v_or_b32_e32 v6, v6, v2
	v_dual_mov_b32 v2, 0 :: v_dual_and_b32 v3, 0xffff, v3
	s_delay_alu instid0(VALU_DEP_2) | instskip(NEXT) | instid1(VALU_DEP_2)
	v_and_b32_e32 v6, 0xffff, v6
	v_lshl_or_b32 v8, v7, 16, v3
	v_and_b32_e32 v3, 0xffff, v1
.LBB1887_43:
	s_or_b32 exec_lo, exec_lo, s1
	v_add_nc_u32_e32 v1, 2, v41
	v_and_b32_e32 v21, 0xff, v6
	v_lshrrev_b32_e32 v22, 8, v6
                                        ; implicit-def: $vgpr7
	s_delay_alu instid0(VALU_DEP_3) | instskip(SKIP_1) | instid1(SALU_CYCLE_1)
	v_cmp_le_u32_e32 vcc_lo, s33, v1
                                        ; implicit-def: $vgpr1
	s_and_saveexec_b32 s0, vcc_lo
	s_xor_b32 s0, exec_lo, s0
	s_cbranch_execz .LBB1887_45
; %bb.44:
	v_lshlrev_b16 v1, 8, v22
	v_perm_b32 v4, v4, v4, 0x3060504
                                        ; implicit-def: $vgpr22
	s_delay_alu instid0(VALU_DEP_2) | instskip(SKIP_1) | instid1(VALU_DEP_2)
	v_or_b32_e32 v1, v21, v1
	v_and_b32_e32 v21, 0xff0000, v8
	v_and_b32_e32 v1, 0xffff, v1
	s_delay_alu instid0(VALU_DEP_1) | instskip(NEXT) | instid1(VALU_DEP_3)
	v_and_or_b32 v7, 0xff000000, v6, v1
	v_perm_b32 v1, v8, v21, 0x3020504
                                        ; implicit-def: $vgpr21
                                        ; implicit-def: $vgpr6
                                        ; implicit-def: $vgpr8
.LBB1887_45:
	s_and_not1_saveexec_b32 s1, s0
	s_cbranch_execz .LBB1887_49
; %bb.46:
	v_add_nc_u32_e32 v1, s17, v17
	v_add_nc_u32_e32 v7, s19, v17
	s_mov_b32 s2, 0
	s_mov_b32 s3, exec_lo
	s_delay_alu instid0(VALU_DEP_2) | instskip(NEXT) | instid1(VALU_DEP_2)
	v_mul_lo_u32 v1, v1, s16
	v_mul_lo_u32 v7, v7, s18
	s_delay_alu instid0(VALU_DEP_1) | instskip(NEXT) | instid1(VALU_DEP_1)
	v_sub_nc_u32_e32 v1, v1, v7
	v_cmp_lt_u32_e32 vcc_lo, s20, v1
	v_cmpx_ge_u32_e64 s20, v1
	s_cbranch_execz .LBB1887_48
; %bb.47:
	v_add_nc_u32_e32 v1, s22, v17
	v_add_nc_u32_e32 v7, s42, v17
	s_delay_alu instid0(VALU_DEP_2) | instskip(NEXT) | instid1(VALU_DEP_2)
	v_mul_lo_u32 v1, v1, s21
	v_mul_lo_u32 v7, v7, s23
	s_delay_alu instid0(VALU_DEP_1) | instskip(NEXT) | instid1(VALU_DEP_1)
	v_sub_nc_u32_e32 v1, v1, v7
	v_cmp_lt_u32_e64 s0, s43, v1
	s_and_b32 s2, s0, exec_lo
.LBB1887_48:
	s_wait_alu 0xfffe
	s_or_b32 exec_lo, exec_lo, s3
	v_lshrrev_b32_e32 v6, 24, v6
	v_cndmask_b32_e64 v7, 0, 1, s2
	v_lshrrev_b32_e32 v23, 8, v8
	v_lshrrev_b32_e32 v24, 16, v8
	s_wait_alu 0xfffd
	v_cndmask_b32_e64 v1, 0, 1, vcc_lo
	v_lshlrev_b16 v22, 8, v22
	v_lshlrev_b16 v6, 8, v6
	v_and_b32_e32 v8, 0xff, v8
	v_lshlrev_b16 v23, 8, v23
	v_lshlrev_b16 v7, 8, v7
	v_and_b32_e32 v24, 0xff, v24
	v_or_b32_e32 v21, v21, v22
	v_or_b32_e32 v1, v1, v6
	;; [unrolled: 1-line block ×3, first 2 shown]
	s_delay_alu instid0(VALU_DEP_4) | instskip(NEXT) | instid1(VALU_DEP_4)
	v_or_b32_e32 v7, v24, v7
	v_and_b32_e32 v8, 0xffff, v21
	s_delay_alu instid0(VALU_DEP_4) | instskip(NEXT) | instid1(VALU_DEP_4)
	v_lshlrev_b32_e32 v1, 16, v1
	v_and_b32_e32 v6, 0xffff, v6
	s_delay_alu instid0(VALU_DEP_4) | instskip(NEXT) | instid1(VALU_DEP_3)
	v_lshlrev_b32_e32 v21, 16, v7
	v_or_b32_e32 v7, v8, v1
	s_delay_alu instid0(VALU_DEP_2)
	v_or_b32_e32 v1, v6, v21
.LBB1887_49:
	s_or_b32 exec_lo, exec_lo, s1
	v_add_nc_u32_e32 v6, 3, v41
	v_lshrrev_b32_e32 v8, 24, v5
	v_lshrrev_b32_e32 v21, 16, v5
	v_lshrrev_b32_e32 v5, 8, v5
                                        ; implicit-def: $vgpr42
	s_delay_alu instid0(VALU_DEP_4) | instskip(SKIP_1) | instid1(SALU_CYCLE_1)
	v_cmp_le_u32_e32 vcc_lo, s33, v6
                                        ; implicit-def: $vgpr6
	s_and_saveexec_b32 s0, vcc_lo
	s_xor_b32 s0, exec_lo, s0
	s_cbranch_execz .LBB1887_51
; %bb.50:
	v_lshlrev_b16 v6, 8, v8
	v_and_b32_e32 v8, 0xff, v21
	v_lshlrev_b16 v5, 8, v5
	v_perm_b32 v4, v4, v4, 0x3060504
	v_perm_b32 v3, v3, v3, 0x3060504
                                        ; implicit-def: $vgpr21
	s_delay_alu instid0(VALU_DEP_4) | instskip(SKIP_2) | instid1(VALU_DEP_3)
	v_or_b32_e32 v6, v8, v6
	v_and_b32_e32 v8, 0xff0000, v7
	v_and_b32_e32 v5, 0xffff, v5
	v_lshlrev_b32_e32 v6, 16, v6
	s_delay_alu instid0(VALU_DEP_3) | instskip(NEXT) | instid1(VALU_DEP_2)
	v_perm_b32 v42, v7, v8, 0x3020504
                                        ; implicit-def: $vgpr7
                                        ; implicit-def: $vgpr8
	v_or_b32_e32 v6, v5, v6
                                        ; implicit-def: $vgpr5
.LBB1887_51:
	s_and_not1_saveexec_b32 s1, s0
	s_cbranch_execz .LBB1887_55
; %bb.52:
	v_add_nc_u32_e32 v6, s17, v18
	v_add_nc_u32_e32 v22, s19, v18
	s_mov_b32 s2, 0
	s_mov_b32 s3, exec_lo
	s_delay_alu instid0(VALU_DEP_2) | instskip(NEXT) | instid1(VALU_DEP_2)
	v_mul_lo_u32 v6, v6, s16
	v_mul_lo_u32 v22, v22, s18
	s_delay_alu instid0(VALU_DEP_1) | instskip(NEXT) | instid1(VALU_DEP_1)
	v_sub_nc_u32_e32 v6, v6, v22
	v_cmp_lt_u32_e32 vcc_lo, s20, v6
	v_cmpx_ge_u32_e64 s20, v6
	s_cbranch_execz .LBB1887_54
; %bb.53:
	v_add_nc_u32_e32 v6, s22, v18
	v_add_nc_u32_e32 v22, s42, v18
	s_delay_alu instid0(VALU_DEP_2) | instskip(NEXT) | instid1(VALU_DEP_2)
	v_mul_lo_u32 v6, v6, s21
	v_mul_lo_u32 v22, v22, s23
	s_delay_alu instid0(VALU_DEP_1) | instskip(NEXT) | instid1(VALU_DEP_1)
	v_sub_nc_u32_e32 v6, v6, v22
	v_cmp_lt_u32_e64 s0, s43, v6
	s_and_b32 s2, s0, exec_lo
.LBB1887_54:
	s_wait_alu 0xfffe
	s_or_b32 exec_lo, exec_lo, s3
	v_lshrrev_b32_e32 v6, 8, v7
	s_wait_alu 0xfffd
	v_cndmask_b32_e64 v22, 0, 1, vcc_lo
	v_lshrrev_b32_e32 v23, 16, v7
	v_cndmask_b32_e64 v24, 0, 1, s2
	v_and_b32_e32 v7, 0xff, v7
	v_lshlrev_b16 v6, 8, v6
	v_lshlrev_b16 v22, 8, v22
	v_and_b32_e32 v23, 0xff, v23
	v_lshlrev_b16 v8, 8, v8
	v_and_b32_e32 v21, 0xff, v21
	v_lshlrev_b16 v5, 8, v5
	v_or_b32_e32 v6, v7, v6
	v_or_b32_e32 v7, v23, v22
	s_delay_alu instid0(VALU_DEP_4) | instskip(NEXT) | instid1(VALU_DEP_4)
	v_or_b32_e32 v8, v21, v8
	v_or_b32_e32 v5, v24, v5
	s_delay_alu instid0(VALU_DEP_4) | instskip(NEXT) | instid1(VALU_DEP_4)
	v_and_b32_e32 v6, 0xffff, v6
	v_lshlrev_b32_e32 v7, 16, v7
	s_delay_alu instid0(VALU_DEP_4) | instskip(NEXT) | instid1(VALU_DEP_4)
	v_lshlrev_b32_e32 v8, 16, v8
	v_and_b32_e32 v5, 0xffff, v5
	s_delay_alu instid0(VALU_DEP_3) | instskip(NEXT) | instid1(VALU_DEP_2)
	v_or_b32_e32 v42, v6, v7
	v_or_b32_e32 v6, v5, v8
.LBB1887_55:
	s_or_b32 exec_lo, exec_lo, s1
	v_add_nc_u32_e32 v5, 4, v41
	v_lshrrev_b32_e32 v21, 8, v4
	v_lshrrev_b32_e32 v22, 16, v4
	;; [unrolled: 1-line block ×4, first 2 shown]
	v_cmp_le_u32_e32 vcc_lo, s33, v5
	v_lshrrev_b32_e32 v8, 16, v6
                                        ; implicit-def: $vgpr4
                                        ; implicit-def: $vgpr5
	s_and_saveexec_b32 s0, vcc_lo
	s_delay_alu instid0(SALU_CYCLE_1)
	s_xor_b32 s0, exec_lo, s0
	s_cbranch_execz .LBB1887_57
; %bb.56:
	v_lshlrev_b16 v4, 8, v23
	v_and_b32_e32 v5, 0xff, v22
	v_lshlrev_b16 v21, 8, v21
	v_lshlrev_b16 v7, 8, v7
	v_and_b32_e32 v8, 0xff, v8
	v_perm_b32 v3, v3, v3, 0x3060504
	v_or_b32_e32 v4, v5, v4
	v_and_b32_e32 v5, 0xffff, v21
                                        ; implicit-def: $vgpr21
                                        ; implicit-def: $vgpr22
                                        ; implicit-def: $vgpr23
	s_delay_alu instid0(VALU_DEP_4) | instskip(NEXT) | instid1(VALU_DEP_3)
	v_or_b32_e32 v7, v8, v7
	v_lshlrev_b32_e32 v8, 16, v4
	s_delay_alu instid0(VALU_DEP_2) | instskip(NEXT) | instid1(VALU_DEP_2)
	v_perm_b32 v4, v7, v6, 0x5040c00
                                        ; implicit-def: $vgpr6
                                        ; implicit-def: $vgpr7
	v_or_b32_e32 v5, v5, v8
                                        ; implicit-def: $vgpr8
.LBB1887_57:
	s_and_not1_saveexec_b32 s1, s0
	s_cbranch_execz .LBB1887_61
; %bb.58:
	v_add_nc_u32_e32 v4, s17, v15
	v_add_nc_u32_e32 v5, s19, v15
	s_mov_b32 s2, 0
	s_mov_b32 s3, exec_lo
	s_delay_alu instid0(VALU_DEP_2) | instskip(NEXT) | instid1(VALU_DEP_2)
	v_mul_lo_u32 v4, v4, s16
	v_mul_lo_u32 v5, v5, s18
	s_delay_alu instid0(VALU_DEP_1) | instskip(NEXT) | instid1(VALU_DEP_1)
	v_sub_nc_u32_e32 v4, v4, v5
	v_cmp_lt_u32_e32 vcc_lo, s20, v4
	v_cmpx_ge_u32_e64 s20, v4
	s_cbranch_execz .LBB1887_60
; %bb.59:
	v_add_nc_u32_e32 v4, s22, v15
	v_add_nc_u32_e32 v5, s42, v15
	s_delay_alu instid0(VALU_DEP_2) | instskip(NEXT) | instid1(VALU_DEP_2)
	v_mul_lo_u32 v4, v4, s21
	v_mul_lo_u32 v5, v5, s23
	s_delay_alu instid0(VALU_DEP_1) | instskip(NEXT) | instid1(VALU_DEP_1)
	v_sub_nc_u32_e32 v4, v4, v5
	v_cmp_lt_u32_e64 s0, s43, v4
	s_and_b32 s2, s0, exec_lo
.LBB1887_60:
	s_wait_alu 0xfffe
	s_or_b32 exec_lo, exec_lo, s3
	v_cndmask_b32_e64 v4, 0, 1, s2
	s_wait_alu 0xfffd
	v_cndmask_b32_e64 v5, 0, 1, vcc_lo
	v_lshlrev_b16 v23, 8, v23
	v_and_b32_e32 v22, 0xff, v22
	v_lshlrev_b16 v21, 8, v21
	v_lshlrev_b16 v4, 8, v4
	v_and_b32_e32 v6, 0xff, v6
	v_lshlrev_b16 v7, 8, v7
	v_and_b32_e32 v8, 0xff, v8
	v_or_b32_e32 v22, v22, v23
	v_or_b32_e32 v5, v5, v21
	;; [unrolled: 1-line block ×3, first 2 shown]
	s_delay_alu instid0(VALU_DEP_4) | instskip(NEXT) | instid1(VALU_DEP_4)
	v_or_b32_e32 v6, v8, v7
	v_lshlrev_b32_e32 v7, 16, v22
	s_delay_alu instid0(VALU_DEP_4) | instskip(NEXT) | instid1(VALU_DEP_4)
	v_and_b32_e32 v5, 0xffff, v5
	v_and_b32_e32 v4, 0xffff, v4
	s_delay_alu instid0(VALU_DEP_4) | instskip(NEXT) | instid1(VALU_DEP_3)
	v_lshlrev_b32_e32 v6, 16, v6
	v_or_b32_e32 v5, v5, v7
	s_delay_alu instid0(VALU_DEP_2)
	v_or_b32_e32 v4, v4, v6
.LBB1887_61:
	s_or_b32 exec_lo, exec_lo, s1
	v_add_nc_u32_e32 v6, 5, v41
	s_delay_alu instid0(VALU_DEP_2)
	v_lshrrev_b32_e32 v21, 16, v5
	v_lshrrev_b32_e32 v23, 24, v5
	v_and_b32_e32 v8, 0xff, v4
	v_lshrrev_b32_e32 v22, 8, v4
	v_cmp_le_u32_e32 vcc_lo, s33, v6
                                        ; implicit-def: $vgpr6
                                        ; implicit-def: $vgpr7
	s_and_saveexec_b32 s0, vcc_lo
	s_delay_alu instid0(SALU_CYCLE_1)
	s_xor_b32 s0, exec_lo, s0
	s_cbranch_execz .LBB1887_63
; %bb.62:
	v_lshlrev_b16 v6, 8, v22
	v_lshlrev_b16 v7, 8, v23
	v_and_b32_e32 v21, 0xff, v21
	v_perm_b32 v3, v3, v3, 0x3060504
                                        ; implicit-def: $vgpr23
                                        ; implicit-def: $vgpr22
	s_delay_alu instid0(VALU_DEP_4) | instskip(NEXT) | instid1(VALU_DEP_3)
	v_or_b32_e32 v6, v8, v6
                                        ; implicit-def: $vgpr8
	v_or_b32_e32 v7, v21, v7
                                        ; implicit-def: $vgpr21
	s_delay_alu instid0(VALU_DEP_2) | instskip(NEXT) | instid1(VALU_DEP_2)
	v_and_b32_e32 v6, 0xffff, v6
	v_perm_b32 v7, v7, v5, 0x5040c00
                                        ; implicit-def: $vgpr5
	s_delay_alu instid0(VALU_DEP_2)
	v_and_or_b32 v6, 0xff000000, v4, v6
                                        ; implicit-def: $vgpr4
.LBB1887_63:
	s_and_not1_saveexec_b32 s1, s0
	s_cbranch_execz .LBB1887_67
; %bb.64:
	v_add_nc_u32_e32 v6, s17, v16
	v_add_nc_u32_e32 v7, s19, v16
	s_mov_b32 s2, 0
	s_mov_b32 s3, exec_lo
	s_delay_alu instid0(VALU_DEP_2) | instskip(NEXT) | instid1(VALU_DEP_2)
	v_mul_lo_u32 v6, v6, s16
	v_mul_lo_u32 v7, v7, s18
	s_delay_alu instid0(VALU_DEP_1) | instskip(NEXT) | instid1(VALU_DEP_1)
	v_sub_nc_u32_e32 v6, v6, v7
	v_cmp_lt_u32_e32 vcc_lo, s20, v6
	v_cmpx_ge_u32_e64 s20, v6
	s_cbranch_execz .LBB1887_66
; %bb.65:
	v_add_nc_u32_e32 v6, s22, v16
	v_add_nc_u32_e32 v7, s42, v16
	s_delay_alu instid0(VALU_DEP_2) | instskip(NEXT) | instid1(VALU_DEP_2)
	v_mul_lo_u32 v6, v6, s21
	v_mul_lo_u32 v7, v7, s23
	s_delay_alu instid0(VALU_DEP_1) | instskip(NEXT) | instid1(VALU_DEP_1)
	v_sub_nc_u32_e32 v6, v6, v7
	v_cmp_lt_u32_e64 s0, s43, v6
	s_and_b32 s2, s0, exec_lo
.LBB1887_66:
	s_wait_alu 0xfffe
	s_or_b32 exec_lo, exec_lo, s3
	s_wait_alu 0xfffd
	v_cndmask_b32_e64 v6, 0, 1, vcc_lo
	v_lshrrev_b32_e32 v4, 24, v4
	v_cndmask_b32_e64 v7, 0, 1, s2
	v_lshlrev_b16 v23, 8, v23
	v_and_b32_e32 v21, 0xff, v21
	v_lshlrev_b16 v6, 8, v6
	v_lshlrev_b16 v22, 8, v22
	v_and_b32_e32 v5, 0xff, v5
	v_lshlrev_b16 v4, 8, v4
	v_or_b32_e32 v21, v21, v23
	s_delay_alu instid0(VALU_DEP_4) | instskip(NEXT) | instid1(VALU_DEP_4)
	v_or_b32_e32 v8, v8, v22
	v_or_b32_e32 v5, v5, v6
	s_delay_alu instid0(VALU_DEP_4) | instskip(NEXT) | instid1(VALU_DEP_4)
	v_or_b32_e32 v4, v7, v4
	v_lshlrev_b32_e32 v6, 16, v21
	s_delay_alu instid0(VALU_DEP_4) | instskip(NEXT) | instid1(VALU_DEP_4)
	v_and_b32_e32 v8, 0xffff, v8
	v_and_b32_e32 v5, 0xffff, v5
	s_delay_alu instid0(VALU_DEP_4) | instskip(NEXT) | instid1(VALU_DEP_2)
	v_lshlrev_b32_e32 v4, 16, v4
	v_or_b32_e32 v7, v5, v6
	s_delay_alu instid0(VALU_DEP_2)
	v_or_b32_e32 v6, v8, v4
.LBB1887_67:
	s_or_b32 exec_lo, exec_lo, s1
	v_add_nc_u32_e32 v4, 6, v41
	s_delay_alu instid0(VALU_DEP_3) | instskip(NEXT) | instid1(VALU_DEP_2)
	v_lshrrev_b32_e32 v8, 8, v7
                                        ; implicit-def: $vgpr43
                                        ; implicit-def: $vgpr5
	v_cmp_le_u32_e32 vcc_lo, s33, v4
	v_and_b32_e32 v4, 0xff, v7
	s_and_saveexec_b32 s0, vcc_lo
	s_delay_alu instid0(SALU_CYCLE_1)
	s_xor_b32 s0, exec_lo, s0
	s_cbranch_execz .LBB1887_69
; %bb.68:
	v_lshlrev_b16 v5, 8, v8
	v_perm_b32 v3, v3, v3, 0x3060504
                                        ; implicit-def: $vgpr8
	s_delay_alu instid0(VALU_DEP_2) | instskip(SKIP_1) | instid1(VALU_DEP_2)
	v_or_b32_e32 v4, v4, v5
	v_and_b32_e32 v5, 0xff0000, v6
	v_and_b32_e32 v4, 0xffff, v4
	s_delay_alu instid0(VALU_DEP_2) | instskip(NEXT) | instid1(VALU_DEP_2)
	v_perm_b32 v43, v6, v5, 0x3020504
                                        ; implicit-def: $vgpr6
	v_and_or_b32 v5, 0xff000000, v7, v4
                                        ; implicit-def: $vgpr4
                                        ; implicit-def: $vgpr7
.LBB1887_69:
	s_and_not1_saveexec_b32 s1, s0
	s_cbranch_execz .LBB1887_73
; %bb.70:
	v_add_nc_u32_e32 v5, s17, v13
	v_add_nc_u32_e32 v21, s19, v13
	s_mov_b32 s2, 0
	s_mov_b32 s3, exec_lo
	s_delay_alu instid0(VALU_DEP_2) | instskip(NEXT) | instid1(VALU_DEP_2)
	v_mul_lo_u32 v5, v5, s16
	v_mul_lo_u32 v21, v21, s18
	s_delay_alu instid0(VALU_DEP_1) | instskip(NEXT) | instid1(VALU_DEP_1)
	v_sub_nc_u32_e32 v5, v5, v21
	v_cmp_lt_u32_e32 vcc_lo, s20, v5
	v_cmpx_ge_u32_e64 s20, v5
	s_cbranch_execz .LBB1887_72
; %bb.71:
	v_add_nc_u32_e32 v5, s22, v13
	v_add_nc_u32_e32 v21, s42, v13
	s_delay_alu instid0(VALU_DEP_2) | instskip(NEXT) | instid1(VALU_DEP_2)
	v_mul_lo_u32 v5, v5, s21
	v_mul_lo_u32 v21, v21, s23
	s_delay_alu instid0(VALU_DEP_1) | instskip(NEXT) | instid1(VALU_DEP_1)
	v_sub_nc_u32_e32 v5, v5, v21
	v_cmp_lt_u32_e64 s0, s43, v5
	s_and_b32 s2, s0, exec_lo
.LBB1887_72:
	s_wait_alu 0xfffe
	s_or_b32 exec_lo, exec_lo, s3
	v_lshrrev_b32_e32 v7, 24, v7
	v_cndmask_b32_e64 v21, 0, 1, s2
	v_lshrrev_b32_e32 v22, 8, v6
	v_lshrrev_b32_e32 v23, 16, v6
	s_wait_alu 0xfffd
	v_cndmask_b32_e64 v5, 0, 1, vcc_lo
	v_lshlrev_b16 v8, 8, v8
	v_lshlrev_b16 v7, 8, v7
	v_and_b32_e32 v6, 0xff, v6
	v_lshlrev_b16 v22, 8, v22
	v_lshlrev_b16 v21, 8, v21
	v_and_b32_e32 v23, 0xff, v23
	v_or_b32_e32 v4, v4, v8
	v_or_b32_e32 v5, v5, v7
	;; [unrolled: 1-line block ×3, first 2 shown]
	s_delay_alu instid0(VALU_DEP_4) | instskip(NEXT) | instid1(VALU_DEP_4)
	v_or_b32_e32 v7, v23, v21
	v_and_b32_e32 v4, 0xffff, v4
	s_delay_alu instid0(VALU_DEP_4) | instskip(NEXT) | instid1(VALU_DEP_4)
	v_lshlrev_b32_e32 v5, 16, v5
	v_and_b32_e32 v6, 0xffff, v6
	s_delay_alu instid0(VALU_DEP_4) | instskip(NEXT) | instid1(VALU_DEP_3)
	v_lshlrev_b32_e32 v7, 16, v7
	v_or_b32_e32 v5, v4, v5
	s_delay_alu instid0(VALU_DEP_2)
	v_or_b32_e32 v43, v6, v7
.LBB1887_73:
	s_or_b32 exec_lo, exec_lo, s1
	v_add_nc_u32_e32 v4, 7, v41
	v_lshrrev_b32_e32 v6, 8, v3
	v_lshrrev_b32_e32 v7, 16, v3
	;; [unrolled: 1-line block ×3, first 2 shown]
                                        ; implicit-def: $vgpr44
	s_delay_alu instid0(VALU_DEP_4) | instskip(SKIP_1) | instid1(SALU_CYCLE_1)
	v_cmp_le_u32_e32 vcc_lo, s33, v4
                                        ; implicit-def: $vgpr4
	s_and_saveexec_b32 s0, vcc_lo
	s_xor_b32 s0, exec_lo, s0
	s_cbranch_execz .LBB1887_75
; %bb.74:
	v_lshlrev_b16 v3, 8, v3
	v_and_b32_e32 v4, 0xff, v7
                                        ; implicit-def: $vgpr7
	s_delay_alu instid0(VALU_DEP_1) | instskip(SKIP_2) | instid1(VALU_DEP_3)
	v_or_b32_e32 v3, v4, v3
	v_lshlrev_b16 v4, 8, v6
	v_and_b32_e32 v6, 0xff0000, v5
	v_lshlrev_b32_e32 v3, 16, v3
	s_delay_alu instid0(VALU_DEP_3) | instskip(NEXT) | instid1(VALU_DEP_3)
	v_and_b32_e32 v4, 0xffff, v4
	v_perm_b32 v44, v5, v6, 0x3020504
                                        ; implicit-def: $vgpr5
                                        ; implicit-def: $vgpr6
	s_delay_alu instid0(VALU_DEP_2)
	v_or_b32_e32 v4, v4, v3
                                        ; implicit-def: $vgpr3
.LBB1887_75:
	s_and_not1_saveexec_b32 s1, s0
	s_cbranch_execz .LBB1887_79
; %bb.76:
	v_add_nc_u32_e32 v4, s17, v14
	v_add_nc_u32_e32 v8, s19, v14
	s_mov_b32 s2, 0
	s_mov_b32 s3, exec_lo
	s_delay_alu instid0(VALU_DEP_2) | instskip(NEXT) | instid1(VALU_DEP_2)
	v_mul_lo_u32 v4, v4, s16
	v_mul_lo_u32 v8, v8, s18
	s_delay_alu instid0(VALU_DEP_1) | instskip(NEXT) | instid1(VALU_DEP_1)
	v_sub_nc_u32_e32 v4, v4, v8
	v_cmp_lt_u32_e32 vcc_lo, s20, v4
	v_cmpx_ge_u32_e64 s20, v4
	s_cbranch_execz .LBB1887_78
; %bb.77:
	v_add_nc_u32_e32 v4, s22, v14
	v_add_nc_u32_e32 v8, s42, v14
	s_delay_alu instid0(VALU_DEP_2) | instskip(NEXT) | instid1(VALU_DEP_2)
	v_mul_lo_u32 v4, v4, s21
	v_mul_lo_u32 v8, v8, s23
	s_delay_alu instid0(VALU_DEP_1) | instskip(NEXT) | instid1(VALU_DEP_1)
	v_sub_nc_u32_e32 v4, v4, v8
	v_cmp_lt_u32_e64 s0, s43, v4
	s_and_b32 s2, s0, exec_lo
.LBB1887_78:
	s_wait_alu 0xfffe
	s_or_b32 exec_lo, exec_lo, s3
	v_lshrrev_b32_e32 v4, 8, v5
	s_wait_alu 0xfffd
	v_cndmask_b32_e64 v8, 0, 1, vcc_lo
	v_lshrrev_b32_e32 v21, 16, v5
	v_cndmask_b32_e64 v22, 0, 1, s2
	v_and_b32_e32 v5, 0xff, v5
	v_lshlrev_b16 v4, 8, v4
	v_lshlrev_b16 v8, 8, v8
	v_and_b32_e32 v21, 0xff, v21
	v_lshlrev_b16 v3, 8, v3
	v_and_b32_e32 v7, 0xff, v7
	v_lshlrev_b16 v6, 8, v6
	v_or_b32_e32 v4, v5, v4
	v_or_b32_e32 v5, v21, v8
	s_delay_alu instid0(VALU_DEP_4) | instskip(NEXT) | instid1(VALU_DEP_4)
	v_or_b32_e32 v3, v7, v3
	v_or_b32_e32 v6, v22, v6
	s_delay_alu instid0(VALU_DEP_4) | instskip(NEXT) | instid1(VALU_DEP_4)
	v_and_b32_e32 v4, 0xffff, v4
	v_lshlrev_b32_e32 v5, 16, v5
	s_delay_alu instid0(VALU_DEP_4) | instskip(NEXT) | instid1(VALU_DEP_4)
	v_lshlrev_b32_e32 v3, 16, v3
	v_and_b32_e32 v6, 0xffff, v6
	s_delay_alu instid0(VALU_DEP_3) | instskip(NEXT) | instid1(VALU_DEP_2)
	v_or_b32_e32 v44, v4, v5
	v_or_b32_e32 v4, v6, v3
.LBB1887_79:
	s_or_b32 exec_lo, exec_lo, s1
	v_add_nc_u32_e32 v3, 8, v41
	s_delay_alu instid0(VALU_DEP_2)
	v_lshrrev_b32_e32 v5, 16, v4
	v_lshrrev_b32_e32 v6, 24, v4
	;; [unrolled: 1-line block ×4, first 2 shown]
	v_cmp_le_u32_e32 vcc_lo, s33, v3
	v_lshrrev_b32_e32 v7, 8, v2
                                        ; implicit-def: $vgpr2
                                        ; implicit-def: $vgpr3
	s_and_saveexec_b32 s0, vcc_lo
	s_delay_alu instid0(SALU_CYCLE_1)
	s_xor_b32 s0, exec_lo, s0
	s_cbranch_execz .LBB1887_81
; %bb.80:
	v_lshlrev_b16 v2, 8, v8
	v_and_b32_e32 v3, 0xff, v21
	v_lshlrev_b16 v7, 8, v7
	v_lshlrev_b16 v6, 8, v6
	v_perm_b32 v1, v1, v1, 0x3060504
                                        ; implicit-def: $vgpr8
                                        ; implicit-def: $vgpr21
	s_delay_alu instid0(VALU_DEP_4) | instskip(SKIP_2) | instid1(VALU_DEP_3)
	v_or_b32_e32 v2, v3, v2
	v_and_b32_e32 v3, 0xff, v5
	v_and_b32_e32 v5, 0xffff, v7
                                        ; implicit-def: $vgpr7
	v_lshlrev_b32_e32 v2, 16, v2
	s_delay_alu instid0(VALU_DEP_3) | instskip(NEXT) | instid1(VALU_DEP_2)
	v_or_b32_e32 v6, v3, v6
	v_or_b32_e32 v3, v5, v2
	s_delay_alu instid0(VALU_DEP_2)
	v_perm_b32 v2, v6, v4, 0x5040c00
                                        ; implicit-def: $vgpr4
                                        ; implicit-def: $vgpr5
                                        ; implicit-def: $vgpr6
.LBB1887_81:
	s_and_not1_saveexec_b32 s1, s0
	s_cbranch_execz .LBB1887_85
; %bb.82:
	v_add_nc_u32_e32 v2, s17, v11
	v_add_nc_u32_e32 v3, s19, v11
	s_mov_b32 s2, 0
	s_mov_b32 s3, exec_lo
	s_delay_alu instid0(VALU_DEP_2) | instskip(NEXT) | instid1(VALU_DEP_2)
	v_mul_lo_u32 v2, v2, s16
	v_mul_lo_u32 v3, v3, s18
	s_delay_alu instid0(VALU_DEP_1) | instskip(NEXT) | instid1(VALU_DEP_1)
	v_sub_nc_u32_e32 v2, v2, v3
	v_cmp_lt_u32_e32 vcc_lo, s20, v2
	v_cmpx_ge_u32_e64 s20, v2
	s_cbranch_execz .LBB1887_84
; %bb.83:
	v_add_nc_u32_e32 v2, s22, v11
	v_add_nc_u32_e32 v3, s42, v11
	s_delay_alu instid0(VALU_DEP_2) | instskip(NEXT) | instid1(VALU_DEP_2)
	v_mul_lo_u32 v2, v2, s21
	v_mul_lo_u32 v3, v3, s23
	s_delay_alu instid0(VALU_DEP_1) | instskip(NEXT) | instid1(VALU_DEP_1)
	v_sub_nc_u32_e32 v2, v2, v3
	v_cmp_lt_u32_e64 s0, s43, v2
	s_and_b32 s2, s0, exec_lo
.LBB1887_84:
	s_wait_alu 0xfffe
	s_or_b32 exec_lo, exec_lo, s3
	v_cndmask_b32_e64 v2, 0, 1, s2
	s_wait_alu 0xfffd
	v_cndmask_b32_e64 v3, 0, 1, vcc_lo
	v_lshlrev_b16 v8, 8, v8
	v_and_b32_e32 v21, 0xff, v21
	v_lshlrev_b16 v7, 8, v7
	v_lshlrev_b16 v2, 8, v2
	v_and_b32_e32 v4, 0xff, v4
	v_lshlrev_b16 v6, 8, v6
	v_and_b32_e32 v5, 0xff, v5
	v_or_b32_e32 v8, v21, v8
	v_or_b32_e32 v3, v3, v7
	;; [unrolled: 1-line block ×3, first 2 shown]
	s_delay_alu instid0(VALU_DEP_4) | instskip(NEXT) | instid1(VALU_DEP_4)
	v_or_b32_e32 v4, v5, v6
	v_lshlrev_b32_e32 v5, 16, v8
	s_delay_alu instid0(VALU_DEP_4) | instskip(NEXT) | instid1(VALU_DEP_4)
	v_and_b32_e32 v3, 0xffff, v3
	v_and_b32_e32 v2, 0xffff, v2
	s_delay_alu instid0(VALU_DEP_4) | instskip(NEXT) | instid1(VALU_DEP_3)
	v_lshlrev_b32_e32 v4, 16, v4
	v_or_b32_e32 v3, v3, v5
	s_delay_alu instid0(VALU_DEP_2)
	v_or_b32_e32 v2, v2, v4
.LBB1887_85:
	s_or_b32 exec_lo, exec_lo, s1
	v_add_nc_u32_e32 v4, 9, v41
	s_delay_alu instid0(VALU_DEP_2)
	v_lshrrev_b32_e32 v6, 8, v2
	v_lshrrev_b32_e32 v21, 24, v3
	;; [unrolled: 1-line block ×3, first 2 shown]
	v_and_b32_e32 v7, 0xff, v2
	v_cmp_le_u32_e32 vcc_lo, s33, v4
                                        ; implicit-def: $vgpr4
                                        ; implicit-def: $vgpr5
	s_and_saveexec_b32 s0, vcc_lo
	s_delay_alu instid0(SALU_CYCLE_1)
	s_xor_b32 s0, exec_lo, s0
	s_cbranch_execz .LBB1887_87
; %bb.86:
	v_lshlrev_b16 v4, 8, v6
	v_lshlrev_b16 v5, 8, v21
	v_and_b32_e32 v6, 0xff, v8
	v_perm_b32 v1, v1, v1, 0x3060504
                                        ; implicit-def: $vgpr21
                                        ; implicit-def: $vgpr8
	s_delay_alu instid0(VALU_DEP_4) | instskip(NEXT) | instid1(VALU_DEP_3)
	v_or_b32_e32 v4, v7, v4
                                        ; implicit-def: $vgpr7
	v_or_b32_e32 v5, v6, v5
                                        ; implicit-def: $vgpr6
	s_delay_alu instid0(VALU_DEP_2) | instskip(NEXT) | instid1(VALU_DEP_2)
	v_and_b32_e32 v4, 0xffff, v4
	v_perm_b32 v5, v5, v3, 0x5040c00
                                        ; implicit-def: $vgpr3
	s_delay_alu instid0(VALU_DEP_2)
	v_and_or_b32 v4, 0xff000000, v2, v4
                                        ; implicit-def: $vgpr2
.LBB1887_87:
	s_and_not1_saveexec_b32 s1, s0
	s_cbranch_execz .LBB1887_91
; %bb.88:
	v_add_nc_u32_e32 v4, s17, v12
	v_add_nc_u32_e32 v5, s19, v12
	s_mov_b32 s2, 0
	s_mov_b32 s3, exec_lo
	s_delay_alu instid0(VALU_DEP_2) | instskip(NEXT) | instid1(VALU_DEP_2)
	v_mul_lo_u32 v4, v4, s16
	v_mul_lo_u32 v5, v5, s18
	s_delay_alu instid0(VALU_DEP_1) | instskip(NEXT) | instid1(VALU_DEP_1)
	v_sub_nc_u32_e32 v4, v4, v5
	v_cmp_lt_u32_e32 vcc_lo, s20, v4
	v_cmpx_ge_u32_e64 s20, v4
	s_cbranch_execz .LBB1887_90
; %bb.89:
	v_add_nc_u32_e32 v4, s22, v12
	v_add_nc_u32_e32 v5, s42, v12
	s_delay_alu instid0(VALU_DEP_2) | instskip(NEXT) | instid1(VALU_DEP_2)
	v_mul_lo_u32 v4, v4, s21
	v_mul_lo_u32 v5, v5, s23
	s_delay_alu instid0(VALU_DEP_1) | instskip(NEXT) | instid1(VALU_DEP_1)
	v_sub_nc_u32_e32 v4, v4, v5
	v_cmp_lt_u32_e64 s0, s43, v4
	s_and_b32 s2, s0, exec_lo
.LBB1887_90:
	s_wait_alu 0xfffe
	s_or_b32 exec_lo, exec_lo, s3
	s_wait_alu 0xfffd
	v_cndmask_b32_e64 v4, 0, 1, vcc_lo
	v_lshrrev_b32_e32 v2, 24, v2
	v_cndmask_b32_e64 v5, 0, 1, s2
	v_lshlrev_b16 v21, 8, v21
	v_and_b32_e32 v8, 0xff, v8
	v_lshlrev_b16 v4, 8, v4
	v_lshlrev_b16 v6, 8, v6
	v_and_b32_e32 v3, 0xff, v3
	v_lshlrev_b16 v2, 8, v2
	v_or_b32_e32 v8, v8, v21
	s_delay_alu instid0(VALU_DEP_4) | instskip(NEXT) | instid1(VALU_DEP_4)
	v_or_b32_e32 v6, v7, v6
	v_or_b32_e32 v3, v3, v4
	s_delay_alu instid0(VALU_DEP_4) | instskip(NEXT) | instid1(VALU_DEP_4)
	v_or_b32_e32 v2, v5, v2
	v_lshlrev_b32_e32 v4, 16, v8
	s_delay_alu instid0(VALU_DEP_4) | instskip(NEXT) | instid1(VALU_DEP_4)
	v_and_b32_e32 v6, 0xffff, v6
	v_and_b32_e32 v3, 0xffff, v3
	s_delay_alu instid0(VALU_DEP_4) | instskip(NEXT) | instid1(VALU_DEP_2)
	v_lshlrev_b32_e32 v2, 16, v2
	v_or_b32_e32 v5, v3, v4
	s_delay_alu instid0(VALU_DEP_2)
	v_or_b32_e32 v4, v6, v2
.LBB1887_91:
	s_or_b32 exec_lo, exec_lo, s1
	v_add_nc_u32_e32 v2, 10, v41
	s_delay_alu instid0(VALU_DEP_3) | instskip(SKIP_1) | instid1(VALU_DEP_3)
	v_and_b32_e32 v3, 0xff, v5
	v_lshrrev_b32_e32 v6, 8, v5
                                        ; implicit-def: $vgpr46
	v_cmp_le_u32_e32 vcc_lo, s33, v2
                                        ; implicit-def: $vgpr2
	s_and_saveexec_b32 s0, vcc_lo
	s_delay_alu instid0(SALU_CYCLE_1)
	s_xor_b32 s0, exec_lo, s0
	s_cbranch_execz .LBB1887_93
; %bb.92:
	v_lshlrev_b16 v2, 8, v6
	v_perm_b32 v1, v1, v1, 0x3060504
                                        ; implicit-def: $vgpr6
	s_delay_alu instid0(VALU_DEP_2) | instskip(SKIP_1) | instid1(VALU_DEP_2)
	v_or_b32_e32 v2, v3, v2
	v_and_b32_e32 v3, 0xff0000, v4
	v_and_b32_e32 v2, 0xffff, v2
	s_delay_alu instid0(VALU_DEP_2) | instskip(NEXT) | instid1(VALU_DEP_2)
	v_perm_b32 v46, v4, v3, 0x3020504
                                        ; implicit-def: $vgpr3
                                        ; implicit-def: $vgpr4
	v_and_or_b32 v2, 0xff000000, v5, v2
                                        ; implicit-def: $vgpr5
.LBB1887_93:
	s_and_not1_saveexec_b32 s1, s0
	s_cbranch_execz .LBB1887_97
; %bb.94:
	v_add_nc_u32_e32 v2, s17, v9
	v_add_nc_u32_e32 v7, s19, v9
	s_mov_b32 s2, 0
	s_mov_b32 s3, exec_lo
	s_delay_alu instid0(VALU_DEP_2) | instskip(NEXT) | instid1(VALU_DEP_2)
	v_mul_lo_u32 v2, v2, s16
	v_mul_lo_u32 v7, v7, s18
	s_delay_alu instid0(VALU_DEP_1) | instskip(NEXT) | instid1(VALU_DEP_1)
	v_sub_nc_u32_e32 v2, v2, v7
	v_cmp_lt_u32_e32 vcc_lo, s20, v2
	v_cmpx_ge_u32_e64 s20, v2
	s_cbranch_execz .LBB1887_96
; %bb.95:
	v_add_nc_u32_e32 v2, s22, v9
	v_add_nc_u32_e32 v7, s42, v9
	s_delay_alu instid0(VALU_DEP_2) | instskip(NEXT) | instid1(VALU_DEP_2)
	v_mul_lo_u32 v2, v2, s21
	v_mul_lo_u32 v7, v7, s23
	s_delay_alu instid0(VALU_DEP_1) | instskip(NEXT) | instid1(VALU_DEP_1)
	v_sub_nc_u32_e32 v2, v2, v7
	v_cmp_lt_u32_e64 s0, s43, v2
	s_and_b32 s2, s0, exec_lo
.LBB1887_96:
	s_wait_alu 0xfffe
	s_or_b32 exec_lo, exec_lo, s3
	v_lshrrev_b32_e32 v5, 24, v5
	v_cndmask_b32_e64 v7, 0, 1, s2
	v_lshrrev_b32_e32 v8, 8, v4
	v_lshrrev_b32_e32 v21, 16, v4
	s_wait_alu 0xfffd
	v_cndmask_b32_e64 v2, 0, 1, vcc_lo
	v_lshlrev_b16 v6, 8, v6
	v_lshlrev_b16 v5, 8, v5
	v_and_b32_e32 v4, 0xff, v4
	v_lshlrev_b16 v8, 8, v8
	v_lshlrev_b16 v7, 8, v7
	v_and_b32_e32 v21, 0xff, v21
	v_or_b32_e32 v3, v3, v6
	v_or_b32_e32 v2, v2, v5
	;; [unrolled: 1-line block ×3, first 2 shown]
	s_delay_alu instid0(VALU_DEP_4) | instskip(NEXT) | instid1(VALU_DEP_4)
	v_or_b32_e32 v5, v21, v7
	v_and_b32_e32 v3, 0xffff, v3
	s_delay_alu instid0(VALU_DEP_4) | instskip(NEXT) | instid1(VALU_DEP_4)
	v_lshlrev_b32_e32 v2, 16, v2
	v_and_b32_e32 v4, 0xffff, v4
	s_delay_alu instid0(VALU_DEP_4) | instskip(NEXT) | instid1(VALU_DEP_3)
	v_lshlrev_b32_e32 v5, 16, v5
	v_or_b32_e32 v2, v3, v2
	s_delay_alu instid0(VALU_DEP_2)
	v_or_b32_e32 v46, v4, v5
.LBB1887_97:
	s_or_b32 exec_lo, exec_lo, s1
	v_add_nc_u32_e32 v3, 11, v41
	v_mov_b32_e32 v45, 0
	s_mov_b32 s0, exec_lo
                                        ; implicit-def: $vgpr47
	s_delay_alu instid0(VALU_DEP_2)
	v_cmpx_le_u32_e64 s33, v3
	s_xor_b32 s0, exec_lo, s0
; %bb.98:
	v_and_b32_e32 v3, 0xff0000, v2
	v_perm_b32 v1, v1, v1, 0x3060504
	s_delay_alu instid0(VALU_DEP_2)
	v_perm_b32 v47, v2, v3, 0x3020504
                                        ; implicit-def: $vgpr2
; %bb.99:
	s_and_not1_saveexec_b32 s1, s0
	s_cbranch_execz .LBB1887_103
; %bb.100:
	v_add_nc_u32_e32 v3, s17, v10
	v_add_nc_u32_e32 v4, s19, v10
	s_mov_b32 s2, 0
	s_mov_b32 s3, exec_lo
	s_delay_alu instid0(VALU_DEP_2) | instskip(NEXT) | instid1(VALU_DEP_2)
	v_mul_lo_u32 v3, v3, s16
	v_mul_lo_u32 v4, v4, s18
	s_delay_alu instid0(VALU_DEP_1) | instskip(NEXT) | instid1(VALU_DEP_1)
	v_sub_nc_u32_e32 v3, v3, v4
	v_cmp_lt_u32_e32 vcc_lo, s20, v3
	v_cmpx_ge_u32_e64 s20, v3
	s_cbranch_execz .LBB1887_102
; %bb.101:
	v_add_nc_u32_e32 v3, s22, v10
	v_add_nc_u32_e32 v4, s42, v10
	s_delay_alu instid0(VALU_DEP_2) | instskip(NEXT) | instid1(VALU_DEP_2)
	v_mul_lo_u32 v3, v3, s21
	v_mul_lo_u32 v4, v4, s23
	s_delay_alu instid0(VALU_DEP_1) | instskip(NEXT) | instid1(VALU_DEP_1)
	v_sub_nc_u32_e32 v3, v3, v4
	v_cmp_lt_u32_e64 s0, s43, v3
	s_and_b32 s2, s0, exec_lo
.LBB1887_102:
	s_wait_alu 0xfffe
	s_or_b32 exec_lo, exec_lo, s3
	v_lshrrev_b32_e32 v3, 8, v2
	s_wait_alu 0xfffd
	v_cndmask_b32_e64 v4, 0, 1, vcc_lo
	v_lshrrev_b32_e32 v5, 16, v2
	v_and_b32_e32 v2, 0xff, v2
	v_cndmask_b32_e64 v45, 0, 1, s2
	v_lshlrev_b16 v3, 8, v3
	v_lshlrev_b16 v4, 8, v4
	v_and_b32_e32 v5, 0xff, v5
	s_delay_alu instid0(VALU_DEP_3) | instskip(NEXT) | instid1(VALU_DEP_2)
	v_or_b32_e32 v2, v2, v3
	v_or_b32_e32 v3, v5, v4
	s_delay_alu instid0(VALU_DEP_2) | instskip(NEXT) | instid1(VALU_DEP_2)
	v_and_b32_e32 v2, 0xffff, v2
	v_lshlrev_b32_e32 v3, 16, v3
	s_delay_alu instid0(VALU_DEP_1)
	v_or_b32_e32 v47, v2, v3
.LBB1887_103:
	s_or_b32 exec_lo, exec_lo, s1
	v_add_nc_u32_e32 v4, 12, v41
	v_lshrrev_b32_e32 v2, 8, v1
	v_lshrrev_b32_e32 v3, 16, v1
	;; [unrolled: 1-line block ×3, first 2 shown]
	s_mov_b32 s0, exec_lo
                                        ; implicit-def: $vgpr49
	v_cmpx_le_u32_e64 s33, v4
	s_xor_b32 s0, exec_lo, s0
	s_cbranch_execz .LBB1887_105
; %bb.104:
	v_lshlrev_b16 v1, 8, v1
	v_and_b32_e32 v3, 0xff, v3
	v_lshlrev_b16 v2, 8, v2
	s_delay_alu instid0(VALU_DEP_2) | instskip(NEXT) | instid1(VALU_DEP_2)
	v_or_b32_e32 v1, v3, v1
	v_and_b32_e32 v2, 0xffff, v2
                                        ; implicit-def: $vgpr3
	s_delay_alu instid0(VALU_DEP_2) | instskip(NEXT) | instid1(VALU_DEP_1)
	v_lshlrev_b32_e32 v1, 16, v1
	v_or_b32_e32 v49, v2, v1
                                        ; implicit-def: $vgpr1
                                        ; implicit-def: $vgpr2
.LBB1887_105:
	s_or_saveexec_b32 s1, s0
	v_mov_b32_e32 v48, 0
	s_xor_b32 exec_lo, exec_lo, s1
	s_cbranch_execz .LBB1887_109
; %bb.106:
	v_add_nc_u32_e32 v4, s17, v40
	v_add_nc_u32_e32 v5, s19, v40
	s_mov_b32 s2, 0
	s_mov_b32 s3, exec_lo
	s_delay_alu instid0(VALU_DEP_2) | instskip(NEXT) | instid1(VALU_DEP_2)
	v_mul_lo_u32 v4, v4, s16
	v_mul_lo_u32 v5, v5, s18
	s_delay_alu instid0(VALU_DEP_1) | instskip(NEXT) | instid1(VALU_DEP_1)
	v_sub_nc_u32_e32 v4, v4, v5
	v_cmp_lt_u32_e32 vcc_lo, s20, v4
	v_cmpx_ge_u32_e64 s20, v4
	s_cbranch_execz .LBB1887_108
; %bb.107:
	v_add_nc_u32_e32 v4, s22, v40
	v_add_nc_u32_e32 v5, s42, v40
	s_delay_alu instid0(VALU_DEP_2) | instskip(NEXT) | instid1(VALU_DEP_2)
	v_mul_lo_u32 v4, v4, s21
	v_mul_lo_u32 v5, v5, s23
	s_delay_alu instid0(VALU_DEP_1) | instskip(NEXT) | instid1(VALU_DEP_1)
	v_sub_nc_u32_e32 v4, v4, v5
	v_cmp_lt_u32_e64 s0, s43, v4
	s_and_b32 s2, s0, exec_lo
.LBB1887_108:
	s_wait_alu 0xfffe
	s_or_b32 exec_lo, exec_lo, s3
	s_wait_alu 0xfffd
	v_cndmask_b32_e64 v4, 0, 1, vcc_lo
	v_lshlrev_b16 v1, 8, v1
	v_and_b32_e32 v3, 0xff, v3
	v_lshlrev_b16 v2, 8, v2
	v_cndmask_b32_e64 v48, 0, 1, s2
	s_delay_alu instid0(VALU_DEP_3) | instskip(NEXT) | instid1(VALU_DEP_3)
	v_or_b32_e32 v1, v3, v1
	v_or_b32_e32 v2, v4, v2
	s_delay_alu instid0(VALU_DEP_2) | instskip(NEXT) | instid1(VALU_DEP_2)
	v_lshlrev_b32_e32 v1, 16, v1
	v_and_b32_e32 v2, 0xffff, v2
	s_delay_alu instid0(VALU_DEP_1)
	v_or_b32_e32 v49, v2, v1
.LBB1887_109:
	s_or_b32 exec_lo, exec_lo, s1
.LBB1887_110:
	v_and_b32_e32 v72, 0xff, v42
	s_delay_alu instid0(VALU_DEP_2)
	v_bfe_u32 v73, v49, 8, 8
	v_bfe_u32 v70, v42, 8, 8
	;; [unrolled: 1-line block ×4, first 2 shown]
	v_lshrrev_b32_e32 v55, 24, v49
	v_lshrrev_b32_e32 v54, 24, v42
	v_and_b32_e32 v68, 0xff, v43
	v_and_b32_e32 v66, 0xff, v44
	v_bfe_u32 v67, v43, 8, 8
	v_add3_u32 v1, v70, v72, v69
	v_add3_u32 v2, v71, v73, v55
	v_bfe_u32 v64, v44, 8, 8
	v_bfe_u32 v65, v43, 16, 8
	;; [unrolled: 1-line block ×3, first 2 shown]
	v_lshrrev_b32_e32 v53, 24, v43
	v_add3_u32 v1, v1, v54, v66
	v_add3_u32 v2, v2, v68, v67
	v_lshrrev_b32_e32 v52, 24, v44
	v_and_b32_e32 v63, 0xff, v46
	v_and_b32_e32 v61, 0xff, v47
	v_bfe_u32 v62, v46, 8, 8
	v_add3_u32 v1, v1, v64, v59
	v_add3_u32 v2, v2, v65, v53
	v_bfe_u32 v58, v47, 8, 8
	v_bfe_u32 v60, v46, 16, 8
	;; [unrolled: 1-line block ×3, first 2 shown]
	v_lshrrev_b32_e32 v51, 24, v46
	v_add3_u32 v1, v1, v52, v61
	v_add3_u32 v2, v2, v63, v62
	v_mbcnt_lo_u32_b32 v74, -1, 0
	v_lshrrev_b32_e32 v50, 24, v47
	v_and_b32_e32 v57, 0xff, v45
	v_and_b32_e32 v3, 0xff, v49
	;; [unrolled: 1-line block ×3, first 2 shown]
	v_add3_u32 v1, v1, v58, v56
	v_add3_u32 v2, v2, v60, v51
	v_and_b32_e32 v76, 15, v74
	v_and_b32_e32 v78, 16, v74
	v_lshrrev_b32_e32 v75, 5, v0
	v_add3_u32 v79, v1, v50, v3
	v_add3_u32 v80, v2, v57, v4
	v_cmp_eq_u32_e64 s1, 0, v76
	v_cmp_lt_u32_e64 s0, 1, v76
	v_cmp_lt_u32_e64 s2, 3, v76
	v_or_b32_e32 v77, 31, v0
	s_cmp_lg_u32 ttmp9, 0
	s_mov_b32 s3, -1
	v_cmp_lt_u32_e32 vcc_lo, 7, v76
	s_cbranch_scc0 .LBB1887_131
; %bb.111:
	v_mov_b32_dpp v2, v79 row_shr:1 row_mask:0xf bank_mask:0xf
	v_mov_b32_dpp v1, v80 row_shr:1 row_mask:0xf bank_mask:0xf
	s_mov_b32 s3, exec_lo
	s_delay_alu instid0(VALU_DEP_2) | instskip(NEXT) | instid1(VALU_DEP_2)
	v_add_nc_u32_e32 v2, v2, v79
	v_add_nc_u32_e32 v1, v1, v80
	s_delay_alu instid0(VALU_DEP_2) | instskip(NEXT) | instid1(VALU_DEP_2)
	v_cndmask_b32_e64 v2, v2, v79, s1
	v_cndmask_b32_e64 v1, v1, v80, s1
	s_delay_alu instid0(VALU_DEP_2) | instskip(NEXT) | instid1(VALU_DEP_2)
	v_mov_b32_dpp v4, v2 row_shr:2 row_mask:0xf bank_mask:0xf
	v_mov_b32_dpp v3, v1 row_shr:2 row_mask:0xf bank_mask:0xf
	s_delay_alu instid0(VALU_DEP_2) | instskip(NEXT) | instid1(VALU_DEP_1)
	v_add_nc_u32_e32 v4, v2, v4
	v_cndmask_b32_e64 v2, v2, v4, s0
	s_delay_alu instid0(VALU_DEP_1) | instskip(NEXT) | instid1(VALU_DEP_1)
	v_mov_b32_dpp v4, v2 row_shr:4 row_mask:0xf bank_mask:0xf
	v_add_nc_u32_e32 v4, v2, v4
	s_wait_alu 0xf1ff
	s_delay_alu instid0(VALU_DEP_1) | instskip(NEXT) | instid1(VALU_DEP_1)
	v_cndmask_b32_e64 v2, v2, v4, s2
	v_mov_b32_dpp v4, v2 row_shr:8 row_mask:0xf bank_mask:0xf
	s_delay_alu instid0(VALU_DEP_1) | instskip(SKIP_1) | instid1(VALU_DEP_1)
	v_add_nc_u32_e32 v4, v2, v4
	s_wait_alu 0xfffd
	v_dual_cndmask_b32 v2, v2, v4 :: v_dual_add_nc_u32 v3, v1, v3
	s_delay_alu instid0(VALU_DEP_1) | instskip(SKIP_2) | instid1(VALU_DEP_1)
	v_cndmask_b32_e64 v1, v1, v3, s0
	ds_swizzle_b32 v4, v2 offset:swizzle(BROADCAST,32,15)
	v_mov_b32_dpp v3, v1 row_shr:4 row_mask:0xf bank_mask:0xf
	v_add_nc_u32_e32 v3, v1, v3
	s_delay_alu instid0(VALU_DEP_1) | instskip(NEXT) | instid1(VALU_DEP_1)
	v_cndmask_b32_e64 v1, v1, v3, s2
	v_mov_b32_dpp v3, v1 row_shr:8 row_mask:0xf bank_mask:0xf
	s_wait_dscnt 0x0
	v_add_nc_u32_e32 v4, v2, v4
	s_delay_alu instid0(VALU_DEP_2) | instskip(NEXT) | instid1(VALU_DEP_1)
	v_add_nc_u32_e32 v3, v1, v3
	v_cndmask_b32_e32 v1, v1, v3, vcc_lo
	v_cmp_eq_u32_e32 vcc_lo, 0, v78
	ds_swizzle_b32 v3, v1 offset:swizzle(BROADCAST,32,15)
	s_wait_dscnt 0x0
	v_add_nc_u32_e32 v3, v1, v3
	v_cmpx_eq_u32_e64 v0, v77
; %bb.112:
	s_wait_alu 0xfffd
	s_delay_alu instid0(VALU_DEP_2)
	v_dual_cndmask_b32 v6, v3, v1 :: v_dual_lshlrev_b32 v7, 3, v75
	v_cndmask_b32_e32 v5, v4, v2, vcc_lo
	ds_store_b64 v7, v[5:6]
; %bb.113:
	s_wait_alu 0xfffe
	s_or_b32 exec_lo, exec_lo, s3
	s_delay_alu instid0(SALU_CYCLE_1)
	s_mov_b32 s3, exec_lo
	s_wait_loadcnt_dscnt 0x0
	s_barrier_signal -1
	s_barrier_wait -1
	global_inv scope:SCOPE_SE
	v_cmpx_gt_u32_e32 8, v0
	s_cbranch_execz .LBB1887_115
; %bb.114:
	v_lshlrev_b32_e32 v7, 3, v0
	v_and_b32_e32 v22, 7, v74
	ds_load_b64 v[5:6], v7
	v_cmp_eq_u32_e64 s2, 0, v22
	s_wait_dscnt 0x0
	v_mov_b32_dpp v8, v5 row_shr:1 row_mask:0xf bank_mask:0xf
	v_mov_b32_dpp v21, v6 row_shr:1 row_mask:0xf bank_mask:0xf
	s_delay_alu instid0(VALU_DEP_2) | instskip(NEXT) | instid1(VALU_DEP_2)
	v_add_nc_u32_e32 v8, v8, v5
	v_add_nc_u32_e32 v21, v21, v6
	s_wait_alu 0xf1ff
	s_delay_alu instid0(VALU_DEP_2) | instskip(NEXT) | instid1(VALU_DEP_2)
	v_cndmask_b32_e64 v5, v8, v5, s2
	v_cndmask_b32_e64 v6, v21, v6, s2
	v_cmp_lt_u32_e64 s2, 1, v22
	s_delay_alu instid0(VALU_DEP_3) | instskip(NEXT) | instid1(VALU_DEP_3)
	v_mov_b32_dpp v8, v5 row_shr:2 row_mask:0xf bank_mask:0xf
	v_mov_b32_dpp v21, v6 row_shr:2 row_mask:0xf bank_mask:0xf
	s_delay_alu instid0(VALU_DEP_2) | instskip(NEXT) | instid1(VALU_DEP_2)
	v_add_nc_u32_e32 v8, v5, v8
	v_add_nc_u32_e32 v21, v6, v21
	s_wait_alu 0xf1ff
	s_delay_alu instid0(VALU_DEP_2) | instskip(NEXT) | instid1(VALU_DEP_2)
	v_cndmask_b32_e64 v5, v5, v8, s2
	v_cndmask_b32_e64 v6, v6, v21, s2
	v_cmp_lt_u32_e64 s2, 3, v22
	s_delay_alu instid0(VALU_DEP_3) | instskip(NEXT) | instid1(VALU_DEP_3)
	v_mov_b32_dpp v8, v5 row_shr:4 row_mask:0xf bank_mask:0xf
	v_mov_b32_dpp v21, v6 row_shr:4 row_mask:0xf bank_mask:0xf
	s_wait_alu 0xf1ff
	s_delay_alu instid0(VALU_DEP_2) | instskip(NEXT) | instid1(VALU_DEP_2)
	v_cndmask_b32_e64 v8, 0, v8, s2
	v_cndmask_b32_e64 v21, 0, v21, s2
	s_delay_alu instid0(VALU_DEP_2) | instskip(NEXT) | instid1(VALU_DEP_2)
	v_add_nc_u32_e32 v5, v8, v5
	v_add_nc_u32_e32 v6, v21, v6
	ds_store_b64 v7, v[5:6]
.LBB1887_115:
	s_wait_alu 0xfffe
	s_or_b32 exec_lo, exec_lo, s3
	v_dual_cndmask_b32 v1, v3, v1 :: v_dual_cndmask_b32 v2, v4, v2
	s_mov_b32 s3, exec_lo
	v_cmp_gt_u32_e32 vcc_lo, 32, v0
	s_wait_loadcnt_dscnt 0x0
	s_barrier_signal -1
	s_barrier_wait -1
	global_inv scope:SCOPE_SE
                                        ; implicit-def: $vgpr21
	v_cmpx_lt_u32_e32 31, v0
	s_cbranch_execz .LBB1887_117
; %bb.116:
	v_lshl_add_u32 v3, v75, 3, -8
	ds_load_b64 v[21:22], v3
	s_wait_dscnt 0x0
	v_add_nc_u32_e32 v1, v22, v1
	v_add_nc_u32_e32 v2, v21, v2
.LBB1887_117:
	s_wait_alu 0xfffe
	s_or_b32 exec_lo, exec_lo, s3
	v_sub_co_u32 v3, s2, v74, 1
	s_delay_alu instid0(VALU_DEP_1) | instskip(SKIP_1) | instid1(VALU_DEP_1)
	v_cmp_gt_i32_e64 s3, 0, v3
	s_wait_alu 0xf1ff
	v_cndmask_b32_e64 v3, v3, v74, s3
	s_delay_alu instid0(VALU_DEP_1)
	v_lshlrev_b32_e32 v3, 2, v3
	ds_bpermute_b32 v81, v3, v2
	ds_bpermute_b32 v82, v3, v1
	s_and_saveexec_b32 s3, vcc_lo
	s_cbranch_execz .LBB1887_136
; %bb.118:
	v_mov_b32_e32 v4, 0
	ds_load_b64 v[1:2], v4 offset:56
	s_and_saveexec_b32 s6, s2
	s_cbranch_execz .LBB1887_120
; %bb.119:
	s_add_co_i32 s8, ttmp9, 32
	s_mov_b32 s9, 0
	s_wait_alu 0xfffe
	s_lshl_b64 s[8:9], s[8:9], 4
	s_wait_kmcnt 0x0
	s_wait_alu 0xfffe
	s_add_nc_u64 s[8:9], s[4:5], s[8:9]
	v_mov_b32_e32 v3, 1
	s_wait_alu 0xfffe
	v_dual_mov_b32 v5, s8 :: v_dual_mov_b32 v6, s9
	s_wait_dscnt 0x0
	;;#ASMSTART
	global_store_b128 v[5:6], v[1:4] off scope:SCOPE_DEV	
s_wait_storecnt 0x0
	;;#ASMEND
.LBB1887_120:
	s_wait_alu 0xfffe
	s_or_b32 exec_lo, exec_lo, s6
	v_xad_u32 v23, v74, -1, ttmp9
	s_mov_b32 s7, 0
	s_mov_b32 s6, exec_lo
	s_delay_alu instid0(VALU_DEP_1) | instskip(NEXT) | instid1(VALU_DEP_1)
	v_add_nc_u32_e32 v3, 32, v23
	v_lshlrev_b64_e32 v[3:4], 4, v[3:4]
	s_wait_kmcnt 0x0
	s_delay_alu instid0(VALU_DEP_1) | instskip(SKIP_1) | instid1(VALU_DEP_2)
	v_add_co_u32 v3, vcc_lo, s4, v3
	s_wait_alu 0xfffd
	v_add_co_ci_u32_e64 v4, null, s5, v4, vcc_lo
	;;#ASMSTART
	global_load_b128 v[5:8], v[3:4] off scope:SCOPE_DEV	
s_wait_loadcnt 0x0
	;;#ASMEND
	v_and_b32_e32 v8, 0xff, v7
	s_delay_alu instid0(VALU_DEP_1)
	v_cmpx_eq_u16_e32 0, v8
	s_cbranch_execz .LBB1887_123
.LBB1887_121:                           ; =>This Inner Loop Header: Depth=1
	;;#ASMSTART
	global_load_b128 v[5:8], v[3:4] off scope:SCOPE_DEV	
s_wait_loadcnt 0x0
	;;#ASMEND
	v_and_b32_e32 v8, 0xff, v7
	s_delay_alu instid0(VALU_DEP_1)
	v_cmp_ne_u16_e32 vcc_lo, 0, v8
	s_wait_alu 0xfffe
	s_or_b32 s7, vcc_lo, s7
	s_wait_alu 0xfffe
	s_and_not1_b32 exec_lo, exec_lo, s7
	s_cbranch_execnz .LBB1887_121
; %bb.122:
	s_or_b32 exec_lo, exec_lo, s7
.LBB1887_123:
	s_wait_alu 0xfffe
	s_or_b32 exec_lo, exec_lo, s6
	v_cmp_ne_u32_e32 vcc_lo, 31, v74
	v_lshlrev_b32_e64 v84, v74, -1
	v_add_nc_u32_e32 v86, 2, v74
	v_add_nc_u32_e32 v88, 4, v74
	v_add_nc_u32_e32 v90, 8, v74
	s_wait_alu 0xfffd
	v_add_co_ci_u32_e64 v3, null, 0, v74, vcc_lo
	v_lshl_or_b32 v91, v74, 2, 64
	v_add_nc_u32_e32 v92, 16, v74
	s_delay_alu instid0(VALU_DEP_3)
	v_lshlrev_b32_e32 v83, 2, v3
	v_and_b32_e32 v3, 0xff, v7
	ds_bpermute_b32 v4, v83, v6
	v_cmp_eq_u16_e32 vcc_lo, 2, v3
	s_wait_alu 0xfffd
	v_and_b32_e32 v8, vcc_lo, v84
	v_cmp_gt_u32_e32 vcc_lo, 30, v74
	s_delay_alu instid0(VALU_DEP_2) | instskip(SKIP_2) | instid1(VALU_DEP_2)
	v_or_b32_e32 v8, 0x80000000, v8
	s_wait_alu 0xfffd
	v_cndmask_b32_e64 v24, 0, 2, vcc_lo
	v_ctz_i32_b32_e32 v8, v8
	s_delay_alu instid0(VALU_DEP_2) | instskip(SKIP_2) | instid1(VALU_DEP_3)
	v_add_lshl_u32 v85, v24, v74, 2
	s_wait_dscnt 0x0
	v_add_nc_u32_e32 v4, v4, v6
	v_cmp_lt_u32_e32 vcc_lo, v74, v8
	s_wait_alu 0xfffd
	s_delay_alu instid0(VALU_DEP_2) | instskip(SKIP_3) | instid1(VALU_DEP_1)
	v_cndmask_b32_e32 v4, v6, v4, vcc_lo
	ds_bpermute_b32 v3, v83, v5
	s_wait_dscnt 0x0
	v_add_nc_u32_e32 v3, v3, v5
	v_cndmask_b32_e32 v3, v5, v3, vcc_lo
	ds_bpermute_b32 v5, v85, v4
	v_cmp_gt_u32_e32 vcc_lo, 28, v74
	ds_bpermute_b32 v6, v85, v3
	s_wait_alu 0xfffd
	v_cndmask_b32_e64 v24, 0, 4, vcc_lo
	v_cmp_gt_u32_e32 vcc_lo, v86, v8
	s_delay_alu instid0(VALU_DEP_2)
	v_add_lshl_u32 v87, v24, v74, 2
	s_wait_dscnt 0x1
	v_add_nc_u32_e32 v5, v4, v5
	s_wait_dscnt 0x0
	v_add_nc_u32_e32 v6, v3, v6
	s_wait_alu 0xfffd
	s_delay_alu instid0(VALU_DEP_1)
	v_dual_cndmask_b32 v4, v5, v4 :: v_dual_cndmask_b32 v3, v6, v3
	ds_bpermute_b32 v5, v87, v4
	v_cmp_gt_u32_e32 vcc_lo, 24, v74
	ds_bpermute_b32 v6, v87, v3
	s_wait_alu 0xfffd
	v_cndmask_b32_e64 v24, 0, 8, vcc_lo
	v_cmp_gt_u32_e32 vcc_lo, v88, v8
	s_delay_alu instid0(VALU_DEP_2)
	v_add_lshl_u32 v89, v24, v74, 2
	s_wait_dscnt 0x1
	v_dual_mov_b32 v24, 0 :: v_dual_add_nc_u32 v5, v4, v5
	s_wait_dscnt 0x0
	v_add_nc_u32_e32 v6, v3, v6
	s_wait_alu 0xfffd
	s_delay_alu instid0(VALU_DEP_1)
	v_dual_cndmask_b32 v4, v5, v4 :: v_dual_cndmask_b32 v3, v6, v3
	ds_bpermute_b32 v5, v89, v4
	v_cmp_gt_u32_e32 vcc_lo, v90, v8
	ds_bpermute_b32 v6, v89, v3
	s_wait_dscnt 0x1
	v_add_nc_u32_e32 v5, v4, v5
	s_wait_dscnt 0x0
	v_add_nc_u32_e32 v6, v3, v6
	s_wait_alu 0xfffd
	s_delay_alu instid0(VALU_DEP_1)
	v_dual_cndmask_b32 v4, v5, v4 :: v_dual_cndmask_b32 v3, v6, v3
	ds_bpermute_b32 v6, v91, v4
	v_cmp_le_u32_e32 vcc_lo, v92, v8
	ds_bpermute_b32 v5, v91, v3
	s_wait_dscnt 0x0
	s_wait_alu 0xfffd
	v_dual_cndmask_b32 v6, 0, v6 :: v_dual_cndmask_b32 v5, 0, v5
	s_delay_alu instid0(VALU_DEP_1) | instskip(NEXT) | instid1(VALU_DEP_2)
	v_add_nc_u32_e32 v6, v6, v4
	v_add_nc_u32_e32 v5, v5, v3
	s_branch .LBB1887_127
.LBB1887_124:                           ;   in Loop: Header=BB1887_127 Depth=1
	s_or_b32 exec_lo, exec_lo, s7
.LBB1887_125:                           ;   in Loop: Header=BB1887_127 Depth=1
	s_wait_alu 0xfffe
	s_or_b32 exec_lo, exec_lo, s6
	ds_bpermute_b32 v8, v83, v5
	ds_bpermute_b32 v25, v83, v6
	v_subrev_nc_u32_e32 v23, 32, v23
	s_mov_b32 s6, 0
	s_wait_dscnt 0x1
	v_add_nc_u32_e32 v8, v8, v5
	v_and_b32_e32 v26, 0xff, v7
	s_wait_dscnt 0x0
	v_add_nc_u32_e32 v25, v25, v6
	s_delay_alu instid0(VALU_DEP_2) | instskip(SKIP_2) | instid1(VALU_DEP_1)
	v_cmp_eq_u16_e32 vcc_lo, 2, v26
	s_wait_alu 0xfffd
	v_and_or_b32 v26, vcc_lo, v84, 0x80000000
	v_ctz_i32_b32_e32 v26, v26
	s_delay_alu instid0(VALU_DEP_1)
	v_cmp_lt_u32_e32 vcc_lo, v74, v26
	s_wait_alu 0xfffd
	v_dual_cndmask_b32 v6, v6, v25 :: v_dual_cndmask_b32 v5, v5, v8
	v_cmp_gt_u32_e32 vcc_lo, v86, v26
	ds_bpermute_b32 v25, v85, v6
	ds_bpermute_b32 v8, v85, v5
	s_wait_dscnt 0x1
	v_add_nc_u32_e32 v25, v6, v25
	s_wait_dscnt 0x0
	v_add_nc_u32_e32 v8, v5, v8
	s_wait_alu 0xfffd
	s_delay_alu instid0(VALU_DEP_1)
	v_dual_cndmask_b32 v6, v25, v6 :: v_dual_cndmask_b32 v5, v8, v5
	v_cmp_gt_u32_e32 vcc_lo, v88, v26
	ds_bpermute_b32 v25, v87, v6
	ds_bpermute_b32 v8, v87, v5
	s_wait_dscnt 0x1
	v_add_nc_u32_e32 v25, v6, v25
	s_wait_dscnt 0x0
	v_add_nc_u32_e32 v8, v5, v8
	s_wait_alu 0xfffd
	s_delay_alu instid0(VALU_DEP_1)
	;; [unrolled: 10-line block ×3, first 2 shown]
	v_dual_cndmask_b32 v6, v25, v6 :: v_dual_cndmask_b32 v5, v8, v5
	v_cmp_le_u32_e32 vcc_lo, v92, v26
	ds_bpermute_b32 v25, v91, v6
	ds_bpermute_b32 v8, v91, v5
	s_wait_dscnt 0x0
	s_wait_alu 0xfffd
	v_dual_cndmask_b32 v25, 0, v25 :: v_dual_cndmask_b32 v8, 0, v8
	s_delay_alu instid0(VALU_DEP_1) | instskip(NEXT) | instid1(VALU_DEP_2)
	v_add3_u32 v6, v6, v4, v25
	v_add3_u32 v5, v5, v3, v8
.LBB1887_126:                           ;   in Loop: Header=BB1887_127 Depth=1
	s_wait_alu 0xfffe
	s_and_b32 vcc_lo, exec_lo, s6
	s_wait_alu 0xfffe
	s_cbranch_vccnz .LBB1887_132
.LBB1887_127:                           ; =>This Loop Header: Depth=1
                                        ;     Child Loop BB1887_130 Depth 2
	v_and_b32_e32 v3, 0xff, v7
	s_mov_b32 s6, -1
                                        ; implicit-def: $vgpr7
	s_delay_alu instid0(VALU_DEP_1)
	v_cmp_ne_u16_e32 vcc_lo, 2, v3
	v_dual_mov_b32 v3, v5 :: v_dual_mov_b32 v4, v6
                                        ; implicit-def: $vgpr5_vgpr6
	s_cmp_lg_u32 vcc_lo, exec_lo
	s_cbranch_scc1 .LBB1887_126
; %bb.128:                              ;   in Loop: Header=BB1887_127 Depth=1
	v_lshlrev_b64_e32 v[5:6], 4, v[23:24]
	s_mov_b32 s6, exec_lo
	s_delay_alu instid0(VALU_DEP_1) | instskip(SKIP_1) | instid1(VALU_DEP_2)
	v_add_co_u32 v25, vcc_lo, s4, v5
	s_wait_alu 0xfffd
	v_add_co_ci_u32_e64 v26, null, s5, v6, vcc_lo
	;;#ASMSTART
	global_load_b128 v[5:8], v[25:26] off scope:SCOPE_DEV	
s_wait_loadcnt 0x0
	;;#ASMEND
	v_and_b32_e32 v8, 0xff, v7
	s_delay_alu instid0(VALU_DEP_1)
	v_cmpx_eq_u16_e32 0, v8
	s_cbranch_execz .LBB1887_125
; %bb.129:                              ;   in Loop: Header=BB1887_127 Depth=1
	s_mov_b32 s7, 0
.LBB1887_130:                           ;   Parent Loop BB1887_127 Depth=1
                                        ; =>  This Inner Loop Header: Depth=2
	;;#ASMSTART
	global_load_b128 v[5:8], v[25:26] off scope:SCOPE_DEV	
s_wait_loadcnt 0x0
	;;#ASMEND
	v_and_b32_e32 v8, 0xff, v7
	s_delay_alu instid0(VALU_DEP_1)
	v_cmp_ne_u16_e32 vcc_lo, 0, v8
	s_wait_alu 0xfffe
	s_or_b32 s7, vcc_lo, s7
	s_wait_alu 0xfffe
	s_and_not1_b32 exec_lo, exec_lo, s7
	s_cbranch_execnz .LBB1887_130
	s_branch .LBB1887_124
.LBB1887_131:
                                        ; implicit-def: $vgpr81
                                        ; implicit-def: $vgpr3
                                        ; implicit-def: $vgpr82
	s_wait_alu 0xfffe
	s_and_b32 vcc_lo, exec_lo, s3
	s_wait_alu 0xfffe
	s_cbranch_vccnz .LBB1887_137
	s_branch .LBB1887_146
.LBB1887_132:
	s_and_saveexec_b32 s6, s2
	s_cbranch_execnz .LBB1887_374
; %bb.133:
	s_wait_alu 0xfffe
	s_or_b32 exec_lo, exec_lo, s6
	s_and_saveexec_b32 s6, s2
	s_cbranch_execnz .LBB1887_375
.LBB1887_134:
	s_wait_alu 0xfffe
	s_or_b32 exec_lo, exec_lo, s6
	v_cmp_eq_u32_e32 vcc_lo, 0, v0
	s_and_b32 exec_lo, exec_lo, vcc_lo
.LBB1887_135:
	v_mov_b32_e32 v1, 0
	ds_store_b64 v1, v[3:4] offset:56
.LBB1887_136:
	s_wait_alu 0xfffe
	s_or_b32 exec_lo, exec_lo, s3
	s_wait_dscnt 0x0
	v_cndmask_b32_e64 v8, v82, v22, s2
	v_mov_b32_e32 v1, 0
	s_wait_loadcnt 0x0
	s_barrier_signal -1
	s_barrier_wait -1
	global_inv scope:SCOPE_SE
	ds_load_b64 v[5:6], v1 offset:56
	s_wait_loadcnt_dscnt 0x0
	s_barrier_signal -1
	s_barrier_wait -1
	global_inv scope:SCOPE_SE
	v_cndmask_b32_e64 v7, v81, v21, s2
	v_cmp_eq_u32_e32 vcc_lo, 0, v0
	v_add_nc_u32_e32 v8, v6, v8
	ds_load_b128 v[1:4], v1 offset:13312
	v_add_nc_u32_e32 v7, v5, v7
	s_wait_alu 0xfffd
	s_delay_alu instid0(VALU_DEP_1)
	v_dual_cndmask_b32 v81, v8, v6 :: v_dual_cndmask_b32 v82, v7, v5
	s_branch .LBB1887_146
.LBB1887_137:
	s_wait_dscnt 0x0
	v_mov_b32_dpp v2, v80 row_shr:1 row_mask:0xf bank_mask:0xf
	v_cmp_lt_u32_e32 vcc_lo, 3, v76
	v_mov_b32_dpp v1, v79 row_shr:1 row_mask:0xf bank_mask:0xf
	s_delay_alu instid0(VALU_DEP_3) | instskip(NEXT) | instid1(VALU_DEP_1)
	v_add_nc_u32_e32 v2, v2, v80
	v_cndmask_b32_e64 v2, v2, v80, s1
	s_delay_alu instid0(VALU_DEP_1) | instskip(NEXT) | instid1(VALU_DEP_1)
	v_mov_b32_dpp v4, v2 row_shr:2 row_mask:0xf bank_mask:0xf
	v_add_nc_u32_e32 v4, v2, v4
	s_delay_alu instid0(VALU_DEP_1) | instskip(NEXT) | instid1(VALU_DEP_1)
	v_cndmask_b32_e64 v2, v2, v4, s0
	v_mov_b32_dpp v4, v2 row_shr:4 row_mask:0xf bank_mask:0xf
	s_delay_alu instid0(VALU_DEP_1) | instskip(SKIP_1) | instid1(VALU_DEP_1)
	v_add_nc_u32_e32 v4, v2, v4
	s_wait_alu 0xfffd
	v_dual_cndmask_b32 v2, v2, v4 :: v_dual_add_nc_u32 v1, v1, v79
	s_delay_alu instid0(VALU_DEP_1) | instskip(SKIP_1) | instid1(VALU_DEP_2)
	v_cndmask_b32_e64 v1, v1, v79, s1
	s_mov_b32 s1, exec_lo
	v_mov_b32_dpp v4, v2 row_shr:8 row_mask:0xf bank_mask:0xf
	s_delay_alu instid0(VALU_DEP_2) | instskip(NEXT) | instid1(VALU_DEP_1)
	v_mov_b32_dpp v3, v1 row_shr:2 row_mask:0xf bank_mask:0xf
	v_add_nc_u32_e32 v3, v1, v3
	s_delay_alu instid0(VALU_DEP_1) | instskip(NEXT) | instid1(VALU_DEP_1)
	v_cndmask_b32_e64 v1, v1, v3, s0
	v_mov_b32_dpp v3, v1 row_shr:4 row_mask:0xf bank_mask:0xf
	s_delay_alu instid0(VALU_DEP_1) | instskip(NEXT) | instid1(VALU_DEP_1)
	v_add_nc_u32_e32 v3, v1, v3
	v_cndmask_b32_e32 v3, v1, v3, vcc_lo
	v_cmp_lt_u32_e32 vcc_lo, 7, v76
	s_delay_alu instid0(VALU_DEP_2) | instskip(NEXT) | instid1(VALU_DEP_1)
	v_mov_b32_dpp v1, v3 row_shr:8 row_mask:0xf bank_mask:0xf
	v_add_nc_u32_e32 v5, v3, v1
	v_add_nc_u32_e32 v1, v2, v4
	s_wait_alu 0xfffd
	s_delay_alu instid0(VALU_DEP_1) | instskip(NEXT) | instid1(VALU_DEP_3)
	v_cndmask_b32_e32 v1, v2, v1, vcc_lo
	v_cndmask_b32_e32 v2, v3, v5, vcc_lo
	v_cmp_eq_u32_e32 vcc_lo, 0, v78
	ds_swizzle_b32 v3, v1 offset:swizzle(BROADCAST,32,15)
	ds_swizzle_b32 v4, v2 offset:swizzle(BROADCAST,32,15)
	s_wait_dscnt 0x1
	v_add_nc_u32_e32 v3, v1, v3
	s_wait_dscnt 0x0
	v_add_nc_u32_e32 v4, v2, v4
	v_cmpx_eq_u32_e64 v0, v77
; %bb.138:
	s_wait_alu 0xfffd
	s_delay_alu instid0(VALU_DEP_2)
	v_dual_cndmask_b32 v5, v4, v2 :: v_dual_cndmask_b32 v6, v3, v1
	v_lshlrev_b32_e32 v7, 3, v75
	ds_store_b64 v7, v[5:6]
; %bb.139:
	s_wait_alu 0xfffe
	s_or_b32 exec_lo, exec_lo, s1
	s_delay_alu instid0(SALU_CYCLE_1)
	s_mov_b32 s1, exec_lo
	s_wait_loadcnt_dscnt 0x0
	s_barrier_signal -1
	s_barrier_wait -1
	global_inv scope:SCOPE_SE
	v_cmpx_gt_u32_e32 8, v0
	s_cbranch_execz .LBB1887_141
; %bb.140:
	v_lshlrev_b32_e32 v7, 3, v0
	v_and_b32_e32 v22, 7, v74
	ds_load_b64 v[5:6], v7
	v_cmp_eq_u32_e64 s0, 0, v22
	s_wait_dscnt 0x0
	v_mov_b32_dpp v8, v5 row_shr:1 row_mask:0xf bank_mask:0xf
	v_mov_b32_dpp v21, v6 row_shr:1 row_mask:0xf bank_mask:0xf
	s_delay_alu instid0(VALU_DEP_2) | instskip(NEXT) | instid1(VALU_DEP_2)
	v_add_nc_u32_e32 v8, v8, v5
	v_add_nc_u32_e32 v21, v21, v6
	s_wait_alu 0xf1ff
	s_delay_alu instid0(VALU_DEP_2) | instskip(NEXT) | instid1(VALU_DEP_2)
	v_cndmask_b32_e64 v5, v8, v5, s0
	v_cndmask_b32_e64 v6, v21, v6, s0
	v_cmp_lt_u32_e64 s0, 1, v22
	s_delay_alu instid0(VALU_DEP_3) | instskip(NEXT) | instid1(VALU_DEP_3)
	v_mov_b32_dpp v8, v5 row_shr:2 row_mask:0xf bank_mask:0xf
	v_mov_b32_dpp v21, v6 row_shr:2 row_mask:0xf bank_mask:0xf
	s_delay_alu instid0(VALU_DEP_2) | instskip(NEXT) | instid1(VALU_DEP_2)
	v_add_nc_u32_e32 v8, v5, v8
	v_add_nc_u32_e32 v21, v6, v21
	s_wait_alu 0xf1ff
	s_delay_alu instid0(VALU_DEP_2) | instskip(NEXT) | instid1(VALU_DEP_2)
	v_cndmask_b32_e64 v5, v5, v8, s0
	v_cndmask_b32_e64 v6, v6, v21, s0
	v_cmp_lt_u32_e64 s0, 3, v22
	s_delay_alu instid0(VALU_DEP_3) | instskip(NEXT) | instid1(VALU_DEP_3)
	v_mov_b32_dpp v8, v5 row_shr:4 row_mask:0xf bank_mask:0xf
	v_mov_b32_dpp v21, v6 row_shr:4 row_mask:0xf bank_mask:0xf
	s_wait_alu 0xf1ff
	s_delay_alu instid0(VALU_DEP_2) | instskip(NEXT) | instid1(VALU_DEP_2)
	v_cndmask_b32_e64 v8, 0, v8, s0
	v_cndmask_b32_e64 v21, 0, v21, s0
	s_delay_alu instid0(VALU_DEP_2) | instskip(NEXT) | instid1(VALU_DEP_2)
	v_add_nc_u32_e32 v5, v8, v5
	v_add_nc_u32_e32 v6, v21, v6
	ds_store_b64 v7, v[5:6]
.LBB1887_141:
	s_wait_alu 0xfffe
	s_or_b32 exec_lo, exec_lo, s1
	v_dual_mov_b32 v7, 0 :: v_dual_mov_b32 v6, 0
	v_mov_b32_e32 v5, 0
	s_mov_b32 s1, exec_lo
	s_wait_loadcnt_dscnt 0x0
	s_barrier_signal -1
	s_barrier_wait -1
	global_inv scope:SCOPE_SE
	v_cmpx_lt_u32_e32 31, v0
; %bb.142:
	v_lshl_add_u32 v5, v75, 3, -8
	ds_load_b64 v[5:6], v5
; %bb.143:
	s_wait_alu 0xfffe
	s_or_b32 exec_lo, exec_lo, s1
	v_sub_co_u32 v8, s0, v74, 1
	v_dual_cndmask_b32 v2, v4, v2 :: v_dual_cndmask_b32 v1, v3, v1
	v_cmp_eq_u32_e32 vcc_lo, 0, v0
	s_delay_alu instid0(VALU_DEP_3) | instskip(SKIP_1) | instid1(VALU_DEP_3)
	v_cmp_gt_i32_e64 s1, 0, v8
	s_wait_dscnt 0x0
	v_add_nc_u32_e32 v2, v5, v2
	v_add_nc_u32_e32 v1, v6, v1
	s_wait_alu 0xf1ff
	v_cndmask_b32_e64 v4, v8, v74, s1
	s_delay_alu instid0(VALU_DEP_1)
	v_lshlrev_b32_e32 v3, 2, v4
	ds_bpermute_b32 v8, v3, v2
	ds_bpermute_b32 v21, v3, v1
	ds_load_b64 v[1:2], v7 offset:56
	s_and_saveexec_b32 s1, vcc_lo
	s_cbranch_execz .LBB1887_145
; %bb.144:
	s_wait_kmcnt 0x0
	s_add_nc_u64 s[2:3], s[4:5], 0x200
	v_dual_mov_b32 v3, 2 :: v_dual_mov_b32 v4, 0
	s_wait_alu 0xfffe
	v_dual_mov_b32 v23, s3 :: v_dual_mov_b32 v22, s2
	s_wait_dscnt 0x0
	;;#ASMSTART
	global_store_b128 v[22:23], v[1:4] off scope:SCOPE_DEV	
s_wait_storecnt 0x0
	;;#ASMEND
.LBB1887_145:
	s_wait_alu 0xfffe
	s_or_b32 exec_lo, exec_lo, s1
	s_wait_dscnt 0x1
	v_cndmask_b32_e64 v3, v21, v6, s0
	v_cndmask_b32_e64 v5, v8, v5, s0
	v_mov_b32_e32 v4, 0
	s_wait_loadcnt_dscnt 0x0
	s_barrier_signal -1
	v_cndmask_b32_e64 v81, v3, 0, vcc_lo
	v_cndmask_b32_e64 v82, v5, 0, vcc_lo
	v_mov_b32_e32 v3, 0
	s_barrier_wait -1
	global_inv scope:SCOPE_SE
.LBB1887_146:
	v_lshrrev_b32_e32 v77, 8, v49
	s_delay_alu instid0(VALU_DEP_2)
	v_add_nc_u32_e32 v73, v81, v73
	s_wait_dscnt 0x0
	v_sub_nc_u32_e32 v81, v81, v4
	v_lshlrev_b32_e32 v84, 1, v1
	v_lshrrev_b32_e32 v75, 16, v49
	v_and_b32_e32 v77, 1, v77
	v_add_nc_u32_e32 v71, v73, v71
	v_add_nc_u32_e32 v81, v81, v1
	v_add3_u32 v87, v84, v2, v41
	v_and_b32_e32 v75, 1, v75
	v_cmp_eq_u32_e32 vcc_lo, 1, v77
	v_add_nc_u32_e32 v72, v82, v72
	v_sub_nc_u32_e32 v82, v82, v3
	v_sub_nc_u32_e32 v73, v73, v4
	v_lshrrev_b32_e32 v76, 8, v42
	v_lshrrev_b32_e32 v74, 16, v42
	v_and_b32_e32 v42, 1, v42
	v_add_nc_u32_e32 v41, v82, v81
	v_add_nc_u32_e32 v73, v73, v1
	v_and_b32_e32 v76, 1, v76
	s_wait_kmcnt 0x0
	v_add_co_u32 v5, s0, s28, v3
	v_sub_nc_u32_e32 v41, v87, v41
	s_wait_alu 0xf1ff
	v_add_co_ci_u32_e64 v6, null, s29, 0, s0
	v_sub_co_u32 v80, s0, s30, v1
	s_wait_alu 0xfffd
	v_cndmask_b32_e32 v41, v41, v81, vcc_lo
	v_cmp_eq_u32_e32 vcc_lo, 1, v75
	v_add_nc_u32_e32 v78, v71, v55
	v_sub_nc_u32_e32 v71, v71, v4
	s_wait_alu 0xf1ff
	v_sub_co_ci_u32_e64 v83, null, s31, 0, s0
	v_and_b32_e32 v55, 1, v55
	v_and_b32_e32 v74, 1, v74
	v_add_nc_u32_e32 v71, v71, v1
	v_add_nc_u32_e32 v70, v72, v70
	v_sub_nc_u32_e32 v72, v72, v3
	v_lshrrev_b32_e32 v26, 8, v43
	v_lshrrev_b32_e32 v25, 16, v43
	v_and_b32_e32 v43, 1, v43
	v_lshrrev_b32_e32 v23, 16, v44
	v_add_nc_u32_e32 v88, v73, v72
	v_and_b32_e32 v26, 1, v26
	v_lshrrev_b32_e32 v24, 8, v44
	v_and_b32_e32 v44, 1, v44
	v_lshrrev_b32_e32 v8, 16, v46
	v_sub_nc_u32_e32 v88, v87, v88
	v_lshrrev_b32_e32 v22, 8, v46
	v_and_b32_e32 v24, 1, v24
	v_lshrrev_b32_e32 v21, 8, v47
	v_and_b32_e32 v8, 1, v8
	v_add_nc_u32_e32 v88, 1, v88
	v_and_b32_e32 v22, 1, v22
	v_lshrrev_b32_e32 v7, 16, v47
	s_mov_b32 s41, 0
	s_wait_alu 0xfffd
	v_cndmask_b32_e32 v73, v88, v73, vcc_lo
	v_cmp_eq_u32_e32 vcc_lo, 1, v42
	v_add_nc_u32_e32 v68, v78, v68
	v_and_b32_e32 v7, 1, v7
	s_wait_alu 0xfffd
	v_cndmask_b32_e32 v81, v41, v82, vcc_lo
	v_cmp_eq_u32_e32 vcc_lo, 1, v76
	v_add_nc_u32_e32 v69, v70, v69
	v_sub_nc_u32_e32 v70, v70, v3
	v_sub_nc_u32_e32 v76, v78, v4
	s_wait_alu 0xfffd
	v_dual_cndmask_b32 v72, v73, v72 :: v_dual_add_nc_u32 v67, v68, v67
	v_add_co_u32 v41, vcc_lo, v80, v4
	v_add_nc_u32_e32 v75, v71, v70
	s_wait_alu 0xfffd
	v_add_co_ci_u32_e64 v42, null, 0, v83, vcc_lo
	v_cmp_eq_u32_e32 vcc_lo, 1, v55
	v_add_nc_u32_e32 v79, v69, v54
	v_sub_nc_u32_e32 v73, v87, v75
	v_sub_nc_u32_e32 v69, v69, v3
	;; [unrolled: 1-line block ×3, first 2 shown]
	v_lshlrev_b32_e32 v75, 2, v81
	v_lshlrev_b32_e32 v72, 2, v72
	v_add_nc_u32_e32 v73, 2, v73
	ds_store_b32 v75, v19
	ds_store_b32 v72, v20
	s_wait_alu 0xfffd
	v_dual_cndmask_b32 v55, v73, v71 :: v_dual_add_nc_u32 v68, v68, v1
	v_add_nc_u32_e32 v71, v76, v1
	v_cmp_eq_u32_e32 vcc_lo, 1, v74
	v_and_b32_e32 v54, 1, v54
	s_delay_alu instid0(VALU_DEP_3) | instskip(SKIP_4) | instid1(VALU_DEP_3)
	v_add_nc_u32_e32 v73, v69, v71
	s_wait_alu 0xfffd
	v_cndmask_b32_e32 v55, v55, v70, vcc_lo
	v_sub_nc_u32_e32 v70, v79, v3
	v_cmp_eq_u32_e32 vcc_lo, 1, v43
	v_lshlrev_b32_e32 v19, 2, v55
	s_delay_alu instid0(VALU_DEP_3)
	v_add_nc_u32_e32 v20, v70, v68
	v_sub_nc_u32_e32 v55, v87, v73
	ds_store_b32 v19, v17
	v_sub_nc_u32_e32 v20, v87, v20
	v_add_nc_u32_e32 v55, 3, v55
	v_and_b32_e32 v19, 1, v25
	s_wait_alu 0xfffd
	s_delay_alu instid0(VALU_DEP_2) | instskip(SKIP_2) | instid1(VALU_DEP_2)
	v_dual_cndmask_b32 v43, v55, v71 :: v_dual_add_nc_u32 v20, 4, v20
	v_cmp_eq_u32_e32 vcc_lo, 1, v26
	s_wait_alu 0xfffd
	v_cndmask_b32_e32 v20, v20, v68, vcc_lo
	v_cmp_eq_u32_e32 vcc_lo, 1, v54
	s_wait_alu 0xfffd
	v_cndmask_b32_e32 v26, v43, v69, vcc_lo
	v_cmp_eq_u32_e32 vcc_lo, 1, v44
	v_add_nc_u32_e32 v65, v67, v65
	v_sub_nc_u32_e32 v67, v67, v4
	s_delay_alu instid0(VALU_DEP_4)
	v_lshlrev_b32_e32 v17, 2, v26
	s_wait_alu 0xfffd
	v_cndmask_b32_e32 v20, v20, v70, vcc_lo
	v_cmp_eq_u32_e32 vcc_lo, 1, v19
	v_add_nc_u32_e32 v67, v67, v1
	v_add_nc_u32_e32 v66, v79, v66
	;; [unrolled: 1-line block ×3, first 2 shown]
	v_sub_nc_u32_e32 v26, v65, v4
	v_lshlrev_b32_e32 v20, 2, v20
	ds_store_b32 v17, v18
	ds_store_b32 v20, v15
	v_add_nc_u32_e32 v64, v66, v64
	v_sub_nc_u32_e32 v66, v66, v3
	v_add_nc_u32_e32 v26, v26, v1
	v_add_nc_u32_e32 v63, v85, v63
	v_and_b32_e32 v20, 1, v53
	s_delay_alu instid0(VALU_DEP_4) | instskip(NEXT) | instid1(VALU_DEP_1)
	v_add_nc_u32_e32 v55, v66, v67
	v_sub_nc_u32_e32 v43, v87, v55
	s_delay_alu instid0(VALU_DEP_1) | instskip(SKIP_2) | instid1(VALU_DEP_2)
	v_add_nc_u32_e32 v25, 5, v43
	v_sub_nc_u32_e32 v43, v85, v4
	s_wait_alu 0xfffd
	v_cndmask_b32_e32 v19, v25, v67, vcc_lo
	v_cmp_eq_u32_e32 vcc_lo, 1, v24
	s_delay_alu instid0(VALU_DEP_3) | instskip(SKIP_1) | instid1(VALU_DEP_3)
	v_add_nc_u32_e32 v43, v43, v1
	s_wait_alu 0xfffd
	v_cndmask_b32_e32 v19, v19, v66, vcc_lo
	v_add_nc_u32_e32 v59, v64, v59
	v_sub_nc_u32_e32 v25, v64, v3
	v_cmp_eq_u32_e32 vcc_lo, 1, v20
	v_and_b32_e32 v20, 1, v52
	v_lshlrev_b32_e32 v15, 2, v19
	v_sub_nc_u32_e32 v24, v59, v3
	v_add_nc_u32_e32 v44, v25, v26
	v_add_nc_u32_e32 v86, v59, v52
	v_and_b32_e32 v19, 1, v23
	v_sub_nc_u32_e32 v23, v63, v4
	v_add_nc_u32_e32 v17, v24, v43
	v_sub_nc_u32_e32 v18, v87, v44
	v_and_b32_e32 v44, 1, v46
	v_sub_nc_u32_e32 v46, v86, v3
	v_add_nc_u32_e32 v23, v23, v1
	v_sub_nc_u32_e32 v17, v87, v17
	v_add_nc_u32_e32 v18, 6, v18
	v_add_nc_u32_e32 v61, v86, v61
	s_wait_alu 0xfffd
	s_delay_alu instid0(VALU_DEP_2)
	v_dual_cndmask_b32 v18, v18, v26 :: v_dual_add_nc_u32 v17, 7, v17
	v_cmp_eq_u32_e32 vcc_lo, 1, v44
	v_add_nc_u32_e32 v26, v46, v23
	v_add_nc_u32_e32 v58, v61, v58
	s_wait_alu 0xfffd
	v_cndmask_b32_e32 v17, v17, v43, vcc_lo
	v_cmp_eq_u32_e32 vcc_lo, 1, v19
	v_sub_nc_u32_e32 v19, v87, v26
	s_wait_alu 0xfffd
	v_cndmask_b32_e32 v18, v18, v25, vcc_lo
	v_cmp_eq_u32_e32 vcc_lo, 1, v20
	v_add_nc_u32_e32 v62, v63, v62
	v_add_nc_u32_e32 v19, 8, v19
	v_sub_nc_u32_e32 v25, v61, v3
	s_wait_alu 0xfffd
	v_dual_cndmask_b32 v17, v17, v24 :: v_dual_lshlrev_b32 v18, 2, v18
	v_sub_nc_u32_e32 v20, v62, v4
	v_and_b32_e32 v24, 1, v47
	v_cmp_eq_u32_e32 vcc_lo, 1, v22
	s_delay_alu instid0(VALU_DEP_4) | instskip(NEXT) | instid1(VALU_DEP_4)
	v_lshlrev_b32_e32 v17, 2, v17
	v_add_nc_u32_e32 v20, v20, v1
	ds_store_b32 v15, v16
	ds_store_b32 v18, v13
	;; [unrolled: 1-line block ×3, first 2 shown]
	s_wait_alu 0xfffd
	v_cndmask_b32_e32 v19, v19, v23, vcc_lo
	v_cmp_eq_u32_e32 vcc_lo, 1, v24
	v_add_nc_u32_e32 v60, v62, v60
	v_add_nc_u32_e32 v22, v25, v20
	v_sub_nc_u32_e32 v17, v58, v3
	v_and_b32_e32 v15, 1, v21
	s_wait_alu 0xfffd
	v_cndmask_b32_e32 v19, v19, v46, vcc_lo
	v_sub_nc_u32_e32 v16, v60, v4
	v_sub_nc_u32_e32 v13, v87, v22
	v_cmp_eq_u32_e32 vcc_lo, 1, v8
	v_add_nc_u32_e32 v89, v60, v51
	v_lshlrev_b32_e32 v14, 2, v19
	v_add_nc_u32_e32 v16, v16, v1
	v_add_nc_u32_e32 v13, 9, v13
	s_delay_alu instid0(VALU_DEP_4)
	v_sub_nc_u32_e32 v18, v89, v4
	ds_store_b32 v14, v11
	v_add_nc_u32_e32 v19, v17, v16
	s_wait_alu 0xfffd
	v_cndmask_b32_e32 v8, v13, v20, vcc_lo
	v_cmp_eq_u32_e32 vcc_lo, 1, v15
	v_and_b32_e32 v15, 1, v51
	v_and_b32_e32 v20, 1, v45
	v_sub_nc_u32_e32 v14, v87, v19
	v_add_nc_u32_e32 v18, v18, v1
	s_wait_alu 0xfffd
	v_cndmask_b32_e32 v8, v8, v25, vcc_lo
	v_cmp_eq_u32_e32 vcc_lo, 1, v15
	v_add_nc_u32_e32 v57, v89, v57
	v_add_nc_u32_e32 v14, 10, v14
	v_and_b32_e32 v15, 1, v50
	v_lshlrev_b32_e32 v8, 2, v8
	s_delay_alu instid0(VALU_DEP_4)
	v_sub_nc_u32_e32 v19, v57, v4
	s_wait_alu 0xfffd
	v_cndmask_b32_e32 v14, v14, v16, vcc_lo
	v_cmp_eq_u32_e32 vcc_lo, 1, v20
	v_add_nc_u32_e32 v56, v58, v56
	v_add_nc_u32_e32 v19, v19, v1
	s_delay_alu instid0(VALU_DEP_2) | instskip(NEXT) | instid1(VALU_DEP_1)
	v_sub_nc_u32_e32 v13, v56, v3
	v_add_nc_u32_e32 v11, v13, v18
	s_delay_alu instid0(VALU_DEP_1) | instskip(NEXT) | instid1(VALU_DEP_1)
	v_sub_nc_u32_e32 v11, v87, v11
	v_add_nc_u32_e32 v11, 11, v11
	s_wait_alu 0xfffd
	s_delay_alu instid0(VALU_DEP_1) | instskip(SKIP_2) | instid1(VALU_DEP_2)
	v_cndmask_b32_e32 v11, v11, v18, vcc_lo
	v_add_nc_u32_e32 v77, v56, v50
	v_cmp_eq_u32_e32 vcc_lo, 1, v7
	v_sub_nc_u32_e32 v3, v77, v3
	s_wait_alu 0xfffd
	v_cndmask_b32_e32 v7, v14, v17, vcc_lo
	v_cmp_eq_u32_e32 vcc_lo, 1, v15
	v_and_b32_e32 v15, 1, v49
	v_add_nc_u32_e32 v16, v3, v19
	s_delay_alu instid0(VALU_DEP_4) | instskip(SKIP_4) | instid1(VALU_DEP_3)
	v_lshlrev_b32_e32 v7, 2, v7
	s_wait_alu 0xfffd
	v_cndmask_b32_e32 v11, v11, v13, vcc_lo
	v_and_b32_e32 v13, 1, v48
	v_sub_nc_u32_e32 v14, v87, v16
	v_lshlrev_b32_e32 v11, 2, v11
	s_delay_alu instid0(VALU_DEP_3)
	v_cmp_eq_u32_e32 vcc_lo, 1, v13
	ds_store_b32 v8, v12
	ds_store_b32 v7, v9
	;; [unrolled: 1-line block ×3, first 2 shown]
	v_add_nc_u32_e32 v14, 12, v14
	v_add_co_u32 v7, s0, v2, v84
	s_wait_alu 0xf1ff
	v_add_co_ci_u32_e64 v8, null, 0, 0, s0
	s_wait_alu 0xfffd
	v_cndmask_b32_e32 v13, v14, v19, vcc_lo
	v_cmp_eq_u32_e32 vcc_lo, 1, v15
	s_wait_alu 0xfffe
	s_add_nc_u64 s[0:1], s[34:35], s[40:41]
	v_lshlrev_b64_e32 v[9:10], 2, v[5:6]
	v_add_nc_u32_e32 v12, v1, v2
	s_wait_alu 0xfffd
	v_cndmask_b32_e32 v3, v13, v3, vcc_lo
	v_add_co_u32 v7, vcc_lo, v7, v41
	s_wait_alu 0xfffd
	v_add_co_ci_u32_e64 v8, null, v8, v42, vcc_lo
	s_delay_alu instid0(VALU_DEP_3)
	v_lshlrev_b32_e32 v3, 2, v3
	ds_store_b32 v3, v40
	v_add_co_u32 v3, vcc_lo, v7, v5
	s_wait_alu 0xfffd
	v_add_co_ci_u32_e64 v7, null, v8, v6, vcc_lo
	s_wait_loadcnt_dscnt 0x0
	s_wait_alu 0xfffe
	v_sub_co_u32 v3, vcc_lo, s0, v3
	s_wait_alu 0xfffd
	v_sub_co_ci_u32_e64 v11, null, s1, v7, vcc_lo
	v_lshlrev_b64_e32 v[7:8], 2, v[41:42]
	v_add_co_u32 v9, s0, s36, v9
	s_wait_alu 0xf1ff
	v_add_co_ci_u32_e64 v10, null, s37, v10, s0
	s_mov_b32 s0, -1
	v_add_co_u32 v7, vcc_lo, s38, v7
	s_wait_alu 0xfffd
	v_add_co_ci_u32_e64 v8, null, s39, v8, vcc_lo
	v_cmp_ne_u32_e32 vcc_lo, 1, v39
	s_barrier_signal -1
	s_barrier_wait -1
	global_inv scope:SCOPE_SE
	s_cbranch_vccz .LBB1887_150
; %bb.147:
	s_wait_alu 0xfffe
	s_and_b32 vcc_lo, exec_lo, s0
	s_wait_alu 0xfffe
	s_cbranch_vccnz .LBB1887_255
.LBB1887_148:
	v_cmp_eq_u32_e32 vcc_lo, 0, v0
	s_and_b32 s0, vcc_lo, s15
	s_wait_alu 0xfffe
	s_and_saveexec_b32 s1, s0
	s_cbranch_execnz .LBB1887_373
.LBB1887_149:
	s_endpgm
.LBB1887_150:
	s_mov_b32 s0, exec_lo
	v_cmpx_ge_u32_e64 v0, v1
	s_wait_alu 0xfffe
	s_xor_b32 s0, exec_lo, s0
	s_cbranch_execz .LBB1887_156
; %bb.151:
	s_mov_b32 s1, exec_lo
	v_cmpx_ge_u32_e64 v0, v12
	s_wait_alu 0xfffe
	s_xor_b32 s1, exec_lo, s1
	s_cbranch_execz .LBB1887_153
; %bb.152:
	v_lshlrev_b32_e32 v13, 2, v0
	ds_load_b32 v15, v13
	v_add_co_u32 v13, vcc_lo, v3, v0
	s_wait_alu 0xfffd
	v_add_co_ci_u32_e64 v14, null, 0, v11, vcc_lo
	s_delay_alu instid0(VALU_DEP_1) | instskip(NEXT) | instid1(VALU_DEP_1)
	v_lshlrev_b64_e32 v[13:14], 2, v[13:14]
	v_sub_co_u32 v13, vcc_lo, s26, v13
	s_wait_alu 0xfffd
	s_delay_alu instid0(VALU_DEP_2)
	v_sub_co_ci_u32_e64 v14, null, s27, v14, vcc_lo
	s_wait_dscnt 0x0
	global_store_b32 v[13:14], v15, off offset:-4
.LBB1887_153:
	s_wait_alu 0xfffe
	s_and_not1_saveexec_b32 s1, s1
	s_cbranch_execz .LBB1887_155
; %bb.154:
	v_lshlrev_b32_e32 v13, 2, v0
	v_readfirstlane_b32 s2, v7
	v_readfirstlane_b32 s3, v8
	ds_load_b32 v14, v13
	s_wait_dscnt 0x0
	global_store_b32 v13, v14, s[2:3]
.LBB1887_155:
	s_wait_alu 0xfffe
	s_or_b32 exec_lo, exec_lo, s1
.LBB1887_156:
	s_wait_alu 0xfffe
	s_and_not1_saveexec_b32 s0, s0
	s_cbranch_execz .LBB1887_158
; %bb.157:
	v_lshlrev_b32_e32 v13, 2, v0
	v_readfirstlane_b32 s2, v9
	v_readfirstlane_b32 s3, v10
	ds_load_b32 v14, v13
	s_wait_dscnt 0x0
	global_store_b32 v13, v14, s[2:3]
.LBB1887_158:
	s_wait_alu 0xfffe
	s_or_b32 exec_lo, exec_lo, s0
	s_delay_alu instid0(SALU_CYCLE_1)
	s_mov_b32 s0, exec_lo
	v_cmpx_ge_u32_e64 v38, v1
	s_wait_alu 0xfffe
	s_xor_b32 s0, exec_lo, s0
	s_cbranch_execz .LBB1887_164
; %bb.159:
	s_mov_b32 s1, exec_lo
	v_cmpx_ge_u32_e64 v38, v12
	s_wait_alu 0xfffe
	s_xor_b32 s1, exec_lo, s1
	s_cbranch_execz .LBB1887_161
; %bb.160:
	v_lshlrev_b32_e32 v13, 2, v0
	ds_load_b32 v15, v13 offset:1024
	v_add_co_u32 v13, vcc_lo, v3, v0
	s_wait_alu 0xfffd
	v_add_co_ci_u32_e64 v14, null, 0, v11, vcc_lo
	s_delay_alu instid0(VALU_DEP_1) | instskip(NEXT) | instid1(VALU_DEP_1)
	v_lshlrev_b64_e32 v[13:14], 2, v[13:14]
	v_sub_co_u32 v13, vcc_lo, s26, v13
	s_wait_alu 0xfffd
	s_delay_alu instid0(VALU_DEP_2)
	v_sub_co_ci_u32_e64 v14, null, s27, v14, vcc_lo
	s_wait_dscnt 0x0
	global_store_b32 v[13:14], v15, off offset:-1028
.LBB1887_161:
	s_wait_alu 0xfffe
	s_and_not1_saveexec_b32 s1, s1
	s_cbranch_execz .LBB1887_163
; %bb.162:
	v_lshlrev_b32_e32 v13, 2, v0
	v_readfirstlane_b32 s2, v7
	v_readfirstlane_b32 s3, v8
	ds_load_b32 v14, v13 offset:1024
	s_wait_dscnt 0x0
	global_store_b32 v13, v14, s[2:3] offset:1024
.LBB1887_163:
	s_wait_alu 0xfffe
	s_or_b32 exec_lo, exec_lo, s1
.LBB1887_164:
	s_wait_alu 0xfffe
	s_and_not1_saveexec_b32 s0, s0
	s_cbranch_execz .LBB1887_166
; %bb.165:
	v_lshlrev_b32_e32 v13, 2, v0
	v_readfirstlane_b32 s2, v9
	v_readfirstlane_b32 s3, v10
	ds_load_b32 v14, v13 offset:1024
	s_wait_dscnt 0x0
	global_store_b32 v13, v14, s[2:3] offset:1024
.LBB1887_166:
	s_wait_alu 0xfffe
	s_or_b32 exec_lo, exec_lo, s0
	s_delay_alu instid0(SALU_CYCLE_1)
	s_mov_b32 s0, exec_lo
	v_cmpx_ge_u32_e64 v37, v1
	s_wait_alu 0xfffe
	s_xor_b32 s0, exec_lo, s0
	s_cbranch_execz .LBB1887_172
; %bb.167:
	s_mov_b32 s1, exec_lo
	v_cmpx_ge_u32_e64 v37, v12
	s_wait_alu 0xfffe
	s_xor_b32 s1, exec_lo, s1
	s_cbranch_execz .LBB1887_169
; %bb.168:
	v_lshlrev_b32_e32 v13, 2, v0
	ds_load_b32 v15, v13 offset:2048
	v_add_co_u32 v13, vcc_lo, v3, v0
	s_wait_alu 0xfffd
	v_add_co_ci_u32_e64 v14, null, 0, v11, vcc_lo
	s_delay_alu instid0(VALU_DEP_1) | instskip(NEXT) | instid1(VALU_DEP_1)
	v_lshlrev_b64_e32 v[13:14], 2, v[13:14]
	v_sub_co_u32 v13, vcc_lo, s26, v13
	s_wait_alu 0xfffd
	s_delay_alu instid0(VALU_DEP_2)
	v_sub_co_ci_u32_e64 v14, null, s27, v14, vcc_lo
	s_wait_dscnt 0x0
	global_store_b32 v[13:14], v15, off offset:-2052
.LBB1887_169:
	s_wait_alu 0xfffe
	s_and_not1_saveexec_b32 s1, s1
	s_cbranch_execz .LBB1887_171
; %bb.170:
	v_lshlrev_b32_e32 v13, 2, v0
	v_readfirstlane_b32 s2, v7
	v_readfirstlane_b32 s3, v8
	ds_load_b32 v14, v13 offset:2048
	s_wait_dscnt 0x0
	global_store_b32 v13, v14, s[2:3] offset:2048
.LBB1887_171:
	s_wait_alu 0xfffe
	s_or_b32 exec_lo, exec_lo, s1
.LBB1887_172:
	s_wait_alu 0xfffe
	s_and_not1_saveexec_b32 s0, s0
	s_cbranch_execz .LBB1887_174
; %bb.173:
	v_lshlrev_b32_e32 v13, 2, v0
	v_readfirstlane_b32 s2, v9
	v_readfirstlane_b32 s3, v10
	ds_load_b32 v14, v13 offset:2048
	s_wait_dscnt 0x0
	global_store_b32 v13, v14, s[2:3] offset:2048
.LBB1887_174:
	;; [unrolled: 54-line block ×12, first 2 shown]
	s_wait_alu 0xfffe
	s_or_b32 exec_lo, exec_lo, s0
	s_branch .LBB1887_148
.LBB1887_255:
	s_mov_b32 s0, exec_lo
	v_cmpx_gt_u32_e64 s33, v0
	s_cbranch_execz .LBB1887_264
; %bb.256:
	s_mov_b32 s1, exec_lo
	v_cmpx_ge_u32_e64 v0, v1
	s_wait_alu 0xfffe
	s_xor_b32 s1, exec_lo, s1
	s_cbranch_execz .LBB1887_262
; %bb.257:
	s_mov_b32 s2, exec_lo
	v_cmpx_ge_u32_e64 v0, v12
	s_wait_alu 0xfffe
	s_xor_b32 s2, exec_lo, s2
	s_cbranch_execz .LBB1887_259
; %bb.258:
	v_lshlrev_b32_e32 v13, 2, v0
	ds_load_b32 v15, v13
	v_add_co_u32 v13, vcc_lo, v3, v0
	s_wait_alu 0xfffd
	v_add_co_ci_u32_e64 v14, null, 0, v11, vcc_lo
	s_delay_alu instid0(VALU_DEP_1) | instskip(NEXT) | instid1(VALU_DEP_1)
	v_lshlrev_b64_e32 v[13:14], 2, v[13:14]
	v_sub_co_u32 v13, vcc_lo, s26, v13
	s_wait_alu 0xfffd
	s_delay_alu instid0(VALU_DEP_2)
	v_sub_co_ci_u32_e64 v14, null, s27, v14, vcc_lo
	s_wait_dscnt 0x0
	global_store_b32 v[13:14], v15, off offset:-4
.LBB1887_259:
	s_wait_alu 0xfffe
	s_and_not1_saveexec_b32 s2, s2
	s_cbranch_execz .LBB1887_261
; %bb.260:
	v_lshlrev_b32_e32 v13, 2, v0
	v_readfirstlane_b32 s4, v7
	v_readfirstlane_b32 s5, v8
	ds_load_b32 v14, v13
	s_wait_dscnt 0x0
	global_store_b32 v13, v14, s[4:5]
.LBB1887_261:
	s_wait_alu 0xfffe
	s_or_b32 exec_lo, exec_lo, s2
.LBB1887_262:
	s_wait_alu 0xfffe
	s_and_not1_saveexec_b32 s1, s1
	s_cbranch_execz .LBB1887_264
; %bb.263:
	v_lshlrev_b32_e32 v13, 2, v0
	v_readfirstlane_b32 s2, v9
	v_readfirstlane_b32 s3, v10
	ds_load_b32 v14, v13
	s_wait_dscnt 0x0
	global_store_b32 v13, v14, s[2:3]
.LBB1887_264:
	s_wait_alu 0xfffe
	s_or_b32 exec_lo, exec_lo, s0
	s_delay_alu instid0(SALU_CYCLE_1)
	s_mov_b32 s0, exec_lo
	v_cmpx_gt_u32_e64 s33, v38
	s_cbranch_execz .LBB1887_273
; %bb.265:
	s_mov_b32 s1, exec_lo
	v_cmpx_ge_u32_e64 v38, v1
	s_wait_alu 0xfffe
	s_xor_b32 s1, exec_lo, s1
	s_cbranch_execz .LBB1887_271
; %bb.266:
	s_mov_b32 s2, exec_lo
	v_cmpx_ge_u32_e64 v38, v12
	s_wait_alu 0xfffe
	s_xor_b32 s2, exec_lo, s2
	s_cbranch_execz .LBB1887_268
; %bb.267:
	v_lshlrev_b32_e32 v13, 2, v0
	ds_load_b32 v15, v13 offset:1024
	v_add_co_u32 v13, vcc_lo, v3, v0
	s_wait_alu 0xfffd
	v_add_co_ci_u32_e64 v14, null, 0, v11, vcc_lo
	s_delay_alu instid0(VALU_DEP_1) | instskip(NEXT) | instid1(VALU_DEP_1)
	v_lshlrev_b64_e32 v[13:14], 2, v[13:14]
	v_sub_co_u32 v13, vcc_lo, s26, v13
	s_wait_alu 0xfffd
	s_delay_alu instid0(VALU_DEP_2)
	v_sub_co_ci_u32_e64 v14, null, s27, v14, vcc_lo
	s_wait_dscnt 0x0
	global_store_b32 v[13:14], v15, off offset:-1028
.LBB1887_268:
	s_wait_alu 0xfffe
	s_and_not1_saveexec_b32 s2, s2
	s_cbranch_execz .LBB1887_270
; %bb.269:
	v_lshlrev_b32_e32 v13, 2, v0
	v_readfirstlane_b32 s4, v7
	v_readfirstlane_b32 s5, v8
	ds_load_b32 v14, v13 offset:1024
	s_wait_dscnt 0x0
	global_store_b32 v13, v14, s[4:5] offset:1024
.LBB1887_270:
	s_wait_alu 0xfffe
	s_or_b32 exec_lo, exec_lo, s2
.LBB1887_271:
	s_wait_alu 0xfffe
	s_and_not1_saveexec_b32 s1, s1
	s_cbranch_execz .LBB1887_273
; %bb.272:
	v_lshlrev_b32_e32 v13, 2, v0
	v_readfirstlane_b32 s2, v9
	v_readfirstlane_b32 s3, v10
	ds_load_b32 v14, v13 offset:1024
	s_wait_dscnt 0x0
	global_store_b32 v13, v14, s[2:3] offset:1024
.LBB1887_273:
	s_wait_alu 0xfffe
	s_or_b32 exec_lo, exec_lo, s0
	s_delay_alu instid0(SALU_CYCLE_1)
	s_mov_b32 s0, exec_lo
	v_cmpx_gt_u32_e64 s33, v37
	s_cbranch_execz .LBB1887_282
; %bb.274:
	s_mov_b32 s1, exec_lo
	v_cmpx_ge_u32_e64 v37, v1
	s_wait_alu 0xfffe
	s_xor_b32 s1, exec_lo, s1
	s_cbranch_execz .LBB1887_280
; %bb.275:
	s_mov_b32 s2, exec_lo
	v_cmpx_ge_u32_e64 v37, v12
	s_wait_alu 0xfffe
	s_xor_b32 s2, exec_lo, s2
	s_cbranch_execz .LBB1887_277
; %bb.276:
	v_lshlrev_b32_e32 v13, 2, v0
	ds_load_b32 v15, v13 offset:2048
	v_add_co_u32 v13, vcc_lo, v3, v0
	s_wait_alu 0xfffd
	v_add_co_ci_u32_e64 v14, null, 0, v11, vcc_lo
	s_delay_alu instid0(VALU_DEP_1) | instskip(NEXT) | instid1(VALU_DEP_1)
	v_lshlrev_b64_e32 v[13:14], 2, v[13:14]
	v_sub_co_u32 v13, vcc_lo, s26, v13
	s_wait_alu 0xfffd
	s_delay_alu instid0(VALU_DEP_2)
	v_sub_co_ci_u32_e64 v14, null, s27, v14, vcc_lo
	s_wait_dscnt 0x0
	global_store_b32 v[13:14], v15, off offset:-2052
.LBB1887_277:
	s_wait_alu 0xfffe
	s_and_not1_saveexec_b32 s2, s2
	s_cbranch_execz .LBB1887_279
; %bb.278:
	v_lshlrev_b32_e32 v13, 2, v0
	v_readfirstlane_b32 s4, v7
	v_readfirstlane_b32 s5, v8
	ds_load_b32 v14, v13 offset:2048
	s_wait_dscnt 0x0
	global_store_b32 v13, v14, s[4:5] offset:2048
.LBB1887_279:
	s_wait_alu 0xfffe
	s_or_b32 exec_lo, exec_lo, s2
.LBB1887_280:
	s_wait_alu 0xfffe
	s_and_not1_saveexec_b32 s1, s1
	s_cbranch_execz .LBB1887_282
; %bb.281:
	v_lshlrev_b32_e32 v13, 2, v0
	v_readfirstlane_b32 s2, v9
	v_readfirstlane_b32 s3, v10
	ds_load_b32 v14, v13 offset:2048
	s_wait_dscnt 0x0
	global_store_b32 v13, v14, s[2:3] offset:2048
.LBB1887_282:
	;; [unrolled: 58-line block ×11, first 2 shown]
	s_wait_alu 0xfffe
	s_or_b32 exec_lo, exec_lo, s0
	s_delay_alu instid0(SALU_CYCLE_1)
	s_mov_b32 s0, exec_lo
	v_cmpx_gt_u32_e64 s33, v27
	s_cbranch_execz .LBB1887_372
; %bb.364:
	s_mov_b32 s1, exec_lo
	v_cmpx_ge_u32_e64 v27, v1
	s_wait_alu 0xfffe
	s_xor_b32 s1, exec_lo, s1
	s_cbranch_execz .LBB1887_370
; %bb.365:
	s_mov_b32 s2, exec_lo
	v_cmpx_ge_u32_e64 v27, v12
	s_wait_alu 0xfffe
	s_xor_b32 s2, exec_lo, s2
	s_cbranch_execz .LBB1887_367
; %bb.366:
	v_lshlrev_b32_e32 v7, 2, v0
	ds_load_b32 v9, v7 offset:12288
	v_add_co_u32 v7, vcc_lo, v3, v0
	s_wait_alu 0xfffd
	v_add_co_ci_u32_e64 v8, null, 0, v11, vcc_lo
	s_delay_alu instid0(VALU_DEP_1) | instskip(NEXT) | instid1(VALU_DEP_1)
	v_lshlrev_b64_e32 v[7:8], 2, v[7:8]
	v_sub_co_u32 v7, vcc_lo, s26, v7
	s_wait_alu 0xfffd
	s_delay_alu instid0(VALU_DEP_2)
	v_sub_co_ci_u32_e64 v8, null, s27, v8, vcc_lo
	s_wait_dscnt 0x0
	global_store_b32 v[7:8], v9, off offset:-12292
                                        ; implicit-def: $vgpr7_vgpr8
.LBB1887_367:
	s_wait_alu 0xfffe
	s_and_not1_saveexec_b32 s2, s2
	s_cbranch_execz .LBB1887_369
; %bb.368:
	v_lshlrev_b32_e32 v3, 2, v0
	v_readfirstlane_b32 s4, v7
	v_readfirstlane_b32 s5, v8
	ds_load_b32 v9, v3 offset:12288
	s_wait_dscnt 0x0
	global_store_b32 v3, v9, s[4:5] offset:12288
.LBB1887_369:
	s_wait_alu 0xfffe
	s_or_b32 exec_lo, exec_lo, s2
                                        ; implicit-def: $vgpr9_vgpr10
.LBB1887_370:
	s_wait_alu 0xfffe
	s_and_not1_saveexec_b32 s1, s1
	s_cbranch_execz .LBB1887_372
; %bb.371:
	v_lshlrev_b32_e32 v3, 2, v0
	v_readfirstlane_b32 s2, v9
	v_readfirstlane_b32 s3, v10
	ds_load_b32 v7, v3 offset:12288
	s_wait_dscnt 0x0
	global_store_b32 v3, v7, s[2:3] offset:12288
.LBB1887_372:
	s_wait_alu 0xfffe
	s_or_b32 exec_lo, exec_lo, s0
	v_cmp_eq_u32_e32 vcc_lo, 0, v0
	s_and_b32 s0, vcc_lo, s15
	s_wait_alu 0xfffe
	s_and_saveexec_b32 s1, s0
	s_cbranch_execz .LBB1887_149
.LBB1887_373:
	v_add_co_u32 v0, s0, s30, v2
	s_wait_alu 0xf1ff
	v_add_co_ci_u32_e64 v3, null, s31, 0, s0
	v_mov_b32_e32 v7, 0
	s_delay_alu instid0(VALU_DEP_3) | instskip(SKIP_1) | instid1(VALU_DEP_3)
	v_add_co_u32 v2, vcc_lo, v0, v4
	s_wait_alu 0xfffd
	v_add_co_ci_u32_e64 v3, null, 0, v3, vcc_lo
	v_add_co_u32 v0, vcc_lo, v5, v1
	s_wait_alu 0xfffd
	v_add_co_ci_u32_e64 v1, null, 0, v6, vcc_lo
	global_store_b128 v7, v[0:3], s[24:25]
	s_endpgm
.LBB1887_374:
	s_add_co_i32 s8, ttmp9, 32
	s_mov_b32 s9, 0
	v_dual_mov_b32 v7, 2 :: v_dual_add_nc_u32 v6, v4, v2
	s_wait_alu 0xfffe
	s_lshl_b64 s[8:9], s[8:9], 4
	v_dual_mov_b32 v8, 0 :: v_dual_add_nc_u32 v5, v3, v1
	s_wait_alu 0xfffe
	s_add_nc_u64 s[8:9], s[4:5], s[8:9]
	s_wait_alu 0xfffe
	v_dual_mov_b32 v24, s9 :: v_dual_mov_b32 v23, s8
	;;#ASMSTART
	global_store_b128 v[23:24], v[5:8] off scope:SCOPE_DEV	
s_wait_storecnt 0x0
	;;#ASMEND
	s_or_b32 exec_lo, exec_lo, s6
	s_and_saveexec_b32 s6, s2
	s_cbranch_execz .LBB1887_134
.LBB1887_375:
	v_mov_b32_e32 v5, 0
	ds_store_b128 v5, v[1:4] offset:13312
	s_wait_alu 0xfffe
	s_or_b32 exec_lo, exec_lo, s6
	v_cmp_eq_u32_e32 vcc_lo, 0, v0
	s_and_b32 exec_lo, exec_lo, vcc_lo
	s_cbranch_execnz .LBB1887_135
	s_branch .LBB1887_136
	.section	.rodata,"a",@progbits
	.p2align	6, 0x0
	.amdhsa_kernel _ZN7rocprim17ROCPRIM_400000_NS6detail17trampoline_kernelINS0_13select_configILj256ELj13ELNS0_17block_load_methodE3ELS4_3ELS4_3ELNS0_20block_scan_algorithmE0ELj4294967295EEENS1_25partition_config_selectorILNS1_17partition_subalgoE4EjNS0_10empty_typeEbEEZZNS1_14partition_implILS8_4ELb0ES6_15HIP_vector_typeIjLj2EENS0_17counting_iteratorIjlEEPS9_SG_NS0_5tupleIJPjSI_NS0_16reverse_iteratorISI_EEEEENSH_IJSG_SG_SG_EEES9_SI_JZNS1_25segmented_radix_sort_implINS0_14default_configELb1EPK12hip_bfloat16PSP_PKlPlN2at6native12_GLOBAL__N_18offset_tEEE10hipError_tPvRmT1_PNSt15iterator_traitsIS13_E10value_typeET2_T3_PNS14_IS19_E10value_typeET4_jRbjT5_S1F_jjP12ihipStream_tbEUljE_ZNSN_ISO_Lb1ESR_SS_SU_SV_SZ_EES10_S11_S12_S13_S17_S18_S19_S1C_S1D_jS1E_jS1F_S1F_jjS1H_bEUljE0_EEES10_S11_S12_S19_S1D_S1F_T6_T7_T9_mT8_S1H_bDpT10_ENKUlT_T0_E_clISt17integral_constantIbLb0EES1V_EEDaS1Q_S1R_EUlS1Q_E_NS1_11comp_targetILNS1_3genE10ELNS1_11target_archE1200ELNS1_3gpuE4ELNS1_3repE0EEENS1_30default_config_static_selectorELNS0_4arch9wavefront6targetE0EEEvS13_
		.amdhsa_group_segment_fixed_size 13328
		.amdhsa_private_segment_fixed_size 0
		.amdhsa_kernarg_size 176
		.amdhsa_user_sgpr_count 2
		.amdhsa_user_sgpr_dispatch_ptr 0
		.amdhsa_user_sgpr_queue_ptr 0
		.amdhsa_user_sgpr_kernarg_segment_ptr 1
		.amdhsa_user_sgpr_dispatch_id 0
		.amdhsa_user_sgpr_private_segment_size 0
		.amdhsa_wavefront_size32 1
		.amdhsa_uses_dynamic_stack 0
		.amdhsa_enable_private_segment 0
		.amdhsa_system_sgpr_workgroup_id_x 1
		.amdhsa_system_sgpr_workgroup_id_y 0
		.amdhsa_system_sgpr_workgroup_id_z 0
		.amdhsa_system_sgpr_workgroup_info 0
		.amdhsa_system_vgpr_workitem_id 0
		.amdhsa_next_free_vgpr 93
		.amdhsa_next_free_sgpr 58
		.amdhsa_reserve_vcc 1
		.amdhsa_float_round_mode_32 0
		.amdhsa_float_round_mode_16_64 0
		.amdhsa_float_denorm_mode_32 3
		.amdhsa_float_denorm_mode_16_64 3
		.amdhsa_fp16_overflow 0
		.amdhsa_workgroup_processor_mode 1
		.amdhsa_memory_ordered 1
		.amdhsa_forward_progress 1
		.amdhsa_inst_pref_size 148
		.amdhsa_round_robin_scheduling 0
		.amdhsa_exception_fp_ieee_invalid_op 0
		.amdhsa_exception_fp_denorm_src 0
		.amdhsa_exception_fp_ieee_div_zero 0
		.amdhsa_exception_fp_ieee_overflow 0
		.amdhsa_exception_fp_ieee_underflow 0
		.amdhsa_exception_fp_ieee_inexact 0
		.amdhsa_exception_int_div_zero 0
	.end_amdhsa_kernel
	.section	.text._ZN7rocprim17ROCPRIM_400000_NS6detail17trampoline_kernelINS0_13select_configILj256ELj13ELNS0_17block_load_methodE3ELS4_3ELS4_3ELNS0_20block_scan_algorithmE0ELj4294967295EEENS1_25partition_config_selectorILNS1_17partition_subalgoE4EjNS0_10empty_typeEbEEZZNS1_14partition_implILS8_4ELb0ES6_15HIP_vector_typeIjLj2EENS0_17counting_iteratorIjlEEPS9_SG_NS0_5tupleIJPjSI_NS0_16reverse_iteratorISI_EEEEENSH_IJSG_SG_SG_EEES9_SI_JZNS1_25segmented_radix_sort_implINS0_14default_configELb1EPK12hip_bfloat16PSP_PKlPlN2at6native12_GLOBAL__N_18offset_tEEE10hipError_tPvRmT1_PNSt15iterator_traitsIS13_E10value_typeET2_T3_PNS14_IS19_E10value_typeET4_jRbjT5_S1F_jjP12ihipStream_tbEUljE_ZNSN_ISO_Lb1ESR_SS_SU_SV_SZ_EES10_S11_S12_S13_S17_S18_S19_S1C_S1D_jS1E_jS1F_S1F_jjS1H_bEUljE0_EEES10_S11_S12_S19_S1D_S1F_T6_T7_T9_mT8_S1H_bDpT10_ENKUlT_T0_E_clISt17integral_constantIbLb0EES1V_EEDaS1Q_S1R_EUlS1Q_E_NS1_11comp_targetILNS1_3genE10ELNS1_11target_archE1200ELNS1_3gpuE4ELNS1_3repE0EEENS1_30default_config_static_selectorELNS0_4arch9wavefront6targetE0EEEvS13_,"axG",@progbits,_ZN7rocprim17ROCPRIM_400000_NS6detail17trampoline_kernelINS0_13select_configILj256ELj13ELNS0_17block_load_methodE3ELS4_3ELS4_3ELNS0_20block_scan_algorithmE0ELj4294967295EEENS1_25partition_config_selectorILNS1_17partition_subalgoE4EjNS0_10empty_typeEbEEZZNS1_14partition_implILS8_4ELb0ES6_15HIP_vector_typeIjLj2EENS0_17counting_iteratorIjlEEPS9_SG_NS0_5tupleIJPjSI_NS0_16reverse_iteratorISI_EEEEENSH_IJSG_SG_SG_EEES9_SI_JZNS1_25segmented_radix_sort_implINS0_14default_configELb1EPK12hip_bfloat16PSP_PKlPlN2at6native12_GLOBAL__N_18offset_tEEE10hipError_tPvRmT1_PNSt15iterator_traitsIS13_E10value_typeET2_T3_PNS14_IS19_E10value_typeET4_jRbjT5_S1F_jjP12ihipStream_tbEUljE_ZNSN_ISO_Lb1ESR_SS_SU_SV_SZ_EES10_S11_S12_S13_S17_S18_S19_S1C_S1D_jS1E_jS1F_S1F_jjS1H_bEUljE0_EEES10_S11_S12_S19_S1D_S1F_T6_T7_T9_mT8_S1H_bDpT10_ENKUlT_T0_E_clISt17integral_constantIbLb0EES1V_EEDaS1Q_S1R_EUlS1Q_E_NS1_11comp_targetILNS1_3genE10ELNS1_11target_archE1200ELNS1_3gpuE4ELNS1_3repE0EEENS1_30default_config_static_selectorELNS0_4arch9wavefront6targetE0EEEvS13_,comdat
.Lfunc_end1887:
	.size	_ZN7rocprim17ROCPRIM_400000_NS6detail17trampoline_kernelINS0_13select_configILj256ELj13ELNS0_17block_load_methodE3ELS4_3ELS4_3ELNS0_20block_scan_algorithmE0ELj4294967295EEENS1_25partition_config_selectorILNS1_17partition_subalgoE4EjNS0_10empty_typeEbEEZZNS1_14partition_implILS8_4ELb0ES6_15HIP_vector_typeIjLj2EENS0_17counting_iteratorIjlEEPS9_SG_NS0_5tupleIJPjSI_NS0_16reverse_iteratorISI_EEEEENSH_IJSG_SG_SG_EEES9_SI_JZNS1_25segmented_radix_sort_implINS0_14default_configELb1EPK12hip_bfloat16PSP_PKlPlN2at6native12_GLOBAL__N_18offset_tEEE10hipError_tPvRmT1_PNSt15iterator_traitsIS13_E10value_typeET2_T3_PNS14_IS19_E10value_typeET4_jRbjT5_S1F_jjP12ihipStream_tbEUljE_ZNSN_ISO_Lb1ESR_SS_SU_SV_SZ_EES10_S11_S12_S13_S17_S18_S19_S1C_S1D_jS1E_jS1F_S1F_jjS1H_bEUljE0_EEES10_S11_S12_S19_S1D_S1F_T6_T7_T9_mT8_S1H_bDpT10_ENKUlT_T0_E_clISt17integral_constantIbLb0EES1V_EEDaS1Q_S1R_EUlS1Q_E_NS1_11comp_targetILNS1_3genE10ELNS1_11target_archE1200ELNS1_3gpuE4ELNS1_3repE0EEENS1_30default_config_static_selectorELNS0_4arch9wavefront6targetE0EEEvS13_, .Lfunc_end1887-_ZN7rocprim17ROCPRIM_400000_NS6detail17trampoline_kernelINS0_13select_configILj256ELj13ELNS0_17block_load_methodE3ELS4_3ELS4_3ELNS0_20block_scan_algorithmE0ELj4294967295EEENS1_25partition_config_selectorILNS1_17partition_subalgoE4EjNS0_10empty_typeEbEEZZNS1_14partition_implILS8_4ELb0ES6_15HIP_vector_typeIjLj2EENS0_17counting_iteratorIjlEEPS9_SG_NS0_5tupleIJPjSI_NS0_16reverse_iteratorISI_EEEEENSH_IJSG_SG_SG_EEES9_SI_JZNS1_25segmented_radix_sort_implINS0_14default_configELb1EPK12hip_bfloat16PSP_PKlPlN2at6native12_GLOBAL__N_18offset_tEEE10hipError_tPvRmT1_PNSt15iterator_traitsIS13_E10value_typeET2_T3_PNS14_IS19_E10value_typeET4_jRbjT5_S1F_jjP12ihipStream_tbEUljE_ZNSN_ISO_Lb1ESR_SS_SU_SV_SZ_EES10_S11_S12_S13_S17_S18_S19_S1C_S1D_jS1E_jS1F_S1F_jjS1H_bEUljE0_EEES10_S11_S12_S19_S1D_S1F_T6_T7_T9_mT8_S1H_bDpT10_ENKUlT_T0_E_clISt17integral_constantIbLb0EES1V_EEDaS1Q_S1R_EUlS1Q_E_NS1_11comp_targetILNS1_3genE10ELNS1_11target_archE1200ELNS1_3gpuE4ELNS1_3repE0EEENS1_30default_config_static_selectorELNS0_4arch9wavefront6targetE0EEEvS13_
                                        ; -- End function
	.set _ZN7rocprim17ROCPRIM_400000_NS6detail17trampoline_kernelINS0_13select_configILj256ELj13ELNS0_17block_load_methodE3ELS4_3ELS4_3ELNS0_20block_scan_algorithmE0ELj4294967295EEENS1_25partition_config_selectorILNS1_17partition_subalgoE4EjNS0_10empty_typeEbEEZZNS1_14partition_implILS8_4ELb0ES6_15HIP_vector_typeIjLj2EENS0_17counting_iteratorIjlEEPS9_SG_NS0_5tupleIJPjSI_NS0_16reverse_iteratorISI_EEEEENSH_IJSG_SG_SG_EEES9_SI_JZNS1_25segmented_radix_sort_implINS0_14default_configELb1EPK12hip_bfloat16PSP_PKlPlN2at6native12_GLOBAL__N_18offset_tEEE10hipError_tPvRmT1_PNSt15iterator_traitsIS13_E10value_typeET2_T3_PNS14_IS19_E10value_typeET4_jRbjT5_S1F_jjP12ihipStream_tbEUljE_ZNSN_ISO_Lb1ESR_SS_SU_SV_SZ_EES10_S11_S12_S13_S17_S18_S19_S1C_S1D_jS1E_jS1F_S1F_jjS1H_bEUljE0_EEES10_S11_S12_S19_S1D_S1F_T6_T7_T9_mT8_S1H_bDpT10_ENKUlT_T0_E_clISt17integral_constantIbLb0EES1V_EEDaS1Q_S1R_EUlS1Q_E_NS1_11comp_targetILNS1_3genE10ELNS1_11target_archE1200ELNS1_3gpuE4ELNS1_3repE0EEENS1_30default_config_static_selectorELNS0_4arch9wavefront6targetE0EEEvS13_.num_vgpr, 93
	.set _ZN7rocprim17ROCPRIM_400000_NS6detail17trampoline_kernelINS0_13select_configILj256ELj13ELNS0_17block_load_methodE3ELS4_3ELS4_3ELNS0_20block_scan_algorithmE0ELj4294967295EEENS1_25partition_config_selectorILNS1_17partition_subalgoE4EjNS0_10empty_typeEbEEZZNS1_14partition_implILS8_4ELb0ES6_15HIP_vector_typeIjLj2EENS0_17counting_iteratorIjlEEPS9_SG_NS0_5tupleIJPjSI_NS0_16reverse_iteratorISI_EEEEENSH_IJSG_SG_SG_EEES9_SI_JZNS1_25segmented_radix_sort_implINS0_14default_configELb1EPK12hip_bfloat16PSP_PKlPlN2at6native12_GLOBAL__N_18offset_tEEE10hipError_tPvRmT1_PNSt15iterator_traitsIS13_E10value_typeET2_T3_PNS14_IS19_E10value_typeET4_jRbjT5_S1F_jjP12ihipStream_tbEUljE_ZNSN_ISO_Lb1ESR_SS_SU_SV_SZ_EES10_S11_S12_S13_S17_S18_S19_S1C_S1D_jS1E_jS1F_S1F_jjS1H_bEUljE0_EEES10_S11_S12_S19_S1D_S1F_T6_T7_T9_mT8_S1H_bDpT10_ENKUlT_T0_E_clISt17integral_constantIbLb0EES1V_EEDaS1Q_S1R_EUlS1Q_E_NS1_11comp_targetILNS1_3genE10ELNS1_11target_archE1200ELNS1_3gpuE4ELNS1_3repE0EEENS1_30default_config_static_selectorELNS0_4arch9wavefront6targetE0EEEvS13_.num_agpr, 0
	.set _ZN7rocprim17ROCPRIM_400000_NS6detail17trampoline_kernelINS0_13select_configILj256ELj13ELNS0_17block_load_methodE3ELS4_3ELS4_3ELNS0_20block_scan_algorithmE0ELj4294967295EEENS1_25partition_config_selectorILNS1_17partition_subalgoE4EjNS0_10empty_typeEbEEZZNS1_14partition_implILS8_4ELb0ES6_15HIP_vector_typeIjLj2EENS0_17counting_iteratorIjlEEPS9_SG_NS0_5tupleIJPjSI_NS0_16reverse_iteratorISI_EEEEENSH_IJSG_SG_SG_EEES9_SI_JZNS1_25segmented_radix_sort_implINS0_14default_configELb1EPK12hip_bfloat16PSP_PKlPlN2at6native12_GLOBAL__N_18offset_tEEE10hipError_tPvRmT1_PNSt15iterator_traitsIS13_E10value_typeET2_T3_PNS14_IS19_E10value_typeET4_jRbjT5_S1F_jjP12ihipStream_tbEUljE_ZNSN_ISO_Lb1ESR_SS_SU_SV_SZ_EES10_S11_S12_S13_S17_S18_S19_S1C_S1D_jS1E_jS1F_S1F_jjS1H_bEUljE0_EEES10_S11_S12_S19_S1D_S1F_T6_T7_T9_mT8_S1H_bDpT10_ENKUlT_T0_E_clISt17integral_constantIbLb0EES1V_EEDaS1Q_S1R_EUlS1Q_E_NS1_11comp_targetILNS1_3genE10ELNS1_11target_archE1200ELNS1_3gpuE4ELNS1_3repE0EEENS1_30default_config_static_selectorELNS0_4arch9wavefront6targetE0EEEvS13_.numbered_sgpr, 58
	.set _ZN7rocprim17ROCPRIM_400000_NS6detail17trampoline_kernelINS0_13select_configILj256ELj13ELNS0_17block_load_methodE3ELS4_3ELS4_3ELNS0_20block_scan_algorithmE0ELj4294967295EEENS1_25partition_config_selectorILNS1_17partition_subalgoE4EjNS0_10empty_typeEbEEZZNS1_14partition_implILS8_4ELb0ES6_15HIP_vector_typeIjLj2EENS0_17counting_iteratorIjlEEPS9_SG_NS0_5tupleIJPjSI_NS0_16reverse_iteratorISI_EEEEENSH_IJSG_SG_SG_EEES9_SI_JZNS1_25segmented_radix_sort_implINS0_14default_configELb1EPK12hip_bfloat16PSP_PKlPlN2at6native12_GLOBAL__N_18offset_tEEE10hipError_tPvRmT1_PNSt15iterator_traitsIS13_E10value_typeET2_T3_PNS14_IS19_E10value_typeET4_jRbjT5_S1F_jjP12ihipStream_tbEUljE_ZNSN_ISO_Lb1ESR_SS_SU_SV_SZ_EES10_S11_S12_S13_S17_S18_S19_S1C_S1D_jS1E_jS1F_S1F_jjS1H_bEUljE0_EEES10_S11_S12_S19_S1D_S1F_T6_T7_T9_mT8_S1H_bDpT10_ENKUlT_T0_E_clISt17integral_constantIbLb0EES1V_EEDaS1Q_S1R_EUlS1Q_E_NS1_11comp_targetILNS1_3genE10ELNS1_11target_archE1200ELNS1_3gpuE4ELNS1_3repE0EEENS1_30default_config_static_selectorELNS0_4arch9wavefront6targetE0EEEvS13_.num_named_barrier, 0
	.set _ZN7rocprim17ROCPRIM_400000_NS6detail17trampoline_kernelINS0_13select_configILj256ELj13ELNS0_17block_load_methodE3ELS4_3ELS4_3ELNS0_20block_scan_algorithmE0ELj4294967295EEENS1_25partition_config_selectorILNS1_17partition_subalgoE4EjNS0_10empty_typeEbEEZZNS1_14partition_implILS8_4ELb0ES6_15HIP_vector_typeIjLj2EENS0_17counting_iteratorIjlEEPS9_SG_NS0_5tupleIJPjSI_NS0_16reverse_iteratorISI_EEEEENSH_IJSG_SG_SG_EEES9_SI_JZNS1_25segmented_radix_sort_implINS0_14default_configELb1EPK12hip_bfloat16PSP_PKlPlN2at6native12_GLOBAL__N_18offset_tEEE10hipError_tPvRmT1_PNSt15iterator_traitsIS13_E10value_typeET2_T3_PNS14_IS19_E10value_typeET4_jRbjT5_S1F_jjP12ihipStream_tbEUljE_ZNSN_ISO_Lb1ESR_SS_SU_SV_SZ_EES10_S11_S12_S13_S17_S18_S19_S1C_S1D_jS1E_jS1F_S1F_jjS1H_bEUljE0_EEES10_S11_S12_S19_S1D_S1F_T6_T7_T9_mT8_S1H_bDpT10_ENKUlT_T0_E_clISt17integral_constantIbLb0EES1V_EEDaS1Q_S1R_EUlS1Q_E_NS1_11comp_targetILNS1_3genE10ELNS1_11target_archE1200ELNS1_3gpuE4ELNS1_3repE0EEENS1_30default_config_static_selectorELNS0_4arch9wavefront6targetE0EEEvS13_.private_seg_size, 0
	.set _ZN7rocprim17ROCPRIM_400000_NS6detail17trampoline_kernelINS0_13select_configILj256ELj13ELNS0_17block_load_methodE3ELS4_3ELS4_3ELNS0_20block_scan_algorithmE0ELj4294967295EEENS1_25partition_config_selectorILNS1_17partition_subalgoE4EjNS0_10empty_typeEbEEZZNS1_14partition_implILS8_4ELb0ES6_15HIP_vector_typeIjLj2EENS0_17counting_iteratorIjlEEPS9_SG_NS0_5tupleIJPjSI_NS0_16reverse_iteratorISI_EEEEENSH_IJSG_SG_SG_EEES9_SI_JZNS1_25segmented_radix_sort_implINS0_14default_configELb1EPK12hip_bfloat16PSP_PKlPlN2at6native12_GLOBAL__N_18offset_tEEE10hipError_tPvRmT1_PNSt15iterator_traitsIS13_E10value_typeET2_T3_PNS14_IS19_E10value_typeET4_jRbjT5_S1F_jjP12ihipStream_tbEUljE_ZNSN_ISO_Lb1ESR_SS_SU_SV_SZ_EES10_S11_S12_S13_S17_S18_S19_S1C_S1D_jS1E_jS1F_S1F_jjS1H_bEUljE0_EEES10_S11_S12_S19_S1D_S1F_T6_T7_T9_mT8_S1H_bDpT10_ENKUlT_T0_E_clISt17integral_constantIbLb0EES1V_EEDaS1Q_S1R_EUlS1Q_E_NS1_11comp_targetILNS1_3genE10ELNS1_11target_archE1200ELNS1_3gpuE4ELNS1_3repE0EEENS1_30default_config_static_selectorELNS0_4arch9wavefront6targetE0EEEvS13_.uses_vcc, 1
	.set _ZN7rocprim17ROCPRIM_400000_NS6detail17trampoline_kernelINS0_13select_configILj256ELj13ELNS0_17block_load_methodE3ELS4_3ELS4_3ELNS0_20block_scan_algorithmE0ELj4294967295EEENS1_25partition_config_selectorILNS1_17partition_subalgoE4EjNS0_10empty_typeEbEEZZNS1_14partition_implILS8_4ELb0ES6_15HIP_vector_typeIjLj2EENS0_17counting_iteratorIjlEEPS9_SG_NS0_5tupleIJPjSI_NS0_16reverse_iteratorISI_EEEEENSH_IJSG_SG_SG_EEES9_SI_JZNS1_25segmented_radix_sort_implINS0_14default_configELb1EPK12hip_bfloat16PSP_PKlPlN2at6native12_GLOBAL__N_18offset_tEEE10hipError_tPvRmT1_PNSt15iterator_traitsIS13_E10value_typeET2_T3_PNS14_IS19_E10value_typeET4_jRbjT5_S1F_jjP12ihipStream_tbEUljE_ZNSN_ISO_Lb1ESR_SS_SU_SV_SZ_EES10_S11_S12_S13_S17_S18_S19_S1C_S1D_jS1E_jS1F_S1F_jjS1H_bEUljE0_EEES10_S11_S12_S19_S1D_S1F_T6_T7_T9_mT8_S1H_bDpT10_ENKUlT_T0_E_clISt17integral_constantIbLb0EES1V_EEDaS1Q_S1R_EUlS1Q_E_NS1_11comp_targetILNS1_3genE10ELNS1_11target_archE1200ELNS1_3gpuE4ELNS1_3repE0EEENS1_30default_config_static_selectorELNS0_4arch9wavefront6targetE0EEEvS13_.uses_flat_scratch, 0
	.set _ZN7rocprim17ROCPRIM_400000_NS6detail17trampoline_kernelINS0_13select_configILj256ELj13ELNS0_17block_load_methodE3ELS4_3ELS4_3ELNS0_20block_scan_algorithmE0ELj4294967295EEENS1_25partition_config_selectorILNS1_17partition_subalgoE4EjNS0_10empty_typeEbEEZZNS1_14partition_implILS8_4ELb0ES6_15HIP_vector_typeIjLj2EENS0_17counting_iteratorIjlEEPS9_SG_NS0_5tupleIJPjSI_NS0_16reverse_iteratorISI_EEEEENSH_IJSG_SG_SG_EEES9_SI_JZNS1_25segmented_radix_sort_implINS0_14default_configELb1EPK12hip_bfloat16PSP_PKlPlN2at6native12_GLOBAL__N_18offset_tEEE10hipError_tPvRmT1_PNSt15iterator_traitsIS13_E10value_typeET2_T3_PNS14_IS19_E10value_typeET4_jRbjT5_S1F_jjP12ihipStream_tbEUljE_ZNSN_ISO_Lb1ESR_SS_SU_SV_SZ_EES10_S11_S12_S13_S17_S18_S19_S1C_S1D_jS1E_jS1F_S1F_jjS1H_bEUljE0_EEES10_S11_S12_S19_S1D_S1F_T6_T7_T9_mT8_S1H_bDpT10_ENKUlT_T0_E_clISt17integral_constantIbLb0EES1V_EEDaS1Q_S1R_EUlS1Q_E_NS1_11comp_targetILNS1_3genE10ELNS1_11target_archE1200ELNS1_3gpuE4ELNS1_3repE0EEENS1_30default_config_static_selectorELNS0_4arch9wavefront6targetE0EEEvS13_.has_dyn_sized_stack, 0
	.set _ZN7rocprim17ROCPRIM_400000_NS6detail17trampoline_kernelINS0_13select_configILj256ELj13ELNS0_17block_load_methodE3ELS4_3ELS4_3ELNS0_20block_scan_algorithmE0ELj4294967295EEENS1_25partition_config_selectorILNS1_17partition_subalgoE4EjNS0_10empty_typeEbEEZZNS1_14partition_implILS8_4ELb0ES6_15HIP_vector_typeIjLj2EENS0_17counting_iteratorIjlEEPS9_SG_NS0_5tupleIJPjSI_NS0_16reverse_iteratorISI_EEEEENSH_IJSG_SG_SG_EEES9_SI_JZNS1_25segmented_radix_sort_implINS0_14default_configELb1EPK12hip_bfloat16PSP_PKlPlN2at6native12_GLOBAL__N_18offset_tEEE10hipError_tPvRmT1_PNSt15iterator_traitsIS13_E10value_typeET2_T3_PNS14_IS19_E10value_typeET4_jRbjT5_S1F_jjP12ihipStream_tbEUljE_ZNSN_ISO_Lb1ESR_SS_SU_SV_SZ_EES10_S11_S12_S13_S17_S18_S19_S1C_S1D_jS1E_jS1F_S1F_jjS1H_bEUljE0_EEES10_S11_S12_S19_S1D_S1F_T6_T7_T9_mT8_S1H_bDpT10_ENKUlT_T0_E_clISt17integral_constantIbLb0EES1V_EEDaS1Q_S1R_EUlS1Q_E_NS1_11comp_targetILNS1_3genE10ELNS1_11target_archE1200ELNS1_3gpuE4ELNS1_3repE0EEENS1_30default_config_static_selectorELNS0_4arch9wavefront6targetE0EEEvS13_.has_recursion, 0
	.set _ZN7rocprim17ROCPRIM_400000_NS6detail17trampoline_kernelINS0_13select_configILj256ELj13ELNS0_17block_load_methodE3ELS4_3ELS4_3ELNS0_20block_scan_algorithmE0ELj4294967295EEENS1_25partition_config_selectorILNS1_17partition_subalgoE4EjNS0_10empty_typeEbEEZZNS1_14partition_implILS8_4ELb0ES6_15HIP_vector_typeIjLj2EENS0_17counting_iteratorIjlEEPS9_SG_NS0_5tupleIJPjSI_NS0_16reverse_iteratorISI_EEEEENSH_IJSG_SG_SG_EEES9_SI_JZNS1_25segmented_radix_sort_implINS0_14default_configELb1EPK12hip_bfloat16PSP_PKlPlN2at6native12_GLOBAL__N_18offset_tEEE10hipError_tPvRmT1_PNSt15iterator_traitsIS13_E10value_typeET2_T3_PNS14_IS19_E10value_typeET4_jRbjT5_S1F_jjP12ihipStream_tbEUljE_ZNSN_ISO_Lb1ESR_SS_SU_SV_SZ_EES10_S11_S12_S13_S17_S18_S19_S1C_S1D_jS1E_jS1F_S1F_jjS1H_bEUljE0_EEES10_S11_S12_S19_S1D_S1F_T6_T7_T9_mT8_S1H_bDpT10_ENKUlT_T0_E_clISt17integral_constantIbLb0EES1V_EEDaS1Q_S1R_EUlS1Q_E_NS1_11comp_targetILNS1_3genE10ELNS1_11target_archE1200ELNS1_3gpuE4ELNS1_3repE0EEENS1_30default_config_static_selectorELNS0_4arch9wavefront6targetE0EEEvS13_.has_indirect_call, 0
	.section	.AMDGPU.csdata,"",@progbits
; Kernel info:
; codeLenInByte = 18900
; TotalNumSgprs: 60
; NumVgprs: 93
; ScratchSize: 0
; MemoryBound: 0
; FloatMode: 240
; IeeeMode: 1
; LDSByteSize: 13328 bytes/workgroup (compile time only)
; SGPRBlocks: 0
; VGPRBlocks: 11
; NumSGPRsForWavesPerEU: 60
; NumVGPRsForWavesPerEU: 93
; Occupancy: 16
; WaveLimiterHint : 1
; COMPUTE_PGM_RSRC2:SCRATCH_EN: 0
; COMPUTE_PGM_RSRC2:USER_SGPR: 2
; COMPUTE_PGM_RSRC2:TRAP_HANDLER: 0
; COMPUTE_PGM_RSRC2:TGID_X_EN: 1
; COMPUTE_PGM_RSRC2:TGID_Y_EN: 0
; COMPUTE_PGM_RSRC2:TGID_Z_EN: 0
; COMPUTE_PGM_RSRC2:TIDIG_COMP_CNT: 0
	.section	.text._ZN7rocprim17ROCPRIM_400000_NS6detail17trampoline_kernelINS0_13select_configILj256ELj13ELNS0_17block_load_methodE3ELS4_3ELS4_3ELNS0_20block_scan_algorithmE0ELj4294967295EEENS1_25partition_config_selectorILNS1_17partition_subalgoE4EjNS0_10empty_typeEbEEZZNS1_14partition_implILS8_4ELb0ES6_15HIP_vector_typeIjLj2EENS0_17counting_iteratorIjlEEPS9_SG_NS0_5tupleIJPjSI_NS0_16reverse_iteratorISI_EEEEENSH_IJSG_SG_SG_EEES9_SI_JZNS1_25segmented_radix_sort_implINS0_14default_configELb1EPK12hip_bfloat16PSP_PKlPlN2at6native12_GLOBAL__N_18offset_tEEE10hipError_tPvRmT1_PNSt15iterator_traitsIS13_E10value_typeET2_T3_PNS14_IS19_E10value_typeET4_jRbjT5_S1F_jjP12ihipStream_tbEUljE_ZNSN_ISO_Lb1ESR_SS_SU_SV_SZ_EES10_S11_S12_S13_S17_S18_S19_S1C_S1D_jS1E_jS1F_S1F_jjS1H_bEUljE0_EEES10_S11_S12_S19_S1D_S1F_T6_T7_T9_mT8_S1H_bDpT10_ENKUlT_T0_E_clISt17integral_constantIbLb0EES1V_EEDaS1Q_S1R_EUlS1Q_E_NS1_11comp_targetILNS1_3genE9ELNS1_11target_archE1100ELNS1_3gpuE3ELNS1_3repE0EEENS1_30default_config_static_selectorELNS0_4arch9wavefront6targetE0EEEvS13_,"axG",@progbits,_ZN7rocprim17ROCPRIM_400000_NS6detail17trampoline_kernelINS0_13select_configILj256ELj13ELNS0_17block_load_methodE3ELS4_3ELS4_3ELNS0_20block_scan_algorithmE0ELj4294967295EEENS1_25partition_config_selectorILNS1_17partition_subalgoE4EjNS0_10empty_typeEbEEZZNS1_14partition_implILS8_4ELb0ES6_15HIP_vector_typeIjLj2EENS0_17counting_iteratorIjlEEPS9_SG_NS0_5tupleIJPjSI_NS0_16reverse_iteratorISI_EEEEENSH_IJSG_SG_SG_EEES9_SI_JZNS1_25segmented_radix_sort_implINS0_14default_configELb1EPK12hip_bfloat16PSP_PKlPlN2at6native12_GLOBAL__N_18offset_tEEE10hipError_tPvRmT1_PNSt15iterator_traitsIS13_E10value_typeET2_T3_PNS14_IS19_E10value_typeET4_jRbjT5_S1F_jjP12ihipStream_tbEUljE_ZNSN_ISO_Lb1ESR_SS_SU_SV_SZ_EES10_S11_S12_S13_S17_S18_S19_S1C_S1D_jS1E_jS1F_S1F_jjS1H_bEUljE0_EEES10_S11_S12_S19_S1D_S1F_T6_T7_T9_mT8_S1H_bDpT10_ENKUlT_T0_E_clISt17integral_constantIbLb0EES1V_EEDaS1Q_S1R_EUlS1Q_E_NS1_11comp_targetILNS1_3genE9ELNS1_11target_archE1100ELNS1_3gpuE3ELNS1_3repE0EEENS1_30default_config_static_selectorELNS0_4arch9wavefront6targetE0EEEvS13_,comdat
	.globl	_ZN7rocprim17ROCPRIM_400000_NS6detail17trampoline_kernelINS0_13select_configILj256ELj13ELNS0_17block_load_methodE3ELS4_3ELS4_3ELNS0_20block_scan_algorithmE0ELj4294967295EEENS1_25partition_config_selectorILNS1_17partition_subalgoE4EjNS0_10empty_typeEbEEZZNS1_14partition_implILS8_4ELb0ES6_15HIP_vector_typeIjLj2EENS0_17counting_iteratorIjlEEPS9_SG_NS0_5tupleIJPjSI_NS0_16reverse_iteratorISI_EEEEENSH_IJSG_SG_SG_EEES9_SI_JZNS1_25segmented_radix_sort_implINS0_14default_configELb1EPK12hip_bfloat16PSP_PKlPlN2at6native12_GLOBAL__N_18offset_tEEE10hipError_tPvRmT1_PNSt15iterator_traitsIS13_E10value_typeET2_T3_PNS14_IS19_E10value_typeET4_jRbjT5_S1F_jjP12ihipStream_tbEUljE_ZNSN_ISO_Lb1ESR_SS_SU_SV_SZ_EES10_S11_S12_S13_S17_S18_S19_S1C_S1D_jS1E_jS1F_S1F_jjS1H_bEUljE0_EEES10_S11_S12_S19_S1D_S1F_T6_T7_T9_mT8_S1H_bDpT10_ENKUlT_T0_E_clISt17integral_constantIbLb0EES1V_EEDaS1Q_S1R_EUlS1Q_E_NS1_11comp_targetILNS1_3genE9ELNS1_11target_archE1100ELNS1_3gpuE3ELNS1_3repE0EEENS1_30default_config_static_selectorELNS0_4arch9wavefront6targetE0EEEvS13_ ; -- Begin function _ZN7rocprim17ROCPRIM_400000_NS6detail17trampoline_kernelINS0_13select_configILj256ELj13ELNS0_17block_load_methodE3ELS4_3ELS4_3ELNS0_20block_scan_algorithmE0ELj4294967295EEENS1_25partition_config_selectorILNS1_17partition_subalgoE4EjNS0_10empty_typeEbEEZZNS1_14partition_implILS8_4ELb0ES6_15HIP_vector_typeIjLj2EENS0_17counting_iteratorIjlEEPS9_SG_NS0_5tupleIJPjSI_NS0_16reverse_iteratorISI_EEEEENSH_IJSG_SG_SG_EEES9_SI_JZNS1_25segmented_radix_sort_implINS0_14default_configELb1EPK12hip_bfloat16PSP_PKlPlN2at6native12_GLOBAL__N_18offset_tEEE10hipError_tPvRmT1_PNSt15iterator_traitsIS13_E10value_typeET2_T3_PNS14_IS19_E10value_typeET4_jRbjT5_S1F_jjP12ihipStream_tbEUljE_ZNSN_ISO_Lb1ESR_SS_SU_SV_SZ_EES10_S11_S12_S13_S17_S18_S19_S1C_S1D_jS1E_jS1F_S1F_jjS1H_bEUljE0_EEES10_S11_S12_S19_S1D_S1F_T6_T7_T9_mT8_S1H_bDpT10_ENKUlT_T0_E_clISt17integral_constantIbLb0EES1V_EEDaS1Q_S1R_EUlS1Q_E_NS1_11comp_targetILNS1_3genE9ELNS1_11target_archE1100ELNS1_3gpuE3ELNS1_3repE0EEENS1_30default_config_static_selectorELNS0_4arch9wavefront6targetE0EEEvS13_
	.p2align	8
	.type	_ZN7rocprim17ROCPRIM_400000_NS6detail17trampoline_kernelINS0_13select_configILj256ELj13ELNS0_17block_load_methodE3ELS4_3ELS4_3ELNS0_20block_scan_algorithmE0ELj4294967295EEENS1_25partition_config_selectorILNS1_17partition_subalgoE4EjNS0_10empty_typeEbEEZZNS1_14partition_implILS8_4ELb0ES6_15HIP_vector_typeIjLj2EENS0_17counting_iteratorIjlEEPS9_SG_NS0_5tupleIJPjSI_NS0_16reverse_iteratorISI_EEEEENSH_IJSG_SG_SG_EEES9_SI_JZNS1_25segmented_radix_sort_implINS0_14default_configELb1EPK12hip_bfloat16PSP_PKlPlN2at6native12_GLOBAL__N_18offset_tEEE10hipError_tPvRmT1_PNSt15iterator_traitsIS13_E10value_typeET2_T3_PNS14_IS19_E10value_typeET4_jRbjT5_S1F_jjP12ihipStream_tbEUljE_ZNSN_ISO_Lb1ESR_SS_SU_SV_SZ_EES10_S11_S12_S13_S17_S18_S19_S1C_S1D_jS1E_jS1F_S1F_jjS1H_bEUljE0_EEES10_S11_S12_S19_S1D_S1F_T6_T7_T9_mT8_S1H_bDpT10_ENKUlT_T0_E_clISt17integral_constantIbLb0EES1V_EEDaS1Q_S1R_EUlS1Q_E_NS1_11comp_targetILNS1_3genE9ELNS1_11target_archE1100ELNS1_3gpuE3ELNS1_3repE0EEENS1_30default_config_static_selectorELNS0_4arch9wavefront6targetE0EEEvS13_,@function
_ZN7rocprim17ROCPRIM_400000_NS6detail17trampoline_kernelINS0_13select_configILj256ELj13ELNS0_17block_load_methodE3ELS4_3ELS4_3ELNS0_20block_scan_algorithmE0ELj4294967295EEENS1_25partition_config_selectorILNS1_17partition_subalgoE4EjNS0_10empty_typeEbEEZZNS1_14partition_implILS8_4ELb0ES6_15HIP_vector_typeIjLj2EENS0_17counting_iteratorIjlEEPS9_SG_NS0_5tupleIJPjSI_NS0_16reverse_iteratorISI_EEEEENSH_IJSG_SG_SG_EEES9_SI_JZNS1_25segmented_radix_sort_implINS0_14default_configELb1EPK12hip_bfloat16PSP_PKlPlN2at6native12_GLOBAL__N_18offset_tEEE10hipError_tPvRmT1_PNSt15iterator_traitsIS13_E10value_typeET2_T3_PNS14_IS19_E10value_typeET4_jRbjT5_S1F_jjP12ihipStream_tbEUljE_ZNSN_ISO_Lb1ESR_SS_SU_SV_SZ_EES10_S11_S12_S13_S17_S18_S19_S1C_S1D_jS1E_jS1F_S1F_jjS1H_bEUljE0_EEES10_S11_S12_S19_S1D_S1F_T6_T7_T9_mT8_S1H_bDpT10_ENKUlT_T0_E_clISt17integral_constantIbLb0EES1V_EEDaS1Q_S1R_EUlS1Q_E_NS1_11comp_targetILNS1_3genE9ELNS1_11target_archE1100ELNS1_3gpuE3ELNS1_3repE0EEENS1_30default_config_static_selectorELNS0_4arch9wavefront6targetE0EEEvS13_: ; @_ZN7rocprim17ROCPRIM_400000_NS6detail17trampoline_kernelINS0_13select_configILj256ELj13ELNS0_17block_load_methodE3ELS4_3ELS4_3ELNS0_20block_scan_algorithmE0ELj4294967295EEENS1_25partition_config_selectorILNS1_17partition_subalgoE4EjNS0_10empty_typeEbEEZZNS1_14partition_implILS8_4ELb0ES6_15HIP_vector_typeIjLj2EENS0_17counting_iteratorIjlEEPS9_SG_NS0_5tupleIJPjSI_NS0_16reverse_iteratorISI_EEEEENSH_IJSG_SG_SG_EEES9_SI_JZNS1_25segmented_radix_sort_implINS0_14default_configELb1EPK12hip_bfloat16PSP_PKlPlN2at6native12_GLOBAL__N_18offset_tEEE10hipError_tPvRmT1_PNSt15iterator_traitsIS13_E10value_typeET2_T3_PNS14_IS19_E10value_typeET4_jRbjT5_S1F_jjP12ihipStream_tbEUljE_ZNSN_ISO_Lb1ESR_SS_SU_SV_SZ_EES10_S11_S12_S13_S17_S18_S19_S1C_S1D_jS1E_jS1F_S1F_jjS1H_bEUljE0_EEES10_S11_S12_S19_S1D_S1F_T6_T7_T9_mT8_S1H_bDpT10_ENKUlT_T0_E_clISt17integral_constantIbLb0EES1V_EEDaS1Q_S1R_EUlS1Q_E_NS1_11comp_targetILNS1_3genE9ELNS1_11target_archE1100ELNS1_3gpuE3ELNS1_3repE0EEENS1_30default_config_static_selectorELNS0_4arch9wavefront6targetE0EEEvS13_
; %bb.0:
	.section	.rodata,"a",@progbits
	.p2align	6, 0x0
	.amdhsa_kernel _ZN7rocprim17ROCPRIM_400000_NS6detail17trampoline_kernelINS0_13select_configILj256ELj13ELNS0_17block_load_methodE3ELS4_3ELS4_3ELNS0_20block_scan_algorithmE0ELj4294967295EEENS1_25partition_config_selectorILNS1_17partition_subalgoE4EjNS0_10empty_typeEbEEZZNS1_14partition_implILS8_4ELb0ES6_15HIP_vector_typeIjLj2EENS0_17counting_iteratorIjlEEPS9_SG_NS0_5tupleIJPjSI_NS0_16reverse_iteratorISI_EEEEENSH_IJSG_SG_SG_EEES9_SI_JZNS1_25segmented_radix_sort_implINS0_14default_configELb1EPK12hip_bfloat16PSP_PKlPlN2at6native12_GLOBAL__N_18offset_tEEE10hipError_tPvRmT1_PNSt15iterator_traitsIS13_E10value_typeET2_T3_PNS14_IS19_E10value_typeET4_jRbjT5_S1F_jjP12ihipStream_tbEUljE_ZNSN_ISO_Lb1ESR_SS_SU_SV_SZ_EES10_S11_S12_S13_S17_S18_S19_S1C_S1D_jS1E_jS1F_S1F_jjS1H_bEUljE0_EEES10_S11_S12_S19_S1D_S1F_T6_T7_T9_mT8_S1H_bDpT10_ENKUlT_T0_E_clISt17integral_constantIbLb0EES1V_EEDaS1Q_S1R_EUlS1Q_E_NS1_11comp_targetILNS1_3genE9ELNS1_11target_archE1100ELNS1_3gpuE3ELNS1_3repE0EEENS1_30default_config_static_selectorELNS0_4arch9wavefront6targetE0EEEvS13_
		.amdhsa_group_segment_fixed_size 0
		.amdhsa_private_segment_fixed_size 0
		.amdhsa_kernarg_size 176
		.amdhsa_user_sgpr_count 2
		.amdhsa_user_sgpr_dispatch_ptr 0
		.amdhsa_user_sgpr_queue_ptr 0
		.amdhsa_user_sgpr_kernarg_segment_ptr 1
		.amdhsa_user_sgpr_dispatch_id 0
		.amdhsa_user_sgpr_private_segment_size 0
		.amdhsa_wavefront_size32 1
		.amdhsa_uses_dynamic_stack 0
		.amdhsa_enable_private_segment 0
		.amdhsa_system_sgpr_workgroup_id_x 1
		.amdhsa_system_sgpr_workgroup_id_y 0
		.amdhsa_system_sgpr_workgroup_id_z 0
		.amdhsa_system_sgpr_workgroup_info 0
		.amdhsa_system_vgpr_workitem_id 0
		.amdhsa_next_free_vgpr 1
		.amdhsa_next_free_sgpr 1
		.amdhsa_reserve_vcc 0
		.amdhsa_float_round_mode_32 0
		.amdhsa_float_round_mode_16_64 0
		.amdhsa_float_denorm_mode_32 3
		.amdhsa_float_denorm_mode_16_64 3
		.amdhsa_fp16_overflow 0
		.amdhsa_workgroup_processor_mode 1
		.amdhsa_memory_ordered 1
		.amdhsa_forward_progress 1
		.amdhsa_inst_pref_size 0
		.amdhsa_round_robin_scheduling 0
		.amdhsa_exception_fp_ieee_invalid_op 0
		.amdhsa_exception_fp_denorm_src 0
		.amdhsa_exception_fp_ieee_div_zero 0
		.amdhsa_exception_fp_ieee_overflow 0
		.amdhsa_exception_fp_ieee_underflow 0
		.amdhsa_exception_fp_ieee_inexact 0
		.amdhsa_exception_int_div_zero 0
	.end_amdhsa_kernel
	.section	.text._ZN7rocprim17ROCPRIM_400000_NS6detail17trampoline_kernelINS0_13select_configILj256ELj13ELNS0_17block_load_methodE3ELS4_3ELS4_3ELNS0_20block_scan_algorithmE0ELj4294967295EEENS1_25partition_config_selectorILNS1_17partition_subalgoE4EjNS0_10empty_typeEbEEZZNS1_14partition_implILS8_4ELb0ES6_15HIP_vector_typeIjLj2EENS0_17counting_iteratorIjlEEPS9_SG_NS0_5tupleIJPjSI_NS0_16reverse_iteratorISI_EEEEENSH_IJSG_SG_SG_EEES9_SI_JZNS1_25segmented_radix_sort_implINS0_14default_configELb1EPK12hip_bfloat16PSP_PKlPlN2at6native12_GLOBAL__N_18offset_tEEE10hipError_tPvRmT1_PNSt15iterator_traitsIS13_E10value_typeET2_T3_PNS14_IS19_E10value_typeET4_jRbjT5_S1F_jjP12ihipStream_tbEUljE_ZNSN_ISO_Lb1ESR_SS_SU_SV_SZ_EES10_S11_S12_S13_S17_S18_S19_S1C_S1D_jS1E_jS1F_S1F_jjS1H_bEUljE0_EEES10_S11_S12_S19_S1D_S1F_T6_T7_T9_mT8_S1H_bDpT10_ENKUlT_T0_E_clISt17integral_constantIbLb0EES1V_EEDaS1Q_S1R_EUlS1Q_E_NS1_11comp_targetILNS1_3genE9ELNS1_11target_archE1100ELNS1_3gpuE3ELNS1_3repE0EEENS1_30default_config_static_selectorELNS0_4arch9wavefront6targetE0EEEvS13_,"axG",@progbits,_ZN7rocprim17ROCPRIM_400000_NS6detail17trampoline_kernelINS0_13select_configILj256ELj13ELNS0_17block_load_methodE3ELS4_3ELS4_3ELNS0_20block_scan_algorithmE0ELj4294967295EEENS1_25partition_config_selectorILNS1_17partition_subalgoE4EjNS0_10empty_typeEbEEZZNS1_14partition_implILS8_4ELb0ES6_15HIP_vector_typeIjLj2EENS0_17counting_iteratorIjlEEPS9_SG_NS0_5tupleIJPjSI_NS0_16reverse_iteratorISI_EEEEENSH_IJSG_SG_SG_EEES9_SI_JZNS1_25segmented_radix_sort_implINS0_14default_configELb1EPK12hip_bfloat16PSP_PKlPlN2at6native12_GLOBAL__N_18offset_tEEE10hipError_tPvRmT1_PNSt15iterator_traitsIS13_E10value_typeET2_T3_PNS14_IS19_E10value_typeET4_jRbjT5_S1F_jjP12ihipStream_tbEUljE_ZNSN_ISO_Lb1ESR_SS_SU_SV_SZ_EES10_S11_S12_S13_S17_S18_S19_S1C_S1D_jS1E_jS1F_S1F_jjS1H_bEUljE0_EEES10_S11_S12_S19_S1D_S1F_T6_T7_T9_mT8_S1H_bDpT10_ENKUlT_T0_E_clISt17integral_constantIbLb0EES1V_EEDaS1Q_S1R_EUlS1Q_E_NS1_11comp_targetILNS1_3genE9ELNS1_11target_archE1100ELNS1_3gpuE3ELNS1_3repE0EEENS1_30default_config_static_selectorELNS0_4arch9wavefront6targetE0EEEvS13_,comdat
.Lfunc_end1888:
	.size	_ZN7rocprim17ROCPRIM_400000_NS6detail17trampoline_kernelINS0_13select_configILj256ELj13ELNS0_17block_load_methodE3ELS4_3ELS4_3ELNS0_20block_scan_algorithmE0ELj4294967295EEENS1_25partition_config_selectorILNS1_17partition_subalgoE4EjNS0_10empty_typeEbEEZZNS1_14partition_implILS8_4ELb0ES6_15HIP_vector_typeIjLj2EENS0_17counting_iteratorIjlEEPS9_SG_NS0_5tupleIJPjSI_NS0_16reverse_iteratorISI_EEEEENSH_IJSG_SG_SG_EEES9_SI_JZNS1_25segmented_radix_sort_implINS0_14default_configELb1EPK12hip_bfloat16PSP_PKlPlN2at6native12_GLOBAL__N_18offset_tEEE10hipError_tPvRmT1_PNSt15iterator_traitsIS13_E10value_typeET2_T3_PNS14_IS19_E10value_typeET4_jRbjT5_S1F_jjP12ihipStream_tbEUljE_ZNSN_ISO_Lb1ESR_SS_SU_SV_SZ_EES10_S11_S12_S13_S17_S18_S19_S1C_S1D_jS1E_jS1F_S1F_jjS1H_bEUljE0_EEES10_S11_S12_S19_S1D_S1F_T6_T7_T9_mT8_S1H_bDpT10_ENKUlT_T0_E_clISt17integral_constantIbLb0EES1V_EEDaS1Q_S1R_EUlS1Q_E_NS1_11comp_targetILNS1_3genE9ELNS1_11target_archE1100ELNS1_3gpuE3ELNS1_3repE0EEENS1_30default_config_static_selectorELNS0_4arch9wavefront6targetE0EEEvS13_, .Lfunc_end1888-_ZN7rocprim17ROCPRIM_400000_NS6detail17trampoline_kernelINS0_13select_configILj256ELj13ELNS0_17block_load_methodE3ELS4_3ELS4_3ELNS0_20block_scan_algorithmE0ELj4294967295EEENS1_25partition_config_selectorILNS1_17partition_subalgoE4EjNS0_10empty_typeEbEEZZNS1_14partition_implILS8_4ELb0ES6_15HIP_vector_typeIjLj2EENS0_17counting_iteratorIjlEEPS9_SG_NS0_5tupleIJPjSI_NS0_16reverse_iteratorISI_EEEEENSH_IJSG_SG_SG_EEES9_SI_JZNS1_25segmented_radix_sort_implINS0_14default_configELb1EPK12hip_bfloat16PSP_PKlPlN2at6native12_GLOBAL__N_18offset_tEEE10hipError_tPvRmT1_PNSt15iterator_traitsIS13_E10value_typeET2_T3_PNS14_IS19_E10value_typeET4_jRbjT5_S1F_jjP12ihipStream_tbEUljE_ZNSN_ISO_Lb1ESR_SS_SU_SV_SZ_EES10_S11_S12_S13_S17_S18_S19_S1C_S1D_jS1E_jS1F_S1F_jjS1H_bEUljE0_EEES10_S11_S12_S19_S1D_S1F_T6_T7_T9_mT8_S1H_bDpT10_ENKUlT_T0_E_clISt17integral_constantIbLb0EES1V_EEDaS1Q_S1R_EUlS1Q_E_NS1_11comp_targetILNS1_3genE9ELNS1_11target_archE1100ELNS1_3gpuE3ELNS1_3repE0EEENS1_30default_config_static_selectorELNS0_4arch9wavefront6targetE0EEEvS13_
                                        ; -- End function
	.set _ZN7rocprim17ROCPRIM_400000_NS6detail17trampoline_kernelINS0_13select_configILj256ELj13ELNS0_17block_load_methodE3ELS4_3ELS4_3ELNS0_20block_scan_algorithmE0ELj4294967295EEENS1_25partition_config_selectorILNS1_17partition_subalgoE4EjNS0_10empty_typeEbEEZZNS1_14partition_implILS8_4ELb0ES6_15HIP_vector_typeIjLj2EENS0_17counting_iteratorIjlEEPS9_SG_NS0_5tupleIJPjSI_NS0_16reverse_iteratorISI_EEEEENSH_IJSG_SG_SG_EEES9_SI_JZNS1_25segmented_radix_sort_implINS0_14default_configELb1EPK12hip_bfloat16PSP_PKlPlN2at6native12_GLOBAL__N_18offset_tEEE10hipError_tPvRmT1_PNSt15iterator_traitsIS13_E10value_typeET2_T3_PNS14_IS19_E10value_typeET4_jRbjT5_S1F_jjP12ihipStream_tbEUljE_ZNSN_ISO_Lb1ESR_SS_SU_SV_SZ_EES10_S11_S12_S13_S17_S18_S19_S1C_S1D_jS1E_jS1F_S1F_jjS1H_bEUljE0_EEES10_S11_S12_S19_S1D_S1F_T6_T7_T9_mT8_S1H_bDpT10_ENKUlT_T0_E_clISt17integral_constantIbLb0EES1V_EEDaS1Q_S1R_EUlS1Q_E_NS1_11comp_targetILNS1_3genE9ELNS1_11target_archE1100ELNS1_3gpuE3ELNS1_3repE0EEENS1_30default_config_static_selectorELNS0_4arch9wavefront6targetE0EEEvS13_.num_vgpr, 0
	.set _ZN7rocprim17ROCPRIM_400000_NS6detail17trampoline_kernelINS0_13select_configILj256ELj13ELNS0_17block_load_methodE3ELS4_3ELS4_3ELNS0_20block_scan_algorithmE0ELj4294967295EEENS1_25partition_config_selectorILNS1_17partition_subalgoE4EjNS0_10empty_typeEbEEZZNS1_14partition_implILS8_4ELb0ES6_15HIP_vector_typeIjLj2EENS0_17counting_iteratorIjlEEPS9_SG_NS0_5tupleIJPjSI_NS0_16reverse_iteratorISI_EEEEENSH_IJSG_SG_SG_EEES9_SI_JZNS1_25segmented_radix_sort_implINS0_14default_configELb1EPK12hip_bfloat16PSP_PKlPlN2at6native12_GLOBAL__N_18offset_tEEE10hipError_tPvRmT1_PNSt15iterator_traitsIS13_E10value_typeET2_T3_PNS14_IS19_E10value_typeET4_jRbjT5_S1F_jjP12ihipStream_tbEUljE_ZNSN_ISO_Lb1ESR_SS_SU_SV_SZ_EES10_S11_S12_S13_S17_S18_S19_S1C_S1D_jS1E_jS1F_S1F_jjS1H_bEUljE0_EEES10_S11_S12_S19_S1D_S1F_T6_T7_T9_mT8_S1H_bDpT10_ENKUlT_T0_E_clISt17integral_constantIbLb0EES1V_EEDaS1Q_S1R_EUlS1Q_E_NS1_11comp_targetILNS1_3genE9ELNS1_11target_archE1100ELNS1_3gpuE3ELNS1_3repE0EEENS1_30default_config_static_selectorELNS0_4arch9wavefront6targetE0EEEvS13_.num_agpr, 0
	.set _ZN7rocprim17ROCPRIM_400000_NS6detail17trampoline_kernelINS0_13select_configILj256ELj13ELNS0_17block_load_methodE3ELS4_3ELS4_3ELNS0_20block_scan_algorithmE0ELj4294967295EEENS1_25partition_config_selectorILNS1_17partition_subalgoE4EjNS0_10empty_typeEbEEZZNS1_14partition_implILS8_4ELb0ES6_15HIP_vector_typeIjLj2EENS0_17counting_iteratorIjlEEPS9_SG_NS0_5tupleIJPjSI_NS0_16reverse_iteratorISI_EEEEENSH_IJSG_SG_SG_EEES9_SI_JZNS1_25segmented_radix_sort_implINS0_14default_configELb1EPK12hip_bfloat16PSP_PKlPlN2at6native12_GLOBAL__N_18offset_tEEE10hipError_tPvRmT1_PNSt15iterator_traitsIS13_E10value_typeET2_T3_PNS14_IS19_E10value_typeET4_jRbjT5_S1F_jjP12ihipStream_tbEUljE_ZNSN_ISO_Lb1ESR_SS_SU_SV_SZ_EES10_S11_S12_S13_S17_S18_S19_S1C_S1D_jS1E_jS1F_S1F_jjS1H_bEUljE0_EEES10_S11_S12_S19_S1D_S1F_T6_T7_T9_mT8_S1H_bDpT10_ENKUlT_T0_E_clISt17integral_constantIbLb0EES1V_EEDaS1Q_S1R_EUlS1Q_E_NS1_11comp_targetILNS1_3genE9ELNS1_11target_archE1100ELNS1_3gpuE3ELNS1_3repE0EEENS1_30default_config_static_selectorELNS0_4arch9wavefront6targetE0EEEvS13_.numbered_sgpr, 0
	.set _ZN7rocprim17ROCPRIM_400000_NS6detail17trampoline_kernelINS0_13select_configILj256ELj13ELNS0_17block_load_methodE3ELS4_3ELS4_3ELNS0_20block_scan_algorithmE0ELj4294967295EEENS1_25partition_config_selectorILNS1_17partition_subalgoE4EjNS0_10empty_typeEbEEZZNS1_14partition_implILS8_4ELb0ES6_15HIP_vector_typeIjLj2EENS0_17counting_iteratorIjlEEPS9_SG_NS0_5tupleIJPjSI_NS0_16reverse_iteratorISI_EEEEENSH_IJSG_SG_SG_EEES9_SI_JZNS1_25segmented_radix_sort_implINS0_14default_configELb1EPK12hip_bfloat16PSP_PKlPlN2at6native12_GLOBAL__N_18offset_tEEE10hipError_tPvRmT1_PNSt15iterator_traitsIS13_E10value_typeET2_T3_PNS14_IS19_E10value_typeET4_jRbjT5_S1F_jjP12ihipStream_tbEUljE_ZNSN_ISO_Lb1ESR_SS_SU_SV_SZ_EES10_S11_S12_S13_S17_S18_S19_S1C_S1D_jS1E_jS1F_S1F_jjS1H_bEUljE0_EEES10_S11_S12_S19_S1D_S1F_T6_T7_T9_mT8_S1H_bDpT10_ENKUlT_T0_E_clISt17integral_constantIbLb0EES1V_EEDaS1Q_S1R_EUlS1Q_E_NS1_11comp_targetILNS1_3genE9ELNS1_11target_archE1100ELNS1_3gpuE3ELNS1_3repE0EEENS1_30default_config_static_selectorELNS0_4arch9wavefront6targetE0EEEvS13_.num_named_barrier, 0
	.set _ZN7rocprim17ROCPRIM_400000_NS6detail17trampoline_kernelINS0_13select_configILj256ELj13ELNS0_17block_load_methodE3ELS4_3ELS4_3ELNS0_20block_scan_algorithmE0ELj4294967295EEENS1_25partition_config_selectorILNS1_17partition_subalgoE4EjNS0_10empty_typeEbEEZZNS1_14partition_implILS8_4ELb0ES6_15HIP_vector_typeIjLj2EENS0_17counting_iteratorIjlEEPS9_SG_NS0_5tupleIJPjSI_NS0_16reverse_iteratorISI_EEEEENSH_IJSG_SG_SG_EEES9_SI_JZNS1_25segmented_radix_sort_implINS0_14default_configELb1EPK12hip_bfloat16PSP_PKlPlN2at6native12_GLOBAL__N_18offset_tEEE10hipError_tPvRmT1_PNSt15iterator_traitsIS13_E10value_typeET2_T3_PNS14_IS19_E10value_typeET4_jRbjT5_S1F_jjP12ihipStream_tbEUljE_ZNSN_ISO_Lb1ESR_SS_SU_SV_SZ_EES10_S11_S12_S13_S17_S18_S19_S1C_S1D_jS1E_jS1F_S1F_jjS1H_bEUljE0_EEES10_S11_S12_S19_S1D_S1F_T6_T7_T9_mT8_S1H_bDpT10_ENKUlT_T0_E_clISt17integral_constantIbLb0EES1V_EEDaS1Q_S1R_EUlS1Q_E_NS1_11comp_targetILNS1_3genE9ELNS1_11target_archE1100ELNS1_3gpuE3ELNS1_3repE0EEENS1_30default_config_static_selectorELNS0_4arch9wavefront6targetE0EEEvS13_.private_seg_size, 0
	.set _ZN7rocprim17ROCPRIM_400000_NS6detail17trampoline_kernelINS0_13select_configILj256ELj13ELNS0_17block_load_methodE3ELS4_3ELS4_3ELNS0_20block_scan_algorithmE0ELj4294967295EEENS1_25partition_config_selectorILNS1_17partition_subalgoE4EjNS0_10empty_typeEbEEZZNS1_14partition_implILS8_4ELb0ES6_15HIP_vector_typeIjLj2EENS0_17counting_iteratorIjlEEPS9_SG_NS0_5tupleIJPjSI_NS0_16reverse_iteratorISI_EEEEENSH_IJSG_SG_SG_EEES9_SI_JZNS1_25segmented_radix_sort_implINS0_14default_configELb1EPK12hip_bfloat16PSP_PKlPlN2at6native12_GLOBAL__N_18offset_tEEE10hipError_tPvRmT1_PNSt15iterator_traitsIS13_E10value_typeET2_T3_PNS14_IS19_E10value_typeET4_jRbjT5_S1F_jjP12ihipStream_tbEUljE_ZNSN_ISO_Lb1ESR_SS_SU_SV_SZ_EES10_S11_S12_S13_S17_S18_S19_S1C_S1D_jS1E_jS1F_S1F_jjS1H_bEUljE0_EEES10_S11_S12_S19_S1D_S1F_T6_T7_T9_mT8_S1H_bDpT10_ENKUlT_T0_E_clISt17integral_constantIbLb0EES1V_EEDaS1Q_S1R_EUlS1Q_E_NS1_11comp_targetILNS1_3genE9ELNS1_11target_archE1100ELNS1_3gpuE3ELNS1_3repE0EEENS1_30default_config_static_selectorELNS0_4arch9wavefront6targetE0EEEvS13_.uses_vcc, 0
	.set _ZN7rocprim17ROCPRIM_400000_NS6detail17trampoline_kernelINS0_13select_configILj256ELj13ELNS0_17block_load_methodE3ELS4_3ELS4_3ELNS0_20block_scan_algorithmE0ELj4294967295EEENS1_25partition_config_selectorILNS1_17partition_subalgoE4EjNS0_10empty_typeEbEEZZNS1_14partition_implILS8_4ELb0ES6_15HIP_vector_typeIjLj2EENS0_17counting_iteratorIjlEEPS9_SG_NS0_5tupleIJPjSI_NS0_16reverse_iteratorISI_EEEEENSH_IJSG_SG_SG_EEES9_SI_JZNS1_25segmented_radix_sort_implINS0_14default_configELb1EPK12hip_bfloat16PSP_PKlPlN2at6native12_GLOBAL__N_18offset_tEEE10hipError_tPvRmT1_PNSt15iterator_traitsIS13_E10value_typeET2_T3_PNS14_IS19_E10value_typeET4_jRbjT5_S1F_jjP12ihipStream_tbEUljE_ZNSN_ISO_Lb1ESR_SS_SU_SV_SZ_EES10_S11_S12_S13_S17_S18_S19_S1C_S1D_jS1E_jS1F_S1F_jjS1H_bEUljE0_EEES10_S11_S12_S19_S1D_S1F_T6_T7_T9_mT8_S1H_bDpT10_ENKUlT_T0_E_clISt17integral_constantIbLb0EES1V_EEDaS1Q_S1R_EUlS1Q_E_NS1_11comp_targetILNS1_3genE9ELNS1_11target_archE1100ELNS1_3gpuE3ELNS1_3repE0EEENS1_30default_config_static_selectorELNS0_4arch9wavefront6targetE0EEEvS13_.uses_flat_scratch, 0
	.set _ZN7rocprim17ROCPRIM_400000_NS6detail17trampoline_kernelINS0_13select_configILj256ELj13ELNS0_17block_load_methodE3ELS4_3ELS4_3ELNS0_20block_scan_algorithmE0ELj4294967295EEENS1_25partition_config_selectorILNS1_17partition_subalgoE4EjNS0_10empty_typeEbEEZZNS1_14partition_implILS8_4ELb0ES6_15HIP_vector_typeIjLj2EENS0_17counting_iteratorIjlEEPS9_SG_NS0_5tupleIJPjSI_NS0_16reverse_iteratorISI_EEEEENSH_IJSG_SG_SG_EEES9_SI_JZNS1_25segmented_radix_sort_implINS0_14default_configELb1EPK12hip_bfloat16PSP_PKlPlN2at6native12_GLOBAL__N_18offset_tEEE10hipError_tPvRmT1_PNSt15iterator_traitsIS13_E10value_typeET2_T3_PNS14_IS19_E10value_typeET4_jRbjT5_S1F_jjP12ihipStream_tbEUljE_ZNSN_ISO_Lb1ESR_SS_SU_SV_SZ_EES10_S11_S12_S13_S17_S18_S19_S1C_S1D_jS1E_jS1F_S1F_jjS1H_bEUljE0_EEES10_S11_S12_S19_S1D_S1F_T6_T7_T9_mT8_S1H_bDpT10_ENKUlT_T0_E_clISt17integral_constantIbLb0EES1V_EEDaS1Q_S1R_EUlS1Q_E_NS1_11comp_targetILNS1_3genE9ELNS1_11target_archE1100ELNS1_3gpuE3ELNS1_3repE0EEENS1_30default_config_static_selectorELNS0_4arch9wavefront6targetE0EEEvS13_.has_dyn_sized_stack, 0
	.set _ZN7rocprim17ROCPRIM_400000_NS6detail17trampoline_kernelINS0_13select_configILj256ELj13ELNS0_17block_load_methodE3ELS4_3ELS4_3ELNS0_20block_scan_algorithmE0ELj4294967295EEENS1_25partition_config_selectorILNS1_17partition_subalgoE4EjNS0_10empty_typeEbEEZZNS1_14partition_implILS8_4ELb0ES6_15HIP_vector_typeIjLj2EENS0_17counting_iteratorIjlEEPS9_SG_NS0_5tupleIJPjSI_NS0_16reverse_iteratorISI_EEEEENSH_IJSG_SG_SG_EEES9_SI_JZNS1_25segmented_radix_sort_implINS0_14default_configELb1EPK12hip_bfloat16PSP_PKlPlN2at6native12_GLOBAL__N_18offset_tEEE10hipError_tPvRmT1_PNSt15iterator_traitsIS13_E10value_typeET2_T3_PNS14_IS19_E10value_typeET4_jRbjT5_S1F_jjP12ihipStream_tbEUljE_ZNSN_ISO_Lb1ESR_SS_SU_SV_SZ_EES10_S11_S12_S13_S17_S18_S19_S1C_S1D_jS1E_jS1F_S1F_jjS1H_bEUljE0_EEES10_S11_S12_S19_S1D_S1F_T6_T7_T9_mT8_S1H_bDpT10_ENKUlT_T0_E_clISt17integral_constantIbLb0EES1V_EEDaS1Q_S1R_EUlS1Q_E_NS1_11comp_targetILNS1_3genE9ELNS1_11target_archE1100ELNS1_3gpuE3ELNS1_3repE0EEENS1_30default_config_static_selectorELNS0_4arch9wavefront6targetE0EEEvS13_.has_recursion, 0
	.set _ZN7rocprim17ROCPRIM_400000_NS6detail17trampoline_kernelINS0_13select_configILj256ELj13ELNS0_17block_load_methodE3ELS4_3ELS4_3ELNS0_20block_scan_algorithmE0ELj4294967295EEENS1_25partition_config_selectorILNS1_17partition_subalgoE4EjNS0_10empty_typeEbEEZZNS1_14partition_implILS8_4ELb0ES6_15HIP_vector_typeIjLj2EENS0_17counting_iteratorIjlEEPS9_SG_NS0_5tupleIJPjSI_NS0_16reverse_iteratorISI_EEEEENSH_IJSG_SG_SG_EEES9_SI_JZNS1_25segmented_radix_sort_implINS0_14default_configELb1EPK12hip_bfloat16PSP_PKlPlN2at6native12_GLOBAL__N_18offset_tEEE10hipError_tPvRmT1_PNSt15iterator_traitsIS13_E10value_typeET2_T3_PNS14_IS19_E10value_typeET4_jRbjT5_S1F_jjP12ihipStream_tbEUljE_ZNSN_ISO_Lb1ESR_SS_SU_SV_SZ_EES10_S11_S12_S13_S17_S18_S19_S1C_S1D_jS1E_jS1F_S1F_jjS1H_bEUljE0_EEES10_S11_S12_S19_S1D_S1F_T6_T7_T9_mT8_S1H_bDpT10_ENKUlT_T0_E_clISt17integral_constantIbLb0EES1V_EEDaS1Q_S1R_EUlS1Q_E_NS1_11comp_targetILNS1_3genE9ELNS1_11target_archE1100ELNS1_3gpuE3ELNS1_3repE0EEENS1_30default_config_static_selectorELNS0_4arch9wavefront6targetE0EEEvS13_.has_indirect_call, 0
	.section	.AMDGPU.csdata,"",@progbits
; Kernel info:
; codeLenInByte = 0
; TotalNumSgprs: 0
; NumVgprs: 0
; ScratchSize: 0
; MemoryBound: 0
; FloatMode: 240
; IeeeMode: 1
; LDSByteSize: 0 bytes/workgroup (compile time only)
; SGPRBlocks: 0
; VGPRBlocks: 0
; NumSGPRsForWavesPerEU: 1
; NumVGPRsForWavesPerEU: 1
; Occupancy: 16
; WaveLimiterHint : 0
; COMPUTE_PGM_RSRC2:SCRATCH_EN: 0
; COMPUTE_PGM_RSRC2:USER_SGPR: 2
; COMPUTE_PGM_RSRC2:TRAP_HANDLER: 0
; COMPUTE_PGM_RSRC2:TGID_X_EN: 1
; COMPUTE_PGM_RSRC2:TGID_Y_EN: 0
; COMPUTE_PGM_RSRC2:TGID_Z_EN: 0
; COMPUTE_PGM_RSRC2:TIDIG_COMP_CNT: 0
	.section	.text._ZN7rocprim17ROCPRIM_400000_NS6detail17trampoline_kernelINS0_13select_configILj256ELj13ELNS0_17block_load_methodE3ELS4_3ELS4_3ELNS0_20block_scan_algorithmE0ELj4294967295EEENS1_25partition_config_selectorILNS1_17partition_subalgoE4EjNS0_10empty_typeEbEEZZNS1_14partition_implILS8_4ELb0ES6_15HIP_vector_typeIjLj2EENS0_17counting_iteratorIjlEEPS9_SG_NS0_5tupleIJPjSI_NS0_16reverse_iteratorISI_EEEEENSH_IJSG_SG_SG_EEES9_SI_JZNS1_25segmented_radix_sort_implINS0_14default_configELb1EPK12hip_bfloat16PSP_PKlPlN2at6native12_GLOBAL__N_18offset_tEEE10hipError_tPvRmT1_PNSt15iterator_traitsIS13_E10value_typeET2_T3_PNS14_IS19_E10value_typeET4_jRbjT5_S1F_jjP12ihipStream_tbEUljE_ZNSN_ISO_Lb1ESR_SS_SU_SV_SZ_EES10_S11_S12_S13_S17_S18_S19_S1C_S1D_jS1E_jS1F_S1F_jjS1H_bEUljE0_EEES10_S11_S12_S19_S1D_S1F_T6_T7_T9_mT8_S1H_bDpT10_ENKUlT_T0_E_clISt17integral_constantIbLb0EES1V_EEDaS1Q_S1R_EUlS1Q_E_NS1_11comp_targetILNS1_3genE8ELNS1_11target_archE1030ELNS1_3gpuE2ELNS1_3repE0EEENS1_30default_config_static_selectorELNS0_4arch9wavefront6targetE0EEEvS13_,"axG",@progbits,_ZN7rocprim17ROCPRIM_400000_NS6detail17trampoline_kernelINS0_13select_configILj256ELj13ELNS0_17block_load_methodE3ELS4_3ELS4_3ELNS0_20block_scan_algorithmE0ELj4294967295EEENS1_25partition_config_selectorILNS1_17partition_subalgoE4EjNS0_10empty_typeEbEEZZNS1_14partition_implILS8_4ELb0ES6_15HIP_vector_typeIjLj2EENS0_17counting_iteratorIjlEEPS9_SG_NS0_5tupleIJPjSI_NS0_16reverse_iteratorISI_EEEEENSH_IJSG_SG_SG_EEES9_SI_JZNS1_25segmented_radix_sort_implINS0_14default_configELb1EPK12hip_bfloat16PSP_PKlPlN2at6native12_GLOBAL__N_18offset_tEEE10hipError_tPvRmT1_PNSt15iterator_traitsIS13_E10value_typeET2_T3_PNS14_IS19_E10value_typeET4_jRbjT5_S1F_jjP12ihipStream_tbEUljE_ZNSN_ISO_Lb1ESR_SS_SU_SV_SZ_EES10_S11_S12_S13_S17_S18_S19_S1C_S1D_jS1E_jS1F_S1F_jjS1H_bEUljE0_EEES10_S11_S12_S19_S1D_S1F_T6_T7_T9_mT8_S1H_bDpT10_ENKUlT_T0_E_clISt17integral_constantIbLb0EES1V_EEDaS1Q_S1R_EUlS1Q_E_NS1_11comp_targetILNS1_3genE8ELNS1_11target_archE1030ELNS1_3gpuE2ELNS1_3repE0EEENS1_30default_config_static_selectorELNS0_4arch9wavefront6targetE0EEEvS13_,comdat
	.globl	_ZN7rocprim17ROCPRIM_400000_NS6detail17trampoline_kernelINS0_13select_configILj256ELj13ELNS0_17block_load_methodE3ELS4_3ELS4_3ELNS0_20block_scan_algorithmE0ELj4294967295EEENS1_25partition_config_selectorILNS1_17partition_subalgoE4EjNS0_10empty_typeEbEEZZNS1_14partition_implILS8_4ELb0ES6_15HIP_vector_typeIjLj2EENS0_17counting_iteratorIjlEEPS9_SG_NS0_5tupleIJPjSI_NS0_16reverse_iteratorISI_EEEEENSH_IJSG_SG_SG_EEES9_SI_JZNS1_25segmented_radix_sort_implINS0_14default_configELb1EPK12hip_bfloat16PSP_PKlPlN2at6native12_GLOBAL__N_18offset_tEEE10hipError_tPvRmT1_PNSt15iterator_traitsIS13_E10value_typeET2_T3_PNS14_IS19_E10value_typeET4_jRbjT5_S1F_jjP12ihipStream_tbEUljE_ZNSN_ISO_Lb1ESR_SS_SU_SV_SZ_EES10_S11_S12_S13_S17_S18_S19_S1C_S1D_jS1E_jS1F_S1F_jjS1H_bEUljE0_EEES10_S11_S12_S19_S1D_S1F_T6_T7_T9_mT8_S1H_bDpT10_ENKUlT_T0_E_clISt17integral_constantIbLb0EES1V_EEDaS1Q_S1R_EUlS1Q_E_NS1_11comp_targetILNS1_3genE8ELNS1_11target_archE1030ELNS1_3gpuE2ELNS1_3repE0EEENS1_30default_config_static_selectorELNS0_4arch9wavefront6targetE0EEEvS13_ ; -- Begin function _ZN7rocprim17ROCPRIM_400000_NS6detail17trampoline_kernelINS0_13select_configILj256ELj13ELNS0_17block_load_methodE3ELS4_3ELS4_3ELNS0_20block_scan_algorithmE0ELj4294967295EEENS1_25partition_config_selectorILNS1_17partition_subalgoE4EjNS0_10empty_typeEbEEZZNS1_14partition_implILS8_4ELb0ES6_15HIP_vector_typeIjLj2EENS0_17counting_iteratorIjlEEPS9_SG_NS0_5tupleIJPjSI_NS0_16reverse_iteratorISI_EEEEENSH_IJSG_SG_SG_EEES9_SI_JZNS1_25segmented_radix_sort_implINS0_14default_configELb1EPK12hip_bfloat16PSP_PKlPlN2at6native12_GLOBAL__N_18offset_tEEE10hipError_tPvRmT1_PNSt15iterator_traitsIS13_E10value_typeET2_T3_PNS14_IS19_E10value_typeET4_jRbjT5_S1F_jjP12ihipStream_tbEUljE_ZNSN_ISO_Lb1ESR_SS_SU_SV_SZ_EES10_S11_S12_S13_S17_S18_S19_S1C_S1D_jS1E_jS1F_S1F_jjS1H_bEUljE0_EEES10_S11_S12_S19_S1D_S1F_T6_T7_T9_mT8_S1H_bDpT10_ENKUlT_T0_E_clISt17integral_constantIbLb0EES1V_EEDaS1Q_S1R_EUlS1Q_E_NS1_11comp_targetILNS1_3genE8ELNS1_11target_archE1030ELNS1_3gpuE2ELNS1_3repE0EEENS1_30default_config_static_selectorELNS0_4arch9wavefront6targetE0EEEvS13_
	.p2align	8
	.type	_ZN7rocprim17ROCPRIM_400000_NS6detail17trampoline_kernelINS0_13select_configILj256ELj13ELNS0_17block_load_methodE3ELS4_3ELS4_3ELNS0_20block_scan_algorithmE0ELj4294967295EEENS1_25partition_config_selectorILNS1_17partition_subalgoE4EjNS0_10empty_typeEbEEZZNS1_14partition_implILS8_4ELb0ES6_15HIP_vector_typeIjLj2EENS0_17counting_iteratorIjlEEPS9_SG_NS0_5tupleIJPjSI_NS0_16reverse_iteratorISI_EEEEENSH_IJSG_SG_SG_EEES9_SI_JZNS1_25segmented_radix_sort_implINS0_14default_configELb1EPK12hip_bfloat16PSP_PKlPlN2at6native12_GLOBAL__N_18offset_tEEE10hipError_tPvRmT1_PNSt15iterator_traitsIS13_E10value_typeET2_T3_PNS14_IS19_E10value_typeET4_jRbjT5_S1F_jjP12ihipStream_tbEUljE_ZNSN_ISO_Lb1ESR_SS_SU_SV_SZ_EES10_S11_S12_S13_S17_S18_S19_S1C_S1D_jS1E_jS1F_S1F_jjS1H_bEUljE0_EEES10_S11_S12_S19_S1D_S1F_T6_T7_T9_mT8_S1H_bDpT10_ENKUlT_T0_E_clISt17integral_constantIbLb0EES1V_EEDaS1Q_S1R_EUlS1Q_E_NS1_11comp_targetILNS1_3genE8ELNS1_11target_archE1030ELNS1_3gpuE2ELNS1_3repE0EEENS1_30default_config_static_selectorELNS0_4arch9wavefront6targetE0EEEvS13_,@function
_ZN7rocprim17ROCPRIM_400000_NS6detail17trampoline_kernelINS0_13select_configILj256ELj13ELNS0_17block_load_methodE3ELS4_3ELS4_3ELNS0_20block_scan_algorithmE0ELj4294967295EEENS1_25partition_config_selectorILNS1_17partition_subalgoE4EjNS0_10empty_typeEbEEZZNS1_14partition_implILS8_4ELb0ES6_15HIP_vector_typeIjLj2EENS0_17counting_iteratorIjlEEPS9_SG_NS0_5tupleIJPjSI_NS0_16reverse_iteratorISI_EEEEENSH_IJSG_SG_SG_EEES9_SI_JZNS1_25segmented_radix_sort_implINS0_14default_configELb1EPK12hip_bfloat16PSP_PKlPlN2at6native12_GLOBAL__N_18offset_tEEE10hipError_tPvRmT1_PNSt15iterator_traitsIS13_E10value_typeET2_T3_PNS14_IS19_E10value_typeET4_jRbjT5_S1F_jjP12ihipStream_tbEUljE_ZNSN_ISO_Lb1ESR_SS_SU_SV_SZ_EES10_S11_S12_S13_S17_S18_S19_S1C_S1D_jS1E_jS1F_S1F_jjS1H_bEUljE0_EEES10_S11_S12_S19_S1D_S1F_T6_T7_T9_mT8_S1H_bDpT10_ENKUlT_T0_E_clISt17integral_constantIbLb0EES1V_EEDaS1Q_S1R_EUlS1Q_E_NS1_11comp_targetILNS1_3genE8ELNS1_11target_archE1030ELNS1_3gpuE2ELNS1_3repE0EEENS1_30default_config_static_selectorELNS0_4arch9wavefront6targetE0EEEvS13_: ; @_ZN7rocprim17ROCPRIM_400000_NS6detail17trampoline_kernelINS0_13select_configILj256ELj13ELNS0_17block_load_methodE3ELS4_3ELS4_3ELNS0_20block_scan_algorithmE0ELj4294967295EEENS1_25partition_config_selectorILNS1_17partition_subalgoE4EjNS0_10empty_typeEbEEZZNS1_14partition_implILS8_4ELb0ES6_15HIP_vector_typeIjLj2EENS0_17counting_iteratorIjlEEPS9_SG_NS0_5tupleIJPjSI_NS0_16reverse_iteratorISI_EEEEENSH_IJSG_SG_SG_EEES9_SI_JZNS1_25segmented_radix_sort_implINS0_14default_configELb1EPK12hip_bfloat16PSP_PKlPlN2at6native12_GLOBAL__N_18offset_tEEE10hipError_tPvRmT1_PNSt15iterator_traitsIS13_E10value_typeET2_T3_PNS14_IS19_E10value_typeET4_jRbjT5_S1F_jjP12ihipStream_tbEUljE_ZNSN_ISO_Lb1ESR_SS_SU_SV_SZ_EES10_S11_S12_S13_S17_S18_S19_S1C_S1D_jS1E_jS1F_S1F_jjS1H_bEUljE0_EEES10_S11_S12_S19_S1D_S1F_T6_T7_T9_mT8_S1H_bDpT10_ENKUlT_T0_E_clISt17integral_constantIbLb0EES1V_EEDaS1Q_S1R_EUlS1Q_E_NS1_11comp_targetILNS1_3genE8ELNS1_11target_archE1030ELNS1_3gpuE2ELNS1_3repE0EEENS1_30default_config_static_selectorELNS0_4arch9wavefront6targetE0EEEvS13_
; %bb.0:
	.section	.rodata,"a",@progbits
	.p2align	6, 0x0
	.amdhsa_kernel _ZN7rocprim17ROCPRIM_400000_NS6detail17trampoline_kernelINS0_13select_configILj256ELj13ELNS0_17block_load_methodE3ELS4_3ELS4_3ELNS0_20block_scan_algorithmE0ELj4294967295EEENS1_25partition_config_selectorILNS1_17partition_subalgoE4EjNS0_10empty_typeEbEEZZNS1_14partition_implILS8_4ELb0ES6_15HIP_vector_typeIjLj2EENS0_17counting_iteratorIjlEEPS9_SG_NS0_5tupleIJPjSI_NS0_16reverse_iteratorISI_EEEEENSH_IJSG_SG_SG_EEES9_SI_JZNS1_25segmented_radix_sort_implINS0_14default_configELb1EPK12hip_bfloat16PSP_PKlPlN2at6native12_GLOBAL__N_18offset_tEEE10hipError_tPvRmT1_PNSt15iterator_traitsIS13_E10value_typeET2_T3_PNS14_IS19_E10value_typeET4_jRbjT5_S1F_jjP12ihipStream_tbEUljE_ZNSN_ISO_Lb1ESR_SS_SU_SV_SZ_EES10_S11_S12_S13_S17_S18_S19_S1C_S1D_jS1E_jS1F_S1F_jjS1H_bEUljE0_EEES10_S11_S12_S19_S1D_S1F_T6_T7_T9_mT8_S1H_bDpT10_ENKUlT_T0_E_clISt17integral_constantIbLb0EES1V_EEDaS1Q_S1R_EUlS1Q_E_NS1_11comp_targetILNS1_3genE8ELNS1_11target_archE1030ELNS1_3gpuE2ELNS1_3repE0EEENS1_30default_config_static_selectorELNS0_4arch9wavefront6targetE0EEEvS13_
		.amdhsa_group_segment_fixed_size 0
		.amdhsa_private_segment_fixed_size 0
		.amdhsa_kernarg_size 176
		.amdhsa_user_sgpr_count 2
		.amdhsa_user_sgpr_dispatch_ptr 0
		.amdhsa_user_sgpr_queue_ptr 0
		.amdhsa_user_sgpr_kernarg_segment_ptr 1
		.amdhsa_user_sgpr_dispatch_id 0
		.amdhsa_user_sgpr_private_segment_size 0
		.amdhsa_wavefront_size32 1
		.amdhsa_uses_dynamic_stack 0
		.amdhsa_enable_private_segment 0
		.amdhsa_system_sgpr_workgroup_id_x 1
		.amdhsa_system_sgpr_workgroup_id_y 0
		.amdhsa_system_sgpr_workgroup_id_z 0
		.amdhsa_system_sgpr_workgroup_info 0
		.amdhsa_system_vgpr_workitem_id 0
		.amdhsa_next_free_vgpr 1
		.amdhsa_next_free_sgpr 1
		.amdhsa_reserve_vcc 0
		.amdhsa_float_round_mode_32 0
		.amdhsa_float_round_mode_16_64 0
		.amdhsa_float_denorm_mode_32 3
		.amdhsa_float_denorm_mode_16_64 3
		.amdhsa_fp16_overflow 0
		.amdhsa_workgroup_processor_mode 1
		.amdhsa_memory_ordered 1
		.amdhsa_forward_progress 1
		.amdhsa_inst_pref_size 0
		.amdhsa_round_robin_scheduling 0
		.amdhsa_exception_fp_ieee_invalid_op 0
		.amdhsa_exception_fp_denorm_src 0
		.amdhsa_exception_fp_ieee_div_zero 0
		.amdhsa_exception_fp_ieee_overflow 0
		.amdhsa_exception_fp_ieee_underflow 0
		.amdhsa_exception_fp_ieee_inexact 0
		.amdhsa_exception_int_div_zero 0
	.end_amdhsa_kernel
	.section	.text._ZN7rocprim17ROCPRIM_400000_NS6detail17trampoline_kernelINS0_13select_configILj256ELj13ELNS0_17block_load_methodE3ELS4_3ELS4_3ELNS0_20block_scan_algorithmE0ELj4294967295EEENS1_25partition_config_selectorILNS1_17partition_subalgoE4EjNS0_10empty_typeEbEEZZNS1_14partition_implILS8_4ELb0ES6_15HIP_vector_typeIjLj2EENS0_17counting_iteratorIjlEEPS9_SG_NS0_5tupleIJPjSI_NS0_16reverse_iteratorISI_EEEEENSH_IJSG_SG_SG_EEES9_SI_JZNS1_25segmented_radix_sort_implINS0_14default_configELb1EPK12hip_bfloat16PSP_PKlPlN2at6native12_GLOBAL__N_18offset_tEEE10hipError_tPvRmT1_PNSt15iterator_traitsIS13_E10value_typeET2_T3_PNS14_IS19_E10value_typeET4_jRbjT5_S1F_jjP12ihipStream_tbEUljE_ZNSN_ISO_Lb1ESR_SS_SU_SV_SZ_EES10_S11_S12_S13_S17_S18_S19_S1C_S1D_jS1E_jS1F_S1F_jjS1H_bEUljE0_EEES10_S11_S12_S19_S1D_S1F_T6_T7_T9_mT8_S1H_bDpT10_ENKUlT_T0_E_clISt17integral_constantIbLb0EES1V_EEDaS1Q_S1R_EUlS1Q_E_NS1_11comp_targetILNS1_3genE8ELNS1_11target_archE1030ELNS1_3gpuE2ELNS1_3repE0EEENS1_30default_config_static_selectorELNS0_4arch9wavefront6targetE0EEEvS13_,"axG",@progbits,_ZN7rocprim17ROCPRIM_400000_NS6detail17trampoline_kernelINS0_13select_configILj256ELj13ELNS0_17block_load_methodE3ELS4_3ELS4_3ELNS0_20block_scan_algorithmE0ELj4294967295EEENS1_25partition_config_selectorILNS1_17partition_subalgoE4EjNS0_10empty_typeEbEEZZNS1_14partition_implILS8_4ELb0ES6_15HIP_vector_typeIjLj2EENS0_17counting_iteratorIjlEEPS9_SG_NS0_5tupleIJPjSI_NS0_16reverse_iteratorISI_EEEEENSH_IJSG_SG_SG_EEES9_SI_JZNS1_25segmented_radix_sort_implINS0_14default_configELb1EPK12hip_bfloat16PSP_PKlPlN2at6native12_GLOBAL__N_18offset_tEEE10hipError_tPvRmT1_PNSt15iterator_traitsIS13_E10value_typeET2_T3_PNS14_IS19_E10value_typeET4_jRbjT5_S1F_jjP12ihipStream_tbEUljE_ZNSN_ISO_Lb1ESR_SS_SU_SV_SZ_EES10_S11_S12_S13_S17_S18_S19_S1C_S1D_jS1E_jS1F_S1F_jjS1H_bEUljE0_EEES10_S11_S12_S19_S1D_S1F_T6_T7_T9_mT8_S1H_bDpT10_ENKUlT_T0_E_clISt17integral_constantIbLb0EES1V_EEDaS1Q_S1R_EUlS1Q_E_NS1_11comp_targetILNS1_3genE8ELNS1_11target_archE1030ELNS1_3gpuE2ELNS1_3repE0EEENS1_30default_config_static_selectorELNS0_4arch9wavefront6targetE0EEEvS13_,comdat
.Lfunc_end1889:
	.size	_ZN7rocprim17ROCPRIM_400000_NS6detail17trampoline_kernelINS0_13select_configILj256ELj13ELNS0_17block_load_methodE3ELS4_3ELS4_3ELNS0_20block_scan_algorithmE0ELj4294967295EEENS1_25partition_config_selectorILNS1_17partition_subalgoE4EjNS0_10empty_typeEbEEZZNS1_14partition_implILS8_4ELb0ES6_15HIP_vector_typeIjLj2EENS0_17counting_iteratorIjlEEPS9_SG_NS0_5tupleIJPjSI_NS0_16reverse_iteratorISI_EEEEENSH_IJSG_SG_SG_EEES9_SI_JZNS1_25segmented_radix_sort_implINS0_14default_configELb1EPK12hip_bfloat16PSP_PKlPlN2at6native12_GLOBAL__N_18offset_tEEE10hipError_tPvRmT1_PNSt15iterator_traitsIS13_E10value_typeET2_T3_PNS14_IS19_E10value_typeET4_jRbjT5_S1F_jjP12ihipStream_tbEUljE_ZNSN_ISO_Lb1ESR_SS_SU_SV_SZ_EES10_S11_S12_S13_S17_S18_S19_S1C_S1D_jS1E_jS1F_S1F_jjS1H_bEUljE0_EEES10_S11_S12_S19_S1D_S1F_T6_T7_T9_mT8_S1H_bDpT10_ENKUlT_T0_E_clISt17integral_constantIbLb0EES1V_EEDaS1Q_S1R_EUlS1Q_E_NS1_11comp_targetILNS1_3genE8ELNS1_11target_archE1030ELNS1_3gpuE2ELNS1_3repE0EEENS1_30default_config_static_selectorELNS0_4arch9wavefront6targetE0EEEvS13_, .Lfunc_end1889-_ZN7rocprim17ROCPRIM_400000_NS6detail17trampoline_kernelINS0_13select_configILj256ELj13ELNS0_17block_load_methodE3ELS4_3ELS4_3ELNS0_20block_scan_algorithmE0ELj4294967295EEENS1_25partition_config_selectorILNS1_17partition_subalgoE4EjNS0_10empty_typeEbEEZZNS1_14partition_implILS8_4ELb0ES6_15HIP_vector_typeIjLj2EENS0_17counting_iteratorIjlEEPS9_SG_NS0_5tupleIJPjSI_NS0_16reverse_iteratorISI_EEEEENSH_IJSG_SG_SG_EEES9_SI_JZNS1_25segmented_radix_sort_implINS0_14default_configELb1EPK12hip_bfloat16PSP_PKlPlN2at6native12_GLOBAL__N_18offset_tEEE10hipError_tPvRmT1_PNSt15iterator_traitsIS13_E10value_typeET2_T3_PNS14_IS19_E10value_typeET4_jRbjT5_S1F_jjP12ihipStream_tbEUljE_ZNSN_ISO_Lb1ESR_SS_SU_SV_SZ_EES10_S11_S12_S13_S17_S18_S19_S1C_S1D_jS1E_jS1F_S1F_jjS1H_bEUljE0_EEES10_S11_S12_S19_S1D_S1F_T6_T7_T9_mT8_S1H_bDpT10_ENKUlT_T0_E_clISt17integral_constantIbLb0EES1V_EEDaS1Q_S1R_EUlS1Q_E_NS1_11comp_targetILNS1_3genE8ELNS1_11target_archE1030ELNS1_3gpuE2ELNS1_3repE0EEENS1_30default_config_static_selectorELNS0_4arch9wavefront6targetE0EEEvS13_
                                        ; -- End function
	.set _ZN7rocprim17ROCPRIM_400000_NS6detail17trampoline_kernelINS0_13select_configILj256ELj13ELNS0_17block_load_methodE3ELS4_3ELS4_3ELNS0_20block_scan_algorithmE0ELj4294967295EEENS1_25partition_config_selectorILNS1_17partition_subalgoE4EjNS0_10empty_typeEbEEZZNS1_14partition_implILS8_4ELb0ES6_15HIP_vector_typeIjLj2EENS0_17counting_iteratorIjlEEPS9_SG_NS0_5tupleIJPjSI_NS0_16reverse_iteratorISI_EEEEENSH_IJSG_SG_SG_EEES9_SI_JZNS1_25segmented_radix_sort_implINS0_14default_configELb1EPK12hip_bfloat16PSP_PKlPlN2at6native12_GLOBAL__N_18offset_tEEE10hipError_tPvRmT1_PNSt15iterator_traitsIS13_E10value_typeET2_T3_PNS14_IS19_E10value_typeET4_jRbjT5_S1F_jjP12ihipStream_tbEUljE_ZNSN_ISO_Lb1ESR_SS_SU_SV_SZ_EES10_S11_S12_S13_S17_S18_S19_S1C_S1D_jS1E_jS1F_S1F_jjS1H_bEUljE0_EEES10_S11_S12_S19_S1D_S1F_T6_T7_T9_mT8_S1H_bDpT10_ENKUlT_T0_E_clISt17integral_constantIbLb0EES1V_EEDaS1Q_S1R_EUlS1Q_E_NS1_11comp_targetILNS1_3genE8ELNS1_11target_archE1030ELNS1_3gpuE2ELNS1_3repE0EEENS1_30default_config_static_selectorELNS0_4arch9wavefront6targetE0EEEvS13_.num_vgpr, 0
	.set _ZN7rocprim17ROCPRIM_400000_NS6detail17trampoline_kernelINS0_13select_configILj256ELj13ELNS0_17block_load_methodE3ELS4_3ELS4_3ELNS0_20block_scan_algorithmE0ELj4294967295EEENS1_25partition_config_selectorILNS1_17partition_subalgoE4EjNS0_10empty_typeEbEEZZNS1_14partition_implILS8_4ELb0ES6_15HIP_vector_typeIjLj2EENS0_17counting_iteratorIjlEEPS9_SG_NS0_5tupleIJPjSI_NS0_16reverse_iteratorISI_EEEEENSH_IJSG_SG_SG_EEES9_SI_JZNS1_25segmented_radix_sort_implINS0_14default_configELb1EPK12hip_bfloat16PSP_PKlPlN2at6native12_GLOBAL__N_18offset_tEEE10hipError_tPvRmT1_PNSt15iterator_traitsIS13_E10value_typeET2_T3_PNS14_IS19_E10value_typeET4_jRbjT5_S1F_jjP12ihipStream_tbEUljE_ZNSN_ISO_Lb1ESR_SS_SU_SV_SZ_EES10_S11_S12_S13_S17_S18_S19_S1C_S1D_jS1E_jS1F_S1F_jjS1H_bEUljE0_EEES10_S11_S12_S19_S1D_S1F_T6_T7_T9_mT8_S1H_bDpT10_ENKUlT_T0_E_clISt17integral_constantIbLb0EES1V_EEDaS1Q_S1R_EUlS1Q_E_NS1_11comp_targetILNS1_3genE8ELNS1_11target_archE1030ELNS1_3gpuE2ELNS1_3repE0EEENS1_30default_config_static_selectorELNS0_4arch9wavefront6targetE0EEEvS13_.num_agpr, 0
	.set _ZN7rocprim17ROCPRIM_400000_NS6detail17trampoline_kernelINS0_13select_configILj256ELj13ELNS0_17block_load_methodE3ELS4_3ELS4_3ELNS0_20block_scan_algorithmE0ELj4294967295EEENS1_25partition_config_selectorILNS1_17partition_subalgoE4EjNS0_10empty_typeEbEEZZNS1_14partition_implILS8_4ELb0ES6_15HIP_vector_typeIjLj2EENS0_17counting_iteratorIjlEEPS9_SG_NS0_5tupleIJPjSI_NS0_16reverse_iteratorISI_EEEEENSH_IJSG_SG_SG_EEES9_SI_JZNS1_25segmented_radix_sort_implINS0_14default_configELb1EPK12hip_bfloat16PSP_PKlPlN2at6native12_GLOBAL__N_18offset_tEEE10hipError_tPvRmT1_PNSt15iterator_traitsIS13_E10value_typeET2_T3_PNS14_IS19_E10value_typeET4_jRbjT5_S1F_jjP12ihipStream_tbEUljE_ZNSN_ISO_Lb1ESR_SS_SU_SV_SZ_EES10_S11_S12_S13_S17_S18_S19_S1C_S1D_jS1E_jS1F_S1F_jjS1H_bEUljE0_EEES10_S11_S12_S19_S1D_S1F_T6_T7_T9_mT8_S1H_bDpT10_ENKUlT_T0_E_clISt17integral_constantIbLb0EES1V_EEDaS1Q_S1R_EUlS1Q_E_NS1_11comp_targetILNS1_3genE8ELNS1_11target_archE1030ELNS1_3gpuE2ELNS1_3repE0EEENS1_30default_config_static_selectorELNS0_4arch9wavefront6targetE0EEEvS13_.numbered_sgpr, 0
	.set _ZN7rocprim17ROCPRIM_400000_NS6detail17trampoline_kernelINS0_13select_configILj256ELj13ELNS0_17block_load_methodE3ELS4_3ELS4_3ELNS0_20block_scan_algorithmE0ELj4294967295EEENS1_25partition_config_selectorILNS1_17partition_subalgoE4EjNS0_10empty_typeEbEEZZNS1_14partition_implILS8_4ELb0ES6_15HIP_vector_typeIjLj2EENS0_17counting_iteratorIjlEEPS9_SG_NS0_5tupleIJPjSI_NS0_16reverse_iteratorISI_EEEEENSH_IJSG_SG_SG_EEES9_SI_JZNS1_25segmented_radix_sort_implINS0_14default_configELb1EPK12hip_bfloat16PSP_PKlPlN2at6native12_GLOBAL__N_18offset_tEEE10hipError_tPvRmT1_PNSt15iterator_traitsIS13_E10value_typeET2_T3_PNS14_IS19_E10value_typeET4_jRbjT5_S1F_jjP12ihipStream_tbEUljE_ZNSN_ISO_Lb1ESR_SS_SU_SV_SZ_EES10_S11_S12_S13_S17_S18_S19_S1C_S1D_jS1E_jS1F_S1F_jjS1H_bEUljE0_EEES10_S11_S12_S19_S1D_S1F_T6_T7_T9_mT8_S1H_bDpT10_ENKUlT_T0_E_clISt17integral_constantIbLb0EES1V_EEDaS1Q_S1R_EUlS1Q_E_NS1_11comp_targetILNS1_3genE8ELNS1_11target_archE1030ELNS1_3gpuE2ELNS1_3repE0EEENS1_30default_config_static_selectorELNS0_4arch9wavefront6targetE0EEEvS13_.num_named_barrier, 0
	.set _ZN7rocprim17ROCPRIM_400000_NS6detail17trampoline_kernelINS0_13select_configILj256ELj13ELNS0_17block_load_methodE3ELS4_3ELS4_3ELNS0_20block_scan_algorithmE0ELj4294967295EEENS1_25partition_config_selectorILNS1_17partition_subalgoE4EjNS0_10empty_typeEbEEZZNS1_14partition_implILS8_4ELb0ES6_15HIP_vector_typeIjLj2EENS0_17counting_iteratorIjlEEPS9_SG_NS0_5tupleIJPjSI_NS0_16reverse_iteratorISI_EEEEENSH_IJSG_SG_SG_EEES9_SI_JZNS1_25segmented_radix_sort_implINS0_14default_configELb1EPK12hip_bfloat16PSP_PKlPlN2at6native12_GLOBAL__N_18offset_tEEE10hipError_tPvRmT1_PNSt15iterator_traitsIS13_E10value_typeET2_T3_PNS14_IS19_E10value_typeET4_jRbjT5_S1F_jjP12ihipStream_tbEUljE_ZNSN_ISO_Lb1ESR_SS_SU_SV_SZ_EES10_S11_S12_S13_S17_S18_S19_S1C_S1D_jS1E_jS1F_S1F_jjS1H_bEUljE0_EEES10_S11_S12_S19_S1D_S1F_T6_T7_T9_mT8_S1H_bDpT10_ENKUlT_T0_E_clISt17integral_constantIbLb0EES1V_EEDaS1Q_S1R_EUlS1Q_E_NS1_11comp_targetILNS1_3genE8ELNS1_11target_archE1030ELNS1_3gpuE2ELNS1_3repE0EEENS1_30default_config_static_selectorELNS0_4arch9wavefront6targetE0EEEvS13_.private_seg_size, 0
	.set _ZN7rocprim17ROCPRIM_400000_NS6detail17trampoline_kernelINS0_13select_configILj256ELj13ELNS0_17block_load_methodE3ELS4_3ELS4_3ELNS0_20block_scan_algorithmE0ELj4294967295EEENS1_25partition_config_selectorILNS1_17partition_subalgoE4EjNS0_10empty_typeEbEEZZNS1_14partition_implILS8_4ELb0ES6_15HIP_vector_typeIjLj2EENS0_17counting_iteratorIjlEEPS9_SG_NS0_5tupleIJPjSI_NS0_16reverse_iteratorISI_EEEEENSH_IJSG_SG_SG_EEES9_SI_JZNS1_25segmented_radix_sort_implINS0_14default_configELb1EPK12hip_bfloat16PSP_PKlPlN2at6native12_GLOBAL__N_18offset_tEEE10hipError_tPvRmT1_PNSt15iterator_traitsIS13_E10value_typeET2_T3_PNS14_IS19_E10value_typeET4_jRbjT5_S1F_jjP12ihipStream_tbEUljE_ZNSN_ISO_Lb1ESR_SS_SU_SV_SZ_EES10_S11_S12_S13_S17_S18_S19_S1C_S1D_jS1E_jS1F_S1F_jjS1H_bEUljE0_EEES10_S11_S12_S19_S1D_S1F_T6_T7_T9_mT8_S1H_bDpT10_ENKUlT_T0_E_clISt17integral_constantIbLb0EES1V_EEDaS1Q_S1R_EUlS1Q_E_NS1_11comp_targetILNS1_3genE8ELNS1_11target_archE1030ELNS1_3gpuE2ELNS1_3repE0EEENS1_30default_config_static_selectorELNS0_4arch9wavefront6targetE0EEEvS13_.uses_vcc, 0
	.set _ZN7rocprim17ROCPRIM_400000_NS6detail17trampoline_kernelINS0_13select_configILj256ELj13ELNS0_17block_load_methodE3ELS4_3ELS4_3ELNS0_20block_scan_algorithmE0ELj4294967295EEENS1_25partition_config_selectorILNS1_17partition_subalgoE4EjNS0_10empty_typeEbEEZZNS1_14partition_implILS8_4ELb0ES6_15HIP_vector_typeIjLj2EENS0_17counting_iteratorIjlEEPS9_SG_NS0_5tupleIJPjSI_NS0_16reverse_iteratorISI_EEEEENSH_IJSG_SG_SG_EEES9_SI_JZNS1_25segmented_radix_sort_implINS0_14default_configELb1EPK12hip_bfloat16PSP_PKlPlN2at6native12_GLOBAL__N_18offset_tEEE10hipError_tPvRmT1_PNSt15iterator_traitsIS13_E10value_typeET2_T3_PNS14_IS19_E10value_typeET4_jRbjT5_S1F_jjP12ihipStream_tbEUljE_ZNSN_ISO_Lb1ESR_SS_SU_SV_SZ_EES10_S11_S12_S13_S17_S18_S19_S1C_S1D_jS1E_jS1F_S1F_jjS1H_bEUljE0_EEES10_S11_S12_S19_S1D_S1F_T6_T7_T9_mT8_S1H_bDpT10_ENKUlT_T0_E_clISt17integral_constantIbLb0EES1V_EEDaS1Q_S1R_EUlS1Q_E_NS1_11comp_targetILNS1_3genE8ELNS1_11target_archE1030ELNS1_3gpuE2ELNS1_3repE0EEENS1_30default_config_static_selectorELNS0_4arch9wavefront6targetE0EEEvS13_.uses_flat_scratch, 0
	.set _ZN7rocprim17ROCPRIM_400000_NS6detail17trampoline_kernelINS0_13select_configILj256ELj13ELNS0_17block_load_methodE3ELS4_3ELS4_3ELNS0_20block_scan_algorithmE0ELj4294967295EEENS1_25partition_config_selectorILNS1_17partition_subalgoE4EjNS0_10empty_typeEbEEZZNS1_14partition_implILS8_4ELb0ES6_15HIP_vector_typeIjLj2EENS0_17counting_iteratorIjlEEPS9_SG_NS0_5tupleIJPjSI_NS0_16reverse_iteratorISI_EEEEENSH_IJSG_SG_SG_EEES9_SI_JZNS1_25segmented_radix_sort_implINS0_14default_configELb1EPK12hip_bfloat16PSP_PKlPlN2at6native12_GLOBAL__N_18offset_tEEE10hipError_tPvRmT1_PNSt15iterator_traitsIS13_E10value_typeET2_T3_PNS14_IS19_E10value_typeET4_jRbjT5_S1F_jjP12ihipStream_tbEUljE_ZNSN_ISO_Lb1ESR_SS_SU_SV_SZ_EES10_S11_S12_S13_S17_S18_S19_S1C_S1D_jS1E_jS1F_S1F_jjS1H_bEUljE0_EEES10_S11_S12_S19_S1D_S1F_T6_T7_T9_mT8_S1H_bDpT10_ENKUlT_T0_E_clISt17integral_constantIbLb0EES1V_EEDaS1Q_S1R_EUlS1Q_E_NS1_11comp_targetILNS1_3genE8ELNS1_11target_archE1030ELNS1_3gpuE2ELNS1_3repE0EEENS1_30default_config_static_selectorELNS0_4arch9wavefront6targetE0EEEvS13_.has_dyn_sized_stack, 0
	.set _ZN7rocprim17ROCPRIM_400000_NS6detail17trampoline_kernelINS0_13select_configILj256ELj13ELNS0_17block_load_methodE3ELS4_3ELS4_3ELNS0_20block_scan_algorithmE0ELj4294967295EEENS1_25partition_config_selectorILNS1_17partition_subalgoE4EjNS0_10empty_typeEbEEZZNS1_14partition_implILS8_4ELb0ES6_15HIP_vector_typeIjLj2EENS0_17counting_iteratorIjlEEPS9_SG_NS0_5tupleIJPjSI_NS0_16reverse_iteratorISI_EEEEENSH_IJSG_SG_SG_EEES9_SI_JZNS1_25segmented_radix_sort_implINS0_14default_configELb1EPK12hip_bfloat16PSP_PKlPlN2at6native12_GLOBAL__N_18offset_tEEE10hipError_tPvRmT1_PNSt15iterator_traitsIS13_E10value_typeET2_T3_PNS14_IS19_E10value_typeET4_jRbjT5_S1F_jjP12ihipStream_tbEUljE_ZNSN_ISO_Lb1ESR_SS_SU_SV_SZ_EES10_S11_S12_S13_S17_S18_S19_S1C_S1D_jS1E_jS1F_S1F_jjS1H_bEUljE0_EEES10_S11_S12_S19_S1D_S1F_T6_T7_T9_mT8_S1H_bDpT10_ENKUlT_T0_E_clISt17integral_constantIbLb0EES1V_EEDaS1Q_S1R_EUlS1Q_E_NS1_11comp_targetILNS1_3genE8ELNS1_11target_archE1030ELNS1_3gpuE2ELNS1_3repE0EEENS1_30default_config_static_selectorELNS0_4arch9wavefront6targetE0EEEvS13_.has_recursion, 0
	.set _ZN7rocprim17ROCPRIM_400000_NS6detail17trampoline_kernelINS0_13select_configILj256ELj13ELNS0_17block_load_methodE3ELS4_3ELS4_3ELNS0_20block_scan_algorithmE0ELj4294967295EEENS1_25partition_config_selectorILNS1_17partition_subalgoE4EjNS0_10empty_typeEbEEZZNS1_14partition_implILS8_4ELb0ES6_15HIP_vector_typeIjLj2EENS0_17counting_iteratorIjlEEPS9_SG_NS0_5tupleIJPjSI_NS0_16reverse_iteratorISI_EEEEENSH_IJSG_SG_SG_EEES9_SI_JZNS1_25segmented_radix_sort_implINS0_14default_configELb1EPK12hip_bfloat16PSP_PKlPlN2at6native12_GLOBAL__N_18offset_tEEE10hipError_tPvRmT1_PNSt15iterator_traitsIS13_E10value_typeET2_T3_PNS14_IS19_E10value_typeET4_jRbjT5_S1F_jjP12ihipStream_tbEUljE_ZNSN_ISO_Lb1ESR_SS_SU_SV_SZ_EES10_S11_S12_S13_S17_S18_S19_S1C_S1D_jS1E_jS1F_S1F_jjS1H_bEUljE0_EEES10_S11_S12_S19_S1D_S1F_T6_T7_T9_mT8_S1H_bDpT10_ENKUlT_T0_E_clISt17integral_constantIbLb0EES1V_EEDaS1Q_S1R_EUlS1Q_E_NS1_11comp_targetILNS1_3genE8ELNS1_11target_archE1030ELNS1_3gpuE2ELNS1_3repE0EEENS1_30default_config_static_selectorELNS0_4arch9wavefront6targetE0EEEvS13_.has_indirect_call, 0
	.section	.AMDGPU.csdata,"",@progbits
; Kernel info:
; codeLenInByte = 0
; TotalNumSgprs: 0
; NumVgprs: 0
; ScratchSize: 0
; MemoryBound: 0
; FloatMode: 240
; IeeeMode: 1
; LDSByteSize: 0 bytes/workgroup (compile time only)
; SGPRBlocks: 0
; VGPRBlocks: 0
; NumSGPRsForWavesPerEU: 1
; NumVGPRsForWavesPerEU: 1
; Occupancy: 16
; WaveLimiterHint : 0
; COMPUTE_PGM_RSRC2:SCRATCH_EN: 0
; COMPUTE_PGM_RSRC2:USER_SGPR: 2
; COMPUTE_PGM_RSRC2:TRAP_HANDLER: 0
; COMPUTE_PGM_RSRC2:TGID_X_EN: 1
; COMPUTE_PGM_RSRC2:TGID_Y_EN: 0
; COMPUTE_PGM_RSRC2:TGID_Z_EN: 0
; COMPUTE_PGM_RSRC2:TIDIG_COMP_CNT: 0
	.section	.text._ZN7rocprim17ROCPRIM_400000_NS6detail17trampoline_kernelINS0_13select_configILj256ELj13ELNS0_17block_load_methodE3ELS4_3ELS4_3ELNS0_20block_scan_algorithmE0ELj4294967295EEENS1_25partition_config_selectorILNS1_17partition_subalgoE4EjNS0_10empty_typeEbEEZZNS1_14partition_implILS8_4ELb0ES6_15HIP_vector_typeIjLj2EENS0_17counting_iteratorIjlEEPS9_SG_NS0_5tupleIJPjSI_NS0_16reverse_iteratorISI_EEEEENSH_IJSG_SG_SG_EEES9_SI_JZNS1_25segmented_radix_sort_implINS0_14default_configELb1EPK12hip_bfloat16PSP_PKlPlN2at6native12_GLOBAL__N_18offset_tEEE10hipError_tPvRmT1_PNSt15iterator_traitsIS13_E10value_typeET2_T3_PNS14_IS19_E10value_typeET4_jRbjT5_S1F_jjP12ihipStream_tbEUljE_ZNSN_ISO_Lb1ESR_SS_SU_SV_SZ_EES10_S11_S12_S13_S17_S18_S19_S1C_S1D_jS1E_jS1F_S1F_jjS1H_bEUljE0_EEES10_S11_S12_S19_S1D_S1F_T6_T7_T9_mT8_S1H_bDpT10_ENKUlT_T0_E_clISt17integral_constantIbLb1EES1V_EEDaS1Q_S1R_EUlS1Q_E_NS1_11comp_targetILNS1_3genE0ELNS1_11target_archE4294967295ELNS1_3gpuE0ELNS1_3repE0EEENS1_30default_config_static_selectorELNS0_4arch9wavefront6targetE0EEEvS13_,"axG",@progbits,_ZN7rocprim17ROCPRIM_400000_NS6detail17trampoline_kernelINS0_13select_configILj256ELj13ELNS0_17block_load_methodE3ELS4_3ELS4_3ELNS0_20block_scan_algorithmE0ELj4294967295EEENS1_25partition_config_selectorILNS1_17partition_subalgoE4EjNS0_10empty_typeEbEEZZNS1_14partition_implILS8_4ELb0ES6_15HIP_vector_typeIjLj2EENS0_17counting_iteratorIjlEEPS9_SG_NS0_5tupleIJPjSI_NS0_16reverse_iteratorISI_EEEEENSH_IJSG_SG_SG_EEES9_SI_JZNS1_25segmented_radix_sort_implINS0_14default_configELb1EPK12hip_bfloat16PSP_PKlPlN2at6native12_GLOBAL__N_18offset_tEEE10hipError_tPvRmT1_PNSt15iterator_traitsIS13_E10value_typeET2_T3_PNS14_IS19_E10value_typeET4_jRbjT5_S1F_jjP12ihipStream_tbEUljE_ZNSN_ISO_Lb1ESR_SS_SU_SV_SZ_EES10_S11_S12_S13_S17_S18_S19_S1C_S1D_jS1E_jS1F_S1F_jjS1H_bEUljE0_EEES10_S11_S12_S19_S1D_S1F_T6_T7_T9_mT8_S1H_bDpT10_ENKUlT_T0_E_clISt17integral_constantIbLb1EES1V_EEDaS1Q_S1R_EUlS1Q_E_NS1_11comp_targetILNS1_3genE0ELNS1_11target_archE4294967295ELNS1_3gpuE0ELNS1_3repE0EEENS1_30default_config_static_selectorELNS0_4arch9wavefront6targetE0EEEvS13_,comdat
	.globl	_ZN7rocprim17ROCPRIM_400000_NS6detail17trampoline_kernelINS0_13select_configILj256ELj13ELNS0_17block_load_methodE3ELS4_3ELS4_3ELNS0_20block_scan_algorithmE0ELj4294967295EEENS1_25partition_config_selectorILNS1_17partition_subalgoE4EjNS0_10empty_typeEbEEZZNS1_14partition_implILS8_4ELb0ES6_15HIP_vector_typeIjLj2EENS0_17counting_iteratorIjlEEPS9_SG_NS0_5tupleIJPjSI_NS0_16reverse_iteratorISI_EEEEENSH_IJSG_SG_SG_EEES9_SI_JZNS1_25segmented_radix_sort_implINS0_14default_configELb1EPK12hip_bfloat16PSP_PKlPlN2at6native12_GLOBAL__N_18offset_tEEE10hipError_tPvRmT1_PNSt15iterator_traitsIS13_E10value_typeET2_T3_PNS14_IS19_E10value_typeET4_jRbjT5_S1F_jjP12ihipStream_tbEUljE_ZNSN_ISO_Lb1ESR_SS_SU_SV_SZ_EES10_S11_S12_S13_S17_S18_S19_S1C_S1D_jS1E_jS1F_S1F_jjS1H_bEUljE0_EEES10_S11_S12_S19_S1D_S1F_T6_T7_T9_mT8_S1H_bDpT10_ENKUlT_T0_E_clISt17integral_constantIbLb1EES1V_EEDaS1Q_S1R_EUlS1Q_E_NS1_11comp_targetILNS1_3genE0ELNS1_11target_archE4294967295ELNS1_3gpuE0ELNS1_3repE0EEENS1_30default_config_static_selectorELNS0_4arch9wavefront6targetE0EEEvS13_ ; -- Begin function _ZN7rocprim17ROCPRIM_400000_NS6detail17trampoline_kernelINS0_13select_configILj256ELj13ELNS0_17block_load_methodE3ELS4_3ELS4_3ELNS0_20block_scan_algorithmE0ELj4294967295EEENS1_25partition_config_selectorILNS1_17partition_subalgoE4EjNS0_10empty_typeEbEEZZNS1_14partition_implILS8_4ELb0ES6_15HIP_vector_typeIjLj2EENS0_17counting_iteratorIjlEEPS9_SG_NS0_5tupleIJPjSI_NS0_16reverse_iteratorISI_EEEEENSH_IJSG_SG_SG_EEES9_SI_JZNS1_25segmented_radix_sort_implINS0_14default_configELb1EPK12hip_bfloat16PSP_PKlPlN2at6native12_GLOBAL__N_18offset_tEEE10hipError_tPvRmT1_PNSt15iterator_traitsIS13_E10value_typeET2_T3_PNS14_IS19_E10value_typeET4_jRbjT5_S1F_jjP12ihipStream_tbEUljE_ZNSN_ISO_Lb1ESR_SS_SU_SV_SZ_EES10_S11_S12_S13_S17_S18_S19_S1C_S1D_jS1E_jS1F_S1F_jjS1H_bEUljE0_EEES10_S11_S12_S19_S1D_S1F_T6_T7_T9_mT8_S1H_bDpT10_ENKUlT_T0_E_clISt17integral_constantIbLb1EES1V_EEDaS1Q_S1R_EUlS1Q_E_NS1_11comp_targetILNS1_3genE0ELNS1_11target_archE4294967295ELNS1_3gpuE0ELNS1_3repE0EEENS1_30default_config_static_selectorELNS0_4arch9wavefront6targetE0EEEvS13_
	.p2align	8
	.type	_ZN7rocprim17ROCPRIM_400000_NS6detail17trampoline_kernelINS0_13select_configILj256ELj13ELNS0_17block_load_methodE3ELS4_3ELS4_3ELNS0_20block_scan_algorithmE0ELj4294967295EEENS1_25partition_config_selectorILNS1_17partition_subalgoE4EjNS0_10empty_typeEbEEZZNS1_14partition_implILS8_4ELb0ES6_15HIP_vector_typeIjLj2EENS0_17counting_iteratorIjlEEPS9_SG_NS0_5tupleIJPjSI_NS0_16reverse_iteratorISI_EEEEENSH_IJSG_SG_SG_EEES9_SI_JZNS1_25segmented_radix_sort_implINS0_14default_configELb1EPK12hip_bfloat16PSP_PKlPlN2at6native12_GLOBAL__N_18offset_tEEE10hipError_tPvRmT1_PNSt15iterator_traitsIS13_E10value_typeET2_T3_PNS14_IS19_E10value_typeET4_jRbjT5_S1F_jjP12ihipStream_tbEUljE_ZNSN_ISO_Lb1ESR_SS_SU_SV_SZ_EES10_S11_S12_S13_S17_S18_S19_S1C_S1D_jS1E_jS1F_S1F_jjS1H_bEUljE0_EEES10_S11_S12_S19_S1D_S1F_T6_T7_T9_mT8_S1H_bDpT10_ENKUlT_T0_E_clISt17integral_constantIbLb1EES1V_EEDaS1Q_S1R_EUlS1Q_E_NS1_11comp_targetILNS1_3genE0ELNS1_11target_archE4294967295ELNS1_3gpuE0ELNS1_3repE0EEENS1_30default_config_static_selectorELNS0_4arch9wavefront6targetE0EEEvS13_,@function
_ZN7rocprim17ROCPRIM_400000_NS6detail17trampoline_kernelINS0_13select_configILj256ELj13ELNS0_17block_load_methodE3ELS4_3ELS4_3ELNS0_20block_scan_algorithmE0ELj4294967295EEENS1_25partition_config_selectorILNS1_17partition_subalgoE4EjNS0_10empty_typeEbEEZZNS1_14partition_implILS8_4ELb0ES6_15HIP_vector_typeIjLj2EENS0_17counting_iteratorIjlEEPS9_SG_NS0_5tupleIJPjSI_NS0_16reverse_iteratorISI_EEEEENSH_IJSG_SG_SG_EEES9_SI_JZNS1_25segmented_radix_sort_implINS0_14default_configELb1EPK12hip_bfloat16PSP_PKlPlN2at6native12_GLOBAL__N_18offset_tEEE10hipError_tPvRmT1_PNSt15iterator_traitsIS13_E10value_typeET2_T3_PNS14_IS19_E10value_typeET4_jRbjT5_S1F_jjP12ihipStream_tbEUljE_ZNSN_ISO_Lb1ESR_SS_SU_SV_SZ_EES10_S11_S12_S13_S17_S18_S19_S1C_S1D_jS1E_jS1F_S1F_jjS1H_bEUljE0_EEES10_S11_S12_S19_S1D_S1F_T6_T7_T9_mT8_S1H_bDpT10_ENKUlT_T0_E_clISt17integral_constantIbLb1EES1V_EEDaS1Q_S1R_EUlS1Q_E_NS1_11comp_targetILNS1_3genE0ELNS1_11target_archE4294967295ELNS1_3gpuE0ELNS1_3repE0EEENS1_30default_config_static_selectorELNS0_4arch9wavefront6targetE0EEEvS13_: ; @_ZN7rocprim17ROCPRIM_400000_NS6detail17trampoline_kernelINS0_13select_configILj256ELj13ELNS0_17block_load_methodE3ELS4_3ELS4_3ELNS0_20block_scan_algorithmE0ELj4294967295EEENS1_25partition_config_selectorILNS1_17partition_subalgoE4EjNS0_10empty_typeEbEEZZNS1_14partition_implILS8_4ELb0ES6_15HIP_vector_typeIjLj2EENS0_17counting_iteratorIjlEEPS9_SG_NS0_5tupleIJPjSI_NS0_16reverse_iteratorISI_EEEEENSH_IJSG_SG_SG_EEES9_SI_JZNS1_25segmented_radix_sort_implINS0_14default_configELb1EPK12hip_bfloat16PSP_PKlPlN2at6native12_GLOBAL__N_18offset_tEEE10hipError_tPvRmT1_PNSt15iterator_traitsIS13_E10value_typeET2_T3_PNS14_IS19_E10value_typeET4_jRbjT5_S1F_jjP12ihipStream_tbEUljE_ZNSN_ISO_Lb1ESR_SS_SU_SV_SZ_EES10_S11_S12_S13_S17_S18_S19_S1C_S1D_jS1E_jS1F_S1F_jjS1H_bEUljE0_EEES10_S11_S12_S19_S1D_S1F_T6_T7_T9_mT8_S1H_bDpT10_ENKUlT_T0_E_clISt17integral_constantIbLb1EES1V_EEDaS1Q_S1R_EUlS1Q_E_NS1_11comp_targetILNS1_3genE0ELNS1_11target_archE4294967295ELNS1_3gpuE0ELNS1_3repE0EEENS1_30default_config_static_selectorELNS0_4arch9wavefront6targetE0EEEvS13_
; %bb.0:
	.section	.rodata,"a",@progbits
	.p2align	6, 0x0
	.amdhsa_kernel _ZN7rocprim17ROCPRIM_400000_NS6detail17trampoline_kernelINS0_13select_configILj256ELj13ELNS0_17block_load_methodE3ELS4_3ELS4_3ELNS0_20block_scan_algorithmE0ELj4294967295EEENS1_25partition_config_selectorILNS1_17partition_subalgoE4EjNS0_10empty_typeEbEEZZNS1_14partition_implILS8_4ELb0ES6_15HIP_vector_typeIjLj2EENS0_17counting_iteratorIjlEEPS9_SG_NS0_5tupleIJPjSI_NS0_16reverse_iteratorISI_EEEEENSH_IJSG_SG_SG_EEES9_SI_JZNS1_25segmented_radix_sort_implINS0_14default_configELb1EPK12hip_bfloat16PSP_PKlPlN2at6native12_GLOBAL__N_18offset_tEEE10hipError_tPvRmT1_PNSt15iterator_traitsIS13_E10value_typeET2_T3_PNS14_IS19_E10value_typeET4_jRbjT5_S1F_jjP12ihipStream_tbEUljE_ZNSN_ISO_Lb1ESR_SS_SU_SV_SZ_EES10_S11_S12_S13_S17_S18_S19_S1C_S1D_jS1E_jS1F_S1F_jjS1H_bEUljE0_EEES10_S11_S12_S19_S1D_S1F_T6_T7_T9_mT8_S1H_bDpT10_ENKUlT_T0_E_clISt17integral_constantIbLb1EES1V_EEDaS1Q_S1R_EUlS1Q_E_NS1_11comp_targetILNS1_3genE0ELNS1_11target_archE4294967295ELNS1_3gpuE0ELNS1_3repE0EEENS1_30default_config_static_selectorELNS0_4arch9wavefront6targetE0EEEvS13_
		.amdhsa_group_segment_fixed_size 0
		.amdhsa_private_segment_fixed_size 0
		.amdhsa_kernarg_size 184
		.amdhsa_user_sgpr_count 2
		.amdhsa_user_sgpr_dispatch_ptr 0
		.amdhsa_user_sgpr_queue_ptr 0
		.amdhsa_user_sgpr_kernarg_segment_ptr 1
		.amdhsa_user_sgpr_dispatch_id 0
		.amdhsa_user_sgpr_private_segment_size 0
		.amdhsa_wavefront_size32 1
		.amdhsa_uses_dynamic_stack 0
		.amdhsa_enable_private_segment 0
		.amdhsa_system_sgpr_workgroup_id_x 1
		.amdhsa_system_sgpr_workgroup_id_y 0
		.amdhsa_system_sgpr_workgroup_id_z 0
		.amdhsa_system_sgpr_workgroup_info 0
		.amdhsa_system_vgpr_workitem_id 0
		.amdhsa_next_free_vgpr 1
		.amdhsa_next_free_sgpr 1
		.amdhsa_reserve_vcc 0
		.amdhsa_float_round_mode_32 0
		.amdhsa_float_round_mode_16_64 0
		.amdhsa_float_denorm_mode_32 3
		.amdhsa_float_denorm_mode_16_64 3
		.amdhsa_fp16_overflow 0
		.amdhsa_workgroup_processor_mode 1
		.amdhsa_memory_ordered 1
		.amdhsa_forward_progress 1
		.amdhsa_inst_pref_size 0
		.amdhsa_round_robin_scheduling 0
		.amdhsa_exception_fp_ieee_invalid_op 0
		.amdhsa_exception_fp_denorm_src 0
		.amdhsa_exception_fp_ieee_div_zero 0
		.amdhsa_exception_fp_ieee_overflow 0
		.amdhsa_exception_fp_ieee_underflow 0
		.amdhsa_exception_fp_ieee_inexact 0
		.amdhsa_exception_int_div_zero 0
	.end_amdhsa_kernel
	.section	.text._ZN7rocprim17ROCPRIM_400000_NS6detail17trampoline_kernelINS0_13select_configILj256ELj13ELNS0_17block_load_methodE3ELS4_3ELS4_3ELNS0_20block_scan_algorithmE0ELj4294967295EEENS1_25partition_config_selectorILNS1_17partition_subalgoE4EjNS0_10empty_typeEbEEZZNS1_14partition_implILS8_4ELb0ES6_15HIP_vector_typeIjLj2EENS0_17counting_iteratorIjlEEPS9_SG_NS0_5tupleIJPjSI_NS0_16reverse_iteratorISI_EEEEENSH_IJSG_SG_SG_EEES9_SI_JZNS1_25segmented_radix_sort_implINS0_14default_configELb1EPK12hip_bfloat16PSP_PKlPlN2at6native12_GLOBAL__N_18offset_tEEE10hipError_tPvRmT1_PNSt15iterator_traitsIS13_E10value_typeET2_T3_PNS14_IS19_E10value_typeET4_jRbjT5_S1F_jjP12ihipStream_tbEUljE_ZNSN_ISO_Lb1ESR_SS_SU_SV_SZ_EES10_S11_S12_S13_S17_S18_S19_S1C_S1D_jS1E_jS1F_S1F_jjS1H_bEUljE0_EEES10_S11_S12_S19_S1D_S1F_T6_T7_T9_mT8_S1H_bDpT10_ENKUlT_T0_E_clISt17integral_constantIbLb1EES1V_EEDaS1Q_S1R_EUlS1Q_E_NS1_11comp_targetILNS1_3genE0ELNS1_11target_archE4294967295ELNS1_3gpuE0ELNS1_3repE0EEENS1_30default_config_static_selectorELNS0_4arch9wavefront6targetE0EEEvS13_,"axG",@progbits,_ZN7rocprim17ROCPRIM_400000_NS6detail17trampoline_kernelINS0_13select_configILj256ELj13ELNS0_17block_load_methodE3ELS4_3ELS4_3ELNS0_20block_scan_algorithmE0ELj4294967295EEENS1_25partition_config_selectorILNS1_17partition_subalgoE4EjNS0_10empty_typeEbEEZZNS1_14partition_implILS8_4ELb0ES6_15HIP_vector_typeIjLj2EENS0_17counting_iteratorIjlEEPS9_SG_NS0_5tupleIJPjSI_NS0_16reverse_iteratorISI_EEEEENSH_IJSG_SG_SG_EEES9_SI_JZNS1_25segmented_radix_sort_implINS0_14default_configELb1EPK12hip_bfloat16PSP_PKlPlN2at6native12_GLOBAL__N_18offset_tEEE10hipError_tPvRmT1_PNSt15iterator_traitsIS13_E10value_typeET2_T3_PNS14_IS19_E10value_typeET4_jRbjT5_S1F_jjP12ihipStream_tbEUljE_ZNSN_ISO_Lb1ESR_SS_SU_SV_SZ_EES10_S11_S12_S13_S17_S18_S19_S1C_S1D_jS1E_jS1F_S1F_jjS1H_bEUljE0_EEES10_S11_S12_S19_S1D_S1F_T6_T7_T9_mT8_S1H_bDpT10_ENKUlT_T0_E_clISt17integral_constantIbLb1EES1V_EEDaS1Q_S1R_EUlS1Q_E_NS1_11comp_targetILNS1_3genE0ELNS1_11target_archE4294967295ELNS1_3gpuE0ELNS1_3repE0EEENS1_30default_config_static_selectorELNS0_4arch9wavefront6targetE0EEEvS13_,comdat
.Lfunc_end1890:
	.size	_ZN7rocprim17ROCPRIM_400000_NS6detail17trampoline_kernelINS0_13select_configILj256ELj13ELNS0_17block_load_methodE3ELS4_3ELS4_3ELNS0_20block_scan_algorithmE0ELj4294967295EEENS1_25partition_config_selectorILNS1_17partition_subalgoE4EjNS0_10empty_typeEbEEZZNS1_14partition_implILS8_4ELb0ES6_15HIP_vector_typeIjLj2EENS0_17counting_iteratorIjlEEPS9_SG_NS0_5tupleIJPjSI_NS0_16reverse_iteratorISI_EEEEENSH_IJSG_SG_SG_EEES9_SI_JZNS1_25segmented_radix_sort_implINS0_14default_configELb1EPK12hip_bfloat16PSP_PKlPlN2at6native12_GLOBAL__N_18offset_tEEE10hipError_tPvRmT1_PNSt15iterator_traitsIS13_E10value_typeET2_T3_PNS14_IS19_E10value_typeET4_jRbjT5_S1F_jjP12ihipStream_tbEUljE_ZNSN_ISO_Lb1ESR_SS_SU_SV_SZ_EES10_S11_S12_S13_S17_S18_S19_S1C_S1D_jS1E_jS1F_S1F_jjS1H_bEUljE0_EEES10_S11_S12_S19_S1D_S1F_T6_T7_T9_mT8_S1H_bDpT10_ENKUlT_T0_E_clISt17integral_constantIbLb1EES1V_EEDaS1Q_S1R_EUlS1Q_E_NS1_11comp_targetILNS1_3genE0ELNS1_11target_archE4294967295ELNS1_3gpuE0ELNS1_3repE0EEENS1_30default_config_static_selectorELNS0_4arch9wavefront6targetE0EEEvS13_, .Lfunc_end1890-_ZN7rocprim17ROCPRIM_400000_NS6detail17trampoline_kernelINS0_13select_configILj256ELj13ELNS0_17block_load_methodE3ELS4_3ELS4_3ELNS0_20block_scan_algorithmE0ELj4294967295EEENS1_25partition_config_selectorILNS1_17partition_subalgoE4EjNS0_10empty_typeEbEEZZNS1_14partition_implILS8_4ELb0ES6_15HIP_vector_typeIjLj2EENS0_17counting_iteratorIjlEEPS9_SG_NS0_5tupleIJPjSI_NS0_16reverse_iteratorISI_EEEEENSH_IJSG_SG_SG_EEES9_SI_JZNS1_25segmented_radix_sort_implINS0_14default_configELb1EPK12hip_bfloat16PSP_PKlPlN2at6native12_GLOBAL__N_18offset_tEEE10hipError_tPvRmT1_PNSt15iterator_traitsIS13_E10value_typeET2_T3_PNS14_IS19_E10value_typeET4_jRbjT5_S1F_jjP12ihipStream_tbEUljE_ZNSN_ISO_Lb1ESR_SS_SU_SV_SZ_EES10_S11_S12_S13_S17_S18_S19_S1C_S1D_jS1E_jS1F_S1F_jjS1H_bEUljE0_EEES10_S11_S12_S19_S1D_S1F_T6_T7_T9_mT8_S1H_bDpT10_ENKUlT_T0_E_clISt17integral_constantIbLb1EES1V_EEDaS1Q_S1R_EUlS1Q_E_NS1_11comp_targetILNS1_3genE0ELNS1_11target_archE4294967295ELNS1_3gpuE0ELNS1_3repE0EEENS1_30default_config_static_selectorELNS0_4arch9wavefront6targetE0EEEvS13_
                                        ; -- End function
	.set _ZN7rocprim17ROCPRIM_400000_NS6detail17trampoline_kernelINS0_13select_configILj256ELj13ELNS0_17block_load_methodE3ELS4_3ELS4_3ELNS0_20block_scan_algorithmE0ELj4294967295EEENS1_25partition_config_selectorILNS1_17partition_subalgoE4EjNS0_10empty_typeEbEEZZNS1_14partition_implILS8_4ELb0ES6_15HIP_vector_typeIjLj2EENS0_17counting_iteratorIjlEEPS9_SG_NS0_5tupleIJPjSI_NS0_16reverse_iteratorISI_EEEEENSH_IJSG_SG_SG_EEES9_SI_JZNS1_25segmented_radix_sort_implINS0_14default_configELb1EPK12hip_bfloat16PSP_PKlPlN2at6native12_GLOBAL__N_18offset_tEEE10hipError_tPvRmT1_PNSt15iterator_traitsIS13_E10value_typeET2_T3_PNS14_IS19_E10value_typeET4_jRbjT5_S1F_jjP12ihipStream_tbEUljE_ZNSN_ISO_Lb1ESR_SS_SU_SV_SZ_EES10_S11_S12_S13_S17_S18_S19_S1C_S1D_jS1E_jS1F_S1F_jjS1H_bEUljE0_EEES10_S11_S12_S19_S1D_S1F_T6_T7_T9_mT8_S1H_bDpT10_ENKUlT_T0_E_clISt17integral_constantIbLb1EES1V_EEDaS1Q_S1R_EUlS1Q_E_NS1_11comp_targetILNS1_3genE0ELNS1_11target_archE4294967295ELNS1_3gpuE0ELNS1_3repE0EEENS1_30default_config_static_selectorELNS0_4arch9wavefront6targetE0EEEvS13_.num_vgpr, 0
	.set _ZN7rocprim17ROCPRIM_400000_NS6detail17trampoline_kernelINS0_13select_configILj256ELj13ELNS0_17block_load_methodE3ELS4_3ELS4_3ELNS0_20block_scan_algorithmE0ELj4294967295EEENS1_25partition_config_selectorILNS1_17partition_subalgoE4EjNS0_10empty_typeEbEEZZNS1_14partition_implILS8_4ELb0ES6_15HIP_vector_typeIjLj2EENS0_17counting_iteratorIjlEEPS9_SG_NS0_5tupleIJPjSI_NS0_16reverse_iteratorISI_EEEEENSH_IJSG_SG_SG_EEES9_SI_JZNS1_25segmented_radix_sort_implINS0_14default_configELb1EPK12hip_bfloat16PSP_PKlPlN2at6native12_GLOBAL__N_18offset_tEEE10hipError_tPvRmT1_PNSt15iterator_traitsIS13_E10value_typeET2_T3_PNS14_IS19_E10value_typeET4_jRbjT5_S1F_jjP12ihipStream_tbEUljE_ZNSN_ISO_Lb1ESR_SS_SU_SV_SZ_EES10_S11_S12_S13_S17_S18_S19_S1C_S1D_jS1E_jS1F_S1F_jjS1H_bEUljE0_EEES10_S11_S12_S19_S1D_S1F_T6_T7_T9_mT8_S1H_bDpT10_ENKUlT_T0_E_clISt17integral_constantIbLb1EES1V_EEDaS1Q_S1R_EUlS1Q_E_NS1_11comp_targetILNS1_3genE0ELNS1_11target_archE4294967295ELNS1_3gpuE0ELNS1_3repE0EEENS1_30default_config_static_selectorELNS0_4arch9wavefront6targetE0EEEvS13_.num_agpr, 0
	.set _ZN7rocprim17ROCPRIM_400000_NS6detail17trampoline_kernelINS0_13select_configILj256ELj13ELNS0_17block_load_methodE3ELS4_3ELS4_3ELNS0_20block_scan_algorithmE0ELj4294967295EEENS1_25partition_config_selectorILNS1_17partition_subalgoE4EjNS0_10empty_typeEbEEZZNS1_14partition_implILS8_4ELb0ES6_15HIP_vector_typeIjLj2EENS0_17counting_iteratorIjlEEPS9_SG_NS0_5tupleIJPjSI_NS0_16reverse_iteratorISI_EEEEENSH_IJSG_SG_SG_EEES9_SI_JZNS1_25segmented_radix_sort_implINS0_14default_configELb1EPK12hip_bfloat16PSP_PKlPlN2at6native12_GLOBAL__N_18offset_tEEE10hipError_tPvRmT1_PNSt15iterator_traitsIS13_E10value_typeET2_T3_PNS14_IS19_E10value_typeET4_jRbjT5_S1F_jjP12ihipStream_tbEUljE_ZNSN_ISO_Lb1ESR_SS_SU_SV_SZ_EES10_S11_S12_S13_S17_S18_S19_S1C_S1D_jS1E_jS1F_S1F_jjS1H_bEUljE0_EEES10_S11_S12_S19_S1D_S1F_T6_T7_T9_mT8_S1H_bDpT10_ENKUlT_T0_E_clISt17integral_constantIbLb1EES1V_EEDaS1Q_S1R_EUlS1Q_E_NS1_11comp_targetILNS1_3genE0ELNS1_11target_archE4294967295ELNS1_3gpuE0ELNS1_3repE0EEENS1_30default_config_static_selectorELNS0_4arch9wavefront6targetE0EEEvS13_.numbered_sgpr, 0
	.set _ZN7rocprim17ROCPRIM_400000_NS6detail17trampoline_kernelINS0_13select_configILj256ELj13ELNS0_17block_load_methodE3ELS4_3ELS4_3ELNS0_20block_scan_algorithmE0ELj4294967295EEENS1_25partition_config_selectorILNS1_17partition_subalgoE4EjNS0_10empty_typeEbEEZZNS1_14partition_implILS8_4ELb0ES6_15HIP_vector_typeIjLj2EENS0_17counting_iteratorIjlEEPS9_SG_NS0_5tupleIJPjSI_NS0_16reverse_iteratorISI_EEEEENSH_IJSG_SG_SG_EEES9_SI_JZNS1_25segmented_radix_sort_implINS0_14default_configELb1EPK12hip_bfloat16PSP_PKlPlN2at6native12_GLOBAL__N_18offset_tEEE10hipError_tPvRmT1_PNSt15iterator_traitsIS13_E10value_typeET2_T3_PNS14_IS19_E10value_typeET4_jRbjT5_S1F_jjP12ihipStream_tbEUljE_ZNSN_ISO_Lb1ESR_SS_SU_SV_SZ_EES10_S11_S12_S13_S17_S18_S19_S1C_S1D_jS1E_jS1F_S1F_jjS1H_bEUljE0_EEES10_S11_S12_S19_S1D_S1F_T6_T7_T9_mT8_S1H_bDpT10_ENKUlT_T0_E_clISt17integral_constantIbLb1EES1V_EEDaS1Q_S1R_EUlS1Q_E_NS1_11comp_targetILNS1_3genE0ELNS1_11target_archE4294967295ELNS1_3gpuE0ELNS1_3repE0EEENS1_30default_config_static_selectorELNS0_4arch9wavefront6targetE0EEEvS13_.num_named_barrier, 0
	.set _ZN7rocprim17ROCPRIM_400000_NS6detail17trampoline_kernelINS0_13select_configILj256ELj13ELNS0_17block_load_methodE3ELS4_3ELS4_3ELNS0_20block_scan_algorithmE0ELj4294967295EEENS1_25partition_config_selectorILNS1_17partition_subalgoE4EjNS0_10empty_typeEbEEZZNS1_14partition_implILS8_4ELb0ES6_15HIP_vector_typeIjLj2EENS0_17counting_iteratorIjlEEPS9_SG_NS0_5tupleIJPjSI_NS0_16reverse_iteratorISI_EEEEENSH_IJSG_SG_SG_EEES9_SI_JZNS1_25segmented_radix_sort_implINS0_14default_configELb1EPK12hip_bfloat16PSP_PKlPlN2at6native12_GLOBAL__N_18offset_tEEE10hipError_tPvRmT1_PNSt15iterator_traitsIS13_E10value_typeET2_T3_PNS14_IS19_E10value_typeET4_jRbjT5_S1F_jjP12ihipStream_tbEUljE_ZNSN_ISO_Lb1ESR_SS_SU_SV_SZ_EES10_S11_S12_S13_S17_S18_S19_S1C_S1D_jS1E_jS1F_S1F_jjS1H_bEUljE0_EEES10_S11_S12_S19_S1D_S1F_T6_T7_T9_mT8_S1H_bDpT10_ENKUlT_T0_E_clISt17integral_constantIbLb1EES1V_EEDaS1Q_S1R_EUlS1Q_E_NS1_11comp_targetILNS1_3genE0ELNS1_11target_archE4294967295ELNS1_3gpuE0ELNS1_3repE0EEENS1_30default_config_static_selectorELNS0_4arch9wavefront6targetE0EEEvS13_.private_seg_size, 0
	.set _ZN7rocprim17ROCPRIM_400000_NS6detail17trampoline_kernelINS0_13select_configILj256ELj13ELNS0_17block_load_methodE3ELS4_3ELS4_3ELNS0_20block_scan_algorithmE0ELj4294967295EEENS1_25partition_config_selectorILNS1_17partition_subalgoE4EjNS0_10empty_typeEbEEZZNS1_14partition_implILS8_4ELb0ES6_15HIP_vector_typeIjLj2EENS0_17counting_iteratorIjlEEPS9_SG_NS0_5tupleIJPjSI_NS0_16reverse_iteratorISI_EEEEENSH_IJSG_SG_SG_EEES9_SI_JZNS1_25segmented_radix_sort_implINS0_14default_configELb1EPK12hip_bfloat16PSP_PKlPlN2at6native12_GLOBAL__N_18offset_tEEE10hipError_tPvRmT1_PNSt15iterator_traitsIS13_E10value_typeET2_T3_PNS14_IS19_E10value_typeET4_jRbjT5_S1F_jjP12ihipStream_tbEUljE_ZNSN_ISO_Lb1ESR_SS_SU_SV_SZ_EES10_S11_S12_S13_S17_S18_S19_S1C_S1D_jS1E_jS1F_S1F_jjS1H_bEUljE0_EEES10_S11_S12_S19_S1D_S1F_T6_T7_T9_mT8_S1H_bDpT10_ENKUlT_T0_E_clISt17integral_constantIbLb1EES1V_EEDaS1Q_S1R_EUlS1Q_E_NS1_11comp_targetILNS1_3genE0ELNS1_11target_archE4294967295ELNS1_3gpuE0ELNS1_3repE0EEENS1_30default_config_static_selectorELNS0_4arch9wavefront6targetE0EEEvS13_.uses_vcc, 0
	.set _ZN7rocprim17ROCPRIM_400000_NS6detail17trampoline_kernelINS0_13select_configILj256ELj13ELNS0_17block_load_methodE3ELS4_3ELS4_3ELNS0_20block_scan_algorithmE0ELj4294967295EEENS1_25partition_config_selectorILNS1_17partition_subalgoE4EjNS0_10empty_typeEbEEZZNS1_14partition_implILS8_4ELb0ES6_15HIP_vector_typeIjLj2EENS0_17counting_iteratorIjlEEPS9_SG_NS0_5tupleIJPjSI_NS0_16reverse_iteratorISI_EEEEENSH_IJSG_SG_SG_EEES9_SI_JZNS1_25segmented_radix_sort_implINS0_14default_configELb1EPK12hip_bfloat16PSP_PKlPlN2at6native12_GLOBAL__N_18offset_tEEE10hipError_tPvRmT1_PNSt15iterator_traitsIS13_E10value_typeET2_T3_PNS14_IS19_E10value_typeET4_jRbjT5_S1F_jjP12ihipStream_tbEUljE_ZNSN_ISO_Lb1ESR_SS_SU_SV_SZ_EES10_S11_S12_S13_S17_S18_S19_S1C_S1D_jS1E_jS1F_S1F_jjS1H_bEUljE0_EEES10_S11_S12_S19_S1D_S1F_T6_T7_T9_mT8_S1H_bDpT10_ENKUlT_T0_E_clISt17integral_constantIbLb1EES1V_EEDaS1Q_S1R_EUlS1Q_E_NS1_11comp_targetILNS1_3genE0ELNS1_11target_archE4294967295ELNS1_3gpuE0ELNS1_3repE0EEENS1_30default_config_static_selectorELNS0_4arch9wavefront6targetE0EEEvS13_.uses_flat_scratch, 0
	.set _ZN7rocprim17ROCPRIM_400000_NS6detail17trampoline_kernelINS0_13select_configILj256ELj13ELNS0_17block_load_methodE3ELS4_3ELS4_3ELNS0_20block_scan_algorithmE0ELj4294967295EEENS1_25partition_config_selectorILNS1_17partition_subalgoE4EjNS0_10empty_typeEbEEZZNS1_14partition_implILS8_4ELb0ES6_15HIP_vector_typeIjLj2EENS0_17counting_iteratorIjlEEPS9_SG_NS0_5tupleIJPjSI_NS0_16reverse_iteratorISI_EEEEENSH_IJSG_SG_SG_EEES9_SI_JZNS1_25segmented_radix_sort_implINS0_14default_configELb1EPK12hip_bfloat16PSP_PKlPlN2at6native12_GLOBAL__N_18offset_tEEE10hipError_tPvRmT1_PNSt15iterator_traitsIS13_E10value_typeET2_T3_PNS14_IS19_E10value_typeET4_jRbjT5_S1F_jjP12ihipStream_tbEUljE_ZNSN_ISO_Lb1ESR_SS_SU_SV_SZ_EES10_S11_S12_S13_S17_S18_S19_S1C_S1D_jS1E_jS1F_S1F_jjS1H_bEUljE0_EEES10_S11_S12_S19_S1D_S1F_T6_T7_T9_mT8_S1H_bDpT10_ENKUlT_T0_E_clISt17integral_constantIbLb1EES1V_EEDaS1Q_S1R_EUlS1Q_E_NS1_11comp_targetILNS1_3genE0ELNS1_11target_archE4294967295ELNS1_3gpuE0ELNS1_3repE0EEENS1_30default_config_static_selectorELNS0_4arch9wavefront6targetE0EEEvS13_.has_dyn_sized_stack, 0
	.set _ZN7rocprim17ROCPRIM_400000_NS6detail17trampoline_kernelINS0_13select_configILj256ELj13ELNS0_17block_load_methodE3ELS4_3ELS4_3ELNS0_20block_scan_algorithmE0ELj4294967295EEENS1_25partition_config_selectorILNS1_17partition_subalgoE4EjNS0_10empty_typeEbEEZZNS1_14partition_implILS8_4ELb0ES6_15HIP_vector_typeIjLj2EENS0_17counting_iteratorIjlEEPS9_SG_NS0_5tupleIJPjSI_NS0_16reverse_iteratorISI_EEEEENSH_IJSG_SG_SG_EEES9_SI_JZNS1_25segmented_radix_sort_implINS0_14default_configELb1EPK12hip_bfloat16PSP_PKlPlN2at6native12_GLOBAL__N_18offset_tEEE10hipError_tPvRmT1_PNSt15iterator_traitsIS13_E10value_typeET2_T3_PNS14_IS19_E10value_typeET4_jRbjT5_S1F_jjP12ihipStream_tbEUljE_ZNSN_ISO_Lb1ESR_SS_SU_SV_SZ_EES10_S11_S12_S13_S17_S18_S19_S1C_S1D_jS1E_jS1F_S1F_jjS1H_bEUljE0_EEES10_S11_S12_S19_S1D_S1F_T6_T7_T9_mT8_S1H_bDpT10_ENKUlT_T0_E_clISt17integral_constantIbLb1EES1V_EEDaS1Q_S1R_EUlS1Q_E_NS1_11comp_targetILNS1_3genE0ELNS1_11target_archE4294967295ELNS1_3gpuE0ELNS1_3repE0EEENS1_30default_config_static_selectorELNS0_4arch9wavefront6targetE0EEEvS13_.has_recursion, 0
	.set _ZN7rocprim17ROCPRIM_400000_NS6detail17trampoline_kernelINS0_13select_configILj256ELj13ELNS0_17block_load_methodE3ELS4_3ELS4_3ELNS0_20block_scan_algorithmE0ELj4294967295EEENS1_25partition_config_selectorILNS1_17partition_subalgoE4EjNS0_10empty_typeEbEEZZNS1_14partition_implILS8_4ELb0ES6_15HIP_vector_typeIjLj2EENS0_17counting_iteratorIjlEEPS9_SG_NS0_5tupleIJPjSI_NS0_16reverse_iteratorISI_EEEEENSH_IJSG_SG_SG_EEES9_SI_JZNS1_25segmented_radix_sort_implINS0_14default_configELb1EPK12hip_bfloat16PSP_PKlPlN2at6native12_GLOBAL__N_18offset_tEEE10hipError_tPvRmT1_PNSt15iterator_traitsIS13_E10value_typeET2_T3_PNS14_IS19_E10value_typeET4_jRbjT5_S1F_jjP12ihipStream_tbEUljE_ZNSN_ISO_Lb1ESR_SS_SU_SV_SZ_EES10_S11_S12_S13_S17_S18_S19_S1C_S1D_jS1E_jS1F_S1F_jjS1H_bEUljE0_EEES10_S11_S12_S19_S1D_S1F_T6_T7_T9_mT8_S1H_bDpT10_ENKUlT_T0_E_clISt17integral_constantIbLb1EES1V_EEDaS1Q_S1R_EUlS1Q_E_NS1_11comp_targetILNS1_3genE0ELNS1_11target_archE4294967295ELNS1_3gpuE0ELNS1_3repE0EEENS1_30default_config_static_selectorELNS0_4arch9wavefront6targetE0EEEvS13_.has_indirect_call, 0
	.section	.AMDGPU.csdata,"",@progbits
; Kernel info:
; codeLenInByte = 0
; TotalNumSgprs: 0
; NumVgprs: 0
; ScratchSize: 0
; MemoryBound: 0
; FloatMode: 240
; IeeeMode: 1
; LDSByteSize: 0 bytes/workgroup (compile time only)
; SGPRBlocks: 0
; VGPRBlocks: 0
; NumSGPRsForWavesPerEU: 1
; NumVGPRsForWavesPerEU: 1
; Occupancy: 16
; WaveLimiterHint : 0
; COMPUTE_PGM_RSRC2:SCRATCH_EN: 0
; COMPUTE_PGM_RSRC2:USER_SGPR: 2
; COMPUTE_PGM_RSRC2:TRAP_HANDLER: 0
; COMPUTE_PGM_RSRC2:TGID_X_EN: 1
; COMPUTE_PGM_RSRC2:TGID_Y_EN: 0
; COMPUTE_PGM_RSRC2:TGID_Z_EN: 0
; COMPUTE_PGM_RSRC2:TIDIG_COMP_CNT: 0
	.section	.text._ZN7rocprim17ROCPRIM_400000_NS6detail17trampoline_kernelINS0_13select_configILj256ELj13ELNS0_17block_load_methodE3ELS4_3ELS4_3ELNS0_20block_scan_algorithmE0ELj4294967295EEENS1_25partition_config_selectorILNS1_17partition_subalgoE4EjNS0_10empty_typeEbEEZZNS1_14partition_implILS8_4ELb0ES6_15HIP_vector_typeIjLj2EENS0_17counting_iteratorIjlEEPS9_SG_NS0_5tupleIJPjSI_NS0_16reverse_iteratorISI_EEEEENSH_IJSG_SG_SG_EEES9_SI_JZNS1_25segmented_radix_sort_implINS0_14default_configELb1EPK12hip_bfloat16PSP_PKlPlN2at6native12_GLOBAL__N_18offset_tEEE10hipError_tPvRmT1_PNSt15iterator_traitsIS13_E10value_typeET2_T3_PNS14_IS19_E10value_typeET4_jRbjT5_S1F_jjP12ihipStream_tbEUljE_ZNSN_ISO_Lb1ESR_SS_SU_SV_SZ_EES10_S11_S12_S13_S17_S18_S19_S1C_S1D_jS1E_jS1F_S1F_jjS1H_bEUljE0_EEES10_S11_S12_S19_S1D_S1F_T6_T7_T9_mT8_S1H_bDpT10_ENKUlT_T0_E_clISt17integral_constantIbLb1EES1V_EEDaS1Q_S1R_EUlS1Q_E_NS1_11comp_targetILNS1_3genE5ELNS1_11target_archE942ELNS1_3gpuE9ELNS1_3repE0EEENS1_30default_config_static_selectorELNS0_4arch9wavefront6targetE0EEEvS13_,"axG",@progbits,_ZN7rocprim17ROCPRIM_400000_NS6detail17trampoline_kernelINS0_13select_configILj256ELj13ELNS0_17block_load_methodE3ELS4_3ELS4_3ELNS0_20block_scan_algorithmE0ELj4294967295EEENS1_25partition_config_selectorILNS1_17partition_subalgoE4EjNS0_10empty_typeEbEEZZNS1_14partition_implILS8_4ELb0ES6_15HIP_vector_typeIjLj2EENS0_17counting_iteratorIjlEEPS9_SG_NS0_5tupleIJPjSI_NS0_16reverse_iteratorISI_EEEEENSH_IJSG_SG_SG_EEES9_SI_JZNS1_25segmented_radix_sort_implINS0_14default_configELb1EPK12hip_bfloat16PSP_PKlPlN2at6native12_GLOBAL__N_18offset_tEEE10hipError_tPvRmT1_PNSt15iterator_traitsIS13_E10value_typeET2_T3_PNS14_IS19_E10value_typeET4_jRbjT5_S1F_jjP12ihipStream_tbEUljE_ZNSN_ISO_Lb1ESR_SS_SU_SV_SZ_EES10_S11_S12_S13_S17_S18_S19_S1C_S1D_jS1E_jS1F_S1F_jjS1H_bEUljE0_EEES10_S11_S12_S19_S1D_S1F_T6_T7_T9_mT8_S1H_bDpT10_ENKUlT_T0_E_clISt17integral_constantIbLb1EES1V_EEDaS1Q_S1R_EUlS1Q_E_NS1_11comp_targetILNS1_3genE5ELNS1_11target_archE942ELNS1_3gpuE9ELNS1_3repE0EEENS1_30default_config_static_selectorELNS0_4arch9wavefront6targetE0EEEvS13_,comdat
	.globl	_ZN7rocprim17ROCPRIM_400000_NS6detail17trampoline_kernelINS0_13select_configILj256ELj13ELNS0_17block_load_methodE3ELS4_3ELS4_3ELNS0_20block_scan_algorithmE0ELj4294967295EEENS1_25partition_config_selectorILNS1_17partition_subalgoE4EjNS0_10empty_typeEbEEZZNS1_14partition_implILS8_4ELb0ES6_15HIP_vector_typeIjLj2EENS0_17counting_iteratorIjlEEPS9_SG_NS0_5tupleIJPjSI_NS0_16reverse_iteratorISI_EEEEENSH_IJSG_SG_SG_EEES9_SI_JZNS1_25segmented_radix_sort_implINS0_14default_configELb1EPK12hip_bfloat16PSP_PKlPlN2at6native12_GLOBAL__N_18offset_tEEE10hipError_tPvRmT1_PNSt15iterator_traitsIS13_E10value_typeET2_T3_PNS14_IS19_E10value_typeET4_jRbjT5_S1F_jjP12ihipStream_tbEUljE_ZNSN_ISO_Lb1ESR_SS_SU_SV_SZ_EES10_S11_S12_S13_S17_S18_S19_S1C_S1D_jS1E_jS1F_S1F_jjS1H_bEUljE0_EEES10_S11_S12_S19_S1D_S1F_T6_T7_T9_mT8_S1H_bDpT10_ENKUlT_T0_E_clISt17integral_constantIbLb1EES1V_EEDaS1Q_S1R_EUlS1Q_E_NS1_11comp_targetILNS1_3genE5ELNS1_11target_archE942ELNS1_3gpuE9ELNS1_3repE0EEENS1_30default_config_static_selectorELNS0_4arch9wavefront6targetE0EEEvS13_ ; -- Begin function _ZN7rocprim17ROCPRIM_400000_NS6detail17trampoline_kernelINS0_13select_configILj256ELj13ELNS0_17block_load_methodE3ELS4_3ELS4_3ELNS0_20block_scan_algorithmE0ELj4294967295EEENS1_25partition_config_selectorILNS1_17partition_subalgoE4EjNS0_10empty_typeEbEEZZNS1_14partition_implILS8_4ELb0ES6_15HIP_vector_typeIjLj2EENS0_17counting_iteratorIjlEEPS9_SG_NS0_5tupleIJPjSI_NS0_16reverse_iteratorISI_EEEEENSH_IJSG_SG_SG_EEES9_SI_JZNS1_25segmented_radix_sort_implINS0_14default_configELb1EPK12hip_bfloat16PSP_PKlPlN2at6native12_GLOBAL__N_18offset_tEEE10hipError_tPvRmT1_PNSt15iterator_traitsIS13_E10value_typeET2_T3_PNS14_IS19_E10value_typeET4_jRbjT5_S1F_jjP12ihipStream_tbEUljE_ZNSN_ISO_Lb1ESR_SS_SU_SV_SZ_EES10_S11_S12_S13_S17_S18_S19_S1C_S1D_jS1E_jS1F_S1F_jjS1H_bEUljE0_EEES10_S11_S12_S19_S1D_S1F_T6_T7_T9_mT8_S1H_bDpT10_ENKUlT_T0_E_clISt17integral_constantIbLb1EES1V_EEDaS1Q_S1R_EUlS1Q_E_NS1_11comp_targetILNS1_3genE5ELNS1_11target_archE942ELNS1_3gpuE9ELNS1_3repE0EEENS1_30default_config_static_selectorELNS0_4arch9wavefront6targetE0EEEvS13_
	.p2align	8
	.type	_ZN7rocprim17ROCPRIM_400000_NS6detail17trampoline_kernelINS0_13select_configILj256ELj13ELNS0_17block_load_methodE3ELS4_3ELS4_3ELNS0_20block_scan_algorithmE0ELj4294967295EEENS1_25partition_config_selectorILNS1_17partition_subalgoE4EjNS0_10empty_typeEbEEZZNS1_14partition_implILS8_4ELb0ES6_15HIP_vector_typeIjLj2EENS0_17counting_iteratorIjlEEPS9_SG_NS0_5tupleIJPjSI_NS0_16reverse_iteratorISI_EEEEENSH_IJSG_SG_SG_EEES9_SI_JZNS1_25segmented_radix_sort_implINS0_14default_configELb1EPK12hip_bfloat16PSP_PKlPlN2at6native12_GLOBAL__N_18offset_tEEE10hipError_tPvRmT1_PNSt15iterator_traitsIS13_E10value_typeET2_T3_PNS14_IS19_E10value_typeET4_jRbjT5_S1F_jjP12ihipStream_tbEUljE_ZNSN_ISO_Lb1ESR_SS_SU_SV_SZ_EES10_S11_S12_S13_S17_S18_S19_S1C_S1D_jS1E_jS1F_S1F_jjS1H_bEUljE0_EEES10_S11_S12_S19_S1D_S1F_T6_T7_T9_mT8_S1H_bDpT10_ENKUlT_T0_E_clISt17integral_constantIbLb1EES1V_EEDaS1Q_S1R_EUlS1Q_E_NS1_11comp_targetILNS1_3genE5ELNS1_11target_archE942ELNS1_3gpuE9ELNS1_3repE0EEENS1_30default_config_static_selectorELNS0_4arch9wavefront6targetE0EEEvS13_,@function
_ZN7rocprim17ROCPRIM_400000_NS6detail17trampoline_kernelINS0_13select_configILj256ELj13ELNS0_17block_load_methodE3ELS4_3ELS4_3ELNS0_20block_scan_algorithmE0ELj4294967295EEENS1_25partition_config_selectorILNS1_17partition_subalgoE4EjNS0_10empty_typeEbEEZZNS1_14partition_implILS8_4ELb0ES6_15HIP_vector_typeIjLj2EENS0_17counting_iteratorIjlEEPS9_SG_NS0_5tupleIJPjSI_NS0_16reverse_iteratorISI_EEEEENSH_IJSG_SG_SG_EEES9_SI_JZNS1_25segmented_radix_sort_implINS0_14default_configELb1EPK12hip_bfloat16PSP_PKlPlN2at6native12_GLOBAL__N_18offset_tEEE10hipError_tPvRmT1_PNSt15iterator_traitsIS13_E10value_typeET2_T3_PNS14_IS19_E10value_typeET4_jRbjT5_S1F_jjP12ihipStream_tbEUljE_ZNSN_ISO_Lb1ESR_SS_SU_SV_SZ_EES10_S11_S12_S13_S17_S18_S19_S1C_S1D_jS1E_jS1F_S1F_jjS1H_bEUljE0_EEES10_S11_S12_S19_S1D_S1F_T6_T7_T9_mT8_S1H_bDpT10_ENKUlT_T0_E_clISt17integral_constantIbLb1EES1V_EEDaS1Q_S1R_EUlS1Q_E_NS1_11comp_targetILNS1_3genE5ELNS1_11target_archE942ELNS1_3gpuE9ELNS1_3repE0EEENS1_30default_config_static_selectorELNS0_4arch9wavefront6targetE0EEEvS13_: ; @_ZN7rocprim17ROCPRIM_400000_NS6detail17trampoline_kernelINS0_13select_configILj256ELj13ELNS0_17block_load_methodE3ELS4_3ELS4_3ELNS0_20block_scan_algorithmE0ELj4294967295EEENS1_25partition_config_selectorILNS1_17partition_subalgoE4EjNS0_10empty_typeEbEEZZNS1_14partition_implILS8_4ELb0ES6_15HIP_vector_typeIjLj2EENS0_17counting_iteratorIjlEEPS9_SG_NS0_5tupleIJPjSI_NS0_16reverse_iteratorISI_EEEEENSH_IJSG_SG_SG_EEES9_SI_JZNS1_25segmented_radix_sort_implINS0_14default_configELb1EPK12hip_bfloat16PSP_PKlPlN2at6native12_GLOBAL__N_18offset_tEEE10hipError_tPvRmT1_PNSt15iterator_traitsIS13_E10value_typeET2_T3_PNS14_IS19_E10value_typeET4_jRbjT5_S1F_jjP12ihipStream_tbEUljE_ZNSN_ISO_Lb1ESR_SS_SU_SV_SZ_EES10_S11_S12_S13_S17_S18_S19_S1C_S1D_jS1E_jS1F_S1F_jjS1H_bEUljE0_EEES10_S11_S12_S19_S1D_S1F_T6_T7_T9_mT8_S1H_bDpT10_ENKUlT_T0_E_clISt17integral_constantIbLb1EES1V_EEDaS1Q_S1R_EUlS1Q_E_NS1_11comp_targetILNS1_3genE5ELNS1_11target_archE942ELNS1_3gpuE9ELNS1_3repE0EEENS1_30default_config_static_selectorELNS0_4arch9wavefront6targetE0EEEvS13_
; %bb.0:
	.section	.rodata,"a",@progbits
	.p2align	6, 0x0
	.amdhsa_kernel _ZN7rocprim17ROCPRIM_400000_NS6detail17trampoline_kernelINS0_13select_configILj256ELj13ELNS0_17block_load_methodE3ELS4_3ELS4_3ELNS0_20block_scan_algorithmE0ELj4294967295EEENS1_25partition_config_selectorILNS1_17partition_subalgoE4EjNS0_10empty_typeEbEEZZNS1_14partition_implILS8_4ELb0ES6_15HIP_vector_typeIjLj2EENS0_17counting_iteratorIjlEEPS9_SG_NS0_5tupleIJPjSI_NS0_16reverse_iteratorISI_EEEEENSH_IJSG_SG_SG_EEES9_SI_JZNS1_25segmented_radix_sort_implINS0_14default_configELb1EPK12hip_bfloat16PSP_PKlPlN2at6native12_GLOBAL__N_18offset_tEEE10hipError_tPvRmT1_PNSt15iterator_traitsIS13_E10value_typeET2_T3_PNS14_IS19_E10value_typeET4_jRbjT5_S1F_jjP12ihipStream_tbEUljE_ZNSN_ISO_Lb1ESR_SS_SU_SV_SZ_EES10_S11_S12_S13_S17_S18_S19_S1C_S1D_jS1E_jS1F_S1F_jjS1H_bEUljE0_EEES10_S11_S12_S19_S1D_S1F_T6_T7_T9_mT8_S1H_bDpT10_ENKUlT_T0_E_clISt17integral_constantIbLb1EES1V_EEDaS1Q_S1R_EUlS1Q_E_NS1_11comp_targetILNS1_3genE5ELNS1_11target_archE942ELNS1_3gpuE9ELNS1_3repE0EEENS1_30default_config_static_selectorELNS0_4arch9wavefront6targetE0EEEvS13_
		.amdhsa_group_segment_fixed_size 0
		.amdhsa_private_segment_fixed_size 0
		.amdhsa_kernarg_size 184
		.amdhsa_user_sgpr_count 2
		.amdhsa_user_sgpr_dispatch_ptr 0
		.amdhsa_user_sgpr_queue_ptr 0
		.amdhsa_user_sgpr_kernarg_segment_ptr 1
		.amdhsa_user_sgpr_dispatch_id 0
		.amdhsa_user_sgpr_private_segment_size 0
		.amdhsa_wavefront_size32 1
		.amdhsa_uses_dynamic_stack 0
		.amdhsa_enable_private_segment 0
		.amdhsa_system_sgpr_workgroup_id_x 1
		.amdhsa_system_sgpr_workgroup_id_y 0
		.amdhsa_system_sgpr_workgroup_id_z 0
		.amdhsa_system_sgpr_workgroup_info 0
		.amdhsa_system_vgpr_workitem_id 0
		.amdhsa_next_free_vgpr 1
		.amdhsa_next_free_sgpr 1
		.amdhsa_reserve_vcc 0
		.amdhsa_float_round_mode_32 0
		.amdhsa_float_round_mode_16_64 0
		.amdhsa_float_denorm_mode_32 3
		.amdhsa_float_denorm_mode_16_64 3
		.amdhsa_fp16_overflow 0
		.amdhsa_workgroup_processor_mode 1
		.amdhsa_memory_ordered 1
		.amdhsa_forward_progress 1
		.amdhsa_inst_pref_size 0
		.amdhsa_round_robin_scheduling 0
		.amdhsa_exception_fp_ieee_invalid_op 0
		.amdhsa_exception_fp_denorm_src 0
		.amdhsa_exception_fp_ieee_div_zero 0
		.amdhsa_exception_fp_ieee_overflow 0
		.amdhsa_exception_fp_ieee_underflow 0
		.amdhsa_exception_fp_ieee_inexact 0
		.amdhsa_exception_int_div_zero 0
	.end_amdhsa_kernel
	.section	.text._ZN7rocprim17ROCPRIM_400000_NS6detail17trampoline_kernelINS0_13select_configILj256ELj13ELNS0_17block_load_methodE3ELS4_3ELS4_3ELNS0_20block_scan_algorithmE0ELj4294967295EEENS1_25partition_config_selectorILNS1_17partition_subalgoE4EjNS0_10empty_typeEbEEZZNS1_14partition_implILS8_4ELb0ES6_15HIP_vector_typeIjLj2EENS0_17counting_iteratorIjlEEPS9_SG_NS0_5tupleIJPjSI_NS0_16reverse_iteratorISI_EEEEENSH_IJSG_SG_SG_EEES9_SI_JZNS1_25segmented_radix_sort_implINS0_14default_configELb1EPK12hip_bfloat16PSP_PKlPlN2at6native12_GLOBAL__N_18offset_tEEE10hipError_tPvRmT1_PNSt15iterator_traitsIS13_E10value_typeET2_T3_PNS14_IS19_E10value_typeET4_jRbjT5_S1F_jjP12ihipStream_tbEUljE_ZNSN_ISO_Lb1ESR_SS_SU_SV_SZ_EES10_S11_S12_S13_S17_S18_S19_S1C_S1D_jS1E_jS1F_S1F_jjS1H_bEUljE0_EEES10_S11_S12_S19_S1D_S1F_T6_T7_T9_mT8_S1H_bDpT10_ENKUlT_T0_E_clISt17integral_constantIbLb1EES1V_EEDaS1Q_S1R_EUlS1Q_E_NS1_11comp_targetILNS1_3genE5ELNS1_11target_archE942ELNS1_3gpuE9ELNS1_3repE0EEENS1_30default_config_static_selectorELNS0_4arch9wavefront6targetE0EEEvS13_,"axG",@progbits,_ZN7rocprim17ROCPRIM_400000_NS6detail17trampoline_kernelINS0_13select_configILj256ELj13ELNS0_17block_load_methodE3ELS4_3ELS4_3ELNS0_20block_scan_algorithmE0ELj4294967295EEENS1_25partition_config_selectorILNS1_17partition_subalgoE4EjNS0_10empty_typeEbEEZZNS1_14partition_implILS8_4ELb0ES6_15HIP_vector_typeIjLj2EENS0_17counting_iteratorIjlEEPS9_SG_NS0_5tupleIJPjSI_NS0_16reverse_iteratorISI_EEEEENSH_IJSG_SG_SG_EEES9_SI_JZNS1_25segmented_radix_sort_implINS0_14default_configELb1EPK12hip_bfloat16PSP_PKlPlN2at6native12_GLOBAL__N_18offset_tEEE10hipError_tPvRmT1_PNSt15iterator_traitsIS13_E10value_typeET2_T3_PNS14_IS19_E10value_typeET4_jRbjT5_S1F_jjP12ihipStream_tbEUljE_ZNSN_ISO_Lb1ESR_SS_SU_SV_SZ_EES10_S11_S12_S13_S17_S18_S19_S1C_S1D_jS1E_jS1F_S1F_jjS1H_bEUljE0_EEES10_S11_S12_S19_S1D_S1F_T6_T7_T9_mT8_S1H_bDpT10_ENKUlT_T0_E_clISt17integral_constantIbLb1EES1V_EEDaS1Q_S1R_EUlS1Q_E_NS1_11comp_targetILNS1_3genE5ELNS1_11target_archE942ELNS1_3gpuE9ELNS1_3repE0EEENS1_30default_config_static_selectorELNS0_4arch9wavefront6targetE0EEEvS13_,comdat
.Lfunc_end1891:
	.size	_ZN7rocprim17ROCPRIM_400000_NS6detail17trampoline_kernelINS0_13select_configILj256ELj13ELNS0_17block_load_methodE3ELS4_3ELS4_3ELNS0_20block_scan_algorithmE0ELj4294967295EEENS1_25partition_config_selectorILNS1_17partition_subalgoE4EjNS0_10empty_typeEbEEZZNS1_14partition_implILS8_4ELb0ES6_15HIP_vector_typeIjLj2EENS0_17counting_iteratorIjlEEPS9_SG_NS0_5tupleIJPjSI_NS0_16reverse_iteratorISI_EEEEENSH_IJSG_SG_SG_EEES9_SI_JZNS1_25segmented_radix_sort_implINS0_14default_configELb1EPK12hip_bfloat16PSP_PKlPlN2at6native12_GLOBAL__N_18offset_tEEE10hipError_tPvRmT1_PNSt15iterator_traitsIS13_E10value_typeET2_T3_PNS14_IS19_E10value_typeET4_jRbjT5_S1F_jjP12ihipStream_tbEUljE_ZNSN_ISO_Lb1ESR_SS_SU_SV_SZ_EES10_S11_S12_S13_S17_S18_S19_S1C_S1D_jS1E_jS1F_S1F_jjS1H_bEUljE0_EEES10_S11_S12_S19_S1D_S1F_T6_T7_T9_mT8_S1H_bDpT10_ENKUlT_T0_E_clISt17integral_constantIbLb1EES1V_EEDaS1Q_S1R_EUlS1Q_E_NS1_11comp_targetILNS1_3genE5ELNS1_11target_archE942ELNS1_3gpuE9ELNS1_3repE0EEENS1_30default_config_static_selectorELNS0_4arch9wavefront6targetE0EEEvS13_, .Lfunc_end1891-_ZN7rocprim17ROCPRIM_400000_NS6detail17trampoline_kernelINS0_13select_configILj256ELj13ELNS0_17block_load_methodE3ELS4_3ELS4_3ELNS0_20block_scan_algorithmE0ELj4294967295EEENS1_25partition_config_selectorILNS1_17partition_subalgoE4EjNS0_10empty_typeEbEEZZNS1_14partition_implILS8_4ELb0ES6_15HIP_vector_typeIjLj2EENS0_17counting_iteratorIjlEEPS9_SG_NS0_5tupleIJPjSI_NS0_16reverse_iteratorISI_EEEEENSH_IJSG_SG_SG_EEES9_SI_JZNS1_25segmented_radix_sort_implINS0_14default_configELb1EPK12hip_bfloat16PSP_PKlPlN2at6native12_GLOBAL__N_18offset_tEEE10hipError_tPvRmT1_PNSt15iterator_traitsIS13_E10value_typeET2_T3_PNS14_IS19_E10value_typeET4_jRbjT5_S1F_jjP12ihipStream_tbEUljE_ZNSN_ISO_Lb1ESR_SS_SU_SV_SZ_EES10_S11_S12_S13_S17_S18_S19_S1C_S1D_jS1E_jS1F_S1F_jjS1H_bEUljE0_EEES10_S11_S12_S19_S1D_S1F_T6_T7_T9_mT8_S1H_bDpT10_ENKUlT_T0_E_clISt17integral_constantIbLb1EES1V_EEDaS1Q_S1R_EUlS1Q_E_NS1_11comp_targetILNS1_3genE5ELNS1_11target_archE942ELNS1_3gpuE9ELNS1_3repE0EEENS1_30default_config_static_selectorELNS0_4arch9wavefront6targetE0EEEvS13_
                                        ; -- End function
	.set _ZN7rocprim17ROCPRIM_400000_NS6detail17trampoline_kernelINS0_13select_configILj256ELj13ELNS0_17block_load_methodE3ELS4_3ELS4_3ELNS0_20block_scan_algorithmE0ELj4294967295EEENS1_25partition_config_selectorILNS1_17partition_subalgoE4EjNS0_10empty_typeEbEEZZNS1_14partition_implILS8_4ELb0ES6_15HIP_vector_typeIjLj2EENS0_17counting_iteratorIjlEEPS9_SG_NS0_5tupleIJPjSI_NS0_16reverse_iteratorISI_EEEEENSH_IJSG_SG_SG_EEES9_SI_JZNS1_25segmented_radix_sort_implINS0_14default_configELb1EPK12hip_bfloat16PSP_PKlPlN2at6native12_GLOBAL__N_18offset_tEEE10hipError_tPvRmT1_PNSt15iterator_traitsIS13_E10value_typeET2_T3_PNS14_IS19_E10value_typeET4_jRbjT5_S1F_jjP12ihipStream_tbEUljE_ZNSN_ISO_Lb1ESR_SS_SU_SV_SZ_EES10_S11_S12_S13_S17_S18_S19_S1C_S1D_jS1E_jS1F_S1F_jjS1H_bEUljE0_EEES10_S11_S12_S19_S1D_S1F_T6_T7_T9_mT8_S1H_bDpT10_ENKUlT_T0_E_clISt17integral_constantIbLb1EES1V_EEDaS1Q_S1R_EUlS1Q_E_NS1_11comp_targetILNS1_3genE5ELNS1_11target_archE942ELNS1_3gpuE9ELNS1_3repE0EEENS1_30default_config_static_selectorELNS0_4arch9wavefront6targetE0EEEvS13_.num_vgpr, 0
	.set _ZN7rocprim17ROCPRIM_400000_NS6detail17trampoline_kernelINS0_13select_configILj256ELj13ELNS0_17block_load_methodE3ELS4_3ELS4_3ELNS0_20block_scan_algorithmE0ELj4294967295EEENS1_25partition_config_selectorILNS1_17partition_subalgoE4EjNS0_10empty_typeEbEEZZNS1_14partition_implILS8_4ELb0ES6_15HIP_vector_typeIjLj2EENS0_17counting_iteratorIjlEEPS9_SG_NS0_5tupleIJPjSI_NS0_16reverse_iteratorISI_EEEEENSH_IJSG_SG_SG_EEES9_SI_JZNS1_25segmented_radix_sort_implINS0_14default_configELb1EPK12hip_bfloat16PSP_PKlPlN2at6native12_GLOBAL__N_18offset_tEEE10hipError_tPvRmT1_PNSt15iterator_traitsIS13_E10value_typeET2_T3_PNS14_IS19_E10value_typeET4_jRbjT5_S1F_jjP12ihipStream_tbEUljE_ZNSN_ISO_Lb1ESR_SS_SU_SV_SZ_EES10_S11_S12_S13_S17_S18_S19_S1C_S1D_jS1E_jS1F_S1F_jjS1H_bEUljE0_EEES10_S11_S12_S19_S1D_S1F_T6_T7_T9_mT8_S1H_bDpT10_ENKUlT_T0_E_clISt17integral_constantIbLb1EES1V_EEDaS1Q_S1R_EUlS1Q_E_NS1_11comp_targetILNS1_3genE5ELNS1_11target_archE942ELNS1_3gpuE9ELNS1_3repE0EEENS1_30default_config_static_selectorELNS0_4arch9wavefront6targetE0EEEvS13_.num_agpr, 0
	.set _ZN7rocprim17ROCPRIM_400000_NS6detail17trampoline_kernelINS0_13select_configILj256ELj13ELNS0_17block_load_methodE3ELS4_3ELS4_3ELNS0_20block_scan_algorithmE0ELj4294967295EEENS1_25partition_config_selectorILNS1_17partition_subalgoE4EjNS0_10empty_typeEbEEZZNS1_14partition_implILS8_4ELb0ES6_15HIP_vector_typeIjLj2EENS0_17counting_iteratorIjlEEPS9_SG_NS0_5tupleIJPjSI_NS0_16reverse_iteratorISI_EEEEENSH_IJSG_SG_SG_EEES9_SI_JZNS1_25segmented_radix_sort_implINS0_14default_configELb1EPK12hip_bfloat16PSP_PKlPlN2at6native12_GLOBAL__N_18offset_tEEE10hipError_tPvRmT1_PNSt15iterator_traitsIS13_E10value_typeET2_T3_PNS14_IS19_E10value_typeET4_jRbjT5_S1F_jjP12ihipStream_tbEUljE_ZNSN_ISO_Lb1ESR_SS_SU_SV_SZ_EES10_S11_S12_S13_S17_S18_S19_S1C_S1D_jS1E_jS1F_S1F_jjS1H_bEUljE0_EEES10_S11_S12_S19_S1D_S1F_T6_T7_T9_mT8_S1H_bDpT10_ENKUlT_T0_E_clISt17integral_constantIbLb1EES1V_EEDaS1Q_S1R_EUlS1Q_E_NS1_11comp_targetILNS1_3genE5ELNS1_11target_archE942ELNS1_3gpuE9ELNS1_3repE0EEENS1_30default_config_static_selectorELNS0_4arch9wavefront6targetE0EEEvS13_.numbered_sgpr, 0
	.set _ZN7rocprim17ROCPRIM_400000_NS6detail17trampoline_kernelINS0_13select_configILj256ELj13ELNS0_17block_load_methodE3ELS4_3ELS4_3ELNS0_20block_scan_algorithmE0ELj4294967295EEENS1_25partition_config_selectorILNS1_17partition_subalgoE4EjNS0_10empty_typeEbEEZZNS1_14partition_implILS8_4ELb0ES6_15HIP_vector_typeIjLj2EENS0_17counting_iteratorIjlEEPS9_SG_NS0_5tupleIJPjSI_NS0_16reverse_iteratorISI_EEEEENSH_IJSG_SG_SG_EEES9_SI_JZNS1_25segmented_radix_sort_implINS0_14default_configELb1EPK12hip_bfloat16PSP_PKlPlN2at6native12_GLOBAL__N_18offset_tEEE10hipError_tPvRmT1_PNSt15iterator_traitsIS13_E10value_typeET2_T3_PNS14_IS19_E10value_typeET4_jRbjT5_S1F_jjP12ihipStream_tbEUljE_ZNSN_ISO_Lb1ESR_SS_SU_SV_SZ_EES10_S11_S12_S13_S17_S18_S19_S1C_S1D_jS1E_jS1F_S1F_jjS1H_bEUljE0_EEES10_S11_S12_S19_S1D_S1F_T6_T7_T9_mT8_S1H_bDpT10_ENKUlT_T0_E_clISt17integral_constantIbLb1EES1V_EEDaS1Q_S1R_EUlS1Q_E_NS1_11comp_targetILNS1_3genE5ELNS1_11target_archE942ELNS1_3gpuE9ELNS1_3repE0EEENS1_30default_config_static_selectorELNS0_4arch9wavefront6targetE0EEEvS13_.num_named_barrier, 0
	.set _ZN7rocprim17ROCPRIM_400000_NS6detail17trampoline_kernelINS0_13select_configILj256ELj13ELNS0_17block_load_methodE3ELS4_3ELS4_3ELNS0_20block_scan_algorithmE0ELj4294967295EEENS1_25partition_config_selectorILNS1_17partition_subalgoE4EjNS0_10empty_typeEbEEZZNS1_14partition_implILS8_4ELb0ES6_15HIP_vector_typeIjLj2EENS0_17counting_iteratorIjlEEPS9_SG_NS0_5tupleIJPjSI_NS0_16reverse_iteratorISI_EEEEENSH_IJSG_SG_SG_EEES9_SI_JZNS1_25segmented_radix_sort_implINS0_14default_configELb1EPK12hip_bfloat16PSP_PKlPlN2at6native12_GLOBAL__N_18offset_tEEE10hipError_tPvRmT1_PNSt15iterator_traitsIS13_E10value_typeET2_T3_PNS14_IS19_E10value_typeET4_jRbjT5_S1F_jjP12ihipStream_tbEUljE_ZNSN_ISO_Lb1ESR_SS_SU_SV_SZ_EES10_S11_S12_S13_S17_S18_S19_S1C_S1D_jS1E_jS1F_S1F_jjS1H_bEUljE0_EEES10_S11_S12_S19_S1D_S1F_T6_T7_T9_mT8_S1H_bDpT10_ENKUlT_T0_E_clISt17integral_constantIbLb1EES1V_EEDaS1Q_S1R_EUlS1Q_E_NS1_11comp_targetILNS1_3genE5ELNS1_11target_archE942ELNS1_3gpuE9ELNS1_3repE0EEENS1_30default_config_static_selectorELNS0_4arch9wavefront6targetE0EEEvS13_.private_seg_size, 0
	.set _ZN7rocprim17ROCPRIM_400000_NS6detail17trampoline_kernelINS0_13select_configILj256ELj13ELNS0_17block_load_methodE3ELS4_3ELS4_3ELNS0_20block_scan_algorithmE0ELj4294967295EEENS1_25partition_config_selectorILNS1_17partition_subalgoE4EjNS0_10empty_typeEbEEZZNS1_14partition_implILS8_4ELb0ES6_15HIP_vector_typeIjLj2EENS0_17counting_iteratorIjlEEPS9_SG_NS0_5tupleIJPjSI_NS0_16reverse_iteratorISI_EEEEENSH_IJSG_SG_SG_EEES9_SI_JZNS1_25segmented_radix_sort_implINS0_14default_configELb1EPK12hip_bfloat16PSP_PKlPlN2at6native12_GLOBAL__N_18offset_tEEE10hipError_tPvRmT1_PNSt15iterator_traitsIS13_E10value_typeET2_T3_PNS14_IS19_E10value_typeET4_jRbjT5_S1F_jjP12ihipStream_tbEUljE_ZNSN_ISO_Lb1ESR_SS_SU_SV_SZ_EES10_S11_S12_S13_S17_S18_S19_S1C_S1D_jS1E_jS1F_S1F_jjS1H_bEUljE0_EEES10_S11_S12_S19_S1D_S1F_T6_T7_T9_mT8_S1H_bDpT10_ENKUlT_T0_E_clISt17integral_constantIbLb1EES1V_EEDaS1Q_S1R_EUlS1Q_E_NS1_11comp_targetILNS1_3genE5ELNS1_11target_archE942ELNS1_3gpuE9ELNS1_3repE0EEENS1_30default_config_static_selectorELNS0_4arch9wavefront6targetE0EEEvS13_.uses_vcc, 0
	.set _ZN7rocprim17ROCPRIM_400000_NS6detail17trampoline_kernelINS0_13select_configILj256ELj13ELNS0_17block_load_methodE3ELS4_3ELS4_3ELNS0_20block_scan_algorithmE0ELj4294967295EEENS1_25partition_config_selectorILNS1_17partition_subalgoE4EjNS0_10empty_typeEbEEZZNS1_14partition_implILS8_4ELb0ES6_15HIP_vector_typeIjLj2EENS0_17counting_iteratorIjlEEPS9_SG_NS0_5tupleIJPjSI_NS0_16reverse_iteratorISI_EEEEENSH_IJSG_SG_SG_EEES9_SI_JZNS1_25segmented_radix_sort_implINS0_14default_configELb1EPK12hip_bfloat16PSP_PKlPlN2at6native12_GLOBAL__N_18offset_tEEE10hipError_tPvRmT1_PNSt15iterator_traitsIS13_E10value_typeET2_T3_PNS14_IS19_E10value_typeET4_jRbjT5_S1F_jjP12ihipStream_tbEUljE_ZNSN_ISO_Lb1ESR_SS_SU_SV_SZ_EES10_S11_S12_S13_S17_S18_S19_S1C_S1D_jS1E_jS1F_S1F_jjS1H_bEUljE0_EEES10_S11_S12_S19_S1D_S1F_T6_T7_T9_mT8_S1H_bDpT10_ENKUlT_T0_E_clISt17integral_constantIbLb1EES1V_EEDaS1Q_S1R_EUlS1Q_E_NS1_11comp_targetILNS1_3genE5ELNS1_11target_archE942ELNS1_3gpuE9ELNS1_3repE0EEENS1_30default_config_static_selectorELNS0_4arch9wavefront6targetE0EEEvS13_.uses_flat_scratch, 0
	.set _ZN7rocprim17ROCPRIM_400000_NS6detail17trampoline_kernelINS0_13select_configILj256ELj13ELNS0_17block_load_methodE3ELS4_3ELS4_3ELNS0_20block_scan_algorithmE0ELj4294967295EEENS1_25partition_config_selectorILNS1_17partition_subalgoE4EjNS0_10empty_typeEbEEZZNS1_14partition_implILS8_4ELb0ES6_15HIP_vector_typeIjLj2EENS0_17counting_iteratorIjlEEPS9_SG_NS0_5tupleIJPjSI_NS0_16reverse_iteratorISI_EEEEENSH_IJSG_SG_SG_EEES9_SI_JZNS1_25segmented_radix_sort_implINS0_14default_configELb1EPK12hip_bfloat16PSP_PKlPlN2at6native12_GLOBAL__N_18offset_tEEE10hipError_tPvRmT1_PNSt15iterator_traitsIS13_E10value_typeET2_T3_PNS14_IS19_E10value_typeET4_jRbjT5_S1F_jjP12ihipStream_tbEUljE_ZNSN_ISO_Lb1ESR_SS_SU_SV_SZ_EES10_S11_S12_S13_S17_S18_S19_S1C_S1D_jS1E_jS1F_S1F_jjS1H_bEUljE0_EEES10_S11_S12_S19_S1D_S1F_T6_T7_T9_mT8_S1H_bDpT10_ENKUlT_T0_E_clISt17integral_constantIbLb1EES1V_EEDaS1Q_S1R_EUlS1Q_E_NS1_11comp_targetILNS1_3genE5ELNS1_11target_archE942ELNS1_3gpuE9ELNS1_3repE0EEENS1_30default_config_static_selectorELNS0_4arch9wavefront6targetE0EEEvS13_.has_dyn_sized_stack, 0
	.set _ZN7rocprim17ROCPRIM_400000_NS6detail17trampoline_kernelINS0_13select_configILj256ELj13ELNS0_17block_load_methodE3ELS4_3ELS4_3ELNS0_20block_scan_algorithmE0ELj4294967295EEENS1_25partition_config_selectorILNS1_17partition_subalgoE4EjNS0_10empty_typeEbEEZZNS1_14partition_implILS8_4ELb0ES6_15HIP_vector_typeIjLj2EENS0_17counting_iteratorIjlEEPS9_SG_NS0_5tupleIJPjSI_NS0_16reverse_iteratorISI_EEEEENSH_IJSG_SG_SG_EEES9_SI_JZNS1_25segmented_radix_sort_implINS0_14default_configELb1EPK12hip_bfloat16PSP_PKlPlN2at6native12_GLOBAL__N_18offset_tEEE10hipError_tPvRmT1_PNSt15iterator_traitsIS13_E10value_typeET2_T3_PNS14_IS19_E10value_typeET4_jRbjT5_S1F_jjP12ihipStream_tbEUljE_ZNSN_ISO_Lb1ESR_SS_SU_SV_SZ_EES10_S11_S12_S13_S17_S18_S19_S1C_S1D_jS1E_jS1F_S1F_jjS1H_bEUljE0_EEES10_S11_S12_S19_S1D_S1F_T6_T7_T9_mT8_S1H_bDpT10_ENKUlT_T0_E_clISt17integral_constantIbLb1EES1V_EEDaS1Q_S1R_EUlS1Q_E_NS1_11comp_targetILNS1_3genE5ELNS1_11target_archE942ELNS1_3gpuE9ELNS1_3repE0EEENS1_30default_config_static_selectorELNS0_4arch9wavefront6targetE0EEEvS13_.has_recursion, 0
	.set _ZN7rocprim17ROCPRIM_400000_NS6detail17trampoline_kernelINS0_13select_configILj256ELj13ELNS0_17block_load_methodE3ELS4_3ELS4_3ELNS0_20block_scan_algorithmE0ELj4294967295EEENS1_25partition_config_selectorILNS1_17partition_subalgoE4EjNS0_10empty_typeEbEEZZNS1_14partition_implILS8_4ELb0ES6_15HIP_vector_typeIjLj2EENS0_17counting_iteratorIjlEEPS9_SG_NS0_5tupleIJPjSI_NS0_16reverse_iteratorISI_EEEEENSH_IJSG_SG_SG_EEES9_SI_JZNS1_25segmented_radix_sort_implINS0_14default_configELb1EPK12hip_bfloat16PSP_PKlPlN2at6native12_GLOBAL__N_18offset_tEEE10hipError_tPvRmT1_PNSt15iterator_traitsIS13_E10value_typeET2_T3_PNS14_IS19_E10value_typeET4_jRbjT5_S1F_jjP12ihipStream_tbEUljE_ZNSN_ISO_Lb1ESR_SS_SU_SV_SZ_EES10_S11_S12_S13_S17_S18_S19_S1C_S1D_jS1E_jS1F_S1F_jjS1H_bEUljE0_EEES10_S11_S12_S19_S1D_S1F_T6_T7_T9_mT8_S1H_bDpT10_ENKUlT_T0_E_clISt17integral_constantIbLb1EES1V_EEDaS1Q_S1R_EUlS1Q_E_NS1_11comp_targetILNS1_3genE5ELNS1_11target_archE942ELNS1_3gpuE9ELNS1_3repE0EEENS1_30default_config_static_selectorELNS0_4arch9wavefront6targetE0EEEvS13_.has_indirect_call, 0
	.section	.AMDGPU.csdata,"",@progbits
; Kernel info:
; codeLenInByte = 0
; TotalNumSgprs: 0
; NumVgprs: 0
; ScratchSize: 0
; MemoryBound: 0
; FloatMode: 240
; IeeeMode: 1
; LDSByteSize: 0 bytes/workgroup (compile time only)
; SGPRBlocks: 0
; VGPRBlocks: 0
; NumSGPRsForWavesPerEU: 1
; NumVGPRsForWavesPerEU: 1
; Occupancy: 16
; WaveLimiterHint : 0
; COMPUTE_PGM_RSRC2:SCRATCH_EN: 0
; COMPUTE_PGM_RSRC2:USER_SGPR: 2
; COMPUTE_PGM_RSRC2:TRAP_HANDLER: 0
; COMPUTE_PGM_RSRC2:TGID_X_EN: 1
; COMPUTE_PGM_RSRC2:TGID_Y_EN: 0
; COMPUTE_PGM_RSRC2:TGID_Z_EN: 0
; COMPUTE_PGM_RSRC2:TIDIG_COMP_CNT: 0
	.section	.text._ZN7rocprim17ROCPRIM_400000_NS6detail17trampoline_kernelINS0_13select_configILj256ELj13ELNS0_17block_load_methodE3ELS4_3ELS4_3ELNS0_20block_scan_algorithmE0ELj4294967295EEENS1_25partition_config_selectorILNS1_17partition_subalgoE4EjNS0_10empty_typeEbEEZZNS1_14partition_implILS8_4ELb0ES6_15HIP_vector_typeIjLj2EENS0_17counting_iteratorIjlEEPS9_SG_NS0_5tupleIJPjSI_NS0_16reverse_iteratorISI_EEEEENSH_IJSG_SG_SG_EEES9_SI_JZNS1_25segmented_radix_sort_implINS0_14default_configELb1EPK12hip_bfloat16PSP_PKlPlN2at6native12_GLOBAL__N_18offset_tEEE10hipError_tPvRmT1_PNSt15iterator_traitsIS13_E10value_typeET2_T3_PNS14_IS19_E10value_typeET4_jRbjT5_S1F_jjP12ihipStream_tbEUljE_ZNSN_ISO_Lb1ESR_SS_SU_SV_SZ_EES10_S11_S12_S13_S17_S18_S19_S1C_S1D_jS1E_jS1F_S1F_jjS1H_bEUljE0_EEES10_S11_S12_S19_S1D_S1F_T6_T7_T9_mT8_S1H_bDpT10_ENKUlT_T0_E_clISt17integral_constantIbLb1EES1V_EEDaS1Q_S1R_EUlS1Q_E_NS1_11comp_targetILNS1_3genE4ELNS1_11target_archE910ELNS1_3gpuE8ELNS1_3repE0EEENS1_30default_config_static_selectorELNS0_4arch9wavefront6targetE0EEEvS13_,"axG",@progbits,_ZN7rocprim17ROCPRIM_400000_NS6detail17trampoline_kernelINS0_13select_configILj256ELj13ELNS0_17block_load_methodE3ELS4_3ELS4_3ELNS0_20block_scan_algorithmE0ELj4294967295EEENS1_25partition_config_selectorILNS1_17partition_subalgoE4EjNS0_10empty_typeEbEEZZNS1_14partition_implILS8_4ELb0ES6_15HIP_vector_typeIjLj2EENS0_17counting_iteratorIjlEEPS9_SG_NS0_5tupleIJPjSI_NS0_16reverse_iteratorISI_EEEEENSH_IJSG_SG_SG_EEES9_SI_JZNS1_25segmented_radix_sort_implINS0_14default_configELb1EPK12hip_bfloat16PSP_PKlPlN2at6native12_GLOBAL__N_18offset_tEEE10hipError_tPvRmT1_PNSt15iterator_traitsIS13_E10value_typeET2_T3_PNS14_IS19_E10value_typeET4_jRbjT5_S1F_jjP12ihipStream_tbEUljE_ZNSN_ISO_Lb1ESR_SS_SU_SV_SZ_EES10_S11_S12_S13_S17_S18_S19_S1C_S1D_jS1E_jS1F_S1F_jjS1H_bEUljE0_EEES10_S11_S12_S19_S1D_S1F_T6_T7_T9_mT8_S1H_bDpT10_ENKUlT_T0_E_clISt17integral_constantIbLb1EES1V_EEDaS1Q_S1R_EUlS1Q_E_NS1_11comp_targetILNS1_3genE4ELNS1_11target_archE910ELNS1_3gpuE8ELNS1_3repE0EEENS1_30default_config_static_selectorELNS0_4arch9wavefront6targetE0EEEvS13_,comdat
	.globl	_ZN7rocprim17ROCPRIM_400000_NS6detail17trampoline_kernelINS0_13select_configILj256ELj13ELNS0_17block_load_methodE3ELS4_3ELS4_3ELNS0_20block_scan_algorithmE0ELj4294967295EEENS1_25partition_config_selectorILNS1_17partition_subalgoE4EjNS0_10empty_typeEbEEZZNS1_14partition_implILS8_4ELb0ES6_15HIP_vector_typeIjLj2EENS0_17counting_iteratorIjlEEPS9_SG_NS0_5tupleIJPjSI_NS0_16reverse_iteratorISI_EEEEENSH_IJSG_SG_SG_EEES9_SI_JZNS1_25segmented_radix_sort_implINS0_14default_configELb1EPK12hip_bfloat16PSP_PKlPlN2at6native12_GLOBAL__N_18offset_tEEE10hipError_tPvRmT1_PNSt15iterator_traitsIS13_E10value_typeET2_T3_PNS14_IS19_E10value_typeET4_jRbjT5_S1F_jjP12ihipStream_tbEUljE_ZNSN_ISO_Lb1ESR_SS_SU_SV_SZ_EES10_S11_S12_S13_S17_S18_S19_S1C_S1D_jS1E_jS1F_S1F_jjS1H_bEUljE0_EEES10_S11_S12_S19_S1D_S1F_T6_T7_T9_mT8_S1H_bDpT10_ENKUlT_T0_E_clISt17integral_constantIbLb1EES1V_EEDaS1Q_S1R_EUlS1Q_E_NS1_11comp_targetILNS1_3genE4ELNS1_11target_archE910ELNS1_3gpuE8ELNS1_3repE0EEENS1_30default_config_static_selectorELNS0_4arch9wavefront6targetE0EEEvS13_ ; -- Begin function _ZN7rocprim17ROCPRIM_400000_NS6detail17trampoline_kernelINS0_13select_configILj256ELj13ELNS0_17block_load_methodE3ELS4_3ELS4_3ELNS0_20block_scan_algorithmE0ELj4294967295EEENS1_25partition_config_selectorILNS1_17partition_subalgoE4EjNS0_10empty_typeEbEEZZNS1_14partition_implILS8_4ELb0ES6_15HIP_vector_typeIjLj2EENS0_17counting_iteratorIjlEEPS9_SG_NS0_5tupleIJPjSI_NS0_16reverse_iteratorISI_EEEEENSH_IJSG_SG_SG_EEES9_SI_JZNS1_25segmented_radix_sort_implINS0_14default_configELb1EPK12hip_bfloat16PSP_PKlPlN2at6native12_GLOBAL__N_18offset_tEEE10hipError_tPvRmT1_PNSt15iterator_traitsIS13_E10value_typeET2_T3_PNS14_IS19_E10value_typeET4_jRbjT5_S1F_jjP12ihipStream_tbEUljE_ZNSN_ISO_Lb1ESR_SS_SU_SV_SZ_EES10_S11_S12_S13_S17_S18_S19_S1C_S1D_jS1E_jS1F_S1F_jjS1H_bEUljE0_EEES10_S11_S12_S19_S1D_S1F_T6_T7_T9_mT8_S1H_bDpT10_ENKUlT_T0_E_clISt17integral_constantIbLb1EES1V_EEDaS1Q_S1R_EUlS1Q_E_NS1_11comp_targetILNS1_3genE4ELNS1_11target_archE910ELNS1_3gpuE8ELNS1_3repE0EEENS1_30default_config_static_selectorELNS0_4arch9wavefront6targetE0EEEvS13_
	.p2align	8
	.type	_ZN7rocprim17ROCPRIM_400000_NS6detail17trampoline_kernelINS0_13select_configILj256ELj13ELNS0_17block_load_methodE3ELS4_3ELS4_3ELNS0_20block_scan_algorithmE0ELj4294967295EEENS1_25partition_config_selectorILNS1_17partition_subalgoE4EjNS0_10empty_typeEbEEZZNS1_14partition_implILS8_4ELb0ES6_15HIP_vector_typeIjLj2EENS0_17counting_iteratorIjlEEPS9_SG_NS0_5tupleIJPjSI_NS0_16reverse_iteratorISI_EEEEENSH_IJSG_SG_SG_EEES9_SI_JZNS1_25segmented_radix_sort_implINS0_14default_configELb1EPK12hip_bfloat16PSP_PKlPlN2at6native12_GLOBAL__N_18offset_tEEE10hipError_tPvRmT1_PNSt15iterator_traitsIS13_E10value_typeET2_T3_PNS14_IS19_E10value_typeET4_jRbjT5_S1F_jjP12ihipStream_tbEUljE_ZNSN_ISO_Lb1ESR_SS_SU_SV_SZ_EES10_S11_S12_S13_S17_S18_S19_S1C_S1D_jS1E_jS1F_S1F_jjS1H_bEUljE0_EEES10_S11_S12_S19_S1D_S1F_T6_T7_T9_mT8_S1H_bDpT10_ENKUlT_T0_E_clISt17integral_constantIbLb1EES1V_EEDaS1Q_S1R_EUlS1Q_E_NS1_11comp_targetILNS1_3genE4ELNS1_11target_archE910ELNS1_3gpuE8ELNS1_3repE0EEENS1_30default_config_static_selectorELNS0_4arch9wavefront6targetE0EEEvS13_,@function
_ZN7rocprim17ROCPRIM_400000_NS6detail17trampoline_kernelINS0_13select_configILj256ELj13ELNS0_17block_load_methodE3ELS4_3ELS4_3ELNS0_20block_scan_algorithmE0ELj4294967295EEENS1_25partition_config_selectorILNS1_17partition_subalgoE4EjNS0_10empty_typeEbEEZZNS1_14partition_implILS8_4ELb0ES6_15HIP_vector_typeIjLj2EENS0_17counting_iteratorIjlEEPS9_SG_NS0_5tupleIJPjSI_NS0_16reverse_iteratorISI_EEEEENSH_IJSG_SG_SG_EEES9_SI_JZNS1_25segmented_radix_sort_implINS0_14default_configELb1EPK12hip_bfloat16PSP_PKlPlN2at6native12_GLOBAL__N_18offset_tEEE10hipError_tPvRmT1_PNSt15iterator_traitsIS13_E10value_typeET2_T3_PNS14_IS19_E10value_typeET4_jRbjT5_S1F_jjP12ihipStream_tbEUljE_ZNSN_ISO_Lb1ESR_SS_SU_SV_SZ_EES10_S11_S12_S13_S17_S18_S19_S1C_S1D_jS1E_jS1F_S1F_jjS1H_bEUljE0_EEES10_S11_S12_S19_S1D_S1F_T6_T7_T9_mT8_S1H_bDpT10_ENKUlT_T0_E_clISt17integral_constantIbLb1EES1V_EEDaS1Q_S1R_EUlS1Q_E_NS1_11comp_targetILNS1_3genE4ELNS1_11target_archE910ELNS1_3gpuE8ELNS1_3repE0EEENS1_30default_config_static_selectorELNS0_4arch9wavefront6targetE0EEEvS13_: ; @_ZN7rocprim17ROCPRIM_400000_NS6detail17trampoline_kernelINS0_13select_configILj256ELj13ELNS0_17block_load_methodE3ELS4_3ELS4_3ELNS0_20block_scan_algorithmE0ELj4294967295EEENS1_25partition_config_selectorILNS1_17partition_subalgoE4EjNS0_10empty_typeEbEEZZNS1_14partition_implILS8_4ELb0ES6_15HIP_vector_typeIjLj2EENS0_17counting_iteratorIjlEEPS9_SG_NS0_5tupleIJPjSI_NS0_16reverse_iteratorISI_EEEEENSH_IJSG_SG_SG_EEES9_SI_JZNS1_25segmented_radix_sort_implINS0_14default_configELb1EPK12hip_bfloat16PSP_PKlPlN2at6native12_GLOBAL__N_18offset_tEEE10hipError_tPvRmT1_PNSt15iterator_traitsIS13_E10value_typeET2_T3_PNS14_IS19_E10value_typeET4_jRbjT5_S1F_jjP12ihipStream_tbEUljE_ZNSN_ISO_Lb1ESR_SS_SU_SV_SZ_EES10_S11_S12_S13_S17_S18_S19_S1C_S1D_jS1E_jS1F_S1F_jjS1H_bEUljE0_EEES10_S11_S12_S19_S1D_S1F_T6_T7_T9_mT8_S1H_bDpT10_ENKUlT_T0_E_clISt17integral_constantIbLb1EES1V_EEDaS1Q_S1R_EUlS1Q_E_NS1_11comp_targetILNS1_3genE4ELNS1_11target_archE910ELNS1_3gpuE8ELNS1_3repE0EEENS1_30default_config_static_selectorELNS0_4arch9wavefront6targetE0EEEvS13_
; %bb.0:
	.section	.rodata,"a",@progbits
	.p2align	6, 0x0
	.amdhsa_kernel _ZN7rocprim17ROCPRIM_400000_NS6detail17trampoline_kernelINS0_13select_configILj256ELj13ELNS0_17block_load_methodE3ELS4_3ELS4_3ELNS0_20block_scan_algorithmE0ELj4294967295EEENS1_25partition_config_selectorILNS1_17partition_subalgoE4EjNS0_10empty_typeEbEEZZNS1_14partition_implILS8_4ELb0ES6_15HIP_vector_typeIjLj2EENS0_17counting_iteratorIjlEEPS9_SG_NS0_5tupleIJPjSI_NS0_16reverse_iteratorISI_EEEEENSH_IJSG_SG_SG_EEES9_SI_JZNS1_25segmented_radix_sort_implINS0_14default_configELb1EPK12hip_bfloat16PSP_PKlPlN2at6native12_GLOBAL__N_18offset_tEEE10hipError_tPvRmT1_PNSt15iterator_traitsIS13_E10value_typeET2_T3_PNS14_IS19_E10value_typeET4_jRbjT5_S1F_jjP12ihipStream_tbEUljE_ZNSN_ISO_Lb1ESR_SS_SU_SV_SZ_EES10_S11_S12_S13_S17_S18_S19_S1C_S1D_jS1E_jS1F_S1F_jjS1H_bEUljE0_EEES10_S11_S12_S19_S1D_S1F_T6_T7_T9_mT8_S1H_bDpT10_ENKUlT_T0_E_clISt17integral_constantIbLb1EES1V_EEDaS1Q_S1R_EUlS1Q_E_NS1_11comp_targetILNS1_3genE4ELNS1_11target_archE910ELNS1_3gpuE8ELNS1_3repE0EEENS1_30default_config_static_selectorELNS0_4arch9wavefront6targetE0EEEvS13_
		.amdhsa_group_segment_fixed_size 0
		.amdhsa_private_segment_fixed_size 0
		.amdhsa_kernarg_size 184
		.amdhsa_user_sgpr_count 2
		.amdhsa_user_sgpr_dispatch_ptr 0
		.amdhsa_user_sgpr_queue_ptr 0
		.amdhsa_user_sgpr_kernarg_segment_ptr 1
		.amdhsa_user_sgpr_dispatch_id 0
		.amdhsa_user_sgpr_private_segment_size 0
		.amdhsa_wavefront_size32 1
		.amdhsa_uses_dynamic_stack 0
		.amdhsa_enable_private_segment 0
		.amdhsa_system_sgpr_workgroup_id_x 1
		.amdhsa_system_sgpr_workgroup_id_y 0
		.amdhsa_system_sgpr_workgroup_id_z 0
		.amdhsa_system_sgpr_workgroup_info 0
		.amdhsa_system_vgpr_workitem_id 0
		.amdhsa_next_free_vgpr 1
		.amdhsa_next_free_sgpr 1
		.amdhsa_reserve_vcc 0
		.amdhsa_float_round_mode_32 0
		.amdhsa_float_round_mode_16_64 0
		.amdhsa_float_denorm_mode_32 3
		.amdhsa_float_denorm_mode_16_64 3
		.amdhsa_fp16_overflow 0
		.amdhsa_workgroup_processor_mode 1
		.amdhsa_memory_ordered 1
		.amdhsa_forward_progress 1
		.amdhsa_inst_pref_size 0
		.amdhsa_round_robin_scheduling 0
		.amdhsa_exception_fp_ieee_invalid_op 0
		.amdhsa_exception_fp_denorm_src 0
		.amdhsa_exception_fp_ieee_div_zero 0
		.amdhsa_exception_fp_ieee_overflow 0
		.amdhsa_exception_fp_ieee_underflow 0
		.amdhsa_exception_fp_ieee_inexact 0
		.amdhsa_exception_int_div_zero 0
	.end_amdhsa_kernel
	.section	.text._ZN7rocprim17ROCPRIM_400000_NS6detail17trampoline_kernelINS0_13select_configILj256ELj13ELNS0_17block_load_methodE3ELS4_3ELS4_3ELNS0_20block_scan_algorithmE0ELj4294967295EEENS1_25partition_config_selectorILNS1_17partition_subalgoE4EjNS0_10empty_typeEbEEZZNS1_14partition_implILS8_4ELb0ES6_15HIP_vector_typeIjLj2EENS0_17counting_iteratorIjlEEPS9_SG_NS0_5tupleIJPjSI_NS0_16reverse_iteratorISI_EEEEENSH_IJSG_SG_SG_EEES9_SI_JZNS1_25segmented_radix_sort_implINS0_14default_configELb1EPK12hip_bfloat16PSP_PKlPlN2at6native12_GLOBAL__N_18offset_tEEE10hipError_tPvRmT1_PNSt15iterator_traitsIS13_E10value_typeET2_T3_PNS14_IS19_E10value_typeET4_jRbjT5_S1F_jjP12ihipStream_tbEUljE_ZNSN_ISO_Lb1ESR_SS_SU_SV_SZ_EES10_S11_S12_S13_S17_S18_S19_S1C_S1D_jS1E_jS1F_S1F_jjS1H_bEUljE0_EEES10_S11_S12_S19_S1D_S1F_T6_T7_T9_mT8_S1H_bDpT10_ENKUlT_T0_E_clISt17integral_constantIbLb1EES1V_EEDaS1Q_S1R_EUlS1Q_E_NS1_11comp_targetILNS1_3genE4ELNS1_11target_archE910ELNS1_3gpuE8ELNS1_3repE0EEENS1_30default_config_static_selectorELNS0_4arch9wavefront6targetE0EEEvS13_,"axG",@progbits,_ZN7rocprim17ROCPRIM_400000_NS6detail17trampoline_kernelINS0_13select_configILj256ELj13ELNS0_17block_load_methodE3ELS4_3ELS4_3ELNS0_20block_scan_algorithmE0ELj4294967295EEENS1_25partition_config_selectorILNS1_17partition_subalgoE4EjNS0_10empty_typeEbEEZZNS1_14partition_implILS8_4ELb0ES6_15HIP_vector_typeIjLj2EENS0_17counting_iteratorIjlEEPS9_SG_NS0_5tupleIJPjSI_NS0_16reverse_iteratorISI_EEEEENSH_IJSG_SG_SG_EEES9_SI_JZNS1_25segmented_radix_sort_implINS0_14default_configELb1EPK12hip_bfloat16PSP_PKlPlN2at6native12_GLOBAL__N_18offset_tEEE10hipError_tPvRmT1_PNSt15iterator_traitsIS13_E10value_typeET2_T3_PNS14_IS19_E10value_typeET4_jRbjT5_S1F_jjP12ihipStream_tbEUljE_ZNSN_ISO_Lb1ESR_SS_SU_SV_SZ_EES10_S11_S12_S13_S17_S18_S19_S1C_S1D_jS1E_jS1F_S1F_jjS1H_bEUljE0_EEES10_S11_S12_S19_S1D_S1F_T6_T7_T9_mT8_S1H_bDpT10_ENKUlT_T0_E_clISt17integral_constantIbLb1EES1V_EEDaS1Q_S1R_EUlS1Q_E_NS1_11comp_targetILNS1_3genE4ELNS1_11target_archE910ELNS1_3gpuE8ELNS1_3repE0EEENS1_30default_config_static_selectorELNS0_4arch9wavefront6targetE0EEEvS13_,comdat
.Lfunc_end1892:
	.size	_ZN7rocprim17ROCPRIM_400000_NS6detail17trampoline_kernelINS0_13select_configILj256ELj13ELNS0_17block_load_methodE3ELS4_3ELS4_3ELNS0_20block_scan_algorithmE0ELj4294967295EEENS1_25partition_config_selectorILNS1_17partition_subalgoE4EjNS0_10empty_typeEbEEZZNS1_14partition_implILS8_4ELb0ES6_15HIP_vector_typeIjLj2EENS0_17counting_iteratorIjlEEPS9_SG_NS0_5tupleIJPjSI_NS0_16reverse_iteratorISI_EEEEENSH_IJSG_SG_SG_EEES9_SI_JZNS1_25segmented_radix_sort_implINS0_14default_configELb1EPK12hip_bfloat16PSP_PKlPlN2at6native12_GLOBAL__N_18offset_tEEE10hipError_tPvRmT1_PNSt15iterator_traitsIS13_E10value_typeET2_T3_PNS14_IS19_E10value_typeET4_jRbjT5_S1F_jjP12ihipStream_tbEUljE_ZNSN_ISO_Lb1ESR_SS_SU_SV_SZ_EES10_S11_S12_S13_S17_S18_S19_S1C_S1D_jS1E_jS1F_S1F_jjS1H_bEUljE0_EEES10_S11_S12_S19_S1D_S1F_T6_T7_T9_mT8_S1H_bDpT10_ENKUlT_T0_E_clISt17integral_constantIbLb1EES1V_EEDaS1Q_S1R_EUlS1Q_E_NS1_11comp_targetILNS1_3genE4ELNS1_11target_archE910ELNS1_3gpuE8ELNS1_3repE0EEENS1_30default_config_static_selectorELNS0_4arch9wavefront6targetE0EEEvS13_, .Lfunc_end1892-_ZN7rocprim17ROCPRIM_400000_NS6detail17trampoline_kernelINS0_13select_configILj256ELj13ELNS0_17block_load_methodE3ELS4_3ELS4_3ELNS0_20block_scan_algorithmE0ELj4294967295EEENS1_25partition_config_selectorILNS1_17partition_subalgoE4EjNS0_10empty_typeEbEEZZNS1_14partition_implILS8_4ELb0ES6_15HIP_vector_typeIjLj2EENS0_17counting_iteratorIjlEEPS9_SG_NS0_5tupleIJPjSI_NS0_16reverse_iteratorISI_EEEEENSH_IJSG_SG_SG_EEES9_SI_JZNS1_25segmented_radix_sort_implINS0_14default_configELb1EPK12hip_bfloat16PSP_PKlPlN2at6native12_GLOBAL__N_18offset_tEEE10hipError_tPvRmT1_PNSt15iterator_traitsIS13_E10value_typeET2_T3_PNS14_IS19_E10value_typeET4_jRbjT5_S1F_jjP12ihipStream_tbEUljE_ZNSN_ISO_Lb1ESR_SS_SU_SV_SZ_EES10_S11_S12_S13_S17_S18_S19_S1C_S1D_jS1E_jS1F_S1F_jjS1H_bEUljE0_EEES10_S11_S12_S19_S1D_S1F_T6_T7_T9_mT8_S1H_bDpT10_ENKUlT_T0_E_clISt17integral_constantIbLb1EES1V_EEDaS1Q_S1R_EUlS1Q_E_NS1_11comp_targetILNS1_3genE4ELNS1_11target_archE910ELNS1_3gpuE8ELNS1_3repE0EEENS1_30default_config_static_selectorELNS0_4arch9wavefront6targetE0EEEvS13_
                                        ; -- End function
	.set _ZN7rocprim17ROCPRIM_400000_NS6detail17trampoline_kernelINS0_13select_configILj256ELj13ELNS0_17block_load_methodE3ELS4_3ELS4_3ELNS0_20block_scan_algorithmE0ELj4294967295EEENS1_25partition_config_selectorILNS1_17partition_subalgoE4EjNS0_10empty_typeEbEEZZNS1_14partition_implILS8_4ELb0ES6_15HIP_vector_typeIjLj2EENS0_17counting_iteratorIjlEEPS9_SG_NS0_5tupleIJPjSI_NS0_16reverse_iteratorISI_EEEEENSH_IJSG_SG_SG_EEES9_SI_JZNS1_25segmented_radix_sort_implINS0_14default_configELb1EPK12hip_bfloat16PSP_PKlPlN2at6native12_GLOBAL__N_18offset_tEEE10hipError_tPvRmT1_PNSt15iterator_traitsIS13_E10value_typeET2_T3_PNS14_IS19_E10value_typeET4_jRbjT5_S1F_jjP12ihipStream_tbEUljE_ZNSN_ISO_Lb1ESR_SS_SU_SV_SZ_EES10_S11_S12_S13_S17_S18_S19_S1C_S1D_jS1E_jS1F_S1F_jjS1H_bEUljE0_EEES10_S11_S12_S19_S1D_S1F_T6_T7_T9_mT8_S1H_bDpT10_ENKUlT_T0_E_clISt17integral_constantIbLb1EES1V_EEDaS1Q_S1R_EUlS1Q_E_NS1_11comp_targetILNS1_3genE4ELNS1_11target_archE910ELNS1_3gpuE8ELNS1_3repE0EEENS1_30default_config_static_selectorELNS0_4arch9wavefront6targetE0EEEvS13_.num_vgpr, 0
	.set _ZN7rocprim17ROCPRIM_400000_NS6detail17trampoline_kernelINS0_13select_configILj256ELj13ELNS0_17block_load_methodE3ELS4_3ELS4_3ELNS0_20block_scan_algorithmE0ELj4294967295EEENS1_25partition_config_selectorILNS1_17partition_subalgoE4EjNS0_10empty_typeEbEEZZNS1_14partition_implILS8_4ELb0ES6_15HIP_vector_typeIjLj2EENS0_17counting_iteratorIjlEEPS9_SG_NS0_5tupleIJPjSI_NS0_16reverse_iteratorISI_EEEEENSH_IJSG_SG_SG_EEES9_SI_JZNS1_25segmented_radix_sort_implINS0_14default_configELb1EPK12hip_bfloat16PSP_PKlPlN2at6native12_GLOBAL__N_18offset_tEEE10hipError_tPvRmT1_PNSt15iterator_traitsIS13_E10value_typeET2_T3_PNS14_IS19_E10value_typeET4_jRbjT5_S1F_jjP12ihipStream_tbEUljE_ZNSN_ISO_Lb1ESR_SS_SU_SV_SZ_EES10_S11_S12_S13_S17_S18_S19_S1C_S1D_jS1E_jS1F_S1F_jjS1H_bEUljE0_EEES10_S11_S12_S19_S1D_S1F_T6_T7_T9_mT8_S1H_bDpT10_ENKUlT_T0_E_clISt17integral_constantIbLb1EES1V_EEDaS1Q_S1R_EUlS1Q_E_NS1_11comp_targetILNS1_3genE4ELNS1_11target_archE910ELNS1_3gpuE8ELNS1_3repE0EEENS1_30default_config_static_selectorELNS0_4arch9wavefront6targetE0EEEvS13_.num_agpr, 0
	.set _ZN7rocprim17ROCPRIM_400000_NS6detail17trampoline_kernelINS0_13select_configILj256ELj13ELNS0_17block_load_methodE3ELS4_3ELS4_3ELNS0_20block_scan_algorithmE0ELj4294967295EEENS1_25partition_config_selectorILNS1_17partition_subalgoE4EjNS0_10empty_typeEbEEZZNS1_14partition_implILS8_4ELb0ES6_15HIP_vector_typeIjLj2EENS0_17counting_iteratorIjlEEPS9_SG_NS0_5tupleIJPjSI_NS0_16reverse_iteratorISI_EEEEENSH_IJSG_SG_SG_EEES9_SI_JZNS1_25segmented_radix_sort_implINS0_14default_configELb1EPK12hip_bfloat16PSP_PKlPlN2at6native12_GLOBAL__N_18offset_tEEE10hipError_tPvRmT1_PNSt15iterator_traitsIS13_E10value_typeET2_T3_PNS14_IS19_E10value_typeET4_jRbjT5_S1F_jjP12ihipStream_tbEUljE_ZNSN_ISO_Lb1ESR_SS_SU_SV_SZ_EES10_S11_S12_S13_S17_S18_S19_S1C_S1D_jS1E_jS1F_S1F_jjS1H_bEUljE0_EEES10_S11_S12_S19_S1D_S1F_T6_T7_T9_mT8_S1H_bDpT10_ENKUlT_T0_E_clISt17integral_constantIbLb1EES1V_EEDaS1Q_S1R_EUlS1Q_E_NS1_11comp_targetILNS1_3genE4ELNS1_11target_archE910ELNS1_3gpuE8ELNS1_3repE0EEENS1_30default_config_static_selectorELNS0_4arch9wavefront6targetE0EEEvS13_.numbered_sgpr, 0
	.set _ZN7rocprim17ROCPRIM_400000_NS6detail17trampoline_kernelINS0_13select_configILj256ELj13ELNS0_17block_load_methodE3ELS4_3ELS4_3ELNS0_20block_scan_algorithmE0ELj4294967295EEENS1_25partition_config_selectorILNS1_17partition_subalgoE4EjNS0_10empty_typeEbEEZZNS1_14partition_implILS8_4ELb0ES6_15HIP_vector_typeIjLj2EENS0_17counting_iteratorIjlEEPS9_SG_NS0_5tupleIJPjSI_NS0_16reverse_iteratorISI_EEEEENSH_IJSG_SG_SG_EEES9_SI_JZNS1_25segmented_radix_sort_implINS0_14default_configELb1EPK12hip_bfloat16PSP_PKlPlN2at6native12_GLOBAL__N_18offset_tEEE10hipError_tPvRmT1_PNSt15iterator_traitsIS13_E10value_typeET2_T3_PNS14_IS19_E10value_typeET4_jRbjT5_S1F_jjP12ihipStream_tbEUljE_ZNSN_ISO_Lb1ESR_SS_SU_SV_SZ_EES10_S11_S12_S13_S17_S18_S19_S1C_S1D_jS1E_jS1F_S1F_jjS1H_bEUljE0_EEES10_S11_S12_S19_S1D_S1F_T6_T7_T9_mT8_S1H_bDpT10_ENKUlT_T0_E_clISt17integral_constantIbLb1EES1V_EEDaS1Q_S1R_EUlS1Q_E_NS1_11comp_targetILNS1_3genE4ELNS1_11target_archE910ELNS1_3gpuE8ELNS1_3repE0EEENS1_30default_config_static_selectorELNS0_4arch9wavefront6targetE0EEEvS13_.num_named_barrier, 0
	.set _ZN7rocprim17ROCPRIM_400000_NS6detail17trampoline_kernelINS0_13select_configILj256ELj13ELNS0_17block_load_methodE3ELS4_3ELS4_3ELNS0_20block_scan_algorithmE0ELj4294967295EEENS1_25partition_config_selectorILNS1_17partition_subalgoE4EjNS0_10empty_typeEbEEZZNS1_14partition_implILS8_4ELb0ES6_15HIP_vector_typeIjLj2EENS0_17counting_iteratorIjlEEPS9_SG_NS0_5tupleIJPjSI_NS0_16reverse_iteratorISI_EEEEENSH_IJSG_SG_SG_EEES9_SI_JZNS1_25segmented_radix_sort_implINS0_14default_configELb1EPK12hip_bfloat16PSP_PKlPlN2at6native12_GLOBAL__N_18offset_tEEE10hipError_tPvRmT1_PNSt15iterator_traitsIS13_E10value_typeET2_T3_PNS14_IS19_E10value_typeET4_jRbjT5_S1F_jjP12ihipStream_tbEUljE_ZNSN_ISO_Lb1ESR_SS_SU_SV_SZ_EES10_S11_S12_S13_S17_S18_S19_S1C_S1D_jS1E_jS1F_S1F_jjS1H_bEUljE0_EEES10_S11_S12_S19_S1D_S1F_T6_T7_T9_mT8_S1H_bDpT10_ENKUlT_T0_E_clISt17integral_constantIbLb1EES1V_EEDaS1Q_S1R_EUlS1Q_E_NS1_11comp_targetILNS1_3genE4ELNS1_11target_archE910ELNS1_3gpuE8ELNS1_3repE0EEENS1_30default_config_static_selectorELNS0_4arch9wavefront6targetE0EEEvS13_.private_seg_size, 0
	.set _ZN7rocprim17ROCPRIM_400000_NS6detail17trampoline_kernelINS0_13select_configILj256ELj13ELNS0_17block_load_methodE3ELS4_3ELS4_3ELNS0_20block_scan_algorithmE0ELj4294967295EEENS1_25partition_config_selectorILNS1_17partition_subalgoE4EjNS0_10empty_typeEbEEZZNS1_14partition_implILS8_4ELb0ES6_15HIP_vector_typeIjLj2EENS0_17counting_iteratorIjlEEPS9_SG_NS0_5tupleIJPjSI_NS0_16reverse_iteratorISI_EEEEENSH_IJSG_SG_SG_EEES9_SI_JZNS1_25segmented_radix_sort_implINS0_14default_configELb1EPK12hip_bfloat16PSP_PKlPlN2at6native12_GLOBAL__N_18offset_tEEE10hipError_tPvRmT1_PNSt15iterator_traitsIS13_E10value_typeET2_T3_PNS14_IS19_E10value_typeET4_jRbjT5_S1F_jjP12ihipStream_tbEUljE_ZNSN_ISO_Lb1ESR_SS_SU_SV_SZ_EES10_S11_S12_S13_S17_S18_S19_S1C_S1D_jS1E_jS1F_S1F_jjS1H_bEUljE0_EEES10_S11_S12_S19_S1D_S1F_T6_T7_T9_mT8_S1H_bDpT10_ENKUlT_T0_E_clISt17integral_constantIbLb1EES1V_EEDaS1Q_S1R_EUlS1Q_E_NS1_11comp_targetILNS1_3genE4ELNS1_11target_archE910ELNS1_3gpuE8ELNS1_3repE0EEENS1_30default_config_static_selectorELNS0_4arch9wavefront6targetE0EEEvS13_.uses_vcc, 0
	.set _ZN7rocprim17ROCPRIM_400000_NS6detail17trampoline_kernelINS0_13select_configILj256ELj13ELNS0_17block_load_methodE3ELS4_3ELS4_3ELNS0_20block_scan_algorithmE0ELj4294967295EEENS1_25partition_config_selectorILNS1_17partition_subalgoE4EjNS0_10empty_typeEbEEZZNS1_14partition_implILS8_4ELb0ES6_15HIP_vector_typeIjLj2EENS0_17counting_iteratorIjlEEPS9_SG_NS0_5tupleIJPjSI_NS0_16reverse_iteratorISI_EEEEENSH_IJSG_SG_SG_EEES9_SI_JZNS1_25segmented_radix_sort_implINS0_14default_configELb1EPK12hip_bfloat16PSP_PKlPlN2at6native12_GLOBAL__N_18offset_tEEE10hipError_tPvRmT1_PNSt15iterator_traitsIS13_E10value_typeET2_T3_PNS14_IS19_E10value_typeET4_jRbjT5_S1F_jjP12ihipStream_tbEUljE_ZNSN_ISO_Lb1ESR_SS_SU_SV_SZ_EES10_S11_S12_S13_S17_S18_S19_S1C_S1D_jS1E_jS1F_S1F_jjS1H_bEUljE0_EEES10_S11_S12_S19_S1D_S1F_T6_T7_T9_mT8_S1H_bDpT10_ENKUlT_T0_E_clISt17integral_constantIbLb1EES1V_EEDaS1Q_S1R_EUlS1Q_E_NS1_11comp_targetILNS1_3genE4ELNS1_11target_archE910ELNS1_3gpuE8ELNS1_3repE0EEENS1_30default_config_static_selectorELNS0_4arch9wavefront6targetE0EEEvS13_.uses_flat_scratch, 0
	.set _ZN7rocprim17ROCPRIM_400000_NS6detail17trampoline_kernelINS0_13select_configILj256ELj13ELNS0_17block_load_methodE3ELS4_3ELS4_3ELNS0_20block_scan_algorithmE0ELj4294967295EEENS1_25partition_config_selectorILNS1_17partition_subalgoE4EjNS0_10empty_typeEbEEZZNS1_14partition_implILS8_4ELb0ES6_15HIP_vector_typeIjLj2EENS0_17counting_iteratorIjlEEPS9_SG_NS0_5tupleIJPjSI_NS0_16reverse_iteratorISI_EEEEENSH_IJSG_SG_SG_EEES9_SI_JZNS1_25segmented_radix_sort_implINS0_14default_configELb1EPK12hip_bfloat16PSP_PKlPlN2at6native12_GLOBAL__N_18offset_tEEE10hipError_tPvRmT1_PNSt15iterator_traitsIS13_E10value_typeET2_T3_PNS14_IS19_E10value_typeET4_jRbjT5_S1F_jjP12ihipStream_tbEUljE_ZNSN_ISO_Lb1ESR_SS_SU_SV_SZ_EES10_S11_S12_S13_S17_S18_S19_S1C_S1D_jS1E_jS1F_S1F_jjS1H_bEUljE0_EEES10_S11_S12_S19_S1D_S1F_T6_T7_T9_mT8_S1H_bDpT10_ENKUlT_T0_E_clISt17integral_constantIbLb1EES1V_EEDaS1Q_S1R_EUlS1Q_E_NS1_11comp_targetILNS1_3genE4ELNS1_11target_archE910ELNS1_3gpuE8ELNS1_3repE0EEENS1_30default_config_static_selectorELNS0_4arch9wavefront6targetE0EEEvS13_.has_dyn_sized_stack, 0
	.set _ZN7rocprim17ROCPRIM_400000_NS6detail17trampoline_kernelINS0_13select_configILj256ELj13ELNS0_17block_load_methodE3ELS4_3ELS4_3ELNS0_20block_scan_algorithmE0ELj4294967295EEENS1_25partition_config_selectorILNS1_17partition_subalgoE4EjNS0_10empty_typeEbEEZZNS1_14partition_implILS8_4ELb0ES6_15HIP_vector_typeIjLj2EENS0_17counting_iteratorIjlEEPS9_SG_NS0_5tupleIJPjSI_NS0_16reverse_iteratorISI_EEEEENSH_IJSG_SG_SG_EEES9_SI_JZNS1_25segmented_radix_sort_implINS0_14default_configELb1EPK12hip_bfloat16PSP_PKlPlN2at6native12_GLOBAL__N_18offset_tEEE10hipError_tPvRmT1_PNSt15iterator_traitsIS13_E10value_typeET2_T3_PNS14_IS19_E10value_typeET4_jRbjT5_S1F_jjP12ihipStream_tbEUljE_ZNSN_ISO_Lb1ESR_SS_SU_SV_SZ_EES10_S11_S12_S13_S17_S18_S19_S1C_S1D_jS1E_jS1F_S1F_jjS1H_bEUljE0_EEES10_S11_S12_S19_S1D_S1F_T6_T7_T9_mT8_S1H_bDpT10_ENKUlT_T0_E_clISt17integral_constantIbLb1EES1V_EEDaS1Q_S1R_EUlS1Q_E_NS1_11comp_targetILNS1_3genE4ELNS1_11target_archE910ELNS1_3gpuE8ELNS1_3repE0EEENS1_30default_config_static_selectorELNS0_4arch9wavefront6targetE0EEEvS13_.has_recursion, 0
	.set _ZN7rocprim17ROCPRIM_400000_NS6detail17trampoline_kernelINS0_13select_configILj256ELj13ELNS0_17block_load_methodE3ELS4_3ELS4_3ELNS0_20block_scan_algorithmE0ELj4294967295EEENS1_25partition_config_selectorILNS1_17partition_subalgoE4EjNS0_10empty_typeEbEEZZNS1_14partition_implILS8_4ELb0ES6_15HIP_vector_typeIjLj2EENS0_17counting_iteratorIjlEEPS9_SG_NS0_5tupleIJPjSI_NS0_16reverse_iteratorISI_EEEEENSH_IJSG_SG_SG_EEES9_SI_JZNS1_25segmented_radix_sort_implINS0_14default_configELb1EPK12hip_bfloat16PSP_PKlPlN2at6native12_GLOBAL__N_18offset_tEEE10hipError_tPvRmT1_PNSt15iterator_traitsIS13_E10value_typeET2_T3_PNS14_IS19_E10value_typeET4_jRbjT5_S1F_jjP12ihipStream_tbEUljE_ZNSN_ISO_Lb1ESR_SS_SU_SV_SZ_EES10_S11_S12_S13_S17_S18_S19_S1C_S1D_jS1E_jS1F_S1F_jjS1H_bEUljE0_EEES10_S11_S12_S19_S1D_S1F_T6_T7_T9_mT8_S1H_bDpT10_ENKUlT_T0_E_clISt17integral_constantIbLb1EES1V_EEDaS1Q_S1R_EUlS1Q_E_NS1_11comp_targetILNS1_3genE4ELNS1_11target_archE910ELNS1_3gpuE8ELNS1_3repE0EEENS1_30default_config_static_selectorELNS0_4arch9wavefront6targetE0EEEvS13_.has_indirect_call, 0
	.section	.AMDGPU.csdata,"",@progbits
; Kernel info:
; codeLenInByte = 0
; TotalNumSgprs: 0
; NumVgprs: 0
; ScratchSize: 0
; MemoryBound: 0
; FloatMode: 240
; IeeeMode: 1
; LDSByteSize: 0 bytes/workgroup (compile time only)
; SGPRBlocks: 0
; VGPRBlocks: 0
; NumSGPRsForWavesPerEU: 1
; NumVGPRsForWavesPerEU: 1
; Occupancy: 16
; WaveLimiterHint : 0
; COMPUTE_PGM_RSRC2:SCRATCH_EN: 0
; COMPUTE_PGM_RSRC2:USER_SGPR: 2
; COMPUTE_PGM_RSRC2:TRAP_HANDLER: 0
; COMPUTE_PGM_RSRC2:TGID_X_EN: 1
; COMPUTE_PGM_RSRC2:TGID_Y_EN: 0
; COMPUTE_PGM_RSRC2:TGID_Z_EN: 0
; COMPUTE_PGM_RSRC2:TIDIG_COMP_CNT: 0
	.section	.text._ZN7rocprim17ROCPRIM_400000_NS6detail17trampoline_kernelINS0_13select_configILj256ELj13ELNS0_17block_load_methodE3ELS4_3ELS4_3ELNS0_20block_scan_algorithmE0ELj4294967295EEENS1_25partition_config_selectorILNS1_17partition_subalgoE4EjNS0_10empty_typeEbEEZZNS1_14partition_implILS8_4ELb0ES6_15HIP_vector_typeIjLj2EENS0_17counting_iteratorIjlEEPS9_SG_NS0_5tupleIJPjSI_NS0_16reverse_iteratorISI_EEEEENSH_IJSG_SG_SG_EEES9_SI_JZNS1_25segmented_radix_sort_implINS0_14default_configELb1EPK12hip_bfloat16PSP_PKlPlN2at6native12_GLOBAL__N_18offset_tEEE10hipError_tPvRmT1_PNSt15iterator_traitsIS13_E10value_typeET2_T3_PNS14_IS19_E10value_typeET4_jRbjT5_S1F_jjP12ihipStream_tbEUljE_ZNSN_ISO_Lb1ESR_SS_SU_SV_SZ_EES10_S11_S12_S13_S17_S18_S19_S1C_S1D_jS1E_jS1F_S1F_jjS1H_bEUljE0_EEES10_S11_S12_S19_S1D_S1F_T6_T7_T9_mT8_S1H_bDpT10_ENKUlT_T0_E_clISt17integral_constantIbLb1EES1V_EEDaS1Q_S1R_EUlS1Q_E_NS1_11comp_targetILNS1_3genE3ELNS1_11target_archE908ELNS1_3gpuE7ELNS1_3repE0EEENS1_30default_config_static_selectorELNS0_4arch9wavefront6targetE0EEEvS13_,"axG",@progbits,_ZN7rocprim17ROCPRIM_400000_NS6detail17trampoline_kernelINS0_13select_configILj256ELj13ELNS0_17block_load_methodE3ELS4_3ELS4_3ELNS0_20block_scan_algorithmE0ELj4294967295EEENS1_25partition_config_selectorILNS1_17partition_subalgoE4EjNS0_10empty_typeEbEEZZNS1_14partition_implILS8_4ELb0ES6_15HIP_vector_typeIjLj2EENS0_17counting_iteratorIjlEEPS9_SG_NS0_5tupleIJPjSI_NS0_16reverse_iteratorISI_EEEEENSH_IJSG_SG_SG_EEES9_SI_JZNS1_25segmented_radix_sort_implINS0_14default_configELb1EPK12hip_bfloat16PSP_PKlPlN2at6native12_GLOBAL__N_18offset_tEEE10hipError_tPvRmT1_PNSt15iterator_traitsIS13_E10value_typeET2_T3_PNS14_IS19_E10value_typeET4_jRbjT5_S1F_jjP12ihipStream_tbEUljE_ZNSN_ISO_Lb1ESR_SS_SU_SV_SZ_EES10_S11_S12_S13_S17_S18_S19_S1C_S1D_jS1E_jS1F_S1F_jjS1H_bEUljE0_EEES10_S11_S12_S19_S1D_S1F_T6_T7_T9_mT8_S1H_bDpT10_ENKUlT_T0_E_clISt17integral_constantIbLb1EES1V_EEDaS1Q_S1R_EUlS1Q_E_NS1_11comp_targetILNS1_3genE3ELNS1_11target_archE908ELNS1_3gpuE7ELNS1_3repE0EEENS1_30default_config_static_selectorELNS0_4arch9wavefront6targetE0EEEvS13_,comdat
	.globl	_ZN7rocprim17ROCPRIM_400000_NS6detail17trampoline_kernelINS0_13select_configILj256ELj13ELNS0_17block_load_methodE3ELS4_3ELS4_3ELNS0_20block_scan_algorithmE0ELj4294967295EEENS1_25partition_config_selectorILNS1_17partition_subalgoE4EjNS0_10empty_typeEbEEZZNS1_14partition_implILS8_4ELb0ES6_15HIP_vector_typeIjLj2EENS0_17counting_iteratorIjlEEPS9_SG_NS0_5tupleIJPjSI_NS0_16reverse_iteratorISI_EEEEENSH_IJSG_SG_SG_EEES9_SI_JZNS1_25segmented_radix_sort_implINS0_14default_configELb1EPK12hip_bfloat16PSP_PKlPlN2at6native12_GLOBAL__N_18offset_tEEE10hipError_tPvRmT1_PNSt15iterator_traitsIS13_E10value_typeET2_T3_PNS14_IS19_E10value_typeET4_jRbjT5_S1F_jjP12ihipStream_tbEUljE_ZNSN_ISO_Lb1ESR_SS_SU_SV_SZ_EES10_S11_S12_S13_S17_S18_S19_S1C_S1D_jS1E_jS1F_S1F_jjS1H_bEUljE0_EEES10_S11_S12_S19_S1D_S1F_T6_T7_T9_mT8_S1H_bDpT10_ENKUlT_T0_E_clISt17integral_constantIbLb1EES1V_EEDaS1Q_S1R_EUlS1Q_E_NS1_11comp_targetILNS1_3genE3ELNS1_11target_archE908ELNS1_3gpuE7ELNS1_3repE0EEENS1_30default_config_static_selectorELNS0_4arch9wavefront6targetE0EEEvS13_ ; -- Begin function _ZN7rocprim17ROCPRIM_400000_NS6detail17trampoline_kernelINS0_13select_configILj256ELj13ELNS0_17block_load_methodE3ELS4_3ELS4_3ELNS0_20block_scan_algorithmE0ELj4294967295EEENS1_25partition_config_selectorILNS1_17partition_subalgoE4EjNS0_10empty_typeEbEEZZNS1_14partition_implILS8_4ELb0ES6_15HIP_vector_typeIjLj2EENS0_17counting_iteratorIjlEEPS9_SG_NS0_5tupleIJPjSI_NS0_16reverse_iteratorISI_EEEEENSH_IJSG_SG_SG_EEES9_SI_JZNS1_25segmented_radix_sort_implINS0_14default_configELb1EPK12hip_bfloat16PSP_PKlPlN2at6native12_GLOBAL__N_18offset_tEEE10hipError_tPvRmT1_PNSt15iterator_traitsIS13_E10value_typeET2_T3_PNS14_IS19_E10value_typeET4_jRbjT5_S1F_jjP12ihipStream_tbEUljE_ZNSN_ISO_Lb1ESR_SS_SU_SV_SZ_EES10_S11_S12_S13_S17_S18_S19_S1C_S1D_jS1E_jS1F_S1F_jjS1H_bEUljE0_EEES10_S11_S12_S19_S1D_S1F_T6_T7_T9_mT8_S1H_bDpT10_ENKUlT_T0_E_clISt17integral_constantIbLb1EES1V_EEDaS1Q_S1R_EUlS1Q_E_NS1_11comp_targetILNS1_3genE3ELNS1_11target_archE908ELNS1_3gpuE7ELNS1_3repE0EEENS1_30default_config_static_selectorELNS0_4arch9wavefront6targetE0EEEvS13_
	.p2align	8
	.type	_ZN7rocprim17ROCPRIM_400000_NS6detail17trampoline_kernelINS0_13select_configILj256ELj13ELNS0_17block_load_methodE3ELS4_3ELS4_3ELNS0_20block_scan_algorithmE0ELj4294967295EEENS1_25partition_config_selectorILNS1_17partition_subalgoE4EjNS0_10empty_typeEbEEZZNS1_14partition_implILS8_4ELb0ES6_15HIP_vector_typeIjLj2EENS0_17counting_iteratorIjlEEPS9_SG_NS0_5tupleIJPjSI_NS0_16reverse_iteratorISI_EEEEENSH_IJSG_SG_SG_EEES9_SI_JZNS1_25segmented_radix_sort_implINS0_14default_configELb1EPK12hip_bfloat16PSP_PKlPlN2at6native12_GLOBAL__N_18offset_tEEE10hipError_tPvRmT1_PNSt15iterator_traitsIS13_E10value_typeET2_T3_PNS14_IS19_E10value_typeET4_jRbjT5_S1F_jjP12ihipStream_tbEUljE_ZNSN_ISO_Lb1ESR_SS_SU_SV_SZ_EES10_S11_S12_S13_S17_S18_S19_S1C_S1D_jS1E_jS1F_S1F_jjS1H_bEUljE0_EEES10_S11_S12_S19_S1D_S1F_T6_T7_T9_mT8_S1H_bDpT10_ENKUlT_T0_E_clISt17integral_constantIbLb1EES1V_EEDaS1Q_S1R_EUlS1Q_E_NS1_11comp_targetILNS1_3genE3ELNS1_11target_archE908ELNS1_3gpuE7ELNS1_3repE0EEENS1_30default_config_static_selectorELNS0_4arch9wavefront6targetE0EEEvS13_,@function
_ZN7rocprim17ROCPRIM_400000_NS6detail17trampoline_kernelINS0_13select_configILj256ELj13ELNS0_17block_load_methodE3ELS4_3ELS4_3ELNS0_20block_scan_algorithmE0ELj4294967295EEENS1_25partition_config_selectorILNS1_17partition_subalgoE4EjNS0_10empty_typeEbEEZZNS1_14partition_implILS8_4ELb0ES6_15HIP_vector_typeIjLj2EENS0_17counting_iteratorIjlEEPS9_SG_NS0_5tupleIJPjSI_NS0_16reverse_iteratorISI_EEEEENSH_IJSG_SG_SG_EEES9_SI_JZNS1_25segmented_radix_sort_implINS0_14default_configELb1EPK12hip_bfloat16PSP_PKlPlN2at6native12_GLOBAL__N_18offset_tEEE10hipError_tPvRmT1_PNSt15iterator_traitsIS13_E10value_typeET2_T3_PNS14_IS19_E10value_typeET4_jRbjT5_S1F_jjP12ihipStream_tbEUljE_ZNSN_ISO_Lb1ESR_SS_SU_SV_SZ_EES10_S11_S12_S13_S17_S18_S19_S1C_S1D_jS1E_jS1F_S1F_jjS1H_bEUljE0_EEES10_S11_S12_S19_S1D_S1F_T6_T7_T9_mT8_S1H_bDpT10_ENKUlT_T0_E_clISt17integral_constantIbLb1EES1V_EEDaS1Q_S1R_EUlS1Q_E_NS1_11comp_targetILNS1_3genE3ELNS1_11target_archE908ELNS1_3gpuE7ELNS1_3repE0EEENS1_30default_config_static_selectorELNS0_4arch9wavefront6targetE0EEEvS13_: ; @_ZN7rocprim17ROCPRIM_400000_NS6detail17trampoline_kernelINS0_13select_configILj256ELj13ELNS0_17block_load_methodE3ELS4_3ELS4_3ELNS0_20block_scan_algorithmE0ELj4294967295EEENS1_25partition_config_selectorILNS1_17partition_subalgoE4EjNS0_10empty_typeEbEEZZNS1_14partition_implILS8_4ELb0ES6_15HIP_vector_typeIjLj2EENS0_17counting_iteratorIjlEEPS9_SG_NS0_5tupleIJPjSI_NS0_16reverse_iteratorISI_EEEEENSH_IJSG_SG_SG_EEES9_SI_JZNS1_25segmented_radix_sort_implINS0_14default_configELb1EPK12hip_bfloat16PSP_PKlPlN2at6native12_GLOBAL__N_18offset_tEEE10hipError_tPvRmT1_PNSt15iterator_traitsIS13_E10value_typeET2_T3_PNS14_IS19_E10value_typeET4_jRbjT5_S1F_jjP12ihipStream_tbEUljE_ZNSN_ISO_Lb1ESR_SS_SU_SV_SZ_EES10_S11_S12_S13_S17_S18_S19_S1C_S1D_jS1E_jS1F_S1F_jjS1H_bEUljE0_EEES10_S11_S12_S19_S1D_S1F_T6_T7_T9_mT8_S1H_bDpT10_ENKUlT_T0_E_clISt17integral_constantIbLb1EES1V_EEDaS1Q_S1R_EUlS1Q_E_NS1_11comp_targetILNS1_3genE3ELNS1_11target_archE908ELNS1_3gpuE7ELNS1_3repE0EEENS1_30default_config_static_selectorELNS0_4arch9wavefront6targetE0EEEvS13_
; %bb.0:
	.section	.rodata,"a",@progbits
	.p2align	6, 0x0
	.amdhsa_kernel _ZN7rocprim17ROCPRIM_400000_NS6detail17trampoline_kernelINS0_13select_configILj256ELj13ELNS0_17block_load_methodE3ELS4_3ELS4_3ELNS0_20block_scan_algorithmE0ELj4294967295EEENS1_25partition_config_selectorILNS1_17partition_subalgoE4EjNS0_10empty_typeEbEEZZNS1_14partition_implILS8_4ELb0ES6_15HIP_vector_typeIjLj2EENS0_17counting_iteratorIjlEEPS9_SG_NS0_5tupleIJPjSI_NS0_16reverse_iteratorISI_EEEEENSH_IJSG_SG_SG_EEES9_SI_JZNS1_25segmented_radix_sort_implINS0_14default_configELb1EPK12hip_bfloat16PSP_PKlPlN2at6native12_GLOBAL__N_18offset_tEEE10hipError_tPvRmT1_PNSt15iterator_traitsIS13_E10value_typeET2_T3_PNS14_IS19_E10value_typeET4_jRbjT5_S1F_jjP12ihipStream_tbEUljE_ZNSN_ISO_Lb1ESR_SS_SU_SV_SZ_EES10_S11_S12_S13_S17_S18_S19_S1C_S1D_jS1E_jS1F_S1F_jjS1H_bEUljE0_EEES10_S11_S12_S19_S1D_S1F_T6_T7_T9_mT8_S1H_bDpT10_ENKUlT_T0_E_clISt17integral_constantIbLb1EES1V_EEDaS1Q_S1R_EUlS1Q_E_NS1_11comp_targetILNS1_3genE3ELNS1_11target_archE908ELNS1_3gpuE7ELNS1_3repE0EEENS1_30default_config_static_selectorELNS0_4arch9wavefront6targetE0EEEvS13_
		.amdhsa_group_segment_fixed_size 0
		.amdhsa_private_segment_fixed_size 0
		.amdhsa_kernarg_size 184
		.amdhsa_user_sgpr_count 2
		.amdhsa_user_sgpr_dispatch_ptr 0
		.amdhsa_user_sgpr_queue_ptr 0
		.amdhsa_user_sgpr_kernarg_segment_ptr 1
		.amdhsa_user_sgpr_dispatch_id 0
		.amdhsa_user_sgpr_private_segment_size 0
		.amdhsa_wavefront_size32 1
		.amdhsa_uses_dynamic_stack 0
		.amdhsa_enable_private_segment 0
		.amdhsa_system_sgpr_workgroup_id_x 1
		.amdhsa_system_sgpr_workgroup_id_y 0
		.amdhsa_system_sgpr_workgroup_id_z 0
		.amdhsa_system_sgpr_workgroup_info 0
		.amdhsa_system_vgpr_workitem_id 0
		.amdhsa_next_free_vgpr 1
		.amdhsa_next_free_sgpr 1
		.amdhsa_reserve_vcc 0
		.amdhsa_float_round_mode_32 0
		.amdhsa_float_round_mode_16_64 0
		.amdhsa_float_denorm_mode_32 3
		.amdhsa_float_denorm_mode_16_64 3
		.amdhsa_fp16_overflow 0
		.amdhsa_workgroup_processor_mode 1
		.amdhsa_memory_ordered 1
		.amdhsa_forward_progress 1
		.amdhsa_inst_pref_size 0
		.amdhsa_round_robin_scheduling 0
		.amdhsa_exception_fp_ieee_invalid_op 0
		.amdhsa_exception_fp_denorm_src 0
		.amdhsa_exception_fp_ieee_div_zero 0
		.amdhsa_exception_fp_ieee_overflow 0
		.amdhsa_exception_fp_ieee_underflow 0
		.amdhsa_exception_fp_ieee_inexact 0
		.amdhsa_exception_int_div_zero 0
	.end_amdhsa_kernel
	.section	.text._ZN7rocprim17ROCPRIM_400000_NS6detail17trampoline_kernelINS0_13select_configILj256ELj13ELNS0_17block_load_methodE3ELS4_3ELS4_3ELNS0_20block_scan_algorithmE0ELj4294967295EEENS1_25partition_config_selectorILNS1_17partition_subalgoE4EjNS0_10empty_typeEbEEZZNS1_14partition_implILS8_4ELb0ES6_15HIP_vector_typeIjLj2EENS0_17counting_iteratorIjlEEPS9_SG_NS0_5tupleIJPjSI_NS0_16reverse_iteratorISI_EEEEENSH_IJSG_SG_SG_EEES9_SI_JZNS1_25segmented_radix_sort_implINS0_14default_configELb1EPK12hip_bfloat16PSP_PKlPlN2at6native12_GLOBAL__N_18offset_tEEE10hipError_tPvRmT1_PNSt15iterator_traitsIS13_E10value_typeET2_T3_PNS14_IS19_E10value_typeET4_jRbjT5_S1F_jjP12ihipStream_tbEUljE_ZNSN_ISO_Lb1ESR_SS_SU_SV_SZ_EES10_S11_S12_S13_S17_S18_S19_S1C_S1D_jS1E_jS1F_S1F_jjS1H_bEUljE0_EEES10_S11_S12_S19_S1D_S1F_T6_T7_T9_mT8_S1H_bDpT10_ENKUlT_T0_E_clISt17integral_constantIbLb1EES1V_EEDaS1Q_S1R_EUlS1Q_E_NS1_11comp_targetILNS1_3genE3ELNS1_11target_archE908ELNS1_3gpuE7ELNS1_3repE0EEENS1_30default_config_static_selectorELNS0_4arch9wavefront6targetE0EEEvS13_,"axG",@progbits,_ZN7rocprim17ROCPRIM_400000_NS6detail17trampoline_kernelINS0_13select_configILj256ELj13ELNS0_17block_load_methodE3ELS4_3ELS4_3ELNS0_20block_scan_algorithmE0ELj4294967295EEENS1_25partition_config_selectorILNS1_17partition_subalgoE4EjNS0_10empty_typeEbEEZZNS1_14partition_implILS8_4ELb0ES6_15HIP_vector_typeIjLj2EENS0_17counting_iteratorIjlEEPS9_SG_NS0_5tupleIJPjSI_NS0_16reverse_iteratorISI_EEEEENSH_IJSG_SG_SG_EEES9_SI_JZNS1_25segmented_radix_sort_implINS0_14default_configELb1EPK12hip_bfloat16PSP_PKlPlN2at6native12_GLOBAL__N_18offset_tEEE10hipError_tPvRmT1_PNSt15iterator_traitsIS13_E10value_typeET2_T3_PNS14_IS19_E10value_typeET4_jRbjT5_S1F_jjP12ihipStream_tbEUljE_ZNSN_ISO_Lb1ESR_SS_SU_SV_SZ_EES10_S11_S12_S13_S17_S18_S19_S1C_S1D_jS1E_jS1F_S1F_jjS1H_bEUljE0_EEES10_S11_S12_S19_S1D_S1F_T6_T7_T9_mT8_S1H_bDpT10_ENKUlT_T0_E_clISt17integral_constantIbLb1EES1V_EEDaS1Q_S1R_EUlS1Q_E_NS1_11comp_targetILNS1_3genE3ELNS1_11target_archE908ELNS1_3gpuE7ELNS1_3repE0EEENS1_30default_config_static_selectorELNS0_4arch9wavefront6targetE0EEEvS13_,comdat
.Lfunc_end1893:
	.size	_ZN7rocprim17ROCPRIM_400000_NS6detail17trampoline_kernelINS0_13select_configILj256ELj13ELNS0_17block_load_methodE3ELS4_3ELS4_3ELNS0_20block_scan_algorithmE0ELj4294967295EEENS1_25partition_config_selectorILNS1_17partition_subalgoE4EjNS0_10empty_typeEbEEZZNS1_14partition_implILS8_4ELb0ES6_15HIP_vector_typeIjLj2EENS0_17counting_iteratorIjlEEPS9_SG_NS0_5tupleIJPjSI_NS0_16reverse_iteratorISI_EEEEENSH_IJSG_SG_SG_EEES9_SI_JZNS1_25segmented_radix_sort_implINS0_14default_configELb1EPK12hip_bfloat16PSP_PKlPlN2at6native12_GLOBAL__N_18offset_tEEE10hipError_tPvRmT1_PNSt15iterator_traitsIS13_E10value_typeET2_T3_PNS14_IS19_E10value_typeET4_jRbjT5_S1F_jjP12ihipStream_tbEUljE_ZNSN_ISO_Lb1ESR_SS_SU_SV_SZ_EES10_S11_S12_S13_S17_S18_S19_S1C_S1D_jS1E_jS1F_S1F_jjS1H_bEUljE0_EEES10_S11_S12_S19_S1D_S1F_T6_T7_T9_mT8_S1H_bDpT10_ENKUlT_T0_E_clISt17integral_constantIbLb1EES1V_EEDaS1Q_S1R_EUlS1Q_E_NS1_11comp_targetILNS1_3genE3ELNS1_11target_archE908ELNS1_3gpuE7ELNS1_3repE0EEENS1_30default_config_static_selectorELNS0_4arch9wavefront6targetE0EEEvS13_, .Lfunc_end1893-_ZN7rocprim17ROCPRIM_400000_NS6detail17trampoline_kernelINS0_13select_configILj256ELj13ELNS0_17block_load_methodE3ELS4_3ELS4_3ELNS0_20block_scan_algorithmE0ELj4294967295EEENS1_25partition_config_selectorILNS1_17partition_subalgoE4EjNS0_10empty_typeEbEEZZNS1_14partition_implILS8_4ELb0ES6_15HIP_vector_typeIjLj2EENS0_17counting_iteratorIjlEEPS9_SG_NS0_5tupleIJPjSI_NS0_16reverse_iteratorISI_EEEEENSH_IJSG_SG_SG_EEES9_SI_JZNS1_25segmented_radix_sort_implINS0_14default_configELb1EPK12hip_bfloat16PSP_PKlPlN2at6native12_GLOBAL__N_18offset_tEEE10hipError_tPvRmT1_PNSt15iterator_traitsIS13_E10value_typeET2_T3_PNS14_IS19_E10value_typeET4_jRbjT5_S1F_jjP12ihipStream_tbEUljE_ZNSN_ISO_Lb1ESR_SS_SU_SV_SZ_EES10_S11_S12_S13_S17_S18_S19_S1C_S1D_jS1E_jS1F_S1F_jjS1H_bEUljE0_EEES10_S11_S12_S19_S1D_S1F_T6_T7_T9_mT8_S1H_bDpT10_ENKUlT_T0_E_clISt17integral_constantIbLb1EES1V_EEDaS1Q_S1R_EUlS1Q_E_NS1_11comp_targetILNS1_3genE3ELNS1_11target_archE908ELNS1_3gpuE7ELNS1_3repE0EEENS1_30default_config_static_selectorELNS0_4arch9wavefront6targetE0EEEvS13_
                                        ; -- End function
	.set _ZN7rocprim17ROCPRIM_400000_NS6detail17trampoline_kernelINS0_13select_configILj256ELj13ELNS0_17block_load_methodE3ELS4_3ELS4_3ELNS0_20block_scan_algorithmE0ELj4294967295EEENS1_25partition_config_selectorILNS1_17partition_subalgoE4EjNS0_10empty_typeEbEEZZNS1_14partition_implILS8_4ELb0ES6_15HIP_vector_typeIjLj2EENS0_17counting_iteratorIjlEEPS9_SG_NS0_5tupleIJPjSI_NS0_16reverse_iteratorISI_EEEEENSH_IJSG_SG_SG_EEES9_SI_JZNS1_25segmented_radix_sort_implINS0_14default_configELb1EPK12hip_bfloat16PSP_PKlPlN2at6native12_GLOBAL__N_18offset_tEEE10hipError_tPvRmT1_PNSt15iterator_traitsIS13_E10value_typeET2_T3_PNS14_IS19_E10value_typeET4_jRbjT5_S1F_jjP12ihipStream_tbEUljE_ZNSN_ISO_Lb1ESR_SS_SU_SV_SZ_EES10_S11_S12_S13_S17_S18_S19_S1C_S1D_jS1E_jS1F_S1F_jjS1H_bEUljE0_EEES10_S11_S12_S19_S1D_S1F_T6_T7_T9_mT8_S1H_bDpT10_ENKUlT_T0_E_clISt17integral_constantIbLb1EES1V_EEDaS1Q_S1R_EUlS1Q_E_NS1_11comp_targetILNS1_3genE3ELNS1_11target_archE908ELNS1_3gpuE7ELNS1_3repE0EEENS1_30default_config_static_selectorELNS0_4arch9wavefront6targetE0EEEvS13_.num_vgpr, 0
	.set _ZN7rocprim17ROCPRIM_400000_NS6detail17trampoline_kernelINS0_13select_configILj256ELj13ELNS0_17block_load_methodE3ELS4_3ELS4_3ELNS0_20block_scan_algorithmE0ELj4294967295EEENS1_25partition_config_selectorILNS1_17partition_subalgoE4EjNS0_10empty_typeEbEEZZNS1_14partition_implILS8_4ELb0ES6_15HIP_vector_typeIjLj2EENS0_17counting_iteratorIjlEEPS9_SG_NS0_5tupleIJPjSI_NS0_16reverse_iteratorISI_EEEEENSH_IJSG_SG_SG_EEES9_SI_JZNS1_25segmented_radix_sort_implINS0_14default_configELb1EPK12hip_bfloat16PSP_PKlPlN2at6native12_GLOBAL__N_18offset_tEEE10hipError_tPvRmT1_PNSt15iterator_traitsIS13_E10value_typeET2_T3_PNS14_IS19_E10value_typeET4_jRbjT5_S1F_jjP12ihipStream_tbEUljE_ZNSN_ISO_Lb1ESR_SS_SU_SV_SZ_EES10_S11_S12_S13_S17_S18_S19_S1C_S1D_jS1E_jS1F_S1F_jjS1H_bEUljE0_EEES10_S11_S12_S19_S1D_S1F_T6_T7_T9_mT8_S1H_bDpT10_ENKUlT_T0_E_clISt17integral_constantIbLb1EES1V_EEDaS1Q_S1R_EUlS1Q_E_NS1_11comp_targetILNS1_3genE3ELNS1_11target_archE908ELNS1_3gpuE7ELNS1_3repE0EEENS1_30default_config_static_selectorELNS0_4arch9wavefront6targetE0EEEvS13_.num_agpr, 0
	.set _ZN7rocprim17ROCPRIM_400000_NS6detail17trampoline_kernelINS0_13select_configILj256ELj13ELNS0_17block_load_methodE3ELS4_3ELS4_3ELNS0_20block_scan_algorithmE0ELj4294967295EEENS1_25partition_config_selectorILNS1_17partition_subalgoE4EjNS0_10empty_typeEbEEZZNS1_14partition_implILS8_4ELb0ES6_15HIP_vector_typeIjLj2EENS0_17counting_iteratorIjlEEPS9_SG_NS0_5tupleIJPjSI_NS0_16reverse_iteratorISI_EEEEENSH_IJSG_SG_SG_EEES9_SI_JZNS1_25segmented_radix_sort_implINS0_14default_configELb1EPK12hip_bfloat16PSP_PKlPlN2at6native12_GLOBAL__N_18offset_tEEE10hipError_tPvRmT1_PNSt15iterator_traitsIS13_E10value_typeET2_T3_PNS14_IS19_E10value_typeET4_jRbjT5_S1F_jjP12ihipStream_tbEUljE_ZNSN_ISO_Lb1ESR_SS_SU_SV_SZ_EES10_S11_S12_S13_S17_S18_S19_S1C_S1D_jS1E_jS1F_S1F_jjS1H_bEUljE0_EEES10_S11_S12_S19_S1D_S1F_T6_T7_T9_mT8_S1H_bDpT10_ENKUlT_T0_E_clISt17integral_constantIbLb1EES1V_EEDaS1Q_S1R_EUlS1Q_E_NS1_11comp_targetILNS1_3genE3ELNS1_11target_archE908ELNS1_3gpuE7ELNS1_3repE0EEENS1_30default_config_static_selectorELNS0_4arch9wavefront6targetE0EEEvS13_.numbered_sgpr, 0
	.set _ZN7rocprim17ROCPRIM_400000_NS6detail17trampoline_kernelINS0_13select_configILj256ELj13ELNS0_17block_load_methodE3ELS4_3ELS4_3ELNS0_20block_scan_algorithmE0ELj4294967295EEENS1_25partition_config_selectorILNS1_17partition_subalgoE4EjNS0_10empty_typeEbEEZZNS1_14partition_implILS8_4ELb0ES6_15HIP_vector_typeIjLj2EENS0_17counting_iteratorIjlEEPS9_SG_NS0_5tupleIJPjSI_NS0_16reverse_iteratorISI_EEEEENSH_IJSG_SG_SG_EEES9_SI_JZNS1_25segmented_radix_sort_implINS0_14default_configELb1EPK12hip_bfloat16PSP_PKlPlN2at6native12_GLOBAL__N_18offset_tEEE10hipError_tPvRmT1_PNSt15iterator_traitsIS13_E10value_typeET2_T3_PNS14_IS19_E10value_typeET4_jRbjT5_S1F_jjP12ihipStream_tbEUljE_ZNSN_ISO_Lb1ESR_SS_SU_SV_SZ_EES10_S11_S12_S13_S17_S18_S19_S1C_S1D_jS1E_jS1F_S1F_jjS1H_bEUljE0_EEES10_S11_S12_S19_S1D_S1F_T6_T7_T9_mT8_S1H_bDpT10_ENKUlT_T0_E_clISt17integral_constantIbLb1EES1V_EEDaS1Q_S1R_EUlS1Q_E_NS1_11comp_targetILNS1_3genE3ELNS1_11target_archE908ELNS1_3gpuE7ELNS1_3repE0EEENS1_30default_config_static_selectorELNS0_4arch9wavefront6targetE0EEEvS13_.num_named_barrier, 0
	.set _ZN7rocprim17ROCPRIM_400000_NS6detail17trampoline_kernelINS0_13select_configILj256ELj13ELNS0_17block_load_methodE3ELS4_3ELS4_3ELNS0_20block_scan_algorithmE0ELj4294967295EEENS1_25partition_config_selectorILNS1_17partition_subalgoE4EjNS0_10empty_typeEbEEZZNS1_14partition_implILS8_4ELb0ES6_15HIP_vector_typeIjLj2EENS0_17counting_iteratorIjlEEPS9_SG_NS0_5tupleIJPjSI_NS0_16reverse_iteratorISI_EEEEENSH_IJSG_SG_SG_EEES9_SI_JZNS1_25segmented_radix_sort_implINS0_14default_configELb1EPK12hip_bfloat16PSP_PKlPlN2at6native12_GLOBAL__N_18offset_tEEE10hipError_tPvRmT1_PNSt15iterator_traitsIS13_E10value_typeET2_T3_PNS14_IS19_E10value_typeET4_jRbjT5_S1F_jjP12ihipStream_tbEUljE_ZNSN_ISO_Lb1ESR_SS_SU_SV_SZ_EES10_S11_S12_S13_S17_S18_S19_S1C_S1D_jS1E_jS1F_S1F_jjS1H_bEUljE0_EEES10_S11_S12_S19_S1D_S1F_T6_T7_T9_mT8_S1H_bDpT10_ENKUlT_T0_E_clISt17integral_constantIbLb1EES1V_EEDaS1Q_S1R_EUlS1Q_E_NS1_11comp_targetILNS1_3genE3ELNS1_11target_archE908ELNS1_3gpuE7ELNS1_3repE0EEENS1_30default_config_static_selectorELNS0_4arch9wavefront6targetE0EEEvS13_.private_seg_size, 0
	.set _ZN7rocprim17ROCPRIM_400000_NS6detail17trampoline_kernelINS0_13select_configILj256ELj13ELNS0_17block_load_methodE3ELS4_3ELS4_3ELNS0_20block_scan_algorithmE0ELj4294967295EEENS1_25partition_config_selectorILNS1_17partition_subalgoE4EjNS0_10empty_typeEbEEZZNS1_14partition_implILS8_4ELb0ES6_15HIP_vector_typeIjLj2EENS0_17counting_iteratorIjlEEPS9_SG_NS0_5tupleIJPjSI_NS0_16reverse_iteratorISI_EEEEENSH_IJSG_SG_SG_EEES9_SI_JZNS1_25segmented_radix_sort_implINS0_14default_configELb1EPK12hip_bfloat16PSP_PKlPlN2at6native12_GLOBAL__N_18offset_tEEE10hipError_tPvRmT1_PNSt15iterator_traitsIS13_E10value_typeET2_T3_PNS14_IS19_E10value_typeET4_jRbjT5_S1F_jjP12ihipStream_tbEUljE_ZNSN_ISO_Lb1ESR_SS_SU_SV_SZ_EES10_S11_S12_S13_S17_S18_S19_S1C_S1D_jS1E_jS1F_S1F_jjS1H_bEUljE0_EEES10_S11_S12_S19_S1D_S1F_T6_T7_T9_mT8_S1H_bDpT10_ENKUlT_T0_E_clISt17integral_constantIbLb1EES1V_EEDaS1Q_S1R_EUlS1Q_E_NS1_11comp_targetILNS1_3genE3ELNS1_11target_archE908ELNS1_3gpuE7ELNS1_3repE0EEENS1_30default_config_static_selectorELNS0_4arch9wavefront6targetE0EEEvS13_.uses_vcc, 0
	.set _ZN7rocprim17ROCPRIM_400000_NS6detail17trampoline_kernelINS0_13select_configILj256ELj13ELNS0_17block_load_methodE3ELS4_3ELS4_3ELNS0_20block_scan_algorithmE0ELj4294967295EEENS1_25partition_config_selectorILNS1_17partition_subalgoE4EjNS0_10empty_typeEbEEZZNS1_14partition_implILS8_4ELb0ES6_15HIP_vector_typeIjLj2EENS0_17counting_iteratorIjlEEPS9_SG_NS0_5tupleIJPjSI_NS0_16reverse_iteratorISI_EEEEENSH_IJSG_SG_SG_EEES9_SI_JZNS1_25segmented_radix_sort_implINS0_14default_configELb1EPK12hip_bfloat16PSP_PKlPlN2at6native12_GLOBAL__N_18offset_tEEE10hipError_tPvRmT1_PNSt15iterator_traitsIS13_E10value_typeET2_T3_PNS14_IS19_E10value_typeET4_jRbjT5_S1F_jjP12ihipStream_tbEUljE_ZNSN_ISO_Lb1ESR_SS_SU_SV_SZ_EES10_S11_S12_S13_S17_S18_S19_S1C_S1D_jS1E_jS1F_S1F_jjS1H_bEUljE0_EEES10_S11_S12_S19_S1D_S1F_T6_T7_T9_mT8_S1H_bDpT10_ENKUlT_T0_E_clISt17integral_constantIbLb1EES1V_EEDaS1Q_S1R_EUlS1Q_E_NS1_11comp_targetILNS1_3genE3ELNS1_11target_archE908ELNS1_3gpuE7ELNS1_3repE0EEENS1_30default_config_static_selectorELNS0_4arch9wavefront6targetE0EEEvS13_.uses_flat_scratch, 0
	.set _ZN7rocprim17ROCPRIM_400000_NS6detail17trampoline_kernelINS0_13select_configILj256ELj13ELNS0_17block_load_methodE3ELS4_3ELS4_3ELNS0_20block_scan_algorithmE0ELj4294967295EEENS1_25partition_config_selectorILNS1_17partition_subalgoE4EjNS0_10empty_typeEbEEZZNS1_14partition_implILS8_4ELb0ES6_15HIP_vector_typeIjLj2EENS0_17counting_iteratorIjlEEPS9_SG_NS0_5tupleIJPjSI_NS0_16reverse_iteratorISI_EEEEENSH_IJSG_SG_SG_EEES9_SI_JZNS1_25segmented_radix_sort_implINS0_14default_configELb1EPK12hip_bfloat16PSP_PKlPlN2at6native12_GLOBAL__N_18offset_tEEE10hipError_tPvRmT1_PNSt15iterator_traitsIS13_E10value_typeET2_T3_PNS14_IS19_E10value_typeET4_jRbjT5_S1F_jjP12ihipStream_tbEUljE_ZNSN_ISO_Lb1ESR_SS_SU_SV_SZ_EES10_S11_S12_S13_S17_S18_S19_S1C_S1D_jS1E_jS1F_S1F_jjS1H_bEUljE0_EEES10_S11_S12_S19_S1D_S1F_T6_T7_T9_mT8_S1H_bDpT10_ENKUlT_T0_E_clISt17integral_constantIbLb1EES1V_EEDaS1Q_S1R_EUlS1Q_E_NS1_11comp_targetILNS1_3genE3ELNS1_11target_archE908ELNS1_3gpuE7ELNS1_3repE0EEENS1_30default_config_static_selectorELNS0_4arch9wavefront6targetE0EEEvS13_.has_dyn_sized_stack, 0
	.set _ZN7rocprim17ROCPRIM_400000_NS6detail17trampoline_kernelINS0_13select_configILj256ELj13ELNS0_17block_load_methodE3ELS4_3ELS4_3ELNS0_20block_scan_algorithmE0ELj4294967295EEENS1_25partition_config_selectorILNS1_17partition_subalgoE4EjNS0_10empty_typeEbEEZZNS1_14partition_implILS8_4ELb0ES6_15HIP_vector_typeIjLj2EENS0_17counting_iteratorIjlEEPS9_SG_NS0_5tupleIJPjSI_NS0_16reverse_iteratorISI_EEEEENSH_IJSG_SG_SG_EEES9_SI_JZNS1_25segmented_radix_sort_implINS0_14default_configELb1EPK12hip_bfloat16PSP_PKlPlN2at6native12_GLOBAL__N_18offset_tEEE10hipError_tPvRmT1_PNSt15iterator_traitsIS13_E10value_typeET2_T3_PNS14_IS19_E10value_typeET4_jRbjT5_S1F_jjP12ihipStream_tbEUljE_ZNSN_ISO_Lb1ESR_SS_SU_SV_SZ_EES10_S11_S12_S13_S17_S18_S19_S1C_S1D_jS1E_jS1F_S1F_jjS1H_bEUljE0_EEES10_S11_S12_S19_S1D_S1F_T6_T7_T9_mT8_S1H_bDpT10_ENKUlT_T0_E_clISt17integral_constantIbLb1EES1V_EEDaS1Q_S1R_EUlS1Q_E_NS1_11comp_targetILNS1_3genE3ELNS1_11target_archE908ELNS1_3gpuE7ELNS1_3repE0EEENS1_30default_config_static_selectorELNS0_4arch9wavefront6targetE0EEEvS13_.has_recursion, 0
	.set _ZN7rocprim17ROCPRIM_400000_NS6detail17trampoline_kernelINS0_13select_configILj256ELj13ELNS0_17block_load_methodE3ELS4_3ELS4_3ELNS0_20block_scan_algorithmE0ELj4294967295EEENS1_25partition_config_selectorILNS1_17partition_subalgoE4EjNS0_10empty_typeEbEEZZNS1_14partition_implILS8_4ELb0ES6_15HIP_vector_typeIjLj2EENS0_17counting_iteratorIjlEEPS9_SG_NS0_5tupleIJPjSI_NS0_16reverse_iteratorISI_EEEEENSH_IJSG_SG_SG_EEES9_SI_JZNS1_25segmented_radix_sort_implINS0_14default_configELb1EPK12hip_bfloat16PSP_PKlPlN2at6native12_GLOBAL__N_18offset_tEEE10hipError_tPvRmT1_PNSt15iterator_traitsIS13_E10value_typeET2_T3_PNS14_IS19_E10value_typeET4_jRbjT5_S1F_jjP12ihipStream_tbEUljE_ZNSN_ISO_Lb1ESR_SS_SU_SV_SZ_EES10_S11_S12_S13_S17_S18_S19_S1C_S1D_jS1E_jS1F_S1F_jjS1H_bEUljE0_EEES10_S11_S12_S19_S1D_S1F_T6_T7_T9_mT8_S1H_bDpT10_ENKUlT_T0_E_clISt17integral_constantIbLb1EES1V_EEDaS1Q_S1R_EUlS1Q_E_NS1_11comp_targetILNS1_3genE3ELNS1_11target_archE908ELNS1_3gpuE7ELNS1_3repE0EEENS1_30default_config_static_selectorELNS0_4arch9wavefront6targetE0EEEvS13_.has_indirect_call, 0
	.section	.AMDGPU.csdata,"",@progbits
; Kernel info:
; codeLenInByte = 0
; TotalNumSgprs: 0
; NumVgprs: 0
; ScratchSize: 0
; MemoryBound: 0
; FloatMode: 240
; IeeeMode: 1
; LDSByteSize: 0 bytes/workgroup (compile time only)
; SGPRBlocks: 0
; VGPRBlocks: 0
; NumSGPRsForWavesPerEU: 1
; NumVGPRsForWavesPerEU: 1
; Occupancy: 16
; WaveLimiterHint : 0
; COMPUTE_PGM_RSRC2:SCRATCH_EN: 0
; COMPUTE_PGM_RSRC2:USER_SGPR: 2
; COMPUTE_PGM_RSRC2:TRAP_HANDLER: 0
; COMPUTE_PGM_RSRC2:TGID_X_EN: 1
; COMPUTE_PGM_RSRC2:TGID_Y_EN: 0
; COMPUTE_PGM_RSRC2:TGID_Z_EN: 0
; COMPUTE_PGM_RSRC2:TIDIG_COMP_CNT: 0
	.section	.text._ZN7rocprim17ROCPRIM_400000_NS6detail17trampoline_kernelINS0_13select_configILj256ELj13ELNS0_17block_load_methodE3ELS4_3ELS4_3ELNS0_20block_scan_algorithmE0ELj4294967295EEENS1_25partition_config_selectorILNS1_17partition_subalgoE4EjNS0_10empty_typeEbEEZZNS1_14partition_implILS8_4ELb0ES6_15HIP_vector_typeIjLj2EENS0_17counting_iteratorIjlEEPS9_SG_NS0_5tupleIJPjSI_NS0_16reverse_iteratorISI_EEEEENSH_IJSG_SG_SG_EEES9_SI_JZNS1_25segmented_radix_sort_implINS0_14default_configELb1EPK12hip_bfloat16PSP_PKlPlN2at6native12_GLOBAL__N_18offset_tEEE10hipError_tPvRmT1_PNSt15iterator_traitsIS13_E10value_typeET2_T3_PNS14_IS19_E10value_typeET4_jRbjT5_S1F_jjP12ihipStream_tbEUljE_ZNSN_ISO_Lb1ESR_SS_SU_SV_SZ_EES10_S11_S12_S13_S17_S18_S19_S1C_S1D_jS1E_jS1F_S1F_jjS1H_bEUljE0_EEES10_S11_S12_S19_S1D_S1F_T6_T7_T9_mT8_S1H_bDpT10_ENKUlT_T0_E_clISt17integral_constantIbLb1EES1V_EEDaS1Q_S1R_EUlS1Q_E_NS1_11comp_targetILNS1_3genE2ELNS1_11target_archE906ELNS1_3gpuE6ELNS1_3repE0EEENS1_30default_config_static_selectorELNS0_4arch9wavefront6targetE0EEEvS13_,"axG",@progbits,_ZN7rocprim17ROCPRIM_400000_NS6detail17trampoline_kernelINS0_13select_configILj256ELj13ELNS0_17block_load_methodE3ELS4_3ELS4_3ELNS0_20block_scan_algorithmE0ELj4294967295EEENS1_25partition_config_selectorILNS1_17partition_subalgoE4EjNS0_10empty_typeEbEEZZNS1_14partition_implILS8_4ELb0ES6_15HIP_vector_typeIjLj2EENS0_17counting_iteratorIjlEEPS9_SG_NS0_5tupleIJPjSI_NS0_16reverse_iteratorISI_EEEEENSH_IJSG_SG_SG_EEES9_SI_JZNS1_25segmented_radix_sort_implINS0_14default_configELb1EPK12hip_bfloat16PSP_PKlPlN2at6native12_GLOBAL__N_18offset_tEEE10hipError_tPvRmT1_PNSt15iterator_traitsIS13_E10value_typeET2_T3_PNS14_IS19_E10value_typeET4_jRbjT5_S1F_jjP12ihipStream_tbEUljE_ZNSN_ISO_Lb1ESR_SS_SU_SV_SZ_EES10_S11_S12_S13_S17_S18_S19_S1C_S1D_jS1E_jS1F_S1F_jjS1H_bEUljE0_EEES10_S11_S12_S19_S1D_S1F_T6_T7_T9_mT8_S1H_bDpT10_ENKUlT_T0_E_clISt17integral_constantIbLb1EES1V_EEDaS1Q_S1R_EUlS1Q_E_NS1_11comp_targetILNS1_3genE2ELNS1_11target_archE906ELNS1_3gpuE6ELNS1_3repE0EEENS1_30default_config_static_selectorELNS0_4arch9wavefront6targetE0EEEvS13_,comdat
	.globl	_ZN7rocprim17ROCPRIM_400000_NS6detail17trampoline_kernelINS0_13select_configILj256ELj13ELNS0_17block_load_methodE3ELS4_3ELS4_3ELNS0_20block_scan_algorithmE0ELj4294967295EEENS1_25partition_config_selectorILNS1_17partition_subalgoE4EjNS0_10empty_typeEbEEZZNS1_14partition_implILS8_4ELb0ES6_15HIP_vector_typeIjLj2EENS0_17counting_iteratorIjlEEPS9_SG_NS0_5tupleIJPjSI_NS0_16reverse_iteratorISI_EEEEENSH_IJSG_SG_SG_EEES9_SI_JZNS1_25segmented_radix_sort_implINS0_14default_configELb1EPK12hip_bfloat16PSP_PKlPlN2at6native12_GLOBAL__N_18offset_tEEE10hipError_tPvRmT1_PNSt15iterator_traitsIS13_E10value_typeET2_T3_PNS14_IS19_E10value_typeET4_jRbjT5_S1F_jjP12ihipStream_tbEUljE_ZNSN_ISO_Lb1ESR_SS_SU_SV_SZ_EES10_S11_S12_S13_S17_S18_S19_S1C_S1D_jS1E_jS1F_S1F_jjS1H_bEUljE0_EEES10_S11_S12_S19_S1D_S1F_T6_T7_T9_mT8_S1H_bDpT10_ENKUlT_T0_E_clISt17integral_constantIbLb1EES1V_EEDaS1Q_S1R_EUlS1Q_E_NS1_11comp_targetILNS1_3genE2ELNS1_11target_archE906ELNS1_3gpuE6ELNS1_3repE0EEENS1_30default_config_static_selectorELNS0_4arch9wavefront6targetE0EEEvS13_ ; -- Begin function _ZN7rocprim17ROCPRIM_400000_NS6detail17trampoline_kernelINS0_13select_configILj256ELj13ELNS0_17block_load_methodE3ELS4_3ELS4_3ELNS0_20block_scan_algorithmE0ELj4294967295EEENS1_25partition_config_selectorILNS1_17partition_subalgoE4EjNS0_10empty_typeEbEEZZNS1_14partition_implILS8_4ELb0ES6_15HIP_vector_typeIjLj2EENS0_17counting_iteratorIjlEEPS9_SG_NS0_5tupleIJPjSI_NS0_16reverse_iteratorISI_EEEEENSH_IJSG_SG_SG_EEES9_SI_JZNS1_25segmented_radix_sort_implINS0_14default_configELb1EPK12hip_bfloat16PSP_PKlPlN2at6native12_GLOBAL__N_18offset_tEEE10hipError_tPvRmT1_PNSt15iterator_traitsIS13_E10value_typeET2_T3_PNS14_IS19_E10value_typeET4_jRbjT5_S1F_jjP12ihipStream_tbEUljE_ZNSN_ISO_Lb1ESR_SS_SU_SV_SZ_EES10_S11_S12_S13_S17_S18_S19_S1C_S1D_jS1E_jS1F_S1F_jjS1H_bEUljE0_EEES10_S11_S12_S19_S1D_S1F_T6_T7_T9_mT8_S1H_bDpT10_ENKUlT_T0_E_clISt17integral_constantIbLb1EES1V_EEDaS1Q_S1R_EUlS1Q_E_NS1_11comp_targetILNS1_3genE2ELNS1_11target_archE906ELNS1_3gpuE6ELNS1_3repE0EEENS1_30default_config_static_selectorELNS0_4arch9wavefront6targetE0EEEvS13_
	.p2align	8
	.type	_ZN7rocprim17ROCPRIM_400000_NS6detail17trampoline_kernelINS0_13select_configILj256ELj13ELNS0_17block_load_methodE3ELS4_3ELS4_3ELNS0_20block_scan_algorithmE0ELj4294967295EEENS1_25partition_config_selectorILNS1_17partition_subalgoE4EjNS0_10empty_typeEbEEZZNS1_14partition_implILS8_4ELb0ES6_15HIP_vector_typeIjLj2EENS0_17counting_iteratorIjlEEPS9_SG_NS0_5tupleIJPjSI_NS0_16reverse_iteratorISI_EEEEENSH_IJSG_SG_SG_EEES9_SI_JZNS1_25segmented_radix_sort_implINS0_14default_configELb1EPK12hip_bfloat16PSP_PKlPlN2at6native12_GLOBAL__N_18offset_tEEE10hipError_tPvRmT1_PNSt15iterator_traitsIS13_E10value_typeET2_T3_PNS14_IS19_E10value_typeET4_jRbjT5_S1F_jjP12ihipStream_tbEUljE_ZNSN_ISO_Lb1ESR_SS_SU_SV_SZ_EES10_S11_S12_S13_S17_S18_S19_S1C_S1D_jS1E_jS1F_S1F_jjS1H_bEUljE0_EEES10_S11_S12_S19_S1D_S1F_T6_T7_T9_mT8_S1H_bDpT10_ENKUlT_T0_E_clISt17integral_constantIbLb1EES1V_EEDaS1Q_S1R_EUlS1Q_E_NS1_11comp_targetILNS1_3genE2ELNS1_11target_archE906ELNS1_3gpuE6ELNS1_3repE0EEENS1_30default_config_static_selectorELNS0_4arch9wavefront6targetE0EEEvS13_,@function
_ZN7rocprim17ROCPRIM_400000_NS6detail17trampoline_kernelINS0_13select_configILj256ELj13ELNS0_17block_load_methodE3ELS4_3ELS4_3ELNS0_20block_scan_algorithmE0ELj4294967295EEENS1_25partition_config_selectorILNS1_17partition_subalgoE4EjNS0_10empty_typeEbEEZZNS1_14partition_implILS8_4ELb0ES6_15HIP_vector_typeIjLj2EENS0_17counting_iteratorIjlEEPS9_SG_NS0_5tupleIJPjSI_NS0_16reverse_iteratorISI_EEEEENSH_IJSG_SG_SG_EEES9_SI_JZNS1_25segmented_radix_sort_implINS0_14default_configELb1EPK12hip_bfloat16PSP_PKlPlN2at6native12_GLOBAL__N_18offset_tEEE10hipError_tPvRmT1_PNSt15iterator_traitsIS13_E10value_typeET2_T3_PNS14_IS19_E10value_typeET4_jRbjT5_S1F_jjP12ihipStream_tbEUljE_ZNSN_ISO_Lb1ESR_SS_SU_SV_SZ_EES10_S11_S12_S13_S17_S18_S19_S1C_S1D_jS1E_jS1F_S1F_jjS1H_bEUljE0_EEES10_S11_S12_S19_S1D_S1F_T6_T7_T9_mT8_S1H_bDpT10_ENKUlT_T0_E_clISt17integral_constantIbLb1EES1V_EEDaS1Q_S1R_EUlS1Q_E_NS1_11comp_targetILNS1_3genE2ELNS1_11target_archE906ELNS1_3gpuE6ELNS1_3repE0EEENS1_30default_config_static_selectorELNS0_4arch9wavefront6targetE0EEEvS13_: ; @_ZN7rocprim17ROCPRIM_400000_NS6detail17trampoline_kernelINS0_13select_configILj256ELj13ELNS0_17block_load_methodE3ELS4_3ELS4_3ELNS0_20block_scan_algorithmE0ELj4294967295EEENS1_25partition_config_selectorILNS1_17partition_subalgoE4EjNS0_10empty_typeEbEEZZNS1_14partition_implILS8_4ELb0ES6_15HIP_vector_typeIjLj2EENS0_17counting_iteratorIjlEEPS9_SG_NS0_5tupleIJPjSI_NS0_16reverse_iteratorISI_EEEEENSH_IJSG_SG_SG_EEES9_SI_JZNS1_25segmented_radix_sort_implINS0_14default_configELb1EPK12hip_bfloat16PSP_PKlPlN2at6native12_GLOBAL__N_18offset_tEEE10hipError_tPvRmT1_PNSt15iterator_traitsIS13_E10value_typeET2_T3_PNS14_IS19_E10value_typeET4_jRbjT5_S1F_jjP12ihipStream_tbEUljE_ZNSN_ISO_Lb1ESR_SS_SU_SV_SZ_EES10_S11_S12_S13_S17_S18_S19_S1C_S1D_jS1E_jS1F_S1F_jjS1H_bEUljE0_EEES10_S11_S12_S19_S1D_S1F_T6_T7_T9_mT8_S1H_bDpT10_ENKUlT_T0_E_clISt17integral_constantIbLb1EES1V_EEDaS1Q_S1R_EUlS1Q_E_NS1_11comp_targetILNS1_3genE2ELNS1_11target_archE906ELNS1_3gpuE6ELNS1_3repE0EEENS1_30default_config_static_selectorELNS0_4arch9wavefront6targetE0EEEvS13_
; %bb.0:
	.section	.rodata,"a",@progbits
	.p2align	6, 0x0
	.amdhsa_kernel _ZN7rocprim17ROCPRIM_400000_NS6detail17trampoline_kernelINS0_13select_configILj256ELj13ELNS0_17block_load_methodE3ELS4_3ELS4_3ELNS0_20block_scan_algorithmE0ELj4294967295EEENS1_25partition_config_selectorILNS1_17partition_subalgoE4EjNS0_10empty_typeEbEEZZNS1_14partition_implILS8_4ELb0ES6_15HIP_vector_typeIjLj2EENS0_17counting_iteratorIjlEEPS9_SG_NS0_5tupleIJPjSI_NS0_16reverse_iteratorISI_EEEEENSH_IJSG_SG_SG_EEES9_SI_JZNS1_25segmented_radix_sort_implINS0_14default_configELb1EPK12hip_bfloat16PSP_PKlPlN2at6native12_GLOBAL__N_18offset_tEEE10hipError_tPvRmT1_PNSt15iterator_traitsIS13_E10value_typeET2_T3_PNS14_IS19_E10value_typeET4_jRbjT5_S1F_jjP12ihipStream_tbEUljE_ZNSN_ISO_Lb1ESR_SS_SU_SV_SZ_EES10_S11_S12_S13_S17_S18_S19_S1C_S1D_jS1E_jS1F_S1F_jjS1H_bEUljE0_EEES10_S11_S12_S19_S1D_S1F_T6_T7_T9_mT8_S1H_bDpT10_ENKUlT_T0_E_clISt17integral_constantIbLb1EES1V_EEDaS1Q_S1R_EUlS1Q_E_NS1_11comp_targetILNS1_3genE2ELNS1_11target_archE906ELNS1_3gpuE6ELNS1_3repE0EEENS1_30default_config_static_selectorELNS0_4arch9wavefront6targetE0EEEvS13_
		.amdhsa_group_segment_fixed_size 0
		.amdhsa_private_segment_fixed_size 0
		.amdhsa_kernarg_size 184
		.amdhsa_user_sgpr_count 2
		.amdhsa_user_sgpr_dispatch_ptr 0
		.amdhsa_user_sgpr_queue_ptr 0
		.amdhsa_user_sgpr_kernarg_segment_ptr 1
		.amdhsa_user_sgpr_dispatch_id 0
		.amdhsa_user_sgpr_private_segment_size 0
		.amdhsa_wavefront_size32 1
		.amdhsa_uses_dynamic_stack 0
		.amdhsa_enable_private_segment 0
		.amdhsa_system_sgpr_workgroup_id_x 1
		.amdhsa_system_sgpr_workgroup_id_y 0
		.amdhsa_system_sgpr_workgroup_id_z 0
		.amdhsa_system_sgpr_workgroup_info 0
		.amdhsa_system_vgpr_workitem_id 0
		.amdhsa_next_free_vgpr 1
		.amdhsa_next_free_sgpr 1
		.amdhsa_reserve_vcc 0
		.amdhsa_float_round_mode_32 0
		.amdhsa_float_round_mode_16_64 0
		.amdhsa_float_denorm_mode_32 3
		.amdhsa_float_denorm_mode_16_64 3
		.amdhsa_fp16_overflow 0
		.amdhsa_workgroup_processor_mode 1
		.amdhsa_memory_ordered 1
		.amdhsa_forward_progress 1
		.amdhsa_inst_pref_size 0
		.amdhsa_round_robin_scheduling 0
		.amdhsa_exception_fp_ieee_invalid_op 0
		.amdhsa_exception_fp_denorm_src 0
		.amdhsa_exception_fp_ieee_div_zero 0
		.amdhsa_exception_fp_ieee_overflow 0
		.amdhsa_exception_fp_ieee_underflow 0
		.amdhsa_exception_fp_ieee_inexact 0
		.amdhsa_exception_int_div_zero 0
	.end_amdhsa_kernel
	.section	.text._ZN7rocprim17ROCPRIM_400000_NS6detail17trampoline_kernelINS0_13select_configILj256ELj13ELNS0_17block_load_methodE3ELS4_3ELS4_3ELNS0_20block_scan_algorithmE0ELj4294967295EEENS1_25partition_config_selectorILNS1_17partition_subalgoE4EjNS0_10empty_typeEbEEZZNS1_14partition_implILS8_4ELb0ES6_15HIP_vector_typeIjLj2EENS0_17counting_iteratorIjlEEPS9_SG_NS0_5tupleIJPjSI_NS0_16reverse_iteratorISI_EEEEENSH_IJSG_SG_SG_EEES9_SI_JZNS1_25segmented_radix_sort_implINS0_14default_configELb1EPK12hip_bfloat16PSP_PKlPlN2at6native12_GLOBAL__N_18offset_tEEE10hipError_tPvRmT1_PNSt15iterator_traitsIS13_E10value_typeET2_T3_PNS14_IS19_E10value_typeET4_jRbjT5_S1F_jjP12ihipStream_tbEUljE_ZNSN_ISO_Lb1ESR_SS_SU_SV_SZ_EES10_S11_S12_S13_S17_S18_S19_S1C_S1D_jS1E_jS1F_S1F_jjS1H_bEUljE0_EEES10_S11_S12_S19_S1D_S1F_T6_T7_T9_mT8_S1H_bDpT10_ENKUlT_T0_E_clISt17integral_constantIbLb1EES1V_EEDaS1Q_S1R_EUlS1Q_E_NS1_11comp_targetILNS1_3genE2ELNS1_11target_archE906ELNS1_3gpuE6ELNS1_3repE0EEENS1_30default_config_static_selectorELNS0_4arch9wavefront6targetE0EEEvS13_,"axG",@progbits,_ZN7rocprim17ROCPRIM_400000_NS6detail17trampoline_kernelINS0_13select_configILj256ELj13ELNS0_17block_load_methodE3ELS4_3ELS4_3ELNS0_20block_scan_algorithmE0ELj4294967295EEENS1_25partition_config_selectorILNS1_17partition_subalgoE4EjNS0_10empty_typeEbEEZZNS1_14partition_implILS8_4ELb0ES6_15HIP_vector_typeIjLj2EENS0_17counting_iteratorIjlEEPS9_SG_NS0_5tupleIJPjSI_NS0_16reverse_iteratorISI_EEEEENSH_IJSG_SG_SG_EEES9_SI_JZNS1_25segmented_radix_sort_implINS0_14default_configELb1EPK12hip_bfloat16PSP_PKlPlN2at6native12_GLOBAL__N_18offset_tEEE10hipError_tPvRmT1_PNSt15iterator_traitsIS13_E10value_typeET2_T3_PNS14_IS19_E10value_typeET4_jRbjT5_S1F_jjP12ihipStream_tbEUljE_ZNSN_ISO_Lb1ESR_SS_SU_SV_SZ_EES10_S11_S12_S13_S17_S18_S19_S1C_S1D_jS1E_jS1F_S1F_jjS1H_bEUljE0_EEES10_S11_S12_S19_S1D_S1F_T6_T7_T9_mT8_S1H_bDpT10_ENKUlT_T0_E_clISt17integral_constantIbLb1EES1V_EEDaS1Q_S1R_EUlS1Q_E_NS1_11comp_targetILNS1_3genE2ELNS1_11target_archE906ELNS1_3gpuE6ELNS1_3repE0EEENS1_30default_config_static_selectorELNS0_4arch9wavefront6targetE0EEEvS13_,comdat
.Lfunc_end1894:
	.size	_ZN7rocprim17ROCPRIM_400000_NS6detail17trampoline_kernelINS0_13select_configILj256ELj13ELNS0_17block_load_methodE3ELS4_3ELS4_3ELNS0_20block_scan_algorithmE0ELj4294967295EEENS1_25partition_config_selectorILNS1_17partition_subalgoE4EjNS0_10empty_typeEbEEZZNS1_14partition_implILS8_4ELb0ES6_15HIP_vector_typeIjLj2EENS0_17counting_iteratorIjlEEPS9_SG_NS0_5tupleIJPjSI_NS0_16reverse_iteratorISI_EEEEENSH_IJSG_SG_SG_EEES9_SI_JZNS1_25segmented_radix_sort_implINS0_14default_configELb1EPK12hip_bfloat16PSP_PKlPlN2at6native12_GLOBAL__N_18offset_tEEE10hipError_tPvRmT1_PNSt15iterator_traitsIS13_E10value_typeET2_T3_PNS14_IS19_E10value_typeET4_jRbjT5_S1F_jjP12ihipStream_tbEUljE_ZNSN_ISO_Lb1ESR_SS_SU_SV_SZ_EES10_S11_S12_S13_S17_S18_S19_S1C_S1D_jS1E_jS1F_S1F_jjS1H_bEUljE0_EEES10_S11_S12_S19_S1D_S1F_T6_T7_T9_mT8_S1H_bDpT10_ENKUlT_T0_E_clISt17integral_constantIbLb1EES1V_EEDaS1Q_S1R_EUlS1Q_E_NS1_11comp_targetILNS1_3genE2ELNS1_11target_archE906ELNS1_3gpuE6ELNS1_3repE0EEENS1_30default_config_static_selectorELNS0_4arch9wavefront6targetE0EEEvS13_, .Lfunc_end1894-_ZN7rocprim17ROCPRIM_400000_NS6detail17trampoline_kernelINS0_13select_configILj256ELj13ELNS0_17block_load_methodE3ELS4_3ELS4_3ELNS0_20block_scan_algorithmE0ELj4294967295EEENS1_25partition_config_selectorILNS1_17partition_subalgoE4EjNS0_10empty_typeEbEEZZNS1_14partition_implILS8_4ELb0ES6_15HIP_vector_typeIjLj2EENS0_17counting_iteratorIjlEEPS9_SG_NS0_5tupleIJPjSI_NS0_16reverse_iteratorISI_EEEEENSH_IJSG_SG_SG_EEES9_SI_JZNS1_25segmented_radix_sort_implINS0_14default_configELb1EPK12hip_bfloat16PSP_PKlPlN2at6native12_GLOBAL__N_18offset_tEEE10hipError_tPvRmT1_PNSt15iterator_traitsIS13_E10value_typeET2_T3_PNS14_IS19_E10value_typeET4_jRbjT5_S1F_jjP12ihipStream_tbEUljE_ZNSN_ISO_Lb1ESR_SS_SU_SV_SZ_EES10_S11_S12_S13_S17_S18_S19_S1C_S1D_jS1E_jS1F_S1F_jjS1H_bEUljE0_EEES10_S11_S12_S19_S1D_S1F_T6_T7_T9_mT8_S1H_bDpT10_ENKUlT_T0_E_clISt17integral_constantIbLb1EES1V_EEDaS1Q_S1R_EUlS1Q_E_NS1_11comp_targetILNS1_3genE2ELNS1_11target_archE906ELNS1_3gpuE6ELNS1_3repE0EEENS1_30default_config_static_selectorELNS0_4arch9wavefront6targetE0EEEvS13_
                                        ; -- End function
	.set _ZN7rocprim17ROCPRIM_400000_NS6detail17trampoline_kernelINS0_13select_configILj256ELj13ELNS0_17block_load_methodE3ELS4_3ELS4_3ELNS0_20block_scan_algorithmE0ELj4294967295EEENS1_25partition_config_selectorILNS1_17partition_subalgoE4EjNS0_10empty_typeEbEEZZNS1_14partition_implILS8_4ELb0ES6_15HIP_vector_typeIjLj2EENS0_17counting_iteratorIjlEEPS9_SG_NS0_5tupleIJPjSI_NS0_16reverse_iteratorISI_EEEEENSH_IJSG_SG_SG_EEES9_SI_JZNS1_25segmented_radix_sort_implINS0_14default_configELb1EPK12hip_bfloat16PSP_PKlPlN2at6native12_GLOBAL__N_18offset_tEEE10hipError_tPvRmT1_PNSt15iterator_traitsIS13_E10value_typeET2_T3_PNS14_IS19_E10value_typeET4_jRbjT5_S1F_jjP12ihipStream_tbEUljE_ZNSN_ISO_Lb1ESR_SS_SU_SV_SZ_EES10_S11_S12_S13_S17_S18_S19_S1C_S1D_jS1E_jS1F_S1F_jjS1H_bEUljE0_EEES10_S11_S12_S19_S1D_S1F_T6_T7_T9_mT8_S1H_bDpT10_ENKUlT_T0_E_clISt17integral_constantIbLb1EES1V_EEDaS1Q_S1R_EUlS1Q_E_NS1_11comp_targetILNS1_3genE2ELNS1_11target_archE906ELNS1_3gpuE6ELNS1_3repE0EEENS1_30default_config_static_selectorELNS0_4arch9wavefront6targetE0EEEvS13_.num_vgpr, 0
	.set _ZN7rocprim17ROCPRIM_400000_NS6detail17trampoline_kernelINS0_13select_configILj256ELj13ELNS0_17block_load_methodE3ELS4_3ELS4_3ELNS0_20block_scan_algorithmE0ELj4294967295EEENS1_25partition_config_selectorILNS1_17partition_subalgoE4EjNS0_10empty_typeEbEEZZNS1_14partition_implILS8_4ELb0ES6_15HIP_vector_typeIjLj2EENS0_17counting_iteratorIjlEEPS9_SG_NS0_5tupleIJPjSI_NS0_16reverse_iteratorISI_EEEEENSH_IJSG_SG_SG_EEES9_SI_JZNS1_25segmented_radix_sort_implINS0_14default_configELb1EPK12hip_bfloat16PSP_PKlPlN2at6native12_GLOBAL__N_18offset_tEEE10hipError_tPvRmT1_PNSt15iterator_traitsIS13_E10value_typeET2_T3_PNS14_IS19_E10value_typeET4_jRbjT5_S1F_jjP12ihipStream_tbEUljE_ZNSN_ISO_Lb1ESR_SS_SU_SV_SZ_EES10_S11_S12_S13_S17_S18_S19_S1C_S1D_jS1E_jS1F_S1F_jjS1H_bEUljE0_EEES10_S11_S12_S19_S1D_S1F_T6_T7_T9_mT8_S1H_bDpT10_ENKUlT_T0_E_clISt17integral_constantIbLb1EES1V_EEDaS1Q_S1R_EUlS1Q_E_NS1_11comp_targetILNS1_3genE2ELNS1_11target_archE906ELNS1_3gpuE6ELNS1_3repE0EEENS1_30default_config_static_selectorELNS0_4arch9wavefront6targetE0EEEvS13_.num_agpr, 0
	.set _ZN7rocprim17ROCPRIM_400000_NS6detail17trampoline_kernelINS0_13select_configILj256ELj13ELNS0_17block_load_methodE3ELS4_3ELS4_3ELNS0_20block_scan_algorithmE0ELj4294967295EEENS1_25partition_config_selectorILNS1_17partition_subalgoE4EjNS0_10empty_typeEbEEZZNS1_14partition_implILS8_4ELb0ES6_15HIP_vector_typeIjLj2EENS0_17counting_iteratorIjlEEPS9_SG_NS0_5tupleIJPjSI_NS0_16reverse_iteratorISI_EEEEENSH_IJSG_SG_SG_EEES9_SI_JZNS1_25segmented_radix_sort_implINS0_14default_configELb1EPK12hip_bfloat16PSP_PKlPlN2at6native12_GLOBAL__N_18offset_tEEE10hipError_tPvRmT1_PNSt15iterator_traitsIS13_E10value_typeET2_T3_PNS14_IS19_E10value_typeET4_jRbjT5_S1F_jjP12ihipStream_tbEUljE_ZNSN_ISO_Lb1ESR_SS_SU_SV_SZ_EES10_S11_S12_S13_S17_S18_S19_S1C_S1D_jS1E_jS1F_S1F_jjS1H_bEUljE0_EEES10_S11_S12_S19_S1D_S1F_T6_T7_T9_mT8_S1H_bDpT10_ENKUlT_T0_E_clISt17integral_constantIbLb1EES1V_EEDaS1Q_S1R_EUlS1Q_E_NS1_11comp_targetILNS1_3genE2ELNS1_11target_archE906ELNS1_3gpuE6ELNS1_3repE0EEENS1_30default_config_static_selectorELNS0_4arch9wavefront6targetE0EEEvS13_.numbered_sgpr, 0
	.set _ZN7rocprim17ROCPRIM_400000_NS6detail17trampoline_kernelINS0_13select_configILj256ELj13ELNS0_17block_load_methodE3ELS4_3ELS4_3ELNS0_20block_scan_algorithmE0ELj4294967295EEENS1_25partition_config_selectorILNS1_17partition_subalgoE4EjNS0_10empty_typeEbEEZZNS1_14partition_implILS8_4ELb0ES6_15HIP_vector_typeIjLj2EENS0_17counting_iteratorIjlEEPS9_SG_NS0_5tupleIJPjSI_NS0_16reverse_iteratorISI_EEEEENSH_IJSG_SG_SG_EEES9_SI_JZNS1_25segmented_radix_sort_implINS0_14default_configELb1EPK12hip_bfloat16PSP_PKlPlN2at6native12_GLOBAL__N_18offset_tEEE10hipError_tPvRmT1_PNSt15iterator_traitsIS13_E10value_typeET2_T3_PNS14_IS19_E10value_typeET4_jRbjT5_S1F_jjP12ihipStream_tbEUljE_ZNSN_ISO_Lb1ESR_SS_SU_SV_SZ_EES10_S11_S12_S13_S17_S18_S19_S1C_S1D_jS1E_jS1F_S1F_jjS1H_bEUljE0_EEES10_S11_S12_S19_S1D_S1F_T6_T7_T9_mT8_S1H_bDpT10_ENKUlT_T0_E_clISt17integral_constantIbLb1EES1V_EEDaS1Q_S1R_EUlS1Q_E_NS1_11comp_targetILNS1_3genE2ELNS1_11target_archE906ELNS1_3gpuE6ELNS1_3repE0EEENS1_30default_config_static_selectorELNS0_4arch9wavefront6targetE0EEEvS13_.num_named_barrier, 0
	.set _ZN7rocprim17ROCPRIM_400000_NS6detail17trampoline_kernelINS0_13select_configILj256ELj13ELNS0_17block_load_methodE3ELS4_3ELS4_3ELNS0_20block_scan_algorithmE0ELj4294967295EEENS1_25partition_config_selectorILNS1_17partition_subalgoE4EjNS0_10empty_typeEbEEZZNS1_14partition_implILS8_4ELb0ES6_15HIP_vector_typeIjLj2EENS0_17counting_iteratorIjlEEPS9_SG_NS0_5tupleIJPjSI_NS0_16reverse_iteratorISI_EEEEENSH_IJSG_SG_SG_EEES9_SI_JZNS1_25segmented_radix_sort_implINS0_14default_configELb1EPK12hip_bfloat16PSP_PKlPlN2at6native12_GLOBAL__N_18offset_tEEE10hipError_tPvRmT1_PNSt15iterator_traitsIS13_E10value_typeET2_T3_PNS14_IS19_E10value_typeET4_jRbjT5_S1F_jjP12ihipStream_tbEUljE_ZNSN_ISO_Lb1ESR_SS_SU_SV_SZ_EES10_S11_S12_S13_S17_S18_S19_S1C_S1D_jS1E_jS1F_S1F_jjS1H_bEUljE0_EEES10_S11_S12_S19_S1D_S1F_T6_T7_T9_mT8_S1H_bDpT10_ENKUlT_T0_E_clISt17integral_constantIbLb1EES1V_EEDaS1Q_S1R_EUlS1Q_E_NS1_11comp_targetILNS1_3genE2ELNS1_11target_archE906ELNS1_3gpuE6ELNS1_3repE0EEENS1_30default_config_static_selectorELNS0_4arch9wavefront6targetE0EEEvS13_.private_seg_size, 0
	.set _ZN7rocprim17ROCPRIM_400000_NS6detail17trampoline_kernelINS0_13select_configILj256ELj13ELNS0_17block_load_methodE3ELS4_3ELS4_3ELNS0_20block_scan_algorithmE0ELj4294967295EEENS1_25partition_config_selectorILNS1_17partition_subalgoE4EjNS0_10empty_typeEbEEZZNS1_14partition_implILS8_4ELb0ES6_15HIP_vector_typeIjLj2EENS0_17counting_iteratorIjlEEPS9_SG_NS0_5tupleIJPjSI_NS0_16reverse_iteratorISI_EEEEENSH_IJSG_SG_SG_EEES9_SI_JZNS1_25segmented_radix_sort_implINS0_14default_configELb1EPK12hip_bfloat16PSP_PKlPlN2at6native12_GLOBAL__N_18offset_tEEE10hipError_tPvRmT1_PNSt15iterator_traitsIS13_E10value_typeET2_T3_PNS14_IS19_E10value_typeET4_jRbjT5_S1F_jjP12ihipStream_tbEUljE_ZNSN_ISO_Lb1ESR_SS_SU_SV_SZ_EES10_S11_S12_S13_S17_S18_S19_S1C_S1D_jS1E_jS1F_S1F_jjS1H_bEUljE0_EEES10_S11_S12_S19_S1D_S1F_T6_T7_T9_mT8_S1H_bDpT10_ENKUlT_T0_E_clISt17integral_constantIbLb1EES1V_EEDaS1Q_S1R_EUlS1Q_E_NS1_11comp_targetILNS1_3genE2ELNS1_11target_archE906ELNS1_3gpuE6ELNS1_3repE0EEENS1_30default_config_static_selectorELNS0_4arch9wavefront6targetE0EEEvS13_.uses_vcc, 0
	.set _ZN7rocprim17ROCPRIM_400000_NS6detail17trampoline_kernelINS0_13select_configILj256ELj13ELNS0_17block_load_methodE3ELS4_3ELS4_3ELNS0_20block_scan_algorithmE0ELj4294967295EEENS1_25partition_config_selectorILNS1_17partition_subalgoE4EjNS0_10empty_typeEbEEZZNS1_14partition_implILS8_4ELb0ES6_15HIP_vector_typeIjLj2EENS0_17counting_iteratorIjlEEPS9_SG_NS0_5tupleIJPjSI_NS0_16reverse_iteratorISI_EEEEENSH_IJSG_SG_SG_EEES9_SI_JZNS1_25segmented_radix_sort_implINS0_14default_configELb1EPK12hip_bfloat16PSP_PKlPlN2at6native12_GLOBAL__N_18offset_tEEE10hipError_tPvRmT1_PNSt15iterator_traitsIS13_E10value_typeET2_T3_PNS14_IS19_E10value_typeET4_jRbjT5_S1F_jjP12ihipStream_tbEUljE_ZNSN_ISO_Lb1ESR_SS_SU_SV_SZ_EES10_S11_S12_S13_S17_S18_S19_S1C_S1D_jS1E_jS1F_S1F_jjS1H_bEUljE0_EEES10_S11_S12_S19_S1D_S1F_T6_T7_T9_mT8_S1H_bDpT10_ENKUlT_T0_E_clISt17integral_constantIbLb1EES1V_EEDaS1Q_S1R_EUlS1Q_E_NS1_11comp_targetILNS1_3genE2ELNS1_11target_archE906ELNS1_3gpuE6ELNS1_3repE0EEENS1_30default_config_static_selectorELNS0_4arch9wavefront6targetE0EEEvS13_.uses_flat_scratch, 0
	.set _ZN7rocprim17ROCPRIM_400000_NS6detail17trampoline_kernelINS0_13select_configILj256ELj13ELNS0_17block_load_methodE3ELS4_3ELS4_3ELNS0_20block_scan_algorithmE0ELj4294967295EEENS1_25partition_config_selectorILNS1_17partition_subalgoE4EjNS0_10empty_typeEbEEZZNS1_14partition_implILS8_4ELb0ES6_15HIP_vector_typeIjLj2EENS0_17counting_iteratorIjlEEPS9_SG_NS0_5tupleIJPjSI_NS0_16reverse_iteratorISI_EEEEENSH_IJSG_SG_SG_EEES9_SI_JZNS1_25segmented_radix_sort_implINS0_14default_configELb1EPK12hip_bfloat16PSP_PKlPlN2at6native12_GLOBAL__N_18offset_tEEE10hipError_tPvRmT1_PNSt15iterator_traitsIS13_E10value_typeET2_T3_PNS14_IS19_E10value_typeET4_jRbjT5_S1F_jjP12ihipStream_tbEUljE_ZNSN_ISO_Lb1ESR_SS_SU_SV_SZ_EES10_S11_S12_S13_S17_S18_S19_S1C_S1D_jS1E_jS1F_S1F_jjS1H_bEUljE0_EEES10_S11_S12_S19_S1D_S1F_T6_T7_T9_mT8_S1H_bDpT10_ENKUlT_T0_E_clISt17integral_constantIbLb1EES1V_EEDaS1Q_S1R_EUlS1Q_E_NS1_11comp_targetILNS1_3genE2ELNS1_11target_archE906ELNS1_3gpuE6ELNS1_3repE0EEENS1_30default_config_static_selectorELNS0_4arch9wavefront6targetE0EEEvS13_.has_dyn_sized_stack, 0
	.set _ZN7rocprim17ROCPRIM_400000_NS6detail17trampoline_kernelINS0_13select_configILj256ELj13ELNS0_17block_load_methodE3ELS4_3ELS4_3ELNS0_20block_scan_algorithmE0ELj4294967295EEENS1_25partition_config_selectorILNS1_17partition_subalgoE4EjNS0_10empty_typeEbEEZZNS1_14partition_implILS8_4ELb0ES6_15HIP_vector_typeIjLj2EENS0_17counting_iteratorIjlEEPS9_SG_NS0_5tupleIJPjSI_NS0_16reverse_iteratorISI_EEEEENSH_IJSG_SG_SG_EEES9_SI_JZNS1_25segmented_radix_sort_implINS0_14default_configELb1EPK12hip_bfloat16PSP_PKlPlN2at6native12_GLOBAL__N_18offset_tEEE10hipError_tPvRmT1_PNSt15iterator_traitsIS13_E10value_typeET2_T3_PNS14_IS19_E10value_typeET4_jRbjT5_S1F_jjP12ihipStream_tbEUljE_ZNSN_ISO_Lb1ESR_SS_SU_SV_SZ_EES10_S11_S12_S13_S17_S18_S19_S1C_S1D_jS1E_jS1F_S1F_jjS1H_bEUljE0_EEES10_S11_S12_S19_S1D_S1F_T6_T7_T9_mT8_S1H_bDpT10_ENKUlT_T0_E_clISt17integral_constantIbLb1EES1V_EEDaS1Q_S1R_EUlS1Q_E_NS1_11comp_targetILNS1_3genE2ELNS1_11target_archE906ELNS1_3gpuE6ELNS1_3repE0EEENS1_30default_config_static_selectorELNS0_4arch9wavefront6targetE0EEEvS13_.has_recursion, 0
	.set _ZN7rocprim17ROCPRIM_400000_NS6detail17trampoline_kernelINS0_13select_configILj256ELj13ELNS0_17block_load_methodE3ELS4_3ELS4_3ELNS0_20block_scan_algorithmE0ELj4294967295EEENS1_25partition_config_selectorILNS1_17partition_subalgoE4EjNS0_10empty_typeEbEEZZNS1_14partition_implILS8_4ELb0ES6_15HIP_vector_typeIjLj2EENS0_17counting_iteratorIjlEEPS9_SG_NS0_5tupleIJPjSI_NS0_16reverse_iteratorISI_EEEEENSH_IJSG_SG_SG_EEES9_SI_JZNS1_25segmented_radix_sort_implINS0_14default_configELb1EPK12hip_bfloat16PSP_PKlPlN2at6native12_GLOBAL__N_18offset_tEEE10hipError_tPvRmT1_PNSt15iterator_traitsIS13_E10value_typeET2_T3_PNS14_IS19_E10value_typeET4_jRbjT5_S1F_jjP12ihipStream_tbEUljE_ZNSN_ISO_Lb1ESR_SS_SU_SV_SZ_EES10_S11_S12_S13_S17_S18_S19_S1C_S1D_jS1E_jS1F_S1F_jjS1H_bEUljE0_EEES10_S11_S12_S19_S1D_S1F_T6_T7_T9_mT8_S1H_bDpT10_ENKUlT_T0_E_clISt17integral_constantIbLb1EES1V_EEDaS1Q_S1R_EUlS1Q_E_NS1_11comp_targetILNS1_3genE2ELNS1_11target_archE906ELNS1_3gpuE6ELNS1_3repE0EEENS1_30default_config_static_selectorELNS0_4arch9wavefront6targetE0EEEvS13_.has_indirect_call, 0
	.section	.AMDGPU.csdata,"",@progbits
; Kernel info:
; codeLenInByte = 0
; TotalNumSgprs: 0
; NumVgprs: 0
; ScratchSize: 0
; MemoryBound: 0
; FloatMode: 240
; IeeeMode: 1
; LDSByteSize: 0 bytes/workgroup (compile time only)
; SGPRBlocks: 0
; VGPRBlocks: 0
; NumSGPRsForWavesPerEU: 1
; NumVGPRsForWavesPerEU: 1
; Occupancy: 16
; WaveLimiterHint : 0
; COMPUTE_PGM_RSRC2:SCRATCH_EN: 0
; COMPUTE_PGM_RSRC2:USER_SGPR: 2
; COMPUTE_PGM_RSRC2:TRAP_HANDLER: 0
; COMPUTE_PGM_RSRC2:TGID_X_EN: 1
; COMPUTE_PGM_RSRC2:TGID_Y_EN: 0
; COMPUTE_PGM_RSRC2:TGID_Z_EN: 0
; COMPUTE_PGM_RSRC2:TIDIG_COMP_CNT: 0
	.section	.text._ZN7rocprim17ROCPRIM_400000_NS6detail17trampoline_kernelINS0_13select_configILj256ELj13ELNS0_17block_load_methodE3ELS4_3ELS4_3ELNS0_20block_scan_algorithmE0ELj4294967295EEENS1_25partition_config_selectorILNS1_17partition_subalgoE4EjNS0_10empty_typeEbEEZZNS1_14partition_implILS8_4ELb0ES6_15HIP_vector_typeIjLj2EENS0_17counting_iteratorIjlEEPS9_SG_NS0_5tupleIJPjSI_NS0_16reverse_iteratorISI_EEEEENSH_IJSG_SG_SG_EEES9_SI_JZNS1_25segmented_radix_sort_implINS0_14default_configELb1EPK12hip_bfloat16PSP_PKlPlN2at6native12_GLOBAL__N_18offset_tEEE10hipError_tPvRmT1_PNSt15iterator_traitsIS13_E10value_typeET2_T3_PNS14_IS19_E10value_typeET4_jRbjT5_S1F_jjP12ihipStream_tbEUljE_ZNSN_ISO_Lb1ESR_SS_SU_SV_SZ_EES10_S11_S12_S13_S17_S18_S19_S1C_S1D_jS1E_jS1F_S1F_jjS1H_bEUljE0_EEES10_S11_S12_S19_S1D_S1F_T6_T7_T9_mT8_S1H_bDpT10_ENKUlT_T0_E_clISt17integral_constantIbLb1EES1V_EEDaS1Q_S1R_EUlS1Q_E_NS1_11comp_targetILNS1_3genE10ELNS1_11target_archE1200ELNS1_3gpuE4ELNS1_3repE0EEENS1_30default_config_static_selectorELNS0_4arch9wavefront6targetE0EEEvS13_,"axG",@progbits,_ZN7rocprim17ROCPRIM_400000_NS6detail17trampoline_kernelINS0_13select_configILj256ELj13ELNS0_17block_load_methodE3ELS4_3ELS4_3ELNS0_20block_scan_algorithmE0ELj4294967295EEENS1_25partition_config_selectorILNS1_17partition_subalgoE4EjNS0_10empty_typeEbEEZZNS1_14partition_implILS8_4ELb0ES6_15HIP_vector_typeIjLj2EENS0_17counting_iteratorIjlEEPS9_SG_NS0_5tupleIJPjSI_NS0_16reverse_iteratorISI_EEEEENSH_IJSG_SG_SG_EEES9_SI_JZNS1_25segmented_radix_sort_implINS0_14default_configELb1EPK12hip_bfloat16PSP_PKlPlN2at6native12_GLOBAL__N_18offset_tEEE10hipError_tPvRmT1_PNSt15iterator_traitsIS13_E10value_typeET2_T3_PNS14_IS19_E10value_typeET4_jRbjT5_S1F_jjP12ihipStream_tbEUljE_ZNSN_ISO_Lb1ESR_SS_SU_SV_SZ_EES10_S11_S12_S13_S17_S18_S19_S1C_S1D_jS1E_jS1F_S1F_jjS1H_bEUljE0_EEES10_S11_S12_S19_S1D_S1F_T6_T7_T9_mT8_S1H_bDpT10_ENKUlT_T0_E_clISt17integral_constantIbLb1EES1V_EEDaS1Q_S1R_EUlS1Q_E_NS1_11comp_targetILNS1_3genE10ELNS1_11target_archE1200ELNS1_3gpuE4ELNS1_3repE0EEENS1_30default_config_static_selectorELNS0_4arch9wavefront6targetE0EEEvS13_,comdat
	.globl	_ZN7rocprim17ROCPRIM_400000_NS6detail17trampoline_kernelINS0_13select_configILj256ELj13ELNS0_17block_load_methodE3ELS4_3ELS4_3ELNS0_20block_scan_algorithmE0ELj4294967295EEENS1_25partition_config_selectorILNS1_17partition_subalgoE4EjNS0_10empty_typeEbEEZZNS1_14partition_implILS8_4ELb0ES6_15HIP_vector_typeIjLj2EENS0_17counting_iteratorIjlEEPS9_SG_NS0_5tupleIJPjSI_NS0_16reverse_iteratorISI_EEEEENSH_IJSG_SG_SG_EEES9_SI_JZNS1_25segmented_radix_sort_implINS0_14default_configELb1EPK12hip_bfloat16PSP_PKlPlN2at6native12_GLOBAL__N_18offset_tEEE10hipError_tPvRmT1_PNSt15iterator_traitsIS13_E10value_typeET2_T3_PNS14_IS19_E10value_typeET4_jRbjT5_S1F_jjP12ihipStream_tbEUljE_ZNSN_ISO_Lb1ESR_SS_SU_SV_SZ_EES10_S11_S12_S13_S17_S18_S19_S1C_S1D_jS1E_jS1F_S1F_jjS1H_bEUljE0_EEES10_S11_S12_S19_S1D_S1F_T6_T7_T9_mT8_S1H_bDpT10_ENKUlT_T0_E_clISt17integral_constantIbLb1EES1V_EEDaS1Q_S1R_EUlS1Q_E_NS1_11comp_targetILNS1_3genE10ELNS1_11target_archE1200ELNS1_3gpuE4ELNS1_3repE0EEENS1_30default_config_static_selectorELNS0_4arch9wavefront6targetE0EEEvS13_ ; -- Begin function _ZN7rocprim17ROCPRIM_400000_NS6detail17trampoline_kernelINS0_13select_configILj256ELj13ELNS0_17block_load_methodE3ELS4_3ELS4_3ELNS0_20block_scan_algorithmE0ELj4294967295EEENS1_25partition_config_selectorILNS1_17partition_subalgoE4EjNS0_10empty_typeEbEEZZNS1_14partition_implILS8_4ELb0ES6_15HIP_vector_typeIjLj2EENS0_17counting_iteratorIjlEEPS9_SG_NS0_5tupleIJPjSI_NS0_16reverse_iteratorISI_EEEEENSH_IJSG_SG_SG_EEES9_SI_JZNS1_25segmented_radix_sort_implINS0_14default_configELb1EPK12hip_bfloat16PSP_PKlPlN2at6native12_GLOBAL__N_18offset_tEEE10hipError_tPvRmT1_PNSt15iterator_traitsIS13_E10value_typeET2_T3_PNS14_IS19_E10value_typeET4_jRbjT5_S1F_jjP12ihipStream_tbEUljE_ZNSN_ISO_Lb1ESR_SS_SU_SV_SZ_EES10_S11_S12_S13_S17_S18_S19_S1C_S1D_jS1E_jS1F_S1F_jjS1H_bEUljE0_EEES10_S11_S12_S19_S1D_S1F_T6_T7_T9_mT8_S1H_bDpT10_ENKUlT_T0_E_clISt17integral_constantIbLb1EES1V_EEDaS1Q_S1R_EUlS1Q_E_NS1_11comp_targetILNS1_3genE10ELNS1_11target_archE1200ELNS1_3gpuE4ELNS1_3repE0EEENS1_30default_config_static_selectorELNS0_4arch9wavefront6targetE0EEEvS13_
	.p2align	8
	.type	_ZN7rocprim17ROCPRIM_400000_NS6detail17trampoline_kernelINS0_13select_configILj256ELj13ELNS0_17block_load_methodE3ELS4_3ELS4_3ELNS0_20block_scan_algorithmE0ELj4294967295EEENS1_25partition_config_selectorILNS1_17partition_subalgoE4EjNS0_10empty_typeEbEEZZNS1_14partition_implILS8_4ELb0ES6_15HIP_vector_typeIjLj2EENS0_17counting_iteratorIjlEEPS9_SG_NS0_5tupleIJPjSI_NS0_16reverse_iteratorISI_EEEEENSH_IJSG_SG_SG_EEES9_SI_JZNS1_25segmented_radix_sort_implINS0_14default_configELb1EPK12hip_bfloat16PSP_PKlPlN2at6native12_GLOBAL__N_18offset_tEEE10hipError_tPvRmT1_PNSt15iterator_traitsIS13_E10value_typeET2_T3_PNS14_IS19_E10value_typeET4_jRbjT5_S1F_jjP12ihipStream_tbEUljE_ZNSN_ISO_Lb1ESR_SS_SU_SV_SZ_EES10_S11_S12_S13_S17_S18_S19_S1C_S1D_jS1E_jS1F_S1F_jjS1H_bEUljE0_EEES10_S11_S12_S19_S1D_S1F_T6_T7_T9_mT8_S1H_bDpT10_ENKUlT_T0_E_clISt17integral_constantIbLb1EES1V_EEDaS1Q_S1R_EUlS1Q_E_NS1_11comp_targetILNS1_3genE10ELNS1_11target_archE1200ELNS1_3gpuE4ELNS1_3repE0EEENS1_30default_config_static_selectorELNS0_4arch9wavefront6targetE0EEEvS13_,@function
_ZN7rocprim17ROCPRIM_400000_NS6detail17trampoline_kernelINS0_13select_configILj256ELj13ELNS0_17block_load_methodE3ELS4_3ELS4_3ELNS0_20block_scan_algorithmE0ELj4294967295EEENS1_25partition_config_selectorILNS1_17partition_subalgoE4EjNS0_10empty_typeEbEEZZNS1_14partition_implILS8_4ELb0ES6_15HIP_vector_typeIjLj2EENS0_17counting_iteratorIjlEEPS9_SG_NS0_5tupleIJPjSI_NS0_16reverse_iteratorISI_EEEEENSH_IJSG_SG_SG_EEES9_SI_JZNS1_25segmented_radix_sort_implINS0_14default_configELb1EPK12hip_bfloat16PSP_PKlPlN2at6native12_GLOBAL__N_18offset_tEEE10hipError_tPvRmT1_PNSt15iterator_traitsIS13_E10value_typeET2_T3_PNS14_IS19_E10value_typeET4_jRbjT5_S1F_jjP12ihipStream_tbEUljE_ZNSN_ISO_Lb1ESR_SS_SU_SV_SZ_EES10_S11_S12_S13_S17_S18_S19_S1C_S1D_jS1E_jS1F_S1F_jjS1H_bEUljE0_EEES10_S11_S12_S19_S1D_S1F_T6_T7_T9_mT8_S1H_bDpT10_ENKUlT_T0_E_clISt17integral_constantIbLb1EES1V_EEDaS1Q_S1R_EUlS1Q_E_NS1_11comp_targetILNS1_3genE10ELNS1_11target_archE1200ELNS1_3gpuE4ELNS1_3repE0EEENS1_30default_config_static_selectorELNS0_4arch9wavefront6targetE0EEEvS13_: ; @_ZN7rocprim17ROCPRIM_400000_NS6detail17trampoline_kernelINS0_13select_configILj256ELj13ELNS0_17block_load_methodE3ELS4_3ELS4_3ELNS0_20block_scan_algorithmE0ELj4294967295EEENS1_25partition_config_selectorILNS1_17partition_subalgoE4EjNS0_10empty_typeEbEEZZNS1_14partition_implILS8_4ELb0ES6_15HIP_vector_typeIjLj2EENS0_17counting_iteratorIjlEEPS9_SG_NS0_5tupleIJPjSI_NS0_16reverse_iteratorISI_EEEEENSH_IJSG_SG_SG_EEES9_SI_JZNS1_25segmented_radix_sort_implINS0_14default_configELb1EPK12hip_bfloat16PSP_PKlPlN2at6native12_GLOBAL__N_18offset_tEEE10hipError_tPvRmT1_PNSt15iterator_traitsIS13_E10value_typeET2_T3_PNS14_IS19_E10value_typeET4_jRbjT5_S1F_jjP12ihipStream_tbEUljE_ZNSN_ISO_Lb1ESR_SS_SU_SV_SZ_EES10_S11_S12_S13_S17_S18_S19_S1C_S1D_jS1E_jS1F_S1F_jjS1H_bEUljE0_EEES10_S11_S12_S19_S1D_S1F_T6_T7_T9_mT8_S1H_bDpT10_ENKUlT_T0_E_clISt17integral_constantIbLb1EES1V_EEDaS1Q_S1R_EUlS1Q_E_NS1_11comp_targetILNS1_3genE10ELNS1_11target_archE1200ELNS1_3gpuE4ELNS1_3repE0EEENS1_30default_config_static_selectorELNS0_4arch9wavefront6targetE0EEEvS13_
; %bb.0:
	s_endpgm
	.section	.rodata,"a",@progbits
	.p2align	6, 0x0
	.amdhsa_kernel _ZN7rocprim17ROCPRIM_400000_NS6detail17trampoline_kernelINS0_13select_configILj256ELj13ELNS0_17block_load_methodE3ELS4_3ELS4_3ELNS0_20block_scan_algorithmE0ELj4294967295EEENS1_25partition_config_selectorILNS1_17partition_subalgoE4EjNS0_10empty_typeEbEEZZNS1_14partition_implILS8_4ELb0ES6_15HIP_vector_typeIjLj2EENS0_17counting_iteratorIjlEEPS9_SG_NS0_5tupleIJPjSI_NS0_16reverse_iteratorISI_EEEEENSH_IJSG_SG_SG_EEES9_SI_JZNS1_25segmented_radix_sort_implINS0_14default_configELb1EPK12hip_bfloat16PSP_PKlPlN2at6native12_GLOBAL__N_18offset_tEEE10hipError_tPvRmT1_PNSt15iterator_traitsIS13_E10value_typeET2_T3_PNS14_IS19_E10value_typeET4_jRbjT5_S1F_jjP12ihipStream_tbEUljE_ZNSN_ISO_Lb1ESR_SS_SU_SV_SZ_EES10_S11_S12_S13_S17_S18_S19_S1C_S1D_jS1E_jS1F_S1F_jjS1H_bEUljE0_EEES10_S11_S12_S19_S1D_S1F_T6_T7_T9_mT8_S1H_bDpT10_ENKUlT_T0_E_clISt17integral_constantIbLb1EES1V_EEDaS1Q_S1R_EUlS1Q_E_NS1_11comp_targetILNS1_3genE10ELNS1_11target_archE1200ELNS1_3gpuE4ELNS1_3repE0EEENS1_30default_config_static_selectorELNS0_4arch9wavefront6targetE0EEEvS13_
		.amdhsa_group_segment_fixed_size 0
		.amdhsa_private_segment_fixed_size 0
		.amdhsa_kernarg_size 184
		.amdhsa_user_sgpr_count 2
		.amdhsa_user_sgpr_dispatch_ptr 0
		.amdhsa_user_sgpr_queue_ptr 0
		.amdhsa_user_sgpr_kernarg_segment_ptr 1
		.amdhsa_user_sgpr_dispatch_id 0
		.amdhsa_user_sgpr_private_segment_size 0
		.amdhsa_wavefront_size32 1
		.amdhsa_uses_dynamic_stack 0
		.amdhsa_enable_private_segment 0
		.amdhsa_system_sgpr_workgroup_id_x 1
		.amdhsa_system_sgpr_workgroup_id_y 0
		.amdhsa_system_sgpr_workgroup_id_z 0
		.amdhsa_system_sgpr_workgroup_info 0
		.amdhsa_system_vgpr_workitem_id 0
		.amdhsa_next_free_vgpr 1
		.amdhsa_next_free_sgpr 1
		.amdhsa_reserve_vcc 0
		.amdhsa_float_round_mode_32 0
		.amdhsa_float_round_mode_16_64 0
		.amdhsa_float_denorm_mode_32 3
		.amdhsa_float_denorm_mode_16_64 3
		.amdhsa_fp16_overflow 0
		.amdhsa_workgroup_processor_mode 1
		.amdhsa_memory_ordered 1
		.amdhsa_forward_progress 1
		.amdhsa_inst_pref_size 1
		.amdhsa_round_robin_scheduling 0
		.amdhsa_exception_fp_ieee_invalid_op 0
		.amdhsa_exception_fp_denorm_src 0
		.amdhsa_exception_fp_ieee_div_zero 0
		.amdhsa_exception_fp_ieee_overflow 0
		.amdhsa_exception_fp_ieee_underflow 0
		.amdhsa_exception_fp_ieee_inexact 0
		.amdhsa_exception_int_div_zero 0
	.end_amdhsa_kernel
	.section	.text._ZN7rocprim17ROCPRIM_400000_NS6detail17trampoline_kernelINS0_13select_configILj256ELj13ELNS0_17block_load_methodE3ELS4_3ELS4_3ELNS0_20block_scan_algorithmE0ELj4294967295EEENS1_25partition_config_selectorILNS1_17partition_subalgoE4EjNS0_10empty_typeEbEEZZNS1_14partition_implILS8_4ELb0ES6_15HIP_vector_typeIjLj2EENS0_17counting_iteratorIjlEEPS9_SG_NS0_5tupleIJPjSI_NS0_16reverse_iteratorISI_EEEEENSH_IJSG_SG_SG_EEES9_SI_JZNS1_25segmented_radix_sort_implINS0_14default_configELb1EPK12hip_bfloat16PSP_PKlPlN2at6native12_GLOBAL__N_18offset_tEEE10hipError_tPvRmT1_PNSt15iterator_traitsIS13_E10value_typeET2_T3_PNS14_IS19_E10value_typeET4_jRbjT5_S1F_jjP12ihipStream_tbEUljE_ZNSN_ISO_Lb1ESR_SS_SU_SV_SZ_EES10_S11_S12_S13_S17_S18_S19_S1C_S1D_jS1E_jS1F_S1F_jjS1H_bEUljE0_EEES10_S11_S12_S19_S1D_S1F_T6_T7_T9_mT8_S1H_bDpT10_ENKUlT_T0_E_clISt17integral_constantIbLb1EES1V_EEDaS1Q_S1R_EUlS1Q_E_NS1_11comp_targetILNS1_3genE10ELNS1_11target_archE1200ELNS1_3gpuE4ELNS1_3repE0EEENS1_30default_config_static_selectorELNS0_4arch9wavefront6targetE0EEEvS13_,"axG",@progbits,_ZN7rocprim17ROCPRIM_400000_NS6detail17trampoline_kernelINS0_13select_configILj256ELj13ELNS0_17block_load_methodE3ELS4_3ELS4_3ELNS0_20block_scan_algorithmE0ELj4294967295EEENS1_25partition_config_selectorILNS1_17partition_subalgoE4EjNS0_10empty_typeEbEEZZNS1_14partition_implILS8_4ELb0ES6_15HIP_vector_typeIjLj2EENS0_17counting_iteratorIjlEEPS9_SG_NS0_5tupleIJPjSI_NS0_16reverse_iteratorISI_EEEEENSH_IJSG_SG_SG_EEES9_SI_JZNS1_25segmented_radix_sort_implINS0_14default_configELb1EPK12hip_bfloat16PSP_PKlPlN2at6native12_GLOBAL__N_18offset_tEEE10hipError_tPvRmT1_PNSt15iterator_traitsIS13_E10value_typeET2_T3_PNS14_IS19_E10value_typeET4_jRbjT5_S1F_jjP12ihipStream_tbEUljE_ZNSN_ISO_Lb1ESR_SS_SU_SV_SZ_EES10_S11_S12_S13_S17_S18_S19_S1C_S1D_jS1E_jS1F_S1F_jjS1H_bEUljE0_EEES10_S11_S12_S19_S1D_S1F_T6_T7_T9_mT8_S1H_bDpT10_ENKUlT_T0_E_clISt17integral_constantIbLb1EES1V_EEDaS1Q_S1R_EUlS1Q_E_NS1_11comp_targetILNS1_3genE10ELNS1_11target_archE1200ELNS1_3gpuE4ELNS1_3repE0EEENS1_30default_config_static_selectorELNS0_4arch9wavefront6targetE0EEEvS13_,comdat
.Lfunc_end1895:
	.size	_ZN7rocprim17ROCPRIM_400000_NS6detail17trampoline_kernelINS0_13select_configILj256ELj13ELNS0_17block_load_methodE3ELS4_3ELS4_3ELNS0_20block_scan_algorithmE0ELj4294967295EEENS1_25partition_config_selectorILNS1_17partition_subalgoE4EjNS0_10empty_typeEbEEZZNS1_14partition_implILS8_4ELb0ES6_15HIP_vector_typeIjLj2EENS0_17counting_iteratorIjlEEPS9_SG_NS0_5tupleIJPjSI_NS0_16reverse_iteratorISI_EEEEENSH_IJSG_SG_SG_EEES9_SI_JZNS1_25segmented_radix_sort_implINS0_14default_configELb1EPK12hip_bfloat16PSP_PKlPlN2at6native12_GLOBAL__N_18offset_tEEE10hipError_tPvRmT1_PNSt15iterator_traitsIS13_E10value_typeET2_T3_PNS14_IS19_E10value_typeET4_jRbjT5_S1F_jjP12ihipStream_tbEUljE_ZNSN_ISO_Lb1ESR_SS_SU_SV_SZ_EES10_S11_S12_S13_S17_S18_S19_S1C_S1D_jS1E_jS1F_S1F_jjS1H_bEUljE0_EEES10_S11_S12_S19_S1D_S1F_T6_T7_T9_mT8_S1H_bDpT10_ENKUlT_T0_E_clISt17integral_constantIbLb1EES1V_EEDaS1Q_S1R_EUlS1Q_E_NS1_11comp_targetILNS1_3genE10ELNS1_11target_archE1200ELNS1_3gpuE4ELNS1_3repE0EEENS1_30default_config_static_selectorELNS0_4arch9wavefront6targetE0EEEvS13_, .Lfunc_end1895-_ZN7rocprim17ROCPRIM_400000_NS6detail17trampoline_kernelINS0_13select_configILj256ELj13ELNS0_17block_load_methodE3ELS4_3ELS4_3ELNS0_20block_scan_algorithmE0ELj4294967295EEENS1_25partition_config_selectorILNS1_17partition_subalgoE4EjNS0_10empty_typeEbEEZZNS1_14partition_implILS8_4ELb0ES6_15HIP_vector_typeIjLj2EENS0_17counting_iteratorIjlEEPS9_SG_NS0_5tupleIJPjSI_NS0_16reverse_iteratorISI_EEEEENSH_IJSG_SG_SG_EEES9_SI_JZNS1_25segmented_radix_sort_implINS0_14default_configELb1EPK12hip_bfloat16PSP_PKlPlN2at6native12_GLOBAL__N_18offset_tEEE10hipError_tPvRmT1_PNSt15iterator_traitsIS13_E10value_typeET2_T3_PNS14_IS19_E10value_typeET4_jRbjT5_S1F_jjP12ihipStream_tbEUljE_ZNSN_ISO_Lb1ESR_SS_SU_SV_SZ_EES10_S11_S12_S13_S17_S18_S19_S1C_S1D_jS1E_jS1F_S1F_jjS1H_bEUljE0_EEES10_S11_S12_S19_S1D_S1F_T6_T7_T9_mT8_S1H_bDpT10_ENKUlT_T0_E_clISt17integral_constantIbLb1EES1V_EEDaS1Q_S1R_EUlS1Q_E_NS1_11comp_targetILNS1_3genE10ELNS1_11target_archE1200ELNS1_3gpuE4ELNS1_3repE0EEENS1_30default_config_static_selectorELNS0_4arch9wavefront6targetE0EEEvS13_
                                        ; -- End function
	.set _ZN7rocprim17ROCPRIM_400000_NS6detail17trampoline_kernelINS0_13select_configILj256ELj13ELNS0_17block_load_methodE3ELS4_3ELS4_3ELNS0_20block_scan_algorithmE0ELj4294967295EEENS1_25partition_config_selectorILNS1_17partition_subalgoE4EjNS0_10empty_typeEbEEZZNS1_14partition_implILS8_4ELb0ES6_15HIP_vector_typeIjLj2EENS0_17counting_iteratorIjlEEPS9_SG_NS0_5tupleIJPjSI_NS0_16reverse_iteratorISI_EEEEENSH_IJSG_SG_SG_EEES9_SI_JZNS1_25segmented_radix_sort_implINS0_14default_configELb1EPK12hip_bfloat16PSP_PKlPlN2at6native12_GLOBAL__N_18offset_tEEE10hipError_tPvRmT1_PNSt15iterator_traitsIS13_E10value_typeET2_T3_PNS14_IS19_E10value_typeET4_jRbjT5_S1F_jjP12ihipStream_tbEUljE_ZNSN_ISO_Lb1ESR_SS_SU_SV_SZ_EES10_S11_S12_S13_S17_S18_S19_S1C_S1D_jS1E_jS1F_S1F_jjS1H_bEUljE0_EEES10_S11_S12_S19_S1D_S1F_T6_T7_T9_mT8_S1H_bDpT10_ENKUlT_T0_E_clISt17integral_constantIbLb1EES1V_EEDaS1Q_S1R_EUlS1Q_E_NS1_11comp_targetILNS1_3genE10ELNS1_11target_archE1200ELNS1_3gpuE4ELNS1_3repE0EEENS1_30default_config_static_selectorELNS0_4arch9wavefront6targetE0EEEvS13_.num_vgpr, 0
	.set _ZN7rocprim17ROCPRIM_400000_NS6detail17trampoline_kernelINS0_13select_configILj256ELj13ELNS0_17block_load_methodE3ELS4_3ELS4_3ELNS0_20block_scan_algorithmE0ELj4294967295EEENS1_25partition_config_selectorILNS1_17partition_subalgoE4EjNS0_10empty_typeEbEEZZNS1_14partition_implILS8_4ELb0ES6_15HIP_vector_typeIjLj2EENS0_17counting_iteratorIjlEEPS9_SG_NS0_5tupleIJPjSI_NS0_16reverse_iteratorISI_EEEEENSH_IJSG_SG_SG_EEES9_SI_JZNS1_25segmented_radix_sort_implINS0_14default_configELb1EPK12hip_bfloat16PSP_PKlPlN2at6native12_GLOBAL__N_18offset_tEEE10hipError_tPvRmT1_PNSt15iterator_traitsIS13_E10value_typeET2_T3_PNS14_IS19_E10value_typeET4_jRbjT5_S1F_jjP12ihipStream_tbEUljE_ZNSN_ISO_Lb1ESR_SS_SU_SV_SZ_EES10_S11_S12_S13_S17_S18_S19_S1C_S1D_jS1E_jS1F_S1F_jjS1H_bEUljE0_EEES10_S11_S12_S19_S1D_S1F_T6_T7_T9_mT8_S1H_bDpT10_ENKUlT_T0_E_clISt17integral_constantIbLb1EES1V_EEDaS1Q_S1R_EUlS1Q_E_NS1_11comp_targetILNS1_3genE10ELNS1_11target_archE1200ELNS1_3gpuE4ELNS1_3repE0EEENS1_30default_config_static_selectorELNS0_4arch9wavefront6targetE0EEEvS13_.num_agpr, 0
	.set _ZN7rocprim17ROCPRIM_400000_NS6detail17trampoline_kernelINS0_13select_configILj256ELj13ELNS0_17block_load_methodE3ELS4_3ELS4_3ELNS0_20block_scan_algorithmE0ELj4294967295EEENS1_25partition_config_selectorILNS1_17partition_subalgoE4EjNS0_10empty_typeEbEEZZNS1_14partition_implILS8_4ELb0ES6_15HIP_vector_typeIjLj2EENS0_17counting_iteratorIjlEEPS9_SG_NS0_5tupleIJPjSI_NS0_16reverse_iteratorISI_EEEEENSH_IJSG_SG_SG_EEES9_SI_JZNS1_25segmented_radix_sort_implINS0_14default_configELb1EPK12hip_bfloat16PSP_PKlPlN2at6native12_GLOBAL__N_18offset_tEEE10hipError_tPvRmT1_PNSt15iterator_traitsIS13_E10value_typeET2_T3_PNS14_IS19_E10value_typeET4_jRbjT5_S1F_jjP12ihipStream_tbEUljE_ZNSN_ISO_Lb1ESR_SS_SU_SV_SZ_EES10_S11_S12_S13_S17_S18_S19_S1C_S1D_jS1E_jS1F_S1F_jjS1H_bEUljE0_EEES10_S11_S12_S19_S1D_S1F_T6_T7_T9_mT8_S1H_bDpT10_ENKUlT_T0_E_clISt17integral_constantIbLb1EES1V_EEDaS1Q_S1R_EUlS1Q_E_NS1_11comp_targetILNS1_3genE10ELNS1_11target_archE1200ELNS1_3gpuE4ELNS1_3repE0EEENS1_30default_config_static_selectorELNS0_4arch9wavefront6targetE0EEEvS13_.numbered_sgpr, 0
	.set _ZN7rocprim17ROCPRIM_400000_NS6detail17trampoline_kernelINS0_13select_configILj256ELj13ELNS0_17block_load_methodE3ELS4_3ELS4_3ELNS0_20block_scan_algorithmE0ELj4294967295EEENS1_25partition_config_selectorILNS1_17partition_subalgoE4EjNS0_10empty_typeEbEEZZNS1_14partition_implILS8_4ELb0ES6_15HIP_vector_typeIjLj2EENS0_17counting_iteratorIjlEEPS9_SG_NS0_5tupleIJPjSI_NS0_16reverse_iteratorISI_EEEEENSH_IJSG_SG_SG_EEES9_SI_JZNS1_25segmented_radix_sort_implINS0_14default_configELb1EPK12hip_bfloat16PSP_PKlPlN2at6native12_GLOBAL__N_18offset_tEEE10hipError_tPvRmT1_PNSt15iterator_traitsIS13_E10value_typeET2_T3_PNS14_IS19_E10value_typeET4_jRbjT5_S1F_jjP12ihipStream_tbEUljE_ZNSN_ISO_Lb1ESR_SS_SU_SV_SZ_EES10_S11_S12_S13_S17_S18_S19_S1C_S1D_jS1E_jS1F_S1F_jjS1H_bEUljE0_EEES10_S11_S12_S19_S1D_S1F_T6_T7_T9_mT8_S1H_bDpT10_ENKUlT_T0_E_clISt17integral_constantIbLb1EES1V_EEDaS1Q_S1R_EUlS1Q_E_NS1_11comp_targetILNS1_3genE10ELNS1_11target_archE1200ELNS1_3gpuE4ELNS1_3repE0EEENS1_30default_config_static_selectorELNS0_4arch9wavefront6targetE0EEEvS13_.num_named_barrier, 0
	.set _ZN7rocprim17ROCPRIM_400000_NS6detail17trampoline_kernelINS0_13select_configILj256ELj13ELNS0_17block_load_methodE3ELS4_3ELS4_3ELNS0_20block_scan_algorithmE0ELj4294967295EEENS1_25partition_config_selectorILNS1_17partition_subalgoE4EjNS0_10empty_typeEbEEZZNS1_14partition_implILS8_4ELb0ES6_15HIP_vector_typeIjLj2EENS0_17counting_iteratorIjlEEPS9_SG_NS0_5tupleIJPjSI_NS0_16reverse_iteratorISI_EEEEENSH_IJSG_SG_SG_EEES9_SI_JZNS1_25segmented_radix_sort_implINS0_14default_configELb1EPK12hip_bfloat16PSP_PKlPlN2at6native12_GLOBAL__N_18offset_tEEE10hipError_tPvRmT1_PNSt15iterator_traitsIS13_E10value_typeET2_T3_PNS14_IS19_E10value_typeET4_jRbjT5_S1F_jjP12ihipStream_tbEUljE_ZNSN_ISO_Lb1ESR_SS_SU_SV_SZ_EES10_S11_S12_S13_S17_S18_S19_S1C_S1D_jS1E_jS1F_S1F_jjS1H_bEUljE0_EEES10_S11_S12_S19_S1D_S1F_T6_T7_T9_mT8_S1H_bDpT10_ENKUlT_T0_E_clISt17integral_constantIbLb1EES1V_EEDaS1Q_S1R_EUlS1Q_E_NS1_11comp_targetILNS1_3genE10ELNS1_11target_archE1200ELNS1_3gpuE4ELNS1_3repE0EEENS1_30default_config_static_selectorELNS0_4arch9wavefront6targetE0EEEvS13_.private_seg_size, 0
	.set _ZN7rocprim17ROCPRIM_400000_NS6detail17trampoline_kernelINS0_13select_configILj256ELj13ELNS0_17block_load_methodE3ELS4_3ELS4_3ELNS0_20block_scan_algorithmE0ELj4294967295EEENS1_25partition_config_selectorILNS1_17partition_subalgoE4EjNS0_10empty_typeEbEEZZNS1_14partition_implILS8_4ELb0ES6_15HIP_vector_typeIjLj2EENS0_17counting_iteratorIjlEEPS9_SG_NS0_5tupleIJPjSI_NS0_16reverse_iteratorISI_EEEEENSH_IJSG_SG_SG_EEES9_SI_JZNS1_25segmented_radix_sort_implINS0_14default_configELb1EPK12hip_bfloat16PSP_PKlPlN2at6native12_GLOBAL__N_18offset_tEEE10hipError_tPvRmT1_PNSt15iterator_traitsIS13_E10value_typeET2_T3_PNS14_IS19_E10value_typeET4_jRbjT5_S1F_jjP12ihipStream_tbEUljE_ZNSN_ISO_Lb1ESR_SS_SU_SV_SZ_EES10_S11_S12_S13_S17_S18_S19_S1C_S1D_jS1E_jS1F_S1F_jjS1H_bEUljE0_EEES10_S11_S12_S19_S1D_S1F_T6_T7_T9_mT8_S1H_bDpT10_ENKUlT_T0_E_clISt17integral_constantIbLb1EES1V_EEDaS1Q_S1R_EUlS1Q_E_NS1_11comp_targetILNS1_3genE10ELNS1_11target_archE1200ELNS1_3gpuE4ELNS1_3repE0EEENS1_30default_config_static_selectorELNS0_4arch9wavefront6targetE0EEEvS13_.uses_vcc, 0
	.set _ZN7rocprim17ROCPRIM_400000_NS6detail17trampoline_kernelINS0_13select_configILj256ELj13ELNS0_17block_load_methodE3ELS4_3ELS4_3ELNS0_20block_scan_algorithmE0ELj4294967295EEENS1_25partition_config_selectorILNS1_17partition_subalgoE4EjNS0_10empty_typeEbEEZZNS1_14partition_implILS8_4ELb0ES6_15HIP_vector_typeIjLj2EENS0_17counting_iteratorIjlEEPS9_SG_NS0_5tupleIJPjSI_NS0_16reverse_iteratorISI_EEEEENSH_IJSG_SG_SG_EEES9_SI_JZNS1_25segmented_radix_sort_implINS0_14default_configELb1EPK12hip_bfloat16PSP_PKlPlN2at6native12_GLOBAL__N_18offset_tEEE10hipError_tPvRmT1_PNSt15iterator_traitsIS13_E10value_typeET2_T3_PNS14_IS19_E10value_typeET4_jRbjT5_S1F_jjP12ihipStream_tbEUljE_ZNSN_ISO_Lb1ESR_SS_SU_SV_SZ_EES10_S11_S12_S13_S17_S18_S19_S1C_S1D_jS1E_jS1F_S1F_jjS1H_bEUljE0_EEES10_S11_S12_S19_S1D_S1F_T6_T7_T9_mT8_S1H_bDpT10_ENKUlT_T0_E_clISt17integral_constantIbLb1EES1V_EEDaS1Q_S1R_EUlS1Q_E_NS1_11comp_targetILNS1_3genE10ELNS1_11target_archE1200ELNS1_3gpuE4ELNS1_3repE0EEENS1_30default_config_static_selectorELNS0_4arch9wavefront6targetE0EEEvS13_.uses_flat_scratch, 0
	.set _ZN7rocprim17ROCPRIM_400000_NS6detail17trampoline_kernelINS0_13select_configILj256ELj13ELNS0_17block_load_methodE3ELS4_3ELS4_3ELNS0_20block_scan_algorithmE0ELj4294967295EEENS1_25partition_config_selectorILNS1_17partition_subalgoE4EjNS0_10empty_typeEbEEZZNS1_14partition_implILS8_4ELb0ES6_15HIP_vector_typeIjLj2EENS0_17counting_iteratorIjlEEPS9_SG_NS0_5tupleIJPjSI_NS0_16reverse_iteratorISI_EEEEENSH_IJSG_SG_SG_EEES9_SI_JZNS1_25segmented_radix_sort_implINS0_14default_configELb1EPK12hip_bfloat16PSP_PKlPlN2at6native12_GLOBAL__N_18offset_tEEE10hipError_tPvRmT1_PNSt15iterator_traitsIS13_E10value_typeET2_T3_PNS14_IS19_E10value_typeET4_jRbjT5_S1F_jjP12ihipStream_tbEUljE_ZNSN_ISO_Lb1ESR_SS_SU_SV_SZ_EES10_S11_S12_S13_S17_S18_S19_S1C_S1D_jS1E_jS1F_S1F_jjS1H_bEUljE0_EEES10_S11_S12_S19_S1D_S1F_T6_T7_T9_mT8_S1H_bDpT10_ENKUlT_T0_E_clISt17integral_constantIbLb1EES1V_EEDaS1Q_S1R_EUlS1Q_E_NS1_11comp_targetILNS1_3genE10ELNS1_11target_archE1200ELNS1_3gpuE4ELNS1_3repE0EEENS1_30default_config_static_selectorELNS0_4arch9wavefront6targetE0EEEvS13_.has_dyn_sized_stack, 0
	.set _ZN7rocprim17ROCPRIM_400000_NS6detail17trampoline_kernelINS0_13select_configILj256ELj13ELNS0_17block_load_methodE3ELS4_3ELS4_3ELNS0_20block_scan_algorithmE0ELj4294967295EEENS1_25partition_config_selectorILNS1_17partition_subalgoE4EjNS0_10empty_typeEbEEZZNS1_14partition_implILS8_4ELb0ES6_15HIP_vector_typeIjLj2EENS0_17counting_iteratorIjlEEPS9_SG_NS0_5tupleIJPjSI_NS0_16reverse_iteratorISI_EEEEENSH_IJSG_SG_SG_EEES9_SI_JZNS1_25segmented_radix_sort_implINS0_14default_configELb1EPK12hip_bfloat16PSP_PKlPlN2at6native12_GLOBAL__N_18offset_tEEE10hipError_tPvRmT1_PNSt15iterator_traitsIS13_E10value_typeET2_T3_PNS14_IS19_E10value_typeET4_jRbjT5_S1F_jjP12ihipStream_tbEUljE_ZNSN_ISO_Lb1ESR_SS_SU_SV_SZ_EES10_S11_S12_S13_S17_S18_S19_S1C_S1D_jS1E_jS1F_S1F_jjS1H_bEUljE0_EEES10_S11_S12_S19_S1D_S1F_T6_T7_T9_mT8_S1H_bDpT10_ENKUlT_T0_E_clISt17integral_constantIbLb1EES1V_EEDaS1Q_S1R_EUlS1Q_E_NS1_11comp_targetILNS1_3genE10ELNS1_11target_archE1200ELNS1_3gpuE4ELNS1_3repE0EEENS1_30default_config_static_selectorELNS0_4arch9wavefront6targetE0EEEvS13_.has_recursion, 0
	.set _ZN7rocprim17ROCPRIM_400000_NS6detail17trampoline_kernelINS0_13select_configILj256ELj13ELNS0_17block_load_methodE3ELS4_3ELS4_3ELNS0_20block_scan_algorithmE0ELj4294967295EEENS1_25partition_config_selectorILNS1_17partition_subalgoE4EjNS0_10empty_typeEbEEZZNS1_14partition_implILS8_4ELb0ES6_15HIP_vector_typeIjLj2EENS0_17counting_iteratorIjlEEPS9_SG_NS0_5tupleIJPjSI_NS0_16reverse_iteratorISI_EEEEENSH_IJSG_SG_SG_EEES9_SI_JZNS1_25segmented_radix_sort_implINS0_14default_configELb1EPK12hip_bfloat16PSP_PKlPlN2at6native12_GLOBAL__N_18offset_tEEE10hipError_tPvRmT1_PNSt15iterator_traitsIS13_E10value_typeET2_T3_PNS14_IS19_E10value_typeET4_jRbjT5_S1F_jjP12ihipStream_tbEUljE_ZNSN_ISO_Lb1ESR_SS_SU_SV_SZ_EES10_S11_S12_S13_S17_S18_S19_S1C_S1D_jS1E_jS1F_S1F_jjS1H_bEUljE0_EEES10_S11_S12_S19_S1D_S1F_T6_T7_T9_mT8_S1H_bDpT10_ENKUlT_T0_E_clISt17integral_constantIbLb1EES1V_EEDaS1Q_S1R_EUlS1Q_E_NS1_11comp_targetILNS1_3genE10ELNS1_11target_archE1200ELNS1_3gpuE4ELNS1_3repE0EEENS1_30default_config_static_selectorELNS0_4arch9wavefront6targetE0EEEvS13_.has_indirect_call, 0
	.section	.AMDGPU.csdata,"",@progbits
; Kernel info:
; codeLenInByte = 4
; TotalNumSgprs: 0
; NumVgprs: 0
; ScratchSize: 0
; MemoryBound: 0
; FloatMode: 240
; IeeeMode: 1
; LDSByteSize: 0 bytes/workgroup (compile time only)
; SGPRBlocks: 0
; VGPRBlocks: 0
; NumSGPRsForWavesPerEU: 1
; NumVGPRsForWavesPerEU: 1
; Occupancy: 16
; WaveLimiterHint : 0
; COMPUTE_PGM_RSRC2:SCRATCH_EN: 0
; COMPUTE_PGM_RSRC2:USER_SGPR: 2
; COMPUTE_PGM_RSRC2:TRAP_HANDLER: 0
; COMPUTE_PGM_RSRC2:TGID_X_EN: 1
; COMPUTE_PGM_RSRC2:TGID_Y_EN: 0
; COMPUTE_PGM_RSRC2:TGID_Z_EN: 0
; COMPUTE_PGM_RSRC2:TIDIG_COMP_CNT: 0
	.section	.text._ZN7rocprim17ROCPRIM_400000_NS6detail17trampoline_kernelINS0_13select_configILj256ELj13ELNS0_17block_load_methodE3ELS4_3ELS4_3ELNS0_20block_scan_algorithmE0ELj4294967295EEENS1_25partition_config_selectorILNS1_17partition_subalgoE4EjNS0_10empty_typeEbEEZZNS1_14partition_implILS8_4ELb0ES6_15HIP_vector_typeIjLj2EENS0_17counting_iteratorIjlEEPS9_SG_NS0_5tupleIJPjSI_NS0_16reverse_iteratorISI_EEEEENSH_IJSG_SG_SG_EEES9_SI_JZNS1_25segmented_radix_sort_implINS0_14default_configELb1EPK12hip_bfloat16PSP_PKlPlN2at6native12_GLOBAL__N_18offset_tEEE10hipError_tPvRmT1_PNSt15iterator_traitsIS13_E10value_typeET2_T3_PNS14_IS19_E10value_typeET4_jRbjT5_S1F_jjP12ihipStream_tbEUljE_ZNSN_ISO_Lb1ESR_SS_SU_SV_SZ_EES10_S11_S12_S13_S17_S18_S19_S1C_S1D_jS1E_jS1F_S1F_jjS1H_bEUljE0_EEES10_S11_S12_S19_S1D_S1F_T6_T7_T9_mT8_S1H_bDpT10_ENKUlT_T0_E_clISt17integral_constantIbLb1EES1V_EEDaS1Q_S1R_EUlS1Q_E_NS1_11comp_targetILNS1_3genE9ELNS1_11target_archE1100ELNS1_3gpuE3ELNS1_3repE0EEENS1_30default_config_static_selectorELNS0_4arch9wavefront6targetE0EEEvS13_,"axG",@progbits,_ZN7rocprim17ROCPRIM_400000_NS6detail17trampoline_kernelINS0_13select_configILj256ELj13ELNS0_17block_load_methodE3ELS4_3ELS4_3ELNS0_20block_scan_algorithmE0ELj4294967295EEENS1_25partition_config_selectorILNS1_17partition_subalgoE4EjNS0_10empty_typeEbEEZZNS1_14partition_implILS8_4ELb0ES6_15HIP_vector_typeIjLj2EENS0_17counting_iteratorIjlEEPS9_SG_NS0_5tupleIJPjSI_NS0_16reverse_iteratorISI_EEEEENSH_IJSG_SG_SG_EEES9_SI_JZNS1_25segmented_radix_sort_implINS0_14default_configELb1EPK12hip_bfloat16PSP_PKlPlN2at6native12_GLOBAL__N_18offset_tEEE10hipError_tPvRmT1_PNSt15iterator_traitsIS13_E10value_typeET2_T3_PNS14_IS19_E10value_typeET4_jRbjT5_S1F_jjP12ihipStream_tbEUljE_ZNSN_ISO_Lb1ESR_SS_SU_SV_SZ_EES10_S11_S12_S13_S17_S18_S19_S1C_S1D_jS1E_jS1F_S1F_jjS1H_bEUljE0_EEES10_S11_S12_S19_S1D_S1F_T6_T7_T9_mT8_S1H_bDpT10_ENKUlT_T0_E_clISt17integral_constantIbLb1EES1V_EEDaS1Q_S1R_EUlS1Q_E_NS1_11comp_targetILNS1_3genE9ELNS1_11target_archE1100ELNS1_3gpuE3ELNS1_3repE0EEENS1_30default_config_static_selectorELNS0_4arch9wavefront6targetE0EEEvS13_,comdat
	.globl	_ZN7rocprim17ROCPRIM_400000_NS6detail17trampoline_kernelINS0_13select_configILj256ELj13ELNS0_17block_load_methodE3ELS4_3ELS4_3ELNS0_20block_scan_algorithmE0ELj4294967295EEENS1_25partition_config_selectorILNS1_17partition_subalgoE4EjNS0_10empty_typeEbEEZZNS1_14partition_implILS8_4ELb0ES6_15HIP_vector_typeIjLj2EENS0_17counting_iteratorIjlEEPS9_SG_NS0_5tupleIJPjSI_NS0_16reverse_iteratorISI_EEEEENSH_IJSG_SG_SG_EEES9_SI_JZNS1_25segmented_radix_sort_implINS0_14default_configELb1EPK12hip_bfloat16PSP_PKlPlN2at6native12_GLOBAL__N_18offset_tEEE10hipError_tPvRmT1_PNSt15iterator_traitsIS13_E10value_typeET2_T3_PNS14_IS19_E10value_typeET4_jRbjT5_S1F_jjP12ihipStream_tbEUljE_ZNSN_ISO_Lb1ESR_SS_SU_SV_SZ_EES10_S11_S12_S13_S17_S18_S19_S1C_S1D_jS1E_jS1F_S1F_jjS1H_bEUljE0_EEES10_S11_S12_S19_S1D_S1F_T6_T7_T9_mT8_S1H_bDpT10_ENKUlT_T0_E_clISt17integral_constantIbLb1EES1V_EEDaS1Q_S1R_EUlS1Q_E_NS1_11comp_targetILNS1_3genE9ELNS1_11target_archE1100ELNS1_3gpuE3ELNS1_3repE0EEENS1_30default_config_static_selectorELNS0_4arch9wavefront6targetE0EEEvS13_ ; -- Begin function _ZN7rocprim17ROCPRIM_400000_NS6detail17trampoline_kernelINS0_13select_configILj256ELj13ELNS0_17block_load_methodE3ELS4_3ELS4_3ELNS0_20block_scan_algorithmE0ELj4294967295EEENS1_25partition_config_selectorILNS1_17partition_subalgoE4EjNS0_10empty_typeEbEEZZNS1_14partition_implILS8_4ELb0ES6_15HIP_vector_typeIjLj2EENS0_17counting_iteratorIjlEEPS9_SG_NS0_5tupleIJPjSI_NS0_16reverse_iteratorISI_EEEEENSH_IJSG_SG_SG_EEES9_SI_JZNS1_25segmented_radix_sort_implINS0_14default_configELb1EPK12hip_bfloat16PSP_PKlPlN2at6native12_GLOBAL__N_18offset_tEEE10hipError_tPvRmT1_PNSt15iterator_traitsIS13_E10value_typeET2_T3_PNS14_IS19_E10value_typeET4_jRbjT5_S1F_jjP12ihipStream_tbEUljE_ZNSN_ISO_Lb1ESR_SS_SU_SV_SZ_EES10_S11_S12_S13_S17_S18_S19_S1C_S1D_jS1E_jS1F_S1F_jjS1H_bEUljE0_EEES10_S11_S12_S19_S1D_S1F_T6_T7_T9_mT8_S1H_bDpT10_ENKUlT_T0_E_clISt17integral_constantIbLb1EES1V_EEDaS1Q_S1R_EUlS1Q_E_NS1_11comp_targetILNS1_3genE9ELNS1_11target_archE1100ELNS1_3gpuE3ELNS1_3repE0EEENS1_30default_config_static_selectorELNS0_4arch9wavefront6targetE0EEEvS13_
	.p2align	8
	.type	_ZN7rocprim17ROCPRIM_400000_NS6detail17trampoline_kernelINS0_13select_configILj256ELj13ELNS0_17block_load_methodE3ELS4_3ELS4_3ELNS0_20block_scan_algorithmE0ELj4294967295EEENS1_25partition_config_selectorILNS1_17partition_subalgoE4EjNS0_10empty_typeEbEEZZNS1_14partition_implILS8_4ELb0ES6_15HIP_vector_typeIjLj2EENS0_17counting_iteratorIjlEEPS9_SG_NS0_5tupleIJPjSI_NS0_16reverse_iteratorISI_EEEEENSH_IJSG_SG_SG_EEES9_SI_JZNS1_25segmented_radix_sort_implINS0_14default_configELb1EPK12hip_bfloat16PSP_PKlPlN2at6native12_GLOBAL__N_18offset_tEEE10hipError_tPvRmT1_PNSt15iterator_traitsIS13_E10value_typeET2_T3_PNS14_IS19_E10value_typeET4_jRbjT5_S1F_jjP12ihipStream_tbEUljE_ZNSN_ISO_Lb1ESR_SS_SU_SV_SZ_EES10_S11_S12_S13_S17_S18_S19_S1C_S1D_jS1E_jS1F_S1F_jjS1H_bEUljE0_EEES10_S11_S12_S19_S1D_S1F_T6_T7_T9_mT8_S1H_bDpT10_ENKUlT_T0_E_clISt17integral_constantIbLb1EES1V_EEDaS1Q_S1R_EUlS1Q_E_NS1_11comp_targetILNS1_3genE9ELNS1_11target_archE1100ELNS1_3gpuE3ELNS1_3repE0EEENS1_30default_config_static_selectorELNS0_4arch9wavefront6targetE0EEEvS13_,@function
_ZN7rocprim17ROCPRIM_400000_NS6detail17trampoline_kernelINS0_13select_configILj256ELj13ELNS0_17block_load_methodE3ELS4_3ELS4_3ELNS0_20block_scan_algorithmE0ELj4294967295EEENS1_25partition_config_selectorILNS1_17partition_subalgoE4EjNS0_10empty_typeEbEEZZNS1_14partition_implILS8_4ELb0ES6_15HIP_vector_typeIjLj2EENS0_17counting_iteratorIjlEEPS9_SG_NS0_5tupleIJPjSI_NS0_16reverse_iteratorISI_EEEEENSH_IJSG_SG_SG_EEES9_SI_JZNS1_25segmented_radix_sort_implINS0_14default_configELb1EPK12hip_bfloat16PSP_PKlPlN2at6native12_GLOBAL__N_18offset_tEEE10hipError_tPvRmT1_PNSt15iterator_traitsIS13_E10value_typeET2_T3_PNS14_IS19_E10value_typeET4_jRbjT5_S1F_jjP12ihipStream_tbEUljE_ZNSN_ISO_Lb1ESR_SS_SU_SV_SZ_EES10_S11_S12_S13_S17_S18_S19_S1C_S1D_jS1E_jS1F_S1F_jjS1H_bEUljE0_EEES10_S11_S12_S19_S1D_S1F_T6_T7_T9_mT8_S1H_bDpT10_ENKUlT_T0_E_clISt17integral_constantIbLb1EES1V_EEDaS1Q_S1R_EUlS1Q_E_NS1_11comp_targetILNS1_3genE9ELNS1_11target_archE1100ELNS1_3gpuE3ELNS1_3repE0EEENS1_30default_config_static_selectorELNS0_4arch9wavefront6targetE0EEEvS13_: ; @_ZN7rocprim17ROCPRIM_400000_NS6detail17trampoline_kernelINS0_13select_configILj256ELj13ELNS0_17block_load_methodE3ELS4_3ELS4_3ELNS0_20block_scan_algorithmE0ELj4294967295EEENS1_25partition_config_selectorILNS1_17partition_subalgoE4EjNS0_10empty_typeEbEEZZNS1_14partition_implILS8_4ELb0ES6_15HIP_vector_typeIjLj2EENS0_17counting_iteratorIjlEEPS9_SG_NS0_5tupleIJPjSI_NS0_16reverse_iteratorISI_EEEEENSH_IJSG_SG_SG_EEES9_SI_JZNS1_25segmented_radix_sort_implINS0_14default_configELb1EPK12hip_bfloat16PSP_PKlPlN2at6native12_GLOBAL__N_18offset_tEEE10hipError_tPvRmT1_PNSt15iterator_traitsIS13_E10value_typeET2_T3_PNS14_IS19_E10value_typeET4_jRbjT5_S1F_jjP12ihipStream_tbEUljE_ZNSN_ISO_Lb1ESR_SS_SU_SV_SZ_EES10_S11_S12_S13_S17_S18_S19_S1C_S1D_jS1E_jS1F_S1F_jjS1H_bEUljE0_EEES10_S11_S12_S19_S1D_S1F_T6_T7_T9_mT8_S1H_bDpT10_ENKUlT_T0_E_clISt17integral_constantIbLb1EES1V_EEDaS1Q_S1R_EUlS1Q_E_NS1_11comp_targetILNS1_3genE9ELNS1_11target_archE1100ELNS1_3gpuE3ELNS1_3repE0EEENS1_30default_config_static_selectorELNS0_4arch9wavefront6targetE0EEEvS13_
; %bb.0:
	.section	.rodata,"a",@progbits
	.p2align	6, 0x0
	.amdhsa_kernel _ZN7rocprim17ROCPRIM_400000_NS6detail17trampoline_kernelINS0_13select_configILj256ELj13ELNS0_17block_load_methodE3ELS4_3ELS4_3ELNS0_20block_scan_algorithmE0ELj4294967295EEENS1_25partition_config_selectorILNS1_17partition_subalgoE4EjNS0_10empty_typeEbEEZZNS1_14partition_implILS8_4ELb0ES6_15HIP_vector_typeIjLj2EENS0_17counting_iteratorIjlEEPS9_SG_NS0_5tupleIJPjSI_NS0_16reverse_iteratorISI_EEEEENSH_IJSG_SG_SG_EEES9_SI_JZNS1_25segmented_radix_sort_implINS0_14default_configELb1EPK12hip_bfloat16PSP_PKlPlN2at6native12_GLOBAL__N_18offset_tEEE10hipError_tPvRmT1_PNSt15iterator_traitsIS13_E10value_typeET2_T3_PNS14_IS19_E10value_typeET4_jRbjT5_S1F_jjP12ihipStream_tbEUljE_ZNSN_ISO_Lb1ESR_SS_SU_SV_SZ_EES10_S11_S12_S13_S17_S18_S19_S1C_S1D_jS1E_jS1F_S1F_jjS1H_bEUljE0_EEES10_S11_S12_S19_S1D_S1F_T6_T7_T9_mT8_S1H_bDpT10_ENKUlT_T0_E_clISt17integral_constantIbLb1EES1V_EEDaS1Q_S1R_EUlS1Q_E_NS1_11comp_targetILNS1_3genE9ELNS1_11target_archE1100ELNS1_3gpuE3ELNS1_3repE0EEENS1_30default_config_static_selectorELNS0_4arch9wavefront6targetE0EEEvS13_
		.amdhsa_group_segment_fixed_size 0
		.amdhsa_private_segment_fixed_size 0
		.amdhsa_kernarg_size 184
		.amdhsa_user_sgpr_count 2
		.amdhsa_user_sgpr_dispatch_ptr 0
		.amdhsa_user_sgpr_queue_ptr 0
		.amdhsa_user_sgpr_kernarg_segment_ptr 1
		.amdhsa_user_sgpr_dispatch_id 0
		.amdhsa_user_sgpr_private_segment_size 0
		.amdhsa_wavefront_size32 1
		.amdhsa_uses_dynamic_stack 0
		.amdhsa_enable_private_segment 0
		.amdhsa_system_sgpr_workgroup_id_x 1
		.amdhsa_system_sgpr_workgroup_id_y 0
		.amdhsa_system_sgpr_workgroup_id_z 0
		.amdhsa_system_sgpr_workgroup_info 0
		.amdhsa_system_vgpr_workitem_id 0
		.amdhsa_next_free_vgpr 1
		.amdhsa_next_free_sgpr 1
		.amdhsa_reserve_vcc 0
		.amdhsa_float_round_mode_32 0
		.amdhsa_float_round_mode_16_64 0
		.amdhsa_float_denorm_mode_32 3
		.amdhsa_float_denorm_mode_16_64 3
		.amdhsa_fp16_overflow 0
		.amdhsa_workgroup_processor_mode 1
		.amdhsa_memory_ordered 1
		.amdhsa_forward_progress 1
		.amdhsa_inst_pref_size 0
		.amdhsa_round_robin_scheduling 0
		.amdhsa_exception_fp_ieee_invalid_op 0
		.amdhsa_exception_fp_denorm_src 0
		.amdhsa_exception_fp_ieee_div_zero 0
		.amdhsa_exception_fp_ieee_overflow 0
		.amdhsa_exception_fp_ieee_underflow 0
		.amdhsa_exception_fp_ieee_inexact 0
		.amdhsa_exception_int_div_zero 0
	.end_amdhsa_kernel
	.section	.text._ZN7rocprim17ROCPRIM_400000_NS6detail17trampoline_kernelINS0_13select_configILj256ELj13ELNS0_17block_load_methodE3ELS4_3ELS4_3ELNS0_20block_scan_algorithmE0ELj4294967295EEENS1_25partition_config_selectorILNS1_17partition_subalgoE4EjNS0_10empty_typeEbEEZZNS1_14partition_implILS8_4ELb0ES6_15HIP_vector_typeIjLj2EENS0_17counting_iteratorIjlEEPS9_SG_NS0_5tupleIJPjSI_NS0_16reverse_iteratorISI_EEEEENSH_IJSG_SG_SG_EEES9_SI_JZNS1_25segmented_radix_sort_implINS0_14default_configELb1EPK12hip_bfloat16PSP_PKlPlN2at6native12_GLOBAL__N_18offset_tEEE10hipError_tPvRmT1_PNSt15iterator_traitsIS13_E10value_typeET2_T3_PNS14_IS19_E10value_typeET4_jRbjT5_S1F_jjP12ihipStream_tbEUljE_ZNSN_ISO_Lb1ESR_SS_SU_SV_SZ_EES10_S11_S12_S13_S17_S18_S19_S1C_S1D_jS1E_jS1F_S1F_jjS1H_bEUljE0_EEES10_S11_S12_S19_S1D_S1F_T6_T7_T9_mT8_S1H_bDpT10_ENKUlT_T0_E_clISt17integral_constantIbLb1EES1V_EEDaS1Q_S1R_EUlS1Q_E_NS1_11comp_targetILNS1_3genE9ELNS1_11target_archE1100ELNS1_3gpuE3ELNS1_3repE0EEENS1_30default_config_static_selectorELNS0_4arch9wavefront6targetE0EEEvS13_,"axG",@progbits,_ZN7rocprim17ROCPRIM_400000_NS6detail17trampoline_kernelINS0_13select_configILj256ELj13ELNS0_17block_load_methodE3ELS4_3ELS4_3ELNS0_20block_scan_algorithmE0ELj4294967295EEENS1_25partition_config_selectorILNS1_17partition_subalgoE4EjNS0_10empty_typeEbEEZZNS1_14partition_implILS8_4ELb0ES6_15HIP_vector_typeIjLj2EENS0_17counting_iteratorIjlEEPS9_SG_NS0_5tupleIJPjSI_NS0_16reverse_iteratorISI_EEEEENSH_IJSG_SG_SG_EEES9_SI_JZNS1_25segmented_radix_sort_implINS0_14default_configELb1EPK12hip_bfloat16PSP_PKlPlN2at6native12_GLOBAL__N_18offset_tEEE10hipError_tPvRmT1_PNSt15iterator_traitsIS13_E10value_typeET2_T3_PNS14_IS19_E10value_typeET4_jRbjT5_S1F_jjP12ihipStream_tbEUljE_ZNSN_ISO_Lb1ESR_SS_SU_SV_SZ_EES10_S11_S12_S13_S17_S18_S19_S1C_S1D_jS1E_jS1F_S1F_jjS1H_bEUljE0_EEES10_S11_S12_S19_S1D_S1F_T6_T7_T9_mT8_S1H_bDpT10_ENKUlT_T0_E_clISt17integral_constantIbLb1EES1V_EEDaS1Q_S1R_EUlS1Q_E_NS1_11comp_targetILNS1_3genE9ELNS1_11target_archE1100ELNS1_3gpuE3ELNS1_3repE0EEENS1_30default_config_static_selectorELNS0_4arch9wavefront6targetE0EEEvS13_,comdat
.Lfunc_end1896:
	.size	_ZN7rocprim17ROCPRIM_400000_NS6detail17trampoline_kernelINS0_13select_configILj256ELj13ELNS0_17block_load_methodE3ELS4_3ELS4_3ELNS0_20block_scan_algorithmE0ELj4294967295EEENS1_25partition_config_selectorILNS1_17partition_subalgoE4EjNS0_10empty_typeEbEEZZNS1_14partition_implILS8_4ELb0ES6_15HIP_vector_typeIjLj2EENS0_17counting_iteratorIjlEEPS9_SG_NS0_5tupleIJPjSI_NS0_16reverse_iteratorISI_EEEEENSH_IJSG_SG_SG_EEES9_SI_JZNS1_25segmented_radix_sort_implINS0_14default_configELb1EPK12hip_bfloat16PSP_PKlPlN2at6native12_GLOBAL__N_18offset_tEEE10hipError_tPvRmT1_PNSt15iterator_traitsIS13_E10value_typeET2_T3_PNS14_IS19_E10value_typeET4_jRbjT5_S1F_jjP12ihipStream_tbEUljE_ZNSN_ISO_Lb1ESR_SS_SU_SV_SZ_EES10_S11_S12_S13_S17_S18_S19_S1C_S1D_jS1E_jS1F_S1F_jjS1H_bEUljE0_EEES10_S11_S12_S19_S1D_S1F_T6_T7_T9_mT8_S1H_bDpT10_ENKUlT_T0_E_clISt17integral_constantIbLb1EES1V_EEDaS1Q_S1R_EUlS1Q_E_NS1_11comp_targetILNS1_3genE9ELNS1_11target_archE1100ELNS1_3gpuE3ELNS1_3repE0EEENS1_30default_config_static_selectorELNS0_4arch9wavefront6targetE0EEEvS13_, .Lfunc_end1896-_ZN7rocprim17ROCPRIM_400000_NS6detail17trampoline_kernelINS0_13select_configILj256ELj13ELNS0_17block_load_methodE3ELS4_3ELS4_3ELNS0_20block_scan_algorithmE0ELj4294967295EEENS1_25partition_config_selectorILNS1_17partition_subalgoE4EjNS0_10empty_typeEbEEZZNS1_14partition_implILS8_4ELb0ES6_15HIP_vector_typeIjLj2EENS0_17counting_iteratorIjlEEPS9_SG_NS0_5tupleIJPjSI_NS0_16reverse_iteratorISI_EEEEENSH_IJSG_SG_SG_EEES9_SI_JZNS1_25segmented_radix_sort_implINS0_14default_configELb1EPK12hip_bfloat16PSP_PKlPlN2at6native12_GLOBAL__N_18offset_tEEE10hipError_tPvRmT1_PNSt15iterator_traitsIS13_E10value_typeET2_T3_PNS14_IS19_E10value_typeET4_jRbjT5_S1F_jjP12ihipStream_tbEUljE_ZNSN_ISO_Lb1ESR_SS_SU_SV_SZ_EES10_S11_S12_S13_S17_S18_S19_S1C_S1D_jS1E_jS1F_S1F_jjS1H_bEUljE0_EEES10_S11_S12_S19_S1D_S1F_T6_T7_T9_mT8_S1H_bDpT10_ENKUlT_T0_E_clISt17integral_constantIbLb1EES1V_EEDaS1Q_S1R_EUlS1Q_E_NS1_11comp_targetILNS1_3genE9ELNS1_11target_archE1100ELNS1_3gpuE3ELNS1_3repE0EEENS1_30default_config_static_selectorELNS0_4arch9wavefront6targetE0EEEvS13_
                                        ; -- End function
	.set _ZN7rocprim17ROCPRIM_400000_NS6detail17trampoline_kernelINS0_13select_configILj256ELj13ELNS0_17block_load_methodE3ELS4_3ELS4_3ELNS0_20block_scan_algorithmE0ELj4294967295EEENS1_25partition_config_selectorILNS1_17partition_subalgoE4EjNS0_10empty_typeEbEEZZNS1_14partition_implILS8_4ELb0ES6_15HIP_vector_typeIjLj2EENS0_17counting_iteratorIjlEEPS9_SG_NS0_5tupleIJPjSI_NS0_16reverse_iteratorISI_EEEEENSH_IJSG_SG_SG_EEES9_SI_JZNS1_25segmented_radix_sort_implINS0_14default_configELb1EPK12hip_bfloat16PSP_PKlPlN2at6native12_GLOBAL__N_18offset_tEEE10hipError_tPvRmT1_PNSt15iterator_traitsIS13_E10value_typeET2_T3_PNS14_IS19_E10value_typeET4_jRbjT5_S1F_jjP12ihipStream_tbEUljE_ZNSN_ISO_Lb1ESR_SS_SU_SV_SZ_EES10_S11_S12_S13_S17_S18_S19_S1C_S1D_jS1E_jS1F_S1F_jjS1H_bEUljE0_EEES10_S11_S12_S19_S1D_S1F_T6_T7_T9_mT8_S1H_bDpT10_ENKUlT_T0_E_clISt17integral_constantIbLb1EES1V_EEDaS1Q_S1R_EUlS1Q_E_NS1_11comp_targetILNS1_3genE9ELNS1_11target_archE1100ELNS1_3gpuE3ELNS1_3repE0EEENS1_30default_config_static_selectorELNS0_4arch9wavefront6targetE0EEEvS13_.num_vgpr, 0
	.set _ZN7rocprim17ROCPRIM_400000_NS6detail17trampoline_kernelINS0_13select_configILj256ELj13ELNS0_17block_load_methodE3ELS4_3ELS4_3ELNS0_20block_scan_algorithmE0ELj4294967295EEENS1_25partition_config_selectorILNS1_17partition_subalgoE4EjNS0_10empty_typeEbEEZZNS1_14partition_implILS8_4ELb0ES6_15HIP_vector_typeIjLj2EENS0_17counting_iteratorIjlEEPS9_SG_NS0_5tupleIJPjSI_NS0_16reverse_iteratorISI_EEEEENSH_IJSG_SG_SG_EEES9_SI_JZNS1_25segmented_radix_sort_implINS0_14default_configELb1EPK12hip_bfloat16PSP_PKlPlN2at6native12_GLOBAL__N_18offset_tEEE10hipError_tPvRmT1_PNSt15iterator_traitsIS13_E10value_typeET2_T3_PNS14_IS19_E10value_typeET4_jRbjT5_S1F_jjP12ihipStream_tbEUljE_ZNSN_ISO_Lb1ESR_SS_SU_SV_SZ_EES10_S11_S12_S13_S17_S18_S19_S1C_S1D_jS1E_jS1F_S1F_jjS1H_bEUljE0_EEES10_S11_S12_S19_S1D_S1F_T6_T7_T9_mT8_S1H_bDpT10_ENKUlT_T0_E_clISt17integral_constantIbLb1EES1V_EEDaS1Q_S1R_EUlS1Q_E_NS1_11comp_targetILNS1_3genE9ELNS1_11target_archE1100ELNS1_3gpuE3ELNS1_3repE0EEENS1_30default_config_static_selectorELNS0_4arch9wavefront6targetE0EEEvS13_.num_agpr, 0
	.set _ZN7rocprim17ROCPRIM_400000_NS6detail17trampoline_kernelINS0_13select_configILj256ELj13ELNS0_17block_load_methodE3ELS4_3ELS4_3ELNS0_20block_scan_algorithmE0ELj4294967295EEENS1_25partition_config_selectorILNS1_17partition_subalgoE4EjNS0_10empty_typeEbEEZZNS1_14partition_implILS8_4ELb0ES6_15HIP_vector_typeIjLj2EENS0_17counting_iteratorIjlEEPS9_SG_NS0_5tupleIJPjSI_NS0_16reverse_iteratorISI_EEEEENSH_IJSG_SG_SG_EEES9_SI_JZNS1_25segmented_radix_sort_implINS0_14default_configELb1EPK12hip_bfloat16PSP_PKlPlN2at6native12_GLOBAL__N_18offset_tEEE10hipError_tPvRmT1_PNSt15iterator_traitsIS13_E10value_typeET2_T3_PNS14_IS19_E10value_typeET4_jRbjT5_S1F_jjP12ihipStream_tbEUljE_ZNSN_ISO_Lb1ESR_SS_SU_SV_SZ_EES10_S11_S12_S13_S17_S18_S19_S1C_S1D_jS1E_jS1F_S1F_jjS1H_bEUljE0_EEES10_S11_S12_S19_S1D_S1F_T6_T7_T9_mT8_S1H_bDpT10_ENKUlT_T0_E_clISt17integral_constantIbLb1EES1V_EEDaS1Q_S1R_EUlS1Q_E_NS1_11comp_targetILNS1_3genE9ELNS1_11target_archE1100ELNS1_3gpuE3ELNS1_3repE0EEENS1_30default_config_static_selectorELNS0_4arch9wavefront6targetE0EEEvS13_.numbered_sgpr, 0
	.set _ZN7rocprim17ROCPRIM_400000_NS6detail17trampoline_kernelINS0_13select_configILj256ELj13ELNS0_17block_load_methodE3ELS4_3ELS4_3ELNS0_20block_scan_algorithmE0ELj4294967295EEENS1_25partition_config_selectorILNS1_17partition_subalgoE4EjNS0_10empty_typeEbEEZZNS1_14partition_implILS8_4ELb0ES6_15HIP_vector_typeIjLj2EENS0_17counting_iteratorIjlEEPS9_SG_NS0_5tupleIJPjSI_NS0_16reverse_iteratorISI_EEEEENSH_IJSG_SG_SG_EEES9_SI_JZNS1_25segmented_radix_sort_implINS0_14default_configELb1EPK12hip_bfloat16PSP_PKlPlN2at6native12_GLOBAL__N_18offset_tEEE10hipError_tPvRmT1_PNSt15iterator_traitsIS13_E10value_typeET2_T3_PNS14_IS19_E10value_typeET4_jRbjT5_S1F_jjP12ihipStream_tbEUljE_ZNSN_ISO_Lb1ESR_SS_SU_SV_SZ_EES10_S11_S12_S13_S17_S18_S19_S1C_S1D_jS1E_jS1F_S1F_jjS1H_bEUljE0_EEES10_S11_S12_S19_S1D_S1F_T6_T7_T9_mT8_S1H_bDpT10_ENKUlT_T0_E_clISt17integral_constantIbLb1EES1V_EEDaS1Q_S1R_EUlS1Q_E_NS1_11comp_targetILNS1_3genE9ELNS1_11target_archE1100ELNS1_3gpuE3ELNS1_3repE0EEENS1_30default_config_static_selectorELNS0_4arch9wavefront6targetE0EEEvS13_.num_named_barrier, 0
	.set _ZN7rocprim17ROCPRIM_400000_NS6detail17trampoline_kernelINS0_13select_configILj256ELj13ELNS0_17block_load_methodE3ELS4_3ELS4_3ELNS0_20block_scan_algorithmE0ELj4294967295EEENS1_25partition_config_selectorILNS1_17partition_subalgoE4EjNS0_10empty_typeEbEEZZNS1_14partition_implILS8_4ELb0ES6_15HIP_vector_typeIjLj2EENS0_17counting_iteratorIjlEEPS9_SG_NS0_5tupleIJPjSI_NS0_16reverse_iteratorISI_EEEEENSH_IJSG_SG_SG_EEES9_SI_JZNS1_25segmented_radix_sort_implINS0_14default_configELb1EPK12hip_bfloat16PSP_PKlPlN2at6native12_GLOBAL__N_18offset_tEEE10hipError_tPvRmT1_PNSt15iterator_traitsIS13_E10value_typeET2_T3_PNS14_IS19_E10value_typeET4_jRbjT5_S1F_jjP12ihipStream_tbEUljE_ZNSN_ISO_Lb1ESR_SS_SU_SV_SZ_EES10_S11_S12_S13_S17_S18_S19_S1C_S1D_jS1E_jS1F_S1F_jjS1H_bEUljE0_EEES10_S11_S12_S19_S1D_S1F_T6_T7_T9_mT8_S1H_bDpT10_ENKUlT_T0_E_clISt17integral_constantIbLb1EES1V_EEDaS1Q_S1R_EUlS1Q_E_NS1_11comp_targetILNS1_3genE9ELNS1_11target_archE1100ELNS1_3gpuE3ELNS1_3repE0EEENS1_30default_config_static_selectorELNS0_4arch9wavefront6targetE0EEEvS13_.private_seg_size, 0
	.set _ZN7rocprim17ROCPRIM_400000_NS6detail17trampoline_kernelINS0_13select_configILj256ELj13ELNS0_17block_load_methodE3ELS4_3ELS4_3ELNS0_20block_scan_algorithmE0ELj4294967295EEENS1_25partition_config_selectorILNS1_17partition_subalgoE4EjNS0_10empty_typeEbEEZZNS1_14partition_implILS8_4ELb0ES6_15HIP_vector_typeIjLj2EENS0_17counting_iteratorIjlEEPS9_SG_NS0_5tupleIJPjSI_NS0_16reverse_iteratorISI_EEEEENSH_IJSG_SG_SG_EEES9_SI_JZNS1_25segmented_radix_sort_implINS0_14default_configELb1EPK12hip_bfloat16PSP_PKlPlN2at6native12_GLOBAL__N_18offset_tEEE10hipError_tPvRmT1_PNSt15iterator_traitsIS13_E10value_typeET2_T3_PNS14_IS19_E10value_typeET4_jRbjT5_S1F_jjP12ihipStream_tbEUljE_ZNSN_ISO_Lb1ESR_SS_SU_SV_SZ_EES10_S11_S12_S13_S17_S18_S19_S1C_S1D_jS1E_jS1F_S1F_jjS1H_bEUljE0_EEES10_S11_S12_S19_S1D_S1F_T6_T7_T9_mT8_S1H_bDpT10_ENKUlT_T0_E_clISt17integral_constantIbLb1EES1V_EEDaS1Q_S1R_EUlS1Q_E_NS1_11comp_targetILNS1_3genE9ELNS1_11target_archE1100ELNS1_3gpuE3ELNS1_3repE0EEENS1_30default_config_static_selectorELNS0_4arch9wavefront6targetE0EEEvS13_.uses_vcc, 0
	.set _ZN7rocprim17ROCPRIM_400000_NS6detail17trampoline_kernelINS0_13select_configILj256ELj13ELNS0_17block_load_methodE3ELS4_3ELS4_3ELNS0_20block_scan_algorithmE0ELj4294967295EEENS1_25partition_config_selectorILNS1_17partition_subalgoE4EjNS0_10empty_typeEbEEZZNS1_14partition_implILS8_4ELb0ES6_15HIP_vector_typeIjLj2EENS0_17counting_iteratorIjlEEPS9_SG_NS0_5tupleIJPjSI_NS0_16reverse_iteratorISI_EEEEENSH_IJSG_SG_SG_EEES9_SI_JZNS1_25segmented_radix_sort_implINS0_14default_configELb1EPK12hip_bfloat16PSP_PKlPlN2at6native12_GLOBAL__N_18offset_tEEE10hipError_tPvRmT1_PNSt15iterator_traitsIS13_E10value_typeET2_T3_PNS14_IS19_E10value_typeET4_jRbjT5_S1F_jjP12ihipStream_tbEUljE_ZNSN_ISO_Lb1ESR_SS_SU_SV_SZ_EES10_S11_S12_S13_S17_S18_S19_S1C_S1D_jS1E_jS1F_S1F_jjS1H_bEUljE0_EEES10_S11_S12_S19_S1D_S1F_T6_T7_T9_mT8_S1H_bDpT10_ENKUlT_T0_E_clISt17integral_constantIbLb1EES1V_EEDaS1Q_S1R_EUlS1Q_E_NS1_11comp_targetILNS1_3genE9ELNS1_11target_archE1100ELNS1_3gpuE3ELNS1_3repE0EEENS1_30default_config_static_selectorELNS0_4arch9wavefront6targetE0EEEvS13_.uses_flat_scratch, 0
	.set _ZN7rocprim17ROCPRIM_400000_NS6detail17trampoline_kernelINS0_13select_configILj256ELj13ELNS0_17block_load_methodE3ELS4_3ELS4_3ELNS0_20block_scan_algorithmE0ELj4294967295EEENS1_25partition_config_selectorILNS1_17partition_subalgoE4EjNS0_10empty_typeEbEEZZNS1_14partition_implILS8_4ELb0ES6_15HIP_vector_typeIjLj2EENS0_17counting_iteratorIjlEEPS9_SG_NS0_5tupleIJPjSI_NS0_16reverse_iteratorISI_EEEEENSH_IJSG_SG_SG_EEES9_SI_JZNS1_25segmented_radix_sort_implINS0_14default_configELb1EPK12hip_bfloat16PSP_PKlPlN2at6native12_GLOBAL__N_18offset_tEEE10hipError_tPvRmT1_PNSt15iterator_traitsIS13_E10value_typeET2_T3_PNS14_IS19_E10value_typeET4_jRbjT5_S1F_jjP12ihipStream_tbEUljE_ZNSN_ISO_Lb1ESR_SS_SU_SV_SZ_EES10_S11_S12_S13_S17_S18_S19_S1C_S1D_jS1E_jS1F_S1F_jjS1H_bEUljE0_EEES10_S11_S12_S19_S1D_S1F_T6_T7_T9_mT8_S1H_bDpT10_ENKUlT_T0_E_clISt17integral_constantIbLb1EES1V_EEDaS1Q_S1R_EUlS1Q_E_NS1_11comp_targetILNS1_3genE9ELNS1_11target_archE1100ELNS1_3gpuE3ELNS1_3repE0EEENS1_30default_config_static_selectorELNS0_4arch9wavefront6targetE0EEEvS13_.has_dyn_sized_stack, 0
	.set _ZN7rocprim17ROCPRIM_400000_NS6detail17trampoline_kernelINS0_13select_configILj256ELj13ELNS0_17block_load_methodE3ELS4_3ELS4_3ELNS0_20block_scan_algorithmE0ELj4294967295EEENS1_25partition_config_selectorILNS1_17partition_subalgoE4EjNS0_10empty_typeEbEEZZNS1_14partition_implILS8_4ELb0ES6_15HIP_vector_typeIjLj2EENS0_17counting_iteratorIjlEEPS9_SG_NS0_5tupleIJPjSI_NS0_16reverse_iteratorISI_EEEEENSH_IJSG_SG_SG_EEES9_SI_JZNS1_25segmented_radix_sort_implINS0_14default_configELb1EPK12hip_bfloat16PSP_PKlPlN2at6native12_GLOBAL__N_18offset_tEEE10hipError_tPvRmT1_PNSt15iterator_traitsIS13_E10value_typeET2_T3_PNS14_IS19_E10value_typeET4_jRbjT5_S1F_jjP12ihipStream_tbEUljE_ZNSN_ISO_Lb1ESR_SS_SU_SV_SZ_EES10_S11_S12_S13_S17_S18_S19_S1C_S1D_jS1E_jS1F_S1F_jjS1H_bEUljE0_EEES10_S11_S12_S19_S1D_S1F_T6_T7_T9_mT8_S1H_bDpT10_ENKUlT_T0_E_clISt17integral_constantIbLb1EES1V_EEDaS1Q_S1R_EUlS1Q_E_NS1_11comp_targetILNS1_3genE9ELNS1_11target_archE1100ELNS1_3gpuE3ELNS1_3repE0EEENS1_30default_config_static_selectorELNS0_4arch9wavefront6targetE0EEEvS13_.has_recursion, 0
	.set _ZN7rocprim17ROCPRIM_400000_NS6detail17trampoline_kernelINS0_13select_configILj256ELj13ELNS0_17block_load_methodE3ELS4_3ELS4_3ELNS0_20block_scan_algorithmE0ELj4294967295EEENS1_25partition_config_selectorILNS1_17partition_subalgoE4EjNS0_10empty_typeEbEEZZNS1_14partition_implILS8_4ELb0ES6_15HIP_vector_typeIjLj2EENS0_17counting_iteratorIjlEEPS9_SG_NS0_5tupleIJPjSI_NS0_16reverse_iteratorISI_EEEEENSH_IJSG_SG_SG_EEES9_SI_JZNS1_25segmented_radix_sort_implINS0_14default_configELb1EPK12hip_bfloat16PSP_PKlPlN2at6native12_GLOBAL__N_18offset_tEEE10hipError_tPvRmT1_PNSt15iterator_traitsIS13_E10value_typeET2_T3_PNS14_IS19_E10value_typeET4_jRbjT5_S1F_jjP12ihipStream_tbEUljE_ZNSN_ISO_Lb1ESR_SS_SU_SV_SZ_EES10_S11_S12_S13_S17_S18_S19_S1C_S1D_jS1E_jS1F_S1F_jjS1H_bEUljE0_EEES10_S11_S12_S19_S1D_S1F_T6_T7_T9_mT8_S1H_bDpT10_ENKUlT_T0_E_clISt17integral_constantIbLb1EES1V_EEDaS1Q_S1R_EUlS1Q_E_NS1_11comp_targetILNS1_3genE9ELNS1_11target_archE1100ELNS1_3gpuE3ELNS1_3repE0EEENS1_30default_config_static_selectorELNS0_4arch9wavefront6targetE0EEEvS13_.has_indirect_call, 0
	.section	.AMDGPU.csdata,"",@progbits
; Kernel info:
; codeLenInByte = 0
; TotalNumSgprs: 0
; NumVgprs: 0
; ScratchSize: 0
; MemoryBound: 0
; FloatMode: 240
; IeeeMode: 1
; LDSByteSize: 0 bytes/workgroup (compile time only)
; SGPRBlocks: 0
; VGPRBlocks: 0
; NumSGPRsForWavesPerEU: 1
; NumVGPRsForWavesPerEU: 1
; Occupancy: 16
; WaveLimiterHint : 0
; COMPUTE_PGM_RSRC2:SCRATCH_EN: 0
; COMPUTE_PGM_RSRC2:USER_SGPR: 2
; COMPUTE_PGM_RSRC2:TRAP_HANDLER: 0
; COMPUTE_PGM_RSRC2:TGID_X_EN: 1
; COMPUTE_PGM_RSRC2:TGID_Y_EN: 0
; COMPUTE_PGM_RSRC2:TGID_Z_EN: 0
; COMPUTE_PGM_RSRC2:TIDIG_COMP_CNT: 0
	.section	.text._ZN7rocprim17ROCPRIM_400000_NS6detail17trampoline_kernelINS0_13select_configILj256ELj13ELNS0_17block_load_methodE3ELS4_3ELS4_3ELNS0_20block_scan_algorithmE0ELj4294967295EEENS1_25partition_config_selectorILNS1_17partition_subalgoE4EjNS0_10empty_typeEbEEZZNS1_14partition_implILS8_4ELb0ES6_15HIP_vector_typeIjLj2EENS0_17counting_iteratorIjlEEPS9_SG_NS0_5tupleIJPjSI_NS0_16reverse_iteratorISI_EEEEENSH_IJSG_SG_SG_EEES9_SI_JZNS1_25segmented_radix_sort_implINS0_14default_configELb1EPK12hip_bfloat16PSP_PKlPlN2at6native12_GLOBAL__N_18offset_tEEE10hipError_tPvRmT1_PNSt15iterator_traitsIS13_E10value_typeET2_T3_PNS14_IS19_E10value_typeET4_jRbjT5_S1F_jjP12ihipStream_tbEUljE_ZNSN_ISO_Lb1ESR_SS_SU_SV_SZ_EES10_S11_S12_S13_S17_S18_S19_S1C_S1D_jS1E_jS1F_S1F_jjS1H_bEUljE0_EEES10_S11_S12_S19_S1D_S1F_T6_T7_T9_mT8_S1H_bDpT10_ENKUlT_T0_E_clISt17integral_constantIbLb1EES1V_EEDaS1Q_S1R_EUlS1Q_E_NS1_11comp_targetILNS1_3genE8ELNS1_11target_archE1030ELNS1_3gpuE2ELNS1_3repE0EEENS1_30default_config_static_selectorELNS0_4arch9wavefront6targetE0EEEvS13_,"axG",@progbits,_ZN7rocprim17ROCPRIM_400000_NS6detail17trampoline_kernelINS0_13select_configILj256ELj13ELNS0_17block_load_methodE3ELS4_3ELS4_3ELNS0_20block_scan_algorithmE0ELj4294967295EEENS1_25partition_config_selectorILNS1_17partition_subalgoE4EjNS0_10empty_typeEbEEZZNS1_14partition_implILS8_4ELb0ES6_15HIP_vector_typeIjLj2EENS0_17counting_iteratorIjlEEPS9_SG_NS0_5tupleIJPjSI_NS0_16reverse_iteratorISI_EEEEENSH_IJSG_SG_SG_EEES9_SI_JZNS1_25segmented_radix_sort_implINS0_14default_configELb1EPK12hip_bfloat16PSP_PKlPlN2at6native12_GLOBAL__N_18offset_tEEE10hipError_tPvRmT1_PNSt15iterator_traitsIS13_E10value_typeET2_T3_PNS14_IS19_E10value_typeET4_jRbjT5_S1F_jjP12ihipStream_tbEUljE_ZNSN_ISO_Lb1ESR_SS_SU_SV_SZ_EES10_S11_S12_S13_S17_S18_S19_S1C_S1D_jS1E_jS1F_S1F_jjS1H_bEUljE0_EEES10_S11_S12_S19_S1D_S1F_T6_T7_T9_mT8_S1H_bDpT10_ENKUlT_T0_E_clISt17integral_constantIbLb1EES1V_EEDaS1Q_S1R_EUlS1Q_E_NS1_11comp_targetILNS1_3genE8ELNS1_11target_archE1030ELNS1_3gpuE2ELNS1_3repE0EEENS1_30default_config_static_selectorELNS0_4arch9wavefront6targetE0EEEvS13_,comdat
	.globl	_ZN7rocprim17ROCPRIM_400000_NS6detail17trampoline_kernelINS0_13select_configILj256ELj13ELNS0_17block_load_methodE3ELS4_3ELS4_3ELNS0_20block_scan_algorithmE0ELj4294967295EEENS1_25partition_config_selectorILNS1_17partition_subalgoE4EjNS0_10empty_typeEbEEZZNS1_14partition_implILS8_4ELb0ES6_15HIP_vector_typeIjLj2EENS0_17counting_iteratorIjlEEPS9_SG_NS0_5tupleIJPjSI_NS0_16reverse_iteratorISI_EEEEENSH_IJSG_SG_SG_EEES9_SI_JZNS1_25segmented_radix_sort_implINS0_14default_configELb1EPK12hip_bfloat16PSP_PKlPlN2at6native12_GLOBAL__N_18offset_tEEE10hipError_tPvRmT1_PNSt15iterator_traitsIS13_E10value_typeET2_T3_PNS14_IS19_E10value_typeET4_jRbjT5_S1F_jjP12ihipStream_tbEUljE_ZNSN_ISO_Lb1ESR_SS_SU_SV_SZ_EES10_S11_S12_S13_S17_S18_S19_S1C_S1D_jS1E_jS1F_S1F_jjS1H_bEUljE0_EEES10_S11_S12_S19_S1D_S1F_T6_T7_T9_mT8_S1H_bDpT10_ENKUlT_T0_E_clISt17integral_constantIbLb1EES1V_EEDaS1Q_S1R_EUlS1Q_E_NS1_11comp_targetILNS1_3genE8ELNS1_11target_archE1030ELNS1_3gpuE2ELNS1_3repE0EEENS1_30default_config_static_selectorELNS0_4arch9wavefront6targetE0EEEvS13_ ; -- Begin function _ZN7rocprim17ROCPRIM_400000_NS6detail17trampoline_kernelINS0_13select_configILj256ELj13ELNS0_17block_load_methodE3ELS4_3ELS4_3ELNS0_20block_scan_algorithmE0ELj4294967295EEENS1_25partition_config_selectorILNS1_17partition_subalgoE4EjNS0_10empty_typeEbEEZZNS1_14partition_implILS8_4ELb0ES6_15HIP_vector_typeIjLj2EENS0_17counting_iteratorIjlEEPS9_SG_NS0_5tupleIJPjSI_NS0_16reverse_iteratorISI_EEEEENSH_IJSG_SG_SG_EEES9_SI_JZNS1_25segmented_radix_sort_implINS0_14default_configELb1EPK12hip_bfloat16PSP_PKlPlN2at6native12_GLOBAL__N_18offset_tEEE10hipError_tPvRmT1_PNSt15iterator_traitsIS13_E10value_typeET2_T3_PNS14_IS19_E10value_typeET4_jRbjT5_S1F_jjP12ihipStream_tbEUljE_ZNSN_ISO_Lb1ESR_SS_SU_SV_SZ_EES10_S11_S12_S13_S17_S18_S19_S1C_S1D_jS1E_jS1F_S1F_jjS1H_bEUljE0_EEES10_S11_S12_S19_S1D_S1F_T6_T7_T9_mT8_S1H_bDpT10_ENKUlT_T0_E_clISt17integral_constantIbLb1EES1V_EEDaS1Q_S1R_EUlS1Q_E_NS1_11comp_targetILNS1_3genE8ELNS1_11target_archE1030ELNS1_3gpuE2ELNS1_3repE0EEENS1_30default_config_static_selectorELNS0_4arch9wavefront6targetE0EEEvS13_
	.p2align	8
	.type	_ZN7rocprim17ROCPRIM_400000_NS6detail17trampoline_kernelINS0_13select_configILj256ELj13ELNS0_17block_load_methodE3ELS4_3ELS4_3ELNS0_20block_scan_algorithmE0ELj4294967295EEENS1_25partition_config_selectorILNS1_17partition_subalgoE4EjNS0_10empty_typeEbEEZZNS1_14partition_implILS8_4ELb0ES6_15HIP_vector_typeIjLj2EENS0_17counting_iteratorIjlEEPS9_SG_NS0_5tupleIJPjSI_NS0_16reverse_iteratorISI_EEEEENSH_IJSG_SG_SG_EEES9_SI_JZNS1_25segmented_radix_sort_implINS0_14default_configELb1EPK12hip_bfloat16PSP_PKlPlN2at6native12_GLOBAL__N_18offset_tEEE10hipError_tPvRmT1_PNSt15iterator_traitsIS13_E10value_typeET2_T3_PNS14_IS19_E10value_typeET4_jRbjT5_S1F_jjP12ihipStream_tbEUljE_ZNSN_ISO_Lb1ESR_SS_SU_SV_SZ_EES10_S11_S12_S13_S17_S18_S19_S1C_S1D_jS1E_jS1F_S1F_jjS1H_bEUljE0_EEES10_S11_S12_S19_S1D_S1F_T6_T7_T9_mT8_S1H_bDpT10_ENKUlT_T0_E_clISt17integral_constantIbLb1EES1V_EEDaS1Q_S1R_EUlS1Q_E_NS1_11comp_targetILNS1_3genE8ELNS1_11target_archE1030ELNS1_3gpuE2ELNS1_3repE0EEENS1_30default_config_static_selectorELNS0_4arch9wavefront6targetE0EEEvS13_,@function
_ZN7rocprim17ROCPRIM_400000_NS6detail17trampoline_kernelINS0_13select_configILj256ELj13ELNS0_17block_load_methodE3ELS4_3ELS4_3ELNS0_20block_scan_algorithmE0ELj4294967295EEENS1_25partition_config_selectorILNS1_17partition_subalgoE4EjNS0_10empty_typeEbEEZZNS1_14partition_implILS8_4ELb0ES6_15HIP_vector_typeIjLj2EENS0_17counting_iteratorIjlEEPS9_SG_NS0_5tupleIJPjSI_NS0_16reverse_iteratorISI_EEEEENSH_IJSG_SG_SG_EEES9_SI_JZNS1_25segmented_radix_sort_implINS0_14default_configELb1EPK12hip_bfloat16PSP_PKlPlN2at6native12_GLOBAL__N_18offset_tEEE10hipError_tPvRmT1_PNSt15iterator_traitsIS13_E10value_typeET2_T3_PNS14_IS19_E10value_typeET4_jRbjT5_S1F_jjP12ihipStream_tbEUljE_ZNSN_ISO_Lb1ESR_SS_SU_SV_SZ_EES10_S11_S12_S13_S17_S18_S19_S1C_S1D_jS1E_jS1F_S1F_jjS1H_bEUljE0_EEES10_S11_S12_S19_S1D_S1F_T6_T7_T9_mT8_S1H_bDpT10_ENKUlT_T0_E_clISt17integral_constantIbLb1EES1V_EEDaS1Q_S1R_EUlS1Q_E_NS1_11comp_targetILNS1_3genE8ELNS1_11target_archE1030ELNS1_3gpuE2ELNS1_3repE0EEENS1_30default_config_static_selectorELNS0_4arch9wavefront6targetE0EEEvS13_: ; @_ZN7rocprim17ROCPRIM_400000_NS6detail17trampoline_kernelINS0_13select_configILj256ELj13ELNS0_17block_load_methodE3ELS4_3ELS4_3ELNS0_20block_scan_algorithmE0ELj4294967295EEENS1_25partition_config_selectorILNS1_17partition_subalgoE4EjNS0_10empty_typeEbEEZZNS1_14partition_implILS8_4ELb0ES6_15HIP_vector_typeIjLj2EENS0_17counting_iteratorIjlEEPS9_SG_NS0_5tupleIJPjSI_NS0_16reverse_iteratorISI_EEEEENSH_IJSG_SG_SG_EEES9_SI_JZNS1_25segmented_radix_sort_implINS0_14default_configELb1EPK12hip_bfloat16PSP_PKlPlN2at6native12_GLOBAL__N_18offset_tEEE10hipError_tPvRmT1_PNSt15iterator_traitsIS13_E10value_typeET2_T3_PNS14_IS19_E10value_typeET4_jRbjT5_S1F_jjP12ihipStream_tbEUljE_ZNSN_ISO_Lb1ESR_SS_SU_SV_SZ_EES10_S11_S12_S13_S17_S18_S19_S1C_S1D_jS1E_jS1F_S1F_jjS1H_bEUljE0_EEES10_S11_S12_S19_S1D_S1F_T6_T7_T9_mT8_S1H_bDpT10_ENKUlT_T0_E_clISt17integral_constantIbLb1EES1V_EEDaS1Q_S1R_EUlS1Q_E_NS1_11comp_targetILNS1_3genE8ELNS1_11target_archE1030ELNS1_3gpuE2ELNS1_3repE0EEENS1_30default_config_static_selectorELNS0_4arch9wavefront6targetE0EEEvS13_
; %bb.0:
	.section	.rodata,"a",@progbits
	.p2align	6, 0x0
	.amdhsa_kernel _ZN7rocprim17ROCPRIM_400000_NS6detail17trampoline_kernelINS0_13select_configILj256ELj13ELNS0_17block_load_methodE3ELS4_3ELS4_3ELNS0_20block_scan_algorithmE0ELj4294967295EEENS1_25partition_config_selectorILNS1_17partition_subalgoE4EjNS0_10empty_typeEbEEZZNS1_14partition_implILS8_4ELb0ES6_15HIP_vector_typeIjLj2EENS0_17counting_iteratorIjlEEPS9_SG_NS0_5tupleIJPjSI_NS0_16reverse_iteratorISI_EEEEENSH_IJSG_SG_SG_EEES9_SI_JZNS1_25segmented_radix_sort_implINS0_14default_configELb1EPK12hip_bfloat16PSP_PKlPlN2at6native12_GLOBAL__N_18offset_tEEE10hipError_tPvRmT1_PNSt15iterator_traitsIS13_E10value_typeET2_T3_PNS14_IS19_E10value_typeET4_jRbjT5_S1F_jjP12ihipStream_tbEUljE_ZNSN_ISO_Lb1ESR_SS_SU_SV_SZ_EES10_S11_S12_S13_S17_S18_S19_S1C_S1D_jS1E_jS1F_S1F_jjS1H_bEUljE0_EEES10_S11_S12_S19_S1D_S1F_T6_T7_T9_mT8_S1H_bDpT10_ENKUlT_T0_E_clISt17integral_constantIbLb1EES1V_EEDaS1Q_S1R_EUlS1Q_E_NS1_11comp_targetILNS1_3genE8ELNS1_11target_archE1030ELNS1_3gpuE2ELNS1_3repE0EEENS1_30default_config_static_selectorELNS0_4arch9wavefront6targetE0EEEvS13_
		.amdhsa_group_segment_fixed_size 0
		.amdhsa_private_segment_fixed_size 0
		.amdhsa_kernarg_size 184
		.amdhsa_user_sgpr_count 2
		.amdhsa_user_sgpr_dispatch_ptr 0
		.amdhsa_user_sgpr_queue_ptr 0
		.amdhsa_user_sgpr_kernarg_segment_ptr 1
		.amdhsa_user_sgpr_dispatch_id 0
		.amdhsa_user_sgpr_private_segment_size 0
		.amdhsa_wavefront_size32 1
		.amdhsa_uses_dynamic_stack 0
		.amdhsa_enable_private_segment 0
		.amdhsa_system_sgpr_workgroup_id_x 1
		.amdhsa_system_sgpr_workgroup_id_y 0
		.amdhsa_system_sgpr_workgroup_id_z 0
		.amdhsa_system_sgpr_workgroup_info 0
		.amdhsa_system_vgpr_workitem_id 0
		.amdhsa_next_free_vgpr 1
		.amdhsa_next_free_sgpr 1
		.amdhsa_reserve_vcc 0
		.amdhsa_float_round_mode_32 0
		.amdhsa_float_round_mode_16_64 0
		.amdhsa_float_denorm_mode_32 3
		.amdhsa_float_denorm_mode_16_64 3
		.amdhsa_fp16_overflow 0
		.amdhsa_workgroup_processor_mode 1
		.amdhsa_memory_ordered 1
		.amdhsa_forward_progress 1
		.amdhsa_inst_pref_size 0
		.amdhsa_round_robin_scheduling 0
		.amdhsa_exception_fp_ieee_invalid_op 0
		.amdhsa_exception_fp_denorm_src 0
		.amdhsa_exception_fp_ieee_div_zero 0
		.amdhsa_exception_fp_ieee_overflow 0
		.amdhsa_exception_fp_ieee_underflow 0
		.amdhsa_exception_fp_ieee_inexact 0
		.amdhsa_exception_int_div_zero 0
	.end_amdhsa_kernel
	.section	.text._ZN7rocprim17ROCPRIM_400000_NS6detail17trampoline_kernelINS0_13select_configILj256ELj13ELNS0_17block_load_methodE3ELS4_3ELS4_3ELNS0_20block_scan_algorithmE0ELj4294967295EEENS1_25partition_config_selectorILNS1_17partition_subalgoE4EjNS0_10empty_typeEbEEZZNS1_14partition_implILS8_4ELb0ES6_15HIP_vector_typeIjLj2EENS0_17counting_iteratorIjlEEPS9_SG_NS0_5tupleIJPjSI_NS0_16reverse_iteratorISI_EEEEENSH_IJSG_SG_SG_EEES9_SI_JZNS1_25segmented_radix_sort_implINS0_14default_configELb1EPK12hip_bfloat16PSP_PKlPlN2at6native12_GLOBAL__N_18offset_tEEE10hipError_tPvRmT1_PNSt15iterator_traitsIS13_E10value_typeET2_T3_PNS14_IS19_E10value_typeET4_jRbjT5_S1F_jjP12ihipStream_tbEUljE_ZNSN_ISO_Lb1ESR_SS_SU_SV_SZ_EES10_S11_S12_S13_S17_S18_S19_S1C_S1D_jS1E_jS1F_S1F_jjS1H_bEUljE0_EEES10_S11_S12_S19_S1D_S1F_T6_T7_T9_mT8_S1H_bDpT10_ENKUlT_T0_E_clISt17integral_constantIbLb1EES1V_EEDaS1Q_S1R_EUlS1Q_E_NS1_11comp_targetILNS1_3genE8ELNS1_11target_archE1030ELNS1_3gpuE2ELNS1_3repE0EEENS1_30default_config_static_selectorELNS0_4arch9wavefront6targetE0EEEvS13_,"axG",@progbits,_ZN7rocprim17ROCPRIM_400000_NS6detail17trampoline_kernelINS0_13select_configILj256ELj13ELNS0_17block_load_methodE3ELS4_3ELS4_3ELNS0_20block_scan_algorithmE0ELj4294967295EEENS1_25partition_config_selectorILNS1_17partition_subalgoE4EjNS0_10empty_typeEbEEZZNS1_14partition_implILS8_4ELb0ES6_15HIP_vector_typeIjLj2EENS0_17counting_iteratorIjlEEPS9_SG_NS0_5tupleIJPjSI_NS0_16reverse_iteratorISI_EEEEENSH_IJSG_SG_SG_EEES9_SI_JZNS1_25segmented_radix_sort_implINS0_14default_configELb1EPK12hip_bfloat16PSP_PKlPlN2at6native12_GLOBAL__N_18offset_tEEE10hipError_tPvRmT1_PNSt15iterator_traitsIS13_E10value_typeET2_T3_PNS14_IS19_E10value_typeET4_jRbjT5_S1F_jjP12ihipStream_tbEUljE_ZNSN_ISO_Lb1ESR_SS_SU_SV_SZ_EES10_S11_S12_S13_S17_S18_S19_S1C_S1D_jS1E_jS1F_S1F_jjS1H_bEUljE0_EEES10_S11_S12_S19_S1D_S1F_T6_T7_T9_mT8_S1H_bDpT10_ENKUlT_T0_E_clISt17integral_constantIbLb1EES1V_EEDaS1Q_S1R_EUlS1Q_E_NS1_11comp_targetILNS1_3genE8ELNS1_11target_archE1030ELNS1_3gpuE2ELNS1_3repE0EEENS1_30default_config_static_selectorELNS0_4arch9wavefront6targetE0EEEvS13_,comdat
.Lfunc_end1897:
	.size	_ZN7rocprim17ROCPRIM_400000_NS6detail17trampoline_kernelINS0_13select_configILj256ELj13ELNS0_17block_load_methodE3ELS4_3ELS4_3ELNS0_20block_scan_algorithmE0ELj4294967295EEENS1_25partition_config_selectorILNS1_17partition_subalgoE4EjNS0_10empty_typeEbEEZZNS1_14partition_implILS8_4ELb0ES6_15HIP_vector_typeIjLj2EENS0_17counting_iteratorIjlEEPS9_SG_NS0_5tupleIJPjSI_NS0_16reverse_iteratorISI_EEEEENSH_IJSG_SG_SG_EEES9_SI_JZNS1_25segmented_radix_sort_implINS0_14default_configELb1EPK12hip_bfloat16PSP_PKlPlN2at6native12_GLOBAL__N_18offset_tEEE10hipError_tPvRmT1_PNSt15iterator_traitsIS13_E10value_typeET2_T3_PNS14_IS19_E10value_typeET4_jRbjT5_S1F_jjP12ihipStream_tbEUljE_ZNSN_ISO_Lb1ESR_SS_SU_SV_SZ_EES10_S11_S12_S13_S17_S18_S19_S1C_S1D_jS1E_jS1F_S1F_jjS1H_bEUljE0_EEES10_S11_S12_S19_S1D_S1F_T6_T7_T9_mT8_S1H_bDpT10_ENKUlT_T0_E_clISt17integral_constantIbLb1EES1V_EEDaS1Q_S1R_EUlS1Q_E_NS1_11comp_targetILNS1_3genE8ELNS1_11target_archE1030ELNS1_3gpuE2ELNS1_3repE0EEENS1_30default_config_static_selectorELNS0_4arch9wavefront6targetE0EEEvS13_, .Lfunc_end1897-_ZN7rocprim17ROCPRIM_400000_NS6detail17trampoline_kernelINS0_13select_configILj256ELj13ELNS0_17block_load_methodE3ELS4_3ELS4_3ELNS0_20block_scan_algorithmE0ELj4294967295EEENS1_25partition_config_selectorILNS1_17partition_subalgoE4EjNS0_10empty_typeEbEEZZNS1_14partition_implILS8_4ELb0ES6_15HIP_vector_typeIjLj2EENS0_17counting_iteratorIjlEEPS9_SG_NS0_5tupleIJPjSI_NS0_16reverse_iteratorISI_EEEEENSH_IJSG_SG_SG_EEES9_SI_JZNS1_25segmented_radix_sort_implINS0_14default_configELb1EPK12hip_bfloat16PSP_PKlPlN2at6native12_GLOBAL__N_18offset_tEEE10hipError_tPvRmT1_PNSt15iterator_traitsIS13_E10value_typeET2_T3_PNS14_IS19_E10value_typeET4_jRbjT5_S1F_jjP12ihipStream_tbEUljE_ZNSN_ISO_Lb1ESR_SS_SU_SV_SZ_EES10_S11_S12_S13_S17_S18_S19_S1C_S1D_jS1E_jS1F_S1F_jjS1H_bEUljE0_EEES10_S11_S12_S19_S1D_S1F_T6_T7_T9_mT8_S1H_bDpT10_ENKUlT_T0_E_clISt17integral_constantIbLb1EES1V_EEDaS1Q_S1R_EUlS1Q_E_NS1_11comp_targetILNS1_3genE8ELNS1_11target_archE1030ELNS1_3gpuE2ELNS1_3repE0EEENS1_30default_config_static_selectorELNS0_4arch9wavefront6targetE0EEEvS13_
                                        ; -- End function
	.set _ZN7rocprim17ROCPRIM_400000_NS6detail17trampoline_kernelINS0_13select_configILj256ELj13ELNS0_17block_load_methodE3ELS4_3ELS4_3ELNS0_20block_scan_algorithmE0ELj4294967295EEENS1_25partition_config_selectorILNS1_17partition_subalgoE4EjNS0_10empty_typeEbEEZZNS1_14partition_implILS8_4ELb0ES6_15HIP_vector_typeIjLj2EENS0_17counting_iteratorIjlEEPS9_SG_NS0_5tupleIJPjSI_NS0_16reverse_iteratorISI_EEEEENSH_IJSG_SG_SG_EEES9_SI_JZNS1_25segmented_radix_sort_implINS0_14default_configELb1EPK12hip_bfloat16PSP_PKlPlN2at6native12_GLOBAL__N_18offset_tEEE10hipError_tPvRmT1_PNSt15iterator_traitsIS13_E10value_typeET2_T3_PNS14_IS19_E10value_typeET4_jRbjT5_S1F_jjP12ihipStream_tbEUljE_ZNSN_ISO_Lb1ESR_SS_SU_SV_SZ_EES10_S11_S12_S13_S17_S18_S19_S1C_S1D_jS1E_jS1F_S1F_jjS1H_bEUljE0_EEES10_S11_S12_S19_S1D_S1F_T6_T7_T9_mT8_S1H_bDpT10_ENKUlT_T0_E_clISt17integral_constantIbLb1EES1V_EEDaS1Q_S1R_EUlS1Q_E_NS1_11comp_targetILNS1_3genE8ELNS1_11target_archE1030ELNS1_3gpuE2ELNS1_3repE0EEENS1_30default_config_static_selectorELNS0_4arch9wavefront6targetE0EEEvS13_.num_vgpr, 0
	.set _ZN7rocprim17ROCPRIM_400000_NS6detail17trampoline_kernelINS0_13select_configILj256ELj13ELNS0_17block_load_methodE3ELS4_3ELS4_3ELNS0_20block_scan_algorithmE0ELj4294967295EEENS1_25partition_config_selectorILNS1_17partition_subalgoE4EjNS0_10empty_typeEbEEZZNS1_14partition_implILS8_4ELb0ES6_15HIP_vector_typeIjLj2EENS0_17counting_iteratorIjlEEPS9_SG_NS0_5tupleIJPjSI_NS0_16reverse_iteratorISI_EEEEENSH_IJSG_SG_SG_EEES9_SI_JZNS1_25segmented_radix_sort_implINS0_14default_configELb1EPK12hip_bfloat16PSP_PKlPlN2at6native12_GLOBAL__N_18offset_tEEE10hipError_tPvRmT1_PNSt15iterator_traitsIS13_E10value_typeET2_T3_PNS14_IS19_E10value_typeET4_jRbjT5_S1F_jjP12ihipStream_tbEUljE_ZNSN_ISO_Lb1ESR_SS_SU_SV_SZ_EES10_S11_S12_S13_S17_S18_S19_S1C_S1D_jS1E_jS1F_S1F_jjS1H_bEUljE0_EEES10_S11_S12_S19_S1D_S1F_T6_T7_T9_mT8_S1H_bDpT10_ENKUlT_T0_E_clISt17integral_constantIbLb1EES1V_EEDaS1Q_S1R_EUlS1Q_E_NS1_11comp_targetILNS1_3genE8ELNS1_11target_archE1030ELNS1_3gpuE2ELNS1_3repE0EEENS1_30default_config_static_selectorELNS0_4arch9wavefront6targetE0EEEvS13_.num_agpr, 0
	.set _ZN7rocprim17ROCPRIM_400000_NS6detail17trampoline_kernelINS0_13select_configILj256ELj13ELNS0_17block_load_methodE3ELS4_3ELS4_3ELNS0_20block_scan_algorithmE0ELj4294967295EEENS1_25partition_config_selectorILNS1_17partition_subalgoE4EjNS0_10empty_typeEbEEZZNS1_14partition_implILS8_4ELb0ES6_15HIP_vector_typeIjLj2EENS0_17counting_iteratorIjlEEPS9_SG_NS0_5tupleIJPjSI_NS0_16reverse_iteratorISI_EEEEENSH_IJSG_SG_SG_EEES9_SI_JZNS1_25segmented_radix_sort_implINS0_14default_configELb1EPK12hip_bfloat16PSP_PKlPlN2at6native12_GLOBAL__N_18offset_tEEE10hipError_tPvRmT1_PNSt15iterator_traitsIS13_E10value_typeET2_T3_PNS14_IS19_E10value_typeET4_jRbjT5_S1F_jjP12ihipStream_tbEUljE_ZNSN_ISO_Lb1ESR_SS_SU_SV_SZ_EES10_S11_S12_S13_S17_S18_S19_S1C_S1D_jS1E_jS1F_S1F_jjS1H_bEUljE0_EEES10_S11_S12_S19_S1D_S1F_T6_T7_T9_mT8_S1H_bDpT10_ENKUlT_T0_E_clISt17integral_constantIbLb1EES1V_EEDaS1Q_S1R_EUlS1Q_E_NS1_11comp_targetILNS1_3genE8ELNS1_11target_archE1030ELNS1_3gpuE2ELNS1_3repE0EEENS1_30default_config_static_selectorELNS0_4arch9wavefront6targetE0EEEvS13_.numbered_sgpr, 0
	.set _ZN7rocprim17ROCPRIM_400000_NS6detail17trampoline_kernelINS0_13select_configILj256ELj13ELNS0_17block_load_methodE3ELS4_3ELS4_3ELNS0_20block_scan_algorithmE0ELj4294967295EEENS1_25partition_config_selectorILNS1_17partition_subalgoE4EjNS0_10empty_typeEbEEZZNS1_14partition_implILS8_4ELb0ES6_15HIP_vector_typeIjLj2EENS0_17counting_iteratorIjlEEPS9_SG_NS0_5tupleIJPjSI_NS0_16reverse_iteratorISI_EEEEENSH_IJSG_SG_SG_EEES9_SI_JZNS1_25segmented_radix_sort_implINS0_14default_configELb1EPK12hip_bfloat16PSP_PKlPlN2at6native12_GLOBAL__N_18offset_tEEE10hipError_tPvRmT1_PNSt15iterator_traitsIS13_E10value_typeET2_T3_PNS14_IS19_E10value_typeET4_jRbjT5_S1F_jjP12ihipStream_tbEUljE_ZNSN_ISO_Lb1ESR_SS_SU_SV_SZ_EES10_S11_S12_S13_S17_S18_S19_S1C_S1D_jS1E_jS1F_S1F_jjS1H_bEUljE0_EEES10_S11_S12_S19_S1D_S1F_T6_T7_T9_mT8_S1H_bDpT10_ENKUlT_T0_E_clISt17integral_constantIbLb1EES1V_EEDaS1Q_S1R_EUlS1Q_E_NS1_11comp_targetILNS1_3genE8ELNS1_11target_archE1030ELNS1_3gpuE2ELNS1_3repE0EEENS1_30default_config_static_selectorELNS0_4arch9wavefront6targetE0EEEvS13_.num_named_barrier, 0
	.set _ZN7rocprim17ROCPRIM_400000_NS6detail17trampoline_kernelINS0_13select_configILj256ELj13ELNS0_17block_load_methodE3ELS4_3ELS4_3ELNS0_20block_scan_algorithmE0ELj4294967295EEENS1_25partition_config_selectorILNS1_17partition_subalgoE4EjNS0_10empty_typeEbEEZZNS1_14partition_implILS8_4ELb0ES6_15HIP_vector_typeIjLj2EENS0_17counting_iteratorIjlEEPS9_SG_NS0_5tupleIJPjSI_NS0_16reverse_iteratorISI_EEEEENSH_IJSG_SG_SG_EEES9_SI_JZNS1_25segmented_radix_sort_implINS0_14default_configELb1EPK12hip_bfloat16PSP_PKlPlN2at6native12_GLOBAL__N_18offset_tEEE10hipError_tPvRmT1_PNSt15iterator_traitsIS13_E10value_typeET2_T3_PNS14_IS19_E10value_typeET4_jRbjT5_S1F_jjP12ihipStream_tbEUljE_ZNSN_ISO_Lb1ESR_SS_SU_SV_SZ_EES10_S11_S12_S13_S17_S18_S19_S1C_S1D_jS1E_jS1F_S1F_jjS1H_bEUljE0_EEES10_S11_S12_S19_S1D_S1F_T6_T7_T9_mT8_S1H_bDpT10_ENKUlT_T0_E_clISt17integral_constantIbLb1EES1V_EEDaS1Q_S1R_EUlS1Q_E_NS1_11comp_targetILNS1_3genE8ELNS1_11target_archE1030ELNS1_3gpuE2ELNS1_3repE0EEENS1_30default_config_static_selectorELNS0_4arch9wavefront6targetE0EEEvS13_.private_seg_size, 0
	.set _ZN7rocprim17ROCPRIM_400000_NS6detail17trampoline_kernelINS0_13select_configILj256ELj13ELNS0_17block_load_methodE3ELS4_3ELS4_3ELNS0_20block_scan_algorithmE0ELj4294967295EEENS1_25partition_config_selectorILNS1_17partition_subalgoE4EjNS0_10empty_typeEbEEZZNS1_14partition_implILS8_4ELb0ES6_15HIP_vector_typeIjLj2EENS0_17counting_iteratorIjlEEPS9_SG_NS0_5tupleIJPjSI_NS0_16reverse_iteratorISI_EEEEENSH_IJSG_SG_SG_EEES9_SI_JZNS1_25segmented_radix_sort_implINS0_14default_configELb1EPK12hip_bfloat16PSP_PKlPlN2at6native12_GLOBAL__N_18offset_tEEE10hipError_tPvRmT1_PNSt15iterator_traitsIS13_E10value_typeET2_T3_PNS14_IS19_E10value_typeET4_jRbjT5_S1F_jjP12ihipStream_tbEUljE_ZNSN_ISO_Lb1ESR_SS_SU_SV_SZ_EES10_S11_S12_S13_S17_S18_S19_S1C_S1D_jS1E_jS1F_S1F_jjS1H_bEUljE0_EEES10_S11_S12_S19_S1D_S1F_T6_T7_T9_mT8_S1H_bDpT10_ENKUlT_T0_E_clISt17integral_constantIbLb1EES1V_EEDaS1Q_S1R_EUlS1Q_E_NS1_11comp_targetILNS1_3genE8ELNS1_11target_archE1030ELNS1_3gpuE2ELNS1_3repE0EEENS1_30default_config_static_selectorELNS0_4arch9wavefront6targetE0EEEvS13_.uses_vcc, 0
	.set _ZN7rocprim17ROCPRIM_400000_NS6detail17trampoline_kernelINS0_13select_configILj256ELj13ELNS0_17block_load_methodE3ELS4_3ELS4_3ELNS0_20block_scan_algorithmE0ELj4294967295EEENS1_25partition_config_selectorILNS1_17partition_subalgoE4EjNS0_10empty_typeEbEEZZNS1_14partition_implILS8_4ELb0ES6_15HIP_vector_typeIjLj2EENS0_17counting_iteratorIjlEEPS9_SG_NS0_5tupleIJPjSI_NS0_16reverse_iteratorISI_EEEEENSH_IJSG_SG_SG_EEES9_SI_JZNS1_25segmented_radix_sort_implINS0_14default_configELb1EPK12hip_bfloat16PSP_PKlPlN2at6native12_GLOBAL__N_18offset_tEEE10hipError_tPvRmT1_PNSt15iterator_traitsIS13_E10value_typeET2_T3_PNS14_IS19_E10value_typeET4_jRbjT5_S1F_jjP12ihipStream_tbEUljE_ZNSN_ISO_Lb1ESR_SS_SU_SV_SZ_EES10_S11_S12_S13_S17_S18_S19_S1C_S1D_jS1E_jS1F_S1F_jjS1H_bEUljE0_EEES10_S11_S12_S19_S1D_S1F_T6_T7_T9_mT8_S1H_bDpT10_ENKUlT_T0_E_clISt17integral_constantIbLb1EES1V_EEDaS1Q_S1R_EUlS1Q_E_NS1_11comp_targetILNS1_3genE8ELNS1_11target_archE1030ELNS1_3gpuE2ELNS1_3repE0EEENS1_30default_config_static_selectorELNS0_4arch9wavefront6targetE0EEEvS13_.uses_flat_scratch, 0
	.set _ZN7rocprim17ROCPRIM_400000_NS6detail17trampoline_kernelINS0_13select_configILj256ELj13ELNS0_17block_load_methodE3ELS4_3ELS4_3ELNS0_20block_scan_algorithmE0ELj4294967295EEENS1_25partition_config_selectorILNS1_17partition_subalgoE4EjNS0_10empty_typeEbEEZZNS1_14partition_implILS8_4ELb0ES6_15HIP_vector_typeIjLj2EENS0_17counting_iteratorIjlEEPS9_SG_NS0_5tupleIJPjSI_NS0_16reverse_iteratorISI_EEEEENSH_IJSG_SG_SG_EEES9_SI_JZNS1_25segmented_radix_sort_implINS0_14default_configELb1EPK12hip_bfloat16PSP_PKlPlN2at6native12_GLOBAL__N_18offset_tEEE10hipError_tPvRmT1_PNSt15iterator_traitsIS13_E10value_typeET2_T3_PNS14_IS19_E10value_typeET4_jRbjT5_S1F_jjP12ihipStream_tbEUljE_ZNSN_ISO_Lb1ESR_SS_SU_SV_SZ_EES10_S11_S12_S13_S17_S18_S19_S1C_S1D_jS1E_jS1F_S1F_jjS1H_bEUljE0_EEES10_S11_S12_S19_S1D_S1F_T6_T7_T9_mT8_S1H_bDpT10_ENKUlT_T0_E_clISt17integral_constantIbLb1EES1V_EEDaS1Q_S1R_EUlS1Q_E_NS1_11comp_targetILNS1_3genE8ELNS1_11target_archE1030ELNS1_3gpuE2ELNS1_3repE0EEENS1_30default_config_static_selectorELNS0_4arch9wavefront6targetE0EEEvS13_.has_dyn_sized_stack, 0
	.set _ZN7rocprim17ROCPRIM_400000_NS6detail17trampoline_kernelINS0_13select_configILj256ELj13ELNS0_17block_load_methodE3ELS4_3ELS4_3ELNS0_20block_scan_algorithmE0ELj4294967295EEENS1_25partition_config_selectorILNS1_17partition_subalgoE4EjNS0_10empty_typeEbEEZZNS1_14partition_implILS8_4ELb0ES6_15HIP_vector_typeIjLj2EENS0_17counting_iteratorIjlEEPS9_SG_NS0_5tupleIJPjSI_NS0_16reverse_iteratorISI_EEEEENSH_IJSG_SG_SG_EEES9_SI_JZNS1_25segmented_radix_sort_implINS0_14default_configELb1EPK12hip_bfloat16PSP_PKlPlN2at6native12_GLOBAL__N_18offset_tEEE10hipError_tPvRmT1_PNSt15iterator_traitsIS13_E10value_typeET2_T3_PNS14_IS19_E10value_typeET4_jRbjT5_S1F_jjP12ihipStream_tbEUljE_ZNSN_ISO_Lb1ESR_SS_SU_SV_SZ_EES10_S11_S12_S13_S17_S18_S19_S1C_S1D_jS1E_jS1F_S1F_jjS1H_bEUljE0_EEES10_S11_S12_S19_S1D_S1F_T6_T7_T9_mT8_S1H_bDpT10_ENKUlT_T0_E_clISt17integral_constantIbLb1EES1V_EEDaS1Q_S1R_EUlS1Q_E_NS1_11comp_targetILNS1_3genE8ELNS1_11target_archE1030ELNS1_3gpuE2ELNS1_3repE0EEENS1_30default_config_static_selectorELNS0_4arch9wavefront6targetE0EEEvS13_.has_recursion, 0
	.set _ZN7rocprim17ROCPRIM_400000_NS6detail17trampoline_kernelINS0_13select_configILj256ELj13ELNS0_17block_load_methodE3ELS4_3ELS4_3ELNS0_20block_scan_algorithmE0ELj4294967295EEENS1_25partition_config_selectorILNS1_17partition_subalgoE4EjNS0_10empty_typeEbEEZZNS1_14partition_implILS8_4ELb0ES6_15HIP_vector_typeIjLj2EENS0_17counting_iteratorIjlEEPS9_SG_NS0_5tupleIJPjSI_NS0_16reverse_iteratorISI_EEEEENSH_IJSG_SG_SG_EEES9_SI_JZNS1_25segmented_radix_sort_implINS0_14default_configELb1EPK12hip_bfloat16PSP_PKlPlN2at6native12_GLOBAL__N_18offset_tEEE10hipError_tPvRmT1_PNSt15iterator_traitsIS13_E10value_typeET2_T3_PNS14_IS19_E10value_typeET4_jRbjT5_S1F_jjP12ihipStream_tbEUljE_ZNSN_ISO_Lb1ESR_SS_SU_SV_SZ_EES10_S11_S12_S13_S17_S18_S19_S1C_S1D_jS1E_jS1F_S1F_jjS1H_bEUljE0_EEES10_S11_S12_S19_S1D_S1F_T6_T7_T9_mT8_S1H_bDpT10_ENKUlT_T0_E_clISt17integral_constantIbLb1EES1V_EEDaS1Q_S1R_EUlS1Q_E_NS1_11comp_targetILNS1_3genE8ELNS1_11target_archE1030ELNS1_3gpuE2ELNS1_3repE0EEENS1_30default_config_static_selectorELNS0_4arch9wavefront6targetE0EEEvS13_.has_indirect_call, 0
	.section	.AMDGPU.csdata,"",@progbits
; Kernel info:
; codeLenInByte = 0
; TotalNumSgprs: 0
; NumVgprs: 0
; ScratchSize: 0
; MemoryBound: 0
; FloatMode: 240
; IeeeMode: 1
; LDSByteSize: 0 bytes/workgroup (compile time only)
; SGPRBlocks: 0
; VGPRBlocks: 0
; NumSGPRsForWavesPerEU: 1
; NumVGPRsForWavesPerEU: 1
; Occupancy: 16
; WaveLimiterHint : 0
; COMPUTE_PGM_RSRC2:SCRATCH_EN: 0
; COMPUTE_PGM_RSRC2:USER_SGPR: 2
; COMPUTE_PGM_RSRC2:TRAP_HANDLER: 0
; COMPUTE_PGM_RSRC2:TGID_X_EN: 1
; COMPUTE_PGM_RSRC2:TGID_Y_EN: 0
; COMPUTE_PGM_RSRC2:TGID_Z_EN: 0
; COMPUTE_PGM_RSRC2:TIDIG_COMP_CNT: 0
	.section	.text._ZN7rocprim17ROCPRIM_400000_NS6detail17trampoline_kernelINS0_13select_configILj256ELj13ELNS0_17block_load_methodE3ELS4_3ELS4_3ELNS0_20block_scan_algorithmE0ELj4294967295EEENS1_25partition_config_selectorILNS1_17partition_subalgoE4EjNS0_10empty_typeEbEEZZNS1_14partition_implILS8_4ELb0ES6_15HIP_vector_typeIjLj2EENS0_17counting_iteratorIjlEEPS9_SG_NS0_5tupleIJPjSI_NS0_16reverse_iteratorISI_EEEEENSH_IJSG_SG_SG_EEES9_SI_JZNS1_25segmented_radix_sort_implINS0_14default_configELb1EPK12hip_bfloat16PSP_PKlPlN2at6native12_GLOBAL__N_18offset_tEEE10hipError_tPvRmT1_PNSt15iterator_traitsIS13_E10value_typeET2_T3_PNS14_IS19_E10value_typeET4_jRbjT5_S1F_jjP12ihipStream_tbEUljE_ZNSN_ISO_Lb1ESR_SS_SU_SV_SZ_EES10_S11_S12_S13_S17_S18_S19_S1C_S1D_jS1E_jS1F_S1F_jjS1H_bEUljE0_EEES10_S11_S12_S19_S1D_S1F_T6_T7_T9_mT8_S1H_bDpT10_ENKUlT_T0_E_clISt17integral_constantIbLb1EES1U_IbLb0EEEEDaS1Q_S1R_EUlS1Q_E_NS1_11comp_targetILNS1_3genE0ELNS1_11target_archE4294967295ELNS1_3gpuE0ELNS1_3repE0EEENS1_30default_config_static_selectorELNS0_4arch9wavefront6targetE0EEEvS13_,"axG",@progbits,_ZN7rocprim17ROCPRIM_400000_NS6detail17trampoline_kernelINS0_13select_configILj256ELj13ELNS0_17block_load_methodE3ELS4_3ELS4_3ELNS0_20block_scan_algorithmE0ELj4294967295EEENS1_25partition_config_selectorILNS1_17partition_subalgoE4EjNS0_10empty_typeEbEEZZNS1_14partition_implILS8_4ELb0ES6_15HIP_vector_typeIjLj2EENS0_17counting_iteratorIjlEEPS9_SG_NS0_5tupleIJPjSI_NS0_16reverse_iteratorISI_EEEEENSH_IJSG_SG_SG_EEES9_SI_JZNS1_25segmented_radix_sort_implINS0_14default_configELb1EPK12hip_bfloat16PSP_PKlPlN2at6native12_GLOBAL__N_18offset_tEEE10hipError_tPvRmT1_PNSt15iterator_traitsIS13_E10value_typeET2_T3_PNS14_IS19_E10value_typeET4_jRbjT5_S1F_jjP12ihipStream_tbEUljE_ZNSN_ISO_Lb1ESR_SS_SU_SV_SZ_EES10_S11_S12_S13_S17_S18_S19_S1C_S1D_jS1E_jS1F_S1F_jjS1H_bEUljE0_EEES10_S11_S12_S19_S1D_S1F_T6_T7_T9_mT8_S1H_bDpT10_ENKUlT_T0_E_clISt17integral_constantIbLb1EES1U_IbLb0EEEEDaS1Q_S1R_EUlS1Q_E_NS1_11comp_targetILNS1_3genE0ELNS1_11target_archE4294967295ELNS1_3gpuE0ELNS1_3repE0EEENS1_30default_config_static_selectorELNS0_4arch9wavefront6targetE0EEEvS13_,comdat
	.globl	_ZN7rocprim17ROCPRIM_400000_NS6detail17trampoline_kernelINS0_13select_configILj256ELj13ELNS0_17block_load_methodE3ELS4_3ELS4_3ELNS0_20block_scan_algorithmE0ELj4294967295EEENS1_25partition_config_selectorILNS1_17partition_subalgoE4EjNS0_10empty_typeEbEEZZNS1_14partition_implILS8_4ELb0ES6_15HIP_vector_typeIjLj2EENS0_17counting_iteratorIjlEEPS9_SG_NS0_5tupleIJPjSI_NS0_16reverse_iteratorISI_EEEEENSH_IJSG_SG_SG_EEES9_SI_JZNS1_25segmented_radix_sort_implINS0_14default_configELb1EPK12hip_bfloat16PSP_PKlPlN2at6native12_GLOBAL__N_18offset_tEEE10hipError_tPvRmT1_PNSt15iterator_traitsIS13_E10value_typeET2_T3_PNS14_IS19_E10value_typeET4_jRbjT5_S1F_jjP12ihipStream_tbEUljE_ZNSN_ISO_Lb1ESR_SS_SU_SV_SZ_EES10_S11_S12_S13_S17_S18_S19_S1C_S1D_jS1E_jS1F_S1F_jjS1H_bEUljE0_EEES10_S11_S12_S19_S1D_S1F_T6_T7_T9_mT8_S1H_bDpT10_ENKUlT_T0_E_clISt17integral_constantIbLb1EES1U_IbLb0EEEEDaS1Q_S1R_EUlS1Q_E_NS1_11comp_targetILNS1_3genE0ELNS1_11target_archE4294967295ELNS1_3gpuE0ELNS1_3repE0EEENS1_30default_config_static_selectorELNS0_4arch9wavefront6targetE0EEEvS13_ ; -- Begin function _ZN7rocprim17ROCPRIM_400000_NS6detail17trampoline_kernelINS0_13select_configILj256ELj13ELNS0_17block_load_methodE3ELS4_3ELS4_3ELNS0_20block_scan_algorithmE0ELj4294967295EEENS1_25partition_config_selectorILNS1_17partition_subalgoE4EjNS0_10empty_typeEbEEZZNS1_14partition_implILS8_4ELb0ES6_15HIP_vector_typeIjLj2EENS0_17counting_iteratorIjlEEPS9_SG_NS0_5tupleIJPjSI_NS0_16reverse_iteratorISI_EEEEENSH_IJSG_SG_SG_EEES9_SI_JZNS1_25segmented_radix_sort_implINS0_14default_configELb1EPK12hip_bfloat16PSP_PKlPlN2at6native12_GLOBAL__N_18offset_tEEE10hipError_tPvRmT1_PNSt15iterator_traitsIS13_E10value_typeET2_T3_PNS14_IS19_E10value_typeET4_jRbjT5_S1F_jjP12ihipStream_tbEUljE_ZNSN_ISO_Lb1ESR_SS_SU_SV_SZ_EES10_S11_S12_S13_S17_S18_S19_S1C_S1D_jS1E_jS1F_S1F_jjS1H_bEUljE0_EEES10_S11_S12_S19_S1D_S1F_T6_T7_T9_mT8_S1H_bDpT10_ENKUlT_T0_E_clISt17integral_constantIbLb1EES1U_IbLb0EEEEDaS1Q_S1R_EUlS1Q_E_NS1_11comp_targetILNS1_3genE0ELNS1_11target_archE4294967295ELNS1_3gpuE0ELNS1_3repE0EEENS1_30default_config_static_selectorELNS0_4arch9wavefront6targetE0EEEvS13_
	.p2align	8
	.type	_ZN7rocprim17ROCPRIM_400000_NS6detail17trampoline_kernelINS0_13select_configILj256ELj13ELNS0_17block_load_methodE3ELS4_3ELS4_3ELNS0_20block_scan_algorithmE0ELj4294967295EEENS1_25partition_config_selectorILNS1_17partition_subalgoE4EjNS0_10empty_typeEbEEZZNS1_14partition_implILS8_4ELb0ES6_15HIP_vector_typeIjLj2EENS0_17counting_iteratorIjlEEPS9_SG_NS0_5tupleIJPjSI_NS0_16reverse_iteratorISI_EEEEENSH_IJSG_SG_SG_EEES9_SI_JZNS1_25segmented_radix_sort_implINS0_14default_configELb1EPK12hip_bfloat16PSP_PKlPlN2at6native12_GLOBAL__N_18offset_tEEE10hipError_tPvRmT1_PNSt15iterator_traitsIS13_E10value_typeET2_T3_PNS14_IS19_E10value_typeET4_jRbjT5_S1F_jjP12ihipStream_tbEUljE_ZNSN_ISO_Lb1ESR_SS_SU_SV_SZ_EES10_S11_S12_S13_S17_S18_S19_S1C_S1D_jS1E_jS1F_S1F_jjS1H_bEUljE0_EEES10_S11_S12_S19_S1D_S1F_T6_T7_T9_mT8_S1H_bDpT10_ENKUlT_T0_E_clISt17integral_constantIbLb1EES1U_IbLb0EEEEDaS1Q_S1R_EUlS1Q_E_NS1_11comp_targetILNS1_3genE0ELNS1_11target_archE4294967295ELNS1_3gpuE0ELNS1_3repE0EEENS1_30default_config_static_selectorELNS0_4arch9wavefront6targetE0EEEvS13_,@function
_ZN7rocprim17ROCPRIM_400000_NS6detail17trampoline_kernelINS0_13select_configILj256ELj13ELNS0_17block_load_methodE3ELS4_3ELS4_3ELNS0_20block_scan_algorithmE0ELj4294967295EEENS1_25partition_config_selectorILNS1_17partition_subalgoE4EjNS0_10empty_typeEbEEZZNS1_14partition_implILS8_4ELb0ES6_15HIP_vector_typeIjLj2EENS0_17counting_iteratorIjlEEPS9_SG_NS0_5tupleIJPjSI_NS0_16reverse_iteratorISI_EEEEENSH_IJSG_SG_SG_EEES9_SI_JZNS1_25segmented_radix_sort_implINS0_14default_configELb1EPK12hip_bfloat16PSP_PKlPlN2at6native12_GLOBAL__N_18offset_tEEE10hipError_tPvRmT1_PNSt15iterator_traitsIS13_E10value_typeET2_T3_PNS14_IS19_E10value_typeET4_jRbjT5_S1F_jjP12ihipStream_tbEUljE_ZNSN_ISO_Lb1ESR_SS_SU_SV_SZ_EES10_S11_S12_S13_S17_S18_S19_S1C_S1D_jS1E_jS1F_S1F_jjS1H_bEUljE0_EEES10_S11_S12_S19_S1D_S1F_T6_T7_T9_mT8_S1H_bDpT10_ENKUlT_T0_E_clISt17integral_constantIbLb1EES1U_IbLb0EEEEDaS1Q_S1R_EUlS1Q_E_NS1_11comp_targetILNS1_3genE0ELNS1_11target_archE4294967295ELNS1_3gpuE0ELNS1_3repE0EEENS1_30default_config_static_selectorELNS0_4arch9wavefront6targetE0EEEvS13_: ; @_ZN7rocprim17ROCPRIM_400000_NS6detail17trampoline_kernelINS0_13select_configILj256ELj13ELNS0_17block_load_methodE3ELS4_3ELS4_3ELNS0_20block_scan_algorithmE0ELj4294967295EEENS1_25partition_config_selectorILNS1_17partition_subalgoE4EjNS0_10empty_typeEbEEZZNS1_14partition_implILS8_4ELb0ES6_15HIP_vector_typeIjLj2EENS0_17counting_iteratorIjlEEPS9_SG_NS0_5tupleIJPjSI_NS0_16reverse_iteratorISI_EEEEENSH_IJSG_SG_SG_EEES9_SI_JZNS1_25segmented_radix_sort_implINS0_14default_configELb1EPK12hip_bfloat16PSP_PKlPlN2at6native12_GLOBAL__N_18offset_tEEE10hipError_tPvRmT1_PNSt15iterator_traitsIS13_E10value_typeET2_T3_PNS14_IS19_E10value_typeET4_jRbjT5_S1F_jjP12ihipStream_tbEUljE_ZNSN_ISO_Lb1ESR_SS_SU_SV_SZ_EES10_S11_S12_S13_S17_S18_S19_S1C_S1D_jS1E_jS1F_S1F_jjS1H_bEUljE0_EEES10_S11_S12_S19_S1D_S1F_T6_T7_T9_mT8_S1H_bDpT10_ENKUlT_T0_E_clISt17integral_constantIbLb1EES1U_IbLb0EEEEDaS1Q_S1R_EUlS1Q_E_NS1_11comp_targetILNS1_3genE0ELNS1_11target_archE4294967295ELNS1_3gpuE0ELNS1_3repE0EEENS1_30default_config_static_selectorELNS0_4arch9wavefront6targetE0EEEvS13_
; %bb.0:
	.section	.rodata,"a",@progbits
	.p2align	6, 0x0
	.amdhsa_kernel _ZN7rocprim17ROCPRIM_400000_NS6detail17trampoline_kernelINS0_13select_configILj256ELj13ELNS0_17block_load_methodE3ELS4_3ELS4_3ELNS0_20block_scan_algorithmE0ELj4294967295EEENS1_25partition_config_selectorILNS1_17partition_subalgoE4EjNS0_10empty_typeEbEEZZNS1_14partition_implILS8_4ELb0ES6_15HIP_vector_typeIjLj2EENS0_17counting_iteratorIjlEEPS9_SG_NS0_5tupleIJPjSI_NS0_16reverse_iteratorISI_EEEEENSH_IJSG_SG_SG_EEES9_SI_JZNS1_25segmented_radix_sort_implINS0_14default_configELb1EPK12hip_bfloat16PSP_PKlPlN2at6native12_GLOBAL__N_18offset_tEEE10hipError_tPvRmT1_PNSt15iterator_traitsIS13_E10value_typeET2_T3_PNS14_IS19_E10value_typeET4_jRbjT5_S1F_jjP12ihipStream_tbEUljE_ZNSN_ISO_Lb1ESR_SS_SU_SV_SZ_EES10_S11_S12_S13_S17_S18_S19_S1C_S1D_jS1E_jS1F_S1F_jjS1H_bEUljE0_EEES10_S11_S12_S19_S1D_S1F_T6_T7_T9_mT8_S1H_bDpT10_ENKUlT_T0_E_clISt17integral_constantIbLb1EES1U_IbLb0EEEEDaS1Q_S1R_EUlS1Q_E_NS1_11comp_targetILNS1_3genE0ELNS1_11target_archE4294967295ELNS1_3gpuE0ELNS1_3repE0EEENS1_30default_config_static_selectorELNS0_4arch9wavefront6targetE0EEEvS13_
		.amdhsa_group_segment_fixed_size 0
		.amdhsa_private_segment_fixed_size 0
		.amdhsa_kernarg_size 176
		.amdhsa_user_sgpr_count 2
		.amdhsa_user_sgpr_dispatch_ptr 0
		.amdhsa_user_sgpr_queue_ptr 0
		.amdhsa_user_sgpr_kernarg_segment_ptr 1
		.amdhsa_user_sgpr_dispatch_id 0
		.amdhsa_user_sgpr_private_segment_size 0
		.amdhsa_wavefront_size32 1
		.amdhsa_uses_dynamic_stack 0
		.amdhsa_enable_private_segment 0
		.amdhsa_system_sgpr_workgroup_id_x 1
		.amdhsa_system_sgpr_workgroup_id_y 0
		.amdhsa_system_sgpr_workgroup_id_z 0
		.amdhsa_system_sgpr_workgroup_info 0
		.amdhsa_system_vgpr_workitem_id 0
		.amdhsa_next_free_vgpr 1
		.amdhsa_next_free_sgpr 1
		.amdhsa_reserve_vcc 0
		.amdhsa_float_round_mode_32 0
		.amdhsa_float_round_mode_16_64 0
		.amdhsa_float_denorm_mode_32 3
		.amdhsa_float_denorm_mode_16_64 3
		.amdhsa_fp16_overflow 0
		.amdhsa_workgroup_processor_mode 1
		.amdhsa_memory_ordered 1
		.amdhsa_forward_progress 1
		.amdhsa_inst_pref_size 0
		.amdhsa_round_robin_scheduling 0
		.amdhsa_exception_fp_ieee_invalid_op 0
		.amdhsa_exception_fp_denorm_src 0
		.amdhsa_exception_fp_ieee_div_zero 0
		.amdhsa_exception_fp_ieee_overflow 0
		.amdhsa_exception_fp_ieee_underflow 0
		.amdhsa_exception_fp_ieee_inexact 0
		.amdhsa_exception_int_div_zero 0
	.end_amdhsa_kernel
	.section	.text._ZN7rocprim17ROCPRIM_400000_NS6detail17trampoline_kernelINS0_13select_configILj256ELj13ELNS0_17block_load_methodE3ELS4_3ELS4_3ELNS0_20block_scan_algorithmE0ELj4294967295EEENS1_25partition_config_selectorILNS1_17partition_subalgoE4EjNS0_10empty_typeEbEEZZNS1_14partition_implILS8_4ELb0ES6_15HIP_vector_typeIjLj2EENS0_17counting_iteratorIjlEEPS9_SG_NS0_5tupleIJPjSI_NS0_16reverse_iteratorISI_EEEEENSH_IJSG_SG_SG_EEES9_SI_JZNS1_25segmented_radix_sort_implINS0_14default_configELb1EPK12hip_bfloat16PSP_PKlPlN2at6native12_GLOBAL__N_18offset_tEEE10hipError_tPvRmT1_PNSt15iterator_traitsIS13_E10value_typeET2_T3_PNS14_IS19_E10value_typeET4_jRbjT5_S1F_jjP12ihipStream_tbEUljE_ZNSN_ISO_Lb1ESR_SS_SU_SV_SZ_EES10_S11_S12_S13_S17_S18_S19_S1C_S1D_jS1E_jS1F_S1F_jjS1H_bEUljE0_EEES10_S11_S12_S19_S1D_S1F_T6_T7_T9_mT8_S1H_bDpT10_ENKUlT_T0_E_clISt17integral_constantIbLb1EES1U_IbLb0EEEEDaS1Q_S1R_EUlS1Q_E_NS1_11comp_targetILNS1_3genE0ELNS1_11target_archE4294967295ELNS1_3gpuE0ELNS1_3repE0EEENS1_30default_config_static_selectorELNS0_4arch9wavefront6targetE0EEEvS13_,"axG",@progbits,_ZN7rocprim17ROCPRIM_400000_NS6detail17trampoline_kernelINS0_13select_configILj256ELj13ELNS0_17block_load_methodE3ELS4_3ELS4_3ELNS0_20block_scan_algorithmE0ELj4294967295EEENS1_25partition_config_selectorILNS1_17partition_subalgoE4EjNS0_10empty_typeEbEEZZNS1_14partition_implILS8_4ELb0ES6_15HIP_vector_typeIjLj2EENS0_17counting_iteratorIjlEEPS9_SG_NS0_5tupleIJPjSI_NS0_16reverse_iteratorISI_EEEEENSH_IJSG_SG_SG_EEES9_SI_JZNS1_25segmented_radix_sort_implINS0_14default_configELb1EPK12hip_bfloat16PSP_PKlPlN2at6native12_GLOBAL__N_18offset_tEEE10hipError_tPvRmT1_PNSt15iterator_traitsIS13_E10value_typeET2_T3_PNS14_IS19_E10value_typeET4_jRbjT5_S1F_jjP12ihipStream_tbEUljE_ZNSN_ISO_Lb1ESR_SS_SU_SV_SZ_EES10_S11_S12_S13_S17_S18_S19_S1C_S1D_jS1E_jS1F_S1F_jjS1H_bEUljE0_EEES10_S11_S12_S19_S1D_S1F_T6_T7_T9_mT8_S1H_bDpT10_ENKUlT_T0_E_clISt17integral_constantIbLb1EES1U_IbLb0EEEEDaS1Q_S1R_EUlS1Q_E_NS1_11comp_targetILNS1_3genE0ELNS1_11target_archE4294967295ELNS1_3gpuE0ELNS1_3repE0EEENS1_30default_config_static_selectorELNS0_4arch9wavefront6targetE0EEEvS13_,comdat
.Lfunc_end1898:
	.size	_ZN7rocprim17ROCPRIM_400000_NS6detail17trampoline_kernelINS0_13select_configILj256ELj13ELNS0_17block_load_methodE3ELS4_3ELS4_3ELNS0_20block_scan_algorithmE0ELj4294967295EEENS1_25partition_config_selectorILNS1_17partition_subalgoE4EjNS0_10empty_typeEbEEZZNS1_14partition_implILS8_4ELb0ES6_15HIP_vector_typeIjLj2EENS0_17counting_iteratorIjlEEPS9_SG_NS0_5tupleIJPjSI_NS0_16reverse_iteratorISI_EEEEENSH_IJSG_SG_SG_EEES9_SI_JZNS1_25segmented_radix_sort_implINS0_14default_configELb1EPK12hip_bfloat16PSP_PKlPlN2at6native12_GLOBAL__N_18offset_tEEE10hipError_tPvRmT1_PNSt15iterator_traitsIS13_E10value_typeET2_T3_PNS14_IS19_E10value_typeET4_jRbjT5_S1F_jjP12ihipStream_tbEUljE_ZNSN_ISO_Lb1ESR_SS_SU_SV_SZ_EES10_S11_S12_S13_S17_S18_S19_S1C_S1D_jS1E_jS1F_S1F_jjS1H_bEUljE0_EEES10_S11_S12_S19_S1D_S1F_T6_T7_T9_mT8_S1H_bDpT10_ENKUlT_T0_E_clISt17integral_constantIbLb1EES1U_IbLb0EEEEDaS1Q_S1R_EUlS1Q_E_NS1_11comp_targetILNS1_3genE0ELNS1_11target_archE4294967295ELNS1_3gpuE0ELNS1_3repE0EEENS1_30default_config_static_selectorELNS0_4arch9wavefront6targetE0EEEvS13_, .Lfunc_end1898-_ZN7rocprim17ROCPRIM_400000_NS6detail17trampoline_kernelINS0_13select_configILj256ELj13ELNS0_17block_load_methodE3ELS4_3ELS4_3ELNS0_20block_scan_algorithmE0ELj4294967295EEENS1_25partition_config_selectorILNS1_17partition_subalgoE4EjNS0_10empty_typeEbEEZZNS1_14partition_implILS8_4ELb0ES6_15HIP_vector_typeIjLj2EENS0_17counting_iteratorIjlEEPS9_SG_NS0_5tupleIJPjSI_NS0_16reverse_iteratorISI_EEEEENSH_IJSG_SG_SG_EEES9_SI_JZNS1_25segmented_radix_sort_implINS0_14default_configELb1EPK12hip_bfloat16PSP_PKlPlN2at6native12_GLOBAL__N_18offset_tEEE10hipError_tPvRmT1_PNSt15iterator_traitsIS13_E10value_typeET2_T3_PNS14_IS19_E10value_typeET4_jRbjT5_S1F_jjP12ihipStream_tbEUljE_ZNSN_ISO_Lb1ESR_SS_SU_SV_SZ_EES10_S11_S12_S13_S17_S18_S19_S1C_S1D_jS1E_jS1F_S1F_jjS1H_bEUljE0_EEES10_S11_S12_S19_S1D_S1F_T6_T7_T9_mT8_S1H_bDpT10_ENKUlT_T0_E_clISt17integral_constantIbLb1EES1U_IbLb0EEEEDaS1Q_S1R_EUlS1Q_E_NS1_11comp_targetILNS1_3genE0ELNS1_11target_archE4294967295ELNS1_3gpuE0ELNS1_3repE0EEENS1_30default_config_static_selectorELNS0_4arch9wavefront6targetE0EEEvS13_
                                        ; -- End function
	.set _ZN7rocprim17ROCPRIM_400000_NS6detail17trampoline_kernelINS0_13select_configILj256ELj13ELNS0_17block_load_methodE3ELS4_3ELS4_3ELNS0_20block_scan_algorithmE0ELj4294967295EEENS1_25partition_config_selectorILNS1_17partition_subalgoE4EjNS0_10empty_typeEbEEZZNS1_14partition_implILS8_4ELb0ES6_15HIP_vector_typeIjLj2EENS0_17counting_iteratorIjlEEPS9_SG_NS0_5tupleIJPjSI_NS0_16reverse_iteratorISI_EEEEENSH_IJSG_SG_SG_EEES9_SI_JZNS1_25segmented_radix_sort_implINS0_14default_configELb1EPK12hip_bfloat16PSP_PKlPlN2at6native12_GLOBAL__N_18offset_tEEE10hipError_tPvRmT1_PNSt15iterator_traitsIS13_E10value_typeET2_T3_PNS14_IS19_E10value_typeET4_jRbjT5_S1F_jjP12ihipStream_tbEUljE_ZNSN_ISO_Lb1ESR_SS_SU_SV_SZ_EES10_S11_S12_S13_S17_S18_S19_S1C_S1D_jS1E_jS1F_S1F_jjS1H_bEUljE0_EEES10_S11_S12_S19_S1D_S1F_T6_T7_T9_mT8_S1H_bDpT10_ENKUlT_T0_E_clISt17integral_constantIbLb1EES1U_IbLb0EEEEDaS1Q_S1R_EUlS1Q_E_NS1_11comp_targetILNS1_3genE0ELNS1_11target_archE4294967295ELNS1_3gpuE0ELNS1_3repE0EEENS1_30default_config_static_selectorELNS0_4arch9wavefront6targetE0EEEvS13_.num_vgpr, 0
	.set _ZN7rocprim17ROCPRIM_400000_NS6detail17trampoline_kernelINS0_13select_configILj256ELj13ELNS0_17block_load_methodE3ELS4_3ELS4_3ELNS0_20block_scan_algorithmE0ELj4294967295EEENS1_25partition_config_selectorILNS1_17partition_subalgoE4EjNS0_10empty_typeEbEEZZNS1_14partition_implILS8_4ELb0ES6_15HIP_vector_typeIjLj2EENS0_17counting_iteratorIjlEEPS9_SG_NS0_5tupleIJPjSI_NS0_16reverse_iteratorISI_EEEEENSH_IJSG_SG_SG_EEES9_SI_JZNS1_25segmented_radix_sort_implINS0_14default_configELb1EPK12hip_bfloat16PSP_PKlPlN2at6native12_GLOBAL__N_18offset_tEEE10hipError_tPvRmT1_PNSt15iterator_traitsIS13_E10value_typeET2_T3_PNS14_IS19_E10value_typeET4_jRbjT5_S1F_jjP12ihipStream_tbEUljE_ZNSN_ISO_Lb1ESR_SS_SU_SV_SZ_EES10_S11_S12_S13_S17_S18_S19_S1C_S1D_jS1E_jS1F_S1F_jjS1H_bEUljE0_EEES10_S11_S12_S19_S1D_S1F_T6_T7_T9_mT8_S1H_bDpT10_ENKUlT_T0_E_clISt17integral_constantIbLb1EES1U_IbLb0EEEEDaS1Q_S1R_EUlS1Q_E_NS1_11comp_targetILNS1_3genE0ELNS1_11target_archE4294967295ELNS1_3gpuE0ELNS1_3repE0EEENS1_30default_config_static_selectorELNS0_4arch9wavefront6targetE0EEEvS13_.num_agpr, 0
	.set _ZN7rocprim17ROCPRIM_400000_NS6detail17trampoline_kernelINS0_13select_configILj256ELj13ELNS0_17block_load_methodE3ELS4_3ELS4_3ELNS0_20block_scan_algorithmE0ELj4294967295EEENS1_25partition_config_selectorILNS1_17partition_subalgoE4EjNS0_10empty_typeEbEEZZNS1_14partition_implILS8_4ELb0ES6_15HIP_vector_typeIjLj2EENS0_17counting_iteratorIjlEEPS9_SG_NS0_5tupleIJPjSI_NS0_16reverse_iteratorISI_EEEEENSH_IJSG_SG_SG_EEES9_SI_JZNS1_25segmented_radix_sort_implINS0_14default_configELb1EPK12hip_bfloat16PSP_PKlPlN2at6native12_GLOBAL__N_18offset_tEEE10hipError_tPvRmT1_PNSt15iterator_traitsIS13_E10value_typeET2_T3_PNS14_IS19_E10value_typeET4_jRbjT5_S1F_jjP12ihipStream_tbEUljE_ZNSN_ISO_Lb1ESR_SS_SU_SV_SZ_EES10_S11_S12_S13_S17_S18_S19_S1C_S1D_jS1E_jS1F_S1F_jjS1H_bEUljE0_EEES10_S11_S12_S19_S1D_S1F_T6_T7_T9_mT8_S1H_bDpT10_ENKUlT_T0_E_clISt17integral_constantIbLb1EES1U_IbLb0EEEEDaS1Q_S1R_EUlS1Q_E_NS1_11comp_targetILNS1_3genE0ELNS1_11target_archE4294967295ELNS1_3gpuE0ELNS1_3repE0EEENS1_30default_config_static_selectorELNS0_4arch9wavefront6targetE0EEEvS13_.numbered_sgpr, 0
	.set _ZN7rocprim17ROCPRIM_400000_NS6detail17trampoline_kernelINS0_13select_configILj256ELj13ELNS0_17block_load_methodE3ELS4_3ELS4_3ELNS0_20block_scan_algorithmE0ELj4294967295EEENS1_25partition_config_selectorILNS1_17partition_subalgoE4EjNS0_10empty_typeEbEEZZNS1_14partition_implILS8_4ELb0ES6_15HIP_vector_typeIjLj2EENS0_17counting_iteratorIjlEEPS9_SG_NS0_5tupleIJPjSI_NS0_16reverse_iteratorISI_EEEEENSH_IJSG_SG_SG_EEES9_SI_JZNS1_25segmented_radix_sort_implINS0_14default_configELb1EPK12hip_bfloat16PSP_PKlPlN2at6native12_GLOBAL__N_18offset_tEEE10hipError_tPvRmT1_PNSt15iterator_traitsIS13_E10value_typeET2_T3_PNS14_IS19_E10value_typeET4_jRbjT5_S1F_jjP12ihipStream_tbEUljE_ZNSN_ISO_Lb1ESR_SS_SU_SV_SZ_EES10_S11_S12_S13_S17_S18_S19_S1C_S1D_jS1E_jS1F_S1F_jjS1H_bEUljE0_EEES10_S11_S12_S19_S1D_S1F_T6_T7_T9_mT8_S1H_bDpT10_ENKUlT_T0_E_clISt17integral_constantIbLb1EES1U_IbLb0EEEEDaS1Q_S1R_EUlS1Q_E_NS1_11comp_targetILNS1_3genE0ELNS1_11target_archE4294967295ELNS1_3gpuE0ELNS1_3repE0EEENS1_30default_config_static_selectorELNS0_4arch9wavefront6targetE0EEEvS13_.num_named_barrier, 0
	.set _ZN7rocprim17ROCPRIM_400000_NS6detail17trampoline_kernelINS0_13select_configILj256ELj13ELNS0_17block_load_methodE3ELS4_3ELS4_3ELNS0_20block_scan_algorithmE0ELj4294967295EEENS1_25partition_config_selectorILNS1_17partition_subalgoE4EjNS0_10empty_typeEbEEZZNS1_14partition_implILS8_4ELb0ES6_15HIP_vector_typeIjLj2EENS0_17counting_iteratorIjlEEPS9_SG_NS0_5tupleIJPjSI_NS0_16reverse_iteratorISI_EEEEENSH_IJSG_SG_SG_EEES9_SI_JZNS1_25segmented_radix_sort_implINS0_14default_configELb1EPK12hip_bfloat16PSP_PKlPlN2at6native12_GLOBAL__N_18offset_tEEE10hipError_tPvRmT1_PNSt15iterator_traitsIS13_E10value_typeET2_T3_PNS14_IS19_E10value_typeET4_jRbjT5_S1F_jjP12ihipStream_tbEUljE_ZNSN_ISO_Lb1ESR_SS_SU_SV_SZ_EES10_S11_S12_S13_S17_S18_S19_S1C_S1D_jS1E_jS1F_S1F_jjS1H_bEUljE0_EEES10_S11_S12_S19_S1D_S1F_T6_T7_T9_mT8_S1H_bDpT10_ENKUlT_T0_E_clISt17integral_constantIbLb1EES1U_IbLb0EEEEDaS1Q_S1R_EUlS1Q_E_NS1_11comp_targetILNS1_3genE0ELNS1_11target_archE4294967295ELNS1_3gpuE0ELNS1_3repE0EEENS1_30default_config_static_selectorELNS0_4arch9wavefront6targetE0EEEvS13_.private_seg_size, 0
	.set _ZN7rocprim17ROCPRIM_400000_NS6detail17trampoline_kernelINS0_13select_configILj256ELj13ELNS0_17block_load_methodE3ELS4_3ELS4_3ELNS0_20block_scan_algorithmE0ELj4294967295EEENS1_25partition_config_selectorILNS1_17partition_subalgoE4EjNS0_10empty_typeEbEEZZNS1_14partition_implILS8_4ELb0ES6_15HIP_vector_typeIjLj2EENS0_17counting_iteratorIjlEEPS9_SG_NS0_5tupleIJPjSI_NS0_16reverse_iteratorISI_EEEEENSH_IJSG_SG_SG_EEES9_SI_JZNS1_25segmented_radix_sort_implINS0_14default_configELb1EPK12hip_bfloat16PSP_PKlPlN2at6native12_GLOBAL__N_18offset_tEEE10hipError_tPvRmT1_PNSt15iterator_traitsIS13_E10value_typeET2_T3_PNS14_IS19_E10value_typeET4_jRbjT5_S1F_jjP12ihipStream_tbEUljE_ZNSN_ISO_Lb1ESR_SS_SU_SV_SZ_EES10_S11_S12_S13_S17_S18_S19_S1C_S1D_jS1E_jS1F_S1F_jjS1H_bEUljE0_EEES10_S11_S12_S19_S1D_S1F_T6_T7_T9_mT8_S1H_bDpT10_ENKUlT_T0_E_clISt17integral_constantIbLb1EES1U_IbLb0EEEEDaS1Q_S1R_EUlS1Q_E_NS1_11comp_targetILNS1_3genE0ELNS1_11target_archE4294967295ELNS1_3gpuE0ELNS1_3repE0EEENS1_30default_config_static_selectorELNS0_4arch9wavefront6targetE0EEEvS13_.uses_vcc, 0
	.set _ZN7rocprim17ROCPRIM_400000_NS6detail17trampoline_kernelINS0_13select_configILj256ELj13ELNS0_17block_load_methodE3ELS4_3ELS4_3ELNS0_20block_scan_algorithmE0ELj4294967295EEENS1_25partition_config_selectorILNS1_17partition_subalgoE4EjNS0_10empty_typeEbEEZZNS1_14partition_implILS8_4ELb0ES6_15HIP_vector_typeIjLj2EENS0_17counting_iteratorIjlEEPS9_SG_NS0_5tupleIJPjSI_NS0_16reverse_iteratorISI_EEEEENSH_IJSG_SG_SG_EEES9_SI_JZNS1_25segmented_radix_sort_implINS0_14default_configELb1EPK12hip_bfloat16PSP_PKlPlN2at6native12_GLOBAL__N_18offset_tEEE10hipError_tPvRmT1_PNSt15iterator_traitsIS13_E10value_typeET2_T3_PNS14_IS19_E10value_typeET4_jRbjT5_S1F_jjP12ihipStream_tbEUljE_ZNSN_ISO_Lb1ESR_SS_SU_SV_SZ_EES10_S11_S12_S13_S17_S18_S19_S1C_S1D_jS1E_jS1F_S1F_jjS1H_bEUljE0_EEES10_S11_S12_S19_S1D_S1F_T6_T7_T9_mT8_S1H_bDpT10_ENKUlT_T0_E_clISt17integral_constantIbLb1EES1U_IbLb0EEEEDaS1Q_S1R_EUlS1Q_E_NS1_11comp_targetILNS1_3genE0ELNS1_11target_archE4294967295ELNS1_3gpuE0ELNS1_3repE0EEENS1_30default_config_static_selectorELNS0_4arch9wavefront6targetE0EEEvS13_.uses_flat_scratch, 0
	.set _ZN7rocprim17ROCPRIM_400000_NS6detail17trampoline_kernelINS0_13select_configILj256ELj13ELNS0_17block_load_methodE3ELS4_3ELS4_3ELNS0_20block_scan_algorithmE0ELj4294967295EEENS1_25partition_config_selectorILNS1_17partition_subalgoE4EjNS0_10empty_typeEbEEZZNS1_14partition_implILS8_4ELb0ES6_15HIP_vector_typeIjLj2EENS0_17counting_iteratorIjlEEPS9_SG_NS0_5tupleIJPjSI_NS0_16reverse_iteratorISI_EEEEENSH_IJSG_SG_SG_EEES9_SI_JZNS1_25segmented_radix_sort_implINS0_14default_configELb1EPK12hip_bfloat16PSP_PKlPlN2at6native12_GLOBAL__N_18offset_tEEE10hipError_tPvRmT1_PNSt15iterator_traitsIS13_E10value_typeET2_T3_PNS14_IS19_E10value_typeET4_jRbjT5_S1F_jjP12ihipStream_tbEUljE_ZNSN_ISO_Lb1ESR_SS_SU_SV_SZ_EES10_S11_S12_S13_S17_S18_S19_S1C_S1D_jS1E_jS1F_S1F_jjS1H_bEUljE0_EEES10_S11_S12_S19_S1D_S1F_T6_T7_T9_mT8_S1H_bDpT10_ENKUlT_T0_E_clISt17integral_constantIbLb1EES1U_IbLb0EEEEDaS1Q_S1R_EUlS1Q_E_NS1_11comp_targetILNS1_3genE0ELNS1_11target_archE4294967295ELNS1_3gpuE0ELNS1_3repE0EEENS1_30default_config_static_selectorELNS0_4arch9wavefront6targetE0EEEvS13_.has_dyn_sized_stack, 0
	.set _ZN7rocprim17ROCPRIM_400000_NS6detail17trampoline_kernelINS0_13select_configILj256ELj13ELNS0_17block_load_methodE3ELS4_3ELS4_3ELNS0_20block_scan_algorithmE0ELj4294967295EEENS1_25partition_config_selectorILNS1_17partition_subalgoE4EjNS0_10empty_typeEbEEZZNS1_14partition_implILS8_4ELb0ES6_15HIP_vector_typeIjLj2EENS0_17counting_iteratorIjlEEPS9_SG_NS0_5tupleIJPjSI_NS0_16reverse_iteratorISI_EEEEENSH_IJSG_SG_SG_EEES9_SI_JZNS1_25segmented_radix_sort_implINS0_14default_configELb1EPK12hip_bfloat16PSP_PKlPlN2at6native12_GLOBAL__N_18offset_tEEE10hipError_tPvRmT1_PNSt15iterator_traitsIS13_E10value_typeET2_T3_PNS14_IS19_E10value_typeET4_jRbjT5_S1F_jjP12ihipStream_tbEUljE_ZNSN_ISO_Lb1ESR_SS_SU_SV_SZ_EES10_S11_S12_S13_S17_S18_S19_S1C_S1D_jS1E_jS1F_S1F_jjS1H_bEUljE0_EEES10_S11_S12_S19_S1D_S1F_T6_T7_T9_mT8_S1H_bDpT10_ENKUlT_T0_E_clISt17integral_constantIbLb1EES1U_IbLb0EEEEDaS1Q_S1R_EUlS1Q_E_NS1_11comp_targetILNS1_3genE0ELNS1_11target_archE4294967295ELNS1_3gpuE0ELNS1_3repE0EEENS1_30default_config_static_selectorELNS0_4arch9wavefront6targetE0EEEvS13_.has_recursion, 0
	.set _ZN7rocprim17ROCPRIM_400000_NS6detail17trampoline_kernelINS0_13select_configILj256ELj13ELNS0_17block_load_methodE3ELS4_3ELS4_3ELNS0_20block_scan_algorithmE0ELj4294967295EEENS1_25partition_config_selectorILNS1_17partition_subalgoE4EjNS0_10empty_typeEbEEZZNS1_14partition_implILS8_4ELb0ES6_15HIP_vector_typeIjLj2EENS0_17counting_iteratorIjlEEPS9_SG_NS0_5tupleIJPjSI_NS0_16reverse_iteratorISI_EEEEENSH_IJSG_SG_SG_EEES9_SI_JZNS1_25segmented_radix_sort_implINS0_14default_configELb1EPK12hip_bfloat16PSP_PKlPlN2at6native12_GLOBAL__N_18offset_tEEE10hipError_tPvRmT1_PNSt15iterator_traitsIS13_E10value_typeET2_T3_PNS14_IS19_E10value_typeET4_jRbjT5_S1F_jjP12ihipStream_tbEUljE_ZNSN_ISO_Lb1ESR_SS_SU_SV_SZ_EES10_S11_S12_S13_S17_S18_S19_S1C_S1D_jS1E_jS1F_S1F_jjS1H_bEUljE0_EEES10_S11_S12_S19_S1D_S1F_T6_T7_T9_mT8_S1H_bDpT10_ENKUlT_T0_E_clISt17integral_constantIbLb1EES1U_IbLb0EEEEDaS1Q_S1R_EUlS1Q_E_NS1_11comp_targetILNS1_3genE0ELNS1_11target_archE4294967295ELNS1_3gpuE0ELNS1_3repE0EEENS1_30default_config_static_selectorELNS0_4arch9wavefront6targetE0EEEvS13_.has_indirect_call, 0
	.section	.AMDGPU.csdata,"",@progbits
; Kernel info:
; codeLenInByte = 0
; TotalNumSgprs: 0
; NumVgprs: 0
; ScratchSize: 0
; MemoryBound: 0
; FloatMode: 240
; IeeeMode: 1
; LDSByteSize: 0 bytes/workgroup (compile time only)
; SGPRBlocks: 0
; VGPRBlocks: 0
; NumSGPRsForWavesPerEU: 1
; NumVGPRsForWavesPerEU: 1
; Occupancy: 16
; WaveLimiterHint : 0
; COMPUTE_PGM_RSRC2:SCRATCH_EN: 0
; COMPUTE_PGM_RSRC2:USER_SGPR: 2
; COMPUTE_PGM_RSRC2:TRAP_HANDLER: 0
; COMPUTE_PGM_RSRC2:TGID_X_EN: 1
; COMPUTE_PGM_RSRC2:TGID_Y_EN: 0
; COMPUTE_PGM_RSRC2:TGID_Z_EN: 0
; COMPUTE_PGM_RSRC2:TIDIG_COMP_CNT: 0
	.section	.text._ZN7rocprim17ROCPRIM_400000_NS6detail17trampoline_kernelINS0_13select_configILj256ELj13ELNS0_17block_load_methodE3ELS4_3ELS4_3ELNS0_20block_scan_algorithmE0ELj4294967295EEENS1_25partition_config_selectorILNS1_17partition_subalgoE4EjNS0_10empty_typeEbEEZZNS1_14partition_implILS8_4ELb0ES6_15HIP_vector_typeIjLj2EENS0_17counting_iteratorIjlEEPS9_SG_NS0_5tupleIJPjSI_NS0_16reverse_iteratorISI_EEEEENSH_IJSG_SG_SG_EEES9_SI_JZNS1_25segmented_radix_sort_implINS0_14default_configELb1EPK12hip_bfloat16PSP_PKlPlN2at6native12_GLOBAL__N_18offset_tEEE10hipError_tPvRmT1_PNSt15iterator_traitsIS13_E10value_typeET2_T3_PNS14_IS19_E10value_typeET4_jRbjT5_S1F_jjP12ihipStream_tbEUljE_ZNSN_ISO_Lb1ESR_SS_SU_SV_SZ_EES10_S11_S12_S13_S17_S18_S19_S1C_S1D_jS1E_jS1F_S1F_jjS1H_bEUljE0_EEES10_S11_S12_S19_S1D_S1F_T6_T7_T9_mT8_S1H_bDpT10_ENKUlT_T0_E_clISt17integral_constantIbLb1EES1U_IbLb0EEEEDaS1Q_S1R_EUlS1Q_E_NS1_11comp_targetILNS1_3genE5ELNS1_11target_archE942ELNS1_3gpuE9ELNS1_3repE0EEENS1_30default_config_static_selectorELNS0_4arch9wavefront6targetE0EEEvS13_,"axG",@progbits,_ZN7rocprim17ROCPRIM_400000_NS6detail17trampoline_kernelINS0_13select_configILj256ELj13ELNS0_17block_load_methodE3ELS4_3ELS4_3ELNS0_20block_scan_algorithmE0ELj4294967295EEENS1_25partition_config_selectorILNS1_17partition_subalgoE4EjNS0_10empty_typeEbEEZZNS1_14partition_implILS8_4ELb0ES6_15HIP_vector_typeIjLj2EENS0_17counting_iteratorIjlEEPS9_SG_NS0_5tupleIJPjSI_NS0_16reverse_iteratorISI_EEEEENSH_IJSG_SG_SG_EEES9_SI_JZNS1_25segmented_radix_sort_implINS0_14default_configELb1EPK12hip_bfloat16PSP_PKlPlN2at6native12_GLOBAL__N_18offset_tEEE10hipError_tPvRmT1_PNSt15iterator_traitsIS13_E10value_typeET2_T3_PNS14_IS19_E10value_typeET4_jRbjT5_S1F_jjP12ihipStream_tbEUljE_ZNSN_ISO_Lb1ESR_SS_SU_SV_SZ_EES10_S11_S12_S13_S17_S18_S19_S1C_S1D_jS1E_jS1F_S1F_jjS1H_bEUljE0_EEES10_S11_S12_S19_S1D_S1F_T6_T7_T9_mT8_S1H_bDpT10_ENKUlT_T0_E_clISt17integral_constantIbLb1EES1U_IbLb0EEEEDaS1Q_S1R_EUlS1Q_E_NS1_11comp_targetILNS1_3genE5ELNS1_11target_archE942ELNS1_3gpuE9ELNS1_3repE0EEENS1_30default_config_static_selectorELNS0_4arch9wavefront6targetE0EEEvS13_,comdat
	.globl	_ZN7rocprim17ROCPRIM_400000_NS6detail17trampoline_kernelINS0_13select_configILj256ELj13ELNS0_17block_load_methodE3ELS4_3ELS4_3ELNS0_20block_scan_algorithmE0ELj4294967295EEENS1_25partition_config_selectorILNS1_17partition_subalgoE4EjNS0_10empty_typeEbEEZZNS1_14partition_implILS8_4ELb0ES6_15HIP_vector_typeIjLj2EENS0_17counting_iteratorIjlEEPS9_SG_NS0_5tupleIJPjSI_NS0_16reverse_iteratorISI_EEEEENSH_IJSG_SG_SG_EEES9_SI_JZNS1_25segmented_radix_sort_implINS0_14default_configELb1EPK12hip_bfloat16PSP_PKlPlN2at6native12_GLOBAL__N_18offset_tEEE10hipError_tPvRmT1_PNSt15iterator_traitsIS13_E10value_typeET2_T3_PNS14_IS19_E10value_typeET4_jRbjT5_S1F_jjP12ihipStream_tbEUljE_ZNSN_ISO_Lb1ESR_SS_SU_SV_SZ_EES10_S11_S12_S13_S17_S18_S19_S1C_S1D_jS1E_jS1F_S1F_jjS1H_bEUljE0_EEES10_S11_S12_S19_S1D_S1F_T6_T7_T9_mT8_S1H_bDpT10_ENKUlT_T0_E_clISt17integral_constantIbLb1EES1U_IbLb0EEEEDaS1Q_S1R_EUlS1Q_E_NS1_11comp_targetILNS1_3genE5ELNS1_11target_archE942ELNS1_3gpuE9ELNS1_3repE0EEENS1_30default_config_static_selectorELNS0_4arch9wavefront6targetE0EEEvS13_ ; -- Begin function _ZN7rocprim17ROCPRIM_400000_NS6detail17trampoline_kernelINS0_13select_configILj256ELj13ELNS0_17block_load_methodE3ELS4_3ELS4_3ELNS0_20block_scan_algorithmE0ELj4294967295EEENS1_25partition_config_selectorILNS1_17partition_subalgoE4EjNS0_10empty_typeEbEEZZNS1_14partition_implILS8_4ELb0ES6_15HIP_vector_typeIjLj2EENS0_17counting_iteratorIjlEEPS9_SG_NS0_5tupleIJPjSI_NS0_16reverse_iteratorISI_EEEEENSH_IJSG_SG_SG_EEES9_SI_JZNS1_25segmented_radix_sort_implINS0_14default_configELb1EPK12hip_bfloat16PSP_PKlPlN2at6native12_GLOBAL__N_18offset_tEEE10hipError_tPvRmT1_PNSt15iterator_traitsIS13_E10value_typeET2_T3_PNS14_IS19_E10value_typeET4_jRbjT5_S1F_jjP12ihipStream_tbEUljE_ZNSN_ISO_Lb1ESR_SS_SU_SV_SZ_EES10_S11_S12_S13_S17_S18_S19_S1C_S1D_jS1E_jS1F_S1F_jjS1H_bEUljE0_EEES10_S11_S12_S19_S1D_S1F_T6_T7_T9_mT8_S1H_bDpT10_ENKUlT_T0_E_clISt17integral_constantIbLb1EES1U_IbLb0EEEEDaS1Q_S1R_EUlS1Q_E_NS1_11comp_targetILNS1_3genE5ELNS1_11target_archE942ELNS1_3gpuE9ELNS1_3repE0EEENS1_30default_config_static_selectorELNS0_4arch9wavefront6targetE0EEEvS13_
	.p2align	8
	.type	_ZN7rocprim17ROCPRIM_400000_NS6detail17trampoline_kernelINS0_13select_configILj256ELj13ELNS0_17block_load_methodE3ELS4_3ELS4_3ELNS0_20block_scan_algorithmE0ELj4294967295EEENS1_25partition_config_selectorILNS1_17partition_subalgoE4EjNS0_10empty_typeEbEEZZNS1_14partition_implILS8_4ELb0ES6_15HIP_vector_typeIjLj2EENS0_17counting_iteratorIjlEEPS9_SG_NS0_5tupleIJPjSI_NS0_16reverse_iteratorISI_EEEEENSH_IJSG_SG_SG_EEES9_SI_JZNS1_25segmented_radix_sort_implINS0_14default_configELb1EPK12hip_bfloat16PSP_PKlPlN2at6native12_GLOBAL__N_18offset_tEEE10hipError_tPvRmT1_PNSt15iterator_traitsIS13_E10value_typeET2_T3_PNS14_IS19_E10value_typeET4_jRbjT5_S1F_jjP12ihipStream_tbEUljE_ZNSN_ISO_Lb1ESR_SS_SU_SV_SZ_EES10_S11_S12_S13_S17_S18_S19_S1C_S1D_jS1E_jS1F_S1F_jjS1H_bEUljE0_EEES10_S11_S12_S19_S1D_S1F_T6_T7_T9_mT8_S1H_bDpT10_ENKUlT_T0_E_clISt17integral_constantIbLb1EES1U_IbLb0EEEEDaS1Q_S1R_EUlS1Q_E_NS1_11comp_targetILNS1_3genE5ELNS1_11target_archE942ELNS1_3gpuE9ELNS1_3repE0EEENS1_30default_config_static_selectorELNS0_4arch9wavefront6targetE0EEEvS13_,@function
_ZN7rocprim17ROCPRIM_400000_NS6detail17trampoline_kernelINS0_13select_configILj256ELj13ELNS0_17block_load_methodE3ELS4_3ELS4_3ELNS0_20block_scan_algorithmE0ELj4294967295EEENS1_25partition_config_selectorILNS1_17partition_subalgoE4EjNS0_10empty_typeEbEEZZNS1_14partition_implILS8_4ELb0ES6_15HIP_vector_typeIjLj2EENS0_17counting_iteratorIjlEEPS9_SG_NS0_5tupleIJPjSI_NS0_16reverse_iteratorISI_EEEEENSH_IJSG_SG_SG_EEES9_SI_JZNS1_25segmented_radix_sort_implINS0_14default_configELb1EPK12hip_bfloat16PSP_PKlPlN2at6native12_GLOBAL__N_18offset_tEEE10hipError_tPvRmT1_PNSt15iterator_traitsIS13_E10value_typeET2_T3_PNS14_IS19_E10value_typeET4_jRbjT5_S1F_jjP12ihipStream_tbEUljE_ZNSN_ISO_Lb1ESR_SS_SU_SV_SZ_EES10_S11_S12_S13_S17_S18_S19_S1C_S1D_jS1E_jS1F_S1F_jjS1H_bEUljE0_EEES10_S11_S12_S19_S1D_S1F_T6_T7_T9_mT8_S1H_bDpT10_ENKUlT_T0_E_clISt17integral_constantIbLb1EES1U_IbLb0EEEEDaS1Q_S1R_EUlS1Q_E_NS1_11comp_targetILNS1_3genE5ELNS1_11target_archE942ELNS1_3gpuE9ELNS1_3repE0EEENS1_30default_config_static_selectorELNS0_4arch9wavefront6targetE0EEEvS13_: ; @_ZN7rocprim17ROCPRIM_400000_NS6detail17trampoline_kernelINS0_13select_configILj256ELj13ELNS0_17block_load_methodE3ELS4_3ELS4_3ELNS0_20block_scan_algorithmE0ELj4294967295EEENS1_25partition_config_selectorILNS1_17partition_subalgoE4EjNS0_10empty_typeEbEEZZNS1_14partition_implILS8_4ELb0ES6_15HIP_vector_typeIjLj2EENS0_17counting_iteratorIjlEEPS9_SG_NS0_5tupleIJPjSI_NS0_16reverse_iteratorISI_EEEEENSH_IJSG_SG_SG_EEES9_SI_JZNS1_25segmented_radix_sort_implINS0_14default_configELb1EPK12hip_bfloat16PSP_PKlPlN2at6native12_GLOBAL__N_18offset_tEEE10hipError_tPvRmT1_PNSt15iterator_traitsIS13_E10value_typeET2_T3_PNS14_IS19_E10value_typeET4_jRbjT5_S1F_jjP12ihipStream_tbEUljE_ZNSN_ISO_Lb1ESR_SS_SU_SV_SZ_EES10_S11_S12_S13_S17_S18_S19_S1C_S1D_jS1E_jS1F_S1F_jjS1H_bEUljE0_EEES10_S11_S12_S19_S1D_S1F_T6_T7_T9_mT8_S1H_bDpT10_ENKUlT_T0_E_clISt17integral_constantIbLb1EES1U_IbLb0EEEEDaS1Q_S1R_EUlS1Q_E_NS1_11comp_targetILNS1_3genE5ELNS1_11target_archE942ELNS1_3gpuE9ELNS1_3repE0EEENS1_30default_config_static_selectorELNS0_4arch9wavefront6targetE0EEEvS13_
; %bb.0:
	.section	.rodata,"a",@progbits
	.p2align	6, 0x0
	.amdhsa_kernel _ZN7rocprim17ROCPRIM_400000_NS6detail17trampoline_kernelINS0_13select_configILj256ELj13ELNS0_17block_load_methodE3ELS4_3ELS4_3ELNS0_20block_scan_algorithmE0ELj4294967295EEENS1_25partition_config_selectorILNS1_17partition_subalgoE4EjNS0_10empty_typeEbEEZZNS1_14partition_implILS8_4ELb0ES6_15HIP_vector_typeIjLj2EENS0_17counting_iteratorIjlEEPS9_SG_NS0_5tupleIJPjSI_NS0_16reverse_iteratorISI_EEEEENSH_IJSG_SG_SG_EEES9_SI_JZNS1_25segmented_radix_sort_implINS0_14default_configELb1EPK12hip_bfloat16PSP_PKlPlN2at6native12_GLOBAL__N_18offset_tEEE10hipError_tPvRmT1_PNSt15iterator_traitsIS13_E10value_typeET2_T3_PNS14_IS19_E10value_typeET4_jRbjT5_S1F_jjP12ihipStream_tbEUljE_ZNSN_ISO_Lb1ESR_SS_SU_SV_SZ_EES10_S11_S12_S13_S17_S18_S19_S1C_S1D_jS1E_jS1F_S1F_jjS1H_bEUljE0_EEES10_S11_S12_S19_S1D_S1F_T6_T7_T9_mT8_S1H_bDpT10_ENKUlT_T0_E_clISt17integral_constantIbLb1EES1U_IbLb0EEEEDaS1Q_S1R_EUlS1Q_E_NS1_11comp_targetILNS1_3genE5ELNS1_11target_archE942ELNS1_3gpuE9ELNS1_3repE0EEENS1_30default_config_static_selectorELNS0_4arch9wavefront6targetE0EEEvS13_
		.amdhsa_group_segment_fixed_size 0
		.amdhsa_private_segment_fixed_size 0
		.amdhsa_kernarg_size 176
		.amdhsa_user_sgpr_count 2
		.amdhsa_user_sgpr_dispatch_ptr 0
		.amdhsa_user_sgpr_queue_ptr 0
		.amdhsa_user_sgpr_kernarg_segment_ptr 1
		.amdhsa_user_sgpr_dispatch_id 0
		.amdhsa_user_sgpr_private_segment_size 0
		.amdhsa_wavefront_size32 1
		.amdhsa_uses_dynamic_stack 0
		.amdhsa_enable_private_segment 0
		.amdhsa_system_sgpr_workgroup_id_x 1
		.amdhsa_system_sgpr_workgroup_id_y 0
		.amdhsa_system_sgpr_workgroup_id_z 0
		.amdhsa_system_sgpr_workgroup_info 0
		.amdhsa_system_vgpr_workitem_id 0
		.amdhsa_next_free_vgpr 1
		.amdhsa_next_free_sgpr 1
		.amdhsa_reserve_vcc 0
		.amdhsa_float_round_mode_32 0
		.amdhsa_float_round_mode_16_64 0
		.amdhsa_float_denorm_mode_32 3
		.amdhsa_float_denorm_mode_16_64 3
		.amdhsa_fp16_overflow 0
		.amdhsa_workgroup_processor_mode 1
		.amdhsa_memory_ordered 1
		.amdhsa_forward_progress 1
		.amdhsa_inst_pref_size 0
		.amdhsa_round_robin_scheduling 0
		.amdhsa_exception_fp_ieee_invalid_op 0
		.amdhsa_exception_fp_denorm_src 0
		.amdhsa_exception_fp_ieee_div_zero 0
		.amdhsa_exception_fp_ieee_overflow 0
		.amdhsa_exception_fp_ieee_underflow 0
		.amdhsa_exception_fp_ieee_inexact 0
		.amdhsa_exception_int_div_zero 0
	.end_amdhsa_kernel
	.section	.text._ZN7rocprim17ROCPRIM_400000_NS6detail17trampoline_kernelINS0_13select_configILj256ELj13ELNS0_17block_load_methodE3ELS4_3ELS4_3ELNS0_20block_scan_algorithmE0ELj4294967295EEENS1_25partition_config_selectorILNS1_17partition_subalgoE4EjNS0_10empty_typeEbEEZZNS1_14partition_implILS8_4ELb0ES6_15HIP_vector_typeIjLj2EENS0_17counting_iteratorIjlEEPS9_SG_NS0_5tupleIJPjSI_NS0_16reverse_iteratorISI_EEEEENSH_IJSG_SG_SG_EEES9_SI_JZNS1_25segmented_radix_sort_implINS0_14default_configELb1EPK12hip_bfloat16PSP_PKlPlN2at6native12_GLOBAL__N_18offset_tEEE10hipError_tPvRmT1_PNSt15iterator_traitsIS13_E10value_typeET2_T3_PNS14_IS19_E10value_typeET4_jRbjT5_S1F_jjP12ihipStream_tbEUljE_ZNSN_ISO_Lb1ESR_SS_SU_SV_SZ_EES10_S11_S12_S13_S17_S18_S19_S1C_S1D_jS1E_jS1F_S1F_jjS1H_bEUljE0_EEES10_S11_S12_S19_S1D_S1F_T6_T7_T9_mT8_S1H_bDpT10_ENKUlT_T0_E_clISt17integral_constantIbLb1EES1U_IbLb0EEEEDaS1Q_S1R_EUlS1Q_E_NS1_11comp_targetILNS1_3genE5ELNS1_11target_archE942ELNS1_3gpuE9ELNS1_3repE0EEENS1_30default_config_static_selectorELNS0_4arch9wavefront6targetE0EEEvS13_,"axG",@progbits,_ZN7rocprim17ROCPRIM_400000_NS6detail17trampoline_kernelINS0_13select_configILj256ELj13ELNS0_17block_load_methodE3ELS4_3ELS4_3ELNS0_20block_scan_algorithmE0ELj4294967295EEENS1_25partition_config_selectorILNS1_17partition_subalgoE4EjNS0_10empty_typeEbEEZZNS1_14partition_implILS8_4ELb0ES6_15HIP_vector_typeIjLj2EENS0_17counting_iteratorIjlEEPS9_SG_NS0_5tupleIJPjSI_NS0_16reverse_iteratorISI_EEEEENSH_IJSG_SG_SG_EEES9_SI_JZNS1_25segmented_radix_sort_implINS0_14default_configELb1EPK12hip_bfloat16PSP_PKlPlN2at6native12_GLOBAL__N_18offset_tEEE10hipError_tPvRmT1_PNSt15iterator_traitsIS13_E10value_typeET2_T3_PNS14_IS19_E10value_typeET4_jRbjT5_S1F_jjP12ihipStream_tbEUljE_ZNSN_ISO_Lb1ESR_SS_SU_SV_SZ_EES10_S11_S12_S13_S17_S18_S19_S1C_S1D_jS1E_jS1F_S1F_jjS1H_bEUljE0_EEES10_S11_S12_S19_S1D_S1F_T6_T7_T9_mT8_S1H_bDpT10_ENKUlT_T0_E_clISt17integral_constantIbLb1EES1U_IbLb0EEEEDaS1Q_S1R_EUlS1Q_E_NS1_11comp_targetILNS1_3genE5ELNS1_11target_archE942ELNS1_3gpuE9ELNS1_3repE0EEENS1_30default_config_static_selectorELNS0_4arch9wavefront6targetE0EEEvS13_,comdat
.Lfunc_end1899:
	.size	_ZN7rocprim17ROCPRIM_400000_NS6detail17trampoline_kernelINS0_13select_configILj256ELj13ELNS0_17block_load_methodE3ELS4_3ELS4_3ELNS0_20block_scan_algorithmE0ELj4294967295EEENS1_25partition_config_selectorILNS1_17partition_subalgoE4EjNS0_10empty_typeEbEEZZNS1_14partition_implILS8_4ELb0ES6_15HIP_vector_typeIjLj2EENS0_17counting_iteratorIjlEEPS9_SG_NS0_5tupleIJPjSI_NS0_16reverse_iteratorISI_EEEEENSH_IJSG_SG_SG_EEES9_SI_JZNS1_25segmented_radix_sort_implINS0_14default_configELb1EPK12hip_bfloat16PSP_PKlPlN2at6native12_GLOBAL__N_18offset_tEEE10hipError_tPvRmT1_PNSt15iterator_traitsIS13_E10value_typeET2_T3_PNS14_IS19_E10value_typeET4_jRbjT5_S1F_jjP12ihipStream_tbEUljE_ZNSN_ISO_Lb1ESR_SS_SU_SV_SZ_EES10_S11_S12_S13_S17_S18_S19_S1C_S1D_jS1E_jS1F_S1F_jjS1H_bEUljE0_EEES10_S11_S12_S19_S1D_S1F_T6_T7_T9_mT8_S1H_bDpT10_ENKUlT_T0_E_clISt17integral_constantIbLb1EES1U_IbLb0EEEEDaS1Q_S1R_EUlS1Q_E_NS1_11comp_targetILNS1_3genE5ELNS1_11target_archE942ELNS1_3gpuE9ELNS1_3repE0EEENS1_30default_config_static_selectorELNS0_4arch9wavefront6targetE0EEEvS13_, .Lfunc_end1899-_ZN7rocprim17ROCPRIM_400000_NS6detail17trampoline_kernelINS0_13select_configILj256ELj13ELNS0_17block_load_methodE3ELS4_3ELS4_3ELNS0_20block_scan_algorithmE0ELj4294967295EEENS1_25partition_config_selectorILNS1_17partition_subalgoE4EjNS0_10empty_typeEbEEZZNS1_14partition_implILS8_4ELb0ES6_15HIP_vector_typeIjLj2EENS0_17counting_iteratorIjlEEPS9_SG_NS0_5tupleIJPjSI_NS0_16reverse_iteratorISI_EEEEENSH_IJSG_SG_SG_EEES9_SI_JZNS1_25segmented_radix_sort_implINS0_14default_configELb1EPK12hip_bfloat16PSP_PKlPlN2at6native12_GLOBAL__N_18offset_tEEE10hipError_tPvRmT1_PNSt15iterator_traitsIS13_E10value_typeET2_T3_PNS14_IS19_E10value_typeET4_jRbjT5_S1F_jjP12ihipStream_tbEUljE_ZNSN_ISO_Lb1ESR_SS_SU_SV_SZ_EES10_S11_S12_S13_S17_S18_S19_S1C_S1D_jS1E_jS1F_S1F_jjS1H_bEUljE0_EEES10_S11_S12_S19_S1D_S1F_T6_T7_T9_mT8_S1H_bDpT10_ENKUlT_T0_E_clISt17integral_constantIbLb1EES1U_IbLb0EEEEDaS1Q_S1R_EUlS1Q_E_NS1_11comp_targetILNS1_3genE5ELNS1_11target_archE942ELNS1_3gpuE9ELNS1_3repE0EEENS1_30default_config_static_selectorELNS0_4arch9wavefront6targetE0EEEvS13_
                                        ; -- End function
	.set _ZN7rocprim17ROCPRIM_400000_NS6detail17trampoline_kernelINS0_13select_configILj256ELj13ELNS0_17block_load_methodE3ELS4_3ELS4_3ELNS0_20block_scan_algorithmE0ELj4294967295EEENS1_25partition_config_selectorILNS1_17partition_subalgoE4EjNS0_10empty_typeEbEEZZNS1_14partition_implILS8_4ELb0ES6_15HIP_vector_typeIjLj2EENS0_17counting_iteratorIjlEEPS9_SG_NS0_5tupleIJPjSI_NS0_16reverse_iteratorISI_EEEEENSH_IJSG_SG_SG_EEES9_SI_JZNS1_25segmented_radix_sort_implINS0_14default_configELb1EPK12hip_bfloat16PSP_PKlPlN2at6native12_GLOBAL__N_18offset_tEEE10hipError_tPvRmT1_PNSt15iterator_traitsIS13_E10value_typeET2_T3_PNS14_IS19_E10value_typeET4_jRbjT5_S1F_jjP12ihipStream_tbEUljE_ZNSN_ISO_Lb1ESR_SS_SU_SV_SZ_EES10_S11_S12_S13_S17_S18_S19_S1C_S1D_jS1E_jS1F_S1F_jjS1H_bEUljE0_EEES10_S11_S12_S19_S1D_S1F_T6_T7_T9_mT8_S1H_bDpT10_ENKUlT_T0_E_clISt17integral_constantIbLb1EES1U_IbLb0EEEEDaS1Q_S1R_EUlS1Q_E_NS1_11comp_targetILNS1_3genE5ELNS1_11target_archE942ELNS1_3gpuE9ELNS1_3repE0EEENS1_30default_config_static_selectorELNS0_4arch9wavefront6targetE0EEEvS13_.num_vgpr, 0
	.set _ZN7rocprim17ROCPRIM_400000_NS6detail17trampoline_kernelINS0_13select_configILj256ELj13ELNS0_17block_load_methodE3ELS4_3ELS4_3ELNS0_20block_scan_algorithmE0ELj4294967295EEENS1_25partition_config_selectorILNS1_17partition_subalgoE4EjNS0_10empty_typeEbEEZZNS1_14partition_implILS8_4ELb0ES6_15HIP_vector_typeIjLj2EENS0_17counting_iteratorIjlEEPS9_SG_NS0_5tupleIJPjSI_NS0_16reverse_iteratorISI_EEEEENSH_IJSG_SG_SG_EEES9_SI_JZNS1_25segmented_radix_sort_implINS0_14default_configELb1EPK12hip_bfloat16PSP_PKlPlN2at6native12_GLOBAL__N_18offset_tEEE10hipError_tPvRmT1_PNSt15iterator_traitsIS13_E10value_typeET2_T3_PNS14_IS19_E10value_typeET4_jRbjT5_S1F_jjP12ihipStream_tbEUljE_ZNSN_ISO_Lb1ESR_SS_SU_SV_SZ_EES10_S11_S12_S13_S17_S18_S19_S1C_S1D_jS1E_jS1F_S1F_jjS1H_bEUljE0_EEES10_S11_S12_S19_S1D_S1F_T6_T7_T9_mT8_S1H_bDpT10_ENKUlT_T0_E_clISt17integral_constantIbLb1EES1U_IbLb0EEEEDaS1Q_S1R_EUlS1Q_E_NS1_11comp_targetILNS1_3genE5ELNS1_11target_archE942ELNS1_3gpuE9ELNS1_3repE0EEENS1_30default_config_static_selectorELNS0_4arch9wavefront6targetE0EEEvS13_.num_agpr, 0
	.set _ZN7rocprim17ROCPRIM_400000_NS6detail17trampoline_kernelINS0_13select_configILj256ELj13ELNS0_17block_load_methodE3ELS4_3ELS4_3ELNS0_20block_scan_algorithmE0ELj4294967295EEENS1_25partition_config_selectorILNS1_17partition_subalgoE4EjNS0_10empty_typeEbEEZZNS1_14partition_implILS8_4ELb0ES6_15HIP_vector_typeIjLj2EENS0_17counting_iteratorIjlEEPS9_SG_NS0_5tupleIJPjSI_NS0_16reverse_iteratorISI_EEEEENSH_IJSG_SG_SG_EEES9_SI_JZNS1_25segmented_radix_sort_implINS0_14default_configELb1EPK12hip_bfloat16PSP_PKlPlN2at6native12_GLOBAL__N_18offset_tEEE10hipError_tPvRmT1_PNSt15iterator_traitsIS13_E10value_typeET2_T3_PNS14_IS19_E10value_typeET4_jRbjT5_S1F_jjP12ihipStream_tbEUljE_ZNSN_ISO_Lb1ESR_SS_SU_SV_SZ_EES10_S11_S12_S13_S17_S18_S19_S1C_S1D_jS1E_jS1F_S1F_jjS1H_bEUljE0_EEES10_S11_S12_S19_S1D_S1F_T6_T7_T9_mT8_S1H_bDpT10_ENKUlT_T0_E_clISt17integral_constantIbLb1EES1U_IbLb0EEEEDaS1Q_S1R_EUlS1Q_E_NS1_11comp_targetILNS1_3genE5ELNS1_11target_archE942ELNS1_3gpuE9ELNS1_3repE0EEENS1_30default_config_static_selectorELNS0_4arch9wavefront6targetE0EEEvS13_.numbered_sgpr, 0
	.set _ZN7rocprim17ROCPRIM_400000_NS6detail17trampoline_kernelINS0_13select_configILj256ELj13ELNS0_17block_load_methodE3ELS4_3ELS4_3ELNS0_20block_scan_algorithmE0ELj4294967295EEENS1_25partition_config_selectorILNS1_17partition_subalgoE4EjNS0_10empty_typeEbEEZZNS1_14partition_implILS8_4ELb0ES6_15HIP_vector_typeIjLj2EENS0_17counting_iteratorIjlEEPS9_SG_NS0_5tupleIJPjSI_NS0_16reverse_iteratorISI_EEEEENSH_IJSG_SG_SG_EEES9_SI_JZNS1_25segmented_radix_sort_implINS0_14default_configELb1EPK12hip_bfloat16PSP_PKlPlN2at6native12_GLOBAL__N_18offset_tEEE10hipError_tPvRmT1_PNSt15iterator_traitsIS13_E10value_typeET2_T3_PNS14_IS19_E10value_typeET4_jRbjT5_S1F_jjP12ihipStream_tbEUljE_ZNSN_ISO_Lb1ESR_SS_SU_SV_SZ_EES10_S11_S12_S13_S17_S18_S19_S1C_S1D_jS1E_jS1F_S1F_jjS1H_bEUljE0_EEES10_S11_S12_S19_S1D_S1F_T6_T7_T9_mT8_S1H_bDpT10_ENKUlT_T0_E_clISt17integral_constantIbLb1EES1U_IbLb0EEEEDaS1Q_S1R_EUlS1Q_E_NS1_11comp_targetILNS1_3genE5ELNS1_11target_archE942ELNS1_3gpuE9ELNS1_3repE0EEENS1_30default_config_static_selectorELNS0_4arch9wavefront6targetE0EEEvS13_.num_named_barrier, 0
	.set _ZN7rocprim17ROCPRIM_400000_NS6detail17trampoline_kernelINS0_13select_configILj256ELj13ELNS0_17block_load_methodE3ELS4_3ELS4_3ELNS0_20block_scan_algorithmE0ELj4294967295EEENS1_25partition_config_selectorILNS1_17partition_subalgoE4EjNS0_10empty_typeEbEEZZNS1_14partition_implILS8_4ELb0ES6_15HIP_vector_typeIjLj2EENS0_17counting_iteratorIjlEEPS9_SG_NS0_5tupleIJPjSI_NS0_16reverse_iteratorISI_EEEEENSH_IJSG_SG_SG_EEES9_SI_JZNS1_25segmented_radix_sort_implINS0_14default_configELb1EPK12hip_bfloat16PSP_PKlPlN2at6native12_GLOBAL__N_18offset_tEEE10hipError_tPvRmT1_PNSt15iterator_traitsIS13_E10value_typeET2_T3_PNS14_IS19_E10value_typeET4_jRbjT5_S1F_jjP12ihipStream_tbEUljE_ZNSN_ISO_Lb1ESR_SS_SU_SV_SZ_EES10_S11_S12_S13_S17_S18_S19_S1C_S1D_jS1E_jS1F_S1F_jjS1H_bEUljE0_EEES10_S11_S12_S19_S1D_S1F_T6_T7_T9_mT8_S1H_bDpT10_ENKUlT_T0_E_clISt17integral_constantIbLb1EES1U_IbLb0EEEEDaS1Q_S1R_EUlS1Q_E_NS1_11comp_targetILNS1_3genE5ELNS1_11target_archE942ELNS1_3gpuE9ELNS1_3repE0EEENS1_30default_config_static_selectorELNS0_4arch9wavefront6targetE0EEEvS13_.private_seg_size, 0
	.set _ZN7rocprim17ROCPRIM_400000_NS6detail17trampoline_kernelINS0_13select_configILj256ELj13ELNS0_17block_load_methodE3ELS4_3ELS4_3ELNS0_20block_scan_algorithmE0ELj4294967295EEENS1_25partition_config_selectorILNS1_17partition_subalgoE4EjNS0_10empty_typeEbEEZZNS1_14partition_implILS8_4ELb0ES6_15HIP_vector_typeIjLj2EENS0_17counting_iteratorIjlEEPS9_SG_NS0_5tupleIJPjSI_NS0_16reverse_iteratorISI_EEEEENSH_IJSG_SG_SG_EEES9_SI_JZNS1_25segmented_radix_sort_implINS0_14default_configELb1EPK12hip_bfloat16PSP_PKlPlN2at6native12_GLOBAL__N_18offset_tEEE10hipError_tPvRmT1_PNSt15iterator_traitsIS13_E10value_typeET2_T3_PNS14_IS19_E10value_typeET4_jRbjT5_S1F_jjP12ihipStream_tbEUljE_ZNSN_ISO_Lb1ESR_SS_SU_SV_SZ_EES10_S11_S12_S13_S17_S18_S19_S1C_S1D_jS1E_jS1F_S1F_jjS1H_bEUljE0_EEES10_S11_S12_S19_S1D_S1F_T6_T7_T9_mT8_S1H_bDpT10_ENKUlT_T0_E_clISt17integral_constantIbLb1EES1U_IbLb0EEEEDaS1Q_S1R_EUlS1Q_E_NS1_11comp_targetILNS1_3genE5ELNS1_11target_archE942ELNS1_3gpuE9ELNS1_3repE0EEENS1_30default_config_static_selectorELNS0_4arch9wavefront6targetE0EEEvS13_.uses_vcc, 0
	.set _ZN7rocprim17ROCPRIM_400000_NS6detail17trampoline_kernelINS0_13select_configILj256ELj13ELNS0_17block_load_methodE3ELS4_3ELS4_3ELNS0_20block_scan_algorithmE0ELj4294967295EEENS1_25partition_config_selectorILNS1_17partition_subalgoE4EjNS0_10empty_typeEbEEZZNS1_14partition_implILS8_4ELb0ES6_15HIP_vector_typeIjLj2EENS0_17counting_iteratorIjlEEPS9_SG_NS0_5tupleIJPjSI_NS0_16reverse_iteratorISI_EEEEENSH_IJSG_SG_SG_EEES9_SI_JZNS1_25segmented_radix_sort_implINS0_14default_configELb1EPK12hip_bfloat16PSP_PKlPlN2at6native12_GLOBAL__N_18offset_tEEE10hipError_tPvRmT1_PNSt15iterator_traitsIS13_E10value_typeET2_T3_PNS14_IS19_E10value_typeET4_jRbjT5_S1F_jjP12ihipStream_tbEUljE_ZNSN_ISO_Lb1ESR_SS_SU_SV_SZ_EES10_S11_S12_S13_S17_S18_S19_S1C_S1D_jS1E_jS1F_S1F_jjS1H_bEUljE0_EEES10_S11_S12_S19_S1D_S1F_T6_T7_T9_mT8_S1H_bDpT10_ENKUlT_T0_E_clISt17integral_constantIbLb1EES1U_IbLb0EEEEDaS1Q_S1R_EUlS1Q_E_NS1_11comp_targetILNS1_3genE5ELNS1_11target_archE942ELNS1_3gpuE9ELNS1_3repE0EEENS1_30default_config_static_selectorELNS0_4arch9wavefront6targetE0EEEvS13_.uses_flat_scratch, 0
	.set _ZN7rocprim17ROCPRIM_400000_NS6detail17trampoline_kernelINS0_13select_configILj256ELj13ELNS0_17block_load_methodE3ELS4_3ELS4_3ELNS0_20block_scan_algorithmE0ELj4294967295EEENS1_25partition_config_selectorILNS1_17partition_subalgoE4EjNS0_10empty_typeEbEEZZNS1_14partition_implILS8_4ELb0ES6_15HIP_vector_typeIjLj2EENS0_17counting_iteratorIjlEEPS9_SG_NS0_5tupleIJPjSI_NS0_16reverse_iteratorISI_EEEEENSH_IJSG_SG_SG_EEES9_SI_JZNS1_25segmented_radix_sort_implINS0_14default_configELb1EPK12hip_bfloat16PSP_PKlPlN2at6native12_GLOBAL__N_18offset_tEEE10hipError_tPvRmT1_PNSt15iterator_traitsIS13_E10value_typeET2_T3_PNS14_IS19_E10value_typeET4_jRbjT5_S1F_jjP12ihipStream_tbEUljE_ZNSN_ISO_Lb1ESR_SS_SU_SV_SZ_EES10_S11_S12_S13_S17_S18_S19_S1C_S1D_jS1E_jS1F_S1F_jjS1H_bEUljE0_EEES10_S11_S12_S19_S1D_S1F_T6_T7_T9_mT8_S1H_bDpT10_ENKUlT_T0_E_clISt17integral_constantIbLb1EES1U_IbLb0EEEEDaS1Q_S1R_EUlS1Q_E_NS1_11comp_targetILNS1_3genE5ELNS1_11target_archE942ELNS1_3gpuE9ELNS1_3repE0EEENS1_30default_config_static_selectorELNS0_4arch9wavefront6targetE0EEEvS13_.has_dyn_sized_stack, 0
	.set _ZN7rocprim17ROCPRIM_400000_NS6detail17trampoline_kernelINS0_13select_configILj256ELj13ELNS0_17block_load_methodE3ELS4_3ELS4_3ELNS0_20block_scan_algorithmE0ELj4294967295EEENS1_25partition_config_selectorILNS1_17partition_subalgoE4EjNS0_10empty_typeEbEEZZNS1_14partition_implILS8_4ELb0ES6_15HIP_vector_typeIjLj2EENS0_17counting_iteratorIjlEEPS9_SG_NS0_5tupleIJPjSI_NS0_16reverse_iteratorISI_EEEEENSH_IJSG_SG_SG_EEES9_SI_JZNS1_25segmented_radix_sort_implINS0_14default_configELb1EPK12hip_bfloat16PSP_PKlPlN2at6native12_GLOBAL__N_18offset_tEEE10hipError_tPvRmT1_PNSt15iterator_traitsIS13_E10value_typeET2_T3_PNS14_IS19_E10value_typeET4_jRbjT5_S1F_jjP12ihipStream_tbEUljE_ZNSN_ISO_Lb1ESR_SS_SU_SV_SZ_EES10_S11_S12_S13_S17_S18_S19_S1C_S1D_jS1E_jS1F_S1F_jjS1H_bEUljE0_EEES10_S11_S12_S19_S1D_S1F_T6_T7_T9_mT8_S1H_bDpT10_ENKUlT_T0_E_clISt17integral_constantIbLb1EES1U_IbLb0EEEEDaS1Q_S1R_EUlS1Q_E_NS1_11comp_targetILNS1_3genE5ELNS1_11target_archE942ELNS1_3gpuE9ELNS1_3repE0EEENS1_30default_config_static_selectorELNS0_4arch9wavefront6targetE0EEEvS13_.has_recursion, 0
	.set _ZN7rocprim17ROCPRIM_400000_NS6detail17trampoline_kernelINS0_13select_configILj256ELj13ELNS0_17block_load_methodE3ELS4_3ELS4_3ELNS0_20block_scan_algorithmE0ELj4294967295EEENS1_25partition_config_selectorILNS1_17partition_subalgoE4EjNS0_10empty_typeEbEEZZNS1_14partition_implILS8_4ELb0ES6_15HIP_vector_typeIjLj2EENS0_17counting_iteratorIjlEEPS9_SG_NS0_5tupleIJPjSI_NS0_16reverse_iteratorISI_EEEEENSH_IJSG_SG_SG_EEES9_SI_JZNS1_25segmented_radix_sort_implINS0_14default_configELb1EPK12hip_bfloat16PSP_PKlPlN2at6native12_GLOBAL__N_18offset_tEEE10hipError_tPvRmT1_PNSt15iterator_traitsIS13_E10value_typeET2_T3_PNS14_IS19_E10value_typeET4_jRbjT5_S1F_jjP12ihipStream_tbEUljE_ZNSN_ISO_Lb1ESR_SS_SU_SV_SZ_EES10_S11_S12_S13_S17_S18_S19_S1C_S1D_jS1E_jS1F_S1F_jjS1H_bEUljE0_EEES10_S11_S12_S19_S1D_S1F_T6_T7_T9_mT8_S1H_bDpT10_ENKUlT_T0_E_clISt17integral_constantIbLb1EES1U_IbLb0EEEEDaS1Q_S1R_EUlS1Q_E_NS1_11comp_targetILNS1_3genE5ELNS1_11target_archE942ELNS1_3gpuE9ELNS1_3repE0EEENS1_30default_config_static_selectorELNS0_4arch9wavefront6targetE0EEEvS13_.has_indirect_call, 0
	.section	.AMDGPU.csdata,"",@progbits
; Kernel info:
; codeLenInByte = 0
; TotalNumSgprs: 0
; NumVgprs: 0
; ScratchSize: 0
; MemoryBound: 0
; FloatMode: 240
; IeeeMode: 1
; LDSByteSize: 0 bytes/workgroup (compile time only)
; SGPRBlocks: 0
; VGPRBlocks: 0
; NumSGPRsForWavesPerEU: 1
; NumVGPRsForWavesPerEU: 1
; Occupancy: 16
; WaveLimiterHint : 0
; COMPUTE_PGM_RSRC2:SCRATCH_EN: 0
; COMPUTE_PGM_RSRC2:USER_SGPR: 2
; COMPUTE_PGM_RSRC2:TRAP_HANDLER: 0
; COMPUTE_PGM_RSRC2:TGID_X_EN: 1
; COMPUTE_PGM_RSRC2:TGID_Y_EN: 0
; COMPUTE_PGM_RSRC2:TGID_Z_EN: 0
; COMPUTE_PGM_RSRC2:TIDIG_COMP_CNT: 0
	.section	.text._ZN7rocprim17ROCPRIM_400000_NS6detail17trampoline_kernelINS0_13select_configILj256ELj13ELNS0_17block_load_methodE3ELS4_3ELS4_3ELNS0_20block_scan_algorithmE0ELj4294967295EEENS1_25partition_config_selectorILNS1_17partition_subalgoE4EjNS0_10empty_typeEbEEZZNS1_14partition_implILS8_4ELb0ES6_15HIP_vector_typeIjLj2EENS0_17counting_iteratorIjlEEPS9_SG_NS0_5tupleIJPjSI_NS0_16reverse_iteratorISI_EEEEENSH_IJSG_SG_SG_EEES9_SI_JZNS1_25segmented_radix_sort_implINS0_14default_configELb1EPK12hip_bfloat16PSP_PKlPlN2at6native12_GLOBAL__N_18offset_tEEE10hipError_tPvRmT1_PNSt15iterator_traitsIS13_E10value_typeET2_T3_PNS14_IS19_E10value_typeET4_jRbjT5_S1F_jjP12ihipStream_tbEUljE_ZNSN_ISO_Lb1ESR_SS_SU_SV_SZ_EES10_S11_S12_S13_S17_S18_S19_S1C_S1D_jS1E_jS1F_S1F_jjS1H_bEUljE0_EEES10_S11_S12_S19_S1D_S1F_T6_T7_T9_mT8_S1H_bDpT10_ENKUlT_T0_E_clISt17integral_constantIbLb1EES1U_IbLb0EEEEDaS1Q_S1R_EUlS1Q_E_NS1_11comp_targetILNS1_3genE4ELNS1_11target_archE910ELNS1_3gpuE8ELNS1_3repE0EEENS1_30default_config_static_selectorELNS0_4arch9wavefront6targetE0EEEvS13_,"axG",@progbits,_ZN7rocprim17ROCPRIM_400000_NS6detail17trampoline_kernelINS0_13select_configILj256ELj13ELNS0_17block_load_methodE3ELS4_3ELS4_3ELNS0_20block_scan_algorithmE0ELj4294967295EEENS1_25partition_config_selectorILNS1_17partition_subalgoE4EjNS0_10empty_typeEbEEZZNS1_14partition_implILS8_4ELb0ES6_15HIP_vector_typeIjLj2EENS0_17counting_iteratorIjlEEPS9_SG_NS0_5tupleIJPjSI_NS0_16reverse_iteratorISI_EEEEENSH_IJSG_SG_SG_EEES9_SI_JZNS1_25segmented_radix_sort_implINS0_14default_configELb1EPK12hip_bfloat16PSP_PKlPlN2at6native12_GLOBAL__N_18offset_tEEE10hipError_tPvRmT1_PNSt15iterator_traitsIS13_E10value_typeET2_T3_PNS14_IS19_E10value_typeET4_jRbjT5_S1F_jjP12ihipStream_tbEUljE_ZNSN_ISO_Lb1ESR_SS_SU_SV_SZ_EES10_S11_S12_S13_S17_S18_S19_S1C_S1D_jS1E_jS1F_S1F_jjS1H_bEUljE0_EEES10_S11_S12_S19_S1D_S1F_T6_T7_T9_mT8_S1H_bDpT10_ENKUlT_T0_E_clISt17integral_constantIbLb1EES1U_IbLb0EEEEDaS1Q_S1R_EUlS1Q_E_NS1_11comp_targetILNS1_3genE4ELNS1_11target_archE910ELNS1_3gpuE8ELNS1_3repE0EEENS1_30default_config_static_selectorELNS0_4arch9wavefront6targetE0EEEvS13_,comdat
	.globl	_ZN7rocprim17ROCPRIM_400000_NS6detail17trampoline_kernelINS0_13select_configILj256ELj13ELNS0_17block_load_methodE3ELS4_3ELS4_3ELNS0_20block_scan_algorithmE0ELj4294967295EEENS1_25partition_config_selectorILNS1_17partition_subalgoE4EjNS0_10empty_typeEbEEZZNS1_14partition_implILS8_4ELb0ES6_15HIP_vector_typeIjLj2EENS0_17counting_iteratorIjlEEPS9_SG_NS0_5tupleIJPjSI_NS0_16reverse_iteratorISI_EEEEENSH_IJSG_SG_SG_EEES9_SI_JZNS1_25segmented_radix_sort_implINS0_14default_configELb1EPK12hip_bfloat16PSP_PKlPlN2at6native12_GLOBAL__N_18offset_tEEE10hipError_tPvRmT1_PNSt15iterator_traitsIS13_E10value_typeET2_T3_PNS14_IS19_E10value_typeET4_jRbjT5_S1F_jjP12ihipStream_tbEUljE_ZNSN_ISO_Lb1ESR_SS_SU_SV_SZ_EES10_S11_S12_S13_S17_S18_S19_S1C_S1D_jS1E_jS1F_S1F_jjS1H_bEUljE0_EEES10_S11_S12_S19_S1D_S1F_T6_T7_T9_mT8_S1H_bDpT10_ENKUlT_T0_E_clISt17integral_constantIbLb1EES1U_IbLb0EEEEDaS1Q_S1R_EUlS1Q_E_NS1_11comp_targetILNS1_3genE4ELNS1_11target_archE910ELNS1_3gpuE8ELNS1_3repE0EEENS1_30default_config_static_selectorELNS0_4arch9wavefront6targetE0EEEvS13_ ; -- Begin function _ZN7rocprim17ROCPRIM_400000_NS6detail17trampoline_kernelINS0_13select_configILj256ELj13ELNS0_17block_load_methodE3ELS4_3ELS4_3ELNS0_20block_scan_algorithmE0ELj4294967295EEENS1_25partition_config_selectorILNS1_17partition_subalgoE4EjNS0_10empty_typeEbEEZZNS1_14partition_implILS8_4ELb0ES6_15HIP_vector_typeIjLj2EENS0_17counting_iteratorIjlEEPS9_SG_NS0_5tupleIJPjSI_NS0_16reverse_iteratorISI_EEEEENSH_IJSG_SG_SG_EEES9_SI_JZNS1_25segmented_radix_sort_implINS0_14default_configELb1EPK12hip_bfloat16PSP_PKlPlN2at6native12_GLOBAL__N_18offset_tEEE10hipError_tPvRmT1_PNSt15iterator_traitsIS13_E10value_typeET2_T3_PNS14_IS19_E10value_typeET4_jRbjT5_S1F_jjP12ihipStream_tbEUljE_ZNSN_ISO_Lb1ESR_SS_SU_SV_SZ_EES10_S11_S12_S13_S17_S18_S19_S1C_S1D_jS1E_jS1F_S1F_jjS1H_bEUljE0_EEES10_S11_S12_S19_S1D_S1F_T6_T7_T9_mT8_S1H_bDpT10_ENKUlT_T0_E_clISt17integral_constantIbLb1EES1U_IbLb0EEEEDaS1Q_S1R_EUlS1Q_E_NS1_11comp_targetILNS1_3genE4ELNS1_11target_archE910ELNS1_3gpuE8ELNS1_3repE0EEENS1_30default_config_static_selectorELNS0_4arch9wavefront6targetE0EEEvS13_
	.p2align	8
	.type	_ZN7rocprim17ROCPRIM_400000_NS6detail17trampoline_kernelINS0_13select_configILj256ELj13ELNS0_17block_load_methodE3ELS4_3ELS4_3ELNS0_20block_scan_algorithmE0ELj4294967295EEENS1_25partition_config_selectorILNS1_17partition_subalgoE4EjNS0_10empty_typeEbEEZZNS1_14partition_implILS8_4ELb0ES6_15HIP_vector_typeIjLj2EENS0_17counting_iteratorIjlEEPS9_SG_NS0_5tupleIJPjSI_NS0_16reverse_iteratorISI_EEEEENSH_IJSG_SG_SG_EEES9_SI_JZNS1_25segmented_radix_sort_implINS0_14default_configELb1EPK12hip_bfloat16PSP_PKlPlN2at6native12_GLOBAL__N_18offset_tEEE10hipError_tPvRmT1_PNSt15iterator_traitsIS13_E10value_typeET2_T3_PNS14_IS19_E10value_typeET4_jRbjT5_S1F_jjP12ihipStream_tbEUljE_ZNSN_ISO_Lb1ESR_SS_SU_SV_SZ_EES10_S11_S12_S13_S17_S18_S19_S1C_S1D_jS1E_jS1F_S1F_jjS1H_bEUljE0_EEES10_S11_S12_S19_S1D_S1F_T6_T7_T9_mT8_S1H_bDpT10_ENKUlT_T0_E_clISt17integral_constantIbLb1EES1U_IbLb0EEEEDaS1Q_S1R_EUlS1Q_E_NS1_11comp_targetILNS1_3genE4ELNS1_11target_archE910ELNS1_3gpuE8ELNS1_3repE0EEENS1_30default_config_static_selectorELNS0_4arch9wavefront6targetE0EEEvS13_,@function
_ZN7rocprim17ROCPRIM_400000_NS6detail17trampoline_kernelINS0_13select_configILj256ELj13ELNS0_17block_load_methodE3ELS4_3ELS4_3ELNS0_20block_scan_algorithmE0ELj4294967295EEENS1_25partition_config_selectorILNS1_17partition_subalgoE4EjNS0_10empty_typeEbEEZZNS1_14partition_implILS8_4ELb0ES6_15HIP_vector_typeIjLj2EENS0_17counting_iteratorIjlEEPS9_SG_NS0_5tupleIJPjSI_NS0_16reverse_iteratorISI_EEEEENSH_IJSG_SG_SG_EEES9_SI_JZNS1_25segmented_radix_sort_implINS0_14default_configELb1EPK12hip_bfloat16PSP_PKlPlN2at6native12_GLOBAL__N_18offset_tEEE10hipError_tPvRmT1_PNSt15iterator_traitsIS13_E10value_typeET2_T3_PNS14_IS19_E10value_typeET4_jRbjT5_S1F_jjP12ihipStream_tbEUljE_ZNSN_ISO_Lb1ESR_SS_SU_SV_SZ_EES10_S11_S12_S13_S17_S18_S19_S1C_S1D_jS1E_jS1F_S1F_jjS1H_bEUljE0_EEES10_S11_S12_S19_S1D_S1F_T6_T7_T9_mT8_S1H_bDpT10_ENKUlT_T0_E_clISt17integral_constantIbLb1EES1U_IbLb0EEEEDaS1Q_S1R_EUlS1Q_E_NS1_11comp_targetILNS1_3genE4ELNS1_11target_archE910ELNS1_3gpuE8ELNS1_3repE0EEENS1_30default_config_static_selectorELNS0_4arch9wavefront6targetE0EEEvS13_: ; @_ZN7rocprim17ROCPRIM_400000_NS6detail17trampoline_kernelINS0_13select_configILj256ELj13ELNS0_17block_load_methodE3ELS4_3ELS4_3ELNS0_20block_scan_algorithmE0ELj4294967295EEENS1_25partition_config_selectorILNS1_17partition_subalgoE4EjNS0_10empty_typeEbEEZZNS1_14partition_implILS8_4ELb0ES6_15HIP_vector_typeIjLj2EENS0_17counting_iteratorIjlEEPS9_SG_NS0_5tupleIJPjSI_NS0_16reverse_iteratorISI_EEEEENSH_IJSG_SG_SG_EEES9_SI_JZNS1_25segmented_radix_sort_implINS0_14default_configELb1EPK12hip_bfloat16PSP_PKlPlN2at6native12_GLOBAL__N_18offset_tEEE10hipError_tPvRmT1_PNSt15iterator_traitsIS13_E10value_typeET2_T3_PNS14_IS19_E10value_typeET4_jRbjT5_S1F_jjP12ihipStream_tbEUljE_ZNSN_ISO_Lb1ESR_SS_SU_SV_SZ_EES10_S11_S12_S13_S17_S18_S19_S1C_S1D_jS1E_jS1F_S1F_jjS1H_bEUljE0_EEES10_S11_S12_S19_S1D_S1F_T6_T7_T9_mT8_S1H_bDpT10_ENKUlT_T0_E_clISt17integral_constantIbLb1EES1U_IbLb0EEEEDaS1Q_S1R_EUlS1Q_E_NS1_11comp_targetILNS1_3genE4ELNS1_11target_archE910ELNS1_3gpuE8ELNS1_3repE0EEENS1_30default_config_static_selectorELNS0_4arch9wavefront6targetE0EEEvS13_
; %bb.0:
	.section	.rodata,"a",@progbits
	.p2align	6, 0x0
	.amdhsa_kernel _ZN7rocprim17ROCPRIM_400000_NS6detail17trampoline_kernelINS0_13select_configILj256ELj13ELNS0_17block_load_methodE3ELS4_3ELS4_3ELNS0_20block_scan_algorithmE0ELj4294967295EEENS1_25partition_config_selectorILNS1_17partition_subalgoE4EjNS0_10empty_typeEbEEZZNS1_14partition_implILS8_4ELb0ES6_15HIP_vector_typeIjLj2EENS0_17counting_iteratorIjlEEPS9_SG_NS0_5tupleIJPjSI_NS0_16reverse_iteratorISI_EEEEENSH_IJSG_SG_SG_EEES9_SI_JZNS1_25segmented_radix_sort_implINS0_14default_configELb1EPK12hip_bfloat16PSP_PKlPlN2at6native12_GLOBAL__N_18offset_tEEE10hipError_tPvRmT1_PNSt15iterator_traitsIS13_E10value_typeET2_T3_PNS14_IS19_E10value_typeET4_jRbjT5_S1F_jjP12ihipStream_tbEUljE_ZNSN_ISO_Lb1ESR_SS_SU_SV_SZ_EES10_S11_S12_S13_S17_S18_S19_S1C_S1D_jS1E_jS1F_S1F_jjS1H_bEUljE0_EEES10_S11_S12_S19_S1D_S1F_T6_T7_T9_mT8_S1H_bDpT10_ENKUlT_T0_E_clISt17integral_constantIbLb1EES1U_IbLb0EEEEDaS1Q_S1R_EUlS1Q_E_NS1_11comp_targetILNS1_3genE4ELNS1_11target_archE910ELNS1_3gpuE8ELNS1_3repE0EEENS1_30default_config_static_selectorELNS0_4arch9wavefront6targetE0EEEvS13_
		.amdhsa_group_segment_fixed_size 0
		.amdhsa_private_segment_fixed_size 0
		.amdhsa_kernarg_size 176
		.amdhsa_user_sgpr_count 2
		.amdhsa_user_sgpr_dispatch_ptr 0
		.amdhsa_user_sgpr_queue_ptr 0
		.amdhsa_user_sgpr_kernarg_segment_ptr 1
		.amdhsa_user_sgpr_dispatch_id 0
		.amdhsa_user_sgpr_private_segment_size 0
		.amdhsa_wavefront_size32 1
		.amdhsa_uses_dynamic_stack 0
		.amdhsa_enable_private_segment 0
		.amdhsa_system_sgpr_workgroup_id_x 1
		.amdhsa_system_sgpr_workgroup_id_y 0
		.amdhsa_system_sgpr_workgroup_id_z 0
		.amdhsa_system_sgpr_workgroup_info 0
		.amdhsa_system_vgpr_workitem_id 0
		.amdhsa_next_free_vgpr 1
		.amdhsa_next_free_sgpr 1
		.amdhsa_reserve_vcc 0
		.amdhsa_float_round_mode_32 0
		.amdhsa_float_round_mode_16_64 0
		.amdhsa_float_denorm_mode_32 3
		.amdhsa_float_denorm_mode_16_64 3
		.amdhsa_fp16_overflow 0
		.amdhsa_workgroup_processor_mode 1
		.amdhsa_memory_ordered 1
		.amdhsa_forward_progress 1
		.amdhsa_inst_pref_size 0
		.amdhsa_round_robin_scheduling 0
		.amdhsa_exception_fp_ieee_invalid_op 0
		.amdhsa_exception_fp_denorm_src 0
		.amdhsa_exception_fp_ieee_div_zero 0
		.amdhsa_exception_fp_ieee_overflow 0
		.amdhsa_exception_fp_ieee_underflow 0
		.amdhsa_exception_fp_ieee_inexact 0
		.amdhsa_exception_int_div_zero 0
	.end_amdhsa_kernel
	.section	.text._ZN7rocprim17ROCPRIM_400000_NS6detail17trampoline_kernelINS0_13select_configILj256ELj13ELNS0_17block_load_methodE3ELS4_3ELS4_3ELNS0_20block_scan_algorithmE0ELj4294967295EEENS1_25partition_config_selectorILNS1_17partition_subalgoE4EjNS0_10empty_typeEbEEZZNS1_14partition_implILS8_4ELb0ES6_15HIP_vector_typeIjLj2EENS0_17counting_iteratorIjlEEPS9_SG_NS0_5tupleIJPjSI_NS0_16reverse_iteratorISI_EEEEENSH_IJSG_SG_SG_EEES9_SI_JZNS1_25segmented_radix_sort_implINS0_14default_configELb1EPK12hip_bfloat16PSP_PKlPlN2at6native12_GLOBAL__N_18offset_tEEE10hipError_tPvRmT1_PNSt15iterator_traitsIS13_E10value_typeET2_T3_PNS14_IS19_E10value_typeET4_jRbjT5_S1F_jjP12ihipStream_tbEUljE_ZNSN_ISO_Lb1ESR_SS_SU_SV_SZ_EES10_S11_S12_S13_S17_S18_S19_S1C_S1D_jS1E_jS1F_S1F_jjS1H_bEUljE0_EEES10_S11_S12_S19_S1D_S1F_T6_T7_T9_mT8_S1H_bDpT10_ENKUlT_T0_E_clISt17integral_constantIbLb1EES1U_IbLb0EEEEDaS1Q_S1R_EUlS1Q_E_NS1_11comp_targetILNS1_3genE4ELNS1_11target_archE910ELNS1_3gpuE8ELNS1_3repE0EEENS1_30default_config_static_selectorELNS0_4arch9wavefront6targetE0EEEvS13_,"axG",@progbits,_ZN7rocprim17ROCPRIM_400000_NS6detail17trampoline_kernelINS0_13select_configILj256ELj13ELNS0_17block_load_methodE3ELS4_3ELS4_3ELNS0_20block_scan_algorithmE0ELj4294967295EEENS1_25partition_config_selectorILNS1_17partition_subalgoE4EjNS0_10empty_typeEbEEZZNS1_14partition_implILS8_4ELb0ES6_15HIP_vector_typeIjLj2EENS0_17counting_iteratorIjlEEPS9_SG_NS0_5tupleIJPjSI_NS0_16reverse_iteratorISI_EEEEENSH_IJSG_SG_SG_EEES9_SI_JZNS1_25segmented_radix_sort_implINS0_14default_configELb1EPK12hip_bfloat16PSP_PKlPlN2at6native12_GLOBAL__N_18offset_tEEE10hipError_tPvRmT1_PNSt15iterator_traitsIS13_E10value_typeET2_T3_PNS14_IS19_E10value_typeET4_jRbjT5_S1F_jjP12ihipStream_tbEUljE_ZNSN_ISO_Lb1ESR_SS_SU_SV_SZ_EES10_S11_S12_S13_S17_S18_S19_S1C_S1D_jS1E_jS1F_S1F_jjS1H_bEUljE0_EEES10_S11_S12_S19_S1D_S1F_T6_T7_T9_mT8_S1H_bDpT10_ENKUlT_T0_E_clISt17integral_constantIbLb1EES1U_IbLb0EEEEDaS1Q_S1R_EUlS1Q_E_NS1_11comp_targetILNS1_3genE4ELNS1_11target_archE910ELNS1_3gpuE8ELNS1_3repE0EEENS1_30default_config_static_selectorELNS0_4arch9wavefront6targetE0EEEvS13_,comdat
.Lfunc_end1900:
	.size	_ZN7rocprim17ROCPRIM_400000_NS6detail17trampoline_kernelINS0_13select_configILj256ELj13ELNS0_17block_load_methodE3ELS4_3ELS4_3ELNS0_20block_scan_algorithmE0ELj4294967295EEENS1_25partition_config_selectorILNS1_17partition_subalgoE4EjNS0_10empty_typeEbEEZZNS1_14partition_implILS8_4ELb0ES6_15HIP_vector_typeIjLj2EENS0_17counting_iteratorIjlEEPS9_SG_NS0_5tupleIJPjSI_NS0_16reverse_iteratorISI_EEEEENSH_IJSG_SG_SG_EEES9_SI_JZNS1_25segmented_radix_sort_implINS0_14default_configELb1EPK12hip_bfloat16PSP_PKlPlN2at6native12_GLOBAL__N_18offset_tEEE10hipError_tPvRmT1_PNSt15iterator_traitsIS13_E10value_typeET2_T3_PNS14_IS19_E10value_typeET4_jRbjT5_S1F_jjP12ihipStream_tbEUljE_ZNSN_ISO_Lb1ESR_SS_SU_SV_SZ_EES10_S11_S12_S13_S17_S18_S19_S1C_S1D_jS1E_jS1F_S1F_jjS1H_bEUljE0_EEES10_S11_S12_S19_S1D_S1F_T6_T7_T9_mT8_S1H_bDpT10_ENKUlT_T0_E_clISt17integral_constantIbLb1EES1U_IbLb0EEEEDaS1Q_S1R_EUlS1Q_E_NS1_11comp_targetILNS1_3genE4ELNS1_11target_archE910ELNS1_3gpuE8ELNS1_3repE0EEENS1_30default_config_static_selectorELNS0_4arch9wavefront6targetE0EEEvS13_, .Lfunc_end1900-_ZN7rocprim17ROCPRIM_400000_NS6detail17trampoline_kernelINS0_13select_configILj256ELj13ELNS0_17block_load_methodE3ELS4_3ELS4_3ELNS0_20block_scan_algorithmE0ELj4294967295EEENS1_25partition_config_selectorILNS1_17partition_subalgoE4EjNS0_10empty_typeEbEEZZNS1_14partition_implILS8_4ELb0ES6_15HIP_vector_typeIjLj2EENS0_17counting_iteratorIjlEEPS9_SG_NS0_5tupleIJPjSI_NS0_16reverse_iteratorISI_EEEEENSH_IJSG_SG_SG_EEES9_SI_JZNS1_25segmented_radix_sort_implINS0_14default_configELb1EPK12hip_bfloat16PSP_PKlPlN2at6native12_GLOBAL__N_18offset_tEEE10hipError_tPvRmT1_PNSt15iterator_traitsIS13_E10value_typeET2_T3_PNS14_IS19_E10value_typeET4_jRbjT5_S1F_jjP12ihipStream_tbEUljE_ZNSN_ISO_Lb1ESR_SS_SU_SV_SZ_EES10_S11_S12_S13_S17_S18_S19_S1C_S1D_jS1E_jS1F_S1F_jjS1H_bEUljE0_EEES10_S11_S12_S19_S1D_S1F_T6_T7_T9_mT8_S1H_bDpT10_ENKUlT_T0_E_clISt17integral_constantIbLb1EES1U_IbLb0EEEEDaS1Q_S1R_EUlS1Q_E_NS1_11comp_targetILNS1_3genE4ELNS1_11target_archE910ELNS1_3gpuE8ELNS1_3repE0EEENS1_30default_config_static_selectorELNS0_4arch9wavefront6targetE0EEEvS13_
                                        ; -- End function
	.set _ZN7rocprim17ROCPRIM_400000_NS6detail17trampoline_kernelINS0_13select_configILj256ELj13ELNS0_17block_load_methodE3ELS4_3ELS4_3ELNS0_20block_scan_algorithmE0ELj4294967295EEENS1_25partition_config_selectorILNS1_17partition_subalgoE4EjNS0_10empty_typeEbEEZZNS1_14partition_implILS8_4ELb0ES6_15HIP_vector_typeIjLj2EENS0_17counting_iteratorIjlEEPS9_SG_NS0_5tupleIJPjSI_NS0_16reverse_iteratorISI_EEEEENSH_IJSG_SG_SG_EEES9_SI_JZNS1_25segmented_radix_sort_implINS0_14default_configELb1EPK12hip_bfloat16PSP_PKlPlN2at6native12_GLOBAL__N_18offset_tEEE10hipError_tPvRmT1_PNSt15iterator_traitsIS13_E10value_typeET2_T3_PNS14_IS19_E10value_typeET4_jRbjT5_S1F_jjP12ihipStream_tbEUljE_ZNSN_ISO_Lb1ESR_SS_SU_SV_SZ_EES10_S11_S12_S13_S17_S18_S19_S1C_S1D_jS1E_jS1F_S1F_jjS1H_bEUljE0_EEES10_S11_S12_S19_S1D_S1F_T6_T7_T9_mT8_S1H_bDpT10_ENKUlT_T0_E_clISt17integral_constantIbLb1EES1U_IbLb0EEEEDaS1Q_S1R_EUlS1Q_E_NS1_11comp_targetILNS1_3genE4ELNS1_11target_archE910ELNS1_3gpuE8ELNS1_3repE0EEENS1_30default_config_static_selectorELNS0_4arch9wavefront6targetE0EEEvS13_.num_vgpr, 0
	.set _ZN7rocprim17ROCPRIM_400000_NS6detail17trampoline_kernelINS0_13select_configILj256ELj13ELNS0_17block_load_methodE3ELS4_3ELS4_3ELNS0_20block_scan_algorithmE0ELj4294967295EEENS1_25partition_config_selectorILNS1_17partition_subalgoE4EjNS0_10empty_typeEbEEZZNS1_14partition_implILS8_4ELb0ES6_15HIP_vector_typeIjLj2EENS0_17counting_iteratorIjlEEPS9_SG_NS0_5tupleIJPjSI_NS0_16reverse_iteratorISI_EEEEENSH_IJSG_SG_SG_EEES9_SI_JZNS1_25segmented_radix_sort_implINS0_14default_configELb1EPK12hip_bfloat16PSP_PKlPlN2at6native12_GLOBAL__N_18offset_tEEE10hipError_tPvRmT1_PNSt15iterator_traitsIS13_E10value_typeET2_T3_PNS14_IS19_E10value_typeET4_jRbjT5_S1F_jjP12ihipStream_tbEUljE_ZNSN_ISO_Lb1ESR_SS_SU_SV_SZ_EES10_S11_S12_S13_S17_S18_S19_S1C_S1D_jS1E_jS1F_S1F_jjS1H_bEUljE0_EEES10_S11_S12_S19_S1D_S1F_T6_T7_T9_mT8_S1H_bDpT10_ENKUlT_T0_E_clISt17integral_constantIbLb1EES1U_IbLb0EEEEDaS1Q_S1R_EUlS1Q_E_NS1_11comp_targetILNS1_3genE4ELNS1_11target_archE910ELNS1_3gpuE8ELNS1_3repE0EEENS1_30default_config_static_selectorELNS0_4arch9wavefront6targetE0EEEvS13_.num_agpr, 0
	.set _ZN7rocprim17ROCPRIM_400000_NS6detail17trampoline_kernelINS0_13select_configILj256ELj13ELNS0_17block_load_methodE3ELS4_3ELS4_3ELNS0_20block_scan_algorithmE0ELj4294967295EEENS1_25partition_config_selectorILNS1_17partition_subalgoE4EjNS0_10empty_typeEbEEZZNS1_14partition_implILS8_4ELb0ES6_15HIP_vector_typeIjLj2EENS0_17counting_iteratorIjlEEPS9_SG_NS0_5tupleIJPjSI_NS0_16reverse_iteratorISI_EEEEENSH_IJSG_SG_SG_EEES9_SI_JZNS1_25segmented_radix_sort_implINS0_14default_configELb1EPK12hip_bfloat16PSP_PKlPlN2at6native12_GLOBAL__N_18offset_tEEE10hipError_tPvRmT1_PNSt15iterator_traitsIS13_E10value_typeET2_T3_PNS14_IS19_E10value_typeET4_jRbjT5_S1F_jjP12ihipStream_tbEUljE_ZNSN_ISO_Lb1ESR_SS_SU_SV_SZ_EES10_S11_S12_S13_S17_S18_S19_S1C_S1D_jS1E_jS1F_S1F_jjS1H_bEUljE0_EEES10_S11_S12_S19_S1D_S1F_T6_T7_T9_mT8_S1H_bDpT10_ENKUlT_T0_E_clISt17integral_constantIbLb1EES1U_IbLb0EEEEDaS1Q_S1R_EUlS1Q_E_NS1_11comp_targetILNS1_3genE4ELNS1_11target_archE910ELNS1_3gpuE8ELNS1_3repE0EEENS1_30default_config_static_selectorELNS0_4arch9wavefront6targetE0EEEvS13_.numbered_sgpr, 0
	.set _ZN7rocprim17ROCPRIM_400000_NS6detail17trampoline_kernelINS0_13select_configILj256ELj13ELNS0_17block_load_methodE3ELS4_3ELS4_3ELNS0_20block_scan_algorithmE0ELj4294967295EEENS1_25partition_config_selectorILNS1_17partition_subalgoE4EjNS0_10empty_typeEbEEZZNS1_14partition_implILS8_4ELb0ES6_15HIP_vector_typeIjLj2EENS0_17counting_iteratorIjlEEPS9_SG_NS0_5tupleIJPjSI_NS0_16reverse_iteratorISI_EEEEENSH_IJSG_SG_SG_EEES9_SI_JZNS1_25segmented_radix_sort_implINS0_14default_configELb1EPK12hip_bfloat16PSP_PKlPlN2at6native12_GLOBAL__N_18offset_tEEE10hipError_tPvRmT1_PNSt15iterator_traitsIS13_E10value_typeET2_T3_PNS14_IS19_E10value_typeET4_jRbjT5_S1F_jjP12ihipStream_tbEUljE_ZNSN_ISO_Lb1ESR_SS_SU_SV_SZ_EES10_S11_S12_S13_S17_S18_S19_S1C_S1D_jS1E_jS1F_S1F_jjS1H_bEUljE0_EEES10_S11_S12_S19_S1D_S1F_T6_T7_T9_mT8_S1H_bDpT10_ENKUlT_T0_E_clISt17integral_constantIbLb1EES1U_IbLb0EEEEDaS1Q_S1R_EUlS1Q_E_NS1_11comp_targetILNS1_3genE4ELNS1_11target_archE910ELNS1_3gpuE8ELNS1_3repE0EEENS1_30default_config_static_selectorELNS0_4arch9wavefront6targetE0EEEvS13_.num_named_barrier, 0
	.set _ZN7rocprim17ROCPRIM_400000_NS6detail17trampoline_kernelINS0_13select_configILj256ELj13ELNS0_17block_load_methodE3ELS4_3ELS4_3ELNS0_20block_scan_algorithmE0ELj4294967295EEENS1_25partition_config_selectorILNS1_17partition_subalgoE4EjNS0_10empty_typeEbEEZZNS1_14partition_implILS8_4ELb0ES6_15HIP_vector_typeIjLj2EENS0_17counting_iteratorIjlEEPS9_SG_NS0_5tupleIJPjSI_NS0_16reverse_iteratorISI_EEEEENSH_IJSG_SG_SG_EEES9_SI_JZNS1_25segmented_radix_sort_implINS0_14default_configELb1EPK12hip_bfloat16PSP_PKlPlN2at6native12_GLOBAL__N_18offset_tEEE10hipError_tPvRmT1_PNSt15iterator_traitsIS13_E10value_typeET2_T3_PNS14_IS19_E10value_typeET4_jRbjT5_S1F_jjP12ihipStream_tbEUljE_ZNSN_ISO_Lb1ESR_SS_SU_SV_SZ_EES10_S11_S12_S13_S17_S18_S19_S1C_S1D_jS1E_jS1F_S1F_jjS1H_bEUljE0_EEES10_S11_S12_S19_S1D_S1F_T6_T7_T9_mT8_S1H_bDpT10_ENKUlT_T0_E_clISt17integral_constantIbLb1EES1U_IbLb0EEEEDaS1Q_S1R_EUlS1Q_E_NS1_11comp_targetILNS1_3genE4ELNS1_11target_archE910ELNS1_3gpuE8ELNS1_3repE0EEENS1_30default_config_static_selectorELNS0_4arch9wavefront6targetE0EEEvS13_.private_seg_size, 0
	.set _ZN7rocprim17ROCPRIM_400000_NS6detail17trampoline_kernelINS0_13select_configILj256ELj13ELNS0_17block_load_methodE3ELS4_3ELS4_3ELNS0_20block_scan_algorithmE0ELj4294967295EEENS1_25partition_config_selectorILNS1_17partition_subalgoE4EjNS0_10empty_typeEbEEZZNS1_14partition_implILS8_4ELb0ES6_15HIP_vector_typeIjLj2EENS0_17counting_iteratorIjlEEPS9_SG_NS0_5tupleIJPjSI_NS0_16reverse_iteratorISI_EEEEENSH_IJSG_SG_SG_EEES9_SI_JZNS1_25segmented_radix_sort_implINS0_14default_configELb1EPK12hip_bfloat16PSP_PKlPlN2at6native12_GLOBAL__N_18offset_tEEE10hipError_tPvRmT1_PNSt15iterator_traitsIS13_E10value_typeET2_T3_PNS14_IS19_E10value_typeET4_jRbjT5_S1F_jjP12ihipStream_tbEUljE_ZNSN_ISO_Lb1ESR_SS_SU_SV_SZ_EES10_S11_S12_S13_S17_S18_S19_S1C_S1D_jS1E_jS1F_S1F_jjS1H_bEUljE0_EEES10_S11_S12_S19_S1D_S1F_T6_T7_T9_mT8_S1H_bDpT10_ENKUlT_T0_E_clISt17integral_constantIbLb1EES1U_IbLb0EEEEDaS1Q_S1R_EUlS1Q_E_NS1_11comp_targetILNS1_3genE4ELNS1_11target_archE910ELNS1_3gpuE8ELNS1_3repE0EEENS1_30default_config_static_selectorELNS0_4arch9wavefront6targetE0EEEvS13_.uses_vcc, 0
	.set _ZN7rocprim17ROCPRIM_400000_NS6detail17trampoline_kernelINS0_13select_configILj256ELj13ELNS0_17block_load_methodE3ELS4_3ELS4_3ELNS0_20block_scan_algorithmE0ELj4294967295EEENS1_25partition_config_selectorILNS1_17partition_subalgoE4EjNS0_10empty_typeEbEEZZNS1_14partition_implILS8_4ELb0ES6_15HIP_vector_typeIjLj2EENS0_17counting_iteratorIjlEEPS9_SG_NS0_5tupleIJPjSI_NS0_16reverse_iteratorISI_EEEEENSH_IJSG_SG_SG_EEES9_SI_JZNS1_25segmented_radix_sort_implINS0_14default_configELb1EPK12hip_bfloat16PSP_PKlPlN2at6native12_GLOBAL__N_18offset_tEEE10hipError_tPvRmT1_PNSt15iterator_traitsIS13_E10value_typeET2_T3_PNS14_IS19_E10value_typeET4_jRbjT5_S1F_jjP12ihipStream_tbEUljE_ZNSN_ISO_Lb1ESR_SS_SU_SV_SZ_EES10_S11_S12_S13_S17_S18_S19_S1C_S1D_jS1E_jS1F_S1F_jjS1H_bEUljE0_EEES10_S11_S12_S19_S1D_S1F_T6_T7_T9_mT8_S1H_bDpT10_ENKUlT_T0_E_clISt17integral_constantIbLb1EES1U_IbLb0EEEEDaS1Q_S1R_EUlS1Q_E_NS1_11comp_targetILNS1_3genE4ELNS1_11target_archE910ELNS1_3gpuE8ELNS1_3repE0EEENS1_30default_config_static_selectorELNS0_4arch9wavefront6targetE0EEEvS13_.uses_flat_scratch, 0
	.set _ZN7rocprim17ROCPRIM_400000_NS6detail17trampoline_kernelINS0_13select_configILj256ELj13ELNS0_17block_load_methodE3ELS4_3ELS4_3ELNS0_20block_scan_algorithmE0ELj4294967295EEENS1_25partition_config_selectorILNS1_17partition_subalgoE4EjNS0_10empty_typeEbEEZZNS1_14partition_implILS8_4ELb0ES6_15HIP_vector_typeIjLj2EENS0_17counting_iteratorIjlEEPS9_SG_NS0_5tupleIJPjSI_NS0_16reverse_iteratorISI_EEEEENSH_IJSG_SG_SG_EEES9_SI_JZNS1_25segmented_radix_sort_implINS0_14default_configELb1EPK12hip_bfloat16PSP_PKlPlN2at6native12_GLOBAL__N_18offset_tEEE10hipError_tPvRmT1_PNSt15iterator_traitsIS13_E10value_typeET2_T3_PNS14_IS19_E10value_typeET4_jRbjT5_S1F_jjP12ihipStream_tbEUljE_ZNSN_ISO_Lb1ESR_SS_SU_SV_SZ_EES10_S11_S12_S13_S17_S18_S19_S1C_S1D_jS1E_jS1F_S1F_jjS1H_bEUljE0_EEES10_S11_S12_S19_S1D_S1F_T6_T7_T9_mT8_S1H_bDpT10_ENKUlT_T0_E_clISt17integral_constantIbLb1EES1U_IbLb0EEEEDaS1Q_S1R_EUlS1Q_E_NS1_11comp_targetILNS1_3genE4ELNS1_11target_archE910ELNS1_3gpuE8ELNS1_3repE0EEENS1_30default_config_static_selectorELNS0_4arch9wavefront6targetE0EEEvS13_.has_dyn_sized_stack, 0
	.set _ZN7rocprim17ROCPRIM_400000_NS6detail17trampoline_kernelINS0_13select_configILj256ELj13ELNS0_17block_load_methodE3ELS4_3ELS4_3ELNS0_20block_scan_algorithmE0ELj4294967295EEENS1_25partition_config_selectorILNS1_17partition_subalgoE4EjNS0_10empty_typeEbEEZZNS1_14partition_implILS8_4ELb0ES6_15HIP_vector_typeIjLj2EENS0_17counting_iteratorIjlEEPS9_SG_NS0_5tupleIJPjSI_NS0_16reverse_iteratorISI_EEEEENSH_IJSG_SG_SG_EEES9_SI_JZNS1_25segmented_radix_sort_implINS0_14default_configELb1EPK12hip_bfloat16PSP_PKlPlN2at6native12_GLOBAL__N_18offset_tEEE10hipError_tPvRmT1_PNSt15iterator_traitsIS13_E10value_typeET2_T3_PNS14_IS19_E10value_typeET4_jRbjT5_S1F_jjP12ihipStream_tbEUljE_ZNSN_ISO_Lb1ESR_SS_SU_SV_SZ_EES10_S11_S12_S13_S17_S18_S19_S1C_S1D_jS1E_jS1F_S1F_jjS1H_bEUljE0_EEES10_S11_S12_S19_S1D_S1F_T6_T7_T9_mT8_S1H_bDpT10_ENKUlT_T0_E_clISt17integral_constantIbLb1EES1U_IbLb0EEEEDaS1Q_S1R_EUlS1Q_E_NS1_11comp_targetILNS1_3genE4ELNS1_11target_archE910ELNS1_3gpuE8ELNS1_3repE0EEENS1_30default_config_static_selectorELNS0_4arch9wavefront6targetE0EEEvS13_.has_recursion, 0
	.set _ZN7rocprim17ROCPRIM_400000_NS6detail17trampoline_kernelINS0_13select_configILj256ELj13ELNS0_17block_load_methodE3ELS4_3ELS4_3ELNS0_20block_scan_algorithmE0ELj4294967295EEENS1_25partition_config_selectorILNS1_17partition_subalgoE4EjNS0_10empty_typeEbEEZZNS1_14partition_implILS8_4ELb0ES6_15HIP_vector_typeIjLj2EENS0_17counting_iteratorIjlEEPS9_SG_NS0_5tupleIJPjSI_NS0_16reverse_iteratorISI_EEEEENSH_IJSG_SG_SG_EEES9_SI_JZNS1_25segmented_radix_sort_implINS0_14default_configELb1EPK12hip_bfloat16PSP_PKlPlN2at6native12_GLOBAL__N_18offset_tEEE10hipError_tPvRmT1_PNSt15iterator_traitsIS13_E10value_typeET2_T3_PNS14_IS19_E10value_typeET4_jRbjT5_S1F_jjP12ihipStream_tbEUljE_ZNSN_ISO_Lb1ESR_SS_SU_SV_SZ_EES10_S11_S12_S13_S17_S18_S19_S1C_S1D_jS1E_jS1F_S1F_jjS1H_bEUljE0_EEES10_S11_S12_S19_S1D_S1F_T6_T7_T9_mT8_S1H_bDpT10_ENKUlT_T0_E_clISt17integral_constantIbLb1EES1U_IbLb0EEEEDaS1Q_S1R_EUlS1Q_E_NS1_11comp_targetILNS1_3genE4ELNS1_11target_archE910ELNS1_3gpuE8ELNS1_3repE0EEENS1_30default_config_static_selectorELNS0_4arch9wavefront6targetE0EEEvS13_.has_indirect_call, 0
	.section	.AMDGPU.csdata,"",@progbits
; Kernel info:
; codeLenInByte = 0
; TotalNumSgprs: 0
; NumVgprs: 0
; ScratchSize: 0
; MemoryBound: 0
; FloatMode: 240
; IeeeMode: 1
; LDSByteSize: 0 bytes/workgroup (compile time only)
; SGPRBlocks: 0
; VGPRBlocks: 0
; NumSGPRsForWavesPerEU: 1
; NumVGPRsForWavesPerEU: 1
; Occupancy: 16
; WaveLimiterHint : 0
; COMPUTE_PGM_RSRC2:SCRATCH_EN: 0
; COMPUTE_PGM_RSRC2:USER_SGPR: 2
; COMPUTE_PGM_RSRC2:TRAP_HANDLER: 0
; COMPUTE_PGM_RSRC2:TGID_X_EN: 1
; COMPUTE_PGM_RSRC2:TGID_Y_EN: 0
; COMPUTE_PGM_RSRC2:TGID_Z_EN: 0
; COMPUTE_PGM_RSRC2:TIDIG_COMP_CNT: 0
	.section	.text._ZN7rocprim17ROCPRIM_400000_NS6detail17trampoline_kernelINS0_13select_configILj256ELj13ELNS0_17block_load_methodE3ELS4_3ELS4_3ELNS0_20block_scan_algorithmE0ELj4294967295EEENS1_25partition_config_selectorILNS1_17partition_subalgoE4EjNS0_10empty_typeEbEEZZNS1_14partition_implILS8_4ELb0ES6_15HIP_vector_typeIjLj2EENS0_17counting_iteratorIjlEEPS9_SG_NS0_5tupleIJPjSI_NS0_16reverse_iteratorISI_EEEEENSH_IJSG_SG_SG_EEES9_SI_JZNS1_25segmented_radix_sort_implINS0_14default_configELb1EPK12hip_bfloat16PSP_PKlPlN2at6native12_GLOBAL__N_18offset_tEEE10hipError_tPvRmT1_PNSt15iterator_traitsIS13_E10value_typeET2_T3_PNS14_IS19_E10value_typeET4_jRbjT5_S1F_jjP12ihipStream_tbEUljE_ZNSN_ISO_Lb1ESR_SS_SU_SV_SZ_EES10_S11_S12_S13_S17_S18_S19_S1C_S1D_jS1E_jS1F_S1F_jjS1H_bEUljE0_EEES10_S11_S12_S19_S1D_S1F_T6_T7_T9_mT8_S1H_bDpT10_ENKUlT_T0_E_clISt17integral_constantIbLb1EES1U_IbLb0EEEEDaS1Q_S1R_EUlS1Q_E_NS1_11comp_targetILNS1_3genE3ELNS1_11target_archE908ELNS1_3gpuE7ELNS1_3repE0EEENS1_30default_config_static_selectorELNS0_4arch9wavefront6targetE0EEEvS13_,"axG",@progbits,_ZN7rocprim17ROCPRIM_400000_NS6detail17trampoline_kernelINS0_13select_configILj256ELj13ELNS0_17block_load_methodE3ELS4_3ELS4_3ELNS0_20block_scan_algorithmE0ELj4294967295EEENS1_25partition_config_selectorILNS1_17partition_subalgoE4EjNS0_10empty_typeEbEEZZNS1_14partition_implILS8_4ELb0ES6_15HIP_vector_typeIjLj2EENS0_17counting_iteratorIjlEEPS9_SG_NS0_5tupleIJPjSI_NS0_16reverse_iteratorISI_EEEEENSH_IJSG_SG_SG_EEES9_SI_JZNS1_25segmented_radix_sort_implINS0_14default_configELb1EPK12hip_bfloat16PSP_PKlPlN2at6native12_GLOBAL__N_18offset_tEEE10hipError_tPvRmT1_PNSt15iterator_traitsIS13_E10value_typeET2_T3_PNS14_IS19_E10value_typeET4_jRbjT5_S1F_jjP12ihipStream_tbEUljE_ZNSN_ISO_Lb1ESR_SS_SU_SV_SZ_EES10_S11_S12_S13_S17_S18_S19_S1C_S1D_jS1E_jS1F_S1F_jjS1H_bEUljE0_EEES10_S11_S12_S19_S1D_S1F_T6_T7_T9_mT8_S1H_bDpT10_ENKUlT_T0_E_clISt17integral_constantIbLb1EES1U_IbLb0EEEEDaS1Q_S1R_EUlS1Q_E_NS1_11comp_targetILNS1_3genE3ELNS1_11target_archE908ELNS1_3gpuE7ELNS1_3repE0EEENS1_30default_config_static_selectorELNS0_4arch9wavefront6targetE0EEEvS13_,comdat
	.globl	_ZN7rocprim17ROCPRIM_400000_NS6detail17trampoline_kernelINS0_13select_configILj256ELj13ELNS0_17block_load_methodE3ELS4_3ELS4_3ELNS0_20block_scan_algorithmE0ELj4294967295EEENS1_25partition_config_selectorILNS1_17partition_subalgoE4EjNS0_10empty_typeEbEEZZNS1_14partition_implILS8_4ELb0ES6_15HIP_vector_typeIjLj2EENS0_17counting_iteratorIjlEEPS9_SG_NS0_5tupleIJPjSI_NS0_16reverse_iteratorISI_EEEEENSH_IJSG_SG_SG_EEES9_SI_JZNS1_25segmented_radix_sort_implINS0_14default_configELb1EPK12hip_bfloat16PSP_PKlPlN2at6native12_GLOBAL__N_18offset_tEEE10hipError_tPvRmT1_PNSt15iterator_traitsIS13_E10value_typeET2_T3_PNS14_IS19_E10value_typeET4_jRbjT5_S1F_jjP12ihipStream_tbEUljE_ZNSN_ISO_Lb1ESR_SS_SU_SV_SZ_EES10_S11_S12_S13_S17_S18_S19_S1C_S1D_jS1E_jS1F_S1F_jjS1H_bEUljE0_EEES10_S11_S12_S19_S1D_S1F_T6_T7_T9_mT8_S1H_bDpT10_ENKUlT_T0_E_clISt17integral_constantIbLb1EES1U_IbLb0EEEEDaS1Q_S1R_EUlS1Q_E_NS1_11comp_targetILNS1_3genE3ELNS1_11target_archE908ELNS1_3gpuE7ELNS1_3repE0EEENS1_30default_config_static_selectorELNS0_4arch9wavefront6targetE0EEEvS13_ ; -- Begin function _ZN7rocprim17ROCPRIM_400000_NS6detail17trampoline_kernelINS0_13select_configILj256ELj13ELNS0_17block_load_methodE3ELS4_3ELS4_3ELNS0_20block_scan_algorithmE0ELj4294967295EEENS1_25partition_config_selectorILNS1_17partition_subalgoE4EjNS0_10empty_typeEbEEZZNS1_14partition_implILS8_4ELb0ES6_15HIP_vector_typeIjLj2EENS0_17counting_iteratorIjlEEPS9_SG_NS0_5tupleIJPjSI_NS0_16reverse_iteratorISI_EEEEENSH_IJSG_SG_SG_EEES9_SI_JZNS1_25segmented_radix_sort_implINS0_14default_configELb1EPK12hip_bfloat16PSP_PKlPlN2at6native12_GLOBAL__N_18offset_tEEE10hipError_tPvRmT1_PNSt15iterator_traitsIS13_E10value_typeET2_T3_PNS14_IS19_E10value_typeET4_jRbjT5_S1F_jjP12ihipStream_tbEUljE_ZNSN_ISO_Lb1ESR_SS_SU_SV_SZ_EES10_S11_S12_S13_S17_S18_S19_S1C_S1D_jS1E_jS1F_S1F_jjS1H_bEUljE0_EEES10_S11_S12_S19_S1D_S1F_T6_T7_T9_mT8_S1H_bDpT10_ENKUlT_T0_E_clISt17integral_constantIbLb1EES1U_IbLb0EEEEDaS1Q_S1R_EUlS1Q_E_NS1_11comp_targetILNS1_3genE3ELNS1_11target_archE908ELNS1_3gpuE7ELNS1_3repE0EEENS1_30default_config_static_selectorELNS0_4arch9wavefront6targetE0EEEvS13_
	.p2align	8
	.type	_ZN7rocprim17ROCPRIM_400000_NS6detail17trampoline_kernelINS0_13select_configILj256ELj13ELNS0_17block_load_methodE3ELS4_3ELS4_3ELNS0_20block_scan_algorithmE0ELj4294967295EEENS1_25partition_config_selectorILNS1_17partition_subalgoE4EjNS0_10empty_typeEbEEZZNS1_14partition_implILS8_4ELb0ES6_15HIP_vector_typeIjLj2EENS0_17counting_iteratorIjlEEPS9_SG_NS0_5tupleIJPjSI_NS0_16reverse_iteratorISI_EEEEENSH_IJSG_SG_SG_EEES9_SI_JZNS1_25segmented_radix_sort_implINS0_14default_configELb1EPK12hip_bfloat16PSP_PKlPlN2at6native12_GLOBAL__N_18offset_tEEE10hipError_tPvRmT1_PNSt15iterator_traitsIS13_E10value_typeET2_T3_PNS14_IS19_E10value_typeET4_jRbjT5_S1F_jjP12ihipStream_tbEUljE_ZNSN_ISO_Lb1ESR_SS_SU_SV_SZ_EES10_S11_S12_S13_S17_S18_S19_S1C_S1D_jS1E_jS1F_S1F_jjS1H_bEUljE0_EEES10_S11_S12_S19_S1D_S1F_T6_T7_T9_mT8_S1H_bDpT10_ENKUlT_T0_E_clISt17integral_constantIbLb1EES1U_IbLb0EEEEDaS1Q_S1R_EUlS1Q_E_NS1_11comp_targetILNS1_3genE3ELNS1_11target_archE908ELNS1_3gpuE7ELNS1_3repE0EEENS1_30default_config_static_selectorELNS0_4arch9wavefront6targetE0EEEvS13_,@function
_ZN7rocprim17ROCPRIM_400000_NS6detail17trampoline_kernelINS0_13select_configILj256ELj13ELNS0_17block_load_methodE3ELS4_3ELS4_3ELNS0_20block_scan_algorithmE0ELj4294967295EEENS1_25partition_config_selectorILNS1_17partition_subalgoE4EjNS0_10empty_typeEbEEZZNS1_14partition_implILS8_4ELb0ES6_15HIP_vector_typeIjLj2EENS0_17counting_iteratorIjlEEPS9_SG_NS0_5tupleIJPjSI_NS0_16reverse_iteratorISI_EEEEENSH_IJSG_SG_SG_EEES9_SI_JZNS1_25segmented_radix_sort_implINS0_14default_configELb1EPK12hip_bfloat16PSP_PKlPlN2at6native12_GLOBAL__N_18offset_tEEE10hipError_tPvRmT1_PNSt15iterator_traitsIS13_E10value_typeET2_T3_PNS14_IS19_E10value_typeET4_jRbjT5_S1F_jjP12ihipStream_tbEUljE_ZNSN_ISO_Lb1ESR_SS_SU_SV_SZ_EES10_S11_S12_S13_S17_S18_S19_S1C_S1D_jS1E_jS1F_S1F_jjS1H_bEUljE0_EEES10_S11_S12_S19_S1D_S1F_T6_T7_T9_mT8_S1H_bDpT10_ENKUlT_T0_E_clISt17integral_constantIbLb1EES1U_IbLb0EEEEDaS1Q_S1R_EUlS1Q_E_NS1_11comp_targetILNS1_3genE3ELNS1_11target_archE908ELNS1_3gpuE7ELNS1_3repE0EEENS1_30default_config_static_selectorELNS0_4arch9wavefront6targetE0EEEvS13_: ; @_ZN7rocprim17ROCPRIM_400000_NS6detail17trampoline_kernelINS0_13select_configILj256ELj13ELNS0_17block_load_methodE3ELS4_3ELS4_3ELNS0_20block_scan_algorithmE0ELj4294967295EEENS1_25partition_config_selectorILNS1_17partition_subalgoE4EjNS0_10empty_typeEbEEZZNS1_14partition_implILS8_4ELb0ES6_15HIP_vector_typeIjLj2EENS0_17counting_iteratorIjlEEPS9_SG_NS0_5tupleIJPjSI_NS0_16reverse_iteratorISI_EEEEENSH_IJSG_SG_SG_EEES9_SI_JZNS1_25segmented_radix_sort_implINS0_14default_configELb1EPK12hip_bfloat16PSP_PKlPlN2at6native12_GLOBAL__N_18offset_tEEE10hipError_tPvRmT1_PNSt15iterator_traitsIS13_E10value_typeET2_T3_PNS14_IS19_E10value_typeET4_jRbjT5_S1F_jjP12ihipStream_tbEUljE_ZNSN_ISO_Lb1ESR_SS_SU_SV_SZ_EES10_S11_S12_S13_S17_S18_S19_S1C_S1D_jS1E_jS1F_S1F_jjS1H_bEUljE0_EEES10_S11_S12_S19_S1D_S1F_T6_T7_T9_mT8_S1H_bDpT10_ENKUlT_T0_E_clISt17integral_constantIbLb1EES1U_IbLb0EEEEDaS1Q_S1R_EUlS1Q_E_NS1_11comp_targetILNS1_3genE3ELNS1_11target_archE908ELNS1_3gpuE7ELNS1_3repE0EEENS1_30default_config_static_selectorELNS0_4arch9wavefront6targetE0EEEvS13_
; %bb.0:
	.section	.rodata,"a",@progbits
	.p2align	6, 0x0
	.amdhsa_kernel _ZN7rocprim17ROCPRIM_400000_NS6detail17trampoline_kernelINS0_13select_configILj256ELj13ELNS0_17block_load_methodE3ELS4_3ELS4_3ELNS0_20block_scan_algorithmE0ELj4294967295EEENS1_25partition_config_selectorILNS1_17partition_subalgoE4EjNS0_10empty_typeEbEEZZNS1_14partition_implILS8_4ELb0ES6_15HIP_vector_typeIjLj2EENS0_17counting_iteratorIjlEEPS9_SG_NS0_5tupleIJPjSI_NS0_16reverse_iteratorISI_EEEEENSH_IJSG_SG_SG_EEES9_SI_JZNS1_25segmented_radix_sort_implINS0_14default_configELb1EPK12hip_bfloat16PSP_PKlPlN2at6native12_GLOBAL__N_18offset_tEEE10hipError_tPvRmT1_PNSt15iterator_traitsIS13_E10value_typeET2_T3_PNS14_IS19_E10value_typeET4_jRbjT5_S1F_jjP12ihipStream_tbEUljE_ZNSN_ISO_Lb1ESR_SS_SU_SV_SZ_EES10_S11_S12_S13_S17_S18_S19_S1C_S1D_jS1E_jS1F_S1F_jjS1H_bEUljE0_EEES10_S11_S12_S19_S1D_S1F_T6_T7_T9_mT8_S1H_bDpT10_ENKUlT_T0_E_clISt17integral_constantIbLb1EES1U_IbLb0EEEEDaS1Q_S1R_EUlS1Q_E_NS1_11comp_targetILNS1_3genE3ELNS1_11target_archE908ELNS1_3gpuE7ELNS1_3repE0EEENS1_30default_config_static_selectorELNS0_4arch9wavefront6targetE0EEEvS13_
		.amdhsa_group_segment_fixed_size 0
		.amdhsa_private_segment_fixed_size 0
		.amdhsa_kernarg_size 176
		.amdhsa_user_sgpr_count 2
		.amdhsa_user_sgpr_dispatch_ptr 0
		.amdhsa_user_sgpr_queue_ptr 0
		.amdhsa_user_sgpr_kernarg_segment_ptr 1
		.amdhsa_user_sgpr_dispatch_id 0
		.amdhsa_user_sgpr_private_segment_size 0
		.amdhsa_wavefront_size32 1
		.amdhsa_uses_dynamic_stack 0
		.amdhsa_enable_private_segment 0
		.amdhsa_system_sgpr_workgroup_id_x 1
		.amdhsa_system_sgpr_workgroup_id_y 0
		.amdhsa_system_sgpr_workgroup_id_z 0
		.amdhsa_system_sgpr_workgroup_info 0
		.amdhsa_system_vgpr_workitem_id 0
		.amdhsa_next_free_vgpr 1
		.amdhsa_next_free_sgpr 1
		.amdhsa_reserve_vcc 0
		.amdhsa_float_round_mode_32 0
		.amdhsa_float_round_mode_16_64 0
		.amdhsa_float_denorm_mode_32 3
		.amdhsa_float_denorm_mode_16_64 3
		.amdhsa_fp16_overflow 0
		.amdhsa_workgroup_processor_mode 1
		.amdhsa_memory_ordered 1
		.amdhsa_forward_progress 1
		.amdhsa_inst_pref_size 0
		.amdhsa_round_robin_scheduling 0
		.amdhsa_exception_fp_ieee_invalid_op 0
		.amdhsa_exception_fp_denorm_src 0
		.amdhsa_exception_fp_ieee_div_zero 0
		.amdhsa_exception_fp_ieee_overflow 0
		.amdhsa_exception_fp_ieee_underflow 0
		.amdhsa_exception_fp_ieee_inexact 0
		.amdhsa_exception_int_div_zero 0
	.end_amdhsa_kernel
	.section	.text._ZN7rocprim17ROCPRIM_400000_NS6detail17trampoline_kernelINS0_13select_configILj256ELj13ELNS0_17block_load_methodE3ELS4_3ELS4_3ELNS0_20block_scan_algorithmE0ELj4294967295EEENS1_25partition_config_selectorILNS1_17partition_subalgoE4EjNS0_10empty_typeEbEEZZNS1_14partition_implILS8_4ELb0ES6_15HIP_vector_typeIjLj2EENS0_17counting_iteratorIjlEEPS9_SG_NS0_5tupleIJPjSI_NS0_16reverse_iteratorISI_EEEEENSH_IJSG_SG_SG_EEES9_SI_JZNS1_25segmented_radix_sort_implINS0_14default_configELb1EPK12hip_bfloat16PSP_PKlPlN2at6native12_GLOBAL__N_18offset_tEEE10hipError_tPvRmT1_PNSt15iterator_traitsIS13_E10value_typeET2_T3_PNS14_IS19_E10value_typeET4_jRbjT5_S1F_jjP12ihipStream_tbEUljE_ZNSN_ISO_Lb1ESR_SS_SU_SV_SZ_EES10_S11_S12_S13_S17_S18_S19_S1C_S1D_jS1E_jS1F_S1F_jjS1H_bEUljE0_EEES10_S11_S12_S19_S1D_S1F_T6_T7_T9_mT8_S1H_bDpT10_ENKUlT_T0_E_clISt17integral_constantIbLb1EES1U_IbLb0EEEEDaS1Q_S1R_EUlS1Q_E_NS1_11comp_targetILNS1_3genE3ELNS1_11target_archE908ELNS1_3gpuE7ELNS1_3repE0EEENS1_30default_config_static_selectorELNS0_4arch9wavefront6targetE0EEEvS13_,"axG",@progbits,_ZN7rocprim17ROCPRIM_400000_NS6detail17trampoline_kernelINS0_13select_configILj256ELj13ELNS0_17block_load_methodE3ELS4_3ELS4_3ELNS0_20block_scan_algorithmE0ELj4294967295EEENS1_25partition_config_selectorILNS1_17partition_subalgoE4EjNS0_10empty_typeEbEEZZNS1_14partition_implILS8_4ELb0ES6_15HIP_vector_typeIjLj2EENS0_17counting_iteratorIjlEEPS9_SG_NS0_5tupleIJPjSI_NS0_16reverse_iteratorISI_EEEEENSH_IJSG_SG_SG_EEES9_SI_JZNS1_25segmented_radix_sort_implINS0_14default_configELb1EPK12hip_bfloat16PSP_PKlPlN2at6native12_GLOBAL__N_18offset_tEEE10hipError_tPvRmT1_PNSt15iterator_traitsIS13_E10value_typeET2_T3_PNS14_IS19_E10value_typeET4_jRbjT5_S1F_jjP12ihipStream_tbEUljE_ZNSN_ISO_Lb1ESR_SS_SU_SV_SZ_EES10_S11_S12_S13_S17_S18_S19_S1C_S1D_jS1E_jS1F_S1F_jjS1H_bEUljE0_EEES10_S11_S12_S19_S1D_S1F_T6_T7_T9_mT8_S1H_bDpT10_ENKUlT_T0_E_clISt17integral_constantIbLb1EES1U_IbLb0EEEEDaS1Q_S1R_EUlS1Q_E_NS1_11comp_targetILNS1_3genE3ELNS1_11target_archE908ELNS1_3gpuE7ELNS1_3repE0EEENS1_30default_config_static_selectorELNS0_4arch9wavefront6targetE0EEEvS13_,comdat
.Lfunc_end1901:
	.size	_ZN7rocprim17ROCPRIM_400000_NS6detail17trampoline_kernelINS0_13select_configILj256ELj13ELNS0_17block_load_methodE3ELS4_3ELS4_3ELNS0_20block_scan_algorithmE0ELj4294967295EEENS1_25partition_config_selectorILNS1_17partition_subalgoE4EjNS0_10empty_typeEbEEZZNS1_14partition_implILS8_4ELb0ES6_15HIP_vector_typeIjLj2EENS0_17counting_iteratorIjlEEPS9_SG_NS0_5tupleIJPjSI_NS0_16reverse_iteratorISI_EEEEENSH_IJSG_SG_SG_EEES9_SI_JZNS1_25segmented_radix_sort_implINS0_14default_configELb1EPK12hip_bfloat16PSP_PKlPlN2at6native12_GLOBAL__N_18offset_tEEE10hipError_tPvRmT1_PNSt15iterator_traitsIS13_E10value_typeET2_T3_PNS14_IS19_E10value_typeET4_jRbjT5_S1F_jjP12ihipStream_tbEUljE_ZNSN_ISO_Lb1ESR_SS_SU_SV_SZ_EES10_S11_S12_S13_S17_S18_S19_S1C_S1D_jS1E_jS1F_S1F_jjS1H_bEUljE0_EEES10_S11_S12_S19_S1D_S1F_T6_T7_T9_mT8_S1H_bDpT10_ENKUlT_T0_E_clISt17integral_constantIbLb1EES1U_IbLb0EEEEDaS1Q_S1R_EUlS1Q_E_NS1_11comp_targetILNS1_3genE3ELNS1_11target_archE908ELNS1_3gpuE7ELNS1_3repE0EEENS1_30default_config_static_selectorELNS0_4arch9wavefront6targetE0EEEvS13_, .Lfunc_end1901-_ZN7rocprim17ROCPRIM_400000_NS6detail17trampoline_kernelINS0_13select_configILj256ELj13ELNS0_17block_load_methodE3ELS4_3ELS4_3ELNS0_20block_scan_algorithmE0ELj4294967295EEENS1_25partition_config_selectorILNS1_17partition_subalgoE4EjNS0_10empty_typeEbEEZZNS1_14partition_implILS8_4ELb0ES6_15HIP_vector_typeIjLj2EENS0_17counting_iteratorIjlEEPS9_SG_NS0_5tupleIJPjSI_NS0_16reverse_iteratorISI_EEEEENSH_IJSG_SG_SG_EEES9_SI_JZNS1_25segmented_radix_sort_implINS0_14default_configELb1EPK12hip_bfloat16PSP_PKlPlN2at6native12_GLOBAL__N_18offset_tEEE10hipError_tPvRmT1_PNSt15iterator_traitsIS13_E10value_typeET2_T3_PNS14_IS19_E10value_typeET4_jRbjT5_S1F_jjP12ihipStream_tbEUljE_ZNSN_ISO_Lb1ESR_SS_SU_SV_SZ_EES10_S11_S12_S13_S17_S18_S19_S1C_S1D_jS1E_jS1F_S1F_jjS1H_bEUljE0_EEES10_S11_S12_S19_S1D_S1F_T6_T7_T9_mT8_S1H_bDpT10_ENKUlT_T0_E_clISt17integral_constantIbLb1EES1U_IbLb0EEEEDaS1Q_S1R_EUlS1Q_E_NS1_11comp_targetILNS1_3genE3ELNS1_11target_archE908ELNS1_3gpuE7ELNS1_3repE0EEENS1_30default_config_static_selectorELNS0_4arch9wavefront6targetE0EEEvS13_
                                        ; -- End function
	.set _ZN7rocprim17ROCPRIM_400000_NS6detail17trampoline_kernelINS0_13select_configILj256ELj13ELNS0_17block_load_methodE3ELS4_3ELS4_3ELNS0_20block_scan_algorithmE0ELj4294967295EEENS1_25partition_config_selectorILNS1_17partition_subalgoE4EjNS0_10empty_typeEbEEZZNS1_14partition_implILS8_4ELb0ES6_15HIP_vector_typeIjLj2EENS0_17counting_iteratorIjlEEPS9_SG_NS0_5tupleIJPjSI_NS0_16reverse_iteratorISI_EEEEENSH_IJSG_SG_SG_EEES9_SI_JZNS1_25segmented_radix_sort_implINS0_14default_configELb1EPK12hip_bfloat16PSP_PKlPlN2at6native12_GLOBAL__N_18offset_tEEE10hipError_tPvRmT1_PNSt15iterator_traitsIS13_E10value_typeET2_T3_PNS14_IS19_E10value_typeET4_jRbjT5_S1F_jjP12ihipStream_tbEUljE_ZNSN_ISO_Lb1ESR_SS_SU_SV_SZ_EES10_S11_S12_S13_S17_S18_S19_S1C_S1D_jS1E_jS1F_S1F_jjS1H_bEUljE0_EEES10_S11_S12_S19_S1D_S1F_T6_T7_T9_mT8_S1H_bDpT10_ENKUlT_T0_E_clISt17integral_constantIbLb1EES1U_IbLb0EEEEDaS1Q_S1R_EUlS1Q_E_NS1_11comp_targetILNS1_3genE3ELNS1_11target_archE908ELNS1_3gpuE7ELNS1_3repE0EEENS1_30default_config_static_selectorELNS0_4arch9wavefront6targetE0EEEvS13_.num_vgpr, 0
	.set _ZN7rocprim17ROCPRIM_400000_NS6detail17trampoline_kernelINS0_13select_configILj256ELj13ELNS0_17block_load_methodE3ELS4_3ELS4_3ELNS0_20block_scan_algorithmE0ELj4294967295EEENS1_25partition_config_selectorILNS1_17partition_subalgoE4EjNS0_10empty_typeEbEEZZNS1_14partition_implILS8_4ELb0ES6_15HIP_vector_typeIjLj2EENS0_17counting_iteratorIjlEEPS9_SG_NS0_5tupleIJPjSI_NS0_16reverse_iteratorISI_EEEEENSH_IJSG_SG_SG_EEES9_SI_JZNS1_25segmented_radix_sort_implINS0_14default_configELb1EPK12hip_bfloat16PSP_PKlPlN2at6native12_GLOBAL__N_18offset_tEEE10hipError_tPvRmT1_PNSt15iterator_traitsIS13_E10value_typeET2_T3_PNS14_IS19_E10value_typeET4_jRbjT5_S1F_jjP12ihipStream_tbEUljE_ZNSN_ISO_Lb1ESR_SS_SU_SV_SZ_EES10_S11_S12_S13_S17_S18_S19_S1C_S1D_jS1E_jS1F_S1F_jjS1H_bEUljE0_EEES10_S11_S12_S19_S1D_S1F_T6_T7_T9_mT8_S1H_bDpT10_ENKUlT_T0_E_clISt17integral_constantIbLb1EES1U_IbLb0EEEEDaS1Q_S1R_EUlS1Q_E_NS1_11comp_targetILNS1_3genE3ELNS1_11target_archE908ELNS1_3gpuE7ELNS1_3repE0EEENS1_30default_config_static_selectorELNS0_4arch9wavefront6targetE0EEEvS13_.num_agpr, 0
	.set _ZN7rocprim17ROCPRIM_400000_NS6detail17trampoline_kernelINS0_13select_configILj256ELj13ELNS0_17block_load_methodE3ELS4_3ELS4_3ELNS0_20block_scan_algorithmE0ELj4294967295EEENS1_25partition_config_selectorILNS1_17partition_subalgoE4EjNS0_10empty_typeEbEEZZNS1_14partition_implILS8_4ELb0ES6_15HIP_vector_typeIjLj2EENS0_17counting_iteratorIjlEEPS9_SG_NS0_5tupleIJPjSI_NS0_16reverse_iteratorISI_EEEEENSH_IJSG_SG_SG_EEES9_SI_JZNS1_25segmented_radix_sort_implINS0_14default_configELb1EPK12hip_bfloat16PSP_PKlPlN2at6native12_GLOBAL__N_18offset_tEEE10hipError_tPvRmT1_PNSt15iterator_traitsIS13_E10value_typeET2_T3_PNS14_IS19_E10value_typeET4_jRbjT5_S1F_jjP12ihipStream_tbEUljE_ZNSN_ISO_Lb1ESR_SS_SU_SV_SZ_EES10_S11_S12_S13_S17_S18_S19_S1C_S1D_jS1E_jS1F_S1F_jjS1H_bEUljE0_EEES10_S11_S12_S19_S1D_S1F_T6_T7_T9_mT8_S1H_bDpT10_ENKUlT_T0_E_clISt17integral_constantIbLb1EES1U_IbLb0EEEEDaS1Q_S1R_EUlS1Q_E_NS1_11comp_targetILNS1_3genE3ELNS1_11target_archE908ELNS1_3gpuE7ELNS1_3repE0EEENS1_30default_config_static_selectorELNS0_4arch9wavefront6targetE0EEEvS13_.numbered_sgpr, 0
	.set _ZN7rocprim17ROCPRIM_400000_NS6detail17trampoline_kernelINS0_13select_configILj256ELj13ELNS0_17block_load_methodE3ELS4_3ELS4_3ELNS0_20block_scan_algorithmE0ELj4294967295EEENS1_25partition_config_selectorILNS1_17partition_subalgoE4EjNS0_10empty_typeEbEEZZNS1_14partition_implILS8_4ELb0ES6_15HIP_vector_typeIjLj2EENS0_17counting_iteratorIjlEEPS9_SG_NS0_5tupleIJPjSI_NS0_16reverse_iteratorISI_EEEEENSH_IJSG_SG_SG_EEES9_SI_JZNS1_25segmented_radix_sort_implINS0_14default_configELb1EPK12hip_bfloat16PSP_PKlPlN2at6native12_GLOBAL__N_18offset_tEEE10hipError_tPvRmT1_PNSt15iterator_traitsIS13_E10value_typeET2_T3_PNS14_IS19_E10value_typeET4_jRbjT5_S1F_jjP12ihipStream_tbEUljE_ZNSN_ISO_Lb1ESR_SS_SU_SV_SZ_EES10_S11_S12_S13_S17_S18_S19_S1C_S1D_jS1E_jS1F_S1F_jjS1H_bEUljE0_EEES10_S11_S12_S19_S1D_S1F_T6_T7_T9_mT8_S1H_bDpT10_ENKUlT_T0_E_clISt17integral_constantIbLb1EES1U_IbLb0EEEEDaS1Q_S1R_EUlS1Q_E_NS1_11comp_targetILNS1_3genE3ELNS1_11target_archE908ELNS1_3gpuE7ELNS1_3repE0EEENS1_30default_config_static_selectorELNS0_4arch9wavefront6targetE0EEEvS13_.num_named_barrier, 0
	.set _ZN7rocprim17ROCPRIM_400000_NS6detail17trampoline_kernelINS0_13select_configILj256ELj13ELNS0_17block_load_methodE3ELS4_3ELS4_3ELNS0_20block_scan_algorithmE0ELj4294967295EEENS1_25partition_config_selectorILNS1_17partition_subalgoE4EjNS0_10empty_typeEbEEZZNS1_14partition_implILS8_4ELb0ES6_15HIP_vector_typeIjLj2EENS0_17counting_iteratorIjlEEPS9_SG_NS0_5tupleIJPjSI_NS0_16reverse_iteratorISI_EEEEENSH_IJSG_SG_SG_EEES9_SI_JZNS1_25segmented_radix_sort_implINS0_14default_configELb1EPK12hip_bfloat16PSP_PKlPlN2at6native12_GLOBAL__N_18offset_tEEE10hipError_tPvRmT1_PNSt15iterator_traitsIS13_E10value_typeET2_T3_PNS14_IS19_E10value_typeET4_jRbjT5_S1F_jjP12ihipStream_tbEUljE_ZNSN_ISO_Lb1ESR_SS_SU_SV_SZ_EES10_S11_S12_S13_S17_S18_S19_S1C_S1D_jS1E_jS1F_S1F_jjS1H_bEUljE0_EEES10_S11_S12_S19_S1D_S1F_T6_T7_T9_mT8_S1H_bDpT10_ENKUlT_T0_E_clISt17integral_constantIbLb1EES1U_IbLb0EEEEDaS1Q_S1R_EUlS1Q_E_NS1_11comp_targetILNS1_3genE3ELNS1_11target_archE908ELNS1_3gpuE7ELNS1_3repE0EEENS1_30default_config_static_selectorELNS0_4arch9wavefront6targetE0EEEvS13_.private_seg_size, 0
	.set _ZN7rocprim17ROCPRIM_400000_NS6detail17trampoline_kernelINS0_13select_configILj256ELj13ELNS0_17block_load_methodE3ELS4_3ELS4_3ELNS0_20block_scan_algorithmE0ELj4294967295EEENS1_25partition_config_selectorILNS1_17partition_subalgoE4EjNS0_10empty_typeEbEEZZNS1_14partition_implILS8_4ELb0ES6_15HIP_vector_typeIjLj2EENS0_17counting_iteratorIjlEEPS9_SG_NS0_5tupleIJPjSI_NS0_16reverse_iteratorISI_EEEEENSH_IJSG_SG_SG_EEES9_SI_JZNS1_25segmented_radix_sort_implINS0_14default_configELb1EPK12hip_bfloat16PSP_PKlPlN2at6native12_GLOBAL__N_18offset_tEEE10hipError_tPvRmT1_PNSt15iterator_traitsIS13_E10value_typeET2_T3_PNS14_IS19_E10value_typeET4_jRbjT5_S1F_jjP12ihipStream_tbEUljE_ZNSN_ISO_Lb1ESR_SS_SU_SV_SZ_EES10_S11_S12_S13_S17_S18_S19_S1C_S1D_jS1E_jS1F_S1F_jjS1H_bEUljE0_EEES10_S11_S12_S19_S1D_S1F_T6_T7_T9_mT8_S1H_bDpT10_ENKUlT_T0_E_clISt17integral_constantIbLb1EES1U_IbLb0EEEEDaS1Q_S1R_EUlS1Q_E_NS1_11comp_targetILNS1_3genE3ELNS1_11target_archE908ELNS1_3gpuE7ELNS1_3repE0EEENS1_30default_config_static_selectorELNS0_4arch9wavefront6targetE0EEEvS13_.uses_vcc, 0
	.set _ZN7rocprim17ROCPRIM_400000_NS6detail17trampoline_kernelINS0_13select_configILj256ELj13ELNS0_17block_load_methodE3ELS4_3ELS4_3ELNS0_20block_scan_algorithmE0ELj4294967295EEENS1_25partition_config_selectorILNS1_17partition_subalgoE4EjNS0_10empty_typeEbEEZZNS1_14partition_implILS8_4ELb0ES6_15HIP_vector_typeIjLj2EENS0_17counting_iteratorIjlEEPS9_SG_NS0_5tupleIJPjSI_NS0_16reverse_iteratorISI_EEEEENSH_IJSG_SG_SG_EEES9_SI_JZNS1_25segmented_radix_sort_implINS0_14default_configELb1EPK12hip_bfloat16PSP_PKlPlN2at6native12_GLOBAL__N_18offset_tEEE10hipError_tPvRmT1_PNSt15iterator_traitsIS13_E10value_typeET2_T3_PNS14_IS19_E10value_typeET4_jRbjT5_S1F_jjP12ihipStream_tbEUljE_ZNSN_ISO_Lb1ESR_SS_SU_SV_SZ_EES10_S11_S12_S13_S17_S18_S19_S1C_S1D_jS1E_jS1F_S1F_jjS1H_bEUljE0_EEES10_S11_S12_S19_S1D_S1F_T6_T7_T9_mT8_S1H_bDpT10_ENKUlT_T0_E_clISt17integral_constantIbLb1EES1U_IbLb0EEEEDaS1Q_S1R_EUlS1Q_E_NS1_11comp_targetILNS1_3genE3ELNS1_11target_archE908ELNS1_3gpuE7ELNS1_3repE0EEENS1_30default_config_static_selectorELNS0_4arch9wavefront6targetE0EEEvS13_.uses_flat_scratch, 0
	.set _ZN7rocprim17ROCPRIM_400000_NS6detail17trampoline_kernelINS0_13select_configILj256ELj13ELNS0_17block_load_methodE3ELS4_3ELS4_3ELNS0_20block_scan_algorithmE0ELj4294967295EEENS1_25partition_config_selectorILNS1_17partition_subalgoE4EjNS0_10empty_typeEbEEZZNS1_14partition_implILS8_4ELb0ES6_15HIP_vector_typeIjLj2EENS0_17counting_iteratorIjlEEPS9_SG_NS0_5tupleIJPjSI_NS0_16reverse_iteratorISI_EEEEENSH_IJSG_SG_SG_EEES9_SI_JZNS1_25segmented_radix_sort_implINS0_14default_configELb1EPK12hip_bfloat16PSP_PKlPlN2at6native12_GLOBAL__N_18offset_tEEE10hipError_tPvRmT1_PNSt15iterator_traitsIS13_E10value_typeET2_T3_PNS14_IS19_E10value_typeET4_jRbjT5_S1F_jjP12ihipStream_tbEUljE_ZNSN_ISO_Lb1ESR_SS_SU_SV_SZ_EES10_S11_S12_S13_S17_S18_S19_S1C_S1D_jS1E_jS1F_S1F_jjS1H_bEUljE0_EEES10_S11_S12_S19_S1D_S1F_T6_T7_T9_mT8_S1H_bDpT10_ENKUlT_T0_E_clISt17integral_constantIbLb1EES1U_IbLb0EEEEDaS1Q_S1R_EUlS1Q_E_NS1_11comp_targetILNS1_3genE3ELNS1_11target_archE908ELNS1_3gpuE7ELNS1_3repE0EEENS1_30default_config_static_selectorELNS0_4arch9wavefront6targetE0EEEvS13_.has_dyn_sized_stack, 0
	.set _ZN7rocprim17ROCPRIM_400000_NS6detail17trampoline_kernelINS0_13select_configILj256ELj13ELNS0_17block_load_methodE3ELS4_3ELS4_3ELNS0_20block_scan_algorithmE0ELj4294967295EEENS1_25partition_config_selectorILNS1_17partition_subalgoE4EjNS0_10empty_typeEbEEZZNS1_14partition_implILS8_4ELb0ES6_15HIP_vector_typeIjLj2EENS0_17counting_iteratorIjlEEPS9_SG_NS0_5tupleIJPjSI_NS0_16reverse_iteratorISI_EEEEENSH_IJSG_SG_SG_EEES9_SI_JZNS1_25segmented_radix_sort_implINS0_14default_configELb1EPK12hip_bfloat16PSP_PKlPlN2at6native12_GLOBAL__N_18offset_tEEE10hipError_tPvRmT1_PNSt15iterator_traitsIS13_E10value_typeET2_T3_PNS14_IS19_E10value_typeET4_jRbjT5_S1F_jjP12ihipStream_tbEUljE_ZNSN_ISO_Lb1ESR_SS_SU_SV_SZ_EES10_S11_S12_S13_S17_S18_S19_S1C_S1D_jS1E_jS1F_S1F_jjS1H_bEUljE0_EEES10_S11_S12_S19_S1D_S1F_T6_T7_T9_mT8_S1H_bDpT10_ENKUlT_T0_E_clISt17integral_constantIbLb1EES1U_IbLb0EEEEDaS1Q_S1R_EUlS1Q_E_NS1_11comp_targetILNS1_3genE3ELNS1_11target_archE908ELNS1_3gpuE7ELNS1_3repE0EEENS1_30default_config_static_selectorELNS0_4arch9wavefront6targetE0EEEvS13_.has_recursion, 0
	.set _ZN7rocprim17ROCPRIM_400000_NS6detail17trampoline_kernelINS0_13select_configILj256ELj13ELNS0_17block_load_methodE3ELS4_3ELS4_3ELNS0_20block_scan_algorithmE0ELj4294967295EEENS1_25partition_config_selectorILNS1_17partition_subalgoE4EjNS0_10empty_typeEbEEZZNS1_14partition_implILS8_4ELb0ES6_15HIP_vector_typeIjLj2EENS0_17counting_iteratorIjlEEPS9_SG_NS0_5tupleIJPjSI_NS0_16reverse_iteratorISI_EEEEENSH_IJSG_SG_SG_EEES9_SI_JZNS1_25segmented_radix_sort_implINS0_14default_configELb1EPK12hip_bfloat16PSP_PKlPlN2at6native12_GLOBAL__N_18offset_tEEE10hipError_tPvRmT1_PNSt15iterator_traitsIS13_E10value_typeET2_T3_PNS14_IS19_E10value_typeET4_jRbjT5_S1F_jjP12ihipStream_tbEUljE_ZNSN_ISO_Lb1ESR_SS_SU_SV_SZ_EES10_S11_S12_S13_S17_S18_S19_S1C_S1D_jS1E_jS1F_S1F_jjS1H_bEUljE0_EEES10_S11_S12_S19_S1D_S1F_T6_T7_T9_mT8_S1H_bDpT10_ENKUlT_T0_E_clISt17integral_constantIbLb1EES1U_IbLb0EEEEDaS1Q_S1R_EUlS1Q_E_NS1_11comp_targetILNS1_3genE3ELNS1_11target_archE908ELNS1_3gpuE7ELNS1_3repE0EEENS1_30default_config_static_selectorELNS0_4arch9wavefront6targetE0EEEvS13_.has_indirect_call, 0
	.section	.AMDGPU.csdata,"",@progbits
; Kernel info:
; codeLenInByte = 0
; TotalNumSgprs: 0
; NumVgprs: 0
; ScratchSize: 0
; MemoryBound: 0
; FloatMode: 240
; IeeeMode: 1
; LDSByteSize: 0 bytes/workgroup (compile time only)
; SGPRBlocks: 0
; VGPRBlocks: 0
; NumSGPRsForWavesPerEU: 1
; NumVGPRsForWavesPerEU: 1
; Occupancy: 16
; WaveLimiterHint : 0
; COMPUTE_PGM_RSRC2:SCRATCH_EN: 0
; COMPUTE_PGM_RSRC2:USER_SGPR: 2
; COMPUTE_PGM_RSRC2:TRAP_HANDLER: 0
; COMPUTE_PGM_RSRC2:TGID_X_EN: 1
; COMPUTE_PGM_RSRC2:TGID_Y_EN: 0
; COMPUTE_PGM_RSRC2:TGID_Z_EN: 0
; COMPUTE_PGM_RSRC2:TIDIG_COMP_CNT: 0
	.section	.text._ZN7rocprim17ROCPRIM_400000_NS6detail17trampoline_kernelINS0_13select_configILj256ELj13ELNS0_17block_load_methodE3ELS4_3ELS4_3ELNS0_20block_scan_algorithmE0ELj4294967295EEENS1_25partition_config_selectorILNS1_17partition_subalgoE4EjNS0_10empty_typeEbEEZZNS1_14partition_implILS8_4ELb0ES6_15HIP_vector_typeIjLj2EENS0_17counting_iteratorIjlEEPS9_SG_NS0_5tupleIJPjSI_NS0_16reverse_iteratorISI_EEEEENSH_IJSG_SG_SG_EEES9_SI_JZNS1_25segmented_radix_sort_implINS0_14default_configELb1EPK12hip_bfloat16PSP_PKlPlN2at6native12_GLOBAL__N_18offset_tEEE10hipError_tPvRmT1_PNSt15iterator_traitsIS13_E10value_typeET2_T3_PNS14_IS19_E10value_typeET4_jRbjT5_S1F_jjP12ihipStream_tbEUljE_ZNSN_ISO_Lb1ESR_SS_SU_SV_SZ_EES10_S11_S12_S13_S17_S18_S19_S1C_S1D_jS1E_jS1F_S1F_jjS1H_bEUljE0_EEES10_S11_S12_S19_S1D_S1F_T6_T7_T9_mT8_S1H_bDpT10_ENKUlT_T0_E_clISt17integral_constantIbLb1EES1U_IbLb0EEEEDaS1Q_S1R_EUlS1Q_E_NS1_11comp_targetILNS1_3genE2ELNS1_11target_archE906ELNS1_3gpuE6ELNS1_3repE0EEENS1_30default_config_static_selectorELNS0_4arch9wavefront6targetE0EEEvS13_,"axG",@progbits,_ZN7rocprim17ROCPRIM_400000_NS6detail17trampoline_kernelINS0_13select_configILj256ELj13ELNS0_17block_load_methodE3ELS4_3ELS4_3ELNS0_20block_scan_algorithmE0ELj4294967295EEENS1_25partition_config_selectorILNS1_17partition_subalgoE4EjNS0_10empty_typeEbEEZZNS1_14partition_implILS8_4ELb0ES6_15HIP_vector_typeIjLj2EENS0_17counting_iteratorIjlEEPS9_SG_NS0_5tupleIJPjSI_NS0_16reverse_iteratorISI_EEEEENSH_IJSG_SG_SG_EEES9_SI_JZNS1_25segmented_radix_sort_implINS0_14default_configELb1EPK12hip_bfloat16PSP_PKlPlN2at6native12_GLOBAL__N_18offset_tEEE10hipError_tPvRmT1_PNSt15iterator_traitsIS13_E10value_typeET2_T3_PNS14_IS19_E10value_typeET4_jRbjT5_S1F_jjP12ihipStream_tbEUljE_ZNSN_ISO_Lb1ESR_SS_SU_SV_SZ_EES10_S11_S12_S13_S17_S18_S19_S1C_S1D_jS1E_jS1F_S1F_jjS1H_bEUljE0_EEES10_S11_S12_S19_S1D_S1F_T6_T7_T9_mT8_S1H_bDpT10_ENKUlT_T0_E_clISt17integral_constantIbLb1EES1U_IbLb0EEEEDaS1Q_S1R_EUlS1Q_E_NS1_11comp_targetILNS1_3genE2ELNS1_11target_archE906ELNS1_3gpuE6ELNS1_3repE0EEENS1_30default_config_static_selectorELNS0_4arch9wavefront6targetE0EEEvS13_,comdat
	.globl	_ZN7rocprim17ROCPRIM_400000_NS6detail17trampoline_kernelINS0_13select_configILj256ELj13ELNS0_17block_load_methodE3ELS4_3ELS4_3ELNS0_20block_scan_algorithmE0ELj4294967295EEENS1_25partition_config_selectorILNS1_17partition_subalgoE4EjNS0_10empty_typeEbEEZZNS1_14partition_implILS8_4ELb0ES6_15HIP_vector_typeIjLj2EENS0_17counting_iteratorIjlEEPS9_SG_NS0_5tupleIJPjSI_NS0_16reverse_iteratorISI_EEEEENSH_IJSG_SG_SG_EEES9_SI_JZNS1_25segmented_radix_sort_implINS0_14default_configELb1EPK12hip_bfloat16PSP_PKlPlN2at6native12_GLOBAL__N_18offset_tEEE10hipError_tPvRmT1_PNSt15iterator_traitsIS13_E10value_typeET2_T3_PNS14_IS19_E10value_typeET4_jRbjT5_S1F_jjP12ihipStream_tbEUljE_ZNSN_ISO_Lb1ESR_SS_SU_SV_SZ_EES10_S11_S12_S13_S17_S18_S19_S1C_S1D_jS1E_jS1F_S1F_jjS1H_bEUljE0_EEES10_S11_S12_S19_S1D_S1F_T6_T7_T9_mT8_S1H_bDpT10_ENKUlT_T0_E_clISt17integral_constantIbLb1EES1U_IbLb0EEEEDaS1Q_S1R_EUlS1Q_E_NS1_11comp_targetILNS1_3genE2ELNS1_11target_archE906ELNS1_3gpuE6ELNS1_3repE0EEENS1_30default_config_static_selectorELNS0_4arch9wavefront6targetE0EEEvS13_ ; -- Begin function _ZN7rocprim17ROCPRIM_400000_NS6detail17trampoline_kernelINS0_13select_configILj256ELj13ELNS0_17block_load_methodE3ELS4_3ELS4_3ELNS0_20block_scan_algorithmE0ELj4294967295EEENS1_25partition_config_selectorILNS1_17partition_subalgoE4EjNS0_10empty_typeEbEEZZNS1_14partition_implILS8_4ELb0ES6_15HIP_vector_typeIjLj2EENS0_17counting_iteratorIjlEEPS9_SG_NS0_5tupleIJPjSI_NS0_16reverse_iteratorISI_EEEEENSH_IJSG_SG_SG_EEES9_SI_JZNS1_25segmented_radix_sort_implINS0_14default_configELb1EPK12hip_bfloat16PSP_PKlPlN2at6native12_GLOBAL__N_18offset_tEEE10hipError_tPvRmT1_PNSt15iterator_traitsIS13_E10value_typeET2_T3_PNS14_IS19_E10value_typeET4_jRbjT5_S1F_jjP12ihipStream_tbEUljE_ZNSN_ISO_Lb1ESR_SS_SU_SV_SZ_EES10_S11_S12_S13_S17_S18_S19_S1C_S1D_jS1E_jS1F_S1F_jjS1H_bEUljE0_EEES10_S11_S12_S19_S1D_S1F_T6_T7_T9_mT8_S1H_bDpT10_ENKUlT_T0_E_clISt17integral_constantIbLb1EES1U_IbLb0EEEEDaS1Q_S1R_EUlS1Q_E_NS1_11comp_targetILNS1_3genE2ELNS1_11target_archE906ELNS1_3gpuE6ELNS1_3repE0EEENS1_30default_config_static_selectorELNS0_4arch9wavefront6targetE0EEEvS13_
	.p2align	8
	.type	_ZN7rocprim17ROCPRIM_400000_NS6detail17trampoline_kernelINS0_13select_configILj256ELj13ELNS0_17block_load_methodE3ELS4_3ELS4_3ELNS0_20block_scan_algorithmE0ELj4294967295EEENS1_25partition_config_selectorILNS1_17partition_subalgoE4EjNS0_10empty_typeEbEEZZNS1_14partition_implILS8_4ELb0ES6_15HIP_vector_typeIjLj2EENS0_17counting_iteratorIjlEEPS9_SG_NS0_5tupleIJPjSI_NS0_16reverse_iteratorISI_EEEEENSH_IJSG_SG_SG_EEES9_SI_JZNS1_25segmented_radix_sort_implINS0_14default_configELb1EPK12hip_bfloat16PSP_PKlPlN2at6native12_GLOBAL__N_18offset_tEEE10hipError_tPvRmT1_PNSt15iterator_traitsIS13_E10value_typeET2_T3_PNS14_IS19_E10value_typeET4_jRbjT5_S1F_jjP12ihipStream_tbEUljE_ZNSN_ISO_Lb1ESR_SS_SU_SV_SZ_EES10_S11_S12_S13_S17_S18_S19_S1C_S1D_jS1E_jS1F_S1F_jjS1H_bEUljE0_EEES10_S11_S12_S19_S1D_S1F_T6_T7_T9_mT8_S1H_bDpT10_ENKUlT_T0_E_clISt17integral_constantIbLb1EES1U_IbLb0EEEEDaS1Q_S1R_EUlS1Q_E_NS1_11comp_targetILNS1_3genE2ELNS1_11target_archE906ELNS1_3gpuE6ELNS1_3repE0EEENS1_30default_config_static_selectorELNS0_4arch9wavefront6targetE0EEEvS13_,@function
_ZN7rocprim17ROCPRIM_400000_NS6detail17trampoline_kernelINS0_13select_configILj256ELj13ELNS0_17block_load_methodE3ELS4_3ELS4_3ELNS0_20block_scan_algorithmE0ELj4294967295EEENS1_25partition_config_selectorILNS1_17partition_subalgoE4EjNS0_10empty_typeEbEEZZNS1_14partition_implILS8_4ELb0ES6_15HIP_vector_typeIjLj2EENS0_17counting_iteratorIjlEEPS9_SG_NS0_5tupleIJPjSI_NS0_16reverse_iteratorISI_EEEEENSH_IJSG_SG_SG_EEES9_SI_JZNS1_25segmented_radix_sort_implINS0_14default_configELb1EPK12hip_bfloat16PSP_PKlPlN2at6native12_GLOBAL__N_18offset_tEEE10hipError_tPvRmT1_PNSt15iterator_traitsIS13_E10value_typeET2_T3_PNS14_IS19_E10value_typeET4_jRbjT5_S1F_jjP12ihipStream_tbEUljE_ZNSN_ISO_Lb1ESR_SS_SU_SV_SZ_EES10_S11_S12_S13_S17_S18_S19_S1C_S1D_jS1E_jS1F_S1F_jjS1H_bEUljE0_EEES10_S11_S12_S19_S1D_S1F_T6_T7_T9_mT8_S1H_bDpT10_ENKUlT_T0_E_clISt17integral_constantIbLb1EES1U_IbLb0EEEEDaS1Q_S1R_EUlS1Q_E_NS1_11comp_targetILNS1_3genE2ELNS1_11target_archE906ELNS1_3gpuE6ELNS1_3repE0EEENS1_30default_config_static_selectorELNS0_4arch9wavefront6targetE0EEEvS13_: ; @_ZN7rocprim17ROCPRIM_400000_NS6detail17trampoline_kernelINS0_13select_configILj256ELj13ELNS0_17block_load_methodE3ELS4_3ELS4_3ELNS0_20block_scan_algorithmE0ELj4294967295EEENS1_25partition_config_selectorILNS1_17partition_subalgoE4EjNS0_10empty_typeEbEEZZNS1_14partition_implILS8_4ELb0ES6_15HIP_vector_typeIjLj2EENS0_17counting_iteratorIjlEEPS9_SG_NS0_5tupleIJPjSI_NS0_16reverse_iteratorISI_EEEEENSH_IJSG_SG_SG_EEES9_SI_JZNS1_25segmented_radix_sort_implINS0_14default_configELb1EPK12hip_bfloat16PSP_PKlPlN2at6native12_GLOBAL__N_18offset_tEEE10hipError_tPvRmT1_PNSt15iterator_traitsIS13_E10value_typeET2_T3_PNS14_IS19_E10value_typeET4_jRbjT5_S1F_jjP12ihipStream_tbEUljE_ZNSN_ISO_Lb1ESR_SS_SU_SV_SZ_EES10_S11_S12_S13_S17_S18_S19_S1C_S1D_jS1E_jS1F_S1F_jjS1H_bEUljE0_EEES10_S11_S12_S19_S1D_S1F_T6_T7_T9_mT8_S1H_bDpT10_ENKUlT_T0_E_clISt17integral_constantIbLb1EES1U_IbLb0EEEEDaS1Q_S1R_EUlS1Q_E_NS1_11comp_targetILNS1_3genE2ELNS1_11target_archE906ELNS1_3gpuE6ELNS1_3repE0EEENS1_30default_config_static_selectorELNS0_4arch9wavefront6targetE0EEEvS13_
; %bb.0:
	.section	.rodata,"a",@progbits
	.p2align	6, 0x0
	.amdhsa_kernel _ZN7rocprim17ROCPRIM_400000_NS6detail17trampoline_kernelINS0_13select_configILj256ELj13ELNS0_17block_load_methodE3ELS4_3ELS4_3ELNS0_20block_scan_algorithmE0ELj4294967295EEENS1_25partition_config_selectorILNS1_17partition_subalgoE4EjNS0_10empty_typeEbEEZZNS1_14partition_implILS8_4ELb0ES6_15HIP_vector_typeIjLj2EENS0_17counting_iteratorIjlEEPS9_SG_NS0_5tupleIJPjSI_NS0_16reverse_iteratorISI_EEEEENSH_IJSG_SG_SG_EEES9_SI_JZNS1_25segmented_radix_sort_implINS0_14default_configELb1EPK12hip_bfloat16PSP_PKlPlN2at6native12_GLOBAL__N_18offset_tEEE10hipError_tPvRmT1_PNSt15iterator_traitsIS13_E10value_typeET2_T3_PNS14_IS19_E10value_typeET4_jRbjT5_S1F_jjP12ihipStream_tbEUljE_ZNSN_ISO_Lb1ESR_SS_SU_SV_SZ_EES10_S11_S12_S13_S17_S18_S19_S1C_S1D_jS1E_jS1F_S1F_jjS1H_bEUljE0_EEES10_S11_S12_S19_S1D_S1F_T6_T7_T9_mT8_S1H_bDpT10_ENKUlT_T0_E_clISt17integral_constantIbLb1EES1U_IbLb0EEEEDaS1Q_S1R_EUlS1Q_E_NS1_11comp_targetILNS1_3genE2ELNS1_11target_archE906ELNS1_3gpuE6ELNS1_3repE0EEENS1_30default_config_static_selectorELNS0_4arch9wavefront6targetE0EEEvS13_
		.amdhsa_group_segment_fixed_size 0
		.amdhsa_private_segment_fixed_size 0
		.amdhsa_kernarg_size 176
		.amdhsa_user_sgpr_count 2
		.amdhsa_user_sgpr_dispatch_ptr 0
		.amdhsa_user_sgpr_queue_ptr 0
		.amdhsa_user_sgpr_kernarg_segment_ptr 1
		.amdhsa_user_sgpr_dispatch_id 0
		.amdhsa_user_sgpr_private_segment_size 0
		.amdhsa_wavefront_size32 1
		.amdhsa_uses_dynamic_stack 0
		.amdhsa_enable_private_segment 0
		.amdhsa_system_sgpr_workgroup_id_x 1
		.amdhsa_system_sgpr_workgroup_id_y 0
		.amdhsa_system_sgpr_workgroup_id_z 0
		.amdhsa_system_sgpr_workgroup_info 0
		.amdhsa_system_vgpr_workitem_id 0
		.amdhsa_next_free_vgpr 1
		.amdhsa_next_free_sgpr 1
		.amdhsa_reserve_vcc 0
		.amdhsa_float_round_mode_32 0
		.amdhsa_float_round_mode_16_64 0
		.amdhsa_float_denorm_mode_32 3
		.amdhsa_float_denorm_mode_16_64 3
		.amdhsa_fp16_overflow 0
		.amdhsa_workgroup_processor_mode 1
		.amdhsa_memory_ordered 1
		.amdhsa_forward_progress 1
		.amdhsa_inst_pref_size 0
		.amdhsa_round_robin_scheduling 0
		.amdhsa_exception_fp_ieee_invalid_op 0
		.amdhsa_exception_fp_denorm_src 0
		.amdhsa_exception_fp_ieee_div_zero 0
		.amdhsa_exception_fp_ieee_overflow 0
		.amdhsa_exception_fp_ieee_underflow 0
		.amdhsa_exception_fp_ieee_inexact 0
		.amdhsa_exception_int_div_zero 0
	.end_amdhsa_kernel
	.section	.text._ZN7rocprim17ROCPRIM_400000_NS6detail17trampoline_kernelINS0_13select_configILj256ELj13ELNS0_17block_load_methodE3ELS4_3ELS4_3ELNS0_20block_scan_algorithmE0ELj4294967295EEENS1_25partition_config_selectorILNS1_17partition_subalgoE4EjNS0_10empty_typeEbEEZZNS1_14partition_implILS8_4ELb0ES6_15HIP_vector_typeIjLj2EENS0_17counting_iteratorIjlEEPS9_SG_NS0_5tupleIJPjSI_NS0_16reverse_iteratorISI_EEEEENSH_IJSG_SG_SG_EEES9_SI_JZNS1_25segmented_radix_sort_implINS0_14default_configELb1EPK12hip_bfloat16PSP_PKlPlN2at6native12_GLOBAL__N_18offset_tEEE10hipError_tPvRmT1_PNSt15iterator_traitsIS13_E10value_typeET2_T3_PNS14_IS19_E10value_typeET4_jRbjT5_S1F_jjP12ihipStream_tbEUljE_ZNSN_ISO_Lb1ESR_SS_SU_SV_SZ_EES10_S11_S12_S13_S17_S18_S19_S1C_S1D_jS1E_jS1F_S1F_jjS1H_bEUljE0_EEES10_S11_S12_S19_S1D_S1F_T6_T7_T9_mT8_S1H_bDpT10_ENKUlT_T0_E_clISt17integral_constantIbLb1EES1U_IbLb0EEEEDaS1Q_S1R_EUlS1Q_E_NS1_11comp_targetILNS1_3genE2ELNS1_11target_archE906ELNS1_3gpuE6ELNS1_3repE0EEENS1_30default_config_static_selectorELNS0_4arch9wavefront6targetE0EEEvS13_,"axG",@progbits,_ZN7rocprim17ROCPRIM_400000_NS6detail17trampoline_kernelINS0_13select_configILj256ELj13ELNS0_17block_load_methodE3ELS4_3ELS4_3ELNS0_20block_scan_algorithmE0ELj4294967295EEENS1_25partition_config_selectorILNS1_17partition_subalgoE4EjNS0_10empty_typeEbEEZZNS1_14partition_implILS8_4ELb0ES6_15HIP_vector_typeIjLj2EENS0_17counting_iteratorIjlEEPS9_SG_NS0_5tupleIJPjSI_NS0_16reverse_iteratorISI_EEEEENSH_IJSG_SG_SG_EEES9_SI_JZNS1_25segmented_radix_sort_implINS0_14default_configELb1EPK12hip_bfloat16PSP_PKlPlN2at6native12_GLOBAL__N_18offset_tEEE10hipError_tPvRmT1_PNSt15iterator_traitsIS13_E10value_typeET2_T3_PNS14_IS19_E10value_typeET4_jRbjT5_S1F_jjP12ihipStream_tbEUljE_ZNSN_ISO_Lb1ESR_SS_SU_SV_SZ_EES10_S11_S12_S13_S17_S18_S19_S1C_S1D_jS1E_jS1F_S1F_jjS1H_bEUljE0_EEES10_S11_S12_S19_S1D_S1F_T6_T7_T9_mT8_S1H_bDpT10_ENKUlT_T0_E_clISt17integral_constantIbLb1EES1U_IbLb0EEEEDaS1Q_S1R_EUlS1Q_E_NS1_11comp_targetILNS1_3genE2ELNS1_11target_archE906ELNS1_3gpuE6ELNS1_3repE0EEENS1_30default_config_static_selectorELNS0_4arch9wavefront6targetE0EEEvS13_,comdat
.Lfunc_end1902:
	.size	_ZN7rocprim17ROCPRIM_400000_NS6detail17trampoline_kernelINS0_13select_configILj256ELj13ELNS0_17block_load_methodE3ELS4_3ELS4_3ELNS0_20block_scan_algorithmE0ELj4294967295EEENS1_25partition_config_selectorILNS1_17partition_subalgoE4EjNS0_10empty_typeEbEEZZNS1_14partition_implILS8_4ELb0ES6_15HIP_vector_typeIjLj2EENS0_17counting_iteratorIjlEEPS9_SG_NS0_5tupleIJPjSI_NS0_16reverse_iteratorISI_EEEEENSH_IJSG_SG_SG_EEES9_SI_JZNS1_25segmented_radix_sort_implINS0_14default_configELb1EPK12hip_bfloat16PSP_PKlPlN2at6native12_GLOBAL__N_18offset_tEEE10hipError_tPvRmT1_PNSt15iterator_traitsIS13_E10value_typeET2_T3_PNS14_IS19_E10value_typeET4_jRbjT5_S1F_jjP12ihipStream_tbEUljE_ZNSN_ISO_Lb1ESR_SS_SU_SV_SZ_EES10_S11_S12_S13_S17_S18_S19_S1C_S1D_jS1E_jS1F_S1F_jjS1H_bEUljE0_EEES10_S11_S12_S19_S1D_S1F_T6_T7_T9_mT8_S1H_bDpT10_ENKUlT_T0_E_clISt17integral_constantIbLb1EES1U_IbLb0EEEEDaS1Q_S1R_EUlS1Q_E_NS1_11comp_targetILNS1_3genE2ELNS1_11target_archE906ELNS1_3gpuE6ELNS1_3repE0EEENS1_30default_config_static_selectorELNS0_4arch9wavefront6targetE0EEEvS13_, .Lfunc_end1902-_ZN7rocprim17ROCPRIM_400000_NS6detail17trampoline_kernelINS0_13select_configILj256ELj13ELNS0_17block_load_methodE3ELS4_3ELS4_3ELNS0_20block_scan_algorithmE0ELj4294967295EEENS1_25partition_config_selectorILNS1_17partition_subalgoE4EjNS0_10empty_typeEbEEZZNS1_14partition_implILS8_4ELb0ES6_15HIP_vector_typeIjLj2EENS0_17counting_iteratorIjlEEPS9_SG_NS0_5tupleIJPjSI_NS0_16reverse_iteratorISI_EEEEENSH_IJSG_SG_SG_EEES9_SI_JZNS1_25segmented_radix_sort_implINS0_14default_configELb1EPK12hip_bfloat16PSP_PKlPlN2at6native12_GLOBAL__N_18offset_tEEE10hipError_tPvRmT1_PNSt15iterator_traitsIS13_E10value_typeET2_T3_PNS14_IS19_E10value_typeET4_jRbjT5_S1F_jjP12ihipStream_tbEUljE_ZNSN_ISO_Lb1ESR_SS_SU_SV_SZ_EES10_S11_S12_S13_S17_S18_S19_S1C_S1D_jS1E_jS1F_S1F_jjS1H_bEUljE0_EEES10_S11_S12_S19_S1D_S1F_T6_T7_T9_mT8_S1H_bDpT10_ENKUlT_T0_E_clISt17integral_constantIbLb1EES1U_IbLb0EEEEDaS1Q_S1R_EUlS1Q_E_NS1_11comp_targetILNS1_3genE2ELNS1_11target_archE906ELNS1_3gpuE6ELNS1_3repE0EEENS1_30default_config_static_selectorELNS0_4arch9wavefront6targetE0EEEvS13_
                                        ; -- End function
	.set _ZN7rocprim17ROCPRIM_400000_NS6detail17trampoline_kernelINS0_13select_configILj256ELj13ELNS0_17block_load_methodE3ELS4_3ELS4_3ELNS0_20block_scan_algorithmE0ELj4294967295EEENS1_25partition_config_selectorILNS1_17partition_subalgoE4EjNS0_10empty_typeEbEEZZNS1_14partition_implILS8_4ELb0ES6_15HIP_vector_typeIjLj2EENS0_17counting_iteratorIjlEEPS9_SG_NS0_5tupleIJPjSI_NS0_16reverse_iteratorISI_EEEEENSH_IJSG_SG_SG_EEES9_SI_JZNS1_25segmented_radix_sort_implINS0_14default_configELb1EPK12hip_bfloat16PSP_PKlPlN2at6native12_GLOBAL__N_18offset_tEEE10hipError_tPvRmT1_PNSt15iterator_traitsIS13_E10value_typeET2_T3_PNS14_IS19_E10value_typeET4_jRbjT5_S1F_jjP12ihipStream_tbEUljE_ZNSN_ISO_Lb1ESR_SS_SU_SV_SZ_EES10_S11_S12_S13_S17_S18_S19_S1C_S1D_jS1E_jS1F_S1F_jjS1H_bEUljE0_EEES10_S11_S12_S19_S1D_S1F_T6_T7_T9_mT8_S1H_bDpT10_ENKUlT_T0_E_clISt17integral_constantIbLb1EES1U_IbLb0EEEEDaS1Q_S1R_EUlS1Q_E_NS1_11comp_targetILNS1_3genE2ELNS1_11target_archE906ELNS1_3gpuE6ELNS1_3repE0EEENS1_30default_config_static_selectorELNS0_4arch9wavefront6targetE0EEEvS13_.num_vgpr, 0
	.set _ZN7rocprim17ROCPRIM_400000_NS6detail17trampoline_kernelINS0_13select_configILj256ELj13ELNS0_17block_load_methodE3ELS4_3ELS4_3ELNS0_20block_scan_algorithmE0ELj4294967295EEENS1_25partition_config_selectorILNS1_17partition_subalgoE4EjNS0_10empty_typeEbEEZZNS1_14partition_implILS8_4ELb0ES6_15HIP_vector_typeIjLj2EENS0_17counting_iteratorIjlEEPS9_SG_NS0_5tupleIJPjSI_NS0_16reverse_iteratorISI_EEEEENSH_IJSG_SG_SG_EEES9_SI_JZNS1_25segmented_radix_sort_implINS0_14default_configELb1EPK12hip_bfloat16PSP_PKlPlN2at6native12_GLOBAL__N_18offset_tEEE10hipError_tPvRmT1_PNSt15iterator_traitsIS13_E10value_typeET2_T3_PNS14_IS19_E10value_typeET4_jRbjT5_S1F_jjP12ihipStream_tbEUljE_ZNSN_ISO_Lb1ESR_SS_SU_SV_SZ_EES10_S11_S12_S13_S17_S18_S19_S1C_S1D_jS1E_jS1F_S1F_jjS1H_bEUljE0_EEES10_S11_S12_S19_S1D_S1F_T6_T7_T9_mT8_S1H_bDpT10_ENKUlT_T0_E_clISt17integral_constantIbLb1EES1U_IbLb0EEEEDaS1Q_S1R_EUlS1Q_E_NS1_11comp_targetILNS1_3genE2ELNS1_11target_archE906ELNS1_3gpuE6ELNS1_3repE0EEENS1_30default_config_static_selectorELNS0_4arch9wavefront6targetE0EEEvS13_.num_agpr, 0
	.set _ZN7rocprim17ROCPRIM_400000_NS6detail17trampoline_kernelINS0_13select_configILj256ELj13ELNS0_17block_load_methodE3ELS4_3ELS4_3ELNS0_20block_scan_algorithmE0ELj4294967295EEENS1_25partition_config_selectorILNS1_17partition_subalgoE4EjNS0_10empty_typeEbEEZZNS1_14partition_implILS8_4ELb0ES6_15HIP_vector_typeIjLj2EENS0_17counting_iteratorIjlEEPS9_SG_NS0_5tupleIJPjSI_NS0_16reverse_iteratorISI_EEEEENSH_IJSG_SG_SG_EEES9_SI_JZNS1_25segmented_radix_sort_implINS0_14default_configELb1EPK12hip_bfloat16PSP_PKlPlN2at6native12_GLOBAL__N_18offset_tEEE10hipError_tPvRmT1_PNSt15iterator_traitsIS13_E10value_typeET2_T3_PNS14_IS19_E10value_typeET4_jRbjT5_S1F_jjP12ihipStream_tbEUljE_ZNSN_ISO_Lb1ESR_SS_SU_SV_SZ_EES10_S11_S12_S13_S17_S18_S19_S1C_S1D_jS1E_jS1F_S1F_jjS1H_bEUljE0_EEES10_S11_S12_S19_S1D_S1F_T6_T7_T9_mT8_S1H_bDpT10_ENKUlT_T0_E_clISt17integral_constantIbLb1EES1U_IbLb0EEEEDaS1Q_S1R_EUlS1Q_E_NS1_11comp_targetILNS1_3genE2ELNS1_11target_archE906ELNS1_3gpuE6ELNS1_3repE0EEENS1_30default_config_static_selectorELNS0_4arch9wavefront6targetE0EEEvS13_.numbered_sgpr, 0
	.set _ZN7rocprim17ROCPRIM_400000_NS6detail17trampoline_kernelINS0_13select_configILj256ELj13ELNS0_17block_load_methodE3ELS4_3ELS4_3ELNS0_20block_scan_algorithmE0ELj4294967295EEENS1_25partition_config_selectorILNS1_17partition_subalgoE4EjNS0_10empty_typeEbEEZZNS1_14partition_implILS8_4ELb0ES6_15HIP_vector_typeIjLj2EENS0_17counting_iteratorIjlEEPS9_SG_NS0_5tupleIJPjSI_NS0_16reverse_iteratorISI_EEEEENSH_IJSG_SG_SG_EEES9_SI_JZNS1_25segmented_radix_sort_implINS0_14default_configELb1EPK12hip_bfloat16PSP_PKlPlN2at6native12_GLOBAL__N_18offset_tEEE10hipError_tPvRmT1_PNSt15iterator_traitsIS13_E10value_typeET2_T3_PNS14_IS19_E10value_typeET4_jRbjT5_S1F_jjP12ihipStream_tbEUljE_ZNSN_ISO_Lb1ESR_SS_SU_SV_SZ_EES10_S11_S12_S13_S17_S18_S19_S1C_S1D_jS1E_jS1F_S1F_jjS1H_bEUljE0_EEES10_S11_S12_S19_S1D_S1F_T6_T7_T9_mT8_S1H_bDpT10_ENKUlT_T0_E_clISt17integral_constantIbLb1EES1U_IbLb0EEEEDaS1Q_S1R_EUlS1Q_E_NS1_11comp_targetILNS1_3genE2ELNS1_11target_archE906ELNS1_3gpuE6ELNS1_3repE0EEENS1_30default_config_static_selectorELNS0_4arch9wavefront6targetE0EEEvS13_.num_named_barrier, 0
	.set _ZN7rocprim17ROCPRIM_400000_NS6detail17trampoline_kernelINS0_13select_configILj256ELj13ELNS0_17block_load_methodE3ELS4_3ELS4_3ELNS0_20block_scan_algorithmE0ELj4294967295EEENS1_25partition_config_selectorILNS1_17partition_subalgoE4EjNS0_10empty_typeEbEEZZNS1_14partition_implILS8_4ELb0ES6_15HIP_vector_typeIjLj2EENS0_17counting_iteratorIjlEEPS9_SG_NS0_5tupleIJPjSI_NS0_16reverse_iteratorISI_EEEEENSH_IJSG_SG_SG_EEES9_SI_JZNS1_25segmented_radix_sort_implINS0_14default_configELb1EPK12hip_bfloat16PSP_PKlPlN2at6native12_GLOBAL__N_18offset_tEEE10hipError_tPvRmT1_PNSt15iterator_traitsIS13_E10value_typeET2_T3_PNS14_IS19_E10value_typeET4_jRbjT5_S1F_jjP12ihipStream_tbEUljE_ZNSN_ISO_Lb1ESR_SS_SU_SV_SZ_EES10_S11_S12_S13_S17_S18_S19_S1C_S1D_jS1E_jS1F_S1F_jjS1H_bEUljE0_EEES10_S11_S12_S19_S1D_S1F_T6_T7_T9_mT8_S1H_bDpT10_ENKUlT_T0_E_clISt17integral_constantIbLb1EES1U_IbLb0EEEEDaS1Q_S1R_EUlS1Q_E_NS1_11comp_targetILNS1_3genE2ELNS1_11target_archE906ELNS1_3gpuE6ELNS1_3repE0EEENS1_30default_config_static_selectorELNS0_4arch9wavefront6targetE0EEEvS13_.private_seg_size, 0
	.set _ZN7rocprim17ROCPRIM_400000_NS6detail17trampoline_kernelINS0_13select_configILj256ELj13ELNS0_17block_load_methodE3ELS4_3ELS4_3ELNS0_20block_scan_algorithmE0ELj4294967295EEENS1_25partition_config_selectorILNS1_17partition_subalgoE4EjNS0_10empty_typeEbEEZZNS1_14partition_implILS8_4ELb0ES6_15HIP_vector_typeIjLj2EENS0_17counting_iteratorIjlEEPS9_SG_NS0_5tupleIJPjSI_NS0_16reverse_iteratorISI_EEEEENSH_IJSG_SG_SG_EEES9_SI_JZNS1_25segmented_radix_sort_implINS0_14default_configELb1EPK12hip_bfloat16PSP_PKlPlN2at6native12_GLOBAL__N_18offset_tEEE10hipError_tPvRmT1_PNSt15iterator_traitsIS13_E10value_typeET2_T3_PNS14_IS19_E10value_typeET4_jRbjT5_S1F_jjP12ihipStream_tbEUljE_ZNSN_ISO_Lb1ESR_SS_SU_SV_SZ_EES10_S11_S12_S13_S17_S18_S19_S1C_S1D_jS1E_jS1F_S1F_jjS1H_bEUljE0_EEES10_S11_S12_S19_S1D_S1F_T6_T7_T9_mT8_S1H_bDpT10_ENKUlT_T0_E_clISt17integral_constantIbLb1EES1U_IbLb0EEEEDaS1Q_S1R_EUlS1Q_E_NS1_11comp_targetILNS1_3genE2ELNS1_11target_archE906ELNS1_3gpuE6ELNS1_3repE0EEENS1_30default_config_static_selectorELNS0_4arch9wavefront6targetE0EEEvS13_.uses_vcc, 0
	.set _ZN7rocprim17ROCPRIM_400000_NS6detail17trampoline_kernelINS0_13select_configILj256ELj13ELNS0_17block_load_methodE3ELS4_3ELS4_3ELNS0_20block_scan_algorithmE0ELj4294967295EEENS1_25partition_config_selectorILNS1_17partition_subalgoE4EjNS0_10empty_typeEbEEZZNS1_14partition_implILS8_4ELb0ES6_15HIP_vector_typeIjLj2EENS0_17counting_iteratorIjlEEPS9_SG_NS0_5tupleIJPjSI_NS0_16reverse_iteratorISI_EEEEENSH_IJSG_SG_SG_EEES9_SI_JZNS1_25segmented_radix_sort_implINS0_14default_configELb1EPK12hip_bfloat16PSP_PKlPlN2at6native12_GLOBAL__N_18offset_tEEE10hipError_tPvRmT1_PNSt15iterator_traitsIS13_E10value_typeET2_T3_PNS14_IS19_E10value_typeET4_jRbjT5_S1F_jjP12ihipStream_tbEUljE_ZNSN_ISO_Lb1ESR_SS_SU_SV_SZ_EES10_S11_S12_S13_S17_S18_S19_S1C_S1D_jS1E_jS1F_S1F_jjS1H_bEUljE0_EEES10_S11_S12_S19_S1D_S1F_T6_T7_T9_mT8_S1H_bDpT10_ENKUlT_T0_E_clISt17integral_constantIbLb1EES1U_IbLb0EEEEDaS1Q_S1R_EUlS1Q_E_NS1_11comp_targetILNS1_3genE2ELNS1_11target_archE906ELNS1_3gpuE6ELNS1_3repE0EEENS1_30default_config_static_selectorELNS0_4arch9wavefront6targetE0EEEvS13_.uses_flat_scratch, 0
	.set _ZN7rocprim17ROCPRIM_400000_NS6detail17trampoline_kernelINS0_13select_configILj256ELj13ELNS0_17block_load_methodE3ELS4_3ELS4_3ELNS0_20block_scan_algorithmE0ELj4294967295EEENS1_25partition_config_selectorILNS1_17partition_subalgoE4EjNS0_10empty_typeEbEEZZNS1_14partition_implILS8_4ELb0ES6_15HIP_vector_typeIjLj2EENS0_17counting_iteratorIjlEEPS9_SG_NS0_5tupleIJPjSI_NS0_16reverse_iteratorISI_EEEEENSH_IJSG_SG_SG_EEES9_SI_JZNS1_25segmented_radix_sort_implINS0_14default_configELb1EPK12hip_bfloat16PSP_PKlPlN2at6native12_GLOBAL__N_18offset_tEEE10hipError_tPvRmT1_PNSt15iterator_traitsIS13_E10value_typeET2_T3_PNS14_IS19_E10value_typeET4_jRbjT5_S1F_jjP12ihipStream_tbEUljE_ZNSN_ISO_Lb1ESR_SS_SU_SV_SZ_EES10_S11_S12_S13_S17_S18_S19_S1C_S1D_jS1E_jS1F_S1F_jjS1H_bEUljE0_EEES10_S11_S12_S19_S1D_S1F_T6_T7_T9_mT8_S1H_bDpT10_ENKUlT_T0_E_clISt17integral_constantIbLb1EES1U_IbLb0EEEEDaS1Q_S1R_EUlS1Q_E_NS1_11comp_targetILNS1_3genE2ELNS1_11target_archE906ELNS1_3gpuE6ELNS1_3repE0EEENS1_30default_config_static_selectorELNS0_4arch9wavefront6targetE0EEEvS13_.has_dyn_sized_stack, 0
	.set _ZN7rocprim17ROCPRIM_400000_NS6detail17trampoline_kernelINS0_13select_configILj256ELj13ELNS0_17block_load_methodE3ELS4_3ELS4_3ELNS0_20block_scan_algorithmE0ELj4294967295EEENS1_25partition_config_selectorILNS1_17partition_subalgoE4EjNS0_10empty_typeEbEEZZNS1_14partition_implILS8_4ELb0ES6_15HIP_vector_typeIjLj2EENS0_17counting_iteratorIjlEEPS9_SG_NS0_5tupleIJPjSI_NS0_16reverse_iteratorISI_EEEEENSH_IJSG_SG_SG_EEES9_SI_JZNS1_25segmented_radix_sort_implINS0_14default_configELb1EPK12hip_bfloat16PSP_PKlPlN2at6native12_GLOBAL__N_18offset_tEEE10hipError_tPvRmT1_PNSt15iterator_traitsIS13_E10value_typeET2_T3_PNS14_IS19_E10value_typeET4_jRbjT5_S1F_jjP12ihipStream_tbEUljE_ZNSN_ISO_Lb1ESR_SS_SU_SV_SZ_EES10_S11_S12_S13_S17_S18_S19_S1C_S1D_jS1E_jS1F_S1F_jjS1H_bEUljE0_EEES10_S11_S12_S19_S1D_S1F_T6_T7_T9_mT8_S1H_bDpT10_ENKUlT_T0_E_clISt17integral_constantIbLb1EES1U_IbLb0EEEEDaS1Q_S1R_EUlS1Q_E_NS1_11comp_targetILNS1_3genE2ELNS1_11target_archE906ELNS1_3gpuE6ELNS1_3repE0EEENS1_30default_config_static_selectorELNS0_4arch9wavefront6targetE0EEEvS13_.has_recursion, 0
	.set _ZN7rocprim17ROCPRIM_400000_NS6detail17trampoline_kernelINS0_13select_configILj256ELj13ELNS0_17block_load_methodE3ELS4_3ELS4_3ELNS0_20block_scan_algorithmE0ELj4294967295EEENS1_25partition_config_selectorILNS1_17partition_subalgoE4EjNS0_10empty_typeEbEEZZNS1_14partition_implILS8_4ELb0ES6_15HIP_vector_typeIjLj2EENS0_17counting_iteratorIjlEEPS9_SG_NS0_5tupleIJPjSI_NS0_16reverse_iteratorISI_EEEEENSH_IJSG_SG_SG_EEES9_SI_JZNS1_25segmented_radix_sort_implINS0_14default_configELb1EPK12hip_bfloat16PSP_PKlPlN2at6native12_GLOBAL__N_18offset_tEEE10hipError_tPvRmT1_PNSt15iterator_traitsIS13_E10value_typeET2_T3_PNS14_IS19_E10value_typeET4_jRbjT5_S1F_jjP12ihipStream_tbEUljE_ZNSN_ISO_Lb1ESR_SS_SU_SV_SZ_EES10_S11_S12_S13_S17_S18_S19_S1C_S1D_jS1E_jS1F_S1F_jjS1H_bEUljE0_EEES10_S11_S12_S19_S1D_S1F_T6_T7_T9_mT8_S1H_bDpT10_ENKUlT_T0_E_clISt17integral_constantIbLb1EES1U_IbLb0EEEEDaS1Q_S1R_EUlS1Q_E_NS1_11comp_targetILNS1_3genE2ELNS1_11target_archE906ELNS1_3gpuE6ELNS1_3repE0EEENS1_30default_config_static_selectorELNS0_4arch9wavefront6targetE0EEEvS13_.has_indirect_call, 0
	.section	.AMDGPU.csdata,"",@progbits
; Kernel info:
; codeLenInByte = 0
; TotalNumSgprs: 0
; NumVgprs: 0
; ScratchSize: 0
; MemoryBound: 0
; FloatMode: 240
; IeeeMode: 1
; LDSByteSize: 0 bytes/workgroup (compile time only)
; SGPRBlocks: 0
; VGPRBlocks: 0
; NumSGPRsForWavesPerEU: 1
; NumVGPRsForWavesPerEU: 1
; Occupancy: 16
; WaveLimiterHint : 0
; COMPUTE_PGM_RSRC2:SCRATCH_EN: 0
; COMPUTE_PGM_RSRC2:USER_SGPR: 2
; COMPUTE_PGM_RSRC2:TRAP_HANDLER: 0
; COMPUTE_PGM_RSRC2:TGID_X_EN: 1
; COMPUTE_PGM_RSRC2:TGID_Y_EN: 0
; COMPUTE_PGM_RSRC2:TGID_Z_EN: 0
; COMPUTE_PGM_RSRC2:TIDIG_COMP_CNT: 0
	.section	.text._ZN7rocprim17ROCPRIM_400000_NS6detail17trampoline_kernelINS0_13select_configILj256ELj13ELNS0_17block_load_methodE3ELS4_3ELS4_3ELNS0_20block_scan_algorithmE0ELj4294967295EEENS1_25partition_config_selectorILNS1_17partition_subalgoE4EjNS0_10empty_typeEbEEZZNS1_14partition_implILS8_4ELb0ES6_15HIP_vector_typeIjLj2EENS0_17counting_iteratorIjlEEPS9_SG_NS0_5tupleIJPjSI_NS0_16reverse_iteratorISI_EEEEENSH_IJSG_SG_SG_EEES9_SI_JZNS1_25segmented_radix_sort_implINS0_14default_configELb1EPK12hip_bfloat16PSP_PKlPlN2at6native12_GLOBAL__N_18offset_tEEE10hipError_tPvRmT1_PNSt15iterator_traitsIS13_E10value_typeET2_T3_PNS14_IS19_E10value_typeET4_jRbjT5_S1F_jjP12ihipStream_tbEUljE_ZNSN_ISO_Lb1ESR_SS_SU_SV_SZ_EES10_S11_S12_S13_S17_S18_S19_S1C_S1D_jS1E_jS1F_S1F_jjS1H_bEUljE0_EEES10_S11_S12_S19_S1D_S1F_T6_T7_T9_mT8_S1H_bDpT10_ENKUlT_T0_E_clISt17integral_constantIbLb1EES1U_IbLb0EEEEDaS1Q_S1R_EUlS1Q_E_NS1_11comp_targetILNS1_3genE10ELNS1_11target_archE1200ELNS1_3gpuE4ELNS1_3repE0EEENS1_30default_config_static_selectorELNS0_4arch9wavefront6targetE0EEEvS13_,"axG",@progbits,_ZN7rocprim17ROCPRIM_400000_NS6detail17trampoline_kernelINS0_13select_configILj256ELj13ELNS0_17block_load_methodE3ELS4_3ELS4_3ELNS0_20block_scan_algorithmE0ELj4294967295EEENS1_25partition_config_selectorILNS1_17partition_subalgoE4EjNS0_10empty_typeEbEEZZNS1_14partition_implILS8_4ELb0ES6_15HIP_vector_typeIjLj2EENS0_17counting_iteratorIjlEEPS9_SG_NS0_5tupleIJPjSI_NS0_16reverse_iteratorISI_EEEEENSH_IJSG_SG_SG_EEES9_SI_JZNS1_25segmented_radix_sort_implINS0_14default_configELb1EPK12hip_bfloat16PSP_PKlPlN2at6native12_GLOBAL__N_18offset_tEEE10hipError_tPvRmT1_PNSt15iterator_traitsIS13_E10value_typeET2_T3_PNS14_IS19_E10value_typeET4_jRbjT5_S1F_jjP12ihipStream_tbEUljE_ZNSN_ISO_Lb1ESR_SS_SU_SV_SZ_EES10_S11_S12_S13_S17_S18_S19_S1C_S1D_jS1E_jS1F_S1F_jjS1H_bEUljE0_EEES10_S11_S12_S19_S1D_S1F_T6_T7_T9_mT8_S1H_bDpT10_ENKUlT_T0_E_clISt17integral_constantIbLb1EES1U_IbLb0EEEEDaS1Q_S1R_EUlS1Q_E_NS1_11comp_targetILNS1_3genE10ELNS1_11target_archE1200ELNS1_3gpuE4ELNS1_3repE0EEENS1_30default_config_static_selectorELNS0_4arch9wavefront6targetE0EEEvS13_,comdat
	.globl	_ZN7rocprim17ROCPRIM_400000_NS6detail17trampoline_kernelINS0_13select_configILj256ELj13ELNS0_17block_load_methodE3ELS4_3ELS4_3ELNS0_20block_scan_algorithmE0ELj4294967295EEENS1_25partition_config_selectorILNS1_17partition_subalgoE4EjNS0_10empty_typeEbEEZZNS1_14partition_implILS8_4ELb0ES6_15HIP_vector_typeIjLj2EENS0_17counting_iteratorIjlEEPS9_SG_NS0_5tupleIJPjSI_NS0_16reverse_iteratorISI_EEEEENSH_IJSG_SG_SG_EEES9_SI_JZNS1_25segmented_radix_sort_implINS0_14default_configELb1EPK12hip_bfloat16PSP_PKlPlN2at6native12_GLOBAL__N_18offset_tEEE10hipError_tPvRmT1_PNSt15iterator_traitsIS13_E10value_typeET2_T3_PNS14_IS19_E10value_typeET4_jRbjT5_S1F_jjP12ihipStream_tbEUljE_ZNSN_ISO_Lb1ESR_SS_SU_SV_SZ_EES10_S11_S12_S13_S17_S18_S19_S1C_S1D_jS1E_jS1F_S1F_jjS1H_bEUljE0_EEES10_S11_S12_S19_S1D_S1F_T6_T7_T9_mT8_S1H_bDpT10_ENKUlT_T0_E_clISt17integral_constantIbLb1EES1U_IbLb0EEEEDaS1Q_S1R_EUlS1Q_E_NS1_11comp_targetILNS1_3genE10ELNS1_11target_archE1200ELNS1_3gpuE4ELNS1_3repE0EEENS1_30default_config_static_selectorELNS0_4arch9wavefront6targetE0EEEvS13_ ; -- Begin function _ZN7rocprim17ROCPRIM_400000_NS6detail17trampoline_kernelINS0_13select_configILj256ELj13ELNS0_17block_load_methodE3ELS4_3ELS4_3ELNS0_20block_scan_algorithmE0ELj4294967295EEENS1_25partition_config_selectorILNS1_17partition_subalgoE4EjNS0_10empty_typeEbEEZZNS1_14partition_implILS8_4ELb0ES6_15HIP_vector_typeIjLj2EENS0_17counting_iteratorIjlEEPS9_SG_NS0_5tupleIJPjSI_NS0_16reverse_iteratorISI_EEEEENSH_IJSG_SG_SG_EEES9_SI_JZNS1_25segmented_radix_sort_implINS0_14default_configELb1EPK12hip_bfloat16PSP_PKlPlN2at6native12_GLOBAL__N_18offset_tEEE10hipError_tPvRmT1_PNSt15iterator_traitsIS13_E10value_typeET2_T3_PNS14_IS19_E10value_typeET4_jRbjT5_S1F_jjP12ihipStream_tbEUljE_ZNSN_ISO_Lb1ESR_SS_SU_SV_SZ_EES10_S11_S12_S13_S17_S18_S19_S1C_S1D_jS1E_jS1F_S1F_jjS1H_bEUljE0_EEES10_S11_S12_S19_S1D_S1F_T6_T7_T9_mT8_S1H_bDpT10_ENKUlT_T0_E_clISt17integral_constantIbLb1EES1U_IbLb0EEEEDaS1Q_S1R_EUlS1Q_E_NS1_11comp_targetILNS1_3genE10ELNS1_11target_archE1200ELNS1_3gpuE4ELNS1_3repE0EEENS1_30default_config_static_selectorELNS0_4arch9wavefront6targetE0EEEvS13_
	.p2align	8
	.type	_ZN7rocprim17ROCPRIM_400000_NS6detail17trampoline_kernelINS0_13select_configILj256ELj13ELNS0_17block_load_methodE3ELS4_3ELS4_3ELNS0_20block_scan_algorithmE0ELj4294967295EEENS1_25partition_config_selectorILNS1_17partition_subalgoE4EjNS0_10empty_typeEbEEZZNS1_14partition_implILS8_4ELb0ES6_15HIP_vector_typeIjLj2EENS0_17counting_iteratorIjlEEPS9_SG_NS0_5tupleIJPjSI_NS0_16reverse_iteratorISI_EEEEENSH_IJSG_SG_SG_EEES9_SI_JZNS1_25segmented_radix_sort_implINS0_14default_configELb1EPK12hip_bfloat16PSP_PKlPlN2at6native12_GLOBAL__N_18offset_tEEE10hipError_tPvRmT1_PNSt15iterator_traitsIS13_E10value_typeET2_T3_PNS14_IS19_E10value_typeET4_jRbjT5_S1F_jjP12ihipStream_tbEUljE_ZNSN_ISO_Lb1ESR_SS_SU_SV_SZ_EES10_S11_S12_S13_S17_S18_S19_S1C_S1D_jS1E_jS1F_S1F_jjS1H_bEUljE0_EEES10_S11_S12_S19_S1D_S1F_T6_T7_T9_mT8_S1H_bDpT10_ENKUlT_T0_E_clISt17integral_constantIbLb1EES1U_IbLb0EEEEDaS1Q_S1R_EUlS1Q_E_NS1_11comp_targetILNS1_3genE10ELNS1_11target_archE1200ELNS1_3gpuE4ELNS1_3repE0EEENS1_30default_config_static_selectorELNS0_4arch9wavefront6targetE0EEEvS13_,@function
_ZN7rocprim17ROCPRIM_400000_NS6detail17trampoline_kernelINS0_13select_configILj256ELj13ELNS0_17block_load_methodE3ELS4_3ELS4_3ELNS0_20block_scan_algorithmE0ELj4294967295EEENS1_25partition_config_selectorILNS1_17partition_subalgoE4EjNS0_10empty_typeEbEEZZNS1_14partition_implILS8_4ELb0ES6_15HIP_vector_typeIjLj2EENS0_17counting_iteratorIjlEEPS9_SG_NS0_5tupleIJPjSI_NS0_16reverse_iteratorISI_EEEEENSH_IJSG_SG_SG_EEES9_SI_JZNS1_25segmented_radix_sort_implINS0_14default_configELb1EPK12hip_bfloat16PSP_PKlPlN2at6native12_GLOBAL__N_18offset_tEEE10hipError_tPvRmT1_PNSt15iterator_traitsIS13_E10value_typeET2_T3_PNS14_IS19_E10value_typeET4_jRbjT5_S1F_jjP12ihipStream_tbEUljE_ZNSN_ISO_Lb1ESR_SS_SU_SV_SZ_EES10_S11_S12_S13_S17_S18_S19_S1C_S1D_jS1E_jS1F_S1F_jjS1H_bEUljE0_EEES10_S11_S12_S19_S1D_S1F_T6_T7_T9_mT8_S1H_bDpT10_ENKUlT_T0_E_clISt17integral_constantIbLb1EES1U_IbLb0EEEEDaS1Q_S1R_EUlS1Q_E_NS1_11comp_targetILNS1_3genE10ELNS1_11target_archE1200ELNS1_3gpuE4ELNS1_3repE0EEENS1_30default_config_static_selectorELNS0_4arch9wavefront6targetE0EEEvS13_: ; @_ZN7rocprim17ROCPRIM_400000_NS6detail17trampoline_kernelINS0_13select_configILj256ELj13ELNS0_17block_load_methodE3ELS4_3ELS4_3ELNS0_20block_scan_algorithmE0ELj4294967295EEENS1_25partition_config_selectorILNS1_17partition_subalgoE4EjNS0_10empty_typeEbEEZZNS1_14partition_implILS8_4ELb0ES6_15HIP_vector_typeIjLj2EENS0_17counting_iteratorIjlEEPS9_SG_NS0_5tupleIJPjSI_NS0_16reverse_iteratorISI_EEEEENSH_IJSG_SG_SG_EEES9_SI_JZNS1_25segmented_radix_sort_implINS0_14default_configELb1EPK12hip_bfloat16PSP_PKlPlN2at6native12_GLOBAL__N_18offset_tEEE10hipError_tPvRmT1_PNSt15iterator_traitsIS13_E10value_typeET2_T3_PNS14_IS19_E10value_typeET4_jRbjT5_S1F_jjP12ihipStream_tbEUljE_ZNSN_ISO_Lb1ESR_SS_SU_SV_SZ_EES10_S11_S12_S13_S17_S18_S19_S1C_S1D_jS1E_jS1F_S1F_jjS1H_bEUljE0_EEES10_S11_S12_S19_S1D_S1F_T6_T7_T9_mT8_S1H_bDpT10_ENKUlT_T0_E_clISt17integral_constantIbLb1EES1U_IbLb0EEEEDaS1Q_S1R_EUlS1Q_E_NS1_11comp_targetILNS1_3genE10ELNS1_11target_archE1200ELNS1_3gpuE4ELNS1_3repE0EEENS1_30default_config_static_selectorELNS0_4arch9wavefront6targetE0EEEvS13_
; %bb.0:
	s_endpgm
	.section	.rodata,"a",@progbits
	.p2align	6, 0x0
	.amdhsa_kernel _ZN7rocprim17ROCPRIM_400000_NS6detail17trampoline_kernelINS0_13select_configILj256ELj13ELNS0_17block_load_methodE3ELS4_3ELS4_3ELNS0_20block_scan_algorithmE0ELj4294967295EEENS1_25partition_config_selectorILNS1_17partition_subalgoE4EjNS0_10empty_typeEbEEZZNS1_14partition_implILS8_4ELb0ES6_15HIP_vector_typeIjLj2EENS0_17counting_iteratorIjlEEPS9_SG_NS0_5tupleIJPjSI_NS0_16reverse_iteratorISI_EEEEENSH_IJSG_SG_SG_EEES9_SI_JZNS1_25segmented_radix_sort_implINS0_14default_configELb1EPK12hip_bfloat16PSP_PKlPlN2at6native12_GLOBAL__N_18offset_tEEE10hipError_tPvRmT1_PNSt15iterator_traitsIS13_E10value_typeET2_T3_PNS14_IS19_E10value_typeET4_jRbjT5_S1F_jjP12ihipStream_tbEUljE_ZNSN_ISO_Lb1ESR_SS_SU_SV_SZ_EES10_S11_S12_S13_S17_S18_S19_S1C_S1D_jS1E_jS1F_S1F_jjS1H_bEUljE0_EEES10_S11_S12_S19_S1D_S1F_T6_T7_T9_mT8_S1H_bDpT10_ENKUlT_T0_E_clISt17integral_constantIbLb1EES1U_IbLb0EEEEDaS1Q_S1R_EUlS1Q_E_NS1_11comp_targetILNS1_3genE10ELNS1_11target_archE1200ELNS1_3gpuE4ELNS1_3repE0EEENS1_30default_config_static_selectorELNS0_4arch9wavefront6targetE0EEEvS13_
		.amdhsa_group_segment_fixed_size 0
		.amdhsa_private_segment_fixed_size 0
		.amdhsa_kernarg_size 176
		.amdhsa_user_sgpr_count 2
		.amdhsa_user_sgpr_dispatch_ptr 0
		.amdhsa_user_sgpr_queue_ptr 0
		.amdhsa_user_sgpr_kernarg_segment_ptr 1
		.amdhsa_user_sgpr_dispatch_id 0
		.amdhsa_user_sgpr_private_segment_size 0
		.amdhsa_wavefront_size32 1
		.amdhsa_uses_dynamic_stack 0
		.amdhsa_enable_private_segment 0
		.amdhsa_system_sgpr_workgroup_id_x 1
		.amdhsa_system_sgpr_workgroup_id_y 0
		.amdhsa_system_sgpr_workgroup_id_z 0
		.amdhsa_system_sgpr_workgroup_info 0
		.amdhsa_system_vgpr_workitem_id 0
		.amdhsa_next_free_vgpr 1
		.amdhsa_next_free_sgpr 1
		.amdhsa_reserve_vcc 0
		.amdhsa_float_round_mode_32 0
		.amdhsa_float_round_mode_16_64 0
		.amdhsa_float_denorm_mode_32 3
		.amdhsa_float_denorm_mode_16_64 3
		.amdhsa_fp16_overflow 0
		.amdhsa_workgroup_processor_mode 1
		.amdhsa_memory_ordered 1
		.amdhsa_forward_progress 1
		.amdhsa_inst_pref_size 1
		.amdhsa_round_robin_scheduling 0
		.amdhsa_exception_fp_ieee_invalid_op 0
		.amdhsa_exception_fp_denorm_src 0
		.amdhsa_exception_fp_ieee_div_zero 0
		.amdhsa_exception_fp_ieee_overflow 0
		.amdhsa_exception_fp_ieee_underflow 0
		.amdhsa_exception_fp_ieee_inexact 0
		.amdhsa_exception_int_div_zero 0
	.end_amdhsa_kernel
	.section	.text._ZN7rocprim17ROCPRIM_400000_NS6detail17trampoline_kernelINS0_13select_configILj256ELj13ELNS0_17block_load_methodE3ELS4_3ELS4_3ELNS0_20block_scan_algorithmE0ELj4294967295EEENS1_25partition_config_selectorILNS1_17partition_subalgoE4EjNS0_10empty_typeEbEEZZNS1_14partition_implILS8_4ELb0ES6_15HIP_vector_typeIjLj2EENS0_17counting_iteratorIjlEEPS9_SG_NS0_5tupleIJPjSI_NS0_16reverse_iteratorISI_EEEEENSH_IJSG_SG_SG_EEES9_SI_JZNS1_25segmented_radix_sort_implINS0_14default_configELb1EPK12hip_bfloat16PSP_PKlPlN2at6native12_GLOBAL__N_18offset_tEEE10hipError_tPvRmT1_PNSt15iterator_traitsIS13_E10value_typeET2_T3_PNS14_IS19_E10value_typeET4_jRbjT5_S1F_jjP12ihipStream_tbEUljE_ZNSN_ISO_Lb1ESR_SS_SU_SV_SZ_EES10_S11_S12_S13_S17_S18_S19_S1C_S1D_jS1E_jS1F_S1F_jjS1H_bEUljE0_EEES10_S11_S12_S19_S1D_S1F_T6_T7_T9_mT8_S1H_bDpT10_ENKUlT_T0_E_clISt17integral_constantIbLb1EES1U_IbLb0EEEEDaS1Q_S1R_EUlS1Q_E_NS1_11comp_targetILNS1_3genE10ELNS1_11target_archE1200ELNS1_3gpuE4ELNS1_3repE0EEENS1_30default_config_static_selectorELNS0_4arch9wavefront6targetE0EEEvS13_,"axG",@progbits,_ZN7rocprim17ROCPRIM_400000_NS6detail17trampoline_kernelINS0_13select_configILj256ELj13ELNS0_17block_load_methodE3ELS4_3ELS4_3ELNS0_20block_scan_algorithmE0ELj4294967295EEENS1_25partition_config_selectorILNS1_17partition_subalgoE4EjNS0_10empty_typeEbEEZZNS1_14partition_implILS8_4ELb0ES6_15HIP_vector_typeIjLj2EENS0_17counting_iteratorIjlEEPS9_SG_NS0_5tupleIJPjSI_NS0_16reverse_iteratorISI_EEEEENSH_IJSG_SG_SG_EEES9_SI_JZNS1_25segmented_radix_sort_implINS0_14default_configELb1EPK12hip_bfloat16PSP_PKlPlN2at6native12_GLOBAL__N_18offset_tEEE10hipError_tPvRmT1_PNSt15iterator_traitsIS13_E10value_typeET2_T3_PNS14_IS19_E10value_typeET4_jRbjT5_S1F_jjP12ihipStream_tbEUljE_ZNSN_ISO_Lb1ESR_SS_SU_SV_SZ_EES10_S11_S12_S13_S17_S18_S19_S1C_S1D_jS1E_jS1F_S1F_jjS1H_bEUljE0_EEES10_S11_S12_S19_S1D_S1F_T6_T7_T9_mT8_S1H_bDpT10_ENKUlT_T0_E_clISt17integral_constantIbLb1EES1U_IbLb0EEEEDaS1Q_S1R_EUlS1Q_E_NS1_11comp_targetILNS1_3genE10ELNS1_11target_archE1200ELNS1_3gpuE4ELNS1_3repE0EEENS1_30default_config_static_selectorELNS0_4arch9wavefront6targetE0EEEvS13_,comdat
.Lfunc_end1903:
	.size	_ZN7rocprim17ROCPRIM_400000_NS6detail17trampoline_kernelINS0_13select_configILj256ELj13ELNS0_17block_load_methodE3ELS4_3ELS4_3ELNS0_20block_scan_algorithmE0ELj4294967295EEENS1_25partition_config_selectorILNS1_17partition_subalgoE4EjNS0_10empty_typeEbEEZZNS1_14partition_implILS8_4ELb0ES6_15HIP_vector_typeIjLj2EENS0_17counting_iteratorIjlEEPS9_SG_NS0_5tupleIJPjSI_NS0_16reverse_iteratorISI_EEEEENSH_IJSG_SG_SG_EEES9_SI_JZNS1_25segmented_radix_sort_implINS0_14default_configELb1EPK12hip_bfloat16PSP_PKlPlN2at6native12_GLOBAL__N_18offset_tEEE10hipError_tPvRmT1_PNSt15iterator_traitsIS13_E10value_typeET2_T3_PNS14_IS19_E10value_typeET4_jRbjT5_S1F_jjP12ihipStream_tbEUljE_ZNSN_ISO_Lb1ESR_SS_SU_SV_SZ_EES10_S11_S12_S13_S17_S18_S19_S1C_S1D_jS1E_jS1F_S1F_jjS1H_bEUljE0_EEES10_S11_S12_S19_S1D_S1F_T6_T7_T9_mT8_S1H_bDpT10_ENKUlT_T0_E_clISt17integral_constantIbLb1EES1U_IbLb0EEEEDaS1Q_S1R_EUlS1Q_E_NS1_11comp_targetILNS1_3genE10ELNS1_11target_archE1200ELNS1_3gpuE4ELNS1_3repE0EEENS1_30default_config_static_selectorELNS0_4arch9wavefront6targetE0EEEvS13_, .Lfunc_end1903-_ZN7rocprim17ROCPRIM_400000_NS6detail17trampoline_kernelINS0_13select_configILj256ELj13ELNS0_17block_load_methodE3ELS4_3ELS4_3ELNS0_20block_scan_algorithmE0ELj4294967295EEENS1_25partition_config_selectorILNS1_17partition_subalgoE4EjNS0_10empty_typeEbEEZZNS1_14partition_implILS8_4ELb0ES6_15HIP_vector_typeIjLj2EENS0_17counting_iteratorIjlEEPS9_SG_NS0_5tupleIJPjSI_NS0_16reverse_iteratorISI_EEEEENSH_IJSG_SG_SG_EEES9_SI_JZNS1_25segmented_radix_sort_implINS0_14default_configELb1EPK12hip_bfloat16PSP_PKlPlN2at6native12_GLOBAL__N_18offset_tEEE10hipError_tPvRmT1_PNSt15iterator_traitsIS13_E10value_typeET2_T3_PNS14_IS19_E10value_typeET4_jRbjT5_S1F_jjP12ihipStream_tbEUljE_ZNSN_ISO_Lb1ESR_SS_SU_SV_SZ_EES10_S11_S12_S13_S17_S18_S19_S1C_S1D_jS1E_jS1F_S1F_jjS1H_bEUljE0_EEES10_S11_S12_S19_S1D_S1F_T6_T7_T9_mT8_S1H_bDpT10_ENKUlT_T0_E_clISt17integral_constantIbLb1EES1U_IbLb0EEEEDaS1Q_S1R_EUlS1Q_E_NS1_11comp_targetILNS1_3genE10ELNS1_11target_archE1200ELNS1_3gpuE4ELNS1_3repE0EEENS1_30default_config_static_selectorELNS0_4arch9wavefront6targetE0EEEvS13_
                                        ; -- End function
	.set _ZN7rocprim17ROCPRIM_400000_NS6detail17trampoline_kernelINS0_13select_configILj256ELj13ELNS0_17block_load_methodE3ELS4_3ELS4_3ELNS0_20block_scan_algorithmE0ELj4294967295EEENS1_25partition_config_selectorILNS1_17partition_subalgoE4EjNS0_10empty_typeEbEEZZNS1_14partition_implILS8_4ELb0ES6_15HIP_vector_typeIjLj2EENS0_17counting_iteratorIjlEEPS9_SG_NS0_5tupleIJPjSI_NS0_16reverse_iteratorISI_EEEEENSH_IJSG_SG_SG_EEES9_SI_JZNS1_25segmented_radix_sort_implINS0_14default_configELb1EPK12hip_bfloat16PSP_PKlPlN2at6native12_GLOBAL__N_18offset_tEEE10hipError_tPvRmT1_PNSt15iterator_traitsIS13_E10value_typeET2_T3_PNS14_IS19_E10value_typeET4_jRbjT5_S1F_jjP12ihipStream_tbEUljE_ZNSN_ISO_Lb1ESR_SS_SU_SV_SZ_EES10_S11_S12_S13_S17_S18_S19_S1C_S1D_jS1E_jS1F_S1F_jjS1H_bEUljE0_EEES10_S11_S12_S19_S1D_S1F_T6_T7_T9_mT8_S1H_bDpT10_ENKUlT_T0_E_clISt17integral_constantIbLb1EES1U_IbLb0EEEEDaS1Q_S1R_EUlS1Q_E_NS1_11comp_targetILNS1_3genE10ELNS1_11target_archE1200ELNS1_3gpuE4ELNS1_3repE0EEENS1_30default_config_static_selectorELNS0_4arch9wavefront6targetE0EEEvS13_.num_vgpr, 0
	.set _ZN7rocprim17ROCPRIM_400000_NS6detail17trampoline_kernelINS0_13select_configILj256ELj13ELNS0_17block_load_methodE3ELS4_3ELS4_3ELNS0_20block_scan_algorithmE0ELj4294967295EEENS1_25partition_config_selectorILNS1_17partition_subalgoE4EjNS0_10empty_typeEbEEZZNS1_14partition_implILS8_4ELb0ES6_15HIP_vector_typeIjLj2EENS0_17counting_iteratorIjlEEPS9_SG_NS0_5tupleIJPjSI_NS0_16reverse_iteratorISI_EEEEENSH_IJSG_SG_SG_EEES9_SI_JZNS1_25segmented_radix_sort_implINS0_14default_configELb1EPK12hip_bfloat16PSP_PKlPlN2at6native12_GLOBAL__N_18offset_tEEE10hipError_tPvRmT1_PNSt15iterator_traitsIS13_E10value_typeET2_T3_PNS14_IS19_E10value_typeET4_jRbjT5_S1F_jjP12ihipStream_tbEUljE_ZNSN_ISO_Lb1ESR_SS_SU_SV_SZ_EES10_S11_S12_S13_S17_S18_S19_S1C_S1D_jS1E_jS1F_S1F_jjS1H_bEUljE0_EEES10_S11_S12_S19_S1D_S1F_T6_T7_T9_mT8_S1H_bDpT10_ENKUlT_T0_E_clISt17integral_constantIbLb1EES1U_IbLb0EEEEDaS1Q_S1R_EUlS1Q_E_NS1_11comp_targetILNS1_3genE10ELNS1_11target_archE1200ELNS1_3gpuE4ELNS1_3repE0EEENS1_30default_config_static_selectorELNS0_4arch9wavefront6targetE0EEEvS13_.num_agpr, 0
	.set _ZN7rocprim17ROCPRIM_400000_NS6detail17trampoline_kernelINS0_13select_configILj256ELj13ELNS0_17block_load_methodE3ELS4_3ELS4_3ELNS0_20block_scan_algorithmE0ELj4294967295EEENS1_25partition_config_selectorILNS1_17partition_subalgoE4EjNS0_10empty_typeEbEEZZNS1_14partition_implILS8_4ELb0ES6_15HIP_vector_typeIjLj2EENS0_17counting_iteratorIjlEEPS9_SG_NS0_5tupleIJPjSI_NS0_16reverse_iteratorISI_EEEEENSH_IJSG_SG_SG_EEES9_SI_JZNS1_25segmented_radix_sort_implINS0_14default_configELb1EPK12hip_bfloat16PSP_PKlPlN2at6native12_GLOBAL__N_18offset_tEEE10hipError_tPvRmT1_PNSt15iterator_traitsIS13_E10value_typeET2_T3_PNS14_IS19_E10value_typeET4_jRbjT5_S1F_jjP12ihipStream_tbEUljE_ZNSN_ISO_Lb1ESR_SS_SU_SV_SZ_EES10_S11_S12_S13_S17_S18_S19_S1C_S1D_jS1E_jS1F_S1F_jjS1H_bEUljE0_EEES10_S11_S12_S19_S1D_S1F_T6_T7_T9_mT8_S1H_bDpT10_ENKUlT_T0_E_clISt17integral_constantIbLb1EES1U_IbLb0EEEEDaS1Q_S1R_EUlS1Q_E_NS1_11comp_targetILNS1_3genE10ELNS1_11target_archE1200ELNS1_3gpuE4ELNS1_3repE0EEENS1_30default_config_static_selectorELNS0_4arch9wavefront6targetE0EEEvS13_.numbered_sgpr, 0
	.set _ZN7rocprim17ROCPRIM_400000_NS6detail17trampoline_kernelINS0_13select_configILj256ELj13ELNS0_17block_load_methodE3ELS4_3ELS4_3ELNS0_20block_scan_algorithmE0ELj4294967295EEENS1_25partition_config_selectorILNS1_17partition_subalgoE4EjNS0_10empty_typeEbEEZZNS1_14partition_implILS8_4ELb0ES6_15HIP_vector_typeIjLj2EENS0_17counting_iteratorIjlEEPS9_SG_NS0_5tupleIJPjSI_NS0_16reverse_iteratorISI_EEEEENSH_IJSG_SG_SG_EEES9_SI_JZNS1_25segmented_radix_sort_implINS0_14default_configELb1EPK12hip_bfloat16PSP_PKlPlN2at6native12_GLOBAL__N_18offset_tEEE10hipError_tPvRmT1_PNSt15iterator_traitsIS13_E10value_typeET2_T3_PNS14_IS19_E10value_typeET4_jRbjT5_S1F_jjP12ihipStream_tbEUljE_ZNSN_ISO_Lb1ESR_SS_SU_SV_SZ_EES10_S11_S12_S13_S17_S18_S19_S1C_S1D_jS1E_jS1F_S1F_jjS1H_bEUljE0_EEES10_S11_S12_S19_S1D_S1F_T6_T7_T9_mT8_S1H_bDpT10_ENKUlT_T0_E_clISt17integral_constantIbLb1EES1U_IbLb0EEEEDaS1Q_S1R_EUlS1Q_E_NS1_11comp_targetILNS1_3genE10ELNS1_11target_archE1200ELNS1_3gpuE4ELNS1_3repE0EEENS1_30default_config_static_selectorELNS0_4arch9wavefront6targetE0EEEvS13_.num_named_barrier, 0
	.set _ZN7rocprim17ROCPRIM_400000_NS6detail17trampoline_kernelINS0_13select_configILj256ELj13ELNS0_17block_load_methodE3ELS4_3ELS4_3ELNS0_20block_scan_algorithmE0ELj4294967295EEENS1_25partition_config_selectorILNS1_17partition_subalgoE4EjNS0_10empty_typeEbEEZZNS1_14partition_implILS8_4ELb0ES6_15HIP_vector_typeIjLj2EENS0_17counting_iteratorIjlEEPS9_SG_NS0_5tupleIJPjSI_NS0_16reverse_iteratorISI_EEEEENSH_IJSG_SG_SG_EEES9_SI_JZNS1_25segmented_radix_sort_implINS0_14default_configELb1EPK12hip_bfloat16PSP_PKlPlN2at6native12_GLOBAL__N_18offset_tEEE10hipError_tPvRmT1_PNSt15iterator_traitsIS13_E10value_typeET2_T3_PNS14_IS19_E10value_typeET4_jRbjT5_S1F_jjP12ihipStream_tbEUljE_ZNSN_ISO_Lb1ESR_SS_SU_SV_SZ_EES10_S11_S12_S13_S17_S18_S19_S1C_S1D_jS1E_jS1F_S1F_jjS1H_bEUljE0_EEES10_S11_S12_S19_S1D_S1F_T6_T7_T9_mT8_S1H_bDpT10_ENKUlT_T0_E_clISt17integral_constantIbLb1EES1U_IbLb0EEEEDaS1Q_S1R_EUlS1Q_E_NS1_11comp_targetILNS1_3genE10ELNS1_11target_archE1200ELNS1_3gpuE4ELNS1_3repE0EEENS1_30default_config_static_selectorELNS0_4arch9wavefront6targetE0EEEvS13_.private_seg_size, 0
	.set _ZN7rocprim17ROCPRIM_400000_NS6detail17trampoline_kernelINS0_13select_configILj256ELj13ELNS0_17block_load_methodE3ELS4_3ELS4_3ELNS0_20block_scan_algorithmE0ELj4294967295EEENS1_25partition_config_selectorILNS1_17partition_subalgoE4EjNS0_10empty_typeEbEEZZNS1_14partition_implILS8_4ELb0ES6_15HIP_vector_typeIjLj2EENS0_17counting_iteratorIjlEEPS9_SG_NS0_5tupleIJPjSI_NS0_16reverse_iteratorISI_EEEEENSH_IJSG_SG_SG_EEES9_SI_JZNS1_25segmented_radix_sort_implINS0_14default_configELb1EPK12hip_bfloat16PSP_PKlPlN2at6native12_GLOBAL__N_18offset_tEEE10hipError_tPvRmT1_PNSt15iterator_traitsIS13_E10value_typeET2_T3_PNS14_IS19_E10value_typeET4_jRbjT5_S1F_jjP12ihipStream_tbEUljE_ZNSN_ISO_Lb1ESR_SS_SU_SV_SZ_EES10_S11_S12_S13_S17_S18_S19_S1C_S1D_jS1E_jS1F_S1F_jjS1H_bEUljE0_EEES10_S11_S12_S19_S1D_S1F_T6_T7_T9_mT8_S1H_bDpT10_ENKUlT_T0_E_clISt17integral_constantIbLb1EES1U_IbLb0EEEEDaS1Q_S1R_EUlS1Q_E_NS1_11comp_targetILNS1_3genE10ELNS1_11target_archE1200ELNS1_3gpuE4ELNS1_3repE0EEENS1_30default_config_static_selectorELNS0_4arch9wavefront6targetE0EEEvS13_.uses_vcc, 0
	.set _ZN7rocprim17ROCPRIM_400000_NS6detail17trampoline_kernelINS0_13select_configILj256ELj13ELNS0_17block_load_methodE3ELS4_3ELS4_3ELNS0_20block_scan_algorithmE0ELj4294967295EEENS1_25partition_config_selectorILNS1_17partition_subalgoE4EjNS0_10empty_typeEbEEZZNS1_14partition_implILS8_4ELb0ES6_15HIP_vector_typeIjLj2EENS0_17counting_iteratorIjlEEPS9_SG_NS0_5tupleIJPjSI_NS0_16reverse_iteratorISI_EEEEENSH_IJSG_SG_SG_EEES9_SI_JZNS1_25segmented_radix_sort_implINS0_14default_configELb1EPK12hip_bfloat16PSP_PKlPlN2at6native12_GLOBAL__N_18offset_tEEE10hipError_tPvRmT1_PNSt15iterator_traitsIS13_E10value_typeET2_T3_PNS14_IS19_E10value_typeET4_jRbjT5_S1F_jjP12ihipStream_tbEUljE_ZNSN_ISO_Lb1ESR_SS_SU_SV_SZ_EES10_S11_S12_S13_S17_S18_S19_S1C_S1D_jS1E_jS1F_S1F_jjS1H_bEUljE0_EEES10_S11_S12_S19_S1D_S1F_T6_T7_T9_mT8_S1H_bDpT10_ENKUlT_T0_E_clISt17integral_constantIbLb1EES1U_IbLb0EEEEDaS1Q_S1R_EUlS1Q_E_NS1_11comp_targetILNS1_3genE10ELNS1_11target_archE1200ELNS1_3gpuE4ELNS1_3repE0EEENS1_30default_config_static_selectorELNS0_4arch9wavefront6targetE0EEEvS13_.uses_flat_scratch, 0
	.set _ZN7rocprim17ROCPRIM_400000_NS6detail17trampoline_kernelINS0_13select_configILj256ELj13ELNS0_17block_load_methodE3ELS4_3ELS4_3ELNS0_20block_scan_algorithmE0ELj4294967295EEENS1_25partition_config_selectorILNS1_17partition_subalgoE4EjNS0_10empty_typeEbEEZZNS1_14partition_implILS8_4ELb0ES6_15HIP_vector_typeIjLj2EENS0_17counting_iteratorIjlEEPS9_SG_NS0_5tupleIJPjSI_NS0_16reverse_iteratorISI_EEEEENSH_IJSG_SG_SG_EEES9_SI_JZNS1_25segmented_radix_sort_implINS0_14default_configELb1EPK12hip_bfloat16PSP_PKlPlN2at6native12_GLOBAL__N_18offset_tEEE10hipError_tPvRmT1_PNSt15iterator_traitsIS13_E10value_typeET2_T3_PNS14_IS19_E10value_typeET4_jRbjT5_S1F_jjP12ihipStream_tbEUljE_ZNSN_ISO_Lb1ESR_SS_SU_SV_SZ_EES10_S11_S12_S13_S17_S18_S19_S1C_S1D_jS1E_jS1F_S1F_jjS1H_bEUljE0_EEES10_S11_S12_S19_S1D_S1F_T6_T7_T9_mT8_S1H_bDpT10_ENKUlT_T0_E_clISt17integral_constantIbLb1EES1U_IbLb0EEEEDaS1Q_S1R_EUlS1Q_E_NS1_11comp_targetILNS1_3genE10ELNS1_11target_archE1200ELNS1_3gpuE4ELNS1_3repE0EEENS1_30default_config_static_selectorELNS0_4arch9wavefront6targetE0EEEvS13_.has_dyn_sized_stack, 0
	.set _ZN7rocprim17ROCPRIM_400000_NS6detail17trampoline_kernelINS0_13select_configILj256ELj13ELNS0_17block_load_methodE3ELS4_3ELS4_3ELNS0_20block_scan_algorithmE0ELj4294967295EEENS1_25partition_config_selectorILNS1_17partition_subalgoE4EjNS0_10empty_typeEbEEZZNS1_14partition_implILS8_4ELb0ES6_15HIP_vector_typeIjLj2EENS0_17counting_iteratorIjlEEPS9_SG_NS0_5tupleIJPjSI_NS0_16reverse_iteratorISI_EEEEENSH_IJSG_SG_SG_EEES9_SI_JZNS1_25segmented_radix_sort_implINS0_14default_configELb1EPK12hip_bfloat16PSP_PKlPlN2at6native12_GLOBAL__N_18offset_tEEE10hipError_tPvRmT1_PNSt15iterator_traitsIS13_E10value_typeET2_T3_PNS14_IS19_E10value_typeET4_jRbjT5_S1F_jjP12ihipStream_tbEUljE_ZNSN_ISO_Lb1ESR_SS_SU_SV_SZ_EES10_S11_S12_S13_S17_S18_S19_S1C_S1D_jS1E_jS1F_S1F_jjS1H_bEUljE0_EEES10_S11_S12_S19_S1D_S1F_T6_T7_T9_mT8_S1H_bDpT10_ENKUlT_T0_E_clISt17integral_constantIbLb1EES1U_IbLb0EEEEDaS1Q_S1R_EUlS1Q_E_NS1_11comp_targetILNS1_3genE10ELNS1_11target_archE1200ELNS1_3gpuE4ELNS1_3repE0EEENS1_30default_config_static_selectorELNS0_4arch9wavefront6targetE0EEEvS13_.has_recursion, 0
	.set _ZN7rocprim17ROCPRIM_400000_NS6detail17trampoline_kernelINS0_13select_configILj256ELj13ELNS0_17block_load_methodE3ELS4_3ELS4_3ELNS0_20block_scan_algorithmE0ELj4294967295EEENS1_25partition_config_selectorILNS1_17partition_subalgoE4EjNS0_10empty_typeEbEEZZNS1_14partition_implILS8_4ELb0ES6_15HIP_vector_typeIjLj2EENS0_17counting_iteratorIjlEEPS9_SG_NS0_5tupleIJPjSI_NS0_16reverse_iteratorISI_EEEEENSH_IJSG_SG_SG_EEES9_SI_JZNS1_25segmented_radix_sort_implINS0_14default_configELb1EPK12hip_bfloat16PSP_PKlPlN2at6native12_GLOBAL__N_18offset_tEEE10hipError_tPvRmT1_PNSt15iterator_traitsIS13_E10value_typeET2_T3_PNS14_IS19_E10value_typeET4_jRbjT5_S1F_jjP12ihipStream_tbEUljE_ZNSN_ISO_Lb1ESR_SS_SU_SV_SZ_EES10_S11_S12_S13_S17_S18_S19_S1C_S1D_jS1E_jS1F_S1F_jjS1H_bEUljE0_EEES10_S11_S12_S19_S1D_S1F_T6_T7_T9_mT8_S1H_bDpT10_ENKUlT_T0_E_clISt17integral_constantIbLb1EES1U_IbLb0EEEEDaS1Q_S1R_EUlS1Q_E_NS1_11comp_targetILNS1_3genE10ELNS1_11target_archE1200ELNS1_3gpuE4ELNS1_3repE0EEENS1_30default_config_static_selectorELNS0_4arch9wavefront6targetE0EEEvS13_.has_indirect_call, 0
	.section	.AMDGPU.csdata,"",@progbits
; Kernel info:
; codeLenInByte = 4
; TotalNumSgprs: 0
; NumVgprs: 0
; ScratchSize: 0
; MemoryBound: 0
; FloatMode: 240
; IeeeMode: 1
; LDSByteSize: 0 bytes/workgroup (compile time only)
; SGPRBlocks: 0
; VGPRBlocks: 0
; NumSGPRsForWavesPerEU: 1
; NumVGPRsForWavesPerEU: 1
; Occupancy: 16
; WaveLimiterHint : 0
; COMPUTE_PGM_RSRC2:SCRATCH_EN: 0
; COMPUTE_PGM_RSRC2:USER_SGPR: 2
; COMPUTE_PGM_RSRC2:TRAP_HANDLER: 0
; COMPUTE_PGM_RSRC2:TGID_X_EN: 1
; COMPUTE_PGM_RSRC2:TGID_Y_EN: 0
; COMPUTE_PGM_RSRC2:TGID_Z_EN: 0
; COMPUTE_PGM_RSRC2:TIDIG_COMP_CNT: 0
	.section	.text._ZN7rocprim17ROCPRIM_400000_NS6detail17trampoline_kernelINS0_13select_configILj256ELj13ELNS0_17block_load_methodE3ELS4_3ELS4_3ELNS0_20block_scan_algorithmE0ELj4294967295EEENS1_25partition_config_selectorILNS1_17partition_subalgoE4EjNS0_10empty_typeEbEEZZNS1_14partition_implILS8_4ELb0ES6_15HIP_vector_typeIjLj2EENS0_17counting_iteratorIjlEEPS9_SG_NS0_5tupleIJPjSI_NS0_16reverse_iteratorISI_EEEEENSH_IJSG_SG_SG_EEES9_SI_JZNS1_25segmented_radix_sort_implINS0_14default_configELb1EPK12hip_bfloat16PSP_PKlPlN2at6native12_GLOBAL__N_18offset_tEEE10hipError_tPvRmT1_PNSt15iterator_traitsIS13_E10value_typeET2_T3_PNS14_IS19_E10value_typeET4_jRbjT5_S1F_jjP12ihipStream_tbEUljE_ZNSN_ISO_Lb1ESR_SS_SU_SV_SZ_EES10_S11_S12_S13_S17_S18_S19_S1C_S1D_jS1E_jS1F_S1F_jjS1H_bEUljE0_EEES10_S11_S12_S19_S1D_S1F_T6_T7_T9_mT8_S1H_bDpT10_ENKUlT_T0_E_clISt17integral_constantIbLb1EES1U_IbLb0EEEEDaS1Q_S1R_EUlS1Q_E_NS1_11comp_targetILNS1_3genE9ELNS1_11target_archE1100ELNS1_3gpuE3ELNS1_3repE0EEENS1_30default_config_static_selectorELNS0_4arch9wavefront6targetE0EEEvS13_,"axG",@progbits,_ZN7rocprim17ROCPRIM_400000_NS6detail17trampoline_kernelINS0_13select_configILj256ELj13ELNS0_17block_load_methodE3ELS4_3ELS4_3ELNS0_20block_scan_algorithmE0ELj4294967295EEENS1_25partition_config_selectorILNS1_17partition_subalgoE4EjNS0_10empty_typeEbEEZZNS1_14partition_implILS8_4ELb0ES6_15HIP_vector_typeIjLj2EENS0_17counting_iteratorIjlEEPS9_SG_NS0_5tupleIJPjSI_NS0_16reverse_iteratorISI_EEEEENSH_IJSG_SG_SG_EEES9_SI_JZNS1_25segmented_radix_sort_implINS0_14default_configELb1EPK12hip_bfloat16PSP_PKlPlN2at6native12_GLOBAL__N_18offset_tEEE10hipError_tPvRmT1_PNSt15iterator_traitsIS13_E10value_typeET2_T3_PNS14_IS19_E10value_typeET4_jRbjT5_S1F_jjP12ihipStream_tbEUljE_ZNSN_ISO_Lb1ESR_SS_SU_SV_SZ_EES10_S11_S12_S13_S17_S18_S19_S1C_S1D_jS1E_jS1F_S1F_jjS1H_bEUljE0_EEES10_S11_S12_S19_S1D_S1F_T6_T7_T9_mT8_S1H_bDpT10_ENKUlT_T0_E_clISt17integral_constantIbLb1EES1U_IbLb0EEEEDaS1Q_S1R_EUlS1Q_E_NS1_11comp_targetILNS1_3genE9ELNS1_11target_archE1100ELNS1_3gpuE3ELNS1_3repE0EEENS1_30default_config_static_selectorELNS0_4arch9wavefront6targetE0EEEvS13_,comdat
	.globl	_ZN7rocprim17ROCPRIM_400000_NS6detail17trampoline_kernelINS0_13select_configILj256ELj13ELNS0_17block_load_methodE3ELS4_3ELS4_3ELNS0_20block_scan_algorithmE0ELj4294967295EEENS1_25partition_config_selectorILNS1_17partition_subalgoE4EjNS0_10empty_typeEbEEZZNS1_14partition_implILS8_4ELb0ES6_15HIP_vector_typeIjLj2EENS0_17counting_iteratorIjlEEPS9_SG_NS0_5tupleIJPjSI_NS0_16reverse_iteratorISI_EEEEENSH_IJSG_SG_SG_EEES9_SI_JZNS1_25segmented_radix_sort_implINS0_14default_configELb1EPK12hip_bfloat16PSP_PKlPlN2at6native12_GLOBAL__N_18offset_tEEE10hipError_tPvRmT1_PNSt15iterator_traitsIS13_E10value_typeET2_T3_PNS14_IS19_E10value_typeET4_jRbjT5_S1F_jjP12ihipStream_tbEUljE_ZNSN_ISO_Lb1ESR_SS_SU_SV_SZ_EES10_S11_S12_S13_S17_S18_S19_S1C_S1D_jS1E_jS1F_S1F_jjS1H_bEUljE0_EEES10_S11_S12_S19_S1D_S1F_T6_T7_T9_mT8_S1H_bDpT10_ENKUlT_T0_E_clISt17integral_constantIbLb1EES1U_IbLb0EEEEDaS1Q_S1R_EUlS1Q_E_NS1_11comp_targetILNS1_3genE9ELNS1_11target_archE1100ELNS1_3gpuE3ELNS1_3repE0EEENS1_30default_config_static_selectorELNS0_4arch9wavefront6targetE0EEEvS13_ ; -- Begin function _ZN7rocprim17ROCPRIM_400000_NS6detail17trampoline_kernelINS0_13select_configILj256ELj13ELNS0_17block_load_methodE3ELS4_3ELS4_3ELNS0_20block_scan_algorithmE0ELj4294967295EEENS1_25partition_config_selectorILNS1_17partition_subalgoE4EjNS0_10empty_typeEbEEZZNS1_14partition_implILS8_4ELb0ES6_15HIP_vector_typeIjLj2EENS0_17counting_iteratorIjlEEPS9_SG_NS0_5tupleIJPjSI_NS0_16reverse_iteratorISI_EEEEENSH_IJSG_SG_SG_EEES9_SI_JZNS1_25segmented_radix_sort_implINS0_14default_configELb1EPK12hip_bfloat16PSP_PKlPlN2at6native12_GLOBAL__N_18offset_tEEE10hipError_tPvRmT1_PNSt15iterator_traitsIS13_E10value_typeET2_T3_PNS14_IS19_E10value_typeET4_jRbjT5_S1F_jjP12ihipStream_tbEUljE_ZNSN_ISO_Lb1ESR_SS_SU_SV_SZ_EES10_S11_S12_S13_S17_S18_S19_S1C_S1D_jS1E_jS1F_S1F_jjS1H_bEUljE0_EEES10_S11_S12_S19_S1D_S1F_T6_T7_T9_mT8_S1H_bDpT10_ENKUlT_T0_E_clISt17integral_constantIbLb1EES1U_IbLb0EEEEDaS1Q_S1R_EUlS1Q_E_NS1_11comp_targetILNS1_3genE9ELNS1_11target_archE1100ELNS1_3gpuE3ELNS1_3repE0EEENS1_30default_config_static_selectorELNS0_4arch9wavefront6targetE0EEEvS13_
	.p2align	8
	.type	_ZN7rocprim17ROCPRIM_400000_NS6detail17trampoline_kernelINS0_13select_configILj256ELj13ELNS0_17block_load_methodE3ELS4_3ELS4_3ELNS0_20block_scan_algorithmE0ELj4294967295EEENS1_25partition_config_selectorILNS1_17partition_subalgoE4EjNS0_10empty_typeEbEEZZNS1_14partition_implILS8_4ELb0ES6_15HIP_vector_typeIjLj2EENS0_17counting_iteratorIjlEEPS9_SG_NS0_5tupleIJPjSI_NS0_16reverse_iteratorISI_EEEEENSH_IJSG_SG_SG_EEES9_SI_JZNS1_25segmented_radix_sort_implINS0_14default_configELb1EPK12hip_bfloat16PSP_PKlPlN2at6native12_GLOBAL__N_18offset_tEEE10hipError_tPvRmT1_PNSt15iterator_traitsIS13_E10value_typeET2_T3_PNS14_IS19_E10value_typeET4_jRbjT5_S1F_jjP12ihipStream_tbEUljE_ZNSN_ISO_Lb1ESR_SS_SU_SV_SZ_EES10_S11_S12_S13_S17_S18_S19_S1C_S1D_jS1E_jS1F_S1F_jjS1H_bEUljE0_EEES10_S11_S12_S19_S1D_S1F_T6_T7_T9_mT8_S1H_bDpT10_ENKUlT_T0_E_clISt17integral_constantIbLb1EES1U_IbLb0EEEEDaS1Q_S1R_EUlS1Q_E_NS1_11comp_targetILNS1_3genE9ELNS1_11target_archE1100ELNS1_3gpuE3ELNS1_3repE0EEENS1_30default_config_static_selectorELNS0_4arch9wavefront6targetE0EEEvS13_,@function
_ZN7rocprim17ROCPRIM_400000_NS6detail17trampoline_kernelINS0_13select_configILj256ELj13ELNS0_17block_load_methodE3ELS4_3ELS4_3ELNS0_20block_scan_algorithmE0ELj4294967295EEENS1_25partition_config_selectorILNS1_17partition_subalgoE4EjNS0_10empty_typeEbEEZZNS1_14partition_implILS8_4ELb0ES6_15HIP_vector_typeIjLj2EENS0_17counting_iteratorIjlEEPS9_SG_NS0_5tupleIJPjSI_NS0_16reverse_iteratorISI_EEEEENSH_IJSG_SG_SG_EEES9_SI_JZNS1_25segmented_radix_sort_implINS0_14default_configELb1EPK12hip_bfloat16PSP_PKlPlN2at6native12_GLOBAL__N_18offset_tEEE10hipError_tPvRmT1_PNSt15iterator_traitsIS13_E10value_typeET2_T3_PNS14_IS19_E10value_typeET4_jRbjT5_S1F_jjP12ihipStream_tbEUljE_ZNSN_ISO_Lb1ESR_SS_SU_SV_SZ_EES10_S11_S12_S13_S17_S18_S19_S1C_S1D_jS1E_jS1F_S1F_jjS1H_bEUljE0_EEES10_S11_S12_S19_S1D_S1F_T6_T7_T9_mT8_S1H_bDpT10_ENKUlT_T0_E_clISt17integral_constantIbLb1EES1U_IbLb0EEEEDaS1Q_S1R_EUlS1Q_E_NS1_11comp_targetILNS1_3genE9ELNS1_11target_archE1100ELNS1_3gpuE3ELNS1_3repE0EEENS1_30default_config_static_selectorELNS0_4arch9wavefront6targetE0EEEvS13_: ; @_ZN7rocprim17ROCPRIM_400000_NS6detail17trampoline_kernelINS0_13select_configILj256ELj13ELNS0_17block_load_methodE3ELS4_3ELS4_3ELNS0_20block_scan_algorithmE0ELj4294967295EEENS1_25partition_config_selectorILNS1_17partition_subalgoE4EjNS0_10empty_typeEbEEZZNS1_14partition_implILS8_4ELb0ES6_15HIP_vector_typeIjLj2EENS0_17counting_iteratorIjlEEPS9_SG_NS0_5tupleIJPjSI_NS0_16reverse_iteratorISI_EEEEENSH_IJSG_SG_SG_EEES9_SI_JZNS1_25segmented_radix_sort_implINS0_14default_configELb1EPK12hip_bfloat16PSP_PKlPlN2at6native12_GLOBAL__N_18offset_tEEE10hipError_tPvRmT1_PNSt15iterator_traitsIS13_E10value_typeET2_T3_PNS14_IS19_E10value_typeET4_jRbjT5_S1F_jjP12ihipStream_tbEUljE_ZNSN_ISO_Lb1ESR_SS_SU_SV_SZ_EES10_S11_S12_S13_S17_S18_S19_S1C_S1D_jS1E_jS1F_S1F_jjS1H_bEUljE0_EEES10_S11_S12_S19_S1D_S1F_T6_T7_T9_mT8_S1H_bDpT10_ENKUlT_T0_E_clISt17integral_constantIbLb1EES1U_IbLb0EEEEDaS1Q_S1R_EUlS1Q_E_NS1_11comp_targetILNS1_3genE9ELNS1_11target_archE1100ELNS1_3gpuE3ELNS1_3repE0EEENS1_30default_config_static_selectorELNS0_4arch9wavefront6targetE0EEEvS13_
; %bb.0:
	.section	.rodata,"a",@progbits
	.p2align	6, 0x0
	.amdhsa_kernel _ZN7rocprim17ROCPRIM_400000_NS6detail17trampoline_kernelINS0_13select_configILj256ELj13ELNS0_17block_load_methodE3ELS4_3ELS4_3ELNS0_20block_scan_algorithmE0ELj4294967295EEENS1_25partition_config_selectorILNS1_17partition_subalgoE4EjNS0_10empty_typeEbEEZZNS1_14partition_implILS8_4ELb0ES6_15HIP_vector_typeIjLj2EENS0_17counting_iteratorIjlEEPS9_SG_NS0_5tupleIJPjSI_NS0_16reverse_iteratorISI_EEEEENSH_IJSG_SG_SG_EEES9_SI_JZNS1_25segmented_radix_sort_implINS0_14default_configELb1EPK12hip_bfloat16PSP_PKlPlN2at6native12_GLOBAL__N_18offset_tEEE10hipError_tPvRmT1_PNSt15iterator_traitsIS13_E10value_typeET2_T3_PNS14_IS19_E10value_typeET4_jRbjT5_S1F_jjP12ihipStream_tbEUljE_ZNSN_ISO_Lb1ESR_SS_SU_SV_SZ_EES10_S11_S12_S13_S17_S18_S19_S1C_S1D_jS1E_jS1F_S1F_jjS1H_bEUljE0_EEES10_S11_S12_S19_S1D_S1F_T6_T7_T9_mT8_S1H_bDpT10_ENKUlT_T0_E_clISt17integral_constantIbLb1EES1U_IbLb0EEEEDaS1Q_S1R_EUlS1Q_E_NS1_11comp_targetILNS1_3genE9ELNS1_11target_archE1100ELNS1_3gpuE3ELNS1_3repE0EEENS1_30default_config_static_selectorELNS0_4arch9wavefront6targetE0EEEvS13_
		.amdhsa_group_segment_fixed_size 0
		.amdhsa_private_segment_fixed_size 0
		.amdhsa_kernarg_size 176
		.amdhsa_user_sgpr_count 2
		.amdhsa_user_sgpr_dispatch_ptr 0
		.amdhsa_user_sgpr_queue_ptr 0
		.amdhsa_user_sgpr_kernarg_segment_ptr 1
		.amdhsa_user_sgpr_dispatch_id 0
		.amdhsa_user_sgpr_private_segment_size 0
		.amdhsa_wavefront_size32 1
		.amdhsa_uses_dynamic_stack 0
		.amdhsa_enable_private_segment 0
		.amdhsa_system_sgpr_workgroup_id_x 1
		.amdhsa_system_sgpr_workgroup_id_y 0
		.amdhsa_system_sgpr_workgroup_id_z 0
		.amdhsa_system_sgpr_workgroup_info 0
		.amdhsa_system_vgpr_workitem_id 0
		.amdhsa_next_free_vgpr 1
		.amdhsa_next_free_sgpr 1
		.amdhsa_reserve_vcc 0
		.amdhsa_float_round_mode_32 0
		.amdhsa_float_round_mode_16_64 0
		.amdhsa_float_denorm_mode_32 3
		.amdhsa_float_denorm_mode_16_64 3
		.amdhsa_fp16_overflow 0
		.amdhsa_workgroup_processor_mode 1
		.amdhsa_memory_ordered 1
		.amdhsa_forward_progress 1
		.amdhsa_inst_pref_size 0
		.amdhsa_round_robin_scheduling 0
		.amdhsa_exception_fp_ieee_invalid_op 0
		.amdhsa_exception_fp_denorm_src 0
		.amdhsa_exception_fp_ieee_div_zero 0
		.amdhsa_exception_fp_ieee_overflow 0
		.amdhsa_exception_fp_ieee_underflow 0
		.amdhsa_exception_fp_ieee_inexact 0
		.amdhsa_exception_int_div_zero 0
	.end_amdhsa_kernel
	.section	.text._ZN7rocprim17ROCPRIM_400000_NS6detail17trampoline_kernelINS0_13select_configILj256ELj13ELNS0_17block_load_methodE3ELS4_3ELS4_3ELNS0_20block_scan_algorithmE0ELj4294967295EEENS1_25partition_config_selectorILNS1_17partition_subalgoE4EjNS0_10empty_typeEbEEZZNS1_14partition_implILS8_4ELb0ES6_15HIP_vector_typeIjLj2EENS0_17counting_iteratorIjlEEPS9_SG_NS0_5tupleIJPjSI_NS0_16reverse_iteratorISI_EEEEENSH_IJSG_SG_SG_EEES9_SI_JZNS1_25segmented_radix_sort_implINS0_14default_configELb1EPK12hip_bfloat16PSP_PKlPlN2at6native12_GLOBAL__N_18offset_tEEE10hipError_tPvRmT1_PNSt15iterator_traitsIS13_E10value_typeET2_T3_PNS14_IS19_E10value_typeET4_jRbjT5_S1F_jjP12ihipStream_tbEUljE_ZNSN_ISO_Lb1ESR_SS_SU_SV_SZ_EES10_S11_S12_S13_S17_S18_S19_S1C_S1D_jS1E_jS1F_S1F_jjS1H_bEUljE0_EEES10_S11_S12_S19_S1D_S1F_T6_T7_T9_mT8_S1H_bDpT10_ENKUlT_T0_E_clISt17integral_constantIbLb1EES1U_IbLb0EEEEDaS1Q_S1R_EUlS1Q_E_NS1_11comp_targetILNS1_3genE9ELNS1_11target_archE1100ELNS1_3gpuE3ELNS1_3repE0EEENS1_30default_config_static_selectorELNS0_4arch9wavefront6targetE0EEEvS13_,"axG",@progbits,_ZN7rocprim17ROCPRIM_400000_NS6detail17trampoline_kernelINS0_13select_configILj256ELj13ELNS0_17block_load_methodE3ELS4_3ELS4_3ELNS0_20block_scan_algorithmE0ELj4294967295EEENS1_25partition_config_selectorILNS1_17partition_subalgoE4EjNS0_10empty_typeEbEEZZNS1_14partition_implILS8_4ELb0ES6_15HIP_vector_typeIjLj2EENS0_17counting_iteratorIjlEEPS9_SG_NS0_5tupleIJPjSI_NS0_16reverse_iteratorISI_EEEEENSH_IJSG_SG_SG_EEES9_SI_JZNS1_25segmented_radix_sort_implINS0_14default_configELb1EPK12hip_bfloat16PSP_PKlPlN2at6native12_GLOBAL__N_18offset_tEEE10hipError_tPvRmT1_PNSt15iterator_traitsIS13_E10value_typeET2_T3_PNS14_IS19_E10value_typeET4_jRbjT5_S1F_jjP12ihipStream_tbEUljE_ZNSN_ISO_Lb1ESR_SS_SU_SV_SZ_EES10_S11_S12_S13_S17_S18_S19_S1C_S1D_jS1E_jS1F_S1F_jjS1H_bEUljE0_EEES10_S11_S12_S19_S1D_S1F_T6_T7_T9_mT8_S1H_bDpT10_ENKUlT_T0_E_clISt17integral_constantIbLb1EES1U_IbLb0EEEEDaS1Q_S1R_EUlS1Q_E_NS1_11comp_targetILNS1_3genE9ELNS1_11target_archE1100ELNS1_3gpuE3ELNS1_3repE0EEENS1_30default_config_static_selectorELNS0_4arch9wavefront6targetE0EEEvS13_,comdat
.Lfunc_end1904:
	.size	_ZN7rocprim17ROCPRIM_400000_NS6detail17trampoline_kernelINS0_13select_configILj256ELj13ELNS0_17block_load_methodE3ELS4_3ELS4_3ELNS0_20block_scan_algorithmE0ELj4294967295EEENS1_25partition_config_selectorILNS1_17partition_subalgoE4EjNS0_10empty_typeEbEEZZNS1_14partition_implILS8_4ELb0ES6_15HIP_vector_typeIjLj2EENS0_17counting_iteratorIjlEEPS9_SG_NS0_5tupleIJPjSI_NS0_16reverse_iteratorISI_EEEEENSH_IJSG_SG_SG_EEES9_SI_JZNS1_25segmented_radix_sort_implINS0_14default_configELb1EPK12hip_bfloat16PSP_PKlPlN2at6native12_GLOBAL__N_18offset_tEEE10hipError_tPvRmT1_PNSt15iterator_traitsIS13_E10value_typeET2_T3_PNS14_IS19_E10value_typeET4_jRbjT5_S1F_jjP12ihipStream_tbEUljE_ZNSN_ISO_Lb1ESR_SS_SU_SV_SZ_EES10_S11_S12_S13_S17_S18_S19_S1C_S1D_jS1E_jS1F_S1F_jjS1H_bEUljE0_EEES10_S11_S12_S19_S1D_S1F_T6_T7_T9_mT8_S1H_bDpT10_ENKUlT_T0_E_clISt17integral_constantIbLb1EES1U_IbLb0EEEEDaS1Q_S1R_EUlS1Q_E_NS1_11comp_targetILNS1_3genE9ELNS1_11target_archE1100ELNS1_3gpuE3ELNS1_3repE0EEENS1_30default_config_static_selectorELNS0_4arch9wavefront6targetE0EEEvS13_, .Lfunc_end1904-_ZN7rocprim17ROCPRIM_400000_NS6detail17trampoline_kernelINS0_13select_configILj256ELj13ELNS0_17block_load_methodE3ELS4_3ELS4_3ELNS0_20block_scan_algorithmE0ELj4294967295EEENS1_25partition_config_selectorILNS1_17partition_subalgoE4EjNS0_10empty_typeEbEEZZNS1_14partition_implILS8_4ELb0ES6_15HIP_vector_typeIjLj2EENS0_17counting_iteratorIjlEEPS9_SG_NS0_5tupleIJPjSI_NS0_16reverse_iteratorISI_EEEEENSH_IJSG_SG_SG_EEES9_SI_JZNS1_25segmented_radix_sort_implINS0_14default_configELb1EPK12hip_bfloat16PSP_PKlPlN2at6native12_GLOBAL__N_18offset_tEEE10hipError_tPvRmT1_PNSt15iterator_traitsIS13_E10value_typeET2_T3_PNS14_IS19_E10value_typeET4_jRbjT5_S1F_jjP12ihipStream_tbEUljE_ZNSN_ISO_Lb1ESR_SS_SU_SV_SZ_EES10_S11_S12_S13_S17_S18_S19_S1C_S1D_jS1E_jS1F_S1F_jjS1H_bEUljE0_EEES10_S11_S12_S19_S1D_S1F_T6_T7_T9_mT8_S1H_bDpT10_ENKUlT_T0_E_clISt17integral_constantIbLb1EES1U_IbLb0EEEEDaS1Q_S1R_EUlS1Q_E_NS1_11comp_targetILNS1_3genE9ELNS1_11target_archE1100ELNS1_3gpuE3ELNS1_3repE0EEENS1_30default_config_static_selectorELNS0_4arch9wavefront6targetE0EEEvS13_
                                        ; -- End function
	.set _ZN7rocprim17ROCPRIM_400000_NS6detail17trampoline_kernelINS0_13select_configILj256ELj13ELNS0_17block_load_methodE3ELS4_3ELS4_3ELNS0_20block_scan_algorithmE0ELj4294967295EEENS1_25partition_config_selectorILNS1_17partition_subalgoE4EjNS0_10empty_typeEbEEZZNS1_14partition_implILS8_4ELb0ES6_15HIP_vector_typeIjLj2EENS0_17counting_iteratorIjlEEPS9_SG_NS0_5tupleIJPjSI_NS0_16reverse_iteratorISI_EEEEENSH_IJSG_SG_SG_EEES9_SI_JZNS1_25segmented_radix_sort_implINS0_14default_configELb1EPK12hip_bfloat16PSP_PKlPlN2at6native12_GLOBAL__N_18offset_tEEE10hipError_tPvRmT1_PNSt15iterator_traitsIS13_E10value_typeET2_T3_PNS14_IS19_E10value_typeET4_jRbjT5_S1F_jjP12ihipStream_tbEUljE_ZNSN_ISO_Lb1ESR_SS_SU_SV_SZ_EES10_S11_S12_S13_S17_S18_S19_S1C_S1D_jS1E_jS1F_S1F_jjS1H_bEUljE0_EEES10_S11_S12_S19_S1D_S1F_T6_T7_T9_mT8_S1H_bDpT10_ENKUlT_T0_E_clISt17integral_constantIbLb1EES1U_IbLb0EEEEDaS1Q_S1R_EUlS1Q_E_NS1_11comp_targetILNS1_3genE9ELNS1_11target_archE1100ELNS1_3gpuE3ELNS1_3repE0EEENS1_30default_config_static_selectorELNS0_4arch9wavefront6targetE0EEEvS13_.num_vgpr, 0
	.set _ZN7rocprim17ROCPRIM_400000_NS6detail17trampoline_kernelINS0_13select_configILj256ELj13ELNS0_17block_load_methodE3ELS4_3ELS4_3ELNS0_20block_scan_algorithmE0ELj4294967295EEENS1_25partition_config_selectorILNS1_17partition_subalgoE4EjNS0_10empty_typeEbEEZZNS1_14partition_implILS8_4ELb0ES6_15HIP_vector_typeIjLj2EENS0_17counting_iteratorIjlEEPS9_SG_NS0_5tupleIJPjSI_NS0_16reverse_iteratorISI_EEEEENSH_IJSG_SG_SG_EEES9_SI_JZNS1_25segmented_radix_sort_implINS0_14default_configELb1EPK12hip_bfloat16PSP_PKlPlN2at6native12_GLOBAL__N_18offset_tEEE10hipError_tPvRmT1_PNSt15iterator_traitsIS13_E10value_typeET2_T3_PNS14_IS19_E10value_typeET4_jRbjT5_S1F_jjP12ihipStream_tbEUljE_ZNSN_ISO_Lb1ESR_SS_SU_SV_SZ_EES10_S11_S12_S13_S17_S18_S19_S1C_S1D_jS1E_jS1F_S1F_jjS1H_bEUljE0_EEES10_S11_S12_S19_S1D_S1F_T6_T7_T9_mT8_S1H_bDpT10_ENKUlT_T0_E_clISt17integral_constantIbLb1EES1U_IbLb0EEEEDaS1Q_S1R_EUlS1Q_E_NS1_11comp_targetILNS1_3genE9ELNS1_11target_archE1100ELNS1_3gpuE3ELNS1_3repE0EEENS1_30default_config_static_selectorELNS0_4arch9wavefront6targetE0EEEvS13_.num_agpr, 0
	.set _ZN7rocprim17ROCPRIM_400000_NS6detail17trampoline_kernelINS0_13select_configILj256ELj13ELNS0_17block_load_methodE3ELS4_3ELS4_3ELNS0_20block_scan_algorithmE0ELj4294967295EEENS1_25partition_config_selectorILNS1_17partition_subalgoE4EjNS0_10empty_typeEbEEZZNS1_14partition_implILS8_4ELb0ES6_15HIP_vector_typeIjLj2EENS0_17counting_iteratorIjlEEPS9_SG_NS0_5tupleIJPjSI_NS0_16reverse_iteratorISI_EEEEENSH_IJSG_SG_SG_EEES9_SI_JZNS1_25segmented_radix_sort_implINS0_14default_configELb1EPK12hip_bfloat16PSP_PKlPlN2at6native12_GLOBAL__N_18offset_tEEE10hipError_tPvRmT1_PNSt15iterator_traitsIS13_E10value_typeET2_T3_PNS14_IS19_E10value_typeET4_jRbjT5_S1F_jjP12ihipStream_tbEUljE_ZNSN_ISO_Lb1ESR_SS_SU_SV_SZ_EES10_S11_S12_S13_S17_S18_S19_S1C_S1D_jS1E_jS1F_S1F_jjS1H_bEUljE0_EEES10_S11_S12_S19_S1D_S1F_T6_T7_T9_mT8_S1H_bDpT10_ENKUlT_T0_E_clISt17integral_constantIbLb1EES1U_IbLb0EEEEDaS1Q_S1R_EUlS1Q_E_NS1_11comp_targetILNS1_3genE9ELNS1_11target_archE1100ELNS1_3gpuE3ELNS1_3repE0EEENS1_30default_config_static_selectorELNS0_4arch9wavefront6targetE0EEEvS13_.numbered_sgpr, 0
	.set _ZN7rocprim17ROCPRIM_400000_NS6detail17trampoline_kernelINS0_13select_configILj256ELj13ELNS0_17block_load_methodE3ELS4_3ELS4_3ELNS0_20block_scan_algorithmE0ELj4294967295EEENS1_25partition_config_selectorILNS1_17partition_subalgoE4EjNS0_10empty_typeEbEEZZNS1_14partition_implILS8_4ELb0ES6_15HIP_vector_typeIjLj2EENS0_17counting_iteratorIjlEEPS9_SG_NS0_5tupleIJPjSI_NS0_16reverse_iteratorISI_EEEEENSH_IJSG_SG_SG_EEES9_SI_JZNS1_25segmented_radix_sort_implINS0_14default_configELb1EPK12hip_bfloat16PSP_PKlPlN2at6native12_GLOBAL__N_18offset_tEEE10hipError_tPvRmT1_PNSt15iterator_traitsIS13_E10value_typeET2_T3_PNS14_IS19_E10value_typeET4_jRbjT5_S1F_jjP12ihipStream_tbEUljE_ZNSN_ISO_Lb1ESR_SS_SU_SV_SZ_EES10_S11_S12_S13_S17_S18_S19_S1C_S1D_jS1E_jS1F_S1F_jjS1H_bEUljE0_EEES10_S11_S12_S19_S1D_S1F_T6_T7_T9_mT8_S1H_bDpT10_ENKUlT_T0_E_clISt17integral_constantIbLb1EES1U_IbLb0EEEEDaS1Q_S1R_EUlS1Q_E_NS1_11comp_targetILNS1_3genE9ELNS1_11target_archE1100ELNS1_3gpuE3ELNS1_3repE0EEENS1_30default_config_static_selectorELNS0_4arch9wavefront6targetE0EEEvS13_.num_named_barrier, 0
	.set _ZN7rocprim17ROCPRIM_400000_NS6detail17trampoline_kernelINS0_13select_configILj256ELj13ELNS0_17block_load_methodE3ELS4_3ELS4_3ELNS0_20block_scan_algorithmE0ELj4294967295EEENS1_25partition_config_selectorILNS1_17partition_subalgoE4EjNS0_10empty_typeEbEEZZNS1_14partition_implILS8_4ELb0ES6_15HIP_vector_typeIjLj2EENS0_17counting_iteratorIjlEEPS9_SG_NS0_5tupleIJPjSI_NS0_16reverse_iteratorISI_EEEEENSH_IJSG_SG_SG_EEES9_SI_JZNS1_25segmented_radix_sort_implINS0_14default_configELb1EPK12hip_bfloat16PSP_PKlPlN2at6native12_GLOBAL__N_18offset_tEEE10hipError_tPvRmT1_PNSt15iterator_traitsIS13_E10value_typeET2_T3_PNS14_IS19_E10value_typeET4_jRbjT5_S1F_jjP12ihipStream_tbEUljE_ZNSN_ISO_Lb1ESR_SS_SU_SV_SZ_EES10_S11_S12_S13_S17_S18_S19_S1C_S1D_jS1E_jS1F_S1F_jjS1H_bEUljE0_EEES10_S11_S12_S19_S1D_S1F_T6_T7_T9_mT8_S1H_bDpT10_ENKUlT_T0_E_clISt17integral_constantIbLb1EES1U_IbLb0EEEEDaS1Q_S1R_EUlS1Q_E_NS1_11comp_targetILNS1_3genE9ELNS1_11target_archE1100ELNS1_3gpuE3ELNS1_3repE0EEENS1_30default_config_static_selectorELNS0_4arch9wavefront6targetE0EEEvS13_.private_seg_size, 0
	.set _ZN7rocprim17ROCPRIM_400000_NS6detail17trampoline_kernelINS0_13select_configILj256ELj13ELNS0_17block_load_methodE3ELS4_3ELS4_3ELNS0_20block_scan_algorithmE0ELj4294967295EEENS1_25partition_config_selectorILNS1_17partition_subalgoE4EjNS0_10empty_typeEbEEZZNS1_14partition_implILS8_4ELb0ES6_15HIP_vector_typeIjLj2EENS0_17counting_iteratorIjlEEPS9_SG_NS0_5tupleIJPjSI_NS0_16reverse_iteratorISI_EEEEENSH_IJSG_SG_SG_EEES9_SI_JZNS1_25segmented_radix_sort_implINS0_14default_configELb1EPK12hip_bfloat16PSP_PKlPlN2at6native12_GLOBAL__N_18offset_tEEE10hipError_tPvRmT1_PNSt15iterator_traitsIS13_E10value_typeET2_T3_PNS14_IS19_E10value_typeET4_jRbjT5_S1F_jjP12ihipStream_tbEUljE_ZNSN_ISO_Lb1ESR_SS_SU_SV_SZ_EES10_S11_S12_S13_S17_S18_S19_S1C_S1D_jS1E_jS1F_S1F_jjS1H_bEUljE0_EEES10_S11_S12_S19_S1D_S1F_T6_T7_T9_mT8_S1H_bDpT10_ENKUlT_T0_E_clISt17integral_constantIbLb1EES1U_IbLb0EEEEDaS1Q_S1R_EUlS1Q_E_NS1_11comp_targetILNS1_3genE9ELNS1_11target_archE1100ELNS1_3gpuE3ELNS1_3repE0EEENS1_30default_config_static_selectorELNS0_4arch9wavefront6targetE0EEEvS13_.uses_vcc, 0
	.set _ZN7rocprim17ROCPRIM_400000_NS6detail17trampoline_kernelINS0_13select_configILj256ELj13ELNS0_17block_load_methodE3ELS4_3ELS4_3ELNS0_20block_scan_algorithmE0ELj4294967295EEENS1_25partition_config_selectorILNS1_17partition_subalgoE4EjNS0_10empty_typeEbEEZZNS1_14partition_implILS8_4ELb0ES6_15HIP_vector_typeIjLj2EENS0_17counting_iteratorIjlEEPS9_SG_NS0_5tupleIJPjSI_NS0_16reverse_iteratorISI_EEEEENSH_IJSG_SG_SG_EEES9_SI_JZNS1_25segmented_radix_sort_implINS0_14default_configELb1EPK12hip_bfloat16PSP_PKlPlN2at6native12_GLOBAL__N_18offset_tEEE10hipError_tPvRmT1_PNSt15iterator_traitsIS13_E10value_typeET2_T3_PNS14_IS19_E10value_typeET4_jRbjT5_S1F_jjP12ihipStream_tbEUljE_ZNSN_ISO_Lb1ESR_SS_SU_SV_SZ_EES10_S11_S12_S13_S17_S18_S19_S1C_S1D_jS1E_jS1F_S1F_jjS1H_bEUljE0_EEES10_S11_S12_S19_S1D_S1F_T6_T7_T9_mT8_S1H_bDpT10_ENKUlT_T0_E_clISt17integral_constantIbLb1EES1U_IbLb0EEEEDaS1Q_S1R_EUlS1Q_E_NS1_11comp_targetILNS1_3genE9ELNS1_11target_archE1100ELNS1_3gpuE3ELNS1_3repE0EEENS1_30default_config_static_selectorELNS0_4arch9wavefront6targetE0EEEvS13_.uses_flat_scratch, 0
	.set _ZN7rocprim17ROCPRIM_400000_NS6detail17trampoline_kernelINS0_13select_configILj256ELj13ELNS0_17block_load_methodE3ELS4_3ELS4_3ELNS0_20block_scan_algorithmE0ELj4294967295EEENS1_25partition_config_selectorILNS1_17partition_subalgoE4EjNS0_10empty_typeEbEEZZNS1_14partition_implILS8_4ELb0ES6_15HIP_vector_typeIjLj2EENS0_17counting_iteratorIjlEEPS9_SG_NS0_5tupleIJPjSI_NS0_16reverse_iteratorISI_EEEEENSH_IJSG_SG_SG_EEES9_SI_JZNS1_25segmented_radix_sort_implINS0_14default_configELb1EPK12hip_bfloat16PSP_PKlPlN2at6native12_GLOBAL__N_18offset_tEEE10hipError_tPvRmT1_PNSt15iterator_traitsIS13_E10value_typeET2_T3_PNS14_IS19_E10value_typeET4_jRbjT5_S1F_jjP12ihipStream_tbEUljE_ZNSN_ISO_Lb1ESR_SS_SU_SV_SZ_EES10_S11_S12_S13_S17_S18_S19_S1C_S1D_jS1E_jS1F_S1F_jjS1H_bEUljE0_EEES10_S11_S12_S19_S1D_S1F_T6_T7_T9_mT8_S1H_bDpT10_ENKUlT_T0_E_clISt17integral_constantIbLb1EES1U_IbLb0EEEEDaS1Q_S1R_EUlS1Q_E_NS1_11comp_targetILNS1_3genE9ELNS1_11target_archE1100ELNS1_3gpuE3ELNS1_3repE0EEENS1_30default_config_static_selectorELNS0_4arch9wavefront6targetE0EEEvS13_.has_dyn_sized_stack, 0
	.set _ZN7rocprim17ROCPRIM_400000_NS6detail17trampoline_kernelINS0_13select_configILj256ELj13ELNS0_17block_load_methodE3ELS4_3ELS4_3ELNS0_20block_scan_algorithmE0ELj4294967295EEENS1_25partition_config_selectorILNS1_17partition_subalgoE4EjNS0_10empty_typeEbEEZZNS1_14partition_implILS8_4ELb0ES6_15HIP_vector_typeIjLj2EENS0_17counting_iteratorIjlEEPS9_SG_NS0_5tupleIJPjSI_NS0_16reverse_iteratorISI_EEEEENSH_IJSG_SG_SG_EEES9_SI_JZNS1_25segmented_radix_sort_implINS0_14default_configELb1EPK12hip_bfloat16PSP_PKlPlN2at6native12_GLOBAL__N_18offset_tEEE10hipError_tPvRmT1_PNSt15iterator_traitsIS13_E10value_typeET2_T3_PNS14_IS19_E10value_typeET4_jRbjT5_S1F_jjP12ihipStream_tbEUljE_ZNSN_ISO_Lb1ESR_SS_SU_SV_SZ_EES10_S11_S12_S13_S17_S18_S19_S1C_S1D_jS1E_jS1F_S1F_jjS1H_bEUljE0_EEES10_S11_S12_S19_S1D_S1F_T6_T7_T9_mT8_S1H_bDpT10_ENKUlT_T0_E_clISt17integral_constantIbLb1EES1U_IbLb0EEEEDaS1Q_S1R_EUlS1Q_E_NS1_11comp_targetILNS1_3genE9ELNS1_11target_archE1100ELNS1_3gpuE3ELNS1_3repE0EEENS1_30default_config_static_selectorELNS0_4arch9wavefront6targetE0EEEvS13_.has_recursion, 0
	.set _ZN7rocprim17ROCPRIM_400000_NS6detail17trampoline_kernelINS0_13select_configILj256ELj13ELNS0_17block_load_methodE3ELS4_3ELS4_3ELNS0_20block_scan_algorithmE0ELj4294967295EEENS1_25partition_config_selectorILNS1_17partition_subalgoE4EjNS0_10empty_typeEbEEZZNS1_14partition_implILS8_4ELb0ES6_15HIP_vector_typeIjLj2EENS0_17counting_iteratorIjlEEPS9_SG_NS0_5tupleIJPjSI_NS0_16reverse_iteratorISI_EEEEENSH_IJSG_SG_SG_EEES9_SI_JZNS1_25segmented_radix_sort_implINS0_14default_configELb1EPK12hip_bfloat16PSP_PKlPlN2at6native12_GLOBAL__N_18offset_tEEE10hipError_tPvRmT1_PNSt15iterator_traitsIS13_E10value_typeET2_T3_PNS14_IS19_E10value_typeET4_jRbjT5_S1F_jjP12ihipStream_tbEUljE_ZNSN_ISO_Lb1ESR_SS_SU_SV_SZ_EES10_S11_S12_S13_S17_S18_S19_S1C_S1D_jS1E_jS1F_S1F_jjS1H_bEUljE0_EEES10_S11_S12_S19_S1D_S1F_T6_T7_T9_mT8_S1H_bDpT10_ENKUlT_T0_E_clISt17integral_constantIbLb1EES1U_IbLb0EEEEDaS1Q_S1R_EUlS1Q_E_NS1_11comp_targetILNS1_3genE9ELNS1_11target_archE1100ELNS1_3gpuE3ELNS1_3repE0EEENS1_30default_config_static_selectorELNS0_4arch9wavefront6targetE0EEEvS13_.has_indirect_call, 0
	.section	.AMDGPU.csdata,"",@progbits
; Kernel info:
; codeLenInByte = 0
; TotalNumSgprs: 0
; NumVgprs: 0
; ScratchSize: 0
; MemoryBound: 0
; FloatMode: 240
; IeeeMode: 1
; LDSByteSize: 0 bytes/workgroup (compile time only)
; SGPRBlocks: 0
; VGPRBlocks: 0
; NumSGPRsForWavesPerEU: 1
; NumVGPRsForWavesPerEU: 1
; Occupancy: 16
; WaveLimiterHint : 0
; COMPUTE_PGM_RSRC2:SCRATCH_EN: 0
; COMPUTE_PGM_RSRC2:USER_SGPR: 2
; COMPUTE_PGM_RSRC2:TRAP_HANDLER: 0
; COMPUTE_PGM_RSRC2:TGID_X_EN: 1
; COMPUTE_PGM_RSRC2:TGID_Y_EN: 0
; COMPUTE_PGM_RSRC2:TGID_Z_EN: 0
; COMPUTE_PGM_RSRC2:TIDIG_COMP_CNT: 0
	.section	.text._ZN7rocprim17ROCPRIM_400000_NS6detail17trampoline_kernelINS0_13select_configILj256ELj13ELNS0_17block_load_methodE3ELS4_3ELS4_3ELNS0_20block_scan_algorithmE0ELj4294967295EEENS1_25partition_config_selectorILNS1_17partition_subalgoE4EjNS0_10empty_typeEbEEZZNS1_14partition_implILS8_4ELb0ES6_15HIP_vector_typeIjLj2EENS0_17counting_iteratorIjlEEPS9_SG_NS0_5tupleIJPjSI_NS0_16reverse_iteratorISI_EEEEENSH_IJSG_SG_SG_EEES9_SI_JZNS1_25segmented_radix_sort_implINS0_14default_configELb1EPK12hip_bfloat16PSP_PKlPlN2at6native12_GLOBAL__N_18offset_tEEE10hipError_tPvRmT1_PNSt15iterator_traitsIS13_E10value_typeET2_T3_PNS14_IS19_E10value_typeET4_jRbjT5_S1F_jjP12ihipStream_tbEUljE_ZNSN_ISO_Lb1ESR_SS_SU_SV_SZ_EES10_S11_S12_S13_S17_S18_S19_S1C_S1D_jS1E_jS1F_S1F_jjS1H_bEUljE0_EEES10_S11_S12_S19_S1D_S1F_T6_T7_T9_mT8_S1H_bDpT10_ENKUlT_T0_E_clISt17integral_constantIbLb1EES1U_IbLb0EEEEDaS1Q_S1R_EUlS1Q_E_NS1_11comp_targetILNS1_3genE8ELNS1_11target_archE1030ELNS1_3gpuE2ELNS1_3repE0EEENS1_30default_config_static_selectorELNS0_4arch9wavefront6targetE0EEEvS13_,"axG",@progbits,_ZN7rocprim17ROCPRIM_400000_NS6detail17trampoline_kernelINS0_13select_configILj256ELj13ELNS0_17block_load_methodE3ELS4_3ELS4_3ELNS0_20block_scan_algorithmE0ELj4294967295EEENS1_25partition_config_selectorILNS1_17partition_subalgoE4EjNS0_10empty_typeEbEEZZNS1_14partition_implILS8_4ELb0ES6_15HIP_vector_typeIjLj2EENS0_17counting_iteratorIjlEEPS9_SG_NS0_5tupleIJPjSI_NS0_16reverse_iteratorISI_EEEEENSH_IJSG_SG_SG_EEES9_SI_JZNS1_25segmented_radix_sort_implINS0_14default_configELb1EPK12hip_bfloat16PSP_PKlPlN2at6native12_GLOBAL__N_18offset_tEEE10hipError_tPvRmT1_PNSt15iterator_traitsIS13_E10value_typeET2_T3_PNS14_IS19_E10value_typeET4_jRbjT5_S1F_jjP12ihipStream_tbEUljE_ZNSN_ISO_Lb1ESR_SS_SU_SV_SZ_EES10_S11_S12_S13_S17_S18_S19_S1C_S1D_jS1E_jS1F_S1F_jjS1H_bEUljE0_EEES10_S11_S12_S19_S1D_S1F_T6_T7_T9_mT8_S1H_bDpT10_ENKUlT_T0_E_clISt17integral_constantIbLb1EES1U_IbLb0EEEEDaS1Q_S1R_EUlS1Q_E_NS1_11comp_targetILNS1_3genE8ELNS1_11target_archE1030ELNS1_3gpuE2ELNS1_3repE0EEENS1_30default_config_static_selectorELNS0_4arch9wavefront6targetE0EEEvS13_,comdat
	.globl	_ZN7rocprim17ROCPRIM_400000_NS6detail17trampoline_kernelINS0_13select_configILj256ELj13ELNS0_17block_load_methodE3ELS4_3ELS4_3ELNS0_20block_scan_algorithmE0ELj4294967295EEENS1_25partition_config_selectorILNS1_17partition_subalgoE4EjNS0_10empty_typeEbEEZZNS1_14partition_implILS8_4ELb0ES6_15HIP_vector_typeIjLj2EENS0_17counting_iteratorIjlEEPS9_SG_NS0_5tupleIJPjSI_NS0_16reverse_iteratorISI_EEEEENSH_IJSG_SG_SG_EEES9_SI_JZNS1_25segmented_radix_sort_implINS0_14default_configELb1EPK12hip_bfloat16PSP_PKlPlN2at6native12_GLOBAL__N_18offset_tEEE10hipError_tPvRmT1_PNSt15iterator_traitsIS13_E10value_typeET2_T3_PNS14_IS19_E10value_typeET4_jRbjT5_S1F_jjP12ihipStream_tbEUljE_ZNSN_ISO_Lb1ESR_SS_SU_SV_SZ_EES10_S11_S12_S13_S17_S18_S19_S1C_S1D_jS1E_jS1F_S1F_jjS1H_bEUljE0_EEES10_S11_S12_S19_S1D_S1F_T6_T7_T9_mT8_S1H_bDpT10_ENKUlT_T0_E_clISt17integral_constantIbLb1EES1U_IbLb0EEEEDaS1Q_S1R_EUlS1Q_E_NS1_11comp_targetILNS1_3genE8ELNS1_11target_archE1030ELNS1_3gpuE2ELNS1_3repE0EEENS1_30default_config_static_selectorELNS0_4arch9wavefront6targetE0EEEvS13_ ; -- Begin function _ZN7rocprim17ROCPRIM_400000_NS6detail17trampoline_kernelINS0_13select_configILj256ELj13ELNS0_17block_load_methodE3ELS4_3ELS4_3ELNS0_20block_scan_algorithmE0ELj4294967295EEENS1_25partition_config_selectorILNS1_17partition_subalgoE4EjNS0_10empty_typeEbEEZZNS1_14partition_implILS8_4ELb0ES6_15HIP_vector_typeIjLj2EENS0_17counting_iteratorIjlEEPS9_SG_NS0_5tupleIJPjSI_NS0_16reverse_iteratorISI_EEEEENSH_IJSG_SG_SG_EEES9_SI_JZNS1_25segmented_radix_sort_implINS0_14default_configELb1EPK12hip_bfloat16PSP_PKlPlN2at6native12_GLOBAL__N_18offset_tEEE10hipError_tPvRmT1_PNSt15iterator_traitsIS13_E10value_typeET2_T3_PNS14_IS19_E10value_typeET4_jRbjT5_S1F_jjP12ihipStream_tbEUljE_ZNSN_ISO_Lb1ESR_SS_SU_SV_SZ_EES10_S11_S12_S13_S17_S18_S19_S1C_S1D_jS1E_jS1F_S1F_jjS1H_bEUljE0_EEES10_S11_S12_S19_S1D_S1F_T6_T7_T9_mT8_S1H_bDpT10_ENKUlT_T0_E_clISt17integral_constantIbLb1EES1U_IbLb0EEEEDaS1Q_S1R_EUlS1Q_E_NS1_11comp_targetILNS1_3genE8ELNS1_11target_archE1030ELNS1_3gpuE2ELNS1_3repE0EEENS1_30default_config_static_selectorELNS0_4arch9wavefront6targetE0EEEvS13_
	.p2align	8
	.type	_ZN7rocprim17ROCPRIM_400000_NS6detail17trampoline_kernelINS0_13select_configILj256ELj13ELNS0_17block_load_methodE3ELS4_3ELS4_3ELNS0_20block_scan_algorithmE0ELj4294967295EEENS1_25partition_config_selectorILNS1_17partition_subalgoE4EjNS0_10empty_typeEbEEZZNS1_14partition_implILS8_4ELb0ES6_15HIP_vector_typeIjLj2EENS0_17counting_iteratorIjlEEPS9_SG_NS0_5tupleIJPjSI_NS0_16reverse_iteratorISI_EEEEENSH_IJSG_SG_SG_EEES9_SI_JZNS1_25segmented_radix_sort_implINS0_14default_configELb1EPK12hip_bfloat16PSP_PKlPlN2at6native12_GLOBAL__N_18offset_tEEE10hipError_tPvRmT1_PNSt15iterator_traitsIS13_E10value_typeET2_T3_PNS14_IS19_E10value_typeET4_jRbjT5_S1F_jjP12ihipStream_tbEUljE_ZNSN_ISO_Lb1ESR_SS_SU_SV_SZ_EES10_S11_S12_S13_S17_S18_S19_S1C_S1D_jS1E_jS1F_S1F_jjS1H_bEUljE0_EEES10_S11_S12_S19_S1D_S1F_T6_T7_T9_mT8_S1H_bDpT10_ENKUlT_T0_E_clISt17integral_constantIbLb1EES1U_IbLb0EEEEDaS1Q_S1R_EUlS1Q_E_NS1_11comp_targetILNS1_3genE8ELNS1_11target_archE1030ELNS1_3gpuE2ELNS1_3repE0EEENS1_30default_config_static_selectorELNS0_4arch9wavefront6targetE0EEEvS13_,@function
_ZN7rocprim17ROCPRIM_400000_NS6detail17trampoline_kernelINS0_13select_configILj256ELj13ELNS0_17block_load_methodE3ELS4_3ELS4_3ELNS0_20block_scan_algorithmE0ELj4294967295EEENS1_25partition_config_selectorILNS1_17partition_subalgoE4EjNS0_10empty_typeEbEEZZNS1_14partition_implILS8_4ELb0ES6_15HIP_vector_typeIjLj2EENS0_17counting_iteratorIjlEEPS9_SG_NS0_5tupleIJPjSI_NS0_16reverse_iteratorISI_EEEEENSH_IJSG_SG_SG_EEES9_SI_JZNS1_25segmented_radix_sort_implINS0_14default_configELb1EPK12hip_bfloat16PSP_PKlPlN2at6native12_GLOBAL__N_18offset_tEEE10hipError_tPvRmT1_PNSt15iterator_traitsIS13_E10value_typeET2_T3_PNS14_IS19_E10value_typeET4_jRbjT5_S1F_jjP12ihipStream_tbEUljE_ZNSN_ISO_Lb1ESR_SS_SU_SV_SZ_EES10_S11_S12_S13_S17_S18_S19_S1C_S1D_jS1E_jS1F_S1F_jjS1H_bEUljE0_EEES10_S11_S12_S19_S1D_S1F_T6_T7_T9_mT8_S1H_bDpT10_ENKUlT_T0_E_clISt17integral_constantIbLb1EES1U_IbLb0EEEEDaS1Q_S1R_EUlS1Q_E_NS1_11comp_targetILNS1_3genE8ELNS1_11target_archE1030ELNS1_3gpuE2ELNS1_3repE0EEENS1_30default_config_static_selectorELNS0_4arch9wavefront6targetE0EEEvS13_: ; @_ZN7rocprim17ROCPRIM_400000_NS6detail17trampoline_kernelINS0_13select_configILj256ELj13ELNS0_17block_load_methodE3ELS4_3ELS4_3ELNS0_20block_scan_algorithmE0ELj4294967295EEENS1_25partition_config_selectorILNS1_17partition_subalgoE4EjNS0_10empty_typeEbEEZZNS1_14partition_implILS8_4ELb0ES6_15HIP_vector_typeIjLj2EENS0_17counting_iteratorIjlEEPS9_SG_NS0_5tupleIJPjSI_NS0_16reverse_iteratorISI_EEEEENSH_IJSG_SG_SG_EEES9_SI_JZNS1_25segmented_radix_sort_implINS0_14default_configELb1EPK12hip_bfloat16PSP_PKlPlN2at6native12_GLOBAL__N_18offset_tEEE10hipError_tPvRmT1_PNSt15iterator_traitsIS13_E10value_typeET2_T3_PNS14_IS19_E10value_typeET4_jRbjT5_S1F_jjP12ihipStream_tbEUljE_ZNSN_ISO_Lb1ESR_SS_SU_SV_SZ_EES10_S11_S12_S13_S17_S18_S19_S1C_S1D_jS1E_jS1F_S1F_jjS1H_bEUljE0_EEES10_S11_S12_S19_S1D_S1F_T6_T7_T9_mT8_S1H_bDpT10_ENKUlT_T0_E_clISt17integral_constantIbLb1EES1U_IbLb0EEEEDaS1Q_S1R_EUlS1Q_E_NS1_11comp_targetILNS1_3genE8ELNS1_11target_archE1030ELNS1_3gpuE2ELNS1_3repE0EEENS1_30default_config_static_selectorELNS0_4arch9wavefront6targetE0EEEvS13_
; %bb.0:
	.section	.rodata,"a",@progbits
	.p2align	6, 0x0
	.amdhsa_kernel _ZN7rocprim17ROCPRIM_400000_NS6detail17trampoline_kernelINS0_13select_configILj256ELj13ELNS0_17block_load_methodE3ELS4_3ELS4_3ELNS0_20block_scan_algorithmE0ELj4294967295EEENS1_25partition_config_selectorILNS1_17partition_subalgoE4EjNS0_10empty_typeEbEEZZNS1_14partition_implILS8_4ELb0ES6_15HIP_vector_typeIjLj2EENS0_17counting_iteratorIjlEEPS9_SG_NS0_5tupleIJPjSI_NS0_16reverse_iteratorISI_EEEEENSH_IJSG_SG_SG_EEES9_SI_JZNS1_25segmented_radix_sort_implINS0_14default_configELb1EPK12hip_bfloat16PSP_PKlPlN2at6native12_GLOBAL__N_18offset_tEEE10hipError_tPvRmT1_PNSt15iterator_traitsIS13_E10value_typeET2_T3_PNS14_IS19_E10value_typeET4_jRbjT5_S1F_jjP12ihipStream_tbEUljE_ZNSN_ISO_Lb1ESR_SS_SU_SV_SZ_EES10_S11_S12_S13_S17_S18_S19_S1C_S1D_jS1E_jS1F_S1F_jjS1H_bEUljE0_EEES10_S11_S12_S19_S1D_S1F_T6_T7_T9_mT8_S1H_bDpT10_ENKUlT_T0_E_clISt17integral_constantIbLb1EES1U_IbLb0EEEEDaS1Q_S1R_EUlS1Q_E_NS1_11comp_targetILNS1_3genE8ELNS1_11target_archE1030ELNS1_3gpuE2ELNS1_3repE0EEENS1_30default_config_static_selectorELNS0_4arch9wavefront6targetE0EEEvS13_
		.amdhsa_group_segment_fixed_size 0
		.amdhsa_private_segment_fixed_size 0
		.amdhsa_kernarg_size 176
		.amdhsa_user_sgpr_count 2
		.amdhsa_user_sgpr_dispatch_ptr 0
		.amdhsa_user_sgpr_queue_ptr 0
		.amdhsa_user_sgpr_kernarg_segment_ptr 1
		.amdhsa_user_sgpr_dispatch_id 0
		.amdhsa_user_sgpr_private_segment_size 0
		.amdhsa_wavefront_size32 1
		.amdhsa_uses_dynamic_stack 0
		.amdhsa_enable_private_segment 0
		.amdhsa_system_sgpr_workgroup_id_x 1
		.amdhsa_system_sgpr_workgroup_id_y 0
		.amdhsa_system_sgpr_workgroup_id_z 0
		.amdhsa_system_sgpr_workgroup_info 0
		.amdhsa_system_vgpr_workitem_id 0
		.amdhsa_next_free_vgpr 1
		.amdhsa_next_free_sgpr 1
		.amdhsa_reserve_vcc 0
		.amdhsa_float_round_mode_32 0
		.amdhsa_float_round_mode_16_64 0
		.amdhsa_float_denorm_mode_32 3
		.amdhsa_float_denorm_mode_16_64 3
		.amdhsa_fp16_overflow 0
		.amdhsa_workgroup_processor_mode 1
		.amdhsa_memory_ordered 1
		.amdhsa_forward_progress 1
		.amdhsa_inst_pref_size 0
		.amdhsa_round_robin_scheduling 0
		.amdhsa_exception_fp_ieee_invalid_op 0
		.amdhsa_exception_fp_denorm_src 0
		.amdhsa_exception_fp_ieee_div_zero 0
		.amdhsa_exception_fp_ieee_overflow 0
		.amdhsa_exception_fp_ieee_underflow 0
		.amdhsa_exception_fp_ieee_inexact 0
		.amdhsa_exception_int_div_zero 0
	.end_amdhsa_kernel
	.section	.text._ZN7rocprim17ROCPRIM_400000_NS6detail17trampoline_kernelINS0_13select_configILj256ELj13ELNS0_17block_load_methodE3ELS4_3ELS4_3ELNS0_20block_scan_algorithmE0ELj4294967295EEENS1_25partition_config_selectorILNS1_17partition_subalgoE4EjNS0_10empty_typeEbEEZZNS1_14partition_implILS8_4ELb0ES6_15HIP_vector_typeIjLj2EENS0_17counting_iteratorIjlEEPS9_SG_NS0_5tupleIJPjSI_NS0_16reverse_iteratorISI_EEEEENSH_IJSG_SG_SG_EEES9_SI_JZNS1_25segmented_radix_sort_implINS0_14default_configELb1EPK12hip_bfloat16PSP_PKlPlN2at6native12_GLOBAL__N_18offset_tEEE10hipError_tPvRmT1_PNSt15iterator_traitsIS13_E10value_typeET2_T3_PNS14_IS19_E10value_typeET4_jRbjT5_S1F_jjP12ihipStream_tbEUljE_ZNSN_ISO_Lb1ESR_SS_SU_SV_SZ_EES10_S11_S12_S13_S17_S18_S19_S1C_S1D_jS1E_jS1F_S1F_jjS1H_bEUljE0_EEES10_S11_S12_S19_S1D_S1F_T6_T7_T9_mT8_S1H_bDpT10_ENKUlT_T0_E_clISt17integral_constantIbLb1EES1U_IbLb0EEEEDaS1Q_S1R_EUlS1Q_E_NS1_11comp_targetILNS1_3genE8ELNS1_11target_archE1030ELNS1_3gpuE2ELNS1_3repE0EEENS1_30default_config_static_selectorELNS0_4arch9wavefront6targetE0EEEvS13_,"axG",@progbits,_ZN7rocprim17ROCPRIM_400000_NS6detail17trampoline_kernelINS0_13select_configILj256ELj13ELNS0_17block_load_methodE3ELS4_3ELS4_3ELNS0_20block_scan_algorithmE0ELj4294967295EEENS1_25partition_config_selectorILNS1_17partition_subalgoE4EjNS0_10empty_typeEbEEZZNS1_14partition_implILS8_4ELb0ES6_15HIP_vector_typeIjLj2EENS0_17counting_iteratorIjlEEPS9_SG_NS0_5tupleIJPjSI_NS0_16reverse_iteratorISI_EEEEENSH_IJSG_SG_SG_EEES9_SI_JZNS1_25segmented_radix_sort_implINS0_14default_configELb1EPK12hip_bfloat16PSP_PKlPlN2at6native12_GLOBAL__N_18offset_tEEE10hipError_tPvRmT1_PNSt15iterator_traitsIS13_E10value_typeET2_T3_PNS14_IS19_E10value_typeET4_jRbjT5_S1F_jjP12ihipStream_tbEUljE_ZNSN_ISO_Lb1ESR_SS_SU_SV_SZ_EES10_S11_S12_S13_S17_S18_S19_S1C_S1D_jS1E_jS1F_S1F_jjS1H_bEUljE0_EEES10_S11_S12_S19_S1D_S1F_T6_T7_T9_mT8_S1H_bDpT10_ENKUlT_T0_E_clISt17integral_constantIbLb1EES1U_IbLb0EEEEDaS1Q_S1R_EUlS1Q_E_NS1_11comp_targetILNS1_3genE8ELNS1_11target_archE1030ELNS1_3gpuE2ELNS1_3repE0EEENS1_30default_config_static_selectorELNS0_4arch9wavefront6targetE0EEEvS13_,comdat
.Lfunc_end1905:
	.size	_ZN7rocprim17ROCPRIM_400000_NS6detail17trampoline_kernelINS0_13select_configILj256ELj13ELNS0_17block_load_methodE3ELS4_3ELS4_3ELNS0_20block_scan_algorithmE0ELj4294967295EEENS1_25partition_config_selectorILNS1_17partition_subalgoE4EjNS0_10empty_typeEbEEZZNS1_14partition_implILS8_4ELb0ES6_15HIP_vector_typeIjLj2EENS0_17counting_iteratorIjlEEPS9_SG_NS0_5tupleIJPjSI_NS0_16reverse_iteratorISI_EEEEENSH_IJSG_SG_SG_EEES9_SI_JZNS1_25segmented_radix_sort_implINS0_14default_configELb1EPK12hip_bfloat16PSP_PKlPlN2at6native12_GLOBAL__N_18offset_tEEE10hipError_tPvRmT1_PNSt15iterator_traitsIS13_E10value_typeET2_T3_PNS14_IS19_E10value_typeET4_jRbjT5_S1F_jjP12ihipStream_tbEUljE_ZNSN_ISO_Lb1ESR_SS_SU_SV_SZ_EES10_S11_S12_S13_S17_S18_S19_S1C_S1D_jS1E_jS1F_S1F_jjS1H_bEUljE0_EEES10_S11_S12_S19_S1D_S1F_T6_T7_T9_mT8_S1H_bDpT10_ENKUlT_T0_E_clISt17integral_constantIbLb1EES1U_IbLb0EEEEDaS1Q_S1R_EUlS1Q_E_NS1_11comp_targetILNS1_3genE8ELNS1_11target_archE1030ELNS1_3gpuE2ELNS1_3repE0EEENS1_30default_config_static_selectorELNS0_4arch9wavefront6targetE0EEEvS13_, .Lfunc_end1905-_ZN7rocprim17ROCPRIM_400000_NS6detail17trampoline_kernelINS0_13select_configILj256ELj13ELNS0_17block_load_methodE3ELS4_3ELS4_3ELNS0_20block_scan_algorithmE0ELj4294967295EEENS1_25partition_config_selectorILNS1_17partition_subalgoE4EjNS0_10empty_typeEbEEZZNS1_14partition_implILS8_4ELb0ES6_15HIP_vector_typeIjLj2EENS0_17counting_iteratorIjlEEPS9_SG_NS0_5tupleIJPjSI_NS0_16reverse_iteratorISI_EEEEENSH_IJSG_SG_SG_EEES9_SI_JZNS1_25segmented_radix_sort_implINS0_14default_configELb1EPK12hip_bfloat16PSP_PKlPlN2at6native12_GLOBAL__N_18offset_tEEE10hipError_tPvRmT1_PNSt15iterator_traitsIS13_E10value_typeET2_T3_PNS14_IS19_E10value_typeET4_jRbjT5_S1F_jjP12ihipStream_tbEUljE_ZNSN_ISO_Lb1ESR_SS_SU_SV_SZ_EES10_S11_S12_S13_S17_S18_S19_S1C_S1D_jS1E_jS1F_S1F_jjS1H_bEUljE0_EEES10_S11_S12_S19_S1D_S1F_T6_T7_T9_mT8_S1H_bDpT10_ENKUlT_T0_E_clISt17integral_constantIbLb1EES1U_IbLb0EEEEDaS1Q_S1R_EUlS1Q_E_NS1_11comp_targetILNS1_3genE8ELNS1_11target_archE1030ELNS1_3gpuE2ELNS1_3repE0EEENS1_30default_config_static_selectorELNS0_4arch9wavefront6targetE0EEEvS13_
                                        ; -- End function
	.set _ZN7rocprim17ROCPRIM_400000_NS6detail17trampoline_kernelINS0_13select_configILj256ELj13ELNS0_17block_load_methodE3ELS4_3ELS4_3ELNS0_20block_scan_algorithmE0ELj4294967295EEENS1_25partition_config_selectorILNS1_17partition_subalgoE4EjNS0_10empty_typeEbEEZZNS1_14partition_implILS8_4ELb0ES6_15HIP_vector_typeIjLj2EENS0_17counting_iteratorIjlEEPS9_SG_NS0_5tupleIJPjSI_NS0_16reverse_iteratorISI_EEEEENSH_IJSG_SG_SG_EEES9_SI_JZNS1_25segmented_radix_sort_implINS0_14default_configELb1EPK12hip_bfloat16PSP_PKlPlN2at6native12_GLOBAL__N_18offset_tEEE10hipError_tPvRmT1_PNSt15iterator_traitsIS13_E10value_typeET2_T3_PNS14_IS19_E10value_typeET4_jRbjT5_S1F_jjP12ihipStream_tbEUljE_ZNSN_ISO_Lb1ESR_SS_SU_SV_SZ_EES10_S11_S12_S13_S17_S18_S19_S1C_S1D_jS1E_jS1F_S1F_jjS1H_bEUljE0_EEES10_S11_S12_S19_S1D_S1F_T6_T7_T9_mT8_S1H_bDpT10_ENKUlT_T0_E_clISt17integral_constantIbLb1EES1U_IbLb0EEEEDaS1Q_S1R_EUlS1Q_E_NS1_11comp_targetILNS1_3genE8ELNS1_11target_archE1030ELNS1_3gpuE2ELNS1_3repE0EEENS1_30default_config_static_selectorELNS0_4arch9wavefront6targetE0EEEvS13_.num_vgpr, 0
	.set _ZN7rocprim17ROCPRIM_400000_NS6detail17trampoline_kernelINS0_13select_configILj256ELj13ELNS0_17block_load_methodE3ELS4_3ELS4_3ELNS0_20block_scan_algorithmE0ELj4294967295EEENS1_25partition_config_selectorILNS1_17partition_subalgoE4EjNS0_10empty_typeEbEEZZNS1_14partition_implILS8_4ELb0ES6_15HIP_vector_typeIjLj2EENS0_17counting_iteratorIjlEEPS9_SG_NS0_5tupleIJPjSI_NS0_16reverse_iteratorISI_EEEEENSH_IJSG_SG_SG_EEES9_SI_JZNS1_25segmented_radix_sort_implINS0_14default_configELb1EPK12hip_bfloat16PSP_PKlPlN2at6native12_GLOBAL__N_18offset_tEEE10hipError_tPvRmT1_PNSt15iterator_traitsIS13_E10value_typeET2_T3_PNS14_IS19_E10value_typeET4_jRbjT5_S1F_jjP12ihipStream_tbEUljE_ZNSN_ISO_Lb1ESR_SS_SU_SV_SZ_EES10_S11_S12_S13_S17_S18_S19_S1C_S1D_jS1E_jS1F_S1F_jjS1H_bEUljE0_EEES10_S11_S12_S19_S1D_S1F_T6_T7_T9_mT8_S1H_bDpT10_ENKUlT_T0_E_clISt17integral_constantIbLb1EES1U_IbLb0EEEEDaS1Q_S1R_EUlS1Q_E_NS1_11comp_targetILNS1_3genE8ELNS1_11target_archE1030ELNS1_3gpuE2ELNS1_3repE0EEENS1_30default_config_static_selectorELNS0_4arch9wavefront6targetE0EEEvS13_.num_agpr, 0
	.set _ZN7rocprim17ROCPRIM_400000_NS6detail17trampoline_kernelINS0_13select_configILj256ELj13ELNS0_17block_load_methodE3ELS4_3ELS4_3ELNS0_20block_scan_algorithmE0ELj4294967295EEENS1_25partition_config_selectorILNS1_17partition_subalgoE4EjNS0_10empty_typeEbEEZZNS1_14partition_implILS8_4ELb0ES6_15HIP_vector_typeIjLj2EENS0_17counting_iteratorIjlEEPS9_SG_NS0_5tupleIJPjSI_NS0_16reverse_iteratorISI_EEEEENSH_IJSG_SG_SG_EEES9_SI_JZNS1_25segmented_radix_sort_implINS0_14default_configELb1EPK12hip_bfloat16PSP_PKlPlN2at6native12_GLOBAL__N_18offset_tEEE10hipError_tPvRmT1_PNSt15iterator_traitsIS13_E10value_typeET2_T3_PNS14_IS19_E10value_typeET4_jRbjT5_S1F_jjP12ihipStream_tbEUljE_ZNSN_ISO_Lb1ESR_SS_SU_SV_SZ_EES10_S11_S12_S13_S17_S18_S19_S1C_S1D_jS1E_jS1F_S1F_jjS1H_bEUljE0_EEES10_S11_S12_S19_S1D_S1F_T6_T7_T9_mT8_S1H_bDpT10_ENKUlT_T0_E_clISt17integral_constantIbLb1EES1U_IbLb0EEEEDaS1Q_S1R_EUlS1Q_E_NS1_11comp_targetILNS1_3genE8ELNS1_11target_archE1030ELNS1_3gpuE2ELNS1_3repE0EEENS1_30default_config_static_selectorELNS0_4arch9wavefront6targetE0EEEvS13_.numbered_sgpr, 0
	.set _ZN7rocprim17ROCPRIM_400000_NS6detail17trampoline_kernelINS0_13select_configILj256ELj13ELNS0_17block_load_methodE3ELS4_3ELS4_3ELNS0_20block_scan_algorithmE0ELj4294967295EEENS1_25partition_config_selectorILNS1_17partition_subalgoE4EjNS0_10empty_typeEbEEZZNS1_14partition_implILS8_4ELb0ES6_15HIP_vector_typeIjLj2EENS0_17counting_iteratorIjlEEPS9_SG_NS0_5tupleIJPjSI_NS0_16reverse_iteratorISI_EEEEENSH_IJSG_SG_SG_EEES9_SI_JZNS1_25segmented_radix_sort_implINS0_14default_configELb1EPK12hip_bfloat16PSP_PKlPlN2at6native12_GLOBAL__N_18offset_tEEE10hipError_tPvRmT1_PNSt15iterator_traitsIS13_E10value_typeET2_T3_PNS14_IS19_E10value_typeET4_jRbjT5_S1F_jjP12ihipStream_tbEUljE_ZNSN_ISO_Lb1ESR_SS_SU_SV_SZ_EES10_S11_S12_S13_S17_S18_S19_S1C_S1D_jS1E_jS1F_S1F_jjS1H_bEUljE0_EEES10_S11_S12_S19_S1D_S1F_T6_T7_T9_mT8_S1H_bDpT10_ENKUlT_T0_E_clISt17integral_constantIbLb1EES1U_IbLb0EEEEDaS1Q_S1R_EUlS1Q_E_NS1_11comp_targetILNS1_3genE8ELNS1_11target_archE1030ELNS1_3gpuE2ELNS1_3repE0EEENS1_30default_config_static_selectorELNS0_4arch9wavefront6targetE0EEEvS13_.num_named_barrier, 0
	.set _ZN7rocprim17ROCPRIM_400000_NS6detail17trampoline_kernelINS0_13select_configILj256ELj13ELNS0_17block_load_methodE3ELS4_3ELS4_3ELNS0_20block_scan_algorithmE0ELj4294967295EEENS1_25partition_config_selectorILNS1_17partition_subalgoE4EjNS0_10empty_typeEbEEZZNS1_14partition_implILS8_4ELb0ES6_15HIP_vector_typeIjLj2EENS0_17counting_iteratorIjlEEPS9_SG_NS0_5tupleIJPjSI_NS0_16reverse_iteratorISI_EEEEENSH_IJSG_SG_SG_EEES9_SI_JZNS1_25segmented_radix_sort_implINS0_14default_configELb1EPK12hip_bfloat16PSP_PKlPlN2at6native12_GLOBAL__N_18offset_tEEE10hipError_tPvRmT1_PNSt15iterator_traitsIS13_E10value_typeET2_T3_PNS14_IS19_E10value_typeET4_jRbjT5_S1F_jjP12ihipStream_tbEUljE_ZNSN_ISO_Lb1ESR_SS_SU_SV_SZ_EES10_S11_S12_S13_S17_S18_S19_S1C_S1D_jS1E_jS1F_S1F_jjS1H_bEUljE0_EEES10_S11_S12_S19_S1D_S1F_T6_T7_T9_mT8_S1H_bDpT10_ENKUlT_T0_E_clISt17integral_constantIbLb1EES1U_IbLb0EEEEDaS1Q_S1R_EUlS1Q_E_NS1_11comp_targetILNS1_3genE8ELNS1_11target_archE1030ELNS1_3gpuE2ELNS1_3repE0EEENS1_30default_config_static_selectorELNS0_4arch9wavefront6targetE0EEEvS13_.private_seg_size, 0
	.set _ZN7rocprim17ROCPRIM_400000_NS6detail17trampoline_kernelINS0_13select_configILj256ELj13ELNS0_17block_load_methodE3ELS4_3ELS4_3ELNS0_20block_scan_algorithmE0ELj4294967295EEENS1_25partition_config_selectorILNS1_17partition_subalgoE4EjNS0_10empty_typeEbEEZZNS1_14partition_implILS8_4ELb0ES6_15HIP_vector_typeIjLj2EENS0_17counting_iteratorIjlEEPS9_SG_NS0_5tupleIJPjSI_NS0_16reverse_iteratorISI_EEEEENSH_IJSG_SG_SG_EEES9_SI_JZNS1_25segmented_radix_sort_implINS0_14default_configELb1EPK12hip_bfloat16PSP_PKlPlN2at6native12_GLOBAL__N_18offset_tEEE10hipError_tPvRmT1_PNSt15iterator_traitsIS13_E10value_typeET2_T3_PNS14_IS19_E10value_typeET4_jRbjT5_S1F_jjP12ihipStream_tbEUljE_ZNSN_ISO_Lb1ESR_SS_SU_SV_SZ_EES10_S11_S12_S13_S17_S18_S19_S1C_S1D_jS1E_jS1F_S1F_jjS1H_bEUljE0_EEES10_S11_S12_S19_S1D_S1F_T6_T7_T9_mT8_S1H_bDpT10_ENKUlT_T0_E_clISt17integral_constantIbLb1EES1U_IbLb0EEEEDaS1Q_S1R_EUlS1Q_E_NS1_11comp_targetILNS1_3genE8ELNS1_11target_archE1030ELNS1_3gpuE2ELNS1_3repE0EEENS1_30default_config_static_selectorELNS0_4arch9wavefront6targetE0EEEvS13_.uses_vcc, 0
	.set _ZN7rocprim17ROCPRIM_400000_NS6detail17trampoline_kernelINS0_13select_configILj256ELj13ELNS0_17block_load_methodE3ELS4_3ELS4_3ELNS0_20block_scan_algorithmE0ELj4294967295EEENS1_25partition_config_selectorILNS1_17partition_subalgoE4EjNS0_10empty_typeEbEEZZNS1_14partition_implILS8_4ELb0ES6_15HIP_vector_typeIjLj2EENS0_17counting_iteratorIjlEEPS9_SG_NS0_5tupleIJPjSI_NS0_16reverse_iteratorISI_EEEEENSH_IJSG_SG_SG_EEES9_SI_JZNS1_25segmented_radix_sort_implINS0_14default_configELb1EPK12hip_bfloat16PSP_PKlPlN2at6native12_GLOBAL__N_18offset_tEEE10hipError_tPvRmT1_PNSt15iterator_traitsIS13_E10value_typeET2_T3_PNS14_IS19_E10value_typeET4_jRbjT5_S1F_jjP12ihipStream_tbEUljE_ZNSN_ISO_Lb1ESR_SS_SU_SV_SZ_EES10_S11_S12_S13_S17_S18_S19_S1C_S1D_jS1E_jS1F_S1F_jjS1H_bEUljE0_EEES10_S11_S12_S19_S1D_S1F_T6_T7_T9_mT8_S1H_bDpT10_ENKUlT_T0_E_clISt17integral_constantIbLb1EES1U_IbLb0EEEEDaS1Q_S1R_EUlS1Q_E_NS1_11comp_targetILNS1_3genE8ELNS1_11target_archE1030ELNS1_3gpuE2ELNS1_3repE0EEENS1_30default_config_static_selectorELNS0_4arch9wavefront6targetE0EEEvS13_.uses_flat_scratch, 0
	.set _ZN7rocprim17ROCPRIM_400000_NS6detail17trampoline_kernelINS0_13select_configILj256ELj13ELNS0_17block_load_methodE3ELS4_3ELS4_3ELNS0_20block_scan_algorithmE0ELj4294967295EEENS1_25partition_config_selectorILNS1_17partition_subalgoE4EjNS0_10empty_typeEbEEZZNS1_14partition_implILS8_4ELb0ES6_15HIP_vector_typeIjLj2EENS0_17counting_iteratorIjlEEPS9_SG_NS0_5tupleIJPjSI_NS0_16reverse_iteratorISI_EEEEENSH_IJSG_SG_SG_EEES9_SI_JZNS1_25segmented_radix_sort_implINS0_14default_configELb1EPK12hip_bfloat16PSP_PKlPlN2at6native12_GLOBAL__N_18offset_tEEE10hipError_tPvRmT1_PNSt15iterator_traitsIS13_E10value_typeET2_T3_PNS14_IS19_E10value_typeET4_jRbjT5_S1F_jjP12ihipStream_tbEUljE_ZNSN_ISO_Lb1ESR_SS_SU_SV_SZ_EES10_S11_S12_S13_S17_S18_S19_S1C_S1D_jS1E_jS1F_S1F_jjS1H_bEUljE0_EEES10_S11_S12_S19_S1D_S1F_T6_T7_T9_mT8_S1H_bDpT10_ENKUlT_T0_E_clISt17integral_constantIbLb1EES1U_IbLb0EEEEDaS1Q_S1R_EUlS1Q_E_NS1_11comp_targetILNS1_3genE8ELNS1_11target_archE1030ELNS1_3gpuE2ELNS1_3repE0EEENS1_30default_config_static_selectorELNS0_4arch9wavefront6targetE0EEEvS13_.has_dyn_sized_stack, 0
	.set _ZN7rocprim17ROCPRIM_400000_NS6detail17trampoline_kernelINS0_13select_configILj256ELj13ELNS0_17block_load_methodE3ELS4_3ELS4_3ELNS0_20block_scan_algorithmE0ELj4294967295EEENS1_25partition_config_selectorILNS1_17partition_subalgoE4EjNS0_10empty_typeEbEEZZNS1_14partition_implILS8_4ELb0ES6_15HIP_vector_typeIjLj2EENS0_17counting_iteratorIjlEEPS9_SG_NS0_5tupleIJPjSI_NS0_16reverse_iteratorISI_EEEEENSH_IJSG_SG_SG_EEES9_SI_JZNS1_25segmented_radix_sort_implINS0_14default_configELb1EPK12hip_bfloat16PSP_PKlPlN2at6native12_GLOBAL__N_18offset_tEEE10hipError_tPvRmT1_PNSt15iterator_traitsIS13_E10value_typeET2_T3_PNS14_IS19_E10value_typeET4_jRbjT5_S1F_jjP12ihipStream_tbEUljE_ZNSN_ISO_Lb1ESR_SS_SU_SV_SZ_EES10_S11_S12_S13_S17_S18_S19_S1C_S1D_jS1E_jS1F_S1F_jjS1H_bEUljE0_EEES10_S11_S12_S19_S1D_S1F_T6_T7_T9_mT8_S1H_bDpT10_ENKUlT_T0_E_clISt17integral_constantIbLb1EES1U_IbLb0EEEEDaS1Q_S1R_EUlS1Q_E_NS1_11comp_targetILNS1_3genE8ELNS1_11target_archE1030ELNS1_3gpuE2ELNS1_3repE0EEENS1_30default_config_static_selectorELNS0_4arch9wavefront6targetE0EEEvS13_.has_recursion, 0
	.set _ZN7rocprim17ROCPRIM_400000_NS6detail17trampoline_kernelINS0_13select_configILj256ELj13ELNS0_17block_load_methodE3ELS4_3ELS4_3ELNS0_20block_scan_algorithmE0ELj4294967295EEENS1_25partition_config_selectorILNS1_17partition_subalgoE4EjNS0_10empty_typeEbEEZZNS1_14partition_implILS8_4ELb0ES6_15HIP_vector_typeIjLj2EENS0_17counting_iteratorIjlEEPS9_SG_NS0_5tupleIJPjSI_NS0_16reverse_iteratorISI_EEEEENSH_IJSG_SG_SG_EEES9_SI_JZNS1_25segmented_radix_sort_implINS0_14default_configELb1EPK12hip_bfloat16PSP_PKlPlN2at6native12_GLOBAL__N_18offset_tEEE10hipError_tPvRmT1_PNSt15iterator_traitsIS13_E10value_typeET2_T3_PNS14_IS19_E10value_typeET4_jRbjT5_S1F_jjP12ihipStream_tbEUljE_ZNSN_ISO_Lb1ESR_SS_SU_SV_SZ_EES10_S11_S12_S13_S17_S18_S19_S1C_S1D_jS1E_jS1F_S1F_jjS1H_bEUljE0_EEES10_S11_S12_S19_S1D_S1F_T6_T7_T9_mT8_S1H_bDpT10_ENKUlT_T0_E_clISt17integral_constantIbLb1EES1U_IbLb0EEEEDaS1Q_S1R_EUlS1Q_E_NS1_11comp_targetILNS1_3genE8ELNS1_11target_archE1030ELNS1_3gpuE2ELNS1_3repE0EEENS1_30default_config_static_selectorELNS0_4arch9wavefront6targetE0EEEvS13_.has_indirect_call, 0
	.section	.AMDGPU.csdata,"",@progbits
; Kernel info:
; codeLenInByte = 0
; TotalNumSgprs: 0
; NumVgprs: 0
; ScratchSize: 0
; MemoryBound: 0
; FloatMode: 240
; IeeeMode: 1
; LDSByteSize: 0 bytes/workgroup (compile time only)
; SGPRBlocks: 0
; VGPRBlocks: 0
; NumSGPRsForWavesPerEU: 1
; NumVGPRsForWavesPerEU: 1
; Occupancy: 16
; WaveLimiterHint : 0
; COMPUTE_PGM_RSRC2:SCRATCH_EN: 0
; COMPUTE_PGM_RSRC2:USER_SGPR: 2
; COMPUTE_PGM_RSRC2:TRAP_HANDLER: 0
; COMPUTE_PGM_RSRC2:TGID_X_EN: 1
; COMPUTE_PGM_RSRC2:TGID_Y_EN: 0
; COMPUTE_PGM_RSRC2:TGID_Z_EN: 0
; COMPUTE_PGM_RSRC2:TIDIG_COMP_CNT: 0
	.section	.text._ZN7rocprim17ROCPRIM_400000_NS6detail17trampoline_kernelINS0_13select_configILj256ELj13ELNS0_17block_load_methodE3ELS4_3ELS4_3ELNS0_20block_scan_algorithmE0ELj4294967295EEENS1_25partition_config_selectorILNS1_17partition_subalgoE4EjNS0_10empty_typeEbEEZZNS1_14partition_implILS8_4ELb0ES6_15HIP_vector_typeIjLj2EENS0_17counting_iteratorIjlEEPS9_SG_NS0_5tupleIJPjSI_NS0_16reverse_iteratorISI_EEEEENSH_IJSG_SG_SG_EEES9_SI_JZNS1_25segmented_radix_sort_implINS0_14default_configELb1EPK12hip_bfloat16PSP_PKlPlN2at6native12_GLOBAL__N_18offset_tEEE10hipError_tPvRmT1_PNSt15iterator_traitsIS13_E10value_typeET2_T3_PNS14_IS19_E10value_typeET4_jRbjT5_S1F_jjP12ihipStream_tbEUljE_ZNSN_ISO_Lb1ESR_SS_SU_SV_SZ_EES10_S11_S12_S13_S17_S18_S19_S1C_S1D_jS1E_jS1F_S1F_jjS1H_bEUljE0_EEES10_S11_S12_S19_S1D_S1F_T6_T7_T9_mT8_S1H_bDpT10_ENKUlT_T0_E_clISt17integral_constantIbLb0EES1U_IbLb1EEEEDaS1Q_S1R_EUlS1Q_E_NS1_11comp_targetILNS1_3genE0ELNS1_11target_archE4294967295ELNS1_3gpuE0ELNS1_3repE0EEENS1_30default_config_static_selectorELNS0_4arch9wavefront6targetE0EEEvS13_,"axG",@progbits,_ZN7rocprim17ROCPRIM_400000_NS6detail17trampoline_kernelINS0_13select_configILj256ELj13ELNS0_17block_load_methodE3ELS4_3ELS4_3ELNS0_20block_scan_algorithmE0ELj4294967295EEENS1_25partition_config_selectorILNS1_17partition_subalgoE4EjNS0_10empty_typeEbEEZZNS1_14partition_implILS8_4ELb0ES6_15HIP_vector_typeIjLj2EENS0_17counting_iteratorIjlEEPS9_SG_NS0_5tupleIJPjSI_NS0_16reverse_iteratorISI_EEEEENSH_IJSG_SG_SG_EEES9_SI_JZNS1_25segmented_radix_sort_implINS0_14default_configELb1EPK12hip_bfloat16PSP_PKlPlN2at6native12_GLOBAL__N_18offset_tEEE10hipError_tPvRmT1_PNSt15iterator_traitsIS13_E10value_typeET2_T3_PNS14_IS19_E10value_typeET4_jRbjT5_S1F_jjP12ihipStream_tbEUljE_ZNSN_ISO_Lb1ESR_SS_SU_SV_SZ_EES10_S11_S12_S13_S17_S18_S19_S1C_S1D_jS1E_jS1F_S1F_jjS1H_bEUljE0_EEES10_S11_S12_S19_S1D_S1F_T6_T7_T9_mT8_S1H_bDpT10_ENKUlT_T0_E_clISt17integral_constantIbLb0EES1U_IbLb1EEEEDaS1Q_S1R_EUlS1Q_E_NS1_11comp_targetILNS1_3genE0ELNS1_11target_archE4294967295ELNS1_3gpuE0ELNS1_3repE0EEENS1_30default_config_static_selectorELNS0_4arch9wavefront6targetE0EEEvS13_,comdat
	.globl	_ZN7rocprim17ROCPRIM_400000_NS6detail17trampoline_kernelINS0_13select_configILj256ELj13ELNS0_17block_load_methodE3ELS4_3ELS4_3ELNS0_20block_scan_algorithmE0ELj4294967295EEENS1_25partition_config_selectorILNS1_17partition_subalgoE4EjNS0_10empty_typeEbEEZZNS1_14partition_implILS8_4ELb0ES6_15HIP_vector_typeIjLj2EENS0_17counting_iteratorIjlEEPS9_SG_NS0_5tupleIJPjSI_NS0_16reverse_iteratorISI_EEEEENSH_IJSG_SG_SG_EEES9_SI_JZNS1_25segmented_radix_sort_implINS0_14default_configELb1EPK12hip_bfloat16PSP_PKlPlN2at6native12_GLOBAL__N_18offset_tEEE10hipError_tPvRmT1_PNSt15iterator_traitsIS13_E10value_typeET2_T3_PNS14_IS19_E10value_typeET4_jRbjT5_S1F_jjP12ihipStream_tbEUljE_ZNSN_ISO_Lb1ESR_SS_SU_SV_SZ_EES10_S11_S12_S13_S17_S18_S19_S1C_S1D_jS1E_jS1F_S1F_jjS1H_bEUljE0_EEES10_S11_S12_S19_S1D_S1F_T6_T7_T9_mT8_S1H_bDpT10_ENKUlT_T0_E_clISt17integral_constantIbLb0EES1U_IbLb1EEEEDaS1Q_S1R_EUlS1Q_E_NS1_11comp_targetILNS1_3genE0ELNS1_11target_archE4294967295ELNS1_3gpuE0ELNS1_3repE0EEENS1_30default_config_static_selectorELNS0_4arch9wavefront6targetE0EEEvS13_ ; -- Begin function _ZN7rocprim17ROCPRIM_400000_NS6detail17trampoline_kernelINS0_13select_configILj256ELj13ELNS0_17block_load_methodE3ELS4_3ELS4_3ELNS0_20block_scan_algorithmE0ELj4294967295EEENS1_25partition_config_selectorILNS1_17partition_subalgoE4EjNS0_10empty_typeEbEEZZNS1_14partition_implILS8_4ELb0ES6_15HIP_vector_typeIjLj2EENS0_17counting_iteratorIjlEEPS9_SG_NS0_5tupleIJPjSI_NS0_16reverse_iteratorISI_EEEEENSH_IJSG_SG_SG_EEES9_SI_JZNS1_25segmented_radix_sort_implINS0_14default_configELb1EPK12hip_bfloat16PSP_PKlPlN2at6native12_GLOBAL__N_18offset_tEEE10hipError_tPvRmT1_PNSt15iterator_traitsIS13_E10value_typeET2_T3_PNS14_IS19_E10value_typeET4_jRbjT5_S1F_jjP12ihipStream_tbEUljE_ZNSN_ISO_Lb1ESR_SS_SU_SV_SZ_EES10_S11_S12_S13_S17_S18_S19_S1C_S1D_jS1E_jS1F_S1F_jjS1H_bEUljE0_EEES10_S11_S12_S19_S1D_S1F_T6_T7_T9_mT8_S1H_bDpT10_ENKUlT_T0_E_clISt17integral_constantIbLb0EES1U_IbLb1EEEEDaS1Q_S1R_EUlS1Q_E_NS1_11comp_targetILNS1_3genE0ELNS1_11target_archE4294967295ELNS1_3gpuE0ELNS1_3repE0EEENS1_30default_config_static_selectorELNS0_4arch9wavefront6targetE0EEEvS13_
	.p2align	8
	.type	_ZN7rocprim17ROCPRIM_400000_NS6detail17trampoline_kernelINS0_13select_configILj256ELj13ELNS0_17block_load_methodE3ELS4_3ELS4_3ELNS0_20block_scan_algorithmE0ELj4294967295EEENS1_25partition_config_selectorILNS1_17partition_subalgoE4EjNS0_10empty_typeEbEEZZNS1_14partition_implILS8_4ELb0ES6_15HIP_vector_typeIjLj2EENS0_17counting_iteratorIjlEEPS9_SG_NS0_5tupleIJPjSI_NS0_16reverse_iteratorISI_EEEEENSH_IJSG_SG_SG_EEES9_SI_JZNS1_25segmented_radix_sort_implINS0_14default_configELb1EPK12hip_bfloat16PSP_PKlPlN2at6native12_GLOBAL__N_18offset_tEEE10hipError_tPvRmT1_PNSt15iterator_traitsIS13_E10value_typeET2_T3_PNS14_IS19_E10value_typeET4_jRbjT5_S1F_jjP12ihipStream_tbEUljE_ZNSN_ISO_Lb1ESR_SS_SU_SV_SZ_EES10_S11_S12_S13_S17_S18_S19_S1C_S1D_jS1E_jS1F_S1F_jjS1H_bEUljE0_EEES10_S11_S12_S19_S1D_S1F_T6_T7_T9_mT8_S1H_bDpT10_ENKUlT_T0_E_clISt17integral_constantIbLb0EES1U_IbLb1EEEEDaS1Q_S1R_EUlS1Q_E_NS1_11comp_targetILNS1_3genE0ELNS1_11target_archE4294967295ELNS1_3gpuE0ELNS1_3repE0EEENS1_30default_config_static_selectorELNS0_4arch9wavefront6targetE0EEEvS13_,@function
_ZN7rocprim17ROCPRIM_400000_NS6detail17trampoline_kernelINS0_13select_configILj256ELj13ELNS0_17block_load_methodE3ELS4_3ELS4_3ELNS0_20block_scan_algorithmE0ELj4294967295EEENS1_25partition_config_selectorILNS1_17partition_subalgoE4EjNS0_10empty_typeEbEEZZNS1_14partition_implILS8_4ELb0ES6_15HIP_vector_typeIjLj2EENS0_17counting_iteratorIjlEEPS9_SG_NS0_5tupleIJPjSI_NS0_16reverse_iteratorISI_EEEEENSH_IJSG_SG_SG_EEES9_SI_JZNS1_25segmented_radix_sort_implINS0_14default_configELb1EPK12hip_bfloat16PSP_PKlPlN2at6native12_GLOBAL__N_18offset_tEEE10hipError_tPvRmT1_PNSt15iterator_traitsIS13_E10value_typeET2_T3_PNS14_IS19_E10value_typeET4_jRbjT5_S1F_jjP12ihipStream_tbEUljE_ZNSN_ISO_Lb1ESR_SS_SU_SV_SZ_EES10_S11_S12_S13_S17_S18_S19_S1C_S1D_jS1E_jS1F_S1F_jjS1H_bEUljE0_EEES10_S11_S12_S19_S1D_S1F_T6_T7_T9_mT8_S1H_bDpT10_ENKUlT_T0_E_clISt17integral_constantIbLb0EES1U_IbLb1EEEEDaS1Q_S1R_EUlS1Q_E_NS1_11comp_targetILNS1_3genE0ELNS1_11target_archE4294967295ELNS1_3gpuE0ELNS1_3repE0EEENS1_30default_config_static_selectorELNS0_4arch9wavefront6targetE0EEEvS13_: ; @_ZN7rocprim17ROCPRIM_400000_NS6detail17trampoline_kernelINS0_13select_configILj256ELj13ELNS0_17block_load_methodE3ELS4_3ELS4_3ELNS0_20block_scan_algorithmE0ELj4294967295EEENS1_25partition_config_selectorILNS1_17partition_subalgoE4EjNS0_10empty_typeEbEEZZNS1_14partition_implILS8_4ELb0ES6_15HIP_vector_typeIjLj2EENS0_17counting_iteratorIjlEEPS9_SG_NS0_5tupleIJPjSI_NS0_16reverse_iteratorISI_EEEEENSH_IJSG_SG_SG_EEES9_SI_JZNS1_25segmented_radix_sort_implINS0_14default_configELb1EPK12hip_bfloat16PSP_PKlPlN2at6native12_GLOBAL__N_18offset_tEEE10hipError_tPvRmT1_PNSt15iterator_traitsIS13_E10value_typeET2_T3_PNS14_IS19_E10value_typeET4_jRbjT5_S1F_jjP12ihipStream_tbEUljE_ZNSN_ISO_Lb1ESR_SS_SU_SV_SZ_EES10_S11_S12_S13_S17_S18_S19_S1C_S1D_jS1E_jS1F_S1F_jjS1H_bEUljE0_EEES10_S11_S12_S19_S1D_S1F_T6_T7_T9_mT8_S1H_bDpT10_ENKUlT_T0_E_clISt17integral_constantIbLb0EES1U_IbLb1EEEEDaS1Q_S1R_EUlS1Q_E_NS1_11comp_targetILNS1_3genE0ELNS1_11target_archE4294967295ELNS1_3gpuE0ELNS1_3repE0EEENS1_30default_config_static_selectorELNS0_4arch9wavefront6targetE0EEEvS13_
; %bb.0:
	.section	.rodata,"a",@progbits
	.p2align	6, 0x0
	.amdhsa_kernel _ZN7rocprim17ROCPRIM_400000_NS6detail17trampoline_kernelINS0_13select_configILj256ELj13ELNS0_17block_load_methodE3ELS4_3ELS4_3ELNS0_20block_scan_algorithmE0ELj4294967295EEENS1_25partition_config_selectorILNS1_17partition_subalgoE4EjNS0_10empty_typeEbEEZZNS1_14partition_implILS8_4ELb0ES6_15HIP_vector_typeIjLj2EENS0_17counting_iteratorIjlEEPS9_SG_NS0_5tupleIJPjSI_NS0_16reverse_iteratorISI_EEEEENSH_IJSG_SG_SG_EEES9_SI_JZNS1_25segmented_radix_sort_implINS0_14default_configELb1EPK12hip_bfloat16PSP_PKlPlN2at6native12_GLOBAL__N_18offset_tEEE10hipError_tPvRmT1_PNSt15iterator_traitsIS13_E10value_typeET2_T3_PNS14_IS19_E10value_typeET4_jRbjT5_S1F_jjP12ihipStream_tbEUljE_ZNSN_ISO_Lb1ESR_SS_SU_SV_SZ_EES10_S11_S12_S13_S17_S18_S19_S1C_S1D_jS1E_jS1F_S1F_jjS1H_bEUljE0_EEES10_S11_S12_S19_S1D_S1F_T6_T7_T9_mT8_S1H_bDpT10_ENKUlT_T0_E_clISt17integral_constantIbLb0EES1U_IbLb1EEEEDaS1Q_S1R_EUlS1Q_E_NS1_11comp_targetILNS1_3genE0ELNS1_11target_archE4294967295ELNS1_3gpuE0ELNS1_3repE0EEENS1_30default_config_static_selectorELNS0_4arch9wavefront6targetE0EEEvS13_
		.amdhsa_group_segment_fixed_size 0
		.amdhsa_private_segment_fixed_size 0
		.amdhsa_kernarg_size 184
		.amdhsa_user_sgpr_count 2
		.amdhsa_user_sgpr_dispatch_ptr 0
		.amdhsa_user_sgpr_queue_ptr 0
		.amdhsa_user_sgpr_kernarg_segment_ptr 1
		.amdhsa_user_sgpr_dispatch_id 0
		.amdhsa_user_sgpr_private_segment_size 0
		.amdhsa_wavefront_size32 1
		.amdhsa_uses_dynamic_stack 0
		.amdhsa_enable_private_segment 0
		.amdhsa_system_sgpr_workgroup_id_x 1
		.amdhsa_system_sgpr_workgroup_id_y 0
		.amdhsa_system_sgpr_workgroup_id_z 0
		.amdhsa_system_sgpr_workgroup_info 0
		.amdhsa_system_vgpr_workitem_id 0
		.amdhsa_next_free_vgpr 1
		.amdhsa_next_free_sgpr 1
		.amdhsa_reserve_vcc 0
		.amdhsa_float_round_mode_32 0
		.amdhsa_float_round_mode_16_64 0
		.amdhsa_float_denorm_mode_32 3
		.amdhsa_float_denorm_mode_16_64 3
		.amdhsa_fp16_overflow 0
		.amdhsa_workgroup_processor_mode 1
		.amdhsa_memory_ordered 1
		.amdhsa_forward_progress 1
		.amdhsa_inst_pref_size 0
		.amdhsa_round_robin_scheduling 0
		.amdhsa_exception_fp_ieee_invalid_op 0
		.amdhsa_exception_fp_denorm_src 0
		.amdhsa_exception_fp_ieee_div_zero 0
		.amdhsa_exception_fp_ieee_overflow 0
		.amdhsa_exception_fp_ieee_underflow 0
		.amdhsa_exception_fp_ieee_inexact 0
		.amdhsa_exception_int_div_zero 0
	.end_amdhsa_kernel
	.section	.text._ZN7rocprim17ROCPRIM_400000_NS6detail17trampoline_kernelINS0_13select_configILj256ELj13ELNS0_17block_load_methodE3ELS4_3ELS4_3ELNS0_20block_scan_algorithmE0ELj4294967295EEENS1_25partition_config_selectorILNS1_17partition_subalgoE4EjNS0_10empty_typeEbEEZZNS1_14partition_implILS8_4ELb0ES6_15HIP_vector_typeIjLj2EENS0_17counting_iteratorIjlEEPS9_SG_NS0_5tupleIJPjSI_NS0_16reverse_iteratorISI_EEEEENSH_IJSG_SG_SG_EEES9_SI_JZNS1_25segmented_radix_sort_implINS0_14default_configELb1EPK12hip_bfloat16PSP_PKlPlN2at6native12_GLOBAL__N_18offset_tEEE10hipError_tPvRmT1_PNSt15iterator_traitsIS13_E10value_typeET2_T3_PNS14_IS19_E10value_typeET4_jRbjT5_S1F_jjP12ihipStream_tbEUljE_ZNSN_ISO_Lb1ESR_SS_SU_SV_SZ_EES10_S11_S12_S13_S17_S18_S19_S1C_S1D_jS1E_jS1F_S1F_jjS1H_bEUljE0_EEES10_S11_S12_S19_S1D_S1F_T6_T7_T9_mT8_S1H_bDpT10_ENKUlT_T0_E_clISt17integral_constantIbLb0EES1U_IbLb1EEEEDaS1Q_S1R_EUlS1Q_E_NS1_11comp_targetILNS1_3genE0ELNS1_11target_archE4294967295ELNS1_3gpuE0ELNS1_3repE0EEENS1_30default_config_static_selectorELNS0_4arch9wavefront6targetE0EEEvS13_,"axG",@progbits,_ZN7rocprim17ROCPRIM_400000_NS6detail17trampoline_kernelINS0_13select_configILj256ELj13ELNS0_17block_load_methodE3ELS4_3ELS4_3ELNS0_20block_scan_algorithmE0ELj4294967295EEENS1_25partition_config_selectorILNS1_17partition_subalgoE4EjNS0_10empty_typeEbEEZZNS1_14partition_implILS8_4ELb0ES6_15HIP_vector_typeIjLj2EENS0_17counting_iteratorIjlEEPS9_SG_NS0_5tupleIJPjSI_NS0_16reverse_iteratorISI_EEEEENSH_IJSG_SG_SG_EEES9_SI_JZNS1_25segmented_radix_sort_implINS0_14default_configELb1EPK12hip_bfloat16PSP_PKlPlN2at6native12_GLOBAL__N_18offset_tEEE10hipError_tPvRmT1_PNSt15iterator_traitsIS13_E10value_typeET2_T3_PNS14_IS19_E10value_typeET4_jRbjT5_S1F_jjP12ihipStream_tbEUljE_ZNSN_ISO_Lb1ESR_SS_SU_SV_SZ_EES10_S11_S12_S13_S17_S18_S19_S1C_S1D_jS1E_jS1F_S1F_jjS1H_bEUljE0_EEES10_S11_S12_S19_S1D_S1F_T6_T7_T9_mT8_S1H_bDpT10_ENKUlT_T0_E_clISt17integral_constantIbLb0EES1U_IbLb1EEEEDaS1Q_S1R_EUlS1Q_E_NS1_11comp_targetILNS1_3genE0ELNS1_11target_archE4294967295ELNS1_3gpuE0ELNS1_3repE0EEENS1_30default_config_static_selectorELNS0_4arch9wavefront6targetE0EEEvS13_,comdat
.Lfunc_end1906:
	.size	_ZN7rocprim17ROCPRIM_400000_NS6detail17trampoline_kernelINS0_13select_configILj256ELj13ELNS0_17block_load_methodE3ELS4_3ELS4_3ELNS0_20block_scan_algorithmE0ELj4294967295EEENS1_25partition_config_selectorILNS1_17partition_subalgoE4EjNS0_10empty_typeEbEEZZNS1_14partition_implILS8_4ELb0ES6_15HIP_vector_typeIjLj2EENS0_17counting_iteratorIjlEEPS9_SG_NS0_5tupleIJPjSI_NS0_16reverse_iteratorISI_EEEEENSH_IJSG_SG_SG_EEES9_SI_JZNS1_25segmented_radix_sort_implINS0_14default_configELb1EPK12hip_bfloat16PSP_PKlPlN2at6native12_GLOBAL__N_18offset_tEEE10hipError_tPvRmT1_PNSt15iterator_traitsIS13_E10value_typeET2_T3_PNS14_IS19_E10value_typeET4_jRbjT5_S1F_jjP12ihipStream_tbEUljE_ZNSN_ISO_Lb1ESR_SS_SU_SV_SZ_EES10_S11_S12_S13_S17_S18_S19_S1C_S1D_jS1E_jS1F_S1F_jjS1H_bEUljE0_EEES10_S11_S12_S19_S1D_S1F_T6_T7_T9_mT8_S1H_bDpT10_ENKUlT_T0_E_clISt17integral_constantIbLb0EES1U_IbLb1EEEEDaS1Q_S1R_EUlS1Q_E_NS1_11comp_targetILNS1_3genE0ELNS1_11target_archE4294967295ELNS1_3gpuE0ELNS1_3repE0EEENS1_30default_config_static_selectorELNS0_4arch9wavefront6targetE0EEEvS13_, .Lfunc_end1906-_ZN7rocprim17ROCPRIM_400000_NS6detail17trampoline_kernelINS0_13select_configILj256ELj13ELNS0_17block_load_methodE3ELS4_3ELS4_3ELNS0_20block_scan_algorithmE0ELj4294967295EEENS1_25partition_config_selectorILNS1_17partition_subalgoE4EjNS0_10empty_typeEbEEZZNS1_14partition_implILS8_4ELb0ES6_15HIP_vector_typeIjLj2EENS0_17counting_iteratorIjlEEPS9_SG_NS0_5tupleIJPjSI_NS0_16reverse_iteratorISI_EEEEENSH_IJSG_SG_SG_EEES9_SI_JZNS1_25segmented_radix_sort_implINS0_14default_configELb1EPK12hip_bfloat16PSP_PKlPlN2at6native12_GLOBAL__N_18offset_tEEE10hipError_tPvRmT1_PNSt15iterator_traitsIS13_E10value_typeET2_T3_PNS14_IS19_E10value_typeET4_jRbjT5_S1F_jjP12ihipStream_tbEUljE_ZNSN_ISO_Lb1ESR_SS_SU_SV_SZ_EES10_S11_S12_S13_S17_S18_S19_S1C_S1D_jS1E_jS1F_S1F_jjS1H_bEUljE0_EEES10_S11_S12_S19_S1D_S1F_T6_T7_T9_mT8_S1H_bDpT10_ENKUlT_T0_E_clISt17integral_constantIbLb0EES1U_IbLb1EEEEDaS1Q_S1R_EUlS1Q_E_NS1_11comp_targetILNS1_3genE0ELNS1_11target_archE4294967295ELNS1_3gpuE0ELNS1_3repE0EEENS1_30default_config_static_selectorELNS0_4arch9wavefront6targetE0EEEvS13_
                                        ; -- End function
	.set _ZN7rocprim17ROCPRIM_400000_NS6detail17trampoline_kernelINS0_13select_configILj256ELj13ELNS0_17block_load_methodE3ELS4_3ELS4_3ELNS0_20block_scan_algorithmE0ELj4294967295EEENS1_25partition_config_selectorILNS1_17partition_subalgoE4EjNS0_10empty_typeEbEEZZNS1_14partition_implILS8_4ELb0ES6_15HIP_vector_typeIjLj2EENS0_17counting_iteratorIjlEEPS9_SG_NS0_5tupleIJPjSI_NS0_16reverse_iteratorISI_EEEEENSH_IJSG_SG_SG_EEES9_SI_JZNS1_25segmented_radix_sort_implINS0_14default_configELb1EPK12hip_bfloat16PSP_PKlPlN2at6native12_GLOBAL__N_18offset_tEEE10hipError_tPvRmT1_PNSt15iterator_traitsIS13_E10value_typeET2_T3_PNS14_IS19_E10value_typeET4_jRbjT5_S1F_jjP12ihipStream_tbEUljE_ZNSN_ISO_Lb1ESR_SS_SU_SV_SZ_EES10_S11_S12_S13_S17_S18_S19_S1C_S1D_jS1E_jS1F_S1F_jjS1H_bEUljE0_EEES10_S11_S12_S19_S1D_S1F_T6_T7_T9_mT8_S1H_bDpT10_ENKUlT_T0_E_clISt17integral_constantIbLb0EES1U_IbLb1EEEEDaS1Q_S1R_EUlS1Q_E_NS1_11comp_targetILNS1_3genE0ELNS1_11target_archE4294967295ELNS1_3gpuE0ELNS1_3repE0EEENS1_30default_config_static_selectorELNS0_4arch9wavefront6targetE0EEEvS13_.num_vgpr, 0
	.set _ZN7rocprim17ROCPRIM_400000_NS6detail17trampoline_kernelINS0_13select_configILj256ELj13ELNS0_17block_load_methodE3ELS4_3ELS4_3ELNS0_20block_scan_algorithmE0ELj4294967295EEENS1_25partition_config_selectorILNS1_17partition_subalgoE4EjNS0_10empty_typeEbEEZZNS1_14partition_implILS8_4ELb0ES6_15HIP_vector_typeIjLj2EENS0_17counting_iteratorIjlEEPS9_SG_NS0_5tupleIJPjSI_NS0_16reverse_iteratorISI_EEEEENSH_IJSG_SG_SG_EEES9_SI_JZNS1_25segmented_radix_sort_implINS0_14default_configELb1EPK12hip_bfloat16PSP_PKlPlN2at6native12_GLOBAL__N_18offset_tEEE10hipError_tPvRmT1_PNSt15iterator_traitsIS13_E10value_typeET2_T3_PNS14_IS19_E10value_typeET4_jRbjT5_S1F_jjP12ihipStream_tbEUljE_ZNSN_ISO_Lb1ESR_SS_SU_SV_SZ_EES10_S11_S12_S13_S17_S18_S19_S1C_S1D_jS1E_jS1F_S1F_jjS1H_bEUljE0_EEES10_S11_S12_S19_S1D_S1F_T6_T7_T9_mT8_S1H_bDpT10_ENKUlT_T0_E_clISt17integral_constantIbLb0EES1U_IbLb1EEEEDaS1Q_S1R_EUlS1Q_E_NS1_11comp_targetILNS1_3genE0ELNS1_11target_archE4294967295ELNS1_3gpuE0ELNS1_3repE0EEENS1_30default_config_static_selectorELNS0_4arch9wavefront6targetE0EEEvS13_.num_agpr, 0
	.set _ZN7rocprim17ROCPRIM_400000_NS6detail17trampoline_kernelINS0_13select_configILj256ELj13ELNS0_17block_load_methodE3ELS4_3ELS4_3ELNS0_20block_scan_algorithmE0ELj4294967295EEENS1_25partition_config_selectorILNS1_17partition_subalgoE4EjNS0_10empty_typeEbEEZZNS1_14partition_implILS8_4ELb0ES6_15HIP_vector_typeIjLj2EENS0_17counting_iteratorIjlEEPS9_SG_NS0_5tupleIJPjSI_NS0_16reverse_iteratorISI_EEEEENSH_IJSG_SG_SG_EEES9_SI_JZNS1_25segmented_radix_sort_implINS0_14default_configELb1EPK12hip_bfloat16PSP_PKlPlN2at6native12_GLOBAL__N_18offset_tEEE10hipError_tPvRmT1_PNSt15iterator_traitsIS13_E10value_typeET2_T3_PNS14_IS19_E10value_typeET4_jRbjT5_S1F_jjP12ihipStream_tbEUljE_ZNSN_ISO_Lb1ESR_SS_SU_SV_SZ_EES10_S11_S12_S13_S17_S18_S19_S1C_S1D_jS1E_jS1F_S1F_jjS1H_bEUljE0_EEES10_S11_S12_S19_S1D_S1F_T6_T7_T9_mT8_S1H_bDpT10_ENKUlT_T0_E_clISt17integral_constantIbLb0EES1U_IbLb1EEEEDaS1Q_S1R_EUlS1Q_E_NS1_11comp_targetILNS1_3genE0ELNS1_11target_archE4294967295ELNS1_3gpuE0ELNS1_3repE0EEENS1_30default_config_static_selectorELNS0_4arch9wavefront6targetE0EEEvS13_.numbered_sgpr, 0
	.set _ZN7rocprim17ROCPRIM_400000_NS6detail17trampoline_kernelINS0_13select_configILj256ELj13ELNS0_17block_load_methodE3ELS4_3ELS4_3ELNS0_20block_scan_algorithmE0ELj4294967295EEENS1_25partition_config_selectorILNS1_17partition_subalgoE4EjNS0_10empty_typeEbEEZZNS1_14partition_implILS8_4ELb0ES6_15HIP_vector_typeIjLj2EENS0_17counting_iteratorIjlEEPS9_SG_NS0_5tupleIJPjSI_NS0_16reverse_iteratorISI_EEEEENSH_IJSG_SG_SG_EEES9_SI_JZNS1_25segmented_radix_sort_implINS0_14default_configELb1EPK12hip_bfloat16PSP_PKlPlN2at6native12_GLOBAL__N_18offset_tEEE10hipError_tPvRmT1_PNSt15iterator_traitsIS13_E10value_typeET2_T3_PNS14_IS19_E10value_typeET4_jRbjT5_S1F_jjP12ihipStream_tbEUljE_ZNSN_ISO_Lb1ESR_SS_SU_SV_SZ_EES10_S11_S12_S13_S17_S18_S19_S1C_S1D_jS1E_jS1F_S1F_jjS1H_bEUljE0_EEES10_S11_S12_S19_S1D_S1F_T6_T7_T9_mT8_S1H_bDpT10_ENKUlT_T0_E_clISt17integral_constantIbLb0EES1U_IbLb1EEEEDaS1Q_S1R_EUlS1Q_E_NS1_11comp_targetILNS1_3genE0ELNS1_11target_archE4294967295ELNS1_3gpuE0ELNS1_3repE0EEENS1_30default_config_static_selectorELNS0_4arch9wavefront6targetE0EEEvS13_.num_named_barrier, 0
	.set _ZN7rocprim17ROCPRIM_400000_NS6detail17trampoline_kernelINS0_13select_configILj256ELj13ELNS0_17block_load_methodE3ELS4_3ELS4_3ELNS0_20block_scan_algorithmE0ELj4294967295EEENS1_25partition_config_selectorILNS1_17partition_subalgoE4EjNS0_10empty_typeEbEEZZNS1_14partition_implILS8_4ELb0ES6_15HIP_vector_typeIjLj2EENS0_17counting_iteratorIjlEEPS9_SG_NS0_5tupleIJPjSI_NS0_16reverse_iteratorISI_EEEEENSH_IJSG_SG_SG_EEES9_SI_JZNS1_25segmented_radix_sort_implINS0_14default_configELb1EPK12hip_bfloat16PSP_PKlPlN2at6native12_GLOBAL__N_18offset_tEEE10hipError_tPvRmT1_PNSt15iterator_traitsIS13_E10value_typeET2_T3_PNS14_IS19_E10value_typeET4_jRbjT5_S1F_jjP12ihipStream_tbEUljE_ZNSN_ISO_Lb1ESR_SS_SU_SV_SZ_EES10_S11_S12_S13_S17_S18_S19_S1C_S1D_jS1E_jS1F_S1F_jjS1H_bEUljE0_EEES10_S11_S12_S19_S1D_S1F_T6_T7_T9_mT8_S1H_bDpT10_ENKUlT_T0_E_clISt17integral_constantIbLb0EES1U_IbLb1EEEEDaS1Q_S1R_EUlS1Q_E_NS1_11comp_targetILNS1_3genE0ELNS1_11target_archE4294967295ELNS1_3gpuE0ELNS1_3repE0EEENS1_30default_config_static_selectorELNS0_4arch9wavefront6targetE0EEEvS13_.private_seg_size, 0
	.set _ZN7rocprim17ROCPRIM_400000_NS6detail17trampoline_kernelINS0_13select_configILj256ELj13ELNS0_17block_load_methodE3ELS4_3ELS4_3ELNS0_20block_scan_algorithmE0ELj4294967295EEENS1_25partition_config_selectorILNS1_17partition_subalgoE4EjNS0_10empty_typeEbEEZZNS1_14partition_implILS8_4ELb0ES6_15HIP_vector_typeIjLj2EENS0_17counting_iteratorIjlEEPS9_SG_NS0_5tupleIJPjSI_NS0_16reverse_iteratorISI_EEEEENSH_IJSG_SG_SG_EEES9_SI_JZNS1_25segmented_radix_sort_implINS0_14default_configELb1EPK12hip_bfloat16PSP_PKlPlN2at6native12_GLOBAL__N_18offset_tEEE10hipError_tPvRmT1_PNSt15iterator_traitsIS13_E10value_typeET2_T3_PNS14_IS19_E10value_typeET4_jRbjT5_S1F_jjP12ihipStream_tbEUljE_ZNSN_ISO_Lb1ESR_SS_SU_SV_SZ_EES10_S11_S12_S13_S17_S18_S19_S1C_S1D_jS1E_jS1F_S1F_jjS1H_bEUljE0_EEES10_S11_S12_S19_S1D_S1F_T6_T7_T9_mT8_S1H_bDpT10_ENKUlT_T0_E_clISt17integral_constantIbLb0EES1U_IbLb1EEEEDaS1Q_S1R_EUlS1Q_E_NS1_11comp_targetILNS1_3genE0ELNS1_11target_archE4294967295ELNS1_3gpuE0ELNS1_3repE0EEENS1_30default_config_static_selectorELNS0_4arch9wavefront6targetE0EEEvS13_.uses_vcc, 0
	.set _ZN7rocprim17ROCPRIM_400000_NS6detail17trampoline_kernelINS0_13select_configILj256ELj13ELNS0_17block_load_methodE3ELS4_3ELS4_3ELNS0_20block_scan_algorithmE0ELj4294967295EEENS1_25partition_config_selectorILNS1_17partition_subalgoE4EjNS0_10empty_typeEbEEZZNS1_14partition_implILS8_4ELb0ES6_15HIP_vector_typeIjLj2EENS0_17counting_iteratorIjlEEPS9_SG_NS0_5tupleIJPjSI_NS0_16reverse_iteratorISI_EEEEENSH_IJSG_SG_SG_EEES9_SI_JZNS1_25segmented_radix_sort_implINS0_14default_configELb1EPK12hip_bfloat16PSP_PKlPlN2at6native12_GLOBAL__N_18offset_tEEE10hipError_tPvRmT1_PNSt15iterator_traitsIS13_E10value_typeET2_T3_PNS14_IS19_E10value_typeET4_jRbjT5_S1F_jjP12ihipStream_tbEUljE_ZNSN_ISO_Lb1ESR_SS_SU_SV_SZ_EES10_S11_S12_S13_S17_S18_S19_S1C_S1D_jS1E_jS1F_S1F_jjS1H_bEUljE0_EEES10_S11_S12_S19_S1D_S1F_T6_T7_T9_mT8_S1H_bDpT10_ENKUlT_T0_E_clISt17integral_constantIbLb0EES1U_IbLb1EEEEDaS1Q_S1R_EUlS1Q_E_NS1_11comp_targetILNS1_3genE0ELNS1_11target_archE4294967295ELNS1_3gpuE0ELNS1_3repE0EEENS1_30default_config_static_selectorELNS0_4arch9wavefront6targetE0EEEvS13_.uses_flat_scratch, 0
	.set _ZN7rocprim17ROCPRIM_400000_NS6detail17trampoline_kernelINS0_13select_configILj256ELj13ELNS0_17block_load_methodE3ELS4_3ELS4_3ELNS0_20block_scan_algorithmE0ELj4294967295EEENS1_25partition_config_selectorILNS1_17partition_subalgoE4EjNS0_10empty_typeEbEEZZNS1_14partition_implILS8_4ELb0ES6_15HIP_vector_typeIjLj2EENS0_17counting_iteratorIjlEEPS9_SG_NS0_5tupleIJPjSI_NS0_16reverse_iteratorISI_EEEEENSH_IJSG_SG_SG_EEES9_SI_JZNS1_25segmented_radix_sort_implINS0_14default_configELb1EPK12hip_bfloat16PSP_PKlPlN2at6native12_GLOBAL__N_18offset_tEEE10hipError_tPvRmT1_PNSt15iterator_traitsIS13_E10value_typeET2_T3_PNS14_IS19_E10value_typeET4_jRbjT5_S1F_jjP12ihipStream_tbEUljE_ZNSN_ISO_Lb1ESR_SS_SU_SV_SZ_EES10_S11_S12_S13_S17_S18_S19_S1C_S1D_jS1E_jS1F_S1F_jjS1H_bEUljE0_EEES10_S11_S12_S19_S1D_S1F_T6_T7_T9_mT8_S1H_bDpT10_ENKUlT_T0_E_clISt17integral_constantIbLb0EES1U_IbLb1EEEEDaS1Q_S1R_EUlS1Q_E_NS1_11comp_targetILNS1_3genE0ELNS1_11target_archE4294967295ELNS1_3gpuE0ELNS1_3repE0EEENS1_30default_config_static_selectorELNS0_4arch9wavefront6targetE0EEEvS13_.has_dyn_sized_stack, 0
	.set _ZN7rocprim17ROCPRIM_400000_NS6detail17trampoline_kernelINS0_13select_configILj256ELj13ELNS0_17block_load_methodE3ELS4_3ELS4_3ELNS0_20block_scan_algorithmE0ELj4294967295EEENS1_25partition_config_selectorILNS1_17partition_subalgoE4EjNS0_10empty_typeEbEEZZNS1_14partition_implILS8_4ELb0ES6_15HIP_vector_typeIjLj2EENS0_17counting_iteratorIjlEEPS9_SG_NS0_5tupleIJPjSI_NS0_16reverse_iteratorISI_EEEEENSH_IJSG_SG_SG_EEES9_SI_JZNS1_25segmented_radix_sort_implINS0_14default_configELb1EPK12hip_bfloat16PSP_PKlPlN2at6native12_GLOBAL__N_18offset_tEEE10hipError_tPvRmT1_PNSt15iterator_traitsIS13_E10value_typeET2_T3_PNS14_IS19_E10value_typeET4_jRbjT5_S1F_jjP12ihipStream_tbEUljE_ZNSN_ISO_Lb1ESR_SS_SU_SV_SZ_EES10_S11_S12_S13_S17_S18_S19_S1C_S1D_jS1E_jS1F_S1F_jjS1H_bEUljE0_EEES10_S11_S12_S19_S1D_S1F_T6_T7_T9_mT8_S1H_bDpT10_ENKUlT_T0_E_clISt17integral_constantIbLb0EES1U_IbLb1EEEEDaS1Q_S1R_EUlS1Q_E_NS1_11comp_targetILNS1_3genE0ELNS1_11target_archE4294967295ELNS1_3gpuE0ELNS1_3repE0EEENS1_30default_config_static_selectorELNS0_4arch9wavefront6targetE0EEEvS13_.has_recursion, 0
	.set _ZN7rocprim17ROCPRIM_400000_NS6detail17trampoline_kernelINS0_13select_configILj256ELj13ELNS0_17block_load_methodE3ELS4_3ELS4_3ELNS0_20block_scan_algorithmE0ELj4294967295EEENS1_25partition_config_selectorILNS1_17partition_subalgoE4EjNS0_10empty_typeEbEEZZNS1_14partition_implILS8_4ELb0ES6_15HIP_vector_typeIjLj2EENS0_17counting_iteratorIjlEEPS9_SG_NS0_5tupleIJPjSI_NS0_16reverse_iteratorISI_EEEEENSH_IJSG_SG_SG_EEES9_SI_JZNS1_25segmented_radix_sort_implINS0_14default_configELb1EPK12hip_bfloat16PSP_PKlPlN2at6native12_GLOBAL__N_18offset_tEEE10hipError_tPvRmT1_PNSt15iterator_traitsIS13_E10value_typeET2_T3_PNS14_IS19_E10value_typeET4_jRbjT5_S1F_jjP12ihipStream_tbEUljE_ZNSN_ISO_Lb1ESR_SS_SU_SV_SZ_EES10_S11_S12_S13_S17_S18_S19_S1C_S1D_jS1E_jS1F_S1F_jjS1H_bEUljE0_EEES10_S11_S12_S19_S1D_S1F_T6_T7_T9_mT8_S1H_bDpT10_ENKUlT_T0_E_clISt17integral_constantIbLb0EES1U_IbLb1EEEEDaS1Q_S1R_EUlS1Q_E_NS1_11comp_targetILNS1_3genE0ELNS1_11target_archE4294967295ELNS1_3gpuE0ELNS1_3repE0EEENS1_30default_config_static_selectorELNS0_4arch9wavefront6targetE0EEEvS13_.has_indirect_call, 0
	.section	.AMDGPU.csdata,"",@progbits
; Kernel info:
; codeLenInByte = 0
; TotalNumSgprs: 0
; NumVgprs: 0
; ScratchSize: 0
; MemoryBound: 0
; FloatMode: 240
; IeeeMode: 1
; LDSByteSize: 0 bytes/workgroup (compile time only)
; SGPRBlocks: 0
; VGPRBlocks: 0
; NumSGPRsForWavesPerEU: 1
; NumVGPRsForWavesPerEU: 1
; Occupancy: 16
; WaveLimiterHint : 0
; COMPUTE_PGM_RSRC2:SCRATCH_EN: 0
; COMPUTE_PGM_RSRC2:USER_SGPR: 2
; COMPUTE_PGM_RSRC2:TRAP_HANDLER: 0
; COMPUTE_PGM_RSRC2:TGID_X_EN: 1
; COMPUTE_PGM_RSRC2:TGID_Y_EN: 0
; COMPUTE_PGM_RSRC2:TGID_Z_EN: 0
; COMPUTE_PGM_RSRC2:TIDIG_COMP_CNT: 0
	.section	.text._ZN7rocprim17ROCPRIM_400000_NS6detail17trampoline_kernelINS0_13select_configILj256ELj13ELNS0_17block_load_methodE3ELS4_3ELS4_3ELNS0_20block_scan_algorithmE0ELj4294967295EEENS1_25partition_config_selectorILNS1_17partition_subalgoE4EjNS0_10empty_typeEbEEZZNS1_14partition_implILS8_4ELb0ES6_15HIP_vector_typeIjLj2EENS0_17counting_iteratorIjlEEPS9_SG_NS0_5tupleIJPjSI_NS0_16reverse_iteratorISI_EEEEENSH_IJSG_SG_SG_EEES9_SI_JZNS1_25segmented_radix_sort_implINS0_14default_configELb1EPK12hip_bfloat16PSP_PKlPlN2at6native12_GLOBAL__N_18offset_tEEE10hipError_tPvRmT1_PNSt15iterator_traitsIS13_E10value_typeET2_T3_PNS14_IS19_E10value_typeET4_jRbjT5_S1F_jjP12ihipStream_tbEUljE_ZNSN_ISO_Lb1ESR_SS_SU_SV_SZ_EES10_S11_S12_S13_S17_S18_S19_S1C_S1D_jS1E_jS1F_S1F_jjS1H_bEUljE0_EEES10_S11_S12_S19_S1D_S1F_T6_T7_T9_mT8_S1H_bDpT10_ENKUlT_T0_E_clISt17integral_constantIbLb0EES1U_IbLb1EEEEDaS1Q_S1R_EUlS1Q_E_NS1_11comp_targetILNS1_3genE5ELNS1_11target_archE942ELNS1_3gpuE9ELNS1_3repE0EEENS1_30default_config_static_selectorELNS0_4arch9wavefront6targetE0EEEvS13_,"axG",@progbits,_ZN7rocprim17ROCPRIM_400000_NS6detail17trampoline_kernelINS0_13select_configILj256ELj13ELNS0_17block_load_methodE3ELS4_3ELS4_3ELNS0_20block_scan_algorithmE0ELj4294967295EEENS1_25partition_config_selectorILNS1_17partition_subalgoE4EjNS0_10empty_typeEbEEZZNS1_14partition_implILS8_4ELb0ES6_15HIP_vector_typeIjLj2EENS0_17counting_iteratorIjlEEPS9_SG_NS0_5tupleIJPjSI_NS0_16reverse_iteratorISI_EEEEENSH_IJSG_SG_SG_EEES9_SI_JZNS1_25segmented_radix_sort_implINS0_14default_configELb1EPK12hip_bfloat16PSP_PKlPlN2at6native12_GLOBAL__N_18offset_tEEE10hipError_tPvRmT1_PNSt15iterator_traitsIS13_E10value_typeET2_T3_PNS14_IS19_E10value_typeET4_jRbjT5_S1F_jjP12ihipStream_tbEUljE_ZNSN_ISO_Lb1ESR_SS_SU_SV_SZ_EES10_S11_S12_S13_S17_S18_S19_S1C_S1D_jS1E_jS1F_S1F_jjS1H_bEUljE0_EEES10_S11_S12_S19_S1D_S1F_T6_T7_T9_mT8_S1H_bDpT10_ENKUlT_T0_E_clISt17integral_constantIbLb0EES1U_IbLb1EEEEDaS1Q_S1R_EUlS1Q_E_NS1_11comp_targetILNS1_3genE5ELNS1_11target_archE942ELNS1_3gpuE9ELNS1_3repE0EEENS1_30default_config_static_selectorELNS0_4arch9wavefront6targetE0EEEvS13_,comdat
	.globl	_ZN7rocprim17ROCPRIM_400000_NS6detail17trampoline_kernelINS0_13select_configILj256ELj13ELNS0_17block_load_methodE3ELS4_3ELS4_3ELNS0_20block_scan_algorithmE0ELj4294967295EEENS1_25partition_config_selectorILNS1_17partition_subalgoE4EjNS0_10empty_typeEbEEZZNS1_14partition_implILS8_4ELb0ES6_15HIP_vector_typeIjLj2EENS0_17counting_iteratorIjlEEPS9_SG_NS0_5tupleIJPjSI_NS0_16reverse_iteratorISI_EEEEENSH_IJSG_SG_SG_EEES9_SI_JZNS1_25segmented_radix_sort_implINS0_14default_configELb1EPK12hip_bfloat16PSP_PKlPlN2at6native12_GLOBAL__N_18offset_tEEE10hipError_tPvRmT1_PNSt15iterator_traitsIS13_E10value_typeET2_T3_PNS14_IS19_E10value_typeET4_jRbjT5_S1F_jjP12ihipStream_tbEUljE_ZNSN_ISO_Lb1ESR_SS_SU_SV_SZ_EES10_S11_S12_S13_S17_S18_S19_S1C_S1D_jS1E_jS1F_S1F_jjS1H_bEUljE0_EEES10_S11_S12_S19_S1D_S1F_T6_T7_T9_mT8_S1H_bDpT10_ENKUlT_T0_E_clISt17integral_constantIbLb0EES1U_IbLb1EEEEDaS1Q_S1R_EUlS1Q_E_NS1_11comp_targetILNS1_3genE5ELNS1_11target_archE942ELNS1_3gpuE9ELNS1_3repE0EEENS1_30default_config_static_selectorELNS0_4arch9wavefront6targetE0EEEvS13_ ; -- Begin function _ZN7rocprim17ROCPRIM_400000_NS6detail17trampoline_kernelINS0_13select_configILj256ELj13ELNS0_17block_load_methodE3ELS4_3ELS4_3ELNS0_20block_scan_algorithmE0ELj4294967295EEENS1_25partition_config_selectorILNS1_17partition_subalgoE4EjNS0_10empty_typeEbEEZZNS1_14partition_implILS8_4ELb0ES6_15HIP_vector_typeIjLj2EENS0_17counting_iteratorIjlEEPS9_SG_NS0_5tupleIJPjSI_NS0_16reverse_iteratorISI_EEEEENSH_IJSG_SG_SG_EEES9_SI_JZNS1_25segmented_radix_sort_implINS0_14default_configELb1EPK12hip_bfloat16PSP_PKlPlN2at6native12_GLOBAL__N_18offset_tEEE10hipError_tPvRmT1_PNSt15iterator_traitsIS13_E10value_typeET2_T3_PNS14_IS19_E10value_typeET4_jRbjT5_S1F_jjP12ihipStream_tbEUljE_ZNSN_ISO_Lb1ESR_SS_SU_SV_SZ_EES10_S11_S12_S13_S17_S18_S19_S1C_S1D_jS1E_jS1F_S1F_jjS1H_bEUljE0_EEES10_S11_S12_S19_S1D_S1F_T6_T7_T9_mT8_S1H_bDpT10_ENKUlT_T0_E_clISt17integral_constantIbLb0EES1U_IbLb1EEEEDaS1Q_S1R_EUlS1Q_E_NS1_11comp_targetILNS1_3genE5ELNS1_11target_archE942ELNS1_3gpuE9ELNS1_3repE0EEENS1_30default_config_static_selectorELNS0_4arch9wavefront6targetE0EEEvS13_
	.p2align	8
	.type	_ZN7rocprim17ROCPRIM_400000_NS6detail17trampoline_kernelINS0_13select_configILj256ELj13ELNS0_17block_load_methodE3ELS4_3ELS4_3ELNS0_20block_scan_algorithmE0ELj4294967295EEENS1_25partition_config_selectorILNS1_17partition_subalgoE4EjNS0_10empty_typeEbEEZZNS1_14partition_implILS8_4ELb0ES6_15HIP_vector_typeIjLj2EENS0_17counting_iteratorIjlEEPS9_SG_NS0_5tupleIJPjSI_NS0_16reverse_iteratorISI_EEEEENSH_IJSG_SG_SG_EEES9_SI_JZNS1_25segmented_radix_sort_implINS0_14default_configELb1EPK12hip_bfloat16PSP_PKlPlN2at6native12_GLOBAL__N_18offset_tEEE10hipError_tPvRmT1_PNSt15iterator_traitsIS13_E10value_typeET2_T3_PNS14_IS19_E10value_typeET4_jRbjT5_S1F_jjP12ihipStream_tbEUljE_ZNSN_ISO_Lb1ESR_SS_SU_SV_SZ_EES10_S11_S12_S13_S17_S18_S19_S1C_S1D_jS1E_jS1F_S1F_jjS1H_bEUljE0_EEES10_S11_S12_S19_S1D_S1F_T6_T7_T9_mT8_S1H_bDpT10_ENKUlT_T0_E_clISt17integral_constantIbLb0EES1U_IbLb1EEEEDaS1Q_S1R_EUlS1Q_E_NS1_11comp_targetILNS1_3genE5ELNS1_11target_archE942ELNS1_3gpuE9ELNS1_3repE0EEENS1_30default_config_static_selectorELNS0_4arch9wavefront6targetE0EEEvS13_,@function
_ZN7rocprim17ROCPRIM_400000_NS6detail17trampoline_kernelINS0_13select_configILj256ELj13ELNS0_17block_load_methodE3ELS4_3ELS4_3ELNS0_20block_scan_algorithmE0ELj4294967295EEENS1_25partition_config_selectorILNS1_17partition_subalgoE4EjNS0_10empty_typeEbEEZZNS1_14partition_implILS8_4ELb0ES6_15HIP_vector_typeIjLj2EENS0_17counting_iteratorIjlEEPS9_SG_NS0_5tupleIJPjSI_NS0_16reverse_iteratorISI_EEEEENSH_IJSG_SG_SG_EEES9_SI_JZNS1_25segmented_radix_sort_implINS0_14default_configELb1EPK12hip_bfloat16PSP_PKlPlN2at6native12_GLOBAL__N_18offset_tEEE10hipError_tPvRmT1_PNSt15iterator_traitsIS13_E10value_typeET2_T3_PNS14_IS19_E10value_typeET4_jRbjT5_S1F_jjP12ihipStream_tbEUljE_ZNSN_ISO_Lb1ESR_SS_SU_SV_SZ_EES10_S11_S12_S13_S17_S18_S19_S1C_S1D_jS1E_jS1F_S1F_jjS1H_bEUljE0_EEES10_S11_S12_S19_S1D_S1F_T6_T7_T9_mT8_S1H_bDpT10_ENKUlT_T0_E_clISt17integral_constantIbLb0EES1U_IbLb1EEEEDaS1Q_S1R_EUlS1Q_E_NS1_11comp_targetILNS1_3genE5ELNS1_11target_archE942ELNS1_3gpuE9ELNS1_3repE0EEENS1_30default_config_static_selectorELNS0_4arch9wavefront6targetE0EEEvS13_: ; @_ZN7rocprim17ROCPRIM_400000_NS6detail17trampoline_kernelINS0_13select_configILj256ELj13ELNS0_17block_load_methodE3ELS4_3ELS4_3ELNS0_20block_scan_algorithmE0ELj4294967295EEENS1_25partition_config_selectorILNS1_17partition_subalgoE4EjNS0_10empty_typeEbEEZZNS1_14partition_implILS8_4ELb0ES6_15HIP_vector_typeIjLj2EENS0_17counting_iteratorIjlEEPS9_SG_NS0_5tupleIJPjSI_NS0_16reverse_iteratorISI_EEEEENSH_IJSG_SG_SG_EEES9_SI_JZNS1_25segmented_radix_sort_implINS0_14default_configELb1EPK12hip_bfloat16PSP_PKlPlN2at6native12_GLOBAL__N_18offset_tEEE10hipError_tPvRmT1_PNSt15iterator_traitsIS13_E10value_typeET2_T3_PNS14_IS19_E10value_typeET4_jRbjT5_S1F_jjP12ihipStream_tbEUljE_ZNSN_ISO_Lb1ESR_SS_SU_SV_SZ_EES10_S11_S12_S13_S17_S18_S19_S1C_S1D_jS1E_jS1F_S1F_jjS1H_bEUljE0_EEES10_S11_S12_S19_S1D_S1F_T6_T7_T9_mT8_S1H_bDpT10_ENKUlT_T0_E_clISt17integral_constantIbLb0EES1U_IbLb1EEEEDaS1Q_S1R_EUlS1Q_E_NS1_11comp_targetILNS1_3genE5ELNS1_11target_archE942ELNS1_3gpuE9ELNS1_3repE0EEENS1_30default_config_static_selectorELNS0_4arch9wavefront6targetE0EEEvS13_
; %bb.0:
	.section	.rodata,"a",@progbits
	.p2align	6, 0x0
	.amdhsa_kernel _ZN7rocprim17ROCPRIM_400000_NS6detail17trampoline_kernelINS0_13select_configILj256ELj13ELNS0_17block_load_methodE3ELS4_3ELS4_3ELNS0_20block_scan_algorithmE0ELj4294967295EEENS1_25partition_config_selectorILNS1_17partition_subalgoE4EjNS0_10empty_typeEbEEZZNS1_14partition_implILS8_4ELb0ES6_15HIP_vector_typeIjLj2EENS0_17counting_iteratorIjlEEPS9_SG_NS0_5tupleIJPjSI_NS0_16reverse_iteratorISI_EEEEENSH_IJSG_SG_SG_EEES9_SI_JZNS1_25segmented_radix_sort_implINS0_14default_configELb1EPK12hip_bfloat16PSP_PKlPlN2at6native12_GLOBAL__N_18offset_tEEE10hipError_tPvRmT1_PNSt15iterator_traitsIS13_E10value_typeET2_T3_PNS14_IS19_E10value_typeET4_jRbjT5_S1F_jjP12ihipStream_tbEUljE_ZNSN_ISO_Lb1ESR_SS_SU_SV_SZ_EES10_S11_S12_S13_S17_S18_S19_S1C_S1D_jS1E_jS1F_S1F_jjS1H_bEUljE0_EEES10_S11_S12_S19_S1D_S1F_T6_T7_T9_mT8_S1H_bDpT10_ENKUlT_T0_E_clISt17integral_constantIbLb0EES1U_IbLb1EEEEDaS1Q_S1R_EUlS1Q_E_NS1_11comp_targetILNS1_3genE5ELNS1_11target_archE942ELNS1_3gpuE9ELNS1_3repE0EEENS1_30default_config_static_selectorELNS0_4arch9wavefront6targetE0EEEvS13_
		.amdhsa_group_segment_fixed_size 0
		.amdhsa_private_segment_fixed_size 0
		.amdhsa_kernarg_size 184
		.amdhsa_user_sgpr_count 2
		.amdhsa_user_sgpr_dispatch_ptr 0
		.amdhsa_user_sgpr_queue_ptr 0
		.amdhsa_user_sgpr_kernarg_segment_ptr 1
		.amdhsa_user_sgpr_dispatch_id 0
		.amdhsa_user_sgpr_private_segment_size 0
		.amdhsa_wavefront_size32 1
		.amdhsa_uses_dynamic_stack 0
		.amdhsa_enable_private_segment 0
		.amdhsa_system_sgpr_workgroup_id_x 1
		.amdhsa_system_sgpr_workgroup_id_y 0
		.amdhsa_system_sgpr_workgroup_id_z 0
		.amdhsa_system_sgpr_workgroup_info 0
		.amdhsa_system_vgpr_workitem_id 0
		.amdhsa_next_free_vgpr 1
		.amdhsa_next_free_sgpr 1
		.amdhsa_reserve_vcc 0
		.amdhsa_float_round_mode_32 0
		.amdhsa_float_round_mode_16_64 0
		.amdhsa_float_denorm_mode_32 3
		.amdhsa_float_denorm_mode_16_64 3
		.amdhsa_fp16_overflow 0
		.amdhsa_workgroup_processor_mode 1
		.amdhsa_memory_ordered 1
		.amdhsa_forward_progress 1
		.amdhsa_inst_pref_size 0
		.amdhsa_round_robin_scheduling 0
		.amdhsa_exception_fp_ieee_invalid_op 0
		.amdhsa_exception_fp_denorm_src 0
		.amdhsa_exception_fp_ieee_div_zero 0
		.amdhsa_exception_fp_ieee_overflow 0
		.amdhsa_exception_fp_ieee_underflow 0
		.amdhsa_exception_fp_ieee_inexact 0
		.amdhsa_exception_int_div_zero 0
	.end_amdhsa_kernel
	.section	.text._ZN7rocprim17ROCPRIM_400000_NS6detail17trampoline_kernelINS0_13select_configILj256ELj13ELNS0_17block_load_methodE3ELS4_3ELS4_3ELNS0_20block_scan_algorithmE0ELj4294967295EEENS1_25partition_config_selectorILNS1_17partition_subalgoE4EjNS0_10empty_typeEbEEZZNS1_14partition_implILS8_4ELb0ES6_15HIP_vector_typeIjLj2EENS0_17counting_iteratorIjlEEPS9_SG_NS0_5tupleIJPjSI_NS0_16reverse_iteratorISI_EEEEENSH_IJSG_SG_SG_EEES9_SI_JZNS1_25segmented_radix_sort_implINS0_14default_configELb1EPK12hip_bfloat16PSP_PKlPlN2at6native12_GLOBAL__N_18offset_tEEE10hipError_tPvRmT1_PNSt15iterator_traitsIS13_E10value_typeET2_T3_PNS14_IS19_E10value_typeET4_jRbjT5_S1F_jjP12ihipStream_tbEUljE_ZNSN_ISO_Lb1ESR_SS_SU_SV_SZ_EES10_S11_S12_S13_S17_S18_S19_S1C_S1D_jS1E_jS1F_S1F_jjS1H_bEUljE0_EEES10_S11_S12_S19_S1D_S1F_T6_T7_T9_mT8_S1H_bDpT10_ENKUlT_T0_E_clISt17integral_constantIbLb0EES1U_IbLb1EEEEDaS1Q_S1R_EUlS1Q_E_NS1_11comp_targetILNS1_3genE5ELNS1_11target_archE942ELNS1_3gpuE9ELNS1_3repE0EEENS1_30default_config_static_selectorELNS0_4arch9wavefront6targetE0EEEvS13_,"axG",@progbits,_ZN7rocprim17ROCPRIM_400000_NS6detail17trampoline_kernelINS0_13select_configILj256ELj13ELNS0_17block_load_methodE3ELS4_3ELS4_3ELNS0_20block_scan_algorithmE0ELj4294967295EEENS1_25partition_config_selectorILNS1_17partition_subalgoE4EjNS0_10empty_typeEbEEZZNS1_14partition_implILS8_4ELb0ES6_15HIP_vector_typeIjLj2EENS0_17counting_iteratorIjlEEPS9_SG_NS0_5tupleIJPjSI_NS0_16reverse_iteratorISI_EEEEENSH_IJSG_SG_SG_EEES9_SI_JZNS1_25segmented_radix_sort_implINS0_14default_configELb1EPK12hip_bfloat16PSP_PKlPlN2at6native12_GLOBAL__N_18offset_tEEE10hipError_tPvRmT1_PNSt15iterator_traitsIS13_E10value_typeET2_T3_PNS14_IS19_E10value_typeET4_jRbjT5_S1F_jjP12ihipStream_tbEUljE_ZNSN_ISO_Lb1ESR_SS_SU_SV_SZ_EES10_S11_S12_S13_S17_S18_S19_S1C_S1D_jS1E_jS1F_S1F_jjS1H_bEUljE0_EEES10_S11_S12_S19_S1D_S1F_T6_T7_T9_mT8_S1H_bDpT10_ENKUlT_T0_E_clISt17integral_constantIbLb0EES1U_IbLb1EEEEDaS1Q_S1R_EUlS1Q_E_NS1_11comp_targetILNS1_3genE5ELNS1_11target_archE942ELNS1_3gpuE9ELNS1_3repE0EEENS1_30default_config_static_selectorELNS0_4arch9wavefront6targetE0EEEvS13_,comdat
.Lfunc_end1907:
	.size	_ZN7rocprim17ROCPRIM_400000_NS6detail17trampoline_kernelINS0_13select_configILj256ELj13ELNS0_17block_load_methodE3ELS4_3ELS4_3ELNS0_20block_scan_algorithmE0ELj4294967295EEENS1_25partition_config_selectorILNS1_17partition_subalgoE4EjNS0_10empty_typeEbEEZZNS1_14partition_implILS8_4ELb0ES6_15HIP_vector_typeIjLj2EENS0_17counting_iteratorIjlEEPS9_SG_NS0_5tupleIJPjSI_NS0_16reverse_iteratorISI_EEEEENSH_IJSG_SG_SG_EEES9_SI_JZNS1_25segmented_radix_sort_implINS0_14default_configELb1EPK12hip_bfloat16PSP_PKlPlN2at6native12_GLOBAL__N_18offset_tEEE10hipError_tPvRmT1_PNSt15iterator_traitsIS13_E10value_typeET2_T3_PNS14_IS19_E10value_typeET4_jRbjT5_S1F_jjP12ihipStream_tbEUljE_ZNSN_ISO_Lb1ESR_SS_SU_SV_SZ_EES10_S11_S12_S13_S17_S18_S19_S1C_S1D_jS1E_jS1F_S1F_jjS1H_bEUljE0_EEES10_S11_S12_S19_S1D_S1F_T6_T7_T9_mT8_S1H_bDpT10_ENKUlT_T0_E_clISt17integral_constantIbLb0EES1U_IbLb1EEEEDaS1Q_S1R_EUlS1Q_E_NS1_11comp_targetILNS1_3genE5ELNS1_11target_archE942ELNS1_3gpuE9ELNS1_3repE0EEENS1_30default_config_static_selectorELNS0_4arch9wavefront6targetE0EEEvS13_, .Lfunc_end1907-_ZN7rocprim17ROCPRIM_400000_NS6detail17trampoline_kernelINS0_13select_configILj256ELj13ELNS0_17block_load_methodE3ELS4_3ELS4_3ELNS0_20block_scan_algorithmE0ELj4294967295EEENS1_25partition_config_selectorILNS1_17partition_subalgoE4EjNS0_10empty_typeEbEEZZNS1_14partition_implILS8_4ELb0ES6_15HIP_vector_typeIjLj2EENS0_17counting_iteratorIjlEEPS9_SG_NS0_5tupleIJPjSI_NS0_16reverse_iteratorISI_EEEEENSH_IJSG_SG_SG_EEES9_SI_JZNS1_25segmented_radix_sort_implINS0_14default_configELb1EPK12hip_bfloat16PSP_PKlPlN2at6native12_GLOBAL__N_18offset_tEEE10hipError_tPvRmT1_PNSt15iterator_traitsIS13_E10value_typeET2_T3_PNS14_IS19_E10value_typeET4_jRbjT5_S1F_jjP12ihipStream_tbEUljE_ZNSN_ISO_Lb1ESR_SS_SU_SV_SZ_EES10_S11_S12_S13_S17_S18_S19_S1C_S1D_jS1E_jS1F_S1F_jjS1H_bEUljE0_EEES10_S11_S12_S19_S1D_S1F_T6_T7_T9_mT8_S1H_bDpT10_ENKUlT_T0_E_clISt17integral_constantIbLb0EES1U_IbLb1EEEEDaS1Q_S1R_EUlS1Q_E_NS1_11comp_targetILNS1_3genE5ELNS1_11target_archE942ELNS1_3gpuE9ELNS1_3repE0EEENS1_30default_config_static_selectorELNS0_4arch9wavefront6targetE0EEEvS13_
                                        ; -- End function
	.set _ZN7rocprim17ROCPRIM_400000_NS6detail17trampoline_kernelINS0_13select_configILj256ELj13ELNS0_17block_load_methodE3ELS4_3ELS4_3ELNS0_20block_scan_algorithmE0ELj4294967295EEENS1_25partition_config_selectorILNS1_17partition_subalgoE4EjNS0_10empty_typeEbEEZZNS1_14partition_implILS8_4ELb0ES6_15HIP_vector_typeIjLj2EENS0_17counting_iteratorIjlEEPS9_SG_NS0_5tupleIJPjSI_NS0_16reverse_iteratorISI_EEEEENSH_IJSG_SG_SG_EEES9_SI_JZNS1_25segmented_radix_sort_implINS0_14default_configELb1EPK12hip_bfloat16PSP_PKlPlN2at6native12_GLOBAL__N_18offset_tEEE10hipError_tPvRmT1_PNSt15iterator_traitsIS13_E10value_typeET2_T3_PNS14_IS19_E10value_typeET4_jRbjT5_S1F_jjP12ihipStream_tbEUljE_ZNSN_ISO_Lb1ESR_SS_SU_SV_SZ_EES10_S11_S12_S13_S17_S18_S19_S1C_S1D_jS1E_jS1F_S1F_jjS1H_bEUljE0_EEES10_S11_S12_S19_S1D_S1F_T6_T7_T9_mT8_S1H_bDpT10_ENKUlT_T0_E_clISt17integral_constantIbLb0EES1U_IbLb1EEEEDaS1Q_S1R_EUlS1Q_E_NS1_11comp_targetILNS1_3genE5ELNS1_11target_archE942ELNS1_3gpuE9ELNS1_3repE0EEENS1_30default_config_static_selectorELNS0_4arch9wavefront6targetE0EEEvS13_.num_vgpr, 0
	.set _ZN7rocprim17ROCPRIM_400000_NS6detail17trampoline_kernelINS0_13select_configILj256ELj13ELNS0_17block_load_methodE3ELS4_3ELS4_3ELNS0_20block_scan_algorithmE0ELj4294967295EEENS1_25partition_config_selectorILNS1_17partition_subalgoE4EjNS0_10empty_typeEbEEZZNS1_14partition_implILS8_4ELb0ES6_15HIP_vector_typeIjLj2EENS0_17counting_iteratorIjlEEPS9_SG_NS0_5tupleIJPjSI_NS0_16reverse_iteratorISI_EEEEENSH_IJSG_SG_SG_EEES9_SI_JZNS1_25segmented_radix_sort_implINS0_14default_configELb1EPK12hip_bfloat16PSP_PKlPlN2at6native12_GLOBAL__N_18offset_tEEE10hipError_tPvRmT1_PNSt15iterator_traitsIS13_E10value_typeET2_T3_PNS14_IS19_E10value_typeET4_jRbjT5_S1F_jjP12ihipStream_tbEUljE_ZNSN_ISO_Lb1ESR_SS_SU_SV_SZ_EES10_S11_S12_S13_S17_S18_S19_S1C_S1D_jS1E_jS1F_S1F_jjS1H_bEUljE0_EEES10_S11_S12_S19_S1D_S1F_T6_T7_T9_mT8_S1H_bDpT10_ENKUlT_T0_E_clISt17integral_constantIbLb0EES1U_IbLb1EEEEDaS1Q_S1R_EUlS1Q_E_NS1_11comp_targetILNS1_3genE5ELNS1_11target_archE942ELNS1_3gpuE9ELNS1_3repE0EEENS1_30default_config_static_selectorELNS0_4arch9wavefront6targetE0EEEvS13_.num_agpr, 0
	.set _ZN7rocprim17ROCPRIM_400000_NS6detail17trampoline_kernelINS0_13select_configILj256ELj13ELNS0_17block_load_methodE3ELS4_3ELS4_3ELNS0_20block_scan_algorithmE0ELj4294967295EEENS1_25partition_config_selectorILNS1_17partition_subalgoE4EjNS0_10empty_typeEbEEZZNS1_14partition_implILS8_4ELb0ES6_15HIP_vector_typeIjLj2EENS0_17counting_iteratorIjlEEPS9_SG_NS0_5tupleIJPjSI_NS0_16reverse_iteratorISI_EEEEENSH_IJSG_SG_SG_EEES9_SI_JZNS1_25segmented_radix_sort_implINS0_14default_configELb1EPK12hip_bfloat16PSP_PKlPlN2at6native12_GLOBAL__N_18offset_tEEE10hipError_tPvRmT1_PNSt15iterator_traitsIS13_E10value_typeET2_T3_PNS14_IS19_E10value_typeET4_jRbjT5_S1F_jjP12ihipStream_tbEUljE_ZNSN_ISO_Lb1ESR_SS_SU_SV_SZ_EES10_S11_S12_S13_S17_S18_S19_S1C_S1D_jS1E_jS1F_S1F_jjS1H_bEUljE0_EEES10_S11_S12_S19_S1D_S1F_T6_T7_T9_mT8_S1H_bDpT10_ENKUlT_T0_E_clISt17integral_constantIbLb0EES1U_IbLb1EEEEDaS1Q_S1R_EUlS1Q_E_NS1_11comp_targetILNS1_3genE5ELNS1_11target_archE942ELNS1_3gpuE9ELNS1_3repE0EEENS1_30default_config_static_selectorELNS0_4arch9wavefront6targetE0EEEvS13_.numbered_sgpr, 0
	.set _ZN7rocprim17ROCPRIM_400000_NS6detail17trampoline_kernelINS0_13select_configILj256ELj13ELNS0_17block_load_methodE3ELS4_3ELS4_3ELNS0_20block_scan_algorithmE0ELj4294967295EEENS1_25partition_config_selectorILNS1_17partition_subalgoE4EjNS0_10empty_typeEbEEZZNS1_14partition_implILS8_4ELb0ES6_15HIP_vector_typeIjLj2EENS0_17counting_iteratorIjlEEPS9_SG_NS0_5tupleIJPjSI_NS0_16reverse_iteratorISI_EEEEENSH_IJSG_SG_SG_EEES9_SI_JZNS1_25segmented_radix_sort_implINS0_14default_configELb1EPK12hip_bfloat16PSP_PKlPlN2at6native12_GLOBAL__N_18offset_tEEE10hipError_tPvRmT1_PNSt15iterator_traitsIS13_E10value_typeET2_T3_PNS14_IS19_E10value_typeET4_jRbjT5_S1F_jjP12ihipStream_tbEUljE_ZNSN_ISO_Lb1ESR_SS_SU_SV_SZ_EES10_S11_S12_S13_S17_S18_S19_S1C_S1D_jS1E_jS1F_S1F_jjS1H_bEUljE0_EEES10_S11_S12_S19_S1D_S1F_T6_T7_T9_mT8_S1H_bDpT10_ENKUlT_T0_E_clISt17integral_constantIbLb0EES1U_IbLb1EEEEDaS1Q_S1R_EUlS1Q_E_NS1_11comp_targetILNS1_3genE5ELNS1_11target_archE942ELNS1_3gpuE9ELNS1_3repE0EEENS1_30default_config_static_selectorELNS0_4arch9wavefront6targetE0EEEvS13_.num_named_barrier, 0
	.set _ZN7rocprim17ROCPRIM_400000_NS6detail17trampoline_kernelINS0_13select_configILj256ELj13ELNS0_17block_load_methodE3ELS4_3ELS4_3ELNS0_20block_scan_algorithmE0ELj4294967295EEENS1_25partition_config_selectorILNS1_17partition_subalgoE4EjNS0_10empty_typeEbEEZZNS1_14partition_implILS8_4ELb0ES6_15HIP_vector_typeIjLj2EENS0_17counting_iteratorIjlEEPS9_SG_NS0_5tupleIJPjSI_NS0_16reverse_iteratorISI_EEEEENSH_IJSG_SG_SG_EEES9_SI_JZNS1_25segmented_radix_sort_implINS0_14default_configELb1EPK12hip_bfloat16PSP_PKlPlN2at6native12_GLOBAL__N_18offset_tEEE10hipError_tPvRmT1_PNSt15iterator_traitsIS13_E10value_typeET2_T3_PNS14_IS19_E10value_typeET4_jRbjT5_S1F_jjP12ihipStream_tbEUljE_ZNSN_ISO_Lb1ESR_SS_SU_SV_SZ_EES10_S11_S12_S13_S17_S18_S19_S1C_S1D_jS1E_jS1F_S1F_jjS1H_bEUljE0_EEES10_S11_S12_S19_S1D_S1F_T6_T7_T9_mT8_S1H_bDpT10_ENKUlT_T0_E_clISt17integral_constantIbLb0EES1U_IbLb1EEEEDaS1Q_S1R_EUlS1Q_E_NS1_11comp_targetILNS1_3genE5ELNS1_11target_archE942ELNS1_3gpuE9ELNS1_3repE0EEENS1_30default_config_static_selectorELNS0_4arch9wavefront6targetE0EEEvS13_.private_seg_size, 0
	.set _ZN7rocprim17ROCPRIM_400000_NS6detail17trampoline_kernelINS0_13select_configILj256ELj13ELNS0_17block_load_methodE3ELS4_3ELS4_3ELNS0_20block_scan_algorithmE0ELj4294967295EEENS1_25partition_config_selectorILNS1_17partition_subalgoE4EjNS0_10empty_typeEbEEZZNS1_14partition_implILS8_4ELb0ES6_15HIP_vector_typeIjLj2EENS0_17counting_iteratorIjlEEPS9_SG_NS0_5tupleIJPjSI_NS0_16reverse_iteratorISI_EEEEENSH_IJSG_SG_SG_EEES9_SI_JZNS1_25segmented_radix_sort_implINS0_14default_configELb1EPK12hip_bfloat16PSP_PKlPlN2at6native12_GLOBAL__N_18offset_tEEE10hipError_tPvRmT1_PNSt15iterator_traitsIS13_E10value_typeET2_T3_PNS14_IS19_E10value_typeET4_jRbjT5_S1F_jjP12ihipStream_tbEUljE_ZNSN_ISO_Lb1ESR_SS_SU_SV_SZ_EES10_S11_S12_S13_S17_S18_S19_S1C_S1D_jS1E_jS1F_S1F_jjS1H_bEUljE0_EEES10_S11_S12_S19_S1D_S1F_T6_T7_T9_mT8_S1H_bDpT10_ENKUlT_T0_E_clISt17integral_constantIbLb0EES1U_IbLb1EEEEDaS1Q_S1R_EUlS1Q_E_NS1_11comp_targetILNS1_3genE5ELNS1_11target_archE942ELNS1_3gpuE9ELNS1_3repE0EEENS1_30default_config_static_selectorELNS0_4arch9wavefront6targetE0EEEvS13_.uses_vcc, 0
	.set _ZN7rocprim17ROCPRIM_400000_NS6detail17trampoline_kernelINS0_13select_configILj256ELj13ELNS0_17block_load_methodE3ELS4_3ELS4_3ELNS0_20block_scan_algorithmE0ELj4294967295EEENS1_25partition_config_selectorILNS1_17partition_subalgoE4EjNS0_10empty_typeEbEEZZNS1_14partition_implILS8_4ELb0ES6_15HIP_vector_typeIjLj2EENS0_17counting_iteratorIjlEEPS9_SG_NS0_5tupleIJPjSI_NS0_16reverse_iteratorISI_EEEEENSH_IJSG_SG_SG_EEES9_SI_JZNS1_25segmented_radix_sort_implINS0_14default_configELb1EPK12hip_bfloat16PSP_PKlPlN2at6native12_GLOBAL__N_18offset_tEEE10hipError_tPvRmT1_PNSt15iterator_traitsIS13_E10value_typeET2_T3_PNS14_IS19_E10value_typeET4_jRbjT5_S1F_jjP12ihipStream_tbEUljE_ZNSN_ISO_Lb1ESR_SS_SU_SV_SZ_EES10_S11_S12_S13_S17_S18_S19_S1C_S1D_jS1E_jS1F_S1F_jjS1H_bEUljE0_EEES10_S11_S12_S19_S1D_S1F_T6_T7_T9_mT8_S1H_bDpT10_ENKUlT_T0_E_clISt17integral_constantIbLb0EES1U_IbLb1EEEEDaS1Q_S1R_EUlS1Q_E_NS1_11comp_targetILNS1_3genE5ELNS1_11target_archE942ELNS1_3gpuE9ELNS1_3repE0EEENS1_30default_config_static_selectorELNS0_4arch9wavefront6targetE0EEEvS13_.uses_flat_scratch, 0
	.set _ZN7rocprim17ROCPRIM_400000_NS6detail17trampoline_kernelINS0_13select_configILj256ELj13ELNS0_17block_load_methodE3ELS4_3ELS4_3ELNS0_20block_scan_algorithmE0ELj4294967295EEENS1_25partition_config_selectorILNS1_17partition_subalgoE4EjNS0_10empty_typeEbEEZZNS1_14partition_implILS8_4ELb0ES6_15HIP_vector_typeIjLj2EENS0_17counting_iteratorIjlEEPS9_SG_NS0_5tupleIJPjSI_NS0_16reverse_iteratorISI_EEEEENSH_IJSG_SG_SG_EEES9_SI_JZNS1_25segmented_radix_sort_implINS0_14default_configELb1EPK12hip_bfloat16PSP_PKlPlN2at6native12_GLOBAL__N_18offset_tEEE10hipError_tPvRmT1_PNSt15iterator_traitsIS13_E10value_typeET2_T3_PNS14_IS19_E10value_typeET4_jRbjT5_S1F_jjP12ihipStream_tbEUljE_ZNSN_ISO_Lb1ESR_SS_SU_SV_SZ_EES10_S11_S12_S13_S17_S18_S19_S1C_S1D_jS1E_jS1F_S1F_jjS1H_bEUljE0_EEES10_S11_S12_S19_S1D_S1F_T6_T7_T9_mT8_S1H_bDpT10_ENKUlT_T0_E_clISt17integral_constantIbLb0EES1U_IbLb1EEEEDaS1Q_S1R_EUlS1Q_E_NS1_11comp_targetILNS1_3genE5ELNS1_11target_archE942ELNS1_3gpuE9ELNS1_3repE0EEENS1_30default_config_static_selectorELNS0_4arch9wavefront6targetE0EEEvS13_.has_dyn_sized_stack, 0
	.set _ZN7rocprim17ROCPRIM_400000_NS6detail17trampoline_kernelINS0_13select_configILj256ELj13ELNS0_17block_load_methodE3ELS4_3ELS4_3ELNS0_20block_scan_algorithmE0ELj4294967295EEENS1_25partition_config_selectorILNS1_17partition_subalgoE4EjNS0_10empty_typeEbEEZZNS1_14partition_implILS8_4ELb0ES6_15HIP_vector_typeIjLj2EENS0_17counting_iteratorIjlEEPS9_SG_NS0_5tupleIJPjSI_NS0_16reverse_iteratorISI_EEEEENSH_IJSG_SG_SG_EEES9_SI_JZNS1_25segmented_radix_sort_implINS0_14default_configELb1EPK12hip_bfloat16PSP_PKlPlN2at6native12_GLOBAL__N_18offset_tEEE10hipError_tPvRmT1_PNSt15iterator_traitsIS13_E10value_typeET2_T3_PNS14_IS19_E10value_typeET4_jRbjT5_S1F_jjP12ihipStream_tbEUljE_ZNSN_ISO_Lb1ESR_SS_SU_SV_SZ_EES10_S11_S12_S13_S17_S18_S19_S1C_S1D_jS1E_jS1F_S1F_jjS1H_bEUljE0_EEES10_S11_S12_S19_S1D_S1F_T6_T7_T9_mT8_S1H_bDpT10_ENKUlT_T0_E_clISt17integral_constantIbLb0EES1U_IbLb1EEEEDaS1Q_S1R_EUlS1Q_E_NS1_11comp_targetILNS1_3genE5ELNS1_11target_archE942ELNS1_3gpuE9ELNS1_3repE0EEENS1_30default_config_static_selectorELNS0_4arch9wavefront6targetE0EEEvS13_.has_recursion, 0
	.set _ZN7rocprim17ROCPRIM_400000_NS6detail17trampoline_kernelINS0_13select_configILj256ELj13ELNS0_17block_load_methodE3ELS4_3ELS4_3ELNS0_20block_scan_algorithmE0ELj4294967295EEENS1_25partition_config_selectorILNS1_17partition_subalgoE4EjNS0_10empty_typeEbEEZZNS1_14partition_implILS8_4ELb0ES6_15HIP_vector_typeIjLj2EENS0_17counting_iteratorIjlEEPS9_SG_NS0_5tupleIJPjSI_NS0_16reverse_iteratorISI_EEEEENSH_IJSG_SG_SG_EEES9_SI_JZNS1_25segmented_radix_sort_implINS0_14default_configELb1EPK12hip_bfloat16PSP_PKlPlN2at6native12_GLOBAL__N_18offset_tEEE10hipError_tPvRmT1_PNSt15iterator_traitsIS13_E10value_typeET2_T3_PNS14_IS19_E10value_typeET4_jRbjT5_S1F_jjP12ihipStream_tbEUljE_ZNSN_ISO_Lb1ESR_SS_SU_SV_SZ_EES10_S11_S12_S13_S17_S18_S19_S1C_S1D_jS1E_jS1F_S1F_jjS1H_bEUljE0_EEES10_S11_S12_S19_S1D_S1F_T6_T7_T9_mT8_S1H_bDpT10_ENKUlT_T0_E_clISt17integral_constantIbLb0EES1U_IbLb1EEEEDaS1Q_S1R_EUlS1Q_E_NS1_11comp_targetILNS1_3genE5ELNS1_11target_archE942ELNS1_3gpuE9ELNS1_3repE0EEENS1_30default_config_static_selectorELNS0_4arch9wavefront6targetE0EEEvS13_.has_indirect_call, 0
	.section	.AMDGPU.csdata,"",@progbits
; Kernel info:
; codeLenInByte = 0
; TotalNumSgprs: 0
; NumVgprs: 0
; ScratchSize: 0
; MemoryBound: 0
; FloatMode: 240
; IeeeMode: 1
; LDSByteSize: 0 bytes/workgroup (compile time only)
; SGPRBlocks: 0
; VGPRBlocks: 0
; NumSGPRsForWavesPerEU: 1
; NumVGPRsForWavesPerEU: 1
; Occupancy: 16
; WaveLimiterHint : 0
; COMPUTE_PGM_RSRC2:SCRATCH_EN: 0
; COMPUTE_PGM_RSRC2:USER_SGPR: 2
; COMPUTE_PGM_RSRC2:TRAP_HANDLER: 0
; COMPUTE_PGM_RSRC2:TGID_X_EN: 1
; COMPUTE_PGM_RSRC2:TGID_Y_EN: 0
; COMPUTE_PGM_RSRC2:TGID_Z_EN: 0
; COMPUTE_PGM_RSRC2:TIDIG_COMP_CNT: 0
	.section	.text._ZN7rocprim17ROCPRIM_400000_NS6detail17trampoline_kernelINS0_13select_configILj256ELj13ELNS0_17block_load_methodE3ELS4_3ELS4_3ELNS0_20block_scan_algorithmE0ELj4294967295EEENS1_25partition_config_selectorILNS1_17partition_subalgoE4EjNS0_10empty_typeEbEEZZNS1_14partition_implILS8_4ELb0ES6_15HIP_vector_typeIjLj2EENS0_17counting_iteratorIjlEEPS9_SG_NS0_5tupleIJPjSI_NS0_16reverse_iteratorISI_EEEEENSH_IJSG_SG_SG_EEES9_SI_JZNS1_25segmented_radix_sort_implINS0_14default_configELb1EPK12hip_bfloat16PSP_PKlPlN2at6native12_GLOBAL__N_18offset_tEEE10hipError_tPvRmT1_PNSt15iterator_traitsIS13_E10value_typeET2_T3_PNS14_IS19_E10value_typeET4_jRbjT5_S1F_jjP12ihipStream_tbEUljE_ZNSN_ISO_Lb1ESR_SS_SU_SV_SZ_EES10_S11_S12_S13_S17_S18_S19_S1C_S1D_jS1E_jS1F_S1F_jjS1H_bEUljE0_EEES10_S11_S12_S19_S1D_S1F_T6_T7_T9_mT8_S1H_bDpT10_ENKUlT_T0_E_clISt17integral_constantIbLb0EES1U_IbLb1EEEEDaS1Q_S1R_EUlS1Q_E_NS1_11comp_targetILNS1_3genE4ELNS1_11target_archE910ELNS1_3gpuE8ELNS1_3repE0EEENS1_30default_config_static_selectorELNS0_4arch9wavefront6targetE0EEEvS13_,"axG",@progbits,_ZN7rocprim17ROCPRIM_400000_NS6detail17trampoline_kernelINS0_13select_configILj256ELj13ELNS0_17block_load_methodE3ELS4_3ELS4_3ELNS0_20block_scan_algorithmE0ELj4294967295EEENS1_25partition_config_selectorILNS1_17partition_subalgoE4EjNS0_10empty_typeEbEEZZNS1_14partition_implILS8_4ELb0ES6_15HIP_vector_typeIjLj2EENS0_17counting_iteratorIjlEEPS9_SG_NS0_5tupleIJPjSI_NS0_16reverse_iteratorISI_EEEEENSH_IJSG_SG_SG_EEES9_SI_JZNS1_25segmented_radix_sort_implINS0_14default_configELb1EPK12hip_bfloat16PSP_PKlPlN2at6native12_GLOBAL__N_18offset_tEEE10hipError_tPvRmT1_PNSt15iterator_traitsIS13_E10value_typeET2_T3_PNS14_IS19_E10value_typeET4_jRbjT5_S1F_jjP12ihipStream_tbEUljE_ZNSN_ISO_Lb1ESR_SS_SU_SV_SZ_EES10_S11_S12_S13_S17_S18_S19_S1C_S1D_jS1E_jS1F_S1F_jjS1H_bEUljE0_EEES10_S11_S12_S19_S1D_S1F_T6_T7_T9_mT8_S1H_bDpT10_ENKUlT_T0_E_clISt17integral_constantIbLb0EES1U_IbLb1EEEEDaS1Q_S1R_EUlS1Q_E_NS1_11comp_targetILNS1_3genE4ELNS1_11target_archE910ELNS1_3gpuE8ELNS1_3repE0EEENS1_30default_config_static_selectorELNS0_4arch9wavefront6targetE0EEEvS13_,comdat
	.globl	_ZN7rocprim17ROCPRIM_400000_NS6detail17trampoline_kernelINS0_13select_configILj256ELj13ELNS0_17block_load_methodE3ELS4_3ELS4_3ELNS0_20block_scan_algorithmE0ELj4294967295EEENS1_25partition_config_selectorILNS1_17partition_subalgoE4EjNS0_10empty_typeEbEEZZNS1_14partition_implILS8_4ELb0ES6_15HIP_vector_typeIjLj2EENS0_17counting_iteratorIjlEEPS9_SG_NS0_5tupleIJPjSI_NS0_16reverse_iteratorISI_EEEEENSH_IJSG_SG_SG_EEES9_SI_JZNS1_25segmented_radix_sort_implINS0_14default_configELb1EPK12hip_bfloat16PSP_PKlPlN2at6native12_GLOBAL__N_18offset_tEEE10hipError_tPvRmT1_PNSt15iterator_traitsIS13_E10value_typeET2_T3_PNS14_IS19_E10value_typeET4_jRbjT5_S1F_jjP12ihipStream_tbEUljE_ZNSN_ISO_Lb1ESR_SS_SU_SV_SZ_EES10_S11_S12_S13_S17_S18_S19_S1C_S1D_jS1E_jS1F_S1F_jjS1H_bEUljE0_EEES10_S11_S12_S19_S1D_S1F_T6_T7_T9_mT8_S1H_bDpT10_ENKUlT_T0_E_clISt17integral_constantIbLb0EES1U_IbLb1EEEEDaS1Q_S1R_EUlS1Q_E_NS1_11comp_targetILNS1_3genE4ELNS1_11target_archE910ELNS1_3gpuE8ELNS1_3repE0EEENS1_30default_config_static_selectorELNS0_4arch9wavefront6targetE0EEEvS13_ ; -- Begin function _ZN7rocprim17ROCPRIM_400000_NS6detail17trampoline_kernelINS0_13select_configILj256ELj13ELNS0_17block_load_methodE3ELS4_3ELS4_3ELNS0_20block_scan_algorithmE0ELj4294967295EEENS1_25partition_config_selectorILNS1_17partition_subalgoE4EjNS0_10empty_typeEbEEZZNS1_14partition_implILS8_4ELb0ES6_15HIP_vector_typeIjLj2EENS0_17counting_iteratorIjlEEPS9_SG_NS0_5tupleIJPjSI_NS0_16reverse_iteratorISI_EEEEENSH_IJSG_SG_SG_EEES9_SI_JZNS1_25segmented_radix_sort_implINS0_14default_configELb1EPK12hip_bfloat16PSP_PKlPlN2at6native12_GLOBAL__N_18offset_tEEE10hipError_tPvRmT1_PNSt15iterator_traitsIS13_E10value_typeET2_T3_PNS14_IS19_E10value_typeET4_jRbjT5_S1F_jjP12ihipStream_tbEUljE_ZNSN_ISO_Lb1ESR_SS_SU_SV_SZ_EES10_S11_S12_S13_S17_S18_S19_S1C_S1D_jS1E_jS1F_S1F_jjS1H_bEUljE0_EEES10_S11_S12_S19_S1D_S1F_T6_T7_T9_mT8_S1H_bDpT10_ENKUlT_T0_E_clISt17integral_constantIbLb0EES1U_IbLb1EEEEDaS1Q_S1R_EUlS1Q_E_NS1_11comp_targetILNS1_3genE4ELNS1_11target_archE910ELNS1_3gpuE8ELNS1_3repE0EEENS1_30default_config_static_selectorELNS0_4arch9wavefront6targetE0EEEvS13_
	.p2align	8
	.type	_ZN7rocprim17ROCPRIM_400000_NS6detail17trampoline_kernelINS0_13select_configILj256ELj13ELNS0_17block_load_methodE3ELS4_3ELS4_3ELNS0_20block_scan_algorithmE0ELj4294967295EEENS1_25partition_config_selectorILNS1_17partition_subalgoE4EjNS0_10empty_typeEbEEZZNS1_14partition_implILS8_4ELb0ES6_15HIP_vector_typeIjLj2EENS0_17counting_iteratorIjlEEPS9_SG_NS0_5tupleIJPjSI_NS0_16reverse_iteratorISI_EEEEENSH_IJSG_SG_SG_EEES9_SI_JZNS1_25segmented_radix_sort_implINS0_14default_configELb1EPK12hip_bfloat16PSP_PKlPlN2at6native12_GLOBAL__N_18offset_tEEE10hipError_tPvRmT1_PNSt15iterator_traitsIS13_E10value_typeET2_T3_PNS14_IS19_E10value_typeET4_jRbjT5_S1F_jjP12ihipStream_tbEUljE_ZNSN_ISO_Lb1ESR_SS_SU_SV_SZ_EES10_S11_S12_S13_S17_S18_S19_S1C_S1D_jS1E_jS1F_S1F_jjS1H_bEUljE0_EEES10_S11_S12_S19_S1D_S1F_T6_T7_T9_mT8_S1H_bDpT10_ENKUlT_T0_E_clISt17integral_constantIbLb0EES1U_IbLb1EEEEDaS1Q_S1R_EUlS1Q_E_NS1_11comp_targetILNS1_3genE4ELNS1_11target_archE910ELNS1_3gpuE8ELNS1_3repE0EEENS1_30default_config_static_selectorELNS0_4arch9wavefront6targetE0EEEvS13_,@function
_ZN7rocprim17ROCPRIM_400000_NS6detail17trampoline_kernelINS0_13select_configILj256ELj13ELNS0_17block_load_methodE3ELS4_3ELS4_3ELNS0_20block_scan_algorithmE0ELj4294967295EEENS1_25partition_config_selectorILNS1_17partition_subalgoE4EjNS0_10empty_typeEbEEZZNS1_14partition_implILS8_4ELb0ES6_15HIP_vector_typeIjLj2EENS0_17counting_iteratorIjlEEPS9_SG_NS0_5tupleIJPjSI_NS0_16reverse_iteratorISI_EEEEENSH_IJSG_SG_SG_EEES9_SI_JZNS1_25segmented_radix_sort_implINS0_14default_configELb1EPK12hip_bfloat16PSP_PKlPlN2at6native12_GLOBAL__N_18offset_tEEE10hipError_tPvRmT1_PNSt15iterator_traitsIS13_E10value_typeET2_T3_PNS14_IS19_E10value_typeET4_jRbjT5_S1F_jjP12ihipStream_tbEUljE_ZNSN_ISO_Lb1ESR_SS_SU_SV_SZ_EES10_S11_S12_S13_S17_S18_S19_S1C_S1D_jS1E_jS1F_S1F_jjS1H_bEUljE0_EEES10_S11_S12_S19_S1D_S1F_T6_T7_T9_mT8_S1H_bDpT10_ENKUlT_T0_E_clISt17integral_constantIbLb0EES1U_IbLb1EEEEDaS1Q_S1R_EUlS1Q_E_NS1_11comp_targetILNS1_3genE4ELNS1_11target_archE910ELNS1_3gpuE8ELNS1_3repE0EEENS1_30default_config_static_selectorELNS0_4arch9wavefront6targetE0EEEvS13_: ; @_ZN7rocprim17ROCPRIM_400000_NS6detail17trampoline_kernelINS0_13select_configILj256ELj13ELNS0_17block_load_methodE3ELS4_3ELS4_3ELNS0_20block_scan_algorithmE0ELj4294967295EEENS1_25partition_config_selectorILNS1_17partition_subalgoE4EjNS0_10empty_typeEbEEZZNS1_14partition_implILS8_4ELb0ES6_15HIP_vector_typeIjLj2EENS0_17counting_iteratorIjlEEPS9_SG_NS0_5tupleIJPjSI_NS0_16reverse_iteratorISI_EEEEENSH_IJSG_SG_SG_EEES9_SI_JZNS1_25segmented_radix_sort_implINS0_14default_configELb1EPK12hip_bfloat16PSP_PKlPlN2at6native12_GLOBAL__N_18offset_tEEE10hipError_tPvRmT1_PNSt15iterator_traitsIS13_E10value_typeET2_T3_PNS14_IS19_E10value_typeET4_jRbjT5_S1F_jjP12ihipStream_tbEUljE_ZNSN_ISO_Lb1ESR_SS_SU_SV_SZ_EES10_S11_S12_S13_S17_S18_S19_S1C_S1D_jS1E_jS1F_S1F_jjS1H_bEUljE0_EEES10_S11_S12_S19_S1D_S1F_T6_T7_T9_mT8_S1H_bDpT10_ENKUlT_T0_E_clISt17integral_constantIbLb0EES1U_IbLb1EEEEDaS1Q_S1R_EUlS1Q_E_NS1_11comp_targetILNS1_3genE4ELNS1_11target_archE910ELNS1_3gpuE8ELNS1_3repE0EEENS1_30default_config_static_selectorELNS0_4arch9wavefront6targetE0EEEvS13_
; %bb.0:
	.section	.rodata,"a",@progbits
	.p2align	6, 0x0
	.amdhsa_kernel _ZN7rocprim17ROCPRIM_400000_NS6detail17trampoline_kernelINS0_13select_configILj256ELj13ELNS0_17block_load_methodE3ELS4_3ELS4_3ELNS0_20block_scan_algorithmE0ELj4294967295EEENS1_25partition_config_selectorILNS1_17partition_subalgoE4EjNS0_10empty_typeEbEEZZNS1_14partition_implILS8_4ELb0ES6_15HIP_vector_typeIjLj2EENS0_17counting_iteratorIjlEEPS9_SG_NS0_5tupleIJPjSI_NS0_16reverse_iteratorISI_EEEEENSH_IJSG_SG_SG_EEES9_SI_JZNS1_25segmented_radix_sort_implINS0_14default_configELb1EPK12hip_bfloat16PSP_PKlPlN2at6native12_GLOBAL__N_18offset_tEEE10hipError_tPvRmT1_PNSt15iterator_traitsIS13_E10value_typeET2_T3_PNS14_IS19_E10value_typeET4_jRbjT5_S1F_jjP12ihipStream_tbEUljE_ZNSN_ISO_Lb1ESR_SS_SU_SV_SZ_EES10_S11_S12_S13_S17_S18_S19_S1C_S1D_jS1E_jS1F_S1F_jjS1H_bEUljE0_EEES10_S11_S12_S19_S1D_S1F_T6_T7_T9_mT8_S1H_bDpT10_ENKUlT_T0_E_clISt17integral_constantIbLb0EES1U_IbLb1EEEEDaS1Q_S1R_EUlS1Q_E_NS1_11comp_targetILNS1_3genE4ELNS1_11target_archE910ELNS1_3gpuE8ELNS1_3repE0EEENS1_30default_config_static_selectorELNS0_4arch9wavefront6targetE0EEEvS13_
		.amdhsa_group_segment_fixed_size 0
		.amdhsa_private_segment_fixed_size 0
		.amdhsa_kernarg_size 184
		.amdhsa_user_sgpr_count 2
		.amdhsa_user_sgpr_dispatch_ptr 0
		.amdhsa_user_sgpr_queue_ptr 0
		.amdhsa_user_sgpr_kernarg_segment_ptr 1
		.amdhsa_user_sgpr_dispatch_id 0
		.amdhsa_user_sgpr_private_segment_size 0
		.amdhsa_wavefront_size32 1
		.amdhsa_uses_dynamic_stack 0
		.amdhsa_enable_private_segment 0
		.amdhsa_system_sgpr_workgroup_id_x 1
		.amdhsa_system_sgpr_workgroup_id_y 0
		.amdhsa_system_sgpr_workgroup_id_z 0
		.amdhsa_system_sgpr_workgroup_info 0
		.amdhsa_system_vgpr_workitem_id 0
		.amdhsa_next_free_vgpr 1
		.amdhsa_next_free_sgpr 1
		.amdhsa_reserve_vcc 0
		.amdhsa_float_round_mode_32 0
		.amdhsa_float_round_mode_16_64 0
		.amdhsa_float_denorm_mode_32 3
		.amdhsa_float_denorm_mode_16_64 3
		.amdhsa_fp16_overflow 0
		.amdhsa_workgroup_processor_mode 1
		.amdhsa_memory_ordered 1
		.amdhsa_forward_progress 1
		.amdhsa_inst_pref_size 0
		.amdhsa_round_robin_scheduling 0
		.amdhsa_exception_fp_ieee_invalid_op 0
		.amdhsa_exception_fp_denorm_src 0
		.amdhsa_exception_fp_ieee_div_zero 0
		.amdhsa_exception_fp_ieee_overflow 0
		.amdhsa_exception_fp_ieee_underflow 0
		.amdhsa_exception_fp_ieee_inexact 0
		.amdhsa_exception_int_div_zero 0
	.end_amdhsa_kernel
	.section	.text._ZN7rocprim17ROCPRIM_400000_NS6detail17trampoline_kernelINS0_13select_configILj256ELj13ELNS0_17block_load_methodE3ELS4_3ELS4_3ELNS0_20block_scan_algorithmE0ELj4294967295EEENS1_25partition_config_selectorILNS1_17partition_subalgoE4EjNS0_10empty_typeEbEEZZNS1_14partition_implILS8_4ELb0ES6_15HIP_vector_typeIjLj2EENS0_17counting_iteratorIjlEEPS9_SG_NS0_5tupleIJPjSI_NS0_16reverse_iteratorISI_EEEEENSH_IJSG_SG_SG_EEES9_SI_JZNS1_25segmented_radix_sort_implINS0_14default_configELb1EPK12hip_bfloat16PSP_PKlPlN2at6native12_GLOBAL__N_18offset_tEEE10hipError_tPvRmT1_PNSt15iterator_traitsIS13_E10value_typeET2_T3_PNS14_IS19_E10value_typeET4_jRbjT5_S1F_jjP12ihipStream_tbEUljE_ZNSN_ISO_Lb1ESR_SS_SU_SV_SZ_EES10_S11_S12_S13_S17_S18_S19_S1C_S1D_jS1E_jS1F_S1F_jjS1H_bEUljE0_EEES10_S11_S12_S19_S1D_S1F_T6_T7_T9_mT8_S1H_bDpT10_ENKUlT_T0_E_clISt17integral_constantIbLb0EES1U_IbLb1EEEEDaS1Q_S1R_EUlS1Q_E_NS1_11comp_targetILNS1_3genE4ELNS1_11target_archE910ELNS1_3gpuE8ELNS1_3repE0EEENS1_30default_config_static_selectorELNS0_4arch9wavefront6targetE0EEEvS13_,"axG",@progbits,_ZN7rocprim17ROCPRIM_400000_NS6detail17trampoline_kernelINS0_13select_configILj256ELj13ELNS0_17block_load_methodE3ELS4_3ELS4_3ELNS0_20block_scan_algorithmE0ELj4294967295EEENS1_25partition_config_selectorILNS1_17partition_subalgoE4EjNS0_10empty_typeEbEEZZNS1_14partition_implILS8_4ELb0ES6_15HIP_vector_typeIjLj2EENS0_17counting_iteratorIjlEEPS9_SG_NS0_5tupleIJPjSI_NS0_16reverse_iteratorISI_EEEEENSH_IJSG_SG_SG_EEES9_SI_JZNS1_25segmented_radix_sort_implINS0_14default_configELb1EPK12hip_bfloat16PSP_PKlPlN2at6native12_GLOBAL__N_18offset_tEEE10hipError_tPvRmT1_PNSt15iterator_traitsIS13_E10value_typeET2_T3_PNS14_IS19_E10value_typeET4_jRbjT5_S1F_jjP12ihipStream_tbEUljE_ZNSN_ISO_Lb1ESR_SS_SU_SV_SZ_EES10_S11_S12_S13_S17_S18_S19_S1C_S1D_jS1E_jS1F_S1F_jjS1H_bEUljE0_EEES10_S11_S12_S19_S1D_S1F_T6_T7_T9_mT8_S1H_bDpT10_ENKUlT_T0_E_clISt17integral_constantIbLb0EES1U_IbLb1EEEEDaS1Q_S1R_EUlS1Q_E_NS1_11comp_targetILNS1_3genE4ELNS1_11target_archE910ELNS1_3gpuE8ELNS1_3repE0EEENS1_30default_config_static_selectorELNS0_4arch9wavefront6targetE0EEEvS13_,comdat
.Lfunc_end1908:
	.size	_ZN7rocprim17ROCPRIM_400000_NS6detail17trampoline_kernelINS0_13select_configILj256ELj13ELNS0_17block_load_methodE3ELS4_3ELS4_3ELNS0_20block_scan_algorithmE0ELj4294967295EEENS1_25partition_config_selectorILNS1_17partition_subalgoE4EjNS0_10empty_typeEbEEZZNS1_14partition_implILS8_4ELb0ES6_15HIP_vector_typeIjLj2EENS0_17counting_iteratorIjlEEPS9_SG_NS0_5tupleIJPjSI_NS0_16reverse_iteratorISI_EEEEENSH_IJSG_SG_SG_EEES9_SI_JZNS1_25segmented_radix_sort_implINS0_14default_configELb1EPK12hip_bfloat16PSP_PKlPlN2at6native12_GLOBAL__N_18offset_tEEE10hipError_tPvRmT1_PNSt15iterator_traitsIS13_E10value_typeET2_T3_PNS14_IS19_E10value_typeET4_jRbjT5_S1F_jjP12ihipStream_tbEUljE_ZNSN_ISO_Lb1ESR_SS_SU_SV_SZ_EES10_S11_S12_S13_S17_S18_S19_S1C_S1D_jS1E_jS1F_S1F_jjS1H_bEUljE0_EEES10_S11_S12_S19_S1D_S1F_T6_T7_T9_mT8_S1H_bDpT10_ENKUlT_T0_E_clISt17integral_constantIbLb0EES1U_IbLb1EEEEDaS1Q_S1R_EUlS1Q_E_NS1_11comp_targetILNS1_3genE4ELNS1_11target_archE910ELNS1_3gpuE8ELNS1_3repE0EEENS1_30default_config_static_selectorELNS0_4arch9wavefront6targetE0EEEvS13_, .Lfunc_end1908-_ZN7rocprim17ROCPRIM_400000_NS6detail17trampoline_kernelINS0_13select_configILj256ELj13ELNS0_17block_load_methodE3ELS4_3ELS4_3ELNS0_20block_scan_algorithmE0ELj4294967295EEENS1_25partition_config_selectorILNS1_17partition_subalgoE4EjNS0_10empty_typeEbEEZZNS1_14partition_implILS8_4ELb0ES6_15HIP_vector_typeIjLj2EENS0_17counting_iteratorIjlEEPS9_SG_NS0_5tupleIJPjSI_NS0_16reverse_iteratorISI_EEEEENSH_IJSG_SG_SG_EEES9_SI_JZNS1_25segmented_radix_sort_implINS0_14default_configELb1EPK12hip_bfloat16PSP_PKlPlN2at6native12_GLOBAL__N_18offset_tEEE10hipError_tPvRmT1_PNSt15iterator_traitsIS13_E10value_typeET2_T3_PNS14_IS19_E10value_typeET4_jRbjT5_S1F_jjP12ihipStream_tbEUljE_ZNSN_ISO_Lb1ESR_SS_SU_SV_SZ_EES10_S11_S12_S13_S17_S18_S19_S1C_S1D_jS1E_jS1F_S1F_jjS1H_bEUljE0_EEES10_S11_S12_S19_S1D_S1F_T6_T7_T9_mT8_S1H_bDpT10_ENKUlT_T0_E_clISt17integral_constantIbLb0EES1U_IbLb1EEEEDaS1Q_S1R_EUlS1Q_E_NS1_11comp_targetILNS1_3genE4ELNS1_11target_archE910ELNS1_3gpuE8ELNS1_3repE0EEENS1_30default_config_static_selectorELNS0_4arch9wavefront6targetE0EEEvS13_
                                        ; -- End function
	.set _ZN7rocprim17ROCPRIM_400000_NS6detail17trampoline_kernelINS0_13select_configILj256ELj13ELNS0_17block_load_methodE3ELS4_3ELS4_3ELNS0_20block_scan_algorithmE0ELj4294967295EEENS1_25partition_config_selectorILNS1_17partition_subalgoE4EjNS0_10empty_typeEbEEZZNS1_14partition_implILS8_4ELb0ES6_15HIP_vector_typeIjLj2EENS0_17counting_iteratorIjlEEPS9_SG_NS0_5tupleIJPjSI_NS0_16reverse_iteratorISI_EEEEENSH_IJSG_SG_SG_EEES9_SI_JZNS1_25segmented_radix_sort_implINS0_14default_configELb1EPK12hip_bfloat16PSP_PKlPlN2at6native12_GLOBAL__N_18offset_tEEE10hipError_tPvRmT1_PNSt15iterator_traitsIS13_E10value_typeET2_T3_PNS14_IS19_E10value_typeET4_jRbjT5_S1F_jjP12ihipStream_tbEUljE_ZNSN_ISO_Lb1ESR_SS_SU_SV_SZ_EES10_S11_S12_S13_S17_S18_S19_S1C_S1D_jS1E_jS1F_S1F_jjS1H_bEUljE0_EEES10_S11_S12_S19_S1D_S1F_T6_T7_T9_mT8_S1H_bDpT10_ENKUlT_T0_E_clISt17integral_constantIbLb0EES1U_IbLb1EEEEDaS1Q_S1R_EUlS1Q_E_NS1_11comp_targetILNS1_3genE4ELNS1_11target_archE910ELNS1_3gpuE8ELNS1_3repE0EEENS1_30default_config_static_selectorELNS0_4arch9wavefront6targetE0EEEvS13_.num_vgpr, 0
	.set _ZN7rocprim17ROCPRIM_400000_NS6detail17trampoline_kernelINS0_13select_configILj256ELj13ELNS0_17block_load_methodE3ELS4_3ELS4_3ELNS0_20block_scan_algorithmE0ELj4294967295EEENS1_25partition_config_selectorILNS1_17partition_subalgoE4EjNS0_10empty_typeEbEEZZNS1_14partition_implILS8_4ELb0ES6_15HIP_vector_typeIjLj2EENS0_17counting_iteratorIjlEEPS9_SG_NS0_5tupleIJPjSI_NS0_16reverse_iteratorISI_EEEEENSH_IJSG_SG_SG_EEES9_SI_JZNS1_25segmented_radix_sort_implINS0_14default_configELb1EPK12hip_bfloat16PSP_PKlPlN2at6native12_GLOBAL__N_18offset_tEEE10hipError_tPvRmT1_PNSt15iterator_traitsIS13_E10value_typeET2_T3_PNS14_IS19_E10value_typeET4_jRbjT5_S1F_jjP12ihipStream_tbEUljE_ZNSN_ISO_Lb1ESR_SS_SU_SV_SZ_EES10_S11_S12_S13_S17_S18_S19_S1C_S1D_jS1E_jS1F_S1F_jjS1H_bEUljE0_EEES10_S11_S12_S19_S1D_S1F_T6_T7_T9_mT8_S1H_bDpT10_ENKUlT_T0_E_clISt17integral_constantIbLb0EES1U_IbLb1EEEEDaS1Q_S1R_EUlS1Q_E_NS1_11comp_targetILNS1_3genE4ELNS1_11target_archE910ELNS1_3gpuE8ELNS1_3repE0EEENS1_30default_config_static_selectorELNS0_4arch9wavefront6targetE0EEEvS13_.num_agpr, 0
	.set _ZN7rocprim17ROCPRIM_400000_NS6detail17trampoline_kernelINS0_13select_configILj256ELj13ELNS0_17block_load_methodE3ELS4_3ELS4_3ELNS0_20block_scan_algorithmE0ELj4294967295EEENS1_25partition_config_selectorILNS1_17partition_subalgoE4EjNS0_10empty_typeEbEEZZNS1_14partition_implILS8_4ELb0ES6_15HIP_vector_typeIjLj2EENS0_17counting_iteratorIjlEEPS9_SG_NS0_5tupleIJPjSI_NS0_16reverse_iteratorISI_EEEEENSH_IJSG_SG_SG_EEES9_SI_JZNS1_25segmented_radix_sort_implINS0_14default_configELb1EPK12hip_bfloat16PSP_PKlPlN2at6native12_GLOBAL__N_18offset_tEEE10hipError_tPvRmT1_PNSt15iterator_traitsIS13_E10value_typeET2_T3_PNS14_IS19_E10value_typeET4_jRbjT5_S1F_jjP12ihipStream_tbEUljE_ZNSN_ISO_Lb1ESR_SS_SU_SV_SZ_EES10_S11_S12_S13_S17_S18_S19_S1C_S1D_jS1E_jS1F_S1F_jjS1H_bEUljE0_EEES10_S11_S12_S19_S1D_S1F_T6_T7_T9_mT8_S1H_bDpT10_ENKUlT_T0_E_clISt17integral_constantIbLb0EES1U_IbLb1EEEEDaS1Q_S1R_EUlS1Q_E_NS1_11comp_targetILNS1_3genE4ELNS1_11target_archE910ELNS1_3gpuE8ELNS1_3repE0EEENS1_30default_config_static_selectorELNS0_4arch9wavefront6targetE0EEEvS13_.numbered_sgpr, 0
	.set _ZN7rocprim17ROCPRIM_400000_NS6detail17trampoline_kernelINS0_13select_configILj256ELj13ELNS0_17block_load_methodE3ELS4_3ELS4_3ELNS0_20block_scan_algorithmE0ELj4294967295EEENS1_25partition_config_selectorILNS1_17partition_subalgoE4EjNS0_10empty_typeEbEEZZNS1_14partition_implILS8_4ELb0ES6_15HIP_vector_typeIjLj2EENS0_17counting_iteratorIjlEEPS9_SG_NS0_5tupleIJPjSI_NS0_16reverse_iteratorISI_EEEEENSH_IJSG_SG_SG_EEES9_SI_JZNS1_25segmented_radix_sort_implINS0_14default_configELb1EPK12hip_bfloat16PSP_PKlPlN2at6native12_GLOBAL__N_18offset_tEEE10hipError_tPvRmT1_PNSt15iterator_traitsIS13_E10value_typeET2_T3_PNS14_IS19_E10value_typeET4_jRbjT5_S1F_jjP12ihipStream_tbEUljE_ZNSN_ISO_Lb1ESR_SS_SU_SV_SZ_EES10_S11_S12_S13_S17_S18_S19_S1C_S1D_jS1E_jS1F_S1F_jjS1H_bEUljE0_EEES10_S11_S12_S19_S1D_S1F_T6_T7_T9_mT8_S1H_bDpT10_ENKUlT_T0_E_clISt17integral_constantIbLb0EES1U_IbLb1EEEEDaS1Q_S1R_EUlS1Q_E_NS1_11comp_targetILNS1_3genE4ELNS1_11target_archE910ELNS1_3gpuE8ELNS1_3repE0EEENS1_30default_config_static_selectorELNS0_4arch9wavefront6targetE0EEEvS13_.num_named_barrier, 0
	.set _ZN7rocprim17ROCPRIM_400000_NS6detail17trampoline_kernelINS0_13select_configILj256ELj13ELNS0_17block_load_methodE3ELS4_3ELS4_3ELNS0_20block_scan_algorithmE0ELj4294967295EEENS1_25partition_config_selectorILNS1_17partition_subalgoE4EjNS0_10empty_typeEbEEZZNS1_14partition_implILS8_4ELb0ES6_15HIP_vector_typeIjLj2EENS0_17counting_iteratorIjlEEPS9_SG_NS0_5tupleIJPjSI_NS0_16reverse_iteratorISI_EEEEENSH_IJSG_SG_SG_EEES9_SI_JZNS1_25segmented_radix_sort_implINS0_14default_configELb1EPK12hip_bfloat16PSP_PKlPlN2at6native12_GLOBAL__N_18offset_tEEE10hipError_tPvRmT1_PNSt15iterator_traitsIS13_E10value_typeET2_T3_PNS14_IS19_E10value_typeET4_jRbjT5_S1F_jjP12ihipStream_tbEUljE_ZNSN_ISO_Lb1ESR_SS_SU_SV_SZ_EES10_S11_S12_S13_S17_S18_S19_S1C_S1D_jS1E_jS1F_S1F_jjS1H_bEUljE0_EEES10_S11_S12_S19_S1D_S1F_T6_T7_T9_mT8_S1H_bDpT10_ENKUlT_T0_E_clISt17integral_constantIbLb0EES1U_IbLb1EEEEDaS1Q_S1R_EUlS1Q_E_NS1_11comp_targetILNS1_3genE4ELNS1_11target_archE910ELNS1_3gpuE8ELNS1_3repE0EEENS1_30default_config_static_selectorELNS0_4arch9wavefront6targetE0EEEvS13_.private_seg_size, 0
	.set _ZN7rocprim17ROCPRIM_400000_NS6detail17trampoline_kernelINS0_13select_configILj256ELj13ELNS0_17block_load_methodE3ELS4_3ELS4_3ELNS0_20block_scan_algorithmE0ELj4294967295EEENS1_25partition_config_selectorILNS1_17partition_subalgoE4EjNS0_10empty_typeEbEEZZNS1_14partition_implILS8_4ELb0ES6_15HIP_vector_typeIjLj2EENS0_17counting_iteratorIjlEEPS9_SG_NS0_5tupleIJPjSI_NS0_16reverse_iteratorISI_EEEEENSH_IJSG_SG_SG_EEES9_SI_JZNS1_25segmented_radix_sort_implINS0_14default_configELb1EPK12hip_bfloat16PSP_PKlPlN2at6native12_GLOBAL__N_18offset_tEEE10hipError_tPvRmT1_PNSt15iterator_traitsIS13_E10value_typeET2_T3_PNS14_IS19_E10value_typeET4_jRbjT5_S1F_jjP12ihipStream_tbEUljE_ZNSN_ISO_Lb1ESR_SS_SU_SV_SZ_EES10_S11_S12_S13_S17_S18_S19_S1C_S1D_jS1E_jS1F_S1F_jjS1H_bEUljE0_EEES10_S11_S12_S19_S1D_S1F_T6_T7_T9_mT8_S1H_bDpT10_ENKUlT_T0_E_clISt17integral_constantIbLb0EES1U_IbLb1EEEEDaS1Q_S1R_EUlS1Q_E_NS1_11comp_targetILNS1_3genE4ELNS1_11target_archE910ELNS1_3gpuE8ELNS1_3repE0EEENS1_30default_config_static_selectorELNS0_4arch9wavefront6targetE0EEEvS13_.uses_vcc, 0
	.set _ZN7rocprim17ROCPRIM_400000_NS6detail17trampoline_kernelINS0_13select_configILj256ELj13ELNS0_17block_load_methodE3ELS4_3ELS4_3ELNS0_20block_scan_algorithmE0ELj4294967295EEENS1_25partition_config_selectorILNS1_17partition_subalgoE4EjNS0_10empty_typeEbEEZZNS1_14partition_implILS8_4ELb0ES6_15HIP_vector_typeIjLj2EENS0_17counting_iteratorIjlEEPS9_SG_NS0_5tupleIJPjSI_NS0_16reverse_iteratorISI_EEEEENSH_IJSG_SG_SG_EEES9_SI_JZNS1_25segmented_radix_sort_implINS0_14default_configELb1EPK12hip_bfloat16PSP_PKlPlN2at6native12_GLOBAL__N_18offset_tEEE10hipError_tPvRmT1_PNSt15iterator_traitsIS13_E10value_typeET2_T3_PNS14_IS19_E10value_typeET4_jRbjT5_S1F_jjP12ihipStream_tbEUljE_ZNSN_ISO_Lb1ESR_SS_SU_SV_SZ_EES10_S11_S12_S13_S17_S18_S19_S1C_S1D_jS1E_jS1F_S1F_jjS1H_bEUljE0_EEES10_S11_S12_S19_S1D_S1F_T6_T7_T9_mT8_S1H_bDpT10_ENKUlT_T0_E_clISt17integral_constantIbLb0EES1U_IbLb1EEEEDaS1Q_S1R_EUlS1Q_E_NS1_11comp_targetILNS1_3genE4ELNS1_11target_archE910ELNS1_3gpuE8ELNS1_3repE0EEENS1_30default_config_static_selectorELNS0_4arch9wavefront6targetE0EEEvS13_.uses_flat_scratch, 0
	.set _ZN7rocprim17ROCPRIM_400000_NS6detail17trampoline_kernelINS0_13select_configILj256ELj13ELNS0_17block_load_methodE3ELS4_3ELS4_3ELNS0_20block_scan_algorithmE0ELj4294967295EEENS1_25partition_config_selectorILNS1_17partition_subalgoE4EjNS0_10empty_typeEbEEZZNS1_14partition_implILS8_4ELb0ES6_15HIP_vector_typeIjLj2EENS0_17counting_iteratorIjlEEPS9_SG_NS0_5tupleIJPjSI_NS0_16reverse_iteratorISI_EEEEENSH_IJSG_SG_SG_EEES9_SI_JZNS1_25segmented_radix_sort_implINS0_14default_configELb1EPK12hip_bfloat16PSP_PKlPlN2at6native12_GLOBAL__N_18offset_tEEE10hipError_tPvRmT1_PNSt15iterator_traitsIS13_E10value_typeET2_T3_PNS14_IS19_E10value_typeET4_jRbjT5_S1F_jjP12ihipStream_tbEUljE_ZNSN_ISO_Lb1ESR_SS_SU_SV_SZ_EES10_S11_S12_S13_S17_S18_S19_S1C_S1D_jS1E_jS1F_S1F_jjS1H_bEUljE0_EEES10_S11_S12_S19_S1D_S1F_T6_T7_T9_mT8_S1H_bDpT10_ENKUlT_T0_E_clISt17integral_constantIbLb0EES1U_IbLb1EEEEDaS1Q_S1R_EUlS1Q_E_NS1_11comp_targetILNS1_3genE4ELNS1_11target_archE910ELNS1_3gpuE8ELNS1_3repE0EEENS1_30default_config_static_selectorELNS0_4arch9wavefront6targetE0EEEvS13_.has_dyn_sized_stack, 0
	.set _ZN7rocprim17ROCPRIM_400000_NS6detail17trampoline_kernelINS0_13select_configILj256ELj13ELNS0_17block_load_methodE3ELS4_3ELS4_3ELNS0_20block_scan_algorithmE0ELj4294967295EEENS1_25partition_config_selectorILNS1_17partition_subalgoE4EjNS0_10empty_typeEbEEZZNS1_14partition_implILS8_4ELb0ES6_15HIP_vector_typeIjLj2EENS0_17counting_iteratorIjlEEPS9_SG_NS0_5tupleIJPjSI_NS0_16reverse_iteratorISI_EEEEENSH_IJSG_SG_SG_EEES9_SI_JZNS1_25segmented_radix_sort_implINS0_14default_configELb1EPK12hip_bfloat16PSP_PKlPlN2at6native12_GLOBAL__N_18offset_tEEE10hipError_tPvRmT1_PNSt15iterator_traitsIS13_E10value_typeET2_T3_PNS14_IS19_E10value_typeET4_jRbjT5_S1F_jjP12ihipStream_tbEUljE_ZNSN_ISO_Lb1ESR_SS_SU_SV_SZ_EES10_S11_S12_S13_S17_S18_S19_S1C_S1D_jS1E_jS1F_S1F_jjS1H_bEUljE0_EEES10_S11_S12_S19_S1D_S1F_T6_T7_T9_mT8_S1H_bDpT10_ENKUlT_T0_E_clISt17integral_constantIbLb0EES1U_IbLb1EEEEDaS1Q_S1R_EUlS1Q_E_NS1_11comp_targetILNS1_3genE4ELNS1_11target_archE910ELNS1_3gpuE8ELNS1_3repE0EEENS1_30default_config_static_selectorELNS0_4arch9wavefront6targetE0EEEvS13_.has_recursion, 0
	.set _ZN7rocprim17ROCPRIM_400000_NS6detail17trampoline_kernelINS0_13select_configILj256ELj13ELNS0_17block_load_methodE3ELS4_3ELS4_3ELNS0_20block_scan_algorithmE0ELj4294967295EEENS1_25partition_config_selectorILNS1_17partition_subalgoE4EjNS0_10empty_typeEbEEZZNS1_14partition_implILS8_4ELb0ES6_15HIP_vector_typeIjLj2EENS0_17counting_iteratorIjlEEPS9_SG_NS0_5tupleIJPjSI_NS0_16reverse_iteratorISI_EEEEENSH_IJSG_SG_SG_EEES9_SI_JZNS1_25segmented_radix_sort_implINS0_14default_configELb1EPK12hip_bfloat16PSP_PKlPlN2at6native12_GLOBAL__N_18offset_tEEE10hipError_tPvRmT1_PNSt15iterator_traitsIS13_E10value_typeET2_T3_PNS14_IS19_E10value_typeET4_jRbjT5_S1F_jjP12ihipStream_tbEUljE_ZNSN_ISO_Lb1ESR_SS_SU_SV_SZ_EES10_S11_S12_S13_S17_S18_S19_S1C_S1D_jS1E_jS1F_S1F_jjS1H_bEUljE0_EEES10_S11_S12_S19_S1D_S1F_T6_T7_T9_mT8_S1H_bDpT10_ENKUlT_T0_E_clISt17integral_constantIbLb0EES1U_IbLb1EEEEDaS1Q_S1R_EUlS1Q_E_NS1_11comp_targetILNS1_3genE4ELNS1_11target_archE910ELNS1_3gpuE8ELNS1_3repE0EEENS1_30default_config_static_selectorELNS0_4arch9wavefront6targetE0EEEvS13_.has_indirect_call, 0
	.section	.AMDGPU.csdata,"",@progbits
; Kernel info:
; codeLenInByte = 0
; TotalNumSgprs: 0
; NumVgprs: 0
; ScratchSize: 0
; MemoryBound: 0
; FloatMode: 240
; IeeeMode: 1
; LDSByteSize: 0 bytes/workgroup (compile time only)
; SGPRBlocks: 0
; VGPRBlocks: 0
; NumSGPRsForWavesPerEU: 1
; NumVGPRsForWavesPerEU: 1
; Occupancy: 16
; WaveLimiterHint : 0
; COMPUTE_PGM_RSRC2:SCRATCH_EN: 0
; COMPUTE_PGM_RSRC2:USER_SGPR: 2
; COMPUTE_PGM_RSRC2:TRAP_HANDLER: 0
; COMPUTE_PGM_RSRC2:TGID_X_EN: 1
; COMPUTE_PGM_RSRC2:TGID_Y_EN: 0
; COMPUTE_PGM_RSRC2:TGID_Z_EN: 0
; COMPUTE_PGM_RSRC2:TIDIG_COMP_CNT: 0
	.section	.text._ZN7rocprim17ROCPRIM_400000_NS6detail17trampoline_kernelINS0_13select_configILj256ELj13ELNS0_17block_load_methodE3ELS4_3ELS4_3ELNS0_20block_scan_algorithmE0ELj4294967295EEENS1_25partition_config_selectorILNS1_17partition_subalgoE4EjNS0_10empty_typeEbEEZZNS1_14partition_implILS8_4ELb0ES6_15HIP_vector_typeIjLj2EENS0_17counting_iteratorIjlEEPS9_SG_NS0_5tupleIJPjSI_NS0_16reverse_iteratorISI_EEEEENSH_IJSG_SG_SG_EEES9_SI_JZNS1_25segmented_radix_sort_implINS0_14default_configELb1EPK12hip_bfloat16PSP_PKlPlN2at6native12_GLOBAL__N_18offset_tEEE10hipError_tPvRmT1_PNSt15iterator_traitsIS13_E10value_typeET2_T3_PNS14_IS19_E10value_typeET4_jRbjT5_S1F_jjP12ihipStream_tbEUljE_ZNSN_ISO_Lb1ESR_SS_SU_SV_SZ_EES10_S11_S12_S13_S17_S18_S19_S1C_S1D_jS1E_jS1F_S1F_jjS1H_bEUljE0_EEES10_S11_S12_S19_S1D_S1F_T6_T7_T9_mT8_S1H_bDpT10_ENKUlT_T0_E_clISt17integral_constantIbLb0EES1U_IbLb1EEEEDaS1Q_S1R_EUlS1Q_E_NS1_11comp_targetILNS1_3genE3ELNS1_11target_archE908ELNS1_3gpuE7ELNS1_3repE0EEENS1_30default_config_static_selectorELNS0_4arch9wavefront6targetE0EEEvS13_,"axG",@progbits,_ZN7rocprim17ROCPRIM_400000_NS6detail17trampoline_kernelINS0_13select_configILj256ELj13ELNS0_17block_load_methodE3ELS4_3ELS4_3ELNS0_20block_scan_algorithmE0ELj4294967295EEENS1_25partition_config_selectorILNS1_17partition_subalgoE4EjNS0_10empty_typeEbEEZZNS1_14partition_implILS8_4ELb0ES6_15HIP_vector_typeIjLj2EENS0_17counting_iteratorIjlEEPS9_SG_NS0_5tupleIJPjSI_NS0_16reverse_iteratorISI_EEEEENSH_IJSG_SG_SG_EEES9_SI_JZNS1_25segmented_radix_sort_implINS0_14default_configELb1EPK12hip_bfloat16PSP_PKlPlN2at6native12_GLOBAL__N_18offset_tEEE10hipError_tPvRmT1_PNSt15iterator_traitsIS13_E10value_typeET2_T3_PNS14_IS19_E10value_typeET4_jRbjT5_S1F_jjP12ihipStream_tbEUljE_ZNSN_ISO_Lb1ESR_SS_SU_SV_SZ_EES10_S11_S12_S13_S17_S18_S19_S1C_S1D_jS1E_jS1F_S1F_jjS1H_bEUljE0_EEES10_S11_S12_S19_S1D_S1F_T6_T7_T9_mT8_S1H_bDpT10_ENKUlT_T0_E_clISt17integral_constantIbLb0EES1U_IbLb1EEEEDaS1Q_S1R_EUlS1Q_E_NS1_11comp_targetILNS1_3genE3ELNS1_11target_archE908ELNS1_3gpuE7ELNS1_3repE0EEENS1_30default_config_static_selectorELNS0_4arch9wavefront6targetE0EEEvS13_,comdat
	.globl	_ZN7rocprim17ROCPRIM_400000_NS6detail17trampoline_kernelINS0_13select_configILj256ELj13ELNS0_17block_load_methodE3ELS4_3ELS4_3ELNS0_20block_scan_algorithmE0ELj4294967295EEENS1_25partition_config_selectorILNS1_17partition_subalgoE4EjNS0_10empty_typeEbEEZZNS1_14partition_implILS8_4ELb0ES6_15HIP_vector_typeIjLj2EENS0_17counting_iteratorIjlEEPS9_SG_NS0_5tupleIJPjSI_NS0_16reverse_iteratorISI_EEEEENSH_IJSG_SG_SG_EEES9_SI_JZNS1_25segmented_radix_sort_implINS0_14default_configELb1EPK12hip_bfloat16PSP_PKlPlN2at6native12_GLOBAL__N_18offset_tEEE10hipError_tPvRmT1_PNSt15iterator_traitsIS13_E10value_typeET2_T3_PNS14_IS19_E10value_typeET4_jRbjT5_S1F_jjP12ihipStream_tbEUljE_ZNSN_ISO_Lb1ESR_SS_SU_SV_SZ_EES10_S11_S12_S13_S17_S18_S19_S1C_S1D_jS1E_jS1F_S1F_jjS1H_bEUljE0_EEES10_S11_S12_S19_S1D_S1F_T6_T7_T9_mT8_S1H_bDpT10_ENKUlT_T0_E_clISt17integral_constantIbLb0EES1U_IbLb1EEEEDaS1Q_S1R_EUlS1Q_E_NS1_11comp_targetILNS1_3genE3ELNS1_11target_archE908ELNS1_3gpuE7ELNS1_3repE0EEENS1_30default_config_static_selectorELNS0_4arch9wavefront6targetE0EEEvS13_ ; -- Begin function _ZN7rocprim17ROCPRIM_400000_NS6detail17trampoline_kernelINS0_13select_configILj256ELj13ELNS0_17block_load_methodE3ELS4_3ELS4_3ELNS0_20block_scan_algorithmE0ELj4294967295EEENS1_25partition_config_selectorILNS1_17partition_subalgoE4EjNS0_10empty_typeEbEEZZNS1_14partition_implILS8_4ELb0ES6_15HIP_vector_typeIjLj2EENS0_17counting_iteratorIjlEEPS9_SG_NS0_5tupleIJPjSI_NS0_16reverse_iteratorISI_EEEEENSH_IJSG_SG_SG_EEES9_SI_JZNS1_25segmented_radix_sort_implINS0_14default_configELb1EPK12hip_bfloat16PSP_PKlPlN2at6native12_GLOBAL__N_18offset_tEEE10hipError_tPvRmT1_PNSt15iterator_traitsIS13_E10value_typeET2_T3_PNS14_IS19_E10value_typeET4_jRbjT5_S1F_jjP12ihipStream_tbEUljE_ZNSN_ISO_Lb1ESR_SS_SU_SV_SZ_EES10_S11_S12_S13_S17_S18_S19_S1C_S1D_jS1E_jS1F_S1F_jjS1H_bEUljE0_EEES10_S11_S12_S19_S1D_S1F_T6_T7_T9_mT8_S1H_bDpT10_ENKUlT_T0_E_clISt17integral_constantIbLb0EES1U_IbLb1EEEEDaS1Q_S1R_EUlS1Q_E_NS1_11comp_targetILNS1_3genE3ELNS1_11target_archE908ELNS1_3gpuE7ELNS1_3repE0EEENS1_30default_config_static_selectorELNS0_4arch9wavefront6targetE0EEEvS13_
	.p2align	8
	.type	_ZN7rocprim17ROCPRIM_400000_NS6detail17trampoline_kernelINS0_13select_configILj256ELj13ELNS0_17block_load_methodE3ELS4_3ELS4_3ELNS0_20block_scan_algorithmE0ELj4294967295EEENS1_25partition_config_selectorILNS1_17partition_subalgoE4EjNS0_10empty_typeEbEEZZNS1_14partition_implILS8_4ELb0ES6_15HIP_vector_typeIjLj2EENS0_17counting_iteratorIjlEEPS9_SG_NS0_5tupleIJPjSI_NS0_16reverse_iteratorISI_EEEEENSH_IJSG_SG_SG_EEES9_SI_JZNS1_25segmented_radix_sort_implINS0_14default_configELb1EPK12hip_bfloat16PSP_PKlPlN2at6native12_GLOBAL__N_18offset_tEEE10hipError_tPvRmT1_PNSt15iterator_traitsIS13_E10value_typeET2_T3_PNS14_IS19_E10value_typeET4_jRbjT5_S1F_jjP12ihipStream_tbEUljE_ZNSN_ISO_Lb1ESR_SS_SU_SV_SZ_EES10_S11_S12_S13_S17_S18_S19_S1C_S1D_jS1E_jS1F_S1F_jjS1H_bEUljE0_EEES10_S11_S12_S19_S1D_S1F_T6_T7_T9_mT8_S1H_bDpT10_ENKUlT_T0_E_clISt17integral_constantIbLb0EES1U_IbLb1EEEEDaS1Q_S1R_EUlS1Q_E_NS1_11comp_targetILNS1_3genE3ELNS1_11target_archE908ELNS1_3gpuE7ELNS1_3repE0EEENS1_30default_config_static_selectorELNS0_4arch9wavefront6targetE0EEEvS13_,@function
_ZN7rocprim17ROCPRIM_400000_NS6detail17trampoline_kernelINS0_13select_configILj256ELj13ELNS0_17block_load_methodE3ELS4_3ELS4_3ELNS0_20block_scan_algorithmE0ELj4294967295EEENS1_25partition_config_selectorILNS1_17partition_subalgoE4EjNS0_10empty_typeEbEEZZNS1_14partition_implILS8_4ELb0ES6_15HIP_vector_typeIjLj2EENS0_17counting_iteratorIjlEEPS9_SG_NS0_5tupleIJPjSI_NS0_16reverse_iteratorISI_EEEEENSH_IJSG_SG_SG_EEES9_SI_JZNS1_25segmented_radix_sort_implINS0_14default_configELb1EPK12hip_bfloat16PSP_PKlPlN2at6native12_GLOBAL__N_18offset_tEEE10hipError_tPvRmT1_PNSt15iterator_traitsIS13_E10value_typeET2_T3_PNS14_IS19_E10value_typeET4_jRbjT5_S1F_jjP12ihipStream_tbEUljE_ZNSN_ISO_Lb1ESR_SS_SU_SV_SZ_EES10_S11_S12_S13_S17_S18_S19_S1C_S1D_jS1E_jS1F_S1F_jjS1H_bEUljE0_EEES10_S11_S12_S19_S1D_S1F_T6_T7_T9_mT8_S1H_bDpT10_ENKUlT_T0_E_clISt17integral_constantIbLb0EES1U_IbLb1EEEEDaS1Q_S1R_EUlS1Q_E_NS1_11comp_targetILNS1_3genE3ELNS1_11target_archE908ELNS1_3gpuE7ELNS1_3repE0EEENS1_30default_config_static_selectorELNS0_4arch9wavefront6targetE0EEEvS13_: ; @_ZN7rocprim17ROCPRIM_400000_NS6detail17trampoline_kernelINS0_13select_configILj256ELj13ELNS0_17block_load_methodE3ELS4_3ELS4_3ELNS0_20block_scan_algorithmE0ELj4294967295EEENS1_25partition_config_selectorILNS1_17partition_subalgoE4EjNS0_10empty_typeEbEEZZNS1_14partition_implILS8_4ELb0ES6_15HIP_vector_typeIjLj2EENS0_17counting_iteratorIjlEEPS9_SG_NS0_5tupleIJPjSI_NS0_16reverse_iteratorISI_EEEEENSH_IJSG_SG_SG_EEES9_SI_JZNS1_25segmented_radix_sort_implINS0_14default_configELb1EPK12hip_bfloat16PSP_PKlPlN2at6native12_GLOBAL__N_18offset_tEEE10hipError_tPvRmT1_PNSt15iterator_traitsIS13_E10value_typeET2_T3_PNS14_IS19_E10value_typeET4_jRbjT5_S1F_jjP12ihipStream_tbEUljE_ZNSN_ISO_Lb1ESR_SS_SU_SV_SZ_EES10_S11_S12_S13_S17_S18_S19_S1C_S1D_jS1E_jS1F_S1F_jjS1H_bEUljE0_EEES10_S11_S12_S19_S1D_S1F_T6_T7_T9_mT8_S1H_bDpT10_ENKUlT_T0_E_clISt17integral_constantIbLb0EES1U_IbLb1EEEEDaS1Q_S1R_EUlS1Q_E_NS1_11comp_targetILNS1_3genE3ELNS1_11target_archE908ELNS1_3gpuE7ELNS1_3repE0EEENS1_30default_config_static_selectorELNS0_4arch9wavefront6targetE0EEEvS13_
; %bb.0:
	.section	.rodata,"a",@progbits
	.p2align	6, 0x0
	.amdhsa_kernel _ZN7rocprim17ROCPRIM_400000_NS6detail17trampoline_kernelINS0_13select_configILj256ELj13ELNS0_17block_load_methodE3ELS4_3ELS4_3ELNS0_20block_scan_algorithmE0ELj4294967295EEENS1_25partition_config_selectorILNS1_17partition_subalgoE4EjNS0_10empty_typeEbEEZZNS1_14partition_implILS8_4ELb0ES6_15HIP_vector_typeIjLj2EENS0_17counting_iteratorIjlEEPS9_SG_NS0_5tupleIJPjSI_NS0_16reverse_iteratorISI_EEEEENSH_IJSG_SG_SG_EEES9_SI_JZNS1_25segmented_radix_sort_implINS0_14default_configELb1EPK12hip_bfloat16PSP_PKlPlN2at6native12_GLOBAL__N_18offset_tEEE10hipError_tPvRmT1_PNSt15iterator_traitsIS13_E10value_typeET2_T3_PNS14_IS19_E10value_typeET4_jRbjT5_S1F_jjP12ihipStream_tbEUljE_ZNSN_ISO_Lb1ESR_SS_SU_SV_SZ_EES10_S11_S12_S13_S17_S18_S19_S1C_S1D_jS1E_jS1F_S1F_jjS1H_bEUljE0_EEES10_S11_S12_S19_S1D_S1F_T6_T7_T9_mT8_S1H_bDpT10_ENKUlT_T0_E_clISt17integral_constantIbLb0EES1U_IbLb1EEEEDaS1Q_S1R_EUlS1Q_E_NS1_11comp_targetILNS1_3genE3ELNS1_11target_archE908ELNS1_3gpuE7ELNS1_3repE0EEENS1_30default_config_static_selectorELNS0_4arch9wavefront6targetE0EEEvS13_
		.amdhsa_group_segment_fixed_size 0
		.amdhsa_private_segment_fixed_size 0
		.amdhsa_kernarg_size 184
		.amdhsa_user_sgpr_count 2
		.amdhsa_user_sgpr_dispatch_ptr 0
		.amdhsa_user_sgpr_queue_ptr 0
		.amdhsa_user_sgpr_kernarg_segment_ptr 1
		.amdhsa_user_sgpr_dispatch_id 0
		.amdhsa_user_sgpr_private_segment_size 0
		.amdhsa_wavefront_size32 1
		.amdhsa_uses_dynamic_stack 0
		.amdhsa_enable_private_segment 0
		.amdhsa_system_sgpr_workgroup_id_x 1
		.amdhsa_system_sgpr_workgroup_id_y 0
		.amdhsa_system_sgpr_workgroup_id_z 0
		.amdhsa_system_sgpr_workgroup_info 0
		.amdhsa_system_vgpr_workitem_id 0
		.amdhsa_next_free_vgpr 1
		.amdhsa_next_free_sgpr 1
		.amdhsa_reserve_vcc 0
		.amdhsa_float_round_mode_32 0
		.amdhsa_float_round_mode_16_64 0
		.amdhsa_float_denorm_mode_32 3
		.amdhsa_float_denorm_mode_16_64 3
		.amdhsa_fp16_overflow 0
		.amdhsa_workgroup_processor_mode 1
		.amdhsa_memory_ordered 1
		.amdhsa_forward_progress 1
		.amdhsa_inst_pref_size 0
		.amdhsa_round_robin_scheduling 0
		.amdhsa_exception_fp_ieee_invalid_op 0
		.amdhsa_exception_fp_denorm_src 0
		.amdhsa_exception_fp_ieee_div_zero 0
		.amdhsa_exception_fp_ieee_overflow 0
		.amdhsa_exception_fp_ieee_underflow 0
		.amdhsa_exception_fp_ieee_inexact 0
		.amdhsa_exception_int_div_zero 0
	.end_amdhsa_kernel
	.section	.text._ZN7rocprim17ROCPRIM_400000_NS6detail17trampoline_kernelINS0_13select_configILj256ELj13ELNS0_17block_load_methodE3ELS4_3ELS4_3ELNS0_20block_scan_algorithmE0ELj4294967295EEENS1_25partition_config_selectorILNS1_17partition_subalgoE4EjNS0_10empty_typeEbEEZZNS1_14partition_implILS8_4ELb0ES6_15HIP_vector_typeIjLj2EENS0_17counting_iteratorIjlEEPS9_SG_NS0_5tupleIJPjSI_NS0_16reverse_iteratorISI_EEEEENSH_IJSG_SG_SG_EEES9_SI_JZNS1_25segmented_radix_sort_implINS0_14default_configELb1EPK12hip_bfloat16PSP_PKlPlN2at6native12_GLOBAL__N_18offset_tEEE10hipError_tPvRmT1_PNSt15iterator_traitsIS13_E10value_typeET2_T3_PNS14_IS19_E10value_typeET4_jRbjT5_S1F_jjP12ihipStream_tbEUljE_ZNSN_ISO_Lb1ESR_SS_SU_SV_SZ_EES10_S11_S12_S13_S17_S18_S19_S1C_S1D_jS1E_jS1F_S1F_jjS1H_bEUljE0_EEES10_S11_S12_S19_S1D_S1F_T6_T7_T9_mT8_S1H_bDpT10_ENKUlT_T0_E_clISt17integral_constantIbLb0EES1U_IbLb1EEEEDaS1Q_S1R_EUlS1Q_E_NS1_11comp_targetILNS1_3genE3ELNS1_11target_archE908ELNS1_3gpuE7ELNS1_3repE0EEENS1_30default_config_static_selectorELNS0_4arch9wavefront6targetE0EEEvS13_,"axG",@progbits,_ZN7rocprim17ROCPRIM_400000_NS6detail17trampoline_kernelINS0_13select_configILj256ELj13ELNS0_17block_load_methodE3ELS4_3ELS4_3ELNS0_20block_scan_algorithmE0ELj4294967295EEENS1_25partition_config_selectorILNS1_17partition_subalgoE4EjNS0_10empty_typeEbEEZZNS1_14partition_implILS8_4ELb0ES6_15HIP_vector_typeIjLj2EENS0_17counting_iteratorIjlEEPS9_SG_NS0_5tupleIJPjSI_NS0_16reverse_iteratorISI_EEEEENSH_IJSG_SG_SG_EEES9_SI_JZNS1_25segmented_radix_sort_implINS0_14default_configELb1EPK12hip_bfloat16PSP_PKlPlN2at6native12_GLOBAL__N_18offset_tEEE10hipError_tPvRmT1_PNSt15iterator_traitsIS13_E10value_typeET2_T3_PNS14_IS19_E10value_typeET4_jRbjT5_S1F_jjP12ihipStream_tbEUljE_ZNSN_ISO_Lb1ESR_SS_SU_SV_SZ_EES10_S11_S12_S13_S17_S18_S19_S1C_S1D_jS1E_jS1F_S1F_jjS1H_bEUljE0_EEES10_S11_S12_S19_S1D_S1F_T6_T7_T9_mT8_S1H_bDpT10_ENKUlT_T0_E_clISt17integral_constantIbLb0EES1U_IbLb1EEEEDaS1Q_S1R_EUlS1Q_E_NS1_11comp_targetILNS1_3genE3ELNS1_11target_archE908ELNS1_3gpuE7ELNS1_3repE0EEENS1_30default_config_static_selectorELNS0_4arch9wavefront6targetE0EEEvS13_,comdat
.Lfunc_end1909:
	.size	_ZN7rocprim17ROCPRIM_400000_NS6detail17trampoline_kernelINS0_13select_configILj256ELj13ELNS0_17block_load_methodE3ELS4_3ELS4_3ELNS0_20block_scan_algorithmE0ELj4294967295EEENS1_25partition_config_selectorILNS1_17partition_subalgoE4EjNS0_10empty_typeEbEEZZNS1_14partition_implILS8_4ELb0ES6_15HIP_vector_typeIjLj2EENS0_17counting_iteratorIjlEEPS9_SG_NS0_5tupleIJPjSI_NS0_16reverse_iteratorISI_EEEEENSH_IJSG_SG_SG_EEES9_SI_JZNS1_25segmented_radix_sort_implINS0_14default_configELb1EPK12hip_bfloat16PSP_PKlPlN2at6native12_GLOBAL__N_18offset_tEEE10hipError_tPvRmT1_PNSt15iterator_traitsIS13_E10value_typeET2_T3_PNS14_IS19_E10value_typeET4_jRbjT5_S1F_jjP12ihipStream_tbEUljE_ZNSN_ISO_Lb1ESR_SS_SU_SV_SZ_EES10_S11_S12_S13_S17_S18_S19_S1C_S1D_jS1E_jS1F_S1F_jjS1H_bEUljE0_EEES10_S11_S12_S19_S1D_S1F_T6_T7_T9_mT8_S1H_bDpT10_ENKUlT_T0_E_clISt17integral_constantIbLb0EES1U_IbLb1EEEEDaS1Q_S1R_EUlS1Q_E_NS1_11comp_targetILNS1_3genE3ELNS1_11target_archE908ELNS1_3gpuE7ELNS1_3repE0EEENS1_30default_config_static_selectorELNS0_4arch9wavefront6targetE0EEEvS13_, .Lfunc_end1909-_ZN7rocprim17ROCPRIM_400000_NS6detail17trampoline_kernelINS0_13select_configILj256ELj13ELNS0_17block_load_methodE3ELS4_3ELS4_3ELNS0_20block_scan_algorithmE0ELj4294967295EEENS1_25partition_config_selectorILNS1_17partition_subalgoE4EjNS0_10empty_typeEbEEZZNS1_14partition_implILS8_4ELb0ES6_15HIP_vector_typeIjLj2EENS0_17counting_iteratorIjlEEPS9_SG_NS0_5tupleIJPjSI_NS0_16reverse_iteratorISI_EEEEENSH_IJSG_SG_SG_EEES9_SI_JZNS1_25segmented_radix_sort_implINS0_14default_configELb1EPK12hip_bfloat16PSP_PKlPlN2at6native12_GLOBAL__N_18offset_tEEE10hipError_tPvRmT1_PNSt15iterator_traitsIS13_E10value_typeET2_T3_PNS14_IS19_E10value_typeET4_jRbjT5_S1F_jjP12ihipStream_tbEUljE_ZNSN_ISO_Lb1ESR_SS_SU_SV_SZ_EES10_S11_S12_S13_S17_S18_S19_S1C_S1D_jS1E_jS1F_S1F_jjS1H_bEUljE0_EEES10_S11_S12_S19_S1D_S1F_T6_T7_T9_mT8_S1H_bDpT10_ENKUlT_T0_E_clISt17integral_constantIbLb0EES1U_IbLb1EEEEDaS1Q_S1R_EUlS1Q_E_NS1_11comp_targetILNS1_3genE3ELNS1_11target_archE908ELNS1_3gpuE7ELNS1_3repE0EEENS1_30default_config_static_selectorELNS0_4arch9wavefront6targetE0EEEvS13_
                                        ; -- End function
	.set _ZN7rocprim17ROCPRIM_400000_NS6detail17trampoline_kernelINS0_13select_configILj256ELj13ELNS0_17block_load_methodE3ELS4_3ELS4_3ELNS0_20block_scan_algorithmE0ELj4294967295EEENS1_25partition_config_selectorILNS1_17partition_subalgoE4EjNS0_10empty_typeEbEEZZNS1_14partition_implILS8_4ELb0ES6_15HIP_vector_typeIjLj2EENS0_17counting_iteratorIjlEEPS9_SG_NS0_5tupleIJPjSI_NS0_16reverse_iteratorISI_EEEEENSH_IJSG_SG_SG_EEES9_SI_JZNS1_25segmented_radix_sort_implINS0_14default_configELb1EPK12hip_bfloat16PSP_PKlPlN2at6native12_GLOBAL__N_18offset_tEEE10hipError_tPvRmT1_PNSt15iterator_traitsIS13_E10value_typeET2_T3_PNS14_IS19_E10value_typeET4_jRbjT5_S1F_jjP12ihipStream_tbEUljE_ZNSN_ISO_Lb1ESR_SS_SU_SV_SZ_EES10_S11_S12_S13_S17_S18_S19_S1C_S1D_jS1E_jS1F_S1F_jjS1H_bEUljE0_EEES10_S11_S12_S19_S1D_S1F_T6_T7_T9_mT8_S1H_bDpT10_ENKUlT_T0_E_clISt17integral_constantIbLb0EES1U_IbLb1EEEEDaS1Q_S1R_EUlS1Q_E_NS1_11comp_targetILNS1_3genE3ELNS1_11target_archE908ELNS1_3gpuE7ELNS1_3repE0EEENS1_30default_config_static_selectorELNS0_4arch9wavefront6targetE0EEEvS13_.num_vgpr, 0
	.set _ZN7rocprim17ROCPRIM_400000_NS6detail17trampoline_kernelINS0_13select_configILj256ELj13ELNS0_17block_load_methodE3ELS4_3ELS4_3ELNS0_20block_scan_algorithmE0ELj4294967295EEENS1_25partition_config_selectorILNS1_17partition_subalgoE4EjNS0_10empty_typeEbEEZZNS1_14partition_implILS8_4ELb0ES6_15HIP_vector_typeIjLj2EENS0_17counting_iteratorIjlEEPS9_SG_NS0_5tupleIJPjSI_NS0_16reverse_iteratorISI_EEEEENSH_IJSG_SG_SG_EEES9_SI_JZNS1_25segmented_radix_sort_implINS0_14default_configELb1EPK12hip_bfloat16PSP_PKlPlN2at6native12_GLOBAL__N_18offset_tEEE10hipError_tPvRmT1_PNSt15iterator_traitsIS13_E10value_typeET2_T3_PNS14_IS19_E10value_typeET4_jRbjT5_S1F_jjP12ihipStream_tbEUljE_ZNSN_ISO_Lb1ESR_SS_SU_SV_SZ_EES10_S11_S12_S13_S17_S18_S19_S1C_S1D_jS1E_jS1F_S1F_jjS1H_bEUljE0_EEES10_S11_S12_S19_S1D_S1F_T6_T7_T9_mT8_S1H_bDpT10_ENKUlT_T0_E_clISt17integral_constantIbLb0EES1U_IbLb1EEEEDaS1Q_S1R_EUlS1Q_E_NS1_11comp_targetILNS1_3genE3ELNS1_11target_archE908ELNS1_3gpuE7ELNS1_3repE0EEENS1_30default_config_static_selectorELNS0_4arch9wavefront6targetE0EEEvS13_.num_agpr, 0
	.set _ZN7rocprim17ROCPRIM_400000_NS6detail17trampoline_kernelINS0_13select_configILj256ELj13ELNS0_17block_load_methodE3ELS4_3ELS4_3ELNS0_20block_scan_algorithmE0ELj4294967295EEENS1_25partition_config_selectorILNS1_17partition_subalgoE4EjNS0_10empty_typeEbEEZZNS1_14partition_implILS8_4ELb0ES6_15HIP_vector_typeIjLj2EENS0_17counting_iteratorIjlEEPS9_SG_NS0_5tupleIJPjSI_NS0_16reverse_iteratorISI_EEEEENSH_IJSG_SG_SG_EEES9_SI_JZNS1_25segmented_radix_sort_implINS0_14default_configELb1EPK12hip_bfloat16PSP_PKlPlN2at6native12_GLOBAL__N_18offset_tEEE10hipError_tPvRmT1_PNSt15iterator_traitsIS13_E10value_typeET2_T3_PNS14_IS19_E10value_typeET4_jRbjT5_S1F_jjP12ihipStream_tbEUljE_ZNSN_ISO_Lb1ESR_SS_SU_SV_SZ_EES10_S11_S12_S13_S17_S18_S19_S1C_S1D_jS1E_jS1F_S1F_jjS1H_bEUljE0_EEES10_S11_S12_S19_S1D_S1F_T6_T7_T9_mT8_S1H_bDpT10_ENKUlT_T0_E_clISt17integral_constantIbLb0EES1U_IbLb1EEEEDaS1Q_S1R_EUlS1Q_E_NS1_11comp_targetILNS1_3genE3ELNS1_11target_archE908ELNS1_3gpuE7ELNS1_3repE0EEENS1_30default_config_static_selectorELNS0_4arch9wavefront6targetE0EEEvS13_.numbered_sgpr, 0
	.set _ZN7rocprim17ROCPRIM_400000_NS6detail17trampoline_kernelINS0_13select_configILj256ELj13ELNS0_17block_load_methodE3ELS4_3ELS4_3ELNS0_20block_scan_algorithmE0ELj4294967295EEENS1_25partition_config_selectorILNS1_17partition_subalgoE4EjNS0_10empty_typeEbEEZZNS1_14partition_implILS8_4ELb0ES6_15HIP_vector_typeIjLj2EENS0_17counting_iteratorIjlEEPS9_SG_NS0_5tupleIJPjSI_NS0_16reverse_iteratorISI_EEEEENSH_IJSG_SG_SG_EEES9_SI_JZNS1_25segmented_radix_sort_implINS0_14default_configELb1EPK12hip_bfloat16PSP_PKlPlN2at6native12_GLOBAL__N_18offset_tEEE10hipError_tPvRmT1_PNSt15iterator_traitsIS13_E10value_typeET2_T3_PNS14_IS19_E10value_typeET4_jRbjT5_S1F_jjP12ihipStream_tbEUljE_ZNSN_ISO_Lb1ESR_SS_SU_SV_SZ_EES10_S11_S12_S13_S17_S18_S19_S1C_S1D_jS1E_jS1F_S1F_jjS1H_bEUljE0_EEES10_S11_S12_S19_S1D_S1F_T6_T7_T9_mT8_S1H_bDpT10_ENKUlT_T0_E_clISt17integral_constantIbLb0EES1U_IbLb1EEEEDaS1Q_S1R_EUlS1Q_E_NS1_11comp_targetILNS1_3genE3ELNS1_11target_archE908ELNS1_3gpuE7ELNS1_3repE0EEENS1_30default_config_static_selectorELNS0_4arch9wavefront6targetE0EEEvS13_.num_named_barrier, 0
	.set _ZN7rocprim17ROCPRIM_400000_NS6detail17trampoline_kernelINS0_13select_configILj256ELj13ELNS0_17block_load_methodE3ELS4_3ELS4_3ELNS0_20block_scan_algorithmE0ELj4294967295EEENS1_25partition_config_selectorILNS1_17partition_subalgoE4EjNS0_10empty_typeEbEEZZNS1_14partition_implILS8_4ELb0ES6_15HIP_vector_typeIjLj2EENS0_17counting_iteratorIjlEEPS9_SG_NS0_5tupleIJPjSI_NS0_16reverse_iteratorISI_EEEEENSH_IJSG_SG_SG_EEES9_SI_JZNS1_25segmented_radix_sort_implINS0_14default_configELb1EPK12hip_bfloat16PSP_PKlPlN2at6native12_GLOBAL__N_18offset_tEEE10hipError_tPvRmT1_PNSt15iterator_traitsIS13_E10value_typeET2_T3_PNS14_IS19_E10value_typeET4_jRbjT5_S1F_jjP12ihipStream_tbEUljE_ZNSN_ISO_Lb1ESR_SS_SU_SV_SZ_EES10_S11_S12_S13_S17_S18_S19_S1C_S1D_jS1E_jS1F_S1F_jjS1H_bEUljE0_EEES10_S11_S12_S19_S1D_S1F_T6_T7_T9_mT8_S1H_bDpT10_ENKUlT_T0_E_clISt17integral_constantIbLb0EES1U_IbLb1EEEEDaS1Q_S1R_EUlS1Q_E_NS1_11comp_targetILNS1_3genE3ELNS1_11target_archE908ELNS1_3gpuE7ELNS1_3repE0EEENS1_30default_config_static_selectorELNS0_4arch9wavefront6targetE0EEEvS13_.private_seg_size, 0
	.set _ZN7rocprim17ROCPRIM_400000_NS6detail17trampoline_kernelINS0_13select_configILj256ELj13ELNS0_17block_load_methodE3ELS4_3ELS4_3ELNS0_20block_scan_algorithmE0ELj4294967295EEENS1_25partition_config_selectorILNS1_17partition_subalgoE4EjNS0_10empty_typeEbEEZZNS1_14partition_implILS8_4ELb0ES6_15HIP_vector_typeIjLj2EENS0_17counting_iteratorIjlEEPS9_SG_NS0_5tupleIJPjSI_NS0_16reverse_iteratorISI_EEEEENSH_IJSG_SG_SG_EEES9_SI_JZNS1_25segmented_radix_sort_implINS0_14default_configELb1EPK12hip_bfloat16PSP_PKlPlN2at6native12_GLOBAL__N_18offset_tEEE10hipError_tPvRmT1_PNSt15iterator_traitsIS13_E10value_typeET2_T3_PNS14_IS19_E10value_typeET4_jRbjT5_S1F_jjP12ihipStream_tbEUljE_ZNSN_ISO_Lb1ESR_SS_SU_SV_SZ_EES10_S11_S12_S13_S17_S18_S19_S1C_S1D_jS1E_jS1F_S1F_jjS1H_bEUljE0_EEES10_S11_S12_S19_S1D_S1F_T6_T7_T9_mT8_S1H_bDpT10_ENKUlT_T0_E_clISt17integral_constantIbLb0EES1U_IbLb1EEEEDaS1Q_S1R_EUlS1Q_E_NS1_11comp_targetILNS1_3genE3ELNS1_11target_archE908ELNS1_3gpuE7ELNS1_3repE0EEENS1_30default_config_static_selectorELNS0_4arch9wavefront6targetE0EEEvS13_.uses_vcc, 0
	.set _ZN7rocprim17ROCPRIM_400000_NS6detail17trampoline_kernelINS0_13select_configILj256ELj13ELNS0_17block_load_methodE3ELS4_3ELS4_3ELNS0_20block_scan_algorithmE0ELj4294967295EEENS1_25partition_config_selectorILNS1_17partition_subalgoE4EjNS0_10empty_typeEbEEZZNS1_14partition_implILS8_4ELb0ES6_15HIP_vector_typeIjLj2EENS0_17counting_iteratorIjlEEPS9_SG_NS0_5tupleIJPjSI_NS0_16reverse_iteratorISI_EEEEENSH_IJSG_SG_SG_EEES9_SI_JZNS1_25segmented_radix_sort_implINS0_14default_configELb1EPK12hip_bfloat16PSP_PKlPlN2at6native12_GLOBAL__N_18offset_tEEE10hipError_tPvRmT1_PNSt15iterator_traitsIS13_E10value_typeET2_T3_PNS14_IS19_E10value_typeET4_jRbjT5_S1F_jjP12ihipStream_tbEUljE_ZNSN_ISO_Lb1ESR_SS_SU_SV_SZ_EES10_S11_S12_S13_S17_S18_S19_S1C_S1D_jS1E_jS1F_S1F_jjS1H_bEUljE0_EEES10_S11_S12_S19_S1D_S1F_T6_T7_T9_mT8_S1H_bDpT10_ENKUlT_T0_E_clISt17integral_constantIbLb0EES1U_IbLb1EEEEDaS1Q_S1R_EUlS1Q_E_NS1_11comp_targetILNS1_3genE3ELNS1_11target_archE908ELNS1_3gpuE7ELNS1_3repE0EEENS1_30default_config_static_selectorELNS0_4arch9wavefront6targetE0EEEvS13_.uses_flat_scratch, 0
	.set _ZN7rocprim17ROCPRIM_400000_NS6detail17trampoline_kernelINS0_13select_configILj256ELj13ELNS0_17block_load_methodE3ELS4_3ELS4_3ELNS0_20block_scan_algorithmE0ELj4294967295EEENS1_25partition_config_selectorILNS1_17partition_subalgoE4EjNS0_10empty_typeEbEEZZNS1_14partition_implILS8_4ELb0ES6_15HIP_vector_typeIjLj2EENS0_17counting_iteratorIjlEEPS9_SG_NS0_5tupleIJPjSI_NS0_16reverse_iteratorISI_EEEEENSH_IJSG_SG_SG_EEES9_SI_JZNS1_25segmented_radix_sort_implINS0_14default_configELb1EPK12hip_bfloat16PSP_PKlPlN2at6native12_GLOBAL__N_18offset_tEEE10hipError_tPvRmT1_PNSt15iterator_traitsIS13_E10value_typeET2_T3_PNS14_IS19_E10value_typeET4_jRbjT5_S1F_jjP12ihipStream_tbEUljE_ZNSN_ISO_Lb1ESR_SS_SU_SV_SZ_EES10_S11_S12_S13_S17_S18_S19_S1C_S1D_jS1E_jS1F_S1F_jjS1H_bEUljE0_EEES10_S11_S12_S19_S1D_S1F_T6_T7_T9_mT8_S1H_bDpT10_ENKUlT_T0_E_clISt17integral_constantIbLb0EES1U_IbLb1EEEEDaS1Q_S1R_EUlS1Q_E_NS1_11comp_targetILNS1_3genE3ELNS1_11target_archE908ELNS1_3gpuE7ELNS1_3repE0EEENS1_30default_config_static_selectorELNS0_4arch9wavefront6targetE0EEEvS13_.has_dyn_sized_stack, 0
	.set _ZN7rocprim17ROCPRIM_400000_NS6detail17trampoline_kernelINS0_13select_configILj256ELj13ELNS0_17block_load_methodE3ELS4_3ELS4_3ELNS0_20block_scan_algorithmE0ELj4294967295EEENS1_25partition_config_selectorILNS1_17partition_subalgoE4EjNS0_10empty_typeEbEEZZNS1_14partition_implILS8_4ELb0ES6_15HIP_vector_typeIjLj2EENS0_17counting_iteratorIjlEEPS9_SG_NS0_5tupleIJPjSI_NS0_16reverse_iteratorISI_EEEEENSH_IJSG_SG_SG_EEES9_SI_JZNS1_25segmented_radix_sort_implINS0_14default_configELb1EPK12hip_bfloat16PSP_PKlPlN2at6native12_GLOBAL__N_18offset_tEEE10hipError_tPvRmT1_PNSt15iterator_traitsIS13_E10value_typeET2_T3_PNS14_IS19_E10value_typeET4_jRbjT5_S1F_jjP12ihipStream_tbEUljE_ZNSN_ISO_Lb1ESR_SS_SU_SV_SZ_EES10_S11_S12_S13_S17_S18_S19_S1C_S1D_jS1E_jS1F_S1F_jjS1H_bEUljE0_EEES10_S11_S12_S19_S1D_S1F_T6_T7_T9_mT8_S1H_bDpT10_ENKUlT_T0_E_clISt17integral_constantIbLb0EES1U_IbLb1EEEEDaS1Q_S1R_EUlS1Q_E_NS1_11comp_targetILNS1_3genE3ELNS1_11target_archE908ELNS1_3gpuE7ELNS1_3repE0EEENS1_30default_config_static_selectorELNS0_4arch9wavefront6targetE0EEEvS13_.has_recursion, 0
	.set _ZN7rocprim17ROCPRIM_400000_NS6detail17trampoline_kernelINS0_13select_configILj256ELj13ELNS0_17block_load_methodE3ELS4_3ELS4_3ELNS0_20block_scan_algorithmE0ELj4294967295EEENS1_25partition_config_selectorILNS1_17partition_subalgoE4EjNS0_10empty_typeEbEEZZNS1_14partition_implILS8_4ELb0ES6_15HIP_vector_typeIjLj2EENS0_17counting_iteratorIjlEEPS9_SG_NS0_5tupleIJPjSI_NS0_16reverse_iteratorISI_EEEEENSH_IJSG_SG_SG_EEES9_SI_JZNS1_25segmented_radix_sort_implINS0_14default_configELb1EPK12hip_bfloat16PSP_PKlPlN2at6native12_GLOBAL__N_18offset_tEEE10hipError_tPvRmT1_PNSt15iterator_traitsIS13_E10value_typeET2_T3_PNS14_IS19_E10value_typeET4_jRbjT5_S1F_jjP12ihipStream_tbEUljE_ZNSN_ISO_Lb1ESR_SS_SU_SV_SZ_EES10_S11_S12_S13_S17_S18_S19_S1C_S1D_jS1E_jS1F_S1F_jjS1H_bEUljE0_EEES10_S11_S12_S19_S1D_S1F_T6_T7_T9_mT8_S1H_bDpT10_ENKUlT_T0_E_clISt17integral_constantIbLb0EES1U_IbLb1EEEEDaS1Q_S1R_EUlS1Q_E_NS1_11comp_targetILNS1_3genE3ELNS1_11target_archE908ELNS1_3gpuE7ELNS1_3repE0EEENS1_30default_config_static_selectorELNS0_4arch9wavefront6targetE0EEEvS13_.has_indirect_call, 0
	.section	.AMDGPU.csdata,"",@progbits
; Kernel info:
; codeLenInByte = 0
; TotalNumSgprs: 0
; NumVgprs: 0
; ScratchSize: 0
; MemoryBound: 0
; FloatMode: 240
; IeeeMode: 1
; LDSByteSize: 0 bytes/workgroup (compile time only)
; SGPRBlocks: 0
; VGPRBlocks: 0
; NumSGPRsForWavesPerEU: 1
; NumVGPRsForWavesPerEU: 1
; Occupancy: 16
; WaveLimiterHint : 0
; COMPUTE_PGM_RSRC2:SCRATCH_EN: 0
; COMPUTE_PGM_RSRC2:USER_SGPR: 2
; COMPUTE_PGM_RSRC2:TRAP_HANDLER: 0
; COMPUTE_PGM_RSRC2:TGID_X_EN: 1
; COMPUTE_PGM_RSRC2:TGID_Y_EN: 0
; COMPUTE_PGM_RSRC2:TGID_Z_EN: 0
; COMPUTE_PGM_RSRC2:TIDIG_COMP_CNT: 0
	.section	.text._ZN7rocprim17ROCPRIM_400000_NS6detail17trampoline_kernelINS0_13select_configILj256ELj13ELNS0_17block_load_methodE3ELS4_3ELS4_3ELNS0_20block_scan_algorithmE0ELj4294967295EEENS1_25partition_config_selectorILNS1_17partition_subalgoE4EjNS0_10empty_typeEbEEZZNS1_14partition_implILS8_4ELb0ES6_15HIP_vector_typeIjLj2EENS0_17counting_iteratorIjlEEPS9_SG_NS0_5tupleIJPjSI_NS0_16reverse_iteratorISI_EEEEENSH_IJSG_SG_SG_EEES9_SI_JZNS1_25segmented_radix_sort_implINS0_14default_configELb1EPK12hip_bfloat16PSP_PKlPlN2at6native12_GLOBAL__N_18offset_tEEE10hipError_tPvRmT1_PNSt15iterator_traitsIS13_E10value_typeET2_T3_PNS14_IS19_E10value_typeET4_jRbjT5_S1F_jjP12ihipStream_tbEUljE_ZNSN_ISO_Lb1ESR_SS_SU_SV_SZ_EES10_S11_S12_S13_S17_S18_S19_S1C_S1D_jS1E_jS1F_S1F_jjS1H_bEUljE0_EEES10_S11_S12_S19_S1D_S1F_T6_T7_T9_mT8_S1H_bDpT10_ENKUlT_T0_E_clISt17integral_constantIbLb0EES1U_IbLb1EEEEDaS1Q_S1R_EUlS1Q_E_NS1_11comp_targetILNS1_3genE2ELNS1_11target_archE906ELNS1_3gpuE6ELNS1_3repE0EEENS1_30default_config_static_selectorELNS0_4arch9wavefront6targetE0EEEvS13_,"axG",@progbits,_ZN7rocprim17ROCPRIM_400000_NS6detail17trampoline_kernelINS0_13select_configILj256ELj13ELNS0_17block_load_methodE3ELS4_3ELS4_3ELNS0_20block_scan_algorithmE0ELj4294967295EEENS1_25partition_config_selectorILNS1_17partition_subalgoE4EjNS0_10empty_typeEbEEZZNS1_14partition_implILS8_4ELb0ES6_15HIP_vector_typeIjLj2EENS0_17counting_iteratorIjlEEPS9_SG_NS0_5tupleIJPjSI_NS0_16reverse_iteratorISI_EEEEENSH_IJSG_SG_SG_EEES9_SI_JZNS1_25segmented_radix_sort_implINS0_14default_configELb1EPK12hip_bfloat16PSP_PKlPlN2at6native12_GLOBAL__N_18offset_tEEE10hipError_tPvRmT1_PNSt15iterator_traitsIS13_E10value_typeET2_T3_PNS14_IS19_E10value_typeET4_jRbjT5_S1F_jjP12ihipStream_tbEUljE_ZNSN_ISO_Lb1ESR_SS_SU_SV_SZ_EES10_S11_S12_S13_S17_S18_S19_S1C_S1D_jS1E_jS1F_S1F_jjS1H_bEUljE0_EEES10_S11_S12_S19_S1D_S1F_T6_T7_T9_mT8_S1H_bDpT10_ENKUlT_T0_E_clISt17integral_constantIbLb0EES1U_IbLb1EEEEDaS1Q_S1R_EUlS1Q_E_NS1_11comp_targetILNS1_3genE2ELNS1_11target_archE906ELNS1_3gpuE6ELNS1_3repE0EEENS1_30default_config_static_selectorELNS0_4arch9wavefront6targetE0EEEvS13_,comdat
	.globl	_ZN7rocprim17ROCPRIM_400000_NS6detail17trampoline_kernelINS0_13select_configILj256ELj13ELNS0_17block_load_methodE3ELS4_3ELS4_3ELNS0_20block_scan_algorithmE0ELj4294967295EEENS1_25partition_config_selectorILNS1_17partition_subalgoE4EjNS0_10empty_typeEbEEZZNS1_14partition_implILS8_4ELb0ES6_15HIP_vector_typeIjLj2EENS0_17counting_iteratorIjlEEPS9_SG_NS0_5tupleIJPjSI_NS0_16reverse_iteratorISI_EEEEENSH_IJSG_SG_SG_EEES9_SI_JZNS1_25segmented_radix_sort_implINS0_14default_configELb1EPK12hip_bfloat16PSP_PKlPlN2at6native12_GLOBAL__N_18offset_tEEE10hipError_tPvRmT1_PNSt15iterator_traitsIS13_E10value_typeET2_T3_PNS14_IS19_E10value_typeET4_jRbjT5_S1F_jjP12ihipStream_tbEUljE_ZNSN_ISO_Lb1ESR_SS_SU_SV_SZ_EES10_S11_S12_S13_S17_S18_S19_S1C_S1D_jS1E_jS1F_S1F_jjS1H_bEUljE0_EEES10_S11_S12_S19_S1D_S1F_T6_T7_T9_mT8_S1H_bDpT10_ENKUlT_T0_E_clISt17integral_constantIbLb0EES1U_IbLb1EEEEDaS1Q_S1R_EUlS1Q_E_NS1_11comp_targetILNS1_3genE2ELNS1_11target_archE906ELNS1_3gpuE6ELNS1_3repE0EEENS1_30default_config_static_selectorELNS0_4arch9wavefront6targetE0EEEvS13_ ; -- Begin function _ZN7rocprim17ROCPRIM_400000_NS6detail17trampoline_kernelINS0_13select_configILj256ELj13ELNS0_17block_load_methodE3ELS4_3ELS4_3ELNS0_20block_scan_algorithmE0ELj4294967295EEENS1_25partition_config_selectorILNS1_17partition_subalgoE4EjNS0_10empty_typeEbEEZZNS1_14partition_implILS8_4ELb0ES6_15HIP_vector_typeIjLj2EENS0_17counting_iteratorIjlEEPS9_SG_NS0_5tupleIJPjSI_NS0_16reverse_iteratorISI_EEEEENSH_IJSG_SG_SG_EEES9_SI_JZNS1_25segmented_radix_sort_implINS0_14default_configELb1EPK12hip_bfloat16PSP_PKlPlN2at6native12_GLOBAL__N_18offset_tEEE10hipError_tPvRmT1_PNSt15iterator_traitsIS13_E10value_typeET2_T3_PNS14_IS19_E10value_typeET4_jRbjT5_S1F_jjP12ihipStream_tbEUljE_ZNSN_ISO_Lb1ESR_SS_SU_SV_SZ_EES10_S11_S12_S13_S17_S18_S19_S1C_S1D_jS1E_jS1F_S1F_jjS1H_bEUljE0_EEES10_S11_S12_S19_S1D_S1F_T6_T7_T9_mT8_S1H_bDpT10_ENKUlT_T0_E_clISt17integral_constantIbLb0EES1U_IbLb1EEEEDaS1Q_S1R_EUlS1Q_E_NS1_11comp_targetILNS1_3genE2ELNS1_11target_archE906ELNS1_3gpuE6ELNS1_3repE0EEENS1_30default_config_static_selectorELNS0_4arch9wavefront6targetE0EEEvS13_
	.p2align	8
	.type	_ZN7rocprim17ROCPRIM_400000_NS6detail17trampoline_kernelINS0_13select_configILj256ELj13ELNS0_17block_load_methodE3ELS4_3ELS4_3ELNS0_20block_scan_algorithmE0ELj4294967295EEENS1_25partition_config_selectorILNS1_17partition_subalgoE4EjNS0_10empty_typeEbEEZZNS1_14partition_implILS8_4ELb0ES6_15HIP_vector_typeIjLj2EENS0_17counting_iteratorIjlEEPS9_SG_NS0_5tupleIJPjSI_NS0_16reverse_iteratorISI_EEEEENSH_IJSG_SG_SG_EEES9_SI_JZNS1_25segmented_radix_sort_implINS0_14default_configELb1EPK12hip_bfloat16PSP_PKlPlN2at6native12_GLOBAL__N_18offset_tEEE10hipError_tPvRmT1_PNSt15iterator_traitsIS13_E10value_typeET2_T3_PNS14_IS19_E10value_typeET4_jRbjT5_S1F_jjP12ihipStream_tbEUljE_ZNSN_ISO_Lb1ESR_SS_SU_SV_SZ_EES10_S11_S12_S13_S17_S18_S19_S1C_S1D_jS1E_jS1F_S1F_jjS1H_bEUljE0_EEES10_S11_S12_S19_S1D_S1F_T6_T7_T9_mT8_S1H_bDpT10_ENKUlT_T0_E_clISt17integral_constantIbLb0EES1U_IbLb1EEEEDaS1Q_S1R_EUlS1Q_E_NS1_11comp_targetILNS1_3genE2ELNS1_11target_archE906ELNS1_3gpuE6ELNS1_3repE0EEENS1_30default_config_static_selectorELNS0_4arch9wavefront6targetE0EEEvS13_,@function
_ZN7rocprim17ROCPRIM_400000_NS6detail17trampoline_kernelINS0_13select_configILj256ELj13ELNS0_17block_load_methodE3ELS4_3ELS4_3ELNS0_20block_scan_algorithmE0ELj4294967295EEENS1_25partition_config_selectorILNS1_17partition_subalgoE4EjNS0_10empty_typeEbEEZZNS1_14partition_implILS8_4ELb0ES6_15HIP_vector_typeIjLj2EENS0_17counting_iteratorIjlEEPS9_SG_NS0_5tupleIJPjSI_NS0_16reverse_iteratorISI_EEEEENSH_IJSG_SG_SG_EEES9_SI_JZNS1_25segmented_radix_sort_implINS0_14default_configELb1EPK12hip_bfloat16PSP_PKlPlN2at6native12_GLOBAL__N_18offset_tEEE10hipError_tPvRmT1_PNSt15iterator_traitsIS13_E10value_typeET2_T3_PNS14_IS19_E10value_typeET4_jRbjT5_S1F_jjP12ihipStream_tbEUljE_ZNSN_ISO_Lb1ESR_SS_SU_SV_SZ_EES10_S11_S12_S13_S17_S18_S19_S1C_S1D_jS1E_jS1F_S1F_jjS1H_bEUljE0_EEES10_S11_S12_S19_S1D_S1F_T6_T7_T9_mT8_S1H_bDpT10_ENKUlT_T0_E_clISt17integral_constantIbLb0EES1U_IbLb1EEEEDaS1Q_S1R_EUlS1Q_E_NS1_11comp_targetILNS1_3genE2ELNS1_11target_archE906ELNS1_3gpuE6ELNS1_3repE0EEENS1_30default_config_static_selectorELNS0_4arch9wavefront6targetE0EEEvS13_: ; @_ZN7rocprim17ROCPRIM_400000_NS6detail17trampoline_kernelINS0_13select_configILj256ELj13ELNS0_17block_load_methodE3ELS4_3ELS4_3ELNS0_20block_scan_algorithmE0ELj4294967295EEENS1_25partition_config_selectorILNS1_17partition_subalgoE4EjNS0_10empty_typeEbEEZZNS1_14partition_implILS8_4ELb0ES6_15HIP_vector_typeIjLj2EENS0_17counting_iteratorIjlEEPS9_SG_NS0_5tupleIJPjSI_NS0_16reverse_iteratorISI_EEEEENSH_IJSG_SG_SG_EEES9_SI_JZNS1_25segmented_radix_sort_implINS0_14default_configELb1EPK12hip_bfloat16PSP_PKlPlN2at6native12_GLOBAL__N_18offset_tEEE10hipError_tPvRmT1_PNSt15iterator_traitsIS13_E10value_typeET2_T3_PNS14_IS19_E10value_typeET4_jRbjT5_S1F_jjP12ihipStream_tbEUljE_ZNSN_ISO_Lb1ESR_SS_SU_SV_SZ_EES10_S11_S12_S13_S17_S18_S19_S1C_S1D_jS1E_jS1F_S1F_jjS1H_bEUljE0_EEES10_S11_S12_S19_S1D_S1F_T6_T7_T9_mT8_S1H_bDpT10_ENKUlT_T0_E_clISt17integral_constantIbLb0EES1U_IbLb1EEEEDaS1Q_S1R_EUlS1Q_E_NS1_11comp_targetILNS1_3genE2ELNS1_11target_archE906ELNS1_3gpuE6ELNS1_3repE0EEENS1_30default_config_static_selectorELNS0_4arch9wavefront6targetE0EEEvS13_
; %bb.0:
	.section	.rodata,"a",@progbits
	.p2align	6, 0x0
	.amdhsa_kernel _ZN7rocprim17ROCPRIM_400000_NS6detail17trampoline_kernelINS0_13select_configILj256ELj13ELNS0_17block_load_methodE3ELS4_3ELS4_3ELNS0_20block_scan_algorithmE0ELj4294967295EEENS1_25partition_config_selectorILNS1_17partition_subalgoE4EjNS0_10empty_typeEbEEZZNS1_14partition_implILS8_4ELb0ES6_15HIP_vector_typeIjLj2EENS0_17counting_iteratorIjlEEPS9_SG_NS0_5tupleIJPjSI_NS0_16reverse_iteratorISI_EEEEENSH_IJSG_SG_SG_EEES9_SI_JZNS1_25segmented_radix_sort_implINS0_14default_configELb1EPK12hip_bfloat16PSP_PKlPlN2at6native12_GLOBAL__N_18offset_tEEE10hipError_tPvRmT1_PNSt15iterator_traitsIS13_E10value_typeET2_T3_PNS14_IS19_E10value_typeET4_jRbjT5_S1F_jjP12ihipStream_tbEUljE_ZNSN_ISO_Lb1ESR_SS_SU_SV_SZ_EES10_S11_S12_S13_S17_S18_S19_S1C_S1D_jS1E_jS1F_S1F_jjS1H_bEUljE0_EEES10_S11_S12_S19_S1D_S1F_T6_T7_T9_mT8_S1H_bDpT10_ENKUlT_T0_E_clISt17integral_constantIbLb0EES1U_IbLb1EEEEDaS1Q_S1R_EUlS1Q_E_NS1_11comp_targetILNS1_3genE2ELNS1_11target_archE906ELNS1_3gpuE6ELNS1_3repE0EEENS1_30default_config_static_selectorELNS0_4arch9wavefront6targetE0EEEvS13_
		.amdhsa_group_segment_fixed_size 0
		.amdhsa_private_segment_fixed_size 0
		.amdhsa_kernarg_size 184
		.amdhsa_user_sgpr_count 2
		.amdhsa_user_sgpr_dispatch_ptr 0
		.amdhsa_user_sgpr_queue_ptr 0
		.amdhsa_user_sgpr_kernarg_segment_ptr 1
		.amdhsa_user_sgpr_dispatch_id 0
		.amdhsa_user_sgpr_private_segment_size 0
		.amdhsa_wavefront_size32 1
		.amdhsa_uses_dynamic_stack 0
		.amdhsa_enable_private_segment 0
		.amdhsa_system_sgpr_workgroup_id_x 1
		.amdhsa_system_sgpr_workgroup_id_y 0
		.amdhsa_system_sgpr_workgroup_id_z 0
		.amdhsa_system_sgpr_workgroup_info 0
		.amdhsa_system_vgpr_workitem_id 0
		.amdhsa_next_free_vgpr 1
		.amdhsa_next_free_sgpr 1
		.amdhsa_reserve_vcc 0
		.amdhsa_float_round_mode_32 0
		.amdhsa_float_round_mode_16_64 0
		.amdhsa_float_denorm_mode_32 3
		.amdhsa_float_denorm_mode_16_64 3
		.amdhsa_fp16_overflow 0
		.amdhsa_workgroup_processor_mode 1
		.amdhsa_memory_ordered 1
		.amdhsa_forward_progress 1
		.amdhsa_inst_pref_size 0
		.amdhsa_round_robin_scheduling 0
		.amdhsa_exception_fp_ieee_invalid_op 0
		.amdhsa_exception_fp_denorm_src 0
		.amdhsa_exception_fp_ieee_div_zero 0
		.amdhsa_exception_fp_ieee_overflow 0
		.amdhsa_exception_fp_ieee_underflow 0
		.amdhsa_exception_fp_ieee_inexact 0
		.amdhsa_exception_int_div_zero 0
	.end_amdhsa_kernel
	.section	.text._ZN7rocprim17ROCPRIM_400000_NS6detail17trampoline_kernelINS0_13select_configILj256ELj13ELNS0_17block_load_methodE3ELS4_3ELS4_3ELNS0_20block_scan_algorithmE0ELj4294967295EEENS1_25partition_config_selectorILNS1_17partition_subalgoE4EjNS0_10empty_typeEbEEZZNS1_14partition_implILS8_4ELb0ES6_15HIP_vector_typeIjLj2EENS0_17counting_iteratorIjlEEPS9_SG_NS0_5tupleIJPjSI_NS0_16reverse_iteratorISI_EEEEENSH_IJSG_SG_SG_EEES9_SI_JZNS1_25segmented_radix_sort_implINS0_14default_configELb1EPK12hip_bfloat16PSP_PKlPlN2at6native12_GLOBAL__N_18offset_tEEE10hipError_tPvRmT1_PNSt15iterator_traitsIS13_E10value_typeET2_T3_PNS14_IS19_E10value_typeET4_jRbjT5_S1F_jjP12ihipStream_tbEUljE_ZNSN_ISO_Lb1ESR_SS_SU_SV_SZ_EES10_S11_S12_S13_S17_S18_S19_S1C_S1D_jS1E_jS1F_S1F_jjS1H_bEUljE0_EEES10_S11_S12_S19_S1D_S1F_T6_T7_T9_mT8_S1H_bDpT10_ENKUlT_T0_E_clISt17integral_constantIbLb0EES1U_IbLb1EEEEDaS1Q_S1R_EUlS1Q_E_NS1_11comp_targetILNS1_3genE2ELNS1_11target_archE906ELNS1_3gpuE6ELNS1_3repE0EEENS1_30default_config_static_selectorELNS0_4arch9wavefront6targetE0EEEvS13_,"axG",@progbits,_ZN7rocprim17ROCPRIM_400000_NS6detail17trampoline_kernelINS0_13select_configILj256ELj13ELNS0_17block_load_methodE3ELS4_3ELS4_3ELNS0_20block_scan_algorithmE0ELj4294967295EEENS1_25partition_config_selectorILNS1_17partition_subalgoE4EjNS0_10empty_typeEbEEZZNS1_14partition_implILS8_4ELb0ES6_15HIP_vector_typeIjLj2EENS0_17counting_iteratorIjlEEPS9_SG_NS0_5tupleIJPjSI_NS0_16reverse_iteratorISI_EEEEENSH_IJSG_SG_SG_EEES9_SI_JZNS1_25segmented_radix_sort_implINS0_14default_configELb1EPK12hip_bfloat16PSP_PKlPlN2at6native12_GLOBAL__N_18offset_tEEE10hipError_tPvRmT1_PNSt15iterator_traitsIS13_E10value_typeET2_T3_PNS14_IS19_E10value_typeET4_jRbjT5_S1F_jjP12ihipStream_tbEUljE_ZNSN_ISO_Lb1ESR_SS_SU_SV_SZ_EES10_S11_S12_S13_S17_S18_S19_S1C_S1D_jS1E_jS1F_S1F_jjS1H_bEUljE0_EEES10_S11_S12_S19_S1D_S1F_T6_T7_T9_mT8_S1H_bDpT10_ENKUlT_T0_E_clISt17integral_constantIbLb0EES1U_IbLb1EEEEDaS1Q_S1R_EUlS1Q_E_NS1_11comp_targetILNS1_3genE2ELNS1_11target_archE906ELNS1_3gpuE6ELNS1_3repE0EEENS1_30default_config_static_selectorELNS0_4arch9wavefront6targetE0EEEvS13_,comdat
.Lfunc_end1910:
	.size	_ZN7rocprim17ROCPRIM_400000_NS6detail17trampoline_kernelINS0_13select_configILj256ELj13ELNS0_17block_load_methodE3ELS4_3ELS4_3ELNS0_20block_scan_algorithmE0ELj4294967295EEENS1_25partition_config_selectorILNS1_17partition_subalgoE4EjNS0_10empty_typeEbEEZZNS1_14partition_implILS8_4ELb0ES6_15HIP_vector_typeIjLj2EENS0_17counting_iteratorIjlEEPS9_SG_NS0_5tupleIJPjSI_NS0_16reverse_iteratorISI_EEEEENSH_IJSG_SG_SG_EEES9_SI_JZNS1_25segmented_radix_sort_implINS0_14default_configELb1EPK12hip_bfloat16PSP_PKlPlN2at6native12_GLOBAL__N_18offset_tEEE10hipError_tPvRmT1_PNSt15iterator_traitsIS13_E10value_typeET2_T3_PNS14_IS19_E10value_typeET4_jRbjT5_S1F_jjP12ihipStream_tbEUljE_ZNSN_ISO_Lb1ESR_SS_SU_SV_SZ_EES10_S11_S12_S13_S17_S18_S19_S1C_S1D_jS1E_jS1F_S1F_jjS1H_bEUljE0_EEES10_S11_S12_S19_S1D_S1F_T6_T7_T9_mT8_S1H_bDpT10_ENKUlT_T0_E_clISt17integral_constantIbLb0EES1U_IbLb1EEEEDaS1Q_S1R_EUlS1Q_E_NS1_11comp_targetILNS1_3genE2ELNS1_11target_archE906ELNS1_3gpuE6ELNS1_3repE0EEENS1_30default_config_static_selectorELNS0_4arch9wavefront6targetE0EEEvS13_, .Lfunc_end1910-_ZN7rocprim17ROCPRIM_400000_NS6detail17trampoline_kernelINS0_13select_configILj256ELj13ELNS0_17block_load_methodE3ELS4_3ELS4_3ELNS0_20block_scan_algorithmE0ELj4294967295EEENS1_25partition_config_selectorILNS1_17partition_subalgoE4EjNS0_10empty_typeEbEEZZNS1_14partition_implILS8_4ELb0ES6_15HIP_vector_typeIjLj2EENS0_17counting_iteratorIjlEEPS9_SG_NS0_5tupleIJPjSI_NS0_16reverse_iteratorISI_EEEEENSH_IJSG_SG_SG_EEES9_SI_JZNS1_25segmented_radix_sort_implINS0_14default_configELb1EPK12hip_bfloat16PSP_PKlPlN2at6native12_GLOBAL__N_18offset_tEEE10hipError_tPvRmT1_PNSt15iterator_traitsIS13_E10value_typeET2_T3_PNS14_IS19_E10value_typeET4_jRbjT5_S1F_jjP12ihipStream_tbEUljE_ZNSN_ISO_Lb1ESR_SS_SU_SV_SZ_EES10_S11_S12_S13_S17_S18_S19_S1C_S1D_jS1E_jS1F_S1F_jjS1H_bEUljE0_EEES10_S11_S12_S19_S1D_S1F_T6_T7_T9_mT8_S1H_bDpT10_ENKUlT_T0_E_clISt17integral_constantIbLb0EES1U_IbLb1EEEEDaS1Q_S1R_EUlS1Q_E_NS1_11comp_targetILNS1_3genE2ELNS1_11target_archE906ELNS1_3gpuE6ELNS1_3repE0EEENS1_30default_config_static_selectorELNS0_4arch9wavefront6targetE0EEEvS13_
                                        ; -- End function
	.set _ZN7rocprim17ROCPRIM_400000_NS6detail17trampoline_kernelINS0_13select_configILj256ELj13ELNS0_17block_load_methodE3ELS4_3ELS4_3ELNS0_20block_scan_algorithmE0ELj4294967295EEENS1_25partition_config_selectorILNS1_17partition_subalgoE4EjNS0_10empty_typeEbEEZZNS1_14partition_implILS8_4ELb0ES6_15HIP_vector_typeIjLj2EENS0_17counting_iteratorIjlEEPS9_SG_NS0_5tupleIJPjSI_NS0_16reverse_iteratorISI_EEEEENSH_IJSG_SG_SG_EEES9_SI_JZNS1_25segmented_radix_sort_implINS0_14default_configELb1EPK12hip_bfloat16PSP_PKlPlN2at6native12_GLOBAL__N_18offset_tEEE10hipError_tPvRmT1_PNSt15iterator_traitsIS13_E10value_typeET2_T3_PNS14_IS19_E10value_typeET4_jRbjT5_S1F_jjP12ihipStream_tbEUljE_ZNSN_ISO_Lb1ESR_SS_SU_SV_SZ_EES10_S11_S12_S13_S17_S18_S19_S1C_S1D_jS1E_jS1F_S1F_jjS1H_bEUljE0_EEES10_S11_S12_S19_S1D_S1F_T6_T7_T9_mT8_S1H_bDpT10_ENKUlT_T0_E_clISt17integral_constantIbLb0EES1U_IbLb1EEEEDaS1Q_S1R_EUlS1Q_E_NS1_11comp_targetILNS1_3genE2ELNS1_11target_archE906ELNS1_3gpuE6ELNS1_3repE0EEENS1_30default_config_static_selectorELNS0_4arch9wavefront6targetE0EEEvS13_.num_vgpr, 0
	.set _ZN7rocprim17ROCPRIM_400000_NS6detail17trampoline_kernelINS0_13select_configILj256ELj13ELNS0_17block_load_methodE3ELS4_3ELS4_3ELNS0_20block_scan_algorithmE0ELj4294967295EEENS1_25partition_config_selectorILNS1_17partition_subalgoE4EjNS0_10empty_typeEbEEZZNS1_14partition_implILS8_4ELb0ES6_15HIP_vector_typeIjLj2EENS0_17counting_iteratorIjlEEPS9_SG_NS0_5tupleIJPjSI_NS0_16reverse_iteratorISI_EEEEENSH_IJSG_SG_SG_EEES9_SI_JZNS1_25segmented_radix_sort_implINS0_14default_configELb1EPK12hip_bfloat16PSP_PKlPlN2at6native12_GLOBAL__N_18offset_tEEE10hipError_tPvRmT1_PNSt15iterator_traitsIS13_E10value_typeET2_T3_PNS14_IS19_E10value_typeET4_jRbjT5_S1F_jjP12ihipStream_tbEUljE_ZNSN_ISO_Lb1ESR_SS_SU_SV_SZ_EES10_S11_S12_S13_S17_S18_S19_S1C_S1D_jS1E_jS1F_S1F_jjS1H_bEUljE0_EEES10_S11_S12_S19_S1D_S1F_T6_T7_T9_mT8_S1H_bDpT10_ENKUlT_T0_E_clISt17integral_constantIbLb0EES1U_IbLb1EEEEDaS1Q_S1R_EUlS1Q_E_NS1_11comp_targetILNS1_3genE2ELNS1_11target_archE906ELNS1_3gpuE6ELNS1_3repE0EEENS1_30default_config_static_selectorELNS0_4arch9wavefront6targetE0EEEvS13_.num_agpr, 0
	.set _ZN7rocprim17ROCPRIM_400000_NS6detail17trampoline_kernelINS0_13select_configILj256ELj13ELNS0_17block_load_methodE3ELS4_3ELS4_3ELNS0_20block_scan_algorithmE0ELj4294967295EEENS1_25partition_config_selectorILNS1_17partition_subalgoE4EjNS0_10empty_typeEbEEZZNS1_14partition_implILS8_4ELb0ES6_15HIP_vector_typeIjLj2EENS0_17counting_iteratorIjlEEPS9_SG_NS0_5tupleIJPjSI_NS0_16reverse_iteratorISI_EEEEENSH_IJSG_SG_SG_EEES9_SI_JZNS1_25segmented_radix_sort_implINS0_14default_configELb1EPK12hip_bfloat16PSP_PKlPlN2at6native12_GLOBAL__N_18offset_tEEE10hipError_tPvRmT1_PNSt15iterator_traitsIS13_E10value_typeET2_T3_PNS14_IS19_E10value_typeET4_jRbjT5_S1F_jjP12ihipStream_tbEUljE_ZNSN_ISO_Lb1ESR_SS_SU_SV_SZ_EES10_S11_S12_S13_S17_S18_S19_S1C_S1D_jS1E_jS1F_S1F_jjS1H_bEUljE0_EEES10_S11_S12_S19_S1D_S1F_T6_T7_T9_mT8_S1H_bDpT10_ENKUlT_T0_E_clISt17integral_constantIbLb0EES1U_IbLb1EEEEDaS1Q_S1R_EUlS1Q_E_NS1_11comp_targetILNS1_3genE2ELNS1_11target_archE906ELNS1_3gpuE6ELNS1_3repE0EEENS1_30default_config_static_selectorELNS0_4arch9wavefront6targetE0EEEvS13_.numbered_sgpr, 0
	.set _ZN7rocprim17ROCPRIM_400000_NS6detail17trampoline_kernelINS0_13select_configILj256ELj13ELNS0_17block_load_methodE3ELS4_3ELS4_3ELNS0_20block_scan_algorithmE0ELj4294967295EEENS1_25partition_config_selectorILNS1_17partition_subalgoE4EjNS0_10empty_typeEbEEZZNS1_14partition_implILS8_4ELb0ES6_15HIP_vector_typeIjLj2EENS0_17counting_iteratorIjlEEPS9_SG_NS0_5tupleIJPjSI_NS0_16reverse_iteratorISI_EEEEENSH_IJSG_SG_SG_EEES9_SI_JZNS1_25segmented_radix_sort_implINS0_14default_configELb1EPK12hip_bfloat16PSP_PKlPlN2at6native12_GLOBAL__N_18offset_tEEE10hipError_tPvRmT1_PNSt15iterator_traitsIS13_E10value_typeET2_T3_PNS14_IS19_E10value_typeET4_jRbjT5_S1F_jjP12ihipStream_tbEUljE_ZNSN_ISO_Lb1ESR_SS_SU_SV_SZ_EES10_S11_S12_S13_S17_S18_S19_S1C_S1D_jS1E_jS1F_S1F_jjS1H_bEUljE0_EEES10_S11_S12_S19_S1D_S1F_T6_T7_T9_mT8_S1H_bDpT10_ENKUlT_T0_E_clISt17integral_constantIbLb0EES1U_IbLb1EEEEDaS1Q_S1R_EUlS1Q_E_NS1_11comp_targetILNS1_3genE2ELNS1_11target_archE906ELNS1_3gpuE6ELNS1_3repE0EEENS1_30default_config_static_selectorELNS0_4arch9wavefront6targetE0EEEvS13_.num_named_barrier, 0
	.set _ZN7rocprim17ROCPRIM_400000_NS6detail17trampoline_kernelINS0_13select_configILj256ELj13ELNS0_17block_load_methodE3ELS4_3ELS4_3ELNS0_20block_scan_algorithmE0ELj4294967295EEENS1_25partition_config_selectorILNS1_17partition_subalgoE4EjNS0_10empty_typeEbEEZZNS1_14partition_implILS8_4ELb0ES6_15HIP_vector_typeIjLj2EENS0_17counting_iteratorIjlEEPS9_SG_NS0_5tupleIJPjSI_NS0_16reverse_iteratorISI_EEEEENSH_IJSG_SG_SG_EEES9_SI_JZNS1_25segmented_radix_sort_implINS0_14default_configELb1EPK12hip_bfloat16PSP_PKlPlN2at6native12_GLOBAL__N_18offset_tEEE10hipError_tPvRmT1_PNSt15iterator_traitsIS13_E10value_typeET2_T3_PNS14_IS19_E10value_typeET4_jRbjT5_S1F_jjP12ihipStream_tbEUljE_ZNSN_ISO_Lb1ESR_SS_SU_SV_SZ_EES10_S11_S12_S13_S17_S18_S19_S1C_S1D_jS1E_jS1F_S1F_jjS1H_bEUljE0_EEES10_S11_S12_S19_S1D_S1F_T6_T7_T9_mT8_S1H_bDpT10_ENKUlT_T0_E_clISt17integral_constantIbLb0EES1U_IbLb1EEEEDaS1Q_S1R_EUlS1Q_E_NS1_11comp_targetILNS1_3genE2ELNS1_11target_archE906ELNS1_3gpuE6ELNS1_3repE0EEENS1_30default_config_static_selectorELNS0_4arch9wavefront6targetE0EEEvS13_.private_seg_size, 0
	.set _ZN7rocprim17ROCPRIM_400000_NS6detail17trampoline_kernelINS0_13select_configILj256ELj13ELNS0_17block_load_methodE3ELS4_3ELS4_3ELNS0_20block_scan_algorithmE0ELj4294967295EEENS1_25partition_config_selectorILNS1_17partition_subalgoE4EjNS0_10empty_typeEbEEZZNS1_14partition_implILS8_4ELb0ES6_15HIP_vector_typeIjLj2EENS0_17counting_iteratorIjlEEPS9_SG_NS0_5tupleIJPjSI_NS0_16reverse_iteratorISI_EEEEENSH_IJSG_SG_SG_EEES9_SI_JZNS1_25segmented_radix_sort_implINS0_14default_configELb1EPK12hip_bfloat16PSP_PKlPlN2at6native12_GLOBAL__N_18offset_tEEE10hipError_tPvRmT1_PNSt15iterator_traitsIS13_E10value_typeET2_T3_PNS14_IS19_E10value_typeET4_jRbjT5_S1F_jjP12ihipStream_tbEUljE_ZNSN_ISO_Lb1ESR_SS_SU_SV_SZ_EES10_S11_S12_S13_S17_S18_S19_S1C_S1D_jS1E_jS1F_S1F_jjS1H_bEUljE0_EEES10_S11_S12_S19_S1D_S1F_T6_T7_T9_mT8_S1H_bDpT10_ENKUlT_T0_E_clISt17integral_constantIbLb0EES1U_IbLb1EEEEDaS1Q_S1R_EUlS1Q_E_NS1_11comp_targetILNS1_3genE2ELNS1_11target_archE906ELNS1_3gpuE6ELNS1_3repE0EEENS1_30default_config_static_selectorELNS0_4arch9wavefront6targetE0EEEvS13_.uses_vcc, 0
	.set _ZN7rocprim17ROCPRIM_400000_NS6detail17trampoline_kernelINS0_13select_configILj256ELj13ELNS0_17block_load_methodE3ELS4_3ELS4_3ELNS0_20block_scan_algorithmE0ELj4294967295EEENS1_25partition_config_selectorILNS1_17partition_subalgoE4EjNS0_10empty_typeEbEEZZNS1_14partition_implILS8_4ELb0ES6_15HIP_vector_typeIjLj2EENS0_17counting_iteratorIjlEEPS9_SG_NS0_5tupleIJPjSI_NS0_16reverse_iteratorISI_EEEEENSH_IJSG_SG_SG_EEES9_SI_JZNS1_25segmented_radix_sort_implINS0_14default_configELb1EPK12hip_bfloat16PSP_PKlPlN2at6native12_GLOBAL__N_18offset_tEEE10hipError_tPvRmT1_PNSt15iterator_traitsIS13_E10value_typeET2_T3_PNS14_IS19_E10value_typeET4_jRbjT5_S1F_jjP12ihipStream_tbEUljE_ZNSN_ISO_Lb1ESR_SS_SU_SV_SZ_EES10_S11_S12_S13_S17_S18_S19_S1C_S1D_jS1E_jS1F_S1F_jjS1H_bEUljE0_EEES10_S11_S12_S19_S1D_S1F_T6_T7_T9_mT8_S1H_bDpT10_ENKUlT_T0_E_clISt17integral_constantIbLb0EES1U_IbLb1EEEEDaS1Q_S1R_EUlS1Q_E_NS1_11comp_targetILNS1_3genE2ELNS1_11target_archE906ELNS1_3gpuE6ELNS1_3repE0EEENS1_30default_config_static_selectorELNS0_4arch9wavefront6targetE0EEEvS13_.uses_flat_scratch, 0
	.set _ZN7rocprim17ROCPRIM_400000_NS6detail17trampoline_kernelINS0_13select_configILj256ELj13ELNS0_17block_load_methodE3ELS4_3ELS4_3ELNS0_20block_scan_algorithmE0ELj4294967295EEENS1_25partition_config_selectorILNS1_17partition_subalgoE4EjNS0_10empty_typeEbEEZZNS1_14partition_implILS8_4ELb0ES6_15HIP_vector_typeIjLj2EENS0_17counting_iteratorIjlEEPS9_SG_NS0_5tupleIJPjSI_NS0_16reverse_iteratorISI_EEEEENSH_IJSG_SG_SG_EEES9_SI_JZNS1_25segmented_radix_sort_implINS0_14default_configELb1EPK12hip_bfloat16PSP_PKlPlN2at6native12_GLOBAL__N_18offset_tEEE10hipError_tPvRmT1_PNSt15iterator_traitsIS13_E10value_typeET2_T3_PNS14_IS19_E10value_typeET4_jRbjT5_S1F_jjP12ihipStream_tbEUljE_ZNSN_ISO_Lb1ESR_SS_SU_SV_SZ_EES10_S11_S12_S13_S17_S18_S19_S1C_S1D_jS1E_jS1F_S1F_jjS1H_bEUljE0_EEES10_S11_S12_S19_S1D_S1F_T6_T7_T9_mT8_S1H_bDpT10_ENKUlT_T0_E_clISt17integral_constantIbLb0EES1U_IbLb1EEEEDaS1Q_S1R_EUlS1Q_E_NS1_11comp_targetILNS1_3genE2ELNS1_11target_archE906ELNS1_3gpuE6ELNS1_3repE0EEENS1_30default_config_static_selectorELNS0_4arch9wavefront6targetE0EEEvS13_.has_dyn_sized_stack, 0
	.set _ZN7rocprim17ROCPRIM_400000_NS6detail17trampoline_kernelINS0_13select_configILj256ELj13ELNS0_17block_load_methodE3ELS4_3ELS4_3ELNS0_20block_scan_algorithmE0ELj4294967295EEENS1_25partition_config_selectorILNS1_17partition_subalgoE4EjNS0_10empty_typeEbEEZZNS1_14partition_implILS8_4ELb0ES6_15HIP_vector_typeIjLj2EENS0_17counting_iteratorIjlEEPS9_SG_NS0_5tupleIJPjSI_NS0_16reverse_iteratorISI_EEEEENSH_IJSG_SG_SG_EEES9_SI_JZNS1_25segmented_radix_sort_implINS0_14default_configELb1EPK12hip_bfloat16PSP_PKlPlN2at6native12_GLOBAL__N_18offset_tEEE10hipError_tPvRmT1_PNSt15iterator_traitsIS13_E10value_typeET2_T3_PNS14_IS19_E10value_typeET4_jRbjT5_S1F_jjP12ihipStream_tbEUljE_ZNSN_ISO_Lb1ESR_SS_SU_SV_SZ_EES10_S11_S12_S13_S17_S18_S19_S1C_S1D_jS1E_jS1F_S1F_jjS1H_bEUljE0_EEES10_S11_S12_S19_S1D_S1F_T6_T7_T9_mT8_S1H_bDpT10_ENKUlT_T0_E_clISt17integral_constantIbLb0EES1U_IbLb1EEEEDaS1Q_S1R_EUlS1Q_E_NS1_11comp_targetILNS1_3genE2ELNS1_11target_archE906ELNS1_3gpuE6ELNS1_3repE0EEENS1_30default_config_static_selectorELNS0_4arch9wavefront6targetE0EEEvS13_.has_recursion, 0
	.set _ZN7rocprim17ROCPRIM_400000_NS6detail17trampoline_kernelINS0_13select_configILj256ELj13ELNS0_17block_load_methodE3ELS4_3ELS4_3ELNS0_20block_scan_algorithmE0ELj4294967295EEENS1_25partition_config_selectorILNS1_17partition_subalgoE4EjNS0_10empty_typeEbEEZZNS1_14partition_implILS8_4ELb0ES6_15HIP_vector_typeIjLj2EENS0_17counting_iteratorIjlEEPS9_SG_NS0_5tupleIJPjSI_NS0_16reverse_iteratorISI_EEEEENSH_IJSG_SG_SG_EEES9_SI_JZNS1_25segmented_radix_sort_implINS0_14default_configELb1EPK12hip_bfloat16PSP_PKlPlN2at6native12_GLOBAL__N_18offset_tEEE10hipError_tPvRmT1_PNSt15iterator_traitsIS13_E10value_typeET2_T3_PNS14_IS19_E10value_typeET4_jRbjT5_S1F_jjP12ihipStream_tbEUljE_ZNSN_ISO_Lb1ESR_SS_SU_SV_SZ_EES10_S11_S12_S13_S17_S18_S19_S1C_S1D_jS1E_jS1F_S1F_jjS1H_bEUljE0_EEES10_S11_S12_S19_S1D_S1F_T6_T7_T9_mT8_S1H_bDpT10_ENKUlT_T0_E_clISt17integral_constantIbLb0EES1U_IbLb1EEEEDaS1Q_S1R_EUlS1Q_E_NS1_11comp_targetILNS1_3genE2ELNS1_11target_archE906ELNS1_3gpuE6ELNS1_3repE0EEENS1_30default_config_static_selectorELNS0_4arch9wavefront6targetE0EEEvS13_.has_indirect_call, 0
	.section	.AMDGPU.csdata,"",@progbits
; Kernel info:
; codeLenInByte = 0
; TotalNumSgprs: 0
; NumVgprs: 0
; ScratchSize: 0
; MemoryBound: 0
; FloatMode: 240
; IeeeMode: 1
; LDSByteSize: 0 bytes/workgroup (compile time only)
; SGPRBlocks: 0
; VGPRBlocks: 0
; NumSGPRsForWavesPerEU: 1
; NumVGPRsForWavesPerEU: 1
; Occupancy: 16
; WaveLimiterHint : 0
; COMPUTE_PGM_RSRC2:SCRATCH_EN: 0
; COMPUTE_PGM_RSRC2:USER_SGPR: 2
; COMPUTE_PGM_RSRC2:TRAP_HANDLER: 0
; COMPUTE_PGM_RSRC2:TGID_X_EN: 1
; COMPUTE_PGM_RSRC2:TGID_Y_EN: 0
; COMPUTE_PGM_RSRC2:TGID_Z_EN: 0
; COMPUTE_PGM_RSRC2:TIDIG_COMP_CNT: 0
	.section	.text._ZN7rocprim17ROCPRIM_400000_NS6detail17trampoline_kernelINS0_13select_configILj256ELj13ELNS0_17block_load_methodE3ELS4_3ELS4_3ELNS0_20block_scan_algorithmE0ELj4294967295EEENS1_25partition_config_selectorILNS1_17partition_subalgoE4EjNS0_10empty_typeEbEEZZNS1_14partition_implILS8_4ELb0ES6_15HIP_vector_typeIjLj2EENS0_17counting_iteratorIjlEEPS9_SG_NS0_5tupleIJPjSI_NS0_16reverse_iteratorISI_EEEEENSH_IJSG_SG_SG_EEES9_SI_JZNS1_25segmented_radix_sort_implINS0_14default_configELb1EPK12hip_bfloat16PSP_PKlPlN2at6native12_GLOBAL__N_18offset_tEEE10hipError_tPvRmT1_PNSt15iterator_traitsIS13_E10value_typeET2_T3_PNS14_IS19_E10value_typeET4_jRbjT5_S1F_jjP12ihipStream_tbEUljE_ZNSN_ISO_Lb1ESR_SS_SU_SV_SZ_EES10_S11_S12_S13_S17_S18_S19_S1C_S1D_jS1E_jS1F_S1F_jjS1H_bEUljE0_EEES10_S11_S12_S19_S1D_S1F_T6_T7_T9_mT8_S1H_bDpT10_ENKUlT_T0_E_clISt17integral_constantIbLb0EES1U_IbLb1EEEEDaS1Q_S1R_EUlS1Q_E_NS1_11comp_targetILNS1_3genE10ELNS1_11target_archE1200ELNS1_3gpuE4ELNS1_3repE0EEENS1_30default_config_static_selectorELNS0_4arch9wavefront6targetE0EEEvS13_,"axG",@progbits,_ZN7rocprim17ROCPRIM_400000_NS6detail17trampoline_kernelINS0_13select_configILj256ELj13ELNS0_17block_load_methodE3ELS4_3ELS4_3ELNS0_20block_scan_algorithmE0ELj4294967295EEENS1_25partition_config_selectorILNS1_17partition_subalgoE4EjNS0_10empty_typeEbEEZZNS1_14partition_implILS8_4ELb0ES6_15HIP_vector_typeIjLj2EENS0_17counting_iteratorIjlEEPS9_SG_NS0_5tupleIJPjSI_NS0_16reverse_iteratorISI_EEEEENSH_IJSG_SG_SG_EEES9_SI_JZNS1_25segmented_radix_sort_implINS0_14default_configELb1EPK12hip_bfloat16PSP_PKlPlN2at6native12_GLOBAL__N_18offset_tEEE10hipError_tPvRmT1_PNSt15iterator_traitsIS13_E10value_typeET2_T3_PNS14_IS19_E10value_typeET4_jRbjT5_S1F_jjP12ihipStream_tbEUljE_ZNSN_ISO_Lb1ESR_SS_SU_SV_SZ_EES10_S11_S12_S13_S17_S18_S19_S1C_S1D_jS1E_jS1F_S1F_jjS1H_bEUljE0_EEES10_S11_S12_S19_S1D_S1F_T6_T7_T9_mT8_S1H_bDpT10_ENKUlT_T0_E_clISt17integral_constantIbLb0EES1U_IbLb1EEEEDaS1Q_S1R_EUlS1Q_E_NS1_11comp_targetILNS1_3genE10ELNS1_11target_archE1200ELNS1_3gpuE4ELNS1_3repE0EEENS1_30default_config_static_selectorELNS0_4arch9wavefront6targetE0EEEvS13_,comdat
	.globl	_ZN7rocprim17ROCPRIM_400000_NS6detail17trampoline_kernelINS0_13select_configILj256ELj13ELNS0_17block_load_methodE3ELS4_3ELS4_3ELNS0_20block_scan_algorithmE0ELj4294967295EEENS1_25partition_config_selectorILNS1_17partition_subalgoE4EjNS0_10empty_typeEbEEZZNS1_14partition_implILS8_4ELb0ES6_15HIP_vector_typeIjLj2EENS0_17counting_iteratorIjlEEPS9_SG_NS0_5tupleIJPjSI_NS0_16reverse_iteratorISI_EEEEENSH_IJSG_SG_SG_EEES9_SI_JZNS1_25segmented_radix_sort_implINS0_14default_configELb1EPK12hip_bfloat16PSP_PKlPlN2at6native12_GLOBAL__N_18offset_tEEE10hipError_tPvRmT1_PNSt15iterator_traitsIS13_E10value_typeET2_T3_PNS14_IS19_E10value_typeET4_jRbjT5_S1F_jjP12ihipStream_tbEUljE_ZNSN_ISO_Lb1ESR_SS_SU_SV_SZ_EES10_S11_S12_S13_S17_S18_S19_S1C_S1D_jS1E_jS1F_S1F_jjS1H_bEUljE0_EEES10_S11_S12_S19_S1D_S1F_T6_T7_T9_mT8_S1H_bDpT10_ENKUlT_T0_E_clISt17integral_constantIbLb0EES1U_IbLb1EEEEDaS1Q_S1R_EUlS1Q_E_NS1_11comp_targetILNS1_3genE10ELNS1_11target_archE1200ELNS1_3gpuE4ELNS1_3repE0EEENS1_30default_config_static_selectorELNS0_4arch9wavefront6targetE0EEEvS13_ ; -- Begin function _ZN7rocprim17ROCPRIM_400000_NS6detail17trampoline_kernelINS0_13select_configILj256ELj13ELNS0_17block_load_methodE3ELS4_3ELS4_3ELNS0_20block_scan_algorithmE0ELj4294967295EEENS1_25partition_config_selectorILNS1_17partition_subalgoE4EjNS0_10empty_typeEbEEZZNS1_14partition_implILS8_4ELb0ES6_15HIP_vector_typeIjLj2EENS0_17counting_iteratorIjlEEPS9_SG_NS0_5tupleIJPjSI_NS0_16reverse_iteratorISI_EEEEENSH_IJSG_SG_SG_EEES9_SI_JZNS1_25segmented_radix_sort_implINS0_14default_configELb1EPK12hip_bfloat16PSP_PKlPlN2at6native12_GLOBAL__N_18offset_tEEE10hipError_tPvRmT1_PNSt15iterator_traitsIS13_E10value_typeET2_T3_PNS14_IS19_E10value_typeET4_jRbjT5_S1F_jjP12ihipStream_tbEUljE_ZNSN_ISO_Lb1ESR_SS_SU_SV_SZ_EES10_S11_S12_S13_S17_S18_S19_S1C_S1D_jS1E_jS1F_S1F_jjS1H_bEUljE0_EEES10_S11_S12_S19_S1D_S1F_T6_T7_T9_mT8_S1H_bDpT10_ENKUlT_T0_E_clISt17integral_constantIbLb0EES1U_IbLb1EEEEDaS1Q_S1R_EUlS1Q_E_NS1_11comp_targetILNS1_3genE10ELNS1_11target_archE1200ELNS1_3gpuE4ELNS1_3repE0EEENS1_30default_config_static_selectorELNS0_4arch9wavefront6targetE0EEEvS13_
	.p2align	8
	.type	_ZN7rocprim17ROCPRIM_400000_NS6detail17trampoline_kernelINS0_13select_configILj256ELj13ELNS0_17block_load_methodE3ELS4_3ELS4_3ELNS0_20block_scan_algorithmE0ELj4294967295EEENS1_25partition_config_selectorILNS1_17partition_subalgoE4EjNS0_10empty_typeEbEEZZNS1_14partition_implILS8_4ELb0ES6_15HIP_vector_typeIjLj2EENS0_17counting_iteratorIjlEEPS9_SG_NS0_5tupleIJPjSI_NS0_16reverse_iteratorISI_EEEEENSH_IJSG_SG_SG_EEES9_SI_JZNS1_25segmented_radix_sort_implINS0_14default_configELb1EPK12hip_bfloat16PSP_PKlPlN2at6native12_GLOBAL__N_18offset_tEEE10hipError_tPvRmT1_PNSt15iterator_traitsIS13_E10value_typeET2_T3_PNS14_IS19_E10value_typeET4_jRbjT5_S1F_jjP12ihipStream_tbEUljE_ZNSN_ISO_Lb1ESR_SS_SU_SV_SZ_EES10_S11_S12_S13_S17_S18_S19_S1C_S1D_jS1E_jS1F_S1F_jjS1H_bEUljE0_EEES10_S11_S12_S19_S1D_S1F_T6_T7_T9_mT8_S1H_bDpT10_ENKUlT_T0_E_clISt17integral_constantIbLb0EES1U_IbLb1EEEEDaS1Q_S1R_EUlS1Q_E_NS1_11comp_targetILNS1_3genE10ELNS1_11target_archE1200ELNS1_3gpuE4ELNS1_3repE0EEENS1_30default_config_static_selectorELNS0_4arch9wavefront6targetE0EEEvS13_,@function
_ZN7rocprim17ROCPRIM_400000_NS6detail17trampoline_kernelINS0_13select_configILj256ELj13ELNS0_17block_load_methodE3ELS4_3ELS4_3ELNS0_20block_scan_algorithmE0ELj4294967295EEENS1_25partition_config_selectorILNS1_17partition_subalgoE4EjNS0_10empty_typeEbEEZZNS1_14partition_implILS8_4ELb0ES6_15HIP_vector_typeIjLj2EENS0_17counting_iteratorIjlEEPS9_SG_NS0_5tupleIJPjSI_NS0_16reverse_iteratorISI_EEEEENSH_IJSG_SG_SG_EEES9_SI_JZNS1_25segmented_radix_sort_implINS0_14default_configELb1EPK12hip_bfloat16PSP_PKlPlN2at6native12_GLOBAL__N_18offset_tEEE10hipError_tPvRmT1_PNSt15iterator_traitsIS13_E10value_typeET2_T3_PNS14_IS19_E10value_typeET4_jRbjT5_S1F_jjP12ihipStream_tbEUljE_ZNSN_ISO_Lb1ESR_SS_SU_SV_SZ_EES10_S11_S12_S13_S17_S18_S19_S1C_S1D_jS1E_jS1F_S1F_jjS1H_bEUljE0_EEES10_S11_S12_S19_S1D_S1F_T6_T7_T9_mT8_S1H_bDpT10_ENKUlT_T0_E_clISt17integral_constantIbLb0EES1U_IbLb1EEEEDaS1Q_S1R_EUlS1Q_E_NS1_11comp_targetILNS1_3genE10ELNS1_11target_archE1200ELNS1_3gpuE4ELNS1_3repE0EEENS1_30default_config_static_selectorELNS0_4arch9wavefront6targetE0EEEvS13_: ; @_ZN7rocprim17ROCPRIM_400000_NS6detail17trampoline_kernelINS0_13select_configILj256ELj13ELNS0_17block_load_methodE3ELS4_3ELS4_3ELNS0_20block_scan_algorithmE0ELj4294967295EEENS1_25partition_config_selectorILNS1_17partition_subalgoE4EjNS0_10empty_typeEbEEZZNS1_14partition_implILS8_4ELb0ES6_15HIP_vector_typeIjLj2EENS0_17counting_iteratorIjlEEPS9_SG_NS0_5tupleIJPjSI_NS0_16reverse_iteratorISI_EEEEENSH_IJSG_SG_SG_EEES9_SI_JZNS1_25segmented_radix_sort_implINS0_14default_configELb1EPK12hip_bfloat16PSP_PKlPlN2at6native12_GLOBAL__N_18offset_tEEE10hipError_tPvRmT1_PNSt15iterator_traitsIS13_E10value_typeET2_T3_PNS14_IS19_E10value_typeET4_jRbjT5_S1F_jjP12ihipStream_tbEUljE_ZNSN_ISO_Lb1ESR_SS_SU_SV_SZ_EES10_S11_S12_S13_S17_S18_S19_S1C_S1D_jS1E_jS1F_S1F_jjS1H_bEUljE0_EEES10_S11_S12_S19_S1D_S1F_T6_T7_T9_mT8_S1H_bDpT10_ENKUlT_T0_E_clISt17integral_constantIbLb0EES1U_IbLb1EEEEDaS1Q_S1R_EUlS1Q_E_NS1_11comp_targetILNS1_3genE10ELNS1_11target_archE1200ELNS1_3gpuE4ELNS1_3repE0EEENS1_30default_config_static_selectorELNS0_4arch9wavefront6targetE0EEEvS13_
; %bb.0:
	s_clause 0x7
	s_load_b64 s[34:35], s[0:1], 0x10
	s_load_b128 s[28:31], s[0:1], 0x28
	s_load_b64 s[14:15], s[0:1], 0x38
	s_load_b128 s[24:27], s[0:1], 0x58
	s_load_b64 s[4:5], s[0:1], 0x68
	s_load_b64 s[36:37], s[0:1], 0x78
	;; [unrolled: 1-line block ×3, first 2 shown]
	s_load_b256 s[16:23], s[0:1], 0x90
	v_cmp_eq_u32_e64 s2, 0, v0
	s_and_saveexec_b32 s3, s2
	s_cbranch_execz .LBB1911_4
; %bb.1:
	s_mov_b32 s7, exec_lo
	s_mov_b32 s6, exec_lo
	v_mbcnt_lo_u32_b32 v1, s7, 0
                                        ; implicit-def: $vgpr2
	s_delay_alu instid0(VALU_DEP_1)
	v_cmpx_eq_u32_e32 0, v1
	s_cbranch_execz .LBB1911_3
; %bb.2:
	s_load_b64 s[8:9], s[0:1], 0x88
	s_bcnt1_i32_b32 s7, s7
	s_wait_alu 0xfffe
	v_dual_mov_b32 v2, 0 :: v_dual_mov_b32 v3, s7
	s_wait_kmcnt 0x0
	global_atomic_add_u32 v2, v2, v3, s[8:9] th:TH_ATOMIC_RETURN scope:SCOPE_DEV
.LBB1911_3:
	s_or_b32 exec_lo, exec_lo, s6
	s_wait_loadcnt 0x0
	v_readfirstlane_b32 s6, v2
	s_wait_alu 0xf1ff
	s_delay_alu instid0(VALU_DEP_1)
	v_dual_mov_b32 v2, 0 :: v_dual_add_nc_u32 v1, s6, v1
	ds_store_b32 v2, v1
.LBB1911_4:
	s_or_b32 exec_lo, exec_lo, s3
	v_mov_b32_e32 v1, 0
	s_clause 0x1
	s_load_b32 s3, s[0:1], 0x8
	s_load_b32 s0, s[0:1], 0x80
	s_wait_dscnt 0x0
	s_barrier_signal -1
	s_barrier_wait -1
	global_inv scope:SCOPE_SE
	ds_load_b32 v5, v1
	s_wait_loadcnt_dscnt 0x0
	s_barrier_signal -1
	s_barrier_wait -1
	global_inv scope:SCOPE_SE
	s_wait_kmcnt 0x0
	global_load_b128 v[1:4], v1, s[26:27]
	s_mov_b32 s1, 0
	s_add_co_i32 s3, s3, s34
	s_add_co_i32 s6, s0, -1
	s_mulk_i32 s0, 0xd00
	s_delay_alu instid0(SALU_CYCLE_1)
	s_add_co_i32 s7, s0, s34
	s_add_nc_u64 s[0:1], s[34:35], s[0:1]
	v_readfirstlane_b32 s33, v5
	v_cmp_gt_u64_e64 s0, s[4:5], s[0:1]
	s_wait_alu 0xfffe
	s_sub_co_i32 s27, s4, s7
	v_cmp_ne_u32_e32 vcc_lo, s6, v5
	v_mul_lo_u32 v43, 0xd00, v5
	s_addk_co_i32 s27, 0xd00
	s_cmp_eq_u32 s33, s6
	s_mov_b32 s4, -1
	s_cselect_b32 s26, -1, 0
	s_or_b32 s1, s0, vcc_lo
	s_wait_alu 0xfffe
	s_and_b32 vcc_lo, exec_lo, s1
	s_cbranch_vccz .LBB1911_6
; %bb.5:
	v_add3_u32 v5, v43, s3, v0
	v_lshlrev_b32_e32 v14, 2, v0
	s_mov_b32 s4, 0
	s_delay_alu instid0(VALU_DEP_2)
	v_add_nc_u32_e32 v6, 0x100, v5
	v_add_nc_u32_e32 v7, 0x200, v5
	;; [unrolled: 1-line block ×12, first 2 shown]
	ds_store_2addr_stride64_b32 v14, v5, v6 offset1:4
	ds_store_2addr_stride64_b32 v14, v7, v8 offset0:8 offset1:12
	ds_store_2addr_stride64_b32 v14, v9, v10 offset0:16 offset1:20
	;; [unrolled: 1-line block ×5, first 2 shown]
	ds_store_b32 v14, v18 offset:12288
	s_wait_loadcnt_dscnt 0x0
	s_barrier_signal -1
	s_barrier_wait -1
.LBB1911_6:
	v_cmp_gt_u32_e64 s0, s27, v0
	v_or_b32_e32 v42, 0x100, v0
	v_or_b32_e32 v41, 0x200, v0
	;; [unrolled: 1-line block ×12, first 2 shown]
	s_wait_alu 0xfffe
	s_and_not1_b32 vcc_lo, exec_lo, s4
	s_cbranch_vccnz .LBB1911_8
; %bb.7:
	v_add_nc_u32_e32 v5, s3, v43
	v_cmp_gt_u32_e32 vcc_lo, s27, v42
	s_delay_alu instid0(VALU_DEP_2) | instskip(NEXT) | instid1(VALU_DEP_1)
	v_add_nc_u32_e32 v7, v5, v42
	v_dual_cndmask_b32 v7, 0, v7 :: v_dual_add_nc_u32 v8, v5, v41
	v_cmp_gt_u32_e32 vcc_lo, s27, v41
	s_wait_alu 0xfffd
	s_delay_alu instid0(VALU_DEP_2)
	v_cndmask_b32_e32 v8, 0, v8, vcc_lo
	v_cmp_gt_u32_e32 vcc_lo, s27, v40
	v_add_nc_u32_e32 v17, v5, v32
	v_add_nc_u32_e32 v14, v5, v35
	;; [unrolled: 1-line block ×9, first 2 shown]
	s_wait_alu 0xfffd
	v_cndmask_b32_e32 v9, 0, v9, vcc_lo
	v_cmp_gt_u32_e32 vcc_lo, s27, v39
	v_cndmask_b32_e64 v6, 0, v6, s0
	s_wait_alu 0xfffd
	v_cndmask_b32_e32 v10, 0, v10, vcc_lo
	v_cmp_gt_u32_e32 vcc_lo, s27, v38
	v_add_nc_u32_e32 v12, v5, v37
	v_add_nc_u32_e32 v5, v5, v31
	s_wait_alu 0xfffd
	v_cndmask_b32_e32 v11, 0, v11, vcc_lo
	v_cmp_gt_u32_e32 vcc_lo, s27, v37
	s_wait_alu 0xfffd
	v_cndmask_b32_e32 v12, 0, v12, vcc_lo
	v_cmp_gt_u32_e32 vcc_lo, s27, v36
	;; [unrolled: 3-line block ×7, first 2 shown]
	s_wait_alu 0xfffd
	v_dual_cndmask_b32 v5, 0, v5 :: v_dual_lshlrev_b32 v18, 2, v0
	ds_store_2addr_stride64_b32 v18, v6, v7 offset1:4
	ds_store_2addr_stride64_b32 v18, v8, v9 offset0:8 offset1:12
	ds_store_2addr_stride64_b32 v18, v10, v11 offset0:16 offset1:20
	;; [unrolled: 1-line block ×5, first 2 shown]
	ds_store_b32 v18, v5 offset:12288
	s_wait_loadcnt_dscnt 0x0
	s_barrier_signal -1
	s_barrier_wait -1
.LBB1911_8:
	v_mul_u32_u24_e32 v46, 13, v0
	s_wait_loadcnt 0x0
	global_inv scope:SCOPE_SE
	v_cndmask_b32_e64 v44, 0, 1, s1
	s_and_not1_b32 vcc_lo, exec_lo, s1
	v_lshlrev_b32_e32 v5, 2, v46
	ds_load_2addr_b32 v[23:24], v5 offset1:1
	ds_load_2addr_b32 v[21:22], v5 offset0:2 offset1:3
	ds_load_2addr_b32 v[19:20], v5 offset0:4 offset1:5
	;; [unrolled: 1-line block ×5, first 2 shown]
	ds_load_b32 v45, v5 offset:48
	s_wait_loadcnt_dscnt 0x0
	s_barrier_signal -1
	s_barrier_wait -1
	global_inv scope:SCOPE_SE
	s_wait_alu 0xfffe
	s_cbranch_vccnz .LBB1911_36
; %bb.9:
	v_add_nc_u32_e32 v5, s17, v23
	v_add_nc_u32_e32 v6, s19, v23
	s_mov_b32 s41, 0
	s_mov_b32 s40, 0
	s_mov_b32 s1, exec_lo
	v_mul_lo_u32 v5, v5, s16
	v_mul_lo_u32 v6, v6, s18
	s_delay_alu instid0(VALU_DEP_1) | instskip(NEXT) | instid1(VALU_DEP_1)
	v_sub_nc_u32_e32 v5, v5, v6
	v_cmp_lt_u32_e32 vcc_lo, s20, v5
	v_cmpx_ge_u32_e64 s20, v5
	s_cbranch_execz .LBB1911_11
; %bb.10:
	v_add_nc_u32_e32 v5, s22, v23
	v_add_nc_u32_e32 v6, s38, v23
	s_delay_alu instid0(VALU_DEP_2) | instskip(NEXT) | instid1(VALU_DEP_2)
	v_mul_lo_u32 v5, v5, s21
	v_mul_lo_u32 v6, v6, s23
	s_delay_alu instid0(VALU_DEP_1) | instskip(NEXT) | instid1(VALU_DEP_1)
	v_sub_nc_u32_e32 v5, v5, v6
	v_cmp_lt_u32_e64 s0, s39, v5
	s_and_b32 s40, s0, exec_lo
.LBB1911_11:
	s_wait_alu 0xfffe
	s_or_b32 exec_lo, exec_lo, s1
	v_add_nc_u32_e32 v5, s17, v24
	v_add_nc_u32_e32 v6, s19, v24
	s_mov_b32 s3, exec_lo
	s_delay_alu instid0(VALU_DEP_2) | instskip(NEXT) | instid1(VALU_DEP_2)
	v_mul_lo_u32 v5, v5, s16
	v_mul_lo_u32 v6, v6, s18
	s_delay_alu instid0(VALU_DEP_1) | instskip(NEXT) | instid1(VALU_DEP_1)
	v_sub_nc_u32_e32 v5, v5, v6
	v_cmp_lt_u32_e64 s0, s20, v5
	v_cmpx_ge_u32_e64 s20, v5
	s_cbranch_execz .LBB1911_13
; %bb.12:
	v_add_nc_u32_e32 v5, s22, v24
	v_add_nc_u32_e32 v6, s38, v24
	s_delay_alu instid0(VALU_DEP_2) | instskip(NEXT) | instid1(VALU_DEP_2)
	v_mul_lo_u32 v5, v5, s21
	v_mul_lo_u32 v6, v6, s23
	s_delay_alu instid0(VALU_DEP_1) | instskip(NEXT) | instid1(VALU_DEP_1)
	v_sub_nc_u32_e32 v5, v5, v6
	v_cmp_lt_u32_e64 s1, s39, v5
	s_and_b32 s41, s1, exec_lo
.LBB1911_13:
	s_wait_alu 0xfffe
	s_or_b32 exec_lo, exec_lo, s3
	v_add_nc_u32_e32 v5, s17, v21
	v_add_nc_u32_e32 v6, s19, v21
	s_mov_b32 s43, 0
	s_mov_b32 s42, 0
	s_mov_b32 s4, exec_lo
	v_mul_lo_u32 v5, v5, s16
	v_mul_lo_u32 v6, v6, s18
	s_delay_alu instid0(VALU_DEP_1) | instskip(NEXT) | instid1(VALU_DEP_1)
	v_sub_nc_u32_e32 v5, v5, v6
	v_cmp_lt_u32_e64 s1, s20, v5
	v_cmpx_ge_u32_e64 s20, v5
	s_cbranch_execz .LBB1911_15
; %bb.14:
	v_add_nc_u32_e32 v5, s22, v21
	v_add_nc_u32_e32 v6, s38, v21
	s_delay_alu instid0(VALU_DEP_2) | instskip(NEXT) | instid1(VALU_DEP_2)
	v_mul_lo_u32 v5, v5, s21
	v_mul_lo_u32 v6, v6, s23
	s_delay_alu instid0(VALU_DEP_1) | instskip(NEXT) | instid1(VALU_DEP_1)
	v_sub_nc_u32_e32 v5, v5, v6
	v_cmp_lt_u32_e64 s3, s39, v5
	s_and_b32 s42, s3, exec_lo
.LBB1911_15:
	s_wait_alu 0xfffe
	s_or_b32 exec_lo, exec_lo, s4
	v_add_nc_u32_e32 v5, s17, v22
	v_add_nc_u32_e32 v6, s19, v22
	s_mov_b32 s5, exec_lo
	s_delay_alu instid0(VALU_DEP_2) | instskip(NEXT) | instid1(VALU_DEP_2)
	v_mul_lo_u32 v5, v5, s16
	v_mul_lo_u32 v6, v6, s18
	s_delay_alu instid0(VALU_DEP_1) | instskip(NEXT) | instid1(VALU_DEP_1)
	v_sub_nc_u32_e32 v5, v5, v6
	v_cmp_lt_u32_e64 s3, s20, v5
	v_cmpx_ge_u32_e64 s20, v5
	s_cbranch_execz .LBB1911_17
; %bb.16:
	v_add_nc_u32_e32 v5, s22, v22
	v_add_nc_u32_e32 v6, s38, v22
	s_delay_alu instid0(VALU_DEP_2) | instskip(NEXT) | instid1(VALU_DEP_2)
	v_mul_lo_u32 v5, v5, s21
	v_mul_lo_u32 v6, v6, s23
	s_delay_alu instid0(VALU_DEP_1) | instskip(NEXT) | instid1(VALU_DEP_1)
	v_sub_nc_u32_e32 v5, v5, v6
	v_cmp_lt_u32_e64 s4, s39, v5
	s_and_b32 s43, s4, exec_lo
.LBB1911_17:
	s_wait_alu 0xfffe
	s_or_b32 exec_lo, exec_lo, s5
	v_add_nc_u32_e32 v5, s17, v19
	v_add_nc_u32_e32 v6, s19, v19
	s_mov_b32 s45, 0
	s_mov_b32 s44, 0
	s_mov_b32 s6, exec_lo
	v_mul_lo_u32 v5, v5, s16
	v_mul_lo_u32 v6, v6, s18
	s_delay_alu instid0(VALU_DEP_1) | instskip(NEXT) | instid1(VALU_DEP_1)
	v_sub_nc_u32_e32 v5, v5, v6
	v_cmp_lt_u32_e64 s4, s20, v5
	;; [unrolled: 49-line block ×3, first 2 shown]
	v_cmpx_ge_u32_e64 s20, v5
	s_cbranch_execz .LBB1911_23
; %bb.22:
	v_add_nc_u32_e32 v5, s22, v17
	v_add_nc_u32_e32 v6, s38, v17
	s_delay_alu instid0(VALU_DEP_2) | instskip(NEXT) | instid1(VALU_DEP_2)
	v_mul_lo_u32 v5, v5, s21
	v_mul_lo_u32 v6, v6, s23
	s_delay_alu instid0(VALU_DEP_1) | instskip(NEXT) | instid1(VALU_DEP_1)
	v_sub_nc_u32_e32 v5, v5, v6
	v_cmp_lt_u32_e64 s7, s39, v5
	s_and_b32 s46, s7, exec_lo
.LBB1911_23:
	s_or_b32 exec_lo, exec_lo, s8
	v_add_nc_u32_e32 v5, s17, v18
	v_add_nc_u32_e32 v6, s19, v18
	s_mov_b32 s9, exec_lo
	s_delay_alu instid0(VALU_DEP_2) | instskip(NEXT) | instid1(VALU_DEP_2)
	v_mul_lo_u32 v5, v5, s16
	v_mul_lo_u32 v6, v6, s18
	s_delay_alu instid0(VALU_DEP_1) | instskip(NEXT) | instid1(VALU_DEP_1)
	v_sub_nc_u32_e32 v5, v5, v6
	v_cmp_lt_u32_e64 s7, s20, v5
	v_cmpx_ge_u32_e64 s20, v5
	s_cbranch_execz .LBB1911_25
; %bb.24:
	v_add_nc_u32_e32 v5, s22, v18
	v_add_nc_u32_e32 v6, s38, v18
	s_delay_alu instid0(VALU_DEP_2) | instskip(NEXT) | instid1(VALU_DEP_2)
	v_mul_lo_u32 v5, v5, s21
	v_mul_lo_u32 v6, v6, s23
	s_delay_alu instid0(VALU_DEP_1) | instskip(NEXT) | instid1(VALU_DEP_1)
	v_sub_nc_u32_e32 v5, v5, v6
	v_cmp_lt_u32_e64 s8, s39, v5
	s_and_b32 s47, s8, exec_lo
.LBB1911_25:
	s_or_b32 exec_lo, exec_lo, s9
	v_add_nc_u32_e32 v5, s17, v15
	v_add_nc_u32_e32 v6, s19, v15
	s_mov_b32 s50, 0
	s_mov_b32 s49, 0
	s_mov_b32 s10, exec_lo
	v_mul_lo_u32 v5, v5, s16
	v_mul_lo_u32 v6, v6, s18
	s_delay_alu instid0(VALU_DEP_1) | instskip(NEXT) | instid1(VALU_DEP_1)
	v_sub_nc_u32_e32 v5, v5, v6
	v_cmp_lt_u32_e64 s8, s20, v5
	v_cmpx_ge_u32_e64 s20, v5
	s_cbranch_execz .LBB1911_27
; %bb.26:
	v_add_nc_u32_e32 v5, s22, v15
	v_add_nc_u32_e32 v6, s38, v15
	s_delay_alu instid0(VALU_DEP_2) | instskip(NEXT) | instid1(VALU_DEP_2)
	v_mul_lo_u32 v5, v5, s21
	v_mul_lo_u32 v6, v6, s23
	s_delay_alu instid0(VALU_DEP_1) | instskip(NEXT) | instid1(VALU_DEP_1)
	v_sub_nc_u32_e32 v5, v5, v6
	v_cmp_lt_u32_e64 s9, s39, v5
	s_and_b32 s49, s9, exec_lo
.LBB1911_27:
	s_or_b32 exec_lo, exec_lo, s10
	v_add_nc_u32_e32 v5, s17, v16
	v_add_nc_u32_e32 v6, s19, v16
	s_mov_b32 s11, exec_lo
	s_delay_alu instid0(VALU_DEP_2) | instskip(NEXT) | instid1(VALU_DEP_2)
	v_mul_lo_u32 v5, v5, s16
	v_mul_lo_u32 v6, v6, s18
	s_delay_alu instid0(VALU_DEP_1) | instskip(NEXT) | instid1(VALU_DEP_1)
	v_sub_nc_u32_e32 v5, v5, v6
	v_cmp_lt_u32_e64 s9, s20, v5
	v_cmpx_ge_u32_e64 s20, v5
	s_cbranch_execz .LBB1911_29
; %bb.28:
	v_add_nc_u32_e32 v5, s22, v16
	v_add_nc_u32_e32 v6, s38, v16
	s_delay_alu instid0(VALU_DEP_2) | instskip(NEXT) | instid1(VALU_DEP_2)
	v_mul_lo_u32 v5, v5, s21
	v_mul_lo_u32 v6, v6, s23
	s_delay_alu instid0(VALU_DEP_1) | instskip(NEXT) | instid1(VALU_DEP_1)
	v_sub_nc_u32_e32 v5, v5, v6
	v_cmp_lt_u32_e64 s10, s39, v5
	s_and_b32 s50, s10, exec_lo
.LBB1911_29:
	s_or_b32 exec_lo, exec_lo, s11
	v_add_nc_u32_e32 v5, s17, v13
	v_add_nc_u32_e32 v6, s19, v13
	s_mov_b32 s51, 0
	s_mov_b32 s52, 0
	s_mov_b32 s12, exec_lo
	v_mul_lo_u32 v5, v5, s16
	v_mul_lo_u32 v6, v6, s18
	s_delay_alu instid0(VALU_DEP_1) | instskip(NEXT) | instid1(VALU_DEP_1)
	v_sub_nc_u32_e32 v5, v5, v6
	v_cmp_lt_u32_e64 s10, s20, v5
	;; [unrolled: 47-line block ×3, first 2 shown]
	v_cmpx_ge_u32_e64 s20, v5
	s_cbranch_execz .LBB1911_35
; %bb.34:
	v_add_nc_u32_e32 v5, s22, v45
	v_add_nc_u32_e32 v6, s38, v45
	s_delay_alu instid0(VALU_DEP_2) | instskip(NEXT) | instid1(VALU_DEP_2)
	v_mul_lo_u32 v5, v5, s21
	v_mul_lo_u32 v6, v6, s23
	s_delay_alu instid0(VALU_DEP_1) | instskip(NEXT) | instid1(VALU_DEP_1)
	v_sub_nc_u32_e32 v5, v5, v6
	v_cmp_lt_u32_e64 s13, s39, v5
	s_and_b32 s53, s13, exec_lo
.LBB1911_35:
	s_or_b32 exec_lo, exec_lo, s54
	v_cndmask_b32_e64 v6, 0, 1, s0
	v_cndmask_b32_e64 v8, 0, 1, s3
	s_wait_alu 0xfffd
	v_cndmask_b32_e64 v5, 0, 1, vcc_lo
	v_cndmask_b32_e64 v7, 0, 1, s1
	v_cndmask_b32_e64 v10, 0, 1, s5
	v_lshlrev_b16 v6, 8, v6
	v_lshlrev_b16 v8, 8, v8
	s_wait_alu 0xf1ff
	v_cndmask_b32_e64 v12, 0, 1, s7
	v_cndmask_b32_e64 v26, 0, 1, s9
	;; [unrolled: 1-line block ×3, first 2 shown]
	v_or_b32_e32 v5, v5, v6
	v_or_b32_e32 v6, v7, v8
	v_cndmask_b32_e64 v56, 0, 1, s40
	v_cndmask_b32_e64 v9, 0, 1, s4
	;; [unrolled: 1-line block ×3, first 2 shown]
	v_and_b32_e32 v5, 0xffff, v5
	v_lshlrev_b32_e32 v6, 16, v6
	v_cndmask_b32_e64 v25, 0, 1, s8
	v_cndmask_b32_e64 v27, 0, 1, s10
	;; [unrolled: 1-line block ×8, first 2 shown]
	v_or_b32_e32 v47, v5, v6
	v_lshlrev_b16 v5, 8, v10
	v_lshlrev_b16 v6, 8, v12
	;; [unrolled: 1-line block ×5, first 2 shown]
	v_cndmask_b32_e64 v30, 0, 1, s50
	v_cndmask_b32_e64 v49, 0, 1, s47
	;; [unrolled: 1-line block ×5, first 2 shown]
	v_or_b32_e32 v5, v9, v5
	v_or_b32_e32 v6, v11, v6
	;; [unrolled: 1-line block ×5, first 2 shown]
	v_lshlrev_b16 v8, 8, v8
	v_lshlrev_b16 v12, 8, v54
	;; [unrolled: 1-line block ×5, first 2 shown]
	v_or_b32_e32 v8, v55, v8
	v_or_b32_e32 v7, v7, v12
	;; [unrolled: 1-line block ×5, first 2 shown]
	v_and_b32_e32 v5, 0xffff, v5
	v_lshlrev_b32_e32 v6, 16, v6
	v_and_b32_e32 v9, 0xffff, v9
	v_lshlrev_b32_e32 v10, 16, v10
	;; [unrolled: 2-line block ×5, first 2 shown]
	v_cndmask_b32_e64 v50, 0, 1, s51
	v_cndmask_b32_e64 v53, 0, 1, s53
	v_or_b32_e32 v49, v5, v6
	v_or_b32_e32 v52, v9, v10
	;; [unrolled: 1-line block ×5, first 2 shown]
	s_and_b32 vcc_lo, exec_lo, s48
	s_wait_alu 0xfffe
	s_cbranch_vccnz .LBB1911_37
	s_branch .LBB1911_114
.LBB1911_36:
                                        ; implicit-def: $vgpr53
                                        ; implicit-def: $vgpr50
                                        ; implicit-def: $vgpr51
                                        ; implicit-def: $vgpr48
                                        ; implicit-def: $vgpr54
                                        ; implicit-def: $vgpr52
                                        ; implicit-def: $vgpr49
                                        ; implicit-def: $vgpr47
	s_cbranch_execz .LBB1911_114
.LBB1911_37:
	v_dual_mov_b32 v6, 0 :: v_dual_mov_b32 v5, 0
	s_mov_b32 s1, exec_lo
	v_cmpx_gt_u32_e64 s27, v46
	s_cbranch_execz .LBB1911_41
; %bb.38:
	v_add_nc_u32_e32 v5, s17, v23
	v_add_nc_u32_e32 v6, s19, v23
	s_mov_b32 s4, 0
	s_mov_b32 s3, exec_lo
	s_delay_alu instid0(VALU_DEP_2) | instskip(NEXT) | instid1(VALU_DEP_2)
	v_mul_lo_u32 v5, v5, s16
	v_mul_lo_u32 v6, v6, s18
	s_delay_alu instid0(VALU_DEP_1) | instskip(NEXT) | instid1(VALU_DEP_1)
	v_sub_nc_u32_e32 v5, v5, v6
	v_cmp_lt_u32_e32 vcc_lo, s20, v5
	v_cmpx_ge_u32_e64 s20, v5
	s_cbranch_execz .LBB1911_40
; %bb.39:
	v_add_nc_u32_e32 v5, s22, v23
	v_add_nc_u32_e32 v6, s38, v23
	s_delay_alu instid0(VALU_DEP_2) | instskip(NEXT) | instid1(VALU_DEP_2)
	v_mul_lo_u32 v5, v5, s21
	v_mul_lo_u32 v6, v6, s23
	s_delay_alu instid0(VALU_DEP_1) | instskip(NEXT) | instid1(VALU_DEP_1)
	v_sub_nc_u32_e32 v5, v5, v6
	v_cmp_lt_u32_e64 s0, s39, v5
	s_and_b32 s4, s0, exec_lo
.LBB1911_40:
	s_wait_alu 0xfffe
	s_or_b32 exec_lo, exec_lo, s3
	v_cndmask_b32_e64 v6, 0, 1, s4
	s_wait_alu 0xfffd
	v_cndmask_b32_e64 v5, 0, 1, vcc_lo
.LBB1911_41:
	s_wait_alu 0xfffe
	s_or_b32 exec_lo, exec_lo, s1
	v_lshlrev_b16 v6, 8, v6
	v_add_nc_u32_e32 v7, 1, v46
	v_and_b32_e32 v10, 0xff, v5
	v_lshlrev_b16 v5, 8, 0
                                        ; implicit-def: $vgpr9
                                        ; implicit-def: $vgpr12
                                        ; implicit-def: $vgpr8
	s_delay_alu instid0(VALU_DEP_4) | instskip(NEXT) | instid1(VALU_DEP_4)
	v_and_b32_e32 v6, 0xffff, v6
	v_cmp_le_u32_e32 vcc_lo, s27, v7
                                        ; implicit-def: $vgpr7
	s_delay_alu instid0(VALU_DEP_2)
	v_lshrrev_b32_e32 v25, 8, v6
	v_and_b32_e32 v11, 0xff, v6
                                        ; implicit-def: $vgpr6
	s_and_saveexec_b32 s0, vcc_lo
	s_wait_alu 0xfffe
	s_xor_b32 s0, exec_lo, s0
	s_cbranch_execz .LBB1911_43
; %bb.42:
	v_lshlrev_b16 v6, 8, v25
	v_and_b32_e32 v8, 0xffff, v5
                                        ; implicit-def: $vgpr25
	v_mov_b32_e32 v9, 0
	s_delay_alu instid0(VALU_DEP_3) | instskip(SKIP_1) | instid1(VALU_DEP_2)
	v_or_b32_e32 v7, v11, v6
	v_mov_b32_e32 v6, 0
                                        ; implicit-def: $vgpr11
	v_and_b32_e32 v12, 0xffff, v7
	v_and_b32_e32 v7, 0xffff, v5
                                        ; implicit-def: $vgpr5
.LBB1911_43:
	s_wait_alu 0xfffe
	s_and_not1_saveexec_b32 s1, s0
	s_cbranch_execz .LBB1911_47
; %bb.44:
	v_add_nc_u32_e32 v6, s17, v24
	v_add_nc_u32_e32 v7, s19, v24
	s_mov_b32 s3, 0
	s_mov_b32 s4, exec_lo
	s_delay_alu instid0(VALU_DEP_2) | instskip(NEXT) | instid1(VALU_DEP_2)
	v_mul_lo_u32 v6, v6, s16
	v_mul_lo_u32 v7, v7, s18
	s_delay_alu instid0(VALU_DEP_1) | instskip(NEXT) | instid1(VALU_DEP_1)
	v_sub_nc_u32_e32 v6, v6, v7
	v_cmp_lt_u32_e32 vcc_lo, s20, v6
	v_cmpx_ge_u32_e64 s20, v6
	s_cbranch_execz .LBB1911_46
; %bb.45:
	v_add_nc_u32_e32 v6, s22, v24
	v_add_nc_u32_e32 v7, s38, v24
	s_delay_alu instid0(VALU_DEP_2) | instskip(NEXT) | instid1(VALU_DEP_2)
	v_mul_lo_u32 v6, v6, s21
	v_mul_lo_u32 v7, v7, s23
	s_delay_alu instid0(VALU_DEP_1) | instskip(NEXT) | instid1(VALU_DEP_1)
	v_sub_nc_u32_e32 v6, v6, v7
	v_cmp_lt_u32_e64 s0, s39, v6
	s_and_b32 s3, s0, exec_lo
.LBB1911_46:
	s_wait_alu 0xfffe
	s_or_b32 exec_lo, exec_lo, s4
	s_wait_alu 0xfffd
	v_cndmask_b32_e64 v6, 0, 1, vcc_lo
	v_lshlrev_b16 v7, 8, v25
	v_dual_mov_b32 v9, 0 :: v_dual_and_b32 v8, 0xffff, v5
	s_delay_alu instid0(VALU_DEP_3) | instskip(NEXT) | instid1(VALU_DEP_3)
	v_lshlrev_b16 v6, 8, v6
	v_or_b32_e32 v7, v11, v7
	v_cndmask_b32_e64 v11, 0, 1, s3
	s_delay_alu instid0(VALU_DEP_3) | instskip(NEXT) | instid1(VALU_DEP_3)
	v_or_b32_e32 v10, v10, v6
	v_dual_mov_b32 v6, 0 :: v_dual_and_b32 v7, 0xffff, v7
	s_delay_alu instid0(VALU_DEP_2) | instskip(NEXT) | instid1(VALU_DEP_2)
	v_and_b32_e32 v10, 0xffff, v10
	v_lshl_or_b32 v12, v11, 16, v7
	v_and_b32_e32 v7, 0xffff, v5
.LBB1911_47:
	s_wait_alu 0xfffe
	s_or_b32 exec_lo, exec_lo, s1
	v_add_nc_u32_e32 v5, 2, v46
	v_and_b32_e32 v25, 0xff, v10
	v_lshrrev_b32_e32 v26, 8, v10
                                        ; implicit-def: $vgpr11
	s_delay_alu instid0(VALU_DEP_3)
	v_cmp_le_u32_e32 vcc_lo, s27, v5
                                        ; implicit-def: $vgpr5
	s_and_saveexec_b32 s0, vcc_lo
	s_wait_alu 0xfffe
	s_xor_b32 s0, exec_lo, s0
	s_cbranch_execz .LBB1911_49
; %bb.48:
	v_lshlrev_b16 v5, 8, v26
	v_perm_b32 v8, v8, v8, 0x3060504
                                        ; implicit-def: $vgpr26
	s_delay_alu instid0(VALU_DEP_2) | instskip(SKIP_1) | instid1(VALU_DEP_2)
	v_or_b32_e32 v5, v25, v5
	v_and_b32_e32 v25, 0xff0000, v12
	v_and_b32_e32 v5, 0xffff, v5
	s_delay_alu instid0(VALU_DEP_1) | instskip(NEXT) | instid1(VALU_DEP_3)
	v_and_or_b32 v11, 0xff000000, v10, v5
	v_perm_b32 v5, v12, v25, 0x3020504
                                        ; implicit-def: $vgpr25
                                        ; implicit-def: $vgpr10
                                        ; implicit-def: $vgpr12
.LBB1911_49:
	s_wait_alu 0xfffe
	s_and_not1_saveexec_b32 s1, s0
	s_cbranch_execz .LBB1911_53
; %bb.50:
	v_add_nc_u32_e32 v5, s17, v21
	v_add_nc_u32_e32 v11, s19, v21
	s_mov_b32 s3, 0
	s_mov_b32 s4, exec_lo
	s_delay_alu instid0(VALU_DEP_2) | instskip(NEXT) | instid1(VALU_DEP_2)
	v_mul_lo_u32 v5, v5, s16
	v_mul_lo_u32 v11, v11, s18
	s_delay_alu instid0(VALU_DEP_1) | instskip(NEXT) | instid1(VALU_DEP_1)
	v_sub_nc_u32_e32 v5, v5, v11
	v_cmp_lt_u32_e32 vcc_lo, s20, v5
	v_cmpx_ge_u32_e64 s20, v5
	s_cbranch_execz .LBB1911_52
; %bb.51:
	v_add_nc_u32_e32 v5, s22, v21
	v_add_nc_u32_e32 v11, s38, v21
	s_delay_alu instid0(VALU_DEP_2) | instskip(NEXT) | instid1(VALU_DEP_2)
	v_mul_lo_u32 v5, v5, s21
	v_mul_lo_u32 v11, v11, s23
	s_delay_alu instid0(VALU_DEP_1) | instskip(NEXT) | instid1(VALU_DEP_1)
	v_sub_nc_u32_e32 v5, v5, v11
	v_cmp_lt_u32_e64 s0, s39, v5
	s_and_b32 s3, s0, exec_lo
.LBB1911_52:
	s_wait_alu 0xfffe
	s_or_b32 exec_lo, exec_lo, s4
	v_lshrrev_b32_e32 v10, 24, v10
	v_cndmask_b32_e64 v11, 0, 1, s3
	v_lshrrev_b32_e32 v27, 8, v12
	v_lshrrev_b32_e32 v28, 16, v12
	s_wait_alu 0xfffd
	v_cndmask_b32_e64 v5, 0, 1, vcc_lo
	v_lshlrev_b16 v26, 8, v26
	v_lshlrev_b16 v10, 8, v10
	v_and_b32_e32 v12, 0xff, v12
	v_lshlrev_b16 v27, 8, v27
	v_lshlrev_b16 v11, 8, v11
	v_and_b32_e32 v28, 0xff, v28
	v_or_b32_e32 v25, v25, v26
	v_or_b32_e32 v5, v5, v10
	v_or_b32_e32 v10, v12, v27
	s_delay_alu instid0(VALU_DEP_4) | instskip(NEXT) | instid1(VALU_DEP_4)
	v_or_b32_e32 v11, v28, v11
	v_and_b32_e32 v12, 0xffff, v25
	s_delay_alu instid0(VALU_DEP_4) | instskip(NEXT) | instid1(VALU_DEP_4)
	v_lshlrev_b32_e32 v5, 16, v5
	v_and_b32_e32 v10, 0xffff, v10
	s_delay_alu instid0(VALU_DEP_4) | instskip(NEXT) | instid1(VALU_DEP_3)
	v_lshlrev_b32_e32 v25, 16, v11
	v_or_b32_e32 v11, v12, v5
	s_delay_alu instid0(VALU_DEP_2)
	v_or_b32_e32 v5, v10, v25
.LBB1911_53:
	s_wait_alu 0xfffe
	s_or_b32 exec_lo, exec_lo, s1
	v_add_nc_u32_e32 v10, 3, v46
	v_lshrrev_b32_e32 v12, 24, v9
	v_lshrrev_b32_e32 v25, 16, v9
	;; [unrolled: 1-line block ×3, first 2 shown]
                                        ; implicit-def: $vgpr47
	s_delay_alu instid0(VALU_DEP_4)
	v_cmp_le_u32_e32 vcc_lo, s27, v10
                                        ; implicit-def: $vgpr10
	s_and_saveexec_b32 s0, vcc_lo
	s_wait_alu 0xfffe
	s_xor_b32 s0, exec_lo, s0
	s_cbranch_execz .LBB1911_55
; %bb.54:
	v_lshlrev_b16 v10, 8, v12
	v_and_b32_e32 v12, 0xff, v25
	v_lshlrev_b16 v9, 8, v9
	v_perm_b32 v8, v8, v8, 0x3060504
	v_perm_b32 v7, v7, v7, 0x3060504
                                        ; implicit-def: $vgpr25
	s_delay_alu instid0(VALU_DEP_4) | instskip(SKIP_2) | instid1(VALU_DEP_3)
	v_or_b32_e32 v10, v12, v10
	v_and_b32_e32 v12, 0xff0000, v11
	v_and_b32_e32 v9, 0xffff, v9
	v_lshlrev_b32_e32 v10, 16, v10
	s_delay_alu instid0(VALU_DEP_3) | instskip(NEXT) | instid1(VALU_DEP_2)
	v_perm_b32 v47, v11, v12, 0x3020504
                                        ; implicit-def: $vgpr11
                                        ; implicit-def: $vgpr12
	v_or_b32_e32 v10, v9, v10
                                        ; implicit-def: $vgpr9
.LBB1911_55:
	s_wait_alu 0xfffe
	s_and_not1_saveexec_b32 s1, s0
	s_cbranch_execz .LBB1911_59
; %bb.56:
	v_add_nc_u32_e32 v10, s17, v22
	v_add_nc_u32_e32 v26, s19, v22
	s_mov_b32 s3, 0
	s_mov_b32 s4, exec_lo
	s_delay_alu instid0(VALU_DEP_2) | instskip(NEXT) | instid1(VALU_DEP_2)
	v_mul_lo_u32 v10, v10, s16
	v_mul_lo_u32 v26, v26, s18
	s_delay_alu instid0(VALU_DEP_1) | instskip(NEXT) | instid1(VALU_DEP_1)
	v_sub_nc_u32_e32 v10, v10, v26
	v_cmp_lt_u32_e32 vcc_lo, s20, v10
	v_cmpx_ge_u32_e64 s20, v10
	s_cbranch_execz .LBB1911_58
; %bb.57:
	v_add_nc_u32_e32 v10, s22, v22
	v_add_nc_u32_e32 v26, s38, v22
	s_delay_alu instid0(VALU_DEP_2) | instskip(NEXT) | instid1(VALU_DEP_2)
	v_mul_lo_u32 v10, v10, s21
	v_mul_lo_u32 v26, v26, s23
	s_delay_alu instid0(VALU_DEP_1) | instskip(NEXT) | instid1(VALU_DEP_1)
	v_sub_nc_u32_e32 v10, v10, v26
	v_cmp_lt_u32_e64 s0, s39, v10
	s_and_b32 s3, s0, exec_lo
.LBB1911_58:
	s_wait_alu 0xfffe
	s_or_b32 exec_lo, exec_lo, s4
	v_lshrrev_b32_e32 v10, 8, v11
	s_wait_alu 0xfffd
	v_cndmask_b32_e64 v26, 0, 1, vcc_lo
	v_lshrrev_b32_e32 v27, 16, v11
	v_cndmask_b32_e64 v28, 0, 1, s3
	v_and_b32_e32 v11, 0xff, v11
	v_lshlrev_b16 v10, 8, v10
	v_lshlrev_b16 v26, 8, v26
	v_and_b32_e32 v27, 0xff, v27
	v_lshlrev_b16 v12, 8, v12
	v_and_b32_e32 v25, 0xff, v25
	v_lshlrev_b16 v9, 8, v9
	v_or_b32_e32 v10, v11, v10
	v_or_b32_e32 v11, v27, v26
	s_delay_alu instid0(VALU_DEP_4) | instskip(NEXT) | instid1(VALU_DEP_4)
	v_or_b32_e32 v12, v25, v12
	v_or_b32_e32 v9, v28, v9
	s_delay_alu instid0(VALU_DEP_4) | instskip(NEXT) | instid1(VALU_DEP_4)
	v_and_b32_e32 v10, 0xffff, v10
	v_lshlrev_b32_e32 v11, 16, v11
	s_delay_alu instid0(VALU_DEP_4) | instskip(NEXT) | instid1(VALU_DEP_4)
	v_lshlrev_b32_e32 v12, 16, v12
	v_and_b32_e32 v9, 0xffff, v9
	s_delay_alu instid0(VALU_DEP_3) | instskip(NEXT) | instid1(VALU_DEP_2)
	v_or_b32_e32 v47, v10, v11
	v_or_b32_e32 v10, v9, v12
.LBB1911_59:
	s_wait_alu 0xfffe
	s_or_b32 exec_lo, exec_lo, s1
	v_add_nc_u32_e32 v9, 4, v46
	v_lshrrev_b32_e32 v25, 8, v8
	v_lshrrev_b32_e32 v26, 16, v8
	;; [unrolled: 1-line block ×4, first 2 shown]
	v_cmp_le_u32_e32 vcc_lo, s27, v9
	v_lshrrev_b32_e32 v12, 16, v10
                                        ; implicit-def: $vgpr8
                                        ; implicit-def: $vgpr9
	s_and_saveexec_b32 s0, vcc_lo
	s_wait_alu 0xfffe
	s_xor_b32 s0, exec_lo, s0
	s_cbranch_execz .LBB1911_61
; %bb.60:
	v_lshlrev_b16 v8, 8, v27
	v_and_b32_e32 v9, 0xff, v26
	v_lshlrev_b16 v25, 8, v25
	v_lshlrev_b16 v11, 8, v11
	v_and_b32_e32 v12, 0xff, v12
	v_perm_b32 v7, v7, v7, 0x3060504
	v_or_b32_e32 v8, v9, v8
	v_and_b32_e32 v9, 0xffff, v25
                                        ; implicit-def: $vgpr25
                                        ; implicit-def: $vgpr26
                                        ; implicit-def: $vgpr27
	s_delay_alu instid0(VALU_DEP_4) | instskip(NEXT) | instid1(VALU_DEP_3)
	v_or_b32_e32 v11, v12, v11
	v_lshlrev_b32_e32 v12, 16, v8
	s_delay_alu instid0(VALU_DEP_2) | instskip(NEXT) | instid1(VALU_DEP_2)
	v_perm_b32 v8, v11, v10, 0x5040c00
                                        ; implicit-def: $vgpr10
                                        ; implicit-def: $vgpr11
	v_or_b32_e32 v9, v9, v12
                                        ; implicit-def: $vgpr12
.LBB1911_61:
	s_wait_alu 0xfffe
	s_and_not1_saveexec_b32 s1, s0
	s_cbranch_execz .LBB1911_65
; %bb.62:
	v_add_nc_u32_e32 v8, s17, v19
	v_add_nc_u32_e32 v9, s19, v19
	s_mov_b32 s3, 0
	s_mov_b32 s4, exec_lo
	s_delay_alu instid0(VALU_DEP_2) | instskip(NEXT) | instid1(VALU_DEP_2)
	v_mul_lo_u32 v8, v8, s16
	v_mul_lo_u32 v9, v9, s18
	s_delay_alu instid0(VALU_DEP_1) | instskip(NEXT) | instid1(VALU_DEP_1)
	v_sub_nc_u32_e32 v8, v8, v9
	v_cmp_lt_u32_e32 vcc_lo, s20, v8
	v_cmpx_ge_u32_e64 s20, v8
	s_cbranch_execz .LBB1911_64
; %bb.63:
	v_add_nc_u32_e32 v8, s22, v19
	v_add_nc_u32_e32 v9, s38, v19
	s_delay_alu instid0(VALU_DEP_2) | instskip(NEXT) | instid1(VALU_DEP_2)
	v_mul_lo_u32 v8, v8, s21
	v_mul_lo_u32 v9, v9, s23
	s_delay_alu instid0(VALU_DEP_1) | instskip(NEXT) | instid1(VALU_DEP_1)
	v_sub_nc_u32_e32 v8, v8, v9
	v_cmp_lt_u32_e64 s0, s39, v8
	s_and_b32 s3, s0, exec_lo
.LBB1911_64:
	s_wait_alu 0xfffe
	s_or_b32 exec_lo, exec_lo, s4
	v_cndmask_b32_e64 v8, 0, 1, s3
	s_wait_alu 0xfffd
	v_cndmask_b32_e64 v9, 0, 1, vcc_lo
	v_lshlrev_b16 v27, 8, v27
	v_and_b32_e32 v26, 0xff, v26
	v_lshlrev_b16 v25, 8, v25
	v_lshlrev_b16 v8, 8, v8
	v_and_b32_e32 v10, 0xff, v10
	v_lshlrev_b16 v11, 8, v11
	v_and_b32_e32 v12, 0xff, v12
	v_or_b32_e32 v26, v26, v27
	v_or_b32_e32 v9, v9, v25
	;; [unrolled: 1-line block ×3, first 2 shown]
	s_delay_alu instid0(VALU_DEP_4) | instskip(NEXT) | instid1(VALU_DEP_4)
	v_or_b32_e32 v10, v12, v11
	v_lshlrev_b32_e32 v11, 16, v26
	s_delay_alu instid0(VALU_DEP_4) | instskip(NEXT) | instid1(VALU_DEP_4)
	v_and_b32_e32 v9, 0xffff, v9
	v_and_b32_e32 v8, 0xffff, v8
	s_delay_alu instid0(VALU_DEP_4) | instskip(NEXT) | instid1(VALU_DEP_3)
	v_lshlrev_b32_e32 v10, 16, v10
	v_or_b32_e32 v9, v9, v11
	s_delay_alu instid0(VALU_DEP_2)
	v_or_b32_e32 v8, v8, v10
.LBB1911_65:
	s_wait_alu 0xfffe
	s_or_b32 exec_lo, exec_lo, s1
	v_add_nc_u32_e32 v10, 5, v46
	v_lshrrev_b32_e32 v25, 16, v9
	v_lshrrev_b32_e32 v27, 24, v9
	v_and_b32_e32 v12, 0xff, v8
	v_lshrrev_b32_e32 v26, 8, v8
	v_cmp_le_u32_e32 vcc_lo, s27, v10
                                        ; implicit-def: $vgpr10
                                        ; implicit-def: $vgpr11
	s_and_saveexec_b32 s0, vcc_lo
	s_wait_alu 0xfffe
	s_xor_b32 s0, exec_lo, s0
	s_cbranch_execz .LBB1911_67
; %bb.66:
	v_lshlrev_b16 v10, 8, v26
	v_lshlrev_b16 v11, 8, v27
	v_and_b32_e32 v25, 0xff, v25
	v_perm_b32 v7, v7, v7, 0x3060504
                                        ; implicit-def: $vgpr27
                                        ; implicit-def: $vgpr26
	s_delay_alu instid0(VALU_DEP_4) | instskip(NEXT) | instid1(VALU_DEP_3)
	v_or_b32_e32 v10, v12, v10
                                        ; implicit-def: $vgpr12
	v_or_b32_e32 v11, v25, v11
                                        ; implicit-def: $vgpr25
	s_delay_alu instid0(VALU_DEP_2) | instskip(NEXT) | instid1(VALU_DEP_2)
	v_and_b32_e32 v10, 0xffff, v10
	v_perm_b32 v11, v11, v9, 0x5040c00
                                        ; implicit-def: $vgpr9
	s_delay_alu instid0(VALU_DEP_2)
	v_and_or_b32 v10, 0xff000000, v8, v10
                                        ; implicit-def: $vgpr8
.LBB1911_67:
	s_wait_alu 0xfffe
	s_and_not1_saveexec_b32 s1, s0
	s_cbranch_execz .LBB1911_71
; %bb.68:
	v_add_nc_u32_e32 v10, s17, v20
	v_add_nc_u32_e32 v11, s19, v20
	s_mov_b32 s3, 0
	s_mov_b32 s4, exec_lo
	s_delay_alu instid0(VALU_DEP_2) | instskip(NEXT) | instid1(VALU_DEP_2)
	v_mul_lo_u32 v10, v10, s16
	v_mul_lo_u32 v11, v11, s18
	s_delay_alu instid0(VALU_DEP_1) | instskip(NEXT) | instid1(VALU_DEP_1)
	v_sub_nc_u32_e32 v10, v10, v11
	v_cmp_lt_u32_e32 vcc_lo, s20, v10
	v_cmpx_ge_u32_e64 s20, v10
	s_cbranch_execz .LBB1911_70
; %bb.69:
	v_add_nc_u32_e32 v10, s22, v20
	v_add_nc_u32_e32 v11, s38, v20
	s_delay_alu instid0(VALU_DEP_2) | instskip(NEXT) | instid1(VALU_DEP_2)
	v_mul_lo_u32 v10, v10, s21
	v_mul_lo_u32 v11, v11, s23
	s_delay_alu instid0(VALU_DEP_1) | instskip(NEXT) | instid1(VALU_DEP_1)
	v_sub_nc_u32_e32 v10, v10, v11
	v_cmp_lt_u32_e64 s0, s39, v10
	s_and_b32 s3, s0, exec_lo
.LBB1911_70:
	s_wait_alu 0xfffe
	s_or_b32 exec_lo, exec_lo, s4
	s_wait_alu 0xfffd
	v_cndmask_b32_e64 v10, 0, 1, vcc_lo
	v_lshrrev_b32_e32 v8, 24, v8
	v_cndmask_b32_e64 v11, 0, 1, s3
	v_lshlrev_b16 v27, 8, v27
	v_and_b32_e32 v25, 0xff, v25
	v_lshlrev_b16 v10, 8, v10
	v_lshlrev_b16 v26, 8, v26
	v_and_b32_e32 v9, 0xff, v9
	v_lshlrev_b16 v8, 8, v8
	v_or_b32_e32 v25, v25, v27
	s_delay_alu instid0(VALU_DEP_4) | instskip(NEXT) | instid1(VALU_DEP_4)
	v_or_b32_e32 v12, v12, v26
	v_or_b32_e32 v9, v9, v10
	s_delay_alu instid0(VALU_DEP_4) | instskip(NEXT) | instid1(VALU_DEP_4)
	v_or_b32_e32 v8, v11, v8
	v_lshlrev_b32_e32 v10, 16, v25
	s_delay_alu instid0(VALU_DEP_4) | instskip(NEXT) | instid1(VALU_DEP_4)
	v_and_b32_e32 v12, 0xffff, v12
	v_and_b32_e32 v9, 0xffff, v9
	s_delay_alu instid0(VALU_DEP_4) | instskip(NEXT) | instid1(VALU_DEP_2)
	v_lshlrev_b32_e32 v8, 16, v8
	v_or_b32_e32 v11, v9, v10
	s_delay_alu instid0(VALU_DEP_2)
	v_or_b32_e32 v10, v12, v8
.LBB1911_71:
	s_wait_alu 0xfffe
	s_or_b32 exec_lo, exec_lo, s1
	v_add_nc_u32_e32 v8, 6, v46
	v_lshrrev_b32_e32 v12, 8, v11
                                        ; implicit-def: $vgpr48
                                        ; implicit-def: $vgpr9
	s_delay_alu instid0(VALU_DEP_2)
	v_cmp_le_u32_e32 vcc_lo, s27, v8
	v_and_b32_e32 v8, 0xff, v11
	s_and_saveexec_b32 s0, vcc_lo
	s_wait_alu 0xfffe
	s_xor_b32 s0, exec_lo, s0
	s_cbranch_execz .LBB1911_73
; %bb.72:
	v_lshlrev_b16 v9, 8, v12
	v_perm_b32 v7, v7, v7, 0x3060504
                                        ; implicit-def: $vgpr12
	s_delay_alu instid0(VALU_DEP_2) | instskip(SKIP_1) | instid1(VALU_DEP_2)
	v_or_b32_e32 v8, v8, v9
	v_and_b32_e32 v9, 0xff0000, v10
	v_and_b32_e32 v8, 0xffff, v8
	s_delay_alu instid0(VALU_DEP_2) | instskip(NEXT) | instid1(VALU_DEP_2)
	v_perm_b32 v48, v10, v9, 0x3020504
                                        ; implicit-def: $vgpr10
	v_and_or_b32 v9, 0xff000000, v11, v8
                                        ; implicit-def: $vgpr8
                                        ; implicit-def: $vgpr11
.LBB1911_73:
	s_wait_alu 0xfffe
	s_and_not1_saveexec_b32 s1, s0
	s_cbranch_execz .LBB1911_77
; %bb.74:
	v_add_nc_u32_e32 v9, s17, v17
	v_add_nc_u32_e32 v25, s19, v17
	s_mov_b32 s3, 0
	s_mov_b32 s4, exec_lo
	s_delay_alu instid0(VALU_DEP_2) | instskip(NEXT) | instid1(VALU_DEP_2)
	v_mul_lo_u32 v9, v9, s16
	v_mul_lo_u32 v25, v25, s18
	s_delay_alu instid0(VALU_DEP_1) | instskip(NEXT) | instid1(VALU_DEP_1)
	v_sub_nc_u32_e32 v9, v9, v25
	v_cmp_lt_u32_e32 vcc_lo, s20, v9
	v_cmpx_ge_u32_e64 s20, v9
	s_cbranch_execz .LBB1911_76
; %bb.75:
	v_add_nc_u32_e32 v9, s22, v17
	v_add_nc_u32_e32 v25, s38, v17
	s_delay_alu instid0(VALU_DEP_2) | instskip(NEXT) | instid1(VALU_DEP_2)
	v_mul_lo_u32 v9, v9, s21
	v_mul_lo_u32 v25, v25, s23
	s_delay_alu instid0(VALU_DEP_1) | instskip(NEXT) | instid1(VALU_DEP_1)
	v_sub_nc_u32_e32 v9, v9, v25
	v_cmp_lt_u32_e64 s0, s39, v9
	s_and_b32 s3, s0, exec_lo
.LBB1911_76:
	s_wait_alu 0xfffe
	s_or_b32 exec_lo, exec_lo, s4
	v_lshrrev_b32_e32 v11, 24, v11
	v_cndmask_b32_e64 v25, 0, 1, s3
	v_lshrrev_b32_e32 v26, 8, v10
	v_lshrrev_b32_e32 v27, 16, v10
	s_wait_alu 0xfffd
	v_cndmask_b32_e64 v9, 0, 1, vcc_lo
	v_lshlrev_b16 v12, 8, v12
	v_lshlrev_b16 v11, 8, v11
	v_and_b32_e32 v10, 0xff, v10
	v_lshlrev_b16 v26, 8, v26
	v_lshlrev_b16 v25, 8, v25
	v_and_b32_e32 v27, 0xff, v27
	v_or_b32_e32 v8, v8, v12
	v_or_b32_e32 v9, v9, v11
	;; [unrolled: 1-line block ×3, first 2 shown]
	s_delay_alu instid0(VALU_DEP_4) | instskip(NEXT) | instid1(VALU_DEP_4)
	v_or_b32_e32 v11, v27, v25
	v_and_b32_e32 v8, 0xffff, v8
	s_delay_alu instid0(VALU_DEP_4) | instskip(NEXT) | instid1(VALU_DEP_4)
	v_lshlrev_b32_e32 v9, 16, v9
	v_and_b32_e32 v10, 0xffff, v10
	s_delay_alu instid0(VALU_DEP_4) | instskip(NEXT) | instid1(VALU_DEP_3)
	v_lshlrev_b32_e32 v11, 16, v11
	v_or_b32_e32 v9, v8, v9
	s_delay_alu instid0(VALU_DEP_2)
	v_or_b32_e32 v48, v10, v11
.LBB1911_77:
	s_wait_alu 0xfffe
	s_or_b32 exec_lo, exec_lo, s1
	v_add_nc_u32_e32 v8, 7, v46
	v_lshrrev_b32_e32 v10, 8, v7
	v_lshrrev_b32_e32 v11, 16, v7
	;; [unrolled: 1-line block ×3, first 2 shown]
                                        ; implicit-def: $vgpr49
	s_delay_alu instid0(VALU_DEP_4)
	v_cmp_le_u32_e32 vcc_lo, s27, v8
                                        ; implicit-def: $vgpr8
	s_and_saveexec_b32 s0, vcc_lo
	s_wait_alu 0xfffe
	s_xor_b32 s0, exec_lo, s0
	s_cbranch_execz .LBB1911_79
; %bb.78:
	v_lshlrev_b16 v7, 8, v7
	v_and_b32_e32 v8, 0xff, v11
                                        ; implicit-def: $vgpr11
	s_delay_alu instid0(VALU_DEP_1) | instskip(SKIP_2) | instid1(VALU_DEP_3)
	v_or_b32_e32 v7, v8, v7
	v_lshlrev_b16 v8, 8, v10
	v_and_b32_e32 v10, 0xff0000, v9
	v_lshlrev_b32_e32 v7, 16, v7
	s_delay_alu instid0(VALU_DEP_3) | instskip(NEXT) | instid1(VALU_DEP_3)
	v_and_b32_e32 v8, 0xffff, v8
	v_perm_b32 v49, v9, v10, 0x3020504
                                        ; implicit-def: $vgpr9
                                        ; implicit-def: $vgpr10
	s_delay_alu instid0(VALU_DEP_2)
	v_or_b32_e32 v8, v8, v7
                                        ; implicit-def: $vgpr7
.LBB1911_79:
	s_wait_alu 0xfffe
	s_and_not1_saveexec_b32 s1, s0
	s_cbranch_execz .LBB1911_83
; %bb.80:
	v_add_nc_u32_e32 v8, s17, v18
	v_add_nc_u32_e32 v12, s19, v18
	s_mov_b32 s3, 0
	s_mov_b32 s4, exec_lo
	s_delay_alu instid0(VALU_DEP_2) | instskip(NEXT) | instid1(VALU_DEP_2)
	v_mul_lo_u32 v8, v8, s16
	v_mul_lo_u32 v12, v12, s18
	s_delay_alu instid0(VALU_DEP_1) | instskip(NEXT) | instid1(VALU_DEP_1)
	v_sub_nc_u32_e32 v8, v8, v12
	v_cmp_lt_u32_e32 vcc_lo, s20, v8
	v_cmpx_ge_u32_e64 s20, v8
	s_cbranch_execz .LBB1911_82
; %bb.81:
	v_add_nc_u32_e32 v8, s22, v18
	v_add_nc_u32_e32 v12, s38, v18
	s_delay_alu instid0(VALU_DEP_2) | instskip(NEXT) | instid1(VALU_DEP_2)
	v_mul_lo_u32 v8, v8, s21
	v_mul_lo_u32 v12, v12, s23
	s_delay_alu instid0(VALU_DEP_1) | instskip(NEXT) | instid1(VALU_DEP_1)
	v_sub_nc_u32_e32 v8, v8, v12
	v_cmp_lt_u32_e64 s0, s39, v8
	s_and_b32 s3, s0, exec_lo
.LBB1911_82:
	s_wait_alu 0xfffe
	s_or_b32 exec_lo, exec_lo, s4
	v_lshrrev_b32_e32 v8, 8, v9
	s_wait_alu 0xfffd
	v_cndmask_b32_e64 v12, 0, 1, vcc_lo
	v_lshrrev_b32_e32 v25, 16, v9
	v_cndmask_b32_e64 v26, 0, 1, s3
	v_and_b32_e32 v9, 0xff, v9
	v_lshlrev_b16 v8, 8, v8
	v_lshlrev_b16 v12, 8, v12
	v_and_b32_e32 v25, 0xff, v25
	v_lshlrev_b16 v7, 8, v7
	v_and_b32_e32 v11, 0xff, v11
	v_lshlrev_b16 v10, 8, v10
	v_or_b32_e32 v8, v9, v8
	v_or_b32_e32 v9, v25, v12
	s_delay_alu instid0(VALU_DEP_4) | instskip(NEXT) | instid1(VALU_DEP_4)
	v_or_b32_e32 v7, v11, v7
	v_or_b32_e32 v10, v26, v10
	s_delay_alu instid0(VALU_DEP_4) | instskip(NEXT) | instid1(VALU_DEP_4)
	v_and_b32_e32 v8, 0xffff, v8
	v_lshlrev_b32_e32 v9, 16, v9
	s_delay_alu instid0(VALU_DEP_4) | instskip(NEXT) | instid1(VALU_DEP_4)
	v_lshlrev_b32_e32 v7, 16, v7
	v_and_b32_e32 v10, 0xffff, v10
	s_delay_alu instid0(VALU_DEP_3) | instskip(NEXT) | instid1(VALU_DEP_2)
	v_or_b32_e32 v49, v8, v9
	v_or_b32_e32 v8, v10, v7
.LBB1911_83:
	s_wait_alu 0xfffe
	s_or_b32 exec_lo, exec_lo, s1
	v_add_nc_u32_e32 v7, 8, v46
	s_delay_alu instid0(VALU_DEP_2)
	v_lshrrev_b32_e32 v9, 16, v8
	v_lshrrev_b32_e32 v10, 24, v8
	;; [unrolled: 1-line block ×4, first 2 shown]
	v_cmp_le_u32_e32 vcc_lo, s27, v7
	v_lshrrev_b32_e32 v11, 8, v6
                                        ; implicit-def: $vgpr6
                                        ; implicit-def: $vgpr7
	s_and_saveexec_b32 s0, vcc_lo
	s_wait_alu 0xfffe
	s_xor_b32 s0, exec_lo, s0
	s_cbranch_execz .LBB1911_85
; %bb.84:
	v_lshlrev_b16 v6, 8, v12
	v_and_b32_e32 v7, 0xff, v25
	v_lshlrev_b16 v11, 8, v11
	v_lshlrev_b16 v10, 8, v10
	v_perm_b32 v5, v5, v5, 0x3060504
                                        ; implicit-def: $vgpr12
                                        ; implicit-def: $vgpr25
	s_delay_alu instid0(VALU_DEP_4) | instskip(SKIP_2) | instid1(VALU_DEP_3)
	v_or_b32_e32 v6, v7, v6
	v_and_b32_e32 v7, 0xff, v9
	v_and_b32_e32 v9, 0xffff, v11
                                        ; implicit-def: $vgpr11
	v_lshlrev_b32_e32 v6, 16, v6
	s_delay_alu instid0(VALU_DEP_3) | instskip(NEXT) | instid1(VALU_DEP_2)
	v_or_b32_e32 v10, v7, v10
	v_or_b32_e32 v7, v9, v6
	s_delay_alu instid0(VALU_DEP_2)
	v_perm_b32 v6, v10, v8, 0x5040c00
                                        ; implicit-def: $vgpr8
                                        ; implicit-def: $vgpr9
                                        ; implicit-def: $vgpr10
.LBB1911_85:
	s_wait_alu 0xfffe
	s_and_not1_saveexec_b32 s1, s0
	s_cbranch_execz .LBB1911_89
; %bb.86:
	v_add_nc_u32_e32 v6, s17, v15
	v_add_nc_u32_e32 v7, s19, v15
	s_mov_b32 s3, 0
	s_mov_b32 s4, exec_lo
	s_delay_alu instid0(VALU_DEP_2) | instskip(NEXT) | instid1(VALU_DEP_2)
	v_mul_lo_u32 v6, v6, s16
	v_mul_lo_u32 v7, v7, s18
	s_delay_alu instid0(VALU_DEP_1) | instskip(NEXT) | instid1(VALU_DEP_1)
	v_sub_nc_u32_e32 v6, v6, v7
	v_cmp_lt_u32_e32 vcc_lo, s20, v6
	v_cmpx_ge_u32_e64 s20, v6
	s_cbranch_execz .LBB1911_88
; %bb.87:
	v_add_nc_u32_e32 v6, s22, v15
	v_add_nc_u32_e32 v7, s38, v15
	s_delay_alu instid0(VALU_DEP_2) | instskip(NEXT) | instid1(VALU_DEP_2)
	v_mul_lo_u32 v6, v6, s21
	v_mul_lo_u32 v7, v7, s23
	s_delay_alu instid0(VALU_DEP_1) | instskip(NEXT) | instid1(VALU_DEP_1)
	v_sub_nc_u32_e32 v6, v6, v7
	v_cmp_lt_u32_e64 s0, s39, v6
	s_and_b32 s3, s0, exec_lo
.LBB1911_88:
	s_wait_alu 0xfffe
	s_or_b32 exec_lo, exec_lo, s4
	v_cndmask_b32_e64 v6, 0, 1, s3
	s_wait_alu 0xfffd
	v_cndmask_b32_e64 v7, 0, 1, vcc_lo
	v_lshlrev_b16 v12, 8, v12
	v_and_b32_e32 v25, 0xff, v25
	v_lshlrev_b16 v11, 8, v11
	v_lshlrev_b16 v6, 8, v6
	v_and_b32_e32 v8, 0xff, v8
	v_lshlrev_b16 v10, 8, v10
	v_and_b32_e32 v9, 0xff, v9
	v_or_b32_e32 v12, v25, v12
	v_or_b32_e32 v7, v7, v11
	;; [unrolled: 1-line block ×3, first 2 shown]
	s_delay_alu instid0(VALU_DEP_4) | instskip(NEXT) | instid1(VALU_DEP_4)
	v_or_b32_e32 v8, v9, v10
	v_lshlrev_b32_e32 v9, 16, v12
	s_delay_alu instid0(VALU_DEP_4) | instskip(NEXT) | instid1(VALU_DEP_4)
	v_and_b32_e32 v7, 0xffff, v7
	v_and_b32_e32 v6, 0xffff, v6
	s_delay_alu instid0(VALU_DEP_4) | instskip(NEXT) | instid1(VALU_DEP_3)
	v_lshlrev_b32_e32 v8, 16, v8
	v_or_b32_e32 v7, v7, v9
	s_delay_alu instid0(VALU_DEP_2)
	v_or_b32_e32 v6, v6, v8
.LBB1911_89:
	s_wait_alu 0xfffe
	s_or_b32 exec_lo, exec_lo, s1
	v_add_nc_u32_e32 v8, 9, v46
	s_delay_alu instid0(VALU_DEP_2)
	v_lshrrev_b32_e32 v10, 8, v6
	v_lshrrev_b32_e32 v25, 24, v7
	;; [unrolled: 1-line block ×3, first 2 shown]
	v_and_b32_e32 v11, 0xff, v6
	v_cmp_le_u32_e32 vcc_lo, s27, v8
                                        ; implicit-def: $vgpr8
                                        ; implicit-def: $vgpr9
	s_and_saveexec_b32 s0, vcc_lo
	s_wait_alu 0xfffe
	s_xor_b32 s0, exec_lo, s0
	s_cbranch_execz .LBB1911_91
; %bb.90:
	v_lshlrev_b16 v8, 8, v10
	v_lshlrev_b16 v9, 8, v25
	v_and_b32_e32 v10, 0xff, v12
	v_perm_b32 v5, v5, v5, 0x3060504
                                        ; implicit-def: $vgpr25
                                        ; implicit-def: $vgpr12
	s_delay_alu instid0(VALU_DEP_4) | instskip(NEXT) | instid1(VALU_DEP_3)
	v_or_b32_e32 v8, v11, v8
                                        ; implicit-def: $vgpr11
	v_or_b32_e32 v9, v10, v9
                                        ; implicit-def: $vgpr10
	s_delay_alu instid0(VALU_DEP_2) | instskip(NEXT) | instid1(VALU_DEP_2)
	v_and_b32_e32 v8, 0xffff, v8
	v_perm_b32 v9, v9, v7, 0x5040c00
                                        ; implicit-def: $vgpr7
	s_delay_alu instid0(VALU_DEP_2)
	v_and_or_b32 v8, 0xff000000, v6, v8
                                        ; implicit-def: $vgpr6
.LBB1911_91:
	s_wait_alu 0xfffe
	s_and_not1_saveexec_b32 s1, s0
	s_cbranch_execz .LBB1911_95
; %bb.92:
	v_add_nc_u32_e32 v8, s17, v16
	v_add_nc_u32_e32 v9, s19, v16
	s_mov_b32 s3, 0
	s_mov_b32 s4, exec_lo
	s_delay_alu instid0(VALU_DEP_2) | instskip(NEXT) | instid1(VALU_DEP_2)
	v_mul_lo_u32 v8, v8, s16
	v_mul_lo_u32 v9, v9, s18
	s_delay_alu instid0(VALU_DEP_1) | instskip(NEXT) | instid1(VALU_DEP_1)
	v_sub_nc_u32_e32 v8, v8, v9
	v_cmp_lt_u32_e32 vcc_lo, s20, v8
	v_cmpx_ge_u32_e64 s20, v8
	s_cbranch_execz .LBB1911_94
; %bb.93:
	v_add_nc_u32_e32 v8, s22, v16
	v_add_nc_u32_e32 v9, s38, v16
	s_delay_alu instid0(VALU_DEP_2) | instskip(NEXT) | instid1(VALU_DEP_2)
	v_mul_lo_u32 v8, v8, s21
	v_mul_lo_u32 v9, v9, s23
	s_delay_alu instid0(VALU_DEP_1) | instskip(NEXT) | instid1(VALU_DEP_1)
	v_sub_nc_u32_e32 v8, v8, v9
	v_cmp_lt_u32_e64 s0, s39, v8
	s_and_b32 s3, s0, exec_lo
.LBB1911_94:
	s_wait_alu 0xfffe
	s_or_b32 exec_lo, exec_lo, s4
	s_wait_alu 0xfffd
	v_cndmask_b32_e64 v8, 0, 1, vcc_lo
	v_lshrrev_b32_e32 v6, 24, v6
	v_cndmask_b32_e64 v9, 0, 1, s3
	v_lshlrev_b16 v25, 8, v25
	v_and_b32_e32 v12, 0xff, v12
	v_lshlrev_b16 v8, 8, v8
	v_lshlrev_b16 v10, 8, v10
	v_and_b32_e32 v7, 0xff, v7
	v_lshlrev_b16 v6, 8, v6
	v_or_b32_e32 v12, v12, v25
	s_delay_alu instid0(VALU_DEP_4) | instskip(NEXT) | instid1(VALU_DEP_4)
	v_or_b32_e32 v10, v11, v10
	v_or_b32_e32 v7, v7, v8
	s_delay_alu instid0(VALU_DEP_4) | instskip(NEXT) | instid1(VALU_DEP_4)
	v_or_b32_e32 v6, v9, v6
	v_lshlrev_b32_e32 v8, 16, v12
	s_delay_alu instid0(VALU_DEP_4) | instskip(NEXT) | instid1(VALU_DEP_4)
	v_and_b32_e32 v10, 0xffff, v10
	v_and_b32_e32 v7, 0xffff, v7
	s_delay_alu instid0(VALU_DEP_4) | instskip(NEXT) | instid1(VALU_DEP_2)
	v_lshlrev_b32_e32 v6, 16, v6
	v_or_b32_e32 v9, v7, v8
	s_delay_alu instid0(VALU_DEP_2)
	v_or_b32_e32 v8, v10, v6
.LBB1911_95:
	s_wait_alu 0xfffe
	s_or_b32 exec_lo, exec_lo, s1
	v_add_nc_u32_e32 v6, 10, v46
	v_and_b32_e32 v7, 0xff, v9
	v_lshrrev_b32_e32 v10, 8, v9
                                        ; implicit-def: $vgpr51
	s_delay_alu instid0(VALU_DEP_3)
	v_cmp_le_u32_e32 vcc_lo, s27, v6
                                        ; implicit-def: $vgpr6
	s_and_saveexec_b32 s0, vcc_lo
	s_wait_alu 0xfffe
	s_xor_b32 s0, exec_lo, s0
	s_cbranch_execz .LBB1911_97
; %bb.96:
	v_lshlrev_b16 v6, 8, v10
	v_perm_b32 v5, v5, v5, 0x3060504
                                        ; implicit-def: $vgpr10
	s_delay_alu instid0(VALU_DEP_2) | instskip(SKIP_1) | instid1(VALU_DEP_2)
	v_or_b32_e32 v6, v7, v6
	v_and_b32_e32 v7, 0xff0000, v8
	v_and_b32_e32 v6, 0xffff, v6
	s_delay_alu instid0(VALU_DEP_2) | instskip(NEXT) | instid1(VALU_DEP_2)
	v_perm_b32 v51, v8, v7, 0x3020504
                                        ; implicit-def: $vgpr7
                                        ; implicit-def: $vgpr8
	v_and_or_b32 v6, 0xff000000, v9, v6
                                        ; implicit-def: $vgpr9
.LBB1911_97:
	s_wait_alu 0xfffe
	s_and_not1_saveexec_b32 s1, s0
	s_cbranch_execz .LBB1911_101
; %bb.98:
	v_add_nc_u32_e32 v6, s17, v13
	v_add_nc_u32_e32 v11, s19, v13
	s_mov_b32 s3, 0
	s_mov_b32 s4, exec_lo
	s_delay_alu instid0(VALU_DEP_2) | instskip(NEXT) | instid1(VALU_DEP_2)
	v_mul_lo_u32 v6, v6, s16
	v_mul_lo_u32 v11, v11, s18
	s_delay_alu instid0(VALU_DEP_1) | instskip(NEXT) | instid1(VALU_DEP_1)
	v_sub_nc_u32_e32 v6, v6, v11
	v_cmp_lt_u32_e32 vcc_lo, s20, v6
	v_cmpx_ge_u32_e64 s20, v6
	s_cbranch_execz .LBB1911_100
; %bb.99:
	v_add_nc_u32_e32 v6, s22, v13
	v_add_nc_u32_e32 v11, s38, v13
	s_delay_alu instid0(VALU_DEP_2) | instskip(NEXT) | instid1(VALU_DEP_2)
	v_mul_lo_u32 v6, v6, s21
	v_mul_lo_u32 v11, v11, s23
	s_delay_alu instid0(VALU_DEP_1) | instskip(NEXT) | instid1(VALU_DEP_1)
	v_sub_nc_u32_e32 v6, v6, v11
	v_cmp_lt_u32_e64 s0, s39, v6
	s_and_b32 s3, s0, exec_lo
.LBB1911_100:
	s_wait_alu 0xfffe
	s_or_b32 exec_lo, exec_lo, s4
	v_lshrrev_b32_e32 v9, 24, v9
	v_cndmask_b32_e64 v11, 0, 1, s3
	v_lshrrev_b32_e32 v12, 8, v8
	v_lshrrev_b32_e32 v25, 16, v8
	s_wait_alu 0xfffd
	v_cndmask_b32_e64 v6, 0, 1, vcc_lo
	v_lshlrev_b16 v10, 8, v10
	v_lshlrev_b16 v9, 8, v9
	v_and_b32_e32 v8, 0xff, v8
	v_lshlrev_b16 v12, 8, v12
	v_lshlrev_b16 v11, 8, v11
	v_and_b32_e32 v25, 0xff, v25
	v_or_b32_e32 v7, v7, v10
	v_or_b32_e32 v6, v6, v9
	;; [unrolled: 1-line block ×3, first 2 shown]
	s_delay_alu instid0(VALU_DEP_4) | instskip(NEXT) | instid1(VALU_DEP_4)
	v_or_b32_e32 v9, v25, v11
	v_and_b32_e32 v7, 0xffff, v7
	s_delay_alu instid0(VALU_DEP_4) | instskip(NEXT) | instid1(VALU_DEP_4)
	v_lshlrev_b32_e32 v6, 16, v6
	v_and_b32_e32 v8, 0xffff, v8
	s_delay_alu instid0(VALU_DEP_4) | instskip(NEXT) | instid1(VALU_DEP_3)
	v_lshlrev_b32_e32 v9, 16, v9
	v_or_b32_e32 v6, v7, v6
	s_delay_alu instid0(VALU_DEP_2)
	v_or_b32_e32 v51, v8, v9
.LBB1911_101:
	s_wait_alu 0xfffe
	s_or_b32 exec_lo, exec_lo, s1
	v_dual_mov_b32 v50, 0 :: v_dual_add_nc_u32 v7, 11, v46
	s_mov_b32 s0, exec_lo
                                        ; implicit-def: $vgpr52
	s_delay_alu instid0(VALU_DEP_1)
	v_cmpx_le_u32_e64 s27, v7
	s_wait_alu 0xfffe
	s_xor_b32 s0, exec_lo, s0
; %bb.102:
	v_and_b32_e32 v7, 0xff0000, v6
	v_perm_b32 v5, v5, v5, 0x3060504
	s_delay_alu instid0(VALU_DEP_2)
	v_perm_b32 v52, v6, v7, 0x3020504
                                        ; implicit-def: $vgpr6
; %bb.103:
	s_wait_alu 0xfffe
	s_and_not1_saveexec_b32 s1, s0
	s_cbranch_execz .LBB1911_107
; %bb.104:
	v_add_nc_u32_e32 v7, s17, v14
	v_add_nc_u32_e32 v8, s19, v14
	s_mov_b32 s3, 0
	s_mov_b32 s4, exec_lo
	s_delay_alu instid0(VALU_DEP_2) | instskip(NEXT) | instid1(VALU_DEP_2)
	v_mul_lo_u32 v7, v7, s16
	v_mul_lo_u32 v8, v8, s18
	s_delay_alu instid0(VALU_DEP_1) | instskip(NEXT) | instid1(VALU_DEP_1)
	v_sub_nc_u32_e32 v7, v7, v8
	v_cmp_lt_u32_e32 vcc_lo, s20, v7
	v_cmpx_ge_u32_e64 s20, v7
	s_cbranch_execz .LBB1911_106
; %bb.105:
	v_add_nc_u32_e32 v7, s22, v14
	v_add_nc_u32_e32 v8, s38, v14
	s_delay_alu instid0(VALU_DEP_2) | instskip(NEXT) | instid1(VALU_DEP_2)
	v_mul_lo_u32 v7, v7, s21
	v_mul_lo_u32 v8, v8, s23
	s_delay_alu instid0(VALU_DEP_1) | instskip(NEXT) | instid1(VALU_DEP_1)
	v_sub_nc_u32_e32 v7, v7, v8
	v_cmp_lt_u32_e64 s0, s39, v7
	s_and_b32 s3, s0, exec_lo
.LBB1911_106:
	s_wait_alu 0xfffe
	s_or_b32 exec_lo, exec_lo, s4
	v_lshrrev_b32_e32 v7, 8, v6
	s_wait_alu 0xfffd
	v_cndmask_b32_e64 v8, 0, 1, vcc_lo
	v_lshrrev_b32_e32 v9, 16, v6
	v_and_b32_e32 v6, 0xff, v6
	v_cndmask_b32_e64 v50, 0, 1, s3
	v_lshlrev_b16 v7, 8, v7
	v_lshlrev_b16 v8, 8, v8
	v_and_b32_e32 v9, 0xff, v9
	s_delay_alu instid0(VALU_DEP_3) | instskip(NEXT) | instid1(VALU_DEP_2)
	v_or_b32_e32 v6, v6, v7
	v_or_b32_e32 v7, v9, v8
	s_delay_alu instid0(VALU_DEP_2) | instskip(NEXT) | instid1(VALU_DEP_2)
	v_and_b32_e32 v6, 0xffff, v6
	v_lshlrev_b32_e32 v7, 16, v7
	s_delay_alu instid0(VALU_DEP_1)
	v_or_b32_e32 v52, v6, v7
.LBB1911_107:
	s_wait_alu 0xfffe
	s_or_b32 exec_lo, exec_lo, s1
	v_add_nc_u32_e32 v8, 12, v46
	v_lshrrev_b32_e32 v6, 8, v5
	v_lshrrev_b32_e32 v7, 16, v5
	;; [unrolled: 1-line block ×3, first 2 shown]
	s_mov_b32 s0, exec_lo
                                        ; implicit-def: $vgpr54
	v_cmpx_le_u32_e64 s27, v8
	s_wait_alu 0xfffe
	s_xor_b32 s0, exec_lo, s0
	s_cbranch_execz .LBB1911_109
; %bb.108:
	v_lshlrev_b16 v5, 8, v5
	v_and_b32_e32 v7, 0xff, v7
	v_lshlrev_b16 v6, 8, v6
	s_delay_alu instid0(VALU_DEP_2) | instskip(NEXT) | instid1(VALU_DEP_2)
	v_or_b32_e32 v5, v7, v5
	v_and_b32_e32 v6, 0xffff, v6
                                        ; implicit-def: $vgpr7
	s_delay_alu instid0(VALU_DEP_2) | instskip(NEXT) | instid1(VALU_DEP_1)
	v_lshlrev_b32_e32 v5, 16, v5
	v_or_b32_e32 v54, v6, v5
                                        ; implicit-def: $vgpr5
                                        ; implicit-def: $vgpr6
.LBB1911_109:
	s_wait_alu 0xfffe
	s_or_saveexec_b32 s1, s0
	v_mov_b32_e32 v53, 0
	s_wait_alu 0xfffe
	s_xor_b32 exec_lo, exec_lo, s1
	s_cbranch_execz .LBB1911_113
; %bb.110:
	v_add_nc_u32_e32 v8, s17, v45
	v_add_nc_u32_e32 v9, s19, v45
	s_mov_b32 s3, 0
	s_mov_b32 s4, exec_lo
	s_delay_alu instid0(VALU_DEP_2) | instskip(NEXT) | instid1(VALU_DEP_2)
	v_mul_lo_u32 v8, v8, s16
	v_mul_lo_u32 v9, v9, s18
	s_delay_alu instid0(VALU_DEP_1) | instskip(NEXT) | instid1(VALU_DEP_1)
	v_sub_nc_u32_e32 v8, v8, v9
	v_cmp_lt_u32_e32 vcc_lo, s20, v8
	v_cmpx_ge_u32_e64 s20, v8
	s_cbranch_execz .LBB1911_112
; %bb.111:
	v_add_nc_u32_e32 v8, s22, v45
	v_add_nc_u32_e32 v9, s38, v45
	s_delay_alu instid0(VALU_DEP_2) | instskip(NEXT) | instid1(VALU_DEP_2)
	v_mul_lo_u32 v8, v8, s21
	v_mul_lo_u32 v9, v9, s23
	s_delay_alu instid0(VALU_DEP_1) | instskip(NEXT) | instid1(VALU_DEP_1)
	v_sub_nc_u32_e32 v8, v8, v9
	v_cmp_lt_u32_e64 s0, s39, v8
	s_and_b32 s3, s0, exec_lo
.LBB1911_112:
	s_wait_alu 0xfffe
	s_or_b32 exec_lo, exec_lo, s4
	s_wait_alu 0xfffd
	v_cndmask_b32_e64 v8, 0, 1, vcc_lo
	v_lshlrev_b16 v5, 8, v5
	v_and_b32_e32 v7, 0xff, v7
	v_lshlrev_b16 v6, 8, v6
	v_cndmask_b32_e64 v53, 0, 1, s3
	s_delay_alu instid0(VALU_DEP_3) | instskip(NEXT) | instid1(VALU_DEP_3)
	v_or_b32_e32 v5, v7, v5
	v_or_b32_e32 v6, v8, v6
	s_delay_alu instid0(VALU_DEP_2) | instskip(NEXT) | instid1(VALU_DEP_2)
	v_lshlrev_b32_e32 v5, 16, v5
	v_and_b32_e32 v6, 0xffff, v6
	s_delay_alu instid0(VALU_DEP_1)
	v_or_b32_e32 v54, v6, v5
.LBB1911_113:
	s_or_b32 exec_lo, exec_lo, s1
.LBB1911_114:
	v_and_b32_e32 v77, 0xff, v47
	s_delay_alu instid0(VALU_DEP_2)
	v_bfe_u32 v78, v54, 8, 8
	v_bfe_u32 v74, v47, 8, 8
	;; [unrolled: 1-line block ×4, first 2 shown]
	v_lshrrev_b32_e32 v60, 24, v54
	v_lshrrev_b32_e32 v59, 24, v47
	v_and_b32_e32 v73, 0xff, v48
	v_and_b32_e32 v71, 0xff, v49
	v_bfe_u32 v72, v48, 8, 8
	v_add3_u32 v5, v74, v77, v76
	v_add3_u32 v6, v75, v78, v60
	v_bfe_u32 v69, v49, 8, 8
	v_bfe_u32 v70, v48, 16, 8
	v_bfe_u32 v65, v49, 16, 8
	v_lshrrev_b32_e32 v58, 24, v48
	v_add3_u32 v5, v5, v59, v71
	v_add3_u32 v6, v6, v73, v72
	v_lshrrev_b32_e32 v57, 24, v49
	v_and_b32_e32 v68, 0xff, v51
	v_and_b32_e32 v66, 0xff, v52
	v_bfe_u32 v67, v51, 8, 8
	v_add3_u32 v5, v5, v69, v65
	v_add3_u32 v6, v6, v70, v58
	v_bfe_u32 v63, v52, 8, 8
	v_bfe_u32 v64, v51, 16, 8
	;; [unrolled: 1-line block ×3, first 2 shown]
	v_lshrrev_b32_e32 v56, 24, v51
	v_add3_u32 v5, v5, v57, v66
	v_add3_u32 v6, v6, v68, v67
	v_mbcnt_lo_u32_b32 v79, -1, 0
	v_lshrrev_b32_e32 v55, 24, v52
	v_and_b32_e32 v61, 0xff, v50
	v_and_b32_e32 v7, 0xff, v54
	;; [unrolled: 1-line block ×3, first 2 shown]
	v_add3_u32 v5, v5, v63, v62
	v_add3_u32 v6, v6, v64, v56
	v_and_b32_e32 v81, 15, v79
	v_and_b32_e32 v83, 16, v79
	v_lshrrev_b32_e32 v80, 5, v0
	v_add3_u32 v84, v5, v55, v7
	v_add3_u32 v85, v6, v61, v8
	v_cmp_eq_u32_e64 s1, 0, v81
	v_cmp_lt_u32_e64 s0, 1, v81
	v_cmp_lt_u32_e64 s3, 3, v81
	v_or_b32_e32 v82, 31, v0
	s_cmp_lg_u32 s33, 0
	s_mov_b32 s4, -1
	v_cmp_lt_u32_e32 vcc_lo, 7, v81
	s_cbranch_scc0 .LBB1911_135
; %bb.115:
	v_mov_b32_dpp v6, v84 row_shr:1 row_mask:0xf bank_mask:0xf
	v_mov_b32_dpp v5, v85 row_shr:1 row_mask:0xf bank_mask:0xf
	s_mov_b32 s4, exec_lo
	s_delay_alu instid0(VALU_DEP_2) | instskip(SKIP_1) | instid1(VALU_DEP_1)
	v_add_nc_u32_e32 v6, v6, v84
	s_wait_alu 0xf1ff
	v_cndmask_b32_e64 v6, v6, v84, s1
	s_delay_alu instid0(VALU_DEP_1) | instskip(NEXT) | instid1(VALU_DEP_1)
	v_mov_b32_dpp v8, v6 row_shr:2 row_mask:0xf bank_mask:0xf
	v_add_nc_u32_e32 v8, v6, v8
	s_delay_alu instid0(VALU_DEP_1) | instskip(NEXT) | instid1(VALU_DEP_1)
	v_cndmask_b32_e64 v6, v6, v8, s0
	v_mov_b32_dpp v8, v6 row_shr:4 row_mask:0xf bank_mask:0xf
	s_delay_alu instid0(VALU_DEP_1) | instskip(NEXT) | instid1(VALU_DEP_1)
	v_add_nc_u32_e32 v8, v6, v8
	v_cndmask_b32_e64 v6, v6, v8, s3
	s_delay_alu instid0(VALU_DEP_1) | instskip(NEXT) | instid1(VALU_DEP_1)
	v_mov_b32_dpp v8, v6 row_shr:8 row_mask:0xf bank_mask:0xf
	v_add_nc_u32_e32 v8, v6, v8
	s_wait_alu 0xfffd
	s_delay_alu instid0(VALU_DEP_1) | instskip(NEXT) | instid1(VALU_DEP_1)
	v_dual_cndmask_b32 v6, v6, v8 :: v_dual_add_nc_u32 v5, v5, v85
	v_cndmask_b32_e64 v5, v5, v85, s1
	ds_swizzle_b32 v8, v6 offset:swizzle(BROADCAST,32,15)
	v_mov_b32_dpp v7, v5 row_shr:2 row_mask:0xf bank_mask:0xf
	s_delay_alu instid0(VALU_DEP_1) | instskip(NEXT) | instid1(VALU_DEP_1)
	v_add_nc_u32_e32 v7, v5, v7
	v_cndmask_b32_e64 v5, v5, v7, s0
	s_delay_alu instid0(VALU_DEP_1) | instskip(SKIP_2) | instid1(VALU_DEP_2)
	v_mov_b32_dpp v7, v5 row_shr:4 row_mask:0xf bank_mask:0xf
	s_wait_dscnt 0x0
	v_add_nc_u32_e32 v8, v6, v8
	v_add_nc_u32_e32 v7, v5, v7
	s_delay_alu instid0(VALU_DEP_1) | instskip(NEXT) | instid1(VALU_DEP_1)
	v_cndmask_b32_e64 v5, v5, v7, s3
	v_mov_b32_dpp v7, v5 row_shr:8 row_mask:0xf bank_mask:0xf
	s_delay_alu instid0(VALU_DEP_1) | instskip(NEXT) | instid1(VALU_DEP_1)
	v_add_nc_u32_e32 v7, v5, v7
	v_cndmask_b32_e32 v5, v5, v7, vcc_lo
	v_cmp_eq_u32_e32 vcc_lo, 0, v83
	ds_swizzle_b32 v7, v5 offset:swizzle(BROADCAST,32,15)
	s_wait_dscnt 0x0
	v_add_nc_u32_e32 v7, v5, v7
	v_cmpx_eq_u32_e64 v0, v82
; %bb.116:
	s_wait_alu 0xfffd
	s_delay_alu instid0(VALU_DEP_2)
	v_dual_cndmask_b32 v10, v7, v5 :: v_dual_lshlrev_b32 v11, 3, v80
	v_cndmask_b32_e32 v9, v8, v6, vcc_lo
	ds_store_b64 v11, v[9:10]
; %bb.117:
	s_wait_alu 0xfffe
	s_or_b32 exec_lo, exec_lo, s4
	s_delay_alu instid0(SALU_CYCLE_1)
	s_mov_b32 s4, exec_lo
	s_wait_loadcnt_dscnt 0x0
	s_barrier_signal -1
	s_barrier_wait -1
	global_inv scope:SCOPE_SE
	v_cmpx_gt_u32_e32 8, v0
	s_cbranch_execz .LBB1911_119
; %bb.118:
	v_lshlrev_b32_e32 v11, 3, v0
	v_and_b32_e32 v26, 7, v79
	ds_load_b64 v[9:10], v11
	v_cmp_eq_u32_e64 s3, 0, v26
	s_wait_dscnt 0x0
	v_mov_b32_dpp v12, v9 row_shr:1 row_mask:0xf bank_mask:0xf
	v_mov_b32_dpp v25, v10 row_shr:1 row_mask:0xf bank_mask:0xf
	s_delay_alu instid0(VALU_DEP_2) | instskip(NEXT) | instid1(VALU_DEP_2)
	v_add_nc_u32_e32 v12, v12, v9
	v_add_nc_u32_e32 v25, v25, v10
	s_wait_alu 0xf1ff
	s_delay_alu instid0(VALU_DEP_2) | instskip(NEXT) | instid1(VALU_DEP_2)
	v_cndmask_b32_e64 v9, v12, v9, s3
	v_cndmask_b32_e64 v10, v25, v10, s3
	v_cmp_lt_u32_e64 s3, 1, v26
	s_delay_alu instid0(VALU_DEP_3) | instskip(NEXT) | instid1(VALU_DEP_3)
	v_mov_b32_dpp v12, v9 row_shr:2 row_mask:0xf bank_mask:0xf
	v_mov_b32_dpp v25, v10 row_shr:2 row_mask:0xf bank_mask:0xf
	s_delay_alu instid0(VALU_DEP_2) | instskip(NEXT) | instid1(VALU_DEP_2)
	v_add_nc_u32_e32 v12, v9, v12
	v_add_nc_u32_e32 v25, v10, v25
	s_wait_alu 0xf1ff
	s_delay_alu instid0(VALU_DEP_2) | instskip(NEXT) | instid1(VALU_DEP_2)
	v_cndmask_b32_e64 v9, v9, v12, s3
	v_cndmask_b32_e64 v10, v10, v25, s3
	v_cmp_lt_u32_e64 s3, 3, v26
	s_delay_alu instid0(VALU_DEP_3) | instskip(NEXT) | instid1(VALU_DEP_3)
	v_mov_b32_dpp v12, v9 row_shr:4 row_mask:0xf bank_mask:0xf
	v_mov_b32_dpp v25, v10 row_shr:4 row_mask:0xf bank_mask:0xf
	s_wait_alu 0xf1ff
	s_delay_alu instid0(VALU_DEP_2) | instskip(NEXT) | instid1(VALU_DEP_2)
	v_cndmask_b32_e64 v12, 0, v12, s3
	v_cndmask_b32_e64 v25, 0, v25, s3
	s_delay_alu instid0(VALU_DEP_2) | instskip(NEXT) | instid1(VALU_DEP_2)
	v_add_nc_u32_e32 v9, v12, v9
	v_add_nc_u32_e32 v10, v25, v10
	ds_store_b64 v11, v[9:10]
.LBB1911_119:
	s_wait_alu 0xfffe
	s_or_b32 exec_lo, exec_lo, s4
	v_dual_cndmask_b32 v5, v7, v5 :: v_dual_cndmask_b32 v6, v8, v6
	s_mov_b32 s4, exec_lo
	v_cmp_gt_u32_e32 vcc_lo, 32, v0
	s_wait_loadcnt_dscnt 0x0
	s_barrier_signal -1
	s_barrier_wait -1
	global_inv scope:SCOPE_SE
                                        ; implicit-def: $vgpr25
	v_cmpx_lt_u32_e32 31, v0
	s_cbranch_execz .LBB1911_121
; %bb.120:
	v_lshl_add_u32 v7, v80, 3, -8
	ds_load_b64 v[25:26], v7
	s_wait_dscnt 0x0
	v_add_nc_u32_e32 v5, v26, v5
	v_add_nc_u32_e32 v6, v25, v6
.LBB1911_121:
	s_wait_alu 0xfffe
	s_or_b32 exec_lo, exec_lo, s4
	v_sub_co_u32 v7, s3, v79, 1
	s_delay_alu instid0(VALU_DEP_1) | instskip(SKIP_1) | instid1(VALU_DEP_1)
	v_cmp_gt_i32_e64 s4, 0, v7
	s_wait_alu 0xf1ff
	v_cndmask_b32_e64 v7, v7, v79, s4
	s_delay_alu instid0(VALU_DEP_1)
	v_lshlrev_b32_e32 v7, 2, v7
	ds_bpermute_b32 v86, v7, v6
	ds_bpermute_b32 v87, v7, v5
	s_and_saveexec_b32 s4, vcc_lo
	s_cbranch_execz .LBB1911_140
; %bb.122:
	v_mov_b32_e32 v8, 0
	ds_load_b64 v[5:6], v8 offset:56
	s_and_saveexec_b32 s5, s3
	s_cbranch_execz .LBB1911_124
; %bb.123:
	s_add_co_i32 s6, s33, 32
	s_mov_b32 s7, 0
	s_wait_alu 0xfffe
	s_lshl_b64 s[6:7], s[6:7], 4
	s_wait_alu 0xfffe
	s_add_nc_u64 s[6:7], s[36:37], s[6:7]
	s_wait_alu 0xfffe
	v_dual_mov_b32 v7, 1 :: v_dual_mov_b32 v10, s7
	v_mov_b32_e32 v9, s6
	s_wait_dscnt 0x0
	;;#ASMSTART
	global_store_b128 v[9:10], v[5:8] off scope:SCOPE_DEV	
s_wait_storecnt 0x0
	;;#ASMEND
.LBB1911_124:
	s_wait_alu 0xfffe
	s_or_b32 exec_lo, exec_lo, s5
	v_xad_u32 v27, v79, -1, s33
	s_mov_b32 s6, 0
	s_mov_b32 s5, exec_lo
	s_delay_alu instid0(VALU_DEP_1) | instskip(NEXT) | instid1(VALU_DEP_1)
	v_add_nc_u32_e32 v7, 32, v27
	v_lshlrev_b64_e32 v[7:8], 4, v[7:8]
	s_delay_alu instid0(VALU_DEP_1) | instskip(SKIP_1) | instid1(VALU_DEP_2)
	v_add_co_u32 v7, vcc_lo, s36, v7
	s_wait_alu 0xfffd
	v_add_co_ci_u32_e64 v8, null, s37, v8, vcc_lo
	;;#ASMSTART
	global_load_b128 v[9:12], v[7:8] off scope:SCOPE_DEV	
s_wait_loadcnt 0x0
	;;#ASMEND
	v_and_b32_e32 v12, 0xff, v11
	s_delay_alu instid0(VALU_DEP_1)
	v_cmpx_eq_u16_e32 0, v12
	s_cbranch_execz .LBB1911_127
.LBB1911_125:                           ; =>This Inner Loop Header: Depth=1
	;;#ASMSTART
	global_load_b128 v[9:12], v[7:8] off scope:SCOPE_DEV	
s_wait_loadcnt 0x0
	;;#ASMEND
	v_and_b32_e32 v12, 0xff, v11
	s_delay_alu instid0(VALU_DEP_1)
	v_cmp_ne_u16_e32 vcc_lo, 0, v12
	s_wait_alu 0xfffe
	s_or_b32 s6, vcc_lo, s6
	s_wait_alu 0xfffe
	s_and_not1_b32 exec_lo, exec_lo, s6
	s_cbranch_execnz .LBB1911_125
; %bb.126:
	s_or_b32 exec_lo, exec_lo, s6
.LBB1911_127:
	s_wait_alu 0xfffe
	s_or_b32 exec_lo, exec_lo, s5
	v_cmp_ne_u32_e32 vcc_lo, 31, v79
	v_lshlrev_b32_e64 v89, v79, -1
	v_add_nc_u32_e32 v91, 2, v79
	v_add_nc_u32_e32 v93, 4, v79
	;; [unrolled: 1-line block ×3, first 2 shown]
	s_wait_alu 0xfffd
	v_add_co_ci_u32_e64 v7, null, 0, v79, vcc_lo
	v_lshl_or_b32 v96, v79, 2, 64
	v_add_nc_u32_e32 v97, 16, v79
	s_delay_alu instid0(VALU_DEP_3) | instskip(SKIP_4) | instid1(VALU_DEP_1)
	v_lshlrev_b32_e32 v88, 2, v7
	ds_bpermute_b32 v8, v88, v10
	s_wait_dscnt 0x0
	v_add_nc_u32_e32 v8, v8, v10
	v_and_b32_e32 v7, 0xff, v11
	v_cmp_eq_u16_e32 vcc_lo, 2, v7
	ds_bpermute_b32 v7, v88, v9
	s_wait_dscnt 0x0
	v_add_nc_u32_e32 v7, v7, v9
	s_wait_alu 0xfffd
	v_and_b32_e32 v12, vcc_lo, v89
	v_cmp_gt_u32_e32 vcc_lo, 30, v79
	s_delay_alu instid0(VALU_DEP_2) | instskip(SKIP_2) | instid1(VALU_DEP_2)
	v_or_b32_e32 v12, 0x80000000, v12
	s_wait_alu 0xfffd
	v_cndmask_b32_e64 v28, 0, 2, vcc_lo
	v_ctz_i32_b32_e32 v12, v12
	s_delay_alu instid0(VALU_DEP_2) | instskip(NEXT) | instid1(VALU_DEP_2)
	v_add_lshl_u32 v90, v28, v79, 2
	v_cmp_lt_u32_e32 vcc_lo, v79, v12
	s_wait_alu 0xfffd
	v_dual_cndmask_b32 v8, v10, v8 :: v_dual_cndmask_b32 v7, v9, v7
	v_cmp_gt_u32_e32 vcc_lo, 28, v79
	ds_bpermute_b32 v9, v90, v8
	ds_bpermute_b32 v10, v90, v7
	s_wait_alu 0xfffd
	v_cndmask_b32_e64 v28, 0, 4, vcc_lo
	v_cmp_gt_u32_e32 vcc_lo, v91, v12
	s_delay_alu instid0(VALU_DEP_2)
	v_add_lshl_u32 v92, v28, v79, 2
	s_wait_dscnt 0x1
	v_add_nc_u32_e32 v9, v8, v9
	s_wait_dscnt 0x0
	v_add_nc_u32_e32 v10, v7, v10
	s_wait_alu 0xfffd
	s_delay_alu instid0(VALU_DEP_1)
	v_dual_cndmask_b32 v8, v9, v8 :: v_dual_cndmask_b32 v7, v10, v7
	v_cmp_gt_u32_e32 vcc_lo, 24, v79
	ds_bpermute_b32 v9, v92, v8
	ds_bpermute_b32 v10, v92, v7
	s_wait_alu 0xfffd
	v_cndmask_b32_e64 v28, 0, 8, vcc_lo
	v_cmp_gt_u32_e32 vcc_lo, v93, v12
	s_delay_alu instid0(VALU_DEP_2)
	v_add_lshl_u32 v94, v28, v79, 2
	s_wait_dscnt 0x1
	v_dual_mov_b32 v28, 0 :: v_dual_add_nc_u32 v9, v8, v9
	s_wait_dscnt 0x0
	v_add_nc_u32_e32 v10, v7, v10
	s_wait_alu 0xfffd
	s_delay_alu instid0(VALU_DEP_1)
	v_dual_cndmask_b32 v8, v9, v8 :: v_dual_cndmask_b32 v7, v10, v7
	v_cmp_gt_u32_e32 vcc_lo, v95, v12
	ds_bpermute_b32 v9, v94, v8
	ds_bpermute_b32 v10, v94, v7
	s_wait_dscnt 0x1
	v_add_nc_u32_e32 v9, v8, v9
	s_wait_dscnt 0x0
	v_add_nc_u32_e32 v10, v7, v10
	s_wait_alu 0xfffd
	s_delay_alu instid0(VALU_DEP_1)
	v_dual_cndmask_b32 v8, v9, v8 :: v_dual_cndmask_b32 v7, v10, v7
	v_cmp_le_u32_e32 vcc_lo, v97, v12
	ds_bpermute_b32 v10, v96, v8
	ds_bpermute_b32 v9, v96, v7
	s_wait_dscnt 0x0
	s_wait_alu 0xfffd
	v_dual_cndmask_b32 v10, 0, v10 :: v_dual_cndmask_b32 v9, 0, v9
	s_delay_alu instid0(VALU_DEP_1) | instskip(NEXT) | instid1(VALU_DEP_2)
	v_add_nc_u32_e32 v10, v10, v8
	v_add_nc_u32_e32 v9, v9, v7
	s_branch .LBB1911_131
.LBB1911_128:                           ;   in Loop: Header=BB1911_131 Depth=1
	s_or_b32 exec_lo, exec_lo, s6
.LBB1911_129:                           ;   in Loop: Header=BB1911_131 Depth=1
	s_wait_alu 0xfffe
	s_or_b32 exec_lo, exec_lo, s5
	ds_bpermute_b32 v12, v88, v9
	ds_bpermute_b32 v29, v88, v10
	v_subrev_nc_u32_e32 v27, 32, v27
	s_mov_b32 s5, 0
	s_wait_dscnt 0x1
	v_add_nc_u32_e32 v12, v12, v9
	v_and_b32_e32 v30, 0xff, v11
	s_wait_dscnt 0x0
	v_add_nc_u32_e32 v29, v29, v10
	s_delay_alu instid0(VALU_DEP_2) | instskip(SKIP_2) | instid1(VALU_DEP_1)
	v_cmp_eq_u16_e32 vcc_lo, 2, v30
	s_wait_alu 0xfffd
	v_and_or_b32 v30, vcc_lo, v89, 0x80000000
	v_ctz_i32_b32_e32 v30, v30
	s_delay_alu instid0(VALU_DEP_1)
	v_cmp_lt_u32_e32 vcc_lo, v79, v30
	s_wait_alu 0xfffd
	v_dual_cndmask_b32 v10, v10, v29 :: v_dual_cndmask_b32 v9, v9, v12
	v_cmp_gt_u32_e32 vcc_lo, v91, v30
	ds_bpermute_b32 v29, v90, v10
	ds_bpermute_b32 v12, v90, v9
	s_wait_dscnt 0x1
	v_add_nc_u32_e32 v29, v10, v29
	s_wait_dscnt 0x0
	v_add_nc_u32_e32 v12, v9, v12
	s_wait_alu 0xfffd
	s_delay_alu instid0(VALU_DEP_1)
	v_dual_cndmask_b32 v10, v29, v10 :: v_dual_cndmask_b32 v9, v12, v9
	v_cmp_gt_u32_e32 vcc_lo, v93, v30
	ds_bpermute_b32 v29, v92, v10
	ds_bpermute_b32 v12, v92, v9
	s_wait_dscnt 0x1
	v_add_nc_u32_e32 v29, v10, v29
	s_wait_dscnt 0x0
	v_add_nc_u32_e32 v12, v9, v12
	s_wait_alu 0xfffd
	s_delay_alu instid0(VALU_DEP_1)
	;; [unrolled: 10-line block ×3, first 2 shown]
	v_dual_cndmask_b32 v10, v29, v10 :: v_dual_cndmask_b32 v9, v12, v9
	v_cmp_le_u32_e32 vcc_lo, v97, v30
	ds_bpermute_b32 v29, v96, v10
	ds_bpermute_b32 v12, v96, v9
	s_wait_dscnt 0x0
	s_wait_alu 0xfffd
	v_dual_cndmask_b32 v29, 0, v29 :: v_dual_cndmask_b32 v12, 0, v12
	s_delay_alu instid0(VALU_DEP_1) | instskip(NEXT) | instid1(VALU_DEP_2)
	v_add3_u32 v10, v10, v8, v29
	v_add3_u32 v9, v9, v7, v12
.LBB1911_130:                           ;   in Loop: Header=BB1911_131 Depth=1
	s_wait_alu 0xfffe
	s_and_b32 vcc_lo, exec_lo, s5
	s_wait_alu 0xfffe
	s_cbranch_vccnz .LBB1911_136
.LBB1911_131:                           ; =>This Loop Header: Depth=1
                                        ;     Child Loop BB1911_134 Depth 2
	v_and_b32_e32 v7, 0xff, v11
	s_mov_b32 s5, -1
                                        ; implicit-def: $vgpr11
	s_delay_alu instid0(VALU_DEP_1)
	v_cmp_ne_u16_e32 vcc_lo, 2, v7
	v_dual_mov_b32 v7, v9 :: v_dual_mov_b32 v8, v10
                                        ; implicit-def: $vgpr9_vgpr10
	s_cmp_lg_u32 vcc_lo, exec_lo
	s_cbranch_scc1 .LBB1911_130
; %bb.132:                              ;   in Loop: Header=BB1911_131 Depth=1
	v_lshlrev_b64_e32 v[9:10], 4, v[27:28]
	s_mov_b32 s5, exec_lo
	s_delay_alu instid0(VALU_DEP_1) | instskip(SKIP_1) | instid1(VALU_DEP_2)
	v_add_co_u32 v29, vcc_lo, s36, v9
	s_wait_alu 0xfffd
	v_add_co_ci_u32_e64 v30, null, s37, v10, vcc_lo
	;;#ASMSTART
	global_load_b128 v[9:12], v[29:30] off scope:SCOPE_DEV	
s_wait_loadcnt 0x0
	;;#ASMEND
	v_and_b32_e32 v12, 0xff, v11
	s_delay_alu instid0(VALU_DEP_1)
	v_cmpx_eq_u16_e32 0, v12
	s_cbranch_execz .LBB1911_129
; %bb.133:                              ;   in Loop: Header=BB1911_131 Depth=1
	s_mov_b32 s6, 0
.LBB1911_134:                           ;   Parent Loop BB1911_131 Depth=1
                                        ; =>  This Inner Loop Header: Depth=2
	;;#ASMSTART
	global_load_b128 v[9:12], v[29:30] off scope:SCOPE_DEV	
s_wait_loadcnt 0x0
	;;#ASMEND
	v_and_b32_e32 v12, 0xff, v11
	s_delay_alu instid0(VALU_DEP_1)
	v_cmp_ne_u16_e32 vcc_lo, 0, v12
	s_wait_alu 0xfffe
	s_or_b32 s6, vcc_lo, s6
	s_wait_alu 0xfffe
	s_and_not1_b32 exec_lo, exec_lo, s6
	s_cbranch_execnz .LBB1911_134
	s_branch .LBB1911_128
.LBB1911_135:
                                        ; implicit-def: $vgpr29
                                        ; implicit-def: $vgpr7
                                        ; implicit-def: $vgpr86
	s_wait_alu 0xfffe
	s_and_b32 vcc_lo, exec_lo, s4
	s_wait_alu 0xfffe
	s_cbranch_vccnz .LBB1911_141
	s_branch .LBB1911_150
.LBB1911_136:
	s_and_saveexec_b32 s5, s3
	s_cbranch_execnz .LBB1911_378
; %bb.137:
	s_wait_alu 0xfffe
	s_or_b32 exec_lo, exec_lo, s5
	s_and_saveexec_b32 s5, s3
	s_cbranch_execnz .LBB1911_379
.LBB1911_138:
	s_wait_alu 0xfffe
	s_or_b32 exec_lo, exec_lo, s5
	s_delay_alu instid0(SALU_CYCLE_1)
	s_and_b32 exec_lo, exec_lo, s2
.LBB1911_139:
	v_mov_b32_e32 v5, 0
	ds_store_b64 v5, v[7:8] offset:56
.LBB1911_140:
	s_wait_alu 0xfffe
	s_or_b32 exec_lo, exec_lo, s4
	s_wait_dscnt 0x1
	v_cndmask_b32_e64 v12, v86, v25, s3
	v_mov_b32_e32 v5, 0
	s_wait_loadcnt_dscnt 0x0
	s_barrier_signal -1
	s_barrier_wait -1
	global_inv scope:SCOPE_SE
	ds_load_b64 v[9:10], v5 offset:56
	s_wait_loadcnt_dscnt 0x0
	s_barrier_signal -1
	s_barrier_wait -1
	global_inv scope:SCOPE_SE
	v_cndmask_b32_e64 v11, v87, v26, s3
	v_add_nc_u32_e32 v12, v9, v12
	ds_load_b128 v[5:8], v5 offset:13312
	v_add_nc_u32_e32 v11, v10, v11
	v_cndmask_b32_e64 v86, v12, v9, s2
	s_delay_alu instid0(VALU_DEP_2)
	v_cndmask_b32_e64 v29, v11, v10, s2
	s_branch .LBB1911_150
.LBB1911_141:
	s_wait_dscnt 0x0
	v_mov_b32_dpp v5, v84 row_shr:1 row_mask:0xf bank_mask:0xf
	v_cmp_lt_u32_e32 vcc_lo, 3, v81
	v_mov_b32_dpp v6, v85 row_shr:1 row_mask:0xf bank_mask:0xf
	s_delay_alu instid0(VALU_DEP_3) | instskip(NEXT) | instid1(VALU_DEP_1)
	v_add_nc_u32_e32 v5, v5, v84
	v_cndmask_b32_e64 v5, v5, v84, s1
	s_delay_alu instid0(VALU_DEP_1) | instskip(NEXT) | instid1(VALU_DEP_1)
	v_mov_b32_dpp v7, v5 row_shr:2 row_mask:0xf bank_mask:0xf
	v_add_nc_u32_e32 v7, v5, v7
	s_delay_alu instid0(VALU_DEP_1) | instskip(NEXT) | instid1(VALU_DEP_1)
	v_cndmask_b32_e64 v5, v5, v7, s0
	v_mov_b32_dpp v7, v5 row_shr:4 row_mask:0xf bank_mask:0xf
	s_delay_alu instid0(VALU_DEP_1) | instskip(SKIP_1) | instid1(VALU_DEP_1)
	v_add_nc_u32_e32 v7, v5, v7
	s_wait_alu 0xfffd
	v_dual_cndmask_b32 v7, v5, v7 :: v_dual_add_nc_u32 v6, v6, v85
	s_delay_alu instid0(VALU_DEP_1) | instskip(SKIP_1) | instid1(VALU_DEP_2)
	v_cndmask_b32_e64 v6, v6, v85, s1
	s_mov_b32 s1, exec_lo
	v_mov_b32_dpp v5, v7 row_shr:8 row_mask:0xf bank_mask:0xf
	s_delay_alu instid0(VALU_DEP_2) | instskip(NEXT) | instid1(VALU_DEP_2)
	v_mov_b32_dpp v8, v6 row_shr:2 row_mask:0xf bank_mask:0xf
	v_add_nc_u32_e32 v9, v7, v5
	s_delay_alu instid0(VALU_DEP_2) | instskip(NEXT) | instid1(VALU_DEP_1)
	v_add_nc_u32_e32 v8, v6, v8
	v_cndmask_b32_e64 v6, v6, v8, s0
	s_delay_alu instid0(VALU_DEP_1) | instskip(NEXT) | instid1(VALU_DEP_1)
	v_mov_b32_dpp v8, v6 row_shr:4 row_mask:0xf bank_mask:0xf
	v_add_nc_u32_e32 v8, v6, v8
	s_delay_alu instid0(VALU_DEP_1) | instskip(SKIP_1) | instid1(VALU_DEP_2)
	v_cndmask_b32_e32 v6, v6, v8, vcc_lo
	v_cmp_lt_u32_e32 vcc_lo, 7, v81
	v_mov_b32_dpp v8, v6 row_shr:8 row_mask:0xf bank_mask:0xf
	s_delay_alu instid0(VALU_DEP_1) | instskip(SKIP_1) | instid1(VALU_DEP_1)
	v_add_nc_u32_e32 v5, v6, v8
	s_wait_alu 0xfffd
	v_cndmask_b32_e32 v5, v6, v5, vcc_lo
	v_cndmask_b32_e32 v6, v7, v9, vcc_lo
	v_cmp_eq_u32_e32 vcc_lo, 0, v83
	ds_swizzle_b32 v7, v5 offset:swizzle(BROADCAST,32,15)
	ds_swizzle_b32 v8, v6 offset:swizzle(BROADCAST,32,15)
	s_wait_dscnt 0x1
	v_add_nc_u32_e32 v7, v5, v7
	s_wait_dscnt 0x0
	v_add_nc_u32_e32 v8, v6, v8
	v_cmpx_eq_u32_e64 v0, v82
; %bb.142:
	s_wait_alu 0xfffd
	s_delay_alu instid0(VALU_DEP_2)
	v_dual_cndmask_b32 v9, v8, v6 :: v_dual_cndmask_b32 v10, v7, v5
	v_lshlrev_b32_e32 v11, 3, v80
	ds_store_b64 v11, v[9:10]
; %bb.143:
	s_wait_alu 0xfffe
	s_or_b32 exec_lo, exec_lo, s1
	s_delay_alu instid0(SALU_CYCLE_1)
	s_mov_b32 s1, exec_lo
	s_wait_loadcnt_dscnt 0x0
	s_barrier_signal -1
	s_barrier_wait -1
	global_inv scope:SCOPE_SE
	v_cmpx_gt_u32_e32 8, v0
	s_cbranch_execz .LBB1911_145
; %bb.144:
	v_lshlrev_b32_e32 v11, 3, v0
	v_and_b32_e32 v26, 7, v79
	ds_load_b64 v[9:10], v11
	v_cmp_eq_u32_e64 s0, 0, v26
	s_wait_dscnt 0x0
	v_mov_b32_dpp v12, v9 row_shr:1 row_mask:0xf bank_mask:0xf
	v_mov_b32_dpp v25, v10 row_shr:1 row_mask:0xf bank_mask:0xf
	s_delay_alu instid0(VALU_DEP_2) | instskip(NEXT) | instid1(VALU_DEP_2)
	v_add_nc_u32_e32 v12, v12, v9
	v_add_nc_u32_e32 v25, v25, v10
	s_wait_alu 0xf1ff
	s_delay_alu instid0(VALU_DEP_2) | instskip(NEXT) | instid1(VALU_DEP_2)
	v_cndmask_b32_e64 v9, v12, v9, s0
	v_cndmask_b32_e64 v10, v25, v10, s0
	v_cmp_lt_u32_e64 s0, 1, v26
	s_delay_alu instid0(VALU_DEP_3) | instskip(NEXT) | instid1(VALU_DEP_3)
	v_mov_b32_dpp v12, v9 row_shr:2 row_mask:0xf bank_mask:0xf
	v_mov_b32_dpp v25, v10 row_shr:2 row_mask:0xf bank_mask:0xf
	s_delay_alu instid0(VALU_DEP_2) | instskip(NEXT) | instid1(VALU_DEP_2)
	v_add_nc_u32_e32 v12, v9, v12
	v_add_nc_u32_e32 v25, v10, v25
	s_wait_alu 0xf1ff
	s_delay_alu instid0(VALU_DEP_2) | instskip(NEXT) | instid1(VALU_DEP_2)
	v_cndmask_b32_e64 v9, v9, v12, s0
	v_cndmask_b32_e64 v10, v10, v25, s0
	v_cmp_lt_u32_e64 s0, 3, v26
	s_delay_alu instid0(VALU_DEP_3) | instskip(NEXT) | instid1(VALU_DEP_3)
	v_mov_b32_dpp v12, v9 row_shr:4 row_mask:0xf bank_mask:0xf
	v_mov_b32_dpp v25, v10 row_shr:4 row_mask:0xf bank_mask:0xf
	s_wait_alu 0xf1ff
	s_delay_alu instid0(VALU_DEP_2) | instskip(NEXT) | instid1(VALU_DEP_2)
	v_cndmask_b32_e64 v12, 0, v12, s0
	v_cndmask_b32_e64 v25, 0, v25, s0
	s_delay_alu instid0(VALU_DEP_2) | instskip(NEXT) | instid1(VALU_DEP_2)
	v_add_nc_u32_e32 v9, v12, v9
	v_add_nc_u32_e32 v10, v25, v10
	ds_store_b64 v11, v[9:10]
.LBB1911_145:
	s_wait_alu 0xfffe
	s_or_b32 exec_lo, exec_lo, s1
	v_dual_mov_b32 v11, 0 :: v_dual_mov_b32 v10, 0
	v_mov_b32_e32 v9, 0
	s_mov_b32 s1, exec_lo
	s_wait_loadcnt_dscnt 0x0
	s_barrier_signal -1
	s_barrier_wait -1
	global_inv scope:SCOPE_SE
	v_cmpx_lt_u32_e32 31, v0
; %bb.146:
	v_lshl_add_u32 v9, v80, 3, -8
	ds_load_b64 v[9:10], v9
; %bb.147:
	s_wait_alu 0xfffe
	s_or_b32 exec_lo, exec_lo, s1
	v_sub_co_u32 v12, s0, v79, 1
	v_dual_cndmask_b32 v6, v8, v6 :: v_dual_cndmask_b32 v5, v7, v5
	s_delay_alu instid0(VALU_DEP_2) | instskip(SKIP_1) | instid1(VALU_DEP_2)
	v_cmp_gt_i32_e64 s1, 0, v12
	s_wait_dscnt 0x0
	v_add_nc_u32_e32 v6, v9, v6
	s_delay_alu instid0(VALU_DEP_3) | instskip(SKIP_2) | instid1(VALU_DEP_1)
	v_add_nc_u32_e32 v5, v10, v5
	s_wait_alu 0xf1ff
	v_cndmask_b32_e64 v8, v12, v79, s1
	v_lshlrev_b32_e32 v7, 2, v8
	ds_bpermute_b32 v12, v7, v6
	ds_bpermute_b32 v25, v7, v5
	ds_load_b64 v[5:6], v11 offset:56
	s_and_saveexec_b32 s1, s2
	s_cbranch_execz .LBB1911_149
; %bb.148:
	s_add_nc_u64 s[4:5], s[36:37], 0x200
	v_dual_mov_b32 v7, 2 :: v_dual_mov_b32 v8, 0
	s_wait_alu 0xfffe
	v_dual_mov_b32 v27, s5 :: v_dual_mov_b32 v26, s4
	s_wait_dscnt 0x0
	;;#ASMSTART
	global_store_b128 v[26:27], v[5:8] off scope:SCOPE_DEV	
s_wait_storecnt 0x0
	;;#ASMEND
.LBB1911_149:
	s_wait_alu 0xfffe
	s_or_b32 exec_lo, exec_lo, s1
	s_wait_dscnt 0x1
	v_cndmask_b32_e64 v7, v25, v10, s0
	v_cndmask_b32_e64 v9, v12, v9, s0
	v_mov_b32_e32 v8, 0
	s_wait_loadcnt_dscnt 0x0
	s_barrier_signal -1
	v_cndmask_b32_e64 v29, v7, 0, s2
	v_cndmask_b32_e64 v86, v9, 0, s2
	v_mov_b32_e32 v7, 0
	s_barrier_wait -1
	global_inv scope:SCOPE_SE
.LBB1911_150:
	v_lshrrev_b32_e32 v81, 8, v54
	s_wait_dscnt 0x0
	v_add_co_u32 v1, vcc_lo, v1, v7
	s_wait_alu 0xfffd
	v_add_co_ci_u32_e64 v2, null, 0, v2, vcc_lo
	v_and_b32_e32 v81, 1, v81
	v_sub_co_u32 v84, vcc_lo, v3, v5
	s_wait_alu 0xfffd
	v_subrev_co_ci_u32_e64 v85, null, 0, v4, vcc_lo
	s_delay_alu instid0(VALU_DEP_3)
	v_cmp_eq_u32_e32 vcc_lo, 1, v81
	v_add_nc_u32_e32 v78, v29, v78
	v_sub_nc_u32_e32 v29, v29, v8
	v_lshlrev_b32_e32 v87, 1, v5
	v_lshrrev_b32_e32 v79, 16, v54
	v_lshrrev_b32_e32 v80, 8, v47
	v_add_nc_u32_e32 v75, v78, v75
	v_sub_nc_u32_e32 v78, v78, v8
	v_add_nc_u32_e32 v29, v29, v5
	v_add3_u32 v90, v87, v6, v46
	v_and_b32_e32 v79, 1, v79
	v_lshrrev_b32_e32 v30, 16, v47
	v_add_nc_u32_e32 v78, v78, v5
	v_add_nc_u32_e32 v77, v86, v77
	v_sub_nc_u32_e32 v86, v86, v7
	v_and_b32_e32 v47, 1, v47
	v_and_b32_e32 v80, 1, v80
	;; [unrolled: 1-line block ×3, first 2 shown]
	v_add_nc_u32_e32 v74, v77, v74
	v_sub_nc_u32_e32 v77, v77, v7
	v_add_nc_u32_e32 v46, v86, v29
	v_lshrrev_b32_e32 v28, 8, v48
	v_lshrrev_b32_e32 v27, 16, v48
	v_and_b32_e32 v48, 1, v48
	v_add_nc_u32_e32 v91, v78, v77
	v_sub_nc_u32_e32 v46, v90, v46
	v_and_b32_e32 v28, 1, v28
	v_lshrrev_b32_e32 v25, 16, v49
	v_lshrrev_b32_e32 v26, 8, v49
	v_sub_nc_u32_e32 v91, v90, v91
	s_wait_alu 0xfffd
	v_cndmask_b32_e32 v29, v46, v29, vcc_lo
	v_cmp_eq_u32_e32 vcc_lo, 1, v79
	v_lshrrev_b32_e32 v12, 8, v51
	v_and_b32_e32 v26, 1, v26
	v_add_nc_u32_e32 v91, 1, v91
	v_lshrrev_b32_e32 v10, 16, v51
	v_lshrrev_b32_e32 v11, 8, v52
	v_and_b32_e32 v12, 1, v12
	v_lshrrev_b32_e32 v9, 16, v52
	s_wait_alu 0xfffd
	v_cndmask_b32_e32 v46, v91, v78, vcc_lo
	v_cmp_eq_u32_e32 vcc_lo, 1, v47
	v_add_nc_u32_e32 v82, v75, v60
	v_sub_nc_u32_e32 v75, v75, v8
	v_and_b32_e32 v60, 1, v60
	v_and_b32_e32 v10, 1, v10
	s_wait_alu 0xfffd
	v_cndmask_b32_e32 v29, v29, v86, vcc_lo
	v_cmp_eq_u32_e32 vcc_lo, 1, v80
	v_add_nc_u32_e32 v75, v75, v5
	v_sub_nc_u32_e32 v80, v82, v8
	v_and_b32_e32 v11, 1, v11
	v_lshlrev_b32_e32 v29, 2, v29
	s_wait_alu 0xfffd
	v_cndmask_b32_e32 v77, v46, v77, vcc_lo
	v_add_nc_u32_e32 v76, v74, v76
	v_sub_nc_u32_e32 v74, v74, v7
	v_add_co_u32 v46, vcc_lo, v84, v8
	s_wait_alu 0xfffd
	v_add_co_ci_u32_e64 v47, null, 0, v85, vcc_lo
	s_delay_alu instid0(VALU_DEP_3)
	v_add_nc_u32_e32 v79, v75, v74
	v_cmp_eq_u32_e32 vcc_lo, 1, v60
	v_add_nc_u32_e32 v83, v76, v59
	v_lshlrev_b32_e32 v77, 2, v77
	ds_store_b32 v29, v23
	ds_store_b32 v77, v24
	v_sub_nc_u32_e32 v79, v90, v79
	v_and_b32_e32 v9, 1, v9
	s_delay_alu instid0(VALU_DEP_2) | instskip(SKIP_1) | instid1(VALU_DEP_1)
	v_add_nc_u32_e32 v79, 2, v79
	s_wait_alu 0xfffd
	v_dual_cndmask_b32 v60, v79, v75 :: v_dual_add_nc_u32 v73, v82, v73
	s_delay_alu instid0(VALU_DEP_1)
	v_add_nc_u32_e32 v72, v73, v72
	v_sub_nc_u32_e32 v75, v76, v7
	v_sub_nc_u32_e32 v73, v73, v8
	v_add_nc_u32_e32 v76, v80, v5
	v_cmp_eq_u32_e32 vcc_lo, 1, v30
	s_wait_alu 0xfffd
	s_delay_alu instid0(VALU_DEP_3)
	v_dual_cndmask_b32 v30, v60, v74 :: v_dual_add_nc_u32 v73, v73, v5
	v_sub_nc_u32_e32 v60, v83, v7
	v_add_nc_u32_e32 v74, v75, v76
	v_cmp_eq_u32_e32 vcc_lo, 1, v48
	v_and_b32_e32 v48, 1, v49
	v_lshlrev_b32_e32 v23, 2, v30
	v_add_nc_u32_e32 v24, v60, v73
	v_sub_nc_u32_e32 v29, v90, v74
	v_and_b32_e32 v30, 1, v59
	v_sub_nc_u32_e32 v59, v72, v8
	ds_store_b32 v23, v21
	v_sub_nc_u32_e32 v24, v90, v24
	v_add_nc_u32_e32 v29, 3, v29
	v_and_b32_e32 v23, 1, v27
	v_add_nc_u32_e32 v59, v59, v5
	s_delay_alu instid0(VALU_DEP_4)
	v_add_nc_u32_e32 v24, 4, v24
	s_wait_alu 0xfffd
	v_cndmask_b32_e32 v29, v29, v76, vcc_lo
	v_cmp_eq_u32_e32 vcc_lo, 1, v28
	s_wait_alu 0xfffd
	v_dual_cndmask_b32 v24, v24, v73 :: v_dual_add_nc_u32 v71, v83, v71
	s_delay_alu instid0(VALU_DEP_1) | instskip(SKIP_2) | instid1(VALU_DEP_3)
	v_add_nc_u32_e32 v69, v71, v69
	v_sub_nc_u32_e32 v71, v71, v7
	v_cmp_eq_u32_e32 vcc_lo, 1, v30
	v_add_nc_u32_e32 v65, v69, v65
	s_delay_alu instid0(VALU_DEP_3)
	v_add_nc_u32_e32 v49, v71, v59
	s_wait_alu 0xfffd
	v_cndmask_b32_e32 v28, v29, v75, vcc_lo
	v_cmp_eq_u32_e32 vcc_lo, 1, v48
	v_add_nc_u32_e32 v89, v65, v57
	v_sub_nc_u32_e32 v29, v90, v49
	s_delay_alu instid0(VALU_DEP_4)
	v_lshlrev_b32_e32 v21, 2, v28
	s_wait_alu 0xfffd
	v_cndmask_b32_e32 v24, v24, v60, vcc_lo
	v_cmp_eq_u32_e32 vcc_lo, 1, v23
	v_sub_nc_u32_e32 v48, v89, v7
	v_add_nc_u32_e32 v27, 5, v29
	v_add_nc_u32_e32 v66, v89, v66
	v_lshlrev_b32_e32 v24, 2, v24
	ds_store_b32 v21, v22
	ds_store_b32 v24, v19
	s_wait_alu 0xfffd
	v_cndmask_b32_e32 v23, v27, v59, vcc_lo
	v_cmp_eq_u32_e32 vcc_lo, 1, v26
	v_sub_nc_u32_e32 v27, v69, v7
	v_sub_nc_u32_e32 v26, v65, v7
	v_and_b32_e32 v24, 1, v58
	v_add_nc_u32_e32 v63, v66, v63
	s_wait_alu 0xfffd
	v_dual_cndmask_b32 v23, v23, v71 :: v_dual_add_nc_u32 v70, v72, v70
	s_delay_alu instid0(VALU_DEP_3) | instskip(SKIP_1) | instid1(VALU_DEP_3)
	v_cmp_eq_u32_e32 vcc_lo, 1, v24
	v_and_b32_e32 v24, 1, v57
	v_lshlrev_b32_e32 v19, 2, v23
	s_delay_alu instid0(VALU_DEP_4) | instskip(SKIP_3) | instid1(VALU_DEP_4)
	v_add_nc_u32_e32 v88, v70, v58
	v_sub_nc_u32_e32 v28, v70, v8
	v_and_b32_e32 v23, 1, v25
	v_add_nc_u32_e32 v62, v63, v62
	v_sub_nc_u32_e32 v29, v88, v8
	s_delay_alu instid0(VALU_DEP_4) | instskip(SKIP_1) | instid1(VALU_DEP_4)
	v_add_nc_u32_e32 v28, v28, v5
	v_add_nc_u32_e32 v68, v88, v68
	;; [unrolled: 1-line block ×3, first 2 shown]
	s_delay_alu instid0(VALU_DEP_4) | instskip(NEXT) | instid1(VALU_DEP_4)
	v_add_nc_u32_e32 v29, v29, v5
	v_add_nc_u32_e32 v30, v27, v28
	s_delay_alu instid0(VALU_DEP_4) | instskip(SKIP_1) | instid1(VALU_DEP_4)
	v_sub_nc_u32_e32 v25, v68, v8
	v_add_nc_u32_e32 v67, v68, v67
	v_add_nc_u32_e32 v21, v26, v29
	s_delay_alu instid0(VALU_DEP_4)
	v_sub_nc_u32_e32 v22, v90, v30
	v_and_b32_e32 v30, 1, v51
	v_add_nc_u32_e32 v25, v25, v5
	v_add_nc_u32_e32 v64, v67, v64
	v_sub_nc_u32_e32 v21, v90, v21
	v_add_nc_u32_e32 v22, 6, v22
	s_delay_alu instid0(VALU_DEP_3) | instskip(SKIP_1) | instid1(VALU_DEP_2)
	v_add_nc_u32_e32 v92, v64, v56
	s_wait_alu 0xfffd
	v_dual_cndmask_b32 v22, v22, v28 :: v_dual_add_nc_u32 v21, 7, v21
	v_cmp_eq_u32_e32 vcc_lo, 1, v30
	v_add_nc_u32_e32 v28, v48, v25
	v_add_nc_u32_e32 v61, v92, v61
	s_wait_alu 0xfffd
	v_cndmask_b32_e32 v21, v21, v29, vcc_lo
	v_cmp_eq_u32_e32 vcc_lo, 1, v23
	v_sub_nc_u32_e32 v23, v90, v28
	s_wait_alu 0xfffd
	v_cndmask_b32_e32 v22, v22, v27, vcc_lo
	v_cmp_eq_u32_e32 vcc_lo, 1, v24
	v_sub_nc_u32_e32 v24, v67, v8
	v_add_nc_u32_e32 v23, 8, v23
	v_sub_nc_u32_e32 v27, v66, v7
	v_lshlrev_b32_e32 v22, 2, v22
	s_wait_alu 0xfffd
	v_dual_cndmask_b32 v21, v21, v26 :: v_dual_add_nc_u32 v24, v24, v5
	v_cmp_eq_u32_e32 vcc_lo, 1, v12
	v_and_b32_e32 v26, 1, v52
	s_delay_alu instid0(VALU_DEP_3)
	v_lshlrev_b32_e32 v21, 2, v21
	ds_store_b32 v19, v20
	ds_store_b32 v22, v17
	;; [unrolled: 1-line block ×3, first 2 shown]
	s_wait_alu 0xfffd
	v_cndmask_b32_e32 v12, v23, v25, vcc_lo
	v_add_nc_u32_e32 v23, v27, v24
	v_cmp_eq_u32_e32 vcc_lo, 1, v26
	v_sub_nc_u32_e32 v18, v64, v8
	v_sub_nc_u32_e32 v19, v63, v7
	;; [unrolled: 1-line block ×4, first 2 shown]
	s_wait_alu 0xfffd
	v_cndmask_b32_e32 v12, v12, v48, vcc_lo
	v_add_nc_u32_e32 v18, v18, v5
	v_cmp_eq_u32_e32 vcc_lo, 1, v10
	v_add_nc_u32_e32 v20, v20, v5
	v_add_nc_u32_e32 v17, 9, v17
	v_lshlrev_b32_e32 v12, 2, v12
	v_add_nc_u32_e32 v21, v19, v18
	v_and_b32_e32 v22, 1, v50
	s_wait_alu 0xfffd
	v_cndmask_b32_e32 v10, v17, v24, vcc_lo
	v_sub_nc_u32_e32 v17, v62, v7
	ds_store_b32 v12, v15
	v_cmp_eq_u32_e32 vcc_lo, 1, v11
	v_sub_nc_u32_e32 v12, v90, v21
	v_and_b32_e32 v15, 1, v56
	v_add_nc_u32_e32 v11, v17, v20
	v_sub_nc_u32_e32 v21, v61, v8
	s_wait_alu 0xfffd
	v_cndmask_b32_e32 v10, v10, v27, vcc_lo
	v_add_nc_u32_e32 v12, 10, v12
	v_cmp_eq_u32_e32 vcc_lo, 1, v15
	v_sub_nc_u32_e32 v11, v90, v11
	v_sub_nc_u32_e32 v7, v78, v7
	v_add_nc_u32_e32 v21, v21, v5
	s_wait_alu 0xfffd
	v_dual_cndmask_b32 v12, v12, v18 :: v_dual_and_b32 v15, 1, v55
	v_add_nc_u32_e32 v11, 11, v11
	v_cmp_eq_u32_e32 vcc_lo, 1, v22
	v_add_nc_u32_e32 v18, v7, v21
	s_wait_alu 0xfffd
	s_delay_alu instid0(VALU_DEP_3)
	v_dual_cndmask_b32 v11, v11, v20 :: v_dual_lshlrev_b32 v10, 2, v10
	v_cmp_eq_u32_e32 vcc_lo, 1, v9
	s_wait_alu 0xfffd
	v_cndmask_b32_e32 v9, v12, v19, vcc_lo
	v_cmp_eq_u32_e32 vcc_lo, 1, v15
	v_sub_nc_u32_e32 v12, v90, v18
	v_and_b32_e32 v15, 1, v53
	s_delay_alu instid0(VALU_DEP_4) | instskip(SKIP_1) | instid1(VALU_DEP_3)
	v_lshlrev_b32_e32 v9, 2, v9
	s_wait_alu 0xfffd
	v_dual_cndmask_b32 v11, v11, v17 :: v_dual_add_nc_u32 v12, 12, v12
	v_and_b32_e32 v17, 1, v54
	v_cmp_eq_u32_e32 vcc_lo, 1, v15
	s_delay_alu instid0(VALU_DEP_3)
	v_lshlrev_b32_e32 v11, 2, v11
	ds_store_b32 v10, v16
	ds_store_b32 v9, v13
	;; [unrolled: 1-line block ×3, first 2 shown]
	s_wait_alu 0xfffd
	v_cndmask_b32_e32 v12, v12, v21, vcc_lo
	v_cmp_eq_u32_e32 vcc_lo, 1, v17
	v_add_co_u32 v9, s0, v6, v87
	s_wait_alu 0xf1ff
	v_add_co_ci_u32_e64 v10, null, 0, 0, s0
	s_wait_alu 0xfffd
	v_cndmask_b32_e32 v7, v12, v7, vcc_lo
	v_add_co_u32 v9, vcc_lo, v9, v46
	s_wait_alu 0xfffd
	v_add_co_ci_u32_e64 v10, null, v10, v47, vcc_lo
	s_delay_alu instid0(VALU_DEP_3)
	v_lshlrev_b32_e32 v7, 2, v7
	v_add_co_u32 v11, s0, s34, v43
	v_add_co_u32 v9, vcc_lo, v9, v1
	s_wait_alu 0xf1ff
	v_add_co_ci_u32_e64 v12, null, s35, 0, s0
	s_wait_alu 0xfffd
	v_add_co_ci_u32_e64 v10, null, v10, v2, vcc_lo
	ds_store_b32 v7, v45
	v_sub_co_u32 v7, vcc_lo, v11, v9
	s_wait_alu 0xfffd
	v_sub_co_ci_u32_e64 v13, null, v12, v10, vcc_lo
	v_lshlrev_b64_e32 v[9:10], 2, v[46:47]
	v_lshlrev_b64_e32 v[11:12], 2, v[1:2]
	v_add_nc_u32_e32 v14, v5, v6
	s_wait_loadcnt_dscnt 0x0
	s_barrier_signal -1
	s_barrier_wait -1
	v_add_co_u32 v9, vcc_lo, s30, v9
	s_wait_alu 0xfffd
	v_add_co_ci_u32_e64 v10, null, s31, v10, vcc_lo
	v_cmp_ne_u32_e32 vcc_lo, 1, v44
	v_add_co_u32 v11, s0, s28, v11
	s_wait_alu 0xf1ff
	v_add_co_ci_u32_e64 v12, null, s29, v12, s0
	s_mov_b32 s0, -1
	global_inv scope:SCOPE_SE
	s_cbranch_vccz .LBB1911_154
; %bb.151:
	s_wait_alu 0xfffe
	s_and_b32 vcc_lo, exec_lo, s0
	s_wait_alu 0xfffe
	s_cbranch_vccnz .LBB1911_259
.LBB1911_152:
	s_and_b32 s0, s2, s26
	s_wait_alu 0xfffe
	s_and_saveexec_b32 s1, s0
	s_cbranch_execnz .LBB1911_377
.LBB1911_153:
	s_nop 0
	s_sendmsg sendmsg(MSG_DEALLOC_VGPRS)
	s_endpgm
.LBB1911_154:
	s_mov_b32 s0, exec_lo
	v_cmpx_ge_u32_e64 v0, v5
	s_wait_alu 0xfffe
	s_xor_b32 s0, exec_lo, s0
	s_cbranch_execz .LBB1911_160
; %bb.155:
	s_mov_b32 s1, exec_lo
	v_cmpx_ge_u32_e64 v0, v14
	s_wait_alu 0xfffe
	s_xor_b32 s1, exec_lo, s1
	s_cbranch_execz .LBB1911_157
; %bb.156:
	v_lshlrev_b32_e32 v15, 2, v0
	ds_load_b32 v17, v15
	v_add_co_u32 v15, vcc_lo, v7, v0
	s_wait_alu 0xfffd
	v_add_co_ci_u32_e64 v16, null, 0, v13, vcc_lo
	s_delay_alu instid0(VALU_DEP_1) | instskip(NEXT) | instid1(VALU_DEP_1)
	v_lshlrev_b64_e32 v[15:16], 2, v[15:16]
	v_sub_co_u32 v15, vcc_lo, s14, v15
	s_wait_alu 0xfffd
	s_delay_alu instid0(VALU_DEP_2)
	v_sub_co_ci_u32_e64 v16, null, s15, v16, vcc_lo
	s_wait_dscnt 0x0
	global_store_b32 v[15:16], v17, off offset:-4
.LBB1911_157:
	s_wait_alu 0xfffe
	s_and_not1_saveexec_b32 s1, s1
	s_cbranch_execz .LBB1911_159
; %bb.158:
	v_lshlrev_b32_e32 v15, 2, v0
	v_readfirstlane_b32 s4, v9
	v_readfirstlane_b32 s5, v10
	ds_load_b32 v16, v15
	s_wait_dscnt 0x0
	global_store_b32 v15, v16, s[4:5]
.LBB1911_159:
	s_wait_alu 0xfffe
	s_or_b32 exec_lo, exec_lo, s1
.LBB1911_160:
	s_wait_alu 0xfffe
	s_and_not1_saveexec_b32 s0, s0
	s_cbranch_execz .LBB1911_162
; %bb.161:
	v_lshlrev_b32_e32 v15, 2, v0
	v_readfirstlane_b32 s4, v11
	v_readfirstlane_b32 s5, v12
	ds_load_b32 v16, v15
	s_wait_dscnt 0x0
	global_store_b32 v15, v16, s[4:5]
.LBB1911_162:
	s_wait_alu 0xfffe
	s_or_b32 exec_lo, exec_lo, s0
	s_delay_alu instid0(SALU_CYCLE_1)
	s_mov_b32 s0, exec_lo
	v_cmpx_ge_u32_e64 v42, v5
	s_wait_alu 0xfffe
	s_xor_b32 s0, exec_lo, s0
	s_cbranch_execz .LBB1911_168
; %bb.163:
	s_mov_b32 s1, exec_lo
	v_cmpx_ge_u32_e64 v42, v14
	s_wait_alu 0xfffe
	s_xor_b32 s1, exec_lo, s1
	s_cbranch_execz .LBB1911_165
; %bb.164:
	v_lshlrev_b32_e32 v15, 2, v0
	ds_load_b32 v17, v15 offset:1024
	v_add_co_u32 v15, vcc_lo, v7, v0
	s_wait_alu 0xfffd
	v_add_co_ci_u32_e64 v16, null, 0, v13, vcc_lo
	s_delay_alu instid0(VALU_DEP_1) | instskip(NEXT) | instid1(VALU_DEP_1)
	v_lshlrev_b64_e32 v[15:16], 2, v[15:16]
	v_sub_co_u32 v15, vcc_lo, s14, v15
	s_wait_alu 0xfffd
	s_delay_alu instid0(VALU_DEP_2)
	v_sub_co_ci_u32_e64 v16, null, s15, v16, vcc_lo
	s_wait_dscnt 0x0
	global_store_b32 v[15:16], v17, off offset:-1028
.LBB1911_165:
	s_wait_alu 0xfffe
	s_and_not1_saveexec_b32 s1, s1
	s_cbranch_execz .LBB1911_167
; %bb.166:
	v_lshlrev_b32_e32 v15, 2, v0
	v_readfirstlane_b32 s4, v9
	v_readfirstlane_b32 s5, v10
	ds_load_b32 v16, v15 offset:1024
	s_wait_dscnt 0x0
	global_store_b32 v15, v16, s[4:5] offset:1024
.LBB1911_167:
	s_wait_alu 0xfffe
	s_or_b32 exec_lo, exec_lo, s1
.LBB1911_168:
	s_wait_alu 0xfffe
	s_and_not1_saveexec_b32 s0, s0
	s_cbranch_execz .LBB1911_170
; %bb.169:
	v_lshlrev_b32_e32 v15, 2, v0
	v_readfirstlane_b32 s4, v11
	v_readfirstlane_b32 s5, v12
	ds_load_b32 v16, v15 offset:1024
	s_wait_dscnt 0x0
	global_store_b32 v15, v16, s[4:5] offset:1024
.LBB1911_170:
	s_wait_alu 0xfffe
	s_or_b32 exec_lo, exec_lo, s0
	s_delay_alu instid0(SALU_CYCLE_1)
	s_mov_b32 s0, exec_lo
	v_cmpx_ge_u32_e64 v41, v5
	s_wait_alu 0xfffe
	s_xor_b32 s0, exec_lo, s0
	s_cbranch_execz .LBB1911_176
; %bb.171:
	s_mov_b32 s1, exec_lo
	v_cmpx_ge_u32_e64 v41, v14
	s_wait_alu 0xfffe
	s_xor_b32 s1, exec_lo, s1
	s_cbranch_execz .LBB1911_173
; %bb.172:
	v_lshlrev_b32_e32 v15, 2, v0
	ds_load_b32 v17, v15 offset:2048
	v_add_co_u32 v15, vcc_lo, v7, v0
	s_wait_alu 0xfffd
	v_add_co_ci_u32_e64 v16, null, 0, v13, vcc_lo
	s_delay_alu instid0(VALU_DEP_1) | instskip(NEXT) | instid1(VALU_DEP_1)
	v_lshlrev_b64_e32 v[15:16], 2, v[15:16]
	v_sub_co_u32 v15, vcc_lo, s14, v15
	s_wait_alu 0xfffd
	s_delay_alu instid0(VALU_DEP_2)
	v_sub_co_ci_u32_e64 v16, null, s15, v16, vcc_lo
	s_wait_dscnt 0x0
	global_store_b32 v[15:16], v17, off offset:-2052
.LBB1911_173:
	s_wait_alu 0xfffe
	s_and_not1_saveexec_b32 s1, s1
	s_cbranch_execz .LBB1911_175
; %bb.174:
	v_lshlrev_b32_e32 v15, 2, v0
	v_readfirstlane_b32 s4, v9
	v_readfirstlane_b32 s5, v10
	ds_load_b32 v16, v15 offset:2048
	s_wait_dscnt 0x0
	global_store_b32 v15, v16, s[4:5] offset:2048
.LBB1911_175:
	s_wait_alu 0xfffe
	s_or_b32 exec_lo, exec_lo, s1
.LBB1911_176:
	s_wait_alu 0xfffe
	s_and_not1_saveexec_b32 s0, s0
	s_cbranch_execz .LBB1911_178
; %bb.177:
	v_lshlrev_b32_e32 v15, 2, v0
	v_readfirstlane_b32 s4, v11
	v_readfirstlane_b32 s5, v12
	ds_load_b32 v16, v15 offset:2048
	s_wait_dscnt 0x0
	global_store_b32 v15, v16, s[4:5] offset:2048
.LBB1911_178:
	;; [unrolled: 54-line block ×12, first 2 shown]
	s_wait_alu 0xfffe
	s_or_b32 exec_lo, exec_lo, s0
	s_branch .LBB1911_152
.LBB1911_259:
	s_mov_b32 s0, exec_lo
	v_cmpx_gt_u32_e64 s27, v0
	s_cbranch_execz .LBB1911_268
; %bb.260:
	s_mov_b32 s1, exec_lo
	v_cmpx_ge_u32_e64 v0, v5
	s_wait_alu 0xfffe
	s_xor_b32 s1, exec_lo, s1
	s_cbranch_execz .LBB1911_266
; %bb.261:
	s_mov_b32 s3, exec_lo
	v_cmpx_ge_u32_e64 v0, v14
	s_wait_alu 0xfffe
	s_xor_b32 s3, exec_lo, s3
	s_cbranch_execz .LBB1911_263
; %bb.262:
	v_lshlrev_b32_e32 v15, 2, v0
	ds_load_b32 v17, v15
	v_add_co_u32 v15, vcc_lo, v7, v0
	s_wait_alu 0xfffd
	v_add_co_ci_u32_e64 v16, null, 0, v13, vcc_lo
	s_delay_alu instid0(VALU_DEP_1) | instskip(NEXT) | instid1(VALU_DEP_1)
	v_lshlrev_b64_e32 v[15:16], 2, v[15:16]
	v_sub_co_u32 v15, vcc_lo, s14, v15
	s_wait_alu 0xfffd
	s_delay_alu instid0(VALU_DEP_2)
	v_sub_co_ci_u32_e64 v16, null, s15, v16, vcc_lo
	s_wait_dscnt 0x0
	global_store_b32 v[15:16], v17, off offset:-4
.LBB1911_263:
	s_wait_alu 0xfffe
	s_and_not1_saveexec_b32 s3, s3
	s_cbranch_execz .LBB1911_265
; %bb.264:
	v_lshlrev_b32_e32 v15, 2, v0
	v_readfirstlane_b32 s4, v9
	v_readfirstlane_b32 s5, v10
	ds_load_b32 v16, v15
	s_wait_dscnt 0x0
	global_store_b32 v15, v16, s[4:5]
.LBB1911_265:
	s_wait_alu 0xfffe
	s_or_b32 exec_lo, exec_lo, s3
.LBB1911_266:
	s_wait_alu 0xfffe
	s_and_not1_saveexec_b32 s1, s1
	s_cbranch_execz .LBB1911_268
; %bb.267:
	v_lshlrev_b32_e32 v15, 2, v0
	v_readfirstlane_b32 s4, v11
	v_readfirstlane_b32 s5, v12
	ds_load_b32 v16, v15
	s_wait_dscnt 0x0
	global_store_b32 v15, v16, s[4:5]
.LBB1911_268:
	s_wait_alu 0xfffe
	s_or_b32 exec_lo, exec_lo, s0
	s_delay_alu instid0(SALU_CYCLE_1)
	s_mov_b32 s0, exec_lo
	v_cmpx_gt_u32_e64 s27, v42
	s_cbranch_execz .LBB1911_277
; %bb.269:
	s_mov_b32 s1, exec_lo
	v_cmpx_ge_u32_e64 v42, v5
	s_wait_alu 0xfffe
	s_xor_b32 s1, exec_lo, s1
	s_cbranch_execz .LBB1911_275
; %bb.270:
	s_mov_b32 s3, exec_lo
	v_cmpx_ge_u32_e64 v42, v14
	s_wait_alu 0xfffe
	s_xor_b32 s3, exec_lo, s3
	s_cbranch_execz .LBB1911_272
; %bb.271:
	v_lshlrev_b32_e32 v15, 2, v0
	ds_load_b32 v17, v15 offset:1024
	v_add_co_u32 v15, vcc_lo, v7, v0
	s_wait_alu 0xfffd
	v_add_co_ci_u32_e64 v16, null, 0, v13, vcc_lo
	s_delay_alu instid0(VALU_DEP_1) | instskip(NEXT) | instid1(VALU_DEP_1)
	v_lshlrev_b64_e32 v[15:16], 2, v[15:16]
	v_sub_co_u32 v15, vcc_lo, s14, v15
	s_wait_alu 0xfffd
	s_delay_alu instid0(VALU_DEP_2)
	v_sub_co_ci_u32_e64 v16, null, s15, v16, vcc_lo
	s_wait_dscnt 0x0
	global_store_b32 v[15:16], v17, off offset:-1028
.LBB1911_272:
	s_wait_alu 0xfffe
	s_and_not1_saveexec_b32 s3, s3
	s_cbranch_execz .LBB1911_274
; %bb.273:
	v_lshlrev_b32_e32 v15, 2, v0
	v_readfirstlane_b32 s4, v9
	v_readfirstlane_b32 s5, v10
	ds_load_b32 v16, v15 offset:1024
	s_wait_dscnt 0x0
	global_store_b32 v15, v16, s[4:5] offset:1024
.LBB1911_274:
	s_wait_alu 0xfffe
	s_or_b32 exec_lo, exec_lo, s3
.LBB1911_275:
	s_wait_alu 0xfffe
	s_and_not1_saveexec_b32 s1, s1
	s_cbranch_execz .LBB1911_277
; %bb.276:
	v_lshlrev_b32_e32 v15, 2, v0
	v_readfirstlane_b32 s4, v11
	v_readfirstlane_b32 s5, v12
	ds_load_b32 v16, v15 offset:1024
	s_wait_dscnt 0x0
	global_store_b32 v15, v16, s[4:5] offset:1024
.LBB1911_277:
	s_wait_alu 0xfffe
	s_or_b32 exec_lo, exec_lo, s0
	s_delay_alu instid0(SALU_CYCLE_1)
	s_mov_b32 s0, exec_lo
	v_cmpx_gt_u32_e64 s27, v41
	s_cbranch_execz .LBB1911_286
; %bb.278:
	s_mov_b32 s1, exec_lo
	v_cmpx_ge_u32_e64 v41, v5
	s_wait_alu 0xfffe
	s_xor_b32 s1, exec_lo, s1
	s_cbranch_execz .LBB1911_284
; %bb.279:
	s_mov_b32 s3, exec_lo
	v_cmpx_ge_u32_e64 v41, v14
	s_wait_alu 0xfffe
	s_xor_b32 s3, exec_lo, s3
	s_cbranch_execz .LBB1911_281
; %bb.280:
	v_lshlrev_b32_e32 v15, 2, v0
	ds_load_b32 v17, v15 offset:2048
	v_add_co_u32 v15, vcc_lo, v7, v0
	s_wait_alu 0xfffd
	v_add_co_ci_u32_e64 v16, null, 0, v13, vcc_lo
	s_delay_alu instid0(VALU_DEP_1) | instskip(NEXT) | instid1(VALU_DEP_1)
	v_lshlrev_b64_e32 v[15:16], 2, v[15:16]
	v_sub_co_u32 v15, vcc_lo, s14, v15
	s_wait_alu 0xfffd
	s_delay_alu instid0(VALU_DEP_2)
	v_sub_co_ci_u32_e64 v16, null, s15, v16, vcc_lo
	s_wait_dscnt 0x0
	global_store_b32 v[15:16], v17, off offset:-2052
.LBB1911_281:
	s_wait_alu 0xfffe
	s_and_not1_saveexec_b32 s3, s3
	s_cbranch_execz .LBB1911_283
; %bb.282:
	v_lshlrev_b32_e32 v15, 2, v0
	v_readfirstlane_b32 s4, v9
	v_readfirstlane_b32 s5, v10
	ds_load_b32 v16, v15 offset:2048
	s_wait_dscnt 0x0
	global_store_b32 v15, v16, s[4:5] offset:2048
.LBB1911_283:
	s_wait_alu 0xfffe
	s_or_b32 exec_lo, exec_lo, s3
.LBB1911_284:
	s_wait_alu 0xfffe
	s_and_not1_saveexec_b32 s1, s1
	s_cbranch_execz .LBB1911_286
; %bb.285:
	v_lshlrev_b32_e32 v15, 2, v0
	v_readfirstlane_b32 s4, v11
	v_readfirstlane_b32 s5, v12
	ds_load_b32 v16, v15 offset:2048
	s_wait_dscnt 0x0
	global_store_b32 v15, v16, s[4:5] offset:2048
.LBB1911_286:
	;; [unrolled: 58-line block ×11, first 2 shown]
	s_wait_alu 0xfffe
	s_or_b32 exec_lo, exec_lo, s0
	s_delay_alu instid0(SALU_CYCLE_1)
	s_mov_b32 s0, exec_lo
	v_cmpx_gt_u32_e64 s27, v31
	s_cbranch_execz .LBB1911_376
; %bb.368:
	s_mov_b32 s1, exec_lo
	v_cmpx_ge_u32_e64 v31, v5
	s_wait_alu 0xfffe
	s_xor_b32 s1, exec_lo, s1
	s_cbranch_execz .LBB1911_374
; %bb.369:
	s_mov_b32 s3, exec_lo
	v_cmpx_ge_u32_e64 v31, v14
	s_wait_alu 0xfffe
	s_xor_b32 s3, exec_lo, s3
	s_cbranch_execz .LBB1911_371
; %bb.370:
	v_lshlrev_b32_e32 v9, 2, v0
	ds_load_b32 v11, v9 offset:12288
	v_add_co_u32 v9, vcc_lo, v7, v0
	s_wait_alu 0xfffd
	v_add_co_ci_u32_e64 v10, null, 0, v13, vcc_lo
                                        ; implicit-def: $vgpr0
	s_delay_alu instid0(VALU_DEP_1) | instskip(NEXT) | instid1(VALU_DEP_1)
	v_lshlrev_b64_e32 v[9:10], 2, v[9:10]
	v_sub_co_u32 v9, vcc_lo, s14, v9
	s_wait_alu 0xfffd
	s_delay_alu instid0(VALU_DEP_2)
	v_sub_co_ci_u32_e64 v10, null, s15, v10, vcc_lo
	s_wait_dscnt 0x0
	global_store_b32 v[9:10], v11, off offset:-12292
                                        ; implicit-def: $vgpr9_vgpr10
.LBB1911_371:
	s_wait_alu 0xfffe
	s_and_not1_saveexec_b32 s3, s3
	s_cbranch_execz .LBB1911_373
; %bb.372:
	v_lshlrev_b32_e32 v0, 2, v0
	v_readfirstlane_b32 s4, v9
	v_readfirstlane_b32 s5, v10
	ds_load_b32 v7, v0 offset:12288
	s_wait_dscnt 0x0
	global_store_b32 v0, v7, s[4:5] offset:12288
.LBB1911_373:
	s_wait_alu 0xfffe
	s_or_b32 exec_lo, exec_lo, s3
                                        ; implicit-def: $vgpr0
                                        ; implicit-def: $vgpr11_vgpr12
.LBB1911_374:
	s_wait_alu 0xfffe
	s_and_not1_saveexec_b32 s1, s1
	s_cbranch_execz .LBB1911_376
; %bb.375:
	v_lshlrev_b32_e32 v0, 2, v0
	v_readfirstlane_b32 s4, v11
	v_readfirstlane_b32 s5, v12
	ds_load_b32 v7, v0 offset:12288
	s_wait_dscnt 0x0
	global_store_b32 v0, v7, s[4:5] offset:12288
.LBB1911_376:
	s_wait_alu 0xfffe
	s_or_b32 exec_lo, exec_lo, s0
	s_and_b32 s0, s2, s26
	s_wait_alu 0xfffe
	s_and_saveexec_b32 s1, s0
	s_cbranch_execz .LBB1911_153
.LBB1911_377:
	v_add_co_u32 v0, vcc_lo, v3, v6
	s_wait_alu 0xfffd
	v_add_co_ci_u32_e64 v4, null, 0, v4, vcc_lo
	v_mov_b32_e32 v6, 0
	s_delay_alu instid0(VALU_DEP_3) | instskip(SKIP_1) | instid1(VALU_DEP_3)
	v_add_co_u32 v3, vcc_lo, v0, v8
	s_wait_alu 0xfffd
	v_add_co_ci_u32_e64 v4, null, 0, v4, vcc_lo
	v_add_co_u32 v1, vcc_lo, v1, v5
	s_wait_alu 0xfffd
	v_add_co_ci_u32_e64 v2, null, 0, v2, vcc_lo
	global_store_b128 v6, v[1:4], s[24:25]
	s_nop 0
	s_sendmsg sendmsg(MSG_DEALLOC_VGPRS)
	s_endpgm
.LBB1911_378:
	s_add_co_i32 s6, s33, 32
	s_mov_b32 s7, 0
	v_dual_mov_b32 v11, 2 :: v_dual_add_nc_u32 v10, v8, v6
	s_wait_alu 0xfffe
	s_lshl_b64 s[6:7], s[6:7], 4
	v_dual_mov_b32 v12, 0 :: v_dual_add_nc_u32 v9, v7, v5
	s_wait_alu 0xfffe
	s_add_nc_u64 s[6:7], s[36:37], s[6:7]
	s_wait_alu 0xfffe
	v_dual_mov_b32 v28, s7 :: v_dual_mov_b32 v27, s6
	;;#ASMSTART
	global_store_b128 v[27:28], v[9:12] off scope:SCOPE_DEV	
s_wait_storecnt 0x0
	;;#ASMEND
	s_or_b32 exec_lo, exec_lo, s5
	s_and_saveexec_b32 s5, s3
	s_cbranch_execz .LBB1911_138
.LBB1911_379:
	v_mov_b32_e32 v9, 0
	ds_store_b128 v9, v[5:8] offset:13312
	s_wait_alu 0xfffe
	s_or_b32 exec_lo, exec_lo, s5
	s_delay_alu instid0(SALU_CYCLE_1)
	s_and_b32 exec_lo, exec_lo, s2
	s_cbranch_execnz .LBB1911_139
	s_branch .LBB1911_140
	.section	.rodata,"a",@progbits
	.p2align	6, 0x0
	.amdhsa_kernel _ZN7rocprim17ROCPRIM_400000_NS6detail17trampoline_kernelINS0_13select_configILj256ELj13ELNS0_17block_load_methodE3ELS4_3ELS4_3ELNS0_20block_scan_algorithmE0ELj4294967295EEENS1_25partition_config_selectorILNS1_17partition_subalgoE4EjNS0_10empty_typeEbEEZZNS1_14partition_implILS8_4ELb0ES6_15HIP_vector_typeIjLj2EENS0_17counting_iteratorIjlEEPS9_SG_NS0_5tupleIJPjSI_NS0_16reverse_iteratorISI_EEEEENSH_IJSG_SG_SG_EEES9_SI_JZNS1_25segmented_radix_sort_implINS0_14default_configELb1EPK12hip_bfloat16PSP_PKlPlN2at6native12_GLOBAL__N_18offset_tEEE10hipError_tPvRmT1_PNSt15iterator_traitsIS13_E10value_typeET2_T3_PNS14_IS19_E10value_typeET4_jRbjT5_S1F_jjP12ihipStream_tbEUljE_ZNSN_ISO_Lb1ESR_SS_SU_SV_SZ_EES10_S11_S12_S13_S17_S18_S19_S1C_S1D_jS1E_jS1F_S1F_jjS1H_bEUljE0_EEES10_S11_S12_S19_S1D_S1F_T6_T7_T9_mT8_S1H_bDpT10_ENKUlT_T0_E_clISt17integral_constantIbLb0EES1U_IbLb1EEEEDaS1Q_S1R_EUlS1Q_E_NS1_11comp_targetILNS1_3genE10ELNS1_11target_archE1200ELNS1_3gpuE4ELNS1_3repE0EEENS1_30default_config_static_selectorELNS0_4arch9wavefront6targetE0EEEvS13_
		.amdhsa_group_segment_fixed_size 13328
		.amdhsa_private_segment_fixed_size 0
		.amdhsa_kernarg_size 184
		.amdhsa_user_sgpr_count 2
		.amdhsa_user_sgpr_dispatch_ptr 0
		.amdhsa_user_sgpr_queue_ptr 0
		.amdhsa_user_sgpr_kernarg_segment_ptr 1
		.amdhsa_user_sgpr_dispatch_id 0
		.amdhsa_user_sgpr_private_segment_size 0
		.amdhsa_wavefront_size32 1
		.amdhsa_uses_dynamic_stack 0
		.amdhsa_enable_private_segment 0
		.amdhsa_system_sgpr_workgroup_id_x 1
		.amdhsa_system_sgpr_workgroup_id_y 0
		.amdhsa_system_sgpr_workgroup_id_z 0
		.amdhsa_system_sgpr_workgroup_info 0
		.amdhsa_system_vgpr_workitem_id 0
		.amdhsa_next_free_vgpr 98
		.amdhsa_next_free_sgpr 55
		.amdhsa_reserve_vcc 1
		.amdhsa_float_round_mode_32 0
		.amdhsa_float_round_mode_16_64 0
		.amdhsa_float_denorm_mode_32 3
		.amdhsa_float_denorm_mode_16_64 3
		.amdhsa_fp16_overflow 0
		.amdhsa_workgroup_processor_mode 1
		.amdhsa_memory_ordered 1
		.amdhsa_forward_progress 1
		.amdhsa_inst_pref_size 151
		.amdhsa_round_robin_scheduling 0
		.amdhsa_exception_fp_ieee_invalid_op 0
		.amdhsa_exception_fp_denorm_src 0
		.amdhsa_exception_fp_ieee_div_zero 0
		.amdhsa_exception_fp_ieee_overflow 0
		.amdhsa_exception_fp_ieee_underflow 0
		.amdhsa_exception_fp_ieee_inexact 0
		.amdhsa_exception_int_div_zero 0
	.end_amdhsa_kernel
	.section	.text._ZN7rocprim17ROCPRIM_400000_NS6detail17trampoline_kernelINS0_13select_configILj256ELj13ELNS0_17block_load_methodE3ELS4_3ELS4_3ELNS0_20block_scan_algorithmE0ELj4294967295EEENS1_25partition_config_selectorILNS1_17partition_subalgoE4EjNS0_10empty_typeEbEEZZNS1_14partition_implILS8_4ELb0ES6_15HIP_vector_typeIjLj2EENS0_17counting_iteratorIjlEEPS9_SG_NS0_5tupleIJPjSI_NS0_16reverse_iteratorISI_EEEEENSH_IJSG_SG_SG_EEES9_SI_JZNS1_25segmented_radix_sort_implINS0_14default_configELb1EPK12hip_bfloat16PSP_PKlPlN2at6native12_GLOBAL__N_18offset_tEEE10hipError_tPvRmT1_PNSt15iterator_traitsIS13_E10value_typeET2_T3_PNS14_IS19_E10value_typeET4_jRbjT5_S1F_jjP12ihipStream_tbEUljE_ZNSN_ISO_Lb1ESR_SS_SU_SV_SZ_EES10_S11_S12_S13_S17_S18_S19_S1C_S1D_jS1E_jS1F_S1F_jjS1H_bEUljE0_EEES10_S11_S12_S19_S1D_S1F_T6_T7_T9_mT8_S1H_bDpT10_ENKUlT_T0_E_clISt17integral_constantIbLb0EES1U_IbLb1EEEEDaS1Q_S1R_EUlS1Q_E_NS1_11comp_targetILNS1_3genE10ELNS1_11target_archE1200ELNS1_3gpuE4ELNS1_3repE0EEENS1_30default_config_static_selectorELNS0_4arch9wavefront6targetE0EEEvS13_,"axG",@progbits,_ZN7rocprim17ROCPRIM_400000_NS6detail17trampoline_kernelINS0_13select_configILj256ELj13ELNS0_17block_load_methodE3ELS4_3ELS4_3ELNS0_20block_scan_algorithmE0ELj4294967295EEENS1_25partition_config_selectorILNS1_17partition_subalgoE4EjNS0_10empty_typeEbEEZZNS1_14partition_implILS8_4ELb0ES6_15HIP_vector_typeIjLj2EENS0_17counting_iteratorIjlEEPS9_SG_NS0_5tupleIJPjSI_NS0_16reverse_iteratorISI_EEEEENSH_IJSG_SG_SG_EEES9_SI_JZNS1_25segmented_radix_sort_implINS0_14default_configELb1EPK12hip_bfloat16PSP_PKlPlN2at6native12_GLOBAL__N_18offset_tEEE10hipError_tPvRmT1_PNSt15iterator_traitsIS13_E10value_typeET2_T3_PNS14_IS19_E10value_typeET4_jRbjT5_S1F_jjP12ihipStream_tbEUljE_ZNSN_ISO_Lb1ESR_SS_SU_SV_SZ_EES10_S11_S12_S13_S17_S18_S19_S1C_S1D_jS1E_jS1F_S1F_jjS1H_bEUljE0_EEES10_S11_S12_S19_S1D_S1F_T6_T7_T9_mT8_S1H_bDpT10_ENKUlT_T0_E_clISt17integral_constantIbLb0EES1U_IbLb1EEEEDaS1Q_S1R_EUlS1Q_E_NS1_11comp_targetILNS1_3genE10ELNS1_11target_archE1200ELNS1_3gpuE4ELNS1_3repE0EEENS1_30default_config_static_selectorELNS0_4arch9wavefront6targetE0EEEvS13_,comdat
.Lfunc_end1911:
	.size	_ZN7rocprim17ROCPRIM_400000_NS6detail17trampoline_kernelINS0_13select_configILj256ELj13ELNS0_17block_load_methodE3ELS4_3ELS4_3ELNS0_20block_scan_algorithmE0ELj4294967295EEENS1_25partition_config_selectorILNS1_17partition_subalgoE4EjNS0_10empty_typeEbEEZZNS1_14partition_implILS8_4ELb0ES6_15HIP_vector_typeIjLj2EENS0_17counting_iteratorIjlEEPS9_SG_NS0_5tupleIJPjSI_NS0_16reverse_iteratorISI_EEEEENSH_IJSG_SG_SG_EEES9_SI_JZNS1_25segmented_radix_sort_implINS0_14default_configELb1EPK12hip_bfloat16PSP_PKlPlN2at6native12_GLOBAL__N_18offset_tEEE10hipError_tPvRmT1_PNSt15iterator_traitsIS13_E10value_typeET2_T3_PNS14_IS19_E10value_typeET4_jRbjT5_S1F_jjP12ihipStream_tbEUljE_ZNSN_ISO_Lb1ESR_SS_SU_SV_SZ_EES10_S11_S12_S13_S17_S18_S19_S1C_S1D_jS1E_jS1F_S1F_jjS1H_bEUljE0_EEES10_S11_S12_S19_S1D_S1F_T6_T7_T9_mT8_S1H_bDpT10_ENKUlT_T0_E_clISt17integral_constantIbLb0EES1U_IbLb1EEEEDaS1Q_S1R_EUlS1Q_E_NS1_11comp_targetILNS1_3genE10ELNS1_11target_archE1200ELNS1_3gpuE4ELNS1_3repE0EEENS1_30default_config_static_selectorELNS0_4arch9wavefront6targetE0EEEvS13_, .Lfunc_end1911-_ZN7rocprim17ROCPRIM_400000_NS6detail17trampoline_kernelINS0_13select_configILj256ELj13ELNS0_17block_load_methodE3ELS4_3ELS4_3ELNS0_20block_scan_algorithmE0ELj4294967295EEENS1_25partition_config_selectorILNS1_17partition_subalgoE4EjNS0_10empty_typeEbEEZZNS1_14partition_implILS8_4ELb0ES6_15HIP_vector_typeIjLj2EENS0_17counting_iteratorIjlEEPS9_SG_NS0_5tupleIJPjSI_NS0_16reverse_iteratorISI_EEEEENSH_IJSG_SG_SG_EEES9_SI_JZNS1_25segmented_radix_sort_implINS0_14default_configELb1EPK12hip_bfloat16PSP_PKlPlN2at6native12_GLOBAL__N_18offset_tEEE10hipError_tPvRmT1_PNSt15iterator_traitsIS13_E10value_typeET2_T3_PNS14_IS19_E10value_typeET4_jRbjT5_S1F_jjP12ihipStream_tbEUljE_ZNSN_ISO_Lb1ESR_SS_SU_SV_SZ_EES10_S11_S12_S13_S17_S18_S19_S1C_S1D_jS1E_jS1F_S1F_jjS1H_bEUljE0_EEES10_S11_S12_S19_S1D_S1F_T6_T7_T9_mT8_S1H_bDpT10_ENKUlT_T0_E_clISt17integral_constantIbLb0EES1U_IbLb1EEEEDaS1Q_S1R_EUlS1Q_E_NS1_11comp_targetILNS1_3genE10ELNS1_11target_archE1200ELNS1_3gpuE4ELNS1_3repE0EEENS1_30default_config_static_selectorELNS0_4arch9wavefront6targetE0EEEvS13_
                                        ; -- End function
	.set _ZN7rocprim17ROCPRIM_400000_NS6detail17trampoline_kernelINS0_13select_configILj256ELj13ELNS0_17block_load_methodE3ELS4_3ELS4_3ELNS0_20block_scan_algorithmE0ELj4294967295EEENS1_25partition_config_selectorILNS1_17partition_subalgoE4EjNS0_10empty_typeEbEEZZNS1_14partition_implILS8_4ELb0ES6_15HIP_vector_typeIjLj2EENS0_17counting_iteratorIjlEEPS9_SG_NS0_5tupleIJPjSI_NS0_16reverse_iteratorISI_EEEEENSH_IJSG_SG_SG_EEES9_SI_JZNS1_25segmented_radix_sort_implINS0_14default_configELb1EPK12hip_bfloat16PSP_PKlPlN2at6native12_GLOBAL__N_18offset_tEEE10hipError_tPvRmT1_PNSt15iterator_traitsIS13_E10value_typeET2_T3_PNS14_IS19_E10value_typeET4_jRbjT5_S1F_jjP12ihipStream_tbEUljE_ZNSN_ISO_Lb1ESR_SS_SU_SV_SZ_EES10_S11_S12_S13_S17_S18_S19_S1C_S1D_jS1E_jS1F_S1F_jjS1H_bEUljE0_EEES10_S11_S12_S19_S1D_S1F_T6_T7_T9_mT8_S1H_bDpT10_ENKUlT_T0_E_clISt17integral_constantIbLb0EES1U_IbLb1EEEEDaS1Q_S1R_EUlS1Q_E_NS1_11comp_targetILNS1_3genE10ELNS1_11target_archE1200ELNS1_3gpuE4ELNS1_3repE0EEENS1_30default_config_static_selectorELNS0_4arch9wavefront6targetE0EEEvS13_.num_vgpr, 98
	.set _ZN7rocprim17ROCPRIM_400000_NS6detail17trampoline_kernelINS0_13select_configILj256ELj13ELNS0_17block_load_methodE3ELS4_3ELS4_3ELNS0_20block_scan_algorithmE0ELj4294967295EEENS1_25partition_config_selectorILNS1_17partition_subalgoE4EjNS0_10empty_typeEbEEZZNS1_14partition_implILS8_4ELb0ES6_15HIP_vector_typeIjLj2EENS0_17counting_iteratorIjlEEPS9_SG_NS0_5tupleIJPjSI_NS0_16reverse_iteratorISI_EEEEENSH_IJSG_SG_SG_EEES9_SI_JZNS1_25segmented_radix_sort_implINS0_14default_configELb1EPK12hip_bfloat16PSP_PKlPlN2at6native12_GLOBAL__N_18offset_tEEE10hipError_tPvRmT1_PNSt15iterator_traitsIS13_E10value_typeET2_T3_PNS14_IS19_E10value_typeET4_jRbjT5_S1F_jjP12ihipStream_tbEUljE_ZNSN_ISO_Lb1ESR_SS_SU_SV_SZ_EES10_S11_S12_S13_S17_S18_S19_S1C_S1D_jS1E_jS1F_S1F_jjS1H_bEUljE0_EEES10_S11_S12_S19_S1D_S1F_T6_T7_T9_mT8_S1H_bDpT10_ENKUlT_T0_E_clISt17integral_constantIbLb0EES1U_IbLb1EEEEDaS1Q_S1R_EUlS1Q_E_NS1_11comp_targetILNS1_3genE10ELNS1_11target_archE1200ELNS1_3gpuE4ELNS1_3repE0EEENS1_30default_config_static_selectorELNS0_4arch9wavefront6targetE0EEEvS13_.num_agpr, 0
	.set _ZN7rocprim17ROCPRIM_400000_NS6detail17trampoline_kernelINS0_13select_configILj256ELj13ELNS0_17block_load_methodE3ELS4_3ELS4_3ELNS0_20block_scan_algorithmE0ELj4294967295EEENS1_25partition_config_selectorILNS1_17partition_subalgoE4EjNS0_10empty_typeEbEEZZNS1_14partition_implILS8_4ELb0ES6_15HIP_vector_typeIjLj2EENS0_17counting_iteratorIjlEEPS9_SG_NS0_5tupleIJPjSI_NS0_16reverse_iteratorISI_EEEEENSH_IJSG_SG_SG_EEES9_SI_JZNS1_25segmented_radix_sort_implINS0_14default_configELb1EPK12hip_bfloat16PSP_PKlPlN2at6native12_GLOBAL__N_18offset_tEEE10hipError_tPvRmT1_PNSt15iterator_traitsIS13_E10value_typeET2_T3_PNS14_IS19_E10value_typeET4_jRbjT5_S1F_jjP12ihipStream_tbEUljE_ZNSN_ISO_Lb1ESR_SS_SU_SV_SZ_EES10_S11_S12_S13_S17_S18_S19_S1C_S1D_jS1E_jS1F_S1F_jjS1H_bEUljE0_EEES10_S11_S12_S19_S1D_S1F_T6_T7_T9_mT8_S1H_bDpT10_ENKUlT_T0_E_clISt17integral_constantIbLb0EES1U_IbLb1EEEEDaS1Q_S1R_EUlS1Q_E_NS1_11comp_targetILNS1_3genE10ELNS1_11target_archE1200ELNS1_3gpuE4ELNS1_3repE0EEENS1_30default_config_static_selectorELNS0_4arch9wavefront6targetE0EEEvS13_.numbered_sgpr, 55
	.set _ZN7rocprim17ROCPRIM_400000_NS6detail17trampoline_kernelINS0_13select_configILj256ELj13ELNS0_17block_load_methodE3ELS4_3ELS4_3ELNS0_20block_scan_algorithmE0ELj4294967295EEENS1_25partition_config_selectorILNS1_17partition_subalgoE4EjNS0_10empty_typeEbEEZZNS1_14partition_implILS8_4ELb0ES6_15HIP_vector_typeIjLj2EENS0_17counting_iteratorIjlEEPS9_SG_NS0_5tupleIJPjSI_NS0_16reverse_iteratorISI_EEEEENSH_IJSG_SG_SG_EEES9_SI_JZNS1_25segmented_radix_sort_implINS0_14default_configELb1EPK12hip_bfloat16PSP_PKlPlN2at6native12_GLOBAL__N_18offset_tEEE10hipError_tPvRmT1_PNSt15iterator_traitsIS13_E10value_typeET2_T3_PNS14_IS19_E10value_typeET4_jRbjT5_S1F_jjP12ihipStream_tbEUljE_ZNSN_ISO_Lb1ESR_SS_SU_SV_SZ_EES10_S11_S12_S13_S17_S18_S19_S1C_S1D_jS1E_jS1F_S1F_jjS1H_bEUljE0_EEES10_S11_S12_S19_S1D_S1F_T6_T7_T9_mT8_S1H_bDpT10_ENKUlT_T0_E_clISt17integral_constantIbLb0EES1U_IbLb1EEEEDaS1Q_S1R_EUlS1Q_E_NS1_11comp_targetILNS1_3genE10ELNS1_11target_archE1200ELNS1_3gpuE4ELNS1_3repE0EEENS1_30default_config_static_selectorELNS0_4arch9wavefront6targetE0EEEvS13_.num_named_barrier, 0
	.set _ZN7rocprim17ROCPRIM_400000_NS6detail17trampoline_kernelINS0_13select_configILj256ELj13ELNS0_17block_load_methodE3ELS4_3ELS4_3ELNS0_20block_scan_algorithmE0ELj4294967295EEENS1_25partition_config_selectorILNS1_17partition_subalgoE4EjNS0_10empty_typeEbEEZZNS1_14partition_implILS8_4ELb0ES6_15HIP_vector_typeIjLj2EENS0_17counting_iteratorIjlEEPS9_SG_NS0_5tupleIJPjSI_NS0_16reverse_iteratorISI_EEEEENSH_IJSG_SG_SG_EEES9_SI_JZNS1_25segmented_radix_sort_implINS0_14default_configELb1EPK12hip_bfloat16PSP_PKlPlN2at6native12_GLOBAL__N_18offset_tEEE10hipError_tPvRmT1_PNSt15iterator_traitsIS13_E10value_typeET2_T3_PNS14_IS19_E10value_typeET4_jRbjT5_S1F_jjP12ihipStream_tbEUljE_ZNSN_ISO_Lb1ESR_SS_SU_SV_SZ_EES10_S11_S12_S13_S17_S18_S19_S1C_S1D_jS1E_jS1F_S1F_jjS1H_bEUljE0_EEES10_S11_S12_S19_S1D_S1F_T6_T7_T9_mT8_S1H_bDpT10_ENKUlT_T0_E_clISt17integral_constantIbLb0EES1U_IbLb1EEEEDaS1Q_S1R_EUlS1Q_E_NS1_11comp_targetILNS1_3genE10ELNS1_11target_archE1200ELNS1_3gpuE4ELNS1_3repE0EEENS1_30default_config_static_selectorELNS0_4arch9wavefront6targetE0EEEvS13_.private_seg_size, 0
	.set _ZN7rocprim17ROCPRIM_400000_NS6detail17trampoline_kernelINS0_13select_configILj256ELj13ELNS0_17block_load_methodE3ELS4_3ELS4_3ELNS0_20block_scan_algorithmE0ELj4294967295EEENS1_25partition_config_selectorILNS1_17partition_subalgoE4EjNS0_10empty_typeEbEEZZNS1_14partition_implILS8_4ELb0ES6_15HIP_vector_typeIjLj2EENS0_17counting_iteratorIjlEEPS9_SG_NS0_5tupleIJPjSI_NS0_16reverse_iteratorISI_EEEEENSH_IJSG_SG_SG_EEES9_SI_JZNS1_25segmented_radix_sort_implINS0_14default_configELb1EPK12hip_bfloat16PSP_PKlPlN2at6native12_GLOBAL__N_18offset_tEEE10hipError_tPvRmT1_PNSt15iterator_traitsIS13_E10value_typeET2_T3_PNS14_IS19_E10value_typeET4_jRbjT5_S1F_jjP12ihipStream_tbEUljE_ZNSN_ISO_Lb1ESR_SS_SU_SV_SZ_EES10_S11_S12_S13_S17_S18_S19_S1C_S1D_jS1E_jS1F_S1F_jjS1H_bEUljE0_EEES10_S11_S12_S19_S1D_S1F_T6_T7_T9_mT8_S1H_bDpT10_ENKUlT_T0_E_clISt17integral_constantIbLb0EES1U_IbLb1EEEEDaS1Q_S1R_EUlS1Q_E_NS1_11comp_targetILNS1_3genE10ELNS1_11target_archE1200ELNS1_3gpuE4ELNS1_3repE0EEENS1_30default_config_static_selectorELNS0_4arch9wavefront6targetE0EEEvS13_.uses_vcc, 1
	.set _ZN7rocprim17ROCPRIM_400000_NS6detail17trampoline_kernelINS0_13select_configILj256ELj13ELNS0_17block_load_methodE3ELS4_3ELS4_3ELNS0_20block_scan_algorithmE0ELj4294967295EEENS1_25partition_config_selectorILNS1_17partition_subalgoE4EjNS0_10empty_typeEbEEZZNS1_14partition_implILS8_4ELb0ES6_15HIP_vector_typeIjLj2EENS0_17counting_iteratorIjlEEPS9_SG_NS0_5tupleIJPjSI_NS0_16reverse_iteratorISI_EEEEENSH_IJSG_SG_SG_EEES9_SI_JZNS1_25segmented_radix_sort_implINS0_14default_configELb1EPK12hip_bfloat16PSP_PKlPlN2at6native12_GLOBAL__N_18offset_tEEE10hipError_tPvRmT1_PNSt15iterator_traitsIS13_E10value_typeET2_T3_PNS14_IS19_E10value_typeET4_jRbjT5_S1F_jjP12ihipStream_tbEUljE_ZNSN_ISO_Lb1ESR_SS_SU_SV_SZ_EES10_S11_S12_S13_S17_S18_S19_S1C_S1D_jS1E_jS1F_S1F_jjS1H_bEUljE0_EEES10_S11_S12_S19_S1D_S1F_T6_T7_T9_mT8_S1H_bDpT10_ENKUlT_T0_E_clISt17integral_constantIbLb0EES1U_IbLb1EEEEDaS1Q_S1R_EUlS1Q_E_NS1_11comp_targetILNS1_3genE10ELNS1_11target_archE1200ELNS1_3gpuE4ELNS1_3repE0EEENS1_30default_config_static_selectorELNS0_4arch9wavefront6targetE0EEEvS13_.uses_flat_scratch, 0
	.set _ZN7rocprim17ROCPRIM_400000_NS6detail17trampoline_kernelINS0_13select_configILj256ELj13ELNS0_17block_load_methodE3ELS4_3ELS4_3ELNS0_20block_scan_algorithmE0ELj4294967295EEENS1_25partition_config_selectorILNS1_17partition_subalgoE4EjNS0_10empty_typeEbEEZZNS1_14partition_implILS8_4ELb0ES6_15HIP_vector_typeIjLj2EENS0_17counting_iteratorIjlEEPS9_SG_NS0_5tupleIJPjSI_NS0_16reverse_iteratorISI_EEEEENSH_IJSG_SG_SG_EEES9_SI_JZNS1_25segmented_radix_sort_implINS0_14default_configELb1EPK12hip_bfloat16PSP_PKlPlN2at6native12_GLOBAL__N_18offset_tEEE10hipError_tPvRmT1_PNSt15iterator_traitsIS13_E10value_typeET2_T3_PNS14_IS19_E10value_typeET4_jRbjT5_S1F_jjP12ihipStream_tbEUljE_ZNSN_ISO_Lb1ESR_SS_SU_SV_SZ_EES10_S11_S12_S13_S17_S18_S19_S1C_S1D_jS1E_jS1F_S1F_jjS1H_bEUljE0_EEES10_S11_S12_S19_S1D_S1F_T6_T7_T9_mT8_S1H_bDpT10_ENKUlT_T0_E_clISt17integral_constantIbLb0EES1U_IbLb1EEEEDaS1Q_S1R_EUlS1Q_E_NS1_11comp_targetILNS1_3genE10ELNS1_11target_archE1200ELNS1_3gpuE4ELNS1_3repE0EEENS1_30default_config_static_selectorELNS0_4arch9wavefront6targetE0EEEvS13_.has_dyn_sized_stack, 0
	.set _ZN7rocprim17ROCPRIM_400000_NS6detail17trampoline_kernelINS0_13select_configILj256ELj13ELNS0_17block_load_methodE3ELS4_3ELS4_3ELNS0_20block_scan_algorithmE0ELj4294967295EEENS1_25partition_config_selectorILNS1_17partition_subalgoE4EjNS0_10empty_typeEbEEZZNS1_14partition_implILS8_4ELb0ES6_15HIP_vector_typeIjLj2EENS0_17counting_iteratorIjlEEPS9_SG_NS0_5tupleIJPjSI_NS0_16reverse_iteratorISI_EEEEENSH_IJSG_SG_SG_EEES9_SI_JZNS1_25segmented_radix_sort_implINS0_14default_configELb1EPK12hip_bfloat16PSP_PKlPlN2at6native12_GLOBAL__N_18offset_tEEE10hipError_tPvRmT1_PNSt15iterator_traitsIS13_E10value_typeET2_T3_PNS14_IS19_E10value_typeET4_jRbjT5_S1F_jjP12ihipStream_tbEUljE_ZNSN_ISO_Lb1ESR_SS_SU_SV_SZ_EES10_S11_S12_S13_S17_S18_S19_S1C_S1D_jS1E_jS1F_S1F_jjS1H_bEUljE0_EEES10_S11_S12_S19_S1D_S1F_T6_T7_T9_mT8_S1H_bDpT10_ENKUlT_T0_E_clISt17integral_constantIbLb0EES1U_IbLb1EEEEDaS1Q_S1R_EUlS1Q_E_NS1_11comp_targetILNS1_3genE10ELNS1_11target_archE1200ELNS1_3gpuE4ELNS1_3repE0EEENS1_30default_config_static_selectorELNS0_4arch9wavefront6targetE0EEEvS13_.has_recursion, 0
	.set _ZN7rocprim17ROCPRIM_400000_NS6detail17trampoline_kernelINS0_13select_configILj256ELj13ELNS0_17block_load_methodE3ELS4_3ELS4_3ELNS0_20block_scan_algorithmE0ELj4294967295EEENS1_25partition_config_selectorILNS1_17partition_subalgoE4EjNS0_10empty_typeEbEEZZNS1_14partition_implILS8_4ELb0ES6_15HIP_vector_typeIjLj2EENS0_17counting_iteratorIjlEEPS9_SG_NS0_5tupleIJPjSI_NS0_16reverse_iteratorISI_EEEEENSH_IJSG_SG_SG_EEES9_SI_JZNS1_25segmented_radix_sort_implINS0_14default_configELb1EPK12hip_bfloat16PSP_PKlPlN2at6native12_GLOBAL__N_18offset_tEEE10hipError_tPvRmT1_PNSt15iterator_traitsIS13_E10value_typeET2_T3_PNS14_IS19_E10value_typeET4_jRbjT5_S1F_jjP12ihipStream_tbEUljE_ZNSN_ISO_Lb1ESR_SS_SU_SV_SZ_EES10_S11_S12_S13_S17_S18_S19_S1C_S1D_jS1E_jS1F_S1F_jjS1H_bEUljE0_EEES10_S11_S12_S19_S1D_S1F_T6_T7_T9_mT8_S1H_bDpT10_ENKUlT_T0_E_clISt17integral_constantIbLb0EES1U_IbLb1EEEEDaS1Q_S1R_EUlS1Q_E_NS1_11comp_targetILNS1_3genE10ELNS1_11target_archE1200ELNS1_3gpuE4ELNS1_3repE0EEENS1_30default_config_static_selectorELNS0_4arch9wavefront6targetE0EEEvS13_.has_indirect_call, 0
	.section	.AMDGPU.csdata,"",@progbits
; Kernel info:
; codeLenInByte = 19208
; TotalNumSgprs: 57
; NumVgprs: 98
; ScratchSize: 0
; MemoryBound: 0
; FloatMode: 240
; IeeeMode: 1
; LDSByteSize: 13328 bytes/workgroup (compile time only)
; SGPRBlocks: 0
; VGPRBlocks: 12
; NumSGPRsForWavesPerEU: 57
; NumVGPRsForWavesPerEU: 98
; Occupancy: 12
; WaveLimiterHint : 1
; COMPUTE_PGM_RSRC2:SCRATCH_EN: 0
; COMPUTE_PGM_RSRC2:USER_SGPR: 2
; COMPUTE_PGM_RSRC2:TRAP_HANDLER: 0
; COMPUTE_PGM_RSRC2:TGID_X_EN: 1
; COMPUTE_PGM_RSRC2:TGID_Y_EN: 0
; COMPUTE_PGM_RSRC2:TGID_Z_EN: 0
; COMPUTE_PGM_RSRC2:TIDIG_COMP_CNT: 0
	.section	.text._ZN7rocprim17ROCPRIM_400000_NS6detail17trampoline_kernelINS0_13select_configILj256ELj13ELNS0_17block_load_methodE3ELS4_3ELS4_3ELNS0_20block_scan_algorithmE0ELj4294967295EEENS1_25partition_config_selectorILNS1_17partition_subalgoE4EjNS0_10empty_typeEbEEZZNS1_14partition_implILS8_4ELb0ES6_15HIP_vector_typeIjLj2EENS0_17counting_iteratorIjlEEPS9_SG_NS0_5tupleIJPjSI_NS0_16reverse_iteratorISI_EEEEENSH_IJSG_SG_SG_EEES9_SI_JZNS1_25segmented_radix_sort_implINS0_14default_configELb1EPK12hip_bfloat16PSP_PKlPlN2at6native12_GLOBAL__N_18offset_tEEE10hipError_tPvRmT1_PNSt15iterator_traitsIS13_E10value_typeET2_T3_PNS14_IS19_E10value_typeET4_jRbjT5_S1F_jjP12ihipStream_tbEUljE_ZNSN_ISO_Lb1ESR_SS_SU_SV_SZ_EES10_S11_S12_S13_S17_S18_S19_S1C_S1D_jS1E_jS1F_S1F_jjS1H_bEUljE0_EEES10_S11_S12_S19_S1D_S1F_T6_T7_T9_mT8_S1H_bDpT10_ENKUlT_T0_E_clISt17integral_constantIbLb0EES1U_IbLb1EEEEDaS1Q_S1R_EUlS1Q_E_NS1_11comp_targetILNS1_3genE9ELNS1_11target_archE1100ELNS1_3gpuE3ELNS1_3repE0EEENS1_30default_config_static_selectorELNS0_4arch9wavefront6targetE0EEEvS13_,"axG",@progbits,_ZN7rocprim17ROCPRIM_400000_NS6detail17trampoline_kernelINS0_13select_configILj256ELj13ELNS0_17block_load_methodE3ELS4_3ELS4_3ELNS0_20block_scan_algorithmE0ELj4294967295EEENS1_25partition_config_selectorILNS1_17partition_subalgoE4EjNS0_10empty_typeEbEEZZNS1_14partition_implILS8_4ELb0ES6_15HIP_vector_typeIjLj2EENS0_17counting_iteratorIjlEEPS9_SG_NS0_5tupleIJPjSI_NS0_16reverse_iteratorISI_EEEEENSH_IJSG_SG_SG_EEES9_SI_JZNS1_25segmented_radix_sort_implINS0_14default_configELb1EPK12hip_bfloat16PSP_PKlPlN2at6native12_GLOBAL__N_18offset_tEEE10hipError_tPvRmT1_PNSt15iterator_traitsIS13_E10value_typeET2_T3_PNS14_IS19_E10value_typeET4_jRbjT5_S1F_jjP12ihipStream_tbEUljE_ZNSN_ISO_Lb1ESR_SS_SU_SV_SZ_EES10_S11_S12_S13_S17_S18_S19_S1C_S1D_jS1E_jS1F_S1F_jjS1H_bEUljE0_EEES10_S11_S12_S19_S1D_S1F_T6_T7_T9_mT8_S1H_bDpT10_ENKUlT_T0_E_clISt17integral_constantIbLb0EES1U_IbLb1EEEEDaS1Q_S1R_EUlS1Q_E_NS1_11comp_targetILNS1_3genE9ELNS1_11target_archE1100ELNS1_3gpuE3ELNS1_3repE0EEENS1_30default_config_static_selectorELNS0_4arch9wavefront6targetE0EEEvS13_,comdat
	.globl	_ZN7rocprim17ROCPRIM_400000_NS6detail17trampoline_kernelINS0_13select_configILj256ELj13ELNS0_17block_load_methodE3ELS4_3ELS4_3ELNS0_20block_scan_algorithmE0ELj4294967295EEENS1_25partition_config_selectorILNS1_17partition_subalgoE4EjNS0_10empty_typeEbEEZZNS1_14partition_implILS8_4ELb0ES6_15HIP_vector_typeIjLj2EENS0_17counting_iteratorIjlEEPS9_SG_NS0_5tupleIJPjSI_NS0_16reverse_iteratorISI_EEEEENSH_IJSG_SG_SG_EEES9_SI_JZNS1_25segmented_radix_sort_implINS0_14default_configELb1EPK12hip_bfloat16PSP_PKlPlN2at6native12_GLOBAL__N_18offset_tEEE10hipError_tPvRmT1_PNSt15iterator_traitsIS13_E10value_typeET2_T3_PNS14_IS19_E10value_typeET4_jRbjT5_S1F_jjP12ihipStream_tbEUljE_ZNSN_ISO_Lb1ESR_SS_SU_SV_SZ_EES10_S11_S12_S13_S17_S18_S19_S1C_S1D_jS1E_jS1F_S1F_jjS1H_bEUljE0_EEES10_S11_S12_S19_S1D_S1F_T6_T7_T9_mT8_S1H_bDpT10_ENKUlT_T0_E_clISt17integral_constantIbLb0EES1U_IbLb1EEEEDaS1Q_S1R_EUlS1Q_E_NS1_11comp_targetILNS1_3genE9ELNS1_11target_archE1100ELNS1_3gpuE3ELNS1_3repE0EEENS1_30default_config_static_selectorELNS0_4arch9wavefront6targetE0EEEvS13_ ; -- Begin function _ZN7rocprim17ROCPRIM_400000_NS6detail17trampoline_kernelINS0_13select_configILj256ELj13ELNS0_17block_load_methodE3ELS4_3ELS4_3ELNS0_20block_scan_algorithmE0ELj4294967295EEENS1_25partition_config_selectorILNS1_17partition_subalgoE4EjNS0_10empty_typeEbEEZZNS1_14partition_implILS8_4ELb0ES6_15HIP_vector_typeIjLj2EENS0_17counting_iteratorIjlEEPS9_SG_NS0_5tupleIJPjSI_NS0_16reverse_iteratorISI_EEEEENSH_IJSG_SG_SG_EEES9_SI_JZNS1_25segmented_radix_sort_implINS0_14default_configELb1EPK12hip_bfloat16PSP_PKlPlN2at6native12_GLOBAL__N_18offset_tEEE10hipError_tPvRmT1_PNSt15iterator_traitsIS13_E10value_typeET2_T3_PNS14_IS19_E10value_typeET4_jRbjT5_S1F_jjP12ihipStream_tbEUljE_ZNSN_ISO_Lb1ESR_SS_SU_SV_SZ_EES10_S11_S12_S13_S17_S18_S19_S1C_S1D_jS1E_jS1F_S1F_jjS1H_bEUljE0_EEES10_S11_S12_S19_S1D_S1F_T6_T7_T9_mT8_S1H_bDpT10_ENKUlT_T0_E_clISt17integral_constantIbLb0EES1U_IbLb1EEEEDaS1Q_S1R_EUlS1Q_E_NS1_11comp_targetILNS1_3genE9ELNS1_11target_archE1100ELNS1_3gpuE3ELNS1_3repE0EEENS1_30default_config_static_selectorELNS0_4arch9wavefront6targetE0EEEvS13_
	.p2align	8
	.type	_ZN7rocprim17ROCPRIM_400000_NS6detail17trampoline_kernelINS0_13select_configILj256ELj13ELNS0_17block_load_methodE3ELS4_3ELS4_3ELNS0_20block_scan_algorithmE0ELj4294967295EEENS1_25partition_config_selectorILNS1_17partition_subalgoE4EjNS0_10empty_typeEbEEZZNS1_14partition_implILS8_4ELb0ES6_15HIP_vector_typeIjLj2EENS0_17counting_iteratorIjlEEPS9_SG_NS0_5tupleIJPjSI_NS0_16reverse_iteratorISI_EEEEENSH_IJSG_SG_SG_EEES9_SI_JZNS1_25segmented_radix_sort_implINS0_14default_configELb1EPK12hip_bfloat16PSP_PKlPlN2at6native12_GLOBAL__N_18offset_tEEE10hipError_tPvRmT1_PNSt15iterator_traitsIS13_E10value_typeET2_T3_PNS14_IS19_E10value_typeET4_jRbjT5_S1F_jjP12ihipStream_tbEUljE_ZNSN_ISO_Lb1ESR_SS_SU_SV_SZ_EES10_S11_S12_S13_S17_S18_S19_S1C_S1D_jS1E_jS1F_S1F_jjS1H_bEUljE0_EEES10_S11_S12_S19_S1D_S1F_T6_T7_T9_mT8_S1H_bDpT10_ENKUlT_T0_E_clISt17integral_constantIbLb0EES1U_IbLb1EEEEDaS1Q_S1R_EUlS1Q_E_NS1_11comp_targetILNS1_3genE9ELNS1_11target_archE1100ELNS1_3gpuE3ELNS1_3repE0EEENS1_30default_config_static_selectorELNS0_4arch9wavefront6targetE0EEEvS13_,@function
_ZN7rocprim17ROCPRIM_400000_NS6detail17trampoline_kernelINS0_13select_configILj256ELj13ELNS0_17block_load_methodE3ELS4_3ELS4_3ELNS0_20block_scan_algorithmE0ELj4294967295EEENS1_25partition_config_selectorILNS1_17partition_subalgoE4EjNS0_10empty_typeEbEEZZNS1_14partition_implILS8_4ELb0ES6_15HIP_vector_typeIjLj2EENS0_17counting_iteratorIjlEEPS9_SG_NS0_5tupleIJPjSI_NS0_16reverse_iteratorISI_EEEEENSH_IJSG_SG_SG_EEES9_SI_JZNS1_25segmented_radix_sort_implINS0_14default_configELb1EPK12hip_bfloat16PSP_PKlPlN2at6native12_GLOBAL__N_18offset_tEEE10hipError_tPvRmT1_PNSt15iterator_traitsIS13_E10value_typeET2_T3_PNS14_IS19_E10value_typeET4_jRbjT5_S1F_jjP12ihipStream_tbEUljE_ZNSN_ISO_Lb1ESR_SS_SU_SV_SZ_EES10_S11_S12_S13_S17_S18_S19_S1C_S1D_jS1E_jS1F_S1F_jjS1H_bEUljE0_EEES10_S11_S12_S19_S1D_S1F_T6_T7_T9_mT8_S1H_bDpT10_ENKUlT_T0_E_clISt17integral_constantIbLb0EES1U_IbLb1EEEEDaS1Q_S1R_EUlS1Q_E_NS1_11comp_targetILNS1_3genE9ELNS1_11target_archE1100ELNS1_3gpuE3ELNS1_3repE0EEENS1_30default_config_static_selectorELNS0_4arch9wavefront6targetE0EEEvS13_: ; @_ZN7rocprim17ROCPRIM_400000_NS6detail17trampoline_kernelINS0_13select_configILj256ELj13ELNS0_17block_load_methodE3ELS4_3ELS4_3ELNS0_20block_scan_algorithmE0ELj4294967295EEENS1_25partition_config_selectorILNS1_17partition_subalgoE4EjNS0_10empty_typeEbEEZZNS1_14partition_implILS8_4ELb0ES6_15HIP_vector_typeIjLj2EENS0_17counting_iteratorIjlEEPS9_SG_NS0_5tupleIJPjSI_NS0_16reverse_iteratorISI_EEEEENSH_IJSG_SG_SG_EEES9_SI_JZNS1_25segmented_radix_sort_implINS0_14default_configELb1EPK12hip_bfloat16PSP_PKlPlN2at6native12_GLOBAL__N_18offset_tEEE10hipError_tPvRmT1_PNSt15iterator_traitsIS13_E10value_typeET2_T3_PNS14_IS19_E10value_typeET4_jRbjT5_S1F_jjP12ihipStream_tbEUljE_ZNSN_ISO_Lb1ESR_SS_SU_SV_SZ_EES10_S11_S12_S13_S17_S18_S19_S1C_S1D_jS1E_jS1F_S1F_jjS1H_bEUljE0_EEES10_S11_S12_S19_S1D_S1F_T6_T7_T9_mT8_S1H_bDpT10_ENKUlT_T0_E_clISt17integral_constantIbLb0EES1U_IbLb1EEEEDaS1Q_S1R_EUlS1Q_E_NS1_11comp_targetILNS1_3genE9ELNS1_11target_archE1100ELNS1_3gpuE3ELNS1_3repE0EEENS1_30default_config_static_selectorELNS0_4arch9wavefront6targetE0EEEvS13_
; %bb.0:
	.section	.rodata,"a",@progbits
	.p2align	6, 0x0
	.amdhsa_kernel _ZN7rocprim17ROCPRIM_400000_NS6detail17trampoline_kernelINS0_13select_configILj256ELj13ELNS0_17block_load_methodE3ELS4_3ELS4_3ELNS0_20block_scan_algorithmE0ELj4294967295EEENS1_25partition_config_selectorILNS1_17partition_subalgoE4EjNS0_10empty_typeEbEEZZNS1_14partition_implILS8_4ELb0ES6_15HIP_vector_typeIjLj2EENS0_17counting_iteratorIjlEEPS9_SG_NS0_5tupleIJPjSI_NS0_16reverse_iteratorISI_EEEEENSH_IJSG_SG_SG_EEES9_SI_JZNS1_25segmented_radix_sort_implINS0_14default_configELb1EPK12hip_bfloat16PSP_PKlPlN2at6native12_GLOBAL__N_18offset_tEEE10hipError_tPvRmT1_PNSt15iterator_traitsIS13_E10value_typeET2_T3_PNS14_IS19_E10value_typeET4_jRbjT5_S1F_jjP12ihipStream_tbEUljE_ZNSN_ISO_Lb1ESR_SS_SU_SV_SZ_EES10_S11_S12_S13_S17_S18_S19_S1C_S1D_jS1E_jS1F_S1F_jjS1H_bEUljE0_EEES10_S11_S12_S19_S1D_S1F_T6_T7_T9_mT8_S1H_bDpT10_ENKUlT_T0_E_clISt17integral_constantIbLb0EES1U_IbLb1EEEEDaS1Q_S1R_EUlS1Q_E_NS1_11comp_targetILNS1_3genE9ELNS1_11target_archE1100ELNS1_3gpuE3ELNS1_3repE0EEENS1_30default_config_static_selectorELNS0_4arch9wavefront6targetE0EEEvS13_
		.amdhsa_group_segment_fixed_size 0
		.amdhsa_private_segment_fixed_size 0
		.amdhsa_kernarg_size 184
		.amdhsa_user_sgpr_count 2
		.amdhsa_user_sgpr_dispatch_ptr 0
		.amdhsa_user_sgpr_queue_ptr 0
		.amdhsa_user_sgpr_kernarg_segment_ptr 1
		.amdhsa_user_sgpr_dispatch_id 0
		.amdhsa_user_sgpr_private_segment_size 0
		.amdhsa_wavefront_size32 1
		.amdhsa_uses_dynamic_stack 0
		.amdhsa_enable_private_segment 0
		.amdhsa_system_sgpr_workgroup_id_x 1
		.amdhsa_system_sgpr_workgroup_id_y 0
		.amdhsa_system_sgpr_workgroup_id_z 0
		.amdhsa_system_sgpr_workgroup_info 0
		.amdhsa_system_vgpr_workitem_id 0
		.amdhsa_next_free_vgpr 1
		.amdhsa_next_free_sgpr 1
		.amdhsa_reserve_vcc 0
		.amdhsa_float_round_mode_32 0
		.amdhsa_float_round_mode_16_64 0
		.amdhsa_float_denorm_mode_32 3
		.amdhsa_float_denorm_mode_16_64 3
		.amdhsa_fp16_overflow 0
		.amdhsa_workgroup_processor_mode 1
		.amdhsa_memory_ordered 1
		.amdhsa_forward_progress 1
		.amdhsa_inst_pref_size 0
		.amdhsa_round_robin_scheduling 0
		.amdhsa_exception_fp_ieee_invalid_op 0
		.amdhsa_exception_fp_denorm_src 0
		.amdhsa_exception_fp_ieee_div_zero 0
		.amdhsa_exception_fp_ieee_overflow 0
		.amdhsa_exception_fp_ieee_underflow 0
		.amdhsa_exception_fp_ieee_inexact 0
		.amdhsa_exception_int_div_zero 0
	.end_amdhsa_kernel
	.section	.text._ZN7rocprim17ROCPRIM_400000_NS6detail17trampoline_kernelINS0_13select_configILj256ELj13ELNS0_17block_load_methodE3ELS4_3ELS4_3ELNS0_20block_scan_algorithmE0ELj4294967295EEENS1_25partition_config_selectorILNS1_17partition_subalgoE4EjNS0_10empty_typeEbEEZZNS1_14partition_implILS8_4ELb0ES6_15HIP_vector_typeIjLj2EENS0_17counting_iteratorIjlEEPS9_SG_NS0_5tupleIJPjSI_NS0_16reverse_iteratorISI_EEEEENSH_IJSG_SG_SG_EEES9_SI_JZNS1_25segmented_radix_sort_implINS0_14default_configELb1EPK12hip_bfloat16PSP_PKlPlN2at6native12_GLOBAL__N_18offset_tEEE10hipError_tPvRmT1_PNSt15iterator_traitsIS13_E10value_typeET2_T3_PNS14_IS19_E10value_typeET4_jRbjT5_S1F_jjP12ihipStream_tbEUljE_ZNSN_ISO_Lb1ESR_SS_SU_SV_SZ_EES10_S11_S12_S13_S17_S18_S19_S1C_S1D_jS1E_jS1F_S1F_jjS1H_bEUljE0_EEES10_S11_S12_S19_S1D_S1F_T6_T7_T9_mT8_S1H_bDpT10_ENKUlT_T0_E_clISt17integral_constantIbLb0EES1U_IbLb1EEEEDaS1Q_S1R_EUlS1Q_E_NS1_11comp_targetILNS1_3genE9ELNS1_11target_archE1100ELNS1_3gpuE3ELNS1_3repE0EEENS1_30default_config_static_selectorELNS0_4arch9wavefront6targetE0EEEvS13_,"axG",@progbits,_ZN7rocprim17ROCPRIM_400000_NS6detail17trampoline_kernelINS0_13select_configILj256ELj13ELNS0_17block_load_methodE3ELS4_3ELS4_3ELNS0_20block_scan_algorithmE0ELj4294967295EEENS1_25partition_config_selectorILNS1_17partition_subalgoE4EjNS0_10empty_typeEbEEZZNS1_14partition_implILS8_4ELb0ES6_15HIP_vector_typeIjLj2EENS0_17counting_iteratorIjlEEPS9_SG_NS0_5tupleIJPjSI_NS0_16reverse_iteratorISI_EEEEENSH_IJSG_SG_SG_EEES9_SI_JZNS1_25segmented_radix_sort_implINS0_14default_configELb1EPK12hip_bfloat16PSP_PKlPlN2at6native12_GLOBAL__N_18offset_tEEE10hipError_tPvRmT1_PNSt15iterator_traitsIS13_E10value_typeET2_T3_PNS14_IS19_E10value_typeET4_jRbjT5_S1F_jjP12ihipStream_tbEUljE_ZNSN_ISO_Lb1ESR_SS_SU_SV_SZ_EES10_S11_S12_S13_S17_S18_S19_S1C_S1D_jS1E_jS1F_S1F_jjS1H_bEUljE0_EEES10_S11_S12_S19_S1D_S1F_T6_T7_T9_mT8_S1H_bDpT10_ENKUlT_T0_E_clISt17integral_constantIbLb0EES1U_IbLb1EEEEDaS1Q_S1R_EUlS1Q_E_NS1_11comp_targetILNS1_3genE9ELNS1_11target_archE1100ELNS1_3gpuE3ELNS1_3repE0EEENS1_30default_config_static_selectorELNS0_4arch9wavefront6targetE0EEEvS13_,comdat
.Lfunc_end1912:
	.size	_ZN7rocprim17ROCPRIM_400000_NS6detail17trampoline_kernelINS0_13select_configILj256ELj13ELNS0_17block_load_methodE3ELS4_3ELS4_3ELNS0_20block_scan_algorithmE0ELj4294967295EEENS1_25partition_config_selectorILNS1_17partition_subalgoE4EjNS0_10empty_typeEbEEZZNS1_14partition_implILS8_4ELb0ES6_15HIP_vector_typeIjLj2EENS0_17counting_iteratorIjlEEPS9_SG_NS0_5tupleIJPjSI_NS0_16reverse_iteratorISI_EEEEENSH_IJSG_SG_SG_EEES9_SI_JZNS1_25segmented_radix_sort_implINS0_14default_configELb1EPK12hip_bfloat16PSP_PKlPlN2at6native12_GLOBAL__N_18offset_tEEE10hipError_tPvRmT1_PNSt15iterator_traitsIS13_E10value_typeET2_T3_PNS14_IS19_E10value_typeET4_jRbjT5_S1F_jjP12ihipStream_tbEUljE_ZNSN_ISO_Lb1ESR_SS_SU_SV_SZ_EES10_S11_S12_S13_S17_S18_S19_S1C_S1D_jS1E_jS1F_S1F_jjS1H_bEUljE0_EEES10_S11_S12_S19_S1D_S1F_T6_T7_T9_mT8_S1H_bDpT10_ENKUlT_T0_E_clISt17integral_constantIbLb0EES1U_IbLb1EEEEDaS1Q_S1R_EUlS1Q_E_NS1_11comp_targetILNS1_3genE9ELNS1_11target_archE1100ELNS1_3gpuE3ELNS1_3repE0EEENS1_30default_config_static_selectorELNS0_4arch9wavefront6targetE0EEEvS13_, .Lfunc_end1912-_ZN7rocprim17ROCPRIM_400000_NS6detail17trampoline_kernelINS0_13select_configILj256ELj13ELNS0_17block_load_methodE3ELS4_3ELS4_3ELNS0_20block_scan_algorithmE0ELj4294967295EEENS1_25partition_config_selectorILNS1_17partition_subalgoE4EjNS0_10empty_typeEbEEZZNS1_14partition_implILS8_4ELb0ES6_15HIP_vector_typeIjLj2EENS0_17counting_iteratorIjlEEPS9_SG_NS0_5tupleIJPjSI_NS0_16reverse_iteratorISI_EEEEENSH_IJSG_SG_SG_EEES9_SI_JZNS1_25segmented_radix_sort_implINS0_14default_configELb1EPK12hip_bfloat16PSP_PKlPlN2at6native12_GLOBAL__N_18offset_tEEE10hipError_tPvRmT1_PNSt15iterator_traitsIS13_E10value_typeET2_T3_PNS14_IS19_E10value_typeET4_jRbjT5_S1F_jjP12ihipStream_tbEUljE_ZNSN_ISO_Lb1ESR_SS_SU_SV_SZ_EES10_S11_S12_S13_S17_S18_S19_S1C_S1D_jS1E_jS1F_S1F_jjS1H_bEUljE0_EEES10_S11_S12_S19_S1D_S1F_T6_T7_T9_mT8_S1H_bDpT10_ENKUlT_T0_E_clISt17integral_constantIbLb0EES1U_IbLb1EEEEDaS1Q_S1R_EUlS1Q_E_NS1_11comp_targetILNS1_3genE9ELNS1_11target_archE1100ELNS1_3gpuE3ELNS1_3repE0EEENS1_30default_config_static_selectorELNS0_4arch9wavefront6targetE0EEEvS13_
                                        ; -- End function
	.set _ZN7rocprim17ROCPRIM_400000_NS6detail17trampoline_kernelINS0_13select_configILj256ELj13ELNS0_17block_load_methodE3ELS4_3ELS4_3ELNS0_20block_scan_algorithmE0ELj4294967295EEENS1_25partition_config_selectorILNS1_17partition_subalgoE4EjNS0_10empty_typeEbEEZZNS1_14partition_implILS8_4ELb0ES6_15HIP_vector_typeIjLj2EENS0_17counting_iteratorIjlEEPS9_SG_NS0_5tupleIJPjSI_NS0_16reverse_iteratorISI_EEEEENSH_IJSG_SG_SG_EEES9_SI_JZNS1_25segmented_radix_sort_implINS0_14default_configELb1EPK12hip_bfloat16PSP_PKlPlN2at6native12_GLOBAL__N_18offset_tEEE10hipError_tPvRmT1_PNSt15iterator_traitsIS13_E10value_typeET2_T3_PNS14_IS19_E10value_typeET4_jRbjT5_S1F_jjP12ihipStream_tbEUljE_ZNSN_ISO_Lb1ESR_SS_SU_SV_SZ_EES10_S11_S12_S13_S17_S18_S19_S1C_S1D_jS1E_jS1F_S1F_jjS1H_bEUljE0_EEES10_S11_S12_S19_S1D_S1F_T6_T7_T9_mT8_S1H_bDpT10_ENKUlT_T0_E_clISt17integral_constantIbLb0EES1U_IbLb1EEEEDaS1Q_S1R_EUlS1Q_E_NS1_11comp_targetILNS1_3genE9ELNS1_11target_archE1100ELNS1_3gpuE3ELNS1_3repE0EEENS1_30default_config_static_selectorELNS0_4arch9wavefront6targetE0EEEvS13_.num_vgpr, 0
	.set _ZN7rocprim17ROCPRIM_400000_NS6detail17trampoline_kernelINS0_13select_configILj256ELj13ELNS0_17block_load_methodE3ELS4_3ELS4_3ELNS0_20block_scan_algorithmE0ELj4294967295EEENS1_25partition_config_selectorILNS1_17partition_subalgoE4EjNS0_10empty_typeEbEEZZNS1_14partition_implILS8_4ELb0ES6_15HIP_vector_typeIjLj2EENS0_17counting_iteratorIjlEEPS9_SG_NS0_5tupleIJPjSI_NS0_16reverse_iteratorISI_EEEEENSH_IJSG_SG_SG_EEES9_SI_JZNS1_25segmented_radix_sort_implINS0_14default_configELb1EPK12hip_bfloat16PSP_PKlPlN2at6native12_GLOBAL__N_18offset_tEEE10hipError_tPvRmT1_PNSt15iterator_traitsIS13_E10value_typeET2_T3_PNS14_IS19_E10value_typeET4_jRbjT5_S1F_jjP12ihipStream_tbEUljE_ZNSN_ISO_Lb1ESR_SS_SU_SV_SZ_EES10_S11_S12_S13_S17_S18_S19_S1C_S1D_jS1E_jS1F_S1F_jjS1H_bEUljE0_EEES10_S11_S12_S19_S1D_S1F_T6_T7_T9_mT8_S1H_bDpT10_ENKUlT_T0_E_clISt17integral_constantIbLb0EES1U_IbLb1EEEEDaS1Q_S1R_EUlS1Q_E_NS1_11comp_targetILNS1_3genE9ELNS1_11target_archE1100ELNS1_3gpuE3ELNS1_3repE0EEENS1_30default_config_static_selectorELNS0_4arch9wavefront6targetE0EEEvS13_.num_agpr, 0
	.set _ZN7rocprim17ROCPRIM_400000_NS6detail17trampoline_kernelINS0_13select_configILj256ELj13ELNS0_17block_load_methodE3ELS4_3ELS4_3ELNS0_20block_scan_algorithmE0ELj4294967295EEENS1_25partition_config_selectorILNS1_17partition_subalgoE4EjNS0_10empty_typeEbEEZZNS1_14partition_implILS8_4ELb0ES6_15HIP_vector_typeIjLj2EENS0_17counting_iteratorIjlEEPS9_SG_NS0_5tupleIJPjSI_NS0_16reverse_iteratorISI_EEEEENSH_IJSG_SG_SG_EEES9_SI_JZNS1_25segmented_radix_sort_implINS0_14default_configELb1EPK12hip_bfloat16PSP_PKlPlN2at6native12_GLOBAL__N_18offset_tEEE10hipError_tPvRmT1_PNSt15iterator_traitsIS13_E10value_typeET2_T3_PNS14_IS19_E10value_typeET4_jRbjT5_S1F_jjP12ihipStream_tbEUljE_ZNSN_ISO_Lb1ESR_SS_SU_SV_SZ_EES10_S11_S12_S13_S17_S18_S19_S1C_S1D_jS1E_jS1F_S1F_jjS1H_bEUljE0_EEES10_S11_S12_S19_S1D_S1F_T6_T7_T9_mT8_S1H_bDpT10_ENKUlT_T0_E_clISt17integral_constantIbLb0EES1U_IbLb1EEEEDaS1Q_S1R_EUlS1Q_E_NS1_11comp_targetILNS1_3genE9ELNS1_11target_archE1100ELNS1_3gpuE3ELNS1_3repE0EEENS1_30default_config_static_selectorELNS0_4arch9wavefront6targetE0EEEvS13_.numbered_sgpr, 0
	.set _ZN7rocprim17ROCPRIM_400000_NS6detail17trampoline_kernelINS0_13select_configILj256ELj13ELNS0_17block_load_methodE3ELS4_3ELS4_3ELNS0_20block_scan_algorithmE0ELj4294967295EEENS1_25partition_config_selectorILNS1_17partition_subalgoE4EjNS0_10empty_typeEbEEZZNS1_14partition_implILS8_4ELb0ES6_15HIP_vector_typeIjLj2EENS0_17counting_iteratorIjlEEPS9_SG_NS0_5tupleIJPjSI_NS0_16reverse_iteratorISI_EEEEENSH_IJSG_SG_SG_EEES9_SI_JZNS1_25segmented_radix_sort_implINS0_14default_configELb1EPK12hip_bfloat16PSP_PKlPlN2at6native12_GLOBAL__N_18offset_tEEE10hipError_tPvRmT1_PNSt15iterator_traitsIS13_E10value_typeET2_T3_PNS14_IS19_E10value_typeET4_jRbjT5_S1F_jjP12ihipStream_tbEUljE_ZNSN_ISO_Lb1ESR_SS_SU_SV_SZ_EES10_S11_S12_S13_S17_S18_S19_S1C_S1D_jS1E_jS1F_S1F_jjS1H_bEUljE0_EEES10_S11_S12_S19_S1D_S1F_T6_T7_T9_mT8_S1H_bDpT10_ENKUlT_T0_E_clISt17integral_constantIbLb0EES1U_IbLb1EEEEDaS1Q_S1R_EUlS1Q_E_NS1_11comp_targetILNS1_3genE9ELNS1_11target_archE1100ELNS1_3gpuE3ELNS1_3repE0EEENS1_30default_config_static_selectorELNS0_4arch9wavefront6targetE0EEEvS13_.num_named_barrier, 0
	.set _ZN7rocprim17ROCPRIM_400000_NS6detail17trampoline_kernelINS0_13select_configILj256ELj13ELNS0_17block_load_methodE3ELS4_3ELS4_3ELNS0_20block_scan_algorithmE0ELj4294967295EEENS1_25partition_config_selectorILNS1_17partition_subalgoE4EjNS0_10empty_typeEbEEZZNS1_14partition_implILS8_4ELb0ES6_15HIP_vector_typeIjLj2EENS0_17counting_iteratorIjlEEPS9_SG_NS0_5tupleIJPjSI_NS0_16reverse_iteratorISI_EEEEENSH_IJSG_SG_SG_EEES9_SI_JZNS1_25segmented_radix_sort_implINS0_14default_configELb1EPK12hip_bfloat16PSP_PKlPlN2at6native12_GLOBAL__N_18offset_tEEE10hipError_tPvRmT1_PNSt15iterator_traitsIS13_E10value_typeET2_T3_PNS14_IS19_E10value_typeET4_jRbjT5_S1F_jjP12ihipStream_tbEUljE_ZNSN_ISO_Lb1ESR_SS_SU_SV_SZ_EES10_S11_S12_S13_S17_S18_S19_S1C_S1D_jS1E_jS1F_S1F_jjS1H_bEUljE0_EEES10_S11_S12_S19_S1D_S1F_T6_T7_T9_mT8_S1H_bDpT10_ENKUlT_T0_E_clISt17integral_constantIbLb0EES1U_IbLb1EEEEDaS1Q_S1R_EUlS1Q_E_NS1_11comp_targetILNS1_3genE9ELNS1_11target_archE1100ELNS1_3gpuE3ELNS1_3repE0EEENS1_30default_config_static_selectorELNS0_4arch9wavefront6targetE0EEEvS13_.private_seg_size, 0
	.set _ZN7rocprim17ROCPRIM_400000_NS6detail17trampoline_kernelINS0_13select_configILj256ELj13ELNS0_17block_load_methodE3ELS4_3ELS4_3ELNS0_20block_scan_algorithmE0ELj4294967295EEENS1_25partition_config_selectorILNS1_17partition_subalgoE4EjNS0_10empty_typeEbEEZZNS1_14partition_implILS8_4ELb0ES6_15HIP_vector_typeIjLj2EENS0_17counting_iteratorIjlEEPS9_SG_NS0_5tupleIJPjSI_NS0_16reverse_iteratorISI_EEEEENSH_IJSG_SG_SG_EEES9_SI_JZNS1_25segmented_radix_sort_implINS0_14default_configELb1EPK12hip_bfloat16PSP_PKlPlN2at6native12_GLOBAL__N_18offset_tEEE10hipError_tPvRmT1_PNSt15iterator_traitsIS13_E10value_typeET2_T3_PNS14_IS19_E10value_typeET4_jRbjT5_S1F_jjP12ihipStream_tbEUljE_ZNSN_ISO_Lb1ESR_SS_SU_SV_SZ_EES10_S11_S12_S13_S17_S18_S19_S1C_S1D_jS1E_jS1F_S1F_jjS1H_bEUljE0_EEES10_S11_S12_S19_S1D_S1F_T6_T7_T9_mT8_S1H_bDpT10_ENKUlT_T0_E_clISt17integral_constantIbLb0EES1U_IbLb1EEEEDaS1Q_S1R_EUlS1Q_E_NS1_11comp_targetILNS1_3genE9ELNS1_11target_archE1100ELNS1_3gpuE3ELNS1_3repE0EEENS1_30default_config_static_selectorELNS0_4arch9wavefront6targetE0EEEvS13_.uses_vcc, 0
	.set _ZN7rocprim17ROCPRIM_400000_NS6detail17trampoline_kernelINS0_13select_configILj256ELj13ELNS0_17block_load_methodE3ELS4_3ELS4_3ELNS0_20block_scan_algorithmE0ELj4294967295EEENS1_25partition_config_selectorILNS1_17partition_subalgoE4EjNS0_10empty_typeEbEEZZNS1_14partition_implILS8_4ELb0ES6_15HIP_vector_typeIjLj2EENS0_17counting_iteratorIjlEEPS9_SG_NS0_5tupleIJPjSI_NS0_16reverse_iteratorISI_EEEEENSH_IJSG_SG_SG_EEES9_SI_JZNS1_25segmented_radix_sort_implINS0_14default_configELb1EPK12hip_bfloat16PSP_PKlPlN2at6native12_GLOBAL__N_18offset_tEEE10hipError_tPvRmT1_PNSt15iterator_traitsIS13_E10value_typeET2_T3_PNS14_IS19_E10value_typeET4_jRbjT5_S1F_jjP12ihipStream_tbEUljE_ZNSN_ISO_Lb1ESR_SS_SU_SV_SZ_EES10_S11_S12_S13_S17_S18_S19_S1C_S1D_jS1E_jS1F_S1F_jjS1H_bEUljE0_EEES10_S11_S12_S19_S1D_S1F_T6_T7_T9_mT8_S1H_bDpT10_ENKUlT_T0_E_clISt17integral_constantIbLb0EES1U_IbLb1EEEEDaS1Q_S1R_EUlS1Q_E_NS1_11comp_targetILNS1_3genE9ELNS1_11target_archE1100ELNS1_3gpuE3ELNS1_3repE0EEENS1_30default_config_static_selectorELNS0_4arch9wavefront6targetE0EEEvS13_.uses_flat_scratch, 0
	.set _ZN7rocprim17ROCPRIM_400000_NS6detail17trampoline_kernelINS0_13select_configILj256ELj13ELNS0_17block_load_methodE3ELS4_3ELS4_3ELNS0_20block_scan_algorithmE0ELj4294967295EEENS1_25partition_config_selectorILNS1_17partition_subalgoE4EjNS0_10empty_typeEbEEZZNS1_14partition_implILS8_4ELb0ES6_15HIP_vector_typeIjLj2EENS0_17counting_iteratorIjlEEPS9_SG_NS0_5tupleIJPjSI_NS0_16reverse_iteratorISI_EEEEENSH_IJSG_SG_SG_EEES9_SI_JZNS1_25segmented_radix_sort_implINS0_14default_configELb1EPK12hip_bfloat16PSP_PKlPlN2at6native12_GLOBAL__N_18offset_tEEE10hipError_tPvRmT1_PNSt15iterator_traitsIS13_E10value_typeET2_T3_PNS14_IS19_E10value_typeET4_jRbjT5_S1F_jjP12ihipStream_tbEUljE_ZNSN_ISO_Lb1ESR_SS_SU_SV_SZ_EES10_S11_S12_S13_S17_S18_S19_S1C_S1D_jS1E_jS1F_S1F_jjS1H_bEUljE0_EEES10_S11_S12_S19_S1D_S1F_T6_T7_T9_mT8_S1H_bDpT10_ENKUlT_T0_E_clISt17integral_constantIbLb0EES1U_IbLb1EEEEDaS1Q_S1R_EUlS1Q_E_NS1_11comp_targetILNS1_3genE9ELNS1_11target_archE1100ELNS1_3gpuE3ELNS1_3repE0EEENS1_30default_config_static_selectorELNS0_4arch9wavefront6targetE0EEEvS13_.has_dyn_sized_stack, 0
	.set _ZN7rocprim17ROCPRIM_400000_NS6detail17trampoline_kernelINS0_13select_configILj256ELj13ELNS0_17block_load_methodE3ELS4_3ELS4_3ELNS0_20block_scan_algorithmE0ELj4294967295EEENS1_25partition_config_selectorILNS1_17partition_subalgoE4EjNS0_10empty_typeEbEEZZNS1_14partition_implILS8_4ELb0ES6_15HIP_vector_typeIjLj2EENS0_17counting_iteratorIjlEEPS9_SG_NS0_5tupleIJPjSI_NS0_16reverse_iteratorISI_EEEEENSH_IJSG_SG_SG_EEES9_SI_JZNS1_25segmented_radix_sort_implINS0_14default_configELb1EPK12hip_bfloat16PSP_PKlPlN2at6native12_GLOBAL__N_18offset_tEEE10hipError_tPvRmT1_PNSt15iterator_traitsIS13_E10value_typeET2_T3_PNS14_IS19_E10value_typeET4_jRbjT5_S1F_jjP12ihipStream_tbEUljE_ZNSN_ISO_Lb1ESR_SS_SU_SV_SZ_EES10_S11_S12_S13_S17_S18_S19_S1C_S1D_jS1E_jS1F_S1F_jjS1H_bEUljE0_EEES10_S11_S12_S19_S1D_S1F_T6_T7_T9_mT8_S1H_bDpT10_ENKUlT_T0_E_clISt17integral_constantIbLb0EES1U_IbLb1EEEEDaS1Q_S1R_EUlS1Q_E_NS1_11comp_targetILNS1_3genE9ELNS1_11target_archE1100ELNS1_3gpuE3ELNS1_3repE0EEENS1_30default_config_static_selectorELNS0_4arch9wavefront6targetE0EEEvS13_.has_recursion, 0
	.set _ZN7rocprim17ROCPRIM_400000_NS6detail17trampoline_kernelINS0_13select_configILj256ELj13ELNS0_17block_load_methodE3ELS4_3ELS4_3ELNS0_20block_scan_algorithmE0ELj4294967295EEENS1_25partition_config_selectorILNS1_17partition_subalgoE4EjNS0_10empty_typeEbEEZZNS1_14partition_implILS8_4ELb0ES6_15HIP_vector_typeIjLj2EENS0_17counting_iteratorIjlEEPS9_SG_NS0_5tupleIJPjSI_NS0_16reverse_iteratorISI_EEEEENSH_IJSG_SG_SG_EEES9_SI_JZNS1_25segmented_radix_sort_implINS0_14default_configELb1EPK12hip_bfloat16PSP_PKlPlN2at6native12_GLOBAL__N_18offset_tEEE10hipError_tPvRmT1_PNSt15iterator_traitsIS13_E10value_typeET2_T3_PNS14_IS19_E10value_typeET4_jRbjT5_S1F_jjP12ihipStream_tbEUljE_ZNSN_ISO_Lb1ESR_SS_SU_SV_SZ_EES10_S11_S12_S13_S17_S18_S19_S1C_S1D_jS1E_jS1F_S1F_jjS1H_bEUljE0_EEES10_S11_S12_S19_S1D_S1F_T6_T7_T9_mT8_S1H_bDpT10_ENKUlT_T0_E_clISt17integral_constantIbLb0EES1U_IbLb1EEEEDaS1Q_S1R_EUlS1Q_E_NS1_11comp_targetILNS1_3genE9ELNS1_11target_archE1100ELNS1_3gpuE3ELNS1_3repE0EEENS1_30default_config_static_selectorELNS0_4arch9wavefront6targetE0EEEvS13_.has_indirect_call, 0
	.section	.AMDGPU.csdata,"",@progbits
; Kernel info:
; codeLenInByte = 0
; TotalNumSgprs: 0
; NumVgprs: 0
; ScratchSize: 0
; MemoryBound: 0
; FloatMode: 240
; IeeeMode: 1
; LDSByteSize: 0 bytes/workgroup (compile time only)
; SGPRBlocks: 0
; VGPRBlocks: 0
; NumSGPRsForWavesPerEU: 1
; NumVGPRsForWavesPerEU: 1
; Occupancy: 16
; WaveLimiterHint : 0
; COMPUTE_PGM_RSRC2:SCRATCH_EN: 0
; COMPUTE_PGM_RSRC2:USER_SGPR: 2
; COMPUTE_PGM_RSRC2:TRAP_HANDLER: 0
; COMPUTE_PGM_RSRC2:TGID_X_EN: 1
; COMPUTE_PGM_RSRC2:TGID_Y_EN: 0
; COMPUTE_PGM_RSRC2:TGID_Z_EN: 0
; COMPUTE_PGM_RSRC2:TIDIG_COMP_CNT: 0
	.section	.text._ZN7rocprim17ROCPRIM_400000_NS6detail17trampoline_kernelINS0_13select_configILj256ELj13ELNS0_17block_load_methodE3ELS4_3ELS4_3ELNS0_20block_scan_algorithmE0ELj4294967295EEENS1_25partition_config_selectorILNS1_17partition_subalgoE4EjNS0_10empty_typeEbEEZZNS1_14partition_implILS8_4ELb0ES6_15HIP_vector_typeIjLj2EENS0_17counting_iteratorIjlEEPS9_SG_NS0_5tupleIJPjSI_NS0_16reverse_iteratorISI_EEEEENSH_IJSG_SG_SG_EEES9_SI_JZNS1_25segmented_radix_sort_implINS0_14default_configELb1EPK12hip_bfloat16PSP_PKlPlN2at6native12_GLOBAL__N_18offset_tEEE10hipError_tPvRmT1_PNSt15iterator_traitsIS13_E10value_typeET2_T3_PNS14_IS19_E10value_typeET4_jRbjT5_S1F_jjP12ihipStream_tbEUljE_ZNSN_ISO_Lb1ESR_SS_SU_SV_SZ_EES10_S11_S12_S13_S17_S18_S19_S1C_S1D_jS1E_jS1F_S1F_jjS1H_bEUljE0_EEES10_S11_S12_S19_S1D_S1F_T6_T7_T9_mT8_S1H_bDpT10_ENKUlT_T0_E_clISt17integral_constantIbLb0EES1U_IbLb1EEEEDaS1Q_S1R_EUlS1Q_E_NS1_11comp_targetILNS1_3genE8ELNS1_11target_archE1030ELNS1_3gpuE2ELNS1_3repE0EEENS1_30default_config_static_selectorELNS0_4arch9wavefront6targetE0EEEvS13_,"axG",@progbits,_ZN7rocprim17ROCPRIM_400000_NS6detail17trampoline_kernelINS0_13select_configILj256ELj13ELNS0_17block_load_methodE3ELS4_3ELS4_3ELNS0_20block_scan_algorithmE0ELj4294967295EEENS1_25partition_config_selectorILNS1_17partition_subalgoE4EjNS0_10empty_typeEbEEZZNS1_14partition_implILS8_4ELb0ES6_15HIP_vector_typeIjLj2EENS0_17counting_iteratorIjlEEPS9_SG_NS0_5tupleIJPjSI_NS0_16reverse_iteratorISI_EEEEENSH_IJSG_SG_SG_EEES9_SI_JZNS1_25segmented_radix_sort_implINS0_14default_configELb1EPK12hip_bfloat16PSP_PKlPlN2at6native12_GLOBAL__N_18offset_tEEE10hipError_tPvRmT1_PNSt15iterator_traitsIS13_E10value_typeET2_T3_PNS14_IS19_E10value_typeET4_jRbjT5_S1F_jjP12ihipStream_tbEUljE_ZNSN_ISO_Lb1ESR_SS_SU_SV_SZ_EES10_S11_S12_S13_S17_S18_S19_S1C_S1D_jS1E_jS1F_S1F_jjS1H_bEUljE0_EEES10_S11_S12_S19_S1D_S1F_T6_T7_T9_mT8_S1H_bDpT10_ENKUlT_T0_E_clISt17integral_constantIbLb0EES1U_IbLb1EEEEDaS1Q_S1R_EUlS1Q_E_NS1_11comp_targetILNS1_3genE8ELNS1_11target_archE1030ELNS1_3gpuE2ELNS1_3repE0EEENS1_30default_config_static_selectorELNS0_4arch9wavefront6targetE0EEEvS13_,comdat
	.globl	_ZN7rocprim17ROCPRIM_400000_NS6detail17trampoline_kernelINS0_13select_configILj256ELj13ELNS0_17block_load_methodE3ELS4_3ELS4_3ELNS0_20block_scan_algorithmE0ELj4294967295EEENS1_25partition_config_selectorILNS1_17partition_subalgoE4EjNS0_10empty_typeEbEEZZNS1_14partition_implILS8_4ELb0ES6_15HIP_vector_typeIjLj2EENS0_17counting_iteratorIjlEEPS9_SG_NS0_5tupleIJPjSI_NS0_16reverse_iteratorISI_EEEEENSH_IJSG_SG_SG_EEES9_SI_JZNS1_25segmented_radix_sort_implINS0_14default_configELb1EPK12hip_bfloat16PSP_PKlPlN2at6native12_GLOBAL__N_18offset_tEEE10hipError_tPvRmT1_PNSt15iterator_traitsIS13_E10value_typeET2_T3_PNS14_IS19_E10value_typeET4_jRbjT5_S1F_jjP12ihipStream_tbEUljE_ZNSN_ISO_Lb1ESR_SS_SU_SV_SZ_EES10_S11_S12_S13_S17_S18_S19_S1C_S1D_jS1E_jS1F_S1F_jjS1H_bEUljE0_EEES10_S11_S12_S19_S1D_S1F_T6_T7_T9_mT8_S1H_bDpT10_ENKUlT_T0_E_clISt17integral_constantIbLb0EES1U_IbLb1EEEEDaS1Q_S1R_EUlS1Q_E_NS1_11comp_targetILNS1_3genE8ELNS1_11target_archE1030ELNS1_3gpuE2ELNS1_3repE0EEENS1_30default_config_static_selectorELNS0_4arch9wavefront6targetE0EEEvS13_ ; -- Begin function _ZN7rocprim17ROCPRIM_400000_NS6detail17trampoline_kernelINS0_13select_configILj256ELj13ELNS0_17block_load_methodE3ELS4_3ELS4_3ELNS0_20block_scan_algorithmE0ELj4294967295EEENS1_25partition_config_selectorILNS1_17partition_subalgoE4EjNS0_10empty_typeEbEEZZNS1_14partition_implILS8_4ELb0ES6_15HIP_vector_typeIjLj2EENS0_17counting_iteratorIjlEEPS9_SG_NS0_5tupleIJPjSI_NS0_16reverse_iteratorISI_EEEEENSH_IJSG_SG_SG_EEES9_SI_JZNS1_25segmented_radix_sort_implINS0_14default_configELb1EPK12hip_bfloat16PSP_PKlPlN2at6native12_GLOBAL__N_18offset_tEEE10hipError_tPvRmT1_PNSt15iterator_traitsIS13_E10value_typeET2_T3_PNS14_IS19_E10value_typeET4_jRbjT5_S1F_jjP12ihipStream_tbEUljE_ZNSN_ISO_Lb1ESR_SS_SU_SV_SZ_EES10_S11_S12_S13_S17_S18_S19_S1C_S1D_jS1E_jS1F_S1F_jjS1H_bEUljE0_EEES10_S11_S12_S19_S1D_S1F_T6_T7_T9_mT8_S1H_bDpT10_ENKUlT_T0_E_clISt17integral_constantIbLb0EES1U_IbLb1EEEEDaS1Q_S1R_EUlS1Q_E_NS1_11comp_targetILNS1_3genE8ELNS1_11target_archE1030ELNS1_3gpuE2ELNS1_3repE0EEENS1_30default_config_static_selectorELNS0_4arch9wavefront6targetE0EEEvS13_
	.p2align	8
	.type	_ZN7rocprim17ROCPRIM_400000_NS6detail17trampoline_kernelINS0_13select_configILj256ELj13ELNS0_17block_load_methodE3ELS4_3ELS4_3ELNS0_20block_scan_algorithmE0ELj4294967295EEENS1_25partition_config_selectorILNS1_17partition_subalgoE4EjNS0_10empty_typeEbEEZZNS1_14partition_implILS8_4ELb0ES6_15HIP_vector_typeIjLj2EENS0_17counting_iteratorIjlEEPS9_SG_NS0_5tupleIJPjSI_NS0_16reverse_iteratorISI_EEEEENSH_IJSG_SG_SG_EEES9_SI_JZNS1_25segmented_radix_sort_implINS0_14default_configELb1EPK12hip_bfloat16PSP_PKlPlN2at6native12_GLOBAL__N_18offset_tEEE10hipError_tPvRmT1_PNSt15iterator_traitsIS13_E10value_typeET2_T3_PNS14_IS19_E10value_typeET4_jRbjT5_S1F_jjP12ihipStream_tbEUljE_ZNSN_ISO_Lb1ESR_SS_SU_SV_SZ_EES10_S11_S12_S13_S17_S18_S19_S1C_S1D_jS1E_jS1F_S1F_jjS1H_bEUljE0_EEES10_S11_S12_S19_S1D_S1F_T6_T7_T9_mT8_S1H_bDpT10_ENKUlT_T0_E_clISt17integral_constantIbLb0EES1U_IbLb1EEEEDaS1Q_S1R_EUlS1Q_E_NS1_11comp_targetILNS1_3genE8ELNS1_11target_archE1030ELNS1_3gpuE2ELNS1_3repE0EEENS1_30default_config_static_selectorELNS0_4arch9wavefront6targetE0EEEvS13_,@function
_ZN7rocprim17ROCPRIM_400000_NS6detail17trampoline_kernelINS0_13select_configILj256ELj13ELNS0_17block_load_methodE3ELS4_3ELS4_3ELNS0_20block_scan_algorithmE0ELj4294967295EEENS1_25partition_config_selectorILNS1_17partition_subalgoE4EjNS0_10empty_typeEbEEZZNS1_14partition_implILS8_4ELb0ES6_15HIP_vector_typeIjLj2EENS0_17counting_iteratorIjlEEPS9_SG_NS0_5tupleIJPjSI_NS0_16reverse_iteratorISI_EEEEENSH_IJSG_SG_SG_EEES9_SI_JZNS1_25segmented_radix_sort_implINS0_14default_configELb1EPK12hip_bfloat16PSP_PKlPlN2at6native12_GLOBAL__N_18offset_tEEE10hipError_tPvRmT1_PNSt15iterator_traitsIS13_E10value_typeET2_T3_PNS14_IS19_E10value_typeET4_jRbjT5_S1F_jjP12ihipStream_tbEUljE_ZNSN_ISO_Lb1ESR_SS_SU_SV_SZ_EES10_S11_S12_S13_S17_S18_S19_S1C_S1D_jS1E_jS1F_S1F_jjS1H_bEUljE0_EEES10_S11_S12_S19_S1D_S1F_T6_T7_T9_mT8_S1H_bDpT10_ENKUlT_T0_E_clISt17integral_constantIbLb0EES1U_IbLb1EEEEDaS1Q_S1R_EUlS1Q_E_NS1_11comp_targetILNS1_3genE8ELNS1_11target_archE1030ELNS1_3gpuE2ELNS1_3repE0EEENS1_30default_config_static_selectorELNS0_4arch9wavefront6targetE0EEEvS13_: ; @_ZN7rocprim17ROCPRIM_400000_NS6detail17trampoline_kernelINS0_13select_configILj256ELj13ELNS0_17block_load_methodE3ELS4_3ELS4_3ELNS0_20block_scan_algorithmE0ELj4294967295EEENS1_25partition_config_selectorILNS1_17partition_subalgoE4EjNS0_10empty_typeEbEEZZNS1_14partition_implILS8_4ELb0ES6_15HIP_vector_typeIjLj2EENS0_17counting_iteratorIjlEEPS9_SG_NS0_5tupleIJPjSI_NS0_16reverse_iteratorISI_EEEEENSH_IJSG_SG_SG_EEES9_SI_JZNS1_25segmented_radix_sort_implINS0_14default_configELb1EPK12hip_bfloat16PSP_PKlPlN2at6native12_GLOBAL__N_18offset_tEEE10hipError_tPvRmT1_PNSt15iterator_traitsIS13_E10value_typeET2_T3_PNS14_IS19_E10value_typeET4_jRbjT5_S1F_jjP12ihipStream_tbEUljE_ZNSN_ISO_Lb1ESR_SS_SU_SV_SZ_EES10_S11_S12_S13_S17_S18_S19_S1C_S1D_jS1E_jS1F_S1F_jjS1H_bEUljE0_EEES10_S11_S12_S19_S1D_S1F_T6_T7_T9_mT8_S1H_bDpT10_ENKUlT_T0_E_clISt17integral_constantIbLb0EES1U_IbLb1EEEEDaS1Q_S1R_EUlS1Q_E_NS1_11comp_targetILNS1_3genE8ELNS1_11target_archE1030ELNS1_3gpuE2ELNS1_3repE0EEENS1_30default_config_static_selectorELNS0_4arch9wavefront6targetE0EEEvS13_
; %bb.0:
	.section	.rodata,"a",@progbits
	.p2align	6, 0x0
	.amdhsa_kernel _ZN7rocprim17ROCPRIM_400000_NS6detail17trampoline_kernelINS0_13select_configILj256ELj13ELNS0_17block_load_methodE3ELS4_3ELS4_3ELNS0_20block_scan_algorithmE0ELj4294967295EEENS1_25partition_config_selectorILNS1_17partition_subalgoE4EjNS0_10empty_typeEbEEZZNS1_14partition_implILS8_4ELb0ES6_15HIP_vector_typeIjLj2EENS0_17counting_iteratorIjlEEPS9_SG_NS0_5tupleIJPjSI_NS0_16reverse_iteratorISI_EEEEENSH_IJSG_SG_SG_EEES9_SI_JZNS1_25segmented_radix_sort_implINS0_14default_configELb1EPK12hip_bfloat16PSP_PKlPlN2at6native12_GLOBAL__N_18offset_tEEE10hipError_tPvRmT1_PNSt15iterator_traitsIS13_E10value_typeET2_T3_PNS14_IS19_E10value_typeET4_jRbjT5_S1F_jjP12ihipStream_tbEUljE_ZNSN_ISO_Lb1ESR_SS_SU_SV_SZ_EES10_S11_S12_S13_S17_S18_S19_S1C_S1D_jS1E_jS1F_S1F_jjS1H_bEUljE0_EEES10_S11_S12_S19_S1D_S1F_T6_T7_T9_mT8_S1H_bDpT10_ENKUlT_T0_E_clISt17integral_constantIbLb0EES1U_IbLb1EEEEDaS1Q_S1R_EUlS1Q_E_NS1_11comp_targetILNS1_3genE8ELNS1_11target_archE1030ELNS1_3gpuE2ELNS1_3repE0EEENS1_30default_config_static_selectorELNS0_4arch9wavefront6targetE0EEEvS13_
		.amdhsa_group_segment_fixed_size 0
		.amdhsa_private_segment_fixed_size 0
		.amdhsa_kernarg_size 184
		.amdhsa_user_sgpr_count 2
		.amdhsa_user_sgpr_dispatch_ptr 0
		.amdhsa_user_sgpr_queue_ptr 0
		.amdhsa_user_sgpr_kernarg_segment_ptr 1
		.amdhsa_user_sgpr_dispatch_id 0
		.amdhsa_user_sgpr_private_segment_size 0
		.amdhsa_wavefront_size32 1
		.amdhsa_uses_dynamic_stack 0
		.amdhsa_enable_private_segment 0
		.amdhsa_system_sgpr_workgroup_id_x 1
		.amdhsa_system_sgpr_workgroup_id_y 0
		.amdhsa_system_sgpr_workgroup_id_z 0
		.amdhsa_system_sgpr_workgroup_info 0
		.amdhsa_system_vgpr_workitem_id 0
		.amdhsa_next_free_vgpr 1
		.amdhsa_next_free_sgpr 1
		.amdhsa_reserve_vcc 0
		.amdhsa_float_round_mode_32 0
		.amdhsa_float_round_mode_16_64 0
		.amdhsa_float_denorm_mode_32 3
		.amdhsa_float_denorm_mode_16_64 3
		.amdhsa_fp16_overflow 0
		.amdhsa_workgroup_processor_mode 1
		.amdhsa_memory_ordered 1
		.amdhsa_forward_progress 1
		.amdhsa_inst_pref_size 0
		.amdhsa_round_robin_scheduling 0
		.amdhsa_exception_fp_ieee_invalid_op 0
		.amdhsa_exception_fp_denorm_src 0
		.amdhsa_exception_fp_ieee_div_zero 0
		.amdhsa_exception_fp_ieee_overflow 0
		.amdhsa_exception_fp_ieee_underflow 0
		.amdhsa_exception_fp_ieee_inexact 0
		.amdhsa_exception_int_div_zero 0
	.end_amdhsa_kernel
	.section	.text._ZN7rocprim17ROCPRIM_400000_NS6detail17trampoline_kernelINS0_13select_configILj256ELj13ELNS0_17block_load_methodE3ELS4_3ELS4_3ELNS0_20block_scan_algorithmE0ELj4294967295EEENS1_25partition_config_selectorILNS1_17partition_subalgoE4EjNS0_10empty_typeEbEEZZNS1_14partition_implILS8_4ELb0ES6_15HIP_vector_typeIjLj2EENS0_17counting_iteratorIjlEEPS9_SG_NS0_5tupleIJPjSI_NS0_16reverse_iteratorISI_EEEEENSH_IJSG_SG_SG_EEES9_SI_JZNS1_25segmented_radix_sort_implINS0_14default_configELb1EPK12hip_bfloat16PSP_PKlPlN2at6native12_GLOBAL__N_18offset_tEEE10hipError_tPvRmT1_PNSt15iterator_traitsIS13_E10value_typeET2_T3_PNS14_IS19_E10value_typeET4_jRbjT5_S1F_jjP12ihipStream_tbEUljE_ZNSN_ISO_Lb1ESR_SS_SU_SV_SZ_EES10_S11_S12_S13_S17_S18_S19_S1C_S1D_jS1E_jS1F_S1F_jjS1H_bEUljE0_EEES10_S11_S12_S19_S1D_S1F_T6_T7_T9_mT8_S1H_bDpT10_ENKUlT_T0_E_clISt17integral_constantIbLb0EES1U_IbLb1EEEEDaS1Q_S1R_EUlS1Q_E_NS1_11comp_targetILNS1_3genE8ELNS1_11target_archE1030ELNS1_3gpuE2ELNS1_3repE0EEENS1_30default_config_static_selectorELNS0_4arch9wavefront6targetE0EEEvS13_,"axG",@progbits,_ZN7rocprim17ROCPRIM_400000_NS6detail17trampoline_kernelINS0_13select_configILj256ELj13ELNS0_17block_load_methodE3ELS4_3ELS4_3ELNS0_20block_scan_algorithmE0ELj4294967295EEENS1_25partition_config_selectorILNS1_17partition_subalgoE4EjNS0_10empty_typeEbEEZZNS1_14partition_implILS8_4ELb0ES6_15HIP_vector_typeIjLj2EENS0_17counting_iteratorIjlEEPS9_SG_NS0_5tupleIJPjSI_NS0_16reverse_iteratorISI_EEEEENSH_IJSG_SG_SG_EEES9_SI_JZNS1_25segmented_radix_sort_implINS0_14default_configELb1EPK12hip_bfloat16PSP_PKlPlN2at6native12_GLOBAL__N_18offset_tEEE10hipError_tPvRmT1_PNSt15iterator_traitsIS13_E10value_typeET2_T3_PNS14_IS19_E10value_typeET4_jRbjT5_S1F_jjP12ihipStream_tbEUljE_ZNSN_ISO_Lb1ESR_SS_SU_SV_SZ_EES10_S11_S12_S13_S17_S18_S19_S1C_S1D_jS1E_jS1F_S1F_jjS1H_bEUljE0_EEES10_S11_S12_S19_S1D_S1F_T6_T7_T9_mT8_S1H_bDpT10_ENKUlT_T0_E_clISt17integral_constantIbLb0EES1U_IbLb1EEEEDaS1Q_S1R_EUlS1Q_E_NS1_11comp_targetILNS1_3genE8ELNS1_11target_archE1030ELNS1_3gpuE2ELNS1_3repE0EEENS1_30default_config_static_selectorELNS0_4arch9wavefront6targetE0EEEvS13_,comdat
.Lfunc_end1913:
	.size	_ZN7rocprim17ROCPRIM_400000_NS6detail17trampoline_kernelINS0_13select_configILj256ELj13ELNS0_17block_load_methodE3ELS4_3ELS4_3ELNS0_20block_scan_algorithmE0ELj4294967295EEENS1_25partition_config_selectorILNS1_17partition_subalgoE4EjNS0_10empty_typeEbEEZZNS1_14partition_implILS8_4ELb0ES6_15HIP_vector_typeIjLj2EENS0_17counting_iteratorIjlEEPS9_SG_NS0_5tupleIJPjSI_NS0_16reverse_iteratorISI_EEEEENSH_IJSG_SG_SG_EEES9_SI_JZNS1_25segmented_radix_sort_implINS0_14default_configELb1EPK12hip_bfloat16PSP_PKlPlN2at6native12_GLOBAL__N_18offset_tEEE10hipError_tPvRmT1_PNSt15iterator_traitsIS13_E10value_typeET2_T3_PNS14_IS19_E10value_typeET4_jRbjT5_S1F_jjP12ihipStream_tbEUljE_ZNSN_ISO_Lb1ESR_SS_SU_SV_SZ_EES10_S11_S12_S13_S17_S18_S19_S1C_S1D_jS1E_jS1F_S1F_jjS1H_bEUljE0_EEES10_S11_S12_S19_S1D_S1F_T6_T7_T9_mT8_S1H_bDpT10_ENKUlT_T0_E_clISt17integral_constantIbLb0EES1U_IbLb1EEEEDaS1Q_S1R_EUlS1Q_E_NS1_11comp_targetILNS1_3genE8ELNS1_11target_archE1030ELNS1_3gpuE2ELNS1_3repE0EEENS1_30default_config_static_selectorELNS0_4arch9wavefront6targetE0EEEvS13_, .Lfunc_end1913-_ZN7rocprim17ROCPRIM_400000_NS6detail17trampoline_kernelINS0_13select_configILj256ELj13ELNS0_17block_load_methodE3ELS4_3ELS4_3ELNS0_20block_scan_algorithmE0ELj4294967295EEENS1_25partition_config_selectorILNS1_17partition_subalgoE4EjNS0_10empty_typeEbEEZZNS1_14partition_implILS8_4ELb0ES6_15HIP_vector_typeIjLj2EENS0_17counting_iteratorIjlEEPS9_SG_NS0_5tupleIJPjSI_NS0_16reverse_iteratorISI_EEEEENSH_IJSG_SG_SG_EEES9_SI_JZNS1_25segmented_radix_sort_implINS0_14default_configELb1EPK12hip_bfloat16PSP_PKlPlN2at6native12_GLOBAL__N_18offset_tEEE10hipError_tPvRmT1_PNSt15iterator_traitsIS13_E10value_typeET2_T3_PNS14_IS19_E10value_typeET4_jRbjT5_S1F_jjP12ihipStream_tbEUljE_ZNSN_ISO_Lb1ESR_SS_SU_SV_SZ_EES10_S11_S12_S13_S17_S18_S19_S1C_S1D_jS1E_jS1F_S1F_jjS1H_bEUljE0_EEES10_S11_S12_S19_S1D_S1F_T6_T7_T9_mT8_S1H_bDpT10_ENKUlT_T0_E_clISt17integral_constantIbLb0EES1U_IbLb1EEEEDaS1Q_S1R_EUlS1Q_E_NS1_11comp_targetILNS1_3genE8ELNS1_11target_archE1030ELNS1_3gpuE2ELNS1_3repE0EEENS1_30default_config_static_selectorELNS0_4arch9wavefront6targetE0EEEvS13_
                                        ; -- End function
	.set _ZN7rocprim17ROCPRIM_400000_NS6detail17trampoline_kernelINS0_13select_configILj256ELj13ELNS0_17block_load_methodE3ELS4_3ELS4_3ELNS0_20block_scan_algorithmE0ELj4294967295EEENS1_25partition_config_selectorILNS1_17partition_subalgoE4EjNS0_10empty_typeEbEEZZNS1_14partition_implILS8_4ELb0ES6_15HIP_vector_typeIjLj2EENS0_17counting_iteratorIjlEEPS9_SG_NS0_5tupleIJPjSI_NS0_16reverse_iteratorISI_EEEEENSH_IJSG_SG_SG_EEES9_SI_JZNS1_25segmented_radix_sort_implINS0_14default_configELb1EPK12hip_bfloat16PSP_PKlPlN2at6native12_GLOBAL__N_18offset_tEEE10hipError_tPvRmT1_PNSt15iterator_traitsIS13_E10value_typeET2_T3_PNS14_IS19_E10value_typeET4_jRbjT5_S1F_jjP12ihipStream_tbEUljE_ZNSN_ISO_Lb1ESR_SS_SU_SV_SZ_EES10_S11_S12_S13_S17_S18_S19_S1C_S1D_jS1E_jS1F_S1F_jjS1H_bEUljE0_EEES10_S11_S12_S19_S1D_S1F_T6_T7_T9_mT8_S1H_bDpT10_ENKUlT_T0_E_clISt17integral_constantIbLb0EES1U_IbLb1EEEEDaS1Q_S1R_EUlS1Q_E_NS1_11comp_targetILNS1_3genE8ELNS1_11target_archE1030ELNS1_3gpuE2ELNS1_3repE0EEENS1_30default_config_static_selectorELNS0_4arch9wavefront6targetE0EEEvS13_.num_vgpr, 0
	.set _ZN7rocprim17ROCPRIM_400000_NS6detail17trampoline_kernelINS0_13select_configILj256ELj13ELNS0_17block_load_methodE3ELS4_3ELS4_3ELNS0_20block_scan_algorithmE0ELj4294967295EEENS1_25partition_config_selectorILNS1_17partition_subalgoE4EjNS0_10empty_typeEbEEZZNS1_14partition_implILS8_4ELb0ES6_15HIP_vector_typeIjLj2EENS0_17counting_iteratorIjlEEPS9_SG_NS0_5tupleIJPjSI_NS0_16reverse_iteratorISI_EEEEENSH_IJSG_SG_SG_EEES9_SI_JZNS1_25segmented_radix_sort_implINS0_14default_configELb1EPK12hip_bfloat16PSP_PKlPlN2at6native12_GLOBAL__N_18offset_tEEE10hipError_tPvRmT1_PNSt15iterator_traitsIS13_E10value_typeET2_T3_PNS14_IS19_E10value_typeET4_jRbjT5_S1F_jjP12ihipStream_tbEUljE_ZNSN_ISO_Lb1ESR_SS_SU_SV_SZ_EES10_S11_S12_S13_S17_S18_S19_S1C_S1D_jS1E_jS1F_S1F_jjS1H_bEUljE0_EEES10_S11_S12_S19_S1D_S1F_T6_T7_T9_mT8_S1H_bDpT10_ENKUlT_T0_E_clISt17integral_constantIbLb0EES1U_IbLb1EEEEDaS1Q_S1R_EUlS1Q_E_NS1_11comp_targetILNS1_3genE8ELNS1_11target_archE1030ELNS1_3gpuE2ELNS1_3repE0EEENS1_30default_config_static_selectorELNS0_4arch9wavefront6targetE0EEEvS13_.num_agpr, 0
	.set _ZN7rocprim17ROCPRIM_400000_NS6detail17trampoline_kernelINS0_13select_configILj256ELj13ELNS0_17block_load_methodE3ELS4_3ELS4_3ELNS0_20block_scan_algorithmE0ELj4294967295EEENS1_25partition_config_selectorILNS1_17partition_subalgoE4EjNS0_10empty_typeEbEEZZNS1_14partition_implILS8_4ELb0ES6_15HIP_vector_typeIjLj2EENS0_17counting_iteratorIjlEEPS9_SG_NS0_5tupleIJPjSI_NS0_16reverse_iteratorISI_EEEEENSH_IJSG_SG_SG_EEES9_SI_JZNS1_25segmented_radix_sort_implINS0_14default_configELb1EPK12hip_bfloat16PSP_PKlPlN2at6native12_GLOBAL__N_18offset_tEEE10hipError_tPvRmT1_PNSt15iterator_traitsIS13_E10value_typeET2_T3_PNS14_IS19_E10value_typeET4_jRbjT5_S1F_jjP12ihipStream_tbEUljE_ZNSN_ISO_Lb1ESR_SS_SU_SV_SZ_EES10_S11_S12_S13_S17_S18_S19_S1C_S1D_jS1E_jS1F_S1F_jjS1H_bEUljE0_EEES10_S11_S12_S19_S1D_S1F_T6_T7_T9_mT8_S1H_bDpT10_ENKUlT_T0_E_clISt17integral_constantIbLb0EES1U_IbLb1EEEEDaS1Q_S1R_EUlS1Q_E_NS1_11comp_targetILNS1_3genE8ELNS1_11target_archE1030ELNS1_3gpuE2ELNS1_3repE0EEENS1_30default_config_static_selectorELNS0_4arch9wavefront6targetE0EEEvS13_.numbered_sgpr, 0
	.set _ZN7rocprim17ROCPRIM_400000_NS6detail17trampoline_kernelINS0_13select_configILj256ELj13ELNS0_17block_load_methodE3ELS4_3ELS4_3ELNS0_20block_scan_algorithmE0ELj4294967295EEENS1_25partition_config_selectorILNS1_17partition_subalgoE4EjNS0_10empty_typeEbEEZZNS1_14partition_implILS8_4ELb0ES6_15HIP_vector_typeIjLj2EENS0_17counting_iteratorIjlEEPS9_SG_NS0_5tupleIJPjSI_NS0_16reverse_iteratorISI_EEEEENSH_IJSG_SG_SG_EEES9_SI_JZNS1_25segmented_radix_sort_implINS0_14default_configELb1EPK12hip_bfloat16PSP_PKlPlN2at6native12_GLOBAL__N_18offset_tEEE10hipError_tPvRmT1_PNSt15iterator_traitsIS13_E10value_typeET2_T3_PNS14_IS19_E10value_typeET4_jRbjT5_S1F_jjP12ihipStream_tbEUljE_ZNSN_ISO_Lb1ESR_SS_SU_SV_SZ_EES10_S11_S12_S13_S17_S18_S19_S1C_S1D_jS1E_jS1F_S1F_jjS1H_bEUljE0_EEES10_S11_S12_S19_S1D_S1F_T6_T7_T9_mT8_S1H_bDpT10_ENKUlT_T0_E_clISt17integral_constantIbLb0EES1U_IbLb1EEEEDaS1Q_S1R_EUlS1Q_E_NS1_11comp_targetILNS1_3genE8ELNS1_11target_archE1030ELNS1_3gpuE2ELNS1_3repE0EEENS1_30default_config_static_selectorELNS0_4arch9wavefront6targetE0EEEvS13_.num_named_barrier, 0
	.set _ZN7rocprim17ROCPRIM_400000_NS6detail17trampoline_kernelINS0_13select_configILj256ELj13ELNS0_17block_load_methodE3ELS4_3ELS4_3ELNS0_20block_scan_algorithmE0ELj4294967295EEENS1_25partition_config_selectorILNS1_17partition_subalgoE4EjNS0_10empty_typeEbEEZZNS1_14partition_implILS8_4ELb0ES6_15HIP_vector_typeIjLj2EENS0_17counting_iteratorIjlEEPS9_SG_NS0_5tupleIJPjSI_NS0_16reverse_iteratorISI_EEEEENSH_IJSG_SG_SG_EEES9_SI_JZNS1_25segmented_radix_sort_implINS0_14default_configELb1EPK12hip_bfloat16PSP_PKlPlN2at6native12_GLOBAL__N_18offset_tEEE10hipError_tPvRmT1_PNSt15iterator_traitsIS13_E10value_typeET2_T3_PNS14_IS19_E10value_typeET4_jRbjT5_S1F_jjP12ihipStream_tbEUljE_ZNSN_ISO_Lb1ESR_SS_SU_SV_SZ_EES10_S11_S12_S13_S17_S18_S19_S1C_S1D_jS1E_jS1F_S1F_jjS1H_bEUljE0_EEES10_S11_S12_S19_S1D_S1F_T6_T7_T9_mT8_S1H_bDpT10_ENKUlT_T0_E_clISt17integral_constantIbLb0EES1U_IbLb1EEEEDaS1Q_S1R_EUlS1Q_E_NS1_11comp_targetILNS1_3genE8ELNS1_11target_archE1030ELNS1_3gpuE2ELNS1_3repE0EEENS1_30default_config_static_selectorELNS0_4arch9wavefront6targetE0EEEvS13_.private_seg_size, 0
	.set _ZN7rocprim17ROCPRIM_400000_NS6detail17trampoline_kernelINS0_13select_configILj256ELj13ELNS0_17block_load_methodE3ELS4_3ELS4_3ELNS0_20block_scan_algorithmE0ELj4294967295EEENS1_25partition_config_selectorILNS1_17partition_subalgoE4EjNS0_10empty_typeEbEEZZNS1_14partition_implILS8_4ELb0ES6_15HIP_vector_typeIjLj2EENS0_17counting_iteratorIjlEEPS9_SG_NS0_5tupleIJPjSI_NS0_16reverse_iteratorISI_EEEEENSH_IJSG_SG_SG_EEES9_SI_JZNS1_25segmented_radix_sort_implINS0_14default_configELb1EPK12hip_bfloat16PSP_PKlPlN2at6native12_GLOBAL__N_18offset_tEEE10hipError_tPvRmT1_PNSt15iterator_traitsIS13_E10value_typeET2_T3_PNS14_IS19_E10value_typeET4_jRbjT5_S1F_jjP12ihipStream_tbEUljE_ZNSN_ISO_Lb1ESR_SS_SU_SV_SZ_EES10_S11_S12_S13_S17_S18_S19_S1C_S1D_jS1E_jS1F_S1F_jjS1H_bEUljE0_EEES10_S11_S12_S19_S1D_S1F_T6_T7_T9_mT8_S1H_bDpT10_ENKUlT_T0_E_clISt17integral_constantIbLb0EES1U_IbLb1EEEEDaS1Q_S1R_EUlS1Q_E_NS1_11comp_targetILNS1_3genE8ELNS1_11target_archE1030ELNS1_3gpuE2ELNS1_3repE0EEENS1_30default_config_static_selectorELNS0_4arch9wavefront6targetE0EEEvS13_.uses_vcc, 0
	.set _ZN7rocprim17ROCPRIM_400000_NS6detail17trampoline_kernelINS0_13select_configILj256ELj13ELNS0_17block_load_methodE3ELS4_3ELS4_3ELNS0_20block_scan_algorithmE0ELj4294967295EEENS1_25partition_config_selectorILNS1_17partition_subalgoE4EjNS0_10empty_typeEbEEZZNS1_14partition_implILS8_4ELb0ES6_15HIP_vector_typeIjLj2EENS0_17counting_iteratorIjlEEPS9_SG_NS0_5tupleIJPjSI_NS0_16reverse_iteratorISI_EEEEENSH_IJSG_SG_SG_EEES9_SI_JZNS1_25segmented_radix_sort_implINS0_14default_configELb1EPK12hip_bfloat16PSP_PKlPlN2at6native12_GLOBAL__N_18offset_tEEE10hipError_tPvRmT1_PNSt15iterator_traitsIS13_E10value_typeET2_T3_PNS14_IS19_E10value_typeET4_jRbjT5_S1F_jjP12ihipStream_tbEUljE_ZNSN_ISO_Lb1ESR_SS_SU_SV_SZ_EES10_S11_S12_S13_S17_S18_S19_S1C_S1D_jS1E_jS1F_S1F_jjS1H_bEUljE0_EEES10_S11_S12_S19_S1D_S1F_T6_T7_T9_mT8_S1H_bDpT10_ENKUlT_T0_E_clISt17integral_constantIbLb0EES1U_IbLb1EEEEDaS1Q_S1R_EUlS1Q_E_NS1_11comp_targetILNS1_3genE8ELNS1_11target_archE1030ELNS1_3gpuE2ELNS1_3repE0EEENS1_30default_config_static_selectorELNS0_4arch9wavefront6targetE0EEEvS13_.uses_flat_scratch, 0
	.set _ZN7rocprim17ROCPRIM_400000_NS6detail17trampoline_kernelINS0_13select_configILj256ELj13ELNS0_17block_load_methodE3ELS4_3ELS4_3ELNS0_20block_scan_algorithmE0ELj4294967295EEENS1_25partition_config_selectorILNS1_17partition_subalgoE4EjNS0_10empty_typeEbEEZZNS1_14partition_implILS8_4ELb0ES6_15HIP_vector_typeIjLj2EENS0_17counting_iteratorIjlEEPS9_SG_NS0_5tupleIJPjSI_NS0_16reverse_iteratorISI_EEEEENSH_IJSG_SG_SG_EEES9_SI_JZNS1_25segmented_radix_sort_implINS0_14default_configELb1EPK12hip_bfloat16PSP_PKlPlN2at6native12_GLOBAL__N_18offset_tEEE10hipError_tPvRmT1_PNSt15iterator_traitsIS13_E10value_typeET2_T3_PNS14_IS19_E10value_typeET4_jRbjT5_S1F_jjP12ihipStream_tbEUljE_ZNSN_ISO_Lb1ESR_SS_SU_SV_SZ_EES10_S11_S12_S13_S17_S18_S19_S1C_S1D_jS1E_jS1F_S1F_jjS1H_bEUljE0_EEES10_S11_S12_S19_S1D_S1F_T6_T7_T9_mT8_S1H_bDpT10_ENKUlT_T0_E_clISt17integral_constantIbLb0EES1U_IbLb1EEEEDaS1Q_S1R_EUlS1Q_E_NS1_11comp_targetILNS1_3genE8ELNS1_11target_archE1030ELNS1_3gpuE2ELNS1_3repE0EEENS1_30default_config_static_selectorELNS0_4arch9wavefront6targetE0EEEvS13_.has_dyn_sized_stack, 0
	.set _ZN7rocprim17ROCPRIM_400000_NS6detail17trampoline_kernelINS0_13select_configILj256ELj13ELNS0_17block_load_methodE3ELS4_3ELS4_3ELNS0_20block_scan_algorithmE0ELj4294967295EEENS1_25partition_config_selectorILNS1_17partition_subalgoE4EjNS0_10empty_typeEbEEZZNS1_14partition_implILS8_4ELb0ES6_15HIP_vector_typeIjLj2EENS0_17counting_iteratorIjlEEPS9_SG_NS0_5tupleIJPjSI_NS0_16reverse_iteratorISI_EEEEENSH_IJSG_SG_SG_EEES9_SI_JZNS1_25segmented_radix_sort_implINS0_14default_configELb1EPK12hip_bfloat16PSP_PKlPlN2at6native12_GLOBAL__N_18offset_tEEE10hipError_tPvRmT1_PNSt15iterator_traitsIS13_E10value_typeET2_T3_PNS14_IS19_E10value_typeET4_jRbjT5_S1F_jjP12ihipStream_tbEUljE_ZNSN_ISO_Lb1ESR_SS_SU_SV_SZ_EES10_S11_S12_S13_S17_S18_S19_S1C_S1D_jS1E_jS1F_S1F_jjS1H_bEUljE0_EEES10_S11_S12_S19_S1D_S1F_T6_T7_T9_mT8_S1H_bDpT10_ENKUlT_T0_E_clISt17integral_constantIbLb0EES1U_IbLb1EEEEDaS1Q_S1R_EUlS1Q_E_NS1_11comp_targetILNS1_3genE8ELNS1_11target_archE1030ELNS1_3gpuE2ELNS1_3repE0EEENS1_30default_config_static_selectorELNS0_4arch9wavefront6targetE0EEEvS13_.has_recursion, 0
	.set _ZN7rocprim17ROCPRIM_400000_NS6detail17trampoline_kernelINS0_13select_configILj256ELj13ELNS0_17block_load_methodE3ELS4_3ELS4_3ELNS0_20block_scan_algorithmE0ELj4294967295EEENS1_25partition_config_selectorILNS1_17partition_subalgoE4EjNS0_10empty_typeEbEEZZNS1_14partition_implILS8_4ELb0ES6_15HIP_vector_typeIjLj2EENS0_17counting_iteratorIjlEEPS9_SG_NS0_5tupleIJPjSI_NS0_16reverse_iteratorISI_EEEEENSH_IJSG_SG_SG_EEES9_SI_JZNS1_25segmented_radix_sort_implINS0_14default_configELb1EPK12hip_bfloat16PSP_PKlPlN2at6native12_GLOBAL__N_18offset_tEEE10hipError_tPvRmT1_PNSt15iterator_traitsIS13_E10value_typeET2_T3_PNS14_IS19_E10value_typeET4_jRbjT5_S1F_jjP12ihipStream_tbEUljE_ZNSN_ISO_Lb1ESR_SS_SU_SV_SZ_EES10_S11_S12_S13_S17_S18_S19_S1C_S1D_jS1E_jS1F_S1F_jjS1H_bEUljE0_EEES10_S11_S12_S19_S1D_S1F_T6_T7_T9_mT8_S1H_bDpT10_ENKUlT_T0_E_clISt17integral_constantIbLb0EES1U_IbLb1EEEEDaS1Q_S1R_EUlS1Q_E_NS1_11comp_targetILNS1_3genE8ELNS1_11target_archE1030ELNS1_3gpuE2ELNS1_3repE0EEENS1_30default_config_static_selectorELNS0_4arch9wavefront6targetE0EEEvS13_.has_indirect_call, 0
	.section	.AMDGPU.csdata,"",@progbits
; Kernel info:
; codeLenInByte = 0
; TotalNumSgprs: 0
; NumVgprs: 0
; ScratchSize: 0
; MemoryBound: 0
; FloatMode: 240
; IeeeMode: 1
; LDSByteSize: 0 bytes/workgroup (compile time only)
; SGPRBlocks: 0
; VGPRBlocks: 0
; NumSGPRsForWavesPerEU: 1
; NumVGPRsForWavesPerEU: 1
; Occupancy: 16
; WaveLimiterHint : 0
; COMPUTE_PGM_RSRC2:SCRATCH_EN: 0
; COMPUTE_PGM_RSRC2:USER_SGPR: 2
; COMPUTE_PGM_RSRC2:TRAP_HANDLER: 0
; COMPUTE_PGM_RSRC2:TGID_X_EN: 1
; COMPUTE_PGM_RSRC2:TGID_Y_EN: 0
; COMPUTE_PGM_RSRC2:TGID_Z_EN: 0
; COMPUTE_PGM_RSRC2:TIDIG_COMP_CNT: 0
	.section	.text._ZN7rocprim17ROCPRIM_400000_NS6detail17trampoline_kernelINS0_13select_configILj256ELj13ELNS0_17block_load_methodE3ELS4_3ELS4_3ELNS0_20block_scan_algorithmE0ELj4294967295EEENS1_25partition_config_selectorILNS1_17partition_subalgoE3EjNS0_10empty_typeEbEEZZNS1_14partition_implILS8_3ELb0ES6_jNS0_17counting_iteratorIjlEEPS9_SE_NS0_5tupleIJPjSE_EEENSF_IJSE_SE_EEES9_SG_JZNS1_25segmented_radix_sort_implINS0_14default_configELb1EPK12hip_bfloat16PSL_PKlPlN2at6native12_GLOBAL__N_18offset_tEEE10hipError_tPvRmT1_PNSt15iterator_traitsISZ_E10value_typeET2_T3_PNS10_IS15_E10value_typeET4_jRbjT5_S1B_jjP12ihipStream_tbEUljE_EEESW_SX_SY_S15_S19_S1B_T6_T7_T9_mT8_S1D_bDpT10_ENKUlT_T0_E_clISt17integral_constantIbLb0EES1Q_EEDaS1L_S1M_EUlS1L_E_NS1_11comp_targetILNS1_3genE0ELNS1_11target_archE4294967295ELNS1_3gpuE0ELNS1_3repE0EEENS1_30default_config_static_selectorELNS0_4arch9wavefront6targetE0EEEvSZ_,"axG",@progbits,_ZN7rocprim17ROCPRIM_400000_NS6detail17trampoline_kernelINS0_13select_configILj256ELj13ELNS0_17block_load_methodE3ELS4_3ELS4_3ELNS0_20block_scan_algorithmE0ELj4294967295EEENS1_25partition_config_selectorILNS1_17partition_subalgoE3EjNS0_10empty_typeEbEEZZNS1_14partition_implILS8_3ELb0ES6_jNS0_17counting_iteratorIjlEEPS9_SE_NS0_5tupleIJPjSE_EEENSF_IJSE_SE_EEES9_SG_JZNS1_25segmented_radix_sort_implINS0_14default_configELb1EPK12hip_bfloat16PSL_PKlPlN2at6native12_GLOBAL__N_18offset_tEEE10hipError_tPvRmT1_PNSt15iterator_traitsISZ_E10value_typeET2_T3_PNS10_IS15_E10value_typeET4_jRbjT5_S1B_jjP12ihipStream_tbEUljE_EEESW_SX_SY_S15_S19_S1B_T6_T7_T9_mT8_S1D_bDpT10_ENKUlT_T0_E_clISt17integral_constantIbLb0EES1Q_EEDaS1L_S1M_EUlS1L_E_NS1_11comp_targetILNS1_3genE0ELNS1_11target_archE4294967295ELNS1_3gpuE0ELNS1_3repE0EEENS1_30default_config_static_selectorELNS0_4arch9wavefront6targetE0EEEvSZ_,comdat
	.globl	_ZN7rocprim17ROCPRIM_400000_NS6detail17trampoline_kernelINS0_13select_configILj256ELj13ELNS0_17block_load_methodE3ELS4_3ELS4_3ELNS0_20block_scan_algorithmE0ELj4294967295EEENS1_25partition_config_selectorILNS1_17partition_subalgoE3EjNS0_10empty_typeEbEEZZNS1_14partition_implILS8_3ELb0ES6_jNS0_17counting_iteratorIjlEEPS9_SE_NS0_5tupleIJPjSE_EEENSF_IJSE_SE_EEES9_SG_JZNS1_25segmented_radix_sort_implINS0_14default_configELb1EPK12hip_bfloat16PSL_PKlPlN2at6native12_GLOBAL__N_18offset_tEEE10hipError_tPvRmT1_PNSt15iterator_traitsISZ_E10value_typeET2_T3_PNS10_IS15_E10value_typeET4_jRbjT5_S1B_jjP12ihipStream_tbEUljE_EEESW_SX_SY_S15_S19_S1B_T6_T7_T9_mT8_S1D_bDpT10_ENKUlT_T0_E_clISt17integral_constantIbLb0EES1Q_EEDaS1L_S1M_EUlS1L_E_NS1_11comp_targetILNS1_3genE0ELNS1_11target_archE4294967295ELNS1_3gpuE0ELNS1_3repE0EEENS1_30default_config_static_selectorELNS0_4arch9wavefront6targetE0EEEvSZ_ ; -- Begin function _ZN7rocprim17ROCPRIM_400000_NS6detail17trampoline_kernelINS0_13select_configILj256ELj13ELNS0_17block_load_methodE3ELS4_3ELS4_3ELNS0_20block_scan_algorithmE0ELj4294967295EEENS1_25partition_config_selectorILNS1_17partition_subalgoE3EjNS0_10empty_typeEbEEZZNS1_14partition_implILS8_3ELb0ES6_jNS0_17counting_iteratorIjlEEPS9_SE_NS0_5tupleIJPjSE_EEENSF_IJSE_SE_EEES9_SG_JZNS1_25segmented_radix_sort_implINS0_14default_configELb1EPK12hip_bfloat16PSL_PKlPlN2at6native12_GLOBAL__N_18offset_tEEE10hipError_tPvRmT1_PNSt15iterator_traitsISZ_E10value_typeET2_T3_PNS10_IS15_E10value_typeET4_jRbjT5_S1B_jjP12ihipStream_tbEUljE_EEESW_SX_SY_S15_S19_S1B_T6_T7_T9_mT8_S1D_bDpT10_ENKUlT_T0_E_clISt17integral_constantIbLb0EES1Q_EEDaS1L_S1M_EUlS1L_E_NS1_11comp_targetILNS1_3genE0ELNS1_11target_archE4294967295ELNS1_3gpuE0ELNS1_3repE0EEENS1_30default_config_static_selectorELNS0_4arch9wavefront6targetE0EEEvSZ_
	.p2align	8
	.type	_ZN7rocprim17ROCPRIM_400000_NS6detail17trampoline_kernelINS0_13select_configILj256ELj13ELNS0_17block_load_methodE3ELS4_3ELS4_3ELNS0_20block_scan_algorithmE0ELj4294967295EEENS1_25partition_config_selectorILNS1_17partition_subalgoE3EjNS0_10empty_typeEbEEZZNS1_14partition_implILS8_3ELb0ES6_jNS0_17counting_iteratorIjlEEPS9_SE_NS0_5tupleIJPjSE_EEENSF_IJSE_SE_EEES9_SG_JZNS1_25segmented_radix_sort_implINS0_14default_configELb1EPK12hip_bfloat16PSL_PKlPlN2at6native12_GLOBAL__N_18offset_tEEE10hipError_tPvRmT1_PNSt15iterator_traitsISZ_E10value_typeET2_T3_PNS10_IS15_E10value_typeET4_jRbjT5_S1B_jjP12ihipStream_tbEUljE_EEESW_SX_SY_S15_S19_S1B_T6_T7_T9_mT8_S1D_bDpT10_ENKUlT_T0_E_clISt17integral_constantIbLb0EES1Q_EEDaS1L_S1M_EUlS1L_E_NS1_11comp_targetILNS1_3genE0ELNS1_11target_archE4294967295ELNS1_3gpuE0ELNS1_3repE0EEENS1_30default_config_static_selectorELNS0_4arch9wavefront6targetE0EEEvSZ_,@function
_ZN7rocprim17ROCPRIM_400000_NS6detail17trampoline_kernelINS0_13select_configILj256ELj13ELNS0_17block_load_methodE3ELS4_3ELS4_3ELNS0_20block_scan_algorithmE0ELj4294967295EEENS1_25partition_config_selectorILNS1_17partition_subalgoE3EjNS0_10empty_typeEbEEZZNS1_14partition_implILS8_3ELb0ES6_jNS0_17counting_iteratorIjlEEPS9_SE_NS0_5tupleIJPjSE_EEENSF_IJSE_SE_EEES9_SG_JZNS1_25segmented_radix_sort_implINS0_14default_configELb1EPK12hip_bfloat16PSL_PKlPlN2at6native12_GLOBAL__N_18offset_tEEE10hipError_tPvRmT1_PNSt15iterator_traitsISZ_E10value_typeET2_T3_PNS10_IS15_E10value_typeET4_jRbjT5_S1B_jjP12ihipStream_tbEUljE_EEESW_SX_SY_S15_S19_S1B_T6_T7_T9_mT8_S1D_bDpT10_ENKUlT_T0_E_clISt17integral_constantIbLb0EES1Q_EEDaS1L_S1M_EUlS1L_E_NS1_11comp_targetILNS1_3genE0ELNS1_11target_archE4294967295ELNS1_3gpuE0ELNS1_3repE0EEENS1_30default_config_static_selectorELNS0_4arch9wavefront6targetE0EEEvSZ_: ; @_ZN7rocprim17ROCPRIM_400000_NS6detail17trampoline_kernelINS0_13select_configILj256ELj13ELNS0_17block_load_methodE3ELS4_3ELS4_3ELNS0_20block_scan_algorithmE0ELj4294967295EEENS1_25partition_config_selectorILNS1_17partition_subalgoE3EjNS0_10empty_typeEbEEZZNS1_14partition_implILS8_3ELb0ES6_jNS0_17counting_iteratorIjlEEPS9_SE_NS0_5tupleIJPjSE_EEENSF_IJSE_SE_EEES9_SG_JZNS1_25segmented_radix_sort_implINS0_14default_configELb1EPK12hip_bfloat16PSL_PKlPlN2at6native12_GLOBAL__N_18offset_tEEE10hipError_tPvRmT1_PNSt15iterator_traitsISZ_E10value_typeET2_T3_PNS10_IS15_E10value_typeET4_jRbjT5_S1B_jjP12ihipStream_tbEUljE_EEESW_SX_SY_S15_S19_S1B_T6_T7_T9_mT8_S1D_bDpT10_ENKUlT_T0_E_clISt17integral_constantIbLb0EES1Q_EEDaS1L_S1M_EUlS1L_E_NS1_11comp_targetILNS1_3genE0ELNS1_11target_archE4294967295ELNS1_3gpuE0ELNS1_3repE0EEENS1_30default_config_static_selectorELNS0_4arch9wavefront6targetE0EEEvSZ_
; %bb.0:
	.section	.rodata,"a",@progbits
	.p2align	6, 0x0
	.amdhsa_kernel _ZN7rocprim17ROCPRIM_400000_NS6detail17trampoline_kernelINS0_13select_configILj256ELj13ELNS0_17block_load_methodE3ELS4_3ELS4_3ELNS0_20block_scan_algorithmE0ELj4294967295EEENS1_25partition_config_selectorILNS1_17partition_subalgoE3EjNS0_10empty_typeEbEEZZNS1_14partition_implILS8_3ELb0ES6_jNS0_17counting_iteratorIjlEEPS9_SE_NS0_5tupleIJPjSE_EEENSF_IJSE_SE_EEES9_SG_JZNS1_25segmented_radix_sort_implINS0_14default_configELb1EPK12hip_bfloat16PSL_PKlPlN2at6native12_GLOBAL__N_18offset_tEEE10hipError_tPvRmT1_PNSt15iterator_traitsISZ_E10value_typeET2_T3_PNS10_IS15_E10value_typeET4_jRbjT5_S1B_jjP12ihipStream_tbEUljE_EEESW_SX_SY_S15_S19_S1B_T6_T7_T9_mT8_S1D_bDpT10_ENKUlT_T0_E_clISt17integral_constantIbLb0EES1Q_EEDaS1L_S1M_EUlS1L_E_NS1_11comp_targetILNS1_3genE0ELNS1_11target_archE4294967295ELNS1_3gpuE0ELNS1_3repE0EEENS1_30default_config_static_selectorELNS0_4arch9wavefront6targetE0EEEvSZ_
		.amdhsa_group_segment_fixed_size 0
		.amdhsa_private_segment_fixed_size 0
		.amdhsa_kernarg_size 144
		.amdhsa_user_sgpr_count 2
		.amdhsa_user_sgpr_dispatch_ptr 0
		.amdhsa_user_sgpr_queue_ptr 0
		.amdhsa_user_sgpr_kernarg_segment_ptr 1
		.amdhsa_user_sgpr_dispatch_id 0
		.amdhsa_user_sgpr_private_segment_size 0
		.amdhsa_wavefront_size32 1
		.amdhsa_uses_dynamic_stack 0
		.amdhsa_enable_private_segment 0
		.amdhsa_system_sgpr_workgroup_id_x 1
		.amdhsa_system_sgpr_workgroup_id_y 0
		.amdhsa_system_sgpr_workgroup_id_z 0
		.amdhsa_system_sgpr_workgroup_info 0
		.amdhsa_system_vgpr_workitem_id 0
		.amdhsa_next_free_vgpr 1
		.amdhsa_next_free_sgpr 1
		.amdhsa_reserve_vcc 0
		.amdhsa_float_round_mode_32 0
		.amdhsa_float_round_mode_16_64 0
		.amdhsa_float_denorm_mode_32 3
		.amdhsa_float_denorm_mode_16_64 3
		.amdhsa_fp16_overflow 0
		.amdhsa_workgroup_processor_mode 1
		.amdhsa_memory_ordered 1
		.amdhsa_forward_progress 1
		.amdhsa_inst_pref_size 0
		.amdhsa_round_robin_scheduling 0
		.amdhsa_exception_fp_ieee_invalid_op 0
		.amdhsa_exception_fp_denorm_src 0
		.amdhsa_exception_fp_ieee_div_zero 0
		.amdhsa_exception_fp_ieee_overflow 0
		.amdhsa_exception_fp_ieee_underflow 0
		.amdhsa_exception_fp_ieee_inexact 0
		.amdhsa_exception_int_div_zero 0
	.end_amdhsa_kernel
	.section	.text._ZN7rocprim17ROCPRIM_400000_NS6detail17trampoline_kernelINS0_13select_configILj256ELj13ELNS0_17block_load_methodE3ELS4_3ELS4_3ELNS0_20block_scan_algorithmE0ELj4294967295EEENS1_25partition_config_selectorILNS1_17partition_subalgoE3EjNS0_10empty_typeEbEEZZNS1_14partition_implILS8_3ELb0ES6_jNS0_17counting_iteratorIjlEEPS9_SE_NS0_5tupleIJPjSE_EEENSF_IJSE_SE_EEES9_SG_JZNS1_25segmented_radix_sort_implINS0_14default_configELb1EPK12hip_bfloat16PSL_PKlPlN2at6native12_GLOBAL__N_18offset_tEEE10hipError_tPvRmT1_PNSt15iterator_traitsISZ_E10value_typeET2_T3_PNS10_IS15_E10value_typeET4_jRbjT5_S1B_jjP12ihipStream_tbEUljE_EEESW_SX_SY_S15_S19_S1B_T6_T7_T9_mT8_S1D_bDpT10_ENKUlT_T0_E_clISt17integral_constantIbLb0EES1Q_EEDaS1L_S1M_EUlS1L_E_NS1_11comp_targetILNS1_3genE0ELNS1_11target_archE4294967295ELNS1_3gpuE0ELNS1_3repE0EEENS1_30default_config_static_selectorELNS0_4arch9wavefront6targetE0EEEvSZ_,"axG",@progbits,_ZN7rocprim17ROCPRIM_400000_NS6detail17trampoline_kernelINS0_13select_configILj256ELj13ELNS0_17block_load_methodE3ELS4_3ELS4_3ELNS0_20block_scan_algorithmE0ELj4294967295EEENS1_25partition_config_selectorILNS1_17partition_subalgoE3EjNS0_10empty_typeEbEEZZNS1_14partition_implILS8_3ELb0ES6_jNS0_17counting_iteratorIjlEEPS9_SE_NS0_5tupleIJPjSE_EEENSF_IJSE_SE_EEES9_SG_JZNS1_25segmented_radix_sort_implINS0_14default_configELb1EPK12hip_bfloat16PSL_PKlPlN2at6native12_GLOBAL__N_18offset_tEEE10hipError_tPvRmT1_PNSt15iterator_traitsISZ_E10value_typeET2_T3_PNS10_IS15_E10value_typeET4_jRbjT5_S1B_jjP12ihipStream_tbEUljE_EEESW_SX_SY_S15_S19_S1B_T6_T7_T9_mT8_S1D_bDpT10_ENKUlT_T0_E_clISt17integral_constantIbLb0EES1Q_EEDaS1L_S1M_EUlS1L_E_NS1_11comp_targetILNS1_3genE0ELNS1_11target_archE4294967295ELNS1_3gpuE0ELNS1_3repE0EEENS1_30default_config_static_selectorELNS0_4arch9wavefront6targetE0EEEvSZ_,comdat
.Lfunc_end1914:
	.size	_ZN7rocprim17ROCPRIM_400000_NS6detail17trampoline_kernelINS0_13select_configILj256ELj13ELNS0_17block_load_methodE3ELS4_3ELS4_3ELNS0_20block_scan_algorithmE0ELj4294967295EEENS1_25partition_config_selectorILNS1_17partition_subalgoE3EjNS0_10empty_typeEbEEZZNS1_14partition_implILS8_3ELb0ES6_jNS0_17counting_iteratorIjlEEPS9_SE_NS0_5tupleIJPjSE_EEENSF_IJSE_SE_EEES9_SG_JZNS1_25segmented_radix_sort_implINS0_14default_configELb1EPK12hip_bfloat16PSL_PKlPlN2at6native12_GLOBAL__N_18offset_tEEE10hipError_tPvRmT1_PNSt15iterator_traitsISZ_E10value_typeET2_T3_PNS10_IS15_E10value_typeET4_jRbjT5_S1B_jjP12ihipStream_tbEUljE_EEESW_SX_SY_S15_S19_S1B_T6_T7_T9_mT8_S1D_bDpT10_ENKUlT_T0_E_clISt17integral_constantIbLb0EES1Q_EEDaS1L_S1M_EUlS1L_E_NS1_11comp_targetILNS1_3genE0ELNS1_11target_archE4294967295ELNS1_3gpuE0ELNS1_3repE0EEENS1_30default_config_static_selectorELNS0_4arch9wavefront6targetE0EEEvSZ_, .Lfunc_end1914-_ZN7rocprim17ROCPRIM_400000_NS6detail17trampoline_kernelINS0_13select_configILj256ELj13ELNS0_17block_load_methodE3ELS4_3ELS4_3ELNS0_20block_scan_algorithmE0ELj4294967295EEENS1_25partition_config_selectorILNS1_17partition_subalgoE3EjNS0_10empty_typeEbEEZZNS1_14partition_implILS8_3ELb0ES6_jNS0_17counting_iteratorIjlEEPS9_SE_NS0_5tupleIJPjSE_EEENSF_IJSE_SE_EEES9_SG_JZNS1_25segmented_radix_sort_implINS0_14default_configELb1EPK12hip_bfloat16PSL_PKlPlN2at6native12_GLOBAL__N_18offset_tEEE10hipError_tPvRmT1_PNSt15iterator_traitsISZ_E10value_typeET2_T3_PNS10_IS15_E10value_typeET4_jRbjT5_S1B_jjP12ihipStream_tbEUljE_EEESW_SX_SY_S15_S19_S1B_T6_T7_T9_mT8_S1D_bDpT10_ENKUlT_T0_E_clISt17integral_constantIbLb0EES1Q_EEDaS1L_S1M_EUlS1L_E_NS1_11comp_targetILNS1_3genE0ELNS1_11target_archE4294967295ELNS1_3gpuE0ELNS1_3repE0EEENS1_30default_config_static_selectorELNS0_4arch9wavefront6targetE0EEEvSZ_
                                        ; -- End function
	.set _ZN7rocprim17ROCPRIM_400000_NS6detail17trampoline_kernelINS0_13select_configILj256ELj13ELNS0_17block_load_methodE3ELS4_3ELS4_3ELNS0_20block_scan_algorithmE0ELj4294967295EEENS1_25partition_config_selectorILNS1_17partition_subalgoE3EjNS0_10empty_typeEbEEZZNS1_14partition_implILS8_3ELb0ES6_jNS0_17counting_iteratorIjlEEPS9_SE_NS0_5tupleIJPjSE_EEENSF_IJSE_SE_EEES9_SG_JZNS1_25segmented_radix_sort_implINS0_14default_configELb1EPK12hip_bfloat16PSL_PKlPlN2at6native12_GLOBAL__N_18offset_tEEE10hipError_tPvRmT1_PNSt15iterator_traitsISZ_E10value_typeET2_T3_PNS10_IS15_E10value_typeET4_jRbjT5_S1B_jjP12ihipStream_tbEUljE_EEESW_SX_SY_S15_S19_S1B_T6_T7_T9_mT8_S1D_bDpT10_ENKUlT_T0_E_clISt17integral_constantIbLb0EES1Q_EEDaS1L_S1M_EUlS1L_E_NS1_11comp_targetILNS1_3genE0ELNS1_11target_archE4294967295ELNS1_3gpuE0ELNS1_3repE0EEENS1_30default_config_static_selectorELNS0_4arch9wavefront6targetE0EEEvSZ_.num_vgpr, 0
	.set _ZN7rocprim17ROCPRIM_400000_NS6detail17trampoline_kernelINS0_13select_configILj256ELj13ELNS0_17block_load_methodE3ELS4_3ELS4_3ELNS0_20block_scan_algorithmE0ELj4294967295EEENS1_25partition_config_selectorILNS1_17partition_subalgoE3EjNS0_10empty_typeEbEEZZNS1_14partition_implILS8_3ELb0ES6_jNS0_17counting_iteratorIjlEEPS9_SE_NS0_5tupleIJPjSE_EEENSF_IJSE_SE_EEES9_SG_JZNS1_25segmented_radix_sort_implINS0_14default_configELb1EPK12hip_bfloat16PSL_PKlPlN2at6native12_GLOBAL__N_18offset_tEEE10hipError_tPvRmT1_PNSt15iterator_traitsISZ_E10value_typeET2_T3_PNS10_IS15_E10value_typeET4_jRbjT5_S1B_jjP12ihipStream_tbEUljE_EEESW_SX_SY_S15_S19_S1B_T6_T7_T9_mT8_S1D_bDpT10_ENKUlT_T0_E_clISt17integral_constantIbLb0EES1Q_EEDaS1L_S1M_EUlS1L_E_NS1_11comp_targetILNS1_3genE0ELNS1_11target_archE4294967295ELNS1_3gpuE0ELNS1_3repE0EEENS1_30default_config_static_selectorELNS0_4arch9wavefront6targetE0EEEvSZ_.num_agpr, 0
	.set _ZN7rocprim17ROCPRIM_400000_NS6detail17trampoline_kernelINS0_13select_configILj256ELj13ELNS0_17block_load_methodE3ELS4_3ELS4_3ELNS0_20block_scan_algorithmE0ELj4294967295EEENS1_25partition_config_selectorILNS1_17partition_subalgoE3EjNS0_10empty_typeEbEEZZNS1_14partition_implILS8_3ELb0ES6_jNS0_17counting_iteratorIjlEEPS9_SE_NS0_5tupleIJPjSE_EEENSF_IJSE_SE_EEES9_SG_JZNS1_25segmented_radix_sort_implINS0_14default_configELb1EPK12hip_bfloat16PSL_PKlPlN2at6native12_GLOBAL__N_18offset_tEEE10hipError_tPvRmT1_PNSt15iterator_traitsISZ_E10value_typeET2_T3_PNS10_IS15_E10value_typeET4_jRbjT5_S1B_jjP12ihipStream_tbEUljE_EEESW_SX_SY_S15_S19_S1B_T6_T7_T9_mT8_S1D_bDpT10_ENKUlT_T0_E_clISt17integral_constantIbLb0EES1Q_EEDaS1L_S1M_EUlS1L_E_NS1_11comp_targetILNS1_3genE0ELNS1_11target_archE4294967295ELNS1_3gpuE0ELNS1_3repE0EEENS1_30default_config_static_selectorELNS0_4arch9wavefront6targetE0EEEvSZ_.numbered_sgpr, 0
	.set _ZN7rocprim17ROCPRIM_400000_NS6detail17trampoline_kernelINS0_13select_configILj256ELj13ELNS0_17block_load_methodE3ELS4_3ELS4_3ELNS0_20block_scan_algorithmE0ELj4294967295EEENS1_25partition_config_selectorILNS1_17partition_subalgoE3EjNS0_10empty_typeEbEEZZNS1_14partition_implILS8_3ELb0ES6_jNS0_17counting_iteratorIjlEEPS9_SE_NS0_5tupleIJPjSE_EEENSF_IJSE_SE_EEES9_SG_JZNS1_25segmented_radix_sort_implINS0_14default_configELb1EPK12hip_bfloat16PSL_PKlPlN2at6native12_GLOBAL__N_18offset_tEEE10hipError_tPvRmT1_PNSt15iterator_traitsISZ_E10value_typeET2_T3_PNS10_IS15_E10value_typeET4_jRbjT5_S1B_jjP12ihipStream_tbEUljE_EEESW_SX_SY_S15_S19_S1B_T6_T7_T9_mT8_S1D_bDpT10_ENKUlT_T0_E_clISt17integral_constantIbLb0EES1Q_EEDaS1L_S1M_EUlS1L_E_NS1_11comp_targetILNS1_3genE0ELNS1_11target_archE4294967295ELNS1_3gpuE0ELNS1_3repE0EEENS1_30default_config_static_selectorELNS0_4arch9wavefront6targetE0EEEvSZ_.num_named_barrier, 0
	.set _ZN7rocprim17ROCPRIM_400000_NS6detail17trampoline_kernelINS0_13select_configILj256ELj13ELNS0_17block_load_methodE3ELS4_3ELS4_3ELNS0_20block_scan_algorithmE0ELj4294967295EEENS1_25partition_config_selectorILNS1_17partition_subalgoE3EjNS0_10empty_typeEbEEZZNS1_14partition_implILS8_3ELb0ES6_jNS0_17counting_iteratorIjlEEPS9_SE_NS0_5tupleIJPjSE_EEENSF_IJSE_SE_EEES9_SG_JZNS1_25segmented_radix_sort_implINS0_14default_configELb1EPK12hip_bfloat16PSL_PKlPlN2at6native12_GLOBAL__N_18offset_tEEE10hipError_tPvRmT1_PNSt15iterator_traitsISZ_E10value_typeET2_T3_PNS10_IS15_E10value_typeET4_jRbjT5_S1B_jjP12ihipStream_tbEUljE_EEESW_SX_SY_S15_S19_S1B_T6_T7_T9_mT8_S1D_bDpT10_ENKUlT_T0_E_clISt17integral_constantIbLb0EES1Q_EEDaS1L_S1M_EUlS1L_E_NS1_11comp_targetILNS1_3genE0ELNS1_11target_archE4294967295ELNS1_3gpuE0ELNS1_3repE0EEENS1_30default_config_static_selectorELNS0_4arch9wavefront6targetE0EEEvSZ_.private_seg_size, 0
	.set _ZN7rocprim17ROCPRIM_400000_NS6detail17trampoline_kernelINS0_13select_configILj256ELj13ELNS0_17block_load_methodE3ELS4_3ELS4_3ELNS0_20block_scan_algorithmE0ELj4294967295EEENS1_25partition_config_selectorILNS1_17partition_subalgoE3EjNS0_10empty_typeEbEEZZNS1_14partition_implILS8_3ELb0ES6_jNS0_17counting_iteratorIjlEEPS9_SE_NS0_5tupleIJPjSE_EEENSF_IJSE_SE_EEES9_SG_JZNS1_25segmented_radix_sort_implINS0_14default_configELb1EPK12hip_bfloat16PSL_PKlPlN2at6native12_GLOBAL__N_18offset_tEEE10hipError_tPvRmT1_PNSt15iterator_traitsISZ_E10value_typeET2_T3_PNS10_IS15_E10value_typeET4_jRbjT5_S1B_jjP12ihipStream_tbEUljE_EEESW_SX_SY_S15_S19_S1B_T6_T7_T9_mT8_S1D_bDpT10_ENKUlT_T0_E_clISt17integral_constantIbLb0EES1Q_EEDaS1L_S1M_EUlS1L_E_NS1_11comp_targetILNS1_3genE0ELNS1_11target_archE4294967295ELNS1_3gpuE0ELNS1_3repE0EEENS1_30default_config_static_selectorELNS0_4arch9wavefront6targetE0EEEvSZ_.uses_vcc, 0
	.set _ZN7rocprim17ROCPRIM_400000_NS6detail17trampoline_kernelINS0_13select_configILj256ELj13ELNS0_17block_load_methodE3ELS4_3ELS4_3ELNS0_20block_scan_algorithmE0ELj4294967295EEENS1_25partition_config_selectorILNS1_17partition_subalgoE3EjNS0_10empty_typeEbEEZZNS1_14partition_implILS8_3ELb0ES6_jNS0_17counting_iteratorIjlEEPS9_SE_NS0_5tupleIJPjSE_EEENSF_IJSE_SE_EEES9_SG_JZNS1_25segmented_radix_sort_implINS0_14default_configELb1EPK12hip_bfloat16PSL_PKlPlN2at6native12_GLOBAL__N_18offset_tEEE10hipError_tPvRmT1_PNSt15iterator_traitsISZ_E10value_typeET2_T3_PNS10_IS15_E10value_typeET4_jRbjT5_S1B_jjP12ihipStream_tbEUljE_EEESW_SX_SY_S15_S19_S1B_T6_T7_T9_mT8_S1D_bDpT10_ENKUlT_T0_E_clISt17integral_constantIbLb0EES1Q_EEDaS1L_S1M_EUlS1L_E_NS1_11comp_targetILNS1_3genE0ELNS1_11target_archE4294967295ELNS1_3gpuE0ELNS1_3repE0EEENS1_30default_config_static_selectorELNS0_4arch9wavefront6targetE0EEEvSZ_.uses_flat_scratch, 0
	.set _ZN7rocprim17ROCPRIM_400000_NS6detail17trampoline_kernelINS0_13select_configILj256ELj13ELNS0_17block_load_methodE3ELS4_3ELS4_3ELNS0_20block_scan_algorithmE0ELj4294967295EEENS1_25partition_config_selectorILNS1_17partition_subalgoE3EjNS0_10empty_typeEbEEZZNS1_14partition_implILS8_3ELb0ES6_jNS0_17counting_iteratorIjlEEPS9_SE_NS0_5tupleIJPjSE_EEENSF_IJSE_SE_EEES9_SG_JZNS1_25segmented_radix_sort_implINS0_14default_configELb1EPK12hip_bfloat16PSL_PKlPlN2at6native12_GLOBAL__N_18offset_tEEE10hipError_tPvRmT1_PNSt15iterator_traitsISZ_E10value_typeET2_T3_PNS10_IS15_E10value_typeET4_jRbjT5_S1B_jjP12ihipStream_tbEUljE_EEESW_SX_SY_S15_S19_S1B_T6_T7_T9_mT8_S1D_bDpT10_ENKUlT_T0_E_clISt17integral_constantIbLb0EES1Q_EEDaS1L_S1M_EUlS1L_E_NS1_11comp_targetILNS1_3genE0ELNS1_11target_archE4294967295ELNS1_3gpuE0ELNS1_3repE0EEENS1_30default_config_static_selectorELNS0_4arch9wavefront6targetE0EEEvSZ_.has_dyn_sized_stack, 0
	.set _ZN7rocprim17ROCPRIM_400000_NS6detail17trampoline_kernelINS0_13select_configILj256ELj13ELNS0_17block_load_methodE3ELS4_3ELS4_3ELNS0_20block_scan_algorithmE0ELj4294967295EEENS1_25partition_config_selectorILNS1_17partition_subalgoE3EjNS0_10empty_typeEbEEZZNS1_14partition_implILS8_3ELb0ES6_jNS0_17counting_iteratorIjlEEPS9_SE_NS0_5tupleIJPjSE_EEENSF_IJSE_SE_EEES9_SG_JZNS1_25segmented_radix_sort_implINS0_14default_configELb1EPK12hip_bfloat16PSL_PKlPlN2at6native12_GLOBAL__N_18offset_tEEE10hipError_tPvRmT1_PNSt15iterator_traitsISZ_E10value_typeET2_T3_PNS10_IS15_E10value_typeET4_jRbjT5_S1B_jjP12ihipStream_tbEUljE_EEESW_SX_SY_S15_S19_S1B_T6_T7_T9_mT8_S1D_bDpT10_ENKUlT_T0_E_clISt17integral_constantIbLb0EES1Q_EEDaS1L_S1M_EUlS1L_E_NS1_11comp_targetILNS1_3genE0ELNS1_11target_archE4294967295ELNS1_3gpuE0ELNS1_3repE0EEENS1_30default_config_static_selectorELNS0_4arch9wavefront6targetE0EEEvSZ_.has_recursion, 0
	.set _ZN7rocprim17ROCPRIM_400000_NS6detail17trampoline_kernelINS0_13select_configILj256ELj13ELNS0_17block_load_methodE3ELS4_3ELS4_3ELNS0_20block_scan_algorithmE0ELj4294967295EEENS1_25partition_config_selectorILNS1_17partition_subalgoE3EjNS0_10empty_typeEbEEZZNS1_14partition_implILS8_3ELb0ES6_jNS0_17counting_iteratorIjlEEPS9_SE_NS0_5tupleIJPjSE_EEENSF_IJSE_SE_EEES9_SG_JZNS1_25segmented_radix_sort_implINS0_14default_configELb1EPK12hip_bfloat16PSL_PKlPlN2at6native12_GLOBAL__N_18offset_tEEE10hipError_tPvRmT1_PNSt15iterator_traitsISZ_E10value_typeET2_T3_PNS10_IS15_E10value_typeET4_jRbjT5_S1B_jjP12ihipStream_tbEUljE_EEESW_SX_SY_S15_S19_S1B_T6_T7_T9_mT8_S1D_bDpT10_ENKUlT_T0_E_clISt17integral_constantIbLb0EES1Q_EEDaS1L_S1M_EUlS1L_E_NS1_11comp_targetILNS1_3genE0ELNS1_11target_archE4294967295ELNS1_3gpuE0ELNS1_3repE0EEENS1_30default_config_static_selectorELNS0_4arch9wavefront6targetE0EEEvSZ_.has_indirect_call, 0
	.section	.AMDGPU.csdata,"",@progbits
; Kernel info:
; codeLenInByte = 0
; TotalNumSgprs: 0
; NumVgprs: 0
; ScratchSize: 0
; MemoryBound: 0
; FloatMode: 240
; IeeeMode: 1
; LDSByteSize: 0 bytes/workgroup (compile time only)
; SGPRBlocks: 0
; VGPRBlocks: 0
; NumSGPRsForWavesPerEU: 1
; NumVGPRsForWavesPerEU: 1
; Occupancy: 16
; WaveLimiterHint : 0
; COMPUTE_PGM_RSRC2:SCRATCH_EN: 0
; COMPUTE_PGM_RSRC2:USER_SGPR: 2
; COMPUTE_PGM_RSRC2:TRAP_HANDLER: 0
; COMPUTE_PGM_RSRC2:TGID_X_EN: 1
; COMPUTE_PGM_RSRC2:TGID_Y_EN: 0
; COMPUTE_PGM_RSRC2:TGID_Z_EN: 0
; COMPUTE_PGM_RSRC2:TIDIG_COMP_CNT: 0
	.section	.text._ZN7rocprim17ROCPRIM_400000_NS6detail17trampoline_kernelINS0_13select_configILj256ELj13ELNS0_17block_load_methodE3ELS4_3ELS4_3ELNS0_20block_scan_algorithmE0ELj4294967295EEENS1_25partition_config_selectorILNS1_17partition_subalgoE3EjNS0_10empty_typeEbEEZZNS1_14partition_implILS8_3ELb0ES6_jNS0_17counting_iteratorIjlEEPS9_SE_NS0_5tupleIJPjSE_EEENSF_IJSE_SE_EEES9_SG_JZNS1_25segmented_radix_sort_implINS0_14default_configELb1EPK12hip_bfloat16PSL_PKlPlN2at6native12_GLOBAL__N_18offset_tEEE10hipError_tPvRmT1_PNSt15iterator_traitsISZ_E10value_typeET2_T3_PNS10_IS15_E10value_typeET4_jRbjT5_S1B_jjP12ihipStream_tbEUljE_EEESW_SX_SY_S15_S19_S1B_T6_T7_T9_mT8_S1D_bDpT10_ENKUlT_T0_E_clISt17integral_constantIbLb0EES1Q_EEDaS1L_S1M_EUlS1L_E_NS1_11comp_targetILNS1_3genE5ELNS1_11target_archE942ELNS1_3gpuE9ELNS1_3repE0EEENS1_30default_config_static_selectorELNS0_4arch9wavefront6targetE0EEEvSZ_,"axG",@progbits,_ZN7rocprim17ROCPRIM_400000_NS6detail17trampoline_kernelINS0_13select_configILj256ELj13ELNS0_17block_load_methodE3ELS4_3ELS4_3ELNS0_20block_scan_algorithmE0ELj4294967295EEENS1_25partition_config_selectorILNS1_17partition_subalgoE3EjNS0_10empty_typeEbEEZZNS1_14partition_implILS8_3ELb0ES6_jNS0_17counting_iteratorIjlEEPS9_SE_NS0_5tupleIJPjSE_EEENSF_IJSE_SE_EEES9_SG_JZNS1_25segmented_radix_sort_implINS0_14default_configELb1EPK12hip_bfloat16PSL_PKlPlN2at6native12_GLOBAL__N_18offset_tEEE10hipError_tPvRmT1_PNSt15iterator_traitsISZ_E10value_typeET2_T3_PNS10_IS15_E10value_typeET4_jRbjT5_S1B_jjP12ihipStream_tbEUljE_EEESW_SX_SY_S15_S19_S1B_T6_T7_T9_mT8_S1D_bDpT10_ENKUlT_T0_E_clISt17integral_constantIbLb0EES1Q_EEDaS1L_S1M_EUlS1L_E_NS1_11comp_targetILNS1_3genE5ELNS1_11target_archE942ELNS1_3gpuE9ELNS1_3repE0EEENS1_30default_config_static_selectorELNS0_4arch9wavefront6targetE0EEEvSZ_,comdat
	.globl	_ZN7rocprim17ROCPRIM_400000_NS6detail17trampoline_kernelINS0_13select_configILj256ELj13ELNS0_17block_load_methodE3ELS4_3ELS4_3ELNS0_20block_scan_algorithmE0ELj4294967295EEENS1_25partition_config_selectorILNS1_17partition_subalgoE3EjNS0_10empty_typeEbEEZZNS1_14partition_implILS8_3ELb0ES6_jNS0_17counting_iteratorIjlEEPS9_SE_NS0_5tupleIJPjSE_EEENSF_IJSE_SE_EEES9_SG_JZNS1_25segmented_radix_sort_implINS0_14default_configELb1EPK12hip_bfloat16PSL_PKlPlN2at6native12_GLOBAL__N_18offset_tEEE10hipError_tPvRmT1_PNSt15iterator_traitsISZ_E10value_typeET2_T3_PNS10_IS15_E10value_typeET4_jRbjT5_S1B_jjP12ihipStream_tbEUljE_EEESW_SX_SY_S15_S19_S1B_T6_T7_T9_mT8_S1D_bDpT10_ENKUlT_T0_E_clISt17integral_constantIbLb0EES1Q_EEDaS1L_S1M_EUlS1L_E_NS1_11comp_targetILNS1_3genE5ELNS1_11target_archE942ELNS1_3gpuE9ELNS1_3repE0EEENS1_30default_config_static_selectorELNS0_4arch9wavefront6targetE0EEEvSZ_ ; -- Begin function _ZN7rocprim17ROCPRIM_400000_NS6detail17trampoline_kernelINS0_13select_configILj256ELj13ELNS0_17block_load_methodE3ELS4_3ELS4_3ELNS0_20block_scan_algorithmE0ELj4294967295EEENS1_25partition_config_selectorILNS1_17partition_subalgoE3EjNS0_10empty_typeEbEEZZNS1_14partition_implILS8_3ELb0ES6_jNS0_17counting_iteratorIjlEEPS9_SE_NS0_5tupleIJPjSE_EEENSF_IJSE_SE_EEES9_SG_JZNS1_25segmented_radix_sort_implINS0_14default_configELb1EPK12hip_bfloat16PSL_PKlPlN2at6native12_GLOBAL__N_18offset_tEEE10hipError_tPvRmT1_PNSt15iterator_traitsISZ_E10value_typeET2_T3_PNS10_IS15_E10value_typeET4_jRbjT5_S1B_jjP12ihipStream_tbEUljE_EEESW_SX_SY_S15_S19_S1B_T6_T7_T9_mT8_S1D_bDpT10_ENKUlT_T0_E_clISt17integral_constantIbLb0EES1Q_EEDaS1L_S1M_EUlS1L_E_NS1_11comp_targetILNS1_3genE5ELNS1_11target_archE942ELNS1_3gpuE9ELNS1_3repE0EEENS1_30default_config_static_selectorELNS0_4arch9wavefront6targetE0EEEvSZ_
	.p2align	8
	.type	_ZN7rocprim17ROCPRIM_400000_NS6detail17trampoline_kernelINS0_13select_configILj256ELj13ELNS0_17block_load_methodE3ELS4_3ELS4_3ELNS0_20block_scan_algorithmE0ELj4294967295EEENS1_25partition_config_selectorILNS1_17partition_subalgoE3EjNS0_10empty_typeEbEEZZNS1_14partition_implILS8_3ELb0ES6_jNS0_17counting_iteratorIjlEEPS9_SE_NS0_5tupleIJPjSE_EEENSF_IJSE_SE_EEES9_SG_JZNS1_25segmented_radix_sort_implINS0_14default_configELb1EPK12hip_bfloat16PSL_PKlPlN2at6native12_GLOBAL__N_18offset_tEEE10hipError_tPvRmT1_PNSt15iterator_traitsISZ_E10value_typeET2_T3_PNS10_IS15_E10value_typeET4_jRbjT5_S1B_jjP12ihipStream_tbEUljE_EEESW_SX_SY_S15_S19_S1B_T6_T7_T9_mT8_S1D_bDpT10_ENKUlT_T0_E_clISt17integral_constantIbLb0EES1Q_EEDaS1L_S1M_EUlS1L_E_NS1_11comp_targetILNS1_3genE5ELNS1_11target_archE942ELNS1_3gpuE9ELNS1_3repE0EEENS1_30default_config_static_selectorELNS0_4arch9wavefront6targetE0EEEvSZ_,@function
_ZN7rocprim17ROCPRIM_400000_NS6detail17trampoline_kernelINS0_13select_configILj256ELj13ELNS0_17block_load_methodE3ELS4_3ELS4_3ELNS0_20block_scan_algorithmE0ELj4294967295EEENS1_25partition_config_selectorILNS1_17partition_subalgoE3EjNS0_10empty_typeEbEEZZNS1_14partition_implILS8_3ELb0ES6_jNS0_17counting_iteratorIjlEEPS9_SE_NS0_5tupleIJPjSE_EEENSF_IJSE_SE_EEES9_SG_JZNS1_25segmented_radix_sort_implINS0_14default_configELb1EPK12hip_bfloat16PSL_PKlPlN2at6native12_GLOBAL__N_18offset_tEEE10hipError_tPvRmT1_PNSt15iterator_traitsISZ_E10value_typeET2_T3_PNS10_IS15_E10value_typeET4_jRbjT5_S1B_jjP12ihipStream_tbEUljE_EEESW_SX_SY_S15_S19_S1B_T6_T7_T9_mT8_S1D_bDpT10_ENKUlT_T0_E_clISt17integral_constantIbLb0EES1Q_EEDaS1L_S1M_EUlS1L_E_NS1_11comp_targetILNS1_3genE5ELNS1_11target_archE942ELNS1_3gpuE9ELNS1_3repE0EEENS1_30default_config_static_selectorELNS0_4arch9wavefront6targetE0EEEvSZ_: ; @_ZN7rocprim17ROCPRIM_400000_NS6detail17trampoline_kernelINS0_13select_configILj256ELj13ELNS0_17block_load_methodE3ELS4_3ELS4_3ELNS0_20block_scan_algorithmE0ELj4294967295EEENS1_25partition_config_selectorILNS1_17partition_subalgoE3EjNS0_10empty_typeEbEEZZNS1_14partition_implILS8_3ELb0ES6_jNS0_17counting_iteratorIjlEEPS9_SE_NS0_5tupleIJPjSE_EEENSF_IJSE_SE_EEES9_SG_JZNS1_25segmented_radix_sort_implINS0_14default_configELb1EPK12hip_bfloat16PSL_PKlPlN2at6native12_GLOBAL__N_18offset_tEEE10hipError_tPvRmT1_PNSt15iterator_traitsISZ_E10value_typeET2_T3_PNS10_IS15_E10value_typeET4_jRbjT5_S1B_jjP12ihipStream_tbEUljE_EEESW_SX_SY_S15_S19_S1B_T6_T7_T9_mT8_S1D_bDpT10_ENKUlT_T0_E_clISt17integral_constantIbLb0EES1Q_EEDaS1L_S1M_EUlS1L_E_NS1_11comp_targetILNS1_3genE5ELNS1_11target_archE942ELNS1_3gpuE9ELNS1_3repE0EEENS1_30default_config_static_selectorELNS0_4arch9wavefront6targetE0EEEvSZ_
; %bb.0:
	.section	.rodata,"a",@progbits
	.p2align	6, 0x0
	.amdhsa_kernel _ZN7rocprim17ROCPRIM_400000_NS6detail17trampoline_kernelINS0_13select_configILj256ELj13ELNS0_17block_load_methodE3ELS4_3ELS4_3ELNS0_20block_scan_algorithmE0ELj4294967295EEENS1_25partition_config_selectorILNS1_17partition_subalgoE3EjNS0_10empty_typeEbEEZZNS1_14partition_implILS8_3ELb0ES6_jNS0_17counting_iteratorIjlEEPS9_SE_NS0_5tupleIJPjSE_EEENSF_IJSE_SE_EEES9_SG_JZNS1_25segmented_radix_sort_implINS0_14default_configELb1EPK12hip_bfloat16PSL_PKlPlN2at6native12_GLOBAL__N_18offset_tEEE10hipError_tPvRmT1_PNSt15iterator_traitsISZ_E10value_typeET2_T3_PNS10_IS15_E10value_typeET4_jRbjT5_S1B_jjP12ihipStream_tbEUljE_EEESW_SX_SY_S15_S19_S1B_T6_T7_T9_mT8_S1D_bDpT10_ENKUlT_T0_E_clISt17integral_constantIbLb0EES1Q_EEDaS1L_S1M_EUlS1L_E_NS1_11comp_targetILNS1_3genE5ELNS1_11target_archE942ELNS1_3gpuE9ELNS1_3repE0EEENS1_30default_config_static_selectorELNS0_4arch9wavefront6targetE0EEEvSZ_
		.amdhsa_group_segment_fixed_size 0
		.amdhsa_private_segment_fixed_size 0
		.amdhsa_kernarg_size 144
		.amdhsa_user_sgpr_count 2
		.amdhsa_user_sgpr_dispatch_ptr 0
		.amdhsa_user_sgpr_queue_ptr 0
		.amdhsa_user_sgpr_kernarg_segment_ptr 1
		.amdhsa_user_sgpr_dispatch_id 0
		.amdhsa_user_sgpr_private_segment_size 0
		.amdhsa_wavefront_size32 1
		.amdhsa_uses_dynamic_stack 0
		.amdhsa_enable_private_segment 0
		.amdhsa_system_sgpr_workgroup_id_x 1
		.amdhsa_system_sgpr_workgroup_id_y 0
		.amdhsa_system_sgpr_workgroup_id_z 0
		.amdhsa_system_sgpr_workgroup_info 0
		.amdhsa_system_vgpr_workitem_id 0
		.amdhsa_next_free_vgpr 1
		.amdhsa_next_free_sgpr 1
		.amdhsa_reserve_vcc 0
		.amdhsa_float_round_mode_32 0
		.amdhsa_float_round_mode_16_64 0
		.amdhsa_float_denorm_mode_32 3
		.amdhsa_float_denorm_mode_16_64 3
		.amdhsa_fp16_overflow 0
		.amdhsa_workgroup_processor_mode 1
		.amdhsa_memory_ordered 1
		.amdhsa_forward_progress 1
		.amdhsa_inst_pref_size 0
		.amdhsa_round_robin_scheduling 0
		.amdhsa_exception_fp_ieee_invalid_op 0
		.amdhsa_exception_fp_denorm_src 0
		.amdhsa_exception_fp_ieee_div_zero 0
		.amdhsa_exception_fp_ieee_overflow 0
		.amdhsa_exception_fp_ieee_underflow 0
		.amdhsa_exception_fp_ieee_inexact 0
		.amdhsa_exception_int_div_zero 0
	.end_amdhsa_kernel
	.section	.text._ZN7rocprim17ROCPRIM_400000_NS6detail17trampoline_kernelINS0_13select_configILj256ELj13ELNS0_17block_load_methodE3ELS4_3ELS4_3ELNS0_20block_scan_algorithmE0ELj4294967295EEENS1_25partition_config_selectorILNS1_17partition_subalgoE3EjNS0_10empty_typeEbEEZZNS1_14partition_implILS8_3ELb0ES6_jNS0_17counting_iteratorIjlEEPS9_SE_NS0_5tupleIJPjSE_EEENSF_IJSE_SE_EEES9_SG_JZNS1_25segmented_radix_sort_implINS0_14default_configELb1EPK12hip_bfloat16PSL_PKlPlN2at6native12_GLOBAL__N_18offset_tEEE10hipError_tPvRmT1_PNSt15iterator_traitsISZ_E10value_typeET2_T3_PNS10_IS15_E10value_typeET4_jRbjT5_S1B_jjP12ihipStream_tbEUljE_EEESW_SX_SY_S15_S19_S1B_T6_T7_T9_mT8_S1D_bDpT10_ENKUlT_T0_E_clISt17integral_constantIbLb0EES1Q_EEDaS1L_S1M_EUlS1L_E_NS1_11comp_targetILNS1_3genE5ELNS1_11target_archE942ELNS1_3gpuE9ELNS1_3repE0EEENS1_30default_config_static_selectorELNS0_4arch9wavefront6targetE0EEEvSZ_,"axG",@progbits,_ZN7rocprim17ROCPRIM_400000_NS6detail17trampoline_kernelINS0_13select_configILj256ELj13ELNS0_17block_load_methodE3ELS4_3ELS4_3ELNS0_20block_scan_algorithmE0ELj4294967295EEENS1_25partition_config_selectorILNS1_17partition_subalgoE3EjNS0_10empty_typeEbEEZZNS1_14partition_implILS8_3ELb0ES6_jNS0_17counting_iteratorIjlEEPS9_SE_NS0_5tupleIJPjSE_EEENSF_IJSE_SE_EEES9_SG_JZNS1_25segmented_radix_sort_implINS0_14default_configELb1EPK12hip_bfloat16PSL_PKlPlN2at6native12_GLOBAL__N_18offset_tEEE10hipError_tPvRmT1_PNSt15iterator_traitsISZ_E10value_typeET2_T3_PNS10_IS15_E10value_typeET4_jRbjT5_S1B_jjP12ihipStream_tbEUljE_EEESW_SX_SY_S15_S19_S1B_T6_T7_T9_mT8_S1D_bDpT10_ENKUlT_T0_E_clISt17integral_constantIbLb0EES1Q_EEDaS1L_S1M_EUlS1L_E_NS1_11comp_targetILNS1_3genE5ELNS1_11target_archE942ELNS1_3gpuE9ELNS1_3repE0EEENS1_30default_config_static_selectorELNS0_4arch9wavefront6targetE0EEEvSZ_,comdat
.Lfunc_end1915:
	.size	_ZN7rocprim17ROCPRIM_400000_NS6detail17trampoline_kernelINS0_13select_configILj256ELj13ELNS0_17block_load_methodE3ELS4_3ELS4_3ELNS0_20block_scan_algorithmE0ELj4294967295EEENS1_25partition_config_selectorILNS1_17partition_subalgoE3EjNS0_10empty_typeEbEEZZNS1_14partition_implILS8_3ELb0ES6_jNS0_17counting_iteratorIjlEEPS9_SE_NS0_5tupleIJPjSE_EEENSF_IJSE_SE_EEES9_SG_JZNS1_25segmented_radix_sort_implINS0_14default_configELb1EPK12hip_bfloat16PSL_PKlPlN2at6native12_GLOBAL__N_18offset_tEEE10hipError_tPvRmT1_PNSt15iterator_traitsISZ_E10value_typeET2_T3_PNS10_IS15_E10value_typeET4_jRbjT5_S1B_jjP12ihipStream_tbEUljE_EEESW_SX_SY_S15_S19_S1B_T6_T7_T9_mT8_S1D_bDpT10_ENKUlT_T0_E_clISt17integral_constantIbLb0EES1Q_EEDaS1L_S1M_EUlS1L_E_NS1_11comp_targetILNS1_3genE5ELNS1_11target_archE942ELNS1_3gpuE9ELNS1_3repE0EEENS1_30default_config_static_selectorELNS0_4arch9wavefront6targetE0EEEvSZ_, .Lfunc_end1915-_ZN7rocprim17ROCPRIM_400000_NS6detail17trampoline_kernelINS0_13select_configILj256ELj13ELNS0_17block_load_methodE3ELS4_3ELS4_3ELNS0_20block_scan_algorithmE0ELj4294967295EEENS1_25partition_config_selectorILNS1_17partition_subalgoE3EjNS0_10empty_typeEbEEZZNS1_14partition_implILS8_3ELb0ES6_jNS0_17counting_iteratorIjlEEPS9_SE_NS0_5tupleIJPjSE_EEENSF_IJSE_SE_EEES9_SG_JZNS1_25segmented_radix_sort_implINS0_14default_configELb1EPK12hip_bfloat16PSL_PKlPlN2at6native12_GLOBAL__N_18offset_tEEE10hipError_tPvRmT1_PNSt15iterator_traitsISZ_E10value_typeET2_T3_PNS10_IS15_E10value_typeET4_jRbjT5_S1B_jjP12ihipStream_tbEUljE_EEESW_SX_SY_S15_S19_S1B_T6_T7_T9_mT8_S1D_bDpT10_ENKUlT_T0_E_clISt17integral_constantIbLb0EES1Q_EEDaS1L_S1M_EUlS1L_E_NS1_11comp_targetILNS1_3genE5ELNS1_11target_archE942ELNS1_3gpuE9ELNS1_3repE0EEENS1_30default_config_static_selectorELNS0_4arch9wavefront6targetE0EEEvSZ_
                                        ; -- End function
	.set _ZN7rocprim17ROCPRIM_400000_NS6detail17trampoline_kernelINS0_13select_configILj256ELj13ELNS0_17block_load_methodE3ELS4_3ELS4_3ELNS0_20block_scan_algorithmE0ELj4294967295EEENS1_25partition_config_selectorILNS1_17partition_subalgoE3EjNS0_10empty_typeEbEEZZNS1_14partition_implILS8_3ELb0ES6_jNS0_17counting_iteratorIjlEEPS9_SE_NS0_5tupleIJPjSE_EEENSF_IJSE_SE_EEES9_SG_JZNS1_25segmented_radix_sort_implINS0_14default_configELb1EPK12hip_bfloat16PSL_PKlPlN2at6native12_GLOBAL__N_18offset_tEEE10hipError_tPvRmT1_PNSt15iterator_traitsISZ_E10value_typeET2_T3_PNS10_IS15_E10value_typeET4_jRbjT5_S1B_jjP12ihipStream_tbEUljE_EEESW_SX_SY_S15_S19_S1B_T6_T7_T9_mT8_S1D_bDpT10_ENKUlT_T0_E_clISt17integral_constantIbLb0EES1Q_EEDaS1L_S1M_EUlS1L_E_NS1_11comp_targetILNS1_3genE5ELNS1_11target_archE942ELNS1_3gpuE9ELNS1_3repE0EEENS1_30default_config_static_selectorELNS0_4arch9wavefront6targetE0EEEvSZ_.num_vgpr, 0
	.set _ZN7rocprim17ROCPRIM_400000_NS6detail17trampoline_kernelINS0_13select_configILj256ELj13ELNS0_17block_load_methodE3ELS4_3ELS4_3ELNS0_20block_scan_algorithmE0ELj4294967295EEENS1_25partition_config_selectorILNS1_17partition_subalgoE3EjNS0_10empty_typeEbEEZZNS1_14partition_implILS8_3ELb0ES6_jNS0_17counting_iteratorIjlEEPS9_SE_NS0_5tupleIJPjSE_EEENSF_IJSE_SE_EEES9_SG_JZNS1_25segmented_radix_sort_implINS0_14default_configELb1EPK12hip_bfloat16PSL_PKlPlN2at6native12_GLOBAL__N_18offset_tEEE10hipError_tPvRmT1_PNSt15iterator_traitsISZ_E10value_typeET2_T3_PNS10_IS15_E10value_typeET4_jRbjT5_S1B_jjP12ihipStream_tbEUljE_EEESW_SX_SY_S15_S19_S1B_T6_T7_T9_mT8_S1D_bDpT10_ENKUlT_T0_E_clISt17integral_constantIbLb0EES1Q_EEDaS1L_S1M_EUlS1L_E_NS1_11comp_targetILNS1_3genE5ELNS1_11target_archE942ELNS1_3gpuE9ELNS1_3repE0EEENS1_30default_config_static_selectorELNS0_4arch9wavefront6targetE0EEEvSZ_.num_agpr, 0
	.set _ZN7rocprim17ROCPRIM_400000_NS6detail17trampoline_kernelINS0_13select_configILj256ELj13ELNS0_17block_load_methodE3ELS4_3ELS4_3ELNS0_20block_scan_algorithmE0ELj4294967295EEENS1_25partition_config_selectorILNS1_17partition_subalgoE3EjNS0_10empty_typeEbEEZZNS1_14partition_implILS8_3ELb0ES6_jNS0_17counting_iteratorIjlEEPS9_SE_NS0_5tupleIJPjSE_EEENSF_IJSE_SE_EEES9_SG_JZNS1_25segmented_radix_sort_implINS0_14default_configELb1EPK12hip_bfloat16PSL_PKlPlN2at6native12_GLOBAL__N_18offset_tEEE10hipError_tPvRmT1_PNSt15iterator_traitsISZ_E10value_typeET2_T3_PNS10_IS15_E10value_typeET4_jRbjT5_S1B_jjP12ihipStream_tbEUljE_EEESW_SX_SY_S15_S19_S1B_T6_T7_T9_mT8_S1D_bDpT10_ENKUlT_T0_E_clISt17integral_constantIbLb0EES1Q_EEDaS1L_S1M_EUlS1L_E_NS1_11comp_targetILNS1_3genE5ELNS1_11target_archE942ELNS1_3gpuE9ELNS1_3repE0EEENS1_30default_config_static_selectorELNS0_4arch9wavefront6targetE0EEEvSZ_.numbered_sgpr, 0
	.set _ZN7rocprim17ROCPRIM_400000_NS6detail17trampoline_kernelINS0_13select_configILj256ELj13ELNS0_17block_load_methodE3ELS4_3ELS4_3ELNS0_20block_scan_algorithmE0ELj4294967295EEENS1_25partition_config_selectorILNS1_17partition_subalgoE3EjNS0_10empty_typeEbEEZZNS1_14partition_implILS8_3ELb0ES6_jNS0_17counting_iteratorIjlEEPS9_SE_NS0_5tupleIJPjSE_EEENSF_IJSE_SE_EEES9_SG_JZNS1_25segmented_radix_sort_implINS0_14default_configELb1EPK12hip_bfloat16PSL_PKlPlN2at6native12_GLOBAL__N_18offset_tEEE10hipError_tPvRmT1_PNSt15iterator_traitsISZ_E10value_typeET2_T3_PNS10_IS15_E10value_typeET4_jRbjT5_S1B_jjP12ihipStream_tbEUljE_EEESW_SX_SY_S15_S19_S1B_T6_T7_T9_mT8_S1D_bDpT10_ENKUlT_T0_E_clISt17integral_constantIbLb0EES1Q_EEDaS1L_S1M_EUlS1L_E_NS1_11comp_targetILNS1_3genE5ELNS1_11target_archE942ELNS1_3gpuE9ELNS1_3repE0EEENS1_30default_config_static_selectorELNS0_4arch9wavefront6targetE0EEEvSZ_.num_named_barrier, 0
	.set _ZN7rocprim17ROCPRIM_400000_NS6detail17trampoline_kernelINS0_13select_configILj256ELj13ELNS0_17block_load_methodE3ELS4_3ELS4_3ELNS0_20block_scan_algorithmE0ELj4294967295EEENS1_25partition_config_selectorILNS1_17partition_subalgoE3EjNS0_10empty_typeEbEEZZNS1_14partition_implILS8_3ELb0ES6_jNS0_17counting_iteratorIjlEEPS9_SE_NS0_5tupleIJPjSE_EEENSF_IJSE_SE_EEES9_SG_JZNS1_25segmented_radix_sort_implINS0_14default_configELb1EPK12hip_bfloat16PSL_PKlPlN2at6native12_GLOBAL__N_18offset_tEEE10hipError_tPvRmT1_PNSt15iterator_traitsISZ_E10value_typeET2_T3_PNS10_IS15_E10value_typeET4_jRbjT5_S1B_jjP12ihipStream_tbEUljE_EEESW_SX_SY_S15_S19_S1B_T6_T7_T9_mT8_S1D_bDpT10_ENKUlT_T0_E_clISt17integral_constantIbLb0EES1Q_EEDaS1L_S1M_EUlS1L_E_NS1_11comp_targetILNS1_3genE5ELNS1_11target_archE942ELNS1_3gpuE9ELNS1_3repE0EEENS1_30default_config_static_selectorELNS0_4arch9wavefront6targetE0EEEvSZ_.private_seg_size, 0
	.set _ZN7rocprim17ROCPRIM_400000_NS6detail17trampoline_kernelINS0_13select_configILj256ELj13ELNS0_17block_load_methodE3ELS4_3ELS4_3ELNS0_20block_scan_algorithmE0ELj4294967295EEENS1_25partition_config_selectorILNS1_17partition_subalgoE3EjNS0_10empty_typeEbEEZZNS1_14partition_implILS8_3ELb0ES6_jNS0_17counting_iteratorIjlEEPS9_SE_NS0_5tupleIJPjSE_EEENSF_IJSE_SE_EEES9_SG_JZNS1_25segmented_radix_sort_implINS0_14default_configELb1EPK12hip_bfloat16PSL_PKlPlN2at6native12_GLOBAL__N_18offset_tEEE10hipError_tPvRmT1_PNSt15iterator_traitsISZ_E10value_typeET2_T3_PNS10_IS15_E10value_typeET4_jRbjT5_S1B_jjP12ihipStream_tbEUljE_EEESW_SX_SY_S15_S19_S1B_T6_T7_T9_mT8_S1D_bDpT10_ENKUlT_T0_E_clISt17integral_constantIbLb0EES1Q_EEDaS1L_S1M_EUlS1L_E_NS1_11comp_targetILNS1_3genE5ELNS1_11target_archE942ELNS1_3gpuE9ELNS1_3repE0EEENS1_30default_config_static_selectorELNS0_4arch9wavefront6targetE0EEEvSZ_.uses_vcc, 0
	.set _ZN7rocprim17ROCPRIM_400000_NS6detail17trampoline_kernelINS0_13select_configILj256ELj13ELNS0_17block_load_methodE3ELS4_3ELS4_3ELNS0_20block_scan_algorithmE0ELj4294967295EEENS1_25partition_config_selectorILNS1_17partition_subalgoE3EjNS0_10empty_typeEbEEZZNS1_14partition_implILS8_3ELb0ES6_jNS0_17counting_iteratorIjlEEPS9_SE_NS0_5tupleIJPjSE_EEENSF_IJSE_SE_EEES9_SG_JZNS1_25segmented_radix_sort_implINS0_14default_configELb1EPK12hip_bfloat16PSL_PKlPlN2at6native12_GLOBAL__N_18offset_tEEE10hipError_tPvRmT1_PNSt15iterator_traitsISZ_E10value_typeET2_T3_PNS10_IS15_E10value_typeET4_jRbjT5_S1B_jjP12ihipStream_tbEUljE_EEESW_SX_SY_S15_S19_S1B_T6_T7_T9_mT8_S1D_bDpT10_ENKUlT_T0_E_clISt17integral_constantIbLb0EES1Q_EEDaS1L_S1M_EUlS1L_E_NS1_11comp_targetILNS1_3genE5ELNS1_11target_archE942ELNS1_3gpuE9ELNS1_3repE0EEENS1_30default_config_static_selectorELNS0_4arch9wavefront6targetE0EEEvSZ_.uses_flat_scratch, 0
	.set _ZN7rocprim17ROCPRIM_400000_NS6detail17trampoline_kernelINS0_13select_configILj256ELj13ELNS0_17block_load_methodE3ELS4_3ELS4_3ELNS0_20block_scan_algorithmE0ELj4294967295EEENS1_25partition_config_selectorILNS1_17partition_subalgoE3EjNS0_10empty_typeEbEEZZNS1_14partition_implILS8_3ELb0ES6_jNS0_17counting_iteratorIjlEEPS9_SE_NS0_5tupleIJPjSE_EEENSF_IJSE_SE_EEES9_SG_JZNS1_25segmented_radix_sort_implINS0_14default_configELb1EPK12hip_bfloat16PSL_PKlPlN2at6native12_GLOBAL__N_18offset_tEEE10hipError_tPvRmT1_PNSt15iterator_traitsISZ_E10value_typeET2_T3_PNS10_IS15_E10value_typeET4_jRbjT5_S1B_jjP12ihipStream_tbEUljE_EEESW_SX_SY_S15_S19_S1B_T6_T7_T9_mT8_S1D_bDpT10_ENKUlT_T0_E_clISt17integral_constantIbLb0EES1Q_EEDaS1L_S1M_EUlS1L_E_NS1_11comp_targetILNS1_3genE5ELNS1_11target_archE942ELNS1_3gpuE9ELNS1_3repE0EEENS1_30default_config_static_selectorELNS0_4arch9wavefront6targetE0EEEvSZ_.has_dyn_sized_stack, 0
	.set _ZN7rocprim17ROCPRIM_400000_NS6detail17trampoline_kernelINS0_13select_configILj256ELj13ELNS0_17block_load_methodE3ELS4_3ELS4_3ELNS0_20block_scan_algorithmE0ELj4294967295EEENS1_25partition_config_selectorILNS1_17partition_subalgoE3EjNS0_10empty_typeEbEEZZNS1_14partition_implILS8_3ELb0ES6_jNS0_17counting_iteratorIjlEEPS9_SE_NS0_5tupleIJPjSE_EEENSF_IJSE_SE_EEES9_SG_JZNS1_25segmented_radix_sort_implINS0_14default_configELb1EPK12hip_bfloat16PSL_PKlPlN2at6native12_GLOBAL__N_18offset_tEEE10hipError_tPvRmT1_PNSt15iterator_traitsISZ_E10value_typeET2_T3_PNS10_IS15_E10value_typeET4_jRbjT5_S1B_jjP12ihipStream_tbEUljE_EEESW_SX_SY_S15_S19_S1B_T6_T7_T9_mT8_S1D_bDpT10_ENKUlT_T0_E_clISt17integral_constantIbLb0EES1Q_EEDaS1L_S1M_EUlS1L_E_NS1_11comp_targetILNS1_3genE5ELNS1_11target_archE942ELNS1_3gpuE9ELNS1_3repE0EEENS1_30default_config_static_selectorELNS0_4arch9wavefront6targetE0EEEvSZ_.has_recursion, 0
	.set _ZN7rocprim17ROCPRIM_400000_NS6detail17trampoline_kernelINS0_13select_configILj256ELj13ELNS0_17block_load_methodE3ELS4_3ELS4_3ELNS0_20block_scan_algorithmE0ELj4294967295EEENS1_25partition_config_selectorILNS1_17partition_subalgoE3EjNS0_10empty_typeEbEEZZNS1_14partition_implILS8_3ELb0ES6_jNS0_17counting_iteratorIjlEEPS9_SE_NS0_5tupleIJPjSE_EEENSF_IJSE_SE_EEES9_SG_JZNS1_25segmented_radix_sort_implINS0_14default_configELb1EPK12hip_bfloat16PSL_PKlPlN2at6native12_GLOBAL__N_18offset_tEEE10hipError_tPvRmT1_PNSt15iterator_traitsISZ_E10value_typeET2_T3_PNS10_IS15_E10value_typeET4_jRbjT5_S1B_jjP12ihipStream_tbEUljE_EEESW_SX_SY_S15_S19_S1B_T6_T7_T9_mT8_S1D_bDpT10_ENKUlT_T0_E_clISt17integral_constantIbLb0EES1Q_EEDaS1L_S1M_EUlS1L_E_NS1_11comp_targetILNS1_3genE5ELNS1_11target_archE942ELNS1_3gpuE9ELNS1_3repE0EEENS1_30default_config_static_selectorELNS0_4arch9wavefront6targetE0EEEvSZ_.has_indirect_call, 0
	.section	.AMDGPU.csdata,"",@progbits
; Kernel info:
; codeLenInByte = 0
; TotalNumSgprs: 0
; NumVgprs: 0
; ScratchSize: 0
; MemoryBound: 0
; FloatMode: 240
; IeeeMode: 1
; LDSByteSize: 0 bytes/workgroup (compile time only)
; SGPRBlocks: 0
; VGPRBlocks: 0
; NumSGPRsForWavesPerEU: 1
; NumVGPRsForWavesPerEU: 1
; Occupancy: 16
; WaveLimiterHint : 0
; COMPUTE_PGM_RSRC2:SCRATCH_EN: 0
; COMPUTE_PGM_RSRC2:USER_SGPR: 2
; COMPUTE_PGM_RSRC2:TRAP_HANDLER: 0
; COMPUTE_PGM_RSRC2:TGID_X_EN: 1
; COMPUTE_PGM_RSRC2:TGID_Y_EN: 0
; COMPUTE_PGM_RSRC2:TGID_Z_EN: 0
; COMPUTE_PGM_RSRC2:TIDIG_COMP_CNT: 0
	.section	.text._ZN7rocprim17ROCPRIM_400000_NS6detail17trampoline_kernelINS0_13select_configILj256ELj13ELNS0_17block_load_methodE3ELS4_3ELS4_3ELNS0_20block_scan_algorithmE0ELj4294967295EEENS1_25partition_config_selectorILNS1_17partition_subalgoE3EjNS0_10empty_typeEbEEZZNS1_14partition_implILS8_3ELb0ES6_jNS0_17counting_iteratorIjlEEPS9_SE_NS0_5tupleIJPjSE_EEENSF_IJSE_SE_EEES9_SG_JZNS1_25segmented_radix_sort_implINS0_14default_configELb1EPK12hip_bfloat16PSL_PKlPlN2at6native12_GLOBAL__N_18offset_tEEE10hipError_tPvRmT1_PNSt15iterator_traitsISZ_E10value_typeET2_T3_PNS10_IS15_E10value_typeET4_jRbjT5_S1B_jjP12ihipStream_tbEUljE_EEESW_SX_SY_S15_S19_S1B_T6_T7_T9_mT8_S1D_bDpT10_ENKUlT_T0_E_clISt17integral_constantIbLb0EES1Q_EEDaS1L_S1M_EUlS1L_E_NS1_11comp_targetILNS1_3genE4ELNS1_11target_archE910ELNS1_3gpuE8ELNS1_3repE0EEENS1_30default_config_static_selectorELNS0_4arch9wavefront6targetE0EEEvSZ_,"axG",@progbits,_ZN7rocprim17ROCPRIM_400000_NS6detail17trampoline_kernelINS0_13select_configILj256ELj13ELNS0_17block_load_methodE3ELS4_3ELS4_3ELNS0_20block_scan_algorithmE0ELj4294967295EEENS1_25partition_config_selectorILNS1_17partition_subalgoE3EjNS0_10empty_typeEbEEZZNS1_14partition_implILS8_3ELb0ES6_jNS0_17counting_iteratorIjlEEPS9_SE_NS0_5tupleIJPjSE_EEENSF_IJSE_SE_EEES9_SG_JZNS1_25segmented_radix_sort_implINS0_14default_configELb1EPK12hip_bfloat16PSL_PKlPlN2at6native12_GLOBAL__N_18offset_tEEE10hipError_tPvRmT1_PNSt15iterator_traitsISZ_E10value_typeET2_T3_PNS10_IS15_E10value_typeET4_jRbjT5_S1B_jjP12ihipStream_tbEUljE_EEESW_SX_SY_S15_S19_S1B_T6_T7_T9_mT8_S1D_bDpT10_ENKUlT_T0_E_clISt17integral_constantIbLb0EES1Q_EEDaS1L_S1M_EUlS1L_E_NS1_11comp_targetILNS1_3genE4ELNS1_11target_archE910ELNS1_3gpuE8ELNS1_3repE0EEENS1_30default_config_static_selectorELNS0_4arch9wavefront6targetE0EEEvSZ_,comdat
	.globl	_ZN7rocprim17ROCPRIM_400000_NS6detail17trampoline_kernelINS0_13select_configILj256ELj13ELNS0_17block_load_methodE3ELS4_3ELS4_3ELNS0_20block_scan_algorithmE0ELj4294967295EEENS1_25partition_config_selectorILNS1_17partition_subalgoE3EjNS0_10empty_typeEbEEZZNS1_14partition_implILS8_3ELb0ES6_jNS0_17counting_iteratorIjlEEPS9_SE_NS0_5tupleIJPjSE_EEENSF_IJSE_SE_EEES9_SG_JZNS1_25segmented_radix_sort_implINS0_14default_configELb1EPK12hip_bfloat16PSL_PKlPlN2at6native12_GLOBAL__N_18offset_tEEE10hipError_tPvRmT1_PNSt15iterator_traitsISZ_E10value_typeET2_T3_PNS10_IS15_E10value_typeET4_jRbjT5_S1B_jjP12ihipStream_tbEUljE_EEESW_SX_SY_S15_S19_S1B_T6_T7_T9_mT8_S1D_bDpT10_ENKUlT_T0_E_clISt17integral_constantIbLb0EES1Q_EEDaS1L_S1M_EUlS1L_E_NS1_11comp_targetILNS1_3genE4ELNS1_11target_archE910ELNS1_3gpuE8ELNS1_3repE0EEENS1_30default_config_static_selectorELNS0_4arch9wavefront6targetE0EEEvSZ_ ; -- Begin function _ZN7rocprim17ROCPRIM_400000_NS6detail17trampoline_kernelINS0_13select_configILj256ELj13ELNS0_17block_load_methodE3ELS4_3ELS4_3ELNS0_20block_scan_algorithmE0ELj4294967295EEENS1_25partition_config_selectorILNS1_17partition_subalgoE3EjNS0_10empty_typeEbEEZZNS1_14partition_implILS8_3ELb0ES6_jNS0_17counting_iteratorIjlEEPS9_SE_NS0_5tupleIJPjSE_EEENSF_IJSE_SE_EEES9_SG_JZNS1_25segmented_radix_sort_implINS0_14default_configELb1EPK12hip_bfloat16PSL_PKlPlN2at6native12_GLOBAL__N_18offset_tEEE10hipError_tPvRmT1_PNSt15iterator_traitsISZ_E10value_typeET2_T3_PNS10_IS15_E10value_typeET4_jRbjT5_S1B_jjP12ihipStream_tbEUljE_EEESW_SX_SY_S15_S19_S1B_T6_T7_T9_mT8_S1D_bDpT10_ENKUlT_T0_E_clISt17integral_constantIbLb0EES1Q_EEDaS1L_S1M_EUlS1L_E_NS1_11comp_targetILNS1_3genE4ELNS1_11target_archE910ELNS1_3gpuE8ELNS1_3repE0EEENS1_30default_config_static_selectorELNS0_4arch9wavefront6targetE0EEEvSZ_
	.p2align	8
	.type	_ZN7rocprim17ROCPRIM_400000_NS6detail17trampoline_kernelINS0_13select_configILj256ELj13ELNS0_17block_load_methodE3ELS4_3ELS4_3ELNS0_20block_scan_algorithmE0ELj4294967295EEENS1_25partition_config_selectorILNS1_17partition_subalgoE3EjNS0_10empty_typeEbEEZZNS1_14partition_implILS8_3ELb0ES6_jNS0_17counting_iteratorIjlEEPS9_SE_NS0_5tupleIJPjSE_EEENSF_IJSE_SE_EEES9_SG_JZNS1_25segmented_radix_sort_implINS0_14default_configELb1EPK12hip_bfloat16PSL_PKlPlN2at6native12_GLOBAL__N_18offset_tEEE10hipError_tPvRmT1_PNSt15iterator_traitsISZ_E10value_typeET2_T3_PNS10_IS15_E10value_typeET4_jRbjT5_S1B_jjP12ihipStream_tbEUljE_EEESW_SX_SY_S15_S19_S1B_T6_T7_T9_mT8_S1D_bDpT10_ENKUlT_T0_E_clISt17integral_constantIbLb0EES1Q_EEDaS1L_S1M_EUlS1L_E_NS1_11comp_targetILNS1_3genE4ELNS1_11target_archE910ELNS1_3gpuE8ELNS1_3repE0EEENS1_30default_config_static_selectorELNS0_4arch9wavefront6targetE0EEEvSZ_,@function
_ZN7rocprim17ROCPRIM_400000_NS6detail17trampoline_kernelINS0_13select_configILj256ELj13ELNS0_17block_load_methodE3ELS4_3ELS4_3ELNS0_20block_scan_algorithmE0ELj4294967295EEENS1_25partition_config_selectorILNS1_17partition_subalgoE3EjNS0_10empty_typeEbEEZZNS1_14partition_implILS8_3ELb0ES6_jNS0_17counting_iteratorIjlEEPS9_SE_NS0_5tupleIJPjSE_EEENSF_IJSE_SE_EEES9_SG_JZNS1_25segmented_radix_sort_implINS0_14default_configELb1EPK12hip_bfloat16PSL_PKlPlN2at6native12_GLOBAL__N_18offset_tEEE10hipError_tPvRmT1_PNSt15iterator_traitsISZ_E10value_typeET2_T3_PNS10_IS15_E10value_typeET4_jRbjT5_S1B_jjP12ihipStream_tbEUljE_EEESW_SX_SY_S15_S19_S1B_T6_T7_T9_mT8_S1D_bDpT10_ENKUlT_T0_E_clISt17integral_constantIbLb0EES1Q_EEDaS1L_S1M_EUlS1L_E_NS1_11comp_targetILNS1_3genE4ELNS1_11target_archE910ELNS1_3gpuE8ELNS1_3repE0EEENS1_30default_config_static_selectorELNS0_4arch9wavefront6targetE0EEEvSZ_: ; @_ZN7rocprim17ROCPRIM_400000_NS6detail17trampoline_kernelINS0_13select_configILj256ELj13ELNS0_17block_load_methodE3ELS4_3ELS4_3ELNS0_20block_scan_algorithmE0ELj4294967295EEENS1_25partition_config_selectorILNS1_17partition_subalgoE3EjNS0_10empty_typeEbEEZZNS1_14partition_implILS8_3ELb0ES6_jNS0_17counting_iteratorIjlEEPS9_SE_NS0_5tupleIJPjSE_EEENSF_IJSE_SE_EEES9_SG_JZNS1_25segmented_radix_sort_implINS0_14default_configELb1EPK12hip_bfloat16PSL_PKlPlN2at6native12_GLOBAL__N_18offset_tEEE10hipError_tPvRmT1_PNSt15iterator_traitsISZ_E10value_typeET2_T3_PNS10_IS15_E10value_typeET4_jRbjT5_S1B_jjP12ihipStream_tbEUljE_EEESW_SX_SY_S15_S19_S1B_T6_T7_T9_mT8_S1D_bDpT10_ENKUlT_T0_E_clISt17integral_constantIbLb0EES1Q_EEDaS1L_S1M_EUlS1L_E_NS1_11comp_targetILNS1_3genE4ELNS1_11target_archE910ELNS1_3gpuE8ELNS1_3repE0EEENS1_30default_config_static_selectorELNS0_4arch9wavefront6targetE0EEEvSZ_
; %bb.0:
	.section	.rodata,"a",@progbits
	.p2align	6, 0x0
	.amdhsa_kernel _ZN7rocprim17ROCPRIM_400000_NS6detail17trampoline_kernelINS0_13select_configILj256ELj13ELNS0_17block_load_methodE3ELS4_3ELS4_3ELNS0_20block_scan_algorithmE0ELj4294967295EEENS1_25partition_config_selectorILNS1_17partition_subalgoE3EjNS0_10empty_typeEbEEZZNS1_14partition_implILS8_3ELb0ES6_jNS0_17counting_iteratorIjlEEPS9_SE_NS0_5tupleIJPjSE_EEENSF_IJSE_SE_EEES9_SG_JZNS1_25segmented_radix_sort_implINS0_14default_configELb1EPK12hip_bfloat16PSL_PKlPlN2at6native12_GLOBAL__N_18offset_tEEE10hipError_tPvRmT1_PNSt15iterator_traitsISZ_E10value_typeET2_T3_PNS10_IS15_E10value_typeET4_jRbjT5_S1B_jjP12ihipStream_tbEUljE_EEESW_SX_SY_S15_S19_S1B_T6_T7_T9_mT8_S1D_bDpT10_ENKUlT_T0_E_clISt17integral_constantIbLb0EES1Q_EEDaS1L_S1M_EUlS1L_E_NS1_11comp_targetILNS1_3genE4ELNS1_11target_archE910ELNS1_3gpuE8ELNS1_3repE0EEENS1_30default_config_static_selectorELNS0_4arch9wavefront6targetE0EEEvSZ_
		.amdhsa_group_segment_fixed_size 0
		.amdhsa_private_segment_fixed_size 0
		.amdhsa_kernarg_size 144
		.amdhsa_user_sgpr_count 2
		.amdhsa_user_sgpr_dispatch_ptr 0
		.amdhsa_user_sgpr_queue_ptr 0
		.amdhsa_user_sgpr_kernarg_segment_ptr 1
		.amdhsa_user_sgpr_dispatch_id 0
		.amdhsa_user_sgpr_private_segment_size 0
		.amdhsa_wavefront_size32 1
		.amdhsa_uses_dynamic_stack 0
		.amdhsa_enable_private_segment 0
		.amdhsa_system_sgpr_workgroup_id_x 1
		.amdhsa_system_sgpr_workgroup_id_y 0
		.amdhsa_system_sgpr_workgroup_id_z 0
		.amdhsa_system_sgpr_workgroup_info 0
		.amdhsa_system_vgpr_workitem_id 0
		.amdhsa_next_free_vgpr 1
		.amdhsa_next_free_sgpr 1
		.amdhsa_reserve_vcc 0
		.amdhsa_float_round_mode_32 0
		.amdhsa_float_round_mode_16_64 0
		.amdhsa_float_denorm_mode_32 3
		.amdhsa_float_denorm_mode_16_64 3
		.amdhsa_fp16_overflow 0
		.amdhsa_workgroup_processor_mode 1
		.amdhsa_memory_ordered 1
		.amdhsa_forward_progress 1
		.amdhsa_inst_pref_size 0
		.amdhsa_round_robin_scheduling 0
		.amdhsa_exception_fp_ieee_invalid_op 0
		.amdhsa_exception_fp_denorm_src 0
		.amdhsa_exception_fp_ieee_div_zero 0
		.amdhsa_exception_fp_ieee_overflow 0
		.amdhsa_exception_fp_ieee_underflow 0
		.amdhsa_exception_fp_ieee_inexact 0
		.amdhsa_exception_int_div_zero 0
	.end_amdhsa_kernel
	.section	.text._ZN7rocprim17ROCPRIM_400000_NS6detail17trampoline_kernelINS0_13select_configILj256ELj13ELNS0_17block_load_methodE3ELS4_3ELS4_3ELNS0_20block_scan_algorithmE0ELj4294967295EEENS1_25partition_config_selectorILNS1_17partition_subalgoE3EjNS0_10empty_typeEbEEZZNS1_14partition_implILS8_3ELb0ES6_jNS0_17counting_iteratorIjlEEPS9_SE_NS0_5tupleIJPjSE_EEENSF_IJSE_SE_EEES9_SG_JZNS1_25segmented_radix_sort_implINS0_14default_configELb1EPK12hip_bfloat16PSL_PKlPlN2at6native12_GLOBAL__N_18offset_tEEE10hipError_tPvRmT1_PNSt15iterator_traitsISZ_E10value_typeET2_T3_PNS10_IS15_E10value_typeET4_jRbjT5_S1B_jjP12ihipStream_tbEUljE_EEESW_SX_SY_S15_S19_S1B_T6_T7_T9_mT8_S1D_bDpT10_ENKUlT_T0_E_clISt17integral_constantIbLb0EES1Q_EEDaS1L_S1M_EUlS1L_E_NS1_11comp_targetILNS1_3genE4ELNS1_11target_archE910ELNS1_3gpuE8ELNS1_3repE0EEENS1_30default_config_static_selectorELNS0_4arch9wavefront6targetE0EEEvSZ_,"axG",@progbits,_ZN7rocprim17ROCPRIM_400000_NS6detail17trampoline_kernelINS0_13select_configILj256ELj13ELNS0_17block_load_methodE3ELS4_3ELS4_3ELNS0_20block_scan_algorithmE0ELj4294967295EEENS1_25partition_config_selectorILNS1_17partition_subalgoE3EjNS0_10empty_typeEbEEZZNS1_14partition_implILS8_3ELb0ES6_jNS0_17counting_iteratorIjlEEPS9_SE_NS0_5tupleIJPjSE_EEENSF_IJSE_SE_EEES9_SG_JZNS1_25segmented_radix_sort_implINS0_14default_configELb1EPK12hip_bfloat16PSL_PKlPlN2at6native12_GLOBAL__N_18offset_tEEE10hipError_tPvRmT1_PNSt15iterator_traitsISZ_E10value_typeET2_T3_PNS10_IS15_E10value_typeET4_jRbjT5_S1B_jjP12ihipStream_tbEUljE_EEESW_SX_SY_S15_S19_S1B_T6_T7_T9_mT8_S1D_bDpT10_ENKUlT_T0_E_clISt17integral_constantIbLb0EES1Q_EEDaS1L_S1M_EUlS1L_E_NS1_11comp_targetILNS1_3genE4ELNS1_11target_archE910ELNS1_3gpuE8ELNS1_3repE0EEENS1_30default_config_static_selectorELNS0_4arch9wavefront6targetE0EEEvSZ_,comdat
.Lfunc_end1916:
	.size	_ZN7rocprim17ROCPRIM_400000_NS6detail17trampoline_kernelINS0_13select_configILj256ELj13ELNS0_17block_load_methodE3ELS4_3ELS4_3ELNS0_20block_scan_algorithmE0ELj4294967295EEENS1_25partition_config_selectorILNS1_17partition_subalgoE3EjNS0_10empty_typeEbEEZZNS1_14partition_implILS8_3ELb0ES6_jNS0_17counting_iteratorIjlEEPS9_SE_NS0_5tupleIJPjSE_EEENSF_IJSE_SE_EEES9_SG_JZNS1_25segmented_radix_sort_implINS0_14default_configELb1EPK12hip_bfloat16PSL_PKlPlN2at6native12_GLOBAL__N_18offset_tEEE10hipError_tPvRmT1_PNSt15iterator_traitsISZ_E10value_typeET2_T3_PNS10_IS15_E10value_typeET4_jRbjT5_S1B_jjP12ihipStream_tbEUljE_EEESW_SX_SY_S15_S19_S1B_T6_T7_T9_mT8_S1D_bDpT10_ENKUlT_T0_E_clISt17integral_constantIbLb0EES1Q_EEDaS1L_S1M_EUlS1L_E_NS1_11comp_targetILNS1_3genE4ELNS1_11target_archE910ELNS1_3gpuE8ELNS1_3repE0EEENS1_30default_config_static_selectorELNS0_4arch9wavefront6targetE0EEEvSZ_, .Lfunc_end1916-_ZN7rocprim17ROCPRIM_400000_NS6detail17trampoline_kernelINS0_13select_configILj256ELj13ELNS0_17block_load_methodE3ELS4_3ELS4_3ELNS0_20block_scan_algorithmE0ELj4294967295EEENS1_25partition_config_selectorILNS1_17partition_subalgoE3EjNS0_10empty_typeEbEEZZNS1_14partition_implILS8_3ELb0ES6_jNS0_17counting_iteratorIjlEEPS9_SE_NS0_5tupleIJPjSE_EEENSF_IJSE_SE_EEES9_SG_JZNS1_25segmented_radix_sort_implINS0_14default_configELb1EPK12hip_bfloat16PSL_PKlPlN2at6native12_GLOBAL__N_18offset_tEEE10hipError_tPvRmT1_PNSt15iterator_traitsISZ_E10value_typeET2_T3_PNS10_IS15_E10value_typeET4_jRbjT5_S1B_jjP12ihipStream_tbEUljE_EEESW_SX_SY_S15_S19_S1B_T6_T7_T9_mT8_S1D_bDpT10_ENKUlT_T0_E_clISt17integral_constantIbLb0EES1Q_EEDaS1L_S1M_EUlS1L_E_NS1_11comp_targetILNS1_3genE4ELNS1_11target_archE910ELNS1_3gpuE8ELNS1_3repE0EEENS1_30default_config_static_selectorELNS0_4arch9wavefront6targetE0EEEvSZ_
                                        ; -- End function
	.set _ZN7rocprim17ROCPRIM_400000_NS6detail17trampoline_kernelINS0_13select_configILj256ELj13ELNS0_17block_load_methodE3ELS4_3ELS4_3ELNS0_20block_scan_algorithmE0ELj4294967295EEENS1_25partition_config_selectorILNS1_17partition_subalgoE3EjNS0_10empty_typeEbEEZZNS1_14partition_implILS8_3ELb0ES6_jNS0_17counting_iteratorIjlEEPS9_SE_NS0_5tupleIJPjSE_EEENSF_IJSE_SE_EEES9_SG_JZNS1_25segmented_radix_sort_implINS0_14default_configELb1EPK12hip_bfloat16PSL_PKlPlN2at6native12_GLOBAL__N_18offset_tEEE10hipError_tPvRmT1_PNSt15iterator_traitsISZ_E10value_typeET2_T3_PNS10_IS15_E10value_typeET4_jRbjT5_S1B_jjP12ihipStream_tbEUljE_EEESW_SX_SY_S15_S19_S1B_T6_T7_T9_mT8_S1D_bDpT10_ENKUlT_T0_E_clISt17integral_constantIbLb0EES1Q_EEDaS1L_S1M_EUlS1L_E_NS1_11comp_targetILNS1_3genE4ELNS1_11target_archE910ELNS1_3gpuE8ELNS1_3repE0EEENS1_30default_config_static_selectorELNS0_4arch9wavefront6targetE0EEEvSZ_.num_vgpr, 0
	.set _ZN7rocprim17ROCPRIM_400000_NS6detail17trampoline_kernelINS0_13select_configILj256ELj13ELNS0_17block_load_methodE3ELS4_3ELS4_3ELNS0_20block_scan_algorithmE0ELj4294967295EEENS1_25partition_config_selectorILNS1_17partition_subalgoE3EjNS0_10empty_typeEbEEZZNS1_14partition_implILS8_3ELb0ES6_jNS0_17counting_iteratorIjlEEPS9_SE_NS0_5tupleIJPjSE_EEENSF_IJSE_SE_EEES9_SG_JZNS1_25segmented_radix_sort_implINS0_14default_configELb1EPK12hip_bfloat16PSL_PKlPlN2at6native12_GLOBAL__N_18offset_tEEE10hipError_tPvRmT1_PNSt15iterator_traitsISZ_E10value_typeET2_T3_PNS10_IS15_E10value_typeET4_jRbjT5_S1B_jjP12ihipStream_tbEUljE_EEESW_SX_SY_S15_S19_S1B_T6_T7_T9_mT8_S1D_bDpT10_ENKUlT_T0_E_clISt17integral_constantIbLb0EES1Q_EEDaS1L_S1M_EUlS1L_E_NS1_11comp_targetILNS1_3genE4ELNS1_11target_archE910ELNS1_3gpuE8ELNS1_3repE0EEENS1_30default_config_static_selectorELNS0_4arch9wavefront6targetE0EEEvSZ_.num_agpr, 0
	.set _ZN7rocprim17ROCPRIM_400000_NS6detail17trampoline_kernelINS0_13select_configILj256ELj13ELNS0_17block_load_methodE3ELS4_3ELS4_3ELNS0_20block_scan_algorithmE0ELj4294967295EEENS1_25partition_config_selectorILNS1_17partition_subalgoE3EjNS0_10empty_typeEbEEZZNS1_14partition_implILS8_3ELb0ES6_jNS0_17counting_iteratorIjlEEPS9_SE_NS0_5tupleIJPjSE_EEENSF_IJSE_SE_EEES9_SG_JZNS1_25segmented_radix_sort_implINS0_14default_configELb1EPK12hip_bfloat16PSL_PKlPlN2at6native12_GLOBAL__N_18offset_tEEE10hipError_tPvRmT1_PNSt15iterator_traitsISZ_E10value_typeET2_T3_PNS10_IS15_E10value_typeET4_jRbjT5_S1B_jjP12ihipStream_tbEUljE_EEESW_SX_SY_S15_S19_S1B_T6_T7_T9_mT8_S1D_bDpT10_ENKUlT_T0_E_clISt17integral_constantIbLb0EES1Q_EEDaS1L_S1M_EUlS1L_E_NS1_11comp_targetILNS1_3genE4ELNS1_11target_archE910ELNS1_3gpuE8ELNS1_3repE0EEENS1_30default_config_static_selectorELNS0_4arch9wavefront6targetE0EEEvSZ_.numbered_sgpr, 0
	.set _ZN7rocprim17ROCPRIM_400000_NS6detail17trampoline_kernelINS0_13select_configILj256ELj13ELNS0_17block_load_methodE3ELS4_3ELS4_3ELNS0_20block_scan_algorithmE0ELj4294967295EEENS1_25partition_config_selectorILNS1_17partition_subalgoE3EjNS0_10empty_typeEbEEZZNS1_14partition_implILS8_3ELb0ES6_jNS0_17counting_iteratorIjlEEPS9_SE_NS0_5tupleIJPjSE_EEENSF_IJSE_SE_EEES9_SG_JZNS1_25segmented_radix_sort_implINS0_14default_configELb1EPK12hip_bfloat16PSL_PKlPlN2at6native12_GLOBAL__N_18offset_tEEE10hipError_tPvRmT1_PNSt15iterator_traitsISZ_E10value_typeET2_T3_PNS10_IS15_E10value_typeET4_jRbjT5_S1B_jjP12ihipStream_tbEUljE_EEESW_SX_SY_S15_S19_S1B_T6_T7_T9_mT8_S1D_bDpT10_ENKUlT_T0_E_clISt17integral_constantIbLb0EES1Q_EEDaS1L_S1M_EUlS1L_E_NS1_11comp_targetILNS1_3genE4ELNS1_11target_archE910ELNS1_3gpuE8ELNS1_3repE0EEENS1_30default_config_static_selectorELNS0_4arch9wavefront6targetE0EEEvSZ_.num_named_barrier, 0
	.set _ZN7rocprim17ROCPRIM_400000_NS6detail17trampoline_kernelINS0_13select_configILj256ELj13ELNS0_17block_load_methodE3ELS4_3ELS4_3ELNS0_20block_scan_algorithmE0ELj4294967295EEENS1_25partition_config_selectorILNS1_17partition_subalgoE3EjNS0_10empty_typeEbEEZZNS1_14partition_implILS8_3ELb0ES6_jNS0_17counting_iteratorIjlEEPS9_SE_NS0_5tupleIJPjSE_EEENSF_IJSE_SE_EEES9_SG_JZNS1_25segmented_radix_sort_implINS0_14default_configELb1EPK12hip_bfloat16PSL_PKlPlN2at6native12_GLOBAL__N_18offset_tEEE10hipError_tPvRmT1_PNSt15iterator_traitsISZ_E10value_typeET2_T3_PNS10_IS15_E10value_typeET4_jRbjT5_S1B_jjP12ihipStream_tbEUljE_EEESW_SX_SY_S15_S19_S1B_T6_T7_T9_mT8_S1D_bDpT10_ENKUlT_T0_E_clISt17integral_constantIbLb0EES1Q_EEDaS1L_S1M_EUlS1L_E_NS1_11comp_targetILNS1_3genE4ELNS1_11target_archE910ELNS1_3gpuE8ELNS1_3repE0EEENS1_30default_config_static_selectorELNS0_4arch9wavefront6targetE0EEEvSZ_.private_seg_size, 0
	.set _ZN7rocprim17ROCPRIM_400000_NS6detail17trampoline_kernelINS0_13select_configILj256ELj13ELNS0_17block_load_methodE3ELS4_3ELS4_3ELNS0_20block_scan_algorithmE0ELj4294967295EEENS1_25partition_config_selectorILNS1_17partition_subalgoE3EjNS0_10empty_typeEbEEZZNS1_14partition_implILS8_3ELb0ES6_jNS0_17counting_iteratorIjlEEPS9_SE_NS0_5tupleIJPjSE_EEENSF_IJSE_SE_EEES9_SG_JZNS1_25segmented_radix_sort_implINS0_14default_configELb1EPK12hip_bfloat16PSL_PKlPlN2at6native12_GLOBAL__N_18offset_tEEE10hipError_tPvRmT1_PNSt15iterator_traitsISZ_E10value_typeET2_T3_PNS10_IS15_E10value_typeET4_jRbjT5_S1B_jjP12ihipStream_tbEUljE_EEESW_SX_SY_S15_S19_S1B_T6_T7_T9_mT8_S1D_bDpT10_ENKUlT_T0_E_clISt17integral_constantIbLb0EES1Q_EEDaS1L_S1M_EUlS1L_E_NS1_11comp_targetILNS1_3genE4ELNS1_11target_archE910ELNS1_3gpuE8ELNS1_3repE0EEENS1_30default_config_static_selectorELNS0_4arch9wavefront6targetE0EEEvSZ_.uses_vcc, 0
	.set _ZN7rocprim17ROCPRIM_400000_NS6detail17trampoline_kernelINS0_13select_configILj256ELj13ELNS0_17block_load_methodE3ELS4_3ELS4_3ELNS0_20block_scan_algorithmE0ELj4294967295EEENS1_25partition_config_selectorILNS1_17partition_subalgoE3EjNS0_10empty_typeEbEEZZNS1_14partition_implILS8_3ELb0ES6_jNS0_17counting_iteratorIjlEEPS9_SE_NS0_5tupleIJPjSE_EEENSF_IJSE_SE_EEES9_SG_JZNS1_25segmented_radix_sort_implINS0_14default_configELb1EPK12hip_bfloat16PSL_PKlPlN2at6native12_GLOBAL__N_18offset_tEEE10hipError_tPvRmT1_PNSt15iterator_traitsISZ_E10value_typeET2_T3_PNS10_IS15_E10value_typeET4_jRbjT5_S1B_jjP12ihipStream_tbEUljE_EEESW_SX_SY_S15_S19_S1B_T6_T7_T9_mT8_S1D_bDpT10_ENKUlT_T0_E_clISt17integral_constantIbLb0EES1Q_EEDaS1L_S1M_EUlS1L_E_NS1_11comp_targetILNS1_3genE4ELNS1_11target_archE910ELNS1_3gpuE8ELNS1_3repE0EEENS1_30default_config_static_selectorELNS0_4arch9wavefront6targetE0EEEvSZ_.uses_flat_scratch, 0
	.set _ZN7rocprim17ROCPRIM_400000_NS6detail17trampoline_kernelINS0_13select_configILj256ELj13ELNS0_17block_load_methodE3ELS4_3ELS4_3ELNS0_20block_scan_algorithmE0ELj4294967295EEENS1_25partition_config_selectorILNS1_17partition_subalgoE3EjNS0_10empty_typeEbEEZZNS1_14partition_implILS8_3ELb0ES6_jNS0_17counting_iteratorIjlEEPS9_SE_NS0_5tupleIJPjSE_EEENSF_IJSE_SE_EEES9_SG_JZNS1_25segmented_radix_sort_implINS0_14default_configELb1EPK12hip_bfloat16PSL_PKlPlN2at6native12_GLOBAL__N_18offset_tEEE10hipError_tPvRmT1_PNSt15iterator_traitsISZ_E10value_typeET2_T3_PNS10_IS15_E10value_typeET4_jRbjT5_S1B_jjP12ihipStream_tbEUljE_EEESW_SX_SY_S15_S19_S1B_T6_T7_T9_mT8_S1D_bDpT10_ENKUlT_T0_E_clISt17integral_constantIbLb0EES1Q_EEDaS1L_S1M_EUlS1L_E_NS1_11comp_targetILNS1_3genE4ELNS1_11target_archE910ELNS1_3gpuE8ELNS1_3repE0EEENS1_30default_config_static_selectorELNS0_4arch9wavefront6targetE0EEEvSZ_.has_dyn_sized_stack, 0
	.set _ZN7rocprim17ROCPRIM_400000_NS6detail17trampoline_kernelINS0_13select_configILj256ELj13ELNS0_17block_load_methodE3ELS4_3ELS4_3ELNS0_20block_scan_algorithmE0ELj4294967295EEENS1_25partition_config_selectorILNS1_17partition_subalgoE3EjNS0_10empty_typeEbEEZZNS1_14partition_implILS8_3ELb0ES6_jNS0_17counting_iteratorIjlEEPS9_SE_NS0_5tupleIJPjSE_EEENSF_IJSE_SE_EEES9_SG_JZNS1_25segmented_radix_sort_implINS0_14default_configELb1EPK12hip_bfloat16PSL_PKlPlN2at6native12_GLOBAL__N_18offset_tEEE10hipError_tPvRmT1_PNSt15iterator_traitsISZ_E10value_typeET2_T3_PNS10_IS15_E10value_typeET4_jRbjT5_S1B_jjP12ihipStream_tbEUljE_EEESW_SX_SY_S15_S19_S1B_T6_T7_T9_mT8_S1D_bDpT10_ENKUlT_T0_E_clISt17integral_constantIbLb0EES1Q_EEDaS1L_S1M_EUlS1L_E_NS1_11comp_targetILNS1_3genE4ELNS1_11target_archE910ELNS1_3gpuE8ELNS1_3repE0EEENS1_30default_config_static_selectorELNS0_4arch9wavefront6targetE0EEEvSZ_.has_recursion, 0
	.set _ZN7rocprim17ROCPRIM_400000_NS6detail17trampoline_kernelINS0_13select_configILj256ELj13ELNS0_17block_load_methodE3ELS4_3ELS4_3ELNS0_20block_scan_algorithmE0ELj4294967295EEENS1_25partition_config_selectorILNS1_17partition_subalgoE3EjNS0_10empty_typeEbEEZZNS1_14partition_implILS8_3ELb0ES6_jNS0_17counting_iteratorIjlEEPS9_SE_NS0_5tupleIJPjSE_EEENSF_IJSE_SE_EEES9_SG_JZNS1_25segmented_radix_sort_implINS0_14default_configELb1EPK12hip_bfloat16PSL_PKlPlN2at6native12_GLOBAL__N_18offset_tEEE10hipError_tPvRmT1_PNSt15iterator_traitsISZ_E10value_typeET2_T3_PNS10_IS15_E10value_typeET4_jRbjT5_S1B_jjP12ihipStream_tbEUljE_EEESW_SX_SY_S15_S19_S1B_T6_T7_T9_mT8_S1D_bDpT10_ENKUlT_T0_E_clISt17integral_constantIbLb0EES1Q_EEDaS1L_S1M_EUlS1L_E_NS1_11comp_targetILNS1_3genE4ELNS1_11target_archE910ELNS1_3gpuE8ELNS1_3repE0EEENS1_30default_config_static_selectorELNS0_4arch9wavefront6targetE0EEEvSZ_.has_indirect_call, 0
	.section	.AMDGPU.csdata,"",@progbits
; Kernel info:
; codeLenInByte = 0
; TotalNumSgprs: 0
; NumVgprs: 0
; ScratchSize: 0
; MemoryBound: 0
; FloatMode: 240
; IeeeMode: 1
; LDSByteSize: 0 bytes/workgroup (compile time only)
; SGPRBlocks: 0
; VGPRBlocks: 0
; NumSGPRsForWavesPerEU: 1
; NumVGPRsForWavesPerEU: 1
; Occupancy: 16
; WaveLimiterHint : 0
; COMPUTE_PGM_RSRC2:SCRATCH_EN: 0
; COMPUTE_PGM_RSRC2:USER_SGPR: 2
; COMPUTE_PGM_RSRC2:TRAP_HANDLER: 0
; COMPUTE_PGM_RSRC2:TGID_X_EN: 1
; COMPUTE_PGM_RSRC2:TGID_Y_EN: 0
; COMPUTE_PGM_RSRC2:TGID_Z_EN: 0
; COMPUTE_PGM_RSRC2:TIDIG_COMP_CNT: 0
	.section	.text._ZN7rocprim17ROCPRIM_400000_NS6detail17trampoline_kernelINS0_13select_configILj256ELj13ELNS0_17block_load_methodE3ELS4_3ELS4_3ELNS0_20block_scan_algorithmE0ELj4294967295EEENS1_25partition_config_selectorILNS1_17partition_subalgoE3EjNS0_10empty_typeEbEEZZNS1_14partition_implILS8_3ELb0ES6_jNS0_17counting_iteratorIjlEEPS9_SE_NS0_5tupleIJPjSE_EEENSF_IJSE_SE_EEES9_SG_JZNS1_25segmented_radix_sort_implINS0_14default_configELb1EPK12hip_bfloat16PSL_PKlPlN2at6native12_GLOBAL__N_18offset_tEEE10hipError_tPvRmT1_PNSt15iterator_traitsISZ_E10value_typeET2_T3_PNS10_IS15_E10value_typeET4_jRbjT5_S1B_jjP12ihipStream_tbEUljE_EEESW_SX_SY_S15_S19_S1B_T6_T7_T9_mT8_S1D_bDpT10_ENKUlT_T0_E_clISt17integral_constantIbLb0EES1Q_EEDaS1L_S1M_EUlS1L_E_NS1_11comp_targetILNS1_3genE3ELNS1_11target_archE908ELNS1_3gpuE7ELNS1_3repE0EEENS1_30default_config_static_selectorELNS0_4arch9wavefront6targetE0EEEvSZ_,"axG",@progbits,_ZN7rocprim17ROCPRIM_400000_NS6detail17trampoline_kernelINS0_13select_configILj256ELj13ELNS0_17block_load_methodE3ELS4_3ELS4_3ELNS0_20block_scan_algorithmE0ELj4294967295EEENS1_25partition_config_selectorILNS1_17partition_subalgoE3EjNS0_10empty_typeEbEEZZNS1_14partition_implILS8_3ELb0ES6_jNS0_17counting_iteratorIjlEEPS9_SE_NS0_5tupleIJPjSE_EEENSF_IJSE_SE_EEES9_SG_JZNS1_25segmented_radix_sort_implINS0_14default_configELb1EPK12hip_bfloat16PSL_PKlPlN2at6native12_GLOBAL__N_18offset_tEEE10hipError_tPvRmT1_PNSt15iterator_traitsISZ_E10value_typeET2_T3_PNS10_IS15_E10value_typeET4_jRbjT5_S1B_jjP12ihipStream_tbEUljE_EEESW_SX_SY_S15_S19_S1B_T6_T7_T9_mT8_S1D_bDpT10_ENKUlT_T0_E_clISt17integral_constantIbLb0EES1Q_EEDaS1L_S1M_EUlS1L_E_NS1_11comp_targetILNS1_3genE3ELNS1_11target_archE908ELNS1_3gpuE7ELNS1_3repE0EEENS1_30default_config_static_selectorELNS0_4arch9wavefront6targetE0EEEvSZ_,comdat
	.globl	_ZN7rocprim17ROCPRIM_400000_NS6detail17trampoline_kernelINS0_13select_configILj256ELj13ELNS0_17block_load_methodE3ELS4_3ELS4_3ELNS0_20block_scan_algorithmE0ELj4294967295EEENS1_25partition_config_selectorILNS1_17partition_subalgoE3EjNS0_10empty_typeEbEEZZNS1_14partition_implILS8_3ELb0ES6_jNS0_17counting_iteratorIjlEEPS9_SE_NS0_5tupleIJPjSE_EEENSF_IJSE_SE_EEES9_SG_JZNS1_25segmented_radix_sort_implINS0_14default_configELb1EPK12hip_bfloat16PSL_PKlPlN2at6native12_GLOBAL__N_18offset_tEEE10hipError_tPvRmT1_PNSt15iterator_traitsISZ_E10value_typeET2_T3_PNS10_IS15_E10value_typeET4_jRbjT5_S1B_jjP12ihipStream_tbEUljE_EEESW_SX_SY_S15_S19_S1B_T6_T7_T9_mT8_S1D_bDpT10_ENKUlT_T0_E_clISt17integral_constantIbLb0EES1Q_EEDaS1L_S1M_EUlS1L_E_NS1_11comp_targetILNS1_3genE3ELNS1_11target_archE908ELNS1_3gpuE7ELNS1_3repE0EEENS1_30default_config_static_selectorELNS0_4arch9wavefront6targetE0EEEvSZ_ ; -- Begin function _ZN7rocprim17ROCPRIM_400000_NS6detail17trampoline_kernelINS0_13select_configILj256ELj13ELNS0_17block_load_methodE3ELS4_3ELS4_3ELNS0_20block_scan_algorithmE0ELj4294967295EEENS1_25partition_config_selectorILNS1_17partition_subalgoE3EjNS0_10empty_typeEbEEZZNS1_14partition_implILS8_3ELb0ES6_jNS0_17counting_iteratorIjlEEPS9_SE_NS0_5tupleIJPjSE_EEENSF_IJSE_SE_EEES9_SG_JZNS1_25segmented_radix_sort_implINS0_14default_configELb1EPK12hip_bfloat16PSL_PKlPlN2at6native12_GLOBAL__N_18offset_tEEE10hipError_tPvRmT1_PNSt15iterator_traitsISZ_E10value_typeET2_T3_PNS10_IS15_E10value_typeET4_jRbjT5_S1B_jjP12ihipStream_tbEUljE_EEESW_SX_SY_S15_S19_S1B_T6_T7_T9_mT8_S1D_bDpT10_ENKUlT_T0_E_clISt17integral_constantIbLb0EES1Q_EEDaS1L_S1M_EUlS1L_E_NS1_11comp_targetILNS1_3genE3ELNS1_11target_archE908ELNS1_3gpuE7ELNS1_3repE0EEENS1_30default_config_static_selectorELNS0_4arch9wavefront6targetE0EEEvSZ_
	.p2align	8
	.type	_ZN7rocprim17ROCPRIM_400000_NS6detail17trampoline_kernelINS0_13select_configILj256ELj13ELNS0_17block_load_methodE3ELS4_3ELS4_3ELNS0_20block_scan_algorithmE0ELj4294967295EEENS1_25partition_config_selectorILNS1_17partition_subalgoE3EjNS0_10empty_typeEbEEZZNS1_14partition_implILS8_3ELb0ES6_jNS0_17counting_iteratorIjlEEPS9_SE_NS0_5tupleIJPjSE_EEENSF_IJSE_SE_EEES9_SG_JZNS1_25segmented_radix_sort_implINS0_14default_configELb1EPK12hip_bfloat16PSL_PKlPlN2at6native12_GLOBAL__N_18offset_tEEE10hipError_tPvRmT1_PNSt15iterator_traitsISZ_E10value_typeET2_T3_PNS10_IS15_E10value_typeET4_jRbjT5_S1B_jjP12ihipStream_tbEUljE_EEESW_SX_SY_S15_S19_S1B_T6_T7_T9_mT8_S1D_bDpT10_ENKUlT_T0_E_clISt17integral_constantIbLb0EES1Q_EEDaS1L_S1M_EUlS1L_E_NS1_11comp_targetILNS1_3genE3ELNS1_11target_archE908ELNS1_3gpuE7ELNS1_3repE0EEENS1_30default_config_static_selectorELNS0_4arch9wavefront6targetE0EEEvSZ_,@function
_ZN7rocprim17ROCPRIM_400000_NS6detail17trampoline_kernelINS0_13select_configILj256ELj13ELNS0_17block_load_methodE3ELS4_3ELS4_3ELNS0_20block_scan_algorithmE0ELj4294967295EEENS1_25partition_config_selectorILNS1_17partition_subalgoE3EjNS0_10empty_typeEbEEZZNS1_14partition_implILS8_3ELb0ES6_jNS0_17counting_iteratorIjlEEPS9_SE_NS0_5tupleIJPjSE_EEENSF_IJSE_SE_EEES9_SG_JZNS1_25segmented_radix_sort_implINS0_14default_configELb1EPK12hip_bfloat16PSL_PKlPlN2at6native12_GLOBAL__N_18offset_tEEE10hipError_tPvRmT1_PNSt15iterator_traitsISZ_E10value_typeET2_T3_PNS10_IS15_E10value_typeET4_jRbjT5_S1B_jjP12ihipStream_tbEUljE_EEESW_SX_SY_S15_S19_S1B_T6_T7_T9_mT8_S1D_bDpT10_ENKUlT_T0_E_clISt17integral_constantIbLb0EES1Q_EEDaS1L_S1M_EUlS1L_E_NS1_11comp_targetILNS1_3genE3ELNS1_11target_archE908ELNS1_3gpuE7ELNS1_3repE0EEENS1_30default_config_static_selectorELNS0_4arch9wavefront6targetE0EEEvSZ_: ; @_ZN7rocprim17ROCPRIM_400000_NS6detail17trampoline_kernelINS0_13select_configILj256ELj13ELNS0_17block_load_methodE3ELS4_3ELS4_3ELNS0_20block_scan_algorithmE0ELj4294967295EEENS1_25partition_config_selectorILNS1_17partition_subalgoE3EjNS0_10empty_typeEbEEZZNS1_14partition_implILS8_3ELb0ES6_jNS0_17counting_iteratorIjlEEPS9_SE_NS0_5tupleIJPjSE_EEENSF_IJSE_SE_EEES9_SG_JZNS1_25segmented_radix_sort_implINS0_14default_configELb1EPK12hip_bfloat16PSL_PKlPlN2at6native12_GLOBAL__N_18offset_tEEE10hipError_tPvRmT1_PNSt15iterator_traitsISZ_E10value_typeET2_T3_PNS10_IS15_E10value_typeET4_jRbjT5_S1B_jjP12ihipStream_tbEUljE_EEESW_SX_SY_S15_S19_S1B_T6_T7_T9_mT8_S1D_bDpT10_ENKUlT_T0_E_clISt17integral_constantIbLb0EES1Q_EEDaS1L_S1M_EUlS1L_E_NS1_11comp_targetILNS1_3genE3ELNS1_11target_archE908ELNS1_3gpuE7ELNS1_3repE0EEENS1_30default_config_static_selectorELNS0_4arch9wavefront6targetE0EEEvSZ_
; %bb.0:
	.section	.rodata,"a",@progbits
	.p2align	6, 0x0
	.amdhsa_kernel _ZN7rocprim17ROCPRIM_400000_NS6detail17trampoline_kernelINS0_13select_configILj256ELj13ELNS0_17block_load_methodE3ELS4_3ELS4_3ELNS0_20block_scan_algorithmE0ELj4294967295EEENS1_25partition_config_selectorILNS1_17partition_subalgoE3EjNS0_10empty_typeEbEEZZNS1_14partition_implILS8_3ELb0ES6_jNS0_17counting_iteratorIjlEEPS9_SE_NS0_5tupleIJPjSE_EEENSF_IJSE_SE_EEES9_SG_JZNS1_25segmented_radix_sort_implINS0_14default_configELb1EPK12hip_bfloat16PSL_PKlPlN2at6native12_GLOBAL__N_18offset_tEEE10hipError_tPvRmT1_PNSt15iterator_traitsISZ_E10value_typeET2_T3_PNS10_IS15_E10value_typeET4_jRbjT5_S1B_jjP12ihipStream_tbEUljE_EEESW_SX_SY_S15_S19_S1B_T6_T7_T9_mT8_S1D_bDpT10_ENKUlT_T0_E_clISt17integral_constantIbLb0EES1Q_EEDaS1L_S1M_EUlS1L_E_NS1_11comp_targetILNS1_3genE3ELNS1_11target_archE908ELNS1_3gpuE7ELNS1_3repE0EEENS1_30default_config_static_selectorELNS0_4arch9wavefront6targetE0EEEvSZ_
		.amdhsa_group_segment_fixed_size 0
		.amdhsa_private_segment_fixed_size 0
		.amdhsa_kernarg_size 144
		.amdhsa_user_sgpr_count 2
		.amdhsa_user_sgpr_dispatch_ptr 0
		.amdhsa_user_sgpr_queue_ptr 0
		.amdhsa_user_sgpr_kernarg_segment_ptr 1
		.amdhsa_user_sgpr_dispatch_id 0
		.amdhsa_user_sgpr_private_segment_size 0
		.amdhsa_wavefront_size32 1
		.amdhsa_uses_dynamic_stack 0
		.amdhsa_enable_private_segment 0
		.amdhsa_system_sgpr_workgroup_id_x 1
		.amdhsa_system_sgpr_workgroup_id_y 0
		.amdhsa_system_sgpr_workgroup_id_z 0
		.amdhsa_system_sgpr_workgroup_info 0
		.amdhsa_system_vgpr_workitem_id 0
		.amdhsa_next_free_vgpr 1
		.amdhsa_next_free_sgpr 1
		.amdhsa_reserve_vcc 0
		.amdhsa_float_round_mode_32 0
		.amdhsa_float_round_mode_16_64 0
		.amdhsa_float_denorm_mode_32 3
		.amdhsa_float_denorm_mode_16_64 3
		.amdhsa_fp16_overflow 0
		.amdhsa_workgroup_processor_mode 1
		.amdhsa_memory_ordered 1
		.amdhsa_forward_progress 1
		.amdhsa_inst_pref_size 0
		.amdhsa_round_robin_scheduling 0
		.amdhsa_exception_fp_ieee_invalid_op 0
		.amdhsa_exception_fp_denorm_src 0
		.amdhsa_exception_fp_ieee_div_zero 0
		.amdhsa_exception_fp_ieee_overflow 0
		.amdhsa_exception_fp_ieee_underflow 0
		.amdhsa_exception_fp_ieee_inexact 0
		.amdhsa_exception_int_div_zero 0
	.end_amdhsa_kernel
	.section	.text._ZN7rocprim17ROCPRIM_400000_NS6detail17trampoline_kernelINS0_13select_configILj256ELj13ELNS0_17block_load_methodE3ELS4_3ELS4_3ELNS0_20block_scan_algorithmE0ELj4294967295EEENS1_25partition_config_selectorILNS1_17partition_subalgoE3EjNS0_10empty_typeEbEEZZNS1_14partition_implILS8_3ELb0ES6_jNS0_17counting_iteratorIjlEEPS9_SE_NS0_5tupleIJPjSE_EEENSF_IJSE_SE_EEES9_SG_JZNS1_25segmented_radix_sort_implINS0_14default_configELb1EPK12hip_bfloat16PSL_PKlPlN2at6native12_GLOBAL__N_18offset_tEEE10hipError_tPvRmT1_PNSt15iterator_traitsISZ_E10value_typeET2_T3_PNS10_IS15_E10value_typeET4_jRbjT5_S1B_jjP12ihipStream_tbEUljE_EEESW_SX_SY_S15_S19_S1B_T6_T7_T9_mT8_S1D_bDpT10_ENKUlT_T0_E_clISt17integral_constantIbLb0EES1Q_EEDaS1L_S1M_EUlS1L_E_NS1_11comp_targetILNS1_3genE3ELNS1_11target_archE908ELNS1_3gpuE7ELNS1_3repE0EEENS1_30default_config_static_selectorELNS0_4arch9wavefront6targetE0EEEvSZ_,"axG",@progbits,_ZN7rocprim17ROCPRIM_400000_NS6detail17trampoline_kernelINS0_13select_configILj256ELj13ELNS0_17block_load_methodE3ELS4_3ELS4_3ELNS0_20block_scan_algorithmE0ELj4294967295EEENS1_25partition_config_selectorILNS1_17partition_subalgoE3EjNS0_10empty_typeEbEEZZNS1_14partition_implILS8_3ELb0ES6_jNS0_17counting_iteratorIjlEEPS9_SE_NS0_5tupleIJPjSE_EEENSF_IJSE_SE_EEES9_SG_JZNS1_25segmented_radix_sort_implINS0_14default_configELb1EPK12hip_bfloat16PSL_PKlPlN2at6native12_GLOBAL__N_18offset_tEEE10hipError_tPvRmT1_PNSt15iterator_traitsISZ_E10value_typeET2_T3_PNS10_IS15_E10value_typeET4_jRbjT5_S1B_jjP12ihipStream_tbEUljE_EEESW_SX_SY_S15_S19_S1B_T6_T7_T9_mT8_S1D_bDpT10_ENKUlT_T0_E_clISt17integral_constantIbLb0EES1Q_EEDaS1L_S1M_EUlS1L_E_NS1_11comp_targetILNS1_3genE3ELNS1_11target_archE908ELNS1_3gpuE7ELNS1_3repE0EEENS1_30default_config_static_selectorELNS0_4arch9wavefront6targetE0EEEvSZ_,comdat
.Lfunc_end1917:
	.size	_ZN7rocprim17ROCPRIM_400000_NS6detail17trampoline_kernelINS0_13select_configILj256ELj13ELNS0_17block_load_methodE3ELS4_3ELS4_3ELNS0_20block_scan_algorithmE0ELj4294967295EEENS1_25partition_config_selectorILNS1_17partition_subalgoE3EjNS0_10empty_typeEbEEZZNS1_14partition_implILS8_3ELb0ES6_jNS0_17counting_iteratorIjlEEPS9_SE_NS0_5tupleIJPjSE_EEENSF_IJSE_SE_EEES9_SG_JZNS1_25segmented_radix_sort_implINS0_14default_configELb1EPK12hip_bfloat16PSL_PKlPlN2at6native12_GLOBAL__N_18offset_tEEE10hipError_tPvRmT1_PNSt15iterator_traitsISZ_E10value_typeET2_T3_PNS10_IS15_E10value_typeET4_jRbjT5_S1B_jjP12ihipStream_tbEUljE_EEESW_SX_SY_S15_S19_S1B_T6_T7_T9_mT8_S1D_bDpT10_ENKUlT_T0_E_clISt17integral_constantIbLb0EES1Q_EEDaS1L_S1M_EUlS1L_E_NS1_11comp_targetILNS1_3genE3ELNS1_11target_archE908ELNS1_3gpuE7ELNS1_3repE0EEENS1_30default_config_static_selectorELNS0_4arch9wavefront6targetE0EEEvSZ_, .Lfunc_end1917-_ZN7rocprim17ROCPRIM_400000_NS6detail17trampoline_kernelINS0_13select_configILj256ELj13ELNS0_17block_load_methodE3ELS4_3ELS4_3ELNS0_20block_scan_algorithmE0ELj4294967295EEENS1_25partition_config_selectorILNS1_17partition_subalgoE3EjNS0_10empty_typeEbEEZZNS1_14partition_implILS8_3ELb0ES6_jNS0_17counting_iteratorIjlEEPS9_SE_NS0_5tupleIJPjSE_EEENSF_IJSE_SE_EEES9_SG_JZNS1_25segmented_radix_sort_implINS0_14default_configELb1EPK12hip_bfloat16PSL_PKlPlN2at6native12_GLOBAL__N_18offset_tEEE10hipError_tPvRmT1_PNSt15iterator_traitsISZ_E10value_typeET2_T3_PNS10_IS15_E10value_typeET4_jRbjT5_S1B_jjP12ihipStream_tbEUljE_EEESW_SX_SY_S15_S19_S1B_T6_T7_T9_mT8_S1D_bDpT10_ENKUlT_T0_E_clISt17integral_constantIbLb0EES1Q_EEDaS1L_S1M_EUlS1L_E_NS1_11comp_targetILNS1_3genE3ELNS1_11target_archE908ELNS1_3gpuE7ELNS1_3repE0EEENS1_30default_config_static_selectorELNS0_4arch9wavefront6targetE0EEEvSZ_
                                        ; -- End function
	.set _ZN7rocprim17ROCPRIM_400000_NS6detail17trampoline_kernelINS0_13select_configILj256ELj13ELNS0_17block_load_methodE3ELS4_3ELS4_3ELNS0_20block_scan_algorithmE0ELj4294967295EEENS1_25partition_config_selectorILNS1_17partition_subalgoE3EjNS0_10empty_typeEbEEZZNS1_14partition_implILS8_3ELb0ES6_jNS0_17counting_iteratorIjlEEPS9_SE_NS0_5tupleIJPjSE_EEENSF_IJSE_SE_EEES9_SG_JZNS1_25segmented_radix_sort_implINS0_14default_configELb1EPK12hip_bfloat16PSL_PKlPlN2at6native12_GLOBAL__N_18offset_tEEE10hipError_tPvRmT1_PNSt15iterator_traitsISZ_E10value_typeET2_T3_PNS10_IS15_E10value_typeET4_jRbjT5_S1B_jjP12ihipStream_tbEUljE_EEESW_SX_SY_S15_S19_S1B_T6_T7_T9_mT8_S1D_bDpT10_ENKUlT_T0_E_clISt17integral_constantIbLb0EES1Q_EEDaS1L_S1M_EUlS1L_E_NS1_11comp_targetILNS1_3genE3ELNS1_11target_archE908ELNS1_3gpuE7ELNS1_3repE0EEENS1_30default_config_static_selectorELNS0_4arch9wavefront6targetE0EEEvSZ_.num_vgpr, 0
	.set _ZN7rocprim17ROCPRIM_400000_NS6detail17trampoline_kernelINS0_13select_configILj256ELj13ELNS0_17block_load_methodE3ELS4_3ELS4_3ELNS0_20block_scan_algorithmE0ELj4294967295EEENS1_25partition_config_selectorILNS1_17partition_subalgoE3EjNS0_10empty_typeEbEEZZNS1_14partition_implILS8_3ELb0ES6_jNS0_17counting_iteratorIjlEEPS9_SE_NS0_5tupleIJPjSE_EEENSF_IJSE_SE_EEES9_SG_JZNS1_25segmented_radix_sort_implINS0_14default_configELb1EPK12hip_bfloat16PSL_PKlPlN2at6native12_GLOBAL__N_18offset_tEEE10hipError_tPvRmT1_PNSt15iterator_traitsISZ_E10value_typeET2_T3_PNS10_IS15_E10value_typeET4_jRbjT5_S1B_jjP12ihipStream_tbEUljE_EEESW_SX_SY_S15_S19_S1B_T6_T7_T9_mT8_S1D_bDpT10_ENKUlT_T0_E_clISt17integral_constantIbLb0EES1Q_EEDaS1L_S1M_EUlS1L_E_NS1_11comp_targetILNS1_3genE3ELNS1_11target_archE908ELNS1_3gpuE7ELNS1_3repE0EEENS1_30default_config_static_selectorELNS0_4arch9wavefront6targetE0EEEvSZ_.num_agpr, 0
	.set _ZN7rocprim17ROCPRIM_400000_NS6detail17trampoline_kernelINS0_13select_configILj256ELj13ELNS0_17block_load_methodE3ELS4_3ELS4_3ELNS0_20block_scan_algorithmE0ELj4294967295EEENS1_25partition_config_selectorILNS1_17partition_subalgoE3EjNS0_10empty_typeEbEEZZNS1_14partition_implILS8_3ELb0ES6_jNS0_17counting_iteratorIjlEEPS9_SE_NS0_5tupleIJPjSE_EEENSF_IJSE_SE_EEES9_SG_JZNS1_25segmented_radix_sort_implINS0_14default_configELb1EPK12hip_bfloat16PSL_PKlPlN2at6native12_GLOBAL__N_18offset_tEEE10hipError_tPvRmT1_PNSt15iterator_traitsISZ_E10value_typeET2_T3_PNS10_IS15_E10value_typeET4_jRbjT5_S1B_jjP12ihipStream_tbEUljE_EEESW_SX_SY_S15_S19_S1B_T6_T7_T9_mT8_S1D_bDpT10_ENKUlT_T0_E_clISt17integral_constantIbLb0EES1Q_EEDaS1L_S1M_EUlS1L_E_NS1_11comp_targetILNS1_3genE3ELNS1_11target_archE908ELNS1_3gpuE7ELNS1_3repE0EEENS1_30default_config_static_selectorELNS0_4arch9wavefront6targetE0EEEvSZ_.numbered_sgpr, 0
	.set _ZN7rocprim17ROCPRIM_400000_NS6detail17trampoline_kernelINS0_13select_configILj256ELj13ELNS0_17block_load_methodE3ELS4_3ELS4_3ELNS0_20block_scan_algorithmE0ELj4294967295EEENS1_25partition_config_selectorILNS1_17partition_subalgoE3EjNS0_10empty_typeEbEEZZNS1_14partition_implILS8_3ELb0ES6_jNS0_17counting_iteratorIjlEEPS9_SE_NS0_5tupleIJPjSE_EEENSF_IJSE_SE_EEES9_SG_JZNS1_25segmented_radix_sort_implINS0_14default_configELb1EPK12hip_bfloat16PSL_PKlPlN2at6native12_GLOBAL__N_18offset_tEEE10hipError_tPvRmT1_PNSt15iterator_traitsISZ_E10value_typeET2_T3_PNS10_IS15_E10value_typeET4_jRbjT5_S1B_jjP12ihipStream_tbEUljE_EEESW_SX_SY_S15_S19_S1B_T6_T7_T9_mT8_S1D_bDpT10_ENKUlT_T0_E_clISt17integral_constantIbLb0EES1Q_EEDaS1L_S1M_EUlS1L_E_NS1_11comp_targetILNS1_3genE3ELNS1_11target_archE908ELNS1_3gpuE7ELNS1_3repE0EEENS1_30default_config_static_selectorELNS0_4arch9wavefront6targetE0EEEvSZ_.num_named_barrier, 0
	.set _ZN7rocprim17ROCPRIM_400000_NS6detail17trampoline_kernelINS0_13select_configILj256ELj13ELNS0_17block_load_methodE3ELS4_3ELS4_3ELNS0_20block_scan_algorithmE0ELj4294967295EEENS1_25partition_config_selectorILNS1_17partition_subalgoE3EjNS0_10empty_typeEbEEZZNS1_14partition_implILS8_3ELb0ES6_jNS0_17counting_iteratorIjlEEPS9_SE_NS0_5tupleIJPjSE_EEENSF_IJSE_SE_EEES9_SG_JZNS1_25segmented_radix_sort_implINS0_14default_configELb1EPK12hip_bfloat16PSL_PKlPlN2at6native12_GLOBAL__N_18offset_tEEE10hipError_tPvRmT1_PNSt15iterator_traitsISZ_E10value_typeET2_T3_PNS10_IS15_E10value_typeET4_jRbjT5_S1B_jjP12ihipStream_tbEUljE_EEESW_SX_SY_S15_S19_S1B_T6_T7_T9_mT8_S1D_bDpT10_ENKUlT_T0_E_clISt17integral_constantIbLb0EES1Q_EEDaS1L_S1M_EUlS1L_E_NS1_11comp_targetILNS1_3genE3ELNS1_11target_archE908ELNS1_3gpuE7ELNS1_3repE0EEENS1_30default_config_static_selectorELNS0_4arch9wavefront6targetE0EEEvSZ_.private_seg_size, 0
	.set _ZN7rocprim17ROCPRIM_400000_NS6detail17trampoline_kernelINS0_13select_configILj256ELj13ELNS0_17block_load_methodE3ELS4_3ELS4_3ELNS0_20block_scan_algorithmE0ELj4294967295EEENS1_25partition_config_selectorILNS1_17partition_subalgoE3EjNS0_10empty_typeEbEEZZNS1_14partition_implILS8_3ELb0ES6_jNS0_17counting_iteratorIjlEEPS9_SE_NS0_5tupleIJPjSE_EEENSF_IJSE_SE_EEES9_SG_JZNS1_25segmented_radix_sort_implINS0_14default_configELb1EPK12hip_bfloat16PSL_PKlPlN2at6native12_GLOBAL__N_18offset_tEEE10hipError_tPvRmT1_PNSt15iterator_traitsISZ_E10value_typeET2_T3_PNS10_IS15_E10value_typeET4_jRbjT5_S1B_jjP12ihipStream_tbEUljE_EEESW_SX_SY_S15_S19_S1B_T6_T7_T9_mT8_S1D_bDpT10_ENKUlT_T0_E_clISt17integral_constantIbLb0EES1Q_EEDaS1L_S1M_EUlS1L_E_NS1_11comp_targetILNS1_3genE3ELNS1_11target_archE908ELNS1_3gpuE7ELNS1_3repE0EEENS1_30default_config_static_selectorELNS0_4arch9wavefront6targetE0EEEvSZ_.uses_vcc, 0
	.set _ZN7rocprim17ROCPRIM_400000_NS6detail17trampoline_kernelINS0_13select_configILj256ELj13ELNS0_17block_load_methodE3ELS4_3ELS4_3ELNS0_20block_scan_algorithmE0ELj4294967295EEENS1_25partition_config_selectorILNS1_17partition_subalgoE3EjNS0_10empty_typeEbEEZZNS1_14partition_implILS8_3ELb0ES6_jNS0_17counting_iteratorIjlEEPS9_SE_NS0_5tupleIJPjSE_EEENSF_IJSE_SE_EEES9_SG_JZNS1_25segmented_radix_sort_implINS0_14default_configELb1EPK12hip_bfloat16PSL_PKlPlN2at6native12_GLOBAL__N_18offset_tEEE10hipError_tPvRmT1_PNSt15iterator_traitsISZ_E10value_typeET2_T3_PNS10_IS15_E10value_typeET4_jRbjT5_S1B_jjP12ihipStream_tbEUljE_EEESW_SX_SY_S15_S19_S1B_T6_T7_T9_mT8_S1D_bDpT10_ENKUlT_T0_E_clISt17integral_constantIbLb0EES1Q_EEDaS1L_S1M_EUlS1L_E_NS1_11comp_targetILNS1_3genE3ELNS1_11target_archE908ELNS1_3gpuE7ELNS1_3repE0EEENS1_30default_config_static_selectorELNS0_4arch9wavefront6targetE0EEEvSZ_.uses_flat_scratch, 0
	.set _ZN7rocprim17ROCPRIM_400000_NS6detail17trampoline_kernelINS0_13select_configILj256ELj13ELNS0_17block_load_methodE3ELS4_3ELS4_3ELNS0_20block_scan_algorithmE0ELj4294967295EEENS1_25partition_config_selectorILNS1_17partition_subalgoE3EjNS0_10empty_typeEbEEZZNS1_14partition_implILS8_3ELb0ES6_jNS0_17counting_iteratorIjlEEPS9_SE_NS0_5tupleIJPjSE_EEENSF_IJSE_SE_EEES9_SG_JZNS1_25segmented_radix_sort_implINS0_14default_configELb1EPK12hip_bfloat16PSL_PKlPlN2at6native12_GLOBAL__N_18offset_tEEE10hipError_tPvRmT1_PNSt15iterator_traitsISZ_E10value_typeET2_T3_PNS10_IS15_E10value_typeET4_jRbjT5_S1B_jjP12ihipStream_tbEUljE_EEESW_SX_SY_S15_S19_S1B_T6_T7_T9_mT8_S1D_bDpT10_ENKUlT_T0_E_clISt17integral_constantIbLb0EES1Q_EEDaS1L_S1M_EUlS1L_E_NS1_11comp_targetILNS1_3genE3ELNS1_11target_archE908ELNS1_3gpuE7ELNS1_3repE0EEENS1_30default_config_static_selectorELNS0_4arch9wavefront6targetE0EEEvSZ_.has_dyn_sized_stack, 0
	.set _ZN7rocprim17ROCPRIM_400000_NS6detail17trampoline_kernelINS0_13select_configILj256ELj13ELNS0_17block_load_methodE3ELS4_3ELS4_3ELNS0_20block_scan_algorithmE0ELj4294967295EEENS1_25partition_config_selectorILNS1_17partition_subalgoE3EjNS0_10empty_typeEbEEZZNS1_14partition_implILS8_3ELb0ES6_jNS0_17counting_iteratorIjlEEPS9_SE_NS0_5tupleIJPjSE_EEENSF_IJSE_SE_EEES9_SG_JZNS1_25segmented_radix_sort_implINS0_14default_configELb1EPK12hip_bfloat16PSL_PKlPlN2at6native12_GLOBAL__N_18offset_tEEE10hipError_tPvRmT1_PNSt15iterator_traitsISZ_E10value_typeET2_T3_PNS10_IS15_E10value_typeET4_jRbjT5_S1B_jjP12ihipStream_tbEUljE_EEESW_SX_SY_S15_S19_S1B_T6_T7_T9_mT8_S1D_bDpT10_ENKUlT_T0_E_clISt17integral_constantIbLb0EES1Q_EEDaS1L_S1M_EUlS1L_E_NS1_11comp_targetILNS1_3genE3ELNS1_11target_archE908ELNS1_3gpuE7ELNS1_3repE0EEENS1_30default_config_static_selectorELNS0_4arch9wavefront6targetE0EEEvSZ_.has_recursion, 0
	.set _ZN7rocprim17ROCPRIM_400000_NS6detail17trampoline_kernelINS0_13select_configILj256ELj13ELNS0_17block_load_methodE3ELS4_3ELS4_3ELNS0_20block_scan_algorithmE0ELj4294967295EEENS1_25partition_config_selectorILNS1_17partition_subalgoE3EjNS0_10empty_typeEbEEZZNS1_14partition_implILS8_3ELb0ES6_jNS0_17counting_iteratorIjlEEPS9_SE_NS0_5tupleIJPjSE_EEENSF_IJSE_SE_EEES9_SG_JZNS1_25segmented_radix_sort_implINS0_14default_configELb1EPK12hip_bfloat16PSL_PKlPlN2at6native12_GLOBAL__N_18offset_tEEE10hipError_tPvRmT1_PNSt15iterator_traitsISZ_E10value_typeET2_T3_PNS10_IS15_E10value_typeET4_jRbjT5_S1B_jjP12ihipStream_tbEUljE_EEESW_SX_SY_S15_S19_S1B_T6_T7_T9_mT8_S1D_bDpT10_ENKUlT_T0_E_clISt17integral_constantIbLb0EES1Q_EEDaS1L_S1M_EUlS1L_E_NS1_11comp_targetILNS1_3genE3ELNS1_11target_archE908ELNS1_3gpuE7ELNS1_3repE0EEENS1_30default_config_static_selectorELNS0_4arch9wavefront6targetE0EEEvSZ_.has_indirect_call, 0
	.section	.AMDGPU.csdata,"",@progbits
; Kernel info:
; codeLenInByte = 0
; TotalNumSgprs: 0
; NumVgprs: 0
; ScratchSize: 0
; MemoryBound: 0
; FloatMode: 240
; IeeeMode: 1
; LDSByteSize: 0 bytes/workgroup (compile time only)
; SGPRBlocks: 0
; VGPRBlocks: 0
; NumSGPRsForWavesPerEU: 1
; NumVGPRsForWavesPerEU: 1
; Occupancy: 16
; WaveLimiterHint : 0
; COMPUTE_PGM_RSRC2:SCRATCH_EN: 0
; COMPUTE_PGM_RSRC2:USER_SGPR: 2
; COMPUTE_PGM_RSRC2:TRAP_HANDLER: 0
; COMPUTE_PGM_RSRC2:TGID_X_EN: 1
; COMPUTE_PGM_RSRC2:TGID_Y_EN: 0
; COMPUTE_PGM_RSRC2:TGID_Z_EN: 0
; COMPUTE_PGM_RSRC2:TIDIG_COMP_CNT: 0
	.section	.text._ZN7rocprim17ROCPRIM_400000_NS6detail17trampoline_kernelINS0_13select_configILj256ELj13ELNS0_17block_load_methodE3ELS4_3ELS4_3ELNS0_20block_scan_algorithmE0ELj4294967295EEENS1_25partition_config_selectorILNS1_17partition_subalgoE3EjNS0_10empty_typeEbEEZZNS1_14partition_implILS8_3ELb0ES6_jNS0_17counting_iteratorIjlEEPS9_SE_NS0_5tupleIJPjSE_EEENSF_IJSE_SE_EEES9_SG_JZNS1_25segmented_radix_sort_implINS0_14default_configELb1EPK12hip_bfloat16PSL_PKlPlN2at6native12_GLOBAL__N_18offset_tEEE10hipError_tPvRmT1_PNSt15iterator_traitsISZ_E10value_typeET2_T3_PNS10_IS15_E10value_typeET4_jRbjT5_S1B_jjP12ihipStream_tbEUljE_EEESW_SX_SY_S15_S19_S1B_T6_T7_T9_mT8_S1D_bDpT10_ENKUlT_T0_E_clISt17integral_constantIbLb0EES1Q_EEDaS1L_S1M_EUlS1L_E_NS1_11comp_targetILNS1_3genE2ELNS1_11target_archE906ELNS1_3gpuE6ELNS1_3repE0EEENS1_30default_config_static_selectorELNS0_4arch9wavefront6targetE0EEEvSZ_,"axG",@progbits,_ZN7rocprim17ROCPRIM_400000_NS6detail17trampoline_kernelINS0_13select_configILj256ELj13ELNS0_17block_load_methodE3ELS4_3ELS4_3ELNS0_20block_scan_algorithmE0ELj4294967295EEENS1_25partition_config_selectorILNS1_17partition_subalgoE3EjNS0_10empty_typeEbEEZZNS1_14partition_implILS8_3ELb0ES6_jNS0_17counting_iteratorIjlEEPS9_SE_NS0_5tupleIJPjSE_EEENSF_IJSE_SE_EEES9_SG_JZNS1_25segmented_radix_sort_implINS0_14default_configELb1EPK12hip_bfloat16PSL_PKlPlN2at6native12_GLOBAL__N_18offset_tEEE10hipError_tPvRmT1_PNSt15iterator_traitsISZ_E10value_typeET2_T3_PNS10_IS15_E10value_typeET4_jRbjT5_S1B_jjP12ihipStream_tbEUljE_EEESW_SX_SY_S15_S19_S1B_T6_T7_T9_mT8_S1D_bDpT10_ENKUlT_T0_E_clISt17integral_constantIbLb0EES1Q_EEDaS1L_S1M_EUlS1L_E_NS1_11comp_targetILNS1_3genE2ELNS1_11target_archE906ELNS1_3gpuE6ELNS1_3repE0EEENS1_30default_config_static_selectorELNS0_4arch9wavefront6targetE0EEEvSZ_,comdat
	.globl	_ZN7rocprim17ROCPRIM_400000_NS6detail17trampoline_kernelINS0_13select_configILj256ELj13ELNS0_17block_load_methodE3ELS4_3ELS4_3ELNS0_20block_scan_algorithmE0ELj4294967295EEENS1_25partition_config_selectorILNS1_17partition_subalgoE3EjNS0_10empty_typeEbEEZZNS1_14partition_implILS8_3ELb0ES6_jNS0_17counting_iteratorIjlEEPS9_SE_NS0_5tupleIJPjSE_EEENSF_IJSE_SE_EEES9_SG_JZNS1_25segmented_radix_sort_implINS0_14default_configELb1EPK12hip_bfloat16PSL_PKlPlN2at6native12_GLOBAL__N_18offset_tEEE10hipError_tPvRmT1_PNSt15iterator_traitsISZ_E10value_typeET2_T3_PNS10_IS15_E10value_typeET4_jRbjT5_S1B_jjP12ihipStream_tbEUljE_EEESW_SX_SY_S15_S19_S1B_T6_T7_T9_mT8_S1D_bDpT10_ENKUlT_T0_E_clISt17integral_constantIbLb0EES1Q_EEDaS1L_S1M_EUlS1L_E_NS1_11comp_targetILNS1_3genE2ELNS1_11target_archE906ELNS1_3gpuE6ELNS1_3repE0EEENS1_30default_config_static_selectorELNS0_4arch9wavefront6targetE0EEEvSZ_ ; -- Begin function _ZN7rocprim17ROCPRIM_400000_NS6detail17trampoline_kernelINS0_13select_configILj256ELj13ELNS0_17block_load_methodE3ELS4_3ELS4_3ELNS0_20block_scan_algorithmE0ELj4294967295EEENS1_25partition_config_selectorILNS1_17partition_subalgoE3EjNS0_10empty_typeEbEEZZNS1_14partition_implILS8_3ELb0ES6_jNS0_17counting_iteratorIjlEEPS9_SE_NS0_5tupleIJPjSE_EEENSF_IJSE_SE_EEES9_SG_JZNS1_25segmented_radix_sort_implINS0_14default_configELb1EPK12hip_bfloat16PSL_PKlPlN2at6native12_GLOBAL__N_18offset_tEEE10hipError_tPvRmT1_PNSt15iterator_traitsISZ_E10value_typeET2_T3_PNS10_IS15_E10value_typeET4_jRbjT5_S1B_jjP12ihipStream_tbEUljE_EEESW_SX_SY_S15_S19_S1B_T6_T7_T9_mT8_S1D_bDpT10_ENKUlT_T0_E_clISt17integral_constantIbLb0EES1Q_EEDaS1L_S1M_EUlS1L_E_NS1_11comp_targetILNS1_3genE2ELNS1_11target_archE906ELNS1_3gpuE6ELNS1_3repE0EEENS1_30default_config_static_selectorELNS0_4arch9wavefront6targetE0EEEvSZ_
	.p2align	8
	.type	_ZN7rocprim17ROCPRIM_400000_NS6detail17trampoline_kernelINS0_13select_configILj256ELj13ELNS0_17block_load_methodE3ELS4_3ELS4_3ELNS0_20block_scan_algorithmE0ELj4294967295EEENS1_25partition_config_selectorILNS1_17partition_subalgoE3EjNS0_10empty_typeEbEEZZNS1_14partition_implILS8_3ELb0ES6_jNS0_17counting_iteratorIjlEEPS9_SE_NS0_5tupleIJPjSE_EEENSF_IJSE_SE_EEES9_SG_JZNS1_25segmented_radix_sort_implINS0_14default_configELb1EPK12hip_bfloat16PSL_PKlPlN2at6native12_GLOBAL__N_18offset_tEEE10hipError_tPvRmT1_PNSt15iterator_traitsISZ_E10value_typeET2_T3_PNS10_IS15_E10value_typeET4_jRbjT5_S1B_jjP12ihipStream_tbEUljE_EEESW_SX_SY_S15_S19_S1B_T6_T7_T9_mT8_S1D_bDpT10_ENKUlT_T0_E_clISt17integral_constantIbLb0EES1Q_EEDaS1L_S1M_EUlS1L_E_NS1_11comp_targetILNS1_3genE2ELNS1_11target_archE906ELNS1_3gpuE6ELNS1_3repE0EEENS1_30default_config_static_selectorELNS0_4arch9wavefront6targetE0EEEvSZ_,@function
_ZN7rocprim17ROCPRIM_400000_NS6detail17trampoline_kernelINS0_13select_configILj256ELj13ELNS0_17block_load_methodE3ELS4_3ELS4_3ELNS0_20block_scan_algorithmE0ELj4294967295EEENS1_25partition_config_selectorILNS1_17partition_subalgoE3EjNS0_10empty_typeEbEEZZNS1_14partition_implILS8_3ELb0ES6_jNS0_17counting_iteratorIjlEEPS9_SE_NS0_5tupleIJPjSE_EEENSF_IJSE_SE_EEES9_SG_JZNS1_25segmented_radix_sort_implINS0_14default_configELb1EPK12hip_bfloat16PSL_PKlPlN2at6native12_GLOBAL__N_18offset_tEEE10hipError_tPvRmT1_PNSt15iterator_traitsISZ_E10value_typeET2_T3_PNS10_IS15_E10value_typeET4_jRbjT5_S1B_jjP12ihipStream_tbEUljE_EEESW_SX_SY_S15_S19_S1B_T6_T7_T9_mT8_S1D_bDpT10_ENKUlT_T0_E_clISt17integral_constantIbLb0EES1Q_EEDaS1L_S1M_EUlS1L_E_NS1_11comp_targetILNS1_3genE2ELNS1_11target_archE906ELNS1_3gpuE6ELNS1_3repE0EEENS1_30default_config_static_selectorELNS0_4arch9wavefront6targetE0EEEvSZ_: ; @_ZN7rocprim17ROCPRIM_400000_NS6detail17trampoline_kernelINS0_13select_configILj256ELj13ELNS0_17block_load_methodE3ELS4_3ELS4_3ELNS0_20block_scan_algorithmE0ELj4294967295EEENS1_25partition_config_selectorILNS1_17partition_subalgoE3EjNS0_10empty_typeEbEEZZNS1_14partition_implILS8_3ELb0ES6_jNS0_17counting_iteratorIjlEEPS9_SE_NS0_5tupleIJPjSE_EEENSF_IJSE_SE_EEES9_SG_JZNS1_25segmented_radix_sort_implINS0_14default_configELb1EPK12hip_bfloat16PSL_PKlPlN2at6native12_GLOBAL__N_18offset_tEEE10hipError_tPvRmT1_PNSt15iterator_traitsISZ_E10value_typeET2_T3_PNS10_IS15_E10value_typeET4_jRbjT5_S1B_jjP12ihipStream_tbEUljE_EEESW_SX_SY_S15_S19_S1B_T6_T7_T9_mT8_S1D_bDpT10_ENKUlT_T0_E_clISt17integral_constantIbLb0EES1Q_EEDaS1L_S1M_EUlS1L_E_NS1_11comp_targetILNS1_3genE2ELNS1_11target_archE906ELNS1_3gpuE6ELNS1_3repE0EEENS1_30default_config_static_selectorELNS0_4arch9wavefront6targetE0EEEvSZ_
; %bb.0:
	.section	.rodata,"a",@progbits
	.p2align	6, 0x0
	.amdhsa_kernel _ZN7rocprim17ROCPRIM_400000_NS6detail17trampoline_kernelINS0_13select_configILj256ELj13ELNS0_17block_load_methodE3ELS4_3ELS4_3ELNS0_20block_scan_algorithmE0ELj4294967295EEENS1_25partition_config_selectorILNS1_17partition_subalgoE3EjNS0_10empty_typeEbEEZZNS1_14partition_implILS8_3ELb0ES6_jNS0_17counting_iteratorIjlEEPS9_SE_NS0_5tupleIJPjSE_EEENSF_IJSE_SE_EEES9_SG_JZNS1_25segmented_radix_sort_implINS0_14default_configELb1EPK12hip_bfloat16PSL_PKlPlN2at6native12_GLOBAL__N_18offset_tEEE10hipError_tPvRmT1_PNSt15iterator_traitsISZ_E10value_typeET2_T3_PNS10_IS15_E10value_typeET4_jRbjT5_S1B_jjP12ihipStream_tbEUljE_EEESW_SX_SY_S15_S19_S1B_T6_T7_T9_mT8_S1D_bDpT10_ENKUlT_T0_E_clISt17integral_constantIbLb0EES1Q_EEDaS1L_S1M_EUlS1L_E_NS1_11comp_targetILNS1_3genE2ELNS1_11target_archE906ELNS1_3gpuE6ELNS1_3repE0EEENS1_30default_config_static_selectorELNS0_4arch9wavefront6targetE0EEEvSZ_
		.amdhsa_group_segment_fixed_size 0
		.amdhsa_private_segment_fixed_size 0
		.amdhsa_kernarg_size 144
		.amdhsa_user_sgpr_count 2
		.amdhsa_user_sgpr_dispatch_ptr 0
		.amdhsa_user_sgpr_queue_ptr 0
		.amdhsa_user_sgpr_kernarg_segment_ptr 1
		.amdhsa_user_sgpr_dispatch_id 0
		.amdhsa_user_sgpr_private_segment_size 0
		.amdhsa_wavefront_size32 1
		.amdhsa_uses_dynamic_stack 0
		.amdhsa_enable_private_segment 0
		.amdhsa_system_sgpr_workgroup_id_x 1
		.amdhsa_system_sgpr_workgroup_id_y 0
		.amdhsa_system_sgpr_workgroup_id_z 0
		.amdhsa_system_sgpr_workgroup_info 0
		.amdhsa_system_vgpr_workitem_id 0
		.amdhsa_next_free_vgpr 1
		.amdhsa_next_free_sgpr 1
		.amdhsa_reserve_vcc 0
		.amdhsa_float_round_mode_32 0
		.amdhsa_float_round_mode_16_64 0
		.amdhsa_float_denorm_mode_32 3
		.amdhsa_float_denorm_mode_16_64 3
		.amdhsa_fp16_overflow 0
		.amdhsa_workgroup_processor_mode 1
		.amdhsa_memory_ordered 1
		.amdhsa_forward_progress 1
		.amdhsa_inst_pref_size 0
		.amdhsa_round_robin_scheduling 0
		.amdhsa_exception_fp_ieee_invalid_op 0
		.amdhsa_exception_fp_denorm_src 0
		.amdhsa_exception_fp_ieee_div_zero 0
		.amdhsa_exception_fp_ieee_overflow 0
		.amdhsa_exception_fp_ieee_underflow 0
		.amdhsa_exception_fp_ieee_inexact 0
		.amdhsa_exception_int_div_zero 0
	.end_amdhsa_kernel
	.section	.text._ZN7rocprim17ROCPRIM_400000_NS6detail17trampoline_kernelINS0_13select_configILj256ELj13ELNS0_17block_load_methodE3ELS4_3ELS4_3ELNS0_20block_scan_algorithmE0ELj4294967295EEENS1_25partition_config_selectorILNS1_17partition_subalgoE3EjNS0_10empty_typeEbEEZZNS1_14partition_implILS8_3ELb0ES6_jNS0_17counting_iteratorIjlEEPS9_SE_NS0_5tupleIJPjSE_EEENSF_IJSE_SE_EEES9_SG_JZNS1_25segmented_radix_sort_implINS0_14default_configELb1EPK12hip_bfloat16PSL_PKlPlN2at6native12_GLOBAL__N_18offset_tEEE10hipError_tPvRmT1_PNSt15iterator_traitsISZ_E10value_typeET2_T3_PNS10_IS15_E10value_typeET4_jRbjT5_S1B_jjP12ihipStream_tbEUljE_EEESW_SX_SY_S15_S19_S1B_T6_T7_T9_mT8_S1D_bDpT10_ENKUlT_T0_E_clISt17integral_constantIbLb0EES1Q_EEDaS1L_S1M_EUlS1L_E_NS1_11comp_targetILNS1_3genE2ELNS1_11target_archE906ELNS1_3gpuE6ELNS1_3repE0EEENS1_30default_config_static_selectorELNS0_4arch9wavefront6targetE0EEEvSZ_,"axG",@progbits,_ZN7rocprim17ROCPRIM_400000_NS6detail17trampoline_kernelINS0_13select_configILj256ELj13ELNS0_17block_load_methodE3ELS4_3ELS4_3ELNS0_20block_scan_algorithmE0ELj4294967295EEENS1_25partition_config_selectorILNS1_17partition_subalgoE3EjNS0_10empty_typeEbEEZZNS1_14partition_implILS8_3ELb0ES6_jNS0_17counting_iteratorIjlEEPS9_SE_NS0_5tupleIJPjSE_EEENSF_IJSE_SE_EEES9_SG_JZNS1_25segmented_radix_sort_implINS0_14default_configELb1EPK12hip_bfloat16PSL_PKlPlN2at6native12_GLOBAL__N_18offset_tEEE10hipError_tPvRmT1_PNSt15iterator_traitsISZ_E10value_typeET2_T3_PNS10_IS15_E10value_typeET4_jRbjT5_S1B_jjP12ihipStream_tbEUljE_EEESW_SX_SY_S15_S19_S1B_T6_T7_T9_mT8_S1D_bDpT10_ENKUlT_T0_E_clISt17integral_constantIbLb0EES1Q_EEDaS1L_S1M_EUlS1L_E_NS1_11comp_targetILNS1_3genE2ELNS1_11target_archE906ELNS1_3gpuE6ELNS1_3repE0EEENS1_30default_config_static_selectorELNS0_4arch9wavefront6targetE0EEEvSZ_,comdat
.Lfunc_end1918:
	.size	_ZN7rocprim17ROCPRIM_400000_NS6detail17trampoline_kernelINS0_13select_configILj256ELj13ELNS0_17block_load_methodE3ELS4_3ELS4_3ELNS0_20block_scan_algorithmE0ELj4294967295EEENS1_25partition_config_selectorILNS1_17partition_subalgoE3EjNS0_10empty_typeEbEEZZNS1_14partition_implILS8_3ELb0ES6_jNS0_17counting_iteratorIjlEEPS9_SE_NS0_5tupleIJPjSE_EEENSF_IJSE_SE_EEES9_SG_JZNS1_25segmented_radix_sort_implINS0_14default_configELb1EPK12hip_bfloat16PSL_PKlPlN2at6native12_GLOBAL__N_18offset_tEEE10hipError_tPvRmT1_PNSt15iterator_traitsISZ_E10value_typeET2_T3_PNS10_IS15_E10value_typeET4_jRbjT5_S1B_jjP12ihipStream_tbEUljE_EEESW_SX_SY_S15_S19_S1B_T6_T7_T9_mT8_S1D_bDpT10_ENKUlT_T0_E_clISt17integral_constantIbLb0EES1Q_EEDaS1L_S1M_EUlS1L_E_NS1_11comp_targetILNS1_3genE2ELNS1_11target_archE906ELNS1_3gpuE6ELNS1_3repE0EEENS1_30default_config_static_selectorELNS0_4arch9wavefront6targetE0EEEvSZ_, .Lfunc_end1918-_ZN7rocprim17ROCPRIM_400000_NS6detail17trampoline_kernelINS0_13select_configILj256ELj13ELNS0_17block_load_methodE3ELS4_3ELS4_3ELNS0_20block_scan_algorithmE0ELj4294967295EEENS1_25partition_config_selectorILNS1_17partition_subalgoE3EjNS0_10empty_typeEbEEZZNS1_14partition_implILS8_3ELb0ES6_jNS0_17counting_iteratorIjlEEPS9_SE_NS0_5tupleIJPjSE_EEENSF_IJSE_SE_EEES9_SG_JZNS1_25segmented_radix_sort_implINS0_14default_configELb1EPK12hip_bfloat16PSL_PKlPlN2at6native12_GLOBAL__N_18offset_tEEE10hipError_tPvRmT1_PNSt15iterator_traitsISZ_E10value_typeET2_T3_PNS10_IS15_E10value_typeET4_jRbjT5_S1B_jjP12ihipStream_tbEUljE_EEESW_SX_SY_S15_S19_S1B_T6_T7_T9_mT8_S1D_bDpT10_ENKUlT_T0_E_clISt17integral_constantIbLb0EES1Q_EEDaS1L_S1M_EUlS1L_E_NS1_11comp_targetILNS1_3genE2ELNS1_11target_archE906ELNS1_3gpuE6ELNS1_3repE0EEENS1_30default_config_static_selectorELNS0_4arch9wavefront6targetE0EEEvSZ_
                                        ; -- End function
	.set _ZN7rocprim17ROCPRIM_400000_NS6detail17trampoline_kernelINS0_13select_configILj256ELj13ELNS0_17block_load_methodE3ELS4_3ELS4_3ELNS0_20block_scan_algorithmE0ELj4294967295EEENS1_25partition_config_selectorILNS1_17partition_subalgoE3EjNS0_10empty_typeEbEEZZNS1_14partition_implILS8_3ELb0ES6_jNS0_17counting_iteratorIjlEEPS9_SE_NS0_5tupleIJPjSE_EEENSF_IJSE_SE_EEES9_SG_JZNS1_25segmented_radix_sort_implINS0_14default_configELb1EPK12hip_bfloat16PSL_PKlPlN2at6native12_GLOBAL__N_18offset_tEEE10hipError_tPvRmT1_PNSt15iterator_traitsISZ_E10value_typeET2_T3_PNS10_IS15_E10value_typeET4_jRbjT5_S1B_jjP12ihipStream_tbEUljE_EEESW_SX_SY_S15_S19_S1B_T6_T7_T9_mT8_S1D_bDpT10_ENKUlT_T0_E_clISt17integral_constantIbLb0EES1Q_EEDaS1L_S1M_EUlS1L_E_NS1_11comp_targetILNS1_3genE2ELNS1_11target_archE906ELNS1_3gpuE6ELNS1_3repE0EEENS1_30default_config_static_selectorELNS0_4arch9wavefront6targetE0EEEvSZ_.num_vgpr, 0
	.set _ZN7rocprim17ROCPRIM_400000_NS6detail17trampoline_kernelINS0_13select_configILj256ELj13ELNS0_17block_load_methodE3ELS4_3ELS4_3ELNS0_20block_scan_algorithmE0ELj4294967295EEENS1_25partition_config_selectorILNS1_17partition_subalgoE3EjNS0_10empty_typeEbEEZZNS1_14partition_implILS8_3ELb0ES6_jNS0_17counting_iteratorIjlEEPS9_SE_NS0_5tupleIJPjSE_EEENSF_IJSE_SE_EEES9_SG_JZNS1_25segmented_radix_sort_implINS0_14default_configELb1EPK12hip_bfloat16PSL_PKlPlN2at6native12_GLOBAL__N_18offset_tEEE10hipError_tPvRmT1_PNSt15iterator_traitsISZ_E10value_typeET2_T3_PNS10_IS15_E10value_typeET4_jRbjT5_S1B_jjP12ihipStream_tbEUljE_EEESW_SX_SY_S15_S19_S1B_T6_T7_T9_mT8_S1D_bDpT10_ENKUlT_T0_E_clISt17integral_constantIbLb0EES1Q_EEDaS1L_S1M_EUlS1L_E_NS1_11comp_targetILNS1_3genE2ELNS1_11target_archE906ELNS1_3gpuE6ELNS1_3repE0EEENS1_30default_config_static_selectorELNS0_4arch9wavefront6targetE0EEEvSZ_.num_agpr, 0
	.set _ZN7rocprim17ROCPRIM_400000_NS6detail17trampoline_kernelINS0_13select_configILj256ELj13ELNS0_17block_load_methodE3ELS4_3ELS4_3ELNS0_20block_scan_algorithmE0ELj4294967295EEENS1_25partition_config_selectorILNS1_17partition_subalgoE3EjNS0_10empty_typeEbEEZZNS1_14partition_implILS8_3ELb0ES6_jNS0_17counting_iteratorIjlEEPS9_SE_NS0_5tupleIJPjSE_EEENSF_IJSE_SE_EEES9_SG_JZNS1_25segmented_radix_sort_implINS0_14default_configELb1EPK12hip_bfloat16PSL_PKlPlN2at6native12_GLOBAL__N_18offset_tEEE10hipError_tPvRmT1_PNSt15iterator_traitsISZ_E10value_typeET2_T3_PNS10_IS15_E10value_typeET4_jRbjT5_S1B_jjP12ihipStream_tbEUljE_EEESW_SX_SY_S15_S19_S1B_T6_T7_T9_mT8_S1D_bDpT10_ENKUlT_T0_E_clISt17integral_constantIbLb0EES1Q_EEDaS1L_S1M_EUlS1L_E_NS1_11comp_targetILNS1_3genE2ELNS1_11target_archE906ELNS1_3gpuE6ELNS1_3repE0EEENS1_30default_config_static_selectorELNS0_4arch9wavefront6targetE0EEEvSZ_.numbered_sgpr, 0
	.set _ZN7rocprim17ROCPRIM_400000_NS6detail17trampoline_kernelINS0_13select_configILj256ELj13ELNS0_17block_load_methodE3ELS4_3ELS4_3ELNS0_20block_scan_algorithmE0ELj4294967295EEENS1_25partition_config_selectorILNS1_17partition_subalgoE3EjNS0_10empty_typeEbEEZZNS1_14partition_implILS8_3ELb0ES6_jNS0_17counting_iteratorIjlEEPS9_SE_NS0_5tupleIJPjSE_EEENSF_IJSE_SE_EEES9_SG_JZNS1_25segmented_radix_sort_implINS0_14default_configELb1EPK12hip_bfloat16PSL_PKlPlN2at6native12_GLOBAL__N_18offset_tEEE10hipError_tPvRmT1_PNSt15iterator_traitsISZ_E10value_typeET2_T3_PNS10_IS15_E10value_typeET4_jRbjT5_S1B_jjP12ihipStream_tbEUljE_EEESW_SX_SY_S15_S19_S1B_T6_T7_T9_mT8_S1D_bDpT10_ENKUlT_T0_E_clISt17integral_constantIbLb0EES1Q_EEDaS1L_S1M_EUlS1L_E_NS1_11comp_targetILNS1_3genE2ELNS1_11target_archE906ELNS1_3gpuE6ELNS1_3repE0EEENS1_30default_config_static_selectorELNS0_4arch9wavefront6targetE0EEEvSZ_.num_named_barrier, 0
	.set _ZN7rocprim17ROCPRIM_400000_NS6detail17trampoline_kernelINS0_13select_configILj256ELj13ELNS0_17block_load_methodE3ELS4_3ELS4_3ELNS0_20block_scan_algorithmE0ELj4294967295EEENS1_25partition_config_selectorILNS1_17partition_subalgoE3EjNS0_10empty_typeEbEEZZNS1_14partition_implILS8_3ELb0ES6_jNS0_17counting_iteratorIjlEEPS9_SE_NS0_5tupleIJPjSE_EEENSF_IJSE_SE_EEES9_SG_JZNS1_25segmented_radix_sort_implINS0_14default_configELb1EPK12hip_bfloat16PSL_PKlPlN2at6native12_GLOBAL__N_18offset_tEEE10hipError_tPvRmT1_PNSt15iterator_traitsISZ_E10value_typeET2_T3_PNS10_IS15_E10value_typeET4_jRbjT5_S1B_jjP12ihipStream_tbEUljE_EEESW_SX_SY_S15_S19_S1B_T6_T7_T9_mT8_S1D_bDpT10_ENKUlT_T0_E_clISt17integral_constantIbLb0EES1Q_EEDaS1L_S1M_EUlS1L_E_NS1_11comp_targetILNS1_3genE2ELNS1_11target_archE906ELNS1_3gpuE6ELNS1_3repE0EEENS1_30default_config_static_selectorELNS0_4arch9wavefront6targetE0EEEvSZ_.private_seg_size, 0
	.set _ZN7rocprim17ROCPRIM_400000_NS6detail17trampoline_kernelINS0_13select_configILj256ELj13ELNS0_17block_load_methodE3ELS4_3ELS4_3ELNS0_20block_scan_algorithmE0ELj4294967295EEENS1_25partition_config_selectorILNS1_17partition_subalgoE3EjNS0_10empty_typeEbEEZZNS1_14partition_implILS8_3ELb0ES6_jNS0_17counting_iteratorIjlEEPS9_SE_NS0_5tupleIJPjSE_EEENSF_IJSE_SE_EEES9_SG_JZNS1_25segmented_radix_sort_implINS0_14default_configELb1EPK12hip_bfloat16PSL_PKlPlN2at6native12_GLOBAL__N_18offset_tEEE10hipError_tPvRmT1_PNSt15iterator_traitsISZ_E10value_typeET2_T3_PNS10_IS15_E10value_typeET4_jRbjT5_S1B_jjP12ihipStream_tbEUljE_EEESW_SX_SY_S15_S19_S1B_T6_T7_T9_mT8_S1D_bDpT10_ENKUlT_T0_E_clISt17integral_constantIbLb0EES1Q_EEDaS1L_S1M_EUlS1L_E_NS1_11comp_targetILNS1_3genE2ELNS1_11target_archE906ELNS1_3gpuE6ELNS1_3repE0EEENS1_30default_config_static_selectorELNS0_4arch9wavefront6targetE0EEEvSZ_.uses_vcc, 0
	.set _ZN7rocprim17ROCPRIM_400000_NS6detail17trampoline_kernelINS0_13select_configILj256ELj13ELNS0_17block_load_methodE3ELS4_3ELS4_3ELNS0_20block_scan_algorithmE0ELj4294967295EEENS1_25partition_config_selectorILNS1_17partition_subalgoE3EjNS0_10empty_typeEbEEZZNS1_14partition_implILS8_3ELb0ES6_jNS0_17counting_iteratorIjlEEPS9_SE_NS0_5tupleIJPjSE_EEENSF_IJSE_SE_EEES9_SG_JZNS1_25segmented_radix_sort_implINS0_14default_configELb1EPK12hip_bfloat16PSL_PKlPlN2at6native12_GLOBAL__N_18offset_tEEE10hipError_tPvRmT1_PNSt15iterator_traitsISZ_E10value_typeET2_T3_PNS10_IS15_E10value_typeET4_jRbjT5_S1B_jjP12ihipStream_tbEUljE_EEESW_SX_SY_S15_S19_S1B_T6_T7_T9_mT8_S1D_bDpT10_ENKUlT_T0_E_clISt17integral_constantIbLb0EES1Q_EEDaS1L_S1M_EUlS1L_E_NS1_11comp_targetILNS1_3genE2ELNS1_11target_archE906ELNS1_3gpuE6ELNS1_3repE0EEENS1_30default_config_static_selectorELNS0_4arch9wavefront6targetE0EEEvSZ_.uses_flat_scratch, 0
	.set _ZN7rocprim17ROCPRIM_400000_NS6detail17trampoline_kernelINS0_13select_configILj256ELj13ELNS0_17block_load_methodE3ELS4_3ELS4_3ELNS0_20block_scan_algorithmE0ELj4294967295EEENS1_25partition_config_selectorILNS1_17partition_subalgoE3EjNS0_10empty_typeEbEEZZNS1_14partition_implILS8_3ELb0ES6_jNS0_17counting_iteratorIjlEEPS9_SE_NS0_5tupleIJPjSE_EEENSF_IJSE_SE_EEES9_SG_JZNS1_25segmented_radix_sort_implINS0_14default_configELb1EPK12hip_bfloat16PSL_PKlPlN2at6native12_GLOBAL__N_18offset_tEEE10hipError_tPvRmT1_PNSt15iterator_traitsISZ_E10value_typeET2_T3_PNS10_IS15_E10value_typeET4_jRbjT5_S1B_jjP12ihipStream_tbEUljE_EEESW_SX_SY_S15_S19_S1B_T6_T7_T9_mT8_S1D_bDpT10_ENKUlT_T0_E_clISt17integral_constantIbLb0EES1Q_EEDaS1L_S1M_EUlS1L_E_NS1_11comp_targetILNS1_3genE2ELNS1_11target_archE906ELNS1_3gpuE6ELNS1_3repE0EEENS1_30default_config_static_selectorELNS0_4arch9wavefront6targetE0EEEvSZ_.has_dyn_sized_stack, 0
	.set _ZN7rocprim17ROCPRIM_400000_NS6detail17trampoline_kernelINS0_13select_configILj256ELj13ELNS0_17block_load_methodE3ELS4_3ELS4_3ELNS0_20block_scan_algorithmE0ELj4294967295EEENS1_25partition_config_selectorILNS1_17partition_subalgoE3EjNS0_10empty_typeEbEEZZNS1_14partition_implILS8_3ELb0ES6_jNS0_17counting_iteratorIjlEEPS9_SE_NS0_5tupleIJPjSE_EEENSF_IJSE_SE_EEES9_SG_JZNS1_25segmented_radix_sort_implINS0_14default_configELb1EPK12hip_bfloat16PSL_PKlPlN2at6native12_GLOBAL__N_18offset_tEEE10hipError_tPvRmT1_PNSt15iterator_traitsISZ_E10value_typeET2_T3_PNS10_IS15_E10value_typeET4_jRbjT5_S1B_jjP12ihipStream_tbEUljE_EEESW_SX_SY_S15_S19_S1B_T6_T7_T9_mT8_S1D_bDpT10_ENKUlT_T0_E_clISt17integral_constantIbLb0EES1Q_EEDaS1L_S1M_EUlS1L_E_NS1_11comp_targetILNS1_3genE2ELNS1_11target_archE906ELNS1_3gpuE6ELNS1_3repE0EEENS1_30default_config_static_selectorELNS0_4arch9wavefront6targetE0EEEvSZ_.has_recursion, 0
	.set _ZN7rocprim17ROCPRIM_400000_NS6detail17trampoline_kernelINS0_13select_configILj256ELj13ELNS0_17block_load_methodE3ELS4_3ELS4_3ELNS0_20block_scan_algorithmE0ELj4294967295EEENS1_25partition_config_selectorILNS1_17partition_subalgoE3EjNS0_10empty_typeEbEEZZNS1_14partition_implILS8_3ELb0ES6_jNS0_17counting_iteratorIjlEEPS9_SE_NS0_5tupleIJPjSE_EEENSF_IJSE_SE_EEES9_SG_JZNS1_25segmented_radix_sort_implINS0_14default_configELb1EPK12hip_bfloat16PSL_PKlPlN2at6native12_GLOBAL__N_18offset_tEEE10hipError_tPvRmT1_PNSt15iterator_traitsISZ_E10value_typeET2_T3_PNS10_IS15_E10value_typeET4_jRbjT5_S1B_jjP12ihipStream_tbEUljE_EEESW_SX_SY_S15_S19_S1B_T6_T7_T9_mT8_S1D_bDpT10_ENKUlT_T0_E_clISt17integral_constantIbLb0EES1Q_EEDaS1L_S1M_EUlS1L_E_NS1_11comp_targetILNS1_3genE2ELNS1_11target_archE906ELNS1_3gpuE6ELNS1_3repE0EEENS1_30default_config_static_selectorELNS0_4arch9wavefront6targetE0EEEvSZ_.has_indirect_call, 0
	.section	.AMDGPU.csdata,"",@progbits
; Kernel info:
; codeLenInByte = 0
; TotalNumSgprs: 0
; NumVgprs: 0
; ScratchSize: 0
; MemoryBound: 0
; FloatMode: 240
; IeeeMode: 1
; LDSByteSize: 0 bytes/workgroup (compile time only)
; SGPRBlocks: 0
; VGPRBlocks: 0
; NumSGPRsForWavesPerEU: 1
; NumVGPRsForWavesPerEU: 1
; Occupancy: 16
; WaveLimiterHint : 0
; COMPUTE_PGM_RSRC2:SCRATCH_EN: 0
; COMPUTE_PGM_RSRC2:USER_SGPR: 2
; COMPUTE_PGM_RSRC2:TRAP_HANDLER: 0
; COMPUTE_PGM_RSRC2:TGID_X_EN: 1
; COMPUTE_PGM_RSRC2:TGID_Y_EN: 0
; COMPUTE_PGM_RSRC2:TGID_Z_EN: 0
; COMPUTE_PGM_RSRC2:TIDIG_COMP_CNT: 0
	.section	.text._ZN7rocprim17ROCPRIM_400000_NS6detail17trampoline_kernelINS0_13select_configILj256ELj13ELNS0_17block_load_methodE3ELS4_3ELS4_3ELNS0_20block_scan_algorithmE0ELj4294967295EEENS1_25partition_config_selectorILNS1_17partition_subalgoE3EjNS0_10empty_typeEbEEZZNS1_14partition_implILS8_3ELb0ES6_jNS0_17counting_iteratorIjlEEPS9_SE_NS0_5tupleIJPjSE_EEENSF_IJSE_SE_EEES9_SG_JZNS1_25segmented_radix_sort_implINS0_14default_configELb1EPK12hip_bfloat16PSL_PKlPlN2at6native12_GLOBAL__N_18offset_tEEE10hipError_tPvRmT1_PNSt15iterator_traitsISZ_E10value_typeET2_T3_PNS10_IS15_E10value_typeET4_jRbjT5_S1B_jjP12ihipStream_tbEUljE_EEESW_SX_SY_S15_S19_S1B_T6_T7_T9_mT8_S1D_bDpT10_ENKUlT_T0_E_clISt17integral_constantIbLb0EES1Q_EEDaS1L_S1M_EUlS1L_E_NS1_11comp_targetILNS1_3genE10ELNS1_11target_archE1200ELNS1_3gpuE4ELNS1_3repE0EEENS1_30default_config_static_selectorELNS0_4arch9wavefront6targetE0EEEvSZ_,"axG",@progbits,_ZN7rocprim17ROCPRIM_400000_NS6detail17trampoline_kernelINS0_13select_configILj256ELj13ELNS0_17block_load_methodE3ELS4_3ELS4_3ELNS0_20block_scan_algorithmE0ELj4294967295EEENS1_25partition_config_selectorILNS1_17partition_subalgoE3EjNS0_10empty_typeEbEEZZNS1_14partition_implILS8_3ELb0ES6_jNS0_17counting_iteratorIjlEEPS9_SE_NS0_5tupleIJPjSE_EEENSF_IJSE_SE_EEES9_SG_JZNS1_25segmented_radix_sort_implINS0_14default_configELb1EPK12hip_bfloat16PSL_PKlPlN2at6native12_GLOBAL__N_18offset_tEEE10hipError_tPvRmT1_PNSt15iterator_traitsISZ_E10value_typeET2_T3_PNS10_IS15_E10value_typeET4_jRbjT5_S1B_jjP12ihipStream_tbEUljE_EEESW_SX_SY_S15_S19_S1B_T6_T7_T9_mT8_S1D_bDpT10_ENKUlT_T0_E_clISt17integral_constantIbLb0EES1Q_EEDaS1L_S1M_EUlS1L_E_NS1_11comp_targetILNS1_3genE10ELNS1_11target_archE1200ELNS1_3gpuE4ELNS1_3repE0EEENS1_30default_config_static_selectorELNS0_4arch9wavefront6targetE0EEEvSZ_,comdat
	.globl	_ZN7rocprim17ROCPRIM_400000_NS6detail17trampoline_kernelINS0_13select_configILj256ELj13ELNS0_17block_load_methodE3ELS4_3ELS4_3ELNS0_20block_scan_algorithmE0ELj4294967295EEENS1_25partition_config_selectorILNS1_17partition_subalgoE3EjNS0_10empty_typeEbEEZZNS1_14partition_implILS8_3ELb0ES6_jNS0_17counting_iteratorIjlEEPS9_SE_NS0_5tupleIJPjSE_EEENSF_IJSE_SE_EEES9_SG_JZNS1_25segmented_radix_sort_implINS0_14default_configELb1EPK12hip_bfloat16PSL_PKlPlN2at6native12_GLOBAL__N_18offset_tEEE10hipError_tPvRmT1_PNSt15iterator_traitsISZ_E10value_typeET2_T3_PNS10_IS15_E10value_typeET4_jRbjT5_S1B_jjP12ihipStream_tbEUljE_EEESW_SX_SY_S15_S19_S1B_T6_T7_T9_mT8_S1D_bDpT10_ENKUlT_T0_E_clISt17integral_constantIbLb0EES1Q_EEDaS1L_S1M_EUlS1L_E_NS1_11comp_targetILNS1_3genE10ELNS1_11target_archE1200ELNS1_3gpuE4ELNS1_3repE0EEENS1_30default_config_static_selectorELNS0_4arch9wavefront6targetE0EEEvSZ_ ; -- Begin function _ZN7rocprim17ROCPRIM_400000_NS6detail17trampoline_kernelINS0_13select_configILj256ELj13ELNS0_17block_load_methodE3ELS4_3ELS4_3ELNS0_20block_scan_algorithmE0ELj4294967295EEENS1_25partition_config_selectorILNS1_17partition_subalgoE3EjNS0_10empty_typeEbEEZZNS1_14partition_implILS8_3ELb0ES6_jNS0_17counting_iteratorIjlEEPS9_SE_NS0_5tupleIJPjSE_EEENSF_IJSE_SE_EEES9_SG_JZNS1_25segmented_radix_sort_implINS0_14default_configELb1EPK12hip_bfloat16PSL_PKlPlN2at6native12_GLOBAL__N_18offset_tEEE10hipError_tPvRmT1_PNSt15iterator_traitsISZ_E10value_typeET2_T3_PNS10_IS15_E10value_typeET4_jRbjT5_S1B_jjP12ihipStream_tbEUljE_EEESW_SX_SY_S15_S19_S1B_T6_T7_T9_mT8_S1D_bDpT10_ENKUlT_T0_E_clISt17integral_constantIbLb0EES1Q_EEDaS1L_S1M_EUlS1L_E_NS1_11comp_targetILNS1_3genE10ELNS1_11target_archE1200ELNS1_3gpuE4ELNS1_3repE0EEENS1_30default_config_static_selectorELNS0_4arch9wavefront6targetE0EEEvSZ_
	.p2align	8
	.type	_ZN7rocprim17ROCPRIM_400000_NS6detail17trampoline_kernelINS0_13select_configILj256ELj13ELNS0_17block_load_methodE3ELS4_3ELS4_3ELNS0_20block_scan_algorithmE0ELj4294967295EEENS1_25partition_config_selectorILNS1_17partition_subalgoE3EjNS0_10empty_typeEbEEZZNS1_14partition_implILS8_3ELb0ES6_jNS0_17counting_iteratorIjlEEPS9_SE_NS0_5tupleIJPjSE_EEENSF_IJSE_SE_EEES9_SG_JZNS1_25segmented_radix_sort_implINS0_14default_configELb1EPK12hip_bfloat16PSL_PKlPlN2at6native12_GLOBAL__N_18offset_tEEE10hipError_tPvRmT1_PNSt15iterator_traitsISZ_E10value_typeET2_T3_PNS10_IS15_E10value_typeET4_jRbjT5_S1B_jjP12ihipStream_tbEUljE_EEESW_SX_SY_S15_S19_S1B_T6_T7_T9_mT8_S1D_bDpT10_ENKUlT_T0_E_clISt17integral_constantIbLb0EES1Q_EEDaS1L_S1M_EUlS1L_E_NS1_11comp_targetILNS1_3genE10ELNS1_11target_archE1200ELNS1_3gpuE4ELNS1_3repE0EEENS1_30default_config_static_selectorELNS0_4arch9wavefront6targetE0EEEvSZ_,@function
_ZN7rocprim17ROCPRIM_400000_NS6detail17trampoline_kernelINS0_13select_configILj256ELj13ELNS0_17block_load_methodE3ELS4_3ELS4_3ELNS0_20block_scan_algorithmE0ELj4294967295EEENS1_25partition_config_selectorILNS1_17partition_subalgoE3EjNS0_10empty_typeEbEEZZNS1_14partition_implILS8_3ELb0ES6_jNS0_17counting_iteratorIjlEEPS9_SE_NS0_5tupleIJPjSE_EEENSF_IJSE_SE_EEES9_SG_JZNS1_25segmented_radix_sort_implINS0_14default_configELb1EPK12hip_bfloat16PSL_PKlPlN2at6native12_GLOBAL__N_18offset_tEEE10hipError_tPvRmT1_PNSt15iterator_traitsISZ_E10value_typeET2_T3_PNS10_IS15_E10value_typeET4_jRbjT5_S1B_jjP12ihipStream_tbEUljE_EEESW_SX_SY_S15_S19_S1B_T6_T7_T9_mT8_S1D_bDpT10_ENKUlT_T0_E_clISt17integral_constantIbLb0EES1Q_EEDaS1L_S1M_EUlS1L_E_NS1_11comp_targetILNS1_3genE10ELNS1_11target_archE1200ELNS1_3gpuE4ELNS1_3repE0EEENS1_30default_config_static_selectorELNS0_4arch9wavefront6targetE0EEEvSZ_: ; @_ZN7rocprim17ROCPRIM_400000_NS6detail17trampoline_kernelINS0_13select_configILj256ELj13ELNS0_17block_load_methodE3ELS4_3ELS4_3ELNS0_20block_scan_algorithmE0ELj4294967295EEENS1_25partition_config_selectorILNS1_17partition_subalgoE3EjNS0_10empty_typeEbEEZZNS1_14partition_implILS8_3ELb0ES6_jNS0_17counting_iteratorIjlEEPS9_SE_NS0_5tupleIJPjSE_EEENSF_IJSE_SE_EEES9_SG_JZNS1_25segmented_radix_sort_implINS0_14default_configELb1EPK12hip_bfloat16PSL_PKlPlN2at6native12_GLOBAL__N_18offset_tEEE10hipError_tPvRmT1_PNSt15iterator_traitsISZ_E10value_typeET2_T3_PNS10_IS15_E10value_typeET4_jRbjT5_S1B_jjP12ihipStream_tbEUljE_EEESW_SX_SY_S15_S19_S1B_T6_T7_T9_mT8_S1D_bDpT10_ENKUlT_T0_E_clISt17integral_constantIbLb0EES1Q_EEDaS1L_S1M_EUlS1L_E_NS1_11comp_targetILNS1_3genE10ELNS1_11target_archE1200ELNS1_3gpuE4ELNS1_3repE0EEENS1_30default_config_static_selectorELNS0_4arch9wavefront6targetE0EEEvSZ_
; %bb.0:
	s_clause 0x6
	s_load_b32 s2, s[0:1], 0x70
	s_load_b128 s[8:11], s[0:1], 0x48
	s_load_b64 s[12:13], s[0:1], 0x10
	s_load_b64 s[14:15], s[0:1], 0x58
	s_load_b32 s20, s[0:1], 0x8
	s_load_b32 s3, s[0:1], 0x88
	s_load_b128 s[4:7], s[0:1], 0x78
	s_mov_b32 s17, 0
	v_lshlrev_b32_e32 v42, 2, v0
	s_wait_kmcnt 0x0
	s_mul_i32 s16, s2, 0xd00
	s_load_b64 s[18:19], s[10:11], 0x0
	s_add_co_i32 s10, s16, s12
	s_add_co_i32 s2, s2, -1
	s_sub_co_i32 s23, s14, s10
	s_add_nc_u64 s[10:11], s[12:13], s[16:17]
	s_addk_co_i32 s23, 0xd00
	s_cmp_eq_u32 ttmp9, s2
	s_mul_i32 s16, ttmp9, 0xd00
	s_cselect_b32 s22, -1, 0
	s_cmp_lg_u32 ttmp9, s2
	v_cmp_gt_u64_e64 s10, s[14:15], s[10:11]
	s_cselect_b32 s2, -1, 0
	s_add_co_i32 s11, s20, s16
	s_mov_b32 s17, -1
	s_wait_alu 0xfffe
	s_add_co_i32 s11, s11, s12
	s_wait_alu 0xfffe
	v_add_nc_u32_e32 v1, s11, v0
	s_or_b32 s10, s2, s10
	s_wait_alu 0xfffe
	s_and_b32 vcc_lo, exec_lo, s10
	s_cbranch_vccz .LBB1919_2
; %bb.1:
	v_add_nc_u32_e32 v2, 0x100, v1
	v_add_nc_u32_e32 v3, 0x200, v1
	;; [unrolled: 1-line block ×12, first 2 shown]
	ds_store_2addr_stride64_b32 v42, v1, v2 offset1:4
	ds_store_2addr_stride64_b32 v42, v3, v4 offset0:8 offset1:12
	ds_store_2addr_stride64_b32 v42, v5, v6 offset0:16 offset1:20
	;; [unrolled: 1-line block ×5, first 2 shown]
	ds_store_b32 v42, v13 offset:12288
	s_wait_dscnt 0x0
	s_barrier_signal -1
	s_mov_b32 s17, 0
	s_barrier_wait -1
.LBB1919_2:
	v_cmp_gt_u32_e64 s2, s23, v0
	v_or_b32_e32 v41, 0x100, v0
	v_or_b32_e32 v40, 0x200, v0
	v_or_b32_e32 v39, 0x300, v0
	v_or_b32_e32 v38, 0x400, v0
	v_or_b32_e32 v37, 0x500, v0
	v_or_b32_e32 v36, 0x600, v0
	v_or_b32_e32 v35, 0x700, v0
	v_or_b32_e32 v34, 0x800, v0
	v_or_b32_e32 v33, 0x900, v0
	v_or_b32_e32 v32, 0xa00, v0
	v_or_b32_e32 v31, 0xb00, v0
	v_or_b32_e32 v30, 0xc00, v0
	s_and_not1_b32 vcc_lo, exec_lo, s17
	s_cbranch_vccnz .LBB1919_4
; %bb.3:
	v_cmp_gt_u32_e32 vcc_lo, s23, v41
	v_add_nc_u32_e32 v3, s11, v40
	v_add_nc_u32_e32 v2, s11, v41
	v_cndmask_b32_e64 v1, 0, v1, s2
	s_delay_alu instid0(VALU_DEP_2)
	v_cndmask_b32_e32 v2, 0, v2, vcc_lo
	v_cmp_gt_u32_e32 vcc_lo, s23, v40
	s_wait_alu 0xfffd
	v_cndmask_b32_e32 v3, 0, v3, vcc_lo
	v_cmp_gt_u32_e32 vcc_lo, s23, v39
	v_add_nc_u32_e32 v5, s11, v38
	v_add_nc_u32_e32 v4, s11, v39
	s_wait_alu 0xfffd
	s_delay_alu instid0(VALU_DEP_1)
	v_cndmask_b32_e32 v4, 0, v4, vcc_lo
	v_cmp_gt_u32_e32 vcc_lo, s23, v38
	s_wait_alu 0xfffd
	v_cndmask_b32_e32 v5, 0, v5, vcc_lo
	v_cmp_gt_u32_e32 vcc_lo, s23, v37
	v_add_nc_u32_e32 v7, s11, v36
	v_add_nc_u32_e32 v6, s11, v37
	s_wait_alu 0xfffd
	s_delay_alu instid0(VALU_DEP_1)
	;; [unrolled: 9-line block ×5, first 2 shown]
	v_cndmask_b32_e32 v12, 0, v12, vcc_lo
	v_cmp_gt_u32_e32 vcc_lo, s23, v30
	s_wait_alu 0xfffd
	v_cndmask_b32_e32 v13, 0, v13, vcc_lo
	ds_store_2addr_stride64_b32 v42, v1, v2 offset1:4
	ds_store_2addr_stride64_b32 v42, v3, v4 offset0:8 offset1:12
	ds_store_2addr_stride64_b32 v42, v5, v6 offset0:16 offset1:20
	;; [unrolled: 1-line block ×5, first 2 shown]
	ds_store_b32 v42, v13 offset:12288
	s_wait_dscnt 0x0
	s_barrier_signal -1
	s_barrier_wait -1
.LBB1919_4:
	v_mul_u32_u24_e32 v45, 13, v0
	global_inv scope:SCOPE_SE
	v_cndmask_b32_e64 v43, 0, 1, s10
	s_and_not1_b32 vcc_lo, exec_lo, s10
	v_lshlrev_b32_e32 v1, 2, v45
	ds_load_2addr_b32 v[26:27], v1 offset0:2 offset1:3
	ds_load_2addr_b32 v[22:23], v1 offset0:6 offset1:7
	;; [unrolled: 1-line block ×3, first 2 shown]
	ds_load_2addr_b32 v[28:29], v1 offset1:1
	ds_load_2addr_b32 v[18:19], v1 offset0:10 offset1:11
	ds_load_b32 v44, v1 offset:48
	ds_load_2addr_b32 v[20:21], v1 offset0:8 offset1:9
	s_wait_loadcnt_dscnt 0x0
	s_barrier_signal -1
	s_barrier_wait -1
	global_inv scope:SCOPE_SE
	s_wait_alu 0xfffe
	s_cbranch_vccnz .LBB1919_6
; %bb.5:
	v_add_nc_u32_e32 v1, s5, v27
	v_add_nc_u32_e32 v2, s7, v27
	;; [unrolled: 1-line block ×5, first 2 shown]
	v_mul_lo_u32 v1, v1, s4
	v_mul_lo_u32 v2, v2, s6
	v_add_nc_u32_e32 v8, s7, v26
	v_add_nc_u32_e32 v3, s5, v29
	;; [unrolled: 1-line block ×3, first 2 shown]
	v_mul_lo_u32 v5, v5, s4
	v_mul_lo_u32 v4, v4, s4
	v_add_nc_u32_e32 v9, s5, v24
	v_mul_lo_u32 v3, v3, s4
	v_sub_nc_u32_e32 v1, v1, v2
	v_mul_lo_u32 v2, v7, s6
	v_mul_lo_u32 v7, v8, s6
	;; [unrolled: 1-line block ×3, first 2 shown]
	v_add_nc_u32_e32 v8, s5, v25
	v_add_nc_u32_e32 v10, s7, v24
	v_mul_lo_u32 v9, v9, s4
	v_cmp_lt_u32_e32 vcc_lo, s3, v1
	v_add_nc_u32_e32 v14, s7, v19
	v_sub_nc_u32_e32 v2, v4, v2
	v_sub_nc_u32_e32 v4, v5, v7
	v_add_nc_u32_e32 v5, s7, v25
	v_sub_nc_u32_e32 v3, v3, v6
	v_add_nc_u32_e32 v6, s5, v23
	v_add_nc_u32_e32 v7, s7, v23
	v_mul_lo_u32 v8, v8, s4
	v_mul_lo_u32 v5, v5, s6
	;; [unrolled: 1-line block ×5, first 2 shown]
	s_wait_alu 0xfffd
	v_cndmask_b32_e64 v1, 0, 1, vcc_lo
	v_cmp_lt_u32_e32 vcc_lo, s3, v3
	v_mul_lo_u32 v14, v14, s6
	v_add_nc_u32_e32 v15, s7, v21
	v_sub_nc_u32_e32 v5, v8, v5
	v_add_nc_u32_e32 v8, s7, v22
	s_wait_alu 0xfffd
	v_cndmask_b32_e64 v3, 0, 1, vcc_lo
	v_sub_nc_u32_e32 v6, v6, v7
	v_mul_lo_u32 v15, v15, s6
	v_cmp_lt_u32_e32 vcc_lo, s3, v5
	v_mul_lo_u32 v7, v8, s6
	v_sub_nc_u32_e32 v8, v9, v10
	v_add_nc_u32_e32 v9, s5, v19
	v_add_nc_u32_e32 v10, s5, v21
	s_wait_alu 0xfffd
	v_cndmask_b32_e64 v5, 0, 1, vcc_lo
	v_cmp_lt_u32_e32 vcc_lo, s3, v6
	v_add_nc_u32_e32 v11, s5, v22
	v_mul_lo_u32 v9, v9, s4
	v_mul_lo_u32 v10, v10, s4
	v_add_nc_u32_e32 v12, s5, v20
	s_wait_alu 0xfffd
	v_cndmask_b32_e64 v6, 0, 1, vcc_lo
	v_mul_lo_u32 v11, v11, s4
	v_add_nc_u32_e32 v16, s7, v20
	v_lshlrev_b16 v3, 8, v3
	v_add_nc_u32_e32 v13, s5, v18
	v_sub_nc_u32_e32 v9, v9, v14
	v_sub_nc_u32_e32 v10, v10, v15
	v_add_nc_u32_e32 v17, s7, v18
	v_mul_lo_u32 v12, v12, s4
	v_mul_lo_u32 v16, v16, s6
	v_cmp_lt_u32_e32 vcc_lo, s3, v9
	v_sub_nc_u32_e32 v7, v11, v7
	v_lshrrev_b32_e32 v3, 8, v3
	v_mul_lo_u32 v11, v13, s4
	v_mul_lo_u32 v13, v17, s6
	s_wait_alu 0xfffd
	v_cndmask_b32_e64 v9, 0, 1, vcc_lo
	v_cmp_lt_u32_e32 vcc_lo, s3, v2
	v_sub_nc_u32_e32 v12, v12, v16
	v_lshlrev_b16 v3, 8, v3
	v_lshlrev_b16 v1, 8, v1
	;; [unrolled: 1-line block ×3, first 2 shown]
	s_wait_alu 0xfffd
	v_cndmask_b32_e64 v2, 0, 1, vcc_lo
	v_cmp_lt_u32_e32 vcc_lo, s3, v10
	v_sub_nc_u32_e32 v11, v11, v13
	v_add_nc_u32_e32 v14, s5, v44
	v_add_nc_u32_e32 v15, s7, v44
	v_or_b32_e32 v2, v2, v3
	s_wait_alu 0xfffd
	v_cndmask_b32_e64 v10, 0, 1, vcc_lo
	v_cmp_lt_u32_e32 vcc_lo, s3, v4
	v_lshlrev_b16 v3, 8, v9
	v_lshrrev_b32_e32 v5, 8, v5
	v_lshrrev_b32_e32 v1, 8, v1
	v_lshlrev_b16 v9, 8, v10
	s_wait_alu 0xfffd
	v_cndmask_b32_e64 v4, 0, 1, vcc_lo
	v_cmp_lt_u32_e32 vcc_lo, s3, v8
	v_lshrrev_b32_e32 v3, 8, v3
	v_mul_lo_u32 v14, v14, s4
	v_lshrrev_b32_e32 v9, 8, v9
	v_mul_lo_u32 v15, v15, s6
	s_wait_alu 0xfffd
	v_cndmask_b32_e64 v8, 0, 1, vcc_lo
	v_cmp_lt_u32_e32 vcc_lo, s3, v7
	v_lshlrev_b16 v6, 8, v6
	v_lshlrev_b16 v1, 8, v1
	;; [unrolled: 1-line block ×4, first 2 shown]
	s_wait_alu 0xfffd
	v_cndmask_b32_e64 v7, 0, 1, vcc_lo
	v_cmp_lt_u32_e32 vcc_lo, s3, v12
	v_lshlrev_b16 v3, 8, v3
	v_sub_nc_u32_e32 v10, v14, v15
	v_or_b32_e32 v1, v4, v1
	v_or_b32_e32 v4, v8, v5
	s_wait_alu 0xfffd
	v_cndmask_b32_e64 v12, 0, 1, vcc_lo
	v_cmp_lt_u32_e32 vcc_lo, s3, v11
	v_or_b32_e32 v5, v7, v6
	v_and_b32_e32 v2, 0xffff, v2
	v_lshlrev_b32_e32 v1, 16, v1
	v_or_b32_e32 v6, v12, v9
	s_wait_alu 0xfffd
	v_cndmask_b32_e64 v11, 0, 1, vcc_lo
	v_and_b32_e32 v4, 0xffff, v4
	v_lshlrev_b32_e32 v5, 16, v5
	v_cmp_lt_u32_e32 vcc_lo, s3, v10
	v_and_b32_e32 v6, 0xffff, v6
	v_or_b32_e32 v3, v11, v3
	v_or_b32_e32 v51, v2, v1
	;; [unrolled: 1-line block ×3, first 2 shown]
	s_wait_alu 0xfffd
	v_cndmask_b32_e64 v46, 0, 1, vcc_lo
	v_lshlrev_b32_e32 v3, 16, v3
	s_delay_alu instid0(VALU_DEP_1)
	v_or_b32_e32 v47, v6, v3
	s_clause 0x1
	s_load_b64 s[10:11], s[0:1], 0x28
	s_load_b64 s[20:21], s[0:1], 0x68
	s_cbranch_execz .LBB1919_7
	s_branch .LBB1919_34
.LBB1919_6:
                                        ; implicit-def: $vgpr46
                                        ; implicit-def: $vgpr47
                                        ; implicit-def: $vgpr49
                                        ; implicit-def: $vgpr51
	s_clause 0x1
	s_load_b64 s[10:11], s[0:1], 0x28
	s_load_b64 s[20:21], s[0:1], 0x68
.LBB1919_7:
	v_dual_mov_b32 v2, 0 :: v_dual_mov_b32 v1, 0
	s_mov_b32 s0, exec_lo
	v_cmpx_gt_u32_e64 s23, v45
	s_cbranch_execz .LBB1919_9
; %bb.8:
	v_add_nc_u32_e32 v1, s5, v28
	v_add_nc_u32_e32 v3, s7, v28
	s_delay_alu instid0(VALU_DEP_2) | instskip(NEXT) | instid1(VALU_DEP_2)
	v_mul_lo_u32 v1, v1, s4
	v_mul_lo_u32 v3, v3, s6
	s_delay_alu instid0(VALU_DEP_1) | instskip(NEXT) | instid1(VALU_DEP_1)
	v_sub_nc_u32_e32 v1, v1, v3
	v_cmp_lt_u32_e32 vcc_lo, s3, v1
	s_wait_alu 0xfffd
	v_cndmask_b32_e64 v1, 0, 1, vcc_lo
.LBB1919_9:
	s_or_b32 exec_lo, exec_lo, s0
	v_add_nc_u32_e32 v3, 1, v45
	s_mov_b32 s0, exec_lo
	s_delay_alu instid0(VALU_DEP_1)
	v_cmpx_gt_u32_e64 s23, v3
	s_cbranch_execz .LBB1919_11
; %bb.10:
	v_add_nc_u32_e32 v2, s5, v29
	v_add_nc_u32_e32 v3, s7, v29
	s_delay_alu instid0(VALU_DEP_2) | instskip(NEXT) | instid1(VALU_DEP_2)
	v_mul_lo_u32 v2, v2, s4
	v_mul_lo_u32 v3, v3, s6
	s_delay_alu instid0(VALU_DEP_1) | instskip(NEXT) | instid1(VALU_DEP_1)
	v_sub_nc_u32_e32 v2, v2, v3
	v_cmp_lt_u32_e32 vcc_lo, s3, v2
	s_wait_alu 0xfffd
	v_cndmask_b32_e64 v2, 0, 1, vcc_lo
.LBB1919_11:
	s_or_b32 exec_lo, exec_lo, s0
	v_dual_mov_b32 v4, 0 :: v_dual_add_nc_u32 v3, 2, v45
	s_delay_alu instid0(VALU_DEP_1)
	v_cmp_gt_u32_e32 vcc_lo, s23, v3
	v_mov_b32_e32 v3, 0
	s_and_saveexec_b32 s0, vcc_lo
	s_cbranch_execz .LBB1919_13
; %bb.12:
	v_add_nc_u32_e32 v3, s5, v26
	v_add_nc_u32_e32 v5, s7, v26
	s_delay_alu instid0(VALU_DEP_2) | instskip(NEXT) | instid1(VALU_DEP_2)
	v_mul_lo_u32 v3, v3, s4
	v_mul_lo_u32 v5, v5, s6
	s_delay_alu instid0(VALU_DEP_1) | instskip(NEXT) | instid1(VALU_DEP_1)
	v_sub_nc_u32_e32 v3, v3, v5
	v_cmp_lt_u32_e32 vcc_lo, s3, v3
	s_wait_alu 0xfffd
	v_cndmask_b32_e64 v3, 0, 1, vcc_lo
.LBB1919_13:
	s_or_b32 exec_lo, exec_lo, s0
	v_add_nc_u32_e32 v5, 3, v45
	s_mov_b32 s0, exec_lo
	s_delay_alu instid0(VALU_DEP_1)
	v_cmpx_gt_u32_e64 s23, v5
	s_cbranch_execz .LBB1919_15
; %bb.14:
	v_add_nc_u32_e32 v4, s5, v27
	v_add_nc_u32_e32 v5, s7, v27
	s_delay_alu instid0(VALU_DEP_2) | instskip(NEXT) | instid1(VALU_DEP_2)
	v_mul_lo_u32 v4, v4, s4
	v_mul_lo_u32 v5, v5, s6
	s_delay_alu instid0(VALU_DEP_1) | instskip(NEXT) | instid1(VALU_DEP_1)
	v_sub_nc_u32_e32 v4, v4, v5
	v_cmp_lt_u32_e32 vcc_lo, s3, v4
	s_wait_alu 0xfffd
	v_cndmask_b32_e64 v4, 0, 1, vcc_lo
.LBB1919_15:
	s_or_b32 exec_lo, exec_lo, s0
	v_dual_mov_b32 v6, 0 :: v_dual_add_nc_u32 v5, 4, v45
	s_delay_alu instid0(VALU_DEP_1)
	v_cmp_gt_u32_e32 vcc_lo, s23, v5
	v_mov_b32_e32 v5, 0
	s_and_saveexec_b32 s0, vcc_lo
	;; [unrolled: 37-line block ×5, first 2 shown]
	s_cbranch_execz .LBB1919_29
; %bb.28:
	v_add_nc_u32_e32 v11, s5, v18
	v_add_nc_u32_e32 v13, s7, v18
	s_delay_alu instid0(VALU_DEP_2) | instskip(NEXT) | instid1(VALU_DEP_2)
	v_mul_lo_u32 v11, v11, s4
	v_mul_lo_u32 v13, v13, s6
	s_delay_alu instid0(VALU_DEP_1) | instskip(NEXT) | instid1(VALU_DEP_1)
	v_sub_nc_u32_e32 v11, v11, v13
	v_cmp_lt_u32_e32 vcc_lo, s3, v11
	s_wait_alu 0xfffd
	v_cndmask_b32_e64 v11, 0, 1, vcc_lo
.LBB1919_29:
	s_or_b32 exec_lo, exec_lo, s0
	v_add_nc_u32_e32 v13, 11, v45
	s_mov_b32 s0, exec_lo
	s_delay_alu instid0(VALU_DEP_1)
	v_cmpx_gt_u32_e64 s23, v13
	s_cbranch_execz .LBB1919_31
; %bb.30:
	v_add_nc_u32_e32 v12, s5, v19
	v_add_nc_u32_e32 v13, s7, v19
	s_delay_alu instid0(VALU_DEP_2) | instskip(NEXT) | instid1(VALU_DEP_2)
	v_mul_lo_u32 v12, v12, s4
	v_mul_lo_u32 v13, v13, s6
	s_delay_alu instid0(VALU_DEP_1) | instskip(NEXT) | instid1(VALU_DEP_1)
	v_sub_nc_u32_e32 v12, v12, v13
	v_cmp_lt_u32_e32 vcc_lo, s3, v12
	s_wait_alu 0xfffd
	v_cndmask_b32_e64 v12, 0, 1, vcc_lo
.LBB1919_31:
	s_or_b32 exec_lo, exec_lo, s0
	v_dual_mov_b32 v46, 0 :: v_dual_add_nc_u32 v13, 12, v45
	s_mov_b32 s0, exec_lo
	s_delay_alu instid0(VALU_DEP_1)
	v_cmpx_gt_u32_e64 s23, v13
	s_cbranch_execz .LBB1919_33
; %bb.32:
	v_add_nc_u32_e32 v13, s5, v44
	v_add_nc_u32_e32 v14, s7, v44
	s_delay_alu instid0(VALU_DEP_2) | instskip(NEXT) | instid1(VALU_DEP_2)
	v_mul_lo_u32 v13, v13, s4
	v_mul_lo_u32 v14, v14, s6
	s_delay_alu instid0(VALU_DEP_1) | instskip(NEXT) | instid1(VALU_DEP_1)
	v_sub_nc_u32_e32 v13, v13, v14
	v_cmp_lt_u32_e32 vcc_lo, s3, v13
	s_wait_alu 0xfffd
	v_cndmask_b32_e64 v46, 0, 1, vcc_lo
.LBB1919_33:
	s_or_b32 exec_lo, exec_lo, s0
	v_lshlrev_b16 v2, 8, v2
	v_lshlrev_b16 v4, 8, v4
	;; [unrolled: 1-line block ×5, first 2 shown]
	v_or_b32_e32 v1, v1, v2
	v_lshlrev_b16 v2, 8, v12
	v_or_b32_e32 v3, v3, v4
	v_or_b32_e32 v4, v5, v6
	;; [unrolled: 1-line block ×5, first 2 shown]
	v_and_b32_e32 v1, 0xffff, v1
	v_lshlrev_b32_e32 v3, 16, v3
	v_and_b32_e32 v4, 0xffff, v4
	v_lshlrev_b32_e32 v5, 16, v5
	v_and_b32_e32 v6, 0xffff, v6
	v_lshlrev_b32_e32 v2, 16, v2
	v_or_b32_e32 v51, v1, v3
	s_delay_alu instid0(VALU_DEP_4) | instskip(NEXT) | instid1(VALU_DEP_3)
	v_or_b32_e32 v49, v4, v5
	v_or_b32_e32 v47, v6, v2
.LBB1919_34:
	s_delay_alu instid0(VALU_DEP_3)
	v_and_b32_e32 v53, 0xff, v51
	v_bfe_u32 v54, v51, 8, 8
	v_bfe_u32 v55, v51, 16, 8
	v_lshrrev_b32_e32 v52, 24, v51
	v_and_b32_e32 v56, 0xff, v49
	v_bfe_u32 v57, v49, 8, 8
	v_bfe_u32 v58, v49, 16, 8
	v_add3_u32 v1, v54, v53, v55
	v_lshrrev_b32_e32 v50, 24, v49
	v_and_b32_e32 v59, 0xff, v47
	v_bfe_u32 v60, v47, 8, 8
	v_mbcnt_lo_u32_b32 v62, -1, 0
	v_add3_u32 v1, v1, v52, v56
	v_bfe_u32 v61, v47, 16, 8
	v_lshrrev_b32_e32 v48, 24, v47
	v_and_b32_e32 v2, 0xff, v46
	v_and_b32_e32 v3, 15, v62
	v_add3_u32 v1, v1, v57, v58
	v_or_b32_e32 v4, 31, v0
	v_and_b32_e32 v5, 16, v62
	v_lshrrev_b32_e32 v63, 5, v0
	v_cmp_eq_u32_e64 s5, 0, v3
	v_add3_u32 v1, v1, v50, v59
	v_cmp_lt_u32_e64 s4, 1, v3
	v_cmp_lt_u32_e64 s3, 3, v3
	;; [unrolled: 1-line block ×3, first 2 shown]
	v_cmp_eq_u32_e64 s1, 0, v5
	v_add3_u32 v1, v1, v60, v61
	v_cmp_eq_u32_e64 s0, v0, v4
	s_cmp_lg_u32 ttmp9, 0
	s_mov_b32 s6, -1
	v_add3_u32 v64, v1, v48, v2
	s_cbranch_scc0 .LBB1919_55
; %bb.35:
	s_delay_alu instid0(VALU_DEP_1) | instskip(SKIP_1) | instid1(VALU_DEP_1)
	v_mov_b32_dpp v1, v64 row_shr:1 row_mask:0xf bank_mask:0xf
	s_wait_alu 0xf1ff
	v_cndmask_b32_e64 v1, v1, 0, s5
	s_delay_alu instid0(VALU_DEP_1) | instskip(NEXT) | instid1(VALU_DEP_1)
	v_add_nc_u32_e32 v1, v1, v64
	v_mov_b32_dpp v2, v1 row_shr:2 row_mask:0xf bank_mask:0xf
	s_delay_alu instid0(VALU_DEP_1) | instskip(NEXT) | instid1(VALU_DEP_1)
	v_cndmask_b32_e64 v2, 0, v2, s4
	v_add_nc_u32_e32 v1, v1, v2
	s_delay_alu instid0(VALU_DEP_1) | instskip(NEXT) | instid1(VALU_DEP_1)
	v_mov_b32_dpp v2, v1 row_shr:4 row_mask:0xf bank_mask:0xf
	v_cndmask_b32_e64 v2, 0, v2, s3
	s_delay_alu instid0(VALU_DEP_1) | instskip(NEXT) | instid1(VALU_DEP_1)
	v_add_nc_u32_e32 v1, v1, v2
	v_mov_b32_dpp v2, v1 row_shr:8 row_mask:0xf bank_mask:0xf
	s_delay_alu instid0(VALU_DEP_1) | instskip(NEXT) | instid1(VALU_DEP_1)
	v_cndmask_b32_e64 v2, 0, v2, s2
	v_add_nc_u32_e32 v1, v1, v2
	ds_swizzle_b32 v2, v1 offset:swizzle(BROADCAST,32,15)
	s_wait_dscnt 0x0
	v_cndmask_b32_e64 v2, v2, 0, s1
	s_delay_alu instid0(VALU_DEP_1)
	v_add_nc_u32_e32 v1, v1, v2
	s_and_saveexec_b32 s6, s0
; %bb.36:
	v_lshlrev_b32_e32 v2, 2, v63
	ds_store_b32 v2, v1
; %bb.37:
	s_wait_alu 0xfffe
	s_or_b32 exec_lo, exec_lo, s6
	s_delay_alu instid0(SALU_CYCLE_1)
	s_mov_b32 s6, exec_lo
	s_wait_loadcnt_dscnt 0x0
	s_barrier_signal -1
	s_barrier_wait -1
	global_inv scope:SCOPE_SE
	v_cmpx_gt_u32_e32 8, v0
	s_cbranch_execz .LBB1919_39
; %bb.38:
	ds_load_b32 v2, v42
	s_wait_dscnt 0x0
	v_mov_b32_dpp v4, v2 row_shr:1 row_mask:0xf bank_mask:0xf
	v_and_b32_e32 v3, 7, v62
	s_delay_alu instid0(VALU_DEP_1) | instskip(SKIP_1) | instid1(VALU_DEP_3)
	v_cmp_ne_u32_e32 vcc_lo, 0, v3
	s_wait_alu 0xfffd
	v_cndmask_b32_e32 v4, 0, v4, vcc_lo
	v_cmp_lt_u32_e32 vcc_lo, 1, v3
	s_delay_alu instid0(VALU_DEP_2) | instskip(NEXT) | instid1(VALU_DEP_1)
	v_add_nc_u32_e32 v2, v4, v2
	v_mov_b32_dpp v4, v2 row_shr:2 row_mask:0xf bank_mask:0xf
	s_wait_alu 0xfffd
	s_delay_alu instid0(VALU_DEP_1) | instskip(SKIP_1) | instid1(VALU_DEP_2)
	v_cndmask_b32_e32 v4, 0, v4, vcc_lo
	v_cmp_lt_u32_e32 vcc_lo, 3, v3
	v_add_nc_u32_e32 v2, v2, v4
	s_delay_alu instid0(VALU_DEP_1) | instskip(SKIP_1) | instid1(VALU_DEP_1)
	v_mov_b32_dpp v4, v2 row_shr:4 row_mask:0xf bank_mask:0xf
	s_wait_alu 0xfffd
	v_cndmask_b32_e32 v3, 0, v4, vcc_lo
	s_delay_alu instid0(VALU_DEP_1)
	v_add_nc_u32_e32 v2, v2, v3
	ds_store_b32 v42, v2
.LBB1919_39:
	s_wait_alu 0xfffe
	s_or_b32 exec_lo, exec_lo, s6
	s_delay_alu instid0(SALU_CYCLE_1)
	s_mov_b32 s7, exec_lo
	v_cmp_gt_u32_e32 vcc_lo, 32, v0
	s_wait_loadcnt_dscnt 0x0
	s_barrier_signal -1
	s_barrier_wait -1
	global_inv scope:SCOPE_SE
                                        ; implicit-def: $vgpr9
	v_cmpx_lt_u32_e32 31, v0
	s_cbranch_execz .LBB1919_41
; %bb.40:
	v_lshl_add_u32 v2, v63, 2, -4
	ds_load_b32 v9, v2
	s_wait_dscnt 0x0
	v_add_nc_u32_e32 v1, v9, v1
.LBB1919_41:
	s_wait_alu 0xfffe
	s_or_b32 exec_lo, exec_lo, s7
	v_sub_co_u32 v2, s6, v62, 1
	s_delay_alu instid0(VALU_DEP_1) | instskip(SKIP_1) | instid1(VALU_DEP_1)
	v_cmp_gt_i32_e64 s7, 0, v2
	s_wait_alu 0xf1ff
	v_cndmask_b32_e64 v2, v2, v62, s7
	s_delay_alu instid0(VALU_DEP_1)
	v_lshlrev_b32_e32 v2, 2, v2
	ds_bpermute_b32 v10, v2, v1
	s_and_saveexec_b32 s7, vcc_lo
	s_cbranch_execz .LBB1919_60
; %bb.42:
	v_mov_b32_e32 v5, 0
	ds_load_b32 v1, v5 offset:28
	s_and_saveexec_b32 s17, s6
	s_cbranch_execz .LBB1919_44
; %bb.43:
	s_add_co_i32 s24, ttmp9, 32
	s_mov_b32 s25, 0
	v_mov_b32_e32 v2, 1
	s_lshl_b64 s[24:25], s[24:25], 3
	s_wait_kmcnt 0x0
	s_add_nc_u64 s[24:25], s[20:21], s[24:25]
	s_wait_dscnt 0x0
	global_store_b64 v5, v[1:2], s[24:25] scope:SCOPE_DEV
.LBB1919_44:
	s_or_b32 exec_lo, exec_lo, s17
	v_xad_u32 v3, v62, -1, ttmp9
	s_mov_b32 s24, 0
	s_mov_b32 s17, exec_lo
	s_delay_alu instid0(VALU_DEP_1) | instskip(NEXT) | instid1(VALU_DEP_1)
	v_add_nc_u32_e32 v4, 32, v3
	v_lshlrev_b64_e32 v[4:5], 3, v[4:5]
	s_wait_kmcnt 0x0
	s_delay_alu instid0(VALU_DEP_1) | instskip(SKIP_1) | instid1(VALU_DEP_2)
	v_add_co_u32 v7, vcc_lo, s20, v4
	s_wait_alu 0xfffd
	v_add_co_ci_u32_e64 v8, null, s21, v5, vcc_lo
	global_load_b64 v[5:6], v[7:8], off scope:SCOPE_DEV
	s_wait_loadcnt 0x0
	v_and_b32_e32 v2, 0xff, v6
	s_delay_alu instid0(VALU_DEP_1)
	v_cmpx_eq_u16_e32 0, v2
	s_cbranch_execz .LBB1919_47
.LBB1919_45:                            ; =>This Inner Loop Header: Depth=1
	global_load_b64 v[5:6], v[7:8], off scope:SCOPE_DEV
	s_wait_loadcnt 0x0
	v_and_b32_e32 v2, 0xff, v6
	s_delay_alu instid0(VALU_DEP_1) | instskip(SKIP_1) | instid1(SALU_CYCLE_1)
	v_cmp_ne_u16_e32 vcc_lo, 0, v2
	s_or_b32 s24, vcc_lo, s24
	s_and_not1_b32 exec_lo, exec_lo, s24
	s_cbranch_execnz .LBB1919_45
; %bb.46:
	s_or_b32 exec_lo, exec_lo, s24
.LBB1919_47:
	s_delay_alu instid0(SALU_CYCLE_1)
	s_or_b32 exec_lo, exec_lo, s17
	v_cmp_ne_u32_e32 vcc_lo, 31, v62
	v_lshlrev_b32_e64 v12, v62, -1
	v_add_nc_u32_e32 v14, 2, v62
	v_add_nc_u32_e32 v16, 4, v62
	v_add_nc_u32_e32 v65, 8, v62
	s_wait_alu 0xfffd
	v_add_co_ci_u32_e64 v2, null, 0, v62, vcc_lo
	v_lshl_or_b32 v66, v62, 2, 64
	v_add_nc_u32_e32 v67, 16, v62
	s_delay_alu instid0(VALU_DEP_3)
	v_lshlrev_b32_e32 v11, 2, v2
	v_and_b32_e32 v2, 0xff, v6
	ds_bpermute_b32 v4, v11, v5
	v_cmp_eq_u16_e32 vcc_lo, 2, v2
	s_wait_alu 0xfffd
	v_and_or_b32 v2, vcc_lo, v12, 0x80000000
	v_cmp_gt_u32_e32 vcc_lo, 30, v62
	s_delay_alu instid0(VALU_DEP_2) | instskip(SKIP_2) | instid1(VALU_DEP_2)
	v_ctz_i32_b32_e32 v2, v2
	s_wait_alu 0xfffd
	v_cndmask_b32_e64 v7, 0, 2, vcc_lo
	v_cmp_lt_u32_e32 vcc_lo, v62, v2
	s_delay_alu instid0(VALU_DEP_2) | instskip(SKIP_4) | instid1(VALU_DEP_2)
	v_add_lshl_u32 v13, v7, v62, 2
	s_wait_dscnt 0x0
	s_wait_alu 0xfffd
	v_cndmask_b32_e32 v4, 0, v4, vcc_lo
	v_cmp_gt_u32_e32 vcc_lo, 28, v62
	v_add_nc_u32_e32 v4, v4, v5
	s_wait_alu 0xfffd
	v_cndmask_b32_e64 v7, 0, 4, vcc_lo
	v_cmp_le_u32_e32 vcc_lo, v14, v2
	ds_bpermute_b32 v5, v13, v4
	v_add_lshl_u32 v15, v7, v62, 2
	s_wait_dscnt 0x0
	s_wait_alu 0xfffd
	v_cndmask_b32_e32 v5, 0, v5, vcc_lo
	v_cmp_gt_u32_e32 vcc_lo, 24, v62
	s_delay_alu instid0(VALU_DEP_2)
	v_add_nc_u32_e32 v4, v4, v5
	s_wait_alu 0xfffd
	v_cndmask_b32_e64 v7, 0, 8, vcc_lo
	v_cmp_le_u32_e32 vcc_lo, v16, v2
	ds_bpermute_b32 v5, v15, v4
	v_add_lshl_u32 v17, v7, v62, 2
	s_wait_dscnt 0x0
	s_wait_alu 0xfffd
	v_cndmask_b32_e32 v5, 0, v5, vcc_lo
	v_cmp_le_u32_e32 vcc_lo, v65, v2
	s_delay_alu instid0(VALU_DEP_2)
	v_add_nc_u32_e32 v4, v4, v5
	ds_bpermute_b32 v5, v17, v4
	s_wait_dscnt 0x0
	s_wait_alu 0xfffd
	v_cndmask_b32_e32 v5, 0, v5, vcc_lo
	v_cmp_le_u32_e32 vcc_lo, v67, v2
	s_delay_alu instid0(VALU_DEP_2) | instskip(SKIP_4) | instid1(VALU_DEP_1)
	v_add_nc_u32_e32 v4, v4, v5
	ds_bpermute_b32 v5, v66, v4
	s_wait_dscnt 0x0
	s_wait_alu 0xfffd
	v_cndmask_b32_e32 v2, 0, v5, vcc_lo
	v_dual_mov_b32 v4, 0 :: v_dual_add_nc_u32 v5, v4, v2
	s_branch .LBB1919_51
.LBB1919_48:                            ;   in Loop: Header=BB1919_51 Depth=1
	s_or_b32 exec_lo, exec_lo, s24
.LBB1919_49:                            ;   in Loop: Header=BB1919_51 Depth=1
	s_delay_alu instid0(SALU_CYCLE_1) | instskip(SKIP_4) | instid1(VALU_DEP_2)
	s_or_b32 exec_lo, exec_lo, s17
	ds_bpermute_b32 v8, v11, v5
	v_and_b32_e32 v7, 0xff, v6
	v_subrev_nc_u32_e32 v3, 32, v3
	s_mov_b32 s17, 0
	v_cmp_eq_u16_e32 vcc_lo, 2, v7
	s_wait_alu 0xfffd
	v_and_or_b32 v7, vcc_lo, v12, 0x80000000
	s_delay_alu instid0(VALU_DEP_1) | instskip(NEXT) | instid1(VALU_DEP_1)
	v_ctz_i32_b32_e32 v7, v7
	v_cmp_lt_u32_e32 vcc_lo, v62, v7
	s_wait_dscnt 0x0
	s_wait_alu 0xfffd
	v_cndmask_b32_e32 v8, 0, v8, vcc_lo
	v_cmp_le_u32_e32 vcc_lo, v14, v7
	s_delay_alu instid0(VALU_DEP_2)
	v_add_nc_u32_e32 v5, v8, v5
	ds_bpermute_b32 v8, v13, v5
	s_wait_dscnt 0x0
	s_wait_alu 0xfffd
	v_cndmask_b32_e32 v8, 0, v8, vcc_lo
	v_cmp_le_u32_e32 vcc_lo, v16, v7
	s_delay_alu instid0(VALU_DEP_2)
	v_add_nc_u32_e32 v5, v5, v8
	ds_bpermute_b32 v8, v15, v5
	;; [unrolled: 7-line block ×3, first 2 shown]
	s_wait_dscnt 0x0
	s_wait_alu 0xfffd
	v_cndmask_b32_e32 v8, 0, v8, vcc_lo
	v_cmp_le_u32_e32 vcc_lo, v67, v7
	s_delay_alu instid0(VALU_DEP_2) | instskip(SKIP_4) | instid1(VALU_DEP_1)
	v_add_nc_u32_e32 v5, v5, v8
	ds_bpermute_b32 v8, v66, v5
	s_wait_dscnt 0x0
	s_wait_alu 0xfffd
	v_cndmask_b32_e32 v7, 0, v8, vcc_lo
	v_add3_u32 v5, v7, v2, v5
.LBB1919_50:                            ;   in Loop: Header=BB1919_51 Depth=1
	s_and_b32 vcc_lo, exec_lo, s17
	s_wait_alu 0xfffe
	s_cbranch_vccnz .LBB1919_56
.LBB1919_51:                            ; =>This Loop Header: Depth=1
                                        ;     Child Loop BB1919_54 Depth 2
	v_and_b32_e32 v2, 0xff, v6
	s_mov_b32 s17, -1
                                        ; implicit-def: $vgpr6
	s_delay_alu instid0(VALU_DEP_1)
	v_cmp_ne_u16_e32 vcc_lo, 2, v2
	v_mov_b32_e32 v2, v5
                                        ; implicit-def: $vgpr5
	s_cmp_lg_u32 vcc_lo, exec_lo
	s_cbranch_scc1 .LBB1919_50
; %bb.52:                               ;   in Loop: Header=BB1919_51 Depth=1
	v_lshlrev_b64_e32 v[5:6], 3, v[3:4]
	s_mov_b32 s17, exec_lo
	s_delay_alu instid0(VALU_DEP_1) | instskip(SKIP_1) | instid1(VALU_DEP_2)
	v_add_co_u32 v7, vcc_lo, s20, v5
	s_wait_alu 0xfffd
	v_add_co_ci_u32_e64 v8, null, s21, v6, vcc_lo
	global_load_b64 v[5:6], v[7:8], off scope:SCOPE_DEV
	s_wait_loadcnt 0x0
	v_and_b32_e32 v68, 0xff, v6
	s_delay_alu instid0(VALU_DEP_1)
	v_cmpx_eq_u16_e32 0, v68
	s_cbranch_execz .LBB1919_49
; %bb.53:                               ;   in Loop: Header=BB1919_51 Depth=1
	s_mov_b32 s24, 0
.LBB1919_54:                            ;   Parent Loop BB1919_51 Depth=1
                                        ; =>  This Inner Loop Header: Depth=2
	global_load_b64 v[5:6], v[7:8], off scope:SCOPE_DEV
	s_wait_loadcnt 0x0
	v_and_b32_e32 v68, 0xff, v6
	s_delay_alu instid0(VALU_DEP_1) | instskip(SKIP_1) | instid1(SALU_CYCLE_1)
	v_cmp_ne_u16_e32 vcc_lo, 0, v68
	s_or_b32 s24, vcc_lo, s24
	s_and_not1_b32 exec_lo, exec_lo, s24
	s_cbranch_execnz .LBB1919_54
	s_branch .LBB1919_48
.LBB1919_55:
                                        ; implicit-def: $vgpr17
                                        ; implicit-def: $vgpr1_vgpr2_vgpr3_vgpr4_vgpr5_vgpr6_vgpr7_vgpr8_vgpr9_vgpr10_vgpr11_vgpr12_vgpr13_vgpr14_vgpr15_vgpr16
	s_wait_alu 0xfffe
	s_and_b32 vcc_lo, exec_lo, s6
	s_wait_alu 0xfffe
	s_cbranch_vccnz .LBB1919_61
	s_branch .LBB1919_70
.LBB1919_56:
	s_and_saveexec_b32 s17, s6
	s_cbranch_execz .LBB1919_58
; %bb.57:
	s_add_co_i32 s24, ttmp9, 32
	s_mov_b32 s25, 0
	v_dual_mov_b32 v4, 2 :: v_dual_add_nc_u32 v3, v2, v1
	v_mov_b32_e32 v5, 0
	s_lshl_b64 s[24:25], s[24:25], 3
	s_delay_alu instid0(SALU_CYCLE_1)
	s_add_nc_u64 s[24:25], s[20:21], s[24:25]
	global_store_b64 v5, v[3:4], s[24:25] scope:SCOPE_DEV
	ds_store_b64 v5, v[1:2] offset:13312
.LBB1919_58:
	s_or_b32 exec_lo, exec_lo, s17
	v_cmp_eq_u32_e32 vcc_lo, 0, v0
	s_and_b32 exec_lo, exec_lo, vcc_lo
; %bb.59:
	v_mov_b32_e32 v1, 0
	ds_store_b32 v1, v2 offset:28
.LBB1919_60:
	s_wait_alu 0xfffe
	s_or_b32 exec_lo, exec_lo, s7
	s_wait_dscnt 0x0
	v_cndmask_b32_e64 v2, v10, v9, s6
	v_cmp_ne_u32_e32 vcc_lo, 0, v0
	v_mov_b32_e32 v11, 0
	s_wait_loadcnt 0x0
	s_wait_storecnt 0x0
	s_barrier_signal -1
	s_barrier_wait -1
	global_inv scope:SCOPE_SE
	s_wait_alu 0xfffd
	v_cndmask_b32_e32 v2, 0, v2, vcc_lo
	ds_load_b32 v1, v11 offset:28
	s_wait_loadcnt_dscnt 0x0
	s_barrier_signal -1
	s_barrier_wait -1
	global_inv scope:SCOPE_SE
	ds_load_b64 v[16:17], v11 offset:13312
	v_add_nc_u32_e32 v1, v1, v2
	s_delay_alu instid0(VALU_DEP_1) | instskip(NEXT) | instid1(VALU_DEP_1)
	v_add_nc_u32_e32 v2, v1, v53
	v_add_nc_u32_e32 v3, v2, v54
	s_delay_alu instid0(VALU_DEP_1) | instskip(NEXT) | instid1(VALU_DEP_1)
	v_add_nc_u32_e32 v4, v3, v55
	;; [unrolled: 3-line block ×6, first 2 shown]
	v_add_nc_u32_e32 v13, v12, v48
	s_branch .LBB1919_70
.LBB1919_61:
	v_mov_b32_dpp v1, v64 row_shr:1 row_mask:0xf bank_mask:0xf
	s_delay_alu instid0(VALU_DEP_1) | instskip(NEXT) | instid1(VALU_DEP_1)
	v_cndmask_b32_e64 v1, v1, 0, s5
	v_add_nc_u32_e32 v1, v1, v64
	s_delay_alu instid0(VALU_DEP_1) | instskip(NEXT) | instid1(VALU_DEP_1)
	v_mov_b32_dpp v2, v1 row_shr:2 row_mask:0xf bank_mask:0xf
	v_cndmask_b32_e64 v2, 0, v2, s4
	s_delay_alu instid0(VALU_DEP_1) | instskip(NEXT) | instid1(VALU_DEP_1)
	v_add_nc_u32_e32 v1, v1, v2
	v_mov_b32_dpp v2, v1 row_shr:4 row_mask:0xf bank_mask:0xf
	s_delay_alu instid0(VALU_DEP_1) | instskip(NEXT) | instid1(VALU_DEP_1)
	v_cndmask_b32_e64 v2, 0, v2, s3
	v_add_nc_u32_e32 v1, v1, v2
	s_delay_alu instid0(VALU_DEP_1) | instskip(NEXT) | instid1(VALU_DEP_1)
	v_mov_b32_dpp v2, v1 row_shr:8 row_mask:0xf bank_mask:0xf
	v_cndmask_b32_e64 v2, 0, v2, s2
	s_delay_alu instid0(VALU_DEP_1) | instskip(SKIP_3) | instid1(VALU_DEP_1)
	v_add_nc_u32_e32 v1, v1, v2
	ds_swizzle_b32 v2, v1 offset:swizzle(BROADCAST,32,15)
	s_wait_dscnt 0x0
	v_cndmask_b32_e64 v2, v2, 0, s1
	v_add_nc_u32_e32 v1, v1, v2
	s_and_saveexec_b32 s1, s0
; %bb.62:
	v_lshlrev_b32_e32 v2, 2, v63
	ds_store_b32 v2, v1
; %bb.63:
	s_wait_alu 0xfffe
	s_or_b32 exec_lo, exec_lo, s1
	s_delay_alu instid0(SALU_CYCLE_1)
	s_mov_b32 s0, exec_lo
	s_wait_loadcnt_dscnt 0x0
	s_barrier_signal -1
	s_barrier_wait -1
	global_inv scope:SCOPE_SE
	v_cmpx_gt_u32_e32 8, v0
	s_cbranch_execz .LBB1919_65
; %bb.64:
	ds_load_b32 v2, v42
	s_wait_dscnt 0x0
	v_mov_b32_dpp v4, v2 row_shr:1 row_mask:0xf bank_mask:0xf
	v_and_b32_e32 v3, 7, v62
	s_delay_alu instid0(VALU_DEP_1) | instskip(SKIP_1) | instid1(VALU_DEP_3)
	v_cmp_ne_u32_e32 vcc_lo, 0, v3
	s_wait_alu 0xfffd
	v_cndmask_b32_e32 v4, 0, v4, vcc_lo
	v_cmp_lt_u32_e32 vcc_lo, 1, v3
	s_delay_alu instid0(VALU_DEP_2) | instskip(NEXT) | instid1(VALU_DEP_1)
	v_add_nc_u32_e32 v2, v4, v2
	v_mov_b32_dpp v4, v2 row_shr:2 row_mask:0xf bank_mask:0xf
	s_wait_alu 0xfffd
	s_delay_alu instid0(VALU_DEP_1) | instskip(SKIP_1) | instid1(VALU_DEP_2)
	v_cndmask_b32_e32 v4, 0, v4, vcc_lo
	v_cmp_lt_u32_e32 vcc_lo, 3, v3
	v_add_nc_u32_e32 v2, v2, v4
	s_delay_alu instid0(VALU_DEP_1) | instskip(SKIP_1) | instid1(VALU_DEP_1)
	v_mov_b32_dpp v4, v2 row_shr:4 row_mask:0xf bank_mask:0xf
	s_wait_alu 0xfffd
	v_cndmask_b32_e32 v3, 0, v4, vcc_lo
	s_delay_alu instid0(VALU_DEP_1)
	v_add_nc_u32_e32 v2, v2, v3
	ds_store_b32 v42, v2
.LBB1919_65:
	s_wait_alu 0xfffe
	s_or_b32 exec_lo, exec_lo, s0
	v_dual_mov_b32 v3, 0 :: v_dual_mov_b32 v2, 0
	s_mov_b32 s0, exec_lo
	s_wait_loadcnt_dscnt 0x0
	s_barrier_signal -1
	s_barrier_wait -1
	global_inv scope:SCOPE_SE
	v_cmpx_lt_u32_e32 31, v0
; %bb.66:
	v_lshl_add_u32 v2, v63, 2, -4
	ds_load_b32 v2, v2
; %bb.67:
	s_wait_alu 0xfffe
	s_or_b32 exec_lo, exec_lo, s0
	v_sub_co_u32 v4, vcc_lo, v62, 1
	s_wait_dscnt 0x0
	v_add_nc_u32_e32 v1, v2, v1
	ds_load_b32 v16, v3 offset:28
	v_cmp_gt_i32_e64 s0, 0, v4
	s_wait_alu 0xf1ff
	s_delay_alu instid0(VALU_DEP_1) | instskip(SKIP_1) | instid1(VALU_DEP_2)
	v_cndmask_b32_e64 v4, v4, v62, s0
	v_cmp_eq_u32_e64 s0, 0, v0
	v_lshlrev_b32_e32 v4, 2, v4
	ds_bpermute_b32 v1, v4, v1
	s_and_saveexec_b32 s1, s0
	s_cbranch_execz .LBB1919_69
; %bb.68:
	v_mov_b32_e32 v3, 0
	v_mov_b32_e32 v17, 2
	s_wait_dscnt 0x1
	s_wait_kmcnt 0x0
	global_store_b64 v3, v[16:17], s[20:21] offset:256 scope:SCOPE_DEV
.LBB1919_69:
	s_wait_alu 0xfffe
	s_or_b32 exec_lo, exec_lo, s1
	s_wait_dscnt 0x0
	s_wait_alu 0xfffd
	v_cndmask_b32_e32 v1, v1, v2, vcc_lo
	s_wait_loadcnt 0x0
	s_wait_storecnt 0x0
	s_barrier_signal -1
	s_barrier_wait -1
	global_inv scope:SCOPE_SE
	v_cndmask_b32_e64 v1, v1, 0, s0
	s_delay_alu instid0(VALU_DEP_1) | instskip(NEXT) | instid1(VALU_DEP_1)
	v_dual_mov_b32 v17, 0 :: v_dual_add_nc_u32 v2, v1, v53
	v_add_nc_u32_e32 v3, v2, v54
	s_delay_alu instid0(VALU_DEP_1) | instskip(NEXT) | instid1(VALU_DEP_1)
	v_add_nc_u32_e32 v4, v3, v55
	v_add_nc_u32_e32 v5, v4, v52
	s_delay_alu instid0(VALU_DEP_1) | instskip(NEXT) | instid1(VALU_DEP_1)
	v_add_nc_u32_e32 v6, v5, v56
	;; [unrolled: 3-line block ×5, first 2 shown]
	v_add_nc_u32_e32 v13, v12, v48
.LBB1919_70:
	v_lshrrev_b32_e32 v56, 8, v51
	v_lshrrev_b32_e32 v55, 16, v51
	s_wait_dscnt 0x0
	v_sub_nc_u32_e32 v1, v1, v17
	v_and_b32_e32 v51, 1, v51
	v_sub_nc_u32_e32 v3, v3, v17
	v_add_nc_u32_e32 v45, v16, v45
	v_sub_nc_u32_e32 v2, v2, v17
	v_sub_nc_u32_e32 v4, v4, v17
	v_cmp_eq_u32_e32 vcc_lo, 1, v51
	v_and_b32_e32 v51, 1, v55
	v_sub_nc_u32_e32 v57, v45, v1
	v_and_b32_e32 v56, 1, v56
	v_sub_nc_u32_e32 v55, v45, v2
	v_lshrrev_b32_e32 v54, 8, v49
	v_lshrrev_b32_e32 v53, 16, v49
	s_wait_alu 0xfffd
	v_cndmask_b32_e32 v1, v57, v1, vcc_lo
	v_sub_nc_u32_e32 v57, v45, v3
	v_add_nc_u32_e32 v55, 1, v55
	v_cmp_eq_u32_e32 vcc_lo, 1, v56
	v_and_b32_e32 v52, 1, v52
	v_lshlrev_b32_e32 v1, 2, v1
	v_add_nc_u32_e32 v57, 2, v57
	v_lshrrev_b32_e32 v15, 8, v47
	v_lshrrev_b32_e32 v14, 16, v47
	ds_store_b32 v1, v28
	s_wait_alu 0xfffd
	v_cndmask_b32_e32 v1, v55, v2, vcc_lo
	v_cmp_eq_u32_e32 vcc_lo, 1, v51
	s_wait_alu 0xfffd
	s_delay_alu instid0(VALU_DEP_2)
	v_dual_cndmask_b32 v2, v57, v3 :: v_dual_lshlrev_b32 v1, 2, v1
	v_sub_nc_u32_e32 v58, v45, v4
	v_cmp_eq_u32_e32 vcc_lo, 1, v52
	ds_store_b32 v1, v29
	v_lshlrev_b32_e32 v2, 2, v2
	v_add_nc_u32_e32 v58, 3, v58
	s_wait_alu 0xfffd
	s_delay_alu instid0(VALU_DEP_1) | instskip(SKIP_2) | instid1(VALU_DEP_3)
	v_cndmask_b32_e32 v3, v58, v4, vcc_lo
	v_sub_nc_u32_e32 v4, v5, v17
	v_sub_nc_u32_e32 v5, v6, v17
	v_lshlrev_b32_e32 v3, 2, v3
	s_delay_alu instid0(VALU_DEP_3) | instskip(NEXT) | instid1(VALU_DEP_3)
	v_sub_nc_u32_e32 v1, v45, v4
	v_sub_nc_u32_e32 v6, v45, v5
	ds_store_b32 v2, v26
	ds_store_b32 v3, v27
	v_and_b32_e32 v2, 1, v49
	v_add_nc_u32_e32 v1, 4, v1
	v_add_nc_u32_e32 v3, 5, v6
	v_sub_nc_u32_e32 v6, v7, v17
	v_and_b32_e32 v7, 1, v54
	v_cmp_eq_u32_e32 vcc_lo, 1, v2
	v_sub_nc_u32_e32 v2, v8, v17
	s_wait_alu 0xfffd
	v_dual_cndmask_b32 v1, v1, v4 :: v_dual_and_b32 v8, 1, v50
	v_sub_nc_u32_e32 v4, v45, v6
	v_cmp_eq_u32_e32 vcc_lo, 1, v7
	v_and_b32_e32 v7, 1, v53
	s_delay_alu instid0(VALU_DEP_4)
	v_lshlrev_b32_e32 v1, 2, v1
	s_wait_alu 0xfffd
	v_dual_cndmask_b32 v3, v3, v5 :: v_dual_add_nc_u32 v4, 6, v4
	v_sub_nc_u32_e32 v5, v45, v2
	v_cmp_eq_u32_e32 vcc_lo, 1, v7
	v_sub_nc_u32_e32 v7, v13, v17
	s_delay_alu instid0(VALU_DEP_4)
	v_lshlrev_b32_e32 v3, 2, v3
	s_wait_alu 0xfffd
	v_dual_cndmask_b32 v4, v4, v6 :: v_dual_add_nc_u32 v5, 7, v5
	v_cmp_eq_u32_e32 vcc_lo, 1, v8
	v_sub_nc_u32_e32 v6, v9, v17
	ds_store_b32 v1, v24
	ds_store_b32 v3, v25
	s_wait_alu 0xfffd
	v_dual_cndmask_b32 v2, v5, v2 :: v_dual_lshlrev_b32 v3, 2, v4
	v_and_b32_e32 v5, 1, v47
	v_sub_nc_u32_e32 v1, v45, v6
	v_sub_nc_u32_e32 v4, v10, v17
	v_and_b32_e32 v10, 1, v48
	s_delay_alu instid0(VALU_DEP_4) | instskip(SKIP_2) | instid1(VALU_DEP_2)
	v_cmp_eq_u32_e32 vcc_lo, 1, v5
	v_sub_nc_u32_e32 v5, v12, v17
	v_add_nc_u32_e32 v1, 8, v1
	v_sub_nc_u32_e32 v9, v45, v5
	s_wait_alu 0xfffd
	s_delay_alu instid0(VALU_DEP_2)
	v_dual_cndmask_b32 v1, v1, v6 :: v_dual_and_b32 v6, 1, v15
	s_wait_kmcnt 0x0
	v_add_co_u32 v15, s0, s18, v17
	v_add_nc_u32_e32 v9, 11, v9
	v_lshlrev_b32_e32 v2, 2, v2
	ds_store_b32 v3, v22
	ds_store_b32 v2, v23
	v_sub_nc_u32_e32 v3, v11, v17
	v_sub_nc_u32_e32 v2, v45, v4
	v_cmp_eq_u32_e32 vcc_lo, 1, v6
	v_and_b32_e32 v11, 1, v46
	v_lshlrev_b32_e32 v1, 2, v1
	v_sub_nc_u32_e32 v8, v45, v3
	v_add_nc_u32_e32 v2, 9, v2
	s_wait_alu 0xf1ff
	v_add_co_ci_u32_e64 v17, null, s19, 0, s0
	s_delay_alu instid0(VALU_DEP_3) | instskip(SKIP_4) | instid1(VALU_DEP_3)
	v_add_nc_u32_e32 v6, 10, v8
	v_and_b32_e32 v8, 1, v14
	s_wait_alu 0xfffd
	v_cndmask_b32_e32 v2, v2, v4, vcc_lo
	v_sub_nc_u32_e32 v4, v45, v7
	v_cmp_eq_u32_e32 vcc_lo, 1, v8
	s_delay_alu instid0(VALU_DEP_3) | instskip(SKIP_1) | instid1(VALU_DEP_3)
	v_lshlrev_b32_e32 v2, 2, v2
	s_wait_alu 0xfffd
	v_dual_cndmask_b32 v3, v6, v3 :: v_dual_add_nc_u32 v4, 12, v4
	v_cmp_eq_u32_e32 vcc_lo, 1, v10
	s_delay_alu instid0(VALU_DEP_2) | instskip(SKIP_4) | instid1(VALU_DEP_2)
	v_lshlrev_b32_e32 v3, 2, v3
	s_wait_alu 0xfffd
	v_cndmask_b32_e32 v5, v9, v5, vcc_lo
	v_cmp_eq_u32_e32 vcc_lo, 1, v11
	s_wait_alu 0xfffd
	v_dual_cndmask_b32 v4, v4, v7 :: v_dual_lshlrev_b32 v5, 2, v5
	v_cmp_ne_u32_e32 vcc_lo, 1, v43
	s_delay_alu instid0(VALU_DEP_2)
	v_lshlrev_b32_e32 v4, 2, v4
	ds_store_b32 v1, v20
	ds_store_b32 v2, v21
	;; [unrolled: 1-line block ×5, first 2 shown]
	s_wait_loadcnt_dscnt 0x0
	s_barrier_signal -1
	s_barrier_wait -1
	global_inv scope:SCOPE_SE
	ds_load_2addr_stride64_b32 v[11:12], v42 offset1:4
	ds_load_2addr_stride64_b32 v[9:10], v42 offset0:8 offset1:12
	ds_load_2addr_stride64_b32 v[7:8], v42 offset0:16 offset1:20
	;; [unrolled: 1-line block ×5, first 2 shown]
	ds_load_b32 v18, v42 offset:12288
	s_cbranch_vccnz .LBB1919_124
; %bb.71:
	s_mov_b32 s17, 0
	v_sub_co_u32 v13, vcc_lo, v15, s12
	s_sub_nc_u64 s[0:1], s[14:15], s[16:17]
	s_wait_alu 0xfffd
	v_subrev_co_ci_u32_e64 v14, null, s13, v17, vcc_lo
	s_wait_alu 0xfffe
	v_add_co_u32 v19, s0, s0, v16
	s_wait_alu 0xf1ff
	v_add_co_ci_u32_e64 v20, null, s1, 0, s0
	s_mov_b32 s0, exec_lo
	v_add_co_u32 v19, vcc_lo, v19, v13
	s_wait_alu 0xfffd
	v_add_co_ci_u32_e64 v20, null, v20, v14, vcc_lo
                                        ; implicit-def: $vgpr13_vgpr14
	v_cmpx_ge_u32_e64 v0, v16
	s_wait_alu 0xfffe
	s_xor_b32 s0, exec_lo, s0
; %bb.72:
	v_not_b32_e32 v13, v0
	s_delay_alu instid0(VALU_DEP_1) | instskip(SKIP_2) | instid1(VALU_DEP_2)
	v_ashrrev_i32_e32 v14, 31, v13
	v_add_co_u32 v13, vcc_lo, v19, v13
	s_wait_alu 0xfffd
	v_add_co_ci_u32_e64 v14, null, v20, v14, vcc_lo
; %bb.73:
	s_wait_alu 0xfffe
	s_and_not1_saveexec_b32 s0, s0
; %bb.74:
	v_add_co_u32 v13, vcc_lo, v15, v0
	s_wait_alu 0xfffd
	v_add_co_ci_u32_e64 v14, null, 0, v17, vcc_lo
; %bb.75:
	s_wait_alu 0xfffe
	s_or_b32 exec_lo, exec_lo, s0
	s_delay_alu instid0(VALU_DEP_1) | instskip(SKIP_1) | instid1(VALU_DEP_1)
	v_lshlrev_b64_e32 v[13:14], 2, v[13:14]
	s_mov_b32 s0, exec_lo
	v_add_co_u32 v13, vcc_lo, s10, v13
	s_wait_alu 0xfffd
	s_delay_alu instid0(VALU_DEP_2)
	v_add_co_ci_u32_e64 v14, null, s11, v14, vcc_lo
	s_wait_dscnt 0x6
	global_store_b32 v[13:14], v11, off
                                        ; implicit-def: $vgpr13_vgpr14
	v_cmpx_ge_u32_e64 v41, v16
	s_wait_alu 0xfffe
	s_xor_b32 s0, exec_lo, s0
; %bb.76:
	v_xor_b32_e32 v13, 0xfffffeff, v0
	s_delay_alu instid0(VALU_DEP_1) | instskip(SKIP_2) | instid1(VALU_DEP_2)
	v_ashrrev_i32_e32 v14, 31, v13
	v_add_co_u32 v13, vcc_lo, v19, v13
	s_wait_alu 0xfffd
	v_add_co_ci_u32_e64 v14, null, v20, v14, vcc_lo
; %bb.77:
	s_wait_alu 0xfffe
	s_and_not1_saveexec_b32 s0, s0
; %bb.78:
	v_add_co_u32 v13, vcc_lo, v15, v41
	s_wait_alu 0xfffd
	v_add_co_ci_u32_e64 v14, null, 0, v17, vcc_lo
; %bb.79:
	s_wait_alu 0xfffe
	s_or_b32 exec_lo, exec_lo, s0
	s_delay_alu instid0(VALU_DEP_1) | instskip(SKIP_1) | instid1(VALU_DEP_1)
	v_lshlrev_b64_e32 v[13:14], 2, v[13:14]
	s_mov_b32 s0, exec_lo
	v_add_co_u32 v13, vcc_lo, s10, v13
	s_wait_alu 0xfffd
	s_delay_alu instid0(VALU_DEP_2)
	v_add_co_ci_u32_e64 v14, null, s11, v14, vcc_lo
	global_store_b32 v[13:14], v12, off
                                        ; implicit-def: $vgpr13_vgpr14
	v_cmpx_ge_u32_e64 v40, v16
	s_wait_alu 0xfffe
	s_xor_b32 s0, exec_lo, s0
; %bb.80:
	v_xor_b32_e32 v13, 0xfffffdff, v0
	s_delay_alu instid0(VALU_DEP_1) | instskip(SKIP_2) | instid1(VALU_DEP_2)
	v_ashrrev_i32_e32 v14, 31, v13
	v_add_co_u32 v13, vcc_lo, v19, v13
	s_wait_alu 0xfffd
	v_add_co_ci_u32_e64 v14, null, v20, v14, vcc_lo
; %bb.81:
	s_wait_alu 0xfffe
	s_and_not1_saveexec_b32 s0, s0
; %bb.82:
	v_add_co_u32 v13, vcc_lo, v15, v40
	s_wait_alu 0xfffd
	v_add_co_ci_u32_e64 v14, null, 0, v17, vcc_lo
; %bb.83:
	s_wait_alu 0xfffe
	s_or_b32 exec_lo, exec_lo, s0
	s_delay_alu instid0(VALU_DEP_1) | instskip(SKIP_1) | instid1(VALU_DEP_1)
	v_lshlrev_b64_e32 v[13:14], 2, v[13:14]
	s_mov_b32 s0, exec_lo
	v_add_co_u32 v13, vcc_lo, s10, v13
	s_wait_alu 0xfffd
	s_delay_alu instid0(VALU_DEP_2)
	v_add_co_ci_u32_e64 v14, null, s11, v14, vcc_lo
	s_wait_dscnt 0x5
	global_store_b32 v[13:14], v9, off
                                        ; implicit-def: $vgpr13_vgpr14
	v_cmpx_ge_u32_e64 v39, v16
	s_wait_alu 0xfffe
	s_xor_b32 s0, exec_lo, s0
; %bb.84:
	v_xor_b32_e32 v13, 0xfffffcff, v0
	s_delay_alu instid0(VALU_DEP_1) | instskip(SKIP_2) | instid1(VALU_DEP_2)
	v_ashrrev_i32_e32 v14, 31, v13
	v_add_co_u32 v13, vcc_lo, v19, v13
	s_wait_alu 0xfffd
	v_add_co_ci_u32_e64 v14, null, v20, v14, vcc_lo
; %bb.85:
	s_wait_alu 0xfffe
	s_and_not1_saveexec_b32 s0, s0
; %bb.86:
	v_add_co_u32 v13, vcc_lo, v15, v39
	s_wait_alu 0xfffd
	v_add_co_ci_u32_e64 v14, null, 0, v17, vcc_lo
; %bb.87:
	s_wait_alu 0xfffe
	s_or_b32 exec_lo, exec_lo, s0
	s_delay_alu instid0(VALU_DEP_1) | instskip(SKIP_1) | instid1(VALU_DEP_1)
	v_lshlrev_b64_e32 v[13:14], 2, v[13:14]
	s_mov_b32 s0, exec_lo
	v_add_co_u32 v13, vcc_lo, s10, v13
	s_wait_alu 0xfffd
	s_delay_alu instid0(VALU_DEP_2)
	v_add_co_ci_u32_e64 v14, null, s11, v14, vcc_lo
	global_store_b32 v[13:14], v10, off
                                        ; implicit-def: $vgpr13_vgpr14
	v_cmpx_ge_u32_e64 v38, v16
	s_wait_alu 0xfffe
	s_xor_b32 s0, exec_lo, s0
; %bb.88:
	v_xor_b32_e32 v13, 0xfffffbff, v0
	;; [unrolled: 59-line block ×6, first 2 shown]
	s_delay_alu instid0(VALU_DEP_1) | instskip(SKIP_2) | instid1(VALU_DEP_2)
	v_ashrrev_i32_e32 v14, 31, v13
	v_add_co_u32 v13, vcc_lo, v19, v13
	s_wait_alu 0xfffd
	v_add_co_ci_u32_e64 v14, null, v20, v14, vcc_lo
; %bb.121:
	s_wait_alu 0xfffe
	s_and_not1_saveexec_b32 s0, s0
; %bb.122:
	v_add_co_u32 v13, vcc_lo, v15, v30
	s_wait_alu 0xfffd
	v_add_co_ci_u32_e64 v14, null, 0, v17, vcc_lo
; %bb.123:
	s_wait_alu 0xfffe
	s_or_b32 exec_lo, exec_lo, s0
	s_mov_b32 s0, -1
	s_branch .LBB1919_204
.LBB1919_124:
	s_mov_b32 s0, 0
                                        ; implicit-def: $vgpr13_vgpr14
	s_cbranch_execz .LBB1919_204
; %bb.125:
	s_mov_b32 s17, 0
	s_delay_alu instid0(SALU_CYCLE_1)
	s_add_nc_u64 s[2:3], s[12:13], s[16:17]
	s_wait_alu 0xfffe
	s_sub_nc_u64 s[2:3], s[14:15], s[2:3]
	s_wait_alu 0xfffe
	v_add_co_u32 v13, s1, s2, v16
	s_wait_alu 0xf1ff
	v_add_co_ci_u32_e64 v14, null, s3, 0, s1
	s_mov_b32 s1, exec_lo
	v_add_co_u32 v19, vcc_lo, v13, v15
	s_wait_alu 0xfffd
	v_add_co_ci_u32_e64 v20, null, v14, v17, vcc_lo
	v_cmpx_gt_u32_e64 s23, v0
	s_cbranch_execz .LBB1919_161
; %bb.126:
	s_mov_b32 s2, exec_lo
                                        ; implicit-def: $vgpr13_vgpr14
	v_cmpx_ge_u32_e64 v0, v16
	s_wait_alu 0xfffe
	s_xor_b32 s2, exec_lo, s2
; %bb.127:
	v_not_b32_e32 v13, v0
	s_delay_alu instid0(VALU_DEP_1) | instskip(SKIP_2) | instid1(VALU_DEP_2)
	v_ashrrev_i32_e32 v14, 31, v13
	v_add_co_u32 v13, vcc_lo, v19, v13
	s_wait_alu 0xfffd
	v_add_co_ci_u32_e64 v14, null, v20, v14, vcc_lo
; %bb.128:
	s_wait_alu 0xfffe
	s_and_not1_saveexec_b32 s2, s2
; %bb.129:
	v_add_co_u32 v13, vcc_lo, v15, v0
	s_wait_alu 0xfffd
	v_add_co_ci_u32_e64 v14, null, 0, v17, vcc_lo
; %bb.130:
	s_wait_alu 0xfffe
	s_or_b32 exec_lo, exec_lo, s2
	s_delay_alu instid0(VALU_DEP_1) | instskip(NEXT) | instid1(VALU_DEP_1)
	v_lshlrev_b64_e32 v[13:14], 2, v[13:14]
	v_add_co_u32 v13, vcc_lo, s10, v13
	s_wait_alu 0xfffd
	s_delay_alu instid0(VALU_DEP_2) | instskip(SKIP_3) | instid1(SALU_CYCLE_1)
	v_add_co_ci_u32_e64 v14, null, s11, v14, vcc_lo
	s_wait_dscnt 0x6
	global_store_b32 v[13:14], v11, off
	s_or_b32 exec_lo, exec_lo, s1
	s_mov_b32 s1, exec_lo
	v_cmpx_gt_u32_e64 s23, v41
	s_cbranch_execnz .LBB1919_162
.LBB1919_131:
	s_wait_alu 0xfffe
	s_or_b32 exec_lo, exec_lo, s1
	s_delay_alu instid0(SALU_CYCLE_1)
	s_mov_b32 s1, exec_lo
	v_cmpx_gt_u32_e64 s23, v40
	s_cbranch_execz .LBB1919_167
.LBB1919_132:
	s_mov_b32 s2, exec_lo
                                        ; implicit-def: $vgpr11_vgpr12
	v_cmpx_ge_u32_e64 v40, v16
	s_wait_alu 0xfffe
	s_xor_b32 s2, exec_lo, s2
	s_cbranch_execz .LBB1919_134
; %bb.133:
	s_wait_dscnt 0x6
	v_xor_b32_e32 v11, 0xfffffdff, v0
                                        ; implicit-def: $vgpr40
	s_delay_alu instid0(VALU_DEP_1) | instskip(SKIP_2) | instid1(VALU_DEP_2)
	v_ashrrev_i32_e32 v12, 31, v11
	v_add_co_u32 v11, vcc_lo, v19, v11
	s_wait_alu 0xfffd
	v_add_co_ci_u32_e64 v12, null, v20, v12, vcc_lo
.LBB1919_134:
	s_wait_alu 0xfffe
	s_and_not1_saveexec_b32 s2, s2
	s_cbranch_execz .LBB1919_136
; %bb.135:
	s_wait_dscnt 0x6
	v_add_co_u32 v11, vcc_lo, v15, v40
	s_wait_alu 0xfffd
	v_add_co_ci_u32_e64 v12, null, 0, v17, vcc_lo
.LBB1919_136:
	s_wait_alu 0xfffe
	s_or_b32 exec_lo, exec_lo, s2
	s_wait_dscnt 0x6
	s_delay_alu instid0(VALU_DEP_1) | instskip(NEXT) | instid1(VALU_DEP_1)
	v_lshlrev_b64_e32 v[11:12], 2, v[11:12]
	v_add_co_u32 v11, vcc_lo, s10, v11
	s_wait_alu 0xfffd
	s_delay_alu instid0(VALU_DEP_2) | instskip(SKIP_3) | instid1(SALU_CYCLE_1)
	v_add_co_ci_u32_e64 v12, null, s11, v12, vcc_lo
	s_wait_dscnt 0x5
	global_store_b32 v[11:12], v9, off
	s_or_b32 exec_lo, exec_lo, s1
	s_mov_b32 s1, exec_lo
	v_cmpx_gt_u32_e64 s23, v39
	s_cbranch_execnz .LBB1919_168
.LBB1919_137:
	s_wait_alu 0xfffe
	s_or_b32 exec_lo, exec_lo, s1
	s_delay_alu instid0(SALU_CYCLE_1)
	s_mov_b32 s1, exec_lo
	v_cmpx_gt_u32_e64 s23, v38
	s_cbranch_execz .LBB1919_173
.LBB1919_138:
	s_mov_b32 s2, exec_lo
                                        ; implicit-def: $vgpr9_vgpr10
	v_cmpx_ge_u32_e64 v38, v16
	s_wait_alu 0xfffe
	s_xor_b32 s2, exec_lo, s2
	s_cbranch_execz .LBB1919_140
; %bb.139:
	s_wait_dscnt 0x5
	v_xor_b32_e32 v9, 0xfffffbff, v0
                                        ; implicit-def: $vgpr38
	s_delay_alu instid0(VALU_DEP_1) | instskip(SKIP_2) | instid1(VALU_DEP_2)
	v_ashrrev_i32_e32 v10, 31, v9
	v_add_co_u32 v9, vcc_lo, v19, v9
	s_wait_alu 0xfffd
	v_add_co_ci_u32_e64 v10, null, v20, v10, vcc_lo
.LBB1919_140:
	s_wait_alu 0xfffe
	s_and_not1_saveexec_b32 s2, s2
	s_cbranch_execz .LBB1919_142
; %bb.141:
	s_wait_dscnt 0x5
	v_add_co_u32 v9, vcc_lo, v15, v38
	s_wait_alu 0xfffd
	v_add_co_ci_u32_e64 v10, null, 0, v17, vcc_lo
.LBB1919_142:
	s_wait_alu 0xfffe
	s_or_b32 exec_lo, exec_lo, s2
	s_wait_dscnt 0x5
	s_delay_alu instid0(VALU_DEP_1) | instskip(NEXT) | instid1(VALU_DEP_1)
	v_lshlrev_b64_e32 v[9:10], 2, v[9:10]
	v_add_co_u32 v9, vcc_lo, s10, v9
	s_wait_alu 0xfffd
	s_delay_alu instid0(VALU_DEP_2) | instskip(SKIP_3) | instid1(SALU_CYCLE_1)
	v_add_co_ci_u32_e64 v10, null, s11, v10, vcc_lo
	s_wait_dscnt 0x4
	global_store_b32 v[9:10], v7, off
	s_or_b32 exec_lo, exec_lo, s1
	s_mov_b32 s1, exec_lo
	v_cmpx_gt_u32_e64 s23, v37
	s_cbranch_execnz .LBB1919_174
.LBB1919_143:
	s_wait_alu 0xfffe
	s_or_b32 exec_lo, exec_lo, s1
	s_delay_alu instid0(SALU_CYCLE_1)
	s_mov_b32 s1, exec_lo
	v_cmpx_gt_u32_e64 s23, v36
	s_cbranch_execz .LBB1919_179
.LBB1919_144:
	s_mov_b32 s2, exec_lo
                                        ; implicit-def: $vgpr7_vgpr8
	v_cmpx_ge_u32_e64 v36, v16
	s_wait_alu 0xfffe
	s_xor_b32 s2, exec_lo, s2
	s_cbranch_execz .LBB1919_146
; %bb.145:
	s_wait_dscnt 0x4
	v_xor_b32_e32 v7, 0xfffff9ff, v0
                                        ; implicit-def: $vgpr36
	s_delay_alu instid0(VALU_DEP_1) | instskip(SKIP_2) | instid1(VALU_DEP_2)
	v_ashrrev_i32_e32 v8, 31, v7
	v_add_co_u32 v7, vcc_lo, v19, v7
	s_wait_alu 0xfffd
	v_add_co_ci_u32_e64 v8, null, v20, v8, vcc_lo
.LBB1919_146:
	s_wait_alu 0xfffe
	s_and_not1_saveexec_b32 s2, s2
	s_cbranch_execz .LBB1919_148
; %bb.147:
	s_wait_dscnt 0x4
	v_add_co_u32 v7, vcc_lo, v15, v36
	s_wait_alu 0xfffd
	v_add_co_ci_u32_e64 v8, null, 0, v17, vcc_lo
.LBB1919_148:
	s_wait_alu 0xfffe
	s_or_b32 exec_lo, exec_lo, s2
	s_wait_dscnt 0x4
	s_delay_alu instid0(VALU_DEP_1) | instskip(NEXT) | instid1(VALU_DEP_1)
	v_lshlrev_b64_e32 v[7:8], 2, v[7:8]
	v_add_co_u32 v7, vcc_lo, s10, v7
	s_wait_alu 0xfffd
	s_delay_alu instid0(VALU_DEP_2) | instskip(SKIP_3) | instid1(SALU_CYCLE_1)
	v_add_co_ci_u32_e64 v8, null, s11, v8, vcc_lo
	s_wait_dscnt 0x3
	global_store_b32 v[7:8], v5, off
	s_or_b32 exec_lo, exec_lo, s1
	s_mov_b32 s1, exec_lo
	v_cmpx_gt_u32_e64 s23, v35
	s_cbranch_execnz .LBB1919_180
.LBB1919_149:
	s_wait_alu 0xfffe
	s_or_b32 exec_lo, exec_lo, s1
	s_delay_alu instid0(SALU_CYCLE_1)
	s_mov_b32 s1, exec_lo
	v_cmpx_gt_u32_e64 s23, v34
	s_cbranch_execz .LBB1919_185
.LBB1919_150:
	s_mov_b32 s2, exec_lo
                                        ; implicit-def: $vgpr5_vgpr6
	v_cmpx_ge_u32_e64 v34, v16
	s_wait_alu 0xfffe
	s_xor_b32 s2, exec_lo, s2
	s_cbranch_execz .LBB1919_152
; %bb.151:
	s_wait_dscnt 0x3
	v_xor_b32_e32 v5, 0xfffff7ff, v0
                                        ; implicit-def: $vgpr34
	s_delay_alu instid0(VALU_DEP_1) | instskip(SKIP_2) | instid1(VALU_DEP_2)
	v_ashrrev_i32_e32 v6, 31, v5
	v_add_co_u32 v5, vcc_lo, v19, v5
	s_wait_alu 0xfffd
	v_add_co_ci_u32_e64 v6, null, v20, v6, vcc_lo
.LBB1919_152:
	s_wait_alu 0xfffe
	s_and_not1_saveexec_b32 s2, s2
	s_cbranch_execz .LBB1919_154
; %bb.153:
	s_wait_dscnt 0x3
	v_add_co_u32 v5, vcc_lo, v15, v34
	s_wait_alu 0xfffd
	v_add_co_ci_u32_e64 v6, null, 0, v17, vcc_lo
.LBB1919_154:
	s_wait_alu 0xfffe
	s_or_b32 exec_lo, exec_lo, s2
	s_wait_dscnt 0x3
	s_delay_alu instid0(VALU_DEP_1) | instskip(NEXT) | instid1(VALU_DEP_1)
	v_lshlrev_b64_e32 v[5:6], 2, v[5:6]
	v_add_co_u32 v5, vcc_lo, s10, v5
	s_wait_alu 0xfffd
	s_delay_alu instid0(VALU_DEP_2) | instskip(SKIP_3) | instid1(SALU_CYCLE_1)
	v_add_co_ci_u32_e64 v6, null, s11, v6, vcc_lo
	s_wait_dscnt 0x2
	global_store_b32 v[5:6], v3, off
	s_or_b32 exec_lo, exec_lo, s1
	s_mov_b32 s1, exec_lo
	v_cmpx_gt_u32_e64 s23, v33
	s_cbranch_execnz .LBB1919_186
.LBB1919_155:
	s_wait_alu 0xfffe
	s_or_b32 exec_lo, exec_lo, s1
	s_delay_alu instid0(SALU_CYCLE_1)
	s_mov_b32 s1, exec_lo
	v_cmpx_gt_u32_e64 s23, v32
	s_cbranch_execz .LBB1919_191
.LBB1919_156:
	s_mov_b32 s2, exec_lo
                                        ; implicit-def: $vgpr3_vgpr4
	v_cmpx_ge_u32_e64 v32, v16
	s_wait_alu 0xfffe
	s_xor_b32 s2, exec_lo, s2
	s_cbranch_execz .LBB1919_158
; %bb.157:
	s_wait_dscnt 0x2
	v_xor_b32_e32 v3, 0xfffff5ff, v0
                                        ; implicit-def: $vgpr32
	s_delay_alu instid0(VALU_DEP_1) | instskip(SKIP_2) | instid1(VALU_DEP_2)
	v_ashrrev_i32_e32 v4, 31, v3
	v_add_co_u32 v3, vcc_lo, v19, v3
	s_wait_alu 0xfffd
	v_add_co_ci_u32_e64 v4, null, v20, v4, vcc_lo
.LBB1919_158:
	s_wait_alu 0xfffe
	s_and_not1_saveexec_b32 s2, s2
	s_cbranch_execz .LBB1919_160
; %bb.159:
	s_wait_dscnt 0x2
	v_add_co_u32 v3, vcc_lo, v15, v32
	s_wait_alu 0xfffd
	v_add_co_ci_u32_e64 v4, null, 0, v17, vcc_lo
.LBB1919_160:
	s_wait_alu 0xfffe
	s_or_b32 exec_lo, exec_lo, s2
	s_wait_dscnt 0x2
	s_delay_alu instid0(VALU_DEP_1) | instskip(NEXT) | instid1(VALU_DEP_1)
	v_lshlrev_b64_e32 v[3:4], 2, v[3:4]
	v_add_co_u32 v3, vcc_lo, s10, v3
	s_wait_alu 0xfffd
	s_delay_alu instid0(VALU_DEP_2) | instskip(SKIP_3) | instid1(SALU_CYCLE_1)
	v_add_co_ci_u32_e64 v4, null, s11, v4, vcc_lo
	s_wait_dscnt 0x1
	global_store_b32 v[3:4], v1, off
	s_or_b32 exec_lo, exec_lo, s1
	s_mov_b32 s1, exec_lo
	v_cmpx_gt_u32_e64 s23, v31
	s_cbranch_execz .LBB1919_197
	s_branch .LBB1919_192
.LBB1919_161:
	s_wait_alu 0xfffe
	s_or_b32 exec_lo, exec_lo, s1
	s_delay_alu instid0(SALU_CYCLE_1)
	s_mov_b32 s1, exec_lo
	v_cmpx_gt_u32_e64 s23, v41
	s_cbranch_execz .LBB1919_131
.LBB1919_162:
	s_mov_b32 s2, exec_lo
                                        ; implicit-def: $vgpr13_vgpr14
	v_cmpx_ge_u32_e64 v41, v16
	s_wait_alu 0xfffe
	s_xor_b32 s2, exec_lo, s2
	s_cbranch_execz .LBB1919_164
; %bb.163:
	s_wait_dscnt 0x6
	v_xor_b32_e32 v11, 0xfffffeff, v0
                                        ; implicit-def: $vgpr41
	s_delay_alu instid0(VALU_DEP_1) | instskip(SKIP_2) | instid1(VALU_DEP_2)
	v_ashrrev_i32_e32 v14, 31, v11
	v_add_co_u32 v13, vcc_lo, v19, v11
	s_wait_alu 0xfffd
	v_add_co_ci_u32_e64 v14, null, v20, v14, vcc_lo
.LBB1919_164:
	s_wait_alu 0xfffe
	s_and_not1_saveexec_b32 s2, s2
; %bb.165:
	v_add_co_u32 v13, vcc_lo, v15, v41
	s_wait_alu 0xfffd
	v_add_co_ci_u32_e64 v14, null, 0, v17, vcc_lo
; %bb.166:
	s_wait_alu 0xfffe
	s_or_b32 exec_lo, exec_lo, s2
	s_delay_alu instid0(VALU_DEP_1) | instskip(NEXT) | instid1(VALU_DEP_1)
	v_lshlrev_b64_e32 v[13:14], 2, v[13:14]
	v_add_co_u32 v13, vcc_lo, s10, v13
	s_wait_alu 0xfffd
	s_delay_alu instid0(VALU_DEP_2) | instskip(SKIP_3) | instid1(SALU_CYCLE_1)
	v_add_co_ci_u32_e64 v14, null, s11, v14, vcc_lo
	s_wait_dscnt 0x6
	global_store_b32 v[13:14], v12, off
	s_or_b32 exec_lo, exec_lo, s1
	s_mov_b32 s1, exec_lo
	v_cmpx_gt_u32_e64 s23, v40
	s_cbranch_execnz .LBB1919_132
.LBB1919_167:
	s_wait_alu 0xfffe
	s_or_b32 exec_lo, exec_lo, s1
	s_delay_alu instid0(SALU_CYCLE_1)
	s_mov_b32 s1, exec_lo
	v_cmpx_gt_u32_e64 s23, v39
	s_cbranch_execz .LBB1919_137
.LBB1919_168:
	s_mov_b32 s2, exec_lo
                                        ; implicit-def: $vgpr11_vgpr12
	v_cmpx_ge_u32_e64 v39, v16
	s_wait_alu 0xfffe
	s_xor_b32 s2, exec_lo, s2
	s_cbranch_execz .LBB1919_170
; %bb.169:
	s_wait_dscnt 0x5
	v_xor_b32_e32 v9, 0xfffffcff, v0
                                        ; implicit-def: $vgpr39
	s_delay_alu instid0(VALU_DEP_1) | instskip(SKIP_2) | instid1(VALU_DEP_2)
	v_ashrrev_i32_e32 v12, 31, v9
	v_add_co_u32 v11, vcc_lo, v19, v9
	s_wait_alu 0xfffd
	v_add_co_ci_u32_e64 v12, null, v20, v12, vcc_lo
.LBB1919_170:
	s_wait_alu 0xfffe
	s_and_not1_saveexec_b32 s2, s2
	s_cbranch_execz .LBB1919_172
; %bb.171:
	s_wait_dscnt 0x6
	v_add_co_u32 v11, vcc_lo, v15, v39
	s_wait_alu 0xfffd
	v_add_co_ci_u32_e64 v12, null, 0, v17, vcc_lo
.LBB1919_172:
	s_wait_alu 0xfffe
	s_or_b32 exec_lo, exec_lo, s2
	s_wait_dscnt 0x6
	s_delay_alu instid0(VALU_DEP_1) | instskip(NEXT) | instid1(VALU_DEP_1)
	v_lshlrev_b64_e32 v[11:12], 2, v[11:12]
	v_add_co_u32 v11, vcc_lo, s10, v11
	s_wait_alu 0xfffd
	s_delay_alu instid0(VALU_DEP_2) | instskip(SKIP_3) | instid1(SALU_CYCLE_1)
	v_add_co_ci_u32_e64 v12, null, s11, v12, vcc_lo
	s_wait_dscnt 0x5
	global_store_b32 v[11:12], v10, off
	s_or_b32 exec_lo, exec_lo, s1
	s_mov_b32 s1, exec_lo
	v_cmpx_gt_u32_e64 s23, v38
	s_cbranch_execnz .LBB1919_138
.LBB1919_173:
	s_wait_alu 0xfffe
	s_or_b32 exec_lo, exec_lo, s1
	s_delay_alu instid0(SALU_CYCLE_1)
	s_mov_b32 s1, exec_lo
	v_cmpx_gt_u32_e64 s23, v37
	s_cbranch_execz .LBB1919_143
.LBB1919_174:
	s_mov_b32 s2, exec_lo
                                        ; implicit-def: $vgpr9_vgpr10
	v_cmpx_ge_u32_e64 v37, v16
	s_wait_alu 0xfffe
	s_xor_b32 s2, exec_lo, s2
	s_cbranch_execz .LBB1919_176
; %bb.175:
	s_wait_dscnt 0x4
	v_xor_b32_e32 v7, 0xfffffaff, v0
                                        ; implicit-def: $vgpr37
	s_delay_alu instid0(VALU_DEP_1) | instskip(SKIP_2) | instid1(VALU_DEP_2)
	v_ashrrev_i32_e32 v10, 31, v7
	v_add_co_u32 v9, vcc_lo, v19, v7
	s_wait_alu 0xfffd
	v_add_co_ci_u32_e64 v10, null, v20, v10, vcc_lo
.LBB1919_176:
	s_wait_alu 0xfffe
	s_and_not1_saveexec_b32 s2, s2
	s_cbranch_execz .LBB1919_178
; %bb.177:
	s_wait_dscnt 0x5
	v_add_co_u32 v9, vcc_lo, v15, v37
	s_wait_alu 0xfffd
	v_add_co_ci_u32_e64 v10, null, 0, v17, vcc_lo
.LBB1919_178:
	s_wait_alu 0xfffe
	s_or_b32 exec_lo, exec_lo, s2
	s_wait_dscnt 0x5
	s_delay_alu instid0(VALU_DEP_1) | instskip(NEXT) | instid1(VALU_DEP_1)
	v_lshlrev_b64_e32 v[9:10], 2, v[9:10]
	v_add_co_u32 v9, vcc_lo, s10, v9
	s_wait_alu 0xfffd
	s_delay_alu instid0(VALU_DEP_2) | instskip(SKIP_3) | instid1(SALU_CYCLE_1)
	v_add_co_ci_u32_e64 v10, null, s11, v10, vcc_lo
	s_wait_dscnt 0x4
	global_store_b32 v[9:10], v8, off
	s_or_b32 exec_lo, exec_lo, s1
	s_mov_b32 s1, exec_lo
	v_cmpx_gt_u32_e64 s23, v36
	s_cbranch_execnz .LBB1919_144
.LBB1919_179:
	s_wait_alu 0xfffe
	s_or_b32 exec_lo, exec_lo, s1
	s_delay_alu instid0(SALU_CYCLE_1)
	s_mov_b32 s1, exec_lo
	v_cmpx_gt_u32_e64 s23, v35
	s_cbranch_execz .LBB1919_149
.LBB1919_180:
	s_mov_b32 s2, exec_lo
                                        ; implicit-def: $vgpr7_vgpr8
	v_cmpx_ge_u32_e64 v35, v16
	s_wait_alu 0xfffe
	s_xor_b32 s2, exec_lo, s2
	s_cbranch_execz .LBB1919_182
; %bb.181:
	s_wait_dscnt 0x3
	v_xor_b32_e32 v5, 0xfffff8ff, v0
                                        ; implicit-def: $vgpr35
	s_delay_alu instid0(VALU_DEP_1) | instskip(SKIP_2) | instid1(VALU_DEP_2)
	v_ashrrev_i32_e32 v8, 31, v5
	v_add_co_u32 v7, vcc_lo, v19, v5
	s_wait_alu 0xfffd
	v_add_co_ci_u32_e64 v8, null, v20, v8, vcc_lo
.LBB1919_182:
	s_wait_alu 0xfffe
	s_and_not1_saveexec_b32 s2, s2
	s_cbranch_execz .LBB1919_184
; %bb.183:
	s_wait_dscnt 0x4
	v_add_co_u32 v7, vcc_lo, v15, v35
	s_wait_alu 0xfffd
	v_add_co_ci_u32_e64 v8, null, 0, v17, vcc_lo
.LBB1919_184:
	s_wait_alu 0xfffe
	s_or_b32 exec_lo, exec_lo, s2
	s_wait_dscnt 0x4
	s_delay_alu instid0(VALU_DEP_1) | instskip(NEXT) | instid1(VALU_DEP_1)
	v_lshlrev_b64_e32 v[7:8], 2, v[7:8]
	v_add_co_u32 v7, vcc_lo, s10, v7
	s_wait_alu 0xfffd
	s_delay_alu instid0(VALU_DEP_2) | instskip(SKIP_3) | instid1(SALU_CYCLE_1)
	v_add_co_ci_u32_e64 v8, null, s11, v8, vcc_lo
	s_wait_dscnt 0x3
	global_store_b32 v[7:8], v6, off
	s_or_b32 exec_lo, exec_lo, s1
	s_mov_b32 s1, exec_lo
	v_cmpx_gt_u32_e64 s23, v34
	s_cbranch_execnz .LBB1919_150
.LBB1919_185:
	s_wait_alu 0xfffe
	s_or_b32 exec_lo, exec_lo, s1
	s_delay_alu instid0(SALU_CYCLE_1)
	s_mov_b32 s1, exec_lo
	v_cmpx_gt_u32_e64 s23, v33
	s_cbranch_execz .LBB1919_155
.LBB1919_186:
	s_mov_b32 s2, exec_lo
                                        ; implicit-def: $vgpr5_vgpr6
	v_cmpx_ge_u32_e64 v33, v16
	s_wait_alu 0xfffe
	s_xor_b32 s2, exec_lo, s2
	s_cbranch_execz .LBB1919_188
; %bb.187:
	s_wait_dscnt 0x2
	v_xor_b32_e32 v3, 0xfffff6ff, v0
                                        ; implicit-def: $vgpr33
	s_delay_alu instid0(VALU_DEP_1) | instskip(SKIP_2) | instid1(VALU_DEP_2)
	v_ashrrev_i32_e32 v6, 31, v3
	v_add_co_u32 v5, vcc_lo, v19, v3
	s_wait_alu 0xfffd
	v_add_co_ci_u32_e64 v6, null, v20, v6, vcc_lo
.LBB1919_188:
	s_wait_alu 0xfffe
	s_and_not1_saveexec_b32 s2, s2
	s_cbranch_execz .LBB1919_190
; %bb.189:
	s_wait_dscnt 0x3
	v_add_co_u32 v5, vcc_lo, v15, v33
	s_wait_alu 0xfffd
	v_add_co_ci_u32_e64 v6, null, 0, v17, vcc_lo
.LBB1919_190:
	s_wait_alu 0xfffe
	s_or_b32 exec_lo, exec_lo, s2
	s_wait_dscnt 0x3
	s_delay_alu instid0(VALU_DEP_1) | instskip(NEXT) | instid1(VALU_DEP_1)
	v_lshlrev_b64_e32 v[5:6], 2, v[5:6]
	v_add_co_u32 v5, vcc_lo, s10, v5
	s_wait_alu 0xfffd
	s_delay_alu instid0(VALU_DEP_2) | instskip(SKIP_3) | instid1(SALU_CYCLE_1)
	v_add_co_ci_u32_e64 v6, null, s11, v6, vcc_lo
	s_wait_dscnt 0x2
	global_store_b32 v[5:6], v4, off
	s_or_b32 exec_lo, exec_lo, s1
	s_mov_b32 s1, exec_lo
	v_cmpx_gt_u32_e64 s23, v32
	s_cbranch_execnz .LBB1919_156
.LBB1919_191:
	s_wait_alu 0xfffe
	s_or_b32 exec_lo, exec_lo, s1
	s_delay_alu instid0(SALU_CYCLE_1)
	s_mov_b32 s1, exec_lo
	v_cmpx_gt_u32_e64 s23, v31
	s_cbranch_execz .LBB1919_197
.LBB1919_192:
	s_mov_b32 s2, exec_lo
                                        ; implicit-def: $vgpr3_vgpr4
	v_cmpx_ge_u32_e64 v31, v16
	s_wait_alu 0xfffe
	s_xor_b32 s2, exec_lo, s2
	s_cbranch_execz .LBB1919_194
; %bb.193:
	s_wait_dscnt 0x1
	v_xor_b32_e32 v1, 0xfffff4ff, v0
                                        ; implicit-def: $vgpr31
	s_delay_alu instid0(VALU_DEP_1) | instskip(SKIP_2) | instid1(VALU_DEP_2)
	v_ashrrev_i32_e32 v4, 31, v1
	v_add_co_u32 v3, vcc_lo, v19, v1
	s_wait_alu 0xfffd
	v_add_co_ci_u32_e64 v4, null, v20, v4, vcc_lo
.LBB1919_194:
	s_wait_alu 0xfffe
	s_and_not1_saveexec_b32 s2, s2
	s_cbranch_execz .LBB1919_196
; %bb.195:
	s_wait_dscnt 0x2
	v_add_co_u32 v3, vcc_lo, v15, v31
	s_wait_alu 0xfffd
	v_add_co_ci_u32_e64 v4, null, 0, v17, vcc_lo
.LBB1919_196:
	s_wait_alu 0xfffe
	s_or_b32 exec_lo, exec_lo, s2
	s_wait_dscnt 0x2
	s_delay_alu instid0(VALU_DEP_1) | instskip(NEXT) | instid1(VALU_DEP_1)
	v_lshlrev_b64_e32 v[3:4], 2, v[3:4]
	v_add_co_u32 v3, vcc_lo, s10, v3
	s_wait_alu 0xfffd
	s_delay_alu instid0(VALU_DEP_2)
	v_add_co_ci_u32_e64 v4, null, s11, v4, vcc_lo
	s_wait_dscnt 0x1
	global_store_b32 v[3:4], v2, off
.LBB1919_197:
	s_wait_alu 0xfffe
	s_or_b32 exec_lo, exec_lo, s1
	s_delay_alu instid0(SALU_CYCLE_1)
	s_mov_b32 s1, exec_lo
                                        ; implicit-def: $vgpr13_vgpr14
	v_cmpx_gt_u32_e64 s23, v30
	s_cbranch_execz .LBB1919_203
; %bb.198:
	s_mov_b32 s2, exec_lo
                                        ; implicit-def: $vgpr13_vgpr14
	v_cmpx_ge_u32_e64 v30, v16
	s_wait_alu 0xfffe
	s_xor_b32 s2, exec_lo, s2
	s_cbranch_execz .LBB1919_200
; %bb.199:
	s_wait_dscnt 0x1
	v_xor_b32_e32 v1, 0xfffff3ff, v0
                                        ; implicit-def: $vgpr30
	s_delay_alu instid0(VALU_DEP_1) | instskip(SKIP_2) | instid1(VALU_DEP_2)
	v_ashrrev_i32_e32 v2, 31, v1
	v_add_co_u32 v13, vcc_lo, v19, v1
	s_wait_alu 0xfffd
	v_add_co_ci_u32_e64 v14, null, v20, v2, vcc_lo
.LBB1919_200:
	s_wait_alu 0xfffe
	s_and_not1_saveexec_b32 s2, s2
; %bb.201:
	v_add_co_u32 v13, vcc_lo, v15, v30
	s_wait_alu 0xfffd
	v_add_co_ci_u32_e64 v14, null, 0, v17, vcc_lo
; %bb.202:
	s_wait_alu 0xfffe
	s_or_b32 exec_lo, exec_lo, s2
	s_delay_alu instid0(SALU_CYCLE_1)
	s_or_b32 s0, s0, exec_lo
.LBB1919_203:
	s_wait_alu 0xfffe
	s_or_b32 exec_lo, exec_lo, s1
.LBB1919_204:
	s_wait_alu 0xfffe
	s_and_saveexec_b32 s1, s0
	s_cbranch_execz .LBB1919_206
; %bb.205:
	s_wait_dscnt 0x1
	v_lshlrev_b64_e32 v[1:2], 2, v[13:14]
	s_delay_alu instid0(VALU_DEP_1) | instskip(SKIP_1) | instid1(VALU_DEP_2)
	v_add_co_u32 v1, vcc_lo, s10, v1
	s_wait_alu 0xfffd
	v_add_co_ci_u32_e64 v2, null, s11, v2, vcc_lo
	s_wait_dscnt 0x0
	global_store_b32 v[1:2], v18, off
.LBB1919_206:
	s_wait_alu 0xfffe
	s_or_b32 exec_lo, exec_lo, s1
	v_cmp_eq_u32_e32 vcc_lo, 0, v0
	s_and_b32 s0, vcc_lo, s22
	s_wait_alu 0xfffe
	s_and_saveexec_b32 s1, s0
	s_cbranch_execz .LBB1919_208
; %bb.207:
	v_add_co_u32 v0, vcc_lo, v15, v16
	s_wait_dscnt 0x1
	v_mov_b32_e32 v2, 0
	s_wait_alu 0xfffd
	v_add_co_ci_u32_e64 v1, null, 0, v17, vcc_lo
	global_store_b64 v2, v[0:1], s[8:9]
.LBB1919_208:
	s_endpgm
	.section	.rodata,"a",@progbits
	.p2align	6, 0x0
	.amdhsa_kernel _ZN7rocprim17ROCPRIM_400000_NS6detail17trampoline_kernelINS0_13select_configILj256ELj13ELNS0_17block_load_methodE3ELS4_3ELS4_3ELNS0_20block_scan_algorithmE0ELj4294967295EEENS1_25partition_config_selectorILNS1_17partition_subalgoE3EjNS0_10empty_typeEbEEZZNS1_14partition_implILS8_3ELb0ES6_jNS0_17counting_iteratorIjlEEPS9_SE_NS0_5tupleIJPjSE_EEENSF_IJSE_SE_EEES9_SG_JZNS1_25segmented_radix_sort_implINS0_14default_configELb1EPK12hip_bfloat16PSL_PKlPlN2at6native12_GLOBAL__N_18offset_tEEE10hipError_tPvRmT1_PNSt15iterator_traitsISZ_E10value_typeET2_T3_PNS10_IS15_E10value_typeET4_jRbjT5_S1B_jjP12ihipStream_tbEUljE_EEESW_SX_SY_S15_S19_S1B_T6_T7_T9_mT8_S1D_bDpT10_ENKUlT_T0_E_clISt17integral_constantIbLb0EES1Q_EEDaS1L_S1M_EUlS1L_E_NS1_11comp_targetILNS1_3genE10ELNS1_11target_archE1200ELNS1_3gpuE4ELNS1_3repE0EEENS1_30default_config_static_selectorELNS0_4arch9wavefront6targetE0EEEvSZ_
		.amdhsa_group_segment_fixed_size 13320
		.amdhsa_private_segment_fixed_size 0
		.amdhsa_kernarg_size 144
		.amdhsa_user_sgpr_count 2
		.amdhsa_user_sgpr_dispatch_ptr 0
		.amdhsa_user_sgpr_queue_ptr 0
		.amdhsa_user_sgpr_kernarg_segment_ptr 1
		.amdhsa_user_sgpr_dispatch_id 0
		.amdhsa_user_sgpr_private_segment_size 0
		.amdhsa_wavefront_size32 1
		.amdhsa_uses_dynamic_stack 0
		.amdhsa_enable_private_segment 0
		.amdhsa_system_sgpr_workgroup_id_x 1
		.amdhsa_system_sgpr_workgroup_id_y 0
		.amdhsa_system_sgpr_workgroup_id_z 0
		.amdhsa_system_sgpr_workgroup_info 0
		.amdhsa_system_vgpr_workitem_id 0
		.amdhsa_next_free_vgpr 69
		.amdhsa_next_free_sgpr 26
		.amdhsa_reserve_vcc 1
		.amdhsa_float_round_mode_32 0
		.amdhsa_float_round_mode_16_64 0
		.amdhsa_float_denorm_mode_32 3
		.amdhsa_float_denorm_mode_16_64 3
		.amdhsa_fp16_overflow 0
		.amdhsa_workgroup_processor_mode 1
		.amdhsa_memory_ordered 1
		.amdhsa_forward_progress 1
		.amdhsa_inst_pref_size 84
		.amdhsa_round_robin_scheduling 0
		.amdhsa_exception_fp_ieee_invalid_op 0
		.amdhsa_exception_fp_denorm_src 0
		.amdhsa_exception_fp_ieee_div_zero 0
		.amdhsa_exception_fp_ieee_overflow 0
		.amdhsa_exception_fp_ieee_underflow 0
		.amdhsa_exception_fp_ieee_inexact 0
		.amdhsa_exception_int_div_zero 0
	.end_amdhsa_kernel
	.section	.text._ZN7rocprim17ROCPRIM_400000_NS6detail17trampoline_kernelINS0_13select_configILj256ELj13ELNS0_17block_load_methodE3ELS4_3ELS4_3ELNS0_20block_scan_algorithmE0ELj4294967295EEENS1_25partition_config_selectorILNS1_17partition_subalgoE3EjNS0_10empty_typeEbEEZZNS1_14partition_implILS8_3ELb0ES6_jNS0_17counting_iteratorIjlEEPS9_SE_NS0_5tupleIJPjSE_EEENSF_IJSE_SE_EEES9_SG_JZNS1_25segmented_radix_sort_implINS0_14default_configELb1EPK12hip_bfloat16PSL_PKlPlN2at6native12_GLOBAL__N_18offset_tEEE10hipError_tPvRmT1_PNSt15iterator_traitsISZ_E10value_typeET2_T3_PNS10_IS15_E10value_typeET4_jRbjT5_S1B_jjP12ihipStream_tbEUljE_EEESW_SX_SY_S15_S19_S1B_T6_T7_T9_mT8_S1D_bDpT10_ENKUlT_T0_E_clISt17integral_constantIbLb0EES1Q_EEDaS1L_S1M_EUlS1L_E_NS1_11comp_targetILNS1_3genE10ELNS1_11target_archE1200ELNS1_3gpuE4ELNS1_3repE0EEENS1_30default_config_static_selectorELNS0_4arch9wavefront6targetE0EEEvSZ_,"axG",@progbits,_ZN7rocprim17ROCPRIM_400000_NS6detail17trampoline_kernelINS0_13select_configILj256ELj13ELNS0_17block_load_methodE3ELS4_3ELS4_3ELNS0_20block_scan_algorithmE0ELj4294967295EEENS1_25partition_config_selectorILNS1_17partition_subalgoE3EjNS0_10empty_typeEbEEZZNS1_14partition_implILS8_3ELb0ES6_jNS0_17counting_iteratorIjlEEPS9_SE_NS0_5tupleIJPjSE_EEENSF_IJSE_SE_EEES9_SG_JZNS1_25segmented_radix_sort_implINS0_14default_configELb1EPK12hip_bfloat16PSL_PKlPlN2at6native12_GLOBAL__N_18offset_tEEE10hipError_tPvRmT1_PNSt15iterator_traitsISZ_E10value_typeET2_T3_PNS10_IS15_E10value_typeET4_jRbjT5_S1B_jjP12ihipStream_tbEUljE_EEESW_SX_SY_S15_S19_S1B_T6_T7_T9_mT8_S1D_bDpT10_ENKUlT_T0_E_clISt17integral_constantIbLb0EES1Q_EEDaS1L_S1M_EUlS1L_E_NS1_11comp_targetILNS1_3genE10ELNS1_11target_archE1200ELNS1_3gpuE4ELNS1_3repE0EEENS1_30default_config_static_selectorELNS0_4arch9wavefront6targetE0EEEvSZ_,comdat
.Lfunc_end1919:
	.size	_ZN7rocprim17ROCPRIM_400000_NS6detail17trampoline_kernelINS0_13select_configILj256ELj13ELNS0_17block_load_methodE3ELS4_3ELS4_3ELNS0_20block_scan_algorithmE0ELj4294967295EEENS1_25partition_config_selectorILNS1_17partition_subalgoE3EjNS0_10empty_typeEbEEZZNS1_14partition_implILS8_3ELb0ES6_jNS0_17counting_iteratorIjlEEPS9_SE_NS0_5tupleIJPjSE_EEENSF_IJSE_SE_EEES9_SG_JZNS1_25segmented_radix_sort_implINS0_14default_configELb1EPK12hip_bfloat16PSL_PKlPlN2at6native12_GLOBAL__N_18offset_tEEE10hipError_tPvRmT1_PNSt15iterator_traitsISZ_E10value_typeET2_T3_PNS10_IS15_E10value_typeET4_jRbjT5_S1B_jjP12ihipStream_tbEUljE_EEESW_SX_SY_S15_S19_S1B_T6_T7_T9_mT8_S1D_bDpT10_ENKUlT_T0_E_clISt17integral_constantIbLb0EES1Q_EEDaS1L_S1M_EUlS1L_E_NS1_11comp_targetILNS1_3genE10ELNS1_11target_archE1200ELNS1_3gpuE4ELNS1_3repE0EEENS1_30default_config_static_selectorELNS0_4arch9wavefront6targetE0EEEvSZ_, .Lfunc_end1919-_ZN7rocprim17ROCPRIM_400000_NS6detail17trampoline_kernelINS0_13select_configILj256ELj13ELNS0_17block_load_methodE3ELS4_3ELS4_3ELNS0_20block_scan_algorithmE0ELj4294967295EEENS1_25partition_config_selectorILNS1_17partition_subalgoE3EjNS0_10empty_typeEbEEZZNS1_14partition_implILS8_3ELb0ES6_jNS0_17counting_iteratorIjlEEPS9_SE_NS0_5tupleIJPjSE_EEENSF_IJSE_SE_EEES9_SG_JZNS1_25segmented_radix_sort_implINS0_14default_configELb1EPK12hip_bfloat16PSL_PKlPlN2at6native12_GLOBAL__N_18offset_tEEE10hipError_tPvRmT1_PNSt15iterator_traitsISZ_E10value_typeET2_T3_PNS10_IS15_E10value_typeET4_jRbjT5_S1B_jjP12ihipStream_tbEUljE_EEESW_SX_SY_S15_S19_S1B_T6_T7_T9_mT8_S1D_bDpT10_ENKUlT_T0_E_clISt17integral_constantIbLb0EES1Q_EEDaS1L_S1M_EUlS1L_E_NS1_11comp_targetILNS1_3genE10ELNS1_11target_archE1200ELNS1_3gpuE4ELNS1_3repE0EEENS1_30default_config_static_selectorELNS0_4arch9wavefront6targetE0EEEvSZ_
                                        ; -- End function
	.set _ZN7rocprim17ROCPRIM_400000_NS6detail17trampoline_kernelINS0_13select_configILj256ELj13ELNS0_17block_load_methodE3ELS4_3ELS4_3ELNS0_20block_scan_algorithmE0ELj4294967295EEENS1_25partition_config_selectorILNS1_17partition_subalgoE3EjNS0_10empty_typeEbEEZZNS1_14partition_implILS8_3ELb0ES6_jNS0_17counting_iteratorIjlEEPS9_SE_NS0_5tupleIJPjSE_EEENSF_IJSE_SE_EEES9_SG_JZNS1_25segmented_radix_sort_implINS0_14default_configELb1EPK12hip_bfloat16PSL_PKlPlN2at6native12_GLOBAL__N_18offset_tEEE10hipError_tPvRmT1_PNSt15iterator_traitsISZ_E10value_typeET2_T3_PNS10_IS15_E10value_typeET4_jRbjT5_S1B_jjP12ihipStream_tbEUljE_EEESW_SX_SY_S15_S19_S1B_T6_T7_T9_mT8_S1D_bDpT10_ENKUlT_T0_E_clISt17integral_constantIbLb0EES1Q_EEDaS1L_S1M_EUlS1L_E_NS1_11comp_targetILNS1_3genE10ELNS1_11target_archE1200ELNS1_3gpuE4ELNS1_3repE0EEENS1_30default_config_static_selectorELNS0_4arch9wavefront6targetE0EEEvSZ_.num_vgpr, 69
	.set _ZN7rocprim17ROCPRIM_400000_NS6detail17trampoline_kernelINS0_13select_configILj256ELj13ELNS0_17block_load_methodE3ELS4_3ELS4_3ELNS0_20block_scan_algorithmE0ELj4294967295EEENS1_25partition_config_selectorILNS1_17partition_subalgoE3EjNS0_10empty_typeEbEEZZNS1_14partition_implILS8_3ELb0ES6_jNS0_17counting_iteratorIjlEEPS9_SE_NS0_5tupleIJPjSE_EEENSF_IJSE_SE_EEES9_SG_JZNS1_25segmented_radix_sort_implINS0_14default_configELb1EPK12hip_bfloat16PSL_PKlPlN2at6native12_GLOBAL__N_18offset_tEEE10hipError_tPvRmT1_PNSt15iterator_traitsISZ_E10value_typeET2_T3_PNS10_IS15_E10value_typeET4_jRbjT5_S1B_jjP12ihipStream_tbEUljE_EEESW_SX_SY_S15_S19_S1B_T6_T7_T9_mT8_S1D_bDpT10_ENKUlT_T0_E_clISt17integral_constantIbLb0EES1Q_EEDaS1L_S1M_EUlS1L_E_NS1_11comp_targetILNS1_3genE10ELNS1_11target_archE1200ELNS1_3gpuE4ELNS1_3repE0EEENS1_30default_config_static_selectorELNS0_4arch9wavefront6targetE0EEEvSZ_.num_agpr, 0
	.set _ZN7rocprim17ROCPRIM_400000_NS6detail17trampoline_kernelINS0_13select_configILj256ELj13ELNS0_17block_load_methodE3ELS4_3ELS4_3ELNS0_20block_scan_algorithmE0ELj4294967295EEENS1_25partition_config_selectorILNS1_17partition_subalgoE3EjNS0_10empty_typeEbEEZZNS1_14partition_implILS8_3ELb0ES6_jNS0_17counting_iteratorIjlEEPS9_SE_NS0_5tupleIJPjSE_EEENSF_IJSE_SE_EEES9_SG_JZNS1_25segmented_radix_sort_implINS0_14default_configELb1EPK12hip_bfloat16PSL_PKlPlN2at6native12_GLOBAL__N_18offset_tEEE10hipError_tPvRmT1_PNSt15iterator_traitsISZ_E10value_typeET2_T3_PNS10_IS15_E10value_typeET4_jRbjT5_S1B_jjP12ihipStream_tbEUljE_EEESW_SX_SY_S15_S19_S1B_T6_T7_T9_mT8_S1D_bDpT10_ENKUlT_T0_E_clISt17integral_constantIbLb0EES1Q_EEDaS1L_S1M_EUlS1L_E_NS1_11comp_targetILNS1_3genE10ELNS1_11target_archE1200ELNS1_3gpuE4ELNS1_3repE0EEENS1_30default_config_static_selectorELNS0_4arch9wavefront6targetE0EEEvSZ_.numbered_sgpr, 26
	.set _ZN7rocprim17ROCPRIM_400000_NS6detail17trampoline_kernelINS0_13select_configILj256ELj13ELNS0_17block_load_methodE3ELS4_3ELS4_3ELNS0_20block_scan_algorithmE0ELj4294967295EEENS1_25partition_config_selectorILNS1_17partition_subalgoE3EjNS0_10empty_typeEbEEZZNS1_14partition_implILS8_3ELb0ES6_jNS0_17counting_iteratorIjlEEPS9_SE_NS0_5tupleIJPjSE_EEENSF_IJSE_SE_EEES9_SG_JZNS1_25segmented_radix_sort_implINS0_14default_configELb1EPK12hip_bfloat16PSL_PKlPlN2at6native12_GLOBAL__N_18offset_tEEE10hipError_tPvRmT1_PNSt15iterator_traitsISZ_E10value_typeET2_T3_PNS10_IS15_E10value_typeET4_jRbjT5_S1B_jjP12ihipStream_tbEUljE_EEESW_SX_SY_S15_S19_S1B_T6_T7_T9_mT8_S1D_bDpT10_ENKUlT_T0_E_clISt17integral_constantIbLb0EES1Q_EEDaS1L_S1M_EUlS1L_E_NS1_11comp_targetILNS1_3genE10ELNS1_11target_archE1200ELNS1_3gpuE4ELNS1_3repE0EEENS1_30default_config_static_selectorELNS0_4arch9wavefront6targetE0EEEvSZ_.num_named_barrier, 0
	.set _ZN7rocprim17ROCPRIM_400000_NS6detail17trampoline_kernelINS0_13select_configILj256ELj13ELNS0_17block_load_methodE3ELS4_3ELS4_3ELNS0_20block_scan_algorithmE0ELj4294967295EEENS1_25partition_config_selectorILNS1_17partition_subalgoE3EjNS0_10empty_typeEbEEZZNS1_14partition_implILS8_3ELb0ES6_jNS0_17counting_iteratorIjlEEPS9_SE_NS0_5tupleIJPjSE_EEENSF_IJSE_SE_EEES9_SG_JZNS1_25segmented_radix_sort_implINS0_14default_configELb1EPK12hip_bfloat16PSL_PKlPlN2at6native12_GLOBAL__N_18offset_tEEE10hipError_tPvRmT1_PNSt15iterator_traitsISZ_E10value_typeET2_T3_PNS10_IS15_E10value_typeET4_jRbjT5_S1B_jjP12ihipStream_tbEUljE_EEESW_SX_SY_S15_S19_S1B_T6_T7_T9_mT8_S1D_bDpT10_ENKUlT_T0_E_clISt17integral_constantIbLb0EES1Q_EEDaS1L_S1M_EUlS1L_E_NS1_11comp_targetILNS1_3genE10ELNS1_11target_archE1200ELNS1_3gpuE4ELNS1_3repE0EEENS1_30default_config_static_selectorELNS0_4arch9wavefront6targetE0EEEvSZ_.private_seg_size, 0
	.set _ZN7rocprim17ROCPRIM_400000_NS6detail17trampoline_kernelINS0_13select_configILj256ELj13ELNS0_17block_load_methodE3ELS4_3ELS4_3ELNS0_20block_scan_algorithmE0ELj4294967295EEENS1_25partition_config_selectorILNS1_17partition_subalgoE3EjNS0_10empty_typeEbEEZZNS1_14partition_implILS8_3ELb0ES6_jNS0_17counting_iteratorIjlEEPS9_SE_NS0_5tupleIJPjSE_EEENSF_IJSE_SE_EEES9_SG_JZNS1_25segmented_radix_sort_implINS0_14default_configELb1EPK12hip_bfloat16PSL_PKlPlN2at6native12_GLOBAL__N_18offset_tEEE10hipError_tPvRmT1_PNSt15iterator_traitsISZ_E10value_typeET2_T3_PNS10_IS15_E10value_typeET4_jRbjT5_S1B_jjP12ihipStream_tbEUljE_EEESW_SX_SY_S15_S19_S1B_T6_T7_T9_mT8_S1D_bDpT10_ENKUlT_T0_E_clISt17integral_constantIbLb0EES1Q_EEDaS1L_S1M_EUlS1L_E_NS1_11comp_targetILNS1_3genE10ELNS1_11target_archE1200ELNS1_3gpuE4ELNS1_3repE0EEENS1_30default_config_static_selectorELNS0_4arch9wavefront6targetE0EEEvSZ_.uses_vcc, 1
	.set _ZN7rocprim17ROCPRIM_400000_NS6detail17trampoline_kernelINS0_13select_configILj256ELj13ELNS0_17block_load_methodE3ELS4_3ELS4_3ELNS0_20block_scan_algorithmE0ELj4294967295EEENS1_25partition_config_selectorILNS1_17partition_subalgoE3EjNS0_10empty_typeEbEEZZNS1_14partition_implILS8_3ELb0ES6_jNS0_17counting_iteratorIjlEEPS9_SE_NS0_5tupleIJPjSE_EEENSF_IJSE_SE_EEES9_SG_JZNS1_25segmented_radix_sort_implINS0_14default_configELb1EPK12hip_bfloat16PSL_PKlPlN2at6native12_GLOBAL__N_18offset_tEEE10hipError_tPvRmT1_PNSt15iterator_traitsISZ_E10value_typeET2_T3_PNS10_IS15_E10value_typeET4_jRbjT5_S1B_jjP12ihipStream_tbEUljE_EEESW_SX_SY_S15_S19_S1B_T6_T7_T9_mT8_S1D_bDpT10_ENKUlT_T0_E_clISt17integral_constantIbLb0EES1Q_EEDaS1L_S1M_EUlS1L_E_NS1_11comp_targetILNS1_3genE10ELNS1_11target_archE1200ELNS1_3gpuE4ELNS1_3repE0EEENS1_30default_config_static_selectorELNS0_4arch9wavefront6targetE0EEEvSZ_.uses_flat_scratch, 0
	.set _ZN7rocprim17ROCPRIM_400000_NS6detail17trampoline_kernelINS0_13select_configILj256ELj13ELNS0_17block_load_methodE3ELS4_3ELS4_3ELNS0_20block_scan_algorithmE0ELj4294967295EEENS1_25partition_config_selectorILNS1_17partition_subalgoE3EjNS0_10empty_typeEbEEZZNS1_14partition_implILS8_3ELb0ES6_jNS0_17counting_iteratorIjlEEPS9_SE_NS0_5tupleIJPjSE_EEENSF_IJSE_SE_EEES9_SG_JZNS1_25segmented_radix_sort_implINS0_14default_configELb1EPK12hip_bfloat16PSL_PKlPlN2at6native12_GLOBAL__N_18offset_tEEE10hipError_tPvRmT1_PNSt15iterator_traitsISZ_E10value_typeET2_T3_PNS10_IS15_E10value_typeET4_jRbjT5_S1B_jjP12ihipStream_tbEUljE_EEESW_SX_SY_S15_S19_S1B_T6_T7_T9_mT8_S1D_bDpT10_ENKUlT_T0_E_clISt17integral_constantIbLb0EES1Q_EEDaS1L_S1M_EUlS1L_E_NS1_11comp_targetILNS1_3genE10ELNS1_11target_archE1200ELNS1_3gpuE4ELNS1_3repE0EEENS1_30default_config_static_selectorELNS0_4arch9wavefront6targetE0EEEvSZ_.has_dyn_sized_stack, 0
	.set _ZN7rocprim17ROCPRIM_400000_NS6detail17trampoline_kernelINS0_13select_configILj256ELj13ELNS0_17block_load_methodE3ELS4_3ELS4_3ELNS0_20block_scan_algorithmE0ELj4294967295EEENS1_25partition_config_selectorILNS1_17partition_subalgoE3EjNS0_10empty_typeEbEEZZNS1_14partition_implILS8_3ELb0ES6_jNS0_17counting_iteratorIjlEEPS9_SE_NS0_5tupleIJPjSE_EEENSF_IJSE_SE_EEES9_SG_JZNS1_25segmented_radix_sort_implINS0_14default_configELb1EPK12hip_bfloat16PSL_PKlPlN2at6native12_GLOBAL__N_18offset_tEEE10hipError_tPvRmT1_PNSt15iterator_traitsISZ_E10value_typeET2_T3_PNS10_IS15_E10value_typeET4_jRbjT5_S1B_jjP12ihipStream_tbEUljE_EEESW_SX_SY_S15_S19_S1B_T6_T7_T9_mT8_S1D_bDpT10_ENKUlT_T0_E_clISt17integral_constantIbLb0EES1Q_EEDaS1L_S1M_EUlS1L_E_NS1_11comp_targetILNS1_3genE10ELNS1_11target_archE1200ELNS1_3gpuE4ELNS1_3repE0EEENS1_30default_config_static_selectorELNS0_4arch9wavefront6targetE0EEEvSZ_.has_recursion, 0
	.set _ZN7rocprim17ROCPRIM_400000_NS6detail17trampoline_kernelINS0_13select_configILj256ELj13ELNS0_17block_load_methodE3ELS4_3ELS4_3ELNS0_20block_scan_algorithmE0ELj4294967295EEENS1_25partition_config_selectorILNS1_17partition_subalgoE3EjNS0_10empty_typeEbEEZZNS1_14partition_implILS8_3ELb0ES6_jNS0_17counting_iteratorIjlEEPS9_SE_NS0_5tupleIJPjSE_EEENSF_IJSE_SE_EEES9_SG_JZNS1_25segmented_radix_sort_implINS0_14default_configELb1EPK12hip_bfloat16PSL_PKlPlN2at6native12_GLOBAL__N_18offset_tEEE10hipError_tPvRmT1_PNSt15iterator_traitsISZ_E10value_typeET2_T3_PNS10_IS15_E10value_typeET4_jRbjT5_S1B_jjP12ihipStream_tbEUljE_EEESW_SX_SY_S15_S19_S1B_T6_T7_T9_mT8_S1D_bDpT10_ENKUlT_T0_E_clISt17integral_constantIbLb0EES1Q_EEDaS1L_S1M_EUlS1L_E_NS1_11comp_targetILNS1_3genE10ELNS1_11target_archE1200ELNS1_3gpuE4ELNS1_3repE0EEENS1_30default_config_static_selectorELNS0_4arch9wavefront6targetE0EEEvSZ_.has_indirect_call, 0
	.section	.AMDGPU.csdata,"",@progbits
; Kernel info:
; codeLenInByte = 10676
; TotalNumSgprs: 28
; NumVgprs: 69
; ScratchSize: 0
; MemoryBound: 0
; FloatMode: 240
; IeeeMode: 1
; LDSByteSize: 13320 bytes/workgroup (compile time only)
; SGPRBlocks: 0
; VGPRBlocks: 8
; NumSGPRsForWavesPerEU: 28
; NumVGPRsForWavesPerEU: 69
; Occupancy: 16
; WaveLimiterHint : 0
; COMPUTE_PGM_RSRC2:SCRATCH_EN: 0
; COMPUTE_PGM_RSRC2:USER_SGPR: 2
; COMPUTE_PGM_RSRC2:TRAP_HANDLER: 0
; COMPUTE_PGM_RSRC2:TGID_X_EN: 1
; COMPUTE_PGM_RSRC2:TGID_Y_EN: 0
; COMPUTE_PGM_RSRC2:TGID_Z_EN: 0
; COMPUTE_PGM_RSRC2:TIDIG_COMP_CNT: 0
	.section	.text._ZN7rocprim17ROCPRIM_400000_NS6detail17trampoline_kernelINS0_13select_configILj256ELj13ELNS0_17block_load_methodE3ELS4_3ELS4_3ELNS0_20block_scan_algorithmE0ELj4294967295EEENS1_25partition_config_selectorILNS1_17partition_subalgoE3EjNS0_10empty_typeEbEEZZNS1_14partition_implILS8_3ELb0ES6_jNS0_17counting_iteratorIjlEEPS9_SE_NS0_5tupleIJPjSE_EEENSF_IJSE_SE_EEES9_SG_JZNS1_25segmented_radix_sort_implINS0_14default_configELb1EPK12hip_bfloat16PSL_PKlPlN2at6native12_GLOBAL__N_18offset_tEEE10hipError_tPvRmT1_PNSt15iterator_traitsISZ_E10value_typeET2_T3_PNS10_IS15_E10value_typeET4_jRbjT5_S1B_jjP12ihipStream_tbEUljE_EEESW_SX_SY_S15_S19_S1B_T6_T7_T9_mT8_S1D_bDpT10_ENKUlT_T0_E_clISt17integral_constantIbLb0EES1Q_EEDaS1L_S1M_EUlS1L_E_NS1_11comp_targetILNS1_3genE9ELNS1_11target_archE1100ELNS1_3gpuE3ELNS1_3repE0EEENS1_30default_config_static_selectorELNS0_4arch9wavefront6targetE0EEEvSZ_,"axG",@progbits,_ZN7rocprim17ROCPRIM_400000_NS6detail17trampoline_kernelINS0_13select_configILj256ELj13ELNS0_17block_load_methodE3ELS4_3ELS4_3ELNS0_20block_scan_algorithmE0ELj4294967295EEENS1_25partition_config_selectorILNS1_17partition_subalgoE3EjNS0_10empty_typeEbEEZZNS1_14partition_implILS8_3ELb0ES6_jNS0_17counting_iteratorIjlEEPS9_SE_NS0_5tupleIJPjSE_EEENSF_IJSE_SE_EEES9_SG_JZNS1_25segmented_radix_sort_implINS0_14default_configELb1EPK12hip_bfloat16PSL_PKlPlN2at6native12_GLOBAL__N_18offset_tEEE10hipError_tPvRmT1_PNSt15iterator_traitsISZ_E10value_typeET2_T3_PNS10_IS15_E10value_typeET4_jRbjT5_S1B_jjP12ihipStream_tbEUljE_EEESW_SX_SY_S15_S19_S1B_T6_T7_T9_mT8_S1D_bDpT10_ENKUlT_T0_E_clISt17integral_constantIbLb0EES1Q_EEDaS1L_S1M_EUlS1L_E_NS1_11comp_targetILNS1_3genE9ELNS1_11target_archE1100ELNS1_3gpuE3ELNS1_3repE0EEENS1_30default_config_static_selectorELNS0_4arch9wavefront6targetE0EEEvSZ_,comdat
	.globl	_ZN7rocprim17ROCPRIM_400000_NS6detail17trampoline_kernelINS0_13select_configILj256ELj13ELNS0_17block_load_methodE3ELS4_3ELS4_3ELNS0_20block_scan_algorithmE0ELj4294967295EEENS1_25partition_config_selectorILNS1_17partition_subalgoE3EjNS0_10empty_typeEbEEZZNS1_14partition_implILS8_3ELb0ES6_jNS0_17counting_iteratorIjlEEPS9_SE_NS0_5tupleIJPjSE_EEENSF_IJSE_SE_EEES9_SG_JZNS1_25segmented_radix_sort_implINS0_14default_configELb1EPK12hip_bfloat16PSL_PKlPlN2at6native12_GLOBAL__N_18offset_tEEE10hipError_tPvRmT1_PNSt15iterator_traitsISZ_E10value_typeET2_T3_PNS10_IS15_E10value_typeET4_jRbjT5_S1B_jjP12ihipStream_tbEUljE_EEESW_SX_SY_S15_S19_S1B_T6_T7_T9_mT8_S1D_bDpT10_ENKUlT_T0_E_clISt17integral_constantIbLb0EES1Q_EEDaS1L_S1M_EUlS1L_E_NS1_11comp_targetILNS1_3genE9ELNS1_11target_archE1100ELNS1_3gpuE3ELNS1_3repE0EEENS1_30default_config_static_selectorELNS0_4arch9wavefront6targetE0EEEvSZ_ ; -- Begin function _ZN7rocprim17ROCPRIM_400000_NS6detail17trampoline_kernelINS0_13select_configILj256ELj13ELNS0_17block_load_methodE3ELS4_3ELS4_3ELNS0_20block_scan_algorithmE0ELj4294967295EEENS1_25partition_config_selectorILNS1_17partition_subalgoE3EjNS0_10empty_typeEbEEZZNS1_14partition_implILS8_3ELb0ES6_jNS0_17counting_iteratorIjlEEPS9_SE_NS0_5tupleIJPjSE_EEENSF_IJSE_SE_EEES9_SG_JZNS1_25segmented_radix_sort_implINS0_14default_configELb1EPK12hip_bfloat16PSL_PKlPlN2at6native12_GLOBAL__N_18offset_tEEE10hipError_tPvRmT1_PNSt15iterator_traitsISZ_E10value_typeET2_T3_PNS10_IS15_E10value_typeET4_jRbjT5_S1B_jjP12ihipStream_tbEUljE_EEESW_SX_SY_S15_S19_S1B_T6_T7_T9_mT8_S1D_bDpT10_ENKUlT_T0_E_clISt17integral_constantIbLb0EES1Q_EEDaS1L_S1M_EUlS1L_E_NS1_11comp_targetILNS1_3genE9ELNS1_11target_archE1100ELNS1_3gpuE3ELNS1_3repE0EEENS1_30default_config_static_selectorELNS0_4arch9wavefront6targetE0EEEvSZ_
	.p2align	8
	.type	_ZN7rocprim17ROCPRIM_400000_NS6detail17trampoline_kernelINS0_13select_configILj256ELj13ELNS0_17block_load_methodE3ELS4_3ELS4_3ELNS0_20block_scan_algorithmE0ELj4294967295EEENS1_25partition_config_selectorILNS1_17partition_subalgoE3EjNS0_10empty_typeEbEEZZNS1_14partition_implILS8_3ELb0ES6_jNS0_17counting_iteratorIjlEEPS9_SE_NS0_5tupleIJPjSE_EEENSF_IJSE_SE_EEES9_SG_JZNS1_25segmented_radix_sort_implINS0_14default_configELb1EPK12hip_bfloat16PSL_PKlPlN2at6native12_GLOBAL__N_18offset_tEEE10hipError_tPvRmT1_PNSt15iterator_traitsISZ_E10value_typeET2_T3_PNS10_IS15_E10value_typeET4_jRbjT5_S1B_jjP12ihipStream_tbEUljE_EEESW_SX_SY_S15_S19_S1B_T6_T7_T9_mT8_S1D_bDpT10_ENKUlT_T0_E_clISt17integral_constantIbLb0EES1Q_EEDaS1L_S1M_EUlS1L_E_NS1_11comp_targetILNS1_3genE9ELNS1_11target_archE1100ELNS1_3gpuE3ELNS1_3repE0EEENS1_30default_config_static_selectorELNS0_4arch9wavefront6targetE0EEEvSZ_,@function
_ZN7rocprim17ROCPRIM_400000_NS6detail17trampoline_kernelINS0_13select_configILj256ELj13ELNS0_17block_load_methodE3ELS4_3ELS4_3ELNS0_20block_scan_algorithmE0ELj4294967295EEENS1_25partition_config_selectorILNS1_17partition_subalgoE3EjNS0_10empty_typeEbEEZZNS1_14partition_implILS8_3ELb0ES6_jNS0_17counting_iteratorIjlEEPS9_SE_NS0_5tupleIJPjSE_EEENSF_IJSE_SE_EEES9_SG_JZNS1_25segmented_radix_sort_implINS0_14default_configELb1EPK12hip_bfloat16PSL_PKlPlN2at6native12_GLOBAL__N_18offset_tEEE10hipError_tPvRmT1_PNSt15iterator_traitsISZ_E10value_typeET2_T3_PNS10_IS15_E10value_typeET4_jRbjT5_S1B_jjP12ihipStream_tbEUljE_EEESW_SX_SY_S15_S19_S1B_T6_T7_T9_mT8_S1D_bDpT10_ENKUlT_T0_E_clISt17integral_constantIbLb0EES1Q_EEDaS1L_S1M_EUlS1L_E_NS1_11comp_targetILNS1_3genE9ELNS1_11target_archE1100ELNS1_3gpuE3ELNS1_3repE0EEENS1_30default_config_static_selectorELNS0_4arch9wavefront6targetE0EEEvSZ_: ; @_ZN7rocprim17ROCPRIM_400000_NS6detail17trampoline_kernelINS0_13select_configILj256ELj13ELNS0_17block_load_methodE3ELS4_3ELS4_3ELNS0_20block_scan_algorithmE0ELj4294967295EEENS1_25partition_config_selectorILNS1_17partition_subalgoE3EjNS0_10empty_typeEbEEZZNS1_14partition_implILS8_3ELb0ES6_jNS0_17counting_iteratorIjlEEPS9_SE_NS0_5tupleIJPjSE_EEENSF_IJSE_SE_EEES9_SG_JZNS1_25segmented_radix_sort_implINS0_14default_configELb1EPK12hip_bfloat16PSL_PKlPlN2at6native12_GLOBAL__N_18offset_tEEE10hipError_tPvRmT1_PNSt15iterator_traitsISZ_E10value_typeET2_T3_PNS10_IS15_E10value_typeET4_jRbjT5_S1B_jjP12ihipStream_tbEUljE_EEESW_SX_SY_S15_S19_S1B_T6_T7_T9_mT8_S1D_bDpT10_ENKUlT_T0_E_clISt17integral_constantIbLb0EES1Q_EEDaS1L_S1M_EUlS1L_E_NS1_11comp_targetILNS1_3genE9ELNS1_11target_archE1100ELNS1_3gpuE3ELNS1_3repE0EEENS1_30default_config_static_selectorELNS0_4arch9wavefront6targetE0EEEvSZ_
; %bb.0:
	.section	.rodata,"a",@progbits
	.p2align	6, 0x0
	.amdhsa_kernel _ZN7rocprim17ROCPRIM_400000_NS6detail17trampoline_kernelINS0_13select_configILj256ELj13ELNS0_17block_load_methodE3ELS4_3ELS4_3ELNS0_20block_scan_algorithmE0ELj4294967295EEENS1_25partition_config_selectorILNS1_17partition_subalgoE3EjNS0_10empty_typeEbEEZZNS1_14partition_implILS8_3ELb0ES6_jNS0_17counting_iteratorIjlEEPS9_SE_NS0_5tupleIJPjSE_EEENSF_IJSE_SE_EEES9_SG_JZNS1_25segmented_radix_sort_implINS0_14default_configELb1EPK12hip_bfloat16PSL_PKlPlN2at6native12_GLOBAL__N_18offset_tEEE10hipError_tPvRmT1_PNSt15iterator_traitsISZ_E10value_typeET2_T3_PNS10_IS15_E10value_typeET4_jRbjT5_S1B_jjP12ihipStream_tbEUljE_EEESW_SX_SY_S15_S19_S1B_T6_T7_T9_mT8_S1D_bDpT10_ENKUlT_T0_E_clISt17integral_constantIbLb0EES1Q_EEDaS1L_S1M_EUlS1L_E_NS1_11comp_targetILNS1_3genE9ELNS1_11target_archE1100ELNS1_3gpuE3ELNS1_3repE0EEENS1_30default_config_static_selectorELNS0_4arch9wavefront6targetE0EEEvSZ_
		.amdhsa_group_segment_fixed_size 0
		.amdhsa_private_segment_fixed_size 0
		.amdhsa_kernarg_size 144
		.amdhsa_user_sgpr_count 2
		.amdhsa_user_sgpr_dispatch_ptr 0
		.amdhsa_user_sgpr_queue_ptr 0
		.amdhsa_user_sgpr_kernarg_segment_ptr 1
		.amdhsa_user_sgpr_dispatch_id 0
		.amdhsa_user_sgpr_private_segment_size 0
		.amdhsa_wavefront_size32 1
		.amdhsa_uses_dynamic_stack 0
		.amdhsa_enable_private_segment 0
		.amdhsa_system_sgpr_workgroup_id_x 1
		.amdhsa_system_sgpr_workgroup_id_y 0
		.amdhsa_system_sgpr_workgroup_id_z 0
		.amdhsa_system_sgpr_workgroup_info 0
		.amdhsa_system_vgpr_workitem_id 0
		.amdhsa_next_free_vgpr 1
		.amdhsa_next_free_sgpr 1
		.amdhsa_reserve_vcc 0
		.amdhsa_float_round_mode_32 0
		.amdhsa_float_round_mode_16_64 0
		.amdhsa_float_denorm_mode_32 3
		.amdhsa_float_denorm_mode_16_64 3
		.amdhsa_fp16_overflow 0
		.amdhsa_workgroup_processor_mode 1
		.amdhsa_memory_ordered 1
		.amdhsa_forward_progress 1
		.amdhsa_inst_pref_size 0
		.amdhsa_round_robin_scheduling 0
		.amdhsa_exception_fp_ieee_invalid_op 0
		.amdhsa_exception_fp_denorm_src 0
		.amdhsa_exception_fp_ieee_div_zero 0
		.amdhsa_exception_fp_ieee_overflow 0
		.amdhsa_exception_fp_ieee_underflow 0
		.amdhsa_exception_fp_ieee_inexact 0
		.amdhsa_exception_int_div_zero 0
	.end_amdhsa_kernel
	.section	.text._ZN7rocprim17ROCPRIM_400000_NS6detail17trampoline_kernelINS0_13select_configILj256ELj13ELNS0_17block_load_methodE3ELS4_3ELS4_3ELNS0_20block_scan_algorithmE0ELj4294967295EEENS1_25partition_config_selectorILNS1_17partition_subalgoE3EjNS0_10empty_typeEbEEZZNS1_14partition_implILS8_3ELb0ES6_jNS0_17counting_iteratorIjlEEPS9_SE_NS0_5tupleIJPjSE_EEENSF_IJSE_SE_EEES9_SG_JZNS1_25segmented_radix_sort_implINS0_14default_configELb1EPK12hip_bfloat16PSL_PKlPlN2at6native12_GLOBAL__N_18offset_tEEE10hipError_tPvRmT1_PNSt15iterator_traitsISZ_E10value_typeET2_T3_PNS10_IS15_E10value_typeET4_jRbjT5_S1B_jjP12ihipStream_tbEUljE_EEESW_SX_SY_S15_S19_S1B_T6_T7_T9_mT8_S1D_bDpT10_ENKUlT_T0_E_clISt17integral_constantIbLb0EES1Q_EEDaS1L_S1M_EUlS1L_E_NS1_11comp_targetILNS1_3genE9ELNS1_11target_archE1100ELNS1_3gpuE3ELNS1_3repE0EEENS1_30default_config_static_selectorELNS0_4arch9wavefront6targetE0EEEvSZ_,"axG",@progbits,_ZN7rocprim17ROCPRIM_400000_NS6detail17trampoline_kernelINS0_13select_configILj256ELj13ELNS0_17block_load_methodE3ELS4_3ELS4_3ELNS0_20block_scan_algorithmE0ELj4294967295EEENS1_25partition_config_selectorILNS1_17partition_subalgoE3EjNS0_10empty_typeEbEEZZNS1_14partition_implILS8_3ELb0ES6_jNS0_17counting_iteratorIjlEEPS9_SE_NS0_5tupleIJPjSE_EEENSF_IJSE_SE_EEES9_SG_JZNS1_25segmented_radix_sort_implINS0_14default_configELb1EPK12hip_bfloat16PSL_PKlPlN2at6native12_GLOBAL__N_18offset_tEEE10hipError_tPvRmT1_PNSt15iterator_traitsISZ_E10value_typeET2_T3_PNS10_IS15_E10value_typeET4_jRbjT5_S1B_jjP12ihipStream_tbEUljE_EEESW_SX_SY_S15_S19_S1B_T6_T7_T9_mT8_S1D_bDpT10_ENKUlT_T0_E_clISt17integral_constantIbLb0EES1Q_EEDaS1L_S1M_EUlS1L_E_NS1_11comp_targetILNS1_3genE9ELNS1_11target_archE1100ELNS1_3gpuE3ELNS1_3repE0EEENS1_30default_config_static_selectorELNS0_4arch9wavefront6targetE0EEEvSZ_,comdat
.Lfunc_end1920:
	.size	_ZN7rocprim17ROCPRIM_400000_NS6detail17trampoline_kernelINS0_13select_configILj256ELj13ELNS0_17block_load_methodE3ELS4_3ELS4_3ELNS0_20block_scan_algorithmE0ELj4294967295EEENS1_25partition_config_selectorILNS1_17partition_subalgoE3EjNS0_10empty_typeEbEEZZNS1_14partition_implILS8_3ELb0ES6_jNS0_17counting_iteratorIjlEEPS9_SE_NS0_5tupleIJPjSE_EEENSF_IJSE_SE_EEES9_SG_JZNS1_25segmented_radix_sort_implINS0_14default_configELb1EPK12hip_bfloat16PSL_PKlPlN2at6native12_GLOBAL__N_18offset_tEEE10hipError_tPvRmT1_PNSt15iterator_traitsISZ_E10value_typeET2_T3_PNS10_IS15_E10value_typeET4_jRbjT5_S1B_jjP12ihipStream_tbEUljE_EEESW_SX_SY_S15_S19_S1B_T6_T7_T9_mT8_S1D_bDpT10_ENKUlT_T0_E_clISt17integral_constantIbLb0EES1Q_EEDaS1L_S1M_EUlS1L_E_NS1_11comp_targetILNS1_3genE9ELNS1_11target_archE1100ELNS1_3gpuE3ELNS1_3repE0EEENS1_30default_config_static_selectorELNS0_4arch9wavefront6targetE0EEEvSZ_, .Lfunc_end1920-_ZN7rocprim17ROCPRIM_400000_NS6detail17trampoline_kernelINS0_13select_configILj256ELj13ELNS0_17block_load_methodE3ELS4_3ELS4_3ELNS0_20block_scan_algorithmE0ELj4294967295EEENS1_25partition_config_selectorILNS1_17partition_subalgoE3EjNS0_10empty_typeEbEEZZNS1_14partition_implILS8_3ELb0ES6_jNS0_17counting_iteratorIjlEEPS9_SE_NS0_5tupleIJPjSE_EEENSF_IJSE_SE_EEES9_SG_JZNS1_25segmented_radix_sort_implINS0_14default_configELb1EPK12hip_bfloat16PSL_PKlPlN2at6native12_GLOBAL__N_18offset_tEEE10hipError_tPvRmT1_PNSt15iterator_traitsISZ_E10value_typeET2_T3_PNS10_IS15_E10value_typeET4_jRbjT5_S1B_jjP12ihipStream_tbEUljE_EEESW_SX_SY_S15_S19_S1B_T6_T7_T9_mT8_S1D_bDpT10_ENKUlT_T0_E_clISt17integral_constantIbLb0EES1Q_EEDaS1L_S1M_EUlS1L_E_NS1_11comp_targetILNS1_3genE9ELNS1_11target_archE1100ELNS1_3gpuE3ELNS1_3repE0EEENS1_30default_config_static_selectorELNS0_4arch9wavefront6targetE0EEEvSZ_
                                        ; -- End function
	.set _ZN7rocprim17ROCPRIM_400000_NS6detail17trampoline_kernelINS0_13select_configILj256ELj13ELNS0_17block_load_methodE3ELS4_3ELS4_3ELNS0_20block_scan_algorithmE0ELj4294967295EEENS1_25partition_config_selectorILNS1_17partition_subalgoE3EjNS0_10empty_typeEbEEZZNS1_14partition_implILS8_3ELb0ES6_jNS0_17counting_iteratorIjlEEPS9_SE_NS0_5tupleIJPjSE_EEENSF_IJSE_SE_EEES9_SG_JZNS1_25segmented_radix_sort_implINS0_14default_configELb1EPK12hip_bfloat16PSL_PKlPlN2at6native12_GLOBAL__N_18offset_tEEE10hipError_tPvRmT1_PNSt15iterator_traitsISZ_E10value_typeET2_T3_PNS10_IS15_E10value_typeET4_jRbjT5_S1B_jjP12ihipStream_tbEUljE_EEESW_SX_SY_S15_S19_S1B_T6_T7_T9_mT8_S1D_bDpT10_ENKUlT_T0_E_clISt17integral_constantIbLb0EES1Q_EEDaS1L_S1M_EUlS1L_E_NS1_11comp_targetILNS1_3genE9ELNS1_11target_archE1100ELNS1_3gpuE3ELNS1_3repE0EEENS1_30default_config_static_selectorELNS0_4arch9wavefront6targetE0EEEvSZ_.num_vgpr, 0
	.set _ZN7rocprim17ROCPRIM_400000_NS6detail17trampoline_kernelINS0_13select_configILj256ELj13ELNS0_17block_load_methodE3ELS4_3ELS4_3ELNS0_20block_scan_algorithmE0ELj4294967295EEENS1_25partition_config_selectorILNS1_17partition_subalgoE3EjNS0_10empty_typeEbEEZZNS1_14partition_implILS8_3ELb0ES6_jNS0_17counting_iteratorIjlEEPS9_SE_NS0_5tupleIJPjSE_EEENSF_IJSE_SE_EEES9_SG_JZNS1_25segmented_radix_sort_implINS0_14default_configELb1EPK12hip_bfloat16PSL_PKlPlN2at6native12_GLOBAL__N_18offset_tEEE10hipError_tPvRmT1_PNSt15iterator_traitsISZ_E10value_typeET2_T3_PNS10_IS15_E10value_typeET4_jRbjT5_S1B_jjP12ihipStream_tbEUljE_EEESW_SX_SY_S15_S19_S1B_T6_T7_T9_mT8_S1D_bDpT10_ENKUlT_T0_E_clISt17integral_constantIbLb0EES1Q_EEDaS1L_S1M_EUlS1L_E_NS1_11comp_targetILNS1_3genE9ELNS1_11target_archE1100ELNS1_3gpuE3ELNS1_3repE0EEENS1_30default_config_static_selectorELNS0_4arch9wavefront6targetE0EEEvSZ_.num_agpr, 0
	.set _ZN7rocprim17ROCPRIM_400000_NS6detail17trampoline_kernelINS0_13select_configILj256ELj13ELNS0_17block_load_methodE3ELS4_3ELS4_3ELNS0_20block_scan_algorithmE0ELj4294967295EEENS1_25partition_config_selectorILNS1_17partition_subalgoE3EjNS0_10empty_typeEbEEZZNS1_14partition_implILS8_3ELb0ES6_jNS0_17counting_iteratorIjlEEPS9_SE_NS0_5tupleIJPjSE_EEENSF_IJSE_SE_EEES9_SG_JZNS1_25segmented_radix_sort_implINS0_14default_configELb1EPK12hip_bfloat16PSL_PKlPlN2at6native12_GLOBAL__N_18offset_tEEE10hipError_tPvRmT1_PNSt15iterator_traitsISZ_E10value_typeET2_T3_PNS10_IS15_E10value_typeET4_jRbjT5_S1B_jjP12ihipStream_tbEUljE_EEESW_SX_SY_S15_S19_S1B_T6_T7_T9_mT8_S1D_bDpT10_ENKUlT_T0_E_clISt17integral_constantIbLb0EES1Q_EEDaS1L_S1M_EUlS1L_E_NS1_11comp_targetILNS1_3genE9ELNS1_11target_archE1100ELNS1_3gpuE3ELNS1_3repE0EEENS1_30default_config_static_selectorELNS0_4arch9wavefront6targetE0EEEvSZ_.numbered_sgpr, 0
	.set _ZN7rocprim17ROCPRIM_400000_NS6detail17trampoline_kernelINS0_13select_configILj256ELj13ELNS0_17block_load_methodE3ELS4_3ELS4_3ELNS0_20block_scan_algorithmE0ELj4294967295EEENS1_25partition_config_selectorILNS1_17partition_subalgoE3EjNS0_10empty_typeEbEEZZNS1_14partition_implILS8_3ELb0ES6_jNS0_17counting_iteratorIjlEEPS9_SE_NS0_5tupleIJPjSE_EEENSF_IJSE_SE_EEES9_SG_JZNS1_25segmented_radix_sort_implINS0_14default_configELb1EPK12hip_bfloat16PSL_PKlPlN2at6native12_GLOBAL__N_18offset_tEEE10hipError_tPvRmT1_PNSt15iterator_traitsISZ_E10value_typeET2_T3_PNS10_IS15_E10value_typeET4_jRbjT5_S1B_jjP12ihipStream_tbEUljE_EEESW_SX_SY_S15_S19_S1B_T6_T7_T9_mT8_S1D_bDpT10_ENKUlT_T0_E_clISt17integral_constantIbLb0EES1Q_EEDaS1L_S1M_EUlS1L_E_NS1_11comp_targetILNS1_3genE9ELNS1_11target_archE1100ELNS1_3gpuE3ELNS1_3repE0EEENS1_30default_config_static_selectorELNS0_4arch9wavefront6targetE0EEEvSZ_.num_named_barrier, 0
	.set _ZN7rocprim17ROCPRIM_400000_NS6detail17trampoline_kernelINS0_13select_configILj256ELj13ELNS0_17block_load_methodE3ELS4_3ELS4_3ELNS0_20block_scan_algorithmE0ELj4294967295EEENS1_25partition_config_selectorILNS1_17partition_subalgoE3EjNS0_10empty_typeEbEEZZNS1_14partition_implILS8_3ELb0ES6_jNS0_17counting_iteratorIjlEEPS9_SE_NS0_5tupleIJPjSE_EEENSF_IJSE_SE_EEES9_SG_JZNS1_25segmented_radix_sort_implINS0_14default_configELb1EPK12hip_bfloat16PSL_PKlPlN2at6native12_GLOBAL__N_18offset_tEEE10hipError_tPvRmT1_PNSt15iterator_traitsISZ_E10value_typeET2_T3_PNS10_IS15_E10value_typeET4_jRbjT5_S1B_jjP12ihipStream_tbEUljE_EEESW_SX_SY_S15_S19_S1B_T6_T7_T9_mT8_S1D_bDpT10_ENKUlT_T0_E_clISt17integral_constantIbLb0EES1Q_EEDaS1L_S1M_EUlS1L_E_NS1_11comp_targetILNS1_3genE9ELNS1_11target_archE1100ELNS1_3gpuE3ELNS1_3repE0EEENS1_30default_config_static_selectorELNS0_4arch9wavefront6targetE0EEEvSZ_.private_seg_size, 0
	.set _ZN7rocprim17ROCPRIM_400000_NS6detail17trampoline_kernelINS0_13select_configILj256ELj13ELNS0_17block_load_methodE3ELS4_3ELS4_3ELNS0_20block_scan_algorithmE0ELj4294967295EEENS1_25partition_config_selectorILNS1_17partition_subalgoE3EjNS0_10empty_typeEbEEZZNS1_14partition_implILS8_3ELb0ES6_jNS0_17counting_iteratorIjlEEPS9_SE_NS0_5tupleIJPjSE_EEENSF_IJSE_SE_EEES9_SG_JZNS1_25segmented_radix_sort_implINS0_14default_configELb1EPK12hip_bfloat16PSL_PKlPlN2at6native12_GLOBAL__N_18offset_tEEE10hipError_tPvRmT1_PNSt15iterator_traitsISZ_E10value_typeET2_T3_PNS10_IS15_E10value_typeET4_jRbjT5_S1B_jjP12ihipStream_tbEUljE_EEESW_SX_SY_S15_S19_S1B_T6_T7_T9_mT8_S1D_bDpT10_ENKUlT_T0_E_clISt17integral_constantIbLb0EES1Q_EEDaS1L_S1M_EUlS1L_E_NS1_11comp_targetILNS1_3genE9ELNS1_11target_archE1100ELNS1_3gpuE3ELNS1_3repE0EEENS1_30default_config_static_selectorELNS0_4arch9wavefront6targetE0EEEvSZ_.uses_vcc, 0
	.set _ZN7rocprim17ROCPRIM_400000_NS6detail17trampoline_kernelINS0_13select_configILj256ELj13ELNS0_17block_load_methodE3ELS4_3ELS4_3ELNS0_20block_scan_algorithmE0ELj4294967295EEENS1_25partition_config_selectorILNS1_17partition_subalgoE3EjNS0_10empty_typeEbEEZZNS1_14partition_implILS8_3ELb0ES6_jNS0_17counting_iteratorIjlEEPS9_SE_NS0_5tupleIJPjSE_EEENSF_IJSE_SE_EEES9_SG_JZNS1_25segmented_radix_sort_implINS0_14default_configELb1EPK12hip_bfloat16PSL_PKlPlN2at6native12_GLOBAL__N_18offset_tEEE10hipError_tPvRmT1_PNSt15iterator_traitsISZ_E10value_typeET2_T3_PNS10_IS15_E10value_typeET4_jRbjT5_S1B_jjP12ihipStream_tbEUljE_EEESW_SX_SY_S15_S19_S1B_T6_T7_T9_mT8_S1D_bDpT10_ENKUlT_T0_E_clISt17integral_constantIbLb0EES1Q_EEDaS1L_S1M_EUlS1L_E_NS1_11comp_targetILNS1_3genE9ELNS1_11target_archE1100ELNS1_3gpuE3ELNS1_3repE0EEENS1_30default_config_static_selectorELNS0_4arch9wavefront6targetE0EEEvSZ_.uses_flat_scratch, 0
	.set _ZN7rocprim17ROCPRIM_400000_NS6detail17trampoline_kernelINS0_13select_configILj256ELj13ELNS0_17block_load_methodE3ELS4_3ELS4_3ELNS0_20block_scan_algorithmE0ELj4294967295EEENS1_25partition_config_selectorILNS1_17partition_subalgoE3EjNS0_10empty_typeEbEEZZNS1_14partition_implILS8_3ELb0ES6_jNS0_17counting_iteratorIjlEEPS9_SE_NS0_5tupleIJPjSE_EEENSF_IJSE_SE_EEES9_SG_JZNS1_25segmented_radix_sort_implINS0_14default_configELb1EPK12hip_bfloat16PSL_PKlPlN2at6native12_GLOBAL__N_18offset_tEEE10hipError_tPvRmT1_PNSt15iterator_traitsISZ_E10value_typeET2_T3_PNS10_IS15_E10value_typeET4_jRbjT5_S1B_jjP12ihipStream_tbEUljE_EEESW_SX_SY_S15_S19_S1B_T6_T7_T9_mT8_S1D_bDpT10_ENKUlT_T0_E_clISt17integral_constantIbLb0EES1Q_EEDaS1L_S1M_EUlS1L_E_NS1_11comp_targetILNS1_3genE9ELNS1_11target_archE1100ELNS1_3gpuE3ELNS1_3repE0EEENS1_30default_config_static_selectorELNS0_4arch9wavefront6targetE0EEEvSZ_.has_dyn_sized_stack, 0
	.set _ZN7rocprim17ROCPRIM_400000_NS6detail17trampoline_kernelINS0_13select_configILj256ELj13ELNS0_17block_load_methodE3ELS4_3ELS4_3ELNS0_20block_scan_algorithmE0ELj4294967295EEENS1_25partition_config_selectorILNS1_17partition_subalgoE3EjNS0_10empty_typeEbEEZZNS1_14partition_implILS8_3ELb0ES6_jNS0_17counting_iteratorIjlEEPS9_SE_NS0_5tupleIJPjSE_EEENSF_IJSE_SE_EEES9_SG_JZNS1_25segmented_radix_sort_implINS0_14default_configELb1EPK12hip_bfloat16PSL_PKlPlN2at6native12_GLOBAL__N_18offset_tEEE10hipError_tPvRmT1_PNSt15iterator_traitsISZ_E10value_typeET2_T3_PNS10_IS15_E10value_typeET4_jRbjT5_S1B_jjP12ihipStream_tbEUljE_EEESW_SX_SY_S15_S19_S1B_T6_T7_T9_mT8_S1D_bDpT10_ENKUlT_T0_E_clISt17integral_constantIbLb0EES1Q_EEDaS1L_S1M_EUlS1L_E_NS1_11comp_targetILNS1_3genE9ELNS1_11target_archE1100ELNS1_3gpuE3ELNS1_3repE0EEENS1_30default_config_static_selectorELNS0_4arch9wavefront6targetE0EEEvSZ_.has_recursion, 0
	.set _ZN7rocprim17ROCPRIM_400000_NS6detail17trampoline_kernelINS0_13select_configILj256ELj13ELNS0_17block_load_methodE3ELS4_3ELS4_3ELNS0_20block_scan_algorithmE0ELj4294967295EEENS1_25partition_config_selectorILNS1_17partition_subalgoE3EjNS0_10empty_typeEbEEZZNS1_14partition_implILS8_3ELb0ES6_jNS0_17counting_iteratorIjlEEPS9_SE_NS0_5tupleIJPjSE_EEENSF_IJSE_SE_EEES9_SG_JZNS1_25segmented_radix_sort_implINS0_14default_configELb1EPK12hip_bfloat16PSL_PKlPlN2at6native12_GLOBAL__N_18offset_tEEE10hipError_tPvRmT1_PNSt15iterator_traitsISZ_E10value_typeET2_T3_PNS10_IS15_E10value_typeET4_jRbjT5_S1B_jjP12ihipStream_tbEUljE_EEESW_SX_SY_S15_S19_S1B_T6_T7_T9_mT8_S1D_bDpT10_ENKUlT_T0_E_clISt17integral_constantIbLb0EES1Q_EEDaS1L_S1M_EUlS1L_E_NS1_11comp_targetILNS1_3genE9ELNS1_11target_archE1100ELNS1_3gpuE3ELNS1_3repE0EEENS1_30default_config_static_selectorELNS0_4arch9wavefront6targetE0EEEvSZ_.has_indirect_call, 0
	.section	.AMDGPU.csdata,"",@progbits
; Kernel info:
; codeLenInByte = 0
; TotalNumSgprs: 0
; NumVgprs: 0
; ScratchSize: 0
; MemoryBound: 0
; FloatMode: 240
; IeeeMode: 1
; LDSByteSize: 0 bytes/workgroup (compile time only)
; SGPRBlocks: 0
; VGPRBlocks: 0
; NumSGPRsForWavesPerEU: 1
; NumVGPRsForWavesPerEU: 1
; Occupancy: 16
; WaveLimiterHint : 0
; COMPUTE_PGM_RSRC2:SCRATCH_EN: 0
; COMPUTE_PGM_RSRC2:USER_SGPR: 2
; COMPUTE_PGM_RSRC2:TRAP_HANDLER: 0
; COMPUTE_PGM_RSRC2:TGID_X_EN: 1
; COMPUTE_PGM_RSRC2:TGID_Y_EN: 0
; COMPUTE_PGM_RSRC2:TGID_Z_EN: 0
; COMPUTE_PGM_RSRC2:TIDIG_COMP_CNT: 0
	.section	.text._ZN7rocprim17ROCPRIM_400000_NS6detail17trampoline_kernelINS0_13select_configILj256ELj13ELNS0_17block_load_methodE3ELS4_3ELS4_3ELNS0_20block_scan_algorithmE0ELj4294967295EEENS1_25partition_config_selectorILNS1_17partition_subalgoE3EjNS0_10empty_typeEbEEZZNS1_14partition_implILS8_3ELb0ES6_jNS0_17counting_iteratorIjlEEPS9_SE_NS0_5tupleIJPjSE_EEENSF_IJSE_SE_EEES9_SG_JZNS1_25segmented_radix_sort_implINS0_14default_configELb1EPK12hip_bfloat16PSL_PKlPlN2at6native12_GLOBAL__N_18offset_tEEE10hipError_tPvRmT1_PNSt15iterator_traitsISZ_E10value_typeET2_T3_PNS10_IS15_E10value_typeET4_jRbjT5_S1B_jjP12ihipStream_tbEUljE_EEESW_SX_SY_S15_S19_S1B_T6_T7_T9_mT8_S1D_bDpT10_ENKUlT_T0_E_clISt17integral_constantIbLb0EES1Q_EEDaS1L_S1M_EUlS1L_E_NS1_11comp_targetILNS1_3genE8ELNS1_11target_archE1030ELNS1_3gpuE2ELNS1_3repE0EEENS1_30default_config_static_selectorELNS0_4arch9wavefront6targetE0EEEvSZ_,"axG",@progbits,_ZN7rocprim17ROCPRIM_400000_NS6detail17trampoline_kernelINS0_13select_configILj256ELj13ELNS0_17block_load_methodE3ELS4_3ELS4_3ELNS0_20block_scan_algorithmE0ELj4294967295EEENS1_25partition_config_selectorILNS1_17partition_subalgoE3EjNS0_10empty_typeEbEEZZNS1_14partition_implILS8_3ELb0ES6_jNS0_17counting_iteratorIjlEEPS9_SE_NS0_5tupleIJPjSE_EEENSF_IJSE_SE_EEES9_SG_JZNS1_25segmented_radix_sort_implINS0_14default_configELb1EPK12hip_bfloat16PSL_PKlPlN2at6native12_GLOBAL__N_18offset_tEEE10hipError_tPvRmT1_PNSt15iterator_traitsISZ_E10value_typeET2_T3_PNS10_IS15_E10value_typeET4_jRbjT5_S1B_jjP12ihipStream_tbEUljE_EEESW_SX_SY_S15_S19_S1B_T6_T7_T9_mT8_S1D_bDpT10_ENKUlT_T0_E_clISt17integral_constantIbLb0EES1Q_EEDaS1L_S1M_EUlS1L_E_NS1_11comp_targetILNS1_3genE8ELNS1_11target_archE1030ELNS1_3gpuE2ELNS1_3repE0EEENS1_30default_config_static_selectorELNS0_4arch9wavefront6targetE0EEEvSZ_,comdat
	.globl	_ZN7rocprim17ROCPRIM_400000_NS6detail17trampoline_kernelINS0_13select_configILj256ELj13ELNS0_17block_load_methodE3ELS4_3ELS4_3ELNS0_20block_scan_algorithmE0ELj4294967295EEENS1_25partition_config_selectorILNS1_17partition_subalgoE3EjNS0_10empty_typeEbEEZZNS1_14partition_implILS8_3ELb0ES6_jNS0_17counting_iteratorIjlEEPS9_SE_NS0_5tupleIJPjSE_EEENSF_IJSE_SE_EEES9_SG_JZNS1_25segmented_radix_sort_implINS0_14default_configELb1EPK12hip_bfloat16PSL_PKlPlN2at6native12_GLOBAL__N_18offset_tEEE10hipError_tPvRmT1_PNSt15iterator_traitsISZ_E10value_typeET2_T3_PNS10_IS15_E10value_typeET4_jRbjT5_S1B_jjP12ihipStream_tbEUljE_EEESW_SX_SY_S15_S19_S1B_T6_T7_T9_mT8_S1D_bDpT10_ENKUlT_T0_E_clISt17integral_constantIbLb0EES1Q_EEDaS1L_S1M_EUlS1L_E_NS1_11comp_targetILNS1_3genE8ELNS1_11target_archE1030ELNS1_3gpuE2ELNS1_3repE0EEENS1_30default_config_static_selectorELNS0_4arch9wavefront6targetE0EEEvSZ_ ; -- Begin function _ZN7rocprim17ROCPRIM_400000_NS6detail17trampoline_kernelINS0_13select_configILj256ELj13ELNS0_17block_load_methodE3ELS4_3ELS4_3ELNS0_20block_scan_algorithmE0ELj4294967295EEENS1_25partition_config_selectorILNS1_17partition_subalgoE3EjNS0_10empty_typeEbEEZZNS1_14partition_implILS8_3ELb0ES6_jNS0_17counting_iteratorIjlEEPS9_SE_NS0_5tupleIJPjSE_EEENSF_IJSE_SE_EEES9_SG_JZNS1_25segmented_radix_sort_implINS0_14default_configELb1EPK12hip_bfloat16PSL_PKlPlN2at6native12_GLOBAL__N_18offset_tEEE10hipError_tPvRmT1_PNSt15iterator_traitsISZ_E10value_typeET2_T3_PNS10_IS15_E10value_typeET4_jRbjT5_S1B_jjP12ihipStream_tbEUljE_EEESW_SX_SY_S15_S19_S1B_T6_T7_T9_mT8_S1D_bDpT10_ENKUlT_T0_E_clISt17integral_constantIbLb0EES1Q_EEDaS1L_S1M_EUlS1L_E_NS1_11comp_targetILNS1_3genE8ELNS1_11target_archE1030ELNS1_3gpuE2ELNS1_3repE0EEENS1_30default_config_static_selectorELNS0_4arch9wavefront6targetE0EEEvSZ_
	.p2align	8
	.type	_ZN7rocprim17ROCPRIM_400000_NS6detail17trampoline_kernelINS0_13select_configILj256ELj13ELNS0_17block_load_methodE3ELS4_3ELS4_3ELNS0_20block_scan_algorithmE0ELj4294967295EEENS1_25partition_config_selectorILNS1_17partition_subalgoE3EjNS0_10empty_typeEbEEZZNS1_14partition_implILS8_3ELb0ES6_jNS0_17counting_iteratorIjlEEPS9_SE_NS0_5tupleIJPjSE_EEENSF_IJSE_SE_EEES9_SG_JZNS1_25segmented_radix_sort_implINS0_14default_configELb1EPK12hip_bfloat16PSL_PKlPlN2at6native12_GLOBAL__N_18offset_tEEE10hipError_tPvRmT1_PNSt15iterator_traitsISZ_E10value_typeET2_T3_PNS10_IS15_E10value_typeET4_jRbjT5_S1B_jjP12ihipStream_tbEUljE_EEESW_SX_SY_S15_S19_S1B_T6_T7_T9_mT8_S1D_bDpT10_ENKUlT_T0_E_clISt17integral_constantIbLb0EES1Q_EEDaS1L_S1M_EUlS1L_E_NS1_11comp_targetILNS1_3genE8ELNS1_11target_archE1030ELNS1_3gpuE2ELNS1_3repE0EEENS1_30default_config_static_selectorELNS0_4arch9wavefront6targetE0EEEvSZ_,@function
_ZN7rocprim17ROCPRIM_400000_NS6detail17trampoline_kernelINS0_13select_configILj256ELj13ELNS0_17block_load_methodE3ELS4_3ELS4_3ELNS0_20block_scan_algorithmE0ELj4294967295EEENS1_25partition_config_selectorILNS1_17partition_subalgoE3EjNS0_10empty_typeEbEEZZNS1_14partition_implILS8_3ELb0ES6_jNS0_17counting_iteratorIjlEEPS9_SE_NS0_5tupleIJPjSE_EEENSF_IJSE_SE_EEES9_SG_JZNS1_25segmented_radix_sort_implINS0_14default_configELb1EPK12hip_bfloat16PSL_PKlPlN2at6native12_GLOBAL__N_18offset_tEEE10hipError_tPvRmT1_PNSt15iterator_traitsISZ_E10value_typeET2_T3_PNS10_IS15_E10value_typeET4_jRbjT5_S1B_jjP12ihipStream_tbEUljE_EEESW_SX_SY_S15_S19_S1B_T6_T7_T9_mT8_S1D_bDpT10_ENKUlT_T0_E_clISt17integral_constantIbLb0EES1Q_EEDaS1L_S1M_EUlS1L_E_NS1_11comp_targetILNS1_3genE8ELNS1_11target_archE1030ELNS1_3gpuE2ELNS1_3repE0EEENS1_30default_config_static_selectorELNS0_4arch9wavefront6targetE0EEEvSZ_: ; @_ZN7rocprim17ROCPRIM_400000_NS6detail17trampoline_kernelINS0_13select_configILj256ELj13ELNS0_17block_load_methodE3ELS4_3ELS4_3ELNS0_20block_scan_algorithmE0ELj4294967295EEENS1_25partition_config_selectorILNS1_17partition_subalgoE3EjNS0_10empty_typeEbEEZZNS1_14partition_implILS8_3ELb0ES6_jNS0_17counting_iteratorIjlEEPS9_SE_NS0_5tupleIJPjSE_EEENSF_IJSE_SE_EEES9_SG_JZNS1_25segmented_radix_sort_implINS0_14default_configELb1EPK12hip_bfloat16PSL_PKlPlN2at6native12_GLOBAL__N_18offset_tEEE10hipError_tPvRmT1_PNSt15iterator_traitsISZ_E10value_typeET2_T3_PNS10_IS15_E10value_typeET4_jRbjT5_S1B_jjP12ihipStream_tbEUljE_EEESW_SX_SY_S15_S19_S1B_T6_T7_T9_mT8_S1D_bDpT10_ENKUlT_T0_E_clISt17integral_constantIbLb0EES1Q_EEDaS1L_S1M_EUlS1L_E_NS1_11comp_targetILNS1_3genE8ELNS1_11target_archE1030ELNS1_3gpuE2ELNS1_3repE0EEENS1_30default_config_static_selectorELNS0_4arch9wavefront6targetE0EEEvSZ_
; %bb.0:
	.section	.rodata,"a",@progbits
	.p2align	6, 0x0
	.amdhsa_kernel _ZN7rocprim17ROCPRIM_400000_NS6detail17trampoline_kernelINS0_13select_configILj256ELj13ELNS0_17block_load_methodE3ELS4_3ELS4_3ELNS0_20block_scan_algorithmE0ELj4294967295EEENS1_25partition_config_selectorILNS1_17partition_subalgoE3EjNS0_10empty_typeEbEEZZNS1_14partition_implILS8_3ELb0ES6_jNS0_17counting_iteratorIjlEEPS9_SE_NS0_5tupleIJPjSE_EEENSF_IJSE_SE_EEES9_SG_JZNS1_25segmented_radix_sort_implINS0_14default_configELb1EPK12hip_bfloat16PSL_PKlPlN2at6native12_GLOBAL__N_18offset_tEEE10hipError_tPvRmT1_PNSt15iterator_traitsISZ_E10value_typeET2_T3_PNS10_IS15_E10value_typeET4_jRbjT5_S1B_jjP12ihipStream_tbEUljE_EEESW_SX_SY_S15_S19_S1B_T6_T7_T9_mT8_S1D_bDpT10_ENKUlT_T0_E_clISt17integral_constantIbLb0EES1Q_EEDaS1L_S1M_EUlS1L_E_NS1_11comp_targetILNS1_3genE8ELNS1_11target_archE1030ELNS1_3gpuE2ELNS1_3repE0EEENS1_30default_config_static_selectorELNS0_4arch9wavefront6targetE0EEEvSZ_
		.amdhsa_group_segment_fixed_size 0
		.amdhsa_private_segment_fixed_size 0
		.amdhsa_kernarg_size 144
		.amdhsa_user_sgpr_count 2
		.amdhsa_user_sgpr_dispatch_ptr 0
		.amdhsa_user_sgpr_queue_ptr 0
		.amdhsa_user_sgpr_kernarg_segment_ptr 1
		.amdhsa_user_sgpr_dispatch_id 0
		.amdhsa_user_sgpr_private_segment_size 0
		.amdhsa_wavefront_size32 1
		.amdhsa_uses_dynamic_stack 0
		.amdhsa_enable_private_segment 0
		.amdhsa_system_sgpr_workgroup_id_x 1
		.amdhsa_system_sgpr_workgroup_id_y 0
		.amdhsa_system_sgpr_workgroup_id_z 0
		.amdhsa_system_sgpr_workgroup_info 0
		.amdhsa_system_vgpr_workitem_id 0
		.amdhsa_next_free_vgpr 1
		.amdhsa_next_free_sgpr 1
		.amdhsa_reserve_vcc 0
		.amdhsa_float_round_mode_32 0
		.amdhsa_float_round_mode_16_64 0
		.amdhsa_float_denorm_mode_32 3
		.amdhsa_float_denorm_mode_16_64 3
		.amdhsa_fp16_overflow 0
		.amdhsa_workgroup_processor_mode 1
		.amdhsa_memory_ordered 1
		.amdhsa_forward_progress 1
		.amdhsa_inst_pref_size 0
		.amdhsa_round_robin_scheduling 0
		.amdhsa_exception_fp_ieee_invalid_op 0
		.amdhsa_exception_fp_denorm_src 0
		.amdhsa_exception_fp_ieee_div_zero 0
		.amdhsa_exception_fp_ieee_overflow 0
		.amdhsa_exception_fp_ieee_underflow 0
		.amdhsa_exception_fp_ieee_inexact 0
		.amdhsa_exception_int_div_zero 0
	.end_amdhsa_kernel
	.section	.text._ZN7rocprim17ROCPRIM_400000_NS6detail17trampoline_kernelINS0_13select_configILj256ELj13ELNS0_17block_load_methodE3ELS4_3ELS4_3ELNS0_20block_scan_algorithmE0ELj4294967295EEENS1_25partition_config_selectorILNS1_17partition_subalgoE3EjNS0_10empty_typeEbEEZZNS1_14partition_implILS8_3ELb0ES6_jNS0_17counting_iteratorIjlEEPS9_SE_NS0_5tupleIJPjSE_EEENSF_IJSE_SE_EEES9_SG_JZNS1_25segmented_radix_sort_implINS0_14default_configELb1EPK12hip_bfloat16PSL_PKlPlN2at6native12_GLOBAL__N_18offset_tEEE10hipError_tPvRmT1_PNSt15iterator_traitsISZ_E10value_typeET2_T3_PNS10_IS15_E10value_typeET4_jRbjT5_S1B_jjP12ihipStream_tbEUljE_EEESW_SX_SY_S15_S19_S1B_T6_T7_T9_mT8_S1D_bDpT10_ENKUlT_T0_E_clISt17integral_constantIbLb0EES1Q_EEDaS1L_S1M_EUlS1L_E_NS1_11comp_targetILNS1_3genE8ELNS1_11target_archE1030ELNS1_3gpuE2ELNS1_3repE0EEENS1_30default_config_static_selectorELNS0_4arch9wavefront6targetE0EEEvSZ_,"axG",@progbits,_ZN7rocprim17ROCPRIM_400000_NS6detail17trampoline_kernelINS0_13select_configILj256ELj13ELNS0_17block_load_methodE3ELS4_3ELS4_3ELNS0_20block_scan_algorithmE0ELj4294967295EEENS1_25partition_config_selectorILNS1_17partition_subalgoE3EjNS0_10empty_typeEbEEZZNS1_14partition_implILS8_3ELb0ES6_jNS0_17counting_iteratorIjlEEPS9_SE_NS0_5tupleIJPjSE_EEENSF_IJSE_SE_EEES9_SG_JZNS1_25segmented_radix_sort_implINS0_14default_configELb1EPK12hip_bfloat16PSL_PKlPlN2at6native12_GLOBAL__N_18offset_tEEE10hipError_tPvRmT1_PNSt15iterator_traitsISZ_E10value_typeET2_T3_PNS10_IS15_E10value_typeET4_jRbjT5_S1B_jjP12ihipStream_tbEUljE_EEESW_SX_SY_S15_S19_S1B_T6_T7_T9_mT8_S1D_bDpT10_ENKUlT_T0_E_clISt17integral_constantIbLb0EES1Q_EEDaS1L_S1M_EUlS1L_E_NS1_11comp_targetILNS1_3genE8ELNS1_11target_archE1030ELNS1_3gpuE2ELNS1_3repE0EEENS1_30default_config_static_selectorELNS0_4arch9wavefront6targetE0EEEvSZ_,comdat
.Lfunc_end1921:
	.size	_ZN7rocprim17ROCPRIM_400000_NS6detail17trampoline_kernelINS0_13select_configILj256ELj13ELNS0_17block_load_methodE3ELS4_3ELS4_3ELNS0_20block_scan_algorithmE0ELj4294967295EEENS1_25partition_config_selectorILNS1_17partition_subalgoE3EjNS0_10empty_typeEbEEZZNS1_14partition_implILS8_3ELb0ES6_jNS0_17counting_iteratorIjlEEPS9_SE_NS0_5tupleIJPjSE_EEENSF_IJSE_SE_EEES9_SG_JZNS1_25segmented_radix_sort_implINS0_14default_configELb1EPK12hip_bfloat16PSL_PKlPlN2at6native12_GLOBAL__N_18offset_tEEE10hipError_tPvRmT1_PNSt15iterator_traitsISZ_E10value_typeET2_T3_PNS10_IS15_E10value_typeET4_jRbjT5_S1B_jjP12ihipStream_tbEUljE_EEESW_SX_SY_S15_S19_S1B_T6_T7_T9_mT8_S1D_bDpT10_ENKUlT_T0_E_clISt17integral_constantIbLb0EES1Q_EEDaS1L_S1M_EUlS1L_E_NS1_11comp_targetILNS1_3genE8ELNS1_11target_archE1030ELNS1_3gpuE2ELNS1_3repE0EEENS1_30default_config_static_selectorELNS0_4arch9wavefront6targetE0EEEvSZ_, .Lfunc_end1921-_ZN7rocprim17ROCPRIM_400000_NS6detail17trampoline_kernelINS0_13select_configILj256ELj13ELNS0_17block_load_methodE3ELS4_3ELS4_3ELNS0_20block_scan_algorithmE0ELj4294967295EEENS1_25partition_config_selectorILNS1_17partition_subalgoE3EjNS0_10empty_typeEbEEZZNS1_14partition_implILS8_3ELb0ES6_jNS0_17counting_iteratorIjlEEPS9_SE_NS0_5tupleIJPjSE_EEENSF_IJSE_SE_EEES9_SG_JZNS1_25segmented_radix_sort_implINS0_14default_configELb1EPK12hip_bfloat16PSL_PKlPlN2at6native12_GLOBAL__N_18offset_tEEE10hipError_tPvRmT1_PNSt15iterator_traitsISZ_E10value_typeET2_T3_PNS10_IS15_E10value_typeET4_jRbjT5_S1B_jjP12ihipStream_tbEUljE_EEESW_SX_SY_S15_S19_S1B_T6_T7_T9_mT8_S1D_bDpT10_ENKUlT_T0_E_clISt17integral_constantIbLb0EES1Q_EEDaS1L_S1M_EUlS1L_E_NS1_11comp_targetILNS1_3genE8ELNS1_11target_archE1030ELNS1_3gpuE2ELNS1_3repE0EEENS1_30default_config_static_selectorELNS0_4arch9wavefront6targetE0EEEvSZ_
                                        ; -- End function
	.set _ZN7rocprim17ROCPRIM_400000_NS6detail17trampoline_kernelINS0_13select_configILj256ELj13ELNS0_17block_load_methodE3ELS4_3ELS4_3ELNS0_20block_scan_algorithmE0ELj4294967295EEENS1_25partition_config_selectorILNS1_17partition_subalgoE3EjNS0_10empty_typeEbEEZZNS1_14partition_implILS8_3ELb0ES6_jNS0_17counting_iteratorIjlEEPS9_SE_NS0_5tupleIJPjSE_EEENSF_IJSE_SE_EEES9_SG_JZNS1_25segmented_radix_sort_implINS0_14default_configELb1EPK12hip_bfloat16PSL_PKlPlN2at6native12_GLOBAL__N_18offset_tEEE10hipError_tPvRmT1_PNSt15iterator_traitsISZ_E10value_typeET2_T3_PNS10_IS15_E10value_typeET4_jRbjT5_S1B_jjP12ihipStream_tbEUljE_EEESW_SX_SY_S15_S19_S1B_T6_T7_T9_mT8_S1D_bDpT10_ENKUlT_T0_E_clISt17integral_constantIbLb0EES1Q_EEDaS1L_S1M_EUlS1L_E_NS1_11comp_targetILNS1_3genE8ELNS1_11target_archE1030ELNS1_3gpuE2ELNS1_3repE0EEENS1_30default_config_static_selectorELNS0_4arch9wavefront6targetE0EEEvSZ_.num_vgpr, 0
	.set _ZN7rocprim17ROCPRIM_400000_NS6detail17trampoline_kernelINS0_13select_configILj256ELj13ELNS0_17block_load_methodE3ELS4_3ELS4_3ELNS0_20block_scan_algorithmE0ELj4294967295EEENS1_25partition_config_selectorILNS1_17partition_subalgoE3EjNS0_10empty_typeEbEEZZNS1_14partition_implILS8_3ELb0ES6_jNS0_17counting_iteratorIjlEEPS9_SE_NS0_5tupleIJPjSE_EEENSF_IJSE_SE_EEES9_SG_JZNS1_25segmented_radix_sort_implINS0_14default_configELb1EPK12hip_bfloat16PSL_PKlPlN2at6native12_GLOBAL__N_18offset_tEEE10hipError_tPvRmT1_PNSt15iterator_traitsISZ_E10value_typeET2_T3_PNS10_IS15_E10value_typeET4_jRbjT5_S1B_jjP12ihipStream_tbEUljE_EEESW_SX_SY_S15_S19_S1B_T6_T7_T9_mT8_S1D_bDpT10_ENKUlT_T0_E_clISt17integral_constantIbLb0EES1Q_EEDaS1L_S1M_EUlS1L_E_NS1_11comp_targetILNS1_3genE8ELNS1_11target_archE1030ELNS1_3gpuE2ELNS1_3repE0EEENS1_30default_config_static_selectorELNS0_4arch9wavefront6targetE0EEEvSZ_.num_agpr, 0
	.set _ZN7rocprim17ROCPRIM_400000_NS6detail17trampoline_kernelINS0_13select_configILj256ELj13ELNS0_17block_load_methodE3ELS4_3ELS4_3ELNS0_20block_scan_algorithmE0ELj4294967295EEENS1_25partition_config_selectorILNS1_17partition_subalgoE3EjNS0_10empty_typeEbEEZZNS1_14partition_implILS8_3ELb0ES6_jNS0_17counting_iteratorIjlEEPS9_SE_NS0_5tupleIJPjSE_EEENSF_IJSE_SE_EEES9_SG_JZNS1_25segmented_radix_sort_implINS0_14default_configELb1EPK12hip_bfloat16PSL_PKlPlN2at6native12_GLOBAL__N_18offset_tEEE10hipError_tPvRmT1_PNSt15iterator_traitsISZ_E10value_typeET2_T3_PNS10_IS15_E10value_typeET4_jRbjT5_S1B_jjP12ihipStream_tbEUljE_EEESW_SX_SY_S15_S19_S1B_T6_T7_T9_mT8_S1D_bDpT10_ENKUlT_T0_E_clISt17integral_constantIbLb0EES1Q_EEDaS1L_S1M_EUlS1L_E_NS1_11comp_targetILNS1_3genE8ELNS1_11target_archE1030ELNS1_3gpuE2ELNS1_3repE0EEENS1_30default_config_static_selectorELNS0_4arch9wavefront6targetE0EEEvSZ_.numbered_sgpr, 0
	.set _ZN7rocprim17ROCPRIM_400000_NS6detail17trampoline_kernelINS0_13select_configILj256ELj13ELNS0_17block_load_methodE3ELS4_3ELS4_3ELNS0_20block_scan_algorithmE0ELj4294967295EEENS1_25partition_config_selectorILNS1_17partition_subalgoE3EjNS0_10empty_typeEbEEZZNS1_14partition_implILS8_3ELb0ES6_jNS0_17counting_iteratorIjlEEPS9_SE_NS0_5tupleIJPjSE_EEENSF_IJSE_SE_EEES9_SG_JZNS1_25segmented_radix_sort_implINS0_14default_configELb1EPK12hip_bfloat16PSL_PKlPlN2at6native12_GLOBAL__N_18offset_tEEE10hipError_tPvRmT1_PNSt15iterator_traitsISZ_E10value_typeET2_T3_PNS10_IS15_E10value_typeET4_jRbjT5_S1B_jjP12ihipStream_tbEUljE_EEESW_SX_SY_S15_S19_S1B_T6_T7_T9_mT8_S1D_bDpT10_ENKUlT_T0_E_clISt17integral_constantIbLb0EES1Q_EEDaS1L_S1M_EUlS1L_E_NS1_11comp_targetILNS1_3genE8ELNS1_11target_archE1030ELNS1_3gpuE2ELNS1_3repE0EEENS1_30default_config_static_selectorELNS0_4arch9wavefront6targetE0EEEvSZ_.num_named_barrier, 0
	.set _ZN7rocprim17ROCPRIM_400000_NS6detail17trampoline_kernelINS0_13select_configILj256ELj13ELNS0_17block_load_methodE3ELS4_3ELS4_3ELNS0_20block_scan_algorithmE0ELj4294967295EEENS1_25partition_config_selectorILNS1_17partition_subalgoE3EjNS0_10empty_typeEbEEZZNS1_14partition_implILS8_3ELb0ES6_jNS0_17counting_iteratorIjlEEPS9_SE_NS0_5tupleIJPjSE_EEENSF_IJSE_SE_EEES9_SG_JZNS1_25segmented_radix_sort_implINS0_14default_configELb1EPK12hip_bfloat16PSL_PKlPlN2at6native12_GLOBAL__N_18offset_tEEE10hipError_tPvRmT1_PNSt15iterator_traitsISZ_E10value_typeET2_T3_PNS10_IS15_E10value_typeET4_jRbjT5_S1B_jjP12ihipStream_tbEUljE_EEESW_SX_SY_S15_S19_S1B_T6_T7_T9_mT8_S1D_bDpT10_ENKUlT_T0_E_clISt17integral_constantIbLb0EES1Q_EEDaS1L_S1M_EUlS1L_E_NS1_11comp_targetILNS1_3genE8ELNS1_11target_archE1030ELNS1_3gpuE2ELNS1_3repE0EEENS1_30default_config_static_selectorELNS0_4arch9wavefront6targetE0EEEvSZ_.private_seg_size, 0
	.set _ZN7rocprim17ROCPRIM_400000_NS6detail17trampoline_kernelINS0_13select_configILj256ELj13ELNS0_17block_load_methodE3ELS4_3ELS4_3ELNS0_20block_scan_algorithmE0ELj4294967295EEENS1_25partition_config_selectorILNS1_17partition_subalgoE3EjNS0_10empty_typeEbEEZZNS1_14partition_implILS8_3ELb0ES6_jNS0_17counting_iteratorIjlEEPS9_SE_NS0_5tupleIJPjSE_EEENSF_IJSE_SE_EEES9_SG_JZNS1_25segmented_radix_sort_implINS0_14default_configELb1EPK12hip_bfloat16PSL_PKlPlN2at6native12_GLOBAL__N_18offset_tEEE10hipError_tPvRmT1_PNSt15iterator_traitsISZ_E10value_typeET2_T3_PNS10_IS15_E10value_typeET4_jRbjT5_S1B_jjP12ihipStream_tbEUljE_EEESW_SX_SY_S15_S19_S1B_T6_T7_T9_mT8_S1D_bDpT10_ENKUlT_T0_E_clISt17integral_constantIbLb0EES1Q_EEDaS1L_S1M_EUlS1L_E_NS1_11comp_targetILNS1_3genE8ELNS1_11target_archE1030ELNS1_3gpuE2ELNS1_3repE0EEENS1_30default_config_static_selectorELNS0_4arch9wavefront6targetE0EEEvSZ_.uses_vcc, 0
	.set _ZN7rocprim17ROCPRIM_400000_NS6detail17trampoline_kernelINS0_13select_configILj256ELj13ELNS0_17block_load_methodE3ELS4_3ELS4_3ELNS0_20block_scan_algorithmE0ELj4294967295EEENS1_25partition_config_selectorILNS1_17partition_subalgoE3EjNS0_10empty_typeEbEEZZNS1_14partition_implILS8_3ELb0ES6_jNS0_17counting_iteratorIjlEEPS9_SE_NS0_5tupleIJPjSE_EEENSF_IJSE_SE_EEES9_SG_JZNS1_25segmented_radix_sort_implINS0_14default_configELb1EPK12hip_bfloat16PSL_PKlPlN2at6native12_GLOBAL__N_18offset_tEEE10hipError_tPvRmT1_PNSt15iterator_traitsISZ_E10value_typeET2_T3_PNS10_IS15_E10value_typeET4_jRbjT5_S1B_jjP12ihipStream_tbEUljE_EEESW_SX_SY_S15_S19_S1B_T6_T7_T9_mT8_S1D_bDpT10_ENKUlT_T0_E_clISt17integral_constantIbLb0EES1Q_EEDaS1L_S1M_EUlS1L_E_NS1_11comp_targetILNS1_3genE8ELNS1_11target_archE1030ELNS1_3gpuE2ELNS1_3repE0EEENS1_30default_config_static_selectorELNS0_4arch9wavefront6targetE0EEEvSZ_.uses_flat_scratch, 0
	.set _ZN7rocprim17ROCPRIM_400000_NS6detail17trampoline_kernelINS0_13select_configILj256ELj13ELNS0_17block_load_methodE3ELS4_3ELS4_3ELNS0_20block_scan_algorithmE0ELj4294967295EEENS1_25partition_config_selectorILNS1_17partition_subalgoE3EjNS0_10empty_typeEbEEZZNS1_14partition_implILS8_3ELb0ES6_jNS0_17counting_iteratorIjlEEPS9_SE_NS0_5tupleIJPjSE_EEENSF_IJSE_SE_EEES9_SG_JZNS1_25segmented_radix_sort_implINS0_14default_configELb1EPK12hip_bfloat16PSL_PKlPlN2at6native12_GLOBAL__N_18offset_tEEE10hipError_tPvRmT1_PNSt15iterator_traitsISZ_E10value_typeET2_T3_PNS10_IS15_E10value_typeET4_jRbjT5_S1B_jjP12ihipStream_tbEUljE_EEESW_SX_SY_S15_S19_S1B_T6_T7_T9_mT8_S1D_bDpT10_ENKUlT_T0_E_clISt17integral_constantIbLb0EES1Q_EEDaS1L_S1M_EUlS1L_E_NS1_11comp_targetILNS1_3genE8ELNS1_11target_archE1030ELNS1_3gpuE2ELNS1_3repE0EEENS1_30default_config_static_selectorELNS0_4arch9wavefront6targetE0EEEvSZ_.has_dyn_sized_stack, 0
	.set _ZN7rocprim17ROCPRIM_400000_NS6detail17trampoline_kernelINS0_13select_configILj256ELj13ELNS0_17block_load_methodE3ELS4_3ELS4_3ELNS0_20block_scan_algorithmE0ELj4294967295EEENS1_25partition_config_selectorILNS1_17partition_subalgoE3EjNS0_10empty_typeEbEEZZNS1_14partition_implILS8_3ELb0ES6_jNS0_17counting_iteratorIjlEEPS9_SE_NS0_5tupleIJPjSE_EEENSF_IJSE_SE_EEES9_SG_JZNS1_25segmented_radix_sort_implINS0_14default_configELb1EPK12hip_bfloat16PSL_PKlPlN2at6native12_GLOBAL__N_18offset_tEEE10hipError_tPvRmT1_PNSt15iterator_traitsISZ_E10value_typeET2_T3_PNS10_IS15_E10value_typeET4_jRbjT5_S1B_jjP12ihipStream_tbEUljE_EEESW_SX_SY_S15_S19_S1B_T6_T7_T9_mT8_S1D_bDpT10_ENKUlT_T0_E_clISt17integral_constantIbLb0EES1Q_EEDaS1L_S1M_EUlS1L_E_NS1_11comp_targetILNS1_3genE8ELNS1_11target_archE1030ELNS1_3gpuE2ELNS1_3repE0EEENS1_30default_config_static_selectorELNS0_4arch9wavefront6targetE0EEEvSZ_.has_recursion, 0
	.set _ZN7rocprim17ROCPRIM_400000_NS6detail17trampoline_kernelINS0_13select_configILj256ELj13ELNS0_17block_load_methodE3ELS4_3ELS4_3ELNS0_20block_scan_algorithmE0ELj4294967295EEENS1_25partition_config_selectorILNS1_17partition_subalgoE3EjNS0_10empty_typeEbEEZZNS1_14partition_implILS8_3ELb0ES6_jNS0_17counting_iteratorIjlEEPS9_SE_NS0_5tupleIJPjSE_EEENSF_IJSE_SE_EEES9_SG_JZNS1_25segmented_radix_sort_implINS0_14default_configELb1EPK12hip_bfloat16PSL_PKlPlN2at6native12_GLOBAL__N_18offset_tEEE10hipError_tPvRmT1_PNSt15iterator_traitsISZ_E10value_typeET2_T3_PNS10_IS15_E10value_typeET4_jRbjT5_S1B_jjP12ihipStream_tbEUljE_EEESW_SX_SY_S15_S19_S1B_T6_T7_T9_mT8_S1D_bDpT10_ENKUlT_T0_E_clISt17integral_constantIbLb0EES1Q_EEDaS1L_S1M_EUlS1L_E_NS1_11comp_targetILNS1_3genE8ELNS1_11target_archE1030ELNS1_3gpuE2ELNS1_3repE0EEENS1_30default_config_static_selectorELNS0_4arch9wavefront6targetE0EEEvSZ_.has_indirect_call, 0
	.section	.AMDGPU.csdata,"",@progbits
; Kernel info:
; codeLenInByte = 0
; TotalNumSgprs: 0
; NumVgprs: 0
; ScratchSize: 0
; MemoryBound: 0
; FloatMode: 240
; IeeeMode: 1
; LDSByteSize: 0 bytes/workgroup (compile time only)
; SGPRBlocks: 0
; VGPRBlocks: 0
; NumSGPRsForWavesPerEU: 1
; NumVGPRsForWavesPerEU: 1
; Occupancy: 16
; WaveLimiterHint : 0
; COMPUTE_PGM_RSRC2:SCRATCH_EN: 0
; COMPUTE_PGM_RSRC2:USER_SGPR: 2
; COMPUTE_PGM_RSRC2:TRAP_HANDLER: 0
; COMPUTE_PGM_RSRC2:TGID_X_EN: 1
; COMPUTE_PGM_RSRC2:TGID_Y_EN: 0
; COMPUTE_PGM_RSRC2:TGID_Z_EN: 0
; COMPUTE_PGM_RSRC2:TIDIG_COMP_CNT: 0
	.section	.text._ZN7rocprim17ROCPRIM_400000_NS6detail17trampoline_kernelINS0_13select_configILj256ELj13ELNS0_17block_load_methodE3ELS4_3ELS4_3ELNS0_20block_scan_algorithmE0ELj4294967295EEENS1_25partition_config_selectorILNS1_17partition_subalgoE3EjNS0_10empty_typeEbEEZZNS1_14partition_implILS8_3ELb0ES6_jNS0_17counting_iteratorIjlEEPS9_SE_NS0_5tupleIJPjSE_EEENSF_IJSE_SE_EEES9_SG_JZNS1_25segmented_radix_sort_implINS0_14default_configELb1EPK12hip_bfloat16PSL_PKlPlN2at6native12_GLOBAL__N_18offset_tEEE10hipError_tPvRmT1_PNSt15iterator_traitsISZ_E10value_typeET2_T3_PNS10_IS15_E10value_typeET4_jRbjT5_S1B_jjP12ihipStream_tbEUljE_EEESW_SX_SY_S15_S19_S1B_T6_T7_T9_mT8_S1D_bDpT10_ENKUlT_T0_E_clISt17integral_constantIbLb1EES1Q_EEDaS1L_S1M_EUlS1L_E_NS1_11comp_targetILNS1_3genE0ELNS1_11target_archE4294967295ELNS1_3gpuE0ELNS1_3repE0EEENS1_30default_config_static_selectorELNS0_4arch9wavefront6targetE0EEEvSZ_,"axG",@progbits,_ZN7rocprim17ROCPRIM_400000_NS6detail17trampoline_kernelINS0_13select_configILj256ELj13ELNS0_17block_load_methodE3ELS4_3ELS4_3ELNS0_20block_scan_algorithmE0ELj4294967295EEENS1_25partition_config_selectorILNS1_17partition_subalgoE3EjNS0_10empty_typeEbEEZZNS1_14partition_implILS8_3ELb0ES6_jNS0_17counting_iteratorIjlEEPS9_SE_NS0_5tupleIJPjSE_EEENSF_IJSE_SE_EEES9_SG_JZNS1_25segmented_radix_sort_implINS0_14default_configELb1EPK12hip_bfloat16PSL_PKlPlN2at6native12_GLOBAL__N_18offset_tEEE10hipError_tPvRmT1_PNSt15iterator_traitsISZ_E10value_typeET2_T3_PNS10_IS15_E10value_typeET4_jRbjT5_S1B_jjP12ihipStream_tbEUljE_EEESW_SX_SY_S15_S19_S1B_T6_T7_T9_mT8_S1D_bDpT10_ENKUlT_T0_E_clISt17integral_constantIbLb1EES1Q_EEDaS1L_S1M_EUlS1L_E_NS1_11comp_targetILNS1_3genE0ELNS1_11target_archE4294967295ELNS1_3gpuE0ELNS1_3repE0EEENS1_30default_config_static_selectorELNS0_4arch9wavefront6targetE0EEEvSZ_,comdat
	.globl	_ZN7rocprim17ROCPRIM_400000_NS6detail17trampoline_kernelINS0_13select_configILj256ELj13ELNS0_17block_load_methodE3ELS4_3ELS4_3ELNS0_20block_scan_algorithmE0ELj4294967295EEENS1_25partition_config_selectorILNS1_17partition_subalgoE3EjNS0_10empty_typeEbEEZZNS1_14partition_implILS8_3ELb0ES6_jNS0_17counting_iteratorIjlEEPS9_SE_NS0_5tupleIJPjSE_EEENSF_IJSE_SE_EEES9_SG_JZNS1_25segmented_radix_sort_implINS0_14default_configELb1EPK12hip_bfloat16PSL_PKlPlN2at6native12_GLOBAL__N_18offset_tEEE10hipError_tPvRmT1_PNSt15iterator_traitsISZ_E10value_typeET2_T3_PNS10_IS15_E10value_typeET4_jRbjT5_S1B_jjP12ihipStream_tbEUljE_EEESW_SX_SY_S15_S19_S1B_T6_T7_T9_mT8_S1D_bDpT10_ENKUlT_T0_E_clISt17integral_constantIbLb1EES1Q_EEDaS1L_S1M_EUlS1L_E_NS1_11comp_targetILNS1_3genE0ELNS1_11target_archE4294967295ELNS1_3gpuE0ELNS1_3repE0EEENS1_30default_config_static_selectorELNS0_4arch9wavefront6targetE0EEEvSZ_ ; -- Begin function _ZN7rocprim17ROCPRIM_400000_NS6detail17trampoline_kernelINS0_13select_configILj256ELj13ELNS0_17block_load_methodE3ELS4_3ELS4_3ELNS0_20block_scan_algorithmE0ELj4294967295EEENS1_25partition_config_selectorILNS1_17partition_subalgoE3EjNS0_10empty_typeEbEEZZNS1_14partition_implILS8_3ELb0ES6_jNS0_17counting_iteratorIjlEEPS9_SE_NS0_5tupleIJPjSE_EEENSF_IJSE_SE_EEES9_SG_JZNS1_25segmented_radix_sort_implINS0_14default_configELb1EPK12hip_bfloat16PSL_PKlPlN2at6native12_GLOBAL__N_18offset_tEEE10hipError_tPvRmT1_PNSt15iterator_traitsISZ_E10value_typeET2_T3_PNS10_IS15_E10value_typeET4_jRbjT5_S1B_jjP12ihipStream_tbEUljE_EEESW_SX_SY_S15_S19_S1B_T6_T7_T9_mT8_S1D_bDpT10_ENKUlT_T0_E_clISt17integral_constantIbLb1EES1Q_EEDaS1L_S1M_EUlS1L_E_NS1_11comp_targetILNS1_3genE0ELNS1_11target_archE4294967295ELNS1_3gpuE0ELNS1_3repE0EEENS1_30default_config_static_selectorELNS0_4arch9wavefront6targetE0EEEvSZ_
	.p2align	8
	.type	_ZN7rocprim17ROCPRIM_400000_NS6detail17trampoline_kernelINS0_13select_configILj256ELj13ELNS0_17block_load_methodE3ELS4_3ELS4_3ELNS0_20block_scan_algorithmE0ELj4294967295EEENS1_25partition_config_selectorILNS1_17partition_subalgoE3EjNS0_10empty_typeEbEEZZNS1_14partition_implILS8_3ELb0ES6_jNS0_17counting_iteratorIjlEEPS9_SE_NS0_5tupleIJPjSE_EEENSF_IJSE_SE_EEES9_SG_JZNS1_25segmented_radix_sort_implINS0_14default_configELb1EPK12hip_bfloat16PSL_PKlPlN2at6native12_GLOBAL__N_18offset_tEEE10hipError_tPvRmT1_PNSt15iterator_traitsISZ_E10value_typeET2_T3_PNS10_IS15_E10value_typeET4_jRbjT5_S1B_jjP12ihipStream_tbEUljE_EEESW_SX_SY_S15_S19_S1B_T6_T7_T9_mT8_S1D_bDpT10_ENKUlT_T0_E_clISt17integral_constantIbLb1EES1Q_EEDaS1L_S1M_EUlS1L_E_NS1_11comp_targetILNS1_3genE0ELNS1_11target_archE4294967295ELNS1_3gpuE0ELNS1_3repE0EEENS1_30default_config_static_selectorELNS0_4arch9wavefront6targetE0EEEvSZ_,@function
_ZN7rocprim17ROCPRIM_400000_NS6detail17trampoline_kernelINS0_13select_configILj256ELj13ELNS0_17block_load_methodE3ELS4_3ELS4_3ELNS0_20block_scan_algorithmE0ELj4294967295EEENS1_25partition_config_selectorILNS1_17partition_subalgoE3EjNS0_10empty_typeEbEEZZNS1_14partition_implILS8_3ELb0ES6_jNS0_17counting_iteratorIjlEEPS9_SE_NS0_5tupleIJPjSE_EEENSF_IJSE_SE_EEES9_SG_JZNS1_25segmented_radix_sort_implINS0_14default_configELb1EPK12hip_bfloat16PSL_PKlPlN2at6native12_GLOBAL__N_18offset_tEEE10hipError_tPvRmT1_PNSt15iterator_traitsISZ_E10value_typeET2_T3_PNS10_IS15_E10value_typeET4_jRbjT5_S1B_jjP12ihipStream_tbEUljE_EEESW_SX_SY_S15_S19_S1B_T6_T7_T9_mT8_S1D_bDpT10_ENKUlT_T0_E_clISt17integral_constantIbLb1EES1Q_EEDaS1L_S1M_EUlS1L_E_NS1_11comp_targetILNS1_3genE0ELNS1_11target_archE4294967295ELNS1_3gpuE0ELNS1_3repE0EEENS1_30default_config_static_selectorELNS0_4arch9wavefront6targetE0EEEvSZ_: ; @_ZN7rocprim17ROCPRIM_400000_NS6detail17trampoline_kernelINS0_13select_configILj256ELj13ELNS0_17block_load_methodE3ELS4_3ELS4_3ELNS0_20block_scan_algorithmE0ELj4294967295EEENS1_25partition_config_selectorILNS1_17partition_subalgoE3EjNS0_10empty_typeEbEEZZNS1_14partition_implILS8_3ELb0ES6_jNS0_17counting_iteratorIjlEEPS9_SE_NS0_5tupleIJPjSE_EEENSF_IJSE_SE_EEES9_SG_JZNS1_25segmented_radix_sort_implINS0_14default_configELb1EPK12hip_bfloat16PSL_PKlPlN2at6native12_GLOBAL__N_18offset_tEEE10hipError_tPvRmT1_PNSt15iterator_traitsISZ_E10value_typeET2_T3_PNS10_IS15_E10value_typeET4_jRbjT5_S1B_jjP12ihipStream_tbEUljE_EEESW_SX_SY_S15_S19_S1B_T6_T7_T9_mT8_S1D_bDpT10_ENKUlT_T0_E_clISt17integral_constantIbLb1EES1Q_EEDaS1L_S1M_EUlS1L_E_NS1_11comp_targetILNS1_3genE0ELNS1_11target_archE4294967295ELNS1_3gpuE0ELNS1_3repE0EEENS1_30default_config_static_selectorELNS0_4arch9wavefront6targetE0EEEvSZ_
; %bb.0:
	.section	.rodata,"a",@progbits
	.p2align	6, 0x0
	.amdhsa_kernel _ZN7rocprim17ROCPRIM_400000_NS6detail17trampoline_kernelINS0_13select_configILj256ELj13ELNS0_17block_load_methodE3ELS4_3ELS4_3ELNS0_20block_scan_algorithmE0ELj4294967295EEENS1_25partition_config_selectorILNS1_17partition_subalgoE3EjNS0_10empty_typeEbEEZZNS1_14partition_implILS8_3ELb0ES6_jNS0_17counting_iteratorIjlEEPS9_SE_NS0_5tupleIJPjSE_EEENSF_IJSE_SE_EEES9_SG_JZNS1_25segmented_radix_sort_implINS0_14default_configELb1EPK12hip_bfloat16PSL_PKlPlN2at6native12_GLOBAL__N_18offset_tEEE10hipError_tPvRmT1_PNSt15iterator_traitsISZ_E10value_typeET2_T3_PNS10_IS15_E10value_typeET4_jRbjT5_S1B_jjP12ihipStream_tbEUljE_EEESW_SX_SY_S15_S19_S1B_T6_T7_T9_mT8_S1D_bDpT10_ENKUlT_T0_E_clISt17integral_constantIbLb1EES1Q_EEDaS1L_S1M_EUlS1L_E_NS1_11comp_targetILNS1_3genE0ELNS1_11target_archE4294967295ELNS1_3gpuE0ELNS1_3repE0EEENS1_30default_config_static_selectorELNS0_4arch9wavefront6targetE0EEEvSZ_
		.amdhsa_group_segment_fixed_size 0
		.amdhsa_private_segment_fixed_size 0
		.amdhsa_kernarg_size 152
		.amdhsa_user_sgpr_count 2
		.amdhsa_user_sgpr_dispatch_ptr 0
		.amdhsa_user_sgpr_queue_ptr 0
		.amdhsa_user_sgpr_kernarg_segment_ptr 1
		.amdhsa_user_sgpr_dispatch_id 0
		.amdhsa_user_sgpr_private_segment_size 0
		.amdhsa_wavefront_size32 1
		.amdhsa_uses_dynamic_stack 0
		.amdhsa_enable_private_segment 0
		.amdhsa_system_sgpr_workgroup_id_x 1
		.amdhsa_system_sgpr_workgroup_id_y 0
		.amdhsa_system_sgpr_workgroup_id_z 0
		.amdhsa_system_sgpr_workgroup_info 0
		.amdhsa_system_vgpr_workitem_id 0
		.amdhsa_next_free_vgpr 1
		.amdhsa_next_free_sgpr 1
		.amdhsa_reserve_vcc 0
		.amdhsa_float_round_mode_32 0
		.amdhsa_float_round_mode_16_64 0
		.amdhsa_float_denorm_mode_32 3
		.amdhsa_float_denorm_mode_16_64 3
		.amdhsa_fp16_overflow 0
		.amdhsa_workgroup_processor_mode 1
		.amdhsa_memory_ordered 1
		.amdhsa_forward_progress 1
		.amdhsa_inst_pref_size 0
		.amdhsa_round_robin_scheduling 0
		.amdhsa_exception_fp_ieee_invalid_op 0
		.amdhsa_exception_fp_denorm_src 0
		.amdhsa_exception_fp_ieee_div_zero 0
		.amdhsa_exception_fp_ieee_overflow 0
		.amdhsa_exception_fp_ieee_underflow 0
		.amdhsa_exception_fp_ieee_inexact 0
		.amdhsa_exception_int_div_zero 0
	.end_amdhsa_kernel
	.section	.text._ZN7rocprim17ROCPRIM_400000_NS6detail17trampoline_kernelINS0_13select_configILj256ELj13ELNS0_17block_load_methodE3ELS4_3ELS4_3ELNS0_20block_scan_algorithmE0ELj4294967295EEENS1_25partition_config_selectorILNS1_17partition_subalgoE3EjNS0_10empty_typeEbEEZZNS1_14partition_implILS8_3ELb0ES6_jNS0_17counting_iteratorIjlEEPS9_SE_NS0_5tupleIJPjSE_EEENSF_IJSE_SE_EEES9_SG_JZNS1_25segmented_radix_sort_implINS0_14default_configELb1EPK12hip_bfloat16PSL_PKlPlN2at6native12_GLOBAL__N_18offset_tEEE10hipError_tPvRmT1_PNSt15iterator_traitsISZ_E10value_typeET2_T3_PNS10_IS15_E10value_typeET4_jRbjT5_S1B_jjP12ihipStream_tbEUljE_EEESW_SX_SY_S15_S19_S1B_T6_T7_T9_mT8_S1D_bDpT10_ENKUlT_T0_E_clISt17integral_constantIbLb1EES1Q_EEDaS1L_S1M_EUlS1L_E_NS1_11comp_targetILNS1_3genE0ELNS1_11target_archE4294967295ELNS1_3gpuE0ELNS1_3repE0EEENS1_30default_config_static_selectorELNS0_4arch9wavefront6targetE0EEEvSZ_,"axG",@progbits,_ZN7rocprim17ROCPRIM_400000_NS6detail17trampoline_kernelINS0_13select_configILj256ELj13ELNS0_17block_load_methodE3ELS4_3ELS4_3ELNS0_20block_scan_algorithmE0ELj4294967295EEENS1_25partition_config_selectorILNS1_17partition_subalgoE3EjNS0_10empty_typeEbEEZZNS1_14partition_implILS8_3ELb0ES6_jNS0_17counting_iteratorIjlEEPS9_SE_NS0_5tupleIJPjSE_EEENSF_IJSE_SE_EEES9_SG_JZNS1_25segmented_radix_sort_implINS0_14default_configELb1EPK12hip_bfloat16PSL_PKlPlN2at6native12_GLOBAL__N_18offset_tEEE10hipError_tPvRmT1_PNSt15iterator_traitsISZ_E10value_typeET2_T3_PNS10_IS15_E10value_typeET4_jRbjT5_S1B_jjP12ihipStream_tbEUljE_EEESW_SX_SY_S15_S19_S1B_T6_T7_T9_mT8_S1D_bDpT10_ENKUlT_T0_E_clISt17integral_constantIbLb1EES1Q_EEDaS1L_S1M_EUlS1L_E_NS1_11comp_targetILNS1_3genE0ELNS1_11target_archE4294967295ELNS1_3gpuE0ELNS1_3repE0EEENS1_30default_config_static_selectorELNS0_4arch9wavefront6targetE0EEEvSZ_,comdat
.Lfunc_end1922:
	.size	_ZN7rocprim17ROCPRIM_400000_NS6detail17trampoline_kernelINS0_13select_configILj256ELj13ELNS0_17block_load_methodE3ELS4_3ELS4_3ELNS0_20block_scan_algorithmE0ELj4294967295EEENS1_25partition_config_selectorILNS1_17partition_subalgoE3EjNS0_10empty_typeEbEEZZNS1_14partition_implILS8_3ELb0ES6_jNS0_17counting_iteratorIjlEEPS9_SE_NS0_5tupleIJPjSE_EEENSF_IJSE_SE_EEES9_SG_JZNS1_25segmented_radix_sort_implINS0_14default_configELb1EPK12hip_bfloat16PSL_PKlPlN2at6native12_GLOBAL__N_18offset_tEEE10hipError_tPvRmT1_PNSt15iterator_traitsISZ_E10value_typeET2_T3_PNS10_IS15_E10value_typeET4_jRbjT5_S1B_jjP12ihipStream_tbEUljE_EEESW_SX_SY_S15_S19_S1B_T6_T7_T9_mT8_S1D_bDpT10_ENKUlT_T0_E_clISt17integral_constantIbLb1EES1Q_EEDaS1L_S1M_EUlS1L_E_NS1_11comp_targetILNS1_3genE0ELNS1_11target_archE4294967295ELNS1_3gpuE0ELNS1_3repE0EEENS1_30default_config_static_selectorELNS0_4arch9wavefront6targetE0EEEvSZ_, .Lfunc_end1922-_ZN7rocprim17ROCPRIM_400000_NS6detail17trampoline_kernelINS0_13select_configILj256ELj13ELNS0_17block_load_methodE3ELS4_3ELS4_3ELNS0_20block_scan_algorithmE0ELj4294967295EEENS1_25partition_config_selectorILNS1_17partition_subalgoE3EjNS0_10empty_typeEbEEZZNS1_14partition_implILS8_3ELb0ES6_jNS0_17counting_iteratorIjlEEPS9_SE_NS0_5tupleIJPjSE_EEENSF_IJSE_SE_EEES9_SG_JZNS1_25segmented_radix_sort_implINS0_14default_configELb1EPK12hip_bfloat16PSL_PKlPlN2at6native12_GLOBAL__N_18offset_tEEE10hipError_tPvRmT1_PNSt15iterator_traitsISZ_E10value_typeET2_T3_PNS10_IS15_E10value_typeET4_jRbjT5_S1B_jjP12ihipStream_tbEUljE_EEESW_SX_SY_S15_S19_S1B_T6_T7_T9_mT8_S1D_bDpT10_ENKUlT_T0_E_clISt17integral_constantIbLb1EES1Q_EEDaS1L_S1M_EUlS1L_E_NS1_11comp_targetILNS1_3genE0ELNS1_11target_archE4294967295ELNS1_3gpuE0ELNS1_3repE0EEENS1_30default_config_static_selectorELNS0_4arch9wavefront6targetE0EEEvSZ_
                                        ; -- End function
	.set _ZN7rocprim17ROCPRIM_400000_NS6detail17trampoline_kernelINS0_13select_configILj256ELj13ELNS0_17block_load_methodE3ELS4_3ELS4_3ELNS0_20block_scan_algorithmE0ELj4294967295EEENS1_25partition_config_selectorILNS1_17partition_subalgoE3EjNS0_10empty_typeEbEEZZNS1_14partition_implILS8_3ELb0ES6_jNS0_17counting_iteratorIjlEEPS9_SE_NS0_5tupleIJPjSE_EEENSF_IJSE_SE_EEES9_SG_JZNS1_25segmented_radix_sort_implINS0_14default_configELb1EPK12hip_bfloat16PSL_PKlPlN2at6native12_GLOBAL__N_18offset_tEEE10hipError_tPvRmT1_PNSt15iterator_traitsISZ_E10value_typeET2_T3_PNS10_IS15_E10value_typeET4_jRbjT5_S1B_jjP12ihipStream_tbEUljE_EEESW_SX_SY_S15_S19_S1B_T6_T7_T9_mT8_S1D_bDpT10_ENKUlT_T0_E_clISt17integral_constantIbLb1EES1Q_EEDaS1L_S1M_EUlS1L_E_NS1_11comp_targetILNS1_3genE0ELNS1_11target_archE4294967295ELNS1_3gpuE0ELNS1_3repE0EEENS1_30default_config_static_selectorELNS0_4arch9wavefront6targetE0EEEvSZ_.num_vgpr, 0
	.set _ZN7rocprim17ROCPRIM_400000_NS6detail17trampoline_kernelINS0_13select_configILj256ELj13ELNS0_17block_load_methodE3ELS4_3ELS4_3ELNS0_20block_scan_algorithmE0ELj4294967295EEENS1_25partition_config_selectorILNS1_17partition_subalgoE3EjNS0_10empty_typeEbEEZZNS1_14partition_implILS8_3ELb0ES6_jNS0_17counting_iteratorIjlEEPS9_SE_NS0_5tupleIJPjSE_EEENSF_IJSE_SE_EEES9_SG_JZNS1_25segmented_radix_sort_implINS0_14default_configELb1EPK12hip_bfloat16PSL_PKlPlN2at6native12_GLOBAL__N_18offset_tEEE10hipError_tPvRmT1_PNSt15iterator_traitsISZ_E10value_typeET2_T3_PNS10_IS15_E10value_typeET4_jRbjT5_S1B_jjP12ihipStream_tbEUljE_EEESW_SX_SY_S15_S19_S1B_T6_T7_T9_mT8_S1D_bDpT10_ENKUlT_T0_E_clISt17integral_constantIbLb1EES1Q_EEDaS1L_S1M_EUlS1L_E_NS1_11comp_targetILNS1_3genE0ELNS1_11target_archE4294967295ELNS1_3gpuE0ELNS1_3repE0EEENS1_30default_config_static_selectorELNS0_4arch9wavefront6targetE0EEEvSZ_.num_agpr, 0
	.set _ZN7rocprim17ROCPRIM_400000_NS6detail17trampoline_kernelINS0_13select_configILj256ELj13ELNS0_17block_load_methodE3ELS4_3ELS4_3ELNS0_20block_scan_algorithmE0ELj4294967295EEENS1_25partition_config_selectorILNS1_17partition_subalgoE3EjNS0_10empty_typeEbEEZZNS1_14partition_implILS8_3ELb0ES6_jNS0_17counting_iteratorIjlEEPS9_SE_NS0_5tupleIJPjSE_EEENSF_IJSE_SE_EEES9_SG_JZNS1_25segmented_radix_sort_implINS0_14default_configELb1EPK12hip_bfloat16PSL_PKlPlN2at6native12_GLOBAL__N_18offset_tEEE10hipError_tPvRmT1_PNSt15iterator_traitsISZ_E10value_typeET2_T3_PNS10_IS15_E10value_typeET4_jRbjT5_S1B_jjP12ihipStream_tbEUljE_EEESW_SX_SY_S15_S19_S1B_T6_T7_T9_mT8_S1D_bDpT10_ENKUlT_T0_E_clISt17integral_constantIbLb1EES1Q_EEDaS1L_S1M_EUlS1L_E_NS1_11comp_targetILNS1_3genE0ELNS1_11target_archE4294967295ELNS1_3gpuE0ELNS1_3repE0EEENS1_30default_config_static_selectorELNS0_4arch9wavefront6targetE0EEEvSZ_.numbered_sgpr, 0
	.set _ZN7rocprim17ROCPRIM_400000_NS6detail17trampoline_kernelINS0_13select_configILj256ELj13ELNS0_17block_load_methodE3ELS4_3ELS4_3ELNS0_20block_scan_algorithmE0ELj4294967295EEENS1_25partition_config_selectorILNS1_17partition_subalgoE3EjNS0_10empty_typeEbEEZZNS1_14partition_implILS8_3ELb0ES6_jNS0_17counting_iteratorIjlEEPS9_SE_NS0_5tupleIJPjSE_EEENSF_IJSE_SE_EEES9_SG_JZNS1_25segmented_radix_sort_implINS0_14default_configELb1EPK12hip_bfloat16PSL_PKlPlN2at6native12_GLOBAL__N_18offset_tEEE10hipError_tPvRmT1_PNSt15iterator_traitsISZ_E10value_typeET2_T3_PNS10_IS15_E10value_typeET4_jRbjT5_S1B_jjP12ihipStream_tbEUljE_EEESW_SX_SY_S15_S19_S1B_T6_T7_T9_mT8_S1D_bDpT10_ENKUlT_T0_E_clISt17integral_constantIbLb1EES1Q_EEDaS1L_S1M_EUlS1L_E_NS1_11comp_targetILNS1_3genE0ELNS1_11target_archE4294967295ELNS1_3gpuE0ELNS1_3repE0EEENS1_30default_config_static_selectorELNS0_4arch9wavefront6targetE0EEEvSZ_.num_named_barrier, 0
	.set _ZN7rocprim17ROCPRIM_400000_NS6detail17trampoline_kernelINS0_13select_configILj256ELj13ELNS0_17block_load_methodE3ELS4_3ELS4_3ELNS0_20block_scan_algorithmE0ELj4294967295EEENS1_25partition_config_selectorILNS1_17partition_subalgoE3EjNS0_10empty_typeEbEEZZNS1_14partition_implILS8_3ELb0ES6_jNS0_17counting_iteratorIjlEEPS9_SE_NS0_5tupleIJPjSE_EEENSF_IJSE_SE_EEES9_SG_JZNS1_25segmented_radix_sort_implINS0_14default_configELb1EPK12hip_bfloat16PSL_PKlPlN2at6native12_GLOBAL__N_18offset_tEEE10hipError_tPvRmT1_PNSt15iterator_traitsISZ_E10value_typeET2_T3_PNS10_IS15_E10value_typeET4_jRbjT5_S1B_jjP12ihipStream_tbEUljE_EEESW_SX_SY_S15_S19_S1B_T6_T7_T9_mT8_S1D_bDpT10_ENKUlT_T0_E_clISt17integral_constantIbLb1EES1Q_EEDaS1L_S1M_EUlS1L_E_NS1_11comp_targetILNS1_3genE0ELNS1_11target_archE4294967295ELNS1_3gpuE0ELNS1_3repE0EEENS1_30default_config_static_selectorELNS0_4arch9wavefront6targetE0EEEvSZ_.private_seg_size, 0
	.set _ZN7rocprim17ROCPRIM_400000_NS6detail17trampoline_kernelINS0_13select_configILj256ELj13ELNS0_17block_load_methodE3ELS4_3ELS4_3ELNS0_20block_scan_algorithmE0ELj4294967295EEENS1_25partition_config_selectorILNS1_17partition_subalgoE3EjNS0_10empty_typeEbEEZZNS1_14partition_implILS8_3ELb0ES6_jNS0_17counting_iteratorIjlEEPS9_SE_NS0_5tupleIJPjSE_EEENSF_IJSE_SE_EEES9_SG_JZNS1_25segmented_radix_sort_implINS0_14default_configELb1EPK12hip_bfloat16PSL_PKlPlN2at6native12_GLOBAL__N_18offset_tEEE10hipError_tPvRmT1_PNSt15iterator_traitsISZ_E10value_typeET2_T3_PNS10_IS15_E10value_typeET4_jRbjT5_S1B_jjP12ihipStream_tbEUljE_EEESW_SX_SY_S15_S19_S1B_T6_T7_T9_mT8_S1D_bDpT10_ENKUlT_T0_E_clISt17integral_constantIbLb1EES1Q_EEDaS1L_S1M_EUlS1L_E_NS1_11comp_targetILNS1_3genE0ELNS1_11target_archE4294967295ELNS1_3gpuE0ELNS1_3repE0EEENS1_30default_config_static_selectorELNS0_4arch9wavefront6targetE0EEEvSZ_.uses_vcc, 0
	.set _ZN7rocprim17ROCPRIM_400000_NS6detail17trampoline_kernelINS0_13select_configILj256ELj13ELNS0_17block_load_methodE3ELS4_3ELS4_3ELNS0_20block_scan_algorithmE0ELj4294967295EEENS1_25partition_config_selectorILNS1_17partition_subalgoE3EjNS0_10empty_typeEbEEZZNS1_14partition_implILS8_3ELb0ES6_jNS0_17counting_iteratorIjlEEPS9_SE_NS0_5tupleIJPjSE_EEENSF_IJSE_SE_EEES9_SG_JZNS1_25segmented_radix_sort_implINS0_14default_configELb1EPK12hip_bfloat16PSL_PKlPlN2at6native12_GLOBAL__N_18offset_tEEE10hipError_tPvRmT1_PNSt15iterator_traitsISZ_E10value_typeET2_T3_PNS10_IS15_E10value_typeET4_jRbjT5_S1B_jjP12ihipStream_tbEUljE_EEESW_SX_SY_S15_S19_S1B_T6_T7_T9_mT8_S1D_bDpT10_ENKUlT_T0_E_clISt17integral_constantIbLb1EES1Q_EEDaS1L_S1M_EUlS1L_E_NS1_11comp_targetILNS1_3genE0ELNS1_11target_archE4294967295ELNS1_3gpuE0ELNS1_3repE0EEENS1_30default_config_static_selectorELNS0_4arch9wavefront6targetE0EEEvSZ_.uses_flat_scratch, 0
	.set _ZN7rocprim17ROCPRIM_400000_NS6detail17trampoline_kernelINS0_13select_configILj256ELj13ELNS0_17block_load_methodE3ELS4_3ELS4_3ELNS0_20block_scan_algorithmE0ELj4294967295EEENS1_25partition_config_selectorILNS1_17partition_subalgoE3EjNS0_10empty_typeEbEEZZNS1_14partition_implILS8_3ELb0ES6_jNS0_17counting_iteratorIjlEEPS9_SE_NS0_5tupleIJPjSE_EEENSF_IJSE_SE_EEES9_SG_JZNS1_25segmented_radix_sort_implINS0_14default_configELb1EPK12hip_bfloat16PSL_PKlPlN2at6native12_GLOBAL__N_18offset_tEEE10hipError_tPvRmT1_PNSt15iterator_traitsISZ_E10value_typeET2_T3_PNS10_IS15_E10value_typeET4_jRbjT5_S1B_jjP12ihipStream_tbEUljE_EEESW_SX_SY_S15_S19_S1B_T6_T7_T9_mT8_S1D_bDpT10_ENKUlT_T0_E_clISt17integral_constantIbLb1EES1Q_EEDaS1L_S1M_EUlS1L_E_NS1_11comp_targetILNS1_3genE0ELNS1_11target_archE4294967295ELNS1_3gpuE0ELNS1_3repE0EEENS1_30default_config_static_selectorELNS0_4arch9wavefront6targetE0EEEvSZ_.has_dyn_sized_stack, 0
	.set _ZN7rocprim17ROCPRIM_400000_NS6detail17trampoline_kernelINS0_13select_configILj256ELj13ELNS0_17block_load_methodE3ELS4_3ELS4_3ELNS0_20block_scan_algorithmE0ELj4294967295EEENS1_25partition_config_selectorILNS1_17partition_subalgoE3EjNS0_10empty_typeEbEEZZNS1_14partition_implILS8_3ELb0ES6_jNS0_17counting_iteratorIjlEEPS9_SE_NS0_5tupleIJPjSE_EEENSF_IJSE_SE_EEES9_SG_JZNS1_25segmented_radix_sort_implINS0_14default_configELb1EPK12hip_bfloat16PSL_PKlPlN2at6native12_GLOBAL__N_18offset_tEEE10hipError_tPvRmT1_PNSt15iterator_traitsISZ_E10value_typeET2_T3_PNS10_IS15_E10value_typeET4_jRbjT5_S1B_jjP12ihipStream_tbEUljE_EEESW_SX_SY_S15_S19_S1B_T6_T7_T9_mT8_S1D_bDpT10_ENKUlT_T0_E_clISt17integral_constantIbLb1EES1Q_EEDaS1L_S1M_EUlS1L_E_NS1_11comp_targetILNS1_3genE0ELNS1_11target_archE4294967295ELNS1_3gpuE0ELNS1_3repE0EEENS1_30default_config_static_selectorELNS0_4arch9wavefront6targetE0EEEvSZ_.has_recursion, 0
	.set _ZN7rocprim17ROCPRIM_400000_NS6detail17trampoline_kernelINS0_13select_configILj256ELj13ELNS0_17block_load_methodE3ELS4_3ELS4_3ELNS0_20block_scan_algorithmE0ELj4294967295EEENS1_25partition_config_selectorILNS1_17partition_subalgoE3EjNS0_10empty_typeEbEEZZNS1_14partition_implILS8_3ELb0ES6_jNS0_17counting_iteratorIjlEEPS9_SE_NS0_5tupleIJPjSE_EEENSF_IJSE_SE_EEES9_SG_JZNS1_25segmented_radix_sort_implINS0_14default_configELb1EPK12hip_bfloat16PSL_PKlPlN2at6native12_GLOBAL__N_18offset_tEEE10hipError_tPvRmT1_PNSt15iterator_traitsISZ_E10value_typeET2_T3_PNS10_IS15_E10value_typeET4_jRbjT5_S1B_jjP12ihipStream_tbEUljE_EEESW_SX_SY_S15_S19_S1B_T6_T7_T9_mT8_S1D_bDpT10_ENKUlT_T0_E_clISt17integral_constantIbLb1EES1Q_EEDaS1L_S1M_EUlS1L_E_NS1_11comp_targetILNS1_3genE0ELNS1_11target_archE4294967295ELNS1_3gpuE0ELNS1_3repE0EEENS1_30default_config_static_selectorELNS0_4arch9wavefront6targetE0EEEvSZ_.has_indirect_call, 0
	.section	.AMDGPU.csdata,"",@progbits
; Kernel info:
; codeLenInByte = 0
; TotalNumSgprs: 0
; NumVgprs: 0
; ScratchSize: 0
; MemoryBound: 0
; FloatMode: 240
; IeeeMode: 1
; LDSByteSize: 0 bytes/workgroup (compile time only)
; SGPRBlocks: 0
; VGPRBlocks: 0
; NumSGPRsForWavesPerEU: 1
; NumVGPRsForWavesPerEU: 1
; Occupancy: 16
; WaveLimiterHint : 0
; COMPUTE_PGM_RSRC2:SCRATCH_EN: 0
; COMPUTE_PGM_RSRC2:USER_SGPR: 2
; COMPUTE_PGM_RSRC2:TRAP_HANDLER: 0
; COMPUTE_PGM_RSRC2:TGID_X_EN: 1
; COMPUTE_PGM_RSRC2:TGID_Y_EN: 0
; COMPUTE_PGM_RSRC2:TGID_Z_EN: 0
; COMPUTE_PGM_RSRC2:TIDIG_COMP_CNT: 0
	.section	.text._ZN7rocprim17ROCPRIM_400000_NS6detail17trampoline_kernelINS0_13select_configILj256ELj13ELNS0_17block_load_methodE3ELS4_3ELS4_3ELNS0_20block_scan_algorithmE0ELj4294967295EEENS1_25partition_config_selectorILNS1_17partition_subalgoE3EjNS0_10empty_typeEbEEZZNS1_14partition_implILS8_3ELb0ES6_jNS0_17counting_iteratorIjlEEPS9_SE_NS0_5tupleIJPjSE_EEENSF_IJSE_SE_EEES9_SG_JZNS1_25segmented_radix_sort_implINS0_14default_configELb1EPK12hip_bfloat16PSL_PKlPlN2at6native12_GLOBAL__N_18offset_tEEE10hipError_tPvRmT1_PNSt15iterator_traitsISZ_E10value_typeET2_T3_PNS10_IS15_E10value_typeET4_jRbjT5_S1B_jjP12ihipStream_tbEUljE_EEESW_SX_SY_S15_S19_S1B_T6_T7_T9_mT8_S1D_bDpT10_ENKUlT_T0_E_clISt17integral_constantIbLb1EES1Q_EEDaS1L_S1M_EUlS1L_E_NS1_11comp_targetILNS1_3genE5ELNS1_11target_archE942ELNS1_3gpuE9ELNS1_3repE0EEENS1_30default_config_static_selectorELNS0_4arch9wavefront6targetE0EEEvSZ_,"axG",@progbits,_ZN7rocprim17ROCPRIM_400000_NS6detail17trampoline_kernelINS0_13select_configILj256ELj13ELNS0_17block_load_methodE3ELS4_3ELS4_3ELNS0_20block_scan_algorithmE0ELj4294967295EEENS1_25partition_config_selectorILNS1_17partition_subalgoE3EjNS0_10empty_typeEbEEZZNS1_14partition_implILS8_3ELb0ES6_jNS0_17counting_iteratorIjlEEPS9_SE_NS0_5tupleIJPjSE_EEENSF_IJSE_SE_EEES9_SG_JZNS1_25segmented_radix_sort_implINS0_14default_configELb1EPK12hip_bfloat16PSL_PKlPlN2at6native12_GLOBAL__N_18offset_tEEE10hipError_tPvRmT1_PNSt15iterator_traitsISZ_E10value_typeET2_T3_PNS10_IS15_E10value_typeET4_jRbjT5_S1B_jjP12ihipStream_tbEUljE_EEESW_SX_SY_S15_S19_S1B_T6_T7_T9_mT8_S1D_bDpT10_ENKUlT_T0_E_clISt17integral_constantIbLb1EES1Q_EEDaS1L_S1M_EUlS1L_E_NS1_11comp_targetILNS1_3genE5ELNS1_11target_archE942ELNS1_3gpuE9ELNS1_3repE0EEENS1_30default_config_static_selectorELNS0_4arch9wavefront6targetE0EEEvSZ_,comdat
	.globl	_ZN7rocprim17ROCPRIM_400000_NS6detail17trampoline_kernelINS0_13select_configILj256ELj13ELNS0_17block_load_methodE3ELS4_3ELS4_3ELNS0_20block_scan_algorithmE0ELj4294967295EEENS1_25partition_config_selectorILNS1_17partition_subalgoE3EjNS0_10empty_typeEbEEZZNS1_14partition_implILS8_3ELb0ES6_jNS0_17counting_iteratorIjlEEPS9_SE_NS0_5tupleIJPjSE_EEENSF_IJSE_SE_EEES9_SG_JZNS1_25segmented_radix_sort_implINS0_14default_configELb1EPK12hip_bfloat16PSL_PKlPlN2at6native12_GLOBAL__N_18offset_tEEE10hipError_tPvRmT1_PNSt15iterator_traitsISZ_E10value_typeET2_T3_PNS10_IS15_E10value_typeET4_jRbjT5_S1B_jjP12ihipStream_tbEUljE_EEESW_SX_SY_S15_S19_S1B_T6_T7_T9_mT8_S1D_bDpT10_ENKUlT_T0_E_clISt17integral_constantIbLb1EES1Q_EEDaS1L_S1M_EUlS1L_E_NS1_11comp_targetILNS1_3genE5ELNS1_11target_archE942ELNS1_3gpuE9ELNS1_3repE0EEENS1_30default_config_static_selectorELNS0_4arch9wavefront6targetE0EEEvSZ_ ; -- Begin function _ZN7rocprim17ROCPRIM_400000_NS6detail17trampoline_kernelINS0_13select_configILj256ELj13ELNS0_17block_load_methodE3ELS4_3ELS4_3ELNS0_20block_scan_algorithmE0ELj4294967295EEENS1_25partition_config_selectorILNS1_17partition_subalgoE3EjNS0_10empty_typeEbEEZZNS1_14partition_implILS8_3ELb0ES6_jNS0_17counting_iteratorIjlEEPS9_SE_NS0_5tupleIJPjSE_EEENSF_IJSE_SE_EEES9_SG_JZNS1_25segmented_radix_sort_implINS0_14default_configELb1EPK12hip_bfloat16PSL_PKlPlN2at6native12_GLOBAL__N_18offset_tEEE10hipError_tPvRmT1_PNSt15iterator_traitsISZ_E10value_typeET2_T3_PNS10_IS15_E10value_typeET4_jRbjT5_S1B_jjP12ihipStream_tbEUljE_EEESW_SX_SY_S15_S19_S1B_T6_T7_T9_mT8_S1D_bDpT10_ENKUlT_T0_E_clISt17integral_constantIbLb1EES1Q_EEDaS1L_S1M_EUlS1L_E_NS1_11comp_targetILNS1_3genE5ELNS1_11target_archE942ELNS1_3gpuE9ELNS1_3repE0EEENS1_30default_config_static_selectorELNS0_4arch9wavefront6targetE0EEEvSZ_
	.p2align	8
	.type	_ZN7rocprim17ROCPRIM_400000_NS6detail17trampoline_kernelINS0_13select_configILj256ELj13ELNS0_17block_load_methodE3ELS4_3ELS4_3ELNS0_20block_scan_algorithmE0ELj4294967295EEENS1_25partition_config_selectorILNS1_17partition_subalgoE3EjNS0_10empty_typeEbEEZZNS1_14partition_implILS8_3ELb0ES6_jNS0_17counting_iteratorIjlEEPS9_SE_NS0_5tupleIJPjSE_EEENSF_IJSE_SE_EEES9_SG_JZNS1_25segmented_radix_sort_implINS0_14default_configELb1EPK12hip_bfloat16PSL_PKlPlN2at6native12_GLOBAL__N_18offset_tEEE10hipError_tPvRmT1_PNSt15iterator_traitsISZ_E10value_typeET2_T3_PNS10_IS15_E10value_typeET4_jRbjT5_S1B_jjP12ihipStream_tbEUljE_EEESW_SX_SY_S15_S19_S1B_T6_T7_T9_mT8_S1D_bDpT10_ENKUlT_T0_E_clISt17integral_constantIbLb1EES1Q_EEDaS1L_S1M_EUlS1L_E_NS1_11comp_targetILNS1_3genE5ELNS1_11target_archE942ELNS1_3gpuE9ELNS1_3repE0EEENS1_30default_config_static_selectorELNS0_4arch9wavefront6targetE0EEEvSZ_,@function
_ZN7rocprim17ROCPRIM_400000_NS6detail17trampoline_kernelINS0_13select_configILj256ELj13ELNS0_17block_load_methodE3ELS4_3ELS4_3ELNS0_20block_scan_algorithmE0ELj4294967295EEENS1_25partition_config_selectorILNS1_17partition_subalgoE3EjNS0_10empty_typeEbEEZZNS1_14partition_implILS8_3ELb0ES6_jNS0_17counting_iteratorIjlEEPS9_SE_NS0_5tupleIJPjSE_EEENSF_IJSE_SE_EEES9_SG_JZNS1_25segmented_radix_sort_implINS0_14default_configELb1EPK12hip_bfloat16PSL_PKlPlN2at6native12_GLOBAL__N_18offset_tEEE10hipError_tPvRmT1_PNSt15iterator_traitsISZ_E10value_typeET2_T3_PNS10_IS15_E10value_typeET4_jRbjT5_S1B_jjP12ihipStream_tbEUljE_EEESW_SX_SY_S15_S19_S1B_T6_T7_T9_mT8_S1D_bDpT10_ENKUlT_T0_E_clISt17integral_constantIbLb1EES1Q_EEDaS1L_S1M_EUlS1L_E_NS1_11comp_targetILNS1_3genE5ELNS1_11target_archE942ELNS1_3gpuE9ELNS1_3repE0EEENS1_30default_config_static_selectorELNS0_4arch9wavefront6targetE0EEEvSZ_: ; @_ZN7rocprim17ROCPRIM_400000_NS6detail17trampoline_kernelINS0_13select_configILj256ELj13ELNS0_17block_load_methodE3ELS4_3ELS4_3ELNS0_20block_scan_algorithmE0ELj4294967295EEENS1_25partition_config_selectorILNS1_17partition_subalgoE3EjNS0_10empty_typeEbEEZZNS1_14partition_implILS8_3ELb0ES6_jNS0_17counting_iteratorIjlEEPS9_SE_NS0_5tupleIJPjSE_EEENSF_IJSE_SE_EEES9_SG_JZNS1_25segmented_radix_sort_implINS0_14default_configELb1EPK12hip_bfloat16PSL_PKlPlN2at6native12_GLOBAL__N_18offset_tEEE10hipError_tPvRmT1_PNSt15iterator_traitsISZ_E10value_typeET2_T3_PNS10_IS15_E10value_typeET4_jRbjT5_S1B_jjP12ihipStream_tbEUljE_EEESW_SX_SY_S15_S19_S1B_T6_T7_T9_mT8_S1D_bDpT10_ENKUlT_T0_E_clISt17integral_constantIbLb1EES1Q_EEDaS1L_S1M_EUlS1L_E_NS1_11comp_targetILNS1_3genE5ELNS1_11target_archE942ELNS1_3gpuE9ELNS1_3repE0EEENS1_30default_config_static_selectorELNS0_4arch9wavefront6targetE0EEEvSZ_
; %bb.0:
	.section	.rodata,"a",@progbits
	.p2align	6, 0x0
	.amdhsa_kernel _ZN7rocprim17ROCPRIM_400000_NS6detail17trampoline_kernelINS0_13select_configILj256ELj13ELNS0_17block_load_methodE3ELS4_3ELS4_3ELNS0_20block_scan_algorithmE0ELj4294967295EEENS1_25partition_config_selectorILNS1_17partition_subalgoE3EjNS0_10empty_typeEbEEZZNS1_14partition_implILS8_3ELb0ES6_jNS0_17counting_iteratorIjlEEPS9_SE_NS0_5tupleIJPjSE_EEENSF_IJSE_SE_EEES9_SG_JZNS1_25segmented_radix_sort_implINS0_14default_configELb1EPK12hip_bfloat16PSL_PKlPlN2at6native12_GLOBAL__N_18offset_tEEE10hipError_tPvRmT1_PNSt15iterator_traitsISZ_E10value_typeET2_T3_PNS10_IS15_E10value_typeET4_jRbjT5_S1B_jjP12ihipStream_tbEUljE_EEESW_SX_SY_S15_S19_S1B_T6_T7_T9_mT8_S1D_bDpT10_ENKUlT_T0_E_clISt17integral_constantIbLb1EES1Q_EEDaS1L_S1M_EUlS1L_E_NS1_11comp_targetILNS1_3genE5ELNS1_11target_archE942ELNS1_3gpuE9ELNS1_3repE0EEENS1_30default_config_static_selectorELNS0_4arch9wavefront6targetE0EEEvSZ_
		.amdhsa_group_segment_fixed_size 0
		.amdhsa_private_segment_fixed_size 0
		.amdhsa_kernarg_size 152
		.amdhsa_user_sgpr_count 2
		.amdhsa_user_sgpr_dispatch_ptr 0
		.amdhsa_user_sgpr_queue_ptr 0
		.amdhsa_user_sgpr_kernarg_segment_ptr 1
		.amdhsa_user_sgpr_dispatch_id 0
		.amdhsa_user_sgpr_private_segment_size 0
		.amdhsa_wavefront_size32 1
		.amdhsa_uses_dynamic_stack 0
		.amdhsa_enable_private_segment 0
		.amdhsa_system_sgpr_workgroup_id_x 1
		.amdhsa_system_sgpr_workgroup_id_y 0
		.amdhsa_system_sgpr_workgroup_id_z 0
		.amdhsa_system_sgpr_workgroup_info 0
		.amdhsa_system_vgpr_workitem_id 0
		.amdhsa_next_free_vgpr 1
		.amdhsa_next_free_sgpr 1
		.amdhsa_reserve_vcc 0
		.amdhsa_float_round_mode_32 0
		.amdhsa_float_round_mode_16_64 0
		.amdhsa_float_denorm_mode_32 3
		.amdhsa_float_denorm_mode_16_64 3
		.amdhsa_fp16_overflow 0
		.amdhsa_workgroup_processor_mode 1
		.amdhsa_memory_ordered 1
		.amdhsa_forward_progress 1
		.amdhsa_inst_pref_size 0
		.amdhsa_round_robin_scheduling 0
		.amdhsa_exception_fp_ieee_invalid_op 0
		.amdhsa_exception_fp_denorm_src 0
		.amdhsa_exception_fp_ieee_div_zero 0
		.amdhsa_exception_fp_ieee_overflow 0
		.amdhsa_exception_fp_ieee_underflow 0
		.amdhsa_exception_fp_ieee_inexact 0
		.amdhsa_exception_int_div_zero 0
	.end_amdhsa_kernel
	.section	.text._ZN7rocprim17ROCPRIM_400000_NS6detail17trampoline_kernelINS0_13select_configILj256ELj13ELNS0_17block_load_methodE3ELS4_3ELS4_3ELNS0_20block_scan_algorithmE0ELj4294967295EEENS1_25partition_config_selectorILNS1_17partition_subalgoE3EjNS0_10empty_typeEbEEZZNS1_14partition_implILS8_3ELb0ES6_jNS0_17counting_iteratorIjlEEPS9_SE_NS0_5tupleIJPjSE_EEENSF_IJSE_SE_EEES9_SG_JZNS1_25segmented_radix_sort_implINS0_14default_configELb1EPK12hip_bfloat16PSL_PKlPlN2at6native12_GLOBAL__N_18offset_tEEE10hipError_tPvRmT1_PNSt15iterator_traitsISZ_E10value_typeET2_T3_PNS10_IS15_E10value_typeET4_jRbjT5_S1B_jjP12ihipStream_tbEUljE_EEESW_SX_SY_S15_S19_S1B_T6_T7_T9_mT8_S1D_bDpT10_ENKUlT_T0_E_clISt17integral_constantIbLb1EES1Q_EEDaS1L_S1M_EUlS1L_E_NS1_11comp_targetILNS1_3genE5ELNS1_11target_archE942ELNS1_3gpuE9ELNS1_3repE0EEENS1_30default_config_static_selectorELNS0_4arch9wavefront6targetE0EEEvSZ_,"axG",@progbits,_ZN7rocprim17ROCPRIM_400000_NS6detail17trampoline_kernelINS0_13select_configILj256ELj13ELNS0_17block_load_methodE3ELS4_3ELS4_3ELNS0_20block_scan_algorithmE0ELj4294967295EEENS1_25partition_config_selectorILNS1_17partition_subalgoE3EjNS0_10empty_typeEbEEZZNS1_14partition_implILS8_3ELb0ES6_jNS0_17counting_iteratorIjlEEPS9_SE_NS0_5tupleIJPjSE_EEENSF_IJSE_SE_EEES9_SG_JZNS1_25segmented_radix_sort_implINS0_14default_configELb1EPK12hip_bfloat16PSL_PKlPlN2at6native12_GLOBAL__N_18offset_tEEE10hipError_tPvRmT1_PNSt15iterator_traitsISZ_E10value_typeET2_T3_PNS10_IS15_E10value_typeET4_jRbjT5_S1B_jjP12ihipStream_tbEUljE_EEESW_SX_SY_S15_S19_S1B_T6_T7_T9_mT8_S1D_bDpT10_ENKUlT_T0_E_clISt17integral_constantIbLb1EES1Q_EEDaS1L_S1M_EUlS1L_E_NS1_11comp_targetILNS1_3genE5ELNS1_11target_archE942ELNS1_3gpuE9ELNS1_3repE0EEENS1_30default_config_static_selectorELNS0_4arch9wavefront6targetE0EEEvSZ_,comdat
.Lfunc_end1923:
	.size	_ZN7rocprim17ROCPRIM_400000_NS6detail17trampoline_kernelINS0_13select_configILj256ELj13ELNS0_17block_load_methodE3ELS4_3ELS4_3ELNS0_20block_scan_algorithmE0ELj4294967295EEENS1_25partition_config_selectorILNS1_17partition_subalgoE3EjNS0_10empty_typeEbEEZZNS1_14partition_implILS8_3ELb0ES6_jNS0_17counting_iteratorIjlEEPS9_SE_NS0_5tupleIJPjSE_EEENSF_IJSE_SE_EEES9_SG_JZNS1_25segmented_radix_sort_implINS0_14default_configELb1EPK12hip_bfloat16PSL_PKlPlN2at6native12_GLOBAL__N_18offset_tEEE10hipError_tPvRmT1_PNSt15iterator_traitsISZ_E10value_typeET2_T3_PNS10_IS15_E10value_typeET4_jRbjT5_S1B_jjP12ihipStream_tbEUljE_EEESW_SX_SY_S15_S19_S1B_T6_T7_T9_mT8_S1D_bDpT10_ENKUlT_T0_E_clISt17integral_constantIbLb1EES1Q_EEDaS1L_S1M_EUlS1L_E_NS1_11comp_targetILNS1_3genE5ELNS1_11target_archE942ELNS1_3gpuE9ELNS1_3repE0EEENS1_30default_config_static_selectorELNS0_4arch9wavefront6targetE0EEEvSZ_, .Lfunc_end1923-_ZN7rocprim17ROCPRIM_400000_NS6detail17trampoline_kernelINS0_13select_configILj256ELj13ELNS0_17block_load_methodE3ELS4_3ELS4_3ELNS0_20block_scan_algorithmE0ELj4294967295EEENS1_25partition_config_selectorILNS1_17partition_subalgoE3EjNS0_10empty_typeEbEEZZNS1_14partition_implILS8_3ELb0ES6_jNS0_17counting_iteratorIjlEEPS9_SE_NS0_5tupleIJPjSE_EEENSF_IJSE_SE_EEES9_SG_JZNS1_25segmented_radix_sort_implINS0_14default_configELb1EPK12hip_bfloat16PSL_PKlPlN2at6native12_GLOBAL__N_18offset_tEEE10hipError_tPvRmT1_PNSt15iterator_traitsISZ_E10value_typeET2_T3_PNS10_IS15_E10value_typeET4_jRbjT5_S1B_jjP12ihipStream_tbEUljE_EEESW_SX_SY_S15_S19_S1B_T6_T7_T9_mT8_S1D_bDpT10_ENKUlT_T0_E_clISt17integral_constantIbLb1EES1Q_EEDaS1L_S1M_EUlS1L_E_NS1_11comp_targetILNS1_3genE5ELNS1_11target_archE942ELNS1_3gpuE9ELNS1_3repE0EEENS1_30default_config_static_selectorELNS0_4arch9wavefront6targetE0EEEvSZ_
                                        ; -- End function
	.set _ZN7rocprim17ROCPRIM_400000_NS6detail17trampoline_kernelINS0_13select_configILj256ELj13ELNS0_17block_load_methodE3ELS4_3ELS4_3ELNS0_20block_scan_algorithmE0ELj4294967295EEENS1_25partition_config_selectorILNS1_17partition_subalgoE3EjNS0_10empty_typeEbEEZZNS1_14partition_implILS8_3ELb0ES6_jNS0_17counting_iteratorIjlEEPS9_SE_NS0_5tupleIJPjSE_EEENSF_IJSE_SE_EEES9_SG_JZNS1_25segmented_radix_sort_implINS0_14default_configELb1EPK12hip_bfloat16PSL_PKlPlN2at6native12_GLOBAL__N_18offset_tEEE10hipError_tPvRmT1_PNSt15iterator_traitsISZ_E10value_typeET2_T3_PNS10_IS15_E10value_typeET4_jRbjT5_S1B_jjP12ihipStream_tbEUljE_EEESW_SX_SY_S15_S19_S1B_T6_T7_T9_mT8_S1D_bDpT10_ENKUlT_T0_E_clISt17integral_constantIbLb1EES1Q_EEDaS1L_S1M_EUlS1L_E_NS1_11comp_targetILNS1_3genE5ELNS1_11target_archE942ELNS1_3gpuE9ELNS1_3repE0EEENS1_30default_config_static_selectorELNS0_4arch9wavefront6targetE0EEEvSZ_.num_vgpr, 0
	.set _ZN7rocprim17ROCPRIM_400000_NS6detail17trampoline_kernelINS0_13select_configILj256ELj13ELNS0_17block_load_methodE3ELS4_3ELS4_3ELNS0_20block_scan_algorithmE0ELj4294967295EEENS1_25partition_config_selectorILNS1_17partition_subalgoE3EjNS0_10empty_typeEbEEZZNS1_14partition_implILS8_3ELb0ES6_jNS0_17counting_iteratorIjlEEPS9_SE_NS0_5tupleIJPjSE_EEENSF_IJSE_SE_EEES9_SG_JZNS1_25segmented_radix_sort_implINS0_14default_configELb1EPK12hip_bfloat16PSL_PKlPlN2at6native12_GLOBAL__N_18offset_tEEE10hipError_tPvRmT1_PNSt15iterator_traitsISZ_E10value_typeET2_T3_PNS10_IS15_E10value_typeET4_jRbjT5_S1B_jjP12ihipStream_tbEUljE_EEESW_SX_SY_S15_S19_S1B_T6_T7_T9_mT8_S1D_bDpT10_ENKUlT_T0_E_clISt17integral_constantIbLb1EES1Q_EEDaS1L_S1M_EUlS1L_E_NS1_11comp_targetILNS1_3genE5ELNS1_11target_archE942ELNS1_3gpuE9ELNS1_3repE0EEENS1_30default_config_static_selectorELNS0_4arch9wavefront6targetE0EEEvSZ_.num_agpr, 0
	.set _ZN7rocprim17ROCPRIM_400000_NS6detail17trampoline_kernelINS0_13select_configILj256ELj13ELNS0_17block_load_methodE3ELS4_3ELS4_3ELNS0_20block_scan_algorithmE0ELj4294967295EEENS1_25partition_config_selectorILNS1_17partition_subalgoE3EjNS0_10empty_typeEbEEZZNS1_14partition_implILS8_3ELb0ES6_jNS0_17counting_iteratorIjlEEPS9_SE_NS0_5tupleIJPjSE_EEENSF_IJSE_SE_EEES9_SG_JZNS1_25segmented_radix_sort_implINS0_14default_configELb1EPK12hip_bfloat16PSL_PKlPlN2at6native12_GLOBAL__N_18offset_tEEE10hipError_tPvRmT1_PNSt15iterator_traitsISZ_E10value_typeET2_T3_PNS10_IS15_E10value_typeET4_jRbjT5_S1B_jjP12ihipStream_tbEUljE_EEESW_SX_SY_S15_S19_S1B_T6_T7_T9_mT8_S1D_bDpT10_ENKUlT_T0_E_clISt17integral_constantIbLb1EES1Q_EEDaS1L_S1M_EUlS1L_E_NS1_11comp_targetILNS1_3genE5ELNS1_11target_archE942ELNS1_3gpuE9ELNS1_3repE0EEENS1_30default_config_static_selectorELNS0_4arch9wavefront6targetE0EEEvSZ_.numbered_sgpr, 0
	.set _ZN7rocprim17ROCPRIM_400000_NS6detail17trampoline_kernelINS0_13select_configILj256ELj13ELNS0_17block_load_methodE3ELS4_3ELS4_3ELNS0_20block_scan_algorithmE0ELj4294967295EEENS1_25partition_config_selectorILNS1_17partition_subalgoE3EjNS0_10empty_typeEbEEZZNS1_14partition_implILS8_3ELb0ES6_jNS0_17counting_iteratorIjlEEPS9_SE_NS0_5tupleIJPjSE_EEENSF_IJSE_SE_EEES9_SG_JZNS1_25segmented_radix_sort_implINS0_14default_configELb1EPK12hip_bfloat16PSL_PKlPlN2at6native12_GLOBAL__N_18offset_tEEE10hipError_tPvRmT1_PNSt15iterator_traitsISZ_E10value_typeET2_T3_PNS10_IS15_E10value_typeET4_jRbjT5_S1B_jjP12ihipStream_tbEUljE_EEESW_SX_SY_S15_S19_S1B_T6_T7_T9_mT8_S1D_bDpT10_ENKUlT_T0_E_clISt17integral_constantIbLb1EES1Q_EEDaS1L_S1M_EUlS1L_E_NS1_11comp_targetILNS1_3genE5ELNS1_11target_archE942ELNS1_3gpuE9ELNS1_3repE0EEENS1_30default_config_static_selectorELNS0_4arch9wavefront6targetE0EEEvSZ_.num_named_barrier, 0
	.set _ZN7rocprim17ROCPRIM_400000_NS6detail17trampoline_kernelINS0_13select_configILj256ELj13ELNS0_17block_load_methodE3ELS4_3ELS4_3ELNS0_20block_scan_algorithmE0ELj4294967295EEENS1_25partition_config_selectorILNS1_17partition_subalgoE3EjNS0_10empty_typeEbEEZZNS1_14partition_implILS8_3ELb0ES6_jNS0_17counting_iteratorIjlEEPS9_SE_NS0_5tupleIJPjSE_EEENSF_IJSE_SE_EEES9_SG_JZNS1_25segmented_radix_sort_implINS0_14default_configELb1EPK12hip_bfloat16PSL_PKlPlN2at6native12_GLOBAL__N_18offset_tEEE10hipError_tPvRmT1_PNSt15iterator_traitsISZ_E10value_typeET2_T3_PNS10_IS15_E10value_typeET4_jRbjT5_S1B_jjP12ihipStream_tbEUljE_EEESW_SX_SY_S15_S19_S1B_T6_T7_T9_mT8_S1D_bDpT10_ENKUlT_T0_E_clISt17integral_constantIbLb1EES1Q_EEDaS1L_S1M_EUlS1L_E_NS1_11comp_targetILNS1_3genE5ELNS1_11target_archE942ELNS1_3gpuE9ELNS1_3repE0EEENS1_30default_config_static_selectorELNS0_4arch9wavefront6targetE0EEEvSZ_.private_seg_size, 0
	.set _ZN7rocprim17ROCPRIM_400000_NS6detail17trampoline_kernelINS0_13select_configILj256ELj13ELNS0_17block_load_methodE3ELS4_3ELS4_3ELNS0_20block_scan_algorithmE0ELj4294967295EEENS1_25partition_config_selectorILNS1_17partition_subalgoE3EjNS0_10empty_typeEbEEZZNS1_14partition_implILS8_3ELb0ES6_jNS0_17counting_iteratorIjlEEPS9_SE_NS0_5tupleIJPjSE_EEENSF_IJSE_SE_EEES9_SG_JZNS1_25segmented_radix_sort_implINS0_14default_configELb1EPK12hip_bfloat16PSL_PKlPlN2at6native12_GLOBAL__N_18offset_tEEE10hipError_tPvRmT1_PNSt15iterator_traitsISZ_E10value_typeET2_T3_PNS10_IS15_E10value_typeET4_jRbjT5_S1B_jjP12ihipStream_tbEUljE_EEESW_SX_SY_S15_S19_S1B_T6_T7_T9_mT8_S1D_bDpT10_ENKUlT_T0_E_clISt17integral_constantIbLb1EES1Q_EEDaS1L_S1M_EUlS1L_E_NS1_11comp_targetILNS1_3genE5ELNS1_11target_archE942ELNS1_3gpuE9ELNS1_3repE0EEENS1_30default_config_static_selectorELNS0_4arch9wavefront6targetE0EEEvSZ_.uses_vcc, 0
	.set _ZN7rocprim17ROCPRIM_400000_NS6detail17trampoline_kernelINS0_13select_configILj256ELj13ELNS0_17block_load_methodE3ELS4_3ELS4_3ELNS0_20block_scan_algorithmE0ELj4294967295EEENS1_25partition_config_selectorILNS1_17partition_subalgoE3EjNS0_10empty_typeEbEEZZNS1_14partition_implILS8_3ELb0ES6_jNS0_17counting_iteratorIjlEEPS9_SE_NS0_5tupleIJPjSE_EEENSF_IJSE_SE_EEES9_SG_JZNS1_25segmented_radix_sort_implINS0_14default_configELb1EPK12hip_bfloat16PSL_PKlPlN2at6native12_GLOBAL__N_18offset_tEEE10hipError_tPvRmT1_PNSt15iterator_traitsISZ_E10value_typeET2_T3_PNS10_IS15_E10value_typeET4_jRbjT5_S1B_jjP12ihipStream_tbEUljE_EEESW_SX_SY_S15_S19_S1B_T6_T7_T9_mT8_S1D_bDpT10_ENKUlT_T0_E_clISt17integral_constantIbLb1EES1Q_EEDaS1L_S1M_EUlS1L_E_NS1_11comp_targetILNS1_3genE5ELNS1_11target_archE942ELNS1_3gpuE9ELNS1_3repE0EEENS1_30default_config_static_selectorELNS0_4arch9wavefront6targetE0EEEvSZ_.uses_flat_scratch, 0
	.set _ZN7rocprim17ROCPRIM_400000_NS6detail17trampoline_kernelINS0_13select_configILj256ELj13ELNS0_17block_load_methodE3ELS4_3ELS4_3ELNS0_20block_scan_algorithmE0ELj4294967295EEENS1_25partition_config_selectorILNS1_17partition_subalgoE3EjNS0_10empty_typeEbEEZZNS1_14partition_implILS8_3ELb0ES6_jNS0_17counting_iteratorIjlEEPS9_SE_NS0_5tupleIJPjSE_EEENSF_IJSE_SE_EEES9_SG_JZNS1_25segmented_radix_sort_implINS0_14default_configELb1EPK12hip_bfloat16PSL_PKlPlN2at6native12_GLOBAL__N_18offset_tEEE10hipError_tPvRmT1_PNSt15iterator_traitsISZ_E10value_typeET2_T3_PNS10_IS15_E10value_typeET4_jRbjT5_S1B_jjP12ihipStream_tbEUljE_EEESW_SX_SY_S15_S19_S1B_T6_T7_T9_mT8_S1D_bDpT10_ENKUlT_T0_E_clISt17integral_constantIbLb1EES1Q_EEDaS1L_S1M_EUlS1L_E_NS1_11comp_targetILNS1_3genE5ELNS1_11target_archE942ELNS1_3gpuE9ELNS1_3repE0EEENS1_30default_config_static_selectorELNS0_4arch9wavefront6targetE0EEEvSZ_.has_dyn_sized_stack, 0
	.set _ZN7rocprim17ROCPRIM_400000_NS6detail17trampoline_kernelINS0_13select_configILj256ELj13ELNS0_17block_load_methodE3ELS4_3ELS4_3ELNS0_20block_scan_algorithmE0ELj4294967295EEENS1_25partition_config_selectorILNS1_17partition_subalgoE3EjNS0_10empty_typeEbEEZZNS1_14partition_implILS8_3ELb0ES6_jNS0_17counting_iteratorIjlEEPS9_SE_NS0_5tupleIJPjSE_EEENSF_IJSE_SE_EEES9_SG_JZNS1_25segmented_radix_sort_implINS0_14default_configELb1EPK12hip_bfloat16PSL_PKlPlN2at6native12_GLOBAL__N_18offset_tEEE10hipError_tPvRmT1_PNSt15iterator_traitsISZ_E10value_typeET2_T3_PNS10_IS15_E10value_typeET4_jRbjT5_S1B_jjP12ihipStream_tbEUljE_EEESW_SX_SY_S15_S19_S1B_T6_T7_T9_mT8_S1D_bDpT10_ENKUlT_T0_E_clISt17integral_constantIbLb1EES1Q_EEDaS1L_S1M_EUlS1L_E_NS1_11comp_targetILNS1_3genE5ELNS1_11target_archE942ELNS1_3gpuE9ELNS1_3repE0EEENS1_30default_config_static_selectorELNS0_4arch9wavefront6targetE0EEEvSZ_.has_recursion, 0
	.set _ZN7rocprim17ROCPRIM_400000_NS6detail17trampoline_kernelINS0_13select_configILj256ELj13ELNS0_17block_load_methodE3ELS4_3ELS4_3ELNS0_20block_scan_algorithmE0ELj4294967295EEENS1_25partition_config_selectorILNS1_17partition_subalgoE3EjNS0_10empty_typeEbEEZZNS1_14partition_implILS8_3ELb0ES6_jNS0_17counting_iteratorIjlEEPS9_SE_NS0_5tupleIJPjSE_EEENSF_IJSE_SE_EEES9_SG_JZNS1_25segmented_radix_sort_implINS0_14default_configELb1EPK12hip_bfloat16PSL_PKlPlN2at6native12_GLOBAL__N_18offset_tEEE10hipError_tPvRmT1_PNSt15iterator_traitsISZ_E10value_typeET2_T3_PNS10_IS15_E10value_typeET4_jRbjT5_S1B_jjP12ihipStream_tbEUljE_EEESW_SX_SY_S15_S19_S1B_T6_T7_T9_mT8_S1D_bDpT10_ENKUlT_T0_E_clISt17integral_constantIbLb1EES1Q_EEDaS1L_S1M_EUlS1L_E_NS1_11comp_targetILNS1_3genE5ELNS1_11target_archE942ELNS1_3gpuE9ELNS1_3repE0EEENS1_30default_config_static_selectorELNS0_4arch9wavefront6targetE0EEEvSZ_.has_indirect_call, 0
	.section	.AMDGPU.csdata,"",@progbits
; Kernel info:
; codeLenInByte = 0
; TotalNumSgprs: 0
; NumVgprs: 0
; ScratchSize: 0
; MemoryBound: 0
; FloatMode: 240
; IeeeMode: 1
; LDSByteSize: 0 bytes/workgroup (compile time only)
; SGPRBlocks: 0
; VGPRBlocks: 0
; NumSGPRsForWavesPerEU: 1
; NumVGPRsForWavesPerEU: 1
; Occupancy: 16
; WaveLimiterHint : 0
; COMPUTE_PGM_RSRC2:SCRATCH_EN: 0
; COMPUTE_PGM_RSRC2:USER_SGPR: 2
; COMPUTE_PGM_RSRC2:TRAP_HANDLER: 0
; COMPUTE_PGM_RSRC2:TGID_X_EN: 1
; COMPUTE_PGM_RSRC2:TGID_Y_EN: 0
; COMPUTE_PGM_RSRC2:TGID_Z_EN: 0
; COMPUTE_PGM_RSRC2:TIDIG_COMP_CNT: 0
	.section	.text._ZN7rocprim17ROCPRIM_400000_NS6detail17trampoline_kernelINS0_13select_configILj256ELj13ELNS0_17block_load_methodE3ELS4_3ELS4_3ELNS0_20block_scan_algorithmE0ELj4294967295EEENS1_25partition_config_selectorILNS1_17partition_subalgoE3EjNS0_10empty_typeEbEEZZNS1_14partition_implILS8_3ELb0ES6_jNS0_17counting_iteratorIjlEEPS9_SE_NS0_5tupleIJPjSE_EEENSF_IJSE_SE_EEES9_SG_JZNS1_25segmented_radix_sort_implINS0_14default_configELb1EPK12hip_bfloat16PSL_PKlPlN2at6native12_GLOBAL__N_18offset_tEEE10hipError_tPvRmT1_PNSt15iterator_traitsISZ_E10value_typeET2_T3_PNS10_IS15_E10value_typeET4_jRbjT5_S1B_jjP12ihipStream_tbEUljE_EEESW_SX_SY_S15_S19_S1B_T6_T7_T9_mT8_S1D_bDpT10_ENKUlT_T0_E_clISt17integral_constantIbLb1EES1Q_EEDaS1L_S1M_EUlS1L_E_NS1_11comp_targetILNS1_3genE4ELNS1_11target_archE910ELNS1_3gpuE8ELNS1_3repE0EEENS1_30default_config_static_selectorELNS0_4arch9wavefront6targetE0EEEvSZ_,"axG",@progbits,_ZN7rocprim17ROCPRIM_400000_NS6detail17trampoline_kernelINS0_13select_configILj256ELj13ELNS0_17block_load_methodE3ELS4_3ELS4_3ELNS0_20block_scan_algorithmE0ELj4294967295EEENS1_25partition_config_selectorILNS1_17partition_subalgoE3EjNS0_10empty_typeEbEEZZNS1_14partition_implILS8_3ELb0ES6_jNS0_17counting_iteratorIjlEEPS9_SE_NS0_5tupleIJPjSE_EEENSF_IJSE_SE_EEES9_SG_JZNS1_25segmented_radix_sort_implINS0_14default_configELb1EPK12hip_bfloat16PSL_PKlPlN2at6native12_GLOBAL__N_18offset_tEEE10hipError_tPvRmT1_PNSt15iterator_traitsISZ_E10value_typeET2_T3_PNS10_IS15_E10value_typeET4_jRbjT5_S1B_jjP12ihipStream_tbEUljE_EEESW_SX_SY_S15_S19_S1B_T6_T7_T9_mT8_S1D_bDpT10_ENKUlT_T0_E_clISt17integral_constantIbLb1EES1Q_EEDaS1L_S1M_EUlS1L_E_NS1_11comp_targetILNS1_3genE4ELNS1_11target_archE910ELNS1_3gpuE8ELNS1_3repE0EEENS1_30default_config_static_selectorELNS0_4arch9wavefront6targetE0EEEvSZ_,comdat
	.globl	_ZN7rocprim17ROCPRIM_400000_NS6detail17trampoline_kernelINS0_13select_configILj256ELj13ELNS0_17block_load_methodE3ELS4_3ELS4_3ELNS0_20block_scan_algorithmE0ELj4294967295EEENS1_25partition_config_selectorILNS1_17partition_subalgoE3EjNS0_10empty_typeEbEEZZNS1_14partition_implILS8_3ELb0ES6_jNS0_17counting_iteratorIjlEEPS9_SE_NS0_5tupleIJPjSE_EEENSF_IJSE_SE_EEES9_SG_JZNS1_25segmented_radix_sort_implINS0_14default_configELb1EPK12hip_bfloat16PSL_PKlPlN2at6native12_GLOBAL__N_18offset_tEEE10hipError_tPvRmT1_PNSt15iterator_traitsISZ_E10value_typeET2_T3_PNS10_IS15_E10value_typeET4_jRbjT5_S1B_jjP12ihipStream_tbEUljE_EEESW_SX_SY_S15_S19_S1B_T6_T7_T9_mT8_S1D_bDpT10_ENKUlT_T0_E_clISt17integral_constantIbLb1EES1Q_EEDaS1L_S1M_EUlS1L_E_NS1_11comp_targetILNS1_3genE4ELNS1_11target_archE910ELNS1_3gpuE8ELNS1_3repE0EEENS1_30default_config_static_selectorELNS0_4arch9wavefront6targetE0EEEvSZ_ ; -- Begin function _ZN7rocprim17ROCPRIM_400000_NS6detail17trampoline_kernelINS0_13select_configILj256ELj13ELNS0_17block_load_methodE3ELS4_3ELS4_3ELNS0_20block_scan_algorithmE0ELj4294967295EEENS1_25partition_config_selectorILNS1_17partition_subalgoE3EjNS0_10empty_typeEbEEZZNS1_14partition_implILS8_3ELb0ES6_jNS0_17counting_iteratorIjlEEPS9_SE_NS0_5tupleIJPjSE_EEENSF_IJSE_SE_EEES9_SG_JZNS1_25segmented_radix_sort_implINS0_14default_configELb1EPK12hip_bfloat16PSL_PKlPlN2at6native12_GLOBAL__N_18offset_tEEE10hipError_tPvRmT1_PNSt15iterator_traitsISZ_E10value_typeET2_T3_PNS10_IS15_E10value_typeET4_jRbjT5_S1B_jjP12ihipStream_tbEUljE_EEESW_SX_SY_S15_S19_S1B_T6_T7_T9_mT8_S1D_bDpT10_ENKUlT_T0_E_clISt17integral_constantIbLb1EES1Q_EEDaS1L_S1M_EUlS1L_E_NS1_11comp_targetILNS1_3genE4ELNS1_11target_archE910ELNS1_3gpuE8ELNS1_3repE0EEENS1_30default_config_static_selectorELNS0_4arch9wavefront6targetE0EEEvSZ_
	.p2align	8
	.type	_ZN7rocprim17ROCPRIM_400000_NS6detail17trampoline_kernelINS0_13select_configILj256ELj13ELNS0_17block_load_methodE3ELS4_3ELS4_3ELNS0_20block_scan_algorithmE0ELj4294967295EEENS1_25partition_config_selectorILNS1_17partition_subalgoE3EjNS0_10empty_typeEbEEZZNS1_14partition_implILS8_3ELb0ES6_jNS0_17counting_iteratorIjlEEPS9_SE_NS0_5tupleIJPjSE_EEENSF_IJSE_SE_EEES9_SG_JZNS1_25segmented_radix_sort_implINS0_14default_configELb1EPK12hip_bfloat16PSL_PKlPlN2at6native12_GLOBAL__N_18offset_tEEE10hipError_tPvRmT1_PNSt15iterator_traitsISZ_E10value_typeET2_T3_PNS10_IS15_E10value_typeET4_jRbjT5_S1B_jjP12ihipStream_tbEUljE_EEESW_SX_SY_S15_S19_S1B_T6_T7_T9_mT8_S1D_bDpT10_ENKUlT_T0_E_clISt17integral_constantIbLb1EES1Q_EEDaS1L_S1M_EUlS1L_E_NS1_11comp_targetILNS1_3genE4ELNS1_11target_archE910ELNS1_3gpuE8ELNS1_3repE0EEENS1_30default_config_static_selectorELNS0_4arch9wavefront6targetE0EEEvSZ_,@function
_ZN7rocprim17ROCPRIM_400000_NS6detail17trampoline_kernelINS0_13select_configILj256ELj13ELNS0_17block_load_methodE3ELS4_3ELS4_3ELNS0_20block_scan_algorithmE0ELj4294967295EEENS1_25partition_config_selectorILNS1_17partition_subalgoE3EjNS0_10empty_typeEbEEZZNS1_14partition_implILS8_3ELb0ES6_jNS0_17counting_iteratorIjlEEPS9_SE_NS0_5tupleIJPjSE_EEENSF_IJSE_SE_EEES9_SG_JZNS1_25segmented_radix_sort_implINS0_14default_configELb1EPK12hip_bfloat16PSL_PKlPlN2at6native12_GLOBAL__N_18offset_tEEE10hipError_tPvRmT1_PNSt15iterator_traitsISZ_E10value_typeET2_T3_PNS10_IS15_E10value_typeET4_jRbjT5_S1B_jjP12ihipStream_tbEUljE_EEESW_SX_SY_S15_S19_S1B_T6_T7_T9_mT8_S1D_bDpT10_ENKUlT_T0_E_clISt17integral_constantIbLb1EES1Q_EEDaS1L_S1M_EUlS1L_E_NS1_11comp_targetILNS1_3genE4ELNS1_11target_archE910ELNS1_3gpuE8ELNS1_3repE0EEENS1_30default_config_static_selectorELNS0_4arch9wavefront6targetE0EEEvSZ_: ; @_ZN7rocprim17ROCPRIM_400000_NS6detail17trampoline_kernelINS0_13select_configILj256ELj13ELNS0_17block_load_methodE3ELS4_3ELS4_3ELNS0_20block_scan_algorithmE0ELj4294967295EEENS1_25partition_config_selectorILNS1_17partition_subalgoE3EjNS0_10empty_typeEbEEZZNS1_14partition_implILS8_3ELb0ES6_jNS0_17counting_iteratorIjlEEPS9_SE_NS0_5tupleIJPjSE_EEENSF_IJSE_SE_EEES9_SG_JZNS1_25segmented_radix_sort_implINS0_14default_configELb1EPK12hip_bfloat16PSL_PKlPlN2at6native12_GLOBAL__N_18offset_tEEE10hipError_tPvRmT1_PNSt15iterator_traitsISZ_E10value_typeET2_T3_PNS10_IS15_E10value_typeET4_jRbjT5_S1B_jjP12ihipStream_tbEUljE_EEESW_SX_SY_S15_S19_S1B_T6_T7_T9_mT8_S1D_bDpT10_ENKUlT_T0_E_clISt17integral_constantIbLb1EES1Q_EEDaS1L_S1M_EUlS1L_E_NS1_11comp_targetILNS1_3genE4ELNS1_11target_archE910ELNS1_3gpuE8ELNS1_3repE0EEENS1_30default_config_static_selectorELNS0_4arch9wavefront6targetE0EEEvSZ_
; %bb.0:
	.section	.rodata,"a",@progbits
	.p2align	6, 0x0
	.amdhsa_kernel _ZN7rocprim17ROCPRIM_400000_NS6detail17trampoline_kernelINS0_13select_configILj256ELj13ELNS0_17block_load_methodE3ELS4_3ELS4_3ELNS0_20block_scan_algorithmE0ELj4294967295EEENS1_25partition_config_selectorILNS1_17partition_subalgoE3EjNS0_10empty_typeEbEEZZNS1_14partition_implILS8_3ELb0ES6_jNS0_17counting_iteratorIjlEEPS9_SE_NS0_5tupleIJPjSE_EEENSF_IJSE_SE_EEES9_SG_JZNS1_25segmented_radix_sort_implINS0_14default_configELb1EPK12hip_bfloat16PSL_PKlPlN2at6native12_GLOBAL__N_18offset_tEEE10hipError_tPvRmT1_PNSt15iterator_traitsISZ_E10value_typeET2_T3_PNS10_IS15_E10value_typeET4_jRbjT5_S1B_jjP12ihipStream_tbEUljE_EEESW_SX_SY_S15_S19_S1B_T6_T7_T9_mT8_S1D_bDpT10_ENKUlT_T0_E_clISt17integral_constantIbLb1EES1Q_EEDaS1L_S1M_EUlS1L_E_NS1_11comp_targetILNS1_3genE4ELNS1_11target_archE910ELNS1_3gpuE8ELNS1_3repE0EEENS1_30default_config_static_selectorELNS0_4arch9wavefront6targetE0EEEvSZ_
		.amdhsa_group_segment_fixed_size 0
		.amdhsa_private_segment_fixed_size 0
		.amdhsa_kernarg_size 152
		.amdhsa_user_sgpr_count 2
		.amdhsa_user_sgpr_dispatch_ptr 0
		.amdhsa_user_sgpr_queue_ptr 0
		.amdhsa_user_sgpr_kernarg_segment_ptr 1
		.amdhsa_user_sgpr_dispatch_id 0
		.amdhsa_user_sgpr_private_segment_size 0
		.amdhsa_wavefront_size32 1
		.amdhsa_uses_dynamic_stack 0
		.amdhsa_enable_private_segment 0
		.amdhsa_system_sgpr_workgroup_id_x 1
		.amdhsa_system_sgpr_workgroup_id_y 0
		.amdhsa_system_sgpr_workgroup_id_z 0
		.amdhsa_system_sgpr_workgroup_info 0
		.amdhsa_system_vgpr_workitem_id 0
		.amdhsa_next_free_vgpr 1
		.amdhsa_next_free_sgpr 1
		.amdhsa_reserve_vcc 0
		.amdhsa_float_round_mode_32 0
		.amdhsa_float_round_mode_16_64 0
		.amdhsa_float_denorm_mode_32 3
		.amdhsa_float_denorm_mode_16_64 3
		.amdhsa_fp16_overflow 0
		.amdhsa_workgroup_processor_mode 1
		.amdhsa_memory_ordered 1
		.amdhsa_forward_progress 1
		.amdhsa_inst_pref_size 0
		.amdhsa_round_robin_scheduling 0
		.amdhsa_exception_fp_ieee_invalid_op 0
		.amdhsa_exception_fp_denorm_src 0
		.amdhsa_exception_fp_ieee_div_zero 0
		.amdhsa_exception_fp_ieee_overflow 0
		.amdhsa_exception_fp_ieee_underflow 0
		.amdhsa_exception_fp_ieee_inexact 0
		.amdhsa_exception_int_div_zero 0
	.end_amdhsa_kernel
	.section	.text._ZN7rocprim17ROCPRIM_400000_NS6detail17trampoline_kernelINS0_13select_configILj256ELj13ELNS0_17block_load_methodE3ELS4_3ELS4_3ELNS0_20block_scan_algorithmE0ELj4294967295EEENS1_25partition_config_selectorILNS1_17partition_subalgoE3EjNS0_10empty_typeEbEEZZNS1_14partition_implILS8_3ELb0ES6_jNS0_17counting_iteratorIjlEEPS9_SE_NS0_5tupleIJPjSE_EEENSF_IJSE_SE_EEES9_SG_JZNS1_25segmented_radix_sort_implINS0_14default_configELb1EPK12hip_bfloat16PSL_PKlPlN2at6native12_GLOBAL__N_18offset_tEEE10hipError_tPvRmT1_PNSt15iterator_traitsISZ_E10value_typeET2_T3_PNS10_IS15_E10value_typeET4_jRbjT5_S1B_jjP12ihipStream_tbEUljE_EEESW_SX_SY_S15_S19_S1B_T6_T7_T9_mT8_S1D_bDpT10_ENKUlT_T0_E_clISt17integral_constantIbLb1EES1Q_EEDaS1L_S1M_EUlS1L_E_NS1_11comp_targetILNS1_3genE4ELNS1_11target_archE910ELNS1_3gpuE8ELNS1_3repE0EEENS1_30default_config_static_selectorELNS0_4arch9wavefront6targetE0EEEvSZ_,"axG",@progbits,_ZN7rocprim17ROCPRIM_400000_NS6detail17trampoline_kernelINS0_13select_configILj256ELj13ELNS0_17block_load_methodE3ELS4_3ELS4_3ELNS0_20block_scan_algorithmE0ELj4294967295EEENS1_25partition_config_selectorILNS1_17partition_subalgoE3EjNS0_10empty_typeEbEEZZNS1_14partition_implILS8_3ELb0ES6_jNS0_17counting_iteratorIjlEEPS9_SE_NS0_5tupleIJPjSE_EEENSF_IJSE_SE_EEES9_SG_JZNS1_25segmented_radix_sort_implINS0_14default_configELb1EPK12hip_bfloat16PSL_PKlPlN2at6native12_GLOBAL__N_18offset_tEEE10hipError_tPvRmT1_PNSt15iterator_traitsISZ_E10value_typeET2_T3_PNS10_IS15_E10value_typeET4_jRbjT5_S1B_jjP12ihipStream_tbEUljE_EEESW_SX_SY_S15_S19_S1B_T6_T7_T9_mT8_S1D_bDpT10_ENKUlT_T0_E_clISt17integral_constantIbLb1EES1Q_EEDaS1L_S1M_EUlS1L_E_NS1_11comp_targetILNS1_3genE4ELNS1_11target_archE910ELNS1_3gpuE8ELNS1_3repE0EEENS1_30default_config_static_selectorELNS0_4arch9wavefront6targetE0EEEvSZ_,comdat
.Lfunc_end1924:
	.size	_ZN7rocprim17ROCPRIM_400000_NS6detail17trampoline_kernelINS0_13select_configILj256ELj13ELNS0_17block_load_methodE3ELS4_3ELS4_3ELNS0_20block_scan_algorithmE0ELj4294967295EEENS1_25partition_config_selectorILNS1_17partition_subalgoE3EjNS0_10empty_typeEbEEZZNS1_14partition_implILS8_3ELb0ES6_jNS0_17counting_iteratorIjlEEPS9_SE_NS0_5tupleIJPjSE_EEENSF_IJSE_SE_EEES9_SG_JZNS1_25segmented_radix_sort_implINS0_14default_configELb1EPK12hip_bfloat16PSL_PKlPlN2at6native12_GLOBAL__N_18offset_tEEE10hipError_tPvRmT1_PNSt15iterator_traitsISZ_E10value_typeET2_T3_PNS10_IS15_E10value_typeET4_jRbjT5_S1B_jjP12ihipStream_tbEUljE_EEESW_SX_SY_S15_S19_S1B_T6_T7_T9_mT8_S1D_bDpT10_ENKUlT_T0_E_clISt17integral_constantIbLb1EES1Q_EEDaS1L_S1M_EUlS1L_E_NS1_11comp_targetILNS1_3genE4ELNS1_11target_archE910ELNS1_3gpuE8ELNS1_3repE0EEENS1_30default_config_static_selectorELNS0_4arch9wavefront6targetE0EEEvSZ_, .Lfunc_end1924-_ZN7rocprim17ROCPRIM_400000_NS6detail17trampoline_kernelINS0_13select_configILj256ELj13ELNS0_17block_load_methodE3ELS4_3ELS4_3ELNS0_20block_scan_algorithmE0ELj4294967295EEENS1_25partition_config_selectorILNS1_17partition_subalgoE3EjNS0_10empty_typeEbEEZZNS1_14partition_implILS8_3ELb0ES6_jNS0_17counting_iteratorIjlEEPS9_SE_NS0_5tupleIJPjSE_EEENSF_IJSE_SE_EEES9_SG_JZNS1_25segmented_radix_sort_implINS0_14default_configELb1EPK12hip_bfloat16PSL_PKlPlN2at6native12_GLOBAL__N_18offset_tEEE10hipError_tPvRmT1_PNSt15iterator_traitsISZ_E10value_typeET2_T3_PNS10_IS15_E10value_typeET4_jRbjT5_S1B_jjP12ihipStream_tbEUljE_EEESW_SX_SY_S15_S19_S1B_T6_T7_T9_mT8_S1D_bDpT10_ENKUlT_T0_E_clISt17integral_constantIbLb1EES1Q_EEDaS1L_S1M_EUlS1L_E_NS1_11comp_targetILNS1_3genE4ELNS1_11target_archE910ELNS1_3gpuE8ELNS1_3repE0EEENS1_30default_config_static_selectorELNS0_4arch9wavefront6targetE0EEEvSZ_
                                        ; -- End function
	.set _ZN7rocprim17ROCPRIM_400000_NS6detail17trampoline_kernelINS0_13select_configILj256ELj13ELNS0_17block_load_methodE3ELS4_3ELS4_3ELNS0_20block_scan_algorithmE0ELj4294967295EEENS1_25partition_config_selectorILNS1_17partition_subalgoE3EjNS0_10empty_typeEbEEZZNS1_14partition_implILS8_3ELb0ES6_jNS0_17counting_iteratorIjlEEPS9_SE_NS0_5tupleIJPjSE_EEENSF_IJSE_SE_EEES9_SG_JZNS1_25segmented_radix_sort_implINS0_14default_configELb1EPK12hip_bfloat16PSL_PKlPlN2at6native12_GLOBAL__N_18offset_tEEE10hipError_tPvRmT1_PNSt15iterator_traitsISZ_E10value_typeET2_T3_PNS10_IS15_E10value_typeET4_jRbjT5_S1B_jjP12ihipStream_tbEUljE_EEESW_SX_SY_S15_S19_S1B_T6_T7_T9_mT8_S1D_bDpT10_ENKUlT_T0_E_clISt17integral_constantIbLb1EES1Q_EEDaS1L_S1M_EUlS1L_E_NS1_11comp_targetILNS1_3genE4ELNS1_11target_archE910ELNS1_3gpuE8ELNS1_3repE0EEENS1_30default_config_static_selectorELNS0_4arch9wavefront6targetE0EEEvSZ_.num_vgpr, 0
	.set _ZN7rocprim17ROCPRIM_400000_NS6detail17trampoline_kernelINS0_13select_configILj256ELj13ELNS0_17block_load_methodE3ELS4_3ELS4_3ELNS0_20block_scan_algorithmE0ELj4294967295EEENS1_25partition_config_selectorILNS1_17partition_subalgoE3EjNS0_10empty_typeEbEEZZNS1_14partition_implILS8_3ELb0ES6_jNS0_17counting_iteratorIjlEEPS9_SE_NS0_5tupleIJPjSE_EEENSF_IJSE_SE_EEES9_SG_JZNS1_25segmented_radix_sort_implINS0_14default_configELb1EPK12hip_bfloat16PSL_PKlPlN2at6native12_GLOBAL__N_18offset_tEEE10hipError_tPvRmT1_PNSt15iterator_traitsISZ_E10value_typeET2_T3_PNS10_IS15_E10value_typeET4_jRbjT5_S1B_jjP12ihipStream_tbEUljE_EEESW_SX_SY_S15_S19_S1B_T6_T7_T9_mT8_S1D_bDpT10_ENKUlT_T0_E_clISt17integral_constantIbLb1EES1Q_EEDaS1L_S1M_EUlS1L_E_NS1_11comp_targetILNS1_3genE4ELNS1_11target_archE910ELNS1_3gpuE8ELNS1_3repE0EEENS1_30default_config_static_selectorELNS0_4arch9wavefront6targetE0EEEvSZ_.num_agpr, 0
	.set _ZN7rocprim17ROCPRIM_400000_NS6detail17trampoline_kernelINS0_13select_configILj256ELj13ELNS0_17block_load_methodE3ELS4_3ELS4_3ELNS0_20block_scan_algorithmE0ELj4294967295EEENS1_25partition_config_selectorILNS1_17partition_subalgoE3EjNS0_10empty_typeEbEEZZNS1_14partition_implILS8_3ELb0ES6_jNS0_17counting_iteratorIjlEEPS9_SE_NS0_5tupleIJPjSE_EEENSF_IJSE_SE_EEES9_SG_JZNS1_25segmented_radix_sort_implINS0_14default_configELb1EPK12hip_bfloat16PSL_PKlPlN2at6native12_GLOBAL__N_18offset_tEEE10hipError_tPvRmT1_PNSt15iterator_traitsISZ_E10value_typeET2_T3_PNS10_IS15_E10value_typeET4_jRbjT5_S1B_jjP12ihipStream_tbEUljE_EEESW_SX_SY_S15_S19_S1B_T6_T7_T9_mT8_S1D_bDpT10_ENKUlT_T0_E_clISt17integral_constantIbLb1EES1Q_EEDaS1L_S1M_EUlS1L_E_NS1_11comp_targetILNS1_3genE4ELNS1_11target_archE910ELNS1_3gpuE8ELNS1_3repE0EEENS1_30default_config_static_selectorELNS0_4arch9wavefront6targetE0EEEvSZ_.numbered_sgpr, 0
	.set _ZN7rocprim17ROCPRIM_400000_NS6detail17trampoline_kernelINS0_13select_configILj256ELj13ELNS0_17block_load_methodE3ELS4_3ELS4_3ELNS0_20block_scan_algorithmE0ELj4294967295EEENS1_25partition_config_selectorILNS1_17partition_subalgoE3EjNS0_10empty_typeEbEEZZNS1_14partition_implILS8_3ELb0ES6_jNS0_17counting_iteratorIjlEEPS9_SE_NS0_5tupleIJPjSE_EEENSF_IJSE_SE_EEES9_SG_JZNS1_25segmented_radix_sort_implINS0_14default_configELb1EPK12hip_bfloat16PSL_PKlPlN2at6native12_GLOBAL__N_18offset_tEEE10hipError_tPvRmT1_PNSt15iterator_traitsISZ_E10value_typeET2_T3_PNS10_IS15_E10value_typeET4_jRbjT5_S1B_jjP12ihipStream_tbEUljE_EEESW_SX_SY_S15_S19_S1B_T6_T7_T9_mT8_S1D_bDpT10_ENKUlT_T0_E_clISt17integral_constantIbLb1EES1Q_EEDaS1L_S1M_EUlS1L_E_NS1_11comp_targetILNS1_3genE4ELNS1_11target_archE910ELNS1_3gpuE8ELNS1_3repE0EEENS1_30default_config_static_selectorELNS0_4arch9wavefront6targetE0EEEvSZ_.num_named_barrier, 0
	.set _ZN7rocprim17ROCPRIM_400000_NS6detail17trampoline_kernelINS0_13select_configILj256ELj13ELNS0_17block_load_methodE3ELS4_3ELS4_3ELNS0_20block_scan_algorithmE0ELj4294967295EEENS1_25partition_config_selectorILNS1_17partition_subalgoE3EjNS0_10empty_typeEbEEZZNS1_14partition_implILS8_3ELb0ES6_jNS0_17counting_iteratorIjlEEPS9_SE_NS0_5tupleIJPjSE_EEENSF_IJSE_SE_EEES9_SG_JZNS1_25segmented_radix_sort_implINS0_14default_configELb1EPK12hip_bfloat16PSL_PKlPlN2at6native12_GLOBAL__N_18offset_tEEE10hipError_tPvRmT1_PNSt15iterator_traitsISZ_E10value_typeET2_T3_PNS10_IS15_E10value_typeET4_jRbjT5_S1B_jjP12ihipStream_tbEUljE_EEESW_SX_SY_S15_S19_S1B_T6_T7_T9_mT8_S1D_bDpT10_ENKUlT_T0_E_clISt17integral_constantIbLb1EES1Q_EEDaS1L_S1M_EUlS1L_E_NS1_11comp_targetILNS1_3genE4ELNS1_11target_archE910ELNS1_3gpuE8ELNS1_3repE0EEENS1_30default_config_static_selectorELNS0_4arch9wavefront6targetE0EEEvSZ_.private_seg_size, 0
	.set _ZN7rocprim17ROCPRIM_400000_NS6detail17trampoline_kernelINS0_13select_configILj256ELj13ELNS0_17block_load_methodE3ELS4_3ELS4_3ELNS0_20block_scan_algorithmE0ELj4294967295EEENS1_25partition_config_selectorILNS1_17partition_subalgoE3EjNS0_10empty_typeEbEEZZNS1_14partition_implILS8_3ELb0ES6_jNS0_17counting_iteratorIjlEEPS9_SE_NS0_5tupleIJPjSE_EEENSF_IJSE_SE_EEES9_SG_JZNS1_25segmented_radix_sort_implINS0_14default_configELb1EPK12hip_bfloat16PSL_PKlPlN2at6native12_GLOBAL__N_18offset_tEEE10hipError_tPvRmT1_PNSt15iterator_traitsISZ_E10value_typeET2_T3_PNS10_IS15_E10value_typeET4_jRbjT5_S1B_jjP12ihipStream_tbEUljE_EEESW_SX_SY_S15_S19_S1B_T6_T7_T9_mT8_S1D_bDpT10_ENKUlT_T0_E_clISt17integral_constantIbLb1EES1Q_EEDaS1L_S1M_EUlS1L_E_NS1_11comp_targetILNS1_3genE4ELNS1_11target_archE910ELNS1_3gpuE8ELNS1_3repE0EEENS1_30default_config_static_selectorELNS0_4arch9wavefront6targetE0EEEvSZ_.uses_vcc, 0
	.set _ZN7rocprim17ROCPRIM_400000_NS6detail17trampoline_kernelINS0_13select_configILj256ELj13ELNS0_17block_load_methodE3ELS4_3ELS4_3ELNS0_20block_scan_algorithmE0ELj4294967295EEENS1_25partition_config_selectorILNS1_17partition_subalgoE3EjNS0_10empty_typeEbEEZZNS1_14partition_implILS8_3ELb0ES6_jNS0_17counting_iteratorIjlEEPS9_SE_NS0_5tupleIJPjSE_EEENSF_IJSE_SE_EEES9_SG_JZNS1_25segmented_radix_sort_implINS0_14default_configELb1EPK12hip_bfloat16PSL_PKlPlN2at6native12_GLOBAL__N_18offset_tEEE10hipError_tPvRmT1_PNSt15iterator_traitsISZ_E10value_typeET2_T3_PNS10_IS15_E10value_typeET4_jRbjT5_S1B_jjP12ihipStream_tbEUljE_EEESW_SX_SY_S15_S19_S1B_T6_T7_T9_mT8_S1D_bDpT10_ENKUlT_T0_E_clISt17integral_constantIbLb1EES1Q_EEDaS1L_S1M_EUlS1L_E_NS1_11comp_targetILNS1_3genE4ELNS1_11target_archE910ELNS1_3gpuE8ELNS1_3repE0EEENS1_30default_config_static_selectorELNS0_4arch9wavefront6targetE0EEEvSZ_.uses_flat_scratch, 0
	.set _ZN7rocprim17ROCPRIM_400000_NS6detail17trampoline_kernelINS0_13select_configILj256ELj13ELNS0_17block_load_methodE3ELS4_3ELS4_3ELNS0_20block_scan_algorithmE0ELj4294967295EEENS1_25partition_config_selectorILNS1_17partition_subalgoE3EjNS0_10empty_typeEbEEZZNS1_14partition_implILS8_3ELb0ES6_jNS0_17counting_iteratorIjlEEPS9_SE_NS0_5tupleIJPjSE_EEENSF_IJSE_SE_EEES9_SG_JZNS1_25segmented_radix_sort_implINS0_14default_configELb1EPK12hip_bfloat16PSL_PKlPlN2at6native12_GLOBAL__N_18offset_tEEE10hipError_tPvRmT1_PNSt15iterator_traitsISZ_E10value_typeET2_T3_PNS10_IS15_E10value_typeET4_jRbjT5_S1B_jjP12ihipStream_tbEUljE_EEESW_SX_SY_S15_S19_S1B_T6_T7_T9_mT8_S1D_bDpT10_ENKUlT_T0_E_clISt17integral_constantIbLb1EES1Q_EEDaS1L_S1M_EUlS1L_E_NS1_11comp_targetILNS1_3genE4ELNS1_11target_archE910ELNS1_3gpuE8ELNS1_3repE0EEENS1_30default_config_static_selectorELNS0_4arch9wavefront6targetE0EEEvSZ_.has_dyn_sized_stack, 0
	.set _ZN7rocprim17ROCPRIM_400000_NS6detail17trampoline_kernelINS0_13select_configILj256ELj13ELNS0_17block_load_methodE3ELS4_3ELS4_3ELNS0_20block_scan_algorithmE0ELj4294967295EEENS1_25partition_config_selectorILNS1_17partition_subalgoE3EjNS0_10empty_typeEbEEZZNS1_14partition_implILS8_3ELb0ES6_jNS0_17counting_iteratorIjlEEPS9_SE_NS0_5tupleIJPjSE_EEENSF_IJSE_SE_EEES9_SG_JZNS1_25segmented_radix_sort_implINS0_14default_configELb1EPK12hip_bfloat16PSL_PKlPlN2at6native12_GLOBAL__N_18offset_tEEE10hipError_tPvRmT1_PNSt15iterator_traitsISZ_E10value_typeET2_T3_PNS10_IS15_E10value_typeET4_jRbjT5_S1B_jjP12ihipStream_tbEUljE_EEESW_SX_SY_S15_S19_S1B_T6_T7_T9_mT8_S1D_bDpT10_ENKUlT_T0_E_clISt17integral_constantIbLb1EES1Q_EEDaS1L_S1M_EUlS1L_E_NS1_11comp_targetILNS1_3genE4ELNS1_11target_archE910ELNS1_3gpuE8ELNS1_3repE0EEENS1_30default_config_static_selectorELNS0_4arch9wavefront6targetE0EEEvSZ_.has_recursion, 0
	.set _ZN7rocprim17ROCPRIM_400000_NS6detail17trampoline_kernelINS0_13select_configILj256ELj13ELNS0_17block_load_methodE3ELS4_3ELS4_3ELNS0_20block_scan_algorithmE0ELj4294967295EEENS1_25partition_config_selectorILNS1_17partition_subalgoE3EjNS0_10empty_typeEbEEZZNS1_14partition_implILS8_3ELb0ES6_jNS0_17counting_iteratorIjlEEPS9_SE_NS0_5tupleIJPjSE_EEENSF_IJSE_SE_EEES9_SG_JZNS1_25segmented_radix_sort_implINS0_14default_configELb1EPK12hip_bfloat16PSL_PKlPlN2at6native12_GLOBAL__N_18offset_tEEE10hipError_tPvRmT1_PNSt15iterator_traitsISZ_E10value_typeET2_T3_PNS10_IS15_E10value_typeET4_jRbjT5_S1B_jjP12ihipStream_tbEUljE_EEESW_SX_SY_S15_S19_S1B_T6_T7_T9_mT8_S1D_bDpT10_ENKUlT_T0_E_clISt17integral_constantIbLb1EES1Q_EEDaS1L_S1M_EUlS1L_E_NS1_11comp_targetILNS1_3genE4ELNS1_11target_archE910ELNS1_3gpuE8ELNS1_3repE0EEENS1_30default_config_static_selectorELNS0_4arch9wavefront6targetE0EEEvSZ_.has_indirect_call, 0
	.section	.AMDGPU.csdata,"",@progbits
; Kernel info:
; codeLenInByte = 0
; TotalNumSgprs: 0
; NumVgprs: 0
; ScratchSize: 0
; MemoryBound: 0
; FloatMode: 240
; IeeeMode: 1
; LDSByteSize: 0 bytes/workgroup (compile time only)
; SGPRBlocks: 0
; VGPRBlocks: 0
; NumSGPRsForWavesPerEU: 1
; NumVGPRsForWavesPerEU: 1
; Occupancy: 16
; WaveLimiterHint : 0
; COMPUTE_PGM_RSRC2:SCRATCH_EN: 0
; COMPUTE_PGM_RSRC2:USER_SGPR: 2
; COMPUTE_PGM_RSRC2:TRAP_HANDLER: 0
; COMPUTE_PGM_RSRC2:TGID_X_EN: 1
; COMPUTE_PGM_RSRC2:TGID_Y_EN: 0
; COMPUTE_PGM_RSRC2:TGID_Z_EN: 0
; COMPUTE_PGM_RSRC2:TIDIG_COMP_CNT: 0
	.section	.text._ZN7rocprim17ROCPRIM_400000_NS6detail17trampoline_kernelINS0_13select_configILj256ELj13ELNS0_17block_load_methodE3ELS4_3ELS4_3ELNS0_20block_scan_algorithmE0ELj4294967295EEENS1_25partition_config_selectorILNS1_17partition_subalgoE3EjNS0_10empty_typeEbEEZZNS1_14partition_implILS8_3ELb0ES6_jNS0_17counting_iteratorIjlEEPS9_SE_NS0_5tupleIJPjSE_EEENSF_IJSE_SE_EEES9_SG_JZNS1_25segmented_radix_sort_implINS0_14default_configELb1EPK12hip_bfloat16PSL_PKlPlN2at6native12_GLOBAL__N_18offset_tEEE10hipError_tPvRmT1_PNSt15iterator_traitsISZ_E10value_typeET2_T3_PNS10_IS15_E10value_typeET4_jRbjT5_S1B_jjP12ihipStream_tbEUljE_EEESW_SX_SY_S15_S19_S1B_T6_T7_T9_mT8_S1D_bDpT10_ENKUlT_T0_E_clISt17integral_constantIbLb1EES1Q_EEDaS1L_S1M_EUlS1L_E_NS1_11comp_targetILNS1_3genE3ELNS1_11target_archE908ELNS1_3gpuE7ELNS1_3repE0EEENS1_30default_config_static_selectorELNS0_4arch9wavefront6targetE0EEEvSZ_,"axG",@progbits,_ZN7rocprim17ROCPRIM_400000_NS6detail17trampoline_kernelINS0_13select_configILj256ELj13ELNS0_17block_load_methodE3ELS4_3ELS4_3ELNS0_20block_scan_algorithmE0ELj4294967295EEENS1_25partition_config_selectorILNS1_17partition_subalgoE3EjNS0_10empty_typeEbEEZZNS1_14partition_implILS8_3ELb0ES6_jNS0_17counting_iteratorIjlEEPS9_SE_NS0_5tupleIJPjSE_EEENSF_IJSE_SE_EEES9_SG_JZNS1_25segmented_radix_sort_implINS0_14default_configELb1EPK12hip_bfloat16PSL_PKlPlN2at6native12_GLOBAL__N_18offset_tEEE10hipError_tPvRmT1_PNSt15iterator_traitsISZ_E10value_typeET2_T3_PNS10_IS15_E10value_typeET4_jRbjT5_S1B_jjP12ihipStream_tbEUljE_EEESW_SX_SY_S15_S19_S1B_T6_T7_T9_mT8_S1D_bDpT10_ENKUlT_T0_E_clISt17integral_constantIbLb1EES1Q_EEDaS1L_S1M_EUlS1L_E_NS1_11comp_targetILNS1_3genE3ELNS1_11target_archE908ELNS1_3gpuE7ELNS1_3repE0EEENS1_30default_config_static_selectorELNS0_4arch9wavefront6targetE0EEEvSZ_,comdat
	.globl	_ZN7rocprim17ROCPRIM_400000_NS6detail17trampoline_kernelINS0_13select_configILj256ELj13ELNS0_17block_load_methodE3ELS4_3ELS4_3ELNS0_20block_scan_algorithmE0ELj4294967295EEENS1_25partition_config_selectorILNS1_17partition_subalgoE3EjNS0_10empty_typeEbEEZZNS1_14partition_implILS8_3ELb0ES6_jNS0_17counting_iteratorIjlEEPS9_SE_NS0_5tupleIJPjSE_EEENSF_IJSE_SE_EEES9_SG_JZNS1_25segmented_radix_sort_implINS0_14default_configELb1EPK12hip_bfloat16PSL_PKlPlN2at6native12_GLOBAL__N_18offset_tEEE10hipError_tPvRmT1_PNSt15iterator_traitsISZ_E10value_typeET2_T3_PNS10_IS15_E10value_typeET4_jRbjT5_S1B_jjP12ihipStream_tbEUljE_EEESW_SX_SY_S15_S19_S1B_T6_T7_T9_mT8_S1D_bDpT10_ENKUlT_T0_E_clISt17integral_constantIbLb1EES1Q_EEDaS1L_S1M_EUlS1L_E_NS1_11comp_targetILNS1_3genE3ELNS1_11target_archE908ELNS1_3gpuE7ELNS1_3repE0EEENS1_30default_config_static_selectorELNS0_4arch9wavefront6targetE0EEEvSZ_ ; -- Begin function _ZN7rocprim17ROCPRIM_400000_NS6detail17trampoline_kernelINS0_13select_configILj256ELj13ELNS0_17block_load_methodE3ELS4_3ELS4_3ELNS0_20block_scan_algorithmE0ELj4294967295EEENS1_25partition_config_selectorILNS1_17partition_subalgoE3EjNS0_10empty_typeEbEEZZNS1_14partition_implILS8_3ELb0ES6_jNS0_17counting_iteratorIjlEEPS9_SE_NS0_5tupleIJPjSE_EEENSF_IJSE_SE_EEES9_SG_JZNS1_25segmented_radix_sort_implINS0_14default_configELb1EPK12hip_bfloat16PSL_PKlPlN2at6native12_GLOBAL__N_18offset_tEEE10hipError_tPvRmT1_PNSt15iterator_traitsISZ_E10value_typeET2_T3_PNS10_IS15_E10value_typeET4_jRbjT5_S1B_jjP12ihipStream_tbEUljE_EEESW_SX_SY_S15_S19_S1B_T6_T7_T9_mT8_S1D_bDpT10_ENKUlT_T0_E_clISt17integral_constantIbLb1EES1Q_EEDaS1L_S1M_EUlS1L_E_NS1_11comp_targetILNS1_3genE3ELNS1_11target_archE908ELNS1_3gpuE7ELNS1_3repE0EEENS1_30default_config_static_selectorELNS0_4arch9wavefront6targetE0EEEvSZ_
	.p2align	8
	.type	_ZN7rocprim17ROCPRIM_400000_NS6detail17trampoline_kernelINS0_13select_configILj256ELj13ELNS0_17block_load_methodE3ELS4_3ELS4_3ELNS0_20block_scan_algorithmE0ELj4294967295EEENS1_25partition_config_selectorILNS1_17partition_subalgoE3EjNS0_10empty_typeEbEEZZNS1_14partition_implILS8_3ELb0ES6_jNS0_17counting_iteratorIjlEEPS9_SE_NS0_5tupleIJPjSE_EEENSF_IJSE_SE_EEES9_SG_JZNS1_25segmented_radix_sort_implINS0_14default_configELb1EPK12hip_bfloat16PSL_PKlPlN2at6native12_GLOBAL__N_18offset_tEEE10hipError_tPvRmT1_PNSt15iterator_traitsISZ_E10value_typeET2_T3_PNS10_IS15_E10value_typeET4_jRbjT5_S1B_jjP12ihipStream_tbEUljE_EEESW_SX_SY_S15_S19_S1B_T6_T7_T9_mT8_S1D_bDpT10_ENKUlT_T0_E_clISt17integral_constantIbLb1EES1Q_EEDaS1L_S1M_EUlS1L_E_NS1_11comp_targetILNS1_3genE3ELNS1_11target_archE908ELNS1_3gpuE7ELNS1_3repE0EEENS1_30default_config_static_selectorELNS0_4arch9wavefront6targetE0EEEvSZ_,@function
_ZN7rocprim17ROCPRIM_400000_NS6detail17trampoline_kernelINS0_13select_configILj256ELj13ELNS0_17block_load_methodE3ELS4_3ELS4_3ELNS0_20block_scan_algorithmE0ELj4294967295EEENS1_25partition_config_selectorILNS1_17partition_subalgoE3EjNS0_10empty_typeEbEEZZNS1_14partition_implILS8_3ELb0ES6_jNS0_17counting_iteratorIjlEEPS9_SE_NS0_5tupleIJPjSE_EEENSF_IJSE_SE_EEES9_SG_JZNS1_25segmented_radix_sort_implINS0_14default_configELb1EPK12hip_bfloat16PSL_PKlPlN2at6native12_GLOBAL__N_18offset_tEEE10hipError_tPvRmT1_PNSt15iterator_traitsISZ_E10value_typeET2_T3_PNS10_IS15_E10value_typeET4_jRbjT5_S1B_jjP12ihipStream_tbEUljE_EEESW_SX_SY_S15_S19_S1B_T6_T7_T9_mT8_S1D_bDpT10_ENKUlT_T0_E_clISt17integral_constantIbLb1EES1Q_EEDaS1L_S1M_EUlS1L_E_NS1_11comp_targetILNS1_3genE3ELNS1_11target_archE908ELNS1_3gpuE7ELNS1_3repE0EEENS1_30default_config_static_selectorELNS0_4arch9wavefront6targetE0EEEvSZ_: ; @_ZN7rocprim17ROCPRIM_400000_NS6detail17trampoline_kernelINS0_13select_configILj256ELj13ELNS0_17block_load_methodE3ELS4_3ELS4_3ELNS0_20block_scan_algorithmE0ELj4294967295EEENS1_25partition_config_selectorILNS1_17partition_subalgoE3EjNS0_10empty_typeEbEEZZNS1_14partition_implILS8_3ELb0ES6_jNS0_17counting_iteratorIjlEEPS9_SE_NS0_5tupleIJPjSE_EEENSF_IJSE_SE_EEES9_SG_JZNS1_25segmented_radix_sort_implINS0_14default_configELb1EPK12hip_bfloat16PSL_PKlPlN2at6native12_GLOBAL__N_18offset_tEEE10hipError_tPvRmT1_PNSt15iterator_traitsISZ_E10value_typeET2_T3_PNS10_IS15_E10value_typeET4_jRbjT5_S1B_jjP12ihipStream_tbEUljE_EEESW_SX_SY_S15_S19_S1B_T6_T7_T9_mT8_S1D_bDpT10_ENKUlT_T0_E_clISt17integral_constantIbLb1EES1Q_EEDaS1L_S1M_EUlS1L_E_NS1_11comp_targetILNS1_3genE3ELNS1_11target_archE908ELNS1_3gpuE7ELNS1_3repE0EEENS1_30default_config_static_selectorELNS0_4arch9wavefront6targetE0EEEvSZ_
; %bb.0:
	.section	.rodata,"a",@progbits
	.p2align	6, 0x0
	.amdhsa_kernel _ZN7rocprim17ROCPRIM_400000_NS6detail17trampoline_kernelINS0_13select_configILj256ELj13ELNS0_17block_load_methodE3ELS4_3ELS4_3ELNS0_20block_scan_algorithmE0ELj4294967295EEENS1_25partition_config_selectorILNS1_17partition_subalgoE3EjNS0_10empty_typeEbEEZZNS1_14partition_implILS8_3ELb0ES6_jNS0_17counting_iteratorIjlEEPS9_SE_NS0_5tupleIJPjSE_EEENSF_IJSE_SE_EEES9_SG_JZNS1_25segmented_radix_sort_implINS0_14default_configELb1EPK12hip_bfloat16PSL_PKlPlN2at6native12_GLOBAL__N_18offset_tEEE10hipError_tPvRmT1_PNSt15iterator_traitsISZ_E10value_typeET2_T3_PNS10_IS15_E10value_typeET4_jRbjT5_S1B_jjP12ihipStream_tbEUljE_EEESW_SX_SY_S15_S19_S1B_T6_T7_T9_mT8_S1D_bDpT10_ENKUlT_T0_E_clISt17integral_constantIbLb1EES1Q_EEDaS1L_S1M_EUlS1L_E_NS1_11comp_targetILNS1_3genE3ELNS1_11target_archE908ELNS1_3gpuE7ELNS1_3repE0EEENS1_30default_config_static_selectorELNS0_4arch9wavefront6targetE0EEEvSZ_
		.amdhsa_group_segment_fixed_size 0
		.amdhsa_private_segment_fixed_size 0
		.amdhsa_kernarg_size 152
		.amdhsa_user_sgpr_count 2
		.amdhsa_user_sgpr_dispatch_ptr 0
		.amdhsa_user_sgpr_queue_ptr 0
		.amdhsa_user_sgpr_kernarg_segment_ptr 1
		.amdhsa_user_sgpr_dispatch_id 0
		.amdhsa_user_sgpr_private_segment_size 0
		.amdhsa_wavefront_size32 1
		.amdhsa_uses_dynamic_stack 0
		.amdhsa_enable_private_segment 0
		.amdhsa_system_sgpr_workgroup_id_x 1
		.amdhsa_system_sgpr_workgroup_id_y 0
		.amdhsa_system_sgpr_workgroup_id_z 0
		.amdhsa_system_sgpr_workgroup_info 0
		.amdhsa_system_vgpr_workitem_id 0
		.amdhsa_next_free_vgpr 1
		.amdhsa_next_free_sgpr 1
		.amdhsa_reserve_vcc 0
		.amdhsa_float_round_mode_32 0
		.amdhsa_float_round_mode_16_64 0
		.amdhsa_float_denorm_mode_32 3
		.amdhsa_float_denorm_mode_16_64 3
		.amdhsa_fp16_overflow 0
		.amdhsa_workgroup_processor_mode 1
		.amdhsa_memory_ordered 1
		.amdhsa_forward_progress 1
		.amdhsa_inst_pref_size 0
		.amdhsa_round_robin_scheduling 0
		.amdhsa_exception_fp_ieee_invalid_op 0
		.amdhsa_exception_fp_denorm_src 0
		.amdhsa_exception_fp_ieee_div_zero 0
		.amdhsa_exception_fp_ieee_overflow 0
		.amdhsa_exception_fp_ieee_underflow 0
		.amdhsa_exception_fp_ieee_inexact 0
		.amdhsa_exception_int_div_zero 0
	.end_amdhsa_kernel
	.section	.text._ZN7rocprim17ROCPRIM_400000_NS6detail17trampoline_kernelINS0_13select_configILj256ELj13ELNS0_17block_load_methodE3ELS4_3ELS4_3ELNS0_20block_scan_algorithmE0ELj4294967295EEENS1_25partition_config_selectorILNS1_17partition_subalgoE3EjNS0_10empty_typeEbEEZZNS1_14partition_implILS8_3ELb0ES6_jNS0_17counting_iteratorIjlEEPS9_SE_NS0_5tupleIJPjSE_EEENSF_IJSE_SE_EEES9_SG_JZNS1_25segmented_radix_sort_implINS0_14default_configELb1EPK12hip_bfloat16PSL_PKlPlN2at6native12_GLOBAL__N_18offset_tEEE10hipError_tPvRmT1_PNSt15iterator_traitsISZ_E10value_typeET2_T3_PNS10_IS15_E10value_typeET4_jRbjT5_S1B_jjP12ihipStream_tbEUljE_EEESW_SX_SY_S15_S19_S1B_T6_T7_T9_mT8_S1D_bDpT10_ENKUlT_T0_E_clISt17integral_constantIbLb1EES1Q_EEDaS1L_S1M_EUlS1L_E_NS1_11comp_targetILNS1_3genE3ELNS1_11target_archE908ELNS1_3gpuE7ELNS1_3repE0EEENS1_30default_config_static_selectorELNS0_4arch9wavefront6targetE0EEEvSZ_,"axG",@progbits,_ZN7rocprim17ROCPRIM_400000_NS6detail17trampoline_kernelINS0_13select_configILj256ELj13ELNS0_17block_load_methodE3ELS4_3ELS4_3ELNS0_20block_scan_algorithmE0ELj4294967295EEENS1_25partition_config_selectorILNS1_17partition_subalgoE3EjNS0_10empty_typeEbEEZZNS1_14partition_implILS8_3ELb0ES6_jNS0_17counting_iteratorIjlEEPS9_SE_NS0_5tupleIJPjSE_EEENSF_IJSE_SE_EEES9_SG_JZNS1_25segmented_radix_sort_implINS0_14default_configELb1EPK12hip_bfloat16PSL_PKlPlN2at6native12_GLOBAL__N_18offset_tEEE10hipError_tPvRmT1_PNSt15iterator_traitsISZ_E10value_typeET2_T3_PNS10_IS15_E10value_typeET4_jRbjT5_S1B_jjP12ihipStream_tbEUljE_EEESW_SX_SY_S15_S19_S1B_T6_T7_T9_mT8_S1D_bDpT10_ENKUlT_T0_E_clISt17integral_constantIbLb1EES1Q_EEDaS1L_S1M_EUlS1L_E_NS1_11comp_targetILNS1_3genE3ELNS1_11target_archE908ELNS1_3gpuE7ELNS1_3repE0EEENS1_30default_config_static_selectorELNS0_4arch9wavefront6targetE0EEEvSZ_,comdat
.Lfunc_end1925:
	.size	_ZN7rocprim17ROCPRIM_400000_NS6detail17trampoline_kernelINS0_13select_configILj256ELj13ELNS0_17block_load_methodE3ELS4_3ELS4_3ELNS0_20block_scan_algorithmE0ELj4294967295EEENS1_25partition_config_selectorILNS1_17partition_subalgoE3EjNS0_10empty_typeEbEEZZNS1_14partition_implILS8_3ELb0ES6_jNS0_17counting_iteratorIjlEEPS9_SE_NS0_5tupleIJPjSE_EEENSF_IJSE_SE_EEES9_SG_JZNS1_25segmented_radix_sort_implINS0_14default_configELb1EPK12hip_bfloat16PSL_PKlPlN2at6native12_GLOBAL__N_18offset_tEEE10hipError_tPvRmT1_PNSt15iterator_traitsISZ_E10value_typeET2_T3_PNS10_IS15_E10value_typeET4_jRbjT5_S1B_jjP12ihipStream_tbEUljE_EEESW_SX_SY_S15_S19_S1B_T6_T7_T9_mT8_S1D_bDpT10_ENKUlT_T0_E_clISt17integral_constantIbLb1EES1Q_EEDaS1L_S1M_EUlS1L_E_NS1_11comp_targetILNS1_3genE3ELNS1_11target_archE908ELNS1_3gpuE7ELNS1_3repE0EEENS1_30default_config_static_selectorELNS0_4arch9wavefront6targetE0EEEvSZ_, .Lfunc_end1925-_ZN7rocprim17ROCPRIM_400000_NS6detail17trampoline_kernelINS0_13select_configILj256ELj13ELNS0_17block_load_methodE3ELS4_3ELS4_3ELNS0_20block_scan_algorithmE0ELj4294967295EEENS1_25partition_config_selectorILNS1_17partition_subalgoE3EjNS0_10empty_typeEbEEZZNS1_14partition_implILS8_3ELb0ES6_jNS0_17counting_iteratorIjlEEPS9_SE_NS0_5tupleIJPjSE_EEENSF_IJSE_SE_EEES9_SG_JZNS1_25segmented_radix_sort_implINS0_14default_configELb1EPK12hip_bfloat16PSL_PKlPlN2at6native12_GLOBAL__N_18offset_tEEE10hipError_tPvRmT1_PNSt15iterator_traitsISZ_E10value_typeET2_T3_PNS10_IS15_E10value_typeET4_jRbjT5_S1B_jjP12ihipStream_tbEUljE_EEESW_SX_SY_S15_S19_S1B_T6_T7_T9_mT8_S1D_bDpT10_ENKUlT_T0_E_clISt17integral_constantIbLb1EES1Q_EEDaS1L_S1M_EUlS1L_E_NS1_11comp_targetILNS1_3genE3ELNS1_11target_archE908ELNS1_3gpuE7ELNS1_3repE0EEENS1_30default_config_static_selectorELNS0_4arch9wavefront6targetE0EEEvSZ_
                                        ; -- End function
	.set _ZN7rocprim17ROCPRIM_400000_NS6detail17trampoline_kernelINS0_13select_configILj256ELj13ELNS0_17block_load_methodE3ELS4_3ELS4_3ELNS0_20block_scan_algorithmE0ELj4294967295EEENS1_25partition_config_selectorILNS1_17partition_subalgoE3EjNS0_10empty_typeEbEEZZNS1_14partition_implILS8_3ELb0ES6_jNS0_17counting_iteratorIjlEEPS9_SE_NS0_5tupleIJPjSE_EEENSF_IJSE_SE_EEES9_SG_JZNS1_25segmented_radix_sort_implINS0_14default_configELb1EPK12hip_bfloat16PSL_PKlPlN2at6native12_GLOBAL__N_18offset_tEEE10hipError_tPvRmT1_PNSt15iterator_traitsISZ_E10value_typeET2_T3_PNS10_IS15_E10value_typeET4_jRbjT5_S1B_jjP12ihipStream_tbEUljE_EEESW_SX_SY_S15_S19_S1B_T6_T7_T9_mT8_S1D_bDpT10_ENKUlT_T0_E_clISt17integral_constantIbLb1EES1Q_EEDaS1L_S1M_EUlS1L_E_NS1_11comp_targetILNS1_3genE3ELNS1_11target_archE908ELNS1_3gpuE7ELNS1_3repE0EEENS1_30default_config_static_selectorELNS0_4arch9wavefront6targetE0EEEvSZ_.num_vgpr, 0
	.set _ZN7rocprim17ROCPRIM_400000_NS6detail17trampoline_kernelINS0_13select_configILj256ELj13ELNS0_17block_load_methodE3ELS4_3ELS4_3ELNS0_20block_scan_algorithmE0ELj4294967295EEENS1_25partition_config_selectorILNS1_17partition_subalgoE3EjNS0_10empty_typeEbEEZZNS1_14partition_implILS8_3ELb0ES6_jNS0_17counting_iteratorIjlEEPS9_SE_NS0_5tupleIJPjSE_EEENSF_IJSE_SE_EEES9_SG_JZNS1_25segmented_radix_sort_implINS0_14default_configELb1EPK12hip_bfloat16PSL_PKlPlN2at6native12_GLOBAL__N_18offset_tEEE10hipError_tPvRmT1_PNSt15iterator_traitsISZ_E10value_typeET2_T3_PNS10_IS15_E10value_typeET4_jRbjT5_S1B_jjP12ihipStream_tbEUljE_EEESW_SX_SY_S15_S19_S1B_T6_T7_T9_mT8_S1D_bDpT10_ENKUlT_T0_E_clISt17integral_constantIbLb1EES1Q_EEDaS1L_S1M_EUlS1L_E_NS1_11comp_targetILNS1_3genE3ELNS1_11target_archE908ELNS1_3gpuE7ELNS1_3repE0EEENS1_30default_config_static_selectorELNS0_4arch9wavefront6targetE0EEEvSZ_.num_agpr, 0
	.set _ZN7rocprim17ROCPRIM_400000_NS6detail17trampoline_kernelINS0_13select_configILj256ELj13ELNS0_17block_load_methodE3ELS4_3ELS4_3ELNS0_20block_scan_algorithmE0ELj4294967295EEENS1_25partition_config_selectorILNS1_17partition_subalgoE3EjNS0_10empty_typeEbEEZZNS1_14partition_implILS8_3ELb0ES6_jNS0_17counting_iteratorIjlEEPS9_SE_NS0_5tupleIJPjSE_EEENSF_IJSE_SE_EEES9_SG_JZNS1_25segmented_radix_sort_implINS0_14default_configELb1EPK12hip_bfloat16PSL_PKlPlN2at6native12_GLOBAL__N_18offset_tEEE10hipError_tPvRmT1_PNSt15iterator_traitsISZ_E10value_typeET2_T3_PNS10_IS15_E10value_typeET4_jRbjT5_S1B_jjP12ihipStream_tbEUljE_EEESW_SX_SY_S15_S19_S1B_T6_T7_T9_mT8_S1D_bDpT10_ENKUlT_T0_E_clISt17integral_constantIbLb1EES1Q_EEDaS1L_S1M_EUlS1L_E_NS1_11comp_targetILNS1_3genE3ELNS1_11target_archE908ELNS1_3gpuE7ELNS1_3repE0EEENS1_30default_config_static_selectorELNS0_4arch9wavefront6targetE0EEEvSZ_.numbered_sgpr, 0
	.set _ZN7rocprim17ROCPRIM_400000_NS6detail17trampoline_kernelINS0_13select_configILj256ELj13ELNS0_17block_load_methodE3ELS4_3ELS4_3ELNS0_20block_scan_algorithmE0ELj4294967295EEENS1_25partition_config_selectorILNS1_17partition_subalgoE3EjNS0_10empty_typeEbEEZZNS1_14partition_implILS8_3ELb0ES6_jNS0_17counting_iteratorIjlEEPS9_SE_NS0_5tupleIJPjSE_EEENSF_IJSE_SE_EEES9_SG_JZNS1_25segmented_radix_sort_implINS0_14default_configELb1EPK12hip_bfloat16PSL_PKlPlN2at6native12_GLOBAL__N_18offset_tEEE10hipError_tPvRmT1_PNSt15iterator_traitsISZ_E10value_typeET2_T3_PNS10_IS15_E10value_typeET4_jRbjT5_S1B_jjP12ihipStream_tbEUljE_EEESW_SX_SY_S15_S19_S1B_T6_T7_T9_mT8_S1D_bDpT10_ENKUlT_T0_E_clISt17integral_constantIbLb1EES1Q_EEDaS1L_S1M_EUlS1L_E_NS1_11comp_targetILNS1_3genE3ELNS1_11target_archE908ELNS1_3gpuE7ELNS1_3repE0EEENS1_30default_config_static_selectorELNS0_4arch9wavefront6targetE0EEEvSZ_.num_named_barrier, 0
	.set _ZN7rocprim17ROCPRIM_400000_NS6detail17trampoline_kernelINS0_13select_configILj256ELj13ELNS0_17block_load_methodE3ELS4_3ELS4_3ELNS0_20block_scan_algorithmE0ELj4294967295EEENS1_25partition_config_selectorILNS1_17partition_subalgoE3EjNS0_10empty_typeEbEEZZNS1_14partition_implILS8_3ELb0ES6_jNS0_17counting_iteratorIjlEEPS9_SE_NS0_5tupleIJPjSE_EEENSF_IJSE_SE_EEES9_SG_JZNS1_25segmented_radix_sort_implINS0_14default_configELb1EPK12hip_bfloat16PSL_PKlPlN2at6native12_GLOBAL__N_18offset_tEEE10hipError_tPvRmT1_PNSt15iterator_traitsISZ_E10value_typeET2_T3_PNS10_IS15_E10value_typeET4_jRbjT5_S1B_jjP12ihipStream_tbEUljE_EEESW_SX_SY_S15_S19_S1B_T6_T7_T9_mT8_S1D_bDpT10_ENKUlT_T0_E_clISt17integral_constantIbLb1EES1Q_EEDaS1L_S1M_EUlS1L_E_NS1_11comp_targetILNS1_3genE3ELNS1_11target_archE908ELNS1_3gpuE7ELNS1_3repE0EEENS1_30default_config_static_selectorELNS0_4arch9wavefront6targetE0EEEvSZ_.private_seg_size, 0
	.set _ZN7rocprim17ROCPRIM_400000_NS6detail17trampoline_kernelINS0_13select_configILj256ELj13ELNS0_17block_load_methodE3ELS4_3ELS4_3ELNS0_20block_scan_algorithmE0ELj4294967295EEENS1_25partition_config_selectorILNS1_17partition_subalgoE3EjNS0_10empty_typeEbEEZZNS1_14partition_implILS8_3ELb0ES6_jNS0_17counting_iteratorIjlEEPS9_SE_NS0_5tupleIJPjSE_EEENSF_IJSE_SE_EEES9_SG_JZNS1_25segmented_radix_sort_implINS0_14default_configELb1EPK12hip_bfloat16PSL_PKlPlN2at6native12_GLOBAL__N_18offset_tEEE10hipError_tPvRmT1_PNSt15iterator_traitsISZ_E10value_typeET2_T3_PNS10_IS15_E10value_typeET4_jRbjT5_S1B_jjP12ihipStream_tbEUljE_EEESW_SX_SY_S15_S19_S1B_T6_T7_T9_mT8_S1D_bDpT10_ENKUlT_T0_E_clISt17integral_constantIbLb1EES1Q_EEDaS1L_S1M_EUlS1L_E_NS1_11comp_targetILNS1_3genE3ELNS1_11target_archE908ELNS1_3gpuE7ELNS1_3repE0EEENS1_30default_config_static_selectorELNS0_4arch9wavefront6targetE0EEEvSZ_.uses_vcc, 0
	.set _ZN7rocprim17ROCPRIM_400000_NS6detail17trampoline_kernelINS0_13select_configILj256ELj13ELNS0_17block_load_methodE3ELS4_3ELS4_3ELNS0_20block_scan_algorithmE0ELj4294967295EEENS1_25partition_config_selectorILNS1_17partition_subalgoE3EjNS0_10empty_typeEbEEZZNS1_14partition_implILS8_3ELb0ES6_jNS0_17counting_iteratorIjlEEPS9_SE_NS0_5tupleIJPjSE_EEENSF_IJSE_SE_EEES9_SG_JZNS1_25segmented_radix_sort_implINS0_14default_configELb1EPK12hip_bfloat16PSL_PKlPlN2at6native12_GLOBAL__N_18offset_tEEE10hipError_tPvRmT1_PNSt15iterator_traitsISZ_E10value_typeET2_T3_PNS10_IS15_E10value_typeET4_jRbjT5_S1B_jjP12ihipStream_tbEUljE_EEESW_SX_SY_S15_S19_S1B_T6_T7_T9_mT8_S1D_bDpT10_ENKUlT_T0_E_clISt17integral_constantIbLb1EES1Q_EEDaS1L_S1M_EUlS1L_E_NS1_11comp_targetILNS1_3genE3ELNS1_11target_archE908ELNS1_3gpuE7ELNS1_3repE0EEENS1_30default_config_static_selectorELNS0_4arch9wavefront6targetE0EEEvSZ_.uses_flat_scratch, 0
	.set _ZN7rocprim17ROCPRIM_400000_NS6detail17trampoline_kernelINS0_13select_configILj256ELj13ELNS0_17block_load_methodE3ELS4_3ELS4_3ELNS0_20block_scan_algorithmE0ELj4294967295EEENS1_25partition_config_selectorILNS1_17partition_subalgoE3EjNS0_10empty_typeEbEEZZNS1_14partition_implILS8_3ELb0ES6_jNS0_17counting_iteratorIjlEEPS9_SE_NS0_5tupleIJPjSE_EEENSF_IJSE_SE_EEES9_SG_JZNS1_25segmented_radix_sort_implINS0_14default_configELb1EPK12hip_bfloat16PSL_PKlPlN2at6native12_GLOBAL__N_18offset_tEEE10hipError_tPvRmT1_PNSt15iterator_traitsISZ_E10value_typeET2_T3_PNS10_IS15_E10value_typeET4_jRbjT5_S1B_jjP12ihipStream_tbEUljE_EEESW_SX_SY_S15_S19_S1B_T6_T7_T9_mT8_S1D_bDpT10_ENKUlT_T0_E_clISt17integral_constantIbLb1EES1Q_EEDaS1L_S1M_EUlS1L_E_NS1_11comp_targetILNS1_3genE3ELNS1_11target_archE908ELNS1_3gpuE7ELNS1_3repE0EEENS1_30default_config_static_selectorELNS0_4arch9wavefront6targetE0EEEvSZ_.has_dyn_sized_stack, 0
	.set _ZN7rocprim17ROCPRIM_400000_NS6detail17trampoline_kernelINS0_13select_configILj256ELj13ELNS0_17block_load_methodE3ELS4_3ELS4_3ELNS0_20block_scan_algorithmE0ELj4294967295EEENS1_25partition_config_selectorILNS1_17partition_subalgoE3EjNS0_10empty_typeEbEEZZNS1_14partition_implILS8_3ELb0ES6_jNS0_17counting_iteratorIjlEEPS9_SE_NS0_5tupleIJPjSE_EEENSF_IJSE_SE_EEES9_SG_JZNS1_25segmented_radix_sort_implINS0_14default_configELb1EPK12hip_bfloat16PSL_PKlPlN2at6native12_GLOBAL__N_18offset_tEEE10hipError_tPvRmT1_PNSt15iterator_traitsISZ_E10value_typeET2_T3_PNS10_IS15_E10value_typeET4_jRbjT5_S1B_jjP12ihipStream_tbEUljE_EEESW_SX_SY_S15_S19_S1B_T6_T7_T9_mT8_S1D_bDpT10_ENKUlT_T0_E_clISt17integral_constantIbLb1EES1Q_EEDaS1L_S1M_EUlS1L_E_NS1_11comp_targetILNS1_3genE3ELNS1_11target_archE908ELNS1_3gpuE7ELNS1_3repE0EEENS1_30default_config_static_selectorELNS0_4arch9wavefront6targetE0EEEvSZ_.has_recursion, 0
	.set _ZN7rocprim17ROCPRIM_400000_NS6detail17trampoline_kernelINS0_13select_configILj256ELj13ELNS0_17block_load_methodE3ELS4_3ELS4_3ELNS0_20block_scan_algorithmE0ELj4294967295EEENS1_25partition_config_selectorILNS1_17partition_subalgoE3EjNS0_10empty_typeEbEEZZNS1_14partition_implILS8_3ELb0ES6_jNS0_17counting_iteratorIjlEEPS9_SE_NS0_5tupleIJPjSE_EEENSF_IJSE_SE_EEES9_SG_JZNS1_25segmented_radix_sort_implINS0_14default_configELb1EPK12hip_bfloat16PSL_PKlPlN2at6native12_GLOBAL__N_18offset_tEEE10hipError_tPvRmT1_PNSt15iterator_traitsISZ_E10value_typeET2_T3_PNS10_IS15_E10value_typeET4_jRbjT5_S1B_jjP12ihipStream_tbEUljE_EEESW_SX_SY_S15_S19_S1B_T6_T7_T9_mT8_S1D_bDpT10_ENKUlT_T0_E_clISt17integral_constantIbLb1EES1Q_EEDaS1L_S1M_EUlS1L_E_NS1_11comp_targetILNS1_3genE3ELNS1_11target_archE908ELNS1_3gpuE7ELNS1_3repE0EEENS1_30default_config_static_selectorELNS0_4arch9wavefront6targetE0EEEvSZ_.has_indirect_call, 0
	.section	.AMDGPU.csdata,"",@progbits
; Kernel info:
; codeLenInByte = 0
; TotalNumSgprs: 0
; NumVgprs: 0
; ScratchSize: 0
; MemoryBound: 0
; FloatMode: 240
; IeeeMode: 1
; LDSByteSize: 0 bytes/workgroup (compile time only)
; SGPRBlocks: 0
; VGPRBlocks: 0
; NumSGPRsForWavesPerEU: 1
; NumVGPRsForWavesPerEU: 1
; Occupancy: 16
; WaveLimiterHint : 0
; COMPUTE_PGM_RSRC2:SCRATCH_EN: 0
; COMPUTE_PGM_RSRC2:USER_SGPR: 2
; COMPUTE_PGM_RSRC2:TRAP_HANDLER: 0
; COMPUTE_PGM_RSRC2:TGID_X_EN: 1
; COMPUTE_PGM_RSRC2:TGID_Y_EN: 0
; COMPUTE_PGM_RSRC2:TGID_Z_EN: 0
; COMPUTE_PGM_RSRC2:TIDIG_COMP_CNT: 0
	.section	.text._ZN7rocprim17ROCPRIM_400000_NS6detail17trampoline_kernelINS0_13select_configILj256ELj13ELNS0_17block_load_methodE3ELS4_3ELS4_3ELNS0_20block_scan_algorithmE0ELj4294967295EEENS1_25partition_config_selectorILNS1_17partition_subalgoE3EjNS0_10empty_typeEbEEZZNS1_14partition_implILS8_3ELb0ES6_jNS0_17counting_iteratorIjlEEPS9_SE_NS0_5tupleIJPjSE_EEENSF_IJSE_SE_EEES9_SG_JZNS1_25segmented_radix_sort_implINS0_14default_configELb1EPK12hip_bfloat16PSL_PKlPlN2at6native12_GLOBAL__N_18offset_tEEE10hipError_tPvRmT1_PNSt15iterator_traitsISZ_E10value_typeET2_T3_PNS10_IS15_E10value_typeET4_jRbjT5_S1B_jjP12ihipStream_tbEUljE_EEESW_SX_SY_S15_S19_S1B_T6_T7_T9_mT8_S1D_bDpT10_ENKUlT_T0_E_clISt17integral_constantIbLb1EES1Q_EEDaS1L_S1M_EUlS1L_E_NS1_11comp_targetILNS1_3genE2ELNS1_11target_archE906ELNS1_3gpuE6ELNS1_3repE0EEENS1_30default_config_static_selectorELNS0_4arch9wavefront6targetE0EEEvSZ_,"axG",@progbits,_ZN7rocprim17ROCPRIM_400000_NS6detail17trampoline_kernelINS0_13select_configILj256ELj13ELNS0_17block_load_methodE3ELS4_3ELS4_3ELNS0_20block_scan_algorithmE0ELj4294967295EEENS1_25partition_config_selectorILNS1_17partition_subalgoE3EjNS0_10empty_typeEbEEZZNS1_14partition_implILS8_3ELb0ES6_jNS0_17counting_iteratorIjlEEPS9_SE_NS0_5tupleIJPjSE_EEENSF_IJSE_SE_EEES9_SG_JZNS1_25segmented_radix_sort_implINS0_14default_configELb1EPK12hip_bfloat16PSL_PKlPlN2at6native12_GLOBAL__N_18offset_tEEE10hipError_tPvRmT1_PNSt15iterator_traitsISZ_E10value_typeET2_T3_PNS10_IS15_E10value_typeET4_jRbjT5_S1B_jjP12ihipStream_tbEUljE_EEESW_SX_SY_S15_S19_S1B_T6_T7_T9_mT8_S1D_bDpT10_ENKUlT_T0_E_clISt17integral_constantIbLb1EES1Q_EEDaS1L_S1M_EUlS1L_E_NS1_11comp_targetILNS1_3genE2ELNS1_11target_archE906ELNS1_3gpuE6ELNS1_3repE0EEENS1_30default_config_static_selectorELNS0_4arch9wavefront6targetE0EEEvSZ_,comdat
	.globl	_ZN7rocprim17ROCPRIM_400000_NS6detail17trampoline_kernelINS0_13select_configILj256ELj13ELNS0_17block_load_methodE3ELS4_3ELS4_3ELNS0_20block_scan_algorithmE0ELj4294967295EEENS1_25partition_config_selectorILNS1_17partition_subalgoE3EjNS0_10empty_typeEbEEZZNS1_14partition_implILS8_3ELb0ES6_jNS0_17counting_iteratorIjlEEPS9_SE_NS0_5tupleIJPjSE_EEENSF_IJSE_SE_EEES9_SG_JZNS1_25segmented_radix_sort_implINS0_14default_configELb1EPK12hip_bfloat16PSL_PKlPlN2at6native12_GLOBAL__N_18offset_tEEE10hipError_tPvRmT1_PNSt15iterator_traitsISZ_E10value_typeET2_T3_PNS10_IS15_E10value_typeET4_jRbjT5_S1B_jjP12ihipStream_tbEUljE_EEESW_SX_SY_S15_S19_S1B_T6_T7_T9_mT8_S1D_bDpT10_ENKUlT_T0_E_clISt17integral_constantIbLb1EES1Q_EEDaS1L_S1M_EUlS1L_E_NS1_11comp_targetILNS1_3genE2ELNS1_11target_archE906ELNS1_3gpuE6ELNS1_3repE0EEENS1_30default_config_static_selectorELNS0_4arch9wavefront6targetE0EEEvSZ_ ; -- Begin function _ZN7rocprim17ROCPRIM_400000_NS6detail17trampoline_kernelINS0_13select_configILj256ELj13ELNS0_17block_load_methodE3ELS4_3ELS4_3ELNS0_20block_scan_algorithmE0ELj4294967295EEENS1_25partition_config_selectorILNS1_17partition_subalgoE3EjNS0_10empty_typeEbEEZZNS1_14partition_implILS8_3ELb0ES6_jNS0_17counting_iteratorIjlEEPS9_SE_NS0_5tupleIJPjSE_EEENSF_IJSE_SE_EEES9_SG_JZNS1_25segmented_radix_sort_implINS0_14default_configELb1EPK12hip_bfloat16PSL_PKlPlN2at6native12_GLOBAL__N_18offset_tEEE10hipError_tPvRmT1_PNSt15iterator_traitsISZ_E10value_typeET2_T3_PNS10_IS15_E10value_typeET4_jRbjT5_S1B_jjP12ihipStream_tbEUljE_EEESW_SX_SY_S15_S19_S1B_T6_T7_T9_mT8_S1D_bDpT10_ENKUlT_T0_E_clISt17integral_constantIbLb1EES1Q_EEDaS1L_S1M_EUlS1L_E_NS1_11comp_targetILNS1_3genE2ELNS1_11target_archE906ELNS1_3gpuE6ELNS1_3repE0EEENS1_30default_config_static_selectorELNS0_4arch9wavefront6targetE0EEEvSZ_
	.p2align	8
	.type	_ZN7rocprim17ROCPRIM_400000_NS6detail17trampoline_kernelINS0_13select_configILj256ELj13ELNS0_17block_load_methodE3ELS4_3ELS4_3ELNS0_20block_scan_algorithmE0ELj4294967295EEENS1_25partition_config_selectorILNS1_17partition_subalgoE3EjNS0_10empty_typeEbEEZZNS1_14partition_implILS8_3ELb0ES6_jNS0_17counting_iteratorIjlEEPS9_SE_NS0_5tupleIJPjSE_EEENSF_IJSE_SE_EEES9_SG_JZNS1_25segmented_radix_sort_implINS0_14default_configELb1EPK12hip_bfloat16PSL_PKlPlN2at6native12_GLOBAL__N_18offset_tEEE10hipError_tPvRmT1_PNSt15iterator_traitsISZ_E10value_typeET2_T3_PNS10_IS15_E10value_typeET4_jRbjT5_S1B_jjP12ihipStream_tbEUljE_EEESW_SX_SY_S15_S19_S1B_T6_T7_T9_mT8_S1D_bDpT10_ENKUlT_T0_E_clISt17integral_constantIbLb1EES1Q_EEDaS1L_S1M_EUlS1L_E_NS1_11comp_targetILNS1_3genE2ELNS1_11target_archE906ELNS1_3gpuE6ELNS1_3repE0EEENS1_30default_config_static_selectorELNS0_4arch9wavefront6targetE0EEEvSZ_,@function
_ZN7rocprim17ROCPRIM_400000_NS6detail17trampoline_kernelINS0_13select_configILj256ELj13ELNS0_17block_load_methodE3ELS4_3ELS4_3ELNS0_20block_scan_algorithmE0ELj4294967295EEENS1_25partition_config_selectorILNS1_17partition_subalgoE3EjNS0_10empty_typeEbEEZZNS1_14partition_implILS8_3ELb0ES6_jNS0_17counting_iteratorIjlEEPS9_SE_NS0_5tupleIJPjSE_EEENSF_IJSE_SE_EEES9_SG_JZNS1_25segmented_radix_sort_implINS0_14default_configELb1EPK12hip_bfloat16PSL_PKlPlN2at6native12_GLOBAL__N_18offset_tEEE10hipError_tPvRmT1_PNSt15iterator_traitsISZ_E10value_typeET2_T3_PNS10_IS15_E10value_typeET4_jRbjT5_S1B_jjP12ihipStream_tbEUljE_EEESW_SX_SY_S15_S19_S1B_T6_T7_T9_mT8_S1D_bDpT10_ENKUlT_T0_E_clISt17integral_constantIbLb1EES1Q_EEDaS1L_S1M_EUlS1L_E_NS1_11comp_targetILNS1_3genE2ELNS1_11target_archE906ELNS1_3gpuE6ELNS1_3repE0EEENS1_30default_config_static_selectorELNS0_4arch9wavefront6targetE0EEEvSZ_: ; @_ZN7rocprim17ROCPRIM_400000_NS6detail17trampoline_kernelINS0_13select_configILj256ELj13ELNS0_17block_load_methodE3ELS4_3ELS4_3ELNS0_20block_scan_algorithmE0ELj4294967295EEENS1_25partition_config_selectorILNS1_17partition_subalgoE3EjNS0_10empty_typeEbEEZZNS1_14partition_implILS8_3ELb0ES6_jNS0_17counting_iteratorIjlEEPS9_SE_NS0_5tupleIJPjSE_EEENSF_IJSE_SE_EEES9_SG_JZNS1_25segmented_radix_sort_implINS0_14default_configELb1EPK12hip_bfloat16PSL_PKlPlN2at6native12_GLOBAL__N_18offset_tEEE10hipError_tPvRmT1_PNSt15iterator_traitsISZ_E10value_typeET2_T3_PNS10_IS15_E10value_typeET4_jRbjT5_S1B_jjP12ihipStream_tbEUljE_EEESW_SX_SY_S15_S19_S1B_T6_T7_T9_mT8_S1D_bDpT10_ENKUlT_T0_E_clISt17integral_constantIbLb1EES1Q_EEDaS1L_S1M_EUlS1L_E_NS1_11comp_targetILNS1_3genE2ELNS1_11target_archE906ELNS1_3gpuE6ELNS1_3repE0EEENS1_30default_config_static_selectorELNS0_4arch9wavefront6targetE0EEEvSZ_
; %bb.0:
	.section	.rodata,"a",@progbits
	.p2align	6, 0x0
	.amdhsa_kernel _ZN7rocprim17ROCPRIM_400000_NS6detail17trampoline_kernelINS0_13select_configILj256ELj13ELNS0_17block_load_methodE3ELS4_3ELS4_3ELNS0_20block_scan_algorithmE0ELj4294967295EEENS1_25partition_config_selectorILNS1_17partition_subalgoE3EjNS0_10empty_typeEbEEZZNS1_14partition_implILS8_3ELb0ES6_jNS0_17counting_iteratorIjlEEPS9_SE_NS0_5tupleIJPjSE_EEENSF_IJSE_SE_EEES9_SG_JZNS1_25segmented_radix_sort_implINS0_14default_configELb1EPK12hip_bfloat16PSL_PKlPlN2at6native12_GLOBAL__N_18offset_tEEE10hipError_tPvRmT1_PNSt15iterator_traitsISZ_E10value_typeET2_T3_PNS10_IS15_E10value_typeET4_jRbjT5_S1B_jjP12ihipStream_tbEUljE_EEESW_SX_SY_S15_S19_S1B_T6_T7_T9_mT8_S1D_bDpT10_ENKUlT_T0_E_clISt17integral_constantIbLb1EES1Q_EEDaS1L_S1M_EUlS1L_E_NS1_11comp_targetILNS1_3genE2ELNS1_11target_archE906ELNS1_3gpuE6ELNS1_3repE0EEENS1_30default_config_static_selectorELNS0_4arch9wavefront6targetE0EEEvSZ_
		.amdhsa_group_segment_fixed_size 0
		.amdhsa_private_segment_fixed_size 0
		.amdhsa_kernarg_size 152
		.amdhsa_user_sgpr_count 2
		.amdhsa_user_sgpr_dispatch_ptr 0
		.amdhsa_user_sgpr_queue_ptr 0
		.amdhsa_user_sgpr_kernarg_segment_ptr 1
		.amdhsa_user_sgpr_dispatch_id 0
		.amdhsa_user_sgpr_private_segment_size 0
		.amdhsa_wavefront_size32 1
		.amdhsa_uses_dynamic_stack 0
		.amdhsa_enable_private_segment 0
		.amdhsa_system_sgpr_workgroup_id_x 1
		.amdhsa_system_sgpr_workgroup_id_y 0
		.amdhsa_system_sgpr_workgroup_id_z 0
		.amdhsa_system_sgpr_workgroup_info 0
		.amdhsa_system_vgpr_workitem_id 0
		.amdhsa_next_free_vgpr 1
		.amdhsa_next_free_sgpr 1
		.amdhsa_reserve_vcc 0
		.amdhsa_float_round_mode_32 0
		.amdhsa_float_round_mode_16_64 0
		.amdhsa_float_denorm_mode_32 3
		.amdhsa_float_denorm_mode_16_64 3
		.amdhsa_fp16_overflow 0
		.amdhsa_workgroup_processor_mode 1
		.amdhsa_memory_ordered 1
		.amdhsa_forward_progress 1
		.amdhsa_inst_pref_size 0
		.amdhsa_round_robin_scheduling 0
		.amdhsa_exception_fp_ieee_invalid_op 0
		.amdhsa_exception_fp_denorm_src 0
		.amdhsa_exception_fp_ieee_div_zero 0
		.amdhsa_exception_fp_ieee_overflow 0
		.amdhsa_exception_fp_ieee_underflow 0
		.amdhsa_exception_fp_ieee_inexact 0
		.amdhsa_exception_int_div_zero 0
	.end_amdhsa_kernel
	.section	.text._ZN7rocprim17ROCPRIM_400000_NS6detail17trampoline_kernelINS0_13select_configILj256ELj13ELNS0_17block_load_methodE3ELS4_3ELS4_3ELNS0_20block_scan_algorithmE0ELj4294967295EEENS1_25partition_config_selectorILNS1_17partition_subalgoE3EjNS0_10empty_typeEbEEZZNS1_14partition_implILS8_3ELb0ES6_jNS0_17counting_iteratorIjlEEPS9_SE_NS0_5tupleIJPjSE_EEENSF_IJSE_SE_EEES9_SG_JZNS1_25segmented_radix_sort_implINS0_14default_configELb1EPK12hip_bfloat16PSL_PKlPlN2at6native12_GLOBAL__N_18offset_tEEE10hipError_tPvRmT1_PNSt15iterator_traitsISZ_E10value_typeET2_T3_PNS10_IS15_E10value_typeET4_jRbjT5_S1B_jjP12ihipStream_tbEUljE_EEESW_SX_SY_S15_S19_S1B_T6_T7_T9_mT8_S1D_bDpT10_ENKUlT_T0_E_clISt17integral_constantIbLb1EES1Q_EEDaS1L_S1M_EUlS1L_E_NS1_11comp_targetILNS1_3genE2ELNS1_11target_archE906ELNS1_3gpuE6ELNS1_3repE0EEENS1_30default_config_static_selectorELNS0_4arch9wavefront6targetE0EEEvSZ_,"axG",@progbits,_ZN7rocprim17ROCPRIM_400000_NS6detail17trampoline_kernelINS0_13select_configILj256ELj13ELNS0_17block_load_methodE3ELS4_3ELS4_3ELNS0_20block_scan_algorithmE0ELj4294967295EEENS1_25partition_config_selectorILNS1_17partition_subalgoE3EjNS0_10empty_typeEbEEZZNS1_14partition_implILS8_3ELb0ES6_jNS0_17counting_iteratorIjlEEPS9_SE_NS0_5tupleIJPjSE_EEENSF_IJSE_SE_EEES9_SG_JZNS1_25segmented_radix_sort_implINS0_14default_configELb1EPK12hip_bfloat16PSL_PKlPlN2at6native12_GLOBAL__N_18offset_tEEE10hipError_tPvRmT1_PNSt15iterator_traitsISZ_E10value_typeET2_T3_PNS10_IS15_E10value_typeET4_jRbjT5_S1B_jjP12ihipStream_tbEUljE_EEESW_SX_SY_S15_S19_S1B_T6_T7_T9_mT8_S1D_bDpT10_ENKUlT_T0_E_clISt17integral_constantIbLb1EES1Q_EEDaS1L_S1M_EUlS1L_E_NS1_11comp_targetILNS1_3genE2ELNS1_11target_archE906ELNS1_3gpuE6ELNS1_3repE0EEENS1_30default_config_static_selectorELNS0_4arch9wavefront6targetE0EEEvSZ_,comdat
.Lfunc_end1926:
	.size	_ZN7rocprim17ROCPRIM_400000_NS6detail17trampoline_kernelINS0_13select_configILj256ELj13ELNS0_17block_load_methodE3ELS4_3ELS4_3ELNS0_20block_scan_algorithmE0ELj4294967295EEENS1_25partition_config_selectorILNS1_17partition_subalgoE3EjNS0_10empty_typeEbEEZZNS1_14partition_implILS8_3ELb0ES6_jNS0_17counting_iteratorIjlEEPS9_SE_NS0_5tupleIJPjSE_EEENSF_IJSE_SE_EEES9_SG_JZNS1_25segmented_radix_sort_implINS0_14default_configELb1EPK12hip_bfloat16PSL_PKlPlN2at6native12_GLOBAL__N_18offset_tEEE10hipError_tPvRmT1_PNSt15iterator_traitsISZ_E10value_typeET2_T3_PNS10_IS15_E10value_typeET4_jRbjT5_S1B_jjP12ihipStream_tbEUljE_EEESW_SX_SY_S15_S19_S1B_T6_T7_T9_mT8_S1D_bDpT10_ENKUlT_T0_E_clISt17integral_constantIbLb1EES1Q_EEDaS1L_S1M_EUlS1L_E_NS1_11comp_targetILNS1_3genE2ELNS1_11target_archE906ELNS1_3gpuE6ELNS1_3repE0EEENS1_30default_config_static_selectorELNS0_4arch9wavefront6targetE0EEEvSZ_, .Lfunc_end1926-_ZN7rocprim17ROCPRIM_400000_NS6detail17trampoline_kernelINS0_13select_configILj256ELj13ELNS0_17block_load_methodE3ELS4_3ELS4_3ELNS0_20block_scan_algorithmE0ELj4294967295EEENS1_25partition_config_selectorILNS1_17partition_subalgoE3EjNS0_10empty_typeEbEEZZNS1_14partition_implILS8_3ELb0ES6_jNS0_17counting_iteratorIjlEEPS9_SE_NS0_5tupleIJPjSE_EEENSF_IJSE_SE_EEES9_SG_JZNS1_25segmented_radix_sort_implINS0_14default_configELb1EPK12hip_bfloat16PSL_PKlPlN2at6native12_GLOBAL__N_18offset_tEEE10hipError_tPvRmT1_PNSt15iterator_traitsISZ_E10value_typeET2_T3_PNS10_IS15_E10value_typeET4_jRbjT5_S1B_jjP12ihipStream_tbEUljE_EEESW_SX_SY_S15_S19_S1B_T6_T7_T9_mT8_S1D_bDpT10_ENKUlT_T0_E_clISt17integral_constantIbLb1EES1Q_EEDaS1L_S1M_EUlS1L_E_NS1_11comp_targetILNS1_3genE2ELNS1_11target_archE906ELNS1_3gpuE6ELNS1_3repE0EEENS1_30default_config_static_selectorELNS0_4arch9wavefront6targetE0EEEvSZ_
                                        ; -- End function
	.set _ZN7rocprim17ROCPRIM_400000_NS6detail17trampoline_kernelINS0_13select_configILj256ELj13ELNS0_17block_load_methodE3ELS4_3ELS4_3ELNS0_20block_scan_algorithmE0ELj4294967295EEENS1_25partition_config_selectorILNS1_17partition_subalgoE3EjNS0_10empty_typeEbEEZZNS1_14partition_implILS8_3ELb0ES6_jNS0_17counting_iteratorIjlEEPS9_SE_NS0_5tupleIJPjSE_EEENSF_IJSE_SE_EEES9_SG_JZNS1_25segmented_radix_sort_implINS0_14default_configELb1EPK12hip_bfloat16PSL_PKlPlN2at6native12_GLOBAL__N_18offset_tEEE10hipError_tPvRmT1_PNSt15iterator_traitsISZ_E10value_typeET2_T3_PNS10_IS15_E10value_typeET4_jRbjT5_S1B_jjP12ihipStream_tbEUljE_EEESW_SX_SY_S15_S19_S1B_T6_T7_T9_mT8_S1D_bDpT10_ENKUlT_T0_E_clISt17integral_constantIbLb1EES1Q_EEDaS1L_S1M_EUlS1L_E_NS1_11comp_targetILNS1_3genE2ELNS1_11target_archE906ELNS1_3gpuE6ELNS1_3repE0EEENS1_30default_config_static_selectorELNS0_4arch9wavefront6targetE0EEEvSZ_.num_vgpr, 0
	.set _ZN7rocprim17ROCPRIM_400000_NS6detail17trampoline_kernelINS0_13select_configILj256ELj13ELNS0_17block_load_methodE3ELS4_3ELS4_3ELNS0_20block_scan_algorithmE0ELj4294967295EEENS1_25partition_config_selectorILNS1_17partition_subalgoE3EjNS0_10empty_typeEbEEZZNS1_14partition_implILS8_3ELb0ES6_jNS0_17counting_iteratorIjlEEPS9_SE_NS0_5tupleIJPjSE_EEENSF_IJSE_SE_EEES9_SG_JZNS1_25segmented_radix_sort_implINS0_14default_configELb1EPK12hip_bfloat16PSL_PKlPlN2at6native12_GLOBAL__N_18offset_tEEE10hipError_tPvRmT1_PNSt15iterator_traitsISZ_E10value_typeET2_T3_PNS10_IS15_E10value_typeET4_jRbjT5_S1B_jjP12ihipStream_tbEUljE_EEESW_SX_SY_S15_S19_S1B_T6_T7_T9_mT8_S1D_bDpT10_ENKUlT_T0_E_clISt17integral_constantIbLb1EES1Q_EEDaS1L_S1M_EUlS1L_E_NS1_11comp_targetILNS1_3genE2ELNS1_11target_archE906ELNS1_3gpuE6ELNS1_3repE0EEENS1_30default_config_static_selectorELNS0_4arch9wavefront6targetE0EEEvSZ_.num_agpr, 0
	.set _ZN7rocprim17ROCPRIM_400000_NS6detail17trampoline_kernelINS0_13select_configILj256ELj13ELNS0_17block_load_methodE3ELS4_3ELS4_3ELNS0_20block_scan_algorithmE0ELj4294967295EEENS1_25partition_config_selectorILNS1_17partition_subalgoE3EjNS0_10empty_typeEbEEZZNS1_14partition_implILS8_3ELb0ES6_jNS0_17counting_iteratorIjlEEPS9_SE_NS0_5tupleIJPjSE_EEENSF_IJSE_SE_EEES9_SG_JZNS1_25segmented_radix_sort_implINS0_14default_configELb1EPK12hip_bfloat16PSL_PKlPlN2at6native12_GLOBAL__N_18offset_tEEE10hipError_tPvRmT1_PNSt15iterator_traitsISZ_E10value_typeET2_T3_PNS10_IS15_E10value_typeET4_jRbjT5_S1B_jjP12ihipStream_tbEUljE_EEESW_SX_SY_S15_S19_S1B_T6_T7_T9_mT8_S1D_bDpT10_ENKUlT_T0_E_clISt17integral_constantIbLb1EES1Q_EEDaS1L_S1M_EUlS1L_E_NS1_11comp_targetILNS1_3genE2ELNS1_11target_archE906ELNS1_3gpuE6ELNS1_3repE0EEENS1_30default_config_static_selectorELNS0_4arch9wavefront6targetE0EEEvSZ_.numbered_sgpr, 0
	.set _ZN7rocprim17ROCPRIM_400000_NS6detail17trampoline_kernelINS0_13select_configILj256ELj13ELNS0_17block_load_methodE3ELS4_3ELS4_3ELNS0_20block_scan_algorithmE0ELj4294967295EEENS1_25partition_config_selectorILNS1_17partition_subalgoE3EjNS0_10empty_typeEbEEZZNS1_14partition_implILS8_3ELb0ES6_jNS0_17counting_iteratorIjlEEPS9_SE_NS0_5tupleIJPjSE_EEENSF_IJSE_SE_EEES9_SG_JZNS1_25segmented_radix_sort_implINS0_14default_configELb1EPK12hip_bfloat16PSL_PKlPlN2at6native12_GLOBAL__N_18offset_tEEE10hipError_tPvRmT1_PNSt15iterator_traitsISZ_E10value_typeET2_T3_PNS10_IS15_E10value_typeET4_jRbjT5_S1B_jjP12ihipStream_tbEUljE_EEESW_SX_SY_S15_S19_S1B_T6_T7_T9_mT8_S1D_bDpT10_ENKUlT_T0_E_clISt17integral_constantIbLb1EES1Q_EEDaS1L_S1M_EUlS1L_E_NS1_11comp_targetILNS1_3genE2ELNS1_11target_archE906ELNS1_3gpuE6ELNS1_3repE0EEENS1_30default_config_static_selectorELNS0_4arch9wavefront6targetE0EEEvSZ_.num_named_barrier, 0
	.set _ZN7rocprim17ROCPRIM_400000_NS6detail17trampoline_kernelINS0_13select_configILj256ELj13ELNS0_17block_load_methodE3ELS4_3ELS4_3ELNS0_20block_scan_algorithmE0ELj4294967295EEENS1_25partition_config_selectorILNS1_17partition_subalgoE3EjNS0_10empty_typeEbEEZZNS1_14partition_implILS8_3ELb0ES6_jNS0_17counting_iteratorIjlEEPS9_SE_NS0_5tupleIJPjSE_EEENSF_IJSE_SE_EEES9_SG_JZNS1_25segmented_radix_sort_implINS0_14default_configELb1EPK12hip_bfloat16PSL_PKlPlN2at6native12_GLOBAL__N_18offset_tEEE10hipError_tPvRmT1_PNSt15iterator_traitsISZ_E10value_typeET2_T3_PNS10_IS15_E10value_typeET4_jRbjT5_S1B_jjP12ihipStream_tbEUljE_EEESW_SX_SY_S15_S19_S1B_T6_T7_T9_mT8_S1D_bDpT10_ENKUlT_T0_E_clISt17integral_constantIbLb1EES1Q_EEDaS1L_S1M_EUlS1L_E_NS1_11comp_targetILNS1_3genE2ELNS1_11target_archE906ELNS1_3gpuE6ELNS1_3repE0EEENS1_30default_config_static_selectorELNS0_4arch9wavefront6targetE0EEEvSZ_.private_seg_size, 0
	.set _ZN7rocprim17ROCPRIM_400000_NS6detail17trampoline_kernelINS0_13select_configILj256ELj13ELNS0_17block_load_methodE3ELS4_3ELS4_3ELNS0_20block_scan_algorithmE0ELj4294967295EEENS1_25partition_config_selectorILNS1_17partition_subalgoE3EjNS0_10empty_typeEbEEZZNS1_14partition_implILS8_3ELb0ES6_jNS0_17counting_iteratorIjlEEPS9_SE_NS0_5tupleIJPjSE_EEENSF_IJSE_SE_EEES9_SG_JZNS1_25segmented_radix_sort_implINS0_14default_configELb1EPK12hip_bfloat16PSL_PKlPlN2at6native12_GLOBAL__N_18offset_tEEE10hipError_tPvRmT1_PNSt15iterator_traitsISZ_E10value_typeET2_T3_PNS10_IS15_E10value_typeET4_jRbjT5_S1B_jjP12ihipStream_tbEUljE_EEESW_SX_SY_S15_S19_S1B_T6_T7_T9_mT8_S1D_bDpT10_ENKUlT_T0_E_clISt17integral_constantIbLb1EES1Q_EEDaS1L_S1M_EUlS1L_E_NS1_11comp_targetILNS1_3genE2ELNS1_11target_archE906ELNS1_3gpuE6ELNS1_3repE0EEENS1_30default_config_static_selectorELNS0_4arch9wavefront6targetE0EEEvSZ_.uses_vcc, 0
	.set _ZN7rocprim17ROCPRIM_400000_NS6detail17trampoline_kernelINS0_13select_configILj256ELj13ELNS0_17block_load_methodE3ELS4_3ELS4_3ELNS0_20block_scan_algorithmE0ELj4294967295EEENS1_25partition_config_selectorILNS1_17partition_subalgoE3EjNS0_10empty_typeEbEEZZNS1_14partition_implILS8_3ELb0ES6_jNS0_17counting_iteratorIjlEEPS9_SE_NS0_5tupleIJPjSE_EEENSF_IJSE_SE_EEES9_SG_JZNS1_25segmented_radix_sort_implINS0_14default_configELb1EPK12hip_bfloat16PSL_PKlPlN2at6native12_GLOBAL__N_18offset_tEEE10hipError_tPvRmT1_PNSt15iterator_traitsISZ_E10value_typeET2_T3_PNS10_IS15_E10value_typeET4_jRbjT5_S1B_jjP12ihipStream_tbEUljE_EEESW_SX_SY_S15_S19_S1B_T6_T7_T9_mT8_S1D_bDpT10_ENKUlT_T0_E_clISt17integral_constantIbLb1EES1Q_EEDaS1L_S1M_EUlS1L_E_NS1_11comp_targetILNS1_3genE2ELNS1_11target_archE906ELNS1_3gpuE6ELNS1_3repE0EEENS1_30default_config_static_selectorELNS0_4arch9wavefront6targetE0EEEvSZ_.uses_flat_scratch, 0
	.set _ZN7rocprim17ROCPRIM_400000_NS6detail17trampoline_kernelINS0_13select_configILj256ELj13ELNS0_17block_load_methodE3ELS4_3ELS4_3ELNS0_20block_scan_algorithmE0ELj4294967295EEENS1_25partition_config_selectorILNS1_17partition_subalgoE3EjNS0_10empty_typeEbEEZZNS1_14partition_implILS8_3ELb0ES6_jNS0_17counting_iteratorIjlEEPS9_SE_NS0_5tupleIJPjSE_EEENSF_IJSE_SE_EEES9_SG_JZNS1_25segmented_radix_sort_implINS0_14default_configELb1EPK12hip_bfloat16PSL_PKlPlN2at6native12_GLOBAL__N_18offset_tEEE10hipError_tPvRmT1_PNSt15iterator_traitsISZ_E10value_typeET2_T3_PNS10_IS15_E10value_typeET4_jRbjT5_S1B_jjP12ihipStream_tbEUljE_EEESW_SX_SY_S15_S19_S1B_T6_T7_T9_mT8_S1D_bDpT10_ENKUlT_T0_E_clISt17integral_constantIbLb1EES1Q_EEDaS1L_S1M_EUlS1L_E_NS1_11comp_targetILNS1_3genE2ELNS1_11target_archE906ELNS1_3gpuE6ELNS1_3repE0EEENS1_30default_config_static_selectorELNS0_4arch9wavefront6targetE0EEEvSZ_.has_dyn_sized_stack, 0
	.set _ZN7rocprim17ROCPRIM_400000_NS6detail17trampoline_kernelINS0_13select_configILj256ELj13ELNS0_17block_load_methodE3ELS4_3ELS4_3ELNS0_20block_scan_algorithmE0ELj4294967295EEENS1_25partition_config_selectorILNS1_17partition_subalgoE3EjNS0_10empty_typeEbEEZZNS1_14partition_implILS8_3ELb0ES6_jNS0_17counting_iteratorIjlEEPS9_SE_NS0_5tupleIJPjSE_EEENSF_IJSE_SE_EEES9_SG_JZNS1_25segmented_radix_sort_implINS0_14default_configELb1EPK12hip_bfloat16PSL_PKlPlN2at6native12_GLOBAL__N_18offset_tEEE10hipError_tPvRmT1_PNSt15iterator_traitsISZ_E10value_typeET2_T3_PNS10_IS15_E10value_typeET4_jRbjT5_S1B_jjP12ihipStream_tbEUljE_EEESW_SX_SY_S15_S19_S1B_T6_T7_T9_mT8_S1D_bDpT10_ENKUlT_T0_E_clISt17integral_constantIbLb1EES1Q_EEDaS1L_S1M_EUlS1L_E_NS1_11comp_targetILNS1_3genE2ELNS1_11target_archE906ELNS1_3gpuE6ELNS1_3repE0EEENS1_30default_config_static_selectorELNS0_4arch9wavefront6targetE0EEEvSZ_.has_recursion, 0
	.set _ZN7rocprim17ROCPRIM_400000_NS6detail17trampoline_kernelINS0_13select_configILj256ELj13ELNS0_17block_load_methodE3ELS4_3ELS4_3ELNS0_20block_scan_algorithmE0ELj4294967295EEENS1_25partition_config_selectorILNS1_17partition_subalgoE3EjNS0_10empty_typeEbEEZZNS1_14partition_implILS8_3ELb0ES6_jNS0_17counting_iteratorIjlEEPS9_SE_NS0_5tupleIJPjSE_EEENSF_IJSE_SE_EEES9_SG_JZNS1_25segmented_radix_sort_implINS0_14default_configELb1EPK12hip_bfloat16PSL_PKlPlN2at6native12_GLOBAL__N_18offset_tEEE10hipError_tPvRmT1_PNSt15iterator_traitsISZ_E10value_typeET2_T3_PNS10_IS15_E10value_typeET4_jRbjT5_S1B_jjP12ihipStream_tbEUljE_EEESW_SX_SY_S15_S19_S1B_T6_T7_T9_mT8_S1D_bDpT10_ENKUlT_T0_E_clISt17integral_constantIbLb1EES1Q_EEDaS1L_S1M_EUlS1L_E_NS1_11comp_targetILNS1_3genE2ELNS1_11target_archE906ELNS1_3gpuE6ELNS1_3repE0EEENS1_30default_config_static_selectorELNS0_4arch9wavefront6targetE0EEEvSZ_.has_indirect_call, 0
	.section	.AMDGPU.csdata,"",@progbits
; Kernel info:
; codeLenInByte = 0
; TotalNumSgprs: 0
; NumVgprs: 0
; ScratchSize: 0
; MemoryBound: 0
; FloatMode: 240
; IeeeMode: 1
; LDSByteSize: 0 bytes/workgroup (compile time only)
; SGPRBlocks: 0
; VGPRBlocks: 0
; NumSGPRsForWavesPerEU: 1
; NumVGPRsForWavesPerEU: 1
; Occupancy: 16
; WaveLimiterHint : 0
; COMPUTE_PGM_RSRC2:SCRATCH_EN: 0
; COMPUTE_PGM_RSRC2:USER_SGPR: 2
; COMPUTE_PGM_RSRC2:TRAP_HANDLER: 0
; COMPUTE_PGM_RSRC2:TGID_X_EN: 1
; COMPUTE_PGM_RSRC2:TGID_Y_EN: 0
; COMPUTE_PGM_RSRC2:TGID_Z_EN: 0
; COMPUTE_PGM_RSRC2:TIDIG_COMP_CNT: 0
	.section	.text._ZN7rocprim17ROCPRIM_400000_NS6detail17trampoline_kernelINS0_13select_configILj256ELj13ELNS0_17block_load_methodE3ELS4_3ELS4_3ELNS0_20block_scan_algorithmE0ELj4294967295EEENS1_25partition_config_selectorILNS1_17partition_subalgoE3EjNS0_10empty_typeEbEEZZNS1_14partition_implILS8_3ELb0ES6_jNS0_17counting_iteratorIjlEEPS9_SE_NS0_5tupleIJPjSE_EEENSF_IJSE_SE_EEES9_SG_JZNS1_25segmented_radix_sort_implINS0_14default_configELb1EPK12hip_bfloat16PSL_PKlPlN2at6native12_GLOBAL__N_18offset_tEEE10hipError_tPvRmT1_PNSt15iterator_traitsISZ_E10value_typeET2_T3_PNS10_IS15_E10value_typeET4_jRbjT5_S1B_jjP12ihipStream_tbEUljE_EEESW_SX_SY_S15_S19_S1B_T6_T7_T9_mT8_S1D_bDpT10_ENKUlT_T0_E_clISt17integral_constantIbLb1EES1Q_EEDaS1L_S1M_EUlS1L_E_NS1_11comp_targetILNS1_3genE10ELNS1_11target_archE1200ELNS1_3gpuE4ELNS1_3repE0EEENS1_30default_config_static_selectorELNS0_4arch9wavefront6targetE0EEEvSZ_,"axG",@progbits,_ZN7rocprim17ROCPRIM_400000_NS6detail17trampoline_kernelINS0_13select_configILj256ELj13ELNS0_17block_load_methodE3ELS4_3ELS4_3ELNS0_20block_scan_algorithmE0ELj4294967295EEENS1_25partition_config_selectorILNS1_17partition_subalgoE3EjNS0_10empty_typeEbEEZZNS1_14partition_implILS8_3ELb0ES6_jNS0_17counting_iteratorIjlEEPS9_SE_NS0_5tupleIJPjSE_EEENSF_IJSE_SE_EEES9_SG_JZNS1_25segmented_radix_sort_implINS0_14default_configELb1EPK12hip_bfloat16PSL_PKlPlN2at6native12_GLOBAL__N_18offset_tEEE10hipError_tPvRmT1_PNSt15iterator_traitsISZ_E10value_typeET2_T3_PNS10_IS15_E10value_typeET4_jRbjT5_S1B_jjP12ihipStream_tbEUljE_EEESW_SX_SY_S15_S19_S1B_T6_T7_T9_mT8_S1D_bDpT10_ENKUlT_T0_E_clISt17integral_constantIbLb1EES1Q_EEDaS1L_S1M_EUlS1L_E_NS1_11comp_targetILNS1_3genE10ELNS1_11target_archE1200ELNS1_3gpuE4ELNS1_3repE0EEENS1_30default_config_static_selectorELNS0_4arch9wavefront6targetE0EEEvSZ_,comdat
	.globl	_ZN7rocprim17ROCPRIM_400000_NS6detail17trampoline_kernelINS0_13select_configILj256ELj13ELNS0_17block_load_methodE3ELS4_3ELS4_3ELNS0_20block_scan_algorithmE0ELj4294967295EEENS1_25partition_config_selectorILNS1_17partition_subalgoE3EjNS0_10empty_typeEbEEZZNS1_14partition_implILS8_3ELb0ES6_jNS0_17counting_iteratorIjlEEPS9_SE_NS0_5tupleIJPjSE_EEENSF_IJSE_SE_EEES9_SG_JZNS1_25segmented_radix_sort_implINS0_14default_configELb1EPK12hip_bfloat16PSL_PKlPlN2at6native12_GLOBAL__N_18offset_tEEE10hipError_tPvRmT1_PNSt15iterator_traitsISZ_E10value_typeET2_T3_PNS10_IS15_E10value_typeET4_jRbjT5_S1B_jjP12ihipStream_tbEUljE_EEESW_SX_SY_S15_S19_S1B_T6_T7_T9_mT8_S1D_bDpT10_ENKUlT_T0_E_clISt17integral_constantIbLb1EES1Q_EEDaS1L_S1M_EUlS1L_E_NS1_11comp_targetILNS1_3genE10ELNS1_11target_archE1200ELNS1_3gpuE4ELNS1_3repE0EEENS1_30default_config_static_selectorELNS0_4arch9wavefront6targetE0EEEvSZ_ ; -- Begin function _ZN7rocprim17ROCPRIM_400000_NS6detail17trampoline_kernelINS0_13select_configILj256ELj13ELNS0_17block_load_methodE3ELS4_3ELS4_3ELNS0_20block_scan_algorithmE0ELj4294967295EEENS1_25partition_config_selectorILNS1_17partition_subalgoE3EjNS0_10empty_typeEbEEZZNS1_14partition_implILS8_3ELb0ES6_jNS0_17counting_iteratorIjlEEPS9_SE_NS0_5tupleIJPjSE_EEENSF_IJSE_SE_EEES9_SG_JZNS1_25segmented_radix_sort_implINS0_14default_configELb1EPK12hip_bfloat16PSL_PKlPlN2at6native12_GLOBAL__N_18offset_tEEE10hipError_tPvRmT1_PNSt15iterator_traitsISZ_E10value_typeET2_T3_PNS10_IS15_E10value_typeET4_jRbjT5_S1B_jjP12ihipStream_tbEUljE_EEESW_SX_SY_S15_S19_S1B_T6_T7_T9_mT8_S1D_bDpT10_ENKUlT_T0_E_clISt17integral_constantIbLb1EES1Q_EEDaS1L_S1M_EUlS1L_E_NS1_11comp_targetILNS1_3genE10ELNS1_11target_archE1200ELNS1_3gpuE4ELNS1_3repE0EEENS1_30default_config_static_selectorELNS0_4arch9wavefront6targetE0EEEvSZ_
	.p2align	8
	.type	_ZN7rocprim17ROCPRIM_400000_NS6detail17trampoline_kernelINS0_13select_configILj256ELj13ELNS0_17block_load_methodE3ELS4_3ELS4_3ELNS0_20block_scan_algorithmE0ELj4294967295EEENS1_25partition_config_selectorILNS1_17partition_subalgoE3EjNS0_10empty_typeEbEEZZNS1_14partition_implILS8_3ELb0ES6_jNS0_17counting_iteratorIjlEEPS9_SE_NS0_5tupleIJPjSE_EEENSF_IJSE_SE_EEES9_SG_JZNS1_25segmented_radix_sort_implINS0_14default_configELb1EPK12hip_bfloat16PSL_PKlPlN2at6native12_GLOBAL__N_18offset_tEEE10hipError_tPvRmT1_PNSt15iterator_traitsISZ_E10value_typeET2_T3_PNS10_IS15_E10value_typeET4_jRbjT5_S1B_jjP12ihipStream_tbEUljE_EEESW_SX_SY_S15_S19_S1B_T6_T7_T9_mT8_S1D_bDpT10_ENKUlT_T0_E_clISt17integral_constantIbLb1EES1Q_EEDaS1L_S1M_EUlS1L_E_NS1_11comp_targetILNS1_3genE10ELNS1_11target_archE1200ELNS1_3gpuE4ELNS1_3repE0EEENS1_30default_config_static_selectorELNS0_4arch9wavefront6targetE0EEEvSZ_,@function
_ZN7rocprim17ROCPRIM_400000_NS6detail17trampoline_kernelINS0_13select_configILj256ELj13ELNS0_17block_load_methodE3ELS4_3ELS4_3ELNS0_20block_scan_algorithmE0ELj4294967295EEENS1_25partition_config_selectorILNS1_17partition_subalgoE3EjNS0_10empty_typeEbEEZZNS1_14partition_implILS8_3ELb0ES6_jNS0_17counting_iteratorIjlEEPS9_SE_NS0_5tupleIJPjSE_EEENSF_IJSE_SE_EEES9_SG_JZNS1_25segmented_radix_sort_implINS0_14default_configELb1EPK12hip_bfloat16PSL_PKlPlN2at6native12_GLOBAL__N_18offset_tEEE10hipError_tPvRmT1_PNSt15iterator_traitsISZ_E10value_typeET2_T3_PNS10_IS15_E10value_typeET4_jRbjT5_S1B_jjP12ihipStream_tbEUljE_EEESW_SX_SY_S15_S19_S1B_T6_T7_T9_mT8_S1D_bDpT10_ENKUlT_T0_E_clISt17integral_constantIbLb1EES1Q_EEDaS1L_S1M_EUlS1L_E_NS1_11comp_targetILNS1_3genE10ELNS1_11target_archE1200ELNS1_3gpuE4ELNS1_3repE0EEENS1_30default_config_static_selectorELNS0_4arch9wavefront6targetE0EEEvSZ_: ; @_ZN7rocprim17ROCPRIM_400000_NS6detail17trampoline_kernelINS0_13select_configILj256ELj13ELNS0_17block_load_methodE3ELS4_3ELS4_3ELNS0_20block_scan_algorithmE0ELj4294967295EEENS1_25partition_config_selectorILNS1_17partition_subalgoE3EjNS0_10empty_typeEbEEZZNS1_14partition_implILS8_3ELb0ES6_jNS0_17counting_iteratorIjlEEPS9_SE_NS0_5tupleIJPjSE_EEENSF_IJSE_SE_EEES9_SG_JZNS1_25segmented_radix_sort_implINS0_14default_configELb1EPK12hip_bfloat16PSL_PKlPlN2at6native12_GLOBAL__N_18offset_tEEE10hipError_tPvRmT1_PNSt15iterator_traitsISZ_E10value_typeET2_T3_PNS10_IS15_E10value_typeET4_jRbjT5_S1B_jjP12ihipStream_tbEUljE_EEESW_SX_SY_S15_S19_S1B_T6_T7_T9_mT8_S1D_bDpT10_ENKUlT_T0_E_clISt17integral_constantIbLb1EES1Q_EEDaS1L_S1M_EUlS1L_E_NS1_11comp_targetILNS1_3genE10ELNS1_11target_archE1200ELNS1_3gpuE4ELNS1_3repE0EEENS1_30default_config_static_selectorELNS0_4arch9wavefront6targetE0EEEvSZ_
; %bb.0:
	s_endpgm
	.section	.rodata,"a",@progbits
	.p2align	6, 0x0
	.amdhsa_kernel _ZN7rocprim17ROCPRIM_400000_NS6detail17trampoline_kernelINS0_13select_configILj256ELj13ELNS0_17block_load_methodE3ELS4_3ELS4_3ELNS0_20block_scan_algorithmE0ELj4294967295EEENS1_25partition_config_selectorILNS1_17partition_subalgoE3EjNS0_10empty_typeEbEEZZNS1_14partition_implILS8_3ELb0ES6_jNS0_17counting_iteratorIjlEEPS9_SE_NS0_5tupleIJPjSE_EEENSF_IJSE_SE_EEES9_SG_JZNS1_25segmented_radix_sort_implINS0_14default_configELb1EPK12hip_bfloat16PSL_PKlPlN2at6native12_GLOBAL__N_18offset_tEEE10hipError_tPvRmT1_PNSt15iterator_traitsISZ_E10value_typeET2_T3_PNS10_IS15_E10value_typeET4_jRbjT5_S1B_jjP12ihipStream_tbEUljE_EEESW_SX_SY_S15_S19_S1B_T6_T7_T9_mT8_S1D_bDpT10_ENKUlT_T0_E_clISt17integral_constantIbLb1EES1Q_EEDaS1L_S1M_EUlS1L_E_NS1_11comp_targetILNS1_3genE10ELNS1_11target_archE1200ELNS1_3gpuE4ELNS1_3repE0EEENS1_30default_config_static_selectorELNS0_4arch9wavefront6targetE0EEEvSZ_
		.amdhsa_group_segment_fixed_size 0
		.amdhsa_private_segment_fixed_size 0
		.amdhsa_kernarg_size 152
		.amdhsa_user_sgpr_count 2
		.amdhsa_user_sgpr_dispatch_ptr 0
		.amdhsa_user_sgpr_queue_ptr 0
		.amdhsa_user_sgpr_kernarg_segment_ptr 1
		.amdhsa_user_sgpr_dispatch_id 0
		.amdhsa_user_sgpr_private_segment_size 0
		.amdhsa_wavefront_size32 1
		.amdhsa_uses_dynamic_stack 0
		.amdhsa_enable_private_segment 0
		.amdhsa_system_sgpr_workgroup_id_x 1
		.amdhsa_system_sgpr_workgroup_id_y 0
		.amdhsa_system_sgpr_workgroup_id_z 0
		.amdhsa_system_sgpr_workgroup_info 0
		.amdhsa_system_vgpr_workitem_id 0
		.amdhsa_next_free_vgpr 1
		.amdhsa_next_free_sgpr 1
		.amdhsa_reserve_vcc 0
		.amdhsa_float_round_mode_32 0
		.amdhsa_float_round_mode_16_64 0
		.amdhsa_float_denorm_mode_32 3
		.amdhsa_float_denorm_mode_16_64 3
		.amdhsa_fp16_overflow 0
		.amdhsa_workgroup_processor_mode 1
		.amdhsa_memory_ordered 1
		.amdhsa_forward_progress 1
		.amdhsa_inst_pref_size 1
		.amdhsa_round_robin_scheduling 0
		.amdhsa_exception_fp_ieee_invalid_op 0
		.amdhsa_exception_fp_denorm_src 0
		.amdhsa_exception_fp_ieee_div_zero 0
		.amdhsa_exception_fp_ieee_overflow 0
		.amdhsa_exception_fp_ieee_underflow 0
		.amdhsa_exception_fp_ieee_inexact 0
		.amdhsa_exception_int_div_zero 0
	.end_amdhsa_kernel
	.section	.text._ZN7rocprim17ROCPRIM_400000_NS6detail17trampoline_kernelINS0_13select_configILj256ELj13ELNS0_17block_load_methodE3ELS4_3ELS4_3ELNS0_20block_scan_algorithmE0ELj4294967295EEENS1_25partition_config_selectorILNS1_17partition_subalgoE3EjNS0_10empty_typeEbEEZZNS1_14partition_implILS8_3ELb0ES6_jNS0_17counting_iteratorIjlEEPS9_SE_NS0_5tupleIJPjSE_EEENSF_IJSE_SE_EEES9_SG_JZNS1_25segmented_radix_sort_implINS0_14default_configELb1EPK12hip_bfloat16PSL_PKlPlN2at6native12_GLOBAL__N_18offset_tEEE10hipError_tPvRmT1_PNSt15iterator_traitsISZ_E10value_typeET2_T3_PNS10_IS15_E10value_typeET4_jRbjT5_S1B_jjP12ihipStream_tbEUljE_EEESW_SX_SY_S15_S19_S1B_T6_T7_T9_mT8_S1D_bDpT10_ENKUlT_T0_E_clISt17integral_constantIbLb1EES1Q_EEDaS1L_S1M_EUlS1L_E_NS1_11comp_targetILNS1_3genE10ELNS1_11target_archE1200ELNS1_3gpuE4ELNS1_3repE0EEENS1_30default_config_static_selectorELNS0_4arch9wavefront6targetE0EEEvSZ_,"axG",@progbits,_ZN7rocprim17ROCPRIM_400000_NS6detail17trampoline_kernelINS0_13select_configILj256ELj13ELNS0_17block_load_methodE3ELS4_3ELS4_3ELNS0_20block_scan_algorithmE0ELj4294967295EEENS1_25partition_config_selectorILNS1_17partition_subalgoE3EjNS0_10empty_typeEbEEZZNS1_14partition_implILS8_3ELb0ES6_jNS0_17counting_iteratorIjlEEPS9_SE_NS0_5tupleIJPjSE_EEENSF_IJSE_SE_EEES9_SG_JZNS1_25segmented_radix_sort_implINS0_14default_configELb1EPK12hip_bfloat16PSL_PKlPlN2at6native12_GLOBAL__N_18offset_tEEE10hipError_tPvRmT1_PNSt15iterator_traitsISZ_E10value_typeET2_T3_PNS10_IS15_E10value_typeET4_jRbjT5_S1B_jjP12ihipStream_tbEUljE_EEESW_SX_SY_S15_S19_S1B_T6_T7_T9_mT8_S1D_bDpT10_ENKUlT_T0_E_clISt17integral_constantIbLb1EES1Q_EEDaS1L_S1M_EUlS1L_E_NS1_11comp_targetILNS1_3genE10ELNS1_11target_archE1200ELNS1_3gpuE4ELNS1_3repE0EEENS1_30default_config_static_selectorELNS0_4arch9wavefront6targetE0EEEvSZ_,comdat
.Lfunc_end1927:
	.size	_ZN7rocprim17ROCPRIM_400000_NS6detail17trampoline_kernelINS0_13select_configILj256ELj13ELNS0_17block_load_methodE3ELS4_3ELS4_3ELNS0_20block_scan_algorithmE0ELj4294967295EEENS1_25partition_config_selectorILNS1_17partition_subalgoE3EjNS0_10empty_typeEbEEZZNS1_14partition_implILS8_3ELb0ES6_jNS0_17counting_iteratorIjlEEPS9_SE_NS0_5tupleIJPjSE_EEENSF_IJSE_SE_EEES9_SG_JZNS1_25segmented_radix_sort_implINS0_14default_configELb1EPK12hip_bfloat16PSL_PKlPlN2at6native12_GLOBAL__N_18offset_tEEE10hipError_tPvRmT1_PNSt15iterator_traitsISZ_E10value_typeET2_T3_PNS10_IS15_E10value_typeET4_jRbjT5_S1B_jjP12ihipStream_tbEUljE_EEESW_SX_SY_S15_S19_S1B_T6_T7_T9_mT8_S1D_bDpT10_ENKUlT_T0_E_clISt17integral_constantIbLb1EES1Q_EEDaS1L_S1M_EUlS1L_E_NS1_11comp_targetILNS1_3genE10ELNS1_11target_archE1200ELNS1_3gpuE4ELNS1_3repE0EEENS1_30default_config_static_selectorELNS0_4arch9wavefront6targetE0EEEvSZ_, .Lfunc_end1927-_ZN7rocprim17ROCPRIM_400000_NS6detail17trampoline_kernelINS0_13select_configILj256ELj13ELNS0_17block_load_methodE3ELS4_3ELS4_3ELNS0_20block_scan_algorithmE0ELj4294967295EEENS1_25partition_config_selectorILNS1_17partition_subalgoE3EjNS0_10empty_typeEbEEZZNS1_14partition_implILS8_3ELb0ES6_jNS0_17counting_iteratorIjlEEPS9_SE_NS0_5tupleIJPjSE_EEENSF_IJSE_SE_EEES9_SG_JZNS1_25segmented_radix_sort_implINS0_14default_configELb1EPK12hip_bfloat16PSL_PKlPlN2at6native12_GLOBAL__N_18offset_tEEE10hipError_tPvRmT1_PNSt15iterator_traitsISZ_E10value_typeET2_T3_PNS10_IS15_E10value_typeET4_jRbjT5_S1B_jjP12ihipStream_tbEUljE_EEESW_SX_SY_S15_S19_S1B_T6_T7_T9_mT8_S1D_bDpT10_ENKUlT_T0_E_clISt17integral_constantIbLb1EES1Q_EEDaS1L_S1M_EUlS1L_E_NS1_11comp_targetILNS1_3genE10ELNS1_11target_archE1200ELNS1_3gpuE4ELNS1_3repE0EEENS1_30default_config_static_selectorELNS0_4arch9wavefront6targetE0EEEvSZ_
                                        ; -- End function
	.set _ZN7rocprim17ROCPRIM_400000_NS6detail17trampoline_kernelINS0_13select_configILj256ELj13ELNS0_17block_load_methodE3ELS4_3ELS4_3ELNS0_20block_scan_algorithmE0ELj4294967295EEENS1_25partition_config_selectorILNS1_17partition_subalgoE3EjNS0_10empty_typeEbEEZZNS1_14partition_implILS8_3ELb0ES6_jNS0_17counting_iteratorIjlEEPS9_SE_NS0_5tupleIJPjSE_EEENSF_IJSE_SE_EEES9_SG_JZNS1_25segmented_radix_sort_implINS0_14default_configELb1EPK12hip_bfloat16PSL_PKlPlN2at6native12_GLOBAL__N_18offset_tEEE10hipError_tPvRmT1_PNSt15iterator_traitsISZ_E10value_typeET2_T3_PNS10_IS15_E10value_typeET4_jRbjT5_S1B_jjP12ihipStream_tbEUljE_EEESW_SX_SY_S15_S19_S1B_T6_T7_T9_mT8_S1D_bDpT10_ENKUlT_T0_E_clISt17integral_constantIbLb1EES1Q_EEDaS1L_S1M_EUlS1L_E_NS1_11comp_targetILNS1_3genE10ELNS1_11target_archE1200ELNS1_3gpuE4ELNS1_3repE0EEENS1_30default_config_static_selectorELNS0_4arch9wavefront6targetE0EEEvSZ_.num_vgpr, 0
	.set _ZN7rocprim17ROCPRIM_400000_NS6detail17trampoline_kernelINS0_13select_configILj256ELj13ELNS0_17block_load_methodE3ELS4_3ELS4_3ELNS0_20block_scan_algorithmE0ELj4294967295EEENS1_25partition_config_selectorILNS1_17partition_subalgoE3EjNS0_10empty_typeEbEEZZNS1_14partition_implILS8_3ELb0ES6_jNS0_17counting_iteratorIjlEEPS9_SE_NS0_5tupleIJPjSE_EEENSF_IJSE_SE_EEES9_SG_JZNS1_25segmented_radix_sort_implINS0_14default_configELb1EPK12hip_bfloat16PSL_PKlPlN2at6native12_GLOBAL__N_18offset_tEEE10hipError_tPvRmT1_PNSt15iterator_traitsISZ_E10value_typeET2_T3_PNS10_IS15_E10value_typeET4_jRbjT5_S1B_jjP12ihipStream_tbEUljE_EEESW_SX_SY_S15_S19_S1B_T6_T7_T9_mT8_S1D_bDpT10_ENKUlT_T0_E_clISt17integral_constantIbLb1EES1Q_EEDaS1L_S1M_EUlS1L_E_NS1_11comp_targetILNS1_3genE10ELNS1_11target_archE1200ELNS1_3gpuE4ELNS1_3repE0EEENS1_30default_config_static_selectorELNS0_4arch9wavefront6targetE0EEEvSZ_.num_agpr, 0
	.set _ZN7rocprim17ROCPRIM_400000_NS6detail17trampoline_kernelINS0_13select_configILj256ELj13ELNS0_17block_load_methodE3ELS4_3ELS4_3ELNS0_20block_scan_algorithmE0ELj4294967295EEENS1_25partition_config_selectorILNS1_17partition_subalgoE3EjNS0_10empty_typeEbEEZZNS1_14partition_implILS8_3ELb0ES6_jNS0_17counting_iteratorIjlEEPS9_SE_NS0_5tupleIJPjSE_EEENSF_IJSE_SE_EEES9_SG_JZNS1_25segmented_radix_sort_implINS0_14default_configELb1EPK12hip_bfloat16PSL_PKlPlN2at6native12_GLOBAL__N_18offset_tEEE10hipError_tPvRmT1_PNSt15iterator_traitsISZ_E10value_typeET2_T3_PNS10_IS15_E10value_typeET4_jRbjT5_S1B_jjP12ihipStream_tbEUljE_EEESW_SX_SY_S15_S19_S1B_T6_T7_T9_mT8_S1D_bDpT10_ENKUlT_T0_E_clISt17integral_constantIbLb1EES1Q_EEDaS1L_S1M_EUlS1L_E_NS1_11comp_targetILNS1_3genE10ELNS1_11target_archE1200ELNS1_3gpuE4ELNS1_3repE0EEENS1_30default_config_static_selectorELNS0_4arch9wavefront6targetE0EEEvSZ_.numbered_sgpr, 0
	.set _ZN7rocprim17ROCPRIM_400000_NS6detail17trampoline_kernelINS0_13select_configILj256ELj13ELNS0_17block_load_methodE3ELS4_3ELS4_3ELNS0_20block_scan_algorithmE0ELj4294967295EEENS1_25partition_config_selectorILNS1_17partition_subalgoE3EjNS0_10empty_typeEbEEZZNS1_14partition_implILS8_3ELb0ES6_jNS0_17counting_iteratorIjlEEPS9_SE_NS0_5tupleIJPjSE_EEENSF_IJSE_SE_EEES9_SG_JZNS1_25segmented_radix_sort_implINS0_14default_configELb1EPK12hip_bfloat16PSL_PKlPlN2at6native12_GLOBAL__N_18offset_tEEE10hipError_tPvRmT1_PNSt15iterator_traitsISZ_E10value_typeET2_T3_PNS10_IS15_E10value_typeET4_jRbjT5_S1B_jjP12ihipStream_tbEUljE_EEESW_SX_SY_S15_S19_S1B_T6_T7_T9_mT8_S1D_bDpT10_ENKUlT_T0_E_clISt17integral_constantIbLb1EES1Q_EEDaS1L_S1M_EUlS1L_E_NS1_11comp_targetILNS1_3genE10ELNS1_11target_archE1200ELNS1_3gpuE4ELNS1_3repE0EEENS1_30default_config_static_selectorELNS0_4arch9wavefront6targetE0EEEvSZ_.num_named_barrier, 0
	.set _ZN7rocprim17ROCPRIM_400000_NS6detail17trampoline_kernelINS0_13select_configILj256ELj13ELNS0_17block_load_methodE3ELS4_3ELS4_3ELNS0_20block_scan_algorithmE0ELj4294967295EEENS1_25partition_config_selectorILNS1_17partition_subalgoE3EjNS0_10empty_typeEbEEZZNS1_14partition_implILS8_3ELb0ES6_jNS0_17counting_iteratorIjlEEPS9_SE_NS0_5tupleIJPjSE_EEENSF_IJSE_SE_EEES9_SG_JZNS1_25segmented_radix_sort_implINS0_14default_configELb1EPK12hip_bfloat16PSL_PKlPlN2at6native12_GLOBAL__N_18offset_tEEE10hipError_tPvRmT1_PNSt15iterator_traitsISZ_E10value_typeET2_T3_PNS10_IS15_E10value_typeET4_jRbjT5_S1B_jjP12ihipStream_tbEUljE_EEESW_SX_SY_S15_S19_S1B_T6_T7_T9_mT8_S1D_bDpT10_ENKUlT_T0_E_clISt17integral_constantIbLb1EES1Q_EEDaS1L_S1M_EUlS1L_E_NS1_11comp_targetILNS1_3genE10ELNS1_11target_archE1200ELNS1_3gpuE4ELNS1_3repE0EEENS1_30default_config_static_selectorELNS0_4arch9wavefront6targetE0EEEvSZ_.private_seg_size, 0
	.set _ZN7rocprim17ROCPRIM_400000_NS6detail17trampoline_kernelINS0_13select_configILj256ELj13ELNS0_17block_load_methodE3ELS4_3ELS4_3ELNS0_20block_scan_algorithmE0ELj4294967295EEENS1_25partition_config_selectorILNS1_17partition_subalgoE3EjNS0_10empty_typeEbEEZZNS1_14partition_implILS8_3ELb0ES6_jNS0_17counting_iteratorIjlEEPS9_SE_NS0_5tupleIJPjSE_EEENSF_IJSE_SE_EEES9_SG_JZNS1_25segmented_radix_sort_implINS0_14default_configELb1EPK12hip_bfloat16PSL_PKlPlN2at6native12_GLOBAL__N_18offset_tEEE10hipError_tPvRmT1_PNSt15iterator_traitsISZ_E10value_typeET2_T3_PNS10_IS15_E10value_typeET4_jRbjT5_S1B_jjP12ihipStream_tbEUljE_EEESW_SX_SY_S15_S19_S1B_T6_T7_T9_mT8_S1D_bDpT10_ENKUlT_T0_E_clISt17integral_constantIbLb1EES1Q_EEDaS1L_S1M_EUlS1L_E_NS1_11comp_targetILNS1_3genE10ELNS1_11target_archE1200ELNS1_3gpuE4ELNS1_3repE0EEENS1_30default_config_static_selectorELNS0_4arch9wavefront6targetE0EEEvSZ_.uses_vcc, 0
	.set _ZN7rocprim17ROCPRIM_400000_NS6detail17trampoline_kernelINS0_13select_configILj256ELj13ELNS0_17block_load_methodE3ELS4_3ELS4_3ELNS0_20block_scan_algorithmE0ELj4294967295EEENS1_25partition_config_selectorILNS1_17partition_subalgoE3EjNS0_10empty_typeEbEEZZNS1_14partition_implILS8_3ELb0ES6_jNS0_17counting_iteratorIjlEEPS9_SE_NS0_5tupleIJPjSE_EEENSF_IJSE_SE_EEES9_SG_JZNS1_25segmented_radix_sort_implINS0_14default_configELb1EPK12hip_bfloat16PSL_PKlPlN2at6native12_GLOBAL__N_18offset_tEEE10hipError_tPvRmT1_PNSt15iterator_traitsISZ_E10value_typeET2_T3_PNS10_IS15_E10value_typeET4_jRbjT5_S1B_jjP12ihipStream_tbEUljE_EEESW_SX_SY_S15_S19_S1B_T6_T7_T9_mT8_S1D_bDpT10_ENKUlT_T0_E_clISt17integral_constantIbLb1EES1Q_EEDaS1L_S1M_EUlS1L_E_NS1_11comp_targetILNS1_3genE10ELNS1_11target_archE1200ELNS1_3gpuE4ELNS1_3repE0EEENS1_30default_config_static_selectorELNS0_4arch9wavefront6targetE0EEEvSZ_.uses_flat_scratch, 0
	.set _ZN7rocprim17ROCPRIM_400000_NS6detail17trampoline_kernelINS0_13select_configILj256ELj13ELNS0_17block_load_methodE3ELS4_3ELS4_3ELNS0_20block_scan_algorithmE0ELj4294967295EEENS1_25partition_config_selectorILNS1_17partition_subalgoE3EjNS0_10empty_typeEbEEZZNS1_14partition_implILS8_3ELb0ES6_jNS0_17counting_iteratorIjlEEPS9_SE_NS0_5tupleIJPjSE_EEENSF_IJSE_SE_EEES9_SG_JZNS1_25segmented_radix_sort_implINS0_14default_configELb1EPK12hip_bfloat16PSL_PKlPlN2at6native12_GLOBAL__N_18offset_tEEE10hipError_tPvRmT1_PNSt15iterator_traitsISZ_E10value_typeET2_T3_PNS10_IS15_E10value_typeET4_jRbjT5_S1B_jjP12ihipStream_tbEUljE_EEESW_SX_SY_S15_S19_S1B_T6_T7_T9_mT8_S1D_bDpT10_ENKUlT_T0_E_clISt17integral_constantIbLb1EES1Q_EEDaS1L_S1M_EUlS1L_E_NS1_11comp_targetILNS1_3genE10ELNS1_11target_archE1200ELNS1_3gpuE4ELNS1_3repE0EEENS1_30default_config_static_selectorELNS0_4arch9wavefront6targetE0EEEvSZ_.has_dyn_sized_stack, 0
	.set _ZN7rocprim17ROCPRIM_400000_NS6detail17trampoline_kernelINS0_13select_configILj256ELj13ELNS0_17block_load_methodE3ELS4_3ELS4_3ELNS0_20block_scan_algorithmE0ELj4294967295EEENS1_25partition_config_selectorILNS1_17partition_subalgoE3EjNS0_10empty_typeEbEEZZNS1_14partition_implILS8_3ELb0ES6_jNS0_17counting_iteratorIjlEEPS9_SE_NS0_5tupleIJPjSE_EEENSF_IJSE_SE_EEES9_SG_JZNS1_25segmented_radix_sort_implINS0_14default_configELb1EPK12hip_bfloat16PSL_PKlPlN2at6native12_GLOBAL__N_18offset_tEEE10hipError_tPvRmT1_PNSt15iterator_traitsISZ_E10value_typeET2_T3_PNS10_IS15_E10value_typeET4_jRbjT5_S1B_jjP12ihipStream_tbEUljE_EEESW_SX_SY_S15_S19_S1B_T6_T7_T9_mT8_S1D_bDpT10_ENKUlT_T0_E_clISt17integral_constantIbLb1EES1Q_EEDaS1L_S1M_EUlS1L_E_NS1_11comp_targetILNS1_3genE10ELNS1_11target_archE1200ELNS1_3gpuE4ELNS1_3repE0EEENS1_30default_config_static_selectorELNS0_4arch9wavefront6targetE0EEEvSZ_.has_recursion, 0
	.set _ZN7rocprim17ROCPRIM_400000_NS6detail17trampoline_kernelINS0_13select_configILj256ELj13ELNS0_17block_load_methodE3ELS4_3ELS4_3ELNS0_20block_scan_algorithmE0ELj4294967295EEENS1_25partition_config_selectorILNS1_17partition_subalgoE3EjNS0_10empty_typeEbEEZZNS1_14partition_implILS8_3ELb0ES6_jNS0_17counting_iteratorIjlEEPS9_SE_NS0_5tupleIJPjSE_EEENSF_IJSE_SE_EEES9_SG_JZNS1_25segmented_radix_sort_implINS0_14default_configELb1EPK12hip_bfloat16PSL_PKlPlN2at6native12_GLOBAL__N_18offset_tEEE10hipError_tPvRmT1_PNSt15iterator_traitsISZ_E10value_typeET2_T3_PNS10_IS15_E10value_typeET4_jRbjT5_S1B_jjP12ihipStream_tbEUljE_EEESW_SX_SY_S15_S19_S1B_T6_T7_T9_mT8_S1D_bDpT10_ENKUlT_T0_E_clISt17integral_constantIbLb1EES1Q_EEDaS1L_S1M_EUlS1L_E_NS1_11comp_targetILNS1_3genE10ELNS1_11target_archE1200ELNS1_3gpuE4ELNS1_3repE0EEENS1_30default_config_static_selectorELNS0_4arch9wavefront6targetE0EEEvSZ_.has_indirect_call, 0
	.section	.AMDGPU.csdata,"",@progbits
; Kernel info:
; codeLenInByte = 4
; TotalNumSgprs: 0
; NumVgprs: 0
; ScratchSize: 0
; MemoryBound: 0
; FloatMode: 240
; IeeeMode: 1
; LDSByteSize: 0 bytes/workgroup (compile time only)
; SGPRBlocks: 0
; VGPRBlocks: 0
; NumSGPRsForWavesPerEU: 1
; NumVGPRsForWavesPerEU: 1
; Occupancy: 16
; WaveLimiterHint : 0
; COMPUTE_PGM_RSRC2:SCRATCH_EN: 0
; COMPUTE_PGM_RSRC2:USER_SGPR: 2
; COMPUTE_PGM_RSRC2:TRAP_HANDLER: 0
; COMPUTE_PGM_RSRC2:TGID_X_EN: 1
; COMPUTE_PGM_RSRC2:TGID_Y_EN: 0
; COMPUTE_PGM_RSRC2:TGID_Z_EN: 0
; COMPUTE_PGM_RSRC2:TIDIG_COMP_CNT: 0
	.section	.text._ZN7rocprim17ROCPRIM_400000_NS6detail17trampoline_kernelINS0_13select_configILj256ELj13ELNS0_17block_load_methodE3ELS4_3ELS4_3ELNS0_20block_scan_algorithmE0ELj4294967295EEENS1_25partition_config_selectorILNS1_17partition_subalgoE3EjNS0_10empty_typeEbEEZZNS1_14partition_implILS8_3ELb0ES6_jNS0_17counting_iteratorIjlEEPS9_SE_NS0_5tupleIJPjSE_EEENSF_IJSE_SE_EEES9_SG_JZNS1_25segmented_radix_sort_implINS0_14default_configELb1EPK12hip_bfloat16PSL_PKlPlN2at6native12_GLOBAL__N_18offset_tEEE10hipError_tPvRmT1_PNSt15iterator_traitsISZ_E10value_typeET2_T3_PNS10_IS15_E10value_typeET4_jRbjT5_S1B_jjP12ihipStream_tbEUljE_EEESW_SX_SY_S15_S19_S1B_T6_T7_T9_mT8_S1D_bDpT10_ENKUlT_T0_E_clISt17integral_constantIbLb1EES1Q_EEDaS1L_S1M_EUlS1L_E_NS1_11comp_targetILNS1_3genE9ELNS1_11target_archE1100ELNS1_3gpuE3ELNS1_3repE0EEENS1_30default_config_static_selectorELNS0_4arch9wavefront6targetE0EEEvSZ_,"axG",@progbits,_ZN7rocprim17ROCPRIM_400000_NS6detail17trampoline_kernelINS0_13select_configILj256ELj13ELNS0_17block_load_methodE3ELS4_3ELS4_3ELNS0_20block_scan_algorithmE0ELj4294967295EEENS1_25partition_config_selectorILNS1_17partition_subalgoE3EjNS0_10empty_typeEbEEZZNS1_14partition_implILS8_3ELb0ES6_jNS0_17counting_iteratorIjlEEPS9_SE_NS0_5tupleIJPjSE_EEENSF_IJSE_SE_EEES9_SG_JZNS1_25segmented_radix_sort_implINS0_14default_configELb1EPK12hip_bfloat16PSL_PKlPlN2at6native12_GLOBAL__N_18offset_tEEE10hipError_tPvRmT1_PNSt15iterator_traitsISZ_E10value_typeET2_T3_PNS10_IS15_E10value_typeET4_jRbjT5_S1B_jjP12ihipStream_tbEUljE_EEESW_SX_SY_S15_S19_S1B_T6_T7_T9_mT8_S1D_bDpT10_ENKUlT_T0_E_clISt17integral_constantIbLb1EES1Q_EEDaS1L_S1M_EUlS1L_E_NS1_11comp_targetILNS1_3genE9ELNS1_11target_archE1100ELNS1_3gpuE3ELNS1_3repE0EEENS1_30default_config_static_selectorELNS0_4arch9wavefront6targetE0EEEvSZ_,comdat
	.globl	_ZN7rocprim17ROCPRIM_400000_NS6detail17trampoline_kernelINS0_13select_configILj256ELj13ELNS0_17block_load_methodE3ELS4_3ELS4_3ELNS0_20block_scan_algorithmE0ELj4294967295EEENS1_25partition_config_selectorILNS1_17partition_subalgoE3EjNS0_10empty_typeEbEEZZNS1_14partition_implILS8_3ELb0ES6_jNS0_17counting_iteratorIjlEEPS9_SE_NS0_5tupleIJPjSE_EEENSF_IJSE_SE_EEES9_SG_JZNS1_25segmented_radix_sort_implINS0_14default_configELb1EPK12hip_bfloat16PSL_PKlPlN2at6native12_GLOBAL__N_18offset_tEEE10hipError_tPvRmT1_PNSt15iterator_traitsISZ_E10value_typeET2_T3_PNS10_IS15_E10value_typeET4_jRbjT5_S1B_jjP12ihipStream_tbEUljE_EEESW_SX_SY_S15_S19_S1B_T6_T7_T9_mT8_S1D_bDpT10_ENKUlT_T0_E_clISt17integral_constantIbLb1EES1Q_EEDaS1L_S1M_EUlS1L_E_NS1_11comp_targetILNS1_3genE9ELNS1_11target_archE1100ELNS1_3gpuE3ELNS1_3repE0EEENS1_30default_config_static_selectorELNS0_4arch9wavefront6targetE0EEEvSZ_ ; -- Begin function _ZN7rocprim17ROCPRIM_400000_NS6detail17trampoline_kernelINS0_13select_configILj256ELj13ELNS0_17block_load_methodE3ELS4_3ELS4_3ELNS0_20block_scan_algorithmE0ELj4294967295EEENS1_25partition_config_selectorILNS1_17partition_subalgoE3EjNS0_10empty_typeEbEEZZNS1_14partition_implILS8_3ELb0ES6_jNS0_17counting_iteratorIjlEEPS9_SE_NS0_5tupleIJPjSE_EEENSF_IJSE_SE_EEES9_SG_JZNS1_25segmented_radix_sort_implINS0_14default_configELb1EPK12hip_bfloat16PSL_PKlPlN2at6native12_GLOBAL__N_18offset_tEEE10hipError_tPvRmT1_PNSt15iterator_traitsISZ_E10value_typeET2_T3_PNS10_IS15_E10value_typeET4_jRbjT5_S1B_jjP12ihipStream_tbEUljE_EEESW_SX_SY_S15_S19_S1B_T6_T7_T9_mT8_S1D_bDpT10_ENKUlT_T0_E_clISt17integral_constantIbLb1EES1Q_EEDaS1L_S1M_EUlS1L_E_NS1_11comp_targetILNS1_3genE9ELNS1_11target_archE1100ELNS1_3gpuE3ELNS1_3repE0EEENS1_30default_config_static_selectorELNS0_4arch9wavefront6targetE0EEEvSZ_
	.p2align	8
	.type	_ZN7rocprim17ROCPRIM_400000_NS6detail17trampoline_kernelINS0_13select_configILj256ELj13ELNS0_17block_load_methodE3ELS4_3ELS4_3ELNS0_20block_scan_algorithmE0ELj4294967295EEENS1_25partition_config_selectorILNS1_17partition_subalgoE3EjNS0_10empty_typeEbEEZZNS1_14partition_implILS8_3ELb0ES6_jNS0_17counting_iteratorIjlEEPS9_SE_NS0_5tupleIJPjSE_EEENSF_IJSE_SE_EEES9_SG_JZNS1_25segmented_radix_sort_implINS0_14default_configELb1EPK12hip_bfloat16PSL_PKlPlN2at6native12_GLOBAL__N_18offset_tEEE10hipError_tPvRmT1_PNSt15iterator_traitsISZ_E10value_typeET2_T3_PNS10_IS15_E10value_typeET4_jRbjT5_S1B_jjP12ihipStream_tbEUljE_EEESW_SX_SY_S15_S19_S1B_T6_T7_T9_mT8_S1D_bDpT10_ENKUlT_T0_E_clISt17integral_constantIbLb1EES1Q_EEDaS1L_S1M_EUlS1L_E_NS1_11comp_targetILNS1_3genE9ELNS1_11target_archE1100ELNS1_3gpuE3ELNS1_3repE0EEENS1_30default_config_static_selectorELNS0_4arch9wavefront6targetE0EEEvSZ_,@function
_ZN7rocprim17ROCPRIM_400000_NS6detail17trampoline_kernelINS0_13select_configILj256ELj13ELNS0_17block_load_methodE3ELS4_3ELS4_3ELNS0_20block_scan_algorithmE0ELj4294967295EEENS1_25partition_config_selectorILNS1_17partition_subalgoE3EjNS0_10empty_typeEbEEZZNS1_14partition_implILS8_3ELb0ES6_jNS0_17counting_iteratorIjlEEPS9_SE_NS0_5tupleIJPjSE_EEENSF_IJSE_SE_EEES9_SG_JZNS1_25segmented_radix_sort_implINS0_14default_configELb1EPK12hip_bfloat16PSL_PKlPlN2at6native12_GLOBAL__N_18offset_tEEE10hipError_tPvRmT1_PNSt15iterator_traitsISZ_E10value_typeET2_T3_PNS10_IS15_E10value_typeET4_jRbjT5_S1B_jjP12ihipStream_tbEUljE_EEESW_SX_SY_S15_S19_S1B_T6_T7_T9_mT8_S1D_bDpT10_ENKUlT_T0_E_clISt17integral_constantIbLb1EES1Q_EEDaS1L_S1M_EUlS1L_E_NS1_11comp_targetILNS1_3genE9ELNS1_11target_archE1100ELNS1_3gpuE3ELNS1_3repE0EEENS1_30default_config_static_selectorELNS0_4arch9wavefront6targetE0EEEvSZ_: ; @_ZN7rocprim17ROCPRIM_400000_NS6detail17trampoline_kernelINS0_13select_configILj256ELj13ELNS0_17block_load_methodE3ELS4_3ELS4_3ELNS0_20block_scan_algorithmE0ELj4294967295EEENS1_25partition_config_selectorILNS1_17partition_subalgoE3EjNS0_10empty_typeEbEEZZNS1_14partition_implILS8_3ELb0ES6_jNS0_17counting_iteratorIjlEEPS9_SE_NS0_5tupleIJPjSE_EEENSF_IJSE_SE_EEES9_SG_JZNS1_25segmented_radix_sort_implINS0_14default_configELb1EPK12hip_bfloat16PSL_PKlPlN2at6native12_GLOBAL__N_18offset_tEEE10hipError_tPvRmT1_PNSt15iterator_traitsISZ_E10value_typeET2_T3_PNS10_IS15_E10value_typeET4_jRbjT5_S1B_jjP12ihipStream_tbEUljE_EEESW_SX_SY_S15_S19_S1B_T6_T7_T9_mT8_S1D_bDpT10_ENKUlT_T0_E_clISt17integral_constantIbLb1EES1Q_EEDaS1L_S1M_EUlS1L_E_NS1_11comp_targetILNS1_3genE9ELNS1_11target_archE1100ELNS1_3gpuE3ELNS1_3repE0EEENS1_30default_config_static_selectorELNS0_4arch9wavefront6targetE0EEEvSZ_
; %bb.0:
	.section	.rodata,"a",@progbits
	.p2align	6, 0x0
	.amdhsa_kernel _ZN7rocprim17ROCPRIM_400000_NS6detail17trampoline_kernelINS0_13select_configILj256ELj13ELNS0_17block_load_methodE3ELS4_3ELS4_3ELNS0_20block_scan_algorithmE0ELj4294967295EEENS1_25partition_config_selectorILNS1_17partition_subalgoE3EjNS0_10empty_typeEbEEZZNS1_14partition_implILS8_3ELb0ES6_jNS0_17counting_iteratorIjlEEPS9_SE_NS0_5tupleIJPjSE_EEENSF_IJSE_SE_EEES9_SG_JZNS1_25segmented_radix_sort_implINS0_14default_configELb1EPK12hip_bfloat16PSL_PKlPlN2at6native12_GLOBAL__N_18offset_tEEE10hipError_tPvRmT1_PNSt15iterator_traitsISZ_E10value_typeET2_T3_PNS10_IS15_E10value_typeET4_jRbjT5_S1B_jjP12ihipStream_tbEUljE_EEESW_SX_SY_S15_S19_S1B_T6_T7_T9_mT8_S1D_bDpT10_ENKUlT_T0_E_clISt17integral_constantIbLb1EES1Q_EEDaS1L_S1M_EUlS1L_E_NS1_11comp_targetILNS1_3genE9ELNS1_11target_archE1100ELNS1_3gpuE3ELNS1_3repE0EEENS1_30default_config_static_selectorELNS0_4arch9wavefront6targetE0EEEvSZ_
		.amdhsa_group_segment_fixed_size 0
		.amdhsa_private_segment_fixed_size 0
		.amdhsa_kernarg_size 152
		.amdhsa_user_sgpr_count 2
		.amdhsa_user_sgpr_dispatch_ptr 0
		.amdhsa_user_sgpr_queue_ptr 0
		.amdhsa_user_sgpr_kernarg_segment_ptr 1
		.amdhsa_user_sgpr_dispatch_id 0
		.amdhsa_user_sgpr_private_segment_size 0
		.amdhsa_wavefront_size32 1
		.amdhsa_uses_dynamic_stack 0
		.amdhsa_enable_private_segment 0
		.amdhsa_system_sgpr_workgroup_id_x 1
		.amdhsa_system_sgpr_workgroup_id_y 0
		.amdhsa_system_sgpr_workgroup_id_z 0
		.amdhsa_system_sgpr_workgroup_info 0
		.amdhsa_system_vgpr_workitem_id 0
		.amdhsa_next_free_vgpr 1
		.amdhsa_next_free_sgpr 1
		.amdhsa_reserve_vcc 0
		.amdhsa_float_round_mode_32 0
		.amdhsa_float_round_mode_16_64 0
		.amdhsa_float_denorm_mode_32 3
		.amdhsa_float_denorm_mode_16_64 3
		.amdhsa_fp16_overflow 0
		.amdhsa_workgroup_processor_mode 1
		.amdhsa_memory_ordered 1
		.amdhsa_forward_progress 1
		.amdhsa_inst_pref_size 0
		.amdhsa_round_robin_scheduling 0
		.amdhsa_exception_fp_ieee_invalid_op 0
		.amdhsa_exception_fp_denorm_src 0
		.amdhsa_exception_fp_ieee_div_zero 0
		.amdhsa_exception_fp_ieee_overflow 0
		.amdhsa_exception_fp_ieee_underflow 0
		.amdhsa_exception_fp_ieee_inexact 0
		.amdhsa_exception_int_div_zero 0
	.end_amdhsa_kernel
	.section	.text._ZN7rocprim17ROCPRIM_400000_NS6detail17trampoline_kernelINS0_13select_configILj256ELj13ELNS0_17block_load_methodE3ELS4_3ELS4_3ELNS0_20block_scan_algorithmE0ELj4294967295EEENS1_25partition_config_selectorILNS1_17partition_subalgoE3EjNS0_10empty_typeEbEEZZNS1_14partition_implILS8_3ELb0ES6_jNS0_17counting_iteratorIjlEEPS9_SE_NS0_5tupleIJPjSE_EEENSF_IJSE_SE_EEES9_SG_JZNS1_25segmented_radix_sort_implINS0_14default_configELb1EPK12hip_bfloat16PSL_PKlPlN2at6native12_GLOBAL__N_18offset_tEEE10hipError_tPvRmT1_PNSt15iterator_traitsISZ_E10value_typeET2_T3_PNS10_IS15_E10value_typeET4_jRbjT5_S1B_jjP12ihipStream_tbEUljE_EEESW_SX_SY_S15_S19_S1B_T6_T7_T9_mT8_S1D_bDpT10_ENKUlT_T0_E_clISt17integral_constantIbLb1EES1Q_EEDaS1L_S1M_EUlS1L_E_NS1_11comp_targetILNS1_3genE9ELNS1_11target_archE1100ELNS1_3gpuE3ELNS1_3repE0EEENS1_30default_config_static_selectorELNS0_4arch9wavefront6targetE0EEEvSZ_,"axG",@progbits,_ZN7rocprim17ROCPRIM_400000_NS6detail17trampoline_kernelINS0_13select_configILj256ELj13ELNS0_17block_load_methodE3ELS4_3ELS4_3ELNS0_20block_scan_algorithmE0ELj4294967295EEENS1_25partition_config_selectorILNS1_17partition_subalgoE3EjNS0_10empty_typeEbEEZZNS1_14partition_implILS8_3ELb0ES6_jNS0_17counting_iteratorIjlEEPS9_SE_NS0_5tupleIJPjSE_EEENSF_IJSE_SE_EEES9_SG_JZNS1_25segmented_radix_sort_implINS0_14default_configELb1EPK12hip_bfloat16PSL_PKlPlN2at6native12_GLOBAL__N_18offset_tEEE10hipError_tPvRmT1_PNSt15iterator_traitsISZ_E10value_typeET2_T3_PNS10_IS15_E10value_typeET4_jRbjT5_S1B_jjP12ihipStream_tbEUljE_EEESW_SX_SY_S15_S19_S1B_T6_T7_T9_mT8_S1D_bDpT10_ENKUlT_T0_E_clISt17integral_constantIbLb1EES1Q_EEDaS1L_S1M_EUlS1L_E_NS1_11comp_targetILNS1_3genE9ELNS1_11target_archE1100ELNS1_3gpuE3ELNS1_3repE0EEENS1_30default_config_static_selectorELNS0_4arch9wavefront6targetE0EEEvSZ_,comdat
.Lfunc_end1928:
	.size	_ZN7rocprim17ROCPRIM_400000_NS6detail17trampoline_kernelINS0_13select_configILj256ELj13ELNS0_17block_load_methodE3ELS4_3ELS4_3ELNS0_20block_scan_algorithmE0ELj4294967295EEENS1_25partition_config_selectorILNS1_17partition_subalgoE3EjNS0_10empty_typeEbEEZZNS1_14partition_implILS8_3ELb0ES6_jNS0_17counting_iteratorIjlEEPS9_SE_NS0_5tupleIJPjSE_EEENSF_IJSE_SE_EEES9_SG_JZNS1_25segmented_radix_sort_implINS0_14default_configELb1EPK12hip_bfloat16PSL_PKlPlN2at6native12_GLOBAL__N_18offset_tEEE10hipError_tPvRmT1_PNSt15iterator_traitsISZ_E10value_typeET2_T3_PNS10_IS15_E10value_typeET4_jRbjT5_S1B_jjP12ihipStream_tbEUljE_EEESW_SX_SY_S15_S19_S1B_T6_T7_T9_mT8_S1D_bDpT10_ENKUlT_T0_E_clISt17integral_constantIbLb1EES1Q_EEDaS1L_S1M_EUlS1L_E_NS1_11comp_targetILNS1_3genE9ELNS1_11target_archE1100ELNS1_3gpuE3ELNS1_3repE0EEENS1_30default_config_static_selectorELNS0_4arch9wavefront6targetE0EEEvSZ_, .Lfunc_end1928-_ZN7rocprim17ROCPRIM_400000_NS6detail17trampoline_kernelINS0_13select_configILj256ELj13ELNS0_17block_load_methodE3ELS4_3ELS4_3ELNS0_20block_scan_algorithmE0ELj4294967295EEENS1_25partition_config_selectorILNS1_17partition_subalgoE3EjNS0_10empty_typeEbEEZZNS1_14partition_implILS8_3ELb0ES6_jNS0_17counting_iteratorIjlEEPS9_SE_NS0_5tupleIJPjSE_EEENSF_IJSE_SE_EEES9_SG_JZNS1_25segmented_radix_sort_implINS0_14default_configELb1EPK12hip_bfloat16PSL_PKlPlN2at6native12_GLOBAL__N_18offset_tEEE10hipError_tPvRmT1_PNSt15iterator_traitsISZ_E10value_typeET2_T3_PNS10_IS15_E10value_typeET4_jRbjT5_S1B_jjP12ihipStream_tbEUljE_EEESW_SX_SY_S15_S19_S1B_T6_T7_T9_mT8_S1D_bDpT10_ENKUlT_T0_E_clISt17integral_constantIbLb1EES1Q_EEDaS1L_S1M_EUlS1L_E_NS1_11comp_targetILNS1_3genE9ELNS1_11target_archE1100ELNS1_3gpuE3ELNS1_3repE0EEENS1_30default_config_static_selectorELNS0_4arch9wavefront6targetE0EEEvSZ_
                                        ; -- End function
	.set _ZN7rocprim17ROCPRIM_400000_NS6detail17trampoline_kernelINS0_13select_configILj256ELj13ELNS0_17block_load_methodE3ELS4_3ELS4_3ELNS0_20block_scan_algorithmE0ELj4294967295EEENS1_25partition_config_selectorILNS1_17partition_subalgoE3EjNS0_10empty_typeEbEEZZNS1_14partition_implILS8_3ELb0ES6_jNS0_17counting_iteratorIjlEEPS9_SE_NS0_5tupleIJPjSE_EEENSF_IJSE_SE_EEES9_SG_JZNS1_25segmented_radix_sort_implINS0_14default_configELb1EPK12hip_bfloat16PSL_PKlPlN2at6native12_GLOBAL__N_18offset_tEEE10hipError_tPvRmT1_PNSt15iterator_traitsISZ_E10value_typeET2_T3_PNS10_IS15_E10value_typeET4_jRbjT5_S1B_jjP12ihipStream_tbEUljE_EEESW_SX_SY_S15_S19_S1B_T6_T7_T9_mT8_S1D_bDpT10_ENKUlT_T0_E_clISt17integral_constantIbLb1EES1Q_EEDaS1L_S1M_EUlS1L_E_NS1_11comp_targetILNS1_3genE9ELNS1_11target_archE1100ELNS1_3gpuE3ELNS1_3repE0EEENS1_30default_config_static_selectorELNS0_4arch9wavefront6targetE0EEEvSZ_.num_vgpr, 0
	.set _ZN7rocprim17ROCPRIM_400000_NS6detail17trampoline_kernelINS0_13select_configILj256ELj13ELNS0_17block_load_methodE3ELS4_3ELS4_3ELNS0_20block_scan_algorithmE0ELj4294967295EEENS1_25partition_config_selectorILNS1_17partition_subalgoE3EjNS0_10empty_typeEbEEZZNS1_14partition_implILS8_3ELb0ES6_jNS0_17counting_iteratorIjlEEPS9_SE_NS0_5tupleIJPjSE_EEENSF_IJSE_SE_EEES9_SG_JZNS1_25segmented_radix_sort_implINS0_14default_configELb1EPK12hip_bfloat16PSL_PKlPlN2at6native12_GLOBAL__N_18offset_tEEE10hipError_tPvRmT1_PNSt15iterator_traitsISZ_E10value_typeET2_T3_PNS10_IS15_E10value_typeET4_jRbjT5_S1B_jjP12ihipStream_tbEUljE_EEESW_SX_SY_S15_S19_S1B_T6_T7_T9_mT8_S1D_bDpT10_ENKUlT_T0_E_clISt17integral_constantIbLb1EES1Q_EEDaS1L_S1M_EUlS1L_E_NS1_11comp_targetILNS1_3genE9ELNS1_11target_archE1100ELNS1_3gpuE3ELNS1_3repE0EEENS1_30default_config_static_selectorELNS0_4arch9wavefront6targetE0EEEvSZ_.num_agpr, 0
	.set _ZN7rocprim17ROCPRIM_400000_NS6detail17trampoline_kernelINS0_13select_configILj256ELj13ELNS0_17block_load_methodE3ELS4_3ELS4_3ELNS0_20block_scan_algorithmE0ELj4294967295EEENS1_25partition_config_selectorILNS1_17partition_subalgoE3EjNS0_10empty_typeEbEEZZNS1_14partition_implILS8_3ELb0ES6_jNS0_17counting_iteratorIjlEEPS9_SE_NS0_5tupleIJPjSE_EEENSF_IJSE_SE_EEES9_SG_JZNS1_25segmented_radix_sort_implINS0_14default_configELb1EPK12hip_bfloat16PSL_PKlPlN2at6native12_GLOBAL__N_18offset_tEEE10hipError_tPvRmT1_PNSt15iterator_traitsISZ_E10value_typeET2_T3_PNS10_IS15_E10value_typeET4_jRbjT5_S1B_jjP12ihipStream_tbEUljE_EEESW_SX_SY_S15_S19_S1B_T6_T7_T9_mT8_S1D_bDpT10_ENKUlT_T0_E_clISt17integral_constantIbLb1EES1Q_EEDaS1L_S1M_EUlS1L_E_NS1_11comp_targetILNS1_3genE9ELNS1_11target_archE1100ELNS1_3gpuE3ELNS1_3repE0EEENS1_30default_config_static_selectorELNS0_4arch9wavefront6targetE0EEEvSZ_.numbered_sgpr, 0
	.set _ZN7rocprim17ROCPRIM_400000_NS6detail17trampoline_kernelINS0_13select_configILj256ELj13ELNS0_17block_load_methodE3ELS4_3ELS4_3ELNS0_20block_scan_algorithmE0ELj4294967295EEENS1_25partition_config_selectorILNS1_17partition_subalgoE3EjNS0_10empty_typeEbEEZZNS1_14partition_implILS8_3ELb0ES6_jNS0_17counting_iteratorIjlEEPS9_SE_NS0_5tupleIJPjSE_EEENSF_IJSE_SE_EEES9_SG_JZNS1_25segmented_radix_sort_implINS0_14default_configELb1EPK12hip_bfloat16PSL_PKlPlN2at6native12_GLOBAL__N_18offset_tEEE10hipError_tPvRmT1_PNSt15iterator_traitsISZ_E10value_typeET2_T3_PNS10_IS15_E10value_typeET4_jRbjT5_S1B_jjP12ihipStream_tbEUljE_EEESW_SX_SY_S15_S19_S1B_T6_T7_T9_mT8_S1D_bDpT10_ENKUlT_T0_E_clISt17integral_constantIbLb1EES1Q_EEDaS1L_S1M_EUlS1L_E_NS1_11comp_targetILNS1_3genE9ELNS1_11target_archE1100ELNS1_3gpuE3ELNS1_3repE0EEENS1_30default_config_static_selectorELNS0_4arch9wavefront6targetE0EEEvSZ_.num_named_barrier, 0
	.set _ZN7rocprim17ROCPRIM_400000_NS6detail17trampoline_kernelINS0_13select_configILj256ELj13ELNS0_17block_load_methodE3ELS4_3ELS4_3ELNS0_20block_scan_algorithmE0ELj4294967295EEENS1_25partition_config_selectorILNS1_17partition_subalgoE3EjNS0_10empty_typeEbEEZZNS1_14partition_implILS8_3ELb0ES6_jNS0_17counting_iteratorIjlEEPS9_SE_NS0_5tupleIJPjSE_EEENSF_IJSE_SE_EEES9_SG_JZNS1_25segmented_radix_sort_implINS0_14default_configELb1EPK12hip_bfloat16PSL_PKlPlN2at6native12_GLOBAL__N_18offset_tEEE10hipError_tPvRmT1_PNSt15iterator_traitsISZ_E10value_typeET2_T3_PNS10_IS15_E10value_typeET4_jRbjT5_S1B_jjP12ihipStream_tbEUljE_EEESW_SX_SY_S15_S19_S1B_T6_T7_T9_mT8_S1D_bDpT10_ENKUlT_T0_E_clISt17integral_constantIbLb1EES1Q_EEDaS1L_S1M_EUlS1L_E_NS1_11comp_targetILNS1_3genE9ELNS1_11target_archE1100ELNS1_3gpuE3ELNS1_3repE0EEENS1_30default_config_static_selectorELNS0_4arch9wavefront6targetE0EEEvSZ_.private_seg_size, 0
	.set _ZN7rocprim17ROCPRIM_400000_NS6detail17trampoline_kernelINS0_13select_configILj256ELj13ELNS0_17block_load_methodE3ELS4_3ELS4_3ELNS0_20block_scan_algorithmE0ELj4294967295EEENS1_25partition_config_selectorILNS1_17partition_subalgoE3EjNS0_10empty_typeEbEEZZNS1_14partition_implILS8_3ELb0ES6_jNS0_17counting_iteratorIjlEEPS9_SE_NS0_5tupleIJPjSE_EEENSF_IJSE_SE_EEES9_SG_JZNS1_25segmented_radix_sort_implINS0_14default_configELb1EPK12hip_bfloat16PSL_PKlPlN2at6native12_GLOBAL__N_18offset_tEEE10hipError_tPvRmT1_PNSt15iterator_traitsISZ_E10value_typeET2_T3_PNS10_IS15_E10value_typeET4_jRbjT5_S1B_jjP12ihipStream_tbEUljE_EEESW_SX_SY_S15_S19_S1B_T6_T7_T9_mT8_S1D_bDpT10_ENKUlT_T0_E_clISt17integral_constantIbLb1EES1Q_EEDaS1L_S1M_EUlS1L_E_NS1_11comp_targetILNS1_3genE9ELNS1_11target_archE1100ELNS1_3gpuE3ELNS1_3repE0EEENS1_30default_config_static_selectorELNS0_4arch9wavefront6targetE0EEEvSZ_.uses_vcc, 0
	.set _ZN7rocprim17ROCPRIM_400000_NS6detail17trampoline_kernelINS0_13select_configILj256ELj13ELNS0_17block_load_methodE3ELS4_3ELS4_3ELNS0_20block_scan_algorithmE0ELj4294967295EEENS1_25partition_config_selectorILNS1_17partition_subalgoE3EjNS0_10empty_typeEbEEZZNS1_14partition_implILS8_3ELb0ES6_jNS0_17counting_iteratorIjlEEPS9_SE_NS0_5tupleIJPjSE_EEENSF_IJSE_SE_EEES9_SG_JZNS1_25segmented_radix_sort_implINS0_14default_configELb1EPK12hip_bfloat16PSL_PKlPlN2at6native12_GLOBAL__N_18offset_tEEE10hipError_tPvRmT1_PNSt15iterator_traitsISZ_E10value_typeET2_T3_PNS10_IS15_E10value_typeET4_jRbjT5_S1B_jjP12ihipStream_tbEUljE_EEESW_SX_SY_S15_S19_S1B_T6_T7_T9_mT8_S1D_bDpT10_ENKUlT_T0_E_clISt17integral_constantIbLb1EES1Q_EEDaS1L_S1M_EUlS1L_E_NS1_11comp_targetILNS1_3genE9ELNS1_11target_archE1100ELNS1_3gpuE3ELNS1_3repE0EEENS1_30default_config_static_selectorELNS0_4arch9wavefront6targetE0EEEvSZ_.uses_flat_scratch, 0
	.set _ZN7rocprim17ROCPRIM_400000_NS6detail17trampoline_kernelINS0_13select_configILj256ELj13ELNS0_17block_load_methodE3ELS4_3ELS4_3ELNS0_20block_scan_algorithmE0ELj4294967295EEENS1_25partition_config_selectorILNS1_17partition_subalgoE3EjNS0_10empty_typeEbEEZZNS1_14partition_implILS8_3ELb0ES6_jNS0_17counting_iteratorIjlEEPS9_SE_NS0_5tupleIJPjSE_EEENSF_IJSE_SE_EEES9_SG_JZNS1_25segmented_radix_sort_implINS0_14default_configELb1EPK12hip_bfloat16PSL_PKlPlN2at6native12_GLOBAL__N_18offset_tEEE10hipError_tPvRmT1_PNSt15iterator_traitsISZ_E10value_typeET2_T3_PNS10_IS15_E10value_typeET4_jRbjT5_S1B_jjP12ihipStream_tbEUljE_EEESW_SX_SY_S15_S19_S1B_T6_T7_T9_mT8_S1D_bDpT10_ENKUlT_T0_E_clISt17integral_constantIbLb1EES1Q_EEDaS1L_S1M_EUlS1L_E_NS1_11comp_targetILNS1_3genE9ELNS1_11target_archE1100ELNS1_3gpuE3ELNS1_3repE0EEENS1_30default_config_static_selectorELNS0_4arch9wavefront6targetE0EEEvSZ_.has_dyn_sized_stack, 0
	.set _ZN7rocprim17ROCPRIM_400000_NS6detail17trampoline_kernelINS0_13select_configILj256ELj13ELNS0_17block_load_methodE3ELS4_3ELS4_3ELNS0_20block_scan_algorithmE0ELj4294967295EEENS1_25partition_config_selectorILNS1_17partition_subalgoE3EjNS0_10empty_typeEbEEZZNS1_14partition_implILS8_3ELb0ES6_jNS0_17counting_iteratorIjlEEPS9_SE_NS0_5tupleIJPjSE_EEENSF_IJSE_SE_EEES9_SG_JZNS1_25segmented_radix_sort_implINS0_14default_configELb1EPK12hip_bfloat16PSL_PKlPlN2at6native12_GLOBAL__N_18offset_tEEE10hipError_tPvRmT1_PNSt15iterator_traitsISZ_E10value_typeET2_T3_PNS10_IS15_E10value_typeET4_jRbjT5_S1B_jjP12ihipStream_tbEUljE_EEESW_SX_SY_S15_S19_S1B_T6_T7_T9_mT8_S1D_bDpT10_ENKUlT_T0_E_clISt17integral_constantIbLb1EES1Q_EEDaS1L_S1M_EUlS1L_E_NS1_11comp_targetILNS1_3genE9ELNS1_11target_archE1100ELNS1_3gpuE3ELNS1_3repE0EEENS1_30default_config_static_selectorELNS0_4arch9wavefront6targetE0EEEvSZ_.has_recursion, 0
	.set _ZN7rocprim17ROCPRIM_400000_NS6detail17trampoline_kernelINS0_13select_configILj256ELj13ELNS0_17block_load_methodE3ELS4_3ELS4_3ELNS0_20block_scan_algorithmE0ELj4294967295EEENS1_25partition_config_selectorILNS1_17partition_subalgoE3EjNS0_10empty_typeEbEEZZNS1_14partition_implILS8_3ELb0ES6_jNS0_17counting_iteratorIjlEEPS9_SE_NS0_5tupleIJPjSE_EEENSF_IJSE_SE_EEES9_SG_JZNS1_25segmented_radix_sort_implINS0_14default_configELb1EPK12hip_bfloat16PSL_PKlPlN2at6native12_GLOBAL__N_18offset_tEEE10hipError_tPvRmT1_PNSt15iterator_traitsISZ_E10value_typeET2_T3_PNS10_IS15_E10value_typeET4_jRbjT5_S1B_jjP12ihipStream_tbEUljE_EEESW_SX_SY_S15_S19_S1B_T6_T7_T9_mT8_S1D_bDpT10_ENKUlT_T0_E_clISt17integral_constantIbLb1EES1Q_EEDaS1L_S1M_EUlS1L_E_NS1_11comp_targetILNS1_3genE9ELNS1_11target_archE1100ELNS1_3gpuE3ELNS1_3repE0EEENS1_30default_config_static_selectorELNS0_4arch9wavefront6targetE0EEEvSZ_.has_indirect_call, 0
	.section	.AMDGPU.csdata,"",@progbits
; Kernel info:
; codeLenInByte = 0
; TotalNumSgprs: 0
; NumVgprs: 0
; ScratchSize: 0
; MemoryBound: 0
; FloatMode: 240
; IeeeMode: 1
; LDSByteSize: 0 bytes/workgroup (compile time only)
; SGPRBlocks: 0
; VGPRBlocks: 0
; NumSGPRsForWavesPerEU: 1
; NumVGPRsForWavesPerEU: 1
; Occupancy: 16
; WaveLimiterHint : 0
; COMPUTE_PGM_RSRC2:SCRATCH_EN: 0
; COMPUTE_PGM_RSRC2:USER_SGPR: 2
; COMPUTE_PGM_RSRC2:TRAP_HANDLER: 0
; COMPUTE_PGM_RSRC2:TGID_X_EN: 1
; COMPUTE_PGM_RSRC2:TGID_Y_EN: 0
; COMPUTE_PGM_RSRC2:TGID_Z_EN: 0
; COMPUTE_PGM_RSRC2:TIDIG_COMP_CNT: 0
	.section	.text._ZN7rocprim17ROCPRIM_400000_NS6detail17trampoline_kernelINS0_13select_configILj256ELj13ELNS0_17block_load_methodE3ELS4_3ELS4_3ELNS0_20block_scan_algorithmE0ELj4294967295EEENS1_25partition_config_selectorILNS1_17partition_subalgoE3EjNS0_10empty_typeEbEEZZNS1_14partition_implILS8_3ELb0ES6_jNS0_17counting_iteratorIjlEEPS9_SE_NS0_5tupleIJPjSE_EEENSF_IJSE_SE_EEES9_SG_JZNS1_25segmented_radix_sort_implINS0_14default_configELb1EPK12hip_bfloat16PSL_PKlPlN2at6native12_GLOBAL__N_18offset_tEEE10hipError_tPvRmT1_PNSt15iterator_traitsISZ_E10value_typeET2_T3_PNS10_IS15_E10value_typeET4_jRbjT5_S1B_jjP12ihipStream_tbEUljE_EEESW_SX_SY_S15_S19_S1B_T6_T7_T9_mT8_S1D_bDpT10_ENKUlT_T0_E_clISt17integral_constantIbLb1EES1Q_EEDaS1L_S1M_EUlS1L_E_NS1_11comp_targetILNS1_3genE8ELNS1_11target_archE1030ELNS1_3gpuE2ELNS1_3repE0EEENS1_30default_config_static_selectorELNS0_4arch9wavefront6targetE0EEEvSZ_,"axG",@progbits,_ZN7rocprim17ROCPRIM_400000_NS6detail17trampoline_kernelINS0_13select_configILj256ELj13ELNS0_17block_load_methodE3ELS4_3ELS4_3ELNS0_20block_scan_algorithmE0ELj4294967295EEENS1_25partition_config_selectorILNS1_17partition_subalgoE3EjNS0_10empty_typeEbEEZZNS1_14partition_implILS8_3ELb0ES6_jNS0_17counting_iteratorIjlEEPS9_SE_NS0_5tupleIJPjSE_EEENSF_IJSE_SE_EEES9_SG_JZNS1_25segmented_radix_sort_implINS0_14default_configELb1EPK12hip_bfloat16PSL_PKlPlN2at6native12_GLOBAL__N_18offset_tEEE10hipError_tPvRmT1_PNSt15iterator_traitsISZ_E10value_typeET2_T3_PNS10_IS15_E10value_typeET4_jRbjT5_S1B_jjP12ihipStream_tbEUljE_EEESW_SX_SY_S15_S19_S1B_T6_T7_T9_mT8_S1D_bDpT10_ENKUlT_T0_E_clISt17integral_constantIbLb1EES1Q_EEDaS1L_S1M_EUlS1L_E_NS1_11comp_targetILNS1_3genE8ELNS1_11target_archE1030ELNS1_3gpuE2ELNS1_3repE0EEENS1_30default_config_static_selectorELNS0_4arch9wavefront6targetE0EEEvSZ_,comdat
	.globl	_ZN7rocprim17ROCPRIM_400000_NS6detail17trampoline_kernelINS0_13select_configILj256ELj13ELNS0_17block_load_methodE3ELS4_3ELS4_3ELNS0_20block_scan_algorithmE0ELj4294967295EEENS1_25partition_config_selectorILNS1_17partition_subalgoE3EjNS0_10empty_typeEbEEZZNS1_14partition_implILS8_3ELb0ES6_jNS0_17counting_iteratorIjlEEPS9_SE_NS0_5tupleIJPjSE_EEENSF_IJSE_SE_EEES9_SG_JZNS1_25segmented_radix_sort_implINS0_14default_configELb1EPK12hip_bfloat16PSL_PKlPlN2at6native12_GLOBAL__N_18offset_tEEE10hipError_tPvRmT1_PNSt15iterator_traitsISZ_E10value_typeET2_T3_PNS10_IS15_E10value_typeET4_jRbjT5_S1B_jjP12ihipStream_tbEUljE_EEESW_SX_SY_S15_S19_S1B_T6_T7_T9_mT8_S1D_bDpT10_ENKUlT_T0_E_clISt17integral_constantIbLb1EES1Q_EEDaS1L_S1M_EUlS1L_E_NS1_11comp_targetILNS1_3genE8ELNS1_11target_archE1030ELNS1_3gpuE2ELNS1_3repE0EEENS1_30default_config_static_selectorELNS0_4arch9wavefront6targetE0EEEvSZ_ ; -- Begin function _ZN7rocprim17ROCPRIM_400000_NS6detail17trampoline_kernelINS0_13select_configILj256ELj13ELNS0_17block_load_methodE3ELS4_3ELS4_3ELNS0_20block_scan_algorithmE0ELj4294967295EEENS1_25partition_config_selectorILNS1_17partition_subalgoE3EjNS0_10empty_typeEbEEZZNS1_14partition_implILS8_3ELb0ES6_jNS0_17counting_iteratorIjlEEPS9_SE_NS0_5tupleIJPjSE_EEENSF_IJSE_SE_EEES9_SG_JZNS1_25segmented_radix_sort_implINS0_14default_configELb1EPK12hip_bfloat16PSL_PKlPlN2at6native12_GLOBAL__N_18offset_tEEE10hipError_tPvRmT1_PNSt15iterator_traitsISZ_E10value_typeET2_T3_PNS10_IS15_E10value_typeET4_jRbjT5_S1B_jjP12ihipStream_tbEUljE_EEESW_SX_SY_S15_S19_S1B_T6_T7_T9_mT8_S1D_bDpT10_ENKUlT_T0_E_clISt17integral_constantIbLb1EES1Q_EEDaS1L_S1M_EUlS1L_E_NS1_11comp_targetILNS1_3genE8ELNS1_11target_archE1030ELNS1_3gpuE2ELNS1_3repE0EEENS1_30default_config_static_selectorELNS0_4arch9wavefront6targetE0EEEvSZ_
	.p2align	8
	.type	_ZN7rocprim17ROCPRIM_400000_NS6detail17trampoline_kernelINS0_13select_configILj256ELj13ELNS0_17block_load_methodE3ELS4_3ELS4_3ELNS0_20block_scan_algorithmE0ELj4294967295EEENS1_25partition_config_selectorILNS1_17partition_subalgoE3EjNS0_10empty_typeEbEEZZNS1_14partition_implILS8_3ELb0ES6_jNS0_17counting_iteratorIjlEEPS9_SE_NS0_5tupleIJPjSE_EEENSF_IJSE_SE_EEES9_SG_JZNS1_25segmented_radix_sort_implINS0_14default_configELb1EPK12hip_bfloat16PSL_PKlPlN2at6native12_GLOBAL__N_18offset_tEEE10hipError_tPvRmT1_PNSt15iterator_traitsISZ_E10value_typeET2_T3_PNS10_IS15_E10value_typeET4_jRbjT5_S1B_jjP12ihipStream_tbEUljE_EEESW_SX_SY_S15_S19_S1B_T6_T7_T9_mT8_S1D_bDpT10_ENKUlT_T0_E_clISt17integral_constantIbLb1EES1Q_EEDaS1L_S1M_EUlS1L_E_NS1_11comp_targetILNS1_3genE8ELNS1_11target_archE1030ELNS1_3gpuE2ELNS1_3repE0EEENS1_30default_config_static_selectorELNS0_4arch9wavefront6targetE0EEEvSZ_,@function
_ZN7rocprim17ROCPRIM_400000_NS6detail17trampoline_kernelINS0_13select_configILj256ELj13ELNS0_17block_load_methodE3ELS4_3ELS4_3ELNS0_20block_scan_algorithmE0ELj4294967295EEENS1_25partition_config_selectorILNS1_17partition_subalgoE3EjNS0_10empty_typeEbEEZZNS1_14partition_implILS8_3ELb0ES6_jNS0_17counting_iteratorIjlEEPS9_SE_NS0_5tupleIJPjSE_EEENSF_IJSE_SE_EEES9_SG_JZNS1_25segmented_radix_sort_implINS0_14default_configELb1EPK12hip_bfloat16PSL_PKlPlN2at6native12_GLOBAL__N_18offset_tEEE10hipError_tPvRmT1_PNSt15iterator_traitsISZ_E10value_typeET2_T3_PNS10_IS15_E10value_typeET4_jRbjT5_S1B_jjP12ihipStream_tbEUljE_EEESW_SX_SY_S15_S19_S1B_T6_T7_T9_mT8_S1D_bDpT10_ENKUlT_T0_E_clISt17integral_constantIbLb1EES1Q_EEDaS1L_S1M_EUlS1L_E_NS1_11comp_targetILNS1_3genE8ELNS1_11target_archE1030ELNS1_3gpuE2ELNS1_3repE0EEENS1_30default_config_static_selectorELNS0_4arch9wavefront6targetE0EEEvSZ_: ; @_ZN7rocprim17ROCPRIM_400000_NS6detail17trampoline_kernelINS0_13select_configILj256ELj13ELNS0_17block_load_methodE3ELS4_3ELS4_3ELNS0_20block_scan_algorithmE0ELj4294967295EEENS1_25partition_config_selectorILNS1_17partition_subalgoE3EjNS0_10empty_typeEbEEZZNS1_14partition_implILS8_3ELb0ES6_jNS0_17counting_iteratorIjlEEPS9_SE_NS0_5tupleIJPjSE_EEENSF_IJSE_SE_EEES9_SG_JZNS1_25segmented_radix_sort_implINS0_14default_configELb1EPK12hip_bfloat16PSL_PKlPlN2at6native12_GLOBAL__N_18offset_tEEE10hipError_tPvRmT1_PNSt15iterator_traitsISZ_E10value_typeET2_T3_PNS10_IS15_E10value_typeET4_jRbjT5_S1B_jjP12ihipStream_tbEUljE_EEESW_SX_SY_S15_S19_S1B_T6_T7_T9_mT8_S1D_bDpT10_ENKUlT_T0_E_clISt17integral_constantIbLb1EES1Q_EEDaS1L_S1M_EUlS1L_E_NS1_11comp_targetILNS1_3genE8ELNS1_11target_archE1030ELNS1_3gpuE2ELNS1_3repE0EEENS1_30default_config_static_selectorELNS0_4arch9wavefront6targetE0EEEvSZ_
; %bb.0:
	.section	.rodata,"a",@progbits
	.p2align	6, 0x0
	.amdhsa_kernel _ZN7rocprim17ROCPRIM_400000_NS6detail17trampoline_kernelINS0_13select_configILj256ELj13ELNS0_17block_load_methodE3ELS4_3ELS4_3ELNS0_20block_scan_algorithmE0ELj4294967295EEENS1_25partition_config_selectorILNS1_17partition_subalgoE3EjNS0_10empty_typeEbEEZZNS1_14partition_implILS8_3ELb0ES6_jNS0_17counting_iteratorIjlEEPS9_SE_NS0_5tupleIJPjSE_EEENSF_IJSE_SE_EEES9_SG_JZNS1_25segmented_radix_sort_implINS0_14default_configELb1EPK12hip_bfloat16PSL_PKlPlN2at6native12_GLOBAL__N_18offset_tEEE10hipError_tPvRmT1_PNSt15iterator_traitsISZ_E10value_typeET2_T3_PNS10_IS15_E10value_typeET4_jRbjT5_S1B_jjP12ihipStream_tbEUljE_EEESW_SX_SY_S15_S19_S1B_T6_T7_T9_mT8_S1D_bDpT10_ENKUlT_T0_E_clISt17integral_constantIbLb1EES1Q_EEDaS1L_S1M_EUlS1L_E_NS1_11comp_targetILNS1_3genE8ELNS1_11target_archE1030ELNS1_3gpuE2ELNS1_3repE0EEENS1_30default_config_static_selectorELNS0_4arch9wavefront6targetE0EEEvSZ_
		.amdhsa_group_segment_fixed_size 0
		.amdhsa_private_segment_fixed_size 0
		.amdhsa_kernarg_size 152
		.amdhsa_user_sgpr_count 2
		.amdhsa_user_sgpr_dispatch_ptr 0
		.amdhsa_user_sgpr_queue_ptr 0
		.amdhsa_user_sgpr_kernarg_segment_ptr 1
		.amdhsa_user_sgpr_dispatch_id 0
		.amdhsa_user_sgpr_private_segment_size 0
		.amdhsa_wavefront_size32 1
		.amdhsa_uses_dynamic_stack 0
		.amdhsa_enable_private_segment 0
		.amdhsa_system_sgpr_workgroup_id_x 1
		.amdhsa_system_sgpr_workgroup_id_y 0
		.amdhsa_system_sgpr_workgroup_id_z 0
		.amdhsa_system_sgpr_workgroup_info 0
		.amdhsa_system_vgpr_workitem_id 0
		.amdhsa_next_free_vgpr 1
		.amdhsa_next_free_sgpr 1
		.amdhsa_reserve_vcc 0
		.amdhsa_float_round_mode_32 0
		.amdhsa_float_round_mode_16_64 0
		.amdhsa_float_denorm_mode_32 3
		.amdhsa_float_denorm_mode_16_64 3
		.amdhsa_fp16_overflow 0
		.amdhsa_workgroup_processor_mode 1
		.amdhsa_memory_ordered 1
		.amdhsa_forward_progress 1
		.amdhsa_inst_pref_size 0
		.amdhsa_round_robin_scheduling 0
		.amdhsa_exception_fp_ieee_invalid_op 0
		.amdhsa_exception_fp_denorm_src 0
		.amdhsa_exception_fp_ieee_div_zero 0
		.amdhsa_exception_fp_ieee_overflow 0
		.amdhsa_exception_fp_ieee_underflow 0
		.amdhsa_exception_fp_ieee_inexact 0
		.amdhsa_exception_int_div_zero 0
	.end_amdhsa_kernel
	.section	.text._ZN7rocprim17ROCPRIM_400000_NS6detail17trampoline_kernelINS0_13select_configILj256ELj13ELNS0_17block_load_methodE3ELS4_3ELS4_3ELNS0_20block_scan_algorithmE0ELj4294967295EEENS1_25partition_config_selectorILNS1_17partition_subalgoE3EjNS0_10empty_typeEbEEZZNS1_14partition_implILS8_3ELb0ES6_jNS0_17counting_iteratorIjlEEPS9_SE_NS0_5tupleIJPjSE_EEENSF_IJSE_SE_EEES9_SG_JZNS1_25segmented_radix_sort_implINS0_14default_configELb1EPK12hip_bfloat16PSL_PKlPlN2at6native12_GLOBAL__N_18offset_tEEE10hipError_tPvRmT1_PNSt15iterator_traitsISZ_E10value_typeET2_T3_PNS10_IS15_E10value_typeET4_jRbjT5_S1B_jjP12ihipStream_tbEUljE_EEESW_SX_SY_S15_S19_S1B_T6_T7_T9_mT8_S1D_bDpT10_ENKUlT_T0_E_clISt17integral_constantIbLb1EES1Q_EEDaS1L_S1M_EUlS1L_E_NS1_11comp_targetILNS1_3genE8ELNS1_11target_archE1030ELNS1_3gpuE2ELNS1_3repE0EEENS1_30default_config_static_selectorELNS0_4arch9wavefront6targetE0EEEvSZ_,"axG",@progbits,_ZN7rocprim17ROCPRIM_400000_NS6detail17trampoline_kernelINS0_13select_configILj256ELj13ELNS0_17block_load_methodE3ELS4_3ELS4_3ELNS0_20block_scan_algorithmE0ELj4294967295EEENS1_25partition_config_selectorILNS1_17partition_subalgoE3EjNS0_10empty_typeEbEEZZNS1_14partition_implILS8_3ELb0ES6_jNS0_17counting_iteratorIjlEEPS9_SE_NS0_5tupleIJPjSE_EEENSF_IJSE_SE_EEES9_SG_JZNS1_25segmented_radix_sort_implINS0_14default_configELb1EPK12hip_bfloat16PSL_PKlPlN2at6native12_GLOBAL__N_18offset_tEEE10hipError_tPvRmT1_PNSt15iterator_traitsISZ_E10value_typeET2_T3_PNS10_IS15_E10value_typeET4_jRbjT5_S1B_jjP12ihipStream_tbEUljE_EEESW_SX_SY_S15_S19_S1B_T6_T7_T9_mT8_S1D_bDpT10_ENKUlT_T0_E_clISt17integral_constantIbLb1EES1Q_EEDaS1L_S1M_EUlS1L_E_NS1_11comp_targetILNS1_3genE8ELNS1_11target_archE1030ELNS1_3gpuE2ELNS1_3repE0EEENS1_30default_config_static_selectorELNS0_4arch9wavefront6targetE0EEEvSZ_,comdat
.Lfunc_end1929:
	.size	_ZN7rocprim17ROCPRIM_400000_NS6detail17trampoline_kernelINS0_13select_configILj256ELj13ELNS0_17block_load_methodE3ELS4_3ELS4_3ELNS0_20block_scan_algorithmE0ELj4294967295EEENS1_25partition_config_selectorILNS1_17partition_subalgoE3EjNS0_10empty_typeEbEEZZNS1_14partition_implILS8_3ELb0ES6_jNS0_17counting_iteratorIjlEEPS9_SE_NS0_5tupleIJPjSE_EEENSF_IJSE_SE_EEES9_SG_JZNS1_25segmented_radix_sort_implINS0_14default_configELb1EPK12hip_bfloat16PSL_PKlPlN2at6native12_GLOBAL__N_18offset_tEEE10hipError_tPvRmT1_PNSt15iterator_traitsISZ_E10value_typeET2_T3_PNS10_IS15_E10value_typeET4_jRbjT5_S1B_jjP12ihipStream_tbEUljE_EEESW_SX_SY_S15_S19_S1B_T6_T7_T9_mT8_S1D_bDpT10_ENKUlT_T0_E_clISt17integral_constantIbLb1EES1Q_EEDaS1L_S1M_EUlS1L_E_NS1_11comp_targetILNS1_3genE8ELNS1_11target_archE1030ELNS1_3gpuE2ELNS1_3repE0EEENS1_30default_config_static_selectorELNS0_4arch9wavefront6targetE0EEEvSZ_, .Lfunc_end1929-_ZN7rocprim17ROCPRIM_400000_NS6detail17trampoline_kernelINS0_13select_configILj256ELj13ELNS0_17block_load_methodE3ELS4_3ELS4_3ELNS0_20block_scan_algorithmE0ELj4294967295EEENS1_25partition_config_selectorILNS1_17partition_subalgoE3EjNS0_10empty_typeEbEEZZNS1_14partition_implILS8_3ELb0ES6_jNS0_17counting_iteratorIjlEEPS9_SE_NS0_5tupleIJPjSE_EEENSF_IJSE_SE_EEES9_SG_JZNS1_25segmented_radix_sort_implINS0_14default_configELb1EPK12hip_bfloat16PSL_PKlPlN2at6native12_GLOBAL__N_18offset_tEEE10hipError_tPvRmT1_PNSt15iterator_traitsISZ_E10value_typeET2_T3_PNS10_IS15_E10value_typeET4_jRbjT5_S1B_jjP12ihipStream_tbEUljE_EEESW_SX_SY_S15_S19_S1B_T6_T7_T9_mT8_S1D_bDpT10_ENKUlT_T0_E_clISt17integral_constantIbLb1EES1Q_EEDaS1L_S1M_EUlS1L_E_NS1_11comp_targetILNS1_3genE8ELNS1_11target_archE1030ELNS1_3gpuE2ELNS1_3repE0EEENS1_30default_config_static_selectorELNS0_4arch9wavefront6targetE0EEEvSZ_
                                        ; -- End function
	.set _ZN7rocprim17ROCPRIM_400000_NS6detail17trampoline_kernelINS0_13select_configILj256ELj13ELNS0_17block_load_methodE3ELS4_3ELS4_3ELNS0_20block_scan_algorithmE0ELj4294967295EEENS1_25partition_config_selectorILNS1_17partition_subalgoE3EjNS0_10empty_typeEbEEZZNS1_14partition_implILS8_3ELb0ES6_jNS0_17counting_iteratorIjlEEPS9_SE_NS0_5tupleIJPjSE_EEENSF_IJSE_SE_EEES9_SG_JZNS1_25segmented_radix_sort_implINS0_14default_configELb1EPK12hip_bfloat16PSL_PKlPlN2at6native12_GLOBAL__N_18offset_tEEE10hipError_tPvRmT1_PNSt15iterator_traitsISZ_E10value_typeET2_T3_PNS10_IS15_E10value_typeET4_jRbjT5_S1B_jjP12ihipStream_tbEUljE_EEESW_SX_SY_S15_S19_S1B_T6_T7_T9_mT8_S1D_bDpT10_ENKUlT_T0_E_clISt17integral_constantIbLb1EES1Q_EEDaS1L_S1M_EUlS1L_E_NS1_11comp_targetILNS1_3genE8ELNS1_11target_archE1030ELNS1_3gpuE2ELNS1_3repE0EEENS1_30default_config_static_selectorELNS0_4arch9wavefront6targetE0EEEvSZ_.num_vgpr, 0
	.set _ZN7rocprim17ROCPRIM_400000_NS6detail17trampoline_kernelINS0_13select_configILj256ELj13ELNS0_17block_load_methodE3ELS4_3ELS4_3ELNS0_20block_scan_algorithmE0ELj4294967295EEENS1_25partition_config_selectorILNS1_17partition_subalgoE3EjNS0_10empty_typeEbEEZZNS1_14partition_implILS8_3ELb0ES6_jNS0_17counting_iteratorIjlEEPS9_SE_NS0_5tupleIJPjSE_EEENSF_IJSE_SE_EEES9_SG_JZNS1_25segmented_radix_sort_implINS0_14default_configELb1EPK12hip_bfloat16PSL_PKlPlN2at6native12_GLOBAL__N_18offset_tEEE10hipError_tPvRmT1_PNSt15iterator_traitsISZ_E10value_typeET2_T3_PNS10_IS15_E10value_typeET4_jRbjT5_S1B_jjP12ihipStream_tbEUljE_EEESW_SX_SY_S15_S19_S1B_T6_T7_T9_mT8_S1D_bDpT10_ENKUlT_T0_E_clISt17integral_constantIbLb1EES1Q_EEDaS1L_S1M_EUlS1L_E_NS1_11comp_targetILNS1_3genE8ELNS1_11target_archE1030ELNS1_3gpuE2ELNS1_3repE0EEENS1_30default_config_static_selectorELNS0_4arch9wavefront6targetE0EEEvSZ_.num_agpr, 0
	.set _ZN7rocprim17ROCPRIM_400000_NS6detail17trampoline_kernelINS0_13select_configILj256ELj13ELNS0_17block_load_methodE3ELS4_3ELS4_3ELNS0_20block_scan_algorithmE0ELj4294967295EEENS1_25partition_config_selectorILNS1_17partition_subalgoE3EjNS0_10empty_typeEbEEZZNS1_14partition_implILS8_3ELb0ES6_jNS0_17counting_iteratorIjlEEPS9_SE_NS0_5tupleIJPjSE_EEENSF_IJSE_SE_EEES9_SG_JZNS1_25segmented_radix_sort_implINS0_14default_configELb1EPK12hip_bfloat16PSL_PKlPlN2at6native12_GLOBAL__N_18offset_tEEE10hipError_tPvRmT1_PNSt15iterator_traitsISZ_E10value_typeET2_T3_PNS10_IS15_E10value_typeET4_jRbjT5_S1B_jjP12ihipStream_tbEUljE_EEESW_SX_SY_S15_S19_S1B_T6_T7_T9_mT8_S1D_bDpT10_ENKUlT_T0_E_clISt17integral_constantIbLb1EES1Q_EEDaS1L_S1M_EUlS1L_E_NS1_11comp_targetILNS1_3genE8ELNS1_11target_archE1030ELNS1_3gpuE2ELNS1_3repE0EEENS1_30default_config_static_selectorELNS0_4arch9wavefront6targetE0EEEvSZ_.numbered_sgpr, 0
	.set _ZN7rocprim17ROCPRIM_400000_NS6detail17trampoline_kernelINS0_13select_configILj256ELj13ELNS0_17block_load_methodE3ELS4_3ELS4_3ELNS0_20block_scan_algorithmE0ELj4294967295EEENS1_25partition_config_selectorILNS1_17partition_subalgoE3EjNS0_10empty_typeEbEEZZNS1_14partition_implILS8_3ELb0ES6_jNS0_17counting_iteratorIjlEEPS9_SE_NS0_5tupleIJPjSE_EEENSF_IJSE_SE_EEES9_SG_JZNS1_25segmented_radix_sort_implINS0_14default_configELb1EPK12hip_bfloat16PSL_PKlPlN2at6native12_GLOBAL__N_18offset_tEEE10hipError_tPvRmT1_PNSt15iterator_traitsISZ_E10value_typeET2_T3_PNS10_IS15_E10value_typeET4_jRbjT5_S1B_jjP12ihipStream_tbEUljE_EEESW_SX_SY_S15_S19_S1B_T6_T7_T9_mT8_S1D_bDpT10_ENKUlT_T0_E_clISt17integral_constantIbLb1EES1Q_EEDaS1L_S1M_EUlS1L_E_NS1_11comp_targetILNS1_3genE8ELNS1_11target_archE1030ELNS1_3gpuE2ELNS1_3repE0EEENS1_30default_config_static_selectorELNS0_4arch9wavefront6targetE0EEEvSZ_.num_named_barrier, 0
	.set _ZN7rocprim17ROCPRIM_400000_NS6detail17trampoline_kernelINS0_13select_configILj256ELj13ELNS0_17block_load_methodE3ELS4_3ELS4_3ELNS0_20block_scan_algorithmE0ELj4294967295EEENS1_25partition_config_selectorILNS1_17partition_subalgoE3EjNS0_10empty_typeEbEEZZNS1_14partition_implILS8_3ELb0ES6_jNS0_17counting_iteratorIjlEEPS9_SE_NS0_5tupleIJPjSE_EEENSF_IJSE_SE_EEES9_SG_JZNS1_25segmented_radix_sort_implINS0_14default_configELb1EPK12hip_bfloat16PSL_PKlPlN2at6native12_GLOBAL__N_18offset_tEEE10hipError_tPvRmT1_PNSt15iterator_traitsISZ_E10value_typeET2_T3_PNS10_IS15_E10value_typeET4_jRbjT5_S1B_jjP12ihipStream_tbEUljE_EEESW_SX_SY_S15_S19_S1B_T6_T7_T9_mT8_S1D_bDpT10_ENKUlT_T0_E_clISt17integral_constantIbLb1EES1Q_EEDaS1L_S1M_EUlS1L_E_NS1_11comp_targetILNS1_3genE8ELNS1_11target_archE1030ELNS1_3gpuE2ELNS1_3repE0EEENS1_30default_config_static_selectorELNS0_4arch9wavefront6targetE0EEEvSZ_.private_seg_size, 0
	.set _ZN7rocprim17ROCPRIM_400000_NS6detail17trampoline_kernelINS0_13select_configILj256ELj13ELNS0_17block_load_methodE3ELS4_3ELS4_3ELNS0_20block_scan_algorithmE0ELj4294967295EEENS1_25partition_config_selectorILNS1_17partition_subalgoE3EjNS0_10empty_typeEbEEZZNS1_14partition_implILS8_3ELb0ES6_jNS0_17counting_iteratorIjlEEPS9_SE_NS0_5tupleIJPjSE_EEENSF_IJSE_SE_EEES9_SG_JZNS1_25segmented_radix_sort_implINS0_14default_configELb1EPK12hip_bfloat16PSL_PKlPlN2at6native12_GLOBAL__N_18offset_tEEE10hipError_tPvRmT1_PNSt15iterator_traitsISZ_E10value_typeET2_T3_PNS10_IS15_E10value_typeET4_jRbjT5_S1B_jjP12ihipStream_tbEUljE_EEESW_SX_SY_S15_S19_S1B_T6_T7_T9_mT8_S1D_bDpT10_ENKUlT_T0_E_clISt17integral_constantIbLb1EES1Q_EEDaS1L_S1M_EUlS1L_E_NS1_11comp_targetILNS1_3genE8ELNS1_11target_archE1030ELNS1_3gpuE2ELNS1_3repE0EEENS1_30default_config_static_selectorELNS0_4arch9wavefront6targetE0EEEvSZ_.uses_vcc, 0
	.set _ZN7rocprim17ROCPRIM_400000_NS6detail17trampoline_kernelINS0_13select_configILj256ELj13ELNS0_17block_load_methodE3ELS4_3ELS4_3ELNS0_20block_scan_algorithmE0ELj4294967295EEENS1_25partition_config_selectorILNS1_17partition_subalgoE3EjNS0_10empty_typeEbEEZZNS1_14partition_implILS8_3ELb0ES6_jNS0_17counting_iteratorIjlEEPS9_SE_NS0_5tupleIJPjSE_EEENSF_IJSE_SE_EEES9_SG_JZNS1_25segmented_radix_sort_implINS0_14default_configELb1EPK12hip_bfloat16PSL_PKlPlN2at6native12_GLOBAL__N_18offset_tEEE10hipError_tPvRmT1_PNSt15iterator_traitsISZ_E10value_typeET2_T3_PNS10_IS15_E10value_typeET4_jRbjT5_S1B_jjP12ihipStream_tbEUljE_EEESW_SX_SY_S15_S19_S1B_T6_T7_T9_mT8_S1D_bDpT10_ENKUlT_T0_E_clISt17integral_constantIbLb1EES1Q_EEDaS1L_S1M_EUlS1L_E_NS1_11comp_targetILNS1_3genE8ELNS1_11target_archE1030ELNS1_3gpuE2ELNS1_3repE0EEENS1_30default_config_static_selectorELNS0_4arch9wavefront6targetE0EEEvSZ_.uses_flat_scratch, 0
	.set _ZN7rocprim17ROCPRIM_400000_NS6detail17trampoline_kernelINS0_13select_configILj256ELj13ELNS0_17block_load_methodE3ELS4_3ELS4_3ELNS0_20block_scan_algorithmE0ELj4294967295EEENS1_25partition_config_selectorILNS1_17partition_subalgoE3EjNS0_10empty_typeEbEEZZNS1_14partition_implILS8_3ELb0ES6_jNS0_17counting_iteratorIjlEEPS9_SE_NS0_5tupleIJPjSE_EEENSF_IJSE_SE_EEES9_SG_JZNS1_25segmented_radix_sort_implINS0_14default_configELb1EPK12hip_bfloat16PSL_PKlPlN2at6native12_GLOBAL__N_18offset_tEEE10hipError_tPvRmT1_PNSt15iterator_traitsISZ_E10value_typeET2_T3_PNS10_IS15_E10value_typeET4_jRbjT5_S1B_jjP12ihipStream_tbEUljE_EEESW_SX_SY_S15_S19_S1B_T6_T7_T9_mT8_S1D_bDpT10_ENKUlT_T0_E_clISt17integral_constantIbLb1EES1Q_EEDaS1L_S1M_EUlS1L_E_NS1_11comp_targetILNS1_3genE8ELNS1_11target_archE1030ELNS1_3gpuE2ELNS1_3repE0EEENS1_30default_config_static_selectorELNS0_4arch9wavefront6targetE0EEEvSZ_.has_dyn_sized_stack, 0
	.set _ZN7rocprim17ROCPRIM_400000_NS6detail17trampoline_kernelINS0_13select_configILj256ELj13ELNS0_17block_load_methodE3ELS4_3ELS4_3ELNS0_20block_scan_algorithmE0ELj4294967295EEENS1_25partition_config_selectorILNS1_17partition_subalgoE3EjNS0_10empty_typeEbEEZZNS1_14partition_implILS8_3ELb0ES6_jNS0_17counting_iteratorIjlEEPS9_SE_NS0_5tupleIJPjSE_EEENSF_IJSE_SE_EEES9_SG_JZNS1_25segmented_radix_sort_implINS0_14default_configELb1EPK12hip_bfloat16PSL_PKlPlN2at6native12_GLOBAL__N_18offset_tEEE10hipError_tPvRmT1_PNSt15iterator_traitsISZ_E10value_typeET2_T3_PNS10_IS15_E10value_typeET4_jRbjT5_S1B_jjP12ihipStream_tbEUljE_EEESW_SX_SY_S15_S19_S1B_T6_T7_T9_mT8_S1D_bDpT10_ENKUlT_T0_E_clISt17integral_constantIbLb1EES1Q_EEDaS1L_S1M_EUlS1L_E_NS1_11comp_targetILNS1_3genE8ELNS1_11target_archE1030ELNS1_3gpuE2ELNS1_3repE0EEENS1_30default_config_static_selectorELNS0_4arch9wavefront6targetE0EEEvSZ_.has_recursion, 0
	.set _ZN7rocprim17ROCPRIM_400000_NS6detail17trampoline_kernelINS0_13select_configILj256ELj13ELNS0_17block_load_methodE3ELS4_3ELS4_3ELNS0_20block_scan_algorithmE0ELj4294967295EEENS1_25partition_config_selectorILNS1_17partition_subalgoE3EjNS0_10empty_typeEbEEZZNS1_14partition_implILS8_3ELb0ES6_jNS0_17counting_iteratorIjlEEPS9_SE_NS0_5tupleIJPjSE_EEENSF_IJSE_SE_EEES9_SG_JZNS1_25segmented_radix_sort_implINS0_14default_configELb1EPK12hip_bfloat16PSL_PKlPlN2at6native12_GLOBAL__N_18offset_tEEE10hipError_tPvRmT1_PNSt15iterator_traitsISZ_E10value_typeET2_T3_PNS10_IS15_E10value_typeET4_jRbjT5_S1B_jjP12ihipStream_tbEUljE_EEESW_SX_SY_S15_S19_S1B_T6_T7_T9_mT8_S1D_bDpT10_ENKUlT_T0_E_clISt17integral_constantIbLb1EES1Q_EEDaS1L_S1M_EUlS1L_E_NS1_11comp_targetILNS1_3genE8ELNS1_11target_archE1030ELNS1_3gpuE2ELNS1_3repE0EEENS1_30default_config_static_selectorELNS0_4arch9wavefront6targetE0EEEvSZ_.has_indirect_call, 0
	.section	.AMDGPU.csdata,"",@progbits
; Kernel info:
; codeLenInByte = 0
; TotalNumSgprs: 0
; NumVgprs: 0
; ScratchSize: 0
; MemoryBound: 0
; FloatMode: 240
; IeeeMode: 1
; LDSByteSize: 0 bytes/workgroup (compile time only)
; SGPRBlocks: 0
; VGPRBlocks: 0
; NumSGPRsForWavesPerEU: 1
; NumVGPRsForWavesPerEU: 1
; Occupancy: 16
; WaveLimiterHint : 0
; COMPUTE_PGM_RSRC2:SCRATCH_EN: 0
; COMPUTE_PGM_RSRC2:USER_SGPR: 2
; COMPUTE_PGM_RSRC2:TRAP_HANDLER: 0
; COMPUTE_PGM_RSRC2:TGID_X_EN: 1
; COMPUTE_PGM_RSRC2:TGID_Y_EN: 0
; COMPUTE_PGM_RSRC2:TGID_Z_EN: 0
; COMPUTE_PGM_RSRC2:TIDIG_COMP_CNT: 0
	.section	.text._ZN7rocprim17ROCPRIM_400000_NS6detail17trampoline_kernelINS0_13select_configILj256ELj13ELNS0_17block_load_methodE3ELS4_3ELS4_3ELNS0_20block_scan_algorithmE0ELj4294967295EEENS1_25partition_config_selectorILNS1_17partition_subalgoE3EjNS0_10empty_typeEbEEZZNS1_14partition_implILS8_3ELb0ES6_jNS0_17counting_iteratorIjlEEPS9_SE_NS0_5tupleIJPjSE_EEENSF_IJSE_SE_EEES9_SG_JZNS1_25segmented_radix_sort_implINS0_14default_configELb1EPK12hip_bfloat16PSL_PKlPlN2at6native12_GLOBAL__N_18offset_tEEE10hipError_tPvRmT1_PNSt15iterator_traitsISZ_E10value_typeET2_T3_PNS10_IS15_E10value_typeET4_jRbjT5_S1B_jjP12ihipStream_tbEUljE_EEESW_SX_SY_S15_S19_S1B_T6_T7_T9_mT8_S1D_bDpT10_ENKUlT_T0_E_clISt17integral_constantIbLb1EES1P_IbLb0EEEEDaS1L_S1M_EUlS1L_E_NS1_11comp_targetILNS1_3genE0ELNS1_11target_archE4294967295ELNS1_3gpuE0ELNS1_3repE0EEENS1_30default_config_static_selectorELNS0_4arch9wavefront6targetE0EEEvSZ_,"axG",@progbits,_ZN7rocprim17ROCPRIM_400000_NS6detail17trampoline_kernelINS0_13select_configILj256ELj13ELNS0_17block_load_methodE3ELS4_3ELS4_3ELNS0_20block_scan_algorithmE0ELj4294967295EEENS1_25partition_config_selectorILNS1_17partition_subalgoE3EjNS0_10empty_typeEbEEZZNS1_14partition_implILS8_3ELb0ES6_jNS0_17counting_iteratorIjlEEPS9_SE_NS0_5tupleIJPjSE_EEENSF_IJSE_SE_EEES9_SG_JZNS1_25segmented_radix_sort_implINS0_14default_configELb1EPK12hip_bfloat16PSL_PKlPlN2at6native12_GLOBAL__N_18offset_tEEE10hipError_tPvRmT1_PNSt15iterator_traitsISZ_E10value_typeET2_T3_PNS10_IS15_E10value_typeET4_jRbjT5_S1B_jjP12ihipStream_tbEUljE_EEESW_SX_SY_S15_S19_S1B_T6_T7_T9_mT8_S1D_bDpT10_ENKUlT_T0_E_clISt17integral_constantIbLb1EES1P_IbLb0EEEEDaS1L_S1M_EUlS1L_E_NS1_11comp_targetILNS1_3genE0ELNS1_11target_archE4294967295ELNS1_3gpuE0ELNS1_3repE0EEENS1_30default_config_static_selectorELNS0_4arch9wavefront6targetE0EEEvSZ_,comdat
	.globl	_ZN7rocprim17ROCPRIM_400000_NS6detail17trampoline_kernelINS0_13select_configILj256ELj13ELNS0_17block_load_methodE3ELS4_3ELS4_3ELNS0_20block_scan_algorithmE0ELj4294967295EEENS1_25partition_config_selectorILNS1_17partition_subalgoE3EjNS0_10empty_typeEbEEZZNS1_14partition_implILS8_3ELb0ES6_jNS0_17counting_iteratorIjlEEPS9_SE_NS0_5tupleIJPjSE_EEENSF_IJSE_SE_EEES9_SG_JZNS1_25segmented_radix_sort_implINS0_14default_configELb1EPK12hip_bfloat16PSL_PKlPlN2at6native12_GLOBAL__N_18offset_tEEE10hipError_tPvRmT1_PNSt15iterator_traitsISZ_E10value_typeET2_T3_PNS10_IS15_E10value_typeET4_jRbjT5_S1B_jjP12ihipStream_tbEUljE_EEESW_SX_SY_S15_S19_S1B_T6_T7_T9_mT8_S1D_bDpT10_ENKUlT_T0_E_clISt17integral_constantIbLb1EES1P_IbLb0EEEEDaS1L_S1M_EUlS1L_E_NS1_11comp_targetILNS1_3genE0ELNS1_11target_archE4294967295ELNS1_3gpuE0ELNS1_3repE0EEENS1_30default_config_static_selectorELNS0_4arch9wavefront6targetE0EEEvSZ_ ; -- Begin function _ZN7rocprim17ROCPRIM_400000_NS6detail17trampoline_kernelINS0_13select_configILj256ELj13ELNS0_17block_load_methodE3ELS4_3ELS4_3ELNS0_20block_scan_algorithmE0ELj4294967295EEENS1_25partition_config_selectorILNS1_17partition_subalgoE3EjNS0_10empty_typeEbEEZZNS1_14partition_implILS8_3ELb0ES6_jNS0_17counting_iteratorIjlEEPS9_SE_NS0_5tupleIJPjSE_EEENSF_IJSE_SE_EEES9_SG_JZNS1_25segmented_radix_sort_implINS0_14default_configELb1EPK12hip_bfloat16PSL_PKlPlN2at6native12_GLOBAL__N_18offset_tEEE10hipError_tPvRmT1_PNSt15iterator_traitsISZ_E10value_typeET2_T3_PNS10_IS15_E10value_typeET4_jRbjT5_S1B_jjP12ihipStream_tbEUljE_EEESW_SX_SY_S15_S19_S1B_T6_T7_T9_mT8_S1D_bDpT10_ENKUlT_T0_E_clISt17integral_constantIbLb1EES1P_IbLb0EEEEDaS1L_S1M_EUlS1L_E_NS1_11comp_targetILNS1_3genE0ELNS1_11target_archE4294967295ELNS1_3gpuE0ELNS1_3repE0EEENS1_30default_config_static_selectorELNS0_4arch9wavefront6targetE0EEEvSZ_
	.p2align	8
	.type	_ZN7rocprim17ROCPRIM_400000_NS6detail17trampoline_kernelINS0_13select_configILj256ELj13ELNS0_17block_load_methodE3ELS4_3ELS4_3ELNS0_20block_scan_algorithmE0ELj4294967295EEENS1_25partition_config_selectorILNS1_17partition_subalgoE3EjNS0_10empty_typeEbEEZZNS1_14partition_implILS8_3ELb0ES6_jNS0_17counting_iteratorIjlEEPS9_SE_NS0_5tupleIJPjSE_EEENSF_IJSE_SE_EEES9_SG_JZNS1_25segmented_radix_sort_implINS0_14default_configELb1EPK12hip_bfloat16PSL_PKlPlN2at6native12_GLOBAL__N_18offset_tEEE10hipError_tPvRmT1_PNSt15iterator_traitsISZ_E10value_typeET2_T3_PNS10_IS15_E10value_typeET4_jRbjT5_S1B_jjP12ihipStream_tbEUljE_EEESW_SX_SY_S15_S19_S1B_T6_T7_T9_mT8_S1D_bDpT10_ENKUlT_T0_E_clISt17integral_constantIbLb1EES1P_IbLb0EEEEDaS1L_S1M_EUlS1L_E_NS1_11comp_targetILNS1_3genE0ELNS1_11target_archE4294967295ELNS1_3gpuE0ELNS1_3repE0EEENS1_30default_config_static_selectorELNS0_4arch9wavefront6targetE0EEEvSZ_,@function
_ZN7rocprim17ROCPRIM_400000_NS6detail17trampoline_kernelINS0_13select_configILj256ELj13ELNS0_17block_load_methodE3ELS4_3ELS4_3ELNS0_20block_scan_algorithmE0ELj4294967295EEENS1_25partition_config_selectorILNS1_17partition_subalgoE3EjNS0_10empty_typeEbEEZZNS1_14partition_implILS8_3ELb0ES6_jNS0_17counting_iteratorIjlEEPS9_SE_NS0_5tupleIJPjSE_EEENSF_IJSE_SE_EEES9_SG_JZNS1_25segmented_radix_sort_implINS0_14default_configELb1EPK12hip_bfloat16PSL_PKlPlN2at6native12_GLOBAL__N_18offset_tEEE10hipError_tPvRmT1_PNSt15iterator_traitsISZ_E10value_typeET2_T3_PNS10_IS15_E10value_typeET4_jRbjT5_S1B_jjP12ihipStream_tbEUljE_EEESW_SX_SY_S15_S19_S1B_T6_T7_T9_mT8_S1D_bDpT10_ENKUlT_T0_E_clISt17integral_constantIbLb1EES1P_IbLb0EEEEDaS1L_S1M_EUlS1L_E_NS1_11comp_targetILNS1_3genE0ELNS1_11target_archE4294967295ELNS1_3gpuE0ELNS1_3repE0EEENS1_30default_config_static_selectorELNS0_4arch9wavefront6targetE0EEEvSZ_: ; @_ZN7rocprim17ROCPRIM_400000_NS6detail17trampoline_kernelINS0_13select_configILj256ELj13ELNS0_17block_load_methodE3ELS4_3ELS4_3ELNS0_20block_scan_algorithmE0ELj4294967295EEENS1_25partition_config_selectorILNS1_17partition_subalgoE3EjNS0_10empty_typeEbEEZZNS1_14partition_implILS8_3ELb0ES6_jNS0_17counting_iteratorIjlEEPS9_SE_NS0_5tupleIJPjSE_EEENSF_IJSE_SE_EEES9_SG_JZNS1_25segmented_radix_sort_implINS0_14default_configELb1EPK12hip_bfloat16PSL_PKlPlN2at6native12_GLOBAL__N_18offset_tEEE10hipError_tPvRmT1_PNSt15iterator_traitsISZ_E10value_typeET2_T3_PNS10_IS15_E10value_typeET4_jRbjT5_S1B_jjP12ihipStream_tbEUljE_EEESW_SX_SY_S15_S19_S1B_T6_T7_T9_mT8_S1D_bDpT10_ENKUlT_T0_E_clISt17integral_constantIbLb1EES1P_IbLb0EEEEDaS1L_S1M_EUlS1L_E_NS1_11comp_targetILNS1_3genE0ELNS1_11target_archE4294967295ELNS1_3gpuE0ELNS1_3repE0EEENS1_30default_config_static_selectorELNS0_4arch9wavefront6targetE0EEEvSZ_
; %bb.0:
	.section	.rodata,"a",@progbits
	.p2align	6, 0x0
	.amdhsa_kernel _ZN7rocprim17ROCPRIM_400000_NS6detail17trampoline_kernelINS0_13select_configILj256ELj13ELNS0_17block_load_methodE3ELS4_3ELS4_3ELNS0_20block_scan_algorithmE0ELj4294967295EEENS1_25partition_config_selectorILNS1_17partition_subalgoE3EjNS0_10empty_typeEbEEZZNS1_14partition_implILS8_3ELb0ES6_jNS0_17counting_iteratorIjlEEPS9_SE_NS0_5tupleIJPjSE_EEENSF_IJSE_SE_EEES9_SG_JZNS1_25segmented_radix_sort_implINS0_14default_configELb1EPK12hip_bfloat16PSL_PKlPlN2at6native12_GLOBAL__N_18offset_tEEE10hipError_tPvRmT1_PNSt15iterator_traitsISZ_E10value_typeET2_T3_PNS10_IS15_E10value_typeET4_jRbjT5_S1B_jjP12ihipStream_tbEUljE_EEESW_SX_SY_S15_S19_S1B_T6_T7_T9_mT8_S1D_bDpT10_ENKUlT_T0_E_clISt17integral_constantIbLb1EES1P_IbLb0EEEEDaS1L_S1M_EUlS1L_E_NS1_11comp_targetILNS1_3genE0ELNS1_11target_archE4294967295ELNS1_3gpuE0ELNS1_3repE0EEENS1_30default_config_static_selectorELNS0_4arch9wavefront6targetE0EEEvSZ_
		.amdhsa_group_segment_fixed_size 0
		.amdhsa_private_segment_fixed_size 0
		.amdhsa_kernarg_size 144
		.amdhsa_user_sgpr_count 2
		.amdhsa_user_sgpr_dispatch_ptr 0
		.amdhsa_user_sgpr_queue_ptr 0
		.amdhsa_user_sgpr_kernarg_segment_ptr 1
		.amdhsa_user_sgpr_dispatch_id 0
		.amdhsa_user_sgpr_private_segment_size 0
		.amdhsa_wavefront_size32 1
		.amdhsa_uses_dynamic_stack 0
		.amdhsa_enable_private_segment 0
		.amdhsa_system_sgpr_workgroup_id_x 1
		.amdhsa_system_sgpr_workgroup_id_y 0
		.amdhsa_system_sgpr_workgroup_id_z 0
		.amdhsa_system_sgpr_workgroup_info 0
		.amdhsa_system_vgpr_workitem_id 0
		.amdhsa_next_free_vgpr 1
		.amdhsa_next_free_sgpr 1
		.amdhsa_reserve_vcc 0
		.amdhsa_float_round_mode_32 0
		.amdhsa_float_round_mode_16_64 0
		.amdhsa_float_denorm_mode_32 3
		.amdhsa_float_denorm_mode_16_64 3
		.amdhsa_fp16_overflow 0
		.amdhsa_workgroup_processor_mode 1
		.amdhsa_memory_ordered 1
		.amdhsa_forward_progress 1
		.amdhsa_inst_pref_size 0
		.amdhsa_round_robin_scheduling 0
		.amdhsa_exception_fp_ieee_invalid_op 0
		.amdhsa_exception_fp_denorm_src 0
		.amdhsa_exception_fp_ieee_div_zero 0
		.amdhsa_exception_fp_ieee_overflow 0
		.amdhsa_exception_fp_ieee_underflow 0
		.amdhsa_exception_fp_ieee_inexact 0
		.amdhsa_exception_int_div_zero 0
	.end_amdhsa_kernel
	.section	.text._ZN7rocprim17ROCPRIM_400000_NS6detail17trampoline_kernelINS0_13select_configILj256ELj13ELNS0_17block_load_methodE3ELS4_3ELS4_3ELNS0_20block_scan_algorithmE0ELj4294967295EEENS1_25partition_config_selectorILNS1_17partition_subalgoE3EjNS0_10empty_typeEbEEZZNS1_14partition_implILS8_3ELb0ES6_jNS0_17counting_iteratorIjlEEPS9_SE_NS0_5tupleIJPjSE_EEENSF_IJSE_SE_EEES9_SG_JZNS1_25segmented_radix_sort_implINS0_14default_configELb1EPK12hip_bfloat16PSL_PKlPlN2at6native12_GLOBAL__N_18offset_tEEE10hipError_tPvRmT1_PNSt15iterator_traitsISZ_E10value_typeET2_T3_PNS10_IS15_E10value_typeET4_jRbjT5_S1B_jjP12ihipStream_tbEUljE_EEESW_SX_SY_S15_S19_S1B_T6_T7_T9_mT8_S1D_bDpT10_ENKUlT_T0_E_clISt17integral_constantIbLb1EES1P_IbLb0EEEEDaS1L_S1M_EUlS1L_E_NS1_11comp_targetILNS1_3genE0ELNS1_11target_archE4294967295ELNS1_3gpuE0ELNS1_3repE0EEENS1_30default_config_static_selectorELNS0_4arch9wavefront6targetE0EEEvSZ_,"axG",@progbits,_ZN7rocprim17ROCPRIM_400000_NS6detail17trampoline_kernelINS0_13select_configILj256ELj13ELNS0_17block_load_methodE3ELS4_3ELS4_3ELNS0_20block_scan_algorithmE0ELj4294967295EEENS1_25partition_config_selectorILNS1_17partition_subalgoE3EjNS0_10empty_typeEbEEZZNS1_14partition_implILS8_3ELb0ES6_jNS0_17counting_iteratorIjlEEPS9_SE_NS0_5tupleIJPjSE_EEENSF_IJSE_SE_EEES9_SG_JZNS1_25segmented_radix_sort_implINS0_14default_configELb1EPK12hip_bfloat16PSL_PKlPlN2at6native12_GLOBAL__N_18offset_tEEE10hipError_tPvRmT1_PNSt15iterator_traitsISZ_E10value_typeET2_T3_PNS10_IS15_E10value_typeET4_jRbjT5_S1B_jjP12ihipStream_tbEUljE_EEESW_SX_SY_S15_S19_S1B_T6_T7_T9_mT8_S1D_bDpT10_ENKUlT_T0_E_clISt17integral_constantIbLb1EES1P_IbLb0EEEEDaS1L_S1M_EUlS1L_E_NS1_11comp_targetILNS1_3genE0ELNS1_11target_archE4294967295ELNS1_3gpuE0ELNS1_3repE0EEENS1_30default_config_static_selectorELNS0_4arch9wavefront6targetE0EEEvSZ_,comdat
.Lfunc_end1930:
	.size	_ZN7rocprim17ROCPRIM_400000_NS6detail17trampoline_kernelINS0_13select_configILj256ELj13ELNS0_17block_load_methodE3ELS4_3ELS4_3ELNS0_20block_scan_algorithmE0ELj4294967295EEENS1_25partition_config_selectorILNS1_17partition_subalgoE3EjNS0_10empty_typeEbEEZZNS1_14partition_implILS8_3ELb0ES6_jNS0_17counting_iteratorIjlEEPS9_SE_NS0_5tupleIJPjSE_EEENSF_IJSE_SE_EEES9_SG_JZNS1_25segmented_radix_sort_implINS0_14default_configELb1EPK12hip_bfloat16PSL_PKlPlN2at6native12_GLOBAL__N_18offset_tEEE10hipError_tPvRmT1_PNSt15iterator_traitsISZ_E10value_typeET2_T3_PNS10_IS15_E10value_typeET4_jRbjT5_S1B_jjP12ihipStream_tbEUljE_EEESW_SX_SY_S15_S19_S1B_T6_T7_T9_mT8_S1D_bDpT10_ENKUlT_T0_E_clISt17integral_constantIbLb1EES1P_IbLb0EEEEDaS1L_S1M_EUlS1L_E_NS1_11comp_targetILNS1_3genE0ELNS1_11target_archE4294967295ELNS1_3gpuE0ELNS1_3repE0EEENS1_30default_config_static_selectorELNS0_4arch9wavefront6targetE0EEEvSZ_, .Lfunc_end1930-_ZN7rocprim17ROCPRIM_400000_NS6detail17trampoline_kernelINS0_13select_configILj256ELj13ELNS0_17block_load_methodE3ELS4_3ELS4_3ELNS0_20block_scan_algorithmE0ELj4294967295EEENS1_25partition_config_selectorILNS1_17partition_subalgoE3EjNS0_10empty_typeEbEEZZNS1_14partition_implILS8_3ELb0ES6_jNS0_17counting_iteratorIjlEEPS9_SE_NS0_5tupleIJPjSE_EEENSF_IJSE_SE_EEES9_SG_JZNS1_25segmented_radix_sort_implINS0_14default_configELb1EPK12hip_bfloat16PSL_PKlPlN2at6native12_GLOBAL__N_18offset_tEEE10hipError_tPvRmT1_PNSt15iterator_traitsISZ_E10value_typeET2_T3_PNS10_IS15_E10value_typeET4_jRbjT5_S1B_jjP12ihipStream_tbEUljE_EEESW_SX_SY_S15_S19_S1B_T6_T7_T9_mT8_S1D_bDpT10_ENKUlT_T0_E_clISt17integral_constantIbLb1EES1P_IbLb0EEEEDaS1L_S1M_EUlS1L_E_NS1_11comp_targetILNS1_3genE0ELNS1_11target_archE4294967295ELNS1_3gpuE0ELNS1_3repE0EEENS1_30default_config_static_selectorELNS0_4arch9wavefront6targetE0EEEvSZ_
                                        ; -- End function
	.set _ZN7rocprim17ROCPRIM_400000_NS6detail17trampoline_kernelINS0_13select_configILj256ELj13ELNS0_17block_load_methodE3ELS4_3ELS4_3ELNS0_20block_scan_algorithmE0ELj4294967295EEENS1_25partition_config_selectorILNS1_17partition_subalgoE3EjNS0_10empty_typeEbEEZZNS1_14partition_implILS8_3ELb0ES6_jNS0_17counting_iteratorIjlEEPS9_SE_NS0_5tupleIJPjSE_EEENSF_IJSE_SE_EEES9_SG_JZNS1_25segmented_radix_sort_implINS0_14default_configELb1EPK12hip_bfloat16PSL_PKlPlN2at6native12_GLOBAL__N_18offset_tEEE10hipError_tPvRmT1_PNSt15iterator_traitsISZ_E10value_typeET2_T3_PNS10_IS15_E10value_typeET4_jRbjT5_S1B_jjP12ihipStream_tbEUljE_EEESW_SX_SY_S15_S19_S1B_T6_T7_T9_mT8_S1D_bDpT10_ENKUlT_T0_E_clISt17integral_constantIbLb1EES1P_IbLb0EEEEDaS1L_S1M_EUlS1L_E_NS1_11comp_targetILNS1_3genE0ELNS1_11target_archE4294967295ELNS1_3gpuE0ELNS1_3repE0EEENS1_30default_config_static_selectorELNS0_4arch9wavefront6targetE0EEEvSZ_.num_vgpr, 0
	.set _ZN7rocprim17ROCPRIM_400000_NS6detail17trampoline_kernelINS0_13select_configILj256ELj13ELNS0_17block_load_methodE3ELS4_3ELS4_3ELNS0_20block_scan_algorithmE0ELj4294967295EEENS1_25partition_config_selectorILNS1_17partition_subalgoE3EjNS0_10empty_typeEbEEZZNS1_14partition_implILS8_3ELb0ES6_jNS0_17counting_iteratorIjlEEPS9_SE_NS0_5tupleIJPjSE_EEENSF_IJSE_SE_EEES9_SG_JZNS1_25segmented_radix_sort_implINS0_14default_configELb1EPK12hip_bfloat16PSL_PKlPlN2at6native12_GLOBAL__N_18offset_tEEE10hipError_tPvRmT1_PNSt15iterator_traitsISZ_E10value_typeET2_T3_PNS10_IS15_E10value_typeET4_jRbjT5_S1B_jjP12ihipStream_tbEUljE_EEESW_SX_SY_S15_S19_S1B_T6_T7_T9_mT8_S1D_bDpT10_ENKUlT_T0_E_clISt17integral_constantIbLb1EES1P_IbLb0EEEEDaS1L_S1M_EUlS1L_E_NS1_11comp_targetILNS1_3genE0ELNS1_11target_archE4294967295ELNS1_3gpuE0ELNS1_3repE0EEENS1_30default_config_static_selectorELNS0_4arch9wavefront6targetE0EEEvSZ_.num_agpr, 0
	.set _ZN7rocprim17ROCPRIM_400000_NS6detail17trampoline_kernelINS0_13select_configILj256ELj13ELNS0_17block_load_methodE3ELS4_3ELS4_3ELNS0_20block_scan_algorithmE0ELj4294967295EEENS1_25partition_config_selectorILNS1_17partition_subalgoE3EjNS0_10empty_typeEbEEZZNS1_14partition_implILS8_3ELb0ES6_jNS0_17counting_iteratorIjlEEPS9_SE_NS0_5tupleIJPjSE_EEENSF_IJSE_SE_EEES9_SG_JZNS1_25segmented_radix_sort_implINS0_14default_configELb1EPK12hip_bfloat16PSL_PKlPlN2at6native12_GLOBAL__N_18offset_tEEE10hipError_tPvRmT1_PNSt15iterator_traitsISZ_E10value_typeET2_T3_PNS10_IS15_E10value_typeET4_jRbjT5_S1B_jjP12ihipStream_tbEUljE_EEESW_SX_SY_S15_S19_S1B_T6_T7_T9_mT8_S1D_bDpT10_ENKUlT_T0_E_clISt17integral_constantIbLb1EES1P_IbLb0EEEEDaS1L_S1M_EUlS1L_E_NS1_11comp_targetILNS1_3genE0ELNS1_11target_archE4294967295ELNS1_3gpuE0ELNS1_3repE0EEENS1_30default_config_static_selectorELNS0_4arch9wavefront6targetE0EEEvSZ_.numbered_sgpr, 0
	.set _ZN7rocprim17ROCPRIM_400000_NS6detail17trampoline_kernelINS0_13select_configILj256ELj13ELNS0_17block_load_methodE3ELS4_3ELS4_3ELNS0_20block_scan_algorithmE0ELj4294967295EEENS1_25partition_config_selectorILNS1_17partition_subalgoE3EjNS0_10empty_typeEbEEZZNS1_14partition_implILS8_3ELb0ES6_jNS0_17counting_iteratorIjlEEPS9_SE_NS0_5tupleIJPjSE_EEENSF_IJSE_SE_EEES9_SG_JZNS1_25segmented_radix_sort_implINS0_14default_configELb1EPK12hip_bfloat16PSL_PKlPlN2at6native12_GLOBAL__N_18offset_tEEE10hipError_tPvRmT1_PNSt15iterator_traitsISZ_E10value_typeET2_T3_PNS10_IS15_E10value_typeET4_jRbjT5_S1B_jjP12ihipStream_tbEUljE_EEESW_SX_SY_S15_S19_S1B_T6_T7_T9_mT8_S1D_bDpT10_ENKUlT_T0_E_clISt17integral_constantIbLb1EES1P_IbLb0EEEEDaS1L_S1M_EUlS1L_E_NS1_11comp_targetILNS1_3genE0ELNS1_11target_archE4294967295ELNS1_3gpuE0ELNS1_3repE0EEENS1_30default_config_static_selectorELNS0_4arch9wavefront6targetE0EEEvSZ_.num_named_barrier, 0
	.set _ZN7rocprim17ROCPRIM_400000_NS6detail17trampoline_kernelINS0_13select_configILj256ELj13ELNS0_17block_load_methodE3ELS4_3ELS4_3ELNS0_20block_scan_algorithmE0ELj4294967295EEENS1_25partition_config_selectorILNS1_17partition_subalgoE3EjNS0_10empty_typeEbEEZZNS1_14partition_implILS8_3ELb0ES6_jNS0_17counting_iteratorIjlEEPS9_SE_NS0_5tupleIJPjSE_EEENSF_IJSE_SE_EEES9_SG_JZNS1_25segmented_radix_sort_implINS0_14default_configELb1EPK12hip_bfloat16PSL_PKlPlN2at6native12_GLOBAL__N_18offset_tEEE10hipError_tPvRmT1_PNSt15iterator_traitsISZ_E10value_typeET2_T3_PNS10_IS15_E10value_typeET4_jRbjT5_S1B_jjP12ihipStream_tbEUljE_EEESW_SX_SY_S15_S19_S1B_T6_T7_T9_mT8_S1D_bDpT10_ENKUlT_T0_E_clISt17integral_constantIbLb1EES1P_IbLb0EEEEDaS1L_S1M_EUlS1L_E_NS1_11comp_targetILNS1_3genE0ELNS1_11target_archE4294967295ELNS1_3gpuE0ELNS1_3repE0EEENS1_30default_config_static_selectorELNS0_4arch9wavefront6targetE0EEEvSZ_.private_seg_size, 0
	.set _ZN7rocprim17ROCPRIM_400000_NS6detail17trampoline_kernelINS0_13select_configILj256ELj13ELNS0_17block_load_methodE3ELS4_3ELS4_3ELNS0_20block_scan_algorithmE0ELj4294967295EEENS1_25partition_config_selectorILNS1_17partition_subalgoE3EjNS0_10empty_typeEbEEZZNS1_14partition_implILS8_3ELb0ES6_jNS0_17counting_iteratorIjlEEPS9_SE_NS0_5tupleIJPjSE_EEENSF_IJSE_SE_EEES9_SG_JZNS1_25segmented_radix_sort_implINS0_14default_configELb1EPK12hip_bfloat16PSL_PKlPlN2at6native12_GLOBAL__N_18offset_tEEE10hipError_tPvRmT1_PNSt15iterator_traitsISZ_E10value_typeET2_T3_PNS10_IS15_E10value_typeET4_jRbjT5_S1B_jjP12ihipStream_tbEUljE_EEESW_SX_SY_S15_S19_S1B_T6_T7_T9_mT8_S1D_bDpT10_ENKUlT_T0_E_clISt17integral_constantIbLb1EES1P_IbLb0EEEEDaS1L_S1M_EUlS1L_E_NS1_11comp_targetILNS1_3genE0ELNS1_11target_archE4294967295ELNS1_3gpuE0ELNS1_3repE0EEENS1_30default_config_static_selectorELNS0_4arch9wavefront6targetE0EEEvSZ_.uses_vcc, 0
	.set _ZN7rocprim17ROCPRIM_400000_NS6detail17trampoline_kernelINS0_13select_configILj256ELj13ELNS0_17block_load_methodE3ELS4_3ELS4_3ELNS0_20block_scan_algorithmE0ELj4294967295EEENS1_25partition_config_selectorILNS1_17partition_subalgoE3EjNS0_10empty_typeEbEEZZNS1_14partition_implILS8_3ELb0ES6_jNS0_17counting_iteratorIjlEEPS9_SE_NS0_5tupleIJPjSE_EEENSF_IJSE_SE_EEES9_SG_JZNS1_25segmented_radix_sort_implINS0_14default_configELb1EPK12hip_bfloat16PSL_PKlPlN2at6native12_GLOBAL__N_18offset_tEEE10hipError_tPvRmT1_PNSt15iterator_traitsISZ_E10value_typeET2_T3_PNS10_IS15_E10value_typeET4_jRbjT5_S1B_jjP12ihipStream_tbEUljE_EEESW_SX_SY_S15_S19_S1B_T6_T7_T9_mT8_S1D_bDpT10_ENKUlT_T0_E_clISt17integral_constantIbLb1EES1P_IbLb0EEEEDaS1L_S1M_EUlS1L_E_NS1_11comp_targetILNS1_3genE0ELNS1_11target_archE4294967295ELNS1_3gpuE0ELNS1_3repE0EEENS1_30default_config_static_selectorELNS0_4arch9wavefront6targetE0EEEvSZ_.uses_flat_scratch, 0
	.set _ZN7rocprim17ROCPRIM_400000_NS6detail17trampoline_kernelINS0_13select_configILj256ELj13ELNS0_17block_load_methodE3ELS4_3ELS4_3ELNS0_20block_scan_algorithmE0ELj4294967295EEENS1_25partition_config_selectorILNS1_17partition_subalgoE3EjNS0_10empty_typeEbEEZZNS1_14partition_implILS8_3ELb0ES6_jNS0_17counting_iteratorIjlEEPS9_SE_NS0_5tupleIJPjSE_EEENSF_IJSE_SE_EEES9_SG_JZNS1_25segmented_radix_sort_implINS0_14default_configELb1EPK12hip_bfloat16PSL_PKlPlN2at6native12_GLOBAL__N_18offset_tEEE10hipError_tPvRmT1_PNSt15iterator_traitsISZ_E10value_typeET2_T3_PNS10_IS15_E10value_typeET4_jRbjT5_S1B_jjP12ihipStream_tbEUljE_EEESW_SX_SY_S15_S19_S1B_T6_T7_T9_mT8_S1D_bDpT10_ENKUlT_T0_E_clISt17integral_constantIbLb1EES1P_IbLb0EEEEDaS1L_S1M_EUlS1L_E_NS1_11comp_targetILNS1_3genE0ELNS1_11target_archE4294967295ELNS1_3gpuE0ELNS1_3repE0EEENS1_30default_config_static_selectorELNS0_4arch9wavefront6targetE0EEEvSZ_.has_dyn_sized_stack, 0
	.set _ZN7rocprim17ROCPRIM_400000_NS6detail17trampoline_kernelINS0_13select_configILj256ELj13ELNS0_17block_load_methodE3ELS4_3ELS4_3ELNS0_20block_scan_algorithmE0ELj4294967295EEENS1_25partition_config_selectorILNS1_17partition_subalgoE3EjNS0_10empty_typeEbEEZZNS1_14partition_implILS8_3ELb0ES6_jNS0_17counting_iteratorIjlEEPS9_SE_NS0_5tupleIJPjSE_EEENSF_IJSE_SE_EEES9_SG_JZNS1_25segmented_radix_sort_implINS0_14default_configELb1EPK12hip_bfloat16PSL_PKlPlN2at6native12_GLOBAL__N_18offset_tEEE10hipError_tPvRmT1_PNSt15iterator_traitsISZ_E10value_typeET2_T3_PNS10_IS15_E10value_typeET4_jRbjT5_S1B_jjP12ihipStream_tbEUljE_EEESW_SX_SY_S15_S19_S1B_T6_T7_T9_mT8_S1D_bDpT10_ENKUlT_T0_E_clISt17integral_constantIbLb1EES1P_IbLb0EEEEDaS1L_S1M_EUlS1L_E_NS1_11comp_targetILNS1_3genE0ELNS1_11target_archE4294967295ELNS1_3gpuE0ELNS1_3repE0EEENS1_30default_config_static_selectorELNS0_4arch9wavefront6targetE0EEEvSZ_.has_recursion, 0
	.set _ZN7rocprim17ROCPRIM_400000_NS6detail17trampoline_kernelINS0_13select_configILj256ELj13ELNS0_17block_load_methodE3ELS4_3ELS4_3ELNS0_20block_scan_algorithmE0ELj4294967295EEENS1_25partition_config_selectorILNS1_17partition_subalgoE3EjNS0_10empty_typeEbEEZZNS1_14partition_implILS8_3ELb0ES6_jNS0_17counting_iteratorIjlEEPS9_SE_NS0_5tupleIJPjSE_EEENSF_IJSE_SE_EEES9_SG_JZNS1_25segmented_radix_sort_implINS0_14default_configELb1EPK12hip_bfloat16PSL_PKlPlN2at6native12_GLOBAL__N_18offset_tEEE10hipError_tPvRmT1_PNSt15iterator_traitsISZ_E10value_typeET2_T3_PNS10_IS15_E10value_typeET4_jRbjT5_S1B_jjP12ihipStream_tbEUljE_EEESW_SX_SY_S15_S19_S1B_T6_T7_T9_mT8_S1D_bDpT10_ENKUlT_T0_E_clISt17integral_constantIbLb1EES1P_IbLb0EEEEDaS1L_S1M_EUlS1L_E_NS1_11comp_targetILNS1_3genE0ELNS1_11target_archE4294967295ELNS1_3gpuE0ELNS1_3repE0EEENS1_30default_config_static_selectorELNS0_4arch9wavefront6targetE0EEEvSZ_.has_indirect_call, 0
	.section	.AMDGPU.csdata,"",@progbits
; Kernel info:
; codeLenInByte = 0
; TotalNumSgprs: 0
; NumVgprs: 0
; ScratchSize: 0
; MemoryBound: 0
; FloatMode: 240
; IeeeMode: 1
; LDSByteSize: 0 bytes/workgroup (compile time only)
; SGPRBlocks: 0
; VGPRBlocks: 0
; NumSGPRsForWavesPerEU: 1
; NumVGPRsForWavesPerEU: 1
; Occupancy: 16
; WaveLimiterHint : 0
; COMPUTE_PGM_RSRC2:SCRATCH_EN: 0
; COMPUTE_PGM_RSRC2:USER_SGPR: 2
; COMPUTE_PGM_RSRC2:TRAP_HANDLER: 0
; COMPUTE_PGM_RSRC2:TGID_X_EN: 1
; COMPUTE_PGM_RSRC2:TGID_Y_EN: 0
; COMPUTE_PGM_RSRC2:TGID_Z_EN: 0
; COMPUTE_PGM_RSRC2:TIDIG_COMP_CNT: 0
	.section	.text._ZN7rocprim17ROCPRIM_400000_NS6detail17trampoline_kernelINS0_13select_configILj256ELj13ELNS0_17block_load_methodE3ELS4_3ELS4_3ELNS0_20block_scan_algorithmE0ELj4294967295EEENS1_25partition_config_selectorILNS1_17partition_subalgoE3EjNS0_10empty_typeEbEEZZNS1_14partition_implILS8_3ELb0ES6_jNS0_17counting_iteratorIjlEEPS9_SE_NS0_5tupleIJPjSE_EEENSF_IJSE_SE_EEES9_SG_JZNS1_25segmented_radix_sort_implINS0_14default_configELb1EPK12hip_bfloat16PSL_PKlPlN2at6native12_GLOBAL__N_18offset_tEEE10hipError_tPvRmT1_PNSt15iterator_traitsISZ_E10value_typeET2_T3_PNS10_IS15_E10value_typeET4_jRbjT5_S1B_jjP12ihipStream_tbEUljE_EEESW_SX_SY_S15_S19_S1B_T6_T7_T9_mT8_S1D_bDpT10_ENKUlT_T0_E_clISt17integral_constantIbLb1EES1P_IbLb0EEEEDaS1L_S1M_EUlS1L_E_NS1_11comp_targetILNS1_3genE5ELNS1_11target_archE942ELNS1_3gpuE9ELNS1_3repE0EEENS1_30default_config_static_selectorELNS0_4arch9wavefront6targetE0EEEvSZ_,"axG",@progbits,_ZN7rocprim17ROCPRIM_400000_NS6detail17trampoline_kernelINS0_13select_configILj256ELj13ELNS0_17block_load_methodE3ELS4_3ELS4_3ELNS0_20block_scan_algorithmE0ELj4294967295EEENS1_25partition_config_selectorILNS1_17partition_subalgoE3EjNS0_10empty_typeEbEEZZNS1_14partition_implILS8_3ELb0ES6_jNS0_17counting_iteratorIjlEEPS9_SE_NS0_5tupleIJPjSE_EEENSF_IJSE_SE_EEES9_SG_JZNS1_25segmented_radix_sort_implINS0_14default_configELb1EPK12hip_bfloat16PSL_PKlPlN2at6native12_GLOBAL__N_18offset_tEEE10hipError_tPvRmT1_PNSt15iterator_traitsISZ_E10value_typeET2_T3_PNS10_IS15_E10value_typeET4_jRbjT5_S1B_jjP12ihipStream_tbEUljE_EEESW_SX_SY_S15_S19_S1B_T6_T7_T9_mT8_S1D_bDpT10_ENKUlT_T0_E_clISt17integral_constantIbLb1EES1P_IbLb0EEEEDaS1L_S1M_EUlS1L_E_NS1_11comp_targetILNS1_3genE5ELNS1_11target_archE942ELNS1_3gpuE9ELNS1_3repE0EEENS1_30default_config_static_selectorELNS0_4arch9wavefront6targetE0EEEvSZ_,comdat
	.globl	_ZN7rocprim17ROCPRIM_400000_NS6detail17trampoline_kernelINS0_13select_configILj256ELj13ELNS0_17block_load_methodE3ELS4_3ELS4_3ELNS0_20block_scan_algorithmE0ELj4294967295EEENS1_25partition_config_selectorILNS1_17partition_subalgoE3EjNS0_10empty_typeEbEEZZNS1_14partition_implILS8_3ELb0ES6_jNS0_17counting_iteratorIjlEEPS9_SE_NS0_5tupleIJPjSE_EEENSF_IJSE_SE_EEES9_SG_JZNS1_25segmented_radix_sort_implINS0_14default_configELb1EPK12hip_bfloat16PSL_PKlPlN2at6native12_GLOBAL__N_18offset_tEEE10hipError_tPvRmT1_PNSt15iterator_traitsISZ_E10value_typeET2_T3_PNS10_IS15_E10value_typeET4_jRbjT5_S1B_jjP12ihipStream_tbEUljE_EEESW_SX_SY_S15_S19_S1B_T6_T7_T9_mT8_S1D_bDpT10_ENKUlT_T0_E_clISt17integral_constantIbLb1EES1P_IbLb0EEEEDaS1L_S1M_EUlS1L_E_NS1_11comp_targetILNS1_3genE5ELNS1_11target_archE942ELNS1_3gpuE9ELNS1_3repE0EEENS1_30default_config_static_selectorELNS0_4arch9wavefront6targetE0EEEvSZ_ ; -- Begin function _ZN7rocprim17ROCPRIM_400000_NS6detail17trampoline_kernelINS0_13select_configILj256ELj13ELNS0_17block_load_methodE3ELS4_3ELS4_3ELNS0_20block_scan_algorithmE0ELj4294967295EEENS1_25partition_config_selectorILNS1_17partition_subalgoE3EjNS0_10empty_typeEbEEZZNS1_14partition_implILS8_3ELb0ES6_jNS0_17counting_iteratorIjlEEPS9_SE_NS0_5tupleIJPjSE_EEENSF_IJSE_SE_EEES9_SG_JZNS1_25segmented_radix_sort_implINS0_14default_configELb1EPK12hip_bfloat16PSL_PKlPlN2at6native12_GLOBAL__N_18offset_tEEE10hipError_tPvRmT1_PNSt15iterator_traitsISZ_E10value_typeET2_T3_PNS10_IS15_E10value_typeET4_jRbjT5_S1B_jjP12ihipStream_tbEUljE_EEESW_SX_SY_S15_S19_S1B_T6_T7_T9_mT8_S1D_bDpT10_ENKUlT_T0_E_clISt17integral_constantIbLb1EES1P_IbLb0EEEEDaS1L_S1M_EUlS1L_E_NS1_11comp_targetILNS1_3genE5ELNS1_11target_archE942ELNS1_3gpuE9ELNS1_3repE0EEENS1_30default_config_static_selectorELNS0_4arch9wavefront6targetE0EEEvSZ_
	.p2align	8
	.type	_ZN7rocprim17ROCPRIM_400000_NS6detail17trampoline_kernelINS0_13select_configILj256ELj13ELNS0_17block_load_methodE3ELS4_3ELS4_3ELNS0_20block_scan_algorithmE0ELj4294967295EEENS1_25partition_config_selectorILNS1_17partition_subalgoE3EjNS0_10empty_typeEbEEZZNS1_14partition_implILS8_3ELb0ES6_jNS0_17counting_iteratorIjlEEPS9_SE_NS0_5tupleIJPjSE_EEENSF_IJSE_SE_EEES9_SG_JZNS1_25segmented_radix_sort_implINS0_14default_configELb1EPK12hip_bfloat16PSL_PKlPlN2at6native12_GLOBAL__N_18offset_tEEE10hipError_tPvRmT1_PNSt15iterator_traitsISZ_E10value_typeET2_T3_PNS10_IS15_E10value_typeET4_jRbjT5_S1B_jjP12ihipStream_tbEUljE_EEESW_SX_SY_S15_S19_S1B_T6_T7_T9_mT8_S1D_bDpT10_ENKUlT_T0_E_clISt17integral_constantIbLb1EES1P_IbLb0EEEEDaS1L_S1M_EUlS1L_E_NS1_11comp_targetILNS1_3genE5ELNS1_11target_archE942ELNS1_3gpuE9ELNS1_3repE0EEENS1_30default_config_static_selectorELNS0_4arch9wavefront6targetE0EEEvSZ_,@function
_ZN7rocprim17ROCPRIM_400000_NS6detail17trampoline_kernelINS0_13select_configILj256ELj13ELNS0_17block_load_methodE3ELS4_3ELS4_3ELNS0_20block_scan_algorithmE0ELj4294967295EEENS1_25partition_config_selectorILNS1_17partition_subalgoE3EjNS0_10empty_typeEbEEZZNS1_14partition_implILS8_3ELb0ES6_jNS0_17counting_iteratorIjlEEPS9_SE_NS0_5tupleIJPjSE_EEENSF_IJSE_SE_EEES9_SG_JZNS1_25segmented_radix_sort_implINS0_14default_configELb1EPK12hip_bfloat16PSL_PKlPlN2at6native12_GLOBAL__N_18offset_tEEE10hipError_tPvRmT1_PNSt15iterator_traitsISZ_E10value_typeET2_T3_PNS10_IS15_E10value_typeET4_jRbjT5_S1B_jjP12ihipStream_tbEUljE_EEESW_SX_SY_S15_S19_S1B_T6_T7_T9_mT8_S1D_bDpT10_ENKUlT_T0_E_clISt17integral_constantIbLb1EES1P_IbLb0EEEEDaS1L_S1M_EUlS1L_E_NS1_11comp_targetILNS1_3genE5ELNS1_11target_archE942ELNS1_3gpuE9ELNS1_3repE0EEENS1_30default_config_static_selectorELNS0_4arch9wavefront6targetE0EEEvSZ_: ; @_ZN7rocprim17ROCPRIM_400000_NS6detail17trampoline_kernelINS0_13select_configILj256ELj13ELNS0_17block_load_methodE3ELS4_3ELS4_3ELNS0_20block_scan_algorithmE0ELj4294967295EEENS1_25partition_config_selectorILNS1_17partition_subalgoE3EjNS0_10empty_typeEbEEZZNS1_14partition_implILS8_3ELb0ES6_jNS0_17counting_iteratorIjlEEPS9_SE_NS0_5tupleIJPjSE_EEENSF_IJSE_SE_EEES9_SG_JZNS1_25segmented_radix_sort_implINS0_14default_configELb1EPK12hip_bfloat16PSL_PKlPlN2at6native12_GLOBAL__N_18offset_tEEE10hipError_tPvRmT1_PNSt15iterator_traitsISZ_E10value_typeET2_T3_PNS10_IS15_E10value_typeET4_jRbjT5_S1B_jjP12ihipStream_tbEUljE_EEESW_SX_SY_S15_S19_S1B_T6_T7_T9_mT8_S1D_bDpT10_ENKUlT_T0_E_clISt17integral_constantIbLb1EES1P_IbLb0EEEEDaS1L_S1M_EUlS1L_E_NS1_11comp_targetILNS1_3genE5ELNS1_11target_archE942ELNS1_3gpuE9ELNS1_3repE0EEENS1_30default_config_static_selectorELNS0_4arch9wavefront6targetE0EEEvSZ_
; %bb.0:
	.section	.rodata,"a",@progbits
	.p2align	6, 0x0
	.amdhsa_kernel _ZN7rocprim17ROCPRIM_400000_NS6detail17trampoline_kernelINS0_13select_configILj256ELj13ELNS0_17block_load_methodE3ELS4_3ELS4_3ELNS0_20block_scan_algorithmE0ELj4294967295EEENS1_25partition_config_selectorILNS1_17partition_subalgoE3EjNS0_10empty_typeEbEEZZNS1_14partition_implILS8_3ELb0ES6_jNS0_17counting_iteratorIjlEEPS9_SE_NS0_5tupleIJPjSE_EEENSF_IJSE_SE_EEES9_SG_JZNS1_25segmented_radix_sort_implINS0_14default_configELb1EPK12hip_bfloat16PSL_PKlPlN2at6native12_GLOBAL__N_18offset_tEEE10hipError_tPvRmT1_PNSt15iterator_traitsISZ_E10value_typeET2_T3_PNS10_IS15_E10value_typeET4_jRbjT5_S1B_jjP12ihipStream_tbEUljE_EEESW_SX_SY_S15_S19_S1B_T6_T7_T9_mT8_S1D_bDpT10_ENKUlT_T0_E_clISt17integral_constantIbLb1EES1P_IbLb0EEEEDaS1L_S1M_EUlS1L_E_NS1_11comp_targetILNS1_3genE5ELNS1_11target_archE942ELNS1_3gpuE9ELNS1_3repE0EEENS1_30default_config_static_selectorELNS0_4arch9wavefront6targetE0EEEvSZ_
		.amdhsa_group_segment_fixed_size 0
		.amdhsa_private_segment_fixed_size 0
		.amdhsa_kernarg_size 144
		.amdhsa_user_sgpr_count 2
		.amdhsa_user_sgpr_dispatch_ptr 0
		.amdhsa_user_sgpr_queue_ptr 0
		.amdhsa_user_sgpr_kernarg_segment_ptr 1
		.amdhsa_user_sgpr_dispatch_id 0
		.amdhsa_user_sgpr_private_segment_size 0
		.amdhsa_wavefront_size32 1
		.amdhsa_uses_dynamic_stack 0
		.amdhsa_enable_private_segment 0
		.amdhsa_system_sgpr_workgroup_id_x 1
		.amdhsa_system_sgpr_workgroup_id_y 0
		.amdhsa_system_sgpr_workgroup_id_z 0
		.amdhsa_system_sgpr_workgroup_info 0
		.amdhsa_system_vgpr_workitem_id 0
		.amdhsa_next_free_vgpr 1
		.amdhsa_next_free_sgpr 1
		.amdhsa_reserve_vcc 0
		.amdhsa_float_round_mode_32 0
		.amdhsa_float_round_mode_16_64 0
		.amdhsa_float_denorm_mode_32 3
		.amdhsa_float_denorm_mode_16_64 3
		.amdhsa_fp16_overflow 0
		.amdhsa_workgroup_processor_mode 1
		.amdhsa_memory_ordered 1
		.amdhsa_forward_progress 1
		.amdhsa_inst_pref_size 0
		.amdhsa_round_robin_scheduling 0
		.amdhsa_exception_fp_ieee_invalid_op 0
		.amdhsa_exception_fp_denorm_src 0
		.amdhsa_exception_fp_ieee_div_zero 0
		.amdhsa_exception_fp_ieee_overflow 0
		.amdhsa_exception_fp_ieee_underflow 0
		.amdhsa_exception_fp_ieee_inexact 0
		.amdhsa_exception_int_div_zero 0
	.end_amdhsa_kernel
	.section	.text._ZN7rocprim17ROCPRIM_400000_NS6detail17trampoline_kernelINS0_13select_configILj256ELj13ELNS0_17block_load_methodE3ELS4_3ELS4_3ELNS0_20block_scan_algorithmE0ELj4294967295EEENS1_25partition_config_selectorILNS1_17partition_subalgoE3EjNS0_10empty_typeEbEEZZNS1_14partition_implILS8_3ELb0ES6_jNS0_17counting_iteratorIjlEEPS9_SE_NS0_5tupleIJPjSE_EEENSF_IJSE_SE_EEES9_SG_JZNS1_25segmented_radix_sort_implINS0_14default_configELb1EPK12hip_bfloat16PSL_PKlPlN2at6native12_GLOBAL__N_18offset_tEEE10hipError_tPvRmT1_PNSt15iterator_traitsISZ_E10value_typeET2_T3_PNS10_IS15_E10value_typeET4_jRbjT5_S1B_jjP12ihipStream_tbEUljE_EEESW_SX_SY_S15_S19_S1B_T6_T7_T9_mT8_S1D_bDpT10_ENKUlT_T0_E_clISt17integral_constantIbLb1EES1P_IbLb0EEEEDaS1L_S1M_EUlS1L_E_NS1_11comp_targetILNS1_3genE5ELNS1_11target_archE942ELNS1_3gpuE9ELNS1_3repE0EEENS1_30default_config_static_selectorELNS0_4arch9wavefront6targetE0EEEvSZ_,"axG",@progbits,_ZN7rocprim17ROCPRIM_400000_NS6detail17trampoline_kernelINS0_13select_configILj256ELj13ELNS0_17block_load_methodE3ELS4_3ELS4_3ELNS0_20block_scan_algorithmE0ELj4294967295EEENS1_25partition_config_selectorILNS1_17partition_subalgoE3EjNS0_10empty_typeEbEEZZNS1_14partition_implILS8_3ELb0ES6_jNS0_17counting_iteratorIjlEEPS9_SE_NS0_5tupleIJPjSE_EEENSF_IJSE_SE_EEES9_SG_JZNS1_25segmented_radix_sort_implINS0_14default_configELb1EPK12hip_bfloat16PSL_PKlPlN2at6native12_GLOBAL__N_18offset_tEEE10hipError_tPvRmT1_PNSt15iterator_traitsISZ_E10value_typeET2_T3_PNS10_IS15_E10value_typeET4_jRbjT5_S1B_jjP12ihipStream_tbEUljE_EEESW_SX_SY_S15_S19_S1B_T6_T7_T9_mT8_S1D_bDpT10_ENKUlT_T0_E_clISt17integral_constantIbLb1EES1P_IbLb0EEEEDaS1L_S1M_EUlS1L_E_NS1_11comp_targetILNS1_3genE5ELNS1_11target_archE942ELNS1_3gpuE9ELNS1_3repE0EEENS1_30default_config_static_selectorELNS0_4arch9wavefront6targetE0EEEvSZ_,comdat
.Lfunc_end1931:
	.size	_ZN7rocprim17ROCPRIM_400000_NS6detail17trampoline_kernelINS0_13select_configILj256ELj13ELNS0_17block_load_methodE3ELS4_3ELS4_3ELNS0_20block_scan_algorithmE0ELj4294967295EEENS1_25partition_config_selectorILNS1_17partition_subalgoE3EjNS0_10empty_typeEbEEZZNS1_14partition_implILS8_3ELb0ES6_jNS0_17counting_iteratorIjlEEPS9_SE_NS0_5tupleIJPjSE_EEENSF_IJSE_SE_EEES9_SG_JZNS1_25segmented_radix_sort_implINS0_14default_configELb1EPK12hip_bfloat16PSL_PKlPlN2at6native12_GLOBAL__N_18offset_tEEE10hipError_tPvRmT1_PNSt15iterator_traitsISZ_E10value_typeET2_T3_PNS10_IS15_E10value_typeET4_jRbjT5_S1B_jjP12ihipStream_tbEUljE_EEESW_SX_SY_S15_S19_S1B_T6_T7_T9_mT8_S1D_bDpT10_ENKUlT_T0_E_clISt17integral_constantIbLb1EES1P_IbLb0EEEEDaS1L_S1M_EUlS1L_E_NS1_11comp_targetILNS1_3genE5ELNS1_11target_archE942ELNS1_3gpuE9ELNS1_3repE0EEENS1_30default_config_static_selectorELNS0_4arch9wavefront6targetE0EEEvSZ_, .Lfunc_end1931-_ZN7rocprim17ROCPRIM_400000_NS6detail17trampoline_kernelINS0_13select_configILj256ELj13ELNS0_17block_load_methodE3ELS4_3ELS4_3ELNS0_20block_scan_algorithmE0ELj4294967295EEENS1_25partition_config_selectorILNS1_17partition_subalgoE3EjNS0_10empty_typeEbEEZZNS1_14partition_implILS8_3ELb0ES6_jNS0_17counting_iteratorIjlEEPS9_SE_NS0_5tupleIJPjSE_EEENSF_IJSE_SE_EEES9_SG_JZNS1_25segmented_radix_sort_implINS0_14default_configELb1EPK12hip_bfloat16PSL_PKlPlN2at6native12_GLOBAL__N_18offset_tEEE10hipError_tPvRmT1_PNSt15iterator_traitsISZ_E10value_typeET2_T3_PNS10_IS15_E10value_typeET4_jRbjT5_S1B_jjP12ihipStream_tbEUljE_EEESW_SX_SY_S15_S19_S1B_T6_T7_T9_mT8_S1D_bDpT10_ENKUlT_T0_E_clISt17integral_constantIbLb1EES1P_IbLb0EEEEDaS1L_S1M_EUlS1L_E_NS1_11comp_targetILNS1_3genE5ELNS1_11target_archE942ELNS1_3gpuE9ELNS1_3repE0EEENS1_30default_config_static_selectorELNS0_4arch9wavefront6targetE0EEEvSZ_
                                        ; -- End function
	.set _ZN7rocprim17ROCPRIM_400000_NS6detail17trampoline_kernelINS0_13select_configILj256ELj13ELNS0_17block_load_methodE3ELS4_3ELS4_3ELNS0_20block_scan_algorithmE0ELj4294967295EEENS1_25partition_config_selectorILNS1_17partition_subalgoE3EjNS0_10empty_typeEbEEZZNS1_14partition_implILS8_3ELb0ES6_jNS0_17counting_iteratorIjlEEPS9_SE_NS0_5tupleIJPjSE_EEENSF_IJSE_SE_EEES9_SG_JZNS1_25segmented_radix_sort_implINS0_14default_configELb1EPK12hip_bfloat16PSL_PKlPlN2at6native12_GLOBAL__N_18offset_tEEE10hipError_tPvRmT1_PNSt15iterator_traitsISZ_E10value_typeET2_T3_PNS10_IS15_E10value_typeET4_jRbjT5_S1B_jjP12ihipStream_tbEUljE_EEESW_SX_SY_S15_S19_S1B_T6_T7_T9_mT8_S1D_bDpT10_ENKUlT_T0_E_clISt17integral_constantIbLb1EES1P_IbLb0EEEEDaS1L_S1M_EUlS1L_E_NS1_11comp_targetILNS1_3genE5ELNS1_11target_archE942ELNS1_3gpuE9ELNS1_3repE0EEENS1_30default_config_static_selectorELNS0_4arch9wavefront6targetE0EEEvSZ_.num_vgpr, 0
	.set _ZN7rocprim17ROCPRIM_400000_NS6detail17trampoline_kernelINS0_13select_configILj256ELj13ELNS0_17block_load_methodE3ELS4_3ELS4_3ELNS0_20block_scan_algorithmE0ELj4294967295EEENS1_25partition_config_selectorILNS1_17partition_subalgoE3EjNS0_10empty_typeEbEEZZNS1_14partition_implILS8_3ELb0ES6_jNS0_17counting_iteratorIjlEEPS9_SE_NS0_5tupleIJPjSE_EEENSF_IJSE_SE_EEES9_SG_JZNS1_25segmented_radix_sort_implINS0_14default_configELb1EPK12hip_bfloat16PSL_PKlPlN2at6native12_GLOBAL__N_18offset_tEEE10hipError_tPvRmT1_PNSt15iterator_traitsISZ_E10value_typeET2_T3_PNS10_IS15_E10value_typeET4_jRbjT5_S1B_jjP12ihipStream_tbEUljE_EEESW_SX_SY_S15_S19_S1B_T6_T7_T9_mT8_S1D_bDpT10_ENKUlT_T0_E_clISt17integral_constantIbLb1EES1P_IbLb0EEEEDaS1L_S1M_EUlS1L_E_NS1_11comp_targetILNS1_3genE5ELNS1_11target_archE942ELNS1_3gpuE9ELNS1_3repE0EEENS1_30default_config_static_selectorELNS0_4arch9wavefront6targetE0EEEvSZ_.num_agpr, 0
	.set _ZN7rocprim17ROCPRIM_400000_NS6detail17trampoline_kernelINS0_13select_configILj256ELj13ELNS0_17block_load_methodE3ELS4_3ELS4_3ELNS0_20block_scan_algorithmE0ELj4294967295EEENS1_25partition_config_selectorILNS1_17partition_subalgoE3EjNS0_10empty_typeEbEEZZNS1_14partition_implILS8_3ELb0ES6_jNS0_17counting_iteratorIjlEEPS9_SE_NS0_5tupleIJPjSE_EEENSF_IJSE_SE_EEES9_SG_JZNS1_25segmented_radix_sort_implINS0_14default_configELb1EPK12hip_bfloat16PSL_PKlPlN2at6native12_GLOBAL__N_18offset_tEEE10hipError_tPvRmT1_PNSt15iterator_traitsISZ_E10value_typeET2_T3_PNS10_IS15_E10value_typeET4_jRbjT5_S1B_jjP12ihipStream_tbEUljE_EEESW_SX_SY_S15_S19_S1B_T6_T7_T9_mT8_S1D_bDpT10_ENKUlT_T0_E_clISt17integral_constantIbLb1EES1P_IbLb0EEEEDaS1L_S1M_EUlS1L_E_NS1_11comp_targetILNS1_3genE5ELNS1_11target_archE942ELNS1_3gpuE9ELNS1_3repE0EEENS1_30default_config_static_selectorELNS0_4arch9wavefront6targetE0EEEvSZ_.numbered_sgpr, 0
	.set _ZN7rocprim17ROCPRIM_400000_NS6detail17trampoline_kernelINS0_13select_configILj256ELj13ELNS0_17block_load_methodE3ELS4_3ELS4_3ELNS0_20block_scan_algorithmE0ELj4294967295EEENS1_25partition_config_selectorILNS1_17partition_subalgoE3EjNS0_10empty_typeEbEEZZNS1_14partition_implILS8_3ELb0ES6_jNS0_17counting_iteratorIjlEEPS9_SE_NS0_5tupleIJPjSE_EEENSF_IJSE_SE_EEES9_SG_JZNS1_25segmented_radix_sort_implINS0_14default_configELb1EPK12hip_bfloat16PSL_PKlPlN2at6native12_GLOBAL__N_18offset_tEEE10hipError_tPvRmT1_PNSt15iterator_traitsISZ_E10value_typeET2_T3_PNS10_IS15_E10value_typeET4_jRbjT5_S1B_jjP12ihipStream_tbEUljE_EEESW_SX_SY_S15_S19_S1B_T6_T7_T9_mT8_S1D_bDpT10_ENKUlT_T0_E_clISt17integral_constantIbLb1EES1P_IbLb0EEEEDaS1L_S1M_EUlS1L_E_NS1_11comp_targetILNS1_3genE5ELNS1_11target_archE942ELNS1_3gpuE9ELNS1_3repE0EEENS1_30default_config_static_selectorELNS0_4arch9wavefront6targetE0EEEvSZ_.num_named_barrier, 0
	.set _ZN7rocprim17ROCPRIM_400000_NS6detail17trampoline_kernelINS0_13select_configILj256ELj13ELNS0_17block_load_methodE3ELS4_3ELS4_3ELNS0_20block_scan_algorithmE0ELj4294967295EEENS1_25partition_config_selectorILNS1_17partition_subalgoE3EjNS0_10empty_typeEbEEZZNS1_14partition_implILS8_3ELb0ES6_jNS0_17counting_iteratorIjlEEPS9_SE_NS0_5tupleIJPjSE_EEENSF_IJSE_SE_EEES9_SG_JZNS1_25segmented_radix_sort_implINS0_14default_configELb1EPK12hip_bfloat16PSL_PKlPlN2at6native12_GLOBAL__N_18offset_tEEE10hipError_tPvRmT1_PNSt15iterator_traitsISZ_E10value_typeET2_T3_PNS10_IS15_E10value_typeET4_jRbjT5_S1B_jjP12ihipStream_tbEUljE_EEESW_SX_SY_S15_S19_S1B_T6_T7_T9_mT8_S1D_bDpT10_ENKUlT_T0_E_clISt17integral_constantIbLb1EES1P_IbLb0EEEEDaS1L_S1M_EUlS1L_E_NS1_11comp_targetILNS1_3genE5ELNS1_11target_archE942ELNS1_3gpuE9ELNS1_3repE0EEENS1_30default_config_static_selectorELNS0_4arch9wavefront6targetE0EEEvSZ_.private_seg_size, 0
	.set _ZN7rocprim17ROCPRIM_400000_NS6detail17trampoline_kernelINS0_13select_configILj256ELj13ELNS0_17block_load_methodE3ELS4_3ELS4_3ELNS0_20block_scan_algorithmE0ELj4294967295EEENS1_25partition_config_selectorILNS1_17partition_subalgoE3EjNS0_10empty_typeEbEEZZNS1_14partition_implILS8_3ELb0ES6_jNS0_17counting_iteratorIjlEEPS9_SE_NS0_5tupleIJPjSE_EEENSF_IJSE_SE_EEES9_SG_JZNS1_25segmented_radix_sort_implINS0_14default_configELb1EPK12hip_bfloat16PSL_PKlPlN2at6native12_GLOBAL__N_18offset_tEEE10hipError_tPvRmT1_PNSt15iterator_traitsISZ_E10value_typeET2_T3_PNS10_IS15_E10value_typeET4_jRbjT5_S1B_jjP12ihipStream_tbEUljE_EEESW_SX_SY_S15_S19_S1B_T6_T7_T9_mT8_S1D_bDpT10_ENKUlT_T0_E_clISt17integral_constantIbLb1EES1P_IbLb0EEEEDaS1L_S1M_EUlS1L_E_NS1_11comp_targetILNS1_3genE5ELNS1_11target_archE942ELNS1_3gpuE9ELNS1_3repE0EEENS1_30default_config_static_selectorELNS0_4arch9wavefront6targetE0EEEvSZ_.uses_vcc, 0
	.set _ZN7rocprim17ROCPRIM_400000_NS6detail17trampoline_kernelINS0_13select_configILj256ELj13ELNS0_17block_load_methodE3ELS4_3ELS4_3ELNS0_20block_scan_algorithmE0ELj4294967295EEENS1_25partition_config_selectorILNS1_17partition_subalgoE3EjNS0_10empty_typeEbEEZZNS1_14partition_implILS8_3ELb0ES6_jNS0_17counting_iteratorIjlEEPS9_SE_NS0_5tupleIJPjSE_EEENSF_IJSE_SE_EEES9_SG_JZNS1_25segmented_radix_sort_implINS0_14default_configELb1EPK12hip_bfloat16PSL_PKlPlN2at6native12_GLOBAL__N_18offset_tEEE10hipError_tPvRmT1_PNSt15iterator_traitsISZ_E10value_typeET2_T3_PNS10_IS15_E10value_typeET4_jRbjT5_S1B_jjP12ihipStream_tbEUljE_EEESW_SX_SY_S15_S19_S1B_T6_T7_T9_mT8_S1D_bDpT10_ENKUlT_T0_E_clISt17integral_constantIbLb1EES1P_IbLb0EEEEDaS1L_S1M_EUlS1L_E_NS1_11comp_targetILNS1_3genE5ELNS1_11target_archE942ELNS1_3gpuE9ELNS1_3repE0EEENS1_30default_config_static_selectorELNS0_4arch9wavefront6targetE0EEEvSZ_.uses_flat_scratch, 0
	.set _ZN7rocprim17ROCPRIM_400000_NS6detail17trampoline_kernelINS0_13select_configILj256ELj13ELNS0_17block_load_methodE3ELS4_3ELS4_3ELNS0_20block_scan_algorithmE0ELj4294967295EEENS1_25partition_config_selectorILNS1_17partition_subalgoE3EjNS0_10empty_typeEbEEZZNS1_14partition_implILS8_3ELb0ES6_jNS0_17counting_iteratorIjlEEPS9_SE_NS0_5tupleIJPjSE_EEENSF_IJSE_SE_EEES9_SG_JZNS1_25segmented_radix_sort_implINS0_14default_configELb1EPK12hip_bfloat16PSL_PKlPlN2at6native12_GLOBAL__N_18offset_tEEE10hipError_tPvRmT1_PNSt15iterator_traitsISZ_E10value_typeET2_T3_PNS10_IS15_E10value_typeET4_jRbjT5_S1B_jjP12ihipStream_tbEUljE_EEESW_SX_SY_S15_S19_S1B_T6_T7_T9_mT8_S1D_bDpT10_ENKUlT_T0_E_clISt17integral_constantIbLb1EES1P_IbLb0EEEEDaS1L_S1M_EUlS1L_E_NS1_11comp_targetILNS1_3genE5ELNS1_11target_archE942ELNS1_3gpuE9ELNS1_3repE0EEENS1_30default_config_static_selectorELNS0_4arch9wavefront6targetE0EEEvSZ_.has_dyn_sized_stack, 0
	.set _ZN7rocprim17ROCPRIM_400000_NS6detail17trampoline_kernelINS0_13select_configILj256ELj13ELNS0_17block_load_methodE3ELS4_3ELS4_3ELNS0_20block_scan_algorithmE0ELj4294967295EEENS1_25partition_config_selectorILNS1_17partition_subalgoE3EjNS0_10empty_typeEbEEZZNS1_14partition_implILS8_3ELb0ES6_jNS0_17counting_iteratorIjlEEPS9_SE_NS0_5tupleIJPjSE_EEENSF_IJSE_SE_EEES9_SG_JZNS1_25segmented_radix_sort_implINS0_14default_configELb1EPK12hip_bfloat16PSL_PKlPlN2at6native12_GLOBAL__N_18offset_tEEE10hipError_tPvRmT1_PNSt15iterator_traitsISZ_E10value_typeET2_T3_PNS10_IS15_E10value_typeET4_jRbjT5_S1B_jjP12ihipStream_tbEUljE_EEESW_SX_SY_S15_S19_S1B_T6_T7_T9_mT8_S1D_bDpT10_ENKUlT_T0_E_clISt17integral_constantIbLb1EES1P_IbLb0EEEEDaS1L_S1M_EUlS1L_E_NS1_11comp_targetILNS1_3genE5ELNS1_11target_archE942ELNS1_3gpuE9ELNS1_3repE0EEENS1_30default_config_static_selectorELNS0_4arch9wavefront6targetE0EEEvSZ_.has_recursion, 0
	.set _ZN7rocprim17ROCPRIM_400000_NS6detail17trampoline_kernelINS0_13select_configILj256ELj13ELNS0_17block_load_methodE3ELS4_3ELS4_3ELNS0_20block_scan_algorithmE0ELj4294967295EEENS1_25partition_config_selectorILNS1_17partition_subalgoE3EjNS0_10empty_typeEbEEZZNS1_14partition_implILS8_3ELb0ES6_jNS0_17counting_iteratorIjlEEPS9_SE_NS0_5tupleIJPjSE_EEENSF_IJSE_SE_EEES9_SG_JZNS1_25segmented_radix_sort_implINS0_14default_configELb1EPK12hip_bfloat16PSL_PKlPlN2at6native12_GLOBAL__N_18offset_tEEE10hipError_tPvRmT1_PNSt15iterator_traitsISZ_E10value_typeET2_T3_PNS10_IS15_E10value_typeET4_jRbjT5_S1B_jjP12ihipStream_tbEUljE_EEESW_SX_SY_S15_S19_S1B_T6_T7_T9_mT8_S1D_bDpT10_ENKUlT_T0_E_clISt17integral_constantIbLb1EES1P_IbLb0EEEEDaS1L_S1M_EUlS1L_E_NS1_11comp_targetILNS1_3genE5ELNS1_11target_archE942ELNS1_3gpuE9ELNS1_3repE0EEENS1_30default_config_static_selectorELNS0_4arch9wavefront6targetE0EEEvSZ_.has_indirect_call, 0
	.section	.AMDGPU.csdata,"",@progbits
; Kernel info:
; codeLenInByte = 0
; TotalNumSgprs: 0
; NumVgprs: 0
; ScratchSize: 0
; MemoryBound: 0
; FloatMode: 240
; IeeeMode: 1
; LDSByteSize: 0 bytes/workgroup (compile time only)
; SGPRBlocks: 0
; VGPRBlocks: 0
; NumSGPRsForWavesPerEU: 1
; NumVGPRsForWavesPerEU: 1
; Occupancy: 16
; WaveLimiterHint : 0
; COMPUTE_PGM_RSRC2:SCRATCH_EN: 0
; COMPUTE_PGM_RSRC2:USER_SGPR: 2
; COMPUTE_PGM_RSRC2:TRAP_HANDLER: 0
; COMPUTE_PGM_RSRC2:TGID_X_EN: 1
; COMPUTE_PGM_RSRC2:TGID_Y_EN: 0
; COMPUTE_PGM_RSRC2:TGID_Z_EN: 0
; COMPUTE_PGM_RSRC2:TIDIG_COMP_CNT: 0
	.section	.text._ZN7rocprim17ROCPRIM_400000_NS6detail17trampoline_kernelINS0_13select_configILj256ELj13ELNS0_17block_load_methodE3ELS4_3ELS4_3ELNS0_20block_scan_algorithmE0ELj4294967295EEENS1_25partition_config_selectorILNS1_17partition_subalgoE3EjNS0_10empty_typeEbEEZZNS1_14partition_implILS8_3ELb0ES6_jNS0_17counting_iteratorIjlEEPS9_SE_NS0_5tupleIJPjSE_EEENSF_IJSE_SE_EEES9_SG_JZNS1_25segmented_radix_sort_implINS0_14default_configELb1EPK12hip_bfloat16PSL_PKlPlN2at6native12_GLOBAL__N_18offset_tEEE10hipError_tPvRmT1_PNSt15iterator_traitsISZ_E10value_typeET2_T3_PNS10_IS15_E10value_typeET4_jRbjT5_S1B_jjP12ihipStream_tbEUljE_EEESW_SX_SY_S15_S19_S1B_T6_T7_T9_mT8_S1D_bDpT10_ENKUlT_T0_E_clISt17integral_constantIbLb1EES1P_IbLb0EEEEDaS1L_S1M_EUlS1L_E_NS1_11comp_targetILNS1_3genE4ELNS1_11target_archE910ELNS1_3gpuE8ELNS1_3repE0EEENS1_30default_config_static_selectorELNS0_4arch9wavefront6targetE0EEEvSZ_,"axG",@progbits,_ZN7rocprim17ROCPRIM_400000_NS6detail17trampoline_kernelINS0_13select_configILj256ELj13ELNS0_17block_load_methodE3ELS4_3ELS4_3ELNS0_20block_scan_algorithmE0ELj4294967295EEENS1_25partition_config_selectorILNS1_17partition_subalgoE3EjNS0_10empty_typeEbEEZZNS1_14partition_implILS8_3ELb0ES6_jNS0_17counting_iteratorIjlEEPS9_SE_NS0_5tupleIJPjSE_EEENSF_IJSE_SE_EEES9_SG_JZNS1_25segmented_radix_sort_implINS0_14default_configELb1EPK12hip_bfloat16PSL_PKlPlN2at6native12_GLOBAL__N_18offset_tEEE10hipError_tPvRmT1_PNSt15iterator_traitsISZ_E10value_typeET2_T3_PNS10_IS15_E10value_typeET4_jRbjT5_S1B_jjP12ihipStream_tbEUljE_EEESW_SX_SY_S15_S19_S1B_T6_T7_T9_mT8_S1D_bDpT10_ENKUlT_T0_E_clISt17integral_constantIbLb1EES1P_IbLb0EEEEDaS1L_S1M_EUlS1L_E_NS1_11comp_targetILNS1_3genE4ELNS1_11target_archE910ELNS1_3gpuE8ELNS1_3repE0EEENS1_30default_config_static_selectorELNS0_4arch9wavefront6targetE0EEEvSZ_,comdat
	.globl	_ZN7rocprim17ROCPRIM_400000_NS6detail17trampoline_kernelINS0_13select_configILj256ELj13ELNS0_17block_load_methodE3ELS4_3ELS4_3ELNS0_20block_scan_algorithmE0ELj4294967295EEENS1_25partition_config_selectorILNS1_17partition_subalgoE3EjNS0_10empty_typeEbEEZZNS1_14partition_implILS8_3ELb0ES6_jNS0_17counting_iteratorIjlEEPS9_SE_NS0_5tupleIJPjSE_EEENSF_IJSE_SE_EEES9_SG_JZNS1_25segmented_radix_sort_implINS0_14default_configELb1EPK12hip_bfloat16PSL_PKlPlN2at6native12_GLOBAL__N_18offset_tEEE10hipError_tPvRmT1_PNSt15iterator_traitsISZ_E10value_typeET2_T3_PNS10_IS15_E10value_typeET4_jRbjT5_S1B_jjP12ihipStream_tbEUljE_EEESW_SX_SY_S15_S19_S1B_T6_T7_T9_mT8_S1D_bDpT10_ENKUlT_T0_E_clISt17integral_constantIbLb1EES1P_IbLb0EEEEDaS1L_S1M_EUlS1L_E_NS1_11comp_targetILNS1_3genE4ELNS1_11target_archE910ELNS1_3gpuE8ELNS1_3repE0EEENS1_30default_config_static_selectorELNS0_4arch9wavefront6targetE0EEEvSZ_ ; -- Begin function _ZN7rocprim17ROCPRIM_400000_NS6detail17trampoline_kernelINS0_13select_configILj256ELj13ELNS0_17block_load_methodE3ELS4_3ELS4_3ELNS0_20block_scan_algorithmE0ELj4294967295EEENS1_25partition_config_selectorILNS1_17partition_subalgoE3EjNS0_10empty_typeEbEEZZNS1_14partition_implILS8_3ELb0ES6_jNS0_17counting_iteratorIjlEEPS9_SE_NS0_5tupleIJPjSE_EEENSF_IJSE_SE_EEES9_SG_JZNS1_25segmented_radix_sort_implINS0_14default_configELb1EPK12hip_bfloat16PSL_PKlPlN2at6native12_GLOBAL__N_18offset_tEEE10hipError_tPvRmT1_PNSt15iterator_traitsISZ_E10value_typeET2_T3_PNS10_IS15_E10value_typeET4_jRbjT5_S1B_jjP12ihipStream_tbEUljE_EEESW_SX_SY_S15_S19_S1B_T6_T7_T9_mT8_S1D_bDpT10_ENKUlT_T0_E_clISt17integral_constantIbLb1EES1P_IbLb0EEEEDaS1L_S1M_EUlS1L_E_NS1_11comp_targetILNS1_3genE4ELNS1_11target_archE910ELNS1_3gpuE8ELNS1_3repE0EEENS1_30default_config_static_selectorELNS0_4arch9wavefront6targetE0EEEvSZ_
	.p2align	8
	.type	_ZN7rocprim17ROCPRIM_400000_NS6detail17trampoline_kernelINS0_13select_configILj256ELj13ELNS0_17block_load_methodE3ELS4_3ELS4_3ELNS0_20block_scan_algorithmE0ELj4294967295EEENS1_25partition_config_selectorILNS1_17partition_subalgoE3EjNS0_10empty_typeEbEEZZNS1_14partition_implILS8_3ELb0ES6_jNS0_17counting_iteratorIjlEEPS9_SE_NS0_5tupleIJPjSE_EEENSF_IJSE_SE_EEES9_SG_JZNS1_25segmented_radix_sort_implINS0_14default_configELb1EPK12hip_bfloat16PSL_PKlPlN2at6native12_GLOBAL__N_18offset_tEEE10hipError_tPvRmT1_PNSt15iterator_traitsISZ_E10value_typeET2_T3_PNS10_IS15_E10value_typeET4_jRbjT5_S1B_jjP12ihipStream_tbEUljE_EEESW_SX_SY_S15_S19_S1B_T6_T7_T9_mT8_S1D_bDpT10_ENKUlT_T0_E_clISt17integral_constantIbLb1EES1P_IbLb0EEEEDaS1L_S1M_EUlS1L_E_NS1_11comp_targetILNS1_3genE4ELNS1_11target_archE910ELNS1_3gpuE8ELNS1_3repE0EEENS1_30default_config_static_selectorELNS0_4arch9wavefront6targetE0EEEvSZ_,@function
_ZN7rocprim17ROCPRIM_400000_NS6detail17trampoline_kernelINS0_13select_configILj256ELj13ELNS0_17block_load_methodE3ELS4_3ELS4_3ELNS0_20block_scan_algorithmE0ELj4294967295EEENS1_25partition_config_selectorILNS1_17partition_subalgoE3EjNS0_10empty_typeEbEEZZNS1_14partition_implILS8_3ELb0ES6_jNS0_17counting_iteratorIjlEEPS9_SE_NS0_5tupleIJPjSE_EEENSF_IJSE_SE_EEES9_SG_JZNS1_25segmented_radix_sort_implINS0_14default_configELb1EPK12hip_bfloat16PSL_PKlPlN2at6native12_GLOBAL__N_18offset_tEEE10hipError_tPvRmT1_PNSt15iterator_traitsISZ_E10value_typeET2_T3_PNS10_IS15_E10value_typeET4_jRbjT5_S1B_jjP12ihipStream_tbEUljE_EEESW_SX_SY_S15_S19_S1B_T6_T7_T9_mT8_S1D_bDpT10_ENKUlT_T0_E_clISt17integral_constantIbLb1EES1P_IbLb0EEEEDaS1L_S1M_EUlS1L_E_NS1_11comp_targetILNS1_3genE4ELNS1_11target_archE910ELNS1_3gpuE8ELNS1_3repE0EEENS1_30default_config_static_selectorELNS0_4arch9wavefront6targetE0EEEvSZ_: ; @_ZN7rocprim17ROCPRIM_400000_NS6detail17trampoline_kernelINS0_13select_configILj256ELj13ELNS0_17block_load_methodE3ELS4_3ELS4_3ELNS0_20block_scan_algorithmE0ELj4294967295EEENS1_25partition_config_selectorILNS1_17partition_subalgoE3EjNS0_10empty_typeEbEEZZNS1_14partition_implILS8_3ELb0ES6_jNS0_17counting_iteratorIjlEEPS9_SE_NS0_5tupleIJPjSE_EEENSF_IJSE_SE_EEES9_SG_JZNS1_25segmented_radix_sort_implINS0_14default_configELb1EPK12hip_bfloat16PSL_PKlPlN2at6native12_GLOBAL__N_18offset_tEEE10hipError_tPvRmT1_PNSt15iterator_traitsISZ_E10value_typeET2_T3_PNS10_IS15_E10value_typeET4_jRbjT5_S1B_jjP12ihipStream_tbEUljE_EEESW_SX_SY_S15_S19_S1B_T6_T7_T9_mT8_S1D_bDpT10_ENKUlT_T0_E_clISt17integral_constantIbLb1EES1P_IbLb0EEEEDaS1L_S1M_EUlS1L_E_NS1_11comp_targetILNS1_3genE4ELNS1_11target_archE910ELNS1_3gpuE8ELNS1_3repE0EEENS1_30default_config_static_selectorELNS0_4arch9wavefront6targetE0EEEvSZ_
; %bb.0:
	.section	.rodata,"a",@progbits
	.p2align	6, 0x0
	.amdhsa_kernel _ZN7rocprim17ROCPRIM_400000_NS6detail17trampoline_kernelINS0_13select_configILj256ELj13ELNS0_17block_load_methodE3ELS4_3ELS4_3ELNS0_20block_scan_algorithmE0ELj4294967295EEENS1_25partition_config_selectorILNS1_17partition_subalgoE3EjNS0_10empty_typeEbEEZZNS1_14partition_implILS8_3ELb0ES6_jNS0_17counting_iteratorIjlEEPS9_SE_NS0_5tupleIJPjSE_EEENSF_IJSE_SE_EEES9_SG_JZNS1_25segmented_radix_sort_implINS0_14default_configELb1EPK12hip_bfloat16PSL_PKlPlN2at6native12_GLOBAL__N_18offset_tEEE10hipError_tPvRmT1_PNSt15iterator_traitsISZ_E10value_typeET2_T3_PNS10_IS15_E10value_typeET4_jRbjT5_S1B_jjP12ihipStream_tbEUljE_EEESW_SX_SY_S15_S19_S1B_T6_T7_T9_mT8_S1D_bDpT10_ENKUlT_T0_E_clISt17integral_constantIbLb1EES1P_IbLb0EEEEDaS1L_S1M_EUlS1L_E_NS1_11comp_targetILNS1_3genE4ELNS1_11target_archE910ELNS1_3gpuE8ELNS1_3repE0EEENS1_30default_config_static_selectorELNS0_4arch9wavefront6targetE0EEEvSZ_
		.amdhsa_group_segment_fixed_size 0
		.amdhsa_private_segment_fixed_size 0
		.amdhsa_kernarg_size 144
		.amdhsa_user_sgpr_count 2
		.amdhsa_user_sgpr_dispatch_ptr 0
		.amdhsa_user_sgpr_queue_ptr 0
		.amdhsa_user_sgpr_kernarg_segment_ptr 1
		.amdhsa_user_sgpr_dispatch_id 0
		.amdhsa_user_sgpr_private_segment_size 0
		.amdhsa_wavefront_size32 1
		.amdhsa_uses_dynamic_stack 0
		.amdhsa_enable_private_segment 0
		.amdhsa_system_sgpr_workgroup_id_x 1
		.amdhsa_system_sgpr_workgroup_id_y 0
		.amdhsa_system_sgpr_workgroup_id_z 0
		.amdhsa_system_sgpr_workgroup_info 0
		.amdhsa_system_vgpr_workitem_id 0
		.amdhsa_next_free_vgpr 1
		.amdhsa_next_free_sgpr 1
		.amdhsa_reserve_vcc 0
		.amdhsa_float_round_mode_32 0
		.amdhsa_float_round_mode_16_64 0
		.amdhsa_float_denorm_mode_32 3
		.amdhsa_float_denorm_mode_16_64 3
		.amdhsa_fp16_overflow 0
		.amdhsa_workgroup_processor_mode 1
		.amdhsa_memory_ordered 1
		.amdhsa_forward_progress 1
		.amdhsa_inst_pref_size 0
		.amdhsa_round_robin_scheduling 0
		.amdhsa_exception_fp_ieee_invalid_op 0
		.amdhsa_exception_fp_denorm_src 0
		.amdhsa_exception_fp_ieee_div_zero 0
		.amdhsa_exception_fp_ieee_overflow 0
		.amdhsa_exception_fp_ieee_underflow 0
		.amdhsa_exception_fp_ieee_inexact 0
		.amdhsa_exception_int_div_zero 0
	.end_amdhsa_kernel
	.section	.text._ZN7rocprim17ROCPRIM_400000_NS6detail17trampoline_kernelINS0_13select_configILj256ELj13ELNS0_17block_load_methodE3ELS4_3ELS4_3ELNS0_20block_scan_algorithmE0ELj4294967295EEENS1_25partition_config_selectorILNS1_17partition_subalgoE3EjNS0_10empty_typeEbEEZZNS1_14partition_implILS8_3ELb0ES6_jNS0_17counting_iteratorIjlEEPS9_SE_NS0_5tupleIJPjSE_EEENSF_IJSE_SE_EEES9_SG_JZNS1_25segmented_radix_sort_implINS0_14default_configELb1EPK12hip_bfloat16PSL_PKlPlN2at6native12_GLOBAL__N_18offset_tEEE10hipError_tPvRmT1_PNSt15iterator_traitsISZ_E10value_typeET2_T3_PNS10_IS15_E10value_typeET4_jRbjT5_S1B_jjP12ihipStream_tbEUljE_EEESW_SX_SY_S15_S19_S1B_T6_T7_T9_mT8_S1D_bDpT10_ENKUlT_T0_E_clISt17integral_constantIbLb1EES1P_IbLb0EEEEDaS1L_S1M_EUlS1L_E_NS1_11comp_targetILNS1_3genE4ELNS1_11target_archE910ELNS1_3gpuE8ELNS1_3repE0EEENS1_30default_config_static_selectorELNS0_4arch9wavefront6targetE0EEEvSZ_,"axG",@progbits,_ZN7rocprim17ROCPRIM_400000_NS6detail17trampoline_kernelINS0_13select_configILj256ELj13ELNS0_17block_load_methodE3ELS4_3ELS4_3ELNS0_20block_scan_algorithmE0ELj4294967295EEENS1_25partition_config_selectorILNS1_17partition_subalgoE3EjNS0_10empty_typeEbEEZZNS1_14partition_implILS8_3ELb0ES6_jNS0_17counting_iteratorIjlEEPS9_SE_NS0_5tupleIJPjSE_EEENSF_IJSE_SE_EEES9_SG_JZNS1_25segmented_radix_sort_implINS0_14default_configELb1EPK12hip_bfloat16PSL_PKlPlN2at6native12_GLOBAL__N_18offset_tEEE10hipError_tPvRmT1_PNSt15iterator_traitsISZ_E10value_typeET2_T3_PNS10_IS15_E10value_typeET4_jRbjT5_S1B_jjP12ihipStream_tbEUljE_EEESW_SX_SY_S15_S19_S1B_T6_T7_T9_mT8_S1D_bDpT10_ENKUlT_T0_E_clISt17integral_constantIbLb1EES1P_IbLb0EEEEDaS1L_S1M_EUlS1L_E_NS1_11comp_targetILNS1_3genE4ELNS1_11target_archE910ELNS1_3gpuE8ELNS1_3repE0EEENS1_30default_config_static_selectorELNS0_4arch9wavefront6targetE0EEEvSZ_,comdat
.Lfunc_end1932:
	.size	_ZN7rocprim17ROCPRIM_400000_NS6detail17trampoline_kernelINS0_13select_configILj256ELj13ELNS0_17block_load_methodE3ELS4_3ELS4_3ELNS0_20block_scan_algorithmE0ELj4294967295EEENS1_25partition_config_selectorILNS1_17partition_subalgoE3EjNS0_10empty_typeEbEEZZNS1_14partition_implILS8_3ELb0ES6_jNS0_17counting_iteratorIjlEEPS9_SE_NS0_5tupleIJPjSE_EEENSF_IJSE_SE_EEES9_SG_JZNS1_25segmented_radix_sort_implINS0_14default_configELb1EPK12hip_bfloat16PSL_PKlPlN2at6native12_GLOBAL__N_18offset_tEEE10hipError_tPvRmT1_PNSt15iterator_traitsISZ_E10value_typeET2_T3_PNS10_IS15_E10value_typeET4_jRbjT5_S1B_jjP12ihipStream_tbEUljE_EEESW_SX_SY_S15_S19_S1B_T6_T7_T9_mT8_S1D_bDpT10_ENKUlT_T0_E_clISt17integral_constantIbLb1EES1P_IbLb0EEEEDaS1L_S1M_EUlS1L_E_NS1_11comp_targetILNS1_3genE4ELNS1_11target_archE910ELNS1_3gpuE8ELNS1_3repE0EEENS1_30default_config_static_selectorELNS0_4arch9wavefront6targetE0EEEvSZ_, .Lfunc_end1932-_ZN7rocprim17ROCPRIM_400000_NS6detail17trampoline_kernelINS0_13select_configILj256ELj13ELNS0_17block_load_methodE3ELS4_3ELS4_3ELNS0_20block_scan_algorithmE0ELj4294967295EEENS1_25partition_config_selectorILNS1_17partition_subalgoE3EjNS0_10empty_typeEbEEZZNS1_14partition_implILS8_3ELb0ES6_jNS0_17counting_iteratorIjlEEPS9_SE_NS0_5tupleIJPjSE_EEENSF_IJSE_SE_EEES9_SG_JZNS1_25segmented_radix_sort_implINS0_14default_configELb1EPK12hip_bfloat16PSL_PKlPlN2at6native12_GLOBAL__N_18offset_tEEE10hipError_tPvRmT1_PNSt15iterator_traitsISZ_E10value_typeET2_T3_PNS10_IS15_E10value_typeET4_jRbjT5_S1B_jjP12ihipStream_tbEUljE_EEESW_SX_SY_S15_S19_S1B_T6_T7_T9_mT8_S1D_bDpT10_ENKUlT_T0_E_clISt17integral_constantIbLb1EES1P_IbLb0EEEEDaS1L_S1M_EUlS1L_E_NS1_11comp_targetILNS1_3genE4ELNS1_11target_archE910ELNS1_3gpuE8ELNS1_3repE0EEENS1_30default_config_static_selectorELNS0_4arch9wavefront6targetE0EEEvSZ_
                                        ; -- End function
	.set _ZN7rocprim17ROCPRIM_400000_NS6detail17trampoline_kernelINS0_13select_configILj256ELj13ELNS0_17block_load_methodE3ELS4_3ELS4_3ELNS0_20block_scan_algorithmE0ELj4294967295EEENS1_25partition_config_selectorILNS1_17partition_subalgoE3EjNS0_10empty_typeEbEEZZNS1_14partition_implILS8_3ELb0ES6_jNS0_17counting_iteratorIjlEEPS9_SE_NS0_5tupleIJPjSE_EEENSF_IJSE_SE_EEES9_SG_JZNS1_25segmented_radix_sort_implINS0_14default_configELb1EPK12hip_bfloat16PSL_PKlPlN2at6native12_GLOBAL__N_18offset_tEEE10hipError_tPvRmT1_PNSt15iterator_traitsISZ_E10value_typeET2_T3_PNS10_IS15_E10value_typeET4_jRbjT5_S1B_jjP12ihipStream_tbEUljE_EEESW_SX_SY_S15_S19_S1B_T6_T7_T9_mT8_S1D_bDpT10_ENKUlT_T0_E_clISt17integral_constantIbLb1EES1P_IbLb0EEEEDaS1L_S1M_EUlS1L_E_NS1_11comp_targetILNS1_3genE4ELNS1_11target_archE910ELNS1_3gpuE8ELNS1_3repE0EEENS1_30default_config_static_selectorELNS0_4arch9wavefront6targetE0EEEvSZ_.num_vgpr, 0
	.set _ZN7rocprim17ROCPRIM_400000_NS6detail17trampoline_kernelINS0_13select_configILj256ELj13ELNS0_17block_load_methodE3ELS4_3ELS4_3ELNS0_20block_scan_algorithmE0ELj4294967295EEENS1_25partition_config_selectorILNS1_17partition_subalgoE3EjNS0_10empty_typeEbEEZZNS1_14partition_implILS8_3ELb0ES6_jNS0_17counting_iteratorIjlEEPS9_SE_NS0_5tupleIJPjSE_EEENSF_IJSE_SE_EEES9_SG_JZNS1_25segmented_radix_sort_implINS0_14default_configELb1EPK12hip_bfloat16PSL_PKlPlN2at6native12_GLOBAL__N_18offset_tEEE10hipError_tPvRmT1_PNSt15iterator_traitsISZ_E10value_typeET2_T3_PNS10_IS15_E10value_typeET4_jRbjT5_S1B_jjP12ihipStream_tbEUljE_EEESW_SX_SY_S15_S19_S1B_T6_T7_T9_mT8_S1D_bDpT10_ENKUlT_T0_E_clISt17integral_constantIbLb1EES1P_IbLb0EEEEDaS1L_S1M_EUlS1L_E_NS1_11comp_targetILNS1_3genE4ELNS1_11target_archE910ELNS1_3gpuE8ELNS1_3repE0EEENS1_30default_config_static_selectorELNS0_4arch9wavefront6targetE0EEEvSZ_.num_agpr, 0
	.set _ZN7rocprim17ROCPRIM_400000_NS6detail17trampoline_kernelINS0_13select_configILj256ELj13ELNS0_17block_load_methodE3ELS4_3ELS4_3ELNS0_20block_scan_algorithmE0ELj4294967295EEENS1_25partition_config_selectorILNS1_17partition_subalgoE3EjNS0_10empty_typeEbEEZZNS1_14partition_implILS8_3ELb0ES6_jNS0_17counting_iteratorIjlEEPS9_SE_NS0_5tupleIJPjSE_EEENSF_IJSE_SE_EEES9_SG_JZNS1_25segmented_radix_sort_implINS0_14default_configELb1EPK12hip_bfloat16PSL_PKlPlN2at6native12_GLOBAL__N_18offset_tEEE10hipError_tPvRmT1_PNSt15iterator_traitsISZ_E10value_typeET2_T3_PNS10_IS15_E10value_typeET4_jRbjT5_S1B_jjP12ihipStream_tbEUljE_EEESW_SX_SY_S15_S19_S1B_T6_T7_T9_mT8_S1D_bDpT10_ENKUlT_T0_E_clISt17integral_constantIbLb1EES1P_IbLb0EEEEDaS1L_S1M_EUlS1L_E_NS1_11comp_targetILNS1_3genE4ELNS1_11target_archE910ELNS1_3gpuE8ELNS1_3repE0EEENS1_30default_config_static_selectorELNS0_4arch9wavefront6targetE0EEEvSZ_.numbered_sgpr, 0
	.set _ZN7rocprim17ROCPRIM_400000_NS6detail17trampoline_kernelINS0_13select_configILj256ELj13ELNS0_17block_load_methodE3ELS4_3ELS4_3ELNS0_20block_scan_algorithmE0ELj4294967295EEENS1_25partition_config_selectorILNS1_17partition_subalgoE3EjNS0_10empty_typeEbEEZZNS1_14partition_implILS8_3ELb0ES6_jNS0_17counting_iteratorIjlEEPS9_SE_NS0_5tupleIJPjSE_EEENSF_IJSE_SE_EEES9_SG_JZNS1_25segmented_radix_sort_implINS0_14default_configELb1EPK12hip_bfloat16PSL_PKlPlN2at6native12_GLOBAL__N_18offset_tEEE10hipError_tPvRmT1_PNSt15iterator_traitsISZ_E10value_typeET2_T3_PNS10_IS15_E10value_typeET4_jRbjT5_S1B_jjP12ihipStream_tbEUljE_EEESW_SX_SY_S15_S19_S1B_T6_T7_T9_mT8_S1D_bDpT10_ENKUlT_T0_E_clISt17integral_constantIbLb1EES1P_IbLb0EEEEDaS1L_S1M_EUlS1L_E_NS1_11comp_targetILNS1_3genE4ELNS1_11target_archE910ELNS1_3gpuE8ELNS1_3repE0EEENS1_30default_config_static_selectorELNS0_4arch9wavefront6targetE0EEEvSZ_.num_named_barrier, 0
	.set _ZN7rocprim17ROCPRIM_400000_NS6detail17trampoline_kernelINS0_13select_configILj256ELj13ELNS0_17block_load_methodE3ELS4_3ELS4_3ELNS0_20block_scan_algorithmE0ELj4294967295EEENS1_25partition_config_selectorILNS1_17partition_subalgoE3EjNS0_10empty_typeEbEEZZNS1_14partition_implILS8_3ELb0ES6_jNS0_17counting_iteratorIjlEEPS9_SE_NS0_5tupleIJPjSE_EEENSF_IJSE_SE_EEES9_SG_JZNS1_25segmented_radix_sort_implINS0_14default_configELb1EPK12hip_bfloat16PSL_PKlPlN2at6native12_GLOBAL__N_18offset_tEEE10hipError_tPvRmT1_PNSt15iterator_traitsISZ_E10value_typeET2_T3_PNS10_IS15_E10value_typeET4_jRbjT5_S1B_jjP12ihipStream_tbEUljE_EEESW_SX_SY_S15_S19_S1B_T6_T7_T9_mT8_S1D_bDpT10_ENKUlT_T0_E_clISt17integral_constantIbLb1EES1P_IbLb0EEEEDaS1L_S1M_EUlS1L_E_NS1_11comp_targetILNS1_3genE4ELNS1_11target_archE910ELNS1_3gpuE8ELNS1_3repE0EEENS1_30default_config_static_selectorELNS0_4arch9wavefront6targetE0EEEvSZ_.private_seg_size, 0
	.set _ZN7rocprim17ROCPRIM_400000_NS6detail17trampoline_kernelINS0_13select_configILj256ELj13ELNS0_17block_load_methodE3ELS4_3ELS4_3ELNS0_20block_scan_algorithmE0ELj4294967295EEENS1_25partition_config_selectorILNS1_17partition_subalgoE3EjNS0_10empty_typeEbEEZZNS1_14partition_implILS8_3ELb0ES6_jNS0_17counting_iteratorIjlEEPS9_SE_NS0_5tupleIJPjSE_EEENSF_IJSE_SE_EEES9_SG_JZNS1_25segmented_radix_sort_implINS0_14default_configELb1EPK12hip_bfloat16PSL_PKlPlN2at6native12_GLOBAL__N_18offset_tEEE10hipError_tPvRmT1_PNSt15iterator_traitsISZ_E10value_typeET2_T3_PNS10_IS15_E10value_typeET4_jRbjT5_S1B_jjP12ihipStream_tbEUljE_EEESW_SX_SY_S15_S19_S1B_T6_T7_T9_mT8_S1D_bDpT10_ENKUlT_T0_E_clISt17integral_constantIbLb1EES1P_IbLb0EEEEDaS1L_S1M_EUlS1L_E_NS1_11comp_targetILNS1_3genE4ELNS1_11target_archE910ELNS1_3gpuE8ELNS1_3repE0EEENS1_30default_config_static_selectorELNS0_4arch9wavefront6targetE0EEEvSZ_.uses_vcc, 0
	.set _ZN7rocprim17ROCPRIM_400000_NS6detail17trampoline_kernelINS0_13select_configILj256ELj13ELNS0_17block_load_methodE3ELS4_3ELS4_3ELNS0_20block_scan_algorithmE0ELj4294967295EEENS1_25partition_config_selectorILNS1_17partition_subalgoE3EjNS0_10empty_typeEbEEZZNS1_14partition_implILS8_3ELb0ES6_jNS0_17counting_iteratorIjlEEPS9_SE_NS0_5tupleIJPjSE_EEENSF_IJSE_SE_EEES9_SG_JZNS1_25segmented_radix_sort_implINS0_14default_configELb1EPK12hip_bfloat16PSL_PKlPlN2at6native12_GLOBAL__N_18offset_tEEE10hipError_tPvRmT1_PNSt15iterator_traitsISZ_E10value_typeET2_T3_PNS10_IS15_E10value_typeET4_jRbjT5_S1B_jjP12ihipStream_tbEUljE_EEESW_SX_SY_S15_S19_S1B_T6_T7_T9_mT8_S1D_bDpT10_ENKUlT_T0_E_clISt17integral_constantIbLb1EES1P_IbLb0EEEEDaS1L_S1M_EUlS1L_E_NS1_11comp_targetILNS1_3genE4ELNS1_11target_archE910ELNS1_3gpuE8ELNS1_3repE0EEENS1_30default_config_static_selectorELNS0_4arch9wavefront6targetE0EEEvSZ_.uses_flat_scratch, 0
	.set _ZN7rocprim17ROCPRIM_400000_NS6detail17trampoline_kernelINS0_13select_configILj256ELj13ELNS0_17block_load_methodE3ELS4_3ELS4_3ELNS0_20block_scan_algorithmE0ELj4294967295EEENS1_25partition_config_selectorILNS1_17partition_subalgoE3EjNS0_10empty_typeEbEEZZNS1_14partition_implILS8_3ELb0ES6_jNS0_17counting_iteratorIjlEEPS9_SE_NS0_5tupleIJPjSE_EEENSF_IJSE_SE_EEES9_SG_JZNS1_25segmented_radix_sort_implINS0_14default_configELb1EPK12hip_bfloat16PSL_PKlPlN2at6native12_GLOBAL__N_18offset_tEEE10hipError_tPvRmT1_PNSt15iterator_traitsISZ_E10value_typeET2_T3_PNS10_IS15_E10value_typeET4_jRbjT5_S1B_jjP12ihipStream_tbEUljE_EEESW_SX_SY_S15_S19_S1B_T6_T7_T9_mT8_S1D_bDpT10_ENKUlT_T0_E_clISt17integral_constantIbLb1EES1P_IbLb0EEEEDaS1L_S1M_EUlS1L_E_NS1_11comp_targetILNS1_3genE4ELNS1_11target_archE910ELNS1_3gpuE8ELNS1_3repE0EEENS1_30default_config_static_selectorELNS0_4arch9wavefront6targetE0EEEvSZ_.has_dyn_sized_stack, 0
	.set _ZN7rocprim17ROCPRIM_400000_NS6detail17trampoline_kernelINS0_13select_configILj256ELj13ELNS0_17block_load_methodE3ELS4_3ELS4_3ELNS0_20block_scan_algorithmE0ELj4294967295EEENS1_25partition_config_selectorILNS1_17partition_subalgoE3EjNS0_10empty_typeEbEEZZNS1_14partition_implILS8_3ELb0ES6_jNS0_17counting_iteratorIjlEEPS9_SE_NS0_5tupleIJPjSE_EEENSF_IJSE_SE_EEES9_SG_JZNS1_25segmented_radix_sort_implINS0_14default_configELb1EPK12hip_bfloat16PSL_PKlPlN2at6native12_GLOBAL__N_18offset_tEEE10hipError_tPvRmT1_PNSt15iterator_traitsISZ_E10value_typeET2_T3_PNS10_IS15_E10value_typeET4_jRbjT5_S1B_jjP12ihipStream_tbEUljE_EEESW_SX_SY_S15_S19_S1B_T6_T7_T9_mT8_S1D_bDpT10_ENKUlT_T0_E_clISt17integral_constantIbLb1EES1P_IbLb0EEEEDaS1L_S1M_EUlS1L_E_NS1_11comp_targetILNS1_3genE4ELNS1_11target_archE910ELNS1_3gpuE8ELNS1_3repE0EEENS1_30default_config_static_selectorELNS0_4arch9wavefront6targetE0EEEvSZ_.has_recursion, 0
	.set _ZN7rocprim17ROCPRIM_400000_NS6detail17trampoline_kernelINS0_13select_configILj256ELj13ELNS0_17block_load_methodE3ELS4_3ELS4_3ELNS0_20block_scan_algorithmE0ELj4294967295EEENS1_25partition_config_selectorILNS1_17partition_subalgoE3EjNS0_10empty_typeEbEEZZNS1_14partition_implILS8_3ELb0ES6_jNS0_17counting_iteratorIjlEEPS9_SE_NS0_5tupleIJPjSE_EEENSF_IJSE_SE_EEES9_SG_JZNS1_25segmented_radix_sort_implINS0_14default_configELb1EPK12hip_bfloat16PSL_PKlPlN2at6native12_GLOBAL__N_18offset_tEEE10hipError_tPvRmT1_PNSt15iterator_traitsISZ_E10value_typeET2_T3_PNS10_IS15_E10value_typeET4_jRbjT5_S1B_jjP12ihipStream_tbEUljE_EEESW_SX_SY_S15_S19_S1B_T6_T7_T9_mT8_S1D_bDpT10_ENKUlT_T0_E_clISt17integral_constantIbLb1EES1P_IbLb0EEEEDaS1L_S1M_EUlS1L_E_NS1_11comp_targetILNS1_3genE4ELNS1_11target_archE910ELNS1_3gpuE8ELNS1_3repE0EEENS1_30default_config_static_selectorELNS0_4arch9wavefront6targetE0EEEvSZ_.has_indirect_call, 0
	.section	.AMDGPU.csdata,"",@progbits
; Kernel info:
; codeLenInByte = 0
; TotalNumSgprs: 0
; NumVgprs: 0
; ScratchSize: 0
; MemoryBound: 0
; FloatMode: 240
; IeeeMode: 1
; LDSByteSize: 0 bytes/workgroup (compile time only)
; SGPRBlocks: 0
; VGPRBlocks: 0
; NumSGPRsForWavesPerEU: 1
; NumVGPRsForWavesPerEU: 1
; Occupancy: 16
; WaveLimiterHint : 0
; COMPUTE_PGM_RSRC2:SCRATCH_EN: 0
; COMPUTE_PGM_RSRC2:USER_SGPR: 2
; COMPUTE_PGM_RSRC2:TRAP_HANDLER: 0
; COMPUTE_PGM_RSRC2:TGID_X_EN: 1
; COMPUTE_PGM_RSRC2:TGID_Y_EN: 0
; COMPUTE_PGM_RSRC2:TGID_Z_EN: 0
; COMPUTE_PGM_RSRC2:TIDIG_COMP_CNT: 0
	.section	.text._ZN7rocprim17ROCPRIM_400000_NS6detail17trampoline_kernelINS0_13select_configILj256ELj13ELNS0_17block_load_methodE3ELS4_3ELS4_3ELNS0_20block_scan_algorithmE0ELj4294967295EEENS1_25partition_config_selectorILNS1_17partition_subalgoE3EjNS0_10empty_typeEbEEZZNS1_14partition_implILS8_3ELb0ES6_jNS0_17counting_iteratorIjlEEPS9_SE_NS0_5tupleIJPjSE_EEENSF_IJSE_SE_EEES9_SG_JZNS1_25segmented_radix_sort_implINS0_14default_configELb1EPK12hip_bfloat16PSL_PKlPlN2at6native12_GLOBAL__N_18offset_tEEE10hipError_tPvRmT1_PNSt15iterator_traitsISZ_E10value_typeET2_T3_PNS10_IS15_E10value_typeET4_jRbjT5_S1B_jjP12ihipStream_tbEUljE_EEESW_SX_SY_S15_S19_S1B_T6_T7_T9_mT8_S1D_bDpT10_ENKUlT_T0_E_clISt17integral_constantIbLb1EES1P_IbLb0EEEEDaS1L_S1M_EUlS1L_E_NS1_11comp_targetILNS1_3genE3ELNS1_11target_archE908ELNS1_3gpuE7ELNS1_3repE0EEENS1_30default_config_static_selectorELNS0_4arch9wavefront6targetE0EEEvSZ_,"axG",@progbits,_ZN7rocprim17ROCPRIM_400000_NS6detail17trampoline_kernelINS0_13select_configILj256ELj13ELNS0_17block_load_methodE3ELS4_3ELS4_3ELNS0_20block_scan_algorithmE0ELj4294967295EEENS1_25partition_config_selectorILNS1_17partition_subalgoE3EjNS0_10empty_typeEbEEZZNS1_14partition_implILS8_3ELb0ES6_jNS0_17counting_iteratorIjlEEPS9_SE_NS0_5tupleIJPjSE_EEENSF_IJSE_SE_EEES9_SG_JZNS1_25segmented_radix_sort_implINS0_14default_configELb1EPK12hip_bfloat16PSL_PKlPlN2at6native12_GLOBAL__N_18offset_tEEE10hipError_tPvRmT1_PNSt15iterator_traitsISZ_E10value_typeET2_T3_PNS10_IS15_E10value_typeET4_jRbjT5_S1B_jjP12ihipStream_tbEUljE_EEESW_SX_SY_S15_S19_S1B_T6_T7_T9_mT8_S1D_bDpT10_ENKUlT_T0_E_clISt17integral_constantIbLb1EES1P_IbLb0EEEEDaS1L_S1M_EUlS1L_E_NS1_11comp_targetILNS1_3genE3ELNS1_11target_archE908ELNS1_3gpuE7ELNS1_3repE0EEENS1_30default_config_static_selectorELNS0_4arch9wavefront6targetE0EEEvSZ_,comdat
	.globl	_ZN7rocprim17ROCPRIM_400000_NS6detail17trampoline_kernelINS0_13select_configILj256ELj13ELNS0_17block_load_methodE3ELS4_3ELS4_3ELNS0_20block_scan_algorithmE0ELj4294967295EEENS1_25partition_config_selectorILNS1_17partition_subalgoE3EjNS0_10empty_typeEbEEZZNS1_14partition_implILS8_3ELb0ES6_jNS0_17counting_iteratorIjlEEPS9_SE_NS0_5tupleIJPjSE_EEENSF_IJSE_SE_EEES9_SG_JZNS1_25segmented_radix_sort_implINS0_14default_configELb1EPK12hip_bfloat16PSL_PKlPlN2at6native12_GLOBAL__N_18offset_tEEE10hipError_tPvRmT1_PNSt15iterator_traitsISZ_E10value_typeET2_T3_PNS10_IS15_E10value_typeET4_jRbjT5_S1B_jjP12ihipStream_tbEUljE_EEESW_SX_SY_S15_S19_S1B_T6_T7_T9_mT8_S1D_bDpT10_ENKUlT_T0_E_clISt17integral_constantIbLb1EES1P_IbLb0EEEEDaS1L_S1M_EUlS1L_E_NS1_11comp_targetILNS1_3genE3ELNS1_11target_archE908ELNS1_3gpuE7ELNS1_3repE0EEENS1_30default_config_static_selectorELNS0_4arch9wavefront6targetE0EEEvSZ_ ; -- Begin function _ZN7rocprim17ROCPRIM_400000_NS6detail17trampoline_kernelINS0_13select_configILj256ELj13ELNS0_17block_load_methodE3ELS4_3ELS4_3ELNS0_20block_scan_algorithmE0ELj4294967295EEENS1_25partition_config_selectorILNS1_17partition_subalgoE3EjNS0_10empty_typeEbEEZZNS1_14partition_implILS8_3ELb0ES6_jNS0_17counting_iteratorIjlEEPS9_SE_NS0_5tupleIJPjSE_EEENSF_IJSE_SE_EEES9_SG_JZNS1_25segmented_radix_sort_implINS0_14default_configELb1EPK12hip_bfloat16PSL_PKlPlN2at6native12_GLOBAL__N_18offset_tEEE10hipError_tPvRmT1_PNSt15iterator_traitsISZ_E10value_typeET2_T3_PNS10_IS15_E10value_typeET4_jRbjT5_S1B_jjP12ihipStream_tbEUljE_EEESW_SX_SY_S15_S19_S1B_T6_T7_T9_mT8_S1D_bDpT10_ENKUlT_T0_E_clISt17integral_constantIbLb1EES1P_IbLb0EEEEDaS1L_S1M_EUlS1L_E_NS1_11comp_targetILNS1_3genE3ELNS1_11target_archE908ELNS1_3gpuE7ELNS1_3repE0EEENS1_30default_config_static_selectorELNS0_4arch9wavefront6targetE0EEEvSZ_
	.p2align	8
	.type	_ZN7rocprim17ROCPRIM_400000_NS6detail17trampoline_kernelINS0_13select_configILj256ELj13ELNS0_17block_load_methodE3ELS4_3ELS4_3ELNS0_20block_scan_algorithmE0ELj4294967295EEENS1_25partition_config_selectorILNS1_17partition_subalgoE3EjNS0_10empty_typeEbEEZZNS1_14partition_implILS8_3ELb0ES6_jNS0_17counting_iteratorIjlEEPS9_SE_NS0_5tupleIJPjSE_EEENSF_IJSE_SE_EEES9_SG_JZNS1_25segmented_radix_sort_implINS0_14default_configELb1EPK12hip_bfloat16PSL_PKlPlN2at6native12_GLOBAL__N_18offset_tEEE10hipError_tPvRmT1_PNSt15iterator_traitsISZ_E10value_typeET2_T3_PNS10_IS15_E10value_typeET4_jRbjT5_S1B_jjP12ihipStream_tbEUljE_EEESW_SX_SY_S15_S19_S1B_T6_T7_T9_mT8_S1D_bDpT10_ENKUlT_T0_E_clISt17integral_constantIbLb1EES1P_IbLb0EEEEDaS1L_S1M_EUlS1L_E_NS1_11comp_targetILNS1_3genE3ELNS1_11target_archE908ELNS1_3gpuE7ELNS1_3repE0EEENS1_30default_config_static_selectorELNS0_4arch9wavefront6targetE0EEEvSZ_,@function
_ZN7rocprim17ROCPRIM_400000_NS6detail17trampoline_kernelINS0_13select_configILj256ELj13ELNS0_17block_load_methodE3ELS4_3ELS4_3ELNS0_20block_scan_algorithmE0ELj4294967295EEENS1_25partition_config_selectorILNS1_17partition_subalgoE3EjNS0_10empty_typeEbEEZZNS1_14partition_implILS8_3ELb0ES6_jNS0_17counting_iteratorIjlEEPS9_SE_NS0_5tupleIJPjSE_EEENSF_IJSE_SE_EEES9_SG_JZNS1_25segmented_radix_sort_implINS0_14default_configELb1EPK12hip_bfloat16PSL_PKlPlN2at6native12_GLOBAL__N_18offset_tEEE10hipError_tPvRmT1_PNSt15iterator_traitsISZ_E10value_typeET2_T3_PNS10_IS15_E10value_typeET4_jRbjT5_S1B_jjP12ihipStream_tbEUljE_EEESW_SX_SY_S15_S19_S1B_T6_T7_T9_mT8_S1D_bDpT10_ENKUlT_T0_E_clISt17integral_constantIbLb1EES1P_IbLb0EEEEDaS1L_S1M_EUlS1L_E_NS1_11comp_targetILNS1_3genE3ELNS1_11target_archE908ELNS1_3gpuE7ELNS1_3repE0EEENS1_30default_config_static_selectorELNS0_4arch9wavefront6targetE0EEEvSZ_: ; @_ZN7rocprim17ROCPRIM_400000_NS6detail17trampoline_kernelINS0_13select_configILj256ELj13ELNS0_17block_load_methodE3ELS4_3ELS4_3ELNS0_20block_scan_algorithmE0ELj4294967295EEENS1_25partition_config_selectorILNS1_17partition_subalgoE3EjNS0_10empty_typeEbEEZZNS1_14partition_implILS8_3ELb0ES6_jNS0_17counting_iteratorIjlEEPS9_SE_NS0_5tupleIJPjSE_EEENSF_IJSE_SE_EEES9_SG_JZNS1_25segmented_radix_sort_implINS0_14default_configELb1EPK12hip_bfloat16PSL_PKlPlN2at6native12_GLOBAL__N_18offset_tEEE10hipError_tPvRmT1_PNSt15iterator_traitsISZ_E10value_typeET2_T3_PNS10_IS15_E10value_typeET4_jRbjT5_S1B_jjP12ihipStream_tbEUljE_EEESW_SX_SY_S15_S19_S1B_T6_T7_T9_mT8_S1D_bDpT10_ENKUlT_T0_E_clISt17integral_constantIbLb1EES1P_IbLb0EEEEDaS1L_S1M_EUlS1L_E_NS1_11comp_targetILNS1_3genE3ELNS1_11target_archE908ELNS1_3gpuE7ELNS1_3repE0EEENS1_30default_config_static_selectorELNS0_4arch9wavefront6targetE0EEEvSZ_
; %bb.0:
	.section	.rodata,"a",@progbits
	.p2align	6, 0x0
	.amdhsa_kernel _ZN7rocprim17ROCPRIM_400000_NS6detail17trampoline_kernelINS0_13select_configILj256ELj13ELNS0_17block_load_methodE3ELS4_3ELS4_3ELNS0_20block_scan_algorithmE0ELj4294967295EEENS1_25partition_config_selectorILNS1_17partition_subalgoE3EjNS0_10empty_typeEbEEZZNS1_14partition_implILS8_3ELb0ES6_jNS0_17counting_iteratorIjlEEPS9_SE_NS0_5tupleIJPjSE_EEENSF_IJSE_SE_EEES9_SG_JZNS1_25segmented_radix_sort_implINS0_14default_configELb1EPK12hip_bfloat16PSL_PKlPlN2at6native12_GLOBAL__N_18offset_tEEE10hipError_tPvRmT1_PNSt15iterator_traitsISZ_E10value_typeET2_T3_PNS10_IS15_E10value_typeET4_jRbjT5_S1B_jjP12ihipStream_tbEUljE_EEESW_SX_SY_S15_S19_S1B_T6_T7_T9_mT8_S1D_bDpT10_ENKUlT_T0_E_clISt17integral_constantIbLb1EES1P_IbLb0EEEEDaS1L_S1M_EUlS1L_E_NS1_11comp_targetILNS1_3genE3ELNS1_11target_archE908ELNS1_3gpuE7ELNS1_3repE0EEENS1_30default_config_static_selectorELNS0_4arch9wavefront6targetE0EEEvSZ_
		.amdhsa_group_segment_fixed_size 0
		.amdhsa_private_segment_fixed_size 0
		.amdhsa_kernarg_size 144
		.amdhsa_user_sgpr_count 2
		.amdhsa_user_sgpr_dispatch_ptr 0
		.amdhsa_user_sgpr_queue_ptr 0
		.amdhsa_user_sgpr_kernarg_segment_ptr 1
		.amdhsa_user_sgpr_dispatch_id 0
		.amdhsa_user_sgpr_private_segment_size 0
		.amdhsa_wavefront_size32 1
		.amdhsa_uses_dynamic_stack 0
		.amdhsa_enable_private_segment 0
		.amdhsa_system_sgpr_workgroup_id_x 1
		.amdhsa_system_sgpr_workgroup_id_y 0
		.amdhsa_system_sgpr_workgroup_id_z 0
		.amdhsa_system_sgpr_workgroup_info 0
		.amdhsa_system_vgpr_workitem_id 0
		.amdhsa_next_free_vgpr 1
		.amdhsa_next_free_sgpr 1
		.amdhsa_reserve_vcc 0
		.amdhsa_float_round_mode_32 0
		.amdhsa_float_round_mode_16_64 0
		.amdhsa_float_denorm_mode_32 3
		.amdhsa_float_denorm_mode_16_64 3
		.amdhsa_fp16_overflow 0
		.amdhsa_workgroup_processor_mode 1
		.amdhsa_memory_ordered 1
		.amdhsa_forward_progress 1
		.amdhsa_inst_pref_size 0
		.amdhsa_round_robin_scheduling 0
		.amdhsa_exception_fp_ieee_invalid_op 0
		.amdhsa_exception_fp_denorm_src 0
		.amdhsa_exception_fp_ieee_div_zero 0
		.amdhsa_exception_fp_ieee_overflow 0
		.amdhsa_exception_fp_ieee_underflow 0
		.amdhsa_exception_fp_ieee_inexact 0
		.amdhsa_exception_int_div_zero 0
	.end_amdhsa_kernel
	.section	.text._ZN7rocprim17ROCPRIM_400000_NS6detail17trampoline_kernelINS0_13select_configILj256ELj13ELNS0_17block_load_methodE3ELS4_3ELS4_3ELNS0_20block_scan_algorithmE0ELj4294967295EEENS1_25partition_config_selectorILNS1_17partition_subalgoE3EjNS0_10empty_typeEbEEZZNS1_14partition_implILS8_3ELb0ES6_jNS0_17counting_iteratorIjlEEPS9_SE_NS0_5tupleIJPjSE_EEENSF_IJSE_SE_EEES9_SG_JZNS1_25segmented_radix_sort_implINS0_14default_configELb1EPK12hip_bfloat16PSL_PKlPlN2at6native12_GLOBAL__N_18offset_tEEE10hipError_tPvRmT1_PNSt15iterator_traitsISZ_E10value_typeET2_T3_PNS10_IS15_E10value_typeET4_jRbjT5_S1B_jjP12ihipStream_tbEUljE_EEESW_SX_SY_S15_S19_S1B_T6_T7_T9_mT8_S1D_bDpT10_ENKUlT_T0_E_clISt17integral_constantIbLb1EES1P_IbLb0EEEEDaS1L_S1M_EUlS1L_E_NS1_11comp_targetILNS1_3genE3ELNS1_11target_archE908ELNS1_3gpuE7ELNS1_3repE0EEENS1_30default_config_static_selectorELNS0_4arch9wavefront6targetE0EEEvSZ_,"axG",@progbits,_ZN7rocprim17ROCPRIM_400000_NS6detail17trampoline_kernelINS0_13select_configILj256ELj13ELNS0_17block_load_methodE3ELS4_3ELS4_3ELNS0_20block_scan_algorithmE0ELj4294967295EEENS1_25partition_config_selectorILNS1_17partition_subalgoE3EjNS0_10empty_typeEbEEZZNS1_14partition_implILS8_3ELb0ES6_jNS0_17counting_iteratorIjlEEPS9_SE_NS0_5tupleIJPjSE_EEENSF_IJSE_SE_EEES9_SG_JZNS1_25segmented_radix_sort_implINS0_14default_configELb1EPK12hip_bfloat16PSL_PKlPlN2at6native12_GLOBAL__N_18offset_tEEE10hipError_tPvRmT1_PNSt15iterator_traitsISZ_E10value_typeET2_T3_PNS10_IS15_E10value_typeET4_jRbjT5_S1B_jjP12ihipStream_tbEUljE_EEESW_SX_SY_S15_S19_S1B_T6_T7_T9_mT8_S1D_bDpT10_ENKUlT_T0_E_clISt17integral_constantIbLb1EES1P_IbLb0EEEEDaS1L_S1M_EUlS1L_E_NS1_11comp_targetILNS1_3genE3ELNS1_11target_archE908ELNS1_3gpuE7ELNS1_3repE0EEENS1_30default_config_static_selectorELNS0_4arch9wavefront6targetE0EEEvSZ_,comdat
.Lfunc_end1933:
	.size	_ZN7rocprim17ROCPRIM_400000_NS6detail17trampoline_kernelINS0_13select_configILj256ELj13ELNS0_17block_load_methodE3ELS4_3ELS4_3ELNS0_20block_scan_algorithmE0ELj4294967295EEENS1_25partition_config_selectorILNS1_17partition_subalgoE3EjNS0_10empty_typeEbEEZZNS1_14partition_implILS8_3ELb0ES6_jNS0_17counting_iteratorIjlEEPS9_SE_NS0_5tupleIJPjSE_EEENSF_IJSE_SE_EEES9_SG_JZNS1_25segmented_radix_sort_implINS0_14default_configELb1EPK12hip_bfloat16PSL_PKlPlN2at6native12_GLOBAL__N_18offset_tEEE10hipError_tPvRmT1_PNSt15iterator_traitsISZ_E10value_typeET2_T3_PNS10_IS15_E10value_typeET4_jRbjT5_S1B_jjP12ihipStream_tbEUljE_EEESW_SX_SY_S15_S19_S1B_T6_T7_T9_mT8_S1D_bDpT10_ENKUlT_T0_E_clISt17integral_constantIbLb1EES1P_IbLb0EEEEDaS1L_S1M_EUlS1L_E_NS1_11comp_targetILNS1_3genE3ELNS1_11target_archE908ELNS1_3gpuE7ELNS1_3repE0EEENS1_30default_config_static_selectorELNS0_4arch9wavefront6targetE0EEEvSZ_, .Lfunc_end1933-_ZN7rocprim17ROCPRIM_400000_NS6detail17trampoline_kernelINS0_13select_configILj256ELj13ELNS0_17block_load_methodE3ELS4_3ELS4_3ELNS0_20block_scan_algorithmE0ELj4294967295EEENS1_25partition_config_selectorILNS1_17partition_subalgoE3EjNS0_10empty_typeEbEEZZNS1_14partition_implILS8_3ELb0ES6_jNS0_17counting_iteratorIjlEEPS9_SE_NS0_5tupleIJPjSE_EEENSF_IJSE_SE_EEES9_SG_JZNS1_25segmented_radix_sort_implINS0_14default_configELb1EPK12hip_bfloat16PSL_PKlPlN2at6native12_GLOBAL__N_18offset_tEEE10hipError_tPvRmT1_PNSt15iterator_traitsISZ_E10value_typeET2_T3_PNS10_IS15_E10value_typeET4_jRbjT5_S1B_jjP12ihipStream_tbEUljE_EEESW_SX_SY_S15_S19_S1B_T6_T7_T9_mT8_S1D_bDpT10_ENKUlT_T0_E_clISt17integral_constantIbLb1EES1P_IbLb0EEEEDaS1L_S1M_EUlS1L_E_NS1_11comp_targetILNS1_3genE3ELNS1_11target_archE908ELNS1_3gpuE7ELNS1_3repE0EEENS1_30default_config_static_selectorELNS0_4arch9wavefront6targetE0EEEvSZ_
                                        ; -- End function
	.set _ZN7rocprim17ROCPRIM_400000_NS6detail17trampoline_kernelINS0_13select_configILj256ELj13ELNS0_17block_load_methodE3ELS4_3ELS4_3ELNS0_20block_scan_algorithmE0ELj4294967295EEENS1_25partition_config_selectorILNS1_17partition_subalgoE3EjNS0_10empty_typeEbEEZZNS1_14partition_implILS8_3ELb0ES6_jNS0_17counting_iteratorIjlEEPS9_SE_NS0_5tupleIJPjSE_EEENSF_IJSE_SE_EEES9_SG_JZNS1_25segmented_radix_sort_implINS0_14default_configELb1EPK12hip_bfloat16PSL_PKlPlN2at6native12_GLOBAL__N_18offset_tEEE10hipError_tPvRmT1_PNSt15iterator_traitsISZ_E10value_typeET2_T3_PNS10_IS15_E10value_typeET4_jRbjT5_S1B_jjP12ihipStream_tbEUljE_EEESW_SX_SY_S15_S19_S1B_T6_T7_T9_mT8_S1D_bDpT10_ENKUlT_T0_E_clISt17integral_constantIbLb1EES1P_IbLb0EEEEDaS1L_S1M_EUlS1L_E_NS1_11comp_targetILNS1_3genE3ELNS1_11target_archE908ELNS1_3gpuE7ELNS1_3repE0EEENS1_30default_config_static_selectorELNS0_4arch9wavefront6targetE0EEEvSZ_.num_vgpr, 0
	.set _ZN7rocprim17ROCPRIM_400000_NS6detail17trampoline_kernelINS0_13select_configILj256ELj13ELNS0_17block_load_methodE3ELS4_3ELS4_3ELNS0_20block_scan_algorithmE0ELj4294967295EEENS1_25partition_config_selectorILNS1_17partition_subalgoE3EjNS0_10empty_typeEbEEZZNS1_14partition_implILS8_3ELb0ES6_jNS0_17counting_iteratorIjlEEPS9_SE_NS0_5tupleIJPjSE_EEENSF_IJSE_SE_EEES9_SG_JZNS1_25segmented_radix_sort_implINS0_14default_configELb1EPK12hip_bfloat16PSL_PKlPlN2at6native12_GLOBAL__N_18offset_tEEE10hipError_tPvRmT1_PNSt15iterator_traitsISZ_E10value_typeET2_T3_PNS10_IS15_E10value_typeET4_jRbjT5_S1B_jjP12ihipStream_tbEUljE_EEESW_SX_SY_S15_S19_S1B_T6_T7_T9_mT8_S1D_bDpT10_ENKUlT_T0_E_clISt17integral_constantIbLb1EES1P_IbLb0EEEEDaS1L_S1M_EUlS1L_E_NS1_11comp_targetILNS1_3genE3ELNS1_11target_archE908ELNS1_3gpuE7ELNS1_3repE0EEENS1_30default_config_static_selectorELNS0_4arch9wavefront6targetE0EEEvSZ_.num_agpr, 0
	.set _ZN7rocprim17ROCPRIM_400000_NS6detail17trampoline_kernelINS0_13select_configILj256ELj13ELNS0_17block_load_methodE3ELS4_3ELS4_3ELNS0_20block_scan_algorithmE0ELj4294967295EEENS1_25partition_config_selectorILNS1_17partition_subalgoE3EjNS0_10empty_typeEbEEZZNS1_14partition_implILS8_3ELb0ES6_jNS0_17counting_iteratorIjlEEPS9_SE_NS0_5tupleIJPjSE_EEENSF_IJSE_SE_EEES9_SG_JZNS1_25segmented_radix_sort_implINS0_14default_configELb1EPK12hip_bfloat16PSL_PKlPlN2at6native12_GLOBAL__N_18offset_tEEE10hipError_tPvRmT1_PNSt15iterator_traitsISZ_E10value_typeET2_T3_PNS10_IS15_E10value_typeET4_jRbjT5_S1B_jjP12ihipStream_tbEUljE_EEESW_SX_SY_S15_S19_S1B_T6_T7_T9_mT8_S1D_bDpT10_ENKUlT_T0_E_clISt17integral_constantIbLb1EES1P_IbLb0EEEEDaS1L_S1M_EUlS1L_E_NS1_11comp_targetILNS1_3genE3ELNS1_11target_archE908ELNS1_3gpuE7ELNS1_3repE0EEENS1_30default_config_static_selectorELNS0_4arch9wavefront6targetE0EEEvSZ_.numbered_sgpr, 0
	.set _ZN7rocprim17ROCPRIM_400000_NS6detail17trampoline_kernelINS0_13select_configILj256ELj13ELNS0_17block_load_methodE3ELS4_3ELS4_3ELNS0_20block_scan_algorithmE0ELj4294967295EEENS1_25partition_config_selectorILNS1_17partition_subalgoE3EjNS0_10empty_typeEbEEZZNS1_14partition_implILS8_3ELb0ES6_jNS0_17counting_iteratorIjlEEPS9_SE_NS0_5tupleIJPjSE_EEENSF_IJSE_SE_EEES9_SG_JZNS1_25segmented_radix_sort_implINS0_14default_configELb1EPK12hip_bfloat16PSL_PKlPlN2at6native12_GLOBAL__N_18offset_tEEE10hipError_tPvRmT1_PNSt15iterator_traitsISZ_E10value_typeET2_T3_PNS10_IS15_E10value_typeET4_jRbjT5_S1B_jjP12ihipStream_tbEUljE_EEESW_SX_SY_S15_S19_S1B_T6_T7_T9_mT8_S1D_bDpT10_ENKUlT_T0_E_clISt17integral_constantIbLb1EES1P_IbLb0EEEEDaS1L_S1M_EUlS1L_E_NS1_11comp_targetILNS1_3genE3ELNS1_11target_archE908ELNS1_3gpuE7ELNS1_3repE0EEENS1_30default_config_static_selectorELNS0_4arch9wavefront6targetE0EEEvSZ_.num_named_barrier, 0
	.set _ZN7rocprim17ROCPRIM_400000_NS6detail17trampoline_kernelINS0_13select_configILj256ELj13ELNS0_17block_load_methodE3ELS4_3ELS4_3ELNS0_20block_scan_algorithmE0ELj4294967295EEENS1_25partition_config_selectorILNS1_17partition_subalgoE3EjNS0_10empty_typeEbEEZZNS1_14partition_implILS8_3ELb0ES6_jNS0_17counting_iteratorIjlEEPS9_SE_NS0_5tupleIJPjSE_EEENSF_IJSE_SE_EEES9_SG_JZNS1_25segmented_radix_sort_implINS0_14default_configELb1EPK12hip_bfloat16PSL_PKlPlN2at6native12_GLOBAL__N_18offset_tEEE10hipError_tPvRmT1_PNSt15iterator_traitsISZ_E10value_typeET2_T3_PNS10_IS15_E10value_typeET4_jRbjT5_S1B_jjP12ihipStream_tbEUljE_EEESW_SX_SY_S15_S19_S1B_T6_T7_T9_mT8_S1D_bDpT10_ENKUlT_T0_E_clISt17integral_constantIbLb1EES1P_IbLb0EEEEDaS1L_S1M_EUlS1L_E_NS1_11comp_targetILNS1_3genE3ELNS1_11target_archE908ELNS1_3gpuE7ELNS1_3repE0EEENS1_30default_config_static_selectorELNS0_4arch9wavefront6targetE0EEEvSZ_.private_seg_size, 0
	.set _ZN7rocprim17ROCPRIM_400000_NS6detail17trampoline_kernelINS0_13select_configILj256ELj13ELNS0_17block_load_methodE3ELS4_3ELS4_3ELNS0_20block_scan_algorithmE0ELj4294967295EEENS1_25partition_config_selectorILNS1_17partition_subalgoE3EjNS0_10empty_typeEbEEZZNS1_14partition_implILS8_3ELb0ES6_jNS0_17counting_iteratorIjlEEPS9_SE_NS0_5tupleIJPjSE_EEENSF_IJSE_SE_EEES9_SG_JZNS1_25segmented_radix_sort_implINS0_14default_configELb1EPK12hip_bfloat16PSL_PKlPlN2at6native12_GLOBAL__N_18offset_tEEE10hipError_tPvRmT1_PNSt15iterator_traitsISZ_E10value_typeET2_T3_PNS10_IS15_E10value_typeET4_jRbjT5_S1B_jjP12ihipStream_tbEUljE_EEESW_SX_SY_S15_S19_S1B_T6_T7_T9_mT8_S1D_bDpT10_ENKUlT_T0_E_clISt17integral_constantIbLb1EES1P_IbLb0EEEEDaS1L_S1M_EUlS1L_E_NS1_11comp_targetILNS1_3genE3ELNS1_11target_archE908ELNS1_3gpuE7ELNS1_3repE0EEENS1_30default_config_static_selectorELNS0_4arch9wavefront6targetE0EEEvSZ_.uses_vcc, 0
	.set _ZN7rocprim17ROCPRIM_400000_NS6detail17trampoline_kernelINS0_13select_configILj256ELj13ELNS0_17block_load_methodE3ELS4_3ELS4_3ELNS0_20block_scan_algorithmE0ELj4294967295EEENS1_25partition_config_selectorILNS1_17partition_subalgoE3EjNS0_10empty_typeEbEEZZNS1_14partition_implILS8_3ELb0ES6_jNS0_17counting_iteratorIjlEEPS9_SE_NS0_5tupleIJPjSE_EEENSF_IJSE_SE_EEES9_SG_JZNS1_25segmented_radix_sort_implINS0_14default_configELb1EPK12hip_bfloat16PSL_PKlPlN2at6native12_GLOBAL__N_18offset_tEEE10hipError_tPvRmT1_PNSt15iterator_traitsISZ_E10value_typeET2_T3_PNS10_IS15_E10value_typeET4_jRbjT5_S1B_jjP12ihipStream_tbEUljE_EEESW_SX_SY_S15_S19_S1B_T6_T7_T9_mT8_S1D_bDpT10_ENKUlT_T0_E_clISt17integral_constantIbLb1EES1P_IbLb0EEEEDaS1L_S1M_EUlS1L_E_NS1_11comp_targetILNS1_3genE3ELNS1_11target_archE908ELNS1_3gpuE7ELNS1_3repE0EEENS1_30default_config_static_selectorELNS0_4arch9wavefront6targetE0EEEvSZ_.uses_flat_scratch, 0
	.set _ZN7rocprim17ROCPRIM_400000_NS6detail17trampoline_kernelINS0_13select_configILj256ELj13ELNS0_17block_load_methodE3ELS4_3ELS4_3ELNS0_20block_scan_algorithmE0ELj4294967295EEENS1_25partition_config_selectorILNS1_17partition_subalgoE3EjNS0_10empty_typeEbEEZZNS1_14partition_implILS8_3ELb0ES6_jNS0_17counting_iteratorIjlEEPS9_SE_NS0_5tupleIJPjSE_EEENSF_IJSE_SE_EEES9_SG_JZNS1_25segmented_radix_sort_implINS0_14default_configELb1EPK12hip_bfloat16PSL_PKlPlN2at6native12_GLOBAL__N_18offset_tEEE10hipError_tPvRmT1_PNSt15iterator_traitsISZ_E10value_typeET2_T3_PNS10_IS15_E10value_typeET4_jRbjT5_S1B_jjP12ihipStream_tbEUljE_EEESW_SX_SY_S15_S19_S1B_T6_T7_T9_mT8_S1D_bDpT10_ENKUlT_T0_E_clISt17integral_constantIbLb1EES1P_IbLb0EEEEDaS1L_S1M_EUlS1L_E_NS1_11comp_targetILNS1_3genE3ELNS1_11target_archE908ELNS1_3gpuE7ELNS1_3repE0EEENS1_30default_config_static_selectorELNS0_4arch9wavefront6targetE0EEEvSZ_.has_dyn_sized_stack, 0
	.set _ZN7rocprim17ROCPRIM_400000_NS6detail17trampoline_kernelINS0_13select_configILj256ELj13ELNS0_17block_load_methodE3ELS4_3ELS4_3ELNS0_20block_scan_algorithmE0ELj4294967295EEENS1_25partition_config_selectorILNS1_17partition_subalgoE3EjNS0_10empty_typeEbEEZZNS1_14partition_implILS8_3ELb0ES6_jNS0_17counting_iteratorIjlEEPS9_SE_NS0_5tupleIJPjSE_EEENSF_IJSE_SE_EEES9_SG_JZNS1_25segmented_radix_sort_implINS0_14default_configELb1EPK12hip_bfloat16PSL_PKlPlN2at6native12_GLOBAL__N_18offset_tEEE10hipError_tPvRmT1_PNSt15iterator_traitsISZ_E10value_typeET2_T3_PNS10_IS15_E10value_typeET4_jRbjT5_S1B_jjP12ihipStream_tbEUljE_EEESW_SX_SY_S15_S19_S1B_T6_T7_T9_mT8_S1D_bDpT10_ENKUlT_T0_E_clISt17integral_constantIbLb1EES1P_IbLb0EEEEDaS1L_S1M_EUlS1L_E_NS1_11comp_targetILNS1_3genE3ELNS1_11target_archE908ELNS1_3gpuE7ELNS1_3repE0EEENS1_30default_config_static_selectorELNS0_4arch9wavefront6targetE0EEEvSZ_.has_recursion, 0
	.set _ZN7rocprim17ROCPRIM_400000_NS6detail17trampoline_kernelINS0_13select_configILj256ELj13ELNS0_17block_load_methodE3ELS4_3ELS4_3ELNS0_20block_scan_algorithmE0ELj4294967295EEENS1_25partition_config_selectorILNS1_17partition_subalgoE3EjNS0_10empty_typeEbEEZZNS1_14partition_implILS8_3ELb0ES6_jNS0_17counting_iteratorIjlEEPS9_SE_NS0_5tupleIJPjSE_EEENSF_IJSE_SE_EEES9_SG_JZNS1_25segmented_radix_sort_implINS0_14default_configELb1EPK12hip_bfloat16PSL_PKlPlN2at6native12_GLOBAL__N_18offset_tEEE10hipError_tPvRmT1_PNSt15iterator_traitsISZ_E10value_typeET2_T3_PNS10_IS15_E10value_typeET4_jRbjT5_S1B_jjP12ihipStream_tbEUljE_EEESW_SX_SY_S15_S19_S1B_T6_T7_T9_mT8_S1D_bDpT10_ENKUlT_T0_E_clISt17integral_constantIbLb1EES1P_IbLb0EEEEDaS1L_S1M_EUlS1L_E_NS1_11comp_targetILNS1_3genE3ELNS1_11target_archE908ELNS1_3gpuE7ELNS1_3repE0EEENS1_30default_config_static_selectorELNS0_4arch9wavefront6targetE0EEEvSZ_.has_indirect_call, 0
	.section	.AMDGPU.csdata,"",@progbits
; Kernel info:
; codeLenInByte = 0
; TotalNumSgprs: 0
; NumVgprs: 0
; ScratchSize: 0
; MemoryBound: 0
; FloatMode: 240
; IeeeMode: 1
; LDSByteSize: 0 bytes/workgroup (compile time only)
; SGPRBlocks: 0
; VGPRBlocks: 0
; NumSGPRsForWavesPerEU: 1
; NumVGPRsForWavesPerEU: 1
; Occupancy: 16
; WaveLimiterHint : 0
; COMPUTE_PGM_RSRC2:SCRATCH_EN: 0
; COMPUTE_PGM_RSRC2:USER_SGPR: 2
; COMPUTE_PGM_RSRC2:TRAP_HANDLER: 0
; COMPUTE_PGM_RSRC2:TGID_X_EN: 1
; COMPUTE_PGM_RSRC2:TGID_Y_EN: 0
; COMPUTE_PGM_RSRC2:TGID_Z_EN: 0
; COMPUTE_PGM_RSRC2:TIDIG_COMP_CNT: 0
	.section	.text._ZN7rocprim17ROCPRIM_400000_NS6detail17trampoline_kernelINS0_13select_configILj256ELj13ELNS0_17block_load_methodE3ELS4_3ELS4_3ELNS0_20block_scan_algorithmE0ELj4294967295EEENS1_25partition_config_selectorILNS1_17partition_subalgoE3EjNS0_10empty_typeEbEEZZNS1_14partition_implILS8_3ELb0ES6_jNS0_17counting_iteratorIjlEEPS9_SE_NS0_5tupleIJPjSE_EEENSF_IJSE_SE_EEES9_SG_JZNS1_25segmented_radix_sort_implINS0_14default_configELb1EPK12hip_bfloat16PSL_PKlPlN2at6native12_GLOBAL__N_18offset_tEEE10hipError_tPvRmT1_PNSt15iterator_traitsISZ_E10value_typeET2_T3_PNS10_IS15_E10value_typeET4_jRbjT5_S1B_jjP12ihipStream_tbEUljE_EEESW_SX_SY_S15_S19_S1B_T6_T7_T9_mT8_S1D_bDpT10_ENKUlT_T0_E_clISt17integral_constantIbLb1EES1P_IbLb0EEEEDaS1L_S1M_EUlS1L_E_NS1_11comp_targetILNS1_3genE2ELNS1_11target_archE906ELNS1_3gpuE6ELNS1_3repE0EEENS1_30default_config_static_selectorELNS0_4arch9wavefront6targetE0EEEvSZ_,"axG",@progbits,_ZN7rocprim17ROCPRIM_400000_NS6detail17trampoline_kernelINS0_13select_configILj256ELj13ELNS0_17block_load_methodE3ELS4_3ELS4_3ELNS0_20block_scan_algorithmE0ELj4294967295EEENS1_25partition_config_selectorILNS1_17partition_subalgoE3EjNS0_10empty_typeEbEEZZNS1_14partition_implILS8_3ELb0ES6_jNS0_17counting_iteratorIjlEEPS9_SE_NS0_5tupleIJPjSE_EEENSF_IJSE_SE_EEES9_SG_JZNS1_25segmented_radix_sort_implINS0_14default_configELb1EPK12hip_bfloat16PSL_PKlPlN2at6native12_GLOBAL__N_18offset_tEEE10hipError_tPvRmT1_PNSt15iterator_traitsISZ_E10value_typeET2_T3_PNS10_IS15_E10value_typeET4_jRbjT5_S1B_jjP12ihipStream_tbEUljE_EEESW_SX_SY_S15_S19_S1B_T6_T7_T9_mT8_S1D_bDpT10_ENKUlT_T0_E_clISt17integral_constantIbLb1EES1P_IbLb0EEEEDaS1L_S1M_EUlS1L_E_NS1_11comp_targetILNS1_3genE2ELNS1_11target_archE906ELNS1_3gpuE6ELNS1_3repE0EEENS1_30default_config_static_selectorELNS0_4arch9wavefront6targetE0EEEvSZ_,comdat
	.globl	_ZN7rocprim17ROCPRIM_400000_NS6detail17trampoline_kernelINS0_13select_configILj256ELj13ELNS0_17block_load_methodE3ELS4_3ELS4_3ELNS0_20block_scan_algorithmE0ELj4294967295EEENS1_25partition_config_selectorILNS1_17partition_subalgoE3EjNS0_10empty_typeEbEEZZNS1_14partition_implILS8_3ELb0ES6_jNS0_17counting_iteratorIjlEEPS9_SE_NS0_5tupleIJPjSE_EEENSF_IJSE_SE_EEES9_SG_JZNS1_25segmented_radix_sort_implINS0_14default_configELb1EPK12hip_bfloat16PSL_PKlPlN2at6native12_GLOBAL__N_18offset_tEEE10hipError_tPvRmT1_PNSt15iterator_traitsISZ_E10value_typeET2_T3_PNS10_IS15_E10value_typeET4_jRbjT5_S1B_jjP12ihipStream_tbEUljE_EEESW_SX_SY_S15_S19_S1B_T6_T7_T9_mT8_S1D_bDpT10_ENKUlT_T0_E_clISt17integral_constantIbLb1EES1P_IbLb0EEEEDaS1L_S1M_EUlS1L_E_NS1_11comp_targetILNS1_3genE2ELNS1_11target_archE906ELNS1_3gpuE6ELNS1_3repE0EEENS1_30default_config_static_selectorELNS0_4arch9wavefront6targetE0EEEvSZ_ ; -- Begin function _ZN7rocprim17ROCPRIM_400000_NS6detail17trampoline_kernelINS0_13select_configILj256ELj13ELNS0_17block_load_methodE3ELS4_3ELS4_3ELNS0_20block_scan_algorithmE0ELj4294967295EEENS1_25partition_config_selectorILNS1_17partition_subalgoE3EjNS0_10empty_typeEbEEZZNS1_14partition_implILS8_3ELb0ES6_jNS0_17counting_iteratorIjlEEPS9_SE_NS0_5tupleIJPjSE_EEENSF_IJSE_SE_EEES9_SG_JZNS1_25segmented_radix_sort_implINS0_14default_configELb1EPK12hip_bfloat16PSL_PKlPlN2at6native12_GLOBAL__N_18offset_tEEE10hipError_tPvRmT1_PNSt15iterator_traitsISZ_E10value_typeET2_T3_PNS10_IS15_E10value_typeET4_jRbjT5_S1B_jjP12ihipStream_tbEUljE_EEESW_SX_SY_S15_S19_S1B_T6_T7_T9_mT8_S1D_bDpT10_ENKUlT_T0_E_clISt17integral_constantIbLb1EES1P_IbLb0EEEEDaS1L_S1M_EUlS1L_E_NS1_11comp_targetILNS1_3genE2ELNS1_11target_archE906ELNS1_3gpuE6ELNS1_3repE0EEENS1_30default_config_static_selectorELNS0_4arch9wavefront6targetE0EEEvSZ_
	.p2align	8
	.type	_ZN7rocprim17ROCPRIM_400000_NS6detail17trampoline_kernelINS0_13select_configILj256ELj13ELNS0_17block_load_methodE3ELS4_3ELS4_3ELNS0_20block_scan_algorithmE0ELj4294967295EEENS1_25partition_config_selectorILNS1_17partition_subalgoE3EjNS0_10empty_typeEbEEZZNS1_14partition_implILS8_3ELb0ES6_jNS0_17counting_iteratorIjlEEPS9_SE_NS0_5tupleIJPjSE_EEENSF_IJSE_SE_EEES9_SG_JZNS1_25segmented_radix_sort_implINS0_14default_configELb1EPK12hip_bfloat16PSL_PKlPlN2at6native12_GLOBAL__N_18offset_tEEE10hipError_tPvRmT1_PNSt15iterator_traitsISZ_E10value_typeET2_T3_PNS10_IS15_E10value_typeET4_jRbjT5_S1B_jjP12ihipStream_tbEUljE_EEESW_SX_SY_S15_S19_S1B_T6_T7_T9_mT8_S1D_bDpT10_ENKUlT_T0_E_clISt17integral_constantIbLb1EES1P_IbLb0EEEEDaS1L_S1M_EUlS1L_E_NS1_11comp_targetILNS1_3genE2ELNS1_11target_archE906ELNS1_3gpuE6ELNS1_3repE0EEENS1_30default_config_static_selectorELNS0_4arch9wavefront6targetE0EEEvSZ_,@function
_ZN7rocprim17ROCPRIM_400000_NS6detail17trampoline_kernelINS0_13select_configILj256ELj13ELNS0_17block_load_methodE3ELS4_3ELS4_3ELNS0_20block_scan_algorithmE0ELj4294967295EEENS1_25partition_config_selectorILNS1_17partition_subalgoE3EjNS0_10empty_typeEbEEZZNS1_14partition_implILS8_3ELb0ES6_jNS0_17counting_iteratorIjlEEPS9_SE_NS0_5tupleIJPjSE_EEENSF_IJSE_SE_EEES9_SG_JZNS1_25segmented_radix_sort_implINS0_14default_configELb1EPK12hip_bfloat16PSL_PKlPlN2at6native12_GLOBAL__N_18offset_tEEE10hipError_tPvRmT1_PNSt15iterator_traitsISZ_E10value_typeET2_T3_PNS10_IS15_E10value_typeET4_jRbjT5_S1B_jjP12ihipStream_tbEUljE_EEESW_SX_SY_S15_S19_S1B_T6_T7_T9_mT8_S1D_bDpT10_ENKUlT_T0_E_clISt17integral_constantIbLb1EES1P_IbLb0EEEEDaS1L_S1M_EUlS1L_E_NS1_11comp_targetILNS1_3genE2ELNS1_11target_archE906ELNS1_3gpuE6ELNS1_3repE0EEENS1_30default_config_static_selectorELNS0_4arch9wavefront6targetE0EEEvSZ_: ; @_ZN7rocprim17ROCPRIM_400000_NS6detail17trampoline_kernelINS0_13select_configILj256ELj13ELNS0_17block_load_methodE3ELS4_3ELS4_3ELNS0_20block_scan_algorithmE0ELj4294967295EEENS1_25partition_config_selectorILNS1_17partition_subalgoE3EjNS0_10empty_typeEbEEZZNS1_14partition_implILS8_3ELb0ES6_jNS0_17counting_iteratorIjlEEPS9_SE_NS0_5tupleIJPjSE_EEENSF_IJSE_SE_EEES9_SG_JZNS1_25segmented_radix_sort_implINS0_14default_configELb1EPK12hip_bfloat16PSL_PKlPlN2at6native12_GLOBAL__N_18offset_tEEE10hipError_tPvRmT1_PNSt15iterator_traitsISZ_E10value_typeET2_T3_PNS10_IS15_E10value_typeET4_jRbjT5_S1B_jjP12ihipStream_tbEUljE_EEESW_SX_SY_S15_S19_S1B_T6_T7_T9_mT8_S1D_bDpT10_ENKUlT_T0_E_clISt17integral_constantIbLb1EES1P_IbLb0EEEEDaS1L_S1M_EUlS1L_E_NS1_11comp_targetILNS1_3genE2ELNS1_11target_archE906ELNS1_3gpuE6ELNS1_3repE0EEENS1_30default_config_static_selectorELNS0_4arch9wavefront6targetE0EEEvSZ_
; %bb.0:
	.section	.rodata,"a",@progbits
	.p2align	6, 0x0
	.amdhsa_kernel _ZN7rocprim17ROCPRIM_400000_NS6detail17trampoline_kernelINS0_13select_configILj256ELj13ELNS0_17block_load_methodE3ELS4_3ELS4_3ELNS0_20block_scan_algorithmE0ELj4294967295EEENS1_25partition_config_selectorILNS1_17partition_subalgoE3EjNS0_10empty_typeEbEEZZNS1_14partition_implILS8_3ELb0ES6_jNS0_17counting_iteratorIjlEEPS9_SE_NS0_5tupleIJPjSE_EEENSF_IJSE_SE_EEES9_SG_JZNS1_25segmented_radix_sort_implINS0_14default_configELb1EPK12hip_bfloat16PSL_PKlPlN2at6native12_GLOBAL__N_18offset_tEEE10hipError_tPvRmT1_PNSt15iterator_traitsISZ_E10value_typeET2_T3_PNS10_IS15_E10value_typeET4_jRbjT5_S1B_jjP12ihipStream_tbEUljE_EEESW_SX_SY_S15_S19_S1B_T6_T7_T9_mT8_S1D_bDpT10_ENKUlT_T0_E_clISt17integral_constantIbLb1EES1P_IbLb0EEEEDaS1L_S1M_EUlS1L_E_NS1_11comp_targetILNS1_3genE2ELNS1_11target_archE906ELNS1_3gpuE6ELNS1_3repE0EEENS1_30default_config_static_selectorELNS0_4arch9wavefront6targetE0EEEvSZ_
		.amdhsa_group_segment_fixed_size 0
		.amdhsa_private_segment_fixed_size 0
		.amdhsa_kernarg_size 144
		.amdhsa_user_sgpr_count 2
		.amdhsa_user_sgpr_dispatch_ptr 0
		.amdhsa_user_sgpr_queue_ptr 0
		.amdhsa_user_sgpr_kernarg_segment_ptr 1
		.amdhsa_user_sgpr_dispatch_id 0
		.amdhsa_user_sgpr_private_segment_size 0
		.amdhsa_wavefront_size32 1
		.amdhsa_uses_dynamic_stack 0
		.amdhsa_enable_private_segment 0
		.amdhsa_system_sgpr_workgroup_id_x 1
		.amdhsa_system_sgpr_workgroup_id_y 0
		.amdhsa_system_sgpr_workgroup_id_z 0
		.amdhsa_system_sgpr_workgroup_info 0
		.amdhsa_system_vgpr_workitem_id 0
		.amdhsa_next_free_vgpr 1
		.amdhsa_next_free_sgpr 1
		.amdhsa_reserve_vcc 0
		.amdhsa_float_round_mode_32 0
		.amdhsa_float_round_mode_16_64 0
		.amdhsa_float_denorm_mode_32 3
		.amdhsa_float_denorm_mode_16_64 3
		.amdhsa_fp16_overflow 0
		.amdhsa_workgroup_processor_mode 1
		.amdhsa_memory_ordered 1
		.amdhsa_forward_progress 1
		.amdhsa_inst_pref_size 0
		.amdhsa_round_robin_scheduling 0
		.amdhsa_exception_fp_ieee_invalid_op 0
		.amdhsa_exception_fp_denorm_src 0
		.amdhsa_exception_fp_ieee_div_zero 0
		.amdhsa_exception_fp_ieee_overflow 0
		.amdhsa_exception_fp_ieee_underflow 0
		.amdhsa_exception_fp_ieee_inexact 0
		.amdhsa_exception_int_div_zero 0
	.end_amdhsa_kernel
	.section	.text._ZN7rocprim17ROCPRIM_400000_NS6detail17trampoline_kernelINS0_13select_configILj256ELj13ELNS0_17block_load_methodE3ELS4_3ELS4_3ELNS0_20block_scan_algorithmE0ELj4294967295EEENS1_25partition_config_selectorILNS1_17partition_subalgoE3EjNS0_10empty_typeEbEEZZNS1_14partition_implILS8_3ELb0ES6_jNS0_17counting_iteratorIjlEEPS9_SE_NS0_5tupleIJPjSE_EEENSF_IJSE_SE_EEES9_SG_JZNS1_25segmented_radix_sort_implINS0_14default_configELb1EPK12hip_bfloat16PSL_PKlPlN2at6native12_GLOBAL__N_18offset_tEEE10hipError_tPvRmT1_PNSt15iterator_traitsISZ_E10value_typeET2_T3_PNS10_IS15_E10value_typeET4_jRbjT5_S1B_jjP12ihipStream_tbEUljE_EEESW_SX_SY_S15_S19_S1B_T6_T7_T9_mT8_S1D_bDpT10_ENKUlT_T0_E_clISt17integral_constantIbLb1EES1P_IbLb0EEEEDaS1L_S1M_EUlS1L_E_NS1_11comp_targetILNS1_3genE2ELNS1_11target_archE906ELNS1_3gpuE6ELNS1_3repE0EEENS1_30default_config_static_selectorELNS0_4arch9wavefront6targetE0EEEvSZ_,"axG",@progbits,_ZN7rocprim17ROCPRIM_400000_NS6detail17trampoline_kernelINS0_13select_configILj256ELj13ELNS0_17block_load_methodE3ELS4_3ELS4_3ELNS0_20block_scan_algorithmE0ELj4294967295EEENS1_25partition_config_selectorILNS1_17partition_subalgoE3EjNS0_10empty_typeEbEEZZNS1_14partition_implILS8_3ELb0ES6_jNS0_17counting_iteratorIjlEEPS9_SE_NS0_5tupleIJPjSE_EEENSF_IJSE_SE_EEES9_SG_JZNS1_25segmented_radix_sort_implINS0_14default_configELb1EPK12hip_bfloat16PSL_PKlPlN2at6native12_GLOBAL__N_18offset_tEEE10hipError_tPvRmT1_PNSt15iterator_traitsISZ_E10value_typeET2_T3_PNS10_IS15_E10value_typeET4_jRbjT5_S1B_jjP12ihipStream_tbEUljE_EEESW_SX_SY_S15_S19_S1B_T6_T7_T9_mT8_S1D_bDpT10_ENKUlT_T0_E_clISt17integral_constantIbLb1EES1P_IbLb0EEEEDaS1L_S1M_EUlS1L_E_NS1_11comp_targetILNS1_3genE2ELNS1_11target_archE906ELNS1_3gpuE6ELNS1_3repE0EEENS1_30default_config_static_selectorELNS0_4arch9wavefront6targetE0EEEvSZ_,comdat
.Lfunc_end1934:
	.size	_ZN7rocprim17ROCPRIM_400000_NS6detail17trampoline_kernelINS0_13select_configILj256ELj13ELNS0_17block_load_methodE3ELS4_3ELS4_3ELNS0_20block_scan_algorithmE0ELj4294967295EEENS1_25partition_config_selectorILNS1_17partition_subalgoE3EjNS0_10empty_typeEbEEZZNS1_14partition_implILS8_3ELb0ES6_jNS0_17counting_iteratorIjlEEPS9_SE_NS0_5tupleIJPjSE_EEENSF_IJSE_SE_EEES9_SG_JZNS1_25segmented_radix_sort_implINS0_14default_configELb1EPK12hip_bfloat16PSL_PKlPlN2at6native12_GLOBAL__N_18offset_tEEE10hipError_tPvRmT1_PNSt15iterator_traitsISZ_E10value_typeET2_T3_PNS10_IS15_E10value_typeET4_jRbjT5_S1B_jjP12ihipStream_tbEUljE_EEESW_SX_SY_S15_S19_S1B_T6_T7_T9_mT8_S1D_bDpT10_ENKUlT_T0_E_clISt17integral_constantIbLb1EES1P_IbLb0EEEEDaS1L_S1M_EUlS1L_E_NS1_11comp_targetILNS1_3genE2ELNS1_11target_archE906ELNS1_3gpuE6ELNS1_3repE0EEENS1_30default_config_static_selectorELNS0_4arch9wavefront6targetE0EEEvSZ_, .Lfunc_end1934-_ZN7rocprim17ROCPRIM_400000_NS6detail17trampoline_kernelINS0_13select_configILj256ELj13ELNS0_17block_load_methodE3ELS4_3ELS4_3ELNS0_20block_scan_algorithmE0ELj4294967295EEENS1_25partition_config_selectorILNS1_17partition_subalgoE3EjNS0_10empty_typeEbEEZZNS1_14partition_implILS8_3ELb0ES6_jNS0_17counting_iteratorIjlEEPS9_SE_NS0_5tupleIJPjSE_EEENSF_IJSE_SE_EEES9_SG_JZNS1_25segmented_radix_sort_implINS0_14default_configELb1EPK12hip_bfloat16PSL_PKlPlN2at6native12_GLOBAL__N_18offset_tEEE10hipError_tPvRmT1_PNSt15iterator_traitsISZ_E10value_typeET2_T3_PNS10_IS15_E10value_typeET4_jRbjT5_S1B_jjP12ihipStream_tbEUljE_EEESW_SX_SY_S15_S19_S1B_T6_T7_T9_mT8_S1D_bDpT10_ENKUlT_T0_E_clISt17integral_constantIbLb1EES1P_IbLb0EEEEDaS1L_S1M_EUlS1L_E_NS1_11comp_targetILNS1_3genE2ELNS1_11target_archE906ELNS1_3gpuE6ELNS1_3repE0EEENS1_30default_config_static_selectorELNS0_4arch9wavefront6targetE0EEEvSZ_
                                        ; -- End function
	.set _ZN7rocprim17ROCPRIM_400000_NS6detail17trampoline_kernelINS0_13select_configILj256ELj13ELNS0_17block_load_methodE3ELS4_3ELS4_3ELNS0_20block_scan_algorithmE0ELj4294967295EEENS1_25partition_config_selectorILNS1_17partition_subalgoE3EjNS0_10empty_typeEbEEZZNS1_14partition_implILS8_3ELb0ES6_jNS0_17counting_iteratorIjlEEPS9_SE_NS0_5tupleIJPjSE_EEENSF_IJSE_SE_EEES9_SG_JZNS1_25segmented_radix_sort_implINS0_14default_configELb1EPK12hip_bfloat16PSL_PKlPlN2at6native12_GLOBAL__N_18offset_tEEE10hipError_tPvRmT1_PNSt15iterator_traitsISZ_E10value_typeET2_T3_PNS10_IS15_E10value_typeET4_jRbjT5_S1B_jjP12ihipStream_tbEUljE_EEESW_SX_SY_S15_S19_S1B_T6_T7_T9_mT8_S1D_bDpT10_ENKUlT_T0_E_clISt17integral_constantIbLb1EES1P_IbLb0EEEEDaS1L_S1M_EUlS1L_E_NS1_11comp_targetILNS1_3genE2ELNS1_11target_archE906ELNS1_3gpuE6ELNS1_3repE0EEENS1_30default_config_static_selectorELNS0_4arch9wavefront6targetE0EEEvSZ_.num_vgpr, 0
	.set _ZN7rocprim17ROCPRIM_400000_NS6detail17trampoline_kernelINS0_13select_configILj256ELj13ELNS0_17block_load_methodE3ELS4_3ELS4_3ELNS0_20block_scan_algorithmE0ELj4294967295EEENS1_25partition_config_selectorILNS1_17partition_subalgoE3EjNS0_10empty_typeEbEEZZNS1_14partition_implILS8_3ELb0ES6_jNS0_17counting_iteratorIjlEEPS9_SE_NS0_5tupleIJPjSE_EEENSF_IJSE_SE_EEES9_SG_JZNS1_25segmented_radix_sort_implINS0_14default_configELb1EPK12hip_bfloat16PSL_PKlPlN2at6native12_GLOBAL__N_18offset_tEEE10hipError_tPvRmT1_PNSt15iterator_traitsISZ_E10value_typeET2_T3_PNS10_IS15_E10value_typeET4_jRbjT5_S1B_jjP12ihipStream_tbEUljE_EEESW_SX_SY_S15_S19_S1B_T6_T7_T9_mT8_S1D_bDpT10_ENKUlT_T0_E_clISt17integral_constantIbLb1EES1P_IbLb0EEEEDaS1L_S1M_EUlS1L_E_NS1_11comp_targetILNS1_3genE2ELNS1_11target_archE906ELNS1_3gpuE6ELNS1_3repE0EEENS1_30default_config_static_selectorELNS0_4arch9wavefront6targetE0EEEvSZ_.num_agpr, 0
	.set _ZN7rocprim17ROCPRIM_400000_NS6detail17trampoline_kernelINS0_13select_configILj256ELj13ELNS0_17block_load_methodE3ELS4_3ELS4_3ELNS0_20block_scan_algorithmE0ELj4294967295EEENS1_25partition_config_selectorILNS1_17partition_subalgoE3EjNS0_10empty_typeEbEEZZNS1_14partition_implILS8_3ELb0ES6_jNS0_17counting_iteratorIjlEEPS9_SE_NS0_5tupleIJPjSE_EEENSF_IJSE_SE_EEES9_SG_JZNS1_25segmented_radix_sort_implINS0_14default_configELb1EPK12hip_bfloat16PSL_PKlPlN2at6native12_GLOBAL__N_18offset_tEEE10hipError_tPvRmT1_PNSt15iterator_traitsISZ_E10value_typeET2_T3_PNS10_IS15_E10value_typeET4_jRbjT5_S1B_jjP12ihipStream_tbEUljE_EEESW_SX_SY_S15_S19_S1B_T6_T7_T9_mT8_S1D_bDpT10_ENKUlT_T0_E_clISt17integral_constantIbLb1EES1P_IbLb0EEEEDaS1L_S1M_EUlS1L_E_NS1_11comp_targetILNS1_3genE2ELNS1_11target_archE906ELNS1_3gpuE6ELNS1_3repE0EEENS1_30default_config_static_selectorELNS0_4arch9wavefront6targetE0EEEvSZ_.numbered_sgpr, 0
	.set _ZN7rocprim17ROCPRIM_400000_NS6detail17trampoline_kernelINS0_13select_configILj256ELj13ELNS0_17block_load_methodE3ELS4_3ELS4_3ELNS0_20block_scan_algorithmE0ELj4294967295EEENS1_25partition_config_selectorILNS1_17partition_subalgoE3EjNS0_10empty_typeEbEEZZNS1_14partition_implILS8_3ELb0ES6_jNS0_17counting_iteratorIjlEEPS9_SE_NS0_5tupleIJPjSE_EEENSF_IJSE_SE_EEES9_SG_JZNS1_25segmented_radix_sort_implINS0_14default_configELb1EPK12hip_bfloat16PSL_PKlPlN2at6native12_GLOBAL__N_18offset_tEEE10hipError_tPvRmT1_PNSt15iterator_traitsISZ_E10value_typeET2_T3_PNS10_IS15_E10value_typeET4_jRbjT5_S1B_jjP12ihipStream_tbEUljE_EEESW_SX_SY_S15_S19_S1B_T6_T7_T9_mT8_S1D_bDpT10_ENKUlT_T0_E_clISt17integral_constantIbLb1EES1P_IbLb0EEEEDaS1L_S1M_EUlS1L_E_NS1_11comp_targetILNS1_3genE2ELNS1_11target_archE906ELNS1_3gpuE6ELNS1_3repE0EEENS1_30default_config_static_selectorELNS0_4arch9wavefront6targetE0EEEvSZ_.num_named_barrier, 0
	.set _ZN7rocprim17ROCPRIM_400000_NS6detail17trampoline_kernelINS0_13select_configILj256ELj13ELNS0_17block_load_methodE3ELS4_3ELS4_3ELNS0_20block_scan_algorithmE0ELj4294967295EEENS1_25partition_config_selectorILNS1_17partition_subalgoE3EjNS0_10empty_typeEbEEZZNS1_14partition_implILS8_3ELb0ES6_jNS0_17counting_iteratorIjlEEPS9_SE_NS0_5tupleIJPjSE_EEENSF_IJSE_SE_EEES9_SG_JZNS1_25segmented_radix_sort_implINS0_14default_configELb1EPK12hip_bfloat16PSL_PKlPlN2at6native12_GLOBAL__N_18offset_tEEE10hipError_tPvRmT1_PNSt15iterator_traitsISZ_E10value_typeET2_T3_PNS10_IS15_E10value_typeET4_jRbjT5_S1B_jjP12ihipStream_tbEUljE_EEESW_SX_SY_S15_S19_S1B_T6_T7_T9_mT8_S1D_bDpT10_ENKUlT_T0_E_clISt17integral_constantIbLb1EES1P_IbLb0EEEEDaS1L_S1M_EUlS1L_E_NS1_11comp_targetILNS1_3genE2ELNS1_11target_archE906ELNS1_3gpuE6ELNS1_3repE0EEENS1_30default_config_static_selectorELNS0_4arch9wavefront6targetE0EEEvSZ_.private_seg_size, 0
	.set _ZN7rocprim17ROCPRIM_400000_NS6detail17trampoline_kernelINS0_13select_configILj256ELj13ELNS0_17block_load_methodE3ELS4_3ELS4_3ELNS0_20block_scan_algorithmE0ELj4294967295EEENS1_25partition_config_selectorILNS1_17partition_subalgoE3EjNS0_10empty_typeEbEEZZNS1_14partition_implILS8_3ELb0ES6_jNS0_17counting_iteratorIjlEEPS9_SE_NS0_5tupleIJPjSE_EEENSF_IJSE_SE_EEES9_SG_JZNS1_25segmented_radix_sort_implINS0_14default_configELb1EPK12hip_bfloat16PSL_PKlPlN2at6native12_GLOBAL__N_18offset_tEEE10hipError_tPvRmT1_PNSt15iterator_traitsISZ_E10value_typeET2_T3_PNS10_IS15_E10value_typeET4_jRbjT5_S1B_jjP12ihipStream_tbEUljE_EEESW_SX_SY_S15_S19_S1B_T6_T7_T9_mT8_S1D_bDpT10_ENKUlT_T0_E_clISt17integral_constantIbLb1EES1P_IbLb0EEEEDaS1L_S1M_EUlS1L_E_NS1_11comp_targetILNS1_3genE2ELNS1_11target_archE906ELNS1_3gpuE6ELNS1_3repE0EEENS1_30default_config_static_selectorELNS0_4arch9wavefront6targetE0EEEvSZ_.uses_vcc, 0
	.set _ZN7rocprim17ROCPRIM_400000_NS6detail17trampoline_kernelINS0_13select_configILj256ELj13ELNS0_17block_load_methodE3ELS4_3ELS4_3ELNS0_20block_scan_algorithmE0ELj4294967295EEENS1_25partition_config_selectorILNS1_17partition_subalgoE3EjNS0_10empty_typeEbEEZZNS1_14partition_implILS8_3ELb0ES6_jNS0_17counting_iteratorIjlEEPS9_SE_NS0_5tupleIJPjSE_EEENSF_IJSE_SE_EEES9_SG_JZNS1_25segmented_radix_sort_implINS0_14default_configELb1EPK12hip_bfloat16PSL_PKlPlN2at6native12_GLOBAL__N_18offset_tEEE10hipError_tPvRmT1_PNSt15iterator_traitsISZ_E10value_typeET2_T3_PNS10_IS15_E10value_typeET4_jRbjT5_S1B_jjP12ihipStream_tbEUljE_EEESW_SX_SY_S15_S19_S1B_T6_T7_T9_mT8_S1D_bDpT10_ENKUlT_T0_E_clISt17integral_constantIbLb1EES1P_IbLb0EEEEDaS1L_S1M_EUlS1L_E_NS1_11comp_targetILNS1_3genE2ELNS1_11target_archE906ELNS1_3gpuE6ELNS1_3repE0EEENS1_30default_config_static_selectorELNS0_4arch9wavefront6targetE0EEEvSZ_.uses_flat_scratch, 0
	.set _ZN7rocprim17ROCPRIM_400000_NS6detail17trampoline_kernelINS0_13select_configILj256ELj13ELNS0_17block_load_methodE3ELS4_3ELS4_3ELNS0_20block_scan_algorithmE0ELj4294967295EEENS1_25partition_config_selectorILNS1_17partition_subalgoE3EjNS0_10empty_typeEbEEZZNS1_14partition_implILS8_3ELb0ES6_jNS0_17counting_iteratorIjlEEPS9_SE_NS0_5tupleIJPjSE_EEENSF_IJSE_SE_EEES9_SG_JZNS1_25segmented_radix_sort_implINS0_14default_configELb1EPK12hip_bfloat16PSL_PKlPlN2at6native12_GLOBAL__N_18offset_tEEE10hipError_tPvRmT1_PNSt15iterator_traitsISZ_E10value_typeET2_T3_PNS10_IS15_E10value_typeET4_jRbjT5_S1B_jjP12ihipStream_tbEUljE_EEESW_SX_SY_S15_S19_S1B_T6_T7_T9_mT8_S1D_bDpT10_ENKUlT_T0_E_clISt17integral_constantIbLb1EES1P_IbLb0EEEEDaS1L_S1M_EUlS1L_E_NS1_11comp_targetILNS1_3genE2ELNS1_11target_archE906ELNS1_3gpuE6ELNS1_3repE0EEENS1_30default_config_static_selectorELNS0_4arch9wavefront6targetE0EEEvSZ_.has_dyn_sized_stack, 0
	.set _ZN7rocprim17ROCPRIM_400000_NS6detail17trampoline_kernelINS0_13select_configILj256ELj13ELNS0_17block_load_methodE3ELS4_3ELS4_3ELNS0_20block_scan_algorithmE0ELj4294967295EEENS1_25partition_config_selectorILNS1_17partition_subalgoE3EjNS0_10empty_typeEbEEZZNS1_14partition_implILS8_3ELb0ES6_jNS0_17counting_iteratorIjlEEPS9_SE_NS0_5tupleIJPjSE_EEENSF_IJSE_SE_EEES9_SG_JZNS1_25segmented_radix_sort_implINS0_14default_configELb1EPK12hip_bfloat16PSL_PKlPlN2at6native12_GLOBAL__N_18offset_tEEE10hipError_tPvRmT1_PNSt15iterator_traitsISZ_E10value_typeET2_T3_PNS10_IS15_E10value_typeET4_jRbjT5_S1B_jjP12ihipStream_tbEUljE_EEESW_SX_SY_S15_S19_S1B_T6_T7_T9_mT8_S1D_bDpT10_ENKUlT_T0_E_clISt17integral_constantIbLb1EES1P_IbLb0EEEEDaS1L_S1M_EUlS1L_E_NS1_11comp_targetILNS1_3genE2ELNS1_11target_archE906ELNS1_3gpuE6ELNS1_3repE0EEENS1_30default_config_static_selectorELNS0_4arch9wavefront6targetE0EEEvSZ_.has_recursion, 0
	.set _ZN7rocprim17ROCPRIM_400000_NS6detail17trampoline_kernelINS0_13select_configILj256ELj13ELNS0_17block_load_methodE3ELS4_3ELS4_3ELNS0_20block_scan_algorithmE0ELj4294967295EEENS1_25partition_config_selectorILNS1_17partition_subalgoE3EjNS0_10empty_typeEbEEZZNS1_14partition_implILS8_3ELb0ES6_jNS0_17counting_iteratorIjlEEPS9_SE_NS0_5tupleIJPjSE_EEENSF_IJSE_SE_EEES9_SG_JZNS1_25segmented_radix_sort_implINS0_14default_configELb1EPK12hip_bfloat16PSL_PKlPlN2at6native12_GLOBAL__N_18offset_tEEE10hipError_tPvRmT1_PNSt15iterator_traitsISZ_E10value_typeET2_T3_PNS10_IS15_E10value_typeET4_jRbjT5_S1B_jjP12ihipStream_tbEUljE_EEESW_SX_SY_S15_S19_S1B_T6_T7_T9_mT8_S1D_bDpT10_ENKUlT_T0_E_clISt17integral_constantIbLb1EES1P_IbLb0EEEEDaS1L_S1M_EUlS1L_E_NS1_11comp_targetILNS1_3genE2ELNS1_11target_archE906ELNS1_3gpuE6ELNS1_3repE0EEENS1_30default_config_static_selectorELNS0_4arch9wavefront6targetE0EEEvSZ_.has_indirect_call, 0
	.section	.AMDGPU.csdata,"",@progbits
; Kernel info:
; codeLenInByte = 0
; TotalNumSgprs: 0
; NumVgprs: 0
; ScratchSize: 0
; MemoryBound: 0
; FloatMode: 240
; IeeeMode: 1
; LDSByteSize: 0 bytes/workgroup (compile time only)
; SGPRBlocks: 0
; VGPRBlocks: 0
; NumSGPRsForWavesPerEU: 1
; NumVGPRsForWavesPerEU: 1
; Occupancy: 16
; WaveLimiterHint : 0
; COMPUTE_PGM_RSRC2:SCRATCH_EN: 0
; COMPUTE_PGM_RSRC2:USER_SGPR: 2
; COMPUTE_PGM_RSRC2:TRAP_HANDLER: 0
; COMPUTE_PGM_RSRC2:TGID_X_EN: 1
; COMPUTE_PGM_RSRC2:TGID_Y_EN: 0
; COMPUTE_PGM_RSRC2:TGID_Z_EN: 0
; COMPUTE_PGM_RSRC2:TIDIG_COMP_CNT: 0
	.section	.text._ZN7rocprim17ROCPRIM_400000_NS6detail17trampoline_kernelINS0_13select_configILj256ELj13ELNS0_17block_load_methodE3ELS4_3ELS4_3ELNS0_20block_scan_algorithmE0ELj4294967295EEENS1_25partition_config_selectorILNS1_17partition_subalgoE3EjNS0_10empty_typeEbEEZZNS1_14partition_implILS8_3ELb0ES6_jNS0_17counting_iteratorIjlEEPS9_SE_NS0_5tupleIJPjSE_EEENSF_IJSE_SE_EEES9_SG_JZNS1_25segmented_radix_sort_implINS0_14default_configELb1EPK12hip_bfloat16PSL_PKlPlN2at6native12_GLOBAL__N_18offset_tEEE10hipError_tPvRmT1_PNSt15iterator_traitsISZ_E10value_typeET2_T3_PNS10_IS15_E10value_typeET4_jRbjT5_S1B_jjP12ihipStream_tbEUljE_EEESW_SX_SY_S15_S19_S1B_T6_T7_T9_mT8_S1D_bDpT10_ENKUlT_T0_E_clISt17integral_constantIbLb1EES1P_IbLb0EEEEDaS1L_S1M_EUlS1L_E_NS1_11comp_targetILNS1_3genE10ELNS1_11target_archE1200ELNS1_3gpuE4ELNS1_3repE0EEENS1_30default_config_static_selectorELNS0_4arch9wavefront6targetE0EEEvSZ_,"axG",@progbits,_ZN7rocprim17ROCPRIM_400000_NS6detail17trampoline_kernelINS0_13select_configILj256ELj13ELNS0_17block_load_methodE3ELS4_3ELS4_3ELNS0_20block_scan_algorithmE0ELj4294967295EEENS1_25partition_config_selectorILNS1_17partition_subalgoE3EjNS0_10empty_typeEbEEZZNS1_14partition_implILS8_3ELb0ES6_jNS0_17counting_iteratorIjlEEPS9_SE_NS0_5tupleIJPjSE_EEENSF_IJSE_SE_EEES9_SG_JZNS1_25segmented_radix_sort_implINS0_14default_configELb1EPK12hip_bfloat16PSL_PKlPlN2at6native12_GLOBAL__N_18offset_tEEE10hipError_tPvRmT1_PNSt15iterator_traitsISZ_E10value_typeET2_T3_PNS10_IS15_E10value_typeET4_jRbjT5_S1B_jjP12ihipStream_tbEUljE_EEESW_SX_SY_S15_S19_S1B_T6_T7_T9_mT8_S1D_bDpT10_ENKUlT_T0_E_clISt17integral_constantIbLb1EES1P_IbLb0EEEEDaS1L_S1M_EUlS1L_E_NS1_11comp_targetILNS1_3genE10ELNS1_11target_archE1200ELNS1_3gpuE4ELNS1_3repE0EEENS1_30default_config_static_selectorELNS0_4arch9wavefront6targetE0EEEvSZ_,comdat
	.globl	_ZN7rocprim17ROCPRIM_400000_NS6detail17trampoline_kernelINS0_13select_configILj256ELj13ELNS0_17block_load_methodE3ELS4_3ELS4_3ELNS0_20block_scan_algorithmE0ELj4294967295EEENS1_25partition_config_selectorILNS1_17partition_subalgoE3EjNS0_10empty_typeEbEEZZNS1_14partition_implILS8_3ELb0ES6_jNS0_17counting_iteratorIjlEEPS9_SE_NS0_5tupleIJPjSE_EEENSF_IJSE_SE_EEES9_SG_JZNS1_25segmented_radix_sort_implINS0_14default_configELb1EPK12hip_bfloat16PSL_PKlPlN2at6native12_GLOBAL__N_18offset_tEEE10hipError_tPvRmT1_PNSt15iterator_traitsISZ_E10value_typeET2_T3_PNS10_IS15_E10value_typeET4_jRbjT5_S1B_jjP12ihipStream_tbEUljE_EEESW_SX_SY_S15_S19_S1B_T6_T7_T9_mT8_S1D_bDpT10_ENKUlT_T0_E_clISt17integral_constantIbLb1EES1P_IbLb0EEEEDaS1L_S1M_EUlS1L_E_NS1_11comp_targetILNS1_3genE10ELNS1_11target_archE1200ELNS1_3gpuE4ELNS1_3repE0EEENS1_30default_config_static_selectorELNS0_4arch9wavefront6targetE0EEEvSZ_ ; -- Begin function _ZN7rocprim17ROCPRIM_400000_NS6detail17trampoline_kernelINS0_13select_configILj256ELj13ELNS0_17block_load_methodE3ELS4_3ELS4_3ELNS0_20block_scan_algorithmE0ELj4294967295EEENS1_25partition_config_selectorILNS1_17partition_subalgoE3EjNS0_10empty_typeEbEEZZNS1_14partition_implILS8_3ELb0ES6_jNS0_17counting_iteratorIjlEEPS9_SE_NS0_5tupleIJPjSE_EEENSF_IJSE_SE_EEES9_SG_JZNS1_25segmented_radix_sort_implINS0_14default_configELb1EPK12hip_bfloat16PSL_PKlPlN2at6native12_GLOBAL__N_18offset_tEEE10hipError_tPvRmT1_PNSt15iterator_traitsISZ_E10value_typeET2_T3_PNS10_IS15_E10value_typeET4_jRbjT5_S1B_jjP12ihipStream_tbEUljE_EEESW_SX_SY_S15_S19_S1B_T6_T7_T9_mT8_S1D_bDpT10_ENKUlT_T0_E_clISt17integral_constantIbLb1EES1P_IbLb0EEEEDaS1L_S1M_EUlS1L_E_NS1_11comp_targetILNS1_3genE10ELNS1_11target_archE1200ELNS1_3gpuE4ELNS1_3repE0EEENS1_30default_config_static_selectorELNS0_4arch9wavefront6targetE0EEEvSZ_
	.p2align	8
	.type	_ZN7rocprim17ROCPRIM_400000_NS6detail17trampoline_kernelINS0_13select_configILj256ELj13ELNS0_17block_load_methodE3ELS4_3ELS4_3ELNS0_20block_scan_algorithmE0ELj4294967295EEENS1_25partition_config_selectorILNS1_17partition_subalgoE3EjNS0_10empty_typeEbEEZZNS1_14partition_implILS8_3ELb0ES6_jNS0_17counting_iteratorIjlEEPS9_SE_NS0_5tupleIJPjSE_EEENSF_IJSE_SE_EEES9_SG_JZNS1_25segmented_radix_sort_implINS0_14default_configELb1EPK12hip_bfloat16PSL_PKlPlN2at6native12_GLOBAL__N_18offset_tEEE10hipError_tPvRmT1_PNSt15iterator_traitsISZ_E10value_typeET2_T3_PNS10_IS15_E10value_typeET4_jRbjT5_S1B_jjP12ihipStream_tbEUljE_EEESW_SX_SY_S15_S19_S1B_T6_T7_T9_mT8_S1D_bDpT10_ENKUlT_T0_E_clISt17integral_constantIbLb1EES1P_IbLb0EEEEDaS1L_S1M_EUlS1L_E_NS1_11comp_targetILNS1_3genE10ELNS1_11target_archE1200ELNS1_3gpuE4ELNS1_3repE0EEENS1_30default_config_static_selectorELNS0_4arch9wavefront6targetE0EEEvSZ_,@function
_ZN7rocprim17ROCPRIM_400000_NS6detail17trampoline_kernelINS0_13select_configILj256ELj13ELNS0_17block_load_methodE3ELS4_3ELS4_3ELNS0_20block_scan_algorithmE0ELj4294967295EEENS1_25partition_config_selectorILNS1_17partition_subalgoE3EjNS0_10empty_typeEbEEZZNS1_14partition_implILS8_3ELb0ES6_jNS0_17counting_iteratorIjlEEPS9_SE_NS0_5tupleIJPjSE_EEENSF_IJSE_SE_EEES9_SG_JZNS1_25segmented_radix_sort_implINS0_14default_configELb1EPK12hip_bfloat16PSL_PKlPlN2at6native12_GLOBAL__N_18offset_tEEE10hipError_tPvRmT1_PNSt15iterator_traitsISZ_E10value_typeET2_T3_PNS10_IS15_E10value_typeET4_jRbjT5_S1B_jjP12ihipStream_tbEUljE_EEESW_SX_SY_S15_S19_S1B_T6_T7_T9_mT8_S1D_bDpT10_ENKUlT_T0_E_clISt17integral_constantIbLb1EES1P_IbLb0EEEEDaS1L_S1M_EUlS1L_E_NS1_11comp_targetILNS1_3genE10ELNS1_11target_archE1200ELNS1_3gpuE4ELNS1_3repE0EEENS1_30default_config_static_selectorELNS0_4arch9wavefront6targetE0EEEvSZ_: ; @_ZN7rocprim17ROCPRIM_400000_NS6detail17trampoline_kernelINS0_13select_configILj256ELj13ELNS0_17block_load_methodE3ELS4_3ELS4_3ELNS0_20block_scan_algorithmE0ELj4294967295EEENS1_25partition_config_selectorILNS1_17partition_subalgoE3EjNS0_10empty_typeEbEEZZNS1_14partition_implILS8_3ELb0ES6_jNS0_17counting_iteratorIjlEEPS9_SE_NS0_5tupleIJPjSE_EEENSF_IJSE_SE_EEES9_SG_JZNS1_25segmented_radix_sort_implINS0_14default_configELb1EPK12hip_bfloat16PSL_PKlPlN2at6native12_GLOBAL__N_18offset_tEEE10hipError_tPvRmT1_PNSt15iterator_traitsISZ_E10value_typeET2_T3_PNS10_IS15_E10value_typeET4_jRbjT5_S1B_jjP12ihipStream_tbEUljE_EEESW_SX_SY_S15_S19_S1B_T6_T7_T9_mT8_S1D_bDpT10_ENKUlT_T0_E_clISt17integral_constantIbLb1EES1P_IbLb0EEEEDaS1L_S1M_EUlS1L_E_NS1_11comp_targetILNS1_3genE10ELNS1_11target_archE1200ELNS1_3gpuE4ELNS1_3repE0EEENS1_30default_config_static_selectorELNS0_4arch9wavefront6targetE0EEEvSZ_
; %bb.0:
	s_endpgm
	.section	.rodata,"a",@progbits
	.p2align	6, 0x0
	.amdhsa_kernel _ZN7rocprim17ROCPRIM_400000_NS6detail17trampoline_kernelINS0_13select_configILj256ELj13ELNS0_17block_load_methodE3ELS4_3ELS4_3ELNS0_20block_scan_algorithmE0ELj4294967295EEENS1_25partition_config_selectorILNS1_17partition_subalgoE3EjNS0_10empty_typeEbEEZZNS1_14partition_implILS8_3ELb0ES6_jNS0_17counting_iteratorIjlEEPS9_SE_NS0_5tupleIJPjSE_EEENSF_IJSE_SE_EEES9_SG_JZNS1_25segmented_radix_sort_implINS0_14default_configELb1EPK12hip_bfloat16PSL_PKlPlN2at6native12_GLOBAL__N_18offset_tEEE10hipError_tPvRmT1_PNSt15iterator_traitsISZ_E10value_typeET2_T3_PNS10_IS15_E10value_typeET4_jRbjT5_S1B_jjP12ihipStream_tbEUljE_EEESW_SX_SY_S15_S19_S1B_T6_T7_T9_mT8_S1D_bDpT10_ENKUlT_T0_E_clISt17integral_constantIbLb1EES1P_IbLb0EEEEDaS1L_S1M_EUlS1L_E_NS1_11comp_targetILNS1_3genE10ELNS1_11target_archE1200ELNS1_3gpuE4ELNS1_3repE0EEENS1_30default_config_static_selectorELNS0_4arch9wavefront6targetE0EEEvSZ_
		.amdhsa_group_segment_fixed_size 0
		.amdhsa_private_segment_fixed_size 0
		.amdhsa_kernarg_size 144
		.amdhsa_user_sgpr_count 2
		.amdhsa_user_sgpr_dispatch_ptr 0
		.amdhsa_user_sgpr_queue_ptr 0
		.amdhsa_user_sgpr_kernarg_segment_ptr 1
		.amdhsa_user_sgpr_dispatch_id 0
		.amdhsa_user_sgpr_private_segment_size 0
		.amdhsa_wavefront_size32 1
		.amdhsa_uses_dynamic_stack 0
		.amdhsa_enable_private_segment 0
		.amdhsa_system_sgpr_workgroup_id_x 1
		.amdhsa_system_sgpr_workgroup_id_y 0
		.amdhsa_system_sgpr_workgroup_id_z 0
		.amdhsa_system_sgpr_workgroup_info 0
		.amdhsa_system_vgpr_workitem_id 0
		.amdhsa_next_free_vgpr 1
		.amdhsa_next_free_sgpr 1
		.amdhsa_reserve_vcc 0
		.amdhsa_float_round_mode_32 0
		.amdhsa_float_round_mode_16_64 0
		.amdhsa_float_denorm_mode_32 3
		.amdhsa_float_denorm_mode_16_64 3
		.amdhsa_fp16_overflow 0
		.amdhsa_workgroup_processor_mode 1
		.amdhsa_memory_ordered 1
		.amdhsa_forward_progress 1
		.amdhsa_inst_pref_size 1
		.amdhsa_round_robin_scheduling 0
		.amdhsa_exception_fp_ieee_invalid_op 0
		.amdhsa_exception_fp_denorm_src 0
		.amdhsa_exception_fp_ieee_div_zero 0
		.amdhsa_exception_fp_ieee_overflow 0
		.amdhsa_exception_fp_ieee_underflow 0
		.amdhsa_exception_fp_ieee_inexact 0
		.amdhsa_exception_int_div_zero 0
	.end_amdhsa_kernel
	.section	.text._ZN7rocprim17ROCPRIM_400000_NS6detail17trampoline_kernelINS0_13select_configILj256ELj13ELNS0_17block_load_methodE3ELS4_3ELS4_3ELNS0_20block_scan_algorithmE0ELj4294967295EEENS1_25partition_config_selectorILNS1_17partition_subalgoE3EjNS0_10empty_typeEbEEZZNS1_14partition_implILS8_3ELb0ES6_jNS0_17counting_iteratorIjlEEPS9_SE_NS0_5tupleIJPjSE_EEENSF_IJSE_SE_EEES9_SG_JZNS1_25segmented_radix_sort_implINS0_14default_configELb1EPK12hip_bfloat16PSL_PKlPlN2at6native12_GLOBAL__N_18offset_tEEE10hipError_tPvRmT1_PNSt15iterator_traitsISZ_E10value_typeET2_T3_PNS10_IS15_E10value_typeET4_jRbjT5_S1B_jjP12ihipStream_tbEUljE_EEESW_SX_SY_S15_S19_S1B_T6_T7_T9_mT8_S1D_bDpT10_ENKUlT_T0_E_clISt17integral_constantIbLb1EES1P_IbLb0EEEEDaS1L_S1M_EUlS1L_E_NS1_11comp_targetILNS1_3genE10ELNS1_11target_archE1200ELNS1_3gpuE4ELNS1_3repE0EEENS1_30default_config_static_selectorELNS0_4arch9wavefront6targetE0EEEvSZ_,"axG",@progbits,_ZN7rocprim17ROCPRIM_400000_NS6detail17trampoline_kernelINS0_13select_configILj256ELj13ELNS0_17block_load_methodE3ELS4_3ELS4_3ELNS0_20block_scan_algorithmE0ELj4294967295EEENS1_25partition_config_selectorILNS1_17partition_subalgoE3EjNS0_10empty_typeEbEEZZNS1_14partition_implILS8_3ELb0ES6_jNS0_17counting_iteratorIjlEEPS9_SE_NS0_5tupleIJPjSE_EEENSF_IJSE_SE_EEES9_SG_JZNS1_25segmented_radix_sort_implINS0_14default_configELb1EPK12hip_bfloat16PSL_PKlPlN2at6native12_GLOBAL__N_18offset_tEEE10hipError_tPvRmT1_PNSt15iterator_traitsISZ_E10value_typeET2_T3_PNS10_IS15_E10value_typeET4_jRbjT5_S1B_jjP12ihipStream_tbEUljE_EEESW_SX_SY_S15_S19_S1B_T6_T7_T9_mT8_S1D_bDpT10_ENKUlT_T0_E_clISt17integral_constantIbLb1EES1P_IbLb0EEEEDaS1L_S1M_EUlS1L_E_NS1_11comp_targetILNS1_3genE10ELNS1_11target_archE1200ELNS1_3gpuE4ELNS1_3repE0EEENS1_30default_config_static_selectorELNS0_4arch9wavefront6targetE0EEEvSZ_,comdat
.Lfunc_end1935:
	.size	_ZN7rocprim17ROCPRIM_400000_NS6detail17trampoline_kernelINS0_13select_configILj256ELj13ELNS0_17block_load_methodE3ELS4_3ELS4_3ELNS0_20block_scan_algorithmE0ELj4294967295EEENS1_25partition_config_selectorILNS1_17partition_subalgoE3EjNS0_10empty_typeEbEEZZNS1_14partition_implILS8_3ELb0ES6_jNS0_17counting_iteratorIjlEEPS9_SE_NS0_5tupleIJPjSE_EEENSF_IJSE_SE_EEES9_SG_JZNS1_25segmented_radix_sort_implINS0_14default_configELb1EPK12hip_bfloat16PSL_PKlPlN2at6native12_GLOBAL__N_18offset_tEEE10hipError_tPvRmT1_PNSt15iterator_traitsISZ_E10value_typeET2_T3_PNS10_IS15_E10value_typeET4_jRbjT5_S1B_jjP12ihipStream_tbEUljE_EEESW_SX_SY_S15_S19_S1B_T6_T7_T9_mT8_S1D_bDpT10_ENKUlT_T0_E_clISt17integral_constantIbLb1EES1P_IbLb0EEEEDaS1L_S1M_EUlS1L_E_NS1_11comp_targetILNS1_3genE10ELNS1_11target_archE1200ELNS1_3gpuE4ELNS1_3repE0EEENS1_30default_config_static_selectorELNS0_4arch9wavefront6targetE0EEEvSZ_, .Lfunc_end1935-_ZN7rocprim17ROCPRIM_400000_NS6detail17trampoline_kernelINS0_13select_configILj256ELj13ELNS0_17block_load_methodE3ELS4_3ELS4_3ELNS0_20block_scan_algorithmE0ELj4294967295EEENS1_25partition_config_selectorILNS1_17partition_subalgoE3EjNS0_10empty_typeEbEEZZNS1_14partition_implILS8_3ELb0ES6_jNS0_17counting_iteratorIjlEEPS9_SE_NS0_5tupleIJPjSE_EEENSF_IJSE_SE_EEES9_SG_JZNS1_25segmented_radix_sort_implINS0_14default_configELb1EPK12hip_bfloat16PSL_PKlPlN2at6native12_GLOBAL__N_18offset_tEEE10hipError_tPvRmT1_PNSt15iterator_traitsISZ_E10value_typeET2_T3_PNS10_IS15_E10value_typeET4_jRbjT5_S1B_jjP12ihipStream_tbEUljE_EEESW_SX_SY_S15_S19_S1B_T6_T7_T9_mT8_S1D_bDpT10_ENKUlT_T0_E_clISt17integral_constantIbLb1EES1P_IbLb0EEEEDaS1L_S1M_EUlS1L_E_NS1_11comp_targetILNS1_3genE10ELNS1_11target_archE1200ELNS1_3gpuE4ELNS1_3repE0EEENS1_30default_config_static_selectorELNS0_4arch9wavefront6targetE0EEEvSZ_
                                        ; -- End function
	.set _ZN7rocprim17ROCPRIM_400000_NS6detail17trampoline_kernelINS0_13select_configILj256ELj13ELNS0_17block_load_methodE3ELS4_3ELS4_3ELNS0_20block_scan_algorithmE0ELj4294967295EEENS1_25partition_config_selectorILNS1_17partition_subalgoE3EjNS0_10empty_typeEbEEZZNS1_14partition_implILS8_3ELb0ES6_jNS0_17counting_iteratorIjlEEPS9_SE_NS0_5tupleIJPjSE_EEENSF_IJSE_SE_EEES9_SG_JZNS1_25segmented_radix_sort_implINS0_14default_configELb1EPK12hip_bfloat16PSL_PKlPlN2at6native12_GLOBAL__N_18offset_tEEE10hipError_tPvRmT1_PNSt15iterator_traitsISZ_E10value_typeET2_T3_PNS10_IS15_E10value_typeET4_jRbjT5_S1B_jjP12ihipStream_tbEUljE_EEESW_SX_SY_S15_S19_S1B_T6_T7_T9_mT8_S1D_bDpT10_ENKUlT_T0_E_clISt17integral_constantIbLb1EES1P_IbLb0EEEEDaS1L_S1M_EUlS1L_E_NS1_11comp_targetILNS1_3genE10ELNS1_11target_archE1200ELNS1_3gpuE4ELNS1_3repE0EEENS1_30default_config_static_selectorELNS0_4arch9wavefront6targetE0EEEvSZ_.num_vgpr, 0
	.set _ZN7rocprim17ROCPRIM_400000_NS6detail17trampoline_kernelINS0_13select_configILj256ELj13ELNS0_17block_load_methodE3ELS4_3ELS4_3ELNS0_20block_scan_algorithmE0ELj4294967295EEENS1_25partition_config_selectorILNS1_17partition_subalgoE3EjNS0_10empty_typeEbEEZZNS1_14partition_implILS8_3ELb0ES6_jNS0_17counting_iteratorIjlEEPS9_SE_NS0_5tupleIJPjSE_EEENSF_IJSE_SE_EEES9_SG_JZNS1_25segmented_radix_sort_implINS0_14default_configELb1EPK12hip_bfloat16PSL_PKlPlN2at6native12_GLOBAL__N_18offset_tEEE10hipError_tPvRmT1_PNSt15iterator_traitsISZ_E10value_typeET2_T3_PNS10_IS15_E10value_typeET4_jRbjT5_S1B_jjP12ihipStream_tbEUljE_EEESW_SX_SY_S15_S19_S1B_T6_T7_T9_mT8_S1D_bDpT10_ENKUlT_T0_E_clISt17integral_constantIbLb1EES1P_IbLb0EEEEDaS1L_S1M_EUlS1L_E_NS1_11comp_targetILNS1_3genE10ELNS1_11target_archE1200ELNS1_3gpuE4ELNS1_3repE0EEENS1_30default_config_static_selectorELNS0_4arch9wavefront6targetE0EEEvSZ_.num_agpr, 0
	.set _ZN7rocprim17ROCPRIM_400000_NS6detail17trampoline_kernelINS0_13select_configILj256ELj13ELNS0_17block_load_methodE3ELS4_3ELS4_3ELNS0_20block_scan_algorithmE0ELj4294967295EEENS1_25partition_config_selectorILNS1_17partition_subalgoE3EjNS0_10empty_typeEbEEZZNS1_14partition_implILS8_3ELb0ES6_jNS0_17counting_iteratorIjlEEPS9_SE_NS0_5tupleIJPjSE_EEENSF_IJSE_SE_EEES9_SG_JZNS1_25segmented_radix_sort_implINS0_14default_configELb1EPK12hip_bfloat16PSL_PKlPlN2at6native12_GLOBAL__N_18offset_tEEE10hipError_tPvRmT1_PNSt15iterator_traitsISZ_E10value_typeET2_T3_PNS10_IS15_E10value_typeET4_jRbjT5_S1B_jjP12ihipStream_tbEUljE_EEESW_SX_SY_S15_S19_S1B_T6_T7_T9_mT8_S1D_bDpT10_ENKUlT_T0_E_clISt17integral_constantIbLb1EES1P_IbLb0EEEEDaS1L_S1M_EUlS1L_E_NS1_11comp_targetILNS1_3genE10ELNS1_11target_archE1200ELNS1_3gpuE4ELNS1_3repE0EEENS1_30default_config_static_selectorELNS0_4arch9wavefront6targetE0EEEvSZ_.numbered_sgpr, 0
	.set _ZN7rocprim17ROCPRIM_400000_NS6detail17trampoline_kernelINS0_13select_configILj256ELj13ELNS0_17block_load_methodE3ELS4_3ELS4_3ELNS0_20block_scan_algorithmE0ELj4294967295EEENS1_25partition_config_selectorILNS1_17partition_subalgoE3EjNS0_10empty_typeEbEEZZNS1_14partition_implILS8_3ELb0ES6_jNS0_17counting_iteratorIjlEEPS9_SE_NS0_5tupleIJPjSE_EEENSF_IJSE_SE_EEES9_SG_JZNS1_25segmented_radix_sort_implINS0_14default_configELb1EPK12hip_bfloat16PSL_PKlPlN2at6native12_GLOBAL__N_18offset_tEEE10hipError_tPvRmT1_PNSt15iterator_traitsISZ_E10value_typeET2_T3_PNS10_IS15_E10value_typeET4_jRbjT5_S1B_jjP12ihipStream_tbEUljE_EEESW_SX_SY_S15_S19_S1B_T6_T7_T9_mT8_S1D_bDpT10_ENKUlT_T0_E_clISt17integral_constantIbLb1EES1P_IbLb0EEEEDaS1L_S1M_EUlS1L_E_NS1_11comp_targetILNS1_3genE10ELNS1_11target_archE1200ELNS1_3gpuE4ELNS1_3repE0EEENS1_30default_config_static_selectorELNS0_4arch9wavefront6targetE0EEEvSZ_.num_named_barrier, 0
	.set _ZN7rocprim17ROCPRIM_400000_NS6detail17trampoline_kernelINS0_13select_configILj256ELj13ELNS0_17block_load_methodE3ELS4_3ELS4_3ELNS0_20block_scan_algorithmE0ELj4294967295EEENS1_25partition_config_selectorILNS1_17partition_subalgoE3EjNS0_10empty_typeEbEEZZNS1_14partition_implILS8_3ELb0ES6_jNS0_17counting_iteratorIjlEEPS9_SE_NS0_5tupleIJPjSE_EEENSF_IJSE_SE_EEES9_SG_JZNS1_25segmented_radix_sort_implINS0_14default_configELb1EPK12hip_bfloat16PSL_PKlPlN2at6native12_GLOBAL__N_18offset_tEEE10hipError_tPvRmT1_PNSt15iterator_traitsISZ_E10value_typeET2_T3_PNS10_IS15_E10value_typeET4_jRbjT5_S1B_jjP12ihipStream_tbEUljE_EEESW_SX_SY_S15_S19_S1B_T6_T7_T9_mT8_S1D_bDpT10_ENKUlT_T0_E_clISt17integral_constantIbLb1EES1P_IbLb0EEEEDaS1L_S1M_EUlS1L_E_NS1_11comp_targetILNS1_3genE10ELNS1_11target_archE1200ELNS1_3gpuE4ELNS1_3repE0EEENS1_30default_config_static_selectorELNS0_4arch9wavefront6targetE0EEEvSZ_.private_seg_size, 0
	.set _ZN7rocprim17ROCPRIM_400000_NS6detail17trampoline_kernelINS0_13select_configILj256ELj13ELNS0_17block_load_methodE3ELS4_3ELS4_3ELNS0_20block_scan_algorithmE0ELj4294967295EEENS1_25partition_config_selectorILNS1_17partition_subalgoE3EjNS0_10empty_typeEbEEZZNS1_14partition_implILS8_3ELb0ES6_jNS0_17counting_iteratorIjlEEPS9_SE_NS0_5tupleIJPjSE_EEENSF_IJSE_SE_EEES9_SG_JZNS1_25segmented_radix_sort_implINS0_14default_configELb1EPK12hip_bfloat16PSL_PKlPlN2at6native12_GLOBAL__N_18offset_tEEE10hipError_tPvRmT1_PNSt15iterator_traitsISZ_E10value_typeET2_T3_PNS10_IS15_E10value_typeET4_jRbjT5_S1B_jjP12ihipStream_tbEUljE_EEESW_SX_SY_S15_S19_S1B_T6_T7_T9_mT8_S1D_bDpT10_ENKUlT_T0_E_clISt17integral_constantIbLb1EES1P_IbLb0EEEEDaS1L_S1M_EUlS1L_E_NS1_11comp_targetILNS1_3genE10ELNS1_11target_archE1200ELNS1_3gpuE4ELNS1_3repE0EEENS1_30default_config_static_selectorELNS0_4arch9wavefront6targetE0EEEvSZ_.uses_vcc, 0
	.set _ZN7rocprim17ROCPRIM_400000_NS6detail17trampoline_kernelINS0_13select_configILj256ELj13ELNS0_17block_load_methodE3ELS4_3ELS4_3ELNS0_20block_scan_algorithmE0ELj4294967295EEENS1_25partition_config_selectorILNS1_17partition_subalgoE3EjNS0_10empty_typeEbEEZZNS1_14partition_implILS8_3ELb0ES6_jNS0_17counting_iteratorIjlEEPS9_SE_NS0_5tupleIJPjSE_EEENSF_IJSE_SE_EEES9_SG_JZNS1_25segmented_radix_sort_implINS0_14default_configELb1EPK12hip_bfloat16PSL_PKlPlN2at6native12_GLOBAL__N_18offset_tEEE10hipError_tPvRmT1_PNSt15iterator_traitsISZ_E10value_typeET2_T3_PNS10_IS15_E10value_typeET4_jRbjT5_S1B_jjP12ihipStream_tbEUljE_EEESW_SX_SY_S15_S19_S1B_T6_T7_T9_mT8_S1D_bDpT10_ENKUlT_T0_E_clISt17integral_constantIbLb1EES1P_IbLb0EEEEDaS1L_S1M_EUlS1L_E_NS1_11comp_targetILNS1_3genE10ELNS1_11target_archE1200ELNS1_3gpuE4ELNS1_3repE0EEENS1_30default_config_static_selectorELNS0_4arch9wavefront6targetE0EEEvSZ_.uses_flat_scratch, 0
	.set _ZN7rocprim17ROCPRIM_400000_NS6detail17trampoline_kernelINS0_13select_configILj256ELj13ELNS0_17block_load_methodE3ELS4_3ELS4_3ELNS0_20block_scan_algorithmE0ELj4294967295EEENS1_25partition_config_selectorILNS1_17partition_subalgoE3EjNS0_10empty_typeEbEEZZNS1_14partition_implILS8_3ELb0ES6_jNS0_17counting_iteratorIjlEEPS9_SE_NS0_5tupleIJPjSE_EEENSF_IJSE_SE_EEES9_SG_JZNS1_25segmented_radix_sort_implINS0_14default_configELb1EPK12hip_bfloat16PSL_PKlPlN2at6native12_GLOBAL__N_18offset_tEEE10hipError_tPvRmT1_PNSt15iterator_traitsISZ_E10value_typeET2_T3_PNS10_IS15_E10value_typeET4_jRbjT5_S1B_jjP12ihipStream_tbEUljE_EEESW_SX_SY_S15_S19_S1B_T6_T7_T9_mT8_S1D_bDpT10_ENKUlT_T0_E_clISt17integral_constantIbLb1EES1P_IbLb0EEEEDaS1L_S1M_EUlS1L_E_NS1_11comp_targetILNS1_3genE10ELNS1_11target_archE1200ELNS1_3gpuE4ELNS1_3repE0EEENS1_30default_config_static_selectorELNS0_4arch9wavefront6targetE0EEEvSZ_.has_dyn_sized_stack, 0
	.set _ZN7rocprim17ROCPRIM_400000_NS6detail17trampoline_kernelINS0_13select_configILj256ELj13ELNS0_17block_load_methodE3ELS4_3ELS4_3ELNS0_20block_scan_algorithmE0ELj4294967295EEENS1_25partition_config_selectorILNS1_17partition_subalgoE3EjNS0_10empty_typeEbEEZZNS1_14partition_implILS8_3ELb0ES6_jNS0_17counting_iteratorIjlEEPS9_SE_NS0_5tupleIJPjSE_EEENSF_IJSE_SE_EEES9_SG_JZNS1_25segmented_radix_sort_implINS0_14default_configELb1EPK12hip_bfloat16PSL_PKlPlN2at6native12_GLOBAL__N_18offset_tEEE10hipError_tPvRmT1_PNSt15iterator_traitsISZ_E10value_typeET2_T3_PNS10_IS15_E10value_typeET4_jRbjT5_S1B_jjP12ihipStream_tbEUljE_EEESW_SX_SY_S15_S19_S1B_T6_T7_T9_mT8_S1D_bDpT10_ENKUlT_T0_E_clISt17integral_constantIbLb1EES1P_IbLb0EEEEDaS1L_S1M_EUlS1L_E_NS1_11comp_targetILNS1_3genE10ELNS1_11target_archE1200ELNS1_3gpuE4ELNS1_3repE0EEENS1_30default_config_static_selectorELNS0_4arch9wavefront6targetE0EEEvSZ_.has_recursion, 0
	.set _ZN7rocprim17ROCPRIM_400000_NS6detail17trampoline_kernelINS0_13select_configILj256ELj13ELNS0_17block_load_methodE3ELS4_3ELS4_3ELNS0_20block_scan_algorithmE0ELj4294967295EEENS1_25partition_config_selectorILNS1_17partition_subalgoE3EjNS0_10empty_typeEbEEZZNS1_14partition_implILS8_3ELb0ES6_jNS0_17counting_iteratorIjlEEPS9_SE_NS0_5tupleIJPjSE_EEENSF_IJSE_SE_EEES9_SG_JZNS1_25segmented_radix_sort_implINS0_14default_configELb1EPK12hip_bfloat16PSL_PKlPlN2at6native12_GLOBAL__N_18offset_tEEE10hipError_tPvRmT1_PNSt15iterator_traitsISZ_E10value_typeET2_T3_PNS10_IS15_E10value_typeET4_jRbjT5_S1B_jjP12ihipStream_tbEUljE_EEESW_SX_SY_S15_S19_S1B_T6_T7_T9_mT8_S1D_bDpT10_ENKUlT_T0_E_clISt17integral_constantIbLb1EES1P_IbLb0EEEEDaS1L_S1M_EUlS1L_E_NS1_11comp_targetILNS1_3genE10ELNS1_11target_archE1200ELNS1_3gpuE4ELNS1_3repE0EEENS1_30default_config_static_selectorELNS0_4arch9wavefront6targetE0EEEvSZ_.has_indirect_call, 0
	.section	.AMDGPU.csdata,"",@progbits
; Kernel info:
; codeLenInByte = 4
; TotalNumSgprs: 0
; NumVgprs: 0
; ScratchSize: 0
; MemoryBound: 0
; FloatMode: 240
; IeeeMode: 1
; LDSByteSize: 0 bytes/workgroup (compile time only)
; SGPRBlocks: 0
; VGPRBlocks: 0
; NumSGPRsForWavesPerEU: 1
; NumVGPRsForWavesPerEU: 1
; Occupancy: 16
; WaveLimiterHint : 0
; COMPUTE_PGM_RSRC2:SCRATCH_EN: 0
; COMPUTE_PGM_RSRC2:USER_SGPR: 2
; COMPUTE_PGM_RSRC2:TRAP_HANDLER: 0
; COMPUTE_PGM_RSRC2:TGID_X_EN: 1
; COMPUTE_PGM_RSRC2:TGID_Y_EN: 0
; COMPUTE_PGM_RSRC2:TGID_Z_EN: 0
; COMPUTE_PGM_RSRC2:TIDIG_COMP_CNT: 0
	.section	.text._ZN7rocprim17ROCPRIM_400000_NS6detail17trampoline_kernelINS0_13select_configILj256ELj13ELNS0_17block_load_methodE3ELS4_3ELS4_3ELNS0_20block_scan_algorithmE0ELj4294967295EEENS1_25partition_config_selectorILNS1_17partition_subalgoE3EjNS0_10empty_typeEbEEZZNS1_14partition_implILS8_3ELb0ES6_jNS0_17counting_iteratorIjlEEPS9_SE_NS0_5tupleIJPjSE_EEENSF_IJSE_SE_EEES9_SG_JZNS1_25segmented_radix_sort_implINS0_14default_configELb1EPK12hip_bfloat16PSL_PKlPlN2at6native12_GLOBAL__N_18offset_tEEE10hipError_tPvRmT1_PNSt15iterator_traitsISZ_E10value_typeET2_T3_PNS10_IS15_E10value_typeET4_jRbjT5_S1B_jjP12ihipStream_tbEUljE_EEESW_SX_SY_S15_S19_S1B_T6_T7_T9_mT8_S1D_bDpT10_ENKUlT_T0_E_clISt17integral_constantIbLb1EES1P_IbLb0EEEEDaS1L_S1M_EUlS1L_E_NS1_11comp_targetILNS1_3genE9ELNS1_11target_archE1100ELNS1_3gpuE3ELNS1_3repE0EEENS1_30default_config_static_selectorELNS0_4arch9wavefront6targetE0EEEvSZ_,"axG",@progbits,_ZN7rocprim17ROCPRIM_400000_NS6detail17trampoline_kernelINS0_13select_configILj256ELj13ELNS0_17block_load_methodE3ELS4_3ELS4_3ELNS0_20block_scan_algorithmE0ELj4294967295EEENS1_25partition_config_selectorILNS1_17partition_subalgoE3EjNS0_10empty_typeEbEEZZNS1_14partition_implILS8_3ELb0ES6_jNS0_17counting_iteratorIjlEEPS9_SE_NS0_5tupleIJPjSE_EEENSF_IJSE_SE_EEES9_SG_JZNS1_25segmented_radix_sort_implINS0_14default_configELb1EPK12hip_bfloat16PSL_PKlPlN2at6native12_GLOBAL__N_18offset_tEEE10hipError_tPvRmT1_PNSt15iterator_traitsISZ_E10value_typeET2_T3_PNS10_IS15_E10value_typeET4_jRbjT5_S1B_jjP12ihipStream_tbEUljE_EEESW_SX_SY_S15_S19_S1B_T6_T7_T9_mT8_S1D_bDpT10_ENKUlT_T0_E_clISt17integral_constantIbLb1EES1P_IbLb0EEEEDaS1L_S1M_EUlS1L_E_NS1_11comp_targetILNS1_3genE9ELNS1_11target_archE1100ELNS1_3gpuE3ELNS1_3repE0EEENS1_30default_config_static_selectorELNS0_4arch9wavefront6targetE0EEEvSZ_,comdat
	.globl	_ZN7rocprim17ROCPRIM_400000_NS6detail17trampoline_kernelINS0_13select_configILj256ELj13ELNS0_17block_load_methodE3ELS4_3ELS4_3ELNS0_20block_scan_algorithmE0ELj4294967295EEENS1_25partition_config_selectorILNS1_17partition_subalgoE3EjNS0_10empty_typeEbEEZZNS1_14partition_implILS8_3ELb0ES6_jNS0_17counting_iteratorIjlEEPS9_SE_NS0_5tupleIJPjSE_EEENSF_IJSE_SE_EEES9_SG_JZNS1_25segmented_radix_sort_implINS0_14default_configELb1EPK12hip_bfloat16PSL_PKlPlN2at6native12_GLOBAL__N_18offset_tEEE10hipError_tPvRmT1_PNSt15iterator_traitsISZ_E10value_typeET2_T3_PNS10_IS15_E10value_typeET4_jRbjT5_S1B_jjP12ihipStream_tbEUljE_EEESW_SX_SY_S15_S19_S1B_T6_T7_T9_mT8_S1D_bDpT10_ENKUlT_T0_E_clISt17integral_constantIbLb1EES1P_IbLb0EEEEDaS1L_S1M_EUlS1L_E_NS1_11comp_targetILNS1_3genE9ELNS1_11target_archE1100ELNS1_3gpuE3ELNS1_3repE0EEENS1_30default_config_static_selectorELNS0_4arch9wavefront6targetE0EEEvSZ_ ; -- Begin function _ZN7rocprim17ROCPRIM_400000_NS6detail17trampoline_kernelINS0_13select_configILj256ELj13ELNS0_17block_load_methodE3ELS4_3ELS4_3ELNS0_20block_scan_algorithmE0ELj4294967295EEENS1_25partition_config_selectorILNS1_17partition_subalgoE3EjNS0_10empty_typeEbEEZZNS1_14partition_implILS8_3ELb0ES6_jNS0_17counting_iteratorIjlEEPS9_SE_NS0_5tupleIJPjSE_EEENSF_IJSE_SE_EEES9_SG_JZNS1_25segmented_radix_sort_implINS0_14default_configELb1EPK12hip_bfloat16PSL_PKlPlN2at6native12_GLOBAL__N_18offset_tEEE10hipError_tPvRmT1_PNSt15iterator_traitsISZ_E10value_typeET2_T3_PNS10_IS15_E10value_typeET4_jRbjT5_S1B_jjP12ihipStream_tbEUljE_EEESW_SX_SY_S15_S19_S1B_T6_T7_T9_mT8_S1D_bDpT10_ENKUlT_T0_E_clISt17integral_constantIbLb1EES1P_IbLb0EEEEDaS1L_S1M_EUlS1L_E_NS1_11comp_targetILNS1_3genE9ELNS1_11target_archE1100ELNS1_3gpuE3ELNS1_3repE0EEENS1_30default_config_static_selectorELNS0_4arch9wavefront6targetE0EEEvSZ_
	.p2align	8
	.type	_ZN7rocprim17ROCPRIM_400000_NS6detail17trampoline_kernelINS0_13select_configILj256ELj13ELNS0_17block_load_methodE3ELS4_3ELS4_3ELNS0_20block_scan_algorithmE0ELj4294967295EEENS1_25partition_config_selectorILNS1_17partition_subalgoE3EjNS0_10empty_typeEbEEZZNS1_14partition_implILS8_3ELb0ES6_jNS0_17counting_iteratorIjlEEPS9_SE_NS0_5tupleIJPjSE_EEENSF_IJSE_SE_EEES9_SG_JZNS1_25segmented_radix_sort_implINS0_14default_configELb1EPK12hip_bfloat16PSL_PKlPlN2at6native12_GLOBAL__N_18offset_tEEE10hipError_tPvRmT1_PNSt15iterator_traitsISZ_E10value_typeET2_T3_PNS10_IS15_E10value_typeET4_jRbjT5_S1B_jjP12ihipStream_tbEUljE_EEESW_SX_SY_S15_S19_S1B_T6_T7_T9_mT8_S1D_bDpT10_ENKUlT_T0_E_clISt17integral_constantIbLb1EES1P_IbLb0EEEEDaS1L_S1M_EUlS1L_E_NS1_11comp_targetILNS1_3genE9ELNS1_11target_archE1100ELNS1_3gpuE3ELNS1_3repE0EEENS1_30default_config_static_selectorELNS0_4arch9wavefront6targetE0EEEvSZ_,@function
_ZN7rocprim17ROCPRIM_400000_NS6detail17trampoline_kernelINS0_13select_configILj256ELj13ELNS0_17block_load_methodE3ELS4_3ELS4_3ELNS0_20block_scan_algorithmE0ELj4294967295EEENS1_25partition_config_selectorILNS1_17partition_subalgoE3EjNS0_10empty_typeEbEEZZNS1_14partition_implILS8_3ELb0ES6_jNS0_17counting_iteratorIjlEEPS9_SE_NS0_5tupleIJPjSE_EEENSF_IJSE_SE_EEES9_SG_JZNS1_25segmented_radix_sort_implINS0_14default_configELb1EPK12hip_bfloat16PSL_PKlPlN2at6native12_GLOBAL__N_18offset_tEEE10hipError_tPvRmT1_PNSt15iterator_traitsISZ_E10value_typeET2_T3_PNS10_IS15_E10value_typeET4_jRbjT5_S1B_jjP12ihipStream_tbEUljE_EEESW_SX_SY_S15_S19_S1B_T6_T7_T9_mT8_S1D_bDpT10_ENKUlT_T0_E_clISt17integral_constantIbLb1EES1P_IbLb0EEEEDaS1L_S1M_EUlS1L_E_NS1_11comp_targetILNS1_3genE9ELNS1_11target_archE1100ELNS1_3gpuE3ELNS1_3repE0EEENS1_30default_config_static_selectorELNS0_4arch9wavefront6targetE0EEEvSZ_: ; @_ZN7rocprim17ROCPRIM_400000_NS6detail17trampoline_kernelINS0_13select_configILj256ELj13ELNS0_17block_load_methodE3ELS4_3ELS4_3ELNS0_20block_scan_algorithmE0ELj4294967295EEENS1_25partition_config_selectorILNS1_17partition_subalgoE3EjNS0_10empty_typeEbEEZZNS1_14partition_implILS8_3ELb0ES6_jNS0_17counting_iteratorIjlEEPS9_SE_NS0_5tupleIJPjSE_EEENSF_IJSE_SE_EEES9_SG_JZNS1_25segmented_radix_sort_implINS0_14default_configELb1EPK12hip_bfloat16PSL_PKlPlN2at6native12_GLOBAL__N_18offset_tEEE10hipError_tPvRmT1_PNSt15iterator_traitsISZ_E10value_typeET2_T3_PNS10_IS15_E10value_typeET4_jRbjT5_S1B_jjP12ihipStream_tbEUljE_EEESW_SX_SY_S15_S19_S1B_T6_T7_T9_mT8_S1D_bDpT10_ENKUlT_T0_E_clISt17integral_constantIbLb1EES1P_IbLb0EEEEDaS1L_S1M_EUlS1L_E_NS1_11comp_targetILNS1_3genE9ELNS1_11target_archE1100ELNS1_3gpuE3ELNS1_3repE0EEENS1_30default_config_static_selectorELNS0_4arch9wavefront6targetE0EEEvSZ_
; %bb.0:
	.section	.rodata,"a",@progbits
	.p2align	6, 0x0
	.amdhsa_kernel _ZN7rocprim17ROCPRIM_400000_NS6detail17trampoline_kernelINS0_13select_configILj256ELj13ELNS0_17block_load_methodE3ELS4_3ELS4_3ELNS0_20block_scan_algorithmE0ELj4294967295EEENS1_25partition_config_selectorILNS1_17partition_subalgoE3EjNS0_10empty_typeEbEEZZNS1_14partition_implILS8_3ELb0ES6_jNS0_17counting_iteratorIjlEEPS9_SE_NS0_5tupleIJPjSE_EEENSF_IJSE_SE_EEES9_SG_JZNS1_25segmented_radix_sort_implINS0_14default_configELb1EPK12hip_bfloat16PSL_PKlPlN2at6native12_GLOBAL__N_18offset_tEEE10hipError_tPvRmT1_PNSt15iterator_traitsISZ_E10value_typeET2_T3_PNS10_IS15_E10value_typeET4_jRbjT5_S1B_jjP12ihipStream_tbEUljE_EEESW_SX_SY_S15_S19_S1B_T6_T7_T9_mT8_S1D_bDpT10_ENKUlT_T0_E_clISt17integral_constantIbLb1EES1P_IbLb0EEEEDaS1L_S1M_EUlS1L_E_NS1_11comp_targetILNS1_3genE9ELNS1_11target_archE1100ELNS1_3gpuE3ELNS1_3repE0EEENS1_30default_config_static_selectorELNS0_4arch9wavefront6targetE0EEEvSZ_
		.amdhsa_group_segment_fixed_size 0
		.amdhsa_private_segment_fixed_size 0
		.amdhsa_kernarg_size 144
		.amdhsa_user_sgpr_count 2
		.amdhsa_user_sgpr_dispatch_ptr 0
		.amdhsa_user_sgpr_queue_ptr 0
		.amdhsa_user_sgpr_kernarg_segment_ptr 1
		.amdhsa_user_sgpr_dispatch_id 0
		.amdhsa_user_sgpr_private_segment_size 0
		.amdhsa_wavefront_size32 1
		.amdhsa_uses_dynamic_stack 0
		.amdhsa_enable_private_segment 0
		.amdhsa_system_sgpr_workgroup_id_x 1
		.amdhsa_system_sgpr_workgroup_id_y 0
		.amdhsa_system_sgpr_workgroup_id_z 0
		.amdhsa_system_sgpr_workgroup_info 0
		.amdhsa_system_vgpr_workitem_id 0
		.amdhsa_next_free_vgpr 1
		.amdhsa_next_free_sgpr 1
		.amdhsa_reserve_vcc 0
		.amdhsa_float_round_mode_32 0
		.amdhsa_float_round_mode_16_64 0
		.amdhsa_float_denorm_mode_32 3
		.amdhsa_float_denorm_mode_16_64 3
		.amdhsa_fp16_overflow 0
		.amdhsa_workgroup_processor_mode 1
		.amdhsa_memory_ordered 1
		.amdhsa_forward_progress 1
		.amdhsa_inst_pref_size 0
		.amdhsa_round_robin_scheduling 0
		.amdhsa_exception_fp_ieee_invalid_op 0
		.amdhsa_exception_fp_denorm_src 0
		.amdhsa_exception_fp_ieee_div_zero 0
		.amdhsa_exception_fp_ieee_overflow 0
		.amdhsa_exception_fp_ieee_underflow 0
		.amdhsa_exception_fp_ieee_inexact 0
		.amdhsa_exception_int_div_zero 0
	.end_amdhsa_kernel
	.section	.text._ZN7rocprim17ROCPRIM_400000_NS6detail17trampoline_kernelINS0_13select_configILj256ELj13ELNS0_17block_load_methodE3ELS4_3ELS4_3ELNS0_20block_scan_algorithmE0ELj4294967295EEENS1_25partition_config_selectorILNS1_17partition_subalgoE3EjNS0_10empty_typeEbEEZZNS1_14partition_implILS8_3ELb0ES6_jNS0_17counting_iteratorIjlEEPS9_SE_NS0_5tupleIJPjSE_EEENSF_IJSE_SE_EEES9_SG_JZNS1_25segmented_radix_sort_implINS0_14default_configELb1EPK12hip_bfloat16PSL_PKlPlN2at6native12_GLOBAL__N_18offset_tEEE10hipError_tPvRmT1_PNSt15iterator_traitsISZ_E10value_typeET2_T3_PNS10_IS15_E10value_typeET4_jRbjT5_S1B_jjP12ihipStream_tbEUljE_EEESW_SX_SY_S15_S19_S1B_T6_T7_T9_mT8_S1D_bDpT10_ENKUlT_T0_E_clISt17integral_constantIbLb1EES1P_IbLb0EEEEDaS1L_S1M_EUlS1L_E_NS1_11comp_targetILNS1_3genE9ELNS1_11target_archE1100ELNS1_3gpuE3ELNS1_3repE0EEENS1_30default_config_static_selectorELNS0_4arch9wavefront6targetE0EEEvSZ_,"axG",@progbits,_ZN7rocprim17ROCPRIM_400000_NS6detail17trampoline_kernelINS0_13select_configILj256ELj13ELNS0_17block_load_methodE3ELS4_3ELS4_3ELNS0_20block_scan_algorithmE0ELj4294967295EEENS1_25partition_config_selectorILNS1_17partition_subalgoE3EjNS0_10empty_typeEbEEZZNS1_14partition_implILS8_3ELb0ES6_jNS0_17counting_iteratorIjlEEPS9_SE_NS0_5tupleIJPjSE_EEENSF_IJSE_SE_EEES9_SG_JZNS1_25segmented_radix_sort_implINS0_14default_configELb1EPK12hip_bfloat16PSL_PKlPlN2at6native12_GLOBAL__N_18offset_tEEE10hipError_tPvRmT1_PNSt15iterator_traitsISZ_E10value_typeET2_T3_PNS10_IS15_E10value_typeET4_jRbjT5_S1B_jjP12ihipStream_tbEUljE_EEESW_SX_SY_S15_S19_S1B_T6_T7_T9_mT8_S1D_bDpT10_ENKUlT_T0_E_clISt17integral_constantIbLb1EES1P_IbLb0EEEEDaS1L_S1M_EUlS1L_E_NS1_11comp_targetILNS1_3genE9ELNS1_11target_archE1100ELNS1_3gpuE3ELNS1_3repE0EEENS1_30default_config_static_selectorELNS0_4arch9wavefront6targetE0EEEvSZ_,comdat
.Lfunc_end1936:
	.size	_ZN7rocprim17ROCPRIM_400000_NS6detail17trampoline_kernelINS0_13select_configILj256ELj13ELNS0_17block_load_methodE3ELS4_3ELS4_3ELNS0_20block_scan_algorithmE0ELj4294967295EEENS1_25partition_config_selectorILNS1_17partition_subalgoE3EjNS0_10empty_typeEbEEZZNS1_14partition_implILS8_3ELb0ES6_jNS0_17counting_iteratorIjlEEPS9_SE_NS0_5tupleIJPjSE_EEENSF_IJSE_SE_EEES9_SG_JZNS1_25segmented_radix_sort_implINS0_14default_configELb1EPK12hip_bfloat16PSL_PKlPlN2at6native12_GLOBAL__N_18offset_tEEE10hipError_tPvRmT1_PNSt15iterator_traitsISZ_E10value_typeET2_T3_PNS10_IS15_E10value_typeET4_jRbjT5_S1B_jjP12ihipStream_tbEUljE_EEESW_SX_SY_S15_S19_S1B_T6_T7_T9_mT8_S1D_bDpT10_ENKUlT_T0_E_clISt17integral_constantIbLb1EES1P_IbLb0EEEEDaS1L_S1M_EUlS1L_E_NS1_11comp_targetILNS1_3genE9ELNS1_11target_archE1100ELNS1_3gpuE3ELNS1_3repE0EEENS1_30default_config_static_selectorELNS0_4arch9wavefront6targetE0EEEvSZ_, .Lfunc_end1936-_ZN7rocprim17ROCPRIM_400000_NS6detail17trampoline_kernelINS0_13select_configILj256ELj13ELNS0_17block_load_methodE3ELS4_3ELS4_3ELNS0_20block_scan_algorithmE0ELj4294967295EEENS1_25partition_config_selectorILNS1_17partition_subalgoE3EjNS0_10empty_typeEbEEZZNS1_14partition_implILS8_3ELb0ES6_jNS0_17counting_iteratorIjlEEPS9_SE_NS0_5tupleIJPjSE_EEENSF_IJSE_SE_EEES9_SG_JZNS1_25segmented_radix_sort_implINS0_14default_configELb1EPK12hip_bfloat16PSL_PKlPlN2at6native12_GLOBAL__N_18offset_tEEE10hipError_tPvRmT1_PNSt15iterator_traitsISZ_E10value_typeET2_T3_PNS10_IS15_E10value_typeET4_jRbjT5_S1B_jjP12ihipStream_tbEUljE_EEESW_SX_SY_S15_S19_S1B_T6_T7_T9_mT8_S1D_bDpT10_ENKUlT_T0_E_clISt17integral_constantIbLb1EES1P_IbLb0EEEEDaS1L_S1M_EUlS1L_E_NS1_11comp_targetILNS1_3genE9ELNS1_11target_archE1100ELNS1_3gpuE3ELNS1_3repE0EEENS1_30default_config_static_selectorELNS0_4arch9wavefront6targetE0EEEvSZ_
                                        ; -- End function
	.set _ZN7rocprim17ROCPRIM_400000_NS6detail17trampoline_kernelINS0_13select_configILj256ELj13ELNS0_17block_load_methodE3ELS4_3ELS4_3ELNS0_20block_scan_algorithmE0ELj4294967295EEENS1_25partition_config_selectorILNS1_17partition_subalgoE3EjNS0_10empty_typeEbEEZZNS1_14partition_implILS8_3ELb0ES6_jNS0_17counting_iteratorIjlEEPS9_SE_NS0_5tupleIJPjSE_EEENSF_IJSE_SE_EEES9_SG_JZNS1_25segmented_radix_sort_implINS0_14default_configELb1EPK12hip_bfloat16PSL_PKlPlN2at6native12_GLOBAL__N_18offset_tEEE10hipError_tPvRmT1_PNSt15iterator_traitsISZ_E10value_typeET2_T3_PNS10_IS15_E10value_typeET4_jRbjT5_S1B_jjP12ihipStream_tbEUljE_EEESW_SX_SY_S15_S19_S1B_T6_T7_T9_mT8_S1D_bDpT10_ENKUlT_T0_E_clISt17integral_constantIbLb1EES1P_IbLb0EEEEDaS1L_S1M_EUlS1L_E_NS1_11comp_targetILNS1_3genE9ELNS1_11target_archE1100ELNS1_3gpuE3ELNS1_3repE0EEENS1_30default_config_static_selectorELNS0_4arch9wavefront6targetE0EEEvSZ_.num_vgpr, 0
	.set _ZN7rocprim17ROCPRIM_400000_NS6detail17trampoline_kernelINS0_13select_configILj256ELj13ELNS0_17block_load_methodE3ELS4_3ELS4_3ELNS0_20block_scan_algorithmE0ELj4294967295EEENS1_25partition_config_selectorILNS1_17partition_subalgoE3EjNS0_10empty_typeEbEEZZNS1_14partition_implILS8_3ELb0ES6_jNS0_17counting_iteratorIjlEEPS9_SE_NS0_5tupleIJPjSE_EEENSF_IJSE_SE_EEES9_SG_JZNS1_25segmented_radix_sort_implINS0_14default_configELb1EPK12hip_bfloat16PSL_PKlPlN2at6native12_GLOBAL__N_18offset_tEEE10hipError_tPvRmT1_PNSt15iterator_traitsISZ_E10value_typeET2_T3_PNS10_IS15_E10value_typeET4_jRbjT5_S1B_jjP12ihipStream_tbEUljE_EEESW_SX_SY_S15_S19_S1B_T6_T7_T9_mT8_S1D_bDpT10_ENKUlT_T0_E_clISt17integral_constantIbLb1EES1P_IbLb0EEEEDaS1L_S1M_EUlS1L_E_NS1_11comp_targetILNS1_3genE9ELNS1_11target_archE1100ELNS1_3gpuE3ELNS1_3repE0EEENS1_30default_config_static_selectorELNS0_4arch9wavefront6targetE0EEEvSZ_.num_agpr, 0
	.set _ZN7rocprim17ROCPRIM_400000_NS6detail17trampoline_kernelINS0_13select_configILj256ELj13ELNS0_17block_load_methodE3ELS4_3ELS4_3ELNS0_20block_scan_algorithmE0ELj4294967295EEENS1_25partition_config_selectorILNS1_17partition_subalgoE3EjNS0_10empty_typeEbEEZZNS1_14partition_implILS8_3ELb0ES6_jNS0_17counting_iteratorIjlEEPS9_SE_NS0_5tupleIJPjSE_EEENSF_IJSE_SE_EEES9_SG_JZNS1_25segmented_radix_sort_implINS0_14default_configELb1EPK12hip_bfloat16PSL_PKlPlN2at6native12_GLOBAL__N_18offset_tEEE10hipError_tPvRmT1_PNSt15iterator_traitsISZ_E10value_typeET2_T3_PNS10_IS15_E10value_typeET4_jRbjT5_S1B_jjP12ihipStream_tbEUljE_EEESW_SX_SY_S15_S19_S1B_T6_T7_T9_mT8_S1D_bDpT10_ENKUlT_T0_E_clISt17integral_constantIbLb1EES1P_IbLb0EEEEDaS1L_S1M_EUlS1L_E_NS1_11comp_targetILNS1_3genE9ELNS1_11target_archE1100ELNS1_3gpuE3ELNS1_3repE0EEENS1_30default_config_static_selectorELNS0_4arch9wavefront6targetE0EEEvSZ_.numbered_sgpr, 0
	.set _ZN7rocprim17ROCPRIM_400000_NS6detail17trampoline_kernelINS0_13select_configILj256ELj13ELNS0_17block_load_methodE3ELS4_3ELS4_3ELNS0_20block_scan_algorithmE0ELj4294967295EEENS1_25partition_config_selectorILNS1_17partition_subalgoE3EjNS0_10empty_typeEbEEZZNS1_14partition_implILS8_3ELb0ES6_jNS0_17counting_iteratorIjlEEPS9_SE_NS0_5tupleIJPjSE_EEENSF_IJSE_SE_EEES9_SG_JZNS1_25segmented_radix_sort_implINS0_14default_configELb1EPK12hip_bfloat16PSL_PKlPlN2at6native12_GLOBAL__N_18offset_tEEE10hipError_tPvRmT1_PNSt15iterator_traitsISZ_E10value_typeET2_T3_PNS10_IS15_E10value_typeET4_jRbjT5_S1B_jjP12ihipStream_tbEUljE_EEESW_SX_SY_S15_S19_S1B_T6_T7_T9_mT8_S1D_bDpT10_ENKUlT_T0_E_clISt17integral_constantIbLb1EES1P_IbLb0EEEEDaS1L_S1M_EUlS1L_E_NS1_11comp_targetILNS1_3genE9ELNS1_11target_archE1100ELNS1_3gpuE3ELNS1_3repE0EEENS1_30default_config_static_selectorELNS0_4arch9wavefront6targetE0EEEvSZ_.num_named_barrier, 0
	.set _ZN7rocprim17ROCPRIM_400000_NS6detail17trampoline_kernelINS0_13select_configILj256ELj13ELNS0_17block_load_methodE3ELS4_3ELS4_3ELNS0_20block_scan_algorithmE0ELj4294967295EEENS1_25partition_config_selectorILNS1_17partition_subalgoE3EjNS0_10empty_typeEbEEZZNS1_14partition_implILS8_3ELb0ES6_jNS0_17counting_iteratorIjlEEPS9_SE_NS0_5tupleIJPjSE_EEENSF_IJSE_SE_EEES9_SG_JZNS1_25segmented_radix_sort_implINS0_14default_configELb1EPK12hip_bfloat16PSL_PKlPlN2at6native12_GLOBAL__N_18offset_tEEE10hipError_tPvRmT1_PNSt15iterator_traitsISZ_E10value_typeET2_T3_PNS10_IS15_E10value_typeET4_jRbjT5_S1B_jjP12ihipStream_tbEUljE_EEESW_SX_SY_S15_S19_S1B_T6_T7_T9_mT8_S1D_bDpT10_ENKUlT_T0_E_clISt17integral_constantIbLb1EES1P_IbLb0EEEEDaS1L_S1M_EUlS1L_E_NS1_11comp_targetILNS1_3genE9ELNS1_11target_archE1100ELNS1_3gpuE3ELNS1_3repE0EEENS1_30default_config_static_selectorELNS0_4arch9wavefront6targetE0EEEvSZ_.private_seg_size, 0
	.set _ZN7rocprim17ROCPRIM_400000_NS6detail17trampoline_kernelINS0_13select_configILj256ELj13ELNS0_17block_load_methodE3ELS4_3ELS4_3ELNS0_20block_scan_algorithmE0ELj4294967295EEENS1_25partition_config_selectorILNS1_17partition_subalgoE3EjNS0_10empty_typeEbEEZZNS1_14partition_implILS8_3ELb0ES6_jNS0_17counting_iteratorIjlEEPS9_SE_NS0_5tupleIJPjSE_EEENSF_IJSE_SE_EEES9_SG_JZNS1_25segmented_radix_sort_implINS0_14default_configELb1EPK12hip_bfloat16PSL_PKlPlN2at6native12_GLOBAL__N_18offset_tEEE10hipError_tPvRmT1_PNSt15iterator_traitsISZ_E10value_typeET2_T3_PNS10_IS15_E10value_typeET4_jRbjT5_S1B_jjP12ihipStream_tbEUljE_EEESW_SX_SY_S15_S19_S1B_T6_T7_T9_mT8_S1D_bDpT10_ENKUlT_T0_E_clISt17integral_constantIbLb1EES1P_IbLb0EEEEDaS1L_S1M_EUlS1L_E_NS1_11comp_targetILNS1_3genE9ELNS1_11target_archE1100ELNS1_3gpuE3ELNS1_3repE0EEENS1_30default_config_static_selectorELNS0_4arch9wavefront6targetE0EEEvSZ_.uses_vcc, 0
	.set _ZN7rocprim17ROCPRIM_400000_NS6detail17trampoline_kernelINS0_13select_configILj256ELj13ELNS0_17block_load_methodE3ELS4_3ELS4_3ELNS0_20block_scan_algorithmE0ELj4294967295EEENS1_25partition_config_selectorILNS1_17partition_subalgoE3EjNS0_10empty_typeEbEEZZNS1_14partition_implILS8_3ELb0ES6_jNS0_17counting_iteratorIjlEEPS9_SE_NS0_5tupleIJPjSE_EEENSF_IJSE_SE_EEES9_SG_JZNS1_25segmented_radix_sort_implINS0_14default_configELb1EPK12hip_bfloat16PSL_PKlPlN2at6native12_GLOBAL__N_18offset_tEEE10hipError_tPvRmT1_PNSt15iterator_traitsISZ_E10value_typeET2_T3_PNS10_IS15_E10value_typeET4_jRbjT5_S1B_jjP12ihipStream_tbEUljE_EEESW_SX_SY_S15_S19_S1B_T6_T7_T9_mT8_S1D_bDpT10_ENKUlT_T0_E_clISt17integral_constantIbLb1EES1P_IbLb0EEEEDaS1L_S1M_EUlS1L_E_NS1_11comp_targetILNS1_3genE9ELNS1_11target_archE1100ELNS1_3gpuE3ELNS1_3repE0EEENS1_30default_config_static_selectorELNS0_4arch9wavefront6targetE0EEEvSZ_.uses_flat_scratch, 0
	.set _ZN7rocprim17ROCPRIM_400000_NS6detail17trampoline_kernelINS0_13select_configILj256ELj13ELNS0_17block_load_methodE3ELS4_3ELS4_3ELNS0_20block_scan_algorithmE0ELj4294967295EEENS1_25partition_config_selectorILNS1_17partition_subalgoE3EjNS0_10empty_typeEbEEZZNS1_14partition_implILS8_3ELb0ES6_jNS0_17counting_iteratorIjlEEPS9_SE_NS0_5tupleIJPjSE_EEENSF_IJSE_SE_EEES9_SG_JZNS1_25segmented_radix_sort_implINS0_14default_configELb1EPK12hip_bfloat16PSL_PKlPlN2at6native12_GLOBAL__N_18offset_tEEE10hipError_tPvRmT1_PNSt15iterator_traitsISZ_E10value_typeET2_T3_PNS10_IS15_E10value_typeET4_jRbjT5_S1B_jjP12ihipStream_tbEUljE_EEESW_SX_SY_S15_S19_S1B_T6_T7_T9_mT8_S1D_bDpT10_ENKUlT_T0_E_clISt17integral_constantIbLb1EES1P_IbLb0EEEEDaS1L_S1M_EUlS1L_E_NS1_11comp_targetILNS1_3genE9ELNS1_11target_archE1100ELNS1_3gpuE3ELNS1_3repE0EEENS1_30default_config_static_selectorELNS0_4arch9wavefront6targetE0EEEvSZ_.has_dyn_sized_stack, 0
	.set _ZN7rocprim17ROCPRIM_400000_NS6detail17trampoline_kernelINS0_13select_configILj256ELj13ELNS0_17block_load_methodE3ELS4_3ELS4_3ELNS0_20block_scan_algorithmE0ELj4294967295EEENS1_25partition_config_selectorILNS1_17partition_subalgoE3EjNS0_10empty_typeEbEEZZNS1_14partition_implILS8_3ELb0ES6_jNS0_17counting_iteratorIjlEEPS9_SE_NS0_5tupleIJPjSE_EEENSF_IJSE_SE_EEES9_SG_JZNS1_25segmented_radix_sort_implINS0_14default_configELb1EPK12hip_bfloat16PSL_PKlPlN2at6native12_GLOBAL__N_18offset_tEEE10hipError_tPvRmT1_PNSt15iterator_traitsISZ_E10value_typeET2_T3_PNS10_IS15_E10value_typeET4_jRbjT5_S1B_jjP12ihipStream_tbEUljE_EEESW_SX_SY_S15_S19_S1B_T6_T7_T9_mT8_S1D_bDpT10_ENKUlT_T0_E_clISt17integral_constantIbLb1EES1P_IbLb0EEEEDaS1L_S1M_EUlS1L_E_NS1_11comp_targetILNS1_3genE9ELNS1_11target_archE1100ELNS1_3gpuE3ELNS1_3repE0EEENS1_30default_config_static_selectorELNS0_4arch9wavefront6targetE0EEEvSZ_.has_recursion, 0
	.set _ZN7rocprim17ROCPRIM_400000_NS6detail17trampoline_kernelINS0_13select_configILj256ELj13ELNS0_17block_load_methodE3ELS4_3ELS4_3ELNS0_20block_scan_algorithmE0ELj4294967295EEENS1_25partition_config_selectorILNS1_17partition_subalgoE3EjNS0_10empty_typeEbEEZZNS1_14partition_implILS8_3ELb0ES6_jNS0_17counting_iteratorIjlEEPS9_SE_NS0_5tupleIJPjSE_EEENSF_IJSE_SE_EEES9_SG_JZNS1_25segmented_radix_sort_implINS0_14default_configELb1EPK12hip_bfloat16PSL_PKlPlN2at6native12_GLOBAL__N_18offset_tEEE10hipError_tPvRmT1_PNSt15iterator_traitsISZ_E10value_typeET2_T3_PNS10_IS15_E10value_typeET4_jRbjT5_S1B_jjP12ihipStream_tbEUljE_EEESW_SX_SY_S15_S19_S1B_T6_T7_T9_mT8_S1D_bDpT10_ENKUlT_T0_E_clISt17integral_constantIbLb1EES1P_IbLb0EEEEDaS1L_S1M_EUlS1L_E_NS1_11comp_targetILNS1_3genE9ELNS1_11target_archE1100ELNS1_3gpuE3ELNS1_3repE0EEENS1_30default_config_static_selectorELNS0_4arch9wavefront6targetE0EEEvSZ_.has_indirect_call, 0
	.section	.AMDGPU.csdata,"",@progbits
; Kernel info:
; codeLenInByte = 0
; TotalNumSgprs: 0
; NumVgprs: 0
; ScratchSize: 0
; MemoryBound: 0
; FloatMode: 240
; IeeeMode: 1
; LDSByteSize: 0 bytes/workgroup (compile time only)
; SGPRBlocks: 0
; VGPRBlocks: 0
; NumSGPRsForWavesPerEU: 1
; NumVGPRsForWavesPerEU: 1
; Occupancy: 16
; WaveLimiterHint : 0
; COMPUTE_PGM_RSRC2:SCRATCH_EN: 0
; COMPUTE_PGM_RSRC2:USER_SGPR: 2
; COMPUTE_PGM_RSRC2:TRAP_HANDLER: 0
; COMPUTE_PGM_RSRC2:TGID_X_EN: 1
; COMPUTE_PGM_RSRC2:TGID_Y_EN: 0
; COMPUTE_PGM_RSRC2:TGID_Z_EN: 0
; COMPUTE_PGM_RSRC2:TIDIG_COMP_CNT: 0
	.section	.text._ZN7rocprim17ROCPRIM_400000_NS6detail17trampoline_kernelINS0_13select_configILj256ELj13ELNS0_17block_load_methodE3ELS4_3ELS4_3ELNS0_20block_scan_algorithmE0ELj4294967295EEENS1_25partition_config_selectorILNS1_17partition_subalgoE3EjNS0_10empty_typeEbEEZZNS1_14partition_implILS8_3ELb0ES6_jNS0_17counting_iteratorIjlEEPS9_SE_NS0_5tupleIJPjSE_EEENSF_IJSE_SE_EEES9_SG_JZNS1_25segmented_radix_sort_implINS0_14default_configELb1EPK12hip_bfloat16PSL_PKlPlN2at6native12_GLOBAL__N_18offset_tEEE10hipError_tPvRmT1_PNSt15iterator_traitsISZ_E10value_typeET2_T3_PNS10_IS15_E10value_typeET4_jRbjT5_S1B_jjP12ihipStream_tbEUljE_EEESW_SX_SY_S15_S19_S1B_T6_T7_T9_mT8_S1D_bDpT10_ENKUlT_T0_E_clISt17integral_constantIbLb1EES1P_IbLb0EEEEDaS1L_S1M_EUlS1L_E_NS1_11comp_targetILNS1_3genE8ELNS1_11target_archE1030ELNS1_3gpuE2ELNS1_3repE0EEENS1_30default_config_static_selectorELNS0_4arch9wavefront6targetE0EEEvSZ_,"axG",@progbits,_ZN7rocprim17ROCPRIM_400000_NS6detail17trampoline_kernelINS0_13select_configILj256ELj13ELNS0_17block_load_methodE3ELS4_3ELS4_3ELNS0_20block_scan_algorithmE0ELj4294967295EEENS1_25partition_config_selectorILNS1_17partition_subalgoE3EjNS0_10empty_typeEbEEZZNS1_14partition_implILS8_3ELb0ES6_jNS0_17counting_iteratorIjlEEPS9_SE_NS0_5tupleIJPjSE_EEENSF_IJSE_SE_EEES9_SG_JZNS1_25segmented_radix_sort_implINS0_14default_configELb1EPK12hip_bfloat16PSL_PKlPlN2at6native12_GLOBAL__N_18offset_tEEE10hipError_tPvRmT1_PNSt15iterator_traitsISZ_E10value_typeET2_T3_PNS10_IS15_E10value_typeET4_jRbjT5_S1B_jjP12ihipStream_tbEUljE_EEESW_SX_SY_S15_S19_S1B_T6_T7_T9_mT8_S1D_bDpT10_ENKUlT_T0_E_clISt17integral_constantIbLb1EES1P_IbLb0EEEEDaS1L_S1M_EUlS1L_E_NS1_11comp_targetILNS1_3genE8ELNS1_11target_archE1030ELNS1_3gpuE2ELNS1_3repE0EEENS1_30default_config_static_selectorELNS0_4arch9wavefront6targetE0EEEvSZ_,comdat
	.globl	_ZN7rocprim17ROCPRIM_400000_NS6detail17trampoline_kernelINS0_13select_configILj256ELj13ELNS0_17block_load_methodE3ELS4_3ELS4_3ELNS0_20block_scan_algorithmE0ELj4294967295EEENS1_25partition_config_selectorILNS1_17partition_subalgoE3EjNS0_10empty_typeEbEEZZNS1_14partition_implILS8_3ELb0ES6_jNS0_17counting_iteratorIjlEEPS9_SE_NS0_5tupleIJPjSE_EEENSF_IJSE_SE_EEES9_SG_JZNS1_25segmented_radix_sort_implINS0_14default_configELb1EPK12hip_bfloat16PSL_PKlPlN2at6native12_GLOBAL__N_18offset_tEEE10hipError_tPvRmT1_PNSt15iterator_traitsISZ_E10value_typeET2_T3_PNS10_IS15_E10value_typeET4_jRbjT5_S1B_jjP12ihipStream_tbEUljE_EEESW_SX_SY_S15_S19_S1B_T6_T7_T9_mT8_S1D_bDpT10_ENKUlT_T0_E_clISt17integral_constantIbLb1EES1P_IbLb0EEEEDaS1L_S1M_EUlS1L_E_NS1_11comp_targetILNS1_3genE8ELNS1_11target_archE1030ELNS1_3gpuE2ELNS1_3repE0EEENS1_30default_config_static_selectorELNS0_4arch9wavefront6targetE0EEEvSZ_ ; -- Begin function _ZN7rocprim17ROCPRIM_400000_NS6detail17trampoline_kernelINS0_13select_configILj256ELj13ELNS0_17block_load_methodE3ELS4_3ELS4_3ELNS0_20block_scan_algorithmE0ELj4294967295EEENS1_25partition_config_selectorILNS1_17partition_subalgoE3EjNS0_10empty_typeEbEEZZNS1_14partition_implILS8_3ELb0ES6_jNS0_17counting_iteratorIjlEEPS9_SE_NS0_5tupleIJPjSE_EEENSF_IJSE_SE_EEES9_SG_JZNS1_25segmented_radix_sort_implINS0_14default_configELb1EPK12hip_bfloat16PSL_PKlPlN2at6native12_GLOBAL__N_18offset_tEEE10hipError_tPvRmT1_PNSt15iterator_traitsISZ_E10value_typeET2_T3_PNS10_IS15_E10value_typeET4_jRbjT5_S1B_jjP12ihipStream_tbEUljE_EEESW_SX_SY_S15_S19_S1B_T6_T7_T9_mT8_S1D_bDpT10_ENKUlT_T0_E_clISt17integral_constantIbLb1EES1P_IbLb0EEEEDaS1L_S1M_EUlS1L_E_NS1_11comp_targetILNS1_3genE8ELNS1_11target_archE1030ELNS1_3gpuE2ELNS1_3repE0EEENS1_30default_config_static_selectorELNS0_4arch9wavefront6targetE0EEEvSZ_
	.p2align	8
	.type	_ZN7rocprim17ROCPRIM_400000_NS6detail17trampoline_kernelINS0_13select_configILj256ELj13ELNS0_17block_load_methodE3ELS4_3ELS4_3ELNS0_20block_scan_algorithmE0ELj4294967295EEENS1_25partition_config_selectorILNS1_17partition_subalgoE3EjNS0_10empty_typeEbEEZZNS1_14partition_implILS8_3ELb0ES6_jNS0_17counting_iteratorIjlEEPS9_SE_NS0_5tupleIJPjSE_EEENSF_IJSE_SE_EEES9_SG_JZNS1_25segmented_radix_sort_implINS0_14default_configELb1EPK12hip_bfloat16PSL_PKlPlN2at6native12_GLOBAL__N_18offset_tEEE10hipError_tPvRmT1_PNSt15iterator_traitsISZ_E10value_typeET2_T3_PNS10_IS15_E10value_typeET4_jRbjT5_S1B_jjP12ihipStream_tbEUljE_EEESW_SX_SY_S15_S19_S1B_T6_T7_T9_mT8_S1D_bDpT10_ENKUlT_T0_E_clISt17integral_constantIbLb1EES1P_IbLb0EEEEDaS1L_S1M_EUlS1L_E_NS1_11comp_targetILNS1_3genE8ELNS1_11target_archE1030ELNS1_3gpuE2ELNS1_3repE0EEENS1_30default_config_static_selectorELNS0_4arch9wavefront6targetE0EEEvSZ_,@function
_ZN7rocprim17ROCPRIM_400000_NS6detail17trampoline_kernelINS0_13select_configILj256ELj13ELNS0_17block_load_methodE3ELS4_3ELS4_3ELNS0_20block_scan_algorithmE0ELj4294967295EEENS1_25partition_config_selectorILNS1_17partition_subalgoE3EjNS0_10empty_typeEbEEZZNS1_14partition_implILS8_3ELb0ES6_jNS0_17counting_iteratorIjlEEPS9_SE_NS0_5tupleIJPjSE_EEENSF_IJSE_SE_EEES9_SG_JZNS1_25segmented_radix_sort_implINS0_14default_configELb1EPK12hip_bfloat16PSL_PKlPlN2at6native12_GLOBAL__N_18offset_tEEE10hipError_tPvRmT1_PNSt15iterator_traitsISZ_E10value_typeET2_T3_PNS10_IS15_E10value_typeET4_jRbjT5_S1B_jjP12ihipStream_tbEUljE_EEESW_SX_SY_S15_S19_S1B_T6_T7_T9_mT8_S1D_bDpT10_ENKUlT_T0_E_clISt17integral_constantIbLb1EES1P_IbLb0EEEEDaS1L_S1M_EUlS1L_E_NS1_11comp_targetILNS1_3genE8ELNS1_11target_archE1030ELNS1_3gpuE2ELNS1_3repE0EEENS1_30default_config_static_selectorELNS0_4arch9wavefront6targetE0EEEvSZ_: ; @_ZN7rocprim17ROCPRIM_400000_NS6detail17trampoline_kernelINS0_13select_configILj256ELj13ELNS0_17block_load_methodE3ELS4_3ELS4_3ELNS0_20block_scan_algorithmE0ELj4294967295EEENS1_25partition_config_selectorILNS1_17partition_subalgoE3EjNS0_10empty_typeEbEEZZNS1_14partition_implILS8_3ELb0ES6_jNS0_17counting_iteratorIjlEEPS9_SE_NS0_5tupleIJPjSE_EEENSF_IJSE_SE_EEES9_SG_JZNS1_25segmented_radix_sort_implINS0_14default_configELb1EPK12hip_bfloat16PSL_PKlPlN2at6native12_GLOBAL__N_18offset_tEEE10hipError_tPvRmT1_PNSt15iterator_traitsISZ_E10value_typeET2_T3_PNS10_IS15_E10value_typeET4_jRbjT5_S1B_jjP12ihipStream_tbEUljE_EEESW_SX_SY_S15_S19_S1B_T6_T7_T9_mT8_S1D_bDpT10_ENKUlT_T0_E_clISt17integral_constantIbLb1EES1P_IbLb0EEEEDaS1L_S1M_EUlS1L_E_NS1_11comp_targetILNS1_3genE8ELNS1_11target_archE1030ELNS1_3gpuE2ELNS1_3repE0EEENS1_30default_config_static_selectorELNS0_4arch9wavefront6targetE0EEEvSZ_
; %bb.0:
	.section	.rodata,"a",@progbits
	.p2align	6, 0x0
	.amdhsa_kernel _ZN7rocprim17ROCPRIM_400000_NS6detail17trampoline_kernelINS0_13select_configILj256ELj13ELNS0_17block_load_methodE3ELS4_3ELS4_3ELNS0_20block_scan_algorithmE0ELj4294967295EEENS1_25partition_config_selectorILNS1_17partition_subalgoE3EjNS0_10empty_typeEbEEZZNS1_14partition_implILS8_3ELb0ES6_jNS0_17counting_iteratorIjlEEPS9_SE_NS0_5tupleIJPjSE_EEENSF_IJSE_SE_EEES9_SG_JZNS1_25segmented_radix_sort_implINS0_14default_configELb1EPK12hip_bfloat16PSL_PKlPlN2at6native12_GLOBAL__N_18offset_tEEE10hipError_tPvRmT1_PNSt15iterator_traitsISZ_E10value_typeET2_T3_PNS10_IS15_E10value_typeET4_jRbjT5_S1B_jjP12ihipStream_tbEUljE_EEESW_SX_SY_S15_S19_S1B_T6_T7_T9_mT8_S1D_bDpT10_ENKUlT_T0_E_clISt17integral_constantIbLb1EES1P_IbLb0EEEEDaS1L_S1M_EUlS1L_E_NS1_11comp_targetILNS1_3genE8ELNS1_11target_archE1030ELNS1_3gpuE2ELNS1_3repE0EEENS1_30default_config_static_selectorELNS0_4arch9wavefront6targetE0EEEvSZ_
		.amdhsa_group_segment_fixed_size 0
		.amdhsa_private_segment_fixed_size 0
		.amdhsa_kernarg_size 144
		.amdhsa_user_sgpr_count 2
		.amdhsa_user_sgpr_dispatch_ptr 0
		.amdhsa_user_sgpr_queue_ptr 0
		.amdhsa_user_sgpr_kernarg_segment_ptr 1
		.amdhsa_user_sgpr_dispatch_id 0
		.amdhsa_user_sgpr_private_segment_size 0
		.amdhsa_wavefront_size32 1
		.amdhsa_uses_dynamic_stack 0
		.amdhsa_enable_private_segment 0
		.amdhsa_system_sgpr_workgroup_id_x 1
		.amdhsa_system_sgpr_workgroup_id_y 0
		.amdhsa_system_sgpr_workgroup_id_z 0
		.amdhsa_system_sgpr_workgroup_info 0
		.amdhsa_system_vgpr_workitem_id 0
		.amdhsa_next_free_vgpr 1
		.amdhsa_next_free_sgpr 1
		.amdhsa_reserve_vcc 0
		.amdhsa_float_round_mode_32 0
		.amdhsa_float_round_mode_16_64 0
		.amdhsa_float_denorm_mode_32 3
		.amdhsa_float_denorm_mode_16_64 3
		.amdhsa_fp16_overflow 0
		.amdhsa_workgroup_processor_mode 1
		.amdhsa_memory_ordered 1
		.amdhsa_forward_progress 1
		.amdhsa_inst_pref_size 0
		.amdhsa_round_robin_scheduling 0
		.amdhsa_exception_fp_ieee_invalid_op 0
		.amdhsa_exception_fp_denorm_src 0
		.amdhsa_exception_fp_ieee_div_zero 0
		.amdhsa_exception_fp_ieee_overflow 0
		.amdhsa_exception_fp_ieee_underflow 0
		.amdhsa_exception_fp_ieee_inexact 0
		.amdhsa_exception_int_div_zero 0
	.end_amdhsa_kernel
	.section	.text._ZN7rocprim17ROCPRIM_400000_NS6detail17trampoline_kernelINS0_13select_configILj256ELj13ELNS0_17block_load_methodE3ELS4_3ELS4_3ELNS0_20block_scan_algorithmE0ELj4294967295EEENS1_25partition_config_selectorILNS1_17partition_subalgoE3EjNS0_10empty_typeEbEEZZNS1_14partition_implILS8_3ELb0ES6_jNS0_17counting_iteratorIjlEEPS9_SE_NS0_5tupleIJPjSE_EEENSF_IJSE_SE_EEES9_SG_JZNS1_25segmented_radix_sort_implINS0_14default_configELb1EPK12hip_bfloat16PSL_PKlPlN2at6native12_GLOBAL__N_18offset_tEEE10hipError_tPvRmT1_PNSt15iterator_traitsISZ_E10value_typeET2_T3_PNS10_IS15_E10value_typeET4_jRbjT5_S1B_jjP12ihipStream_tbEUljE_EEESW_SX_SY_S15_S19_S1B_T6_T7_T9_mT8_S1D_bDpT10_ENKUlT_T0_E_clISt17integral_constantIbLb1EES1P_IbLb0EEEEDaS1L_S1M_EUlS1L_E_NS1_11comp_targetILNS1_3genE8ELNS1_11target_archE1030ELNS1_3gpuE2ELNS1_3repE0EEENS1_30default_config_static_selectorELNS0_4arch9wavefront6targetE0EEEvSZ_,"axG",@progbits,_ZN7rocprim17ROCPRIM_400000_NS6detail17trampoline_kernelINS0_13select_configILj256ELj13ELNS0_17block_load_methodE3ELS4_3ELS4_3ELNS0_20block_scan_algorithmE0ELj4294967295EEENS1_25partition_config_selectorILNS1_17partition_subalgoE3EjNS0_10empty_typeEbEEZZNS1_14partition_implILS8_3ELb0ES6_jNS0_17counting_iteratorIjlEEPS9_SE_NS0_5tupleIJPjSE_EEENSF_IJSE_SE_EEES9_SG_JZNS1_25segmented_radix_sort_implINS0_14default_configELb1EPK12hip_bfloat16PSL_PKlPlN2at6native12_GLOBAL__N_18offset_tEEE10hipError_tPvRmT1_PNSt15iterator_traitsISZ_E10value_typeET2_T3_PNS10_IS15_E10value_typeET4_jRbjT5_S1B_jjP12ihipStream_tbEUljE_EEESW_SX_SY_S15_S19_S1B_T6_T7_T9_mT8_S1D_bDpT10_ENKUlT_T0_E_clISt17integral_constantIbLb1EES1P_IbLb0EEEEDaS1L_S1M_EUlS1L_E_NS1_11comp_targetILNS1_3genE8ELNS1_11target_archE1030ELNS1_3gpuE2ELNS1_3repE0EEENS1_30default_config_static_selectorELNS0_4arch9wavefront6targetE0EEEvSZ_,comdat
.Lfunc_end1937:
	.size	_ZN7rocprim17ROCPRIM_400000_NS6detail17trampoline_kernelINS0_13select_configILj256ELj13ELNS0_17block_load_methodE3ELS4_3ELS4_3ELNS0_20block_scan_algorithmE0ELj4294967295EEENS1_25partition_config_selectorILNS1_17partition_subalgoE3EjNS0_10empty_typeEbEEZZNS1_14partition_implILS8_3ELb0ES6_jNS0_17counting_iteratorIjlEEPS9_SE_NS0_5tupleIJPjSE_EEENSF_IJSE_SE_EEES9_SG_JZNS1_25segmented_radix_sort_implINS0_14default_configELb1EPK12hip_bfloat16PSL_PKlPlN2at6native12_GLOBAL__N_18offset_tEEE10hipError_tPvRmT1_PNSt15iterator_traitsISZ_E10value_typeET2_T3_PNS10_IS15_E10value_typeET4_jRbjT5_S1B_jjP12ihipStream_tbEUljE_EEESW_SX_SY_S15_S19_S1B_T6_T7_T9_mT8_S1D_bDpT10_ENKUlT_T0_E_clISt17integral_constantIbLb1EES1P_IbLb0EEEEDaS1L_S1M_EUlS1L_E_NS1_11comp_targetILNS1_3genE8ELNS1_11target_archE1030ELNS1_3gpuE2ELNS1_3repE0EEENS1_30default_config_static_selectorELNS0_4arch9wavefront6targetE0EEEvSZ_, .Lfunc_end1937-_ZN7rocprim17ROCPRIM_400000_NS6detail17trampoline_kernelINS0_13select_configILj256ELj13ELNS0_17block_load_methodE3ELS4_3ELS4_3ELNS0_20block_scan_algorithmE0ELj4294967295EEENS1_25partition_config_selectorILNS1_17partition_subalgoE3EjNS0_10empty_typeEbEEZZNS1_14partition_implILS8_3ELb0ES6_jNS0_17counting_iteratorIjlEEPS9_SE_NS0_5tupleIJPjSE_EEENSF_IJSE_SE_EEES9_SG_JZNS1_25segmented_radix_sort_implINS0_14default_configELb1EPK12hip_bfloat16PSL_PKlPlN2at6native12_GLOBAL__N_18offset_tEEE10hipError_tPvRmT1_PNSt15iterator_traitsISZ_E10value_typeET2_T3_PNS10_IS15_E10value_typeET4_jRbjT5_S1B_jjP12ihipStream_tbEUljE_EEESW_SX_SY_S15_S19_S1B_T6_T7_T9_mT8_S1D_bDpT10_ENKUlT_T0_E_clISt17integral_constantIbLb1EES1P_IbLb0EEEEDaS1L_S1M_EUlS1L_E_NS1_11comp_targetILNS1_3genE8ELNS1_11target_archE1030ELNS1_3gpuE2ELNS1_3repE0EEENS1_30default_config_static_selectorELNS0_4arch9wavefront6targetE0EEEvSZ_
                                        ; -- End function
	.set _ZN7rocprim17ROCPRIM_400000_NS6detail17trampoline_kernelINS0_13select_configILj256ELj13ELNS0_17block_load_methodE3ELS4_3ELS4_3ELNS0_20block_scan_algorithmE0ELj4294967295EEENS1_25partition_config_selectorILNS1_17partition_subalgoE3EjNS0_10empty_typeEbEEZZNS1_14partition_implILS8_3ELb0ES6_jNS0_17counting_iteratorIjlEEPS9_SE_NS0_5tupleIJPjSE_EEENSF_IJSE_SE_EEES9_SG_JZNS1_25segmented_radix_sort_implINS0_14default_configELb1EPK12hip_bfloat16PSL_PKlPlN2at6native12_GLOBAL__N_18offset_tEEE10hipError_tPvRmT1_PNSt15iterator_traitsISZ_E10value_typeET2_T3_PNS10_IS15_E10value_typeET4_jRbjT5_S1B_jjP12ihipStream_tbEUljE_EEESW_SX_SY_S15_S19_S1B_T6_T7_T9_mT8_S1D_bDpT10_ENKUlT_T0_E_clISt17integral_constantIbLb1EES1P_IbLb0EEEEDaS1L_S1M_EUlS1L_E_NS1_11comp_targetILNS1_3genE8ELNS1_11target_archE1030ELNS1_3gpuE2ELNS1_3repE0EEENS1_30default_config_static_selectorELNS0_4arch9wavefront6targetE0EEEvSZ_.num_vgpr, 0
	.set _ZN7rocprim17ROCPRIM_400000_NS6detail17trampoline_kernelINS0_13select_configILj256ELj13ELNS0_17block_load_methodE3ELS4_3ELS4_3ELNS0_20block_scan_algorithmE0ELj4294967295EEENS1_25partition_config_selectorILNS1_17partition_subalgoE3EjNS0_10empty_typeEbEEZZNS1_14partition_implILS8_3ELb0ES6_jNS0_17counting_iteratorIjlEEPS9_SE_NS0_5tupleIJPjSE_EEENSF_IJSE_SE_EEES9_SG_JZNS1_25segmented_radix_sort_implINS0_14default_configELb1EPK12hip_bfloat16PSL_PKlPlN2at6native12_GLOBAL__N_18offset_tEEE10hipError_tPvRmT1_PNSt15iterator_traitsISZ_E10value_typeET2_T3_PNS10_IS15_E10value_typeET4_jRbjT5_S1B_jjP12ihipStream_tbEUljE_EEESW_SX_SY_S15_S19_S1B_T6_T7_T9_mT8_S1D_bDpT10_ENKUlT_T0_E_clISt17integral_constantIbLb1EES1P_IbLb0EEEEDaS1L_S1M_EUlS1L_E_NS1_11comp_targetILNS1_3genE8ELNS1_11target_archE1030ELNS1_3gpuE2ELNS1_3repE0EEENS1_30default_config_static_selectorELNS0_4arch9wavefront6targetE0EEEvSZ_.num_agpr, 0
	.set _ZN7rocprim17ROCPRIM_400000_NS6detail17trampoline_kernelINS0_13select_configILj256ELj13ELNS0_17block_load_methodE3ELS4_3ELS4_3ELNS0_20block_scan_algorithmE0ELj4294967295EEENS1_25partition_config_selectorILNS1_17partition_subalgoE3EjNS0_10empty_typeEbEEZZNS1_14partition_implILS8_3ELb0ES6_jNS0_17counting_iteratorIjlEEPS9_SE_NS0_5tupleIJPjSE_EEENSF_IJSE_SE_EEES9_SG_JZNS1_25segmented_radix_sort_implINS0_14default_configELb1EPK12hip_bfloat16PSL_PKlPlN2at6native12_GLOBAL__N_18offset_tEEE10hipError_tPvRmT1_PNSt15iterator_traitsISZ_E10value_typeET2_T3_PNS10_IS15_E10value_typeET4_jRbjT5_S1B_jjP12ihipStream_tbEUljE_EEESW_SX_SY_S15_S19_S1B_T6_T7_T9_mT8_S1D_bDpT10_ENKUlT_T0_E_clISt17integral_constantIbLb1EES1P_IbLb0EEEEDaS1L_S1M_EUlS1L_E_NS1_11comp_targetILNS1_3genE8ELNS1_11target_archE1030ELNS1_3gpuE2ELNS1_3repE0EEENS1_30default_config_static_selectorELNS0_4arch9wavefront6targetE0EEEvSZ_.numbered_sgpr, 0
	.set _ZN7rocprim17ROCPRIM_400000_NS6detail17trampoline_kernelINS0_13select_configILj256ELj13ELNS0_17block_load_methodE3ELS4_3ELS4_3ELNS0_20block_scan_algorithmE0ELj4294967295EEENS1_25partition_config_selectorILNS1_17partition_subalgoE3EjNS0_10empty_typeEbEEZZNS1_14partition_implILS8_3ELb0ES6_jNS0_17counting_iteratorIjlEEPS9_SE_NS0_5tupleIJPjSE_EEENSF_IJSE_SE_EEES9_SG_JZNS1_25segmented_radix_sort_implINS0_14default_configELb1EPK12hip_bfloat16PSL_PKlPlN2at6native12_GLOBAL__N_18offset_tEEE10hipError_tPvRmT1_PNSt15iterator_traitsISZ_E10value_typeET2_T3_PNS10_IS15_E10value_typeET4_jRbjT5_S1B_jjP12ihipStream_tbEUljE_EEESW_SX_SY_S15_S19_S1B_T6_T7_T9_mT8_S1D_bDpT10_ENKUlT_T0_E_clISt17integral_constantIbLb1EES1P_IbLb0EEEEDaS1L_S1M_EUlS1L_E_NS1_11comp_targetILNS1_3genE8ELNS1_11target_archE1030ELNS1_3gpuE2ELNS1_3repE0EEENS1_30default_config_static_selectorELNS0_4arch9wavefront6targetE0EEEvSZ_.num_named_barrier, 0
	.set _ZN7rocprim17ROCPRIM_400000_NS6detail17trampoline_kernelINS0_13select_configILj256ELj13ELNS0_17block_load_methodE3ELS4_3ELS4_3ELNS0_20block_scan_algorithmE0ELj4294967295EEENS1_25partition_config_selectorILNS1_17partition_subalgoE3EjNS0_10empty_typeEbEEZZNS1_14partition_implILS8_3ELb0ES6_jNS0_17counting_iteratorIjlEEPS9_SE_NS0_5tupleIJPjSE_EEENSF_IJSE_SE_EEES9_SG_JZNS1_25segmented_radix_sort_implINS0_14default_configELb1EPK12hip_bfloat16PSL_PKlPlN2at6native12_GLOBAL__N_18offset_tEEE10hipError_tPvRmT1_PNSt15iterator_traitsISZ_E10value_typeET2_T3_PNS10_IS15_E10value_typeET4_jRbjT5_S1B_jjP12ihipStream_tbEUljE_EEESW_SX_SY_S15_S19_S1B_T6_T7_T9_mT8_S1D_bDpT10_ENKUlT_T0_E_clISt17integral_constantIbLb1EES1P_IbLb0EEEEDaS1L_S1M_EUlS1L_E_NS1_11comp_targetILNS1_3genE8ELNS1_11target_archE1030ELNS1_3gpuE2ELNS1_3repE0EEENS1_30default_config_static_selectorELNS0_4arch9wavefront6targetE0EEEvSZ_.private_seg_size, 0
	.set _ZN7rocprim17ROCPRIM_400000_NS6detail17trampoline_kernelINS0_13select_configILj256ELj13ELNS0_17block_load_methodE3ELS4_3ELS4_3ELNS0_20block_scan_algorithmE0ELj4294967295EEENS1_25partition_config_selectorILNS1_17partition_subalgoE3EjNS0_10empty_typeEbEEZZNS1_14partition_implILS8_3ELb0ES6_jNS0_17counting_iteratorIjlEEPS9_SE_NS0_5tupleIJPjSE_EEENSF_IJSE_SE_EEES9_SG_JZNS1_25segmented_radix_sort_implINS0_14default_configELb1EPK12hip_bfloat16PSL_PKlPlN2at6native12_GLOBAL__N_18offset_tEEE10hipError_tPvRmT1_PNSt15iterator_traitsISZ_E10value_typeET2_T3_PNS10_IS15_E10value_typeET4_jRbjT5_S1B_jjP12ihipStream_tbEUljE_EEESW_SX_SY_S15_S19_S1B_T6_T7_T9_mT8_S1D_bDpT10_ENKUlT_T0_E_clISt17integral_constantIbLb1EES1P_IbLb0EEEEDaS1L_S1M_EUlS1L_E_NS1_11comp_targetILNS1_3genE8ELNS1_11target_archE1030ELNS1_3gpuE2ELNS1_3repE0EEENS1_30default_config_static_selectorELNS0_4arch9wavefront6targetE0EEEvSZ_.uses_vcc, 0
	.set _ZN7rocprim17ROCPRIM_400000_NS6detail17trampoline_kernelINS0_13select_configILj256ELj13ELNS0_17block_load_methodE3ELS4_3ELS4_3ELNS0_20block_scan_algorithmE0ELj4294967295EEENS1_25partition_config_selectorILNS1_17partition_subalgoE3EjNS0_10empty_typeEbEEZZNS1_14partition_implILS8_3ELb0ES6_jNS0_17counting_iteratorIjlEEPS9_SE_NS0_5tupleIJPjSE_EEENSF_IJSE_SE_EEES9_SG_JZNS1_25segmented_radix_sort_implINS0_14default_configELb1EPK12hip_bfloat16PSL_PKlPlN2at6native12_GLOBAL__N_18offset_tEEE10hipError_tPvRmT1_PNSt15iterator_traitsISZ_E10value_typeET2_T3_PNS10_IS15_E10value_typeET4_jRbjT5_S1B_jjP12ihipStream_tbEUljE_EEESW_SX_SY_S15_S19_S1B_T6_T7_T9_mT8_S1D_bDpT10_ENKUlT_T0_E_clISt17integral_constantIbLb1EES1P_IbLb0EEEEDaS1L_S1M_EUlS1L_E_NS1_11comp_targetILNS1_3genE8ELNS1_11target_archE1030ELNS1_3gpuE2ELNS1_3repE0EEENS1_30default_config_static_selectorELNS0_4arch9wavefront6targetE0EEEvSZ_.uses_flat_scratch, 0
	.set _ZN7rocprim17ROCPRIM_400000_NS6detail17trampoline_kernelINS0_13select_configILj256ELj13ELNS0_17block_load_methodE3ELS4_3ELS4_3ELNS0_20block_scan_algorithmE0ELj4294967295EEENS1_25partition_config_selectorILNS1_17partition_subalgoE3EjNS0_10empty_typeEbEEZZNS1_14partition_implILS8_3ELb0ES6_jNS0_17counting_iteratorIjlEEPS9_SE_NS0_5tupleIJPjSE_EEENSF_IJSE_SE_EEES9_SG_JZNS1_25segmented_radix_sort_implINS0_14default_configELb1EPK12hip_bfloat16PSL_PKlPlN2at6native12_GLOBAL__N_18offset_tEEE10hipError_tPvRmT1_PNSt15iterator_traitsISZ_E10value_typeET2_T3_PNS10_IS15_E10value_typeET4_jRbjT5_S1B_jjP12ihipStream_tbEUljE_EEESW_SX_SY_S15_S19_S1B_T6_T7_T9_mT8_S1D_bDpT10_ENKUlT_T0_E_clISt17integral_constantIbLb1EES1P_IbLb0EEEEDaS1L_S1M_EUlS1L_E_NS1_11comp_targetILNS1_3genE8ELNS1_11target_archE1030ELNS1_3gpuE2ELNS1_3repE0EEENS1_30default_config_static_selectorELNS0_4arch9wavefront6targetE0EEEvSZ_.has_dyn_sized_stack, 0
	.set _ZN7rocprim17ROCPRIM_400000_NS6detail17trampoline_kernelINS0_13select_configILj256ELj13ELNS0_17block_load_methodE3ELS4_3ELS4_3ELNS0_20block_scan_algorithmE0ELj4294967295EEENS1_25partition_config_selectorILNS1_17partition_subalgoE3EjNS0_10empty_typeEbEEZZNS1_14partition_implILS8_3ELb0ES6_jNS0_17counting_iteratorIjlEEPS9_SE_NS0_5tupleIJPjSE_EEENSF_IJSE_SE_EEES9_SG_JZNS1_25segmented_radix_sort_implINS0_14default_configELb1EPK12hip_bfloat16PSL_PKlPlN2at6native12_GLOBAL__N_18offset_tEEE10hipError_tPvRmT1_PNSt15iterator_traitsISZ_E10value_typeET2_T3_PNS10_IS15_E10value_typeET4_jRbjT5_S1B_jjP12ihipStream_tbEUljE_EEESW_SX_SY_S15_S19_S1B_T6_T7_T9_mT8_S1D_bDpT10_ENKUlT_T0_E_clISt17integral_constantIbLb1EES1P_IbLb0EEEEDaS1L_S1M_EUlS1L_E_NS1_11comp_targetILNS1_3genE8ELNS1_11target_archE1030ELNS1_3gpuE2ELNS1_3repE0EEENS1_30default_config_static_selectorELNS0_4arch9wavefront6targetE0EEEvSZ_.has_recursion, 0
	.set _ZN7rocprim17ROCPRIM_400000_NS6detail17trampoline_kernelINS0_13select_configILj256ELj13ELNS0_17block_load_methodE3ELS4_3ELS4_3ELNS0_20block_scan_algorithmE0ELj4294967295EEENS1_25partition_config_selectorILNS1_17partition_subalgoE3EjNS0_10empty_typeEbEEZZNS1_14partition_implILS8_3ELb0ES6_jNS0_17counting_iteratorIjlEEPS9_SE_NS0_5tupleIJPjSE_EEENSF_IJSE_SE_EEES9_SG_JZNS1_25segmented_radix_sort_implINS0_14default_configELb1EPK12hip_bfloat16PSL_PKlPlN2at6native12_GLOBAL__N_18offset_tEEE10hipError_tPvRmT1_PNSt15iterator_traitsISZ_E10value_typeET2_T3_PNS10_IS15_E10value_typeET4_jRbjT5_S1B_jjP12ihipStream_tbEUljE_EEESW_SX_SY_S15_S19_S1B_T6_T7_T9_mT8_S1D_bDpT10_ENKUlT_T0_E_clISt17integral_constantIbLb1EES1P_IbLb0EEEEDaS1L_S1M_EUlS1L_E_NS1_11comp_targetILNS1_3genE8ELNS1_11target_archE1030ELNS1_3gpuE2ELNS1_3repE0EEENS1_30default_config_static_selectorELNS0_4arch9wavefront6targetE0EEEvSZ_.has_indirect_call, 0
	.section	.AMDGPU.csdata,"",@progbits
; Kernel info:
; codeLenInByte = 0
; TotalNumSgprs: 0
; NumVgprs: 0
; ScratchSize: 0
; MemoryBound: 0
; FloatMode: 240
; IeeeMode: 1
; LDSByteSize: 0 bytes/workgroup (compile time only)
; SGPRBlocks: 0
; VGPRBlocks: 0
; NumSGPRsForWavesPerEU: 1
; NumVGPRsForWavesPerEU: 1
; Occupancy: 16
; WaveLimiterHint : 0
; COMPUTE_PGM_RSRC2:SCRATCH_EN: 0
; COMPUTE_PGM_RSRC2:USER_SGPR: 2
; COMPUTE_PGM_RSRC2:TRAP_HANDLER: 0
; COMPUTE_PGM_RSRC2:TGID_X_EN: 1
; COMPUTE_PGM_RSRC2:TGID_Y_EN: 0
; COMPUTE_PGM_RSRC2:TGID_Z_EN: 0
; COMPUTE_PGM_RSRC2:TIDIG_COMP_CNT: 0
	.section	.text._ZN7rocprim17ROCPRIM_400000_NS6detail17trampoline_kernelINS0_13select_configILj256ELj13ELNS0_17block_load_methodE3ELS4_3ELS4_3ELNS0_20block_scan_algorithmE0ELj4294967295EEENS1_25partition_config_selectorILNS1_17partition_subalgoE3EjNS0_10empty_typeEbEEZZNS1_14partition_implILS8_3ELb0ES6_jNS0_17counting_iteratorIjlEEPS9_SE_NS0_5tupleIJPjSE_EEENSF_IJSE_SE_EEES9_SG_JZNS1_25segmented_radix_sort_implINS0_14default_configELb1EPK12hip_bfloat16PSL_PKlPlN2at6native12_GLOBAL__N_18offset_tEEE10hipError_tPvRmT1_PNSt15iterator_traitsISZ_E10value_typeET2_T3_PNS10_IS15_E10value_typeET4_jRbjT5_S1B_jjP12ihipStream_tbEUljE_EEESW_SX_SY_S15_S19_S1B_T6_T7_T9_mT8_S1D_bDpT10_ENKUlT_T0_E_clISt17integral_constantIbLb0EES1P_IbLb1EEEEDaS1L_S1M_EUlS1L_E_NS1_11comp_targetILNS1_3genE0ELNS1_11target_archE4294967295ELNS1_3gpuE0ELNS1_3repE0EEENS1_30default_config_static_selectorELNS0_4arch9wavefront6targetE0EEEvSZ_,"axG",@progbits,_ZN7rocprim17ROCPRIM_400000_NS6detail17trampoline_kernelINS0_13select_configILj256ELj13ELNS0_17block_load_methodE3ELS4_3ELS4_3ELNS0_20block_scan_algorithmE0ELj4294967295EEENS1_25partition_config_selectorILNS1_17partition_subalgoE3EjNS0_10empty_typeEbEEZZNS1_14partition_implILS8_3ELb0ES6_jNS0_17counting_iteratorIjlEEPS9_SE_NS0_5tupleIJPjSE_EEENSF_IJSE_SE_EEES9_SG_JZNS1_25segmented_radix_sort_implINS0_14default_configELb1EPK12hip_bfloat16PSL_PKlPlN2at6native12_GLOBAL__N_18offset_tEEE10hipError_tPvRmT1_PNSt15iterator_traitsISZ_E10value_typeET2_T3_PNS10_IS15_E10value_typeET4_jRbjT5_S1B_jjP12ihipStream_tbEUljE_EEESW_SX_SY_S15_S19_S1B_T6_T7_T9_mT8_S1D_bDpT10_ENKUlT_T0_E_clISt17integral_constantIbLb0EES1P_IbLb1EEEEDaS1L_S1M_EUlS1L_E_NS1_11comp_targetILNS1_3genE0ELNS1_11target_archE4294967295ELNS1_3gpuE0ELNS1_3repE0EEENS1_30default_config_static_selectorELNS0_4arch9wavefront6targetE0EEEvSZ_,comdat
	.globl	_ZN7rocprim17ROCPRIM_400000_NS6detail17trampoline_kernelINS0_13select_configILj256ELj13ELNS0_17block_load_methodE3ELS4_3ELS4_3ELNS0_20block_scan_algorithmE0ELj4294967295EEENS1_25partition_config_selectorILNS1_17partition_subalgoE3EjNS0_10empty_typeEbEEZZNS1_14partition_implILS8_3ELb0ES6_jNS0_17counting_iteratorIjlEEPS9_SE_NS0_5tupleIJPjSE_EEENSF_IJSE_SE_EEES9_SG_JZNS1_25segmented_radix_sort_implINS0_14default_configELb1EPK12hip_bfloat16PSL_PKlPlN2at6native12_GLOBAL__N_18offset_tEEE10hipError_tPvRmT1_PNSt15iterator_traitsISZ_E10value_typeET2_T3_PNS10_IS15_E10value_typeET4_jRbjT5_S1B_jjP12ihipStream_tbEUljE_EEESW_SX_SY_S15_S19_S1B_T6_T7_T9_mT8_S1D_bDpT10_ENKUlT_T0_E_clISt17integral_constantIbLb0EES1P_IbLb1EEEEDaS1L_S1M_EUlS1L_E_NS1_11comp_targetILNS1_3genE0ELNS1_11target_archE4294967295ELNS1_3gpuE0ELNS1_3repE0EEENS1_30default_config_static_selectorELNS0_4arch9wavefront6targetE0EEEvSZ_ ; -- Begin function _ZN7rocprim17ROCPRIM_400000_NS6detail17trampoline_kernelINS0_13select_configILj256ELj13ELNS0_17block_load_methodE3ELS4_3ELS4_3ELNS0_20block_scan_algorithmE0ELj4294967295EEENS1_25partition_config_selectorILNS1_17partition_subalgoE3EjNS0_10empty_typeEbEEZZNS1_14partition_implILS8_3ELb0ES6_jNS0_17counting_iteratorIjlEEPS9_SE_NS0_5tupleIJPjSE_EEENSF_IJSE_SE_EEES9_SG_JZNS1_25segmented_radix_sort_implINS0_14default_configELb1EPK12hip_bfloat16PSL_PKlPlN2at6native12_GLOBAL__N_18offset_tEEE10hipError_tPvRmT1_PNSt15iterator_traitsISZ_E10value_typeET2_T3_PNS10_IS15_E10value_typeET4_jRbjT5_S1B_jjP12ihipStream_tbEUljE_EEESW_SX_SY_S15_S19_S1B_T6_T7_T9_mT8_S1D_bDpT10_ENKUlT_T0_E_clISt17integral_constantIbLb0EES1P_IbLb1EEEEDaS1L_S1M_EUlS1L_E_NS1_11comp_targetILNS1_3genE0ELNS1_11target_archE4294967295ELNS1_3gpuE0ELNS1_3repE0EEENS1_30default_config_static_selectorELNS0_4arch9wavefront6targetE0EEEvSZ_
	.p2align	8
	.type	_ZN7rocprim17ROCPRIM_400000_NS6detail17trampoline_kernelINS0_13select_configILj256ELj13ELNS0_17block_load_methodE3ELS4_3ELS4_3ELNS0_20block_scan_algorithmE0ELj4294967295EEENS1_25partition_config_selectorILNS1_17partition_subalgoE3EjNS0_10empty_typeEbEEZZNS1_14partition_implILS8_3ELb0ES6_jNS0_17counting_iteratorIjlEEPS9_SE_NS0_5tupleIJPjSE_EEENSF_IJSE_SE_EEES9_SG_JZNS1_25segmented_radix_sort_implINS0_14default_configELb1EPK12hip_bfloat16PSL_PKlPlN2at6native12_GLOBAL__N_18offset_tEEE10hipError_tPvRmT1_PNSt15iterator_traitsISZ_E10value_typeET2_T3_PNS10_IS15_E10value_typeET4_jRbjT5_S1B_jjP12ihipStream_tbEUljE_EEESW_SX_SY_S15_S19_S1B_T6_T7_T9_mT8_S1D_bDpT10_ENKUlT_T0_E_clISt17integral_constantIbLb0EES1P_IbLb1EEEEDaS1L_S1M_EUlS1L_E_NS1_11comp_targetILNS1_3genE0ELNS1_11target_archE4294967295ELNS1_3gpuE0ELNS1_3repE0EEENS1_30default_config_static_selectorELNS0_4arch9wavefront6targetE0EEEvSZ_,@function
_ZN7rocprim17ROCPRIM_400000_NS6detail17trampoline_kernelINS0_13select_configILj256ELj13ELNS0_17block_load_methodE3ELS4_3ELS4_3ELNS0_20block_scan_algorithmE0ELj4294967295EEENS1_25partition_config_selectorILNS1_17partition_subalgoE3EjNS0_10empty_typeEbEEZZNS1_14partition_implILS8_3ELb0ES6_jNS0_17counting_iteratorIjlEEPS9_SE_NS0_5tupleIJPjSE_EEENSF_IJSE_SE_EEES9_SG_JZNS1_25segmented_radix_sort_implINS0_14default_configELb1EPK12hip_bfloat16PSL_PKlPlN2at6native12_GLOBAL__N_18offset_tEEE10hipError_tPvRmT1_PNSt15iterator_traitsISZ_E10value_typeET2_T3_PNS10_IS15_E10value_typeET4_jRbjT5_S1B_jjP12ihipStream_tbEUljE_EEESW_SX_SY_S15_S19_S1B_T6_T7_T9_mT8_S1D_bDpT10_ENKUlT_T0_E_clISt17integral_constantIbLb0EES1P_IbLb1EEEEDaS1L_S1M_EUlS1L_E_NS1_11comp_targetILNS1_3genE0ELNS1_11target_archE4294967295ELNS1_3gpuE0ELNS1_3repE0EEENS1_30default_config_static_selectorELNS0_4arch9wavefront6targetE0EEEvSZ_: ; @_ZN7rocprim17ROCPRIM_400000_NS6detail17trampoline_kernelINS0_13select_configILj256ELj13ELNS0_17block_load_methodE3ELS4_3ELS4_3ELNS0_20block_scan_algorithmE0ELj4294967295EEENS1_25partition_config_selectorILNS1_17partition_subalgoE3EjNS0_10empty_typeEbEEZZNS1_14partition_implILS8_3ELb0ES6_jNS0_17counting_iteratorIjlEEPS9_SE_NS0_5tupleIJPjSE_EEENSF_IJSE_SE_EEES9_SG_JZNS1_25segmented_radix_sort_implINS0_14default_configELb1EPK12hip_bfloat16PSL_PKlPlN2at6native12_GLOBAL__N_18offset_tEEE10hipError_tPvRmT1_PNSt15iterator_traitsISZ_E10value_typeET2_T3_PNS10_IS15_E10value_typeET4_jRbjT5_S1B_jjP12ihipStream_tbEUljE_EEESW_SX_SY_S15_S19_S1B_T6_T7_T9_mT8_S1D_bDpT10_ENKUlT_T0_E_clISt17integral_constantIbLb0EES1P_IbLb1EEEEDaS1L_S1M_EUlS1L_E_NS1_11comp_targetILNS1_3genE0ELNS1_11target_archE4294967295ELNS1_3gpuE0ELNS1_3repE0EEENS1_30default_config_static_selectorELNS0_4arch9wavefront6targetE0EEEvSZ_
; %bb.0:
	.section	.rodata,"a",@progbits
	.p2align	6, 0x0
	.amdhsa_kernel _ZN7rocprim17ROCPRIM_400000_NS6detail17trampoline_kernelINS0_13select_configILj256ELj13ELNS0_17block_load_methodE3ELS4_3ELS4_3ELNS0_20block_scan_algorithmE0ELj4294967295EEENS1_25partition_config_selectorILNS1_17partition_subalgoE3EjNS0_10empty_typeEbEEZZNS1_14partition_implILS8_3ELb0ES6_jNS0_17counting_iteratorIjlEEPS9_SE_NS0_5tupleIJPjSE_EEENSF_IJSE_SE_EEES9_SG_JZNS1_25segmented_radix_sort_implINS0_14default_configELb1EPK12hip_bfloat16PSL_PKlPlN2at6native12_GLOBAL__N_18offset_tEEE10hipError_tPvRmT1_PNSt15iterator_traitsISZ_E10value_typeET2_T3_PNS10_IS15_E10value_typeET4_jRbjT5_S1B_jjP12ihipStream_tbEUljE_EEESW_SX_SY_S15_S19_S1B_T6_T7_T9_mT8_S1D_bDpT10_ENKUlT_T0_E_clISt17integral_constantIbLb0EES1P_IbLb1EEEEDaS1L_S1M_EUlS1L_E_NS1_11comp_targetILNS1_3genE0ELNS1_11target_archE4294967295ELNS1_3gpuE0ELNS1_3repE0EEENS1_30default_config_static_selectorELNS0_4arch9wavefront6targetE0EEEvSZ_
		.amdhsa_group_segment_fixed_size 0
		.amdhsa_private_segment_fixed_size 0
		.amdhsa_kernarg_size 152
		.amdhsa_user_sgpr_count 2
		.amdhsa_user_sgpr_dispatch_ptr 0
		.amdhsa_user_sgpr_queue_ptr 0
		.amdhsa_user_sgpr_kernarg_segment_ptr 1
		.amdhsa_user_sgpr_dispatch_id 0
		.amdhsa_user_sgpr_private_segment_size 0
		.amdhsa_wavefront_size32 1
		.amdhsa_uses_dynamic_stack 0
		.amdhsa_enable_private_segment 0
		.amdhsa_system_sgpr_workgroup_id_x 1
		.amdhsa_system_sgpr_workgroup_id_y 0
		.amdhsa_system_sgpr_workgroup_id_z 0
		.amdhsa_system_sgpr_workgroup_info 0
		.amdhsa_system_vgpr_workitem_id 0
		.amdhsa_next_free_vgpr 1
		.amdhsa_next_free_sgpr 1
		.amdhsa_reserve_vcc 0
		.amdhsa_float_round_mode_32 0
		.amdhsa_float_round_mode_16_64 0
		.amdhsa_float_denorm_mode_32 3
		.amdhsa_float_denorm_mode_16_64 3
		.amdhsa_fp16_overflow 0
		.amdhsa_workgroup_processor_mode 1
		.amdhsa_memory_ordered 1
		.amdhsa_forward_progress 1
		.amdhsa_inst_pref_size 0
		.amdhsa_round_robin_scheduling 0
		.amdhsa_exception_fp_ieee_invalid_op 0
		.amdhsa_exception_fp_denorm_src 0
		.amdhsa_exception_fp_ieee_div_zero 0
		.amdhsa_exception_fp_ieee_overflow 0
		.amdhsa_exception_fp_ieee_underflow 0
		.amdhsa_exception_fp_ieee_inexact 0
		.amdhsa_exception_int_div_zero 0
	.end_amdhsa_kernel
	.section	.text._ZN7rocprim17ROCPRIM_400000_NS6detail17trampoline_kernelINS0_13select_configILj256ELj13ELNS0_17block_load_methodE3ELS4_3ELS4_3ELNS0_20block_scan_algorithmE0ELj4294967295EEENS1_25partition_config_selectorILNS1_17partition_subalgoE3EjNS0_10empty_typeEbEEZZNS1_14partition_implILS8_3ELb0ES6_jNS0_17counting_iteratorIjlEEPS9_SE_NS0_5tupleIJPjSE_EEENSF_IJSE_SE_EEES9_SG_JZNS1_25segmented_radix_sort_implINS0_14default_configELb1EPK12hip_bfloat16PSL_PKlPlN2at6native12_GLOBAL__N_18offset_tEEE10hipError_tPvRmT1_PNSt15iterator_traitsISZ_E10value_typeET2_T3_PNS10_IS15_E10value_typeET4_jRbjT5_S1B_jjP12ihipStream_tbEUljE_EEESW_SX_SY_S15_S19_S1B_T6_T7_T9_mT8_S1D_bDpT10_ENKUlT_T0_E_clISt17integral_constantIbLb0EES1P_IbLb1EEEEDaS1L_S1M_EUlS1L_E_NS1_11comp_targetILNS1_3genE0ELNS1_11target_archE4294967295ELNS1_3gpuE0ELNS1_3repE0EEENS1_30default_config_static_selectorELNS0_4arch9wavefront6targetE0EEEvSZ_,"axG",@progbits,_ZN7rocprim17ROCPRIM_400000_NS6detail17trampoline_kernelINS0_13select_configILj256ELj13ELNS0_17block_load_methodE3ELS4_3ELS4_3ELNS0_20block_scan_algorithmE0ELj4294967295EEENS1_25partition_config_selectorILNS1_17partition_subalgoE3EjNS0_10empty_typeEbEEZZNS1_14partition_implILS8_3ELb0ES6_jNS0_17counting_iteratorIjlEEPS9_SE_NS0_5tupleIJPjSE_EEENSF_IJSE_SE_EEES9_SG_JZNS1_25segmented_radix_sort_implINS0_14default_configELb1EPK12hip_bfloat16PSL_PKlPlN2at6native12_GLOBAL__N_18offset_tEEE10hipError_tPvRmT1_PNSt15iterator_traitsISZ_E10value_typeET2_T3_PNS10_IS15_E10value_typeET4_jRbjT5_S1B_jjP12ihipStream_tbEUljE_EEESW_SX_SY_S15_S19_S1B_T6_T7_T9_mT8_S1D_bDpT10_ENKUlT_T0_E_clISt17integral_constantIbLb0EES1P_IbLb1EEEEDaS1L_S1M_EUlS1L_E_NS1_11comp_targetILNS1_3genE0ELNS1_11target_archE4294967295ELNS1_3gpuE0ELNS1_3repE0EEENS1_30default_config_static_selectorELNS0_4arch9wavefront6targetE0EEEvSZ_,comdat
.Lfunc_end1938:
	.size	_ZN7rocprim17ROCPRIM_400000_NS6detail17trampoline_kernelINS0_13select_configILj256ELj13ELNS0_17block_load_methodE3ELS4_3ELS4_3ELNS0_20block_scan_algorithmE0ELj4294967295EEENS1_25partition_config_selectorILNS1_17partition_subalgoE3EjNS0_10empty_typeEbEEZZNS1_14partition_implILS8_3ELb0ES6_jNS0_17counting_iteratorIjlEEPS9_SE_NS0_5tupleIJPjSE_EEENSF_IJSE_SE_EEES9_SG_JZNS1_25segmented_radix_sort_implINS0_14default_configELb1EPK12hip_bfloat16PSL_PKlPlN2at6native12_GLOBAL__N_18offset_tEEE10hipError_tPvRmT1_PNSt15iterator_traitsISZ_E10value_typeET2_T3_PNS10_IS15_E10value_typeET4_jRbjT5_S1B_jjP12ihipStream_tbEUljE_EEESW_SX_SY_S15_S19_S1B_T6_T7_T9_mT8_S1D_bDpT10_ENKUlT_T0_E_clISt17integral_constantIbLb0EES1P_IbLb1EEEEDaS1L_S1M_EUlS1L_E_NS1_11comp_targetILNS1_3genE0ELNS1_11target_archE4294967295ELNS1_3gpuE0ELNS1_3repE0EEENS1_30default_config_static_selectorELNS0_4arch9wavefront6targetE0EEEvSZ_, .Lfunc_end1938-_ZN7rocprim17ROCPRIM_400000_NS6detail17trampoline_kernelINS0_13select_configILj256ELj13ELNS0_17block_load_methodE3ELS4_3ELS4_3ELNS0_20block_scan_algorithmE0ELj4294967295EEENS1_25partition_config_selectorILNS1_17partition_subalgoE3EjNS0_10empty_typeEbEEZZNS1_14partition_implILS8_3ELb0ES6_jNS0_17counting_iteratorIjlEEPS9_SE_NS0_5tupleIJPjSE_EEENSF_IJSE_SE_EEES9_SG_JZNS1_25segmented_radix_sort_implINS0_14default_configELb1EPK12hip_bfloat16PSL_PKlPlN2at6native12_GLOBAL__N_18offset_tEEE10hipError_tPvRmT1_PNSt15iterator_traitsISZ_E10value_typeET2_T3_PNS10_IS15_E10value_typeET4_jRbjT5_S1B_jjP12ihipStream_tbEUljE_EEESW_SX_SY_S15_S19_S1B_T6_T7_T9_mT8_S1D_bDpT10_ENKUlT_T0_E_clISt17integral_constantIbLb0EES1P_IbLb1EEEEDaS1L_S1M_EUlS1L_E_NS1_11comp_targetILNS1_3genE0ELNS1_11target_archE4294967295ELNS1_3gpuE0ELNS1_3repE0EEENS1_30default_config_static_selectorELNS0_4arch9wavefront6targetE0EEEvSZ_
                                        ; -- End function
	.set _ZN7rocprim17ROCPRIM_400000_NS6detail17trampoline_kernelINS0_13select_configILj256ELj13ELNS0_17block_load_methodE3ELS4_3ELS4_3ELNS0_20block_scan_algorithmE0ELj4294967295EEENS1_25partition_config_selectorILNS1_17partition_subalgoE3EjNS0_10empty_typeEbEEZZNS1_14partition_implILS8_3ELb0ES6_jNS0_17counting_iteratorIjlEEPS9_SE_NS0_5tupleIJPjSE_EEENSF_IJSE_SE_EEES9_SG_JZNS1_25segmented_radix_sort_implINS0_14default_configELb1EPK12hip_bfloat16PSL_PKlPlN2at6native12_GLOBAL__N_18offset_tEEE10hipError_tPvRmT1_PNSt15iterator_traitsISZ_E10value_typeET2_T3_PNS10_IS15_E10value_typeET4_jRbjT5_S1B_jjP12ihipStream_tbEUljE_EEESW_SX_SY_S15_S19_S1B_T6_T7_T9_mT8_S1D_bDpT10_ENKUlT_T0_E_clISt17integral_constantIbLb0EES1P_IbLb1EEEEDaS1L_S1M_EUlS1L_E_NS1_11comp_targetILNS1_3genE0ELNS1_11target_archE4294967295ELNS1_3gpuE0ELNS1_3repE0EEENS1_30default_config_static_selectorELNS0_4arch9wavefront6targetE0EEEvSZ_.num_vgpr, 0
	.set _ZN7rocprim17ROCPRIM_400000_NS6detail17trampoline_kernelINS0_13select_configILj256ELj13ELNS0_17block_load_methodE3ELS4_3ELS4_3ELNS0_20block_scan_algorithmE0ELj4294967295EEENS1_25partition_config_selectorILNS1_17partition_subalgoE3EjNS0_10empty_typeEbEEZZNS1_14partition_implILS8_3ELb0ES6_jNS0_17counting_iteratorIjlEEPS9_SE_NS0_5tupleIJPjSE_EEENSF_IJSE_SE_EEES9_SG_JZNS1_25segmented_radix_sort_implINS0_14default_configELb1EPK12hip_bfloat16PSL_PKlPlN2at6native12_GLOBAL__N_18offset_tEEE10hipError_tPvRmT1_PNSt15iterator_traitsISZ_E10value_typeET2_T3_PNS10_IS15_E10value_typeET4_jRbjT5_S1B_jjP12ihipStream_tbEUljE_EEESW_SX_SY_S15_S19_S1B_T6_T7_T9_mT8_S1D_bDpT10_ENKUlT_T0_E_clISt17integral_constantIbLb0EES1P_IbLb1EEEEDaS1L_S1M_EUlS1L_E_NS1_11comp_targetILNS1_3genE0ELNS1_11target_archE4294967295ELNS1_3gpuE0ELNS1_3repE0EEENS1_30default_config_static_selectorELNS0_4arch9wavefront6targetE0EEEvSZ_.num_agpr, 0
	.set _ZN7rocprim17ROCPRIM_400000_NS6detail17trampoline_kernelINS0_13select_configILj256ELj13ELNS0_17block_load_methodE3ELS4_3ELS4_3ELNS0_20block_scan_algorithmE0ELj4294967295EEENS1_25partition_config_selectorILNS1_17partition_subalgoE3EjNS0_10empty_typeEbEEZZNS1_14partition_implILS8_3ELb0ES6_jNS0_17counting_iteratorIjlEEPS9_SE_NS0_5tupleIJPjSE_EEENSF_IJSE_SE_EEES9_SG_JZNS1_25segmented_radix_sort_implINS0_14default_configELb1EPK12hip_bfloat16PSL_PKlPlN2at6native12_GLOBAL__N_18offset_tEEE10hipError_tPvRmT1_PNSt15iterator_traitsISZ_E10value_typeET2_T3_PNS10_IS15_E10value_typeET4_jRbjT5_S1B_jjP12ihipStream_tbEUljE_EEESW_SX_SY_S15_S19_S1B_T6_T7_T9_mT8_S1D_bDpT10_ENKUlT_T0_E_clISt17integral_constantIbLb0EES1P_IbLb1EEEEDaS1L_S1M_EUlS1L_E_NS1_11comp_targetILNS1_3genE0ELNS1_11target_archE4294967295ELNS1_3gpuE0ELNS1_3repE0EEENS1_30default_config_static_selectorELNS0_4arch9wavefront6targetE0EEEvSZ_.numbered_sgpr, 0
	.set _ZN7rocprim17ROCPRIM_400000_NS6detail17trampoline_kernelINS0_13select_configILj256ELj13ELNS0_17block_load_methodE3ELS4_3ELS4_3ELNS0_20block_scan_algorithmE0ELj4294967295EEENS1_25partition_config_selectorILNS1_17partition_subalgoE3EjNS0_10empty_typeEbEEZZNS1_14partition_implILS8_3ELb0ES6_jNS0_17counting_iteratorIjlEEPS9_SE_NS0_5tupleIJPjSE_EEENSF_IJSE_SE_EEES9_SG_JZNS1_25segmented_radix_sort_implINS0_14default_configELb1EPK12hip_bfloat16PSL_PKlPlN2at6native12_GLOBAL__N_18offset_tEEE10hipError_tPvRmT1_PNSt15iterator_traitsISZ_E10value_typeET2_T3_PNS10_IS15_E10value_typeET4_jRbjT5_S1B_jjP12ihipStream_tbEUljE_EEESW_SX_SY_S15_S19_S1B_T6_T7_T9_mT8_S1D_bDpT10_ENKUlT_T0_E_clISt17integral_constantIbLb0EES1P_IbLb1EEEEDaS1L_S1M_EUlS1L_E_NS1_11comp_targetILNS1_3genE0ELNS1_11target_archE4294967295ELNS1_3gpuE0ELNS1_3repE0EEENS1_30default_config_static_selectorELNS0_4arch9wavefront6targetE0EEEvSZ_.num_named_barrier, 0
	.set _ZN7rocprim17ROCPRIM_400000_NS6detail17trampoline_kernelINS0_13select_configILj256ELj13ELNS0_17block_load_methodE3ELS4_3ELS4_3ELNS0_20block_scan_algorithmE0ELj4294967295EEENS1_25partition_config_selectorILNS1_17partition_subalgoE3EjNS0_10empty_typeEbEEZZNS1_14partition_implILS8_3ELb0ES6_jNS0_17counting_iteratorIjlEEPS9_SE_NS0_5tupleIJPjSE_EEENSF_IJSE_SE_EEES9_SG_JZNS1_25segmented_radix_sort_implINS0_14default_configELb1EPK12hip_bfloat16PSL_PKlPlN2at6native12_GLOBAL__N_18offset_tEEE10hipError_tPvRmT1_PNSt15iterator_traitsISZ_E10value_typeET2_T3_PNS10_IS15_E10value_typeET4_jRbjT5_S1B_jjP12ihipStream_tbEUljE_EEESW_SX_SY_S15_S19_S1B_T6_T7_T9_mT8_S1D_bDpT10_ENKUlT_T0_E_clISt17integral_constantIbLb0EES1P_IbLb1EEEEDaS1L_S1M_EUlS1L_E_NS1_11comp_targetILNS1_3genE0ELNS1_11target_archE4294967295ELNS1_3gpuE0ELNS1_3repE0EEENS1_30default_config_static_selectorELNS0_4arch9wavefront6targetE0EEEvSZ_.private_seg_size, 0
	.set _ZN7rocprim17ROCPRIM_400000_NS6detail17trampoline_kernelINS0_13select_configILj256ELj13ELNS0_17block_load_methodE3ELS4_3ELS4_3ELNS0_20block_scan_algorithmE0ELj4294967295EEENS1_25partition_config_selectorILNS1_17partition_subalgoE3EjNS0_10empty_typeEbEEZZNS1_14partition_implILS8_3ELb0ES6_jNS0_17counting_iteratorIjlEEPS9_SE_NS0_5tupleIJPjSE_EEENSF_IJSE_SE_EEES9_SG_JZNS1_25segmented_radix_sort_implINS0_14default_configELb1EPK12hip_bfloat16PSL_PKlPlN2at6native12_GLOBAL__N_18offset_tEEE10hipError_tPvRmT1_PNSt15iterator_traitsISZ_E10value_typeET2_T3_PNS10_IS15_E10value_typeET4_jRbjT5_S1B_jjP12ihipStream_tbEUljE_EEESW_SX_SY_S15_S19_S1B_T6_T7_T9_mT8_S1D_bDpT10_ENKUlT_T0_E_clISt17integral_constantIbLb0EES1P_IbLb1EEEEDaS1L_S1M_EUlS1L_E_NS1_11comp_targetILNS1_3genE0ELNS1_11target_archE4294967295ELNS1_3gpuE0ELNS1_3repE0EEENS1_30default_config_static_selectorELNS0_4arch9wavefront6targetE0EEEvSZ_.uses_vcc, 0
	.set _ZN7rocprim17ROCPRIM_400000_NS6detail17trampoline_kernelINS0_13select_configILj256ELj13ELNS0_17block_load_methodE3ELS4_3ELS4_3ELNS0_20block_scan_algorithmE0ELj4294967295EEENS1_25partition_config_selectorILNS1_17partition_subalgoE3EjNS0_10empty_typeEbEEZZNS1_14partition_implILS8_3ELb0ES6_jNS0_17counting_iteratorIjlEEPS9_SE_NS0_5tupleIJPjSE_EEENSF_IJSE_SE_EEES9_SG_JZNS1_25segmented_radix_sort_implINS0_14default_configELb1EPK12hip_bfloat16PSL_PKlPlN2at6native12_GLOBAL__N_18offset_tEEE10hipError_tPvRmT1_PNSt15iterator_traitsISZ_E10value_typeET2_T3_PNS10_IS15_E10value_typeET4_jRbjT5_S1B_jjP12ihipStream_tbEUljE_EEESW_SX_SY_S15_S19_S1B_T6_T7_T9_mT8_S1D_bDpT10_ENKUlT_T0_E_clISt17integral_constantIbLb0EES1P_IbLb1EEEEDaS1L_S1M_EUlS1L_E_NS1_11comp_targetILNS1_3genE0ELNS1_11target_archE4294967295ELNS1_3gpuE0ELNS1_3repE0EEENS1_30default_config_static_selectorELNS0_4arch9wavefront6targetE0EEEvSZ_.uses_flat_scratch, 0
	.set _ZN7rocprim17ROCPRIM_400000_NS6detail17trampoline_kernelINS0_13select_configILj256ELj13ELNS0_17block_load_methodE3ELS4_3ELS4_3ELNS0_20block_scan_algorithmE0ELj4294967295EEENS1_25partition_config_selectorILNS1_17partition_subalgoE3EjNS0_10empty_typeEbEEZZNS1_14partition_implILS8_3ELb0ES6_jNS0_17counting_iteratorIjlEEPS9_SE_NS0_5tupleIJPjSE_EEENSF_IJSE_SE_EEES9_SG_JZNS1_25segmented_radix_sort_implINS0_14default_configELb1EPK12hip_bfloat16PSL_PKlPlN2at6native12_GLOBAL__N_18offset_tEEE10hipError_tPvRmT1_PNSt15iterator_traitsISZ_E10value_typeET2_T3_PNS10_IS15_E10value_typeET4_jRbjT5_S1B_jjP12ihipStream_tbEUljE_EEESW_SX_SY_S15_S19_S1B_T6_T7_T9_mT8_S1D_bDpT10_ENKUlT_T0_E_clISt17integral_constantIbLb0EES1P_IbLb1EEEEDaS1L_S1M_EUlS1L_E_NS1_11comp_targetILNS1_3genE0ELNS1_11target_archE4294967295ELNS1_3gpuE0ELNS1_3repE0EEENS1_30default_config_static_selectorELNS0_4arch9wavefront6targetE0EEEvSZ_.has_dyn_sized_stack, 0
	.set _ZN7rocprim17ROCPRIM_400000_NS6detail17trampoline_kernelINS0_13select_configILj256ELj13ELNS0_17block_load_methodE3ELS4_3ELS4_3ELNS0_20block_scan_algorithmE0ELj4294967295EEENS1_25partition_config_selectorILNS1_17partition_subalgoE3EjNS0_10empty_typeEbEEZZNS1_14partition_implILS8_3ELb0ES6_jNS0_17counting_iteratorIjlEEPS9_SE_NS0_5tupleIJPjSE_EEENSF_IJSE_SE_EEES9_SG_JZNS1_25segmented_radix_sort_implINS0_14default_configELb1EPK12hip_bfloat16PSL_PKlPlN2at6native12_GLOBAL__N_18offset_tEEE10hipError_tPvRmT1_PNSt15iterator_traitsISZ_E10value_typeET2_T3_PNS10_IS15_E10value_typeET4_jRbjT5_S1B_jjP12ihipStream_tbEUljE_EEESW_SX_SY_S15_S19_S1B_T6_T7_T9_mT8_S1D_bDpT10_ENKUlT_T0_E_clISt17integral_constantIbLb0EES1P_IbLb1EEEEDaS1L_S1M_EUlS1L_E_NS1_11comp_targetILNS1_3genE0ELNS1_11target_archE4294967295ELNS1_3gpuE0ELNS1_3repE0EEENS1_30default_config_static_selectorELNS0_4arch9wavefront6targetE0EEEvSZ_.has_recursion, 0
	.set _ZN7rocprim17ROCPRIM_400000_NS6detail17trampoline_kernelINS0_13select_configILj256ELj13ELNS0_17block_load_methodE3ELS4_3ELS4_3ELNS0_20block_scan_algorithmE0ELj4294967295EEENS1_25partition_config_selectorILNS1_17partition_subalgoE3EjNS0_10empty_typeEbEEZZNS1_14partition_implILS8_3ELb0ES6_jNS0_17counting_iteratorIjlEEPS9_SE_NS0_5tupleIJPjSE_EEENSF_IJSE_SE_EEES9_SG_JZNS1_25segmented_radix_sort_implINS0_14default_configELb1EPK12hip_bfloat16PSL_PKlPlN2at6native12_GLOBAL__N_18offset_tEEE10hipError_tPvRmT1_PNSt15iterator_traitsISZ_E10value_typeET2_T3_PNS10_IS15_E10value_typeET4_jRbjT5_S1B_jjP12ihipStream_tbEUljE_EEESW_SX_SY_S15_S19_S1B_T6_T7_T9_mT8_S1D_bDpT10_ENKUlT_T0_E_clISt17integral_constantIbLb0EES1P_IbLb1EEEEDaS1L_S1M_EUlS1L_E_NS1_11comp_targetILNS1_3genE0ELNS1_11target_archE4294967295ELNS1_3gpuE0ELNS1_3repE0EEENS1_30default_config_static_selectorELNS0_4arch9wavefront6targetE0EEEvSZ_.has_indirect_call, 0
	.section	.AMDGPU.csdata,"",@progbits
; Kernel info:
; codeLenInByte = 0
; TotalNumSgprs: 0
; NumVgprs: 0
; ScratchSize: 0
; MemoryBound: 0
; FloatMode: 240
; IeeeMode: 1
; LDSByteSize: 0 bytes/workgroup (compile time only)
; SGPRBlocks: 0
; VGPRBlocks: 0
; NumSGPRsForWavesPerEU: 1
; NumVGPRsForWavesPerEU: 1
; Occupancy: 16
; WaveLimiterHint : 0
; COMPUTE_PGM_RSRC2:SCRATCH_EN: 0
; COMPUTE_PGM_RSRC2:USER_SGPR: 2
; COMPUTE_PGM_RSRC2:TRAP_HANDLER: 0
; COMPUTE_PGM_RSRC2:TGID_X_EN: 1
; COMPUTE_PGM_RSRC2:TGID_Y_EN: 0
; COMPUTE_PGM_RSRC2:TGID_Z_EN: 0
; COMPUTE_PGM_RSRC2:TIDIG_COMP_CNT: 0
	.section	.text._ZN7rocprim17ROCPRIM_400000_NS6detail17trampoline_kernelINS0_13select_configILj256ELj13ELNS0_17block_load_methodE3ELS4_3ELS4_3ELNS0_20block_scan_algorithmE0ELj4294967295EEENS1_25partition_config_selectorILNS1_17partition_subalgoE3EjNS0_10empty_typeEbEEZZNS1_14partition_implILS8_3ELb0ES6_jNS0_17counting_iteratorIjlEEPS9_SE_NS0_5tupleIJPjSE_EEENSF_IJSE_SE_EEES9_SG_JZNS1_25segmented_radix_sort_implINS0_14default_configELb1EPK12hip_bfloat16PSL_PKlPlN2at6native12_GLOBAL__N_18offset_tEEE10hipError_tPvRmT1_PNSt15iterator_traitsISZ_E10value_typeET2_T3_PNS10_IS15_E10value_typeET4_jRbjT5_S1B_jjP12ihipStream_tbEUljE_EEESW_SX_SY_S15_S19_S1B_T6_T7_T9_mT8_S1D_bDpT10_ENKUlT_T0_E_clISt17integral_constantIbLb0EES1P_IbLb1EEEEDaS1L_S1M_EUlS1L_E_NS1_11comp_targetILNS1_3genE5ELNS1_11target_archE942ELNS1_3gpuE9ELNS1_3repE0EEENS1_30default_config_static_selectorELNS0_4arch9wavefront6targetE0EEEvSZ_,"axG",@progbits,_ZN7rocprim17ROCPRIM_400000_NS6detail17trampoline_kernelINS0_13select_configILj256ELj13ELNS0_17block_load_methodE3ELS4_3ELS4_3ELNS0_20block_scan_algorithmE0ELj4294967295EEENS1_25partition_config_selectorILNS1_17partition_subalgoE3EjNS0_10empty_typeEbEEZZNS1_14partition_implILS8_3ELb0ES6_jNS0_17counting_iteratorIjlEEPS9_SE_NS0_5tupleIJPjSE_EEENSF_IJSE_SE_EEES9_SG_JZNS1_25segmented_radix_sort_implINS0_14default_configELb1EPK12hip_bfloat16PSL_PKlPlN2at6native12_GLOBAL__N_18offset_tEEE10hipError_tPvRmT1_PNSt15iterator_traitsISZ_E10value_typeET2_T3_PNS10_IS15_E10value_typeET4_jRbjT5_S1B_jjP12ihipStream_tbEUljE_EEESW_SX_SY_S15_S19_S1B_T6_T7_T9_mT8_S1D_bDpT10_ENKUlT_T0_E_clISt17integral_constantIbLb0EES1P_IbLb1EEEEDaS1L_S1M_EUlS1L_E_NS1_11comp_targetILNS1_3genE5ELNS1_11target_archE942ELNS1_3gpuE9ELNS1_3repE0EEENS1_30default_config_static_selectorELNS0_4arch9wavefront6targetE0EEEvSZ_,comdat
	.globl	_ZN7rocprim17ROCPRIM_400000_NS6detail17trampoline_kernelINS0_13select_configILj256ELj13ELNS0_17block_load_methodE3ELS4_3ELS4_3ELNS0_20block_scan_algorithmE0ELj4294967295EEENS1_25partition_config_selectorILNS1_17partition_subalgoE3EjNS0_10empty_typeEbEEZZNS1_14partition_implILS8_3ELb0ES6_jNS0_17counting_iteratorIjlEEPS9_SE_NS0_5tupleIJPjSE_EEENSF_IJSE_SE_EEES9_SG_JZNS1_25segmented_radix_sort_implINS0_14default_configELb1EPK12hip_bfloat16PSL_PKlPlN2at6native12_GLOBAL__N_18offset_tEEE10hipError_tPvRmT1_PNSt15iterator_traitsISZ_E10value_typeET2_T3_PNS10_IS15_E10value_typeET4_jRbjT5_S1B_jjP12ihipStream_tbEUljE_EEESW_SX_SY_S15_S19_S1B_T6_T7_T9_mT8_S1D_bDpT10_ENKUlT_T0_E_clISt17integral_constantIbLb0EES1P_IbLb1EEEEDaS1L_S1M_EUlS1L_E_NS1_11comp_targetILNS1_3genE5ELNS1_11target_archE942ELNS1_3gpuE9ELNS1_3repE0EEENS1_30default_config_static_selectorELNS0_4arch9wavefront6targetE0EEEvSZ_ ; -- Begin function _ZN7rocprim17ROCPRIM_400000_NS6detail17trampoline_kernelINS0_13select_configILj256ELj13ELNS0_17block_load_methodE3ELS4_3ELS4_3ELNS0_20block_scan_algorithmE0ELj4294967295EEENS1_25partition_config_selectorILNS1_17partition_subalgoE3EjNS0_10empty_typeEbEEZZNS1_14partition_implILS8_3ELb0ES6_jNS0_17counting_iteratorIjlEEPS9_SE_NS0_5tupleIJPjSE_EEENSF_IJSE_SE_EEES9_SG_JZNS1_25segmented_radix_sort_implINS0_14default_configELb1EPK12hip_bfloat16PSL_PKlPlN2at6native12_GLOBAL__N_18offset_tEEE10hipError_tPvRmT1_PNSt15iterator_traitsISZ_E10value_typeET2_T3_PNS10_IS15_E10value_typeET4_jRbjT5_S1B_jjP12ihipStream_tbEUljE_EEESW_SX_SY_S15_S19_S1B_T6_T7_T9_mT8_S1D_bDpT10_ENKUlT_T0_E_clISt17integral_constantIbLb0EES1P_IbLb1EEEEDaS1L_S1M_EUlS1L_E_NS1_11comp_targetILNS1_3genE5ELNS1_11target_archE942ELNS1_3gpuE9ELNS1_3repE0EEENS1_30default_config_static_selectorELNS0_4arch9wavefront6targetE0EEEvSZ_
	.p2align	8
	.type	_ZN7rocprim17ROCPRIM_400000_NS6detail17trampoline_kernelINS0_13select_configILj256ELj13ELNS0_17block_load_methodE3ELS4_3ELS4_3ELNS0_20block_scan_algorithmE0ELj4294967295EEENS1_25partition_config_selectorILNS1_17partition_subalgoE3EjNS0_10empty_typeEbEEZZNS1_14partition_implILS8_3ELb0ES6_jNS0_17counting_iteratorIjlEEPS9_SE_NS0_5tupleIJPjSE_EEENSF_IJSE_SE_EEES9_SG_JZNS1_25segmented_radix_sort_implINS0_14default_configELb1EPK12hip_bfloat16PSL_PKlPlN2at6native12_GLOBAL__N_18offset_tEEE10hipError_tPvRmT1_PNSt15iterator_traitsISZ_E10value_typeET2_T3_PNS10_IS15_E10value_typeET4_jRbjT5_S1B_jjP12ihipStream_tbEUljE_EEESW_SX_SY_S15_S19_S1B_T6_T7_T9_mT8_S1D_bDpT10_ENKUlT_T0_E_clISt17integral_constantIbLb0EES1P_IbLb1EEEEDaS1L_S1M_EUlS1L_E_NS1_11comp_targetILNS1_3genE5ELNS1_11target_archE942ELNS1_3gpuE9ELNS1_3repE0EEENS1_30default_config_static_selectorELNS0_4arch9wavefront6targetE0EEEvSZ_,@function
_ZN7rocprim17ROCPRIM_400000_NS6detail17trampoline_kernelINS0_13select_configILj256ELj13ELNS0_17block_load_methodE3ELS4_3ELS4_3ELNS0_20block_scan_algorithmE0ELj4294967295EEENS1_25partition_config_selectorILNS1_17partition_subalgoE3EjNS0_10empty_typeEbEEZZNS1_14partition_implILS8_3ELb0ES6_jNS0_17counting_iteratorIjlEEPS9_SE_NS0_5tupleIJPjSE_EEENSF_IJSE_SE_EEES9_SG_JZNS1_25segmented_radix_sort_implINS0_14default_configELb1EPK12hip_bfloat16PSL_PKlPlN2at6native12_GLOBAL__N_18offset_tEEE10hipError_tPvRmT1_PNSt15iterator_traitsISZ_E10value_typeET2_T3_PNS10_IS15_E10value_typeET4_jRbjT5_S1B_jjP12ihipStream_tbEUljE_EEESW_SX_SY_S15_S19_S1B_T6_T7_T9_mT8_S1D_bDpT10_ENKUlT_T0_E_clISt17integral_constantIbLb0EES1P_IbLb1EEEEDaS1L_S1M_EUlS1L_E_NS1_11comp_targetILNS1_3genE5ELNS1_11target_archE942ELNS1_3gpuE9ELNS1_3repE0EEENS1_30default_config_static_selectorELNS0_4arch9wavefront6targetE0EEEvSZ_: ; @_ZN7rocprim17ROCPRIM_400000_NS6detail17trampoline_kernelINS0_13select_configILj256ELj13ELNS0_17block_load_methodE3ELS4_3ELS4_3ELNS0_20block_scan_algorithmE0ELj4294967295EEENS1_25partition_config_selectorILNS1_17partition_subalgoE3EjNS0_10empty_typeEbEEZZNS1_14partition_implILS8_3ELb0ES6_jNS0_17counting_iteratorIjlEEPS9_SE_NS0_5tupleIJPjSE_EEENSF_IJSE_SE_EEES9_SG_JZNS1_25segmented_radix_sort_implINS0_14default_configELb1EPK12hip_bfloat16PSL_PKlPlN2at6native12_GLOBAL__N_18offset_tEEE10hipError_tPvRmT1_PNSt15iterator_traitsISZ_E10value_typeET2_T3_PNS10_IS15_E10value_typeET4_jRbjT5_S1B_jjP12ihipStream_tbEUljE_EEESW_SX_SY_S15_S19_S1B_T6_T7_T9_mT8_S1D_bDpT10_ENKUlT_T0_E_clISt17integral_constantIbLb0EES1P_IbLb1EEEEDaS1L_S1M_EUlS1L_E_NS1_11comp_targetILNS1_3genE5ELNS1_11target_archE942ELNS1_3gpuE9ELNS1_3repE0EEENS1_30default_config_static_selectorELNS0_4arch9wavefront6targetE0EEEvSZ_
; %bb.0:
	.section	.rodata,"a",@progbits
	.p2align	6, 0x0
	.amdhsa_kernel _ZN7rocprim17ROCPRIM_400000_NS6detail17trampoline_kernelINS0_13select_configILj256ELj13ELNS0_17block_load_methodE3ELS4_3ELS4_3ELNS0_20block_scan_algorithmE0ELj4294967295EEENS1_25partition_config_selectorILNS1_17partition_subalgoE3EjNS0_10empty_typeEbEEZZNS1_14partition_implILS8_3ELb0ES6_jNS0_17counting_iteratorIjlEEPS9_SE_NS0_5tupleIJPjSE_EEENSF_IJSE_SE_EEES9_SG_JZNS1_25segmented_radix_sort_implINS0_14default_configELb1EPK12hip_bfloat16PSL_PKlPlN2at6native12_GLOBAL__N_18offset_tEEE10hipError_tPvRmT1_PNSt15iterator_traitsISZ_E10value_typeET2_T3_PNS10_IS15_E10value_typeET4_jRbjT5_S1B_jjP12ihipStream_tbEUljE_EEESW_SX_SY_S15_S19_S1B_T6_T7_T9_mT8_S1D_bDpT10_ENKUlT_T0_E_clISt17integral_constantIbLb0EES1P_IbLb1EEEEDaS1L_S1M_EUlS1L_E_NS1_11comp_targetILNS1_3genE5ELNS1_11target_archE942ELNS1_3gpuE9ELNS1_3repE0EEENS1_30default_config_static_selectorELNS0_4arch9wavefront6targetE0EEEvSZ_
		.amdhsa_group_segment_fixed_size 0
		.amdhsa_private_segment_fixed_size 0
		.amdhsa_kernarg_size 152
		.amdhsa_user_sgpr_count 2
		.amdhsa_user_sgpr_dispatch_ptr 0
		.amdhsa_user_sgpr_queue_ptr 0
		.amdhsa_user_sgpr_kernarg_segment_ptr 1
		.amdhsa_user_sgpr_dispatch_id 0
		.amdhsa_user_sgpr_private_segment_size 0
		.amdhsa_wavefront_size32 1
		.amdhsa_uses_dynamic_stack 0
		.amdhsa_enable_private_segment 0
		.amdhsa_system_sgpr_workgroup_id_x 1
		.amdhsa_system_sgpr_workgroup_id_y 0
		.amdhsa_system_sgpr_workgroup_id_z 0
		.amdhsa_system_sgpr_workgroup_info 0
		.amdhsa_system_vgpr_workitem_id 0
		.amdhsa_next_free_vgpr 1
		.amdhsa_next_free_sgpr 1
		.amdhsa_reserve_vcc 0
		.amdhsa_float_round_mode_32 0
		.amdhsa_float_round_mode_16_64 0
		.amdhsa_float_denorm_mode_32 3
		.amdhsa_float_denorm_mode_16_64 3
		.amdhsa_fp16_overflow 0
		.amdhsa_workgroup_processor_mode 1
		.amdhsa_memory_ordered 1
		.amdhsa_forward_progress 1
		.amdhsa_inst_pref_size 0
		.amdhsa_round_robin_scheduling 0
		.amdhsa_exception_fp_ieee_invalid_op 0
		.amdhsa_exception_fp_denorm_src 0
		.amdhsa_exception_fp_ieee_div_zero 0
		.amdhsa_exception_fp_ieee_overflow 0
		.amdhsa_exception_fp_ieee_underflow 0
		.amdhsa_exception_fp_ieee_inexact 0
		.amdhsa_exception_int_div_zero 0
	.end_amdhsa_kernel
	.section	.text._ZN7rocprim17ROCPRIM_400000_NS6detail17trampoline_kernelINS0_13select_configILj256ELj13ELNS0_17block_load_methodE3ELS4_3ELS4_3ELNS0_20block_scan_algorithmE0ELj4294967295EEENS1_25partition_config_selectorILNS1_17partition_subalgoE3EjNS0_10empty_typeEbEEZZNS1_14partition_implILS8_3ELb0ES6_jNS0_17counting_iteratorIjlEEPS9_SE_NS0_5tupleIJPjSE_EEENSF_IJSE_SE_EEES9_SG_JZNS1_25segmented_radix_sort_implINS0_14default_configELb1EPK12hip_bfloat16PSL_PKlPlN2at6native12_GLOBAL__N_18offset_tEEE10hipError_tPvRmT1_PNSt15iterator_traitsISZ_E10value_typeET2_T3_PNS10_IS15_E10value_typeET4_jRbjT5_S1B_jjP12ihipStream_tbEUljE_EEESW_SX_SY_S15_S19_S1B_T6_T7_T9_mT8_S1D_bDpT10_ENKUlT_T0_E_clISt17integral_constantIbLb0EES1P_IbLb1EEEEDaS1L_S1M_EUlS1L_E_NS1_11comp_targetILNS1_3genE5ELNS1_11target_archE942ELNS1_3gpuE9ELNS1_3repE0EEENS1_30default_config_static_selectorELNS0_4arch9wavefront6targetE0EEEvSZ_,"axG",@progbits,_ZN7rocprim17ROCPRIM_400000_NS6detail17trampoline_kernelINS0_13select_configILj256ELj13ELNS0_17block_load_methodE3ELS4_3ELS4_3ELNS0_20block_scan_algorithmE0ELj4294967295EEENS1_25partition_config_selectorILNS1_17partition_subalgoE3EjNS0_10empty_typeEbEEZZNS1_14partition_implILS8_3ELb0ES6_jNS0_17counting_iteratorIjlEEPS9_SE_NS0_5tupleIJPjSE_EEENSF_IJSE_SE_EEES9_SG_JZNS1_25segmented_radix_sort_implINS0_14default_configELb1EPK12hip_bfloat16PSL_PKlPlN2at6native12_GLOBAL__N_18offset_tEEE10hipError_tPvRmT1_PNSt15iterator_traitsISZ_E10value_typeET2_T3_PNS10_IS15_E10value_typeET4_jRbjT5_S1B_jjP12ihipStream_tbEUljE_EEESW_SX_SY_S15_S19_S1B_T6_T7_T9_mT8_S1D_bDpT10_ENKUlT_T0_E_clISt17integral_constantIbLb0EES1P_IbLb1EEEEDaS1L_S1M_EUlS1L_E_NS1_11comp_targetILNS1_3genE5ELNS1_11target_archE942ELNS1_3gpuE9ELNS1_3repE0EEENS1_30default_config_static_selectorELNS0_4arch9wavefront6targetE0EEEvSZ_,comdat
.Lfunc_end1939:
	.size	_ZN7rocprim17ROCPRIM_400000_NS6detail17trampoline_kernelINS0_13select_configILj256ELj13ELNS0_17block_load_methodE3ELS4_3ELS4_3ELNS0_20block_scan_algorithmE0ELj4294967295EEENS1_25partition_config_selectorILNS1_17partition_subalgoE3EjNS0_10empty_typeEbEEZZNS1_14partition_implILS8_3ELb0ES6_jNS0_17counting_iteratorIjlEEPS9_SE_NS0_5tupleIJPjSE_EEENSF_IJSE_SE_EEES9_SG_JZNS1_25segmented_radix_sort_implINS0_14default_configELb1EPK12hip_bfloat16PSL_PKlPlN2at6native12_GLOBAL__N_18offset_tEEE10hipError_tPvRmT1_PNSt15iterator_traitsISZ_E10value_typeET2_T3_PNS10_IS15_E10value_typeET4_jRbjT5_S1B_jjP12ihipStream_tbEUljE_EEESW_SX_SY_S15_S19_S1B_T6_T7_T9_mT8_S1D_bDpT10_ENKUlT_T0_E_clISt17integral_constantIbLb0EES1P_IbLb1EEEEDaS1L_S1M_EUlS1L_E_NS1_11comp_targetILNS1_3genE5ELNS1_11target_archE942ELNS1_3gpuE9ELNS1_3repE0EEENS1_30default_config_static_selectorELNS0_4arch9wavefront6targetE0EEEvSZ_, .Lfunc_end1939-_ZN7rocprim17ROCPRIM_400000_NS6detail17trampoline_kernelINS0_13select_configILj256ELj13ELNS0_17block_load_methodE3ELS4_3ELS4_3ELNS0_20block_scan_algorithmE0ELj4294967295EEENS1_25partition_config_selectorILNS1_17partition_subalgoE3EjNS0_10empty_typeEbEEZZNS1_14partition_implILS8_3ELb0ES6_jNS0_17counting_iteratorIjlEEPS9_SE_NS0_5tupleIJPjSE_EEENSF_IJSE_SE_EEES9_SG_JZNS1_25segmented_radix_sort_implINS0_14default_configELb1EPK12hip_bfloat16PSL_PKlPlN2at6native12_GLOBAL__N_18offset_tEEE10hipError_tPvRmT1_PNSt15iterator_traitsISZ_E10value_typeET2_T3_PNS10_IS15_E10value_typeET4_jRbjT5_S1B_jjP12ihipStream_tbEUljE_EEESW_SX_SY_S15_S19_S1B_T6_T7_T9_mT8_S1D_bDpT10_ENKUlT_T0_E_clISt17integral_constantIbLb0EES1P_IbLb1EEEEDaS1L_S1M_EUlS1L_E_NS1_11comp_targetILNS1_3genE5ELNS1_11target_archE942ELNS1_3gpuE9ELNS1_3repE0EEENS1_30default_config_static_selectorELNS0_4arch9wavefront6targetE0EEEvSZ_
                                        ; -- End function
	.set _ZN7rocprim17ROCPRIM_400000_NS6detail17trampoline_kernelINS0_13select_configILj256ELj13ELNS0_17block_load_methodE3ELS4_3ELS4_3ELNS0_20block_scan_algorithmE0ELj4294967295EEENS1_25partition_config_selectorILNS1_17partition_subalgoE3EjNS0_10empty_typeEbEEZZNS1_14partition_implILS8_3ELb0ES6_jNS0_17counting_iteratorIjlEEPS9_SE_NS0_5tupleIJPjSE_EEENSF_IJSE_SE_EEES9_SG_JZNS1_25segmented_radix_sort_implINS0_14default_configELb1EPK12hip_bfloat16PSL_PKlPlN2at6native12_GLOBAL__N_18offset_tEEE10hipError_tPvRmT1_PNSt15iterator_traitsISZ_E10value_typeET2_T3_PNS10_IS15_E10value_typeET4_jRbjT5_S1B_jjP12ihipStream_tbEUljE_EEESW_SX_SY_S15_S19_S1B_T6_T7_T9_mT8_S1D_bDpT10_ENKUlT_T0_E_clISt17integral_constantIbLb0EES1P_IbLb1EEEEDaS1L_S1M_EUlS1L_E_NS1_11comp_targetILNS1_3genE5ELNS1_11target_archE942ELNS1_3gpuE9ELNS1_3repE0EEENS1_30default_config_static_selectorELNS0_4arch9wavefront6targetE0EEEvSZ_.num_vgpr, 0
	.set _ZN7rocprim17ROCPRIM_400000_NS6detail17trampoline_kernelINS0_13select_configILj256ELj13ELNS0_17block_load_methodE3ELS4_3ELS4_3ELNS0_20block_scan_algorithmE0ELj4294967295EEENS1_25partition_config_selectorILNS1_17partition_subalgoE3EjNS0_10empty_typeEbEEZZNS1_14partition_implILS8_3ELb0ES6_jNS0_17counting_iteratorIjlEEPS9_SE_NS0_5tupleIJPjSE_EEENSF_IJSE_SE_EEES9_SG_JZNS1_25segmented_radix_sort_implINS0_14default_configELb1EPK12hip_bfloat16PSL_PKlPlN2at6native12_GLOBAL__N_18offset_tEEE10hipError_tPvRmT1_PNSt15iterator_traitsISZ_E10value_typeET2_T3_PNS10_IS15_E10value_typeET4_jRbjT5_S1B_jjP12ihipStream_tbEUljE_EEESW_SX_SY_S15_S19_S1B_T6_T7_T9_mT8_S1D_bDpT10_ENKUlT_T0_E_clISt17integral_constantIbLb0EES1P_IbLb1EEEEDaS1L_S1M_EUlS1L_E_NS1_11comp_targetILNS1_3genE5ELNS1_11target_archE942ELNS1_3gpuE9ELNS1_3repE0EEENS1_30default_config_static_selectorELNS0_4arch9wavefront6targetE0EEEvSZ_.num_agpr, 0
	.set _ZN7rocprim17ROCPRIM_400000_NS6detail17trampoline_kernelINS0_13select_configILj256ELj13ELNS0_17block_load_methodE3ELS4_3ELS4_3ELNS0_20block_scan_algorithmE0ELj4294967295EEENS1_25partition_config_selectorILNS1_17partition_subalgoE3EjNS0_10empty_typeEbEEZZNS1_14partition_implILS8_3ELb0ES6_jNS0_17counting_iteratorIjlEEPS9_SE_NS0_5tupleIJPjSE_EEENSF_IJSE_SE_EEES9_SG_JZNS1_25segmented_radix_sort_implINS0_14default_configELb1EPK12hip_bfloat16PSL_PKlPlN2at6native12_GLOBAL__N_18offset_tEEE10hipError_tPvRmT1_PNSt15iterator_traitsISZ_E10value_typeET2_T3_PNS10_IS15_E10value_typeET4_jRbjT5_S1B_jjP12ihipStream_tbEUljE_EEESW_SX_SY_S15_S19_S1B_T6_T7_T9_mT8_S1D_bDpT10_ENKUlT_T0_E_clISt17integral_constantIbLb0EES1P_IbLb1EEEEDaS1L_S1M_EUlS1L_E_NS1_11comp_targetILNS1_3genE5ELNS1_11target_archE942ELNS1_3gpuE9ELNS1_3repE0EEENS1_30default_config_static_selectorELNS0_4arch9wavefront6targetE0EEEvSZ_.numbered_sgpr, 0
	.set _ZN7rocprim17ROCPRIM_400000_NS6detail17trampoline_kernelINS0_13select_configILj256ELj13ELNS0_17block_load_methodE3ELS4_3ELS4_3ELNS0_20block_scan_algorithmE0ELj4294967295EEENS1_25partition_config_selectorILNS1_17partition_subalgoE3EjNS0_10empty_typeEbEEZZNS1_14partition_implILS8_3ELb0ES6_jNS0_17counting_iteratorIjlEEPS9_SE_NS0_5tupleIJPjSE_EEENSF_IJSE_SE_EEES9_SG_JZNS1_25segmented_radix_sort_implINS0_14default_configELb1EPK12hip_bfloat16PSL_PKlPlN2at6native12_GLOBAL__N_18offset_tEEE10hipError_tPvRmT1_PNSt15iterator_traitsISZ_E10value_typeET2_T3_PNS10_IS15_E10value_typeET4_jRbjT5_S1B_jjP12ihipStream_tbEUljE_EEESW_SX_SY_S15_S19_S1B_T6_T7_T9_mT8_S1D_bDpT10_ENKUlT_T0_E_clISt17integral_constantIbLb0EES1P_IbLb1EEEEDaS1L_S1M_EUlS1L_E_NS1_11comp_targetILNS1_3genE5ELNS1_11target_archE942ELNS1_3gpuE9ELNS1_3repE0EEENS1_30default_config_static_selectorELNS0_4arch9wavefront6targetE0EEEvSZ_.num_named_barrier, 0
	.set _ZN7rocprim17ROCPRIM_400000_NS6detail17trampoline_kernelINS0_13select_configILj256ELj13ELNS0_17block_load_methodE3ELS4_3ELS4_3ELNS0_20block_scan_algorithmE0ELj4294967295EEENS1_25partition_config_selectorILNS1_17partition_subalgoE3EjNS0_10empty_typeEbEEZZNS1_14partition_implILS8_3ELb0ES6_jNS0_17counting_iteratorIjlEEPS9_SE_NS0_5tupleIJPjSE_EEENSF_IJSE_SE_EEES9_SG_JZNS1_25segmented_radix_sort_implINS0_14default_configELb1EPK12hip_bfloat16PSL_PKlPlN2at6native12_GLOBAL__N_18offset_tEEE10hipError_tPvRmT1_PNSt15iterator_traitsISZ_E10value_typeET2_T3_PNS10_IS15_E10value_typeET4_jRbjT5_S1B_jjP12ihipStream_tbEUljE_EEESW_SX_SY_S15_S19_S1B_T6_T7_T9_mT8_S1D_bDpT10_ENKUlT_T0_E_clISt17integral_constantIbLb0EES1P_IbLb1EEEEDaS1L_S1M_EUlS1L_E_NS1_11comp_targetILNS1_3genE5ELNS1_11target_archE942ELNS1_3gpuE9ELNS1_3repE0EEENS1_30default_config_static_selectorELNS0_4arch9wavefront6targetE0EEEvSZ_.private_seg_size, 0
	.set _ZN7rocprim17ROCPRIM_400000_NS6detail17trampoline_kernelINS0_13select_configILj256ELj13ELNS0_17block_load_methodE3ELS4_3ELS4_3ELNS0_20block_scan_algorithmE0ELj4294967295EEENS1_25partition_config_selectorILNS1_17partition_subalgoE3EjNS0_10empty_typeEbEEZZNS1_14partition_implILS8_3ELb0ES6_jNS0_17counting_iteratorIjlEEPS9_SE_NS0_5tupleIJPjSE_EEENSF_IJSE_SE_EEES9_SG_JZNS1_25segmented_radix_sort_implINS0_14default_configELb1EPK12hip_bfloat16PSL_PKlPlN2at6native12_GLOBAL__N_18offset_tEEE10hipError_tPvRmT1_PNSt15iterator_traitsISZ_E10value_typeET2_T3_PNS10_IS15_E10value_typeET4_jRbjT5_S1B_jjP12ihipStream_tbEUljE_EEESW_SX_SY_S15_S19_S1B_T6_T7_T9_mT8_S1D_bDpT10_ENKUlT_T0_E_clISt17integral_constantIbLb0EES1P_IbLb1EEEEDaS1L_S1M_EUlS1L_E_NS1_11comp_targetILNS1_3genE5ELNS1_11target_archE942ELNS1_3gpuE9ELNS1_3repE0EEENS1_30default_config_static_selectorELNS0_4arch9wavefront6targetE0EEEvSZ_.uses_vcc, 0
	.set _ZN7rocprim17ROCPRIM_400000_NS6detail17trampoline_kernelINS0_13select_configILj256ELj13ELNS0_17block_load_methodE3ELS4_3ELS4_3ELNS0_20block_scan_algorithmE0ELj4294967295EEENS1_25partition_config_selectorILNS1_17partition_subalgoE3EjNS0_10empty_typeEbEEZZNS1_14partition_implILS8_3ELb0ES6_jNS0_17counting_iteratorIjlEEPS9_SE_NS0_5tupleIJPjSE_EEENSF_IJSE_SE_EEES9_SG_JZNS1_25segmented_radix_sort_implINS0_14default_configELb1EPK12hip_bfloat16PSL_PKlPlN2at6native12_GLOBAL__N_18offset_tEEE10hipError_tPvRmT1_PNSt15iterator_traitsISZ_E10value_typeET2_T3_PNS10_IS15_E10value_typeET4_jRbjT5_S1B_jjP12ihipStream_tbEUljE_EEESW_SX_SY_S15_S19_S1B_T6_T7_T9_mT8_S1D_bDpT10_ENKUlT_T0_E_clISt17integral_constantIbLb0EES1P_IbLb1EEEEDaS1L_S1M_EUlS1L_E_NS1_11comp_targetILNS1_3genE5ELNS1_11target_archE942ELNS1_3gpuE9ELNS1_3repE0EEENS1_30default_config_static_selectorELNS0_4arch9wavefront6targetE0EEEvSZ_.uses_flat_scratch, 0
	.set _ZN7rocprim17ROCPRIM_400000_NS6detail17trampoline_kernelINS0_13select_configILj256ELj13ELNS0_17block_load_methodE3ELS4_3ELS4_3ELNS0_20block_scan_algorithmE0ELj4294967295EEENS1_25partition_config_selectorILNS1_17partition_subalgoE3EjNS0_10empty_typeEbEEZZNS1_14partition_implILS8_3ELb0ES6_jNS0_17counting_iteratorIjlEEPS9_SE_NS0_5tupleIJPjSE_EEENSF_IJSE_SE_EEES9_SG_JZNS1_25segmented_radix_sort_implINS0_14default_configELb1EPK12hip_bfloat16PSL_PKlPlN2at6native12_GLOBAL__N_18offset_tEEE10hipError_tPvRmT1_PNSt15iterator_traitsISZ_E10value_typeET2_T3_PNS10_IS15_E10value_typeET4_jRbjT5_S1B_jjP12ihipStream_tbEUljE_EEESW_SX_SY_S15_S19_S1B_T6_T7_T9_mT8_S1D_bDpT10_ENKUlT_T0_E_clISt17integral_constantIbLb0EES1P_IbLb1EEEEDaS1L_S1M_EUlS1L_E_NS1_11comp_targetILNS1_3genE5ELNS1_11target_archE942ELNS1_3gpuE9ELNS1_3repE0EEENS1_30default_config_static_selectorELNS0_4arch9wavefront6targetE0EEEvSZ_.has_dyn_sized_stack, 0
	.set _ZN7rocprim17ROCPRIM_400000_NS6detail17trampoline_kernelINS0_13select_configILj256ELj13ELNS0_17block_load_methodE3ELS4_3ELS4_3ELNS0_20block_scan_algorithmE0ELj4294967295EEENS1_25partition_config_selectorILNS1_17partition_subalgoE3EjNS0_10empty_typeEbEEZZNS1_14partition_implILS8_3ELb0ES6_jNS0_17counting_iteratorIjlEEPS9_SE_NS0_5tupleIJPjSE_EEENSF_IJSE_SE_EEES9_SG_JZNS1_25segmented_radix_sort_implINS0_14default_configELb1EPK12hip_bfloat16PSL_PKlPlN2at6native12_GLOBAL__N_18offset_tEEE10hipError_tPvRmT1_PNSt15iterator_traitsISZ_E10value_typeET2_T3_PNS10_IS15_E10value_typeET4_jRbjT5_S1B_jjP12ihipStream_tbEUljE_EEESW_SX_SY_S15_S19_S1B_T6_T7_T9_mT8_S1D_bDpT10_ENKUlT_T0_E_clISt17integral_constantIbLb0EES1P_IbLb1EEEEDaS1L_S1M_EUlS1L_E_NS1_11comp_targetILNS1_3genE5ELNS1_11target_archE942ELNS1_3gpuE9ELNS1_3repE0EEENS1_30default_config_static_selectorELNS0_4arch9wavefront6targetE0EEEvSZ_.has_recursion, 0
	.set _ZN7rocprim17ROCPRIM_400000_NS6detail17trampoline_kernelINS0_13select_configILj256ELj13ELNS0_17block_load_methodE3ELS4_3ELS4_3ELNS0_20block_scan_algorithmE0ELj4294967295EEENS1_25partition_config_selectorILNS1_17partition_subalgoE3EjNS0_10empty_typeEbEEZZNS1_14partition_implILS8_3ELb0ES6_jNS0_17counting_iteratorIjlEEPS9_SE_NS0_5tupleIJPjSE_EEENSF_IJSE_SE_EEES9_SG_JZNS1_25segmented_radix_sort_implINS0_14default_configELb1EPK12hip_bfloat16PSL_PKlPlN2at6native12_GLOBAL__N_18offset_tEEE10hipError_tPvRmT1_PNSt15iterator_traitsISZ_E10value_typeET2_T3_PNS10_IS15_E10value_typeET4_jRbjT5_S1B_jjP12ihipStream_tbEUljE_EEESW_SX_SY_S15_S19_S1B_T6_T7_T9_mT8_S1D_bDpT10_ENKUlT_T0_E_clISt17integral_constantIbLb0EES1P_IbLb1EEEEDaS1L_S1M_EUlS1L_E_NS1_11comp_targetILNS1_3genE5ELNS1_11target_archE942ELNS1_3gpuE9ELNS1_3repE0EEENS1_30default_config_static_selectorELNS0_4arch9wavefront6targetE0EEEvSZ_.has_indirect_call, 0
	.section	.AMDGPU.csdata,"",@progbits
; Kernel info:
; codeLenInByte = 0
; TotalNumSgprs: 0
; NumVgprs: 0
; ScratchSize: 0
; MemoryBound: 0
; FloatMode: 240
; IeeeMode: 1
; LDSByteSize: 0 bytes/workgroup (compile time only)
; SGPRBlocks: 0
; VGPRBlocks: 0
; NumSGPRsForWavesPerEU: 1
; NumVGPRsForWavesPerEU: 1
; Occupancy: 16
; WaveLimiterHint : 0
; COMPUTE_PGM_RSRC2:SCRATCH_EN: 0
; COMPUTE_PGM_RSRC2:USER_SGPR: 2
; COMPUTE_PGM_RSRC2:TRAP_HANDLER: 0
; COMPUTE_PGM_RSRC2:TGID_X_EN: 1
; COMPUTE_PGM_RSRC2:TGID_Y_EN: 0
; COMPUTE_PGM_RSRC2:TGID_Z_EN: 0
; COMPUTE_PGM_RSRC2:TIDIG_COMP_CNT: 0
	.section	.text._ZN7rocprim17ROCPRIM_400000_NS6detail17trampoline_kernelINS0_13select_configILj256ELj13ELNS0_17block_load_methodE3ELS4_3ELS4_3ELNS0_20block_scan_algorithmE0ELj4294967295EEENS1_25partition_config_selectorILNS1_17partition_subalgoE3EjNS0_10empty_typeEbEEZZNS1_14partition_implILS8_3ELb0ES6_jNS0_17counting_iteratorIjlEEPS9_SE_NS0_5tupleIJPjSE_EEENSF_IJSE_SE_EEES9_SG_JZNS1_25segmented_radix_sort_implINS0_14default_configELb1EPK12hip_bfloat16PSL_PKlPlN2at6native12_GLOBAL__N_18offset_tEEE10hipError_tPvRmT1_PNSt15iterator_traitsISZ_E10value_typeET2_T3_PNS10_IS15_E10value_typeET4_jRbjT5_S1B_jjP12ihipStream_tbEUljE_EEESW_SX_SY_S15_S19_S1B_T6_T7_T9_mT8_S1D_bDpT10_ENKUlT_T0_E_clISt17integral_constantIbLb0EES1P_IbLb1EEEEDaS1L_S1M_EUlS1L_E_NS1_11comp_targetILNS1_3genE4ELNS1_11target_archE910ELNS1_3gpuE8ELNS1_3repE0EEENS1_30default_config_static_selectorELNS0_4arch9wavefront6targetE0EEEvSZ_,"axG",@progbits,_ZN7rocprim17ROCPRIM_400000_NS6detail17trampoline_kernelINS0_13select_configILj256ELj13ELNS0_17block_load_methodE3ELS4_3ELS4_3ELNS0_20block_scan_algorithmE0ELj4294967295EEENS1_25partition_config_selectorILNS1_17partition_subalgoE3EjNS0_10empty_typeEbEEZZNS1_14partition_implILS8_3ELb0ES6_jNS0_17counting_iteratorIjlEEPS9_SE_NS0_5tupleIJPjSE_EEENSF_IJSE_SE_EEES9_SG_JZNS1_25segmented_radix_sort_implINS0_14default_configELb1EPK12hip_bfloat16PSL_PKlPlN2at6native12_GLOBAL__N_18offset_tEEE10hipError_tPvRmT1_PNSt15iterator_traitsISZ_E10value_typeET2_T3_PNS10_IS15_E10value_typeET4_jRbjT5_S1B_jjP12ihipStream_tbEUljE_EEESW_SX_SY_S15_S19_S1B_T6_T7_T9_mT8_S1D_bDpT10_ENKUlT_T0_E_clISt17integral_constantIbLb0EES1P_IbLb1EEEEDaS1L_S1M_EUlS1L_E_NS1_11comp_targetILNS1_3genE4ELNS1_11target_archE910ELNS1_3gpuE8ELNS1_3repE0EEENS1_30default_config_static_selectorELNS0_4arch9wavefront6targetE0EEEvSZ_,comdat
	.globl	_ZN7rocprim17ROCPRIM_400000_NS6detail17trampoline_kernelINS0_13select_configILj256ELj13ELNS0_17block_load_methodE3ELS4_3ELS4_3ELNS0_20block_scan_algorithmE0ELj4294967295EEENS1_25partition_config_selectorILNS1_17partition_subalgoE3EjNS0_10empty_typeEbEEZZNS1_14partition_implILS8_3ELb0ES6_jNS0_17counting_iteratorIjlEEPS9_SE_NS0_5tupleIJPjSE_EEENSF_IJSE_SE_EEES9_SG_JZNS1_25segmented_radix_sort_implINS0_14default_configELb1EPK12hip_bfloat16PSL_PKlPlN2at6native12_GLOBAL__N_18offset_tEEE10hipError_tPvRmT1_PNSt15iterator_traitsISZ_E10value_typeET2_T3_PNS10_IS15_E10value_typeET4_jRbjT5_S1B_jjP12ihipStream_tbEUljE_EEESW_SX_SY_S15_S19_S1B_T6_T7_T9_mT8_S1D_bDpT10_ENKUlT_T0_E_clISt17integral_constantIbLb0EES1P_IbLb1EEEEDaS1L_S1M_EUlS1L_E_NS1_11comp_targetILNS1_3genE4ELNS1_11target_archE910ELNS1_3gpuE8ELNS1_3repE0EEENS1_30default_config_static_selectorELNS0_4arch9wavefront6targetE0EEEvSZ_ ; -- Begin function _ZN7rocprim17ROCPRIM_400000_NS6detail17trampoline_kernelINS0_13select_configILj256ELj13ELNS0_17block_load_methodE3ELS4_3ELS4_3ELNS0_20block_scan_algorithmE0ELj4294967295EEENS1_25partition_config_selectorILNS1_17partition_subalgoE3EjNS0_10empty_typeEbEEZZNS1_14partition_implILS8_3ELb0ES6_jNS0_17counting_iteratorIjlEEPS9_SE_NS0_5tupleIJPjSE_EEENSF_IJSE_SE_EEES9_SG_JZNS1_25segmented_radix_sort_implINS0_14default_configELb1EPK12hip_bfloat16PSL_PKlPlN2at6native12_GLOBAL__N_18offset_tEEE10hipError_tPvRmT1_PNSt15iterator_traitsISZ_E10value_typeET2_T3_PNS10_IS15_E10value_typeET4_jRbjT5_S1B_jjP12ihipStream_tbEUljE_EEESW_SX_SY_S15_S19_S1B_T6_T7_T9_mT8_S1D_bDpT10_ENKUlT_T0_E_clISt17integral_constantIbLb0EES1P_IbLb1EEEEDaS1L_S1M_EUlS1L_E_NS1_11comp_targetILNS1_3genE4ELNS1_11target_archE910ELNS1_3gpuE8ELNS1_3repE0EEENS1_30default_config_static_selectorELNS0_4arch9wavefront6targetE0EEEvSZ_
	.p2align	8
	.type	_ZN7rocprim17ROCPRIM_400000_NS6detail17trampoline_kernelINS0_13select_configILj256ELj13ELNS0_17block_load_methodE3ELS4_3ELS4_3ELNS0_20block_scan_algorithmE0ELj4294967295EEENS1_25partition_config_selectorILNS1_17partition_subalgoE3EjNS0_10empty_typeEbEEZZNS1_14partition_implILS8_3ELb0ES6_jNS0_17counting_iteratorIjlEEPS9_SE_NS0_5tupleIJPjSE_EEENSF_IJSE_SE_EEES9_SG_JZNS1_25segmented_radix_sort_implINS0_14default_configELb1EPK12hip_bfloat16PSL_PKlPlN2at6native12_GLOBAL__N_18offset_tEEE10hipError_tPvRmT1_PNSt15iterator_traitsISZ_E10value_typeET2_T3_PNS10_IS15_E10value_typeET4_jRbjT5_S1B_jjP12ihipStream_tbEUljE_EEESW_SX_SY_S15_S19_S1B_T6_T7_T9_mT8_S1D_bDpT10_ENKUlT_T0_E_clISt17integral_constantIbLb0EES1P_IbLb1EEEEDaS1L_S1M_EUlS1L_E_NS1_11comp_targetILNS1_3genE4ELNS1_11target_archE910ELNS1_3gpuE8ELNS1_3repE0EEENS1_30default_config_static_selectorELNS0_4arch9wavefront6targetE0EEEvSZ_,@function
_ZN7rocprim17ROCPRIM_400000_NS6detail17trampoline_kernelINS0_13select_configILj256ELj13ELNS0_17block_load_methodE3ELS4_3ELS4_3ELNS0_20block_scan_algorithmE0ELj4294967295EEENS1_25partition_config_selectorILNS1_17partition_subalgoE3EjNS0_10empty_typeEbEEZZNS1_14partition_implILS8_3ELb0ES6_jNS0_17counting_iteratorIjlEEPS9_SE_NS0_5tupleIJPjSE_EEENSF_IJSE_SE_EEES9_SG_JZNS1_25segmented_radix_sort_implINS0_14default_configELb1EPK12hip_bfloat16PSL_PKlPlN2at6native12_GLOBAL__N_18offset_tEEE10hipError_tPvRmT1_PNSt15iterator_traitsISZ_E10value_typeET2_T3_PNS10_IS15_E10value_typeET4_jRbjT5_S1B_jjP12ihipStream_tbEUljE_EEESW_SX_SY_S15_S19_S1B_T6_T7_T9_mT8_S1D_bDpT10_ENKUlT_T0_E_clISt17integral_constantIbLb0EES1P_IbLb1EEEEDaS1L_S1M_EUlS1L_E_NS1_11comp_targetILNS1_3genE4ELNS1_11target_archE910ELNS1_3gpuE8ELNS1_3repE0EEENS1_30default_config_static_selectorELNS0_4arch9wavefront6targetE0EEEvSZ_: ; @_ZN7rocprim17ROCPRIM_400000_NS6detail17trampoline_kernelINS0_13select_configILj256ELj13ELNS0_17block_load_methodE3ELS4_3ELS4_3ELNS0_20block_scan_algorithmE0ELj4294967295EEENS1_25partition_config_selectorILNS1_17partition_subalgoE3EjNS0_10empty_typeEbEEZZNS1_14partition_implILS8_3ELb0ES6_jNS0_17counting_iteratorIjlEEPS9_SE_NS0_5tupleIJPjSE_EEENSF_IJSE_SE_EEES9_SG_JZNS1_25segmented_radix_sort_implINS0_14default_configELb1EPK12hip_bfloat16PSL_PKlPlN2at6native12_GLOBAL__N_18offset_tEEE10hipError_tPvRmT1_PNSt15iterator_traitsISZ_E10value_typeET2_T3_PNS10_IS15_E10value_typeET4_jRbjT5_S1B_jjP12ihipStream_tbEUljE_EEESW_SX_SY_S15_S19_S1B_T6_T7_T9_mT8_S1D_bDpT10_ENKUlT_T0_E_clISt17integral_constantIbLb0EES1P_IbLb1EEEEDaS1L_S1M_EUlS1L_E_NS1_11comp_targetILNS1_3genE4ELNS1_11target_archE910ELNS1_3gpuE8ELNS1_3repE0EEENS1_30default_config_static_selectorELNS0_4arch9wavefront6targetE0EEEvSZ_
; %bb.0:
	.section	.rodata,"a",@progbits
	.p2align	6, 0x0
	.amdhsa_kernel _ZN7rocprim17ROCPRIM_400000_NS6detail17trampoline_kernelINS0_13select_configILj256ELj13ELNS0_17block_load_methodE3ELS4_3ELS4_3ELNS0_20block_scan_algorithmE0ELj4294967295EEENS1_25partition_config_selectorILNS1_17partition_subalgoE3EjNS0_10empty_typeEbEEZZNS1_14partition_implILS8_3ELb0ES6_jNS0_17counting_iteratorIjlEEPS9_SE_NS0_5tupleIJPjSE_EEENSF_IJSE_SE_EEES9_SG_JZNS1_25segmented_radix_sort_implINS0_14default_configELb1EPK12hip_bfloat16PSL_PKlPlN2at6native12_GLOBAL__N_18offset_tEEE10hipError_tPvRmT1_PNSt15iterator_traitsISZ_E10value_typeET2_T3_PNS10_IS15_E10value_typeET4_jRbjT5_S1B_jjP12ihipStream_tbEUljE_EEESW_SX_SY_S15_S19_S1B_T6_T7_T9_mT8_S1D_bDpT10_ENKUlT_T0_E_clISt17integral_constantIbLb0EES1P_IbLb1EEEEDaS1L_S1M_EUlS1L_E_NS1_11comp_targetILNS1_3genE4ELNS1_11target_archE910ELNS1_3gpuE8ELNS1_3repE0EEENS1_30default_config_static_selectorELNS0_4arch9wavefront6targetE0EEEvSZ_
		.amdhsa_group_segment_fixed_size 0
		.amdhsa_private_segment_fixed_size 0
		.amdhsa_kernarg_size 152
		.amdhsa_user_sgpr_count 2
		.amdhsa_user_sgpr_dispatch_ptr 0
		.amdhsa_user_sgpr_queue_ptr 0
		.amdhsa_user_sgpr_kernarg_segment_ptr 1
		.amdhsa_user_sgpr_dispatch_id 0
		.amdhsa_user_sgpr_private_segment_size 0
		.amdhsa_wavefront_size32 1
		.amdhsa_uses_dynamic_stack 0
		.amdhsa_enable_private_segment 0
		.amdhsa_system_sgpr_workgroup_id_x 1
		.amdhsa_system_sgpr_workgroup_id_y 0
		.amdhsa_system_sgpr_workgroup_id_z 0
		.amdhsa_system_sgpr_workgroup_info 0
		.amdhsa_system_vgpr_workitem_id 0
		.amdhsa_next_free_vgpr 1
		.amdhsa_next_free_sgpr 1
		.amdhsa_reserve_vcc 0
		.amdhsa_float_round_mode_32 0
		.amdhsa_float_round_mode_16_64 0
		.amdhsa_float_denorm_mode_32 3
		.amdhsa_float_denorm_mode_16_64 3
		.amdhsa_fp16_overflow 0
		.amdhsa_workgroup_processor_mode 1
		.amdhsa_memory_ordered 1
		.amdhsa_forward_progress 1
		.amdhsa_inst_pref_size 0
		.amdhsa_round_robin_scheduling 0
		.amdhsa_exception_fp_ieee_invalid_op 0
		.amdhsa_exception_fp_denorm_src 0
		.amdhsa_exception_fp_ieee_div_zero 0
		.amdhsa_exception_fp_ieee_overflow 0
		.amdhsa_exception_fp_ieee_underflow 0
		.amdhsa_exception_fp_ieee_inexact 0
		.amdhsa_exception_int_div_zero 0
	.end_amdhsa_kernel
	.section	.text._ZN7rocprim17ROCPRIM_400000_NS6detail17trampoline_kernelINS0_13select_configILj256ELj13ELNS0_17block_load_methodE3ELS4_3ELS4_3ELNS0_20block_scan_algorithmE0ELj4294967295EEENS1_25partition_config_selectorILNS1_17partition_subalgoE3EjNS0_10empty_typeEbEEZZNS1_14partition_implILS8_3ELb0ES6_jNS0_17counting_iteratorIjlEEPS9_SE_NS0_5tupleIJPjSE_EEENSF_IJSE_SE_EEES9_SG_JZNS1_25segmented_radix_sort_implINS0_14default_configELb1EPK12hip_bfloat16PSL_PKlPlN2at6native12_GLOBAL__N_18offset_tEEE10hipError_tPvRmT1_PNSt15iterator_traitsISZ_E10value_typeET2_T3_PNS10_IS15_E10value_typeET4_jRbjT5_S1B_jjP12ihipStream_tbEUljE_EEESW_SX_SY_S15_S19_S1B_T6_T7_T9_mT8_S1D_bDpT10_ENKUlT_T0_E_clISt17integral_constantIbLb0EES1P_IbLb1EEEEDaS1L_S1M_EUlS1L_E_NS1_11comp_targetILNS1_3genE4ELNS1_11target_archE910ELNS1_3gpuE8ELNS1_3repE0EEENS1_30default_config_static_selectorELNS0_4arch9wavefront6targetE0EEEvSZ_,"axG",@progbits,_ZN7rocprim17ROCPRIM_400000_NS6detail17trampoline_kernelINS0_13select_configILj256ELj13ELNS0_17block_load_methodE3ELS4_3ELS4_3ELNS0_20block_scan_algorithmE0ELj4294967295EEENS1_25partition_config_selectorILNS1_17partition_subalgoE3EjNS0_10empty_typeEbEEZZNS1_14partition_implILS8_3ELb0ES6_jNS0_17counting_iteratorIjlEEPS9_SE_NS0_5tupleIJPjSE_EEENSF_IJSE_SE_EEES9_SG_JZNS1_25segmented_radix_sort_implINS0_14default_configELb1EPK12hip_bfloat16PSL_PKlPlN2at6native12_GLOBAL__N_18offset_tEEE10hipError_tPvRmT1_PNSt15iterator_traitsISZ_E10value_typeET2_T3_PNS10_IS15_E10value_typeET4_jRbjT5_S1B_jjP12ihipStream_tbEUljE_EEESW_SX_SY_S15_S19_S1B_T6_T7_T9_mT8_S1D_bDpT10_ENKUlT_T0_E_clISt17integral_constantIbLb0EES1P_IbLb1EEEEDaS1L_S1M_EUlS1L_E_NS1_11comp_targetILNS1_3genE4ELNS1_11target_archE910ELNS1_3gpuE8ELNS1_3repE0EEENS1_30default_config_static_selectorELNS0_4arch9wavefront6targetE0EEEvSZ_,comdat
.Lfunc_end1940:
	.size	_ZN7rocprim17ROCPRIM_400000_NS6detail17trampoline_kernelINS0_13select_configILj256ELj13ELNS0_17block_load_methodE3ELS4_3ELS4_3ELNS0_20block_scan_algorithmE0ELj4294967295EEENS1_25partition_config_selectorILNS1_17partition_subalgoE3EjNS0_10empty_typeEbEEZZNS1_14partition_implILS8_3ELb0ES6_jNS0_17counting_iteratorIjlEEPS9_SE_NS0_5tupleIJPjSE_EEENSF_IJSE_SE_EEES9_SG_JZNS1_25segmented_radix_sort_implINS0_14default_configELb1EPK12hip_bfloat16PSL_PKlPlN2at6native12_GLOBAL__N_18offset_tEEE10hipError_tPvRmT1_PNSt15iterator_traitsISZ_E10value_typeET2_T3_PNS10_IS15_E10value_typeET4_jRbjT5_S1B_jjP12ihipStream_tbEUljE_EEESW_SX_SY_S15_S19_S1B_T6_T7_T9_mT8_S1D_bDpT10_ENKUlT_T0_E_clISt17integral_constantIbLb0EES1P_IbLb1EEEEDaS1L_S1M_EUlS1L_E_NS1_11comp_targetILNS1_3genE4ELNS1_11target_archE910ELNS1_3gpuE8ELNS1_3repE0EEENS1_30default_config_static_selectorELNS0_4arch9wavefront6targetE0EEEvSZ_, .Lfunc_end1940-_ZN7rocprim17ROCPRIM_400000_NS6detail17trampoline_kernelINS0_13select_configILj256ELj13ELNS0_17block_load_methodE3ELS4_3ELS4_3ELNS0_20block_scan_algorithmE0ELj4294967295EEENS1_25partition_config_selectorILNS1_17partition_subalgoE3EjNS0_10empty_typeEbEEZZNS1_14partition_implILS8_3ELb0ES6_jNS0_17counting_iteratorIjlEEPS9_SE_NS0_5tupleIJPjSE_EEENSF_IJSE_SE_EEES9_SG_JZNS1_25segmented_radix_sort_implINS0_14default_configELb1EPK12hip_bfloat16PSL_PKlPlN2at6native12_GLOBAL__N_18offset_tEEE10hipError_tPvRmT1_PNSt15iterator_traitsISZ_E10value_typeET2_T3_PNS10_IS15_E10value_typeET4_jRbjT5_S1B_jjP12ihipStream_tbEUljE_EEESW_SX_SY_S15_S19_S1B_T6_T7_T9_mT8_S1D_bDpT10_ENKUlT_T0_E_clISt17integral_constantIbLb0EES1P_IbLb1EEEEDaS1L_S1M_EUlS1L_E_NS1_11comp_targetILNS1_3genE4ELNS1_11target_archE910ELNS1_3gpuE8ELNS1_3repE0EEENS1_30default_config_static_selectorELNS0_4arch9wavefront6targetE0EEEvSZ_
                                        ; -- End function
	.set _ZN7rocprim17ROCPRIM_400000_NS6detail17trampoline_kernelINS0_13select_configILj256ELj13ELNS0_17block_load_methodE3ELS4_3ELS4_3ELNS0_20block_scan_algorithmE0ELj4294967295EEENS1_25partition_config_selectorILNS1_17partition_subalgoE3EjNS0_10empty_typeEbEEZZNS1_14partition_implILS8_3ELb0ES6_jNS0_17counting_iteratorIjlEEPS9_SE_NS0_5tupleIJPjSE_EEENSF_IJSE_SE_EEES9_SG_JZNS1_25segmented_radix_sort_implINS0_14default_configELb1EPK12hip_bfloat16PSL_PKlPlN2at6native12_GLOBAL__N_18offset_tEEE10hipError_tPvRmT1_PNSt15iterator_traitsISZ_E10value_typeET2_T3_PNS10_IS15_E10value_typeET4_jRbjT5_S1B_jjP12ihipStream_tbEUljE_EEESW_SX_SY_S15_S19_S1B_T6_T7_T9_mT8_S1D_bDpT10_ENKUlT_T0_E_clISt17integral_constantIbLb0EES1P_IbLb1EEEEDaS1L_S1M_EUlS1L_E_NS1_11comp_targetILNS1_3genE4ELNS1_11target_archE910ELNS1_3gpuE8ELNS1_3repE0EEENS1_30default_config_static_selectorELNS0_4arch9wavefront6targetE0EEEvSZ_.num_vgpr, 0
	.set _ZN7rocprim17ROCPRIM_400000_NS6detail17trampoline_kernelINS0_13select_configILj256ELj13ELNS0_17block_load_methodE3ELS4_3ELS4_3ELNS0_20block_scan_algorithmE0ELj4294967295EEENS1_25partition_config_selectorILNS1_17partition_subalgoE3EjNS0_10empty_typeEbEEZZNS1_14partition_implILS8_3ELb0ES6_jNS0_17counting_iteratorIjlEEPS9_SE_NS0_5tupleIJPjSE_EEENSF_IJSE_SE_EEES9_SG_JZNS1_25segmented_radix_sort_implINS0_14default_configELb1EPK12hip_bfloat16PSL_PKlPlN2at6native12_GLOBAL__N_18offset_tEEE10hipError_tPvRmT1_PNSt15iterator_traitsISZ_E10value_typeET2_T3_PNS10_IS15_E10value_typeET4_jRbjT5_S1B_jjP12ihipStream_tbEUljE_EEESW_SX_SY_S15_S19_S1B_T6_T7_T9_mT8_S1D_bDpT10_ENKUlT_T0_E_clISt17integral_constantIbLb0EES1P_IbLb1EEEEDaS1L_S1M_EUlS1L_E_NS1_11comp_targetILNS1_3genE4ELNS1_11target_archE910ELNS1_3gpuE8ELNS1_3repE0EEENS1_30default_config_static_selectorELNS0_4arch9wavefront6targetE0EEEvSZ_.num_agpr, 0
	.set _ZN7rocprim17ROCPRIM_400000_NS6detail17trampoline_kernelINS0_13select_configILj256ELj13ELNS0_17block_load_methodE3ELS4_3ELS4_3ELNS0_20block_scan_algorithmE0ELj4294967295EEENS1_25partition_config_selectorILNS1_17partition_subalgoE3EjNS0_10empty_typeEbEEZZNS1_14partition_implILS8_3ELb0ES6_jNS0_17counting_iteratorIjlEEPS9_SE_NS0_5tupleIJPjSE_EEENSF_IJSE_SE_EEES9_SG_JZNS1_25segmented_radix_sort_implINS0_14default_configELb1EPK12hip_bfloat16PSL_PKlPlN2at6native12_GLOBAL__N_18offset_tEEE10hipError_tPvRmT1_PNSt15iterator_traitsISZ_E10value_typeET2_T3_PNS10_IS15_E10value_typeET4_jRbjT5_S1B_jjP12ihipStream_tbEUljE_EEESW_SX_SY_S15_S19_S1B_T6_T7_T9_mT8_S1D_bDpT10_ENKUlT_T0_E_clISt17integral_constantIbLb0EES1P_IbLb1EEEEDaS1L_S1M_EUlS1L_E_NS1_11comp_targetILNS1_3genE4ELNS1_11target_archE910ELNS1_3gpuE8ELNS1_3repE0EEENS1_30default_config_static_selectorELNS0_4arch9wavefront6targetE0EEEvSZ_.numbered_sgpr, 0
	.set _ZN7rocprim17ROCPRIM_400000_NS6detail17trampoline_kernelINS0_13select_configILj256ELj13ELNS0_17block_load_methodE3ELS4_3ELS4_3ELNS0_20block_scan_algorithmE0ELj4294967295EEENS1_25partition_config_selectorILNS1_17partition_subalgoE3EjNS0_10empty_typeEbEEZZNS1_14partition_implILS8_3ELb0ES6_jNS0_17counting_iteratorIjlEEPS9_SE_NS0_5tupleIJPjSE_EEENSF_IJSE_SE_EEES9_SG_JZNS1_25segmented_radix_sort_implINS0_14default_configELb1EPK12hip_bfloat16PSL_PKlPlN2at6native12_GLOBAL__N_18offset_tEEE10hipError_tPvRmT1_PNSt15iterator_traitsISZ_E10value_typeET2_T3_PNS10_IS15_E10value_typeET4_jRbjT5_S1B_jjP12ihipStream_tbEUljE_EEESW_SX_SY_S15_S19_S1B_T6_T7_T9_mT8_S1D_bDpT10_ENKUlT_T0_E_clISt17integral_constantIbLb0EES1P_IbLb1EEEEDaS1L_S1M_EUlS1L_E_NS1_11comp_targetILNS1_3genE4ELNS1_11target_archE910ELNS1_3gpuE8ELNS1_3repE0EEENS1_30default_config_static_selectorELNS0_4arch9wavefront6targetE0EEEvSZ_.num_named_barrier, 0
	.set _ZN7rocprim17ROCPRIM_400000_NS6detail17trampoline_kernelINS0_13select_configILj256ELj13ELNS0_17block_load_methodE3ELS4_3ELS4_3ELNS0_20block_scan_algorithmE0ELj4294967295EEENS1_25partition_config_selectorILNS1_17partition_subalgoE3EjNS0_10empty_typeEbEEZZNS1_14partition_implILS8_3ELb0ES6_jNS0_17counting_iteratorIjlEEPS9_SE_NS0_5tupleIJPjSE_EEENSF_IJSE_SE_EEES9_SG_JZNS1_25segmented_radix_sort_implINS0_14default_configELb1EPK12hip_bfloat16PSL_PKlPlN2at6native12_GLOBAL__N_18offset_tEEE10hipError_tPvRmT1_PNSt15iterator_traitsISZ_E10value_typeET2_T3_PNS10_IS15_E10value_typeET4_jRbjT5_S1B_jjP12ihipStream_tbEUljE_EEESW_SX_SY_S15_S19_S1B_T6_T7_T9_mT8_S1D_bDpT10_ENKUlT_T0_E_clISt17integral_constantIbLb0EES1P_IbLb1EEEEDaS1L_S1M_EUlS1L_E_NS1_11comp_targetILNS1_3genE4ELNS1_11target_archE910ELNS1_3gpuE8ELNS1_3repE0EEENS1_30default_config_static_selectorELNS0_4arch9wavefront6targetE0EEEvSZ_.private_seg_size, 0
	.set _ZN7rocprim17ROCPRIM_400000_NS6detail17trampoline_kernelINS0_13select_configILj256ELj13ELNS0_17block_load_methodE3ELS4_3ELS4_3ELNS0_20block_scan_algorithmE0ELj4294967295EEENS1_25partition_config_selectorILNS1_17partition_subalgoE3EjNS0_10empty_typeEbEEZZNS1_14partition_implILS8_3ELb0ES6_jNS0_17counting_iteratorIjlEEPS9_SE_NS0_5tupleIJPjSE_EEENSF_IJSE_SE_EEES9_SG_JZNS1_25segmented_radix_sort_implINS0_14default_configELb1EPK12hip_bfloat16PSL_PKlPlN2at6native12_GLOBAL__N_18offset_tEEE10hipError_tPvRmT1_PNSt15iterator_traitsISZ_E10value_typeET2_T3_PNS10_IS15_E10value_typeET4_jRbjT5_S1B_jjP12ihipStream_tbEUljE_EEESW_SX_SY_S15_S19_S1B_T6_T7_T9_mT8_S1D_bDpT10_ENKUlT_T0_E_clISt17integral_constantIbLb0EES1P_IbLb1EEEEDaS1L_S1M_EUlS1L_E_NS1_11comp_targetILNS1_3genE4ELNS1_11target_archE910ELNS1_3gpuE8ELNS1_3repE0EEENS1_30default_config_static_selectorELNS0_4arch9wavefront6targetE0EEEvSZ_.uses_vcc, 0
	.set _ZN7rocprim17ROCPRIM_400000_NS6detail17trampoline_kernelINS0_13select_configILj256ELj13ELNS0_17block_load_methodE3ELS4_3ELS4_3ELNS0_20block_scan_algorithmE0ELj4294967295EEENS1_25partition_config_selectorILNS1_17partition_subalgoE3EjNS0_10empty_typeEbEEZZNS1_14partition_implILS8_3ELb0ES6_jNS0_17counting_iteratorIjlEEPS9_SE_NS0_5tupleIJPjSE_EEENSF_IJSE_SE_EEES9_SG_JZNS1_25segmented_radix_sort_implINS0_14default_configELb1EPK12hip_bfloat16PSL_PKlPlN2at6native12_GLOBAL__N_18offset_tEEE10hipError_tPvRmT1_PNSt15iterator_traitsISZ_E10value_typeET2_T3_PNS10_IS15_E10value_typeET4_jRbjT5_S1B_jjP12ihipStream_tbEUljE_EEESW_SX_SY_S15_S19_S1B_T6_T7_T9_mT8_S1D_bDpT10_ENKUlT_T0_E_clISt17integral_constantIbLb0EES1P_IbLb1EEEEDaS1L_S1M_EUlS1L_E_NS1_11comp_targetILNS1_3genE4ELNS1_11target_archE910ELNS1_3gpuE8ELNS1_3repE0EEENS1_30default_config_static_selectorELNS0_4arch9wavefront6targetE0EEEvSZ_.uses_flat_scratch, 0
	.set _ZN7rocprim17ROCPRIM_400000_NS6detail17trampoline_kernelINS0_13select_configILj256ELj13ELNS0_17block_load_methodE3ELS4_3ELS4_3ELNS0_20block_scan_algorithmE0ELj4294967295EEENS1_25partition_config_selectorILNS1_17partition_subalgoE3EjNS0_10empty_typeEbEEZZNS1_14partition_implILS8_3ELb0ES6_jNS0_17counting_iteratorIjlEEPS9_SE_NS0_5tupleIJPjSE_EEENSF_IJSE_SE_EEES9_SG_JZNS1_25segmented_radix_sort_implINS0_14default_configELb1EPK12hip_bfloat16PSL_PKlPlN2at6native12_GLOBAL__N_18offset_tEEE10hipError_tPvRmT1_PNSt15iterator_traitsISZ_E10value_typeET2_T3_PNS10_IS15_E10value_typeET4_jRbjT5_S1B_jjP12ihipStream_tbEUljE_EEESW_SX_SY_S15_S19_S1B_T6_T7_T9_mT8_S1D_bDpT10_ENKUlT_T0_E_clISt17integral_constantIbLb0EES1P_IbLb1EEEEDaS1L_S1M_EUlS1L_E_NS1_11comp_targetILNS1_3genE4ELNS1_11target_archE910ELNS1_3gpuE8ELNS1_3repE0EEENS1_30default_config_static_selectorELNS0_4arch9wavefront6targetE0EEEvSZ_.has_dyn_sized_stack, 0
	.set _ZN7rocprim17ROCPRIM_400000_NS6detail17trampoline_kernelINS0_13select_configILj256ELj13ELNS0_17block_load_methodE3ELS4_3ELS4_3ELNS0_20block_scan_algorithmE0ELj4294967295EEENS1_25partition_config_selectorILNS1_17partition_subalgoE3EjNS0_10empty_typeEbEEZZNS1_14partition_implILS8_3ELb0ES6_jNS0_17counting_iteratorIjlEEPS9_SE_NS0_5tupleIJPjSE_EEENSF_IJSE_SE_EEES9_SG_JZNS1_25segmented_radix_sort_implINS0_14default_configELb1EPK12hip_bfloat16PSL_PKlPlN2at6native12_GLOBAL__N_18offset_tEEE10hipError_tPvRmT1_PNSt15iterator_traitsISZ_E10value_typeET2_T3_PNS10_IS15_E10value_typeET4_jRbjT5_S1B_jjP12ihipStream_tbEUljE_EEESW_SX_SY_S15_S19_S1B_T6_T7_T9_mT8_S1D_bDpT10_ENKUlT_T0_E_clISt17integral_constantIbLb0EES1P_IbLb1EEEEDaS1L_S1M_EUlS1L_E_NS1_11comp_targetILNS1_3genE4ELNS1_11target_archE910ELNS1_3gpuE8ELNS1_3repE0EEENS1_30default_config_static_selectorELNS0_4arch9wavefront6targetE0EEEvSZ_.has_recursion, 0
	.set _ZN7rocprim17ROCPRIM_400000_NS6detail17trampoline_kernelINS0_13select_configILj256ELj13ELNS0_17block_load_methodE3ELS4_3ELS4_3ELNS0_20block_scan_algorithmE0ELj4294967295EEENS1_25partition_config_selectorILNS1_17partition_subalgoE3EjNS0_10empty_typeEbEEZZNS1_14partition_implILS8_3ELb0ES6_jNS0_17counting_iteratorIjlEEPS9_SE_NS0_5tupleIJPjSE_EEENSF_IJSE_SE_EEES9_SG_JZNS1_25segmented_radix_sort_implINS0_14default_configELb1EPK12hip_bfloat16PSL_PKlPlN2at6native12_GLOBAL__N_18offset_tEEE10hipError_tPvRmT1_PNSt15iterator_traitsISZ_E10value_typeET2_T3_PNS10_IS15_E10value_typeET4_jRbjT5_S1B_jjP12ihipStream_tbEUljE_EEESW_SX_SY_S15_S19_S1B_T6_T7_T9_mT8_S1D_bDpT10_ENKUlT_T0_E_clISt17integral_constantIbLb0EES1P_IbLb1EEEEDaS1L_S1M_EUlS1L_E_NS1_11comp_targetILNS1_3genE4ELNS1_11target_archE910ELNS1_3gpuE8ELNS1_3repE0EEENS1_30default_config_static_selectorELNS0_4arch9wavefront6targetE0EEEvSZ_.has_indirect_call, 0
	.section	.AMDGPU.csdata,"",@progbits
; Kernel info:
; codeLenInByte = 0
; TotalNumSgprs: 0
; NumVgprs: 0
; ScratchSize: 0
; MemoryBound: 0
; FloatMode: 240
; IeeeMode: 1
; LDSByteSize: 0 bytes/workgroup (compile time only)
; SGPRBlocks: 0
; VGPRBlocks: 0
; NumSGPRsForWavesPerEU: 1
; NumVGPRsForWavesPerEU: 1
; Occupancy: 16
; WaveLimiterHint : 0
; COMPUTE_PGM_RSRC2:SCRATCH_EN: 0
; COMPUTE_PGM_RSRC2:USER_SGPR: 2
; COMPUTE_PGM_RSRC2:TRAP_HANDLER: 0
; COMPUTE_PGM_RSRC2:TGID_X_EN: 1
; COMPUTE_PGM_RSRC2:TGID_Y_EN: 0
; COMPUTE_PGM_RSRC2:TGID_Z_EN: 0
; COMPUTE_PGM_RSRC2:TIDIG_COMP_CNT: 0
	.section	.text._ZN7rocprim17ROCPRIM_400000_NS6detail17trampoline_kernelINS0_13select_configILj256ELj13ELNS0_17block_load_methodE3ELS4_3ELS4_3ELNS0_20block_scan_algorithmE0ELj4294967295EEENS1_25partition_config_selectorILNS1_17partition_subalgoE3EjNS0_10empty_typeEbEEZZNS1_14partition_implILS8_3ELb0ES6_jNS0_17counting_iteratorIjlEEPS9_SE_NS0_5tupleIJPjSE_EEENSF_IJSE_SE_EEES9_SG_JZNS1_25segmented_radix_sort_implINS0_14default_configELb1EPK12hip_bfloat16PSL_PKlPlN2at6native12_GLOBAL__N_18offset_tEEE10hipError_tPvRmT1_PNSt15iterator_traitsISZ_E10value_typeET2_T3_PNS10_IS15_E10value_typeET4_jRbjT5_S1B_jjP12ihipStream_tbEUljE_EEESW_SX_SY_S15_S19_S1B_T6_T7_T9_mT8_S1D_bDpT10_ENKUlT_T0_E_clISt17integral_constantIbLb0EES1P_IbLb1EEEEDaS1L_S1M_EUlS1L_E_NS1_11comp_targetILNS1_3genE3ELNS1_11target_archE908ELNS1_3gpuE7ELNS1_3repE0EEENS1_30default_config_static_selectorELNS0_4arch9wavefront6targetE0EEEvSZ_,"axG",@progbits,_ZN7rocprim17ROCPRIM_400000_NS6detail17trampoline_kernelINS0_13select_configILj256ELj13ELNS0_17block_load_methodE3ELS4_3ELS4_3ELNS0_20block_scan_algorithmE0ELj4294967295EEENS1_25partition_config_selectorILNS1_17partition_subalgoE3EjNS0_10empty_typeEbEEZZNS1_14partition_implILS8_3ELb0ES6_jNS0_17counting_iteratorIjlEEPS9_SE_NS0_5tupleIJPjSE_EEENSF_IJSE_SE_EEES9_SG_JZNS1_25segmented_radix_sort_implINS0_14default_configELb1EPK12hip_bfloat16PSL_PKlPlN2at6native12_GLOBAL__N_18offset_tEEE10hipError_tPvRmT1_PNSt15iterator_traitsISZ_E10value_typeET2_T3_PNS10_IS15_E10value_typeET4_jRbjT5_S1B_jjP12ihipStream_tbEUljE_EEESW_SX_SY_S15_S19_S1B_T6_T7_T9_mT8_S1D_bDpT10_ENKUlT_T0_E_clISt17integral_constantIbLb0EES1P_IbLb1EEEEDaS1L_S1M_EUlS1L_E_NS1_11comp_targetILNS1_3genE3ELNS1_11target_archE908ELNS1_3gpuE7ELNS1_3repE0EEENS1_30default_config_static_selectorELNS0_4arch9wavefront6targetE0EEEvSZ_,comdat
	.globl	_ZN7rocprim17ROCPRIM_400000_NS6detail17trampoline_kernelINS0_13select_configILj256ELj13ELNS0_17block_load_methodE3ELS4_3ELS4_3ELNS0_20block_scan_algorithmE0ELj4294967295EEENS1_25partition_config_selectorILNS1_17partition_subalgoE3EjNS0_10empty_typeEbEEZZNS1_14partition_implILS8_3ELb0ES6_jNS0_17counting_iteratorIjlEEPS9_SE_NS0_5tupleIJPjSE_EEENSF_IJSE_SE_EEES9_SG_JZNS1_25segmented_radix_sort_implINS0_14default_configELb1EPK12hip_bfloat16PSL_PKlPlN2at6native12_GLOBAL__N_18offset_tEEE10hipError_tPvRmT1_PNSt15iterator_traitsISZ_E10value_typeET2_T3_PNS10_IS15_E10value_typeET4_jRbjT5_S1B_jjP12ihipStream_tbEUljE_EEESW_SX_SY_S15_S19_S1B_T6_T7_T9_mT8_S1D_bDpT10_ENKUlT_T0_E_clISt17integral_constantIbLb0EES1P_IbLb1EEEEDaS1L_S1M_EUlS1L_E_NS1_11comp_targetILNS1_3genE3ELNS1_11target_archE908ELNS1_3gpuE7ELNS1_3repE0EEENS1_30default_config_static_selectorELNS0_4arch9wavefront6targetE0EEEvSZ_ ; -- Begin function _ZN7rocprim17ROCPRIM_400000_NS6detail17trampoline_kernelINS0_13select_configILj256ELj13ELNS0_17block_load_methodE3ELS4_3ELS4_3ELNS0_20block_scan_algorithmE0ELj4294967295EEENS1_25partition_config_selectorILNS1_17partition_subalgoE3EjNS0_10empty_typeEbEEZZNS1_14partition_implILS8_3ELb0ES6_jNS0_17counting_iteratorIjlEEPS9_SE_NS0_5tupleIJPjSE_EEENSF_IJSE_SE_EEES9_SG_JZNS1_25segmented_radix_sort_implINS0_14default_configELb1EPK12hip_bfloat16PSL_PKlPlN2at6native12_GLOBAL__N_18offset_tEEE10hipError_tPvRmT1_PNSt15iterator_traitsISZ_E10value_typeET2_T3_PNS10_IS15_E10value_typeET4_jRbjT5_S1B_jjP12ihipStream_tbEUljE_EEESW_SX_SY_S15_S19_S1B_T6_T7_T9_mT8_S1D_bDpT10_ENKUlT_T0_E_clISt17integral_constantIbLb0EES1P_IbLb1EEEEDaS1L_S1M_EUlS1L_E_NS1_11comp_targetILNS1_3genE3ELNS1_11target_archE908ELNS1_3gpuE7ELNS1_3repE0EEENS1_30default_config_static_selectorELNS0_4arch9wavefront6targetE0EEEvSZ_
	.p2align	8
	.type	_ZN7rocprim17ROCPRIM_400000_NS6detail17trampoline_kernelINS0_13select_configILj256ELj13ELNS0_17block_load_methodE3ELS4_3ELS4_3ELNS0_20block_scan_algorithmE0ELj4294967295EEENS1_25partition_config_selectorILNS1_17partition_subalgoE3EjNS0_10empty_typeEbEEZZNS1_14partition_implILS8_3ELb0ES6_jNS0_17counting_iteratorIjlEEPS9_SE_NS0_5tupleIJPjSE_EEENSF_IJSE_SE_EEES9_SG_JZNS1_25segmented_radix_sort_implINS0_14default_configELb1EPK12hip_bfloat16PSL_PKlPlN2at6native12_GLOBAL__N_18offset_tEEE10hipError_tPvRmT1_PNSt15iterator_traitsISZ_E10value_typeET2_T3_PNS10_IS15_E10value_typeET4_jRbjT5_S1B_jjP12ihipStream_tbEUljE_EEESW_SX_SY_S15_S19_S1B_T6_T7_T9_mT8_S1D_bDpT10_ENKUlT_T0_E_clISt17integral_constantIbLb0EES1P_IbLb1EEEEDaS1L_S1M_EUlS1L_E_NS1_11comp_targetILNS1_3genE3ELNS1_11target_archE908ELNS1_3gpuE7ELNS1_3repE0EEENS1_30default_config_static_selectorELNS0_4arch9wavefront6targetE0EEEvSZ_,@function
_ZN7rocprim17ROCPRIM_400000_NS6detail17trampoline_kernelINS0_13select_configILj256ELj13ELNS0_17block_load_methodE3ELS4_3ELS4_3ELNS0_20block_scan_algorithmE0ELj4294967295EEENS1_25partition_config_selectorILNS1_17partition_subalgoE3EjNS0_10empty_typeEbEEZZNS1_14partition_implILS8_3ELb0ES6_jNS0_17counting_iteratorIjlEEPS9_SE_NS0_5tupleIJPjSE_EEENSF_IJSE_SE_EEES9_SG_JZNS1_25segmented_radix_sort_implINS0_14default_configELb1EPK12hip_bfloat16PSL_PKlPlN2at6native12_GLOBAL__N_18offset_tEEE10hipError_tPvRmT1_PNSt15iterator_traitsISZ_E10value_typeET2_T3_PNS10_IS15_E10value_typeET4_jRbjT5_S1B_jjP12ihipStream_tbEUljE_EEESW_SX_SY_S15_S19_S1B_T6_T7_T9_mT8_S1D_bDpT10_ENKUlT_T0_E_clISt17integral_constantIbLb0EES1P_IbLb1EEEEDaS1L_S1M_EUlS1L_E_NS1_11comp_targetILNS1_3genE3ELNS1_11target_archE908ELNS1_3gpuE7ELNS1_3repE0EEENS1_30default_config_static_selectorELNS0_4arch9wavefront6targetE0EEEvSZ_: ; @_ZN7rocprim17ROCPRIM_400000_NS6detail17trampoline_kernelINS0_13select_configILj256ELj13ELNS0_17block_load_methodE3ELS4_3ELS4_3ELNS0_20block_scan_algorithmE0ELj4294967295EEENS1_25partition_config_selectorILNS1_17partition_subalgoE3EjNS0_10empty_typeEbEEZZNS1_14partition_implILS8_3ELb0ES6_jNS0_17counting_iteratorIjlEEPS9_SE_NS0_5tupleIJPjSE_EEENSF_IJSE_SE_EEES9_SG_JZNS1_25segmented_radix_sort_implINS0_14default_configELb1EPK12hip_bfloat16PSL_PKlPlN2at6native12_GLOBAL__N_18offset_tEEE10hipError_tPvRmT1_PNSt15iterator_traitsISZ_E10value_typeET2_T3_PNS10_IS15_E10value_typeET4_jRbjT5_S1B_jjP12ihipStream_tbEUljE_EEESW_SX_SY_S15_S19_S1B_T6_T7_T9_mT8_S1D_bDpT10_ENKUlT_T0_E_clISt17integral_constantIbLb0EES1P_IbLb1EEEEDaS1L_S1M_EUlS1L_E_NS1_11comp_targetILNS1_3genE3ELNS1_11target_archE908ELNS1_3gpuE7ELNS1_3repE0EEENS1_30default_config_static_selectorELNS0_4arch9wavefront6targetE0EEEvSZ_
; %bb.0:
	.section	.rodata,"a",@progbits
	.p2align	6, 0x0
	.amdhsa_kernel _ZN7rocprim17ROCPRIM_400000_NS6detail17trampoline_kernelINS0_13select_configILj256ELj13ELNS0_17block_load_methodE3ELS4_3ELS4_3ELNS0_20block_scan_algorithmE0ELj4294967295EEENS1_25partition_config_selectorILNS1_17partition_subalgoE3EjNS0_10empty_typeEbEEZZNS1_14partition_implILS8_3ELb0ES6_jNS0_17counting_iteratorIjlEEPS9_SE_NS0_5tupleIJPjSE_EEENSF_IJSE_SE_EEES9_SG_JZNS1_25segmented_radix_sort_implINS0_14default_configELb1EPK12hip_bfloat16PSL_PKlPlN2at6native12_GLOBAL__N_18offset_tEEE10hipError_tPvRmT1_PNSt15iterator_traitsISZ_E10value_typeET2_T3_PNS10_IS15_E10value_typeET4_jRbjT5_S1B_jjP12ihipStream_tbEUljE_EEESW_SX_SY_S15_S19_S1B_T6_T7_T9_mT8_S1D_bDpT10_ENKUlT_T0_E_clISt17integral_constantIbLb0EES1P_IbLb1EEEEDaS1L_S1M_EUlS1L_E_NS1_11comp_targetILNS1_3genE3ELNS1_11target_archE908ELNS1_3gpuE7ELNS1_3repE0EEENS1_30default_config_static_selectorELNS0_4arch9wavefront6targetE0EEEvSZ_
		.amdhsa_group_segment_fixed_size 0
		.amdhsa_private_segment_fixed_size 0
		.amdhsa_kernarg_size 152
		.amdhsa_user_sgpr_count 2
		.amdhsa_user_sgpr_dispatch_ptr 0
		.amdhsa_user_sgpr_queue_ptr 0
		.amdhsa_user_sgpr_kernarg_segment_ptr 1
		.amdhsa_user_sgpr_dispatch_id 0
		.amdhsa_user_sgpr_private_segment_size 0
		.amdhsa_wavefront_size32 1
		.amdhsa_uses_dynamic_stack 0
		.amdhsa_enable_private_segment 0
		.amdhsa_system_sgpr_workgroup_id_x 1
		.amdhsa_system_sgpr_workgroup_id_y 0
		.amdhsa_system_sgpr_workgroup_id_z 0
		.amdhsa_system_sgpr_workgroup_info 0
		.amdhsa_system_vgpr_workitem_id 0
		.amdhsa_next_free_vgpr 1
		.amdhsa_next_free_sgpr 1
		.amdhsa_reserve_vcc 0
		.amdhsa_float_round_mode_32 0
		.amdhsa_float_round_mode_16_64 0
		.amdhsa_float_denorm_mode_32 3
		.amdhsa_float_denorm_mode_16_64 3
		.amdhsa_fp16_overflow 0
		.amdhsa_workgroup_processor_mode 1
		.amdhsa_memory_ordered 1
		.amdhsa_forward_progress 1
		.amdhsa_inst_pref_size 0
		.amdhsa_round_robin_scheduling 0
		.amdhsa_exception_fp_ieee_invalid_op 0
		.amdhsa_exception_fp_denorm_src 0
		.amdhsa_exception_fp_ieee_div_zero 0
		.amdhsa_exception_fp_ieee_overflow 0
		.amdhsa_exception_fp_ieee_underflow 0
		.amdhsa_exception_fp_ieee_inexact 0
		.amdhsa_exception_int_div_zero 0
	.end_amdhsa_kernel
	.section	.text._ZN7rocprim17ROCPRIM_400000_NS6detail17trampoline_kernelINS0_13select_configILj256ELj13ELNS0_17block_load_methodE3ELS4_3ELS4_3ELNS0_20block_scan_algorithmE0ELj4294967295EEENS1_25partition_config_selectorILNS1_17partition_subalgoE3EjNS0_10empty_typeEbEEZZNS1_14partition_implILS8_3ELb0ES6_jNS0_17counting_iteratorIjlEEPS9_SE_NS0_5tupleIJPjSE_EEENSF_IJSE_SE_EEES9_SG_JZNS1_25segmented_radix_sort_implINS0_14default_configELb1EPK12hip_bfloat16PSL_PKlPlN2at6native12_GLOBAL__N_18offset_tEEE10hipError_tPvRmT1_PNSt15iterator_traitsISZ_E10value_typeET2_T3_PNS10_IS15_E10value_typeET4_jRbjT5_S1B_jjP12ihipStream_tbEUljE_EEESW_SX_SY_S15_S19_S1B_T6_T7_T9_mT8_S1D_bDpT10_ENKUlT_T0_E_clISt17integral_constantIbLb0EES1P_IbLb1EEEEDaS1L_S1M_EUlS1L_E_NS1_11comp_targetILNS1_3genE3ELNS1_11target_archE908ELNS1_3gpuE7ELNS1_3repE0EEENS1_30default_config_static_selectorELNS0_4arch9wavefront6targetE0EEEvSZ_,"axG",@progbits,_ZN7rocprim17ROCPRIM_400000_NS6detail17trampoline_kernelINS0_13select_configILj256ELj13ELNS0_17block_load_methodE3ELS4_3ELS4_3ELNS0_20block_scan_algorithmE0ELj4294967295EEENS1_25partition_config_selectorILNS1_17partition_subalgoE3EjNS0_10empty_typeEbEEZZNS1_14partition_implILS8_3ELb0ES6_jNS0_17counting_iteratorIjlEEPS9_SE_NS0_5tupleIJPjSE_EEENSF_IJSE_SE_EEES9_SG_JZNS1_25segmented_radix_sort_implINS0_14default_configELb1EPK12hip_bfloat16PSL_PKlPlN2at6native12_GLOBAL__N_18offset_tEEE10hipError_tPvRmT1_PNSt15iterator_traitsISZ_E10value_typeET2_T3_PNS10_IS15_E10value_typeET4_jRbjT5_S1B_jjP12ihipStream_tbEUljE_EEESW_SX_SY_S15_S19_S1B_T6_T7_T9_mT8_S1D_bDpT10_ENKUlT_T0_E_clISt17integral_constantIbLb0EES1P_IbLb1EEEEDaS1L_S1M_EUlS1L_E_NS1_11comp_targetILNS1_3genE3ELNS1_11target_archE908ELNS1_3gpuE7ELNS1_3repE0EEENS1_30default_config_static_selectorELNS0_4arch9wavefront6targetE0EEEvSZ_,comdat
.Lfunc_end1941:
	.size	_ZN7rocprim17ROCPRIM_400000_NS6detail17trampoline_kernelINS0_13select_configILj256ELj13ELNS0_17block_load_methodE3ELS4_3ELS4_3ELNS0_20block_scan_algorithmE0ELj4294967295EEENS1_25partition_config_selectorILNS1_17partition_subalgoE3EjNS0_10empty_typeEbEEZZNS1_14partition_implILS8_3ELb0ES6_jNS0_17counting_iteratorIjlEEPS9_SE_NS0_5tupleIJPjSE_EEENSF_IJSE_SE_EEES9_SG_JZNS1_25segmented_radix_sort_implINS0_14default_configELb1EPK12hip_bfloat16PSL_PKlPlN2at6native12_GLOBAL__N_18offset_tEEE10hipError_tPvRmT1_PNSt15iterator_traitsISZ_E10value_typeET2_T3_PNS10_IS15_E10value_typeET4_jRbjT5_S1B_jjP12ihipStream_tbEUljE_EEESW_SX_SY_S15_S19_S1B_T6_T7_T9_mT8_S1D_bDpT10_ENKUlT_T0_E_clISt17integral_constantIbLb0EES1P_IbLb1EEEEDaS1L_S1M_EUlS1L_E_NS1_11comp_targetILNS1_3genE3ELNS1_11target_archE908ELNS1_3gpuE7ELNS1_3repE0EEENS1_30default_config_static_selectorELNS0_4arch9wavefront6targetE0EEEvSZ_, .Lfunc_end1941-_ZN7rocprim17ROCPRIM_400000_NS6detail17trampoline_kernelINS0_13select_configILj256ELj13ELNS0_17block_load_methodE3ELS4_3ELS4_3ELNS0_20block_scan_algorithmE0ELj4294967295EEENS1_25partition_config_selectorILNS1_17partition_subalgoE3EjNS0_10empty_typeEbEEZZNS1_14partition_implILS8_3ELb0ES6_jNS0_17counting_iteratorIjlEEPS9_SE_NS0_5tupleIJPjSE_EEENSF_IJSE_SE_EEES9_SG_JZNS1_25segmented_radix_sort_implINS0_14default_configELb1EPK12hip_bfloat16PSL_PKlPlN2at6native12_GLOBAL__N_18offset_tEEE10hipError_tPvRmT1_PNSt15iterator_traitsISZ_E10value_typeET2_T3_PNS10_IS15_E10value_typeET4_jRbjT5_S1B_jjP12ihipStream_tbEUljE_EEESW_SX_SY_S15_S19_S1B_T6_T7_T9_mT8_S1D_bDpT10_ENKUlT_T0_E_clISt17integral_constantIbLb0EES1P_IbLb1EEEEDaS1L_S1M_EUlS1L_E_NS1_11comp_targetILNS1_3genE3ELNS1_11target_archE908ELNS1_3gpuE7ELNS1_3repE0EEENS1_30default_config_static_selectorELNS0_4arch9wavefront6targetE0EEEvSZ_
                                        ; -- End function
	.set _ZN7rocprim17ROCPRIM_400000_NS6detail17trampoline_kernelINS0_13select_configILj256ELj13ELNS0_17block_load_methodE3ELS4_3ELS4_3ELNS0_20block_scan_algorithmE0ELj4294967295EEENS1_25partition_config_selectorILNS1_17partition_subalgoE3EjNS0_10empty_typeEbEEZZNS1_14partition_implILS8_3ELb0ES6_jNS0_17counting_iteratorIjlEEPS9_SE_NS0_5tupleIJPjSE_EEENSF_IJSE_SE_EEES9_SG_JZNS1_25segmented_radix_sort_implINS0_14default_configELb1EPK12hip_bfloat16PSL_PKlPlN2at6native12_GLOBAL__N_18offset_tEEE10hipError_tPvRmT1_PNSt15iterator_traitsISZ_E10value_typeET2_T3_PNS10_IS15_E10value_typeET4_jRbjT5_S1B_jjP12ihipStream_tbEUljE_EEESW_SX_SY_S15_S19_S1B_T6_T7_T9_mT8_S1D_bDpT10_ENKUlT_T0_E_clISt17integral_constantIbLb0EES1P_IbLb1EEEEDaS1L_S1M_EUlS1L_E_NS1_11comp_targetILNS1_3genE3ELNS1_11target_archE908ELNS1_3gpuE7ELNS1_3repE0EEENS1_30default_config_static_selectorELNS0_4arch9wavefront6targetE0EEEvSZ_.num_vgpr, 0
	.set _ZN7rocprim17ROCPRIM_400000_NS6detail17trampoline_kernelINS0_13select_configILj256ELj13ELNS0_17block_load_methodE3ELS4_3ELS4_3ELNS0_20block_scan_algorithmE0ELj4294967295EEENS1_25partition_config_selectorILNS1_17partition_subalgoE3EjNS0_10empty_typeEbEEZZNS1_14partition_implILS8_3ELb0ES6_jNS0_17counting_iteratorIjlEEPS9_SE_NS0_5tupleIJPjSE_EEENSF_IJSE_SE_EEES9_SG_JZNS1_25segmented_radix_sort_implINS0_14default_configELb1EPK12hip_bfloat16PSL_PKlPlN2at6native12_GLOBAL__N_18offset_tEEE10hipError_tPvRmT1_PNSt15iterator_traitsISZ_E10value_typeET2_T3_PNS10_IS15_E10value_typeET4_jRbjT5_S1B_jjP12ihipStream_tbEUljE_EEESW_SX_SY_S15_S19_S1B_T6_T7_T9_mT8_S1D_bDpT10_ENKUlT_T0_E_clISt17integral_constantIbLb0EES1P_IbLb1EEEEDaS1L_S1M_EUlS1L_E_NS1_11comp_targetILNS1_3genE3ELNS1_11target_archE908ELNS1_3gpuE7ELNS1_3repE0EEENS1_30default_config_static_selectorELNS0_4arch9wavefront6targetE0EEEvSZ_.num_agpr, 0
	.set _ZN7rocprim17ROCPRIM_400000_NS6detail17trampoline_kernelINS0_13select_configILj256ELj13ELNS0_17block_load_methodE3ELS4_3ELS4_3ELNS0_20block_scan_algorithmE0ELj4294967295EEENS1_25partition_config_selectorILNS1_17partition_subalgoE3EjNS0_10empty_typeEbEEZZNS1_14partition_implILS8_3ELb0ES6_jNS0_17counting_iteratorIjlEEPS9_SE_NS0_5tupleIJPjSE_EEENSF_IJSE_SE_EEES9_SG_JZNS1_25segmented_radix_sort_implINS0_14default_configELb1EPK12hip_bfloat16PSL_PKlPlN2at6native12_GLOBAL__N_18offset_tEEE10hipError_tPvRmT1_PNSt15iterator_traitsISZ_E10value_typeET2_T3_PNS10_IS15_E10value_typeET4_jRbjT5_S1B_jjP12ihipStream_tbEUljE_EEESW_SX_SY_S15_S19_S1B_T6_T7_T9_mT8_S1D_bDpT10_ENKUlT_T0_E_clISt17integral_constantIbLb0EES1P_IbLb1EEEEDaS1L_S1M_EUlS1L_E_NS1_11comp_targetILNS1_3genE3ELNS1_11target_archE908ELNS1_3gpuE7ELNS1_3repE0EEENS1_30default_config_static_selectorELNS0_4arch9wavefront6targetE0EEEvSZ_.numbered_sgpr, 0
	.set _ZN7rocprim17ROCPRIM_400000_NS6detail17trampoline_kernelINS0_13select_configILj256ELj13ELNS0_17block_load_methodE3ELS4_3ELS4_3ELNS0_20block_scan_algorithmE0ELj4294967295EEENS1_25partition_config_selectorILNS1_17partition_subalgoE3EjNS0_10empty_typeEbEEZZNS1_14partition_implILS8_3ELb0ES6_jNS0_17counting_iteratorIjlEEPS9_SE_NS0_5tupleIJPjSE_EEENSF_IJSE_SE_EEES9_SG_JZNS1_25segmented_radix_sort_implINS0_14default_configELb1EPK12hip_bfloat16PSL_PKlPlN2at6native12_GLOBAL__N_18offset_tEEE10hipError_tPvRmT1_PNSt15iterator_traitsISZ_E10value_typeET2_T3_PNS10_IS15_E10value_typeET4_jRbjT5_S1B_jjP12ihipStream_tbEUljE_EEESW_SX_SY_S15_S19_S1B_T6_T7_T9_mT8_S1D_bDpT10_ENKUlT_T0_E_clISt17integral_constantIbLb0EES1P_IbLb1EEEEDaS1L_S1M_EUlS1L_E_NS1_11comp_targetILNS1_3genE3ELNS1_11target_archE908ELNS1_3gpuE7ELNS1_3repE0EEENS1_30default_config_static_selectorELNS0_4arch9wavefront6targetE0EEEvSZ_.num_named_barrier, 0
	.set _ZN7rocprim17ROCPRIM_400000_NS6detail17trampoline_kernelINS0_13select_configILj256ELj13ELNS0_17block_load_methodE3ELS4_3ELS4_3ELNS0_20block_scan_algorithmE0ELj4294967295EEENS1_25partition_config_selectorILNS1_17partition_subalgoE3EjNS0_10empty_typeEbEEZZNS1_14partition_implILS8_3ELb0ES6_jNS0_17counting_iteratorIjlEEPS9_SE_NS0_5tupleIJPjSE_EEENSF_IJSE_SE_EEES9_SG_JZNS1_25segmented_radix_sort_implINS0_14default_configELb1EPK12hip_bfloat16PSL_PKlPlN2at6native12_GLOBAL__N_18offset_tEEE10hipError_tPvRmT1_PNSt15iterator_traitsISZ_E10value_typeET2_T3_PNS10_IS15_E10value_typeET4_jRbjT5_S1B_jjP12ihipStream_tbEUljE_EEESW_SX_SY_S15_S19_S1B_T6_T7_T9_mT8_S1D_bDpT10_ENKUlT_T0_E_clISt17integral_constantIbLb0EES1P_IbLb1EEEEDaS1L_S1M_EUlS1L_E_NS1_11comp_targetILNS1_3genE3ELNS1_11target_archE908ELNS1_3gpuE7ELNS1_3repE0EEENS1_30default_config_static_selectorELNS0_4arch9wavefront6targetE0EEEvSZ_.private_seg_size, 0
	.set _ZN7rocprim17ROCPRIM_400000_NS6detail17trampoline_kernelINS0_13select_configILj256ELj13ELNS0_17block_load_methodE3ELS4_3ELS4_3ELNS0_20block_scan_algorithmE0ELj4294967295EEENS1_25partition_config_selectorILNS1_17partition_subalgoE3EjNS0_10empty_typeEbEEZZNS1_14partition_implILS8_3ELb0ES6_jNS0_17counting_iteratorIjlEEPS9_SE_NS0_5tupleIJPjSE_EEENSF_IJSE_SE_EEES9_SG_JZNS1_25segmented_radix_sort_implINS0_14default_configELb1EPK12hip_bfloat16PSL_PKlPlN2at6native12_GLOBAL__N_18offset_tEEE10hipError_tPvRmT1_PNSt15iterator_traitsISZ_E10value_typeET2_T3_PNS10_IS15_E10value_typeET4_jRbjT5_S1B_jjP12ihipStream_tbEUljE_EEESW_SX_SY_S15_S19_S1B_T6_T7_T9_mT8_S1D_bDpT10_ENKUlT_T0_E_clISt17integral_constantIbLb0EES1P_IbLb1EEEEDaS1L_S1M_EUlS1L_E_NS1_11comp_targetILNS1_3genE3ELNS1_11target_archE908ELNS1_3gpuE7ELNS1_3repE0EEENS1_30default_config_static_selectorELNS0_4arch9wavefront6targetE0EEEvSZ_.uses_vcc, 0
	.set _ZN7rocprim17ROCPRIM_400000_NS6detail17trampoline_kernelINS0_13select_configILj256ELj13ELNS0_17block_load_methodE3ELS4_3ELS4_3ELNS0_20block_scan_algorithmE0ELj4294967295EEENS1_25partition_config_selectorILNS1_17partition_subalgoE3EjNS0_10empty_typeEbEEZZNS1_14partition_implILS8_3ELb0ES6_jNS0_17counting_iteratorIjlEEPS9_SE_NS0_5tupleIJPjSE_EEENSF_IJSE_SE_EEES9_SG_JZNS1_25segmented_radix_sort_implINS0_14default_configELb1EPK12hip_bfloat16PSL_PKlPlN2at6native12_GLOBAL__N_18offset_tEEE10hipError_tPvRmT1_PNSt15iterator_traitsISZ_E10value_typeET2_T3_PNS10_IS15_E10value_typeET4_jRbjT5_S1B_jjP12ihipStream_tbEUljE_EEESW_SX_SY_S15_S19_S1B_T6_T7_T9_mT8_S1D_bDpT10_ENKUlT_T0_E_clISt17integral_constantIbLb0EES1P_IbLb1EEEEDaS1L_S1M_EUlS1L_E_NS1_11comp_targetILNS1_3genE3ELNS1_11target_archE908ELNS1_3gpuE7ELNS1_3repE0EEENS1_30default_config_static_selectorELNS0_4arch9wavefront6targetE0EEEvSZ_.uses_flat_scratch, 0
	.set _ZN7rocprim17ROCPRIM_400000_NS6detail17trampoline_kernelINS0_13select_configILj256ELj13ELNS0_17block_load_methodE3ELS4_3ELS4_3ELNS0_20block_scan_algorithmE0ELj4294967295EEENS1_25partition_config_selectorILNS1_17partition_subalgoE3EjNS0_10empty_typeEbEEZZNS1_14partition_implILS8_3ELb0ES6_jNS0_17counting_iteratorIjlEEPS9_SE_NS0_5tupleIJPjSE_EEENSF_IJSE_SE_EEES9_SG_JZNS1_25segmented_radix_sort_implINS0_14default_configELb1EPK12hip_bfloat16PSL_PKlPlN2at6native12_GLOBAL__N_18offset_tEEE10hipError_tPvRmT1_PNSt15iterator_traitsISZ_E10value_typeET2_T3_PNS10_IS15_E10value_typeET4_jRbjT5_S1B_jjP12ihipStream_tbEUljE_EEESW_SX_SY_S15_S19_S1B_T6_T7_T9_mT8_S1D_bDpT10_ENKUlT_T0_E_clISt17integral_constantIbLb0EES1P_IbLb1EEEEDaS1L_S1M_EUlS1L_E_NS1_11comp_targetILNS1_3genE3ELNS1_11target_archE908ELNS1_3gpuE7ELNS1_3repE0EEENS1_30default_config_static_selectorELNS0_4arch9wavefront6targetE0EEEvSZ_.has_dyn_sized_stack, 0
	.set _ZN7rocprim17ROCPRIM_400000_NS6detail17trampoline_kernelINS0_13select_configILj256ELj13ELNS0_17block_load_methodE3ELS4_3ELS4_3ELNS0_20block_scan_algorithmE0ELj4294967295EEENS1_25partition_config_selectorILNS1_17partition_subalgoE3EjNS0_10empty_typeEbEEZZNS1_14partition_implILS8_3ELb0ES6_jNS0_17counting_iteratorIjlEEPS9_SE_NS0_5tupleIJPjSE_EEENSF_IJSE_SE_EEES9_SG_JZNS1_25segmented_radix_sort_implINS0_14default_configELb1EPK12hip_bfloat16PSL_PKlPlN2at6native12_GLOBAL__N_18offset_tEEE10hipError_tPvRmT1_PNSt15iterator_traitsISZ_E10value_typeET2_T3_PNS10_IS15_E10value_typeET4_jRbjT5_S1B_jjP12ihipStream_tbEUljE_EEESW_SX_SY_S15_S19_S1B_T6_T7_T9_mT8_S1D_bDpT10_ENKUlT_T0_E_clISt17integral_constantIbLb0EES1P_IbLb1EEEEDaS1L_S1M_EUlS1L_E_NS1_11comp_targetILNS1_3genE3ELNS1_11target_archE908ELNS1_3gpuE7ELNS1_3repE0EEENS1_30default_config_static_selectorELNS0_4arch9wavefront6targetE0EEEvSZ_.has_recursion, 0
	.set _ZN7rocprim17ROCPRIM_400000_NS6detail17trampoline_kernelINS0_13select_configILj256ELj13ELNS0_17block_load_methodE3ELS4_3ELS4_3ELNS0_20block_scan_algorithmE0ELj4294967295EEENS1_25partition_config_selectorILNS1_17partition_subalgoE3EjNS0_10empty_typeEbEEZZNS1_14partition_implILS8_3ELb0ES6_jNS0_17counting_iteratorIjlEEPS9_SE_NS0_5tupleIJPjSE_EEENSF_IJSE_SE_EEES9_SG_JZNS1_25segmented_radix_sort_implINS0_14default_configELb1EPK12hip_bfloat16PSL_PKlPlN2at6native12_GLOBAL__N_18offset_tEEE10hipError_tPvRmT1_PNSt15iterator_traitsISZ_E10value_typeET2_T3_PNS10_IS15_E10value_typeET4_jRbjT5_S1B_jjP12ihipStream_tbEUljE_EEESW_SX_SY_S15_S19_S1B_T6_T7_T9_mT8_S1D_bDpT10_ENKUlT_T0_E_clISt17integral_constantIbLb0EES1P_IbLb1EEEEDaS1L_S1M_EUlS1L_E_NS1_11comp_targetILNS1_3genE3ELNS1_11target_archE908ELNS1_3gpuE7ELNS1_3repE0EEENS1_30default_config_static_selectorELNS0_4arch9wavefront6targetE0EEEvSZ_.has_indirect_call, 0
	.section	.AMDGPU.csdata,"",@progbits
; Kernel info:
; codeLenInByte = 0
; TotalNumSgprs: 0
; NumVgprs: 0
; ScratchSize: 0
; MemoryBound: 0
; FloatMode: 240
; IeeeMode: 1
; LDSByteSize: 0 bytes/workgroup (compile time only)
; SGPRBlocks: 0
; VGPRBlocks: 0
; NumSGPRsForWavesPerEU: 1
; NumVGPRsForWavesPerEU: 1
; Occupancy: 16
; WaveLimiterHint : 0
; COMPUTE_PGM_RSRC2:SCRATCH_EN: 0
; COMPUTE_PGM_RSRC2:USER_SGPR: 2
; COMPUTE_PGM_RSRC2:TRAP_HANDLER: 0
; COMPUTE_PGM_RSRC2:TGID_X_EN: 1
; COMPUTE_PGM_RSRC2:TGID_Y_EN: 0
; COMPUTE_PGM_RSRC2:TGID_Z_EN: 0
; COMPUTE_PGM_RSRC2:TIDIG_COMP_CNT: 0
	.section	.text._ZN7rocprim17ROCPRIM_400000_NS6detail17trampoline_kernelINS0_13select_configILj256ELj13ELNS0_17block_load_methodE3ELS4_3ELS4_3ELNS0_20block_scan_algorithmE0ELj4294967295EEENS1_25partition_config_selectorILNS1_17partition_subalgoE3EjNS0_10empty_typeEbEEZZNS1_14partition_implILS8_3ELb0ES6_jNS0_17counting_iteratorIjlEEPS9_SE_NS0_5tupleIJPjSE_EEENSF_IJSE_SE_EEES9_SG_JZNS1_25segmented_radix_sort_implINS0_14default_configELb1EPK12hip_bfloat16PSL_PKlPlN2at6native12_GLOBAL__N_18offset_tEEE10hipError_tPvRmT1_PNSt15iterator_traitsISZ_E10value_typeET2_T3_PNS10_IS15_E10value_typeET4_jRbjT5_S1B_jjP12ihipStream_tbEUljE_EEESW_SX_SY_S15_S19_S1B_T6_T7_T9_mT8_S1D_bDpT10_ENKUlT_T0_E_clISt17integral_constantIbLb0EES1P_IbLb1EEEEDaS1L_S1M_EUlS1L_E_NS1_11comp_targetILNS1_3genE2ELNS1_11target_archE906ELNS1_3gpuE6ELNS1_3repE0EEENS1_30default_config_static_selectorELNS0_4arch9wavefront6targetE0EEEvSZ_,"axG",@progbits,_ZN7rocprim17ROCPRIM_400000_NS6detail17trampoline_kernelINS0_13select_configILj256ELj13ELNS0_17block_load_methodE3ELS4_3ELS4_3ELNS0_20block_scan_algorithmE0ELj4294967295EEENS1_25partition_config_selectorILNS1_17partition_subalgoE3EjNS0_10empty_typeEbEEZZNS1_14partition_implILS8_3ELb0ES6_jNS0_17counting_iteratorIjlEEPS9_SE_NS0_5tupleIJPjSE_EEENSF_IJSE_SE_EEES9_SG_JZNS1_25segmented_radix_sort_implINS0_14default_configELb1EPK12hip_bfloat16PSL_PKlPlN2at6native12_GLOBAL__N_18offset_tEEE10hipError_tPvRmT1_PNSt15iterator_traitsISZ_E10value_typeET2_T3_PNS10_IS15_E10value_typeET4_jRbjT5_S1B_jjP12ihipStream_tbEUljE_EEESW_SX_SY_S15_S19_S1B_T6_T7_T9_mT8_S1D_bDpT10_ENKUlT_T0_E_clISt17integral_constantIbLb0EES1P_IbLb1EEEEDaS1L_S1M_EUlS1L_E_NS1_11comp_targetILNS1_3genE2ELNS1_11target_archE906ELNS1_3gpuE6ELNS1_3repE0EEENS1_30default_config_static_selectorELNS0_4arch9wavefront6targetE0EEEvSZ_,comdat
	.globl	_ZN7rocprim17ROCPRIM_400000_NS6detail17trampoline_kernelINS0_13select_configILj256ELj13ELNS0_17block_load_methodE3ELS4_3ELS4_3ELNS0_20block_scan_algorithmE0ELj4294967295EEENS1_25partition_config_selectorILNS1_17partition_subalgoE3EjNS0_10empty_typeEbEEZZNS1_14partition_implILS8_3ELb0ES6_jNS0_17counting_iteratorIjlEEPS9_SE_NS0_5tupleIJPjSE_EEENSF_IJSE_SE_EEES9_SG_JZNS1_25segmented_radix_sort_implINS0_14default_configELb1EPK12hip_bfloat16PSL_PKlPlN2at6native12_GLOBAL__N_18offset_tEEE10hipError_tPvRmT1_PNSt15iterator_traitsISZ_E10value_typeET2_T3_PNS10_IS15_E10value_typeET4_jRbjT5_S1B_jjP12ihipStream_tbEUljE_EEESW_SX_SY_S15_S19_S1B_T6_T7_T9_mT8_S1D_bDpT10_ENKUlT_T0_E_clISt17integral_constantIbLb0EES1P_IbLb1EEEEDaS1L_S1M_EUlS1L_E_NS1_11comp_targetILNS1_3genE2ELNS1_11target_archE906ELNS1_3gpuE6ELNS1_3repE0EEENS1_30default_config_static_selectorELNS0_4arch9wavefront6targetE0EEEvSZ_ ; -- Begin function _ZN7rocprim17ROCPRIM_400000_NS6detail17trampoline_kernelINS0_13select_configILj256ELj13ELNS0_17block_load_methodE3ELS4_3ELS4_3ELNS0_20block_scan_algorithmE0ELj4294967295EEENS1_25partition_config_selectorILNS1_17partition_subalgoE3EjNS0_10empty_typeEbEEZZNS1_14partition_implILS8_3ELb0ES6_jNS0_17counting_iteratorIjlEEPS9_SE_NS0_5tupleIJPjSE_EEENSF_IJSE_SE_EEES9_SG_JZNS1_25segmented_radix_sort_implINS0_14default_configELb1EPK12hip_bfloat16PSL_PKlPlN2at6native12_GLOBAL__N_18offset_tEEE10hipError_tPvRmT1_PNSt15iterator_traitsISZ_E10value_typeET2_T3_PNS10_IS15_E10value_typeET4_jRbjT5_S1B_jjP12ihipStream_tbEUljE_EEESW_SX_SY_S15_S19_S1B_T6_T7_T9_mT8_S1D_bDpT10_ENKUlT_T0_E_clISt17integral_constantIbLb0EES1P_IbLb1EEEEDaS1L_S1M_EUlS1L_E_NS1_11comp_targetILNS1_3genE2ELNS1_11target_archE906ELNS1_3gpuE6ELNS1_3repE0EEENS1_30default_config_static_selectorELNS0_4arch9wavefront6targetE0EEEvSZ_
	.p2align	8
	.type	_ZN7rocprim17ROCPRIM_400000_NS6detail17trampoline_kernelINS0_13select_configILj256ELj13ELNS0_17block_load_methodE3ELS4_3ELS4_3ELNS0_20block_scan_algorithmE0ELj4294967295EEENS1_25partition_config_selectorILNS1_17partition_subalgoE3EjNS0_10empty_typeEbEEZZNS1_14partition_implILS8_3ELb0ES6_jNS0_17counting_iteratorIjlEEPS9_SE_NS0_5tupleIJPjSE_EEENSF_IJSE_SE_EEES9_SG_JZNS1_25segmented_radix_sort_implINS0_14default_configELb1EPK12hip_bfloat16PSL_PKlPlN2at6native12_GLOBAL__N_18offset_tEEE10hipError_tPvRmT1_PNSt15iterator_traitsISZ_E10value_typeET2_T3_PNS10_IS15_E10value_typeET4_jRbjT5_S1B_jjP12ihipStream_tbEUljE_EEESW_SX_SY_S15_S19_S1B_T6_T7_T9_mT8_S1D_bDpT10_ENKUlT_T0_E_clISt17integral_constantIbLb0EES1P_IbLb1EEEEDaS1L_S1M_EUlS1L_E_NS1_11comp_targetILNS1_3genE2ELNS1_11target_archE906ELNS1_3gpuE6ELNS1_3repE0EEENS1_30default_config_static_selectorELNS0_4arch9wavefront6targetE0EEEvSZ_,@function
_ZN7rocprim17ROCPRIM_400000_NS6detail17trampoline_kernelINS0_13select_configILj256ELj13ELNS0_17block_load_methodE3ELS4_3ELS4_3ELNS0_20block_scan_algorithmE0ELj4294967295EEENS1_25partition_config_selectorILNS1_17partition_subalgoE3EjNS0_10empty_typeEbEEZZNS1_14partition_implILS8_3ELb0ES6_jNS0_17counting_iteratorIjlEEPS9_SE_NS0_5tupleIJPjSE_EEENSF_IJSE_SE_EEES9_SG_JZNS1_25segmented_radix_sort_implINS0_14default_configELb1EPK12hip_bfloat16PSL_PKlPlN2at6native12_GLOBAL__N_18offset_tEEE10hipError_tPvRmT1_PNSt15iterator_traitsISZ_E10value_typeET2_T3_PNS10_IS15_E10value_typeET4_jRbjT5_S1B_jjP12ihipStream_tbEUljE_EEESW_SX_SY_S15_S19_S1B_T6_T7_T9_mT8_S1D_bDpT10_ENKUlT_T0_E_clISt17integral_constantIbLb0EES1P_IbLb1EEEEDaS1L_S1M_EUlS1L_E_NS1_11comp_targetILNS1_3genE2ELNS1_11target_archE906ELNS1_3gpuE6ELNS1_3repE0EEENS1_30default_config_static_selectorELNS0_4arch9wavefront6targetE0EEEvSZ_: ; @_ZN7rocprim17ROCPRIM_400000_NS6detail17trampoline_kernelINS0_13select_configILj256ELj13ELNS0_17block_load_methodE3ELS4_3ELS4_3ELNS0_20block_scan_algorithmE0ELj4294967295EEENS1_25partition_config_selectorILNS1_17partition_subalgoE3EjNS0_10empty_typeEbEEZZNS1_14partition_implILS8_3ELb0ES6_jNS0_17counting_iteratorIjlEEPS9_SE_NS0_5tupleIJPjSE_EEENSF_IJSE_SE_EEES9_SG_JZNS1_25segmented_radix_sort_implINS0_14default_configELb1EPK12hip_bfloat16PSL_PKlPlN2at6native12_GLOBAL__N_18offset_tEEE10hipError_tPvRmT1_PNSt15iterator_traitsISZ_E10value_typeET2_T3_PNS10_IS15_E10value_typeET4_jRbjT5_S1B_jjP12ihipStream_tbEUljE_EEESW_SX_SY_S15_S19_S1B_T6_T7_T9_mT8_S1D_bDpT10_ENKUlT_T0_E_clISt17integral_constantIbLb0EES1P_IbLb1EEEEDaS1L_S1M_EUlS1L_E_NS1_11comp_targetILNS1_3genE2ELNS1_11target_archE906ELNS1_3gpuE6ELNS1_3repE0EEENS1_30default_config_static_selectorELNS0_4arch9wavefront6targetE0EEEvSZ_
; %bb.0:
	.section	.rodata,"a",@progbits
	.p2align	6, 0x0
	.amdhsa_kernel _ZN7rocprim17ROCPRIM_400000_NS6detail17trampoline_kernelINS0_13select_configILj256ELj13ELNS0_17block_load_methodE3ELS4_3ELS4_3ELNS0_20block_scan_algorithmE0ELj4294967295EEENS1_25partition_config_selectorILNS1_17partition_subalgoE3EjNS0_10empty_typeEbEEZZNS1_14partition_implILS8_3ELb0ES6_jNS0_17counting_iteratorIjlEEPS9_SE_NS0_5tupleIJPjSE_EEENSF_IJSE_SE_EEES9_SG_JZNS1_25segmented_radix_sort_implINS0_14default_configELb1EPK12hip_bfloat16PSL_PKlPlN2at6native12_GLOBAL__N_18offset_tEEE10hipError_tPvRmT1_PNSt15iterator_traitsISZ_E10value_typeET2_T3_PNS10_IS15_E10value_typeET4_jRbjT5_S1B_jjP12ihipStream_tbEUljE_EEESW_SX_SY_S15_S19_S1B_T6_T7_T9_mT8_S1D_bDpT10_ENKUlT_T0_E_clISt17integral_constantIbLb0EES1P_IbLb1EEEEDaS1L_S1M_EUlS1L_E_NS1_11comp_targetILNS1_3genE2ELNS1_11target_archE906ELNS1_3gpuE6ELNS1_3repE0EEENS1_30default_config_static_selectorELNS0_4arch9wavefront6targetE0EEEvSZ_
		.amdhsa_group_segment_fixed_size 0
		.amdhsa_private_segment_fixed_size 0
		.amdhsa_kernarg_size 152
		.amdhsa_user_sgpr_count 2
		.amdhsa_user_sgpr_dispatch_ptr 0
		.amdhsa_user_sgpr_queue_ptr 0
		.amdhsa_user_sgpr_kernarg_segment_ptr 1
		.amdhsa_user_sgpr_dispatch_id 0
		.amdhsa_user_sgpr_private_segment_size 0
		.amdhsa_wavefront_size32 1
		.amdhsa_uses_dynamic_stack 0
		.amdhsa_enable_private_segment 0
		.amdhsa_system_sgpr_workgroup_id_x 1
		.amdhsa_system_sgpr_workgroup_id_y 0
		.amdhsa_system_sgpr_workgroup_id_z 0
		.amdhsa_system_sgpr_workgroup_info 0
		.amdhsa_system_vgpr_workitem_id 0
		.amdhsa_next_free_vgpr 1
		.amdhsa_next_free_sgpr 1
		.amdhsa_reserve_vcc 0
		.amdhsa_float_round_mode_32 0
		.amdhsa_float_round_mode_16_64 0
		.amdhsa_float_denorm_mode_32 3
		.amdhsa_float_denorm_mode_16_64 3
		.amdhsa_fp16_overflow 0
		.amdhsa_workgroup_processor_mode 1
		.amdhsa_memory_ordered 1
		.amdhsa_forward_progress 1
		.amdhsa_inst_pref_size 0
		.amdhsa_round_robin_scheduling 0
		.amdhsa_exception_fp_ieee_invalid_op 0
		.amdhsa_exception_fp_denorm_src 0
		.amdhsa_exception_fp_ieee_div_zero 0
		.amdhsa_exception_fp_ieee_overflow 0
		.amdhsa_exception_fp_ieee_underflow 0
		.amdhsa_exception_fp_ieee_inexact 0
		.amdhsa_exception_int_div_zero 0
	.end_amdhsa_kernel
	.section	.text._ZN7rocprim17ROCPRIM_400000_NS6detail17trampoline_kernelINS0_13select_configILj256ELj13ELNS0_17block_load_methodE3ELS4_3ELS4_3ELNS0_20block_scan_algorithmE0ELj4294967295EEENS1_25partition_config_selectorILNS1_17partition_subalgoE3EjNS0_10empty_typeEbEEZZNS1_14partition_implILS8_3ELb0ES6_jNS0_17counting_iteratorIjlEEPS9_SE_NS0_5tupleIJPjSE_EEENSF_IJSE_SE_EEES9_SG_JZNS1_25segmented_radix_sort_implINS0_14default_configELb1EPK12hip_bfloat16PSL_PKlPlN2at6native12_GLOBAL__N_18offset_tEEE10hipError_tPvRmT1_PNSt15iterator_traitsISZ_E10value_typeET2_T3_PNS10_IS15_E10value_typeET4_jRbjT5_S1B_jjP12ihipStream_tbEUljE_EEESW_SX_SY_S15_S19_S1B_T6_T7_T9_mT8_S1D_bDpT10_ENKUlT_T0_E_clISt17integral_constantIbLb0EES1P_IbLb1EEEEDaS1L_S1M_EUlS1L_E_NS1_11comp_targetILNS1_3genE2ELNS1_11target_archE906ELNS1_3gpuE6ELNS1_3repE0EEENS1_30default_config_static_selectorELNS0_4arch9wavefront6targetE0EEEvSZ_,"axG",@progbits,_ZN7rocprim17ROCPRIM_400000_NS6detail17trampoline_kernelINS0_13select_configILj256ELj13ELNS0_17block_load_methodE3ELS4_3ELS4_3ELNS0_20block_scan_algorithmE0ELj4294967295EEENS1_25partition_config_selectorILNS1_17partition_subalgoE3EjNS0_10empty_typeEbEEZZNS1_14partition_implILS8_3ELb0ES6_jNS0_17counting_iteratorIjlEEPS9_SE_NS0_5tupleIJPjSE_EEENSF_IJSE_SE_EEES9_SG_JZNS1_25segmented_radix_sort_implINS0_14default_configELb1EPK12hip_bfloat16PSL_PKlPlN2at6native12_GLOBAL__N_18offset_tEEE10hipError_tPvRmT1_PNSt15iterator_traitsISZ_E10value_typeET2_T3_PNS10_IS15_E10value_typeET4_jRbjT5_S1B_jjP12ihipStream_tbEUljE_EEESW_SX_SY_S15_S19_S1B_T6_T7_T9_mT8_S1D_bDpT10_ENKUlT_T0_E_clISt17integral_constantIbLb0EES1P_IbLb1EEEEDaS1L_S1M_EUlS1L_E_NS1_11comp_targetILNS1_3genE2ELNS1_11target_archE906ELNS1_3gpuE6ELNS1_3repE0EEENS1_30default_config_static_selectorELNS0_4arch9wavefront6targetE0EEEvSZ_,comdat
.Lfunc_end1942:
	.size	_ZN7rocprim17ROCPRIM_400000_NS6detail17trampoline_kernelINS0_13select_configILj256ELj13ELNS0_17block_load_methodE3ELS4_3ELS4_3ELNS0_20block_scan_algorithmE0ELj4294967295EEENS1_25partition_config_selectorILNS1_17partition_subalgoE3EjNS0_10empty_typeEbEEZZNS1_14partition_implILS8_3ELb0ES6_jNS0_17counting_iteratorIjlEEPS9_SE_NS0_5tupleIJPjSE_EEENSF_IJSE_SE_EEES9_SG_JZNS1_25segmented_radix_sort_implINS0_14default_configELb1EPK12hip_bfloat16PSL_PKlPlN2at6native12_GLOBAL__N_18offset_tEEE10hipError_tPvRmT1_PNSt15iterator_traitsISZ_E10value_typeET2_T3_PNS10_IS15_E10value_typeET4_jRbjT5_S1B_jjP12ihipStream_tbEUljE_EEESW_SX_SY_S15_S19_S1B_T6_T7_T9_mT8_S1D_bDpT10_ENKUlT_T0_E_clISt17integral_constantIbLb0EES1P_IbLb1EEEEDaS1L_S1M_EUlS1L_E_NS1_11comp_targetILNS1_3genE2ELNS1_11target_archE906ELNS1_3gpuE6ELNS1_3repE0EEENS1_30default_config_static_selectorELNS0_4arch9wavefront6targetE0EEEvSZ_, .Lfunc_end1942-_ZN7rocprim17ROCPRIM_400000_NS6detail17trampoline_kernelINS0_13select_configILj256ELj13ELNS0_17block_load_methodE3ELS4_3ELS4_3ELNS0_20block_scan_algorithmE0ELj4294967295EEENS1_25partition_config_selectorILNS1_17partition_subalgoE3EjNS0_10empty_typeEbEEZZNS1_14partition_implILS8_3ELb0ES6_jNS0_17counting_iteratorIjlEEPS9_SE_NS0_5tupleIJPjSE_EEENSF_IJSE_SE_EEES9_SG_JZNS1_25segmented_radix_sort_implINS0_14default_configELb1EPK12hip_bfloat16PSL_PKlPlN2at6native12_GLOBAL__N_18offset_tEEE10hipError_tPvRmT1_PNSt15iterator_traitsISZ_E10value_typeET2_T3_PNS10_IS15_E10value_typeET4_jRbjT5_S1B_jjP12ihipStream_tbEUljE_EEESW_SX_SY_S15_S19_S1B_T6_T7_T9_mT8_S1D_bDpT10_ENKUlT_T0_E_clISt17integral_constantIbLb0EES1P_IbLb1EEEEDaS1L_S1M_EUlS1L_E_NS1_11comp_targetILNS1_3genE2ELNS1_11target_archE906ELNS1_3gpuE6ELNS1_3repE0EEENS1_30default_config_static_selectorELNS0_4arch9wavefront6targetE0EEEvSZ_
                                        ; -- End function
	.set _ZN7rocprim17ROCPRIM_400000_NS6detail17trampoline_kernelINS0_13select_configILj256ELj13ELNS0_17block_load_methodE3ELS4_3ELS4_3ELNS0_20block_scan_algorithmE0ELj4294967295EEENS1_25partition_config_selectorILNS1_17partition_subalgoE3EjNS0_10empty_typeEbEEZZNS1_14partition_implILS8_3ELb0ES6_jNS0_17counting_iteratorIjlEEPS9_SE_NS0_5tupleIJPjSE_EEENSF_IJSE_SE_EEES9_SG_JZNS1_25segmented_radix_sort_implINS0_14default_configELb1EPK12hip_bfloat16PSL_PKlPlN2at6native12_GLOBAL__N_18offset_tEEE10hipError_tPvRmT1_PNSt15iterator_traitsISZ_E10value_typeET2_T3_PNS10_IS15_E10value_typeET4_jRbjT5_S1B_jjP12ihipStream_tbEUljE_EEESW_SX_SY_S15_S19_S1B_T6_T7_T9_mT8_S1D_bDpT10_ENKUlT_T0_E_clISt17integral_constantIbLb0EES1P_IbLb1EEEEDaS1L_S1M_EUlS1L_E_NS1_11comp_targetILNS1_3genE2ELNS1_11target_archE906ELNS1_3gpuE6ELNS1_3repE0EEENS1_30default_config_static_selectorELNS0_4arch9wavefront6targetE0EEEvSZ_.num_vgpr, 0
	.set _ZN7rocprim17ROCPRIM_400000_NS6detail17trampoline_kernelINS0_13select_configILj256ELj13ELNS0_17block_load_methodE3ELS4_3ELS4_3ELNS0_20block_scan_algorithmE0ELj4294967295EEENS1_25partition_config_selectorILNS1_17partition_subalgoE3EjNS0_10empty_typeEbEEZZNS1_14partition_implILS8_3ELb0ES6_jNS0_17counting_iteratorIjlEEPS9_SE_NS0_5tupleIJPjSE_EEENSF_IJSE_SE_EEES9_SG_JZNS1_25segmented_radix_sort_implINS0_14default_configELb1EPK12hip_bfloat16PSL_PKlPlN2at6native12_GLOBAL__N_18offset_tEEE10hipError_tPvRmT1_PNSt15iterator_traitsISZ_E10value_typeET2_T3_PNS10_IS15_E10value_typeET4_jRbjT5_S1B_jjP12ihipStream_tbEUljE_EEESW_SX_SY_S15_S19_S1B_T6_T7_T9_mT8_S1D_bDpT10_ENKUlT_T0_E_clISt17integral_constantIbLb0EES1P_IbLb1EEEEDaS1L_S1M_EUlS1L_E_NS1_11comp_targetILNS1_3genE2ELNS1_11target_archE906ELNS1_3gpuE6ELNS1_3repE0EEENS1_30default_config_static_selectorELNS0_4arch9wavefront6targetE0EEEvSZ_.num_agpr, 0
	.set _ZN7rocprim17ROCPRIM_400000_NS6detail17trampoline_kernelINS0_13select_configILj256ELj13ELNS0_17block_load_methodE3ELS4_3ELS4_3ELNS0_20block_scan_algorithmE0ELj4294967295EEENS1_25partition_config_selectorILNS1_17partition_subalgoE3EjNS0_10empty_typeEbEEZZNS1_14partition_implILS8_3ELb0ES6_jNS0_17counting_iteratorIjlEEPS9_SE_NS0_5tupleIJPjSE_EEENSF_IJSE_SE_EEES9_SG_JZNS1_25segmented_radix_sort_implINS0_14default_configELb1EPK12hip_bfloat16PSL_PKlPlN2at6native12_GLOBAL__N_18offset_tEEE10hipError_tPvRmT1_PNSt15iterator_traitsISZ_E10value_typeET2_T3_PNS10_IS15_E10value_typeET4_jRbjT5_S1B_jjP12ihipStream_tbEUljE_EEESW_SX_SY_S15_S19_S1B_T6_T7_T9_mT8_S1D_bDpT10_ENKUlT_T0_E_clISt17integral_constantIbLb0EES1P_IbLb1EEEEDaS1L_S1M_EUlS1L_E_NS1_11comp_targetILNS1_3genE2ELNS1_11target_archE906ELNS1_3gpuE6ELNS1_3repE0EEENS1_30default_config_static_selectorELNS0_4arch9wavefront6targetE0EEEvSZ_.numbered_sgpr, 0
	.set _ZN7rocprim17ROCPRIM_400000_NS6detail17trampoline_kernelINS0_13select_configILj256ELj13ELNS0_17block_load_methodE3ELS4_3ELS4_3ELNS0_20block_scan_algorithmE0ELj4294967295EEENS1_25partition_config_selectorILNS1_17partition_subalgoE3EjNS0_10empty_typeEbEEZZNS1_14partition_implILS8_3ELb0ES6_jNS0_17counting_iteratorIjlEEPS9_SE_NS0_5tupleIJPjSE_EEENSF_IJSE_SE_EEES9_SG_JZNS1_25segmented_radix_sort_implINS0_14default_configELb1EPK12hip_bfloat16PSL_PKlPlN2at6native12_GLOBAL__N_18offset_tEEE10hipError_tPvRmT1_PNSt15iterator_traitsISZ_E10value_typeET2_T3_PNS10_IS15_E10value_typeET4_jRbjT5_S1B_jjP12ihipStream_tbEUljE_EEESW_SX_SY_S15_S19_S1B_T6_T7_T9_mT8_S1D_bDpT10_ENKUlT_T0_E_clISt17integral_constantIbLb0EES1P_IbLb1EEEEDaS1L_S1M_EUlS1L_E_NS1_11comp_targetILNS1_3genE2ELNS1_11target_archE906ELNS1_3gpuE6ELNS1_3repE0EEENS1_30default_config_static_selectorELNS0_4arch9wavefront6targetE0EEEvSZ_.num_named_barrier, 0
	.set _ZN7rocprim17ROCPRIM_400000_NS6detail17trampoline_kernelINS0_13select_configILj256ELj13ELNS0_17block_load_methodE3ELS4_3ELS4_3ELNS0_20block_scan_algorithmE0ELj4294967295EEENS1_25partition_config_selectorILNS1_17partition_subalgoE3EjNS0_10empty_typeEbEEZZNS1_14partition_implILS8_3ELb0ES6_jNS0_17counting_iteratorIjlEEPS9_SE_NS0_5tupleIJPjSE_EEENSF_IJSE_SE_EEES9_SG_JZNS1_25segmented_radix_sort_implINS0_14default_configELb1EPK12hip_bfloat16PSL_PKlPlN2at6native12_GLOBAL__N_18offset_tEEE10hipError_tPvRmT1_PNSt15iterator_traitsISZ_E10value_typeET2_T3_PNS10_IS15_E10value_typeET4_jRbjT5_S1B_jjP12ihipStream_tbEUljE_EEESW_SX_SY_S15_S19_S1B_T6_T7_T9_mT8_S1D_bDpT10_ENKUlT_T0_E_clISt17integral_constantIbLb0EES1P_IbLb1EEEEDaS1L_S1M_EUlS1L_E_NS1_11comp_targetILNS1_3genE2ELNS1_11target_archE906ELNS1_3gpuE6ELNS1_3repE0EEENS1_30default_config_static_selectorELNS0_4arch9wavefront6targetE0EEEvSZ_.private_seg_size, 0
	.set _ZN7rocprim17ROCPRIM_400000_NS6detail17trampoline_kernelINS0_13select_configILj256ELj13ELNS0_17block_load_methodE3ELS4_3ELS4_3ELNS0_20block_scan_algorithmE0ELj4294967295EEENS1_25partition_config_selectorILNS1_17partition_subalgoE3EjNS0_10empty_typeEbEEZZNS1_14partition_implILS8_3ELb0ES6_jNS0_17counting_iteratorIjlEEPS9_SE_NS0_5tupleIJPjSE_EEENSF_IJSE_SE_EEES9_SG_JZNS1_25segmented_radix_sort_implINS0_14default_configELb1EPK12hip_bfloat16PSL_PKlPlN2at6native12_GLOBAL__N_18offset_tEEE10hipError_tPvRmT1_PNSt15iterator_traitsISZ_E10value_typeET2_T3_PNS10_IS15_E10value_typeET4_jRbjT5_S1B_jjP12ihipStream_tbEUljE_EEESW_SX_SY_S15_S19_S1B_T6_T7_T9_mT8_S1D_bDpT10_ENKUlT_T0_E_clISt17integral_constantIbLb0EES1P_IbLb1EEEEDaS1L_S1M_EUlS1L_E_NS1_11comp_targetILNS1_3genE2ELNS1_11target_archE906ELNS1_3gpuE6ELNS1_3repE0EEENS1_30default_config_static_selectorELNS0_4arch9wavefront6targetE0EEEvSZ_.uses_vcc, 0
	.set _ZN7rocprim17ROCPRIM_400000_NS6detail17trampoline_kernelINS0_13select_configILj256ELj13ELNS0_17block_load_methodE3ELS4_3ELS4_3ELNS0_20block_scan_algorithmE0ELj4294967295EEENS1_25partition_config_selectorILNS1_17partition_subalgoE3EjNS0_10empty_typeEbEEZZNS1_14partition_implILS8_3ELb0ES6_jNS0_17counting_iteratorIjlEEPS9_SE_NS0_5tupleIJPjSE_EEENSF_IJSE_SE_EEES9_SG_JZNS1_25segmented_radix_sort_implINS0_14default_configELb1EPK12hip_bfloat16PSL_PKlPlN2at6native12_GLOBAL__N_18offset_tEEE10hipError_tPvRmT1_PNSt15iterator_traitsISZ_E10value_typeET2_T3_PNS10_IS15_E10value_typeET4_jRbjT5_S1B_jjP12ihipStream_tbEUljE_EEESW_SX_SY_S15_S19_S1B_T6_T7_T9_mT8_S1D_bDpT10_ENKUlT_T0_E_clISt17integral_constantIbLb0EES1P_IbLb1EEEEDaS1L_S1M_EUlS1L_E_NS1_11comp_targetILNS1_3genE2ELNS1_11target_archE906ELNS1_3gpuE6ELNS1_3repE0EEENS1_30default_config_static_selectorELNS0_4arch9wavefront6targetE0EEEvSZ_.uses_flat_scratch, 0
	.set _ZN7rocprim17ROCPRIM_400000_NS6detail17trampoline_kernelINS0_13select_configILj256ELj13ELNS0_17block_load_methodE3ELS4_3ELS4_3ELNS0_20block_scan_algorithmE0ELj4294967295EEENS1_25partition_config_selectorILNS1_17partition_subalgoE3EjNS0_10empty_typeEbEEZZNS1_14partition_implILS8_3ELb0ES6_jNS0_17counting_iteratorIjlEEPS9_SE_NS0_5tupleIJPjSE_EEENSF_IJSE_SE_EEES9_SG_JZNS1_25segmented_radix_sort_implINS0_14default_configELb1EPK12hip_bfloat16PSL_PKlPlN2at6native12_GLOBAL__N_18offset_tEEE10hipError_tPvRmT1_PNSt15iterator_traitsISZ_E10value_typeET2_T3_PNS10_IS15_E10value_typeET4_jRbjT5_S1B_jjP12ihipStream_tbEUljE_EEESW_SX_SY_S15_S19_S1B_T6_T7_T9_mT8_S1D_bDpT10_ENKUlT_T0_E_clISt17integral_constantIbLb0EES1P_IbLb1EEEEDaS1L_S1M_EUlS1L_E_NS1_11comp_targetILNS1_3genE2ELNS1_11target_archE906ELNS1_3gpuE6ELNS1_3repE0EEENS1_30default_config_static_selectorELNS0_4arch9wavefront6targetE0EEEvSZ_.has_dyn_sized_stack, 0
	.set _ZN7rocprim17ROCPRIM_400000_NS6detail17trampoline_kernelINS0_13select_configILj256ELj13ELNS0_17block_load_methodE3ELS4_3ELS4_3ELNS0_20block_scan_algorithmE0ELj4294967295EEENS1_25partition_config_selectorILNS1_17partition_subalgoE3EjNS0_10empty_typeEbEEZZNS1_14partition_implILS8_3ELb0ES6_jNS0_17counting_iteratorIjlEEPS9_SE_NS0_5tupleIJPjSE_EEENSF_IJSE_SE_EEES9_SG_JZNS1_25segmented_radix_sort_implINS0_14default_configELb1EPK12hip_bfloat16PSL_PKlPlN2at6native12_GLOBAL__N_18offset_tEEE10hipError_tPvRmT1_PNSt15iterator_traitsISZ_E10value_typeET2_T3_PNS10_IS15_E10value_typeET4_jRbjT5_S1B_jjP12ihipStream_tbEUljE_EEESW_SX_SY_S15_S19_S1B_T6_T7_T9_mT8_S1D_bDpT10_ENKUlT_T0_E_clISt17integral_constantIbLb0EES1P_IbLb1EEEEDaS1L_S1M_EUlS1L_E_NS1_11comp_targetILNS1_3genE2ELNS1_11target_archE906ELNS1_3gpuE6ELNS1_3repE0EEENS1_30default_config_static_selectorELNS0_4arch9wavefront6targetE0EEEvSZ_.has_recursion, 0
	.set _ZN7rocprim17ROCPRIM_400000_NS6detail17trampoline_kernelINS0_13select_configILj256ELj13ELNS0_17block_load_methodE3ELS4_3ELS4_3ELNS0_20block_scan_algorithmE0ELj4294967295EEENS1_25partition_config_selectorILNS1_17partition_subalgoE3EjNS0_10empty_typeEbEEZZNS1_14partition_implILS8_3ELb0ES6_jNS0_17counting_iteratorIjlEEPS9_SE_NS0_5tupleIJPjSE_EEENSF_IJSE_SE_EEES9_SG_JZNS1_25segmented_radix_sort_implINS0_14default_configELb1EPK12hip_bfloat16PSL_PKlPlN2at6native12_GLOBAL__N_18offset_tEEE10hipError_tPvRmT1_PNSt15iterator_traitsISZ_E10value_typeET2_T3_PNS10_IS15_E10value_typeET4_jRbjT5_S1B_jjP12ihipStream_tbEUljE_EEESW_SX_SY_S15_S19_S1B_T6_T7_T9_mT8_S1D_bDpT10_ENKUlT_T0_E_clISt17integral_constantIbLb0EES1P_IbLb1EEEEDaS1L_S1M_EUlS1L_E_NS1_11comp_targetILNS1_3genE2ELNS1_11target_archE906ELNS1_3gpuE6ELNS1_3repE0EEENS1_30default_config_static_selectorELNS0_4arch9wavefront6targetE0EEEvSZ_.has_indirect_call, 0
	.section	.AMDGPU.csdata,"",@progbits
; Kernel info:
; codeLenInByte = 0
; TotalNumSgprs: 0
; NumVgprs: 0
; ScratchSize: 0
; MemoryBound: 0
; FloatMode: 240
; IeeeMode: 1
; LDSByteSize: 0 bytes/workgroup (compile time only)
; SGPRBlocks: 0
; VGPRBlocks: 0
; NumSGPRsForWavesPerEU: 1
; NumVGPRsForWavesPerEU: 1
; Occupancy: 16
; WaveLimiterHint : 0
; COMPUTE_PGM_RSRC2:SCRATCH_EN: 0
; COMPUTE_PGM_RSRC2:USER_SGPR: 2
; COMPUTE_PGM_RSRC2:TRAP_HANDLER: 0
; COMPUTE_PGM_RSRC2:TGID_X_EN: 1
; COMPUTE_PGM_RSRC2:TGID_Y_EN: 0
; COMPUTE_PGM_RSRC2:TGID_Z_EN: 0
; COMPUTE_PGM_RSRC2:TIDIG_COMP_CNT: 0
	.section	.text._ZN7rocprim17ROCPRIM_400000_NS6detail17trampoline_kernelINS0_13select_configILj256ELj13ELNS0_17block_load_methodE3ELS4_3ELS4_3ELNS0_20block_scan_algorithmE0ELj4294967295EEENS1_25partition_config_selectorILNS1_17partition_subalgoE3EjNS0_10empty_typeEbEEZZNS1_14partition_implILS8_3ELb0ES6_jNS0_17counting_iteratorIjlEEPS9_SE_NS0_5tupleIJPjSE_EEENSF_IJSE_SE_EEES9_SG_JZNS1_25segmented_radix_sort_implINS0_14default_configELb1EPK12hip_bfloat16PSL_PKlPlN2at6native12_GLOBAL__N_18offset_tEEE10hipError_tPvRmT1_PNSt15iterator_traitsISZ_E10value_typeET2_T3_PNS10_IS15_E10value_typeET4_jRbjT5_S1B_jjP12ihipStream_tbEUljE_EEESW_SX_SY_S15_S19_S1B_T6_T7_T9_mT8_S1D_bDpT10_ENKUlT_T0_E_clISt17integral_constantIbLb0EES1P_IbLb1EEEEDaS1L_S1M_EUlS1L_E_NS1_11comp_targetILNS1_3genE10ELNS1_11target_archE1200ELNS1_3gpuE4ELNS1_3repE0EEENS1_30default_config_static_selectorELNS0_4arch9wavefront6targetE0EEEvSZ_,"axG",@progbits,_ZN7rocprim17ROCPRIM_400000_NS6detail17trampoline_kernelINS0_13select_configILj256ELj13ELNS0_17block_load_methodE3ELS4_3ELS4_3ELNS0_20block_scan_algorithmE0ELj4294967295EEENS1_25partition_config_selectorILNS1_17partition_subalgoE3EjNS0_10empty_typeEbEEZZNS1_14partition_implILS8_3ELb0ES6_jNS0_17counting_iteratorIjlEEPS9_SE_NS0_5tupleIJPjSE_EEENSF_IJSE_SE_EEES9_SG_JZNS1_25segmented_radix_sort_implINS0_14default_configELb1EPK12hip_bfloat16PSL_PKlPlN2at6native12_GLOBAL__N_18offset_tEEE10hipError_tPvRmT1_PNSt15iterator_traitsISZ_E10value_typeET2_T3_PNS10_IS15_E10value_typeET4_jRbjT5_S1B_jjP12ihipStream_tbEUljE_EEESW_SX_SY_S15_S19_S1B_T6_T7_T9_mT8_S1D_bDpT10_ENKUlT_T0_E_clISt17integral_constantIbLb0EES1P_IbLb1EEEEDaS1L_S1M_EUlS1L_E_NS1_11comp_targetILNS1_3genE10ELNS1_11target_archE1200ELNS1_3gpuE4ELNS1_3repE0EEENS1_30default_config_static_selectorELNS0_4arch9wavefront6targetE0EEEvSZ_,comdat
	.globl	_ZN7rocprim17ROCPRIM_400000_NS6detail17trampoline_kernelINS0_13select_configILj256ELj13ELNS0_17block_load_methodE3ELS4_3ELS4_3ELNS0_20block_scan_algorithmE0ELj4294967295EEENS1_25partition_config_selectorILNS1_17partition_subalgoE3EjNS0_10empty_typeEbEEZZNS1_14partition_implILS8_3ELb0ES6_jNS0_17counting_iteratorIjlEEPS9_SE_NS0_5tupleIJPjSE_EEENSF_IJSE_SE_EEES9_SG_JZNS1_25segmented_radix_sort_implINS0_14default_configELb1EPK12hip_bfloat16PSL_PKlPlN2at6native12_GLOBAL__N_18offset_tEEE10hipError_tPvRmT1_PNSt15iterator_traitsISZ_E10value_typeET2_T3_PNS10_IS15_E10value_typeET4_jRbjT5_S1B_jjP12ihipStream_tbEUljE_EEESW_SX_SY_S15_S19_S1B_T6_T7_T9_mT8_S1D_bDpT10_ENKUlT_T0_E_clISt17integral_constantIbLb0EES1P_IbLb1EEEEDaS1L_S1M_EUlS1L_E_NS1_11comp_targetILNS1_3genE10ELNS1_11target_archE1200ELNS1_3gpuE4ELNS1_3repE0EEENS1_30default_config_static_selectorELNS0_4arch9wavefront6targetE0EEEvSZ_ ; -- Begin function _ZN7rocprim17ROCPRIM_400000_NS6detail17trampoline_kernelINS0_13select_configILj256ELj13ELNS0_17block_load_methodE3ELS4_3ELS4_3ELNS0_20block_scan_algorithmE0ELj4294967295EEENS1_25partition_config_selectorILNS1_17partition_subalgoE3EjNS0_10empty_typeEbEEZZNS1_14partition_implILS8_3ELb0ES6_jNS0_17counting_iteratorIjlEEPS9_SE_NS0_5tupleIJPjSE_EEENSF_IJSE_SE_EEES9_SG_JZNS1_25segmented_radix_sort_implINS0_14default_configELb1EPK12hip_bfloat16PSL_PKlPlN2at6native12_GLOBAL__N_18offset_tEEE10hipError_tPvRmT1_PNSt15iterator_traitsISZ_E10value_typeET2_T3_PNS10_IS15_E10value_typeET4_jRbjT5_S1B_jjP12ihipStream_tbEUljE_EEESW_SX_SY_S15_S19_S1B_T6_T7_T9_mT8_S1D_bDpT10_ENKUlT_T0_E_clISt17integral_constantIbLb0EES1P_IbLb1EEEEDaS1L_S1M_EUlS1L_E_NS1_11comp_targetILNS1_3genE10ELNS1_11target_archE1200ELNS1_3gpuE4ELNS1_3repE0EEENS1_30default_config_static_selectorELNS0_4arch9wavefront6targetE0EEEvSZ_
	.p2align	8
	.type	_ZN7rocprim17ROCPRIM_400000_NS6detail17trampoline_kernelINS0_13select_configILj256ELj13ELNS0_17block_load_methodE3ELS4_3ELS4_3ELNS0_20block_scan_algorithmE0ELj4294967295EEENS1_25partition_config_selectorILNS1_17partition_subalgoE3EjNS0_10empty_typeEbEEZZNS1_14partition_implILS8_3ELb0ES6_jNS0_17counting_iteratorIjlEEPS9_SE_NS0_5tupleIJPjSE_EEENSF_IJSE_SE_EEES9_SG_JZNS1_25segmented_radix_sort_implINS0_14default_configELb1EPK12hip_bfloat16PSL_PKlPlN2at6native12_GLOBAL__N_18offset_tEEE10hipError_tPvRmT1_PNSt15iterator_traitsISZ_E10value_typeET2_T3_PNS10_IS15_E10value_typeET4_jRbjT5_S1B_jjP12ihipStream_tbEUljE_EEESW_SX_SY_S15_S19_S1B_T6_T7_T9_mT8_S1D_bDpT10_ENKUlT_T0_E_clISt17integral_constantIbLb0EES1P_IbLb1EEEEDaS1L_S1M_EUlS1L_E_NS1_11comp_targetILNS1_3genE10ELNS1_11target_archE1200ELNS1_3gpuE4ELNS1_3repE0EEENS1_30default_config_static_selectorELNS0_4arch9wavefront6targetE0EEEvSZ_,@function
_ZN7rocprim17ROCPRIM_400000_NS6detail17trampoline_kernelINS0_13select_configILj256ELj13ELNS0_17block_load_methodE3ELS4_3ELS4_3ELNS0_20block_scan_algorithmE0ELj4294967295EEENS1_25partition_config_selectorILNS1_17partition_subalgoE3EjNS0_10empty_typeEbEEZZNS1_14partition_implILS8_3ELb0ES6_jNS0_17counting_iteratorIjlEEPS9_SE_NS0_5tupleIJPjSE_EEENSF_IJSE_SE_EEES9_SG_JZNS1_25segmented_radix_sort_implINS0_14default_configELb1EPK12hip_bfloat16PSL_PKlPlN2at6native12_GLOBAL__N_18offset_tEEE10hipError_tPvRmT1_PNSt15iterator_traitsISZ_E10value_typeET2_T3_PNS10_IS15_E10value_typeET4_jRbjT5_S1B_jjP12ihipStream_tbEUljE_EEESW_SX_SY_S15_S19_S1B_T6_T7_T9_mT8_S1D_bDpT10_ENKUlT_T0_E_clISt17integral_constantIbLb0EES1P_IbLb1EEEEDaS1L_S1M_EUlS1L_E_NS1_11comp_targetILNS1_3genE10ELNS1_11target_archE1200ELNS1_3gpuE4ELNS1_3repE0EEENS1_30default_config_static_selectorELNS0_4arch9wavefront6targetE0EEEvSZ_: ; @_ZN7rocprim17ROCPRIM_400000_NS6detail17trampoline_kernelINS0_13select_configILj256ELj13ELNS0_17block_load_methodE3ELS4_3ELS4_3ELNS0_20block_scan_algorithmE0ELj4294967295EEENS1_25partition_config_selectorILNS1_17partition_subalgoE3EjNS0_10empty_typeEbEEZZNS1_14partition_implILS8_3ELb0ES6_jNS0_17counting_iteratorIjlEEPS9_SE_NS0_5tupleIJPjSE_EEENSF_IJSE_SE_EEES9_SG_JZNS1_25segmented_radix_sort_implINS0_14default_configELb1EPK12hip_bfloat16PSL_PKlPlN2at6native12_GLOBAL__N_18offset_tEEE10hipError_tPvRmT1_PNSt15iterator_traitsISZ_E10value_typeET2_T3_PNS10_IS15_E10value_typeET4_jRbjT5_S1B_jjP12ihipStream_tbEUljE_EEESW_SX_SY_S15_S19_S1B_T6_T7_T9_mT8_S1D_bDpT10_ENKUlT_T0_E_clISt17integral_constantIbLb0EES1P_IbLb1EEEEDaS1L_S1M_EUlS1L_E_NS1_11comp_targetILNS1_3genE10ELNS1_11target_archE1200ELNS1_3gpuE4ELNS1_3repE0EEENS1_30default_config_static_selectorELNS0_4arch9wavefront6targetE0EEEvSZ_
; %bb.0:
	s_clause 0x6
	s_load_b64 s[16:17], s[0:1], 0x10
	s_load_b64 s[10:11], s[0:1], 0x28
	;; [unrolled: 1-line block ×3, first 2 shown]
	s_load_b128 s[12:15], s[0:1], 0x48
	s_load_b32 s3, s[0:1], 0x90
	s_load_b64 s[20:21], s[0:1], 0x68
	s_load_b128 s[4:7], s[0:1], 0x80
	v_cmp_eq_u32_e64 s2, 0, v0
	s_and_saveexec_b32 s8, s2
	s_cbranch_execz .LBB1943_4
; %bb.1:
	s_mov_b32 s22, exec_lo
	s_mov_b32 s9, exec_lo
	v_mbcnt_lo_u32_b32 v1, s22, 0
                                        ; implicit-def: $vgpr2
	s_delay_alu instid0(VALU_DEP_1)
	v_cmpx_eq_u32_e32 0, v1
	s_cbranch_execz .LBB1943_3
; %bb.2:
	s_load_b64 s[24:25], s[0:1], 0x78
	s_bcnt1_i32_b32 s22, s22
	s_wait_alu 0xfffe
	v_dual_mov_b32 v2, 0 :: v_dual_mov_b32 v3, s22
	s_wait_kmcnt 0x0
	global_atomic_add_u32 v2, v2, v3, s[24:25] th:TH_ATOMIC_RETURN scope:SCOPE_DEV
.LBB1943_3:
	s_or_b32 exec_lo, exec_lo, s9
	s_wait_loadcnt 0x0
	v_readfirstlane_b32 s9, v2
	s_delay_alu instid0(VALU_DEP_1)
	v_dual_mov_b32 v2, 0 :: v_dual_add_nc_u32 v1, s9, v1
	ds_store_b32 v2, v1
.LBB1943_4:
	s_or_b32 exec_lo, exec_lo, s8
	v_mov_b32_e32 v1, 0
	s_clause 0x1
	s_load_b32 s8, s[0:1], 0x8
	s_load_b32 s0, s[0:1], 0x70
	s_wait_dscnt 0x0
	s_barrier_signal -1
	s_barrier_wait -1
	global_inv scope:SCOPE_SE
	ds_load_b32 v2, v1
	s_wait_loadcnt_dscnt 0x0
	s_barrier_signal -1
	s_barrier_wait -1
	global_inv scope:SCOPE_SE
	s_wait_kmcnt 0x0
	global_load_b64 v[17:18], v1, s[14:15]
	s_mov_b32 s1, 0
	v_lshlrev_b32_e32 v45, 2, v0
	s_mov_b32 s23, -1
	s_add_co_i32 s8, s8, s16
	s_add_co_i32 s9, s0, -1
	s_mulk_i32 s0, 0xd00
	s_delay_alu instid0(SALU_CYCLE_1)
	s_add_co_i32 s14, s0, s16
	s_add_nc_u64 s[0:1], s[16:17], s[0:1]
	v_readfirstlane_b32 s15, v2
	v_cmp_gt_u64_e64 s0, s[18:19], s[0:1]
	s_sub_co_i32 s22, s18, s14
	s_wait_alu 0xfffe
	v_cmp_ne_u32_e32 vcc_lo, s9, v2
	s_addk_co_i32 s22, 0xd00
	s_cmp_eq_u32 s15, s9
	s_mul_i32 s14, s15, 0xd00
	s_cselect_b32 s9, -1, 0
	s_or_b32 s1, s0, vcc_lo
	s_wait_alu 0xfffe
	s_and_b32 vcc_lo, exec_lo, s1
	s_cbranch_vccz .LBB1943_6
; %bb.5:
	v_add3_u32 v1, s14, s8, v0
	s_mov_b32 s23, 0
	s_delay_alu instid0(VALU_DEP_1)
	v_add_nc_u32_e32 v2, 0x100, v1
	v_add_nc_u32_e32 v3, 0x200, v1
	;; [unrolled: 1-line block ×12, first 2 shown]
	ds_store_2addr_stride64_b32 v45, v1, v2 offset1:4
	ds_store_2addr_stride64_b32 v45, v3, v4 offset0:8 offset1:12
	ds_store_2addr_stride64_b32 v45, v5, v6 offset0:16 offset1:20
	;; [unrolled: 1-line block ×5, first 2 shown]
	ds_store_b32 v45, v13 offset:12288
	s_wait_loadcnt_dscnt 0x0
	s_barrier_signal -1
	s_barrier_wait -1
.LBB1943_6:
	v_cmp_gt_u32_e64 s0, s22, v0
	v_or_b32_e32 v44, 0x100, v0
	v_or_b32_e32 v43, 0x200, v0
	;; [unrolled: 1-line block ×12, first 2 shown]
	s_wait_alu 0xfffe
	s_and_not1_b32 vcc_lo, exec_lo, s23
	s_cbranch_vccnz .LBB1943_8
; %bb.7:
	s_add_co_i32 s8, s14, s8
	v_cmp_gt_u32_e32 vcc_lo, s22, v44
	s_wait_alu 0xfffe
	v_add_nc_u32_e32 v13, s8, v33
	v_add_nc_u32_e32 v12, s8, v34
	;; [unrolled: 1-line block ×12, first 2 shown]
	s_delay_alu instid0(VALU_DEP_1) | instskip(SKIP_1) | instid1(VALU_DEP_2)
	v_dual_cndmask_b32 v2, 0, v2 :: v_dual_add_nc_u32 v1, s8, v0
	v_cmp_gt_u32_e32 vcc_lo, s22, v43
	v_cndmask_b32_e64 v1, 0, v1, s0
	s_wait_alu 0xfffd
	v_cndmask_b32_e32 v3, 0, v3, vcc_lo
	v_cmp_gt_u32_e32 vcc_lo, s22, v42
	s_wait_alu 0xfffd
	v_cndmask_b32_e32 v4, 0, v4, vcc_lo
	v_cmp_gt_u32_e32 vcc_lo, s22, v41
	;; [unrolled: 3-line block ×10, first 2 shown]
	s_wait_alu 0xfffd
	v_cndmask_b32_e32 v13, 0, v13, vcc_lo
	ds_store_2addr_stride64_b32 v45, v1, v2 offset1:4
	ds_store_2addr_stride64_b32 v45, v3, v4 offset0:8 offset1:12
	ds_store_2addr_stride64_b32 v45, v5, v6 offset0:16 offset1:20
	;; [unrolled: 1-line block ×5, first 2 shown]
	ds_store_b32 v45, v13 offset:12288
	s_wait_loadcnt_dscnt 0x0
	s_barrier_signal -1
	s_barrier_wait -1
.LBB1943_8:
	v_mul_u32_u24_e32 v48, 13, v0
	s_wait_loadcnt 0x0
	global_inv scope:SCOPE_SE
	v_cndmask_b32_e64 v46, 0, 1, s1
	s_and_not1_b32 vcc_lo, exec_lo, s1
	v_lshlrev_b32_e32 v1, 2, v48
	ds_load_2addr_b32 v[29:30], v1 offset0:2 offset1:3
	ds_load_2addr_b32 v[25:26], v1 offset0:6 offset1:7
	;; [unrolled: 1-line block ×3, first 2 shown]
	ds_load_2addr_b32 v[31:32], v1 offset1:1
	ds_load_2addr_b32 v[21:22], v1 offset0:10 offset1:11
	ds_load_b32 v47, v1 offset:48
	ds_load_2addr_b32 v[23:24], v1 offset0:8 offset1:9
	s_wait_loadcnt_dscnt 0x0
	s_barrier_signal -1
	s_barrier_wait -1
	global_inv scope:SCOPE_SE
	s_wait_alu 0xfffe
	s_cbranch_vccnz .LBB1943_10
; %bb.9:
	v_add_nc_u32_e32 v1, s5, v30
	v_add_nc_u32_e32 v2, s7, v30
	;; [unrolled: 1-line block ×5, first 2 shown]
	v_mul_lo_u32 v1, v1, s4
	v_mul_lo_u32 v2, v2, s6
	v_add_nc_u32_e32 v8, s7, v29
	v_add_nc_u32_e32 v3, s5, v32
	;; [unrolled: 1-line block ×3, first 2 shown]
	v_mul_lo_u32 v5, v5, s4
	v_mul_lo_u32 v4, v4, s4
	v_add_nc_u32_e32 v9, s5, v27
	v_mul_lo_u32 v3, v3, s4
	v_sub_nc_u32_e32 v1, v1, v2
	v_mul_lo_u32 v2, v7, s6
	v_mul_lo_u32 v7, v8, s6
	;; [unrolled: 1-line block ×3, first 2 shown]
	v_add_nc_u32_e32 v8, s5, v28
	v_add_nc_u32_e32 v10, s7, v27
	v_mul_lo_u32 v9, v9, s4
	v_cmp_lt_u32_e32 vcc_lo, s3, v1
	v_add_nc_u32_e32 v14, s7, v22
	v_sub_nc_u32_e32 v2, v4, v2
	v_sub_nc_u32_e32 v4, v5, v7
	v_add_nc_u32_e32 v5, s7, v28
	v_sub_nc_u32_e32 v3, v3, v6
	v_add_nc_u32_e32 v6, s5, v26
	v_add_nc_u32_e32 v7, s7, v26
	v_mul_lo_u32 v8, v8, s4
	v_mul_lo_u32 v5, v5, s6
	;; [unrolled: 1-line block ×5, first 2 shown]
	s_wait_alu 0xfffd
	v_cndmask_b32_e64 v1, 0, 1, vcc_lo
	v_cmp_lt_u32_e32 vcc_lo, s3, v3
	v_mul_lo_u32 v14, v14, s6
	v_add_nc_u32_e32 v15, s7, v24
	v_sub_nc_u32_e32 v5, v8, v5
	v_add_nc_u32_e32 v8, s7, v25
	s_wait_alu 0xfffd
	v_cndmask_b32_e64 v3, 0, 1, vcc_lo
	v_sub_nc_u32_e32 v6, v6, v7
	v_mul_lo_u32 v15, v15, s6
	v_cmp_lt_u32_e32 vcc_lo, s3, v5
	v_mul_lo_u32 v7, v8, s6
	v_sub_nc_u32_e32 v8, v9, v10
	v_add_nc_u32_e32 v9, s5, v22
	v_add_nc_u32_e32 v10, s5, v24
	s_wait_alu 0xfffd
	v_cndmask_b32_e64 v5, 0, 1, vcc_lo
	v_cmp_lt_u32_e32 vcc_lo, s3, v6
	v_add_nc_u32_e32 v11, s5, v25
	v_mul_lo_u32 v9, v9, s4
	v_mul_lo_u32 v10, v10, s4
	v_add_nc_u32_e32 v12, s5, v23
	s_wait_alu 0xfffd
	v_cndmask_b32_e64 v6, 0, 1, vcc_lo
	v_mul_lo_u32 v11, v11, s4
	v_add_nc_u32_e32 v16, s7, v23
	v_lshlrev_b16 v3, 8, v3
	v_add_nc_u32_e32 v13, s5, v21
	v_sub_nc_u32_e32 v9, v9, v14
	v_sub_nc_u32_e32 v10, v10, v15
	v_add_nc_u32_e32 v19, s7, v21
	v_mul_lo_u32 v12, v12, s4
	v_mul_lo_u32 v16, v16, s6
	v_cmp_lt_u32_e32 vcc_lo, s3, v9
	v_sub_nc_u32_e32 v7, v11, v7
	v_lshrrev_b32_e32 v3, 8, v3
	v_mul_lo_u32 v11, v13, s4
	v_mul_lo_u32 v13, v19, s6
	s_wait_alu 0xfffd
	v_cndmask_b32_e64 v9, 0, 1, vcc_lo
	v_cmp_lt_u32_e32 vcc_lo, s3, v2
	v_sub_nc_u32_e32 v12, v12, v16
	v_lshlrev_b16 v3, 8, v3
	v_lshlrev_b16 v1, 8, v1
	;; [unrolled: 1-line block ×3, first 2 shown]
	s_wait_alu 0xfffd
	v_cndmask_b32_e64 v2, 0, 1, vcc_lo
	v_cmp_lt_u32_e32 vcc_lo, s3, v10
	v_sub_nc_u32_e32 v11, v11, v13
	v_add_nc_u32_e32 v14, s5, v47
	v_add_nc_u32_e32 v15, s7, v47
	v_or_b32_e32 v2, v2, v3
	s_wait_alu 0xfffd
	v_cndmask_b32_e64 v10, 0, 1, vcc_lo
	v_cmp_lt_u32_e32 vcc_lo, s3, v4
	v_lshlrev_b16 v3, 8, v9
	v_lshrrev_b32_e32 v5, 8, v5
	v_lshrrev_b32_e32 v1, 8, v1
	v_lshlrev_b16 v9, 8, v10
	s_wait_alu 0xfffd
	v_cndmask_b32_e64 v4, 0, 1, vcc_lo
	v_cmp_lt_u32_e32 vcc_lo, s3, v8
	v_lshrrev_b32_e32 v3, 8, v3
	v_mul_lo_u32 v14, v14, s4
	v_lshrrev_b32_e32 v9, 8, v9
	v_mul_lo_u32 v15, v15, s6
	s_wait_alu 0xfffd
	v_cndmask_b32_e64 v8, 0, 1, vcc_lo
	v_cmp_lt_u32_e32 vcc_lo, s3, v7
	v_lshlrev_b16 v6, 8, v6
	v_lshlrev_b16 v1, 8, v1
	;; [unrolled: 1-line block ×4, first 2 shown]
	s_wait_alu 0xfffd
	v_cndmask_b32_e64 v7, 0, 1, vcc_lo
	v_cmp_lt_u32_e32 vcc_lo, s3, v12
	v_lshlrev_b16 v3, 8, v3
	v_sub_nc_u32_e32 v10, v14, v15
	v_or_b32_e32 v1, v4, v1
	v_or_b32_e32 v4, v8, v5
	s_wait_alu 0xfffd
	v_cndmask_b32_e64 v12, 0, 1, vcc_lo
	v_cmp_lt_u32_e32 vcc_lo, s3, v11
	v_or_b32_e32 v5, v7, v6
	v_and_b32_e32 v2, 0xffff, v2
	v_lshlrev_b32_e32 v1, 16, v1
	v_or_b32_e32 v6, v12, v9
	s_wait_alu 0xfffd
	v_cndmask_b32_e64 v11, 0, 1, vcc_lo
	v_and_b32_e32 v4, 0xffff, v4
	v_lshlrev_b32_e32 v5, 16, v5
	v_cmp_lt_u32_e32 vcc_lo, s3, v10
	v_and_b32_e32 v6, 0xffff, v6
	v_or_b32_e32 v3, v11, v3
	v_or_b32_e32 v54, v2, v1
	;; [unrolled: 1-line block ×3, first 2 shown]
	s_wait_alu 0xfffd
	v_cndmask_b32_e64 v49, 0, 1, vcc_lo
	v_lshlrev_b32_e32 v3, 16, v3
	s_delay_alu instid0(VALU_DEP_1)
	v_or_b32_e32 v50, v6, v3
	s_cbranch_execz .LBB1943_11
	s_branch .LBB1943_38
.LBB1943_10:
                                        ; implicit-def: $vgpr49
                                        ; implicit-def: $vgpr50
                                        ; implicit-def: $vgpr52
                                        ; implicit-def: $vgpr54
.LBB1943_11:
	v_dual_mov_b32 v2, 0 :: v_dual_mov_b32 v1, 0
	s_mov_b32 s0, exec_lo
	v_cmpx_gt_u32_e64 s22, v48
	s_cbranch_execz .LBB1943_13
; %bb.12:
	v_add_nc_u32_e32 v1, s5, v31
	v_add_nc_u32_e32 v3, s7, v31
	s_delay_alu instid0(VALU_DEP_2) | instskip(NEXT) | instid1(VALU_DEP_2)
	v_mul_lo_u32 v1, v1, s4
	v_mul_lo_u32 v3, v3, s6
	s_delay_alu instid0(VALU_DEP_1) | instskip(NEXT) | instid1(VALU_DEP_1)
	v_sub_nc_u32_e32 v1, v1, v3
	v_cmp_lt_u32_e32 vcc_lo, s3, v1
	s_wait_alu 0xfffd
	v_cndmask_b32_e64 v1, 0, 1, vcc_lo
.LBB1943_13:
	s_wait_alu 0xfffe
	s_or_b32 exec_lo, exec_lo, s0
	v_add_nc_u32_e32 v3, 1, v48
	s_mov_b32 s0, exec_lo
	s_delay_alu instid0(VALU_DEP_1)
	v_cmpx_gt_u32_e64 s22, v3
	s_cbranch_execz .LBB1943_15
; %bb.14:
	v_add_nc_u32_e32 v2, s5, v32
	v_add_nc_u32_e32 v3, s7, v32
	s_delay_alu instid0(VALU_DEP_2) | instskip(NEXT) | instid1(VALU_DEP_2)
	v_mul_lo_u32 v2, v2, s4
	v_mul_lo_u32 v3, v3, s6
	s_delay_alu instid0(VALU_DEP_1) | instskip(NEXT) | instid1(VALU_DEP_1)
	v_sub_nc_u32_e32 v2, v2, v3
	v_cmp_lt_u32_e32 vcc_lo, s3, v2
	s_wait_alu 0xfffd
	v_cndmask_b32_e64 v2, 0, 1, vcc_lo
.LBB1943_15:
	s_wait_alu 0xfffe
	s_or_b32 exec_lo, exec_lo, s0
	v_dual_mov_b32 v4, 0 :: v_dual_add_nc_u32 v3, 2, v48
	s_delay_alu instid0(VALU_DEP_1)
	v_cmp_gt_u32_e32 vcc_lo, s22, v3
	v_mov_b32_e32 v3, 0
	s_and_saveexec_b32 s0, vcc_lo
	s_cbranch_execz .LBB1943_17
; %bb.16:
	v_add_nc_u32_e32 v3, s5, v29
	v_add_nc_u32_e32 v5, s7, v29
	s_delay_alu instid0(VALU_DEP_2) | instskip(NEXT) | instid1(VALU_DEP_2)
	v_mul_lo_u32 v3, v3, s4
	v_mul_lo_u32 v5, v5, s6
	s_delay_alu instid0(VALU_DEP_1) | instskip(NEXT) | instid1(VALU_DEP_1)
	v_sub_nc_u32_e32 v3, v3, v5
	v_cmp_lt_u32_e32 vcc_lo, s3, v3
	s_wait_alu 0xfffd
	v_cndmask_b32_e64 v3, 0, 1, vcc_lo
.LBB1943_17:
	s_wait_alu 0xfffe
	s_or_b32 exec_lo, exec_lo, s0
	v_add_nc_u32_e32 v5, 3, v48
	s_mov_b32 s0, exec_lo
	s_delay_alu instid0(VALU_DEP_1)
	v_cmpx_gt_u32_e64 s22, v5
	s_cbranch_execz .LBB1943_19
; %bb.18:
	v_add_nc_u32_e32 v4, s5, v30
	v_add_nc_u32_e32 v5, s7, v30
	s_delay_alu instid0(VALU_DEP_2) | instskip(NEXT) | instid1(VALU_DEP_2)
	v_mul_lo_u32 v4, v4, s4
	v_mul_lo_u32 v5, v5, s6
	s_delay_alu instid0(VALU_DEP_1) | instskip(NEXT) | instid1(VALU_DEP_1)
	v_sub_nc_u32_e32 v4, v4, v5
	v_cmp_lt_u32_e32 vcc_lo, s3, v4
	s_wait_alu 0xfffd
	v_cndmask_b32_e64 v4, 0, 1, vcc_lo
.LBB1943_19:
	s_wait_alu 0xfffe
	s_or_b32 exec_lo, exec_lo, s0
	v_dual_mov_b32 v6, 0 :: v_dual_add_nc_u32 v5, 4, v48
	s_delay_alu instid0(VALU_DEP_1)
	v_cmp_gt_u32_e32 vcc_lo, s22, v5
	v_mov_b32_e32 v5, 0
	s_and_saveexec_b32 s0, vcc_lo
	;; [unrolled: 39-line block ×5, first 2 shown]
	s_cbranch_execz .LBB1943_33
; %bb.32:
	v_add_nc_u32_e32 v11, s5, v21
	v_add_nc_u32_e32 v13, s7, v21
	s_delay_alu instid0(VALU_DEP_2) | instskip(NEXT) | instid1(VALU_DEP_2)
	v_mul_lo_u32 v11, v11, s4
	v_mul_lo_u32 v13, v13, s6
	s_delay_alu instid0(VALU_DEP_1) | instskip(NEXT) | instid1(VALU_DEP_1)
	v_sub_nc_u32_e32 v11, v11, v13
	v_cmp_lt_u32_e32 vcc_lo, s3, v11
	s_wait_alu 0xfffd
	v_cndmask_b32_e64 v11, 0, 1, vcc_lo
.LBB1943_33:
	s_wait_alu 0xfffe
	s_or_b32 exec_lo, exec_lo, s0
	v_add_nc_u32_e32 v13, 11, v48
	s_mov_b32 s0, exec_lo
	s_delay_alu instid0(VALU_DEP_1)
	v_cmpx_gt_u32_e64 s22, v13
	s_cbranch_execz .LBB1943_35
; %bb.34:
	v_add_nc_u32_e32 v12, s5, v22
	v_add_nc_u32_e32 v13, s7, v22
	s_delay_alu instid0(VALU_DEP_2) | instskip(NEXT) | instid1(VALU_DEP_2)
	v_mul_lo_u32 v12, v12, s4
	v_mul_lo_u32 v13, v13, s6
	s_delay_alu instid0(VALU_DEP_1) | instskip(NEXT) | instid1(VALU_DEP_1)
	v_sub_nc_u32_e32 v12, v12, v13
	v_cmp_lt_u32_e32 vcc_lo, s3, v12
	s_wait_alu 0xfffd
	v_cndmask_b32_e64 v12, 0, 1, vcc_lo
.LBB1943_35:
	s_wait_alu 0xfffe
	s_or_b32 exec_lo, exec_lo, s0
	v_add_nc_u32_e32 v13, 12, v48
	v_mov_b32_e32 v49, 0
	s_mov_b32 s0, exec_lo
	s_delay_alu instid0(VALU_DEP_2)
	v_cmpx_gt_u32_e64 s22, v13
	s_cbranch_execz .LBB1943_37
; %bb.36:
	v_add_nc_u32_e32 v13, s5, v47
	v_add_nc_u32_e32 v14, s7, v47
	s_delay_alu instid0(VALU_DEP_2) | instskip(NEXT) | instid1(VALU_DEP_2)
	v_mul_lo_u32 v13, v13, s4
	v_mul_lo_u32 v14, v14, s6
	s_delay_alu instid0(VALU_DEP_1) | instskip(NEXT) | instid1(VALU_DEP_1)
	v_sub_nc_u32_e32 v13, v13, v14
	v_cmp_lt_u32_e32 vcc_lo, s3, v13
	s_wait_alu 0xfffd
	v_cndmask_b32_e64 v49, 0, 1, vcc_lo
.LBB1943_37:
	s_wait_alu 0xfffe
	s_or_b32 exec_lo, exec_lo, s0
	v_lshlrev_b16 v2, 8, v2
	v_lshlrev_b16 v4, 8, v4
	;; [unrolled: 1-line block ×5, first 2 shown]
	v_or_b32_e32 v1, v1, v2
	v_lshlrev_b16 v2, 8, v12
	v_or_b32_e32 v3, v3, v4
	v_or_b32_e32 v4, v5, v6
	v_or_b32_e32 v5, v7, v8
	v_or_b32_e32 v6, v9, v10
	v_or_b32_e32 v2, v11, v2
	v_and_b32_e32 v1, 0xffff, v1
	v_lshlrev_b32_e32 v3, 16, v3
	v_and_b32_e32 v4, 0xffff, v4
	v_lshlrev_b32_e32 v5, 16, v5
	;; [unrolled: 2-line block ×3, first 2 shown]
	v_or_b32_e32 v54, v1, v3
	s_delay_alu instid0(VALU_DEP_4) | instskip(NEXT) | instid1(VALU_DEP_3)
	v_or_b32_e32 v52, v4, v5
	v_or_b32_e32 v50, v6, v2
.LBB1943_38:
	s_delay_alu instid0(VALU_DEP_3)
	v_and_b32_e32 v56, 0xff, v54
	v_bfe_u32 v57, v54, 8, 8
	v_bfe_u32 v58, v54, 16, 8
	v_lshrrev_b32_e32 v55, 24, v54
	v_and_b32_e32 v59, 0xff, v52
	v_bfe_u32 v60, v52, 8, 8
	v_bfe_u32 v61, v52, 16, 8
	v_add3_u32 v1, v57, v56, v58
	v_lshrrev_b32_e32 v53, 24, v52
	v_and_b32_e32 v62, 0xff, v50
	v_bfe_u32 v63, v50, 8, 8
	v_mbcnt_lo_u32_b32 v65, -1, 0
	v_add3_u32 v1, v1, v55, v59
	v_bfe_u32 v64, v50, 16, 8
	v_lshrrev_b32_e32 v51, 24, v50
	v_and_b32_e32 v2, 0xff, v49
	v_and_b32_e32 v3, 15, v65
	v_add3_u32 v1, v1, v60, v61
	v_or_b32_e32 v4, 31, v0
	v_and_b32_e32 v5, 16, v65
	v_lshrrev_b32_e32 v66, 5, v0
	v_cmp_eq_u32_e64 s6, 0, v3
	v_add3_u32 v1, v1, v53, v62
	v_cmp_lt_u32_e64 s5, 1, v3
	v_cmp_lt_u32_e64 s4, 3, v3
	;; [unrolled: 1-line block ×3, first 2 shown]
	v_cmp_eq_u32_e64 s1, 0, v5
	v_add3_u32 v1, v1, v63, v64
	v_cmp_eq_u32_e64 s0, v0, v4
	s_cmp_lg_u32 s15, 0
	s_mov_b32 s7, -1
	v_add3_u32 v67, v1, v51, v2
	s_cbranch_scc0 .LBB1943_59
; %bb.39:
	s_delay_alu instid0(VALU_DEP_1) | instskip(NEXT) | instid1(VALU_DEP_1)
	v_mov_b32_dpp v1, v67 row_shr:1 row_mask:0xf bank_mask:0xf
	v_cndmask_b32_e64 v1, v1, 0, s6
	s_delay_alu instid0(VALU_DEP_1) | instskip(NEXT) | instid1(VALU_DEP_1)
	v_add_nc_u32_e32 v1, v1, v67
	v_mov_b32_dpp v2, v1 row_shr:2 row_mask:0xf bank_mask:0xf
	s_delay_alu instid0(VALU_DEP_1) | instskip(NEXT) | instid1(VALU_DEP_1)
	v_cndmask_b32_e64 v2, 0, v2, s5
	v_add_nc_u32_e32 v1, v1, v2
	s_delay_alu instid0(VALU_DEP_1) | instskip(NEXT) | instid1(VALU_DEP_1)
	v_mov_b32_dpp v2, v1 row_shr:4 row_mask:0xf bank_mask:0xf
	v_cndmask_b32_e64 v2, 0, v2, s4
	s_delay_alu instid0(VALU_DEP_1) | instskip(NEXT) | instid1(VALU_DEP_1)
	v_add_nc_u32_e32 v1, v1, v2
	v_mov_b32_dpp v2, v1 row_shr:8 row_mask:0xf bank_mask:0xf
	s_delay_alu instid0(VALU_DEP_1) | instskip(NEXT) | instid1(VALU_DEP_1)
	v_cndmask_b32_e64 v2, 0, v2, s3
	v_add_nc_u32_e32 v1, v1, v2
	ds_swizzle_b32 v2, v1 offset:swizzle(BROADCAST,32,15)
	s_wait_dscnt 0x0
	v_cndmask_b32_e64 v2, v2, 0, s1
	s_delay_alu instid0(VALU_DEP_1)
	v_add_nc_u32_e32 v1, v1, v2
	s_and_saveexec_b32 s7, s0
; %bb.40:
	v_lshlrev_b32_e32 v2, 2, v66
	ds_store_b32 v2, v1
; %bb.41:
	s_wait_alu 0xfffe
	s_or_b32 exec_lo, exec_lo, s7
	s_delay_alu instid0(SALU_CYCLE_1)
	s_mov_b32 s7, exec_lo
	s_wait_loadcnt_dscnt 0x0
	s_barrier_signal -1
	s_barrier_wait -1
	global_inv scope:SCOPE_SE
	v_cmpx_gt_u32_e32 8, v0
	s_cbranch_execz .LBB1943_43
; %bb.42:
	ds_load_b32 v2, v45
	s_wait_dscnt 0x0
	v_mov_b32_dpp v4, v2 row_shr:1 row_mask:0xf bank_mask:0xf
	v_and_b32_e32 v3, 7, v65
	s_delay_alu instid0(VALU_DEP_1) | instskip(SKIP_1) | instid1(VALU_DEP_3)
	v_cmp_ne_u32_e32 vcc_lo, 0, v3
	s_wait_alu 0xfffd
	v_cndmask_b32_e32 v4, 0, v4, vcc_lo
	v_cmp_lt_u32_e32 vcc_lo, 1, v3
	s_delay_alu instid0(VALU_DEP_2) | instskip(NEXT) | instid1(VALU_DEP_1)
	v_add_nc_u32_e32 v2, v4, v2
	v_mov_b32_dpp v4, v2 row_shr:2 row_mask:0xf bank_mask:0xf
	s_wait_alu 0xfffd
	s_delay_alu instid0(VALU_DEP_1) | instskip(SKIP_1) | instid1(VALU_DEP_2)
	v_cndmask_b32_e32 v4, 0, v4, vcc_lo
	v_cmp_lt_u32_e32 vcc_lo, 3, v3
	v_add_nc_u32_e32 v2, v2, v4
	s_delay_alu instid0(VALU_DEP_1) | instskip(SKIP_1) | instid1(VALU_DEP_1)
	v_mov_b32_dpp v4, v2 row_shr:4 row_mask:0xf bank_mask:0xf
	s_wait_alu 0xfffd
	v_cndmask_b32_e32 v3, 0, v4, vcc_lo
	s_delay_alu instid0(VALU_DEP_1)
	v_add_nc_u32_e32 v2, v2, v3
	ds_store_b32 v45, v2
.LBB1943_43:
	s_wait_alu 0xfffe
	s_or_b32 exec_lo, exec_lo, s7
	s_delay_alu instid0(SALU_CYCLE_1)
	s_mov_b32 s8, exec_lo
	v_cmp_gt_u32_e32 vcc_lo, 32, v0
	s_wait_loadcnt_dscnt 0x0
	s_barrier_signal -1
	s_barrier_wait -1
	global_inv scope:SCOPE_SE
                                        ; implicit-def: $vgpr9
	v_cmpx_lt_u32_e32 31, v0
	s_cbranch_execz .LBB1943_45
; %bb.44:
	v_lshl_add_u32 v2, v66, 2, -4
	ds_load_b32 v9, v2
	s_wait_dscnt 0x0
	v_add_nc_u32_e32 v1, v9, v1
.LBB1943_45:
	s_wait_alu 0xfffe
	s_or_b32 exec_lo, exec_lo, s8
	v_sub_co_u32 v2, s7, v65, 1
	s_delay_alu instid0(VALU_DEP_1) | instskip(SKIP_1) | instid1(VALU_DEP_1)
	v_cmp_gt_i32_e64 s8, 0, v2
	s_wait_alu 0xf1ff
	v_cndmask_b32_e64 v2, v2, v65, s8
	s_delay_alu instid0(VALU_DEP_1)
	v_lshlrev_b32_e32 v2, 2, v2
	ds_bpermute_b32 v10, v2, v1
	s_and_saveexec_b32 s8, vcc_lo
	s_cbranch_execz .LBB1943_64
; %bb.46:
	v_mov_b32_e32 v5, 0
	ds_load_b32 v1, v5 offset:28
	s_and_saveexec_b32 s23, s7
	s_cbranch_execz .LBB1943_48
; %bb.47:
	s_add_co_i32 s24, s15, 32
	s_mov_b32 s25, 0
	v_mov_b32_e32 v2, 1
	s_lshl_b64 s[24:25], s[24:25], 3
	s_delay_alu instid0(SALU_CYCLE_1)
	s_add_nc_u64 s[24:25], s[20:21], s[24:25]
	s_wait_dscnt 0x0
	global_store_b64 v5, v[1:2], s[24:25] scope:SCOPE_DEV
.LBB1943_48:
	s_wait_alu 0xfffe
	s_or_b32 exec_lo, exec_lo, s23
	v_xad_u32 v3, v65, -1, s15
	s_mov_b32 s24, 0
	s_mov_b32 s23, exec_lo
	s_delay_alu instid0(VALU_DEP_1) | instskip(NEXT) | instid1(VALU_DEP_1)
	v_add_nc_u32_e32 v4, 32, v3
	v_lshlrev_b64_e32 v[4:5], 3, v[4:5]
	s_delay_alu instid0(VALU_DEP_1) | instskip(SKIP_1) | instid1(VALU_DEP_2)
	v_add_co_u32 v7, vcc_lo, s20, v4
	s_wait_alu 0xfffd
	v_add_co_ci_u32_e64 v8, null, s21, v5, vcc_lo
	global_load_b64 v[5:6], v[7:8], off scope:SCOPE_DEV
	s_wait_loadcnt 0x0
	v_and_b32_e32 v2, 0xff, v6
	s_delay_alu instid0(VALU_DEP_1)
	v_cmpx_eq_u16_e32 0, v2
	s_cbranch_execz .LBB1943_51
.LBB1943_49:                            ; =>This Inner Loop Header: Depth=1
	global_load_b64 v[5:6], v[7:8], off scope:SCOPE_DEV
	s_wait_loadcnt 0x0
	v_and_b32_e32 v2, 0xff, v6
	s_delay_alu instid0(VALU_DEP_1) | instskip(SKIP_1) | instid1(SALU_CYCLE_1)
	v_cmp_ne_u16_e32 vcc_lo, 0, v2
	s_or_b32 s24, vcc_lo, s24
	s_and_not1_b32 exec_lo, exec_lo, s24
	s_cbranch_execnz .LBB1943_49
; %bb.50:
	s_or_b32 exec_lo, exec_lo, s24
.LBB1943_51:
	s_wait_alu 0xfffe
	s_or_b32 exec_lo, exec_lo, s23
	v_cmp_ne_u32_e32 vcc_lo, 31, v65
	v_lshlrev_b32_e64 v12, v65, -1
	v_add_nc_u32_e32 v14, 2, v65
	v_add_nc_u32_e32 v16, 4, v65
	;; [unrolled: 1-line block ×3, first 2 shown]
	s_wait_alu 0xfffd
	v_add_co_ci_u32_e64 v2, null, 0, v65, vcc_lo
	v_lshl_or_b32 v68, v65, 2, 64
	v_add_nc_u32_e32 v69, 16, v65
	s_delay_alu instid0(VALU_DEP_3)
	v_lshlrev_b32_e32 v11, 2, v2
	v_and_b32_e32 v2, 0xff, v6
	ds_bpermute_b32 v4, v11, v5
	v_cmp_eq_u16_e32 vcc_lo, 2, v2
	s_wait_alu 0xfffd
	v_and_or_b32 v2, vcc_lo, v12, 0x80000000
	v_cmp_gt_u32_e32 vcc_lo, 30, v65
	s_delay_alu instid0(VALU_DEP_2) | instskip(SKIP_2) | instid1(VALU_DEP_2)
	v_ctz_i32_b32_e32 v2, v2
	s_wait_alu 0xfffd
	v_cndmask_b32_e64 v7, 0, 2, vcc_lo
	v_cmp_lt_u32_e32 vcc_lo, v65, v2
	s_delay_alu instid0(VALU_DEP_2) | instskip(SKIP_4) | instid1(VALU_DEP_2)
	v_add_lshl_u32 v13, v7, v65, 2
	s_wait_dscnt 0x0
	s_wait_alu 0xfffd
	v_cndmask_b32_e32 v4, 0, v4, vcc_lo
	v_cmp_gt_u32_e32 vcc_lo, 28, v65
	v_add_nc_u32_e32 v4, v4, v5
	s_wait_alu 0xfffd
	v_cndmask_b32_e64 v7, 0, 4, vcc_lo
	v_cmp_le_u32_e32 vcc_lo, v14, v2
	ds_bpermute_b32 v5, v13, v4
	v_add_lshl_u32 v15, v7, v65, 2
	s_wait_dscnt 0x0
	s_wait_alu 0xfffd
	v_cndmask_b32_e32 v5, 0, v5, vcc_lo
	v_cmp_gt_u32_e32 vcc_lo, 24, v65
	s_delay_alu instid0(VALU_DEP_2)
	v_add_nc_u32_e32 v4, v4, v5
	s_wait_alu 0xfffd
	v_cndmask_b32_e64 v7, 0, 8, vcc_lo
	v_cmp_le_u32_e32 vcc_lo, v16, v2
	ds_bpermute_b32 v5, v15, v4
	v_add_lshl_u32 v19, v7, v65, 2
	s_wait_dscnt 0x0
	s_wait_alu 0xfffd
	v_cndmask_b32_e32 v5, 0, v5, vcc_lo
	v_cmp_le_u32_e32 vcc_lo, v20, v2
	s_delay_alu instid0(VALU_DEP_2)
	v_add_nc_u32_e32 v4, v4, v5
	ds_bpermute_b32 v5, v19, v4
	s_wait_dscnt 0x0
	s_wait_alu 0xfffd
	v_cndmask_b32_e32 v5, 0, v5, vcc_lo
	v_cmp_le_u32_e32 vcc_lo, v69, v2
	s_delay_alu instid0(VALU_DEP_2) | instskip(SKIP_4) | instid1(VALU_DEP_1)
	v_add_nc_u32_e32 v4, v4, v5
	ds_bpermute_b32 v5, v68, v4
	s_wait_dscnt 0x0
	s_wait_alu 0xfffd
	v_cndmask_b32_e32 v2, 0, v5, vcc_lo
	v_dual_mov_b32 v4, 0 :: v_dual_add_nc_u32 v5, v4, v2
	s_branch .LBB1943_55
.LBB1943_52:                            ;   in Loop: Header=BB1943_55 Depth=1
	s_or_b32 exec_lo, exec_lo, s24
.LBB1943_53:                            ;   in Loop: Header=BB1943_55 Depth=1
	s_wait_alu 0xfffe
	s_or_b32 exec_lo, exec_lo, s23
	ds_bpermute_b32 v8, v11, v5
	v_and_b32_e32 v7, 0xff, v6
	v_subrev_nc_u32_e32 v3, 32, v3
	s_mov_b32 s23, 0
	s_delay_alu instid0(VALU_DEP_2) | instskip(SKIP_2) | instid1(VALU_DEP_1)
	v_cmp_eq_u16_e32 vcc_lo, 2, v7
	s_wait_alu 0xfffd
	v_and_or_b32 v7, vcc_lo, v12, 0x80000000
	v_ctz_i32_b32_e32 v7, v7
	s_delay_alu instid0(VALU_DEP_1) | instskip(SKIP_4) | instid1(VALU_DEP_2)
	v_cmp_lt_u32_e32 vcc_lo, v65, v7
	s_wait_dscnt 0x0
	s_wait_alu 0xfffd
	v_cndmask_b32_e32 v8, 0, v8, vcc_lo
	v_cmp_le_u32_e32 vcc_lo, v14, v7
	v_add_nc_u32_e32 v5, v8, v5
	ds_bpermute_b32 v8, v13, v5
	s_wait_dscnt 0x0
	s_wait_alu 0xfffd
	v_cndmask_b32_e32 v8, 0, v8, vcc_lo
	v_cmp_le_u32_e32 vcc_lo, v16, v7
	s_delay_alu instid0(VALU_DEP_2)
	v_add_nc_u32_e32 v5, v5, v8
	ds_bpermute_b32 v8, v15, v5
	s_wait_dscnt 0x0
	s_wait_alu 0xfffd
	v_cndmask_b32_e32 v8, 0, v8, vcc_lo
	v_cmp_le_u32_e32 vcc_lo, v20, v7
	s_delay_alu instid0(VALU_DEP_2)
	v_add_nc_u32_e32 v5, v5, v8
	ds_bpermute_b32 v8, v19, v5
	s_wait_dscnt 0x0
	s_wait_alu 0xfffd
	v_cndmask_b32_e32 v8, 0, v8, vcc_lo
	v_cmp_le_u32_e32 vcc_lo, v69, v7
	s_delay_alu instid0(VALU_DEP_2) | instskip(SKIP_4) | instid1(VALU_DEP_1)
	v_add_nc_u32_e32 v5, v5, v8
	ds_bpermute_b32 v8, v68, v5
	s_wait_dscnt 0x0
	s_wait_alu 0xfffd
	v_cndmask_b32_e32 v7, 0, v8, vcc_lo
	v_add3_u32 v5, v7, v2, v5
.LBB1943_54:                            ;   in Loop: Header=BB1943_55 Depth=1
	s_wait_alu 0xfffe
	s_and_b32 vcc_lo, exec_lo, s23
	s_wait_alu 0xfffe
	s_cbranch_vccnz .LBB1943_60
.LBB1943_55:                            ; =>This Loop Header: Depth=1
                                        ;     Child Loop BB1943_58 Depth 2
	v_and_b32_e32 v2, 0xff, v6
	s_mov_b32 s23, -1
                                        ; implicit-def: $vgpr6
	s_delay_alu instid0(VALU_DEP_1)
	v_cmp_ne_u16_e32 vcc_lo, 2, v2
	v_mov_b32_e32 v2, v5
                                        ; implicit-def: $vgpr5
	s_cmp_lg_u32 vcc_lo, exec_lo
	s_cbranch_scc1 .LBB1943_54
; %bb.56:                               ;   in Loop: Header=BB1943_55 Depth=1
	v_lshlrev_b64_e32 v[5:6], 3, v[3:4]
	s_mov_b32 s23, exec_lo
	s_delay_alu instid0(VALU_DEP_1) | instskip(SKIP_1) | instid1(VALU_DEP_2)
	v_add_co_u32 v7, vcc_lo, s20, v5
	s_wait_alu 0xfffd
	v_add_co_ci_u32_e64 v8, null, s21, v6, vcc_lo
	global_load_b64 v[5:6], v[7:8], off scope:SCOPE_DEV
	s_wait_loadcnt 0x0
	v_and_b32_e32 v70, 0xff, v6
	s_delay_alu instid0(VALU_DEP_1)
	v_cmpx_eq_u16_e32 0, v70
	s_cbranch_execz .LBB1943_53
; %bb.57:                               ;   in Loop: Header=BB1943_55 Depth=1
	s_mov_b32 s24, 0
.LBB1943_58:                            ;   Parent Loop BB1943_55 Depth=1
                                        ; =>  This Inner Loop Header: Depth=2
	global_load_b64 v[5:6], v[7:8], off scope:SCOPE_DEV
	s_wait_loadcnt 0x0
	v_and_b32_e32 v70, 0xff, v6
	s_delay_alu instid0(VALU_DEP_1) | instskip(SKIP_1) | instid1(SALU_CYCLE_1)
	v_cmp_ne_u16_e32 vcc_lo, 0, v70
	s_or_b32 s24, vcc_lo, s24
	s_and_not1_b32 exec_lo, exec_lo, s24
	s_cbranch_execnz .LBB1943_58
	s_branch .LBB1943_52
.LBB1943_59:
                                        ; implicit-def: $vgpr20
                                        ; implicit-def: $vgpr1_vgpr2_vgpr3_vgpr4_vgpr5_vgpr6_vgpr7_vgpr8_vgpr9_vgpr10_vgpr11_vgpr12_vgpr13_vgpr14_vgpr15_vgpr16
	s_wait_alu 0xfffe
	s_and_b32 vcc_lo, exec_lo, s7
	s_wait_alu 0xfffe
	s_cbranch_vccnz .LBB1943_65
	s_branch .LBB1943_74
.LBB1943_60:
	s_and_saveexec_b32 s23, s7
	s_cbranch_execz .LBB1943_62
; %bb.61:
	s_add_co_i32 s24, s15, 32
	s_mov_b32 s25, 0
	v_dual_mov_b32 v4, 2 :: v_dual_add_nc_u32 v3, v2, v1
	v_mov_b32_e32 v5, 0
	s_lshl_b64 s[24:25], s[24:25], 3
	s_delay_alu instid0(SALU_CYCLE_1)
	s_add_nc_u64 s[24:25], s[20:21], s[24:25]
	global_store_b64 v5, v[3:4], s[24:25] scope:SCOPE_DEV
	ds_store_b64 v5, v[1:2] offset:13312
.LBB1943_62:
	s_wait_alu 0xfffe
	s_or_b32 exec_lo, exec_lo, s23
	s_delay_alu instid0(SALU_CYCLE_1)
	s_and_b32 exec_lo, exec_lo, s2
; %bb.63:
	v_mov_b32_e32 v1, 0
	ds_store_b32 v1, v2 offset:28
.LBB1943_64:
	s_wait_alu 0xfffe
	s_or_b32 exec_lo, exec_lo, s8
	v_mov_b32_e32 v11, 0
	s_wait_storecnt 0x0
	s_wait_loadcnt_dscnt 0x0
	s_barrier_signal -1
	s_barrier_wait -1
	global_inv scope:SCOPE_SE
	ds_load_b32 v1, v11 offset:28
	v_cndmask_b32_e64 v2, v10, v9, s7
	s_wait_loadcnt_dscnt 0x0
	s_barrier_signal -1
	s_barrier_wait -1
	global_inv scope:SCOPE_SE
	v_cndmask_b32_e64 v2, v2, 0, s2
	s_delay_alu instid0(VALU_DEP_1) | instskip(NEXT) | instid1(VALU_DEP_1)
	v_add_nc_u32_e32 v1, v1, v2
	v_add_nc_u32_e32 v2, v1, v56
	ds_load_b64 v[19:20], v11 offset:13312
	v_add_nc_u32_e32 v3, v2, v57
	s_delay_alu instid0(VALU_DEP_1) | instskip(NEXT) | instid1(VALU_DEP_1)
	v_add_nc_u32_e32 v4, v3, v58
	v_add_nc_u32_e32 v5, v4, v55
	s_delay_alu instid0(VALU_DEP_1) | instskip(NEXT) | instid1(VALU_DEP_1)
	v_add_nc_u32_e32 v6, v5, v59
	;; [unrolled: 3-line block ×5, first 2 shown]
	v_add_nc_u32_e32 v13, v12, v51
	s_branch .LBB1943_74
.LBB1943_65:
	v_mov_b32_dpp v1, v67 row_shr:1 row_mask:0xf bank_mask:0xf
	s_delay_alu instid0(VALU_DEP_1) | instskip(NEXT) | instid1(VALU_DEP_1)
	v_cndmask_b32_e64 v1, v1, 0, s6
	v_add_nc_u32_e32 v1, v1, v67
	s_delay_alu instid0(VALU_DEP_1) | instskip(NEXT) | instid1(VALU_DEP_1)
	v_mov_b32_dpp v2, v1 row_shr:2 row_mask:0xf bank_mask:0xf
	v_cndmask_b32_e64 v2, 0, v2, s5
	s_delay_alu instid0(VALU_DEP_1) | instskip(NEXT) | instid1(VALU_DEP_1)
	v_add_nc_u32_e32 v1, v1, v2
	v_mov_b32_dpp v2, v1 row_shr:4 row_mask:0xf bank_mask:0xf
	s_delay_alu instid0(VALU_DEP_1) | instskip(NEXT) | instid1(VALU_DEP_1)
	v_cndmask_b32_e64 v2, 0, v2, s4
	v_add_nc_u32_e32 v1, v1, v2
	s_delay_alu instid0(VALU_DEP_1) | instskip(NEXT) | instid1(VALU_DEP_1)
	v_mov_b32_dpp v2, v1 row_shr:8 row_mask:0xf bank_mask:0xf
	v_cndmask_b32_e64 v2, 0, v2, s3
	s_delay_alu instid0(VALU_DEP_1) | instskip(SKIP_3) | instid1(VALU_DEP_1)
	v_add_nc_u32_e32 v1, v1, v2
	ds_swizzle_b32 v2, v1 offset:swizzle(BROADCAST,32,15)
	s_wait_dscnt 0x0
	v_cndmask_b32_e64 v2, v2, 0, s1
	v_add_nc_u32_e32 v1, v1, v2
	s_and_saveexec_b32 s1, s0
; %bb.66:
	v_lshlrev_b32_e32 v2, 2, v66
	ds_store_b32 v2, v1
; %bb.67:
	s_wait_alu 0xfffe
	s_or_b32 exec_lo, exec_lo, s1
	s_delay_alu instid0(SALU_CYCLE_1)
	s_mov_b32 s0, exec_lo
	s_wait_loadcnt_dscnt 0x0
	s_barrier_signal -1
	s_barrier_wait -1
	global_inv scope:SCOPE_SE
	v_cmpx_gt_u32_e32 8, v0
	s_cbranch_execz .LBB1943_69
; %bb.68:
	ds_load_b32 v2, v45
	s_wait_dscnt 0x0
	v_mov_b32_dpp v4, v2 row_shr:1 row_mask:0xf bank_mask:0xf
	v_and_b32_e32 v3, 7, v65
	s_delay_alu instid0(VALU_DEP_1) | instskip(SKIP_1) | instid1(VALU_DEP_3)
	v_cmp_ne_u32_e32 vcc_lo, 0, v3
	s_wait_alu 0xfffd
	v_cndmask_b32_e32 v4, 0, v4, vcc_lo
	v_cmp_lt_u32_e32 vcc_lo, 1, v3
	s_delay_alu instid0(VALU_DEP_2) | instskip(NEXT) | instid1(VALU_DEP_1)
	v_add_nc_u32_e32 v2, v4, v2
	v_mov_b32_dpp v4, v2 row_shr:2 row_mask:0xf bank_mask:0xf
	s_wait_alu 0xfffd
	s_delay_alu instid0(VALU_DEP_1) | instskip(SKIP_1) | instid1(VALU_DEP_2)
	v_cndmask_b32_e32 v4, 0, v4, vcc_lo
	v_cmp_lt_u32_e32 vcc_lo, 3, v3
	v_add_nc_u32_e32 v2, v2, v4
	s_delay_alu instid0(VALU_DEP_1) | instskip(SKIP_1) | instid1(VALU_DEP_1)
	v_mov_b32_dpp v4, v2 row_shr:4 row_mask:0xf bank_mask:0xf
	s_wait_alu 0xfffd
	v_cndmask_b32_e32 v3, 0, v4, vcc_lo
	s_delay_alu instid0(VALU_DEP_1)
	v_add_nc_u32_e32 v2, v2, v3
	ds_store_b32 v45, v2
.LBB1943_69:
	s_wait_alu 0xfffe
	s_or_b32 exec_lo, exec_lo, s0
	v_dual_mov_b32 v3, 0 :: v_dual_mov_b32 v2, 0
	s_mov_b32 s0, exec_lo
	s_wait_loadcnt_dscnt 0x0
	s_barrier_signal -1
	s_barrier_wait -1
	global_inv scope:SCOPE_SE
	v_cmpx_lt_u32_e32 31, v0
; %bb.70:
	v_lshl_add_u32 v2, v66, 2, -4
	ds_load_b32 v2, v2
; %bb.71:
	s_wait_alu 0xfffe
	s_or_b32 exec_lo, exec_lo, s0
	v_sub_co_u32 v4, vcc_lo, v65, 1
	s_wait_dscnt 0x0
	v_add_nc_u32_e32 v1, v2, v1
	ds_load_b32 v19, v3 offset:28
	v_cmp_gt_i32_e64 s0, 0, v4
	s_wait_alu 0xf1ff
	s_delay_alu instid0(VALU_DEP_1) | instskip(NEXT) | instid1(VALU_DEP_1)
	v_cndmask_b32_e64 v4, v4, v65, s0
	v_lshlrev_b32_e32 v4, 2, v4
	ds_bpermute_b32 v1, v4, v1
	s_and_saveexec_b32 s0, s2
	s_cbranch_execz .LBB1943_73
; %bb.72:
	v_dual_mov_b32 v3, 0 :: v_dual_mov_b32 v20, 2
	s_wait_dscnt 0x1
	global_store_b64 v3, v[19:20], s[20:21] offset:256 scope:SCOPE_DEV
.LBB1943_73:
	s_wait_alu 0xfffe
	s_or_b32 exec_lo, exec_lo, s0
	s_wait_dscnt 0x0
	s_wait_alu 0xfffd
	v_cndmask_b32_e32 v1, v1, v2, vcc_lo
	s_wait_loadcnt 0x0
	s_wait_storecnt 0x0
	s_barrier_signal -1
	s_barrier_wait -1
	global_inv scope:SCOPE_SE
	v_cndmask_b32_e64 v1, v1, 0, s2
	v_mov_b32_e32 v20, 0
	s_delay_alu instid0(VALU_DEP_2) | instskip(NEXT) | instid1(VALU_DEP_1)
	v_add_nc_u32_e32 v2, v1, v56
	v_add_nc_u32_e32 v3, v2, v57
	s_delay_alu instid0(VALU_DEP_1) | instskip(NEXT) | instid1(VALU_DEP_1)
	v_add_nc_u32_e32 v4, v3, v58
	v_add_nc_u32_e32 v5, v4, v55
	s_delay_alu instid0(VALU_DEP_1) | instskip(NEXT) | instid1(VALU_DEP_1)
	;; [unrolled: 3-line block ×5, first 2 shown]
	v_add_nc_u32_e32 v12, v11, v64
	v_add_nc_u32_e32 v13, v12, v51
.LBB1943_74:
	s_wait_dscnt 0x0
	v_sub_nc_u32_e32 v1, v1, v20
	v_sub_nc_u32_e32 v2, v2, v20
	v_add_nc_u32_e32 v48, v19, v48
	v_lshrrev_b32_e32 v58, 8, v54
	v_lshrrev_b32_e32 v57, 16, v54
	v_sub_nc_u32_e32 v4, v4, v20
	v_sub_nc_u32_e32 v3, v3, v20
	;; [unrolled: 1-line block ×3, first 2 shown]
	v_and_b32_e32 v54, 1, v54
	v_and_b32_e32 v58, 1, v58
	v_and_b32_e32 v55, 1, v55
	v_lshrrev_b32_e32 v56, 8, v52
	v_lshrrev_b32_e32 v16, 16, v52
	v_cmp_eq_u32_e32 vcc_lo, 1, v54
	v_and_b32_e32 v54, 1, v57
	v_sub_nc_u32_e32 v57, v48, v2
	v_lshrrev_b32_e32 v15, 8, v50
	v_lshrrev_b32_e32 v14, 16, v50
	s_wait_alu 0xfffd
	v_cndmask_b32_e32 v1, v59, v1, vcc_lo
	v_cmp_eq_u32_e32 vcc_lo, 1, v58
	v_add_nc_u32_e32 v57, 1, v57
	s_delay_alu instid0(VALU_DEP_3)
	v_lshlrev_b32_e32 v1, 2, v1
	ds_store_b32 v1, v31
	s_wait_alu 0xfffd
	v_cndmask_b32_e32 v1, v57, v2, vcc_lo
	v_sub_nc_u32_e32 v59, v48, v3
	v_sub_nc_u32_e32 v60, v48, v4
	v_cmp_eq_u32_e32 vcc_lo, 1, v54
	s_delay_alu instid0(VALU_DEP_4) | instskip(NEXT) | instid1(VALU_DEP_4)
	v_lshlrev_b32_e32 v1, 2, v1
	v_add_nc_u32_e32 v59, 2, v59
	s_delay_alu instid0(VALU_DEP_4)
	v_add_nc_u32_e32 v60, 3, v60
	ds_store_b32 v1, v32
	s_wait_alu 0xfffd
	v_cndmask_b32_e32 v2, v59, v3, vcc_lo
	v_cmp_eq_u32_e32 vcc_lo, 1, v55
	s_wait_alu 0xfffd
	s_delay_alu instid0(VALU_DEP_2) | instskip(SKIP_2) | instid1(VALU_DEP_3)
	v_dual_cndmask_b32 v3, v60, v4 :: v_dual_lshlrev_b32 v2, 2, v2
	v_sub_nc_u32_e32 v4, v5, v20
	v_sub_nc_u32_e32 v5, v6, v20
	v_lshlrev_b32_e32 v3, 2, v3
	s_delay_alu instid0(VALU_DEP_3) | instskip(NEXT) | instid1(VALU_DEP_3)
	v_sub_nc_u32_e32 v1, v48, v4
	v_sub_nc_u32_e32 v6, v48, v5
	ds_store_b32 v2, v29
	ds_store_b32 v3, v30
	v_and_b32_e32 v2, 1, v52
	v_add_nc_u32_e32 v1, 4, v1
	v_add_nc_u32_e32 v3, 5, v6
	v_sub_nc_u32_e32 v6, v7, v20
	v_and_b32_e32 v7, 1, v56
	v_cmp_eq_u32_e32 vcc_lo, 1, v2
	v_sub_nc_u32_e32 v2, v8, v20
	s_wait_alu 0xfffd
	v_dual_cndmask_b32 v1, v1, v4 :: v_dual_and_b32 v8, 1, v53
	v_sub_nc_u32_e32 v4, v48, v6
	v_cmp_eq_u32_e32 vcc_lo, 1, v7
	v_and_b32_e32 v7, 1, v16
	s_delay_alu instid0(VALU_DEP_4)
	v_lshlrev_b32_e32 v1, 2, v1
	s_wait_alu 0xfffd
	v_dual_cndmask_b32 v3, v3, v5 :: v_dual_add_nc_u32 v4, 6, v4
	v_sub_nc_u32_e32 v5, v48, v2
	v_cmp_eq_u32_e32 vcc_lo, 1, v7
	v_sub_nc_u32_e32 v7, v13, v20
	s_delay_alu instid0(VALU_DEP_4)
	v_lshlrev_b32_e32 v3, 2, v3
	s_wait_alu 0xfffd
	v_dual_cndmask_b32 v4, v4, v6 :: v_dual_add_nc_u32 v5, 7, v5
	v_cmp_eq_u32_e32 vcc_lo, 1, v8
	v_sub_nc_u32_e32 v6, v9, v20
	ds_store_b32 v1, v27
	ds_store_b32 v3, v28
	s_wait_alu 0xfffd
	v_dual_cndmask_b32 v2, v5, v2 :: v_dual_lshlrev_b32 v3, 2, v4
	v_sub_nc_u32_e32 v1, v48, v6
	v_and_b32_e32 v5, 1, v50
	v_sub_nc_u32_e32 v4, v10, v20
	v_and_b32_e32 v10, 1, v51
	v_lshlrev_b32_e32 v2, 2, v2
	v_add_nc_u32_e32 v1, 8, v1
	ds_store_b32 v3, v25
	ds_store_b32 v2, v26
	v_cmp_eq_u32_e32 vcc_lo, 1, v5
	v_sub_nc_u32_e32 v3, v11, v20
	v_sub_nc_u32_e32 v2, v48, v4
	;; [unrolled: 1-line block ×3, first 2 shown]
	v_and_b32_e32 v11, 1, v49
	s_wait_alu 0xfffd
	v_dual_cndmask_b32 v1, v1, v6 :: v_dual_and_b32 v6, 1, v15
	v_sub_nc_u32_e32 v8, v48, v3
	v_add_nc_u32_e32 v2, 9, v2
	v_sub_nc_u32_e32 v9, v48, v5
	s_delay_alu instid0(VALU_DEP_4)
	v_lshlrev_b32_e32 v1, 2, v1
	v_cmp_eq_u32_e32 vcc_lo, 1, v6
	v_add_nc_u32_e32 v6, 10, v8
	v_and_b32_e32 v8, 1, v14
	v_add_nc_u32_e32 v9, 11, v9
	v_add_co_u32 v15, s0, v17, v20
	s_wait_alu 0xfffd
	v_cndmask_b32_e32 v2, v2, v4, vcc_lo
	v_cmp_eq_u32_e32 vcc_lo, 1, v8
	v_sub_nc_u32_e32 v4, v48, v7
	s_wait_alu 0xf1ff
	v_add_co_ci_u32_e64 v16, null, 0, v18, s0
	s_wait_alu 0xfffd
	v_dual_cndmask_b32 v3, v6, v3 :: v_dual_lshlrev_b32 v2, 2, v2
	v_cmp_eq_u32_e32 vcc_lo, 1, v10
	v_add_nc_u32_e32 v4, 12, v4
	s_delay_alu instid0(VALU_DEP_3) | instskip(SKIP_4) | instid1(VALU_DEP_2)
	v_lshlrev_b32_e32 v3, 2, v3
	s_wait_alu 0xfffd
	v_cndmask_b32_e32 v5, v9, v5, vcc_lo
	v_cmp_eq_u32_e32 vcc_lo, 1, v11
	s_wait_alu 0xfffd
	v_dual_cndmask_b32 v4, v4, v7 :: v_dual_lshlrev_b32 v5, 2, v5
	v_cmp_ne_u32_e32 vcc_lo, 1, v46
	s_delay_alu instid0(VALU_DEP_2)
	v_lshlrev_b32_e32 v4, 2, v4
	ds_store_b32 v1, v23
	ds_store_b32 v2, v24
	;; [unrolled: 1-line block ×5, first 2 shown]
	s_wait_loadcnt_dscnt 0x0
	s_barrier_signal -1
	s_barrier_wait -1
	global_inv scope:SCOPE_SE
	ds_load_2addr_stride64_b32 v[11:12], v45 offset1:4
	ds_load_2addr_stride64_b32 v[9:10], v45 offset0:8 offset1:12
	ds_load_2addr_stride64_b32 v[7:8], v45 offset0:16 offset1:20
	;; [unrolled: 1-line block ×5, first 2 shown]
	ds_load_b32 v21, v45 offset:12288
	s_cbranch_vccnz .LBB1943_131
; %bb.75:
	s_mov_b32 s15, 0
	v_sub_co_u32 v13, vcc_lo, v15, s16
	s_wait_alu 0xfffe
	s_sub_nc_u64 s[0:1], s[18:19], s[14:15]
	s_wait_alu 0xfffd
	v_subrev_co_ci_u32_e64 v14, null, s17, v16, vcc_lo
	s_wait_alu 0xfffe
	v_add_co_u32 v17, s0, s0, v19
	s_wait_alu 0xf1ff
	v_add_co_ci_u32_e64 v18, null, s1, 0, s0
	s_mov_b32 s0, exec_lo
	v_add_co_u32 v17, vcc_lo, v17, v13
	s_wait_alu 0xfffd
	v_add_co_ci_u32_e64 v18, null, v18, v14, vcc_lo
                                        ; implicit-def: $vgpr13_vgpr14
	v_cmpx_ge_u32_e64 v0, v19
	s_wait_alu 0xfffe
	s_xor_b32 s0, exec_lo, s0
; %bb.76:
	v_not_b32_e32 v13, v0
	s_delay_alu instid0(VALU_DEP_1) | instskip(SKIP_2) | instid1(VALU_DEP_2)
	v_ashrrev_i32_e32 v14, 31, v13
	v_add_co_u32 v13, vcc_lo, v17, v13
	s_wait_alu 0xfffd
	v_add_co_ci_u32_e64 v14, null, v18, v14, vcc_lo
; %bb.77:
	s_wait_alu 0xfffe
	s_and_not1_saveexec_b32 s0, s0
; %bb.78:
	v_add_co_u32 v13, vcc_lo, v15, v0
	s_wait_alu 0xfffd
	v_add_co_ci_u32_e64 v14, null, 0, v16, vcc_lo
; %bb.79:
	s_wait_alu 0xfffe
	s_or_b32 exec_lo, exec_lo, s0
	s_delay_alu instid0(VALU_DEP_1) | instskip(SKIP_1) | instid1(VALU_DEP_1)
	v_lshlrev_b64_e32 v[13:14], 2, v[13:14]
	s_mov_b32 s0, exec_lo
	v_add_co_u32 v13, vcc_lo, s10, v13
	s_wait_alu 0xfffd
	s_delay_alu instid0(VALU_DEP_2)
	v_add_co_ci_u32_e64 v14, null, s11, v14, vcc_lo
	s_wait_dscnt 0x6
	global_store_b32 v[13:14], v11, off
                                        ; implicit-def: $vgpr13_vgpr14
	v_cmpx_ge_u32_e64 v44, v19
	s_wait_alu 0xfffe
	s_xor_b32 s0, exec_lo, s0
; %bb.80:
	v_xor_b32_e32 v13, 0xfffffeff, v0
	s_delay_alu instid0(VALU_DEP_1) | instskip(SKIP_2) | instid1(VALU_DEP_2)
	v_ashrrev_i32_e32 v14, 31, v13
	v_add_co_u32 v13, vcc_lo, v17, v13
	s_wait_alu 0xfffd
	v_add_co_ci_u32_e64 v14, null, v18, v14, vcc_lo
; %bb.81:
	s_wait_alu 0xfffe
	s_and_not1_saveexec_b32 s0, s0
; %bb.82:
	v_add_co_u32 v13, vcc_lo, v15, v44
	s_wait_alu 0xfffd
	v_add_co_ci_u32_e64 v14, null, 0, v16, vcc_lo
; %bb.83:
	s_wait_alu 0xfffe
	s_or_b32 exec_lo, exec_lo, s0
	s_delay_alu instid0(VALU_DEP_1) | instskip(SKIP_1) | instid1(VALU_DEP_1)
	v_lshlrev_b64_e32 v[13:14], 2, v[13:14]
	s_mov_b32 s0, exec_lo
	v_add_co_u32 v13, vcc_lo, s10, v13
	s_wait_alu 0xfffd
	s_delay_alu instid0(VALU_DEP_2)
	v_add_co_ci_u32_e64 v14, null, s11, v14, vcc_lo
	global_store_b32 v[13:14], v12, off
                                        ; implicit-def: $vgpr13_vgpr14
	v_cmpx_ge_u32_e64 v43, v19
	s_wait_alu 0xfffe
	s_xor_b32 s0, exec_lo, s0
; %bb.84:
	v_xor_b32_e32 v13, 0xfffffdff, v0
	s_delay_alu instid0(VALU_DEP_1) | instskip(SKIP_2) | instid1(VALU_DEP_2)
	v_ashrrev_i32_e32 v14, 31, v13
	v_add_co_u32 v13, vcc_lo, v17, v13
	s_wait_alu 0xfffd
	v_add_co_ci_u32_e64 v14, null, v18, v14, vcc_lo
; %bb.85:
	s_wait_alu 0xfffe
	s_and_not1_saveexec_b32 s0, s0
; %bb.86:
	v_add_co_u32 v13, vcc_lo, v15, v43
	s_wait_alu 0xfffd
	v_add_co_ci_u32_e64 v14, null, 0, v16, vcc_lo
; %bb.87:
	s_wait_alu 0xfffe
	s_or_b32 exec_lo, exec_lo, s0
	s_delay_alu instid0(VALU_DEP_1) | instskip(SKIP_1) | instid1(VALU_DEP_1)
	v_lshlrev_b64_e32 v[13:14], 2, v[13:14]
	s_mov_b32 s0, exec_lo
	v_add_co_u32 v13, vcc_lo, s10, v13
	s_wait_alu 0xfffd
	s_delay_alu instid0(VALU_DEP_2)
	v_add_co_ci_u32_e64 v14, null, s11, v14, vcc_lo
	s_wait_dscnt 0x5
	global_store_b32 v[13:14], v9, off
                                        ; implicit-def: $vgpr13_vgpr14
	v_cmpx_ge_u32_e64 v42, v19
	s_wait_alu 0xfffe
	s_xor_b32 s0, exec_lo, s0
; %bb.88:
	v_xor_b32_e32 v13, 0xfffffcff, v0
	s_delay_alu instid0(VALU_DEP_1) | instskip(SKIP_2) | instid1(VALU_DEP_2)
	v_ashrrev_i32_e32 v14, 31, v13
	v_add_co_u32 v13, vcc_lo, v17, v13
	s_wait_alu 0xfffd
	v_add_co_ci_u32_e64 v14, null, v18, v14, vcc_lo
; %bb.89:
	s_wait_alu 0xfffe
	s_and_not1_saveexec_b32 s0, s0
; %bb.90:
	v_add_co_u32 v13, vcc_lo, v15, v42
	s_wait_alu 0xfffd
	v_add_co_ci_u32_e64 v14, null, 0, v16, vcc_lo
; %bb.91:
	s_wait_alu 0xfffe
	s_or_b32 exec_lo, exec_lo, s0
	s_delay_alu instid0(VALU_DEP_1) | instskip(SKIP_1) | instid1(VALU_DEP_1)
	v_lshlrev_b64_e32 v[13:14], 2, v[13:14]
	s_mov_b32 s0, exec_lo
	v_add_co_u32 v13, vcc_lo, s10, v13
	s_wait_alu 0xfffd
	s_delay_alu instid0(VALU_DEP_2)
	v_add_co_ci_u32_e64 v14, null, s11, v14, vcc_lo
	global_store_b32 v[13:14], v10, off
                                        ; implicit-def: $vgpr13_vgpr14
	v_cmpx_ge_u32_e64 v41, v19
	s_wait_alu 0xfffe
	s_xor_b32 s0, exec_lo, s0
; %bb.92:
	v_xor_b32_e32 v13, 0xfffffbff, v0
	;; [unrolled: 59-line block ×6, first 2 shown]
	s_delay_alu instid0(VALU_DEP_1) | instskip(SKIP_2) | instid1(VALU_DEP_2)
	v_ashrrev_i32_e32 v14, 31, v13
	v_add_co_u32 v13, vcc_lo, v17, v13
	s_wait_alu 0xfffd
	v_add_co_ci_u32_e64 v14, null, v18, v14, vcc_lo
; %bb.125:
	s_wait_alu 0xfffe
	s_and_not1_saveexec_b32 s0, s0
; %bb.126:
	v_add_co_u32 v13, vcc_lo, v15, v33
	s_wait_alu 0xfffd
	v_add_co_ci_u32_e64 v14, null, 0, v16, vcc_lo
; %bb.127:
	s_wait_alu 0xfffe
	s_or_b32 exec_lo, exec_lo, s0
	s_mov_b32 s0, -1
.LBB1943_128:
	s_wait_alu 0xfffe
	s_and_saveexec_b32 s1, s0
	s_cbranch_execz .LBB1943_211
.LBB1943_129:
	s_wait_dscnt 0x1
	v_lshlrev_b64_e32 v[0:1], 2, v[13:14]
	s_delay_alu instid0(VALU_DEP_1) | instskip(SKIP_1) | instid1(VALU_DEP_2)
	v_add_co_u32 v0, vcc_lo, s10, v0
	s_wait_alu 0xfffd
	v_add_co_ci_u32_e64 v1, null, s11, v1, vcc_lo
	s_wait_dscnt 0x0
	global_store_b32 v[0:1], v21, off
	s_wait_alu 0xfffe
	s_or_b32 exec_lo, exec_lo, s1
	s_and_b32 s0, s2, s9
	s_wait_alu 0xfffe
	s_and_saveexec_b32 s1, s0
	s_cbranch_execnz .LBB1943_212
.LBB1943_130:
	s_endpgm
.LBB1943_131:
	s_mov_b32 s0, 0
                                        ; implicit-def: $vgpr13_vgpr14
	s_cbranch_execz .LBB1943_128
; %bb.132:
	s_mov_b32 s15, 0
	s_wait_alu 0xfffe
	s_add_nc_u64 s[4:5], s[16:17], s[14:15]
	s_wait_alu 0xfffe
	s_sub_nc_u64 s[4:5], s[18:19], s[4:5]
	s_wait_alu 0xfffe
	v_add_co_u32 v13, s1, s4, v19
	s_wait_alu 0xf1ff
	v_add_co_ci_u32_e64 v14, null, s5, 0, s1
	s_mov_b32 s1, exec_lo
	v_add_co_u32 v17, vcc_lo, v13, v15
	s_wait_alu 0xfffd
	v_add_co_ci_u32_e64 v18, null, v14, v16, vcc_lo
	v_cmpx_gt_u32_e64 s22, v0
	s_cbranch_execz .LBB1943_168
; %bb.133:
	s_mov_b32 s3, exec_lo
                                        ; implicit-def: $vgpr13_vgpr14
	v_cmpx_ge_u32_e64 v0, v19
	s_wait_alu 0xfffe
	s_xor_b32 s3, exec_lo, s3
; %bb.134:
	v_not_b32_e32 v13, v0
	s_delay_alu instid0(VALU_DEP_1) | instskip(SKIP_2) | instid1(VALU_DEP_2)
	v_ashrrev_i32_e32 v14, 31, v13
	v_add_co_u32 v13, vcc_lo, v17, v13
	s_wait_alu 0xfffd
	v_add_co_ci_u32_e64 v14, null, v18, v14, vcc_lo
; %bb.135:
	s_wait_alu 0xfffe
	s_and_not1_saveexec_b32 s3, s3
; %bb.136:
	v_add_co_u32 v13, vcc_lo, v15, v0
	s_wait_alu 0xfffd
	v_add_co_ci_u32_e64 v14, null, 0, v16, vcc_lo
; %bb.137:
	s_wait_alu 0xfffe
	s_or_b32 exec_lo, exec_lo, s3
	s_delay_alu instid0(VALU_DEP_1) | instskip(NEXT) | instid1(VALU_DEP_1)
	v_lshlrev_b64_e32 v[13:14], 2, v[13:14]
	v_add_co_u32 v13, vcc_lo, s10, v13
	s_wait_alu 0xfffd
	s_delay_alu instid0(VALU_DEP_2) | instskip(SKIP_3) | instid1(SALU_CYCLE_1)
	v_add_co_ci_u32_e64 v14, null, s11, v14, vcc_lo
	s_wait_dscnt 0x6
	global_store_b32 v[13:14], v11, off
	s_or_b32 exec_lo, exec_lo, s1
	s_mov_b32 s1, exec_lo
	v_cmpx_gt_u32_e64 s22, v44
	s_cbranch_execnz .LBB1943_169
.LBB1943_138:
	s_wait_alu 0xfffe
	s_or_b32 exec_lo, exec_lo, s1
	s_delay_alu instid0(SALU_CYCLE_1)
	s_mov_b32 s1, exec_lo
	v_cmpx_gt_u32_e64 s22, v43
	s_cbranch_execz .LBB1943_174
.LBB1943_139:
	s_mov_b32 s3, exec_lo
                                        ; implicit-def: $vgpr11_vgpr12
	v_cmpx_ge_u32_e64 v43, v19
	s_wait_alu 0xfffe
	s_xor_b32 s3, exec_lo, s3
	s_cbranch_execz .LBB1943_141
; %bb.140:
	s_wait_dscnt 0x6
	v_xor_b32_e32 v11, 0xfffffdff, v0
                                        ; implicit-def: $vgpr43
	s_delay_alu instid0(VALU_DEP_1) | instskip(SKIP_2) | instid1(VALU_DEP_2)
	v_ashrrev_i32_e32 v12, 31, v11
	v_add_co_u32 v11, vcc_lo, v17, v11
	s_wait_alu 0xfffd
	v_add_co_ci_u32_e64 v12, null, v18, v12, vcc_lo
.LBB1943_141:
	s_wait_alu 0xfffe
	s_and_not1_saveexec_b32 s3, s3
	s_cbranch_execz .LBB1943_143
; %bb.142:
	s_wait_dscnt 0x6
	v_add_co_u32 v11, vcc_lo, v15, v43
	s_wait_alu 0xfffd
	v_add_co_ci_u32_e64 v12, null, 0, v16, vcc_lo
.LBB1943_143:
	s_wait_alu 0xfffe
	s_or_b32 exec_lo, exec_lo, s3
	s_wait_dscnt 0x6
	s_delay_alu instid0(VALU_DEP_1) | instskip(NEXT) | instid1(VALU_DEP_1)
	v_lshlrev_b64_e32 v[11:12], 2, v[11:12]
	v_add_co_u32 v11, vcc_lo, s10, v11
	s_wait_alu 0xfffd
	s_delay_alu instid0(VALU_DEP_2) | instskip(SKIP_3) | instid1(SALU_CYCLE_1)
	v_add_co_ci_u32_e64 v12, null, s11, v12, vcc_lo
	s_wait_dscnt 0x5
	global_store_b32 v[11:12], v9, off
	s_or_b32 exec_lo, exec_lo, s1
	s_mov_b32 s1, exec_lo
	v_cmpx_gt_u32_e64 s22, v42
	s_cbranch_execnz .LBB1943_175
.LBB1943_144:
	s_wait_alu 0xfffe
	s_or_b32 exec_lo, exec_lo, s1
	s_delay_alu instid0(SALU_CYCLE_1)
	s_mov_b32 s1, exec_lo
	v_cmpx_gt_u32_e64 s22, v41
	s_cbranch_execz .LBB1943_180
.LBB1943_145:
	s_mov_b32 s3, exec_lo
                                        ; implicit-def: $vgpr9_vgpr10
	v_cmpx_ge_u32_e64 v41, v19
	s_wait_alu 0xfffe
	s_xor_b32 s3, exec_lo, s3
	s_cbranch_execz .LBB1943_147
; %bb.146:
	s_wait_dscnt 0x5
	v_xor_b32_e32 v9, 0xfffffbff, v0
                                        ; implicit-def: $vgpr41
	s_delay_alu instid0(VALU_DEP_1) | instskip(SKIP_2) | instid1(VALU_DEP_2)
	v_ashrrev_i32_e32 v10, 31, v9
	v_add_co_u32 v9, vcc_lo, v17, v9
	s_wait_alu 0xfffd
	v_add_co_ci_u32_e64 v10, null, v18, v10, vcc_lo
.LBB1943_147:
	s_wait_alu 0xfffe
	s_and_not1_saveexec_b32 s3, s3
	s_cbranch_execz .LBB1943_149
; %bb.148:
	s_wait_dscnt 0x5
	v_add_co_u32 v9, vcc_lo, v15, v41
	s_wait_alu 0xfffd
	v_add_co_ci_u32_e64 v10, null, 0, v16, vcc_lo
.LBB1943_149:
	s_wait_alu 0xfffe
	s_or_b32 exec_lo, exec_lo, s3
	s_wait_dscnt 0x5
	s_delay_alu instid0(VALU_DEP_1) | instskip(NEXT) | instid1(VALU_DEP_1)
	v_lshlrev_b64_e32 v[9:10], 2, v[9:10]
	v_add_co_u32 v9, vcc_lo, s10, v9
	s_wait_alu 0xfffd
	s_delay_alu instid0(VALU_DEP_2) | instskip(SKIP_3) | instid1(SALU_CYCLE_1)
	v_add_co_ci_u32_e64 v10, null, s11, v10, vcc_lo
	s_wait_dscnt 0x4
	global_store_b32 v[9:10], v7, off
	s_or_b32 exec_lo, exec_lo, s1
	s_mov_b32 s1, exec_lo
	v_cmpx_gt_u32_e64 s22, v40
	s_cbranch_execnz .LBB1943_181
.LBB1943_150:
	s_wait_alu 0xfffe
	s_or_b32 exec_lo, exec_lo, s1
	s_delay_alu instid0(SALU_CYCLE_1)
	s_mov_b32 s1, exec_lo
	v_cmpx_gt_u32_e64 s22, v39
	s_cbranch_execz .LBB1943_186
.LBB1943_151:
	s_mov_b32 s3, exec_lo
                                        ; implicit-def: $vgpr7_vgpr8
	v_cmpx_ge_u32_e64 v39, v19
	s_wait_alu 0xfffe
	s_xor_b32 s3, exec_lo, s3
	s_cbranch_execz .LBB1943_153
; %bb.152:
	s_wait_dscnt 0x4
	v_xor_b32_e32 v7, 0xfffff9ff, v0
                                        ; implicit-def: $vgpr39
	s_delay_alu instid0(VALU_DEP_1) | instskip(SKIP_2) | instid1(VALU_DEP_2)
	v_ashrrev_i32_e32 v8, 31, v7
	v_add_co_u32 v7, vcc_lo, v17, v7
	s_wait_alu 0xfffd
	v_add_co_ci_u32_e64 v8, null, v18, v8, vcc_lo
.LBB1943_153:
	s_wait_alu 0xfffe
	s_and_not1_saveexec_b32 s3, s3
	s_cbranch_execz .LBB1943_155
; %bb.154:
	s_wait_dscnt 0x4
	v_add_co_u32 v7, vcc_lo, v15, v39
	s_wait_alu 0xfffd
	v_add_co_ci_u32_e64 v8, null, 0, v16, vcc_lo
.LBB1943_155:
	s_wait_alu 0xfffe
	s_or_b32 exec_lo, exec_lo, s3
	s_wait_dscnt 0x4
	s_delay_alu instid0(VALU_DEP_1) | instskip(NEXT) | instid1(VALU_DEP_1)
	v_lshlrev_b64_e32 v[7:8], 2, v[7:8]
	v_add_co_u32 v7, vcc_lo, s10, v7
	s_wait_alu 0xfffd
	s_delay_alu instid0(VALU_DEP_2) | instskip(SKIP_3) | instid1(SALU_CYCLE_1)
	v_add_co_ci_u32_e64 v8, null, s11, v8, vcc_lo
	s_wait_dscnt 0x3
	global_store_b32 v[7:8], v5, off
	s_or_b32 exec_lo, exec_lo, s1
	s_mov_b32 s1, exec_lo
	v_cmpx_gt_u32_e64 s22, v38
	s_cbranch_execnz .LBB1943_187
.LBB1943_156:
	s_wait_alu 0xfffe
	s_or_b32 exec_lo, exec_lo, s1
	s_delay_alu instid0(SALU_CYCLE_1)
	s_mov_b32 s1, exec_lo
	v_cmpx_gt_u32_e64 s22, v37
	s_cbranch_execz .LBB1943_192
.LBB1943_157:
	s_mov_b32 s3, exec_lo
                                        ; implicit-def: $vgpr5_vgpr6
	v_cmpx_ge_u32_e64 v37, v19
	s_wait_alu 0xfffe
	s_xor_b32 s3, exec_lo, s3
	s_cbranch_execz .LBB1943_159
; %bb.158:
	s_wait_dscnt 0x3
	v_xor_b32_e32 v5, 0xfffff7ff, v0
                                        ; implicit-def: $vgpr37
	s_delay_alu instid0(VALU_DEP_1) | instskip(SKIP_2) | instid1(VALU_DEP_2)
	v_ashrrev_i32_e32 v6, 31, v5
	v_add_co_u32 v5, vcc_lo, v17, v5
	s_wait_alu 0xfffd
	v_add_co_ci_u32_e64 v6, null, v18, v6, vcc_lo
.LBB1943_159:
	s_wait_alu 0xfffe
	s_and_not1_saveexec_b32 s3, s3
	s_cbranch_execz .LBB1943_161
; %bb.160:
	s_wait_dscnt 0x3
	v_add_co_u32 v5, vcc_lo, v15, v37
	s_wait_alu 0xfffd
	v_add_co_ci_u32_e64 v6, null, 0, v16, vcc_lo
.LBB1943_161:
	s_wait_alu 0xfffe
	s_or_b32 exec_lo, exec_lo, s3
	s_wait_dscnt 0x3
	s_delay_alu instid0(VALU_DEP_1) | instskip(NEXT) | instid1(VALU_DEP_1)
	v_lshlrev_b64_e32 v[5:6], 2, v[5:6]
	v_add_co_u32 v5, vcc_lo, s10, v5
	s_wait_alu 0xfffd
	s_delay_alu instid0(VALU_DEP_2) | instskip(SKIP_3) | instid1(SALU_CYCLE_1)
	v_add_co_ci_u32_e64 v6, null, s11, v6, vcc_lo
	s_wait_dscnt 0x2
	global_store_b32 v[5:6], v3, off
	s_or_b32 exec_lo, exec_lo, s1
	s_mov_b32 s1, exec_lo
	v_cmpx_gt_u32_e64 s22, v36
	s_cbranch_execnz .LBB1943_193
.LBB1943_162:
	s_wait_alu 0xfffe
	s_or_b32 exec_lo, exec_lo, s1
	s_delay_alu instid0(SALU_CYCLE_1)
	s_mov_b32 s1, exec_lo
	v_cmpx_gt_u32_e64 s22, v35
	s_cbranch_execz .LBB1943_198
.LBB1943_163:
	s_mov_b32 s3, exec_lo
                                        ; implicit-def: $vgpr3_vgpr4
	v_cmpx_ge_u32_e64 v35, v19
	s_wait_alu 0xfffe
	s_xor_b32 s3, exec_lo, s3
	s_cbranch_execz .LBB1943_165
; %bb.164:
	s_wait_dscnt 0x2
	v_xor_b32_e32 v3, 0xfffff5ff, v0
                                        ; implicit-def: $vgpr35
	s_delay_alu instid0(VALU_DEP_1) | instskip(SKIP_2) | instid1(VALU_DEP_2)
	v_ashrrev_i32_e32 v4, 31, v3
	v_add_co_u32 v3, vcc_lo, v17, v3
	s_wait_alu 0xfffd
	v_add_co_ci_u32_e64 v4, null, v18, v4, vcc_lo
.LBB1943_165:
	s_wait_alu 0xfffe
	s_and_not1_saveexec_b32 s3, s3
	s_cbranch_execz .LBB1943_167
; %bb.166:
	s_wait_dscnt 0x2
	v_add_co_u32 v3, vcc_lo, v15, v35
	s_wait_alu 0xfffd
	v_add_co_ci_u32_e64 v4, null, 0, v16, vcc_lo
.LBB1943_167:
	s_wait_alu 0xfffe
	s_or_b32 exec_lo, exec_lo, s3
	s_wait_dscnt 0x2
	s_delay_alu instid0(VALU_DEP_1) | instskip(NEXT) | instid1(VALU_DEP_1)
	v_lshlrev_b64_e32 v[3:4], 2, v[3:4]
	v_add_co_u32 v3, vcc_lo, s10, v3
	s_wait_alu 0xfffd
	s_delay_alu instid0(VALU_DEP_2) | instskip(SKIP_3) | instid1(SALU_CYCLE_1)
	v_add_co_ci_u32_e64 v4, null, s11, v4, vcc_lo
	s_wait_dscnt 0x1
	global_store_b32 v[3:4], v1, off
	s_or_b32 exec_lo, exec_lo, s1
	s_mov_b32 s1, exec_lo
	v_cmpx_gt_u32_e64 s22, v34
	s_cbranch_execz .LBB1943_204
	s_branch .LBB1943_199
.LBB1943_168:
	s_wait_alu 0xfffe
	s_or_b32 exec_lo, exec_lo, s1
	s_delay_alu instid0(SALU_CYCLE_1)
	s_mov_b32 s1, exec_lo
	v_cmpx_gt_u32_e64 s22, v44
	s_cbranch_execz .LBB1943_138
.LBB1943_169:
	s_mov_b32 s3, exec_lo
                                        ; implicit-def: $vgpr13_vgpr14
	v_cmpx_ge_u32_e64 v44, v19
	s_wait_alu 0xfffe
	s_xor_b32 s3, exec_lo, s3
	s_cbranch_execz .LBB1943_171
; %bb.170:
	s_wait_dscnt 0x6
	v_xor_b32_e32 v11, 0xfffffeff, v0
                                        ; implicit-def: $vgpr44
	s_delay_alu instid0(VALU_DEP_1) | instskip(SKIP_2) | instid1(VALU_DEP_2)
	v_ashrrev_i32_e32 v14, 31, v11
	v_add_co_u32 v13, vcc_lo, v17, v11
	s_wait_alu 0xfffd
	v_add_co_ci_u32_e64 v14, null, v18, v14, vcc_lo
.LBB1943_171:
	s_wait_alu 0xfffe
	s_and_not1_saveexec_b32 s3, s3
; %bb.172:
	v_add_co_u32 v13, vcc_lo, v15, v44
	s_wait_alu 0xfffd
	v_add_co_ci_u32_e64 v14, null, 0, v16, vcc_lo
; %bb.173:
	s_wait_alu 0xfffe
	s_or_b32 exec_lo, exec_lo, s3
	s_delay_alu instid0(VALU_DEP_1) | instskip(NEXT) | instid1(VALU_DEP_1)
	v_lshlrev_b64_e32 v[13:14], 2, v[13:14]
	v_add_co_u32 v13, vcc_lo, s10, v13
	s_wait_alu 0xfffd
	s_delay_alu instid0(VALU_DEP_2) | instskip(SKIP_3) | instid1(SALU_CYCLE_1)
	v_add_co_ci_u32_e64 v14, null, s11, v14, vcc_lo
	s_wait_dscnt 0x6
	global_store_b32 v[13:14], v12, off
	s_or_b32 exec_lo, exec_lo, s1
	s_mov_b32 s1, exec_lo
	v_cmpx_gt_u32_e64 s22, v43
	s_cbranch_execnz .LBB1943_139
.LBB1943_174:
	s_wait_alu 0xfffe
	s_or_b32 exec_lo, exec_lo, s1
	s_delay_alu instid0(SALU_CYCLE_1)
	s_mov_b32 s1, exec_lo
	v_cmpx_gt_u32_e64 s22, v42
	s_cbranch_execz .LBB1943_144
.LBB1943_175:
	s_mov_b32 s3, exec_lo
                                        ; implicit-def: $vgpr11_vgpr12
	v_cmpx_ge_u32_e64 v42, v19
	s_wait_alu 0xfffe
	s_xor_b32 s3, exec_lo, s3
	s_cbranch_execz .LBB1943_177
; %bb.176:
	s_wait_dscnt 0x5
	v_xor_b32_e32 v9, 0xfffffcff, v0
                                        ; implicit-def: $vgpr42
	s_delay_alu instid0(VALU_DEP_1) | instskip(SKIP_2) | instid1(VALU_DEP_2)
	v_ashrrev_i32_e32 v12, 31, v9
	v_add_co_u32 v11, vcc_lo, v17, v9
	s_wait_alu 0xfffd
	v_add_co_ci_u32_e64 v12, null, v18, v12, vcc_lo
.LBB1943_177:
	s_wait_alu 0xfffe
	s_and_not1_saveexec_b32 s3, s3
	s_cbranch_execz .LBB1943_179
; %bb.178:
	s_wait_dscnt 0x6
	v_add_co_u32 v11, vcc_lo, v15, v42
	s_wait_alu 0xfffd
	v_add_co_ci_u32_e64 v12, null, 0, v16, vcc_lo
.LBB1943_179:
	s_wait_alu 0xfffe
	s_or_b32 exec_lo, exec_lo, s3
	s_wait_dscnt 0x6
	s_delay_alu instid0(VALU_DEP_1) | instskip(NEXT) | instid1(VALU_DEP_1)
	v_lshlrev_b64_e32 v[11:12], 2, v[11:12]
	v_add_co_u32 v11, vcc_lo, s10, v11
	s_wait_alu 0xfffd
	s_delay_alu instid0(VALU_DEP_2) | instskip(SKIP_3) | instid1(SALU_CYCLE_1)
	v_add_co_ci_u32_e64 v12, null, s11, v12, vcc_lo
	s_wait_dscnt 0x5
	global_store_b32 v[11:12], v10, off
	s_or_b32 exec_lo, exec_lo, s1
	s_mov_b32 s1, exec_lo
	v_cmpx_gt_u32_e64 s22, v41
	s_cbranch_execnz .LBB1943_145
.LBB1943_180:
	s_wait_alu 0xfffe
	s_or_b32 exec_lo, exec_lo, s1
	s_delay_alu instid0(SALU_CYCLE_1)
	s_mov_b32 s1, exec_lo
	v_cmpx_gt_u32_e64 s22, v40
	s_cbranch_execz .LBB1943_150
.LBB1943_181:
	s_mov_b32 s3, exec_lo
                                        ; implicit-def: $vgpr9_vgpr10
	v_cmpx_ge_u32_e64 v40, v19
	s_wait_alu 0xfffe
	s_xor_b32 s3, exec_lo, s3
	s_cbranch_execz .LBB1943_183
; %bb.182:
	s_wait_dscnt 0x4
	v_xor_b32_e32 v7, 0xfffffaff, v0
                                        ; implicit-def: $vgpr40
	s_delay_alu instid0(VALU_DEP_1) | instskip(SKIP_2) | instid1(VALU_DEP_2)
	v_ashrrev_i32_e32 v10, 31, v7
	v_add_co_u32 v9, vcc_lo, v17, v7
	s_wait_alu 0xfffd
	v_add_co_ci_u32_e64 v10, null, v18, v10, vcc_lo
.LBB1943_183:
	s_wait_alu 0xfffe
	s_and_not1_saveexec_b32 s3, s3
	s_cbranch_execz .LBB1943_185
; %bb.184:
	s_wait_dscnt 0x5
	v_add_co_u32 v9, vcc_lo, v15, v40
	s_wait_alu 0xfffd
	v_add_co_ci_u32_e64 v10, null, 0, v16, vcc_lo
.LBB1943_185:
	s_wait_alu 0xfffe
	s_or_b32 exec_lo, exec_lo, s3
	s_wait_dscnt 0x5
	s_delay_alu instid0(VALU_DEP_1) | instskip(NEXT) | instid1(VALU_DEP_1)
	v_lshlrev_b64_e32 v[9:10], 2, v[9:10]
	v_add_co_u32 v9, vcc_lo, s10, v9
	s_wait_alu 0xfffd
	s_delay_alu instid0(VALU_DEP_2) | instskip(SKIP_3) | instid1(SALU_CYCLE_1)
	v_add_co_ci_u32_e64 v10, null, s11, v10, vcc_lo
	s_wait_dscnt 0x4
	global_store_b32 v[9:10], v8, off
	s_or_b32 exec_lo, exec_lo, s1
	s_mov_b32 s1, exec_lo
	v_cmpx_gt_u32_e64 s22, v39
	s_cbranch_execnz .LBB1943_151
.LBB1943_186:
	s_wait_alu 0xfffe
	s_or_b32 exec_lo, exec_lo, s1
	s_delay_alu instid0(SALU_CYCLE_1)
	s_mov_b32 s1, exec_lo
	v_cmpx_gt_u32_e64 s22, v38
	s_cbranch_execz .LBB1943_156
.LBB1943_187:
	s_mov_b32 s3, exec_lo
                                        ; implicit-def: $vgpr7_vgpr8
	v_cmpx_ge_u32_e64 v38, v19
	s_wait_alu 0xfffe
	s_xor_b32 s3, exec_lo, s3
	s_cbranch_execz .LBB1943_189
; %bb.188:
	s_wait_dscnt 0x3
	v_xor_b32_e32 v5, 0xfffff8ff, v0
                                        ; implicit-def: $vgpr38
	s_delay_alu instid0(VALU_DEP_1) | instskip(SKIP_2) | instid1(VALU_DEP_2)
	v_ashrrev_i32_e32 v8, 31, v5
	v_add_co_u32 v7, vcc_lo, v17, v5
	s_wait_alu 0xfffd
	v_add_co_ci_u32_e64 v8, null, v18, v8, vcc_lo
.LBB1943_189:
	s_wait_alu 0xfffe
	s_and_not1_saveexec_b32 s3, s3
	s_cbranch_execz .LBB1943_191
; %bb.190:
	s_wait_dscnt 0x4
	v_add_co_u32 v7, vcc_lo, v15, v38
	s_wait_alu 0xfffd
	v_add_co_ci_u32_e64 v8, null, 0, v16, vcc_lo
.LBB1943_191:
	s_wait_alu 0xfffe
	s_or_b32 exec_lo, exec_lo, s3
	s_wait_dscnt 0x4
	s_delay_alu instid0(VALU_DEP_1) | instskip(NEXT) | instid1(VALU_DEP_1)
	v_lshlrev_b64_e32 v[7:8], 2, v[7:8]
	v_add_co_u32 v7, vcc_lo, s10, v7
	s_wait_alu 0xfffd
	s_delay_alu instid0(VALU_DEP_2) | instskip(SKIP_3) | instid1(SALU_CYCLE_1)
	v_add_co_ci_u32_e64 v8, null, s11, v8, vcc_lo
	s_wait_dscnt 0x3
	global_store_b32 v[7:8], v6, off
	s_or_b32 exec_lo, exec_lo, s1
	s_mov_b32 s1, exec_lo
	v_cmpx_gt_u32_e64 s22, v37
	s_cbranch_execnz .LBB1943_157
.LBB1943_192:
	s_wait_alu 0xfffe
	s_or_b32 exec_lo, exec_lo, s1
	s_delay_alu instid0(SALU_CYCLE_1)
	s_mov_b32 s1, exec_lo
	v_cmpx_gt_u32_e64 s22, v36
	s_cbranch_execz .LBB1943_162
.LBB1943_193:
	s_mov_b32 s3, exec_lo
                                        ; implicit-def: $vgpr5_vgpr6
	v_cmpx_ge_u32_e64 v36, v19
	s_wait_alu 0xfffe
	s_xor_b32 s3, exec_lo, s3
	s_cbranch_execz .LBB1943_195
; %bb.194:
	s_wait_dscnt 0x2
	v_xor_b32_e32 v3, 0xfffff6ff, v0
                                        ; implicit-def: $vgpr36
	s_delay_alu instid0(VALU_DEP_1) | instskip(SKIP_2) | instid1(VALU_DEP_2)
	v_ashrrev_i32_e32 v6, 31, v3
	v_add_co_u32 v5, vcc_lo, v17, v3
	s_wait_alu 0xfffd
	v_add_co_ci_u32_e64 v6, null, v18, v6, vcc_lo
.LBB1943_195:
	s_wait_alu 0xfffe
	s_and_not1_saveexec_b32 s3, s3
	s_cbranch_execz .LBB1943_197
; %bb.196:
	s_wait_dscnt 0x3
	v_add_co_u32 v5, vcc_lo, v15, v36
	s_wait_alu 0xfffd
	v_add_co_ci_u32_e64 v6, null, 0, v16, vcc_lo
.LBB1943_197:
	s_wait_alu 0xfffe
	s_or_b32 exec_lo, exec_lo, s3
	s_wait_dscnt 0x3
	s_delay_alu instid0(VALU_DEP_1) | instskip(NEXT) | instid1(VALU_DEP_1)
	v_lshlrev_b64_e32 v[5:6], 2, v[5:6]
	v_add_co_u32 v5, vcc_lo, s10, v5
	s_wait_alu 0xfffd
	s_delay_alu instid0(VALU_DEP_2) | instskip(SKIP_3) | instid1(SALU_CYCLE_1)
	v_add_co_ci_u32_e64 v6, null, s11, v6, vcc_lo
	s_wait_dscnt 0x2
	global_store_b32 v[5:6], v4, off
	s_or_b32 exec_lo, exec_lo, s1
	s_mov_b32 s1, exec_lo
	v_cmpx_gt_u32_e64 s22, v35
	s_cbranch_execnz .LBB1943_163
.LBB1943_198:
	s_wait_alu 0xfffe
	s_or_b32 exec_lo, exec_lo, s1
	s_delay_alu instid0(SALU_CYCLE_1)
	s_mov_b32 s1, exec_lo
	v_cmpx_gt_u32_e64 s22, v34
	s_cbranch_execz .LBB1943_204
.LBB1943_199:
	s_mov_b32 s3, exec_lo
                                        ; implicit-def: $vgpr3_vgpr4
	v_cmpx_ge_u32_e64 v34, v19
	s_wait_alu 0xfffe
	s_xor_b32 s3, exec_lo, s3
	s_cbranch_execz .LBB1943_201
; %bb.200:
	s_wait_dscnt 0x1
	v_xor_b32_e32 v1, 0xfffff4ff, v0
                                        ; implicit-def: $vgpr34
	s_delay_alu instid0(VALU_DEP_1) | instskip(SKIP_2) | instid1(VALU_DEP_2)
	v_ashrrev_i32_e32 v4, 31, v1
	v_add_co_u32 v3, vcc_lo, v17, v1
	s_wait_alu 0xfffd
	v_add_co_ci_u32_e64 v4, null, v18, v4, vcc_lo
.LBB1943_201:
	s_wait_alu 0xfffe
	s_and_not1_saveexec_b32 s3, s3
	s_cbranch_execz .LBB1943_203
; %bb.202:
	s_wait_dscnt 0x2
	v_add_co_u32 v3, vcc_lo, v15, v34
	s_wait_alu 0xfffd
	v_add_co_ci_u32_e64 v4, null, 0, v16, vcc_lo
.LBB1943_203:
	s_wait_alu 0xfffe
	s_or_b32 exec_lo, exec_lo, s3
	s_wait_dscnt 0x2
	s_delay_alu instid0(VALU_DEP_1) | instskip(NEXT) | instid1(VALU_DEP_1)
	v_lshlrev_b64_e32 v[3:4], 2, v[3:4]
	v_add_co_u32 v3, vcc_lo, s10, v3
	s_wait_alu 0xfffd
	s_delay_alu instid0(VALU_DEP_2)
	v_add_co_ci_u32_e64 v4, null, s11, v4, vcc_lo
	s_wait_dscnt 0x1
	global_store_b32 v[3:4], v2, off
.LBB1943_204:
	s_wait_alu 0xfffe
	s_or_b32 exec_lo, exec_lo, s1
	s_delay_alu instid0(SALU_CYCLE_1)
	s_mov_b32 s1, exec_lo
                                        ; implicit-def: $vgpr13_vgpr14
	v_cmpx_gt_u32_e64 s22, v33
	s_cbranch_execz .LBB1943_210
; %bb.205:
	s_mov_b32 s3, exec_lo
                                        ; implicit-def: $vgpr13_vgpr14
	v_cmpx_ge_u32_e64 v33, v19
	s_wait_alu 0xfffe
	s_xor_b32 s3, exec_lo, s3
	s_cbranch_execz .LBB1943_207
; %bb.206:
	v_xor_b32_e32 v0, 0xfffff3ff, v0
                                        ; implicit-def: $vgpr33
	s_wait_dscnt 0x1
	s_delay_alu instid0(VALU_DEP_1) | instskip(SKIP_2) | instid1(VALU_DEP_2)
	v_ashrrev_i32_e32 v1, 31, v0
	v_add_co_u32 v13, vcc_lo, v17, v0
	s_wait_alu 0xfffd
	v_add_co_ci_u32_e64 v14, null, v18, v1, vcc_lo
.LBB1943_207:
	s_wait_alu 0xfffe
	s_and_not1_saveexec_b32 s3, s3
; %bb.208:
	v_add_co_u32 v13, vcc_lo, v15, v33
	s_wait_alu 0xfffd
	v_add_co_ci_u32_e64 v14, null, 0, v16, vcc_lo
; %bb.209:
	s_wait_alu 0xfffe
	s_or_b32 exec_lo, exec_lo, s3
	s_delay_alu instid0(SALU_CYCLE_1)
	s_or_b32 s0, s0, exec_lo
.LBB1943_210:
	s_wait_alu 0xfffe
	s_or_b32 exec_lo, exec_lo, s1
	s_and_saveexec_b32 s1, s0
	s_cbranch_execnz .LBB1943_129
.LBB1943_211:
	s_wait_alu 0xfffe
	s_or_b32 exec_lo, exec_lo, s1
	s_and_b32 s0, s2, s9
	s_wait_alu 0xfffe
	s_and_saveexec_b32 s1, s0
	s_cbranch_execz .LBB1943_130
.LBB1943_212:
	v_add_co_u32 v0, vcc_lo, v15, v19
	s_wait_dscnt 0x1
	v_mov_b32_e32 v2, 0
	s_wait_alu 0xfffd
	v_add_co_ci_u32_e64 v1, null, 0, v16, vcc_lo
	global_store_b64 v2, v[0:1], s[12:13]
	s_endpgm
	.section	.rodata,"a",@progbits
	.p2align	6, 0x0
	.amdhsa_kernel _ZN7rocprim17ROCPRIM_400000_NS6detail17trampoline_kernelINS0_13select_configILj256ELj13ELNS0_17block_load_methodE3ELS4_3ELS4_3ELNS0_20block_scan_algorithmE0ELj4294967295EEENS1_25partition_config_selectorILNS1_17partition_subalgoE3EjNS0_10empty_typeEbEEZZNS1_14partition_implILS8_3ELb0ES6_jNS0_17counting_iteratorIjlEEPS9_SE_NS0_5tupleIJPjSE_EEENSF_IJSE_SE_EEES9_SG_JZNS1_25segmented_radix_sort_implINS0_14default_configELb1EPK12hip_bfloat16PSL_PKlPlN2at6native12_GLOBAL__N_18offset_tEEE10hipError_tPvRmT1_PNSt15iterator_traitsISZ_E10value_typeET2_T3_PNS10_IS15_E10value_typeET4_jRbjT5_S1B_jjP12ihipStream_tbEUljE_EEESW_SX_SY_S15_S19_S1B_T6_T7_T9_mT8_S1D_bDpT10_ENKUlT_T0_E_clISt17integral_constantIbLb0EES1P_IbLb1EEEEDaS1L_S1M_EUlS1L_E_NS1_11comp_targetILNS1_3genE10ELNS1_11target_archE1200ELNS1_3gpuE4ELNS1_3repE0EEENS1_30default_config_static_selectorELNS0_4arch9wavefront6targetE0EEEvSZ_
		.amdhsa_group_segment_fixed_size 13320
		.amdhsa_private_segment_fixed_size 0
		.amdhsa_kernarg_size 152
		.amdhsa_user_sgpr_count 2
		.amdhsa_user_sgpr_dispatch_ptr 0
		.amdhsa_user_sgpr_queue_ptr 0
		.amdhsa_user_sgpr_kernarg_segment_ptr 1
		.amdhsa_user_sgpr_dispatch_id 0
		.amdhsa_user_sgpr_private_segment_size 0
		.amdhsa_wavefront_size32 1
		.amdhsa_uses_dynamic_stack 0
		.amdhsa_enable_private_segment 0
		.amdhsa_system_sgpr_workgroup_id_x 1
		.amdhsa_system_sgpr_workgroup_id_y 0
		.amdhsa_system_sgpr_workgroup_id_z 0
		.amdhsa_system_sgpr_workgroup_info 0
		.amdhsa_system_vgpr_workitem_id 0
		.amdhsa_next_free_vgpr 71
		.amdhsa_next_free_sgpr 26
		.amdhsa_reserve_vcc 1
		.amdhsa_float_round_mode_32 0
		.amdhsa_float_round_mode_16_64 0
		.amdhsa_float_denorm_mode_32 3
		.amdhsa_float_denorm_mode_16_64 3
		.amdhsa_fp16_overflow 0
		.amdhsa_workgroup_processor_mode 1
		.amdhsa_memory_ordered 1
		.amdhsa_forward_progress 1
		.amdhsa_inst_pref_size 86
		.amdhsa_round_robin_scheduling 0
		.amdhsa_exception_fp_ieee_invalid_op 0
		.amdhsa_exception_fp_denorm_src 0
		.amdhsa_exception_fp_ieee_div_zero 0
		.amdhsa_exception_fp_ieee_overflow 0
		.amdhsa_exception_fp_ieee_underflow 0
		.amdhsa_exception_fp_ieee_inexact 0
		.amdhsa_exception_int_div_zero 0
	.end_amdhsa_kernel
	.section	.text._ZN7rocprim17ROCPRIM_400000_NS6detail17trampoline_kernelINS0_13select_configILj256ELj13ELNS0_17block_load_methodE3ELS4_3ELS4_3ELNS0_20block_scan_algorithmE0ELj4294967295EEENS1_25partition_config_selectorILNS1_17partition_subalgoE3EjNS0_10empty_typeEbEEZZNS1_14partition_implILS8_3ELb0ES6_jNS0_17counting_iteratorIjlEEPS9_SE_NS0_5tupleIJPjSE_EEENSF_IJSE_SE_EEES9_SG_JZNS1_25segmented_radix_sort_implINS0_14default_configELb1EPK12hip_bfloat16PSL_PKlPlN2at6native12_GLOBAL__N_18offset_tEEE10hipError_tPvRmT1_PNSt15iterator_traitsISZ_E10value_typeET2_T3_PNS10_IS15_E10value_typeET4_jRbjT5_S1B_jjP12ihipStream_tbEUljE_EEESW_SX_SY_S15_S19_S1B_T6_T7_T9_mT8_S1D_bDpT10_ENKUlT_T0_E_clISt17integral_constantIbLb0EES1P_IbLb1EEEEDaS1L_S1M_EUlS1L_E_NS1_11comp_targetILNS1_3genE10ELNS1_11target_archE1200ELNS1_3gpuE4ELNS1_3repE0EEENS1_30default_config_static_selectorELNS0_4arch9wavefront6targetE0EEEvSZ_,"axG",@progbits,_ZN7rocprim17ROCPRIM_400000_NS6detail17trampoline_kernelINS0_13select_configILj256ELj13ELNS0_17block_load_methodE3ELS4_3ELS4_3ELNS0_20block_scan_algorithmE0ELj4294967295EEENS1_25partition_config_selectorILNS1_17partition_subalgoE3EjNS0_10empty_typeEbEEZZNS1_14partition_implILS8_3ELb0ES6_jNS0_17counting_iteratorIjlEEPS9_SE_NS0_5tupleIJPjSE_EEENSF_IJSE_SE_EEES9_SG_JZNS1_25segmented_radix_sort_implINS0_14default_configELb1EPK12hip_bfloat16PSL_PKlPlN2at6native12_GLOBAL__N_18offset_tEEE10hipError_tPvRmT1_PNSt15iterator_traitsISZ_E10value_typeET2_T3_PNS10_IS15_E10value_typeET4_jRbjT5_S1B_jjP12ihipStream_tbEUljE_EEESW_SX_SY_S15_S19_S1B_T6_T7_T9_mT8_S1D_bDpT10_ENKUlT_T0_E_clISt17integral_constantIbLb0EES1P_IbLb1EEEEDaS1L_S1M_EUlS1L_E_NS1_11comp_targetILNS1_3genE10ELNS1_11target_archE1200ELNS1_3gpuE4ELNS1_3repE0EEENS1_30default_config_static_selectorELNS0_4arch9wavefront6targetE0EEEvSZ_,comdat
.Lfunc_end1943:
	.size	_ZN7rocprim17ROCPRIM_400000_NS6detail17trampoline_kernelINS0_13select_configILj256ELj13ELNS0_17block_load_methodE3ELS4_3ELS4_3ELNS0_20block_scan_algorithmE0ELj4294967295EEENS1_25partition_config_selectorILNS1_17partition_subalgoE3EjNS0_10empty_typeEbEEZZNS1_14partition_implILS8_3ELb0ES6_jNS0_17counting_iteratorIjlEEPS9_SE_NS0_5tupleIJPjSE_EEENSF_IJSE_SE_EEES9_SG_JZNS1_25segmented_radix_sort_implINS0_14default_configELb1EPK12hip_bfloat16PSL_PKlPlN2at6native12_GLOBAL__N_18offset_tEEE10hipError_tPvRmT1_PNSt15iterator_traitsISZ_E10value_typeET2_T3_PNS10_IS15_E10value_typeET4_jRbjT5_S1B_jjP12ihipStream_tbEUljE_EEESW_SX_SY_S15_S19_S1B_T6_T7_T9_mT8_S1D_bDpT10_ENKUlT_T0_E_clISt17integral_constantIbLb0EES1P_IbLb1EEEEDaS1L_S1M_EUlS1L_E_NS1_11comp_targetILNS1_3genE10ELNS1_11target_archE1200ELNS1_3gpuE4ELNS1_3repE0EEENS1_30default_config_static_selectorELNS0_4arch9wavefront6targetE0EEEvSZ_, .Lfunc_end1943-_ZN7rocprim17ROCPRIM_400000_NS6detail17trampoline_kernelINS0_13select_configILj256ELj13ELNS0_17block_load_methodE3ELS4_3ELS4_3ELNS0_20block_scan_algorithmE0ELj4294967295EEENS1_25partition_config_selectorILNS1_17partition_subalgoE3EjNS0_10empty_typeEbEEZZNS1_14partition_implILS8_3ELb0ES6_jNS0_17counting_iteratorIjlEEPS9_SE_NS0_5tupleIJPjSE_EEENSF_IJSE_SE_EEES9_SG_JZNS1_25segmented_radix_sort_implINS0_14default_configELb1EPK12hip_bfloat16PSL_PKlPlN2at6native12_GLOBAL__N_18offset_tEEE10hipError_tPvRmT1_PNSt15iterator_traitsISZ_E10value_typeET2_T3_PNS10_IS15_E10value_typeET4_jRbjT5_S1B_jjP12ihipStream_tbEUljE_EEESW_SX_SY_S15_S19_S1B_T6_T7_T9_mT8_S1D_bDpT10_ENKUlT_T0_E_clISt17integral_constantIbLb0EES1P_IbLb1EEEEDaS1L_S1M_EUlS1L_E_NS1_11comp_targetILNS1_3genE10ELNS1_11target_archE1200ELNS1_3gpuE4ELNS1_3repE0EEENS1_30default_config_static_selectorELNS0_4arch9wavefront6targetE0EEEvSZ_
                                        ; -- End function
	.set _ZN7rocprim17ROCPRIM_400000_NS6detail17trampoline_kernelINS0_13select_configILj256ELj13ELNS0_17block_load_methodE3ELS4_3ELS4_3ELNS0_20block_scan_algorithmE0ELj4294967295EEENS1_25partition_config_selectorILNS1_17partition_subalgoE3EjNS0_10empty_typeEbEEZZNS1_14partition_implILS8_3ELb0ES6_jNS0_17counting_iteratorIjlEEPS9_SE_NS0_5tupleIJPjSE_EEENSF_IJSE_SE_EEES9_SG_JZNS1_25segmented_radix_sort_implINS0_14default_configELb1EPK12hip_bfloat16PSL_PKlPlN2at6native12_GLOBAL__N_18offset_tEEE10hipError_tPvRmT1_PNSt15iterator_traitsISZ_E10value_typeET2_T3_PNS10_IS15_E10value_typeET4_jRbjT5_S1B_jjP12ihipStream_tbEUljE_EEESW_SX_SY_S15_S19_S1B_T6_T7_T9_mT8_S1D_bDpT10_ENKUlT_T0_E_clISt17integral_constantIbLb0EES1P_IbLb1EEEEDaS1L_S1M_EUlS1L_E_NS1_11comp_targetILNS1_3genE10ELNS1_11target_archE1200ELNS1_3gpuE4ELNS1_3repE0EEENS1_30default_config_static_selectorELNS0_4arch9wavefront6targetE0EEEvSZ_.num_vgpr, 71
	.set _ZN7rocprim17ROCPRIM_400000_NS6detail17trampoline_kernelINS0_13select_configILj256ELj13ELNS0_17block_load_methodE3ELS4_3ELS4_3ELNS0_20block_scan_algorithmE0ELj4294967295EEENS1_25partition_config_selectorILNS1_17partition_subalgoE3EjNS0_10empty_typeEbEEZZNS1_14partition_implILS8_3ELb0ES6_jNS0_17counting_iteratorIjlEEPS9_SE_NS0_5tupleIJPjSE_EEENSF_IJSE_SE_EEES9_SG_JZNS1_25segmented_radix_sort_implINS0_14default_configELb1EPK12hip_bfloat16PSL_PKlPlN2at6native12_GLOBAL__N_18offset_tEEE10hipError_tPvRmT1_PNSt15iterator_traitsISZ_E10value_typeET2_T3_PNS10_IS15_E10value_typeET4_jRbjT5_S1B_jjP12ihipStream_tbEUljE_EEESW_SX_SY_S15_S19_S1B_T6_T7_T9_mT8_S1D_bDpT10_ENKUlT_T0_E_clISt17integral_constantIbLb0EES1P_IbLb1EEEEDaS1L_S1M_EUlS1L_E_NS1_11comp_targetILNS1_3genE10ELNS1_11target_archE1200ELNS1_3gpuE4ELNS1_3repE0EEENS1_30default_config_static_selectorELNS0_4arch9wavefront6targetE0EEEvSZ_.num_agpr, 0
	.set _ZN7rocprim17ROCPRIM_400000_NS6detail17trampoline_kernelINS0_13select_configILj256ELj13ELNS0_17block_load_methodE3ELS4_3ELS4_3ELNS0_20block_scan_algorithmE0ELj4294967295EEENS1_25partition_config_selectorILNS1_17partition_subalgoE3EjNS0_10empty_typeEbEEZZNS1_14partition_implILS8_3ELb0ES6_jNS0_17counting_iteratorIjlEEPS9_SE_NS0_5tupleIJPjSE_EEENSF_IJSE_SE_EEES9_SG_JZNS1_25segmented_radix_sort_implINS0_14default_configELb1EPK12hip_bfloat16PSL_PKlPlN2at6native12_GLOBAL__N_18offset_tEEE10hipError_tPvRmT1_PNSt15iterator_traitsISZ_E10value_typeET2_T3_PNS10_IS15_E10value_typeET4_jRbjT5_S1B_jjP12ihipStream_tbEUljE_EEESW_SX_SY_S15_S19_S1B_T6_T7_T9_mT8_S1D_bDpT10_ENKUlT_T0_E_clISt17integral_constantIbLb0EES1P_IbLb1EEEEDaS1L_S1M_EUlS1L_E_NS1_11comp_targetILNS1_3genE10ELNS1_11target_archE1200ELNS1_3gpuE4ELNS1_3repE0EEENS1_30default_config_static_selectorELNS0_4arch9wavefront6targetE0EEEvSZ_.numbered_sgpr, 26
	.set _ZN7rocprim17ROCPRIM_400000_NS6detail17trampoline_kernelINS0_13select_configILj256ELj13ELNS0_17block_load_methodE3ELS4_3ELS4_3ELNS0_20block_scan_algorithmE0ELj4294967295EEENS1_25partition_config_selectorILNS1_17partition_subalgoE3EjNS0_10empty_typeEbEEZZNS1_14partition_implILS8_3ELb0ES6_jNS0_17counting_iteratorIjlEEPS9_SE_NS0_5tupleIJPjSE_EEENSF_IJSE_SE_EEES9_SG_JZNS1_25segmented_radix_sort_implINS0_14default_configELb1EPK12hip_bfloat16PSL_PKlPlN2at6native12_GLOBAL__N_18offset_tEEE10hipError_tPvRmT1_PNSt15iterator_traitsISZ_E10value_typeET2_T3_PNS10_IS15_E10value_typeET4_jRbjT5_S1B_jjP12ihipStream_tbEUljE_EEESW_SX_SY_S15_S19_S1B_T6_T7_T9_mT8_S1D_bDpT10_ENKUlT_T0_E_clISt17integral_constantIbLb0EES1P_IbLb1EEEEDaS1L_S1M_EUlS1L_E_NS1_11comp_targetILNS1_3genE10ELNS1_11target_archE1200ELNS1_3gpuE4ELNS1_3repE0EEENS1_30default_config_static_selectorELNS0_4arch9wavefront6targetE0EEEvSZ_.num_named_barrier, 0
	.set _ZN7rocprim17ROCPRIM_400000_NS6detail17trampoline_kernelINS0_13select_configILj256ELj13ELNS0_17block_load_methodE3ELS4_3ELS4_3ELNS0_20block_scan_algorithmE0ELj4294967295EEENS1_25partition_config_selectorILNS1_17partition_subalgoE3EjNS0_10empty_typeEbEEZZNS1_14partition_implILS8_3ELb0ES6_jNS0_17counting_iteratorIjlEEPS9_SE_NS0_5tupleIJPjSE_EEENSF_IJSE_SE_EEES9_SG_JZNS1_25segmented_radix_sort_implINS0_14default_configELb1EPK12hip_bfloat16PSL_PKlPlN2at6native12_GLOBAL__N_18offset_tEEE10hipError_tPvRmT1_PNSt15iterator_traitsISZ_E10value_typeET2_T3_PNS10_IS15_E10value_typeET4_jRbjT5_S1B_jjP12ihipStream_tbEUljE_EEESW_SX_SY_S15_S19_S1B_T6_T7_T9_mT8_S1D_bDpT10_ENKUlT_T0_E_clISt17integral_constantIbLb0EES1P_IbLb1EEEEDaS1L_S1M_EUlS1L_E_NS1_11comp_targetILNS1_3genE10ELNS1_11target_archE1200ELNS1_3gpuE4ELNS1_3repE0EEENS1_30default_config_static_selectorELNS0_4arch9wavefront6targetE0EEEvSZ_.private_seg_size, 0
	.set _ZN7rocprim17ROCPRIM_400000_NS6detail17trampoline_kernelINS0_13select_configILj256ELj13ELNS0_17block_load_methodE3ELS4_3ELS4_3ELNS0_20block_scan_algorithmE0ELj4294967295EEENS1_25partition_config_selectorILNS1_17partition_subalgoE3EjNS0_10empty_typeEbEEZZNS1_14partition_implILS8_3ELb0ES6_jNS0_17counting_iteratorIjlEEPS9_SE_NS0_5tupleIJPjSE_EEENSF_IJSE_SE_EEES9_SG_JZNS1_25segmented_radix_sort_implINS0_14default_configELb1EPK12hip_bfloat16PSL_PKlPlN2at6native12_GLOBAL__N_18offset_tEEE10hipError_tPvRmT1_PNSt15iterator_traitsISZ_E10value_typeET2_T3_PNS10_IS15_E10value_typeET4_jRbjT5_S1B_jjP12ihipStream_tbEUljE_EEESW_SX_SY_S15_S19_S1B_T6_T7_T9_mT8_S1D_bDpT10_ENKUlT_T0_E_clISt17integral_constantIbLb0EES1P_IbLb1EEEEDaS1L_S1M_EUlS1L_E_NS1_11comp_targetILNS1_3genE10ELNS1_11target_archE1200ELNS1_3gpuE4ELNS1_3repE0EEENS1_30default_config_static_selectorELNS0_4arch9wavefront6targetE0EEEvSZ_.uses_vcc, 1
	.set _ZN7rocprim17ROCPRIM_400000_NS6detail17trampoline_kernelINS0_13select_configILj256ELj13ELNS0_17block_load_methodE3ELS4_3ELS4_3ELNS0_20block_scan_algorithmE0ELj4294967295EEENS1_25partition_config_selectorILNS1_17partition_subalgoE3EjNS0_10empty_typeEbEEZZNS1_14partition_implILS8_3ELb0ES6_jNS0_17counting_iteratorIjlEEPS9_SE_NS0_5tupleIJPjSE_EEENSF_IJSE_SE_EEES9_SG_JZNS1_25segmented_radix_sort_implINS0_14default_configELb1EPK12hip_bfloat16PSL_PKlPlN2at6native12_GLOBAL__N_18offset_tEEE10hipError_tPvRmT1_PNSt15iterator_traitsISZ_E10value_typeET2_T3_PNS10_IS15_E10value_typeET4_jRbjT5_S1B_jjP12ihipStream_tbEUljE_EEESW_SX_SY_S15_S19_S1B_T6_T7_T9_mT8_S1D_bDpT10_ENKUlT_T0_E_clISt17integral_constantIbLb0EES1P_IbLb1EEEEDaS1L_S1M_EUlS1L_E_NS1_11comp_targetILNS1_3genE10ELNS1_11target_archE1200ELNS1_3gpuE4ELNS1_3repE0EEENS1_30default_config_static_selectorELNS0_4arch9wavefront6targetE0EEEvSZ_.uses_flat_scratch, 0
	.set _ZN7rocprim17ROCPRIM_400000_NS6detail17trampoline_kernelINS0_13select_configILj256ELj13ELNS0_17block_load_methodE3ELS4_3ELS4_3ELNS0_20block_scan_algorithmE0ELj4294967295EEENS1_25partition_config_selectorILNS1_17partition_subalgoE3EjNS0_10empty_typeEbEEZZNS1_14partition_implILS8_3ELb0ES6_jNS0_17counting_iteratorIjlEEPS9_SE_NS0_5tupleIJPjSE_EEENSF_IJSE_SE_EEES9_SG_JZNS1_25segmented_radix_sort_implINS0_14default_configELb1EPK12hip_bfloat16PSL_PKlPlN2at6native12_GLOBAL__N_18offset_tEEE10hipError_tPvRmT1_PNSt15iterator_traitsISZ_E10value_typeET2_T3_PNS10_IS15_E10value_typeET4_jRbjT5_S1B_jjP12ihipStream_tbEUljE_EEESW_SX_SY_S15_S19_S1B_T6_T7_T9_mT8_S1D_bDpT10_ENKUlT_T0_E_clISt17integral_constantIbLb0EES1P_IbLb1EEEEDaS1L_S1M_EUlS1L_E_NS1_11comp_targetILNS1_3genE10ELNS1_11target_archE1200ELNS1_3gpuE4ELNS1_3repE0EEENS1_30default_config_static_selectorELNS0_4arch9wavefront6targetE0EEEvSZ_.has_dyn_sized_stack, 0
	.set _ZN7rocprim17ROCPRIM_400000_NS6detail17trampoline_kernelINS0_13select_configILj256ELj13ELNS0_17block_load_methodE3ELS4_3ELS4_3ELNS0_20block_scan_algorithmE0ELj4294967295EEENS1_25partition_config_selectorILNS1_17partition_subalgoE3EjNS0_10empty_typeEbEEZZNS1_14partition_implILS8_3ELb0ES6_jNS0_17counting_iteratorIjlEEPS9_SE_NS0_5tupleIJPjSE_EEENSF_IJSE_SE_EEES9_SG_JZNS1_25segmented_radix_sort_implINS0_14default_configELb1EPK12hip_bfloat16PSL_PKlPlN2at6native12_GLOBAL__N_18offset_tEEE10hipError_tPvRmT1_PNSt15iterator_traitsISZ_E10value_typeET2_T3_PNS10_IS15_E10value_typeET4_jRbjT5_S1B_jjP12ihipStream_tbEUljE_EEESW_SX_SY_S15_S19_S1B_T6_T7_T9_mT8_S1D_bDpT10_ENKUlT_T0_E_clISt17integral_constantIbLb0EES1P_IbLb1EEEEDaS1L_S1M_EUlS1L_E_NS1_11comp_targetILNS1_3genE10ELNS1_11target_archE1200ELNS1_3gpuE4ELNS1_3repE0EEENS1_30default_config_static_selectorELNS0_4arch9wavefront6targetE0EEEvSZ_.has_recursion, 0
	.set _ZN7rocprim17ROCPRIM_400000_NS6detail17trampoline_kernelINS0_13select_configILj256ELj13ELNS0_17block_load_methodE3ELS4_3ELS4_3ELNS0_20block_scan_algorithmE0ELj4294967295EEENS1_25partition_config_selectorILNS1_17partition_subalgoE3EjNS0_10empty_typeEbEEZZNS1_14partition_implILS8_3ELb0ES6_jNS0_17counting_iteratorIjlEEPS9_SE_NS0_5tupleIJPjSE_EEENSF_IJSE_SE_EEES9_SG_JZNS1_25segmented_radix_sort_implINS0_14default_configELb1EPK12hip_bfloat16PSL_PKlPlN2at6native12_GLOBAL__N_18offset_tEEE10hipError_tPvRmT1_PNSt15iterator_traitsISZ_E10value_typeET2_T3_PNS10_IS15_E10value_typeET4_jRbjT5_S1B_jjP12ihipStream_tbEUljE_EEESW_SX_SY_S15_S19_S1B_T6_T7_T9_mT8_S1D_bDpT10_ENKUlT_T0_E_clISt17integral_constantIbLb0EES1P_IbLb1EEEEDaS1L_S1M_EUlS1L_E_NS1_11comp_targetILNS1_3genE10ELNS1_11target_archE1200ELNS1_3gpuE4ELNS1_3repE0EEENS1_30default_config_static_selectorELNS0_4arch9wavefront6targetE0EEEvSZ_.has_indirect_call, 0
	.section	.AMDGPU.csdata,"",@progbits
; Kernel info:
; codeLenInByte = 10900
; TotalNumSgprs: 28
; NumVgprs: 71
; ScratchSize: 0
; MemoryBound: 0
; FloatMode: 240
; IeeeMode: 1
; LDSByteSize: 13320 bytes/workgroup (compile time only)
; SGPRBlocks: 0
; VGPRBlocks: 8
; NumSGPRsForWavesPerEU: 28
; NumVGPRsForWavesPerEU: 71
; Occupancy: 16
; WaveLimiterHint : 0
; COMPUTE_PGM_RSRC2:SCRATCH_EN: 0
; COMPUTE_PGM_RSRC2:USER_SGPR: 2
; COMPUTE_PGM_RSRC2:TRAP_HANDLER: 0
; COMPUTE_PGM_RSRC2:TGID_X_EN: 1
; COMPUTE_PGM_RSRC2:TGID_Y_EN: 0
; COMPUTE_PGM_RSRC2:TGID_Z_EN: 0
; COMPUTE_PGM_RSRC2:TIDIG_COMP_CNT: 0
	.section	.text._ZN7rocprim17ROCPRIM_400000_NS6detail17trampoline_kernelINS0_13select_configILj256ELj13ELNS0_17block_load_methodE3ELS4_3ELS4_3ELNS0_20block_scan_algorithmE0ELj4294967295EEENS1_25partition_config_selectorILNS1_17partition_subalgoE3EjNS0_10empty_typeEbEEZZNS1_14partition_implILS8_3ELb0ES6_jNS0_17counting_iteratorIjlEEPS9_SE_NS0_5tupleIJPjSE_EEENSF_IJSE_SE_EEES9_SG_JZNS1_25segmented_radix_sort_implINS0_14default_configELb1EPK12hip_bfloat16PSL_PKlPlN2at6native12_GLOBAL__N_18offset_tEEE10hipError_tPvRmT1_PNSt15iterator_traitsISZ_E10value_typeET2_T3_PNS10_IS15_E10value_typeET4_jRbjT5_S1B_jjP12ihipStream_tbEUljE_EEESW_SX_SY_S15_S19_S1B_T6_T7_T9_mT8_S1D_bDpT10_ENKUlT_T0_E_clISt17integral_constantIbLb0EES1P_IbLb1EEEEDaS1L_S1M_EUlS1L_E_NS1_11comp_targetILNS1_3genE9ELNS1_11target_archE1100ELNS1_3gpuE3ELNS1_3repE0EEENS1_30default_config_static_selectorELNS0_4arch9wavefront6targetE0EEEvSZ_,"axG",@progbits,_ZN7rocprim17ROCPRIM_400000_NS6detail17trampoline_kernelINS0_13select_configILj256ELj13ELNS0_17block_load_methodE3ELS4_3ELS4_3ELNS0_20block_scan_algorithmE0ELj4294967295EEENS1_25partition_config_selectorILNS1_17partition_subalgoE3EjNS0_10empty_typeEbEEZZNS1_14partition_implILS8_3ELb0ES6_jNS0_17counting_iteratorIjlEEPS9_SE_NS0_5tupleIJPjSE_EEENSF_IJSE_SE_EEES9_SG_JZNS1_25segmented_radix_sort_implINS0_14default_configELb1EPK12hip_bfloat16PSL_PKlPlN2at6native12_GLOBAL__N_18offset_tEEE10hipError_tPvRmT1_PNSt15iterator_traitsISZ_E10value_typeET2_T3_PNS10_IS15_E10value_typeET4_jRbjT5_S1B_jjP12ihipStream_tbEUljE_EEESW_SX_SY_S15_S19_S1B_T6_T7_T9_mT8_S1D_bDpT10_ENKUlT_T0_E_clISt17integral_constantIbLb0EES1P_IbLb1EEEEDaS1L_S1M_EUlS1L_E_NS1_11comp_targetILNS1_3genE9ELNS1_11target_archE1100ELNS1_3gpuE3ELNS1_3repE0EEENS1_30default_config_static_selectorELNS0_4arch9wavefront6targetE0EEEvSZ_,comdat
	.globl	_ZN7rocprim17ROCPRIM_400000_NS6detail17trampoline_kernelINS0_13select_configILj256ELj13ELNS0_17block_load_methodE3ELS4_3ELS4_3ELNS0_20block_scan_algorithmE0ELj4294967295EEENS1_25partition_config_selectorILNS1_17partition_subalgoE3EjNS0_10empty_typeEbEEZZNS1_14partition_implILS8_3ELb0ES6_jNS0_17counting_iteratorIjlEEPS9_SE_NS0_5tupleIJPjSE_EEENSF_IJSE_SE_EEES9_SG_JZNS1_25segmented_radix_sort_implINS0_14default_configELb1EPK12hip_bfloat16PSL_PKlPlN2at6native12_GLOBAL__N_18offset_tEEE10hipError_tPvRmT1_PNSt15iterator_traitsISZ_E10value_typeET2_T3_PNS10_IS15_E10value_typeET4_jRbjT5_S1B_jjP12ihipStream_tbEUljE_EEESW_SX_SY_S15_S19_S1B_T6_T7_T9_mT8_S1D_bDpT10_ENKUlT_T0_E_clISt17integral_constantIbLb0EES1P_IbLb1EEEEDaS1L_S1M_EUlS1L_E_NS1_11comp_targetILNS1_3genE9ELNS1_11target_archE1100ELNS1_3gpuE3ELNS1_3repE0EEENS1_30default_config_static_selectorELNS0_4arch9wavefront6targetE0EEEvSZ_ ; -- Begin function _ZN7rocprim17ROCPRIM_400000_NS6detail17trampoline_kernelINS0_13select_configILj256ELj13ELNS0_17block_load_methodE3ELS4_3ELS4_3ELNS0_20block_scan_algorithmE0ELj4294967295EEENS1_25partition_config_selectorILNS1_17partition_subalgoE3EjNS0_10empty_typeEbEEZZNS1_14partition_implILS8_3ELb0ES6_jNS0_17counting_iteratorIjlEEPS9_SE_NS0_5tupleIJPjSE_EEENSF_IJSE_SE_EEES9_SG_JZNS1_25segmented_radix_sort_implINS0_14default_configELb1EPK12hip_bfloat16PSL_PKlPlN2at6native12_GLOBAL__N_18offset_tEEE10hipError_tPvRmT1_PNSt15iterator_traitsISZ_E10value_typeET2_T3_PNS10_IS15_E10value_typeET4_jRbjT5_S1B_jjP12ihipStream_tbEUljE_EEESW_SX_SY_S15_S19_S1B_T6_T7_T9_mT8_S1D_bDpT10_ENKUlT_T0_E_clISt17integral_constantIbLb0EES1P_IbLb1EEEEDaS1L_S1M_EUlS1L_E_NS1_11comp_targetILNS1_3genE9ELNS1_11target_archE1100ELNS1_3gpuE3ELNS1_3repE0EEENS1_30default_config_static_selectorELNS0_4arch9wavefront6targetE0EEEvSZ_
	.p2align	8
	.type	_ZN7rocprim17ROCPRIM_400000_NS6detail17trampoline_kernelINS0_13select_configILj256ELj13ELNS0_17block_load_methodE3ELS4_3ELS4_3ELNS0_20block_scan_algorithmE0ELj4294967295EEENS1_25partition_config_selectorILNS1_17partition_subalgoE3EjNS0_10empty_typeEbEEZZNS1_14partition_implILS8_3ELb0ES6_jNS0_17counting_iteratorIjlEEPS9_SE_NS0_5tupleIJPjSE_EEENSF_IJSE_SE_EEES9_SG_JZNS1_25segmented_radix_sort_implINS0_14default_configELb1EPK12hip_bfloat16PSL_PKlPlN2at6native12_GLOBAL__N_18offset_tEEE10hipError_tPvRmT1_PNSt15iterator_traitsISZ_E10value_typeET2_T3_PNS10_IS15_E10value_typeET4_jRbjT5_S1B_jjP12ihipStream_tbEUljE_EEESW_SX_SY_S15_S19_S1B_T6_T7_T9_mT8_S1D_bDpT10_ENKUlT_T0_E_clISt17integral_constantIbLb0EES1P_IbLb1EEEEDaS1L_S1M_EUlS1L_E_NS1_11comp_targetILNS1_3genE9ELNS1_11target_archE1100ELNS1_3gpuE3ELNS1_3repE0EEENS1_30default_config_static_selectorELNS0_4arch9wavefront6targetE0EEEvSZ_,@function
_ZN7rocprim17ROCPRIM_400000_NS6detail17trampoline_kernelINS0_13select_configILj256ELj13ELNS0_17block_load_methodE3ELS4_3ELS4_3ELNS0_20block_scan_algorithmE0ELj4294967295EEENS1_25partition_config_selectorILNS1_17partition_subalgoE3EjNS0_10empty_typeEbEEZZNS1_14partition_implILS8_3ELb0ES6_jNS0_17counting_iteratorIjlEEPS9_SE_NS0_5tupleIJPjSE_EEENSF_IJSE_SE_EEES9_SG_JZNS1_25segmented_radix_sort_implINS0_14default_configELb1EPK12hip_bfloat16PSL_PKlPlN2at6native12_GLOBAL__N_18offset_tEEE10hipError_tPvRmT1_PNSt15iterator_traitsISZ_E10value_typeET2_T3_PNS10_IS15_E10value_typeET4_jRbjT5_S1B_jjP12ihipStream_tbEUljE_EEESW_SX_SY_S15_S19_S1B_T6_T7_T9_mT8_S1D_bDpT10_ENKUlT_T0_E_clISt17integral_constantIbLb0EES1P_IbLb1EEEEDaS1L_S1M_EUlS1L_E_NS1_11comp_targetILNS1_3genE9ELNS1_11target_archE1100ELNS1_3gpuE3ELNS1_3repE0EEENS1_30default_config_static_selectorELNS0_4arch9wavefront6targetE0EEEvSZ_: ; @_ZN7rocprim17ROCPRIM_400000_NS6detail17trampoline_kernelINS0_13select_configILj256ELj13ELNS0_17block_load_methodE3ELS4_3ELS4_3ELNS0_20block_scan_algorithmE0ELj4294967295EEENS1_25partition_config_selectorILNS1_17partition_subalgoE3EjNS0_10empty_typeEbEEZZNS1_14partition_implILS8_3ELb0ES6_jNS0_17counting_iteratorIjlEEPS9_SE_NS0_5tupleIJPjSE_EEENSF_IJSE_SE_EEES9_SG_JZNS1_25segmented_radix_sort_implINS0_14default_configELb1EPK12hip_bfloat16PSL_PKlPlN2at6native12_GLOBAL__N_18offset_tEEE10hipError_tPvRmT1_PNSt15iterator_traitsISZ_E10value_typeET2_T3_PNS10_IS15_E10value_typeET4_jRbjT5_S1B_jjP12ihipStream_tbEUljE_EEESW_SX_SY_S15_S19_S1B_T6_T7_T9_mT8_S1D_bDpT10_ENKUlT_T0_E_clISt17integral_constantIbLb0EES1P_IbLb1EEEEDaS1L_S1M_EUlS1L_E_NS1_11comp_targetILNS1_3genE9ELNS1_11target_archE1100ELNS1_3gpuE3ELNS1_3repE0EEENS1_30default_config_static_selectorELNS0_4arch9wavefront6targetE0EEEvSZ_
; %bb.0:
	.section	.rodata,"a",@progbits
	.p2align	6, 0x0
	.amdhsa_kernel _ZN7rocprim17ROCPRIM_400000_NS6detail17trampoline_kernelINS0_13select_configILj256ELj13ELNS0_17block_load_methodE3ELS4_3ELS4_3ELNS0_20block_scan_algorithmE0ELj4294967295EEENS1_25partition_config_selectorILNS1_17partition_subalgoE3EjNS0_10empty_typeEbEEZZNS1_14partition_implILS8_3ELb0ES6_jNS0_17counting_iteratorIjlEEPS9_SE_NS0_5tupleIJPjSE_EEENSF_IJSE_SE_EEES9_SG_JZNS1_25segmented_radix_sort_implINS0_14default_configELb1EPK12hip_bfloat16PSL_PKlPlN2at6native12_GLOBAL__N_18offset_tEEE10hipError_tPvRmT1_PNSt15iterator_traitsISZ_E10value_typeET2_T3_PNS10_IS15_E10value_typeET4_jRbjT5_S1B_jjP12ihipStream_tbEUljE_EEESW_SX_SY_S15_S19_S1B_T6_T7_T9_mT8_S1D_bDpT10_ENKUlT_T0_E_clISt17integral_constantIbLb0EES1P_IbLb1EEEEDaS1L_S1M_EUlS1L_E_NS1_11comp_targetILNS1_3genE9ELNS1_11target_archE1100ELNS1_3gpuE3ELNS1_3repE0EEENS1_30default_config_static_selectorELNS0_4arch9wavefront6targetE0EEEvSZ_
		.amdhsa_group_segment_fixed_size 0
		.amdhsa_private_segment_fixed_size 0
		.amdhsa_kernarg_size 152
		.amdhsa_user_sgpr_count 2
		.amdhsa_user_sgpr_dispatch_ptr 0
		.amdhsa_user_sgpr_queue_ptr 0
		.amdhsa_user_sgpr_kernarg_segment_ptr 1
		.amdhsa_user_sgpr_dispatch_id 0
		.amdhsa_user_sgpr_private_segment_size 0
		.amdhsa_wavefront_size32 1
		.amdhsa_uses_dynamic_stack 0
		.amdhsa_enable_private_segment 0
		.amdhsa_system_sgpr_workgroup_id_x 1
		.amdhsa_system_sgpr_workgroup_id_y 0
		.amdhsa_system_sgpr_workgroup_id_z 0
		.amdhsa_system_sgpr_workgroup_info 0
		.amdhsa_system_vgpr_workitem_id 0
		.amdhsa_next_free_vgpr 1
		.amdhsa_next_free_sgpr 1
		.amdhsa_reserve_vcc 0
		.amdhsa_float_round_mode_32 0
		.amdhsa_float_round_mode_16_64 0
		.amdhsa_float_denorm_mode_32 3
		.amdhsa_float_denorm_mode_16_64 3
		.amdhsa_fp16_overflow 0
		.amdhsa_workgroup_processor_mode 1
		.amdhsa_memory_ordered 1
		.amdhsa_forward_progress 1
		.amdhsa_inst_pref_size 0
		.amdhsa_round_robin_scheduling 0
		.amdhsa_exception_fp_ieee_invalid_op 0
		.amdhsa_exception_fp_denorm_src 0
		.amdhsa_exception_fp_ieee_div_zero 0
		.amdhsa_exception_fp_ieee_overflow 0
		.amdhsa_exception_fp_ieee_underflow 0
		.amdhsa_exception_fp_ieee_inexact 0
		.amdhsa_exception_int_div_zero 0
	.end_amdhsa_kernel
	.section	.text._ZN7rocprim17ROCPRIM_400000_NS6detail17trampoline_kernelINS0_13select_configILj256ELj13ELNS0_17block_load_methodE3ELS4_3ELS4_3ELNS0_20block_scan_algorithmE0ELj4294967295EEENS1_25partition_config_selectorILNS1_17partition_subalgoE3EjNS0_10empty_typeEbEEZZNS1_14partition_implILS8_3ELb0ES6_jNS0_17counting_iteratorIjlEEPS9_SE_NS0_5tupleIJPjSE_EEENSF_IJSE_SE_EEES9_SG_JZNS1_25segmented_radix_sort_implINS0_14default_configELb1EPK12hip_bfloat16PSL_PKlPlN2at6native12_GLOBAL__N_18offset_tEEE10hipError_tPvRmT1_PNSt15iterator_traitsISZ_E10value_typeET2_T3_PNS10_IS15_E10value_typeET4_jRbjT5_S1B_jjP12ihipStream_tbEUljE_EEESW_SX_SY_S15_S19_S1B_T6_T7_T9_mT8_S1D_bDpT10_ENKUlT_T0_E_clISt17integral_constantIbLb0EES1P_IbLb1EEEEDaS1L_S1M_EUlS1L_E_NS1_11comp_targetILNS1_3genE9ELNS1_11target_archE1100ELNS1_3gpuE3ELNS1_3repE0EEENS1_30default_config_static_selectorELNS0_4arch9wavefront6targetE0EEEvSZ_,"axG",@progbits,_ZN7rocprim17ROCPRIM_400000_NS6detail17trampoline_kernelINS0_13select_configILj256ELj13ELNS0_17block_load_methodE3ELS4_3ELS4_3ELNS0_20block_scan_algorithmE0ELj4294967295EEENS1_25partition_config_selectorILNS1_17partition_subalgoE3EjNS0_10empty_typeEbEEZZNS1_14partition_implILS8_3ELb0ES6_jNS0_17counting_iteratorIjlEEPS9_SE_NS0_5tupleIJPjSE_EEENSF_IJSE_SE_EEES9_SG_JZNS1_25segmented_radix_sort_implINS0_14default_configELb1EPK12hip_bfloat16PSL_PKlPlN2at6native12_GLOBAL__N_18offset_tEEE10hipError_tPvRmT1_PNSt15iterator_traitsISZ_E10value_typeET2_T3_PNS10_IS15_E10value_typeET4_jRbjT5_S1B_jjP12ihipStream_tbEUljE_EEESW_SX_SY_S15_S19_S1B_T6_T7_T9_mT8_S1D_bDpT10_ENKUlT_T0_E_clISt17integral_constantIbLb0EES1P_IbLb1EEEEDaS1L_S1M_EUlS1L_E_NS1_11comp_targetILNS1_3genE9ELNS1_11target_archE1100ELNS1_3gpuE3ELNS1_3repE0EEENS1_30default_config_static_selectorELNS0_4arch9wavefront6targetE0EEEvSZ_,comdat
.Lfunc_end1944:
	.size	_ZN7rocprim17ROCPRIM_400000_NS6detail17trampoline_kernelINS0_13select_configILj256ELj13ELNS0_17block_load_methodE3ELS4_3ELS4_3ELNS0_20block_scan_algorithmE0ELj4294967295EEENS1_25partition_config_selectorILNS1_17partition_subalgoE3EjNS0_10empty_typeEbEEZZNS1_14partition_implILS8_3ELb0ES6_jNS0_17counting_iteratorIjlEEPS9_SE_NS0_5tupleIJPjSE_EEENSF_IJSE_SE_EEES9_SG_JZNS1_25segmented_radix_sort_implINS0_14default_configELb1EPK12hip_bfloat16PSL_PKlPlN2at6native12_GLOBAL__N_18offset_tEEE10hipError_tPvRmT1_PNSt15iterator_traitsISZ_E10value_typeET2_T3_PNS10_IS15_E10value_typeET4_jRbjT5_S1B_jjP12ihipStream_tbEUljE_EEESW_SX_SY_S15_S19_S1B_T6_T7_T9_mT8_S1D_bDpT10_ENKUlT_T0_E_clISt17integral_constantIbLb0EES1P_IbLb1EEEEDaS1L_S1M_EUlS1L_E_NS1_11comp_targetILNS1_3genE9ELNS1_11target_archE1100ELNS1_3gpuE3ELNS1_3repE0EEENS1_30default_config_static_selectorELNS0_4arch9wavefront6targetE0EEEvSZ_, .Lfunc_end1944-_ZN7rocprim17ROCPRIM_400000_NS6detail17trampoline_kernelINS0_13select_configILj256ELj13ELNS0_17block_load_methodE3ELS4_3ELS4_3ELNS0_20block_scan_algorithmE0ELj4294967295EEENS1_25partition_config_selectorILNS1_17partition_subalgoE3EjNS0_10empty_typeEbEEZZNS1_14partition_implILS8_3ELb0ES6_jNS0_17counting_iteratorIjlEEPS9_SE_NS0_5tupleIJPjSE_EEENSF_IJSE_SE_EEES9_SG_JZNS1_25segmented_radix_sort_implINS0_14default_configELb1EPK12hip_bfloat16PSL_PKlPlN2at6native12_GLOBAL__N_18offset_tEEE10hipError_tPvRmT1_PNSt15iterator_traitsISZ_E10value_typeET2_T3_PNS10_IS15_E10value_typeET4_jRbjT5_S1B_jjP12ihipStream_tbEUljE_EEESW_SX_SY_S15_S19_S1B_T6_T7_T9_mT8_S1D_bDpT10_ENKUlT_T0_E_clISt17integral_constantIbLb0EES1P_IbLb1EEEEDaS1L_S1M_EUlS1L_E_NS1_11comp_targetILNS1_3genE9ELNS1_11target_archE1100ELNS1_3gpuE3ELNS1_3repE0EEENS1_30default_config_static_selectorELNS0_4arch9wavefront6targetE0EEEvSZ_
                                        ; -- End function
	.set _ZN7rocprim17ROCPRIM_400000_NS6detail17trampoline_kernelINS0_13select_configILj256ELj13ELNS0_17block_load_methodE3ELS4_3ELS4_3ELNS0_20block_scan_algorithmE0ELj4294967295EEENS1_25partition_config_selectorILNS1_17partition_subalgoE3EjNS0_10empty_typeEbEEZZNS1_14partition_implILS8_3ELb0ES6_jNS0_17counting_iteratorIjlEEPS9_SE_NS0_5tupleIJPjSE_EEENSF_IJSE_SE_EEES9_SG_JZNS1_25segmented_radix_sort_implINS0_14default_configELb1EPK12hip_bfloat16PSL_PKlPlN2at6native12_GLOBAL__N_18offset_tEEE10hipError_tPvRmT1_PNSt15iterator_traitsISZ_E10value_typeET2_T3_PNS10_IS15_E10value_typeET4_jRbjT5_S1B_jjP12ihipStream_tbEUljE_EEESW_SX_SY_S15_S19_S1B_T6_T7_T9_mT8_S1D_bDpT10_ENKUlT_T0_E_clISt17integral_constantIbLb0EES1P_IbLb1EEEEDaS1L_S1M_EUlS1L_E_NS1_11comp_targetILNS1_3genE9ELNS1_11target_archE1100ELNS1_3gpuE3ELNS1_3repE0EEENS1_30default_config_static_selectorELNS0_4arch9wavefront6targetE0EEEvSZ_.num_vgpr, 0
	.set _ZN7rocprim17ROCPRIM_400000_NS6detail17trampoline_kernelINS0_13select_configILj256ELj13ELNS0_17block_load_methodE3ELS4_3ELS4_3ELNS0_20block_scan_algorithmE0ELj4294967295EEENS1_25partition_config_selectorILNS1_17partition_subalgoE3EjNS0_10empty_typeEbEEZZNS1_14partition_implILS8_3ELb0ES6_jNS0_17counting_iteratorIjlEEPS9_SE_NS0_5tupleIJPjSE_EEENSF_IJSE_SE_EEES9_SG_JZNS1_25segmented_radix_sort_implINS0_14default_configELb1EPK12hip_bfloat16PSL_PKlPlN2at6native12_GLOBAL__N_18offset_tEEE10hipError_tPvRmT1_PNSt15iterator_traitsISZ_E10value_typeET2_T3_PNS10_IS15_E10value_typeET4_jRbjT5_S1B_jjP12ihipStream_tbEUljE_EEESW_SX_SY_S15_S19_S1B_T6_T7_T9_mT8_S1D_bDpT10_ENKUlT_T0_E_clISt17integral_constantIbLb0EES1P_IbLb1EEEEDaS1L_S1M_EUlS1L_E_NS1_11comp_targetILNS1_3genE9ELNS1_11target_archE1100ELNS1_3gpuE3ELNS1_3repE0EEENS1_30default_config_static_selectorELNS0_4arch9wavefront6targetE0EEEvSZ_.num_agpr, 0
	.set _ZN7rocprim17ROCPRIM_400000_NS6detail17trampoline_kernelINS0_13select_configILj256ELj13ELNS0_17block_load_methodE3ELS4_3ELS4_3ELNS0_20block_scan_algorithmE0ELj4294967295EEENS1_25partition_config_selectorILNS1_17partition_subalgoE3EjNS0_10empty_typeEbEEZZNS1_14partition_implILS8_3ELb0ES6_jNS0_17counting_iteratorIjlEEPS9_SE_NS0_5tupleIJPjSE_EEENSF_IJSE_SE_EEES9_SG_JZNS1_25segmented_radix_sort_implINS0_14default_configELb1EPK12hip_bfloat16PSL_PKlPlN2at6native12_GLOBAL__N_18offset_tEEE10hipError_tPvRmT1_PNSt15iterator_traitsISZ_E10value_typeET2_T3_PNS10_IS15_E10value_typeET4_jRbjT5_S1B_jjP12ihipStream_tbEUljE_EEESW_SX_SY_S15_S19_S1B_T6_T7_T9_mT8_S1D_bDpT10_ENKUlT_T0_E_clISt17integral_constantIbLb0EES1P_IbLb1EEEEDaS1L_S1M_EUlS1L_E_NS1_11comp_targetILNS1_3genE9ELNS1_11target_archE1100ELNS1_3gpuE3ELNS1_3repE0EEENS1_30default_config_static_selectorELNS0_4arch9wavefront6targetE0EEEvSZ_.numbered_sgpr, 0
	.set _ZN7rocprim17ROCPRIM_400000_NS6detail17trampoline_kernelINS0_13select_configILj256ELj13ELNS0_17block_load_methodE3ELS4_3ELS4_3ELNS0_20block_scan_algorithmE0ELj4294967295EEENS1_25partition_config_selectorILNS1_17partition_subalgoE3EjNS0_10empty_typeEbEEZZNS1_14partition_implILS8_3ELb0ES6_jNS0_17counting_iteratorIjlEEPS9_SE_NS0_5tupleIJPjSE_EEENSF_IJSE_SE_EEES9_SG_JZNS1_25segmented_radix_sort_implINS0_14default_configELb1EPK12hip_bfloat16PSL_PKlPlN2at6native12_GLOBAL__N_18offset_tEEE10hipError_tPvRmT1_PNSt15iterator_traitsISZ_E10value_typeET2_T3_PNS10_IS15_E10value_typeET4_jRbjT5_S1B_jjP12ihipStream_tbEUljE_EEESW_SX_SY_S15_S19_S1B_T6_T7_T9_mT8_S1D_bDpT10_ENKUlT_T0_E_clISt17integral_constantIbLb0EES1P_IbLb1EEEEDaS1L_S1M_EUlS1L_E_NS1_11comp_targetILNS1_3genE9ELNS1_11target_archE1100ELNS1_3gpuE3ELNS1_3repE0EEENS1_30default_config_static_selectorELNS0_4arch9wavefront6targetE0EEEvSZ_.num_named_barrier, 0
	.set _ZN7rocprim17ROCPRIM_400000_NS6detail17trampoline_kernelINS0_13select_configILj256ELj13ELNS0_17block_load_methodE3ELS4_3ELS4_3ELNS0_20block_scan_algorithmE0ELj4294967295EEENS1_25partition_config_selectorILNS1_17partition_subalgoE3EjNS0_10empty_typeEbEEZZNS1_14partition_implILS8_3ELb0ES6_jNS0_17counting_iteratorIjlEEPS9_SE_NS0_5tupleIJPjSE_EEENSF_IJSE_SE_EEES9_SG_JZNS1_25segmented_radix_sort_implINS0_14default_configELb1EPK12hip_bfloat16PSL_PKlPlN2at6native12_GLOBAL__N_18offset_tEEE10hipError_tPvRmT1_PNSt15iterator_traitsISZ_E10value_typeET2_T3_PNS10_IS15_E10value_typeET4_jRbjT5_S1B_jjP12ihipStream_tbEUljE_EEESW_SX_SY_S15_S19_S1B_T6_T7_T9_mT8_S1D_bDpT10_ENKUlT_T0_E_clISt17integral_constantIbLb0EES1P_IbLb1EEEEDaS1L_S1M_EUlS1L_E_NS1_11comp_targetILNS1_3genE9ELNS1_11target_archE1100ELNS1_3gpuE3ELNS1_3repE0EEENS1_30default_config_static_selectorELNS0_4arch9wavefront6targetE0EEEvSZ_.private_seg_size, 0
	.set _ZN7rocprim17ROCPRIM_400000_NS6detail17trampoline_kernelINS0_13select_configILj256ELj13ELNS0_17block_load_methodE3ELS4_3ELS4_3ELNS0_20block_scan_algorithmE0ELj4294967295EEENS1_25partition_config_selectorILNS1_17partition_subalgoE3EjNS0_10empty_typeEbEEZZNS1_14partition_implILS8_3ELb0ES6_jNS0_17counting_iteratorIjlEEPS9_SE_NS0_5tupleIJPjSE_EEENSF_IJSE_SE_EEES9_SG_JZNS1_25segmented_radix_sort_implINS0_14default_configELb1EPK12hip_bfloat16PSL_PKlPlN2at6native12_GLOBAL__N_18offset_tEEE10hipError_tPvRmT1_PNSt15iterator_traitsISZ_E10value_typeET2_T3_PNS10_IS15_E10value_typeET4_jRbjT5_S1B_jjP12ihipStream_tbEUljE_EEESW_SX_SY_S15_S19_S1B_T6_T7_T9_mT8_S1D_bDpT10_ENKUlT_T0_E_clISt17integral_constantIbLb0EES1P_IbLb1EEEEDaS1L_S1M_EUlS1L_E_NS1_11comp_targetILNS1_3genE9ELNS1_11target_archE1100ELNS1_3gpuE3ELNS1_3repE0EEENS1_30default_config_static_selectorELNS0_4arch9wavefront6targetE0EEEvSZ_.uses_vcc, 0
	.set _ZN7rocprim17ROCPRIM_400000_NS6detail17trampoline_kernelINS0_13select_configILj256ELj13ELNS0_17block_load_methodE3ELS4_3ELS4_3ELNS0_20block_scan_algorithmE0ELj4294967295EEENS1_25partition_config_selectorILNS1_17partition_subalgoE3EjNS0_10empty_typeEbEEZZNS1_14partition_implILS8_3ELb0ES6_jNS0_17counting_iteratorIjlEEPS9_SE_NS0_5tupleIJPjSE_EEENSF_IJSE_SE_EEES9_SG_JZNS1_25segmented_radix_sort_implINS0_14default_configELb1EPK12hip_bfloat16PSL_PKlPlN2at6native12_GLOBAL__N_18offset_tEEE10hipError_tPvRmT1_PNSt15iterator_traitsISZ_E10value_typeET2_T3_PNS10_IS15_E10value_typeET4_jRbjT5_S1B_jjP12ihipStream_tbEUljE_EEESW_SX_SY_S15_S19_S1B_T6_T7_T9_mT8_S1D_bDpT10_ENKUlT_T0_E_clISt17integral_constantIbLb0EES1P_IbLb1EEEEDaS1L_S1M_EUlS1L_E_NS1_11comp_targetILNS1_3genE9ELNS1_11target_archE1100ELNS1_3gpuE3ELNS1_3repE0EEENS1_30default_config_static_selectorELNS0_4arch9wavefront6targetE0EEEvSZ_.uses_flat_scratch, 0
	.set _ZN7rocprim17ROCPRIM_400000_NS6detail17trampoline_kernelINS0_13select_configILj256ELj13ELNS0_17block_load_methodE3ELS4_3ELS4_3ELNS0_20block_scan_algorithmE0ELj4294967295EEENS1_25partition_config_selectorILNS1_17partition_subalgoE3EjNS0_10empty_typeEbEEZZNS1_14partition_implILS8_3ELb0ES6_jNS0_17counting_iteratorIjlEEPS9_SE_NS0_5tupleIJPjSE_EEENSF_IJSE_SE_EEES9_SG_JZNS1_25segmented_radix_sort_implINS0_14default_configELb1EPK12hip_bfloat16PSL_PKlPlN2at6native12_GLOBAL__N_18offset_tEEE10hipError_tPvRmT1_PNSt15iterator_traitsISZ_E10value_typeET2_T3_PNS10_IS15_E10value_typeET4_jRbjT5_S1B_jjP12ihipStream_tbEUljE_EEESW_SX_SY_S15_S19_S1B_T6_T7_T9_mT8_S1D_bDpT10_ENKUlT_T0_E_clISt17integral_constantIbLb0EES1P_IbLb1EEEEDaS1L_S1M_EUlS1L_E_NS1_11comp_targetILNS1_3genE9ELNS1_11target_archE1100ELNS1_3gpuE3ELNS1_3repE0EEENS1_30default_config_static_selectorELNS0_4arch9wavefront6targetE0EEEvSZ_.has_dyn_sized_stack, 0
	.set _ZN7rocprim17ROCPRIM_400000_NS6detail17trampoline_kernelINS0_13select_configILj256ELj13ELNS0_17block_load_methodE3ELS4_3ELS4_3ELNS0_20block_scan_algorithmE0ELj4294967295EEENS1_25partition_config_selectorILNS1_17partition_subalgoE3EjNS0_10empty_typeEbEEZZNS1_14partition_implILS8_3ELb0ES6_jNS0_17counting_iteratorIjlEEPS9_SE_NS0_5tupleIJPjSE_EEENSF_IJSE_SE_EEES9_SG_JZNS1_25segmented_radix_sort_implINS0_14default_configELb1EPK12hip_bfloat16PSL_PKlPlN2at6native12_GLOBAL__N_18offset_tEEE10hipError_tPvRmT1_PNSt15iterator_traitsISZ_E10value_typeET2_T3_PNS10_IS15_E10value_typeET4_jRbjT5_S1B_jjP12ihipStream_tbEUljE_EEESW_SX_SY_S15_S19_S1B_T6_T7_T9_mT8_S1D_bDpT10_ENKUlT_T0_E_clISt17integral_constantIbLb0EES1P_IbLb1EEEEDaS1L_S1M_EUlS1L_E_NS1_11comp_targetILNS1_3genE9ELNS1_11target_archE1100ELNS1_3gpuE3ELNS1_3repE0EEENS1_30default_config_static_selectorELNS0_4arch9wavefront6targetE0EEEvSZ_.has_recursion, 0
	.set _ZN7rocprim17ROCPRIM_400000_NS6detail17trampoline_kernelINS0_13select_configILj256ELj13ELNS0_17block_load_methodE3ELS4_3ELS4_3ELNS0_20block_scan_algorithmE0ELj4294967295EEENS1_25partition_config_selectorILNS1_17partition_subalgoE3EjNS0_10empty_typeEbEEZZNS1_14partition_implILS8_3ELb0ES6_jNS0_17counting_iteratorIjlEEPS9_SE_NS0_5tupleIJPjSE_EEENSF_IJSE_SE_EEES9_SG_JZNS1_25segmented_radix_sort_implINS0_14default_configELb1EPK12hip_bfloat16PSL_PKlPlN2at6native12_GLOBAL__N_18offset_tEEE10hipError_tPvRmT1_PNSt15iterator_traitsISZ_E10value_typeET2_T3_PNS10_IS15_E10value_typeET4_jRbjT5_S1B_jjP12ihipStream_tbEUljE_EEESW_SX_SY_S15_S19_S1B_T6_T7_T9_mT8_S1D_bDpT10_ENKUlT_T0_E_clISt17integral_constantIbLb0EES1P_IbLb1EEEEDaS1L_S1M_EUlS1L_E_NS1_11comp_targetILNS1_3genE9ELNS1_11target_archE1100ELNS1_3gpuE3ELNS1_3repE0EEENS1_30default_config_static_selectorELNS0_4arch9wavefront6targetE0EEEvSZ_.has_indirect_call, 0
	.section	.AMDGPU.csdata,"",@progbits
; Kernel info:
; codeLenInByte = 0
; TotalNumSgprs: 0
; NumVgprs: 0
; ScratchSize: 0
; MemoryBound: 0
; FloatMode: 240
; IeeeMode: 1
; LDSByteSize: 0 bytes/workgroup (compile time only)
; SGPRBlocks: 0
; VGPRBlocks: 0
; NumSGPRsForWavesPerEU: 1
; NumVGPRsForWavesPerEU: 1
; Occupancy: 16
; WaveLimiterHint : 0
; COMPUTE_PGM_RSRC2:SCRATCH_EN: 0
; COMPUTE_PGM_RSRC2:USER_SGPR: 2
; COMPUTE_PGM_RSRC2:TRAP_HANDLER: 0
; COMPUTE_PGM_RSRC2:TGID_X_EN: 1
; COMPUTE_PGM_RSRC2:TGID_Y_EN: 0
; COMPUTE_PGM_RSRC2:TGID_Z_EN: 0
; COMPUTE_PGM_RSRC2:TIDIG_COMP_CNT: 0
	.section	.text._ZN7rocprim17ROCPRIM_400000_NS6detail17trampoline_kernelINS0_13select_configILj256ELj13ELNS0_17block_load_methodE3ELS4_3ELS4_3ELNS0_20block_scan_algorithmE0ELj4294967295EEENS1_25partition_config_selectorILNS1_17partition_subalgoE3EjNS0_10empty_typeEbEEZZNS1_14partition_implILS8_3ELb0ES6_jNS0_17counting_iteratorIjlEEPS9_SE_NS0_5tupleIJPjSE_EEENSF_IJSE_SE_EEES9_SG_JZNS1_25segmented_radix_sort_implINS0_14default_configELb1EPK12hip_bfloat16PSL_PKlPlN2at6native12_GLOBAL__N_18offset_tEEE10hipError_tPvRmT1_PNSt15iterator_traitsISZ_E10value_typeET2_T3_PNS10_IS15_E10value_typeET4_jRbjT5_S1B_jjP12ihipStream_tbEUljE_EEESW_SX_SY_S15_S19_S1B_T6_T7_T9_mT8_S1D_bDpT10_ENKUlT_T0_E_clISt17integral_constantIbLb0EES1P_IbLb1EEEEDaS1L_S1M_EUlS1L_E_NS1_11comp_targetILNS1_3genE8ELNS1_11target_archE1030ELNS1_3gpuE2ELNS1_3repE0EEENS1_30default_config_static_selectorELNS0_4arch9wavefront6targetE0EEEvSZ_,"axG",@progbits,_ZN7rocprim17ROCPRIM_400000_NS6detail17trampoline_kernelINS0_13select_configILj256ELj13ELNS0_17block_load_methodE3ELS4_3ELS4_3ELNS0_20block_scan_algorithmE0ELj4294967295EEENS1_25partition_config_selectorILNS1_17partition_subalgoE3EjNS0_10empty_typeEbEEZZNS1_14partition_implILS8_3ELb0ES6_jNS0_17counting_iteratorIjlEEPS9_SE_NS0_5tupleIJPjSE_EEENSF_IJSE_SE_EEES9_SG_JZNS1_25segmented_radix_sort_implINS0_14default_configELb1EPK12hip_bfloat16PSL_PKlPlN2at6native12_GLOBAL__N_18offset_tEEE10hipError_tPvRmT1_PNSt15iterator_traitsISZ_E10value_typeET2_T3_PNS10_IS15_E10value_typeET4_jRbjT5_S1B_jjP12ihipStream_tbEUljE_EEESW_SX_SY_S15_S19_S1B_T6_T7_T9_mT8_S1D_bDpT10_ENKUlT_T0_E_clISt17integral_constantIbLb0EES1P_IbLb1EEEEDaS1L_S1M_EUlS1L_E_NS1_11comp_targetILNS1_3genE8ELNS1_11target_archE1030ELNS1_3gpuE2ELNS1_3repE0EEENS1_30default_config_static_selectorELNS0_4arch9wavefront6targetE0EEEvSZ_,comdat
	.globl	_ZN7rocprim17ROCPRIM_400000_NS6detail17trampoline_kernelINS0_13select_configILj256ELj13ELNS0_17block_load_methodE3ELS4_3ELS4_3ELNS0_20block_scan_algorithmE0ELj4294967295EEENS1_25partition_config_selectorILNS1_17partition_subalgoE3EjNS0_10empty_typeEbEEZZNS1_14partition_implILS8_3ELb0ES6_jNS0_17counting_iteratorIjlEEPS9_SE_NS0_5tupleIJPjSE_EEENSF_IJSE_SE_EEES9_SG_JZNS1_25segmented_radix_sort_implINS0_14default_configELb1EPK12hip_bfloat16PSL_PKlPlN2at6native12_GLOBAL__N_18offset_tEEE10hipError_tPvRmT1_PNSt15iterator_traitsISZ_E10value_typeET2_T3_PNS10_IS15_E10value_typeET4_jRbjT5_S1B_jjP12ihipStream_tbEUljE_EEESW_SX_SY_S15_S19_S1B_T6_T7_T9_mT8_S1D_bDpT10_ENKUlT_T0_E_clISt17integral_constantIbLb0EES1P_IbLb1EEEEDaS1L_S1M_EUlS1L_E_NS1_11comp_targetILNS1_3genE8ELNS1_11target_archE1030ELNS1_3gpuE2ELNS1_3repE0EEENS1_30default_config_static_selectorELNS0_4arch9wavefront6targetE0EEEvSZ_ ; -- Begin function _ZN7rocprim17ROCPRIM_400000_NS6detail17trampoline_kernelINS0_13select_configILj256ELj13ELNS0_17block_load_methodE3ELS4_3ELS4_3ELNS0_20block_scan_algorithmE0ELj4294967295EEENS1_25partition_config_selectorILNS1_17partition_subalgoE3EjNS0_10empty_typeEbEEZZNS1_14partition_implILS8_3ELb0ES6_jNS0_17counting_iteratorIjlEEPS9_SE_NS0_5tupleIJPjSE_EEENSF_IJSE_SE_EEES9_SG_JZNS1_25segmented_radix_sort_implINS0_14default_configELb1EPK12hip_bfloat16PSL_PKlPlN2at6native12_GLOBAL__N_18offset_tEEE10hipError_tPvRmT1_PNSt15iterator_traitsISZ_E10value_typeET2_T3_PNS10_IS15_E10value_typeET4_jRbjT5_S1B_jjP12ihipStream_tbEUljE_EEESW_SX_SY_S15_S19_S1B_T6_T7_T9_mT8_S1D_bDpT10_ENKUlT_T0_E_clISt17integral_constantIbLb0EES1P_IbLb1EEEEDaS1L_S1M_EUlS1L_E_NS1_11comp_targetILNS1_3genE8ELNS1_11target_archE1030ELNS1_3gpuE2ELNS1_3repE0EEENS1_30default_config_static_selectorELNS0_4arch9wavefront6targetE0EEEvSZ_
	.p2align	8
	.type	_ZN7rocprim17ROCPRIM_400000_NS6detail17trampoline_kernelINS0_13select_configILj256ELj13ELNS0_17block_load_methodE3ELS4_3ELS4_3ELNS0_20block_scan_algorithmE0ELj4294967295EEENS1_25partition_config_selectorILNS1_17partition_subalgoE3EjNS0_10empty_typeEbEEZZNS1_14partition_implILS8_3ELb0ES6_jNS0_17counting_iteratorIjlEEPS9_SE_NS0_5tupleIJPjSE_EEENSF_IJSE_SE_EEES9_SG_JZNS1_25segmented_radix_sort_implINS0_14default_configELb1EPK12hip_bfloat16PSL_PKlPlN2at6native12_GLOBAL__N_18offset_tEEE10hipError_tPvRmT1_PNSt15iterator_traitsISZ_E10value_typeET2_T3_PNS10_IS15_E10value_typeET4_jRbjT5_S1B_jjP12ihipStream_tbEUljE_EEESW_SX_SY_S15_S19_S1B_T6_T7_T9_mT8_S1D_bDpT10_ENKUlT_T0_E_clISt17integral_constantIbLb0EES1P_IbLb1EEEEDaS1L_S1M_EUlS1L_E_NS1_11comp_targetILNS1_3genE8ELNS1_11target_archE1030ELNS1_3gpuE2ELNS1_3repE0EEENS1_30default_config_static_selectorELNS0_4arch9wavefront6targetE0EEEvSZ_,@function
_ZN7rocprim17ROCPRIM_400000_NS6detail17trampoline_kernelINS0_13select_configILj256ELj13ELNS0_17block_load_methodE3ELS4_3ELS4_3ELNS0_20block_scan_algorithmE0ELj4294967295EEENS1_25partition_config_selectorILNS1_17partition_subalgoE3EjNS0_10empty_typeEbEEZZNS1_14partition_implILS8_3ELb0ES6_jNS0_17counting_iteratorIjlEEPS9_SE_NS0_5tupleIJPjSE_EEENSF_IJSE_SE_EEES9_SG_JZNS1_25segmented_radix_sort_implINS0_14default_configELb1EPK12hip_bfloat16PSL_PKlPlN2at6native12_GLOBAL__N_18offset_tEEE10hipError_tPvRmT1_PNSt15iterator_traitsISZ_E10value_typeET2_T3_PNS10_IS15_E10value_typeET4_jRbjT5_S1B_jjP12ihipStream_tbEUljE_EEESW_SX_SY_S15_S19_S1B_T6_T7_T9_mT8_S1D_bDpT10_ENKUlT_T0_E_clISt17integral_constantIbLb0EES1P_IbLb1EEEEDaS1L_S1M_EUlS1L_E_NS1_11comp_targetILNS1_3genE8ELNS1_11target_archE1030ELNS1_3gpuE2ELNS1_3repE0EEENS1_30default_config_static_selectorELNS0_4arch9wavefront6targetE0EEEvSZ_: ; @_ZN7rocprim17ROCPRIM_400000_NS6detail17trampoline_kernelINS0_13select_configILj256ELj13ELNS0_17block_load_methodE3ELS4_3ELS4_3ELNS0_20block_scan_algorithmE0ELj4294967295EEENS1_25partition_config_selectorILNS1_17partition_subalgoE3EjNS0_10empty_typeEbEEZZNS1_14partition_implILS8_3ELb0ES6_jNS0_17counting_iteratorIjlEEPS9_SE_NS0_5tupleIJPjSE_EEENSF_IJSE_SE_EEES9_SG_JZNS1_25segmented_radix_sort_implINS0_14default_configELb1EPK12hip_bfloat16PSL_PKlPlN2at6native12_GLOBAL__N_18offset_tEEE10hipError_tPvRmT1_PNSt15iterator_traitsISZ_E10value_typeET2_T3_PNS10_IS15_E10value_typeET4_jRbjT5_S1B_jjP12ihipStream_tbEUljE_EEESW_SX_SY_S15_S19_S1B_T6_T7_T9_mT8_S1D_bDpT10_ENKUlT_T0_E_clISt17integral_constantIbLb0EES1P_IbLb1EEEEDaS1L_S1M_EUlS1L_E_NS1_11comp_targetILNS1_3genE8ELNS1_11target_archE1030ELNS1_3gpuE2ELNS1_3repE0EEENS1_30default_config_static_selectorELNS0_4arch9wavefront6targetE0EEEvSZ_
; %bb.0:
	.section	.rodata,"a",@progbits
	.p2align	6, 0x0
	.amdhsa_kernel _ZN7rocprim17ROCPRIM_400000_NS6detail17trampoline_kernelINS0_13select_configILj256ELj13ELNS0_17block_load_methodE3ELS4_3ELS4_3ELNS0_20block_scan_algorithmE0ELj4294967295EEENS1_25partition_config_selectorILNS1_17partition_subalgoE3EjNS0_10empty_typeEbEEZZNS1_14partition_implILS8_3ELb0ES6_jNS0_17counting_iteratorIjlEEPS9_SE_NS0_5tupleIJPjSE_EEENSF_IJSE_SE_EEES9_SG_JZNS1_25segmented_radix_sort_implINS0_14default_configELb1EPK12hip_bfloat16PSL_PKlPlN2at6native12_GLOBAL__N_18offset_tEEE10hipError_tPvRmT1_PNSt15iterator_traitsISZ_E10value_typeET2_T3_PNS10_IS15_E10value_typeET4_jRbjT5_S1B_jjP12ihipStream_tbEUljE_EEESW_SX_SY_S15_S19_S1B_T6_T7_T9_mT8_S1D_bDpT10_ENKUlT_T0_E_clISt17integral_constantIbLb0EES1P_IbLb1EEEEDaS1L_S1M_EUlS1L_E_NS1_11comp_targetILNS1_3genE8ELNS1_11target_archE1030ELNS1_3gpuE2ELNS1_3repE0EEENS1_30default_config_static_selectorELNS0_4arch9wavefront6targetE0EEEvSZ_
		.amdhsa_group_segment_fixed_size 0
		.amdhsa_private_segment_fixed_size 0
		.amdhsa_kernarg_size 152
		.amdhsa_user_sgpr_count 2
		.amdhsa_user_sgpr_dispatch_ptr 0
		.amdhsa_user_sgpr_queue_ptr 0
		.amdhsa_user_sgpr_kernarg_segment_ptr 1
		.amdhsa_user_sgpr_dispatch_id 0
		.amdhsa_user_sgpr_private_segment_size 0
		.amdhsa_wavefront_size32 1
		.amdhsa_uses_dynamic_stack 0
		.amdhsa_enable_private_segment 0
		.amdhsa_system_sgpr_workgroup_id_x 1
		.amdhsa_system_sgpr_workgroup_id_y 0
		.amdhsa_system_sgpr_workgroup_id_z 0
		.amdhsa_system_sgpr_workgroup_info 0
		.amdhsa_system_vgpr_workitem_id 0
		.amdhsa_next_free_vgpr 1
		.amdhsa_next_free_sgpr 1
		.amdhsa_reserve_vcc 0
		.amdhsa_float_round_mode_32 0
		.amdhsa_float_round_mode_16_64 0
		.amdhsa_float_denorm_mode_32 3
		.amdhsa_float_denorm_mode_16_64 3
		.amdhsa_fp16_overflow 0
		.amdhsa_workgroup_processor_mode 1
		.amdhsa_memory_ordered 1
		.amdhsa_forward_progress 1
		.amdhsa_inst_pref_size 0
		.amdhsa_round_robin_scheduling 0
		.amdhsa_exception_fp_ieee_invalid_op 0
		.amdhsa_exception_fp_denorm_src 0
		.amdhsa_exception_fp_ieee_div_zero 0
		.amdhsa_exception_fp_ieee_overflow 0
		.amdhsa_exception_fp_ieee_underflow 0
		.amdhsa_exception_fp_ieee_inexact 0
		.amdhsa_exception_int_div_zero 0
	.end_amdhsa_kernel
	.section	.text._ZN7rocprim17ROCPRIM_400000_NS6detail17trampoline_kernelINS0_13select_configILj256ELj13ELNS0_17block_load_methodE3ELS4_3ELS4_3ELNS0_20block_scan_algorithmE0ELj4294967295EEENS1_25partition_config_selectorILNS1_17partition_subalgoE3EjNS0_10empty_typeEbEEZZNS1_14partition_implILS8_3ELb0ES6_jNS0_17counting_iteratorIjlEEPS9_SE_NS0_5tupleIJPjSE_EEENSF_IJSE_SE_EEES9_SG_JZNS1_25segmented_radix_sort_implINS0_14default_configELb1EPK12hip_bfloat16PSL_PKlPlN2at6native12_GLOBAL__N_18offset_tEEE10hipError_tPvRmT1_PNSt15iterator_traitsISZ_E10value_typeET2_T3_PNS10_IS15_E10value_typeET4_jRbjT5_S1B_jjP12ihipStream_tbEUljE_EEESW_SX_SY_S15_S19_S1B_T6_T7_T9_mT8_S1D_bDpT10_ENKUlT_T0_E_clISt17integral_constantIbLb0EES1P_IbLb1EEEEDaS1L_S1M_EUlS1L_E_NS1_11comp_targetILNS1_3genE8ELNS1_11target_archE1030ELNS1_3gpuE2ELNS1_3repE0EEENS1_30default_config_static_selectorELNS0_4arch9wavefront6targetE0EEEvSZ_,"axG",@progbits,_ZN7rocprim17ROCPRIM_400000_NS6detail17trampoline_kernelINS0_13select_configILj256ELj13ELNS0_17block_load_methodE3ELS4_3ELS4_3ELNS0_20block_scan_algorithmE0ELj4294967295EEENS1_25partition_config_selectorILNS1_17partition_subalgoE3EjNS0_10empty_typeEbEEZZNS1_14partition_implILS8_3ELb0ES6_jNS0_17counting_iteratorIjlEEPS9_SE_NS0_5tupleIJPjSE_EEENSF_IJSE_SE_EEES9_SG_JZNS1_25segmented_radix_sort_implINS0_14default_configELb1EPK12hip_bfloat16PSL_PKlPlN2at6native12_GLOBAL__N_18offset_tEEE10hipError_tPvRmT1_PNSt15iterator_traitsISZ_E10value_typeET2_T3_PNS10_IS15_E10value_typeET4_jRbjT5_S1B_jjP12ihipStream_tbEUljE_EEESW_SX_SY_S15_S19_S1B_T6_T7_T9_mT8_S1D_bDpT10_ENKUlT_T0_E_clISt17integral_constantIbLb0EES1P_IbLb1EEEEDaS1L_S1M_EUlS1L_E_NS1_11comp_targetILNS1_3genE8ELNS1_11target_archE1030ELNS1_3gpuE2ELNS1_3repE0EEENS1_30default_config_static_selectorELNS0_4arch9wavefront6targetE0EEEvSZ_,comdat
.Lfunc_end1945:
	.size	_ZN7rocprim17ROCPRIM_400000_NS6detail17trampoline_kernelINS0_13select_configILj256ELj13ELNS0_17block_load_methodE3ELS4_3ELS4_3ELNS0_20block_scan_algorithmE0ELj4294967295EEENS1_25partition_config_selectorILNS1_17partition_subalgoE3EjNS0_10empty_typeEbEEZZNS1_14partition_implILS8_3ELb0ES6_jNS0_17counting_iteratorIjlEEPS9_SE_NS0_5tupleIJPjSE_EEENSF_IJSE_SE_EEES9_SG_JZNS1_25segmented_radix_sort_implINS0_14default_configELb1EPK12hip_bfloat16PSL_PKlPlN2at6native12_GLOBAL__N_18offset_tEEE10hipError_tPvRmT1_PNSt15iterator_traitsISZ_E10value_typeET2_T3_PNS10_IS15_E10value_typeET4_jRbjT5_S1B_jjP12ihipStream_tbEUljE_EEESW_SX_SY_S15_S19_S1B_T6_T7_T9_mT8_S1D_bDpT10_ENKUlT_T0_E_clISt17integral_constantIbLb0EES1P_IbLb1EEEEDaS1L_S1M_EUlS1L_E_NS1_11comp_targetILNS1_3genE8ELNS1_11target_archE1030ELNS1_3gpuE2ELNS1_3repE0EEENS1_30default_config_static_selectorELNS0_4arch9wavefront6targetE0EEEvSZ_, .Lfunc_end1945-_ZN7rocprim17ROCPRIM_400000_NS6detail17trampoline_kernelINS0_13select_configILj256ELj13ELNS0_17block_load_methodE3ELS4_3ELS4_3ELNS0_20block_scan_algorithmE0ELj4294967295EEENS1_25partition_config_selectorILNS1_17partition_subalgoE3EjNS0_10empty_typeEbEEZZNS1_14partition_implILS8_3ELb0ES6_jNS0_17counting_iteratorIjlEEPS9_SE_NS0_5tupleIJPjSE_EEENSF_IJSE_SE_EEES9_SG_JZNS1_25segmented_radix_sort_implINS0_14default_configELb1EPK12hip_bfloat16PSL_PKlPlN2at6native12_GLOBAL__N_18offset_tEEE10hipError_tPvRmT1_PNSt15iterator_traitsISZ_E10value_typeET2_T3_PNS10_IS15_E10value_typeET4_jRbjT5_S1B_jjP12ihipStream_tbEUljE_EEESW_SX_SY_S15_S19_S1B_T6_T7_T9_mT8_S1D_bDpT10_ENKUlT_T0_E_clISt17integral_constantIbLb0EES1P_IbLb1EEEEDaS1L_S1M_EUlS1L_E_NS1_11comp_targetILNS1_3genE8ELNS1_11target_archE1030ELNS1_3gpuE2ELNS1_3repE0EEENS1_30default_config_static_selectorELNS0_4arch9wavefront6targetE0EEEvSZ_
                                        ; -- End function
	.set _ZN7rocprim17ROCPRIM_400000_NS6detail17trampoline_kernelINS0_13select_configILj256ELj13ELNS0_17block_load_methodE3ELS4_3ELS4_3ELNS0_20block_scan_algorithmE0ELj4294967295EEENS1_25partition_config_selectorILNS1_17partition_subalgoE3EjNS0_10empty_typeEbEEZZNS1_14partition_implILS8_3ELb0ES6_jNS0_17counting_iteratorIjlEEPS9_SE_NS0_5tupleIJPjSE_EEENSF_IJSE_SE_EEES9_SG_JZNS1_25segmented_radix_sort_implINS0_14default_configELb1EPK12hip_bfloat16PSL_PKlPlN2at6native12_GLOBAL__N_18offset_tEEE10hipError_tPvRmT1_PNSt15iterator_traitsISZ_E10value_typeET2_T3_PNS10_IS15_E10value_typeET4_jRbjT5_S1B_jjP12ihipStream_tbEUljE_EEESW_SX_SY_S15_S19_S1B_T6_T7_T9_mT8_S1D_bDpT10_ENKUlT_T0_E_clISt17integral_constantIbLb0EES1P_IbLb1EEEEDaS1L_S1M_EUlS1L_E_NS1_11comp_targetILNS1_3genE8ELNS1_11target_archE1030ELNS1_3gpuE2ELNS1_3repE0EEENS1_30default_config_static_selectorELNS0_4arch9wavefront6targetE0EEEvSZ_.num_vgpr, 0
	.set _ZN7rocprim17ROCPRIM_400000_NS6detail17trampoline_kernelINS0_13select_configILj256ELj13ELNS0_17block_load_methodE3ELS4_3ELS4_3ELNS0_20block_scan_algorithmE0ELj4294967295EEENS1_25partition_config_selectorILNS1_17partition_subalgoE3EjNS0_10empty_typeEbEEZZNS1_14partition_implILS8_3ELb0ES6_jNS0_17counting_iteratorIjlEEPS9_SE_NS0_5tupleIJPjSE_EEENSF_IJSE_SE_EEES9_SG_JZNS1_25segmented_radix_sort_implINS0_14default_configELb1EPK12hip_bfloat16PSL_PKlPlN2at6native12_GLOBAL__N_18offset_tEEE10hipError_tPvRmT1_PNSt15iterator_traitsISZ_E10value_typeET2_T3_PNS10_IS15_E10value_typeET4_jRbjT5_S1B_jjP12ihipStream_tbEUljE_EEESW_SX_SY_S15_S19_S1B_T6_T7_T9_mT8_S1D_bDpT10_ENKUlT_T0_E_clISt17integral_constantIbLb0EES1P_IbLb1EEEEDaS1L_S1M_EUlS1L_E_NS1_11comp_targetILNS1_3genE8ELNS1_11target_archE1030ELNS1_3gpuE2ELNS1_3repE0EEENS1_30default_config_static_selectorELNS0_4arch9wavefront6targetE0EEEvSZ_.num_agpr, 0
	.set _ZN7rocprim17ROCPRIM_400000_NS6detail17trampoline_kernelINS0_13select_configILj256ELj13ELNS0_17block_load_methodE3ELS4_3ELS4_3ELNS0_20block_scan_algorithmE0ELj4294967295EEENS1_25partition_config_selectorILNS1_17partition_subalgoE3EjNS0_10empty_typeEbEEZZNS1_14partition_implILS8_3ELb0ES6_jNS0_17counting_iteratorIjlEEPS9_SE_NS0_5tupleIJPjSE_EEENSF_IJSE_SE_EEES9_SG_JZNS1_25segmented_radix_sort_implINS0_14default_configELb1EPK12hip_bfloat16PSL_PKlPlN2at6native12_GLOBAL__N_18offset_tEEE10hipError_tPvRmT1_PNSt15iterator_traitsISZ_E10value_typeET2_T3_PNS10_IS15_E10value_typeET4_jRbjT5_S1B_jjP12ihipStream_tbEUljE_EEESW_SX_SY_S15_S19_S1B_T6_T7_T9_mT8_S1D_bDpT10_ENKUlT_T0_E_clISt17integral_constantIbLb0EES1P_IbLb1EEEEDaS1L_S1M_EUlS1L_E_NS1_11comp_targetILNS1_3genE8ELNS1_11target_archE1030ELNS1_3gpuE2ELNS1_3repE0EEENS1_30default_config_static_selectorELNS0_4arch9wavefront6targetE0EEEvSZ_.numbered_sgpr, 0
	.set _ZN7rocprim17ROCPRIM_400000_NS6detail17trampoline_kernelINS0_13select_configILj256ELj13ELNS0_17block_load_methodE3ELS4_3ELS4_3ELNS0_20block_scan_algorithmE0ELj4294967295EEENS1_25partition_config_selectorILNS1_17partition_subalgoE3EjNS0_10empty_typeEbEEZZNS1_14partition_implILS8_3ELb0ES6_jNS0_17counting_iteratorIjlEEPS9_SE_NS0_5tupleIJPjSE_EEENSF_IJSE_SE_EEES9_SG_JZNS1_25segmented_radix_sort_implINS0_14default_configELb1EPK12hip_bfloat16PSL_PKlPlN2at6native12_GLOBAL__N_18offset_tEEE10hipError_tPvRmT1_PNSt15iterator_traitsISZ_E10value_typeET2_T3_PNS10_IS15_E10value_typeET4_jRbjT5_S1B_jjP12ihipStream_tbEUljE_EEESW_SX_SY_S15_S19_S1B_T6_T7_T9_mT8_S1D_bDpT10_ENKUlT_T0_E_clISt17integral_constantIbLb0EES1P_IbLb1EEEEDaS1L_S1M_EUlS1L_E_NS1_11comp_targetILNS1_3genE8ELNS1_11target_archE1030ELNS1_3gpuE2ELNS1_3repE0EEENS1_30default_config_static_selectorELNS0_4arch9wavefront6targetE0EEEvSZ_.num_named_barrier, 0
	.set _ZN7rocprim17ROCPRIM_400000_NS6detail17trampoline_kernelINS0_13select_configILj256ELj13ELNS0_17block_load_methodE3ELS4_3ELS4_3ELNS0_20block_scan_algorithmE0ELj4294967295EEENS1_25partition_config_selectorILNS1_17partition_subalgoE3EjNS0_10empty_typeEbEEZZNS1_14partition_implILS8_3ELb0ES6_jNS0_17counting_iteratorIjlEEPS9_SE_NS0_5tupleIJPjSE_EEENSF_IJSE_SE_EEES9_SG_JZNS1_25segmented_radix_sort_implINS0_14default_configELb1EPK12hip_bfloat16PSL_PKlPlN2at6native12_GLOBAL__N_18offset_tEEE10hipError_tPvRmT1_PNSt15iterator_traitsISZ_E10value_typeET2_T3_PNS10_IS15_E10value_typeET4_jRbjT5_S1B_jjP12ihipStream_tbEUljE_EEESW_SX_SY_S15_S19_S1B_T6_T7_T9_mT8_S1D_bDpT10_ENKUlT_T0_E_clISt17integral_constantIbLb0EES1P_IbLb1EEEEDaS1L_S1M_EUlS1L_E_NS1_11comp_targetILNS1_3genE8ELNS1_11target_archE1030ELNS1_3gpuE2ELNS1_3repE0EEENS1_30default_config_static_selectorELNS0_4arch9wavefront6targetE0EEEvSZ_.private_seg_size, 0
	.set _ZN7rocprim17ROCPRIM_400000_NS6detail17trampoline_kernelINS0_13select_configILj256ELj13ELNS0_17block_load_methodE3ELS4_3ELS4_3ELNS0_20block_scan_algorithmE0ELj4294967295EEENS1_25partition_config_selectorILNS1_17partition_subalgoE3EjNS0_10empty_typeEbEEZZNS1_14partition_implILS8_3ELb0ES6_jNS0_17counting_iteratorIjlEEPS9_SE_NS0_5tupleIJPjSE_EEENSF_IJSE_SE_EEES9_SG_JZNS1_25segmented_radix_sort_implINS0_14default_configELb1EPK12hip_bfloat16PSL_PKlPlN2at6native12_GLOBAL__N_18offset_tEEE10hipError_tPvRmT1_PNSt15iterator_traitsISZ_E10value_typeET2_T3_PNS10_IS15_E10value_typeET4_jRbjT5_S1B_jjP12ihipStream_tbEUljE_EEESW_SX_SY_S15_S19_S1B_T6_T7_T9_mT8_S1D_bDpT10_ENKUlT_T0_E_clISt17integral_constantIbLb0EES1P_IbLb1EEEEDaS1L_S1M_EUlS1L_E_NS1_11comp_targetILNS1_3genE8ELNS1_11target_archE1030ELNS1_3gpuE2ELNS1_3repE0EEENS1_30default_config_static_selectorELNS0_4arch9wavefront6targetE0EEEvSZ_.uses_vcc, 0
	.set _ZN7rocprim17ROCPRIM_400000_NS6detail17trampoline_kernelINS0_13select_configILj256ELj13ELNS0_17block_load_methodE3ELS4_3ELS4_3ELNS0_20block_scan_algorithmE0ELj4294967295EEENS1_25partition_config_selectorILNS1_17partition_subalgoE3EjNS0_10empty_typeEbEEZZNS1_14partition_implILS8_3ELb0ES6_jNS0_17counting_iteratorIjlEEPS9_SE_NS0_5tupleIJPjSE_EEENSF_IJSE_SE_EEES9_SG_JZNS1_25segmented_radix_sort_implINS0_14default_configELb1EPK12hip_bfloat16PSL_PKlPlN2at6native12_GLOBAL__N_18offset_tEEE10hipError_tPvRmT1_PNSt15iterator_traitsISZ_E10value_typeET2_T3_PNS10_IS15_E10value_typeET4_jRbjT5_S1B_jjP12ihipStream_tbEUljE_EEESW_SX_SY_S15_S19_S1B_T6_T7_T9_mT8_S1D_bDpT10_ENKUlT_T0_E_clISt17integral_constantIbLb0EES1P_IbLb1EEEEDaS1L_S1M_EUlS1L_E_NS1_11comp_targetILNS1_3genE8ELNS1_11target_archE1030ELNS1_3gpuE2ELNS1_3repE0EEENS1_30default_config_static_selectorELNS0_4arch9wavefront6targetE0EEEvSZ_.uses_flat_scratch, 0
	.set _ZN7rocprim17ROCPRIM_400000_NS6detail17trampoline_kernelINS0_13select_configILj256ELj13ELNS0_17block_load_methodE3ELS4_3ELS4_3ELNS0_20block_scan_algorithmE0ELj4294967295EEENS1_25partition_config_selectorILNS1_17partition_subalgoE3EjNS0_10empty_typeEbEEZZNS1_14partition_implILS8_3ELb0ES6_jNS0_17counting_iteratorIjlEEPS9_SE_NS0_5tupleIJPjSE_EEENSF_IJSE_SE_EEES9_SG_JZNS1_25segmented_radix_sort_implINS0_14default_configELb1EPK12hip_bfloat16PSL_PKlPlN2at6native12_GLOBAL__N_18offset_tEEE10hipError_tPvRmT1_PNSt15iterator_traitsISZ_E10value_typeET2_T3_PNS10_IS15_E10value_typeET4_jRbjT5_S1B_jjP12ihipStream_tbEUljE_EEESW_SX_SY_S15_S19_S1B_T6_T7_T9_mT8_S1D_bDpT10_ENKUlT_T0_E_clISt17integral_constantIbLb0EES1P_IbLb1EEEEDaS1L_S1M_EUlS1L_E_NS1_11comp_targetILNS1_3genE8ELNS1_11target_archE1030ELNS1_3gpuE2ELNS1_3repE0EEENS1_30default_config_static_selectorELNS0_4arch9wavefront6targetE0EEEvSZ_.has_dyn_sized_stack, 0
	.set _ZN7rocprim17ROCPRIM_400000_NS6detail17trampoline_kernelINS0_13select_configILj256ELj13ELNS0_17block_load_methodE3ELS4_3ELS4_3ELNS0_20block_scan_algorithmE0ELj4294967295EEENS1_25partition_config_selectorILNS1_17partition_subalgoE3EjNS0_10empty_typeEbEEZZNS1_14partition_implILS8_3ELb0ES6_jNS0_17counting_iteratorIjlEEPS9_SE_NS0_5tupleIJPjSE_EEENSF_IJSE_SE_EEES9_SG_JZNS1_25segmented_radix_sort_implINS0_14default_configELb1EPK12hip_bfloat16PSL_PKlPlN2at6native12_GLOBAL__N_18offset_tEEE10hipError_tPvRmT1_PNSt15iterator_traitsISZ_E10value_typeET2_T3_PNS10_IS15_E10value_typeET4_jRbjT5_S1B_jjP12ihipStream_tbEUljE_EEESW_SX_SY_S15_S19_S1B_T6_T7_T9_mT8_S1D_bDpT10_ENKUlT_T0_E_clISt17integral_constantIbLb0EES1P_IbLb1EEEEDaS1L_S1M_EUlS1L_E_NS1_11comp_targetILNS1_3genE8ELNS1_11target_archE1030ELNS1_3gpuE2ELNS1_3repE0EEENS1_30default_config_static_selectorELNS0_4arch9wavefront6targetE0EEEvSZ_.has_recursion, 0
	.set _ZN7rocprim17ROCPRIM_400000_NS6detail17trampoline_kernelINS0_13select_configILj256ELj13ELNS0_17block_load_methodE3ELS4_3ELS4_3ELNS0_20block_scan_algorithmE0ELj4294967295EEENS1_25partition_config_selectorILNS1_17partition_subalgoE3EjNS0_10empty_typeEbEEZZNS1_14partition_implILS8_3ELb0ES6_jNS0_17counting_iteratorIjlEEPS9_SE_NS0_5tupleIJPjSE_EEENSF_IJSE_SE_EEES9_SG_JZNS1_25segmented_radix_sort_implINS0_14default_configELb1EPK12hip_bfloat16PSL_PKlPlN2at6native12_GLOBAL__N_18offset_tEEE10hipError_tPvRmT1_PNSt15iterator_traitsISZ_E10value_typeET2_T3_PNS10_IS15_E10value_typeET4_jRbjT5_S1B_jjP12ihipStream_tbEUljE_EEESW_SX_SY_S15_S19_S1B_T6_T7_T9_mT8_S1D_bDpT10_ENKUlT_T0_E_clISt17integral_constantIbLb0EES1P_IbLb1EEEEDaS1L_S1M_EUlS1L_E_NS1_11comp_targetILNS1_3genE8ELNS1_11target_archE1030ELNS1_3gpuE2ELNS1_3repE0EEENS1_30default_config_static_selectorELNS0_4arch9wavefront6targetE0EEEvSZ_.has_indirect_call, 0
	.section	.AMDGPU.csdata,"",@progbits
; Kernel info:
; codeLenInByte = 0
; TotalNumSgprs: 0
; NumVgprs: 0
; ScratchSize: 0
; MemoryBound: 0
; FloatMode: 240
; IeeeMode: 1
; LDSByteSize: 0 bytes/workgroup (compile time only)
; SGPRBlocks: 0
; VGPRBlocks: 0
; NumSGPRsForWavesPerEU: 1
; NumVGPRsForWavesPerEU: 1
; Occupancy: 16
; WaveLimiterHint : 0
; COMPUTE_PGM_RSRC2:SCRATCH_EN: 0
; COMPUTE_PGM_RSRC2:USER_SGPR: 2
; COMPUTE_PGM_RSRC2:TRAP_HANDLER: 0
; COMPUTE_PGM_RSRC2:TGID_X_EN: 1
; COMPUTE_PGM_RSRC2:TGID_Y_EN: 0
; COMPUTE_PGM_RSRC2:TGID_Z_EN: 0
; COMPUTE_PGM_RSRC2:TIDIG_COMP_CNT: 0
	.section	.text._ZN7rocprim17ROCPRIM_400000_NS6detail17trampoline_kernelINS0_14default_configENS1_36segmented_radix_sort_config_selectorI12hip_bfloat16lEEZNS1_25segmented_radix_sort_implIS3_Lb1EPKS5_PS5_PKlPlN2at6native12_GLOBAL__N_18offset_tEEE10hipError_tPvRmT1_PNSt15iterator_traitsISL_E10value_typeET2_T3_PNSM_ISR_E10value_typeET4_jRbjT5_SX_jjP12ihipStream_tbEUlT_E_NS1_11comp_targetILNS1_3genE0ELNS1_11target_archE4294967295ELNS1_3gpuE0ELNS1_3repE0EEENS1_30default_config_static_selectorELNS0_4arch9wavefront6targetE0EEEvSL_,"axG",@progbits,_ZN7rocprim17ROCPRIM_400000_NS6detail17trampoline_kernelINS0_14default_configENS1_36segmented_radix_sort_config_selectorI12hip_bfloat16lEEZNS1_25segmented_radix_sort_implIS3_Lb1EPKS5_PS5_PKlPlN2at6native12_GLOBAL__N_18offset_tEEE10hipError_tPvRmT1_PNSt15iterator_traitsISL_E10value_typeET2_T3_PNSM_ISR_E10value_typeET4_jRbjT5_SX_jjP12ihipStream_tbEUlT_E_NS1_11comp_targetILNS1_3genE0ELNS1_11target_archE4294967295ELNS1_3gpuE0ELNS1_3repE0EEENS1_30default_config_static_selectorELNS0_4arch9wavefront6targetE0EEEvSL_,comdat
	.globl	_ZN7rocprim17ROCPRIM_400000_NS6detail17trampoline_kernelINS0_14default_configENS1_36segmented_radix_sort_config_selectorI12hip_bfloat16lEEZNS1_25segmented_radix_sort_implIS3_Lb1EPKS5_PS5_PKlPlN2at6native12_GLOBAL__N_18offset_tEEE10hipError_tPvRmT1_PNSt15iterator_traitsISL_E10value_typeET2_T3_PNSM_ISR_E10value_typeET4_jRbjT5_SX_jjP12ihipStream_tbEUlT_E_NS1_11comp_targetILNS1_3genE0ELNS1_11target_archE4294967295ELNS1_3gpuE0ELNS1_3repE0EEENS1_30default_config_static_selectorELNS0_4arch9wavefront6targetE0EEEvSL_ ; -- Begin function _ZN7rocprim17ROCPRIM_400000_NS6detail17trampoline_kernelINS0_14default_configENS1_36segmented_radix_sort_config_selectorI12hip_bfloat16lEEZNS1_25segmented_radix_sort_implIS3_Lb1EPKS5_PS5_PKlPlN2at6native12_GLOBAL__N_18offset_tEEE10hipError_tPvRmT1_PNSt15iterator_traitsISL_E10value_typeET2_T3_PNSM_ISR_E10value_typeET4_jRbjT5_SX_jjP12ihipStream_tbEUlT_E_NS1_11comp_targetILNS1_3genE0ELNS1_11target_archE4294967295ELNS1_3gpuE0ELNS1_3repE0EEENS1_30default_config_static_selectorELNS0_4arch9wavefront6targetE0EEEvSL_
	.p2align	8
	.type	_ZN7rocprim17ROCPRIM_400000_NS6detail17trampoline_kernelINS0_14default_configENS1_36segmented_radix_sort_config_selectorI12hip_bfloat16lEEZNS1_25segmented_radix_sort_implIS3_Lb1EPKS5_PS5_PKlPlN2at6native12_GLOBAL__N_18offset_tEEE10hipError_tPvRmT1_PNSt15iterator_traitsISL_E10value_typeET2_T3_PNSM_ISR_E10value_typeET4_jRbjT5_SX_jjP12ihipStream_tbEUlT_E_NS1_11comp_targetILNS1_3genE0ELNS1_11target_archE4294967295ELNS1_3gpuE0ELNS1_3repE0EEENS1_30default_config_static_selectorELNS0_4arch9wavefront6targetE0EEEvSL_,@function
_ZN7rocprim17ROCPRIM_400000_NS6detail17trampoline_kernelINS0_14default_configENS1_36segmented_radix_sort_config_selectorI12hip_bfloat16lEEZNS1_25segmented_radix_sort_implIS3_Lb1EPKS5_PS5_PKlPlN2at6native12_GLOBAL__N_18offset_tEEE10hipError_tPvRmT1_PNSt15iterator_traitsISL_E10value_typeET2_T3_PNSM_ISR_E10value_typeET4_jRbjT5_SX_jjP12ihipStream_tbEUlT_E_NS1_11comp_targetILNS1_3genE0ELNS1_11target_archE4294967295ELNS1_3gpuE0ELNS1_3repE0EEENS1_30default_config_static_selectorELNS0_4arch9wavefront6targetE0EEEvSL_: ; @_ZN7rocprim17ROCPRIM_400000_NS6detail17trampoline_kernelINS0_14default_configENS1_36segmented_radix_sort_config_selectorI12hip_bfloat16lEEZNS1_25segmented_radix_sort_implIS3_Lb1EPKS5_PS5_PKlPlN2at6native12_GLOBAL__N_18offset_tEEE10hipError_tPvRmT1_PNSt15iterator_traitsISL_E10value_typeET2_T3_PNSM_ISR_E10value_typeET4_jRbjT5_SX_jjP12ihipStream_tbEUlT_E_NS1_11comp_targetILNS1_3genE0ELNS1_11target_archE4294967295ELNS1_3gpuE0ELNS1_3repE0EEENS1_30default_config_static_selectorELNS0_4arch9wavefront6targetE0EEEvSL_
; %bb.0:
	.section	.rodata,"a",@progbits
	.p2align	6, 0x0
	.amdhsa_kernel _ZN7rocprim17ROCPRIM_400000_NS6detail17trampoline_kernelINS0_14default_configENS1_36segmented_radix_sort_config_selectorI12hip_bfloat16lEEZNS1_25segmented_radix_sort_implIS3_Lb1EPKS5_PS5_PKlPlN2at6native12_GLOBAL__N_18offset_tEEE10hipError_tPvRmT1_PNSt15iterator_traitsISL_E10value_typeET2_T3_PNSM_ISR_E10value_typeET4_jRbjT5_SX_jjP12ihipStream_tbEUlT_E_NS1_11comp_targetILNS1_3genE0ELNS1_11target_archE4294967295ELNS1_3gpuE0ELNS1_3repE0EEENS1_30default_config_static_selectorELNS0_4arch9wavefront6targetE0EEEvSL_
		.amdhsa_group_segment_fixed_size 0
		.amdhsa_private_segment_fixed_size 0
		.amdhsa_kernarg_size 96
		.amdhsa_user_sgpr_count 2
		.amdhsa_user_sgpr_dispatch_ptr 0
		.amdhsa_user_sgpr_queue_ptr 0
		.amdhsa_user_sgpr_kernarg_segment_ptr 1
		.amdhsa_user_sgpr_dispatch_id 0
		.amdhsa_user_sgpr_private_segment_size 0
		.amdhsa_wavefront_size32 1
		.amdhsa_uses_dynamic_stack 0
		.amdhsa_enable_private_segment 0
		.amdhsa_system_sgpr_workgroup_id_x 1
		.amdhsa_system_sgpr_workgroup_id_y 0
		.amdhsa_system_sgpr_workgroup_id_z 0
		.amdhsa_system_sgpr_workgroup_info 0
		.amdhsa_system_vgpr_workitem_id 0
		.amdhsa_next_free_vgpr 1
		.amdhsa_next_free_sgpr 1
		.amdhsa_reserve_vcc 0
		.amdhsa_float_round_mode_32 0
		.amdhsa_float_round_mode_16_64 0
		.amdhsa_float_denorm_mode_32 3
		.amdhsa_float_denorm_mode_16_64 3
		.amdhsa_fp16_overflow 0
		.amdhsa_workgroup_processor_mode 1
		.amdhsa_memory_ordered 1
		.amdhsa_forward_progress 1
		.amdhsa_inst_pref_size 0
		.amdhsa_round_robin_scheduling 0
		.amdhsa_exception_fp_ieee_invalid_op 0
		.amdhsa_exception_fp_denorm_src 0
		.amdhsa_exception_fp_ieee_div_zero 0
		.amdhsa_exception_fp_ieee_overflow 0
		.amdhsa_exception_fp_ieee_underflow 0
		.amdhsa_exception_fp_ieee_inexact 0
		.amdhsa_exception_int_div_zero 0
	.end_amdhsa_kernel
	.section	.text._ZN7rocprim17ROCPRIM_400000_NS6detail17trampoline_kernelINS0_14default_configENS1_36segmented_radix_sort_config_selectorI12hip_bfloat16lEEZNS1_25segmented_radix_sort_implIS3_Lb1EPKS5_PS5_PKlPlN2at6native12_GLOBAL__N_18offset_tEEE10hipError_tPvRmT1_PNSt15iterator_traitsISL_E10value_typeET2_T3_PNSM_ISR_E10value_typeET4_jRbjT5_SX_jjP12ihipStream_tbEUlT_E_NS1_11comp_targetILNS1_3genE0ELNS1_11target_archE4294967295ELNS1_3gpuE0ELNS1_3repE0EEENS1_30default_config_static_selectorELNS0_4arch9wavefront6targetE0EEEvSL_,"axG",@progbits,_ZN7rocprim17ROCPRIM_400000_NS6detail17trampoline_kernelINS0_14default_configENS1_36segmented_radix_sort_config_selectorI12hip_bfloat16lEEZNS1_25segmented_radix_sort_implIS3_Lb1EPKS5_PS5_PKlPlN2at6native12_GLOBAL__N_18offset_tEEE10hipError_tPvRmT1_PNSt15iterator_traitsISL_E10value_typeET2_T3_PNSM_ISR_E10value_typeET4_jRbjT5_SX_jjP12ihipStream_tbEUlT_E_NS1_11comp_targetILNS1_3genE0ELNS1_11target_archE4294967295ELNS1_3gpuE0ELNS1_3repE0EEENS1_30default_config_static_selectorELNS0_4arch9wavefront6targetE0EEEvSL_,comdat
.Lfunc_end1946:
	.size	_ZN7rocprim17ROCPRIM_400000_NS6detail17trampoline_kernelINS0_14default_configENS1_36segmented_radix_sort_config_selectorI12hip_bfloat16lEEZNS1_25segmented_radix_sort_implIS3_Lb1EPKS5_PS5_PKlPlN2at6native12_GLOBAL__N_18offset_tEEE10hipError_tPvRmT1_PNSt15iterator_traitsISL_E10value_typeET2_T3_PNSM_ISR_E10value_typeET4_jRbjT5_SX_jjP12ihipStream_tbEUlT_E_NS1_11comp_targetILNS1_3genE0ELNS1_11target_archE4294967295ELNS1_3gpuE0ELNS1_3repE0EEENS1_30default_config_static_selectorELNS0_4arch9wavefront6targetE0EEEvSL_, .Lfunc_end1946-_ZN7rocprim17ROCPRIM_400000_NS6detail17trampoline_kernelINS0_14default_configENS1_36segmented_radix_sort_config_selectorI12hip_bfloat16lEEZNS1_25segmented_radix_sort_implIS3_Lb1EPKS5_PS5_PKlPlN2at6native12_GLOBAL__N_18offset_tEEE10hipError_tPvRmT1_PNSt15iterator_traitsISL_E10value_typeET2_T3_PNSM_ISR_E10value_typeET4_jRbjT5_SX_jjP12ihipStream_tbEUlT_E_NS1_11comp_targetILNS1_3genE0ELNS1_11target_archE4294967295ELNS1_3gpuE0ELNS1_3repE0EEENS1_30default_config_static_selectorELNS0_4arch9wavefront6targetE0EEEvSL_
                                        ; -- End function
	.set _ZN7rocprim17ROCPRIM_400000_NS6detail17trampoline_kernelINS0_14default_configENS1_36segmented_radix_sort_config_selectorI12hip_bfloat16lEEZNS1_25segmented_radix_sort_implIS3_Lb1EPKS5_PS5_PKlPlN2at6native12_GLOBAL__N_18offset_tEEE10hipError_tPvRmT1_PNSt15iterator_traitsISL_E10value_typeET2_T3_PNSM_ISR_E10value_typeET4_jRbjT5_SX_jjP12ihipStream_tbEUlT_E_NS1_11comp_targetILNS1_3genE0ELNS1_11target_archE4294967295ELNS1_3gpuE0ELNS1_3repE0EEENS1_30default_config_static_selectorELNS0_4arch9wavefront6targetE0EEEvSL_.num_vgpr, 0
	.set _ZN7rocprim17ROCPRIM_400000_NS6detail17trampoline_kernelINS0_14default_configENS1_36segmented_radix_sort_config_selectorI12hip_bfloat16lEEZNS1_25segmented_radix_sort_implIS3_Lb1EPKS5_PS5_PKlPlN2at6native12_GLOBAL__N_18offset_tEEE10hipError_tPvRmT1_PNSt15iterator_traitsISL_E10value_typeET2_T3_PNSM_ISR_E10value_typeET4_jRbjT5_SX_jjP12ihipStream_tbEUlT_E_NS1_11comp_targetILNS1_3genE0ELNS1_11target_archE4294967295ELNS1_3gpuE0ELNS1_3repE0EEENS1_30default_config_static_selectorELNS0_4arch9wavefront6targetE0EEEvSL_.num_agpr, 0
	.set _ZN7rocprim17ROCPRIM_400000_NS6detail17trampoline_kernelINS0_14default_configENS1_36segmented_radix_sort_config_selectorI12hip_bfloat16lEEZNS1_25segmented_radix_sort_implIS3_Lb1EPKS5_PS5_PKlPlN2at6native12_GLOBAL__N_18offset_tEEE10hipError_tPvRmT1_PNSt15iterator_traitsISL_E10value_typeET2_T3_PNSM_ISR_E10value_typeET4_jRbjT5_SX_jjP12ihipStream_tbEUlT_E_NS1_11comp_targetILNS1_3genE0ELNS1_11target_archE4294967295ELNS1_3gpuE0ELNS1_3repE0EEENS1_30default_config_static_selectorELNS0_4arch9wavefront6targetE0EEEvSL_.numbered_sgpr, 0
	.set _ZN7rocprim17ROCPRIM_400000_NS6detail17trampoline_kernelINS0_14default_configENS1_36segmented_radix_sort_config_selectorI12hip_bfloat16lEEZNS1_25segmented_radix_sort_implIS3_Lb1EPKS5_PS5_PKlPlN2at6native12_GLOBAL__N_18offset_tEEE10hipError_tPvRmT1_PNSt15iterator_traitsISL_E10value_typeET2_T3_PNSM_ISR_E10value_typeET4_jRbjT5_SX_jjP12ihipStream_tbEUlT_E_NS1_11comp_targetILNS1_3genE0ELNS1_11target_archE4294967295ELNS1_3gpuE0ELNS1_3repE0EEENS1_30default_config_static_selectorELNS0_4arch9wavefront6targetE0EEEvSL_.num_named_barrier, 0
	.set _ZN7rocprim17ROCPRIM_400000_NS6detail17trampoline_kernelINS0_14default_configENS1_36segmented_radix_sort_config_selectorI12hip_bfloat16lEEZNS1_25segmented_radix_sort_implIS3_Lb1EPKS5_PS5_PKlPlN2at6native12_GLOBAL__N_18offset_tEEE10hipError_tPvRmT1_PNSt15iterator_traitsISL_E10value_typeET2_T3_PNSM_ISR_E10value_typeET4_jRbjT5_SX_jjP12ihipStream_tbEUlT_E_NS1_11comp_targetILNS1_3genE0ELNS1_11target_archE4294967295ELNS1_3gpuE0ELNS1_3repE0EEENS1_30default_config_static_selectorELNS0_4arch9wavefront6targetE0EEEvSL_.private_seg_size, 0
	.set _ZN7rocprim17ROCPRIM_400000_NS6detail17trampoline_kernelINS0_14default_configENS1_36segmented_radix_sort_config_selectorI12hip_bfloat16lEEZNS1_25segmented_radix_sort_implIS3_Lb1EPKS5_PS5_PKlPlN2at6native12_GLOBAL__N_18offset_tEEE10hipError_tPvRmT1_PNSt15iterator_traitsISL_E10value_typeET2_T3_PNSM_ISR_E10value_typeET4_jRbjT5_SX_jjP12ihipStream_tbEUlT_E_NS1_11comp_targetILNS1_3genE0ELNS1_11target_archE4294967295ELNS1_3gpuE0ELNS1_3repE0EEENS1_30default_config_static_selectorELNS0_4arch9wavefront6targetE0EEEvSL_.uses_vcc, 0
	.set _ZN7rocprim17ROCPRIM_400000_NS6detail17trampoline_kernelINS0_14default_configENS1_36segmented_radix_sort_config_selectorI12hip_bfloat16lEEZNS1_25segmented_radix_sort_implIS3_Lb1EPKS5_PS5_PKlPlN2at6native12_GLOBAL__N_18offset_tEEE10hipError_tPvRmT1_PNSt15iterator_traitsISL_E10value_typeET2_T3_PNSM_ISR_E10value_typeET4_jRbjT5_SX_jjP12ihipStream_tbEUlT_E_NS1_11comp_targetILNS1_3genE0ELNS1_11target_archE4294967295ELNS1_3gpuE0ELNS1_3repE0EEENS1_30default_config_static_selectorELNS0_4arch9wavefront6targetE0EEEvSL_.uses_flat_scratch, 0
	.set _ZN7rocprim17ROCPRIM_400000_NS6detail17trampoline_kernelINS0_14default_configENS1_36segmented_radix_sort_config_selectorI12hip_bfloat16lEEZNS1_25segmented_radix_sort_implIS3_Lb1EPKS5_PS5_PKlPlN2at6native12_GLOBAL__N_18offset_tEEE10hipError_tPvRmT1_PNSt15iterator_traitsISL_E10value_typeET2_T3_PNSM_ISR_E10value_typeET4_jRbjT5_SX_jjP12ihipStream_tbEUlT_E_NS1_11comp_targetILNS1_3genE0ELNS1_11target_archE4294967295ELNS1_3gpuE0ELNS1_3repE0EEENS1_30default_config_static_selectorELNS0_4arch9wavefront6targetE0EEEvSL_.has_dyn_sized_stack, 0
	.set _ZN7rocprim17ROCPRIM_400000_NS6detail17trampoline_kernelINS0_14default_configENS1_36segmented_radix_sort_config_selectorI12hip_bfloat16lEEZNS1_25segmented_radix_sort_implIS3_Lb1EPKS5_PS5_PKlPlN2at6native12_GLOBAL__N_18offset_tEEE10hipError_tPvRmT1_PNSt15iterator_traitsISL_E10value_typeET2_T3_PNSM_ISR_E10value_typeET4_jRbjT5_SX_jjP12ihipStream_tbEUlT_E_NS1_11comp_targetILNS1_3genE0ELNS1_11target_archE4294967295ELNS1_3gpuE0ELNS1_3repE0EEENS1_30default_config_static_selectorELNS0_4arch9wavefront6targetE0EEEvSL_.has_recursion, 0
	.set _ZN7rocprim17ROCPRIM_400000_NS6detail17trampoline_kernelINS0_14default_configENS1_36segmented_radix_sort_config_selectorI12hip_bfloat16lEEZNS1_25segmented_radix_sort_implIS3_Lb1EPKS5_PS5_PKlPlN2at6native12_GLOBAL__N_18offset_tEEE10hipError_tPvRmT1_PNSt15iterator_traitsISL_E10value_typeET2_T3_PNSM_ISR_E10value_typeET4_jRbjT5_SX_jjP12ihipStream_tbEUlT_E_NS1_11comp_targetILNS1_3genE0ELNS1_11target_archE4294967295ELNS1_3gpuE0ELNS1_3repE0EEENS1_30default_config_static_selectorELNS0_4arch9wavefront6targetE0EEEvSL_.has_indirect_call, 0
	.section	.AMDGPU.csdata,"",@progbits
; Kernel info:
; codeLenInByte = 0
; TotalNumSgprs: 0
; NumVgprs: 0
; ScratchSize: 0
; MemoryBound: 0
; FloatMode: 240
; IeeeMode: 1
; LDSByteSize: 0 bytes/workgroup (compile time only)
; SGPRBlocks: 0
; VGPRBlocks: 0
; NumSGPRsForWavesPerEU: 1
; NumVGPRsForWavesPerEU: 1
; Occupancy: 16
; WaveLimiterHint : 0
; COMPUTE_PGM_RSRC2:SCRATCH_EN: 0
; COMPUTE_PGM_RSRC2:USER_SGPR: 2
; COMPUTE_PGM_RSRC2:TRAP_HANDLER: 0
; COMPUTE_PGM_RSRC2:TGID_X_EN: 1
; COMPUTE_PGM_RSRC2:TGID_Y_EN: 0
; COMPUTE_PGM_RSRC2:TGID_Z_EN: 0
; COMPUTE_PGM_RSRC2:TIDIG_COMP_CNT: 0
	.section	.text._ZN7rocprim17ROCPRIM_400000_NS6detail17trampoline_kernelINS0_14default_configENS1_36segmented_radix_sort_config_selectorI12hip_bfloat16lEEZNS1_25segmented_radix_sort_implIS3_Lb1EPKS5_PS5_PKlPlN2at6native12_GLOBAL__N_18offset_tEEE10hipError_tPvRmT1_PNSt15iterator_traitsISL_E10value_typeET2_T3_PNSM_ISR_E10value_typeET4_jRbjT5_SX_jjP12ihipStream_tbEUlT_E_NS1_11comp_targetILNS1_3genE5ELNS1_11target_archE942ELNS1_3gpuE9ELNS1_3repE0EEENS1_30default_config_static_selectorELNS0_4arch9wavefront6targetE0EEEvSL_,"axG",@progbits,_ZN7rocprim17ROCPRIM_400000_NS6detail17trampoline_kernelINS0_14default_configENS1_36segmented_radix_sort_config_selectorI12hip_bfloat16lEEZNS1_25segmented_radix_sort_implIS3_Lb1EPKS5_PS5_PKlPlN2at6native12_GLOBAL__N_18offset_tEEE10hipError_tPvRmT1_PNSt15iterator_traitsISL_E10value_typeET2_T3_PNSM_ISR_E10value_typeET4_jRbjT5_SX_jjP12ihipStream_tbEUlT_E_NS1_11comp_targetILNS1_3genE5ELNS1_11target_archE942ELNS1_3gpuE9ELNS1_3repE0EEENS1_30default_config_static_selectorELNS0_4arch9wavefront6targetE0EEEvSL_,comdat
	.globl	_ZN7rocprim17ROCPRIM_400000_NS6detail17trampoline_kernelINS0_14default_configENS1_36segmented_radix_sort_config_selectorI12hip_bfloat16lEEZNS1_25segmented_radix_sort_implIS3_Lb1EPKS5_PS5_PKlPlN2at6native12_GLOBAL__N_18offset_tEEE10hipError_tPvRmT1_PNSt15iterator_traitsISL_E10value_typeET2_T3_PNSM_ISR_E10value_typeET4_jRbjT5_SX_jjP12ihipStream_tbEUlT_E_NS1_11comp_targetILNS1_3genE5ELNS1_11target_archE942ELNS1_3gpuE9ELNS1_3repE0EEENS1_30default_config_static_selectorELNS0_4arch9wavefront6targetE0EEEvSL_ ; -- Begin function _ZN7rocprim17ROCPRIM_400000_NS6detail17trampoline_kernelINS0_14default_configENS1_36segmented_radix_sort_config_selectorI12hip_bfloat16lEEZNS1_25segmented_radix_sort_implIS3_Lb1EPKS5_PS5_PKlPlN2at6native12_GLOBAL__N_18offset_tEEE10hipError_tPvRmT1_PNSt15iterator_traitsISL_E10value_typeET2_T3_PNSM_ISR_E10value_typeET4_jRbjT5_SX_jjP12ihipStream_tbEUlT_E_NS1_11comp_targetILNS1_3genE5ELNS1_11target_archE942ELNS1_3gpuE9ELNS1_3repE0EEENS1_30default_config_static_selectorELNS0_4arch9wavefront6targetE0EEEvSL_
	.p2align	8
	.type	_ZN7rocprim17ROCPRIM_400000_NS6detail17trampoline_kernelINS0_14default_configENS1_36segmented_radix_sort_config_selectorI12hip_bfloat16lEEZNS1_25segmented_radix_sort_implIS3_Lb1EPKS5_PS5_PKlPlN2at6native12_GLOBAL__N_18offset_tEEE10hipError_tPvRmT1_PNSt15iterator_traitsISL_E10value_typeET2_T3_PNSM_ISR_E10value_typeET4_jRbjT5_SX_jjP12ihipStream_tbEUlT_E_NS1_11comp_targetILNS1_3genE5ELNS1_11target_archE942ELNS1_3gpuE9ELNS1_3repE0EEENS1_30default_config_static_selectorELNS0_4arch9wavefront6targetE0EEEvSL_,@function
_ZN7rocprim17ROCPRIM_400000_NS6detail17trampoline_kernelINS0_14default_configENS1_36segmented_radix_sort_config_selectorI12hip_bfloat16lEEZNS1_25segmented_radix_sort_implIS3_Lb1EPKS5_PS5_PKlPlN2at6native12_GLOBAL__N_18offset_tEEE10hipError_tPvRmT1_PNSt15iterator_traitsISL_E10value_typeET2_T3_PNSM_ISR_E10value_typeET4_jRbjT5_SX_jjP12ihipStream_tbEUlT_E_NS1_11comp_targetILNS1_3genE5ELNS1_11target_archE942ELNS1_3gpuE9ELNS1_3repE0EEENS1_30default_config_static_selectorELNS0_4arch9wavefront6targetE0EEEvSL_: ; @_ZN7rocprim17ROCPRIM_400000_NS6detail17trampoline_kernelINS0_14default_configENS1_36segmented_radix_sort_config_selectorI12hip_bfloat16lEEZNS1_25segmented_radix_sort_implIS3_Lb1EPKS5_PS5_PKlPlN2at6native12_GLOBAL__N_18offset_tEEE10hipError_tPvRmT1_PNSt15iterator_traitsISL_E10value_typeET2_T3_PNSM_ISR_E10value_typeET4_jRbjT5_SX_jjP12ihipStream_tbEUlT_E_NS1_11comp_targetILNS1_3genE5ELNS1_11target_archE942ELNS1_3gpuE9ELNS1_3repE0EEENS1_30default_config_static_selectorELNS0_4arch9wavefront6targetE0EEEvSL_
; %bb.0:
	.section	.rodata,"a",@progbits
	.p2align	6, 0x0
	.amdhsa_kernel _ZN7rocprim17ROCPRIM_400000_NS6detail17trampoline_kernelINS0_14default_configENS1_36segmented_radix_sort_config_selectorI12hip_bfloat16lEEZNS1_25segmented_radix_sort_implIS3_Lb1EPKS5_PS5_PKlPlN2at6native12_GLOBAL__N_18offset_tEEE10hipError_tPvRmT1_PNSt15iterator_traitsISL_E10value_typeET2_T3_PNSM_ISR_E10value_typeET4_jRbjT5_SX_jjP12ihipStream_tbEUlT_E_NS1_11comp_targetILNS1_3genE5ELNS1_11target_archE942ELNS1_3gpuE9ELNS1_3repE0EEENS1_30default_config_static_selectorELNS0_4arch9wavefront6targetE0EEEvSL_
		.amdhsa_group_segment_fixed_size 0
		.amdhsa_private_segment_fixed_size 0
		.amdhsa_kernarg_size 96
		.amdhsa_user_sgpr_count 2
		.amdhsa_user_sgpr_dispatch_ptr 0
		.amdhsa_user_sgpr_queue_ptr 0
		.amdhsa_user_sgpr_kernarg_segment_ptr 1
		.amdhsa_user_sgpr_dispatch_id 0
		.amdhsa_user_sgpr_private_segment_size 0
		.amdhsa_wavefront_size32 1
		.amdhsa_uses_dynamic_stack 0
		.amdhsa_enable_private_segment 0
		.amdhsa_system_sgpr_workgroup_id_x 1
		.amdhsa_system_sgpr_workgroup_id_y 0
		.amdhsa_system_sgpr_workgroup_id_z 0
		.amdhsa_system_sgpr_workgroup_info 0
		.amdhsa_system_vgpr_workitem_id 0
		.amdhsa_next_free_vgpr 1
		.amdhsa_next_free_sgpr 1
		.amdhsa_reserve_vcc 0
		.amdhsa_float_round_mode_32 0
		.amdhsa_float_round_mode_16_64 0
		.amdhsa_float_denorm_mode_32 3
		.amdhsa_float_denorm_mode_16_64 3
		.amdhsa_fp16_overflow 0
		.amdhsa_workgroup_processor_mode 1
		.amdhsa_memory_ordered 1
		.amdhsa_forward_progress 1
		.amdhsa_inst_pref_size 0
		.amdhsa_round_robin_scheduling 0
		.amdhsa_exception_fp_ieee_invalid_op 0
		.amdhsa_exception_fp_denorm_src 0
		.amdhsa_exception_fp_ieee_div_zero 0
		.amdhsa_exception_fp_ieee_overflow 0
		.amdhsa_exception_fp_ieee_underflow 0
		.amdhsa_exception_fp_ieee_inexact 0
		.amdhsa_exception_int_div_zero 0
	.end_amdhsa_kernel
	.section	.text._ZN7rocprim17ROCPRIM_400000_NS6detail17trampoline_kernelINS0_14default_configENS1_36segmented_radix_sort_config_selectorI12hip_bfloat16lEEZNS1_25segmented_radix_sort_implIS3_Lb1EPKS5_PS5_PKlPlN2at6native12_GLOBAL__N_18offset_tEEE10hipError_tPvRmT1_PNSt15iterator_traitsISL_E10value_typeET2_T3_PNSM_ISR_E10value_typeET4_jRbjT5_SX_jjP12ihipStream_tbEUlT_E_NS1_11comp_targetILNS1_3genE5ELNS1_11target_archE942ELNS1_3gpuE9ELNS1_3repE0EEENS1_30default_config_static_selectorELNS0_4arch9wavefront6targetE0EEEvSL_,"axG",@progbits,_ZN7rocprim17ROCPRIM_400000_NS6detail17trampoline_kernelINS0_14default_configENS1_36segmented_radix_sort_config_selectorI12hip_bfloat16lEEZNS1_25segmented_radix_sort_implIS3_Lb1EPKS5_PS5_PKlPlN2at6native12_GLOBAL__N_18offset_tEEE10hipError_tPvRmT1_PNSt15iterator_traitsISL_E10value_typeET2_T3_PNSM_ISR_E10value_typeET4_jRbjT5_SX_jjP12ihipStream_tbEUlT_E_NS1_11comp_targetILNS1_3genE5ELNS1_11target_archE942ELNS1_3gpuE9ELNS1_3repE0EEENS1_30default_config_static_selectorELNS0_4arch9wavefront6targetE0EEEvSL_,comdat
.Lfunc_end1947:
	.size	_ZN7rocprim17ROCPRIM_400000_NS6detail17trampoline_kernelINS0_14default_configENS1_36segmented_radix_sort_config_selectorI12hip_bfloat16lEEZNS1_25segmented_radix_sort_implIS3_Lb1EPKS5_PS5_PKlPlN2at6native12_GLOBAL__N_18offset_tEEE10hipError_tPvRmT1_PNSt15iterator_traitsISL_E10value_typeET2_T3_PNSM_ISR_E10value_typeET4_jRbjT5_SX_jjP12ihipStream_tbEUlT_E_NS1_11comp_targetILNS1_3genE5ELNS1_11target_archE942ELNS1_3gpuE9ELNS1_3repE0EEENS1_30default_config_static_selectorELNS0_4arch9wavefront6targetE0EEEvSL_, .Lfunc_end1947-_ZN7rocprim17ROCPRIM_400000_NS6detail17trampoline_kernelINS0_14default_configENS1_36segmented_radix_sort_config_selectorI12hip_bfloat16lEEZNS1_25segmented_radix_sort_implIS3_Lb1EPKS5_PS5_PKlPlN2at6native12_GLOBAL__N_18offset_tEEE10hipError_tPvRmT1_PNSt15iterator_traitsISL_E10value_typeET2_T3_PNSM_ISR_E10value_typeET4_jRbjT5_SX_jjP12ihipStream_tbEUlT_E_NS1_11comp_targetILNS1_3genE5ELNS1_11target_archE942ELNS1_3gpuE9ELNS1_3repE0EEENS1_30default_config_static_selectorELNS0_4arch9wavefront6targetE0EEEvSL_
                                        ; -- End function
	.set _ZN7rocprim17ROCPRIM_400000_NS6detail17trampoline_kernelINS0_14default_configENS1_36segmented_radix_sort_config_selectorI12hip_bfloat16lEEZNS1_25segmented_radix_sort_implIS3_Lb1EPKS5_PS5_PKlPlN2at6native12_GLOBAL__N_18offset_tEEE10hipError_tPvRmT1_PNSt15iterator_traitsISL_E10value_typeET2_T3_PNSM_ISR_E10value_typeET4_jRbjT5_SX_jjP12ihipStream_tbEUlT_E_NS1_11comp_targetILNS1_3genE5ELNS1_11target_archE942ELNS1_3gpuE9ELNS1_3repE0EEENS1_30default_config_static_selectorELNS0_4arch9wavefront6targetE0EEEvSL_.num_vgpr, 0
	.set _ZN7rocprim17ROCPRIM_400000_NS6detail17trampoline_kernelINS0_14default_configENS1_36segmented_radix_sort_config_selectorI12hip_bfloat16lEEZNS1_25segmented_radix_sort_implIS3_Lb1EPKS5_PS5_PKlPlN2at6native12_GLOBAL__N_18offset_tEEE10hipError_tPvRmT1_PNSt15iterator_traitsISL_E10value_typeET2_T3_PNSM_ISR_E10value_typeET4_jRbjT5_SX_jjP12ihipStream_tbEUlT_E_NS1_11comp_targetILNS1_3genE5ELNS1_11target_archE942ELNS1_3gpuE9ELNS1_3repE0EEENS1_30default_config_static_selectorELNS0_4arch9wavefront6targetE0EEEvSL_.num_agpr, 0
	.set _ZN7rocprim17ROCPRIM_400000_NS6detail17trampoline_kernelINS0_14default_configENS1_36segmented_radix_sort_config_selectorI12hip_bfloat16lEEZNS1_25segmented_radix_sort_implIS3_Lb1EPKS5_PS5_PKlPlN2at6native12_GLOBAL__N_18offset_tEEE10hipError_tPvRmT1_PNSt15iterator_traitsISL_E10value_typeET2_T3_PNSM_ISR_E10value_typeET4_jRbjT5_SX_jjP12ihipStream_tbEUlT_E_NS1_11comp_targetILNS1_3genE5ELNS1_11target_archE942ELNS1_3gpuE9ELNS1_3repE0EEENS1_30default_config_static_selectorELNS0_4arch9wavefront6targetE0EEEvSL_.numbered_sgpr, 0
	.set _ZN7rocprim17ROCPRIM_400000_NS6detail17trampoline_kernelINS0_14default_configENS1_36segmented_radix_sort_config_selectorI12hip_bfloat16lEEZNS1_25segmented_radix_sort_implIS3_Lb1EPKS5_PS5_PKlPlN2at6native12_GLOBAL__N_18offset_tEEE10hipError_tPvRmT1_PNSt15iterator_traitsISL_E10value_typeET2_T3_PNSM_ISR_E10value_typeET4_jRbjT5_SX_jjP12ihipStream_tbEUlT_E_NS1_11comp_targetILNS1_3genE5ELNS1_11target_archE942ELNS1_3gpuE9ELNS1_3repE0EEENS1_30default_config_static_selectorELNS0_4arch9wavefront6targetE0EEEvSL_.num_named_barrier, 0
	.set _ZN7rocprim17ROCPRIM_400000_NS6detail17trampoline_kernelINS0_14default_configENS1_36segmented_radix_sort_config_selectorI12hip_bfloat16lEEZNS1_25segmented_radix_sort_implIS3_Lb1EPKS5_PS5_PKlPlN2at6native12_GLOBAL__N_18offset_tEEE10hipError_tPvRmT1_PNSt15iterator_traitsISL_E10value_typeET2_T3_PNSM_ISR_E10value_typeET4_jRbjT5_SX_jjP12ihipStream_tbEUlT_E_NS1_11comp_targetILNS1_3genE5ELNS1_11target_archE942ELNS1_3gpuE9ELNS1_3repE0EEENS1_30default_config_static_selectorELNS0_4arch9wavefront6targetE0EEEvSL_.private_seg_size, 0
	.set _ZN7rocprim17ROCPRIM_400000_NS6detail17trampoline_kernelINS0_14default_configENS1_36segmented_radix_sort_config_selectorI12hip_bfloat16lEEZNS1_25segmented_radix_sort_implIS3_Lb1EPKS5_PS5_PKlPlN2at6native12_GLOBAL__N_18offset_tEEE10hipError_tPvRmT1_PNSt15iterator_traitsISL_E10value_typeET2_T3_PNSM_ISR_E10value_typeET4_jRbjT5_SX_jjP12ihipStream_tbEUlT_E_NS1_11comp_targetILNS1_3genE5ELNS1_11target_archE942ELNS1_3gpuE9ELNS1_3repE0EEENS1_30default_config_static_selectorELNS0_4arch9wavefront6targetE0EEEvSL_.uses_vcc, 0
	.set _ZN7rocprim17ROCPRIM_400000_NS6detail17trampoline_kernelINS0_14default_configENS1_36segmented_radix_sort_config_selectorI12hip_bfloat16lEEZNS1_25segmented_radix_sort_implIS3_Lb1EPKS5_PS5_PKlPlN2at6native12_GLOBAL__N_18offset_tEEE10hipError_tPvRmT1_PNSt15iterator_traitsISL_E10value_typeET2_T3_PNSM_ISR_E10value_typeET4_jRbjT5_SX_jjP12ihipStream_tbEUlT_E_NS1_11comp_targetILNS1_3genE5ELNS1_11target_archE942ELNS1_3gpuE9ELNS1_3repE0EEENS1_30default_config_static_selectorELNS0_4arch9wavefront6targetE0EEEvSL_.uses_flat_scratch, 0
	.set _ZN7rocprim17ROCPRIM_400000_NS6detail17trampoline_kernelINS0_14default_configENS1_36segmented_radix_sort_config_selectorI12hip_bfloat16lEEZNS1_25segmented_radix_sort_implIS3_Lb1EPKS5_PS5_PKlPlN2at6native12_GLOBAL__N_18offset_tEEE10hipError_tPvRmT1_PNSt15iterator_traitsISL_E10value_typeET2_T3_PNSM_ISR_E10value_typeET4_jRbjT5_SX_jjP12ihipStream_tbEUlT_E_NS1_11comp_targetILNS1_3genE5ELNS1_11target_archE942ELNS1_3gpuE9ELNS1_3repE0EEENS1_30default_config_static_selectorELNS0_4arch9wavefront6targetE0EEEvSL_.has_dyn_sized_stack, 0
	.set _ZN7rocprim17ROCPRIM_400000_NS6detail17trampoline_kernelINS0_14default_configENS1_36segmented_radix_sort_config_selectorI12hip_bfloat16lEEZNS1_25segmented_radix_sort_implIS3_Lb1EPKS5_PS5_PKlPlN2at6native12_GLOBAL__N_18offset_tEEE10hipError_tPvRmT1_PNSt15iterator_traitsISL_E10value_typeET2_T3_PNSM_ISR_E10value_typeET4_jRbjT5_SX_jjP12ihipStream_tbEUlT_E_NS1_11comp_targetILNS1_3genE5ELNS1_11target_archE942ELNS1_3gpuE9ELNS1_3repE0EEENS1_30default_config_static_selectorELNS0_4arch9wavefront6targetE0EEEvSL_.has_recursion, 0
	.set _ZN7rocprim17ROCPRIM_400000_NS6detail17trampoline_kernelINS0_14default_configENS1_36segmented_radix_sort_config_selectorI12hip_bfloat16lEEZNS1_25segmented_radix_sort_implIS3_Lb1EPKS5_PS5_PKlPlN2at6native12_GLOBAL__N_18offset_tEEE10hipError_tPvRmT1_PNSt15iterator_traitsISL_E10value_typeET2_T3_PNSM_ISR_E10value_typeET4_jRbjT5_SX_jjP12ihipStream_tbEUlT_E_NS1_11comp_targetILNS1_3genE5ELNS1_11target_archE942ELNS1_3gpuE9ELNS1_3repE0EEENS1_30default_config_static_selectorELNS0_4arch9wavefront6targetE0EEEvSL_.has_indirect_call, 0
	.section	.AMDGPU.csdata,"",@progbits
; Kernel info:
; codeLenInByte = 0
; TotalNumSgprs: 0
; NumVgprs: 0
; ScratchSize: 0
; MemoryBound: 0
; FloatMode: 240
; IeeeMode: 1
; LDSByteSize: 0 bytes/workgroup (compile time only)
; SGPRBlocks: 0
; VGPRBlocks: 0
; NumSGPRsForWavesPerEU: 1
; NumVGPRsForWavesPerEU: 1
; Occupancy: 16
; WaveLimiterHint : 0
; COMPUTE_PGM_RSRC2:SCRATCH_EN: 0
; COMPUTE_PGM_RSRC2:USER_SGPR: 2
; COMPUTE_PGM_RSRC2:TRAP_HANDLER: 0
; COMPUTE_PGM_RSRC2:TGID_X_EN: 1
; COMPUTE_PGM_RSRC2:TGID_Y_EN: 0
; COMPUTE_PGM_RSRC2:TGID_Z_EN: 0
; COMPUTE_PGM_RSRC2:TIDIG_COMP_CNT: 0
	.section	.text._ZN7rocprim17ROCPRIM_400000_NS6detail17trampoline_kernelINS0_14default_configENS1_36segmented_radix_sort_config_selectorI12hip_bfloat16lEEZNS1_25segmented_radix_sort_implIS3_Lb1EPKS5_PS5_PKlPlN2at6native12_GLOBAL__N_18offset_tEEE10hipError_tPvRmT1_PNSt15iterator_traitsISL_E10value_typeET2_T3_PNSM_ISR_E10value_typeET4_jRbjT5_SX_jjP12ihipStream_tbEUlT_E_NS1_11comp_targetILNS1_3genE4ELNS1_11target_archE910ELNS1_3gpuE8ELNS1_3repE0EEENS1_30default_config_static_selectorELNS0_4arch9wavefront6targetE0EEEvSL_,"axG",@progbits,_ZN7rocprim17ROCPRIM_400000_NS6detail17trampoline_kernelINS0_14default_configENS1_36segmented_radix_sort_config_selectorI12hip_bfloat16lEEZNS1_25segmented_radix_sort_implIS3_Lb1EPKS5_PS5_PKlPlN2at6native12_GLOBAL__N_18offset_tEEE10hipError_tPvRmT1_PNSt15iterator_traitsISL_E10value_typeET2_T3_PNSM_ISR_E10value_typeET4_jRbjT5_SX_jjP12ihipStream_tbEUlT_E_NS1_11comp_targetILNS1_3genE4ELNS1_11target_archE910ELNS1_3gpuE8ELNS1_3repE0EEENS1_30default_config_static_selectorELNS0_4arch9wavefront6targetE0EEEvSL_,comdat
	.globl	_ZN7rocprim17ROCPRIM_400000_NS6detail17trampoline_kernelINS0_14default_configENS1_36segmented_radix_sort_config_selectorI12hip_bfloat16lEEZNS1_25segmented_radix_sort_implIS3_Lb1EPKS5_PS5_PKlPlN2at6native12_GLOBAL__N_18offset_tEEE10hipError_tPvRmT1_PNSt15iterator_traitsISL_E10value_typeET2_T3_PNSM_ISR_E10value_typeET4_jRbjT5_SX_jjP12ihipStream_tbEUlT_E_NS1_11comp_targetILNS1_3genE4ELNS1_11target_archE910ELNS1_3gpuE8ELNS1_3repE0EEENS1_30default_config_static_selectorELNS0_4arch9wavefront6targetE0EEEvSL_ ; -- Begin function _ZN7rocprim17ROCPRIM_400000_NS6detail17trampoline_kernelINS0_14default_configENS1_36segmented_radix_sort_config_selectorI12hip_bfloat16lEEZNS1_25segmented_radix_sort_implIS3_Lb1EPKS5_PS5_PKlPlN2at6native12_GLOBAL__N_18offset_tEEE10hipError_tPvRmT1_PNSt15iterator_traitsISL_E10value_typeET2_T3_PNSM_ISR_E10value_typeET4_jRbjT5_SX_jjP12ihipStream_tbEUlT_E_NS1_11comp_targetILNS1_3genE4ELNS1_11target_archE910ELNS1_3gpuE8ELNS1_3repE0EEENS1_30default_config_static_selectorELNS0_4arch9wavefront6targetE0EEEvSL_
	.p2align	8
	.type	_ZN7rocprim17ROCPRIM_400000_NS6detail17trampoline_kernelINS0_14default_configENS1_36segmented_radix_sort_config_selectorI12hip_bfloat16lEEZNS1_25segmented_radix_sort_implIS3_Lb1EPKS5_PS5_PKlPlN2at6native12_GLOBAL__N_18offset_tEEE10hipError_tPvRmT1_PNSt15iterator_traitsISL_E10value_typeET2_T3_PNSM_ISR_E10value_typeET4_jRbjT5_SX_jjP12ihipStream_tbEUlT_E_NS1_11comp_targetILNS1_3genE4ELNS1_11target_archE910ELNS1_3gpuE8ELNS1_3repE0EEENS1_30default_config_static_selectorELNS0_4arch9wavefront6targetE0EEEvSL_,@function
_ZN7rocprim17ROCPRIM_400000_NS6detail17trampoline_kernelINS0_14default_configENS1_36segmented_radix_sort_config_selectorI12hip_bfloat16lEEZNS1_25segmented_radix_sort_implIS3_Lb1EPKS5_PS5_PKlPlN2at6native12_GLOBAL__N_18offset_tEEE10hipError_tPvRmT1_PNSt15iterator_traitsISL_E10value_typeET2_T3_PNSM_ISR_E10value_typeET4_jRbjT5_SX_jjP12ihipStream_tbEUlT_E_NS1_11comp_targetILNS1_3genE4ELNS1_11target_archE910ELNS1_3gpuE8ELNS1_3repE0EEENS1_30default_config_static_selectorELNS0_4arch9wavefront6targetE0EEEvSL_: ; @_ZN7rocprim17ROCPRIM_400000_NS6detail17trampoline_kernelINS0_14default_configENS1_36segmented_radix_sort_config_selectorI12hip_bfloat16lEEZNS1_25segmented_radix_sort_implIS3_Lb1EPKS5_PS5_PKlPlN2at6native12_GLOBAL__N_18offset_tEEE10hipError_tPvRmT1_PNSt15iterator_traitsISL_E10value_typeET2_T3_PNSM_ISR_E10value_typeET4_jRbjT5_SX_jjP12ihipStream_tbEUlT_E_NS1_11comp_targetILNS1_3genE4ELNS1_11target_archE910ELNS1_3gpuE8ELNS1_3repE0EEENS1_30default_config_static_selectorELNS0_4arch9wavefront6targetE0EEEvSL_
; %bb.0:
	.section	.rodata,"a",@progbits
	.p2align	6, 0x0
	.amdhsa_kernel _ZN7rocprim17ROCPRIM_400000_NS6detail17trampoline_kernelINS0_14default_configENS1_36segmented_radix_sort_config_selectorI12hip_bfloat16lEEZNS1_25segmented_radix_sort_implIS3_Lb1EPKS5_PS5_PKlPlN2at6native12_GLOBAL__N_18offset_tEEE10hipError_tPvRmT1_PNSt15iterator_traitsISL_E10value_typeET2_T3_PNSM_ISR_E10value_typeET4_jRbjT5_SX_jjP12ihipStream_tbEUlT_E_NS1_11comp_targetILNS1_3genE4ELNS1_11target_archE910ELNS1_3gpuE8ELNS1_3repE0EEENS1_30default_config_static_selectorELNS0_4arch9wavefront6targetE0EEEvSL_
		.amdhsa_group_segment_fixed_size 0
		.amdhsa_private_segment_fixed_size 0
		.amdhsa_kernarg_size 96
		.amdhsa_user_sgpr_count 2
		.amdhsa_user_sgpr_dispatch_ptr 0
		.amdhsa_user_sgpr_queue_ptr 0
		.amdhsa_user_sgpr_kernarg_segment_ptr 1
		.amdhsa_user_sgpr_dispatch_id 0
		.amdhsa_user_sgpr_private_segment_size 0
		.amdhsa_wavefront_size32 1
		.amdhsa_uses_dynamic_stack 0
		.amdhsa_enable_private_segment 0
		.amdhsa_system_sgpr_workgroup_id_x 1
		.amdhsa_system_sgpr_workgroup_id_y 0
		.amdhsa_system_sgpr_workgroup_id_z 0
		.amdhsa_system_sgpr_workgroup_info 0
		.amdhsa_system_vgpr_workitem_id 0
		.amdhsa_next_free_vgpr 1
		.amdhsa_next_free_sgpr 1
		.amdhsa_reserve_vcc 0
		.amdhsa_float_round_mode_32 0
		.amdhsa_float_round_mode_16_64 0
		.amdhsa_float_denorm_mode_32 3
		.amdhsa_float_denorm_mode_16_64 3
		.amdhsa_fp16_overflow 0
		.amdhsa_workgroup_processor_mode 1
		.amdhsa_memory_ordered 1
		.amdhsa_forward_progress 1
		.amdhsa_inst_pref_size 0
		.amdhsa_round_robin_scheduling 0
		.amdhsa_exception_fp_ieee_invalid_op 0
		.amdhsa_exception_fp_denorm_src 0
		.amdhsa_exception_fp_ieee_div_zero 0
		.amdhsa_exception_fp_ieee_overflow 0
		.amdhsa_exception_fp_ieee_underflow 0
		.amdhsa_exception_fp_ieee_inexact 0
		.amdhsa_exception_int_div_zero 0
	.end_amdhsa_kernel
	.section	.text._ZN7rocprim17ROCPRIM_400000_NS6detail17trampoline_kernelINS0_14default_configENS1_36segmented_radix_sort_config_selectorI12hip_bfloat16lEEZNS1_25segmented_radix_sort_implIS3_Lb1EPKS5_PS5_PKlPlN2at6native12_GLOBAL__N_18offset_tEEE10hipError_tPvRmT1_PNSt15iterator_traitsISL_E10value_typeET2_T3_PNSM_ISR_E10value_typeET4_jRbjT5_SX_jjP12ihipStream_tbEUlT_E_NS1_11comp_targetILNS1_3genE4ELNS1_11target_archE910ELNS1_3gpuE8ELNS1_3repE0EEENS1_30default_config_static_selectorELNS0_4arch9wavefront6targetE0EEEvSL_,"axG",@progbits,_ZN7rocprim17ROCPRIM_400000_NS6detail17trampoline_kernelINS0_14default_configENS1_36segmented_radix_sort_config_selectorI12hip_bfloat16lEEZNS1_25segmented_radix_sort_implIS3_Lb1EPKS5_PS5_PKlPlN2at6native12_GLOBAL__N_18offset_tEEE10hipError_tPvRmT1_PNSt15iterator_traitsISL_E10value_typeET2_T3_PNSM_ISR_E10value_typeET4_jRbjT5_SX_jjP12ihipStream_tbEUlT_E_NS1_11comp_targetILNS1_3genE4ELNS1_11target_archE910ELNS1_3gpuE8ELNS1_3repE0EEENS1_30default_config_static_selectorELNS0_4arch9wavefront6targetE0EEEvSL_,comdat
.Lfunc_end1948:
	.size	_ZN7rocprim17ROCPRIM_400000_NS6detail17trampoline_kernelINS0_14default_configENS1_36segmented_radix_sort_config_selectorI12hip_bfloat16lEEZNS1_25segmented_radix_sort_implIS3_Lb1EPKS5_PS5_PKlPlN2at6native12_GLOBAL__N_18offset_tEEE10hipError_tPvRmT1_PNSt15iterator_traitsISL_E10value_typeET2_T3_PNSM_ISR_E10value_typeET4_jRbjT5_SX_jjP12ihipStream_tbEUlT_E_NS1_11comp_targetILNS1_3genE4ELNS1_11target_archE910ELNS1_3gpuE8ELNS1_3repE0EEENS1_30default_config_static_selectorELNS0_4arch9wavefront6targetE0EEEvSL_, .Lfunc_end1948-_ZN7rocprim17ROCPRIM_400000_NS6detail17trampoline_kernelINS0_14default_configENS1_36segmented_radix_sort_config_selectorI12hip_bfloat16lEEZNS1_25segmented_radix_sort_implIS3_Lb1EPKS5_PS5_PKlPlN2at6native12_GLOBAL__N_18offset_tEEE10hipError_tPvRmT1_PNSt15iterator_traitsISL_E10value_typeET2_T3_PNSM_ISR_E10value_typeET4_jRbjT5_SX_jjP12ihipStream_tbEUlT_E_NS1_11comp_targetILNS1_3genE4ELNS1_11target_archE910ELNS1_3gpuE8ELNS1_3repE0EEENS1_30default_config_static_selectorELNS0_4arch9wavefront6targetE0EEEvSL_
                                        ; -- End function
	.set _ZN7rocprim17ROCPRIM_400000_NS6detail17trampoline_kernelINS0_14default_configENS1_36segmented_radix_sort_config_selectorI12hip_bfloat16lEEZNS1_25segmented_radix_sort_implIS3_Lb1EPKS5_PS5_PKlPlN2at6native12_GLOBAL__N_18offset_tEEE10hipError_tPvRmT1_PNSt15iterator_traitsISL_E10value_typeET2_T3_PNSM_ISR_E10value_typeET4_jRbjT5_SX_jjP12ihipStream_tbEUlT_E_NS1_11comp_targetILNS1_3genE4ELNS1_11target_archE910ELNS1_3gpuE8ELNS1_3repE0EEENS1_30default_config_static_selectorELNS0_4arch9wavefront6targetE0EEEvSL_.num_vgpr, 0
	.set _ZN7rocprim17ROCPRIM_400000_NS6detail17trampoline_kernelINS0_14default_configENS1_36segmented_radix_sort_config_selectorI12hip_bfloat16lEEZNS1_25segmented_radix_sort_implIS3_Lb1EPKS5_PS5_PKlPlN2at6native12_GLOBAL__N_18offset_tEEE10hipError_tPvRmT1_PNSt15iterator_traitsISL_E10value_typeET2_T3_PNSM_ISR_E10value_typeET4_jRbjT5_SX_jjP12ihipStream_tbEUlT_E_NS1_11comp_targetILNS1_3genE4ELNS1_11target_archE910ELNS1_3gpuE8ELNS1_3repE0EEENS1_30default_config_static_selectorELNS0_4arch9wavefront6targetE0EEEvSL_.num_agpr, 0
	.set _ZN7rocprim17ROCPRIM_400000_NS6detail17trampoline_kernelINS0_14default_configENS1_36segmented_radix_sort_config_selectorI12hip_bfloat16lEEZNS1_25segmented_radix_sort_implIS3_Lb1EPKS5_PS5_PKlPlN2at6native12_GLOBAL__N_18offset_tEEE10hipError_tPvRmT1_PNSt15iterator_traitsISL_E10value_typeET2_T3_PNSM_ISR_E10value_typeET4_jRbjT5_SX_jjP12ihipStream_tbEUlT_E_NS1_11comp_targetILNS1_3genE4ELNS1_11target_archE910ELNS1_3gpuE8ELNS1_3repE0EEENS1_30default_config_static_selectorELNS0_4arch9wavefront6targetE0EEEvSL_.numbered_sgpr, 0
	.set _ZN7rocprim17ROCPRIM_400000_NS6detail17trampoline_kernelINS0_14default_configENS1_36segmented_radix_sort_config_selectorI12hip_bfloat16lEEZNS1_25segmented_radix_sort_implIS3_Lb1EPKS5_PS5_PKlPlN2at6native12_GLOBAL__N_18offset_tEEE10hipError_tPvRmT1_PNSt15iterator_traitsISL_E10value_typeET2_T3_PNSM_ISR_E10value_typeET4_jRbjT5_SX_jjP12ihipStream_tbEUlT_E_NS1_11comp_targetILNS1_3genE4ELNS1_11target_archE910ELNS1_3gpuE8ELNS1_3repE0EEENS1_30default_config_static_selectorELNS0_4arch9wavefront6targetE0EEEvSL_.num_named_barrier, 0
	.set _ZN7rocprim17ROCPRIM_400000_NS6detail17trampoline_kernelINS0_14default_configENS1_36segmented_radix_sort_config_selectorI12hip_bfloat16lEEZNS1_25segmented_radix_sort_implIS3_Lb1EPKS5_PS5_PKlPlN2at6native12_GLOBAL__N_18offset_tEEE10hipError_tPvRmT1_PNSt15iterator_traitsISL_E10value_typeET2_T3_PNSM_ISR_E10value_typeET4_jRbjT5_SX_jjP12ihipStream_tbEUlT_E_NS1_11comp_targetILNS1_3genE4ELNS1_11target_archE910ELNS1_3gpuE8ELNS1_3repE0EEENS1_30default_config_static_selectorELNS0_4arch9wavefront6targetE0EEEvSL_.private_seg_size, 0
	.set _ZN7rocprim17ROCPRIM_400000_NS6detail17trampoline_kernelINS0_14default_configENS1_36segmented_radix_sort_config_selectorI12hip_bfloat16lEEZNS1_25segmented_radix_sort_implIS3_Lb1EPKS5_PS5_PKlPlN2at6native12_GLOBAL__N_18offset_tEEE10hipError_tPvRmT1_PNSt15iterator_traitsISL_E10value_typeET2_T3_PNSM_ISR_E10value_typeET4_jRbjT5_SX_jjP12ihipStream_tbEUlT_E_NS1_11comp_targetILNS1_3genE4ELNS1_11target_archE910ELNS1_3gpuE8ELNS1_3repE0EEENS1_30default_config_static_selectorELNS0_4arch9wavefront6targetE0EEEvSL_.uses_vcc, 0
	.set _ZN7rocprim17ROCPRIM_400000_NS6detail17trampoline_kernelINS0_14default_configENS1_36segmented_radix_sort_config_selectorI12hip_bfloat16lEEZNS1_25segmented_radix_sort_implIS3_Lb1EPKS5_PS5_PKlPlN2at6native12_GLOBAL__N_18offset_tEEE10hipError_tPvRmT1_PNSt15iterator_traitsISL_E10value_typeET2_T3_PNSM_ISR_E10value_typeET4_jRbjT5_SX_jjP12ihipStream_tbEUlT_E_NS1_11comp_targetILNS1_3genE4ELNS1_11target_archE910ELNS1_3gpuE8ELNS1_3repE0EEENS1_30default_config_static_selectorELNS0_4arch9wavefront6targetE0EEEvSL_.uses_flat_scratch, 0
	.set _ZN7rocprim17ROCPRIM_400000_NS6detail17trampoline_kernelINS0_14default_configENS1_36segmented_radix_sort_config_selectorI12hip_bfloat16lEEZNS1_25segmented_radix_sort_implIS3_Lb1EPKS5_PS5_PKlPlN2at6native12_GLOBAL__N_18offset_tEEE10hipError_tPvRmT1_PNSt15iterator_traitsISL_E10value_typeET2_T3_PNSM_ISR_E10value_typeET4_jRbjT5_SX_jjP12ihipStream_tbEUlT_E_NS1_11comp_targetILNS1_3genE4ELNS1_11target_archE910ELNS1_3gpuE8ELNS1_3repE0EEENS1_30default_config_static_selectorELNS0_4arch9wavefront6targetE0EEEvSL_.has_dyn_sized_stack, 0
	.set _ZN7rocprim17ROCPRIM_400000_NS6detail17trampoline_kernelINS0_14default_configENS1_36segmented_radix_sort_config_selectorI12hip_bfloat16lEEZNS1_25segmented_radix_sort_implIS3_Lb1EPKS5_PS5_PKlPlN2at6native12_GLOBAL__N_18offset_tEEE10hipError_tPvRmT1_PNSt15iterator_traitsISL_E10value_typeET2_T3_PNSM_ISR_E10value_typeET4_jRbjT5_SX_jjP12ihipStream_tbEUlT_E_NS1_11comp_targetILNS1_3genE4ELNS1_11target_archE910ELNS1_3gpuE8ELNS1_3repE0EEENS1_30default_config_static_selectorELNS0_4arch9wavefront6targetE0EEEvSL_.has_recursion, 0
	.set _ZN7rocprim17ROCPRIM_400000_NS6detail17trampoline_kernelINS0_14default_configENS1_36segmented_radix_sort_config_selectorI12hip_bfloat16lEEZNS1_25segmented_radix_sort_implIS3_Lb1EPKS5_PS5_PKlPlN2at6native12_GLOBAL__N_18offset_tEEE10hipError_tPvRmT1_PNSt15iterator_traitsISL_E10value_typeET2_T3_PNSM_ISR_E10value_typeET4_jRbjT5_SX_jjP12ihipStream_tbEUlT_E_NS1_11comp_targetILNS1_3genE4ELNS1_11target_archE910ELNS1_3gpuE8ELNS1_3repE0EEENS1_30default_config_static_selectorELNS0_4arch9wavefront6targetE0EEEvSL_.has_indirect_call, 0
	.section	.AMDGPU.csdata,"",@progbits
; Kernel info:
; codeLenInByte = 0
; TotalNumSgprs: 0
; NumVgprs: 0
; ScratchSize: 0
; MemoryBound: 0
; FloatMode: 240
; IeeeMode: 1
; LDSByteSize: 0 bytes/workgroup (compile time only)
; SGPRBlocks: 0
; VGPRBlocks: 0
; NumSGPRsForWavesPerEU: 1
; NumVGPRsForWavesPerEU: 1
; Occupancy: 16
; WaveLimiterHint : 0
; COMPUTE_PGM_RSRC2:SCRATCH_EN: 0
; COMPUTE_PGM_RSRC2:USER_SGPR: 2
; COMPUTE_PGM_RSRC2:TRAP_HANDLER: 0
; COMPUTE_PGM_RSRC2:TGID_X_EN: 1
; COMPUTE_PGM_RSRC2:TGID_Y_EN: 0
; COMPUTE_PGM_RSRC2:TGID_Z_EN: 0
; COMPUTE_PGM_RSRC2:TIDIG_COMP_CNT: 0
	.section	.text._ZN7rocprim17ROCPRIM_400000_NS6detail17trampoline_kernelINS0_14default_configENS1_36segmented_radix_sort_config_selectorI12hip_bfloat16lEEZNS1_25segmented_radix_sort_implIS3_Lb1EPKS5_PS5_PKlPlN2at6native12_GLOBAL__N_18offset_tEEE10hipError_tPvRmT1_PNSt15iterator_traitsISL_E10value_typeET2_T3_PNSM_ISR_E10value_typeET4_jRbjT5_SX_jjP12ihipStream_tbEUlT_E_NS1_11comp_targetILNS1_3genE3ELNS1_11target_archE908ELNS1_3gpuE7ELNS1_3repE0EEENS1_30default_config_static_selectorELNS0_4arch9wavefront6targetE0EEEvSL_,"axG",@progbits,_ZN7rocprim17ROCPRIM_400000_NS6detail17trampoline_kernelINS0_14default_configENS1_36segmented_radix_sort_config_selectorI12hip_bfloat16lEEZNS1_25segmented_radix_sort_implIS3_Lb1EPKS5_PS5_PKlPlN2at6native12_GLOBAL__N_18offset_tEEE10hipError_tPvRmT1_PNSt15iterator_traitsISL_E10value_typeET2_T3_PNSM_ISR_E10value_typeET4_jRbjT5_SX_jjP12ihipStream_tbEUlT_E_NS1_11comp_targetILNS1_3genE3ELNS1_11target_archE908ELNS1_3gpuE7ELNS1_3repE0EEENS1_30default_config_static_selectorELNS0_4arch9wavefront6targetE0EEEvSL_,comdat
	.globl	_ZN7rocprim17ROCPRIM_400000_NS6detail17trampoline_kernelINS0_14default_configENS1_36segmented_radix_sort_config_selectorI12hip_bfloat16lEEZNS1_25segmented_radix_sort_implIS3_Lb1EPKS5_PS5_PKlPlN2at6native12_GLOBAL__N_18offset_tEEE10hipError_tPvRmT1_PNSt15iterator_traitsISL_E10value_typeET2_T3_PNSM_ISR_E10value_typeET4_jRbjT5_SX_jjP12ihipStream_tbEUlT_E_NS1_11comp_targetILNS1_3genE3ELNS1_11target_archE908ELNS1_3gpuE7ELNS1_3repE0EEENS1_30default_config_static_selectorELNS0_4arch9wavefront6targetE0EEEvSL_ ; -- Begin function _ZN7rocprim17ROCPRIM_400000_NS6detail17trampoline_kernelINS0_14default_configENS1_36segmented_radix_sort_config_selectorI12hip_bfloat16lEEZNS1_25segmented_radix_sort_implIS3_Lb1EPKS5_PS5_PKlPlN2at6native12_GLOBAL__N_18offset_tEEE10hipError_tPvRmT1_PNSt15iterator_traitsISL_E10value_typeET2_T3_PNSM_ISR_E10value_typeET4_jRbjT5_SX_jjP12ihipStream_tbEUlT_E_NS1_11comp_targetILNS1_3genE3ELNS1_11target_archE908ELNS1_3gpuE7ELNS1_3repE0EEENS1_30default_config_static_selectorELNS0_4arch9wavefront6targetE0EEEvSL_
	.p2align	8
	.type	_ZN7rocprim17ROCPRIM_400000_NS6detail17trampoline_kernelINS0_14default_configENS1_36segmented_radix_sort_config_selectorI12hip_bfloat16lEEZNS1_25segmented_radix_sort_implIS3_Lb1EPKS5_PS5_PKlPlN2at6native12_GLOBAL__N_18offset_tEEE10hipError_tPvRmT1_PNSt15iterator_traitsISL_E10value_typeET2_T3_PNSM_ISR_E10value_typeET4_jRbjT5_SX_jjP12ihipStream_tbEUlT_E_NS1_11comp_targetILNS1_3genE3ELNS1_11target_archE908ELNS1_3gpuE7ELNS1_3repE0EEENS1_30default_config_static_selectorELNS0_4arch9wavefront6targetE0EEEvSL_,@function
_ZN7rocprim17ROCPRIM_400000_NS6detail17trampoline_kernelINS0_14default_configENS1_36segmented_radix_sort_config_selectorI12hip_bfloat16lEEZNS1_25segmented_radix_sort_implIS3_Lb1EPKS5_PS5_PKlPlN2at6native12_GLOBAL__N_18offset_tEEE10hipError_tPvRmT1_PNSt15iterator_traitsISL_E10value_typeET2_T3_PNSM_ISR_E10value_typeET4_jRbjT5_SX_jjP12ihipStream_tbEUlT_E_NS1_11comp_targetILNS1_3genE3ELNS1_11target_archE908ELNS1_3gpuE7ELNS1_3repE0EEENS1_30default_config_static_selectorELNS0_4arch9wavefront6targetE0EEEvSL_: ; @_ZN7rocprim17ROCPRIM_400000_NS6detail17trampoline_kernelINS0_14default_configENS1_36segmented_radix_sort_config_selectorI12hip_bfloat16lEEZNS1_25segmented_radix_sort_implIS3_Lb1EPKS5_PS5_PKlPlN2at6native12_GLOBAL__N_18offset_tEEE10hipError_tPvRmT1_PNSt15iterator_traitsISL_E10value_typeET2_T3_PNSM_ISR_E10value_typeET4_jRbjT5_SX_jjP12ihipStream_tbEUlT_E_NS1_11comp_targetILNS1_3genE3ELNS1_11target_archE908ELNS1_3gpuE7ELNS1_3repE0EEENS1_30default_config_static_selectorELNS0_4arch9wavefront6targetE0EEEvSL_
; %bb.0:
	.section	.rodata,"a",@progbits
	.p2align	6, 0x0
	.amdhsa_kernel _ZN7rocprim17ROCPRIM_400000_NS6detail17trampoline_kernelINS0_14default_configENS1_36segmented_radix_sort_config_selectorI12hip_bfloat16lEEZNS1_25segmented_radix_sort_implIS3_Lb1EPKS5_PS5_PKlPlN2at6native12_GLOBAL__N_18offset_tEEE10hipError_tPvRmT1_PNSt15iterator_traitsISL_E10value_typeET2_T3_PNSM_ISR_E10value_typeET4_jRbjT5_SX_jjP12ihipStream_tbEUlT_E_NS1_11comp_targetILNS1_3genE3ELNS1_11target_archE908ELNS1_3gpuE7ELNS1_3repE0EEENS1_30default_config_static_selectorELNS0_4arch9wavefront6targetE0EEEvSL_
		.amdhsa_group_segment_fixed_size 0
		.amdhsa_private_segment_fixed_size 0
		.amdhsa_kernarg_size 96
		.amdhsa_user_sgpr_count 2
		.amdhsa_user_sgpr_dispatch_ptr 0
		.amdhsa_user_sgpr_queue_ptr 0
		.amdhsa_user_sgpr_kernarg_segment_ptr 1
		.amdhsa_user_sgpr_dispatch_id 0
		.amdhsa_user_sgpr_private_segment_size 0
		.amdhsa_wavefront_size32 1
		.amdhsa_uses_dynamic_stack 0
		.amdhsa_enable_private_segment 0
		.amdhsa_system_sgpr_workgroup_id_x 1
		.amdhsa_system_sgpr_workgroup_id_y 0
		.amdhsa_system_sgpr_workgroup_id_z 0
		.amdhsa_system_sgpr_workgroup_info 0
		.amdhsa_system_vgpr_workitem_id 0
		.amdhsa_next_free_vgpr 1
		.amdhsa_next_free_sgpr 1
		.amdhsa_reserve_vcc 0
		.amdhsa_float_round_mode_32 0
		.amdhsa_float_round_mode_16_64 0
		.amdhsa_float_denorm_mode_32 3
		.amdhsa_float_denorm_mode_16_64 3
		.amdhsa_fp16_overflow 0
		.amdhsa_workgroup_processor_mode 1
		.amdhsa_memory_ordered 1
		.amdhsa_forward_progress 1
		.amdhsa_inst_pref_size 0
		.amdhsa_round_robin_scheduling 0
		.amdhsa_exception_fp_ieee_invalid_op 0
		.amdhsa_exception_fp_denorm_src 0
		.amdhsa_exception_fp_ieee_div_zero 0
		.amdhsa_exception_fp_ieee_overflow 0
		.amdhsa_exception_fp_ieee_underflow 0
		.amdhsa_exception_fp_ieee_inexact 0
		.amdhsa_exception_int_div_zero 0
	.end_amdhsa_kernel
	.section	.text._ZN7rocprim17ROCPRIM_400000_NS6detail17trampoline_kernelINS0_14default_configENS1_36segmented_radix_sort_config_selectorI12hip_bfloat16lEEZNS1_25segmented_radix_sort_implIS3_Lb1EPKS5_PS5_PKlPlN2at6native12_GLOBAL__N_18offset_tEEE10hipError_tPvRmT1_PNSt15iterator_traitsISL_E10value_typeET2_T3_PNSM_ISR_E10value_typeET4_jRbjT5_SX_jjP12ihipStream_tbEUlT_E_NS1_11comp_targetILNS1_3genE3ELNS1_11target_archE908ELNS1_3gpuE7ELNS1_3repE0EEENS1_30default_config_static_selectorELNS0_4arch9wavefront6targetE0EEEvSL_,"axG",@progbits,_ZN7rocprim17ROCPRIM_400000_NS6detail17trampoline_kernelINS0_14default_configENS1_36segmented_radix_sort_config_selectorI12hip_bfloat16lEEZNS1_25segmented_radix_sort_implIS3_Lb1EPKS5_PS5_PKlPlN2at6native12_GLOBAL__N_18offset_tEEE10hipError_tPvRmT1_PNSt15iterator_traitsISL_E10value_typeET2_T3_PNSM_ISR_E10value_typeET4_jRbjT5_SX_jjP12ihipStream_tbEUlT_E_NS1_11comp_targetILNS1_3genE3ELNS1_11target_archE908ELNS1_3gpuE7ELNS1_3repE0EEENS1_30default_config_static_selectorELNS0_4arch9wavefront6targetE0EEEvSL_,comdat
.Lfunc_end1949:
	.size	_ZN7rocprim17ROCPRIM_400000_NS6detail17trampoline_kernelINS0_14default_configENS1_36segmented_radix_sort_config_selectorI12hip_bfloat16lEEZNS1_25segmented_radix_sort_implIS3_Lb1EPKS5_PS5_PKlPlN2at6native12_GLOBAL__N_18offset_tEEE10hipError_tPvRmT1_PNSt15iterator_traitsISL_E10value_typeET2_T3_PNSM_ISR_E10value_typeET4_jRbjT5_SX_jjP12ihipStream_tbEUlT_E_NS1_11comp_targetILNS1_3genE3ELNS1_11target_archE908ELNS1_3gpuE7ELNS1_3repE0EEENS1_30default_config_static_selectorELNS0_4arch9wavefront6targetE0EEEvSL_, .Lfunc_end1949-_ZN7rocprim17ROCPRIM_400000_NS6detail17trampoline_kernelINS0_14default_configENS1_36segmented_radix_sort_config_selectorI12hip_bfloat16lEEZNS1_25segmented_radix_sort_implIS3_Lb1EPKS5_PS5_PKlPlN2at6native12_GLOBAL__N_18offset_tEEE10hipError_tPvRmT1_PNSt15iterator_traitsISL_E10value_typeET2_T3_PNSM_ISR_E10value_typeET4_jRbjT5_SX_jjP12ihipStream_tbEUlT_E_NS1_11comp_targetILNS1_3genE3ELNS1_11target_archE908ELNS1_3gpuE7ELNS1_3repE0EEENS1_30default_config_static_selectorELNS0_4arch9wavefront6targetE0EEEvSL_
                                        ; -- End function
	.set _ZN7rocprim17ROCPRIM_400000_NS6detail17trampoline_kernelINS0_14default_configENS1_36segmented_radix_sort_config_selectorI12hip_bfloat16lEEZNS1_25segmented_radix_sort_implIS3_Lb1EPKS5_PS5_PKlPlN2at6native12_GLOBAL__N_18offset_tEEE10hipError_tPvRmT1_PNSt15iterator_traitsISL_E10value_typeET2_T3_PNSM_ISR_E10value_typeET4_jRbjT5_SX_jjP12ihipStream_tbEUlT_E_NS1_11comp_targetILNS1_3genE3ELNS1_11target_archE908ELNS1_3gpuE7ELNS1_3repE0EEENS1_30default_config_static_selectorELNS0_4arch9wavefront6targetE0EEEvSL_.num_vgpr, 0
	.set _ZN7rocprim17ROCPRIM_400000_NS6detail17trampoline_kernelINS0_14default_configENS1_36segmented_radix_sort_config_selectorI12hip_bfloat16lEEZNS1_25segmented_radix_sort_implIS3_Lb1EPKS5_PS5_PKlPlN2at6native12_GLOBAL__N_18offset_tEEE10hipError_tPvRmT1_PNSt15iterator_traitsISL_E10value_typeET2_T3_PNSM_ISR_E10value_typeET4_jRbjT5_SX_jjP12ihipStream_tbEUlT_E_NS1_11comp_targetILNS1_3genE3ELNS1_11target_archE908ELNS1_3gpuE7ELNS1_3repE0EEENS1_30default_config_static_selectorELNS0_4arch9wavefront6targetE0EEEvSL_.num_agpr, 0
	.set _ZN7rocprim17ROCPRIM_400000_NS6detail17trampoline_kernelINS0_14default_configENS1_36segmented_radix_sort_config_selectorI12hip_bfloat16lEEZNS1_25segmented_radix_sort_implIS3_Lb1EPKS5_PS5_PKlPlN2at6native12_GLOBAL__N_18offset_tEEE10hipError_tPvRmT1_PNSt15iterator_traitsISL_E10value_typeET2_T3_PNSM_ISR_E10value_typeET4_jRbjT5_SX_jjP12ihipStream_tbEUlT_E_NS1_11comp_targetILNS1_3genE3ELNS1_11target_archE908ELNS1_3gpuE7ELNS1_3repE0EEENS1_30default_config_static_selectorELNS0_4arch9wavefront6targetE0EEEvSL_.numbered_sgpr, 0
	.set _ZN7rocprim17ROCPRIM_400000_NS6detail17trampoline_kernelINS0_14default_configENS1_36segmented_radix_sort_config_selectorI12hip_bfloat16lEEZNS1_25segmented_radix_sort_implIS3_Lb1EPKS5_PS5_PKlPlN2at6native12_GLOBAL__N_18offset_tEEE10hipError_tPvRmT1_PNSt15iterator_traitsISL_E10value_typeET2_T3_PNSM_ISR_E10value_typeET4_jRbjT5_SX_jjP12ihipStream_tbEUlT_E_NS1_11comp_targetILNS1_3genE3ELNS1_11target_archE908ELNS1_3gpuE7ELNS1_3repE0EEENS1_30default_config_static_selectorELNS0_4arch9wavefront6targetE0EEEvSL_.num_named_barrier, 0
	.set _ZN7rocprim17ROCPRIM_400000_NS6detail17trampoline_kernelINS0_14default_configENS1_36segmented_radix_sort_config_selectorI12hip_bfloat16lEEZNS1_25segmented_radix_sort_implIS3_Lb1EPKS5_PS5_PKlPlN2at6native12_GLOBAL__N_18offset_tEEE10hipError_tPvRmT1_PNSt15iterator_traitsISL_E10value_typeET2_T3_PNSM_ISR_E10value_typeET4_jRbjT5_SX_jjP12ihipStream_tbEUlT_E_NS1_11comp_targetILNS1_3genE3ELNS1_11target_archE908ELNS1_3gpuE7ELNS1_3repE0EEENS1_30default_config_static_selectorELNS0_4arch9wavefront6targetE0EEEvSL_.private_seg_size, 0
	.set _ZN7rocprim17ROCPRIM_400000_NS6detail17trampoline_kernelINS0_14default_configENS1_36segmented_radix_sort_config_selectorI12hip_bfloat16lEEZNS1_25segmented_radix_sort_implIS3_Lb1EPKS5_PS5_PKlPlN2at6native12_GLOBAL__N_18offset_tEEE10hipError_tPvRmT1_PNSt15iterator_traitsISL_E10value_typeET2_T3_PNSM_ISR_E10value_typeET4_jRbjT5_SX_jjP12ihipStream_tbEUlT_E_NS1_11comp_targetILNS1_3genE3ELNS1_11target_archE908ELNS1_3gpuE7ELNS1_3repE0EEENS1_30default_config_static_selectorELNS0_4arch9wavefront6targetE0EEEvSL_.uses_vcc, 0
	.set _ZN7rocprim17ROCPRIM_400000_NS6detail17trampoline_kernelINS0_14default_configENS1_36segmented_radix_sort_config_selectorI12hip_bfloat16lEEZNS1_25segmented_radix_sort_implIS3_Lb1EPKS5_PS5_PKlPlN2at6native12_GLOBAL__N_18offset_tEEE10hipError_tPvRmT1_PNSt15iterator_traitsISL_E10value_typeET2_T3_PNSM_ISR_E10value_typeET4_jRbjT5_SX_jjP12ihipStream_tbEUlT_E_NS1_11comp_targetILNS1_3genE3ELNS1_11target_archE908ELNS1_3gpuE7ELNS1_3repE0EEENS1_30default_config_static_selectorELNS0_4arch9wavefront6targetE0EEEvSL_.uses_flat_scratch, 0
	.set _ZN7rocprim17ROCPRIM_400000_NS6detail17trampoline_kernelINS0_14default_configENS1_36segmented_radix_sort_config_selectorI12hip_bfloat16lEEZNS1_25segmented_radix_sort_implIS3_Lb1EPKS5_PS5_PKlPlN2at6native12_GLOBAL__N_18offset_tEEE10hipError_tPvRmT1_PNSt15iterator_traitsISL_E10value_typeET2_T3_PNSM_ISR_E10value_typeET4_jRbjT5_SX_jjP12ihipStream_tbEUlT_E_NS1_11comp_targetILNS1_3genE3ELNS1_11target_archE908ELNS1_3gpuE7ELNS1_3repE0EEENS1_30default_config_static_selectorELNS0_4arch9wavefront6targetE0EEEvSL_.has_dyn_sized_stack, 0
	.set _ZN7rocprim17ROCPRIM_400000_NS6detail17trampoline_kernelINS0_14default_configENS1_36segmented_radix_sort_config_selectorI12hip_bfloat16lEEZNS1_25segmented_radix_sort_implIS3_Lb1EPKS5_PS5_PKlPlN2at6native12_GLOBAL__N_18offset_tEEE10hipError_tPvRmT1_PNSt15iterator_traitsISL_E10value_typeET2_T3_PNSM_ISR_E10value_typeET4_jRbjT5_SX_jjP12ihipStream_tbEUlT_E_NS1_11comp_targetILNS1_3genE3ELNS1_11target_archE908ELNS1_3gpuE7ELNS1_3repE0EEENS1_30default_config_static_selectorELNS0_4arch9wavefront6targetE0EEEvSL_.has_recursion, 0
	.set _ZN7rocprim17ROCPRIM_400000_NS6detail17trampoline_kernelINS0_14default_configENS1_36segmented_radix_sort_config_selectorI12hip_bfloat16lEEZNS1_25segmented_radix_sort_implIS3_Lb1EPKS5_PS5_PKlPlN2at6native12_GLOBAL__N_18offset_tEEE10hipError_tPvRmT1_PNSt15iterator_traitsISL_E10value_typeET2_T3_PNSM_ISR_E10value_typeET4_jRbjT5_SX_jjP12ihipStream_tbEUlT_E_NS1_11comp_targetILNS1_3genE3ELNS1_11target_archE908ELNS1_3gpuE7ELNS1_3repE0EEENS1_30default_config_static_selectorELNS0_4arch9wavefront6targetE0EEEvSL_.has_indirect_call, 0
	.section	.AMDGPU.csdata,"",@progbits
; Kernel info:
; codeLenInByte = 0
; TotalNumSgprs: 0
; NumVgprs: 0
; ScratchSize: 0
; MemoryBound: 0
; FloatMode: 240
; IeeeMode: 1
; LDSByteSize: 0 bytes/workgroup (compile time only)
; SGPRBlocks: 0
; VGPRBlocks: 0
; NumSGPRsForWavesPerEU: 1
; NumVGPRsForWavesPerEU: 1
; Occupancy: 16
; WaveLimiterHint : 0
; COMPUTE_PGM_RSRC2:SCRATCH_EN: 0
; COMPUTE_PGM_RSRC2:USER_SGPR: 2
; COMPUTE_PGM_RSRC2:TRAP_HANDLER: 0
; COMPUTE_PGM_RSRC2:TGID_X_EN: 1
; COMPUTE_PGM_RSRC2:TGID_Y_EN: 0
; COMPUTE_PGM_RSRC2:TGID_Z_EN: 0
; COMPUTE_PGM_RSRC2:TIDIG_COMP_CNT: 0
	.section	.text._ZN7rocprim17ROCPRIM_400000_NS6detail17trampoline_kernelINS0_14default_configENS1_36segmented_radix_sort_config_selectorI12hip_bfloat16lEEZNS1_25segmented_radix_sort_implIS3_Lb1EPKS5_PS5_PKlPlN2at6native12_GLOBAL__N_18offset_tEEE10hipError_tPvRmT1_PNSt15iterator_traitsISL_E10value_typeET2_T3_PNSM_ISR_E10value_typeET4_jRbjT5_SX_jjP12ihipStream_tbEUlT_E_NS1_11comp_targetILNS1_3genE2ELNS1_11target_archE906ELNS1_3gpuE6ELNS1_3repE0EEENS1_30default_config_static_selectorELNS0_4arch9wavefront6targetE0EEEvSL_,"axG",@progbits,_ZN7rocprim17ROCPRIM_400000_NS6detail17trampoline_kernelINS0_14default_configENS1_36segmented_radix_sort_config_selectorI12hip_bfloat16lEEZNS1_25segmented_radix_sort_implIS3_Lb1EPKS5_PS5_PKlPlN2at6native12_GLOBAL__N_18offset_tEEE10hipError_tPvRmT1_PNSt15iterator_traitsISL_E10value_typeET2_T3_PNSM_ISR_E10value_typeET4_jRbjT5_SX_jjP12ihipStream_tbEUlT_E_NS1_11comp_targetILNS1_3genE2ELNS1_11target_archE906ELNS1_3gpuE6ELNS1_3repE0EEENS1_30default_config_static_selectorELNS0_4arch9wavefront6targetE0EEEvSL_,comdat
	.globl	_ZN7rocprim17ROCPRIM_400000_NS6detail17trampoline_kernelINS0_14default_configENS1_36segmented_radix_sort_config_selectorI12hip_bfloat16lEEZNS1_25segmented_radix_sort_implIS3_Lb1EPKS5_PS5_PKlPlN2at6native12_GLOBAL__N_18offset_tEEE10hipError_tPvRmT1_PNSt15iterator_traitsISL_E10value_typeET2_T3_PNSM_ISR_E10value_typeET4_jRbjT5_SX_jjP12ihipStream_tbEUlT_E_NS1_11comp_targetILNS1_3genE2ELNS1_11target_archE906ELNS1_3gpuE6ELNS1_3repE0EEENS1_30default_config_static_selectorELNS0_4arch9wavefront6targetE0EEEvSL_ ; -- Begin function _ZN7rocprim17ROCPRIM_400000_NS6detail17trampoline_kernelINS0_14default_configENS1_36segmented_radix_sort_config_selectorI12hip_bfloat16lEEZNS1_25segmented_radix_sort_implIS3_Lb1EPKS5_PS5_PKlPlN2at6native12_GLOBAL__N_18offset_tEEE10hipError_tPvRmT1_PNSt15iterator_traitsISL_E10value_typeET2_T3_PNSM_ISR_E10value_typeET4_jRbjT5_SX_jjP12ihipStream_tbEUlT_E_NS1_11comp_targetILNS1_3genE2ELNS1_11target_archE906ELNS1_3gpuE6ELNS1_3repE0EEENS1_30default_config_static_selectorELNS0_4arch9wavefront6targetE0EEEvSL_
	.p2align	8
	.type	_ZN7rocprim17ROCPRIM_400000_NS6detail17trampoline_kernelINS0_14default_configENS1_36segmented_radix_sort_config_selectorI12hip_bfloat16lEEZNS1_25segmented_radix_sort_implIS3_Lb1EPKS5_PS5_PKlPlN2at6native12_GLOBAL__N_18offset_tEEE10hipError_tPvRmT1_PNSt15iterator_traitsISL_E10value_typeET2_T3_PNSM_ISR_E10value_typeET4_jRbjT5_SX_jjP12ihipStream_tbEUlT_E_NS1_11comp_targetILNS1_3genE2ELNS1_11target_archE906ELNS1_3gpuE6ELNS1_3repE0EEENS1_30default_config_static_selectorELNS0_4arch9wavefront6targetE0EEEvSL_,@function
_ZN7rocprim17ROCPRIM_400000_NS6detail17trampoline_kernelINS0_14default_configENS1_36segmented_radix_sort_config_selectorI12hip_bfloat16lEEZNS1_25segmented_radix_sort_implIS3_Lb1EPKS5_PS5_PKlPlN2at6native12_GLOBAL__N_18offset_tEEE10hipError_tPvRmT1_PNSt15iterator_traitsISL_E10value_typeET2_T3_PNSM_ISR_E10value_typeET4_jRbjT5_SX_jjP12ihipStream_tbEUlT_E_NS1_11comp_targetILNS1_3genE2ELNS1_11target_archE906ELNS1_3gpuE6ELNS1_3repE0EEENS1_30default_config_static_selectorELNS0_4arch9wavefront6targetE0EEEvSL_: ; @_ZN7rocprim17ROCPRIM_400000_NS6detail17trampoline_kernelINS0_14default_configENS1_36segmented_radix_sort_config_selectorI12hip_bfloat16lEEZNS1_25segmented_radix_sort_implIS3_Lb1EPKS5_PS5_PKlPlN2at6native12_GLOBAL__N_18offset_tEEE10hipError_tPvRmT1_PNSt15iterator_traitsISL_E10value_typeET2_T3_PNSM_ISR_E10value_typeET4_jRbjT5_SX_jjP12ihipStream_tbEUlT_E_NS1_11comp_targetILNS1_3genE2ELNS1_11target_archE906ELNS1_3gpuE6ELNS1_3repE0EEENS1_30default_config_static_selectorELNS0_4arch9wavefront6targetE0EEEvSL_
; %bb.0:
	.section	.rodata,"a",@progbits
	.p2align	6, 0x0
	.amdhsa_kernel _ZN7rocprim17ROCPRIM_400000_NS6detail17trampoline_kernelINS0_14default_configENS1_36segmented_radix_sort_config_selectorI12hip_bfloat16lEEZNS1_25segmented_radix_sort_implIS3_Lb1EPKS5_PS5_PKlPlN2at6native12_GLOBAL__N_18offset_tEEE10hipError_tPvRmT1_PNSt15iterator_traitsISL_E10value_typeET2_T3_PNSM_ISR_E10value_typeET4_jRbjT5_SX_jjP12ihipStream_tbEUlT_E_NS1_11comp_targetILNS1_3genE2ELNS1_11target_archE906ELNS1_3gpuE6ELNS1_3repE0EEENS1_30default_config_static_selectorELNS0_4arch9wavefront6targetE0EEEvSL_
		.amdhsa_group_segment_fixed_size 0
		.amdhsa_private_segment_fixed_size 0
		.amdhsa_kernarg_size 96
		.amdhsa_user_sgpr_count 2
		.amdhsa_user_sgpr_dispatch_ptr 0
		.amdhsa_user_sgpr_queue_ptr 0
		.amdhsa_user_sgpr_kernarg_segment_ptr 1
		.amdhsa_user_sgpr_dispatch_id 0
		.amdhsa_user_sgpr_private_segment_size 0
		.amdhsa_wavefront_size32 1
		.amdhsa_uses_dynamic_stack 0
		.amdhsa_enable_private_segment 0
		.amdhsa_system_sgpr_workgroup_id_x 1
		.amdhsa_system_sgpr_workgroup_id_y 0
		.amdhsa_system_sgpr_workgroup_id_z 0
		.amdhsa_system_sgpr_workgroup_info 0
		.amdhsa_system_vgpr_workitem_id 0
		.amdhsa_next_free_vgpr 1
		.amdhsa_next_free_sgpr 1
		.amdhsa_reserve_vcc 0
		.amdhsa_float_round_mode_32 0
		.amdhsa_float_round_mode_16_64 0
		.amdhsa_float_denorm_mode_32 3
		.amdhsa_float_denorm_mode_16_64 3
		.amdhsa_fp16_overflow 0
		.amdhsa_workgroup_processor_mode 1
		.amdhsa_memory_ordered 1
		.amdhsa_forward_progress 1
		.amdhsa_inst_pref_size 0
		.amdhsa_round_robin_scheduling 0
		.amdhsa_exception_fp_ieee_invalid_op 0
		.amdhsa_exception_fp_denorm_src 0
		.amdhsa_exception_fp_ieee_div_zero 0
		.amdhsa_exception_fp_ieee_overflow 0
		.amdhsa_exception_fp_ieee_underflow 0
		.amdhsa_exception_fp_ieee_inexact 0
		.amdhsa_exception_int_div_zero 0
	.end_amdhsa_kernel
	.section	.text._ZN7rocprim17ROCPRIM_400000_NS6detail17trampoline_kernelINS0_14default_configENS1_36segmented_radix_sort_config_selectorI12hip_bfloat16lEEZNS1_25segmented_radix_sort_implIS3_Lb1EPKS5_PS5_PKlPlN2at6native12_GLOBAL__N_18offset_tEEE10hipError_tPvRmT1_PNSt15iterator_traitsISL_E10value_typeET2_T3_PNSM_ISR_E10value_typeET4_jRbjT5_SX_jjP12ihipStream_tbEUlT_E_NS1_11comp_targetILNS1_3genE2ELNS1_11target_archE906ELNS1_3gpuE6ELNS1_3repE0EEENS1_30default_config_static_selectorELNS0_4arch9wavefront6targetE0EEEvSL_,"axG",@progbits,_ZN7rocprim17ROCPRIM_400000_NS6detail17trampoline_kernelINS0_14default_configENS1_36segmented_radix_sort_config_selectorI12hip_bfloat16lEEZNS1_25segmented_radix_sort_implIS3_Lb1EPKS5_PS5_PKlPlN2at6native12_GLOBAL__N_18offset_tEEE10hipError_tPvRmT1_PNSt15iterator_traitsISL_E10value_typeET2_T3_PNSM_ISR_E10value_typeET4_jRbjT5_SX_jjP12ihipStream_tbEUlT_E_NS1_11comp_targetILNS1_3genE2ELNS1_11target_archE906ELNS1_3gpuE6ELNS1_3repE0EEENS1_30default_config_static_selectorELNS0_4arch9wavefront6targetE0EEEvSL_,comdat
.Lfunc_end1950:
	.size	_ZN7rocprim17ROCPRIM_400000_NS6detail17trampoline_kernelINS0_14default_configENS1_36segmented_radix_sort_config_selectorI12hip_bfloat16lEEZNS1_25segmented_radix_sort_implIS3_Lb1EPKS5_PS5_PKlPlN2at6native12_GLOBAL__N_18offset_tEEE10hipError_tPvRmT1_PNSt15iterator_traitsISL_E10value_typeET2_T3_PNSM_ISR_E10value_typeET4_jRbjT5_SX_jjP12ihipStream_tbEUlT_E_NS1_11comp_targetILNS1_3genE2ELNS1_11target_archE906ELNS1_3gpuE6ELNS1_3repE0EEENS1_30default_config_static_selectorELNS0_4arch9wavefront6targetE0EEEvSL_, .Lfunc_end1950-_ZN7rocprim17ROCPRIM_400000_NS6detail17trampoline_kernelINS0_14default_configENS1_36segmented_radix_sort_config_selectorI12hip_bfloat16lEEZNS1_25segmented_radix_sort_implIS3_Lb1EPKS5_PS5_PKlPlN2at6native12_GLOBAL__N_18offset_tEEE10hipError_tPvRmT1_PNSt15iterator_traitsISL_E10value_typeET2_T3_PNSM_ISR_E10value_typeET4_jRbjT5_SX_jjP12ihipStream_tbEUlT_E_NS1_11comp_targetILNS1_3genE2ELNS1_11target_archE906ELNS1_3gpuE6ELNS1_3repE0EEENS1_30default_config_static_selectorELNS0_4arch9wavefront6targetE0EEEvSL_
                                        ; -- End function
	.set _ZN7rocprim17ROCPRIM_400000_NS6detail17trampoline_kernelINS0_14default_configENS1_36segmented_radix_sort_config_selectorI12hip_bfloat16lEEZNS1_25segmented_radix_sort_implIS3_Lb1EPKS5_PS5_PKlPlN2at6native12_GLOBAL__N_18offset_tEEE10hipError_tPvRmT1_PNSt15iterator_traitsISL_E10value_typeET2_T3_PNSM_ISR_E10value_typeET4_jRbjT5_SX_jjP12ihipStream_tbEUlT_E_NS1_11comp_targetILNS1_3genE2ELNS1_11target_archE906ELNS1_3gpuE6ELNS1_3repE0EEENS1_30default_config_static_selectorELNS0_4arch9wavefront6targetE0EEEvSL_.num_vgpr, 0
	.set _ZN7rocprim17ROCPRIM_400000_NS6detail17trampoline_kernelINS0_14default_configENS1_36segmented_radix_sort_config_selectorI12hip_bfloat16lEEZNS1_25segmented_radix_sort_implIS3_Lb1EPKS5_PS5_PKlPlN2at6native12_GLOBAL__N_18offset_tEEE10hipError_tPvRmT1_PNSt15iterator_traitsISL_E10value_typeET2_T3_PNSM_ISR_E10value_typeET4_jRbjT5_SX_jjP12ihipStream_tbEUlT_E_NS1_11comp_targetILNS1_3genE2ELNS1_11target_archE906ELNS1_3gpuE6ELNS1_3repE0EEENS1_30default_config_static_selectorELNS0_4arch9wavefront6targetE0EEEvSL_.num_agpr, 0
	.set _ZN7rocprim17ROCPRIM_400000_NS6detail17trampoline_kernelINS0_14default_configENS1_36segmented_radix_sort_config_selectorI12hip_bfloat16lEEZNS1_25segmented_radix_sort_implIS3_Lb1EPKS5_PS5_PKlPlN2at6native12_GLOBAL__N_18offset_tEEE10hipError_tPvRmT1_PNSt15iterator_traitsISL_E10value_typeET2_T3_PNSM_ISR_E10value_typeET4_jRbjT5_SX_jjP12ihipStream_tbEUlT_E_NS1_11comp_targetILNS1_3genE2ELNS1_11target_archE906ELNS1_3gpuE6ELNS1_3repE0EEENS1_30default_config_static_selectorELNS0_4arch9wavefront6targetE0EEEvSL_.numbered_sgpr, 0
	.set _ZN7rocprim17ROCPRIM_400000_NS6detail17trampoline_kernelINS0_14default_configENS1_36segmented_radix_sort_config_selectorI12hip_bfloat16lEEZNS1_25segmented_radix_sort_implIS3_Lb1EPKS5_PS5_PKlPlN2at6native12_GLOBAL__N_18offset_tEEE10hipError_tPvRmT1_PNSt15iterator_traitsISL_E10value_typeET2_T3_PNSM_ISR_E10value_typeET4_jRbjT5_SX_jjP12ihipStream_tbEUlT_E_NS1_11comp_targetILNS1_3genE2ELNS1_11target_archE906ELNS1_3gpuE6ELNS1_3repE0EEENS1_30default_config_static_selectorELNS0_4arch9wavefront6targetE0EEEvSL_.num_named_barrier, 0
	.set _ZN7rocprim17ROCPRIM_400000_NS6detail17trampoline_kernelINS0_14default_configENS1_36segmented_radix_sort_config_selectorI12hip_bfloat16lEEZNS1_25segmented_radix_sort_implIS3_Lb1EPKS5_PS5_PKlPlN2at6native12_GLOBAL__N_18offset_tEEE10hipError_tPvRmT1_PNSt15iterator_traitsISL_E10value_typeET2_T3_PNSM_ISR_E10value_typeET4_jRbjT5_SX_jjP12ihipStream_tbEUlT_E_NS1_11comp_targetILNS1_3genE2ELNS1_11target_archE906ELNS1_3gpuE6ELNS1_3repE0EEENS1_30default_config_static_selectorELNS0_4arch9wavefront6targetE0EEEvSL_.private_seg_size, 0
	.set _ZN7rocprim17ROCPRIM_400000_NS6detail17trampoline_kernelINS0_14default_configENS1_36segmented_radix_sort_config_selectorI12hip_bfloat16lEEZNS1_25segmented_radix_sort_implIS3_Lb1EPKS5_PS5_PKlPlN2at6native12_GLOBAL__N_18offset_tEEE10hipError_tPvRmT1_PNSt15iterator_traitsISL_E10value_typeET2_T3_PNSM_ISR_E10value_typeET4_jRbjT5_SX_jjP12ihipStream_tbEUlT_E_NS1_11comp_targetILNS1_3genE2ELNS1_11target_archE906ELNS1_3gpuE6ELNS1_3repE0EEENS1_30default_config_static_selectorELNS0_4arch9wavefront6targetE0EEEvSL_.uses_vcc, 0
	.set _ZN7rocprim17ROCPRIM_400000_NS6detail17trampoline_kernelINS0_14default_configENS1_36segmented_radix_sort_config_selectorI12hip_bfloat16lEEZNS1_25segmented_radix_sort_implIS3_Lb1EPKS5_PS5_PKlPlN2at6native12_GLOBAL__N_18offset_tEEE10hipError_tPvRmT1_PNSt15iterator_traitsISL_E10value_typeET2_T3_PNSM_ISR_E10value_typeET4_jRbjT5_SX_jjP12ihipStream_tbEUlT_E_NS1_11comp_targetILNS1_3genE2ELNS1_11target_archE906ELNS1_3gpuE6ELNS1_3repE0EEENS1_30default_config_static_selectorELNS0_4arch9wavefront6targetE0EEEvSL_.uses_flat_scratch, 0
	.set _ZN7rocprim17ROCPRIM_400000_NS6detail17trampoline_kernelINS0_14default_configENS1_36segmented_radix_sort_config_selectorI12hip_bfloat16lEEZNS1_25segmented_radix_sort_implIS3_Lb1EPKS5_PS5_PKlPlN2at6native12_GLOBAL__N_18offset_tEEE10hipError_tPvRmT1_PNSt15iterator_traitsISL_E10value_typeET2_T3_PNSM_ISR_E10value_typeET4_jRbjT5_SX_jjP12ihipStream_tbEUlT_E_NS1_11comp_targetILNS1_3genE2ELNS1_11target_archE906ELNS1_3gpuE6ELNS1_3repE0EEENS1_30default_config_static_selectorELNS0_4arch9wavefront6targetE0EEEvSL_.has_dyn_sized_stack, 0
	.set _ZN7rocprim17ROCPRIM_400000_NS6detail17trampoline_kernelINS0_14default_configENS1_36segmented_radix_sort_config_selectorI12hip_bfloat16lEEZNS1_25segmented_radix_sort_implIS3_Lb1EPKS5_PS5_PKlPlN2at6native12_GLOBAL__N_18offset_tEEE10hipError_tPvRmT1_PNSt15iterator_traitsISL_E10value_typeET2_T3_PNSM_ISR_E10value_typeET4_jRbjT5_SX_jjP12ihipStream_tbEUlT_E_NS1_11comp_targetILNS1_3genE2ELNS1_11target_archE906ELNS1_3gpuE6ELNS1_3repE0EEENS1_30default_config_static_selectorELNS0_4arch9wavefront6targetE0EEEvSL_.has_recursion, 0
	.set _ZN7rocprim17ROCPRIM_400000_NS6detail17trampoline_kernelINS0_14default_configENS1_36segmented_radix_sort_config_selectorI12hip_bfloat16lEEZNS1_25segmented_radix_sort_implIS3_Lb1EPKS5_PS5_PKlPlN2at6native12_GLOBAL__N_18offset_tEEE10hipError_tPvRmT1_PNSt15iterator_traitsISL_E10value_typeET2_T3_PNSM_ISR_E10value_typeET4_jRbjT5_SX_jjP12ihipStream_tbEUlT_E_NS1_11comp_targetILNS1_3genE2ELNS1_11target_archE906ELNS1_3gpuE6ELNS1_3repE0EEENS1_30default_config_static_selectorELNS0_4arch9wavefront6targetE0EEEvSL_.has_indirect_call, 0
	.section	.AMDGPU.csdata,"",@progbits
; Kernel info:
; codeLenInByte = 0
; TotalNumSgprs: 0
; NumVgprs: 0
; ScratchSize: 0
; MemoryBound: 0
; FloatMode: 240
; IeeeMode: 1
; LDSByteSize: 0 bytes/workgroup (compile time only)
; SGPRBlocks: 0
; VGPRBlocks: 0
; NumSGPRsForWavesPerEU: 1
; NumVGPRsForWavesPerEU: 1
; Occupancy: 16
; WaveLimiterHint : 0
; COMPUTE_PGM_RSRC2:SCRATCH_EN: 0
; COMPUTE_PGM_RSRC2:USER_SGPR: 2
; COMPUTE_PGM_RSRC2:TRAP_HANDLER: 0
; COMPUTE_PGM_RSRC2:TGID_X_EN: 1
; COMPUTE_PGM_RSRC2:TGID_Y_EN: 0
; COMPUTE_PGM_RSRC2:TGID_Z_EN: 0
; COMPUTE_PGM_RSRC2:TIDIG_COMP_CNT: 0
	.text
	.p2align	2                               ; -- Begin function _ZN7rocprim17ROCPRIM_400000_NS6detail40segmented_radix_sort_single_block_helperI12hip_bfloat16lLj256ELj8ELb1EE4sortIPKS3_PS3_PKlPlEEbT_T0_T1_T2_jjjjRNS4_12storage_typeE
	.type	_ZN7rocprim17ROCPRIM_400000_NS6detail40segmented_radix_sort_single_block_helperI12hip_bfloat16lLj256ELj8ELb1EE4sortIPKS3_PS3_PKlPlEEbT_T0_T1_T2_jjjjRNS4_12storage_typeE,@function
_ZN7rocprim17ROCPRIM_400000_NS6detail40segmented_radix_sort_single_block_helperI12hip_bfloat16lLj256ELj8ELb1EE4sortIPKS3_PS3_PKlPlEEbT_T0_T1_T2_jjjjRNS4_12storage_typeE: ; @_ZN7rocprim17ROCPRIM_400000_NS6detail40segmented_radix_sort_single_block_helperI12hip_bfloat16lLj256ELj8ELb1EE4sortIPKS3_PS3_PKlPlEEbT_T0_T1_T2_jjjjRNS4_12storage_typeE
; %bb.0:
	s_wait_loadcnt_dscnt 0x0
	s_wait_expcnt 0x0
	s_wait_samplecnt 0x0
	s_wait_bvhcnt 0x0
	s_wait_kmcnt 0x0
	v_sub_nc_u32_e32 v128, v9, v8
	s_mov_b32 s16, exec_lo
	s_delay_alu instid0(VALU_DEP_1)
	v_cmpx_gt_u32_e32 0x801, v128
	s_cbranch_execz .LBB1951_199
; %bb.1:
	v_bfe_u32 v9, v31, 10, 10
	v_bfe_u32 v14, v31, 20, 10
	v_and_b32_e32 v30, 0x3ff, v31
	v_mbcnt_lo_u32_b32 v66, -1, 0
	s_mov_b32 s0, exec_lo
	v_cmpx_lt_u32_e32 0x400, v128
	s_wait_alu 0xfffe
	s_xor_b32 s17, exec_lo, s0
	s_cbranch_execz .LBB1951_79
; %bb.2:
	s_load_b64 s[0:1], s[8:9], 0x0
	s_and_b32 s2, ttmp7, 0xffff
	s_mov_b32 s3, 0
	v_dual_mov_b32 v16, -1 :: v_dual_lshlrev_b32 v17, 1, v66
	s_wait_kmcnt 0x0
	s_wait_alu 0xfffe
	s_cmp_lt_u32 s2, s1
	s_cselect_b32 s2, 14, 20
	s_cmp_lt_u32 ttmp9, s0
	s_wait_alu 0xfffe
	s_add_nc_u64 s[4:5], s[8:9], s[2:3]
	s_cselect_b32 s2, 12, 18
	s_load_u16 s4, s[4:5], 0x0
	s_add_nc_u64 s[0:1], s[8:9], s[2:3]
	s_load_u16 s0, s[0:1], 0x0
	s_wait_kmcnt 0x0
	v_mad_u32_u24 v9, v14, s4, v9
	s_delay_alu instid0(VALU_DEP_1) | instskip(NEXT) | instid1(VALU_DEP_1)
	v_mad_co_u64_u32 v[24:25], null, v9, s0, v[30:31]
	v_dual_mov_b32 v9, 0 :: v_dual_lshlrev_b32 v14, 3, v24
	s_delay_alu instid0(VALU_DEP_1) | instskip(NEXT) | instid1(VALU_DEP_2)
	v_lshlrev_b64_e32 v[26:27], 1, v[8:9]
	v_dual_mov_b32 v15, v9 :: v_dual_and_b32 v14, 0xffffff00, v14
	s_delay_alu instid0(VALU_DEP_2) | instskip(SKIP_1) | instid1(VALU_DEP_3)
	v_add_co_u32 v18, vcc_lo, v0, v26
	s_wait_alu 0xfffd
	v_add_co_ci_u32_e64 v19, null, v1, v27, vcc_lo
	s_delay_alu instid0(VALU_DEP_3) | instskip(NEXT) | instid1(VALU_DEP_3)
	v_lshlrev_b64_e32 v[0:1], 1, v[14:15]
	v_add_co_u32 v17, vcc_lo, v18, v17
	v_or_b32_e32 v25, v14, v66
	s_wait_alu 0xfffd
	v_add_co_ci_u32_e64 v18, null, 0, v19, vcc_lo
	s_delay_alu instid0(VALU_DEP_3) | instskip(NEXT) | instid1(VALU_DEP_3)
	v_add_co_u32 v0, s0, v17, v0
	v_cmp_lt_u32_e32 vcc_lo, v25, v128
	s_wait_alu 0xf1ff
	s_delay_alu instid0(VALU_DEP_3)
	v_add_co_ci_u32_e64 v1, null, v18, v1, s0
	v_mov_b32_e32 v17, -1
	s_and_saveexec_b32 s0, vcc_lo
	s_cbranch_execz .LBB1951_4
; %bb.3:
	flat_load_u16 v17, v[0:1]
.LBB1951_4:
	s_wait_alu 0xfffe
	s_or_b32 exec_lo, exec_lo, s0
	v_or_b32_e32 v18, 32, v25
	s_delay_alu instid0(VALU_DEP_1)
	v_cmp_lt_u32_e64 s0, v18, v128
	s_and_saveexec_b32 s1, s0
	s_cbranch_execz .LBB1951_6
; %bb.5:
	flat_load_u16 v16, v[0:1] offset:64
.LBB1951_6:
	s_wait_alu 0xfffe
	s_or_b32 exec_lo, exec_lo, s1
	v_or_b32_e32 v19, 64, v25
	v_mov_b32_e32 v18, -1
	s_delay_alu instid0(VALU_DEP_2)
	v_cmp_lt_u32_e64 s1, v19, v128
	v_mov_b32_e32 v19, -1
	s_and_saveexec_b32 s2, s1
	s_cbranch_execz .LBB1951_8
; %bb.7:
	flat_load_u16 v19, v[0:1] offset:128
.LBB1951_8:
	s_wait_alu 0xfffe
	s_or_b32 exec_lo, exec_lo, s2
	v_or_b32_e32 v20, 0x60, v25
	s_delay_alu instid0(VALU_DEP_1)
	v_cmp_lt_u32_e64 s2, v20, v128
	s_and_saveexec_b32 s3, s2
	s_cbranch_execz .LBB1951_10
; %bb.9:
	flat_load_u16 v18, v[0:1] offset:192
.LBB1951_10:
	s_wait_alu 0xfffe
	s_or_b32 exec_lo, exec_lo, s3
	v_or_b32_e32 v21, 0x80, v25
	v_mov_b32_e32 v20, -1
	s_delay_alu instid0(VALU_DEP_2)
	v_cmp_lt_u32_e64 s3, v21, v128
	v_mov_b32_e32 v21, -1
	s_and_saveexec_b32 s4, s3
	s_cbranch_execz .LBB1951_12
; %bb.11:
	flat_load_u16 v21, v[0:1] offset:256
.LBB1951_12:
	;; [unrolled: 22-line block ×3, first 2 shown]
	s_wait_alu 0xfffe
	s_or_b32 exec_lo, exec_lo, s6
	v_or_b32_e32 v25, 0xe0, v25
	s_delay_alu instid0(VALU_DEP_1)
	v_cmp_lt_u32_e64 s6, v25, v128
	s_and_saveexec_b32 s7, s6
	s_cbranch_execz .LBB1951_18
; %bb.17:
	flat_load_u16 v22, v[0:1] offset:448
.LBB1951_18:
	s_wait_alu 0xfffe
	s_or_b32 exec_lo, exec_lo, s7
	v_lshlrev_b64_e32 v[0:1], 3, v[8:9]
	v_lshlrev_b32_e32 v8, 3, v66
                                        ; implicit-def: $vgpr33_vgpr34
	s_delay_alu instid0(VALU_DEP_2) | instskip(SKIP_1) | instid1(VALU_DEP_3)
	v_add_co_u32 v9, s7, v4, v0
	s_wait_alu 0xf1ff
	v_add_co_ci_u32_e64 v25, null, v5, v1, s7
	v_lshlrev_b64_e32 v[4:5], 3, v[14:15]
	s_delay_alu instid0(VALU_DEP_3) | instskip(SKIP_1) | instid1(VALU_DEP_3)
	v_add_co_u32 v8, s7, v9, v8
	s_wait_alu 0xf1ff
	v_add_co_ci_u32_e64 v9, null, 0, v25, s7
	s_delay_alu instid0(VALU_DEP_2) | instskip(SKIP_1) | instid1(VALU_DEP_2)
	v_add_co_u32 v4, s7, v8, v4
	s_wait_alu 0xf1ff
	v_add_co_ci_u32_e64 v5, null, v9, v5, s7
	s_and_saveexec_b32 s7, vcc_lo
	s_cbranch_execnz .LBB1951_112
; %bb.19:
	s_wait_alu 0xfffe
	s_or_b32 exec_lo, exec_lo, s7
                                        ; implicit-def: $vgpr35_vgpr36
	s_and_saveexec_b32 s7, s0
	s_cbranch_execnz .LBB1951_113
.LBB1951_20:
	s_wait_alu 0xfffe
	s_or_b32 exec_lo, exec_lo, s7
                                        ; implicit-def: $vgpr37_vgpr38
	s_and_saveexec_b32 s0, s1
	s_cbranch_execnz .LBB1951_114
.LBB1951_21:
	s_wait_alu 0xfffe
	s_or_b32 exec_lo, exec_lo, s0
                                        ; implicit-def: $vgpr48_vgpr49
	s_and_saveexec_b32 s0, s2
	s_cbranch_execnz .LBB1951_115
.LBB1951_22:
	s_wait_alu 0xfffe
	s_or_b32 exec_lo, exec_lo, s0
                                        ; implicit-def: $vgpr50_vgpr51
	s_and_saveexec_b32 s0, s3
	s_cbranch_execnz .LBB1951_116
.LBB1951_23:
	s_wait_alu 0xfffe
	s_or_b32 exec_lo, exec_lo, s0
                                        ; implicit-def: $vgpr52_vgpr53
	s_and_saveexec_b32 s0, s4
	s_cbranch_execnz .LBB1951_117
.LBB1951_24:
	s_wait_alu 0xfffe
	s_or_b32 exec_lo, exec_lo, s0
                                        ; implicit-def: $vgpr54_vgpr55
	s_and_saveexec_b32 s0, s5
	s_cbranch_execnz .LBB1951_118
.LBB1951_25:
	s_wait_alu 0xfffe
	s_or_b32 exec_lo, exec_lo, s0
                                        ; implicit-def: $vgpr64_vgpr65
	s_and_saveexec_b32 s0, s6
	s_cbranch_execz .LBB1951_27
.LBB1951_26:
	flat_load_b64 v[64:65], v[4:5] offset:1792
.LBB1951_27:
	s_wait_alu 0xfffe
	s_or_b32 exec_lo, exec_lo, s0
	s_wait_loadcnt_dscnt 0x0
	v_cmp_gt_i16_e32 vcc_lo, 0, v17
	s_getpc_b64 s[0:1]
	s_wait_alu 0xfffe
	s_sext_i32_i16 s1, s1
	s_add_co_u32 s0, s0, _ZN7rocprim17ROCPRIM_400000_NS16block_radix_sortI12hip_bfloat16Lj256ELj8ElLj1ELj1ELj8ELNS0_26block_radix_rank_algorithmE2ELNS0_18block_padding_hintE2ELNS0_4arch9wavefront6targetE0EE19radix_bits_per_passE@rel32@lo+12
	s_wait_alu 0xfffe
	s_add_co_ci_u32 s1, s1, _ZN7rocprim17ROCPRIM_400000_NS16block_radix_sortI12hip_bfloat16Lj256ELj8ElLj1ELj1ELj8ELNS0_26block_radix_rank_algorithmE2ELNS0_18block_padding_hintE2ELNS0_4arch9wavefront6targetE0EE19radix_bits_per_passE@rel32@hi+24
	v_lshrrev_b32_e32 v135, 5, v24
	s_load_b32 s18, s[0:1], 0x0
	v_cmp_gt_u32_e64 s6, 8, v30
	v_cndmask_b32_e64 v4, 0x7fff, 0, vcc_lo
	v_cmp_gt_i16_e32 vcc_lo, 0, v16
	v_cmp_lt_u32_e64 s7, 31, v30
	v_cmp_eq_u32_e64 s10, 0, v30
	v_lshl_add_u32 v146, v30, 2, v12
	v_xor_b32_e32 v197, v4, v17
	s_wait_alu 0xfffd
	v_cndmask_b32_e64 v5, 0x7fff, 0, vcc_lo
	v_cmp_gt_i16_e32 vcc_lo, 0, v19
	v_sub_nc_u32_e32 v180, v11, v10
	s_mov_b32 s19, 0
	s_wait_storecnt 0x0
	v_xor_b32_e32 v69, v5, v16
	s_wait_alu 0xfffd
	v_cndmask_b32_e64 v8, 0x7fff, 0, vcc_lo
	v_cmp_gt_i16_e32 vcc_lo, 0, v18
	s_barrier_signal -1
	s_barrier_wait -1
	global_inv scope:SCOPE_SE
	v_xor_b32_e32 v71, v8, v19
	s_wait_alu 0xfffd
	v_cndmask_b32_e64 v9, 0x7fff, 0, vcc_lo
	v_cmp_gt_i16_e32 vcc_lo, 0, v21
	s_delay_alu instid0(VALU_DEP_2) | instskip(SKIP_4) | instid1(VALU_DEP_3)
	v_xor_b32_e32 v81, v9, v18
	s_wait_alu 0xfffd
	v_cndmask_b32_e64 v14, 0x7fff, 0, vcc_lo
	v_cmp_gt_i16_e32 vcc_lo, 0, v20
	v_and_b32_e32 v9, 16, v66
	v_xor_b32_e32 v83, v14, v21
	s_wait_alu 0xfffd
	v_cndmask_b32_e64 v4, 0x7fff, 0, vcc_lo
	v_cmp_gt_i16_e32 vcc_lo, 0, v23
	v_sub_co_u32 v14, s2, v66, 1
	v_cmp_eq_u32_e64 s4, 0, v9
	s_delay_alu instid0(VALU_DEP_4)
	v_xor_b32_e32 v85, v4, v20
	s_wait_alu 0xfffd
	v_cndmask_b32_e64 v5, 0x7fff, 0, vcc_lo
	v_cmp_gt_i16_e32 vcc_lo, 0, v22
	v_lshl_add_u32 v4, v30, 5, v12
	v_cmp_gt_i32_e64 s5, 0, v14
	s_delay_alu instid0(VALU_DEP_4)
	v_xor_b32_e32 v87, v5, v23
	s_wait_alu 0xfffd
	v_cndmask_b32_e64 v8, 0x7fff, 0, vcc_lo
	v_add_nc_u32_e32 v25, 32, v4
	v_add_nc_u32_e32 v39, 36, v4
	;; [unrolled: 1-line block ×8, first 2 shown]
	v_and_b32_e32 v4, 0x3e0, v30
	v_xor_b32_e32 v67, v8, v22
	v_and_b32_e32 v8, 15, v66
	v_lshlrev_b32_e32 v5, 3, v30
	s_wait_alu 0xf1ff
	v_cndmask_b32_e64 v9, v14, v66, s5
	v_min_u32_e32 v4, 0xe0, v4
	v_cmp_eq_u32_e32 vcc_lo, 0, v8
	v_cmp_lt_u32_e64 s0, 1, v8
	v_cmp_lt_u32_e64 s1, 3, v8
	;; [unrolled: 1-line block ×3, first 2 shown]
	v_or_b32_e32 v4, 31, v4
	v_lshrrev_b32_e32 v8, 3, v30
	v_lshlrev_b32_e32 v144, 2, v9
	v_and_or_b32 v9, 0x1f00, v5, v66
	v_mov_b32_e32 v5, 0
	v_cmp_eq_u32_e64 s5, v30, v4
	v_and_b32_e32 v4, 0x7c, v8
	v_and_b32_e32 v8, 7, v66
	v_lshl_add_u32 v147, v9, 1, v12
	s_delay_alu instid0(VALU_DEP_3) | instskip(SKIP_1) | instid1(VALU_DEP_4)
	v_add_nc_u32_e32 v145, v12, v4
	v_mul_u32_u24_e32 v4, 6, v9
	v_cmp_eq_u32_e64 s11, 0, v8
	v_cmp_lt_u32_e64 s12, 1, v8
	v_cmp_lt_u32_e64 s13, 3, v8
	v_add_nc_u32_e32 v148, -4, v145
	v_add_nc_u32_e32 v160, v147, v4
	v_add_nc_u32_e32 v149, 64, v147
	;; [unrolled: 1-line block ×15, first 2 shown]
	s_branch .LBB1951_29
.LBB1951_28:                            ;   in Loop: Header=BB1951_29 Depth=1
	s_wait_alu 0xfffe
	s_or_b32 exec_lo, exec_lo, s15
	s_delay_alu instid0(SALU_CYCLE_1)
	s_and_b32 s14, exec_lo, s20
	s_wait_alu 0xfffe
	s_or_b32 s19, s14, s19
	s_wait_alu 0xfffe
	s_and_not1_b32 exec_lo, exec_lo, s19
	s_cbranch_execz .LBB1951_53
.LBB1951_29:                            ; =>This Inner Loop Header: Depth=1
	v_mov_b32_e32 v181, v197
	v_dual_mov_b32 v31, v33 :: v_dual_mov_b32 v22, v35
	v_mov_b32_e32 v32, v34
	s_wait_kmcnt 0x0
	v_min_u32_e32 v4, s18, v180
	v_cmp_ne_u16_e64 s14, 0x8000, v181
	v_dual_mov_b32 v23, v36 :: v_dual_mov_b32 v20, v37
	v_dual_mov_b32 v14, v50 :: v_dual_mov_b32 v15, v51
	s_wait_alu 0xf1ff
	s_delay_alu instid0(VALU_DEP_3) | instskip(SKIP_3) | instid1(VALU_DEP_4)
	v_cndmask_b32_e64 v8, 0x7fff, v181, s14
	v_mov_b32_e32 v21, v38
	v_lshlrev_b32_e64 v4, v4, -1
	v_dual_mov_b32 v28, v48 :: v_dual_mov_b32 v29, v49
	v_and_b32_e32 v16, 0xffff, v8
	v_dual_mov_b32 v8, v52 :: v_dual_mov_b32 v9, v53
	s_delay_alu instid0(VALU_DEP_4) | instskip(SKIP_1) | instid1(VALU_DEP_4)
	v_not_b32_e32 v36, v4
	v_dual_mov_b32 v18, v54 :: v_dual_mov_b32 v19, v55
	v_lshrrev_b32_e32 v4, v10, v16
	v_dual_mov_b32 v16, v64 :: v_dual_mov_b32 v17, v65
	v_dual_mov_b32 v183, v69 :: v_dual_mov_b32 v182, v71
	s_delay_alu instid0(VALU_DEP_3) | instskip(SKIP_2) | instid1(VALU_DEP_3)
	v_dual_mov_b32 v195, v81 :: v_dual_and_b32 v4, v4, v36
	v_mov_b32_e32 v192, v87
	v_dual_mov_b32 v194, v83 :: v_dual_mov_b32 v193, v85
	v_and_b32_e32 v33, 1, v4
	v_lshlrev_b32_e32 v34, 30, v4
	v_dual_mov_b32 v196, v67 :: v_dual_lshlrev_b32 v35, 29, v4
	v_lshlrev_b32_e32 v37, 28, v4
	s_delay_alu instid0(VALU_DEP_4)
	v_add_co_u32 v33, s14, v33, -1
	s_wait_alu 0xf1ff
	v_cndmask_b32_e64 v38, 0, 1, s14
	v_not_b32_e32 v51, v34
	v_cmp_gt_i32_e64 s15, 0, v34
	v_not_b32_e32 v34, v35
	v_lshlrev_b32_e32 v48, 27, v4
	v_cmp_ne_u32_e64 s14, 0, v38
	v_ashrrev_i32_e32 v51, 31, v51
	v_lshlrev_b32_e32 v49, 26, v4
	v_ashrrev_i32_e32 v34, 31, v34
	v_lshlrev_b32_e32 v50, 25, v4
	s_wait_alu 0xf1ff
	v_xor_b32_e32 v33, s14, v33
	v_cmp_gt_i32_e64 s14, 0, v35
	v_not_b32_e32 v35, v37
	v_xor_b32_e32 v51, s15, v51
	v_cmp_gt_i32_e64 s15, 0, v37
	v_and_b32_e32 v33, exec_lo, v33
	v_not_b32_e32 v37, v48
	v_ashrrev_i32_e32 v35, 31, v35
	s_wait_alu 0xf1ff
	v_xor_b32_e32 v34, s14, v34
	v_cmp_gt_i32_e64 s14, 0, v48
	v_and_b32_e32 v33, v33, v51
	v_not_b32_e32 v48, v49
	v_ashrrev_i32_e32 v37, 31, v37
	v_xor_b32_e32 v35, s15, v35
	v_lshlrev_b32_e32 v38, 24, v4
	v_and_b32_e32 v33, v33, v34
	v_cmp_gt_i32_e64 s15, 0, v49
	v_not_b32_e32 v34, v50
	v_ashrrev_i32_e32 v48, 31, v48
	s_wait_alu 0xf1ff
	v_xor_b32_e32 v37, s14, v37
	v_and_b32_e32 v33, v33, v35
	v_cmp_gt_i32_e64 s14, 0, v50
	v_not_b32_e32 v35, v38
	v_ashrrev_i32_e32 v34, 31, v34
	v_xor_b32_e32 v48, s15, v48
	v_and_b32_e32 v33, v33, v37
	v_cmp_gt_i32_e64 s15, 0, v38
	v_ashrrev_i32_e32 v35, 31, v35
	s_wait_alu 0xf1ff
	v_xor_b32_e32 v34, s14, v34
	v_lshlrev_b32_e32 v4, 3, v4
	v_and_b32_e32 v33, v33, v48
	ds_store_b32 v25, v5
	ds_store_b32 v39, v5
	;; [unrolled: 1-line block ×3, first 2 shown]
	v_xor_b32_e32 v35, s15, v35
	ds_store_b32 v130, v5
	ds_store_b32 v131, v5
	;; [unrolled: 1-line block ×3, first 2 shown]
	v_and_b32_e32 v33, v33, v34
	ds_store_b32 v133, v5
	ds_store_b32 v134, v5
	s_wait_loadcnt_dscnt 0x0
	s_barrier_signal -1
	s_barrier_wait -1
	v_and_b32_e32 v34, v33, v35
	v_add_lshl_u32 v33, v4, v135, 2
	global_inv scope:SCOPE_SE
	; wave barrier
	v_mbcnt_lo_u32_b32 v4, v34, 0
	v_add_co_u32 v33, null, v12, v33
	v_cmp_ne_u32_e64 s15, 0, v34
	s_delay_alu instid0(VALU_DEP_3) | instskip(NEXT) | instid1(VALU_DEP_3)
	v_cmp_eq_u32_e64 s14, 0, v4
	v_add_co_u32 v33, null, v33, 32
	s_and_b32 s15, s15, s14
	s_wait_alu 0xfffe
	s_and_saveexec_b32 s14, s15
; %bb.30:                               ;   in Loop: Header=BB1951_29 Depth=1
	v_bcnt_u32_b32 v34, v34, 0
	ds_store_b32 v33, v34
; %bb.31:                               ;   in Loop: Header=BB1951_29 Depth=1
	s_wait_alu 0xfffe
	s_or_b32 exec_lo, exec_lo, s14
	v_cmp_ne_u16_e64 s14, 0x8000, v183
	; wave barrier
	s_wait_alu 0xf1ff
	s_delay_alu instid0(VALU_DEP_1) | instskip(NEXT) | instid1(VALU_DEP_1)
	v_cndmask_b32_e64 v34, 0x7fff, v183, s14
	v_and_b32_e32 v34, 0xffff, v34
	s_delay_alu instid0(VALU_DEP_1) | instskip(NEXT) | instid1(VALU_DEP_1)
	v_lshrrev_b32_e32 v34, v10, v34
	v_and_b32_e32 v34, v34, v36
	s_delay_alu instid0(VALU_DEP_1)
	v_and_b32_e32 v35, 1, v34
	v_lshlrev_b32_e32 v37, 30, v34
	v_lshlrev_b32_e32 v38, 29, v34
	;; [unrolled: 1-line block ×4, first 2 shown]
	v_add_co_u32 v35, s14, v35, -1
	s_wait_alu 0xf1ff
	v_cndmask_b32_e64 v49, 0, 1, s14
	v_not_b32_e32 v53, v37
	v_cmp_gt_i32_e64 s15, 0, v37
	v_not_b32_e32 v37, v38
	v_lshlrev_b32_e32 v51, 26, v34
	v_cmp_ne_u32_e64 s14, 0, v49
	v_ashrrev_i32_e32 v53, 31, v53
	v_lshlrev_b32_e32 v52, 25, v34
	v_ashrrev_i32_e32 v37, 31, v37
	v_lshlrev_b32_e32 v49, 24, v34
	s_wait_alu 0xf1ff
	v_xor_b32_e32 v35, s14, v35
	v_cmp_gt_i32_e64 s14, 0, v38
	v_not_b32_e32 v38, v48
	v_xor_b32_e32 v53, s15, v53
	v_cmp_gt_i32_e64 s15, 0, v48
	v_and_b32_e32 v35, exec_lo, v35
	v_not_b32_e32 v48, v50
	v_ashrrev_i32_e32 v38, 31, v38
	s_wait_alu 0xf1ff
	v_xor_b32_e32 v37, s14, v37
	v_cmp_gt_i32_e64 s14, 0, v50
	v_and_b32_e32 v35, v35, v53
	v_not_b32_e32 v50, v51
	v_ashrrev_i32_e32 v48, 31, v48
	v_xor_b32_e32 v38, s15, v38
	v_cmp_gt_i32_e64 s15, 0, v51
	v_and_b32_e32 v35, v35, v37
	v_not_b32_e32 v37, v52
	v_ashrrev_i32_e32 v50, 31, v50
	s_wait_alu 0xf1ff
	v_xor_b32_e32 v48, s14, v48
	v_cmp_gt_i32_e64 s14, 0, v52
	v_and_b32_e32 v35, v35, v38
	v_not_b32_e32 v38, v49
	v_ashrrev_i32_e32 v37, 31, v37
	v_xor_b32_e32 v50, s15, v50
	v_lshl_add_u32 v34, v34, 3, v135
	v_and_b32_e32 v35, v35, v48
	v_cmp_gt_i32_e64 s15, 0, v49
	v_ashrrev_i32_e32 v38, 31, v38
	s_wait_alu 0xf1ff
	v_xor_b32_e32 v37, s14, v37
	v_lshl_add_u32 v48, v34, 2, v12
	v_and_b32_e32 v35, v35, v50
	v_xor_b32_e32 v38, s15, v38
	ds_load_b32 v34, v48 offset:32
	v_and_b32_e32 v35, v35, v37
	v_add_nc_u32_e32 v37, 32, v48
	; wave barrier
	s_delay_alu instid0(VALU_DEP_2) | instskip(NEXT) | instid1(VALU_DEP_1)
	v_and_b32_e32 v38, v35, v38
	v_mbcnt_lo_u32_b32 v35, v38, 0
	v_cmp_ne_u32_e64 s15, 0, v38
	s_delay_alu instid0(VALU_DEP_2)
	v_cmp_eq_u32_e64 s14, 0, v35
	s_and_b32 s15, s15, s14
	s_wait_alu 0xfffe
	s_and_saveexec_b32 s14, s15
	s_cbranch_execz .LBB1951_33
; %bb.32:                               ;   in Loop: Header=BB1951_29 Depth=1
	s_wait_dscnt 0x0
	v_bcnt_u32_b32 v38, v38, v34
	ds_store_b32 v37, v38
.LBB1951_33:                            ;   in Loop: Header=BB1951_29 Depth=1
	s_wait_alu 0xfffe
	s_or_b32 exec_lo, exec_lo, s14
	v_cmp_ne_u16_e64 s14, 0x8000, v182
	; wave barrier
	s_wait_alu 0xf1ff
	s_delay_alu instid0(VALU_DEP_1) | instskip(NEXT) | instid1(VALU_DEP_1)
	v_cndmask_b32_e64 v38, 0x7fff, v182, s14
	v_and_b32_e32 v38, 0xffff, v38
	s_delay_alu instid0(VALU_DEP_1) | instskip(NEXT) | instid1(VALU_DEP_1)
	v_lshrrev_b32_e32 v38, v10, v38
	v_and_b32_e32 v38, v38, v36
	s_delay_alu instid0(VALU_DEP_1)
	v_and_b32_e32 v48, 1, v38
	v_lshlrev_b32_e32 v49, 30, v38
	v_lshlrev_b32_e32 v50, 29, v38
	;; [unrolled: 1-line block ×4, first 2 shown]
	v_add_co_u32 v48, s14, v48, -1
	s_wait_alu 0xf1ff
	v_cndmask_b32_e64 v52, 0, 1, s14
	v_not_b32_e32 v64, v49
	v_cmp_gt_i32_e64 s15, 0, v49
	v_not_b32_e32 v49, v50
	v_lshlrev_b32_e32 v54, 26, v38
	v_cmp_ne_u32_e64 s14, 0, v52
	v_ashrrev_i32_e32 v64, 31, v64
	v_lshlrev_b32_e32 v55, 25, v38
	v_ashrrev_i32_e32 v49, 31, v49
	v_lshlrev_b32_e32 v52, 24, v38
	s_wait_alu 0xf1ff
	v_xor_b32_e32 v48, s14, v48
	v_cmp_gt_i32_e64 s14, 0, v50
	v_not_b32_e32 v50, v51
	v_xor_b32_e32 v64, s15, v64
	v_cmp_gt_i32_e64 s15, 0, v51
	v_and_b32_e32 v48, exec_lo, v48
	v_not_b32_e32 v51, v53
	v_ashrrev_i32_e32 v50, 31, v50
	s_wait_alu 0xf1ff
	v_xor_b32_e32 v49, s14, v49
	v_cmp_gt_i32_e64 s14, 0, v53
	v_and_b32_e32 v48, v48, v64
	v_not_b32_e32 v53, v54
	v_ashrrev_i32_e32 v51, 31, v51
	v_xor_b32_e32 v50, s15, v50
	v_cmp_gt_i32_e64 s15, 0, v54
	v_and_b32_e32 v48, v48, v49
	v_not_b32_e32 v49, v55
	v_ashrrev_i32_e32 v53, 31, v53
	s_wait_alu 0xf1ff
	v_xor_b32_e32 v51, s14, v51
	v_cmp_gt_i32_e64 s14, 0, v55
	v_and_b32_e32 v48, v48, v50
	v_not_b32_e32 v50, v52
	v_ashrrev_i32_e32 v49, 31, v49
	v_xor_b32_e32 v53, s15, v53
	v_lshl_add_u32 v38, v38, 3, v135
	v_and_b32_e32 v48, v48, v51
	v_cmp_gt_i32_e64 s15, 0, v52
	v_ashrrev_i32_e32 v50, 31, v50
	s_wait_alu 0xf1ff
	v_xor_b32_e32 v49, s14, v49
	v_lshl_add_u32 v51, v38, 2, v12
	v_and_b32_e32 v48, v48, v53
	v_xor_b32_e32 v50, s15, v50
	ds_load_b32 v38, v51 offset:32
	v_and_b32_e32 v48, v48, v49
	v_add_nc_u32_e32 v49, 32, v51
	; wave barrier
	s_delay_alu instid0(VALU_DEP_2) | instskip(NEXT) | instid1(VALU_DEP_1)
	v_and_b32_e32 v50, v48, v50
	v_mbcnt_lo_u32_b32 v48, v50, 0
	v_cmp_ne_u32_e64 s15, 0, v50
	s_delay_alu instid0(VALU_DEP_2)
	v_cmp_eq_u32_e64 s14, 0, v48
	s_and_b32 s15, s15, s14
	s_wait_alu 0xfffe
	s_and_saveexec_b32 s14, s15
	s_cbranch_execz .LBB1951_35
; %bb.34:                               ;   in Loop: Header=BB1951_29 Depth=1
	s_wait_dscnt 0x0
	v_bcnt_u32_b32 v50, v50, v38
	ds_store_b32 v49, v50
.LBB1951_35:                            ;   in Loop: Header=BB1951_29 Depth=1
	s_wait_alu 0xfffe
	s_or_b32 exec_lo, exec_lo, s14
	v_cmp_ne_u16_e64 s14, 0x8000, v195
	; wave barrier
	s_wait_alu 0xf1ff
	s_delay_alu instid0(VALU_DEP_1) | instskip(NEXT) | instid1(VALU_DEP_1)
	v_cndmask_b32_e64 v50, 0x7fff, v195, s14
	v_and_b32_e32 v50, 0xffff, v50
	s_delay_alu instid0(VALU_DEP_1) | instskip(NEXT) | instid1(VALU_DEP_1)
	v_lshrrev_b32_e32 v50, v10, v50
	v_and_b32_e32 v50, v50, v36
	s_delay_alu instid0(VALU_DEP_1)
	v_and_b32_e32 v51, 1, v50
	v_lshlrev_b32_e32 v52, 30, v50
	v_lshlrev_b32_e32 v53, 29, v50
	;; [unrolled: 1-line block ×4, first 2 shown]
	v_add_co_u32 v51, s14, v51, -1
	s_wait_alu 0xf1ff
	v_cndmask_b32_e64 v55, 0, 1, s14
	v_not_b32_e32 v67, v52
	v_cmp_gt_i32_e64 s15, 0, v52
	v_not_b32_e32 v52, v53
	v_lshlrev_b32_e32 v65, 26, v50
	v_cmp_ne_u32_e64 s14, 0, v55
	v_ashrrev_i32_e32 v67, 31, v67
	v_lshlrev_b32_e32 v66, 25, v50
	v_ashrrev_i32_e32 v52, 31, v52
	v_lshlrev_b32_e32 v55, 24, v50
	s_wait_alu 0xf1ff
	v_xor_b32_e32 v51, s14, v51
	v_cmp_gt_i32_e64 s14, 0, v53
	v_not_b32_e32 v53, v54
	v_xor_b32_e32 v67, s15, v67
	v_cmp_gt_i32_e64 s15, 0, v54
	v_and_b32_e32 v51, exec_lo, v51
	v_not_b32_e32 v54, v64
	v_ashrrev_i32_e32 v53, 31, v53
	s_wait_alu 0xf1ff
	v_xor_b32_e32 v52, s14, v52
	v_cmp_gt_i32_e64 s14, 0, v64
	v_and_b32_e32 v51, v51, v67
	v_not_b32_e32 v64, v65
	v_ashrrev_i32_e32 v54, 31, v54
	v_xor_b32_e32 v53, s15, v53
	v_cmp_gt_i32_e64 s15, 0, v65
	v_and_b32_e32 v51, v51, v52
	v_not_b32_e32 v52, v66
	v_ashrrev_i32_e32 v64, 31, v64
	s_wait_alu 0xf1ff
	v_xor_b32_e32 v54, s14, v54
	v_cmp_gt_i32_e64 s14, 0, v66
	v_and_b32_e32 v51, v51, v53
	v_not_b32_e32 v53, v55
	v_ashrrev_i32_e32 v52, 31, v52
	v_xor_b32_e32 v64, s15, v64
	v_lshl_add_u32 v50, v50, 3, v135
	v_and_b32_e32 v51, v51, v54
	v_cmp_gt_i32_e64 s15, 0, v55
	v_ashrrev_i32_e32 v53, 31, v53
	s_wait_alu 0xf1ff
	v_xor_b32_e32 v52, s14, v52
	v_lshl_add_u32 v54, v50, 2, v12
	v_and_b32_e32 v51, v51, v64
	v_xor_b32_e32 v53, s15, v53
	ds_load_b32 v50, v54 offset:32
	v_and_b32_e32 v51, v51, v52
	v_add_nc_u32_e32 v52, 32, v54
	; wave barrier
	s_delay_alu instid0(VALU_DEP_2) | instskip(NEXT) | instid1(VALU_DEP_1)
	v_and_b32_e32 v53, v51, v53
	v_mbcnt_lo_u32_b32 v51, v53, 0
	v_cmp_ne_u32_e64 s15, 0, v53
	s_delay_alu instid0(VALU_DEP_2)
	v_cmp_eq_u32_e64 s14, 0, v51
	s_and_b32 s15, s15, s14
	s_wait_alu 0xfffe
	s_and_saveexec_b32 s14, s15
	s_cbranch_execz .LBB1951_37
; %bb.36:                               ;   in Loop: Header=BB1951_29 Depth=1
	s_wait_dscnt 0x0
	v_bcnt_u32_b32 v53, v53, v50
	ds_store_b32 v52, v53
.LBB1951_37:                            ;   in Loop: Header=BB1951_29 Depth=1
	s_wait_alu 0xfffe
	s_or_b32 exec_lo, exec_lo, s14
	v_cmp_ne_u16_e64 s14, 0x8000, v194
	; wave barrier
	s_wait_alu 0xf1ff
	s_delay_alu instid0(VALU_DEP_1) | instskip(NEXT) | instid1(VALU_DEP_1)
	v_cndmask_b32_e64 v53, 0x7fff, v194, s14
	v_and_b32_e32 v53, 0xffff, v53
	s_delay_alu instid0(VALU_DEP_1) | instskip(NEXT) | instid1(VALU_DEP_1)
	v_lshrrev_b32_e32 v53, v10, v53
	v_and_b32_e32 v53, v53, v36
	s_delay_alu instid0(VALU_DEP_1)
	v_and_b32_e32 v54, 1, v53
	v_lshlrev_b32_e32 v55, 30, v53
	v_lshlrev_b32_e32 v64, 29, v53
	;; [unrolled: 1-line block ×4, first 2 shown]
	v_add_co_u32 v54, s14, v54, -1
	s_wait_alu 0xf1ff
	v_cndmask_b32_e64 v66, 0, 1, s14
	v_not_b32_e32 v70, v55
	v_cmp_gt_i32_e64 s15, 0, v55
	v_not_b32_e32 v55, v64
	v_lshlrev_b32_e32 v68, 26, v53
	v_cmp_ne_u32_e64 s14, 0, v66
	v_ashrrev_i32_e32 v70, 31, v70
	v_lshlrev_b32_e32 v69, 25, v53
	v_ashrrev_i32_e32 v55, 31, v55
	v_lshlrev_b32_e32 v66, 24, v53
	s_wait_alu 0xf1ff
	v_xor_b32_e32 v54, s14, v54
	v_cmp_gt_i32_e64 s14, 0, v64
	v_not_b32_e32 v64, v65
	v_xor_b32_e32 v70, s15, v70
	v_cmp_gt_i32_e64 s15, 0, v65
	v_and_b32_e32 v54, exec_lo, v54
	v_not_b32_e32 v65, v67
	v_ashrrev_i32_e32 v64, 31, v64
	s_wait_alu 0xf1ff
	v_xor_b32_e32 v55, s14, v55
	v_cmp_gt_i32_e64 s14, 0, v67
	v_and_b32_e32 v54, v54, v70
	v_not_b32_e32 v67, v68
	v_ashrrev_i32_e32 v65, 31, v65
	v_xor_b32_e32 v64, s15, v64
	v_cmp_gt_i32_e64 s15, 0, v68
	v_and_b32_e32 v54, v54, v55
	v_not_b32_e32 v55, v69
	v_ashrrev_i32_e32 v67, 31, v67
	s_wait_alu 0xf1ff
	v_xor_b32_e32 v65, s14, v65
	v_cmp_gt_i32_e64 s14, 0, v69
	v_and_b32_e32 v54, v54, v64
	v_not_b32_e32 v64, v66
	v_ashrrev_i32_e32 v55, 31, v55
	v_xor_b32_e32 v67, s15, v67
	v_lshl_add_u32 v53, v53, 3, v135
	v_and_b32_e32 v54, v54, v65
	v_cmp_gt_i32_e64 s15, 0, v66
	v_ashrrev_i32_e32 v64, 31, v64
	s_wait_alu 0xf1ff
	v_xor_b32_e32 v55, s14, v55
	v_lshl_add_u32 v65, v53, 2, v12
	v_and_b32_e32 v54, v54, v67
	v_xor_b32_e32 v64, s15, v64
	ds_load_b32 v53, v65 offset:32
	v_and_b32_e32 v54, v54, v55
	v_add_nc_u32_e32 v55, 32, v65
	; wave barrier
	s_delay_alu instid0(VALU_DEP_2) | instskip(NEXT) | instid1(VALU_DEP_1)
	v_and_b32_e32 v64, v54, v64
	v_mbcnt_lo_u32_b32 v54, v64, 0
	v_cmp_ne_u32_e64 s15, 0, v64
	s_delay_alu instid0(VALU_DEP_2)
	v_cmp_eq_u32_e64 s14, 0, v54
	s_and_b32 s15, s15, s14
	s_wait_alu 0xfffe
	s_and_saveexec_b32 s14, s15
	s_cbranch_execz .LBB1951_39
; %bb.38:                               ;   in Loop: Header=BB1951_29 Depth=1
	s_wait_dscnt 0x0
	v_bcnt_u32_b32 v64, v64, v53
	ds_store_b32 v55, v64
.LBB1951_39:                            ;   in Loop: Header=BB1951_29 Depth=1
	s_wait_alu 0xfffe
	s_or_b32 exec_lo, exec_lo, s14
	v_cmp_ne_u16_e64 s14, 0x8000, v193
	; wave barrier
	s_wait_alu 0xf1ff
	s_delay_alu instid0(VALU_DEP_1) | instskip(NEXT) | instid1(VALU_DEP_1)
	v_cndmask_b32_e64 v64, 0x7fff, v193, s14
	v_and_b32_e32 v64, 0xffff, v64
	s_delay_alu instid0(VALU_DEP_1) | instskip(NEXT) | instid1(VALU_DEP_1)
	v_lshrrev_b32_e32 v64, v10, v64
	v_and_b32_e32 v64, v64, v36
	s_delay_alu instid0(VALU_DEP_1)
	v_and_b32_e32 v65, 1, v64
	v_lshlrev_b32_e32 v66, 30, v64
	v_lshlrev_b32_e32 v67, 29, v64
	;; [unrolled: 1-line block ×4, first 2 shown]
	v_add_co_u32 v65, s14, v65, -1
	s_wait_alu 0xf1ff
	v_cndmask_b32_e64 v69, 0, 1, s14
	v_not_b32_e32 v81, v66
	v_cmp_gt_i32_e64 s15, 0, v66
	v_not_b32_e32 v66, v67
	v_lshlrev_b32_e32 v71, 26, v64
	v_cmp_ne_u32_e64 s14, 0, v69
	v_ashrrev_i32_e32 v81, 31, v81
	v_lshlrev_b32_e32 v80, 25, v64
	v_ashrrev_i32_e32 v66, 31, v66
	v_lshlrev_b32_e32 v69, 24, v64
	s_wait_alu 0xf1ff
	v_xor_b32_e32 v65, s14, v65
	v_cmp_gt_i32_e64 s14, 0, v67
	v_not_b32_e32 v67, v68
	v_xor_b32_e32 v81, s15, v81
	v_cmp_gt_i32_e64 s15, 0, v68
	v_and_b32_e32 v65, exec_lo, v65
	v_not_b32_e32 v68, v70
	v_ashrrev_i32_e32 v67, 31, v67
	s_wait_alu 0xf1ff
	v_xor_b32_e32 v66, s14, v66
	v_cmp_gt_i32_e64 s14, 0, v70
	v_and_b32_e32 v65, v65, v81
	v_not_b32_e32 v70, v71
	v_ashrrev_i32_e32 v68, 31, v68
	v_xor_b32_e32 v67, s15, v67
	v_cmp_gt_i32_e64 s15, 0, v71
	v_and_b32_e32 v65, v65, v66
	v_not_b32_e32 v66, v80
	v_ashrrev_i32_e32 v70, 31, v70
	s_wait_alu 0xf1ff
	v_xor_b32_e32 v68, s14, v68
	v_cmp_gt_i32_e64 s14, 0, v80
	v_and_b32_e32 v65, v65, v67
	v_not_b32_e32 v67, v69
	v_ashrrev_i32_e32 v66, 31, v66
	v_xor_b32_e32 v70, s15, v70
	v_lshl_add_u32 v64, v64, 3, v135
	v_and_b32_e32 v65, v65, v68
	v_cmp_gt_i32_e64 s15, 0, v69
	v_ashrrev_i32_e32 v67, 31, v67
	s_wait_alu 0xf1ff
	v_xor_b32_e32 v66, s14, v66
	v_lshl_add_u32 v68, v64, 2, v12
	v_and_b32_e32 v65, v65, v70
	v_xor_b32_e32 v67, s15, v67
	ds_load_b32 v64, v68 offset:32
	v_and_b32_e32 v65, v65, v66
	v_add_nc_u32_e32 v66, 32, v68
	; wave barrier
	s_delay_alu instid0(VALU_DEP_2) | instskip(NEXT) | instid1(VALU_DEP_1)
	v_and_b32_e32 v67, v65, v67
	v_mbcnt_lo_u32_b32 v65, v67, 0
	v_cmp_ne_u32_e64 s15, 0, v67
	s_delay_alu instid0(VALU_DEP_2)
	v_cmp_eq_u32_e64 s14, 0, v65
	s_and_b32 s15, s15, s14
	s_wait_alu 0xfffe
	s_and_saveexec_b32 s14, s15
	s_cbranch_execz .LBB1951_41
; %bb.40:                               ;   in Loop: Header=BB1951_29 Depth=1
	s_wait_dscnt 0x0
	v_bcnt_u32_b32 v67, v67, v64
	ds_store_b32 v66, v67
.LBB1951_41:                            ;   in Loop: Header=BB1951_29 Depth=1
	s_wait_alu 0xfffe
	s_or_b32 exec_lo, exec_lo, s14
	v_cmp_ne_u16_e64 s14, 0x8000, v192
	; wave barrier
	s_wait_alu 0xf1ff
	s_delay_alu instid0(VALU_DEP_1) | instskip(NEXT) | instid1(VALU_DEP_1)
	v_cndmask_b32_e64 v67, 0x7fff, v192, s14
	v_and_b32_e32 v67, 0xffff, v67
	s_delay_alu instid0(VALU_DEP_1) | instskip(NEXT) | instid1(VALU_DEP_1)
	v_lshrrev_b32_e32 v67, v10, v67
	v_and_b32_e32 v67, v67, v36
	s_delay_alu instid0(VALU_DEP_1)
	v_and_b32_e32 v68, 1, v67
	v_lshlrev_b32_e32 v69, 30, v67
	v_lshlrev_b32_e32 v70, 29, v67
	;; [unrolled: 1-line block ×4, first 2 shown]
	v_add_co_u32 v68, s14, v68, -1
	s_wait_alu 0xf1ff
	v_cndmask_b32_e64 v80, 0, 1, s14
	v_not_b32_e32 v84, v69
	v_cmp_gt_i32_e64 s15, 0, v69
	v_not_b32_e32 v69, v70
	v_lshlrev_b32_e32 v82, 26, v67
	v_cmp_ne_u32_e64 s14, 0, v80
	v_ashrrev_i32_e32 v84, 31, v84
	v_lshlrev_b32_e32 v83, 25, v67
	v_ashrrev_i32_e32 v69, 31, v69
	v_lshlrev_b32_e32 v80, 24, v67
	s_wait_alu 0xf1ff
	v_xor_b32_e32 v68, s14, v68
	v_cmp_gt_i32_e64 s14, 0, v70
	v_not_b32_e32 v70, v71
	v_xor_b32_e32 v84, s15, v84
	v_cmp_gt_i32_e64 s15, 0, v71
	v_and_b32_e32 v68, exec_lo, v68
	v_not_b32_e32 v71, v81
	v_ashrrev_i32_e32 v70, 31, v70
	s_wait_alu 0xf1ff
	v_xor_b32_e32 v69, s14, v69
	v_cmp_gt_i32_e64 s14, 0, v81
	v_and_b32_e32 v68, v68, v84
	v_not_b32_e32 v81, v82
	v_ashrrev_i32_e32 v71, 31, v71
	v_xor_b32_e32 v70, s15, v70
	v_cmp_gt_i32_e64 s15, 0, v82
	v_and_b32_e32 v68, v68, v69
	v_not_b32_e32 v69, v83
	v_ashrrev_i32_e32 v81, 31, v81
	s_wait_alu 0xf1ff
	v_xor_b32_e32 v71, s14, v71
	v_cmp_gt_i32_e64 s14, 0, v83
	v_and_b32_e32 v68, v68, v70
	v_not_b32_e32 v70, v80
	v_ashrrev_i32_e32 v69, 31, v69
	v_xor_b32_e32 v81, s15, v81
	v_lshl_add_u32 v67, v67, 3, v135
	v_and_b32_e32 v68, v68, v71
	v_cmp_gt_i32_e64 s15, 0, v80
	v_ashrrev_i32_e32 v70, 31, v70
	s_wait_alu 0xf1ff
	v_xor_b32_e32 v69, s14, v69
	v_lshl_add_u32 v67, v67, 2, v12
	v_and_b32_e32 v68, v68, v81
	v_xor_b32_e32 v70, s15, v70
	ds_load_b32 v84, v67 offset:32
	v_and_b32_e32 v68, v68, v69
	v_add_nc_u32_e32 v67, 32, v67
	; wave barrier
	s_delay_alu instid0(VALU_DEP_2) | instskip(NEXT) | instid1(VALU_DEP_1)
	v_and_b32_e32 v68, v68, v70
	v_mbcnt_lo_u32_b32 v86, v68, 0
	v_cmp_ne_u32_e64 s15, 0, v68
	s_delay_alu instid0(VALU_DEP_2)
	v_cmp_eq_u32_e64 s14, 0, v86
	s_and_b32 s15, s15, s14
	s_wait_alu 0xfffe
	s_and_saveexec_b32 s14, s15
	s_cbranch_execz .LBB1951_43
; %bb.42:                               ;   in Loop: Header=BB1951_29 Depth=1
	s_wait_dscnt 0x0
	v_bcnt_u32_b32 v68, v68, v84
	ds_store_b32 v67, v68
.LBB1951_43:                            ;   in Loop: Header=BB1951_29 Depth=1
	s_wait_alu 0xfffe
	s_or_b32 exec_lo, exec_lo, s14
	v_cmp_ne_u16_e64 s14, 0x8000, v196
	; wave barrier
	s_wait_alu 0xf1ff
	s_delay_alu instid0(VALU_DEP_1) | instskip(NEXT) | instid1(VALU_DEP_1)
	v_cndmask_b32_e64 v68, 0x7fff, v196, s14
	v_and_b32_e32 v68, 0xffff, v68
	s_delay_alu instid0(VALU_DEP_1) | instskip(NEXT) | instid1(VALU_DEP_1)
	v_lshrrev_b32_e32 v68, v10, v68
	v_and_b32_e32 v36, v68, v36
	s_delay_alu instid0(VALU_DEP_1)
	v_and_b32_e32 v68, 1, v36
	v_lshlrev_b32_e32 v69, 30, v36
	v_lshlrev_b32_e32 v70, 29, v36
	;; [unrolled: 1-line block ×4, first 2 shown]
	v_add_co_u32 v68, s14, v68, -1
	s_wait_alu 0xf1ff
	v_cndmask_b32_e64 v80, 0, 1, s14
	v_not_b32_e32 v85, v69
	v_cmp_gt_i32_e64 s15, 0, v69
	v_not_b32_e32 v69, v70
	v_lshlrev_b32_e32 v82, 26, v36
	v_cmp_ne_u32_e64 s14, 0, v80
	v_ashrrev_i32_e32 v85, 31, v85
	v_lshlrev_b32_e32 v83, 25, v36
	v_ashrrev_i32_e32 v69, 31, v69
	v_lshlrev_b32_e32 v80, 24, v36
	s_wait_alu 0xf1ff
	v_xor_b32_e32 v68, s14, v68
	v_cmp_gt_i32_e64 s14, 0, v70
	v_not_b32_e32 v70, v71
	v_xor_b32_e32 v85, s15, v85
	v_cmp_gt_i32_e64 s15, 0, v71
	v_and_b32_e32 v68, exec_lo, v68
	v_not_b32_e32 v71, v81
	v_ashrrev_i32_e32 v70, 31, v70
	s_wait_alu 0xf1ff
	v_xor_b32_e32 v69, s14, v69
	v_cmp_gt_i32_e64 s14, 0, v81
	v_and_b32_e32 v68, v68, v85
	v_not_b32_e32 v81, v82
	v_ashrrev_i32_e32 v71, 31, v71
	v_xor_b32_e32 v70, s15, v70
	v_cmp_gt_i32_e64 s15, 0, v82
	v_and_b32_e32 v68, v68, v69
	v_not_b32_e32 v69, v83
	v_ashrrev_i32_e32 v81, 31, v81
	s_wait_alu 0xf1ff
	v_xor_b32_e32 v71, s14, v71
	v_cmp_gt_i32_e64 s14, 0, v83
	v_and_b32_e32 v68, v68, v70
	v_not_b32_e32 v70, v80
	v_ashrrev_i32_e32 v69, 31, v69
	v_xor_b32_e32 v81, s15, v81
	v_lshl_add_u32 v36, v36, 3, v135
	v_and_b32_e32 v68, v68, v71
	v_cmp_gt_i32_e64 s15, 0, v80
	v_ashrrev_i32_e32 v70, 31, v70
	s_wait_alu 0xf1ff
	v_xor_b32_e32 v69, s14, v69
	v_lshl_add_u32 v71, v36, 2, v12
	v_and_b32_e32 v68, v68, v81
	v_xor_b32_e32 v70, s15, v70
	ds_load_b32 v36, v71 offset:32
	v_and_b32_e32 v68, v68, v69
	; wave barrier
	s_delay_alu instid0(VALU_DEP_1) | instskip(SKIP_1) | instid1(VALU_DEP_2)
	v_and_b32_e32 v69, v68, v70
	v_add_nc_u32_e32 v68, 32, v71
	v_mbcnt_lo_u32_b32 v96, v69, 0
	v_cmp_ne_u32_e64 s15, 0, v69
	s_delay_alu instid0(VALU_DEP_2)
	v_cmp_eq_u32_e64 s14, 0, v96
	s_and_b32 s15, s15, s14
	s_wait_alu 0xfffe
	s_and_saveexec_b32 s14, s15
	s_cbranch_execz .LBB1951_45
; %bb.44:                               ;   in Loop: Header=BB1951_29 Depth=1
	s_wait_dscnt 0x0
	v_bcnt_u32_b32 v69, v69, v36
	ds_store_b32 v68, v69
.LBB1951_45:                            ;   in Loop: Header=BB1951_29 Depth=1
	s_wait_alu 0xfffe
	s_or_b32 exec_lo, exec_lo, s14
	; wave barrier
	s_wait_loadcnt_dscnt 0x0
	s_barrier_signal -1
	s_barrier_wait -1
	global_inv scope:SCOPE_SE
	ds_load_b32 v70, v25
	ds_load_b32 v71, v39
	;; [unrolled: 1-line block ×8, first 2 shown]
	s_wait_dscnt 0x6
	v_add_nc_u32_e32 v87, v71, v70
	s_wait_dscnt 0x4
	s_delay_alu instid0(VALU_DEP_1) | instskip(SKIP_1) | instid1(VALU_DEP_1)
	v_add3_u32 v87, v87, v80, v81
	s_wait_dscnt 0x2
	v_add3_u32 v87, v87, v82, v83
	s_wait_dscnt 0x0
	s_delay_alu instid0(VALU_DEP_1) | instskip(NEXT) | instid1(VALU_DEP_1)
	v_add3_u32 v85, v87, v69, v85
	v_mov_b32_dpp v87, v85 row_shr:1 row_mask:0xf bank_mask:0xf
	s_wait_alu 0xfffd
	s_delay_alu instid0(VALU_DEP_1) | instskip(NEXT) | instid1(VALU_DEP_1)
	v_cndmask_b32_e64 v87, v87, 0, vcc_lo
	v_add_nc_u32_e32 v85, v87, v85
	s_delay_alu instid0(VALU_DEP_1) | instskip(NEXT) | instid1(VALU_DEP_1)
	v_mov_b32_dpp v87, v85 row_shr:2 row_mask:0xf bank_mask:0xf
	v_cndmask_b32_e64 v87, 0, v87, s0
	s_delay_alu instid0(VALU_DEP_1) | instskip(NEXT) | instid1(VALU_DEP_1)
	v_add_nc_u32_e32 v85, v85, v87
	v_mov_b32_dpp v87, v85 row_shr:4 row_mask:0xf bank_mask:0xf
	s_delay_alu instid0(VALU_DEP_1) | instskip(NEXT) | instid1(VALU_DEP_1)
	v_cndmask_b32_e64 v87, 0, v87, s1
	v_add_nc_u32_e32 v85, v85, v87
	s_delay_alu instid0(VALU_DEP_1) | instskip(NEXT) | instid1(VALU_DEP_1)
	v_mov_b32_dpp v87, v85 row_shr:8 row_mask:0xf bank_mask:0xf
	v_cndmask_b32_e64 v87, 0, v87, s3
	s_delay_alu instid0(VALU_DEP_1) | instskip(SKIP_3) | instid1(VALU_DEP_1)
	v_add_nc_u32_e32 v85, v85, v87
	ds_swizzle_b32 v87, v85 offset:swizzle(BROADCAST,32,15)
	s_wait_dscnt 0x0
	v_cndmask_b32_e64 v87, v87, 0, s4
	v_add_nc_u32_e32 v85, v85, v87
	s_and_saveexec_b32 s14, s5
; %bb.46:                               ;   in Loop: Header=BB1951_29 Depth=1
	ds_store_b32 v145, v85
; %bb.47:                               ;   in Loop: Header=BB1951_29 Depth=1
	s_wait_alu 0xfffe
	s_or_b32 exec_lo, exec_lo, s14
	s_wait_loadcnt_dscnt 0x0
	s_barrier_signal -1
	s_barrier_wait -1
	global_inv scope:SCOPE_SE
	s_and_saveexec_b32 s14, s6
	s_cbranch_execz .LBB1951_49
; %bb.48:                               ;   in Loop: Header=BB1951_29 Depth=1
	ds_load_b32 v87, v146
	s_wait_dscnt 0x0
	v_mov_b32_dpp v97, v87 row_shr:1 row_mask:0xf bank_mask:0xf
	s_delay_alu instid0(VALU_DEP_1) | instskip(NEXT) | instid1(VALU_DEP_1)
	v_cndmask_b32_e64 v97, v97, 0, s11
	v_add_nc_u32_e32 v87, v97, v87
	s_delay_alu instid0(VALU_DEP_1) | instskip(NEXT) | instid1(VALU_DEP_1)
	v_mov_b32_dpp v97, v87 row_shr:2 row_mask:0xf bank_mask:0xf
	v_cndmask_b32_e64 v97, 0, v97, s12
	s_delay_alu instid0(VALU_DEP_1) | instskip(NEXT) | instid1(VALU_DEP_1)
	v_add_nc_u32_e32 v87, v87, v97
	v_mov_b32_dpp v97, v87 row_shr:4 row_mask:0xf bank_mask:0xf
	s_delay_alu instid0(VALU_DEP_1) | instskip(NEXT) | instid1(VALU_DEP_1)
	v_cndmask_b32_e64 v97, 0, v97, s13
	v_add_nc_u32_e32 v87, v87, v97
	ds_store_b32 v146, v87
.LBB1951_49:                            ;   in Loop: Header=BB1951_29 Depth=1
	s_wait_alu 0xfffe
	s_or_b32 exec_lo, exec_lo, s14
	v_mov_b32_e32 v87, 0
	s_wait_loadcnt_dscnt 0x0
	s_barrier_signal -1
	s_barrier_wait -1
	global_inv scope:SCOPE_SE
	s_and_saveexec_b32 s14, s7
; %bb.50:                               ;   in Loop: Header=BB1951_29 Depth=1
	ds_load_b32 v87, v148
; %bb.51:                               ;   in Loop: Header=BB1951_29 Depth=1
	s_wait_alu 0xfffe
	s_or_b32 exec_lo, exec_lo, s14
	s_wait_dscnt 0x0
	v_add_nc_u32_e32 v85, v87, v85
	v_add_nc_u32_e32 v10, 8, v10
	s_mov_b32 s20, -1
                                        ; implicit-def: $vgpr197
	ds_bpermute_b32 v85, v144, v85
	s_wait_dscnt 0x0
	v_cndmask_b32_e64 v85, v85, v87, s2
	v_mov_b32_e32 v87, v5
	s_delay_alu instid0(VALU_DEP_2) | instskip(NEXT) | instid1(VALU_DEP_1)
	v_cndmask_b32_e64 v85, v85, 0, s10
	v_add_nc_u32_e32 v70, v85, v70
	s_delay_alu instid0(VALU_DEP_1)
	v_add_nc_u32_e32 v71, v70, v71
	ds_store_b32 v25, v85
	ds_store_b32 v39, v70
	;; [unrolled: 1-line block ×3, first 2 shown]
	v_dual_mov_b32 v85, v5 :: v_dual_add_nc_u32 v80, v71, v80
	v_mov_b32_e32 v71, v5
	s_delay_alu instid0(VALU_DEP_2) | instskip(NEXT) | instid1(VALU_DEP_1)
	v_add_nc_u32_e32 v81, v80, v81
	v_add_nc_u32_e32 v82, v81, v82
	s_delay_alu instid0(VALU_DEP_1) | instskip(NEXT) | instid1(VALU_DEP_1)
	v_add_nc_u32_e32 v83, v82, v83
	v_add_nc_u32_e32 v69, v83, v69
	ds_store_b32 v130, v80
	ds_store_b32 v131, v81
	;; [unrolled: 1-line block ×5, first 2 shown]
	s_wait_loadcnt_dscnt 0x0
	s_barrier_signal -1
	s_barrier_wait -1
	global_inv scope:SCOPE_SE
	ds_load_b32 v33, v33
	ds_load_b32 v37, v37
	;; [unrolled: 1-line block ×8, first 2 shown]
	v_mov_b32_e32 v67, v5
	v_mov_b32_e32 v69, v5
	;; [unrolled: 1-line block ×4, first 2 shown]
	v_cmp_lt_u32_e64 s14, v10, v11
	s_wait_loadcnt_dscnt 0x0
	v_add_nc_u32_e32 v4, v33, v4
	v_add3_u32 v66, v35, v34, v37
	v_add3_u32 v68, v48, v38, v49
	;; [unrolled: 1-line block ×4, first 2 shown]
	v_lshlrev_b64_e32 v[33:34], 1, v[4:5]
	v_add3_u32 v84, v86, v84, v97
	v_add3_u32 v86, v96, v36, v98
	v_lshlrev_b64_e32 v[35:36], 1, v[66:67]
	v_lshlrev_b64_e32 v[37:38], 1, v[68:69]
	v_add3_u32 v82, v65, v64, v82
	v_lshlrev_b64_e32 v[48:49], 1, v[70:71]
	v_add_co_u32 v118, s15, v12, v33
	v_lshlrev_b64_e32 v[50:51], 1, v[80:81]
	s_wait_alu 0xf1ff
	v_add_co_ci_u32_e64 v119, null, v13, v34, s15
	v_add_co_u32 v96, s15, v12, v35
	v_lshlrev_b64_e32 v[52:53], 1, v[82:83]
	s_wait_alu 0xf1ff
	v_add_co_ci_u32_e64 v97, null, v13, v36, s15
	;; [unrolled: 4-line block ×4, first 2 shown]
	v_add_co_u32 v102, s15, v12, v50
	s_wait_alu 0xf1ff
	v_add_co_ci_u32_e64 v103, null, v13, v51, s15
	v_add_co_u32 v112, s15, v12, v52
	s_wait_alu 0xf1ff
	v_add_co_ci_u32_e64 v113, null, v13, v53, s15
	;; [unrolled: 3-line block ×4, first 2 shown]
                                        ; implicit-def: $vgpr33_vgpr34
                                        ; implicit-def: $vgpr35_vgpr36
                                        ; implicit-def: $vgpr37_vgpr38
                                        ; implicit-def: $vgpr48_vgpr49
                                        ; implicit-def: $vgpr50_vgpr51
                                        ; implicit-def: $vgpr52_vgpr53
                                        ; implicit-def: $vgpr54_vgpr55
                                        ; implicit-def: $vgpr64_vgpr65
                                        ; implicit-def: $vgpr69
                                        ; implicit-def: $vgpr71
                                        ; implicit-def: $vgpr81
                                        ; implicit-def: $vgpr83
                                        ; implicit-def: $vgpr85
                                        ; implicit-def: $vgpr87
                                        ; implicit-def: $vgpr67
	s_and_saveexec_b32 s15, s14
	s_cbranch_execz .LBB1951_28
; %bb.52:                               ;   in Loop: Header=BB1951_29 Depth=1
	v_mad_co_u64_u32 v[33:34], null, v4, 6, v[118:119]
	v_mad_co_u64_u32 v[34:35], null, v66, 6, v[96:97]
	;; [unrolled: 1-line block ×8, first 2 shown]
	s_barrier_signal -1
	s_barrier_wait -1
	global_inv scope:SCOPE_SE
	ds_store_b16 v118, v181
	ds_store_b16 v96, v183
	;; [unrolled: 1-line block ×8, first 2 shown]
	s_wait_loadcnt_dscnt 0x0
	s_barrier_signal -1
	s_barrier_wait -1
	global_inv scope:SCOPE_SE
	ds_load_u16 v197, v147
	ds_load_u16 v69, v149
	;; [unrolled: 1-line block ×8, first 2 shown]
	s_wait_loadcnt_dscnt 0x0
	s_barrier_signal -1
	s_barrier_wait -1
	global_inv scope:SCOPE_SE
	ds_store_b64 v33, v[31:32]
	ds_store_b64 v34, v[22:23]
	;; [unrolled: 1-line block ×8, first 2 shown]
	s_wait_loadcnt_dscnt 0x0
	s_barrier_signal -1
	s_barrier_wait -1
	global_inv scope:SCOPE_SE
	ds_load_b64 v[33:34], v160
	ds_load_b64 v[35:36], v165
	;; [unrolled: 1-line block ×8, first 2 shown]
	v_add_nc_u32_e32 v180, -8, v180
	s_xor_b32 s20, exec_lo, -1
	s_wait_loadcnt_dscnt 0x0
	s_barrier_signal -1
	s_barrier_wait -1
	global_inv scope:SCOPE_SE
	s_branch .LBB1951_28
.LBB1951_53:
	s_or_b32 exec_lo, exec_lo, s19
	v_mad_co_u64_u32 v[10:11], null, v4, 6, v[118:119]
	v_lshl_add_u32 v25, v30, 1, v12
	s_barrier_signal -1
	s_barrier_wait -1
	s_wait_loadcnt 0x0
	global_inv scope:SCOPE_SE
	ds_store_b16 v118, v181
	ds_store_b16 v96, v183
	;; [unrolled: 1-line block ×8, first 2 shown]
	s_wait_loadcnt_dscnt 0x0
	s_barrier_signal -1
	s_barrier_wait -1
	global_inv scope:SCOPE_SE
	ds_load_u16 v38, v25
	ds_load_u16 v37, v25 offset:512
	ds_load_u16 v36, v25 offset:1024
	;; [unrolled: 1-line block ×7, first 2 shown]
	s_wait_loadcnt_dscnt 0x0
	s_barrier_signal -1
	s_barrier_wait -1
	global_inv scope:SCOPE_SE
	ds_store_b64 v10, v[31:32]
	v_mad_co_u64_u32 v[10:11], null, v66, 6, v[96:97]
	v_mad_co_u64_u32 v[11:12], null, v68, 6, v[98:99]
	;; [unrolled: 1-line block ×7, first 2 shown]
	ds_store_b64 v10, v[22:23]
	ds_store_b64 v11, v[20:21]
	;; [unrolled: 1-line block ×3, first 2 shown]
	v_mul_u32_u24_e32 v10, 6, v30
	ds_store_b64 v31, v[14:15]
	ds_store_b64 v48, v[8:9]
	;; [unrolled: 1-line block ×4, first 2 shown]
	s_wait_loadcnt_dscnt 0x0
	s_barrier_signal -1
	v_dual_mov_b32 v25, 0 :: v_dual_add_nc_u32 v8, v25, v10
	s_barrier_wait -1
	global_inv scope:SCOPE_SE
	ds_load_2addr_stride64_b64 v[20:23], v8 offset1:4
	ds_load_2addr_stride64_b64 v[16:19], v8 offset0:8 offset1:12
	ds_load_2addr_stride64_b64 v[12:15], v8 offset0:16 offset1:20
	;; [unrolled: 1-line block ×3, first 2 shown]
	v_lshlrev_b64_e32 v[28:29], 1, v[24:25]
	v_add_co_u32 v2, vcc_lo, v2, v26
	s_wait_alu 0xfffd
	v_add_co_ci_u32_e64 v3, null, v3, v27, vcc_lo
	s_wait_loadcnt_dscnt 0x0
	s_delay_alu instid0(VALU_DEP_2) | instskip(SKIP_1) | instid1(VALU_DEP_2)
	v_add_co_u32 v2, vcc_lo, v2, v28
	s_wait_alu 0xfffd
	v_add_co_ci_u32_e64 v3, null, v3, v29, vcc_lo
	v_cmp_lt_u32_e32 vcc_lo, v24, v128
	s_barrier_signal -1
	s_barrier_wait -1
	global_inv scope:SCOPE_SE
	s_and_saveexec_b32 s1, vcc_lo
	s_cbranch_execz .LBB1951_55
; %bb.54:
	v_cmp_gt_i16_e64 s0, 0, v38
	s_wait_alu 0xf1ff
	s_delay_alu instid0(VALU_DEP_1) | instskip(NEXT) | instid1(VALU_DEP_1)
	v_cndmask_b32_e64 v26, 0x7fff, 0, s0
	v_xor_b32_e32 v26, v26, v38
	flat_store_b16 v[2:3], v26
.LBB1951_55:
	s_wait_alu 0xfffe
	s_or_b32 exec_lo, exec_lo, s1
	v_add_nc_u32_e32 v26, 0x100, v24
	s_delay_alu instid0(VALU_DEP_1)
	v_cmp_lt_u32_e64 s0, v26, v128
	s_and_saveexec_b32 s2, s0
	s_cbranch_execz .LBB1951_57
; %bb.56:
	v_cmp_gt_i16_e64 s1, 0, v37
	s_wait_alu 0xf1ff
	s_delay_alu instid0(VALU_DEP_1) | instskip(NEXT) | instid1(VALU_DEP_1)
	v_cndmask_b32_e64 v26, 0x7fff, 0, s1
	v_xor_b32_e32 v26, v26, v37
	flat_store_b16 v[2:3], v26 offset:512
.LBB1951_57:
	s_wait_alu 0xfffe
	s_or_b32 exec_lo, exec_lo, s2
	v_add_nc_u32_e32 v26, 0x200, v24
	s_delay_alu instid0(VALU_DEP_1)
	v_cmp_lt_u32_e64 s1, v26, v128
	s_and_saveexec_b32 s3, s1
	s_cbranch_execz .LBB1951_59
; %bb.58:
	v_cmp_gt_i16_e64 s2, 0, v36
	s_wait_alu 0xf1ff
	s_delay_alu instid0(VALU_DEP_1) | instskip(NEXT) | instid1(VALU_DEP_1)
	v_cndmask_b32_e64 v26, 0x7fff, 0, s2
	v_xor_b32_e32 v26, v26, v36
	flat_store_b16 v[2:3], v26 offset:1024
.LBB1951_59:
	;; [unrolled: 15-line block ×7, first 2 shown]
	s_wait_alu 0xfffe
	s_or_b32 exec_lo, exec_lo, s10
	v_lshlrev_b64_e32 v[2:3], 3, v[24:25]
	v_add_co_u32 v0, s7, v6, v0
	s_wait_alu 0xf1ff
	v_add_co_ci_u32_e64 v1, null, v7, v1, s7
	s_delay_alu instid0(VALU_DEP_2) | instskip(SKIP_1) | instid1(VALU_DEP_2)
	v_add_co_u32 v0, s7, v0, v2
	s_wait_alu 0xf1ff
	v_add_co_ci_u32_e64 v1, null, v1, v3, s7
	s_and_saveexec_b32 s7, vcc_lo
	s_cbranch_execnz .LBB1951_119
; %bb.70:
	s_wait_alu 0xfffe
	s_or_b32 exec_lo, exec_lo, s7
	s_and_saveexec_b32 s7, s0
	s_cbranch_execnz .LBB1951_120
.LBB1951_71:
	s_wait_alu 0xfffe
	s_or_b32 exec_lo, exec_lo, s7
	s_and_saveexec_b32 s0, s1
	s_cbranch_execnz .LBB1951_121
.LBB1951_72:
	s_wait_alu 0xfffe
	s_or_b32 exec_lo, exec_lo, s0
	s_and_saveexec_b32 s0, s2
	s_cbranch_execnz .LBB1951_122
.LBB1951_73:
	s_wait_alu 0xfffe
	s_or_b32 exec_lo, exec_lo, s0
	s_and_saveexec_b32 s0, s3
	s_cbranch_execnz .LBB1951_123
.LBB1951_74:
	s_wait_alu 0xfffe
	s_or_b32 exec_lo, exec_lo, s0
	s_and_saveexec_b32 s0, s4
	s_cbranch_execnz .LBB1951_124
.LBB1951_75:
	s_wait_alu 0xfffe
	s_or_b32 exec_lo, exec_lo, s0
	s_and_saveexec_b32 s0, s5
	s_cbranch_execnz .LBB1951_125
.LBB1951_76:
	s_wait_alu 0xfffe
	s_or_b32 exec_lo, exec_lo, s0
	s_and_saveexec_b32 s0, s6
	s_cbranch_execz .LBB1951_78
.LBB1951_77:
	flat_store_b64 v[0:1], v[10:11] offset:14336
.LBB1951_78:
	s_wait_alu 0xfffe
	s_or_b32 exec_lo, exec_lo, s0
                                        ; implicit-def: $vgpr128
                                        ; implicit-def: $vgpr0
                                        ; implicit-def: $vgpr1
                                        ; implicit-def: $vgpr2
                                        ; implicit-def: $vgpr3
                                        ; implicit-def: $vgpr4
                                        ; implicit-def: $vgpr5
                                        ; implicit-def: $vgpr6
                                        ; implicit-def: $vgpr7
                                        ; implicit-def: $vgpr8
                                        ; implicit-def: $vgpr10
                                        ; implicit-def: $vgpr11
                                        ; implicit-def: $vgpr12
                                        ; implicit-def: $vgpr13
                                        ; implicit-def: $vgpr9
                                        ; implicit-def: $vgpr14
                                        ; implicit-def: $vgpr30
                                        ; implicit-def: $vgpr66
.LBB1951_79:
	s_wait_alu 0xfffe
	s_and_not1_saveexec_b32 s0, s17
	s_cbranch_execz .LBB1951_199
; %bb.80:
	s_mov_b32 s0, exec_lo
	v_cmpx_lt_u32_e32 0x200, v128
	s_wait_alu 0xfffe
	s_xor_b32 s17, exec_lo, s0
	s_cbranch_execz .LBB1951_140
; %bb.81:
	s_load_b64 s[0:1], s[8:9], 0x0
	s_and_b32 s2, ttmp7, 0xffff
	s_mov_b32 s3, 0
	v_dual_mov_b32 v16, -1 :: v_dual_lshlrev_b32 v17, 1, v66
	s_wait_kmcnt 0x0
	s_wait_alu 0xfffe
	s_cmp_lt_u32 s2, s1
	s_cselect_b32 s2, 14, 20
	s_cmp_lt_u32 ttmp9, s0
	s_wait_alu 0xfffe
	s_add_nc_u64 s[4:5], s[8:9], s[2:3]
	s_cselect_b32 s2, 12, 18
	s_load_u16 s4, s[4:5], 0x0
	s_add_nc_u64 s[0:1], s[8:9], s[2:3]
	s_load_u16 s0, s[0:1], 0x0
	s_wait_kmcnt 0x0
	v_mad_u32_u24 v9, v14, s4, v9
	s_delay_alu instid0(VALU_DEP_1) | instskip(NEXT) | instid1(VALU_DEP_1)
	v_mad_co_u64_u32 v[31:32], null, v9, s0, v[30:31]
	v_dual_mov_b32 v9, 0 :: v_dual_lshlrev_b32 v14, 2, v31
	s_delay_alu instid0(VALU_DEP_1) | instskip(NEXT) | instid1(VALU_DEP_2)
	v_lshlrev_b64_e32 v[33:34], 1, v[8:9]
	v_dual_mov_b32 v15, v9 :: v_dual_and_b32 v14, 0xffffff80, v14
	s_delay_alu instid0(VALU_DEP_2) | instskip(SKIP_1) | instid1(VALU_DEP_3)
	v_add_co_u32 v18, vcc_lo, v0, v33
	s_wait_alu 0xfffd
	v_add_co_ci_u32_e64 v19, null, v1, v34, vcc_lo
	s_delay_alu instid0(VALU_DEP_3) | instskip(NEXT) | instid1(VALU_DEP_3)
	v_lshlrev_b64_e32 v[0:1], 1, v[14:15]
	v_add_co_u32 v17, vcc_lo, v18, v17
	v_or_b32_e32 v20, v14, v66
	s_wait_alu 0xfffd
	v_add_co_ci_u32_e64 v18, null, 0, v19, vcc_lo
	s_delay_alu instid0(VALU_DEP_3) | instskip(NEXT) | instid1(VALU_DEP_3)
	v_add_co_u32 v0, vcc_lo, v17, v0
	v_cmp_lt_u32_e64 s2, v20, v128
	s_wait_alu 0xfffd
	s_delay_alu instid0(VALU_DEP_3) | instskip(SKIP_1) | instid1(VALU_DEP_3)
	v_add_co_ci_u32_e64 v1, null, v18, v1, vcc_lo
	v_mov_b32_e32 v17, -1
	s_and_saveexec_b32 s0, s2
	s_cbranch_execz .LBB1951_83
; %bb.82:
	flat_load_u16 v17, v[0:1]
.LBB1951_83:
	s_wait_alu 0xfffe
	s_or_b32 exec_lo, exec_lo, s0
	v_or_b32_e32 v18, 32, v20
	s_delay_alu instid0(VALU_DEP_1)
	v_cmp_lt_u32_e64 s0, v18, v128
	s_and_saveexec_b32 s1, s0
	s_cbranch_execz .LBB1951_85
; %bb.84:
	flat_load_u16 v16, v[0:1] offset:64
.LBB1951_85:
	s_wait_alu 0xfffe
	s_or_b32 exec_lo, exec_lo, s1
	v_or_b32_e32 v19, 64, v20
	v_mov_b32_e32 v18, -1
	s_delay_alu instid0(VALU_DEP_2)
	v_cmp_lt_u32_e64 s1, v19, v128
	v_mov_b32_e32 v19, -1
	s_and_saveexec_b32 s3, s1
	s_cbranch_execz .LBB1951_87
; %bb.86:
	flat_load_u16 v19, v[0:1] offset:128
.LBB1951_87:
	s_wait_alu 0xfffe
	s_or_b32 exec_lo, exec_lo, s3
	v_or_b32_e32 v20, 0x60, v20
	s_delay_alu instid0(VALU_DEP_1)
	v_cmp_lt_u32_e32 vcc_lo, v20, v128
	s_and_saveexec_b32 s3, vcc_lo
	s_cbranch_execz .LBB1951_89
; %bb.88:
	flat_load_u16 v18, v[0:1] offset:192
.LBB1951_89:
	s_wait_alu 0xfffe
	s_or_b32 exec_lo, exec_lo, s3
	v_lshlrev_b64_e32 v[0:1], 3, v[8:9]
	v_mov_b32_e32 v22, 0
	s_delay_alu instid0(VALU_DEP_1) | instskip(NEXT) | instid1(VALU_DEP_3)
	v_dual_mov_b32 v23, v22 :: v_dual_lshlrev_b32 v8, 3, v66
	v_add_co_u32 v9, s3, v4, v0
	s_wait_alu 0xf1ff
	s_delay_alu instid0(VALU_DEP_4) | instskip(SKIP_1) | instid1(VALU_DEP_3)
	v_add_co_ci_u32_e64 v20, null, v5, v1, s3
	v_lshlrev_b64_e32 v[4:5], 3, v[14:15]
	v_add_co_u32 v8, s3, v9, v8
	s_wait_alu 0xf1ff
	s_delay_alu instid0(VALU_DEP_3) | instskip(SKIP_1) | instid1(VALU_DEP_3)
	v_add_co_ci_u32_e64 v9, null, 0, v20, s3
	v_dual_mov_b32 v24, v22 :: v_dual_mov_b32 v25, v22
	v_add_co_u32 v4, s3, v8, v4
	s_wait_alu 0xf1ff
	s_delay_alu instid0(VALU_DEP_3)
	v_add_co_ci_u32_e64 v5, null, v9, v5, s3
	v_dual_mov_b32 v26, v22 :: v_dual_mov_b32 v27, v22
	v_dual_mov_b32 v28, v22 :: v_dual_mov_b32 v29, v22
	s_and_saveexec_b32 s3, s2
	s_cbranch_execnz .LBB1951_164
; %bb.90:
	s_wait_alu 0xfffe
	s_or_b32 exec_lo, exec_lo, s3
	s_and_saveexec_b32 s2, s0
	s_cbranch_execnz .LBB1951_165
.LBB1951_91:
	s_wait_alu 0xfffe
	s_or_b32 exec_lo, exec_lo, s2
	s_and_saveexec_b32 s0, s1
	s_cbranch_execnz .LBB1951_166
.LBB1951_92:
	s_wait_alu 0xfffe
	s_or_b32 exec_lo, exec_lo, s0
	s_and_saveexec_b32 s0, vcc_lo
	s_cbranch_execz .LBB1951_94
.LBB1951_93:
	flat_load_b64 v[28:29], v[4:5] offset:768
.LBB1951_94:
	s_wait_alu 0xfffe
	s_or_b32 exec_lo, exec_lo, s0
	s_wait_loadcnt_dscnt 0x0
	v_cmp_gt_i16_e32 vcc_lo, 0, v17
	v_lshl_add_u32 v14, v30, 5, v12
	s_getpc_b64 s[0:1]
	s_wait_alu 0xfffe
	s_sext_i32_i16 s1, s1
	s_add_co_u32 s0, s0, _ZN7rocprim17ROCPRIM_400000_NS16block_radix_sortI12hip_bfloat16Lj256ELj4ElLj1ELj1ELj8ELNS0_26block_radix_rank_algorithmE2ELNS0_18block_padding_hintE2ELNS0_4arch9wavefront6targetE0EE19radix_bits_per_passE@rel32@lo+12
	s_wait_alu 0xfffe
	s_add_co_ci_u32 s1, s1, _ZN7rocprim17ROCPRIM_400000_NS16block_radix_sortI12hip_bfloat16Lj256ELj4ElLj1ELj1ELj8ELNS0_26block_radix_rank_algorithmE2ELNS0_18block_padding_hintE2ELNS0_4arch9wavefront6targetE0EE19radix_bits_per_passE@rel32@hi+24
	v_lshrrev_b32_e32 v70, 5, v31
	s_load_b32 s18, s[0:1], 0x0
	v_cndmask_b32_e64 v4, 0x7fff, 0, vcc_lo
	v_cmp_gt_i16_e32 vcc_lo, 0, v16
	v_add_nc_u32_e32 v32, 32, v14
	v_add_nc_u32_e32 v54, 36, v14
	;; [unrolled: 1-line block ×3, first 2 shown]
	v_xor_b32_e32 v9, v4, v17
	s_wait_alu 0xfffd
	v_cndmask_b32_e64 v5, 0x7fff, 0, vcc_lo
	v_cmp_gt_i16_e32 vcc_lo, 0, v19
	v_add_nc_u32_e32 v64, 44, v14
	v_add_nc_u32_e32 v65, 48, v14
	;; [unrolled: 1-line block ×4, first 2 shown]
	s_wait_alu 0xfffd
	v_cndmask_b32_e64 v4, 0x7fff, 0, vcc_lo
	v_cmp_gt_i16_e32 vcc_lo, 0, v18
	v_add_nc_u32_e32 v69, 60, v14
	v_sub_co_u32 v14, s2, v66, 1
	s_delay_alu instid0(VALU_DEP_4)
	v_xor_b32_e32 v112, v4, v19
	v_and_b32_e32 v4, 0x3e0, v30
	s_wait_alu 0xfffd
	v_cndmask_b32_e64 v8, 0x7fff, 0, vcc_lo
	v_xor_b32_e32 v103, v5, v16
	v_and_b32_e32 v5, 15, v66
	v_cmp_gt_i32_e64 s6, 0, v14
	v_min_u32_e32 v4, 0xe0, v4
	v_xor_b32_e32 v36, v8, v18
	v_and_b32_e32 v8, 16, v66
	v_cmp_eq_u32_e32 vcc_lo, 0, v5
	v_cmp_lt_u32_e64 s0, 1, v5
	v_or_b32_e32 v4, 31, v4
	v_cmp_lt_u32_e64 s1, 3, v5
	v_cmp_eq_u32_e64 s4, 0, v8
	v_lshlrev_b32_e32 v8, 2, v30
	v_cmp_lt_u32_e64 s3, 7, v5
	v_cmp_eq_u32_e64 s5, v30, v4
	v_lshrrev_b32_e32 v4, 3, v30
	s_wait_alu 0xf1ff
	v_cndmask_b32_e64 v5, v14, v66, s6
	v_and_or_b32 v14, 0xf80, v8, v66
	v_cmp_gt_u32_e64 s6, 8, v30
	v_cmp_lt_u32_e64 s7, 31, v30
	v_and_b32_e32 v4, 0x7c, v4
	v_lshlrev_b32_e32 v71, 2, v5
	v_cmp_eq_u32_e64 s10, 0, v30
	v_mov_b32_e32 v5, 0
	v_add_nc_u32_e32 v81, v12, v8
	v_add_nc_u32_e32 v80, v12, v4
	v_and_b32_e32 v4, 7, v66
	v_lshl_add_u32 v66, v14, 1, v12
	v_mul_u32_u24_e32 v14, 6, v14
	v_sub_nc_u32_e32 v98, v11, v10
	v_add_nc_u32_e32 v83, -4, v80
	v_cmp_eq_u32_e64 s11, 0, v4
	v_cmp_lt_u32_e64 s12, 1, v4
	v_add_nc_u32_e32 v82, v66, v14
	v_cmp_lt_u32_e64 s13, 3, v4
	v_add_nc_u32_e32 v84, 64, v66
	v_add_nc_u32_e32 v85, 0x80, v66
	;; [unrolled: 1-line block ×6, first 2 shown]
	s_mov_b32 s19, 0
	s_wait_storecnt 0x0
	s_barrier_signal -1
	s_barrier_wait -1
	global_inv scope:SCOPE_SE
	s_branch .LBB1951_96
.LBB1951_95:                            ;   in Loop: Header=BB1951_96 Depth=1
	s_wait_alu 0xfffe
	s_or_b32 exec_lo, exec_lo, s15
	s_delay_alu instid0(SALU_CYCLE_1)
	s_and_b32 s14, exec_lo, s20
	s_wait_alu 0xfffe
	s_or_b32 s19, s14, s19
	s_wait_alu 0xfffe
	s_and_not1_b32 exec_lo, exec_lo, s19
	s_cbranch_execz .LBB1951_126
.LBB1951_96:                            ; =>This Inner Loop Header: Depth=1
	v_mov_b32_e32 v99, v9
	s_wait_kmcnt 0x0
	v_min_u32_e32 v4, s18, v98
	v_dual_mov_b32 v14, v22 :: v_dual_mov_b32 v17, v25
	v_dual_mov_b32 v16, v24 :: v_dual_mov_b32 v19, v27
	v_cmp_ne_u16_e64 s14, 0x8000, v99
	s_delay_alu instid0(VALU_DEP_4)
	v_lshlrev_b32_e64 v4, v4, -1
	v_dual_mov_b32 v18, v26 :: v_dual_mov_b32 v21, v29
	v_dual_mov_b32 v20, v28 :: v_dual_mov_b32 v101, v103
	s_wait_alu 0xf1ff
	v_cndmask_b32_e64 v8, 0x7fff, v99, s14
	v_not_b32_e32 v9, v4
	ds_store_b32 v32, v5
	ds_store_b32 v54, v5
	;; [unrolled: 1-line block ×6, first 2 shown]
	v_and_b32_e32 v8, 0xffff, v8
	ds_store_b32 v68, v5
	ds_store_b32 v69, v5
	s_wait_loadcnt_dscnt 0x0
	s_barrier_signal -1
	s_barrier_wait -1
	v_lshrrev_b32_e32 v4, v10, v8
	global_inv scope:SCOPE_SE
	v_mov_b32_e32 v15, v23
	; wave barrier
	v_and_b32_e32 v4, v4, v9
	v_mov_b32_e32 v100, v112
	s_delay_alu instid0(VALU_DEP_2)
	v_dual_mov_b32 v102, v36 :: v_dual_lshlrev_b32 v27, 26, v4
	v_and_b32_e32 v8, 1, v4
	v_lshlrev_b32_e32 v22, 30, v4
	v_lshlrev_b32_e32 v23, 29, v4
	;; [unrolled: 1-line block ×4, first 2 shown]
	v_add_co_u32 v8, s14, v8, -1
	s_wait_alu 0xf1ff
	v_cndmask_b32_e64 v25, 0, 1, s14
	v_not_b32_e32 v29, v22
	v_cmp_gt_i32_e64 s15, 0, v22
	v_not_b32_e32 v22, v23
	v_lshlrev_b32_e32 v28, 25, v4
	v_cmp_ne_u32_e64 s14, 0, v25
	v_ashrrev_i32_e32 v29, 31, v29
	v_lshlrev_b32_e32 v25, 24, v4
	v_ashrrev_i32_e32 v22, 31, v22
	v_lshlrev_b32_e32 v4, 3, v4
	s_wait_alu 0xf1ff
	v_xor_b32_e32 v8, s14, v8
	v_cmp_gt_i32_e64 s14, 0, v23
	v_not_b32_e32 v23, v24
	v_xor_b32_e32 v29, s15, v29
	v_cmp_gt_i32_e64 s15, 0, v24
	v_and_b32_e32 v8, exec_lo, v8
	v_not_b32_e32 v24, v26
	v_ashrrev_i32_e32 v23, 31, v23
	s_wait_alu 0xf1ff
	v_xor_b32_e32 v22, s14, v22
	v_cmp_gt_i32_e64 s14, 0, v26
	v_and_b32_e32 v8, v8, v29
	v_not_b32_e32 v26, v27
	v_ashrrev_i32_e32 v24, 31, v24
	v_xor_b32_e32 v23, s15, v23
	v_cmp_gt_i32_e64 s15, 0, v27
	v_and_b32_e32 v8, v8, v22
	v_not_b32_e32 v22, v28
	v_ashrrev_i32_e32 v26, 31, v26
	s_wait_alu 0xf1ff
	v_xor_b32_e32 v24, s14, v24
	v_cmp_gt_i32_e64 s14, 0, v28
	v_and_b32_e32 v8, v8, v23
	v_not_b32_e32 v23, v25
	v_ashrrev_i32_e32 v22, 31, v22
	v_xor_b32_e32 v26, s15, v26
	v_cmp_gt_i32_e64 s15, 0, v25
	v_and_b32_e32 v8, v8, v24
	v_ashrrev_i32_e32 v23, 31, v23
	s_wait_alu 0xf1ff
	v_xor_b32_e32 v22, s14, v22
	s_delay_alu instid0(VALU_DEP_3) | instskip(NEXT) | instid1(VALU_DEP_3)
	v_and_b32_e32 v8, v8, v26
	v_xor_b32_e32 v23, s15, v23
	s_delay_alu instid0(VALU_DEP_2) | instskip(NEXT) | instid1(VALU_DEP_1)
	v_and_b32_e32 v8, v8, v22
	v_and_b32_e32 v22, v8, v23
	v_add_lshl_u32 v8, v4, v70, 2
	s_delay_alu instid0(VALU_DEP_2) | instskip(NEXT) | instid1(VALU_DEP_2)
	v_mbcnt_lo_u32_b32 v4, v22, 0
	v_add_co_u32 v8, null, v12, v8
	v_cmp_ne_u32_e64 s15, 0, v22
	s_delay_alu instid0(VALU_DEP_3) | instskip(NEXT) | instid1(VALU_DEP_3)
	v_cmp_eq_u32_e64 s14, 0, v4
	v_add_co_u32 v8, null, v8, 32
	s_and_b32 s15, s15, s14
	s_wait_alu 0xfffe
	s_and_saveexec_b32 s14, s15
; %bb.97:                               ;   in Loop: Header=BB1951_96 Depth=1
	v_bcnt_u32_b32 v22, v22, 0
	ds_store_b32 v8, v22
; %bb.98:                               ;   in Loop: Header=BB1951_96 Depth=1
	s_wait_alu 0xfffe
	s_or_b32 exec_lo, exec_lo, s14
	v_cmp_ne_u16_e64 s14, 0x8000, v101
	; wave barrier
	s_wait_alu 0xf1ff
	s_delay_alu instid0(VALU_DEP_1) | instskip(NEXT) | instid1(VALU_DEP_1)
	v_cndmask_b32_e64 v22, 0x7fff, v101, s14
	v_and_b32_e32 v22, 0xffff, v22
	s_delay_alu instid0(VALU_DEP_1) | instskip(NEXT) | instid1(VALU_DEP_1)
	v_lshrrev_b32_e32 v22, v10, v22
	v_and_b32_e32 v22, v22, v9
	s_delay_alu instid0(VALU_DEP_1)
	v_and_b32_e32 v23, 1, v22
	v_lshlrev_b32_e32 v24, 30, v22
	v_lshlrev_b32_e32 v25, 29, v22
	;; [unrolled: 1-line block ×4, first 2 shown]
	v_add_co_u32 v23, s14, v23, -1
	s_wait_alu 0xf1ff
	v_cndmask_b32_e64 v27, 0, 1, s14
	v_not_b32_e32 v36, v24
	v_cmp_gt_i32_e64 s15, 0, v24
	v_not_b32_e32 v24, v25
	v_lshlrev_b32_e32 v29, 26, v22
	v_cmp_ne_u32_e64 s14, 0, v27
	v_ashrrev_i32_e32 v36, 31, v36
	v_lshlrev_b32_e32 v35, 25, v22
	v_ashrrev_i32_e32 v24, 31, v24
	v_lshlrev_b32_e32 v27, 24, v22
	s_wait_alu 0xf1ff
	v_xor_b32_e32 v23, s14, v23
	v_cmp_gt_i32_e64 s14, 0, v25
	v_not_b32_e32 v25, v26
	v_xor_b32_e32 v36, s15, v36
	v_cmp_gt_i32_e64 s15, 0, v26
	v_and_b32_e32 v23, exec_lo, v23
	v_not_b32_e32 v26, v28
	v_ashrrev_i32_e32 v25, 31, v25
	s_wait_alu 0xf1ff
	v_xor_b32_e32 v24, s14, v24
	v_cmp_gt_i32_e64 s14, 0, v28
	v_and_b32_e32 v23, v23, v36
	v_not_b32_e32 v28, v29
	v_ashrrev_i32_e32 v26, 31, v26
	v_xor_b32_e32 v25, s15, v25
	v_cmp_gt_i32_e64 s15, 0, v29
	v_and_b32_e32 v23, v23, v24
	v_not_b32_e32 v24, v35
	v_ashrrev_i32_e32 v28, 31, v28
	s_wait_alu 0xf1ff
	v_xor_b32_e32 v26, s14, v26
	v_cmp_gt_i32_e64 s14, 0, v35
	v_and_b32_e32 v23, v23, v25
	v_not_b32_e32 v25, v27
	v_ashrrev_i32_e32 v24, 31, v24
	v_xor_b32_e32 v28, s15, v28
	v_lshl_add_u32 v22, v22, 3, v70
	v_and_b32_e32 v23, v23, v26
	v_cmp_gt_i32_e64 s15, 0, v27
	v_ashrrev_i32_e32 v25, 31, v25
	s_wait_alu 0xf1ff
	v_xor_b32_e32 v24, s14, v24
	v_lshl_add_u32 v26, v22, 2, v12
	v_and_b32_e32 v23, v23, v28
	v_xor_b32_e32 v25, s15, v25
	ds_load_b32 v22, v26 offset:32
	v_and_b32_e32 v23, v23, v24
	v_add_nc_u32_e32 v24, 32, v26
	; wave barrier
	s_delay_alu instid0(VALU_DEP_2) | instskip(NEXT) | instid1(VALU_DEP_1)
	v_and_b32_e32 v25, v23, v25
	v_mbcnt_lo_u32_b32 v23, v25, 0
	v_cmp_ne_u32_e64 s15, 0, v25
	s_delay_alu instid0(VALU_DEP_2)
	v_cmp_eq_u32_e64 s14, 0, v23
	s_and_b32 s15, s15, s14
	s_wait_alu 0xfffe
	s_and_saveexec_b32 s14, s15
	s_cbranch_execz .LBB1951_100
; %bb.99:                               ;   in Loop: Header=BB1951_96 Depth=1
	s_wait_dscnt 0x0
	v_bcnt_u32_b32 v25, v25, v22
	ds_store_b32 v24, v25
.LBB1951_100:                           ;   in Loop: Header=BB1951_96 Depth=1
	s_wait_alu 0xfffe
	s_or_b32 exec_lo, exec_lo, s14
	v_cmp_ne_u16_e64 s14, 0x8000, v100
	; wave barrier
	s_wait_alu 0xf1ff
	s_delay_alu instid0(VALU_DEP_1) | instskip(NEXT) | instid1(VALU_DEP_1)
	v_cndmask_b32_e64 v25, 0x7fff, v100, s14
	v_and_b32_e32 v25, 0xffff, v25
	s_delay_alu instid0(VALU_DEP_1) | instskip(NEXT) | instid1(VALU_DEP_1)
	v_lshrrev_b32_e32 v25, v10, v25
	v_and_b32_e32 v25, v25, v9
	s_delay_alu instid0(VALU_DEP_1)
	v_and_b32_e32 v26, 1, v25
	v_lshlrev_b32_e32 v27, 30, v25
	v_lshlrev_b32_e32 v28, 29, v25
	;; [unrolled: 1-line block ×4, first 2 shown]
	v_add_co_u32 v26, s14, v26, -1
	s_wait_alu 0xf1ff
	v_cndmask_b32_e64 v35, 0, 1, s14
	v_not_b32_e32 v39, v27
	v_cmp_gt_i32_e64 s15, 0, v27
	v_not_b32_e32 v27, v28
	v_lshlrev_b32_e32 v37, 26, v25
	v_cmp_ne_u32_e64 s14, 0, v35
	v_ashrrev_i32_e32 v39, 31, v39
	v_lshlrev_b32_e32 v38, 25, v25
	v_ashrrev_i32_e32 v27, 31, v27
	v_lshlrev_b32_e32 v35, 24, v25
	s_wait_alu 0xf1ff
	v_xor_b32_e32 v26, s14, v26
	v_cmp_gt_i32_e64 s14, 0, v28
	v_not_b32_e32 v28, v29
	v_xor_b32_e32 v39, s15, v39
	v_cmp_gt_i32_e64 s15, 0, v29
	v_and_b32_e32 v26, exec_lo, v26
	v_not_b32_e32 v29, v36
	v_ashrrev_i32_e32 v28, 31, v28
	s_wait_alu 0xf1ff
	v_xor_b32_e32 v27, s14, v27
	v_cmp_gt_i32_e64 s14, 0, v36
	v_and_b32_e32 v26, v26, v39
	v_not_b32_e32 v36, v37
	v_ashrrev_i32_e32 v29, 31, v29
	v_xor_b32_e32 v28, s15, v28
	v_cmp_gt_i32_e64 s15, 0, v37
	v_and_b32_e32 v26, v26, v27
	v_not_b32_e32 v27, v38
	v_ashrrev_i32_e32 v36, 31, v36
	s_wait_alu 0xf1ff
	v_xor_b32_e32 v29, s14, v29
	v_cmp_gt_i32_e64 s14, 0, v38
	v_and_b32_e32 v26, v26, v28
	v_not_b32_e32 v28, v35
	v_ashrrev_i32_e32 v27, 31, v27
	v_xor_b32_e32 v36, s15, v36
	v_lshl_add_u32 v25, v25, 3, v70
	v_and_b32_e32 v26, v26, v29
	v_cmp_gt_i32_e64 s15, 0, v35
	v_ashrrev_i32_e32 v28, 31, v28
	s_wait_alu 0xf1ff
	v_xor_b32_e32 v27, s14, v27
	v_lshl_add_u32 v29, v25, 2, v12
	v_and_b32_e32 v26, v26, v36
	v_xor_b32_e32 v28, s15, v28
	ds_load_b32 v25, v29 offset:32
	v_and_b32_e32 v26, v26, v27
	v_add_nc_u32_e32 v27, 32, v29
	; wave barrier
	s_delay_alu instid0(VALU_DEP_2) | instskip(NEXT) | instid1(VALU_DEP_1)
	v_and_b32_e32 v28, v26, v28
	v_mbcnt_lo_u32_b32 v26, v28, 0
	v_cmp_ne_u32_e64 s15, 0, v28
	s_delay_alu instid0(VALU_DEP_2)
	v_cmp_eq_u32_e64 s14, 0, v26
	s_and_b32 s15, s15, s14
	s_wait_alu 0xfffe
	s_and_saveexec_b32 s14, s15
	s_cbranch_execz .LBB1951_102
; %bb.101:                              ;   in Loop: Header=BB1951_96 Depth=1
	s_wait_dscnt 0x0
	v_bcnt_u32_b32 v28, v28, v25
	ds_store_b32 v27, v28
.LBB1951_102:                           ;   in Loop: Header=BB1951_96 Depth=1
	s_wait_alu 0xfffe
	s_or_b32 exec_lo, exec_lo, s14
	v_cmp_ne_u16_e64 s14, 0x8000, v102
	; wave barrier
	s_wait_alu 0xf1ff
	s_delay_alu instid0(VALU_DEP_1) | instskip(NEXT) | instid1(VALU_DEP_1)
	v_cndmask_b32_e64 v28, 0x7fff, v102, s14
	v_and_b32_e32 v28, 0xffff, v28
	s_delay_alu instid0(VALU_DEP_1) | instskip(NEXT) | instid1(VALU_DEP_1)
	v_lshrrev_b32_e32 v28, v10, v28
	v_and_b32_e32 v9, v28, v9
	s_delay_alu instid0(VALU_DEP_1)
	v_and_b32_e32 v28, 1, v9
	v_lshlrev_b32_e32 v29, 30, v9
	v_lshlrev_b32_e32 v35, 29, v9
	;; [unrolled: 1-line block ×4, first 2 shown]
	v_add_co_u32 v28, s14, v28, -1
	s_wait_alu 0xf1ff
	v_cndmask_b32_e64 v37, 0, 1, s14
	v_not_b32_e32 v49, v29
	v_cmp_gt_i32_e64 s15, 0, v29
	v_not_b32_e32 v29, v35
	v_lshlrev_b32_e32 v39, 26, v9
	v_cmp_ne_u32_e64 s14, 0, v37
	v_ashrrev_i32_e32 v49, 31, v49
	v_lshlrev_b32_e32 v48, 25, v9
	v_ashrrev_i32_e32 v29, 31, v29
	v_lshlrev_b32_e32 v37, 24, v9
	s_wait_alu 0xf1ff
	v_xor_b32_e32 v28, s14, v28
	v_cmp_gt_i32_e64 s14, 0, v35
	v_not_b32_e32 v35, v36
	v_xor_b32_e32 v49, s15, v49
	v_cmp_gt_i32_e64 s15, 0, v36
	v_and_b32_e32 v28, exec_lo, v28
	v_not_b32_e32 v36, v38
	v_ashrrev_i32_e32 v35, 31, v35
	s_wait_alu 0xf1ff
	v_xor_b32_e32 v29, s14, v29
	v_cmp_gt_i32_e64 s14, 0, v38
	v_and_b32_e32 v28, v28, v49
	v_not_b32_e32 v38, v39
	v_ashrrev_i32_e32 v36, 31, v36
	v_xor_b32_e32 v35, s15, v35
	v_cmp_gt_i32_e64 s15, 0, v39
	v_and_b32_e32 v28, v28, v29
	v_not_b32_e32 v29, v48
	v_ashrrev_i32_e32 v38, 31, v38
	s_wait_alu 0xf1ff
	v_xor_b32_e32 v36, s14, v36
	v_cmp_gt_i32_e64 s14, 0, v48
	v_and_b32_e32 v28, v28, v35
	v_not_b32_e32 v35, v37
	v_ashrrev_i32_e32 v29, 31, v29
	v_xor_b32_e32 v38, s15, v38
	v_lshl_add_u32 v9, v9, 3, v70
	v_and_b32_e32 v28, v28, v36
	v_cmp_gt_i32_e64 s15, 0, v37
	v_ashrrev_i32_e32 v35, 31, v35
	s_wait_alu 0xf1ff
	v_xor_b32_e32 v29, s14, v29
	v_lshl_add_u32 v9, v9, 2, v12
	v_and_b32_e32 v28, v28, v38
	v_xor_b32_e32 v35, s15, v35
	s_delay_alu instid0(VALU_DEP_2) | instskip(SKIP_3) | instid1(VALU_DEP_1)
	v_and_b32_e32 v29, v28, v29
	ds_load_b32 v28, v9 offset:32
	v_add_nc_u32_e32 v9, 32, v9
	; wave barrier
	v_and_b32_e32 v35, v29, v35
	v_mbcnt_lo_u32_b32 v29, v35, 0
	v_cmp_ne_u32_e64 s15, 0, v35
	s_delay_alu instid0(VALU_DEP_2)
	v_cmp_eq_u32_e64 s14, 0, v29
	s_and_b32 s15, s15, s14
	s_wait_alu 0xfffe
	s_and_saveexec_b32 s14, s15
	s_cbranch_execz .LBB1951_104
; %bb.103:                              ;   in Loop: Header=BB1951_96 Depth=1
	s_wait_dscnt 0x0
	v_bcnt_u32_b32 v35, v35, v28
	ds_store_b32 v9, v35
.LBB1951_104:                           ;   in Loop: Header=BB1951_96 Depth=1
	s_wait_alu 0xfffe
	s_or_b32 exec_lo, exec_lo, s14
	; wave barrier
	s_wait_loadcnt_dscnt 0x0
	s_barrier_signal -1
	s_barrier_wait -1
	global_inv scope:SCOPE_SE
	ds_load_b32 v36, v32
	ds_load_b32 v37, v54
	;; [unrolled: 1-line block ×8, first 2 shown]
	s_wait_dscnt 0x6
	v_add_nc_u32_e32 v51, v37, v36
	s_wait_dscnt 0x4
	s_delay_alu instid0(VALU_DEP_1) | instskip(SKIP_1) | instid1(VALU_DEP_1)
	v_add3_u32 v51, v51, v38, v39
	s_wait_dscnt 0x2
	v_add3_u32 v51, v51, v48, v49
	s_wait_dscnt 0x0
	s_delay_alu instid0(VALU_DEP_1) | instskip(NEXT) | instid1(VALU_DEP_1)
	v_add3_u32 v50, v51, v35, v50
	v_mov_b32_dpp v51, v50 row_shr:1 row_mask:0xf bank_mask:0xf
	s_wait_alu 0xfffd
	s_delay_alu instid0(VALU_DEP_1) | instskip(NEXT) | instid1(VALU_DEP_1)
	v_cndmask_b32_e64 v51, v51, 0, vcc_lo
	v_add_nc_u32_e32 v50, v51, v50
	s_delay_alu instid0(VALU_DEP_1) | instskip(NEXT) | instid1(VALU_DEP_1)
	v_mov_b32_dpp v51, v50 row_shr:2 row_mask:0xf bank_mask:0xf
	v_cndmask_b32_e64 v51, 0, v51, s0
	s_delay_alu instid0(VALU_DEP_1) | instskip(NEXT) | instid1(VALU_DEP_1)
	v_add_nc_u32_e32 v50, v50, v51
	v_mov_b32_dpp v51, v50 row_shr:4 row_mask:0xf bank_mask:0xf
	s_delay_alu instid0(VALU_DEP_1) | instskip(NEXT) | instid1(VALU_DEP_1)
	v_cndmask_b32_e64 v51, 0, v51, s1
	v_add_nc_u32_e32 v50, v50, v51
	s_delay_alu instid0(VALU_DEP_1) | instskip(NEXT) | instid1(VALU_DEP_1)
	v_mov_b32_dpp v51, v50 row_shr:8 row_mask:0xf bank_mask:0xf
	v_cndmask_b32_e64 v51, 0, v51, s3
	s_delay_alu instid0(VALU_DEP_1) | instskip(SKIP_3) | instid1(VALU_DEP_1)
	v_add_nc_u32_e32 v50, v50, v51
	ds_swizzle_b32 v51, v50 offset:swizzle(BROADCAST,32,15)
	s_wait_dscnt 0x0
	v_cndmask_b32_e64 v51, v51, 0, s4
	v_add_nc_u32_e32 v50, v50, v51
	s_and_saveexec_b32 s14, s5
; %bb.105:                              ;   in Loop: Header=BB1951_96 Depth=1
	ds_store_b32 v80, v50
; %bb.106:                              ;   in Loop: Header=BB1951_96 Depth=1
	s_wait_alu 0xfffe
	s_or_b32 exec_lo, exec_lo, s14
	s_wait_loadcnt_dscnt 0x0
	s_barrier_signal -1
	s_barrier_wait -1
	global_inv scope:SCOPE_SE
	s_and_saveexec_b32 s14, s6
	s_cbranch_execz .LBB1951_108
; %bb.107:                              ;   in Loop: Header=BB1951_96 Depth=1
	ds_load_b32 v51, v81
	s_wait_dscnt 0x0
	v_mov_b32_dpp v52, v51 row_shr:1 row_mask:0xf bank_mask:0xf
	s_delay_alu instid0(VALU_DEP_1) | instskip(NEXT) | instid1(VALU_DEP_1)
	v_cndmask_b32_e64 v52, v52, 0, s11
	v_add_nc_u32_e32 v51, v52, v51
	s_delay_alu instid0(VALU_DEP_1) | instskip(NEXT) | instid1(VALU_DEP_1)
	v_mov_b32_dpp v52, v51 row_shr:2 row_mask:0xf bank_mask:0xf
	v_cndmask_b32_e64 v52, 0, v52, s12
	s_delay_alu instid0(VALU_DEP_1) | instskip(NEXT) | instid1(VALU_DEP_1)
	v_add_nc_u32_e32 v51, v51, v52
	v_mov_b32_dpp v52, v51 row_shr:4 row_mask:0xf bank_mask:0xf
	s_delay_alu instid0(VALU_DEP_1) | instskip(NEXT) | instid1(VALU_DEP_1)
	v_cndmask_b32_e64 v52, 0, v52, s13
	v_add_nc_u32_e32 v51, v51, v52
	ds_store_b32 v81, v51
.LBB1951_108:                           ;   in Loop: Header=BB1951_96 Depth=1
	s_wait_alu 0xfffe
	s_or_b32 exec_lo, exec_lo, s14
	v_mov_b32_e32 v51, 0
	s_wait_loadcnt_dscnt 0x0
	s_barrier_signal -1
	s_barrier_wait -1
	global_inv scope:SCOPE_SE
	s_and_saveexec_b32 s14, s7
; %bb.109:                              ;   in Loop: Header=BB1951_96 Depth=1
	ds_load_b32 v51, v83
; %bb.110:                              ;   in Loop: Header=BB1951_96 Depth=1
	s_wait_alu 0xfffe
	s_or_b32 exec_lo, exec_lo, s14
	s_wait_dscnt 0x0
	v_add_nc_u32_e32 v50, v51, v50
	v_add_nc_u32_e32 v10, 8, v10
	s_mov_b32 s20, -1
                                        ; implicit-def: $vgpr103
                                        ; implicit-def: $vgpr112
	ds_bpermute_b32 v50, v71, v50
	s_wait_dscnt 0x0
	v_cndmask_b32_e64 v50, v50, v51, s2
	s_delay_alu instid0(VALU_DEP_1) | instskip(NEXT) | instid1(VALU_DEP_1)
	v_cndmask_b32_e64 v50, v50, 0, s10
	v_add_nc_u32_e32 v36, v50, v36
	s_delay_alu instid0(VALU_DEP_1)
	v_add_nc_u32_e32 v37, v36, v37
	ds_store_b32 v32, v50
	ds_store_b32 v54, v36
	;; [unrolled: 1-line block ×3, first 2 shown]
	v_mov_b32_e32 v36, v5
	v_add_nc_u32_e32 v38, v37, v38
	s_delay_alu instid0(VALU_DEP_1) | instskip(NEXT) | instid1(VALU_DEP_1)
	v_add_nc_u32_e32 v39, v38, v39
	v_add_nc_u32_e32 v48, v39, v48
	s_delay_alu instid0(VALU_DEP_1) | instskip(NEXT) | instid1(VALU_DEP_1)
	v_add_nc_u32_e32 v49, v48, v49
	v_add_nc_u32_e32 v35, v49, v35
	ds_store_b32 v64, v38
	ds_store_b32 v65, v39
	;; [unrolled: 1-line block ×5, first 2 shown]
	s_wait_loadcnt_dscnt 0x0
	s_barrier_signal -1
	s_barrier_wait -1
	global_inv scope:SCOPE_SE
	ds_load_b32 v8, v8
	ds_load_b32 v24, v24
	;; [unrolled: 1-line block ×4, first 2 shown]
	v_dual_mov_b32 v9, v5 :: v_dual_mov_b32 v38, v5
	s_wait_loadcnt_dscnt 0x0
	v_add_nc_u32_e32 v4, v8, v4
	v_add3_u32 v8, v23, v22, v24
	v_add3_u32 v35, v26, v25, v27
	;; [unrolled: 1-line block ×3, first 2 shown]
	s_delay_alu instid0(VALU_DEP_4) | instskip(NEXT) | instid1(VALU_DEP_4)
	v_lshlrev_b64_e32 v[22:23], 1, v[4:5]
	v_lshlrev_b64_e32 v[24:25], 1, v[8:9]
	s_delay_alu instid0(VALU_DEP_4) | instskip(NEXT) | instid1(VALU_DEP_4)
	v_lshlrev_b64_e32 v[26:27], 1, v[35:36]
	v_lshlrev_b64_e32 v[28:29], 1, v[37:38]
                                        ; implicit-def: $vgpr9
                                        ; implicit-def: $vgpr36
	s_delay_alu instid0(VALU_DEP_4)
	v_add_co_u32 v52, s15, v12, v22
	s_wait_alu 0xf1ff
	v_add_co_ci_u32_e64 v53, null, v13, v23, s15
	v_add_co_u32 v50, s15, v12, v24
	s_wait_alu 0xf1ff
	v_add_co_ci_u32_e64 v51, null, v13, v25, s15
	;; [unrolled: 3-line block ×4, first 2 shown]
	s_mov_b32 s15, exec_lo
                                        ; implicit-def: $vgpr22_vgpr23_vgpr24_vgpr25_vgpr26_vgpr27_vgpr28_vgpr29
	v_cmpx_lt_u32_e64 v10, v11
	s_cbranch_execz .LBB1951_95
; %bb.111:                              ;   in Loop: Header=BB1951_96 Depth=1
	v_mad_co_u64_u32 v[22:23], null, v4, 6, v[52:53]
	v_mad_co_u64_u32 v[23:24], null, v8, 6, v[50:51]
	;; [unrolled: 1-line block ×4, first 2 shown]
	s_barrier_signal -1
	s_barrier_wait -1
	global_inv scope:SCOPE_SE
	ds_store_b16 v52, v99
	ds_store_b16 v50, v101
	;; [unrolled: 1-line block ×4, first 2 shown]
	s_wait_loadcnt_dscnt 0x0
	s_barrier_signal -1
	s_barrier_wait -1
	global_inv scope:SCOPE_SE
	ds_load_u16 v9, v66
	ds_load_u16 v103, v84
	ds_load_u16 v112, v85
	ds_load_u16 v36, v86
	s_wait_loadcnt_dscnt 0x0
	s_barrier_signal -1
	s_barrier_wait -1
	global_inv scope:SCOPE_SE
	ds_store_b64 v22, v[14:15]
	ds_store_b64 v23, v[16:17]
	ds_store_b64 v24, v[18:19]
	ds_store_b64 v25, v[20:21]
	s_wait_loadcnt_dscnt 0x0
	s_barrier_signal -1
	s_barrier_wait -1
	global_inv scope:SCOPE_SE
	ds_load_b64 v[22:23], v82
	ds_load_b64 v[24:25], v87
	;; [unrolled: 1-line block ×4, first 2 shown]
	v_add_nc_u32_e32 v98, -8, v98
	s_xor_b32 s20, exec_lo, -1
	s_wait_loadcnt_dscnt 0x0
	s_barrier_signal -1
	s_barrier_wait -1
	global_inv scope:SCOPE_SE
	s_branch .LBB1951_95
.LBB1951_112:
	flat_load_b64 v[33:34], v[4:5]
	s_wait_alu 0xfffe
	s_or_b32 exec_lo, exec_lo, s7
                                        ; implicit-def: $vgpr35_vgpr36
	s_and_saveexec_b32 s7, s0
	s_cbranch_execz .LBB1951_20
.LBB1951_113:
	flat_load_b64 v[35:36], v[4:5] offset:256
	s_wait_alu 0xfffe
	s_or_b32 exec_lo, exec_lo, s7
                                        ; implicit-def: $vgpr37_vgpr38
	s_and_saveexec_b32 s0, s1
	s_cbranch_execz .LBB1951_21
.LBB1951_114:
	flat_load_b64 v[37:38], v[4:5] offset:512
	s_wait_alu 0xfffe
	s_or_b32 exec_lo, exec_lo, s0
                                        ; implicit-def: $vgpr48_vgpr49
	s_and_saveexec_b32 s0, s2
	s_cbranch_execz .LBB1951_22
.LBB1951_115:
	flat_load_b64 v[48:49], v[4:5] offset:768
	s_wait_alu 0xfffe
	s_or_b32 exec_lo, exec_lo, s0
                                        ; implicit-def: $vgpr50_vgpr51
	s_and_saveexec_b32 s0, s3
	s_cbranch_execz .LBB1951_23
.LBB1951_116:
	flat_load_b64 v[50:51], v[4:5] offset:1024
	s_wait_alu 0xfffe
	s_or_b32 exec_lo, exec_lo, s0
                                        ; implicit-def: $vgpr52_vgpr53
	s_and_saveexec_b32 s0, s4
	s_cbranch_execz .LBB1951_24
.LBB1951_117:
	flat_load_b64 v[52:53], v[4:5] offset:1280
	s_wait_alu 0xfffe
	s_or_b32 exec_lo, exec_lo, s0
                                        ; implicit-def: $vgpr54_vgpr55
	s_and_saveexec_b32 s0, s5
	s_cbranch_execz .LBB1951_25
.LBB1951_118:
	flat_load_b64 v[54:55], v[4:5] offset:1536
	s_wait_alu 0xfffe
	s_or_b32 exec_lo, exec_lo, s0
                                        ; implicit-def: $vgpr64_vgpr65
	s_and_saveexec_b32 s0, s6
	s_cbranch_execnz .LBB1951_26
	s_branch .LBB1951_27
.LBB1951_119:
	flat_store_b64 v[0:1], v[20:21]
	s_wait_alu 0xfffe
	s_or_b32 exec_lo, exec_lo, s7
	s_and_saveexec_b32 s7, s0
	s_cbranch_execz .LBB1951_71
.LBB1951_120:
	flat_store_b64 v[0:1], v[22:23] offset:2048
	s_wait_alu 0xfffe
	s_or_b32 exec_lo, exec_lo, s7
	s_and_saveexec_b32 s0, s1
	s_cbranch_execz .LBB1951_72
.LBB1951_121:
	flat_store_b64 v[0:1], v[16:17] offset:4096
	s_wait_alu 0xfffe
	s_or_b32 exec_lo, exec_lo, s0
	s_and_saveexec_b32 s0, s2
	s_cbranch_execz .LBB1951_73
.LBB1951_122:
	flat_store_b64 v[0:1], v[18:19] offset:6144
	s_wait_alu 0xfffe
	s_or_b32 exec_lo, exec_lo, s0
	s_and_saveexec_b32 s0, s3
	s_cbranch_execz .LBB1951_74
.LBB1951_123:
	flat_store_b64 v[0:1], v[12:13] offset:8192
	s_wait_alu 0xfffe
	s_or_b32 exec_lo, exec_lo, s0
	s_and_saveexec_b32 s0, s4
	s_cbranch_execz .LBB1951_75
.LBB1951_124:
	flat_store_b64 v[0:1], v[14:15] offset:10240
	s_wait_alu 0xfffe
	s_or_b32 exec_lo, exec_lo, s0
	s_and_saveexec_b32 s0, s5
	s_cbranch_execz .LBB1951_76
.LBB1951_125:
	flat_store_b64 v[0:1], v[8:9] offset:12288
	s_wait_alu 0xfffe
	s_or_b32 exec_lo, exec_lo, s0
	s_and_saveexec_b32 s0, s6
	s_cbranch_execnz .LBB1951_77
	s_branch .LBB1951_78
.LBB1951_126:
	s_or_b32 exec_lo, exec_lo, s19
	v_lshl_add_u32 v25, v30, 1, v12
	v_mad_co_u64_u32 v[9:10], null, v4, 6, v[52:53]
	v_mul_u32_u24_e32 v4, 6, v30
	v_mad_co_u64_u32 v[10:11], null, v8, 6, v[50:51]
	v_mad_co_u64_u32 v[11:12], null, v35, 6, v[48:49]
	;; [unrolled: 1-line block ×3, first 2 shown]
	s_delay_alu instid0(VALU_DEP_4)
	v_add_nc_u32_e32 v4, v25, v4
	s_barrier_signal -1
	s_barrier_wait -1
	s_wait_loadcnt 0x0
	global_inv scope:SCOPE_SE
	ds_store_b16 v52, v99
	ds_store_b16 v50, v101
	ds_store_b16 v48, v100
	ds_store_b16 v38, v102
	s_wait_loadcnt_dscnt 0x0
	s_barrier_signal -1
	s_barrier_wait -1
	global_inv scope:SCOPE_SE
	ds_load_u16 v24, v25
	ds_load_u16 v23, v25 offset:512
	ds_load_u16 v22, v25 offset:1024
	;; [unrolled: 1-line block ×3, first 2 shown]
	s_wait_loadcnt_dscnt 0x0
	s_barrier_signal -1
	s_barrier_wait -1
	global_inv scope:SCOPE_SE
	ds_store_b64 v9, v[14:15]
	ds_store_b64 v10, v[16:17]
	;; [unrolled: 1-line block ×4, first 2 shown]
	s_wait_loadcnt_dscnt 0x0
	s_barrier_signal -1
	s_barrier_wait -1
	global_inv scope:SCOPE_SE
	ds_load_2addr_stride64_b64 v[12:15], v4 offset1:4
	ds_load_2addr_stride64_b64 v[8:11], v4 offset0:8 offset1:12
	v_mov_b32_e32 v32, 0
	v_add_co_u32 v2, vcc_lo, v2, v33
	s_wait_alu 0xfffd
	v_add_co_ci_u32_e64 v3, null, v3, v34, vcc_lo
	s_delay_alu instid0(VALU_DEP_3)
	v_lshlrev_b64_e32 v[16:17], 1, v[31:32]
	s_wait_loadcnt_dscnt 0x0
	s_barrier_signal -1
	s_barrier_wait -1
	global_inv scope:SCOPE_SE
	v_add_co_u32 v2, vcc_lo, v2, v16
	s_wait_alu 0xfffd
	v_add_co_ci_u32_e64 v3, null, v3, v17, vcc_lo
	v_cmp_lt_u32_e32 vcc_lo, v31, v128
	s_and_saveexec_b32 s1, vcc_lo
	s_cbranch_execz .LBB1951_128
; %bb.127:
	v_cmp_gt_i16_e64 s0, 0, v24
	s_wait_alu 0xf1ff
	s_delay_alu instid0(VALU_DEP_1) | instskip(NEXT) | instid1(VALU_DEP_1)
	v_cndmask_b32_e64 v4, 0x7fff, 0, s0
	v_xor_b32_e32 v4, v4, v24
	flat_store_b16 v[2:3], v4
.LBB1951_128:
	s_wait_alu 0xfffe
	s_or_b32 exec_lo, exec_lo, s1
	v_add_nc_u32_e32 v4, 0x100, v31
	s_delay_alu instid0(VALU_DEP_1)
	v_cmp_lt_u32_e64 s0, v4, v128
	s_and_saveexec_b32 s2, s0
	s_cbranch_execz .LBB1951_130
; %bb.129:
	v_cmp_gt_i16_e64 s1, 0, v23
	s_wait_alu 0xf1ff
	s_delay_alu instid0(VALU_DEP_1) | instskip(NEXT) | instid1(VALU_DEP_1)
	v_cndmask_b32_e64 v4, 0x7fff, 0, s1
	v_xor_b32_e32 v4, v4, v23
	flat_store_b16 v[2:3], v4 offset:512
.LBB1951_130:
	s_wait_alu 0xfffe
	s_or_b32 exec_lo, exec_lo, s2
	v_add_nc_u32_e32 v4, 0x200, v31
	s_delay_alu instid0(VALU_DEP_1)
	v_cmp_lt_u32_e64 s1, v4, v128
	s_and_saveexec_b32 s3, s1
	s_cbranch_execz .LBB1951_132
; %bb.131:
	v_cmp_gt_i16_e64 s2, 0, v22
	s_wait_alu 0xf1ff
	s_delay_alu instid0(VALU_DEP_1) | instskip(NEXT) | instid1(VALU_DEP_1)
	v_cndmask_b32_e64 v4, 0x7fff, 0, s2
	v_xor_b32_e32 v4, v4, v22
	flat_store_b16 v[2:3], v4 offset:1024
.LBB1951_132:
	;; [unrolled: 15-line block ×3, first 2 shown]
	s_wait_alu 0xfffe
	s_or_b32 exec_lo, exec_lo, s4
	v_lshlrev_b64_e32 v[2:3], 3, v[31:32]
	v_add_co_u32 v0, s3, v6, v0
	s_wait_alu 0xf1ff
	v_add_co_ci_u32_e64 v1, null, v7, v1, s3
	s_delay_alu instid0(VALU_DEP_2) | instskip(SKIP_1) | instid1(VALU_DEP_2)
	v_add_co_u32 v0, s3, v0, v2
	s_wait_alu 0xf1ff
	v_add_co_ci_u32_e64 v1, null, v1, v3, s3
	s_and_saveexec_b32 s3, vcc_lo
	s_cbranch_execnz .LBB1951_167
; %bb.135:
	s_wait_alu 0xfffe
	s_or_b32 exec_lo, exec_lo, s3
	s_and_saveexec_b32 s3, s0
	s_cbranch_execnz .LBB1951_168
.LBB1951_136:
	s_wait_alu 0xfffe
	s_or_b32 exec_lo, exec_lo, s3
	s_and_saveexec_b32 s0, s1
	s_cbranch_execnz .LBB1951_169
.LBB1951_137:
	s_wait_alu 0xfffe
	s_or_b32 exec_lo, exec_lo, s0
	s_and_saveexec_b32 s0, s2
	s_cbranch_execz .LBB1951_139
.LBB1951_138:
	flat_store_b64 v[0:1], v[10:11] offset:6144
.LBB1951_139:
	s_wait_alu 0xfffe
	s_or_b32 exec_lo, exec_lo, s0
                                        ; implicit-def: $vgpr128
                                        ; implicit-def: $vgpr0
                                        ; implicit-def: $vgpr1
                                        ; implicit-def: $vgpr2
                                        ; implicit-def: $vgpr3
                                        ; implicit-def: $vgpr4
                                        ; implicit-def: $vgpr5
                                        ; implicit-def: $vgpr6
                                        ; implicit-def: $vgpr7
                                        ; implicit-def: $vgpr8
                                        ; implicit-def: $vgpr10
                                        ; implicit-def: $vgpr11
                                        ; implicit-def: $vgpr12
                                        ; implicit-def: $vgpr13
                                        ; implicit-def: $vgpr9
                                        ; implicit-def: $vgpr14
                                        ; implicit-def: $vgpr30
                                        ; implicit-def: $vgpr66
.LBB1951_140:
	s_wait_alu 0xfffe
	s_and_not1_saveexec_b32 s0, s17
	s_cbranch_execz .LBB1951_199
; %bb.141:
	s_load_b64 s[0:1], s[8:9], 0x0
	s_and_b32 s2, ttmp7, 0xffff
	s_mov_b32 s3, 0
	s_wait_kmcnt 0x0
	s_wait_alu 0xfffe
	s_cmp_lt_u32 s2, s1
	s_cselect_b32 s2, 14, 20
	s_cmp_lt_u32 ttmp9, s0
	s_wait_alu 0xfffe
	s_add_nc_u64 s[4:5], s[8:9], s[2:3]
	s_cselect_b32 s2, 12, 18
	s_load_u16 s4, s[4:5], 0x0
	s_add_nc_u64 s[0:1], s[8:9], s[2:3]
	s_load_u16 s0, s[0:1], 0x0
	s_wait_kmcnt 0x0
	v_mad_u32_u24 v14, v14, s4, v9
	v_mov_b32_e32 v9, 0
	s_delay_alu instid0(VALU_DEP_2) | instskip(NEXT) | instid1(VALU_DEP_2)
	v_mad_co_u64_u32 v[14:15], null, v14, s0, v[30:31]
	v_lshlrev_b64_e32 v[16:17], 1, v[8:9]
	s_mov_b32 s0, exec_lo
	v_cmpx_lt_u32_e32 0x100, v128
	s_wait_alu 0xfffe
	s_xor_b32 s14, exec_lo, s0
	s_cbranch_execz .LBB1951_179
; %bb.142:
	s_delay_alu instid0(VALU_DEP_3) | instskip(SKIP_1) | instid1(VALU_DEP_2)
	v_dual_mov_b32 v24, -1 :: v_dual_lshlrev_b32 v15, 1, v14
	v_dual_mov_b32 v19, v9 :: v_dual_lshlrev_b32 v20, 1, v66
	v_and_b32_e32 v18, 0xffffffc0, v15
	v_add_co_u32 v15, vcc_lo, v0, v16
	s_wait_alu 0xfffd
	v_add_co_ci_u32_e64 v21, null, v1, v17, vcc_lo
	s_delay_alu instid0(VALU_DEP_3) | instskip(NEXT) | instid1(VALU_DEP_3)
	v_lshlrev_b64_e32 v[0:1], 1, v[18:19]
	v_add_co_u32 v15, vcc_lo, v15, v20
	s_wait_alu 0xfffd
	s_delay_alu instid0(VALU_DEP_3) | instskip(NEXT) | instid1(VALU_DEP_2)
	v_add_co_ci_u32_e64 v21, null, 0, v21, vcc_lo
	v_add_co_u32 v0, vcc_lo, v15, v0
	v_mov_b32_e32 v15, -1
	v_or_b32_e32 v20, v66, v18
	s_wait_alu 0xfffd
	v_add_co_ci_u32_e64 v1, null, v21, v1, vcc_lo
	s_delay_alu instid0(VALU_DEP_2)
	v_cmp_lt_u32_e32 vcc_lo, v20, v128
	s_and_saveexec_b32 s0, vcc_lo
	s_cbranch_execz .LBB1951_144
; %bb.143:
	flat_load_u16 v24, v[0:1]
.LBB1951_144:
	s_wait_alu 0xfffe
	s_or_b32 exec_lo, exec_lo, s0
	v_or_b32_e32 v20, 32, v20
	s_delay_alu instid0(VALU_DEP_1)
	v_cmp_lt_u32_e64 s0, v20, v128
	s_and_saveexec_b32 s1, s0
	s_cbranch_execz .LBB1951_146
; %bb.145:
	flat_load_u16 v15, v[0:1] offset:64
.LBB1951_146:
	s_wait_alu 0xfffe
	s_or_b32 exec_lo, exec_lo, s1
	v_lshlrev_b64_e32 v[0:1], 3, v[8:9]
	v_lshlrev_b32_e32 v22, 3, v66
	v_lshlrev_b64_e32 v[8:9], 3, v[18:19]
	v_mov_b32_e32 v20, 0
	v_mov_b32_e32 v21, 0
	v_add_co_u32 v4, s1, v4, v0
	s_wait_alu 0xf1ff
	v_add_co_ci_u32_e64 v5, null, v5, v1, s1
	s_delay_alu instid0(VALU_DEP_2) | instskip(SKIP_1) | instid1(VALU_DEP_2)
	v_add_co_u32 v4, s1, v4, v22
	s_wait_alu 0xf1ff
	v_add_co_ci_u32_e64 v5, null, 0, v5, s1
	v_mov_b32_e32 v22, 0
	s_delay_alu instid0(VALU_DEP_3)
	v_add_co_u32 v4, s1, v4, v8
	v_mov_b32_e32 v23, 0
	s_wait_alu 0xf1ff
	v_add_co_ci_u32_e64 v5, null, v5, v9, s1
	s_and_saveexec_b32 s1, vcc_lo
	s_cbranch_execz .LBB1951_148
; %bb.147:
	flat_load_b64 v[22:23], v[4:5]
.LBB1951_148:
	s_wait_alu 0xfffe
	s_or_b32 exec_lo, exec_lo, s1
	s_and_saveexec_b32 s1, s0
	s_cbranch_execz .LBB1951_150
; %bb.149:
	flat_load_b64 v[20:21], v[4:5] offset:256
.LBB1951_150:
	s_wait_alu 0xfffe
	s_or_b32 exec_lo, exec_lo, s1
	s_wait_loadcnt_dscnt 0x0
	v_cmp_gt_i16_e32 vcc_lo, 0, v24
	v_lshl_add_u32 v8, v30, 5, v12
	v_sub_co_u32 v9, s2, v66, 1
	s_getpc_b64 s[0:1]
	s_wait_alu 0xfffe
	s_sext_i32_i16 s1, s1
	s_add_co_u32 s0, s0, _ZN7rocprim17ROCPRIM_400000_NS16block_radix_sortI12hip_bfloat16Lj256ELj2ElLj1ELj1ELj8ELNS0_26block_radix_rank_algorithmE2ELNS0_18block_padding_hintE2ELNS0_4arch9wavefront6targetE0EE19radix_bits_per_passE@rel32@lo+12
	s_wait_alu 0xfffe
	s_add_co_ci_u32 s1, s1, _ZN7rocprim17ROCPRIM_400000_NS16block_radix_sortI12hip_bfloat16Lj256ELj2ElLj1ELj1ELj8ELNS0_26block_radix_rank_algorithmE2ELNS0_18block_padding_hintE2ELNS0_4arch9wavefront6targetE0EE19radix_bits_per_passE@rel32@hi+24
	s_wait_alu 0xfffd
	v_cndmask_b32_e64 v4, 0x7fff, 0, vcc_lo
	v_cmp_gt_i16_e32 vcc_lo, 0, v15
	v_add_nc_u32_e32 v29, 36, v8
	v_add_nc_u32_e32 v31, 40, v8
	;; [unrolled: 1-line block ×3, first 2 shown]
	v_xor_b32_e32 v67, v4, v24
	v_and_b32_e32 v4, 0x3e0, v30
	s_wait_alu 0xfffd
	v_cndmask_b32_e64 v5, 0x7fff, 0, vcc_lo
	v_add_nc_u32_e32 v33, 48, v8
	v_add_nc_u32_e32 v34, 52, v8
	;; [unrolled: 1-line block ×3, first 2 shown]
	v_min_u32_e32 v4, 0xe0, v4
	v_xor_b32_e32 v65, v5, v15
	v_add_nc_u32_e32 v15, 32, v8
	v_and_b32_e32 v5, 15, v66
	v_add_nc_u32_e32 v36, 60, v8
	v_or_b32_e32 v4, 31, v4
	v_and_b32_e32 v8, 16, v66
	v_cmp_gt_i32_e64 s6, 0, v9
	s_load_b32 s15, s[0:1], 0x0
	v_cmp_eq_u32_e32 vcc_lo, 0, v5
	v_cmp_eq_u32_e64 s5, v30, v4
	v_lshlrev_b32_e32 v4, 1, v30
	v_cmp_lt_u32_e64 s0, 1, v5
	v_cmp_lt_u32_e64 s1, 3, v5
	;; [unrolled: 1-line block ×3, first 2 shown]
	v_cmp_eq_u32_e64 s4, 0, v8
	v_cndmask_b32_e64 v5, v9, v66, s6
	v_lshrrev_b32_e32 v8, 3, v30
	v_and_or_b32 v4, 0x7c0, v4, v66
	v_lshrrev_b32_e32 v37, 5, v14
	v_cmp_gt_u32_e64 s6, 8, v30
	v_lshlrev_b32_e32 v38, 2, v5
	v_and_b32_e32 v5, 0x7c, v8
	v_lshl_add_u32 v39, v4, 1, v12
	v_mul_u32_u24_e32 v4, 6, v4
	v_and_b32_e32 v8, 7, v66
	v_cmp_lt_u32_e64 s7, 31, v30
	v_add_nc_u32_e32 v48, v12, v5
	v_cmp_eq_u32_e64 s8, 0, v30
	v_dual_mov_b32 v5, 0 :: v_dual_add_nc_u32 v50, v39, v4
	v_lshl_add_u32 v49, v30, 2, v12
	v_cmp_eq_u32_e64 s9, 0, v8
	v_cmp_lt_u32_e64 s10, 1, v8
	v_cmp_lt_u32_e64 s11, 3, v8
	v_add_nc_u32_e32 v51, -4, v48
	v_add_nc_u32_e32 v52, 64, v39
	v_add_nc_u32_e32 v53, 0x100, v50
	v_sub_nc_u32_e32 v54, v11, v10
	s_mov_b32 s17, 0
	s_wait_storecnt 0x0
	s_barrier_signal -1
	s_barrier_wait -1
	global_inv scope:SCOPE_SE
	s_branch .LBB1951_152
.LBB1951_151:                           ;   in Loop: Header=BB1951_152 Depth=1
	s_wait_alu 0xfffe
	s_or_b32 exec_lo, exec_lo, s13
	s_delay_alu instid0(SALU_CYCLE_1)
	s_and_b32 s12, exec_lo, s18
	s_wait_alu 0xfffe
	s_or_b32 s17, s12, s17
	s_wait_alu 0xfffe
	s_and_not1_b32 exec_lo, exec_lo, s17
	s_cbranch_execz .LBB1951_170
.LBB1951_152:                           ; =>This Inner Loop Header: Depth=1
	v_mov_b32_e32 v55, v67
	s_wait_kmcnt 0x0
	v_min_u32_e32 v4, s15, v54
	ds_store_b32 v15, v5
	ds_store_b32 v29, v5
	ds_store_b32 v31, v5
	ds_store_b32 v32, v5
	ds_store_b32 v33, v5
	ds_store_b32 v34, v5
	v_cmp_ne_u16_e64 s12, 0x8000, v55
	v_lshlrev_b32_e64 v4, v4, -1
	ds_store_b32 v35, v5
	ds_store_b32 v36, v5
	s_wait_loadcnt_dscnt 0x0
	s_barrier_signal -1
	s_wait_alu 0xf1ff
	v_cndmask_b32_e64 v8, 0x7fff, v55, s12
	v_not_b32_e32 v24, v4
	s_barrier_wait -1
	global_inv scope:SCOPE_SE
	v_and_b32_e32 v8, 0xffff, v8
	; wave barrier
	s_delay_alu instid0(VALU_DEP_1) | instskip(SKIP_1) | instid1(VALU_DEP_2)
	v_lshrrev_b32_e32 v4, v10, v8
	v_dual_mov_b32 v8, v20 :: v_dual_mov_b32 v9, v21
	v_and_b32_e32 v4, v4, v24
	v_dual_mov_b32 v18, v22 :: v_dual_mov_b32 v19, v23
	s_delay_alu instid0(VALU_DEP_2)
	v_and_b32_e32 v20, 1, v4
	v_lshlrev_b32_e32 v21, 30, v4
	v_lshlrev_b32_e32 v22, 29, v4
	;; [unrolled: 1-line block ×4, first 2 shown]
	v_add_co_u32 v20, s12, v20, -1
	s_wait_alu 0xf1ff
	v_cndmask_b32_e64 v25, 0, 1, s12
	v_not_b32_e32 v64, v21
	v_cmp_gt_i32_e64 s13, 0, v21
	v_not_b32_e32 v21, v22
	v_lshlrev_b32_e32 v27, 26, v4
	v_cmp_ne_u32_e64 s12, 0, v25
	v_ashrrev_i32_e32 v64, 31, v64
	v_lshlrev_b32_e32 v28, 25, v4
	v_ashrrev_i32_e32 v21, 31, v21
	v_lshlrev_b32_e32 v25, 24, v4
	s_wait_alu 0xf1ff
	v_xor_b32_e32 v20, s12, v20
	v_xor_b32_e32 v64, s13, v64
	v_cmp_gt_i32_e64 s12, 0, v22
	v_lshlrev_b32_e32 v4, 3, v4
	s_delay_alu instid0(VALU_DEP_4) | instskip(SKIP_1) | instid1(VALU_DEP_3)
	v_and_b32_e32 v20, exec_lo, v20
	s_wait_alu 0xf1ff
	v_xor_b32_e32 v21, s12, v21
	v_cmp_gt_i32_e64 s12, 0, v26
	s_delay_alu instid0(VALU_DEP_3)
	v_and_b32_e32 v20, v20, v64
	v_mov_b32_e32 v64, v65
	v_not_b32_e32 v22, v23
	v_cmp_gt_i32_e64 s13, 0, v23
	v_not_b32_e32 v23, v26
	v_not_b32_e32 v26, v27
	v_and_b32_e32 v20, v20, v21
	v_ashrrev_i32_e32 v22, 31, v22
	v_not_b32_e32 v21, v28
	v_ashrrev_i32_e32 v23, 31, v23
	v_ashrrev_i32_e32 v26, 31, v26
	s_wait_alu 0xf1ff
	v_xor_b32_e32 v22, s13, v22
	v_cmp_gt_i32_e64 s13, 0, v27
	v_xor_b32_e32 v23, s12, v23
	v_cmp_gt_i32_e64 s12, 0, v28
	v_ashrrev_i32_e32 v21, 31, v21
	v_and_b32_e32 v20, v20, v22
	v_not_b32_e32 v22, v25
	s_wait_alu 0xf1ff
	v_xor_b32_e32 v26, s13, v26
	v_cmp_gt_i32_e64 s13, 0, v25
	v_xor_b32_e32 v21, s12, v21
	v_and_b32_e32 v20, v20, v23
	v_ashrrev_i32_e32 v22, 31, v22
	s_delay_alu instid0(VALU_DEP_2) | instskip(SKIP_1) | instid1(VALU_DEP_2)
	v_and_b32_e32 v20, v20, v26
	s_wait_alu 0xf1ff
	v_xor_b32_e32 v22, s13, v22
	s_delay_alu instid0(VALU_DEP_2) | instskip(NEXT) | instid1(VALU_DEP_1)
	v_and_b32_e32 v20, v20, v21
	v_and_b32_e32 v21, v20, v22
	v_add_lshl_u32 v20, v4, v37, 2
	s_delay_alu instid0(VALU_DEP_2) | instskip(NEXT) | instid1(VALU_DEP_2)
	v_mbcnt_lo_u32_b32 v4, v21, 0
	v_add_co_u32 v20, null, v12, v20
	v_cmp_ne_u32_e64 s13, 0, v21
	s_delay_alu instid0(VALU_DEP_3) | instskip(NEXT) | instid1(VALU_DEP_3)
	v_cmp_eq_u32_e64 s12, 0, v4
	v_add_co_u32 v20, null, v20, 32
	s_and_b32 s13, s13, s12
	s_wait_alu 0xfffe
	s_and_saveexec_b32 s12, s13
; %bb.153:                              ;   in Loop: Header=BB1951_152 Depth=1
	v_bcnt_u32_b32 v21, v21, 0
	ds_store_b32 v20, v21
; %bb.154:                              ;   in Loop: Header=BB1951_152 Depth=1
	s_wait_alu 0xfffe
	s_or_b32 exec_lo, exec_lo, s12
	v_cmp_ne_u16_e64 s12, 0x8000, v64
	; wave barrier
	s_wait_alu 0xf1ff
	s_delay_alu instid0(VALU_DEP_1) | instskip(NEXT) | instid1(VALU_DEP_1)
	v_cndmask_b32_e64 v21, 0x7fff, v64, s12
	v_and_b32_e32 v21, 0xffff, v21
	s_delay_alu instid0(VALU_DEP_1) | instskip(NEXT) | instid1(VALU_DEP_1)
	v_lshrrev_b32_e32 v21, v10, v21
	v_and_b32_e32 v21, v21, v24
	s_delay_alu instid0(VALU_DEP_1)
	v_and_b32_e32 v22, 1, v21
	v_lshlrev_b32_e32 v23, 30, v21
	v_lshlrev_b32_e32 v24, 29, v21
	;; [unrolled: 1-line block ×4, first 2 shown]
	v_add_co_u32 v22, s12, v22, -1
	s_wait_alu 0xf1ff
	v_cndmask_b32_e64 v26, 0, 1, s12
	v_not_b32_e32 v66, v23
	v_cmp_gt_i32_e64 s13, 0, v23
	v_not_b32_e32 v23, v24
	v_lshlrev_b32_e32 v28, 26, v21
	v_cmp_ne_u32_e64 s12, 0, v26
	v_ashrrev_i32_e32 v66, 31, v66
	v_lshlrev_b32_e32 v65, 25, v21
	v_ashrrev_i32_e32 v23, 31, v23
	v_lshlrev_b32_e32 v26, 24, v21
	s_wait_alu 0xf1ff
	v_xor_b32_e32 v22, s12, v22
	v_cmp_gt_i32_e64 s12, 0, v24
	v_not_b32_e32 v24, v25
	v_xor_b32_e32 v66, s13, v66
	v_cmp_gt_i32_e64 s13, 0, v25
	v_and_b32_e32 v22, exec_lo, v22
	v_not_b32_e32 v25, v27
	v_ashrrev_i32_e32 v24, 31, v24
	s_wait_alu 0xf1ff
	v_xor_b32_e32 v23, s12, v23
	v_cmp_gt_i32_e64 s12, 0, v27
	v_and_b32_e32 v22, v22, v66
	v_not_b32_e32 v27, v28
	v_ashrrev_i32_e32 v25, 31, v25
	v_xor_b32_e32 v24, s13, v24
	v_cmp_gt_i32_e64 s13, 0, v28
	v_and_b32_e32 v22, v22, v23
	v_not_b32_e32 v23, v65
	v_ashrrev_i32_e32 v27, 31, v27
	s_wait_alu 0xf1ff
	v_xor_b32_e32 v25, s12, v25
	v_cmp_gt_i32_e64 s12, 0, v65
	v_and_b32_e32 v22, v22, v24
	v_not_b32_e32 v24, v26
	v_ashrrev_i32_e32 v23, 31, v23
	v_xor_b32_e32 v27, s13, v27
	v_lshl_add_u32 v21, v21, 3, v37
	v_and_b32_e32 v22, v22, v25
	v_cmp_gt_i32_e64 s13, 0, v26
	v_ashrrev_i32_e32 v24, 31, v24
	s_wait_alu 0xf1ff
	v_xor_b32_e32 v23, s12, v23
	v_lshl_add_u32 v25, v21, 2, v12
	v_and_b32_e32 v22, v22, v27
	v_xor_b32_e32 v24, s13, v24
	ds_load_b32 v21, v25 offset:32
	v_and_b32_e32 v22, v22, v23
	v_add_nc_u32_e32 v23, 32, v25
	; wave barrier
	s_delay_alu instid0(VALU_DEP_2) | instskip(NEXT) | instid1(VALU_DEP_1)
	v_and_b32_e32 v24, v22, v24
	v_mbcnt_lo_u32_b32 v22, v24, 0
	v_cmp_ne_u32_e64 s13, 0, v24
	s_delay_alu instid0(VALU_DEP_2)
	v_cmp_eq_u32_e64 s12, 0, v22
	s_and_b32 s13, s13, s12
	s_wait_alu 0xfffe
	s_and_saveexec_b32 s12, s13
	s_cbranch_execz .LBB1951_156
; %bb.155:                              ;   in Loop: Header=BB1951_152 Depth=1
	s_wait_dscnt 0x0
	v_bcnt_u32_b32 v24, v24, v21
	ds_store_b32 v23, v24
.LBB1951_156:                           ;   in Loop: Header=BB1951_152 Depth=1
	s_wait_alu 0xfffe
	s_or_b32 exec_lo, exec_lo, s12
	; wave barrier
	s_wait_loadcnt_dscnt 0x0
	s_barrier_signal -1
	s_barrier_wait -1
	global_inv scope:SCOPE_SE
	ds_load_b32 v25, v15
	ds_load_b32 v26, v29
	;; [unrolled: 1-line block ×8, first 2 shown]
	s_wait_dscnt 0x6
	v_add_nc_u32_e32 v68, v26, v25
	s_wait_dscnt 0x4
	s_delay_alu instid0(VALU_DEP_1) | instskip(SKIP_1) | instid1(VALU_DEP_1)
	v_add3_u32 v68, v68, v27, v28
	s_wait_dscnt 0x2
	v_add3_u32 v68, v68, v65, v66
	s_wait_dscnt 0x0
	s_delay_alu instid0(VALU_DEP_1) | instskip(NEXT) | instid1(VALU_DEP_1)
	v_add3_u32 v67, v68, v24, v67
	v_mov_b32_dpp v68, v67 row_shr:1 row_mask:0xf bank_mask:0xf
	s_wait_alu 0xfffd
	s_delay_alu instid0(VALU_DEP_1) | instskip(NEXT) | instid1(VALU_DEP_1)
	v_cndmask_b32_e64 v68, v68, 0, vcc_lo
	v_add_nc_u32_e32 v67, v68, v67
	s_delay_alu instid0(VALU_DEP_1) | instskip(NEXT) | instid1(VALU_DEP_1)
	v_mov_b32_dpp v68, v67 row_shr:2 row_mask:0xf bank_mask:0xf
	v_cndmask_b32_e64 v68, 0, v68, s0
	s_delay_alu instid0(VALU_DEP_1) | instskip(NEXT) | instid1(VALU_DEP_1)
	v_add_nc_u32_e32 v67, v67, v68
	v_mov_b32_dpp v68, v67 row_shr:4 row_mask:0xf bank_mask:0xf
	s_delay_alu instid0(VALU_DEP_1) | instskip(NEXT) | instid1(VALU_DEP_1)
	v_cndmask_b32_e64 v68, 0, v68, s1
	v_add_nc_u32_e32 v67, v67, v68
	s_delay_alu instid0(VALU_DEP_1) | instskip(NEXT) | instid1(VALU_DEP_1)
	v_mov_b32_dpp v68, v67 row_shr:8 row_mask:0xf bank_mask:0xf
	v_cndmask_b32_e64 v68, 0, v68, s3
	s_delay_alu instid0(VALU_DEP_1) | instskip(SKIP_3) | instid1(VALU_DEP_1)
	v_add_nc_u32_e32 v67, v67, v68
	ds_swizzle_b32 v68, v67 offset:swizzle(BROADCAST,32,15)
	s_wait_dscnt 0x0
	v_cndmask_b32_e64 v68, v68, 0, s4
	v_add_nc_u32_e32 v67, v67, v68
	s_and_saveexec_b32 s12, s5
; %bb.157:                              ;   in Loop: Header=BB1951_152 Depth=1
	ds_store_b32 v48, v67
; %bb.158:                              ;   in Loop: Header=BB1951_152 Depth=1
	s_wait_alu 0xfffe
	s_or_b32 exec_lo, exec_lo, s12
	s_wait_loadcnt_dscnt 0x0
	s_barrier_signal -1
	s_barrier_wait -1
	global_inv scope:SCOPE_SE
	s_and_saveexec_b32 s12, s6
	s_cbranch_execz .LBB1951_160
; %bb.159:                              ;   in Loop: Header=BB1951_152 Depth=1
	ds_load_b32 v68, v49
	s_wait_dscnt 0x0
	v_mov_b32_dpp v69, v68 row_shr:1 row_mask:0xf bank_mask:0xf
	s_delay_alu instid0(VALU_DEP_1) | instskip(NEXT) | instid1(VALU_DEP_1)
	v_cndmask_b32_e64 v69, v69, 0, s9
	v_add_nc_u32_e32 v68, v69, v68
	s_delay_alu instid0(VALU_DEP_1) | instskip(NEXT) | instid1(VALU_DEP_1)
	v_mov_b32_dpp v69, v68 row_shr:2 row_mask:0xf bank_mask:0xf
	v_cndmask_b32_e64 v69, 0, v69, s10
	s_delay_alu instid0(VALU_DEP_1) | instskip(NEXT) | instid1(VALU_DEP_1)
	v_add_nc_u32_e32 v68, v68, v69
	v_mov_b32_dpp v69, v68 row_shr:4 row_mask:0xf bank_mask:0xf
	s_delay_alu instid0(VALU_DEP_1) | instskip(NEXT) | instid1(VALU_DEP_1)
	v_cndmask_b32_e64 v69, 0, v69, s11
	v_add_nc_u32_e32 v68, v68, v69
	ds_store_b32 v49, v68
.LBB1951_160:                           ;   in Loop: Header=BB1951_152 Depth=1
	s_wait_alu 0xfffe
	s_or_b32 exec_lo, exec_lo, s12
	v_mov_b32_e32 v68, 0
	s_wait_loadcnt_dscnt 0x0
	s_barrier_signal -1
	s_barrier_wait -1
	global_inv scope:SCOPE_SE
	s_and_saveexec_b32 s12, s7
; %bb.161:                              ;   in Loop: Header=BB1951_152 Depth=1
	ds_load_b32 v68, v51
; %bb.162:                              ;   in Loop: Header=BB1951_152 Depth=1
	s_wait_alu 0xfffe
	s_or_b32 exec_lo, exec_lo, s12
	s_wait_dscnt 0x0
	v_add_nc_u32_e32 v67, v68, v67
	v_add_nc_u32_e32 v10, 8, v10
	s_mov_b32 s18, -1
	ds_bpermute_b32 v67, v38, v67
	s_wait_dscnt 0x0
	v_cndmask_b32_e64 v67, v67, v68, s2
	s_delay_alu instid0(VALU_DEP_1) | instskip(NEXT) | instid1(VALU_DEP_1)
	v_cndmask_b32_e64 v67, v67, 0, s8
	v_add_nc_u32_e32 v25, v67, v25
	s_delay_alu instid0(VALU_DEP_1)
	v_add_nc_u32_e32 v26, v25, v26
	ds_store_b32 v15, v67
	ds_store_b32 v29, v25
	;; [unrolled: 1-line block ×3, first 2 shown]
                                        ; implicit-def: $vgpr67
	v_mov_b32_e32 v25, v5
	v_add_nc_u32_e32 v27, v26, v27
	s_delay_alu instid0(VALU_DEP_1) | instskip(NEXT) | instid1(VALU_DEP_1)
	v_add_nc_u32_e32 v28, v27, v28
	v_add_nc_u32_e32 v65, v28, v65
	s_delay_alu instid0(VALU_DEP_1) | instskip(NEXT) | instid1(VALU_DEP_1)
	v_add_nc_u32_e32 v66, v65, v66
	v_add_nc_u32_e32 v24, v66, v24
	ds_store_b32 v32, v27
	ds_store_b32 v33, v28
	ds_store_b32 v34, v65
	ds_store_b32 v35, v66
	ds_store_b32 v36, v24
	s_wait_loadcnt_dscnt 0x0
	s_barrier_signal -1
	s_barrier_wait -1
	global_inv scope:SCOPE_SE
	ds_load_b32 v20, v20
	ds_load_b32 v23, v23
                                        ; implicit-def: $vgpr65
	s_wait_loadcnt_dscnt 0x0
	v_add_nc_u32_e32 v4, v20, v4
	v_add3_u32 v24, v22, v21, v23
	s_delay_alu instid0(VALU_DEP_2) | instskip(NEXT) | instid1(VALU_DEP_2)
	v_lshlrev_b64_e32 v[20:21], 1, v[4:5]
	v_lshlrev_b64_e32 v[22:23], 1, v[24:25]
	s_delay_alu instid0(VALU_DEP_2) | instskip(SKIP_1) | instid1(VALU_DEP_3)
	v_add_co_u32 v25, s13, v12, v20
	s_wait_alu 0xf1ff
	v_add_co_ci_u32_e64 v26, null, v13, v21, s13
	s_delay_alu instid0(VALU_DEP_3)
	v_add_co_u32 v27, s13, v12, v22
	s_wait_alu 0xf1ff
	v_add_co_ci_u32_e64 v28, null, v13, v23, s13
	s_mov_b32 s13, exec_lo
                                        ; implicit-def: $vgpr20_vgpr21
                                        ; implicit-def: $vgpr22_vgpr23
	v_cmpx_lt_u32_e64 v10, v11
	s_cbranch_execz .LBB1951_151
; %bb.163:                              ;   in Loop: Header=BB1951_152 Depth=1
	v_mad_co_u64_u32 v[20:21], null, v4, 6, v[25:26]
	v_mad_co_u64_u32 v[21:22], null, v24, 6, v[27:28]
	s_barrier_signal -1
	s_barrier_wait -1
	global_inv scope:SCOPE_SE
	ds_store_b16 v25, v55
	ds_store_b16 v27, v64
	s_wait_loadcnt_dscnt 0x0
	s_barrier_signal -1
	s_barrier_wait -1
	global_inv scope:SCOPE_SE
	ds_load_u16 v67, v39
	ds_load_u16 v65, v52
	s_wait_loadcnt_dscnt 0x0
	s_barrier_signal -1
	s_barrier_wait -1
	global_inv scope:SCOPE_SE
	ds_store_b64 v20, v[18:19]
	ds_store_b64 v21, v[8:9]
	s_wait_loadcnt_dscnt 0x0
	s_barrier_signal -1
	s_barrier_wait -1
	global_inv scope:SCOPE_SE
	ds_load_b64 v[22:23], v50
	ds_load_b64 v[20:21], v53
	v_add_nc_u32_e32 v54, -8, v54
	s_xor_b32 s18, exec_lo, -1
	s_wait_loadcnt_dscnt 0x0
	s_barrier_signal -1
	s_barrier_wait -1
	global_inv scope:SCOPE_SE
	s_branch .LBB1951_151
.LBB1951_164:
	flat_load_b64 v[48:49], v[4:5]
	v_dual_mov_b32 v50, v22 :: v_dual_mov_b32 v51, v22
	v_dual_mov_b32 v52, v22 :: v_dual_mov_b32 v53, v22
	;; [unrolled: 1-line block ×3, first 2 shown]
	s_wait_loadcnt_dscnt 0x0
	v_dual_mov_b32 v22, v48 :: v_dual_mov_b32 v23, v49
	v_dual_mov_b32 v24, v50 :: v_dual_mov_b32 v25, v51
	;; [unrolled: 1-line block ×4, first 2 shown]
	s_wait_alu 0xfffe
	s_or_b32 exec_lo, exec_lo, s3
	s_and_saveexec_b32 s2, s0
	s_cbranch_execz .LBB1951_91
.LBB1951_165:
	flat_load_b64 v[24:25], v[4:5] offset:256
	s_wait_alu 0xfffe
	s_or_b32 exec_lo, exec_lo, s2
	s_and_saveexec_b32 s0, s1
	s_cbranch_execz .LBB1951_92
.LBB1951_166:
	flat_load_b64 v[26:27], v[4:5] offset:512
	s_wait_alu 0xfffe
	s_or_b32 exec_lo, exec_lo, s0
	s_and_saveexec_b32 s0, vcc_lo
	s_cbranch_execnz .LBB1951_93
	s_branch .LBB1951_94
.LBB1951_167:
	flat_store_b64 v[0:1], v[12:13]
	s_wait_alu 0xfffe
	s_or_b32 exec_lo, exec_lo, s3
	s_and_saveexec_b32 s3, s0
	s_cbranch_execz .LBB1951_136
.LBB1951_168:
	flat_store_b64 v[0:1], v[14:15] offset:2048
	s_wait_alu 0xfffe
	s_or_b32 exec_lo, exec_lo, s3
	s_and_saveexec_b32 s0, s1
	s_cbranch_execz .LBB1951_137
.LBB1951_169:
	flat_store_b64 v[0:1], v[8:9] offset:4096
	s_wait_alu 0xfffe
	s_or_b32 exec_lo, exec_lo, s0
	s_and_saveexec_b32 s0, s2
	s_cbranch_execnz .LBB1951_138
	s_branch .LBB1951_139
.LBB1951_170:
	s_or_b32 exec_lo, exec_lo, s17
	v_mad_co_u64_u32 v[10:11], null, v4, 6, v[25:26]
	v_lshl_add_u32 v13, v30, 1, v12
	v_mad_co_u64_u32 v[11:12], null, v24, 6, v[27:28]
	v_mul_u32_u24_e32 v12, 6, v30
	s_barrier_signal -1
	s_barrier_wait -1
	s_wait_loadcnt 0x0
	global_inv scope:SCOPE_SE
	ds_store_b16 v25, v55
	ds_store_b16 v27, v64
	s_wait_loadcnt_dscnt 0x0
	s_barrier_signal -1
	s_barrier_wait -1
	global_inv scope:SCOPE_SE
	ds_load_u16 v5, v13
	ds_load_u16 v4, v13 offset:512
	s_wait_loadcnt_dscnt 0x0
	s_barrier_signal -1
	s_barrier_wait -1
	global_inv scope:SCOPE_SE
	ds_store_b64 v10, v[18:19]
	ds_store_b64 v11, v[8:9]
	v_dual_mov_b32 v15, 0 :: v_dual_add_nc_u32 v8, v13, v12
	s_wait_loadcnt_dscnt 0x0
	s_barrier_signal -1
	s_barrier_wait -1
	global_inv scope:SCOPE_SE
	ds_load_2addr_stride64_b64 v[8:11], v8 offset1:4
	v_lshlrev_b64_e32 v[12:13], 1, v[14:15]
	v_add_co_u32 v2, vcc_lo, v2, v16
	s_wait_alu 0xfffd
	v_add_co_ci_u32_e64 v3, null, v3, v17, vcc_lo
	s_wait_loadcnt_dscnt 0x0
	s_delay_alu instid0(VALU_DEP_2) | instskip(SKIP_1) | instid1(VALU_DEP_2)
	v_add_co_u32 v2, vcc_lo, v2, v12
	s_wait_alu 0xfffd
	v_add_co_ci_u32_e64 v3, null, v3, v13, vcc_lo
	v_cmp_lt_u32_e32 vcc_lo, v14, v128
	s_barrier_signal -1
	s_barrier_wait -1
	global_inv scope:SCOPE_SE
	s_and_saveexec_b32 s1, vcc_lo
	s_cbranch_execz .LBB1951_172
; %bb.171:
	v_cmp_gt_i16_e64 s0, 0, v5
	s_wait_alu 0xf1ff
	s_delay_alu instid0(VALU_DEP_1) | instskip(NEXT) | instid1(VALU_DEP_1)
	v_cndmask_b32_e64 v12, 0x7fff, 0, s0
	v_xor_b32_e32 v5, v12, v5
	flat_store_b16 v[2:3], v5
.LBB1951_172:
	s_wait_alu 0xfffe
	s_or_b32 exec_lo, exec_lo, s1
	v_add_nc_u32_e32 v5, 0x100, v14
	s_delay_alu instid0(VALU_DEP_1)
	v_cmp_lt_u32_e64 s0, v5, v128
	s_and_saveexec_b32 s2, s0
	s_cbranch_execz .LBB1951_174
; %bb.173:
	v_cmp_gt_i16_e64 s1, 0, v4
	s_wait_alu 0xf1ff
	s_delay_alu instid0(VALU_DEP_1) | instskip(NEXT) | instid1(VALU_DEP_1)
	v_cndmask_b32_e64 v5, 0x7fff, 0, s1
	v_xor_b32_e32 v4, v5, v4
	flat_store_b16 v[2:3], v4 offset:512
.LBB1951_174:
	s_wait_alu 0xfffe
	s_or_b32 exec_lo, exec_lo, s2
	v_lshlrev_b64_e32 v[2:3], 3, v[14:15]
	v_add_co_u32 v0, s1, v6, v0
	s_wait_alu 0xf1ff
	v_add_co_ci_u32_e64 v1, null, v7, v1, s1
	s_delay_alu instid0(VALU_DEP_2) | instskip(SKIP_1) | instid1(VALU_DEP_2)
	v_add_co_u32 v0, s1, v0, v2
	s_wait_alu 0xf1ff
	v_add_co_ci_u32_e64 v1, null, v1, v3, s1
	s_and_saveexec_b32 s1, vcc_lo
	s_cbranch_execz .LBB1951_176
; %bb.175:
	flat_store_b64 v[0:1], v[8:9]
.LBB1951_176:
	s_wait_alu 0xfffe
	s_or_b32 exec_lo, exec_lo, s1
	s_and_saveexec_b32 s1, s0
	s_cbranch_execz .LBB1951_178
; %bb.177:
	flat_store_b64 v[0:1], v[10:11] offset:2048
.LBB1951_178:
	s_wait_alu 0xfffe
	s_or_b32 exec_lo, exec_lo, s1
                                        ; implicit-def: $vgpr14_vgpr15
                                        ; implicit-def: $vgpr8_vgpr9
                                        ; implicit-def: $vgpr16_vgpr17
                                        ; implicit-def: $vgpr128
                                        ; implicit-def: $vgpr0
                                        ; implicit-def: $vgpr1
                                        ; implicit-def: $vgpr2
                                        ; implicit-def: $vgpr3
                                        ; implicit-def: $vgpr4
                                        ; implicit-def: $vgpr5
                                        ; implicit-def: $vgpr6
                                        ; implicit-def: $vgpr7
                                        ; implicit-def: $vgpr10
                                        ; implicit-def: $vgpr11
                                        ; implicit-def: $vgpr12
                                        ; implicit-def: $vgpr13
                                        ; implicit-def: $vgpr30
                                        ; implicit-def: $vgpr66
.LBB1951_179:
	s_wait_alu 0xfffe
	s_and_not1_saveexec_b32 s0, s14
	s_cbranch_execz .LBB1951_199
; %bb.180:
	v_and_b32_e32 v20, 0xffffffe0, v14
	s_delay_alu instid0(VALU_DEP_1) | instskip(NEXT) | instid1(VALU_DEP_1)
	v_or_b32_e32 v15, v66, v20
	v_cmp_lt_u32_e32 vcc_lo, v15, v128
	v_mov_b32_e32 v15, -1
	s_and_saveexec_b32 s1, vcc_lo
	s_cbranch_execz .LBB1951_182
; %bb.181:
	v_mov_b32_e32 v21, 0
	v_lshlrev_b32_e32 v15, 1, v66
	v_add_co_u32 v18, s0, v0, v16
	s_wait_alu 0xf1fe
	v_add_co_ci_u32_e64 v19, null, v1, v17, s0
	v_lshlrev_b64_e32 v[0:1], 1, v[20:21]
	s_delay_alu instid0(VALU_DEP_3) | instskip(SKIP_1) | instid1(VALU_DEP_3)
	v_add_co_u32 v15, s0, v18, v15
	s_wait_alu 0xf1ff
	v_add_co_ci_u32_e64 v18, null, 0, v19, s0
	s_delay_alu instid0(VALU_DEP_2) | instskip(SKIP_1) | instid1(VALU_DEP_2)
	v_add_co_u32 v0, s0, v15, v0
	s_wait_alu 0xf1ff
	v_add_co_ci_u32_e64 v1, null, v18, v1, s0
	flat_load_u16 v15, v[0:1]
.LBB1951_182:
	s_wait_alu 0xfffe
	s_or_b32 exec_lo, exec_lo, s1
	v_lshlrev_b64_e32 v[0:1], 3, v[8:9]
                                        ; implicit-def: $vgpr18_vgpr19
	s_and_saveexec_b32 s0, vcc_lo
	s_cbranch_execz .LBB1951_184
; %bb.183:
	v_dual_mov_b32 v21, 0 :: v_dual_lshlrev_b32 v8, 3, v66
	s_delay_alu instid0(VALU_DEP_2) | instskip(SKIP_2) | instid1(VALU_DEP_3)
	v_add_co_u32 v9, vcc_lo, v4, v0
	s_wait_alu 0xfffd
	v_add_co_ci_u32_e64 v18, null, v5, v1, vcc_lo
	v_lshlrev_b64_e32 v[4:5], 3, v[20:21]
	s_delay_alu instid0(VALU_DEP_3) | instskip(SKIP_1) | instid1(VALU_DEP_3)
	v_add_co_u32 v8, vcc_lo, v9, v8
	s_wait_alu 0xfffd
	v_add_co_ci_u32_e64 v9, null, 0, v18, vcc_lo
	s_delay_alu instid0(VALU_DEP_2) | instskip(SKIP_1) | instid1(VALU_DEP_2)
	v_add_co_u32 v4, vcc_lo, v8, v4
	s_wait_alu 0xfffd
	v_add_co_ci_u32_e64 v5, null, v9, v5, vcc_lo
	flat_load_b64 v[18:19], v[4:5]
.LBB1951_184:
	s_wait_alu 0xfffe
	s_or_b32 exec_lo, exec_lo, s0
	s_wait_loadcnt_dscnt 0x0
	v_cmp_gt_i16_e32 vcc_lo, 0, v15
	v_lshl_add_u32 v5, v30, 5, v12
	v_sub_co_u32 v20, s2, v66, 1
	s_getpc_b64 s[0:1]
	s_wait_alu 0xfffe
	s_sext_i32_i16 s1, s1
	s_add_co_u32 s0, s0, _ZN7rocprim17ROCPRIM_400000_NS16block_radix_sortI12hip_bfloat16Lj256ELj1ElLj1ELj1ELj8ELNS0_26block_radix_rank_algorithmE2ELNS0_18block_padding_hintE2ELNS0_4arch9wavefront6targetE0EE19radix_bits_per_passE@rel32@lo+12
	s_wait_alu 0xfffe
	s_add_co_ci_u32 s1, s1, _ZN7rocprim17ROCPRIM_400000_NS16block_radix_sortI12hip_bfloat16Lj256ELj1ElLj1ELj1ELj8ELNS0_26block_radix_rank_algorithmE2ELNS0_18block_padding_hintE2ELNS0_4arch9wavefront6targetE0EE19radix_bits_per_passE@rel32@hi+24
	s_wait_alu 0xfffd
	v_cndmask_b32_e64 v4, 0x7fff, 0, vcc_lo
	v_add_nc_u32_e32 v22, 36, v5
	v_add_nc_u32_e32 v23, 40, v5
	;; [unrolled: 1-line block ×4, first 2 shown]
	v_xor_b32_e32 v39, v4, v15
	v_add_nc_u32_e32 v15, 32, v5
	v_add_nc_u32_e32 v26, 52, v5
	;; [unrolled: 1-line block ×4, first 2 shown]
	v_and_b32_e32 v5, 0x3e0, v30
	v_and_b32_e32 v4, 15, v66
	s_load_b32 s14, s[0:1], 0x0
	v_and_b32_e32 v9, 16, v66
	v_cmp_gt_i32_e64 s5, 0, v20
	v_min_u32_e32 v8, 0xe0, v5
	v_cmp_eq_u32_e32 vcc_lo, 0, v4
	v_cmp_lt_u32_e64 s0, 1, v4
	v_cmp_lt_u32_e64 s1, 3, v4
	;; [unrolled: 1-line block ×3, first 2 shown]
	v_or_b32_e32 v4, 31, v8
	v_lshrrev_b32_e32 v8, 3, v30
	v_cmp_eq_u32_e64 s4, 0, v9
	s_wait_alu 0xf1ff
	v_cndmask_b32_e64 v9, v20, v66, s5
	v_lshrrev_b32_e32 v29, 5, v14
	v_cmp_eq_u32_e64 s5, v30, v4
	v_and_b32_e32 v4, 0x7c, v8
	v_or_b32_e32 v8, v66, v5
	v_cmp_gt_u32_e64 s6, 8, v30
	v_cmp_lt_u32_e64 s7, 31, v30
	v_lshlrev_b32_e32 v31, 2, v9
	v_add_nc_u32_e32 v32, v12, v4
	v_and_b32_e32 v4, 7, v66
	v_lshl_add_u32 v34, v8, 1, v12
	v_mul_u32_u24_e32 v8, 6, v8
	v_cmp_eq_u32_e64 s8, 0, v30
	v_mov_b32_e32 v5, 0
	v_lshl_add_u32 v33, v30, 2, v12
	v_cmp_eq_u32_e64 s9, 0, v4
	v_cmp_lt_u32_e64 s10, 1, v4
	v_cmp_lt_u32_e64 s11, 3, v4
	v_add_nc_u32_e32 v35, -4, v32
	v_add_nc_u32_e32 v36, v34, v8
	v_sub_nc_u32_e32 v37, v11, v10
	s_mov_b32 s15, 0
	s_wait_storecnt 0x0
	s_barrier_signal -1
	s_barrier_wait -1
	global_inv scope:SCOPE_SE
	s_branch .LBB1951_186
.LBB1951_185:                           ;   in Loop: Header=BB1951_186 Depth=1
	s_wait_alu 0xfffe
	s_or_b32 exec_lo, exec_lo, s13
	s_delay_alu instid0(SALU_CYCLE_1)
	s_and_b32 s12, exec_lo, s17
	s_wait_alu 0xfffe
	s_or_b32 s15, s12, s15
	s_wait_alu 0xfffe
	s_and_not1_b32 exec_lo, exec_lo, s15
	s_cbranch_execz .LBB1951_196
.LBB1951_186:                           ; =>This Inner Loop Header: Depth=1
	v_mov_b32_e32 v38, v39
	s_wait_kmcnt 0x0
	v_min_u32_e32 v8, s14, v37
	ds_store_b32 v15, v5
	ds_store_b32 v22, v5
	;; [unrolled: 1-line block ×6, first 2 shown]
	v_cmp_ne_u16_e64 s12, 0x8000, v38
	ds_store_b32 v27, v5
	ds_store_b32 v28, v5
	s_wait_loadcnt_dscnt 0x0
	s_barrier_signal -1
	s_barrier_wait -1
	s_wait_alu 0xf1ff
	v_cndmask_b32_e64 v4, 0x7fff, v38, s12
	global_inv scope:SCOPE_SE
	; wave barrier
	v_and_b32_e32 v4, 0xffff, v4
	s_delay_alu instid0(VALU_DEP_1) | instskip(NEXT) | instid1(VALU_DEP_1)
	v_lshrrev_b32_e32 v4, v10, v4
	v_bfe_u32 v4, v4, 0, v8
	s_delay_alu instid0(VALU_DEP_1)
	v_and_b32_e32 v8, 1, v4
	v_lshlrev_b32_e32 v9, 30, v4
	v_lshlrev_b32_e32 v20, 29, v4
	;; [unrolled: 1-line block ×4, first 2 shown]
	v_add_co_u32 v8, s12, v8, -1
	s_wait_alu 0xf1ff
	v_cndmask_b32_e64 v39, 0, 1, s12
	v_not_b32_e32 v51, v9
	v_cmp_gt_i32_e64 s13, 0, v9
	v_not_b32_e32 v9, v20
	v_lshlrev_b32_e32 v49, 26, v4
	v_cmp_ne_u32_e64 s12, 0, v39
	v_ashrrev_i32_e32 v51, 31, v51
	v_lshlrev_b32_e32 v50, 25, v4
	v_ashrrev_i32_e32 v9, 31, v9
	v_lshlrev_b32_e32 v39, 24, v4
	s_wait_alu 0xf1ff
	v_xor_b32_e32 v8, s12, v8
	v_cmp_gt_i32_e64 s12, 0, v20
	v_not_b32_e32 v20, v21
	v_xor_b32_e32 v51, s13, v51
	v_cmp_gt_i32_e64 s13, 0, v21
	v_and_b32_e32 v8, exec_lo, v8
	v_not_b32_e32 v21, v48
	v_ashrrev_i32_e32 v20, 31, v20
	s_wait_alu 0xf1ff
	v_xor_b32_e32 v9, s12, v9
	v_cmp_gt_i32_e64 s12, 0, v48
	v_and_b32_e32 v8, v8, v51
	v_not_b32_e32 v48, v49
	v_ashrrev_i32_e32 v21, 31, v21
	v_xor_b32_e32 v20, s13, v20
	v_cmp_gt_i32_e64 s13, 0, v49
	v_and_b32_e32 v8, v8, v9
	v_not_b32_e32 v9, v50
	v_ashrrev_i32_e32 v48, 31, v48
	s_wait_alu 0xf1ff
	v_xor_b32_e32 v21, s12, v21
	v_cmp_gt_i32_e64 s12, 0, v50
	v_and_b32_e32 v8, v8, v20
	v_not_b32_e32 v20, v39
	v_ashrrev_i32_e32 v49, 31, v9
	v_xor_b32_e32 v48, s13, v48
	v_cmp_gt_i32_e64 s13, 0, v39
	v_dual_mov_b32 v8, v18 :: v_dual_and_b32 v21, v8, v21
	v_mov_b32_e32 v9, v19
	v_ashrrev_i32_e32 v18, 31, v20
	s_wait_alu 0xf1ff
	v_xor_b32_e32 v19, s12, v49
	v_and_b32_e32 v20, v21, v48
	v_lshlrev_b32_e32 v4, 3, v4
	v_xor_b32_e32 v18, s13, v18
	s_delay_alu instid0(VALU_DEP_3) | instskip(NEXT) | instid1(VALU_DEP_1)
	v_and_b32_e32 v19, v20, v19
	v_and_b32_e32 v19, v19, v18
	s_delay_alu instid0(VALU_DEP_4) | instskip(NEXT) | instid1(VALU_DEP_2)
	v_add_lshl_u32 v18, v4, v29, 2
	v_mbcnt_lo_u32_b32 v4, v19, 0
	s_delay_alu instid0(VALU_DEP_2) | instskip(SKIP_1) | instid1(VALU_DEP_3)
	v_add_co_u32 v18, null, v12, v18
	v_cmp_ne_u32_e64 s13, 0, v19
	v_cmp_eq_u32_e64 s12, 0, v4
	s_delay_alu instid0(VALU_DEP_3)
	v_add_co_u32 v18, null, v18, 32
	s_and_b32 s13, s13, s12
	s_wait_alu 0xfffe
	s_and_saveexec_b32 s12, s13
; %bb.187:                              ;   in Loop: Header=BB1951_186 Depth=1
	v_bcnt_u32_b32 v19, v19, 0
	ds_store_b32 v18, v19
; %bb.188:                              ;   in Loop: Header=BB1951_186 Depth=1
	s_wait_alu 0xfffe
	s_or_b32 exec_lo, exec_lo, s12
	; wave barrier
	s_wait_loadcnt_dscnt 0x0
	s_barrier_signal -1
	s_barrier_wait -1
	global_inv scope:SCOPE_SE
	ds_load_b32 v20, v15
	ds_load_b32 v21, v22
	;; [unrolled: 1-line block ×8, first 2 shown]
	s_wait_dscnt 0x6
	v_add_nc_u32_e32 v52, v21, v20
	s_wait_dscnt 0x4
	s_delay_alu instid0(VALU_DEP_1) | instskip(SKIP_1) | instid1(VALU_DEP_1)
	v_add3_u32 v52, v52, v39, v48
	s_wait_dscnt 0x2
	v_add3_u32 v52, v52, v49, v50
	s_wait_dscnt 0x0
	s_delay_alu instid0(VALU_DEP_1) | instskip(NEXT) | instid1(VALU_DEP_1)
	v_add3_u32 v51, v52, v19, v51
	v_mov_b32_dpp v52, v51 row_shr:1 row_mask:0xf bank_mask:0xf
	s_wait_alu 0xfffd
	s_delay_alu instid0(VALU_DEP_1) | instskip(NEXT) | instid1(VALU_DEP_1)
	v_cndmask_b32_e64 v52, v52, 0, vcc_lo
	v_add_nc_u32_e32 v51, v52, v51
	s_delay_alu instid0(VALU_DEP_1) | instskip(NEXT) | instid1(VALU_DEP_1)
	v_mov_b32_dpp v52, v51 row_shr:2 row_mask:0xf bank_mask:0xf
	v_cndmask_b32_e64 v52, 0, v52, s0
	s_delay_alu instid0(VALU_DEP_1) | instskip(NEXT) | instid1(VALU_DEP_1)
	v_add_nc_u32_e32 v51, v51, v52
	v_mov_b32_dpp v52, v51 row_shr:4 row_mask:0xf bank_mask:0xf
	s_delay_alu instid0(VALU_DEP_1) | instskip(NEXT) | instid1(VALU_DEP_1)
	v_cndmask_b32_e64 v52, 0, v52, s1
	v_add_nc_u32_e32 v51, v51, v52
	s_delay_alu instid0(VALU_DEP_1) | instskip(NEXT) | instid1(VALU_DEP_1)
	v_mov_b32_dpp v52, v51 row_shr:8 row_mask:0xf bank_mask:0xf
	v_cndmask_b32_e64 v52, 0, v52, s3
	s_delay_alu instid0(VALU_DEP_1) | instskip(SKIP_3) | instid1(VALU_DEP_1)
	v_add_nc_u32_e32 v51, v51, v52
	ds_swizzle_b32 v52, v51 offset:swizzle(BROADCAST,32,15)
	s_wait_dscnt 0x0
	v_cndmask_b32_e64 v52, v52, 0, s4
	v_add_nc_u32_e32 v51, v51, v52
	s_and_saveexec_b32 s12, s5
; %bb.189:                              ;   in Loop: Header=BB1951_186 Depth=1
	ds_store_b32 v32, v51
; %bb.190:                              ;   in Loop: Header=BB1951_186 Depth=1
	s_wait_alu 0xfffe
	s_or_b32 exec_lo, exec_lo, s12
	s_wait_loadcnt_dscnt 0x0
	s_barrier_signal -1
	s_barrier_wait -1
	global_inv scope:SCOPE_SE
	s_and_saveexec_b32 s12, s6
	s_cbranch_execz .LBB1951_192
; %bb.191:                              ;   in Loop: Header=BB1951_186 Depth=1
	ds_load_b32 v52, v33
	s_wait_dscnt 0x0
	v_mov_b32_dpp v53, v52 row_shr:1 row_mask:0xf bank_mask:0xf
	s_delay_alu instid0(VALU_DEP_1) | instskip(NEXT) | instid1(VALU_DEP_1)
	v_cndmask_b32_e64 v53, v53, 0, s9
	v_add_nc_u32_e32 v52, v53, v52
	s_delay_alu instid0(VALU_DEP_1) | instskip(NEXT) | instid1(VALU_DEP_1)
	v_mov_b32_dpp v53, v52 row_shr:2 row_mask:0xf bank_mask:0xf
	v_cndmask_b32_e64 v53, 0, v53, s10
	s_delay_alu instid0(VALU_DEP_1) | instskip(NEXT) | instid1(VALU_DEP_1)
	v_add_nc_u32_e32 v52, v52, v53
	v_mov_b32_dpp v53, v52 row_shr:4 row_mask:0xf bank_mask:0xf
	s_delay_alu instid0(VALU_DEP_1) | instskip(NEXT) | instid1(VALU_DEP_1)
	v_cndmask_b32_e64 v53, 0, v53, s11
	v_add_nc_u32_e32 v52, v52, v53
	ds_store_b32 v33, v52
.LBB1951_192:                           ;   in Loop: Header=BB1951_186 Depth=1
	s_wait_alu 0xfffe
	s_or_b32 exec_lo, exec_lo, s12
	v_mov_b32_e32 v52, 0
	s_wait_loadcnt_dscnt 0x0
	s_barrier_signal -1
	s_barrier_wait -1
	global_inv scope:SCOPE_SE
	s_and_saveexec_b32 s12, s7
; %bb.193:                              ;   in Loop: Header=BB1951_186 Depth=1
	ds_load_b32 v52, v35
; %bb.194:                              ;   in Loop: Header=BB1951_186 Depth=1
	s_wait_alu 0xfffe
	s_or_b32 exec_lo, exec_lo, s12
	s_wait_dscnt 0x0
	v_add_nc_u32_e32 v51, v52, v51
	v_add_nc_u32_e32 v10, 8, v10
	s_mov_b32 s17, -1
	ds_bpermute_b32 v51, v31, v51
	s_wait_dscnt 0x0
	v_cndmask_b32_e64 v51, v51, v52, s2
	s_delay_alu instid0(VALU_DEP_1) | instskip(NEXT) | instid1(VALU_DEP_1)
	v_cndmask_b32_e64 v51, v51, 0, s8
	v_add_nc_u32_e32 v20, v51, v20
	s_delay_alu instid0(VALU_DEP_1) | instskip(SKIP_4) | instid1(VALU_DEP_1)
	v_add_nc_u32_e32 v21, v20, v21
	ds_store_b32 v15, v51
	ds_store_b32 v22, v20
	;; [unrolled: 1-line block ×3, first 2 shown]
	v_add_nc_u32_e32 v39, v21, v39
	v_add_nc_u32_e32 v48, v39, v48
	s_delay_alu instid0(VALU_DEP_1) | instskip(NEXT) | instid1(VALU_DEP_1)
	v_add_nc_u32_e32 v49, v48, v49
	v_add_nc_u32_e32 v50, v49, v50
	s_delay_alu instid0(VALU_DEP_1)
	v_add_nc_u32_e32 v19, v50, v19
	ds_store_b32 v24, v39
	ds_store_b32 v25, v48
	;; [unrolled: 1-line block ×5, first 2 shown]
	s_wait_loadcnt_dscnt 0x0
	s_barrier_signal -1
	s_barrier_wait -1
	global_inv scope:SCOPE_SE
	ds_load_b32 v18, v18
                                        ; implicit-def: $vgpr39
	s_wait_loadcnt_dscnt 0x0
	v_add_nc_u32_e32 v4, v18, v4
	s_delay_alu instid0(VALU_DEP_1) | instskip(NEXT) | instid1(VALU_DEP_1)
	v_lshlrev_b64_e32 v[18:19], 1, v[4:5]
	v_add_co_u32 v20, s13, v12, v18
	s_wait_alu 0xf1ff
	s_delay_alu instid0(VALU_DEP_2)
	v_add_co_ci_u32_e64 v21, null, v13, v19, s13
	s_mov_b32 s13, exec_lo
                                        ; implicit-def: $vgpr18_vgpr19
	v_cmpx_lt_u32_e64 v10, v11
	s_cbranch_execz .LBB1951_185
; %bb.195:                              ;   in Loop: Header=BB1951_186 Depth=1
	v_mad_co_u64_u32 v[18:19], null, v4, 6, v[20:21]
	s_barrier_signal -1
	s_barrier_wait -1
	global_inv scope:SCOPE_SE
	ds_store_b16 v20, v38
	s_wait_loadcnt_dscnt 0x0
	s_barrier_signal -1
	s_barrier_wait -1
	global_inv scope:SCOPE_SE
	ds_load_u16 v39, v34
	s_wait_loadcnt_dscnt 0x0
	s_barrier_signal -1
	s_barrier_wait -1
	global_inv scope:SCOPE_SE
	ds_store_b64 v18, v[8:9]
	s_wait_loadcnt_dscnt 0x0
	s_barrier_signal -1
	s_barrier_wait -1
	global_inv scope:SCOPE_SE
	ds_load_b64 v[18:19], v36
	v_add_nc_u32_e32 v37, -8, v37
	s_xor_b32 s17, exec_lo, -1
	s_wait_loadcnt_dscnt 0x0
	s_barrier_signal -1
	s_barrier_wait -1
	global_inv scope:SCOPE_SE
	s_branch .LBB1951_185
.LBB1951_196:
	s_or_b32 exec_lo, exec_lo, s15
	v_mad_co_u64_u32 v[4:5], null, v4, 6, v[20:21]
	v_lshl_add_u32 v11, v30, 1, v12
	v_mul_u32_u24_e32 v5, 6, v30
	s_barrier_signal -1
	s_barrier_wait -1
	s_wait_loadcnt 0x0
	global_inv scope:SCOPE_SE
	ds_store_b16 v20, v38
	s_wait_loadcnt_dscnt 0x0
	s_barrier_signal -1
	s_barrier_wait -1
	global_inv scope:SCOPE_SE
	ds_load_u16 v10, v11
	s_wait_loadcnt_dscnt 0x0
	s_barrier_signal -1
	s_barrier_wait -1
	global_inv scope:SCOPE_SE
	ds_store_b64 v4, v[8:9]
	v_add_nc_u32_e32 v4, v11, v5
	s_wait_loadcnt_dscnt 0x0
	s_barrier_signal -1
	s_barrier_wait -1
	global_inv scope:SCOPE_SE
	ds_load_b64 v[4:5], v4
	s_mov_b32 s0, exec_lo
	s_wait_loadcnt_dscnt 0x0
	s_barrier_signal -1
	s_barrier_wait -1
	global_inv scope:SCOPE_SE
	v_cmpx_lt_u32_e64 v14, v128
	s_cbranch_execz .LBB1951_198
; %bb.197:
	v_add_co_u32 v8, vcc_lo, v6, v0
	v_mov_b32_e32 v15, 0
	s_wait_alu 0xfffd
	v_add_co_ci_u32_e64 v9, null, v7, v1, vcc_lo
	v_cmp_gt_i16_e32 vcc_lo, 0, v10
	s_delay_alu instid0(VALU_DEP_3)
	v_lshlrev_b64_e32 v[6:7], 1, v[14:15]
	v_lshlrev_b64_e32 v[0:1], 3, v[14:15]
	s_wait_alu 0xfffd
	v_cndmask_b32_e64 v11, 0x7fff, 0, vcc_lo
	v_add_co_u32 v2, vcc_lo, v2, v16
	s_wait_alu 0xfffd
	v_add_co_ci_u32_e64 v3, null, v3, v17, vcc_lo
	s_delay_alu instid0(VALU_DEP_3) | instskip(NEXT) | instid1(VALU_DEP_3)
	v_xor_b32_e32 v10, v11, v10
	v_add_co_u32 v2, vcc_lo, v2, v6
	s_wait_alu 0xfffd
	s_delay_alu instid0(VALU_DEP_3)
	v_add_co_ci_u32_e64 v3, null, v3, v7, vcc_lo
	v_add_co_u32 v0, vcc_lo, v8, v0
	s_wait_alu 0xfffd
	v_add_co_ci_u32_e64 v1, null, v9, v1, vcc_lo
	flat_store_b16 v[2:3], v10
	flat_store_b64 v[0:1], v[4:5]
.LBB1951_198:
	s_wait_alu 0xfffe
	s_or_b32 exec_lo, exec_lo, s0
.LBB1951_199:
	s_wait_alu 0xfffe
	s_or_b32 exec_lo, exec_lo, s16
	s_wait_loadcnt_dscnt 0x0
	s_setpc_b64 s[30:31]
.Lfunc_end1951:
	.size	_ZN7rocprim17ROCPRIM_400000_NS6detail40segmented_radix_sort_single_block_helperI12hip_bfloat16lLj256ELj8ELb1EE4sortIPKS3_PS3_PKlPlEEbT_T0_T1_T2_jjjjRNS4_12storage_typeE, .Lfunc_end1951-_ZN7rocprim17ROCPRIM_400000_NS6detail40segmented_radix_sort_single_block_helperI12hip_bfloat16lLj256ELj8ELb1EE4sortIPKS3_PS3_PKlPlEEbT_T0_T1_T2_jjjjRNS4_12storage_typeE
                                        ; -- End function
	.set .L_ZN7rocprim17ROCPRIM_400000_NS6detail40segmented_radix_sort_single_block_helperI12hip_bfloat16lLj256ELj8ELb1EE4sortIPKS3_PS3_PKlPlEEbT_T0_T1_T2_jjjjRNS4_12storage_typeE.num_vgpr, 198
	.set .L_ZN7rocprim17ROCPRIM_400000_NS6detail40segmented_radix_sort_single_block_helperI12hip_bfloat16lLj256ELj8ELb1EE4sortIPKS3_PS3_PKlPlEEbT_T0_T1_T2_jjjjRNS4_12storage_typeE.num_agpr, 0
	.set .L_ZN7rocprim17ROCPRIM_400000_NS6detail40segmented_radix_sort_single_block_helperI12hip_bfloat16lLj256ELj8ELb1EE4sortIPKS3_PS3_PKlPlEEbT_T0_T1_T2_jjjjRNS4_12storage_typeE.numbered_sgpr, 32
	.set .L_ZN7rocprim17ROCPRIM_400000_NS6detail40segmented_radix_sort_single_block_helperI12hip_bfloat16lLj256ELj8ELb1EE4sortIPKS3_PS3_PKlPlEEbT_T0_T1_T2_jjjjRNS4_12storage_typeE.num_named_barrier, 0
	.set .L_ZN7rocprim17ROCPRIM_400000_NS6detail40segmented_radix_sort_single_block_helperI12hip_bfloat16lLj256ELj8ELb1EE4sortIPKS3_PS3_PKlPlEEbT_T0_T1_T2_jjjjRNS4_12storage_typeE.private_seg_size, 0
	.set .L_ZN7rocprim17ROCPRIM_400000_NS6detail40segmented_radix_sort_single_block_helperI12hip_bfloat16lLj256ELj8ELb1EE4sortIPKS3_PS3_PKlPlEEbT_T0_T1_T2_jjjjRNS4_12storage_typeE.uses_vcc, 1
	.set .L_ZN7rocprim17ROCPRIM_400000_NS6detail40segmented_radix_sort_single_block_helperI12hip_bfloat16lLj256ELj8ELb1EE4sortIPKS3_PS3_PKlPlEEbT_T0_T1_T2_jjjjRNS4_12storage_typeE.uses_flat_scratch, 0
	.set .L_ZN7rocprim17ROCPRIM_400000_NS6detail40segmented_radix_sort_single_block_helperI12hip_bfloat16lLj256ELj8ELb1EE4sortIPKS3_PS3_PKlPlEEbT_T0_T1_T2_jjjjRNS4_12storage_typeE.has_dyn_sized_stack, 0
	.set .L_ZN7rocprim17ROCPRIM_400000_NS6detail40segmented_radix_sort_single_block_helperI12hip_bfloat16lLj256ELj8ELb1EE4sortIPKS3_PS3_PKlPlEEbT_T0_T1_T2_jjjjRNS4_12storage_typeE.has_recursion, 0
	.set .L_ZN7rocprim17ROCPRIM_400000_NS6detail40segmented_radix_sort_single_block_helperI12hip_bfloat16lLj256ELj8ELb1EE4sortIPKS3_PS3_PKlPlEEbT_T0_T1_T2_jjjjRNS4_12storage_typeE.has_indirect_call, 0
	.section	.AMDGPU.csdata,"",@progbits
; Function info:
; codeLenInByte = 19148
; TotalNumSgprs: 34
; NumVgprs: 198
; ScratchSize: 0
; MemoryBound: 1
	.section	.text._ZN7rocprim17ROCPRIM_400000_NS6detail17trampoline_kernelINS0_14default_configENS1_36segmented_radix_sort_config_selectorI12hip_bfloat16lEEZNS1_25segmented_radix_sort_implIS3_Lb1EPKS5_PS5_PKlPlN2at6native12_GLOBAL__N_18offset_tEEE10hipError_tPvRmT1_PNSt15iterator_traitsISL_E10value_typeET2_T3_PNSM_ISR_E10value_typeET4_jRbjT5_SX_jjP12ihipStream_tbEUlT_E_NS1_11comp_targetILNS1_3genE10ELNS1_11target_archE1201ELNS1_3gpuE5ELNS1_3repE0EEENS1_30default_config_static_selectorELNS0_4arch9wavefront6targetE0EEEvSL_,"axG",@progbits,_ZN7rocprim17ROCPRIM_400000_NS6detail17trampoline_kernelINS0_14default_configENS1_36segmented_radix_sort_config_selectorI12hip_bfloat16lEEZNS1_25segmented_radix_sort_implIS3_Lb1EPKS5_PS5_PKlPlN2at6native12_GLOBAL__N_18offset_tEEE10hipError_tPvRmT1_PNSt15iterator_traitsISL_E10value_typeET2_T3_PNSM_ISR_E10value_typeET4_jRbjT5_SX_jjP12ihipStream_tbEUlT_E_NS1_11comp_targetILNS1_3genE10ELNS1_11target_archE1201ELNS1_3gpuE5ELNS1_3repE0EEENS1_30default_config_static_selectorELNS0_4arch9wavefront6targetE0EEEvSL_,comdat
	.globl	_ZN7rocprim17ROCPRIM_400000_NS6detail17trampoline_kernelINS0_14default_configENS1_36segmented_radix_sort_config_selectorI12hip_bfloat16lEEZNS1_25segmented_radix_sort_implIS3_Lb1EPKS5_PS5_PKlPlN2at6native12_GLOBAL__N_18offset_tEEE10hipError_tPvRmT1_PNSt15iterator_traitsISL_E10value_typeET2_T3_PNSM_ISR_E10value_typeET4_jRbjT5_SX_jjP12ihipStream_tbEUlT_E_NS1_11comp_targetILNS1_3genE10ELNS1_11target_archE1201ELNS1_3gpuE5ELNS1_3repE0EEENS1_30default_config_static_selectorELNS0_4arch9wavefront6targetE0EEEvSL_ ; -- Begin function _ZN7rocprim17ROCPRIM_400000_NS6detail17trampoline_kernelINS0_14default_configENS1_36segmented_radix_sort_config_selectorI12hip_bfloat16lEEZNS1_25segmented_radix_sort_implIS3_Lb1EPKS5_PS5_PKlPlN2at6native12_GLOBAL__N_18offset_tEEE10hipError_tPvRmT1_PNSt15iterator_traitsISL_E10value_typeET2_T3_PNSM_ISR_E10value_typeET4_jRbjT5_SX_jjP12ihipStream_tbEUlT_E_NS1_11comp_targetILNS1_3genE10ELNS1_11target_archE1201ELNS1_3gpuE5ELNS1_3repE0EEENS1_30default_config_static_selectorELNS0_4arch9wavefront6targetE0EEEvSL_
	.p2align	8
	.type	_ZN7rocprim17ROCPRIM_400000_NS6detail17trampoline_kernelINS0_14default_configENS1_36segmented_radix_sort_config_selectorI12hip_bfloat16lEEZNS1_25segmented_radix_sort_implIS3_Lb1EPKS5_PS5_PKlPlN2at6native12_GLOBAL__N_18offset_tEEE10hipError_tPvRmT1_PNSt15iterator_traitsISL_E10value_typeET2_T3_PNSM_ISR_E10value_typeET4_jRbjT5_SX_jjP12ihipStream_tbEUlT_E_NS1_11comp_targetILNS1_3genE10ELNS1_11target_archE1201ELNS1_3gpuE5ELNS1_3repE0EEENS1_30default_config_static_selectorELNS0_4arch9wavefront6targetE0EEEvSL_,@function
_ZN7rocprim17ROCPRIM_400000_NS6detail17trampoline_kernelINS0_14default_configENS1_36segmented_radix_sort_config_selectorI12hip_bfloat16lEEZNS1_25segmented_radix_sort_implIS3_Lb1EPKS5_PS5_PKlPlN2at6native12_GLOBAL__N_18offset_tEEE10hipError_tPvRmT1_PNSt15iterator_traitsISL_E10value_typeET2_T3_PNSM_ISR_E10value_typeET4_jRbjT5_SX_jjP12ihipStream_tbEUlT_E_NS1_11comp_targetILNS1_3genE10ELNS1_11target_archE1201ELNS1_3gpuE5ELNS1_3repE0EEENS1_30default_config_static_selectorELNS0_4arch9wavefront6targetE0EEEvSL_: ; @_ZN7rocprim17ROCPRIM_400000_NS6detail17trampoline_kernelINS0_14default_configENS1_36segmented_radix_sort_config_selectorI12hip_bfloat16lEEZNS1_25segmented_radix_sort_implIS3_Lb1EPKS5_PS5_PKlPlN2at6native12_GLOBAL__N_18offset_tEEE10hipError_tPvRmT1_PNSt15iterator_traitsISL_E10value_typeET2_T3_PNSM_ISR_E10value_typeET4_jRbjT5_SX_jjP12ihipStream_tbEUlT_E_NS1_11comp_targetILNS1_3genE10ELNS1_11target_archE1201ELNS1_3gpuE5ELNS1_3repE0EEENS1_30default_config_static_selectorELNS0_4arch9wavefront6targetE0EEEvSL_
; %bb.0:
	s_clause 0x1
	s_load_b64 s[8:9], s[0:1], 0x38
	s_load_b128 s[4:7], s[0:1], 0x40
	s_mov_b32 s2, ttmp9
	s_mov_b32 s3, 0
	s_mov_b32 s32, 0
	s_lshl_b64 s[2:3], s[2:3], 2
	s_wait_kmcnt 0x0
	s_add_nc_u64 s[2:3], s[8:9], s[2:3]
	s_load_b32 s2, s[2:3], 0x0
	s_wait_kmcnt 0x0
	s_add_co_i32 s33, s2, s5
	s_add_co_i32 s34, s2, s7
	s_mul_i32 s33, s33, s4
	s_mul_i32 s34, s34, s6
	s_delay_alu instid0(SALU_CYCLE_1)
	s_cmp_le_u32 s34, s33
	s_cbranch_scc1 .LBB1952_670
; %bb.1:
	s_clause 0x3
	s_load_b32 s2, s[0:1], 0x30
	s_load_b128 s[24:27], s[0:1], 0x20
	s_load_b96 s[44:46], s[0:1], 0x50
	s_load_b256 s[36:43], s[0:1], 0x0
	s_wait_kmcnt 0x0
	s_bitcmp1_b32 s2, 0
	s_mov_b32 s2, -1
	s_cselect_b32 s35, -1, 0
	s_sub_co_i32 s47, s34, s33
	s_delay_alu instid0(SALU_CYCLE_1)
	s_cmp_lt_u32 s47, 0x801
	s_cbranch_scc0 .LBB1952_7
; %bb.2:
	v_cndmask_b32_e64 v1, 0, 1, s35
	s_and_b32 s2, s44, 1
	s_delay_alu instid0(VALU_DEP_1) | instid1(SALU_CYCLE_1)
	v_cmp_ne_u32_e32 vcc_lo, s2, v1
	s_mov_b32 s2, -1
	s_cbranch_vccnz .LBB1952_4
; %bb.3:
	s_mov_b64 s[2:3], src_shared_base
	v_dual_mov_b32 v31, v0 :: v_dual_mov_b32 v40, v0
	v_dual_mov_b32 v0, s36 :: v_dual_mov_b32 v1, s37
	;; [unrolled: 1-line block ×7, first 2 shown]
	s_wait_alu 0xfffe
	v_dual_mov_b32 v12, 0 :: v_dual_mov_b32 v13, s3
	s_add_nc_u64 s[8:9], s[0:1], 0x60
	s_getpc_b64 s[4:5]
	s_sext_i32_i16 s5, s5
	s_add_co_u32 s4, s4, _ZN7rocprim17ROCPRIM_400000_NS6detail40segmented_radix_sort_single_block_helperI12hip_bfloat16lLj256ELj8ELb1EE4sortIPKS3_PS3_PKlPlEEbT_T0_T1_T2_jjjjRNS4_12storage_typeE@rel32@lo+8
	s_add_co_ci_u32 s5, s5, _ZN7rocprim17ROCPRIM_400000_NS6detail40segmented_radix_sort_single_block_helperI12hip_bfloat16lLj256ELj8ELb1EE4sortIPKS3_PS3_PKlPlEEbT_T0_T1_T2_jjjjRNS4_12storage_typeE@rel32@hi+16
	s_mov_b64 s[22:23], s[0:1]
	s_swappc_b64 s[30:31], s[4:5]
	v_mov_b32_e32 v0, v40
	s_mov_b64 s[0:1], s[22:23]
	s_mov_b32 s2, 0
.LBB1952_4:
	s_wait_alu 0xfffe
	s_and_not1_b32 vcc_lo, exec_lo, s2
	s_wait_alu 0xfffe
	s_cbranch_vccnz .LBB1952_6
; %bb.5:
	s_mov_b64 s[2:3], src_shared_base
	v_dual_mov_b32 v31, v0 :: v_dual_mov_b32 v40, v0
	v_dual_mov_b32 v0, s36 :: v_dual_mov_b32 v1, s37
	;; [unrolled: 1-line block ×7, first 2 shown]
	s_wait_alu 0xfffe
	v_dual_mov_b32 v12, 0 :: v_dual_mov_b32 v13, s3
	s_add_nc_u64 s[8:9], s[0:1], 0x60
	s_getpc_b64 s[4:5]
	s_wait_alu 0xfffe
	s_sext_i32_i16 s5, s5
	s_add_co_u32 s4, s4, _ZN7rocprim17ROCPRIM_400000_NS6detail40segmented_radix_sort_single_block_helperI12hip_bfloat16lLj256ELj8ELb1EE4sortIPKS3_PS3_PKlPlEEbT_T0_T1_T2_jjjjRNS4_12storage_typeE@rel32@lo+12
	s_wait_alu 0xfffe
	s_add_co_ci_u32 s5, s5, _ZN7rocprim17ROCPRIM_400000_NS6detail40segmented_radix_sort_single_block_helperI12hip_bfloat16lLj256ELj8ELb1EE4sortIPKS3_PS3_PKlPlEEbT_T0_T1_T2_jjjjRNS4_12storage_typeE@rel32@hi+24
	s_mov_b64 s[22:23], s[0:1]
	s_wait_alu 0xfffe
	s_swappc_b64 s[30:31], s[4:5]
	v_mov_b32_e32 v0, v40
	s_mov_b64 s[0:1], s[22:23]
.LBB1952_6:
	s_mov_b32 s2, 0
.LBB1952_7:
	s_wait_alu 0xfffe
	s_and_not1_b32 vcc_lo, exec_lo, s2
	s_wait_alu 0xfffe
	s_cbranch_vccnz .LBB1952_670
; %bb.8:
	s_cmp_ge_u32 s45, s46
	s_cbranch_scc1 .LBB1952_670
; %bb.9:
	v_dual_mov_b32 v62, 1 :: v_dual_and_b32 v1, 0x3ff, v0
	v_dual_mov_b32 v3, 0 :: v_dual_and_b32 v2, 3, v0
	v_lshrrev_b32_e32 v5, 3, v0
	s_delay_alu instid0(VALU_DEP_3)
	v_lshlrev_b32_e32 v28, 2, v1
	v_or_b32_e32 v6, 31, v1
	v_lshlrev_b32_e32 v4, 1, v1
	v_lshlrev_b32_e32 v39, 2, v2
	;; [unrolled: 1-line block ×3, first 2 shown]
	v_mad_u32_u24 v40, v1, 12, v28
	v_and_b32_e32 v38, 28, v5
	v_lshlrev_b32_e32 v5, 5, v1
	v_cmp_eq_u32_e64 s3, v1, v6
	v_and_b32_e32 v2, 0x700, v2
	v_mad_u32_u24 v43, v1, 20, v40
	v_mbcnt_lo_u32_b32 v59, -1, 0
	v_add_co_u32 v32, s2, s40, v4
	s_delay_alu instid0(VALU_DEP_4) | instskip(NEXT) | instid1(VALU_DEP_4)
	v_lshlrev_b32_e32 v6, 1, v2
	v_sub_nc_u32_e32 v46, v43, v5
	v_lshlrev_b32_e32 v5, 3, v2
	v_lshlrev_b32_e32 v69, 3, v59
	;; [unrolled: 1-line block ×3, first 2 shown]
	v_or_b32_e32 v66, v59, v2
	v_or_b32_e32 v29, 0x100, v1
	v_add_co_u32 v7, s8, s26, v5
	s_wait_alu 0xf1ff
	v_add_co_ci_u32_e64 v8, null, s27, 0, s8
	v_add_co_u32 v9, s8, s40, v6
	s_wait_alu 0xf1ff
	v_add_co_ci_u32_e64 v10, null, s41, 0, s8
	;; [unrolled: 3-line block ×6, first 2 shown]
	v_add_co_u32 v57, s8, s42, v5
	v_add_co_u32 v83, vcc_lo, v7, v69
	s_wait_alu 0xf1ff
	v_add_co_ci_u32_e64 v58, null, s43, 0, s8
	v_add_co_u32 v60, s8, s36, v6
	s_wait_alu 0xfffd
	v_add_co_ci_u32_e64 v84, null, 0, v8, vcc_lo
	v_add_co_u32 v85, vcc_lo, v9, v77
	v_or_b32_e32 v30, 0x200, v1
	v_or_b32_e32 v31, 0x300, v1
	v_add_co_ci_u32_e64 v33, null, s41, 0, s2
	v_or_b32_e32 v34, 0x400, v1
	v_or_b32_e32 v35, 0x500, v1
	;; [unrolled: 1-line block ×4, first 2 shown]
	v_cmp_gt_u32_e64 s2, 0x100, v1
	v_or_b32_e32 v41, 0x4400, v38
	v_cmp_gt_u32_e64 s4, 8, v1
	v_add_nc_u32_e32 v42, 0x4400, v28
	v_cmp_lt_u32_e64 s5, 31, v1
	v_add_nc_u32_e32 v44, 0x43fc, v38
	v_bfe_u32 v45, v0, 20, 10
	v_bfe_u32 v0, v0, 10, 10
	v_cmp_eq_u32_e64 s6, 0, v1
	v_cmp_ne_u32_e64 s7, 0xff, v1
	v_sub_nc_u32_e32 v47, v46, v4
	v_mul_u32_u24_e32 v48, 6, v1
	s_wait_alu 0xf1ff
	v_add_co_ci_u32_e64 v61, null, s37, 0, s8
	v_and_b32_e32 v63, 15, v59
	v_bfe_i32 v64, v59, 4, 1
	v_and_b32_e32 v65, 16, v59
	v_and_b32_e32 v67, 7, v59
	v_sub_co_u32 v68, s8, v59, 1
	v_or_b32_e32 v70, 32, v66
	v_or_b32_e32 v71, 64, v66
	;; [unrolled: 1-line block ×7, first 2 shown]
	v_add_nc_u32_e32 v78, 0x420, v43
	v_add_nc_u32_e32 v79, 0x428, v43
	;; [unrolled: 1-line block ×4, first 2 shown]
	v_lshlrev_b32_e32 v82, 1, v1
	s_wait_alu 0xfffd
	v_add_co_ci_u32_e64 v86, null, 0, v10, vcc_lo
	s_add_nc_u64 s[28:29], s[0:1], 0x60
	s_mov_b32 s31, 0
	s_mov_b32 s23, s45
	s_branch .LBB1952_12
.LBB1952_10:                            ;   in Loop: Header=BB1952_12 Depth=1
	s_wait_loadcnt_dscnt 0x0
	s_barrier_signal -1
	s_barrier_wait -1
.LBB1952_11:                            ;   in Loop: Header=BB1952_12 Depth=1
	s_add_co_i32 s23, s23, 8
	global_inv scope:SCOPE_SE
	s_wait_alu 0xfffe
	s_cmp_ge_u32 s23, s46
	s_cbranch_scc1 .LBB1952_670
.LBB1952_12:                            ; =>This Loop Header: Depth=1
                                        ;     Child Loop BB1952_16 Depth 2
                                        ;     Child Loop BB1952_64 Depth 2
	;; [unrolled: 1-line block ×8, first 2 shown]
	s_wait_alu 0xfffe
	s_sub_co_i32 s0, s46, s23
	s_xor_b32 s35, s35, -1
	s_wait_alu 0xfffe
	s_min_u32 s0, s0, 8
	ds_store_2addr_stride64_b32 v28, v3, v3 offset1:4
	s_wait_alu 0xfffe
	s_lshl_b32 s0, -1, s0
	ds_store_2addr_stride64_b32 v28, v3, v3 offset0:8 offset1:12
	s_wait_alu 0xfffe
	s_not_b32 s42, s0
	s_cmp_lg_u32 s23, s45
	s_mov_b32 s0, -1
	s_wait_storecnt_dscnt 0x0
	s_cbranch_scc0 .LBB1952_342
; %bb.13:                               ;   in Loop: Header=BB1952_12 Depth=1
	s_and_b32 vcc_lo, exec_lo, s35
	s_wait_alu 0xfffe
	s_cbranch_vccz .LBB1952_177
; %bb.14:                               ;   in Loop: Header=BB1952_12 Depth=1
	s_mov_b32 s9, s47
	s_mov_b32 s30, s33
	s_barrier_signal -1
	s_barrier_wait -1
	global_inv scope:SCOPE_SE
                                        ; implicit-def: $vgpr2
                                        ; implicit-def: $vgpr4
                                        ; implicit-def: $vgpr5
                                        ; implicit-def: $vgpr6
                                        ; implicit-def: $vgpr7
                                        ; implicit-def: $vgpr8
                                        ; implicit-def: $vgpr9
                                        ; implicit-def: $vgpr10
	s_branch .LBB1952_16
.LBB1952_15:                            ;   in Loop: Header=BB1952_16 Depth=2
	s_wait_alu 0xfffe
	s_or_b32 exec_lo, exec_lo, s0
	s_addk_co_i32 s9, 0xf800
	s_cmp_ge_u32 s10, s34
	s_mov_b32 s30, s10
	s_cbranch_scc1 .LBB1952_52
.LBB1952_16:                            ;   Parent Loop BB1952_12 Depth=1
                                        ; =>  This Inner Loop Header: Depth=2
	s_wait_alu 0xfffe
	s_add_co_i32 s10, s30, 0x800
	s_mov_b32 s0, -1
	s_wait_alu 0xfffe
	s_cmp_gt_u32 s10, s34
                                        ; implicit-def: $vgpr11
                                        ; implicit-def: $vgpr12
                                        ; implicit-def: $vgpr13
                                        ; implicit-def: $vgpr14
                                        ; implicit-def: $vgpr15
                                        ; implicit-def: $vgpr16
                                        ; implicit-def: $vgpr17
                                        ; implicit-def: $vgpr18
	s_cbranch_scc1 .LBB1952_18
; %bb.17:                               ;   in Loop: Header=BB1952_16 Depth=2
	s_lshl_b64 s[0:1], s[30:31], 1
	s_wait_alu 0xfffe
	v_add_co_u32 v18, vcc_lo, v32, s0
	s_wait_alu 0xfffd
	v_add_co_ci_u32_e64 v19, null, s1, v33, vcc_lo
	s_mov_b32 s0, 0
	s_clause 0x7
	global_load_u16 v11, v[18:19], off
	global_load_u16 v12, v[18:19], off offset:512
	global_load_u16 v13, v[18:19], off offset:1024
	;; [unrolled: 1-line block ×7, first 2 shown]
.LBB1952_18:                            ;   in Loop: Header=BB1952_16 Depth=2
	s_wait_alu 0xfffe
	s_and_not1_b32 vcc_lo, exec_lo, s0
	s_movk_i32 s0, 0x800
	s_wait_alu 0xfffe
	s_cbranch_vccnz .LBB1952_29
; %bb.19:                               ;   in Loop: Header=BB1952_16 Depth=2
	s_lshl_b64 s[0:1], s[30:31], 1
	s_mov_b32 s11, exec_lo
	s_wait_alu 0xfffe
	s_add_nc_u64 s[0:1], s[40:41], s[0:1]
	v_cmpx_gt_u32_e64 s9, v1
	s_cbranch_execnz .LBB1952_45
; %bb.20:                               ;   in Loop: Header=BB1952_16 Depth=2
	s_or_b32 exec_lo, exec_lo, s11
	s_delay_alu instid0(SALU_CYCLE_1)
	s_mov_b32 s11, exec_lo
	v_cmpx_gt_u32_e64 s9, v29
	s_cbranch_execnz .LBB1952_46
.LBB1952_21:                            ;   in Loop: Header=BB1952_16 Depth=2
	s_wait_alu 0xfffe
	s_or_b32 exec_lo, exec_lo, s11
	s_delay_alu instid0(SALU_CYCLE_1)
	s_mov_b32 s11, exec_lo
	v_cmpx_gt_u32_e64 s9, v30
	s_cbranch_execnz .LBB1952_47
.LBB1952_22:                            ;   in Loop: Header=BB1952_16 Depth=2
	s_wait_alu 0xfffe
	s_or_b32 exec_lo, exec_lo, s11
	s_delay_alu instid0(SALU_CYCLE_1)
	s_mov_b32 s11, exec_lo
	v_cmpx_gt_u32_e64 s9, v31
	s_cbranch_execnz .LBB1952_48
.LBB1952_23:                            ;   in Loop: Header=BB1952_16 Depth=2
	s_wait_alu 0xfffe
	s_or_b32 exec_lo, exec_lo, s11
	s_delay_alu instid0(SALU_CYCLE_1)
	s_mov_b32 s11, exec_lo
	v_cmpx_gt_u32_e64 s9, v34
	s_cbranch_execnz .LBB1952_49
.LBB1952_24:                            ;   in Loop: Header=BB1952_16 Depth=2
	s_wait_alu 0xfffe
	s_or_b32 exec_lo, exec_lo, s11
	s_delay_alu instid0(SALU_CYCLE_1)
	s_mov_b32 s11, exec_lo
	v_cmpx_gt_u32_e64 s9, v35
	s_cbranch_execnz .LBB1952_50
.LBB1952_25:                            ;   in Loop: Header=BB1952_16 Depth=2
	s_wait_alu 0xfffe
	s_or_b32 exec_lo, exec_lo, s11
	s_delay_alu instid0(SALU_CYCLE_1)
	s_mov_b32 s11, exec_lo
	v_cmpx_gt_u32_e64 s9, v36
	s_cbranch_execnz .LBB1952_51
.LBB1952_26:                            ;   in Loop: Header=BB1952_16 Depth=2
	s_wait_alu 0xfffe
	s_or_b32 exec_lo, exec_lo, s11
	s_delay_alu instid0(SALU_CYCLE_1)
	s_mov_b32 s11, exec_lo
	v_cmpx_gt_u32_e64 s9, v37
	s_cbranch_execz .LBB1952_28
.LBB1952_27:                            ;   in Loop: Header=BB1952_16 Depth=2
	global_load_u16 v2, v82, s[0:1] offset:3584
.LBB1952_28:                            ;   in Loop: Header=BB1952_16 Depth=2
	s_wait_alu 0xfffe
	s_or_b32 exec_lo, exec_lo, s11
	s_wait_loadcnt 0x0
	v_dual_mov_b32 v11, v10 :: v_dual_mov_b32 v12, v9
	v_dual_mov_b32 v13, v8 :: v_dual_mov_b32 v14, v7
	;; [unrolled: 1-line block ×4, first 2 shown]
	s_mov_b32 s0, s9
.LBB1952_29:                            ;   in Loop: Header=BB1952_16 Depth=2
	s_wait_loadcnt 0x0
	s_delay_alu instid0(VALU_DEP_1) | instskip(NEXT) | instid1(VALU_DEP_2)
	v_dual_mov_b32 v2, v18 :: v_dual_mov_b32 v5, v16
	v_dual_mov_b32 v4, v17 :: v_dual_mov_b32 v7, v14
	;; [unrolled: 1-line block ×3, first 2 shown]
	v_mov_b32_e32 v8, v13
	v_mov_b32_e32 v10, v11
	s_mov_b32 s1, exec_lo
	s_wait_alu 0xfffe
	v_cmpx_gt_u32_e64 s0, v1
	s_cbranch_execnz .LBB1952_37
; %bb.30:                               ;   in Loop: Header=BB1952_16 Depth=2
	s_or_b32 exec_lo, exec_lo, s1
	s_delay_alu instid0(SALU_CYCLE_1)
	s_mov_b32 s1, exec_lo
	v_cmpx_gt_u32_e64 s0, v29
	s_cbranch_execnz .LBB1952_38
.LBB1952_31:                            ;   in Loop: Header=BB1952_16 Depth=2
	s_wait_alu 0xfffe
	s_or_b32 exec_lo, exec_lo, s1
	s_delay_alu instid0(SALU_CYCLE_1)
	s_mov_b32 s1, exec_lo
	v_cmpx_gt_u32_e64 s0, v30
	s_cbranch_execnz .LBB1952_39
.LBB1952_32:                            ;   in Loop: Header=BB1952_16 Depth=2
	s_wait_alu 0xfffe
	s_or_b32 exec_lo, exec_lo, s1
	s_delay_alu instid0(SALU_CYCLE_1)
	s_mov_b32 s1, exec_lo
	v_cmpx_gt_u32_e64 s0, v31
	s_cbranch_execnz .LBB1952_40
.LBB1952_33:                            ;   in Loop: Header=BB1952_16 Depth=2
	s_wait_alu 0xfffe
	s_or_b32 exec_lo, exec_lo, s1
	s_delay_alu instid0(SALU_CYCLE_1)
	s_mov_b32 s1, exec_lo
	v_cmpx_gt_u32_e64 s0, v34
	s_cbranch_execnz .LBB1952_41
.LBB1952_34:                            ;   in Loop: Header=BB1952_16 Depth=2
	s_wait_alu 0xfffe
	s_or_b32 exec_lo, exec_lo, s1
	s_delay_alu instid0(SALU_CYCLE_1)
	s_mov_b32 s1, exec_lo
	v_cmpx_gt_u32_e64 s0, v35
	s_cbranch_execnz .LBB1952_42
.LBB1952_35:                            ;   in Loop: Header=BB1952_16 Depth=2
	s_wait_alu 0xfffe
	s_or_b32 exec_lo, exec_lo, s1
	s_delay_alu instid0(SALU_CYCLE_1)
	s_mov_b32 s1, exec_lo
	v_cmpx_gt_u32_e64 s0, v36
	s_cbranch_execnz .LBB1952_43
.LBB1952_36:                            ;   in Loop: Header=BB1952_16 Depth=2
	s_wait_alu 0xfffe
	s_or_b32 exec_lo, exec_lo, s1
	v_cmp_gt_u32_e32 vcc_lo, s0, v37
	s_and_saveexec_b32 s0, vcc_lo
	s_cbranch_execz .LBB1952_15
	s_branch .LBB1952_44
.LBB1952_37:                            ;   in Loop: Header=BB1952_16 Depth=2
	v_cmp_gt_i16_e32 vcc_lo, 0, v10
	s_wait_alu 0xfffd
	v_cndmask_b32_e64 v11, 0x7fff, 0, vcc_lo
	s_delay_alu instid0(VALU_DEP_1) | instskip(NEXT) | instid1(VALU_DEP_1)
	v_xor_b32_e32 v11, v11, v10
	v_cmp_ne_u16_e32 vcc_lo, 0x8000, v11
	s_wait_alu 0xfffd
	v_cndmask_b32_e32 v11, 0x7fff, v11, vcc_lo
	s_delay_alu instid0(VALU_DEP_1) | instskip(NEXT) | instid1(VALU_DEP_1)
	v_and_b32_e32 v11, 0xffff, v11
	v_lshrrev_b32_e32 v11, s23, v11
	s_delay_alu instid0(VALU_DEP_1) | instskip(NEXT) | instid1(VALU_DEP_1)
	v_and_b32_e32 v11, s42, v11
	v_lshl_or_b32 v11, v11, 4, v39
	ds_add_u32 v11, v62
	s_or_b32 exec_lo, exec_lo, s1
	s_delay_alu instid0(SALU_CYCLE_1)
	s_mov_b32 s1, exec_lo
	v_cmpx_gt_u32_e64 s0, v29
	s_cbranch_execz .LBB1952_31
.LBB1952_38:                            ;   in Loop: Header=BB1952_16 Depth=2
	v_cmp_gt_i16_e32 vcc_lo, 0, v9
	s_wait_alu 0xfffd
	v_cndmask_b32_e64 v11, 0x7fff, 0, vcc_lo
	s_delay_alu instid0(VALU_DEP_1) | instskip(NEXT) | instid1(VALU_DEP_1)
	v_xor_b32_e32 v11, v11, v9
	v_cmp_ne_u16_e32 vcc_lo, 0x8000, v11
	s_wait_alu 0xfffd
	v_cndmask_b32_e32 v11, 0x7fff, v11, vcc_lo
	s_delay_alu instid0(VALU_DEP_1) | instskip(NEXT) | instid1(VALU_DEP_1)
	v_and_b32_e32 v11, 0xffff, v11
	v_lshrrev_b32_e32 v11, s23, v11
	s_delay_alu instid0(VALU_DEP_1) | instskip(NEXT) | instid1(VALU_DEP_1)
	v_and_b32_e32 v11, s42, v11
	v_lshl_or_b32 v11, v11, 4, v39
	ds_add_u32 v11, v62
	s_wait_alu 0xfffe
	s_or_b32 exec_lo, exec_lo, s1
	s_delay_alu instid0(SALU_CYCLE_1)
	s_mov_b32 s1, exec_lo
	v_cmpx_gt_u32_e64 s0, v30
	s_cbranch_execz .LBB1952_32
.LBB1952_39:                            ;   in Loop: Header=BB1952_16 Depth=2
	v_cmp_gt_i16_e32 vcc_lo, 0, v8
	s_wait_alu 0xfffd
	v_cndmask_b32_e64 v11, 0x7fff, 0, vcc_lo
	s_delay_alu instid0(VALU_DEP_1) | instskip(NEXT) | instid1(VALU_DEP_1)
	v_xor_b32_e32 v11, v11, v8
	v_cmp_ne_u16_e32 vcc_lo, 0x8000, v11
	s_wait_alu 0xfffd
	v_cndmask_b32_e32 v11, 0x7fff, v11, vcc_lo
	s_delay_alu instid0(VALU_DEP_1) | instskip(NEXT) | instid1(VALU_DEP_1)
	v_and_b32_e32 v11, 0xffff, v11
	v_lshrrev_b32_e32 v11, s23, v11
	s_delay_alu instid0(VALU_DEP_1) | instskip(NEXT) | instid1(VALU_DEP_1)
	v_and_b32_e32 v11, s42, v11
	v_lshl_or_b32 v11, v11, 4, v39
	ds_add_u32 v11, v62
	s_wait_alu 0xfffe
	s_or_b32 exec_lo, exec_lo, s1
	s_delay_alu instid0(SALU_CYCLE_1)
	s_mov_b32 s1, exec_lo
	v_cmpx_gt_u32_e64 s0, v31
	s_cbranch_execz .LBB1952_33
.LBB1952_40:                            ;   in Loop: Header=BB1952_16 Depth=2
	v_cmp_gt_i16_e32 vcc_lo, 0, v7
	s_wait_alu 0xfffd
	v_cndmask_b32_e64 v11, 0x7fff, 0, vcc_lo
	s_delay_alu instid0(VALU_DEP_1) | instskip(NEXT) | instid1(VALU_DEP_1)
	v_xor_b32_e32 v11, v11, v7
	v_cmp_ne_u16_e32 vcc_lo, 0x8000, v11
	s_wait_alu 0xfffd
	v_cndmask_b32_e32 v11, 0x7fff, v11, vcc_lo
	s_delay_alu instid0(VALU_DEP_1) | instskip(NEXT) | instid1(VALU_DEP_1)
	v_and_b32_e32 v11, 0xffff, v11
	v_lshrrev_b32_e32 v11, s23, v11
	s_delay_alu instid0(VALU_DEP_1) | instskip(NEXT) | instid1(VALU_DEP_1)
	v_and_b32_e32 v11, s42, v11
	v_lshl_or_b32 v11, v11, 4, v39
	ds_add_u32 v11, v62
	s_wait_alu 0xfffe
	s_or_b32 exec_lo, exec_lo, s1
	s_delay_alu instid0(SALU_CYCLE_1)
	s_mov_b32 s1, exec_lo
	v_cmpx_gt_u32_e64 s0, v34
	s_cbranch_execz .LBB1952_34
.LBB1952_41:                            ;   in Loop: Header=BB1952_16 Depth=2
	v_cmp_gt_i16_e32 vcc_lo, 0, v6
	s_wait_alu 0xfffd
	v_cndmask_b32_e64 v11, 0x7fff, 0, vcc_lo
	s_delay_alu instid0(VALU_DEP_1) | instskip(NEXT) | instid1(VALU_DEP_1)
	v_xor_b32_e32 v11, v11, v6
	v_cmp_ne_u16_e32 vcc_lo, 0x8000, v11
	s_wait_alu 0xfffd
	v_cndmask_b32_e32 v11, 0x7fff, v11, vcc_lo
	s_delay_alu instid0(VALU_DEP_1) | instskip(NEXT) | instid1(VALU_DEP_1)
	v_and_b32_e32 v11, 0xffff, v11
	v_lshrrev_b32_e32 v11, s23, v11
	s_delay_alu instid0(VALU_DEP_1) | instskip(NEXT) | instid1(VALU_DEP_1)
	v_and_b32_e32 v11, s42, v11
	v_lshl_or_b32 v11, v11, 4, v39
	ds_add_u32 v11, v62
	s_wait_alu 0xfffe
	s_or_b32 exec_lo, exec_lo, s1
	s_delay_alu instid0(SALU_CYCLE_1)
	s_mov_b32 s1, exec_lo
	v_cmpx_gt_u32_e64 s0, v35
	s_cbranch_execz .LBB1952_35
.LBB1952_42:                            ;   in Loop: Header=BB1952_16 Depth=2
	v_cmp_gt_i16_e32 vcc_lo, 0, v5
	s_wait_alu 0xfffd
	v_cndmask_b32_e64 v11, 0x7fff, 0, vcc_lo
	s_delay_alu instid0(VALU_DEP_1) | instskip(NEXT) | instid1(VALU_DEP_1)
	v_xor_b32_e32 v11, v11, v5
	v_cmp_ne_u16_e32 vcc_lo, 0x8000, v11
	s_wait_alu 0xfffd
	v_cndmask_b32_e32 v11, 0x7fff, v11, vcc_lo
	s_delay_alu instid0(VALU_DEP_1) | instskip(NEXT) | instid1(VALU_DEP_1)
	v_and_b32_e32 v11, 0xffff, v11
	v_lshrrev_b32_e32 v11, s23, v11
	s_delay_alu instid0(VALU_DEP_1) | instskip(NEXT) | instid1(VALU_DEP_1)
	v_and_b32_e32 v11, s42, v11
	v_lshl_or_b32 v11, v11, 4, v39
	ds_add_u32 v11, v62
	s_wait_alu 0xfffe
	s_or_b32 exec_lo, exec_lo, s1
	s_delay_alu instid0(SALU_CYCLE_1)
	s_mov_b32 s1, exec_lo
	v_cmpx_gt_u32_e64 s0, v36
	s_cbranch_execz .LBB1952_36
.LBB1952_43:                            ;   in Loop: Header=BB1952_16 Depth=2
	v_cmp_gt_i16_e32 vcc_lo, 0, v4
	s_wait_alu 0xfffd
	v_cndmask_b32_e64 v11, 0x7fff, 0, vcc_lo
	s_delay_alu instid0(VALU_DEP_1) | instskip(NEXT) | instid1(VALU_DEP_1)
	v_xor_b32_e32 v11, v11, v4
	v_cmp_ne_u16_e32 vcc_lo, 0x8000, v11
	s_wait_alu 0xfffd
	v_cndmask_b32_e32 v11, 0x7fff, v11, vcc_lo
	s_delay_alu instid0(VALU_DEP_1) | instskip(NEXT) | instid1(VALU_DEP_1)
	v_and_b32_e32 v11, 0xffff, v11
	v_lshrrev_b32_e32 v11, s23, v11
	s_delay_alu instid0(VALU_DEP_1) | instskip(NEXT) | instid1(VALU_DEP_1)
	v_and_b32_e32 v11, s42, v11
	v_lshl_or_b32 v11, v11, 4, v39
	ds_add_u32 v11, v62
	s_wait_alu 0xfffe
	s_or_b32 exec_lo, exec_lo, s1
	v_cmp_gt_u32_e32 vcc_lo, s0, v37
	s_and_saveexec_b32 s0, vcc_lo
	s_cbranch_execz .LBB1952_15
.LBB1952_44:                            ;   in Loop: Header=BB1952_16 Depth=2
	v_cmp_gt_i16_e32 vcc_lo, 0, v2
	s_wait_alu 0xfffd
	v_cndmask_b32_e64 v11, 0x7fff, 0, vcc_lo
	s_delay_alu instid0(VALU_DEP_1) | instskip(NEXT) | instid1(VALU_DEP_1)
	v_xor_b32_e32 v11, v11, v2
	v_cmp_ne_u16_e32 vcc_lo, 0x8000, v11
	s_wait_alu 0xfffd
	v_cndmask_b32_e32 v11, 0x7fff, v11, vcc_lo
	s_delay_alu instid0(VALU_DEP_1) | instskip(NEXT) | instid1(VALU_DEP_1)
	v_and_b32_e32 v11, 0xffff, v11
	v_lshrrev_b32_e32 v11, s23, v11
	s_delay_alu instid0(VALU_DEP_1) | instskip(NEXT) | instid1(VALU_DEP_1)
	v_and_b32_e32 v11, s42, v11
	v_lshl_or_b32 v11, v11, 4, v39
	ds_add_u32 v11, v62
	s_branch .LBB1952_15
.LBB1952_45:                            ;   in Loop: Header=BB1952_16 Depth=2
	global_load_u16 v10, v82, s[0:1]
	s_or_b32 exec_lo, exec_lo, s11
	s_delay_alu instid0(SALU_CYCLE_1)
	s_mov_b32 s11, exec_lo
	v_cmpx_gt_u32_e64 s9, v29
	s_cbranch_execz .LBB1952_21
.LBB1952_46:                            ;   in Loop: Header=BB1952_16 Depth=2
	global_load_u16 v9, v82, s[0:1] offset:512
	s_wait_alu 0xfffe
	s_or_b32 exec_lo, exec_lo, s11
	s_delay_alu instid0(SALU_CYCLE_1)
	s_mov_b32 s11, exec_lo
	v_cmpx_gt_u32_e64 s9, v30
	s_cbranch_execz .LBB1952_22
.LBB1952_47:                            ;   in Loop: Header=BB1952_16 Depth=2
	global_load_u16 v8, v82, s[0:1] offset:1024
	s_wait_alu 0xfffe
	s_or_b32 exec_lo, exec_lo, s11
	s_delay_alu instid0(SALU_CYCLE_1)
	s_mov_b32 s11, exec_lo
	v_cmpx_gt_u32_e64 s9, v31
	s_cbranch_execz .LBB1952_23
.LBB1952_48:                            ;   in Loop: Header=BB1952_16 Depth=2
	global_load_u16 v7, v82, s[0:1] offset:1536
	s_wait_alu 0xfffe
	s_or_b32 exec_lo, exec_lo, s11
	s_delay_alu instid0(SALU_CYCLE_1)
	s_mov_b32 s11, exec_lo
	v_cmpx_gt_u32_e64 s9, v34
	s_cbranch_execz .LBB1952_24
.LBB1952_49:                            ;   in Loop: Header=BB1952_16 Depth=2
	global_load_u16 v6, v82, s[0:1] offset:2048
	s_wait_alu 0xfffe
	s_or_b32 exec_lo, exec_lo, s11
	s_delay_alu instid0(SALU_CYCLE_1)
	s_mov_b32 s11, exec_lo
	v_cmpx_gt_u32_e64 s9, v35
	s_cbranch_execz .LBB1952_25
.LBB1952_50:                            ;   in Loop: Header=BB1952_16 Depth=2
	global_load_u16 v5, v82, s[0:1] offset:2560
	s_wait_alu 0xfffe
	s_or_b32 exec_lo, exec_lo, s11
	s_delay_alu instid0(SALU_CYCLE_1)
	s_mov_b32 s11, exec_lo
	v_cmpx_gt_u32_e64 s9, v36
	s_cbranch_execz .LBB1952_26
.LBB1952_51:                            ;   in Loop: Header=BB1952_16 Depth=2
	global_load_u16 v4, v82, s[0:1] offset:3072
	s_wait_alu 0xfffe
	s_or_b32 exec_lo, exec_lo, s11
	s_delay_alu instid0(SALU_CYCLE_1)
	s_mov_b32 s11, exec_lo
	v_cmpx_gt_u32_e64 s9, v37
	s_cbranch_execnz .LBB1952_27
	s_branch .LBB1952_28
.LBB1952_52:                            ;   in Loop: Header=BB1952_12 Depth=1
	v_mov_b32_e32 v2, 0
	s_wait_dscnt 0x0
	s_barrier_signal -1
	s_barrier_wait -1
	global_inv scope:SCOPE_SE
	s_and_saveexec_b32 s0, s2
	s_cbranch_execz .LBB1952_54
; %bb.53:                               ;   in Loop: Header=BB1952_12 Depth=1
	ds_load_2addr_b64 v[4:7], v40 offset1:1
	s_wait_dscnt 0x0
	v_add_nc_u32_e32 v2, v5, v4
	s_delay_alu instid0(VALU_DEP_1)
	v_add3_u32 v2, v2, v6, v7
.LBB1952_54:                            ;   in Loop: Header=BB1952_12 Depth=1
	s_wait_alu 0xfffe
	s_or_b32 exec_lo, exec_lo, s0
	s_delay_alu instid0(VALU_DEP_1)
	v_mov_b32_dpp v4, v2 row_shr:1 row_mask:0xf bank_mask:0xf
	v_cmp_eq_u32_e64 s0, 0, v63
	v_cmp_lt_u32_e64 s1, 1, v63
	v_cmp_lt_u32_e64 s9, 3, v63
	v_cmp_lt_u32_e64 s10, 7, v63
	v_cmp_eq_u32_e64 s11, 0, v65
	s_wait_alu 0xf1ff
	v_cndmask_b32_e64 v4, v4, 0, s0
	s_delay_alu instid0(VALU_DEP_1) | instskip(NEXT) | instid1(VALU_DEP_1)
	v_add_nc_u32_e32 v2, v4, v2
	v_mov_b32_dpp v4, v2 row_shr:2 row_mask:0xf bank_mask:0xf
	s_delay_alu instid0(VALU_DEP_1) | instskip(NEXT) | instid1(VALU_DEP_1)
	v_cndmask_b32_e64 v4, 0, v4, s1
	v_add_nc_u32_e32 v2, v2, v4
	s_delay_alu instid0(VALU_DEP_1) | instskip(NEXT) | instid1(VALU_DEP_1)
	v_mov_b32_dpp v4, v2 row_shr:4 row_mask:0xf bank_mask:0xf
	v_cndmask_b32_e64 v4, 0, v4, s9
	s_delay_alu instid0(VALU_DEP_1) | instskip(NEXT) | instid1(VALU_DEP_1)
	v_add_nc_u32_e32 v2, v2, v4
	v_mov_b32_dpp v4, v2 row_shr:8 row_mask:0xf bank_mask:0xf
	s_delay_alu instid0(VALU_DEP_1) | instskip(NEXT) | instid1(VALU_DEP_1)
	v_cndmask_b32_e64 v4, 0, v4, s10
	v_add_nc_u32_e32 v2, v2, v4
	ds_swizzle_b32 v4, v2 offset:swizzle(BROADCAST,32,15)
	s_wait_dscnt 0x0
	v_and_b32_e32 v4, v64, v4
	s_delay_alu instid0(VALU_DEP_1)
	v_add_nc_u32_e32 v2, v2, v4
	s_and_saveexec_b32 s12, s3
; %bb.55:                               ;   in Loop: Header=BB1952_12 Depth=1
	ds_store_b32 v41, v2
; %bb.56:                               ;   in Loop: Header=BB1952_12 Depth=1
	s_wait_alu 0xfffe
	s_or_b32 exec_lo, exec_lo, s12
	s_wait_loadcnt_dscnt 0x0
	s_barrier_signal -1
	s_barrier_wait -1
	global_inv scope:SCOPE_SE
	s_and_saveexec_b32 s12, s4
	s_cbranch_execz .LBB1952_58
; %bb.57:                               ;   in Loop: Header=BB1952_12 Depth=1
	ds_load_b32 v4, v42
	v_cmp_ne_u32_e32 vcc_lo, 0, v67
	s_wait_dscnt 0x0
	v_mov_b32_dpp v5, v4 row_shr:1 row_mask:0xf bank_mask:0xf
	s_wait_alu 0xfffd
	s_delay_alu instid0(VALU_DEP_1) | instskip(SKIP_1) | instid1(VALU_DEP_2)
	v_cndmask_b32_e32 v5, 0, v5, vcc_lo
	v_cmp_lt_u32_e32 vcc_lo, 1, v67
	v_add_nc_u32_e32 v4, v5, v4
	s_delay_alu instid0(VALU_DEP_1) | instskip(SKIP_1) | instid1(VALU_DEP_1)
	v_mov_b32_dpp v5, v4 row_shr:2 row_mask:0xf bank_mask:0xf
	s_wait_alu 0xfffd
	v_cndmask_b32_e32 v5, 0, v5, vcc_lo
	v_cmp_lt_u32_e32 vcc_lo, 3, v67
	s_delay_alu instid0(VALU_DEP_2) | instskip(NEXT) | instid1(VALU_DEP_1)
	v_add_nc_u32_e32 v4, v4, v5
	v_mov_b32_dpp v5, v4 row_shr:4 row_mask:0xf bank_mask:0xf
	s_wait_alu 0xfffd
	s_delay_alu instid0(VALU_DEP_1) | instskip(NEXT) | instid1(VALU_DEP_1)
	v_cndmask_b32_e32 v5, 0, v5, vcc_lo
	v_add_nc_u32_e32 v4, v4, v5
	ds_store_b32 v42, v4
.LBB1952_58:                            ;   in Loop: Header=BB1952_12 Depth=1
	s_wait_alu 0xfffe
	s_or_b32 exec_lo, exec_lo, s12
	v_mov_b32_e32 v4, 0
	s_wait_loadcnt_dscnt 0x0
	s_barrier_signal -1
	s_barrier_wait -1
	global_inv scope:SCOPE_SE
	s_and_saveexec_b32 s12, s5
; %bb.59:                               ;   in Loop: Header=BB1952_12 Depth=1
	ds_load_b32 v4, v44
; %bb.60:                               ;   in Loop: Header=BB1952_12 Depth=1
	s_wait_alu 0xfffe
	s_or_b32 exec_lo, exec_lo, s12
	v_cmp_gt_i32_e32 vcc_lo, 0, v68
	s_wait_dscnt 0x0
	v_add_nc_u32_e32 v2, v4, v2
	s_wait_loadcnt 0x0
	s_barrier_signal -1
	s_barrier_wait -1
	s_wait_alu 0xfffd
	v_cndmask_b32_e32 v5, v68, v59, vcc_lo
	global_inv scope:SCOPE_SE
	v_lshlrev_b32_e32 v87, 2, v5
	ds_bpermute_b32 v2, v87, v2
	s_and_saveexec_b32 s12, s2
	s_cbranch_execz .LBB1952_62
; %bb.61:                               ;   in Loop: Header=BB1952_12 Depth=1
	s_wait_dscnt 0x0
	v_cndmask_b32_e64 v2, v2, v4, s8
	s_delay_alu instid0(VALU_DEP_1)
	v_add_nc_u32_e32 v2, s33, v2
	ds_store_b32 v28, v2
.LBB1952_62:                            ;   in Loop: Header=BB1952_12 Depth=1
	s_wait_alu 0xfffe
	s_or_b32 exec_lo, exec_lo, s12
	s_clause 0x1
	s_load_b32 s12, s[28:29], 0x4
	s_load_b32 s14, s[28:29], 0xc
	s_mov_b32 s43, s47
                                        ; implicit-def: $vgpr6_vgpr7
                                        ; implicit-def: $vgpr8_vgpr9
                                        ; implicit-def: $vgpr10_vgpr11
                                        ; implicit-def: $vgpr12_vgpr13
                                        ; implicit-def: $vgpr14_vgpr15
                                        ; implicit-def: $vgpr16_vgpr17
                                        ; implicit-def: $vgpr18_vgpr19
                                        ; implicit-def: $vgpr89
                                        ; implicit-def: $vgpr90
                                        ; implicit-def: $vgpr91
                                        ; implicit-def: $vgpr92
                                        ; implicit-def: $vgpr93
                                        ; implicit-def: $vgpr94
                                        ; implicit-def: $vgpr95
                                        ; implicit-def: $vgpr96
	s_wait_kmcnt 0x0
	s_cmp_lt_u32 ttmp7, s12
	s_cselect_b32 s30, 14, 20
	s_wait_alu 0xfffe
	s_add_nc_u64 s[12:13], s[28:29], s[30:31]
	s_mov_b32 s30, s33
	s_load_u16 s12, s[12:13], 0x0
	v_cmp_lt_u32_e64 s13, 1, v67
	s_wait_dscnt 0x0
	s_wait_kmcnt 0x0
	v_mad_u32_u24 v2, v45, s12, v0
	s_and_b32 s12, s14, 0xffff
	v_cmp_lt_u32_e64 s14, 3, v67
	s_wait_alu 0xfffe
	s_delay_alu instid0(VALU_DEP_2) | instskip(SKIP_1) | instid1(VALU_DEP_2)
	v_mad_co_u64_u32 v[4:5], null, v2, s12, v[1:2]
	v_cmp_eq_u32_e64 s12, 0, v67
	v_lshrrev_b32_e32 v2, 3, v4
                                        ; implicit-def: $vgpr4_vgpr5
	s_delay_alu instid0(VALU_DEP_1)
	v_and_b32_e32 v88, 0x1ffffffc, v2
	s_branch .LBB1952_64
.LBB1952_63:                            ;   in Loop: Header=BB1952_64 Depth=2
	s_wait_alu 0xfffe
	s_or_b32 exec_lo, exec_lo, s15
	s_addk_co_i32 s43, 0xf800
	s_cmp_lt_u32 s44, s34
	s_mov_b32 s30, s44
	s_cbranch_scc0 .LBB1952_176
.LBB1952_64:                            ;   Parent Loop BB1952_12 Depth=1
                                        ; =>  This Inner Loop Header: Depth=2
	s_wait_alu 0xfffe
	s_add_co_i32 s44, s30, 0x800
	s_wait_alu 0xfffe
	s_cmp_gt_u32 s44, s34
	s_cbranch_scc1 .LBB1952_66
; %bb.65:                               ;   in Loop: Header=BB1952_64 Depth=2
	s_lshl_b64 s[16:17], s[30:31], 1
	s_mov_b32 s15, -1
	s_wait_alu 0xfffe
	v_add_co_u32 v20, vcc_lo, v85, s16
	s_wait_alu 0xfffd
	v_add_co_ci_u32_e64 v21, null, s17, v86, vcc_lo
	s_clause 0x6
	global_load_u16 v2, v[20:21], off
	global_load_u16 v27, v[20:21], off offset:64
	global_load_u16 v26, v[20:21], off offset:128
	;; [unrolled: 1-line block ×6, first 2 shown]
	s_movk_i32 s16, 0x800
	s_cbranch_execz .LBB1952_67
	s_branch .LBB1952_82
.LBB1952_66:                            ;   in Loop: Header=BB1952_64 Depth=2
	s_mov_b32 s15, 0
                                        ; implicit-def: $vgpr2
                                        ; implicit-def: $vgpr27
                                        ; implicit-def: $vgpr26
                                        ; implicit-def: $vgpr25
                                        ; implicit-def: $vgpr24
                                        ; implicit-def: $vgpr23
                                        ; implicit-def: $vgpr22
	s_movk_i32 s16, 0x800
.LBB1952_67:                            ;   in Loop: Header=BB1952_64 Depth=2
	s_lshl_b64 s[16:17], s[30:31], 1
	s_wait_loadcnt 0x5
	v_dual_mov_b32 v27, -1 :: v_dual_mov_b32 v2, -1
	s_wait_alu 0xfffe
	v_add_co_u32 v20, vcc_lo, v85, s16
	s_wait_alu 0xfffd
	v_add_co_ci_u32_e64 v21, null, s17, v86, vcc_lo
	s_mov_b32 s15, exec_lo
	v_cmpx_gt_u32_e64 s43, v66
	s_cbranch_execz .LBB1952_69
; %bb.68:                               ;   in Loop: Header=BB1952_64 Depth=2
	global_load_u16 v2, v[20:21], off
.LBB1952_69:                            ;   in Loop: Header=BB1952_64 Depth=2
	s_wait_alu 0xfffe
	s_or_b32 exec_lo, exec_lo, s15
	s_delay_alu instid0(SALU_CYCLE_1)
	s_mov_b32 s15, exec_lo
	v_cmpx_gt_u32_e64 s43, v70
	s_cbranch_execz .LBB1952_71
; %bb.70:                               ;   in Loop: Header=BB1952_64 Depth=2
	global_load_u16 v27, v[20:21], off offset:64
.LBB1952_71:                            ;   in Loop: Header=BB1952_64 Depth=2
	s_wait_alu 0xfffe
	s_or_b32 exec_lo, exec_lo, s15
	s_wait_loadcnt 0x3
	v_dual_mov_b32 v25, -1 :: v_dual_mov_b32 v26, -1
	s_mov_b32 s15, exec_lo
	v_cmpx_gt_u32_e64 s43, v71
	s_cbranch_execz .LBB1952_73
; %bb.72:                               ;   in Loop: Header=BB1952_64 Depth=2
	global_load_u16 v26, v[20:21], off offset:128
.LBB1952_73:                            ;   in Loop: Header=BB1952_64 Depth=2
	s_wait_alu 0xfffe
	s_or_b32 exec_lo, exec_lo, s15
	s_delay_alu instid0(SALU_CYCLE_1)
	s_mov_b32 s15, exec_lo
	v_cmpx_gt_u32_e64 s43, v72
	s_cbranch_execz .LBB1952_75
; %bb.74:                               ;   in Loop: Header=BB1952_64 Depth=2
	global_load_u16 v25, v[20:21], off offset:192
.LBB1952_75:                            ;   in Loop: Header=BB1952_64 Depth=2
	s_wait_alu 0xfffe
	s_or_b32 exec_lo, exec_lo, s15
	s_wait_loadcnt 0x1
	v_dual_mov_b32 v23, -1 :: v_dual_mov_b32 v24, -1
	s_mov_b32 s15, exec_lo
	v_cmpx_gt_u32_e64 s43, v73
	s_cbranch_execz .LBB1952_77
; %bb.76:                               ;   in Loop: Header=BB1952_64 Depth=2
	global_load_u16 v24, v[20:21], off offset:256
.LBB1952_77:                            ;   in Loop: Header=BB1952_64 Depth=2
	s_wait_alu 0xfffe
	s_or_b32 exec_lo, exec_lo, s15
	s_delay_alu instid0(SALU_CYCLE_1)
	s_mov_b32 s15, exec_lo
	v_cmpx_gt_u32_e64 s43, v74
	s_cbranch_execz .LBB1952_79
; %bb.78:                               ;   in Loop: Header=BB1952_64 Depth=2
	global_load_u16 v23, v[20:21], off offset:320
.LBB1952_79:                            ;   in Loop: Header=BB1952_64 Depth=2
	s_wait_alu 0xfffe
	s_or_b32 exec_lo, exec_lo, s15
	s_wait_loadcnt 0x0
	v_mov_b32_e32 v22, -1
	s_mov_b32 s15, exec_lo
	v_cmpx_gt_u32_e64 s43, v75
	s_cbranch_execz .LBB1952_81
; %bb.80:                               ;   in Loop: Header=BB1952_64 Depth=2
	global_load_u16 v22, v[20:21], off offset:384
.LBB1952_81:                            ;   in Loop: Header=BB1952_64 Depth=2
	s_wait_alu 0xfffe
	s_or_b32 exec_lo, exec_lo, s15
	v_cmp_gt_u32_e64 s15, s43, v76
	s_sub_co_i32 s16, s34, s30
.LBB1952_82:                            ;   in Loop: Header=BB1952_64 Depth=2
	v_dual_mov_b32 v20, -1 :: v_dual_mov_b32 v97, s43
	s_and_saveexec_b32 s17, s15
	s_cbranch_execz .LBB1952_84
; %bb.83:                               ;   in Loop: Header=BB1952_64 Depth=2
	s_lshl_b64 s[18:19], s[30:31], 1
	s_wait_alu 0xfffe
	v_mov_b32_e32 v97, s16
	v_add_co_u32 v20, vcc_lo, v85, s18
	s_wait_alu 0xfffd
	v_add_co_ci_u32_e64 v21, null, s19, v86, vcc_lo
	global_load_u16 v20, v[20:21], off offset:448
.LBB1952_84:                            ;   in Loop: Header=BB1952_64 Depth=2
	s_wait_alu 0xfffe
	s_or_b32 exec_lo, exec_lo, s17
	s_wait_loadcnt 0x6
	v_cmp_gt_i16_e32 vcc_lo, 0, v2
	ds_store_2addr_b32 v81, v3, v3 offset1:1
	ds_store_2addr_b32 v78, v3, v3 offset1:1
	ds_store_2addr_b32 v79, v3, v3 offset1:1
	ds_store_2addr_b32 v80, v3, v3 offset1:1
	ds_store_b32 v43, v3 offset:1088
	s_wait_loadcnt_dscnt 0x0
	s_barrier_signal -1
	s_wait_alu 0xfffd
	v_cndmask_b32_e64 v21, 0x7fff, 0, vcc_lo
	s_barrier_wait -1
	global_inv scope:SCOPE_SE
	; wave barrier
	v_xor_b32_e32 v2, v21, v2
	s_delay_alu instid0(VALU_DEP_1) | instskip(SKIP_2) | instid1(VALU_DEP_1)
	v_cmp_ne_u16_e32 vcc_lo, 0x8000, v2
	s_wait_alu 0xfffd
	v_cndmask_b32_e32 v21, 0x7fff, v2, vcc_lo
	v_and_b32_e32 v21, 0xffff, v21
	s_delay_alu instid0(VALU_DEP_1) | instskip(NEXT) | instid1(VALU_DEP_1)
	v_lshrrev_b32_e32 v21, s23, v21
	v_and_b32_e32 v99, s42, v21
	s_delay_alu instid0(VALU_DEP_1)
	v_and_b32_e32 v21, 1, v99
	v_lshlrev_b32_e32 v98, 30, v99
	v_lshlrev_b32_e32 v100, 29, v99
	v_lshlrev_b32_e32 v101, 28, v99
	v_lshlrev_b32_e32 v103, 27, v99
	v_add_co_u32 v21, s15, v21, -1
	s_wait_alu 0xf1ff
	v_cndmask_b32_e64 v102, 0, 1, s15
	v_not_b32_e32 v106, v98
	v_cmp_gt_i32_e64 s15, 0, v98
	v_not_b32_e32 v98, v100
	v_lshlrev_b32_e32 v104, 26, v99
	v_cmp_ne_u32_e32 vcc_lo, 0, v102
	v_ashrrev_i32_e32 v106, 31, v106
	v_lshlrev_b32_e32 v105, 25, v99
	v_ashrrev_i32_e32 v98, 31, v98
	v_lshlrev_b32_e32 v102, 24, v99
	s_wait_alu 0xfffd
	v_xor_b32_e32 v21, vcc_lo, v21
	v_cmp_gt_i32_e32 vcc_lo, 0, v100
	v_not_b32_e32 v100, v101
	s_wait_alu 0xf1ff
	v_xor_b32_e32 v106, s15, v106
	v_cmp_gt_i32_e64 s15, 0, v101
	v_and_b32_e32 v21, exec_lo, v21
	v_not_b32_e32 v101, v103
	v_ashrrev_i32_e32 v100, 31, v100
	s_wait_alu 0xfffd
	v_xor_b32_e32 v98, vcc_lo, v98
	v_cmp_gt_i32_e32 vcc_lo, 0, v103
	v_and_b32_e32 v21, v21, v106
	v_not_b32_e32 v103, v104
	v_ashrrev_i32_e32 v101, 31, v101
	s_wait_alu 0xf1ff
	v_xor_b32_e32 v100, s15, v100
	v_cmp_gt_i32_e64 s15, 0, v104
	v_and_b32_e32 v21, v21, v98
	v_not_b32_e32 v98, v105
	v_ashrrev_i32_e32 v103, 31, v103
	s_wait_alu 0xfffd
	v_xor_b32_e32 v101, vcc_lo, v101
	v_cmp_gt_i32_e32 vcc_lo, 0, v105
	v_and_b32_e32 v21, v21, v100
	v_not_b32_e32 v100, v102
	v_ashrrev_i32_e32 v98, 31, v98
	s_wait_alu 0xf1ff
	v_xor_b32_e32 v103, s15, v103
	v_cmp_gt_i32_e64 s15, 0, v102
	v_and_b32_e32 v21, v21, v101
	v_ashrrev_i32_e32 v100, 31, v100
	s_wait_alu 0xfffd
	v_xor_b32_e32 v98, vcc_lo, v98
	v_mul_u32_u24_e32 v99, 36, v99
	v_and_b32_e32 v21, v21, v103
	s_wait_alu 0xf1ff
	v_xor_b32_e32 v100, s15, v100
	s_delay_alu instid0(VALU_DEP_2) | instskip(NEXT) | instid1(VALU_DEP_1)
	v_and_b32_e32 v21, v21, v98
	v_and_b32_e32 v21, v21, v100
	v_add_nc_u32_e32 v100, v88, v99
	s_delay_alu instid0(VALU_DEP_2) | instskip(SKIP_1) | instid1(VALU_DEP_2)
	v_mbcnt_lo_u32_b32 v98, v21, 0
	v_cmp_ne_u32_e64 s15, 0, v21
	v_cmp_eq_u32_e32 vcc_lo, 0, v98
	s_and_b32 s16, s15, vcc_lo
	s_wait_alu 0xfffe
	s_and_saveexec_b32 s15, s16
; %bb.85:                               ;   in Loop: Header=BB1952_64 Depth=2
	v_bcnt_u32_b32 v21, v21, 0
	ds_store_b32 v100, v21 offset:1056
; %bb.86:                               ;   in Loop: Header=BB1952_64 Depth=2
	s_wait_alu 0xfffe
	s_or_b32 exec_lo, exec_lo, s15
	v_cmp_gt_i16_e32 vcc_lo, 0, v27
	; wave barrier
	s_wait_alu 0xfffd
	v_cndmask_b32_e64 v21, 0x7fff, 0, vcc_lo
	s_delay_alu instid0(VALU_DEP_1) | instskip(NEXT) | instid1(VALU_DEP_1)
	v_xor_b32_e32 v99, v21, v27
	v_cmp_ne_u16_e32 vcc_lo, 0x8000, v99
	s_wait_alu 0xfffd
	v_cndmask_b32_e32 v21, 0x7fff, v99, vcc_lo
	s_delay_alu instid0(VALU_DEP_1) | instskip(NEXT) | instid1(VALU_DEP_1)
	v_and_b32_e32 v21, 0xffff, v21
	v_lshrrev_b32_e32 v21, s23, v21
	s_delay_alu instid0(VALU_DEP_1) | instskip(NEXT) | instid1(VALU_DEP_1)
	v_and_b32_e32 v27, s42, v21
	v_and_b32_e32 v21, 1, v27
	v_lshlrev_b32_e32 v101, 30, v27
	v_lshlrev_b32_e32 v102, 29, v27
	;; [unrolled: 1-line block ×4, first 2 shown]
	v_add_co_u32 v21, s15, v21, -1
	s_wait_alu 0xf1ff
	v_cndmask_b32_e64 v104, 0, 1, s15
	v_not_b32_e32 v108, v101
	v_cmp_gt_i32_e64 s15, 0, v101
	v_not_b32_e32 v101, v102
	v_lshlrev_b32_e32 v106, 26, v27
	v_cmp_ne_u32_e32 vcc_lo, 0, v104
	v_ashrrev_i32_e32 v108, 31, v108
	v_lshlrev_b32_e32 v107, 25, v27
	v_ashrrev_i32_e32 v101, 31, v101
	v_lshlrev_b32_e32 v104, 24, v27
	s_wait_alu 0xfffd
	v_xor_b32_e32 v21, vcc_lo, v21
	v_cmp_gt_i32_e32 vcc_lo, 0, v102
	v_not_b32_e32 v102, v103
	s_wait_alu 0xf1ff
	v_xor_b32_e32 v108, s15, v108
	v_cmp_gt_i32_e64 s15, 0, v103
	v_and_b32_e32 v21, exec_lo, v21
	v_not_b32_e32 v103, v105
	v_ashrrev_i32_e32 v102, 31, v102
	s_wait_alu 0xfffd
	v_xor_b32_e32 v101, vcc_lo, v101
	v_cmp_gt_i32_e32 vcc_lo, 0, v105
	v_and_b32_e32 v21, v21, v108
	v_not_b32_e32 v105, v106
	v_ashrrev_i32_e32 v103, 31, v103
	s_wait_alu 0xf1ff
	v_xor_b32_e32 v102, s15, v102
	v_cmp_gt_i32_e64 s15, 0, v106
	v_and_b32_e32 v21, v21, v101
	v_not_b32_e32 v101, v107
	v_ashrrev_i32_e32 v105, 31, v105
	s_wait_alu 0xfffd
	v_xor_b32_e32 v103, vcc_lo, v103
	v_cmp_gt_i32_e32 vcc_lo, 0, v107
	v_and_b32_e32 v21, v21, v102
	v_not_b32_e32 v102, v104
	v_ashrrev_i32_e32 v101, 31, v101
	s_wait_alu 0xf1ff
	v_xor_b32_e32 v105, s15, v105
	v_cmp_gt_i32_e64 s15, 0, v104
	v_and_b32_e32 v21, v21, v103
	v_ashrrev_i32_e32 v102, 31, v102
	s_wait_alu 0xfffd
	v_xor_b32_e32 v101, vcc_lo, v101
	v_mad_u32_u24 v103, v27, 36, v88
	v_mul_u32_u24_e32 v27, 36, v27
	v_and_b32_e32 v21, v21, v105
	s_wait_alu 0xf1ff
	v_xor_b32_e32 v102, s15, v102
	s_delay_alu instid0(VALU_DEP_3) | instskip(NEXT) | instid1(VALU_DEP_3)
	v_add_nc_u32_e32 v104, v88, v27
	v_and_b32_e32 v21, v21, v101
	ds_load_b32 v101, v103 offset:1056
	; wave barrier
	v_and_b32_e32 v21, v21, v102
	s_delay_alu instid0(VALU_DEP_1) | instskip(SKIP_1) | instid1(VALU_DEP_2)
	v_mbcnt_lo_u32_b32 v102, v21, 0
	v_cmp_ne_u32_e64 s15, 0, v21
	v_cmp_eq_u32_e32 vcc_lo, 0, v102
	s_and_b32 s16, s15, vcc_lo
	s_wait_alu 0xfffe
	s_and_saveexec_b32 s15, s16
	s_cbranch_execz .LBB1952_88
; %bb.87:                               ;   in Loop: Header=BB1952_64 Depth=2
	s_wait_dscnt 0x0
	v_bcnt_u32_b32 v21, v21, v101
	ds_store_b32 v104, v21 offset:1056
.LBB1952_88:                            ;   in Loop: Header=BB1952_64 Depth=2
	s_wait_alu 0xfffe
	s_or_b32 exec_lo, exec_lo, s15
	v_cmp_gt_i16_e32 vcc_lo, 0, v26
	; wave barrier
	s_wait_alu 0xfffd
	v_cndmask_b32_e64 v21, 0x7fff, 0, vcc_lo
	s_delay_alu instid0(VALU_DEP_1) | instskip(NEXT) | instid1(VALU_DEP_1)
	v_xor_b32_e32 v103, v21, v26
	v_cmp_ne_u16_e32 vcc_lo, 0x8000, v103
	s_wait_alu 0xfffd
	v_cndmask_b32_e32 v21, 0x7fff, v103, vcc_lo
	s_delay_alu instid0(VALU_DEP_1) | instskip(NEXT) | instid1(VALU_DEP_1)
	v_and_b32_e32 v21, 0xffff, v21
	v_lshrrev_b32_e32 v21, s23, v21
	s_delay_alu instid0(VALU_DEP_1) | instskip(NEXT) | instid1(VALU_DEP_1)
	v_and_b32_e32 v26, s42, v21
	v_and_b32_e32 v21, 1, v26
	v_lshlrev_b32_e32 v27, 30, v26
	v_lshlrev_b32_e32 v105, 29, v26
	;; [unrolled: 1-line block ×4, first 2 shown]
	v_add_co_u32 v21, s15, v21, -1
	s_wait_alu 0xf1ff
	v_cndmask_b32_e64 v107, 0, 1, s15
	v_not_b32_e32 v111, v27
	v_cmp_gt_i32_e64 s15, 0, v27
	v_not_b32_e32 v27, v105
	v_lshlrev_b32_e32 v109, 26, v26
	v_cmp_ne_u32_e32 vcc_lo, 0, v107
	v_ashrrev_i32_e32 v111, 31, v111
	v_lshlrev_b32_e32 v110, 25, v26
	v_ashrrev_i32_e32 v27, 31, v27
	v_lshlrev_b32_e32 v107, 24, v26
	s_wait_alu 0xfffd
	v_xor_b32_e32 v21, vcc_lo, v21
	v_cmp_gt_i32_e32 vcc_lo, 0, v105
	v_not_b32_e32 v105, v106
	s_wait_alu 0xf1ff
	v_xor_b32_e32 v111, s15, v111
	v_cmp_gt_i32_e64 s15, 0, v106
	v_and_b32_e32 v21, exec_lo, v21
	v_not_b32_e32 v106, v108
	v_ashrrev_i32_e32 v105, 31, v105
	s_wait_alu 0xfffd
	v_xor_b32_e32 v27, vcc_lo, v27
	v_cmp_gt_i32_e32 vcc_lo, 0, v108
	v_and_b32_e32 v21, v21, v111
	v_not_b32_e32 v108, v109
	v_ashrrev_i32_e32 v106, 31, v106
	s_wait_alu 0xf1ff
	v_xor_b32_e32 v105, s15, v105
	v_cmp_gt_i32_e64 s15, 0, v109
	v_and_b32_e32 v21, v21, v27
	v_not_b32_e32 v27, v110
	v_ashrrev_i32_e32 v108, 31, v108
	s_wait_alu 0xfffd
	v_xor_b32_e32 v106, vcc_lo, v106
	v_cmp_gt_i32_e32 vcc_lo, 0, v110
	v_and_b32_e32 v21, v21, v105
	v_not_b32_e32 v105, v107
	v_ashrrev_i32_e32 v27, 31, v27
	s_wait_alu 0xf1ff
	v_xor_b32_e32 v108, s15, v108
	v_cmp_gt_i32_e64 s15, 0, v107
	v_and_b32_e32 v21, v21, v106
	v_ashrrev_i32_e32 v105, 31, v105
	s_wait_alu 0xfffd
	v_xor_b32_e32 v27, vcc_lo, v27
	v_mad_u32_u24 v106, v26, 36, v88
	v_mul_u32_u24_e32 v26, 36, v26
	v_and_b32_e32 v21, v21, v108
	s_wait_alu 0xf1ff
	v_xor_b32_e32 v107, s15, v105
	ds_load_b32 v105, v106 offset:1056
	v_add_nc_u32_e32 v108, v88, v26
	v_and_b32_e32 v21, v21, v27
	; wave barrier
	s_delay_alu instid0(VALU_DEP_1) | instskip(NEXT) | instid1(VALU_DEP_1)
	v_and_b32_e32 v21, v21, v107
	v_mbcnt_lo_u32_b32 v107, v21, 0
	v_cmp_ne_u32_e64 s15, 0, v21
	s_delay_alu instid0(VALU_DEP_2)
	v_cmp_eq_u32_e32 vcc_lo, 0, v107
	s_and_b32 s16, s15, vcc_lo
	s_wait_alu 0xfffe
	s_and_saveexec_b32 s15, s16
	s_cbranch_execz .LBB1952_90
; %bb.89:                               ;   in Loop: Header=BB1952_64 Depth=2
	s_wait_dscnt 0x0
	v_bcnt_u32_b32 v21, v21, v105
	ds_store_b32 v108, v21 offset:1056
.LBB1952_90:                            ;   in Loop: Header=BB1952_64 Depth=2
	s_wait_alu 0xfffe
	s_or_b32 exec_lo, exec_lo, s15
	v_cmp_gt_i16_e32 vcc_lo, 0, v25
	; wave barrier
	s_wait_alu 0xfffd
	v_cndmask_b32_e64 v21, 0x7fff, 0, vcc_lo
	s_delay_alu instid0(VALU_DEP_1) | instskip(NEXT) | instid1(VALU_DEP_1)
	v_xor_b32_e32 v106, v21, v25
	v_cmp_ne_u16_e32 vcc_lo, 0x8000, v106
	s_wait_alu 0xfffd
	v_cndmask_b32_e32 v21, 0x7fff, v106, vcc_lo
	s_delay_alu instid0(VALU_DEP_1) | instskip(NEXT) | instid1(VALU_DEP_1)
	v_and_b32_e32 v21, 0xffff, v21
	v_lshrrev_b32_e32 v21, s23, v21
	s_delay_alu instid0(VALU_DEP_1) | instskip(NEXT) | instid1(VALU_DEP_1)
	v_and_b32_e32 v25, s42, v21
	v_and_b32_e32 v21, 1, v25
	v_lshlrev_b32_e32 v26, 30, v25
	v_lshlrev_b32_e32 v27, 29, v25
	;; [unrolled: 1-line block ×4, first 2 shown]
	v_add_co_u32 v21, s15, v21, -1
	s_wait_alu 0xf1ff
	v_cndmask_b32_e64 v110, 0, 1, s15
	v_not_b32_e32 v114, v26
	v_cmp_gt_i32_e64 s15, 0, v26
	v_not_b32_e32 v26, v27
	v_lshlrev_b32_e32 v112, 26, v25
	v_cmp_ne_u32_e32 vcc_lo, 0, v110
	v_ashrrev_i32_e32 v114, 31, v114
	v_lshlrev_b32_e32 v113, 25, v25
	v_ashrrev_i32_e32 v26, 31, v26
	v_lshlrev_b32_e32 v110, 24, v25
	s_wait_alu 0xfffd
	v_xor_b32_e32 v21, vcc_lo, v21
	v_cmp_gt_i32_e32 vcc_lo, 0, v27
	v_not_b32_e32 v27, v109
	s_wait_alu 0xf1ff
	v_xor_b32_e32 v114, s15, v114
	v_cmp_gt_i32_e64 s15, 0, v109
	v_and_b32_e32 v21, exec_lo, v21
	v_not_b32_e32 v109, v111
	v_ashrrev_i32_e32 v27, 31, v27
	s_wait_alu 0xfffd
	v_xor_b32_e32 v26, vcc_lo, v26
	v_cmp_gt_i32_e32 vcc_lo, 0, v111
	v_and_b32_e32 v21, v21, v114
	v_not_b32_e32 v111, v112
	v_ashrrev_i32_e32 v109, 31, v109
	s_wait_alu 0xf1ff
	v_xor_b32_e32 v27, s15, v27
	v_cmp_gt_i32_e64 s15, 0, v112
	v_and_b32_e32 v21, v21, v26
	v_not_b32_e32 v26, v113
	v_ashrrev_i32_e32 v111, 31, v111
	s_wait_alu 0xfffd
	v_xor_b32_e32 v109, vcc_lo, v109
	v_cmp_gt_i32_e32 vcc_lo, 0, v113
	v_and_b32_e32 v21, v21, v27
	v_not_b32_e32 v27, v110
	v_ashrrev_i32_e32 v26, 31, v26
	s_wait_alu 0xf1ff
	v_xor_b32_e32 v111, s15, v111
	v_cmp_gt_i32_e64 s15, 0, v110
	v_and_b32_e32 v21, v21, v109
	v_ashrrev_i32_e32 v27, 31, v27
	s_wait_alu 0xfffd
	v_xor_b32_e32 v26, vcc_lo, v26
	v_mad_u32_u24 v109, v25, 36, v88
	v_mul_u32_u24_e32 v25, 36, v25
	v_and_b32_e32 v21, v21, v111
	s_wait_alu 0xf1ff
	v_xor_b32_e32 v27, s15, v27
	ds_load_b32 v109, v109 offset:1056
	v_add_nc_u32_e32 v112, v88, v25
	v_and_b32_e32 v21, v21, v26
	; wave barrier
	s_delay_alu instid0(VALU_DEP_1) | instskip(NEXT) | instid1(VALU_DEP_1)
	v_and_b32_e32 v21, v21, v27
	v_mbcnt_lo_u32_b32 v111, v21, 0
	v_cmp_ne_u32_e64 s15, 0, v21
	s_delay_alu instid0(VALU_DEP_2)
	v_cmp_eq_u32_e32 vcc_lo, 0, v111
	s_and_b32 s16, s15, vcc_lo
	s_wait_alu 0xfffe
	s_and_saveexec_b32 s15, s16
	s_cbranch_execz .LBB1952_92
; %bb.91:                               ;   in Loop: Header=BB1952_64 Depth=2
	s_wait_dscnt 0x0
	v_bcnt_u32_b32 v21, v21, v109
	ds_store_b32 v112, v21 offset:1056
.LBB1952_92:                            ;   in Loop: Header=BB1952_64 Depth=2
	s_wait_alu 0xfffe
	s_or_b32 exec_lo, exec_lo, s15
	v_cmp_gt_i16_e32 vcc_lo, 0, v24
	; wave barrier
	s_wait_alu 0xfffd
	v_cndmask_b32_e64 v21, 0x7fff, 0, vcc_lo
	s_delay_alu instid0(VALU_DEP_1) | instskip(NEXT) | instid1(VALU_DEP_1)
	v_xor_b32_e32 v110, v21, v24
	v_cmp_ne_u16_e32 vcc_lo, 0x8000, v110
	s_wait_alu 0xfffd
	v_cndmask_b32_e32 v21, 0x7fff, v110, vcc_lo
	s_delay_alu instid0(VALU_DEP_1) | instskip(NEXT) | instid1(VALU_DEP_1)
	v_and_b32_e32 v21, 0xffff, v21
	v_lshrrev_b32_e32 v21, s23, v21
	s_delay_alu instid0(VALU_DEP_1) | instskip(NEXT) | instid1(VALU_DEP_1)
	v_and_b32_e32 v24, s42, v21
	v_and_b32_e32 v21, 1, v24
	v_lshlrev_b32_e32 v25, 30, v24
	v_lshlrev_b32_e32 v26, 29, v24
	;; [unrolled: 1-line block ×4, first 2 shown]
	v_add_co_u32 v21, s15, v21, -1
	s_wait_alu 0xf1ff
	v_cndmask_b32_e64 v113, 0, 1, s15
	v_not_b32_e32 v117, v25
	v_cmp_gt_i32_e64 s15, 0, v25
	v_not_b32_e32 v25, v26
	v_lshlrev_b32_e32 v115, 26, v24
	v_cmp_ne_u32_e32 vcc_lo, 0, v113
	v_ashrrev_i32_e32 v117, 31, v117
	v_lshlrev_b32_e32 v116, 25, v24
	v_ashrrev_i32_e32 v25, 31, v25
	v_lshlrev_b32_e32 v113, 24, v24
	s_wait_alu 0xfffd
	v_xor_b32_e32 v21, vcc_lo, v21
	v_cmp_gt_i32_e32 vcc_lo, 0, v26
	v_not_b32_e32 v26, v27
	s_wait_alu 0xf1ff
	v_xor_b32_e32 v117, s15, v117
	v_cmp_gt_i32_e64 s15, 0, v27
	v_and_b32_e32 v21, exec_lo, v21
	v_not_b32_e32 v27, v114
	v_ashrrev_i32_e32 v26, 31, v26
	s_wait_alu 0xfffd
	v_xor_b32_e32 v25, vcc_lo, v25
	v_cmp_gt_i32_e32 vcc_lo, 0, v114
	v_and_b32_e32 v21, v21, v117
	v_not_b32_e32 v114, v115
	v_ashrrev_i32_e32 v27, 31, v27
	s_wait_alu 0xf1ff
	v_xor_b32_e32 v26, s15, v26
	v_cmp_gt_i32_e64 s15, 0, v115
	v_and_b32_e32 v21, v21, v25
	v_not_b32_e32 v25, v116
	v_ashrrev_i32_e32 v114, 31, v114
	s_wait_alu 0xfffd
	v_xor_b32_e32 v27, vcc_lo, v27
	v_cmp_gt_i32_e32 vcc_lo, 0, v116
	v_and_b32_e32 v21, v21, v26
	v_not_b32_e32 v26, v113
	v_ashrrev_i32_e32 v25, 31, v25
	s_wait_alu 0xf1ff
	v_xor_b32_e32 v114, s15, v114
	v_cmp_gt_i32_e64 s15, 0, v113
	v_and_b32_e32 v21, v21, v27
	v_ashrrev_i32_e32 v26, 31, v26
	s_wait_alu 0xfffd
	v_xor_b32_e32 v25, vcc_lo, v25
	v_mad_u32_u24 v27, v24, 36, v88
	v_mul_u32_u24_e32 v24, 36, v24
	v_and_b32_e32 v21, v21, v114
	s_wait_alu 0xf1ff
	v_xor_b32_e32 v26, s15, v26
	ds_load_b32 v113, v27 offset:1056
	v_add_nc_u32_e32 v116, v88, v24
	v_and_b32_e32 v21, v21, v25
	; wave barrier
	s_delay_alu instid0(VALU_DEP_1) | instskip(NEXT) | instid1(VALU_DEP_1)
	v_and_b32_e32 v21, v21, v26
	v_mbcnt_lo_u32_b32 v115, v21, 0
	v_cmp_ne_u32_e64 s15, 0, v21
	s_delay_alu instid0(VALU_DEP_2)
	v_cmp_eq_u32_e32 vcc_lo, 0, v115
	s_and_b32 s16, s15, vcc_lo
	s_wait_alu 0xfffe
	s_and_saveexec_b32 s15, s16
	s_cbranch_execz .LBB1952_94
; %bb.93:                               ;   in Loop: Header=BB1952_64 Depth=2
	s_wait_dscnt 0x0
	v_bcnt_u32_b32 v21, v21, v113
	ds_store_b32 v116, v21 offset:1056
.LBB1952_94:                            ;   in Loop: Header=BB1952_64 Depth=2
	s_wait_alu 0xfffe
	s_or_b32 exec_lo, exec_lo, s15
	v_cmp_gt_i16_e32 vcc_lo, 0, v23
	; wave barrier
	s_wait_alu 0xfffd
	v_cndmask_b32_e64 v21, 0x7fff, 0, vcc_lo
	s_delay_alu instid0(VALU_DEP_1) | instskip(NEXT) | instid1(VALU_DEP_1)
	v_xor_b32_e32 v114, v21, v23
	v_cmp_ne_u16_e32 vcc_lo, 0x8000, v114
	s_wait_alu 0xfffd
	v_cndmask_b32_e32 v21, 0x7fff, v114, vcc_lo
	s_delay_alu instid0(VALU_DEP_1) | instskip(NEXT) | instid1(VALU_DEP_1)
	v_and_b32_e32 v21, 0xffff, v21
	v_lshrrev_b32_e32 v21, s23, v21
	s_delay_alu instid0(VALU_DEP_1) | instskip(NEXT) | instid1(VALU_DEP_1)
	v_and_b32_e32 v23, s42, v21
	v_and_b32_e32 v21, 1, v23
	v_lshlrev_b32_e32 v24, 30, v23
	v_lshlrev_b32_e32 v25, 29, v23
	v_lshlrev_b32_e32 v26, 28, v23
	v_lshlrev_b32_e32 v117, 27, v23
	v_add_co_u32 v21, s15, v21, -1
	s_wait_alu 0xf1ff
	v_cndmask_b32_e64 v27, 0, 1, s15
	v_not_b32_e32 v120, v24
	v_cmp_gt_i32_e64 s15, 0, v24
	v_not_b32_e32 v24, v25
	v_lshlrev_b32_e32 v118, 26, v23
	v_cmp_ne_u32_e32 vcc_lo, 0, v27
	v_ashrrev_i32_e32 v120, 31, v120
	v_lshlrev_b32_e32 v119, 25, v23
	v_ashrrev_i32_e32 v24, 31, v24
	v_lshlrev_b32_e32 v27, 24, v23
	s_wait_alu 0xfffd
	v_xor_b32_e32 v21, vcc_lo, v21
	v_cmp_gt_i32_e32 vcc_lo, 0, v25
	v_not_b32_e32 v25, v26
	s_wait_alu 0xf1ff
	v_xor_b32_e32 v120, s15, v120
	v_cmp_gt_i32_e64 s15, 0, v26
	v_and_b32_e32 v21, exec_lo, v21
	v_not_b32_e32 v26, v117
	v_ashrrev_i32_e32 v25, 31, v25
	s_wait_alu 0xfffd
	v_xor_b32_e32 v24, vcc_lo, v24
	v_cmp_gt_i32_e32 vcc_lo, 0, v117
	v_and_b32_e32 v21, v21, v120
	v_not_b32_e32 v117, v118
	v_ashrrev_i32_e32 v26, 31, v26
	s_wait_alu 0xf1ff
	v_xor_b32_e32 v25, s15, v25
	v_cmp_gt_i32_e64 s15, 0, v118
	v_and_b32_e32 v21, v21, v24
	v_not_b32_e32 v24, v119
	v_ashrrev_i32_e32 v117, 31, v117
	s_wait_alu 0xfffd
	v_xor_b32_e32 v26, vcc_lo, v26
	v_cmp_gt_i32_e32 vcc_lo, 0, v119
	v_and_b32_e32 v21, v21, v25
	v_not_b32_e32 v25, v27
	v_ashrrev_i32_e32 v24, 31, v24
	s_wait_alu 0xf1ff
	v_xor_b32_e32 v117, s15, v117
	v_cmp_gt_i32_e64 s15, 0, v27
	v_and_b32_e32 v21, v21, v26
	v_ashrrev_i32_e32 v25, 31, v25
	s_wait_alu 0xfffd
	v_xor_b32_e32 v24, vcc_lo, v24
	v_mad_u32_u24 v26, v23, 36, v88
	v_mul_u32_u24_e32 v23, 36, v23
	v_and_b32_e32 v21, v21, v117
	s_wait_alu 0xf1ff
	v_xor_b32_e32 v25, s15, v25
	ds_load_b32 v117, v26 offset:1056
	v_add_nc_u32_e32 v120, v88, v23
	v_and_b32_e32 v21, v21, v24
	; wave barrier
	s_delay_alu instid0(VALU_DEP_1) | instskip(NEXT) | instid1(VALU_DEP_1)
	v_and_b32_e32 v21, v21, v25
	v_mbcnt_lo_u32_b32 v119, v21, 0
	v_cmp_ne_u32_e64 s15, 0, v21
	s_delay_alu instid0(VALU_DEP_2)
	v_cmp_eq_u32_e32 vcc_lo, 0, v119
	s_and_b32 s16, s15, vcc_lo
	s_wait_alu 0xfffe
	s_and_saveexec_b32 s15, s16
	s_cbranch_execz .LBB1952_96
; %bb.95:                               ;   in Loop: Header=BB1952_64 Depth=2
	s_wait_dscnt 0x0
	v_bcnt_u32_b32 v21, v21, v117
	ds_store_b32 v120, v21 offset:1056
.LBB1952_96:                            ;   in Loop: Header=BB1952_64 Depth=2
	s_wait_alu 0xfffe
	s_or_b32 exec_lo, exec_lo, s15
	v_cmp_gt_i16_e32 vcc_lo, 0, v22
	; wave barrier
	s_wait_alu 0xfffd
	v_cndmask_b32_e64 v21, 0x7fff, 0, vcc_lo
	s_delay_alu instid0(VALU_DEP_1) | instskip(NEXT) | instid1(VALU_DEP_1)
	v_xor_b32_e32 v118, v21, v22
	v_cmp_ne_u16_e32 vcc_lo, 0x8000, v118
	s_wait_alu 0xfffd
	v_cndmask_b32_e32 v21, 0x7fff, v118, vcc_lo
	s_delay_alu instid0(VALU_DEP_1) | instskip(NEXT) | instid1(VALU_DEP_1)
	v_and_b32_e32 v21, 0xffff, v21
	v_lshrrev_b32_e32 v21, s23, v21
	s_delay_alu instid0(VALU_DEP_1) | instskip(NEXT) | instid1(VALU_DEP_1)
	v_and_b32_e32 v22, s42, v21
	v_and_b32_e32 v21, 1, v22
	v_lshlrev_b32_e32 v23, 30, v22
	v_lshlrev_b32_e32 v24, 29, v22
	;; [unrolled: 1-line block ×4, first 2 shown]
	v_add_co_u32 v21, s15, v21, -1
	s_wait_alu 0xf1ff
	v_cndmask_b32_e64 v26, 0, 1, s15
	v_not_b32_e32 v123, v23
	v_cmp_gt_i32_e64 s15, 0, v23
	v_not_b32_e32 v23, v24
	v_lshlrev_b32_e32 v121, 26, v22
	v_cmp_ne_u32_e32 vcc_lo, 0, v26
	v_ashrrev_i32_e32 v123, 31, v123
	v_lshlrev_b32_e32 v122, 25, v22
	v_ashrrev_i32_e32 v23, 31, v23
	v_lshlrev_b32_e32 v26, 24, v22
	s_wait_alu 0xfffd
	v_xor_b32_e32 v21, vcc_lo, v21
	v_cmp_gt_i32_e32 vcc_lo, 0, v24
	v_not_b32_e32 v24, v25
	s_wait_alu 0xf1ff
	v_xor_b32_e32 v123, s15, v123
	v_cmp_gt_i32_e64 s15, 0, v25
	v_and_b32_e32 v21, exec_lo, v21
	v_not_b32_e32 v25, v27
	v_ashrrev_i32_e32 v24, 31, v24
	s_wait_alu 0xfffd
	v_xor_b32_e32 v23, vcc_lo, v23
	v_cmp_gt_i32_e32 vcc_lo, 0, v27
	v_and_b32_e32 v21, v21, v123
	v_not_b32_e32 v27, v121
	v_ashrrev_i32_e32 v25, 31, v25
	s_wait_alu 0xf1ff
	v_xor_b32_e32 v24, s15, v24
	v_cmp_gt_i32_e64 s15, 0, v121
	v_and_b32_e32 v21, v21, v23
	v_not_b32_e32 v23, v122
	v_ashrrev_i32_e32 v27, 31, v27
	s_wait_alu 0xfffd
	v_xor_b32_e32 v25, vcc_lo, v25
	v_cmp_gt_i32_e32 vcc_lo, 0, v122
	v_and_b32_e32 v21, v21, v24
	v_not_b32_e32 v24, v26
	v_ashrrev_i32_e32 v23, 31, v23
	s_wait_alu 0xf1ff
	v_xor_b32_e32 v27, s15, v27
	v_cmp_gt_i32_e64 s15, 0, v26
	v_and_b32_e32 v21, v21, v25
	v_ashrrev_i32_e32 v24, 31, v24
	s_wait_alu 0xfffd
	v_xor_b32_e32 v23, vcc_lo, v23
	v_mad_u32_u24 v25, v22, 36, v88
	v_mul_u32_u24_e32 v22, 36, v22
	v_and_b32_e32 v21, v21, v27
	s_wait_alu 0xf1ff
	v_xor_b32_e32 v24, s15, v24
	ds_load_b32 v121, v25 offset:1056
	v_add_nc_u32_e32 v124, v88, v22
	v_and_b32_e32 v21, v21, v23
	; wave barrier
	s_delay_alu instid0(VALU_DEP_1) | instskip(NEXT) | instid1(VALU_DEP_1)
	v_and_b32_e32 v21, v21, v24
	v_mbcnt_lo_u32_b32 v122, v21, 0
	v_cmp_ne_u32_e64 s15, 0, v21
	s_delay_alu instid0(VALU_DEP_2)
	v_cmp_eq_u32_e32 vcc_lo, 0, v122
	s_and_b32 s16, s15, vcc_lo
	s_wait_alu 0xfffe
	s_and_saveexec_b32 s15, s16
	s_cbranch_execz .LBB1952_98
; %bb.97:                               ;   in Loop: Header=BB1952_64 Depth=2
	s_wait_dscnt 0x0
	v_bcnt_u32_b32 v21, v21, v121
	ds_store_b32 v124, v21 offset:1056
.LBB1952_98:                            ;   in Loop: Header=BB1952_64 Depth=2
	s_wait_alu 0xfffe
	s_or_b32 exec_lo, exec_lo, s15
	v_cmp_gt_i16_e32 vcc_lo, 0, v20
	; wave barrier
	s_wait_alu 0xfffd
	v_cndmask_b32_e64 v21, 0x7fff, 0, vcc_lo
	s_delay_alu instid0(VALU_DEP_1) | instskip(NEXT) | instid1(VALU_DEP_1)
	v_xor_b32_e32 v123, v21, v20
	v_cmp_ne_u16_e32 vcc_lo, 0x8000, v123
	s_wait_alu 0xfffd
	v_cndmask_b32_e32 v20, 0x7fff, v123, vcc_lo
	s_delay_alu instid0(VALU_DEP_1) | instskip(NEXT) | instid1(VALU_DEP_1)
	v_and_b32_e32 v20, 0xffff, v20
	v_lshrrev_b32_e32 v20, s23, v20
	s_delay_alu instid0(VALU_DEP_1) | instskip(NEXT) | instid1(VALU_DEP_1)
	v_and_b32_e32 v21, s42, v20
	v_and_b32_e32 v20, 1, v21
	v_lshlrev_b32_e32 v22, 30, v21
	v_lshlrev_b32_e32 v23, 29, v21
	;; [unrolled: 1-line block ×4, first 2 shown]
	v_add_co_u32 v20, s15, v20, -1
	s_wait_alu 0xf1ff
	v_cndmask_b32_e64 v25, 0, 1, s15
	v_not_b32_e32 v126, v22
	v_cmp_gt_i32_e64 s15, 0, v22
	v_not_b32_e32 v22, v23
	v_lshlrev_b32_e32 v27, 26, v21
	v_cmp_ne_u32_e32 vcc_lo, 0, v25
	v_ashrrev_i32_e32 v126, 31, v126
	v_lshlrev_b32_e32 v125, 25, v21
	v_ashrrev_i32_e32 v22, 31, v22
	v_lshlrev_b32_e32 v25, 24, v21
	s_wait_alu 0xfffd
	v_xor_b32_e32 v20, vcc_lo, v20
	v_cmp_gt_i32_e32 vcc_lo, 0, v23
	v_not_b32_e32 v23, v24
	s_wait_alu 0xf1ff
	v_xor_b32_e32 v126, s15, v126
	v_cmp_gt_i32_e64 s15, 0, v24
	v_and_b32_e32 v20, exec_lo, v20
	v_not_b32_e32 v24, v26
	v_ashrrev_i32_e32 v23, 31, v23
	s_wait_alu 0xfffd
	v_xor_b32_e32 v22, vcc_lo, v22
	v_cmp_gt_i32_e32 vcc_lo, 0, v26
	v_and_b32_e32 v20, v20, v126
	v_not_b32_e32 v26, v27
	v_ashrrev_i32_e32 v24, 31, v24
	s_wait_alu 0xf1ff
	v_xor_b32_e32 v23, s15, v23
	v_cmp_gt_i32_e64 s15, 0, v27
	v_and_b32_e32 v20, v20, v22
	v_not_b32_e32 v22, v125
	v_ashrrev_i32_e32 v26, 31, v26
	s_wait_alu 0xfffd
	v_xor_b32_e32 v24, vcc_lo, v24
	v_cmp_gt_i32_e32 vcc_lo, 0, v125
	v_and_b32_e32 v20, v20, v23
	v_not_b32_e32 v23, v25
	v_ashrrev_i32_e32 v22, 31, v22
	s_wait_alu 0xf1ff
	v_xor_b32_e32 v26, s15, v26
	v_cmp_gt_i32_e64 s15, 0, v25
	v_and_b32_e32 v20, v20, v24
	v_ashrrev_i32_e32 v23, 31, v23
	s_wait_alu 0xfffd
	v_xor_b32_e32 v22, vcc_lo, v22
	v_mad_u32_u24 v24, v21, 36, v88
	v_mul_u32_u24_e32 v21, 36, v21
	v_and_b32_e32 v20, v20, v26
	s_wait_alu 0xf1ff
	v_xor_b32_e32 v23, s15, v23
	ds_load_b32 v125, v24 offset:1056
	v_add_nc_u32_e32 v127, v88, v21
	v_and_b32_e32 v20, v20, v22
	; wave barrier
	s_delay_alu instid0(VALU_DEP_1) | instskip(NEXT) | instid1(VALU_DEP_1)
	v_and_b32_e32 v20, v20, v23
	v_mbcnt_lo_u32_b32 v126, v20, 0
	v_cmp_ne_u32_e64 s15, 0, v20
	s_delay_alu instid0(VALU_DEP_2)
	v_cmp_eq_u32_e32 vcc_lo, 0, v126
	s_and_b32 s16, s15, vcc_lo
	s_wait_alu 0xfffe
	s_and_saveexec_b32 s15, s16
	s_cbranch_execz .LBB1952_100
; %bb.99:                               ;   in Loop: Header=BB1952_64 Depth=2
	s_wait_dscnt 0x0
	v_bcnt_u32_b32 v20, v20, v125
	ds_store_b32 v127, v20 offset:1056
.LBB1952_100:                           ;   in Loop: Header=BB1952_64 Depth=2
	s_wait_alu 0xfffe
	s_or_b32 exec_lo, exec_lo, s15
	; wave barrier
	s_wait_loadcnt_dscnt 0x0
	s_barrier_signal -1
	s_barrier_wait -1
	global_inv scope:SCOPE_SE
	ds_load_2addr_b32 v[26:27], v78 offset1:1
	ds_load_2addr_b32 v[24:25], v79 offset1:1
	;; [unrolled: 1-line block ×4, first 2 shown]
	ds_load_b32 v128, v43 offset:1088
	s_wait_dscnt 0x3
	v_add3_u32 v129, v27, v26, v24
	s_wait_dscnt 0x2
	s_delay_alu instid0(VALU_DEP_1) | instskip(SKIP_1) | instid1(VALU_DEP_1)
	v_add3_u32 v129, v129, v25, v22
	s_wait_dscnt 0x1
	v_add3_u32 v129, v129, v23, v20
	s_wait_dscnt 0x0
	s_delay_alu instid0(VALU_DEP_1) | instskip(NEXT) | instid1(VALU_DEP_1)
	v_add3_u32 v128, v129, v21, v128
	v_mov_b32_dpp v129, v128 row_shr:1 row_mask:0xf bank_mask:0xf
	s_delay_alu instid0(VALU_DEP_1) | instskip(NEXT) | instid1(VALU_DEP_1)
	v_cndmask_b32_e64 v129, v129, 0, s0
	v_add_nc_u32_e32 v128, v129, v128
	s_delay_alu instid0(VALU_DEP_1) | instskip(NEXT) | instid1(VALU_DEP_1)
	v_mov_b32_dpp v129, v128 row_shr:2 row_mask:0xf bank_mask:0xf
	v_cndmask_b32_e64 v129, 0, v129, s1
	s_delay_alu instid0(VALU_DEP_1) | instskip(NEXT) | instid1(VALU_DEP_1)
	v_add_nc_u32_e32 v128, v128, v129
	v_mov_b32_dpp v129, v128 row_shr:4 row_mask:0xf bank_mask:0xf
	s_delay_alu instid0(VALU_DEP_1) | instskip(NEXT) | instid1(VALU_DEP_1)
	v_cndmask_b32_e64 v129, 0, v129, s9
	v_add_nc_u32_e32 v128, v128, v129
	s_delay_alu instid0(VALU_DEP_1) | instskip(NEXT) | instid1(VALU_DEP_1)
	v_mov_b32_dpp v129, v128 row_shr:8 row_mask:0xf bank_mask:0xf
	v_cndmask_b32_e64 v129, 0, v129, s10
	s_delay_alu instid0(VALU_DEP_1) | instskip(SKIP_3) | instid1(VALU_DEP_1)
	v_add_nc_u32_e32 v128, v128, v129
	ds_swizzle_b32 v129, v128 offset:swizzle(BROADCAST,32,15)
	s_wait_dscnt 0x0
	v_cndmask_b32_e64 v129, v129, 0, s11
	v_add_nc_u32_e32 v128, v128, v129
	s_and_saveexec_b32 s15, s3
; %bb.101:                              ;   in Loop: Header=BB1952_64 Depth=2
	ds_store_b32 v38, v128 offset:1024
; %bb.102:                              ;   in Loop: Header=BB1952_64 Depth=2
	s_wait_alu 0xfffe
	s_or_b32 exec_lo, exec_lo, s15
	s_wait_loadcnt_dscnt 0x0
	s_barrier_signal -1
	s_barrier_wait -1
	global_inv scope:SCOPE_SE
	s_and_saveexec_b32 s15, s4
	s_cbranch_execz .LBB1952_104
; %bb.103:                              ;   in Loop: Header=BB1952_64 Depth=2
	ds_load_b32 v129, v46 offset:1024
	s_wait_dscnt 0x0
	v_mov_b32_dpp v130, v129 row_shr:1 row_mask:0xf bank_mask:0xf
	s_delay_alu instid0(VALU_DEP_1) | instskip(NEXT) | instid1(VALU_DEP_1)
	v_cndmask_b32_e64 v130, v130, 0, s12
	v_add_nc_u32_e32 v129, v130, v129
	s_delay_alu instid0(VALU_DEP_1) | instskip(NEXT) | instid1(VALU_DEP_1)
	v_mov_b32_dpp v130, v129 row_shr:2 row_mask:0xf bank_mask:0xf
	v_cndmask_b32_e64 v130, 0, v130, s13
	s_delay_alu instid0(VALU_DEP_1) | instskip(NEXT) | instid1(VALU_DEP_1)
	v_add_nc_u32_e32 v129, v129, v130
	v_mov_b32_dpp v130, v129 row_shr:4 row_mask:0xf bank_mask:0xf
	s_delay_alu instid0(VALU_DEP_1) | instskip(NEXT) | instid1(VALU_DEP_1)
	v_cndmask_b32_e64 v130, 0, v130, s14
	v_add_nc_u32_e32 v129, v129, v130
	ds_store_b32 v46, v129 offset:1024
.LBB1952_104:                           ;   in Loop: Header=BB1952_64 Depth=2
	s_wait_alu 0xfffe
	s_or_b32 exec_lo, exec_lo, s15
	v_mov_b32_e32 v129, 0
	s_wait_loadcnt_dscnt 0x0
	s_barrier_signal -1
	s_barrier_wait -1
	global_inv scope:SCOPE_SE
	s_and_saveexec_b32 s15, s5
; %bb.105:                              ;   in Loop: Header=BB1952_64 Depth=2
	ds_load_b32 v129, v38 offset:1020
; %bb.106:                              ;   in Loop: Header=BB1952_64 Depth=2
	s_wait_alu 0xfffe
	s_or_b32 exec_lo, exec_lo, s15
	s_wait_dscnt 0x0
	v_add_nc_u32_e32 v128, v129, v128
	ds_bpermute_b32 v128, v87, v128
	s_wait_dscnt 0x0
	v_cndmask_b32_e64 v128, v128, v129, s8
	s_delay_alu instid0(VALU_DEP_1) | instskip(NEXT) | instid1(VALU_DEP_1)
	v_cndmask_b32_e64 v128, v128, 0, s6
	v_add_nc_u32_e32 v26, v128, v26
	s_delay_alu instid0(VALU_DEP_1) | instskip(NEXT) | instid1(VALU_DEP_1)
	v_add_nc_u32_e32 v27, v26, v27
	v_add_nc_u32_e32 v24, v27, v24
	s_delay_alu instid0(VALU_DEP_1) | instskip(NEXT) | instid1(VALU_DEP_1)
	v_add_nc_u32_e32 v25, v24, v25
	;; [unrolled: 3-line block ×3, first 2 shown]
	v_add_nc_u32_e32 v20, v23, v20
	s_delay_alu instid0(VALU_DEP_1)
	v_add_nc_u32_e32 v21, v20, v21
	ds_store_2addr_b32 v81, v23, v20 offset1:1
	ds_store_2addr_b32 v78, v128, v26 offset1:1
	;; [unrolled: 1-line block ×4, first 2 shown]
	ds_store_b32 v43, v21 offset:1088
	s_wait_loadcnt_dscnt 0x0
	s_barrier_signal -1
	s_barrier_wait -1
	global_inv scope:SCOPE_SE
	ds_load_b32 v23, v100 offset:1056
	ds_load_b32 v24, v104 offset:1056
	ds_load_b32 v25, v108 offset:1056
	ds_load_b32 v26, v112 offset:1056
	ds_load_b32 v27, v116 offset:1056
	ds_load_b32 v108, v120 offset:1056
	ds_load_b32 v20, v124 offset:1056
	ds_load_b32 v21, v127 offset:1056
	ds_load_b32 v100, v43 offset:1056
	v_mov_b32_e32 v22, 0x800
	s_and_saveexec_b32 s15, s7
; %bb.107:                              ;   in Loop: Header=BB1952_64 Depth=2
	ds_load_b32 v22, v43 offset:1092
; %bb.108:                              ;   in Loop: Header=BB1952_64 Depth=2
	s_wait_alu 0xfffe
	s_or_b32 exec_lo, exec_lo, s15
	s_wait_loadcnt_dscnt 0x0
	s_barrier_signal -1
	s_barrier_wait -1
	global_inv scope:SCOPE_SE
	s_and_saveexec_b32 s15, s2
	s_cbranch_execz .LBB1952_110
; %bb.109:                              ;   in Loop: Header=BB1952_64 Depth=2
	ds_load_b32 v104, v28
	s_wait_dscnt 0x0
	v_sub_nc_u32_e32 v100, v104, v100
	ds_store_b32 v28, v100
.LBB1952_110:                           ;   in Loop: Header=BB1952_64 Depth=2
	s_wait_alu 0xfffe
	s_or_b32 exec_lo, exec_lo, s15
	v_add_nc_u32_e32 v104, v23, v98
	v_add3_u32 v100, v102, v101, v24
	v_add3_u32 v98, v107, v105, v25
	;; [unrolled: 1-line block ×4, first 2 shown]
	v_lshlrev_b32_e32 v101, 1, v104
	v_lshlrev_b32_e32 v102, 1, v100
	v_add3_u32 v23, v119, v117, v108
	v_lshlrev_b32_e32 v105, 1, v98
	v_add3_u32 v27, v122, v121, v20
	v_add3_u32 v26, v126, v125, v21
	ds_store_b16 v101, v2 offset:1024
	ds_store_b16 v102, v99 offset:1024
	ds_store_b16 v105, v103 offset:1024
	v_lshlrev_b32_e32 v2, 1, v25
	v_cmp_lt_u32_e32 vcc_lo, v1, v97
	v_lshlrev_b32_e32 v20, 1, v24
	v_lshlrev_b32_e32 v21, 1, v23
	;; [unrolled: 1-line block ×4, first 2 shown]
	ds_store_b16 v2, v106 offset:1024
	ds_store_b16 v20, v110 offset:1024
	;; [unrolled: 1-line block ×5, first 2 shown]
	s_wait_loadcnt_dscnt 0x0
	s_barrier_signal -1
	s_barrier_wait -1
	global_inv scope:SCOPE_SE
	s_and_saveexec_b32 s16, vcc_lo
	s_cbranch_execnz .LBB1952_147
; %bb.111:                              ;   in Loop: Header=BB1952_64 Depth=2
	s_wait_alu 0xfffe
	s_or_b32 exec_lo, exec_lo, s16
	v_cmp_lt_u32_e64 s15, v29, v97
	s_and_saveexec_b32 s17, s15
	s_cbranch_execnz .LBB1952_148
.LBB1952_112:                           ;   in Loop: Header=BB1952_64 Depth=2
	s_wait_alu 0xfffe
	s_or_b32 exec_lo, exec_lo, s17
	v_cmp_lt_u32_e64 s16, v30, v97
	s_and_saveexec_b32 s18, s16
	s_cbranch_execnz .LBB1952_149
.LBB1952_113:                           ;   in Loop: Header=BB1952_64 Depth=2
	s_wait_alu 0xfffe
	s_or_b32 exec_lo, exec_lo, s18
	v_cmp_lt_u32_e64 s17, v31, v97
	s_and_saveexec_b32 s19, s17
	s_cbranch_execnz .LBB1952_150
.LBB1952_114:                           ;   in Loop: Header=BB1952_64 Depth=2
	s_wait_alu 0xfffe
	s_or_b32 exec_lo, exec_lo, s19
	v_cmp_lt_u32_e64 s18, v34, v97
	s_and_saveexec_b32 s20, s18
	s_cbranch_execnz .LBB1952_151
.LBB1952_115:                           ;   in Loop: Header=BB1952_64 Depth=2
	s_wait_alu 0xfffe
	s_or_b32 exec_lo, exec_lo, s20
	v_cmp_lt_u32_e64 s19, v35, v97
	s_and_saveexec_b32 s21, s19
	s_cbranch_execnz .LBB1952_152
.LBB1952_116:                           ;   in Loop: Header=BB1952_64 Depth=2
	s_wait_alu 0xfffe
	s_or_b32 exec_lo, exec_lo, s21
	v_cmp_lt_u32_e64 s20, v36, v97
	s_and_saveexec_b32 s22, s20
	s_cbranch_execnz .LBB1952_153
.LBB1952_117:                           ;   in Loop: Header=BB1952_64 Depth=2
	s_wait_alu 0xfffe
	s_or_b32 exec_lo, exec_lo, s22
	v_cmp_lt_u32_e64 s21, v37, v97
	s_and_saveexec_b32 s48, s21
	s_cbranch_execz .LBB1952_119
.LBB1952_118:                           ;   in Loop: Header=BB1952_64 Depth=2
	ds_load_u16 v99, v47 offset:4608
	s_wait_dscnt 0x0
	v_cmp_ne_u16_e64 s22, 0x8000, v99
	s_wait_alu 0xf1ff
	s_delay_alu instid0(VALU_DEP_1) | instskip(SKIP_1) | instid1(VALU_DEP_2)
	v_cndmask_b32_e64 v2, 0x7fff, v99, s22
	v_cmp_gt_i16_e64 s22, 0, v99
	v_and_b32_e32 v2, 0xffff, v2
	s_wait_alu 0xf1ff
	s_delay_alu instid0(VALU_DEP_2) | instskip(NEXT) | instid1(VALU_DEP_2)
	v_cndmask_b32_e64 v101, 0x7fff, 0, s22
	v_lshrrev_b32_e32 v2, s23, v2
	s_delay_alu instid0(VALU_DEP_1) | instskip(NEXT) | instid1(VALU_DEP_1)
	v_and_b32_e32 v2, s42, v2
	v_lshlrev_b32_e32 v2, 2, v2
	ds_load_b32 v2, v2
	s_wait_dscnt 0x0
	v_add_nc_u32_e32 v2, v2, v37
	s_delay_alu instid0(VALU_DEP_1) | instskip(SKIP_1) | instid1(VALU_DEP_2)
	v_lshlrev_b64_e32 v[20:21], 1, v[2:3]
	v_xor_b32_e32 v2, v101, v99
	v_add_co_u32 v20, s22, s38, v20
	s_wait_alu 0xf1ff
	s_delay_alu instid0(VALU_DEP_3)
	v_add_co_ci_u32_e64 v21, null, s39, v21, s22
	global_store_b16 v[20:21], v2, off
.LBB1952_119:                           ;   in Loop: Header=BB1952_64 Depth=2
	s_wait_alu 0xfffe
	s_or_b32 exec_lo, exec_lo, s48
	s_lshl_b64 s[48:49], s[30:31], 3
	s_wait_alu 0xfffe
	v_add_co_u32 v20, s22, v83, s48
	s_wait_alu 0xf1ff
	v_add_co_ci_u32_e64 v21, null, s49, v84, s22
	v_cmp_lt_u32_e64 s22, v66, v97
	s_and_saveexec_b32 s30, s22
	s_wait_alu 0xfffe
	s_xor_b32 s22, exec_lo, s30
	s_cbranch_execnz .LBB1952_154
; %bb.120:                              ;   in Loop: Header=BB1952_64 Depth=2
	s_wait_alu 0xfffe
	s_or_b32 exec_lo, exec_lo, s22
	s_delay_alu instid0(SALU_CYCLE_1)
	s_mov_b32 s30, exec_lo
	v_cmpx_lt_u32_e64 v70, v97
	s_cbranch_execnz .LBB1952_155
.LBB1952_121:                           ;   in Loop: Header=BB1952_64 Depth=2
	s_wait_alu 0xfffe
	s_or_b32 exec_lo, exec_lo, s30
	s_delay_alu instid0(SALU_CYCLE_1)
	s_mov_b32 s30, exec_lo
	v_cmpx_lt_u32_e64 v71, v97
	s_cbranch_execnz .LBB1952_156
.LBB1952_122:                           ;   in Loop: Header=BB1952_64 Depth=2
	s_wait_alu 0xfffe
	s_or_b32 exec_lo, exec_lo, s30
	s_delay_alu instid0(SALU_CYCLE_1)
	s_mov_b32 s30, exec_lo
	v_cmpx_lt_u32_e64 v72, v97
	s_cbranch_execnz .LBB1952_157
.LBB1952_123:                           ;   in Loop: Header=BB1952_64 Depth=2
	s_wait_alu 0xfffe
	s_or_b32 exec_lo, exec_lo, s30
	s_delay_alu instid0(SALU_CYCLE_1)
	s_mov_b32 s30, exec_lo
	v_cmpx_lt_u32_e64 v73, v97
	s_cbranch_execnz .LBB1952_158
.LBB1952_124:                           ;   in Loop: Header=BB1952_64 Depth=2
	s_wait_alu 0xfffe
	s_or_b32 exec_lo, exec_lo, s30
	s_delay_alu instid0(SALU_CYCLE_1)
	s_mov_b32 s30, exec_lo
	v_cmpx_lt_u32_e64 v74, v97
	s_cbranch_execnz .LBB1952_159
.LBB1952_125:                           ;   in Loop: Header=BB1952_64 Depth=2
	s_wait_alu 0xfffe
	s_or_b32 exec_lo, exec_lo, s30
	s_delay_alu instid0(SALU_CYCLE_1)
	s_mov_b32 s30, exec_lo
	v_cmpx_lt_u32_e64 v75, v97
	s_cbranch_execnz .LBB1952_160
.LBB1952_126:                           ;   in Loop: Header=BB1952_64 Depth=2
	s_wait_alu 0xfffe
	s_or_b32 exec_lo, exec_lo, s30
	s_delay_alu instid0(SALU_CYCLE_1)
	s_mov_b32 s30, exec_lo
	v_cmpx_lt_u32_e64 v76, v97
	s_cbranch_execnz .LBB1952_161
.LBB1952_127:                           ;   in Loop: Header=BB1952_64 Depth=2
	s_wait_alu 0xfffe
	s_or_b32 exec_lo, exec_lo, s30
	s_and_saveexec_b32 s30, vcc_lo
	s_cbranch_execnz .LBB1952_162
.LBB1952_128:                           ;   in Loop: Header=BB1952_64 Depth=2
	s_wait_alu 0xfffe
	s_or_b32 exec_lo, exec_lo, s30
	s_and_saveexec_b32 s30, s15
	s_cbranch_execnz .LBB1952_163
.LBB1952_129:                           ;   in Loop: Header=BB1952_64 Depth=2
	s_wait_alu 0xfffe
	s_or_b32 exec_lo, exec_lo, s30
	s_and_saveexec_b32 s30, s16
	s_cbranch_execnz .LBB1952_164
.LBB1952_130:                           ;   in Loop: Header=BB1952_64 Depth=2
	s_wait_alu 0xfffe
	s_or_b32 exec_lo, exec_lo, s30
	s_and_saveexec_b32 s30, s17
	s_cbranch_execnz .LBB1952_165
.LBB1952_131:                           ;   in Loop: Header=BB1952_64 Depth=2
	s_wait_alu 0xfffe
	s_or_b32 exec_lo, exec_lo, s30
	s_and_saveexec_b32 s30, s18
	s_cbranch_execnz .LBB1952_166
.LBB1952_132:                           ;   in Loop: Header=BB1952_64 Depth=2
	s_wait_alu 0xfffe
	s_or_b32 exec_lo, exec_lo, s30
	s_and_saveexec_b32 s30, s19
	s_cbranch_execnz .LBB1952_167
.LBB1952_133:                           ;   in Loop: Header=BB1952_64 Depth=2
	s_wait_alu 0xfffe
	s_or_b32 exec_lo, exec_lo, s30
	s_and_saveexec_b32 s30, s20
	s_cbranch_execnz .LBB1952_168
.LBB1952_134:                           ;   in Loop: Header=BB1952_64 Depth=2
	s_wait_alu 0xfffe
	s_or_b32 exec_lo, exec_lo, s30
	s_and_saveexec_b32 s30, s21
	s_cbranch_execz .LBB1952_136
.LBB1952_135:                           ;   in Loop: Header=BB1952_64 Depth=2
	ds_load_u16 v2, v47 offset:4608
	s_wait_dscnt 0x0
	v_cmp_ne_u16_e64 s22, 0x8000, v2
	s_wait_alu 0xf1ff
	s_delay_alu instid0(VALU_DEP_1) | instskip(NEXT) | instid1(VALU_DEP_1)
	v_cndmask_b32_e64 v2, 0x7fff, v2, s22
	v_and_b32_e32 v2, 0xffff, v2
	s_delay_alu instid0(VALU_DEP_1) | instskip(NEXT) | instid1(VALU_DEP_1)
	v_lshrrev_b32_e32 v2, s23, v2
	v_and_b32_e32 v89, s42, v2
.LBB1952_136:                           ;   in Loop: Header=BB1952_64 Depth=2
	s_wait_alu 0xfffe
	s_or_b32 exec_lo, exec_lo, s30
	v_lshlrev_b32_e32 v2, 3, v104
	v_lshlrev_b32_e32 v20, 3, v100
	;; [unrolled: 1-line block ×3, first 2 shown]
	s_wait_loadcnt 0x0
	s_wait_storecnt 0x0
	s_barrier_signal -1
	s_barrier_wait -1
	global_inv scope:SCOPE_SE
	ds_store_b64 v2, v[18:19] offset:1024
	ds_store_b64 v20, v[16:17] offset:1024
	;; [unrolled: 1-line block ×3, first 2 shown]
	v_lshlrev_b32_e32 v2, 3, v25
	v_lshlrev_b32_e32 v20, 3, v24
	;; [unrolled: 1-line block ×5, first 2 shown]
	ds_store_b64 v2, v[12:13] offset:1024
	ds_store_b64 v20, v[10:11] offset:1024
	;; [unrolled: 1-line block ×5, first 2 shown]
	s_wait_loadcnt_dscnt 0x0
	s_barrier_signal -1
	s_barrier_wait -1
	global_inv scope:SCOPE_SE
	s_and_saveexec_b32 s22, vcc_lo
	s_cbranch_execnz .LBB1952_169
; %bb.137:                              ;   in Loop: Header=BB1952_64 Depth=2
	s_wait_alu 0xfffe
	s_or_b32 exec_lo, exec_lo, s22
	s_and_saveexec_b32 s22, s15
	s_cbranch_execnz .LBB1952_170
.LBB1952_138:                           ;   in Loop: Header=BB1952_64 Depth=2
	s_wait_alu 0xfffe
	s_or_b32 exec_lo, exec_lo, s22
	s_and_saveexec_b32 s15, s16
	s_cbranch_execnz .LBB1952_171
.LBB1952_139:                           ;   in Loop: Header=BB1952_64 Depth=2
	s_wait_alu 0xfffe
	s_or_b32 exec_lo, exec_lo, s15
	s_and_saveexec_b32 s15, s17
	s_cbranch_execnz .LBB1952_172
.LBB1952_140:                           ;   in Loop: Header=BB1952_64 Depth=2
	s_wait_alu 0xfffe
	s_or_b32 exec_lo, exec_lo, s15
	s_and_saveexec_b32 s15, s18
	s_cbranch_execnz .LBB1952_173
.LBB1952_141:                           ;   in Loop: Header=BB1952_64 Depth=2
	s_wait_alu 0xfffe
	s_or_b32 exec_lo, exec_lo, s15
	s_and_saveexec_b32 s15, s19
	s_cbranch_execnz .LBB1952_174
.LBB1952_142:                           ;   in Loop: Header=BB1952_64 Depth=2
	s_wait_alu 0xfffe
	s_or_b32 exec_lo, exec_lo, s15
	s_and_saveexec_b32 s15, s20
	s_cbranch_execnz .LBB1952_175
.LBB1952_143:                           ;   in Loop: Header=BB1952_64 Depth=2
	s_wait_alu 0xfffe
	s_or_b32 exec_lo, exec_lo, s15
	s_and_saveexec_b32 s15, s21
	s_cbranch_execz .LBB1952_145
.LBB1952_144:                           ;   in Loop: Header=BB1952_64 Depth=2
	v_lshlrev_b32_e32 v2, 2, v89
	v_add_nc_u32_e32 v20, v47, v48
	ds_load_b32 v2, v2
	ds_load_b64 v[20:21], v20 offset:15360
	s_wait_dscnt 0x1
	v_add_nc_u32_e32 v2, v2, v37
	s_delay_alu instid0(VALU_DEP_1) | instskip(NEXT) | instid1(VALU_DEP_1)
	v_lshlrev_b64_e32 v[23:24], 3, v[2:3]
	v_add_co_u32 v23, vcc_lo, s24, v23
	s_wait_alu 0xfffd
	s_delay_alu instid0(VALU_DEP_2)
	v_add_co_ci_u32_e64 v24, null, s25, v24, vcc_lo
	s_wait_dscnt 0x0
	global_store_b64 v[23:24], v[20:21], off
.LBB1952_145:                           ;   in Loop: Header=BB1952_64 Depth=2
	s_wait_alu 0xfffe
	s_or_b32 exec_lo, exec_lo, s15
	s_wait_loadcnt 0x0
	s_wait_storecnt 0x0
	s_barrier_signal -1
	s_barrier_wait -1
	global_inv scope:SCOPE_SE
	s_and_saveexec_b32 s15, s2
	s_cbranch_execz .LBB1952_63
; %bb.146:                              ;   in Loop: Header=BB1952_64 Depth=2
	ds_load_b32 v2, v28
	s_wait_dscnt 0x0
	v_add_nc_u32_e32 v2, v2, v22
	ds_store_b32 v28, v2
	s_branch .LBB1952_63
.LBB1952_147:                           ;   in Loop: Header=BB1952_64 Depth=2
	ds_load_u16 v99, v47 offset:1024
	s_wait_dscnt 0x0
	v_cmp_ne_u16_e64 s15, 0x8000, v99
	s_wait_alu 0xf1ff
	s_delay_alu instid0(VALU_DEP_1) | instskip(SKIP_1) | instid1(VALU_DEP_2)
	v_cndmask_b32_e64 v2, 0x7fff, v99, s15
	v_cmp_gt_i16_e64 s15, 0, v99
	v_and_b32_e32 v2, 0xffff, v2
	s_wait_alu 0xf1ff
	s_delay_alu instid0(VALU_DEP_2) | instskip(NEXT) | instid1(VALU_DEP_2)
	v_cndmask_b32_e64 v101, 0x7fff, 0, s15
	v_lshrrev_b32_e32 v2, s23, v2
	s_delay_alu instid0(VALU_DEP_1) | instskip(NEXT) | instid1(VALU_DEP_1)
	v_and_b32_e32 v2, s42, v2
	v_lshlrev_b32_e32 v2, 2, v2
	ds_load_b32 v2, v2
	s_wait_dscnt 0x0
	v_add_nc_u32_e32 v2, v2, v1
	s_delay_alu instid0(VALU_DEP_1) | instskip(SKIP_1) | instid1(VALU_DEP_2)
	v_lshlrev_b64_e32 v[20:21], 1, v[2:3]
	v_xor_b32_e32 v2, v101, v99
	v_add_co_u32 v20, s15, s38, v20
	s_wait_alu 0xf1ff
	s_delay_alu instid0(VALU_DEP_3)
	v_add_co_ci_u32_e64 v21, null, s39, v21, s15
	global_store_b16 v[20:21], v2, off
	s_wait_alu 0xfffe
	s_or_b32 exec_lo, exec_lo, s16
	v_cmp_lt_u32_e64 s15, v29, v97
	s_and_saveexec_b32 s17, s15
	s_cbranch_execz .LBB1952_112
.LBB1952_148:                           ;   in Loop: Header=BB1952_64 Depth=2
	ds_load_u16 v99, v47 offset:1536
	s_wait_dscnt 0x0
	v_cmp_ne_u16_e64 s16, 0x8000, v99
	s_wait_alu 0xf1ff
	s_delay_alu instid0(VALU_DEP_1) | instskip(SKIP_1) | instid1(VALU_DEP_2)
	v_cndmask_b32_e64 v2, 0x7fff, v99, s16
	v_cmp_gt_i16_e64 s16, 0, v99
	v_and_b32_e32 v2, 0xffff, v2
	s_wait_alu 0xf1ff
	s_delay_alu instid0(VALU_DEP_2) | instskip(NEXT) | instid1(VALU_DEP_2)
	v_cndmask_b32_e64 v101, 0x7fff, 0, s16
	v_lshrrev_b32_e32 v2, s23, v2
	s_delay_alu instid0(VALU_DEP_1) | instskip(NEXT) | instid1(VALU_DEP_1)
	v_and_b32_e32 v2, s42, v2
	v_lshlrev_b32_e32 v2, 2, v2
	ds_load_b32 v2, v2
	s_wait_dscnt 0x0
	v_add_nc_u32_e32 v2, v2, v29
	s_delay_alu instid0(VALU_DEP_1) | instskip(SKIP_1) | instid1(VALU_DEP_2)
	v_lshlrev_b64_e32 v[20:21], 1, v[2:3]
	v_xor_b32_e32 v2, v101, v99
	v_add_co_u32 v20, s16, s38, v20
	s_wait_alu 0xf1ff
	s_delay_alu instid0(VALU_DEP_3)
	v_add_co_ci_u32_e64 v21, null, s39, v21, s16
	global_store_b16 v[20:21], v2, off
	s_wait_alu 0xfffe
	s_or_b32 exec_lo, exec_lo, s17
	v_cmp_lt_u32_e64 s16, v30, v97
	s_and_saveexec_b32 s18, s16
	s_cbranch_execz .LBB1952_113
.LBB1952_149:                           ;   in Loop: Header=BB1952_64 Depth=2
	ds_load_u16 v99, v47 offset:2048
	s_wait_dscnt 0x0
	v_cmp_ne_u16_e64 s17, 0x8000, v99
	s_wait_alu 0xf1ff
	s_delay_alu instid0(VALU_DEP_1) | instskip(SKIP_1) | instid1(VALU_DEP_2)
	v_cndmask_b32_e64 v2, 0x7fff, v99, s17
	v_cmp_gt_i16_e64 s17, 0, v99
	v_and_b32_e32 v2, 0xffff, v2
	s_wait_alu 0xf1ff
	s_delay_alu instid0(VALU_DEP_2) | instskip(NEXT) | instid1(VALU_DEP_2)
	v_cndmask_b32_e64 v101, 0x7fff, 0, s17
	v_lshrrev_b32_e32 v2, s23, v2
	s_delay_alu instid0(VALU_DEP_1) | instskip(NEXT) | instid1(VALU_DEP_1)
	v_and_b32_e32 v2, s42, v2
	v_lshlrev_b32_e32 v2, 2, v2
	ds_load_b32 v2, v2
	s_wait_dscnt 0x0
	v_add_nc_u32_e32 v2, v2, v30
	s_delay_alu instid0(VALU_DEP_1) | instskip(SKIP_1) | instid1(VALU_DEP_2)
	v_lshlrev_b64_e32 v[20:21], 1, v[2:3]
	v_xor_b32_e32 v2, v101, v99
	v_add_co_u32 v20, s17, s38, v20
	s_wait_alu 0xf1ff
	s_delay_alu instid0(VALU_DEP_3)
	v_add_co_ci_u32_e64 v21, null, s39, v21, s17
	global_store_b16 v[20:21], v2, off
	s_wait_alu 0xfffe
	s_or_b32 exec_lo, exec_lo, s18
	v_cmp_lt_u32_e64 s17, v31, v97
	s_and_saveexec_b32 s19, s17
	s_cbranch_execz .LBB1952_114
.LBB1952_150:                           ;   in Loop: Header=BB1952_64 Depth=2
	ds_load_u16 v99, v47 offset:2560
	s_wait_dscnt 0x0
	v_cmp_ne_u16_e64 s18, 0x8000, v99
	s_wait_alu 0xf1ff
	s_delay_alu instid0(VALU_DEP_1) | instskip(SKIP_1) | instid1(VALU_DEP_2)
	v_cndmask_b32_e64 v2, 0x7fff, v99, s18
	v_cmp_gt_i16_e64 s18, 0, v99
	v_and_b32_e32 v2, 0xffff, v2
	s_wait_alu 0xf1ff
	s_delay_alu instid0(VALU_DEP_2) | instskip(NEXT) | instid1(VALU_DEP_2)
	v_cndmask_b32_e64 v101, 0x7fff, 0, s18
	v_lshrrev_b32_e32 v2, s23, v2
	s_delay_alu instid0(VALU_DEP_1) | instskip(NEXT) | instid1(VALU_DEP_1)
	v_and_b32_e32 v2, s42, v2
	v_lshlrev_b32_e32 v2, 2, v2
	ds_load_b32 v2, v2
	s_wait_dscnt 0x0
	v_add_nc_u32_e32 v2, v2, v31
	s_delay_alu instid0(VALU_DEP_1) | instskip(SKIP_1) | instid1(VALU_DEP_2)
	v_lshlrev_b64_e32 v[20:21], 1, v[2:3]
	v_xor_b32_e32 v2, v101, v99
	v_add_co_u32 v20, s18, s38, v20
	s_wait_alu 0xf1ff
	s_delay_alu instid0(VALU_DEP_3)
	v_add_co_ci_u32_e64 v21, null, s39, v21, s18
	global_store_b16 v[20:21], v2, off
	s_wait_alu 0xfffe
	s_or_b32 exec_lo, exec_lo, s19
	v_cmp_lt_u32_e64 s18, v34, v97
	s_and_saveexec_b32 s20, s18
	s_cbranch_execz .LBB1952_115
.LBB1952_151:                           ;   in Loop: Header=BB1952_64 Depth=2
	ds_load_u16 v99, v47 offset:3072
	s_wait_dscnt 0x0
	v_cmp_ne_u16_e64 s19, 0x8000, v99
	s_wait_alu 0xf1ff
	s_delay_alu instid0(VALU_DEP_1) | instskip(SKIP_1) | instid1(VALU_DEP_2)
	v_cndmask_b32_e64 v2, 0x7fff, v99, s19
	v_cmp_gt_i16_e64 s19, 0, v99
	v_and_b32_e32 v2, 0xffff, v2
	s_wait_alu 0xf1ff
	s_delay_alu instid0(VALU_DEP_2) | instskip(NEXT) | instid1(VALU_DEP_2)
	v_cndmask_b32_e64 v101, 0x7fff, 0, s19
	v_lshrrev_b32_e32 v2, s23, v2
	s_delay_alu instid0(VALU_DEP_1) | instskip(NEXT) | instid1(VALU_DEP_1)
	v_and_b32_e32 v2, s42, v2
	v_lshlrev_b32_e32 v2, 2, v2
	ds_load_b32 v2, v2
	s_wait_dscnt 0x0
	v_add_nc_u32_e32 v2, v2, v34
	s_delay_alu instid0(VALU_DEP_1) | instskip(SKIP_1) | instid1(VALU_DEP_2)
	v_lshlrev_b64_e32 v[20:21], 1, v[2:3]
	v_xor_b32_e32 v2, v101, v99
	v_add_co_u32 v20, s19, s38, v20
	s_wait_alu 0xf1ff
	s_delay_alu instid0(VALU_DEP_3)
	v_add_co_ci_u32_e64 v21, null, s39, v21, s19
	global_store_b16 v[20:21], v2, off
	s_wait_alu 0xfffe
	s_or_b32 exec_lo, exec_lo, s20
	v_cmp_lt_u32_e64 s19, v35, v97
	s_and_saveexec_b32 s21, s19
	s_cbranch_execz .LBB1952_116
.LBB1952_152:                           ;   in Loop: Header=BB1952_64 Depth=2
	ds_load_u16 v99, v47 offset:3584
	s_wait_dscnt 0x0
	v_cmp_ne_u16_e64 s20, 0x8000, v99
	s_wait_alu 0xf1ff
	s_delay_alu instid0(VALU_DEP_1) | instskip(SKIP_1) | instid1(VALU_DEP_2)
	v_cndmask_b32_e64 v2, 0x7fff, v99, s20
	v_cmp_gt_i16_e64 s20, 0, v99
	v_and_b32_e32 v2, 0xffff, v2
	s_wait_alu 0xf1ff
	s_delay_alu instid0(VALU_DEP_2) | instskip(NEXT) | instid1(VALU_DEP_2)
	v_cndmask_b32_e64 v101, 0x7fff, 0, s20
	v_lshrrev_b32_e32 v2, s23, v2
	s_delay_alu instid0(VALU_DEP_1) | instskip(NEXT) | instid1(VALU_DEP_1)
	v_and_b32_e32 v2, s42, v2
	v_lshlrev_b32_e32 v2, 2, v2
	ds_load_b32 v2, v2
	s_wait_dscnt 0x0
	v_add_nc_u32_e32 v2, v2, v35
	s_delay_alu instid0(VALU_DEP_1) | instskip(SKIP_1) | instid1(VALU_DEP_2)
	v_lshlrev_b64_e32 v[20:21], 1, v[2:3]
	v_xor_b32_e32 v2, v101, v99
	v_add_co_u32 v20, s20, s38, v20
	s_wait_alu 0xf1ff
	s_delay_alu instid0(VALU_DEP_3)
	v_add_co_ci_u32_e64 v21, null, s39, v21, s20
	global_store_b16 v[20:21], v2, off
	s_wait_alu 0xfffe
	s_or_b32 exec_lo, exec_lo, s21
	v_cmp_lt_u32_e64 s20, v36, v97
	s_and_saveexec_b32 s22, s20
	s_cbranch_execz .LBB1952_117
.LBB1952_153:                           ;   in Loop: Header=BB1952_64 Depth=2
	ds_load_u16 v99, v47 offset:4096
	s_wait_dscnt 0x0
	v_cmp_ne_u16_e64 s21, 0x8000, v99
	s_wait_alu 0xf1ff
	s_delay_alu instid0(VALU_DEP_1) | instskip(SKIP_1) | instid1(VALU_DEP_2)
	v_cndmask_b32_e64 v2, 0x7fff, v99, s21
	v_cmp_gt_i16_e64 s21, 0, v99
	v_and_b32_e32 v2, 0xffff, v2
	s_wait_alu 0xf1ff
	s_delay_alu instid0(VALU_DEP_2) | instskip(NEXT) | instid1(VALU_DEP_2)
	v_cndmask_b32_e64 v101, 0x7fff, 0, s21
	v_lshrrev_b32_e32 v2, s23, v2
	s_delay_alu instid0(VALU_DEP_1) | instskip(NEXT) | instid1(VALU_DEP_1)
	v_and_b32_e32 v2, s42, v2
	v_lshlrev_b32_e32 v2, 2, v2
	ds_load_b32 v2, v2
	s_wait_dscnt 0x0
	v_add_nc_u32_e32 v2, v2, v36
	s_delay_alu instid0(VALU_DEP_1) | instskip(SKIP_1) | instid1(VALU_DEP_2)
	v_lshlrev_b64_e32 v[20:21], 1, v[2:3]
	v_xor_b32_e32 v2, v101, v99
	v_add_co_u32 v20, s21, s38, v20
	s_wait_alu 0xf1ff
	s_delay_alu instid0(VALU_DEP_3)
	v_add_co_ci_u32_e64 v21, null, s39, v21, s21
	global_store_b16 v[20:21], v2, off
	s_wait_alu 0xfffe
	s_or_b32 exec_lo, exec_lo, s22
	v_cmp_lt_u32_e64 s21, v37, v97
	s_and_saveexec_b32 s48, s21
	s_cbranch_execnz .LBB1952_118
	s_branch .LBB1952_119
.LBB1952_154:                           ;   in Loop: Header=BB1952_64 Depth=2
	global_load_b64 v[18:19], v[20:21], off
	s_wait_alu 0xfffe
	s_or_b32 exec_lo, exec_lo, s22
	s_delay_alu instid0(SALU_CYCLE_1)
	s_mov_b32 s30, exec_lo
	v_cmpx_lt_u32_e64 v70, v97
	s_cbranch_execz .LBB1952_121
.LBB1952_155:                           ;   in Loop: Header=BB1952_64 Depth=2
	global_load_b64 v[16:17], v[20:21], off offset:256
	s_wait_alu 0xfffe
	s_or_b32 exec_lo, exec_lo, s30
	s_delay_alu instid0(SALU_CYCLE_1)
	s_mov_b32 s30, exec_lo
	v_cmpx_lt_u32_e64 v71, v97
	s_cbranch_execz .LBB1952_122
.LBB1952_156:                           ;   in Loop: Header=BB1952_64 Depth=2
	global_load_b64 v[14:15], v[20:21], off offset:512
	s_wait_alu 0xfffe
	s_or_b32 exec_lo, exec_lo, s30
	s_delay_alu instid0(SALU_CYCLE_1)
	s_mov_b32 s30, exec_lo
	v_cmpx_lt_u32_e64 v72, v97
	s_cbranch_execz .LBB1952_123
.LBB1952_157:                           ;   in Loop: Header=BB1952_64 Depth=2
	global_load_b64 v[12:13], v[20:21], off offset:768
	s_wait_alu 0xfffe
	s_or_b32 exec_lo, exec_lo, s30
	s_delay_alu instid0(SALU_CYCLE_1)
	s_mov_b32 s30, exec_lo
	v_cmpx_lt_u32_e64 v73, v97
	s_cbranch_execz .LBB1952_124
.LBB1952_158:                           ;   in Loop: Header=BB1952_64 Depth=2
	global_load_b64 v[10:11], v[20:21], off offset:1024
	s_wait_alu 0xfffe
	s_or_b32 exec_lo, exec_lo, s30
	s_delay_alu instid0(SALU_CYCLE_1)
	s_mov_b32 s30, exec_lo
	v_cmpx_lt_u32_e64 v74, v97
	s_cbranch_execz .LBB1952_125
.LBB1952_159:                           ;   in Loop: Header=BB1952_64 Depth=2
	global_load_b64 v[8:9], v[20:21], off offset:1280
	s_wait_alu 0xfffe
	s_or_b32 exec_lo, exec_lo, s30
	s_delay_alu instid0(SALU_CYCLE_1)
	s_mov_b32 s30, exec_lo
	v_cmpx_lt_u32_e64 v75, v97
	s_cbranch_execz .LBB1952_126
.LBB1952_160:                           ;   in Loop: Header=BB1952_64 Depth=2
	global_load_b64 v[6:7], v[20:21], off offset:1536
	s_wait_alu 0xfffe
	s_or_b32 exec_lo, exec_lo, s30
	s_delay_alu instid0(SALU_CYCLE_1)
	s_mov_b32 s30, exec_lo
	v_cmpx_lt_u32_e64 v76, v97
	s_cbranch_execz .LBB1952_127
.LBB1952_161:                           ;   in Loop: Header=BB1952_64 Depth=2
	global_load_b64 v[4:5], v[20:21], off offset:1792
	s_wait_alu 0xfffe
	s_or_b32 exec_lo, exec_lo, s30
	s_and_saveexec_b32 s30, vcc_lo
	s_cbranch_execz .LBB1952_128
.LBB1952_162:                           ;   in Loop: Header=BB1952_64 Depth=2
	ds_load_u16 v2, v47 offset:1024
	s_wait_dscnt 0x0
	v_cmp_ne_u16_e64 s22, 0x8000, v2
	s_wait_alu 0xf1ff
	s_delay_alu instid0(VALU_DEP_1) | instskip(NEXT) | instid1(VALU_DEP_1)
	v_cndmask_b32_e64 v2, 0x7fff, v2, s22
	v_and_b32_e32 v2, 0xffff, v2
	s_delay_alu instid0(VALU_DEP_1) | instskip(NEXT) | instid1(VALU_DEP_1)
	v_lshrrev_b32_e32 v2, s23, v2
	v_and_b32_e32 v96, s42, v2
	s_wait_alu 0xfffe
	s_or_b32 exec_lo, exec_lo, s30
	s_and_saveexec_b32 s30, s15
	s_cbranch_execz .LBB1952_129
.LBB1952_163:                           ;   in Loop: Header=BB1952_64 Depth=2
	ds_load_u16 v2, v47 offset:1536
	s_wait_dscnt 0x0
	v_cmp_ne_u16_e64 s22, 0x8000, v2
	s_wait_alu 0xf1ff
	s_delay_alu instid0(VALU_DEP_1) | instskip(NEXT) | instid1(VALU_DEP_1)
	v_cndmask_b32_e64 v2, 0x7fff, v2, s22
	v_and_b32_e32 v2, 0xffff, v2
	s_delay_alu instid0(VALU_DEP_1) | instskip(NEXT) | instid1(VALU_DEP_1)
	v_lshrrev_b32_e32 v2, s23, v2
	v_and_b32_e32 v95, s42, v2
	s_wait_alu 0xfffe
	s_or_b32 exec_lo, exec_lo, s30
	s_and_saveexec_b32 s30, s16
	s_cbranch_execz .LBB1952_130
.LBB1952_164:                           ;   in Loop: Header=BB1952_64 Depth=2
	ds_load_u16 v2, v47 offset:2048
	s_wait_dscnt 0x0
	v_cmp_ne_u16_e64 s22, 0x8000, v2
	s_wait_alu 0xf1ff
	s_delay_alu instid0(VALU_DEP_1) | instskip(NEXT) | instid1(VALU_DEP_1)
	v_cndmask_b32_e64 v2, 0x7fff, v2, s22
	v_and_b32_e32 v2, 0xffff, v2
	s_delay_alu instid0(VALU_DEP_1) | instskip(NEXT) | instid1(VALU_DEP_1)
	v_lshrrev_b32_e32 v2, s23, v2
	v_and_b32_e32 v94, s42, v2
	s_wait_alu 0xfffe
	s_or_b32 exec_lo, exec_lo, s30
	s_and_saveexec_b32 s30, s17
	s_cbranch_execz .LBB1952_131
.LBB1952_165:                           ;   in Loop: Header=BB1952_64 Depth=2
	ds_load_u16 v2, v47 offset:2560
	s_wait_dscnt 0x0
	v_cmp_ne_u16_e64 s22, 0x8000, v2
	s_wait_alu 0xf1ff
	s_delay_alu instid0(VALU_DEP_1) | instskip(NEXT) | instid1(VALU_DEP_1)
	v_cndmask_b32_e64 v2, 0x7fff, v2, s22
	v_and_b32_e32 v2, 0xffff, v2
	s_delay_alu instid0(VALU_DEP_1) | instskip(NEXT) | instid1(VALU_DEP_1)
	v_lshrrev_b32_e32 v2, s23, v2
	v_and_b32_e32 v93, s42, v2
	s_wait_alu 0xfffe
	s_or_b32 exec_lo, exec_lo, s30
	s_and_saveexec_b32 s30, s18
	s_cbranch_execz .LBB1952_132
.LBB1952_166:                           ;   in Loop: Header=BB1952_64 Depth=2
	ds_load_u16 v2, v47 offset:3072
	s_wait_dscnt 0x0
	v_cmp_ne_u16_e64 s22, 0x8000, v2
	s_wait_alu 0xf1ff
	s_delay_alu instid0(VALU_DEP_1) | instskip(NEXT) | instid1(VALU_DEP_1)
	v_cndmask_b32_e64 v2, 0x7fff, v2, s22
	v_and_b32_e32 v2, 0xffff, v2
	s_delay_alu instid0(VALU_DEP_1) | instskip(NEXT) | instid1(VALU_DEP_1)
	v_lshrrev_b32_e32 v2, s23, v2
	v_and_b32_e32 v92, s42, v2
	s_wait_alu 0xfffe
	s_or_b32 exec_lo, exec_lo, s30
	s_and_saveexec_b32 s30, s19
	s_cbranch_execz .LBB1952_133
.LBB1952_167:                           ;   in Loop: Header=BB1952_64 Depth=2
	ds_load_u16 v2, v47 offset:3584
	s_wait_dscnt 0x0
	v_cmp_ne_u16_e64 s22, 0x8000, v2
	s_wait_alu 0xf1ff
	s_delay_alu instid0(VALU_DEP_1) | instskip(NEXT) | instid1(VALU_DEP_1)
	v_cndmask_b32_e64 v2, 0x7fff, v2, s22
	v_and_b32_e32 v2, 0xffff, v2
	s_delay_alu instid0(VALU_DEP_1) | instskip(NEXT) | instid1(VALU_DEP_1)
	v_lshrrev_b32_e32 v2, s23, v2
	v_and_b32_e32 v91, s42, v2
	s_wait_alu 0xfffe
	s_or_b32 exec_lo, exec_lo, s30
	s_and_saveexec_b32 s30, s20
	s_cbranch_execz .LBB1952_134
.LBB1952_168:                           ;   in Loop: Header=BB1952_64 Depth=2
	ds_load_u16 v2, v47 offset:4096
	s_wait_dscnt 0x0
	v_cmp_ne_u16_e64 s22, 0x8000, v2
	s_wait_alu 0xf1ff
	s_delay_alu instid0(VALU_DEP_1) | instskip(NEXT) | instid1(VALU_DEP_1)
	v_cndmask_b32_e64 v2, 0x7fff, v2, s22
	v_and_b32_e32 v2, 0xffff, v2
	s_delay_alu instid0(VALU_DEP_1) | instskip(NEXT) | instid1(VALU_DEP_1)
	v_lshrrev_b32_e32 v2, s23, v2
	v_and_b32_e32 v90, s42, v2
	s_wait_alu 0xfffe
	s_or_b32 exec_lo, exec_lo, s30
	s_and_saveexec_b32 s30, s21
	s_cbranch_execnz .LBB1952_135
	s_branch .LBB1952_136
.LBB1952_169:                           ;   in Loop: Header=BB1952_64 Depth=2
	v_lshlrev_b32_e32 v2, 2, v96
	v_add_nc_u32_e32 v20, v47, v48
	ds_load_b32 v2, v2
	ds_load_b64 v[20:21], v20 offset:1024
	s_wait_dscnt 0x1
	v_add_nc_u32_e32 v2, v2, v1
	s_delay_alu instid0(VALU_DEP_1) | instskip(NEXT) | instid1(VALU_DEP_1)
	v_lshlrev_b64_e32 v[23:24], 3, v[2:3]
	v_add_co_u32 v23, vcc_lo, s24, v23
	s_wait_alu 0xfffd
	s_delay_alu instid0(VALU_DEP_2)
	v_add_co_ci_u32_e64 v24, null, s25, v24, vcc_lo
	s_wait_dscnt 0x0
	global_store_b64 v[23:24], v[20:21], off
	s_wait_alu 0xfffe
	s_or_b32 exec_lo, exec_lo, s22
	s_and_saveexec_b32 s22, s15
	s_cbranch_execz .LBB1952_138
.LBB1952_170:                           ;   in Loop: Header=BB1952_64 Depth=2
	v_lshlrev_b32_e32 v2, 2, v95
	v_add_nc_u32_e32 v20, v47, v48
	ds_load_b32 v2, v2
	ds_load_b64 v[20:21], v20 offset:3072
	s_wait_dscnt 0x1
	v_add_nc_u32_e32 v2, v2, v29
	s_delay_alu instid0(VALU_DEP_1) | instskip(NEXT) | instid1(VALU_DEP_1)
	v_lshlrev_b64_e32 v[23:24], 3, v[2:3]
	v_add_co_u32 v23, vcc_lo, s24, v23
	s_wait_alu 0xfffd
	s_delay_alu instid0(VALU_DEP_2)
	v_add_co_ci_u32_e64 v24, null, s25, v24, vcc_lo
	s_wait_dscnt 0x0
	global_store_b64 v[23:24], v[20:21], off
	s_wait_alu 0xfffe
	s_or_b32 exec_lo, exec_lo, s22
	s_and_saveexec_b32 s15, s16
	s_cbranch_execz .LBB1952_139
.LBB1952_171:                           ;   in Loop: Header=BB1952_64 Depth=2
	v_lshlrev_b32_e32 v2, 2, v94
	v_add_nc_u32_e32 v20, v47, v48
	ds_load_b32 v2, v2
	ds_load_b64 v[20:21], v20 offset:5120
	s_wait_dscnt 0x1
	v_add_nc_u32_e32 v2, v2, v30
	s_delay_alu instid0(VALU_DEP_1) | instskip(NEXT) | instid1(VALU_DEP_1)
	v_lshlrev_b64_e32 v[23:24], 3, v[2:3]
	v_add_co_u32 v23, vcc_lo, s24, v23
	s_wait_alu 0xfffd
	s_delay_alu instid0(VALU_DEP_2)
	v_add_co_ci_u32_e64 v24, null, s25, v24, vcc_lo
	s_wait_dscnt 0x0
	global_store_b64 v[23:24], v[20:21], off
	s_wait_alu 0xfffe
	s_or_b32 exec_lo, exec_lo, s15
	s_and_saveexec_b32 s15, s17
	s_cbranch_execz .LBB1952_140
.LBB1952_172:                           ;   in Loop: Header=BB1952_64 Depth=2
	v_lshlrev_b32_e32 v2, 2, v93
	v_add_nc_u32_e32 v20, v47, v48
	ds_load_b32 v2, v2
	ds_load_b64 v[20:21], v20 offset:7168
	s_wait_dscnt 0x1
	v_add_nc_u32_e32 v2, v2, v31
	s_delay_alu instid0(VALU_DEP_1) | instskip(NEXT) | instid1(VALU_DEP_1)
	v_lshlrev_b64_e32 v[23:24], 3, v[2:3]
	v_add_co_u32 v23, vcc_lo, s24, v23
	s_wait_alu 0xfffd
	s_delay_alu instid0(VALU_DEP_2)
	v_add_co_ci_u32_e64 v24, null, s25, v24, vcc_lo
	s_wait_dscnt 0x0
	global_store_b64 v[23:24], v[20:21], off
	s_wait_alu 0xfffe
	s_or_b32 exec_lo, exec_lo, s15
	s_and_saveexec_b32 s15, s18
	s_cbranch_execz .LBB1952_141
.LBB1952_173:                           ;   in Loop: Header=BB1952_64 Depth=2
	v_lshlrev_b32_e32 v2, 2, v92
	v_add_nc_u32_e32 v20, v47, v48
	ds_load_b32 v2, v2
	ds_load_b64 v[20:21], v20 offset:9216
	s_wait_dscnt 0x1
	v_add_nc_u32_e32 v2, v2, v34
	s_delay_alu instid0(VALU_DEP_1) | instskip(NEXT) | instid1(VALU_DEP_1)
	v_lshlrev_b64_e32 v[23:24], 3, v[2:3]
	v_add_co_u32 v23, vcc_lo, s24, v23
	s_wait_alu 0xfffd
	s_delay_alu instid0(VALU_DEP_2)
	v_add_co_ci_u32_e64 v24, null, s25, v24, vcc_lo
	s_wait_dscnt 0x0
	global_store_b64 v[23:24], v[20:21], off
	s_wait_alu 0xfffe
	s_or_b32 exec_lo, exec_lo, s15
	s_and_saveexec_b32 s15, s19
	s_cbranch_execz .LBB1952_142
.LBB1952_174:                           ;   in Loop: Header=BB1952_64 Depth=2
	v_lshlrev_b32_e32 v2, 2, v91
	v_add_nc_u32_e32 v20, v47, v48
	ds_load_b32 v2, v2
	ds_load_b64 v[20:21], v20 offset:11264
	s_wait_dscnt 0x1
	v_add_nc_u32_e32 v2, v2, v35
	s_delay_alu instid0(VALU_DEP_1) | instskip(NEXT) | instid1(VALU_DEP_1)
	v_lshlrev_b64_e32 v[23:24], 3, v[2:3]
	v_add_co_u32 v23, vcc_lo, s24, v23
	s_wait_alu 0xfffd
	s_delay_alu instid0(VALU_DEP_2)
	v_add_co_ci_u32_e64 v24, null, s25, v24, vcc_lo
	s_wait_dscnt 0x0
	global_store_b64 v[23:24], v[20:21], off
	s_wait_alu 0xfffe
	s_or_b32 exec_lo, exec_lo, s15
	s_and_saveexec_b32 s15, s20
	s_cbranch_execz .LBB1952_143
.LBB1952_175:                           ;   in Loop: Header=BB1952_64 Depth=2
	v_lshlrev_b32_e32 v2, 2, v90
	v_add_nc_u32_e32 v20, v47, v48
	ds_load_b32 v2, v2
	ds_load_b64 v[20:21], v20 offset:13312
	s_wait_dscnt 0x1
	v_add_nc_u32_e32 v2, v2, v36
	s_delay_alu instid0(VALU_DEP_1) | instskip(NEXT) | instid1(VALU_DEP_1)
	v_lshlrev_b64_e32 v[23:24], 3, v[2:3]
	v_add_co_u32 v23, vcc_lo, s24, v23
	s_wait_alu 0xfffd
	s_delay_alu instid0(VALU_DEP_2)
	v_add_co_ci_u32_e64 v24, null, s25, v24, vcc_lo
	s_wait_dscnt 0x0
	global_store_b64 v[23:24], v[20:21], off
	s_wait_alu 0xfffe
	s_or_b32 exec_lo, exec_lo, s15
	s_and_saveexec_b32 s15, s21
	s_cbranch_execnz .LBB1952_144
	s_branch .LBB1952_145
.LBB1952_176:                           ;   in Loop: Header=BB1952_12 Depth=1
	s_wait_loadcnt_dscnt 0x0
	s_barrier_signal -1
	s_mov_b32 s0, 0
	s_barrier_wait -1
.LBB1952_177:                           ;   in Loop: Header=BB1952_12 Depth=1
	s_wait_alu 0xfffe
	s_and_b32 vcc_lo, exec_lo, s0
	s_wait_alu 0xfffe
	s_cbranch_vccz .LBB1952_341
; %bb.178:                              ;   in Loop: Header=BB1952_12 Depth=1
	s_mov_b32 s9, s47
	s_mov_b32 s30, s33
	s_barrier_signal -1
	s_barrier_wait -1
	global_inv scope:SCOPE_SE
                                        ; implicit-def: $vgpr2
                                        ; implicit-def: $vgpr4
                                        ; implicit-def: $vgpr5
                                        ; implicit-def: $vgpr6
                                        ; implicit-def: $vgpr7
                                        ; implicit-def: $vgpr8
                                        ; implicit-def: $vgpr9
                                        ; implicit-def: $vgpr10
	s_branch .LBB1952_180
.LBB1952_179:                           ;   in Loop: Header=BB1952_180 Depth=2
	s_wait_alu 0xfffe
	s_or_b32 exec_lo, exec_lo, s0
	s_addk_co_i32 s9, 0xf800
	s_cmp_ge_u32 s10, s34
	s_mov_b32 s30, s10
	s_cbranch_scc1 .LBB1952_216
.LBB1952_180:                           ;   Parent Loop BB1952_12 Depth=1
                                        ; =>  This Inner Loop Header: Depth=2
	s_wait_alu 0xfffe
	s_add_co_i32 s10, s30, 0x800
	s_mov_b32 s0, -1
	s_wait_alu 0xfffe
	s_cmp_gt_u32 s10, s34
                                        ; implicit-def: $vgpr11
                                        ; implicit-def: $vgpr12
                                        ; implicit-def: $vgpr13
                                        ; implicit-def: $vgpr14
                                        ; implicit-def: $vgpr15
                                        ; implicit-def: $vgpr16
                                        ; implicit-def: $vgpr17
                                        ; implicit-def: $vgpr18
	s_cbranch_scc1 .LBB1952_182
; %bb.181:                              ;   in Loop: Header=BB1952_180 Depth=2
	s_lshl_b64 s[0:1], s[30:31], 1
	s_wait_alu 0xfffe
	v_add_co_u32 v18, vcc_lo, v49, s0
	s_wait_alu 0xfffd
	v_add_co_ci_u32_e64 v19, null, s1, v50, vcc_lo
	s_mov_b32 s0, 0
	s_clause 0x7
	global_load_u16 v11, v[18:19], off
	global_load_u16 v12, v[18:19], off offset:512
	global_load_u16 v13, v[18:19], off offset:1024
	global_load_u16 v14, v[18:19], off offset:1536
	global_load_u16 v15, v[18:19], off offset:2048
	global_load_u16 v16, v[18:19], off offset:2560
	global_load_u16 v17, v[18:19], off offset:3072
	global_load_u16 v18, v[18:19], off offset:3584
.LBB1952_182:                           ;   in Loop: Header=BB1952_180 Depth=2
	s_wait_alu 0xfffe
	s_and_not1_b32 vcc_lo, exec_lo, s0
	s_movk_i32 s0, 0x800
	s_wait_alu 0xfffe
	s_cbranch_vccnz .LBB1952_193
; %bb.183:                              ;   in Loop: Header=BB1952_180 Depth=2
	s_lshl_b64 s[0:1], s[30:31], 1
	s_mov_b32 s11, exec_lo
	s_wait_alu 0xfffe
	s_add_nc_u64 s[0:1], s[38:39], s[0:1]
	v_cmpx_gt_u32_e64 s9, v1
	s_cbranch_execnz .LBB1952_209
; %bb.184:                              ;   in Loop: Header=BB1952_180 Depth=2
	s_or_b32 exec_lo, exec_lo, s11
	s_delay_alu instid0(SALU_CYCLE_1)
	s_mov_b32 s11, exec_lo
	v_cmpx_gt_u32_e64 s9, v29
	s_cbranch_execnz .LBB1952_210
.LBB1952_185:                           ;   in Loop: Header=BB1952_180 Depth=2
	s_wait_alu 0xfffe
	s_or_b32 exec_lo, exec_lo, s11
	s_delay_alu instid0(SALU_CYCLE_1)
	s_mov_b32 s11, exec_lo
	v_cmpx_gt_u32_e64 s9, v30
	s_cbranch_execnz .LBB1952_211
.LBB1952_186:                           ;   in Loop: Header=BB1952_180 Depth=2
	s_wait_alu 0xfffe
	s_or_b32 exec_lo, exec_lo, s11
	s_delay_alu instid0(SALU_CYCLE_1)
	s_mov_b32 s11, exec_lo
	v_cmpx_gt_u32_e64 s9, v31
	s_cbranch_execnz .LBB1952_212
.LBB1952_187:                           ;   in Loop: Header=BB1952_180 Depth=2
	s_wait_alu 0xfffe
	s_or_b32 exec_lo, exec_lo, s11
	s_delay_alu instid0(SALU_CYCLE_1)
	s_mov_b32 s11, exec_lo
	v_cmpx_gt_u32_e64 s9, v34
	s_cbranch_execnz .LBB1952_213
.LBB1952_188:                           ;   in Loop: Header=BB1952_180 Depth=2
	s_wait_alu 0xfffe
	s_or_b32 exec_lo, exec_lo, s11
	s_delay_alu instid0(SALU_CYCLE_1)
	s_mov_b32 s11, exec_lo
	v_cmpx_gt_u32_e64 s9, v35
	s_cbranch_execnz .LBB1952_214
.LBB1952_189:                           ;   in Loop: Header=BB1952_180 Depth=2
	s_wait_alu 0xfffe
	s_or_b32 exec_lo, exec_lo, s11
	s_delay_alu instid0(SALU_CYCLE_1)
	s_mov_b32 s11, exec_lo
	v_cmpx_gt_u32_e64 s9, v36
	s_cbranch_execnz .LBB1952_215
.LBB1952_190:                           ;   in Loop: Header=BB1952_180 Depth=2
	s_wait_alu 0xfffe
	s_or_b32 exec_lo, exec_lo, s11
	s_delay_alu instid0(SALU_CYCLE_1)
	s_mov_b32 s11, exec_lo
	v_cmpx_gt_u32_e64 s9, v37
	s_cbranch_execz .LBB1952_192
.LBB1952_191:                           ;   in Loop: Header=BB1952_180 Depth=2
	global_load_u16 v2, v82, s[0:1] offset:3584
.LBB1952_192:                           ;   in Loop: Header=BB1952_180 Depth=2
	s_wait_alu 0xfffe
	s_or_b32 exec_lo, exec_lo, s11
	s_wait_loadcnt 0x0
	v_dual_mov_b32 v11, v10 :: v_dual_mov_b32 v12, v9
	v_dual_mov_b32 v13, v8 :: v_dual_mov_b32 v14, v7
	;; [unrolled: 1-line block ×4, first 2 shown]
	s_mov_b32 s0, s9
.LBB1952_193:                           ;   in Loop: Header=BB1952_180 Depth=2
	s_wait_loadcnt 0x0
	s_delay_alu instid0(VALU_DEP_1) | instskip(NEXT) | instid1(VALU_DEP_2)
	v_dual_mov_b32 v2, v18 :: v_dual_mov_b32 v5, v16
	v_dual_mov_b32 v4, v17 :: v_dual_mov_b32 v7, v14
	;; [unrolled: 1-line block ×3, first 2 shown]
	v_mov_b32_e32 v8, v13
	v_mov_b32_e32 v10, v11
	s_mov_b32 s1, exec_lo
	s_wait_alu 0xfffe
	v_cmpx_gt_u32_e64 s0, v1
	s_cbranch_execnz .LBB1952_201
; %bb.194:                              ;   in Loop: Header=BB1952_180 Depth=2
	s_or_b32 exec_lo, exec_lo, s1
	s_delay_alu instid0(SALU_CYCLE_1)
	s_mov_b32 s1, exec_lo
	v_cmpx_gt_u32_e64 s0, v29
	s_cbranch_execnz .LBB1952_202
.LBB1952_195:                           ;   in Loop: Header=BB1952_180 Depth=2
	s_wait_alu 0xfffe
	s_or_b32 exec_lo, exec_lo, s1
	s_delay_alu instid0(SALU_CYCLE_1)
	s_mov_b32 s1, exec_lo
	v_cmpx_gt_u32_e64 s0, v30
	s_cbranch_execnz .LBB1952_203
.LBB1952_196:                           ;   in Loop: Header=BB1952_180 Depth=2
	s_wait_alu 0xfffe
	s_or_b32 exec_lo, exec_lo, s1
	s_delay_alu instid0(SALU_CYCLE_1)
	s_mov_b32 s1, exec_lo
	v_cmpx_gt_u32_e64 s0, v31
	s_cbranch_execnz .LBB1952_204
.LBB1952_197:                           ;   in Loop: Header=BB1952_180 Depth=2
	s_wait_alu 0xfffe
	s_or_b32 exec_lo, exec_lo, s1
	s_delay_alu instid0(SALU_CYCLE_1)
	s_mov_b32 s1, exec_lo
	v_cmpx_gt_u32_e64 s0, v34
	s_cbranch_execnz .LBB1952_205
.LBB1952_198:                           ;   in Loop: Header=BB1952_180 Depth=2
	s_wait_alu 0xfffe
	s_or_b32 exec_lo, exec_lo, s1
	s_delay_alu instid0(SALU_CYCLE_1)
	s_mov_b32 s1, exec_lo
	v_cmpx_gt_u32_e64 s0, v35
	s_cbranch_execnz .LBB1952_206
.LBB1952_199:                           ;   in Loop: Header=BB1952_180 Depth=2
	s_wait_alu 0xfffe
	s_or_b32 exec_lo, exec_lo, s1
	s_delay_alu instid0(SALU_CYCLE_1)
	s_mov_b32 s1, exec_lo
	v_cmpx_gt_u32_e64 s0, v36
	s_cbranch_execnz .LBB1952_207
.LBB1952_200:                           ;   in Loop: Header=BB1952_180 Depth=2
	s_wait_alu 0xfffe
	s_or_b32 exec_lo, exec_lo, s1
	v_cmp_gt_u32_e32 vcc_lo, s0, v37
	s_and_saveexec_b32 s0, vcc_lo
	s_cbranch_execz .LBB1952_179
	s_branch .LBB1952_208
.LBB1952_201:                           ;   in Loop: Header=BB1952_180 Depth=2
	v_cmp_gt_i16_e32 vcc_lo, 0, v10
	s_wait_alu 0xfffd
	v_cndmask_b32_e64 v11, 0x7fff, 0, vcc_lo
	s_delay_alu instid0(VALU_DEP_1) | instskip(NEXT) | instid1(VALU_DEP_1)
	v_xor_b32_e32 v11, v11, v10
	v_cmp_ne_u16_e32 vcc_lo, 0x8000, v11
	s_wait_alu 0xfffd
	v_cndmask_b32_e32 v11, 0x7fff, v11, vcc_lo
	s_delay_alu instid0(VALU_DEP_1) | instskip(NEXT) | instid1(VALU_DEP_1)
	v_and_b32_e32 v11, 0xffff, v11
	v_lshrrev_b32_e32 v11, s23, v11
	s_delay_alu instid0(VALU_DEP_1) | instskip(NEXT) | instid1(VALU_DEP_1)
	v_and_b32_e32 v11, s42, v11
	v_lshl_or_b32 v11, v11, 4, v39
	ds_add_u32 v11, v62
	s_or_b32 exec_lo, exec_lo, s1
	s_delay_alu instid0(SALU_CYCLE_1)
	s_mov_b32 s1, exec_lo
	v_cmpx_gt_u32_e64 s0, v29
	s_cbranch_execz .LBB1952_195
.LBB1952_202:                           ;   in Loop: Header=BB1952_180 Depth=2
	v_cmp_gt_i16_e32 vcc_lo, 0, v9
	s_wait_alu 0xfffd
	v_cndmask_b32_e64 v11, 0x7fff, 0, vcc_lo
	s_delay_alu instid0(VALU_DEP_1) | instskip(NEXT) | instid1(VALU_DEP_1)
	v_xor_b32_e32 v11, v11, v9
	v_cmp_ne_u16_e32 vcc_lo, 0x8000, v11
	s_wait_alu 0xfffd
	v_cndmask_b32_e32 v11, 0x7fff, v11, vcc_lo
	s_delay_alu instid0(VALU_DEP_1) | instskip(NEXT) | instid1(VALU_DEP_1)
	v_and_b32_e32 v11, 0xffff, v11
	v_lshrrev_b32_e32 v11, s23, v11
	s_delay_alu instid0(VALU_DEP_1) | instskip(NEXT) | instid1(VALU_DEP_1)
	v_and_b32_e32 v11, s42, v11
	v_lshl_or_b32 v11, v11, 4, v39
	ds_add_u32 v11, v62
	s_wait_alu 0xfffe
	s_or_b32 exec_lo, exec_lo, s1
	s_delay_alu instid0(SALU_CYCLE_1)
	s_mov_b32 s1, exec_lo
	v_cmpx_gt_u32_e64 s0, v30
	s_cbranch_execz .LBB1952_196
.LBB1952_203:                           ;   in Loop: Header=BB1952_180 Depth=2
	v_cmp_gt_i16_e32 vcc_lo, 0, v8
	s_wait_alu 0xfffd
	v_cndmask_b32_e64 v11, 0x7fff, 0, vcc_lo
	s_delay_alu instid0(VALU_DEP_1) | instskip(NEXT) | instid1(VALU_DEP_1)
	v_xor_b32_e32 v11, v11, v8
	v_cmp_ne_u16_e32 vcc_lo, 0x8000, v11
	s_wait_alu 0xfffd
	v_cndmask_b32_e32 v11, 0x7fff, v11, vcc_lo
	s_delay_alu instid0(VALU_DEP_1) | instskip(NEXT) | instid1(VALU_DEP_1)
	v_and_b32_e32 v11, 0xffff, v11
	v_lshrrev_b32_e32 v11, s23, v11
	s_delay_alu instid0(VALU_DEP_1) | instskip(NEXT) | instid1(VALU_DEP_1)
	v_and_b32_e32 v11, s42, v11
	v_lshl_or_b32 v11, v11, 4, v39
	ds_add_u32 v11, v62
	s_wait_alu 0xfffe
	s_or_b32 exec_lo, exec_lo, s1
	s_delay_alu instid0(SALU_CYCLE_1)
	s_mov_b32 s1, exec_lo
	v_cmpx_gt_u32_e64 s0, v31
	s_cbranch_execz .LBB1952_197
.LBB1952_204:                           ;   in Loop: Header=BB1952_180 Depth=2
	v_cmp_gt_i16_e32 vcc_lo, 0, v7
	s_wait_alu 0xfffd
	v_cndmask_b32_e64 v11, 0x7fff, 0, vcc_lo
	s_delay_alu instid0(VALU_DEP_1) | instskip(NEXT) | instid1(VALU_DEP_1)
	v_xor_b32_e32 v11, v11, v7
	v_cmp_ne_u16_e32 vcc_lo, 0x8000, v11
	s_wait_alu 0xfffd
	v_cndmask_b32_e32 v11, 0x7fff, v11, vcc_lo
	s_delay_alu instid0(VALU_DEP_1) | instskip(NEXT) | instid1(VALU_DEP_1)
	v_and_b32_e32 v11, 0xffff, v11
	v_lshrrev_b32_e32 v11, s23, v11
	s_delay_alu instid0(VALU_DEP_1) | instskip(NEXT) | instid1(VALU_DEP_1)
	v_and_b32_e32 v11, s42, v11
	v_lshl_or_b32 v11, v11, 4, v39
	ds_add_u32 v11, v62
	s_wait_alu 0xfffe
	s_or_b32 exec_lo, exec_lo, s1
	s_delay_alu instid0(SALU_CYCLE_1)
	s_mov_b32 s1, exec_lo
	v_cmpx_gt_u32_e64 s0, v34
	s_cbranch_execz .LBB1952_198
.LBB1952_205:                           ;   in Loop: Header=BB1952_180 Depth=2
	v_cmp_gt_i16_e32 vcc_lo, 0, v6
	s_wait_alu 0xfffd
	v_cndmask_b32_e64 v11, 0x7fff, 0, vcc_lo
	s_delay_alu instid0(VALU_DEP_1) | instskip(NEXT) | instid1(VALU_DEP_1)
	v_xor_b32_e32 v11, v11, v6
	v_cmp_ne_u16_e32 vcc_lo, 0x8000, v11
	s_wait_alu 0xfffd
	v_cndmask_b32_e32 v11, 0x7fff, v11, vcc_lo
	s_delay_alu instid0(VALU_DEP_1) | instskip(NEXT) | instid1(VALU_DEP_1)
	v_and_b32_e32 v11, 0xffff, v11
	v_lshrrev_b32_e32 v11, s23, v11
	s_delay_alu instid0(VALU_DEP_1) | instskip(NEXT) | instid1(VALU_DEP_1)
	v_and_b32_e32 v11, s42, v11
	v_lshl_or_b32 v11, v11, 4, v39
	ds_add_u32 v11, v62
	s_wait_alu 0xfffe
	s_or_b32 exec_lo, exec_lo, s1
	s_delay_alu instid0(SALU_CYCLE_1)
	s_mov_b32 s1, exec_lo
	v_cmpx_gt_u32_e64 s0, v35
	s_cbranch_execz .LBB1952_199
.LBB1952_206:                           ;   in Loop: Header=BB1952_180 Depth=2
	v_cmp_gt_i16_e32 vcc_lo, 0, v5
	s_wait_alu 0xfffd
	v_cndmask_b32_e64 v11, 0x7fff, 0, vcc_lo
	s_delay_alu instid0(VALU_DEP_1) | instskip(NEXT) | instid1(VALU_DEP_1)
	v_xor_b32_e32 v11, v11, v5
	v_cmp_ne_u16_e32 vcc_lo, 0x8000, v11
	s_wait_alu 0xfffd
	v_cndmask_b32_e32 v11, 0x7fff, v11, vcc_lo
	s_delay_alu instid0(VALU_DEP_1) | instskip(NEXT) | instid1(VALU_DEP_1)
	v_and_b32_e32 v11, 0xffff, v11
	v_lshrrev_b32_e32 v11, s23, v11
	s_delay_alu instid0(VALU_DEP_1) | instskip(NEXT) | instid1(VALU_DEP_1)
	v_and_b32_e32 v11, s42, v11
	v_lshl_or_b32 v11, v11, 4, v39
	ds_add_u32 v11, v62
	s_wait_alu 0xfffe
	s_or_b32 exec_lo, exec_lo, s1
	s_delay_alu instid0(SALU_CYCLE_1)
	s_mov_b32 s1, exec_lo
	v_cmpx_gt_u32_e64 s0, v36
	s_cbranch_execz .LBB1952_200
.LBB1952_207:                           ;   in Loop: Header=BB1952_180 Depth=2
	v_cmp_gt_i16_e32 vcc_lo, 0, v4
	s_wait_alu 0xfffd
	v_cndmask_b32_e64 v11, 0x7fff, 0, vcc_lo
	s_delay_alu instid0(VALU_DEP_1) | instskip(NEXT) | instid1(VALU_DEP_1)
	v_xor_b32_e32 v11, v11, v4
	v_cmp_ne_u16_e32 vcc_lo, 0x8000, v11
	s_wait_alu 0xfffd
	v_cndmask_b32_e32 v11, 0x7fff, v11, vcc_lo
	s_delay_alu instid0(VALU_DEP_1) | instskip(NEXT) | instid1(VALU_DEP_1)
	v_and_b32_e32 v11, 0xffff, v11
	v_lshrrev_b32_e32 v11, s23, v11
	s_delay_alu instid0(VALU_DEP_1) | instskip(NEXT) | instid1(VALU_DEP_1)
	v_and_b32_e32 v11, s42, v11
	v_lshl_or_b32 v11, v11, 4, v39
	ds_add_u32 v11, v62
	s_wait_alu 0xfffe
	s_or_b32 exec_lo, exec_lo, s1
	v_cmp_gt_u32_e32 vcc_lo, s0, v37
	s_and_saveexec_b32 s0, vcc_lo
	s_cbranch_execz .LBB1952_179
.LBB1952_208:                           ;   in Loop: Header=BB1952_180 Depth=2
	v_cmp_gt_i16_e32 vcc_lo, 0, v2
	s_wait_alu 0xfffd
	v_cndmask_b32_e64 v11, 0x7fff, 0, vcc_lo
	s_delay_alu instid0(VALU_DEP_1) | instskip(NEXT) | instid1(VALU_DEP_1)
	v_xor_b32_e32 v11, v11, v2
	v_cmp_ne_u16_e32 vcc_lo, 0x8000, v11
	s_wait_alu 0xfffd
	v_cndmask_b32_e32 v11, 0x7fff, v11, vcc_lo
	s_delay_alu instid0(VALU_DEP_1) | instskip(NEXT) | instid1(VALU_DEP_1)
	v_and_b32_e32 v11, 0xffff, v11
	v_lshrrev_b32_e32 v11, s23, v11
	s_delay_alu instid0(VALU_DEP_1) | instskip(NEXT) | instid1(VALU_DEP_1)
	v_and_b32_e32 v11, s42, v11
	v_lshl_or_b32 v11, v11, 4, v39
	ds_add_u32 v11, v62
	s_branch .LBB1952_179
.LBB1952_209:                           ;   in Loop: Header=BB1952_180 Depth=2
	global_load_u16 v10, v82, s[0:1]
	s_or_b32 exec_lo, exec_lo, s11
	s_delay_alu instid0(SALU_CYCLE_1)
	s_mov_b32 s11, exec_lo
	v_cmpx_gt_u32_e64 s9, v29
	s_cbranch_execz .LBB1952_185
.LBB1952_210:                           ;   in Loop: Header=BB1952_180 Depth=2
	global_load_u16 v9, v82, s[0:1] offset:512
	s_wait_alu 0xfffe
	s_or_b32 exec_lo, exec_lo, s11
	s_delay_alu instid0(SALU_CYCLE_1)
	s_mov_b32 s11, exec_lo
	v_cmpx_gt_u32_e64 s9, v30
	s_cbranch_execz .LBB1952_186
.LBB1952_211:                           ;   in Loop: Header=BB1952_180 Depth=2
	global_load_u16 v8, v82, s[0:1] offset:1024
	s_wait_alu 0xfffe
	s_or_b32 exec_lo, exec_lo, s11
	s_delay_alu instid0(SALU_CYCLE_1)
	s_mov_b32 s11, exec_lo
	v_cmpx_gt_u32_e64 s9, v31
	s_cbranch_execz .LBB1952_187
.LBB1952_212:                           ;   in Loop: Header=BB1952_180 Depth=2
	global_load_u16 v7, v82, s[0:1] offset:1536
	s_wait_alu 0xfffe
	s_or_b32 exec_lo, exec_lo, s11
	s_delay_alu instid0(SALU_CYCLE_1)
	s_mov_b32 s11, exec_lo
	v_cmpx_gt_u32_e64 s9, v34
	s_cbranch_execz .LBB1952_188
.LBB1952_213:                           ;   in Loop: Header=BB1952_180 Depth=2
	global_load_u16 v6, v82, s[0:1] offset:2048
	s_wait_alu 0xfffe
	s_or_b32 exec_lo, exec_lo, s11
	s_delay_alu instid0(SALU_CYCLE_1)
	s_mov_b32 s11, exec_lo
	v_cmpx_gt_u32_e64 s9, v35
	s_cbranch_execz .LBB1952_189
.LBB1952_214:                           ;   in Loop: Header=BB1952_180 Depth=2
	global_load_u16 v5, v82, s[0:1] offset:2560
	s_wait_alu 0xfffe
	s_or_b32 exec_lo, exec_lo, s11
	s_delay_alu instid0(SALU_CYCLE_1)
	s_mov_b32 s11, exec_lo
	v_cmpx_gt_u32_e64 s9, v36
	s_cbranch_execz .LBB1952_190
.LBB1952_215:                           ;   in Loop: Header=BB1952_180 Depth=2
	global_load_u16 v4, v82, s[0:1] offset:3072
	s_wait_alu 0xfffe
	s_or_b32 exec_lo, exec_lo, s11
	s_delay_alu instid0(SALU_CYCLE_1)
	s_mov_b32 s11, exec_lo
	v_cmpx_gt_u32_e64 s9, v37
	s_cbranch_execnz .LBB1952_191
	s_branch .LBB1952_192
.LBB1952_216:                           ;   in Loop: Header=BB1952_12 Depth=1
	v_mov_b32_e32 v2, 0
	s_wait_dscnt 0x0
	s_barrier_signal -1
	s_barrier_wait -1
	global_inv scope:SCOPE_SE
	s_and_saveexec_b32 s0, s2
	s_cbranch_execz .LBB1952_218
; %bb.217:                              ;   in Loop: Header=BB1952_12 Depth=1
	ds_load_2addr_b64 v[4:7], v40 offset1:1
	s_wait_dscnt 0x0
	v_add_nc_u32_e32 v2, v5, v4
	s_delay_alu instid0(VALU_DEP_1)
	v_add3_u32 v2, v2, v6, v7
.LBB1952_218:                           ;   in Loop: Header=BB1952_12 Depth=1
	s_wait_alu 0xfffe
	s_or_b32 exec_lo, exec_lo, s0
	s_delay_alu instid0(VALU_DEP_1)
	v_mov_b32_dpp v4, v2 row_shr:1 row_mask:0xf bank_mask:0xf
	v_cmp_eq_u32_e64 s0, 0, v63
	v_cmp_lt_u32_e64 s1, 1, v63
	v_cmp_lt_u32_e64 s9, 3, v63
	;; [unrolled: 1-line block ×3, first 2 shown]
	v_cmp_eq_u32_e64 s11, 0, v65
	s_wait_alu 0xf1ff
	v_cndmask_b32_e64 v4, v4, 0, s0
	s_delay_alu instid0(VALU_DEP_1) | instskip(NEXT) | instid1(VALU_DEP_1)
	v_add_nc_u32_e32 v2, v4, v2
	v_mov_b32_dpp v4, v2 row_shr:2 row_mask:0xf bank_mask:0xf
	s_delay_alu instid0(VALU_DEP_1) | instskip(NEXT) | instid1(VALU_DEP_1)
	v_cndmask_b32_e64 v4, 0, v4, s1
	v_add_nc_u32_e32 v2, v2, v4
	s_delay_alu instid0(VALU_DEP_1) | instskip(NEXT) | instid1(VALU_DEP_1)
	v_mov_b32_dpp v4, v2 row_shr:4 row_mask:0xf bank_mask:0xf
	v_cndmask_b32_e64 v4, 0, v4, s9
	s_delay_alu instid0(VALU_DEP_1) | instskip(NEXT) | instid1(VALU_DEP_1)
	v_add_nc_u32_e32 v2, v2, v4
	v_mov_b32_dpp v4, v2 row_shr:8 row_mask:0xf bank_mask:0xf
	s_delay_alu instid0(VALU_DEP_1) | instskip(NEXT) | instid1(VALU_DEP_1)
	v_cndmask_b32_e64 v4, 0, v4, s10
	v_add_nc_u32_e32 v2, v2, v4
	ds_swizzle_b32 v4, v2 offset:swizzle(BROADCAST,32,15)
	s_wait_dscnt 0x0
	v_and_b32_e32 v4, v64, v4
	s_delay_alu instid0(VALU_DEP_1)
	v_add_nc_u32_e32 v2, v2, v4
	s_and_saveexec_b32 s12, s3
; %bb.219:                              ;   in Loop: Header=BB1952_12 Depth=1
	ds_store_b32 v41, v2
; %bb.220:                              ;   in Loop: Header=BB1952_12 Depth=1
	s_wait_alu 0xfffe
	s_or_b32 exec_lo, exec_lo, s12
	s_wait_loadcnt_dscnt 0x0
	s_barrier_signal -1
	s_barrier_wait -1
	global_inv scope:SCOPE_SE
	s_and_saveexec_b32 s12, s4
	s_cbranch_execz .LBB1952_222
; %bb.221:                              ;   in Loop: Header=BB1952_12 Depth=1
	ds_load_b32 v4, v42
	v_cmp_ne_u32_e32 vcc_lo, 0, v67
	s_wait_dscnt 0x0
	v_mov_b32_dpp v5, v4 row_shr:1 row_mask:0xf bank_mask:0xf
	s_wait_alu 0xfffd
	s_delay_alu instid0(VALU_DEP_1) | instskip(SKIP_1) | instid1(VALU_DEP_2)
	v_cndmask_b32_e32 v5, 0, v5, vcc_lo
	v_cmp_lt_u32_e32 vcc_lo, 1, v67
	v_add_nc_u32_e32 v4, v5, v4
	s_delay_alu instid0(VALU_DEP_1) | instskip(SKIP_1) | instid1(VALU_DEP_1)
	v_mov_b32_dpp v5, v4 row_shr:2 row_mask:0xf bank_mask:0xf
	s_wait_alu 0xfffd
	v_cndmask_b32_e32 v5, 0, v5, vcc_lo
	v_cmp_lt_u32_e32 vcc_lo, 3, v67
	s_delay_alu instid0(VALU_DEP_2) | instskip(NEXT) | instid1(VALU_DEP_1)
	v_add_nc_u32_e32 v4, v4, v5
	v_mov_b32_dpp v5, v4 row_shr:4 row_mask:0xf bank_mask:0xf
	s_wait_alu 0xfffd
	s_delay_alu instid0(VALU_DEP_1) | instskip(NEXT) | instid1(VALU_DEP_1)
	v_cndmask_b32_e32 v5, 0, v5, vcc_lo
	v_add_nc_u32_e32 v4, v4, v5
	ds_store_b32 v42, v4
.LBB1952_222:                           ;   in Loop: Header=BB1952_12 Depth=1
	s_wait_alu 0xfffe
	s_or_b32 exec_lo, exec_lo, s12
	v_mov_b32_e32 v4, 0
	s_wait_loadcnt_dscnt 0x0
	s_barrier_signal -1
	s_barrier_wait -1
	global_inv scope:SCOPE_SE
	s_and_saveexec_b32 s12, s5
; %bb.223:                              ;   in Loop: Header=BB1952_12 Depth=1
	ds_load_b32 v4, v44
; %bb.224:                              ;   in Loop: Header=BB1952_12 Depth=1
	s_wait_alu 0xfffe
	s_or_b32 exec_lo, exec_lo, s12
	v_cmp_gt_i32_e32 vcc_lo, 0, v68
	s_wait_dscnt 0x0
	v_add_nc_u32_e32 v2, v4, v2
	s_wait_loadcnt 0x0
	s_barrier_signal -1
	s_barrier_wait -1
	s_wait_alu 0xfffd
	v_cndmask_b32_e32 v5, v68, v59, vcc_lo
	global_inv scope:SCOPE_SE
	v_lshlrev_b32_e32 v87, 2, v5
	ds_bpermute_b32 v2, v87, v2
	s_and_saveexec_b32 s12, s2
	s_cbranch_execz .LBB1952_226
; %bb.225:                              ;   in Loop: Header=BB1952_12 Depth=1
	s_wait_dscnt 0x0
	v_cndmask_b32_e64 v2, v2, v4, s8
	s_delay_alu instid0(VALU_DEP_1)
	v_add_nc_u32_e32 v2, s33, v2
	ds_store_b32 v28, v2
.LBB1952_226:                           ;   in Loop: Header=BB1952_12 Depth=1
	s_wait_alu 0xfffe
	s_or_b32 exec_lo, exec_lo, s12
	s_load_b64 s[12:13], s[28:29], 0x0
	v_add_co_u32 v88, vcc_lo, v51, v69
	s_wait_alu 0xfffd
	v_add_co_ci_u32_e64 v89, null, 0, v52, vcc_lo
	v_add_co_u32 v90, vcc_lo, v53, v77
	s_wait_alu 0xfffd
	v_add_co_ci_u32_e64 v91, null, 0, v54, vcc_lo
	s_mov_b32 s43, s47
                                        ; implicit-def: $vgpr6_vgpr7
                                        ; implicit-def: $vgpr8_vgpr9
                                        ; implicit-def: $vgpr10_vgpr11
                                        ; implicit-def: $vgpr12_vgpr13
                                        ; implicit-def: $vgpr14_vgpr15
                                        ; implicit-def: $vgpr16_vgpr17
                                        ; implicit-def: $vgpr18_vgpr19
                                        ; implicit-def: $vgpr93
                                        ; implicit-def: $vgpr94
                                        ; implicit-def: $vgpr95
                                        ; implicit-def: $vgpr96
                                        ; implicit-def: $vgpr97
                                        ; implicit-def: $vgpr98
                                        ; implicit-def: $vgpr99
                                        ; implicit-def: $vgpr100
	s_wait_kmcnt 0x0
	s_cmp_lt_u32 ttmp7, s13
	s_cselect_b32 s30, 14, 20
	s_cmp_lt_u32 ttmp9, s12
	s_wait_alu 0xfffe
	s_add_nc_u64 s[14:15], s[28:29], s[30:31]
	s_cselect_b32 s30, 12, 18
	s_load_u16 s14, s[14:15], 0x0
	s_add_nc_u64 s[12:13], s[28:29], s[30:31]
	s_mov_b32 s30, s33
	s_load_u16 s12, s[12:13], 0x0
	v_cmp_lt_u32_e64 s13, 1, v67
	s_wait_dscnt 0x0
	s_wait_kmcnt 0x0
	v_mad_u32_u24 v2, v45, s14, v0
	v_cmp_lt_u32_e64 s14, 3, v67
	s_delay_alu instid0(VALU_DEP_2) | instskip(SKIP_1) | instid1(VALU_DEP_2)
	v_mad_co_u64_u32 v[4:5], null, v2, s12, v[1:2]
	v_cmp_eq_u32_e64 s12, 0, v67
	v_lshrrev_b32_e32 v2, 3, v4
                                        ; implicit-def: $vgpr4_vgpr5
	s_delay_alu instid0(VALU_DEP_1)
	v_and_b32_e32 v92, 0x1ffffffc, v2
	s_branch .LBB1952_228
.LBB1952_227:                           ;   in Loop: Header=BB1952_228 Depth=2
	s_wait_alu 0xfffe
	s_or_b32 exec_lo, exec_lo, s15
	s_addk_co_i32 s43, 0xf800
	s_cmp_lt_u32 s44, s34
	s_mov_b32 s30, s44
	s_cbranch_scc0 .LBB1952_340
.LBB1952_228:                           ;   Parent Loop BB1952_12 Depth=1
                                        ; =>  This Inner Loop Header: Depth=2
	s_wait_alu 0xfffe
	s_add_co_i32 s44, s30, 0x800
	s_wait_alu 0xfffe
	s_cmp_gt_u32 s44, s34
	s_cbranch_scc1 .LBB1952_230
; %bb.229:                              ;   in Loop: Header=BB1952_228 Depth=2
	s_lshl_b64 s[16:17], s[30:31], 1
	s_mov_b32 s15, -1
	s_wait_alu 0xfffe
	v_add_co_u32 v20, vcc_lo, v90, s16
	s_wait_alu 0xfffd
	v_add_co_ci_u32_e64 v21, null, s17, v91, vcc_lo
	s_clause 0x6
	global_load_u16 v2, v[20:21], off
	global_load_u16 v27, v[20:21], off offset:64
	global_load_u16 v26, v[20:21], off offset:128
	;; [unrolled: 1-line block ×6, first 2 shown]
	s_movk_i32 s16, 0x800
	s_cbranch_execz .LBB1952_231
	s_branch .LBB1952_246
.LBB1952_230:                           ;   in Loop: Header=BB1952_228 Depth=2
	s_mov_b32 s15, 0
                                        ; implicit-def: $vgpr2
                                        ; implicit-def: $vgpr27
                                        ; implicit-def: $vgpr26
                                        ; implicit-def: $vgpr25
                                        ; implicit-def: $vgpr24
                                        ; implicit-def: $vgpr23
                                        ; implicit-def: $vgpr22
	s_movk_i32 s16, 0x800
.LBB1952_231:                           ;   in Loop: Header=BB1952_228 Depth=2
	s_lshl_b64 s[16:17], s[30:31], 1
	s_wait_loadcnt 0x5
	v_dual_mov_b32 v27, -1 :: v_dual_mov_b32 v2, -1
	s_wait_alu 0xfffe
	v_add_co_u32 v20, vcc_lo, v90, s16
	s_wait_alu 0xfffd
	v_add_co_ci_u32_e64 v21, null, s17, v91, vcc_lo
	s_mov_b32 s15, exec_lo
	v_cmpx_gt_u32_e64 s43, v66
	s_cbranch_execz .LBB1952_233
; %bb.232:                              ;   in Loop: Header=BB1952_228 Depth=2
	global_load_u16 v2, v[20:21], off
.LBB1952_233:                           ;   in Loop: Header=BB1952_228 Depth=2
	s_wait_alu 0xfffe
	s_or_b32 exec_lo, exec_lo, s15
	s_delay_alu instid0(SALU_CYCLE_1)
	s_mov_b32 s15, exec_lo
	v_cmpx_gt_u32_e64 s43, v70
	s_cbranch_execz .LBB1952_235
; %bb.234:                              ;   in Loop: Header=BB1952_228 Depth=2
	global_load_u16 v27, v[20:21], off offset:64
.LBB1952_235:                           ;   in Loop: Header=BB1952_228 Depth=2
	s_wait_alu 0xfffe
	s_or_b32 exec_lo, exec_lo, s15
	s_wait_loadcnt 0x3
	v_dual_mov_b32 v25, -1 :: v_dual_mov_b32 v26, -1
	s_mov_b32 s15, exec_lo
	v_cmpx_gt_u32_e64 s43, v71
	s_cbranch_execz .LBB1952_237
; %bb.236:                              ;   in Loop: Header=BB1952_228 Depth=2
	global_load_u16 v26, v[20:21], off offset:128
.LBB1952_237:                           ;   in Loop: Header=BB1952_228 Depth=2
	s_wait_alu 0xfffe
	s_or_b32 exec_lo, exec_lo, s15
	s_delay_alu instid0(SALU_CYCLE_1)
	s_mov_b32 s15, exec_lo
	v_cmpx_gt_u32_e64 s43, v72
	s_cbranch_execz .LBB1952_239
; %bb.238:                              ;   in Loop: Header=BB1952_228 Depth=2
	global_load_u16 v25, v[20:21], off offset:192
.LBB1952_239:                           ;   in Loop: Header=BB1952_228 Depth=2
	s_wait_alu 0xfffe
	s_or_b32 exec_lo, exec_lo, s15
	s_wait_loadcnt 0x1
	v_dual_mov_b32 v23, -1 :: v_dual_mov_b32 v24, -1
	s_mov_b32 s15, exec_lo
	v_cmpx_gt_u32_e64 s43, v73
	s_cbranch_execz .LBB1952_241
; %bb.240:                              ;   in Loop: Header=BB1952_228 Depth=2
	global_load_u16 v24, v[20:21], off offset:256
.LBB1952_241:                           ;   in Loop: Header=BB1952_228 Depth=2
	s_wait_alu 0xfffe
	s_or_b32 exec_lo, exec_lo, s15
	s_delay_alu instid0(SALU_CYCLE_1)
	s_mov_b32 s15, exec_lo
	v_cmpx_gt_u32_e64 s43, v74
	s_cbranch_execz .LBB1952_243
; %bb.242:                              ;   in Loop: Header=BB1952_228 Depth=2
	global_load_u16 v23, v[20:21], off offset:320
.LBB1952_243:                           ;   in Loop: Header=BB1952_228 Depth=2
	s_wait_alu 0xfffe
	s_or_b32 exec_lo, exec_lo, s15
	s_wait_loadcnt 0x0
	v_mov_b32_e32 v22, -1
	s_mov_b32 s15, exec_lo
	v_cmpx_gt_u32_e64 s43, v75
	s_cbranch_execz .LBB1952_245
; %bb.244:                              ;   in Loop: Header=BB1952_228 Depth=2
	global_load_u16 v22, v[20:21], off offset:384
.LBB1952_245:                           ;   in Loop: Header=BB1952_228 Depth=2
	s_wait_alu 0xfffe
	s_or_b32 exec_lo, exec_lo, s15
	v_cmp_gt_u32_e64 s15, s43, v76
	s_sub_co_i32 s16, s34, s30
.LBB1952_246:                           ;   in Loop: Header=BB1952_228 Depth=2
	v_dual_mov_b32 v20, -1 :: v_dual_mov_b32 v101, s43
	s_and_saveexec_b32 s17, s15
	s_cbranch_execz .LBB1952_248
; %bb.247:                              ;   in Loop: Header=BB1952_228 Depth=2
	s_lshl_b64 s[18:19], s[30:31], 1
	s_wait_alu 0xfffe
	v_mov_b32_e32 v101, s16
	v_add_co_u32 v20, vcc_lo, v90, s18
	s_wait_alu 0xfffd
	v_add_co_ci_u32_e64 v21, null, s19, v91, vcc_lo
	global_load_u16 v20, v[20:21], off offset:448
.LBB1952_248:                           ;   in Loop: Header=BB1952_228 Depth=2
	s_wait_alu 0xfffe
	s_or_b32 exec_lo, exec_lo, s17
	s_wait_loadcnt 0x6
	v_cmp_gt_i16_e32 vcc_lo, 0, v2
	ds_store_2addr_b32 v81, v3, v3 offset1:1
	ds_store_2addr_b32 v78, v3, v3 offset1:1
	;; [unrolled: 1-line block ×4, first 2 shown]
	ds_store_b32 v43, v3 offset:1088
	s_wait_loadcnt_dscnt 0x0
	s_barrier_signal -1
	s_wait_alu 0xfffd
	v_cndmask_b32_e64 v21, 0x7fff, 0, vcc_lo
	s_barrier_wait -1
	global_inv scope:SCOPE_SE
	; wave barrier
	v_xor_b32_e32 v2, v21, v2
	s_delay_alu instid0(VALU_DEP_1) | instskip(SKIP_2) | instid1(VALU_DEP_1)
	v_cmp_ne_u16_e32 vcc_lo, 0x8000, v2
	s_wait_alu 0xfffd
	v_cndmask_b32_e32 v21, 0x7fff, v2, vcc_lo
	v_and_b32_e32 v21, 0xffff, v21
	s_delay_alu instid0(VALU_DEP_1) | instskip(NEXT) | instid1(VALU_DEP_1)
	v_lshrrev_b32_e32 v21, s23, v21
	v_and_b32_e32 v103, s42, v21
	s_delay_alu instid0(VALU_DEP_1)
	v_and_b32_e32 v21, 1, v103
	v_lshlrev_b32_e32 v102, 30, v103
	v_lshlrev_b32_e32 v104, 29, v103
	;; [unrolled: 1-line block ×4, first 2 shown]
	v_add_co_u32 v21, s15, v21, -1
	s_wait_alu 0xf1ff
	v_cndmask_b32_e64 v106, 0, 1, s15
	v_not_b32_e32 v110, v102
	v_cmp_gt_i32_e64 s15, 0, v102
	v_not_b32_e32 v102, v104
	v_lshlrev_b32_e32 v108, 26, v103
	v_cmp_ne_u32_e32 vcc_lo, 0, v106
	v_ashrrev_i32_e32 v110, 31, v110
	v_lshlrev_b32_e32 v109, 25, v103
	v_ashrrev_i32_e32 v102, 31, v102
	v_lshlrev_b32_e32 v106, 24, v103
	s_wait_alu 0xfffd
	v_xor_b32_e32 v21, vcc_lo, v21
	v_cmp_gt_i32_e32 vcc_lo, 0, v104
	v_not_b32_e32 v104, v105
	s_wait_alu 0xf1ff
	v_xor_b32_e32 v110, s15, v110
	v_cmp_gt_i32_e64 s15, 0, v105
	v_and_b32_e32 v21, exec_lo, v21
	v_not_b32_e32 v105, v107
	v_ashrrev_i32_e32 v104, 31, v104
	s_wait_alu 0xfffd
	v_xor_b32_e32 v102, vcc_lo, v102
	v_cmp_gt_i32_e32 vcc_lo, 0, v107
	v_and_b32_e32 v21, v21, v110
	v_not_b32_e32 v107, v108
	v_ashrrev_i32_e32 v105, 31, v105
	s_wait_alu 0xf1ff
	v_xor_b32_e32 v104, s15, v104
	v_cmp_gt_i32_e64 s15, 0, v108
	v_and_b32_e32 v21, v21, v102
	v_not_b32_e32 v102, v109
	v_ashrrev_i32_e32 v107, 31, v107
	s_wait_alu 0xfffd
	v_xor_b32_e32 v105, vcc_lo, v105
	v_cmp_gt_i32_e32 vcc_lo, 0, v109
	v_and_b32_e32 v21, v21, v104
	v_not_b32_e32 v104, v106
	v_ashrrev_i32_e32 v102, 31, v102
	s_wait_alu 0xf1ff
	v_xor_b32_e32 v107, s15, v107
	v_cmp_gt_i32_e64 s15, 0, v106
	v_and_b32_e32 v21, v21, v105
	v_ashrrev_i32_e32 v104, 31, v104
	s_wait_alu 0xfffd
	v_xor_b32_e32 v102, vcc_lo, v102
	v_mul_u32_u24_e32 v103, 36, v103
	v_and_b32_e32 v21, v21, v107
	s_wait_alu 0xf1ff
	v_xor_b32_e32 v104, s15, v104
	s_delay_alu instid0(VALU_DEP_2) | instskip(NEXT) | instid1(VALU_DEP_1)
	v_and_b32_e32 v21, v21, v102
	v_and_b32_e32 v21, v21, v104
	v_add_nc_u32_e32 v104, v92, v103
	s_delay_alu instid0(VALU_DEP_2) | instskip(SKIP_1) | instid1(VALU_DEP_2)
	v_mbcnt_lo_u32_b32 v102, v21, 0
	v_cmp_ne_u32_e64 s15, 0, v21
	v_cmp_eq_u32_e32 vcc_lo, 0, v102
	s_and_b32 s16, s15, vcc_lo
	s_wait_alu 0xfffe
	s_and_saveexec_b32 s15, s16
; %bb.249:                              ;   in Loop: Header=BB1952_228 Depth=2
	v_bcnt_u32_b32 v21, v21, 0
	ds_store_b32 v104, v21 offset:1056
; %bb.250:                              ;   in Loop: Header=BB1952_228 Depth=2
	s_wait_alu 0xfffe
	s_or_b32 exec_lo, exec_lo, s15
	v_cmp_gt_i16_e32 vcc_lo, 0, v27
	; wave barrier
	s_wait_alu 0xfffd
	v_cndmask_b32_e64 v21, 0x7fff, 0, vcc_lo
	s_delay_alu instid0(VALU_DEP_1) | instskip(NEXT) | instid1(VALU_DEP_1)
	v_xor_b32_e32 v103, v21, v27
	v_cmp_ne_u16_e32 vcc_lo, 0x8000, v103
	s_wait_alu 0xfffd
	v_cndmask_b32_e32 v21, 0x7fff, v103, vcc_lo
	s_delay_alu instid0(VALU_DEP_1) | instskip(NEXT) | instid1(VALU_DEP_1)
	v_and_b32_e32 v21, 0xffff, v21
	v_lshrrev_b32_e32 v21, s23, v21
	s_delay_alu instid0(VALU_DEP_1) | instskip(NEXT) | instid1(VALU_DEP_1)
	v_and_b32_e32 v27, s42, v21
	v_and_b32_e32 v21, 1, v27
	v_lshlrev_b32_e32 v105, 30, v27
	v_lshlrev_b32_e32 v106, 29, v27
	;; [unrolled: 1-line block ×4, first 2 shown]
	v_add_co_u32 v21, s15, v21, -1
	s_wait_alu 0xf1ff
	v_cndmask_b32_e64 v108, 0, 1, s15
	v_not_b32_e32 v112, v105
	v_cmp_gt_i32_e64 s15, 0, v105
	v_not_b32_e32 v105, v106
	v_lshlrev_b32_e32 v110, 26, v27
	v_cmp_ne_u32_e32 vcc_lo, 0, v108
	v_ashrrev_i32_e32 v112, 31, v112
	v_lshlrev_b32_e32 v111, 25, v27
	v_ashrrev_i32_e32 v105, 31, v105
	v_lshlrev_b32_e32 v108, 24, v27
	s_wait_alu 0xfffd
	v_xor_b32_e32 v21, vcc_lo, v21
	v_cmp_gt_i32_e32 vcc_lo, 0, v106
	v_not_b32_e32 v106, v107
	s_wait_alu 0xf1ff
	v_xor_b32_e32 v112, s15, v112
	v_cmp_gt_i32_e64 s15, 0, v107
	v_and_b32_e32 v21, exec_lo, v21
	v_not_b32_e32 v107, v109
	v_ashrrev_i32_e32 v106, 31, v106
	s_wait_alu 0xfffd
	v_xor_b32_e32 v105, vcc_lo, v105
	v_cmp_gt_i32_e32 vcc_lo, 0, v109
	v_and_b32_e32 v21, v21, v112
	v_not_b32_e32 v109, v110
	v_ashrrev_i32_e32 v107, 31, v107
	s_wait_alu 0xf1ff
	v_xor_b32_e32 v106, s15, v106
	v_cmp_gt_i32_e64 s15, 0, v110
	v_and_b32_e32 v21, v21, v105
	v_not_b32_e32 v105, v111
	v_ashrrev_i32_e32 v109, 31, v109
	s_wait_alu 0xfffd
	v_xor_b32_e32 v107, vcc_lo, v107
	v_cmp_gt_i32_e32 vcc_lo, 0, v111
	v_and_b32_e32 v21, v21, v106
	v_not_b32_e32 v106, v108
	v_ashrrev_i32_e32 v105, 31, v105
	s_wait_alu 0xf1ff
	v_xor_b32_e32 v109, s15, v109
	v_cmp_gt_i32_e64 s15, 0, v108
	v_and_b32_e32 v21, v21, v107
	v_ashrrev_i32_e32 v106, 31, v106
	s_wait_alu 0xfffd
	v_xor_b32_e32 v105, vcc_lo, v105
	v_mad_u32_u24 v107, v27, 36, v92
	v_mul_u32_u24_e32 v27, 36, v27
	v_and_b32_e32 v21, v21, v109
	s_wait_alu 0xf1ff
	v_xor_b32_e32 v106, s15, v106
	s_delay_alu instid0(VALU_DEP_3) | instskip(NEXT) | instid1(VALU_DEP_3)
	v_add_nc_u32_e32 v108, v92, v27
	v_and_b32_e32 v21, v21, v105
	ds_load_b32 v105, v107 offset:1056
	; wave barrier
	v_and_b32_e32 v21, v21, v106
	s_delay_alu instid0(VALU_DEP_1) | instskip(SKIP_1) | instid1(VALU_DEP_2)
	v_mbcnt_lo_u32_b32 v106, v21, 0
	v_cmp_ne_u32_e64 s15, 0, v21
	v_cmp_eq_u32_e32 vcc_lo, 0, v106
	s_and_b32 s16, s15, vcc_lo
	s_wait_alu 0xfffe
	s_and_saveexec_b32 s15, s16
	s_cbranch_execz .LBB1952_252
; %bb.251:                              ;   in Loop: Header=BB1952_228 Depth=2
	s_wait_dscnt 0x0
	v_bcnt_u32_b32 v21, v21, v105
	ds_store_b32 v108, v21 offset:1056
.LBB1952_252:                           ;   in Loop: Header=BB1952_228 Depth=2
	s_wait_alu 0xfffe
	s_or_b32 exec_lo, exec_lo, s15
	v_cmp_gt_i16_e32 vcc_lo, 0, v26
	; wave barrier
	s_wait_alu 0xfffd
	v_cndmask_b32_e64 v21, 0x7fff, 0, vcc_lo
	s_delay_alu instid0(VALU_DEP_1) | instskip(NEXT) | instid1(VALU_DEP_1)
	v_xor_b32_e32 v107, v21, v26
	v_cmp_ne_u16_e32 vcc_lo, 0x8000, v107
	s_wait_alu 0xfffd
	v_cndmask_b32_e32 v21, 0x7fff, v107, vcc_lo
	s_delay_alu instid0(VALU_DEP_1) | instskip(NEXT) | instid1(VALU_DEP_1)
	v_and_b32_e32 v21, 0xffff, v21
	v_lshrrev_b32_e32 v21, s23, v21
	s_delay_alu instid0(VALU_DEP_1) | instskip(NEXT) | instid1(VALU_DEP_1)
	v_and_b32_e32 v26, s42, v21
	v_and_b32_e32 v21, 1, v26
	v_lshlrev_b32_e32 v27, 30, v26
	v_lshlrev_b32_e32 v109, 29, v26
	;; [unrolled: 1-line block ×4, first 2 shown]
	v_add_co_u32 v21, s15, v21, -1
	s_wait_alu 0xf1ff
	v_cndmask_b32_e64 v111, 0, 1, s15
	v_not_b32_e32 v115, v27
	v_cmp_gt_i32_e64 s15, 0, v27
	v_not_b32_e32 v27, v109
	v_lshlrev_b32_e32 v113, 26, v26
	v_cmp_ne_u32_e32 vcc_lo, 0, v111
	v_ashrrev_i32_e32 v115, 31, v115
	v_lshlrev_b32_e32 v114, 25, v26
	v_ashrrev_i32_e32 v27, 31, v27
	v_lshlrev_b32_e32 v111, 24, v26
	s_wait_alu 0xfffd
	v_xor_b32_e32 v21, vcc_lo, v21
	v_cmp_gt_i32_e32 vcc_lo, 0, v109
	v_not_b32_e32 v109, v110
	s_wait_alu 0xf1ff
	v_xor_b32_e32 v115, s15, v115
	v_cmp_gt_i32_e64 s15, 0, v110
	v_and_b32_e32 v21, exec_lo, v21
	v_not_b32_e32 v110, v112
	v_ashrrev_i32_e32 v109, 31, v109
	s_wait_alu 0xfffd
	v_xor_b32_e32 v27, vcc_lo, v27
	v_cmp_gt_i32_e32 vcc_lo, 0, v112
	v_and_b32_e32 v21, v21, v115
	v_not_b32_e32 v112, v113
	v_ashrrev_i32_e32 v110, 31, v110
	s_wait_alu 0xf1ff
	v_xor_b32_e32 v109, s15, v109
	v_cmp_gt_i32_e64 s15, 0, v113
	v_and_b32_e32 v21, v21, v27
	v_not_b32_e32 v27, v114
	v_ashrrev_i32_e32 v112, 31, v112
	s_wait_alu 0xfffd
	v_xor_b32_e32 v110, vcc_lo, v110
	v_cmp_gt_i32_e32 vcc_lo, 0, v114
	v_and_b32_e32 v21, v21, v109
	v_not_b32_e32 v109, v111
	v_ashrrev_i32_e32 v27, 31, v27
	s_wait_alu 0xf1ff
	v_xor_b32_e32 v112, s15, v112
	v_cmp_gt_i32_e64 s15, 0, v111
	v_and_b32_e32 v21, v21, v110
	v_ashrrev_i32_e32 v109, 31, v109
	s_wait_alu 0xfffd
	v_xor_b32_e32 v27, vcc_lo, v27
	v_mad_u32_u24 v110, v26, 36, v92
	v_mul_u32_u24_e32 v26, 36, v26
	v_and_b32_e32 v21, v21, v112
	s_wait_alu 0xf1ff
	v_xor_b32_e32 v111, s15, v109
	ds_load_b32 v109, v110 offset:1056
	v_add_nc_u32_e32 v112, v92, v26
	v_and_b32_e32 v21, v21, v27
	; wave barrier
	s_delay_alu instid0(VALU_DEP_1) | instskip(NEXT) | instid1(VALU_DEP_1)
	v_and_b32_e32 v21, v21, v111
	v_mbcnt_lo_u32_b32 v111, v21, 0
	v_cmp_ne_u32_e64 s15, 0, v21
	s_delay_alu instid0(VALU_DEP_2)
	v_cmp_eq_u32_e32 vcc_lo, 0, v111
	s_and_b32 s16, s15, vcc_lo
	s_wait_alu 0xfffe
	s_and_saveexec_b32 s15, s16
	s_cbranch_execz .LBB1952_254
; %bb.253:                              ;   in Loop: Header=BB1952_228 Depth=2
	s_wait_dscnt 0x0
	v_bcnt_u32_b32 v21, v21, v109
	ds_store_b32 v112, v21 offset:1056
.LBB1952_254:                           ;   in Loop: Header=BB1952_228 Depth=2
	s_wait_alu 0xfffe
	s_or_b32 exec_lo, exec_lo, s15
	v_cmp_gt_i16_e32 vcc_lo, 0, v25
	; wave barrier
	s_wait_alu 0xfffd
	v_cndmask_b32_e64 v21, 0x7fff, 0, vcc_lo
	s_delay_alu instid0(VALU_DEP_1) | instskip(NEXT) | instid1(VALU_DEP_1)
	v_xor_b32_e32 v110, v21, v25
	v_cmp_ne_u16_e32 vcc_lo, 0x8000, v110
	s_wait_alu 0xfffd
	v_cndmask_b32_e32 v21, 0x7fff, v110, vcc_lo
	s_delay_alu instid0(VALU_DEP_1) | instskip(NEXT) | instid1(VALU_DEP_1)
	v_and_b32_e32 v21, 0xffff, v21
	v_lshrrev_b32_e32 v21, s23, v21
	s_delay_alu instid0(VALU_DEP_1) | instskip(NEXT) | instid1(VALU_DEP_1)
	v_and_b32_e32 v25, s42, v21
	v_and_b32_e32 v21, 1, v25
	v_lshlrev_b32_e32 v26, 30, v25
	v_lshlrev_b32_e32 v27, 29, v25
	;; [unrolled: 1-line block ×4, first 2 shown]
	v_add_co_u32 v21, s15, v21, -1
	s_wait_alu 0xf1ff
	v_cndmask_b32_e64 v114, 0, 1, s15
	v_not_b32_e32 v118, v26
	v_cmp_gt_i32_e64 s15, 0, v26
	v_not_b32_e32 v26, v27
	v_lshlrev_b32_e32 v116, 26, v25
	v_cmp_ne_u32_e32 vcc_lo, 0, v114
	v_ashrrev_i32_e32 v118, 31, v118
	v_lshlrev_b32_e32 v117, 25, v25
	v_ashrrev_i32_e32 v26, 31, v26
	v_lshlrev_b32_e32 v114, 24, v25
	s_wait_alu 0xfffd
	v_xor_b32_e32 v21, vcc_lo, v21
	v_cmp_gt_i32_e32 vcc_lo, 0, v27
	v_not_b32_e32 v27, v113
	s_wait_alu 0xf1ff
	v_xor_b32_e32 v118, s15, v118
	v_cmp_gt_i32_e64 s15, 0, v113
	v_and_b32_e32 v21, exec_lo, v21
	v_not_b32_e32 v113, v115
	v_ashrrev_i32_e32 v27, 31, v27
	s_wait_alu 0xfffd
	v_xor_b32_e32 v26, vcc_lo, v26
	v_cmp_gt_i32_e32 vcc_lo, 0, v115
	v_and_b32_e32 v21, v21, v118
	v_not_b32_e32 v115, v116
	v_ashrrev_i32_e32 v113, 31, v113
	s_wait_alu 0xf1ff
	v_xor_b32_e32 v27, s15, v27
	v_cmp_gt_i32_e64 s15, 0, v116
	v_and_b32_e32 v21, v21, v26
	v_not_b32_e32 v26, v117
	v_ashrrev_i32_e32 v115, 31, v115
	s_wait_alu 0xfffd
	v_xor_b32_e32 v113, vcc_lo, v113
	v_cmp_gt_i32_e32 vcc_lo, 0, v117
	v_and_b32_e32 v21, v21, v27
	v_not_b32_e32 v27, v114
	v_ashrrev_i32_e32 v26, 31, v26
	s_wait_alu 0xf1ff
	v_xor_b32_e32 v115, s15, v115
	v_cmp_gt_i32_e64 s15, 0, v114
	v_and_b32_e32 v21, v21, v113
	v_ashrrev_i32_e32 v27, 31, v27
	s_wait_alu 0xfffd
	v_xor_b32_e32 v26, vcc_lo, v26
	v_mad_u32_u24 v113, v25, 36, v92
	v_mul_u32_u24_e32 v25, 36, v25
	v_and_b32_e32 v21, v21, v115
	s_wait_alu 0xf1ff
	v_xor_b32_e32 v27, s15, v27
	ds_load_b32 v113, v113 offset:1056
	v_add_nc_u32_e32 v116, v92, v25
	v_and_b32_e32 v21, v21, v26
	; wave barrier
	s_delay_alu instid0(VALU_DEP_1) | instskip(NEXT) | instid1(VALU_DEP_1)
	v_and_b32_e32 v21, v21, v27
	v_mbcnt_lo_u32_b32 v115, v21, 0
	v_cmp_ne_u32_e64 s15, 0, v21
	s_delay_alu instid0(VALU_DEP_2)
	v_cmp_eq_u32_e32 vcc_lo, 0, v115
	s_and_b32 s16, s15, vcc_lo
	s_wait_alu 0xfffe
	s_and_saveexec_b32 s15, s16
	s_cbranch_execz .LBB1952_256
; %bb.255:                              ;   in Loop: Header=BB1952_228 Depth=2
	s_wait_dscnt 0x0
	v_bcnt_u32_b32 v21, v21, v113
	ds_store_b32 v116, v21 offset:1056
.LBB1952_256:                           ;   in Loop: Header=BB1952_228 Depth=2
	s_wait_alu 0xfffe
	s_or_b32 exec_lo, exec_lo, s15
	v_cmp_gt_i16_e32 vcc_lo, 0, v24
	; wave barrier
	s_wait_alu 0xfffd
	v_cndmask_b32_e64 v21, 0x7fff, 0, vcc_lo
	s_delay_alu instid0(VALU_DEP_1) | instskip(NEXT) | instid1(VALU_DEP_1)
	v_xor_b32_e32 v114, v21, v24
	v_cmp_ne_u16_e32 vcc_lo, 0x8000, v114
	s_wait_alu 0xfffd
	v_cndmask_b32_e32 v21, 0x7fff, v114, vcc_lo
	s_delay_alu instid0(VALU_DEP_1) | instskip(NEXT) | instid1(VALU_DEP_1)
	v_and_b32_e32 v21, 0xffff, v21
	v_lshrrev_b32_e32 v21, s23, v21
	s_delay_alu instid0(VALU_DEP_1) | instskip(NEXT) | instid1(VALU_DEP_1)
	v_and_b32_e32 v24, s42, v21
	v_and_b32_e32 v21, 1, v24
	v_lshlrev_b32_e32 v25, 30, v24
	v_lshlrev_b32_e32 v26, 29, v24
	;; [unrolled: 1-line block ×4, first 2 shown]
	v_add_co_u32 v21, s15, v21, -1
	s_wait_alu 0xf1ff
	v_cndmask_b32_e64 v117, 0, 1, s15
	v_not_b32_e32 v121, v25
	v_cmp_gt_i32_e64 s15, 0, v25
	v_not_b32_e32 v25, v26
	v_lshlrev_b32_e32 v119, 26, v24
	v_cmp_ne_u32_e32 vcc_lo, 0, v117
	v_ashrrev_i32_e32 v121, 31, v121
	v_lshlrev_b32_e32 v120, 25, v24
	v_ashrrev_i32_e32 v25, 31, v25
	v_lshlrev_b32_e32 v117, 24, v24
	s_wait_alu 0xfffd
	v_xor_b32_e32 v21, vcc_lo, v21
	v_cmp_gt_i32_e32 vcc_lo, 0, v26
	v_not_b32_e32 v26, v27
	s_wait_alu 0xf1ff
	v_xor_b32_e32 v121, s15, v121
	v_cmp_gt_i32_e64 s15, 0, v27
	v_and_b32_e32 v21, exec_lo, v21
	v_not_b32_e32 v27, v118
	v_ashrrev_i32_e32 v26, 31, v26
	s_wait_alu 0xfffd
	v_xor_b32_e32 v25, vcc_lo, v25
	v_cmp_gt_i32_e32 vcc_lo, 0, v118
	v_and_b32_e32 v21, v21, v121
	v_not_b32_e32 v118, v119
	v_ashrrev_i32_e32 v27, 31, v27
	s_wait_alu 0xf1ff
	v_xor_b32_e32 v26, s15, v26
	v_cmp_gt_i32_e64 s15, 0, v119
	v_and_b32_e32 v21, v21, v25
	v_not_b32_e32 v25, v120
	v_ashrrev_i32_e32 v118, 31, v118
	s_wait_alu 0xfffd
	v_xor_b32_e32 v27, vcc_lo, v27
	v_cmp_gt_i32_e32 vcc_lo, 0, v120
	v_and_b32_e32 v21, v21, v26
	v_not_b32_e32 v26, v117
	v_ashrrev_i32_e32 v25, 31, v25
	s_wait_alu 0xf1ff
	v_xor_b32_e32 v118, s15, v118
	v_cmp_gt_i32_e64 s15, 0, v117
	v_and_b32_e32 v21, v21, v27
	v_ashrrev_i32_e32 v26, 31, v26
	s_wait_alu 0xfffd
	v_xor_b32_e32 v25, vcc_lo, v25
	v_mad_u32_u24 v27, v24, 36, v92
	v_mul_u32_u24_e32 v24, 36, v24
	v_and_b32_e32 v21, v21, v118
	s_wait_alu 0xf1ff
	v_xor_b32_e32 v26, s15, v26
	ds_load_b32 v117, v27 offset:1056
	v_add_nc_u32_e32 v120, v92, v24
	v_and_b32_e32 v21, v21, v25
	; wave barrier
	s_delay_alu instid0(VALU_DEP_1) | instskip(NEXT) | instid1(VALU_DEP_1)
	v_and_b32_e32 v21, v21, v26
	v_mbcnt_lo_u32_b32 v119, v21, 0
	v_cmp_ne_u32_e64 s15, 0, v21
	s_delay_alu instid0(VALU_DEP_2)
	v_cmp_eq_u32_e32 vcc_lo, 0, v119
	s_and_b32 s16, s15, vcc_lo
	s_wait_alu 0xfffe
	s_and_saveexec_b32 s15, s16
	s_cbranch_execz .LBB1952_258
; %bb.257:                              ;   in Loop: Header=BB1952_228 Depth=2
	s_wait_dscnt 0x0
	v_bcnt_u32_b32 v21, v21, v117
	ds_store_b32 v120, v21 offset:1056
.LBB1952_258:                           ;   in Loop: Header=BB1952_228 Depth=2
	s_wait_alu 0xfffe
	s_or_b32 exec_lo, exec_lo, s15
	v_cmp_gt_i16_e32 vcc_lo, 0, v23
	; wave barrier
	s_wait_alu 0xfffd
	v_cndmask_b32_e64 v21, 0x7fff, 0, vcc_lo
	s_delay_alu instid0(VALU_DEP_1) | instskip(NEXT) | instid1(VALU_DEP_1)
	v_xor_b32_e32 v118, v21, v23
	v_cmp_ne_u16_e32 vcc_lo, 0x8000, v118
	s_wait_alu 0xfffd
	v_cndmask_b32_e32 v21, 0x7fff, v118, vcc_lo
	s_delay_alu instid0(VALU_DEP_1) | instskip(NEXT) | instid1(VALU_DEP_1)
	v_and_b32_e32 v21, 0xffff, v21
	v_lshrrev_b32_e32 v21, s23, v21
	s_delay_alu instid0(VALU_DEP_1) | instskip(NEXT) | instid1(VALU_DEP_1)
	v_and_b32_e32 v23, s42, v21
	v_and_b32_e32 v21, 1, v23
	v_lshlrev_b32_e32 v24, 30, v23
	v_lshlrev_b32_e32 v25, 29, v23
	;; [unrolled: 1-line block ×4, first 2 shown]
	v_add_co_u32 v21, s15, v21, -1
	s_wait_alu 0xf1ff
	v_cndmask_b32_e64 v27, 0, 1, s15
	v_not_b32_e32 v124, v24
	v_cmp_gt_i32_e64 s15, 0, v24
	v_not_b32_e32 v24, v25
	v_lshlrev_b32_e32 v122, 26, v23
	v_cmp_ne_u32_e32 vcc_lo, 0, v27
	v_ashrrev_i32_e32 v124, 31, v124
	v_lshlrev_b32_e32 v123, 25, v23
	v_ashrrev_i32_e32 v24, 31, v24
	v_lshlrev_b32_e32 v27, 24, v23
	s_wait_alu 0xfffd
	v_xor_b32_e32 v21, vcc_lo, v21
	v_cmp_gt_i32_e32 vcc_lo, 0, v25
	v_not_b32_e32 v25, v26
	s_wait_alu 0xf1ff
	v_xor_b32_e32 v124, s15, v124
	v_cmp_gt_i32_e64 s15, 0, v26
	v_and_b32_e32 v21, exec_lo, v21
	v_not_b32_e32 v26, v121
	v_ashrrev_i32_e32 v25, 31, v25
	s_wait_alu 0xfffd
	v_xor_b32_e32 v24, vcc_lo, v24
	v_cmp_gt_i32_e32 vcc_lo, 0, v121
	v_and_b32_e32 v21, v21, v124
	v_not_b32_e32 v121, v122
	v_ashrrev_i32_e32 v26, 31, v26
	s_wait_alu 0xf1ff
	v_xor_b32_e32 v25, s15, v25
	v_cmp_gt_i32_e64 s15, 0, v122
	v_and_b32_e32 v21, v21, v24
	v_not_b32_e32 v24, v123
	v_ashrrev_i32_e32 v121, 31, v121
	s_wait_alu 0xfffd
	v_xor_b32_e32 v26, vcc_lo, v26
	v_cmp_gt_i32_e32 vcc_lo, 0, v123
	v_and_b32_e32 v21, v21, v25
	v_not_b32_e32 v25, v27
	v_ashrrev_i32_e32 v24, 31, v24
	s_wait_alu 0xf1ff
	v_xor_b32_e32 v121, s15, v121
	v_cmp_gt_i32_e64 s15, 0, v27
	v_and_b32_e32 v21, v21, v26
	v_ashrrev_i32_e32 v25, 31, v25
	s_wait_alu 0xfffd
	v_xor_b32_e32 v24, vcc_lo, v24
	v_mad_u32_u24 v26, v23, 36, v92
	v_mul_u32_u24_e32 v23, 36, v23
	v_and_b32_e32 v21, v21, v121
	s_wait_alu 0xf1ff
	v_xor_b32_e32 v25, s15, v25
	ds_load_b32 v121, v26 offset:1056
	v_add_nc_u32_e32 v124, v92, v23
	v_and_b32_e32 v21, v21, v24
	; wave barrier
	s_delay_alu instid0(VALU_DEP_1) | instskip(NEXT) | instid1(VALU_DEP_1)
	v_and_b32_e32 v21, v21, v25
	v_mbcnt_lo_u32_b32 v123, v21, 0
	v_cmp_ne_u32_e64 s15, 0, v21
	s_delay_alu instid0(VALU_DEP_2)
	v_cmp_eq_u32_e32 vcc_lo, 0, v123
	s_and_b32 s16, s15, vcc_lo
	s_wait_alu 0xfffe
	s_and_saveexec_b32 s15, s16
	s_cbranch_execz .LBB1952_260
; %bb.259:                              ;   in Loop: Header=BB1952_228 Depth=2
	s_wait_dscnt 0x0
	v_bcnt_u32_b32 v21, v21, v121
	ds_store_b32 v124, v21 offset:1056
.LBB1952_260:                           ;   in Loop: Header=BB1952_228 Depth=2
	s_wait_alu 0xfffe
	s_or_b32 exec_lo, exec_lo, s15
	v_cmp_gt_i16_e32 vcc_lo, 0, v22
	; wave barrier
	s_wait_alu 0xfffd
	v_cndmask_b32_e64 v21, 0x7fff, 0, vcc_lo
	s_delay_alu instid0(VALU_DEP_1) | instskip(NEXT) | instid1(VALU_DEP_1)
	v_xor_b32_e32 v122, v21, v22
	v_cmp_ne_u16_e32 vcc_lo, 0x8000, v122
	s_wait_alu 0xfffd
	v_cndmask_b32_e32 v21, 0x7fff, v122, vcc_lo
	s_delay_alu instid0(VALU_DEP_1) | instskip(NEXT) | instid1(VALU_DEP_1)
	v_and_b32_e32 v21, 0xffff, v21
	v_lshrrev_b32_e32 v21, s23, v21
	s_delay_alu instid0(VALU_DEP_1) | instskip(NEXT) | instid1(VALU_DEP_1)
	v_and_b32_e32 v22, s42, v21
	v_and_b32_e32 v21, 1, v22
	v_lshlrev_b32_e32 v23, 30, v22
	v_lshlrev_b32_e32 v24, 29, v22
	;; [unrolled: 1-line block ×4, first 2 shown]
	v_add_co_u32 v21, s15, v21, -1
	s_wait_alu 0xf1ff
	v_cndmask_b32_e64 v26, 0, 1, s15
	v_not_b32_e32 v127, v23
	v_cmp_gt_i32_e64 s15, 0, v23
	v_not_b32_e32 v23, v24
	v_lshlrev_b32_e32 v125, 26, v22
	v_cmp_ne_u32_e32 vcc_lo, 0, v26
	v_ashrrev_i32_e32 v127, 31, v127
	v_lshlrev_b32_e32 v126, 25, v22
	v_ashrrev_i32_e32 v23, 31, v23
	v_lshlrev_b32_e32 v26, 24, v22
	s_wait_alu 0xfffd
	v_xor_b32_e32 v21, vcc_lo, v21
	v_cmp_gt_i32_e32 vcc_lo, 0, v24
	v_not_b32_e32 v24, v25
	s_wait_alu 0xf1ff
	v_xor_b32_e32 v127, s15, v127
	v_cmp_gt_i32_e64 s15, 0, v25
	v_and_b32_e32 v21, exec_lo, v21
	v_not_b32_e32 v25, v27
	v_ashrrev_i32_e32 v24, 31, v24
	s_wait_alu 0xfffd
	v_xor_b32_e32 v23, vcc_lo, v23
	v_cmp_gt_i32_e32 vcc_lo, 0, v27
	v_and_b32_e32 v21, v21, v127
	v_not_b32_e32 v27, v125
	v_ashrrev_i32_e32 v25, 31, v25
	s_wait_alu 0xf1ff
	v_xor_b32_e32 v24, s15, v24
	v_cmp_gt_i32_e64 s15, 0, v125
	v_and_b32_e32 v21, v21, v23
	v_not_b32_e32 v23, v126
	v_ashrrev_i32_e32 v27, 31, v27
	s_wait_alu 0xfffd
	v_xor_b32_e32 v25, vcc_lo, v25
	v_cmp_gt_i32_e32 vcc_lo, 0, v126
	v_and_b32_e32 v21, v21, v24
	v_not_b32_e32 v24, v26
	v_ashrrev_i32_e32 v23, 31, v23
	s_wait_alu 0xf1ff
	v_xor_b32_e32 v27, s15, v27
	v_cmp_gt_i32_e64 s15, 0, v26
	v_and_b32_e32 v21, v21, v25
	v_ashrrev_i32_e32 v24, 31, v24
	s_wait_alu 0xfffd
	v_xor_b32_e32 v23, vcc_lo, v23
	v_mad_u32_u24 v25, v22, 36, v92
	v_mul_u32_u24_e32 v22, 36, v22
	v_and_b32_e32 v21, v21, v27
	s_wait_alu 0xf1ff
	v_xor_b32_e32 v24, s15, v24
	ds_load_b32 v125, v25 offset:1056
	v_add_nc_u32_e32 v128, v92, v22
	v_and_b32_e32 v21, v21, v23
	; wave barrier
	s_delay_alu instid0(VALU_DEP_1) | instskip(NEXT) | instid1(VALU_DEP_1)
	v_and_b32_e32 v21, v21, v24
	v_mbcnt_lo_u32_b32 v126, v21, 0
	v_cmp_ne_u32_e64 s15, 0, v21
	s_delay_alu instid0(VALU_DEP_2)
	v_cmp_eq_u32_e32 vcc_lo, 0, v126
	s_and_b32 s16, s15, vcc_lo
	s_wait_alu 0xfffe
	s_and_saveexec_b32 s15, s16
	s_cbranch_execz .LBB1952_262
; %bb.261:                              ;   in Loop: Header=BB1952_228 Depth=2
	s_wait_dscnt 0x0
	v_bcnt_u32_b32 v21, v21, v125
	ds_store_b32 v128, v21 offset:1056
.LBB1952_262:                           ;   in Loop: Header=BB1952_228 Depth=2
	s_wait_alu 0xfffe
	s_or_b32 exec_lo, exec_lo, s15
	v_cmp_gt_i16_e32 vcc_lo, 0, v20
	; wave barrier
	s_wait_alu 0xfffd
	v_cndmask_b32_e64 v21, 0x7fff, 0, vcc_lo
	s_delay_alu instid0(VALU_DEP_1) | instskip(NEXT) | instid1(VALU_DEP_1)
	v_xor_b32_e32 v127, v21, v20
	v_cmp_ne_u16_e32 vcc_lo, 0x8000, v127
	s_wait_alu 0xfffd
	v_cndmask_b32_e32 v20, 0x7fff, v127, vcc_lo
	s_delay_alu instid0(VALU_DEP_1) | instskip(NEXT) | instid1(VALU_DEP_1)
	v_and_b32_e32 v20, 0xffff, v20
	v_lshrrev_b32_e32 v20, s23, v20
	s_delay_alu instid0(VALU_DEP_1) | instskip(NEXT) | instid1(VALU_DEP_1)
	v_and_b32_e32 v21, s42, v20
	v_and_b32_e32 v20, 1, v21
	v_lshlrev_b32_e32 v22, 30, v21
	v_lshlrev_b32_e32 v23, 29, v21
	v_lshlrev_b32_e32 v24, 28, v21
	v_lshlrev_b32_e32 v26, 27, v21
	v_add_co_u32 v20, s15, v20, -1
	s_wait_alu 0xf1ff
	v_cndmask_b32_e64 v25, 0, 1, s15
	v_not_b32_e32 v130, v22
	v_cmp_gt_i32_e64 s15, 0, v22
	v_not_b32_e32 v22, v23
	v_lshlrev_b32_e32 v27, 26, v21
	v_cmp_ne_u32_e32 vcc_lo, 0, v25
	v_ashrrev_i32_e32 v130, 31, v130
	v_lshlrev_b32_e32 v129, 25, v21
	v_ashrrev_i32_e32 v22, 31, v22
	v_lshlrev_b32_e32 v25, 24, v21
	s_wait_alu 0xfffd
	v_xor_b32_e32 v20, vcc_lo, v20
	v_cmp_gt_i32_e32 vcc_lo, 0, v23
	v_not_b32_e32 v23, v24
	s_wait_alu 0xf1ff
	v_xor_b32_e32 v130, s15, v130
	v_cmp_gt_i32_e64 s15, 0, v24
	v_and_b32_e32 v20, exec_lo, v20
	v_not_b32_e32 v24, v26
	v_ashrrev_i32_e32 v23, 31, v23
	s_wait_alu 0xfffd
	v_xor_b32_e32 v22, vcc_lo, v22
	v_cmp_gt_i32_e32 vcc_lo, 0, v26
	v_and_b32_e32 v20, v20, v130
	v_not_b32_e32 v26, v27
	v_ashrrev_i32_e32 v24, 31, v24
	s_wait_alu 0xf1ff
	v_xor_b32_e32 v23, s15, v23
	v_cmp_gt_i32_e64 s15, 0, v27
	v_and_b32_e32 v20, v20, v22
	v_not_b32_e32 v22, v129
	v_ashrrev_i32_e32 v26, 31, v26
	s_wait_alu 0xfffd
	v_xor_b32_e32 v24, vcc_lo, v24
	v_cmp_gt_i32_e32 vcc_lo, 0, v129
	v_and_b32_e32 v20, v20, v23
	v_not_b32_e32 v23, v25
	v_ashrrev_i32_e32 v22, 31, v22
	s_wait_alu 0xf1ff
	v_xor_b32_e32 v26, s15, v26
	v_cmp_gt_i32_e64 s15, 0, v25
	v_and_b32_e32 v20, v20, v24
	v_ashrrev_i32_e32 v23, 31, v23
	s_wait_alu 0xfffd
	v_xor_b32_e32 v22, vcc_lo, v22
	v_mad_u32_u24 v24, v21, 36, v92
	v_mul_u32_u24_e32 v21, 36, v21
	v_and_b32_e32 v20, v20, v26
	s_wait_alu 0xf1ff
	v_xor_b32_e32 v23, s15, v23
	ds_load_b32 v129, v24 offset:1056
	v_add_nc_u32_e32 v131, v92, v21
	v_and_b32_e32 v20, v20, v22
	; wave barrier
	s_delay_alu instid0(VALU_DEP_1) | instskip(NEXT) | instid1(VALU_DEP_1)
	v_and_b32_e32 v20, v20, v23
	v_mbcnt_lo_u32_b32 v130, v20, 0
	v_cmp_ne_u32_e64 s15, 0, v20
	s_delay_alu instid0(VALU_DEP_2)
	v_cmp_eq_u32_e32 vcc_lo, 0, v130
	s_and_b32 s16, s15, vcc_lo
	s_wait_alu 0xfffe
	s_and_saveexec_b32 s15, s16
	s_cbranch_execz .LBB1952_264
; %bb.263:                              ;   in Loop: Header=BB1952_228 Depth=2
	s_wait_dscnt 0x0
	v_bcnt_u32_b32 v20, v20, v129
	ds_store_b32 v131, v20 offset:1056
.LBB1952_264:                           ;   in Loop: Header=BB1952_228 Depth=2
	s_wait_alu 0xfffe
	s_or_b32 exec_lo, exec_lo, s15
	; wave barrier
	s_wait_loadcnt_dscnt 0x0
	s_barrier_signal -1
	s_barrier_wait -1
	global_inv scope:SCOPE_SE
	ds_load_2addr_b32 v[26:27], v78 offset1:1
	ds_load_2addr_b32 v[24:25], v79 offset1:1
	;; [unrolled: 1-line block ×4, first 2 shown]
	ds_load_b32 v132, v43 offset:1088
	s_wait_dscnt 0x3
	v_add3_u32 v133, v27, v26, v24
	s_wait_dscnt 0x2
	s_delay_alu instid0(VALU_DEP_1) | instskip(SKIP_1) | instid1(VALU_DEP_1)
	v_add3_u32 v133, v133, v25, v22
	s_wait_dscnt 0x1
	v_add3_u32 v133, v133, v23, v20
	s_wait_dscnt 0x0
	s_delay_alu instid0(VALU_DEP_1) | instskip(NEXT) | instid1(VALU_DEP_1)
	v_add3_u32 v132, v133, v21, v132
	v_mov_b32_dpp v133, v132 row_shr:1 row_mask:0xf bank_mask:0xf
	s_delay_alu instid0(VALU_DEP_1) | instskip(NEXT) | instid1(VALU_DEP_1)
	v_cndmask_b32_e64 v133, v133, 0, s0
	v_add_nc_u32_e32 v132, v133, v132
	s_delay_alu instid0(VALU_DEP_1) | instskip(NEXT) | instid1(VALU_DEP_1)
	v_mov_b32_dpp v133, v132 row_shr:2 row_mask:0xf bank_mask:0xf
	v_cndmask_b32_e64 v133, 0, v133, s1
	s_delay_alu instid0(VALU_DEP_1) | instskip(NEXT) | instid1(VALU_DEP_1)
	v_add_nc_u32_e32 v132, v132, v133
	v_mov_b32_dpp v133, v132 row_shr:4 row_mask:0xf bank_mask:0xf
	s_delay_alu instid0(VALU_DEP_1) | instskip(NEXT) | instid1(VALU_DEP_1)
	v_cndmask_b32_e64 v133, 0, v133, s9
	v_add_nc_u32_e32 v132, v132, v133
	s_delay_alu instid0(VALU_DEP_1) | instskip(NEXT) | instid1(VALU_DEP_1)
	v_mov_b32_dpp v133, v132 row_shr:8 row_mask:0xf bank_mask:0xf
	v_cndmask_b32_e64 v133, 0, v133, s10
	s_delay_alu instid0(VALU_DEP_1) | instskip(SKIP_3) | instid1(VALU_DEP_1)
	v_add_nc_u32_e32 v132, v132, v133
	ds_swizzle_b32 v133, v132 offset:swizzle(BROADCAST,32,15)
	s_wait_dscnt 0x0
	v_cndmask_b32_e64 v133, v133, 0, s11
	v_add_nc_u32_e32 v132, v132, v133
	s_and_saveexec_b32 s15, s3
; %bb.265:                              ;   in Loop: Header=BB1952_228 Depth=2
	ds_store_b32 v38, v132 offset:1024
; %bb.266:                              ;   in Loop: Header=BB1952_228 Depth=2
	s_wait_alu 0xfffe
	s_or_b32 exec_lo, exec_lo, s15
	s_wait_loadcnt_dscnt 0x0
	s_barrier_signal -1
	s_barrier_wait -1
	global_inv scope:SCOPE_SE
	s_and_saveexec_b32 s15, s4
	s_cbranch_execz .LBB1952_268
; %bb.267:                              ;   in Loop: Header=BB1952_228 Depth=2
	ds_load_b32 v133, v46 offset:1024
	s_wait_dscnt 0x0
	v_mov_b32_dpp v134, v133 row_shr:1 row_mask:0xf bank_mask:0xf
	s_delay_alu instid0(VALU_DEP_1) | instskip(NEXT) | instid1(VALU_DEP_1)
	v_cndmask_b32_e64 v134, v134, 0, s12
	v_add_nc_u32_e32 v133, v134, v133
	s_delay_alu instid0(VALU_DEP_1) | instskip(NEXT) | instid1(VALU_DEP_1)
	v_mov_b32_dpp v134, v133 row_shr:2 row_mask:0xf bank_mask:0xf
	v_cndmask_b32_e64 v134, 0, v134, s13
	s_delay_alu instid0(VALU_DEP_1) | instskip(NEXT) | instid1(VALU_DEP_1)
	v_add_nc_u32_e32 v133, v133, v134
	v_mov_b32_dpp v134, v133 row_shr:4 row_mask:0xf bank_mask:0xf
	s_delay_alu instid0(VALU_DEP_1) | instskip(NEXT) | instid1(VALU_DEP_1)
	v_cndmask_b32_e64 v134, 0, v134, s14
	v_add_nc_u32_e32 v133, v133, v134
	ds_store_b32 v46, v133 offset:1024
.LBB1952_268:                           ;   in Loop: Header=BB1952_228 Depth=2
	s_wait_alu 0xfffe
	s_or_b32 exec_lo, exec_lo, s15
	v_mov_b32_e32 v133, 0
	s_wait_loadcnt_dscnt 0x0
	s_barrier_signal -1
	s_barrier_wait -1
	global_inv scope:SCOPE_SE
	s_and_saveexec_b32 s15, s5
; %bb.269:                              ;   in Loop: Header=BB1952_228 Depth=2
	ds_load_b32 v133, v38 offset:1020
; %bb.270:                              ;   in Loop: Header=BB1952_228 Depth=2
	s_wait_alu 0xfffe
	s_or_b32 exec_lo, exec_lo, s15
	s_wait_dscnt 0x0
	v_add_nc_u32_e32 v132, v133, v132
	ds_bpermute_b32 v132, v87, v132
	s_wait_dscnt 0x0
	v_cndmask_b32_e64 v132, v132, v133, s8
	s_delay_alu instid0(VALU_DEP_1) | instskip(NEXT) | instid1(VALU_DEP_1)
	v_cndmask_b32_e64 v132, v132, 0, s6
	v_add_nc_u32_e32 v26, v132, v26
	s_delay_alu instid0(VALU_DEP_1) | instskip(NEXT) | instid1(VALU_DEP_1)
	v_add_nc_u32_e32 v27, v26, v27
	v_add_nc_u32_e32 v24, v27, v24
	s_delay_alu instid0(VALU_DEP_1) | instskip(NEXT) | instid1(VALU_DEP_1)
	v_add_nc_u32_e32 v25, v24, v25
	;; [unrolled: 3-line block ×3, first 2 shown]
	v_add_nc_u32_e32 v20, v23, v20
	s_delay_alu instid0(VALU_DEP_1)
	v_add_nc_u32_e32 v21, v20, v21
	ds_store_2addr_b32 v81, v23, v20 offset1:1
	ds_store_2addr_b32 v78, v132, v26 offset1:1
	;; [unrolled: 1-line block ×4, first 2 shown]
	ds_store_b32 v43, v21 offset:1088
	s_wait_loadcnt_dscnt 0x0
	s_barrier_signal -1
	s_barrier_wait -1
	global_inv scope:SCOPE_SE
	ds_load_b32 v23, v104 offset:1056
	ds_load_b32 v24, v108 offset:1056
	;; [unrolled: 1-line block ×9, first 2 shown]
	v_mov_b32_e32 v22, 0x800
	s_and_saveexec_b32 s15, s7
; %bb.271:                              ;   in Loop: Header=BB1952_228 Depth=2
	ds_load_b32 v22, v43 offset:1092
; %bb.272:                              ;   in Loop: Header=BB1952_228 Depth=2
	s_wait_alu 0xfffe
	s_or_b32 exec_lo, exec_lo, s15
	s_wait_loadcnt_dscnt 0x0
	s_barrier_signal -1
	s_barrier_wait -1
	global_inv scope:SCOPE_SE
	s_and_saveexec_b32 s15, s2
	s_cbranch_execz .LBB1952_274
; %bb.273:                              ;   in Loop: Header=BB1952_228 Depth=2
	ds_load_b32 v108, v28
	s_wait_dscnt 0x0
	v_sub_nc_u32_e32 v104, v108, v104
	ds_store_b32 v28, v104
.LBB1952_274:                           ;   in Loop: Header=BB1952_228 Depth=2
	s_wait_alu 0xfffe
	s_or_b32 exec_lo, exec_lo, s15
	v_add_nc_u32_e32 v108, v23, v102
	v_add3_u32 v104, v106, v105, v24
	v_add3_u32 v102, v111, v109, v25
	;; [unrolled: 1-line block ×4, first 2 shown]
	v_lshlrev_b32_e32 v105, 1, v108
	v_lshlrev_b32_e32 v106, 1, v104
	v_add3_u32 v23, v123, v121, v112
	v_lshlrev_b32_e32 v109, 1, v102
	v_add3_u32 v27, v126, v125, v20
	v_add3_u32 v26, v130, v129, v21
	ds_store_b16 v105, v2 offset:1024
	ds_store_b16 v106, v103 offset:1024
	ds_store_b16 v109, v107 offset:1024
	v_lshlrev_b32_e32 v2, 1, v25
	v_cmp_lt_u32_e32 vcc_lo, v1, v101
	v_lshlrev_b32_e32 v20, 1, v24
	v_lshlrev_b32_e32 v21, 1, v23
	;; [unrolled: 1-line block ×4, first 2 shown]
	ds_store_b16 v2, v110 offset:1024
	ds_store_b16 v20, v114 offset:1024
	;; [unrolled: 1-line block ×5, first 2 shown]
	s_wait_loadcnt_dscnt 0x0
	s_barrier_signal -1
	s_barrier_wait -1
	global_inv scope:SCOPE_SE
	s_and_saveexec_b32 s16, vcc_lo
	s_cbranch_execnz .LBB1952_311
; %bb.275:                              ;   in Loop: Header=BB1952_228 Depth=2
	s_wait_alu 0xfffe
	s_or_b32 exec_lo, exec_lo, s16
	v_cmp_lt_u32_e64 s15, v29, v101
	s_and_saveexec_b32 s17, s15
	s_cbranch_execnz .LBB1952_312
.LBB1952_276:                           ;   in Loop: Header=BB1952_228 Depth=2
	s_wait_alu 0xfffe
	s_or_b32 exec_lo, exec_lo, s17
	v_cmp_lt_u32_e64 s16, v30, v101
	s_and_saveexec_b32 s18, s16
	s_cbranch_execnz .LBB1952_313
.LBB1952_277:                           ;   in Loop: Header=BB1952_228 Depth=2
	s_wait_alu 0xfffe
	s_or_b32 exec_lo, exec_lo, s18
	v_cmp_lt_u32_e64 s17, v31, v101
	s_and_saveexec_b32 s19, s17
	s_cbranch_execnz .LBB1952_314
.LBB1952_278:                           ;   in Loop: Header=BB1952_228 Depth=2
	s_wait_alu 0xfffe
	s_or_b32 exec_lo, exec_lo, s19
	v_cmp_lt_u32_e64 s18, v34, v101
	s_and_saveexec_b32 s20, s18
	s_cbranch_execnz .LBB1952_315
.LBB1952_279:                           ;   in Loop: Header=BB1952_228 Depth=2
	s_wait_alu 0xfffe
	s_or_b32 exec_lo, exec_lo, s20
	v_cmp_lt_u32_e64 s19, v35, v101
	s_and_saveexec_b32 s21, s19
	s_cbranch_execnz .LBB1952_316
.LBB1952_280:                           ;   in Loop: Header=BB1952_228 Depth=2
	s_wait_alu 0xfffe
	s_or_b32 exec_lo, exec_lo, s21
	v_cmp_lt_u32_e64 s20, v36, v101
	s_and_saveexec_b32 s22, s20
	s_cbranch_execnz .LBB1952_317
.LBB1952_281:                           ;   in Loop: Header=BB1952_228 Depth=2
	s_wait_alu 0xfffe
	s_or_b32 exec_lo, exec_lo, s22
	v_cmp_lt_u32_e64 s21, v37, v101
	s_and_saveexec_b32 s48, s21
	s_cbranch_execz .LBB1952_283
.LBB1952_282:                           ;   in Loop: Header=BB1952_228 Depth=2
	ds_load_u16 v103, v47 offset:4608
	s_wait_dscnt 0x0
	v_cmp_ne_u16_e64 s22, 0x8000, v103
	s_wait_alu 0xf1ff
	s_delay_alu instid0(VALU_DEP_1) | instskip(SKIP_1) | instid1(VALU_DEP_2)
	v_cndmask_b32_e64 v2, 0x7fff, v103, s22
	v_cmp_gt_i16_e64 s22, 0, v103
	v_and_b32_e32 v2, 0xffff, v2
	s_wait_alu 0xf1ff
	s_delay_alu instid0(VALU_DEP_2) | instskip(NEXT) | instid1(VALU_DEP_2)
	v_cndmask_b32_e64 v105, 0x7fff, 0, s22
	v_lshrrev_b32_e32 v2, s23, v2
	s_delay_alu instid0(VALU_DEP_1) | instskip(NEXT) | instid1(VALU_DEP_1)
	v_and_b32_e32 v2, s42, v2
	v_lshlrev_b32_e32 v2, 2, v2
	ds_load_b32 v2, v2
	s_wait_dscnt 0x0
	v_add_nc_u32_e32 v2, v2, v37
	s_delay_alu instid0(VALU_DEP_1) | instskip(SKIP_1) | instid1(VALU_DEP_2)
	v_lshlrev_b64_e32 v[20:21], 1, v[2:3]
	v_xor_b32_e32 v2, v105, v103
	v_add_co_u32 v20, s22, s40, v20
	s_wait_alu 0xf1ff
	s_delay_alu instid0(VALU_DEP_3)
	v_add_co_ci_u32_e64 v21, null, s41, v21, s22
	global_store_b16 v[20:21], v2, off
.LBB1952_283:                           ;   in Loop: Header=BB1952_228 Depth=2
	s_wait_alu 0xfffe
	s_or_b32 exec_lo, exec_lo, s48
	s_lshl_b64 s[48:49], s[30:31], 3
	s_wait_alu 0xfffe
	v_add_co_u32 v20, s22, v88, s48
	s_wait_alu 0xf1ff
	v_add_co_ci_u32_e64 v21, null, s49, v89, s22
	v_cmp_lt_u32_e64 s22, v66, v101
	s_and_saveexec_b32 s30, s22
	s_wait_alu 0xfffe
	s_xor_b32 s22, exec_lo, s30
	s_cbranch_execnz .LBB1952_318
; %bb.284:                              ;   in Loop: Header=BB1952_228 Depth=2
	s_wait_alu 0xfffe
	s_or_b32 exec_lo, exec_lo, s22
	s_delay_alu instid0(SALU_CYCLE_1)
	s_mov_b32 s30, exec_lo
	v_cmpx_lt_u32_e64 v70, v101
	s_cbranch_execnz .LBB1952_319
.LBB1952_285:                           ;   in Loop: Header=BB1952_228 Depth=2
	s_wait_alu 0xfffe
	s_or_b32 exec_lo, exec_lo, s30
	s_delay_alu instid0(SALU_CYCLE_1)
	s_mov_b32 s30, exec_lo
	v_cmpx_lt_u32_e64 v71, v101
	s_cbranch_execnz .LBB1952_320
.LBB1952_286:                           ;   in Loop: Header=BB1952_228 Depth=2
	s_wait_alu 0xfffe
	s_or_b32 exec_lo, exec_lo, s30
	s_delay_alu instid0(SALU_CYCLE_1)
	s_mov_b32 s30, exec_lo
	v_cmpx_lt_u32_e64 v72, v101
	s_cbranch_execnz .LBB1952_321
.LBB1952_287:                           ;   in Loop: Header=BB1952_228 Depth=2
	s_wait_alu 0xfffe
	s_or_b32 exec_lo, exec_lo, s30
	s_delay_alu instid0(SALU_CYCLE_1)
	s_mov_b32 s30, exec_lo
	v_cmpx_lt_u32_e64 v73, v101
	s_cbranch_execnz .LBB1952_322
.LBB1952_288:                           ;   in Loop: Header=BB1952_228 Depth=2
	s_wait_alu 0xfffe
	s_or_b32 exec_lo, exec_lo, s30
	s_delay_alu instid0(SALU_CYCLE_1)
	s_mov_b32 s30, exec_lo
	v_cmpx_lt_u32_e64 v74, v101
	s_cbranch_execnz .LBB1952_323
.LBB1952_289:                           ;   in Loop: Header=BB1952_228 Depth=2
	s_wait_alu 0xfffe
	s_or_b32 exec_lo, exec_lo, s30
	s_delay_alu instid0(SALU_CYCLE_1)
	s_mov_b32 s30, exec_lo
	v_cmpx_lt_u32_e64 v75, v101
	s_cbranch_execnz .LBB1952_324
.LBB1952_290:                           ;   in Loop: Header=BB1952_228 Depth=2
	s_wait_alu 0xfffe
	s_or_b32 exec_lo, exec_lo, s30
	s_delay_alu instid0(SALU_CYCLE_1)
	s_mov_b32 s30, exec_lo
	v_cmpx_lt_u32_e64 v76, v101
	s_cbranch_execnz .LBB1952_325
.LBB1952_291:                           ;   in Loop: Header=BB1952_228 Depth=2
	s_wait_alu 0xfffe
	s_or_b32 exec_lo, exec_lo, s30
	s_and_saveexec_b32 s30, vcc_lo
	s_cbranch_execnz .LBB1952_326
.LBB1952_292:                           ;   in Loop: Header=BB1952_228 Depth=2
	s_wait_alu 0xfffe
	s_or_b32 exec_lo, exec_lo, s30
	s_and_saveexec_b32 s30, s15
	s_cbranch_execnz .LBB1952_327
.LBB1952_293:                           ;   in Loop: Header=BB1952_228 Depth=2
	s_wait_alu 0xfffe
	s_or_b32 exec_lo, exec_lo, s30
	s_and_saveexec_b32 s30, s16
	s_cbranch_execnz .LBB1952_328
.LBB1952_294:                           ;   in Loop: Header=BB1952_228 Depth=2
	s_wait_alu 0xfffe
	s_or_b32 exec_lo, exec_lo, s30
	s_and_saveexec_b32 s30, s17
	s_cbranch_execnz .LBB1952_329
.LBB1952_295:                           ;   in Loop: Header=BB1952_228 Depth=2
	s_wait_alu 0xfffe
	s_or_b32 exec_lo, exec_lo, s30
	s_and_saveexec_b32 s30, s18
	s_cbranch_execnz .LBB1952_330
.LBB1952_296:                           ;   in Loop: Header=BB1952_228 Depth=2
	s_wait_alu 0xfffe
	s_or_b32 exec_lo, exec_lo, s30
	s_and_saveexec_b32 s30, s19
	s_cbranch_execnz .LBB1952_331
.LBB1952_297:                           ;   in Loop: Header=BB1952_228 Depth=2
	s_wait_alu 0xfffe
	s_or_b32 exec_lo, exec_lo, s30
	s_and_saveexec_b32 s30, s20
	s_cbranch_execnz .LBB1952_332
.LBB1952_298:                           ;   in Loop: Header=BB1952_228 Depth=2
	s_wait_alu 0xfffe
	s_or_b32 exec_lo, exec_lo, s30
	s_and_saveexec_b32 s30, s21
	s_cbranch_execz .LBB1952_300
.LBB1952_299:                           ;   in Loop: Header=BB1952_228 Depth=2
	ds_load_u16 v2, v47 offset:4608
	s_wait_dscnt 0x0
	v_cmp_ne_u16_e64 s22, 0x8000, v2
	s_wait_alu 0xf1ff
	s_delay_alu instid0(VALU_DEP_1) | instskip(NEXT) | instid1(VALU_DEP_1)
	v_cndmask_b32_e64 v2, 0x7fff, v2, s22
	v_and_b32_e32 v2, 0xffff, v2
	s_delay_alu instid0(VALU_DEP_1) | instskip(NEXT) | instid1(VALU_DEP_1)
	v_lshrrev_b32_e32 v2, s23, v2
	v_and_b32_e32 v93, s42, v2
.LBB1952_300:                           ;   in Loop: Header=BB1952_228 Depth=2
	s_wait_alu 0xfffe
	s_or_b32 exec_lo, exec_lo, s30
	v_lshlrev_b32_e32 v2, 3, v108
	v_lshlrev_b32_e32 v20, 3, v104
	;; [unrolled: 1-line block ×3, first 2 shown]
	s_wait_loadcnt 0x0
	s_wait_storecnt 0x0
	s_barrier_signal -1
	s_barrier_wait -1
	global_inv scope:SCOPE_SE
	ds_store_b64 v2, v[18:19] offset:1024
	ds_store_b64 v20, v[16:17] offset:1024
	;; [unrolled: 1-line block ×3, first 2 shown]
	v_lshlrev_b32_e32 v2, 3, v25
	v_lshlrev_b32_e32 v20, 3, v24
	;; [unrolled: 1-line block ×5, first 2 shown]
	ds_store_b64 v2, v[12:13] offset:1024
	ds_store_b64 v20, v[10:11] offset:1024
	;; [unrolled: 1-line block ×5, first 2 shown]
	s_wait_loadcnt_dscnt 0x0
	s_barrier_signal -1
	s_barrier_wait -1
	global_inv scope:SCOPE_SE
	s_and_saveexec_b32 s22, vcc_lo
	s_cbranch_execnz .LBB1952_333
; %bb.301:                              ;   in Loop: Header=BB1952_228 Depth=2
	s_wait_alu 0xfffe
	s_or_b32 exec_lo, exec_lo, s22
	s_and_saveexec_b32 s22, s15
	s_cbranch_execnz .LBB1952_334
.LBB1952_302:                           ;   in Loop: Header=BB1952_228 Depth=2
	s_wait_alu 0xfffe
	s_or_b32 exec_lo, exec_lo, s22
	s_and_saveexec_b32 s15, s16
	s_cbranch_execnz .LBB1952_335
.LBB1952_303:                           ;   in Loop: Header=BB1952_228 Depth=2
	s_wait_alu 0xfffe
	s_or_b32 exec_lo, exec_lo, s15
	s_and_saveexec_b32 s15, s17
	s_cbranch_execnz .LBB1952_336
.LBB1952_304:                           ;   in Loop: Header=BB1952_228 Depth=2
	s_wait_alu 0xfffe
	s_or_b32 exec_lo, exec_lo, s15
	s_and_saveexec_b32 s15, s18
	s_cbranch_execnz .LBB1952_337
.LBB1952_305:                           ;   in Loop: Header=BB1952_228 Depth=2
	s_wait_alu 0xfffe
	s_or_b32 exec_lo, exec_lo, s15
	s_and_saveexec_b32 s15, s19
	s_cbranch_execnz .LBB1952_338
.LBB1952_306:                           ;   in Loop: Header=BB1952_228 Depth=2
	s_wait_alu 0xfffe
	s_or_b32 exec_lo, exec_lo, s15
	s_and_saveexec_b32 s15, s20
	s_cbranch_execnz .LBB1952_339
.LBB1952_307:                           ;   in Loop: Header=BB1952_228 Depth=2
	s_wait_alu 0xfffe
	s_or_b32 exec_lo, exec_lo, s15
	s_and_saveexec_b32 s15, s21
	s_cbranch_execz .LBB1952_309
.LBB1952_308:                           ;   in Loop: Header=BB1952_228 Depth=2
	v_lshlrev_b32_e32 v2, 2, v93
	v_add_nc_u32_e32 v20, v47, v48
	ds_load_b32 v2, v2
	ds_load_b64 v[20:21], v20 offset:15360
	s_wait_dscnt 0x1
	v_add_nc_u32_e32 v2, v2, v37
	s_delay_alu instid0(VALU_DEP_1) | instskip(NEXT) | instid1(VALU_DEP_1)
	v_lshlrev_b64_e32 v[23:24], 3, v[2:3]
	v_add_co_u32 v23, vcc_lo, s26, v23
	s_wait_alu 0xfffd
	s_delay_alu instid0(VALU_DEP_2)
	v_add_co_ci_u32_e64 v24, null, s27, v24, vcc_lo
	s_wait_dscnt 0x0
	global_store_b64 v[23:24], v[20:21], off
.LBB1952_309:                           ;   in Loop: Header=BB1952_228 Depth=2
	s_wait_alu 0xfffe
	s_or_b32 exec_lo, exec_lo, s15
	s_wait_loadcnt 0x0
	s_wait_storecnt 0x0
	s_barrier_signal -1
	s_barrier_wait -1
	global_inv scope:SCOPE_SE
	s_and_saveexec_b32 s15, s2
	s_cbranch_execz .LBB1952_227
; %bb.310:                              ;   in Loop: Header=BB1952_228 Depth=2
	ds_load_b32 v2, v28
	s_wait_dscnt 0x0
	v_add_nc_u32_e32 v2, v2, v22
	ds_store_b32 v28, v2
	s_branch .LBB1952_227
.LBB1952_311:                           ;   in Loop: Header=BB1952_228 Depth=2
	ds_load_u16 v103, v47 offset:1024
	s_wait_dscnt 0x0
	v_cmp_ne_u16_e64 s15, 0x8000, v103
	s_wait_alu 0xf1ff
	s_delay_alu instid0(VALU_DEP_1) | instskip(SKIP_1) | instid1(VALU_DEP_2)
	v_cndmask_b32_e64 v2, 0x7fff, v103, s15
	v_cmp_gt_i16_e64 s15, 0, v103
	v_and_b32_e32 v2, 0xffff, v2
	s_wait_alu 0xf1ff
	s_delay_alu instid0(VALU_DEP_2) | instskip(NEXT) | instid1(VALU_DEP_2)
	v_cndmask_b32_e64 v105, 0x7fff, 0, s15
	v_lshrrev_b32_e32 v2, s23, v2
	s_delay_alu instid0(VALU_DEP_1) | instskip(NEXT) | instid1(VALU_DEP_1)
	v_and_b32_e32 v2, s42, v2
	v_lshlrev_b32_e32 v2, 2, v2
	ds_load_b32 v2, v2
	s_wait_dscnt 0x0
	v_add_nc_u32_e32 v2, v2, v1
	s_delay_alu instid0(VALU_DEP_1) | instskip(SKIP_1) | instid1(VALU_DEP_2)
	v_lshlrev_b64_e32 v[20:21], 1, v[2:3]
	v_xor_b32_e32 v2, v105, v103
	v_add_co_u32 v20, s15, s40, v20
	s_wait_alu 0xf1ff
	s_delay_alu instid0(VALU_DEP_3)
	v_add_co_ci_u32_e64 v21, null, s41, v21, s15
	global_store_b16 v[20:21], v2, off
	s_wait_alu 0xfffe
	s_or_b32 exec_lo, exec_lo, s16
	v_cmp_lt_u32_e64 s15, v29, v101
	s_and_saveexec_b32 s17, s15
	s_cbranch_execz .LBB1952_276
.LBB1952_312:                           ;   in Loop: Header=BB1952_228 Depth=2
	ds_load_u16 v103, v47 offset:1536
	s_wait_dscnt 0x0
	v_cmp_ne_u16_e64 s16, 0x8000, v103
	s_wait_alu 0xf1ff
	s_delay_alu instid0(VALU_DEP_1) | instskip(SKIP_1) | instid1(VALU_DEP_2)
	v_cndmask_b32_e64 v2, 0x7fff, v103, s16
	v_cmp_gt_i16_e64 s16, 0, v103
	v_and_b32_e32 v2, 0xffff, v2
	s_wait_alu 0xf1ff
	s_delay_alu instid0(VALU_DEP_2) | instskip(NEXT) | instid1(VALU_DEP_2)
	v_cndmask_b32_e64 v105, 0x7fff, 0, s16
	v_lshrrev_b32_e32 v2, s23, v2
	s_delay_alu instid0(VALU_DEP_1) | instskip(NEXT) | instid1(VALU_DEP_1)
	v_and_b32_e32 v2, s42, v2
	v_lshlrev_b32_e32 v2, 2, v2
	ds_load_b32 v2, v2
	s_wait_dscnt 0x0
	v_add_nc_u32_e32 v2, v2, v29
	s_delay_alu instid0(VALU_DEP_1) | instskip(SKIP_1) | instid1(VALU_DEP_2)
	v_lshlrev_b64_e32 v[20:21], 1, v[2:3]
	v_xor_b32_e32 v2, v105, v103
	v_add_co_u32 v20, s16, s40, v20
	s_wait_alu 0xf1ff
	s_delay_alu instid0(VALU_DEP_3)
	v_add_co_ci_u32_e64 v21, null, s41, v21, s16
	global_store_b16 v[20:21], v2, off
	s_wait_alu 0xfffe
	s_or_b32 exec_lo, exec_lo, s17
	v_cmp_lt_u32_e64 s16, v30, v101
	s_and_saveexec_b32 s18, s16
	s_cbranch_execz .LBB1952_277
.LBB1952_313:                           ;   in Loop: Header=BB1952_228 Depth=2
	ds_load_u16 v103, v47 offset:2048
	s_wait_dscnt 0x0
	v_cmp_ne_u16_e64 s17, 0x8000, v103
	s_wait_alu 0xf1ff
	s_delay_alu instid0(VALU_DEP_1) | instskip(SKIP_1) | instid1(VALU_DEP_2)
	v_cndmask_b32_e64 v2, 0x7fff, v103, s17
	v_cmp_gt_i16_e64 s17, 0, v103
	v_and_b32_e32 v2, 0xffff, v2
	s_wait_alu 0xf1ff
	s_delay_alu instid0(VALU_DEP_2) | instskip(NEXT) | instid1(VALU_DEP_2)
	v_cndmask_b32_e64 v105, 0x7fff, 0, s17
	v_lshrrev_b32_e32 v2, s23, v2
	s_delay_alu instid0(VALU_DEP_1) | instskip(NEXT) | instid1(VALU_DEP_1)
	v_and_b32_e32 v2, s42, v2
	v_lshlrev_b32_e32 v2, 2, v2
	ds_load_b32 v2, v2
	s_wait_dscnt 0x0
	v_add_nc_u32_e32 v2, v2, v30
	s_delay_alu instid0(VALU_DEP_1) | instskip(SKIP_1) | instid1(VALU_DEP_2)
	v_lshlrev_b64_e32 v[20:21], 1, v[2:3]
	v_xor_b32_e32 v2, v105, v103
	v_add_co_u32 v20, s17, s40, v20
	s_wait_alu 0xf1ff
	s_delay_alu instid0(VALU_DEP_3)
	v_add_co_ci_u32_e64 v21, null, s41, v21, s17
	global_store_b16 v[20:21], v2, off
	s_wait_alu 0xfffe
	s_or_b32 exec_lo, exec_lo, s18
	v_cmp_lt_u32_e64 s17, v31, v101
	s_and_saveexec_b32 s19, s17
	s_cbranch_execz .LBB1952_278
.LBB1952_314:                           ;   in Loop: Header=BB1952_228 Depth=2
	ds_load_u16 v103, v47 offset:2560
	s_wait_dscnt 0x0
	v_cmp_ne_u16_e64 s18, 0x8000, v103
	s_wait_alu 0xf1ff
	s_delay_alu instid0(VALU_DEP_1) | instskip(SKIP_1) | instid1(VALU_DEP_2)
	v_cndmask_b32_e64 v2, 0x7fff, v103, s18
	v_cmp_gt_i16_e64 s18, 0, v103
	v_and_b32_e32 v2, 0xffff, v2
	s_wait_alu 0xf1ff
	s_delay_alu instid0(VALU_DEP_2) | instskip(NEXT) | instid1(VALU_DEP_2)
	v_cndmask_b32_e64 v105, 0x7fff, 0, s18
	v_lshrrev_b32_e32 v2, s23, v2
	s_delay_alu instid0(VALU_DEP_1) | instskip(NEXT) | instid1(VALU_DEP_1)
	v_and_b32_e32 v2, s42, v2
	v_lshlrev_b32_e32 v2, 2, v2
	ds_load_b32 v2, v2
	s_wait_dscnt 0x0
	v_add_nc_u32_e32 v2, v2, v31
	s_delay_alu instid0(VALU_DEP_1) | instskip(SKIP_1) | instid1(VALU_DEP_2)
	v_lshlrev_b64_e32 v[20:21], 1, v[2:3]
	v_xor_b32_e32 v2, v105, v103
	v_add_co_u32 v20, s18, s40, v20
	s_wait_alu 0xf1ff
	s_delay_alu instid0(VALU_DEP_3)
	v_add_co_ci_u32_e64 v21, null, s41, v21, s18
	global_store_b16 v[20:21], v2, off
	s_wait_alu 0xfffe
	s_or_b32 exec_lo, exec_lo, s19
	v_cmp_lt_u32_e64 s18, v34, v101
	s_and_saveexec_b32 s20, s18
	s_cbranch_execz .LBB1952_279
.LBB1952_315:                           ;   in Loop: Header=BB1952_228 Depth=2
	ds_load_u16 v103, v47 offset:3072
	s_wait_dscnt 0x0
	v_cmp_ne_u16_e64 s19, 0x8000, v103
	s_wait_alu 0xf1ff
	s_delay_alu instid0(VALU_DEP_1) | instskip(SKIP_1) | instid1(VALU_DEP_2)
	v_cndmask_b32_e64 v2, 0x7fff, v103, s19
	v_cmp_gt_i16_e64 s19, 0, v103
	v_and_b32_e32 v2, 0xffff, v2
	s_wait_alu 0xf1ff
	s_delay_alu instid0(VALU_DEP_2) | instskip(NEXT) | instid1(VALU_DEP_2)
	v_cndmask_b32_e64 v105, 0x7fff, 0, s19
	v_lshrrev_b32_e32 v2, s23, v2
	s_delay_alu instid0(VALU_DEP_1) | instskip(NEXT) | instid1(VALU_DEP_1)
	v_and_b32_e32 v2, s42, v2
	v_lshlrev_b32_e32 v2, 2, v2
	ds_load_b32 v2, v2
	s_wait_dscnt 0x0
	v_add_nc_u32_e32 v2, v2, v34
	s_delay_alu instid0(VALU_DEP_1) | instskip(SKIP_1) | instid1(VALU_DEP_2)
	v_lshlrev_b64_e32 v[20:21], 1, v[2:3]
	v_xor_b32_e32 v2, v105, v103
	v_add_co_u32 v20, s19, s40, v20
	s_wait_alu 0xf1ff
	s_delay_alu instid0(VALU_DEP_3)
	v_add_co_ci_u32_e64 v21, null, s41, v21, s19
	global_store_b16 v[20:21], v2, off
	s_wait_alu 0xfffe
	s_or_b32 exec_lo, exec_lo, s20
	v_cmp_lt_u32_e64 s19, v35, v101
	s_and_saveexec_b32 s21, s19
	s_cbranch_execz .LBB1952_280
.LBB1952_316:                           ;   in Loop: Header=BB1952_228 Depth=2
	ds_load_u16 v103, v47 offset:3584
	s_wait_dscnt 0x0
	v_cmp_ne_u16_e64 s20, 0x8000, v103
	s_wait_alu 0xf1ff
	s_delay_alu instid0(VALU_DEP_1) | instskip(SKIP_1) | instid1(VALU_DEP_2)
	v_cndmask_b32_e64 v2, 0x7fff, v103, s20
	v_cmp_gt_i16_e64 s20, 0, v103
	v_and_b32_e32 v2, 0xffff, v2
	s_wait_alu 0xf1ff
	s_delay_alu instid0(VALU_DEP_2) | instskip(NEXT) | instid1(VALU_DEP_2)
	v_cndmask_b32_e64 v105, 0x7fff, 0, s20
	v_lshrrev_b32_e32 v2, s23, v2
	s_delay_alu instid0(VALU_DEP_1) | instskip(NEXT) | instid1(VALU_DEP_1)
	v_and_b32_e32 v2, s42, v2
	v_lshlrev_b32_e32 v2, 2, v2
	ds_load_b32 v2, v2
	s_wait_dscnt 0x0
	v_add_nc_u32_e32 v2, v2, v35
	s_delay_alu instid0(VALU_DEP_1) | instskip(SKIP_1) | instid1(VALU_DEP_2)
	v_lshlrev_b64_e32 v[20:21], 1, v[2:3]
	v_xor_b32_e32 v2, v105, v103
	v_add_co_u32 v20, s20, s40, v20
	s_wait_alu 0xf1ff
	s_delay_alu instid0(VALU_DEP_3)
	v_add_co_ci_u32_e64 v21, null, s41, v21, s20
	global_store_b16 v[20:21], v2, off
	s_wait_alu 0xfffe
	s_or_b32 exec_lo, exec_lo, s21
	v_cmp_lt_u32_e64 s20, v36, v101
	s_and_saveexec_b32 s22, s20
	s_cbranch_execz .LBB1952_281
.LBB1952_317:                           ;   in Loop: Header=BB1952_228 Depth=2
	ds_load_u16 v103, v47 offset:4096
	s_wait_dscnt 0x0
	v_cmp_ne_u16_e64 s21, 0x8000, v103
	s_wait_alu 0xf1ff
	s_delay_alu instid0(VALU_DEP_1) | instskip(SKIP_1) | instid1(VALU_DEP_2)
	v_cndmask_b32_e64 v2, 0x7fff, v103, s21
	v_cmp_gt_i16_e64 s21, 0, v103
	v_and_b32_e32 v2, 0xffff, v2
	s_wait_alu 0xf1ff
	s_delay_alu instid0(VALU_DEP_2) | instskip(NEXT) | instid1(VALU_DEP_2)
	v_cndmask_b32_e64 v105, 0x7fff, 0, s21
	v_lshrrev_b32_e32 v2, s23, v2
	s_delay_alu instid0(VALU_DEP_1) | instskip(NEXT) | instid1(VALU_DEP_1)
	v_and_b32_e32 v2, s42, v2
	v_lshlrev_b32_e32 v2, 2, v2
	ds_load_b32 v2, v2
	s_wait_dscnt 0x0
	v_add_nc_u32_e32 v2, v2, v36
	s_delay_alu instid0(VALU_DEP_1) | instskip(SKIP_1) | instid1(VALU_DEP_2)
	v_lshlrev_b64_e32 v[20:21], 1, v[2:3]
	v_xor_b32_e32 v2, v105, v103
	v_add_co_u32 v20, s21, s40, v20
	s_wait_alu 0xf1ff
	s_delay_alu instid0(VALU_DEP_3)
	v_add_co_ci_u32_e64 v21, null, s41, v21, s21
	global_store_b16 v[20:21], v2, off
	s_wait_alu 0xfffe
	s_or_b32 exec_lo, exec_lo, s22
	v_cmp_lt_u32_e64 s21, v37, v101
	s_and_saveexec_b32 s48, s21
	s_cbranch_execnz .LBB1952_282
	s_branch .LBB1952_283
.LBB1952_318:                           ;   in Loop: Header=BB1952_228 Depth=2
	global_load_b64 v[18:19], v[20:21], off
	s_wait_alu 0xfffe
	s_or_b32 exec_lo, exec_lo, s22
	s_delay_alu instid0(SALU_CYCLE_1)
	s_mov_b32 s30, exec_lo
	v_cmpx_lt_u32_e64 v70, v101
	s_cbranch_execz .LBB1952_285
.LBB1952_319:                           ;   in Loop: Header=BB1952_228 Depth=2
	global_load_b64 v[16:17], v[20:21], off offset:256
	s_wait_alu 0xfffe
	s_or_b32 exec_lo, exec_lo, s30
	s_delay_alu instid0(SALU_CYCLE_1)
	s_mov_b32 s30, exec_lo
	v_cmpx_lt_u32_e64 v71, v101
	s_cbranch_execz .LBB1952_286
.LBB1952_320:                           ;   in Loop: Header=BB1952_228 Depth=2
	global_load_b64 v[14:15], v[20:21], off offset:512
	s_wait_alu 0xfffe
	s_or_b32 exec_lo, exec_lo, s30
	s_delay_alu instid0(SALU_CYCLE_1)
	s_mov_b32 s30, exec_lo
	v_cmpx_lt_u32_e64 v72, v101
	s_cbranch_execz .LBB1952_287
.LBB1952_321:                           ;   in Loop: Header=BB1952_228 Depth=2
	global_load_b64 v[12:13], v[20:21], off offset:768
	s_wait_alu 0xfffe
	s_or_b32 exec_lo, exec_lo, s30
	s_delay_alu instid0(SALU_CYCLE_1)
	s_mov_b32 s30, exec_lo
	v_cmpx_lt_u32_e64 v73, v101
	s_cbranch_execz .LBB1952_288
.LBB1952_322:                           ;   in Loop: Header=BB1952_228 Depth=2
	global_load_b64 v[10:11], v[20:21], off offset:1024
	s_wait_alu 0xfffe
	s_or_b32 exec_lo, exec_lo, s30
	s_delay_alu instid0(SALU_CYCLE_1)
	s_mov_b32 s30, exec_lo
	v_cmpx_lt_u32_e64 v74, v101
	s_cbranch_execz .LBB1952_289
.LBB1952_323:                           ;   in Loop: Header=BB1952_228 Depth=2
	global_load_b64 v[8:9], v[20:21], off offset:1280
	s_wait_alu 0xfffe
	s_or_b32 exec_lo, exec_lo, s30
	s_delay_alu instid0(SALU_CYCLE_1)
	s_mov_b32 s30, exec_lo
	v_cmpx_lt_u32_e64 v75, v101
	s_cbranch_execz .LBB1952_290
.LBB1952_324:                           ;   in Loop: Header=BB1952_228 Depth=2
	global_load_b64 v[6:7], v[20:21], off offset:1536
	s_wait_alu 0xfffe
	s_or_b32 exec_lo, exec_lo, s30
	s_delay_alu instid0(SALU_CYCLE_1)
	s_mov_b32 s30, exec_lo
	v_cmpx_lt_u32_e64 v76, v101
	s_cbranch_execz .LBB1952_291
.LBB1952_325:                           ;   in Loop: Header=BB1952_228 Depth=2
	global_load_b64 v[4:5], v[20:21], off offset:1792
	s_wait_alu 0xfffe
	s_or_b32 exec_lo, exec_lo, s30
	s_and_saveexec_b32 s30, vcc_lo
	s_cbranch_execz .LBB1952_292
.LBB1952_326:                           ;   in Loop: Header=BB1952_228 Depth=2
	ds_load_u16 v2, v47 offset:1024
	s_wait_dscnt 0x0
	v_cmp_ne_u16_e64 s22, 0x8000, v2
	s_wait_alu 0xf1ff
	s_delay_alu instid0(VALU_DEP_1) | instskip(NEXT) | instid1(VALU_DEP_1)
	v_cndmask_b32_e64 v2, 0x7fff, v2, s22
	v_and_b32_e32 v2, 0xffff, v2
	s_delay_alu instid0(VALU_DEP_1) | instskip(NEXT) | instid1(VALU_DEP_1)
	v_lshrrev_b32_e32 v2, s23, v2
	v_and_b32_e32 v100, s42, v2
	s_wait_alu 0xfffe
	s_or_b32 exec_lo, exec_lo, s30
	s_and_saveexec_b32 s30, s15
	s_cbranch_execz .LBB1952_293
.LBB1952_327:                           ;   in Loop: Header=BB1952_228 Depth=2
	ds_load_u16 v2, v47 offset:1536
	s_wait_dscnt 0x0
	v_cmp_ne_u16_e64 s22, 0x8000, v2
	s_wait_alu 0xf1ff
	s_delay_alu instid0(VALU_DEP_1) | instskip(NEXT) | instid1(VALU_DEP_1)
	v_cndmask_b32_e64 v2, 0x7fff, v2, s22
	v_and_b32_e32 v2, 0xffff, v2
	s_delay_alu instid0(VALU_DEP_1) | instskip(NEXT) | instid1(VALU_DEP_1)
	v_lshrrev_b32_e32 v2, s23, v2
	v_and_b32_e32 v99, s42, v2
	s_wait_alu 0xfffe
	s_or_b32 exec_lo, exec_lo, s30
	s_and_saveexec_b32 s30, s16
	s_cbranch_execz .LBB1952_294
.LBB1952_328:                           ;   in Loop: Header=BB1952_228 Depth=2
	ds_load_u16 v2, v47 offset:2048
	s_wait_dscnt 0x0
	v_cmp_ne_u16_e64 s22, 0x8000, v2
	s_wait_alu 0xf1ff
	s_delay_alu instid0(VALU_DEP_1) | instskip(NEXT) | instid1(VALU_DEP_1)
	v_cndmask_b32_e64 v2, 0x7fff, v2, s22
	v_and_b32_e32 v2, 0xffff, v2
	s_delay_alu instid0(VALU_DEP_1) | instskip(NEXT) | instid1(VALU_DEP_1)
	v_lshrrev_b32_e32 v2, s23, v2
	v_and_b32_e32 v98, s42, v2
	s_wait_alu 0xfffe
	s_or_b32 exec_lo, exec_lo, s30
	s_and_saveexec_b32 s30, s17
	s_cbranch_execz .LBB1952_295
.LBB1952_329:                           ;   in Loop: Header=BB1952_228 Depth=2
	ds_load_u16 v2, v47 offset:2560
	s_wait_dscnt 0x0
	v_cmp_ne_u16_e64 s22, 0x8000, v2
	s_wait_alu 0xf1ff
	s_delay_alu instid0(VALU_DEP_1) | instskip(NEXT) | instid1(VALU_DEP_1)
	v_cndmask_b32_e64 v2, 0x7fff, v2, s22
	v_and_b32_e32 v2, 0xffff, v2
	s_delay_alu instid0(VALU_DEP_1) | instskip(NEXT) | instid1(VALU_DEP_1)
	v_lshrrev_b32_e32 v2, s23, v2
	v_and_b32_e32 v97, s42, v2
	s_wait_alu 0xfffe
	s_or_b32 exec_lo, exec_lo, s30
	s_and_saveexec_b32 s30, s18
	s_cbranch_execz .LBB1952_296
.LBB1952_330:                           ;   in Loop: Header=BB1952_228 Depth=2
	ds_load_u16 v2, v47 offset:3072
	s_wait_dscnt 0x0
	v_cmp_ne_u16_e64 s22, 0x8000, v2
	s_wait_alu 0xf1ff
	s_delay_alu instid0(VALU_DEP_1) | instskip(NEXT) | instid1(VALU_DEP_1)
	v_cndmask_b32_e64 v2, 0x7fff, v2, s22
	v_and_b32_e32 v2, 0xffff, v2
	s_delay_alu instid0(VALU_DEP_1) | instskip(NEXT) | instid1(VALU_DEP_1)
	v_lshrrev_b32_e32 v2, s23, v2
	v_and_b32_e32 v96, s42, v2
	s_wait_alu 0xfffe
	s_or_b32 exec_lo, exec_lo, s30
	s_and_saveexec_b32 s30, s19
	s_cbranch_execz .LBB1952_297
.LBB1952_331:                           ;   in Loop: Header=BB1952_228 Depth=2
	ds_load_u16 v2, v47 offset:3584
	s_wait_dscnt 0x0
	v_cmp_ne_u16_e64 s22, 0x8000, v2
	s_wait_alu 0xf1ff
	s_delay_alu instid0(VALU_DEP_1) | instskip(NEXT) | instid1(VALU_DEP_1)
	v_cndmask_b32_e64 v2, 0x7fff, v2, s22
	v_and_b32_e32 v2, 0xffff, v2
	s_delay_alu instid0(VALU_DEP_1) | instskip(NEXT) | instid1(VALU_DEP_1)
	v_lshrrev_b32_e32 v2, s23, v2
	v_and_b32_e32 v95, s42, v2
	s_wait_alu 0xfffe
	s_or_b32 exec_lo, exec_lo, s30
	s_and_saveexec_b32 s30, s20
	s_cbranch_execz .LBB1952_298
.LBB1952_332:                           ;   in Loop: Header=BB1952_228 Depth=2
	ds_load_u16 v2, v47 offset:4096
	s_wait_dscnt 0x0
	v_cmp_ne_u16_e64 s22, 0x8000, v2
	s_wait_alu 0xf1ff
	s_delay_alu instid0(VALU_DEP_1) | instskip(NEXT) | instid1(VALU_DEP_1)
	v_cndmask_b32_e64 v2, 0x7fff, v2, s22
	v_and_b32_e32 v2, 0xffff, v2
	s_delay_alu instid0(VALU_DEP_1) | instskip(NEXT) | instid1(VALU_DEP_1)
	v_lshrrev_b32_e32 v2, s23, v2
	v_and_b32_e32 v94, s42, v2
	s_wait_alu 0xfffe
	s_or_b32 exec_lo, exec_lo, s30
	s_and_saveexec_b32 s30, s21
	s_cbranch_execnz .LBB1952_299
	s_branch .LBB1952_300
.LBB1952_333:                           ;   in Loop: Header=BB1952_228 Depth=2
	v_lshlrev_b32_e32 v2, 2, v100
	v_add_nc_u32_e32 v20, v47, v48
	ds_load_b32 v2, v2
	ds_load_b64 v[20:21], v20 offset:1024
	s_wait_dscnt 0x1
	v_add_nc_u32_e32 v2, v2, v1
	s_delay_alu instid0(VALU_DEP_1) | instskip(NEXT) | instid1(VALU_DEP_1)
	v_lshlrev_b64_e32 v[23:24], 3, v[2:3]
	v_add_co_u32 v23, vcc_lo, s26, v23
	s_wait_alu 0xfffd
	s_delay_alu instid0(VALU_DEP_2)
	v_add_co_ci_u32_e64 v24, null, s27, v24, vcc_lo
	s_wait_dscnt 0x0
	global_store_b64 v[23:24], v[20:21], off
	s_wait_alu 0xfffe
	s_or_b32 exec_lo, exec_lo, s22
	s_and_saveexec_b32 s22, s15
	s_cbranch_execz .LBB1952_302
.LBB1952_334:                           ;   in Loop: Header=BB1952_228 Depth=2
	v_lshlrev_b32_e32 v2, 2, v99
	v_add_nc_u32_e32 v20, v47, v48
	ds_load_b32 v2, v2
	ds_load_b64 v[20:21], v20 offset:3072
	s_wait_dscnt 0x1
	v_add_nc_u32_e32 v2, v2, v29
	s_delay_alu instid0(VALU_DEP_1) | instskip(NEXT) | instid1(VALU_DEP_1)
	v_lshlrev_b64_e32 v[23:24], 3, v[2:3]
	v_add_co_u32 v23, vcc_lo, s26, v23
	s_wait_alu 0xfffd
	s_delay_alu instid0(VALU_DEP_2)
	v_add_co_ci_u32_e64 v24, null, s27, v24, vcc_lo
	s_wait_dscnt 0x0
	global_store_b64 v[23:24], v[20:21], off
	s_wait_alu 0xfffe
	s_or_b32 exec_lo, exec_lo, s22
	s_and_saveexec_b32 s15, s16
	s_cbranch_execz .LBB1952_303
.LBB1952_335:                           ;   in Loop: Header=BB1952_228 Depth=2
	v_lshlrev_b32_e32 v2, 2, v98
	v_add_nc_u32_e32 v20, v47, v48
	ds_load_b32 v2, v2
	ds_load_b64 v[20:21], v20 offset:5120
	s_wait_dscnt 0x1
	v_add_nc_u32_e32 v2, v2, v30
	s_delay_alu instid0(VALU_DEP_1) | instskip(NEXT) | instid1(VALU_DEP_1)
	v_lshlrev_b64_e32 v[23:24], 3, v[2:3]
	v_add_co_u32 v23, vcc_lo, s26, v23
	s_wait_alu 0xfffd
	s_delay_alu instid0(VALU_DEP_2)
	v_add_co_ci_u32_e64 v24, null, s27, v24, vcc_lo
	s_wait_dscnt 0x0
	global_store_b64 v[23:24], v[20:21], off
	s_wait_alu 0xfffe
	s_or_b32 exec_lo, exec_lo, s15
	s_and_saveexec_b32 s15, s17
	s_cbranch_execz .LBB1952_304
.LBB1952_336:                           ;   in Loop: Header=BB1952_228 Depth=2
	v_lshlrev_b32_e32 v2, 2, v97
	v_add_nc_u32_e32 v20, v47, v48
	ds_load_b32 v2, v2
	ds_load_b64 v[20:21], v20 offset:7168
	s_wait_dscnt 0x1
	v_add_nc_u32_e32 v2, v2, v31
	s_delay_alu instid0(VALU_DEP_1) | instskip(NEXT) | instid1(VALU_DEP_1)
	v_lshlrev_b64_e32 v[23:24], 3, v[2:3]
	v_add_co_u32 v23, vcc_lo, s26, v23
	s_wait_alu 0xfffd
	s_delay_alu instid0(VALU_DEP_2)
	v_add_co_ci_u32_e64 v24, null, s27, v24, vcc_lo
	s_wait_dscnt 0x0
	global_store_b64 v[23:24], v[20:21], off
	s_wait_alu 0xfffe
	s_or_b32 exec_lo, exec_lo, s15
	s_and_saveexec_b32 s15, s18
	s_cbranch_execz .LBB1952_305
.LBB1952_337:                           ;   in Loop: Header=BB1952_228 Depth=2
	v_lshlrev_b32_e32 v2, 2, v96
	v_add_nc_u32_e32 v20, v47, v48
	ds_load_b32 v2, v2
	ds_load_b64 v[20:21], v20 offset:9216
	s_wait_dscnt 0x1
	v_add_nc_u32_e32 v2, v2, v34
	s_delay_alu instid0(VALU_DEP_1) | instskip(NEXT) | instid1(VALU_DEP_1)
	v_lshlrev_b64_e32 v[23:24], 3, v[2:3]
	v_add_co_u32 v23, vcc_lo, s26, v23
	s_wait_alu 0xfffd
	s_delay_alu instid0(VALU_DEP_2)
	v_add_co_ci_u32_e64 v24, null, s27, v24, vcc_lo
	s_wait_dscnt 0x0
	global_store_b64 v[23:24], v[20:21], off
	s_wait_alu 0xfffe
	s_or_b32 exec_lo, exec_lo, s15
	s_and_saveexec_b32 s15, s19
	s_cbranch_execz .LBB1952_306
.LBB1952_338:                           ;   in Loop: Header=BB1952_228 Depth=2
	v_lshlrev_b32_e32 v2, 2, v95
	v_add_nc_u32_e32 v20, v47, v48
	ds_load_b32 v2, v2
	ds_load_b64 v[20:21], v20 offset:11264
	s_wait_dscnt 0x1
	v_add_nc_u32_e32 v2, v2, v35
	s_delay_alu instid0(VALU_DEP_1) | instskip(NEXT) | instid1(VALU_DEP_1)
	v_lshlrev_b64_e32 v[23:24], 3, v[2:3]
	v_add_co_u32 v23, vcc_lo, s26, v23
	s_wait_alu 0xfffd
	s_delay_alu instid0(VALU_DEP_2)
	v_add_co_ci_u32_e64 v24, null, s27, v24, vcc_lo
	s_wait_dscnt 0x0
	global_store_b64 v[23:24], v[20:21], off
	s_wait_alu 0xfffe
	s_or_b32 exec_lo, exec_lo, s15
	s_and_saveexec_b32 s15, s20
	s_cbranch_execz .LBB1952_307
.LBB1952_339:                           ;   in Loop: Header=BB1952_228 Depth=2
	v_lshlrev_b32_e32 v2, 2, v94
	v_add_nc_u32_e32 v20, v47, v48
	ds_load_b32 v2, v2
	ds_load_b64 v[20:21], v20 offset:13312
	s_wait_dscnt 0x1
	v_add_nc_u32_e32 v2, v2, v36
	s_delay_alu instid0(VALU_DEP_1) | instskip(NEXT) | instid1(VALU_DEP_1)
	v_lshlrev_b64_e32 v[23:24], 3, v[2:3]
	v_add_co_u32 v23, vcc_lo, s26, v23
	s_wait_alu 0xfffd
	s_delay_alu instid0(VALU_DEP_2)
	v_add_co_ci_u32_e64 v24, null, s27, v24, vcc_lo
	s_wait_dscnt 0x0
	global_store_b64 v[23:24], v[20:21], off
	s_wait_alu 0xfffe
	s_or_b32 exec_lo, exec_lo, s15
	s_and_saveexec_b32 s15, s21
	s_cbranch_execnz .LBB1952_308
	s_branch .LBB1952_309
.LBB1952_340:                           ;   in Loop: Header=BB1952_12 Depth=1
	s_wait_loadcnt_dscnt 0x0
	s_barrier_signal -1
	s_barrier_wait -1
.LBB1952_341:                           ;   in Loop: Header=BB1952_12 Depth=1
	s_mov_b32 s0, 0
.LBB1952_342:                           ;   in Loop: Header=BB1952_12 Depth=1
	s_wait_alu 0xfffe
	s_and_not1_b32 vcc_lo, exec_lo, s0
	s_wait_alu 0xfffe
	s_cbranch_vccnz .LBB1952_11
; %bb.343:                              ;   in Loop: Header=BB1952_12 Depth=1
	s_and_b32 vcc_lo, exec_lo, s35
	s_mov_b32 s0, -1
	s_wait_alu 0xfffe
	s_cbranch_vccz .LBB1952_507
; %bb.344:                              ;   in Loop: Header=BB1952_12 Depth=1
	s_mov_b32 s9, s47
	s_mov_b32 s30, s33
	s_barrier_signal -1
	s_barrier_wait -1
	global_inv scope:SCOPE_SE
                                        ; implicit-def: $vgpr2
                                        ; implicit-def: $vgpr4
                                        ; implicit-def: $vgpr5
                                        ; implicit-def: $vgpr6
                                        ; implicit-def: $vgpr7
                                        ; implicit-def: $vgpr8
                                        ; implicit-def: $vgpr9
                                        ; implicit-def: $vgpr10
	s_branch .LBB1952_346
.LBB1952_345:                           ;   in Loop: Header=BB1952_346 Depth=2
	s_wait_alu 0xfffe
	s_or_b32 exec_lo, exec_lo, s0
	s_addk_co_i32 s9, 0xf800
	s_cmp_ge_u32 s10, s34
	s_mov_b32 s30, s10
	s_cbranch_scc1 .LBB1952_382
.LBB1952_346:                           ;   Parent Loop BB1952_12 Depth=1
                                        ; =>  This Inner Loop Header: Depth=2
	s_wait_alu 0xfffe
	s_add_co_i32 s10, s30, 0x800
	s_mov_b32 s0, -1
	s_wait_alu 0xfffe
	s_cmp_gt_u32 s10, s34
                                        ; implicit-def: $vgpr11
                                        ; implicit-def: $vgpr12
                                        ; implicit-def: $vgpr13
                                        ; implicit-def: $vgpr14
                                        ; implicit-def: $vgpr15
                                        ; implicit-def: $vgpr16
                                        ; implicit-def: $vgpr17
                                        ; implicit-def: $vgpr18
	s_cbranch_scc1 .LBB1952_348
; %bb.347:                              ;   in Loop: Header=BB1952_346 Depth=2
	s_lshl_b64 s[0:1], s[30:31], 1
	s_wait_alu 0xfffe
	v_add_co_u32 v18, vcc_lo, v55, s0
	s_wait_alu 0xfffd
	v_add_co_ci_u32_e64 v19, null, s1, v56, vcc_lo
	s_mov_b32 s0, 0
	s_clause 0x7
	global_load_u16 v11, v[18:19], off
	global_load_u16 v12, v[18:19], off offset:512
	global_load_u16 v13, v[18:19], off offset:1024
	global_load_u16 v14, v[18:19], off offset:1536
	global_load_u16 v15, v[18:19], off offset:2048
	global_load_u16 v16, v[18:19], off offset:2560
	global_load_u16 v17, v[18:19], off offset:3072
	global_load_u16 v18, v[18:19], off offset:3584
.LBB1952_348:                           ;   in Loop: Header=BB1952_346 Depth=2
	s_wait_alu 0xfffe
	s_and_not1_b32 vcc_lo, exec_lo, s0
	s_movk_i32 s0, 0x800
	s_wait_alu 0xfffe
	s_cbranch_vccnz .LBB1952_359
; %bb.349:                              ;   in Loop: Header=BB1952_346 Depth=2
	s_lshl_b64 s[0:1], s[30:31], 1
	s_mov_b32 s11, exec_lo
	s_wait_alu 0xfffe
	s_add_nc_u64 s[0:1], s[36:37], s[0:1]
	v_cmpx_gt_u32_e64 s9, v1
	s_cbranch_execnz .LBB1952_375
; %bb.350:                              ;   in Loop: Header=BB1952_346 Depth=2
	s_or_b32 exec_lo, exec_lo, s11
	s_delay_alu instid0(SALU_CYCLE_1)
	s_mov_b32 s11, exec_lo
	v_cmpx_gt_u32_e64 s9, v29
	s_cbranch_execnz .LBB1952_376
.LBB1952_351:                           ;   in Loop: Header=BB1952_346 Depth=2
	s_wait_alu 0xfffe
	s_or_b32 exec_lo, exec_lo, s11
	s_delay_alu instid0(SALU_CYCLE_1)
	s_mov_b32 s11, exec_lo
	v_cmpx_gt_u32_e64 s9, v30
	s_cbranch_execnz .LBB1952_377
.LBB1952_352:                           ;   in Loop: Header=BB1952_346 Depth=2
	s_wait_alu 0xfffe
	s_or_b32 exec_lo, exec_lo, s11
	s_delay_alu instid0(SALU_CYCLE_1)
	s_mov_b32 s11, exec_lo
	v_cmpx_gt_u32_e64 s9, v31
	s_cbranch_execnz .LBB1952_378
.LBB1952_353:                           ;   in Loop: Header=BB1952_346 Depth=2
	s_wait_alu 0xfffe
	s_or_b32 exec_lo, exec_lo, s11
	s_delay_alu instid0(SALU_CYCLE_1)
	s_mov_b32 s11, exec_lo
	v_cmpx_gt_u32_e64 s9, v34
	s_cbranch_execnz .LBB1952_379
.LBB1952_354:                           ;   in Loop: Header=BB1952_346 Depth=2
	s_wait_alu 0xfffe
	s_or_b32 exec_lo, exec_lo, s11
	s_delay_alu instid0(SALU_CYCLE_1)
	s_mov_b32 s11, exec_lo
	v_cmpx_gt_u32_e64 s9, v35
	s_cbranch_execnz .LBB1952_380
.LBB1952_355:                           ;   in Loop: Header=BB1952_346 Depth=2
	s_wait_alu 0xfffe
	s_or_b32 exec_lo, exec_lo, s11
	s_delay_alu instid0(SALU_CYCLE_1)
	s_mov_b32 s11, exec_lo
	v_cmpx_gt_u32_e64 s9, v36
	s_cbranch_execnz .LBB1952_381
.LBB1952_356:                           ;   in Loop: Header=BB1952_346 Depth=2
	s_wait_alu 0xfffe
	s_or_b32 exec_lo, exec_lo, s11
	s_delay_alu instid0(SALU_CYCLE_1)
	s_mov_b32 s11, exec_lo
	v_cmpx_gt_u32_e64 s9, v37
	s_cbranch_execz .LBB1952_358
.LBB1952_357:                           ;   in Loop: Header=BB1952_346 Depth=2
	global_load_u16 v2, v82, s[0:1] offset:3584
.LBB1952_358:                           ;   in Loop: Header=BB1952_346 Depth=2
	s_wait_alu 0xfffe
	s_or_b32 exec_lo, exec_lo, s11
	s_wait_loadcnt 0x0
	v_dual_mov_b32 v11, v10 :: v_dual_mov_b32 v12, v9
	v_dual_mov_b32 v13, v8 :: v_dual_mov_b32 v14, v7
	;; [unrolled: 1-line block ×4, first 2 shown]
	s_mov_b32 s0, s9
.LBB1952_359:                           ;   in Loop: Header=BB1952_346 Depth=2
	s_wait_loadcnt 0x0
	s_delay_alu instid0(VALU_DEP_1) | instskip(NEXT) | instid1(VALU_DEP_2)
	v_dual_mov_b32 v2, v18 :: v_dual_mov_b32 v5, v16
	v_dual_mov_b32 v4, v17 :: v_dual_mov_b32 v7, v14
	;; [unrolled: 1-line block ×3, first 2 shown]
	v_mov_b32_e32 v8, v13
	v_mov_b32_e32 v10, v11
	s_mov_b32 s1, exec_lo
	s_wait_alu 0xfffe
	v_cmpx_gt_u32_e64 s0, v1
	s_cbranch_execnz .LBB1952_367
; %bb.360:                              ;   in Loop: Header=BB1952_346 Depth=2
	s_or_b32 exec_lo, exec_lo, s1
	s_delay_alu instid0(SALU_CYCLE_1)
	s_mov_b32 s1, exec_lo
	v_cmpx_gt_u32_e64 s0, v29
	s_cbranch_execnz .LBB1952_368
.LBB1952_361:                           ;   in Loop: Header=BB1952_346 Depth=2
	s_wait_alu 0xfffe
	s_or_b32 exec_lo, exec_lo, s1
	s_delay_alu instid0(SALU_CYCLE_1)
	s_mov_b32 s1, exec_lo
	v_cmpx_gt_u32_e64 s0, v30
	s_cbranch_execnz .LBB1952_369
.LBB1952_362:                           ;   in Loop: Header=BB1952_346 Depth=2
	s_wait_alu 0xfffe
	s_or_b32 exec_lo, exec_lo, s1
	s_delay_alu instid0(SALU_CYCLE_1)
	s_mov_b32 s1, exec_lo
	v_cmpx_gt_u32_e64 s0, v31
	s_cbranch_execnz .LBB1952_370
.LBB1952_363:                           ;   in Loop: Header=BB1952_346 Depth=2
	s_wait_alu 0xfffe
	s_or_b32 exec_lo, exec_lo, s1
	s_delay_alu instid0(SALU_CYCLE_1)
	s_mov_b32 s1, exec_lo
	v_cmpx_gt_u32_e64 s0, v34
	s_cbranch_execnz .LBB1952_371
.LBB1952_364:                           ;   in Loop: Header=BB1952_346 Depth=2
	s_wait_alu 0xfffe
	s_or_b32 exec_lo, exec_lo, s1
	s_delay_alu instid0(SALU_CYCLE_1)
	s_mov_b32 s1, exec_lo
	v_cmpx_gt_u32_e64 s0, v35
	s_cbranch_execnz .LBB1952_372
.LBB1952_365:                           ;   in Loop: Header=BB1952_346 Depth=2
	s_wait_alu 0xfffe
	s_or_b32 exec_lo, exec_lo, s1
	s_delay_alu instid0(SALU_CYCLE_1)
	s_mov_b32 s1, exec_lo
	v_cmpx_gt_u32_e64 s0, v36
	s_cbranch_execnz .LBB1952_373
.LBB1952_366:                           ;   in Loop: Header=BB1952_346 Depth=2
	s_wait_alu 0xfffe
	s_or_b32 exec_lo, exec_lo, s1
	v_cmp_gt_u32_e32 vcc_lo, s0, v37
	s_and_saveexec_b32 s0, vcc_lo
	s_cbranch_execz .LBB1952_345
	s_branch .LBB1952_374
.LBB1952_367:                           ;   in Loop: Header=BB1952_346 Depth=2
	v_cmp_gt_i16_e32 vcc_lo, 0, v10
	s_wait_alu 0xfffd
	v_cndmask_b32_e64 v11, 0x7fff, 0, vcc_lo
	s_delay_alu instid0(VALU_DEP_1) | instskip(NEXT) | instid1(VALU_DEP_1)
	v_xor_b32_e32 v11, v11, v10
	v_cmp_ne_u16_e32 vcc_lo, 0x8000, v11
	s_wait_alu 0xfffd
	v_cndmask_b32_e32 v11, 0x7fff, v11, vcc_lo
	s_delay_alu instid0(VALU_DEP_1) | instskip(NEXT) | instid1(VALU_DEP_1)
	v_and_b32_e32 v11, 0xffff, v11
	v_lshrrev_b32_e32 v11, s45, v11
	s_delay_alu instid0(VALU_DEP_1) | instskip(NEXT) | instid1(VALU_DEP_1)
	v_and_b32_e32 v11, s42, v11
	v_lshl_or_b32 v11, v11, 4, v39
	ds_add_u32 v11, v62
	s_or_b32 exec_lo, exec_lo, s1
	s_delay_alu instid0(SALU_CYCLE_1)
	s_mov_b32 s1, exec_lo
	v_cmpx_gt_u32_e64 s0, v29
	s_cbranch_execz .LBB1952_361
.LBB1952_368:                           ;   in Loop: Header=BB1952_346 Depth=2
	v_cmp_gt_i16_e32 vcc_lo, 0, v9
	s_wait_alu 0xfffd
	v_cndmask_b32_e64 v11, 0x7fff, 0, vcc_lo
	s_delay_alu instid0(VALU_DEP_1) | instskip(NEXT) | instid1(VALU_DEP_1)
	v_xor_b32_e32 v11, v11, v9
	v_cmp_ne_u16_e32 vcc_lo, 0x8000, v11
	s_wait_alu 0xfffd
	v_cndmask_b32_e32 v11, 0x7fff, v11, vcc_lo
	s_delay_alu instid0(VALU_DEP_1) | instskip(NEXT) | instid1(VALU_DEP_1)
	v_and_b32_e32 v11, 0xffff, v11
	v_lshrrev_b32_e32 v11, s45, v11
	s_delay_alu instid0(VALU_DEP_1) | instskip(NEXT) | instid1(VALU_DEP_1)
	v_and_b32_e32 v11, s42, v11
	v_lshl_or_b32 v11, v11, 4, v39
	ds_add_u32 v11, v62
	s_wait_alu 0xfffe
	s_or_b32 exec_lo, exec_lo, s1
	s_delay_alu instid0(SALU_CYCLE_1)
	s_mov_b32 s1, exec_lo
	v_cmpx_gt_u32_e64 s0, v30
	s_cbranch_execz .LBB1952_362
.LBB1952_369:                           ;   in Loop: Header=BB1952_346 Depth=2
	v_cmp_gt_i16_e32 vcc_lo, 0, v8
	s_wait_alu 0xfffd
	v_cndmask_b32_e64 v11, 0x7fff, 0, vcc_lo
	s_delay_alu instid0(VALU_DEP_1) | instskip(NEXT) | instid1(VALU_DEP_1)
	v_xor_b32_e32 v11, v11, v8
	v_cmp_ne_u16_e32 vcc_lo, 0x8000, v11
	s_wait_alu 0xfffd
	v_cndmask_b32_e32 v11, 0x7fff, v11, vcc_lo
	s_delay_alu instid0(VALU_DEP_1) | instskip(NEXT) | instid1(VALU_DEP_1)
	v_and_b32_e32 v11, 0xffff, v11
	v_lshrrev_b32_e32 v11, s45, v11
	s_delay_alu instid0(VALU_DEP_1) | instskip(NEXT) | instid1(VALU_DEP_1)
	v_and_b32_e32 v11, s42, v11
	v_lshl_or_b32 v11, v11, 4, v39
	ds_add_u32 v11, v62
	s_wait_alu 0xfffe
	s_or_b32 exec_lo, exec_lo, s1
	s_delay_alu instid0(SALU_CYCLE_1)
	s_mov_b32 s1, exec_lo
	v_cmpx_gt_u32_e64 s0, v31
	s_cbranch_execz .LBB1952_363
.LBB1952_370:                           ;   in Loop: Header=BB1952_346 Depth=2
	v_cmp_gt_i16_e32 vcc_lo, 0, v7
	s_wait_alu 0xfffd
	v_cndmask_b32_e64 v11, 0x7fff, 0, vcc_lo
	s_delay_alu instid0(VALU_DEP_1) | instskip(NEXT) | instid1(VALU_DEP_1)
	v_xor_b32_e32 v11, v11, v7
	v_cmp_ne_u16_e32 vcc_lo, 0x8000, v11
	s_wait_alu 0xfffd
	v_cndmask_b32_e32 v11, 0x7fff, v11, vcc_lo
	s_delay_alu instid0(VALU_DEP_1) | instskip(NEXT) | instid1(VALU_DEP_1)
	v_and_b32_e32 v11, 0xffff, v11
	v_lshrrev_b32_e32 v11, s45, v11
	s_delay_alu instid0(VALU_DEP_1) | instskip(NEXT) | instid1(VALU_DEP_1)
	v_and_b32_e32 v11, s42, v11
	v_lshl_or_b32 v11, v11, 4, v39
	ds_add_u32 v11, v62
	s_wait_alu 0xfffe
	s_or_b32 exec_lo, exec_lo, s1
	s_delay_alu instid0(SALU_CYCLE_1)
	s_mov_b32 s1, exec_lo
	v_cmpx_gt_u32_e64 s0, v34
	s_cbranch_execz .LBB1952_364
.LBB1952_371:                           ;   in Loop: Header=BB1952_346 Depth=2
	v_cmp_gt_i16_e32 vcc_lo, 0, v6
	s_wait_alu 0xfffd
	v_cndmask_b32_e64 v11, 0x7fff, 0, vcc_lo
	s_delay_alu instid0(VALU_DEP_1) | instskip(NEXT) | instid1(VALU_DEP_1)
	v_xor_b32_e32 v11, v11, v6
	v_cmp_ne_u16_e32 vcc_lo, 0x8000, v11
	s_wait_alu 0xfffd
	v_cndmask_b32_e32 v11, 0x7fff, v11, vcc_lo
	s_delay_alu instid0(VALU_DEP_1) | instskip(NEXT) | instid1(VALU_DEP_1)
	v_and_b32_e32 v11, 0xffff, v11
	v_lshrrev_b32_e32 v11, s45, v11
	s_delay_alu instid0(VALU_DEP_1) | instskip(NEXT) | instid1(VALU_DEP_1)
	v_and_b32_e32 v11, s42, v11
	v_lshl_or_b32 v11, v11, 4, v39
	ds_add_u32 v11, v62
	s_wait_alu 0xfffe
	s_or_b32 exec_lo, exec_lo, s1
	s_delay_alu instid0(SALU_CYCLE_1)
	s_mov_b32 s1, exec_lo
	v_cmpx_gt_u32_e64 s0, v35
	s_cbranch_execz .LBB1952_365
.LBB1952_372:                           ;   in Loop: Header=BB1952_346 Depth=2
	v_cmp_gt_i16_e32 vcc_lo, 0, v5
	s_wait_alu 0xfffd
	v_cndmask_b32_e64 v11, 0x7fff, 0, vcc_lo
	s_delay_alu instid0(VALU_DEP_1) | instskip(NEXT) | instid1(VALU_DEP_1)
	v_xor_b32_e32 v11, v11, v5
	v_cmp_ne_u16_e32 vcc_lo, 0x8000, v11
	s_wait_alu 0xfffd
	v_cndmask_b32_e32 v11, 0x7fff, v11, vcc_lo
	s_delay_alu instid0(VALU_DEP_1) | instskip(NEXT) | instid1(VALU_DEP_1)
	v_and_b32_e32 v11, 0xffff, v11
	v_lshrrev_b32_e32 v11, s45, v11
	s_delay_alu instid0(VALU_DEP_1) | instskip(NEXT) | instid1(VALU_DEP_1)
	v_and_b32_e32 v11, s42, v11
	v_lshl_or_b32 v11, v11, 4, v39
	ds_add_u32 v11, v62
	s_wait_alu 0xfffe
	s_or_b32 exec_lo, exec_lo, s1
	s_delay_alu instid0(SALU_CYCLE_1)
	s_mov_b32 s1, exec_lo
	v_cmpx_gt_u32_e64 s0, v36
	s_cbranch_execz .LBB1952_366
.LBB1952_373:                           ;   in Loop: Header=BB1952_346 Depth=2
	v_cmp_gt_i16_e32 vcc_lo, 0, v4
	s_wait_alu 0xfffd
	v_cndmask_b32_e64 v11, 0x7fff, 0, vcc_lo
	s_delay_alu instid0(VALU_DEP_1) | instskip(NEXT) | instid1(VALU_DEP_1)
	v_xor_b32_e32 v11, v11, v4
	v_cmp_ne_u16_e32 vcc_lo, 0x8000, v11
	s_wait_alu 0xfffd
	v_cndmask_b32_e32 v11, 0x7fff, v11, vcc_lo
	s_delay_alu instid0(VALU_DEP_1) | instskip(NEXT) | instid1(VALU_DEP_1)
	v_and_b32_e32 v11, 0xffff, v11
	v_lshrrev_b32_e32 v11, s45, v11
	s_delay_alu instid0(VALU_DEP_1) | instskip(NEXT) | instid1(VALU_DEP_1)
	v_and_b32_e32 v11, s42, v11
	v_lshl_or_b32 v11, v11, 4, v39
	ds_add_u32 v11, v62
	s_wait_alu 0xfffe
	s_or_b32 exec_lo, exec_lo, s1
	v_cmp_gt_u32_e32 vcc_lo, s0, v37
	s_and_saveexec_b32 s0, vcc_lo
	s_cbranch_execz .LBB1952_345
.LBB1952_374:                           ;   in Loop: Header=BB1952_346 Depth=2
	v_cmp_gt_i16_e32 vcc_lo, 0, v2
	s_wait_alu 0xfffd
	v_cndmask_b32_e64 v11, 0x7fff, 0, vcc_lo
	s_delay_alu instid0(VALU_DEP_1) | instskip(NEXT) | instid1(VALU_DEP_1)
	v_xor_b32_e32 v11, v11, v2
	v_cmp_ne_u16_e32 vcc_lo, 0x8000, v11
	s_wait_alu 0xfffd
	v_cndmask_b32_e32 v11, 0x7fff, v11, vcc_lo
	s_delay_alu instid0(VALU_DEP_1) | instskip(NEXT) | instid1(VALU_DEP_1)
	v_and_b32_e32 v11, 0xffff, v11
	v_lshrrev_b32_e32 v11, s45, v11
	s_delay_alu instid0(VALU_DEP_1) | instskip(NEXT) | instid1(VALU_DEP_1)
	v_and_b32_e32 v11, s42, v11
	v_lshl_or_b32 v11, v11, 4, v39
	ds_add_u32 v11, v62
	s_branch .LBB1952_345
.LBB1952_375:                           ;   in Loop: Header=BB1952_346 Depth=2
	global_load_u16 v10, v82, s[0:1]
	s_or_b32 exec_lo, exec_lo, s11
	s_delay_alu instid0(SALU_CYCLE_1)
	s_mov_b32 s11, exec_lo
	v_cmpx_gt_u32_e64 s9, v29
	s_cbranch_execz .LBB1952_351
.LBB1952_376:                           ;   in Loop: Header=BB1952_346 Depth=2
	global_load_u16 v9, v82, s[0:1] offset:512
	s_wait_alu 0xfffe
	s_or_b32 exec_lo, exec_lo, s11
	s_delay_alu instid0(SALU_CYCLE_1)
	s_mov_b32 s11, exec_lo
	v_cmpx_gt_u32_e64 s9, v30
	s_cbranch_execz .LBB1952_352
.LBB1952_377:                           ;   in Loop: Header=BB1952_346 Depth=2
	global_load_u16 v8, v82, s[0:1] offset:1024
	s_wait_alu 0xfffe
	s_or_b32 exec_lo, exec_lo, s11
	s_delay_alu instid0(SALU_CYCLE_1)
	s_mov_b32 s11, exec_lo
	v_cmpx_gt_u32_e64 s9, v31
	s_cbranch_execz .LBB1952_353
.LBB1952_378:                           ;   in Loop: Header=BB1952_346 Depth=2
	global_load_u16 v7, v82, s[0:1] offset:1536
	s_wait_alu 0xfffe
	s_or_b32 exec_lo, exec_lo, s11
	s_delay_alu instid0(SALU_CYCLE_1)
	s_mov_b32 s11, exec_lo
	v_cmpx_gt_u32_e64 s9, v34
	s_cbranch_execz .LBB1952_354
.LBB1952_379:                           ;   in Loop: Header=BB1952_346 Depth=2
	global_load_u16 v6, v82, s[0:1] offset:2048
	s_wait_alu 0xfffe
	s_or_b32 exec_lo, exec_lo, s11
	s_delay_alu instid0(SALU_CYCLE_1)
	s_mov_b32 s11, exec_lo
	v_cmpx_gt_u32_e64 s9, v35
	s_cbranch_execz .LBB1952_355
.LBB1952_380:                           ;   in Loop: Header=BB1952_346 Depth=2
	global_load_u16 v5, v82, s[0:1] offset:2560
	s_wait_alu 0xfffe
	s_or_b32 exec_lo, exec_lo, s11
	s_delay_alu instid0(SALU_CYCLE_1)
	s_mov_b32 s11, exec_lo
	v_cmpx_gt_u32_e64 s9, v36
	s_cbranch_execz .LBB1952_356
.LBB1952_381:                           ;   in Loop: Header=BB1952_346 Depth=2
	global_load_u16 v4, v82, s[0:1] offset:3072
	s_wait_alu 0xfffe
	s_or_b32 exec_lo, exec_lo, s11
	s_delay_alu instid0(SALU_CYCLE_1)
	s_mov_b32 s11, exec_lo
	v_cmpx_gt_u32_e64 s9, v37
	s_cbranch_execnz .LBB1952_357
	s_branch .LBB1952_358
.LBB1952_382:                           ;   in Loop: Header=BB1952_12 Depth=1
	v_mov_b32_e32 v2, 0
	s_wait_dscnt 0x0
	s_barrier_signal -1
	s_barrier_wait -1
	global_inv scope:SCOPE_SE
	s_and_saveexec_b32 s0, s2
	s_cbranch_execz .LBB1952_384
; %bb.383:                              ;   in Loop: Header=BB1952_12 Depth=1
	ds_load_2addr_b64 v[4:7], v40 offset1:1
	s_wait_dscnt 0x0
	v_add_nc_u32_e32 v2, v5, v4
	s_delay_alu instid0(VALU_DEP_1)
	v_add3_u32 v2, v2, v6, v7
.LBB1952_384:                           ;   in Loop: Header=BB1952_12 Depth=1
	s_wait_alu 0xfffe
	s_or_b32 exec_lo, exec_lo, s0
	s_delay_alu instid0(VALU_DEP_1)
	v_mov_b32_dpp v4, v2 row_shr:1 row_mask:0xf bank_mask:0xf
	v_cmp_eq_u32_e64 s0, 0, v63
	v_cmp_lt_u32_e64 s1, 1, v63
	v_cmp_lt_u32_e64 s9, 3, v63
	;; [unrolled: 1-line block ×3, first 2 shown]
	v_cmp_eq_u32_e64 s11, 0, v65
	s_wait_alu 0xf1ff
	v_cndmask_b32_e64 v4, v4, 0, s0
	s_delay_alu instid0(VALU_DEP_1) | instskip(NEXT) | instid1(VALU_DEP_1)
	v_add_nc_u32_e32 v2, v4, v2
	v_mov_b32_dpp v4, v2 row_shr:2 row_mask:0xf bank_mask:0xf
	s_delay_alu instid0(VALU_DEP_1) | instskip(NEXT) | instid1(VALU_DEP_1)
	v_cndmask_b32_e64 v4, 0, v4, s1
	v_add_nc_u32_e32 v2, v2, v4
	s_delay_alu instid0(VALU_DEP_1) | instskip(NEXT) | instid1(VALU_DEP_1)
	v_mov_b32_dpp v4, v2 row_shr:4 row_mask:0xf bank_mask:0xf
	v_cndmask_b32_e64 v4, 0, v4, s9
	s_delay_alu instid0(VALU_DEP_1) | instskip(NEXT) | instid1(VALU_DEP_1)
	v_add_nc_u32_e32 v2, v2, v4
	v_mov_b32_dpp v4, v2 row_shr:8 row_mask:0xf bank_mask:0xf
	s_delay_alu instid0(VALU_DEP_1) | instskip(NEXT) | instid1(VALU_DEP_1)
	v_cndmask_b32_e64 v4, 0, v4, s10
	v_add_nc_u32_e32 v2, v2, v4
	ds_swizzle_b32 v4, v2 offset:swizzle(BROADCAST,32,15)
	s_wait_dscnt 0x0
	v_and_b32_e32 v4, v64, v4
	s_delay_alu instid0(VALU_DEP_1)
	v_add_nc_u32_e32 v2, v2, v4
	s_and_saveexec_b32 s12, s3
; %bb.385:                              ;   in Loop: Header=BB1952_12 Depth=1
	ds_store_b32 v41, v2
; %bb.386:                              ;   in Loop: Header=BB1952_12 Depth=1
	s_wait_alu 0xfffe
	s_or_b32 exec_lo, exec_lo, s12
	s_wait_loadcnt_dscnt 0x0
	s_barrier_signal -1
	s_barrier_wait -1
	global_inv scope:SCOPE_SE
	s_and_saveexec_b32 s12, s4
	s_cbranch_execz .LBB1952_388
; %bb.387:                              ;   in Loop: Header=BB1952_12 Depth=1
	ds_load_b32 v4, v42
	v_cmp_ne_u32_e32 vcc_lo, 0, v67
	s_wait_dscnt 0x0
	v_mov_b32_dpp v5, v4 row_shr:1 row_mask:0xf bank_mask:0xf
	s_wait_alu 0xfffd
	s_delay_alu instid0(VALU_DEP_1) | instskip(SKIP_1) | instid1(VALU_DEP_2)
	v_cndmask_b32_e32 v5, 0, v5, vcc_lo
	v_cmp_lt_u32_e32 vcc_lo, 1, v67
	v_add_nc_u32_e32 v4, v5, v4
	s_delay_alu instid0(VALU_DEP_1) | instskip(SKIP_1) | instid1(VALU_DEP_1)
	v_mov_b32_dpp v5, v4 row_shr:2 row_mask:0xf bank_mask:0xf
	s_wait_alu 0xfffd
	v_cndmask_b32_e32 v5, 0, v5, vcc_lo
	v_cmp_lt_u32_e32 vcc_lo, 3, v67
	s_delay_alu instid0(VALU_DEP_2) | instskip(NEXT) | instid1(VALU_DEP_1)
	v_add_nc_u32_e32 v4, v4, v5
	v_mov_b32_dpp v5, v4 row_shr:4 row_mask:0xf bank_mask:0xf
	s_wait_alu 0xfffd
	s_delay_alu instid0(VALU_DEP_1) | instskip(NEXT) | instid1(VALU_DEP_1)
	v_cndmask_b32_e32 v5, 0, v5, vcc_lo
	v_add_nc_u32_e32 v4, v4, v5
	ds_store_b32 v42, v4
.LBB1952_388:                           ;   in Loop: Header=BB1952_12 Depth=1
	s_wait_alu 0xfffe
	s_or_b32 exec_lo, exec_lo, s12
	v_mov_b32_e32 v4, 0
	s_wait_loadcnt_dscnt 0x0
	s_barrier_signal -1
	s_barrier_wait -1
	global_inv scope:SCOPE_SE
	s_and_saveexec_b32 s12, s5
; %bb.389:                              ;   in Loop: Header=BB1952_12 Depth=1
	ds_load_b32 v4, v44
; %bb.390:                              ;   in Loop: Header=BB1952_12 Depth=1
	s_wait_alu 0xfffe
	s_or_b32 exec_lo, exec_lo, s12
	v_cmp_gt_i32_e32 vcc_lo, 0, v68
	s_wait_dscnt 0x0
	v_add_nc_u32_e32 v2, v4, v2
	s_wait_loadcnt 0x0
	s_barrier_signal -1
	s_barrier_wait -1
	s_wait_alu 0xfffd
	v_cndmask_b32_e32 v5, v68, v59, vcc_lo
	global_inv scope:SCOPE_SE
	v_lshlrev_b32_e32 v87, 2, v5
	ds_bpermute_b32 v2, v87, v2
	s_and_saveexec_b32 s12, s2
	s_cbranch_execz .LBB1952_392
; %bb.391:                              ;   in Loop: Header=BB1952_12 Depth=1
	s_wait_dscnt 0x0
	v_cndmask_b32_e64 v2, v2, v4, s8
	s_delay_alu instid0(VALU_DEP_1)
	v_add_nc_u32_e32 v2, s33, v2
	ds_store_b32 v28, v2
.LBB1952_392:                           ;   in Loop: Header=BB1952_12 Depth=1
	s_wait_alu 0xfffe
	s_or_b32 exec_lo, exec_lo, s12
	s_load_b64 s[12:13], s[28:29], 0x0
	v_add_co_u32 v88, vcc_lo, v57, v69
	s_wait_alu 0xfffd
	v_add_co_ci_u32_e64 v89, null, 0, v58, vcc_lo
	v_add_co_u32 v90, vcc_lo, v60, v77
	s_wait_alu 0xfffd
	v_add_co_ci_u32_e64 v91, null, 0, v61, vcc_lo
	s_mov_b32 s43, s47
                                        ; implicit-def: $vgpr6_vgpr7
                                        ; implicit-def: $vgpr8_vgpr9
                                        ; implicit-def: $vgpr10_vgpr11
                                        ; implicit-def: $vgpr12_vgpr13
                                        ; implicit-def: $vgpr14_vgpr15
                                        ; implicit-def: $vgpr16_vgpr17
                                        ; implicit-def: $vgpr18_vgpr19
                                        ; implicit-def: $vgpr93
                                        ; implicit-def: $vgpr94
                                        ; implicit-def: $vgpr95
                                        ; implicit-def: $vgpr96
                                        ; implicit-def: $vgpr97
                                        ; implicit-def: $vgpr98
                                        ; implicit-def: $vgpr99
                                        ; implicit-def: $vgpr100
	s_wait_kmcnt 0x0
	s_cmp_lt_u32 ttmp7, s13
	s_cselect_b32 s30, 14, 20
	s_cmp_lt_u32 ttmp9, s12
	s_wait_alu 0xfffe
	s_add_nc_u64 s[14:15], s[28:29], s[30:31]
	s_cselect_b32 s30, 12, 18
	s_load_u16 s14, s[14:15], 0x0
	s_add_nc_u64 s[12:13], s[28:29], s[30:31]
	s_mov_b32 s30, s33
	s_load_u16 s12, s[12:13], 0x0
	v_cmp_lt_u32_e64 s13, 1, v67
	s_wait_dscnt 0x0
	s_wait_kmcnt 0x0
	v_mad_u32_u24 v2, v45, s14, v0
	v_cmp_lt_u32_e64 s14, 3, v67
	s_delay_alu instid0(VALU_DEP_2) | instskip(SKIP_1) | instid1(VALU_DEP_2)
	v_mad_co_u64_u32 v[4:5], null, v2, s12, v[1:2]
	v_cmp_eq_u32_e64 s12, 0, v67
	v_lshrrev_b32_e32 v2, 3, v4
                                        ; implicit-def: $vgpr4_vgpr5
	s_delay_alu instid0(VALU_DEP_1)
	v_and_b32_e32 v92, 0x1ffffffc, v2
	s_branch .LBB1952_394
.LBB1952_393:                           ;   in Loop: Header=BB1952_394 Depth=2
	s_wait_alu 0xfffe
	s_or_b32 exec_lo, exec_lo, s15
	s_addk_co_i32 s43, 0xf800
	s_cmp_lt_u32 s44, s34
	s_mov_b32 s30, s44
	s_cbranch_scc0 .LBB1952_506
.LBB1952_394:                           ;   Parent Loop BB1952_12 Depth=1
                                        ; =>  This Inner Loop Header: Depth=2
	s_wait_alu 0xfffe
	s_add_co_i32 s44, s30, 0x800
	s_wait_alu 0xfffe
	s_cmp_gt_u32 s44, s34
	s_cbranch_scc1 .LBB1952_396
; %bb.395:                              ;   in Loop: Header=BB1952_394 Depth=2
	s_lshl_b64 s[16:17], s[30:31], 1
	s_mov_b32 s15, -1
	s_wait_alu 0xfffe
	v_add_co_u32 v20, vcc_lo, v90, s16
	s_wait_alu 0xfffd
	v_add_co_ci_u32_e64 v21, null, s17, v91, vcc_lo
	s_clause 0x6
	global_load_u16 v2, v[20:21], off
	global_load_u16 v27, v[20:21], off offset:64
	global_load_u16 v26, v[20:21], off offset:128
	;; [unrolled: 1-line block ×6, first 2 shown]
	s_movk_i32 s16, 0x800
	s_cbranch_execz .LBB1952_397
	s_branch .LBB1952_412
.LBB1952_396:                           ;   in Loop: Header=BB1952_394 Depth=2
	s_mov_b32 s15, 0
                                        ; implicit-def: $vgpr2
                                        ; implicit-def: $vgpr27
                                        ; implicit-def: $vgpr26
                                        ; implicit-def: $vgpr25
                                        ; implicit-def: $vgpr24
                                        ; implicit-def: $vgpr23
                                        ; implicit-def: $vgpr22
	s_movk_i32 s16, 0x800
.LBB1952_397:                           ;   in Loop: Header=BB1952_394 Depth=2
	s_lshl_b64 s[16:17], s[30:31], 1
	s_wait_loadcnt 0x5
	v_dual_mov_b32 v27, -1 :: v_dual_mov_b32 v2, -1
	s_wait_alu 0xfffe
	v_add_co_u32 v20, vcc_lo, v90, s16
	s_wait_alu 0xfffd
	v_add_co_ci_u32_e64 v21, null, s17, v91, vcc_lo
	s_mov_b32 s15, exec_lo
	v_cmpx_gt_u32_e64 s43, v66
	s_cbranch_execz .LBB1952_399
; %bb.398:                              ;   in Loop: Header=BB1952_394 Depth=2
	global_load_u16 v2, v[20:21], off
.LBB1952_399:                           ;   in Loop: Header=BB1952_394 Depth=2
	s_wait_alu 0xfffe
	s_or_b32 exec_lo, exec_lo, s15
	s_delay_alu instid0(SALU_CYCLE_1)
	s_mov_b32 s15, exec_lo
	v_cmpx_gt_u32_e64 s43, v70
	s_cbranch_execz .LBB1952_401
; %bb.400:                              ;   in Loop: Header=BB1952_394 Depth=2
	global_load_u16 v27, v[20:21], off offset:64
.LBB1952_401:                           ;   in Loop: Header=BB1952_394 Depth=2
	s_wait_alu 0xfffe
	s_or_b32 exec_lo, exec_lo, s15
	s_wait_loadcnt 0x3
	v_dual_mov_b32 v25, -1 :: v_dual_mov_b32 v26, -1
	s_mov_b32 s15, exec_lo
	v_cmpx_gt_u32_e64 s43, v71
	s_cbranch_execz .LBB1952_403
; %bb.402:                              ;   in Loop: Header=BB1952_394 Depth=2
	global_load_u16 v26, v[20:21], off offset:128
.LBB1952_403:                           ;   in Loop: Header=BB1952_394 Depth=2
	s_wait_alu 0xfffe
	s_or_b32 exec_lo, exec_lo, s15
	s_delay_alu instid0(SALU_CYCLE_1)
	s_mov_b32 s15, exec_lo
	v_cmpx_gt_u32_e64 s43, v72
	s_cbranch_execz .LBB1952_405
; %bb.404:                              ;   in Loop: Header=BB1952_394 Depth=2
	global_load_u16 v25, v[20:21], off offset:192
.LBB1952_405:                           ;   in Loop: Header=BB1952_394 Depth=2
	s_wait_alu 0xfffe
	s_or_b32 exec_lo, exec_lo, s15
	s_wait_loadcnt 0x1
	v_dual_mov_b32 v23, -1 :: v_dual_mov_b32 v24, -1
	s_mov_b32 s15, exec_lo
	v_cmpx_gt_u32_e64 s43, v73
	s_cbranch_execz .LBB1952_407
; %bb.406:                              ;   in Loop: Header=BB1952_394 Depth=2
	global_load_u16 v24, v[20:21], off offset:256
.LBB1952_407:                           ;   in Loop: Header=BB1952_394 Depth=2
	s_wait_alu 0xfffe
	s_or_b32 exec_lo, exec_lo, s15
	s_delay_alu instid0(SALU_CYCLE_1)
	s_mov_b32 s15, exec_lo
	v_cmpx_gt_u32_e64 s43, v74
	s_cbranch_execz .LBB1952_409
; %bb.408:                              ;   in Loop: Header=BB1952_394 Depth=2
	global_load_u16 v23, v[20:21], off offset:320
.LBB1952_409:                           ;   in Loop: Header=BB1952_394 Depth=2
	s_wait_alu 0xfffe
	s_or_b32 exec_lo, exec_lo, s15
	s_wait_loadcnt 0x0
	v_mov_b32_e32 v22, -1
	s_mov_b32 s15, exec_lo
	v_cmpx_gt_u32_e64 s43, v75
	s_cbranch_execz .LBB1952_411
; %bb.410:                              ;   in Loop: Header=BB1952_394 Depth=2
	global_load_u16 v22, v[20:21], off offset:384
.LBB1952_411:                           ;   in Loop: Header=BB1952_394 Depth=2
	s_wait_alu 0xfffe
	s_or_b32 exec_lo, exec_lo, s15
	v_cmp_gt_u32_e64 s15, s43, v76
	s_sub_co_i32 s16, s34, s30
.LBB1952_412:                           ;   in Loop: Header=BB1952_394 Depth=2
	v_dual_mov_b32 v20, -1 :: v_dual_mov_b32 v101, s43
	s_and_saveexec_b32 s17, s15
	s_cbranch_execz .LBB1952_414
; %bb.413:                              ;   in Loop: Header=BB1952_394 Depth=2
	s_lshl_b64 s[18:19], s[30:31], 1
	s_wait_alu 0xfffe
	v_mov_b32_e32 v101, s16
	v_add_co_u32 v20, vcc_lo, v90, s18
	s_wait_alu 0xfffd
	v_add_co_ci_u32_e64 v21, null, s19, v91, vcc_lo
	global_load_u16 v20, v[20:21], off offset:448
.LBB1952_414:                           ;   in Loop: Header=BB1952_394 Depth=2
	s_wait_alu 0xfffe
	s_or_b32 exec_lo, exec_lo, s17
	s_wait_loadcnt 0x6
	v_cmp_gt_i16_e32 vcc_lo, 0, v2
	ds_store_2addr_b32 v81, v3, v3 offset1:1
	ds_store_2addr_b32 v78, v3, v3 offset1:1
	;; [unrolled: 1-line block ×4, first 2 shown]
	ds_store_b32 v43, v3 offset:1088
	s_wait_loadcnt_dscnt 0x0
	s_barrier_signal -1
	s_wait_alu 0xfffd
	v_cndmask_b32_e64 v21, 0x7fff, 0, vcc_lo
	s_barrier_wait -1
	global_inv scope:SCOPE_SE
	; wave barrier
	v_xor_b32_e32 v2, v21, v2
	s_delay_alu instid0(VALU_DEP_1) | instskip(SKIP_2) | instid1(VALU_DEP_1)
	v_cmp_ne_u16_e32 vcc_lo, 0x8000, v2
	s_wait_alu 0xfffd
	v_cndmask_b32_e32 v21, 0x7fff, v2, vcc_lo
	v_and_b32_e32 v21, 0xffff, v21
	s_delay_alu instid0(VALU_DEP_1) | instskip(NEXT) | instid1(VALU_DEP_1)
	v_lshrrev_b32_e32 v21, s45, v21
	v_and_b32_e32 v103, s42, v21
	s_delay_alu instid0(VALU_DEP_1)
	v_and_b32_e32 v21, 1, v103
	v_lshlrev_b32_e32 v102, 30, v103
	v_lshlrev_b32_e32 v104, 29, v103
	;; [unrolled: 1-line block ×4, first 2 shown]
	v_add_co_u32 v21, s15, v21, -1
	s_wait_alu 0xf1ff
	v_cndmask_b32_e64 v106, 0, 1, s15
	v_not_b32_e32 v110, v102
	v_cmp_gt_i32_e64 s15, 0, v102
	v_not_b32_e32 v102, v104
	v_lshlrev_b32_e32 v108, 26, v103
	v_cmp_ne_u32_e32 vcc_lo, 0, v106
	v_ashrrev_i32_e32 v110, 31, v110
	v_lshlrev_b32_e32 v109, 25, v103
	v_ashrrev_i32_e32 v102, 31, v102
	v_lshlrev_b32_e32 v106, 24, v103
	s_wait_alu 0xfffd
	v_xor_b32_e32 v21, vcc_lo, v21
	v_cmp_gt_i32_e32 vcc_lo, 0, v104
	v_not_b32_e32 v104, v105
	s_wait_alu 0xf1ff
	v_xor_b32_e32 v110, s15, v110
	v_cmp_gt_i32_e64 s15, 0, v105
	v_and_b32_e32 v21, exec_lo, v21
	v_not_b32_e32 v105, v107
	v_ashrrev_i32_e32 v104, 31, v104
	s_wait_alu 0xfffd
	v_xor_b32_e32 v102, vcc_lo, v102
	v_cmp_gt_i32_e32 vcc_lo, 0, v107
	v_and_b32_e32 v21, v21, v110
	v_not_b32_e32 v107, v108
	v_ashrrev_i32_e32 v105, 31, v105
	s_wait_alu 0xf1ff
	v_xor_b32_e32 v104, s15, v104
	v_cmp_gt_i32_e64 s15, 0, v108
	v_and_b32_e32 v21, v21, v102
	v_not_b32_e32 v102, v109
	v_ashrrev_i32_e32 v107, 31, v107
	s_wait_alu 0xfffd
	v_xor_b32_e32 v105, vcc_lo, v105
	v_cmp_gt_i32_e32 vcc_lo, 0, v109
	v_and_b32_e32 v21, v21, v104
	v_not_b32_e32 v104, v106
	v_ashrrev_i32_e32 v102, 31, v102
	s_wait_alu 0xf1ff
	v_xor_b32_e32 v107, s15, v107
	v_cmp_gt_i32_e64 s15, 0, v106
	v_and_b32_e32 v21, v21, v105
	v_ashrrev_i32_e32 v104, 31, v104
	s_wait_alu 0xfffd
	v_xor_b32_e32 v102, vcc_lo, v102
	v_mul_u32_u24_e32 v103, 36, v103
	v_and_b32_e32 v21, v21, v107
	s_wait_alu 0xf1ff
	v_xor_b32_e32 v104, s15, v104
	s_delay_alu instid0(VALU_DEP_2) | instskip(NEXT) | instid1(VALU_DEP_1)
	v_and_b32_e32 v21, v21, v102
	v_and_b32_e32 v21, v21, v104
	v_add_nc_u32_e32 v104, v92, v103
	s_delay_alu instid0(VALU_DEP_2) | instskip(SKIP_1) | instid1(VALU_DEP_2)
	v_mbcnt_lo_u32_b32 v102, v21, 0
	v_cmp_ne_u32_e64 s15, 0, v21
	v_cmp_eq_u32_e32 vcc_lo, 0, v102
	s_and_b32 s16, s15, vcc_lo
	s_wait_alu 0xfffe
	s_and_saveexec_b32 s15, s16
; %bb.415:                              ;   in Loop: Header=BB1952_394 Depth=2
	v_bcnt_u32_b32 v21, v21, 0
	ds_store_b32 v104, v21 offset:1056
; %bb.416:                              ;   in Loop: Header=BB1952_394 Depth=2
	s_wait_alu 0xfffe
	s_or_b32 exec_lo, exec_lo, s15
	v_cmp_gt_i16_e32 vcc_lo, 0, v27
	; wave barrier
	s_wait_alu 0xfffd
	v_cndmask_b32_e64 v21, 0x7fff, 0, vcc_lo
	s_delay_alu instid0(VALU_DEP_1) | instskip(NEXT) | instid1(VALU_DEP_1)
	v_xor_b32_e32 v103, v21, v27
	v_cmp_ne_u16_e32 vcc_lo, 0x8000, v103
	s_wait_alu 0xfffd
	v_cndmask_b32_e32 v21, 0x7fff, v103, vcc_lo
	s_delay_alu instid0(VALU_DEP_1) | instskip(NEXT) | instid1(VALU_DEP_1)
	v_and_b32_e32 v21, 0xffff, v21
	v_lshrrev_b32_e32 v21, s45, v21
	s_delay_alu instid0(VALU_DEP_1) | instskip(NEXT) | instid1(VALU_DEP_1)
	v_and_b32_e32 v27, s42, v21
	v_and_b32_e32 v21, 1, v27
	v_lshlrev_b32_e32 v105, 30, v27
	v_lshlrev_b32_e32 v106, 29, v27
	v_lshlrev_b32_e32 v107, 28, v27
	v_lshlrev_b32_e32 v109, 27, v27
	v_add_co_u32 v21, s15, v21, -1
	s_wait_alu 0xf1ff
	v_cndmask_b32_e64 v108, 0, 1, s15
	v_not_b32_e32 v112, v105
	v_cmp_gt_i32_e64 s15, 0, v105
	v_not_b32_e32 v105, v106
	v_lshlrev_b32_e32 v110, 26, v27
	v_cmp_ne_u32_e32 vcc_lo, 0, v108
	v_ashrrev_i32_e32 v112, 31, v112
	v_lshlrev_b32_e32 v111, 25, v27
	v_ashrrev_i32_e32 v105, 31, v105
	v_lshlrev_b32_e32 v108, 24, v27
	s_wait_alu 0xfffd
	v_xor_b32_e32 v21, vcc_lo, v21
	v_cmp_gt_i32_e32 vcc_lo, 0, v106
	v_not_b32_e32 v106, v107
	s_wait_alu 0xf1ff
	v_xor_b32_e32 v112, s15, v112
	v_cmp_gt_i32_e64 s15, 0, v107
	v_and_b32_e32 v21, exec_lo, v21
	v_not_b32_e32 v107, v109
	v_ashrrev_i32_e32 v106, 31, v106
	s_wait_alu 0xfffd
	v_xor_b32_e32 v105, vcc_lo, v105
	v_cmp_gt_i32_e32 vcc_lo, 0, v109
	v_and_b32_e32 v21, v21, v112
	v_not_b32_e32 v109, v110
	v_ashrrev_i32_e32 v107, 31, v107
	s_wait_alu 0xf1ff
	v_xor_b32_e32 v106, s15, v106
	v_cmp_gt_i32_e64 s15, 0, v110
	v_and_b32_e32 v21, v21, v105
	v_not_b32_e32 v105, v111
	v_ashrrev_i32_e32 v109, 31, v109
	s_wait_alu 0xfffd
	v_xor_b32_e32 v107, vcc_lo, v107
	v_cmp_gt_i32_e32 vcc_lo, 0, v111
	v_and_b32_e32 v21, v21, v106
	v_not_b32_e32 v106, v108
	v_ashrrev_i32_e32 v105, 31, v105
	s_wait_alu 0xf1ff
	v_xor_b32_e32 v109, s15, v109
	v_cmp_gt_i32_e64 s15, 0, v108
	v_and_b32_e32 v21, v21, v107
	v_ashrrev_i32_e32 v106, 31, v106
	s_wait_alu 0xfffd
	v_xor_b32_e32 v105, vcc_lo, v105
	v_mad_u32_u24 v107, v27, 36, v92
	v_mul_u32_u24_e32 v27, 36, v27
	v_and_b32_e32 v21, v21, v109
	s_wait_alu 0xf1ff
	v_xor_b32_e32 v106, s15, v106
	s_delay_alu instid0(VALU_DEP_3) | instskip(NEXT) | instid1(VALU_DEP_3)
	v_add_nc_u32_e32 v108, v92, v27
	v_and_b32_e32 v21, v21, v105
	ds_load_b32 v105, v107 offset:1056
	; wave barrier
	v_and_b32_e32 v21, v21, v106
	s_delay_alu instid0(VALU_DEP_1) | instskip(SKIP_1) | instid1(VALU_DEP_2)
	v_mbcnt_lo_u32_b32 v106, v21, 0
	v_cmp_ne_u32_e64 s15, 0, v21
	v_cmp_eq_u32_e32 vcc_lo, 0, v106
	s_and_b32 s16, s15, vcc_lo
	s_wait_alu 0xfffe
	s_and_saveexec_b32 s15, s16
	s_cbranch_execz .LBB1952_418
; %bb.417:                              ;   in Loop: Header=BB1952_394 Depth=2
	s_wait_dscnt 0x0
	v_bcnt_u32_b32 v21, v21, v105
	ds_store_b32 v108, v21 offset:1056
.LBB1952_418:                           ;   in Loop: Header=BB1952_394 Depth=2
	s_wait_alu 0xfffe
	s_or_b32 exec_lo, exec_lo, s15
	v_cmp_gt_i16_e32 vcc_lo, 0, v26
	; wave barrier
	s_wait_alu 0xfffd
	v_cndmask_b32_e64 v21, 0x7fff, 0, vcc_lo
	s_delay_alu instid0(VALU_DEP_1) | instskip(NEXT) | instid1(VALU_DEP_1)
	v_xor_b32_e32 v107, v21, v26
	v_cmp_ne_u16_e32 vcc_lo, 0x8000, v107
	s_wait_alu 0xfffd
	v_cndmask_b32_e32 v21, 0x7fff, v107, vcc_lo
	s_delay_alu instid0(VALU_DEP_1) | instskip(NEXT) | instid1(VALU_DEP_1)
	v_and_b32_e32 v21, 0xffff, v21
	v_lshrrev_b32_e32 v21, s45, v21
	s_delay_alu instid0(VALU_DEP_1) | instskip(NEXT) | instid1(VALU_DEP_1)
	v_and_b32_e32 v26, s42, v21
	v_and_b32_e32 v21, 1, v26
	v_lshlrev_b32_e32 v27, 30, v26
	v_lshlrev_b32_e32 v109, 29, v26
	;; [unrolled: 1-line block ×4, first 2 shown]
	v_add_co_u32 v21, s15, v21, -1
	s_wait_alu 0xf1ff
	v_cndmask_b32_e64 v111, 0, 1, s15
	v_not_b32_e32 v115, v27
	v_cmp_gt_i32_e64 s15, 0, v27
	v_not_b32_e32 v27, v109
	v_lshlrev_b32_e32 v113, 26, v26
	v_cmp_ne_u32_e32 vcc_lo, 0, v111
	v_ashrrev_i32_e32 v115, 31, v115
	v_lshlrev_b32_e32 v114, 25, v26
	v_ashrrev_i32_e32 v27, 31, v27
	v_lshlrev_b32_e32 v111, 24, v26
	s_wait_alu 0xfffd
	v_xor_b32_e32 v21, vcc_lo, v21
	v_cmp_gt_i32_e32 vcc_lo, 0, v109
	v_not_b32_e32 v109, v110
	s_wait_alu 0xf1ff
	v_xor_b32_e32 v115, s15, v115
	v_cmp_gt_i32_e64 s15, 0, v110
	v_and_b32_e32 v21, exec_lo, v21
	v_not_b32_e32 v110, v112
	v_ashrrev_i32_e32 v109, 31, v109
	s_wait_alu 0xfffd
	v_xor_b32_e32 v27, vcc_lo, v27
	v_cmp_gt_i32_e32 vcc_lo, 0, v112
	v_and_b32_e32 v21, v21, v115
	v_not_b32_e32 v112, v113
	v_ashrrev_i32_e32 v110, 31, v110
	s_wait_alu 0xf1ff
	v_xor_b32_e32 v109, s15, v109
	v_cmp_gt_i32_e64 s15, 0, v113
	v_and_b32_e32 v21, v21, v27
	v_not_b32_e32 v27, v114
	v_ashrrev_i32_e32 v112, 31, v112
	s_wait_alu 0xfffd
	v_xor_b32_e32 v110, vcc_lo, v110
	v_cmp_gt_i32_e32 vcc_lo, 0, v114
	v_and_b32_e32 v21, v21, v109
	v_not_b32_e32 v109, v111
	v_ashrrev_i32_e32 v27, 31, v27
	s_wait_alu 0xf1ff
	v_xor_b32_e32 v112, s15, v112
	v_cmp_gt_i32_e64 s15, 0, v111
	v_and_b32_e32 v21, v21, v110
	v_ashrrev_i32_e32 v109, 31, v109
	s_wait_alu 0xfffd
	v_xor_b32_e32 v27, vcc_lo, v27
	v_mad_u32_u24 v110, v26, 36, v92
	v_mul_u32_u24_e32 v26, 36, v26
	v_and_b32_e32 v21, v21, v112
	s_wait_alu 0xf1ff
	v_xor_b32_e32 v111, s15, v109
	ds_load_b32 v109, v110 offset:1056
	v_add_nc_u32_e32 v112, v92, v26
	v_and_b32_e32 v21, v21, v27
	; wave barrier
	s_delay_alu instid0(VALU_DEP_1) | instskip(NEXT) | instid1(VALU_DEP_1)
	v_and_b32_e32 v21, v21, v111
	v_mbcnt_lo_u32_b32 v111, v21, 0
	v_cmp_ne_u32_e64 s15, 0, v21
	s_delay_alu instid0(VALU_DEP_2)
	v_cmp_eq_u32_e32 vcc_lo, 0, v111
	s_and_b32 s16, s15, vcc_lo
	s_wait_alu 0xfffe
	s_and_saveexec_b32 s15, s16
	s_cbranch_execz .LBB1952_420
; %bb.419:                              ;   in Loop: Header=BB1952_394 Depth=2
	s_wait_dscnt 0x0
	v_bcnt_u32_b32 v21, v21, v109
	ds_store_b32 v112, v21 offset:1056
.LBB1952_420:                           ;   in Loop: Header=BB1952_394 Depth=2
	s_wait_alu 0xfffe
	s_or_b32 exec_lo, exec_lo, s15
	v_cmp_gt_i16_e32 vcc_lo, 0, v25
	; wave barrier
	s_wait_alu 0xfffd
	v_cndmask_b32_e64 v21, 0x7fff, 0, vcc_lo
	s_delay_alu instid0(VALU_DEP_1) | instskip(NEXT) | instid1(VALU_DEP_1)
	v_xor_b32_e32 v110, v21, v25
	v_cmp_ne_u16_e32 vcc_lo, 0x8000, v110
	s_wait_alu 0xfffd
	v_cndmask_b32_e32 v21, 0x7fff, v110, vcc_lo
	s_delay_alu instid0(VALU_DEP_1) | instskip(NEXT) | instid1(VALU_DEP_1)
	v_and_b32_e32 v21, 0xffff, v21
	v_lshrrev_b32_e32 v21, s45, v21
	s_delay_alu instid0(VALU_DEP_1) | instskip(NEXT) | instid1(VALU_DEP_1)
	v_and_b32_e32 v25, s42, v21
	v_and_b32_e32 v21, 1, v25
	v_lshlrev_b32_e32 v26, 30, v25
	v_lshlrev_b32_e32 v27, 29, v25
	;; [unrolled: 1-line block ×4, first 2 shown]
	v_add_co_u32 v21, s15, v21, -1
	s_wait_alu 0xf1ff
	v_cndmask_b32_e64 v114, 0, 1, s15
	v_not_b32_e32 v118, v26
	v_cmp_gt_i32_e64 s15, 0, v26
	v_not_b32_e32 v26, v27
	v_lshlrev_b32_e32 v116, 26, v25
	v_cmp_ne_u32_e32 vcc_lo, 0, v114
	v_ashrrev_i32_e32 v118, 31, v118
	v_lshlrev_b32_e32 v117, 25, v25
	v_ashrrev_i32_e32 v26, 31, v26
	v_lshlrev_b32_e32 v114, 24, v25
	s_wait_alu 0xfffd
	v_xor_b32_e32 v21, vcc_lo, v21
	v_cmp_gt_i32_e32 vcc_lo, 0, v27
	v_not_b32_e32 v27, v113
	s_wait_alu 0xf1ff
	v_xor_b32_e32 v118, s15, v118
	v_cmp_gt_i32_e64 s15, 0, v113
	v_and_b32_e32 v21, exec_lo, v21
	v_not_b32_e32 v113, v115
	v_ashrrev_i32_e32 v27, 31, v27
	s_wait_alu 0xfffd
	v_xor_b32_e32 v26, vcc_lo, v26
	v_cmp_gt_i32_e32 vcc_lo, 0, v115
	v_and_b32_e32 v21, v21, v118
	v_not_b32_e32 v115, v116
	v_ashrrev_i32_e32 v113, 31, v113
	s_wait_alu 0xf1ff
	v_xor_b32_e32 v27, s15, v27
	v_cmp_gt_i32_e64 s15, 0, v116
	v_and_b32_e32 v21, v21, v26
	v_not_b32_e32 v26, v117
	v_ashrrev_i32_e32 v115, 31, v115
	s_wait_alu 0xfffd
	v_xor_b32_e32 v113, vcc_lo, v113
	v_cmp_gt_i32_e32 vcc_lo, 0, v117
	v_and_b32_e32 v21, v21, v27
	v_not_b32_e32 v27, v114
	v_ashrrev_i32_e32 v26, 31, v26
	s_wait_alu 0xf1ff
	v_xor_b32_e32 v115, s15, v115
	v_cmp_gt_i32_e64 s15, 0, v114
	v_and_b32_e32 v21, v21, v113
	v_ashrrev_i32_e32 v27, 31, v27
	s_wait_alu 0xfffd
	v_xor_b32_e32 v26, vcc_lo, v26
	v_mad_u32_u24 v113, v25, 36, v92
	v_mul_u32_u24_e32 v25, 36, v25
	v_and_b32_e32 v21, v21, v115
	s_wait_alu 0xf1ff
	v_xor_b32_e32 v27, s15, v27
	ds_load_b32 v113, v113 offset:1056
	v_add_nc_u32_e32 v116, v92, v25
	v_and_b32_e32 v21, v21, v26
	; wave barrier
	s_delay_alu instid0(VALU_DEP_1) | instskip(NEXT) | instid1(VALU_DEP_1)
	v_and_b32_e32 v21, v21, v27
	v_mbcnt_lo_u32_b32 v115, v21, 0
	v_cmp_ne_u32_e64 s15, 0, v21
	s_delay_alu instid0(VALU_DEP_2)
	v_cmp_eq_u32_e32 vcc_lo, 0, v115
	s_and_b32 s16, s15, vcc_lo
	s_wait_alu 0xfffe
	s_and_saveexec_b32 s15, s16
	s_cbranch_execz .LBB1952_422
; %bb.421:                              ;   in Loop: Header=BB1952_394 Depth=2
	s_wait_dscnt 0x0
	v_bcnt_u32_b32 v21, v21, v113
	ds_store_b32 v116, v21 offset:1056
.LBB1952_422:                           ;   in Loop: Header=BB1952_394 Depth=2
	s_wait_alu 0xfffe
	s_or_b32 exec_lo, exec_lo, s15
	v_cmp_gt_i16_e32 vcc_lo, 0, v24
	; wave barrier
	s_wait_alu 0xfffd
	v_cndmask_b32_e64 v21, 0x7fff, 0, vcc_lo
	s_delay_alu instid0(VALU_DEP_1) | instskip(NEXT) | instid1(VALU_DEP_1)
	v_xor_b32_e32 v114, v21, v24
	v_cmp_ne_u16_e32 vcc_lo, 0x8000, v114
	s_wait_alu 0xfffd
	v_cndmask_b32_e32 v21, 0x7fff, v114, vcc_lo
	s_delay_alu instid0(VALU_DEP_1) | instskip(NEXT) | instid1(VALU_DEP_1)
	v_and_b32_e32 v21, 0xffff, v21
	v_lshrrev_b32_e32 v21, s45, v21
	s_delay_alu instid0(VALU_DEP_1) | instskip(NEXT) | instid1(VALU_DEP_1)
	v_and_b32_e32 v24, s42, v21
	v_and_b32_e32 v21, 1, v24
	v_lshlrev_b32_e32 v25, 30, v24
	v_lshlrev_b32_e32 v26, 29, v24
	;; [unrolled: 1-line block ×4, first 2 shown]
	v_add_co_u32 v21, s15, v21, -1
	s_wait_alu 0xf1ff
	v_cndmask_b32_e64 v117, 0, 1, s15
	v_not_b32_e32 v121, v25
	v_cmp_gt_i32_e64 s15, 0, v25
	v_not_b32_e32 v25, v26
	v_lshlrev_b32_e32 v119, 26, v24
	v_cmp_ne_u32_e32 vcc_lo, 0, v117
	v_ashrrev_i32_e32 v121, 31, v121
	v_lshlrev_b32_e32 v120, 25, v24
	v_ashrrev_i32_e32 v25, 31, v25
	v_lshlrev_b32_e32 v117, 24, v24
	s_wait_alu 0xfffd
	v_xor_b32_e32 v21, vcc_lo, v21
	v_cmp_gt_i32_e32 vcc_lo, 0, v26
	v_not_b32_e32 v26, v27
	s_wait_alu 0xf1ff
	v_xor_b32_e32 v121, s15, v121
	v_cmp_gt_i32_e64 s15, 0, v27
	v_and_b32_e32 v21, exec_lo, v21
	v_not_b32_e32 v27, v118
	v_ashrrev_i32_e32 v26, 31, v26
	s_wait_alu 0xfffd
	v_xor_b32_e32 v25, vcc_lo, v25
	v_cmp_gt_i32_e32 vcc_lo, 0, v118
	v_and_b32_e32 v21, v21, v121
	v_not_b32_e32 v118, v119
	v_ashrrev_i32_e32 v27, 31, v27
	s_wait_alu 0xf1ff
	v_xor_b32_e32 v26, s15, v26
	v_cmp_gt_i32_e64 s15, 0, v119
	v_and_b32_e32 v21, v21, v25
	v_not_b32_e32 v25, v120
	v_ashrrev_i32_e32 v118, 31, v118
	s_wait_alu 0xfffd
	v_xor_b32_e32 v27, vcc_lo, v27
	v_cmp_gt_i32_e32 vcc_lo, 0, v120
	v_and_b32_e32 v21, v21, v26
	v_not_b32_e32 v26, v117
	v_ashrrev_i32_e32 v25, 31, v25
	s_wait_alu 0xf1ff
	v_xor_b32_e32 v118, s15, v118
	v_cmp_gt_i32_e64 s15, 0, v117
	v_and_b32_e32 v21, v21, v27
	v_ashrrev_i32_e32 v26, 31, v26
	s_wait_alu 0xfffd
	v_xor_b32_e32 v25, vcc_lo, v25
	v_mad_u32_u24 v27, v24, 36, v92
	v_mul_u32_u24_e32 v24, 36, v24
	v_and_b32_e32 v21, v21, v118
	s_wait_alu 0xf1ff
	v_xor_b32_e32 v26, s15, v26
	ds_load_b32 v117, v27 offset:1056
	v_add_nc_u32_e32 v120, v92, v24
	v_and_b32_e32 v21, v21, v25
	; wave barrier
	s_delay_alu instid0(VALU_DEP_1) | instskip(NEXT) | instid1(VALU_DEP_1)
	v_and_b32_e32 v21, v21, v26
	v_mbcnt_lo_u32_b32 v119, v21, 0
	v_cmp_ne_u32_e64 s15, 0, v21
	s_delay_alu instid0(VALU_DEP_2)
	v_cmp_eq_u32_e32 vcc_lo, 0, v119
	s_and_b32 s16, s15, vcc_lo
	s_wait_alu 0xfffe
	s_and_saveexec_b32 s15, s16
	s_cbranch_execz .LBB1952_424
; %bb.423:                              ;   in Loop: Header=BB1952_394 Depth=2
	s_wait_dscnt 0x0
	v_bcnt_u32_b32 v21, v21, v117
	ds_store_b32 v120, v21 offset:1056
.LBB1952_424:                           ;   in Loop: Header=BB1952_394 Depth=2
	s_wait_alu 0xfffe
	s_or_b32 exec_lo, exec_lo, s15
	v_cmp_gt_i16_e32 vcc_lo, 0, v23
	; wave barrier
	s_wait_alu 0xfffd
	v_cndmask_b32_e64 v21, 0x7fff, 0, vcc_lo
	s_delay_alu instid0(VALU_DEP_1) | instskip(NEXT) | instid1(VALU_DEP_1)
	v_xor_b32_e32 v118, v21, v23
	v_cmp_ne_u16_e32 vcc_lo, 0x8000, v118
	s_wait_alu 0xfffd
	v_cndmask_b32_e32 v21, 0x7fff, v118, vcc_lo
	s_delay_alu instid0(VALU_DEP_1) | instskip(NEXT) | instid1(VALU_DEP_1)
	v_and_b32_e32 v21, 0xffff, v21
	v_lshrrev_b32_e32 v21, s45, v21
	s_delay_alu instid0(VALU_DEP_1) | instskip(NEXT) | instid1(VALU_DEP_1)
	v_and_b32_e32 v23, s42, v21
	v_and_b32_e32 v21, 1, v23
	v_lshlrev_b32_e32 v24, 30, v23
	v_lshlrev_b32_e32 v25, 29, v23
	;; [unrolled: 1-line block ×4, first 2 shown]
	v_add_co_u32 v21, s15, v21, -1
	s_wait_alu 0xf1ff
	v_cndmask_b32_e64 v27, 0, 1, s15
	v_not_b32_e32 v124, v24
	v_cmp_gt_i32_e64 s15, 0, v24
	v_not_b32_e32 v24, v25
	v_lshlrev_b32_e32 v122, 26, v23
	v_cmp_ne_u32_e32 vcc_lo, 0, v27
	v_ashrrev_i32_e32 v124, 31, v124
	v_lshlrev_b32_e32 v123, 25, v23
	v_ashrrev_i32_e32 v24, 31, v24
	v_lshlrev_b32_e32 v27, 24, v23
	s_wait_alu 0xfffd
	v_xor_b32_e32 v21, vcc_lo, v21
	v_cmp_gt_i32_e32 vcc_lo, 0, v25
	v_not_b32_e32 v25, v26
	s_wait_alu 0xf1ff
	v_xor_b32_e32 v124, s15, v124
	v_cmp_gt_i32_e64 s15, 0, v26
	v_and_b32_e32 v21, exec_lo, v21
	v_not_b32_e32 v26, v121
	v_ashrrev_i32_e32 v25, 31, v25
	s_wait_alu 0xfffd
	v_xor_b32_e32 v24, vcc_lo, v24
	v_cmp_gt_i32_e32 vcc_lo, 0, v121
	v_and_b32_e32 v21, v21, v124
	v_not_b32_e32 v121, v122
	v_ashrrev_i32_e32 v26, 31, v26
	s_wait_alu 0xf1ff
	v_xor_b32_e32 v25, s15, v25
	v_cmp_gt_i32_e64 s15, 0, v122
	v_and_b32_e32 v21, v21, v24
	v_not_b32_e32 v24, v123
	v_ashrrev_i32_e32 v121, 31, v121
	s_wait_alu 0xfffd
	v_xor_b32_e32 v26, vcc_lo, v26
	v_cmp_gt_i32_e32 vcc_lo, 0, v123
	v_and_b32_e32 v21, v21, v25
	v_not_b32_e32 v25, v27
	v_ashrrev_i32_e32 v24, 31, v24
	s_wait_alu 0xf1ff
	v_xor_b32_e32 v121, s15, v121
	v_cmp_gt_i32_e64 s15, 0, v27
	v_and_b32_e32 v21, v21, v26
	v_ashrrev_i32_e32 v25, 31, v25
	s_wait_alu 0xfffd
	v_xor_b32_e32 v24, vcc_lo, v24
	v_mad_u32_u24 v26, v23, 36, v92
	v_mul_u32_u24_e32 v23, 36, v23
	v_and_b32_e32 v21, v21, v121
	s_wait_alu 0xf1ff
	v_xor_b32_e32 v25, s15, v25
	ds_load_b32 v121, v26 offset:1056
	v_add_nc_u32_e32 v124, v92, v23
	v_and_b32_e32 v21, v21, v24
	; wave barrier
	s_delay_alu instid0(VALU_DEP_1) | instskip(NEXT) | instid1(VALU_DEP_1)
	v_and_b32_e32 v21, v21, v25
	v_mbcnt_lo_u32_b32 v123, v21, 0
	v_cmp_ne_u32_e64 s15, 0, v21
	s_delay_alu instid0(VALU_DEP_2)
	v_cmp_eq_u32_e32 vcc_lo, 0, v123
	s_and_b32 s16, s15, vcc_lo
	s_wait_alu 0xfffe
	s_and_saveexec_b32 s15, s16
	s_cbranch_execz .LBB1952_426
; %bb.425:                              ;   in Loop: Header=BB1952_394 Depth=2
	s_wait_dscnt 0x0
	v_bcnt_u32_b32 v21, v21, v121
	ds_store_b32 v124, v21 offset:1056
.LBB1952_426:                           ;   in Loop: Header=BB1952_394 Depth=2
	s_wait_alu 0xfffe
	s_or_b32 exec_lo, exec_lo, s15
	v_cmp_gt_i16_e32 vcc_lo, 0, v22
	; wave barrier
	s_wait_alu 0xfffd
	v_cndmask_b32_e64 v21, 0x7fff, 0, vcc_lo
	s_delay_alu instid0(VALU_DEP_1) | instskip(NEXT) | instid1(VALU_DEP_1)
	v_xor_b32_e32 v122, v21, v22
	v_cmp_ne_u16_e32 vcc_lo, 0x8000, v122
	s_wait_alu 0xfffd
	v_cndmask_b32_e32 v21, 0x7fff, v122, vcc_lo
	s_delay_alu instid0(VALU_DEP_1) | instskip(NEXT) | instid1(VALU_DEP_1)
	v_and_b32_e32 v21, 0xffff, v21
	v_lshrrev_b32_e32 v21, s45, v21
	s_delay_alu instid0(VALU_DEP_1) | instskip(NEXT) | instid1(VALU_DEP_1)
	v_and_b32_e32 v22, s42, v21
	v_and_b32_e32 v21, 1, v22
	v_lshlrev_b32_e32 v23, 30, v22
	v_lshlrev_b32_e32 v24, 29, v22
	;; [unrolled: 1-line block ×4, first 2 shown]
	v_add_co_u32 v21, s15, v21, -1
	s_wait_alu 0xf1ff
	v_cndmask_b32_e64 v26, 0, 1, s15
	v_not_b32_e32 v127, v23
	v_cmp_gt_i32_e64 s15, 0, v23
	v_not_b32_e32 v23, v24
	v_lshlrev_b32_e32 v125, 26, v22
	v_cmp_ne_u32_e32 vcc_lo, 0, v26
	v_ashrrev_i32_e32 v127, 31, v127
	v_lshlrev_b32_e32 v126, 25, v22
	v_ashrrev_i32_e32 v23, 31, v23
	v_lshlrev_b32_e32 v26, 24, v22
	s_wait_alu 0xfffd
	v_xor_b32_e32 v21, vcc_lo, v21
	v_cmp_gt_i32_e32 vcc_lo, 0, v24
	v_not_b32_e32 v24, v25
	s_wait_alu 0xf1ff
	v_xor_b32_e32 v127, s15, v127
	v_cmp_gt_i32_e64 s15, 0, v25
	v_and_b32_e32 v21, exec_lo, v21
	v_not_b32_e32 v25, v27
	v_ashrrev_i32_e32 v24, 31, v24
	s_wait_alu 0xfffd
	v_xor_b32_e32 v23, vcc_lo, v23
	v_cmp_gt_i32_e32 vcc_lo, 0, v27
	v_and_b32_e32 v21, v21, v127
	v_not_b32_e32 v27, v125
	v_ashrrev_i32_e32 v25, 31, v25
	s_wait_alu 0xf1ff
	v_xor_b32_e32 v24, s15, v24
	v_cmp_gt_i32_e64 s15, 0, v125
	v_and_b32_e32 v21, v21, v23
	v_not_b32_e32 v23, v126
	v_ashrrev_i32_e32 v27, 31, v27
	s_wait_alu 0xfffd
	v_xor_b32_e32 v25, vcc_lo, v25
	v_cmp_gt_i32_e32 vcc_lo, 0, v126
	v_and_b32_e32 v21, v21, v24
	v_not_b32_e32 v24, v26
	v_ashrrev_i32_e32 v23, 31, v23
	s_wait_alu 0xf1ff
	v_xor_b32_e32 v27, s15, v27
	v_cmp_gt_i32_e64 s15, 0, v26
	v_and_b32_e32 v21, v21, v25
	v_ashrrev_i32_e32 v24, 31, v24
	s_wait_alu 0xfffd
	v_xor_b32_e32 v23, vcc_lo, v23
	v_mad_u32_u24 v25, v22, 36, v92
	v_mul_u32_u24_e32 v22, 36, v22
	v_and_b32_e32 v21, v21, v27
	s_wait_alu 0xf1ff
	v_xor_b32_e32 v24, s15, v24
	ds_load_b32 v125, v25 offset:1056
	v_add_nc_u32_e32 v128, v92, v22
	v_and_b32_e32 v21, v21, v23
	; wave barrier
	s_delay_alu instid0(VALU_DEP_1) | instskip(NEXT) | instid1(VALU_DEP_1)
	v_and_b32_e32 v21, v21, v24
	v_mbcnt_lo_u32_b32 v126, v21, 0
	v_cmp_ne_u32_e64 s15, 0, v21
	s_delay_alu instid0(VALU_DEP_2)
	v_cmp_eq_u32_e32 vcc_lo, 0, v126
	s_and_b32 s16, s15, vcc_lo
	s_wait_alu 0xfffe
	s_and_saveexec_b32 s15, s16
	s_cbranch_execz .LBB1952_428
; %bb.427:                              ;   in Loop: Header=BB1952_394 Depth=2
	s_wait_dscnt 0x0
	v_bcnt_u32_b32 v21, v21, v125
	ds_store_b32 v128, v21 offset:1056
.LBB1952_428:                           ;   in Loop: Header=BB1952_394 Depth=2
	s_wait_alu 0xfffe
	s_or_b32 exec_lo, exec_lo, s15
	v_cmp_gt_i16_e32 vcc_lo, 0, v20
	; wave barrier
	s_wait_alu 0xfffd
	v_cndmask_b32_e64 v21, 0x7fff, 0, vcc_lo
	s_delay_alu instid0(VALU_DEP_1) | instskip(NEXT) | instid1(VALU_DEP_1)
	v_xor_b32_e32 v127, v21, v20
	v_cmp_ne_u16_e32 vcc_lo, 0x8000, v127
	s_wait_alu 0xfffd
	v_cndmask_b32_e32 v20, 0x7fff, v127, vcc_lo
	s_delay_alu instid0(VALU_DEP_1) | instskip(NEXT) | instid1(VALU_DEP_1)
	v_and_b32_e32 v20, 0xffff, v20
	v_lshrrev_b32_e32 v20, s45, v20
	s_delay_alu instid0(VALU_DEP_1) | instskip(NEXT) | instid1(VALU_DEP_1)
	v_and_b32_e32 v21, s42, v20
	v_and_b32_e32 v20, 1, v21
	v_lshlrev_b32_e32 v22, 30, v21
	v_lshlrev_b32_e32 v23, 29, v21
	;; [unrolled: 1-line block ×4, first 2 shown]
	v_add_co_u32 v20, s15, v20, -1
	s_wait_alu 0xf1ff
	v_cndmask_b32_e64 v25, 0, 1, s15
	v_not_b32_e32 v130, v22
	v_cmp_gt_i32_e64 s15, 0, v22
	v_not_b32_e32 v22, v23
	v_lshlrev_b32_e32 v27, 26, v21
	v_cmp_ne_u32_e32 vcc_lo, 0, v25
	v_ashrrev_i32_e32 v130, 31, v130
	v_lshlrev_b32_e32 v129, 25, v21
	v_ashrrev_i32_e32 v22, 31, v22
	v_lshlrev_b32_e32 v25, 24, v21
	s_wait_alu 0xfffd
	v_xor_b32_e32 v20, vcc_lo, v20
	v_cmp_gt_i32_e32 vcc_lo, 0, v23
	v_not_b32_e32 v23, v24
	s_wait_alu 0xf1ff
	v_xor_b32_e32 v130, s15, v130
	v_cmp_gt_i32_e64 s15, 0, v24
	v_and_b32_e32 v20, exec_lo, v20
	v_not_b32_e32 v24, v26
	v_ashrrev_i32_e32 v23, 31, v23
	s_wait_alu 0xfffd
	v_xor_b32_e32 v22, vcc_lo, v22
	v_cmp_gt_i32_e32 vcc_lo, 0, v26
	v_and_b32_e32 v20, v20, v130
	v_not_b32_e32 v26, v27
	v_ashrrev_i32_e32 v24, 31, v24
	s_wait_alu 0xf1ff
	v_xor_b32_e32 v23, s15, v23
	v_cmp_gt_i32_e64 s15, 0, v27
	v_and_b32_e32 v20, v20, v22
	v_not_b32_e32 v22, v129
	v_ashrrev_i32_e32 v26, 31, v26
	s_wait_alu 0xfffd
	v_xor_b32_e32 v24, vcc_lo, v24
	v_cmp_gt_i32_e32 vcc_lo, 0, v129
	v_and_b32_e32 v20, v20, v23
	v_not_b32_e32 v23, v25
	v_ashrrev_i32_e32 v22, 31, v22
	s_wait_alu 0xf1ff
	v_xor_b32_e32 v26, s15, v26
	v_cmp_gt_i32_e64 s15, 0, v25
	v_and_b32_e32 v20, v20, v24
	v_ashrrev_i32_e32 v23, 31, v23
	s_wait_alu 0xfffd
	v_xor_b32_e32 v22, vcc_lo, v22
	v_mad_u32_u24 v24, v21, 36, v92
	v_mul_u32_u24_e32 v21, 36, v21
	v_and_b32_e32 v20, v20, v26
	s_wait_alu 0xf1ff
	v_xor_b32_e32 v23, s15, v23
	ds_load_b32 v129, v24 offset:1056
	v_add_nc_u32_e32 v131, v92, v21
	v_and_b32_e32 v20, v20, v22
	; wave barrier
	s_delay_alu instid0(VALU_DEP_1) | instskip(NEXT) | instid1(VALU_DEP_1)
	v_and_b32_e32 v20, v20, v23
	v_mbcnt_lo_u32_b32 v130, v20, 0
	v_cmp_ne_u32_e64 s15, 0, v20
	s_delay_alu instid0(VALU_DEP_2)
	v_cmp_eq_u32_e32 vcc_lo, 0, v130
	s_and_b32 s16, s15, vcc_lo
	s_wait_alu 0xfffe
	s_and_saveexec_b32 s15, s16
	s_cbranch_execz .LBB1952_430
; %bb.429:                              ;   in Loop: Header=BB1952_394 Depth=2
	s_wait_dscnt 0x0
	v_bcnt_u32_b32 v20, v20, v129
	ds_store_b32 v131, v20 offset:1056
.LBB1952_430:                           ;   in Loop: Header=BB1952_394 Depth=2
	s_wait_alu 0xfffe
	s_or_b32 exec_lo, exec_lo, s15
	; wave barrier
	s_wait_loadcnt_dscnt 0x0
	s_barrier_signal -1
	s_barrier_wait -1
	global_inv scope:SCOPE_SE
	ds_load_2addr_b32 v[26:27], v78 offset1:1
	ds_load_2addr_b32 v[24:25], v79 offset1:1
	;; [unrolled: 1-line block ×4, first 2 shown]
	ds_load_b32 v132, v43 offset:1088
	s_wait_dscnt 0x3
	v_add3_u32 v133, v27, v26, v24
	s_wait_dscnt 0x2
	s_delay_alu instid0(VALU_DEP_1) | instskip(SKIP_1) | instid1(VALU_DEP_1)
	v_add3_u32 v133, v133, v25, v22
	s_wait_dscnt 0x1
	v_add3_u32 v133, v133, v23, v20
	s_wait_dscnt 0x0
	s_delay_alu instid0(VALU_DEP_1) | instskip(NEXT) | instid1(VALU_DEP_1)
	v_add3_u32 v132, v133, v21, v132
	v_mov_b32_dpp v133, v132 row_shr:1 row_mask:0xf bank_mask:0xf
	s_delay_alu instid0(VALU_DEP_1) | instskip(NEXT) | instid1(VALU_DEP_1)
	v_cndmask_b32_e64 v133, v133, 0, s0
	v_add_nc_u32_e32 v132, v133, v132
	s_delay_alu instid0(VALU_DEP_1) | instskip(NEXT) | instid1(VALU_DEP_1)
	v_mov_b32_dpp v133, v132 row_shr:2 row_mask:0xf bank_mask:0xf
	v_cndmask_b32_e64 v133, 0, v133, s1
	s_delay_alu instid0(VALU_DEP_1) | instskip(NEXT) | instid1(VALU_DEP_1)
	v_add_nc_u32_e32 v132, v132, v133
	v_mov_b32_dpp v133, v132 row_shr:4 row_mask:0xf bank_mask:0xf
	s_delay_alu instid0(VALU_DEP_1) | instskip(NEXT) | instid1(VALU_DEP_1)
	v_cndmask_b32_e64 v133, 0, v133, s9
	v_add_nc_u32_e32 v132, v132, v133
	s_delay_alu instid0(VALU_DEP_1) | instskip(NEXT) | instid1(VALU_DEP_1)
	v_mov_b32_dpp v133, v132 row_shr:8 row_mask:0xf bank_mask:0xf
	v_cndmask_b32_e64 v133, 0, v133, s10
	s_delay_alu instid0(VALU_DEP_1) | instskip(SKIP_3) | instid1(VALU_DEP_1)
	v_add_nc_u32_e32 v132, v132, v133
	ds_swizzle_b32 v133, v132 offset:swizzle(BROADCAST,32,15)
	s_wait_dscnt 0x0
	v_cndmask_b32_e64 v133, v133, 0, s11
	v_add_nc_u32_e32 v132, v132, v133
	s_and_saveexec_b32 s15, s3
; %bb.431:                              ;   in Loop: Header=BB1952_394 Depth=2
	ds_store_b32 v38, v132 offset:1024
; %bb.432:                              ;   in Loop: Header=BB1952_394 Depth=2
	s_wait_alu 0xfffe
	s_or_b32 exec_lo, exec_lo, s15
	s_wait_loadcnt_dscnt 0x0
	s_barrier_signal -1
	s_barrier_wait -1
	global_inv scope:SCOPE_SE
	s_and_saveexec_b32 s15, s4
	s_cbranch_execz .LBB1952_434
; %bb.433:                              ;   in Loop: Header=BB1952_394 Depth=2
	ds_load_b32 v133, v46 offset:1024
	s_wait_dscnt 0x0
	v_mov_b32_dpp v134, v133 row_shr:1 row_mask:0xf bank_mask:0xf
	s_delay_alu instid0(VALU_DEP_1) | instskip(NEXT) | instid1(VALU_DEP_1)
	v_cndmask_b32_e64 v134, v134, 0, s12
	v_add_nc_u32_e32 v133, v134, v133
	s_delay_alu instid0(VALU_DEP_1) | instskip(NEXT) | instid1(VALU_DEP_1)
	v_mov_b32_dpp v134, v133 row_shr:2 row_mask:0xf bank_mask:0xf
	v_cndmask_b32_e64 v134, 0, v134, s13
	s_delay_alu instid0(VALU_DEP_1) | instskip(NEXT) | instid1(VALU_DEP_1)
	v_add_nc_u32_e32 v133, v133, v134
	v_mov_b32_dpp v134, v133 row_shr:4 row_mask:0xf bank_mask:0xf
	s_delay_alu instid0(VALU_DEP_1) | instskip(NEXT) | instid1(VALU_DEP_1)
	v_cndmask_b32_e64 v134, 0, v134, s14
	v_add_nc_u32_e32 v133, v133, v134
	ds_store_b32 v46, v133 offset:1024
.LBB1952_434:                           ;   in Loop: Header=BB1952_394 Depth=2
	s_wait_alu 0xfffe
	s_or_b32 exec_lo, exec_lo, s15
	v_mov_b32_e32 v133, 0
	s_wait_loadcnt_dscnt 0x0
	s_barrier_signal -1
	s_barrier_wait -1
	global_inv scope:SCOPE_SE
	s_and_saveexec_b32 s15, s5
; %bb.435:                              ;   in Loop: Header=BB1952_394 Depth=2
	ds_load_b32 v133, v38 offset:1020
; %bb.436:                              ;   in Loop: Header=BB1952_394 Depth=2
	s_wait_alu 0xfffe
	s_or_b32 exec_lo, exec_lo, s15
	s_wait_dscnt 0x0
	v_add_nc_u32_e32 v132, v133, v132
	ds_bpermute_b32 v132, v87, v132
	s_wait_dscnt 0x0
	v_cndmask_b32_e64 v132, v132, v133, s8
	s_delay_alu instid0(VALU_DEP_1) | instskip(NEXT) | instid1(VALU_DEP_1)
	v_cndmask_b32_e64 v132, v132, 0, s6
	v_add_nc_u32_e32 v26, v132, v26
	s_delay_alu instid0(VALU_DEP_1) | instskip(NEXT) | instid1(VALU_DEP_1)
	v_add_nc_u32_e32 v27, v26, v27
	v_add_nc_u32_e32 v24, v27, v24
	s_delay_alu instid0(VALU_DEP_1) | instskip(NEXT) | instid1(VALU_DEP_1)
	v_add_nc_u32_e32 v25, v24, v25
	;; [unrolled: 3-line block ×3, first 2 shown]
	v_add_nc_u32_e32 v20, v23, v20
	s_delay_alu instid0(VALU_DEP_1)
	v_add_nc_u32_e32 v21, v20, v21
	ds_store_2addr_b32 v81, v23, v20 offset1:1
	ds_store_2addr_b32 v78, v132, v26 offset1:1
	;; [unrolled: 1-line block ×4, first 2 shown]
	ds_store_b32 v43, v21 offset:1088
	s_wait_loadcnt_dscnt 0x0
	s_barrier_signal -1
	s_barrier_wait -1
	global_inv scope:SCOPE_SE
	ds_load_b32 v23, v104 offset:1056
	ds_load_b32 v24, v108 offset:1056
	;; [unrolled: 1-line block ×9, first 2 shown]
	v_mov_b32_e32 v22, 0x800
	s_and_saveexec_b32 s15, s7
; %bb.437:                              ;   in Loop: Header=BB1952_394 Depth=2
	ds_load_b32 v22, v43 offset:1092
; %bb.438:                              ;   in Loop: Header=BB1952_394 Depth=2
	s_wait_alu 0xfffe
	s_or_b32 exec_lo, exec_lo, s15
	s_wait_loadcnt_dscnt 0x0
	s_barrier_signal -1
	s_barrier_wait -1
	global_inv scope:SCOPE_SE
	s_and_saveexec_b32 s15, s2
	s_cbranch_execz .LBB1952_440
; %bb.439:                              ;   in Loop: Header=BB1952_394 Depth=2
	ds_load_b32 v108, v28
	s_wait_dscnt 0x0
	v_sub_nc_u32_e32 v104, v108, v104
	ds_store_b32 v28, v104
.LBB1952_440:                           ;   in Loop: Header=BB1952_394 Depth=2
	s_wait_alu 0xfffe
	s_or_b32 exec_lo, exec_lo, s15
	v_add_nc_u32_e32 v108, v23, v102
	v_add3_u32 v104, v106, v105, v24
	v_add3_u32 v102, v111, v109, v25
	;; [unrolled: 1-line block ×4, first 2 shown]
	v_lshlrev_b32_e32 v105, 1, v108
	v_lshlrev_b32_e32 v106, 1, v104
	v_add3_u32 v23, v123, v121, v112
	v_lshlrev_b32_e32 v109, 1, v102
	v_add3_u32 v27, v126, v125, v20
	v_add3_u32 v26, v130, v129, v21
	ds_store_b16 v105, v2 offset:1024
	ds_store_b16 v106, v103 offset:1024
	;; [unrolled: 1-line block ×3, first 2 shown]
	v_lshlrev_b32_e32 v2, 1, v25
	v_cmp_lt_u32_e32 vcc_lo, v1, v101
	v_lshlrev_b32_e32 v20, 1, v24
	v_lshlrev_b32_e32 v21, 1, v23
	;; [unrolled: 1-line block ×4, first 2 shown]
	ds_store_b16 v2, v110 offset:1024
	ds_store_b16 v20, v114 offset:1024
	;; [unrolled: 1-line block ×5, first 2 shown]
	s_wait_loadcnt_dscnt 0x0
	s_barrier_signal -1
	s_barrier_wait -1
	global_inv scope:SCOPE_SE
	s_and_saveexec_b32 s16, vcc_lo
	s_cbranch_execnz .LBB1952_477
; %bb.441:                              ;   in Loop: Header=BB1952_394 Depth=2
	s_wait_alu 0xfffe
	s_or_b32 exec_lo, exec_lo, s16
	v_cmp_lt_u32_e64 s15, v29, v101
	s_and_saveexec_b32 s17, s15
	s_cbranch_execnz .LBB1952_478
.LBB1952_442:                           ;   in Loop: Header=BB1952_394 Depth=2
	s_wait_alu 0xfffe
	s_or_b32 exec_lo, exec_lo, s17
	v_cmp_lt_u32_e64 s16, v30, v101
	s_and_saveexec_b32 s18, s16
	s_cbranch_execnz .LBB1952_479
.LBB1952_443:                           ;   in Loop: Header=BB1952_394 Depth=2
	s_wait_alu 0xfffe
	s_or_b32 exec_lo, exec_lo, s18
	v_cmp_lt_u32_e64 s17, v31, v101
	s_and_saveexec_b32 s19, s17
	s_cbranch_execnz .LBB1952_480
.LBB1952_444:                           ;   in Loop: Header=BB1952_394 Depth=2
	s_wait_alu 0xfffe
	s_or_b32 exec_lo, exec_lo, s19
	v_cmp_lt_u32_e64 s18, v34, v101
	s_and_saveexec_b32 s20, s18
	s_cbranch_execnz .LBB1952_481
.LBB1952_445:                           ;   in Loop: Header=BB1952_394 Depth=2
	s_wait_alu 0xfffe
	s_or_b32 exec_lo, exec_lo, s20
	v_cmp_lt_u32_e64 s19, v35, v101
	s_and_saveexec_b32 s21, s19
	s_cbranch_execnz .LBB1952_482
.LBB1952_446:                           ;   in Loop: Header=BB1952_394 Depth=2
	s_wait_alu 0xfffe
	s_or_b32 exec_lo, exec_lo, s21
	v_cmp_lt_u32_e64 s20, v36, v101
	s_and_saveexec_b32 s22, s20
	s_cbranch_execnz .LBB1952_483
.LBB1952_447:                           ;   in Loop: Header=BB1952_394 Depth=2
	s_wait_alu 0xfffe
	s_or_b32 exec_lo, exec_lo, s22
	v_cmp_lt_u32_e64 s21, v37, v101
	s_and_saveexec_b32 s48, s21
	s_cbranch_execz .LBB1952_449
.LBB1952_448:                           ;   in Loop: Header=BB1952_394 Depth=2
	ds_load_u16 v103, v47 offset:4608
	s_wait_dscnt 0x0
	v_cmp_ne_u16_e64 s22, 0x8000, v103
	s_wait_alu 0xf1ff
	s_delay_alu instid0(VALU_DEP_1) | instskip(SKIP_1) | instid1(VALU_DEP_2)
	v_cndmask_b32_e64 v2, 0x7fff, v103, s22
	v_cmp_gt_i16_e64 s22, 0, v103
	v_and_b32_e32 v2, 0xffff, v2
	s_wait_alu 0xf1ff
	s_delay_alu instid0(VALU_DEP_2) | instskip(NEXT) | instid1(VALU_DEP_2)
	v_cndmask_b32_e64 v105, 0x7fff, 0, s22
	v_lshrrev_b32_e32 v2, s45, v2
	s_delay_alu instid0(VALU_DEP_1) | instskip(NEXT) | instid1(VALU_DEP_1)
	v_and_b32_e32 v2, s42, v2
	v_lshlrev_b32_e32 v2, 2, v2
	ds_load_b32 v2, v2
	s_wait_dscnt 0x0
	v_add_nc_u32_e32 v2, v2, v37
	s_delay_alu instid0(VALU_DEP_1) | instskip(SKIP_1) | instid1(VALU_DEP_2)
	v_lshlrev_b64_e32 v[20:21], 1, v[2:3]
	v_xor_b32_e32 v2, v105, v103
	v_add_co_u32 v20, s22, s38, v20
	s_wait_alu 0xf1ff
	s_delay_alu instid0(VALU_DEP_3)
	v_add_co_ci_u32_e64 v21, null, s39, v21, s22
	global_store_b16 v[20:21], v2, off
.LBB1952_449:                           ;   in Loop: Header=BB1952_394 Depth=2
	s_wait_alu 0xfffe
	s_or_b32 exec_lo, exec_lo, s48
	s_lshl_b64 s[48:49], s[30:31], 3
	s_wait_alu 0xfffe
	v_add_co_u32 v20, s22, v88, s48
	s_wait_alu 0xf1ff
	v_add_co_ci_u32_e64 v21, null, s49, v89, s22
	v_cmp_lt_u32_e64 s22, v66, v101
	s_and_saveexec_b32 s30, s22
	s_wait_alu 0xfffe
	s_xor_b32 s22, exec_lo, s30
	s_cbranch_execnz .LBB1952_484
; %bb.450:                              ;   in Loop: Header=BB1952_394 Depth=2
	s_wait_alu 0xfffe
	s_or_b32 exec_lo, exec_lo, s22
	s_delay_alu instid0(SALU_CYCLE_1)
	s_mov_b32 s30, exec_lo
	v_cmpx_lt_u32_e64 v70, v101
	s_cbranch_execnz .LBB1952_485
.LBB1952_451:                           ;   in Loop: Header=BB1952_394 Depth=2
	s_wait_alu 0xfffe
	s_or_b32 exec_lo, exec_lo, s30
	s_delay_alu instid0(SALU_CYCLE_1)
	s_mov_b32 s30, exec_lo
	v_cmpx_lt_u32_e64 v71, v101
	s_cbranch_execnz .LBB1952_486
.LBB1952_452:                           ;   in Loop: Header=BB1952_394 Depth=2
	s_wait_alu 0xfffe
	s_or_b32 exec_lo, exec_lo, s30
	s_delay_alu instid0(SALU_CYCLE_1)
	s_mov_b32 s30, exec_lo
	v_cmpx_lt_u32_e64 v72, v101
	s_cbranch_execnz .LBB1952_487
.LBB1952_453:                           ;   in Loop: Header=BB1952_394 Depth=2
	s_wait_alu 0xfffe
	s_or_b32 exec_lo, exec_lo, s30
	s_delay_alu instid0(SALU_CYCLE_1)
	s_mov_b32 s30, exec_lo
	v_cmpx_lt_u32_e64 v73, v101
	s_cbranch_execnz .LBB1952_488
.LBB1952_454:                           ;   in Loop: Header=BB1952_394 Depth=2
	s_wait_alu 0xfffe
	s_or_b32 exec_lo, exec_lo, s30
	s_delay_alu instid0(SALU_CYCLE_1)
	s_mov_b32 s30, exec_lo
	v_cmpx_lt_u32_e64 v74, v101
	s_cbranch_execnz .LBB1952_489
.LBB1952_455:                           ;   in Loop: Header=BB1952_394 Depth=2
	s_wait_alu 0xfffe
	s_or_b32 exec_lo, exec_lo, s30
	s_delay_alu instid0(SALU_CYCLE_1)
	s_mov_b32 s30, exec_lo
	v_cmpx_lt_u32_e64 v75, v101
	s_cbranch_execnz .LBB1952_490
.LBB1952_456:                           ;   in Loop: Header=BB1952_394 Depth=2
	s_wait_alu 0xfffe
	s_or_b32 exec_lo, exec_lo, s30
	s_delay_alu instid0(SALU_CYCLE_1)
	s_mov_b32 s30, exec_lo
	v_cmpx_lt_u32_e64 v76, v101
	s_cbranch_execnz .LBB1952_491
.LBB1952_457:                           ;   in Loop: Header=BB1952_394 Depth=2
	s_wait_alu 0xfffe
	s_or_b32 exec_lo, exec_lo, s30
	s_and_saveexec_b32 s30, vcc_lo
	s_cbranch_execnz .LBB1952_492
.LBB1952_458:                           ;   in Loop: Header=BB1952_394 Depth=2
	s_wait_alu 0xfffe
	s_or_b32 exec_lo, exec_lo, s30
	s_and_saveexec_b32 s30, s15
	s_cbranch_execnz .LBB1952_493
.LBB1952_459:                           ;   in Loop: Header=BB1952_394 Depth=2
	s_wait_alu 0xfffe
	s_or_b32 exec_lo, exec_lo, s30
	s_and_saveexec_b32 s30, s16
	s_cbranch_execnz .LBB1952_494
.LBB1952_460:                           ;   in Loop: Header=BB1952_394 Depth=2
	s_wait_alu 0xfffe
	s_or_b32 exec_lo, exec_lo, s30
	s_and_saveexec_b32 s30, s17
	s_cbranch_execnz .LBB1952_495
.LBB1952_461:                           ;   in Loop: Header=BB1952_394 Depth=2
	s_wait_alu 0xfffe
	s_or_b32 exec_lo, exec_lo, s30
	s_and_saveexec_b32 s30, s18
	s_cbranch_execnz .LBB1952_496
.LBB1952_462:                           ;   in Loop: Header=BB1952_394 Depth=2
	s_wait_alu 0xfffe
	s_or_b32 exec_lo, exec_lo, s30
	s_and_saveexec_b32 s30, s19
	s_cbranch_execnz .LBB1952_497
.LBB1952_463:                           ;   in Loop: Header=BB1952_394 Depth=2
	s_wait_alu 0xfffe
	s_or_b32 exec_lo, exec_lo, s30
	s_and_saveexec_b32 s30, s20
	s_cbranch_execnz .LBB1952_498
.LBB1952_464:                           ;   in Loop: Header=BB1952_394 Depth=2
	s_wait_alu 0xfffe
	s_or_b32 exec_lo, exec_lo, s30
	s_and_saveexec_b32 s30, s21
	s_cbranch_execz .LBB1952_466
.LBB1952_465:                           ;   in Loop: Header=BB1952_394 Depth=2
	ds_load_u16 v2, v47 offset:4608
	s_wait_dscnt 0x0
	v_cmp_ne_u16_e64 s22, 0x8000, v2
	s_wait_alu 0xf1ff
	s_delay_alu instid0(VALU_DEP_1) | instskip(NEXT) | instid1(VALU_DEP_1)
	v_cndmask_b32_e64 v2, 0x7fff, v2, s22
	v_and_b32_e32 v2, 0xffff, v2
	s_delay_alu instid0(VALU_DEP_1) | instskip(NEXT) | instid1(VALU_DEP_1)
	v_lshrrev_b32_e32 v2, s45, v2
	v_and_b32_e32 v93, s42, v2
.LBB1952_466:                           ;   in Loop: Header=BB1952_394 Depth=2
	s_wait_alu 0xfffe
	s_or_b32 exec_lo, exec_lo, s30
	v_lshlrev_b32_e32 v2, 3, v108
	v_lshlrev_b32_e32 v20, 3, v104
	;; [unrolled: 1-line block ×3, first 2 shown]
	s_wait_loadcnt 0x0
	s_wait_storecnt 0x0
	s_barrier_signal -1
	s_barrier_wait -1
	global_inv scope:SCOPE_SE
	ds_store_b64 v2, v[18:19] offset:1024
	ds_store_b64 v20, v[16:17] offset:1024
	;; [unrolled: 1-line block ×3, first 2 shown]
	v_lshlrev_b32_e32 v2, 3, v25
	v_lshlrev_b32_e32 v20, 3, v24
	;; [unrolled: 1-line block ×5, first 2 shown]
	ds_store_b64 v2, v[12:13] offset:1024
	ds_store_b64 v20, v[10:11] offset:1024
	;; [unrolled: 1-line block ×5, first 2 shown]
	s_wait_loadcnt_dscnt 0x0
	s_barrier_signal -1
	s_barrier_wait -1
	global_inv scope:SCOPE_SE
	s_and_saveexec_b32 s22, vcc_lo
	s_cbranch_execnz .LBB1952_499
; %bb.467:                              ;   in Loop: Header=BB1952_394 Depth=2
	s_wait_alu 0xfffe
	s_or_b32 exec_lo, exec_lo, s22
	s_and_saveexec_b32 s22, s15
	s_cbranch_execnz .LBB1952_500
.LBB1952_468:                           ;   in Loop: Header=BB1952_394 Depth=2
	s_wait_alu 0xfffe
	s_or_b32 exec_lo, exec_lo, s22
	s_and_saveexec_b32 s15, s16
	s_cbranch_execnz .LBB1952_501
.LBB1952_469:                           ;   in Loop: Header=BB1952_394 Depth=2
	s_wait_alu 0xfffe
	s_or_b32 exec_lo, exec_lo, s15
	s_and_saveexec_b32 s15, s17
	s_cbranch_execnz .LBB1952_502
.LBB1952_470:                           ;   in Loop: Header=BB1952_394 Depth=2
	s_wait_alu 0xfffe
	s_or_b32 exec_lo, exec_lo, s15
	s_and_saveexec_b32 s15, s18
	s_cbranch_execnz .LBB1952_503
.LBB1952_471:                           ;   in Loop: Header=BB1952_394 Depth=2
	s_wait_alu 0xfffe
	s_or_b32 exec_lo, exec_lo, s15
	s_and_saveexec_b32 s15, s19
	s_cbranch_execnz .LBB1952_504
.LBB1952_472:                           ;   in Loop: Header=BB1952_394 Depth=2
	s_wait_alu 0xfffe
	s_or_b32 exec_lo, exec_lo, s15
	s_and_saveexec_b32 s15, s20
	s_cbranch_execnz .LBB1952_505
.LBB1952_473:                           ;   in Loop: Header=BB1952_394 Depth=2
	s_wait_alu 0xfffe
	s_or_b32 exec_lo, exec_lo, s15
	s_and_saveexec_b32 s15, s21
	s_cbranch_execz .LBB1952_475
.LBB1952_474:                           ;   in Loop: Header=BB1952_394 Depth=2
	v_lshlrev_b32_e32 v2, 2, v93
	v_add_nc_u32_e32 v20, v47, v48
	ds_load_b32 v2, v2
	ds_load_b64 v[20:21], v20 offset:15360
	s_wait_dscnt 0x1
	v_add_nc_u32_e32 v2, v2, v37
	s_delay_alu instid0(VALU_DEP_1) | instskip(NEXT) | instid1(VALU_DEP_1)
	v_lshlrev_b64_e32 v[23:24], 3, v[2:3]
	v_add_co_u32 v23, vcc_lo, s24, v23
	s_wait_alu 0xfffd
	s_delay_alu instid0(VALU_DEP_2)
	v_add_co_ci_u32_e64 v24, null, s25, v24, vcc_lo
	s_wait_dscnt 0x0
	global_store_b64 v[23:24], v[20:21], off
.LBB1952_475:                           ;   in Loop: Header=BB1952_394 Depth=2
	s_wait_alu 0xfffe
	s_or_b32 exec_lo, exec_lo, s15
	s_wait_loadcnt 0x0
	s_wait_storecnt 0x0
	s_barrier_signal -1
	s_barrier_wait -1
	global_inv scope:SCOPE_SE
	s_and_saveexec_b32 s15, s2
	s_cbranch_execz .LBB1952_393
; %bb.476:                              ;   in Loop: Header=BB1952_394 Depth=2
	ds_load_b32 v2, v28
	s_wait_dscnt 0x0
	v_add_nc_u32_e32 v2, v2, v22
	ds_store_b32 v28, v2
	s_branch .LBB1952_393
.LBB1952_477:                           ;   in Loop: Header=BB1952_394 Depth=2
	ds_load_u16 v103, v47 offset:1024
	s_wait_dscnt 0x0
	v_cmp_ne_u16_e64 s15, 0x8000, v103
	s_wait_alu 0xf1ff
	s_delay_alu instid0(VALU_DEP_1) | instskip(SKIP_1) | instid1(VALU_DEP_2)
	v_cndmask_b32_e64 v2, 0x7fff, v103, s15
	v_cmp_gt_i16_e64 s15, 0, v103
	v_and_b32_e32 v2, 0xffff, v2
	s_wait_alu 0xf1ff
	s_delay_alu instid0(VALU_DEP_2) | instskip(NEXT) | instid1(VALU_DEP_2)
	v_cndmask_b32_e64 v105, 0x7fff, 0, s15
	v_lshrrev_b32_e32 v2, s45, v2
	s_delay_alu instid0(VALU_DEP_1) | instskip(NEXT) | instid1(VALU_DEP_1)
	v_and_b32_e32 v2, s42, v2
	v_lshlrev_b32_e32 v2, 2, v2
	ds_load_b32 v2, v2
	s_wait_dscnt 0x0
	v_add_nc_u32_e32 v2, v2, v1
	s_delay_alu instid0(VALU_DEP_1) | instskip(SKIP_1) | instid1(VALU_DEP_2)
	v_lshlrev_b64_e32 v[20:21], 1, v[2:3]
	v_xor_b32_e32 v2, v105, v103
	v_add_co_u32 v20, s15, s38, v20
	s_wait_alu 0xf1ff
	s_delay_alu instid0(VALU_DEP_3)
	v_add_co_ci_u32_e64 v21, null, s39, v21, s15
	global_store_b16 v[20:21], v2, off
	s_wait_alu 0xfffe
	s_or_b32 exec_lo, exec_lo, s16
	v_cmp_lt_u32_e64 s15, v29, v101
	s_and_saveexec_b32 s17, s15
	s_cbranch_execz .LBB1952_442
.LBB1952_478:                           ;   in Loop: Header=BB1952_394 Depth=2
	ds_load_u16 v103, v47 offset:1536
	s_wait_dscnt 0x0
	v_cmp_ne_u16_e64 s16, 0x8000, v103
	s_wait_alu 0xf1ff
	s_delay_alu instid0(VALU_DEP_1) | instskip(SKIP_1) | instid1(VALU_DEP_2)
	v_cndmask_b32_e64 v2, 0x7fff, v103, s16
	v_cmp_gt_i16_e64 s16, 0, v103
	v_and_b32_e32 v2, 0xffff, v2
	s_wait_alu 0xf1ff
	s_delay_alu instid0(VALU_DEP_2) | instskip(NEXT) | instid1(VALU_DEP_2)
	v_cndmask_b32_e64 v105, 0x7fff, 0, s16
	v_lshrrev_b32_e32 v2, s45, v2
	s_delay_alu instid0(VALU_DEP_1) | instskip(NEXT) | instid1(VALU_DEP_1)
	v_and_b32_e32 v2, s42, v2
	v_lshlrev_b32_e32 v2, 2, v2
	ds_load_b32 v2, v2
	s_wait_dscnt 0x0
	v_add_nc_u32_e32 v2, v2, v29
	s_delay_alu instid0(VALU_DEP_1) | instskip(SKIP_1) | instid1(VALU_DEP_2)
	v_lshlrev_b64_e32 v[20:21], 1, v[2:3]
	v_xor_b32_e32 v2, v105, v103
	v_add_co_u32 v20, s16, s38, v20
	s_wait_alu 0xf1ff
	s_delay_alu instid0(VALU_DEP_3)
	v_add_co_ci_u32_e64 v21, null, s39, v21, s16
	global_store_b16 v[20:21], v2, off
	s_wait_alu 0xfffe
	s_or_b32 exec_lo, exec_lo, s17
	v_cmp_lt_u32_e64 s16, v30, v101
	s_and_saveexec_b32 s18, s16
	s_cbranch_execz .LBB1952_443
.LBB1952_479:                           ;   in Loop: Header=BB1952_394 Depth=2
	ds_load_u16 v103, v47 offset:2048
	s_wait_dscnt 0x0
	v_cmp_ne_u16_e64 s17, 0x8000, v103
	s_wait_alu 0xf1ff
	s_delay_alu instid0(VALU_DEP_1) | instskip(SKIP_1) | instid1(VALU_DEP_2)
	v_cndmask_b32_e64 v2, 0x7fff, v103, s17
	v_cmp_gt_i16_e64 s17, 0, v103
	v_and_b32_e32 v2, 0xffff, v2
	s_wait_alu 0xf1ff
	s_delay_alu instid0(VALU_DEP_2) | instskip(NEXT) | instid1(VALU_DEP_2)
	v_cndmask_b32_e64 v105, 0x7fff, 0, s17
	v_lshrrev_b32_e32 v2, s45, v2
	s_delay_alu instid0(VALU_DEP_1) | instskip(NEXT) | instid1(VALU_DEP_1)
	v_and_b32_e32 v2, s42, v2
	v_lshlrev_b32_e32 v2, 2, v2
	ds_load_b32 v2, v2
	s_wait_dscnt 0x0
	v_add_nc_u32_e32 v2, v2, v30
	s_delay_alu instid0(VALU_DEP_1) | instskip(SKIP_1) | instid1(VALU_DEP_2)
	v_lshlrev_b64_e32 v[20:21], 1, v[2:3]
	v_xor_b32_e32 v2, v105, v103
	v_add_co_u32 v20, s17, s38, v20
	s_wait_alu 0xf1ff
	s_delay_alu instid0(VALU_DEP_3)
	v_add_co_ci_u32_e64 v21, null, s39, v21, s17
	global_store_b16 v[20:21], v2, off
	s_wait_alu 0xfffe
	s_or_b32 exec_lo, exec_lo, s18
	v_cmp_lt_u32_e64 s17, v31, v101
	s_and_saveexec_b32 s19, s17
	s_cbranch_execz .LBB1952_444
.LBB1952_480:                           ;   in Loop: Header=BB1952_394 Depth=2
	ds_load_u16 v103, v47 offset:2560
	s_wait_dscnt 0x0
	v_cmp_ne_u16_e64 s18, 0x8000, v103
	s_wait_alu 0xf1ff
	s_delay_alu instid0(VALU_DEP_1) | instskip(SKIP_1) | instid1(VALU_DEP_2)
	v_cndmask_b32_e64 v2, 0x7fff, v103, s18
	v_cmp_gt_i16_e64 s18, 0, v103
	v_and_b32_e32 v2, 0xffff, v2
	s_wait_alu 0xf1ff
	s_delay_alu instid0(VALU_DEP_2) | instskip(NEXT) | instid1(VALU_DEP_2)
	v_cndmask_b32_e64 v105, 0x7fff, 0, s18
	v_lshrrev_b32_e32 v2, s45, v2
	s_delay_alu instid0(VALU_DEP_1) | instskip(NEXT) | instid1(VALU_DEP_1)
	v_and_b32_e32 v2, s42, v2
	v_lshlrev_b32_e32 v2, 2, v2
	ds_load_b32 v2, v2
	s_wait_dscnt 0x0
	v_add_nc_u32_e32 v2, v2, v31
	s_delay_alu instid0(VALU_DEP_1) | instskip(SKIP_1) | instid1(VALU_DEP_2)
	v_lshlrev_b64_e32 v[20:21], 1, v[2:3]
	v_xor_b32_e32 v2, v105, v103
	v_add_co_u32 v20, s18, s38, v20
	s_wait_alu 0xf1ff
	s_delay_alu instid0(VALU_DEP_3)
	v_add_co_ci_u32_e64 v21, null, s39, v21, s18
	global_store_b16 v[20:21], v2, off
	s_wait_alu 0xfffe
	s_or_b32 exec_lo, exec_lo, s19
	v_cmp_lt_u32_e64 s18, v34, v101
	s_and_saveexec_b32 s20, s18
	s_cbranch_execz .LBB1952_445
.LBB1952_481:                           ;   in Loop: Header=BB1952_394 Depth=2
	ds_load_u16 v103, v47 offset:3072
	s_wait_dscnt 0x0
	v_cmp_ne_u16_e64 s19, 0x8000, v103
	s_wait_alu 0xf1ff
	s_delay_alu instid0(VALU_DEP_1) | instskip(SKIP_1) | instid1(VALU_DEP_2)
	v_cndmask_b32_e64 v2, 0x7fff, v103, s19
	v_cmp_gt_i16_e64 s19, 0, v103
	v_and_b32_e32 v2, 0xffff, v2
	s_wait_alu 0xf1ff
	s_delay_alu instid0(VALU_DEP_2) | instskip(NEXT) | instid1(VALU_DEP_2)
	v_cndmask_b32_e64 v105, 0x7fff, 0, s19
	v_lshrrev_b32_e32 v2, s45, v2
	s_delay_alu instid0(VALU_DEP_1) | instskip(NEXT) | instid1(VALU_DEP_1)
	v_and_b32_e32 v2, s42, v2
	v_lshlrev_b32_e32 v2, 2, v2
	ds_load_b32 v2, v2
	s_wait_dscnt 0x0
	v_add_nc_u32_e32 v2, v2, v34
	s_delay_alu instid0(VALU_DEP_1) | instskip(SKIP_1) | instid1(VALU_DEP_2)
	v_lshlrev_b64_e32 v[20:21], 1, v[2:3]
	v_xor_b32_e32 v2, v105, v103
	v_add_co_u32 v20, s19, s38, v20
	s_wait_alu 0xf1ff
	s_delay_alu instid0(VALU_DEP_3)
	v_add_co_ci_u32_e64 v21, null, s39, v21, s19
	global_store_b16 v[20:21], v2, off
	s_wait_alu 0xfffe
	s_or_b32 exec_lo, exec_lo, s20
	v_cmp_lt_u32_e64 s19, v35, v101
	s_and_saveexec_b32 s21, s19
	s_cbranch_execz .LBB1952_446
.LBB1952_482:                           ;   in Loop: Header=BB1952_394 Depth=2
	ds_load_u16 v103, v47 offset:3584
	s_wait_dscnt 0x0
	v_cmp_ne_u16_e64 s20, 0x8000, v103
	s_wait_alu 0xf1ff
	s_delay_alu instid0(VALU_DEP_1) | instskip(SKIP_1) | instid1(VALU_DEP_2)
	v_cndmask_b32_e64 v2, 0x7fff, v103, s20
	v_cmp_gt_i16_e64 s20, 0, v103
	v_and_b32_e32 v2, 0xffff, v2
	s_wait_alu 0xf1ff
	s_delay_alu instid0(VALU_DEP_2) | instskip(NEXT) | instid1(VALU_DEP_2)
	v_cndmask_b32_e64 v105, 0x7fff, 0, s20
	v_lshrrev_b32_e32 v2, s45, v2
	s_delay_alu instid0(VALU_DEP_1) | instskip(NEXT) | instid1(VALU_DEP_1)
	v_and_b32_e32 v2, s42, v2
	v_lshlrev_b32_e32 v2, 2, v2
	ds_load_b32 v2, v2
	s_wait_dscnt 0x0
	v_add_nc_u32_e32 v2, v2, v35
	s_delay_alu instid0(VALU_DEP_1) | instskip(SKIP_1) | instid1(VALU_DEP_2)
	v_lshlrev_b64_e32 v[20:21], 1, v[2:3]
	v_xor_b32_e32 v2, v105, v103
	v_add_co_u32 v20, s20, s38, v20
	s_wait_alu 0xf1ff
	s_delay_alu instid0(VALU_DEP_3)
	v_add_co_ci_u32_e64 v21, null, s39, v21, s20
	global_store_b16 v[20:21], v2, off
	s_wait_alu 0xfffe
	s_or_b32 exec_lo, exec_lo, s21
	v_cmp_lt_u32_e64 s20, v36, v101
	s_and_saveexec_b32 s22, s20
	s_cbranch_execz .LBB1952_447
.LBB1952_483:                           ;   in Loop: Header=BB1952_394 Depth=2
	ds_load_u16 v103, v47 offset:4096
	s_wait_dscnt 0x0
	v_cmp_ne_u16_e64 s21, 0x8000, v103
	s_wait_alu 0xf1ff
	s_delay_alu instid0(VALU_DEP_1) | instskip(SKIP_1) | instid1(VALU_DEP_2)
	v_cndmask_b32_e64 v2, 0x7fff, v103, s21
	v_cmp_gt_i16_e64 s21, 0, v103
	v_and_b32_e32 v2, 0xffff, v2
	s_wait_alu 0xf1ff
	s_delay_alu instid0(VALU_DEP_2) | instskip(NEXT) | instid1(VALU_DEP_2)
	v_cndmask_b32_e64 v105, 0x7fff, 0, s21
	v_lshrrev_b32_e32 v2, s45, v2
	s_delay_alu instid0(VALU_DEP_1) | instskip(NEXT) | instid1(VALU_DEP_1)
	v_and_b32_e32 v2, s42, v2
	v_lshlrev_b32_e32 v2, 2, v2
	ds_load_b32 v2, v2
	s_wait_dscnt 0x0
	v_add_nc_u32_e32 v2, v2, v36
	s_delay_alu instid0(VALU_DEP_1) | instskip(SKIP_1) | instid1(VALU_DEP_2)
	v_lshlrev_b64_e32 v[20:21], 1, v[2:3]
	v_xor_b32_e32 v2, v105, v103
	v_add_co_u32 v20, s21, s38, v20
	s_wait_alu 0xf1ff
	s_delay_alu instid0(VALU_DEP_3)
	v_add_co_ci_u32_e64 v21, null, s39, v21, s21
	global_store_b16 v[20:21], v2, off
	s_wait_alu 0xfffe
	s_or_b32 exec_lo, exec_lo, s22
	v_cmp_lt_u32_e64 s21, v37, v101
	s_and_saveexec_b32 s48, s21
	s_cbranch_execnz .LBB1952_448
	s_branch .LBB1952_449
.LBB1952_484:                           ;   in Loop: Header=BB1952_394 Depth=2
	global_load_b64 v[18:19], v[20:21], off
	s_wait_alu 0xfffe
	s_or_b32 exec_lo, exec_lo, s22
	s_delay_alu instid0(SALU_CYCLE_1)
	s_mov_b32 s30, exec_lo
	v_cmpx_lt_u32_e64 v70, v101
	s_cbranch_execz .LBB1952_451
.LBB1952_485:                           ;   in Loop: Header=BB1952_394 Depth=2
	global_load_b64 v[16:17], v[20:21], off offset:256
	s_wait_alu 0xfffe
	s_or_b32 exec_lo, exec_lo, s30
	s_delay_alu instid0(SALU_CYCLE_1)
	s_mov_b32 s30, exec_lo
	v_cmpx_lt_u32_e64 v71, v101
	s_cbranch_execz .LBB1952_452
.LBB1952_486:                           ;   in Loop: Header=BB1952_394 Depth=2
	global_load_b64 v[14:15], v[20:21], off offset:512
	s_wait_alu 0xfffe
	s_or_b32 exec_lo, exec_lo, s30
	s_delay_alu instid0(SALU_CYCLE_1)
	s_mov_b32 s30, exec_lo
	v_cmpx_lt_u32_e64 v72, v101
	s_cbranch_execz .LBB1952_453
.LBB1952_487:                           ;   in Loop: Header=BB1952_394 Depth=2
	global_load_b64 v[12:13], v[20:21], off offset:768
	s_wait_alu 0xfffe
	s_or_b32 exec_lo, exec_lo, s30
	s_delay_alu instid0(SALU_CYCLE_1)
	s_mov_b32 s30, exec_lo
	v_cmpx_lt_u32_e64 v73, v101
	s_cbranch_execz .LBB1952_454
.LBB1952_488:                           ;   in Loop: Header=BB1952_394 Depth=2
	global_load_b64 v[10:11], v[20:21], off offset:1024
	s_wait_alu 0xfffe
	s_or_b32 exec_lo, exec_lo, s30
	s_delay_alu instid0(SALU_CYCLE_1)
	s_mov_b32 s30, exec_lo
	v_cmpx_lt_u32_e64 v74, v101
	s_cbranch_execz .LBB1952_455
.LBB1952_489:                           ;   in Loop: Header=BB1952_394 Depth=2
	global_load_b64 v[8:9], v[20:21], off offset:1280
	s_wait_alu 0xfffe
	s_or_b32 exec_lo, exec_lo, s30
	s_delay_alu instid0(SALU_CYCLE_1)
	s_mov_b32 s30, exec_lo
	v_cmpx_lt_u32_e64 v75, v101
	s_cbranch_execz .LBB1952_456
.LBB1952_490:                           ;   in Loop: Header=BB1952_394 Depth=2
	global_load_b64 v[6:7], v[20:21], off offset:1536
	s_wait_alu 0xfffe
	s_or_b32 exec_lo, exec_lo, s30
	s_delay_alu instid0(SALU_CYCLE_1)
	s_mov_b32 s30, exec_lo
	v_cmpx_lt_u32_e64 v76, v101
	s_cbranch_execz .LBB1952_457
.LBB1952_491:                           ;   in Loop: Header=BB1952_394 Depth=2
	global_load_b64 v[4:5], v[20:21], off offset:1792
	s_wait_alu 0xfffe
	s_or_b32 exec_lo, exec_lo, s30
	s_and_saveexec_b32 s30, vcc_lo
	s_cbranch_execz .LBB1952_458
.LBB1952_492:                           ;   in Loop: Header=BB1952_394 Depth=2
	ds_load_u16 v2, v47 offset:1024
	s_wait_dscnt 0x0
	v_cmp_ne_u16_e64 s22, 0x8000, v2
	s_wait_alu 0xf1ff
	s_delay_alu instid0(VALU_DEP_1) | instskip(NEXT) | instid1(VALU_DEP_1)
	v_cndmask_b32_e64 v2, 0x7fff, v2, s22
	v_and_b32_e32 v2, 0xffff, v2
	s_delay_alu instid0(VALU_DEP_1) | instskip(NEXT) | instid1(VALU_DEP_1)
	v_lshrrev_b32_e32 v2, s45, v2
	v_and_b32_e32 v100, s42, v2
	s_wait_alu 0xfffe
	s_or_b32 exec_lo, exec_lo, s30
	s_and_saveexec_b32 s30, s15
	s_cbranch_execz .LBB1952_459
.LBB1952_493:                           ;   in Loop: Header=BB1952_394 Depth=2
	ds_load_u16 v2, v47 offset:1536
	s_wait_dscnt 0x0
	v_cmp_ne_u16_e64 s22, 0x8000, v2
	s_wait_alu 0xf1ff
	s_delay_alu instid0(VALU_DEP_1) | instskip(NEXT) | instid1(VALU_DEP_1)
	v_cndmask_b32_e64 v2, 0x7fff, v2, s22
	v_and_b32_e32 v2, 0xffff, v2
	s_delay_alu instid0(VALU_DEP_1) | instskip(NEXT) | instid1(VALU_DEP_1)
	v_lshrrev_b32_e32 v2, s45, v2
	v_and_b32_e32 v99, s42, v2
	s_wait_alu 0xfffe
	s_or_b32 exec_lo, exec_lo, s30
	s_and_saveexec_b32 s30, s16
	s_cbranch_execz .LBB1952_460
.LBB1952_494:                           ;   in Loop: Header=BB1952_394 Depth=2
	ds_load_u16 v2, v47 offset:2048
	s_wait_dscnt 0x0
	v_cmp_ne_u16_e64 s22, 0x8000, v2
	s_wait_alu 0xf1ff
	s_delay_alu instid0(VALU_DEP_1) | instskip(NEXT) | instid1(VALU_DEP_1)
	v_cndmask_b32_e64 v2, 0x7fff, v2, s22
	v_and_b32_e32 v2, 0xffff, v2
	s_delay_alu instid0(VALU_DEP_1) | instskip(NEXT) | instid1(VALU_DEP_1)
	v_lshrrev_b32_e32 v2, s45, v2
	v_and_b32_e32 v98, s42, v2
	s_wait_alu 0xfffe
	s_or_b32 exec_lo, exec_lo, s30
	s_and_saveexec_b32 s30, s17
	s_cbranch_execz .LBB1952_461
.LBB1952_495:                           ;   in Loop: Header=BB1952_394 Depth=2
	ds_load_u16 v2, v47 offset:2560
	s_wait_dscnt 0x0
	v_cmp_ne_u16_e64 s22, 0x8000, v2
	s_wait_alu 0xf1ff
	s_delay_alu instid0(VALU_DEP_1) | instskip(NEXT) | instid1(VALU_DEP_1)
	v_cndmask_b32_e64 v2, 0x7fff, v2, s22
	v_and_b32_e32 v2, 0xffff, v2
	s_delay_alu instid0(VALU_DEP_1) | instskip(NEXT) | instid1(VALU_DEP_1)
	v_lshrrev_b32_e32 v2, s45, v2
	v_and_b32_e32 v97, s42, v2
	s_wait_alu 0xfffe
	s_or_b32 exec_lo, exec_lo, s30
	s_and_saveexec_b32 s30, s18
	s_cbranch_execz .LBB1952_462
.LBB1952_496:                           ;   in Loop: Header=BB1952_394 Depth=2
	ds_load_u16 v2, v47 offset:3072
	s_wait_dscnt 0x0
	v_cmp_ne_u16_e64 s22, 0x8000, v2
	s_wait_alu 0xf1ff
	s_delay_alu instid0(VALU_DEP_1) | instskip(NEXT) | instid1(VALU_DEP_1)
	v_cndmask_b32_e64 v2, 0x7fff, v2, s22
	v_and_b32_e32 v2, 0xffff, v2
	s_delay_alu instid0(VALU_DEP_1) | instskip(NEXT) | instid1(VALU_DEP_1)
	v_lshrrev_b32_e32 v2, s45, v2
	v_and_b32_e32 v96, s42, v2
	s_wait_alu 0xfffe
	s_or_b32 exec_lo, exec_lo, s30
	s_and_saveexec_b32 s30, s19
	s_cbranch_execz .LBB1952_463
.LBB1952_497:                           ;   in Loop: Header=BB1952_394 Depth=2
	ds_load_u16 v2, v47 offset:3584
	s_wait_dscnt 0x0
	v_cmp_ne_u16_e64 s22, 0x8000, v2
	s_wait_alu 0xf1ff
	s_delay_alu instid0(VALU_DEP_1) | instskip(NEXT) | instid1(VALU_DEP_1)
	v_cndmask_b32_e64 v2, 0x7fff, v2, s22
	v_and_b32_e32 v2, 0xffff, v2
	s_delay_alu instid0(VALU_DEP_1) | instskip(NEXT) | instid1(VALU_DEP_1)
	v_lshrrev_b32_e32 v2, s45, v2
	v_and_b32_e32 v95, s42, v2
	s_wait_alu 0xfffe
	s_or_b32 exec_lo, exec_lo, s30
	s_and_saveexec_b32 s30, s20
	s_cbranch_execz .LBB1952_464
.LBB1952_498:                           ;   in Loop: Header=BB1952_394 Depth=2
	ds_load_u16 v2, v47 offset:4096
	s_wait_dscnt 0x0
	v_cmp_ne_u16_e64 s22, 0x8000, v2
	s_wait_alu 0xf1ff
	s_delay_alu instid0(VALU_DEP_1) | instskip(NEXT) | instid1(VALU_DEP_1)
	v_cndmask_b32_e64 v2, 0x7fff, v2, s22
	v_and_b32_e32 v2, 0xffff, v2
	s_delay_alu instid0(VALU_DEP_1) | instskip(NEXT) | instid1(VALU_DEP_1)
	v_lshrrev_b32_e32 v2, s45, v2
	v_and_b32_e32 v94, s42, v2
	s_wait_alu 0xfffe
	s_or_b32 exec_lo, exec_lo, s30
	s_and_saveexec_b32 s30, s21
	s_cbranch_execnz .LBB1952_465
	s_branch .LBB1952_466
.LBB1952_499:                           ;   in Loop: Header=BB1952_394 Depth=2
	v_lshlrev_b32_e32 v2, 2, v100
	v_add_nc_u32_e32 v20, v47, v48
	ds_load_b32 v2, v2
	ds_load_b64 v[20:21], v20 offset:1024
	s_wait_dscnt 0x1
	v_add_nc_u32_e32 v2, v2, v1
	s_delay_alu instid0(VALU_DEP_1) | instskip(NEXT) | instid1(VALU_DEP_1)
	v_lshlrev_b64_e32 v[23:24], 3, v[2:3]
	v_add_co_u32 v23, vcc_lo, s24, v23
	s_wait_alu 0xfffd
	s_delay_alu instid0(VALU_DEP_2)
	v_add_co_ci_u32_e64 v24, null, s25, v24, vcc_lo
	s_wait_dscnt 0x0
	global_store_b64 v[23:24], v[20:21], off
	s_wait_alu 0xfffe
	s_or_b32 exec_lo, exec_lo, s22
	s_and_saveexec_b32 s22, s15
	s_cbranch_execz .LBB1952_468
.LBB1952_500:                           ;   in Loop: Header=BB1952_394 Depth=2
	v_lshlrev_b32_e32 v2, 2, v99
	v_add_nc_u32_e32 v20, v47, v48
	ds_load_b32 v2, v2
	ds_load_b64 v[20:21], v20 offset:3072
	s_wait_dscnt 0x1
	v_add_nc_u32_e32 v2, v2, v29
	s_delay_alu instid0(VALU_DEP_1) | instskip(NEXT) | instid1(VALU_DEP_1)
	v_lshlrev_b64_e32 v[23:24], 3, v[2:3]
	v_add_co_u32 v23, vcc_lo, s24, v23
	s_wait_alu 0xfffd
	s_delay_alu instid0(VALU_DEP_2)
	v_add_co_ci_u32_e64 v24, null, s25, v24, vcc_lo
	s_wait_dscnt 0x0
	global_store_b64 v[23:24], v[20:21], off
	s_wait_alu 0xfffe
	s_or_b32 exec_lo, exec_lo, s22
	s_and_saveexec_b32 s15, s16
	s_cbranch_execz .LBB1952_469
.LBB1952_501:                           ;   in Loop: Header=BB1952_394 Depth=2
	v_lshlrev_b32_e32 v2, 2, v98
	v_add_nc_u32_e32 v20, v47, v48
	ds_load_b32 v2, v2
	ds_load_b64 v[20:21], v20 offset:5120
	s_wait_dscnt 0x1
	v_add_nc_u32_e32 v2, v2, v30
	s_delay_alu instid0(VALU_DEP_1) | instskip(NEXT) | instid1(VALU_DEP_1)
	v_lshlrev_b64_e32 v[23:24], 3, v[2:3]
	v_add_co_u32 v23, vcc_lo, s24, v23
	s_wait_alu 0xfffd
	s_delay_alu instid0(VALU_DEP_2)
	v_add_co_ci_u32_e64 v24, null, s25, v24, vcc_lo
	s_wait_dscnt 0x0
	global_store_b64 v[23:24], v[20:21], off
	s_wait_alu 0xfffe
	s_or_b32 exec_lo, exec_lo, s15
	s_and_saveexec_b32 s15, s17
	s_cbranch_execz .LBB1952_470
.LBB1952_502:                           ;   in Loop: Header=BB1952_394 Depth=2
	v_lshlrev_b32_e32 v2, 2, v97
	v_add_nc_u32_e32 v20, v47, v48
	ds_load_b32 v2, v2
	ds_load_b64 v[20:21], v20 offset:7168
	s_wait_dscnt 0x1
	v_add_nc_u32_e32 v2, v2, v31
	s_delay_alu instid0(VALU_DEP_1) | instskip(NEXT) | instid1(VALU_DEP_1)
	v_lshlrev_b64_e32 v[23:24], 3, v[2:3]
	v_add_co_u32 v23, vcc_lo, s24, v23
	s_wait_alu 0xfffd
	s_delay_alu instid0(VALU_DEP_2)
	v_add_co_ci_u32_e64 v24, null, s25, v24, vcc_lo
	s_wait_dscnt 0x0
	global_store_b64 v[23:24], v[20:21], off
	s_wait_alu 0xfffe
	s_or_b32 exec_lo, exec_lo, s15
	s_and_saveexec_b32 s15, s18
	s_cbranch_execz .LBB1952_471
.LBB1952_503:                           ;   in Loop: Header=BB1952_394 Depth=2
	v_lshlrev_b32_e32 v2, 2, v96
	v_add_nc_u32_e32 v20, v47, v48
	ds_load_b32 v2, v2
	ds_load_b64 v[20:21], v20 offset:9216
	s_wait_dscnt 0x1
	v_add_nc_u32_e32 v2, v2, v34
	s_delay_alu instid0(VALU_DEP_1) | instskip(NEXT) | instid1(VALU_DEP_1)
	v_lshlrev_b64_e32 v[23:24], 3, v[2:3]
	v_add_co_u32 v23, vcc_lo, s24, v23
	s_wait_alu 0xfffd
	s_delay_alu instid0(VALU_DEP_2)
	v_add_co_ci_u32_e64 v24, null, s25, v24, vcc_lo
	s_wait_dscnt 0x0
	global_store_b64 v[23:24], v[20:21], off
	s_wait_alu 0xfffe
	s_or_b32 exec_lo, exec_lo, s15
	s_and_saveexec_b32 s15, s19
	s_cbranch_execz .LBB1952_472
.LBB1952_504:                           ;   in Loop: Header=BB1952_394 Depth=2
	v_lshlrev_b32_e32 v2, 2, v95
	v_add_nc_u32_e32 v20, v47, v48
	ds_load_b32 v2, v2
	ds_load_b64 v[20:21], v20 offset:11264
	s_wait_dscnt 0x1
	v_add_nc_u32_e32 v2, v2, v35
	s_delay_alu instid0(VALU_DEP_1) | instskip(NEXT) | instid1(VALU_DEP_1)
	v_lshlrev_b64_e32 v[23:24], 3, v[2:3]
	v_add_co_u32 v23, vcc_lo, s24, v23
	s_wait_alu 0xfffd
	s_delay_alu instid0(VALU_DEP_2)
	v_add_co_ci_u32_e64 v24, null, s25, v24, vcc_lo
	s_wait_dscnt 0x0
	global_store_b64 v[23:24], v[20:21], off
	s_wait_alu 0xfffe
	s_or_b32 exec_lo, exec_lo, s15
	s_and_saveexec_b32 s15, s20
	s_cbranch_execz .LBB1952_473
.LBB1952_505:                           ;   in Loop: Header=BB1952_394 Depth=2
	v_lshlrev_b32_e32 v2, 2, v94
	v_add_nc_u32_e32 v20, v47, v48
	ds_load_b32 v2, v2
	ds_load_b64 v[20:21], v20 offset:13312
	s_wait_dscnt 0x1
	v_add_nc_u32_e32 v2, v2, v36
	s_delay_alu instid0(VALU_DEP_1) | instskip(NEXT) | instid1(VALU_DEP_1)
	v_lshlrev_b64_e32 v[23:24], 3, v[2:3]
	v_add_co_u32 v23, vcc_lo, s24, v23
	s_wait_alu 0xfffd
	s_delay_alu instid0(VALU_DEP_2)
	v_add_co_ci_u32_e64 v24, null, s25, v24, vcc_lo
	s_wait_dscnt 0x0
	global_store_b64 v[23:24], v[20:21], off
	s_wait_alu 0xfffe
	s_or_b32 exec_lo, exec_lo, s15
	s_and_saveexec_b32 s15, s21
	s_cbranch_execnz .LBB1952_474
	s_branch .LBB1952_475
.LBB1952_506:                           ;   in Loop: Header=BB1952_12 Depth=1
	s_wait_loadcnt_dscnt 0x0
	s_barrier_signal -1
	s_mov_b32 s0, 0
	s_barrier_wait -1
.LBB1952_507:                           ;   in Loop: Header=BB1952_12 Depth=1
	s_wait_alu 0xfffe
	s_and_b32 vcc_lo, exec_lo, s0
	s_wait_alu 0xfffe
	s_cbranch_vccz .LBB1952_11
; %bb.508:                              ;   in Loop: Header=BB1952_12 Depth=1
	s_mov_b32 s9, s47
	s_mov_b32 s30, s33
	s_barrier_signal -1
	s_barrier_wait -1
	global_inv scope:SCOPE_SE
                                        ; implicit-def: $vgpr2
                                        ; implicit-def: $vgpr4
                                        ; implicit-def: $vgpr5
                                        ; implicit-def: $vgpr6
                                        ; implicit-def: $vgpr7
                                        ; implicit-def: $vgpr8
                                        ; implicit-def: $vgpr9
                                        ; implicit-def: $vgpr10
	s_branch .LBB1952_510
.LBB1952_509:                           ;   in Loop: Header=BB1952_510 Depth=2
	s_wait_alu 0xfffe
	s_or_b32 exec_lo, exec_lo, s0
	s_addk_co_i32 s9, 0xf800
	s_cmp_ge_u32 s10, s34
	s_mov_b32 s30, s10
	s_cbranch_scc1 .LBB1952_546
.LBB1952_510:                           ;   Parent Loop BB1952_12 Depth=1
                                        ; =>  This Inner Loop Header: Depth=2
	s_wait_alu 0xfffe
	s_add_co_i32 s10, s30, 0x800
	s_mov_b32 s0, -1
	s_wait_alu 0xfffe
	s_cmp_gt_u32 s10, s34
                                        ; implicit-def: $vgpr11
                                        ; implicit-def: $vgpr12
                                        ; implicit-def: $vgpr13
                                        ; implicit-def: $vgpr14
                                        ; implicit-def: $vgpr15
                                        ; implicit-def: $vgpr16
                                        ; implicit-def: $vgpr17
                                        ; implicit-def: $vgpr18
	s_cbranch_scc1 .LBB1952_512
; %bb.511:                              ;   in Loop: Header=BB1952_510 Depth=2
	s_lshl_b64 s[0:1], s[30:31], 1
	s_wait_alu 0xfffe
	v_add_co_u32 v18, vcc_lo, v55, s0
	s_wait_alu 0xfffd
	v_add_co_ci_u32_e64 v19, null, s1, v56, vcc_lo
	s_mov_b32 s0, 0
	s_clause 0x7
	global_load_u16 v11, v[18:19], off
	global_load_u16 v12, v[18:19], off offset:512
	global_load_u16 v13, v[18:19], off offset:1024
	;; [unrolled: 1-line block ×7, first 2 shown]
.LBB1952_512:                           ;   in Loop: Header=BB1952_510 Depth=2
	s_wait_alu 0xfffe
	s_and_not1_b32 vcc_lo, exec_lo, s0
	s_movk_i32 s0, 0x800
	s_wait_alu 0xfffe
	s_cbranch_vccnz .LBB1952_523
; %bb.513:                              ;   in Loop: Header=BB1952_510 Depth=2
	s_lshl_b64 s[0:1], s[30:31], 1
	s_mov_b32 s11, exec_lo
	s_wait_alu 0xfffe
	s_add_nc_u64 s[0:1], s[36:37], s[0:1]
	v_cmpx_gt_u32_e64 s9, v1
	s_cbranch_execnz .LBB1952_539
; %bb.514:                              ;   in Loop: Header=BB1952_510 Depth=2
	s_or_b32 exec_lo, exec_lo, s11
	s_delay_alu instid0(SALU_CYCLE_1)
	s_mov_b32 s11, exec_lo
	v_cmpx_gt_u32_e64 s9, v29
	s_cbranch_execnz .LBB1952_540
.LBB1952_515:                           ;   in Loop: Header=BB1952_510 Depth=2
	s_wait_alu 0xfffe
	s_or_b32 exec_lo, exec_lo, s11
	s_delay_alu instid0(SALU_CYCLE_1)
	s_mov_b32 s11, exec_lo
	v_cmpx_gt_u32_e64 s9, v30
	s_cbranch_execnz .LBB1952_541
.LBB1952_516:                           ;   in Loop: Header=BB1952_510 Depth=2
	s_wait_alu 0xfffe
	s_or_b32 exec_lo, exec_lo, s11
	s_delay_alu instid0(SALU_CYCLE_1)
	s_mov_b32 s11, exec_lo
	v_cmpx_gt_u32_e64 s9, v31
	s_cbranch_execnz .LBB1952_542
.LBB1952_517:                           ;   in Loop: Header=BB1952_510 Depth=2
	s_wait_alu 0xfffe
	s_or_b32 exec_lo, exec_lo, s11
	s_delay_alu instid0(SALU_CYCLE_1)
	s_mov_b32 s11, exec_lo
	v_cmpx_gt_u32_e64 s9, v34
	s_cbranch_execnz .LBB1952_543
.LBB1952_518:                           ;   in Loop: Header=BB1952_510 Depth=2
	s_wait_alu 0xfffe
	s_or_b32 exec_lo, exec_lo, s11
	s_delay_alu instid0(SALU_CYCLE_1)
	s_mov_b32 s11, exec_lo
	v_cmpx_gt_u32_e64 s9, v35
	s_cbranch_execnz .LBB1952_544
.LBB1952_519:                           ;   in Loop: Header=BB1952_510 Depth=2
	s_wait_alu 0xfffe
	s_or_b32 exec_lo, exec_lo, s11
	s_delay_alu instid0(SALU_CYCLE_1)
	s_mov_b32 s11, exec_lo
	v_cmpx_gt_u32_e64 s9, v36
	s_cbranch_execnz .LBB1952_545
.LBB1952_520:                           ;   in Loop: Header=BB1952_510 Depth=2
	s_wait_alu 0xfffe
	s_or_b32 exec_lo, exec_lo, s11
	s_delay_alu instid0(SALU_CYCLE_1)
	s_mov_b32 s11, exec_lo
	v_cmpx_gt_u32_e64 s9, v37
	s_cbranch_execz .LBB1952_522
.LBB1952_521:                           ;   in Loop: Header=BB1952_510 Depth=2
	global_load_u16 v2, v82, s[0:1] offset:3584
.LBB1952_522:                           ;   in Loop: Header=BB1952_510 Depth=2
	s_wait_alu 0xfffe
	s_or_b32 exec_lo, exec_lo, s11
	s_wait_loadcnt 0x0
	v_dual_mov_b32 v11, v10 :: v_dual_mov_b32 v12, v9
	v_dual_mov_b32 v13, v8 :: v_dual_mov_b32 v14, v7
	;; [unrolled: 1-line block ×4, first 2 shown]
	s_mov_b32 s0, s9
.LBB1952_523:                           ;   in Loop: Header=BB1952_510 Depth=2
	s_wait_loadcnt 0x0
	s_delay_alu instid0(VALU_DEP_1) | instskip(NEXT) | instid1(VALU_DEP_2)
	v_dual_mov_b32 v2, v18 :: v_dual_mov_b32 v5, v16
	v_dual_mov_b32 v4, v17 :: v_dual_mov_b32 v7, v14
	;; [unrolled: 1-line block ×3, first 2 shown]
	v_mov_b32_e32 v8, v13
	v_mov_b32_e32 v10, v11
	s_mov_b32 s1, exec_lo
	s_wait_alu 0xfffe
	v_cmpx_gt_u32_e64 s0, v1
	s_cbranch_execnz .LBB1952_531
; %bb.524:                              ;   in Loop: Header=BB1952_510 Depth=2
	s_or_b32 exec_lo, exec_lo, s1
	s_delay_alu instid0(SALU_CYCLE_1)
	s_mov_b32 s1, exec_lo
	v_cmpx_gt_u32_e64 s0, v29
	s_cbranch_execnz .LBB1952_532
.LBB1952_525:                           ;   in Loop: Header=BB1952_510 Depth=2
	s_wait_alu 0xfffe
	s_or_b32 exec_lo, exec_lo, s1
	s_delay_alu instid0(SALU_CYCLE_1)
	s_mov_b32 s1, exec_lo
	v_cmpx_gt_u32_e64 s0, v30
	s_cbranch_execnz .LBB1952_533
.LBB1952_526:                           ;   in Loop: Header=BB1952_510 Depth=2
	s_wait_alu 0xfffe
	s_or_b32 exec_lo, exec_lo, s1
	s_delay_alu instid0(SALU_CYCLE_1)
	s_mov_b32 s1, exec_lo
	v_cmpx_gt_u32_e64 s0, v31
	s_cbranch_execnz .LBB1952_534
.LBB1952_527:                           ;   in Loop: Header=BB1952_510 Depth=2
	s_wait_alu 0xfffe
	s_or_b32 exec_lo, exec_lo, s1
	s_delay_alu instid0(SALU_CYCLE_1)
	s_mov_b32 s1, exec_lo
	v_cmpx_gt_u32_e64 s0, v34
	s_cbranch_execnz .LBB1952_535
.LBB1952_528:                           ;   in Loop: Header=BB1952_510 Depth=2
	s_wait_alu 0xfffe
	s_or_b32 exec_lo, exec_lo, s1
	s_delay_alu instid0(SALU_CYCLE_1)
	s_mov_b32 s1, exec_lo
	v_cmpx_gt_u32_e64 s0, v35
	s_cbranch_execnz .LBB1952_536
.LBB1952_529:                           ;   in Loop: Header=BB1952_510 Depth=2
	s_wait_alu 0xfffe
	s_or_b32 exec_lo, exec_lo, s1
	s_delay_alu instid0(SALU_CYCLE_1)
	s_mov_b32 s1, exec_lo
	v_cmpx_gt_u32_e64 s0, v36
	s_cbranch_execnz .LBB1952_537
.LBB1952_530:                           ;   in Loop: Header=BB1952_510 Depth=2
	s_wait_alu 0xfffe
	s_or_b32 exec_lo, exec_lo, s1
	v_cmp_gt_u32_e32 vcc_lo, s0, v37
	s_and_saveexec_b32 s0, vcc_lo
	s_cbranch_execz .LBB1952_509
	s_branch .LBB1952_538
.LBB1952_531:                           ;   in Loop: Header=BB1952_510 Depth=2
	v_cmp_gt_i16_e32 vcc_lo, 0, v10
	s_wait_alu 0xfffd
	v_cndmask_b32_e64 v11, 0x7fff, 0, vcc_lo
	s_delay_alu instid0(VALU_DEP_1) | instskip(NEXT) | instid1(VALU_DEP_1)
	v_xor_b32_e32 v11, v11, v10
	v_cmp_ne_u16_e32 vcc_lo, 0x8000, v11
	s_wait_alu 0xfffd
	v_cndmask_b32_e32 v11, 0x7fff, v11, vcc_lo
	s_delay_alu instid0(VALU_DEP_1) | instskip(NEXT) | instid1(VALU_DEP_1)
	v_and_b32_e32 v11, 0xffff, v11
	v_lshrrev_b32_e32 v11, s45, v11
	s_delay_alu instid0(VALU_DEP_1) | instskip(NEXT) | instid1(VALU_DEP_1)
	v_and_b32_e32 v11, s42, v11
	v_lshl_or_b32 v11, v11, 4, v39
	ds_add_u32 v11, v62
	s_or_b32 exec_lo, exec_lo, s1
	s_delay_alu instid0(SALU_CYCLE_1)
	s_mov_b32 s1, exec_lo
	v_cmpx_gt_u32_e64 s0, v29
	s_cbranch_execz .LBB1952_525
.LBB1952_532:                           ;   in Loop: Header=BB1952_510 Depth=2
	v_cmp_gt_i16_e32 vcc_lo, 0, v9
	s_wait_alu 0xfffd
	v_cndmask_b32_e64 v11, 0x7fff, 0, vcc_lo
	s_delay_alu instid0(VALU_DEP_1) | instskip(NEXT) | instid1(VALU_DEP_1)
	v_xor_b32_e32 v11, v11, v9
	v_cmp_ne_u16_e32 vcc_lo, 0x8000, v11
	s_wait_alu 0xfffd
	v_cndmask_b32_e32 v11, 0x7fff, v11, vcc_lo
	s_delay_alu instid0(VALU_DEP_1) | instskip(NEXT) | instid1(VALU_DEP_1)
	v_and_b32_e32 v11, 0xffff, v11
	v_lshrrev_b32_e32 v11, s45, v11
	s_delay_alu instid0(VALU_DEP_1) | instskip(NEXT) | instid1(VALU_DEP_1)
	v_and_b32_e32 v11, s42, v11
	v_lshl_or_b32 v11, v11, 4, v39
	ds_add_u32 v11, v62
	s_wait_alu 0xfffe
	s_or_b32 exec_lo, exec_lo, s1
	s_delay_alu instid0(SALU_CYCLE_1)
	s_mov_b32 s1, exec_lo
	v_cmpx_gt_u32_e64 s0, v30
	s_cbranch_execz .LBB1952_526
.LBB1952_533:                           ;   in Loop: Header=BB1952_510 Depth=2
	v_cmp_gt_i16_e32 vcc_lo, 0, v8
	s_wait_alu 0xfffd
	v_cndmask_b32_e64 v11, 0x7fff, 0, vcc_lo
	s_delay_alu instid0(VALU_DEP_1) | instskip(NEXT) | instid1(VALU_DEP_1)
	v_xor_b32_e32 v11, v11, v8
	v_cmp_ne_u16_e32 vcc_lo, 0x8000, v11
	s_wait_alu 0xfffd
	v_cndmask_b32_e32 v11, 0x7fff, v11, vcc_lo
	s_delay_alu instid0(VALU_DEP_1) | instskip(NEXT) | instid1(VALU_DEP_1)
	v_and_b32_e32 v11, 0xffff, v11
	v_lshrrev_b32_e32 v11, s45, v11
	s_delay_alu instid0(VALU_DEP_1) | instskip(NEXT) | instid1(VALU_DEP_1)
	v_and_b32_e32 v11, s42, v11
	v_lshl_or_b32 v11, v11, 4, v39
	ds_add_u32 v11, v62
	s_wait_alu 0xfffe
	s_or_b32 exec_lo, exec_lo, s1
	s_delay_alu instid0(SALU_CYCLE_1)
	s_mov_b32 s1, exec_lo
	v_cmpx_gt_u32_e64 s0, v31
	s_cbranch_execz .LBB1952_527
.LBB1952_534:                           ;   in Loop: Header=BB1952_510 Depth=2
	v_cmp_gt_i16_e32 vcc_lo, 0, v7
	s_wait_alu 0xfffd
	v_cndmask_b32_e64 v11, 0x7fff, 0, vcc_lo
	s_delay_alu instid0(VALU_DEP_1) | instskip(NEXT) | instid1(VALU_DEP_1)
	v_xor_b32_e32 v11, v11, v7
	v_cmp_ne_u16_e32 vcc_lo, 0x8000, v11
	s_wait_alu 0xfffd
	v_cndmask_b32_e32 v11, 0x7fff, v11, vcc_lo
	s_delay_alu instid0(VALU_DEP_1) | instskip(NEXT) | instid1(VALU_DEP_1)
	v_and_b32_e32 v11, 0xffff, v11
	v_lshrrev_b32_e32 v11, s45, v11
	s_delay_alu instid0(VALU_DEP_1) | instskip(NEXT) | instid1(VALU_DEP_1)
	v_and_b32_e32 v11, s42, v11
	v_lshl_or_b32 v11, v11, 4, v39
	ds_add_u32 v11, v62
	s_wait_alu 0xfffe
	s_or_b32 exec_lo, exec_lo, s1
	s_delay_alu instid0(SALU_CYCLE_1)
	s_mov_b32 s1, exec_lo
	v_cmpx_gt_u32_e64 s0, v34
	s_cbranch_execz .LBB1952_528
.LBB1952_535:                           ;   in Loop: Header=BB1952_510 Depth=2
	v_cmp_gt_i16_e32 vcc_lo, 0, v6
	s_wait_alu 0xfffd
	v_cndmask_b32_e64 v11, 0x7fff, 0, vcc_lo
	s_delay_alu instid0(VALU_DEP_1) | instskip(NEXT) | instid1(VALU_DEP_1)
	v_xor_b32_e32 v11, v11, v6
	v_cmp_ne_u16_e32 vcc_lo, 0x8000, v11
	s_wait_alu 0xfffd
	v_cndmask_b32_e32 v11, 0x7fff, v11, vcc_lo
	s_delay_alu instid0(VALU_DEP_1) | instskip(NEXT) | instid1(VALU_DEP_1)
	v_and_b32_e32 v11, 0xffff, v11
	v_lshrrev_b32_e32 v11, s45, v11
	s_delay_alu instid0(VALU_DEP_1) | instskip(NEXT) | instid1(VALU_DEP_1)
	v_and_b32_e32 v11, s42, v11
	v_lshl_or_b32 v11, v11, 4, v39
	ds_add_u32 v11, v62
	s_wait_alu 0xfffe
	s_or_b32 exec_lo, exec_lo, s1
	s_delay_alu instid0(SALU_CYCLE_1)
	s_mov_b32 s1, exec_lo
	v_cmpx_gt_u32_e64 s0, v35
	s_cbranch_execz .LBB1952_529
.LBB1952_536:                           ;   in Loop: Header=BB1952_510 Depth=2
	v_cmp_gt_i16_e32 vcc_lo, 0, v5
	s_wait_alu 0xfffd
	v_cndmask_b32_e64 v11, 0x7fff, 0, vcc_lo
	s_delay_alu instid0(VALU_DEP_1) | instskip(NEXT) | instid1(VALU_DEP_1)
	v_xor_b32_e32 v11, v11, v5
	v_cmp_ne_u16_e32 vcc_lo, 0x8000, v11
	s_wait_alu 0xfffd
	v_cndmask_b32_e32 v11, 0x7fff, v11, vcc_lo
	s_delay_alu instid0(VALU_DEP_1) | instskip(NEXT) | instid1(VALU_DEP_1)
	v_and_b32_e32 v11, 0xffff, v11
	v_lshrrev_b32_e32 v11, s45, v11
	s_delay_alu instid0(VALU_DEP_1) | instskip(NEXT) | instid1(VALU_DEP_1)
	v_and_b32_e32 v11, s42, v11
	v_lshl_or_b32 v11, v11, 4, v39
	ds_add_u32 v11, v62
	s_wait_alu 0xfffe
	s_or_b32 exec_lo, exec_lo, s1
	s_delay_alu instid0(SALU_CYCLE_1)
	s_mov_b32 s1, exec_lo
	v_cmpx_gt_u32_e64 s0, v36
	s_cbranch_execz .LBB1952_530
.LBB1952_537:                           ;   in Loop: Header=BB1952_510 Depth=2
	v_cmp_gt_i16_e32 vcc_lo, 0, v4
	s_wait_alu 0xfffd
	v_cndmask_b32_e64 v11, 0x7fff, 0, vcc_lo
	s_delay_alu instid0(VALU_DEP_1) | instskip(NEXT) | instid1(VALU_DEP_1)
	v_xor_b32_e32 v11, v11, v4
	v_cmp_ne_u16_e32 vcc_lo, 0x8000, v11
	s_wait_alu 0xfffd
	v_cndmask_b32_e32 v11, 0x7fff, v11, vcc_lo
	s_delay_alu instid0(VALU_DEP_1) | instskip(NEXT) | instid1(VALU_DEP_1)
	v_and_b32_e32 v11, 0xffff, v11
	v_lshrrev_b32_e32 v11, s45, v11
	s_delay_alu instid0(VALU_DEP_1) | instskip(NEXT) | instid1(VALU_DEP_1)
	v_and_b32_e32 v11, s42, v11
	v_lshl_or_b32 v11, v11, 4, v39
	ds_add_u32 v11, v62
	s_wait_alu 0xfffe
	s_or_b32 exec_lo, exec_lo, s1
	v_cmp_gt_u32_e32 vcc_lo, s0, v37
	s_and_saveexec_b32 s0, vcc_lo
	s_cbranch_execz .LBB1952_509
.LBB1952_538:                           ;   in Loop: Header=BB1952_510 Depth=2
	v_cmp_gt_i16_e32 vcc_lo, 0, v2
	s_wait_alu 0xfffd
	v_cndmask_b32_e64 v11, 0x7fff, 0, vcc_lo
	s_delay_alu instid0(VALU_DEP_1) | instskip(NEXT) | instid1(VALU_DEP_1)
	v_xor_b32_e32 v11, v11, v2
	v_cmp_ne_u16_e32 vcc_lo, 0x8000, v11
	s_wait_alu 0xfffd
	v_cndmask_b32_e32 v11, 0x7fff, v11, vcc_lo
	s_delay_alu instid0(VALU_DEP_1) | instskip(NEXT) | instid1(VALU_DEP_1)
	v_and_b32_e32 v11, 0xffff, v11
	v_lshrrev_b32_e32 v11, s45, v11
	s_delay_alu instid0(VALU_DEP_1) | instskip(NEXT) | instid1(VALU_DEP_1)
	v_and_b32_e32 v11, s42, v11
	v_lshl_or_b32 v11, v11, 4, v39
	ds_add_u32 v11, v62
	s_branch .LBB1952_509
.LBB1952_539:                           ;   in Loop: Header=BB1952_510 Depth=2
	global_load_u16 v10, v82, s[0:1]
	s_or_b32 exec_lo, exec_lo, s11
	s_delay_alu instid0(SALU_CYCLE_1)
	s_mov_b32 s11, exec_lo
	v_cmpx_gt_u32_e64 s9, v29
	s_cbranch_execz .LBB1952_515
.LBB1952_540:                           ;   in Loop: Header=BB1952_510 Depth=2
	global_load_u16 v9, v82, s[0:1] offset:512
	s_wait_alu 0xfffe
	s_or_b32 exec_lo, exec_lo, s11
	s_delay_alu instid0(SALU_CYCLE_1)
	s_mov_b32 s11, exec_lo
	v_cmpx_gt_u32_e64 s9, v30
	s_cbranch_execz .LBB1952_516
.LBB1952_541:                           ;   in Loop: Header=BB1952_510 Depth=2
	global_load_u16 v8, v82, s[0:1] offset:1024
	s_wait_alu 0xfffe
	s_or_b32 exec_lo, exec_lo, s11
	s_delay_alu instid0(SALU_CYCLE_1)
	s_mov_b32 s11, exec_lo
	v_cmpx_gt_u32_e64 s9, v31
	s_cbranch_execz .LBB1952_517
.LBB1952_542:                           ;   in Loop: Header=BB1952_510 Depth=2
	global_load_u16 v7, v82, s[0:1] offset:1536
	s_wait_alu 0xfffe
	s_or_b32 exec_lo, exec_lo, s11
	s_delay_alu instid0(SALU_CYCLE_1)
	s_mov_b32 s11, exec_lo
	v_cmpx_gt_u32_e64 s9, v34
	s_cbranch_execz .LBB1952_518
.LBB1952_543:                           ;   in Loop: Header=BB1952_510 Depth=2
	global_load_u16 v6, v82, s[0:1] offset:2048
	s_wait_alu 0xfffe
	s_or_b32 exec_lo, exec_lo, s11
	s_delay_alu instid0(SALU_CYCLE_1)
	s_mov_b32 s11, exec_lo
	v_cmpx_gt_u32_e64 s9, v35
	s_cbranch_execz .LBB1952_519
.LBB1952_544:                           ;   in Loop: Header=BB1952_510 Depth=2
	global_load_u16 v5, v82, s[0:1] offset:2560
	s_wait_alu 0xfffe
	s_or_b32 exec_lo, exec_lo, s11
	s_delay_alu instid0(SALU_CYCLE_1)
	s_mov_b32 s11, exec_lo
	v_cmpx_gt_u32_e64 s9, v36
	s_cbranch_execz .LBB1952_520
.LBB1952_545:                           ;   in Loop: Header=BB1952_510 Depth=2
	global_load_u16 v4, v82, s[0:1] offset:3072
	s_wait_alu 0xfffe
	s_or_b32 exec_lo, exec_lo, s11
	s_delay_alu instid0(SALU_CYCLE_1)
	s_mov_b32 s11, exec_lo
	v_cmpx_gt_u32_e64 s9, v37
	s_cbranch_execnz .LBB1952_521
	s_branch .LBB1952_522
.LBB1952_546:                           ;   in Loop: Header=BB1952_12 Depth=1
	v_mov_b32_e32 v2, 0
	s_wait_dscnt 0x0
	s_barrier_signal -1
	s_barrier_wait -1
	global_inv scope:SCOPE_SE
	s_and_saveexec_b32 s0, s2
	s_cbranch_execz .LBB1952_548
; %bb.547:                              ;   in Loop: Header=BB1952_12 Depth=1
	ds_load_2addr_b64 v[4:7], v40 offset1:1
	s_wait_dscnt 0x0
	v_add_nc_u32_e32 v2, v5, v4
	s_delay_alu instid0(VALU_DEP_1)
	v_add3_u32 v2, v2, v6, v7
.LBB1952_548:                           ;   in Loop: Header=BB1952_12 Depth=1
	s_wait_alu 0xfffe
	s_or_b32 exec_lo, exec_lo, s0
	s_delay_alu instid0(VALU_DEP_1)
	v_mov_b32_dpp v4, v2 row_shr:1 row_mask:0xf bank_mask:0xf
	v_cmp_eq_u32_e64 s0, 0, v63
	v_cmp_lt_u32_e64 s1, 1, v63
	v_cmp_lt_u32_e64 s9, 3, v63
	;; [unrolled: 1-line block ×3, first 2 shown]
	v_cmp_eq_u32_e64 s11, 0, v65
	s_wait_alu 0xf1ff
	v_cndmask_b32_e64 v4, v4, 0, s0
	s_delay_alu instid0(VALU_DEP_1) | instskip(NEXT) | instid1(VALU_DEP_1)
	v_add_nc_u32_e32 v2, v4, v2
	v_mov_b32_dpp v4, v2 row_shr:2 row_mask:0xf bank_mask:0xf
	s_delay_alu instid0(VALU_DEP_1) | instskip(NEXT) | instid1(VALU_DEP_1)
	v_cndmask_b32_e64 v4, 0, v4, s1
	v_add_nc_u32_e32 v2, v2, v4
	s_delay_alu instid0(VALU_DEP_1) | instskip(NEXT) | instid1(VALU_DEP_1)
	v_mov_b32_dpp v4, v2 row_shr:4 row_mask:0xf bank_mask:0xf
	v_cndmask_b32_e64 v4, 0, v4, s9
	s_delay_alu instid0(VALU_DEP_1) | instskip(NEXT) | instid1(VALU_DEP_1)
	v_add_nc_u32_e32 v2, v2, v4
	v_mov_b32_dpp v4, v2 row_shr:8 row_mask:0xf bank_mask:0xf
	s_delay_alu instid0(VALU_DEP_1) | instskip(NEXT) | instid1(VALU_DEP_1)
	v_cndmask_b32_e64 v4, 0, v4, s10
	v_add_nc_u32_e32 v2, v2, v4
	ds_swizzle_b32 v4, v2 offset:swizzle(BROADCAST,32,15)
	s_wait_dscnt 0x0
	v_and_b32_e32 v4, v64, v4
	s_delay_alu instid0(VALU_DEP_1)
	v_add_nc_u32_e32 v2, v2, v4
	s_and_saveexec_b32 s12, s3
; %bb.549:                              ;   in Loop: Header=BB1952_12 Depth=1
	ds_store_b32 v41, v2
; %bb.550:                              ;   in Loop: Header=BB1952_12 Depth=1
	s_wait_alu 0xfffe
	s_or_b32 exec_lo, exec_lo, s12
	s_wait_loadcnt_dscnt 0x0
	s_barrier_signal -1
	s_barrier_wait -1
	global_inv scope:SCOPE_SE
	s_and_saveexec_b32 s12, s4
	s_cbranch_execz .LBB1952_552
; %bb.551:                              ;   in Loop: Header=BB1952_12 Depth=1
	ds_load_b32 v4, v42
	v_cmp_ne_u32_e32 vcc_lo, 0, v67
	s_wait_dscnt 0x0
	v_mov_b32_dpp v5, v4 row_shr:1 row_mask:0xf bank_mask:0xf
	s_wait_alu 0xfffd
	s_delay_alu instid0(VALU_DEP_1) | instskip(SKIP_1) | instid1(VALU_DEP_2)
	v_cndmask_b32_e32 v5, 0, v5, vcc_lo
	v_cmp_lt_u32_e32 vcc_lo, 1, v67
	v_add_nc_u32_e32 v4, v5, v4
	s_delay_alu instid0(VALU_DEP_1) | instskip(SKIP_1) | instid1(VALU_DEP_1)
	v_mov_b32_dpp v5, v4 row_shr:2 row_mask:0xf bank_mask:0xf
	s_wait_alu 0xfffd
	v_cndmask_b32_e32 v5, 0, v5, vcc_lo
	v_cmp_lt_u32_e32 vcc_lo, 3, v67
	s_delay_alu instid0(VALU_DEP_2) | instskip(NEXT) | instid1(VALU_DEP_1)
	v_add_nc_u32_e32 v4, v4, v5
	v_mov_b32_dpp v5, v4 row_shr:4 row_mask:0xf bank_mask:0xf
	s_wait_alu 0xfffd
	s_delay_alu instid0(VALU_DEP_1) | instskip(NEXT) | instid1(VALU_DEP_1)
	v_cndmask_b32_e32 v5, 0, v5, vcc_lo
	v_add_nc_u32_e32 v4, v4, v5
	ds_store_b32 v42, v4
.LBB1952_552:                           ;   in Loop: Header=BB1952_12 Depth=1
	s_wait_alu 0xfffe
	s_or_b32 exec_lo, exec_lo, s12
	v_mov_b32_e32 v4, 0
	s_wait_loadcnt_dscnt 0x0
	s_barrier_signal -1
	s_barrier_wait -1
	global_inv scope:SCOPE_SE
	s_and_saveexec_b32 s12, s5
; %bb.553:                              ;   in Loop: Header=BB1952_12 Depth=1
	ds_load_b32 v4, v44
; %bb.554:                              ;   in Loop: Header=BB1952_12 Depth=1
	s_wait_alu 0xfffe
	s_or_b32 exec_lo, exec_lo, s12
	v_cmp_gt_i32_e32 vcc_lo, 0, v68
	s_wait_dscnt 0x0
	v_add_nc_u32_e32 v2, v4, v2
	s_wait_loadcnt 0x0
	s_barrier_signal -1
	s_barrier_wait -1
	s_wait_alu 0xfffd
	v_cndmask_b32_e32 v5, v68, v59, vcc_lo
	global_inv scope:SCOPE_SE
	v_lshlrev_b32_e32 v87, 2, v5
	ds_bpermute_b32 v2, v87, v2
	s_and_saveexec_b32 s12, s2
	s_cbranch_execz .LBB1952_556
; %bb.555:                              ;   in Loop: Header=BB1952_12 Depth=1
	s_wait_dscnt 0x0
	v_cndmask_b32_e64 v2, v2, v4, s8
	s_delay_alu instid0(VALU_DEP_1)
	v_add_nc_u32_e32 v2, s33, v2
	ds_store_b32 v28, v2
.LBB1952_556:                           ;   in Loop: Header=BB1952_12 Depth=1
	s_wait_alu 0xfffe
	s_or_b32 exec_lo, exec_lo, s12
	s_load_b64 s[12:13], s[28:29], 0x0
	v_add_co_u32 v88, vcc_lo, v57, v69
	s_wait_alu 0xfffd
	v_add_co_ci_u32_e64 v89, null, 0, v58, vcc_lo
	v_add_co_u32 v90, vcc_lo, v60, v77
	s_wait_alu 0xfffd
	v_add_co_ci_u32_e64 v91, null, 0, v61, vcc_lo
	s_mov_b32 s43, s47
                                        ; implicit-def: $vgpr6_vgpr7
                                        ; implicit-def: $vgpr8_vgpr9
                                        ; implicit-def: $vgpr10_vgpr11
                                        ; implicit-def: $vgpr12_vgpr13
                                        ; implicit-def: $vgpr14_vgpr15
                                        ; implicit-def: $vgpr16_vgpr17
                                        ; implicit-def: $vgpr18_vgpr19
                                        ; implicit-def: $vgpr93
                                        ; implicit-def: $vgpr94
                                        ; implicit-def: $vgpr95
                                        ; implicit-def: $vgpr96
                                        ; implicit-def: $vgpr97
                                        ; implicit-def: $vgpr98
                                        ; implicit-def: $vgpr99
                                        ; implicit-def: $vgpr100
	s_wait_kmcnt 0x0
	s_cmp_lt_u32 ttmp7, s13
	s_cselect_b32 s30, 14, 20
	s_cmp_lt_u32 ttmp9, s12
	s_wait_alu 0xfffe
	s_add_nc_u64 s[14:15], s[28:29], s[30:31]
	s_cselect_b32 s30, 12, 18
	s_load_u16 s14, s[14:15], 0x0
	s_add_nc_u64 s[12:13], s[28:29], s[30:31]
	s_mov_b32 s30, s33
	s_load_u16 s12, s[12:13], 0x0
	v_cmp_lt_u32_e64 s13, 1, v67
	s_wait_dscnt 0x0
	s_wait_kmcnt 0x0
	v_mad_u32_u24 v2, v45, s14, v0
	v_cmp_lt_u32_e64 s14, 3, v67
	s_delay_alu instid0(VALU_DEP_2) | instskip(SKIP_1) | instid1(VALU_DEP_2)
	v_mad_co_u64_u32 v[4:5], null, v2, s12, v[1:2]
	v_cmp_eq_u32_e64 s12, 0, v67
	v_lshrrev_b32_e32 v2, 3, v4
                                        ; implicit-def: $vgpr4_vgpr5
	s_delay_alu instid0(VALU_DEP_1)
	v_and_b32_e32 v92, 0x1ffffffc, v2
	s_branch .LBB1952_558
.LBB1952_557:                           ;   in Loop: Header=BB1952_558 Depth=2
	s_wait_alu 0xfffe
	s_or_b32 exec_lo, exec_lo, s15
	s_addk_co_i32 s43, 0xf800
	s_cmp_lt_u32 s44, s34
	s_mov_b32 s30, s44
	s_cbranch_scc0 .LBB1952_10
.LBB1952_558:                           ;   Parent Loop BB1952_12 Depth=1
                                        ; =>  This Inner Loop Header: Depth=2
	s_wait_alu 0xfffe
	s_add_co_i32 s44, s30, 0x800
	s_wait_alu 0xfffe
	s_cmp_gt_u32 s44, s34
	s_cbranch_scc1 .LBB1952_560
; %bb.559:                              ;   in Loop: Header=BB1952_558 Depth=2
	s_lshl_b64 s[16:17], s[30:31], 1
	s_mov_b32 s15, -1
	s_wait_alu 0xfffe
	v_add_co_u32 v20, vcc_lo, v90, s16
	s_wait_alu 0xfffd
	v_add_co_ci_u32_e64 v21, null, s17, v91, vcc_lo
	s_clause 0x6
	global_load_u16 v2, v[20:21], off
	global_load_u16 v27, v[20:21], off offset:64
	global_load_u16 v26, v[20:21], off offset:128
	;; [unrolled: 1-line block ×6, first 2 shown]
	s_movk_i32 s16, 0x800
	s_cbranch_execz .LBB1952_561
	s_branch .LBB1952_576
.LBB1952_560:                           ;   in Loop: Header=BB1952_558 Depth=2
	s_mov_b32 s15, 0
                                        ; implicit-def: $vgpr2
                                        ; implicit-def: $vgpr27
                                        ; implicit-def: $vgpr26
                                        ; implicit-def: $vgpr25
                                        ; implicit-def: $vgpr24
                                        ; implicit-def: $vgpr23
                                        ; implicit-def: $vgpr22
	s_movk_i32 s16, 0x800
.LBB1952_561:                           ;   in Loop: Header=BB1952_558 Depth=2
	s_lshl_b64 s[16:17], s[30:31], 1
	s_wait_loadcnt 0x5
	v_dual_mov_b32 v27, -1 :: v_dual_mov_b32 v2, -1
	s_wait_alu 0xfffe
	v_add_co_u32 v20, vcc_lo, v90, s16
	s_wait_alu 0xfffd
	v_add_co_ci_u32_e64 v21, null, s17, v91, vcc_lo
	s_mov_b32 s15, exec_lo
	v_cmpx_gt_u32_e64 s43, v66
	s_cbranch_execz .LBB1952_563
; %bb.562:                              ;   in Loop: Header=BB1952_558 Depth=2
	global_load_u16 v2, v[20:21], off
.LBB1952_563:                           ;   in Loop: Header=BB1952_558 Depth=2
	s_wait_alu 0xfffe
	s_or_b32 exec_lo, exec_lo, s15
	s_delay_alu instid0(SALU_CYCLE_1)
	s_mov_b32 s15, exec_lo
	v_cmpx_gt_u32_e64 s43, v70
	s_cbranch_execz .LBB1952_565
; %bb.564:                              ;   in Loop: Header=BB1952_558 Depth=2
	global_load_u16 v27, v[20:21], off offset:64
.LBB1952_565:                           ;   in Loop: Header=BB1952_558 Depth=2
	s_wait_alu 0xfffe
	s_or_b32 exec_lo, exec_lo, s15
	s_wait_loadcnt 0x3
	v_dual_mov_b32 v25, -1 :: v_dual_mov_b32 v26, -1
	s_mov_b32 s15, exec_lo
	v_cmpx_gt_u32_e64 s43, v71
	s_cbranch_execz .LBB1952_567
; %bb.566:                              ;   in Loop: Header=BB1952_558 Depth=2
	global_load_u16 v26, v[20:21], off offset:128
.LBB1952_567:                           ;   in Loop: Header=BB1952_558 Depth=2
	s_wait_alu 0xfffe
	s_or_b32 exec_lo, exec_lo, s15
	s_delay_alu instid0(SALU_CYCLE_1)
	s_mov_b32 s15, exec_lo
	v_cmpx_gt_u32_e64 s43, v72
	s_cbranch_execz .LBB1952_569
; %bb.568:                              ;   in Loop: Header=BB1952_558 Depth=2
	global_load_u16 v25, v[20:21], off offset:192
.LBB1952_569:                           ;   in Loop: Header=BB1952_558 Depth=2
	s_wait_alu 0xfffe
	s_or_b32 exec_lo, exec_lo, s15
	s_wait_loadcnt 0x1
	v_dual_mov_b32 v23, -1 :: v_dual_mov_b32 v24, -1
	s_mov_b32 s15, exec_lo
	v_cmpx_gt_u32_e64 s43, v73
	s_cbranch_execz .LBB1952_571
; %bb.570:                              ;   in Loop: Header=BB1952_558 Depth=2
	global_load_u16 v24, v[20:21], off offset:256
.LBB1952_571:                           ;   in Loop: Header=BB1952_558 Depth=2
	s_wait_alu 0xfffe
	s_or_b32 exec_lo, exec_lo, s15
	s_delay_alu instid0(SALU_CYCLE_1)
	s_mov_b32 s15, exec_lo
	v_cmpx_gt_u32_e64 s43, v74
	s_cbranch_execz .LBB1952_573
; %bb.572:                              ;   in Loop: Header=BB1952_558 Depth=2
	global_load_u16 v23, v[20:21], off offset:320
.LBB1952_573:                           ;   in Loop: Header=BB1952_558 Depth=2
	s_wait_alu 0xfffe
	s_or_b32 exec_lo, exec_lo, s15
	s_wait_loadcnt 0x0
	v_mov_b32_e32 v22, -1
	s_mov_b32 s15, exec_lo
	v_cmpx_gt_u32_e64 s43, v75
	s_cbranch_execz .LBB1952_575
; %bb.574:                              ;   in Loop: Header=BB1952_558 Depth=2
	global_load_u16 v22, v[20:21], off offset:384
.LBB1952_575:                           ;   in Loop: Header=BB1952_558 Depth=2
	s_wait_alu 0xfffe
	s_or_b32 exec_lo, exec_lo, s15
	v_cmp_gt_u32_e64 s15, s43, v76
	s_sub_co_i32 s16, s34, s30
.LBB1952_576:                           ;   in Loop: Header=BB1952_558 Depth=2
	v_dual_mov_b32 v20, -1 :: v_dual_mov_b32 v101, s43
	s_and_saveexec_b32 s17, s15
	s_cbranch_execz .LBB1952_578
; %bb.577:                              ;   in Loop: Header=BB1952_558 Depth=2
	s_lshl_b64 s[18:19], s[30:31], 1
	s_wait_alu 0xfffe
	v_mov_b32_e32 v101, s16
	v_add_co_u32 v20, vcc_lo, v90, s18
	s_wait_alu 0xfffd
	v_add_co_ci_u32_e64 v21, null, s19, v91, vcc_lo
	global_load_u16 v20, v[20:21], off offset:448
.LBB1952_578:                           ;   in Loop: Header=BB1952_558 Depth=2
	s_wait_alu 0xfffe
	s_or_b32 exec_lo, exec_lo, s17
	s_wait_loadcnt 0x6
	v_cmp_gt_i16_e32 vcc_lo, 0, v2
	ds_store_2addr_b32 v81, v3, v3 offset1:1
	ds_store_2addr_b32 v78, v3, v3 offset1:1
	;; [unrolled: 1-line block ×4, first 2 shown]
	ds_store_b32 v43, v3 offset:1088
	s_wait_loadcnt_dscnt 0x0
	s_barrier_signal -1
	s_wait_alu 0xfffd
	v_cndmask_b32_e64 v21, 0x7fff, 0, vcc_lo
	s_barrier_wait -1
	global_inv scope:SCOPE_SE
	; wave barrier
	v_xor_b32_e32 v2, v21, v2
	s_delay_alu instid0(VALU_DEP_1) | instskip(SKIP_2) | instid1(VALU_DEP_1)
	v_cmp_ne_u16_e32 vcc_lo, 0x8000, v2
	s_wait_alu 0xfffd
	v_cndmask_b32_e32 v21, 0x7fff, v2, vcc_lo
	v_and_b32_e32 v21, 0xffff, v21
	s_delay_alu instid0(VALU_DEP_1) | instskip(NEXT) | instid1(VALU_DEP_1)
	v_lshrrev_b32_e32 v21, s45, v21
	v_and_b32_e32 v103, s42, v21
	s_delay_alu instid0(VALU_DEP_1)
	v_and_b32_e32 v21, 1, v103
	v_lshlrev_b32_e32 v102, 30, v103
	v_lshlrev_b32_e32 v104, 29, v103
	;; [unrolled: 1-line block ×4, first 2 shown]
	v_add_co_u32 v21, s15, v21, -1
	s_wait_alu 0xf1ff
	v_cndmask_b32_e64 v106, 0, 1, s15
	v_not_b32_e32 v110, v102
	v_cmp_gt_i32_e64 s15, 0, v102
	v_not_b32_e32 v102, v104
	v_lshlrev_b32_e32 v108, 26, v103
	v_cmp_ne_u32_e32 vcc_lo, 0, v106
	v_ashrrev_i32_e32 v110, 31, v110
	v_lshlrev_b32_e32 v109, 25, v103
	v_ashrrev_i32_e32 v102, 31, v102
	v_lshlrev_b32_e32 v106, 24, v103
	s_wait_alu 0xfffd
	v_xor_b32_e32 v21, vcc_lo, v21
	v_cmp_gt_i32_e32 vcc_lo, 0, v104
	v_not_b32_e32 v104, v105
	s_wait_alu 0xf1ff
	v_xor_b32_e32 v110, s15, v110
	v_cmp_gt_i32_e64 s15, 0, v105
	v_and_b32_e32 v21, exec_lo, v21
	v_not_b32_e32 v105, v107
	v_ashrrev_i32_e32 v104, 31, v104
	s_wait_alu 0xfffd
	v_xor_b32_e32 v102, vcc_lo, v102
	v_cmp_gt_i32_e32 vcc_lo, 0, v107
	v_and_b32_e32 v21, v21, v110
	v_not_b32_e32 v107, v108
	v_ashrrev_i32_e32 v105, 31, v105
	s_wait_alu 0xf1ff
	v_xor_b32_e32 v104, s15, v104
	v_cmp_gt_i32_e64 s15, 0, v108
	v_and_b32_e32 v21, v21, v102
	v_not_b32_e32 v102, v109
	v_ashrrev_i32_e32 v107, 31, v107
	s_wait_alu 0xfffd
	v_xor_b32_e32 v105, vcc_lo, v105
	v_cmp_gt_i32_e32 vcc_lo, 0, v109
	v_and_b32_e32 v21, v21, v104
	v_not_b32_e32 v104, v106
	v_ashrrev_i32_e32 v102, 31, v102
	s_wait_alu 0xf1ff
	v_xor_b32_e32 v107, s15, v107
	v_cmp_gt_i32_e64 s15, 0, v106
	v_and_b32_e32 v21, v21, v105
	v_ashrrev_i32_e32 v104, 31, v104
	s_wait_alu 0xfffd
	v_xor_b32_e32 v102, vcc_lo, v102
	v_mul_u32_u24_e32 v103, 36, v103
	v_and_b32_e32 v21, v21, v107
	s_wait_alu 0xf1ff
	v_xor_b32_e32 v104, s15, v104
	s_delay_alu instid0(VALU_DEP_2) | instskip(NEXT) | instid1(VALU_DEP_1)
	v_and_b32_e32 v21, v21, v102
	v_and_b32_e32 v21, v21, v104
	v_add_nc_u32_e32 v104, v92, v103
	s_delay_alu instid0(VALU_DEP_2) | instskip(SKIP_1) | instid1(VALU_DEP_2)
	v_mbcnt_lo_u32_b32 v102, v21, 0
	v_cmp_ne_u32_e64 s15, 0, v21
	v_cmp_eq_u32_e32 vcc_lo, 0, v102
	s_and_b32 s16, s15, vcc_lo
	s_wait_alu 0xfffe
	s_and_saveexec_b32 s15, s16
; %bb.579:                              ;   in Loop: Header=BB1952_558 Depth=2
	v_bcnt_u32_b32 v21, v21, 0
	ds_store_b32 v104, v21 offset:1056
; %bb.580:                              ;   in Loop: Header=BB1952_558 Depth=2
	s_wait_alu 0xfffe
	s_or_b32 exec_lo, exec_lo, s15
	v_cmp_gt_i16_e32 vcc_lo, 0, v27
	; wave barrier
	s_wait_alu 0xfffd
	v_cndmask_b32_e64 v21, 0x7fff, 0, vcc_lo
	s_delay_alu instid0(VALU_DEP_1) | instskip(NEXT) | instid1(VALU_DEP_1)
	v_xor_b32_e32 v103, v21, v27
	v_cmp_ne_u16_e32 vcc_lo, 0x8000, v103
	s_wait_alu 0xfffd
	v_cndmask_b32_e32 v21, 0x7fff, v103, vcc_lo
	s_delay_alu instid0(VALU_DEP_1) | instskip(NEXT) | instid1(VALU_DEP_1)
	v_and_b32_e32 v21, 0xffff, v21
	v_lshrrev_b32_e32 v21, s45, v21
	s_delay_alu instid0(VALU_DEP_1) | instskip(NEXT) | instid1(VALU_DEP_1)
	v_and_b32_e32 v27, s42, v21
	v_and_b32_e32 v21, 1, v27
	v_lshlrev_b32_e32 v105, 30, v27
	v_lshlrev_b32_e32 v106, 29, v27
	;; [unrolled: 1-line block ×4, first 2 shown]
	v_add_co_u32 v21, s15, v21, -1
	s_wait_alu 0xf1ff
	v_cndmask_b32_e64 v108, 0, 1, s15
	v_not_b32_e32 v112, v105
	v_cmp_gt_i32_e64 s15, 0, v105
	v_not_b32_e32 v105, v106
	v_lshlrev_b32_e32 v110, 26, v27
	v_cmp_ne_u32_e32 vcc_lo, 0, v108
	v_ashrrev_i32_e32 v112, 31, v112
	v_lshlrev_b32_e32 v111, 25, v27
	v_ashrrev_i32_e32 v105, 31, v105
	v_lshlrev_b32_e32 v108, 24, v27
	s_wait_alu 0xfffd
	v_xor_b32_e32 v21, vcc_lo, v21
	v_cmp_gt_i32_e32 vcc_lo, 0, v106
	v_not_b32_e32 v106, v107
	s_wait_alu 0xf1ff
	v_xor_b32_e32 v112, s15, v112
	v_cmp_gt_i32_e64 s15, 0, v107
	v_and_b32_e32 v21, exec_lo, v21
	v_not_b32_e32 v107, v109
	v_ashrrev_i32_e32 v106, 31, v106
	s_wait_alu 0xfffd
	v_xor_b32_e32 v105, vcc_lo, v105
	v_cmp_gt_i32_e32 vcc_lo, 0, v109
	v_and_b32_e32 v21, v21, v112
	v_not_b32_e32 v109, v110
	v_ashrrev_i32_e32 v107, 31, v107
	s_wait_alu 0xf1ff
	v_xor_b32_e32 v106, s15, v106
	v_cmp_gt_i32_e64 s15, 0, v110
	v_and_b32_e32 v21, v21, v105
	v_not_b32_e32 v105, v111
	v_ashrrev_i32_e32 v109, 31, v109
	s_wait_alu 0xfffd
	v_xor_b32_e32 v107, vcc_lo, v107
	v_cmp_gt_i32_e32 vcc_lo, 0, v111
	v_and_b32_e32 v21, v21, v106
	v_not_b32_e32 v106, v108
	v_ashrrev_i32_e32 v105, 31, v105
	s_wait_alu 0xf1ff
	v_xor_b32_e32 v109, s15, v109
	v_cmp_gt_i32_e64 s15, 0, v108
	v_and_b32_e32 v21, v21, v107
	v_ashrrev_i32_e32 v106, 31, v106
	s_wait_alu 0xfffd
	v_xor_b32_e32 v105, vcc_lo, v105
	v_mad_u32_u24 v107, v27, 36, v92
	v_mul_u32_u24_e32 v27, 36, v27
	v_and_b32_e32 v21, v21, v109
	s_wait_alu 0xf1ff
	v_xor_b32_e32 v106, s15, v106
	s_delay_alu instid0(VALU_DEP_3) | instskip(NEXT) | instid1(VALU_DEP_3)
	v_add_nc_u32_e32 v108, v92, v27
	v_and_b32_e32 v21, v21, v105
	ds_load_b32 v105, v107 offset:1056
	; wave barrier
	v_and_b32_e32 v21, v21, v106
	s_delay_alu instid0(VALU_DEP_1) | instskip(SKIP_1) | instid1(VALU_DEP_2)
	v_mbcnt_lo_u32_b32 v106, v21, 0
	v_cmp_ne_u32_e64 s15, 0, v21
	v_cmp_eq_u32_e32 vcc_lo, 0, v106
	s_and_b32 s16, s15, vcc_lo
	s_wait_alu 0xfffe
	s_and_saveexec_b32 s15, s16
	s_cbranch_execz .LBB1952_582
; %bb.581:                              ;   in Loop: Header=BB1952_558 Depth=2
	s_wait_dscnt 0x0
	v_bcnt_u32_b32 v21, v21, v105
	ds_store_b32 v108, v21 offset:1056
.LBB1952_582:                           ;   in Loop: Header=BB1952_558 Depth=2
	s_wait_alu 0xfffe
	s_or_b32 exec_lo, exec_lo, s15
	v_cmp_gt_i16_e32 vcc_lo, 0, v26
	; wave barrier
	s_wait_alu 0xfffd
	v_cndmask_b32_e64 v21, 0x7fff, 0, vcc_lo
	s_delay_alu instid0(VALU_DEP_1) | instskip(NEXT) | instid1(VALU_DEP_1)
	v_xor_b32_e32 v107, v21, v26
	v_cmp_ne_u16_e32 vcc_lo, 0x8000, v107
	s_wait_alu 0xfffd
	v_cndmask_b32_e32 v21, 0x7fff, v107, vcc_lo
	s_delay_alu instid0(VALU_DEP_1) | instskip(NEXT) | instid1(VALU_DEP_1)
	v_and_b32_e32 v21, 0xffff, v21
	v_lshrrev_b32_e32 v21, s45, v21
	s_delay_alu instid0(VALU_DEP_1) | instskip(NEXT) | instid1(VALU_DEP_1)
	v_and_b32_e32 v26, s42, v21
	v_and_b32_e32 v21, 1, v26
	v_lshlrev_b32_e32 v27, 30, v26
	v_lshlrev_b32_e32 v109, 29, v26
	v_lshlrev_b32_e32 v110, 28, v26
	v_lshlrev_b32_e32 v112, 27, v26
	v_add_co_u32 v21, s15, v21, -1
	s_wait_alu 0xf1ff
	v_cndmask_b32_e64 v111, 0, 1, s15
	v_not_b32_e32 v115, v27
	v_cmp_gt_i32_e64 s15, 0, v27
	v_not_b32_e32 v27, v109
	v_lshlrev_b32_e32 v113, 26, v26
	v_cmp_ne_u32_e32 vcc_lo, 0, v111
	v_ashrrev_i32_e32 v115, 31, v115
	v_lshlrev_b32_e32 v114, 25, v26
	v_ashrrev_i32_e32 v27, 31, v27
	v_lshlrev_b32_e32 v111, 24, v26
	s_wait_alu 0xfffd
	v_xor_b32_e32 v21, vcc_lo, v21
	v_cmp_gt_i32_e32 vcc_lo, 0, v109
	v_not_b32_e32 v109, v110
	s_wait_alu 0xf1ff
	v_xor_b32_e32 v115, s15, v115
	v_cmp_gt_i32_e64 s15, 0, v110
	v_and_b32_e32 v21, exec_lo, v21
	v_not_b32_e32 v110, v112
	v_ashrrev_i32_e32 v109, 31, v109
	s_wait_alu 0xfffd
	v_xor_b32_e32 v27, vcc_lo, v27
	v_cmp_gt_i32_e32 vcc_lo, 0, v112
	v_and_b32_e32 v21, v21, v115
	v_not_b32_e32 v112, v113
	v_ashrrev_i32_e32 v110, 31, v110
	s_wait_alu 0xf1ff
	v_xor_b32_e32 v109, s15, v109
	v_cmp_gt_i32_e64 s15, 0, v113
	v_and_b32_e32 v21, v21, v27
	v_not_b32_e32 v27, v114
	v_ashrrev_i32_e32 v112, 31, v112
	s_wait_alu 0xfffd
	v_xor_b32_e32 v110, vcc_lo, v110
	v_cmp_gt_i32_e32 vcc_lo, 0, v114
	v_and_b32_e32 v21, v21, v109
	v_not_b32_e32 v109, v111
	v_ashrrev_i32_e32 v27, 31, v27
	s_wait_alu 0xf1ff
	v_xor_b32_e32 v112, s15, v112
	v_cmp_gt_i32_e64 s15, 0, v111
	v_and_b32_e32 v21, v21, v110
	v_ashrrev_i32_e32 v109, 31, v109
	s_wait_alu 0xfffd
	v_xor_b32_e32 v27, vcc_lo, v27
	v_mad_u32_u24 v110, v26, 36, v92
	v_mul_u32_u24_e32 v26, 36, v26
	v_and_b32_e32 v21, v21, v112
	s_wait_alu 0xf1ff
	v_xor_b32_e32 v111, s15, v109
	ds_load_b32 v109, v110 offset:1056
	v_add_nc_u32_e32 v112, v92, v26
	v_and_b32_e32 v21, v21, v27
	; wave barrier
	s_delay_alu instid0(VALU_DEP_1) | instskip(NEXT) | instid1(VALU_DEP_1)
	v_and_b32_e32 v21, v21, v111
	v_mbcnt_lo_u32_b32 v111, v21, 0
	v_cmp_ne_u32_e64 s15, 0, v21
	s_delay_alu instid0(VALU_DEP_2)
	v_cmp_eq_u32_e32 vcc_lo, 0, v111
	s_and_b32 s16, s15, vcc_lo
	s_wait_alu 0xfffe
	s_and_saveexec_b32 s15, s16
	s_cbranch_execz .LBB1952_584
; %bb.583:                              ;   in Loop: Header=BB1952_558 Depth=2
	s_wait_dscnt 0x0
	v_bcnt_u32_b32 v21, v21, v109
	ds_store_b32 v112, v21 offset:1056
.LBB1952_584:                           ;   in Loop: Header=BB1952_558 Depth=2
	s_wait_alu 0xfffe
	s_or_b32 exec_lo, exec_lo, s15
	v_cmp_gt_i16_e32 vcc_lo, 0, v25
	; wave barrier
	s_wait_alu 0xfffd
	v_cndmask_b32_e64 v21, 0x7fff, 0, vcc_lo
	s_delay_alu instid0(VALU_DEP_1) | instskip(NEXT) | instid1(VALU_DEP_1)
	v_xor_b32_e32 v110, v21, v25
	v_cmp_ne_u16_e32 vcc_lo, 0x8000, v110
	s_wait_alu 0xfffd
	v_cndmask_b32_e32 v21, 0x7fff, v110, vcc_lo
	s_delay_alu instid0(VALU_DEP_1) | instskip(NEXT) | instid1(VALU_DEP_1)
	v_and_b32_e32 v21, 0xffff, v21
	v_lshrrev_b32_e32 v21, s45, v21
	s_delay_alu instid0(VALU_DEP_1) | instskip(NEXT) | instid1(VALU_DEP_1)
	v_and_b32_e32 v25, s42, v21
	v_and_b32_e32 v21, 1, v25
	v_lshlrev_b32_e32 v26, 30, v25
	v_lshlrev_b32_e32 v27, 29, v25
	;; [unrolled: 1-line block ×4, first 2 shown]
	v_add_co_u32 v21, s15, v21, -1
	s_wait_alu 0xf1ff
	v_cndmask_b32_e64 v114, 0, 1, s15
	v_not_b32_e32 v118, v26
	v_cmp_gt_i32_e64 s15, 0, v26
	v_not_b32_e32 v26, v27
	v_lshlrev_b32_e32 v116, 26, v25
	v_cmp_ne_u32_e32 vcc_lo, 0, v114
	v_ashrrev_i32_e32 v118, 31, v118
	v_lshlrev_b32_e32 v117, 25, v25
	v_ashrrev_i32_e32 v26, 31, v26
	v_lshlrev_b32_e32 v114, 24, v25
	s_wait_alu 0xfffd
	v_xor_b32_e32 v21, vcc_lo, v21
	v_cmp_gt_i32_e32 vcc_lo, 0, v27
	v_not_b32_e32 v27, v113
	s_wait_alu 0xf1ff
	v_xor_b32_e32 v118, s15, v118
	v_cmp_gt_i32_e64 s15, 0, v113
	v_and_b32_e32 v21, exec_lo, v21
	v_not_b32_e32 v113, v115
	v_ashrrev_i32_e32 v27, 31, v27
	s_wait_alu 0xfffd
	v_xor_b32_e32 v26, vcc_lo, v26
	v_cmp_gt_i32_e32 vcc_lo, 0, v115
	v_and_b32_e32 v21, v21, v118
	v_not_b32_e32 v115, v116
	v_ashrrev_i32_e32 v113, 31, v113
	s_wait_alu 0xf1ff
	v_xor_b32_e32 v27, s15, v27
	v_cmp_gt_i32_e64 s15, 0, v116
	v_and_b32_e32 v21, v21, v26
	v_not_b32_e32 v26, v117
	v_ashrrev_i32_e32 v115, 31, v115
	s_wait_alu 0xfffd
	v_xor_b32_e32 v113, vcc_lo, v113
	v_cmp_gt_i32_e32 vcc_lo, 0, v117
	v_and_b32_e32 v21, v21, v27
	v_not_b32_e32 v27, v114
	v_ashrrev_i32_e32 v26, 31, v26
	s_wait_alu 0xf1ff
	v_xor_b32_e32 v115, s15, v115
	v_cmp_gt_i32_e64 s15, 0, v114
	v_and_b32_e32 v21, v21, v113
	v_ashrrev_i32_e32 v27, 31, v27
	s_wait_alu 0xfffd
	v_xor_b32_e32 v26, vcc_lo, v26
	v_mad_u32_u24 v113, v25, 36, v92
	v_mul_u32_u24_e32 v25, 36, v25
	v_and_b32_e32 v21, v21, v115
	s_wait_alu 0xf1ff
	v_xor_b32_e32 v27, s15, v27
	ds_load_b32 v113, v113 offset:1056
	v_add_nc_u32_e32 v116, v92, v25
	v_and_b32_e32 v21, v21, v26
	; wave barrier
	s_delay_alu instid0(VALU_DEP_1) | instskip(NEXT) | instid1(VALU_DEP_1)
	v_and_b32_e32 v21, v21, v27
	v_mbcnt_lo_u32_b32 v115, v21, 0
	v_cmp_ne_u32_e64 s15, 0, v21
	s_delay_alu instid0(VALU_DEP_2)
	v_cmp_eq_u32_e32 vcc_lo, 0, v115
	s_and_b32 s16, s15, vcc_lo
	s_wait_alu 0xfffe
	s_and_saveexec_b32 s15, s16
	s_cbranch_execz .LBB1952_586
; %bb.585:                              ;   in Loop: Header=BB1952_558 Depth=2
	s_wait_dscnt 0x0
	v_bcnt_u32_b32 v21, v21, v113
	ds_store_b32 v116, v21 offset:1056
.LBB1952_586:                           ;   in Loop: Header=BB1952_558 Depth=2
	s_wait_alu 0xfffe
	s_or_b32 exec_lo, exec_lo, s15
	v_cmp_gt_i16_e32 vcc_lo, 0, v24
	; wave barrier
	s_wait_alu 0xfffd
	v_cndmask_b32_e64 v21, 0x7fff, 0, vcc_lo
	s_delay_alu instid0(VALU_DEP_1) | instskip(NEXT) | instid1(VALU_DEP_1)
	v_xor_b32_e32 v114, v21, v24
	v_cmp_ne_u16_e32 vcc_lo, 0x8000, v114
	s_wait_alu 0xfffd
	v_cndmask_b32_e32 v21, 0x7fff, v114, vcc_lo
	s_delay_alu instid0(VALU_DEP_1) | instskip(NEXT) | instid1(VALU_DEP_1)
	v_and_b32_e32 v21, 0xffff, v21
	v_lshrrev_b32_e32 v21, s45, v21
	s_delay_alu instid0(VALU_DEP_1) | instskip(NEXT) | instid1(VALU_DEP_1)
	v_and_b32_e32 v24, s42, v21
	v_and_b32_e32 v21, 1, v24
	v_lshlrev_b32_e32 v25, 30, v24
	v_lshlrev_b32_e32 v26, 29, v24
	;; [unrolled: 1-line block ×4, first 2 shown]
	v_add_co_u32 v21, s15, v21, -1
	s_wait_alu 0xf1ff
	v_cndmask_b32_e64 v117, 0, 1, s15
	v_not_b32_e32 v121, v25
	v_cmp_gt_i32_e64 s15, 0, v25
	v_not_b32_e32 v25, v26
	v_lshlrev_b32_e32 v119, 26, v24
	v_cmp_ne_u32_e32 vcc_lo, 0, v117
	v_ashrrev_i32_e32 v121, 31, v121
	v_lshlrev_b32_e32 v120, 25, v24
	v_ashrrev_i32_e32 v25, 31, v25
	v_lshlrev_b32_e32 v117, 24, v24
	s_wait_alu 0xfffd
	v_xor_b32_e32 v21, vcc_lo, v21
	v_cmp_gt_i32_e32 vcc_lo, 0, v26
	v_not_b32_e32 v26, v27
	s_wait_alu 0xf1ff
	v_xor_b32_e32 v121, s15, v121
	v_cmp_gt_i32_e64 s15, 0, v27
	v_and_b32_e32 v21, exec_lo, v21
	v_not_b32_e32 v27, v118
	v_ashrrev_i32_e32 v26, 31, v26
	s_wait_alu 0xfffd
	v_xor_b32_e32 v25, vcc_lo, v25
	v_cmp_gt_i32_e32 vcc_lo, 0, v118
	v_and_b32_e32 v21, v21, v121
	v_not_b32_e32 v118, v119
	v_ashrrev_i32_e32 v27, 31, v27
	s_wait_alu 0xf1ff
	v_xor_b32_e32 v26, s15, v26
	v_cmp_gt_i32_e64 s15, 0, v119
	v_and_b32_e32 v21, v21, v25
	v_not_b32_e32 v25, v120
	v_ashrrev_i32_e32 v118, 31, v118
	s_wait_alu 0xfffd
	v_xor_b32_e32 v27, vcc_lo, v27
	v_cmp_gt_i32_e32 vcc_lo, 0, v120
	v_and_b32_e32 v21, v21, v26
	v_not_b32_e32 v26, v117
	v_ashrrev_i32_e32 v25, 31, v25
	s_wait_alu 0xf1ff
	v_xor_b32_e32 v118, s15, v118
	v_cmp_gt_i32_e64 s15, 0, v117
	v_and_b32_e32 v21, v21, v27
	v_ashrrev_i32_e32 v26, 31, v26
	s_wait_alu 0xfffd
	v_xor_b32_e32 v25, vcc_lo, v25
	v_mad_u32_u24 v27, v24, 36, v92
	v_mul_u32_u24_e32 v24, 36, v24
	v_and_b32_e32 v21, v21, v118
	s_wait_alu 0xf1ff
	v_xor_b32_e32 v26, s15, v26
	ds_load_b32 v117, v27 offset:1056
	v_add_nc_u32_e32 v120, v92, v24
	v_and_b32_e32 v21, v21, v25
	; wave barrier
	s_delay_alu instid0(VALU_DEP_1) | instskip(NEXT) | instid1(VALU_DEP_1)
	v_and_b32_e32 v21, v21, v26
	v_mbcnt_lo_u32_b32 v119, v21, 0
	v_cmp_ne_u32_e64 s15, 0, v21
	s_delay_alu instid0(VALU_DEP_2)
	v_cmp_eq_u32_e32 vcc_lo, 0, v119
	s_and_b32 s16, s15, vcc_lo
	s_wait_alu 0xfffe
	s_and_saveexec_b32 s15, s16
	s_cbranch_execz .LBB1952_588
; %bb.587:                              ;   in Loop: Header=BB1952_558 Depth=2
	s_wait_dscnt 0x0
	v_bcnt_u32_b32 v21, v21, v117
	ds_store_b32 v120, v21 offset:1056
.LBB1952_588:                           ;   in Loop: Header=BB1952_558 Depth=2
	s_wait_alu 0xfffe
	s_or_b32 exec_lo, exec_lo, s15
	v_cmp_gt_i16_e32 vcc_lo, 0, v23
	; wave barrier
	s_wait_alu 0xfffd
	v_cndmask_b32_e64 v21, 0x7fff, 0, vcc_lo
	s_delay_alu instid0(VALU_DEP_1) | instskip(NEXT) | instid1(VALU_DEP_1)
	v_xor_b32_e32 v118, v21, v23
	v_cmp_ne_u16_e32 vcc_lo, 0x8000, v118
	s_wait_alu 0xfffd
	v_cndmask_b32_e32 v21, 0x7fff, v118, vcc_lo
	s_delay_alu instid0(VALU_DEP_1) | instskip(NEXT) | instid1(VALU_DEP_1)
	v_and_b32_e32 v21, 0xffff, v21
	v_lshrrev_b32_e32 v21, s45, v21
	s_delay_alu instid0(VALU_DEP_1) | instskip(NEXT) | instid1(VALU_DEP_1)
	v_and_b32_e32 v23, s42, v21
	v_and_b32_e32 v21, 1, v23
	v_lshlrev_b32_e32 v24, 30, v23
	v_lshlrev_b32_e32 v25, 29, v23
	;; [unrolled: 1-line block ×4, first 2 shown]
	v_add_co_u32 v21, s15, v21, -1
	s_wait_alu 0xf1ff
	v_cndmask_b32_e64 v27, 0, 1, s15
	v_not_b32_e32 v124, v24
	v_cmp_gt_i32_e64 s15, 0, v24
	v_not_b32_e32 v24, v25
	v_lshlrev_b32_e32 v122, 26, v23
	v_cmp_ne_u32_e32 vcc_lo, 0, v27
	v_ashrrev_i32_e32 v124, 31, v124
	v_lshlrev_b32_e32 v123, 25, v23
	v_ashrrev_i32_e32 v24, 31, v24
	v_lshlrev_b32_e32 v27, 24, v23
	s_wait_alu 0xfffd
	v_xor_b32_e32 v21, vcc_lo, v21
	v_cmp_gt_i32_e32 vcc_lo, 0, v25
	v_not_b32_e32 v25, v26
	s_wait_alu 0xf1ff
	v_xor_b32_e32 v124, s15, v124
	v_cmp_gt_i32_e64 s15, 0, v26
	v_and_b32_e32 v21, exec_lo, v21
	v_not_b32_e32 v26, v121
	v_ashrrev_i32_e32 v25, 31, v25
	s_wait_alu 0xfffd
	v_xor_b32_e32 v24, vcc_lo, v24
	v_cmp_gt_i32_e32 vcc_lo, 0, v121
	v_and_b32_e32 v21, v21, v124
	v_not_b32_e32 v121, v122
	v_ashrrev_i32_e32 v26, 31, v26
	s_wait_alu 0xf1ff
	v_xor_b32_e32 v25, s15, v25
	v_cmp_gt_i32_e64 s15, 0, v122
	v_and_b32_e32 v21, v21, v24
	v_not_b32_e32 v24, v123
	v_ashrrev_i32_e32 v121, 31, v121
	s_wait_alu 0xfffd
	v_xor_b32_e32 v26, vcc_lo, v26
	v_cmp_gt_i32_e32 vcc_lo, 0, v123
	v_and_b32_e32 v21, v21, v25
	v_not_b32_e32 v25, v27
	v_ashrrev_i32_e32 v24, 31, v24
	s_wait_alu 0xf1ff
	v_xor_b32_e32 v121, s15, v121
	v_cmp_gt_i32_e64 s15, 0, v27
	v_and_b32_e32 v21, v21, v26
	v_ashrrev_i32_e32 v25, 31, v25
	s_wait_alu 0xfffd
	v_xor_b32_e32 v24, vcc_lo, v24
	v_mad_u32_u24 v26, v23, 36, v92
	v_mul_u32_u24_e32 v23, 36, v23
	v_and_b32_e32 v21, v21, v121
	s_wait_alu 0xf1ff
	v_xor_b32_e32 v25, s15, v25
	ds_load_b32 v121, v26 offset:1056
	v_add_nc_u32_e32 v124, v92, v23
	v_and_b32_e32 v21, v21, v24
	; wave barrier
	s_delay_alu instid0(VALU_DEP_1) | instskip(NEXT) | instid1(VALU_DEP_1)
	v_and_b32_e32 v21, v21, v25
	v_mbcnt_lo_u32_b32 v123, v21, 0
	v_cmp_ne_u32_e64 s15, 0, v21
	s_delay_alu instid0(VALU_DEP_2)
	v_cmp_eq_u32_e32 vcc_lo, 0, v123
	s_and_b32 s16, s15, vcc_lo
	s_wait_alu 0xfffe
	s_and_saveexec_b32 s15, s16
	s_cbranch_execz .LBB1952_590
; %bb.589:                              ;   in Loop: Header=BB1952_558 Depth=2
	s_wait_dscnt 0x0
	v_bcnt_u32_b32 v21, v21, v121
	ds_store_b32 v124, v21 offset:1056
.LBB1952_590:                           ;   in Loop: Header=BB1952_558 Depth=2
	s_wait_alu 0xfffe
	s_or_b32 exec_lo, exec_lo, s15
	v_cmp_gt_i16_e32 vcc_lo, 0, v22
	; wave barrier
	s_wait_alu 0xfffd
	v_cndmask_b32_e64 v21, 0x7fff, 0, vcc_lo
	s_delay_alu instid0(VALU_DEP_1) | instskip(NEXT) | instid1(VALU_DEP_1)
	v_xor_b32_e32 v122, v21, v22
	v_cmp_ne_u16_e32 vcc_lo, 0x8000, v122
	s_wait_alu 0xfffd
	v_cndmask_b32_e32 v21, 0x7fff, v122, vcc_lo
	s_delay_alu instid0(VALU_DEP_1) | instskip(NEXT) | instid1(VALU_DEP_1)
	v_and_b32_e32 v21, 0xffff, v21
	v_lshrrev_b32_e32 v21, s45, v21
	s_delay_alu instid0(VALU_DEP_1) | instskip(NEXT) | instid1(VALU_DEP_1)
	v_and_b32_e32 v22, s42, v21
	v_and_b32_e32 v21, 1, v22
	v_lshlrev_b32_e32 v23, 30, v22
	v_lshlrev_b32_e32 v24, 29, v22
	;; [unrolled: 1-line block ×4, first 2 shown]
	v_add_co_u32 v21, s15, v21, -1
	s_wait_alu 0xf1ff
	v_cndmask_b32_e64 v26, 0, 1, s15
	v_not_b32_e32 v127, v23
	v_cmp_gt_i32_e64 s15, 0, v23
	v_not_b32_e32 v23, v24
	v_lshlrev_b32_e32 v125, 26, v22
	v_cmp_ne_u32_e32 vcc_lo, 0, v26
	v_ashrrev_i32_e32 v127, 31, v127
	v_lshlrev_b32_e32 v126, 25, v22
	v_ashrrev_i32_e32 v23, 31, v23
	v_lshlrev_b32_e32 v26, 24, v22
	s_wait_alu 0xfffd
	v_xor_b32_e32 v21, vcc_lo, v21
	v_cmp_gt_i32_e32 vcc_lo, 0, v24
	v_not_b32_e32 v24, v25
	s_wait_alu 0xf1ff
	v_xor_b32_e32 v127, s15, v127
	v_cmp_gt_i32_e64 s15, 0, v25
	v_and_b32_e32 v21, exec_lo, v21
	v_not_b32_e32 v25, v27
	v_ashrrev_i32_e32 v24, 31, v24
	s_wait_alu 0xfffd
	v_xor_b32_e32 v23, vcc_lo, v23
	v_cmp_gt_i32_e32 vcc_lo, 0, v27
	v_and_b32_e32 v21, v21, v127
	v_not_b32_e32 v27, v125
	v_ashrrev_i32_e32 v25, 31, v25
	s_wait_alu 0xf1ff
	v_xor_b32_e32 v24, s15, v24
	v_cmp_gt_i32_e64 s15, 0, v125
	v_and_b32_e32 v21, v21, v23
	v_not_b32_e32 v23, v126
	v_ashrrev_i32_e32 v27, 31, v27
	s_wait_alu 0xfffd
	v_xor_b32_e32 v25, vcc_lo, v25
	v_cmp_gt_i32_e32 vcc_lo, 0, v126
	v_and_b32_e32 v21, v21, v24
	v_not_b32_e32 v24, v26
	v_ashrrev_i32_e32 v23, 31, v23
	s_wait_alu 0xf1ff
	v_xor_b32_e32 v27, s15, v27
	v_cmp_gt_i32_e64 s15, 0, v26
	v_and_b32_e32 v21, v21, v25
	v_ashrrev_i32_e32 v24, 31, v24
	s_wait_alu 0xfffd
	v_xor_b32_e32 v23, vcc_lo, v23
	v_mad_u32_u24 v25, v22, 36, v92
	v_mul_u32_u24_e32 v22, 36, v22
	v_and_b32_e32 v21, v21, v27
	s_wait_alu 0xf1ff
	v_xor_b32_e32 v24, s15, v24
	ds_load_b32 v125, v25 offset:1056
	v_add_nc_u32_e32 v128, v92, v22
	v_and_b32_e32 v21, v21, v23
	; wave barrier
	s_delay_alu instid0(VALU_DEP_1) | instskip(NEXT) | instid1(VALU_DEP_1)
	v_and_b32_e32 v21, v21, v24
	v_mbcnt_lo_u32_b32 v126, v21, 0
	v_cmp_ne_u32_e64 s15, 0, v21
	s_delay_alu instid0(VALU_DEP_2)
	v_cmp_eq_u32_e32 vcc_lo, 0, v126
	s_and_b32 s16, s15, vcc_lo
	s_wait_alu 0xfffe
	s_and_saveexec_b32 s15, s16
	s_cbranch_execz .LBB1952_592
; %bb.591:                              ;   in Loop: Header=BB1952_558 Depth=2
	s_wait_dscnt 0x0
	v_bcnt_u32_b32 v21, v21, v125
	ds_store_b32 v128, v21 offset:1056
.LBB1952_592:                           ;   in Loop: Header=BB1952_558 Depth=2
	s_wait_alu 0xfffe
	s_or_b32 exec_lo, exec_lo, s15
	v_cmp_gt_i16_e32 vcc_lo, 0, v20
	; wave barrier
	s_wait_alu 0xfffd
	v_cndmask_b32_e64 v21, 0x7fff, 0, vcc_lo
	s_delay_alu instid0(VALU_DEP_1) | instskip(NEXT) | instid1(VALU_DEP_1)
	v_xor_b32_e32 v127, v21, v20
	v_cmp_ne_u16_e32 vcc_lo, 0x8000, v127
	s_wait_alu 0xfffd
	v_cndmask_b32_e32 v20, 0x7fff, v127, vcc_lo
	s_delay_alu instid0(VALU_DEP_1) | instskip(NEXT) | instid1(VALU_DEP_1)
	v_and_b32_e32 v20, 0xffff, v20
	v_lshrrev_b32_e32 v20, s45, v20
	s_delay_alu instid0(VALU_DEP_1) | instskip(NEXT) | instid1(VALU_DEP_1)
	v_and_b32_e32 v21, s42, v20
	v_and_b32_e32 v20, 1, v21
	v_lshlrev_b32_e32 v22, 30, v21
	v_lshlrev_b32_e32 v23, 29, v21
	;; [unrolled: 1-line block ×4, first 2 shown]
	v_add_co_u32 v20, s15, v20, -1
	s_wait_alu 0xf1ff
	v_cndmask_b32_e64 v25, 0, 1, s15
	v_not_b32_e32 v130, v22
	v_cmp_gt_i32_e64 s15, 0, v22
	v_not_b32_e32 v22, v23
	v_lshlrev_b32_e32 v27, 26, v21
	v_cmp_ne_u32_e32 vcc_lo, 0, v25
	v_ashrrev_i32_e32 v130, 31, v130
	v_lshlrev_b32_e32 v129, 25, v21
	v_ashrrev_i32_e32 v22, 31, v22
	v_lshlrev_b32_e32 v25, 24, v21
	s_wait_alu 0xfffd
	v_xor_b32_e32 v20, vcc_lo, v20
	v_cmp_gt_i32_e32 vcc_lo, 0, v23
	v_not_b32_e32 v23, v24
	s_wait_alu 0xf1ff
	v_xor_b32_e32 v130, s15, v130
	v_cmp_gt_i32_e64 s15, 0, v24
	v_and_b32_e32 v20, exec_lo, v20
	v_not_b32_e32 v24, v26
	v_ashrrev_i32_e32 v23, 31, v23
	s_wait_alu 0xfffd
	v_xor_b32_e32 v22, vcc_lo, v22
	v_cmp_gt_i32_e32 vcc_lo, 0, v26
	v_and_b32_e32 v20, v20, v130
	v_not_b32_e32 v26, v27
	v_ashrrev_i32_e32 v24, 31, v24
	s_wait_alu 0xf1ff
	v_xor_b32_e32 v23, s15, v23
	v_cmp_gt_i32_e64 s15, 0, v27
	v_and_b32_e32 v20, v20, v22
	v_not_b32_e32 v22, v129
	v_ashrrev_i32_e32 v26, 31, v26
	s_wait_alu 0xfffd
	v_xor_b32_e32 v24, vcc_lo, v24
	v_cmp_gt_i32_e32 vcc_lo, 0, v129
	v_and_b32_e32 v20, v20, v23
	v_not_b32_e32 v23, v25
	v_ashrrev_i32_e32 v22, 31, v22
	s_wait_alu 0xf1ff
	v_xor_b32_e32 v26, s15, v26
	v_cmp_gt_i32_e64 s15, 0, v25
	v_and_b32_e32 v20, v20, v24
	v_ashrrev_i32_e32 v23, 31, v23
	s_wait_alu 0xfffd
	v_xor_b32_e32 v22, vcc_lo, v22
	v_mad_u32_u24 v24, v21, 36, v92
	v_mul_u32_u24_e32 v21, 36, v21
	v_and_b32_e32 v20, v20, v26
	s_wait_alu 0xf1ff
	v_xor_b32_e32 v23, s15, v23
	ds_load_b32 v129, v24 offset:1056
	v_add_nc_u32_e32 v131, v92, v21
	v_and_b32_e32 v20, v20, v22
	; wave barrier
	s_delay_alu instid0(VALU_DEP_1) | instskip(NEXT) | instid1(VALU_DEP_1)
	v_and_b32_e32 v20, v20, v23
	v_mbcnt_lo_u32_b32 v130, v20, 0
	v_cmp_ne_u32_e64 s15, 0, v20
	s_delay_alu instid0(VALU_DEP_2)
	v_cmp_eq_u32_e32 vcc_lo, 0, v130
	s_and_b32 s16, s15, vcc_lo
	s_wait_alu 0xfffe
	s_and_saveexec_b32 s15, s16
	s_cbranch_execz .LBB1952_594
; %bb.593:                              ;   in Loop: Header=BB1952_558 Depth=2
	s_wait_dscnt 0x0
	v_bcnt_u32_b32 v20, v20, v129
	ds_store_b32 v131, v20 offset:1056
.LBB1952_594:                           ;   in Loop: Header=BB1952_558 Depth=2
	s_wait_alu 0xfffe
	s_or_b32 exec_lo, exec_lo, s15
	; wave barrier
	s_wait_loadcnt_dscnt 0x0
	s_barrier_signal -1
	s_barrier_wait -1
	global_inv scope:SCOPE_SE
	ds_load_2addr_b32 v[26:27], v78 offset1:1
	ds_load_2addr_b32 v[24:25], v79 offset1:1
	ds_load_2addr_b32 v[22:23], v80 offset1:1
	ds_load_2addr_b32 v[20:21], v81 offset1:1
	ds_load_b32 v132, v43 offset:1088
	s_wait_dscnt 0x3
	v_add3_u32 v133, v27, v26, v24
	s_wait_dscnt 0x2
	s_delay_alu instid0(VALU_DEP_1) | instskip(SKIP_1) | instid1(VALU_DEP_1)
	v_add3_u32 v133, v133, v25, v22
	s_wait_dscnt 0x1
	v_add3_u32 v133, v133, v23, v20
	s_wait_dscnt 0x0
	s_delay_alu instid0(VALU_DEP_1) | instskip(NEXT) | instid1(VALU_DEP_1)
	v_add3_u32 v132, v133, v21, v132
	v_mov_b32_dpp v133, v132 row_shr:1 row_mask:0xf bank_mask:0xf
	s_delay_alu instid0(VALU_DEP_1) | instskip(NEXT) | instid1(VALU_DEP_1)
	v_cndmask_b32_e64 v133, v133, 0, s0
	v_add_nc_u32_e32 v132, v133, v132
	s_delay_alu instid0(VALU_DEP_1) | instskip(NEXT) | instid1(VALU_DEP_1)
	v_mov_b32_dpp v133, v132 row_shr:2 row_mask:0xf bank_mask:0xf
	v_cndmask_b32_e64 v133, 0, v133, s1
	s_delay_alu instid0(VALU_DEP_1) | instskip(NEXT) | instid1(VALU_DEP_1)
	v_add_nc_u32_e32 v132, v132, v133
	v_mov_b32_dpp v133, v132 row_shr:4 row_mask:0xf bank_mask:0xf
	s_delay_alu instid0(VALU_DEP_1) | instskip(NEXT) | instid1(VALU_DEP_1)
	v_cndmask_b32_e64 v133, 0, v133, s9
	v_add_nc_u32_e32 v132, v132, v133
	s_delay_alu instid0(VALU_DEP_1) | instskip(NEXT) | instid1(VALU_DEP_1)
	v_mov_b32_dpp v133, v132 row_shr:8 row_mask:0xf bank_mask:0xf
	v_cndmask_b32_e64 v133, 0, v133, s10
	s_delay_alu instid0(VALU_DEP_1) | instskip(SKIP_3) | instid1(VALU_DEP_1)
	v_add_nc_u32_e32 v132, v132, v133
	ds_swizzle_b32 v133, v132 offset:swizzle(BROADCAST,32,15)
	s_wait_dscnt 0x0
	v_cndmask_b32_e64 v133, v133, 0, s11
	v_add_nc_u32_e32 v132, v132, v133
	s_and_saveexec_b32 s15, s3
; %bb.595:                              ;   in Loop: Header=BB1952_558 Depth=2
	ds_store_b32 v38, v132 offset:1024
; %bb.596:                              ;   in Loop: Header=BB1952_558 Depth=2
	s_wait_alu 0xfffe
	s_or_b32 exec_lo, exec_lo, s15
	s_wait_loadcnt_dscnt 0x0
	s_barrier_signal -1
	s_barrier_wait -1
	global_inv scope:SCOPE_SE
	s_and_saveexec_b32 s15, s4
	s_cbranch_execz .LBB1952_598
; %bb.597:                              ;   in Loop: Header=BB1952_558 Depth=2
	ds_load_b32 v133, v46 offset:1024
	s_wait_dscnt 0x0
	v_mov_b32_dpp v134, v133 row_shr:1 row_mask:0xf bank_mask:0xf
	s_delay_alu instid0(VALU_DEP_1) | instskip(NEXT) | instid1(VALU_DEP_1)
	v_cndmask_b32_e64 v134, v134, 0, s12
	v_add_nc_u32_e32 v133, v134, v133
	s_delay_alu instid0(VALU_DEP_1) | instskip(NEXT) | instid1(VALU_DEP_1)
	v_mov_b32_dpp v134, v133 row_shr:2 row_mask:0xf bank_mask:0xf
	v_cndmask_b32_e64 v134, 0, v134, s13
	s_delay_alu instid0(VALU_DEP_1) | instskip(NEXT) | instid1(VALU_DEP_1)
	v_add_nc_u32_e32 v133, v133, v134
	v_mov_b32_dpp v134, v133 row_shr:4 row_mask:0xf bank_mask:0xf
	s_delay_alu instid0(VALU_DEP_1) | instskip(NEXT) | instid1(VALU_DEP_1)
	v_cndmask_b32_e64 v134, 0, v134, s14
	v_add_nc_u32_e32 v133, v133, v134
	ds_store_b32 v46, v133 offset:1024
.LBB1952_598:                           ;   in Loop: Header=BB1952_558 Depth=2
	s_wait_alu 0xfffe
	s_or_b32 exec_lo, exec_lo, s15
	v_mov_b32_e32 v133, 0
	s_wait_loadcnt_dscnt 0x0
	s_barrier_signal -1
	s_barrier_wait -1
	global_inv scope:SCOPE_SE
	s_and_saveexec_b32 s15, s5
; %bb.599:                              ;   in Loop: Header=BB1952_558 Depth=2
	ds_load_b32 v133, v38 offset:1020
; %bb.600:                              ;   in Loop: Header=BB1952_558 Depth=2
	s_wait_alu 0xfffe
	s_or_b32 exec_lo, exec_lo, s15
	s_wait_dscnt 0x0
	v_add_nc_u32_e32 v132, v133, v132
	ds_bpermute_b32 v132, v87, v132
	s_wait_dscnt 0x0
	v_cndmask_b32_e64 v132, v132, v133, s8
	s_delay_alu instid0(VALU_DEP_1) | instskip(NEXT) | instid1(VALU_DEP_1)
	v_cndmask_b32_e64 v132, v132, 0, s6
	v_add_nc_u32_e32 v26, v132, v26
	s_delay_alu instid0(VALU_DEP_1) | instskip(NEXT) | instid1(VALU_DEP_1)
	v_add_nc_u32_e32 v27, v26, v27
	v_add_nc_u32_e32 v24, v27, v24
	s_delay_alu instid0(VALU_DEP_1) | instskip(NEXT) | instid1(VALU_DEP_1)
	v_add_nc_u32_e32 v25, v24, v25
	;; [unrolled: 3-line block ×3, first 2 shown]
	v_add_nc_u32_e32 v20, v23, v20
	s_delay_alu instid0(VALU_DEP_1)
	v_add_nc_u32_e32 v21, v20, v21
	ds_store_2addr_b32 v81, v23, v20 offset1:1
	ds_store_2addr_b32 v78, v132, v26 offset1:1
	;; [unrolled: 1-line block ×4, first 2 shown]
	ds_store_b32 v43, v21 offset:1088
	s_wait_loadcnt_dscnt 0x0
	s_barrier_signal -1
	s_barrier_wait -1
	global_inv scope:SCOPE_SE
	ds_load_b32 v23, v104 offset:1056
	ds_load_b32 v24, v108 offset:1056
	;; [unrolled: 1-line block ×9, first 2 shown]
	v_mov_b32_e32 v22, 0x800
	s_and_saveexec_b32 s15, s7
; %bb.601:                              ;   in Loop: Header=BB1952_558 Depth=2
	ds_load_b32 v22, v43 offset:1092
; %bb.602:                              ;   in Loop: Header=BB1952_558 Depth=2
	s_wait_alu 0xfffe
	s_or_b32 exec_lo, exec_lo, s15
	s_wait_loadcnt_dscnt 0x0
	s_barrier_signal -1
	s_barrier_wait -1
	global_inv scope:SCOPE_SE
	s_and_saveexec_b32 s15, s2
	s_cbranch_execz .LBB1952_604
; %bb.603:                              ;   in Loop: Header=BB1952_558 Depth=2
	ds_load_b32 v108, v28
	s_wait_dscnt 0x0
	v_sub_nc_u32_e32 v104, v108, v104
	ds_store_b32 v28, v104
.LBB1952_604:                           ;   in Loop: Header=BB1952_558 Depth=2
	s_wait_alu 0xfffe
	s_or_b32 exec_lo, exec_lo, s15
	v_add_nc_u32_e32 v108, v23, v102
	v_add3_u32 v104, v106, v105, v24
	v_add3_u32 v102, v111, v109, v25
	;; [unrolled: 1-line block ×4, first 2 shown]
	v_lshlrev_b32_e32 v105, 1, v108
	v_lshlrev_b32_e32 v106, 1, v104
	v_add3_u32 v23, v123, v121, v112
	v_lshlrev_b32_e32 v109, 1, v102
	v_add3_u32 v27, v126, v125, v20
	v_add3_u32 v26, v130, v129, v21
	ds_store_b16 v105, v2 offset:1024
	ds_store_b16 v106, v103 offset:1024
	;; [unrolled: 1-line block ×3, first 2 shown]
	v_lshlrev_b32_e32 v2, 1, v25
	v_cmp_lt_u32_e32 vcc_lo, v1, v101
	v_lshlrev_b32_e32 v20, 1, v24
	v_lshlrev_b32_e32 v21, 1, v23
	;; [unrolled: 1-line block ×4, first 2 shown]
	ds_store_b16 v2, v110 offset:1024
	ds_store_b16 v20, v114 offset:1024
	;; [unrolled: 1-line block ×5, first 2 shown]
	s_wait_loadcnt_dscnt 0x0
	s_barrier_signal -1
	s_barrier_wait -1
	global_inv scope:SCOPE_SE
	s_and_saveexec_b32 s16, vcc_lo
	s_cbranch_execnz .LBB1952_641
; %bb.605:                              ;   in Loop: Header=BB1952_558 Depth=2
	s_wait_alu 0xfffe
	s_or_b32 exec_lo, exec_lo, s16
	v_cmp_lt_u32_e64 s15, v29, v101
	s_and_saveexec_b32 s17, s15
	s_cbranch_execnz .LBB1952_642
.LBB1952_606:                           ;   in Loop: Header=BB1952_558 Depth=2
	s_wait_alu 0xfffe
	s_or_b32 exec_lo, exec_lo, s17
	v_cmp_lt_u32_e64 s16, v30, v101
	s_and_saveexec_b32 s18, s16
	s_cbranch_execnz .LBB1952_643
.LBB1952_607:                           ;   in Loop: Header=BB1952_558 Depth=2
	s_wait_alu 0xfffe
	s_or_b32 exec_lo, exec_lo, s18
	v_cmp_lt_u32_e64 s17, v31, v101
	s_and_saveexec_b32 s19, s17
	s_cbranch_execnz .LBB1952_644
.LBB1952_608:                           ;   in Loop: Header=BB1952_558 Depth=2
	s_wait_alu 0xfffe
	s_or_b32 exec_lo, exec_lo, s19
	v_cmp_lt_u32_e64 s18, v34, v101
	s_and_saveexec_b32 s20, s18
	s_cbranch_execnz .LBB1952_645
.LBB1952_609:                           ;   in Loop: Header=BB1952_558 Depth=2
	s_wait_alu 0xfffe
	s_or_b32 exec_lo, exec_lo, s20
	v_cmp_lt_u32_e64 s19, v35, v101
	s_and_saveexec_b32 s21, s19
	s_cbranch_execnz .LBB1952_646
.LBB1952_610:                           ;   in Loop: Header=BB1952_558 Depth=2
	s_wait_alu 0xfffe
	s_or_b32 exec_lo, exec_lo, s21
	v_cmp_lt_u32_e64 s20, v36, v101
	s_and_saveexec_b32 s22, s20
	s_cbranch_execnz .LBB1952_647
.LBB1952_611:                           ;   in Loop: Header=BB1952_558 Depth=2
	s_wait_alu 0xfffe
	s_or_b32 exec_lo, exec_lo, s22
	v_cmp_lt_u32_e64 s21, v37, v101
	s_and_saveexec_b32 s48, s21
	s_cbranch_execz .LBB1952_613
.LBB1952_612:                           ;   in Loop: Header=BB1952_558 Depth=2
	ds_load_u16 v103, v47 offset:4608
	s_wait_dscnt 0x0
	v_cmp_ne_u16_e64 s22, 0x8000, v103
	s_wait_alu 0xf1ff
	s_delay_alu instid0(VALU_DEP_1) | instskip(SKIP_1) | instid1(VALU_DEP_2)
	v_cndmask_b32_e64 v2, 0x7fff, v103, s22
	v_cmp_gt_i16_e64 s22, 0, v103
	v_and_b32_e32 v2, 0xffff, v2
	s_wait_alu 0xf1ff
	s_delay_alu instid0(VALU_DEP_2) | instskip(NEXT) | instid1(VALU_DEP_2)
	v_cndmask_b32_e64 v105, 0x7fff, 0, s22
	v_lshrrev_b32_e32 v2, s45, v2
	s_delay_alu instid0(VALU_DEP_1) | instskip(NEXT) | instid1(VALU_DEP_1)
	v_and_b32_e32 v2, s42, v2
	v_lshlrev_b32_e32 v2, 2, v2
	ds_load_b32 v2, v2
	s_wait_dscnt 0x0
	v_add_nc_u32_e32 v2, v2, v37
	s_delay_alu instid0(VALU_DEP_1) | instskip(SKIP_1) | instid1(VALU_DEP_2)
	v_lshlrev_b64_e32 v[20:21], 1, v[2:3]
	v_xor_b32_e32 v2, v105, v103
	v_add_co_u32 v20, s22, s40, v20
	s_wait_alu 0xf1ff
	s_delay_alu instid0(VALU_DEP_3)
	v_add_co_ci_u32_e64 v21, null, s41, v21, s22
	global_store_b16 v[20:21], v2, off
.LBB1952_613:                           ;   in Loop: Header=BB1952_558 Depth=2
	s_wait_alu 0xfffe
	s_or_b32 exec_lo, exec_lo, s48
	s_lshl_b64 s[48:49], s[30:31], 3
	s_wait_alu 0xfffe
	v_add_co_u32 v20, s22, v88, s48
	s_wait_alu 0xf1ff
	v_add_co_ci_u32_e64 v21, null, s49, v89, s22
	v_cmp_lt_u32_e64 s22, v66, v101
	s_and_saveexec_b32 s30, s22
	s_wait_alu 0xfffe
	s_xor_b32 s22, exec_lo, s30
	s_cbranch_execnz .LBB1952_648
; %bb.614:                              ;   in Loop: Header=BB1952_558 Depth=2
	s_wait_alu 0xfffe
	s_or_b32 exec_lo, exec_lo, s22
	s_delay_alu instid0(SALU_CYCLE_1)
	s_mov_b32 s30, exec_lo
	v_cmpx_lt_u32_e64 v70, v101
	s_cbranch_execnz .LBB1952_649
.LBB1952_615:                           ;   in Loop: Header=BB1952_558 Depth=2
	s_wait_alu 0xfffe
	s_or_b32 exec_lo, exec_lo, s30
	s_delay_alu instid0(SALU_CYCLE_1)
	s_mov_b32 s30, exec_lo
	v_cmpx_lt_u32_e64 v71, v101
	s_cbranch_execnz .LBB1952_650
.LBB1952_616:                           ;   in Loop: Header=BB1952_558 Depth=2
	s_wait_alu 0xfffe
	s_or_b32 exec_lo, exec_lo, s30
	s_delay_alu instid0(SALU_CYCLE_1)
	s_mov_b32 s30, exec_lo
	v_cmpx_lt_u32_e64 v72, v101
	s_cbranch_execnz .LBB1952_651
.LBB1952_617:                           ;   in Loop: Header=BB1952_558 Depth=2
	s_wait_alu 0xfffe
	s_or_b32 exec_lo, exec_lo, s30
	s_delay_alu instid0(SALU_CYCLE_1)
	s_mov_b32 s30, exec_lo
	v_cmpx_lt_u32_e64 v73, v101
	s_cbranch_execnz .LBB1952_652
.LBB1952_618:                           ;   in Loop: Header=BB1952_558 Depth=2
	s_wait_alu 0xfffe
	s_or_b32 exec_lo, exec_lo, s30
	s_delay_alu instid0(SALU_CYCLE_1)
	s_mov_b32 s30, exec_lo
	v_cmpx_lt_u32_e64 v74, v101
	s_cbranch_execnz .LBB1952_653
.LBB1952_619:                           ;   in Loop: Header=BB1952_558 Depth=2
	s_wait_alu 0xfffe
	s_or_b32 exec_lo, exec_lo, s30
	s_delay_alu instid0(SALU_CYCLE_1)
	s_mov_b32 s30, exec_lo
	v_cmpx_lt_u32_e64 v75, v101
	s_cbranch_execnz .LBB1952_654
.LBB1952_620:                           ;   in Loop: Header=BB1952_558 Depth=2
	s_wait_alu 0xfffe
	s_or_b32 exec_lo, exec_lo, s30
	s_delay_alu instid0(SALU_CYCLE_1)
	s_mov_b32 s30, exec_lo
	v_cmpx_lt_u32_e64 v76, v101
	s_cbranch_execnz .LBB1952_655
.LBB1952_621:                           ;   in Loop: Header=BB1952_558 Depth=2
	s_wait_alu 0xfffe
	s_or_b32 exec_lo, exec_lo, s30
	s_and_saveexec_b32 s30, vcc_lo
	s_cbranch_execnz .LBB1952_656
.LBB1952_622:                           ;   in Loop: Header=BB1952_558 Depth=2
	s_wait_alu 0xfffe
	s_or_b32 exec_lo, exec_lo, s30
	s_and_saveexec_b32 s30, s15
	s_cbranch_execnz .LBB1952_657
.LBB1952_623:                           ;   in Loop: Header=BB1952_558 Depth=2
	s_wait_alu 0xfffe
	s_or_b32 exec_lo, exec_lo, s30
	s_and_saveexec_b32 s30, s16
	s_cbranch_execnz .LBB1952_658
.LBB1952_624:                           ;   in Loop: Header=BB1952_558 Depth=2
	s_wait_alu 0xfffe
	s_or_b32 exec_lo, exec_lo, s30
	s_and_saveexec_b32 s30, s17
	s_cbranch_execnz .LBB1952_659
.LBB1952_625:                           ;   in Loop: Header=BB1952_558 Depth=2
	s_wait_alu 0xfffe
	s_or_b32 exec_lo, exec_lo, s30
	s_and_saveexec_b32 s30, s18
	s_cbranch_execnz .LBB1952_660
.LBB1952_626:                           ;   in Loop: Header=BB1952_558 Depth=2
	s_wait_alu 0xfffe
	s_or_b32 exec_lo, exec_lo, s30
	s_and_saveexec_b32 s30, s19
	s_cbranch_execnz .LBB1952_661
.LBB1952_627:                           ;   in Loop: Header=BB1952_558 Depth=2
	s_wait_alu 0xfffe
	s_or_b32 exec_lo, exec_lo, s30
	s_and_saveexec_b32 s30, s20
	s_cbranch_execnz .LBB1952_662
.LBB1952_628:                           ;   in Loop: Header=BB1952_558 Depth=2
	s_wait_alu 0xfffe
	s_or_b32 exec_lo, exec_lo, s30
	s_and_saveexec_b32 s30, s21
	s_cbranch_execz .LBB1952_630
.LBB1952_629:                           ;   in Loop: Header=BB1952_558 Depth=2
	ds_load_u16 v2, v47 offset:4608
	s_wait_dscnt 0x0
	v_cmp_ne_u16_e64 s22, 0x8000, v2
	s_wait_alu 0xf1ff
	s_delay_alu instid0(VALU_DEP_1) | instskip(NEXT) | instid1(VALU_DEP_1)
	v_cndmask_b32_e64 v2, 0x7fff, v2, s22
	v_and_b32_e32 v2, 0xffff, v2
	s_delay_alu instid0(VALU_DEP_1) | instskip(NEXT) | instid1(VALU_DEP_1)
	v_lshrrev_b32_e32 v2, s45, v2
	v_and_b32_e32 v93, s42, v2
.LBB1952_630:                           ;   in Loop: Header=BB1952_558 Depth=2
	s_wait_alu 0xfffe
	s_or_b32 exec_lo, exec_lo, s30
	v_lshlrev_b32_e32 v2, 3, v108
	v_lshlrev_b32_e32 v20, 3, v104
	;; [unrolled: 1-line block ×3, first 2 shown]
	s_wait_loadcnt 0x0
	s_wait_storecnt 0x0
	s_barrier_signal -1
	s_barrier_wait -1
	global_inv scope:SCOPE_SE
	ds_store_b64 v2, v[18:19] offset:1024
	ds_store_b64 v20, v[16:17] offset:1024
	;; [unrolled: 1-line block ×3, first 2 shown]
	v_lshlrev_b32_e32 v2, 3, v25
	v_lshlrev_b32_e32 v20, 3, v24
	;; [unrolled: 1-line block ×5, first 2 shown]
	ds_store_b64 v2, v[12:13] offset:1024
	ds_store_b64 v20, v[10:11] offset:1024
	;; [unrolled: 1-line block ×5, first 2 shown]
	v_add_nc_u32_e32 v20, v47, v48
	s_wait_loadcnt_dscnt 0x0
	s_barrier_signal -1
	s_barrier_wait -1
	global_inv scope:SCOPE_SE
	s_and_saveexec_b32 s22, vcc_lo
	s_cbranch_execnz .LBB1952_663
; %bb.631:                              ;   in Loop: Header=BB1952_558 Depth=2
	s_wait_alu 0xfffe
	s_or_b32 exec_lo, exec_lo, s22
	s_and_saveexec_b32 s22, s15
	s_cbranch_execnz .LBB1952_664
.LBB1952_632:                           ;   in Loop: Header=BB1952_558 Depth=2
	s_wait_alu 0xfffe
	s_or_b32 exec_lo, exec_lo, s22
	s_and_saveexec_b32 s15, s16
	s_cbranch_execnz .LBB1952_665
.LBB1952_633:                           ;   in Loop: Header=BB1952_558 Depth=2
	s_wait_alu 0xfffe
	s_or_b32 exec_lo, exec_lo, s15
	s_and_saveexec_b32 s15, s17
	s_cbranch_execnz .LBB1952_666
.LBB1952_634:                           ;   in Loop: Header=BB1952_558 Depth=2
	s_wait_alu 0xfffe
	s_or_b32 exec_lo, exec_lo, s15
	s_and_saveexec_b32 s15, s18
	s_cbranch_execnz .LBB1952_667
.LBB1952_635:                           ;   in Loop: Header=BB1952_558 Depth=2
	s_wait_alu 0xfffe
	s_or_b32 exec_lo, exec_lo, s15
	s_and_saveexec_b32 s15, s19
	s_cbranch_execnz .LBB1952_668
.LBB1952_636:                           ;   in Loop: Header=BB1952_558 Depth=2
	s_wait_alu 0xfffe
	s_or_b32 exec_lo, exec_lo, s15
	s_and_saveexec_b32 s15, s20
	s_cbranch_execnz .LBB1952_669
.LBB1952_637:                           ;   in Loop: Header=BB1952_558 Depth=2
	s_wait_alu 0xfffe
	s_or_b32 exec_lo, exec_lo, s15
	s_and_saveexec_b32 s15, s21
	s_cbranch_execz .LBB1952_639
.LBB1952_638:                           ;   in Loop: Header=BB1952_558 Depth=2
	v_lshlrev_b32_e32 v2, 2, v93
	ds_load_b32 v2, v2
	ds_load_b64 v[20:21], v20 offset:15360
	s_wait_dscnt 0x1
	v_add_nc_u32_e32 v2, v2, v37
	s_delay_alu instid0(VALU_DEP_1) | instskip(NEXT) | instid1(VALU_DEP_1)
	v_lshlrev_b64_e32 v[23:24], 3, v[2:3]
	v_add_co_u32 v23, vcc_lo, s26, v23
	s_wait_alu 0xfffd
	s_delay_alu instid0(VALU_DEP_2)
	v_add_co_ci_u32_e64 v24, null, s27, v24, vcc_lo
	s_wait_dscnt 0x0
	global_store_b64 v[23:24], v[20:21], off
.LBB1952_639:                           ;   in Loop: Header=BB1952_558 Depth=2
	s_wait_alu 0xfffe
	s_or_b32 exec_lo, exec_lo, s15
	s_wait_loadcnt 0x0
	s_wait_storecnt 0x0
	s_barrier_signal -1
	s_barrier_wait -1
	global_inv scope:SCOPE_SE
	s_and_saveexec_b32 s15, s2
	s_cbranch_execz .LBB1952_557
; %bb.640:                              ;   in Loop: Header=BB1952_558 Depth=2
	ds_load_b32 v2, v28
	s_wait_dscnt 0x0
	v_add_nc_u32_e32 v2, v2, v22
	ds_store_b32 v28, v2
	s_branch .LBB1952_557
.LBB1952_641:                           ;   in Loop: Header=BB1952_558 Depth=2
	ds_load_u16 v103, v47 offset:1024
	s_wait_dscnt 0x0
	v_cmp_ne_u16_e64 s15, 0x8000, v103
	s_wait_alu 0xf1ff
	s_delay_alu instid0(VALU_DEP_1) | instskip(SKIP_1) | instid1(VALU_DEP_2)
	v_cndmask_b32_e64 v2, 0x7fff, v103, s15
	v_cmp_gt_i16_e64 s15, 0, v103
	v_and_b32_e32 v2, 0xffff, v2
	s_wait_alu 0xf1ff
	s_delay_alu instid0(VALU_DEP_2) | instskip(NEXT) | instid1(VALU_DEP_2)
	v_cndmask_b32_e64 v105, 0x7fff, 0, s15
	v_lshrrev_b32_e32 v2, s45, v2
	s_delay_alu instid0(VALU_DEP_1) | instskip(NEXT) | instid1(VALU_DEP_1)
	v_and_b32_e32 v2, s42, v2
	v_lshlrev_b32_e32 v2, 2, v2
	ds_load_b32 v2, v2
	s_wait_dscnt 0x0
	v_add_nc_u32_e32 v2, v2, v1
	s_delay_alu instid0(VALU_DEP_1) | instskip(SKIP_1) | instid1(VALU_DEP_2)
	v_lshlrev_b64_e32 v[20:21], 1, v[2:3]
	v_xor_b32_e32 v2, v105, v103
	v_add_co_u32 v20, s15, s40, v20
	s_wait_alu 0xf1ff
	s_delay_alu instid0(VALU_DEP_3)
	v_add_co_ci_u32_e64 v21, null, s41, v21, s15
	global_store_b16 v[20:21], v2, off
	s_wait_alu 0xfffe
	s_or_b32 exec_lo, exec_lo, s16
	v_cmp_lt_u32_e64 s15, v29, v101
	s_and_saveexec_b32 s17, s15
	s_cbranch_execz .LBB1952_606
.LBB1952_642:                           ;   in Loop: Header=BB1952_558 Depth=2
	ds_load_u16 v103, v47 offset:1536
	s_wait_dscnt 0x0
	v_cmp_ne_u16_e64 s16, 0x8000, v103
	s_wait_alu 0xf1ff
	s_delay_alu instid0(VALU_DEP_1) | instskip(SKIP_1) | instid1(VALU_DEP_2)
	v_cndmask_b32_e64 v2, 0x7fff, v103, s16
	v_cmp_gt_i16_e64 s16, 0, v103
	v_and_b32_e32 v2, 0xffff, v2
	s_wait_alu 0xf1ff
	s_delay_alu instid0(VALU_DEP_2) | instskip(NEXT) | instid1(VALU_DEP_2)
	v_cndmask_b32_e64 v105, 0x7fff, 0, s16
	v_lshrrev_b32_e32 v2, s45, v2
	s_delay_alu instid0(VALU_DEP_1) | instskip(NEXT) | instid1(VALU_DEP_1)
	v_and_b32_e32 v2, s42, v2
	v_lshlrev_b32_e32 v2, 2, v2
	ds_load_b32 v2, v2
	s_wait_dscnt 0x0
	v_add_nc_u32_e32 v2, v2, v29
	s_delay_alu instid0(VALU_DEP_1) | instskip(SKIP_1) | instid1(VALU_DEP_2)
	v_lshlrev_b64_e32 v[20:21], 1, v[2:3]
	v_xor_b32_e32 v2, v105, v103
	v_add_co_u32 v20, s16, s40, v20
	s_wait_alu 0xf1ff
	s_delay_alu instid0(VALU_DEP_3)
	v_add_co_ci_u32_e64 v21, null, s41, v21, s16
	global_store_b16 v[20:21], v2, off
	s_wait_alu 0xfffe
	s_or_b32 exec_lo, exec_lo, s17
	v_cmp_lt_u32_e64 s16, v30, v101
	s_and_saveexec_b32 s18, s16
	s_cbranch_execz .LBB1952_607
.LBB1952_643:                           ;   in Loop: Header=BB1952_558 Depth=2
	ds_load_u16 v103, v47 offset:2048
	s_wait_dscnt 0x0
	v_cmp_ne_u16_e64 s17, 0x8000, v103
	s_wait_alu 0xf1ff
	s_delay_alu instid0(VALU_DEP_1) | instskip(SKIP_1) | instid1(VALU_DEP_2)
	v_cndmask_b32_e64 v2, 0x7fff, v103, s17
	v_cmp_gt_i16_e64 s17, 0, v103
	v_and_b32_e32 v2, 0xffff, v2
	s_wait_alu 0xf1ff
	s_delay_alu instid0(VALU_DEP_2) | instskip(NEXT) | instid1(VALU_DEP_2)
	v_cndmask_b32_e64 v105, 0x7fff, 0, s17
	v_lshrrev_b32_e32 v2, s45, v2
	s_delay_alu instid0(VALU_DEP_1) | instskip(NEXT) | instid1(VALU_DEP_1)
	v_and_b32_e32 v2, s42, v2
	v_lshlrev_b32_e32 v2, 2, v2
	ds_load_b32 v2, v2
	s_wait_dscnt 0x0
	v_add_nc_u32_e32 v2, v2, v30
	s_delay_alu instid0(VALU_DEP_1) | instskip(SKIP_1) | instid1(VALU_DEP_2)
	v_lshlrev_b64_e32 v[20:21], 1, v[2:3]
	v_xor_b32_e32 v2, v105, v103
	v_add_co_u32 v20, s17, s40, v20
	s_wait_alu 0xf1ff
	s_delay_alu instid0(VALU_DEP_3)
	v_add_co_ci_u32_e64 v21, null, s41, v21, s17
	global_store_b16 v[20:21], v2, off
	s_wait_alu 0xfffe
	s_or_b32 exec_lo, exec_lo, s18
	v_cmp_lt_u32_e64 s17, v31, v101
	s_and_saveexec_b32 s19, s17
	s_cbranch_execz .LBB1952_608
.LBB1952_644:                           ;   in Loop: Header=BB1952_558 Depth=2
	ds_load_u16 v103, v47 offset:2560
	s_wait_dscnt 0x0
	v_cmp_ne_u16_e64 s18, 0x8000, v103
	s_wait_alu 0xf1ff
	s_delay_alu instid0(VALU_DEP_1) | instskip(SKIP_1) | instid1(VALU_DEP_2)
	v_cndmask_b32_e64 v2, 0x7fff, v103, s18
	v_cmp_gt_i16_e64 s18, 0, v103
	v_and_b32_e32 v2, 0xffff, v2
	s_wait_alu 0xf1ff
	s_delay_alu instid0(VALU_DEP_2) | instskip(NEXT) | instid1(VALU_DEP_2)
	v_cndmask_b32_e64 v105, 0x7fff, 0, s18
	v_lshrrev_b32_e32 v2, s45, v2
	s_delay_alu instid0(VALU_DEP_1) | instskip(NEXT) | instid1(VALU_DEP_1)
	v_and_b32_e32 v2, s42, v2
	v_lshlrev_b32_e32 v2, 2, v2
	ds_load_b32 v2, v2
	s_wait_dscnt 0x0
	v_add_nc_u32_e32 v2, v2, v31
	s_delay_alu instid0(VALU_DEP_1) | instskip(SKIP_1) | instid1(VALU_DEP_2)
	v_lshlrev_b64_e32 v[20:21], 1, v[2:3]
	v_xor_b32_e32 v2, v105, v103
	v_add_co_u32 v20, s18, s40, v20
	s_wait_alu 0xf1ff
	s_delay_alu instid0(VALU_DEP_3)
	v_add_co_ci_u32_e64 v21, null, s41, v21, s18
	global_store_b16 v[20:21], v2, off
	s_wait_alu 0xfffe
	s_or_b32 exec_lo, exec_lo, s19
	v_cmp_lt_u32_e64 s18, v34, v101
	s_and_saveexec_b32 s20, s18
	s_cbranch_execz .LBB1952_609
.LBB1952_645:                           ;   in Loop: Header=BB1952_558 Depth=2
	ds_load_u16 v103, v47 offset:3072
	s_wait_dscnt 0x0
	v_cmp_ne_u16_e64 s19, 0x8000, v103
	s_wait_alu 0xf1ff
	s_delay_alu instid0(VALU_DEP_1) | instskip(SKIP_1) | instid1(VALU_DEP_2)
	v_cndmask_b32_e64 v2, 0x7fff, v103, s19
	v_cmp_gt_i16_e64 s19, 0, v103
	v_and_b32_e32 v2, 0xffff, v2
	s_wait_alu 0xf1ff
	s_delay_alu instid0(VALU_DEP_2) | instskip(NEXT) | instid1(VALU_DEP_2)
	v_cndmask_b32_e64 v105, 0x7fff, 0, s19
	v_lshrrev_b32_e32 v2, s45, v2
	s_delay_alu instid0(VALU_DEP_1) | instskip(NEXT) | instid1(VALU_DEP_1)
	v_and_b32_e32 v2, s42, v2
	v_lshlrev_b32_e32 v2, 2, v2
	ds_load_b32 v2, v2
	s_wait_dscnt 0x0
	v_add_nc_u32_e32 v2, v2, v34
	s_delay_alu instid0(VALU_DEP_1) | instskip(SKIP_1) | instid1(VALU_DEP_2)
	v_lshlrev_b64_e32 v[20:21], 1, v[2:3]
	v_xor_b32_e32 v2, v105, v103
	v_add_co_u32 v20, s19, s40, v20
	s_wait_alu 0xf1ff
	s_delay_alu instid0(VALU_DEP_3)
	v_add_co_ci_u32_e64 v21, null, s41, v21, s19
	global_store_b16 v[20:21], v2, off
	s_wait_alu 0xfffe
	s_or_b32 exec_lo, exec_lo, s20
	v_cmp_lt_u32_e64 s19, v35, v101
	s_and_saveexec_b32 s21, s19
	s_cbranch_execz .LBB1952_610
.LBB1952_646:                           ;   in Loop: Header=BB1952_558 Depth=2
	ds_load_u16 v103, v47 offset:3584
	s_wait_dscnt 0x0
	v_cmp_ne_u16_e64 s20, 0x8000, v103
	s_wait_alu 0xf1ff
	s_delay_alu instid0(VALU_DEP_1) | instskip(SKIP_1) | instid1(VALU_DEP_2)
	v_cndmask_b32_e64 v2, 0x7fff, v103, s20
	v_cmp_gt_i16_e64 s20, 0, v103
	v_and_b32_e32 v2, 0xffff, v2
	s_wait_alu 0xf1ff
	s_delay_alu instid0(VALU_DEP_2) | instskip(NEXT) | instid1(VALU_DEP_2)
	v_cndmask_b32_e64 v105, 0x7fff, 0, s20
	v_lshrrev_b32_e32 v2, s45, v2
	s_delay_alu instid0(VALU_DEP_1) | instskip(NEXT) | instid1(VALU_DEP_1)
	v_and_b32_e32 v2, s42, v2
	v_lshlrev_b32_e32 v2, 2, v2
	ds_load_b32 v2, v2
	s_wait_dscnt 0x0
	v_add_nc_u32_e32 v2, v2, v35
	s_delay_alu instid0(VALU_DEP_1) | instskip(SKIP_1) | instid1(VALU_DEP_2)
	v_lshlrev_b64_e32 v[20:21], 1, v[2:3]
	v_xor_b32_e32 v2, v105, v103
	v_add_co_u32 v20, s20, s40, v20
	s_wait_alu 0xf1ff
	s_delay_alu instid0(VALU_DEP_3)
	v_add_co_ci_u32_e64 v21, null, s41, v21, s20
	global_store_b16 v[20:21], v2, off
	s_wait_alu 0xfffe
	s_or_b32 exec_lo, exec_lo, s21
	v_cmp_lt_u32_e64 s20, v36, v101
	s_and_saveexec_b32 s22, s20
	s_cbranch_execz .LBB1952_611
.LBB1952_647:                           ;   in Loop: Header=BB1952_558 Depth=2
	ds_load_u16 v103, v47 offset:4096
	s_wait_dscnt 0x0
	v_cmp_ne_u16_e64 s21, 0x8000, v103
	s_wait_alu 0xf1ff
	s_delay_alu instid0(VALU_DEP_1) | instskip(SKIP_1) | instid1(VALU_DEP_2)
	v_cndmask_b32_e64 v2, 0x7fff, v103, s21
	v_cmp_gt_i16_e64 s21, 0, v103
	v_and_b32_e32 v2, 0xffff, v2
	s_wait_alu 0xf1ff
	s_delay_alu instid0(VALU_DEP_2) | instskip(NEXT) | instid1(VALU_DEP_2)
	v_cndmask_b32_e64 v105, 0x7fff, 0, s21
	v_lshrrev_b32_e32 v2, s45, v2
	s_delay_alu instid0(VALU_DEP_1) | instskip(NEXT) | instid1(VALU_DEP_1)
	v_and_b32_e32 v2, s42, v2
	v_lshlrev_b32_e32 v2, 2, v2
	ds_load_b32 v2, v2
	s_wait_dscnt 0x0
	v_add_nc_u32_e32 v2, v2, v36
	s_delay_alu instid0(VALU_DEP_1) | instskip(SKIP_1) | instid1(VALU_DEP_2)
	v_lshlrev_b64_e32 v[20:21], 1, v[2:3]
	v_xor_b32_e32 v2, v105, v103
	v_add_co_u32 v20, s21, s40, v20
	s_wait_alu 0xf1ff
	s_delay_alu instid0(VALU_DEP_3)
	v_add_co_ci_u32_e64 v21, null, s41, v21, s21
	global_store_b16 v[20:21], v2, off
	s_wait_alu 0xfffe
	s_or_b32 exec_lo, exec_lo, s22
	v_cmp_lt_u32_e64 s21, v37, v101
	s_and_saveexec_b32 s48, s21
	s_cbranch_execnz .LBB1952_612
	s_branch .LBB1952_613
.LBB1952_648:                           ;   in Loop: Header=BB1952_558 Depth=2
	global_load_b64 v[18:19], v[20:21], off
	s_wait_alu 0xfffe
	s_or_b32 exec_lo, exec_lo, s22
	s_delay_alu instid0(SALU_CYCLE_1)
	s_mov_b32 s30, exec_lo
	v_cmpx_lt_u32_e64 v70, v101
	s_cbranch_execz .LBB1952_615
.LBB1952_649:                           ;   in Loop: Header=BB1952_558 Depth=2
	global_load_b64 v[16:17], v[20:21], off offset:256
	s_wait_alu 0xfffe
	s_or_b32 exec_lo, exec_lo, s30
	s_delay_alu instid0(SALU_CYCLE_1)
	s_mov_b32 s30, exec_lo
	v_cmpx_lt_u32_e64 v71, v101
	s_cbranch_execz .LBB1952_616
.LBB1952_650:                           ;   in Loop: Header=BB1952_558 Depth=2
	global_load_b64 v[14:15], v[20:21], off offset:512
	s_wait_alu 0xfffe
	s_or_b32 exec_lo, exec_lo, s30
	s_delay_alu instid0(SALU_CYCLE_1)
	s_mov_b32 s30, exec_lo
	v_cmpx_lt_u32_e64 v72, v101
	s_cbranch_execz .LBB1952_617
.LBB1952_651:                           ;   in Loop: Header=BB1952_558 Depth=2
	global_load_b64 v[12:13], v[20:21], off offset:768
	s_wait_alu 0xfffe
	s_or_b32 exec_lo, exec_lo, s30
	s_delay_alu instid0(SALU_CYCLE_1)
	s_mov_b32 s30, exec_lo
	v_cmpx_lt_u32_e64 v73, v101
	s_cbranch_execz .LBB1952_618
.LBB1952_652:                           ;   in Loop: Header=BB1952_558 Depth=2
	global_load_b64 v[10:11], v[20:21], off offset:1024
	s_wait_alu 0xfffe
	s_or_b32 exec_lo, exec_lo, s30
	s_delay_alu instid0(SALU_CYCLE_1)
	s_mov_b32 s30, exec_lo
	v_cmpx_lt_u32_e64 v74, v101
	s_cbranch_execz .LBB1952_619
.LBB1952_653:                           ;   in Loop: Header=BB1952_558 Depth=2
	global_load_b64 v[8:9], v[20:21], off offset:1280
	s_wait_alu 0xfffe
	s_or_b32 exec_lo, exec_lo, s30
	s_delay_alu instid0(SALU_CYCLE_1)
	s_mov_b32 s30, exec_lo
	v_cmpx_lt_u32_e64 v75, v101
	s_cbranch_execz .LBB1952_620
.LBB1952_654:                           ;   in Loop: Header=BB1952_558 Depth=2
	global_load_b64 v[6:7], v[20:21], off offset:1536
	s_wait_alu 0xfffe
	s_or_b32 exec_lo, exec_lo, s30
	s_delay_alu instid0(SALU_CYCLE_1)
	s_mov_b32 s30, exec_lo
	v_cmpx_lt_u32_e64 v76, v101
	s_cbranch_execz .LBB1952_621
.LBB1952_655:                           ;   in Loop: Header=BB1952_558 Depth=2
	global_load_b64 v[4:5], v[20:21], off offset:1792
	s_wait_alu 0xfffe
	s_or_b32 exec_lo, exec_lo, s30
	s_and_saveexec_b32 s30, vcc_lo
	s_cbranch_execz .LBB1952_622
.LBB1952_656:                           ;   in Loop: Header=BB1952_558 Depth=2
	ds_load_u16 v2, v47 offset:1024
	s_wait_dscnt 0x0
	v_cmp_ne_u16_e64 s22, 0x8000, v2
	s_wait_alu 0xf1ff
	s_delay_alu instid0(VALU_DEP_1) | instskip(NEXT) | instid1(VALU_DEP_1)
	v_cndmask_b32_e64 v2, 0x7fff, v2, s22
	v_and_b32_e32 v2, 0xffff, v2
	s_delay_alu instid0(VALU_DEP_1) | instskip(NEXT) | instid1(VALU_DEP_1)
	v_lshrrev_b32_e32 v2, s45, v2
	v_and_b32_e32 v100, s42, v2
	s_wait_alu 0xfffe
	s_or_b32 exec_lo, exec_lo, s30
	s_and_saveexec_b32 s30, s15
	s_cbranch_execz .LBB1952_623
.LBB1952_657:                           ;   in Loop: Header=BB1952_558 Depth=2
	ds_load_u16 v2, v47 offset:1536
	s_wait_dscnt 0x0
	v_cmp_ne_u16_e64 s22, 0x8000, v2
	s_wait_alu 0xf1ff
	s_delay_alu instid0(VALU_DEP_1) | instskip(NEXT) | instid1(VALU_DEP_1)
	v_cndmask_b32_e64 v2, 0x7fff, v2, s22
	v_and_b32_e32 v2, 0xffff, v2
	s_delay_alu instid0(VALU_DEP_1) | instskip(NEXT) | instid1(VALU_DEP_1)
	v_lshrrev_b32_e32 v2, s45, v2
	v_and_b32_e32 v99, s42, v2
	s_wait_alu 0xfffe
	s_or_b32 exec_lo, exec_lo, s30
	s_and_saveexec_b32 s30, s16
	s_cbranch_execz .LBB1952_624
.LBB1952_658:                           ;   in Loop: Header=BB1952_558 Depth=2
	ds_load_u16 v2, v47 offset:2048
	s_wait_dscnt 0x0
	v_cmp_ne_u16_e64 s22, 0x8000, v2
	s_wait_alu 0xf1ff
	s_delay_alu instid0(VALU_DEP_1) | instskip(NEXT) | instid1(VALU_DEP_1)
	v_cndmask_b32_e64 v2, 0x7fff, v2, s22
	v_and_b32_e32 v2, 0xffff, v2
	s_delay_alu instid0(VALU_DEP_1) | instskip(NEXT) | instid1(VALU_DEP_1)
	v_lshrrev_b32_e32 v2, s45, v2
	v_and_b32_e32 v98, s42, v2
	s_wait_alu 0xfffe
	s_or_b32 exec_lo, exec_lo, s30
	s_and_saveexec_b32 s30, s17
	s_cbranch_execz .LBB1952_625
.LBB1952_659:                           ;   in Loop: Header=BB1952_558 Depth=2
	ds_load_u16 v2, v47 offset:2560
	s_wait_dscnt 0x0
	v_cmp_ne_u16_e64 s22, 0x8000, v2
	s_wait_alu 0xf1ff
	s_delay_alu instid0(VALU_DEP_1) | instskip(NEXT) | instid1(VALU_DEP_1)
	v_cndmask_b32_e64 v2, 0x7fff, v2, s22
	v_and_b32_e32 v2, 0xffff, v2
	s_delay_alu instid0(VALU_DEP_1) | instskip(NEXT) | instid1(VALU_DEP_1)
	v_lshrrev_b32_e32 v2, s45, v2
	v_and_b32_e32 v97, s42, v2
	s_wait_alu 0xfffe
	s_or_b32 exec_lo, exec_lo, s30
	s_and_saveexec_b32 s30, s18
	s_cbranch_execz .LBB1952_626
.LBB1952_660:                           ;   in Loop: Header=BB1952_558 Depth=2
	ds_load_u16 v2, v47 offset:3072
	s_wait_dscnt 0x0
	v_cmp_ne_u16_e64 s22, 0x8000, v2
	s_wait_alu 0xf1ff
	s_delay_alu instid0(VALU_DEP_1) | instskip(NEXT) | instid1(VALU_DEP_1)
	v_cndmask_b32_e64 v2, 0x7fff, v2, s22
	v_and_b32_e32 v2, 0xffff, v2
	s_delay_alu instid0(VALU_DEP_1) | instskip(NEXT) | instid1(VALU_DEP_1)
	v_lshrrev_b32_e32 v2, s45, v2
	v_and_b32_e32 v96, s42, v2
	s_wait_alu 0xfffe
	s_or_b32 exec_lo, exec_lo, s30
	s_and_saveexec_b32 s30, s19
	s_cbranch_execz .LBB1952_627
.LBB1952_661:                           ;   in Loop: Header=BB1952_558 Depth=2
	ds_load_u16 v2, v47 offset:3584
	s_wait_dscnt 0x0
	v_cmp_ne_u16_e64 s22, 0x8000, v2
	s_wait_alu 0xf1ff
	s_delay_alu instid0(VALU_DEP_1) | instskip(NEXT) | instid1(VALU_DEP_1)
	v_cndmask_b32_e64 v2, 0x7fff, v2, s22
	v_and_b32_e32 v2, 0xffff, v2
	s_delay_alu instid0(VALU_DEP_1) | instskip(NEXT) | instid1(VALU_DEP_1)
	v_lshrrev_b32_e32 v2, s45, v2
	v_and_b32_e32 v95, s42, v2
	s_wait_alu 0xfffe
	s_or_b32 exec_lo, exec_lo, s30
	s_and_saveexec_b32 s30, s20
	s_cbranch_execz .LBB1952_628
.LBB1952_662:                           ;   in Loop: Header=BB1952_558 Depth=2
	ds_load_u16 v2, v47 offset:4096
	s_wait_dscnt 0x0
	v_cmp_ne_u16_e64 s22, 0x8000, v2
	s_wait_alu 0xf1ff
	s_delay_alu instid0(VALU_DEP_1) | instskip(NEXT) | instid1(VALU_DEP_1)
	v_cndmask_b32_e64 v2, 0x7fff, v2, s22
	v_and_b32_e32 v2, 0xffff, v2
	s_delay_alu instid0(VALU_DEP_1) | instskip(NEXT) | instid1(VALU_DEP_1)
	v_lshrrev_b32_e32 v2, s45, v2
	v_and_b32_e32 v94, s42, v2
	s_wait_alu 0xfffe
	s_or_b32 exec_lo, exec_lo, s30
	s_and_saveexec_b32 s30, s21
	s_cbranch_execnz .LBB1952_629
	s_branch .LBB1952_630
.LBB1952_663:                           ;   in Loop: Header=BB1952_558 Depth=2
	v_lshlrev_b32_e32 v2, 2, v100
	ds_load_b32 v2, v2
	ds_load_b64 v[23:24], v20 offset:1024
	s_wait_dscnt 0x1
	v_add_nc_u32_e32 v2, v2, v1
	s_delay_alu instid0(VALU_DEP_1) | instskip(NEXT) | instid1(VALU_DEP_1)
	v_lshlrev_b64_e32 v[25:26], 3, v[2:3]
	v_add_co_u32 v25, vcc_lo, s26, v25
	s_wait_alu 0xfffd
	s_delay_alu instid0(VALU_DEP_2)
	v_add_co_ci_u32_e64 v26, null, s27, v26, vcc_lo
	s_wait_dscnt 0x0
	global_store_b64 v[25:26], v[23:24], off
	s_wait_alu 0xfffe
	s_or_b32 exec_lo, exec_lo, s22
	s_and_saveexec_b32 s22, s15
	s_cbranch_execz .LBB1952_632
.LBB1952_664:                           ;   in Loop: Header=BB1952_558 Depth=2
	v_lshlrev_b32_e32 v2, 2, v99
	ds_load_b32 v2, v2
	ds_load_b64 v[23:24], v20 offset:3072
	s_wait_dscnt 0x1
	v_add_nc_u32_e32 v2, v2, v29
	s_delay_alu instid0(VALU_DEP_1) | instskip(NEXT) | instid1(VALU_DEP_1)
	v_lshlrev_b64_e32 v[25:26], 3, v[2:3]
	v_add_co_u32 v25, vcc_lo, s26, v25
	s_wait_alu 0xfffd
	s_delay_alu instid0(VALU_DEP_2)
	v_add_co_ci_u32_e64 v26, null, s27, v26, vcc_lo
	s_wait_dscnt 0x0
	global_store_b64 v[25:26], v[23:24], off
	s_wait_alu 0xfffe
	s_or_b32 exec_lo, exec_lo, s22
	s_and_saveexec_b32 s15, s16
	s_cbranch_execz .LBB1952_633
.LBB1952_665:                           ;   in Loop: Header=BB1952_558 Depth=2
	v_lshlrev_b32_e32 v2, 2, v98
	ds_load_b32 v2, v2
	ds_load_b64 v[23:24], v20 offset:5120
	s_wait_dscnt 0x1
	v_add_nc_u32_e32 v2, v2, v30
	s_delay_alu instid0(VALU_DEP_1) | instskip(NEXT) | instid1(VALU_DEP_1)
	v_lshlrev_b64_e32 v[25:26], 3, v[2:3]
	v_add_co_u32 v25, vcc_lo, s26, v25
	s_wait_alu 0xfffd
	s_delay_alu instid0(VALU_DEP_2)
	v_add_co_ci_u32_e64 v26, null, s27, v26, vcc_lo
	s_wait_dscnt 0x0
	global_store_b64 v[25:26], v[23:24], off
	s_wait_alu 0xfffe
	s_or_b32 exec_lo, exec_lo, s15
	s_and_saveexec_b32 s15, s17
	s_cbranch_execz .LBB1952_634
.LBB1952_666:                           ;   in Loop: Header=BB1952_558 Depth=2
	v_lshlrev_b32_e32 v2, 2, v97
	ds_load_b32 v2, v2
	ds_load_b64 v[23:24], v20 offset:7168
	s_wait_dscnt 0x1
	v_add_nc_u32_e32 v2, v2, v31
	s_delay_alu instid0(VALU_DEP_1) | instskip(NEXT) | instid1(VALU_DEP_1)
	v_lshlrev_b64_e32 v[25:26], 3, v[2:3]
	v_add_co_u32 v25, vcc_lo, s26, v25
	s_wait_alu 0xfffd
	s_delay_alu instid0(VALU_DEP_2)
	v_add_co_ci_u32_e64 v26, null, s27, v26, vcc_lo
	s_wait_dscnt 0x0
	global_store_b64 v[25:26], v[23:24], off
	s_wait_alu 0xfffe
	s_or_b32 exec_lo, exec_lo, s15
	s_and_saveexec_b32 s15, s18
	s_cbranch_execz .LBB1952_635
.LBB1952_667:                           ;   in Loop: Header=BB1952_558 Depth=2
	v_lshlrev_b32_e32 v2, 2, v96
	ds_load_b32 v2, v2
	ds_load_b64 v[23:24], v20 offset:9216
	s_wait_dscnt 0x1
	v_add_nc_u32_e32 v2, v2, v34
	s_delay_alu instid0(VALU_DEP_1) | instskip(NEXT) | instid1(VALU_DEP_1)
	v_lshlrev_b64_e32 v[25:26], 3, v[2:3]
	v_add_co_u32 v25, vcc_lo, s26, v25
	s_wait_alu 0xfffd
	s_delay_alu instid0(VALU_DEP_2)
	v_add_co_ci_u32_e64 v26, null, s27, v26, vcc_lo
	s_wait_dscnt 0x0
	global_store_b64 v[25:26], v[23:24], off
	s_wait_alu 0xfffe
	s_or_b32 exec_lo, exec_lo, s15
	s_and_saveexec_b32 s15, s19
	s_cbranch_execz .LBB1952_636
.LBB1952_668:                           ;   in Loop: Header=BB1952_558 Depth=2
	v_lshlrev_b32_e32 v2, 2, v95
	ds_load_b32 v2, v2
	ds_load_b64 v[23:24], v20 offset:11264
	s_wait_dscnt 0x1
	v_add_nc_u32_e32 v2, v2, v35
	s_delay_alu instid0(VALU_DEP_1) | instskip(NEXT) | instid1(VALU_DEP_1)
	v_lshlrev_b64_e32 v[25:26], 3, v[2:3]
	v_add_co_u32 v25, vcc_lo, s26, v25
	s_wait_alu 0xfffd
	s_delay_alu instid0(VALU_DEP_2)
	v_add_co_ci_u32_e64 v26, null, s27, v26, vcc_lo
	s_wait_dscnt 0x0
	global_store_b64 v[25:26], v[23:24], off
	s_wait_alu 0xfffe
	s_or_b32 exec_lo, exec_lo, s15
	s_and_saveexec_b32 s15, s20
	s_cbranch_execz .LBB1952_637
.LBB1952_669:                           ;   in Loop: Header=BB1952_558 Depth=2
	v_lshlrev_b32_e32 v2, 2, v94
	ds_load_b32 v2, v2
	ds_load_b64 v[23:24], v20 offset:13312
	s_wait_dscnt 0x1
	v_add_nc_u32_e32 v2, v2, v36
	s_delay_alu instid0(VALU_DEP_1) | instskip(NEXT) | instid1(VALU_DEP_1)
	v_lshlrev_b64_e32 v[25:26], 3, v[2:3]
	v_add_co_u32 v25, vcc_lo, s26, v25
	s_wait_alu 0xfffd
	s_delay_alu instid0(VALU_DEP_2)
	v_add_co_ci_u32_e64 v26, null, s27, v26, vcc_lo
	s_wait_dscnt 0x0
	global_store_b64 v[25:26], v[23:24], off
	s_wait_alu 0xfffe
	s_or_b32 exec_lo, exec_lo, s15
	s_and_saveexec_b32 s15, s21
	s_cbranch_execnz .LBB1952_638
	s_branch .LBB1952_639
.LBB1952_670:
	s_endpgm
	.section	.rodata,"a",@progbits
	.p2align	6, 0x0
	.amdhsa_kernel _ZN7rocprim17ROCPRIM_400000_NS6detail17trampoline_kernelINS0_14default_configENS1_36segmented_radix_sort_config_selectorI12hip_bfloat16lEEZNS1_25segmented_radix_sort_implIS3_Lb1EPKS5_PS5_PKlPlN2at6native12_GLOBAL__N_18offset_tEEE10hipError_tPvRmT1_PNSt15iterator_traitsISL_E10value_typeET2_T3_PNSM_ISR_E10value_typeET4_jRbjT5_SX_jjP12ihipStream_tbEUlT_E_NS1_11comp_targetILNS1_3genE10ELNS1_11target_archE1201ELNS1_3gpuE5ELNS1_3repE0EEENS1_30default_config_static_selectorELNS0_4arch9wavefront6targetE0EEEvSL_
		.amdhsa_group_segment_fixed_size 17440
		.amdhsa_private_segment_fixed_size 0
		.amdhsa_kernarg_size 352
		.amdhsa_user_sgpr_count 2
		.amdhsa_user_sgpr_dispatch_ptr 0
		.amdhsa_user_sgpr_queue_ptr 0
		.amdhsa_user_sgpr_kernarg_segment_ptr 1
		.amdhsa_user_sgpr_dispatch_id 0
		.amdhsa_user_sgpr_private_segment_size 0
		.amdhsa_wavefront_size32 1
		.amdhsa_uses_dynamic_stack 0
		.amdhsa_enable_private_segment 0
		.amdhsa_system_sgpr_workgroup_id_x 1
		.amdhsa_system_sgpr_workgroup_id_y 1
		.amdhsa_system_sgpr_workgroup_id_z 0
		.amdhsa_system_sgpr_workgroup_info 0
		.amdhsa_system_vgpr_workitem_id 2
		.amdhsa_next_free_vgpr 198
		.amdhsa_next_free_sgpr 50
		.amdhsa_reserve_vcc 1
		.amdhsa_float_round_mode_32 0
		.amdhsa_float_round_mode_16_64 0
		.amdhsa_float_denorm_mode_32 3
		.amdhsa_float_denorm_mode_16_64 3
		.amdhsa_fp16_overflow 0
		.amdhsa_workgroup_processor_mode 1
		.amdhsa_memory_ordered 1
		.amdhsa_forward_progress 1
		.amdhsa_inst_pref_size 255
		.amdhsa_round_robin_scheduling 0
		.amdhsa_exception_fp_ieee_invalid_op 0
		.amdhsa_exception_fp_denorm_src 0
		.amdhsa_exception_fp_ieee_div_zero 0
		.amdhsa_exception_fp_ieee_overflow 0
		.amdhsa_exception_fp_ieee_underflow 0
		.amdhsa_exception_fp_ieee_inexact 0
		.amdhsa_exception_int_div_zero 0
	.end_amdhsa_kernel
	.section	.text._ZN7rocprim17ROCPRIM_400000_NS6detail17trampoline_kernelINS0_14default_configENS1_36segmented_radix_sort_config_selectorI12hip_bfloat16lEEZNS1_25segmented_radix_sort_implIS3_Lb1EPKS5_PS5_PKlPlN2at6native12_GLOBAL__N_18offset_tEEE10hipError_tPvRmT1_PNSt15iterator_traitsISL_E10value_typeET2_T3_PNSM_ISR_E10value_typeET4_jRbjT5_SX_jjP12ihipStream_tbEUlT_E_NS1_11comp_targetILNS1_3genE10ELNS1_11target_archE1201ELNS1_3gpuE5ELNS1_3repE0EEENS1_30default_config_static_selectorELNS0_4arch9wavefront6targetE0EEEvSL_,"axG",@progbits,_ZN7rocprim17ROCPRIM_400000_NS6detail17trampoline_kernelINS0_14default_configENS1_36segmented_radix_sort_config_selectorI12hip_bfloat16lEEZNS1_25segmented_radix_sort_implIS3_Lb1EPKS5_PS5_PKlPlN2at6native12_GLOBAL__N_18offset_tEEE10hipError_tPvRmT1_PNSt15iterator_traitsISL_E10value_typeET2_T3_PNSM_ISR_E10value_typeET4_jRbjT5_SX_jjP12ihipStream_tbEUlT_E_NS1_11comp_targetILNS1_3genE10ELNS1_11target_archE1201ELNS1_3gpuE5ELNS1_3repE0EEENS1_30default_config_static_selectorELNS0_4arch9wavefront6targetE0EEEvSL_,comdat
.Lfunc_end1952:
	.size	_ZN7rocprim17ROCPRIM_400000_NS6detail17trampoline_kernelINS0_14default_configENS1_36segmented_radix_sort_config_selectorI12hip_bfloat16lEEZNS1_25segmented_radix_sort_implIS3_Lb1EPKS5_PS5_PKlPlN2at6native12_GLOBAL__N_18offset_tEEE10hipError_tPvRmT1_PNSt15iterator_traitsISL_E10value_typeET2_T3_PNSM_ISR_E10value_typeET4_jRbjT5_SX_jjP12ihipStream_tbEUlT_E_NS1_11comp_targetILNS1_3genE10ELNS1_11target_archE1201ELNS1_3gpuE5ELNS1_3repE0EEENS1_30default_config_static_selectorELNS0_4arch9wavefront6targetE0EEEvSL_, .Lfunc_end1952-_ZN7rocprim17ROCPRIM_400000_NS6detail17trampoline_kernelINS0_14default_configENS1_36segmented_radix_sort_config_selectorI12hip_bfloat16lEEZNS1_25segmented_radix_sort_implIS3_Lb1EPKS5_PS5_PKlPlN2at6native12_GLOBAL__N_18offset_tEEE10hipError_tPvRmT1_PNSt15iterator_traitsISL_E10value_typeET2_T3_PNSM_ISR_E10value_typeET4_jRbjT5_SX_jjP12ihipStream_tbEUlT_E_NS1_11comp_targetILNS1_3genE10ELNS1_11target_archE1201ELNS1_3gpuE5ELNS1_3repE0EEENS1_30default_config_static_selectorELNS0_4arch9wavefront6targetE0EEEvSL_
                                        ; -- End function
	.set _ZN7rocprim17ROCPRIM_400000_NS6detail17trampoline_kernelINS0_14default_configENS1_36segmented_radix_sort_config_selectorI12hip_bfloat16lEEZNS1_25segmented_radix_sort_implIS3_Lb1EPKS5_PS5_PKlPlN2at6native12_GLOBAL__N_18offset_tEEE10hipError_tPvRmT1_PNSt15iterator_traitsISL_E10value_typeET2_T3_PNSM_ISR_E10value_typeET4_jRbjT5_SX_jjP12ihipStream_tbEUlT_E_NS1_11comp_targetILNS1_3genE10ELNS1_11target_archE1201ELNS1_3gpuE5ELNS1_3repE0EEENS1_30default_config_static_selectorELNS0_4arch9wavefront6targetE0EEEvSL_.num_vgpr, max(135, .L_ZN7rocprim17ROCPRIM_400000_NS6detail40segmented_radix_sort_single_block_helperI12hip_bfloat16lLj256ELj8ELb1EE4sortIPKS3_PS3_PKlPlEEbT_T0_T1_T2_jjjjRNS4_12storage_typeE.num_vgpr)
	.set _ZN7rocprim17ROCPRIM_400000_NS6detail17trampoline_kernelINS0_14default_configENS1_36segmented_radix_sort_config_selectorI12hip_bfloat16lEEZNS1_25segmented_radix_sort_implIS3_Lb1EPKS5_PS5_PKlPlN2at6native12_GLOBAL__N_18offset_tEEE10hipError_tPvRmT1_PNSt15iterator_traitsISL_E10value_typeET2_T3_PNSM_ISR_E10value_typeET4_jRbjT5_SX_jjP12ihipStream_tbEUlT_E_NS1_11comp_targetILNS1_3genE10ELNS1_11target_archE1201ELNS1_3gpuE5ELNS1_3repE0EEENS1_30default_config_static_selectorELNS0_4arch9wavefront6targetE0EEEvSL_.num_agpr, max(0, .L_ZN7rocprim17ROCPRIM_400000_NS6detail40segmented_radix_sort_single_block_helperI12hip_bfloat16lLj256ELj8ELb1EE4sortIPKS3_PS3_PKlPlEEbT_T0_T1_T2_jjjjRNS4_12storage_typeE.num_agpr)
	.set _ZN7rocprim17ROCPRIM_400000_NS6detail17trampoline_kernelINS0_14default_configENS1_36segmented_radix_sort_config_selectorI12hip_bfloat16lEEZNS1_25segmented_radix_sort_implIS3_Lb1EPKS5_PS5_PKlPlN2at6native12_GLOBAL__N_18offset_tEEE10hipError_tPvRmT1_PNSt15iterator_traitsISL_E10value_typeET2_T3_PNSM_ISR_E10value_typeET4_jRbjT5_SX_jjP12ihipStream_tbEUlT_E_NS1_11comp_targetILNS1_3genE10ELNS1_11target_archE1201ELNS1_3gpuE5ELNS1_3repE0EEENS1_30default_config_static_selectorELNS0_4arch9wavefront6targetE0EEEvSL_.numbered_sgpr, max(50, .L_ZN7rocprim17ROCPRIM_400000_NS6detail40segmented_radix_sort_single_block_helperI12hip_bfloat16lLj256ELj8ELb1EE4sortIPKS3_PS3_PKlPlEEbT_T0_T1_T2_jjjjRNS4_12storage_typeE.numbered_sgpr)
	.set _ZN7rocprim17ROCPRIM_400000_NS6detail17trampoline_kernelINS0_14default_configENS1_36segmented_radix_sort_config_selectorI12hip_bfloat16lEEZNS1_25segmented_radix_sort_implIS3_Lb1EPKS5_PS5_PKlPlN2at6native12_GLOBAL__N_18offset_tEEE10hipError_tPvRmT1_PNSt15iterator_traitsISL_E10value_typeET2_T3_PNSM_ISR_E10value_typeET4_jRbjT5_SX_jjP12ihipStream_tbEUlT_E_NS1_11comp_targetILNS1_3genE10ELNS1_11target_archE1201ELNS1_3gpuE5ELNS1_3repE0EEENS1_30default_config_static_selectorELNS0_4arch9wavefront6targetE0EEEvSL_.num_named_barrier, max(0, .L_ZN7rocprim17ROCPRIM_400000_NS6detail40segmented_radix_sort_single_block_helperI12hip_bfloat16lLj256ELj8ELb1EE4sortIPKS3_PS3_PKlPlEEbT_T0_T1_T2_jjjjRNS4_12storage_typeE.num_named_barrier)
	.set _ZN7rocprim17ROCPRIM_400000_NS6detail17trampoline_kernelINS0_14default_configENS1_36segmented_radix_sort_config_selectorI12hip_bfloat16lEEZNS1_25segmented_radix_sort_implIS3_Lb1EPKS5_PS5_PKlPlN2at6native12_GLOBAL__N_18offset_tEEE10hipError_tPvRmT1_PNSt15iterator_traitsISL_E10value_typeET2_T3_PNSM_ISR_E10value_typeET4_jRbjT5_SX_jjP12ihipStream_tbEUlT_E_NS1_11comp_targetILNS1_3genE10ELNS1_11target_archE1201ELNS1_3gpuE5ELNS1_3repE0EEENS1_30default_config_static_selectorELNS0_4arch9wavefront6targetE0EEEvSL_.private_seg_size, 0+max(.L_ZN7rocprim17ROCPRIM_400000_NS6detail40segmented_radix_sort_single_block_helperI12hip_bfloat16lLj256ELj8ELb1EE4sortIPKS3_PS3_PKlPlEEbT_T0_T1_T2_jjjjRNS4_12storage_typeE.private_seg_size)
	.set _ZN7rocprim17ROCPRIM_400000_NS6detail17trampoline_kernelINS0_14default_configENS1_36segmented_radix_sort_config_selectorI12hip_bfloat16lEEZNS1_25segmented_radix_sort_implIS3_Lb1EPKS5_PS5_PKlPlN2at6native12_GLOBAL__N_18offset_tEEE10hipError_tPvRmT1_PNSt15iterator_traitsISL_E10value_typeET2_T3_PNSM_ISR_E10value_typeET4_jRbjT5_SX_jjP12ihipStream_tbEUlT_E_NS1_11comp_targetILNS1_3genE10ELNS1_11target_archE1201ELNS1_3gpuE5ELNS1_3repE0EEENS1_30default_config_static_selectorELNS0_4arch9wavefront6targetE0EEEvSL_.uses_vcc, or(1, .L_ZN7rocprim17ROCPRIM_400000_NS6detail40segmented_radix_sort_single_block_helperI12hip_bfloat16lLj256ELj8ELb1EE4sortIPKS3_PS3_PKlPlEEbT_T0_T1_T2_jjjjRNS4_12storage_typeE.uses_vcc)
	.set _ZN7rocprim17ROCPRIM_400000_NS6detail17trampoline_kernelINS0_14default_configENS1_36segmented_radix_sort_config_selectorI12hip_bfloat16lEEZNS1_25segmented_radix_sort_implIS3_Lb1EPKS5_PS5_PKlPlN2at6native12_GLOBAL__N_18offset_tEEE10hipError_tPvRmT1_PNSt15iterator_traitsISL_E10value_typeET2_T3_PNSM_ISR_E10value_typeET4_jRbjT5_SX_jjP12ihipStream_tbEUlT_E_NS1_11comp_targetILNS1_3genE10ELNS1_11target_archE1201ELNS1_3gpuE5ELNS1_3repE0EEENS1_30default_config_static_selectorELNS0_4arch9wavefront6targetE0EEEvSL_.uses_flat_scratch, or(0, .L_ZN7rocprim17ROCPRIM_400000_NS6detail40segmented_radix_sort_single_block_helperI12hip_bfloat16lLj256ELj8ELb1EE4sortIPKS3_PS3_PKlPlEEbT_T0_T1_T2_jjjjRNS4_12storage_typeE.uses_flat_scratch)
	.set _ZN7rocprim17ROCPRIM_400000_NS6detail17trampoline_kernelINS0_14default_configENS1_36segmented_radix_sort_config_selectorI12hip_bfloat16lEEZNS1_25segmented_radix_sort_implIS3_Lb1EPKS5_PS5_PKlPlN2at6native12_GLOBAL__N_18offset_tEEE10hipError_tPvRmT1_PNSt15iterator_traitsISL_E10value_typeET2_T3_PNSM_ISR_E10value_typeET4_jRbjT5_SX_jjP12ihipStream_tbEUlT_E_NS1_11comp_targetILNS1_3genE10ELNS1_11target_archE1201ELNS1_3gpuE5ELNS1_3repE0EEENS1_30default_config_static_selectorELNS0_4arch9wavefront6targetE0EEEvSL_.has_dyn_sized_stack, or(0, .L_ZN7rocprim17ROCPRIM_400000_NS6detail40segmented_radix_sort_single_block_helperI12hip_bfloat16lLj256ELj8ELb1EE4sortIPKS3_PS3_PKlPlEEbT_T0_T1_T2_jjjjRNS4_12storage_typeE.has_dyn_sized_stack)
	.set _ZN7rocprim17ROCPRIM_400000_NS6detail17trampoline_kernelINS0_14default_configENS1_36segmented_radix_sort_config_selectorI12hip_bfloat16lEEZNS1_25segmented_radix_sort_implIS3_Lb1EPKS5_PS5_PKlPlN2at6native12_GLOBAL__N_18offset_tEEE10hipError_tPvRmT1_PNSt15iterator_traitsISL_E10value_typeET2_T3_PNSM_ISR_E10value_typeET4_jRbjT5_SX_jjP12ihipStream_tbEUlT_E_NS1_11comp_targetILNS1_3genE10ELNS1_11target_archE1201ELNS1_3gpuE5ELNS1_3repE0EEENS1_30default_config_static_selectorELNS0_4arch9wavefront6targetE0EEEvSL_.has_recursion, or(0, .L_ZN7rocprim17ROCPRIM_400000_NS6detail40segmented_radix_sort_single_block_helperI12hip_bfloat16lLj256ELj8ELb1EE4sortIPKS3_PS3_PKlPlEEbT_T0_T1_T2_jjjjRNS4_12storage_typeE.has_recursion)
	.set _ZN7rocprim17ROCPRIM_400000_NS6detail17trampoline_kernelINS0_14default_configENS1_36segmented_radix_sort_config_selectorI12hip_bfloat16lEEZNS1_25segmented_radix_sort_implIS3_Lb1EPKS5_PS5_PKlPlN2at6native12_GLOBAL__N_18offset_tEEE10hipError_tPvRmT1_PNSt15iterator_traitsISL_E10value_typeET2_T3_PNSM_ISR_E10value_typeET4_jRbjT5_SX_jjP12ihipStream_tbEUlT_E_NS1_11comp_targetILNS1_3genE10ELNS1_11target_archE1201ELNS1_3gpuE5ELNS1_3repE0EEENS1_30default_config_static_selectorELNS0_4arch9wavefront6targetE0EEEvSL_.has_indirect_call, or(0, .L_ZN7rocprim17ROCPRIM_400000_NS6detail40segmented_radix_sort_single_block_helperI12hip_bfloat16lLj256ELj8ELb1EE4sortIPKS3_PS3_PKlPlEEbT_T0_T1_T2_jjjjRNS4_12storage_typeE.has_indirect_call)
	.section	.AMDGPU.csdata,"",@progbits
; Kernel info:
; codeLenInByte = 48016
; TotalNumSgprs: 52
; NumVgprs: 198
; ScratchSize: 0
; MemoryBound: 0
; FloatMode: 240
; IeeeMode: 1
; LDSByteSize: 17440 bytes/workgroup (compile time only)
; SGPRBlocks: 0
; VGPRBlocks: 24
; NumSGPRsForWavesPerEU: 52
; NumVGPRsForWavesPerEU: 198
; Occupancy: 7
; WaveLimiterHint : 1
; COMPUTE_PGM_RSRC2:SCRATCH_EN: 0
; COMPUTE_PGM_RSRC2:USER_SGPR: 2
; COMPUTE_PGM_RSRC2:TRAP_HANDLER: 0
; COMPUTE_PGM_RSRC2:TGID_X_EN: 1
; COMPUTE_PGM_RSRC2:TGID_Y_EN: 1
; COMPUTE_PGM_RSRC2:TGID_Z_EN: 0
; COMPUTE_PGM_RSRC2:TIDIG_COMP_CNT: 2
	.section	.text._ZN7rocprim17ROCPRIM_400000_NS6detail17trampoline_kernelINS0_14default_configENS1_36segmented_radix_sort_config_selectorI12hip_bfloat16lEEZNS1_25segmented_radix_sort_implIS3_Lb1EPKS5_PS5_PKlPlN2at6native12_GLOBAL__N_18offset_tEEE10hipError_tPvRmT1_PNSt15iterator_traitsISL_E10value_typeET2_T3_PNSM_ISR_E10value_typeET4_jRbjT5_SX_jjP12ihipStream_tbEUlT_E_NS1_11comp_targetILNS1_3genE10ELNS1_11target_archE1200ELNS1_3gpuE4ELNS1_3repE0EEENS1_30default_config_static_selectorELNS0_4arch9wavefront6targetE0EEEvSL_,"axG",@progbits,_ZN7rocprim17ROCPRIM_400000_NS6detail17trampoline_kernelINS0_14default_configENS1_36segmented_radix_sort_config_selectorI12hip_bfloat16lEEZNS1_25segmented_radix_sort_implIS3_Lb1EPKS5_PS5_PKlPlN2at6native12_GLOBAL__N_18offset_tEEE10hipError_tPvRmT1_PNSt15iterator_traitsISL_E10value_typeET2_T3_PNSM_ISR_E10value_typeET4_jRbjT5_SX_jjP12ihipStream_tbEUlT_E_NS1_11comp_targetILNS1_3genE10ELNS1_11target_archE1200ELNS1_3gpuE4ELNS1_3repE0EEENS1_30default_config_static_selectorELNS0_4arch9wavefront6targetE0EEEvSL_,comdat
	.globl	_ZN7rocprim17ROCPRIM_400000_NS6detail17trampoline_kernelINS0_14default_configENS1_36segmented_radix_sort_config_selectorI12hip_bfloat16lEEZNS1_25segmented_radix_sort_implIS3_Lb1EPKS5_PS5_PKlPlN2at6native12_GLOBAL__N_18offset_tEEE10hipError_tPvRmT1_PNSt15iterator_traitsISL_E10value_typeET2_T3_PNSM_ISR_E10value_typeET4_jRbjT5_SX_jjP12ihipStream_tbEUlT_E_NS1_11comp_targetILNS1_3genE10ELNS1_11target_archE1200ELNS1_3gpuE4ELNS1_3repE0EEENS1_30default_config_static_selectorELNS0_4arch9wavefront6targetE0EEEvSL_ ; -- Begin function _ZN7rocprim17ROCPRIM_400000_NS6detail17trampoline_kernelINS0_14default_configENS1_36segmented_radix_sort_config_selectorI12hip_bfloat16lEEZNS1_25segmented_radix_sort_implIS3_Lb1EPKS5_PS5_PKlPlN2at6native12_GLOBAL__N_18offset_tEEE10hipError_tPvRmT1_PNSt15iterator_traitsISL_E10value_typeET2_T3_PNSM_ISR_E10value_typeET4_jRbjT5_SX_jjP12ihipStream_tbEUlT_E_NS1_11comp_targetILNS1_3genE10ELNS1_11target_archE1200ELNS1_3gpuE4ELNS1_3repE0EEENS1_30default_config_static_selectorELNS0_4arch9wavefront6targetE0EEEvSL_
	.p2align	8
	.type	_ZN7rocprim17ROCPRIM_400000_NS6detail17trampoline_kernelINS0_14default_configENS1_36segmented_radix_sort_config_selectorI12hip_bfloat16lEEZNS1_25segmented_radix_sort_implIS3_Lb1EPKS5_PS5_PKlPlN2at6native12_GLOBAL__N_18offset_tEEE10hipError_tPvRmT1_PNSt15iterator_traitsISL_E10value_typeET2_T3_PNSM_ISR_E10value_typeET4_jRbjT5_SX_jjP12ihipStream_tbEUlT_E_NS1_11comp_targetILNS1_3genE10ELNS1_11target_archE1200ELNS1_3gpuE4ELNS1_3repE0EEENS1_30default_config_static_selectorELNS0_4arch9wavefront6targetE0EEEvSL_,@function
_ZN7rocprim17ROCPRIM_400000_NS6detail17trampoline_kernelINS0_14default_configENS1_36segmented_radix_sort_config_selectorI12hip_bfloat16lEEZNS1_25segmented_radix_sort_implIS3_Lb1EPKS5_PS5_PKlPlN2at6native12_GLOBAL__N_18offset_tEEE10hipError_tPvRmT1_PNSt15iterator_traitsISL_E10value_typeET2_T3_PNSM_ISR_E10value_typeET4_jRbjT5_SX_jjP12ihipStream_tbEUlT_E_NS1_11comp_targetILNS1_3genE10ELNS1_11target_archE1200ELNS1_3gpuE4ELNS1_3repE0EEENS1_30default_config_static_selectorELNS0_4arch9wavefront6targetE0EEEvSL_: ; @_ZN7rocprim17ROCPRIM_400000_NS6detail17trampoline_kernelINS0_14default_configENS1_36segmented_radix_sort_config_selectorI12hip_bfloat16lEEZNS1_25segmented_radix_sort_implIS3_Lb1EPKS5_PS5_PKlPlN2at6native12_GLOBAL__N_18offset_tEEE10hipError_tPvRmT1_PNSt15iterator_traitsISL_E10value_typeET2_T3_PNSM_ISR_E10value_typeET4_jRbjT5_SX_jjP12ihipStream_tbEUlT_E_NS1_11comp_targetILNS1_3genE10ELNS1_11target_archE1200ELNS1_3gpuE4ELNS1_3repE0EEENS1_30default_config_static_selectorELNS0_4arch9wavefront6targetE0EEEvSL_
; %bb.0:
	.section	.rodata,"a",@progbits
	.p2align	6, 0x0
	.amdhsa_kernel _ZN7rocprim17ROCPRIM_400000_NS6detail17trampoline_kernelINS0_14default_configENS1_36segmented_radix_sort_config_selectorI12hip_bfloat16lEEZNS1_25segmented_radix_sort_implIS3_Lb1EPKS5_PS5_PKlPlN2at6native12_GLOBAL__N_18offset_tEEE10hipError_tPvRmT1_PNSt15iterator_traitsISL_E10value_typeET2_T3_PNSM_ISR_E10value_typeET4_jRbjT5_SX_jjP12ihipStream_tbEUlT_E_NS1_11comp_targetILNS1_3genE10ELNS1_11target_archE1200ELNS1_3gpuE4ELNS1_3repE0EEENS1_30default_config_static_selectorELNS0_4arch9wavefront6targetE0EEEvSL_
		.amdhsa_group_segment_fixed_size 0
		.amdhsa_private_segment_fixed_size 0
		.amdhsa_kernarg_size 96
		.amdhsa_user_sgpr_count 2
		.amdhsa_user_sgpr_dispatch_ptr 0
		.amdhsa_user_sgpr_queue_ptr 0
		.amdhsa_user_sgpr_kernarg_segment_ptr 1
		.amdhsa_user_sgpr_dispatch_id 0
		.amdhsa_user_sgpr_private_segment_size 0
		.amdhsa_wavefront_size32 1
		.amdhsa_uses_dynamic_stack 0
		.amdhsa_enable_private_segment 0
		.amdhsa_system_sgpr_workgroup_id_x 1
		.amdhsa_system_sgpr_workgroup_id_y 0
		.amdhsa_system_sgpr_workgroup_id_z 0
		.amdhsa_system_sgpr_workgroup_info 0
		.amdhsa_system_vgpr_workitem_id 0
		.amdhsa_next_free_vgpr 1
		.amdhsa_next_free_sgpr 1
		.amdhsa_reserve_vcc 0
		.amdhsa_float_round_mode_32 0
		.amdhsa_float_round_mode_16_64 0
		.amdhsa_float_denorm_mode_32 3
		.amdhsa_float_denorm_mode_16_64 3
		.amdhsa_fp16_overflow 0
		.amdhsa_workgroup_processor_mode 1
		.amdhsa_memory_ordered 1
		.amdhsa_forward_progress 1
		.amdhsa_inst_pref_size 0
		.amdhsa_round_robin_scheduling 0
		.amdhsa_exception_fp_ieee_invalid_op 0
		.amdhsa_exception_fp_denorm_src 0
		.amdhsa_exception_fp_ieee_div_zero 0
		.amdhsa_exception_fp_ieee_overflow 0
		.amdhsa_exception_fp_ieee_underflow 0
		.amdhsa_exception_fp_ieee_inexact 0
		.amdhsa_exception_int_div_zero 0
	.end_amdhsa_kernel
	.section	.text._ZN7rocprim17ROCPRIM_400000_NS6detail17trampoline_kernelINS0_14default_configENS1_36segmented_radix_sort_config_selectorI12hip_bfloat16lEEZNS1_25segmented_radix_sort_implIS3_Lb1EPKS5_PS5_PKlPlN2at6native12_GLOBAL__N_18offset_tEEE10hipError_tPvRmT1_PNSt15iterator_traitsISL_E10value_typeET2_T3_PNSM_ISR_E10value_typeET4_jRbjT5_SX_jjP12ihipStream_tbEUlT_E_NS1_11comp_targetILNS1_3genE10ELNS1_11target_archE1200ELNS1_3gpuE4ELNS1_3repE0EEENS1_30default_config_static_selectorELNS0_4arch9wavefront6targetE0EEEvSL_,"axG",@progbits,_ZN7rocprim17ROCPRIM_400000_NS6detail17trampoline_kernelINS0_14default_configENS1_36segmented_radix_sort_config_selectorI12hip_bfloat16lEEZNS1_25segmented_radix_sort_implIS3_Lb1EPKS5_PS5_PKlPlN2at6native12_GLOBAL__N_18offset_tEEE10hipError_tPvRmT1_PNSt15iterator_traitsISL_E10value_typeET2_T3_PNSM_ISR_E10value_typeET4_jRbjT5_SX_jjP12ihipStream_tbEUlT_E_NS1_11comp_targetILNS1_3genE10ELNS1_11target_archE1200ELNS1_3gpuE4ELNS1_3repE0EEENS1_30default_config_static_selectorELNS0_4arch9wavefront6targetE0EEEvSL_,comdat
.Lfunc_end1953:
	.size	_ZN7rocprim17ROCPRIM_400000_NS6detail17trampoline_kernelINS0_14default_configENS1_36segmented_radix_sort_config_selectorI12hip_bfloat16lEEZNS1_25segmented_radix_sort_implIS3_Lb1EPKS5_PS5_PKlPlN2at6native12_GLOBAL__N_18offset_tEEE10hipError_tPvRmT1_PNSt15iterator_traitsISL_E10value_typeET2_T3_PNSM_ISR_E10value_typeET4_jRbjT5_SX_jjP12ihipStream_tbEUlT_E_NS1_11comp_targetILNS1_3genE10ELNS1_11target_archE1200ELNS1_3gpuE4ELNS1_3repE0EEENS1_30default_config_static_selectorELNS0_4arch9wavefront6targetE0EEEvSL_, .Lfunc_end1953-_ZN7rocprim17ROCPRIM_400000_NS6detail17trampoline_kernelINS0_14default_configENS1_36segmented_radix_sort_config_selectorI12hip_bfloat16lEEZNS1_25segmented_radix_sort_implIS3_Lb1EPKS5_PS5_PKlPlN2at6native12_GLOBAL__N_18offset_tEEE10hipError_tPvRmT1_PNSt15iterator_traitsISL_E10value_typeET2_T3_PNSM_ISR_E10value_typeET4_jRbjT5_SX_jjP12ihipStream_tbEUlT_E_NS1_11comp_targetILNS1_3genE10ELNS1_11target_archE1200ELNS1_3gpuE4ELNS1_3repE0EEENS1_30default_config_static_selectorELNS0_4arch9wavefront6targetE0EEEvSL_
                                        ; -- End function
	.set _ZN7rocprim17ROCPRIM_400000_NS6detail17trampoline_kernelINS0_14default_configENS1_36segmented_radix_sort_config_selectorI12hip_bfloat16lEEZNS1_25segmented_radix_sort_implIS3_Lb1EPKS5_PS5_PKlPlN2at6native12_GLOBAL__N_18offset_tEEE10hipError_tPvRmT1_PNSt15iterator_traitsISL_E10value_typeET2_T3_PNSM_ISR_E10value_typeET4_jRbjT5_SX_jjP12ihipStream_tbEUlT_E_NS1_11comp_targetILNS1_3genE10ELNS1_11target_archE1200ELNS1_3gpuE4ELNS1_3repE0EEENS1_30default_config_static_selectorELNS0_4arch9wavefront6targetE0EEEvSL_.num_vgpr, 0
	.set _ZN7rocprim17ROCPRIM_400000_NS6detail17trampoline_kernelINS0_14default_configENS1_36segmented_radix_sort_config_selectorI12hip_bfloat16lEEZNS1_25segmented_radix_sort_implIS3_Lb1EPKS5_PS5_PKlPlN2at6native12_GLOBAL__N_18offset_tEEE10hipError_tPvRmT1_PNSt15iterator_traitsISL_E10value_typeET2_T3_PNSM_ISR_E10value_typeET4_jRbjT5_SX_jjP12ihipStream_tbEUlT_E_NS1_11comp_targetILNS1_3genE10ELNS1_11target_archE1200ELNS1_3gpuE4ELNS1_3repE0EEENS1_30default_config_static_selectorELNS0_4arch9wavefront6targetE0EEEvSL_.num_agpr, 0
	.set _ZN7rocprim17ROCPRIM_400000_NS6detail17trampoline_kernelINS0_14default_configENS1_36segmented_radix_sort_config_selectorI12hip_bfloat16lEEZNS1_25segmented_radix_sort_implIS3_Lb1EPKS5_PS5_PKlPlN2at6native12_GLOBAL__N_18offset_tEEE10hipError_tPvRmT1_PNSt15iterator_traitsISL_E10value_typeET2_T3_PNSM_ISR_E10value_typeET4_jRbjT5_SX_jjP12ihipStream_tbEUlT_E_NS1_11comp_targetILNS1_3genE10ELNS1_11target_archE1200ELNS1_3gpuE4ELNS1_3repE0EEENS1_30default_config_static_selectorELNS0_4arch9wavefront6targetE0EEEvSL_.numbered_sgpr, 0
	.set _ZN7rocprim17ROCPRIM_400000_NS6detail17trampoline_kernelINS0_14default_configENS1_36segmented_radix_sort_config_selectorI12hip_bfloat16lEEZNS1_25segmented_radix_sort_implIS3_Lb1EPKS5_PS5_PKlPlN2at6native12_GLOBAL__N_18offset_tEEE10hipError_tPvRmT1_PNSt15iterator_traitsISL_E10value_typeET2_T3_PNSM_ISR_E10value_typeET4_jRbjT5_SX_jjP12ihipStream_tbEUlT_E_NS1_11comp_targetILNS1_3genE10ELNS1_11target_archE1200ELNS1_3gpuE4ELNS1_3repE0EEENS1_30default_config_static_selectorELNS0_4arch9wavefront6targetE0EEEvSL_.num_named_barrier, 0
	.set _ZN7rocprim17ROCPRIM_400000_NS6detail17trampoline_kernelINS0_14default_configENS1_36segmented_radix_sort_config_selectorI12hip_bfloat16lEEZNS1_25segmented_radix_sort_implIS3_Lb1EPKS5_PS5_PKlPlN2at6native12_GLOBAL__N_18offset_tEEE10hipError_tPvRmT1_PNSt15iterator_traitsISL_E10value_typeET2_T3_PNSM_ISR_E10value_typeET4_jRbjT5_SX_jjP12ihipStream_tbEUlT_E_NS1_11comp_targetILNS1_3genE10ELNS1_11target_archE1200ELNS1_3gpuE4ELNS1_3repE0EEENS1_30default_config_static_selectorELNS0_4arch9wavefront6targetE0EEEvSL_.private_seg_size, 0
	.set _ZN7rocprim17ROCPRIM_400000_NS6detail17trampoline_kernelINS0_14default_configENS1_36segmented_radix_sort_config_selectorI12hip_bfloat16lEEZNS1_25segmented_radix_sort_implIS3_Lb1EPKS5_PS5_PKlPlN2at6native12_GLOBAL__N_18offset_tEEE10hipError_tPvRmT1_PNSt15iterator_traitsISL_E10value_typeET2_T3_PNSM_ISR_E10value_typeET4_jRbjT5_SX_jjP12ihipStream_tbEUlT_E_NS1_11comp_targetILNS1_3genE10ELNS1_11target_archE1200ELNS1_3gpuE4ELNS1_3repE0EEENS1_30default_config_static_selectorELNS0_4arch9wavefront6targetE0EEEvSL_.uses_vcc, 0
	.set _ZN7rocprim17ROCPRIM_400000_NS6detail17trampoline_kernelINS0_14default_configENS1_36segmented_radix_sort_config_selectorI12hip_bfloat16lEEZNS1_25segmented_radix_sort_implIS3_Lb1EPKS5_PS5_PKlPlN2at6native12_GLOBAL__N_18offset_tEEE10hipError_tPvRmT1_PNSt15iterator_traitsISL_E10value_typeET2_T3_PNSM_ISR_E10value_typeET4_jRbjT5_SX_jjP12ihipStream_tbEUlT_E_NS1_11comp_targetILNS1_3genE10ELNS1_11target_archE1200ELNS1_3gpuE4ELNS1_3repE0EEENS1_30default_config_static_selectorELNS0_4arch9wavefront6targetE0EEEvSL_.uses_flat_scratch, 0
	.set _ZN7rocprim17ROCPRIM_400000_NS6detail17trampoline_kernelINS0_14default_configENS1_36segmented_radix_sort_config_selectorI12hip_bfloat16lEEZNS1_25segmented_radix_sort_implIS3_Lb1EPKS5_PS5_PKlPlN2at6native12_GLOBAL__N_18offset_tEEE10hipError_tPvRmT1_PNSt15iterator_traitsISL_E10value_typeET2_T3_PNSM_ISR_E10value_typeET4_jRbjT5_SX_jjP12ihipStream_tbEUlT_E_NS1_11comp_targetILNS1_3genE10ELNS1_11target_archE1200ELNS1_3gpuE4ELNS1_3repE0EEENS1_30default_config_static_selectorELNS0_4arch9wavefront6targetE0EEEvSL_.has_dyn_sized_stack, 0
	.set _ZN7rocprim17ROCPRIM_400000_NS6detail17trampoline_kernelINS0_14default_configENS1_36segmented_radix_sort_config_selectorI12hip_bfloat16lEEZNS1_25segmented_radix_sort_implIS3_Lb1EPKS5_PS5_PKlPlN2at6native12_GLOBAL__N_18offset_tEEE10hipError_tPvRmT1_PNSt15iterator_traitsISL_E10value_typeET2_T3_PNSM_ISR_E10value_typeET4_jRbjT5_SX_jjP12ihipStream_tbEUlT_E_NS1_11comp_targetILNS1_3genE10ELNS1_11target_archE1200ELNS1_3gpuE4ELNS1_3repE0EEENS1_30default_config_static_selectorELNS0_4arch9wavefront6targetE0EEEvSL_.has_recursion, 0
	.set _ZN7rocprim17ROCPRIM_400000_NS6detail17trampoline_kernelINS0_14default_configENS1_36segmented_radix_sort_config_selectorI12hip_bfloat16lEEZNS1_25segmented_radix_sort_implIS3_Lb1EPKS5_PS5_PKlPlN2at6native12_GLOBAL__N_18offset_tEEE10hipError_tPvRmT1_PNSt15iterator_traitsISL_E10value_typeET2_T3_PNSM_ISR_E10value_typeET4_jRbjT5_SX_jjP12ihipStream_tbEUlT_E_NS1_11comp_targetILNS1_3genE10ELNS1_11target_archE1200ELNS1_3gpuE4ELNS1_3repE0EEENS1_30default_config_static_selectorELNS0_4arch9wavefront6targetE0EEEvSL_.has_indirect_call, 0
	.section	.AMDGPU.csdata,"",@progbits
; Kernel info:
; codeLenInByte = 0
; TotalNumSgprs: 0
; NumVgprs: 0
; ScratchSize: 0
; MemoryBound: 0
; FloatMode: 240
; IeeeMode: 1
; LDSByteSize: 0 bytes/workgroup (compile time only)
; SGPRBlocks: 0
; VGPRBlocks: 0
; NumSGPRsForWavesPerEU: 1
; NumVGPRsForWavesPerEU: 1
; Occupancy: 16
; WaveLimiterHint : 0
; COMPUTE_PGM_RSRC2:SCRATCH_EN: 0
; COMPUTE_PGM_RSRC2:USER_SGPR: 2
; COMPUTE_PGM_RSRC2:TRAP_HANDLER: 0
; COMPUTE_PGM_RSRC2:TGID_X_EN: 1
; COMPUTE_PGM_RSRC2:TGID_Y_EN: 0
; COMPUTE_PGM_RSRC2:TGID_Z_EN: 0
; COMPUTE_PGM_RSRC2:TIDIG_COMP_CNT: 0
	.section	.text._ZN7rocprim17ROCPRIM_400000_NS6detail17trampoline_kernelINS0_14default_configENS1_36segmented_radix_sort_config_selectorI12hip_bfloat16lEEZNS1_25segmented_radix_sort_implIS3_Lb1EPKS5_PS5_PKlPlN2at6native12_GLOBAL__N_18offset_tEEE10hipError_tPvRmT1_PNSt15iterator_traitsISL_E10value_typeET2_T3_PNSM_ISR_E10value_typeET4_jRbjT5_SX_jjP12ihipStream_tbEUlT_E_NS1_11comp_targetILNS1_3genE9ELNS1_11target_archE1100ELNS1_3gpuE3ELNS1_3repE0EEENS1_30default_config_static_selectorELNS0_4arch9wavefront6targetE0EEEvSL_,"axG",@progbits,_ZN7rocprim17ROCPRIM_400000_NS6detail17trampoline_kernelINS0_14default_configENS1_36segmented_radix_sort_config_selectorI12hip_bfloat16lEEZNS1_25segmented_radix_sort_implIS3_Lb1EPKS5_PS5_PKlPlN2at6native12_GLOBAL__N_18offset_tEEE10hipError_tPvRmT1_PNSt15iterator_traitsISL_E10value_typeET2_T3_PNSM_ISR_E10value_typeET4_jRbjT5_SX_jjP12ihipStream_tbEUlT_E_NS1_11comp_targetILNS1_3genE9ELNS1_11target_archE1100ELNS1_3gpuE3ELNS1_3repE0EEENS1_30default_config_static_selectorELNS0_4arch9wavefront6targetE0EEEvSL_,comdat
	.globl	_ZN7rocprim17ROCPRIM_400000_NS6detail17trampoline_kernelINS0_14default_configENS1_36segmented_radix_sort_config_selectorI12hip_bfloat16lEEZNS1_25segmented_radix_sort_implIS3_Lb1EPKS5_PS5_PKlPlN2at6native12_GLOBAL__N_18offset_tEEE10hipError_tPvRmT1_PNSt15iterator_traitsISL_E10value_typeET2_T3_PNSM_ISR_E10value_typeET4_jRbjT5_SX_jjP12ihipStream_tbEUlT_E_NS1_11comp_targetILNS1_3genE9ELNS1_11target_archE1100ELNS1_3gpuE3ELNS1_3repE0EEENS1_30default_config_static_selectorELNS0_4arch9wavefront6targetE0EEEvSL_ ; -- Begin function _ZN7rocprim17ROCPRIM_400000_NS6detail17trampoline_kernelINS0_14default_configENS1_36segmented_radix_sort_config_selectorI12hip_bfloat16lEEZNS1_25segmented_radix_sort_implIS3_Lb1EPKS5_PS5_PKlPlN2at6native12_GLOBAL__N_18offset_tEEE10hipError_tPvRmT1_PNSt15iterator_traitsISL_E10value_typeET2_T3_PNSM_ISR_E10value_typeET4_jRbjT5_SX_jjP12ihipStream_tbEUlT_E_NS1_11comp_targetILNS1_3genE9ELNS1_11target_archE1100ELNS1_3gpuE3ELNS1_3repE0EEENS1_30default_config_static_selectorELNS0_4arch9wavefront6targetE0EEEvSL_
	.p2align	8
	.type	_ZN7rocprim17ROCPRIM_400000_NS6detail17trampoline_kernelINS0_14default_configENS1_36segmented_radix_sort_config_selectorI12hip_bfloat16lEEZNS1_25segmented_radix_sort_implIS3_Lb1EPKS5_PS5_PKlPlN2at6native12_GLOBAL__N_18offset_tEEE10hipError_tPvRmT1_PNSt15iterator_traitsISL_E10value_typeET2_T3_PNSM_ISR_E10value_typeET4_jRbjT5_SX_jjP12ihipStream_tbEUlT_E_NS1_11comp_targetILNS1_3genE9ELNS1_11target_archE1100ELNS1_3gpuE3ELNS1_3repE0EEENS1_30default_config_static_selectorELNS0_4arch9wavefront6targetE0EEEvSL_,@function
_ZN7rocprim17ROCPRIM_400000_NS6detail17trampoline_kernelINS0_14default_configENS1_36segmented_radix_sort_config_selectorI12hip_bfloat16lEEZNS1_25segmented_radix_sort_implIS3_Lb1EPKS5_PS5_PKlPlN2at6native12_GLOBAL__N_18offset_tEEE10hipError_tPvRmT1_PNSt15iterator_traitsISL_E10value_typeET2_T3_PNSM_ISR_E10value_typeET4_jRbjT5_SX_jjP12ihipStream_tbEUlT_E_NS1_11comp_targetILNS1_3genE9ELNS1_11target_archE1100ELNS1_3gpuE3ELNS1_3repE0EEENS1_30default_config_static_selectorELNS0_4arch9wavefront6targetE0EEEvSL_: ; @_ZN7rocprim17ROCPRIM_400000_NS6detail17trampoline_kernelINS0_14default_configENS1_36segmented_radix_sort_config_selectorI12hip_bfloat16lEEZNS1_25segmented_radix_sort_implIS3_Lb1EPKS5_PS5_PKlPlN2at6native12_GLOBAL__N_18offset_tEEE10hipError_tPvRmT1_PNSt15iterator_traitsISL_E10value_typeET2_T3_PNSM_ISR_E10value_typeET4_jRbjT5_SX_jjP12ihipStream_tbEUlT_E_NS1_11comp_targetILNS1_3genE9ELNS1_11target_archE1100ELNS1_3gpuE3ELNS1_3repE0EEENS1_30default_config_static_selectorELNS0_4arch9wavefront6targetE0EEEvSL_
; %bb.0:
	.section	.rodata,"a",@progbits
	.p2align	6, 0x0
	.amdhsa_kernel _ZN7rocprim17ROCPRIM_400000_NS6detail17trampoline_kernelINS0_14default_configENS1_36segmented_radix_sort_config_selectorI12hip_bfloat16lEEZNS1_25segmented_radix_sort_implIS3_Lb1EPKS5_PS5_PKlPlN2at6native12_GLOBAL__N_18offset_tEEE10hipError_tPvRmT1_PNSt15iterator_traitsISL_E10value_typeET2_T3_PNSM_ISR_E10value_typeET4_jRbjT5_SX_jjP12ihipStream_tbEUlT_E_NS1_11comp_targetILNS1_3genE9ELNS1_11target_archE1100ELNS1_3gpuE3ELNS1_3repE0EEENS1_30default_config_static_selectorELNS0_4arch9wavefront6targetE0EEEvSL_
		.amdhsa_group_segment_fixed_size 0
		.amdhsa_private_segment_fixed_size 0
		.amdhsa_kernarg_size 96
		.amdhsa_user_sgpr_count 2
		.amdhsa_user_sgpr_dispatch_ptr 0
		.amdhsa_user_sgpr_queue_ptr 0
		.amdhsa_user_sgpr_kernarg_segment_ptr 1
		.amdhsa_user_sgpr_dispatch_id 0
		.amdhsa_user_sgpr_private_segment_size 0
		.amdhsa_wavefront_size32 1
		.amdhsa_uses_dynamic_stack 0
		.amdhsa_enable_private_segment 0
		.amdhsa_system_sgpr_workgroup_id_x 1
		.amdhsa_system_sgpr_workgroup_id_y 0
		.amdhsa_system_sgpr_workgroup_id_z 0
		.amdhsa_system_sgpr_workgroup_info 0
		.amdhsa_system_vgpr_workitem_id 0
		.amdhsa_next_free_vgpr 1
		.amdhsa_next_free_sgpr 1
		.amdhsa_reserve_vcc 0
		.amdhsa_float_round_mode_32 0
		.amdhsa_float_round_mode_16_64 0
		.amdhsa_float_denorm_mode_32 3
		.amdhsa_float_denorm_mode_16_64 3
		.amdhsa_fp16_overflow 0
		.amdhsa_workgroup_processor_mode 1
		.amdhsa_memory_ordered 1
		.amdhsa_forward_progress 1
		.amdhsa_inst_pref_size 0
		.amdhsa_round_robin_scheduling 0
		.amdhsa_exception_fp_ieee_invalid_op 0
		.amdhsa_exception_fp_denorm_src 0
		.amdhsa_exception_fp_ieee_div_zero 0
		.amdhsa_exception_fp_ieee_overflow 0
		.amdhsa_exception_fp_ieee_underflow 0
		.amdhsa_exception_fp_ieee_inexact 0
		.amdhsa_exception_int_div_zero 0
	.end_amdhsa_kernel
	.section	.text._ZN7rocprim17ROCPRIM_400000_NS6detail17trampoline_kernelINS0_14default_configENS1_36segmented_radix_sort_config_selectorI12hip_bfloat16lEEZNS1_25segmented_radix_sort_implIS3_Lb1EPKS5_PS5_PKlPlN2at6native12_GLOBAL__N_18offset_tEEE10hipError_tPvRmT1_PNSt15iterator_traitsISL_E10value_typeET2_T3_PNSM_ISR_E10value_typeET4_jRbjT5_SX_jjP12ihipStream_tbEUlT_E_NS1_11comp_targetILNS1_3genE9ELNS1_11target_archE1100ELNS1_3gpuE3ELNS1_3repE0EEENS1_30default_config_static_selectorELNS0_4arch9wavefront6targetE0EEEvSL_,"axG",@progbits,_ZN7rocprim17ROCPRIM_400000_NS6detail17trampoline_kernelINS0_14default_configENS1_36segmented_radix_sort_config_selectorI12hip_bfloat16lEEZNS1_25segmented_radix_sort_implIS3_Lb1EPKS5_PS5_PKlPlN2at6native12_GLOBAL__N_18offset_tEEE10hipError_tPvRmT1_PNSt15iterator_traitsISL_E10value_typeET2_T3_PNSM_ISR_E10value_typeET4_jRbjT5_SX_jjP12ihipStream_tbEUlT_E_NS1_11comp_targetILNS1_3genE9ELNS1_11target_archE1100ELNS1_3gpuE3ELNS1_3repE0EEENS1_30default_config_static_selectorELNS0_4arch9wavefront6targetE0EEEvSL_,comdat
.Lfunc_end1954:
	.size	_ZN7rocprim17ROCPRIM_400000_NS6detail17trampoline_kernelINS0_14default_configENS1_36segmented_radix_sort_config_selectorI12hip_bfloat16lEEZNS1_25segmented_radix_sort_implIS3_Lb1EPKS5_PS5_PKlPlN2at6native12_GLOBAL__N_18offset_tEEE10hipError_tPvRmT1_PNSt15iterator_traitsISL_E10value_typeET2_T3_PNSM_ISR_E10value_typeET4_jRbjT5_SX_jjP12ihipStream_tbEUlT_E_NS1_11comp_targetILNS1_3genE9ELNS1_11target_archE1100ELNS1_3gpuE3ELNS1_3repE0EEENS1_30default_config_static_selectorELNS0_4arch9wavefront6targetE0EEEvSL_, .Lfunc_end1954-_ZN7rocprim17ROCPRIM_400000_NS6detail17trampoline_kernelINS0_14default_configENS1_36segmented_radix_sort_config_selectorI12hip_bfloat16lEEZNS1_25segmented_radix_sort_implIS3_Lb1EPKS5_PS5_PKlPlN2at6native12_GLOBAL__N_18offset_tEEE10hipError_tPvRmT1_PNSt15iterator_traitsISL_E10value_typeET2_T3_PNSM_ISR_E10value_typeET4_jRbjT5_SX_jjP12ihipStream_tbEUlT_E_NS1_11comp_targetILNS1_3genE9ELNS1_11target_archE1100ELNS1_3gpuE3ELNS1_3repE0EEENS1_30default_config_static_selectorELNS0_4arch9wavefront6targetE0EEEvSL_
                                        ; -- End function
	.set _ZN7rocprim17ROCPRIM_400000_NS6detail17trampoline_kernelINS0_14default_configENS1_36segmented_radix_sort_config_selectorI12hip_bfloat16lEEZNS1_25segmented_radix_sort_implIS3_Lb1EPKS5_PS5_PKlPlN2at6native12_GLOBAL__N_18offset_tEEE10hipError_tPvRmT1_PNSt15iterator_traitsISL_E10value_typeET2_T3_PNSM_ISR_E10value_typeET4_jRbjT5_SX_jjP12ihipStream_tbEUlT_E_NS1_11comp_targetILNS1_3genE9ELNS1_11target_archE1100ELNS1_3gpuE3ELNS1_3repE0EEENS1_30default_config_static_selectorELNS0_4arch9wavefront6targetE0EEEvSL_.num_vgpr, 0
	.set _ZN7rocprim17ROCPRIM_400000_NS6detail17trampoline_kernelINS0_14default_configENS1_36segmented_radix_sort_config_selectorI12hip_bfloat16lEEZNS1_25segmented_radix_sort_implIS3_Lb1EPKS5_PS5_PKlPlN2at6native12_GLOBAL__N_18offset_tEEE10hipError_tPvRmT1_PNSt15iterator_traitsISL_E10value_typeET2_T3_PNSM_ISR_E10value_typeET4_jRbjT5_SX_jjP12ihipStream_tbEUlT_E_NS1_11comp_targetILNS1_3genE9ELNS1_11target_archE1100ELNS1_3gpuE3ELNS1_3repE0EEENS1_30default_config_static_selectorELNS0_4arch9wavefront6targetE0EEEvSL_.num_agpr, 0
	.set _ZN7rocprim17ROCPRIM_400000_NS6detail17trampoline_kernelINS0_14default_configENS1_36segmented_radix_sort_config_selectorI12hip_bfloat16lEEZNS1_25segmented_radix_sort_implIS3_Lb1EPKS5_PS5_PKlPlN2at6native12_GLOBAL__N_18offset_tEEE10hipError_tPvRmT1_PNSt15iterator_traitsISL_E10value_typeET2_T3_PNSM_ISR_E10value_typeET4_jRbjT5_SX_jjP12ihipStream_tbEUlT_E_NS1_11comp_targetILNS1_3genE9ELNS1_11target_archE1100ELNS1_3gpuE3ELNS1_3repE0EEENS1_30default_config_static_selectorELNS0_4arch9wavefront6targetE0EEEvSL_.numbered_sgpr, 0
	.set _ZN7rocprim17ROCPRIM_400000_NS6detail17trampoline_kernelINS0_14default_configENS1_36segmented_radix_sort_config_selectorI12hip_bfloat16lEEZNS1_25segmented_radix_sort_implIS3_Lb1EPKS5_PS5_PKlPlN2at6native12_GLOBAL__N_18offset_tEEE10hipError_tPvRmT1_PNSt15iterator_traitsISL_E10value_typeET2_T3_PNSM_ISR_E10value_typeET4_jRbjT5_SX_jjP12ihipStream_tbEUlT_E_NS1_11comp_targetILNS1_3genE9ELNS1_11target_archE1100ELNS1_3gpuE3ELNS1_3repE0EEENS1_30default_config_static_selectorELNS0_4arch9wavefront6targetE0EEEvSL_.num_named_barrier, 0
	.set _ZN7rocprim17ROCPRIM_400000_NS6detail17trampoline_kernelINS0_14default_configENS1_36segmented_radix_sort_config_selectorI12hip_bfloat16lEEZNS1_25segmented_radix_sort_implIS3_Lb1EPKS5_PS5_PKlPlN2at6native12_GLOBAL__N_18offset_tEEE10hipError_tPvRmT1_PNSt15iterator_traitsISL_E10value_typeET2_T3_PNSM_ISR_E10value_typeET4_jRbjT5_SX_jjP12ihipStream_tbEUlT_E_NS1_11comp_targetILNS1_3genE9ELNS1_11target_archE1100ELNS1_3gpuE3ELNS1_3repE0EEENS1_30default_config_static_selectorELNS0_4arch9wavefront6targetE0EEEvSL_.private_seg_size, 0
	.set _ZN7rocprim17ROCPRIM_400000_NS6detail17trampoline_kernelINS0_14default_configENS1_36segmented_radix_sort_config_selectorI12hip_bfloat16lEEZNS1_25segmented_radix_sort_implIS3_Lb1EPKS5_PS5_PKlPlN2at6native12_GLOBAL__N_18offset_tEEE10hipError_tPvRmT1_PNSt15iterator_traitsISL_E10value_typeET2_T3_PNSM_ISR_E10value_typeET4_jRbjT5_SX_jjP12ihipStream_tbEUlT_E_NS1_11comp_targetILNS1_3genE9ELNS1_11target_archE1100ELNS1_3gpuE3ELNS1_3repE0EEENS1_30default_config_static_selectorELNS0_4arch9wavefront6targetE0EEEvSL_.uses_vcc, 0
	.set _ZN7rocprim17ROCPRIM_400000_NS6detail17trampoline_kernelINS0_14default_configENS1_36segmented_radix_sort_config_selectorI12hip_bfloat16lEEZNS1_25segmented_radix_sort_implIS3_Lb1EPKS5_PS5_PKlPlN2at6native12_GLOBAL__N_18offset_tEEE10hipError_tPvRmT1_PNSt15iterator_traitsISL_E10value_typeET2_T3_PNSM_ISR_E10value_typeET4_jRbjT5_SX_jjP12ihipStream_tbEUlT_E_NS1_11comp_targetILNS1_3genE9ELNS1_11target_archE1100ELNS1_3gpuE3ELNS1_3repE0EEENS1_30default_config_static_selectorELNS0_4arch9wavefront6targetE0EEEvSL_.uses_flat_scratch, 0
	.set _ZN7rocprim17ROCPRIM_400000_NS6detail17trampoline_kernelINS0_14default_configENS1_36segmented_radix_sort_config_selectorI12hip_bfloat16lEEZNS1_25segmented_radix_sort_implIS3_Lb1EPKS5_PS5_PKlPlN2at6native12_GLOBAL__N_18offset_tEEE10hipError_tPvRmT1_PNSt15iterator_traitsISL_E10value_typeET2_T3_PNSM_ISR_E10value_typeET4_jRbjT5_SX_jjP12ihipStream_tbEUlT_E_NS1_11comp_targetILNS1_3genE9ELNS1_11target_archE1100ELNS1_3gpuE3ELNS1_3repE0EEENS1_30default_config_static_selectorELNS0_4arch9wavefront6targetE0EEEvSL_.has_dyn_sized_stack, 0
	.set _ZN7rocprim17ROCPRIM_400000_NS6detail17trampoline_kernelINS0_14default_configENS1_36segmented_radix_sort_config_selectorI12hip_bfloat16lEEZNS1_25segmented_radix_sort_implIS3_Lb1EPKS5_PS5_PKlPlN2at6native12_GLOBAL__N_18offset_tEEE10hipError_tPvRmT1_PNSt15iterator_traitsISL_E10value_typeET2_T3_PNSM_ISR_E10value_typeET4_jRbjT5_SX_jjP12ihipStream_tbEUlT_E_NS1_11comp_targetILNS1_3genE9ELNS1_11target_archE1100ELNS1_3gpuE3ELNS1_3repE0EEENS1_30default_config_static_selectorELNS0_4arch9wavefront6targetE0EEEvSL_.has_recursion, 0
	.set _ZN7rocprim17ROCPRIM_400000_NS6detail17trampoline_kernelINS0_14default_configENS1_36segmented_radix_sort_config_selectorI12hip_bfloat16lEEZNS1_25segmented_radix_sort_implIS3_Lb1EPKS5_PS5_PKlPlN2at6native12_GLOBAL__N_18offset_tEEE10hipError_tPvRmT1_PNSt15iterator_traitsISL_E10value_typeET2_T3_PNSM_ISR_E10value_typeET4_jRbjT5_SX_jjP12ihipStream_tbEUlT_E_NS1_11comp_targetILNS1_3genE9ELNS1_11target_archE1100ELNS1_3gpuE3ELNS1_3repE0EEENS1_30default_config_static_selectorELNS0_4arch9wavefront6targetE0EEEvSL_.has_indirect_call, 0
	.section	.AMDGPU.csdata,"",@progbits
; Kernel info:
; codeLenInByte = 0
; TotalNumSgprs: 0
; NumVgprs: 0
; ScratchSize: 0
; MemoryBound: 0
; FloatMode: 240
; IeeeMode: 1
; LDSByteSize: 0 bytes/workgroup (compile time only)
; SGPRBlocks: 0
; VGPRBlocks: 0
; NumSGPRsForWavesPerEU: 1
; NumVGPRsForWavesPerEU: 1
; Occupancy: 16
; WaveLimiterHint : 0
; COMPUTE_PGM_RSRC2:SCRATCH_EN: 0
; COMPUTE_PGM_RSRC2:USER_SGPR: 2
; COMPUTE_PGM_RSRC2:TRAP_HANDLER: 0
; COMPUTE_PGM_RSRC2:TGID_X_EN: 1
; COMPUTE_PGM_RSRC2:TGID_Y_EN: 0
; COMPUTE_PGM_RSRC2:TGID_Z_EN: 0
; COMPUTE_PGM_RSRC2:TIDIG_COMP_CNT: 0
	.section	.text._ZN7rocprim17ROCPRIM_400000_NS6detail17trampoline_kernelINS0_14default_configENS1_36segmented_radix_sort_config_selectorI12hip_bfloat16lEEZNS1_25segmented_radix_sort_implIS3_Lb1EPKS5_PS5_PKlPlN2at6native12_GLOBAL__N_18offset_tEEE10hipError_tPvRmT1_PNSt15iterator_traitsISL_E10value_typeET2_T3_PNSM_ISR_E10value_typeET4_jRbjT5_SX_jjP12ihipStream_tbEUlT_E_NS1_11comp_targetILNS1_3genE8ELNS1_11target_archE1030ELNS1_3gpuE2ELNS1_3repE0EEENS1_30default_config_static_selectorELNS0_4arch9wavefront6targetE0EEEvSL_,"axG",@progbits,_ZN7rocprim17ROCPRIM_400000_NS6detail17trampoline_kernelINS0_14default_configENS1_36segmented_radix_sort_config_selectorI12hip_bfloat16lEEZNS1_25segmented_radix_sort_implIS3_Lb1EPKS5_PS5_PKlPlN2at6native12_GLOBAL__N_18offset_tEEE10hipError_tPvRmT1_PNSt15iterator_traitsISL_E10value_typeET2_T3_PNSM_ISR_E10value_typeET4_jRbjT5_SX_jjP12ihipStream_tbEUlT_E_NS1_11comp_targetILNS1_3genE8ELNS1_11target_archE1030ELNS1_3gpuE2ELNS1_3repE0EEENS1_30default_config_static_selectorELNS0_4arch9wavefront6targetE0EEEvSL_,comdat
	.globl	_ZN7rocprim17ROCPRIM_400000_NS6detail17trampoline_kernelINS0_14default_configENS1_36segmented_radix_sort_config_selectorI12hip_bfloat16lEEZNS1_25segmented_radix_sort_implIS3_Lb1EPKS5_PS5_PKlPlN2at6native12_GLOBAL__N_18offset_tEEE10hipError_tPvRmT1_PNSt15iterator_traitsISL_E10value_typeET2_T3_PNSM_ISR_E10value_typeET4_jRbjT5_SX_jjP12ihipStream_tbEUlT_E_NS1_11comp_targetILNS1_3genE8ELNS1_11target_archE1030ELNS1_3gpuE2ELNS1_3repE0EEENS1_30default_config_static_selectorELNS0_4arch9wavefront6targetE0EEEvSL_ ; -- Begin function _ZN7rocprim17ROCPRIM_400000_NS6detail17trampoline_kernelINS0_14default_configENS1_36segmented_radix_sort_config_selectorI12hip_bfloat16lEEZNS1_25segmented_radix_sort_implIS3_Lb1EPKS5_PS5_PKlPlN2at6native12_GLOBAL__N_18offset_tEEE10hipError_tPvRmT1_PNSt15iterator_traitsISL_E10value_typeET2_T3_PNSM_ISR_E10value_typeET4_jRbjT5_SX_jjP12ihipStream_tbEUlT_E_NS1_11comp_targetILNS1_3genE8ELNS1_11target_archE1030ELNS1_3gpuE2ELNS1_3repE0EEENS1_30default_config_static_selectorELNS0_4arch9wavefront6targetE0EEEvSL_
	.p2align	8
	.type	_ZN7rocprim17ROCPRIM_400000_NS6detail17trampoline_kernelINS0_14default_configENS1_36segmented_radix_sort_config_selectorI12hip_bfloat16lEEZNS1_25segmented_radix_sort_implIS3_Lb1EPKS5_PS5_PKlPlN2at6native12_GLOBAL__N_18offset_tEEE10hipError_tPvRmT1_PNSt15iterator_traitsISL_E10value_typeET2_T3_PNSM_ISR_E10value_typeET4_jRbjT5_SX_jjP12ihipStream_tbEUlT_E_NS1_11comp_targetILNS1_3genE8ELNS1_11target_archE1030ELNS1_3gpuE2ELNS1_3repE0EEENS1_30default_config_static_selectorELNS0_4arch9wavefront6targetE0EEEvSL_,@function
_ZN7rocprim17ROCPRIM_400000_NS6detail17trampoline_kernelINS0_14default_configENS1_36segmented_radix_sort_config_selectorI12hip_bfloat16lEEZNS1_25segmented_radix_sort_implIS3_Lb1EPKS5_PS5_PKlPlN2at6native12_GLOBAL__N_18offset_tEEE10hipError_tPvRmT1_PNSt15iterator_traitsISL_E10value_typeET2_T3_PNSM_ISR_E10value_typeET4_jRbjT5_SX_jjP12ihipStream_tbEUlT_E_NS1_11comp_targetILNS1_3genE8ELNS1_11target_archE1030ELNS1_3gpuE2ELNS1_3repE0EEENS1_30default_config_static_selectorELNS0_4arch9wavefront6targetE0EEEvSL_: ; @_ZN7rocprim17ROCPRIM_400000_NS6detail17trampoline_kernelINS0_14default_configENS1_36segmented_radix_sort_config_selectorI12hip_bfloat16lEEZNS1_25segmented_radix_sort_implIS3_Lb1EPKS5_PS5_PKlPlN2at6native12_GLOBAL__N_18offset_tEEE10hipError_tPvRmT1_PNSt15iterator_traitsISL_E10value_typeET2_T3_PNSM_ISR_E10value_typeET4_jRbjT5_SX_jjP12ihipStream_tbEUlT_E_NS1_11comp_targetILNS1_3genE8ELNS1_11target_archE1030ELNS1_3gpuE2ELNS1_3repE0EEENS1_30default_config_static_selectorELNS0_4arch9wavefront6targetE0EEEvSL_
; %bb.0:
	.section	.rodata,"a",@progbits
	.p2align	6, 0x0
	.amdhsa_kernel _ZN7rocprim17ROCPRIM_400000_NS6detail17trampoline_kernelINS0_14default_configENS1_36segmented_radix_sort_config_selectorI12hip_bfloat16lEEZNS1_25segmented_radix_sort_implIS3_Lb1EPKS5_PS5_PKlPlN2at6native12_GLOBAL__N_18offset_tEEE10hipError_tPvRmT1_PNSt15iterator_traitsISL_E10value_typeET2_T3_PNSM_ISR_E10value_typeET4_jRbjT5_SX_jjP12ihipStream_tbEUlT_E_NS1_11comp_targetILNS1_3genE8ELNS1_11target_archE1030ELNS1_3gpuE2ELNS1_3repE0EEENS1_30default_config_static_selectorELNS0_4arch9wavefront6targetE0EEEvSL_
		.amdhsa_group_segment_fixed_size 0
		.amdhsa_private_segment_fixed_size 0
		.amdhsa_kernarg_size 96
		.amdhsa_user_sgpr_count 2
		.amdhsa_user_sgpr_dispatch_ptr 0
		.amdhsa_user_sgpr_queue_ptr 0
		.amdhsa_user_sgpr_kernarg_segment_ptr 1
		.amdhsa_user_sgpr_dispatch_id 0
		.amdhsa_user_sgpr_private_segment_size 0
		.amdhsa_wavefront_size32 1
		.amdhsa_uses_dynamic_stack 0
		.amdhsa_enable_private_segment 0
		.amdhsa_system_sgpr_workgroup_id_x 1
		.amdhsa_system_sgpr_workgroup_id_y 0
		.amdhsa_system_sgpr_workgroup_id_z 0
		.amdhsa_system_sgpr_workgroup_info 0
		.amdhsa_system_vgpr_workitem_id 0
		.amdhsa_next_free_vgpr 1
		.amdhsa_next_free_sgpr 1
		.amdhsa_reserve_vcc 0
		.amdhsa_float_round_mode_32 0
		.amdhsa_float_round_mode_16_64 0
		.amdhsa_float_denorm_mode_32 3
		.amdhsa_float_denorm_mode_16_64 3
		.amdhsa_fp16_overflow 0
		.amdhsa_workgroup_processor_mode 1
		.amdhsa_memory_ordered 1
		.amdhsa_forward_progress 1
		.amdhsa_inst_pref_size 0
		.amdhsa_round_robin_scheduling 0
		.amdhsa_exception_fp_ieee_invalid_op 0
		.amdhsa_exception_fp_denorm_src 0
		.amdhsa_exception_fp_ieee_div_zero 0
		.amdhsa_exception_fp_ieee_overflow 0
		.amdhsa_exception_fp_ieee_underflow 0
		.amdhsa_exception_fp_ieee_inexact 0
		.amdhsa_exception_int_div_zero 0
	.end_amdhsa_kernel
	.section	.text._ZN7rocprim17ROCPRIM_400000_NS6detail17trampoline_kernelINS0_14default_configENS1_36segmented_radix_sort_config_selectorI12hip_bfloat16lEEZNS1_25segmented_radix_sort_implIS3_Lb1EPKS5_PS5_PKlPlN2at6native12_GLOBAL__N_18offset_tEEE10hipError_tPvRmT1_PNSt15iterator_traitsISL_E10value_typeET2_T3_PNSM_ISR_E10value_typeET4_jRbjT5_SX_jjP12ihipStream_tbEUlT_E_NS1_11comp_targetILNS1_3genE8ELNS1_11target_archE1030ELNS1_3gpuE2ELNS1_3repE0EEENS1_30default_config_static_selectorELNS0_4arch9wavefront6targetE0EEEvSL_,"axG",@progbits,_ZN7rocprim17ROCPRIM_400000_NS6detail17trampoline_kernelINS0_14default_configENS1_36segmented_radix_sort_config_selectorI12hip_bfloat16lEEZNS1_25segmented_radix_sort_implIS3_Lb1EPKS5_PS5_PKlPlN2at6native12_GLOBAL__N_18offset_tEEE10hipError_tPvRmT1_PNSt15iterator_traitsISL_E10value_typeET2_T3_PNSM_ISR_E10value_typeET4_jRbjT5_SX_jjP12ihipStream_tbEUlT_E_NS1_11comp_targetILNS1_3genE8ELNS1_11target_archE1030ELNS1_3gpuE2ELNS1_3repE0EEENS1_30default_config_static_selectorELNS0_4arch9wavefront6targetE0EEEvSL_,comdat
.Lfunc_end1955:
	.size	_ZN7rocprim17ROCPRIM_400000_NS6detail17trampoline_kernelINS0_14default_configENS1_36segmented_radix_sort_config_selectorI12hip_bfloat16lEEZNS1_25segmented_radix_sort_implIS3_Lb1EPKS5_PS5_PKlPlN2at6native12_GLOBAL__N_18offset_tEEE10hipError_tPvRmT1_PNSt15iterator_traitsISL_E10value_typeET2_T3_PNSM_ISR_E10value_typeET4_jRbjT5_SX_jjP12ihipStream_tbEUlT_E_NS1_11comp_targetILNS1_3genE8ELNS1_11target_archE1030ELNS1_3gpuE2ELNS1_3repE0EEENS1_30default_config_static_selectorELNS0_4arch9wavefront6targetE0EEEvSL_, .Lfunc_end1955-_ZN7rocprim17ROCPRIM_400000_NS6detail17trampoline_kernelINS0_14default_configENS1_36segmented_radix_sort_config_selectorI12hip_bfloat16lEEZNS1_25segmented_radix_sort_implIS3_Lb1EPKS5_PS5_PKlPlN2at6native12_GLOBAL__N_18offset_tEEE10hipError_tPvRmT1_PNSt15iterator_traitsISL_E10value_typeET2_T3_PNSM_ISR_E10value_typeET4_jRbjT5_SX_jjP12ihipStream_tbEUlT_E_NS1_11comp_targetILNS1_3genE8ELNS1_11target_archE1030ELNS1_3gpuE2ELNS1_3repE0EEENS1_30default_config_static_selectorELNS0_4arch9wavefront6targetE0EEEvSL_
                                        ; -- End function
	.set _ZN7rocprim17ROCPRIM_400000_NS6detail17trampoline_kernelINS0_14default_configENS1_36segmented_radix_sort_config_selectorI12hip_bfloat16lEEZNS1_25segmented_radix_sort_implIS3_Lb1EPKS5_PS5_PKlPlN2at6native12_GLOBAL__N_18offset_tEEE10hipError_tPvRmT1_PNSt15iterator_traitsISL_E10value_typeET2_T3_PNSM_ISR_E10value_typeET4_jRbjT5_SX_jjP12ihipStream_tbEUlT_E_NS1_11comp_targetILNS1_3genE8ELNS1_11target_archE1030ELNS1_3gpuE2ELNS1_3repE0EEENS1_30default_config_static_selectorELNS0_4arch9wavefront6targetE0EEEvSL_.num_vgpr, 0
	.set _ZN7rocprim17ROCPRIM_400000_NS6detail17trampoline_kernelINS0_14default_configENS1_36segmented_radix_sort_config_selectorI12hip_bfloat16lEEZNS1_25segmented_radix_sort_implIS3_Lb1EPKS5_PS5_PKlPlN2at6native12_GLOBAL__N_18offset_tEEE10hipError_tPvRmT1_PNSt15iterator_traitsISL_E10value_typeET2_T3_PNSM_ISR_E10value_typeET4_jRbjT5_SX_jjP12ihipStream_tbEUlT_E_NS1_11comp_targetILNS1_3genE8ELNS1_11target_archE1030ELNS1_3gpuE2ELNS1_3repE0EEENS1_30default_config_static_selectorELNS0_4arch9wavefront6targetE0EEEvSL_.num_agpr, 0
	.set _ZN7rocprim17ROCPRIM_400000_NS6detail17trampoline_kernelINS0_14default_configENS1_36segmented_radix_sort_config_selectorI12hip_bfloat16lEEZNS1_25segmented_radix_sort_implIS3_Lb1EPKS5_PS5_PKlPlN2at6native12_GLOBAL__N_18offset_tEEE10hipError_tPvRmT1_PNSt15iterator_traitsISL_E10value_typeET2_T3_PNSM_ISR_E10value_typeET4_jRbjT5_SX_jjP12ihipStream_tbEUlT_E_NS1_11comp_targetILNS1_3genE8ELNS1_11target_archE1030ELNS1_3gpuE2ELNS1_3repE0EEENS1_30default_config_static_selectorELNS0_4arch9wavefront6targetE0EEEvSL_.numbered_sgpr, 0
	.set _ZN7rocprim17ROCPRIM_400000_NS6detail17trampoline_kernelINS0_14default_configENS1_36segmented_radix_sort_config_selectorI12hip_bfloat16lEEZNS1_25segmented_radix_sort_implIS3_Lb1EPKS5_PS5_PKlPlN2at6native12_GLOBAL__N_18offset_tEEE10hipError_tPvRmT1_PNSt15iterator_traitsISL_E10value_typeET2_T3_PNSM_ISR_E10value_typeET4_jRbjT5_SX_jjP12ihipStream_tbEUlT_E_NS1_11comp_targetILNS1_3genE8ELNS1_11target_archE1030ELNS1_3gpuE2ELNS1_3repE0EEENS1_30default_config_static_selectorELNS0_4arch9wavefront6targetE0EEEvSL_.num_named_barrier, 0
	.set _ZN7rocprim17ROCPRIM_400000_NS6detail17trampoline_kernelINS0_14default_configENS1_36segmented_radix_sort_config_selectorI12hip_bfloat16lEEZNS1_25segmented_radix_sort_implIS3_Lb1EPKS5_PS5_PKlPlN2at6native12_GLOBAL__N_18offset_tEEE10hipError_tPvRmT1_PNSt15iterator_traitsISL_E10value_typeET2_T3_PNSM_ISR_E10value_typeET4_jRbjT5_SX_jjP12ihipStream_tbEUlT_E_NS1_11comp_targetILNS1_3genE8ELNS1_11target_archE1030ELNS1_3gpuE2ELNS1_3repE0EEENS1_30default_config_static_selectorELNS0_4arch9wavefront6targetE0EEEvSL_.private_seg_size, 0
	.set _ZN7rocprim17ROCPRIM_400000_NS6detail17trampoline_kernelINS0_14default_configENS1_36segmented_radix_sort_config_selectorI12hip_bfloat16lEEZNS1_25segmented_radix_sort_implIS3_Lb1EPKS5_PS5_PKlPlN2at6native12_GLOBAL__N_18offset_tEEE10hipError_tPvRmT1_PNSt15iterator_traitsISL_E10value_typeET2_T3_PNSM_ISR_E10value_typeET4_jRbjT5_SX_jjP12ihipStream_tbEUlT_E_NS1_11comp_targetILNS1_3genE8ELNS1_11target_archE1030ELNS1_3gpuE2ELNS1_3repE0EEENS1_30default_config_static_selectorELNS0_4arch9wavefront6targetE0EEEvSL_.uses_vcc, 0
	.set _ZN7rocprim17ROCPRIM_400000_NS6detail17trampoline_kernelINS0_14default_configENS1_36segmented_radix_sort_config_selectorI12hip_bfloat16lEEZNS1_25segmented_radix_sort_implIS3_Lb1EPKS5_PS5_PKlPlN2at6native12_GLOBAL__N_18offset_tEEE10hipError_tPvRmT1_PNSt15iterator_traitsISL_E10value_typeET2_T3_PNSM_ISR_E10value_typeET4_jRbjT5_SX_jjP12ihipStream_tbEUlT_E_NS1_11comp_targetILNS1_3genE8ELNS1_11target_archE1030ELNS1_3gpuE2ELNS1_3repE0EEENS1_30default_config_static_selectorELNS0_4arch9wavefront6targetE0EEEvSL_.uses_flat_scratch, 0
	.set _ZN7rocprim17ROCPRIM_400000_NS6detail17trampoline_kernelINS0_14default_configENS1_36segmented_radix_sort_config_selectorI12hip_bfloat16lEEZNS1_25segmented_radix_sort_implIS3_Lb1EPKS5_PS5_PKlPlN2at6native12_GLOBAL__N_18offset_tEEE10hipError_tPvRmT1_PNSt15iterator_traitsISL_E10value_typeET2_T3_PNSM_ISR_E10value_typeET4_jRbjT5_SX_jjP12ihipStream_tbEUlT_E_NS1_11comp_targetILNS1_3genE8ELNS1_11target_archE1030ELNS1_3gpuE2ELNS1_3repE0EEENS1_30default_config_static_selectorELNS0_4arch9wavefront6targetE0EEEvSL_.has_dyn_sized_stack, 0
	.set _ZN7rocprim17ROCPRIM_400000_NS6detail17trampoline_kernelINS0_14default_configENS1_36segmented_radix_sort_config_selectorI12hip_bfloat16lEEZNS1_25segmented_radix_sort_implIS3_Lb1EPKS5_PS5_PKlPlN2at6native12_GLOBAL__N_18offset_tEEE10hipError_tPvRmT1_PNSt15iterator_traitsISL_E10value_typeET2_T3_PNSM_ISR_E10value_typeET4_jRbjT5_SX_jjP12ihipStream_tbEUlT_E_NS1_11comp_targetILNS1_3genE8ELNS1_11target_archE1030ELNS1_3gpuE2ELNS1_3repE0EEENS1_30default_config_static_selectorELNS0_4arch9wavefront6targetE0EEEvSL_.has_recursion, 0
	.set _ZN7rocprim17ROCPRIM_400000_NS6detail17trampoline_kernelINS0_14default_configENS1_36segmented_radix_sort_config_selectorI12hip_bfloat16lEEZNS1_25segmented_radix_sort_implIS3_Lb1EPKS5_PS5_PKlPlN2at6native12_GLOBAL__N_18offset_tEEE10hipError_tPvRmT1_PNSt15iterator_traitsISL_E10value_typeET2_T3_PNSM_ISR_E10value_typeET4_jRbjT5_SX_jjP12ihipStream_tbEUlT_E_NS1_11comp_targetILNS1_3genE8ELNS1_11target_archE1030ELNS1_3gpuE2ELNS1_3repE0EEENS1_30default_config_static_selectorELNS0_4arch9wavefront6targetE0EEEvSL_.has_indirect_call, 0
	.section	.AMDGPU.csdata,"",@progbits
; Kernel info:
; codeLenInByte = 0
; TotalNumSgprs: 0
; NumVgprs: 0
; ScratchSize: 0
; MemoryBound: 0
; FloatMode: 240
; IeeeMode: 1
; LDSByteSize: 0 bytes/workgroup (compile time only)
; SGPRBlocks: 0
; VGPRBlocks: 0
; NumSGPRsForWavesPerEU: 1
; NumVGPRsForWavesPerEU: 1
; Occupancy: 16
; WaveLimiterHint : 0
; COMPUTE_PGM_RSRC2:SCRATCH_EN: 0
; COMPUTE_PGM_RSRC2:USER_SGPR: 2
; COMPUTE_PGM_RSRC2:TRAP_HANDLER: 0
; COMPUTE_PGM_RSRC2:TGID_X_EN: 1
; COMPUTE_PGM_RSRC2:TGID_Y_EN: 0
; COMPUTE_PGM_RSRC2:TGID_Z_EN: 0
; COMPUTE_PGM_RSRC2:TIDIG_COMP_CNT: 0
	.section	.text._ZN7rocprim17ROCPRIM_400000_NS6detail17trampoline_kernelINS0_14default_configENS1_36segmented_radix_sort_config_selectorI12hip_bfloat16lEEZNS1_25segmented_radix_sort_implIS3_Lb1EPKS5_PS5_PKlPlN2at6native12_GLOBAL__N_18offset_tEEE10hipError_tPvRmT1_PNSt15iterator_traitsISL_E10value_typeET2_T3_PNSM_ISR_E10value_typeET4_jRbjT5_SX_jjP12ihipStream_tbEUlT_E0_NS1_11comp_targetILNS1_3genE0ELNS1_11target_archE4294967295ELNS1_3gpuE0ELNS1_3repE0EEENS1_60segmented_radix_sort_warp_sort_medium_config_static_selectorELNS0_4arch9wavefront6targetE0EEEvSL_,"axG",@progbits,_ZN7rocprim17ROCPRIM_400000_NS6detail17trampoline_kernelINS0_14default_configENS1_36segmented_radix_sort_config_selectorI12hip_bfloat16lEEZNS1_25segmented_radix_sort_implIS3_Lb1EPKS5_PS5_PKlPlN2at6native12_GLOBAL__N_18offset_tEEE10hipError_tPvRmT1_PNSt15iterator_traitsISL_E10value_typeET2_T3_PNSM_ISR_E10value_typeET4_jRbjT5_SX_jjP12ihipStream_tbEUlT_E0_NS1_11comp_targetILNS1_3genE0ELNS1_11target_archE4294967295ELNS1_3gpuE0ELNS1_3repE0EEENS1_60segmented_radix_sort_warp_sort_medium_config_static_selectorELNS0_4arch9wavefront6targetE0EEEvSL_,comdat
	.globl	_ZN7rocprim17ROCPRIM_400000_NS6detail17trampoline_kernelINS0_14default_configENS1_36segmented_radix_sort_config_selectorI12hip_bfloat16lEEZNS1_25segmented_radix_sort_implIS3_Lb1EPKS5_PS5_PKlPlN2at6native12_GLOBAL__N_18offset_tEEE10hipError_tPvRmT1_PNSt15iterator_traitsISL_E10value_typeET2_T3_PNSM_ISR_E10value_typeET4_jRbjT5_SX_jjP12ihipStream_tbEUlT_E0_NS1_11comp_targetILNS1_3genE0ELNS1_11target_archE4294967295ELNS1_3gpuE0ELNS1_3repE0EEENS1_60segmented_radix_sort_warp_sort_medium_config_static_selectorELNS0_4arch9wavefront6targetE0EEEvSL_ ; -- Begin function _ZN7rocprim17ROCPRIM_400000_NS6detail17trampoline_kernelINS0_14default_configENS1_36segmented_radix_sort_config_selectorI12hip_bfloat16lEEZNS1_25segmented_radix_sort_implIS3_Lb1EPKS5_PS5_PKlPlN2at6native12_GLOBAL__N_18offset_tEEE10hipError_tPvRmT1_PNSt15iterator_traitsISL_E10value_typeET2_T3_PNSM_ISR_E10value_typeET4_jRbjT5_SX_jjP12ihipStream_tbEUlT_E0_NS1_11comp_targetILNS1_3genE0ELNS1_11target_archE4294967295ELNS1_3gpuE0ELNS1_3repE0EEENS1_60segmented_radix_sort_warp_sort_medium_config_static_selectorELNS0_4arch9wavefront6targetE0EEEvSL_
	.p2align	8
	.type	_ZN7rocprim17ROCPRIM_400000_NS6detail17trampoline_kernelINS0_14default_configENS1_36segmented_radix_sort_config_selectorI12hip_bfloat16lEEZNS1_25segmented_radix_sort_implIS3_Lb1EPKS5_PS5_PKlPlN2at6native12_GLOBAL__N_18offset_tEEE10hipError_tPvRmT1_PNSt15iterator_traitsISL_E10value_typeET2_T3_PNSM_ISR_E10value_typeET4_jRbjT5_SX_jjP12ihipStream_tbEUlT_E0_NS1_11comp_targetILNS1_3genE0ELNS1_11target_archE4294967295ELNS1_3gpuE0ELNS1_3repE0EEENS1_60segmented_radix_sort_warp_sort_medium_config_static_selectorELNS0_4arch9wavefront6targetE0EEEvSL_,@function
_ZN7rocprim17ROCPRIM_400000_NS6detail17trampoline_kernelINS0_14default_configENS1_36segmented_radix_sort_config_selectorI12hip_bfloat16lEEZNS1_25segmented_radix_sort_implIS3_Lb1EPKS5_PS5_PKlPlN2at6native12_GLOBAL__N_18offset_tEEE10hipError_tPvRmT1_PNSt15iterator_traitsISL_E10value_typeET2_T3_PNSM_ISR_E10value_typeET4_jRbjT5_SX_jjP12ihipStream_tbEUlT_E0_NS1_11comp_targetILNS1_3genE0ELNS1_11target_archE4294967295ELNS1_3gpuE0ELNS1_3repE0EEENS1_60segmented_radix_sort_warp_sort_medium_config_static_selectorELNS0_4arch9wavefront6targetE0EEEvSL_: ; @_ZN7rocprim17ROCPRIM_400000_NS6detail17trampoline_kernelINS0_14default_configENS1_36segmented_radix_sort_config_selectorI12hip_bfloat16lEEZNS1_25segmented_radix_sort_implIS3_Lb1EPKS5_PS5_PKlPlN2at6native12_GLOBAL__N_18offset_tEEE10hipError_tPvRmT1_PNSt15iterator_traitsISL_E10value_typeET2_T3_PNSM_ISR_E10value_typeET4_jRbjT5_SX_jjP12ihipStream_tbEUlT_E0_NS1_11comp_targetILNS1_3genE0ELNS1_11target_archE4294967295ELNS1_3gpuE0ELNS1_3repE0EEENS1_60segmented_radix_sort_warp_sort_medium_config_static_selectorELNS0_4arch9wavefront6targetE0EEEvSL_
; %bb.0:
	.section	.rodata,"a",@progbits
	.p2align	6, 0x0
	.amdhsa_kernel _ZN7rocprim17ROCPRIM_400000_NS6detail17trampoline_kernelINS0_14default_configENS1_36segmented_radix_sort_config_selectorI12hip_bfloat16lEEZNS1_25segmented_radix_sort_implIS3_Lb1EPKS5_PS5_PKlPlN2at6native12_GLOBAL__N_18offset_tEEE10hipError_tPvRmT1_PNSt15iterator_traitsISL_E10value_typeET2_T3_PNSM_ISR_E10value_typeET4_jRbjT5_SX_jjP12ihipStream_tbEUlT_E0_NS1_11comp_targetILNS1_3genE0ELNS1_11target_archE4294967295ELNS1_3gpuE0ELNS1_3repE0EEENS1_60segmented_radix_sort_warp_sort_medium_config_static_selectorELNS0_4arch9wavefront6targetE0EEEvSL_
		.amdhsa_group_segment_fixed_size 0
		.amdhsa_private_segment_fixed_size 0
		.amdhsa_kernarg_size 88
		.amdhsa_user_sgpr_count 2
		.amdhsa_user_sgpr_dispatch_ptr 0
		.amdhsa_user_sgpr_queue_ptr 0
		.amdhsa_user_sgpr_kernarg_segment_ptr 1
		.amdhsa_user_sgpr_dispatch_id 0
		.amdhsa_user_sgpr_private_segment_size 0
		.amdhsa_wavefront_size32 1
		.amdhsa_uses_dynamic_stack 0
		.amdhsa_enable_private_segment 0
		.amdhsa_system_sgpr_workgroup_id_x 1
		.amdhsa_system_sgpr_workgroup_id_y 0
		.amdhsa_system_sgpr_workgroup_id_z 0
		.amdhsa_system_sgpr_workgroup_info 0
		.amdhsa_system_vgpr_workitem_id 0
		.amdhsa_next_free_vgpr 1
		.amdhsa_next_free_sgpr 1
		.amdhsa_reserve_vcc 0
		.amdhsa_float_round_mode_32 0
		.amdhsa_float_round_mode_16_64 0
		.amdhsa_float_denorm_mode_32 3
		.amdhsa_float_denorm_mode_16_64 3
		.amdhsa_fp16_overflow 0
		.amdhsa_workgroup_processor_mode 1
		.amdhsa_memory_ordered 1
		.amdhsa_forward_progress 1
		.amdhsa_inst_pref_size 0
		.amdhsa_round_robin_scheduling 0
		.amdhsa_exception_fp_ieee_invalid_op 0
		.amdhsa_exception_fp_denorm_src 0
		.amdhsa_exception_fp_ieee_div_zero 0
		.amdhsa_exception_fp_ieee_overflow 0
		.amdhsa_exception_fp_ieee_underflow 0
		.amdhsa_exception_fp_ieee_inexact 0
		.amdhsa_exception_int_div_zero 0
	.end_amdhsa_kernel
	.section	.text._ZN7rocprim17ROCPRIM_400000_NS6detail17trampoline_kernelINS0_14default_configENS1_36segmented_radix_sort_config_selectorI12hip_bfloat16lEEZNS1_25segmented_radix_sort_implIS3_Lb1EPKS5_PS5_PKlPlN2at6native12_GLOBAL__N_18offset_tEEE10hipError_tPvRmT1_PNSt15iterator_traitsISL_E10value_typeET2_T3_PNSM_ISR_E10value_typeET4_jRbjT5_SX_jjP12ihipStream_tbEUlT_E0_NS1_11comp_targetILNS1_3genE0ELNS1_11target_archE4294967295ELNS1_3gpuE0ELNS1_3repE0EEENS1_60segmented_radix_sort_warp_sort_medium_config_static_selectorELNS0_4arch9wavefront6targetE0EEEvSL_,"axG",@progbits,_ZN7rocprim17ROCPRIM_400000_NS6detail17trampoline_kernelINS0_14default_configENS1_36segmented_radix_sort_config_selectorI12hip_bfloat16lEEZNS1_25segmented_radix_sort_implIS3_Lb1EPKS5_PS5_PKlPlN2at6native12_GLOBAL__N_18offset_tEEE10hipError_tPvRmT1_PNSt15iterator_traitsISL_E10value_typeET2_T3_PNSM_ISR_E10value_typeET4_jRbjT5_SX_jjP12ihipStream_tbEUlT_E0_NS1_11comp_targetILNS1_3genE0ELNS1_11target_archE4294967295ELNS1_3gpuE0ELNS1_3repE0EEENS1_60segmented_radix_sort_warp_sort_medium_config_static_selectorELNS0_4arch9wavefront6targetE0EEEvSL_,comdat
.Lfunc_end1956:
	.size	_ZN7rocprim17ROCPRIM_400000_NS6detail17trampoline_kernelINS0_14default_configENS1_36segmented_radix_sort_config_selectorI12hip_bfloat16lEEZNS1_25segmented_radix_sort_implIS3_Lb1EPKS5_PS5_PKlPlN2at6native12_GLOBAL__N_18offset_tEEE10hipError_tPvRmT1_PNSt15iterator_traitsISL_E10value_typeET2_T3_PNSM_ISR_E10value_typeET4_jRbjT5_SX_jjP12ihipStream_tbEUlT_E0_NS1_11comp_targetILNS1_3genE0ELNS1_11target_archE4294967295ELNS1_3gpuE0ELNS1_3repE0EEENS1_60segmented_radix_sort_warp_sort_medium_config_static_selectorELNS0_4arch9wavefront6targetE0EEEvSL_, .Lfunc_end1956-_ZN7rocprim17ROCPRIM_400000_NS6detail17trampoline_kernelINS0_14default_configENS1_36segmented_radix_sort_config_selectorI12hip_bfloat16lEEZNS1_25segmented_radix_sort_implIS3_Lb1EPKS5_PS5_PKlPlN2at6native12_GLOBAL__N_18offset_tEEE10hipError_tPvRmT1_PNSt15iterator_traitsISL_E10value_typeET2_T3_PNSM_ISR_E10value_typeET4_jRbjT5_SX_jjP12ihipStream_tbEUlT_E0_NS1_11comp_targetILNS1_3genE0ELNS1_11target_archE4294967295ELNS1_3gpuE0ELNS1_3repE0EEENS1_60segmented_radix_sort_warp_sort_medium_config_static_selectorELNS0_4arch9wavefront6targetE0EEEvSL_
                                        ; -- End function
	.set _ZN7rocprim17ROCPRIM_400000_NS6detail17trampoline_kernelINS0_14default_configENS1_36segmented_radix_sort_config_selectorI12hip_bfloat16lEEZNS1_25segmented_radix_sort_implIS3_Lb1EPKS5_PS5_PKlPlN2at6native12_GLOBAL__N_18offset_tEEE10hipError_tPvRmT1_PNSt15iterator_traitsISL_E10value_typeET2_T3_PNSM_ISR_E10value_typeET4_jRbjT5_SX_jjP12ihipStream_tbEUlT_E0_NS1_11comp_targetILNS1_3genE0ELNS1_11target_archE4294967295ELNS1_3gpuE0ELNS1_3repE0EEENS1_60segmented_radix_sort_warp_sort_medium_config_static_selectorELNS0_4arch9wavefront6targetE0EEEvSL_.num_vgpr, 0
	.set _ZN7rocprim17ROCPRIM_400000_NS6detail17trampoline_kernelINS0_14default_configENS1_36segmented_radix_sort_config_selectorI12hip_bfloat16lEEZNS1_25segmented_radix_sort_implIS3_Lb1EPKS5_PS5_PKlPlN2at6native12_GLOBAL__N_18offset_tEEE10hipError_tPvRmT1_PNSt15iterator_traitsISL_E10value_typeET2_T3_PNSM_ISR_E10value_typeET4_jRbjT5_SX_jjP12ihipStream_tbEUlT_E0_NS1_11comp_targetILNS1_3genE0ELNS1_11target_archE4294967295ELNS1_3gpuE0ELNS1_3repE0EEENS1_60segmented_radix_sort_warp_sort_medium_config_static_selectorELNS0_4arch9wavefront6targetE0EEEvSL_.num_agpr, 0
	.set _ZN7rocprim17ROCPRIM_400000_NS6detail17trampoline_kernelINS0_14default_configENS1_36segmented_radix_sort_config_selectorI12hip_bfloat16lEEZNS1_25segmented_radix_sort_implIS3_Lb1EPKS5_PS5_PKlPlN2at6native12_GLOBAL__N_18offset_tEEE10hipError_tPvRmT1_PNSt15iterator_traitsISL_E10value_typeET2_T3_PNSM_ISR_E10value_typeET4_jRbjT5_SX_jjP12ihipStream_tbEUlT_E0_NS1_11comp_targetILNS1_3genE0ELNS1_11target_archE4294967295ELNS1_3gpuE0ELNS1_3repE0EEENS1_60segmented_radix_sort_warp_sort_medium_config_static_selectorELNS0_4arch9wavefront6targetE0EEEvSL_.numbered_sgpr, 0
	.set _ZN7rocprim17ROCPRIM_400000_NS6detail17trampoline_kernelINS0_14default_configENS1_36segmented_radix_sort_config_selectorI12hip_bfloat16lEEZNS1_25segmented_radix_sort_implIS3_Lb1EPKS5_PS5_PKlPlN2at6native12_GLOBAL__N_18offset_tEEE10hipError_tPvRmT1_PNSt15iterator_traitsISL_E10value_typeET2_T3_PNSM_ISR_E10value_typeET4_jRbjT5_SX_jjP12ihipStream_tbEUlT_E0_NS1_11comp_targetILNS1_3genE0ELNS1_11target_archE4294967295ELNS1_3gpuE0ELNS1_3repE0EEENS1_60segmented_radix_sort_warp_sort_medium_config_static_selectorELNS0_4arch9wavefront6targetE0EEEvSL_.num_named_barrier, 0
	.set _ZN7rocprim17ROCPRIM_400000_NS6detail17trampoline_kernelINS0_14default_configENS1_36segmented_radix_sort_config_selectorI12hip_bfloat16lEEZNS1_25segmented_radix_sort_implIS3_Lb1EPKS5_PS5_PKlPlN2at6native12_GLOBAL__N_18offset_tEEE10hipError_tPvRmT1_PNSt15iterator_traitsISL_E10value_typeET2_T3_PNSM_ISR_E10value_typeET4_jRbjT5_SX_jjP12ihipStream_tbEUlT_E0_NS1_11comp_targetILNS1_3genE0ELNS1_11target_archE4294967295ELNS1_3gpuE0ELNS1_3repE0EEENS1_60segmented_radix_sort_warp_sort_medium_config_static_selectorELNS0_4arch9wavefront6targetE0EEEvSL_.private_seg_size, 0
	.set _ZN7rocprim17ROCPRIM_400000_NS6detail17trampoline_kernelINS0_14default_configENS1_36segmented_radix_sort_config_selectorI12hip_bfloat16lEEZNS1_25segmented_radix_sort_implIS3_Lb1EPKS5_PS5_PKlPlN2at6native12_GLOBAL__N_18offset_tEEE10hipError_tPvRmT1_PNSt15iterator_traitsISL_E10value_typeET2_T3_PNSM_ISR_E10value_typeET4_jRbjT5_SX_jjP12ihipStream_tbEUlT_E0_NS1_11comp_targetILNS1_3genE0ELNS1_11target_archE4294967295ELNS1_3gpuE0ELNS1_3repE0EEENS1_60segmented_radix_sort_warp_sort_medium_config_static_selectorELNS0_4arch9wavefront6targetE0EEEvSL_.uses_vcc, 0
	.set _ZN7rocprim17ROCPRIM_400000_NS6detail17trampoline_kernelINS0_14default_configENS1_36segmented_radix_sort_config_selectorI12hip_bfloat16lEEZNS1_25segmented_radix_sort_implIS3_Lb1EPKS5_PS5_PKlPlN2at6native12_GLOBAL__N_18offset_tEEE10hipError_tPvRmT1_PNSt15iterator_traitsISL_E10value_typeET2_T3_PNSM_ISR_E10value_typeET4_jRbjT5_SX_jjP12ihipStream_tbEUlT_E0_NS1_11comp_targetILNS1_3genE0ELNS1_11target_archE4294967295ELNS1_3gpuE0ELNS1_3repE0EEENS1_60segmented_radix_sort_warp_sort_medium_config_static_selectorELNS0_4arch9wavefront6targetE0EEEvSL_.uses_flat_scratch, 0
	.set _ZN7rocprim17ROCPRIM_400000_NS6detail17trampoline_kernelINS0_14default_configENS1_36segmented_radix_sort_config_selectorI12hip_bfloat16lEEZNS1_25segmented_radix_sort_implIS3_Lb1EPKS5_PS5_PKlPlN2at6native12_GLOBAL__N_18offset_tEEE10hipError_tPvRmT1_PNSt15iterator_traitsISL_E10value_typeET2_T3_PNSM_ISR_E10value_typeET4_jRbjT5_SX_jjP12ihipStream_tbEUlT_E0_NS1_11comp_targetILNS1_3genE0ELNS1_11target_archE4294967295ELNS1_3gpuE0ELNS1_3repE0EEENS1_60segmented_radix_sort_warp_sort_medium_config_static_selectorELNS0_4arch9wavefront6targetE0EEEvSL_.has_dyn_sized_stack, 0
	.set _ZN7rocprim17ROCPRIM_400000_NS6detail17trampoline_kernelINS0_14default_configENS1_36segmented_radix_sort_config_selectorI12hip_bfloat16lEEZNS1_25segmented_radix_sort_implIS3_Lb1EPKS5_PS5_PKlPlN2at6native12_GLOBAL__N_18offset_tEEE10hipError_tPvRmT1_PNSt15iterator_traitsISL_E10value_typeET2_T3_PNSM_ISR_E10value_typeET4_jRbjT5_SX_jjP12ihipStream_tbEUlT_E0_NS1_11comp_targetILNS1_3genE0ELNS1_11target_archE4294967295ELNS1_3gpuE0ELNS1_3repE0EEENS1_60segmented_radix_sort_warp_sort_medium_config_static_selectorELNS0_4arch9wavefront6targetE0EEEvSL_.has_recursion, 0
	.set _ZN7rocprim17ROCPRIM_400000_NS6detail17trampoline_kernelINS0_14default_configENS1_36segmented_radix_sort_config_selectorI12hip_bfloat16lEEZNS1_25segmented_radix_sort_implIS3_Lb1EPKS5_PS5_PKlPlN2at6native12_GLOBAL__N_18offset_tEEE10hipError_tPvRmT1_PNSt15iterator_traitsISL_E10value_typeET2_T3_PNSM_ISR_E10value_typeET4_jRbjT5_SX_jjP12ihipStream_tbEUlT_E0_NS1_11comp_targetILNS1_3genE0ELNS1_11target_archE4294967295ELNS1_3gpuE0ELNS1_3repE0EEENS1_60segmented_radix_sort_warp_sort_medium_config_static_selectorELNS0_4arch9wavefront6targetE0EEEvSL_.has_indirect_call, 0
	.section	.AMDGPU.csdata,"",@progbits
; Kernel info:
; codeLenInByte = 0
; TotalNumSgprs: 0
; NumVgprs: 0
; ScratchSize: 0
; MemoryBound: 0
; FloatMode: 240
; IeeeMode: 1
; LDSByteSize: 0 bytes/workgroup (compile time only)
; SGPRBlocks: 0
; VGPRBlocks: 0
; NumSGPRsForWavesPerEU: 1
; NumVGPRsForWavesPerEU: 1
; Occupancy: 16
; WaveLimiterHint : 0
; COMPUTE_PGM_RSRC2:SCRATCH_EN: 0
; COMPUTE_PGM_RSRC2:USER_SGPR: 2
; COMPUTE_PGM_RSRC2:TRAP_HANDLER: 0
; COMPUTE_PGM_RSRC2:TGID_X_EN: 1
; COMPUTE_PGM_RSRC2:TGID_Y_EN: 0
; COMPUTE_PGM_RSRC2:TGID_Z_EN: 0
; COMPUTE_PGM_RSRC2:TIDIG_COMP_CNT: 0
	.section	.text._ZN7rocprim17ROCPRIM_400000_NS6detail17trampoline_kernelINS0_14default_configENS1_36segmented_radix_sort_config_selectorI12hip_bfloat16lEEZNS1_25segmented_radix_sort_implIS3_Lb1EPKS5_PS5_PKlPlN2at6native12_GLOBAL__N_18offset_tEEE10hipError_tPvRmT1_PNSt15iterator_traitsISL_E10value_typeET2_T3_PNSM_ISR_E10value_typeET4_jRbjT5_SX_jjP12ihipStream_tbEUlT_E0_NS1_11comp_targetILNS1_3genE5ELNS1_11target_archE942ELNS1_3gpuE9ELNS1_3repE0EEENS1_60segmented_radix_sort_warp_sort_medium_config_static_selectorELNS0_4arch9wavefront6targetE0EEEvSL_,"axG",@progbits,_ZN7rocprim17ROCPRIM_400000_NS6detail17trampoline_kernelINS0_14default_configENS1_36segmented_radix_sort_config_selectorI12hip_bfloat16lEEZNS1_25segmented_radix_sort_implIS3_Lb1EPKS5_PS5_PKlPlN2at6native12_GLOBAL__N_18offset_tEEE10hipError_tPvRmT1_PNSt15iterator_traitsISL_E10value_typeET2_T3_PNSM_ISR_E10value_typeET4_jRbjT5_SX_jjP12ihipStream_tbEUlT_E0_NS1_11comp_targetILNS1_3genE5ELNS1_11target_archE942ELNS1_3gpuE9ELNS1_3repE0EEENS1_60segmented_radix_sort_warp_sort_medium_config_static_selectorELNS0_4arch9wavefront6targetE0EEEvSL_,comdat
	.globl	_ZN7rocprim17ROCPRIM_400000_NS6detail17trampoline_kernelINS0_14default_configENS1_36segmented_radix_sort_config_selectorI12hip_bfloat16lEEZNS1_25segmented_radix_sort_implIS3_Lb1EPKS5_PS5_PKlPlN2at6native12_GLOBAL__N_18offset_tEEE10hipError_tPvRmT1_PNSt15iterator_traitsISL_E10value_typeET2_T3_PNSM_ISR_E10value_typeET4_jRbjT5_SX_jjP12ihipStream_tbEUlT_E0_NS1_11comp_targetILNS1_3genE5ELNS1_11target_archE942ELNS1_3gpuE9ELNS1_3repE0EEENS1_60segmented_radix_sort_warp_sort_medium_config_static_selectorELNS0_4arch9wavefront6targetE0EEEvSL_ ; -- Begin function _ZN7rocprim17ROCPRIM_400000_NS6detail17trampoline_kernelINS0_14default_configENS1_36segmented_radix_sort_config_selectorI12hip_bfloat16lEEZNS1_25segmented_radix_sort_implIS3_Lb1EPKS5_PS5_PKlPlN2at6native12_GLOBAL__N_18offset_tEEE10hipError_tPvRmT1_PNSt15iterator_traitsISL_E10value_typeET2_T3_PNSM_ISR_E10value_typeET4_jRbjT5_SX_jjP12ihipStream_tbEUlT_E0_NS1_11comp_targetILNS1_3genE5ELNS1_11target_archE942ELNS1_3gpuE9ELNS1_3repE0EEENS1_60segmented_radix_sort_warp_sort_medium_config_static_selectorELNS0_4arch9wavefront6targetE0EEEvSL_
	.p2align	8
	.type	_ZN7rocprim17ROCPRIM_400000_NS6detail17trampoline_kernelINS0_14default_configENS1_36segmented_radix_sort_config_selectorI12hip_bfloat16lEEZNS1_25segmented_radix_sort_implIS3_Lb1EPKS5_PS5_PKlPlN2at6native12_GLOBAL__N_18offset_tEEE10hipError_tPvRmT1_PNSt15iterator_traitsISL_E10value_typeET2_T3_PNSM_ISR_E10value_typeET4_jRbjT5_SX_jjP12ihipStream_tbEUlT_E0_NS1_11comp_targetILNS1_3genE5ELNS1_11target_archE942ELNS1_3gpuE9ELNS1_3repE0EEENS1_60segmented_radix_sort_warp_sort_medium_config_static_selectorELNS0_4arch9wavefront6targetE0EEEvSL_,@function
_ZN7rocprim17ROCPRIM_400000_NS6detail17trampoline_kernelINS0_14default_configENS1_36segmented_radix_sort_config_selectorI12hip_bfloat16lEEZNS1_25segmented_radix_sort_implIS3_Lb1EPKS5_PS5_PKlPlN2at6native12_GLOBAL__N_18offset_tEEE10hipError_tPvRmT1_PNSt15iterator_traitsISL_E10value_typeET2_T3_PNSM_ISR_E10value_typeET4_jRbjT5_SX_jjP12ihipStream_tbEUlT_E0_NS1_11comp_targetILNS1_3genE5ELNS1_11target_archE942ELNS1_3gpuE9ELNS1_3repE0EEENS1_60segmented_radix_sort_warp_sort_medium_config_static_selectorELNS0_4arch9wavefront6targetE0EEEvSL_: ; @_ZN7rocprim17ROCPRIM_400000_NS6detail17trampoline_kernelINS0_14default_configENS1_36segmented_radix_sort_config_selectorI12hip_bfloat16lEEZNS1_25segmented_radix_sort_implIS3_Lb1EPKS5_PS5_PKlPlN2at6native12_GLOBAL__N_18offset_tEEE10hipError_tPvRmT1_PNSt15iterator_traitsISL_E10value_typeET2_T3_PNSM_ISR_E10value_typeET4_jRbjT5_SX_jjP12ihipStream_tbEUlT_E0_NS1_11comp_targetILNS1_3genE5ELNS1_11target_archE942ELNS1_3gpuE9ELNS1_3repE0EEENS1_60segmented_radix_sort_warp_sort_medium_config_static_selectorELNS0_4arch9wavefront6targetE0EEEvSL_
; %bb.0:
	.section	.rodata,"a",@progbits
	.p2align	6, 0x0
	.amdhsa_kernel _ZN7rocprim17ROCPRIM_400000_NS6detail17trampoline_kernelINS0_14default_configENS1_36segmented_radix_sort_config_selectorI12hip_bfloat16lEEZNS1_25segmented_radix_sort_implIS3_Lb1EPKS5_PS5_PKlPlN2at6native12_GLOBAL__N_18offset_tEEE10hipError_tPvRmT1_PNSt15iterator_traitsISL_E10value_typeET2_T3_PNSM_ISR_E10value_typeET4_jRbjT5_SX_jjP12ihipStream_tbEUlT_E0_NS1_11comp_targetILNS1_3genE5ELNS1_11target_archE942ELNS1_3gpuE9ELNS1_3repE0EEENS1_60segmented_radix_sort_warp_sort_medium_config_static_selectorELNS0_4arch9wavefront6targetE0EEEvSL_
		.amdhsa_group_segment_fixed_size 0
		.amdhsa_private_segment_fixed_size 0
		.amdhsa_kernarg_size 88
		.amdhsa_user_sgpr_count 2
		.amdhsa_user_sgpr_dispatch_ptr 0
		.amdhsa_user_sgpr_queue_ptr 0
		.amdhsa_user_sgpr_kernarg_segment_ptr 1
		.amdhsa_user_sgpr_dispatch_id 0
		.amdhsa_user_sgpr_private_segment_size 0
		.amdhsa_wavefront_size32 1
		.amdhsa_uses_dynamic_stack 0
		.amdhsa_enable_private_segment 0
		.amdhsa_system_sgpr_workgroup_id_x 1
		.amdhsa_system_sgpr_workgroup_id_y 0
		.amdhsa_system_sgpr_workgroup_id_z 0
		.amdhsa_system_sgpr_workgroup_info 0
		.amdhsa_system_vgpr_workitem_id 0
		.amdhsa_next_free_vgpr 1
		.amdhsa_next_free_sgpr 1
		.amdhsa_reserve_vcc 0
		.amdhsa_float_round_mode_32 0
		.amdhsa_float_round_mode_16_64 0
		.amdhsa_float_denorm_mode_32 3
		.amdhsa_float_denorm_mode_16_64 3
		.amdhsa_fp16_overflow 0
		.amdhsa_workgroup_processor_mode 1
		.amdhsa_memory_ordered 1
		.amdhsa_forward_progress 1
		.amdhsa_inst_pref_size 0
		.amdhsa_round_robin_scheduling 0
		.amdhsa_exception_fp_ieee_invalid_op 0
		.amdhsa_exception_fp_denorm_src 0
		.amdhsa_exception_fp_ieee_div_zero 0
		.amdhsa_exception_fp_ieee_overflow 0
		.amdhsa_exception_fp_ieee_underflow 0
		.amdhsa_exception_fp_ieee_inexact 0
		.amdhsa_exception_int_div_zero 0
	.end_amdhsa_kernel
	.section	.text._ZN7rocprim17ROCPRIM_400000_NS6detail17trampoline_kernelINS0_14default_configENS1_36segmented_radix_sort_config_selectorI12hip_bfloat16lEEZNS1_25segmented_radix_sort_implIS3_Lb1EPKS5_PS5_PKlPlN2at6native12_GLOBAL__N_18offset_tEEE10hipError_tPvRmT1_PNSt15iterator_traitsISL_E10value_typeET2_T3_PNSM_ISR_E10value_typeET4_jRbjT5_SX_jjP12ihipStream_tbEUlT_E0_NS1_11comp_targetILNS1_3genE5ELNS1_11target_archE942ELNS1_3gpuE9ELNS1_3repE0EEENS1_60segmented_radix_sort_warp_sort_medium_config_static_selectorELNS0_4arch9wavefront6targetE0EEEvSL_,"axG",@progbits,_ZN7rocprim17ROCPRIM_400000_NS6detail17trampoline_kernelINS0_14default_configENS1_36segmented_radix_sort_config_selectorI12hip_bfloat16lEEZNS1_25segmented_radix_sort_implIS3_Lb1EPKS5_PS5_PKlPlN2at6native12_GLOBAL__N_18offset_tEEE10hipError_tPvRmT1_PNSt15iterator_traitsISL_E10value_typeET2_T3_PNSM_ISR_E10value_typeET4_jRbjT5_SX_jjP12ihipStream_tbEUlT_E0_NS1_11comp_targetILNS1_3genE5ELNS1_11target_archE942ELNS1_3gpuE9ELNS1_3repE0EEENS1_60segmented_radix_sort_warp_sort_medium_config_static_selectorELNS0_4arch9wavefront6targetE0EEEvSL_,comdat
.Lfunc_end1957:
	.size	_ZN7rocprim17ROCPRIM_400000_NS6detail17trampoline_kernelINS0_14default_configENS1_36segmented_radix_sort_config_selectorI12hip_bfloat16lEEZNS1_25segmented_radix_sort_implIS3_Lb1EPKS5_PS5_PKlPlN2at6native12_GLOBAL__N_18offset_tEEE10hipError_tPvRmT1_PNSt15iterator_traitsISL_E10value_typeET2_T3_PNSM_ISR_E10value_typeET4_jRbjT5_SX_jjP12ihipStream_tbEUlT_E0_NS1_11comp_targetILNS1_3genE5ELNS1_11target_archE942ELNS1_3gpuE9ELNS1_3repE0EEENS1_60segmented_radix_sort_warp_sort_medium_config_static_selectorELNS0_4arch9wavefront6targetE0EEEvSL_, .Lfunc_end1957-_ZN7rocprim17ROCPRIM_400000_NS6detail17trampoline_kernelINS0_14default_configENS1_36segmented_radix_sort_config_selectorI12hip_bfloat16lEEZNS1_25segmented_radix_sort_implIS3_Lb1EPKS5_PS5_PKlPlN2at6native12_GLOBAL__N_18offset_tEEE10hipError_tPvRmT1_PNSt15iterator_traitsISL_E10value_typeET2_T3_PNSM_ISR_E10value_typeET4_jRbjT5_SX_jjP12ihipStream_tbEUlT_E0_NS1_11comp_targetILNS1_3genE5ELNS1_11target_archE942ELNS1_3gpuE9ELNS1_3repE0EEENS1_60segmented_radix_sort_warp_sort_medium_config_static_selectorELNS0_4arch9wavefront6targetE0EEEvSL_
                                        ; -- End function
	.set _ZN7rocprim17ROCPRIM_400000_NS6detail17trampoline_kernelINS0_14default_configENS1_36segmented_radix_sort_config_selectorI12hip_bfloat16lEEZNS1_25segmented_radix_sort_implIS3_Lb1EPKS5_PS5_PKlPlN2at6native12_GLOBAL__N_18offset_tEEE10hipError_tPvRmT1_PNSt15iterator_traitsISL_E10value_typeET2_T3_PNSM_ISR_E10value_typeET4_jRbjT5_SX_jjP12ihipStream_tbEUlT_E0_NS1_11comp_targetILNS1_3genE5ELNS1_11target_archE942ELNS1_3gpuE9ELNS1_3repE0EEENS1_60segmented_radix_sort_warp_sort_medium_config_static_selectorELNS0_4arch9wavefront6targetE0EEEvSL_.num_vgpr, 0
	.set _ZN7rocprim17ROCPRIM_400000_NS6detail17trampoline_kernelINS0_14default_configENS1_36segmented_radix_sort_config_selectorI12hip_bfloat16lEEZNS1_25segmented_radix_sort_implIS3_Lb1EPKS5_PS5_PKlPlN2at6native12_GLOBAL__N_18offset_tEEE10hipError_tPvRmT1_PNSt15iterator_traitsISL_E10value_typeET2_T3_PNSM_ISR_E10value_typeET4_jRbjT5_SX_jjP12ihipStream_tbEUlT_E0_NS1_11comp_targetILNS1_3genE5ELNS1_11target_archE942ELNS1_3gpuE9ELNS1_3repE0EEENS1_60segmented_radix_sort_warp_sort_medium_config_static_selectorELNS0_4arch9wavefront6targetE0EEEvSL_.num_agpr, 0
	.set _ZN7rocprim17ROCPRIM_400000_NS6detail17trampoline_kernelINS0_14default_configENS1_36segmented_radix_sort_config_selectorI12hip_bfloat16lEEZNS1_25segmented_radix_sort_implIS3_Lb1EPKS5_PS5_PKlPlN2at6native12_GLOBAL__N_18offset_tEEE10hipError_tPvRmT1_PNSt15iterator_traitsISL_E10value_typeET2_T3_PNSM_ISR_E10value_typeET4_jRbjT5_SX_jjP12ihipStream_tbEUlT_E0_NS1_11comp_targetILNS1_3genE5ELNS1_11target_archE942ELNS1_3gpuE9ELNS1_3repE0EEENS1_60segmented_radix_sort_warp_sort_medium_config_static_selectorELNS0_4arch9wavefront6targetE0EEEvSL_.numbered_sgpr, 0
	.set _ZN7rocprim17ROCPRIM_400000_NS6detail17trampoline_kernelINS0_14default_configENS1_36segmented_radix_sort_config_selectorI12hip_bfloat16lEEZNS1_25segmented_radix_sort_implIS3_Lb1EPKS5_PS5_PKlPlN2at6native12_GLOBAL__N_18offset_tEEE10hipError_tPvRmT1_PNSt15iterator_traitsISL_E10value_typeET2_T3_PNSM_ISR_E10value_typeET4_jRbjT5_SX_jjP12ihipStream_tbEUlT_E0_NS1_11comp_targetILNS1_3genE5ELNS1_11target_archE942ELNS1_3gpuE9ELNS1_3repE0EEENS1_60segmented_radix_sort_warp_sort_medium_config_static_selectorELNS0_4arch9wavefront6targetE0EEEvSL_.num_named_barrier, 0
	.set _ZN7rocprim17ROCPRIM_400000_NS6detail17trampoline_kernelINS0_14default_configENS1_36segmented_radix_sort_config_selectorI12hip_bfloat16lEEZNS1_25segmented_radix_sort_implIS3_Lb1EPKS5_PS5_PKlPlN2at6native12_GLOBAL__N_18offset_tEEE10hipError_tPvRmT1_PNSt15iterator_traitsISL_E10value_typeET2_T3_PNSM_ISR_E10value_typeET4_jRbjT5_SX_jjP12ihipStream_tbEUlT_E0_NS1_11comp_targetILNS1_3genE5ELNS1_11target_archE942ELNS1_3gpuE9ELNS1_3repE0EEENS1_60segmented_radix_sort_warp_sort_medium_config_static_selectorELNS0_4arch9wavefront6targetE0EEEvSL_.private_seg_size, 0
	.set _ZN7rocprim17ROCPRIM_400000_NS6detail17trampoline_kernelINS0_14default_configENS1_36segmented_radix_sort_config_selectorI12hip_bfloat16lEEZNS1_25segmented_radix_sort_implIS3_Lb1EPKS5_PS5_PKlPlN2at6native12_GLOBAL__N_18offset_tEEE10hipError_tPvRmT1_PNSt15iterator_traitsISL_E10value_typeET2_T3_PNSM_ISR_E10value_typeET4_jRbjT5_SX_jjP12ihipStream_tbEUlT_E0_NS1_11comp_targetILNS1_3genE5ELNS1_11target_archE942ELNS1_3gpuE9ELNS1_3repE0EEENS1_60segmented_radix_sort_warp_sort_medium_config_static_selectorELNS0_4arch9wavefront6targetE0EEEvSL_.uses_vcc, 0
	.set _ZN7rocprim17ROCPRIM_400000_NS6detail17trampoline_kernelINS0_14default_configENS1_36segmented_radix_sort_config_selectorI12hip_bfloat16lEEZNS1_25segmented_radix_sort_implIS3_Lb1EPKS5_PS5_PKlPlN2at6native12_GLOBAL__N_18offset_tEEE10hipError_tPvRmT1_PNSt15iterator_traitsISL_E10value_typeET2_T3_PNSM_ISR_E10value_typeET4_jRbjT5_SX_jjP12ihipStream_tbEUlT_E0_NS1_11comp_targetILNS1_3genE5ELNS1_11target_archE942ELNS1_3gpuE9ELNS1_3repE0EEENS1_60segmented_radix_sort_warp_sort_medium_config_static_selectorELNS0_4arch9wavefront6targetE0EEEvSL_.uses_flat_scratch, 0
	.set _ZN7rocprim17ROCPRIM_400000_NS6detail17trampoline_kernelINS0_14default_configENS1_36segmented_radix_sort_config_selectorI12hip_bfloat16lEEZNS1_25segmented_radix_sort_implIS3_Lb1EPKS5_PS5_PKlPlN2at6native12_GLOBAL__N_18offset_tEEE10hipError_tPvRmT1_PNSt15iterator_traitsISL_E10value_typeET2_T3_PNSM_ISR_E10value_typeET4_jRbjT5_SX_jjP12ihipStream_tbEUlT_E0_NS1_11comp_targetILNS1_3genE5ELNS1_11target_archE942ELNS1_3gpuE9ELNS1_3repE0EEENS1_60segmented_radix_sort_warp_sort_medium_config_static_selectorELNS0_4arch9wavefront6targetE0EEEvSL_.has_dyn_sized_stack, 0
	.set _ZN7rocprim17ROCPRIM_400000_NS6detail17trampoline_kernelINS0_14default_configENS1_36segmented_radix_sort_config_selectorI12hip_bfloat16lEEZNS1_25segmented_radix_sort_implIS3_Lb1EPKS5_PS5_PKlPlN2at6native12_GLOBAL__N_18offset_tEEE10hipError_tPvRmT1_PNSt15iterator_traitsISL_E10value_typeET2_T3_PNSM_ISR_E10value_typeET4_jRbjT5_SX_jjP12ihipStream_tbEUlT_E0_NS1_11comp_targetILNS1_3genE5ELNS1_11target_archE942ELNS1_3gpuE9ELNS1_3repE0EEENS1_60segmented_radix_sort_warp_sort_medium_config_static_selectorELNS0_4arch9wavefront6targetE0EEEvSL_.has_recursion, 0
	.set _ZN7rocprim17ROCPRIM_400000_NS6detail17trampoline_kernelINS0_14default_configENS1_36segmented_radix_sort_config_selectorI12hip_bfloat16lEEZNS1_25segmented_radix_sort_implIS3_Lb1EPKS5_PS5_PKlPlN2at6native12_GLOBAL__N_18offset_tEEE10hipError_tPvRmT1_PNSt15iterator_traitsISL_E10value_typeET2_T3_PNSM_ISR_E10value_typeET4_jRbjT5_SX_jjP12ihipStream_tbEUlT_E0_NS1_11comp_targetILNS1_3genE5ELNS1_11target_archE942ELNS1_3gpuE9ELNS1_3repE0EEENS1_60segmented_radix_sort_warp_sort_medium_config_static_selectorELNS0_4arch9wavefront6targetE0EEEvSL_.has_indirect_call, 0
	.section	.AMDGPU.csdata,"",@progbits
; Kernel info:
; codeLenInByte = 0
; TotalNumSgprs: 0
; NumVgprs: 0
; ScratchSize: 0
; MemoryBound: 0
; FloatMode: 240
; IeeeMode: 1
; LDSByteSize: 0 bytes/workgroup (compile time only)
; SGPRBlocks: 0
; VGPRBlocks: 0
; NumSGPRsForWavesPerEU: 1
; NumVGPRsForWavesPerEU: 1
; Occupancy: 16
; WaveLimiterHint : 0
; COMPUTE_PGM_RSRC2:SCRATCH_EN: 0
; COMPUTE_PGM_RSRC2:USER_SGPR: 2
; COMPUTE_PGM_RSRC2:TRAP_HANDLER: 0
; COMPUTE_PGM_RSRC2:TGID_X_EN: 1
; COMPUTE_PGM_RSRC2:TGID_Y_EN: 0
; COMPUTE_PGM_RSRC2:TGID_Z_EN: 0
; COMPUTE_PGM_RSRC2:TIDIG_COMP_CNT: 0
	.section	.text._ZN7rocprim17ROCPRIM_400000_NS6detail17trampoline_kernelINS0_14default_configENS1_36segmented_radix_sort_config_selectorI12hip_bfloat16lEEZNS1_25segmented_radix_sort_implIS3_Lb1EPKS5_PS5_PKlPlN2at6native12_GLOBAL__N_18offset_tEEE10hipError_tPvRmT1_PNSt15iterator_traitsISL_E10value_typeET2_T3_PNSM_ISR_E10value_typeET4_jRbjT5_SX_jjP12ihipStream_tbEUlT_E0_NS1_11comp_targetILNS1_3genE4ELNS1_11target_archE910ELNS1_3gpuE8ELNS1_3repE0EEENS1_60segmented_radix_sort_warp_sort_medium_config_static_selectorELNS0_4arch9wavefront6targetE0EEEvSL_,"axG",@progbits,_ZN7rocprim17ROCPRIM_400000_NS6detail17trampoline_kernelINS0_14default_configENS1_36segmented_radix_sort_config_selectorI12hip_bfloat16lEEZNS1_25segmented_radix_sort_implIS3_Lb1EPKS5_PS5_PKlPlN2at6native12_GLOBAL__N_18offset_tEEE10hipError_tPvRmT1_PNSt15iterator_traitsISL_E10value_typeET2_T3_PNSM_ISR_E10value_typeET4_jRbjT5_SX_jjP12ihipStream_tbEUlT_E0_NS1_11comp_targetILNS1_3genE4ELNS1_11target_archE910ELNS1_3gpuE8ELNS1_3repE0EEENS1_60segmented_radix_sort_warp_sort_medium_config_static_selectorELNS0_4arch9wavefront6targetE0EEEvSL_,comdat
	.globl	_ZN7rocprim17ROCPRIM_400000_NS6detail17trampoline_kernelINS0_14default_configENS1_36segmented_radix_sort_config_selectorI12hip_bfloat16lEEZNS1_25segmented_radix_sort_implIS3_Lb1EPKS5_PS5_PKlPlN2at6native12_GLOBAL__N_18offset_tEEE10hipError_tPvRmT1_PNSt15iterator_traitsISL_E10value_typeET2_T3_PNSM_ISR_E10value_typeET4_jRbjT5_SX_jjP12ihipStream_tbEUlT_E0_NS1_11comp_targetILNS1_3genE4ELNS1_11target_archE910ELNS1_3gpuE8ELNS1_3repE0EEENS1_60segmented_radix_sort_warp_sort_medium_config_static_selectorELNS0_4arch9wavefront6targetE0EEEvSL_ ; -- Begin function _ZN7rocprim17ROCPRIM_400000_NS6detail17trampoline_kernelINS0_14default_configENS1_36segmented_radix_sort_config_selectorI12hip_bfloat16lEEZNS1_25segmented_radix_sort_implIS3_Lb1EPKS5_PS5_PKlPlN2at6native12_GLOBAL__N_18offset_tEEE10hipError_tPvRmT1_PNSt15iterator_traitsISL_E10value_typeET2_T3_PNSM_ISR_E10value_typeET4_jRbjT5_SX_jjP12ihipStream_tbEUlT_E0_NS1_11comp_targetILNS1_3genE4ELNS1_11target_archE910ELNS1_3gpuE8ELNS1_3repE0EEENS1_60segmented_radix_sort_warp_sort_medium_config_static_selectorELNS0_4arch9wavefront6targetE0EEEvSL_
	.p2align	8
	.type	_ZN7rocprim17ROCPRIM_400000_NS6detail17trampoline_kernelINS0_14default_configENS1_36segmented_radix_sort_config_selectorI12hip_bfloat16lEEZNS1_25segmented_radix_sort_implIS3_Lb1EPKS5_PS5_PKlPlN2at6native12_GLOBAL__N_18offset_tEEE10hipError_tPvRmT1_PNSt15iterator_traitsISL_E10value_typeET2_T3_PNSM_ISR_E10value_typeET4_jRbjT5_SX_jjP12ihipStream_tbEUlT_E0_NS1_11comp_targetILNS1_3genE4ELNS1_11target_archE910ELNS1_3gpuE8ELNS1_3repE0EEENS1_60segmented_radix_sort_warp_sort_medium_config_static_selectorELNS0_4arch9wavefront6targetE0EEEvSL_,@function
_ZN7rocprim17ROCPRIM_400000_NS6detail17trampoline_kernelINS0_14default_configENS1_36segmented_radix_sort_config_selectorI12hip_bfloat16lEEZNS1_25segmented_radix_sort_implIS3_Lb1EPKS5_PS5_PKlPlN2at6native12_GLOBAL__N_18offset_tEEE10hipError_tPvRmT1_PNSt15iterator_traitsISL_E10value_typeET2_T3_PNSM_ISR_E10value_typeET4_jRbjT5_SX_jjP12ihipStream_tbEUlT_E0_NS1_11comp_targetILNS1_3genE4ELNS1_11target_archE910ELNS1_3gpuE8ELNS1_3repE0EEENS1_60segmented_radix_sort_warp_sort_medium_config_static_selectorELNS0_4arch9wavefront6targetE0EEEvSL_: ; @_ZN7rocprim17ROCPRIM_400000_NS6detail17trampoline_kernelINS0_14default_configENS1_36segmented_radix_sort_config_selectorI12hip_bfloat16lEEZNS1_25segmented_radix_sort_implIS3_Lb1EPKS5_PS5_PKlPlN2at6native12_GLOBAL__N_18offset_tEEE10hipError_tPvRmT1_PNSt15iterator_traitsISL_E10value_typeET2_T3_PNSM_ISR_E10value_typeET4_jRbjT5_SX_jjP12ihipStream_tbEUlT_E0_NS1_11comp_targetILNS1_3genE4ELNS1_11target_archE910ELNS1_3gpuE8ELNS1_3repE0EEENS1_60segmented_radix_sort_warp_sort_medium_config_static_selectorELNS0_4arch9wavefront6targetE0EEEvSL_
; %bb.0:
	.section	.rodata,"a",@progbits
	.p2align	6, 0x0
	.amdhsa_kernel _ZN7rocprim17ROCPRIM_400000_NS6detail17trampoline_kernelINS0_14default_configENS1_36segmented_radix_sort_config_selectorI12hip_bfloat16lEEZNS1_25segmented_radix_sort_implIS3_Lb1EPKS5_PS5_PKlPlN2at6native12_GLOBAL__N_18offset_tEEE10hipError_tPvRmT1_PNSt15iterator_traitsISL_E10value_typeET2_T3_PNSM_ISR_E10value_typeET4_jRbjT5_SX_jjP12ihipStream_tbEUlT_E0_NS1_11comp_targetILNS1_3genE4ELNS1_11target_archE910ELNS1_3gpuE8ELNS1_3repE0EEENS1_60segmented_radix_sort_warp_sort_medium_config_static_selectorELNS0_4arch9wavefront6targetE0EEEvSL_
		.amdhsa_group_segment_fixed_size 0
		.amdhsa_private_segment_fixed_size 0
		.amdhsa_kernarg_size 88
		.amdhsa_user_sgpr_count 2
		.amdhsa_user_sgpr_dispatch_ptr 0
		.amdhsa_user_sgpr_queue_ptr 0
		.amdhsa_user_sgpr_kernarg_segment_ptr 1
		.amdhsa_user_sgpr_dispatch_id 0
		.amdhsa_user_sgpr_private_segment_size 0
		.amdhsa_wavefront_size32 1
		.amdhsa_uses_dynamic_stack 0
		.amdhsa_enable_private_segment 0
		.amdhsa_system_sgpr_workgroup_id_x 1
		.amdhsa_system_sgpr_workgroup_id_y 0
		.amdhsa_system_sgpr_workgroup_id_z 0
		.amdhsa_system_sgpr_workgroup_info 0
		.amdhsa_system_vgpr_workitem_id 0
		.amdhsa_next_free_vgpr 1
		.amdhsa_next_free_sgpr 1
		.amdhsa_reserve_vcc 0
		.amdhsa_float_round_mode_32 0
		.amdhsa_float_round_mode_16_64 0
		.amdhsa_float_denorm_mode_32 3
		.amdhsa_float_denorm_mode_16_64 3
		.amdhsa_fp16_overflow 0
		.amdhsa_workgroup_processor_mode 1
		.amdhsa_memory_ordered 1
		.amdhsa_forward_progress 1
		.amdhsa_inst_pref_size 0
		.amdhsa_round_robin_scheduling 0
		.amdhsa_exception_fp_ieee_invalid_op 0
		.amdhsa_exception_fp_denorm_src 0
		.amdhsa_exception_fp_ieee_div_zero 0
		.amdhsa_exception_fp_ieee_overflow 0
		.amdhsa_exception_fp_ieee_underflow 0
		.amdhsa_exception_fp_ieee_inexact 0
		.amdhsa_exception_int_div_zero 0
	.end_amdhsa_kernel
	.section	.text._ZN7rocprim17ROCPRIM_400000_NS6detail17trampoline_kernelINS0_14default_configENS1_36segmented_radix_sort_config_selectorI12hip_bfloat16lEEZNS1_25segmented_radix_sort_implIS3_Lb1EPKS5_PS5_PKlPlN2at6native12_GLOBAL__N_18offset_tEEE10hipError_tPvRmT1_PNSt15iterator_traitsISL_E10value_typeET2_T3_PNSM_ISR_E10value_typeET4_jRbjT5_SX_jjP12ihipStream_tbEUlT_E0_NS1_11comp_targetILNS1_3genE4ELNS1_11target_archE910ELNS1_3gpuE8ELNS1_3repE0EEENS1_60segmented_radix_sort_warp_sort_medium_config_static_selectorELNS0_4arch9wavefront6targetE0EEEvSL_,"axG",@progbits,_ZN7rocprim17ROCPRIM_400000_NS6detail17trampoline_kernelINS0_14default_configENS1_36segmented_radix_sort_config_selectorI12hip_bfloat16lEEZNS1_25segmented_radix_sort_implIS3_Lb1EPKS5_PS5_PKlPlN2at6native12_GLOBAL__N_18offset_tEEE10hipError_tPvRmT1_PNSt15iterator_traitsISL_E10value_typeET2_T3_PNSM_ISR_E10value_typeET4_jRbjT5_SX_jjP12ihipStream_tbEUlT_E0_NS1_11comp_targetILNS1_3genE4ELNS1_11target_archE910ELNS1_3gpuE8ELNS1_3repE0EEENS1_60segmented_radix_sort_warp_sort_medium_config_static_selectorELNS0_4arch9wavefront6targetE0EEEvSL_,comdat
.Lfunc_end1958:
	.size	_ZN7rocprim17ROCPRIM_400000_NS6detail17trampoline_kernelINS0_14default_configENS1_36segmented_radix_sort_config_selectorI12hip_bfloat16lEEZNS1_25segmented_radix_sort_implIS3_Lb1EPKS5_PS5_PKlPlN2at6native12_GLOBAL__N_18offset_tEEE10hipError_tPvRmT1_PNSt15iterator_traitsISL_E10value_typeET2_T3_PNSM_ISR_E10value_typeET4_jRbjT5_SX_jjP12ihipStream_tbEUlT_E0_NS1_11comp_targetILNS1_3genE4ELNS1_11target_archE910ELNS1_3gpuE8ELNS1_3repE0EEENS1_60segmented_radix_sort_warp_sort_medium_config_static_selectorELNS0_4arch9wavefront6targetE0EEEvSL_, .Lfunc_end1958-_ZN7rocprim17ROCPRIM_400000_NS6detail17trampoline_kernelINS0_14default_configENS1_36segmented_radix_sort_config_selectorI12hip_bfloat16lEEZNS1_25segmented_radix_sort_implIS3_Lb1EPKS5_PS5_PKlPlN2at6native12_GLOBAL__N_18offset_tEEE10hipError_tPvRmT1_PNSt15iterator_traitsISL_E10value_typeET2_T3_PNSM_ISR_E10value_typeET4_jRbjT5_SX_jjP12ihipStream_tbEUlT_E0_NS1_11comp_targetILNS1_3genE4ELNS1_11target_archE910ELNS1_3gpuE8ELNS1_3repE0EEENS1_60segmented_radix_sort_warp_sort_medium_config_static_selectorELNS0_4arch9wavefront6targetE0EEEvSL_
                                        ; -- End function
	.set _ZN7rocprim17ROCPRIM_400000_NS6detail17trampoline_kernelINS0_14default_configENS1_36segmented_radix_sort_config_selectorI12hip_bfloat16lEEZNS1_25segmented_radix_sort_implIS3_Lb1EPKS5_PS5_PKlPlN2at6native12_GLOBAL__N_18offset_tEEE10hipError_tPvRmT1_PNSt15iterator_traitsISL_E10value_typeET2_T3_PNSM_ISR_E10value_typeET4_jRbjT5_SX_jjP12ihipStream_tbEUlT_E0_NS1_11comp_targetILNS1_3genE4ELNS1_11target_archE910ELNS1_3gpuE8ELNS1_3repE0EEENS1_60segmented_radix_sort_warp_sort_medium_config_static_selectorELNS0_4arch9wavefront6targetE0EEEvSL_.num_vgpr, 0
	.set _ZN7rocprim17ROCPRIM_400000_NS6detail17trampoline_kernelINS0_14default_configENS1_36segmented_radix_sort_config_selectorI12hip_bfloat16lEEZNS1_25segmented_radix_sort_implIS3_Lb1EPKS5_PS5_PKlPlN2at6native12_GLOBAL__N_18offset_tEEE10hipError_tPvRmT1_PNSt15iterator_traitsISL_E10value_typeET2_T3_PNSM_ISR_E10value_typeET4_jRbjT5_SX_jjP12ihipStream_tbEUlT_E0_NS1_11comp_targetILNS1_3genE4ELNS1_11target_archE910ELNS1_3gpuE8ELNS1_3repE0EEENS1_60segmented_radix_sort_warp_sort_medium_config_static_selectorELNS0_4arch9wavefront6targetE0EEEvSL_.num_agpr, 0
	.set _ZN7rocprim17ROCPRIM_400000_NS6detail17trampoline_kernelINS0_14default_configENS1_36segmented_radix_sort_config_selectorI12hip_bfloat16lEEZNS1_25segmented_radix_sort_implIS3_Lb1EPKS5_PS5_PKlPlN2at6native12_GLOBAL__N_18offset_tEEE10hipError_tPvRmT1_PNSt15iterator_traitsISL_E10value_typeET2_T3_PNSM_ISR_E10value_typeET4_jRbjT5_SX_jjP12ihipStream_tbEUlT_E0_NS1_11comp_targetILNS1_3genE4ELNS1_11target_archE910ELNS1_3gpuE8ELNS1_3repE0EEENS1_60segmented_radix_sort_warp_sort_medium_config_static_selectorELNS0_4arch9wavefront6targetE0EEEvSL_.numbered_sgpr, 0
	.set _ZN7rocprim17ROCPRIM_400000_NS6detail17trampoline_kernelINS0_14default_configENS1_36segmented_radix_sort_config_selectorI12hip_bfloat16lEEZNS1_25segmented_radix_sort_implIS3_Lb1EPKS5_PS5_PKlPlN2at6native12_GLOBAL__N_18offset_tEEE10hipError_tPvRmT1_PNSt15iterator_traitsISL_E10value_typeET2_T3_PNSM_ISR_E10value_typeET4_jRbjT5_SX_jjP12ihipStream_tbEUlT_E0_NS1_11comp_targetILNS1_3genE4ELNS1_11target_archE910ELNS1_3gpuE8ELNS1_3repE0EEENS1_60segmented_radix_sort_warp_sort_medium_config_static_selectorELNS0_4arch9wavefront6targetE0EEEvSL_.num_named_barrier, 0
	.set _ZN7rocprim17ROCPRIM_400000_NS6detail17trampoline_kernelINS0_14default_configENS1_36segmented_radix_sort_config_selectorI12hip_bfloat16lEEZNS1_25segmented_radix_sort_implIS3_Lb1EPKS5_PS5_PKlPlN2at6native12_GLOBAL__N_18offset_tEEE10hipError_tPvRmT1_PNSt15iterator_traitsISL_E10value_typeET2_T3_PNSM_ISR_E10value_typeET4_jRbjT5_SX_jjP12ihipStream_tbEUlT_E0_NS1_11comp_targetILNS1_3genE4ELNS1_11target_archE910ELNS1_3gpuE8ELNS1_3repE0EEENS1_60segmented_radix_sort_warp_sort_medium_config_static_selectorELNS0_4arch9wavefront6targetE0EEEvSL_.private_seg_size, 0
	.set _ZN7rocprim17ROCPRIM_400000_NS6detail17trampoline_kernelINS0_14default_configENS1_36segmented_radix_sort_config_selectorI12hip_bfloat16lEEZNS1_25segmented_radix_sort_implIS3_Lb1EPKS5_PS5_PKlPlN2at6native12_GLOBAL__N_18offset_tEEE10hipError_tPvRmT1_PNSt15iterator_traitsISL_E10value_typeET2_T3_PNSM_ISR_E10value_typeET4_jRbjT5_SX_jjP12ihipStream_tbEUlT_E0_NS1_11comp_targetILNS1_3genE4ELNS1_11target_archE910ELNS1_3gpuE8ELNS1_3repE0EEENS1_60segmented_radix_sort_warp_sort_medium_config_static_selectorELNS0_4arch9wavefront6targetE0EEEvSL_.uses_vcc, 0
	.set _ZN7rocprim17ROCPRIM_400000_NS6detail17trampoline_kernelINS0_14default_configENS1_36segmented_radix_sort_config_selectorI12hip_bfloat16lEEZNS1_25segmented_radix_sort_implIS3_Lb1EPKS5_PS5_PKlPlN2at6native12_GLOBAL__N_18offset_tEEE10hipError_tPvRmT1_PNSt15iterator_traitsISL_E10value_typeET2_T3_PNSM_ISR_E10value_typeET4_jRbjT5_SX_jjP12ihipStream_tbEUlT_E0_NS1_11comp_targetILNS1_3genE4ELNS1_11target_archE910ELNS1_3gpuE8ELNS1_3repE0EEENS1_60segmented_radix_sort_warp_sort_medium_config_static_selectorELNS0_4arch9wavefront6targetE0EEEvSL_.uses_flat_scratch, 0
	.set _ZN7rocprim17ROCPRIM_400000_NS6detail17trampoline_kernelINS0_14default_configENS1_36segmented_radix_sort_config_selectorI12hip_bfloat16lEEZNS1_25segmented_radix_sort_implIS3_Lb1EPKS5_PS5_PKlPlN2at6native12_GLOBAL__N_18offset_tEEE10hipError_tPvRmT1_PNSt15iterator_traitsISL_E10value_typeET2_T3_PNSM_ISR_E10value_typeET4_jRbjT5_SX_jjP12ihipStream_tbEUlT_E0_NS1_11comp_targetILNS1_3genE4ELNS1_11target_archE910ELNS1_3gpuE8ELNS1_3repE0EEENS1_60segmented_radix_sort_warp_sort_medium_config_static_selectorELNS0_4arch9wavefront6targetE0EEEvSL_.has_dyn_sized_stack, 0
	.set _ZN7rocprim17ROCPRIM_400000_NS6detail17trampoline_kernelINS0_14default_configENS1_36segmented_radix_sort_config_selectorI12hip_bfloat16lEEZNS1_25segmented_radix_sort_implIS3_Lb1EPKS5_PS5_PKlPlN2at6native12_GLOBAL__N_18offset_tEEE10hipError_tPvRmT1_PNSt15iterator_traitsISL_E10value_typeET2_T3_PNSM_ISR_E10value_typeET4_jRbjT5_SX_jjP12ihipStream_tbEUlT_E0_NS1_11comp_targetILNS1_3genE4ELNS1_11target_archE910ELNS1_3gpuE8ELNS1_3repE0EEENS1_60segmented_radix_sort_warp_sort_medium_config_static_selectorELNS0_4arch9wavefront6targetE0EEEvSL_.has_recursion, 0
	.set _ZN7rocprim17ROCPRIM_400000_NS6detail17trampoline_kernelINS0_14default_configENS1_36segmented_radix_sort_config_selectorI12hip_bfloat16lEEZNS1_25segmented_radix_sort_implIS3_Lb1EPKS5_PS5_PKlPlN2at6native12_GLOBAL__N_18offset_tEEE10hipError_tPvRmT1_PNSt15iterator_traitsISL_E10value_typeET2_T3_PNSM_ISR_E10value_typeET4_jRbjT5_SX_jjP12ihipStream_tbEUlT_E0_NS1_11comp_targetILNS1_3genE4ELNS1_11target_archE910ELNS1_3gpuE8ELNS1_3repE0EEENS1_60segmented_radix_sort_warp_sort_medium_config_static_selectorELNS0_4arch9wavefront6targetE0EEEvSL_.has_indirect_call, 0
	.section	.AMDGPU.csdata,"",@progbits
; Kernel info:
; codeLenInByte = 0
; TotalNumSgprs: 0
; NumVgprs: 0
; ScratchSize: 0
; MemoryBound: 0
; FloatMode: 240
; IeeeMode: 1
; LDSByteSize: 0 bytes/workgroup (compile time only)
; SGPRBlocks: 0
; VGPRBlocks: 0
; NumSGPRsForWavesPerEU: 1
; NumVGPRsForWavesPerEU: 1
; Occupancy: 16
; WaveLimiterHint : 0
; COMPUTE_PGM_RSRC2:SCRATCH_EN: 0
; COMPUTE_PGM_RSRC2:USER_SGPR: 2
; COMPUTE_PGM_RSRC2:TRAP_HANDLER: 0
; COMPUTE_PGM_RSRC2:TGID_X_EN: 1
; COMPUTE_PGM_RSRC2:TGID_Y_EN: 0
; COMPUTE_PGM_RSRC2:TGID_Z_EN: 0
; COMPUTE_PGM_RSRC2:TIDIG_COMP_CNT: 0
	.section	.text._ZN7rocprim17ROCPRIM_400000_NS6detail17trampoline_kernelINS0_14default_configENS1_36segmented_radix_sort_config_selectorI12hip_bfloat16lEEZNS1_25segmented_radix_sort_implIS3_Lb1EPKS5_PS5_PKlPlN2at6native12_GLOBAL__N_18offset_tEEE10hipError_tPvRmT1_PNSt15iterator_traitsISL_E10value_typeET2_T3_PNSM_ISR_E10value_typeET4_jRbjT5_SX_jjP12ihipStream_tbEUlT_E0_NS1_11comp_targetILNS1_3genE3ELNS1_11target_archE908ELNS1_3gpuE7ELNS1_3repE0EEENS1_60segmented_radix_sort_warp_sort_medium_config_static_selectorELNS0_4arch9wavefront6targetE0EEEvSL_,"axG",@progbits,_ZN7rocprim17ROCPRIM_400000_NS6detail17trampoline_kernelINS0_14default_configENS1_36segmented_radix_sort_config_selectorI12hip_bfloat16lEEZNS1_25segmented_radix_sort_implIS3_Lb1EPKS5_PS5_PKlPlN2at6native12_GLOBAL__N_18offset_tEEE10hipError_tPvRmT1_PNSt15iterator_traitsISL_E10value_typeET2_T3_PNSM_ISR_E10value_typeET4_jRbjT5_SX_jjP12ihipStream_tbEUlT_E0_NS1_11comp_targetILNS1_3genE3ELNS1_11target_archE908ELNS1_3gpuE7ELNS1_3repE0EEENS1_60segmented_radix_sort_warp_sort_medium_config_static_selectorELNS0_4arch9wavefront6targetE0EEEvSL_,comdat
	.globl	_ZN7rocprim17ROCPRIM_400000_NS6detail17trampoline_kernelINS0_14default_configENS1_36segmented_radix_sort_config_selectorI12hip_bfloat16lEEZNS1_25segmented_radix_sort_implIS3_Lb1EPKS5_PS5_PKlPlN2at6native12_GLOBAL__N_18offset_tEEE10hipError_tPvRmT1_PNSt15iterator_traitsISL_E10value_typeET2_T3_PNSM_ISR_E10value_typeET4_jRbjT5_SX_jjP12ihipStream_tbEUlT_E0_NS1_11comp_targetILNS1_3genE3ELNS1_11target_archE908ELNS1_3gpuE7ELNS1_3repE0EEENS1_60segmented_radix_sort_warp_sort_medium_config_static_selectorELNS0_4arch9wavefront6targetE0EEEvSL_ ; -- Begin function _ZN7rocprim17ROCPRIM_400000_NS6detail17trampoline_kernelINS0_14default_configENS1_36segmented_radix_sort_config_selectorI12hip_bfloat16lEEZNS1_25segmented_radix_sort_implIS3_Lb1EPKS5_PS5_PKlPlN2at6native12_GLOBAL__N_18offset_tEEE10hipError_tPvRmT1_PNSt15iterator_traitsISL_E10value_typeET2_T3_PNSM_ISR_E10value_typeET4_jRbjT5_SX_jjP12ihipStream_tbEUlT_E0_NS1_11comp_targetILNS1_3genE3ELNS1_11target_archE908ELNS1_3gpuE7ELNS1_3repE0EEENS1_60segmented_radix_sort_warp_sort_medium_config_static_selectorELNS0_4arch9wavefront6targetE0EEEvSL_
	.p2align	8
	.type	_ZN7rocprim17ROCPRIM_400000_NS6detail17trampoline_kernelINS0_14default_configENS1_36segmented_radix_sort_config_selectorI12hip_bfloat16lEEZNS1_25segmented_radix_sort_implIS3_Lb1EPKS5_PS5_PKlPlN2at6native12_GLOBAL__N_18offset_tEEE10hipError_tPvRmT1_PNSt15iterator_traitsISL_E10value_typeET2_T3_PNSM_ISR_E10value_typeET4_jRbjT5_SX_jjP12ihipStream_tbEUlT_E0_NS1_11comp_targetILNS1_3genE3ELNS1_11target_archE908ELNS1_3gpuE7ELNS1_3repE0EEENS1_60segmented_radix_sort_warp_sort_medium_config_static_selectorELNS0_4arch9wavefront6targetE0EEEvSL_,@function
_ZN7rocprim17ROCPRIM_400000_NS6detail17trampoline_kernelINS0_14default_configENS1_36segmented_radix_sort_config_selectorI12hip_bfloat16lEEZNS1_25segmented_radix_sort_implIS3_Lb1EPKS5_PS5_PKlPlN2at6native12_GLOBAL__N_18offset_tEEE10hipError_tPvRmT1_PNSt15iterator_traitsISL_E10value_typeET2_T3_PNSM_ISR_E10value_typeET4_jRbjT5_SX_jjP12ihipStream_tbEUlT_E0_NS1_11comp_targetILNS1_3genE3ELNS1_11target_archE908ELNS1_3gpuE7ELNS1_3repE0EEENS1_60segmented_radix_sort_warp_sort_medium_config_static_selectorELNS0_4arch9wavefront6targetE0EEEvSL_: ; @_ZN7rocprim17ROCPRIM_400000_NS6detail17trampoline_kernelINS0_14default_configENS1_36segmented_radix_sort_config_selectorI12hip_bfloat16lEEZNS1_25segmented_radix_sort_implIS3_Lb1EPKS5_PS5_PKlPlN2at6native12_GLOBAL__N_18offset_tEEE10hipError_tPvRmT1_PNSt15iterator_traitsISL_E10value_typeET2_T3_PNSM_ISR_E10value_typeET4_jRbjT5_SX_jjP12ihipStream_tbEUlT_E0_NS1_11comp_targetILNS1_3genE3ELNS1_11target_archE908ELNS1_3gpuE7ELNS1_3repE0EEENS1_60segmented_radix_sort_warp_sort_medium_config_static_selectorELNS0_4arch9wavefront6targetE0EEEvSL_
; %bb.0:
	.section	.rodata,"a",@progbits
	.p2align	6, 0x0
	.amdhsa_kernel _ZN7rocprim17ROCPRIM_400000_NS6detail17trampoline_kernelINS0_14default_configENS1_36segmented_radix_sort_config_selectorI12hip_bfloat16lEEZNS1_25segmented_radix_sort_implIS3_Lb1EPKS5_PS5_PKlPlN2at6native12_GLOBAL__N_18offset_tEEE10hipError_tPvRmT1_PNSt15iterator_traitsISL_E10value_typeET2_T3_PNSM_ISR_E10value_typeET4_jRbjT5_SX_jjP12ihipStream_tbEUlT_E0_NS1_11comp_targetILNS1_3genE3ELNS1_11target_archE908ELNS1_3gpuE7ELNS1_3repE0EEENS1_60segmented_radix_sort_warp_sort_medium_config_static_selectorELNS0_4arch9wavefront6targetE0EEEvSL_
		.amdhsa_group_segment_fixed_size 0
		.amdhsa_private_segment_fixed_size 0
		.amdhsa_kernarg_size 88
		.amdhsa_user_sgpr_count 2
		.amdhsa_user_sgpr_dispatch_ptr 0
		.amdhsa_user_sgpr_queue_ptr 0
		.amdhsa_user_sgpr_kernarg_segment_ptr 1
		.amdhsa_user_sgpr_dispatch_id 0
		.amdhsa_user_sgpr_private_segment_size 0
		.amdhsa_wavefront_size32 1
		.amdhsa_uses_dynamic_stack 0
		.amdhsa_enable_private_segment 0
		.amdhsa_system_sgpr_workgroup_id_x 1
		.amdhsa_system_sgpr_workgroup_id_y 0
		.amdhsa_system_sgpr_workgroup_id_z 0
		.amdhsa_system_sgpr_workgroup_info 0
		.amdhsa_system_vgpr_workitem_id 0
		.amdhsa_next_free_vgpr 1
		.amdhsa_next_free_sgpr 1
		.amdhsa_reserve_vcc 0
		.amdhsa_float_round_mode_32 0
		.amdhsa_float_round_mode_16_64 0
		.amdhsa_float_denorm_mode_32 3
		.amdhsa_float_denorm_mode_16_64 3
		.amdhsa_fp16_overflow 0
		.amdhsa_workgroup_processor_mode 1
		.amdhsa_memory_ordered 1
		.amdhsa_forward_progress 1
		.amdhsa_inst_pref_size 0
		.amdhsa_round_robin_scheduling 0
		.amdhsa_exception_fp_ieee_invalid_op 0
		.amdhsa_exception_fp_denorm_src 0
		.amdhsa_exception_fp_ieee_div_zero 0
		.amdhsa_exception_fp_ieee_overflow 0
		.amdhsa_exception_fp_ieee_underflow 0
		.amdhsa_exception_fp_ieee_inexact 0
		.amdhsa_exception_int_div_zero 0
	.end_amdhsa_kernel
	.section	.text._ZN7rocprim17ROCPRIM_400000_NS6detail17trampoline_kernelINS0_14default_configENS1_36segmented_radix_sort_config_selectorI12hip_bfloat16lEEZNS1_25segmented_radix_sort_implIS3_Lb1EPKS5_PS5_PKlPlN2at6native12_GLOBAL__N_18offset_tEEE10hipError_tPvRmT1_PNSt15iterator_traitsISL_E10value_typeET2_T3_PNSM_ISR_E10value_typeET4_jRbjT5_SX_jjP12ihipStream_tbEUlT_E0_NS1_11comp_targetILNS1_3genE3ELNS1_11target_archE908ELNS1_3gpuE7ELNS1_3repE0EEENS1_60segmented_radix_sort_warp_sort_medium_config_static_selectorELNS0_4arch9wavefront6targetE0EEEvSL_,"axG",@progbits,_ZN7rocprim17ROCPRIM_400000_NS6detail17trampoline_kernelINS0_14default_configENS1_36segmented_radix_sort_config_selectorI12hip_bfloat16lEEZNS1_25segmented_radix_sort_implIS3_Lb1EPKS5_PS5_PKlPlN2at6native12_GLOBAL__N_18offset_tEEE10hipError_tPvRmT1_PNSt15iterator_traitsISL_E10value_typeET2_T3_PNSM_ISR_E10value_typeET4_jRbjT5_SX_jjP12ihipStream_tbEUlT_E0_NS1_11comp_targetILNS1_3genE3ELNS1_11target_archE908ELNS1_3gpuE7ELNS1_3repE0EEENS1_60segmented_radix_sort_warp_sort_medium_config_static_selectorELNS0_4arch9wavefront6targetE0EEEvSL_,comdat
.Lfunc_end1959:
	.size	_ZN7rocprim17ROCPRIM_400000_NS6detail17trampoline_kernelINS0_14default_configENS1_36segmented_radix_sort_config_selectorI12hip_bfloat16lEEZNS1_25segmented_radix_sort_implIS3_Lb1EPKS5_PS5_PKlPlN2at6native12_GLOBAL__N_18offset_tEEE10hipError_tPvRmT1_PNSt15iterator_traitsISL_E10value_typeET2_T3_PNSM_ISR_E10value_typeET4_jRbjT5_SX_jjP12ihipStream_tbEUlT_E0_NS1_11comp_targetILNS1_3genE3ELNS1_11target_archE908ELNS1_3gpuE7ELNS1_3repE0EEENS1_60segmented_radix_sort_warp_sort_medium_config_static_selectorELNS0_4arch9wavefront6targetE0EEEvSL_, .Lfunc_end1959-_ZN7rocprim17ROCPRIM_400000_NS6detail17trampoline_kernelINS0_14default_configENS1_36segmented_radix_sort_config_selectorI12hip_bfloat16lEEZNS1_25segmented_radix_sort_implIS3_Lb1EPKS5_PS5_PKlPlN2at6native12_GLOBAL__N_18offset_tEEE10hipError_tPvRmT1_PNSt15iterator_traitsISL_E10value_typeET2_T3_PNSM_ISR_E10value_typeET4_jRbjT5_SX_jjP12ihipStream_tbEUlT_E0_NS1_11comp_targetILNS1_3genE3ELNS1_11target_archE908ELNS1_3gpuE7ELNS1_3repE0EEENS1_60segmented_radix_sort_warp_sort_medium_config_static_selectorELNS0_4arch9wavefront6targetE0EEEvSL_
                                        ; -- End function
	.set _ZN7rocprim17ROCPRIM_400000_NS6detail17trampoline_kernelINS0_14default_configENS1_36segmented_radix_sort_config_selectorI12hip_bfloat16lEEZNS1_25segmented_radix_sort_implIS3_Lb1EPKS5_PS5_PKlPlN2at6native12_GLOBAL__N_18offset_tEEE10hipError_tPvRmT1_PNSt15iterator_traitsISL_E10value_typeET2_T3_PNSM_ISR_E10value_typeET4_jRbjT5_SX_jjP12ihipStream_tbEUlT_E0_NS1_11comp_targetILNS1_3genE3ELNS1_11target_archE908ELNS1_3gpuE7ELNS1_3repE0EEENS1_60segmented_radix_sort_warp_sort_medium_config_static_selectorELNS0_4arch9wavefront6targetE0EEEvSL_.num_vgpr, 0
	.set _ZN7rocprim17ROCPRIM_400000_NS6detail17trampoline_kernelINS0_14default_configENS1_36segmented_radix_sort_config_selectorI12hip_bfloat16lEEZNS1_25segmented_radix_sort_implIS3_Lb1EPKS5_PS5_PKlPlN2at6native12_GLOBAL__N_18offset_tEEE10hipError_tPvRmT1_PNSt15iterator_traitsISL_E10value_typeET2_T3_PNSM_ISR_E10value_typeET4_jRbjT5_SX_jjP12ihipStream_tbEUlT_E0_NS1_11comp_targetILNS1_3genE3ELNS1_11target_archE908ELNS1_3gpuE7ELNS1_3repE0EEENS1_60segmented_radix_sort_warp_sort_medium_config_static_selectorELNS0_4arch9wavefront6targetE0EEEvSL_.num_agpr, 0
	.set _ZN7rocprim17ROCPRIM_400000_NS6detail17trampoline_kernelINS0_14default_configENS1_36segmented_radix_sort_config_selectorI12hip_bfloat16lEEZNS1_25segmented_radix_sort_implIS3_Lb1EPKS5_PS5_PKlPlN2at6native12_GLOBAL__N_18offset_tEEE10hipError_tPvRmT1_PNSt15iterator_traitsISL_E10value_typeET2_T3_PNSM_ISR_E10value_typeET4_jRbjT5_SX_jjP12ihipStream_tbEUlT_E0_NS1_11comp_targetILNS1_3genE3ELNS1_11target_archE908ELNS1_3gpuE7ELNS1_3repE0EEENS1_60segmented_radix_sort_warp_sort_medium_config_static_selectorELNS0_4arch9wavefront6targetE0EEEvSL_.numbered_sgpr, 0
	.set _ZN7rocprim17ROCPRIM_400000_NS6detail17trampoline_kernelINS0_14default_configENS1_36segmented_radix_sort_config_selectorI12hip_bfloat16lEEZNS1_25segmented_radix_sort_implIS3_Lb1EPKS5_PS5_PKlPlN2at6native12_GLOBAL__N_18offset_tEEE10hipError_tPvRmT1_PNSt15iterator_traitsISL_E10value_typeET2_T3_PNSM_ISR_E10value_typeET4_jRbjT5_SX_jjP12ihipStream_tbEUlT_E0_NS1_11comp_targetILNS1_3genE3ELNS1_11target_archE908ELNS1_3gpuE7ELNS1_3repE0EEENS1_60segmented_radix_sort_warp_sort_medium_config_static_selectorELNS0_4arch9wavefront6targetE0EEEvSL_.num_named_barrier, 0
	.set _ZN7rocprim17ROCPRIM_400000_NS6detail17trampoline_kernelINS0_14default_configENS1_36segmented_radix_sort_config_selectorI12hip_bfloat16lEEZNS1_25segmented_radix_sort_implIS3_Lb1EPKS5_PS5_PKlPlN2at6native12_GLOBAL__N_18offset_tEEE10hipError_tPvRmT1_PNSt15iterator_traitsISL_E10value_typeET2_T3_PNSM_ISR_E10value_typeET4_jRbjT5_SX_jjP12ihipStream_tbEUlT_E0_NS1_11comp_targetILNS1_3genE3ELNS1_11target_archE908ELNS1_3gpuE7ELNS1_3repE0EEENS1_60segmented_radix_sort_warp_sort_medium_config_static_selectorELNS0_4arch9wavefront6targetE0EEEvSL_.private_seg_size, 0
	.set _ZN7rocprim17ROCPRIM_400000_NS6detail17trampoline_kernelINS0_14default_configENS1_36segmented_radix_sort_config_selectorI12hip_bfloat16lEEZNS1_25segmented_radix_sort_implIS3_Lb1EPKS5_PS5_PKlPlN2at6native12_GLOBAL__N_18offset_tEEE10hipError_tPvRmT1_PNSt15iterator_traitsISL_E10value_typeET2_T3_PNSM_ISR_E10value_typeET4_jRbjT5_SX_jjP12ihipStream_tbEUlT_E0_NS1_11comp_targetILNS1_3genE3ELNS1_11target_archE908ELNS1_3gpuE7ELNS1_3repE0EEENS1_60segmented_radix_sort_warp_sort_medium_config_static_selectorELNS0_4arch9wavefront6targetE0EEEvSL_.uses_vcc, 0
	.set _ZN7rocprim17ROCPRIM_400000_NS6detail17trampoline_kernelINS0_14default_configENS1_36segmented_radix_sort_config_selectorI12hip_bfloat16lEEZNS1_25segmented_radix_sort_implIS3_Lb1EPKS5_PS5_PKlPlN2at6native12_GLOBAL__N_18offset_tEEE10hipError_tPvRmT1_PNSt15iterator_traitsISL_E10value_typeET2_T3_PNSM_ISR_E10value_typeET4_jRbjT5_SX_jjP12ihipStream_tbEUlT_E0_NS1_11comp_targetILNS1_3genE3ELNS1_11target_archE908ELNS1_3gpuE7ELNS1_3repE0EEENS1_60segmented_radix_sort_warp_sort_medium_config_static_selectorELNS0_4arch9wavefront6targetE0EEEvSL_.uses_flat_scratch, 0
	.set _ZN7rocprim17ROCPRIM_400000_NS6detail17trampoline_kernelINS0_14default_configENS1_36segmented_radix_sort_config_selectorI12hip_bfloat16lEEZNS1_25segmented_radix_sort_implIS3_Lb1EPKS5_PS5_PKlPlN2at6native12_GLOBAL__N_18offset_tEEE10hipError_tPvRmT1_PNSt15iterator_traitsISL_E10value_typeET2_T3_PNSM_ISR_E10value_typeET4_jRbjT5_SX_jjP12ihipStream_tbEUlT_E0_NS1_11comp_targetILNS1_3genE3ELNS1_11target_archE908ELNS1_3gpuE7ELNS1_3repE0EEENS1_60segmented_radix_sort_warp_sort_medium_config_static_selectorELNS0_4arch9wavefront6targetE0EEEvSL_.has_dyn_sized_stack, 0
	.set _ZN7rocprim17ROCPRIM_400000_NS6detail17trampoline_kernelINS0_14default_configENS1_36segmented_radix_sort_config_selectorI12hip_bfloat16lEEZNS1_25segmented_radix_sort_implIS3_Lb1EPKS5_PS5_PKlPlN2at6native12_GLOBAL__N_18offset_tEEE10hipError_tPvRmT1_PNSt15iterator_traitsISL_E10value_typeET2_T3_PNSM_ISR_E10value_typeET4_jRbjT5_SX_jjP12ihipStream_tbEUlT_E0_NS1_11comp_targetILNS1_3genE3ELNS1_11target_archE908ELNS1_3gpuE7ELNS1_3repE0EEENS1_60segmented_radix_sort_warp_sort_medium_config_static_selectorELNS0_4arch9wavefront6targetE0EEEvSL_.has_recursion, 0
	.set _ZN7rocprim17ROCPRIM_400000_NS6detail17trampoline_kernelINS0_14default_configENS1_36segmented_radix_sort_config_selectorI12hip_bfloat16lEEZNS1_25segmented_radix_sort_implIS3_Lb1EPKS5_PS5_PKlPlN2at6native12_GLOBAL__N_18offset_tEEE10hipError_tPvRmT1_PNSt15iterator_traitsISL_E10value_typeET2_T3_PNSM_ISR_E10value_typeET4_jRbjT5_SX_jjP12ihipStream_tbEUlT_E0_NS1_11comp_targetILNS1_3genE3ELNS1_11target_archE908ELNS1_3gpuE7ELNS1_3repE0EEENS1_60segmented_radix_sort_warp_sort_medium_config_static_selectorELNS0_4arch9wavefront6targetE0EEEvSL_.has_indirect_call, 0
	.section	.AMDGPU.csdata,"",@progbits
; Kernel info:
; codeLenInByte = 0
; TotalNumSgprs: 0
; NumVgprs: 0
; ScratchSize: 0
; MemoryBound: 0
; FloatMode: 240
; IeeeMode: 1
; LDSByteSize: 0 bytes/workgroup (compile time only)
; SGPRBlocks: 0
; VGPRBlocks: 0
; NumSGPRsForWavesPerEU: 1
; NumVGPRsForWavesPerEU: 1
; Occupancy: 16
; WaveLimiterHint : 0
; COMPUTE_PGM_RSRC2:SCRATCH_EN: 0
; COMPUTE_PGM_RSRC2:USER_SGPR: 2
; COMPUTE_PGM_RSRC2:TRAP_HANDLER: 0
; COMPUTE_PGM_RSRC2:TGID_X_EN: 1
; COMPUTE_PGM_RSRC2:TGID_Y_EN: 0
; COMPUTE_PGM_RSRC2:TGID_Z_EN: 0
; COMPUTE_PGM_RSRC2:TIDIG_COMP_CNT: 0
	.section	.text._ZN7rocprim17ROCPRIM_400000_NS6detail17trampoline_kernelINS0_14default_configENS1_36segmented_radix_sort_config_selectorI12hip_bfloat16lEEZNS1_25segmented_radix_sort_implIS3_Lb1EPKS5_PS5_PKlPlN2at6native12_GLOBAL__N_18offset_tEEE10hipError_tPvRmT1_PNSt15iterator_traitsISL_E10value_typeET2_T3_PNSM_ISR_E10value_typeET4_jRbjT5_SX_jjP12ihipStream_tbEUlT_E0_NS1_11comp_targetILNS1_3genE2ELNS1_11target_archE906ELNS1_3gpuE6ELNS1_3repE0EEENS1_60segmented_radix_sort_warp_sort_medium_config_static_selectorELNS0_4arch9wavefront6targetE0EEEvSL_,"axG",@progbits,_ZN7rocprim17ROCPRIM_400000_NS6detail17trampoline_kernelINS0_14default_configENS1_36segmented_radix_sort_config_selectorI12hip_bfloat16lEEZNS1_25segmented_radix_sort_implIS3_Lb1EPKS5_PS5_PKlPlN2at6native12_GLOBAL__N_18offset_tEEE10hipError_tPvRmT1_PNSt15iterator_traitsISL_E10value_typeET2_T3_PNSM_ISR_E10value_typeET4_jRbjT5_SX_jjP12ihipStream_tbEUlT_E0_NS1_11comp_targetILNS1_3genE2ELNS1_11target_archE906ELNS1_3gpuE6ELNS1_3repE0EEENS1_60segmented_radix_sort_warp_sort_medium_config_static_selectorELNS0_4arch9wavefront6targetE0EEEvSL_,comdat
	.globl	_ZN7rocprim17ROCPRIM_400000_NS6detail17trampoline_kernelINS0_14default_configENS1_36segmented_radix_sort_config_selectorI12hip_bfloat16lEEZNS1_25segmented_radix_sort_implIS3_Lb1EPKS5_PS5_PKlPlN2at6native12_GLOBAL__N_18offset_tEEE10hipError_tPvRmT1_PNSt15iterator_traitsISL_E10value_typeET2_T3_PNSM_ISR_E10value_typeET4_jRbjT5_SX_jjP12ihipStream_tbEUlT_E0_NS1_11comp_targetILNS1_3genE2ELNS1_11target_archE906ELNS1_3gpuE6ELNS1_3repE0EEENS1_60segmented_radix_sort_warp_sort_medium_config_static_selectorELNS0_4arch9wavefront6targetE0EEEvSL_ ; -- Begin function _ZN7rocprim17ROCPRIM_400000_NS6detail17trampoline_kernelINS0_14default_configENS1_36segmented_radix_sort_config_selectorI12hip_bfloat16lEEZNS1_25segmented_radix_sort_implIS3_Lb1EPKS5_PS5_PKlPlN2at6native12_GLOBAL__N_18offset_tEEE10hipError_tPvRmT1_PNSt15iterator_traitsISL_E10value_typeET2_T3_PNSM_ISR_E10value_typeET4_jRbjT5_SX_jjP12ihipStream_tbEUlT_E0_NS1_11comp_targetILNS1_3genE2ELNS1_11target_archE906ELNS1_3gpuE6ELNS1_3repE0EEENS1_60segmented_radix_sort_warp_sort_medium_config_static_selectorELNS0_4arch9wavefront6targetE0EEEvSL_
	.p2align	8
	.type	_ZN7rocprim17ROCPRIM_400000_NS6detail17trampoline_kernelINS0_14default_configENS1_36segmented_radix_sort_config_selectorI12hip_bfloat16lEEZNS1_25segmented_radix_sort_implIS3_Lb1EPKS5_PS5_PKlPlN2at6native12_GLOBAL__N_18offset_tEEE10hipError_tPvRmT1_PNSt15iterator_traitsISL_E10value_typeET2_T3_PNSM_ISR_E10value_typeET4_jRbjT5_SX_jjP12ihipStream_tbEUlT_E0_NS1_11comp_targetILNS1_3genE2ELNS1_11target_archE906ELNS1_3gpuE6ELNS1_3repE0EEENS1_60segmented_radix_sort_warp_sort_medium_config_static_selectorELNS0_4arch9wavefront6targetE0EEEvSL_,@function
_ZN7rocprim17ROCPRIM_400000_NS6detail17trampoline_kernelINS0_14default_configENS1_36segmented_radix_sort_config_selectorI12hip_bfloat16lEEZNS1_25segmented_radix_sort_implIS3_Lb1EPKS5_PS5_PKlPlN2at6native12_GLOBAL__N_18offset_tEEE10hipError_tPvRmT1_PNSt15iterator_traitsISL_E10value_typeET2_T3_PNSM_ISR_E10value_typeET4_jRbjT5_SX_jjP12ihipStream_tbEUlT_E0_NS1_11comp_targetILNS1_3genE2ELNS1_11target_archE906ELNS1_3gpuE6ELNS1_3repE0EEENS1_60segmented_radix_sort_warp_sort_medium_config_static_selectorELNS0_4arch9wavefront6targetE0EEEvSL_: ; @_ZN7rocprim17ROCPRIM_400000_NS6detail17trampoline_kernelINS0_14default_configENS1_36segmented_radix_sort_config_selectorI12hip_bfloat16lEEZNS1_25segmented_radix_sort_implIS3_Lb1EPKS5_PS5_PKlPlN2at6native12_GLOBAL__N_18offset_tEEE10hipError_tPvRmT1_PNSt15iterator_traitsISL_E10value_typeET2_T3_PNSM_ISR_E10value_typeET4_jRbjT5_SX_jjP12ihipStream_tbEUlT_E0_NS1_11comp_targetILNS1_3genE2ELNS1_11target_archE906ELNS1_3gpuE6ELNS1_3repE0EEENS1_60segmented_radix_sort_warp_sort_medium_config_static_selectorELNS0_4arch9wavefront6targetE0EEEvSL_
; %bb.0:
	.section	.rodata,"a",@progbits
	.p2align	6, 0x0
	.amdhsa_kernel _ZN7rocprim17ROCPRIM_400000_NS6detail17trampoline_kernelINS0_14default_configENS1_36segmented_radix_sort_config_selectorI12hip_bfloat16lEEZNS1_25segmented_radix_sort_implIS3_Lb1EPKS5_PS5_PKlPlN2at6native12_GLOBAL__N_18offset_tEEE10hipError_tPvRmT1_PNSt15iterator_traitsISL_E10value_typeET2_T3_PNSM_ISR_E10value_typeET4_jRbjT5_SX_jjP12ihipStream_tbEUlT_E0_NS1_11comp_targetILNS1_3genE2ELNS1_11target_archE906ELNS1_3gpuE6ELNS1_3repE0EEENS1_60segmented_radix_sort_warp_sort_medium_config_static_selectorELNS0_4arch9wavefront6targetE0EEEvSL_
		.amdhsa_group_segment_fixed_size 0
		.amdhsa_private_segment_fixed_size 0
		.amdhsa_kernarg_size 88
		.amdhsa_user_sgpr_count 2
		.amdhsa_user_sgpr_dispatch_ptr 0
		.amdhsa_user_sgpr_queue_ptr 0
		.amdhsa_user_sgpr_kernarg_segment_ptr 1
		.amdhsa_user_sgpr_dispatch_id 0
		.amdhsa_user_sgpr_private_segment_size 0
		.amdhsa_wavefront_size32 1
		.amdhsa_uses_dynamic_stack 0
		.amdhsa_enable_private_segment 0
		.amdhsa_system_sgpr_workgroup_id_x 1
		.amdhsa_system_sgpr_workgroup_id_y 0
		.amdhsa_system_sgpr_workgroup_id_z 0
		.amdhsa_system_sgpr_workgroup_info 0
		.amdhsa_system_vgpr_workitem_id 0
		.amdhsa_next_free_vgpr 1
		.amdhsa_next_free_sgpr 1
		.amdhsa_reserve_vcc 0
		.amdhsa_float_round_mode_32 0
		.amdhsa_float_round_mode_16_64 0
		.amdhsa_float_denorm_mode_32 3
		.amdhsa_float_denorm_mode_16_64 3
		.amdhsa_fp16_overflow 0
		.amdhsa_workgroup_processor_mode 1
		.amdhsa_memory_ordered 1
		.amdhsa_forward_progress 1
		.amdhsa_inst_pref_size 0
		.amdhsa_round_robin_scheduling 0
		.amdhsa_exception_fp_ieee_invalid_op 0
		.amdhsa_exception_fp_denorm_src 0
		.amdhsa_exception_fp_ieee_div_zero 0
		.amdhsa_exception_fp_ieee_overflow 0
		.amdhsa_exception_fp_ieee_underflow 0
		.amdhsa_exception_fp_ieee_inexact 0
		.amdhsa_exception_int_div_zero 0
	.end_amdhsa_kernel
	.section	.text._ZN7rocprim17ROCPRIM_400000_NS6detail17trampoline_kernelINS0_14default_configENS1_36segmented_radix_sort_config_selectorI12hip_bfloat16lEEZNS1_25segmented_radix_sort_implIS3_Lb1EPKS5_PS5_PKlPlN2at6native12_GLOBAL__N_18offset_tEEE10hipError_tPvRmT1_PNSt15iterator_traitsISL_E10value_typeET2_T3_PNSM_ISR_E10value_typeET4_jRbjT5_SX_jjP12ihipStream_tbEUlT_E0_NS1_11comp_targetILNS1_3genE2ELNS1_11target_archE906ELNS1_3gpuE6ELNS1_3repE0EEENS1_60segmented_radix_sort_warp_sort_medium_config_static_selectorELNS0_4arch9wavefront6targetE0EEEvSL_,"axG",@progbits,_ZN7rocprim17ROCPRIM_400000_NS6detail17trampoline_kernelINS0_14default_configENS1_36segmented_radix_sort_config_selectorI12hip_bfloat16lEEZNS1_25segmented_radix_sort_implIS3_Lb1EPKS5_PS5_PKlPlN2at6native12_GLOBAL__N_18offset_tEEE10hipError_tPvRmT1_PNSt15iterator_traitsISL_E10value_typeET2_T3_PNSM_ISR_E10value_typeET4_jRbjT5_SX_jjP12ihipStream_tbEUlT_E0_NS1_11comp_targetILNS1_3genE2ELNS1_11target_archE906ELNS1_3gpuE6ELNS1_3repE0EEENS1_60segmented_radix_sort_warp_sort_medium_config_static_selectorELNS0_4arch9wavefront6targetE0EEEvSL_,comdat
.Lfunc_end1960:
	.size	_ZN7rocprim17ROCPRIM_400000_NS6detail17trampoline_kernelINS0_14default_configENS1_36segmented_radix_sort_config_selectorI12hip_bfloat16lEEZNS1_25segmented_radix_sort_implIS3_Lb1EPKS5_PS5_PKlPlN2at6native12_GLOBAL__N_18offset_tEEE10hipError_tPvRmT1_PNSt15iterator_traitsISL_E10value_typeET2_T3_PNSM_ISR_E10value_typeET4_jRbjT5_SX_jjP12ihipStream_tbEUlT_E0_NS1_11comp_targetILNS1_3genE2ELNS1_11target_archE906ELNS1_3gpuE6ELNS1_3repE0EEENS1_60segmented_radix_sort_warp_sort_medium_config_static_selectorELNS0_4arch9wavefront6targetE0EEEvSL_, .Lfunc_end1960-_ZN7rocprim17ROCPRIM_400000_NS6detail17trampoline_kernelINS0_14default_configENS1_36segmented_radix_sort_config_selectorI12hip_bfloat16lEEZNS1_25segmented_radix_sort_implIS3_Lb1EPKS5_PS5_PKlPlN2at6native12_GLOBAL__N_18offset_tEEE10hipError_tPvRmT1_PNSt15iterator_traitsISL_E10value_typeET2_T3_PNSM_ISR_E10value_typeET4_jRbjT5_SX_jjP12ihipStream_tbEUlT_E0_NS1_11comp_targetILNS1_3genE2ELNS1_11target_archE906ELNS1_3gpuE6ELNS1_3repE0EEENS1_60segmented_radix_sort_warp_sort_medium_config_static_selectorELNS0_4arch9wavefront6targetE0EEEvSL_
                                        ; -- End function
	.set _ZN7rocprim17ROCPRIM_400000_NS6detail17trampoline_kernelINS0_14default_configENS1_36segmented_radix_sort_config_selectorI12hip_bfloat16lEEZNS1_25segmented_radix_sort_implIS3_Lb1EPKS5_PS5_PKlPlN2at6native12_GLOBAL__N_18offset_tEEE10hipError_tPvRmT1_PNSt15iterator_traitsISL_E10value_typeET2_T3_PNSM_ISR_E10value_typeET4_jRbjT5_SX_jjP12ihipStream_tbEUlT_E0_NS1_11comp_targetILNS1_3genE2ELNS1_11target_archE906ELNS1_3gpuE6ELNS1_3repE0EEENS1_60segmented_radix_sort_warp_sort_medium_config_static_selectorELNS0_4arch9wavefront6targetE0EEEvSL_.num_vgpr, 0
	.set _ZN7rocprim17ROCPRIM_400000_NS6detail17trampoline_kernelINS0_14default_configENS1_36segmented_radix_sort_config_selectorI12hip_bfloat16lEEZNS1_25segmented_radix_sort_implIS3_Lb1EPKS5_PS5_PKlPlN2at6native12_GLOBAL__N_18offset_tEEE10hipError_tPvRmT1_PNSt15iterator_traitsISL_E10value_typeET2_T3_PNSM_ISR_E10value_typeET4_jRbjT5_SX_jjP12ihipStream_tbEUlT_E0_NS1_11comp_targetILNS1_3genE2ELNS1_11target_archE906ELNS1_3gpuE6ELNS1_3repE0EEENS1_60segmented_radix_sort_warp_sort_medium_config_static_selectorELNS0_4arch9wavefront6targetE0EEEvSL_.num_agpr, 0
	.set _ZN7rocprim17ROCPRIM_400000_NS6detail17trampoline_kernelINS0_14default_configENS1_36segmented_radix_sort_config_selectorI12hip_bfloat16lEEZNS1_25segmented_radix_sort_implIS3_Lb1EPKS5_PS5_PKlPlN2at6native12_GLOBAL__N_18offset_tEEE10hipError_tPvRmT1_PNSt15iterator_traitsISL_E10value_typeET2_T3_PNSM_ISR_E10value_typeET4_jRbjT5_SX_jjP12ihipStream_tbEUlT_E0_NS1_11comp_targetILNS1_3genE2ELNS1_11target_archE906ELNS1_3gpuE6ELNS1_3repE0EEENS1_60segmented_radix_sort_warp_sort_medium_config_static_selectorELNS0_4arch9wavefront6targetE0EEEvSL_.numbered_sgpr, 0
	.set _ZN7rocprim17ROCPRIM_400000_NS6detail17trampoline_kernelINS0_14default_configENS1_36segmented_radix_sort_config_selectorI12hip_bfloat16lEEZNS1_25segmented_radix_sort_implIS3_Lb1EPKS5_PS5_PKlPlN2at6native12_GLOBAL__N_18offset_tEEE10hipError_tPvRmT1_PNSt15iterator_traitsISL_E10value_typeET2_T3_PNSM_ISR_E10value_typeET4_jRbjT5_SX_jjP12ihipStream_tbEUlT_E0_NS1_11comp_targetILNS1_3genE2ELNS1_11target_archE906ELNS1_3gpuE6ELNS1_3repE0EEENS1_60segmented_radix_sort_warp_sort_medium_config_static_selectorELNS0_4arch9wavefront6targetE0EEEvSL_.num_named_barrier, 0
	.set _ZN7rocprim17ROCPRIM_400000_NS6detail17trampoline_kernelINS0_14default_configENS1_36segmented_radix_sort_config_selectorI12hip_bfloat16lEEZNS1_25segmented_radix_sort_implIS3_Lb1EPKS5_PS5_PKlPlN2at6native12_GLOBAL__N_18offset_tEEE10hipError_tPvRmT1_PNSt15iterator_traitsISL_E10value_typeET2_T3_PNSM_ISR_E10value_typeET4_jRbjT5_SX_jjP12ihipStream_tbEUlT_E0_NS1_11comp_targetILNS1_3genE2ELNS1_11target_archE906ELNS1_3gpuE6ELNS1_3repE0EEENS1_60segmented_radix_sort_warp_sort_medium_config_static_selectorELNS0_4arch9wavefront6targetE0EEEvSL_.private_seg_size, 0
	.set _ZN7rocprim17ROCPRIM_400000_NS6detail17trampoline_kernelINS0_14default_configENS1_36segmented_radix_sort_config_selectorI12hip_bfloat16lEEZNS1_25segmented_radix_sort_implIS3_Lb1EPKS5_PS5_PKlPlN2at6native12_GLOBAL__N_18offset_tEEE10hipError_tPvRmT1_PNSt15iterator_traitsISL_E10value_typeET2_T3_PNSM_ISR_E10value_typeET4_jRbjT5_SX_jjP12ihipStream_tbEUlT_E0_NS1_11comp_targetILNS1_3genE2ELNS1_11target_archE906ELNS1_3gpuE6ELNS1_3repE0EEENS1_60segmented_radix_sort_warp_sort_medium_config_static_selectorELNS0_4arch9wavefront6targetE0EEEvSL_.uses_vcc, 0
	.set _ZN7rocprim17ROCPRIM_400000_NS6detail17trampoline_kernelINS0_14default_configENS1_36segmented_radix_sort_config_selectorI12hip_bfloat16lEEZNS1_25segmented_radix_sort_implIS3_Lb1EPKS5_PS5_PKlPlN2at6native12_GLOBAL__N_18offset_tEEE10hipError_tPvRmT1_PNSt15iterator_traitsISL_E10value_typeET2_T3_PNSM_ISR_E10value_typeET4_jRbjT5_SX_jjP12ihipStream_tbEUlT_E0_NS1_11comp_targetILNS1_3genE2ELNS1_11target_archE906ELNS1_3gpuE6ELNS1_3repE0EEENS1_60segmented_radix_sort_warp_sort_medium_config_static_selectorELNS0_4arch9wavefront6targetE0EEEvSL_.uses_flat_scratch, 0
	.set _ZN7rocprim17ROCPRIM_400000_NS6detail17trampoline_kernelINS0_14default_configENS1_36segmented_radix_sort_config_selectorI12hip_bfloat16lEEZNS1_25segmented_radix_sort_implIS3_Lb1EPKS5_PS5_PKlPlN2at6native12_GLOBAL__N_18offset_tEEE10hipError_tPvRmT1_PNSt15iterator_traitsISL_E10value_typeET2_T3_PNSM_ISR_E10value_typeET4_jRbjT5_SX_jjP12ihipStream_tbEUlT_E0_NS1_11comp_targetILNS1_3genE2ELNS1_11target_archE906ELNS1_3gpuE6ELNS1_3repE0EEENS1_60segmented_radix_sort_warp_sort_medium_config_static_selectorELNS0_4arch9wavefront6targetE0EEEvSL_.has_dyn_sized_stack, 0
	.set _ZN7rocprim17ROCPRIM_400000_NS6detail17trampoline_kernelINS0_14default_configENS1_36segmented_radix_sort_config_selectorI12hip_bfloat16lEEZNS1_25segmented_radix_sort_implIS3_Lb1EPKS5_PS5_PKlPlN2at6native12_GLOBAL__N_18offset_tEEE10hipError_tPvRmT1_PNSt15iterator_traitsISL_E10value_typeET2_T3_PNSM_ISR_E10value_typeET4_jRbjT5_SX_jjP12ihipStream_tbEUlT_E0_NS1_11comp_targetILNS1_3genE2ELNS1_11target_archE906ELNS1_3gpuE6ELNS1_3repE0EEENS1_60segmented_radix_sort_warp_sort_medium_config_static_selectorELNS0_4arch9wavefront6targetE0EEEvSL_.has_recursion, 0
	.set _ZN7rocprim17ROCPRIM_400000_NS6detail17trampoline_kernelINS0_14default_configENS1_36segmented_radix_sort_config_selectorI12hip_bfloat16lEEZNS1_25segmented_radix_sort_implIS3_Lb1EPKS5_PS5_PKlPlN2at6native12_GLOBAL__N_18offset_tEEE10hipError_tPvRmT1_PNSt15iterator_traitsISL_E10value_typeET2_T3_PNSM_ISR_E10value_typeET4_jRbjT5_SX_jjP12ihipStream_tbEUlT_E0_NS1_11comp_targetILNS1_3genE2ELNS1_11target_archE906ELNS1_3gpuE6ELNS1_3repE0EEENS1_60segmented_radix_sort_warp_sort_medium_config_static_selectorELNS0_4arch9wavefront6targetE0EEEvSL_.has_indirect_call, 0
	.section	.AMDGPU.csdata,"",@progbits
; Kernel info:
; codeLenInByte = 0
; TotalNumSgprs: 0
; NumVgprs: 0
; ScratchSize: 0
; MemoryBound: 0
; FloatMode: 240
; IeeeMode: 1
; LDSByteSize: 0 bytes/workgroup (compile time only)
; SGPRBlocks: 0
; VGPRBlocks: 0
; NumSGPRsForWavesPerEU: 1
; NumVGPRsForWavesPerEU: 1
; Occupancy: 16
; WaveLimiterHint : 0
; COMPUTE_PGM_RSRC2:SCRATCH_EN: 0
; COMPUTE_PGM_RSRC2:USER_SGPR: 2
; COMPUTE_PGM_RSRC2:TRAP_HANDLER: 0
; COMPUTE_PGM_RSRC2:TGID_X_EN: 1
; COMPUTE_PGM_RSRC2:TGID_Y_EN: 0
; COMPUTE_PGM_RSRC2:TGID_Z_EN: 0
; COMPUTE_PGM_RSRC2:TIDIG_COMP_CNT: 0
	.text
	.p2align	2                               ; -- Begin function _ZN7rocprim17ROCPRIM_400000_NS6detail26segmented_warp_sort_helperINS1_20WarpSortHelperConfigILj16ELj8ELj256EEE12hip_bfloat16lLi256ELb1EvE4sortIPKS5_PS5_PKlPlEEvT_T0_T1_T2_jjjjRNS6_12storage_typeE
	.type	_ZN7rocprim17ROCPRIM_400000_NS6detail26segmented_warp_sort_helperINS1_20WarpSortHelperConfigILj16ELj8ELj256EEE12hip_bfloat16lLi256ELb1EvE4sortIPKS5_PS5_PKlPlEEvT_T0_T1_T2_jjjjRNS6_12storage_typeE,@function
_ZN7rocprim17ROCPRIM_400000_NS6detail26segmented_warp_sort_helperINS1_20WarpSortHelperConfigILj16ELj8ELj256EEE12hip_bfloat16lLi256ELb1EvE4sortIPKS5_PS5_PKlPlEEvT_T0_T1_T2_jjjjRNS6_12storage_typeE: ; @_ZN7rocprim17ROCPRIM_400000_NS6detail26segmented_warp_sort_helperINS1_20WarpSortHelperConfigILj16ELj8ELj256EEE12hip_bfloat16lLi256ELb1EvE4sortIPKS5_PS5_PKlPlEEvT_T0_T1_T2_jjjjRNS6_12storage_typeE
; %bb.0:
	s_wait_loadcnt_dscnt 0x0
	s_wait_expcnt 0x0
	s_wait_samplecnt 0x0
	s_wait_bvhcnt 0x0
	s_wait_kmcnt 0x0
	v_mov_b32_e32 v10, v9
	v_mbcnt_lo_u32_b32 v9, -1, 0
	v_dual_mov_b32 v37, -1 :: v_dual_mov_b32 v48, -1
	s_delay_alu instid0(VALU_DEP_2) | instskip(NEXT) | instid1(VALU_DEP_4)
	v_dual_mov_b32 v9, 0 :: v_dual_lshlrev_b32 v36, 3, v9
	v_sub_nc_u32_e32 v10, v10, v8
	s_delay_alu instid0(VALU_DEP_2) | instskip(NEXT) | instid1(VALU_DEP_3)
	v_and_b32_e32 v35, 0x78, v36
	v_lshlrev_b64_e32 v[11:12], 1, v[8:9]
	s_delay_alu instid0(VALU_DEP_2) | instskip(NEXT) | instid1(VALU_DEP_2)
	v_lshlrev_b32_e32 v33, 1, v35
	v_add_co_u32 v0, vcc_lo, v0, v11
	s_wait_alu 0xfffd
	s_delay_alu instid0(VALU_DEP_3) | instskip(NEXT) | instid1(VALU_DEP_2)
	v_add_co_ci_u32_e64 v1, null, v1, v12, vcc_lo
	v_add_co_u32 v0, vcc_lo, v0, v33
	s_wait_alu 0xfffd
	s_delay_alu instid0(VALU_DEP_2)
	v_add_co_ci_u32_e64 v1, null, 0, v1, vcc_lo
	v_cmp_lt_u32_e32 vcc_lo, v35, v10
	s_and_saveexec_b32 s0, vcc_lo
	s_cbranch_execz .LBB1961_2
; %bb.1:
	flat_load_u16 v37, v[0:1]
.LBB1961_2:
	s_wait_alu 0xfffe
	s_or_b32 exec_lo, exec_lo, s0
	v_or_b32_e32 v13, 1, v35
	s_delay_alu instid0(VALU_DEP_1)
	v_cmp_lt_u32_e64 s0, v13, v10
	s_and_saveexec_b32 s1, s0
	s_cbranch_execz .LBB1961_4
; %bb.3:
	flat_load_u16 v48, v[0:1] offset:2
.LBB1961_4:
	s_wait_alu 0xfffe
	s_or_b32 exec_lo, exec_lo, s1
	v_or_b32_e32 v13, 2, v35
	v_dual_mov_b32 v51, -1 :: v_dual_mov_b32 v32, -1
	s_delay_alu instid0(VALU_DEP_2)
	v_cmp_lt_u32_e64 s1, v13, v10
	s_and_saveexec_b32 s2, s1
	s_cbranch_execz .LBB1961_6
; %bb.5:
	flat_load_u16 v32, v[0:1] offset:4
.LBB1961_6:
	s_wait_alu 0xfffe
	s_or_b32 exec_lo, exec_lo, s2
	v_or_b32_e32 v13, 3, v35
	s_delay_alu instid0(VALU_DEP_1)
	v_cmp_lt_u32_e64 s2, v13, v10
	s_and_saveexec_b32 s3, s2
	s_cbranch_execz .LBB1961_8
; %bb.7:
	flat_load_u16 v51, v[0:1] offset:6
.LBB1961_8:
	s_wait_alu 0xfffe
	s_or_b32 exec_lo, exec_lo, s3
	v_or_b32_e32 v13, 4, v35
	v_mov_b32_e32 v39, -1
	v_mov_b32_e32 v49, -1
	s_delay_alu instid0(VALU_DEP_3)
	v_cmp_lt_u32_e64 s3, v13, v10
	s_and_saveexec_b32 s4, s3
	s_cbranch_execz .LBB1961_10
; %bb.9:
	flat_load_u16 v49, v[0:1] offset:8
.LBB1961_10:
	s_wait_alu 0xfffe
	s_or_b32 exec_lo, exec_lo, s4
	v_or_b32_e32 v13, 5, v35
	s_delay_alu instid0(VALU_DEP_1)
	v_cmp_lt_u32_e64 s4, v13, v10
	s_and_saveexec_b32 s5, s4
	s_cbranch_execz .LBB1961_12
; %bb.11:
	flat_load_u16 v39, v[0:1] offset:10
.LBB1961_12:
	s_wait_alu 0xfffe
	s_or_b32 exec_lo, exec_lo, s5
	v_or_b32_e32 v13, 6, v35
	v_mov_b32_e32 v38, -1
	v_mov_b32_e32 v50, -1
	s_delay_alu instid0(VALU_DEP_3)
	v_cmp_lt_u32_e64 s5, v13, v10
	s_and_saveexec_b32 s6, s5
	s_cbranch_execz .LBB1961_14
; %bb.13:
	flat_load_u16 v50, v[0:1] offset:12
.LBB1961_14:
	s_wait_alu 0xfffe
	s_or_b32 exec_lo, exec_lo, s6
	v_or_b32_e32 v13, 7, v35
	s_delay_alu instid0(VALU_DEP_1)
	v_cmp_lt_u32_e64 s6, v13, v10
	s_and_saveexec_b32 s7, s6
	s_cbranch_execz .LBB1961_16
; %bb.15:
	flat_load_u16 v38, v[0:1] offset:14
.LBB1961_16:
	s_wait_alu 0xfffe
	s_or_b32 exec_lo, exec_lo, s7
	v_lshlrev_b64_e32 v[0:1], 3, v[8:9]
	v_lshlrev_b32_e32 v34, 3, v35
	; wave barrier
	s_delay_alu instid0(VALU_DEP_2) | instskip(SKIP_1) | instid1(VALU_DEP_3)
	v_add_co_u32 v4, s7, v4, v0
	s_wait_alu 0xf1ff
	v_add_co_ci_u32_e64 v5, null, v5, v1, s7
	s_delay_alu instid0(VALU_DEP_2) | instskip(SKIP_1) | instid1(VALU_DEP_2)
	v_add_co_u32 v13, s7, v4, v34
	s_wait_alu 0xf1ff
	v_add_co_ci_u32_e64 v14, null, 0, v5, s7
                                        ; implicit-def: $vgpr4_vgpr5
	s_and_saveexec_b32 s7, vcc_lo
	s_cbranch_execnz .LBB1961_318
; %bb.17:
	s_wait_alu 0xfffe
	s_or_b32 exec_lo, exec_lo, s7
	s_and_saveexec_b32 s7, s0
                                        ; implicit-def: $vgpr8_vgpr9
	s_cbranch_execnz .LBB1961_319
.LBB1961_18:
	s_wait_alu 0xfffe
	s_or_b32 exec_lo, exec_lo, s7
                                        ; implicit-def: $vgpr15_vgpr16
	s_and_saveexec_b32 s7, s1
	s_cbranch_execnz .LBB1961_320
.LBB1961_19:
	s_wait_alu 0xfffe
	s_or_b32 exec_lo, exec_lo, s7
	s_and_saveexec_b32 s7, s2
                                        ; implicit-def: $vgpr17_vgpr18
	s_cbranch_execnz .LBB1961_321
.LBB1961_20:
	s_wait_alu 0xfffe
	s_or_b32 exec_lo, exec_lo, s7
                                        ; implicit-def: $vgpr19_vgpr20
	s_and_saveexec_b32 s7, s3
	s_cbranch_execnz .LBB1961_322
.LBB1961_21:
	s_wait_alu 0xfffe
	s_or_b32 exec_lo, exec_lo, s7
	s_and_saveexec_b32 s7, s4
                                        ; implicit-def: $vgpr23_vgpr24
	s_cbranch_execnz .LBB1961_323
.LBB1961_22:
	s_wait_alu 0xfffe
	s_or_b32 exec_lo, exec_lo, s7
                                        ; implicit-def: $vgpr21_vgpr22
	s_and_saveexec_b32 s7, s5
	s_cbranch_execnz .LBB1961_324
.LBB1961_23:
	s_wait_alu 0xfffe
	s_or_b32 exec_lo, exec_lo, s7
	s_and_saveexec_b32 s7, s6
                                        ; implicit-def: $vgpr25_vgpr26
	s_cbranch_execz .LBB1961_25
.LBB1961_24:
	flat_load_b64 v[25:26], v[13:14] offset:56
.LBB1961_25:
	s_wait_alu 0xfffe
	s_or_b32 exec_lo, exec_lo, s7
	; wave barrier
	s_load_b64 s[10:11], s[8:9], 0x0
	s_and_b32 s7, ttmp7, 0xffff
	s_mov_b32 s13, 0
	v_bfe_u32 v10, v31, 10, 10
	v_bfe_u32 v13, v31, 20, 10
	s_wait_kmcnt 0x0
	s_wait_alu 0xfffe
	s_cmp_lt_u32 s7, s11
	s_cselect_b32 s12, 14, 20
	s_cmp_lt_u32 ttmp9, s10
	s_wait_alu 0xfffe
	s_add_nc_u64 s[14:15], s[8:9], s[12:13]
	s_cselect_b32 s12, 12, 18
	s_load_u16 s7, s[14:15], 0x0
	s_add_nc_u64 s[8:9], s[8:9], s[12:13]
	s_load_u16 s8, s[8:9], 0x0
	s_wait_kmcnt 0x0
	v_mad_u32_u24 v10, v13, s7, v10
	v_and_b32_e32 v13, 0x3ff, v31
	s_delay_alu instid0(VALU_DEP_2) | instskip(SKIP_1) | instid1(VALU_DEP_1)
	v_mul_lo_u32 v10, v10, s8
	s_mov_b32 s8, exec_lo
	v_add_lshl_u32 v10, v10, v13, 3
	s_delay_alu instid0(VALU_DEP_1)
	v_cmpx_gt_u32_e32 0x800, v10
	s_cbranch_execz .LBB1961_307
; %bb.26:
	s_wait_loadcnt_dscnt 0x0
	v_lshlrev_b32_e32 v13, 16, v48
	s_delay_alu instid0(VALU_DEP_1) | instskip(NEXT) | instid1(VALU_DEP_1)
	v_add_f32_e32 v14, 0, v13
	v_and_b32_e32 v13, 0x7f800000, v14
	s_delay_alu instid0(VALU_DEP_1)
	v_cmp_ne_u32_e64 s7, 0x7f800000, v13
                                        ; implicit-def: $vgpr13
	s_and_saveexec_b32 s9, s7
	s_wait_alu 0xfffe
	s_xor_b32 s7, exec_lo, s9
; %bb.27:
	v_bfe_u32 v13, v14, 16, 1
	s_delay_alu instid0(VALU_DEP_1)
	v_add3_u32 v13, v14, v13, 0x7fff
                                        ; implicit-def: $vgpr14
; %bb.28:
	s_wait_alu 0xfffe
	s_and_not1_saveexec_b32 s9, s7
; %bb.29:
	v_and_b32_e32 v13, 0xffff, v14
	v_or_b32_e32 v27, 0x10000, v14
	s_delay_alu instid0(VALU_DEP_2) | instskip(SKIP_1) | instid1(VALU_DEP_1)
	v_cmp_eq_u32_e64 s7, 0, v13
	s_wait_alu 0xf1ff
	v_cndmask_b32_e64 v13, v27, v14, s7
; %bb.30:
	s_wait_alu 0xfffe
	s_or_b32 exec_lo, exec_lo, s9
	v_lshlrev_b32_e32 v14, 16, v37
	s_delay_alu instid0(VALU_DEP_1) | instskip(NEXT) | instid1(VALU_DEP_1)
	v_add_f32_e32 v27, 0, v14
	v_and_b32_e32 v14, 0x7f800000, v27
	s_delay_alu instid0(VALU_DEP_1)
	v_cmp_ne_u32_e64 s7, 0x7f800000, v14
                                        ; implicit-def: $vgpr14
	s_and_saveexec_b32 s9, s7
	s_wait_alu 0xfffe
	s_xor_b32 s7, exec_lo, s9
; %bb.31:
	v_bfe_u32 v14, v27, 16, 1
	s_delay_alu instid0(VALU_DEP_1)
	v_add3_u32 v14, v27, v14, 0x7fff
                                        ; implicit-def: $vgpr27
; %bb.32:
	s_wait_alu 0xfffe
	s_and_not1_saveexec_b32 s9, s7
; %bb.33:
	v_and_b32_e32 v14, 0xffff, v27
	v_or_b32_e32 v28, 0x10000, v27
	s_delay_alu instid0(VALU_DEP_2) | instskip(SKIP_1) | instid1(VALU_DEP_1)
	v_cmp_eq_u32_e64 s7, 0, v14
	s_wait_alu 0xf1ff
	v_cndmask_b32_e64 v14, v28, v27, s7
; %bb.34:
	s_wait_alu 0xfffe
	s_or_b32 exec_lo, exec_lo, s9
	v_cmp_lt_i32_e64 s7, -1, v13
	s_delay_alu instid0(VALU_DEP_2)
	v_perm_b32 v13, v14, v13, 0x7060302
	v_mov_b32_e32 v52, v48
	s_mov_b32 s9, exec_lo
	s_wait_alu 0xf1ff
	v_cndmask_b32_e64 v27, -1, 0xffff8000, s7
	v_cmp_lt_i32_e64 s7, -1, v14
	s_wait_alu 0xf1ff
	s_delay_alu instid0(VALU_DEP_1) | instskip(NEXT) | instid1(VALU_DEP_1)
	v_cndmask_b32_e64 v28, -1, 0xffff8000, s7
	v_perm_b32 v14, v28, v27, 0x5040100
	v_dual_mov_b32 v28, v9 :: v_dual_mov_b32 v27, v8
	s_delay_alu instid0(VALU_DEP_2) | instskip(NEXT) | instid1(VALU_DEP_1)
	v_xor_b32_e32 v13, v14, v13
	v_lshrrev_b32_e32 v14, 16, v13
	s_delay_alu instid0(VALU_DEP_1)
	v_cmpx_gt_u16_e64 v13, v14
; %bb.35:
	v_dual_mov_b32 v52, v37 :: v_dual_mov_b32 v37, v48
	v_dual_mov_b32 v28, v5 :: v_dual_mov_b32 v27, v4
	;; [unrolled: 1-line block ×3, first 2 shown]
; %bb.36:
	s_wait_alu 0xfffe
	s_or_b32 exec_lo, exec_lo, s9
	v_lshlrev_b32_e32 v8, 16, v51
	s_delay_alu instid0(VALU_DEP_1) | instskip(NEXT) | instid1(VALU_DEP_1)
	v_add_f32_e32 v9, 0, v8
	v_and_b32_e32 v8, 0x7f800000, v9
	s_delay_alu instid0(VALU_DEP_1)
	v_cmp_ne_u32_e64 s7, 0x7f800000, v8
                                        ; implicit-def: $vgpr8
	s_and_saveexec_b32 s9, s7
	s_wait_alu 0xfffe
	s_xor_b32 s7, exec_lo, s9
; %bb.37:
	v_bfe_u32 v8, v9, 16, 1
	s_delay_alu instid0(VALU_DEP_1)
	v_add3_u32 v8, v9, v8, 0x7fff
                                        ; implicit-def: $vgpr9
; %bb.38:
	s_wait_alu 0xfffe
	s_and_not1_saveexec_b32 s9, s7
; %bb.39:
	v_and_b32_e32 v8, 0xffff, v9
	v_or_b32_e32 v13, 0x10000, v9
	s_delay_alu instid0(VALU_DEP_2) | instskip(SKIP_1) | instid1(VALU_DEP_1)
	v_cmp_eq_u32_e64 s7, 0, v8
	s_wait_alu 0xf1ff
	v_cndmask_b32_e64 v8, v13, v9, s7
; %bb.40:
	s_wait_alu 0xfffe
	s_or_b32 exec_lo, exec_lo, s9
	v_lshlrev_b32_e32 v9, 16, v32
	s_delay_alu instid0(VALU_DEP_1) | instskip(NEXT) | instid1(VALU_DEP_1)
	v_add_f32_e32 v13, 0, v9
	v_and_b32_e32 v9, 0x7f800000, v13
	s_delay_alu instid0(VALU_DEP_1)
	v_cmp_ne_u32_e64 s7, 0x7f800000, v9
                                        ; implicit-def: $vgpr9
	s_and_saveexec_b32 s9, s7
	s_wait_alu 0xfffe
	s_xor_b32 s7, exec_lo, s9
; %bb.41:
	v_bfe_u32 v9, v13, 16, 1
	s_delay_alu instid0(VALU_DEP_1)
	v_add3_u32 v9, v13, v9, 0x7fff
                                        ; implicit-def: $vgpr13
; %bb.42:
	s_wait_alu 0xfffe
	s_and_not1_saveexec_b32 s9, s7
; %bb.43:
	v_and_b32_e32 v9, 0xffff, v13
	v_or_b32_e32 v14, 0x10000, v13
	s_delay_alu instid0(VALU_DEP_2) | instskip(SKIP_1) | instid1(VALU_DEP_1)
	v_cmp_eq_u32_e64 s7, 0, v9
	s_wait_alu 0xf1ff
	v_cndmask_b32_e64 v9, v14, v13, s7
; %bb.44:
	s_wait_alu 0xfffe
	s_or_b32 exec_lo, exec_lo, s9
	v_cmp_lt_i32_e64 s7, -1, v8
	s_delay_alu instid0(VALU_DEP_2)
	v_perm_b32 v8, v9, v8, 0x7060302
	v_dual_mov_b32 v31, v51 :: v_dual_mov_b32 v30, v18
	v_mov_b32_e32 v29, v17
	s_wait_alu 0xf1ff
	v_cndmask_b32_e64 v13, -1, 0xffff8000, s7
	v_cmp_lt_i32_e64 s7, -1, v9
	s_mov_b32 s9, exec_lo
	s_wait_alu 0xf1ff
	v_cndmask_b32_e64 v14, -1, 0xffff8000, s7
	s_delay_alu instid0(VALU_DEP_1) | instskip(NEXT) | instid1(VALU_DEP_1)
	v_perm_b32 v9, v14, v13, 0x5040100
	v_xor_b32_e32 v8, v9, v8
	s_delay_alu instid0(VALU_DEP_1) | instskip(NEXT) | instid1(VALU_DEP_1)
	v_lshrrev_b32_e32 v9, 16, v8
	v_cmpx_gt_u16_e64 v8, v9
; %bb.45:
	v_dual_mov_b32 v31, v32 :: v_dual_mov_b32 v32, v51
	v_dual_mov_b32 v30, v16 :: v_dual_mov_b32 v29, v15
	;; [unrolled: 1-line block ×3, first 2 shown]
; %bb.46:
	s_wait_alu 0xfffe
	s_or_b32 exec_lo, exec_lo, s9
	v_lshlrev_b32_e32 v8, 16, v39
	s_delay_alu instid0(VALU_DEP_1) | instskip(NEXT) | instid1(VALU_DEP_1)
	v_add_f32_e32 v9, 0, v8
	v_and_b32_e32 v8, 0x7f800000, v9
	s_delay_alu instid0(VALU_DEP_1)
	v_cmp_ne_u32_e64 s7, 0x7f800000, v8
                                        ; implicit-def: $vgpr8
	s_and_saveexec_b32 s9, s7
	s_wait_alu 0xfffe
	s_xor_b32 s7, exec_lo, s9
; %bb.47:
	v_bfe_u32 v8, v9, 16, 1
	s_delay_alu instid0(VALU_DEP_1)
	v_add3_u32 v8, v9, v8, 0x7fff
                                        ; implicit-def: $vgpr9
; %bb.48:
	s_wait_alu 0xfffe
	s_and_not1_saveexec_b32 s9, s7
; %bb.49:
	v_and_b32_e32 v8, 0xffff, v9
	v_or_b32_e32 v13, 0x10000, v9
	s_delay_alu instid0(VALU_DEP_2) | instskip(SKIP_1) | instid1(VALU_DEP_1)
	v_cmp_eq_u32_e64 s7, 0, v8
	s_wait_alu 0xf1ff
	v_cndmask_b32_e64 v8, v13, v9, s7
; %bb.50:
	s_wait_alu 0xfffe
	s_or_b32 exec_lo, exec_lo, s9
	v_lshlrev_b32_e32 v9, 16, v49
	s_delay_alu instid0(VALU_DEP_1) | instskip(NEXT) | instid1(VALU_DEP_1)
	v_add_f32_e32 v13, 0, v9
	v_and_b32_e32 v9, 0x7f800000, v13
	s_delay_alu instid0(VALU_DEP_1)
	v_cmp_ne_u32_e64 s7, 0x7f800000, v9
                                        ; implicit-def: $vgpr9
	s_and_saveexec_b32 s9, s7
	s_wait_alu 0xfffe
	s_xor_b32 s7, exec_lo, s9
; %bb.51:
	v_bfe_u32 v9, v13, 16, 1
	s_delay_alu instid0(VALU_DEP_1)
	v_add3_u32 v9, v13, v9, 0x7fff
                                        ; implicit-def: $vgpr13
; %bb.52:
	s_wait_alu 0xfffe
	s_and_not1_saveexec_b32 s9, s7
; %bb.53:
	v_and_b32_e32 v9, 0xffff, v13
	v_or_b32_e32 v14, 0x10000, v13
	s_delay_alu instid0(VALU_DEP_2) | instskip(SKIP_1) | instid1(VALU_DEP_1)
	v_cmp_eq_u32_e64 s7, 0, v9
	s_wait_alu 0xf1ff
	v_cndmask_b32_e64 v9, v14, v13, s7
; %bb.54:
	s_wait_alu 0xfffe
	s_or_b32 exec_lo, exec_lo, s9
	v_cmp_lt_i32_e64 s7, -1, v8
	s_delay_alu instid0(VALU_DEP_2)
	v_perm_b32 v8, v9, v8, 0x7060302
	v_mov_b32_e32 v51, v49
	s_mov_b32 s9, exec_lo
	s_wait_alu 0xf1ff
	v_cndmask_b32_e64 v13, -1, 0xffff8000, s7
	v_cmp_lt_i32_e64 s7, -1, v9
	s_wait_alu 0xf1ff
	s_delay_alu instid0(VALU_DEP_1) | instskip(NEXT) | instid1(VALU_DEP_1)
	v_cndmask_b32_e64 v14, -1, 0xffff8000, s7
	v_perm_b32 v9, v14, v13, 0x5040100
	s_delay_alu instid0(VALU_DEP_1) | instskip(SKIP_1) | instid1(VALU_DEP_2)
	v_xor_b32_e32 v13, v9, v8
	v_dual_mov_b32 v8, v23 :: v_dual_mov_b32 v9, v24
	v_lshrrev_b32_e32 v14, 16, v13
	s_delay_alu instid0(VALU_DEP_1)
	v_cmpx_gt_u16_e64 v13, v14
; %bb.55:
	v_dual_mov_b32 v8, v19 :: v_dual_mov_b32 v9, v20
	v_dual_mov_b32 v19, v23 :: v_dual_mov_b32 v20, v24
	v_mov_b32_e32 v51, v39
	v_mov_b32_e32 v39, v49
; %bb.56:
	s_wait_alu 0xfffe
	s_or_b32 exec_lo, exec_lo, s9
	v_lshlrev_b32_e32 v13, 16, v38
	s_delay_alu instid0(VALU_DEP_1) | instskip(NEXT) | instid1(VALU_DEP_1)
	v_add_f32_e32 v14, 0, v13
	v_and_b32_e32 v13, 0x7f800000, v14
	s_delay_alu instid0(VALU_DEP_1)
	v_cmp_ne_u32_e64 s7, 0x7f800000, v13
                                        ; implicit-def: $vgpr13
	s_and_saveexec_b32 s9, s7
	s_wait_alu 0xfffe
	s_xor_b32 s7, exec_lo, s9
; %bb.57:
	v_bfe_u32 v13, v14, 16, 1
	s_delay_alu instid0(VALU_DEP_1)
	v_add3_u32 v13, v14, v13, 0x7fff
                                        ; implicit-def: $vgpr14
; %bb.58:
	s_wait_alu 0xfffe
	s_and_not1_saveexec_b32 s9, s7
; %bb.59:
	v_and_b32_e32 v13, 0xffff, v14
	v_or_b32_e32 v17, 0x10000, v14
	s_delay_alu instid0(VALU_DEP_2) | instskip(SKIP_1) | instid1(VALU_DEP_1)
	v_cmp_eq_u32_e64 s7, 0, v13
	s_wait_alu 0xf1ff
	v_cndmask_b32_e64 v13, v17, v14, s7
; %bb.60:
	s_wait_alu 0xfffe
	s_or_b32 exec_lo, exec_lo, s9
	v_lshlrev_b32_e32 v14, 16, v50
	s_delay_alu instid0(VALU_DEP_1) | instskip(NEXT) | instid1(VALU_DEP_1)
	v_add_f32_e32 v17, 0, v14
	v_and_b32_e32 v14, 0x7f800000, v17
	s_delay_alu instid0(VALU_DEP_1)
	v_cmp_ne_u32_e64 s7, 0x7f800000, v14
                                        ; implicit-def: $vgpr14
	s_and_saveexec_b32 s9, s7
	s_wait_alu 0xfffe
	s_xor_b32 s7, exec_lo, s9
; %bb.61:
	v_bfe_u32 v14, v17, 16, 1
	s_delay_alu instid0(VALU_DEP_1)
	v_add3_u32 v14, v17, v14, 0x7fff
                                        ; implicit-def: $vgpr17
; %bb.62:
	s_wait_alu 0xfffe
	s_and_not1_saveexec_b32 s9, s7
; %bb.63:
	v_and_b32_e32 v14, 0xffff, v17
	v_or_b32_e32 v18, 0x10000, v17
	s_delay_alu instid0(VALU_DEP_2) | instskip(SKIP_1) | instid1(VALU_DEP_1)
	v_cmp_eq_u32_e64 s7, 0, v14
	s_wait_alu 0xf1ff
	v_cndmask_b32_e64 v14, v18, v17, s7
; %bb.64:
	s_wait_alu 0xfffe
	s_or_b32 exec_lo, exec_lo, s9
	v_cmp_lt_i32_e64 s7, -1, v13
	s_delay_alu instid0(VALU_DEP_2)
	v_perm_b32 v13, v14, v13, 0x7060302
	v_mov_b32_e32 v49, v50
	s_mov_b32 s9, exec_lo
	s_wait_alu 0xf1ff
	v_cndmask_b32_e64 v17, -1, 0xffff8000, s7
	v_cmp_lt_i32_e64 s7, -1, v14
	s_wait_alu 0xf1ff
	s_delay_alu instid0(VALU_DEP_1) | instskip(NEXT) | instid1(VALU_DEP_1)
	v_cndmask_b32_e64 v18, -1, 0xffff8000, s7
	v_perm_b32 v14, v18, v17, 0x5040100
	s_delay_alu instid0(VALU_DEP_1) | instskip(SKIP_1) | instid1(VALU_DEP_2)
	v_xor_b32_e32 v17, v14, v13
	v_dual_mov_b32 v13, v25 :: v_dual_mov_b32 v14, v26
	v_lshrrev_b32_e32 v18, 16, v17
	s_delay_alu instid0(VALU_DEP_1)
	v_cmpx_gt_u16_e64 v17, v18
; %bb.65:
	v_dual_mov_b32 v13, v21 :: v_dual_mov_b32 v14, v22
	v_dual_mov_b32 v21, v25 :: v_dual_mov_b32 v22, v26
	;; [unrolled: 1-line block ×3, first 2 shown]
; %bb.66:
	s_wait_alu 0xfffe
	s_or_b32 exec_lo, exec_lo, s9
	v_lshlrev_b32_e32 v17, 16, v32
	s_delay_alu instid0(VALU_DEP_1) | instskip(NEXT) | instid1(VALU_DEP_1)
	v_add_f32_e32 v18, 0, v17
	v_and_b32_e32 v17, 0x7f800000, v18
	s_delay_alu instid0(VALU_DEP_1)
	v_cmp_ne_u32_e64 s7, 0x7f800000, v17
                                        ; implicit-def: $vgpr17
	s_and_saveexec_b32 s9, s7
	s_wait_alu 0xfffe
	s_xor_b32 s7, exec_lo, s9
; %bb.67:
	v_bfe_u32 v17, v18, 16, 1
	s_delay_alu instid0(VALU_DEP_1)
	v_add3_u32 v17, v18, v17, 0x7fff
                                        ; implicit-def: $vgpr18
; %bb.68:
	s_wait_alu 0xfffe
	s_and_not1_saveexec_b32 s9, s7
; %bb.69:
	v_and_b32_e32 v17, 0xffff, v18
	v_or_b32_e32 v23, 0x10000, v18
	s_delay_alu instid0(VALU_DEP_2) | instskip(SKIP_1) | instid1(VALU_DEP_1)
	v_cmp_eq_u32_e64 s7, 0, v17
	s_wait_alu 0xf1ff
	v_cndmask_b32_e64 v17, v23, v18, s7
; %bb.70:
	s_wait_alu 0xfffe
	s_or_b32 exec_lo, exec_lo, s9
	v_lshlrev_b32_e32 v18, 16, v52
	s_delay_alu instid0(VALU_DEP_1) | instskip(NEXT) | instid1(VALU_DEP_1)
	v_add_f32_e32 v23, 0, v18
	v_and_b32_e32 v18, 0x7f800000, v23
	s_delay_alu instid0(VALU_DEP_1)
	v_cmp_ne_u32_e64 s7, 0x7f800000, v18
                                        ; implicit-def: $vgpr18
	s_and_saveexec_b32 s9, s7
	s_wait_alu 0xfffe
	s_xor_b32 s7, exec_lo, s9
; %bb.71:
	v_bfe_u32 v18, v23, 16, 1
	s_delay_alu instid0(VALU_DEP_1)
	v_add3_u32 v18, v23, v18, 0x7fff
                                        ; implicit-def: $vgpr23
; %bb.72:
	s_wait_alu 0xfffe
	s_and_not1_saveexec_b32 s9, s7
; %bb.73:
	v_and_b32_e32 v18, 0xffff, v23
	v_or_b32_e32 v24, 0x10000, v23
	s_delay_alu instid0(VALU_DEP_2) | instskip(SKIP_1) | instid1(VALU_DEP_1)
	v_cmp_eq_u32_e64 s7, 0, v18
	s_wait_alu 0xf1ff
	v_cndmask_b32_e64 v18, v24, v23, s7
; %bb.74:
	s_wait_alu 0xfffe
	s_or_b32 exec_lo, exec_lo, s9
	v_cmp_lt_i32_e64 s7, -1, v17
	s_delay_alu instid0(VALU_DEP_2)
	v_perm_b32 v17, v18, v17, 0x7060302
	v_mov_b32_e32 v26, v16
	v_dual_mov_b32 v48, v32 :: v_dual_mov_b32 v25, v15
	s_wait_alu 0xf1ff
	v_cndmask_b32_e64 v23, -1, 0xffff8000, s7
	v_cmp_lt_i32_e64 s7, -1, v18
	s_mov_b32 s9, exec_lo
	s_wait_alu 0xf1ff
	v_cndmask_b32_e64 v24, -1, 0xffff8000, s7
	s_delay_alu instid0(VALU_DEP_1) | instskip(NEXT) | instid1(VALU_DEP_1)
	v_perm_b32 v18, v24, v23, 0x5040100
	v_xor_b32_e32 v17, v18, v17
	s_delay_alu instid0(VALU_DEP_1) | instskip(NEXT) | instid1(VALU_DEP_1)
	v_lshrrev_b32_e32 v18, 16, v17
	v_cmpx_gt_u16_e64 v17, v18
; %bb.75:
	v_dual_mov_b32 v48, v52 :: v_dual_mov_b32 v25, v27
	v_mov_b32_e32 v26, v28
	v_mov_b32_e32 v28, v16
	v_dual_mov_b32 v52, v32 :: v_dual_mov_b32 v27, v15
; %bb.76:
	s_wait_alu 0xfffe
	s_or_b32 exec_lo, exec_lo, s9
	v_lshlrev_b32_e32 v15, 16, v51
	s_delay_alu instid0(VALU_DEP_1) | instskip(NEXT) | instid1(VALU_DEP_1)
	v_add_f32_e32 v16, 0, v15
	v_and_b32_e32 v15, 0x7f800000, v16
	s_delay_alu instid0(VALU_DEP_1)
	v_cmp_ne_u32_e64 s7, 0x7f800000, v15
                                        ; implicit-def: $vgpr15
	s_and_saveexec_b32 s9, s7
	s_wait_alu 0xfffe
	s_xor_b32 s7, exec_lo, s9
; %bb.77:
	v_bfe_u32 v15, v16, 16, 1
	s_delay_alu instid0(VALU_DEP_1)
	v_add3_u32 v15, v16, v15, 0x7fff
                                        ; implicit-def: $vgpr16
; %bb.78:
	s_wait_alu 0xfffe
	s_and_not1_saveexec_b32 s9, s7
; %bb.79:
	v_and_b32_e32 v15, 0xffff, v16
	v_or_b32_e32 v17, 0x10000, v16
	s_delay_alu instid0(VALU_DEP_2) | instskip(SKIP_1) | instid1(VALU_DEP_1)
	v_cmp_eq_u32_e64 s7, 0, v15
	s_wait_alu 0xf1ff
	v_cndmask_b32_e64 v15, v17, v16, s7
; %bb.80:
	s_wait_alu 0xfffe
	s_or_b32 exec_lo, exec_lo, s9
	v_lshlrev_b32_e32 v16, 16, v31
	s_delay_alu instid0(VALU_DEP_1) | instskip(NEXT) | instid1(VALU_DEP_1)
	v_add_f32_e32 v17, 0, v16
	v_and_b32_e32 v16, 0x7f800000, v17
	s_delay_alu instid0(VALU_DEP_1)
	v_cmp_ne_u32_e64 s7, 0x7f800000, v16
                                        ; implicit-def: $vgpr16
	s_and_saveexec_b32 s9, s7
	s_wait_alu 0xfffe
	s_xor_b32 s7, exec_lo, s9
; %bb.81:
	v_bfe_u32 v16, v17, 16, 1
	s_delay_alu instid0(VALU_DEP_1)
	v_add3_u32 v16, v17, v16, 0x7fff
                                        ; implicit-def: $vgpr17
; %bb.82:
	s_wait_alu 0xfffe
	s_and_not1_saveexec_b32 s9, s7
; %bb.83:
	v_and_b32_e32 v16, 0xffff, v17
	v_or_b32_e32 v18, 0x10000, v17
	s_delay_alu instid0(VALU_DEP_2) | instskip(SKIP_1) | instid1(VALU_DEP_1)
	v_cmp_eq_u32_e64 s7, 0, v16
	s_wait_alu 0xf1ff
	v_cndmask_b32_e64 v16, v18, v17, s7
; %bb.84:
	s_wait_alu 0xfffe
	s_or_b32 exec_lo, exec_lo, s9
	v_cmp_lt_i32_e64 s7, -1, v15
	s_delay_alu instid0(VALU_DEP_2)
	v_perm_b32 v15, v16, v15, 0x7060302
	s_mov_b32 s9, exec_lo
	v_dual_mov_b32 v24, v20 :: v_dual_mov_b32 v23, v19
	s_wait_alu 0xf1ff
	v_cndmask_b32_e64 v17, -1, 0xffff8000, s7
	v_cmp_lt_i32_e64 s7, -1, v16
	s_wait_alu 0xf1ff
	s_delay_alu instid0(VALU_DEP_1) | instskip(NEXT) | instid1(VALU_DEP_1)
	v_cndmask_b32_e64 v18, -1, 0xffff8000, s7
	v_perm_b32 v16, v18, v17, 0x5040100
	v_mov_b32_e32 v17, v31
	s_delay_alu instid0(VALU_DEP_2) | instskip(NEXT) | instid1(VALU_DEP_1)
	v_xor_b32_e32 v15, v16, v15
	v_lshrrev_b32_e32 v16, 16, v15
	s_delay_alu instid0(VALU_DEP_1)
	v_cmpx_gt_u16_e64 v15, v16
; %bb.85:
	v_mov_b32_e32 v23, v29
	v_dual_mov_b32 v17, v51 :: v_dual_mov_b32 v24, v30
	v_dual_mov_b32 v30, v20 :: v_dual_mov_b32 v29, v19
	v_mov_b32_e32 v51, v31
; %bb.86:
	s_wait_alu 0xfffe
	s_or_b32 exec_lo, exec_lo, s9
	v_lshlrev_b32_e32 v15, 16, v49
	s_delay_alu instid0(VALU_DEP_1) | instskip(NEXT) | instid1(VALU_DEP_1)
	v_add_f32_e32 v16, 0, v15
	v_and_b32_e32 v15, 0x7f800000, v16
	s_delay_alu instid0(VALU_DEP_1)
	v_cmp_ne_u32_e64 s7, 0x7f800000, v15
                                        ; implicit-def: $vgpr15
	s_and_saveexec_b32 s9, s7
	s_wait_alu 0xfffe
	s_xor_b32 s7, exec_lo, s9
; %bb.87:
	v_bfe_u32 v15, v16, 16, 1
	s_delay_alu instid0(VALU_DEP_1)
	v_add3_u32 v15, v16, v15, 0x7fff
                                        ; implicit-def: $vgpr16
; %bb.88:
	s_wait_alu 0xfffe
	s_and_not1_saveexec_b32 s9, s7
; %bb.89:
	v_and_b32_e32 v15, 0xffff, v16
	v_or_b32_e32 v18, 0x10000, v16
	s_delay_alu instid0(VALU_DEP_2) | instskip(SKIP_1) | instid1(VALU_DEP_1)
	v_cmp_eq_u32_e64 s7, 0, v15
	s_wait_alu 0xf1ff
	v_cndmask_b32_e64 v15, v18, v16, s7
; %bb.90:
	s_wait_alu 0xfffe
	s_or_b32 exec_lo, exec_lo, s9
	v_lshlrev_b32_e32 v16, 16, v39
	s_delay_alu instid0(VALU_DEP_1) | instskip(NEXT) | instid1(VALU_DEP_1)
	v_add_f32_e32 v18, 0, v16
	v_and_b32_e32 v16, 0x7f800000, v18
	s_delay_alu instid0(VALU_DEP_1)
	v_cmp_ne_u32_e64 s7, 0x7f800000, v16
                                        ; implicit-def: $vgpr16
	s_and_saveexec_b32 s9, s7
	s_wait_alu 0xfffe
	s_xor_b32 s7, exec_lo, s9
; %bb.91:
	v_bfe_u32 v16, v18, 16, 1
	s_delay_alu instid0(VALU_DEP_1)
	v_add3_u32 v16, v18, v16, 0x7fff
                                        ; implicit-def: $vgpr18
; %bb.92:
	s_wait_alu 0xfffe
	s_and_not1_saveexec_b32 s9, s7
; %bb.93:
	v_and_b32_e32 v16, 0xffff, v18
	v_or_b32_e32 v19, 0x10000, v18
	s_delay_alu instid0(VALU_DEP_2) | instskip(SKIP_1) | instid1(VALU_DEP_1)
	v_cmp_eq_u32_e64 s7, 0, v16
	s_wait_alu 0xf1ff
	v_cndmask_b32_e64 v16, v19, v18, s7
; %bb.94:
	s_wait_alu 0xfffe
	s_or_b32 exec_lo, exec_lo, s9
	v_cmp_lt_i32_e64 s7, -1, v15
	s_delay_alu instid0(VALU_DEP_2)
	v_perm_b32 v15, v16, v15, 0x7060302
	v_mov_b32_e32 v50, v39
	s_mov_b32 s9, exec_lo
	s_wait_alu 0xf1ff
	v_cndmask_b32_e64 v18, -1, 0xffff8000, s7
	v_cmp_lt_i32_e64 s7, -1, v16
	s_wait_alu 0xf1ff
	s_delay_alu instid0(VALU_DEP_1) | instskip(NEXT) | instid1(VALU_DEP_1)
	v_cndmask_b32_e64 v19, -1, 0xffff8000, s7
	v_perm_b32 v16, v19, v18, 0x5040100
	s_delay_alu instid0(VALU_DEP_1) | instskip(SKIP_1) | instid1(VALU_DEP_2)
	v_xor_b32_e32 v18, v16, v15
	v_dual_mov_b32 v15, v21 :: v_dual_mov_b32 v16, v22
	v_lshrrev_b32_e32 v19, 16, v18
	s_delay_alu instid0(VALU_DEP_1)
	v_cmpx_gt_u16_e64 v18, v19
; %bb.95:
	v_dual_mov_b32 v16, v9 :: v_dual_mov_b32 v15, v8
	v_dual_mov_b32 v8, v21 :: v_dual_mov_b32 v9, v22
	;; [unrolled: 1-line block ×3, first 2 shown]
; %bb.96:
	s_wait_alu 0xfffe
	s_or_b32 exec_lo, exec_lo, s9
	v_lshlrev_b32_e32 v18, 16, v52
	s_delay_alu instid0(VALU_DEP_1) | instskip(NEXT) | instid1(VALU_DEP_1)
	v_add_f32_e32 v19, 0, v18
	v_and_b32_e32 v18, 0x7f800000, v19
	s_delay_alu instid0(VALU_DEP_1)
	v_cmp_ne_u32_e64 s7, 0x7f800000, v18
                                        ; implicit-def: $vgpr18
	s_and_saveexec_b32 s9, s7
	s_wait_alu 0xfffe
	s_xor_b32 s7, exec_lo, s9
; %bb.97:
	v_bfe_u32 v18, v19, 16, 1
	s_delay_alu instid0(VALU_DEP_1)
	v_add3_u32 v18, v19, v18, 0x7fff
                                        ; implicit-def: $vgpr19
; %bb.98:
	s_wait_alu 0xfffe
	s_and_not1_saveexec_b32 s9, s7
; %bb.99:
	v_and_b32_e32 v18, 0xffff, v19
	v_or_b32_e32 v20, 0x10000, v19
	s_delay_alu instid0(VALU_DEP_2) | instskip(SKIP_1) | instid1(VALU_DEP_1)
	v_cmp_eq_u32_e64 s7, 0, v18
	s_wait_alu 0xf1ff
	v_cndmask_b32_e64 v18, v20, v19, s7
; %bb.100:
	s_wait_alu 0xfffe
	s_or_b32 exec_lo, exec_lo, s9
	v_lshlrev_b32_e32 v19, 16, v37
	s_delay_alu instid0(VALU_DEP_1) | instskip(NEXT) | instid1(VALU_DEP_1)
	v_add_f32_e32 v20, 0, v19
	v_and_b32_e32 v19, 0x7f800000, v20
	s_delay_alu instid0(VALU_DEP_1)
	v_cmp_ne_u32_e64 s7, 0x7f800000, v19
                                        ; implicit-def: $vgpr19
	s_and_saveexec_b32 s9, s7
	s_wait_alu 0xfffe
	s_xor_b32 s7, exec_lo, s9
; %bb.101:
	v_bfe_u32 v19, v20, 16, 1
	s_delay_alu instid0(VALU_DEP_1)
	v_add3_u32 v19, v20, v19, 0x7fff
                                        ; implicit-def: $vgpr20
; %bb.102:
	s_wait_alu 0xfffe
	s_and_not1_saveexec_b32 s9, s7
; %bb.103:
	v_and_b32_e32 v19, 0xffff, v20
	v_or_b32_e32 v21, 0x10000, v20
	s_delay_alu instid0(VALU_DEP_2) | instskip(SKIP_1) | instid1(VALU_DEP_1)
	v_cmp_eq_u32_e64 s7, 0, v19
	s_wait_alu 0xf1ff
	v_cndmask_b32_e64 v19, v21, v20, s7
; %bb.104:
	s_wait_alu 0xfffe
	s_or_b32 exec_lo, exec_lo, s9
	v_cmp_lt_i32_e64 s7, -1, v18
	s_delay_alu instid0(VALU_DEP_2)
	v_perm_b32 v18, v19, v18, 0x7060302
	v_dual_mov_b32 v39, v52 :: v_dual_mov_b32 v32, v28
	v_mov_b32_e32 v31, v27
	s_wait_alu 0xf1ff
	v_cndmask_b32_e64 v20, -1, 0xffff8000, s7
	v_cmp_lt_i32_e64 s7, -1, v19
	s_mov_b32 s9, exec_lo
	s_wait_alu 0xf1ff
	v_cndmask_b32_e64 v21, -1, 0xffff8000, s7
	s_delay_alu instid0(VALU_DEP_1) | instskip(NEXT) | instid1(VALU_DEP_1)
	v_perm_b32 v19, v21, v20, 0x5040100
	v_xor_b32_e32 v18, v19, v18
	s_delay_alu instid0(VALU_DEP_1) | instskip(NEXT) | instid1(VALU_DEP_1)
	v_lshrrev_b32_e32 v19, 16, v18
	v_cmpx_gt_u16_e64 v18, v19
; %bb.105:
	v_dual_mov_b32 v39, v37 :: v_dual_mov_b32 v32, v5
	v_mov_b32_e32 v37, v52
	v_dual_mov_b32 v31, v4 :: v_dual_mov_b32 v4, v27
	v_mov_b32_e32 v5, v28
; %bb.106:
	s_wait_alu 0xfffe
	s_or_b32 exec_lo, exec_lo, s9
	v_lshlrev_b32_e32 v18, 16, v17
	s_delay_alu instid0(VALU_DEP_1) | instskip(NEXT) | instid1(VALU_DEP_1)
	v_add_f32_e32 v19, 0, v18
	v_and_b32_e32 v18, 0x7f800000, v19
	s_delay_alu instid0(VALU_DEP_1)
	v_cmp_ne_u32_e64 s7, 0x7f800000, v18
                                        ; implicit-def: $vgpr18
	s_and_saveexec_b32 s9, s7
	s_wait_alu 0xfffe
	s_xor_b32 s7, exec_lo, s9
; %bb.107:
	v_bfe_u32 v18, v19, 16, 1
	s_delay_alu instid0(VALU_DEP_1)
	v_add3_u32 v18, v19, v18, 0x7fff
                                        ; implicit-def: $vgpr19
; %bb.108:
	s_wait_alu 0xfffe
	s_and_not1_saveexec_b32 s9, s7
; %bb.109:
	v_and_b32_e32 v18, 0xffff, v19
	v_or_b32_e32 v20, 0x10000, v19
	s_delay_alu instid0(VALU_DEP_2) | instskip(SKIP_1) | instid1(VALU_DEP_1)
	v_cmp_eq_u32_e64 s7, 0, v18
	s_wait_alu 0xf1ff
	v_cndmask_b32_e64 v18, v20, v19, s7
; %bb.110:
	s_wait_alu 0xfffe
	s_or_b32 exec_lo, exec_lo, s9
	v_lshlrev_b32_e32 v19, 16, v48
	s_delay_alu instid0(VALU_DEP_1) | instskip(NEXT) | instid1(VALU_DEP_1)
	v_add_f32_e32 v20, 0, v19
	v_and_b32_e32 v19, 0x7f800000, v20
	s_delay_alu instid0(VALU_DEP_1)
	v_cmp_ne_u32_e64 s7, 0x7f800000, v19
                                        ; implicit-def: $vgpr19
	s_and_saveexec_b32 s9, s7
	s_wait_alu 0xfffe
	s_xor_b32 s7, exec_lo, s9
; %bb.111:
	v_bfe_u32 v19, v20, 16, 1
	s_delay_alu instid0(VALU_DEP_1)
	v_add3_u32 v19, v20, v19, 0x7fff
                                        ; implicit-def: $vgpr20
; %bb.112:
	s_wait_alu 0xfffe
	s_and_not1_saveexec_b32 s9, s7
; %bb.113:
	v_and_b32_e32 v19, 0xffff, v20
	v_or_b32_e32 v21, 0x10000, v20
	s_delay_alu instid0(VALU_DEP_2) | instskip(SKIP_1) | instid1(VALU_DEP_1)
	v_cmp_eq_u32_e64 s7, 0, v19
	s_wait_alu 0xf1ff
	v_cndmask_b32_e64 v19, v21, v20, s7
; %bb.114:
	s_wait_alu 0xfffe
	s_or_b32 exec_lo, exec_lo, s9
	v_cmp_lt_i32_e64 s7, -1, v18
	s_delay_alu instid0(VALU_DEP_2)
	v_perm_b32 v18, v19, v18, 0x7060302
	v_mov_b32_e32 v27, v29
	s_mov_b32 s9, exec_lo
	v_mov_b32_e32 v28, v30
	s_wait_alu 0xf1ff
	v_cndmask_b32_e64 v20, -1, 0xffff8000, s7
	v_cmp_lt_i32_e64 s7, -1, v19
	s_wait_alu 0xf1ff
	s_delay_alu instid0(VALU_DEP_1) | instskip(NEXT) | instid1(VALU_DEP_1)
	v_cndmask_b32_e64 v21, -1, 0xffff8000, s7
	v_perm_b32 v19, v21, v20, 0x5040100
	s_delay_alu instid0(VALU_DEP_1) | instskip(SKIP_1) | instid1(VALU_DEP_2)
	v_xor_b32_e32 v18, v19, v18
	v_mov_b32_e32 v19, v17
	v_lshrrev_b32_e32 v20, 16, v18
	s_delay_alu instid0(VALU_DEP_1)
	v_cmpx_gt_u16_e64 v18, v20
; %bb.115:
	v_dual_mov_b32 v19, v48 :: v_dual_mov_b32 v48, v17
	v_dual_mov_b32 v28, v26 :: v_dual_mov_b32 v27, v25
	;; [unrolled: 1-line block ×3, first 2 shown]
; %bb.116:
	s_wait_alu 0xfffe
	s_or_b32 exec_lo, exec_lo, s9
	v_lshlrev_b32_e32 v17, 16, v50
	s_delay_alu instid0(VALU_DEP_1) | instskip(NEXT) | instid1(VALU_DEP_1)
	v_add_f32_e32 v18, 0, v17
	v_and_b32_e32 v17, 0x7f800000, v18
	s_delay_alu instid0(VALU_DEP_1)
	v_cmp_ne_u32_e64 s7, 0x7f800000, v17
                                        ; implicit-def: $vgpr17
	s_and_saveexec_b32 s9, s7
	s_wait_alu 0xfffe
	s_xor_b32 s7, exec_lo, s9
; %bb.117:
	v_bfe_u32 v17, v18, 16, 1
	s_delay_alu instid0(VALU_DEP_1)
	v_add3_u32 v17, v18, v17, 0x7fff
                                        ; implicit-def: $vgpr18
; %bb.118:
	s_wait_alu 0xfffe
	s_and_not1_saveexec_b32 s9, s7
; %bb.119:
	v_and_b32_e32 v17, 0xffff, v18
	v_or_b32_e32 v20, 0x10000, v18
	s_delay_alu instid0(VALU_DEP_2) | instskip(SKIP_1) | instid1(VALU_DEP_1)
	v_cmp_eq_u32_e64 s7, 0, v17
	s_wait_alu 0xf1ff
	v_cndmask_b32_e64 v17, v20, v18, s7
; %bb.120:
	s_wait_alu 0xfffe
	s_or_b32 exec_lo, exec_lo, s9
	v_lshlrev_b32_e32 v18, 16, v51
	s_delay_alu instid0(VALU_DEP_1) | instskip(NEXT) | instid1(VALU_DEP_1)
	v_add_f32_e32 v20, 0, v18
	v_and_b32_e32 v18, 0x7f800000, v20
	s_delay_alu instid0(VALU_DEP_1)
	v_cmp_ne_u32_e64 s7, 0x7f800000, v18
                                        ; implicit-def: $vgpr18
	s_and_saveexec_b32 s9, s7
	s_wait_alu 0xfffe
	s_xor_b32 s7, exec_lo, s9
; %bb.121:
	v_bfe_u32 v18, v20, 16, 1
	s_delay_alu instid0(VALU_DEP_1)
	v_add3_u32 v18, v20, v18, 0x7fff
                                        ; implicit-def: $vgpr20
; %bb.122:
	s_wait_alu 0xfffe
	s_and_not1_saveexec_b32 s9, s7
; %bb.123:
	v_and_b32_e32 v18, 0xffff, v20
	v_or_b32_e32 v21, 0x10000, v20
	s_delay_alu instid0(VALU_DEP_2) | instskip(SKIP_1) | instid1(VALU_DEP_1)
	v_cmp_eq_u32_e64 s7, 0, v18
	s_wait_alu 0xf1ff
	v_cndmask_b32_e64 v18, v21, v20, s7
; %bb.124:
	s_wait_alu 0xfffe
	s_or_b32 exec_lo, exec_lo, s9
	v_cmp_lt_i32_e64 s7, -1, v17
	s_delay_alu instid0(VALU_DEP_2)
	v_perm_b32 v17, v18, v17, 0x7060302
	v_mov_b32_e32 v52, v51
	s_mov_b32 s9, exec_lo
	s_wait_alu 0xf1ff
	v_cndmask_b32_e64 v20, -1, 0xffff8000, s7
	v_cmp_lt_i32_e64 s7, -1, v18
	s_wait_alu 0xf1ff
	s_delay_alu instid0(VALU_DEP_1) | instskip(NEXT) | instid1(VALU_DEP_1)
	v_cndmask_b32_e64 v21, -1, 0xffff8000, s7
	v_perm_b32 v18, v21, v20, 0x5040100
	s_delay_alu instid0(VALU_DEP_1) | instskip(SKIP_1) | instid1(VALU_DEP_2)
	v_xor_b32_e32 v20, v18, v17
	v_dual_mov_b32 v18, v9 :: v_dual_mov_b32 v17, v8
	v_lshrrev_b32_e32 v21, 16, v20
	s_delay_alu instid0(VALU_DEP_1)
	v_cmpx_gt_u16_e64 v20, v21
; %bb.125:
	v_dual_mov_b32 v17, v23 :: v_dual_mov_b32 v18, v24
	v_dual_mov_b32 v24, v9 :: v_dual_mov_b32 v23, v8
	v_mov_b32_e32 v52, v50
	v_mov_b32_e32 v50, v51
; %bb.126:
	s_wait_alu 0xfffe
	s_or_b32 exec_lo, exec_lo, s9
	v_lshlrev_b32_e32 v8, 16, v38
	s_delay_alu instid0(VALU_DEP_1) | instskip(NEXT) | instid1(VALU_DEP_1)
	v_add_f32_e32 v9, 0, v8
	v_and_b32_e32 v8, 0x7f800000, v9
	s_delay_alu instid0(VALU_DEP_1)
	v_cmp_ne_u32_e64 s7, 0x7f800000, v8
                                        ; implicit-def: $vgpr8
	s_and_saveexec_b32 s9, s7
	s_wait_alu 0xfffe
	s_xor_b32 s7, exec_lo, s9
; %bb.127:
	v_bfe_u32 v8, v9, 16, 1
	s_delay_alu instid0(VALU_DEP_1)
	v_add3_u32 v8, v9, v8, 0x7fff
                                        ; implicit-def: $vgpr9
; %bb.128:
	s_wait_alu 0xfffe
	s_and_not1_saveexec_b32 s9, s7
; %bb.129:
	v_and_b32_e32 v8, 0xffff, v9
	v_or_b32_e32 v20, 0x10000, v9
	s_delay_alu instid0(VALU_DEP_2) | instskip(SKIP_1) | instid1(VALU_DEP_1)
	v_cmp_eq_u32_e64 s7, 0, v8
	s_wait_alu 0xf1ff
	v_cndmask_b32_e64 v8, v20, v9, s7
; %bb.130:
	s_wait_alu 0xfffe
	s_or_b32 exec_lo, exec_lo, s9
	v_lshlrev_b32_e32 v9, 16, v49
	s_delay_alu instid0(VALU_DEP_1) | instskip(NEXT) | instid1(VALU_DEP_1)
	v_add_f32_e32 v20, 0, v9
	v_and_b32_e32 v9, 0x7f800000, v20
	s_delay_alu instid0(VALU_DEP_1)
	v_cmp_ne_u32_e64 s7, 0x7f800000, v9
                                        ; implicit-def: $vgpr9
	s_and_saveexec_b32 s9, s7
	s_wait_alu 0xfffe
	s_xor_b32 s7, exec_lo, s9
; %bb.131:
	v_bfe_u32 v9, v20, 16, 1
	s_delay_alu instid0(VALU_DEP_1)
	v_add3_u32 v9, v20, v9, 0x7fff
                                        ; implicit-def: $vgpr20
; %bb.132:
	s_wait_alu 0xfffe
	s_and_not1_saveexec_b32 s9, s7
; %bb.133:
	v_and_b32_e32 v9, 0xffff, v20
	v_or_b32_e32 v21, 0x10000, v20
	s_delay_alu instid0(VALU_DEP_2) | instskip(SKIP_1) | instid1(VALU_DEP_1)
	v_cmp_eq_u32_e64 s7, 0, v9
	s_wait_alu 0xf1ff
	v_cndmask_b32_e64 v9, v21, v20, s7
; %bb.134:
	s_wait_alu 0xfffe
	s_or_b32 exec_lo, exec_lo, s9
	v_cmp_lt_i32_e64 s7, -1, v8
	s_delay_alu instid0(VALU_DEP_2)
	v_perm_b32 v8, v9, v8, 0x7060302
	v_mov_b32_e32 v51, v49
	s_mov_b32 s9, exec_lo
	s_wait_alu 0xf1ff
	v_cndmask_b32_e64 v20, -1, 0xffff8000, s7
	v_cmp_lt_i32_e64 s7, -1, v9
	s_wait_alu 0xf1ff
	s_delay_alu instid0(VALU_DEP_1) | instskip(NEXT) | instid1(VALU_DEP_1)
	v_cndmask_b32_e64 v21, -1, 0xffff8000, s7
	v_perm_b32 v9, v21, v20, 0x5040100
	s_delay_alu instid0(VALU_DEP_1) | instskip(SKIP_1) | instid1(VALU_DEP_2)
	v_xor_b32_e32 v20, v9, v8
	v_dual_mov_b32 v8, v13 :: v_dual_mov_b32 v9, v14
	v_lshrrev_b32_e32 v21, 16, v20
	s_delay_alu instid0(VALU_DEP_1)
	v_cmpx_gt_u16_e64 v20, v21
; %bb.135:
	v_dual_mov_b32 v8, v15 :: v_dual_mov_b32 v9, v16
	v_dual_mov_b32 v16, v14 :: v_dual_mov_b32 v15, v13
	;; [unrolled: 1-line block ×3, first 2 shown]
; %bb.136:
	s_wait_alu 0xfffe
	s_or_b32 exec_lo, exec_lo, s9
	v_lshlrev_b32_e32 v13, 16, v48
	s_delay_alu instid0(VALU_DEP_1) | instskip(NEXT) | instid1(VALU_DEP_1)
	v_add_f32_e32 v14, 0, v13
	v_and_b32_e32 v13, 0x7f800000, v14
	s_delay_alu instid0(VALU_DEP_1)
	v_cmp_ne_u32_e64 s7, 0x7f800000, v13
                                        ; implicit-def: $vgpr13
	s_and_saveexec_b32 s9, s7
	s_wait_alu 0xfffe
	s_xor_b32 s7, exec_lo, s9
; %bb.137:
	v_bfe_u32 v13, v14, 16, 1
	s_delay_alu instid0(VALU_DEP_1)
	v_add3_u32 v13, v14, v13, 0x7fff
                                        ; implicit-def: $vgpr14
; %bb.138:
	s_wait_alu 0xfffe
	s_and_not1_saveexec_b32 s9, s7
; %bb.139:
	v_and_b32_e32 v13, 0xffff, v14
	v_or_b32_e32 v20, 0x10000, v14
	s_delay_alu instid0(VALU_DEP_2) | instskip(SKIP_1) | instid1(VALU_DEP_1)
	v_cmp_eq_u32_e64 s7, 0, v13
	s_wait_alu 0xf1ff
	v_cndmask_b32_e64 v13, v20, v14, s7
; %bb.140:
	s_wait_alu 0xfffe
	s_or_b32 exec_lo, exec_lo, s9
	v_lshlrev_b32_e32 v14, 16, v39
	s_delay_alu instid0(VALU_DEP_1) | instskip(NEXT) | instid1(VALU_DEP_1)
	v_add_f32_e32 v20, 0, v14
	v_and_b32_e32 v14, 0x7f800000, v20
	s_delay_alu instid0(VALU_DEP_1)
	v_cmp_ne_u32_e64 s7, 0x7f800000, v14
                                        ; implicit-def: $vgpr14
	s_and_saveexec_b32 s9, s7
	s_wait_alu 0xfffe
	s_xor_b32 s7, exec_lo, s9
; %bb.141:
	v_bfe_u32 v14, v20, 16, 1
	s_delay_alu instid0(VALU_DEP_1)
	v_add3_u32 v14, v20, v14, 0x7fff
                                        ; implicit-def: $vgpr20
; %bb.142:
	s_wait_alu 0xfffe
	s_and_not1_saveexec_b32 s9, s7
; %bb.143:
	v_and_b32_e32 v14, 0xffff, v20
	v_or_b32_e32 v21, 0x10000, v20
	s_delay_alu instid0(VALU_DEP_2) | instskip(SKIP_1) | instid1(VALU_DEP_1)
	v_cmp_eq_u32_e64 s7, 0, v14
	s_wait_alu 0xf1ff
	v_cndmask_b32_e64 v14, v21, v20, s7
; %bb.144:
	s_wait_alu 0xfffe
	s_or_b32 exec_lo, exec_lo, s9
	v_cmp_lt_i32_e64 s7, -1, v13
	s_delay_alu instid0(VALU_DEP_2)
	v_perm_b32 v13, v14, v13, 0x7060302
	v_dual_mov_b32 v49, v48 :: v_dual_mov_b32 v30, v26
	v_mov_b32_e32 v29, v25
	s_wait_alu 0xf1ff
	v_cndmask_b32_e64 v20, -1, 0xffff8000, s7
	v_cmp_lt_i32_e64 s7, -1, v14
	s_mov_b32 s9, exec_lo
	s_wait_alu 0xf1ff
	v_cndmask_b32_e64 v21, -1, 0xffff8000, s7
	s_delay_alu instid0(VALU_DEP_1) | instskip(NEXT) | instid1(VALU_DEP_1)
	v_perm_b32 v14, v21, v20, 0x5040100
	v_xor_b32_e32 v13, v14, v13
	s_delay_alu instid0(VALU_DEP_1) | instskip(NEXT) | instid1(VALU_DEP_1)
	v_lshrrev_b32_e32 v14, 16, v13
	v_cmpx_gt_u16_e64 v13, v14
; %bb.145:
	v_mov_b32_e32 v29, v31
	v_dual_mov_b32 v49, v39 :: v_dual_mov_b32 v30, v32
	v_dual_mov_b32 v39, v48 :: v_dual_mov_b32 v32, v26
	v_mov_b32_e32 v31, v25
; %bb.146:
	s_wait_alu 0xfffe
	s_or_b32 exec_lo, exec_lo, s9
	v_lshlrev_b32_e32 v13, 16, v52
	s_delay_alu instid0(VALU_DEP_1) | instskip(NEXT) | instid1(VALU_DEP_1)
	v_add_f32_e32 v14, 0, v13
	v_and_b32_e32 v13, 0x7f800000, v14
	s_delay_alu instid0(VALU_DEP_1)
	v_cmp_ne_u32_e64 s7, 0x7f800000, v13
                                        ; implicit-def: $vgpr13
	s_and_saveexec_b32 s9, s7
	s_wait_alu 0xfffe
	s_xor_b32 s7, exec_lo, s9
; %bb.147:
	v_bfe_u32 v13, v14, 16, 1
	s_delay_alu instid0(VALU_DEP_1)
	v_add3_u32 v13, v14, v13, 0x7fff
                                        ; implicit-def: $vgpr14
; %bb.148:
	s_wait_alu 0xfffe
	s_and_not1_saveexec_b32 s9, s7
; %bb.149:
	v_and_b32_e32 v13, 0xffff, v14
	v_or_b32_e32 v20, 0x10000, v14
	s_delay_alu instid0(VALU_DEP_2) | instskip(SKIP_1) | instid1(VALU_DEP_1)
	v_cmp_eq_u32_e64 s7, 0, v13
	s_wait_alu 0xf1ff
	v_cndmask_b32_e64 v13, v20, v14, s7
; %bb.150:
	s_wait_alu 0xfffe
	s_or_b32 exec_lo, exec_lo, s9
	v_lshlrev_b32_e32 v14, 16, v19
	s_delay_alu instid0(VALU_DEP_1) | instskip(NEXT) | instid1(VALU_DEP_1)
	v_add_f32_e32 v20, 0, v14
	v_and_b32_e32 v14, 0x7f800000, v20
	s_delay_alu instid0(VALU_DEP_1)
	v_cmp_ne_u32_e64 s7, 0x7f800000, v14
                                        ; implicit-def: $vgpr14
	s_and_saveexec_b32 s9, s7
	s_wait_alu 0xfffe
	s_xor_b32 s7, exec_lo, s9
; %bb.151:
	v_bfe_u32 v14, v20, 16, 1
	s_delay_alu instid0(VALU_DEP_1)
	v_add3_u32 v14, v20, v14, 0x7fff
                                        ; implicit-def: $vgpr20
; %bb.152:
	s_wait_alu 0xfffe
	s_and_not1_saveexec_b32 s9, s7
; %bb.153:
	v_and_b32_e32 v14, 0xffff, v20
	v_or_b32_e32 v21, 0x10000, v20
	s_delay_alu instid0(VALU_DEP_2) | instskip(SKIP_1) | instid1(VALU_DEP_1)
	v_cmp_eq_u32_e64 s7, 0, v14
	s_wait_alu 0xf1ff
	v_cndmask_b32_e64 v14, v21, v20, s7
; %bb.154:
	s_wait_alu 0xfffe
	s_or_b32 exec_lo, exec_lo, s9
	v_cmp_lt_i32_e64 s7, -1, v13
	s_delay_alu instid0(VALU_DEP_2)
	v_perm_b32 v13, v14, v13, 0x7060302
	s_mov_b32 s9, exec_lo
	s_wait_alu 0xf1ff
	v_cndmask_b32_e64 v20, -1, 0xffff8000, s7
	v_cmp_lt_i32_e64 s7, -1, v14
	s_wait_alu 0xf1ff
	s_delay_alu instid0(VALU_DEP_1) | instskip(NEXT) | instid1(VALU_DEP_1)
	v_cndmask_b32_e64 v21, -1, 0xffff8000, s7
	v_perm_b32 v14, v21, v20, 0x5040100
	v_dual_mov_b32 v21, v23 :: v_dual_mov_b32 v22, v24
	s_delay_alu instid0(VALU_DEP_2) | instskip(SKIP_1) | instid1(VALU_DEP_2)
	v_xor_b32_e32 v14, v14, v13
	v_mov_b32_e32 v13, v19
	v_lshrrev_b32_e32 v20, 16, v14
	s_delay_alu instid0(VALU_DEP_1)
	v_cmpx_gt_u16_e64 v14, v20
; %bb.155:
	v_mov_b32_e32 v21, v27
	v_dual_mov_b32 v13, v52 :: v_dual_mov_b32 v22, v28
	v_dual_mov_b32 v28, v24 :: v_dual_mov_b32 v27, v23
	v_mov_b32_e32 v52, v19
; %bb.156:
	s_wait_alu 0xfffe
	s_or_b32 exec_lo, exec_lo, s9
	v_lshlrev_b32_e32 v14, 16, v51
	s_delay_alu instid0(VALU_DEP_1) | instskip(NEXT) | instid1(VALU_DEP_1)
	v_add_f32_e32 v19, 0, v14
	v_and_b32_e32 v14, 0x7f800000, v19
	s_delay_alu instid0(VALU_DEP_1)
	v_cmp_ne_u32_e64 s7, 0x7f800000, v14
                                        ; implicit-def: $vgpr14
	s_and_saveexec_b32 s9, s7
	s_wait_alu 0xfffe
	s_xor_b32 s7, exec_lo, s9
; %bb.157:
	v_bfe_u32 v14, v19, 16, 1
	s_delay_alu instid0(VALU_DEP_1)
	v_add3_u32 v14, v19, v14, 0x7fff
                                        ; implicit-def: $vgpr19
; %bb.158:
	s_wait_alu 0xfffe
	s_and_not1_saveexec_b32 s9, s7
; %bb.159:
	v_and_b32_e32 v14, 0xffff, v19
	v_or_b32_e32 v20, 0x10000, v19
	s_delay_alu instid0(VALU_DEP_2) | instskip(SKIP_1) | instid1(VALU_DEP_1)
	v_cmp_eq_u32_e64 s7, 0, v14
	s_wait_alu 0xf1ff
	v_cndmask_b32_e64 v14, v20, v19, s7
; %bb.160:
	s_wait_alu 0xfffe
	s_or_b32 exec_lo, exec_lo, s9
	v_lshlrev_b32_e32 v19, 16, v50
	s_delay_alu instid0(VALU_DEP_1) | instskip(NEXT) | instid1(VALU_DEP_1)
	v_add_f32_e32 v20, 0, v19
	v_and_b32_e32 v19, 0x7f800000, v20
	s_delay_alu instid0(VALU_DEP_1)
	v_cmp_ne_u32_e64 s7, 0x7f800000, v19
                                        ; implicit-def: $vgpr19
	s_and_saveexec_b32 s9, s7
	s_wait_alu 0xfffe
	s_xor_b32 s7, exec_lo, s9
; %bb.161:
	v_bfe_u32 v19, v20, 16, 1
	s_delay_alu instid0(VALU_DEP_1)
	v_add3_u32 v19, v20, v19, 0x7fff
                                        ; implicit-def: $vgpr20
; %bb.162:
	s_wait_alu 0xfffe
	s_and_not1_saveexec_b32 s9, s7
; %bb.163:
	v_and_b32_e32 v19, 0xffff, v20
	v_or_b32_e32 v23, 0x10000, v20
	s_delay_alu instid0(VALU_DEP_2) | instskip(SKIP_1) | instid1(VALU_DEP_1)
	v_cmp_eq_u32_e64 s7, 0, v19
	s_wait_alu 0xf1ff
	v_cndmask_b32_e64 v19, v23, v20, s7
; %bb.164:
	s_wait_alu 0xfffe
	s_or_b32 exec_lo, exec_lo, s9
	v_cmp_lt_i32_e64 s7, -1, v14
	s_delay_alu instid0(VALU_DEP_2)
	v_perm_b32 v14, v19, v14, 0x7060302
	v_mov_b32_e32 v48, v50
	s_mov_b32 s9, exec_lo
	s_wait_alu 0xf1ff
	v_cndmask_b32_e64 v20, -1, 0xffff8000, s7
	v_cmp_lt_i32_e64 s7, -1, v19
	s_wait_alu 0xf1ff
	s_delay_alu instid0(VALU_DEP_1) | instskip(NEXT) | instid1(VALU_DEP_1)
	v_cndmask_b32_e64 v23, -1, 0xffff8000, s7
	v_perm_b32 v19, v23, v20, 0x5040100
	s_delay_alu instid0(VALU_DEP_1) | instskip(SKIP_1) | instid1(VALU_DEP_2)
	v_xor_b32_e32 v14, v19, v14
	v_dual_mov_b32 v20, v16 :: v_dual_mov_b32 v19, v15
	v_lshrrev_b32_e32 v23, 16, v14
	s_delay_alu instid0(VALU_DEP_1)
	v_cmpx_gt_u16_e64 v14, v23
; %bb.165:
	v_dual_mov_b32 v20, v18 :: v_dual_mov_b32 v19, v17
	v_dual_mov_b32 v18, v16 :: v_dual_mov_b32 v17, v15
	;; [unrolled: 1-line block ×3, first 2 shown]
; %bb.166:
	s_wait_alu 0xfffe
	s_or_b32 exec_lo, exec_lo, s9
	v_lshlrev_b32_e32 v14, 16, v39
	s_delay_alu instid0(VALU_DEP_1) | instskip(NEXT) | instid1(VALU_DEP_1)
	v_add_f32_e32 v15, 0, v14
	v_and_b32_e32 v14, 0x7f800000, v15
	s_delay_alu instid0(VALU_DEP_1)
	v_cmp_ne_u32_e64 s7, 0x7f800000, v14
                                        ; implicit-def: $vgpr14
	s_and_saveexec_b32 s9, s7
	s_wait_alu 0xfffe
	s_xor_b32 s7, exec_lo, s9
; %bb.167:
	v_bfe_u32 v14, v15, 16, 1
	s_delay_alu instid0(VALU_DEP_1)
	v_add3_u32 v14, v15, v14, 0x7fff
                                        ; implicit-def: $vgpr15
; %bb.168:
	s_wait_alu 0xfffe
	s_and_not1_saveexec_b32 s9, s7
; %bb.169:
	v_and_b32_e32 v14, 0xffff, v15
	v_or_b32_e32 v16, 0x10000, v15
	s_delay_alu instid0(VALU_DEP_2) | instskip(SKIP_1) | instid1(VALU_DEP_1)
	v_cmp_eq_u32_e64 s7, 0, v14
	s_wait_alu 0xf1ff
	v_cndmask_b32_e64 v14, v16, v15, s7
; %bb.170:
	s_wait_alu 0xfffe
	s_or_b32 exec_lo, exec_lo, s9
	v_lshlrev_b32_e32 v15, 16, v37
	s_delay_alu instid0(VALU_DEP_1) | instskip(NEXT) | instid1(VALU_DEP_1)
	v_add_f32_e32 v16, 0, v15
	v_and_b32_e32 v15, 0x7f800000, v16
	s_delay_alu instid0(VALU_DEP_1)
	v_cmp_ne_u32_e64 s7, 0x7f800000, v15
                                        ; implicit-def: $vgpr15
	s_and_saveexec_b32 s9, s7
	s_wait_alu 0xfffe
	s_xor_b32 s7, exec_lo, s9
; %bb.171:
	v_bfe_u32 v15, v16, 16, 1
	s_delay_alu instid0(VALU_DEP_1)
	v_add3_u32 v15, v16, v15, 0x7fff
                                        ; implicit-def: $vgpr16
; %bb.172:
	s_wait_alu 0xfffe
	s_and_not1_saveexec_b32 s9, s7
; %bb.173:
	v_and_b32_e32 v15, 0xffff, v16
	v_or_b32_e32 v23, 0x10000, v16
	s_delay_alu instid0(VALU_DEP_2) | instskip(SKIP_1) | instid1(VALU_DEP_1)
	v_cmp_eq_u32_e64 s7, 0, v15
	s_wait_alu 0xf1ff
	v_cndmask_b32_e64 v15, v23, v16, s7
; %bb.174:
	s_wait_alu 0xfffe
	s_or_b32 exec_lo, exec_lo, s9
	v_cmp_lt_i32_e64 s7, -1, v14
	s_delay_alu instid0(VALU_DEP_2)
	v_perm_b32 v14, v15, v14, 0x7060302
	v_dual_mov_b32 v50, v39 :: v_dual_mov_b32 v25, v31
	v_mov_b32_e32 v26, v32
	s_wait_alu 0xf1ff
	v_cndmask_b32_e64 v16, -1, 0xffff8000, s7
	v_cmp_lt_i32_e64 s7, -1, v15
	s_mov_b32 s9, exec_lo
	s_wait_alu 0xf1ff
	v_cndmask_b32_e64 v23, -1, 0xffff8000, s7
	s_delay_alu instid0(VALU_DEP_1) | instskip(NEXT) | instid1(VALU_DEP_1)
	v_perm_b32 v15, v23, v16, 0x5040100
	v_xor_b32_e32 v14, v15, v14
	s_delay_alu instid0(VALU_DEP_1) | instskip(NEXT) | instid1(VALU_DEP_1)
	v_lshrrev_b32_e32 v15, 16, v14
	v_cmpx_gt_u16_e64 v14, v15
; %bb.175:
	v_dual_mov_b32 v50, v37 :: v_dual_mov_b32 v37, v39
	v_dual_mov_b32 v26, v5 :: v_dual_mov_b32 v25, v4
	;; [unrolled: 1-line block ×3, first 2 shown]
; %bb.176:
	s_wait_alu 0xfffe
	s_or_b32 exec_lo, exec_lo, s9
	v_lshlrev_b32_e32 v14, 16, v13
	s_delay_alu instid0(VALU_DEP_1) | instskip(NEXT) | instid1(VALU_DEP_1)
	v_add_f32_e32 v15, 0, v14
	v_and_b32_e32 v14, 0x7f800000, v15
	s_delay_alu instid0(VALU_DEP_1)
	v_cmp_ne_u32_e64 s7, 0x7f800000, v14
                                        ; implicit-def: $vgpr14
	s_and_saveexec_b32 s9, s7
	s_wait_alu 0xfffe
	s_xor_b32 s7, exec_lo, s9
; %bb.177:
	v_bfe_u32 v14, v15, 16, 1
	s_delay_alu instid0(VALU_DEP_1)
	v_add3_u32 v14, v15, v14, 0x7fff
                                        ; implicit-def: $vgpr15
; %bb.178:
	s_wait_alu 0xfffe
	s_and_not1_saveexec_b32 s9, s7
; %bb.179:
	v_and_b32_e32 v14, 0xffff, v15
	v_or_b32_e32 v16, 0x10000, v15
	s_delay_alu instid0(VALU_DEP_2) | instskip(SKIP_1) | instid1(VALU_DEP_1)
	v_cmp_eq_u32_e64 s7, 0, v14
	s_wait_alu 0xf1ff
	v_cndmask_b32_e64 v14, v16, v15, s7
; %bb.180:
	s_wait_alu 0xfffe
	s_or_b32 exec_lo, exec_lo, s9
	v_lshlrev_b32_e32 v15, 16, v49
	s_delay_alu instid0(VALU_DEP_1) | instskip(NEXT) | instid1(VALU_DEP_1)
	v_add_f32_e32 v16, 0, v15
	v_and_b32_e32 v15, 0x7f800000, v16
	s_delay_alu instid0(VALU_DEP_1)
	v_cmp_ne_u32_e64 s7, 0x7f800000, v15
                                        ; implicit-def: $vgpr15
	s_and_saveexec_b32 s9, s7
	s_wait_alu 0xfffe
	s_xor_b32 s7, exec_lo, s9
; %bb.181:
	v_bfe_u32 v15, v16, 16, 1
	s_delay_alu instid0(VALU_DEP_1)
	v_add3_u32 v15, v16, v15, 0x7fff
                                        ; implicit-def: $vgpr16
; %bb.182:
	s_wait_alu 0xfffe
	s_and_not1_saveexec_b32 s9, s7
; %bb.183:
	v_and_b32_e32 v15, 0xffff, v16
	v_or_b32_e32 v23, 0x10000, v16
	s_delay_alu instid0(VALU_DEP_2) | instskip(SKIP_1) | instid1(VALU_DEP_1)
	v_cmp_eq_u32_e64 s7, 0, v15
	s_wait_alu 0xf1ff
	v_cndmask_b32_e64 v15, v23, v16, s7
; %bb.184:
	s_wait_alu 0xfffe
	s_or_b32 exec_lo, exec_lo, s9
	v_cmp_lt_i32_e64 s7, -1, v14
	s_delay_alu instid0(VALU_DEP_2)
	v_perm_b32 v14, v15, v14, 0x7060302
	v_dual_mov_b32 v39, v13 :: v_dual_mov_b32 v32, v28
	v_mov_b32_e32 v31, v27
	s_wait_alu 0xf1ff
	v_cndmask_b32_e64 v16, -1, 0xffff8000, s7
	v_cmp_lt_i32_e64 s7, -1, v15
	s_mov_b32 s9, exec_lo
	s_wait_alu 0xf1ff
	v_cndmask_b32_e64 v23, -1, 0xffff8000, s7
	s_delay_alu instid0(VALU_DEP_1) | instskip(NEXT) | instid1(VALU_DEP_1)
	v_perm_b32 v15, v23, v16, 0x5040100
	v_xor_b32_e32 v14, v15, v14
	s_delay_alu instid0(VALU_DEP_1) | instskip(NEXT) | instid1(VALU_DEP_1)
	v_lshrrev_b32_e32 v15, 16, v14
	v_cmpx_gt_u16_e64 v14, v15
; %bb.185:
	v_dual_mov_b32 v39, v49 :: v_dual_mov_b32 v32, v30
	v_mov_b32_e32 v49, v13
	v_dual_mov_b32 v31, v29 :: v_dual_mov_b32 v30, v28
	v_mov_b32_e32 v29, v27
; %bb.186:
	s_wait_alu 0xfffe
	s_or_b32 exec_lo, exec_lo, s9
	v_lshlrev_b32_e32 v13, 16, v48
	s_delay_alu instid0(VALU_DEP_1) | instskip(NEXT) | instid1(VALU_DEP_1)
	v_add_f32_e32 v14, 0, v13
	v_and_b32_e32 v13, 0x7f800000, v14
	s_delay_alu instid0(VALU_DEP_1)
	v_cmp_ne_u32_e64 s7, 0x7f800000, v13
                                        ; implicit-def: $vgpr13
	s_and_saveexec_b32 s9, s7
	s_wait_alu 0xfffe
	s_xor_b32 s7, exec_lo, s9
; %bb.187:
	v_bfe_u32 v13, v14, 16, 1
	s_delay_alu instid0(VALU_DEP_1)
	v_add3_u32 v13, v14, v13, 0x7fff
                                        ; implicit-def: $vgpr14
; %bb.188:
	s_wait_alu 0xfffe
	s_and_not1_saveexec_b32 s9, s7
; %bb.189:
	v_and_b32_e32 v13, 0xffff, v14
	v_or_b32_e32 v15, 0x10000, v14
	s_delay_alu instid0(VALU_DEP_2) | instskip(SKIP_1) | instid1(VALU_DEP_1)
	v_cmp_eq_u32_e64 s7, 0, v13
	s_wait_alu 0xf1ff
	v_cndmask_b32_e64 v13, v15, v14, s7
; %bb.190:
	s_wait_alu 0xfffe
	s_or_b32 exec_lo, exec_lo, s9
	v_lshlrev_b32_e32 v14, 16, v52
	s_delay_alu instid0(VALU_DEP_1) | instskip(NEXT) | instid1(VALU_DEP_1)
	v_add_f32_e32 v15, 0, v14
	v_and_b32_e32 v14, 0x7f800000, v15
	s_delay_alu instid0(VALU_DEP_1)
	v_cmp_ne_u32_e64 s7, 0x7f800000, v14
                                        ; implicit-def: $vgpr14
	s_and_saveexec_b32 s9, s7
	s_wait_alu 0xfffe
	s_xor_b32 s7, exec_lo, s9
; %bb.191:
	v_bfe_u32 v14, v15, 16, 1
	s_delay_alu instid0(VALU_DEP_1)
	v_add3_u32 v14, v15, v14, 0x7fff
                                        ; implicit-def: $vgpr15
; %bb.192:
	s_wait_alu 0xfffe
	s_and_not1_saveexec_b32 s9, s7
; %bb.193:
	v_and_b32_e32 v14, 0xffff, v15
	v_or_b32_e32 v16, 0x10000, v15
	s_delay_alu instid0(VALU_DEP_2) | instskip(SKIP_1) | instid1(VALU_DEP_1)
	v_cmp_eq_u32_e64 s7, 0, v14
	s_wait_alu 0xf1ff
	v_cndmask_b32_e64 v14, v16, v15, s7
; %bb.194:
	s_wait_alu 0xfffe
	s_or_b32 exec_lo, exec_lo, s9
	v_cmp_lt_i32_e64 s7, -1, v13
	s_delay_alu instid0(VALU_DEP_2)
	v_perm_b32 v13, v14, v13, 0x7060302
	v_mov_b32_e32 v53, v52
	s_mov_b32 s9, exec_lo
	s_wait_alu 0xf1ff
	v_cndmask_b32_e64 v15, -1, 0xffff8000, s7
	v_cmp_lt_i32_e64 s7, -1, v14
	s_wait_alu 0xf1ff
	s_delay_alu instid0(VALU_DEP_1) | instskip(NEXT) | instid1(VALU_DEP_1)
	v_cndmask_b32_e64 v16, -1, 0xffff8000, s7
	v_perm_b32 v14, v16, v15, 0x5040100
	v_dual_mov_b32 v15, v17 :: v_dual_mov_b32 v16, v18
	s_delay_alu instid0(VALU_DEP_2) | instskip(NEXT) | instid1(VALU_DEP_1)
	v_xor_b32_e32 v13, v14, v13
	v_lshrrev_b32_e32 v14, 16, v13
	s_delay_alu instid0(VALU_DEP_1)
	v_cmpx_gt_u16_e64 v13, v14
; %bb.195:
	v_dual_mov_b32 v15, v21 :: v_dual_mov_b32 v16, v22
	v_dual_mov_b32 v22, v18 :: v_dual_mov_b32 v21, v17
	;; [unrolled: 1-line block ×3, first 2 shown]
; %bb.196:
	s_wait_alu 0xfffe
	s_or_b32 exec_lo, exec_lo, s9
	v_lshlrev_b32_e32 v13, 16, v38
	s_delay_alu instid0(VALU_DEP_1) | instskip(NEXT) | instid1(VALU_DEP_1)
	v_add_f32_e32 v14, 0, v13
	v_and_b32_e32 v13, 0x7f800000, v14
	s_delay_alu instid0(VALU_DEP_1)
	v_cmp_ne_u32_e64 s7, 0x7f800000, v13
                                        ; implicit-def: $vgpr13
	s_and_saveexec_b32 s9, s7
	s_wait_alu 0xfffe
	s_xor_b32 s7, exec_lo, s9
; %bb.197:
	v_bfe_u32 v13, v14, 16, 1
	s_delay_alu instid0(VALU_DEP_1)
	v_add3_u32 v13, v14, v13, 0x7fff
                                        ; implicit-def: $vgpr14
; %bb.198:
	s_wait_alu 0xfffe
	s_and_not1_saveexec_b32 s9, s7
; %bb.199:
	v_and_b32_e32 v13, 0xffff, v14
	v_or_b32_e32 v17, 0x10000, v14
	s_delay_alu instid0(VALU_DEP_2) | instskip(SKIP_1) | instid1(VALU_DEP_1)
	v_cmp_eq_u32_e64 s7, 0, v13
	s_wait_alu 0xf1ff
	v_cndmask_b32_e64 v13, v17, v14, s7
; %bb.200:
	s_wait_alu 0xfffe
	s_or_b32 exec_lo, exec_lo, s9
	v_lshlrev_b32_e32 v14, 16, v51
	s_delay_alu instid0(VALU_DEP_1) | instskip(NEXT) | instid1(VALU_DEP_1)
	v_add_f32_e32 v17, 0, v14
	v_and_b32_e32 v14, 0x7f800000, v17
	s_delay_alu instid0(VALU_DEP_1)
	v_cmp_ne_u32_e64 s7, 0x7f800000, v14
                                        ; implicit-def: $vgpr14
	s_and_saveexec_b32 s9, s7
	s_wait_alu 0xfffe
	s_xor_b32 s7, exec_lo, s9
; %bb.201:
	v_bfe_u32 v14, v17, 16, 1
	s_delay_alu instid0(VALU_DEP_1)
	v_add3_u32 v14, v17, v14, 0x7fff
                                        ; implicit-def: $vgpr17
; %bb.202:
	s_wait_alu 0xfffe
	s_and_not1_saveexec_b32 s9, s7
; %bb.203:
	v_and_b32_e32 v14, 0xffff, v17
	v_or_b32_e32 v18, 0x10000, v17
	s_delay_alu instid0(VALU_DEP_2) | instskip(SKIP_1) | instid1(VALU_DEP_1)
	v_cmp_eq_u32_e64 s7, 0, v14
	s_wait_alu 0xf1ff
	v_cndmask_b32_e64 v14, v18, v17, s7
; %bb.204:
	s_wait_alu 0xfffe
	s_or_b32 exec_lo, exec_lo, s9
	v_cmp_lt_i32_e64 s7, -1, v13
	s_delay_alu instid0(VALU_DEP_2)
	v_perm_b32 v13, v14, v13, 0x7060302
	v_mov_b32_e32 v52, v51
	s_mov_b32 s9, exec_lo
	s_wait_alu 0xf1ff
	v_cndmask_b32_e64 v17, -1, 0xffff8000, s7
	v_cmp_lt_i32_e64 s7, -1, v14
	s_wait_alu 0xf1ff
	s_delay_alu instid0(VALU_DEP_1) | instskip(NEXT) | instid1(VALU_DEP_1)
	v_cndmask_b32_e64 v18, -1, 0xffff8000, s7
	v_perm_b32 v14, v18, v17, 0x5040100
	s_delay_alu instid0(VALU_DEP_1) | instskip(SKIP_1) | instid1(VALU_DEP_2)
	v_xor_b32_e32 v17, v14, v13
	v_dual_mov_b32 v14, v9 :: v_dual_mov_b32 v13, v8
	v_lshrrev_b32_e32 v18, 16, v17
	s_delay_alu instid0(VALU_DEP_1)
	v_cmpx_gt_u16_e64 v17, v18
; %bb.205:
	v_dual_mov_b32 v13, v19 :: v_dual_mov_b32 v14, v20
	v_dual_mov_b32 v20, v9 :: v_dual_mov_b32 v19, v8
	v_mov_b32_e32 v52, v38
	v_mov_b32_e32 v38, v51
; %bb.206:
	s_wait_alu 0xfffe
	s_or_b32 exec_lo, exec_lo, s9
	v_lshlrev_b32_e32 v8, 16, v49
	s_delay_alu instid0(VALU_DEP_1) | instskip(NEXT) | instid1(VALU_DEP_1)
	v_add_f32_e32 v9, 0, v8
	v_and_b32_e32 v8, 0x7f800000, v9
	s_delay_alu instid0(VALU_DEP_1)
	v_cmp_ne_u32_e64 s7, 0x7f800000, v8
                                        ; implicit-def: $vgpr8
	s_and_saveexec_b32 s9, s7
	s_wait_alu 0xfffe
	s_xor_b32 s7, exec_lo, s9
; %bb.207:
	v_bfe_u32 v8, v9, 16, 1
	s_delay_alu instid0(VALU_DEP_1)
	v_add3_u32 v8, v9, v8, 0x7fff
                                        ; implicit-def: $vgpr9
; %bb.208:
	s_wait_alu 0xfffe
	s_and_not1_saveexec_b32 s9, s7
; %bb.209:
	v_and_b32_e32 v8, 0xffff, v9
	v_or_b32_e32 v17, 0x10000, v9
	s_delay_alu instid0(VALU_DEP_2) | instskip(SKIP_1) | instid1(VALU_DEP_1)
	v_cmp_eq_u32_e64 s7, 0, v8
	s_wait_alu 0xf1ff
	v_cndmask_b32_e64 v8, v17, v9, s7
; %bb.210:
	s_wait_alu 0xfffe
	s_or_b32 exec_lo, exec_lo, s9
	v_lshlrev_b32_e32 v9, 16, v50
	s_delay_alu instid0(VALU_DEP_1) | instskip(NEXT) | instid1(VALU_DEP_1)
	v_add_f32_e32 v17, 0, v9
	v_and_b32_e32 v9, 0x7f800000, v17
	s_delay_alu instid0(VALU_DEP_1)
	v_cmp_ne_u32_e64 s7, 0x7f800000, v9
                                        ; implicit-def: $vgpr9
	s_and_saveexec_b32 s9, s7
	s_wait_alu 0xfffe
	s_xor_b32 s7, exec_lo, s9
; %bb.211:
	v_bfe_u32 v9, v17, 16, 1
	s_delay_alu instid0(VALU_DEP_1)
	v_add3_u32 v9, v17, v9, 0x7fff
                                        ; implicit-def: $vgpr17
; %bb.212:
	s_wait_alu 0xfffe
	s_and_not1_saveexec_b32 s9, s7
; %bb.213:
	v_and_b32_e32 v9, 0xffff, v17
	v_or_b32_e32 v18, 0x10000, v17
	s_delay_alu instid0(VALU_DEP_2) | instskip(SKIP_1) | instid1(VALU_DEP_1)
	v_cmp_eq_u32_e64 s7, 0, v9
	s_wait_alu 0xf1ff
	v_cndmask_b32_e64 v9, v18, v17, s7
; %bb.214:
	s_wait_alu 0xfffe
	s_or_b32 exec_lo, exec_lo, s9
	v_cmp_lt_i32_e64 s7, -1, v8
	s_delay_alu instid0(VALU_DEP_2)
	v_perm_b32 v8, v9, v8, 0x7060302
	v_mov_b32_e32 v27, v29
	v_dual_mov_b32 v51, v49 :: v_dual_mov_b32 v28, v30
	s_wait_alu 0xf1ff
	v_cndmask_b32_e64 v17, -1, 0xffff8000, s7
	v_cmp_lt_i32_e64 s7, -1, v9
	s_mov_b32 s9, exec_lo
	s_wait_alu 0xf1ff
	v_cndmask_b32_e64 v18, -1, 0xffff8000, s7
	s_delay_alu instid0(VALU_DEP_1) | instskip(NEXT) | instid1(VALU_DEP_1)
	v_perm_b32 v9, v18, v17, 0x5040100
	v_xor_b32_e32 v8, v9, v8
	s_delay_alu instid0(VALU_DEP_1) | instskip(NEXT) | instid1(VALU_DEP_1)
	v_lshrrev_b32_e32 v9, 16, v8
	v_cmpx_gt_u16_e64 v8, v9
; %bb.215:
	v_dual_mov_b32 v51, v50 :: v_dual_mov_b32 v50, v49
	v_dual_mov_b32 v28, v26 :: v_dual_mov_b32 v27, v25
	;; [unrolled: 1-line block ×3, first 2 shown]
; %bb.216:
	s_wait_alu 0xfffe
	s_or_b32 exec_lo, exec_lo, s9
	v_lshlrev_b32_e32 v8, 16, v53
	s_delay_alu instid0(VALU_DEP_1) | instskip(NEXT) | instid1(VALU_DEP_1)
	v_add_f32_e32 v9, 0, v8
	v_and_b32_e32 v8, 0x7f800000, v9
	s_delay_alu instid0(VALU_DEP_1)
	v_cmp_ne_u32_e64 s7, 0x7f800000, v8
                                        ; implicit-def: $vgpr8
	s_and_saveexec_b32 s9, s7
	s_wait_alu 0xfffe
	s_xor_b32 s7, exec_lo, s9
; %bb.217:
	v_bfe_u32 v8, v9, 16, 1
	s_delay_alu instid0(VALU_DEP_1)
	v_add3_u32 v8, v9, v8, 0x7fff
                                        ; implicit-def: $vgpr9
; %bb.218:
	s_wait_alu 0xfffe
	s_and_not1_saveexec_b32 s9, s7
; %bb.219:
	v_and_b32_e32 v8, 0xffff, v9
	v_or_b32_e32 v17, 0x10000, v9
	s_delay_alu instid0(VALU_DEP_2) | instskip(SKIP_1) | instid1(VALU_DEP_1)
	v_cmp_eq_u32_e64 s7, 0, v8
	s_wait_alu 0xf1ff
	v_cndmask_b32_e64 v8, v17, v9, s7
; %bb.220:
	s_wait_alu 0xfffe
	s_or_b32 exec_lo, exec_lo, s9
	v_lshlrev_b32_e32 v9, 16, v39
	s_delay_alu instid0(VALU_DEP_1) | instskip(NEXT) | instid1(VALU_DEP_1)
	v_add_f32_e32 v17, 0, v9
	v_and_b32_e32 v9, 0x7f800000, v17
	s_delay_alu instid0(VALU_DEP_1)
	v_cmp_ne_u32_e64 s7, 0x7f800000, v9
                                        ; implicit-def: $vgpr9
	s_and_saveexec_b32 s9, s7
	s_wait_alu 0xfffe
	s_xor_b32 s7, exec_lo, s9
; %bb.221:
	v_bfe_u32 v9, v17, 16, 1
	s_delay_alu instid0(VALU_DEP_1)
	v_add3_u32 v9, v17, v9, 0x7fff
                                        ; implicit-def: $vgpr17
; %bb.222:
	s_wait_alu 0xfffe
	s_and_not1_saveexec_b32 s9, s7
; %bb.223:
	v_and_b32_e32 v9, 0xffff, v17
	v_or_b32_e32 v18, 0x10000, v17
	s_delay_alu instid0(VALU_DEP_2) | instskip(SKIP_1) | instid1(VALU_DEP_1)
	v_cmp_eq_u32_e64 s7, 0, v9
	s_wait_alu 0xf1ff
	v_cndmask_b32_e64 v9, v18, v17, s7
; %bb.224:
	s_wait_alu 0xfffe
	s_or_b32 exec_lo, exec_lo, s9
	v_cmp_lt_i32_e64 s7, -1, v8
	s_delay_alu instid0(VALU_DEP_2)
	v_perm_b32 v8, v9, v8, 0x7060302
	v_dual_mov_b32 v29, v39 :: v_dual_mov_b32 v24, v22
	v_mov_b32_e32 v23, v21
	s_wait_alu 0xf1ff
	v_cndmask_b32_e64 v17, -1, 0xffff8000, s7
	v_cmp_lt_i32_e64 s7, -1, v9
	s_mov_b32 s9, exec_lo
	s_wait_alu 0xf1ff
	v_cndmask_b32_e64 v18, -1, 0xffff8000, s7
	s_delay_alu instid0(VALU_DEP_1) | instskip(NEXT) | instid1(VALU_DEP_1)
	v_perm_b32 v9, v18, v17, 0x5040100
	v_xor_b32_e32 v8, v9, v8
	s_delay_alu instid0(VALU_DEP_1) | instskip(NEXT) | instid1(VALU_DEP_1)
	v_lshrrev_b32_e32 v9, 16, v8
	v_cmpx_gt_u16_e64 v8, v9
; %bb.225:
	v_mov_b32_e32 v23, v31
	v_dual_mov_b32 v29, v53 :: v_dual_mov_b32 v24, v32
	v_dual_mov_b32 v32, v22 :: v_dual_mov_b32 v31, v21
	v_mov_b32_e32 v53, v39
; %bb.226:
	s_wait_alu 0xfffe
	s_or_b32 exec_lo, exec_lo, s9
	v_lshlrev_b32_e32 v8, 16, v52
	s_delay_alu instid0(VALU_DEP_1) | instskip(NEXT) | instid1(VALU_DEP_1)
	v_add_f32_e32 v9, 0, v8
	v_and_b32_e32 v8, 0x7f800000, v9
	s_delay_alu instid0(VALU_DEP_1)
	v_cmp_ne_u32_e64 s7, 0x7f800000, v8
                                        ; implicit-def: $vgpr8
	s_and_saveexec_b32 s9, s7
	s_wait_alu 0xfffe
	s_xor_b32 s7, exec_lo, s9
; %bb.227:
	v_bfe_u32 v8, v9, 16, 1
	s_delay_alu instid0(VALU_DEP_1)
	v_add3_u32 v8, v9, v8, 0x7fff
                                        ; implicit-def: $vgpr9
; %bb.228:
	s_wait_alu 0xfffe
	s_and_not1_saveexec_b32 s9, s7
; %bb.229:
	v_and_b32_e32 v8, 0xffff, v9
	v_or_b32_e32 v17, 0x10000, v9
	s_delay_alu instid0(VALU_DEP_2) | instskip(SKIP_1) | instid1(VALU_DEP_1)
	v_cmp_eq_u32_e64 s7, 0, v8
	s_wait_alu 0xf1ff
	v_cndmask_b32_e64 v8, v17, v9, s7
; %bb.230:
	s_wait_alu 0xfffe
	s_or_b32 exec_lo, exec_lo, s9
	v_lshlrev_b32_e32 v9, 16, v48
	s_delay_alu instid0(VALU_DEP_1) | instskip(NEXT) | instid1(VALU_DEP_1)
	v_add_f32_e32 v17, 0, v9
	v_and_b32_e32 v9, 0x7f800000, v17
	s_delay_alu instid0(VALU_DEP_1)
	v_cmp_ne_u32_e64 s7, 0x7f800000, v9
                                        ; implicit-def: $vgpr9
	s_and_saveexec_b32 s9, s7
	s_wait_alu 0xfffe
	s_xor_b32 s7, exec_lo, s9
; %bb.231:
	v_bfe_u32 v9, v17, 16, 1
	s_delay_alu instid0(VALU_DEP_1)
	v_add3_u32 v9, v17, v9, 0x7fff
                                        ; implicit-def: $vgpr17
; %bb.232:
	s_wait_alu 0xfffe
	s_and_not1_saveexec_b32 s9, s7
; %bb.233:
	v_and_b32_e32 v9, 0xffff, v17
	v_or_b32_e32 v18, 0x10000, v17
	s_delay_alu instid0(VALU_DEP_2) | instskip(SKIP_1) | instid1(VALU_DEP_1)
	v_cmp_eq_u32_e64 s7, 0, v9
	s_wait_alu 0xf1ff
	v_cndmask_b32_e64 v9, v18, v17, s7
; %bb.234:
	s_wait_alu 0xfffe
	s_or_b32 exec_lo, exec_lo, s9
	v_cmp_lt_i32_e64 s7, -1, v8
	s_delay_alu instid0(VALU_DEP_2)
	v_perm_b32 v8, v9, v8, 0x7060302
	v_dual_mov_b32 v22, v20 :: v_dual_mov_b32 v21, v19
	v_mov_b32_e32 v39, v48
	s_wait_alu 0xf1ff
	v_cndmask_b32_e64 v17, -1, 0xffff8000, s7
	v_cmp_lt_i32_e64 s7, -1, v9
	s_mov_b32 s9, exec_lo
	s_wait_alu 0xf1ff
	v_cndmask_b32_e64 v18, -1, 0xffff8000, s7
	s_delay_alu instid0(VALU_DEP_1) | instskip(NEXT) | instid1(VALU_DEP_1)
	v_perm_b32 v9, v18, v17, 0x5040100
	v_xor_b32_e32 v8, v9, v8
	s_delay_alu instid0(VALU_DEP_1) | instskip(NEXT) | instid1(VALU_DEP_1)
	v_lshrrev_b32_e32 v9, 16, v8
	v_cmpx_gt_u16_e64 v8, v9
; %bb.235:
	v_dual_mov_b32 v22, v16 :: v_dual_mov_b32 v21, v15
	v_dual_mov_b32 v15, v19 :: v_dual_mov_b32 v16, v20
	;; [unrolled: 1-line block ×3, first 2 shown]
; %bb.236:
	s_wait_alu 0xfffe
	s_or_b32 exec_lo, exec_lo, s9
	v_lshlrev_b32_e32 v8, 16, v50
	s_delay_alu instid0(VALU_DEP_1) | instskip(NEXT) | instid1(VALU_DEP_1)
	v_add_f32_e32 v9, 0, v8
	v_and_b32_e32 v8, 0x7f800000, v9
	s_delay_alu instid0(VALU_DEP_1)
	v_cmp_ne_u32_e64 s7, 0x7f800000, v8
                                        ; implicit-def: $vgpr8
	s_and_saveexec_b32 s9, s7
	s_wait_alu 0xfffe
	s_xor_b32 s7, exec_lo, s9
; %bb.237:
	v_bfe_u32 v8, v9, 16, 1
	s_delay_alu instid0(VALU_DEP_1)
	v_add3_u32 v8, v9, v8, 0x7fff
                                        ; implicit-def: $vgpr9
; %bb.238:
	s_wait_alu 0xfffe
	s_and_not1_saveexec_b32 s9, s7
; %bb.239:
	v_and_b32_e32 v8, 0xffff, v9
	v_or_b32_e32 v17, 0x10000, v9
	s_delay_alu instid0(VALU_DEP_2) | instskip(SKIP_1) | instid1(VALU_DEP_1)
	v_cmp_eq_u32_e64 s7, 0, v8
	s_wait_alu 0xf1ff
	v_cndmask_b32_e64 v8, v17, v9, s7
; %bb.240:
	s_wait_alu 0xfffe
	s_or_b32 exec_lo, exec_lo, s9
	v_lshlrev_b32_e32 v9, 16, v37
	s_delay_alu instid0(VALU_DEP_1) | instskip(NEXT) | instid1(VALU_DEP_1)
	v_add_f32_e32 v17, 0, v9
	v_and_b32_e32 v9, 0x7f800000, v17
	s_delay_alu instid0(VALU_DEP_1)
	v_cmp_ne_u32_e64 s7, 0x7f800000, v9
                                        ; implicit-def: $vgpr9
	s_and_saveexec_b32 s9, s7
	s_wait_alu 0xfffe
	s_xor_b32 s7, exec_lo, s9
; %bb.241:
	v_bfe_u32 v9, v17, 16, 1
	s_delay_alu instid0(VALU_DEP_1)
	v_add3_u32 v9, v17, v9, 0x7fff
                                        ; implicit-def: $vgpr17
; %bb.242:
	s_wait_alu 0xfffe
	s_and_not1_saveexec_b32 s9, s7
; %bb.243:
	v_and_b32_e32 v9, 0xffff, v17
	v_or_b32_e32 v18, 0x10000, v17
	s_delay_alu instid0(VALU_DEP_2) | instskip(SKIP_1) | instid1(VALU_DEP_1)
	v_cmp_eq_u32_e64 s7, 0, v9
	s_wait_alu 0xf1ff
	v_cndmask_b32_e64 v9, v18, v17, s7
; %bb.244:
	s_wait_alu 0xfffe
	s_or_b32 exec_lo, exec_lo, s9
	v_cmp_lt_i32_e64 s7, -1, v8
	s_delay_alu instid0(VALU_DEP_2) | instskip(SKIP_2) | instid1(VALU_DEP_3)
	v_perm_b32 v8, v9, v8, 0x7060302
	v_mov_b32_e32 v48, v50
	s_wait_alu 0xf1ff
	v_cndmask_b32_e64 v17, -1, 0xffff8000, s7
	v_cmp_lt_i32_e64 s7, -1, v9
	s_wait_alu 0xf1ff
	s_delay_alu instid0(VALU_DEP_1) | instskip(NEXT) | instid1(VALU_DEP_1)
	v_cndmask_b32_e64 v18, -1, 0xffff8000, s7
	v_perm_b32 v9, v18, v17, 0x5040100
	s_delay_alu instid0(VALU_DEP_1) | instskip(NEXT) | instid1(VALU_DEP_1)
	v_xor_b32_e32 v8, v9, v8
	v_lshrrev_b32_e32 v9, 16, v8
	s_delay_alu instid0(VALU_DEP_1)
	v_cmp_gt_u16_e64 s7, v8, v9
	v_dual_mov_b32 v8, v25 :: v_dual_mov_b32 v9, v26
	s_and_saveexec_b32 s9, s7
; %bb.245:
	v_dual_mov_b32 v48, v37 :: v_dual_mov_b32 v37, v50
	v_dual_mov_b32 v9, v5 :: v_dual_mov_b32 v8, v4
	;; [unrolled: 1-line block ×3, first 2 shown]
; %bb.246:
	s_wait_alu 0xfffe
	s_or_b32 exec_lo, exec_lo, s9
	v_lshlrev_b32_e32 v17, 16, v29
	s_delay_alu instid0(VALU_DEP_1) | instskip(NEXT) | instid1(VALU_DEP_1)
	v_add_f32_e32 v18, 0, v17
	v_and_b32_e32 v17, 0x7f800000, v18
	s_delay_alu instid0(VALU_DEP_1)
	v_cmp_ne_u32_e64 s7, 0x7f800000, v17
                                        ; implicit-def: $vgpr17
	s_and_saveexec_b32 s9, s7
	s_wait_alu 0xfffe
	s_xor_b32 s7, exec_lo, s9
; %bb.247:
	v_bfe_u32 v17, v18, 16, 1
	s_delay_alu instid0(VALU_DEP_1)
	v_add3_u32 v17, v18, v17, 0x7fff
                                        ; implicit-def: $vgpr18
; %bb.248:
	s_wait_alu 0xfffe
	s_and_not1_saveexec_b32 s9, s7
; %bb.249:
	v_and_b32_e32 v17, 0xffff, v18
	v_or_b32_e32 v19, 0x10000, v18
	s_delay_alu instid0(VALU_DEP_2) | instskip(SKIP_1) | instid1(VALU_DEP_1)
	v_cmp_eq_u32_e64 s7, 0, v17
	s_wait_alu 0xf1ff
	v_cndmask_b32_e64 v17, v19, v18, s7
; %bb.250:
	s_wait_alu 0xfffe
	s_or_b32 exec_lo, exec_lo, s9
	v_lshlrev_b32_e32 v18, 16, v51
	s_delay_alu instid0(VALU_DEP_1) | instskip(NEXT) | instid1(VALU_DEP_1)
	v_add_f32_e32 v19, 0, v18
	v_and_b32_e32 v18, 0x7f800000, v19
	s_delay_alu instid0(VALU_DEP_1)
	v_cmp_ne_u32_e64 s7, 0x7f800000, v18
                                        ; implicit-def: $vgpr18
	s_and_saveexec_b32 s9, s7
	s_wait_alu 0xfffe
	s_xor_b32 s7, exec_lo, s9
; %bb.251:
	v_bfe_u32 v18, v19, 16, 1
	s_delay_alu instid0(VALU_DEP_1)
	v_add3_u32 v18, v19, v18, 0x7fff
                                        ; implicit-def: $vgpr19
; %bb.252:
	s_wait_alu 0xfffe
	s_and_not1_saveexec_b32 s9, s7
; %bb.253:
	v_and_b32_e32 v18, 0xffff, v19
	v_or_b32_e32 v20, 0x10000, v19
	s_delay_alu instid0(VALU_DEP_2) | instskip(SKIP_1) | instid1(VALU_DEP_1)
	v_cmp_eq_u32_e64 s7, 0, v18
	s_wait_alu 0xf1ff
	v_cndmask_b32_e64 v18, v20, v19, s7
; %bb.254:
	s_wait_alu 0xfffe
	s_or_b32 exec_lo, exec_lo, s9
	v_cmp_lt_i32_e64 s7, -1, v17
	s_delay_alu instid0(VALU_DEP_2) | instskip(SKIP_2) | instid1(VALU_DEP_3)
	v_perm_b32 v17, v18, v17, 0x7060302
	v_mov_b32_e32 v50, v29
	s_wait_alu 0xf1ff
	v_cndmask_b32_e64 v19, -1, 0xffff8000, s7
	v_cmp_lt_i32_e64 s7, -1, v18
	s_wait_alu 0xf1ff
	s_delay_alu instid0(VALU_DEP_1) | instskip(NEXT) | instid1(VALU_DEP_1)
	v_cndmask_b32_e64 v20, -1, 0xffff8000, s7
	v_perm_b32 v18, v20, v19, 0x5040100
	s_delay_alu instid0(VALU_DEP_1) | instskip(NEXT) | instid1(VALU_DEP_1)
	v_xor_b32_e32 v17, v18, v17
	v_lshrrev_b32_e32 v18, 16, v17
	s_delay_alu instid0(VALU_DEP_1)
	v_cmp_gt_u16_e64 s7, v17, v18
	v_dual_mov_b32 v17, v31 :: v_dual_mov_b32 v18, v32
	s_and_saveexec_b32 s9, s7
; %bb.255:
	v_dual_mov_b32 v50, v51 :: v_dual_mov_b32 v51, v29
	v_dual_mov_b32 v17, v27 :: v_dual_mov_b32 v18, v28
	;; [unrolled: 1-line block ×3, first 2 shown]
; %bb.256:
	s_wait_alu 0xfffe
	s_or_b32 exec_lo, exec_lo, s9
	v_lshlrev_b32_e32 v19, 16, v39
	s_delay_alu instid0(VALU_DEP_1) | instskip(NEXT) | instid1(VALU_DEP_1)
	v_add_f32_e32 v20, 0, v19
	v_and_b32_e32 v19, 0x7f800000, v20
	s_delay_alu instid0(VALU_DEP_1)
	v_cmp_ne_u32_e64 s7, 0x7f800000, v19
                                        ; implicit-def: $vgpr19
	s_and_saveexec_b32 s9, s7
	s_wait_alu 0xfffe
	s_xor_b32 s7, exec_lo, s9
; %bb.257:
	v_bfe_u32 v19, v20, 16, 1
	s_delay_alu instid0(VALU_DEP_1)
	v_add3_u32 v19, v20, v19, 0x7fff
                                        ; implicit-def: $vgpr20
; %bb.258:
	s_wait_alu 0xfffe
	s_and_not1_saveexec_b32 s9, s7
; %bb.259:
	v_and_b32_e32 v19, 0xffff, v20
	v_or_b32_e32 v25, 0x10000, v20
	s_delay_alu instid0(VALU_DEP_2) | instskip(SKIP_1) | instid1(VALU_DEP_1)
	v_cmp_eq_u32_e64 s7, 0, v19
	s_wait_alu 0xf1ff
	v_cndmask_b32_e64 v19, v25, v20, s7
; %bb.260:
	s_wait_alu 0xfffe
	s_or_b32 exec_lo, exec_lo, s9
	v_lshlrev_b32_e32 v20, 16, v53
	s_delay_alu instid0(VALU_DEP_1) | instskip(NEXT) | instid1(VALU_DEP_1)
	v_add_f32_e32 v25, 0, v20
	v_and_b32_e32 v20, 0x7f800000, v25
	s_delay_alu instid0(VALU_DEP_1)
	v_cmp_ne_u32_e64 s7, 0x7f800000, v20
                                        ; implicit-def: $vgpr20
	s_and_saveexec_b32 s9, s7
	s_wait_alu 0xfffe
	s_xor_b32 s7, exec_lo, s9
; %bb.261:
	v_bfe_u32 v20, v25, 16, 1
	s_delay_alu instid0(VALU_DEP_1)
	v_add3_u32 v20, v25, v20, 0x7fff
                                        ; implicit-def: $vgpr25
; %bb.262:
	s_wait_alu 0xfffe
	s_and_not1_saveexec_b32 s9, s7
; %bb.263:
	v_and_b32_e32 v20, 0xffff, v25
	v_or_b32_e32 v26, 0x10000, v25
	s_delay_alu instid0(VALU_DEP_2) | instskip(SKIP_1) | instid1(VALU_DEP_1)
	v_cmp_eq_u32_e64 s7, 0, v20
	s_wait_alu 0xf1ff
	v_cndmask_b32_e64 v20, v26, v25, s7
; %bb.264:
	s_wait_alu 0xfffe
	s_or_b32 exec_lo, exec_lo, s9
	v_cmp_lt_i32_e64 s7, -1, v19
	s_delay_alu instid0(VALU_DEP_2)
	v_perm_b32 v19, v20, v19, 0x7060302
	v_dual_mov_b32 v30, v16 :: v_dual_mov_b32 v29, v15
	v_mov_b32_e32 v49, v53
	s_wait_alu 0xf1ff
	v_cndmask_b32_e64 v25, -1, 0xffff8000, s7
	v_cmp_lt_i32_e64 s7, -1, v20
	s_mov_b32 s9, exec_lo
	s_wait_alu 0xf1ff
	v_cndmask_b32_e64 v26, -1, 0xffff8000, s7
	s_delay_alu instid0(VALU_DEP_1) | instskip(NEXT) | instid1(VALU_DEP_1)
	v_perm_b32 v20, v26, v25, 0x5040100
	v_xor_b32_e32 v19, v20, v19
	s_delay_alu instid0(VALU_DEP_1) | instskip(NEXT) | instid1(VALU_DEP_1)
	v_lshrrev_b32_e32 v20, 16, v19
	v_cmpx_gt_u16_e64 v19, v20
; %bb.265:
	v_dual_mov_b32 v30, v24 :: v_dual_mov_b32 v29, v23
	v_dual_mov_b32 v24, v16 :: v_dual_mov_b32 v23, v15
	v_mov_b32_e32 v49, v39
	v_mov_b32_e32 v39, v53
; %bb.266:
	s_wait_alu 0xfffe
	s_or_b32 exec_lo, exec_lo, s9
	v_lshlrev_b32_e32 v15, 16, v38
	s_delay_alu instid0(VALU_DEP_1) | instskip(NEXT) | instid1(VALU_DEP_1)
	v_add_f32_e32 v16, 0, v15
	v_and_b32_e32 v15, 0x7f800000, v16
	s_delay_alu instid0(VALU_DEP_1)
	v_cmp_ne_u32_e64 s7, 0x7f800000, v15
                                        ; implicit-def: $vgpr15
	s_and_saveexec_b32 s9, s7
	s_wait_alu 0xfffe
	s_xor_b32 s7, exec_lo, s9
; %bb.267:
	v_bfe_u32 v15, v16, 16, 1
	s_delay_alu instid0(VALU_DEP_1)
	v_add3_u32 v15, v16, v15, 0x7fff
                                        ; implicit-def: $vgpr16
; %bb.268:
	s_wait_alu 0xfffe
	s_and_not1_saveexec_b32 s9, s7
; %bb.269:
	v_and_b32_e32 v15, 0xffff, v16
	v_or_b32_e32 v19, 0x10000, v16
	s_delay_alu instid0(VALU_DEP_2) | instskip(SKIP_1) | instid1(VALU_DEP_1)
	v_cmp_eq_u32_e64 s7, 0, v15
	s_wait_alu 0xf1ff
	v_cndmask_b32_e64 v15, v19, v16, s7
; %bb.270:
	s_wait_alu 0xfffe
	s_or_b32 exec_lo, exec_lo, s9
	v_lshlrev_b32_e32 v16, 16, v52
	s_delay_alu instid0(VALU_DEP_1) | instskip(NEXT) | instid1(VALU_DEP_1)
	v_add_f32_e32 v19, 0, v16
	v_and_b32_e32 v16, 0x7f800000, v19
	s_delay_alu instid0(VALU_DEP_1)
	v_cmp_ne_u32_e64 s7, 0x7f800000, v16
                                        ; implicit-def: $vgpr16
	s_and_saveexec_b32 s9, s7
	s_wait_alu 0xfffe
	s_xor_b32 s7, exec_lo, s9
; %bb.271:
	v_bfe_u32 v16, v19, 16, 1
	s_delay_alu instid0(VALU_DEP_1)
	v_add3_u32 v16, v19, v16, 0x7fff
                                        ; implicit-def: $vgpr19
; %bb.272:
	s_wait_alu 0xfffe
	s_and_not1_saveexec_b32 s9, s7
; %bb.273:
	v_and_b32_e32 v16, 0xffff, v19
	v_or_b32_e32 v20, 0x10000, v19
	s_delay_alu instid0(VALU_DEP_2) | instskip(SKIP_1) | instid1(VALU_DEP_1)
	v_cmp_eq_u32_e64 s7, 0, v16
	s_wait_alu 0xf1ff
	v_cndmask_b32_e64 v16, v20, v19, s7
; %bb.274:
	s_wait_alu 0xfffe
	s_or_b32 exec_lo, exec_lo, s9
	v_cmp_lt_i32_e64 s7, -1, v15
	s_delay_alu instid0(VALU_DEP_2)
	v_perm_b32 v15, v16, v15, 0x7060302
	v_dual_mov_b32 v26, v14 :: v_dual_mov_b32 v25, v13
	v_mov_b32_e32 v31, v52
	s_wait_alu 0xf1ff
	v_cndmask_b32_e64 v19, -1, 0xffff8000, s7
	v_cmp_lt_i32_e64 s7, -1, v16
	s_mov_b32 s9, exec_lo
	s_wait_alu 0xf1ff
	v_cndmask_b32_e64 v20, -1, 0xffff8000, s7
	s_delay_alu instid0(VALU_DEP_1) | instskip(NEXT) | instid1(VALU_DEP_1)
	v_perm_b32 v16, v20, v19, 0x5040100
	v_xor_b32_e32 v15, v16, v15
	s_delay_alu instid0(VALU_DEP_1) | instskip(NEXT) | instid1(VALU_DEP_1)
	v_lshrrev_b32_e32 v16, 16, v15
	v_cmpx_gt_u16_e64 v15, v16
; %bb.275:
	v_dual_mov_b32 v26, v22 :: v_dual_mov_b32 v25, v21
	v_dual_mov_b32 v22, v14 :: v_dual_mov_b32 v21, v13
	;; [unrolled: 1-line block ×3, first 2 shown]
; %bb.276:
	s_wait_alu 0xfffe
	s_or_b32 exec_lo, exec_lo, s9
	v_lshlrev_b32_e32 v13, 16, v51
	s_delay_alu instid0(VALU_DEP_1) | instskip(NEXT) | instid1(VALU_DEP_1)
	v_add_f32_e32 v14, 0, v13
	v_and_b32_e32 v13, 0x7f800000, v14
	s_delay_alu instid0(VALU_DEP_1)
	v_cmp_ne_u32_e64 s7, 0x7f800000, v13
                                        ; implicit-def: $vgpr13
	s_and_saveexec_b32 s9, s7
	s_wait_alu 0xfffe
	s_xor_b32 s7, exec_lo, s9
; %bb.277:
	v_bfe_u32 v13, v14, 16, 1
	s_delay_alu instid0(VALU_DEP_1)
	v_add3_u32 v13, v14, v13, 0x7fff
                                        ; implicit-def: $vgpr14
; %bb.278:
	s_wait_alu 0xfffe
	s_and_not1_saveexec_b32 s9, s7
; %bb.279:
	v_and_b32_e32 v13, 0xffff, v14
	v_or_b32_e32 v15, 0x10000, v14
	s_delay_alu instid0(VALU_DEP_2) | instskip(SKIP_1) | instid1(VALU_DEP_1)
	v_cmp_eq_u32_e64 s7, 0, v13
	s_wait_alu 0xf1ff
	v_cndmask_b32_e64 v13, v15, v14, s7
; %bb.280:
	s_wait_alu 0xfffe
	s_or_b32 exec_lo, exec_lo, s9
	v_lshlrev_b32_e32 v14, 16, v48
	s_delay_alu instid0(VALU_DEP_1) | instskip(NEXT) | instid1(VALU_DEP_1)
	v_add_f32_e32 v15, 0, v14
	v_and_b32_e32 v14, 0x7f800000, v15
	s_delay_alu instid0(VALU_DEP_1)
	v_cmp_ne_u32_e64 s7, 0x7f800000, v14
                                        ; implicit-def: $vgpr14
	s_and_saveexec_b32 s9, s7
	s_wait_alu 0xfffe
	s_xor_b32 s7, exec_lo, s9
; %bb.281:
	v_bfe_u32 v14, v15, 16, 1
	s_delay_alu instid0(VALU_DEP_1)
	v_add3_u32 v14, v15, v14, 0x7fff
                                        ; implicit-def: $vgpr15
; %bb.282:
	s_wait_alu 0xfffe
	s_and_not1_saveexec_b32 s9, s7
; %bb.283:
	v_and_b32_e32 v14, 0xffff, v15
	v_or_b32_e32 v16, 0x10000, v15
	s_delay_alu instid0(VALU_DEP_2) | instskip(SKIP_1) | instid1(VALU_DEP_1)
	v_cmp_eq_u32_e64 s7, 0, v14
	s_wait_alu 0xf1ff
	v_cndmask_b32_e64 v14, v16, v15, s7
; %bb.284:
	s_wait_alu 0xfffe
	s_or_b32 exec_lo, exec_lo, s9
	v_cmp_lt_i32_e64 s7, -1, v13
	s_delay_alu instid0(VALU_DEP_2)
	v_perm_b32 v13, v14, v13, 0x7060302
	v_mov_b32_e32 v32, v51
	s_mov_b32 s9, exec_lo
	s_wait_alu 0xf1ff
	v_cndmask_b32_e64 v15, -1, 0xffff8000, s7
	v_cmp_lt_i32_e64 s7, -1, v14
	s_wait_alu 0xf1ff
	s_delay_alu instid0(VALU_DEP_1) | instskip(NEXT) | instid1(VALU_DEP_1)
	v_cndmask_b32_e64 v16, -1, 0xffff8000, s7
	v_perm_b32 v14, v16, v15, 0x5040100
	v_dual_mov_b32 v15, v27 :: v_dual_mov_b32 v16, v28
	s_delay_alu instid0(VALU_DEP_2) | instskip(NEXT) | instid1(VALU_DEP_1)
	v_xor_b32_e32 v13, v14, v13
	v_lshrrev_b32_e32 v14, 16, v13
	s_delay_alu instid0(VALU_DEP_1)
	v_cmpx_gt_u16_e64 v13, v14
; %bb.285:
	v_mov_b32_e32 v16, v9
	v_dual_mov_b32 v32, v48 :: v_dual_mov_b32 v15, v8
	v_mov_b32_e32 v8, v27
	v_dual_mov_b32 v48, v51 :: v_dual_mov_b32 v9, v28
; %bb.286:
	s_wait_alu 0xfffe
	s_or_b32 exec_lo, exec_lo, s9
	v_lshlrev_b32_e32 v13, 16, v49
	s_delay_alu instid0(VALU_DEP_1) | instskip(NEXT) | instid1(VALU_DEP_1)
	v_add_f32_e32 v14, 0, v13
	v_and_b32_e32 v13, 0x7f800000, v14
	s_delay_alu instid0(VALU_DEP_1)
	v_cmp_ne_u32_e64 s7, 0x7f800000, v13
                                        ; implicit-def: $vgpr13
	s_and_saveexec_b32 s9, s7
	s_wait_alu 0xfffe
	s_xor_b32 s7, exec_lo, s9
; %bb.287:
	v_bfe_u32 v13, v14, 16, 1
	s_delay_alu instid0(VALU_DEP_1)
	v_add3_u32 v13, v14, v13, 0x7fff
                                        ; implicit-def: $vgpr14
; %bb.288:
	s_wait_alu 0xfffe
	s_and_not1_saveexec_b32 s9, s7
; %bb.289:
	v_and_b32_e32 v13, 0xffff, v14
	v_or_b32_e32 v19, 0x10000, v14
	s_delay_alu instid0(VALU_DEP_2) | instskip(SKIP_1) | instid1(VALU_DEP_1)
	v_cmp_eq_u32_e64 s7, 0, v13
	s_wait_alu 0xf1ff
	v_cndmask_b32_e64 v13, v19, v14, s7
; %bb.290:
	s_wait_alu 0xfffe
	s_or_b32 exec_lo, exec_lo, s9
	v_lshlrev_b32_e32 v14, 16, v50
	s_delay_alu instid0(VALU_DEP_1) | instskip(NEXT) | instid1(VALU_DEP_1)
	v_add_f32_e32 v19, 0, v14
	v_and_b32_e32 v14, 0x7f800000, v19
	s_delay_alu instid0(VALU_DEP_1)
	v_cmp_ne_u32_e64 s7, 0x7f800000, v14
                                        ; implicit-def: $vgpr14
	s_and_saveexec_b32 s9, s7
	s_wait_alu 0xfffe
	s_xor_b32 s7, exec_lo, s9
; %bb.291:
	v_bfe_u32 v14, v19, 16, 1
	s_delay_alu instid0(VALU_DEP_1)
	v_add3_u32 v14, v19, v14, 0x7fff
                                        ; implicit-def: $vgpr19
; %bb.292:
	s_wait_alu 0xfffe
	s_and_not1_saveexec_b32 s9, s7
; %bb.293:
	v_and_b32_e32 v14, 0xffff, v19
	v_or_b32_e32 v20, 0x10000, v19
	s_delay_alu instid0(VALU_DEP_2) | instskip(SKIP_1) | instid1(VALU_DEP_1)
	v_cmp_eq_u32_e64 s7, 0, v14
	s_wait_alu 0xf1ff
	v_cndmask_b32_e64 v14, v20, v19, s7
; %bb.294:
	s_wait_alu 0xfffe
	s_or_b32 exec_lo, exec_lo, s9
	v_cmp_lt_i32_e64 s7, -1, v13
	s_delay_alu instid0(VALU_DEP_2)
	v_perm_b32 v13, v14, v13, 0x7060302
	v_mov_b32_e32 v51, v50
	s_mov_b32 s9, exec_lo
	s_wait_alu 0xf1ff
	v_cndmask_b32_e64 v19, -1, 0xffff8000, s7
	v_cmp_lt_i32_e64 s7, -1, v14
	s_wait_alu 0xf1ff
	s_delay_alu instid0(VALU_DEP_1) | instskip(NEXT) | instid1(VALU_DEP_1)
	v_cndmask_b32_e64 v20, -1, 0xffff8000, s7
	v_perm_b32 v14, v20, v19, 0x5040100
	v_dual_mov_b32 v19, v23 :: v_dual_mov_b32 v20, v24
	s_delay_alu instid0(VALU_DEP_2) | instskip(NEXT) | instid1(VALU_DEP_1)
	v_xor_b32_e32 v13, v14, v13
	v_lshrrev_b32_e32 v14, 16, v13
	s_delay_alu instid0(VALU_DEP_1)
	v_cmpx_gt_u16_e64 v13, v14
; %bb.295:
	v_dual_mov_b32 v51, v49 :: v_dual_mov_b32 v20, v18
	v_mov_b32_e32 v19, v17
	v_dual_mov_b32 v17, v23 :: v_dual_mov_b32 v18, v24
	v_mov_b32_e32 v49, v50
; %bb.296:
	s_wait_alu 0xfffe
	s_or_b32 exec_lo, exec_lo, s9
	v_lshlrev_b32_e32 v13, 16, v31
	s_delay_alu instid0(VALU_DEP_1) | instskip(NEXT) | instid1(VALU_DEP_1)
	v_add_f32_e32 v14, 0, v13
	v_and_b32_e32 v13, 0x7f800000, v14
	s_delay_alu instid0(VALU_DEP_1)
	v_cmp_ne_u32_e64 s7, 0x7f800000, v13
                                        ; implicit-def: $vgpr13
	s_and_saveexec_b32 s9, s7
	s_wait_alu 0xfffe
	s_xor_b32 s7, exec_lo, s9
; %bb.297:
	v_bfe_u32 v13, v14, 16, 1
	s_delay_alu instid0(VALU_DEP_1)
	v_add3_u32 v13, v14, v13, 0x7fff
                                        ; implicit-def: $vgpr14
; %bb.298:
	s_wait_alu 0xfffe
	s_and_not1_saveexec_b32 s9, s7
; %bb.299:
	v_and_b32_e32 v13, 0xffff, v14
	v_or_b32_e32 v23, 0x10000, v14
	s_delay_alu instid0(VALU_DEP_2) | instskip(SKIP_1) | instid1(VALU_DEP_1)
	v_cmp_eq_u32_e64 s7, 0, v13
	s_wait_alu 0xf1ff
	v_cndmask_b32_e64 v13, v23, v14, s7
; %bb.300:
	s_wait_alu 0xfffe
	s_or_b32 exec_lo, exec_lo, s9
	v_lshlrev_b32_e32 v14, 16, v39
	s_delay_alu instid0(VALU_DEP_1) | instskip(NEXT) | instid1(VALU_DEP_1)
	v_add_f32_e32 v23, 0, v14
	v_and_b32_e32 v14, 0x7f800000, v23
	s_delay_alu instid0(VALU_DEP_1)
	v_cmp_ne_u32_e64 s7, 0x7f800000, v14
                                        ; implicit-def: $vgpr14
	s_and_saveexec_b32 s9, s7
	s_wait_alu 0xfffe
	s_xor_b32 s7, exec_lo, s9
; %bb.301:
	v_bfe_u32 v14, v23, 16, 1
	s_delay_alu instid0(VALU_DEP_1)
	v_add3_u32 v14, v23, v14, 0x7fff
                                        ; implicit-def: $vgpr23
; %bb.302:
	s_wait_alu 0xfffe
	s_and_not1_saveexec_b32 s9, s7
; %bb.303:
	v_and_b32_e32 v14, 0xffff, v23
	v_or_b32_e32 v24, 0x10000, v23
	s_delay_alu instid0(VALU_DEP_2) | instskip(SKIP_1) | instid1(VALU_DEP_1)
	v_cmp_eq_u32_e64 s7, 0, v14
	s_wait_alu 0xf1ff
	v_cndmask_b32_e64 v14, v24, v23, s7
; %bb.304:
	s_wait_alu 0xfffe
	s_or_b32 exec_lo, exec_lo, s9
	v_cmp_lt_i32_e64 s7, -1, v13
	s_delay_alu instid0(VALU_DEP_2)
	v_perm_b32 v13, v14, v13, 0x7060302
	v_mov_b32_e32 v50, v31
	s_mov_b32 s9, exec_lo
	s_wait_alu 0xf1ff
	v_cndmask_b32_e64 v23, -1, 0xffff8000, s7
	v_cmp_lt_i32_e64 s7, -1, v14
	s_wait_alu 0xf1ff
	s_delay_alu instid0(VALU_DEP_1) | instskip(NEXT) | instid1(VALU_DEP_1)
	v_cndmask_b32_e64 v24, -1, 0xffff8000, s7
	v_perm_b32 v14, v24, v23, 0x5040100
	v_dual_mov_b32 v23, v29 :: v_dual_mov_b32 v24, v30
	s_delay_alu instid0(VALU_DEP_2) | instskip(NEXT) | instid1(VALU_DEP_1)
	v_xor_b32_e32 v13, v14, v13
	v_lshrrev_b32_e32 v14, 16, v13
	s_delay_alu instid0(VALU_DEP_1)
	v_cmpx_gt_u16_e64 v13, v14
; %bb.305:
	v_dual_mov_b32 v50, v39 :: v_dual_mov_b32 v39, v31
	v_dual_mov_b32 v24, v22 :: v_dual_mov_b32 v23, v21
	;; [unrolled: 1-line block ×3, first 2 shown]
; %bb.306:
	s_wait_alu 0xfffe
	s_or_b32 exec_lo, exec_lo, s9
.LBB1961_307:
	s_wait_alu 0xfffe
	s_or_b32 exec_lo, exec_lo, s8
	v_and_b32_e32 v13, 0xffffff00, v10
	v_or_b32_e32 v14, 8, v36
	v_and_b32_e32 v28, 8, v36
	v_and_b32_e32 v64, 0xf0, v36
	s_wait_loadcnt_dscnt 0x0
	v_perm_b32 v68, v38, v50, 0x5040100
	v_sub_nc_u32_e64 v27, 0x800, v13 clamp
	v_lshlrev_b32_e32 v10, 1, v13
	v_perm_b32 v67, v39, v49, 0x5040100
	v_perm_b32 v70, v51, v32, 0x5040100
	;; [unrolled: 1-line block ×3, first 2 shown]
	v_min_u32_e32 v52, v27, v14
	v_mad_co_u64_u32 v[13:14], null, v13, 6, v[10:11]
	v_min_u32_e32 v65, v27, v28
	v_lshl_or_b32 v54, v64, 1, v10
	s_delay_alu instid0(VALU_DEP_4) | instskip(SKIP_3) | instid1(VALU_DEP_3)
	v_add_nc_u32_e32 v14, 8, v52
	v_sub_nc_u32_e32 v28, v52, v64
	s_mov_b32 s8, exec_lo
	v_lshl_add_u32 v71, v36, 3, v13
	v_min_u32_e32 v53, v27, v14
	v_lshl_or_b32 v14, v36, 1, v10
	v_min_u32_e32 v66, v65, v28
	s_delay_alu instid0(VALU_DEP_4) | instskip(NEXT) | instid1(VALU_DEP_4)
	v_add_nc_u32_e32 v30, 0x1010, v71
	v_sub_nc_u32_e32 v29, v53, v52
	v_add_nc_u32_e32 v31, 0x1020, v71
	v_add_nc_u32_e32 v28, 0x1030, v71
	s_delay_alu instid0(VALU_DEP_3)
	v_sub_nc_u32_e64 v55, v65, v29 clamp
	v_add_nc_u32_e32 v29, 0x1000, v71
	ds_store_2addr_b64 v30, v[15:16], v[17:18] offset1:1
	ds_store_2addr_b64 v31, v[19:20], v[23:24] offset1:1
	;; [unrolled: 1-line block ×5, first 2 shown]
	; wave barrier
	v_cmpx_lt_u32_e64 v55, v66
	s_cbranch_execz .LBB1961_326
; %bb.308:
	v_lshlrev_b32_e32 v67, 1, v52
	v_lshlrev_b32_e32 v68, 1, v65
	s_mov_b32 s9, 0
	s_delay_alu instid0(VALU_DEP_1)
	v_add3_u32 v67, v10, v67, v68
	s_branch .LBB1961_310
.LBB1961_309:                           ;   in Loop: Header=BB1961_310 Depth=1
	s_wait_alu 0xfffe
	s_or_b32 exec_lo, exec_lo, s10
	v_cmp_lt_i32_e64 s7, -1, v69
	v_lshrrev_b32_e32 v71, 16, v69
	v_lshrrev_b32_e32 v80, 16, v70
	s_wait_alu 0xf1ff
	s_delay_alu instid0(VALU_DEP_3) | instskip(SKIP_1) | instid1(VALU_DEP_2)
	v_cndmask_b32_e64 v69, -1, 0xffff8000, s7
	v_cmp_lt_i32_e64 s7, -1, v70
	v_xor_b32_e32 v69, v69, v71
	s_wait_alu 0xf1ff
	s_delay_alu instid0(VALU_DEP_2) | instskip(SKIP_1) | instid1(VALU_DEP_2)
	v_cndmask_b32_e64 v70, -1, 0xffff8000, s7
	v_add_nc_u32_e32 v71, 1, v68
	v_xor_b32_e32 v70, v70, v80
	s_delay_alu instid0(VALU_DEP_1) | instskip(SKIP_1) | instid1(VALU_DEP_1)
	v_cmp_gt_u16_e64 s7, v69, v70
	s_wait_alu 0xf1ff
	v_cndmask_b32_e64 v66, v66, v68, s7
	v_cndmask_b32_e64 v55, v71, v55, s7
	s_delay_alu instid0(VALU_DEP_1)
	v_cmp_ge_u32_e64 s7, v55, v66
	s_or_b32 s9, s7, s9
	s_wait_alu 0xfffe
	s_and_not1_b32 exec_lo, exec_lo, s9
	s_cbranch_execz .LBB1961_325
.LBB1961_310:                           ; =>This Inner Loop Header: Depth=1
	v_add_nc_u32_e32 v69, v66, v55
	s_delay_alu instid0(VALU_DEP_1) | instskip(SKIP_1) | instid1(VALU_DEP_2)
	v_lshrrev_b32_e32 v68, 1, v69
	v_and_b32_e32 v69, -2, v69
	v_not_b32_e32 v70, v68
	s_delay_alu instid0(VALU_DEP_2) | instskip(NEXT) | instid1(VALU_DEP_2)
	v_add_nc_u32_e32 v69, v54, v69
	v_lshl_add_u32 v70, v70, 1, v67
	ds_load_u16 v71, v70
	ds_load_u16 v70, v69
	s_wait_dscnt 0x1
	v_lshlrev_b32_e32 v69, 16, v71
	s_delay_alu instid0(VALU_DEP_1) | instskip(NEXT) | instid1(VALU_DEP_1)
	v_add_f32_e32 v71, 0, v69
	v_and_b32_e32 v69, 0x7f800000, v71
	s_delay_alu instid0(VALU_DEP_1)
	v_cmp_ne_u32_e64 s7, 0x7f800000, v69
                                        ; implicit-def: $vgpr69
	s_and_saveexec_b32 s10, s7
	s_wait_alu 0xfffe
	s_xor_b32 s7, exec_lo, s10
; %bb.311:                              ;   in Loop: Header=BB1961_310 Depth=1
	v_bfe_u32 v69, v71, 16, 1
	s_delay_alu instid0(VALU_DEP_1)
	v_add3_u32 v69, v71, v69, 0x7fff
                                        ; implicit-def: $vgpr71
; %bb.312:                              ;   in Loop: Header=BB1961_310 Depth=1
	s_wait_alu 0xfffe
	s_and_not1_saveexec_b32 s10, s7
; %bb.313:                              ;   in Loop: Header=BB1961_310 Depth=1
	v_and_b32_e32 v69, 0xffff, v71
	v_or_b32_e32 v80, 0x10000, v71
	s_delay_alu instid0(VALU_DEP_2) | instskip(SKIP_1) | instid1(VALU_DEP_1)
	v_cmp_eq_u32_e64 s7, 0, v69
	s_wait_alu 0xf1ff
	v_cndmask_b32_e64 v69, v80, v71, s7
; %bb.314:                              ;   in Loop: Header=BB1961_310 Depth=1
	s_wait_alu 0xfffe
	s_or_b32 exec_lo, exec_lo, s10
	s_wait_dscnt 0x0
	v_lshlrev_b32_e32 v70, 16, v70
	s_delay_alu instid0(VALU_DEP_1) | instskip(NEXT) | instid1(VALU_DEP_1)
	v_add_f32_e32 v71, 0, v70
	v_and_b32_e32 v70, 0x7f800000, v71
	s_delay_alu instid0(VALU_DEP_1)
	v_cmp_ne_u32_e64 s7, 0x7f800000, v70
                                        ; implicit-def: $vgpr70
	s_and_saveexec_b32 s10, s7
	s_wait_alu 0xfffe
	s_xor_b32 s7, exec_lo, s10
; %bb.315:                              ;   in Loop: Header=BB1961_310 Depth=1
	v_bfe_u32 v70, v71, 16, 1
	s_delay_alu instid0(VALU_DEP_1)
	v_add3_u32 v70, v71, v70, 0x7fff
                                        ; implicit-def: $vgpr71
; %bb.316:                              ;   in Loop: Header=BB1961_310 Depth=1
	s_wait_alu 0xfffe
	s_and_not1_saveexec_b32 s10, s7
	s_cbranch_execz .LBB1961_309
; %bb.317:                              ;   in Loop: Header=BB1961_310 Depth=1
	v_and_b32_e32 v70, 0xffff, v71
	v_or_b32_e32 v80, 0x10000, v71
	s_delay_alu instid0(VALU_DEP_2) | instskip(SKIP_1) | instid1(VALU_DEP_1)
	v_cmp_eq_u32_e64 s7, 0, v70
	s_wait_alu 0xf1ff
	v_cndmask_b32_e64 v70, v80, v71, s7
	s_branch .LBB1961_309
.LBB1961_318:
	flat_load_b64 v[4:5], v[13:14]
	s_wait_alu 0xfffe
	s_or_b32 exec_lo, exec_lo, s7
	s_and_saveexec_b32 s7, s0
                                        ; implicit-def: $vgpr8_vgpr9
	s_cbranch_execz .LBB1961_18
.LBB1961_319:
	flat_load_b64 v[8:9], v[13:14] offset:8
	s_wait_alu 0xfffe
	s_or_b32 exec_lo, exec_lo, s7
                                        ; implicit-def: $vgpr15_vgpr16
	s_and_saveexec_b32 s7, s1
	s_cbranch_execz .LBB1961_19
.LBB1961_320:
	flat_load_b64 v[15:16], v[13:14] offset:16
	s_wait_alu 0xfffe
	s_or_b32 exec_lo, exec_lo, s7
	s_and_saveexec_b32 s7, s2
                                        ; implicit-def: $vgpr17_vgpr18
	s_cbranch_execz .LBB1961_20
.LBB1961_321:
	flat_load_b64 v[17:18], v[13:14] offset:24
	s_wait_alu 0xfffe
	s_or_b32 exec_lo, exec_lo, s7
                                        ; implicit-def: $vgpr19_vgpr20
	s_and_saveexec_b32 s7, s3
	s_cbranch_execz .LBB1961_21
.LBB1961_322:
	flat_load_b64 v[19:20], v[13:14] offset:32
	s_wait_alu 0xfffe
	s_or_b32 exec_lo, exec_lo, s7
	s_and_saveexec_b32 s7, s4
                                        ; implicit-def: $vgpr23_vgpr24
	s_cbranch_execz .LBB1961_22
.LBB1961_323:
	flat_load_b64 v[23:24], v[13:14] offset:40
	s_wait_alu 0xfffe
	s_or_b32 exec_lo, exec_lo, s7
                                        ; implicit-def: $vgpr21_vgpr22
	s_and_saveexec_b32 s7, s5
	s_cbranch_execz .LBB1961_23
.LBB1961_324:
	flat_load_b64 v[21:22], v[13:14] offset:48
	s_wait_alu 0xfffe
	s_or_b32 exec_lo, exec_lo, s7
	s_and_saveexec_b32 s7, s6
                                        ; implicit-def: $vgpr25_vgpr26
	s_cbranch_execnz .LBB1961_24
	s_branch .LBB1961_25
.LBB1961_325:
	s_or_b32 exec_lo, exec_lo, s9
.LBB1961_326:
	s_wait_alu 0xfffe
	s_or_b32 exec_lo, exec_lo, s8
	v_add_nc_u32_e32 v65, v52, v65
	v_add_nc_u32_e32 v64, v55, v64
	s_delay_alu instid0(VALU_DEP_2) | instskip(NEXT) | instid1(VALU_DEP_2)
	v_sub_nc_u32_e32 v65, v65, v55
	v_cmp_le_u32_e64 s7, v64, v52
	s_delay_alu instid0(VALU_DEP_2)
	v_cmp_le_u32_e64 s8, v65, v53
	s_or_b32 s7, s7, s8
	s_wait_alu 0xfffe
	s_and_saveexec_b32 s9, s7
	s_cbranch_execz .LBB1961_426
; %bb.327:
	v_cmp_ge_u32_e64 s7, v64, v52
	s_mov_b32 s10, exec_lo
                                        ; implicit-def: $vgpr37
	v_cmpx_lt_u32_e64 v64, v52
; %bb.328:
	v_lshl_add_u32 v4, v55, 1, v54
	ds_load_u16 v37, v4
; %bb.329:
	s_wait_alu 0xfffe
	s_or_b32 exec_lo, exec_lo, s10
	v_cmp_ge_u32_e64 s10, v65, v53
	s_mov_b32 s11, exec_lo
                                        ; implicit-def: $vgpr38
	v_cmpx_lt_u32_e64 v65, v53
; %bb.330:
	v_lshl_add_u32 v4, v65, 1, v10
	ds_load_u16 v38, v4
; %bb.331:
	s_wait_alu 0xfffe
	s_or_b32 exec_lo, exec_lo, s11
	s_nor_b32 s7, s7, s10
	s_wait_alu 0xfffe
	s_and_saveexec_b32 s8, s7
	s_cbranch_execz .LBB1961_341
; %bb.332:
	s_wait_dscnt 0x0
	v_lshlrev_b32_e32 v4, 16, v38
	s_delay_alu instid0(VALU_DEP_1) | instskip(NEXT) | instid1(VALU_DEP_1)
	v_add_f32_e32 v5, 0, v4
	v_and_b32_e32 v4, 0x7f800000, v5
	s_delay_alu instid0(VALU_DEP_1)
	v_cmp_ne_u32_e64 s7, 0x7f800000, v4
                                        ; implicit-def: $vgpr4
	s_and_saveexec_b32 s11, s7
	s_wait_alu 0xfffe
	s_xor_b32 s7, exec_lo, s11
; %bb.333:
	v_bfe_u32 v4, v5, 16, 1
	s_delay_alu instid0(VALU_DEP_1)
	v_add3_u32 v4, v5, v4, 0x7fff
                                        ; implicit-def: $vgpr5
; %bb.334:
	s_wait_alu 0xfffe
	s_and_not1_saveexec_b32 s11, s7
; %bb.335:
	v_and_b32_e32 v4, 0xffff, v5
	v_or_b32_e32 v8, 0x10000, v5
	s_delay_alu instid0(VALU_DEP_2) | instskip(SKIP_1) | instid1(VALU_DEP_1)
	v_cmp_eq_u32_e64 s7, 0, v4
	s_wait_alu 0xf1ff
	v_cndmask_b32_e64 v4, v8, v5, s7
; %bb.336:
	s_wait_alu 0xfffe
	s_or_b32 exec_lo, exec_lo, s11
	v_lshlrev_b32_e32 v5, 16, v37
	s_delay_alu instid0(VALU_DEP_1) | instskip(NEXT) | instid1(VALU_DEP_1)
	v_add_f32_e32 v8, 0, v5
	v_and_b32_e32 v5, 0x7f800000, v8
	s_delay_alu instid0(VALU_DEP_1)
	v_cmp_ne_u32_e64 s7, 0x7f800000, v5
                                        ; implicit-def: $vgpr5
	s_and_saveexec_b32 s11, s7
	s_wait_alu 0xfffe
	s_xor_b32 s7, exec_lo, s11
; %bb.337:
	v_bfe_u32 v5, v8, 16, 1
	s_delay_alu instid0(VALU_DEP_1)
	v_add3_u32 v5, v8, v5, 0x7fff
                                        ; implicit-def: $vgpr8
; %bb.338:
	s_wait_alu 0xfffe
	s_and_not1_saveexec_b32 s11, s7
; %bb.339:
	v_and_b32_e32 v5, 0xffff, v8
	v_or_b32_e32 v9, 0x10000, v8
	s_delay_alu instid0(VALU_DEP_2) | instskip(SKIP_1) | instid1(VALU_DEP_1)
	v_cmp_eq_u32_e64 s7, 0, v5
	s_wait_alu 0xf1ff
	v_cndmask_b32_e64 v5, v9, v8, s7
; %bb.340:
	s_wait_alu 0xfffe
	s_or_b32 exec_lo, exec_lo, s11
	v_cmp_lt_i32_e64 s7, -1, v4
	s_delay_alu instid0(VALU_DEP_2) | instskip(SKIP_4) | instid1(VALU_DEP_1)
	v_perm_b32 v4, v5, v4, 0x7060302
	s_and_not1_b32 s10, s10, exec_lo
	v_cndmask_b32_e64 v8, -1, 0xffff8000, s7
	v_cmp_lt_i32_e64 s7, -1, v5
	s_wait_alu 0xf1ff
	v_cndmask_b32_e64 v9, -1, 0xffff8000, s7
	s_delay_alu instid0(VALU_DEP_1) | instskip(NEXT) | instid1(VALU_DEP_1)
	v_perm_b32 v5, v9, v8, 0x5040100
	v_xor_b32_e32 v4, v5, v4
	s_delay_alu instid0(VALU_DEP_1) | instskip(NEXT) | instid1(VALU_DEP_1)
	v_lshrrev_b32_e32 v5, 16, v4
	v_cmp_le_u16_e64 s7, v4, v5
	s_and_b32 s7, s7, exec_lo
	s_wait_alu 0xfffe
	s_or_b32 s10, s10, s7
.LBB1961_341:
	s_wait_alu 0xfffe
	s_or_b32 exec_lo, exec_lo, s8
	v_cndmask_b32_e64 v4, v65, v64, s10
	v_cndmask_b32_e64 v5, v53, v52, s10
	s_mov_b32 s11, -1
	s_mov_b32 s8, -1
	s_mov_b32 s12, exec_lo
	v_add_nc_u32_e32 v8, 1, v4
	v_add_nc_u32_e32 v5, -1, v5
	v_lshl_add_u32 v4, v4, 3, v13
	s_delay_alu instid0(VALU_DEP_3) | instskip(NEXT) | instid1(VALU_DEP_3)
	v_cndmask_b32_e64 v15, v8, v65, s10
	v_min_u32_e32 v5, v8, v5
	v_cndmask_b32_e64 v16, v64, v8, s10
	s_delay_alu instid0(VALU_DEP_2)
	v_lshl_add_u32 v5, v5, 1, v10
	ds_load_u16 v9, v5
	ds_load_b64 v[4:5], v4 offset:4096
	s_wait_dscnt 0x1
	v_cndmask_b32_e64 v48, v9, v38, s10
	v_cndmask_b32_e64 v54, v37, v9, s10
	v_cmpx_lt_u32_e64 v15, v53
	s_cbranch_execz .LBB1961_353
; %bb.342:
	s_mov_b32 s13, 0
	s_mov_b32 s8, exec_lo
	v_cmpx_lt_u32_e64 v16, v52
	s_cbranch_execz .LBB1961_352
; %bb.343:
	v_lshlrev_b32_e32 v8, 16, v48
	s_delay_alu instid0(VALU_DEP_1) | instskip(NEXT) | instid1(VALU_DEP_1)
	v_add_f32_e32 v9, 0, v8
	v_and_b32_e32 v8, 0x7f800000, v9
	s_delay_alu instid0(VALU_DEP_1)
	v_cmp_ne_u32_e64 s7, 0x7f800000, v8
                                        ; implicit-def: $vgpr8
	s_and_saveexec_b32 s13, s7
	s_wait_alu 0xfffe
	s_xor_b32 s7, exec_lo, s13
; %bb.344:
	v_bfe_u32 v8, v9, 16, 1
	s_delay_alu instid0(VALU_DEP_1)
	v_add3_u32 v8, v9, v8, 0x7fff
                                        ; implicit-def: $vgpr9
; %bb.345:
	s_wait_alu 0xfffe
	s_and_not1_saveexec_b32 s13, s7
; %bb.346:
	v_and_b32_e32 v8, 0xffff, v9
	v_or_b32_e32 v17, 0x10000, v9
	s_delay_alu instid0(VALU_DEP_2) | instskip(SKIP_1) | instid1(VALU_DEP_1)
	v_cmp_eq_u32_e64 s7, 0, v8
	s_wait_alu 0xf1ff
	v_cndmask_b32_e64 v8, v17, v9, s7
; %bb.347:
	s_wait_alu 0xfffe
	s_or_b32 exec_lo, exec_lo, s13
	v_lshlrev_b32_e32 v9, 16, v54
	s_delay_alu instid0(VALU_DEP_1) | instskip(NEXT) | instid1(VALU_DEP_1)
	v_add_f32_e32 v17, 0, v9
	v_and_b32_e32 v9, 0x7f800000, v17
	s_delay_alu instid0(VALU_DEP_1)
	v_cmp_ne_u32_e64 s7, 0x7f800000, v9
                                        ; implicit-def: $vgpr9
	s_and_saveexec_b32 s13, s7
	s_wait_alu 0xfffe
	s_xor_b32 s7, exec_lo, s13
; %bb.348:
	v_bfe_u32 v9, v17, 16, 1
	s_delay_alu instid0(VALU_DEP_1)
	v_add3_u32 v9, v17, v9, 0x7fff
                                        ; implicit-def: $vgpr17
; %bb.349:
	s_wait_alu 0xfffe
	s_and_not1_saveexec_b32 s13, s7
; %bb.350:
	v_and_b32_e32 v9, 0xffff, v17
	v_or_b32_e32 v18, 0x10000, v17
	s_delay_alu instid0(VALU_DEP_2) | instskip(SKIP_1) | instid1(VALU_DEP_1)
	v_cmp_eq_u32_e64 s7, 0, v9
	s_wait_alu 0xf1ff
	v_cndmask_b32_e64 v9, v18, v17, s7
; %bb.351:
	s_wait_alu 0xfffe
	s_or_b32 exec_lo, exec_lo, s13
	v_cmp_lt_i32_e64 s7, -1, v8
	s_delay_alu instid0(VALU_DEP_2) | instskip(SKIP_1) | instid1(VALU_DEP_2)
	v_perm_b32 v8, v9, v8, 0x7060302
	s_wait_alu 0xf1ff
	v_cndmask_b32_e64 v17, -1, 0xffff8000, s7
	v_cmp_lt_i32_e64 s7, -1, v9
	s_wait_alu 0xf1ff
	s_delay_alu instid0(VALU_DEP_1) | instskip(NEXT) | instid1(VALU_DEP_1)
	v_cndmask_b32_e64 v18, -1, 0xffff8000, s7
	v_perm_b32 v9, v18, v17, 0x5040100
	s_delay_alu instid0(VALU_DEP_1) | instskip(NEXT) | instid1(VALU_DEP_1)
	v_xor_b32_e32 v8, v9, v8
	v_lshrrev_b32_e32 v9, 16, v8
	s_delay_alu instid0(VALU_DEP_1)
	v_cmp_le_u16_e64 s7, v8, v9
	s_and_b32 s13, s7, exec_lo
.LBB1961_352:
	s_wait_alu 0xfffe
	s_or_b32 exec_lo, exec_lo, s8
	s_delay_alu instid0(SALU_CYCLE_1)
	s_or_not1_b32 s8, s13, exec_lo
.LBB1961_353:
	s_wait_alu 0xfffe
	s_or_b32 exec_lo, exec_lo, s12
	v_cndmask_b32_e64 v8, v15, v16, s8
	v_cndmask_b32_e64 v9, v53, v52, s8
	s_mov_b32 s12, exec_lo
	s_delay_alu instid0(VALU_DEP_2) | instskip(NEXT) | instid1(VALU_DEP_2)
	v_add_nc_u32_e32 v18, 1, v8
	v_add_nc_u32_e32 v9, -1, v9
	v_lshl_add_u32 v8, v8, 3, v13
	s_delay_alu instid0(VALU_DEP_3) | instskip(NEXT) | instid1(VALU_DEP_3)
	v_cndmask_b32_e64 v17, v18, v15, s8
	v_min_u32_e32 v9, v18, v9
	v_cndmask_b32_e64 v18, v16, v18, s8
	s_delay_alu instid0(VALU_DEP_2)
	v_lshl_add_u32 v9, v9, 1, v10
	ds_load_u16 v19, v9
	ds_load_b64 v[8:9], v8 offset:4096
	s_wait_dscnt 0x1
	v_cndmask_b32_e64 v32, v19, v48, s8
	v_cndmask_b32_e64 v55, v54, v19, s8
	v_cmpx_lt_u32_e64 v17, v53
	s_cbranch_execz .LBB1961_365
; %bb.354:
	s_mov_b32 s13, 0
	s_mov_b32 s11, exec_lo
	v_cmpx_lt_u32_e64 v18, v52
	s_cbranch_execz .LBB1961_364
; %bb.355:
	v_lshlrev_b32_e32 v15, 16, v32
	s_delay_alu instid0(VALU_DEP_1) | instskip(NEXT) | instid1(VALU_DEP_1)
	v_add_f32_e32 v16, 0, v15
	v_and_b32_e32 v15, 0x7f800000, v16
	s_delay_alu instid0(VALU_DEP_1)
	v_cmp_ne_u32_e64 s7, 0x7f800000, v15
                                        ; implicit-def: $vgpr15
	s_and_saveexec_b32 s13, s7
	s_wait_alu 0xfffe
	s_xor_b32 s7, exec_lo, s13
; %bb.356:
	v_bfe_u32 v15, v16, 16, 1
	s_delay_alu instid0(VALU_DEP_1)
	v_add3_u32 v15, v16, v15, 0x7fff
                                        ; implicit-def: $vgpr16
; %bb.357:
	s_wait_alu 0xfffe
	s_and_not1_saveexec_b32 s13, s7
; %bb.358:
	v_and_b32_e32 v15, 0xffff, v16
	v_or_b32_e32 v19, 0x10000, v16
	s_delay_alu instid0(VALU_DEP_2) | instskip(SKIP_1) | instid1(VALU_DEP_1)
	v_cmp_eq_u32_e64 s7, 0, v15
	s_wait_alu 0xf1ff
	v_cndmask_b32_e64 v15, v19, v16, s7
; %bb.359:
	s_wait_alu 0xfffe
	s_or_b32 exec_lo, exec_lo, s13
	v_lshlrev_b32_e32 v16, 16, v55
	s_delay_alu instid0(VALU_DEP_1) | instskip(NEXT) | instid1(VALU_DEP_1)
	v_add_f32_e32 v19, 0, v16
	v_and_b32_e32 v16, 0x7f800000, v19
	s_delay_alu instid0(VALU_DEP_1)
	v_cmp_ne_u32_e64 s7, 0x7f800000, v16
                                        ; implicit-def: $vgpr16
	s_and_saveexec_b32 s13, s7
	s_wait_alu 0xfffe
	s_xor_b32 s7, exec_lo, s13
; %bb.360:
	v_bfe_u32 v16, v19, 16, 1
	s_delay_alu instid0(VALU_DEP_1)
	v_add3_u32 v16, v19, v16, 0x7fff
                                        ; implicit-def: $vgpr19
; %bb.361:
	s_wait_alu 0xfffe
	s_and_not1_saveexec_b32 s13, s7
; %bb.362:
	v_and_b32_e32 v16, 0xffff, v19
	v_or_b32_e32 v20, 0x10000, v19
	s_delay_alu instid0(VALU_DEP_2) | instskip(SKIP_1) | instid1(VALU_DEP_1)
	v_cmp_eq_u32_e64 s7, 0, v16
	s_wait_alu 0xf1ff
	v_cndmask_b32_e64 v16, v20, v19, s7
; %bb.363:
	s_wait_alu 0xfffe
	s_or_b32 exec_lo, exec_lo, s13
	v_cmp_lt_i32_e64 s7, -1, v15
	s_delay_alu instid0(VALU_DEP_2) | instskip(SKIP_1) | instid1(VALU_DEP_2)
	v_perm_b32 v15, v16, v15, 0x7060302
	s_wait_alu 0xf1ff
	v_cndmask_b32_e64 v19, -1, 0xffff8000, s7
	v_cmp_lt_i32_e64 s7, -1, v16
	s_wait_alu 0xf1ff
	s_delay_alu instid0(VALU_DEP_1) | instskip(NEXT) | instid1(VALU_DEP_1)
	v_cndmask_b32_e64 v20, -1, 0xffff8000, s7
	v_perm_b32 v16, v20, v19, 0x5040100
	s_delay_alu instid0(VALU_DEP_1) | instskip(NEXT) | instid1(VALU_DEP_1)
	v_xor_b32_e32 v15, v16, v15
	v_lshrrev_b32_e32 v16, 16, v15
	s_delay_alu instid0(VALU_DEP_1)
	v_cmp_le_u16_e64 s7, v15, v16
	s_and_b32 s13, s7, exec_lo
.LBB1961_364:
	s_wait_alu 0xfffe
	s_or_b32 exec_lo, exec_lo, s11
	s_delay_alu instid0(SALU_CYCLE_1)
	s_or_not1_b32 s11, s13, exec_lo
.LBB1961_365:
	s_wait_alu 0xfffe
	s_or_b32 exec_lo, exec_lo, s12
	v_cndmask_b32_e64 v15, v17, v18, s11
	v_cndmask_b32_e64 v16, v53, v52, s11
	s_mov_b32 s13, -1
	s_mov_b32 s12, -1
	s_mov_b32 s14, exec_lo
	v_add_nc_u32_e32 v20, 1, v15
	v_add_nc_u32_e32 v16, -1, v16
	v_lshl_add_u32 v15, v15, 3, v13
	s_delay_alu instid0(VALU_DEP_3) | instskip(NEXT) | instid1(VALU_DEP_3)
	v_cndmask_b32_e64 v19, v20, v17, s11
	v_min_u32_e32 v16, v20, v16
	v_cndmask_b32_e64 v20, v18, v20, s11
	s_delay_alu instid0(VALU_DEP_2)
	v_lshl_add_u32 v16, v16, 1, v10
	ds_load_u16 v21, v16
	ds_load_b64 v[15:16], v15 offset:4096
	s_wait_dscnt 0x1
	v_cndmask_b32_e64 v51, v21, v32, s11
	v_cndmask_b32_e64 v64, v55, v21, s11
	v_cmpx_lt_u32_e64 v19, v53
	s_cbranch_execz .LBB1961_377
; %bb.366:
	s_mov_b32 s15, 0
	s_mov_b32 s12, exec_lo
	v_cmpx_lt_u32_e64 v20, v52
	s_cbranch_execz .LBB1961_376
; %bb.367:
	v_lshlrev_b32_e32 v17, 16, v51
	s_delay_alu instid0(VALU_DEP_1) | instskip(NEXT) | instid1(VALU_DEP_1)
	v_add_f32_e32 v18, 0, v17
	v_and_b32_e32 v17, 0x7f800000, v18
	s_delay_alu instid0(VALU_DEP_1)
	v_cmp_ne_u32_e64 s7, 0x7f800000, v17
                                        ; implicit-def: $vgpr17
	s_and_saveexec_b32 s15, s7
	s_wait_alu 0xfffe
	s_xor_b32 s7, exec_lo, s15
; %bb.368:
	v_bfe_u32 v17, v18, 16, 1
	s_delay_alu instid0(VALU_DEP_1)
	v_add3_u32 v17, v18, v17, 0x7fff
                                        ; implicit-def: $vgpr18
; %bb.369:
	s_wait_alu 0xfffe
	s_and_not1_saveexec_b32 s15, s7
; %bb.370:
	v_and_b32_e32 v17, 0xffff, v18
	v_or_b32_e32 v21, 0x10000, v18
	s_delay_alu instid0(VALU_DEP_2) | instskip(SKIP_1) | instid1(VALU_DEP_1)
	v_cmp_eq_u32_e64 s7, 0, v17
	s_wait_alu 0xf1ff
	v_cndmask_b32_e64 v17, v21, v18, s7
; %bb.371:
	s_wait_alu 0xfffe
	s_or_b32 exec_lo, exec_lo, s15
	v_lshlrev_b32_e32 v18, 16, v64
	s_delay_alu instid0(VALU_DEP_1) | instskip(NEXT) | instid1(VALU_DEP_1)
	v_add_f32_e32 v21, 0, v18
	v_and_b32_e32 v18, 0x7f800000, v21
	s_delay_alu instid0(VALU_DEP_1)
	v_cmp_ne_u32_e64 s7, 0x7f800000, v18
                                        ; implicit-def: $vgpr18
	s_and_saveexec_b32 s15, s7
	s_wait_alu 0xfffe
	s_xor_b32 s7, exec_lo, s15
; %bb.372:
	v_bfe_u32 v18, v21, 16, 1
	s_delay_alu instid0(VALU_DEP_1)
	v_add3_u32 v18, v21, v18, 0x7fff
                                        ; implicit-def: $vgpr21
; %bb.373:
	s_wait_alu 0xfffe
	s_and_not1_saveexec_b32 s15, s7
; %bb.374:
	v_and_b32_e32 v18, 0xffff, v21
	v_or_b32_e32 v22, 0x10000, v21
	s_delay_alu instid0(VALU_DEP_2) | instskip(SKIP_1) | instid1(VALU_DEP_1)
	v_cmp_eq_u32_e64 s7, 0, v18
	s_wait_alu 0xf1ff
	v_cndmask_b32_e64 v18, v22, v21, s7
; %bb.375:
	s_wait_alu 0xfffe
	s_or_b32 exec_lo, exec_lo, s15
	v_cmp_lt_i32_e64 s7, -1, v17
	s_delay_alu instid0(VALU_DEP_2) | instskip(SKIP_1) | instid1(VALU_DEP_2)
	v_perm_b32 v17, v18, v17, 0x7060302
	s_wait_alu 0xf1ff
	v_cndmask_b32_e64 v21, -1, 0xffff8000, s7
	v_cmp_lt_i32_e64 s7, -1, v18
	s_wait_alu 0xf1ff
	s_delay_alu instid0(VALU_DEP_1) | instskip(NEXT) | instid1(VALU_DEP_1)
	v_cndmask_b32_e64 v22, -1, 0xffff8000, s7
	v_perm_b32 v18, v22, v21, 0x5040100
	s_delay_alu instid0(VALU_DEP_1) | instskip(NEXT) | instid1(VALU_DEP_1)
	v_xor_b32_e32 v17, v18, v17
	v_lshrrev_b32_e32 v18, 16, v17
	s_delay_alu instid0(VALU_DEP_1)
	v_cmp_le_u16_e64 s7, v17, v18
	s_and_b32 s15, s7, exec_lo
.LBB1961_376:
	s_wait_alu 0xfffe
	s_or_b32 exec_lo, exec_lo, s12
	s_delay_alu instid0(SALU_CYCLE_1)
	s_or_not1_b32 s12, s15, exec_lo
.LBB1961_377:
	s_wait_alu 0xfffe
	s_or_b32 exec_lo, exec_lo, s14
	v_cndmask_b32_e64 v17, v19, v20, s12
	v_cndmask_b32_e64 v18, v53, v52, s12
	s_mov_b32 s14, exec_lo
	s_delay_alu instid0(VALU_DEP_2) | instskip(NEXT) | instid1(VALU_DEP_2)
	v_add_nc_u32_e32 v22, 1, v17
	v_add_nc_u32_e32 v18, -1, v18
	v_lshl_add_u32 v17, v17, 3, v13
	s_delay_alu instid0(VALU_DEP_3) | instskip(NEXT) | instid1(VALU_DEP_3)
	v_cndmask_b32_e64 v21, v22, v19, s12
	v_min_u32_e32 v18, v22, v18
	v_cndmask_b32_e64 v22, v20, v22, s12
	s_delay_alu instid0(VALU_DEP_2)
	v_lshl_add_u32 v18, v18, 1, v10
	ds_load_u16 v23, v18
	ds_load_b64 v[17:18], v17 offset:4096
	s_wait_dscnt 0x1
	v_cndmask_b32_e64 v49, v23, v51, s12
	v_cndmask_b32_e64 v65, v64, v23, s12
	v_cmpx_lt_u32_e64 v21, v53
	s_cbranch_execz .LBB1961_389
; %bb.378:
	s_mov_b32 s15, 0
	s_mov_b32 s13, exec_lo
	v_cmpx_lt_u32_e64 v22, v52
	s_cbranch_execz .LBB1961_388
; %bb.379:
	v_lshlrev_b32_e32 v19, 16, v49
	s_delay_alu instid0(VALU_DEP_1) | instskip(NEXT) | instid1(VALU_DEP_1)
	v_add_f32_e32 v20, 0, v19
	v_and_b32_e32 v19, 0x7f800000, v20
	s_delay_alu instid0(VALU_DEP_1)
	v_cmp_ne_u32_e64 s7, 0x7f800000, v19
                                        ; implicit-def: $vgpr19
	s_and_saveexec_b32 s15, s7
	s_wait_alu 0xfffe
	s_xor_b32 s7, exec_lo, s15
; %bb.380:
	v_bfe_u32 v19, v20, 16, 1
	s_delay_alu instid0(VALU_DEP_1)
	v_add3_u32 v19, v20, v19, 0x7fff
                                        ; implicit-def: $vgpr20
; %bb.381:
	s_wait_alu 0xfffe
	s_and_not1_saveexec_b32 s15, s7
; %bb.382:
	v_and_b32_e32 v19, 0xffff, v20
	v_or_b32_e32 v23, 0x10000, v20
	s_delay_alu instid0(VALU_DEP_2) | instskip(SKIP_1) | instid1(VALU_DEP_1)
	v_cmp_eq_u32_e64 s7, 0, v19
	s_wait_alu 0xf1ff
	v_cndmask_b32_e64 v19, v23, v20, s7
; %bb.383:
	s_wait_alu 0xfffe
	s_or_b32 exec_lo, exec_lo, s15
	v_lshlrev_b32_e32 v20, 16, v65
	s_delay_alu instid0(VALU_DEP_1) | instskip(NEXT) | instid1(VALU_DEP_1)
	v_add_f32_e32 v23, 0, v20
	v_and_b32_e32 v20, 0x7f800000, v23
	s_delay_alu instid0(VALU_DEP_1)
	v_cmp_ne_u32_e64 s7, 0x7f800000, v20
                                        ; implicit-def: $vgpr20
	s_and_saveexec_b32 s15, s7
	s_wait_alu 0xfffe
	s_xor_b32 s7, exec_lo, s15
; %bb.384:
	v_bfe_u32 v20, v23, 16, 1
	s_delay_alu instid0(VALU_DEP_1)
	v_add3_u32 v20, v23, v20, 0x7fff
                                        ; implicit-def: $vgpr23
; %bb.385:
	s_wait_alu 0xfffe
	s_and_not1_saveexec_b32 s15, s7
; %bb.386:
	v_and_b32_e32 v20, 0xffff, v23
	v_or_b32_e32 v24, 0x10000, v23
	s_delay_alu instid0(VALU_DEP_2) | instskip(SKIP_1) | instid1(VALU_DEP_1)
	v_cmp_eq_u32_e64 s7, 0, v20
	s_wait_alu 0xf1ff
	v_cndmask_b32_e64 v20, v24, v23, s7
; %bb.387:
	s_wait_alu 0xfffe
	s_or_b32 exec_lo, exec_lo, s15
	v_cmp_lt_i32_e64 s7, -1, v19
	s_delay_alu instid0(VALU_DEP_2) | instskip(SKIP_1) | instid1(VALU_DEP_2)
	v_perm_b32 v19, v20, v19, 0x7060302
	s_wait_alu 0xf1ff
	v_cndmask_b32_e64 v23, -1, 0xffff8000, s7
	v_cmp_lt_i32_e64 s7, -1, v20
	s_wait_alu 0xf1ff
	s_delay_alu instid0(VALU_DEP_1) | instskip(NEXT) | instid1(VALU_DEP_1)
	v_cndmask_b32_e64 v24, -1, 0xffff8000, s7
	v_perm_b32 v20, v24, v23, 0x5040100
	s_delay_alu instid0(VALU_DEP_1) | instskip(NEXT) | instid1(VALU_DEP_1)
	v_xor_b32_e32 v19, v20, v19
	v_lshrrev_b32_e32 v20, 16, v19
	s_delay_alu instid0(VALU_DEP_1)
	v_cmp_le_u16_e64 s7, v19, v20
	s_and_b32 s15, s7, exec_lo
.LBB1961_388:
	s_wait_alu 0xfffe
	s_or_b32 exec_lo, exec_lo, s13
	s_delay_alu instid0(SALU_CYCLE_1)
	s_or_not1_b32 s13, s15, exec_lo
.LBB1961_389:
	s_wait_alu 0xfffe
	s_or_b32 exec_lo, exec_lo, s14
	v_cndmask_b32_e64 v19, v21, v22, s13
	v_cndmask_b32_e64 v20, v53, v52, s13
	s_mov_b32 s15, -1
	s_mov_b32 s14, -1
	s_mov_b32 s16, exec_lo
	v_add_nc_u32_e32 v23, 1, v19
	v_add_nc_u32_e32 v20, -1, v20
	v_lshl_add_u32 v19, v19, 3, v13
	s_delay_alu instid0(VALU_DEP_3) | instskip(NEXT) | instid1(VALU_DEP_3)
	v_cndmask_b32_e64 v21, v23, v21, s13
	v_min_u32_e32 v20, v23, v20
	v_cndmask_b32_e64 v22, v22, v23, s13
	s_delay_alu instid0(VALU_DEP_2)
	v_lshl_add_u32 v20, v20, 1, v10
	ds_load_u16 v24, v20
	ds_load_b64 v[19:20], v19 offset:4096
	s_wait_dscnt 0x1
	v_cndmask_b32_e64 v39, v24, v49, s13
	v_cndmask_b32_e64 v66, v65, v24, s13
	v_cmpx_lt_u32_e64 v21, v53
	s_cbranch_execz .LBB1961_401
; %bb.390:
	s_mov_b32 s17, 0
	s_mov_b32 s14, exec_lo
	v_cmpx_lt_u32_e64 v22, v52
	s_cbranch_execz .LBB1961_400
; %bb.391:
	v_lshlrev_b32_e32 v23, 16, v39
	s_delay_alu instid0(VALU_DEP_1) | instskip(NEXT) | instid1(VALU_DEP_1)
	v_add_f32_e32 v24, 0, v23
	v_and_b32_e32 v23, 0x7f800000, v24
	s_delay_alu instid0(VALU_DEP_1)
	v_cmp_ne_u32_e64 s7, 0x7f800000, v23
                                        ; implicit-def: $vgpr23
	s_and_saveexec_b32 s17, s7
	s_wait_alu 0xfffe
	s_xor_b32 s7, exec_lo, s17
; %bb.392:
	v_bfe_u32 v23, v24, 16, 1
	s_delay_alu instid0(VALU_DEP_1)
	v_add3_u32 v23, v24, v23, 0x7fff
                                        ; implicit-def: $vgpr24
; %bb.393:
	s_wait_alu 0xfffe
	s_and_not1_saveexec_b32 s17, s7
; %bb.394:
	v_and_b32_e32 v23, 0xffff, v24
	v_or_b32_e32 v25, 0x10000, v24
	s_delay_alu instid0(VALU_DEP_2) | instskip(SKIP_1) | instid1(VALU_DEP_1)
	v_cmp_eq_u32_e64 s7, 0, v23
	s_wait_alu 0xf1ff
	v_cndmask_b32_e64 v23, v25, v24, s7
; %bb.395:
	s_wait_alu 0xfffe
	s_or_b32 exec_lo, exec_lo, s17
	v_lshlrev_b32_e32 v24, 16, v66
	s_delay_alu instid0(VALU_DEP_1) | instskip(NEXT) | instid1(VALU_DEP_1)
	v_add_f32_e32 v25, 0, v24
	v_and_b32_e32 v24, 0x7f800000, v25
	s_delay_alu instid0(VALU_DEP_1)
	v_cmp_ne_u32_e64 s7, 0x7f800000, v24
                                        ; implicit-def: $vgpr24
	s_and_saveexec_b32 s17, s7
	s_wait_alu 0xfffe
	s_xor_b32 s7, exec_lo, s17
; %bb.396:
	v_bfe_u32 v24, v25, 16, 1
	s_delay_alu instid0(VALU_DEP_1)
	v_add3_u32 v24, v25, v24, 0x7fff
                                        ; implicit-def: $vgpr25
; %bb.397:
	s_wait_alu 0xfffe
	s_and_not1_saveexec_b32 s17, s7
; %bb.398:
	v_and_b32_e32 v24, 0xffff, v25
	v_or_b32_e32 v26, 0x10000, v25
	s_delay_alu instid0(VALU_DEP_2) | instskip(SKIP_1) | instid1(VALU_DEP_1)
	v_cmp_eq_u32_e64 s7, 0, v24
	s_wait_alu 0xf1ff
	v_cndmask_b32_e64 v24, v26, v25, s7
; %bb.399:
	s_wait_alu 0xfffe
	s_or_b32 exec_lo, exec_lo, s17
	v_cmp_lt_i32_e64 s7, -1, v23
	s_delay_alu instid0(VALU_DEP_2) | instskip(SKIP_1) | instid1(VALU_DEP_2)
	v_perm_b32 v23, v24, v23, 0x7060302
	s_wait_alu 0xf1ff
	v_cndmask_b32_e64 v25, -1, 0xffff8000, s7
	v_cmp_lt_i32_e64 s7, -1, v24
	s_wait_alu 0xf1ff
	s_delay_alu instid0(VALU_DEP_1) | instskip(NEXT) | instid1(VALU_DEP_1)
	v_cndmask_b32_e64 v26, -1, 0xffff8000, s7
	v_perm_b32 v24, v26, v25, 0x5040100
	s_delay_alu instid0(VALU_DEP_1) | instskip(NEXT) | instid1(VALU_DEP_1)
	v_xor_b32_e32 v23, v24, v23
	v_lshrrev_b32_e32 v24, 16, v23
	s_delay_alu instid0(VALU_DEP_1)
	v_cmp_le_u16_e64 s7, v23, v24
	s_and_b32 s17, s7, exec_lo
.LBB1961_400:
	s_wait_alu 0xfffe
	s_or_b32 exec_lo, exec_lo, s14
	s_delay_alu instid0(SALU_CYCLE_1)
	s_or_not1_b32 s14, s17, exec_lo
.LBB1961_401:
	s_wait_alu 0xfffe
	s_or_b32 exec_lo, exec_lo, s16
	v_cndmask_b32_e64 v23, v21, v22, s14
	v_cndmask_b32_e64 v24, v53, v52, s14
	s_mov_b32 s16, exec_lo
	s_delay_alu instid0(VALU_DEP_2) | instskip(NEXT) | instid1(VALU_DEP_2)
	v_add_nc_u32_e32 v26, 1, v23
	v_add_nc_u32_e32 v24, -1, v24
	v_lshl_add_u32 v23, v23, 3, v13
	s_delay_alu instid0(VALU_DEP_3) | instskip(NEXT) | instid1(VALU_DEP_3)
	v_cndmask_b32_e64 v25, v26, v21, s14
	v_min_u32_e32 v24, v26, v24
	v_cndmask_b32_e64 v26, v22, v26, s14
	s_delay_alu instid0(VALU_DEP_2)
	v_lshl_add_u32 v24, v24, 1, v10
	ds_load_u16 v67, v24
	ds_load_b64 v[23:24], v23 offset:4096
	s_wait_dscnt 0x1
	v_cndmask_b32_e64 v50, v67, v39, s14
	v_cndmask_b32_e64 v67, v66, v67, s14
	v_cmpx_lt_u32_e64 v25, v53
	s_cbranch_execz .LBB1961_413
; %bb.402:
	s_mov_b32 s17, 0
	s_mov_b32 s15, exec_lo
	v_cmpx_lt_u32_e64 v26, v52
	s_cbranch_execz .LBB1961_412
; %bb.403:
	v_lshlrev_b32_e32 v21, 16, v50
	s_delay_alu instid0(VALU_DEP_1) | instskip(NEXT) | instid1(VALU_DEP_1)
	v_add_f32_e32 v22, 0, v21
	v_and_b32_e32 v21, 0x7f800000, v22
	s_delay_alu instid0(VALU_DEP_1)
	v_cmp_ne_u32_e64 s7, 0x7f800000, v21
                                        ; implicit-def: $vgpr21
	s_and_saveexec_b32 s17, s7
	s_wait_alu 0xfffe
	s_xor_b32 s7, exec_lo, s17
; %bb.404:
	v_bfe_u32 v21, v22, 16, 1
	s_delay_alu instid0(VALU_DEP_1)
	v_add3_u32 v21, v22, v21, 0x7fff
                                        ; implicit-def: $vgpr22
; %bb.405:
	s_wait_alu 0xfffe
	s_and_not1_saveexec_b32 s17, s7
; %bb.406:
	v_and_b32_e32 v21, 0xffff, v22
	v_or_b32_e32 v68, 0x10000, v22
	s_delay_alu instid0(VALU_DEP_2) | instskip(SKIP_1) | instid1(VALU_DEP_1)
	v_cmp_eq_u32_e64 s7, 0, v21
	s_wait_alu 0xf1ff
	v_cndmask_b32_e64 v21, v68, v22, s7
; %bb.407:
	s_wait_alu 0xfffe
	s_or_b32 exec_lo, exec_lo, s17
	v_lshlrev_b32_e32 v22, 16, v67
	s_delay_alu instid0(VALU_DEP_1) | instskip(NEXT) | instid1(VALU_DEP_1)
	v_add_f32_e32 v68, 0, v22
	v_and_b32_e32 v22, 0x7f800000, v68
	s_delay_alu instid0(VALU_DEP_1)
	v_cmp_ne_u32_e64 s7, 0x7f800000, v22
                                        ; implicit-def: $vgpr22
	s_and_saveexec_b32 s17, s7
	s_wait_alu 0xfffe
	s_xor_b32 s7, exec_lo, s17
; %bb.408:
	v_bfe_u32 v22, v68, 16, 1
	s_delay_alu instid0(VALU_DEP_1)
	v_add3_u32 v22, v68, v22, 0x7fff
                                        ; implicit-def: $vgpr68
; %bb.409:
	s_wait_alu 0xfffe
	s_and_not1_saveexec_b32 s17, s7
; %bb.410:
	v_and_b32_e32 v22, 0xffff, v68
	v_or_b32_e32 v69, 0x10000, v68
	s_delay_alu instid0(VALU_DEP_2) | instskip(SKIP_1) | instid1(VALU_DEP_1)
	v_cmp_eq_u32_e64 s7, 0, v22
	s_wait_alu 0xf1ff
	v_cndmask_b32_e64 v22, v69, v68, s7
; %bb.411:
	s_wait_alu 0xfffe
	s_or_b32 exec_lo, exec_lo, s17
	v_cmp_lt_i32_e64 s7, -1, v21
	s_delay_alu instid0(VALU_DEP_2) | instskip(SKIP_1) | instid1(VALU_DEP_2)
	v_perm_b32 v21, v22, v21, 0x7060302
	s_wait_alu 0xf1ff
	v_cndmask_b32_e64 v68, -1, 0xffff8000, s7
	v_cmp_lt_i32_e64 s7, -1, v22
	s_wait_alu 0xf1ff
	s_delay_alu instid0(VALU_DEP_1) | instskip(NEXT) | instid1(VALU_DEP_1)
	v_cndmask_b32_e64 v69, -1, 0xffff8000, s7
	v_perm_b32 v22, v69, v68, 0x5040100
	s_delay_alu instid0(VALU_DEP_1) | instskip(NEXT) | instid1(VALU_DEP_1)
	v_xor_b32_e32 v21, v22, v21
	v_lshrrev_b32_e32 v22, 16, v21
	s_delay_alu instid0(VALU_DEP_1)
	v_cmp_le_u16_e64 s7, v21, v22
	s_and_b32 s17, s7, exec_lo
.LBB1961_412:
	s_wait_alu 0xfffe
	s_or_b32 exec_lo, exec_lo, s15
	s_delay_alu instid0(SALU_CYCLE_1)
	s_or_not1_b32 s15, s17, exec_lo
.LBB1961_413:
	s_wait_alu 0xfffe
	s_or_b32 exec_lo, exec_lo, s16
	v_cndmask_b32_e64 v21, v25, v26, s15
	v_cndmask_b32_e64 v22, v53, v52, s15
	s_mov_b32 s17, -1
	s_mov_b32 s16, exec_lo
	s_delay_alu instid0(VALU_DEP_2) | instskip(NEXT) | instid1(VALU_DEP_2)
	v_add_nc_u32_e32 v68, 1, v21
	v_add_nc_u32_e32 v22, -1, v22
	v_lshl_add_u32 v21, v21, 3, v13
	s_delay_alu instid0(VALU_DEP_3) | instskip(NEXT) | instid1(VALU_DEP_3)
	v_cndmask_b32_e64 v25, v68, v25, s15
	v_min_u32_e32 v22, v68, v22
	v_cndmask_b32_e64 v26, v26, v68, s15
	s_delay_alu instid0(VALU_DEP_2)
	v_lshl_add_u32 v22, v22, 1, v10
	ds_load_u16 v69, v22
	ds_load_b64 v[21:22], v21 offset:4096
	s_wait_dscnt 0x1
	v_cndmask_b32_e64 v68, v69, v50, s15
	v_cndmask_b32_e64 v69, v67, v69, s15
	v_cmpx_lt_u32_e64 v25, v53
	s_cbranch_execz .LBB1961_425
; %bb.414:
	s_mov_b32 s18, 0
	s_mov_b32 s17, exec_lo
	v_cmpx_lt_u32_e64 v26, v52
	s_cbranch_execz .LBB1961_424
; %bb.415:
	v_lshlrev_b32_e32 v52, 16, v68
	s_delay_alu instid0(VALU_DEP_1) | instskip(NEXT) | instid1(VALU_DEP_1)
	v_add_f32_e32 v53, 0, v52
	v_and_b32_e32 v52, 0x7f800000, v53
	s_delay_alu instid0(VALU_DEP_1)
	v_cmp_ne_u32_e64 s7, 0x7f800000, v52
                                        ; implicit-def: $vgpr52
	s_and_saveexec_b32 s18, s7
	s_wait_alu 0xfffe
	s_xor_b32 s7, exec_lo, s18
; %bb.416:
	v_bfe_u32 v52, v53, 16, 1
	s_delay_alu instid0(VALU_DEP_1)
	v_add3_u32 v52, v53, v52, 0x7fff
                                        ; implicit-def: $vgpr53
; %bb.417:
	s_wait_alu 0xfffe
	s_and_not1_saveexec_b32 s18, s7
; %bb.418:
	v_and_b32_e32 v52, 0xffff, v53
	v_or_b32_e32 v70, 0x10000, v53
	s_delay_alu instid0(VALU_DEP_2) | instskip(SKIP_1) | instid1(VALU_DEP_1)
	v_cmp_eq_u32_e64 s7, 0, v52
	s_wait_alu 0xf1ff
	v_cndmask_b32_e64 v52, v70, v53, s7
; %bb.419:
	s_wait_alu 0xfffe
	s_or_b32 exec_lo, exec_lo, s18
	v_lshlrev_b32_e32 v53, 16, v69
	s_delay_alu instid0(VALU_DEP_1) | instskip(NEXT) | instid1(VALU_DEP_1)
	v_add_f32_e32 v70, 0, v53
	v_and_b32_e32 v53, 0x7f800000, v70
	s_delay_alu instid0(VALU_DEP_1)
	v_cmp_ne_u32_e64 s7, 0x7f800000, v53
                                        ; implicit-def: $vgpr53
	s_and_saveexec_b32 s18, s7
	s_wait_alu 0xfffe
	s_xor_b32 s7, exec_lo, s18
; %bb.420:
	v_bfe_u32 v53, v70, 16, 1
	s_delay_alu instid0(VALU_DEP_1)
	v_add3_u32 v53, v70, v53, 0x7fff
                                        ; implicit-def: $vgpr70
; %bb.421:
	s_wait_alu 0xfffe
	s_and_not1_saveexec_b32 s18, s7
; %bb.422:
	v_and_b32_e32 v53, 0xffff, v70
	v_or_b32_e32 v71, 0x10000, v70
	s_delay_alu instid0(VALU_DEP_2) | instskip(SKIP_1) | instid1(VALU_DEP_1)
	v_cmp_eq_u32_e64 s7, 0, v53
	s_wait_alu 0xf1ff
	v_cndmask_b32_e64 v53, v71, v70, s7
; %bb.423:
	s_wait_alu 0xfffe
	s_or_b32 exec_lo, exec_lo, s18
	v_cmp_lt_i32_e64 s7, -1, v52
	s_delay_alu instid0(VALU_DEP_2) | instskip(SKIP_1) | instid1(VALU_DEP_2)
	v_perm_b32 v52, v53, v52, 0x7060302
	s_wait_alu 0xf1ff
	v_cndmask_b32_e64 v70, -1, 0xffff8000, s7
	v_cmp_lt_i32_e64 s7, -1, v53
	s_wait_alu 0xf1ff
	s_delay_alu instid0(VALU_DEP_1) | instskip(NEXT) | instid1(VALU_DEP_1)
	v_cndmask_b32_e64 v71, -1, 0xffff8000, s7
	v_perm_b32 v53, v71, v70, 0x5040100
	s_delay_alu instid0(VALU_DEP_1) | instskip(NEXT) | instid1(VALU_DEP_1)
	v_xor_b32_e32 v52, v53, v52
	v_lshrrev_b32_e32 v53, 16, v52
	s_delay_alu instid0(VALU_DEP_1)
	v_cmp_le_u16_e64 s7, v52, v53
	s_and_b32 s18, s7, exec_lo
.LBB1961_424:
	s_wait_alu 0xfffe
	s_or_b32 exec_lo, exec_lo, s17
	s_delay_alu instid0(SALU_CYCLE_1)
	s_or_not1_b32 s17, s18, exec_lo
.LBB1961_425:
	s_wait_alu 0xfffe
	s_or_b32 exec_lo, exec_lo, s16
	v_cndmask_b32_e64 v25, v25, v26, s17
	v_cndmask_b32_e64 v50, v50, v67, s15
	;; [unrolled: 1-line block ×5, first 2 shown]
	v_lshl_add_u32 v25, v25, 3, v13
	v_cndmask_b32_e64 v32, v32, v55, s11
	v_cndmask_b32_e64 v48, v48, v54, s8
	;; [unrolled: 1-line block ×4, first 2 shown]
	ds_load_b64 v[25:26], v25 offset:4096
.LBB1961_426:
	s_wait_alu 0xfffe
	s_or_b32 exec_lo, exec_lo, s9
	v_and_b32_e32 v64, 0xe0, v36
	v_and_b32_e32 v54, 24, v36
	v_perm_b32 v68, v38, v50, 0x5040100
	v_perm_b32 v67, v39, v49, 0x5040100
	v_perm_b32 v70, v51, v32, 0x5040100
	v_or_b32_e32 v52, 16, v64
	v_min_u32_e32 v65, v27, v54
	v_perm_b32 v69, v48, v37, 0x5040100
	s_mov_b32 s8, exec_lo
	s_delay_alu instid0(VALU_DEP_3)
	v_min_u32_e32 v52, v27, v52
	; wave barrier
	ds_store_2addr_b64 v30, v[15:16], v[17:18] offset1:1
	ds_store_2addr_b64 v31, v[19:20], v[23:24] offset1:1
	;; [unrolled: 1-line block ×4, first 2 shown]
	s_wait_dscnt 0x4
	ds_store_2addr_b64 v28, v[21:22], v[25:26] offset1:1
	v_add_nc_u32_e32 v53, 16, v52
	v_sub_nc_u32_e32 v54, v52, v64
	; wave barrier
	s_delay_alu instid0(VALU_DEP_2) | instskip(NEXT) | instid1(VALU_DEP_2)
	v_min_u32_e32 v53, v27, v53
	v_min_u32_e32 v66, v65, v54
	s_delay_alu instid0(VALU_DEP_2) | instskip(NEXT) | instid1(VALU_DEP_1)
	v_sub_nc_u32_e32 v55, v53, v52
	v_sub_nc_u32_e64 v54, v65, v55 clamp
	v_lshl_add_u32 v55, v64, 1, v10
	s_delay_alu instid0(VALU_DEP_2)
	v_cmpx_lt_u32_e64 v54, v66
	s_cbranch_execz .LBB1961_438
; %bb.427:
	v_lshlrev_b32_e32 v67, 1, v52
	v_lshlrev_b32_e32 v68, 1, v65
	s_mov_b32 s9, 0
	s_delay_alu instid0(VALU_DEP_1)
	v_add3_u32 v67, v10, v67, v68
	s_branch .LBB1961_429
.LBB1961_428:                           ;   in Loop: Header=BB1961_429 Depth=1
	s_wait_alu 0xfffe
	s_or_b32 exec_lo, exec_lo, s10
	v_cmp_lt_i32_e64 s7, -1, v69
	v_lshrrev_b32_e32 v71, 16, v69
	v_lshrrev_b32_e32 v80, 16, v70
	s_wait_alu 0xf1ff
	s_delay_alu instid0(VALU_DEP_3) | instskip(SKIP_1) | instid1(VALU_DEP_2)
	v_cndmask_b32_e64 v69, -1, 0xffff8000, s7
	v_cmp_lt_i32_e64 s7, -1, v70
	v_xor_b32_e32 v69, v69, v71
	s_wait_alu 0xf1ff
	s_delay_alu instid0(VALU_DEP_2) | instskip(SKIP_1) | instid1(VALU_DEP_2)
	v_cndmask_b32_e64 v70, -1, 0xffff8000, s7
	v_add_nc_u32_e32 v71, 1, v68
	v_xor_b32_e32 v70, v70, v80
	s_delay_alu instid0(VALU_DEP_1) | instskip(SKIP_1) | instid1(VALU_DEP_1)
	v_cmp_gt_u16_e64 s7, v69, v70
	s_wait_alu 0xf1ff
	v_cndmask_b32_e64 v66, v66, v68, s7
	v_cndmask_b32_e64 v54, v71, v54, s7
	s_delay_alu instid0(VALU_DEP_1)
	v_cmp_ge_u32_e64 s7, v54, v66
	s_or_b32 s9, s7, s9
	s_wait_alu 0xfffe
	s_and_not1_b32 exec_lo, exec_lo, s9
	s_cbranch_execz .LBB1961_437
.LBB1961_429:                           ; =>This Inner Loop Header: Depth=1
	v_add_nc_u32_e32 v69, v66, v54
	s_delay_alu instid0(VALU_DEP_1) | instskip(SKIP_1) | instid1(VALU_DEP_2)
	v_lshrrev_b32_e32 v68, 1, v69
	v_and_b32_e32 v69, -2, v69
	v_not_b32_e32 v70, v68
	s_delay_alu instid0(VALU_DEP_2) | instskip(NEXT) | instid1(VALU_DEP_2)
	v_add_nc_u32_e32 v69, v55, v69
	v_lshl_add_u32 v70, v70, 1, v67
	ds_load_u16 v71, v70
	ds_load_u16 v70, v69
	s_wait_dscnt 0x1
	v_lshlrev_b32_e32 v69, 16, v71
	s_delay_alu instid0(VALU_DEP_1) | instskip(NEXT) | instid1(VALU_DEP_1)
	v_add_f32_e32 v71, 0, v69
	v_and_b32_e32 v69, 0x7f800000, v71
	s_delay_alu instid0(VALU_DEP_1)
	v_cmp_ne_u32_e64 s7, 0x7f800000, v69
                                        ; implicit-def: $vgpr69
	s_and_saveexec_b32 s10, s7
	s_wait_alu 0xfffe
	s_xor_b32 s7, exec_lo, s10
; %bb.430:                              ;   in Loop: Header=BB1961_429 Depth=1
	v_bfe_u32 v69, v71, 16, 1
	s_delay_alu instid0(VALU_DEP_1)
	v_add3_u32 v69, v71, v69, 0x7fff
                                        ; implicit-def: $vgpr71
; %bb.431:                              ;   in Loop: Header=BB1961_429 Depth=1
	s_wait_alu 0xfffe
	s_and_not1_saveexec_b32 s10, s7
; %bb.432:                              ;   in Loop: Header=BB1961_429 Depth=1
	v_and_b32_e32 v69, 0xffff, v71
	v_or_b32_e32 v80, 0x10000, v71
	s_delay_alu instid0(VALU_DEP_2) | instskip(SKIP_1) | instid1(VALU_DEP_1)
	v_cmp_eq_u32_e64 s7, 0, v69
	s_wait_alu 0xf1ff
	v_cndmask_b32_e64 v69, v80, v71, s7
; %bb.433:                              ;   in Loop: Header=BB1961_429 Depth=1
	s_wait_alu 0xfffe
	s_or_b32 exec_lo, exec_lo, s10
	s_wait_dscnt 0x0
	v_lshlrev_b32_e32 v70, 16, v70
	s_delay_alu instid0(VALU_DEP_1) | instskip(NEXT) | instid1(VALU_DEP_1)
	v_add_f32_e32 v71, 0, v70
	v_and_b32_e32 v70, 0x7f800000, v71
	s_delay_alu instid0(VALU_DEP_1)
	v_cmp_ne_u32_e64 s7, 0x7f800000, v70
                                        ; implicit-def: $vgpr70
	s_and_saveexec_b32 s10, s7
	s_wait_alu 0xfffe
	s_xor_b32 s7, exec_lo, s10
; %bb.434:                              ;   in Loop: Header=BB1961_429 Depth=1
	v_bfe_u32 v70, v71, 16, 1
	s_delay_alu instid0(VALU_DEP_1)
	v_add3_u32 v70, v71, v70, 0x7fff
                                        ; implicit-def: $vgpr71
; %bb.435:                              ;   in Loop: Header=BB1961_429 Depth=1
	s_wait_alu 0xfffe
	s_and_not1_saveexec_b32 s10, s7
	s_cbranch_execz .LBB1961_428
; %bb.436:                              ;   in Loop: Header=BB1961_429 Depth=1
	v_and_b32_e32 v70, 0xffff, v71
	v_or_b32_e32 v80, 0x10000, v71
	s_delay_alu instid0(VALU_DEP_2) | instskip(SKIP_1) | instid1(VALU_DEP_1)
	v_cmp_eq_u32_e64 s7, 0, v70
	s_wait_alu 0xf1ff
	v_cndmask_b32_e64 v70, v80, v71, s7
	s_branch .LBB1961_428
.LBB1961_437:
	s_or_b32 exec_lo, exec_lo, s9
.LBB1961_438:
	s_wait_alu 0xfffe
	s_or_b32 exec_lo, exec_lo, s8
	v_add_nc_u32_e32 v65, v52, v65
	v_add_nc_u32_e32 v64, v54, v64
	s_delay_alu instid0(VALU_DEP_2) | instskip(NEXT) | instid1(VALU_DEP_2)
	v_sub_nc_u32_e32 v65, v65, v54
	v_cmp_le_u32_e64 s7, v64, v52
	s_delay_alu instid0(VALU_DEP_2)
	v_cmp_le_u32_e64 s8, v65, v53
	s_or_b32 s7, s7, s8
	s_wait_alu 0xfffe
	s_and_saveexec_b32 s9, s7
	s_cbranch_execz .LBB1961_538
; %bb.439:
	v_cmp_ge_u32_e64 s7, v64, v52
	s_mov_b32 s10, exec_lo
                                        ; implicit-def: $vgpr37
	v_cmpx_lt_u32_e64 v64, v52
; %bb.440:
	v_lshl_add_u32 v4, v54, 1, v55
	ds_load_u16 v37, v4
; %bb.441:
	s_wait_alu 0xfffe
	s_or_b32 exec_lo, exec_lo, s10
	v_cmp_ge_u32_e64 s10, v65, v53
	s_mov_b32 s11, exec_lo
                                        ; implicit-def: $vgpr38
	v_cmpx_lt_u32_e64 v65, v53
; %bb.442:
	v_lshl_add_u32 v4, v65, 1, v10
	ds_load_u16 v38, v4
; %bb.443:
	s_wait_alu 0xfffe
	s_or_b32 exec_lo, exec_lo, s11
	s_nor_b32 s7, s7, s10
	s_wait_alu 0xfffe
	s_and_saveexec_b32 s8, s7
	s_cbranch_execz .LBB1961_453
; %bb.444:
	s_wait_dscnt 0x0
	v_lshlrev_b32_e32 v4, 16, v38
	s_delay_alu instid0(VALU_DEP_1) | instskip(NEXT) | instid1(VALU_DEP_1)
	v_add_f32_e32 v5, 0, v4
	v_and_b32_e32 v4, 0x7f800000, v5
	s_delay_alu instid0(VALU_DEP_1)
	v_cmp_ne_u32_e64 s7, 0x7f800000, v4
                                        ; implicit-def: $vgpr4
	s_and_saveexec_b32 s11, s7
	s_wait_alu 0xfffe
	s_xor_b32 s7, exec_lo, s11
; %bb.445:
	v_bfe_u32 v4, v5, 16, 1
	s_delay_alu instid0(VALU_DEP_1)
	v_add3_u32 v4, v5, v4, 0x7fff
                                        ; implicit-def: $vgpr5
; %bb.446:
	s_wait_alu 0xfffe
	s_and_not1_saveexec_b32 s11, s7
; %bb.447:
	v_and_b32_e32 v4, 0xffff, v5
	v_or_b32_e32 v8, 0x10000, v5
	s_delay_alu instid0(VALU_DEP_2) | instskip(SKIP_1) | instid1(VALU_DEP_1)
	v_cmp_eq_u32_e64 s7, 0, v4
	s_wait_alu 0xf1ff
	v_cndmask_b32_e64 v4, v8, v5, s7
; %bb.448:
	s_wait_alu 0xfffe
	s_or_b32 exec_lo, exec_lo, s11
	v_lshlrev_b32_e32 v5, 16, v37
	s_delay_alu instid0(VALU_DEP_1) | instskip(NEXT) | instid1(VALU_DEP_1)
	v_add_f32_e32 v8, 0, v5
	v_and_b32_e32 v5, 0x7f800000, v8
	s_delay_alu instid0(VALU_DEP_1)
	v_cmp_ne_u32_e64 s7, 0x7f800000, v5
                                        ; implicit-def: $vgpr5
	s_and_saveexec_b32 s11, s7
	s_wait_alu 0xfffe
	s_xor_b32 s7, exec_lo, s11
; %bb.449:
	v_bfe_u32 v5, v8, 16, 1
	s_delay_alu instid0(VALU_DEP_1)
	v_add3_u32 v5, v8, v5, 0x7fff
                                        ; implicit-def: $vgpr8
; %bb.450:
	s_wait_alu 0xfffe
	s_and_not1_saveexec_b32 s11, s7
; %bb.451:
	v_and_b32_e32 v5, 0xffff, v8
	v_or_b32_e32 v9, 0x10000, v8
	s_delay_alu instid0(VALU_DEP_2) | instskip(SKIP_1) | instid1(VALU_DEP_1)
	v_cmp_eq_u32_e64 s7, 0, v5
	s_wait_alu 0xf1ff
	v_cndmask_b32_e64 v5, v9, v8, s7
; %bb.452:
	s_wait_alu 0xfffe
	s_or_b32 exec_lo, exec_lo, s11
	v_cmp_lt_i32_e64 s7, -1, v4
	s_delay_alu instid0(VALU_DEP_2) | instskip(SKIP_4) | instid1(VALU_DEP_1)
	v_perm_b32 v4, v5, v4, 0x7060302
	s_and_not1_b32 s10, s10, exec_lo
	v_cndmask_b32_e64 v8, -1, 0xffff8000, s7
	v_cmp_lt_i32_e64 s7, -1, v5
	s_wait_alu 0xf1ff
	v_cndmask_b32_e64 v9, -1, 0xffff8000, s7
	s_delay_alu instid0(VALU_DEP_1) | instskip(NEXT) | instid1(VALU_DEP_1)
	v_perm_b32 v5, v9, v8, 0x5040100
	v_xor_b32_e32 v4, v5, v4
	s_delay_alu instid0(VALU_DEP_1) | instskip(NEXT) | instid1(VALU_DEP_1)
	v_lshrrev_b32_e32 v5, 16, v4
	v_cmp_le_u16_e64 s7, v4, v5
	s_and_b32 s7, s7, exec_lo
	s_wait_alu 0xfffe
	s_or_b32 s10, s10, s7
.LBB1961_453:
	s_wait_alu 0xfffe
	s_or_b32 exec_lo, exec_lo, s8
	v_cndmask_b32_e64 v4, v65, v64, s10
	v_cndmask_b32_e64 v5, v53, v52, s10
	s_mov_b32 s11, -1
	s_mov_b32 s8, -1
	s_mov_b32 s12, exec_lo
	v_add_nc_u32_e32 v8, 1, v4
	v_add_nc_u32_e32 v5, -1, v5
	v_lshl_add_u32 v4, v4, 3, v13
	s_delay_alu instid0(VALU_DEP_3) | instskip(NEXT) | instid1(VALU_DEP_3)
	v_cndmask_b32_e64 v15, v8, v65, s10
	v_min_u32_e32 v5, v8, v5
	v_cndmask_b32_e64 v16, v64, v8, s10
	s_delay_alu instid0(VALU_DEP_2)
	v_lshl_add_u32 v5, v5, 1, v10
	ds_load_u16 v9, v5
	ds_load_b64 v[4:5], v4 offset:4096
	s_wait_dscnt 0x1
	v_cndmask_b32_e64 v48, v9, v38, s10
	v_cndmask_b32_e64 v54, v37, v9, s10
	v_cmpx_lt_u32_e64 v15, v53
	s_cbranch_execz .LBB1961_465
; %bb.454:
	s_mov_b32 s13, 0
	s_mov_b32 s8, exec_lo
	v_cmpx_lt_u32_e64 v16, v52
	s_cbranch_execz .LBB1961_464
; %bb.455:
	v_lshlrev_b32_e32 v8, 16, v48
	s_delay_alu instid0(VALU_DEP_1) | instskip(NEXT) | instid1(VALU_DEP_1)
	v_add_f32_e32 v9, 0, v8
	v_and_b32_e32 v8, 0x7f800000, v9
	s_delay_alu instid0(VALU_DEP_1)
	v_cmp_ne_u32_e64 s7, 0x7f800000, v8
                                        ; implicit-def: $vgpr8
	s_and_saveexec_b32 s13, s7
	s_wait_alu 0xfffe
	s_xor_b32 s7, exec_lo, s13
; %bb.456:
	v_bfe_u32 v8, v9, 16, 1
	s_delay_alu instid0(VALU_DEP_1)
	v_add3_u32 v8, v9, v8, 0x7fff
                                        ; implicit-def: $vgpr9
; %bb.457:
	s_wait_alu 0xfffe
	s_and_not1_saveexec_b32 s13, s7
; %bb.458:
	v_and_b32_e32 v8, 0xffff, v9
	v_or_b32_e32 v17, 0x10000, v9
	s_delay_alu instid0(VALU_DEP_2) | instskip(SKIP_1) | instid1(VALU_DEP_1)
	v_cmp_eq_u32_e64 s7, 0, v8
	s_wait_alu 0xf1ff
	v_cndmask_b32_e64 v8, v17, v9, s7
; %bb.459:
	s_wait_alu 0xfffe
	s_or_b32 exec_lo, exec_lo, s13
	v_lshlrev_b32_e32 v9, 16, v54
	s_delay_alu instid0(VALU_DEP_1) | instskip(NEXT) | instid1(VALU_DEP_1)
	v_add_f32_e32 v17, 0, v9
	v_and_b32_e32 v9, 0x7f800000, v17
	s_delay_alu instid0(VALU_DEP_1)
	v_cmp_ne_u32_e64 s7, 0x7f800000, v9
                                        ; implicit-def: $vgpr9
	s_and_saveexec_b32 s13, s7
	s_wait_alu 0xfffe
	s_xor_b32 s7, exec_lo, s13
; %bb.460:
	v_bfe_u32 v9, v17, 16, 1
	s_delay_alu instid0(VALU_DEP_1)
	v_add3_u32 v9, v17, v9, 0x7fff
                                        ; implicit-def: $vgpr17
; %bb.461:
	s_wait_alu 0xfffe
	s_and_not1_saveexec_b32 s13, s7
; %bb.462:
	v_and_b32_e32 v9, 0xffff, v17
	v_or_b32_e32 v18, 0x10000, v17
	s_delay_alu instid0(VALU_DEP_2) | instskip(SKIP_1) | instid1(VALU_DEP_1)
	v_cmp_eq_u32_e64 s7, 0, v9
	s_wait_alu 0xf1ff
	v_cndmask_b32_e64 v9, v18, v17, s7
; %bb.463:
	s_wait_alu 0xfffe
	s_or_b32 exec_lo, exec_lo, s13
	v_cmp_lt_i32_e64 s7, -1, v8
	s_delay_alu instid0(VALU_DEP_2) | instskip(SKIP_1) | instid1(VALU_DEP_2)
	v_perm_b32 v8, v9, v8, 0x7060302
	s_wait_alu 0xf1ff
	v_cndmask_b32_e64 v17, -1, 0xffff8000, s7
	v_cmp_lt_i32_e64 s7, -1, v9
	s_wait_alu 0xf1ff
	s_delay_alu instid0(VALU_DEP_1) | instskip(NEXT) | instid1(VALU_DEP_1)
	v_cndmask_b32_e64 v18, -1, 0xffff8000, s7
	v_perm_b32 v9, v18, v17, 0x5040100
	s_delay_alu instid0(VALU_DEP_1) | instskip(NEXT) | instid1(VALU_DEP_1)
	v_xor_b32_e32 v8, v9, v8
	v_lshrrev_b32_e32 v9, 16, v8
	s_delay_alu instid0(VALU_DEP_1)
	v_cmp_le_u16_e64 s7, v8, v9
	s_and_b32 s13, s7, exec_lo
.LBB1961_464:
	s_wait_alu 0xfffe
	s_or_b32 exec_lo, exec_lo, s8
	s_delay_alu instid0(SALU_CYCLE_1)
	s_or_not1_b32 s8, s13, exec_lo
.LBB1961_465:
	s_wait_alu 0xfffe
	s_or_b32 exec_lo, exec_lo, s12
	v_cndmask_b32_e64 v8, v15, v16, s8
	v_cndmask_b32_e64 v9, v53, v52, s8
	s_mov_b32 s12, exec_lo
	s_delay_alu instid0(VALU_DEP_2) | instskip(NEXT) | instid1(VALU_DEP_2)
	v_add_nc_u32_e32 v18, 1, v8
	v_add_nc_u32_e32 v9, -1, v9
	v_lshl_add_u32 v8, v8, 3, v13
	s_delay_alu instid0(VALU_DEP_3) | instskip(NEXT) | instid1(VALU_DEP_3)
	v_cndmask_b32_e64 v17, v18, v15, s8
	v_min_u32_e32 v9, v18, v9
	v_cndmask_b32_e64 v18, v16, v18, s8
	s_delay_alu instid0(VALU_DEP_2)
	v_lshl_add_u32 v9, v9, 1, v10
	ds_load_u16 v19, v9
	ds_load_b64 v[8:9], v8 offset:4096
	s_wait_dscnt 0x1
	v_cndmask_b32_e64 v32, v19, v48, s8
	v_cndmask_b32_e64 v55, v54, v19, s8
	v_cmpx_lt_u32_e64 v17, v53
	s_cbranch_execz .LBB1961_477
; %bb.466:
	s_mov_b32 s13, 0
	s_mov_b32 s11, exec_lo
	v_cmpx_lt_u32_e64 v18, v52
	s_cbranch_execz .LBB1961_476
; %bb.467:
	v_lshlrev_b32_e32 v15, 16, v32
	s_delay_alu instid0(VALU_DEP_1) | instskip(NEXT) | instid1(VALU_DEP_1)
	v_add_f32_e32 v16, 0, v15
	v_and_b32_e32 v15, 0x7f800000, v16
	s_delay_alu instid0(VALU_DEP_1)
	v_cmp_ne_u32_e64 s7, 0x7f800000, v15
                                        ; implicit-def: $vgpr15
	s_and_saveexec_b32 s13, s7
	s_wait_alu 0xfffe
	s_xor_b32 s7, exec_lo, s13
; %bb.468:
	v_bfe_u32 v15, v16, 16, 1
	s_delay_alu instid0(VALU_DEP_1)
	v_add3_u32 v15, v16, v15, 0x7fff
                                        ; implicit-def: $vgpr16
; %bb.469:
	s_wait_alu 0xfffe
	s_and_not1_saveexec_b32 s13, s7
; %bb.470:
	v_and_b32_e32 v15, 0xffff, v16
	v_or_b32_e32 v19, 0x10000, v16
	s_delay_alu instid0(VALU_DEP_2) | instskip(SKIP_1) | instid1(VALU_DEP_1)
	v_cmp_eq_u32_e64 s7, 0, v15
	s_wait_alu 0xf1ff
	v_cndmask_b32_e64 v15, v19, v16, s7
; %bb.471:
	s_wait_alu 0xfffe
	s_or_b32 exec_lo, exec_lo, s13
	v_lshlrev_b32_e32 v16, 16, v55
	s_delay_alu instid0(VALU_DEP_1) | instskip(NEXT) | instid1(VALU_DEP_1)
	v_add_f32_e32 v19, 0, v16
	v_and_b32_e32 v16, 0x7f800000, v19
	s_delay_alu instid0(VALU_DEP_1)
	v_cmp_ne_u32_e64 s7, 0x7f800000, v16
                                        ; implicit-def: $vgpr16
	s_and_saveexec_b32 s13, s7
	s_wait_alu 0xfffe
	s_xor_b32 s7, exec_lo, s13
; %bb.472:
	v_bfe_u32 v16, v19, 16, 1
	s_delay_alu instid0(VALU_DEP_1)
	v_add3_u32 v16, v19, v16, 0x7fff
                                        ; implicit-def: $vgpr19
; %bb.473:
	s_wait_alu 0xfffe
	s_and_not1_saveexec_b32 s13, s7
; %bb.474:
	v_and_b32_e32 v16, 0xffff, v19
	v_or_b32_e32 v20, 0x10000, v19
	s_delay_alu instid0(VALU_DEP_2) | instskip(SKIP_1) | instid1(VALU_DEP_1)
	v_cmp_eq_u32_e64 s7, 0, v16
	s_wait_alu 0xf1ff
	v_cndmask_b32_e64 v16, v20, v19, s7
; %bb.475:
	s_wait_alu 0xfffe
	s_or_b32 exec_lo, exec_lo, s13
	v_cmp_lt_i32_e64 s7, -1, v15
	s_delay_alu instid0(VALU_DEP_2) | instskip(SKIP_1) | instid1(VALU_DEP_2)
	v_perm_b32 v15, v16, v15, 0x7060302
	s_wait_alu 0xf1ff
	v_cndmask_b32_e64 v19, -1, 0xffff8000, s7
	v_cmp_lt_i32_e64 s7, -1, v16
	s_wait_alu 0xf1ff
	s_delay_alu instid0(VALU_DEP_1) | instskip(NEXT) | instid1(VALU_DEP_1)
	v_cndmask_b32_e64 v20, -1, 0xffff8000, s7
	v_perm_b32 v16, v20, v19, 0x5040100
	s_delay_alu instid0(VALU_DEP_1) | instskip(NEXT) | instid1(VALU_DEP_1)
	v_xor_b32_e32 v15, v16, v15
	v_lshrrev_b32_e32 v16, 16, v15
	s_delay_alu instid0(VALU_DEP_1)
	v_cmp_le_u16_e64 s7, v15, v16
	s_and_b32 s13, s7, exec_lo
.LBB1961_476:
	s_wait_alu 0xfffe
	s_or_b32 exec_lo, exec_lo, s11
	s_delay_alu instid0(SALU_CYCLE_1)
	s_or_not1_b32 s11, s13, exec_lo
.LBB1961_477:
	s_wait_alu 0xfffe
	s_or_b32 exec_lo, exec_lo, s12
	v_cndmask_b32_e64 v15, v17, v18, s11
	v_cndmask_b32_e64 v16, v53, v52, s11
	s_mov_b32 s13, -1
	s_mov_b32 s12, -1
	s_mov_b32 s14, exec_lo
	v_add_nc_u32_e32 v20, 1, v15
	v_add_nc_u32_e32 v16, -1, v16
	v_lshl_add_u32 v15, v15, 3, v13
	s_delay_alu instid0(VALU_DEP_3) | instskip(NEXT) | instid1(VALU_DEP_3)
	v_cndmask_b32_e64 v19, v20, v17, s11
	v_min_u32_e32 v16, v20, v16
	v_cndmask_b32_e64 v20, v18, v20, s11
	s_delay_alu instid0(VALU_DEP_2)
	v_lshl_add_u32 v16, v16, 1, v10
	ds_load_u16 v21, v16
	ds_load_b64 v[15:16], v15 offset:4096
	s_wait_dscnt 0x1
	v_cndmask_b32_e64 v51, v21, v32, s11
	v_cndmask_b32_e64 v64, v55, v21, s11
	v_cmpx_lt_u32_e64 v19, v53
	s_cbranch_execz .LBB1961_489
; %bb.478:
	s_mov_b32 s15, 0
	s_mov_b32 s12, exec_lo
	v_cmpx_lt_u32_e64 v20, v52
	s_cbranch_execz .LBB1961_488
; %bb.479:
	v_lshlrev_b32_e32 v17, 16, v51
	s_delay_alu instid0(VALU_DEP_1) | instskip(NEXT) | instid1(VALU_DEP_1)
	v_add_f32_e32 v18, 0, v17
	v_and_b32_e32 v17, 0x7f800000, v18
	s_delay_alu instid0(VALU_DEP_1)
	v_cmp_ne_u32_e64 s7, 0x7f800000, v17
                                        ; implicit-def: $vgpr17
	s_and_saveexec_b32 s15, s7
	s_wait_alu 0xfffe
	s_xor_b32 s7, exec_lo, s15
; %bb.480:
	v_bfe_u32 v17, v18, 16, 1
	s_delay_alu instid0(VALU_DEP_1)
	v_add3_u32 v17, v18, v17, 0x7fff
                                        ; implicit-def: $vgpr18
; %bb.481:
	s_wait_alu 0xfffe
	s_and_not1_saveexec_b32 s15, s7
; %bb.482:
	v_and_b32_e32 v17, 0xffff, v18
	v_or_b32_e32 v21, 0x10000, v18
	s_delay_alu instid0(VALU_DEP_2) | instskip(SKIP_1) | instid1(VALU_DEP_1)
	v_cmp_eq_u32_e64 s7, 0, v17
	s_wait_alu 0xf1ff
	v_cndmask_b32_e64 v17, v21, v18, s7
; %bb.483:
	s_wait_alu 0xfffe
	s_or_b32 exec_lo, exec_lo, s15
	v_lshlrev_b32_e32 v18, 16, v64
	s_delay_alu instid0(VALU_DEP_1) | instskip(NEXT) | instid1(VALU_DEP_1)
	v_add_f32_e32 v21, 0, v18
	v_and_b32_e32 v18, 0x7f800000, v21
	s_delay_alu instid0(VALU_DEP_1)
	v_cmp_ne_u32_e64 s7, 0x7f800000, v18
                                        ; implicit-def: $vgpr18
	s_and_saveexec_b32 s15, s7
	s_wait_alu 0xfffe
	s_xor_b32 s7, exec_lo, s15
; %bb.484:
	v_bfe_u32 v18, v21, 16, 1
	s_delay_alu instid0(VALU_DEP_1)
	v_add3_u32 v18, v21, v18, 0x7fff
                                        ; implicit-def: $vgpr21
; %bb.485:
	s_wait_alu 0xfffe
	s_and_not1_saveexec_b32 s15, s7
; %bb.486:
	v_and_b32_e32 v18, 0xffff, v21
	v_or_b32_e32 v22, 0x10000, v21
	s_delay_alu instid0(VALU_DEP_2) | instskip(SKIP_1) | instid1(VALU_DEP_1)
	v_cmp_eq_u32_e64 s7, 0, v18
	s_wait_alu 0xf1ff
	v_cndmask_b32_e64 v18, v22, v21, s7
; %bb.487:
	s_wait_alu 0xfffe
	s_or_b32 exec_lo, exec_lo, s15
	v_cmp_lt_i32_e64 s7, -1, v17
	s_delay_alu instid0(VALU_DEP_2) | instskip(SKIP_1) | instid1(VALU_DEP_2)
	v_perm_b32 v17, v18, v17, 0x7060302
	s_wait_alu 0xf1ff
	v_cndmask_b32_e64 v21, -1, 0xffff8000, s7
	v_cmp_lt_i32_e64 s7, -1, v18
	s_wait_alu 0xf1ff
	s_delay_alu instid0(VALU_DEP_1) | instskip(NEXT) | instid1(VALU_DEP_1)
	v_cndmask_b32_e64 v22, -1, 0xffff8000, s7
	v_perm_b32 v18, v22, v21, 0x5040100
	s_delay_alu instid0(VALU_DEP_1) | instskip(NEXT) | instid1(VALU_DEP_1)
	v_xor_b32_e32 v17, v18, v17
	v_lshrrev_b32_e32 v18, 16, v17
	s_delay_alu instid0(VALU_DEP_1)
	v_cmp_le_u16_e64 s7, v17, v18
	s_and_b32 s15, s7, exec_lo
.LBB1961_488:
	s_wait_alu 0xfffe
	s_or_b32 exec_lo, exec_lo, s12
	s_delay_alu instid0(SALU_CYCLE_1)
	s_or_not1_b32 s12, s15, exec_lo
.LBB1961_489:
	s_wait_alu 0xfffe
	s_or_b32 exec_lo, exec_lo, s14
	v_cndmask_b32_e64 v17, v19, v20, s12
	v_cndmask_b32_e64 v18, v53, v52, s12
	s_mov_b32 s14, exec_lo
	s_delay_alu instid0(VALU_DEP_2) | instskip(NEXT) | instid1(VALU_DEP_2)
	v_add_nc_u32_e32 v22, 1, v17
	v_add_nc_u32_e32 v18, -1, v18
	v_lshl_add_u32 v17, v17, 3, v13
	s_delay_alu instid0(VALU_DEP_3) | instskip(NEXT) | instid1(VALU_DEP_3)
	v_cndmask_b32_e64 v21, v22, v19, s12
	v_min_u32_e32 v18, v22, v18
	v_cndmask_b32_e64 v22, v20, v22, s12
	s_delay_alu instid0(VALU_DEP_2)
	v_lshl_add_u32 v18, v18, 1, v10
	ds_load_u16 v23, v18
	ds_load_b64 v[17:18], v17 offset:4096
	s_wait_dscnt 0x1
	v_cndmask_b32_e64 v49, v23, v51, s12
	v_cndmask_b32_e64 v65, v64, v23, s12
	v_cmpx_lt_u32_e64 v21, v53
	s_cbranch_execz .LBB1961_501
; %bb.490:
	s_mov_b32 s15, 0
	s_mov_b32 s13, exec_lo
	v_cmpx_lt_u32_e64 v22, v52
	s_cbranch_execz .LBB1961_500
; %bb.491:
	v_lshlrev_b32_e32 v19, 16, v49
	s_delay_alu instid0(VALU_DEP_1) | instskip(NEXT) | instid1(VALU_DEP_1)
	v_add_f32_e32 v20, 0, v19
	v_and_b32_e32 v19, 0x7f800000, v20
	s_delay_alu instid0(VALU_DEP_1)
	v_cmp_ne_u32_e64 s7, 0x7f800000, v19
                                        ; implicit-def: $vgpr19
	s_and_saveexec_b32 s15, s7
	s_wait_alu 0xfffe
	s_xor_b32 s7, exec_lo, s15
; %bb.492:
	v_bfe_u32 v19, v20, 16, 1
	s_delay_alu instid0(VALU_DEP_1)
	v_add3_u32 v19, v20, v19, 0x7fff
                                        ; implicit-def: $vgpr20
; %bb.493:
	s_wait_alu 0xfffe
	s_and_not1_saveexec_b32 s15, s7
; %bb.494:
	v_and_b32_e32 v19, 0xffff, v20
	v_or_b32_e32 v23, 0x10000, v20
	s_delay_alu instid0(VALU_DEP_2) | instskip(SKIP_1) | instid1(VALU_DEP_1)
	v_cmp_eq_u32_e64 s7, 0, v19
	s_wait_alu 0xf1ff
	v_cndmask_b32_e64 v19, v23, v20, s7
; %bb.495:
	s_wait_alu 0xfffe
	s_or_b32 exec_lo, exec_lo, s15
	v_lshlrev_b32_e32 v20, 16, v65
	s_delay_alu instid0(VALU_DEP_1) | instskip(NEXT) | instid1(VALU_DEP_1)
	v_add_f32_e32 v23, 0, v20
	v_and_b32_e32 v20, 0x7f800000, v23
	s_delay_alu instid0(VALU_DEP_1)
	v_cmp_ne_u32_e64 s7, 0x7f800000, v20
                                        ; implicit-def: $vgpr20
	s_and_saveexec_b32 s15, s7
	s_wait_alu 0xfffe
	s_xor_b32 s7, exec_lo, s15
; %bb.496:
	v_bfe_u32 v20, v23, 16, 1
	s_delay_alu instid0(VALU_DEP_1)
	v_add3_u32 v20, v23, v20, 0x7fff
                                        ; implicit-def: $vgpr23
; %bb.497:
	s_wait_alu 0xfffe
	s_and_not1_saveexec_b32 s15, s7
; %bb.498:
	v_and_b32_e32 v20, 0xffff, v23
	v_or_b32_e32 v24, 0x10000, v23
	s_delay_alu instid0(VALU_DEP_2) | instskip(SKIP_1) | instid1(VALU_DEP_1)
	v_cmp_eq_u32_e64 s7, 0, v20
	s_wait_alu 0xf1ff
	v_cndmask_b32_e64 v20, v24, v23, s7
; %bb.499:
	s_wait_alu 0xfffe
	s_or_b32 exec_lo, exec_lo, s15
	v_cmp_lt_i32_e64 s7, -1, v19
	s_delay_alu instid0(VALU_DEP_2) | instskip(SKIP_1) | instid1(VALU_DEP_2)
	v_perm_b32 v19, v20, v19, 0x7060302
	s_wait_alu 0xf1ff
	v_cndmask_b32_e64 v23, -1, 0xffff8000, s7
	v_cmp_lt_i32_e64 s7, -1, v20
	s_wait_alu 0xf1ff
	s_delay_alu instid0(VALU_DEP_1) | instskip(NEXT) | instid1(VALU_DEP_1)
	v_cndmask_b32_e64 v24, -1, 0xffff8000, s7
	v_perm_b32 v20, v24, v23, 0x5040100
	s_delay_alu instid0(VALU_DEP_1) | instskip(NEXT) | instid1(VALU_DEP_1)
	v_xor_b32_e32 v19, v20, v19
	v_lshrrev_b32_e32 v20, 16, v19
	s_delay_alu instid0(VALU_DEP_1)
	v_cmp_le_u16_e64 s7, v19, v20
	s_and_b32 s15, s7, exec_lo
.LBB1961_500:
	s_wait_alu 0xfffe
	s_or_b32 exec_lo, exec_lo, s13
	s_delay_alu instid0(SALU_CYCLE_1)
	s_or_not1_b32 s13, s15, exec_lo
.LBB1961_501:
	s_wait_alu 0xfffe
	s_or_b32 exec_lo, exec_lo, s14
	v_cndmask_b32_e64 v19, v21, v22, s13
	v_cndmask_b32_e64 v20, v53, v52, s13
	s_mov_b32 s15, -1
	s_mov_b32 s14, -1
	s_mov_b32 s16, exec_lo
	v_add_nc_u32_e32 v23, 1, v19
	v_add_nc_u32_e32 v20, -1, v20
	v_lshl_add_u32 v19, v19, 3, v13
	s_delay_alu instid0(VALU_DEP_3) | instskip(NEXT) | instid1(VALU_DEP_3)
	v_cndmask_b32_e64 v21, v23, v21, s13
	v_min_u32_e32 v20, v23, v20
	v_cndmask_b32_e64 v22, v22, v23, s13
	s_delay_alu instid0(VALU_DEP_2)
	v_lshl_add_u32 v20, v20, 1, v10
	ds_load_u16 v24, v20
	ds_load_b64 v[19:20], v19 offset:4096
	s_wait_dscnt 0x1
	v_cndmask_b32_e64 v39, v24, v49, s13
	v_cndmask_b32_e64 v66, v65, v24, s13
	v_cmpx_lt_u32_e64 v21, v53
	s_cbranch_execz .LBB1961_513
; %bb.502:
	s_mov_b32 s17, 0
	s_mov_b32 s14, exec_lo
	v_cmpx_lt_u32_e64 v22, v52
	s_cbranch_execz .LBB1961_512
; %bb.503:
	v_lshlrev_b32_e32 v23, 16, v39
	s_delay_alu instid0(VALU_DEP_1) | instskip(NEXT) | instid1(VALU_DEP_1)
	v_add_f32_e32 v24, 0, v23
	v_and_b32_e32 v23, 0x7f800000, v24
	s_delay_alu instid0(VALU_DEP_1)
	v_cmp_ne_u32_e64 s7, 0x7f800000, v23
                                        ; implicit-def: $vgpr23
	s_and_saveexec_b32 s17, s7
	s_wait_alu 0xfffe
	s_xor_b32 s7, exec_lo, s17
; %bb.504:
	v_bfe_u32 v23, v24, 16, 1
	s_delay_alu instid0(VALU_DEP_1)
	v_add3_u32 v23, v24, v23, 0x7fff
                                        ; implicit-def: $vgpr24
; %bb.505:
	s_wait_alu 0xfffe
	s_and_not1_saveexec_b32 s17, s7
; %bb.506:
	v_and_b32_e32 v23, 0xffff, v24
	v_or_b32_e32 v25, 0x10000, v24
	s_delay_alu instid0(VALU_DEP_2) | instskip(SKIP_1) | instid1(VALU_DEP_1)
	v_cmp_eq_u32_e64 s7, 0, v23
	s_wait_alu 0xf1ff
	v_cndmask_b32_e64 v23, v25, v24, s7
; %bb.507:
	s_wait_alu 0xfffe
	s_or_b32 exec_lo, exec_lo, s17
	v_lshlrev_b32_e32 v24, 16, v66
	s_delay_alu instid0(VALU_DEP_1) | instskip(NEXT) | instid1(VALU_DEP_1)
	v_add_f32_e32 v25, 0, v24
	v_and_b32_e32 v24, 0x7f800000, v25
	s_delay_alu instid0(VALU_DEP_1)
	v_cmp_ne_u32_e64 s7, 0x7f800000, v24
                                        ; implicit-def: $vgpr24
	s_and_saveexec_b32 s17, s7
	s_wait_alu 0xfffe
	s_xor_b32 s7, exec_lo, s17
; %bb.508:
	v_bfe_u32 v24, v25, 16, 1
	s_delay_alu instid0(VALU_DEP_1)
	v_add3_u32 v24, v25, v24, 0x7fff
                                        ; implicit-def: $vgpr25
; %bb.509:
	s_wait_alu 0xfffe
	s_and_not1_saveexec_b32 s17, s7
; %bb.510:
	v_and_b32_e32 v24, 0xffff, v25
	v_or_b32_e32 v26, 0x10000, v25
	s_delay_alu instid0(VALU_DEP_2) | instskip(SKIP_1) | instid1(VALU_DEP_1)
	v_cmp_eq_u32_e64 s7, 0, v24
	s_wait_alu 0xf1ff
	v_cndmask_b32_e64 v24, v26, v25, s7
; %bb.511:
	s_wait_alu 0xfffe
	s_or_b32 exec_lo, exec_lo, s17
	v_cmp_lt_i32_e64 s7, -1, v23
	s_delay_alu instid0(VALU_DEP_2) | instskip(SKIP_1) | instid1(VALU_DEP_2)
	v_perm_b32 v23, v24, v23, 0x7060302
	s_wait_alu 0xf1ff
	v_cndmask_b32_e64 v25, -1, 0xffff8000, s7
	v_cmp_lt_i32_e64 s7, -1, v24
	s_wait_alu 0xf1ff
	s_delay_alu instid0(VALU_DEP_1) | instskip(NEXT) | instid1(VALU_DEP_1)
	v_cndmask_b32_e64 v26, -1, 0xffff8000, s7
	v_perm_b32 v24, v26, v25, 0x5040100
	s_delay_alu instid0(VALU_DEP_1) | instskip(NEXT) | instid1(VALU_DEP_1)
	v_xor_b32_e32 v23, v24, v23
	v_lshrrev_b32_e32 v24, 16, v23
	s_delay_alu instid0(VALU_DEP_1)
	v_cmp_le_u16_e64 s7, v23, v24
	s_and_b32 s17, s7, exec_lo
.LBB1961_512:
	s_wait_alu 0xfffe
	s_or_b32 exec_lo, exec_lo, s14
	s_delay_alu instid0(SALU_CYCLE_1)
	s_or_not1_b32 s14, s17, exec_lo
.LBB1961_513:
	s_wait_alu 0xfffe
	s_or_b32 exec_lo, exec_lo, s16
	v_cndmask_b32_e64 v23, v21, v22, s14
	v_cndmask_b32_e64 v24, v53, v52, s14
	s_mov_b32 s16, exec_lo
	s_delay_alu instid0(VALU_DEP_2) | instskip(NEXT) | instid1(VALU_DEP_2)
	v_add_nc_u32_e32 v26, 1, v23
	v_add_nc_u32_e32 v24, -1, v24
	v_lshl_add_u32 v23, v23, 3, v13
	s_delay_alu instid0(VALU_DEP_3) | instskip(NEXT) | instid1(VALU_DEP_3)
	v_cndmask_b32_e64 v25, v26, v21, s14
	v_min_u32_e32 v24, v26, v24
	v_cndmask_b32_e64 v26, v22, v26, s14
	s_delay_alu instid0(VALU_DEP_2)
	v_lshl_add_u32 v24, v24, 1, v10
	ds_load_u16 v67, v24
	ds_load_b64 v[23:24], v23 offset:4096
	s_wait_dscnt 0x1
	v_cndmask_b32_e64 v50, v67, v39, s14
	v_cndmask_b32_e64 v67, v66, v67, s14
	v_cmpx_lt_u32_e64 v25, v53
	s_cbranch_execz .LBB1961_525
; %bb.514:
	s_mov_b32 s17, 0
	s_mov_b32 s15, exec_lo
	v_cmpx_lt_u32_e64 v26, v52
	s_cbranch_execz .LBB1961_524
; %bb.515:
	v_lshlrev_b32_e32 v21, 16, v50
	s_delay_alu instid0(VALU_DEP_1) | instskip(NEXT) | instid1(VALU_DEP_1)
	v_add_f32_e32 v22, 0, v21
	v_and_b32_e32 v21, 0x7f800000, v22
	s_delay_alu instid0(VALU_DEP_1)
	v_cmp_ne_u32_e64 s7, 0x7f800000, v21
                                        ; implicit-def: $vgpr21
	s_and_saveexec_b32 s17, s7
	s_wait_alu 0xfffe
	s_xor_b32 s7, exec_lo, s17
; %bb.516:
	v_bfe_u32 v21, v22, 16, 1
	s_delay_alu instid0(VALU_DEP_1)
	v_add3_u32 v21, v22, v21, 0x7fff
                                        ; implicit-def: $vgpr22
; %bb.517:
	s_wait_alu 0xfffe
	s_and_not1_saveexec_b32 s17, s7
; %bb.518:
	v_and_b32_e32 v21, 0xffff, v22
	v_or_b32_e32 v68, 0x10000, v22
	s_delay_alu instid0(VALU_DEP_2) | instskip(SKIP_1) | instid1(VALU_DEP_1)
	v_cmp_eq_u32_e64 s7, 0, v21
	s_wait_alu 0xf1ff
	v_cndmask_b32_e64 v21, v68, v22, s7
; %bb.519:
	s_wait_alu 0xfffe
	s_or_b32 exec_lo, exec_lo, s17
	v_lshlrev_b32_e32 v22, 16, v67
	s_delay_alu instid0(VALU_DEP_1) | instskip(NEXT) | instid1(VALU_DEP_1)
	v_add_f32_e32 v68, 0, v22
	v_and_b32_e32 v22, 0x7f800000, v68
	s_delay_alu instid0(VALU_DEP_1)
	v_cmp_ne_u32_e64 s7, 0x7f800000, v22
                                        ; implicit-def: $vgpr22
	s_and_saveexec_b32 s17, s7
	s_wait_alu 0xfffe
	s_xor_b32 s7, exec_lo, s17
; %bb.520:
	v_bfe_u32 v22, v68, 16, 1
	s_delay_alu instid0(VALU_DEP_1)
	v_add3_u32 v22, v68, v22, 0x7fff
                                        ; implicit-def: $vgpr68
; %bb.521:
	s_wait_alu 0xfffe
	s_and_not1_saveexec_b32 s17, s7
; %bb.522:
	v_and_b32_e32 v22, 0xffff, v68
	v_or_b32_e32 v69, 0x10000, v68
	s_delay_alu instid0(VALU_DEP_2) | instskip(SKIP_1) | instid1(VALU_DEP_1)
	v_cmp_eq_u32_e64 s7, 0, v22
	s_wait_alu 0xf1ff
	v_cndmask_b32_e64 v22, v69, v68, s7
; %bb.523:
	s_wait_alu 0xfffe
	s_or_b32 exec_lo, exec_lo, s17
	v_cmp_lt_i32_e64 s7, -1, v21
	s_delay_alu instid0(VALU_DEP_2) | instskip(SKIP_1) | instid1(VALU_DEP_2)
	v_perm_b32 v21, v22, v21, 0x7060302
	s_wait_alu 0xf1ff
	v_cndmask_b32_e64 v68, -1, 0xffff8000, s7
	v_cmp_lt_i32_e64 s7, -1, v22
	s_wait_alu 0xf1ff
	s_delay_alu instid0(VALU_DEP_1) | instskip(NEXT) | instid1(VALU_DEP_1)
	v_cndmask_b32_e64 v69, -1, 0xffff8000, s7
	v_perm_b32 v22, v69, v68, 0x5040100
	s_delay_alu instid0(VALU_DEP_1) | instskip(NEXT) | instid1(VALU_DEP_1)
	v_xor_b32_e32 v21, v22, v21
	v_lshrrev_b32_e32 v22, 16, v21
	s_delay_alu instid0(VALU_DEP_1)
	v_cmp_le_u16_e64 s7, v21, v22
	s_and_b32 s17, s7, exec_lo
.LBB1961_524:
	s_wait_alu 0xfffe
	s_or_b32 exec_lo, exec_lo, s15
	s_delay_alu instid0(SALU_CYCLE_1)
	s_or_not1_b32 s15, s17, exec_lo
.LBB1961_525:
	s_wait_alu 0xfffe
	s_or_b32 exec_lo, exec_lo, s16
	v_cndmask_b32_e64 v21, v25, v26, s15
	v_cndmask_b32_e64 v22, v53, v52, s15
	s_mov_b32 s17, -1
	s_mov_b32 s16, exec_lo
	s_delay_alu instid0(VALU_DEP_2) | instskip(NEXT) | instid1(VALU_DEP_2)
	v_add_nc_u32_e32 v68, 1, v21
	v_add_nc_u32_e32 v22, -1, v22
	v_lshl_add_u32 v21, v21, 3, v13
	s_delay_alu instid0(VALU_DEP_3) | instskip(NEXT) | instid1(VALU_DEP_3)
	v_cndmask_b32_e64 v25, v68, v25, s15
	v_min_u32_e32 v22, v68, v22
	v_cndmask_b32_e64 v26, v26, v68, s15
	s_delay_alu instid0(VALU_DEP_2)
	v_lshl_add_u32 v22, v22, 1, v10
	ds_load_u16 v69, v22
	ds_load_b64 v[21:22], v21 offset:4096
	s_wait_dscnt 0x1
	v_cndmask_b32_e64 v68, v69, v50, s15
	v_cndmask_b32_e64 v69, v67, v69, s15
	v_cmpx_lt_u32_e64 v25, v53
	s_cbranch_execz .LBB1961_537
; %bb.526:
	s_mov_b32 s18, 0
	s_mov_b32 s17, exec_lo
	v_cmpx_lt_u32_e64 v26, v52
	s_cbranch_execz .LBB1961_536
; %bb.527:
	v_lshlrev_b32_e32 v52, 16, v68
	s_delay_alu instid0(VALU_DEP_1) | instskip(NEXT) | instid1(VALU_DEP_1)
	v_add_f32_e32 v53, 0, v52
	v_and_b32_e32 v52, 0x7f800000, v53
	s_delay_alu instid0(VALU_DEP_1)
	v_cmp_ne_u32_e64 s7, 0x7f800000, v52
                                        ; implicit-def: $vgpr52
	s_and_saveexec_b32 s18, s7
	s_wait_alu 0xfffe
	s_xor_b32 s7, exec_lo, s18
; %bb.528:
	v_bfe_u32 v52, v53, 16, 1
	s_delay_alu instid0(VALU_DEP_1)
	v_add3_u32 v52, v53, v52, 0x7fff
                                        ; implicit-def: $vgpr53
; %bb.529:
	s_wait_alu 0xfffe
	s_and_not1_saveexec_b32 s18, s7
; %bb.530:
	v_and_b32_e32 v52, 0xffff, v53
	v_or_b32_e32 v70, 0x10000, v53
	s_delay_alu instid0(VALU_DEP_2) | instskip(SKIP_1) | instid1(VALU_DEP_1)
	v_cmp_eq_u32_e64 s7, 0, v52
	s_wait_alu 0xf1ff
	v_cndmask_b32_e64 v52, v70, v53, s7
; %bb.531:
	s_wait_alu 0xfffe
	s_or_b32 exec_lo, exec_lo, s18
	v_lshlrev_b32_e32 v53, 16, v69
	s_delay_alu instid0(VALU_DEP_1) | instskip(NEXT) | instid1(VALU_DEP_1)
	v_add_f32_e32 v70, 0, v53
	v_and_b32_e32 v53, 0x7f800000, v70
	s_delay_alu instid0(VALU_DEP_1)
	v_cmp_ne_u32_e64 s7, 0x7f800000, v53
                                        ; implicit-def: $vgpr53
	s_and_saveexec_b32 s18, s7
	s_wait_alu 0xfffe
	s_xor_b32 s7, exec_lo, s18
; %bb.532:
	v_bfe_u32 v53, v70, 16, 1
	s_delay_alu instid0(VALU_DEP_1)
	v_add3_u32 v53, v70, v53, 0x7fff
                                        ; implicit-def: $vgpr70
; %bb.533:
	s_wait_alu 0xfffe
	s_and_not1_saveexec_b32 s18, s7
; %bb.534:
	v_and_b32_e32 v53, 0xffff, v70
	v_or_b32_e32 v71, 0x10000, v70
	s_delay_alu instid0(VALU_DEP_2) | instskip(SKIP_1) | instid1(VALU_DEP_1)
	v_cmp_eq_u32_e64 s7, 0, v53
	s_wait_alu 0xf1ff
	v_cndmask_b32_e64 v53, v71, v70, s7
; %bb.535:
	s_wait_alu 0xfffe
	s_or_b32 exec_lo, exec_lo, s18
	v_cmp_lt_i32_e64 s7, -1, v52
	s_delay_alu instid0(VALU_DEP_2) | instskip(SKIP_1) | instid1(VALU_DEP_2)
	v_perm_b32 v52, v53, v52, 0x7060302
	s_wait_alu 0xf1ff
	v_cndmask_b32_e64 v70, -1, 0xffff8000, s7
	v_cmp_lt_i32_e64 s7, -1, v53
	s_wait_alu 0xf1ff
	s_delay_alu instid0(VALU_DEP_1) | instskip(NEXT) | instid1(VALU_DEP_1)
	v_cndmask_b32_e64 v71, -1, 0xffff8000, s7
	v_perm_b32 v53, v71, v70, 0x5040100
	s_delay_alu instid0(VALU_DEP_1) | instskip(NEXT) | instid1(VALU_DEP_1)
	v_xor_b32_e32 v52, v53, v52
	v_lshrrev_b32_e32 v53, 16, v52
	s_delay_alu instid0(VALU_DEP_1)
	v_cmp_le_u16_e64 s7, v52, v53
	s_and_b32 s18, s7, exec_lo
.LBB1961_536:
	s_wait_alu 0xfffe
	s_or_b32 exec_lo, exec_lo, s17
	s_delay_alu instid0(SALU_CYCLE_1)
	s_or_not1_b32 s17, s18, exec_lo
.LBB1961_537:
	s_wait_alu 0xfffe
	s_or_b32 exec_lo, exec_lo, s16
	v_cndmask_b32_e64 v25, v25, v26, s17
	v_cndmask_b32_e64 v50, v50, v67, s15
	;; [unrolled: 1-line block ×5, first 2 shown]
	v_lshl_add_u32 v25, v25, 3, v13
	v_cndmask_b32_e64 v32, v32, v55, s11
	v_cndmask_b32_e64 v48, v48, v54, s8
	;; [unrolled: 1-line block ×4, first 2 shown]
	ds_load_b64 v[25:26], v25 offset:4096
.LBB1961_538:
	s_wait_alu 0xfffe
	s_or_b32 exec_lo, exec_lo, s9
	v_and_b32_e32 v64, 0xc0, v36
	v_and_b32_e32 v54, 56, v36
	v_perm_b32 v68, v38, v50, 0x5040100
	v_perm_b32 v67, v39, v49, 0x5040100
	;; [unrolled: 1-line block ×3, first 2 shown]
	v_or_b32_e32 v52, 32, v64
	v_min_u32_e32 v65, v27, v54
	v_perm_b32 v69, v48, v37, 0x5040100
	s_mov_b32 s8, exec_lo
	s_delay_alu instid0(VALU_DEP_3)
	v_min_u32_e32 v52, v27, v52
	; wave barrier
	ds_store_2addr_b64 v30, v[15:16], v[17:18] offset1:1
	ds_store_2addr_b64 v31, v[19:20], v[23:24] offset1:1
	;; [unrolled: 1-line block ×4, first 2 shown]
	s_wait_dscnt 0x4
	ds_store_2addr_b64 v28, v[21:22], v[25:26] offset1:1
	v_add_nc_u32_e32 v53, 32, v52
	v_sub_nc_u32_e32 v54, v52, v64
	; wave barrier
	s_delay_alu instid0(VALU_DEP_2) | instskip(NEXT) | instid1(VALU_DEP_2)
	v_min_u32_e32 v53, v27, v53
	v_min_u32_e32 v66, v65, v54
	s_delay_alu instid0(VALU_DEP_2) | instskip(NEXT) | instid1(VALU_DEP_1)
	v_sub_nc_u32_e32 v55, v53, v52
	v_sub_nc_u32_e64 v54, v65, v55 clamp
	v_lshl_add_u32 v55, v64, 1, v10
	s_delay_alu instid0(VALU_DEP_2)
	v_cmpx_lt_u32_e64 v54, v66
	s_cbranch_execz .LBB1961_550
; %bb.539:
	v_lshlrev_b32_e32 v67, 1, v52
	v_lshlrev_b32_e32 v68, 1, v65
	s_mov_b32 s9, 0
	s_delay_alu instid0(VALU_DEP_1)
	v_add3_u32 v67, v10, v67, v68
	s_branch .LBB1961_541
.LBB1961_540:                           ;   in Loop: Header=BB1961_541 Depth=1
	s_wait_alu 0xfffe
	s_or_b32 exec_lo, exec_lo, s10
	v_cmp_lt_i32_e64 s7, -1, v69
	v_lshrrev_b32_e32 v71, 16, v69
	v_lshrrev_b32_e32 v80, 16, v70
	s_wait_alu 0xf1ff
	s_delay_alu instid0(VALU_DEP_3) | instskip(SKIP_1) | instid1(VALU_DEP_2)
	v_cndmask_b32_e64 v69, -1, 0xffff8000, s7
	v_cmp_lt_i32_e64 s7, -1, v70
	v_xor_b32_e32 v69, v69, v71
	s_wait_alu 0xf1ff
	s_delay_alu instid0(VALU_DEP_2) | instskip(SKIP_1) | instid1(VALU_DEP_2)
	v_cndmask_b32_e64 v70, -1, 0xffff8000, s7
	v_add_nc_u32_e32 v71, 1, v68
	v_xor_b32_e32 v70, v70, v80
	s_delay_alu instid0(VALU_DEP_1) | instskip(SKIP_1) | instid1(VALU_DEP_1)
	v_cmp_gt_u16_e64 s7, v69, v70
	s_wait_alu 0xf1ff
	v_cndmask_b32_e64 v66, v66, v68, s7
	v_cndmask_b32_e64 v54, v71, v54, s7
	s_delay_alu instid0(VALU_DEP_1)
	v_cmp_ge_u32_e64 s7, v54, v66
	s_or_b32 s9, s7, s9
	s_wait_alu 0xfffe
	s_and_not1_b32 exec_lo, exec_lo, s9
	s_cbranch_execz .LBB1961_549
.LBB1961_541:                           ; =>This Inner Loop Header: Depth=1
	v_add_nc_u32_e32 v69, v66, v54
	s_delay_alu instid0(VALU_DEP_1) | instskip(SKIP_1) | instid1(VALU_DEP_2)
	v_lshrrev_b32_e32 v68, 1, v69
	v_and_b32_e32 v69, -2, v69
	v_not_b32_e32 v70, v68
	s_delay_alu instid0(VALU_DEP_2) | instskip(NEXT) | instid1(VALU_DEP_2)
	v_add_nc_u32_e32 v69, v55, v69
	v_lshl_add_u32 v70, v70, 1, v67
	ds_load_u16 v71, v70
	ds_load_u16 v70, v69
	s_wait_dscnt 0x1
	v_lshlrev_b32_e32 v69, 16, v71
	s_delay_alu instid0(VALU_DEP_1) | instskip(NEXT) | instid1(VALU_DEP_1)
	v_add_f32_e32 v71, 0, v69
	v_and_b32_e32 v69, 0x7f800000, v71
	s_delay_alu instid0(VALU_DEP_1)
	v_cmp_ne_u32_e64 s7, 0x7f800000, v69
                                        ; implicit-def: $vgpr69
	s_and_saveexec_b32 s10, s7
	s_wait_alu 0xfffe
	s_xor_b32 s7, exec_lo, s10
; %bb.542:                              ;   in Loop: Header=BB1961_541 Depth=1
	v_bfe_u32 v69, v71, 16, 1
	s_delay_alu instid0(VALU_DEP_1)
	v_add3_u32 v69, v71, v69, 0x7fff
                                        ; implicit-def: $vgpr71
; %bb.543:                              ;   in Loop: Header=BB1961_541 Depth=1
	s_wait_alu 0xfffe
	s_and_not1_saveexec_b32 s10, s7
; %bb.544:                              ;   in Loop: Header=BB1961_541 Depth=1
	v_and_b32_e32 v69, 0xffff, v71
	v_or_b32_e32 v80, 0x10000, v71
	s_delay_alu instid0(VALU_DEP_2) | instskip(SKIP_1) | instid1(VALU_DEP_1)
	v_cmp_eq_u32_e64 s7, 0, v69
	s_wait_alu 0xf1ff
	v_cndmask_b32_e64 v69, v80, v71, s7
; %bb.545:                              ;   in Loop: Header=BB1961_541 Depth=1
	s_wait_alu 0xfffe
	s_or_b32 exec_lo, exec_lo, s10
	s_wait_dscnt 0x0
	v_lshlrev_b32_e32 v70, 16, v70
	s_delay_alu instid0(VALU_DEP_1) | instskip(NEXT) | instid1(VALU_DEP_1)
	v_add_f32_e32 v71, 0, v70
	v_and_b32_e32 v70, 0x7f800000, v71
	s_delay_alu instid0(VALU_DEP_1)
	v_cmp_ne_u32_e64 s7, 0x7f800000, v70
                                        ; implicit-def: $vgpr70
	s_and_saveexec_b32 s10, s7
	s_wait_alu 0xfffe
	s_xor_b32 s7, exec_lo, s10
; %bb.546:                              ;   in Loop: Header=BB1961_541 Depth=1
	v_bfe_u32 v70, v71, 16, 1
	s_delay_alu instid0(VALU_DEP_1)
	v_add3_u32 v70, v71, v70, 0x7fff
                                        ; implicit-def: $vgpr71
; %bb.547:                              ;   in Loop: Header=BB1961_541 Depth=1
	s_wait_alu 0xfffe
	s_and_not1_saveexec_b32 s10, s7
	s_cbranch_execz .LBB1961_540
; %bb.548:                              ;   in Loop: Header=BB1961_541 Depth=1
	v_and_b32_e32 v70, 0xffff, v71
	v_or_b32_e32 v80, 0x10000, v71
	s_delay_alu instid0(VALU_DEP_2) | instskip(SKIP_1) | instid1(VALU_DEP_1)
	v_cmp_eq_u32_e64 s7, 0, v70
	s_wait_alu 0xf1ff
	v_cndmask_b32_e64 v70, v80, v71, s7
	s_branch .LBB1961_540
.LBB1961_549:
	s_or_b32 exec_lo, exec_lo, s9
.LBB1961_550:
	s_wait_alu 0xfffe
	s_or_b32 exec_lo, exec_lo, s8
	v_add_nc_u32_e32 v65, v52, v65
	v_add_nc_u32_e32 v64, v54, v64
	s_delay_alu instid0(VALU_DEP_2) | instskip(NEXT) | instid1(VALU_DEP_2)
	v_sub_nc_u32_e32 v65, v65, v54
	v_cmp_le_u32_e64 s7, v64, v52
	s_delay_alu instid0(VALU_DEP_2)
	v_cmp_le_u32_e64 s8, v65, v53
	s_or_b32 s7, s7, s8
	s_wait_alu 0xfffe
	s_and_saveexec_b32 s9, s7
	s_cbranch_execz .LBB1961_650
; %bb.551:
	v_cmp_ge_u32_e64 s7, v64, v52
	s_mov_b32 s10, exec_lo
                                        ; implicit-def: $vgpr37
	v_cmpx_lt_u32_e64 v64, v52
; %bb.552:
	v_lshl_add_u32 v4, v54, 1, v55
	ds_load_u16 v37, v4
; %bb.553:
	s_wait_alu 0xfffe
	s_or_b32 exec_lo, exec_lo, s10
	v_cmp_ge_u32_e64 s10, v65, v53
	s_mov_b32 s11, exec_lo
                                        ; implicit-def: $vgpr38
	v_cmpx_lt_u32_e64 v65, v53
; %bb.554:
	v_lshl_add_u32 v4, v65, 1, v10
	ds_load_u16 v38, v4
; %bb.555:
	s_wait_alu 0xfffe
	s_or_b32 exec_lo, exec_lo, s11
	s_nor_b32 s7, s7, s10
	s_wait_alu 0xfffe
	s_and_saveexec_b32 s8, s7
	s_cbranch_execz .LBB1961_565
; %bb.556:
	s_wait_dscnt 0x0
	v_lshlrev_b32_e32 v4, 16, v38
	s_delay_alu instid0(VALU_DEP_1) | instskip(NEXT) | instid1(VALU_DEP_1)
	v_add_f32_e32 v5, 0, v4
	v_and_b32_e32 v4, 0x7f800000, v5
	s_delay_alu instid0(VALU_DEP_1)
	v_cmp_ne_u32_e64 s7, 0x7f800000, v4
                                        ; implicit-def: $vgpr4
	s_and_saveexec_b32 s11, s7
	s_wait_alu 0xfffe
	s_xor_b32 s7, exec_lo, s11
; %bb.557:
	v_bfe_u32 v4, v5, 16, 1
	s_delay_alu instid0(VALU_DEP_1)
	v_add3_u32 v4, v5, v4, 0x7fff
                                        ; implicit-def: $vgpr5
; %bb.558:
	s_wait_alu 0xfffe
	s_and_not1_saveexec_b32 s11, s7
; %bb.559:
	v_and_b32_e32 v4, 0xffff, v5
	v_or_b32_e32 v8, 0x10000, v5
	s_delay_alu instid0(VALU_DEP_2) | instskip(SKIP_1) | instid1(VALU_DEP_1)
	v_cmp_eq_u32_e64 s7, 0, v4
	s_wait_alu 0xf1ff
	v_cndmask_b32_e64 v4, v8, v5, s7
; %bb.560:
	s_wait_alu 0xfffe
	s_or_b32 exec_lo, exec_lo, s11
	v_lshlrev_b32_e32 v5, 16, v37
	s_delay_alu instid0(VALU_DEP_1) | instskip(NEXT) | instid1(VALU_DEP_1)
	v_add_f32_e32 v8, 0, v5
	v_and_b32_e32 v5, 0x7f800000, v8
	s_delay_alu instid0(VALU_DEP_1)
	v_cmp_ne_u32_e64 s7, 0x7f800000, v5
                                        ; implicit-def: $vgpr5
	s_and_saveexec_b32 s11, s7
	s_wait_alu 0xfffe
	s_xor_b32 s7, exec_lo, s11
; %bb.561:
	v_bfe_u32 v5, v8, 16, 1
	s_delay_alu instid0(VALU_DEP_1)
	v_add3_u32 v5, v8, v5, 0x7fff
                                        ; implicit-def: $vgpr8
; %bb.562:
	s_wait_alu 0xfffe
	s_and_not1_saveexec_b32 s11, s7
; %bb.563:
	v_and_b32_e32 v5, 0xffff, v8
	v_or_b32_e32 v9, 0x10000, v8
	s_delay_alu instid0(VALU_DEP_2) | instskip(SKIP_1) | instid1(VALU_DEP_1)
	v_cmp_eq_u32_e64 s7, 0, v5
	s_wait_alu 0xf1ff
	v_cndmask_b32_e64 v5, v9, v8, s7
; %bb.564:
	s_wait_alu 0xfffe
	s_or_b32 exec_lo, exec_lo, s11
	v_cmp_lt_i32_e64 s7, -1, v4
	s_delay_alu instid0(VALU_DEP_2) | instskip(SKIP_4) | instid1(VALU_DEP_1)
	v_perm_b32 v4, v5, v4, 0x7060302
	s_and_not1_b32 s10, s10, exec_lo
	v_cndmask_b32_e64 v8, -1, 0xffff8000, s7
	v_cmp_lt_i32_e64 s7, -1, v5
	s_wait_alu 0xf1ff
	v_cndmask_b32_e64 v9, -1, 0xffff8000, s7
	s_delay_alu instid0(VALU_DEP_1) | instskip(NEXT) | instid1(VALU_DEP_1)
	v_perm_b32 v5, v9, v8, 0x5040100
	v_xor_b32_e32 v4, v5, v4
	s_delay_alu instid0(VALU_DEP_1) | instskip(NEXT) | instid1(VALU_DEP_1)
	v_lshrrev_b32_e32 v5, 16, v4
	v_cmp_le_u16_e64 s7, v4, v5
	s_and_b32 s7, s7, exec_lo
	s_wait_alu 0xfffe
	s_or_b32 s10, s10, s7
.LBB1961_565:
	s_wait_alu 0xfffe
	s_or_b32 exec_lo, exec_lo, s8
	v_cndmask_b32_e64 v4, v65, v64, s10
	v_cndmask_b32_e64 v5, v53, v52, s10
	s_mov_b32 s11, -1
	s_mov_b32 s8, -1
	s_mov_b32 s12, exec_lo
	v_add_nc_u32_e32 v8, 1, v4
	v_add_nc_u32_e32 v5, -1, v5
	v_lshl_add_u32 v4, v4, 3, v13
	s_delay_alu instid0(VALU_DEP_3) | instskip(NEXT) | instid1(VALU_DEP_3)
	v_cndmask_b32_e64 v15, v8, v65, s10
	v_min_u32_e32 v5, v8, v5
	v_cndmask_b32_e64 v16, v64, v8, s10
	s_delay_alu instid0(VALU_DEP_2)
	v_lshl_add_u32 v5, v5, 1, v10
	ds_load_u16 v9, v5
	ds_load_b64 v[4:5], v4 offset:4096
	s_wait_dscnt 0x1
	v_cndmask_b32_e64 v48, v9, v38, s10
	v_cndmask_b32_e64 v54, v37, v9, s10
	v_cmpx_lt_u32_e64 v15, v53
	s_cbranch_execz .LBB1961_577
; %bb.566:
	s_mov_b32 s13, 0
	s_mov_b32 s8, exec_lo
	v_cmpx_lt_u32_e64 v16, v52
	s_cbranch_execz .LBB1961_576
; %bb.567:
	v_lshlrev_b32_e32 v8, 16, v48
	s_delay_alu instid0(VALU_DEP_1) | instskip(NEXT) | instid1(VALU_DEP_1)
	v_add_f32_e32 v9, 0, v8
	v_and_b32_e32 v8, 0x7f800000, v9
	s_delay_alu instid0(VALU_DEP_1)
	v_cmp_ne_u32_e64 s7, 0x7f800000, v8
                                        ; implicit-def: $vgpr8
	s_and_saveexec_b32 s13, s7
	s_wait_alu 0xfffe
	s_xor_b32 s7, exec_lo, s13
; %bb.568:
	v_bfe_u32 v8, v9, 16, 1
	s_delay_alu instid0(VALU_DEP_1)
	v_add3_u32 v8, v9, v8, 0x7fff
                                        ; implicit-def: $vgpr9
; %bb.569:
	s_wait_alu 0xfffe
	s_and_not1_saveexec_b32 s13, s7
; %bb.570:
	v_and_b32_e32 v8, 0xffff, v9
	v_or_b32_e32 v17, 0x10000, v9
	s_delay_alu instid0(VALU_DEP_2) | instskip(SKIP_1) | instid1(VALU_DEP_1)
	v_cmp_eq_u32_e64 s7, 0, v8
	s_wait_alu 0xf1ff
	v_cndmask_b32_e64 v8, v17, v9, s7
; %bb.571:
	s_wait_alu 0xfffe
	s_or_b32 exec_lo, exec_lo, s13
	v_lshlrev_b32_e32 v9, 16, v54
	s_delay_alu instid0(VALU_DEP_1) | instskip(NEXT) | instid1(VALU_DEP_1)
	v_add_f32_e32 v17, 0, v9
	v_and_b32_e32 v9, 0x7f800000, v17
	s_delay_alu instid0(VALU_DEP_1)
	v_cmp_ne_u32_e64 s7, 0x7f800000, v9
                                        ; implicit-def: $vgpr9
	s_and_saveexec_b32 s13, s7
	s_wait_alu 0xfffe
	s_xor_b32 s7, exec_lo, s13
; %bb.572:
	v_bfe_u32 v9, v17, 16, 1
	s_delay_alu instid0(VALU_DEP_1)
	v_add3_u32 v9, v17, v9, 0x7fff
                                        ; implicit-def: $vgpr17
; %bb.573:
	s_wait_alu 0xfffe
	s_and_not1_saveexec_b32 s13, s7
; %bb.574:
	v_and_b32_e32 v9, 0xffff, v17
	v_or_b32_e32 v18, 0x10000, v17
	s_delay_alu instid0(VALU_DEP_2) | instskip(SKIP_1) | instid1(VALU_DEP_1)
	v_cmp_eq_u32_e64 s7, 0, v9
	s_wait_alu 0xf1ff
	v_cndmask_b32_e64 v9, v18, v17, s7
; %bb.575:
	s_wait_alu 0xfffe
	s_or_b32 exec_lo, exec_lo, s13
	v_cmp_lt_i32_e64 s7, -1, v8
	s_delay_alu instid0(VALU_DEP_2) | instskip(SKIP_1) | instid1(VALU_DEP_2)
	v_perm_b32 v8, v9, v8, 0x7060302
	s_wait_alu 0xf1ff
	v_cndmask_b32_e64 v17, -1, 0xffff8000, s7
	v_cmp_lt_i32_e64 s7, -1, v9
	s_wait_alu 0xf1ff
	s_delay_alu instid0(VALU_DEP_1) | instskip(NEXT) | instid1(VALU_DEP_1)
	v_cndmask_b32_e64 v18, -1, 0xffff8000, s7
	v_perm_b32 v9, v18, v17, 0x5040100
	s_delay_alu instid0(VALU_DEP_1) | instskip(NEXT) | instid1(VALU_DEP_1)
	v_xor_b32_e32 v8, v9, v8
	v_lshrrev_b32_e32 v9, 16, v8
	s_delay_alu instid0(VALU_DEP_1)
	v_cmp_le_u16_e64 s7, v8, v9
	s_and_b32 s13, s7, exec_lo
.LBB1961_576:
	s_wait_alu 0xfffe
	s_or_b32 exec_lo, exec_lo, s8
	s_delay_alu instid0(SALU_CYCLE_1)
	s_or_not1_b32 s8, s13, exec_lo
.LBB1961_577:
	s_wait_alu 0xfffe
	s_or_b32 exec_lo, exec_lo, s12
	v_cndmask_b32_e64 v8, v15, v16, s8
	v_cndmask_b32_e64 v9, v53, v52, s8
	s_mov_b32 s12, exec_lo
	s_delay_alu instid0(VALU_DEP_2) | instskip(NEXT) | instid1(VALU_DEP_2)
	v_add_nc_u32_e32 v18, 1, v8
	v_add_nc_u32_e32 v9, -1, v9
	v_lshl_add_u32 v8, v8, 3, v13
	s_delay_alu instid0(VALU_DEP_3) | instskip(NEXT) | instid1(VALU_DEP_3)
	v_cndmask_b32_e64 v17, v18, v15, s8
	v_min_u32_e32 v9, v18, v9
	v_cndmask_b32_e64 v18, v16, v18, s8
	s_delay_alu instid0(VALU_DEP_2)
	v_lshl_add_u32 v9, v9, 1, v10
	ds_load_u16 v19, v9
	ds_load_b64 v[8:9], v8 offset:4096
	s_wait_dscnt 0x1
	v_cndmask_b32_e64 v32, v19, v48, s8
	v_cndmask_b32_e64 v55, v54, v19, s8
	v_cmpx_lt_u32_e64 v17, v53
	s_cbranch_execz .LBB1961_589
; %bb.578:
	s_mov_b32 s13, 0
	s_mov_b32 s11, exec_lo
	v_cmpx_lt_u32_e64 v18, v52
	s_cbranch_execz .LBB1961_588
; %bb.579:
	v_lshlrev_b32_e32 v15, 16, v32
	s_delay_alu instid0(VALU_DEP_1) | instskip(NEXT) | instid1(VALU_DEP_1)
	v_add_f32_e32 v16, 0, v15
	v_and_b32_e32 v15, 0x7f800000, v16
	s_delay_alu instid0(VALU_DEP_1)
	v_cmp_ne_u32_e64 s7, 0x7f800000, v15
                                        ; implicit-def: $vgpr15
	s_and_saveexec_b32 s13, s7
	s_wait_alu 0xfffe
	s_xor_b32 s7, exec_lo, s13
; %bb.580:
	v_bfe_u32 v15, v16, 16, 1
	s_delay_alu instid0(VALU_DEP_1)
	v_add3_u32 v15, v16, v15, 0x7fff
                                        ; implicit-def: $vgpr16
; %bb.581:
	s_wait_alu 0xfffe
	s_and_not1_saveexec_b32 s13, s7
; %bb.582:
	v_and_b32_e32 v15, 0xffff, v16
	v_or_b32_e32 v19, 0x10000, v16
	s_delay_alu instid0(VALU_DEP_2) | instskip(SKIP_1) | instid1(VALU_DEP_1)
	v_cmp_eq_u32_e64 s7, 0, v15
	s_wait_alu 0xf1ff
	v_cndmask_b32_e64 v15, v19, v16, s7
; %bb.583:
	s_wait_alu 0xfffe
	s_or_b32 exec_lo, exec_lo, s13
	v_lshlrev_b32_e32 v16, 16, v55
	s_delay_alu instid0(VALU_DEP_1) | instskip(NEXT) | instid1(VALU_DEP_1)
	v_add_f32_e32 v19, 0, v16
	v_and_b32_e32 v16, 0x7f800000, v19
	s_delay_alu instid0(VALU_DEP_1)
	v_cmp_ne_u32_e64 s7, 0x7f800000, v16
                                        ; implicit-def: $vgpr16
	s_and_saveexec_b32 s13, s7
	s_wait_alu 0xfffe
	s_xor_b32 s7, exec_lo, s13
; %bb.584:
	v_bfe_u32 v16, v19, 16, 1
	s_delay_alu instid0(VALU_DEP_1)
	v_add3_u32 v16, v19, v16, 0x7fff
                                        ; implicit-def: $vgpr19
; %bb.585:
	s_wait_alu 0xfffe
	s_and_not1_saveexec_b32 s13, s7
; %bb.586:
	v_and_b32_e32 v16, 0xffff, v19
	v_or_b32_e32 v20, 0x10000, v19
	s_delay_alu instid0(VALU_DEP_2) | instskip(SKIP_1) | instid1(VALU_DEP_1)
	v_cmp_eq_u32_e64 s7, 0, v16
	s_wait_alu 0xf1ff
	v_cndmask_b32_e64 v16, v20, v19, s7
; %bb.587:
	s_wait_alu 0xfffe
	s_or_b32 exec_lo, exec_lo, s13
	v_cmp_lt_i32_e64 s7, -1, v15
	s_delay_alu instid0(VALU_DEP_2) | instskip(SKIP_1) | instid1(VALU_DEP_2)
	v_perm_b32 v15, v16, v15, 0x7060302
	s_wait_alu 0xf1ff
	v_cndmask_b32_e64 v19, -1, 0xffff8000, s7
	v_cmp_lt_i32_e64 s7, -1, v16
	s_wait_alu 0xf1ff
	s_delay_alu instid0(VALU_DEP_1) | instskip(NEXT) | instid1(VALU_DEP_1)
	v_cndmask_b32_e64 v20, -1, 0xffff8000, s7
	v_perm_b32 v16, v20, v19, 0x5040100
	s_delay_alu instid0(VALU_DEP_1) | instskip(NEXT) | instid1(VALU_DEP_1)
	v_xor_b32_e32 v15, v16, v15
	v_lshrrev_b32_e32 v16, 16, v15
	s_delay_alu instid0(VALU_DEP_1)
	v_cmp_le_u16_e64 s7, v15, v16
	s_and_b32 s13, s7, exec_lo
.LBB1961_588:
	s_wait_alu 0xfffe
	s_or_b32 exec_lo, exec_lo, s11
	s_delay_alu instid0(SALU_CYCLE_1)
	s_or_not1_b32 s11, s13, exec_lo
.LBB1961_589:
	s_wait_alu 0xfffe
	s_or_b32 exec_lo, exec_lo, s12
	v_cndmask_b32_e64 v15, v17, v18, s11
	v_cndmask_b32_e64 v16, v53, v52, s11
	s_mov_b32 s13, -1
	s_mov_b32 s12, -1
	s_mov_b32 s14, exec_lo
	v_add_nc_u32_e32 v20, 1, v15
	v_add_nc_u32_e32 v16, -1, v16
	v_lshl_add_u32 v15, v15, 3, v13
	s_delay_alu instid0(VALU_DEP_3) | instskip(NEXT) | instid1(VALU_DEP_3)
	v_cndmask_b32_e64 v19, v20, v17, s11
	v_min_u32_e32 v16, v20, v16
	v_cndmask_b32_e64 v20, v18, v20, s11
	s_delay_alu instid0(VALU_DEP_2)
	v_lshl_add_u32 v16, v16, 1, v10
	ds_load_u16 v21, v16
	ds_load_b64 v[15:16], v15 offset:4096
	s_wait_dscnt 0x1
	v_cndmask_b32_e64 v51, v21, v32, s11
	v_cndmask_b32_e64 v64, v55, v21, s11
	v_cmpx_lt_u32_e64 v19, v53
	s_cbranch_execz .LBB1961_601
; %bb.590:
	s_mov_b32 s15, 0
	s_mov_b32 s12, exec_lo
	v_cmpx_lt_u32_e64 v20, v52
	s_cbranch_execz .LBB1961_600
; %bb.591:
	v_lshlrev_b32_e32 v17, 16, v51
	s_delay_alu instid0(VALU_DEP_1) | instskip(NEXT) | instid1(VALU_DEP_1)
	v_add_f32_e32 v18, 0, v17
	v_and_b32_e32 v17, 0x7f800000, v18
	s_delay_alu instid0(VALU_DEP_1)
	v_cmp_ne_u32_e64 s7, 0x7f800000, v17
                                        ; implicit-def: $vgpr17
	s_and_saveexec_b32 s15, s7
	s_wait_alu 0xfffe
	s_xor_b32 s7, exec_lo, s15
; %bb.592:
	v_bfe_u32 v17, v18, 16, 1
	s_delay_alu instid0(VALU_DEP_1)
	v_add3_u32 v17, v18, v17, 0x7fff
                                        ; implicit-def: $vgpr18
; %bb.593:
	s_wait_alu 0xfffe
	s_and_not1_saveexec_b32 s15, s7
; %bb.594:
	v_and_b32_e32 v17, 0xffff, v18
	v_or_b32_e32 v21, 0x10000, v18
	s_delay_alu instid0(VALU_DEP_2) | instskip(SKIP_1) | instid1(VALU_DEP_1)
	v_cmp_eq_u32_e64 s7, 0, v17
	s_wait_alu 0xf1ff
	v_cndmask_b32_e64 v17, v21, v18, s7
; %bb.595:
	s_wait_alu 0xfffe
	s_or_b32 exec_lo, exec_lo, s15
	v_lshlrev_b32_e32 v18, 16, v64
	s_delay_alu instid0(VALU_DEP_1) | instskip(NEXT) | instid1(VALU_DEP_1)
	v_add_f32_e32 v21, 0, v18
	v_and_b32_e32 v18, 0x7f800000, v21
	s_delay_alu instid0(VALU_DEP_1)
	v_cmp_ne_u32_e64 s7, 0x7f800000, v18
                                        ; implicit-def: $vgpr18
	s_and_saveexec_b32 s15, s7
	s_wait_alu 0xfffe
	s_xor_b32 s7, exec_lo, s15
; %bb.596:
	v_bfe_u32 v18, v21, 16, 1
	s_delay_alu instid0(VALU_DEP_1)
	v_add3_u32 v18, v21, v18, 0x7fff
                                        ; implicit-def: $vgpr21
; %bb.597:
	s_wait_alu 0xfffe
	s_and_not1_saveexec_b32 s15, s7
; %bb.598:
	v_and_b32_e32 v18, 0xffff, v21
	v_or_b32_e32 v22, 0x10000, v21
	s_delay_alu instid0(VALU_DEP_2) | instskip(SKIP_1) | instid1(VALU_DEP_1)
	v_cmp_eq_u32_e64 s7, 0, v18
	s_wait_alu 0xf1ff
	v_cndmask_b32_e64 v18, v22, v21, s7
; %bb.599:
	s_wait_alu 0xfffe
	s_or_b32 exec_lo, exec_lo, s15
	v_cmp_lt_i32_e64 s7, -1, v17
	s_delay_alu instid0(VALU_DEP_2) | instskip(SKIP_1) | instid1(VALU_DEP_2)
	v_perm_b32 v17, v18, v17, 0x7060302
	s_wait_alu 0xf1ff
	v_cndmask_b32_e64 v21, -1, 0xffff8000, s7
	v_cmp_lt_i32_e64 s7, -1, v18
	s_wait_alu 0xf1ff
	s_delay_alu instid0(VALU_DEP_1) | instskip(NEXT) | instid1(VALU_DEP_1)
	v_cndmask_b32_e64 v22, -1, 0xffff8000, s7
	v_perm_b32 v18, v22, v21, 0x5040100
	s_delay_alu instid0(VALU_DEP_1) | instskip(NEXT) | instid1(VALU_DEP_1)
	v_xor_b32_e32 v17, v18, v17
	v_lshrrev_b32_e32 v18, 16, v17
	s_delay_alu instid0(VALU_DEP_1)
	v_cmp_le_u16_e64 s7, v17, v18
	s_and_b32 s15, s7, exec_lo
.LBB1961_600:
	s_wait_alu 0xfffe
	s_or_b32 exec_lo, exec_lo, s12
	s_delay_alu instid0(SALU_CYCLE_1)
	s_or_not1_b32 s12, s15, exec_lo
.LBB1961_601:
	s_wait_alu 0xfffe
	s_or_b32 exec_lo, exec_lo, s14
	v_cndmask_b32_e64 v17, v19, v20, s12
	v_cndmask_b32_e64 v18, v53, v52, s12
	s_mov_b32 s14, exec_lo
	s_delay_alu instid0(VALU_DEP_2) | instskip(NEXT) | instid1(VALU_DEP_2)
	v_add_nc_u32_e32 v22, 1, v17
	v_add_nc_u32_e32 v18, -1, v18
	v_lshl_add_u32 v17, v17, 3, v13
	s_delay_alu instid0(VALU_DEP_3) | instskip(NEXT) | instid1(VALU_DEP_3)
	v_cndmask_b32_e64 v21, v22, v19, s12
	v_min_u32_e32 v18, v22, v18
	v_cndmask_b32_e64 v22, v20, v22, s12
	s_delay_alu instid0(VALU_DEP_2)
	v_lshl_add_u32 v18, v18, 1, v10
	ds_load_u16 v23, v18
	ds_load_b64 v[17:18], v17 offset:4096
	s_wait_dscnt 0x1
	v_cndmask_b32_e64 v49, v23, v51, s12
	v_cndmask_b32_e64 v65, v64, v23, s12
	v_cmpx_lt_u32_e64 v21, v53
	s_cbranch_execz .LBB1961_613
; %bb.602:
	s_mov_b32 s15, 0
	s_mov_b32 s13, exec_lo
	v_cmpx_lt_u32_e64 v22, v52
	s_cbranch_execz .LBB1961_612
; %bb.603:
	v_lshlrev_b32_e32 v19, 16, v49
	s_delay_alu instid0(VALU_DEP_1) | instskip(NEXT) | instid1(VALU_DEP_1)
	v_add_f32_e32 v20, 0, v19
	v_and_b32_e32 v19, 0x7f800000, v20
	s_delay_alu instid0(VALU_DEP_1)
	v_cmp_ne_u32_e64 s7, 0x7f800000, v19
                                        ; implicit-def: $vgpr19
	s_and_saveexec_b32 s15, s7
	s_wait_alu 0xfffe
	s_xor_b32 s7, exec_lo, s15
; %bb.604:
	v_bfe_u32 v19, v20, 16, 1
	s_delay_alu instid0(VALU_DEP_1)
	v_add3_u32 v19, v20, v19, 0x7fff
                                        ; implicit-def: $vgpr20
; %bb.605:
	s_wait_alu 0xfffe
	s_and_not1_saveexec_b32 s15, s7
; %bb.606:
	v_and_b32_e32 v19, 0xffff, v20
	v_or_b32_e32 v23, 0x10000, v20
	s_delay_alu instid0(VALU_DEP_2) | instskip(SKIP_1) | instid1(VALU_DEP_1)
	v_cmp_eq_u32_e64 s7, 0, v19
	s_wait_alu 0xf1ff
	v_cndmask_b32_e64 v19, v23, v20, s7
; %bb.607:
	s_wait_alu 0xfffe
	s_or_b32 exec_lo, exec_lo, s15
	v_lshlrev_b32_e32 v20, 16, v65
	s_delay_alu instid0(VALU_DEP_1) | instskip(NEXT) | instid1(VALU_DEP_1)
	v_add_f32_e32 v23, 0, v20
	v_and_b32_e32 v20, 0x7f800000, v23
	s_delay_alu instid0(VALU_DEP_1)
	v_cmp_ne_u32_e64 s7, 0x7f800000, v20
                                        ; implicit-def: $vgpr20
	s_and_saveexec_b32 s15, s7
	s_wait_alu 0xfffe
	s_xor_b32 s7, exec_lo, s15
; %bb.608:
	v_bfe_u32 v20, v23, 16, 1
	s_delay_alu instid0(VALU_DEP_1)
	v_add3_u32 v20, v23, v20, 0x7fff
                                        ; implicit-def: $vgpr23
; %bb.609:
	s_wait_alu 0xfffe
	s_and_not1_saveexec_b32 s15, s7
; %bb.610:
	v_and_b32_e32 v20, 0xffff, v23
	v_or_b32_e32 v24, 0x10000, v23
	s_delay_alu instid0(VALU_DEP_2) | instskip(SKIP_1) | instid1(VALU_DEP_1)
	v_cmp_eq_u32_e64 s7, 0, v20
	s_wait_alu 0xf1ff
	v_cndmask_b32_e64 v20, v24, v23, s7
; %bb.611:
	s_wait_alu 0xfffe
	s_or_b32 exec_lo, exec_lo, s15
	v_cmp_lt_i32_e64 s7, -1, v19
	s_delay_alu instid0(VALU_DEP_2) | instskip(SKIP_1) | instid1(VALU_DEP_2)
	v_perm_b32 v19, v20, v19, 0x7060302
	s_wait_alu 0xf1ff
	v_cndmask_b32_e64 v23, -1, 0xffff8000, s7
	v_cmp_lt_i32_e64 s7, -1, v20
	s_wait_alu 0xf1ff
	s_delay_alu instid0(VALU_DEP_1) | instskip(NEXT) | instid1(VALU_DEP_1)
	v_cndmask_b32_e64 v24, -1, 0xffff8000, s7
	v_perm_b32 v20, v24, v23, 0x5040100
	s_delay_alu instid0(VALU_DEP_1) | instskip(NEXT) | instid1(VALU_DEP_1)
	v_xor_b32_e32 v19, v20, v19
	v_lshrrev_b32_e32 v20, 16, v19
	s_delay_alu instid0(VALU_DEP_1)
	v_cmp_le_u16_e64 s7, v19, v20
	s_and_b32 s15, s7, exec_lo
.LBB1961_612:
	s_wait_alu 0xfffe
	s_or_b32 exec_lo, exec_lo, s13
	s_delay_alu instid0(SALU_CYCLE_1)
	s_or_not1_b32 s13, s15, exec_lo
.LBB1961_613:
	s_wait_alu 0xfffe
	s_or_b32 exec_lo, exec_lo, s14
	v_cndmask_b32_e64 v19, v21, v22, s13
	v_cndmask_b32_e64 v20, v53, v52, s13
	s_mov_b32 s15, -1
	s_mov_b32 s14, -1
	s_mov_b32 s16, exec_lo
	v_add_nc_u32_e32 v23, 1, v19
	v_add_nc_u32_e32 v20, -1, v20
	v_lshl_add_u32 v19, v19, 3, v13
	s_delay_alu instid0(VALU_DEP_3) | instskip(NEXT) | instid1(VALU_DEP_3)
	v_cndmask_b32_e64 v21, v23, v21, s13
	v_min_u32_e32 v20, v23, v20
	v_cndmask_b32_e64 v22, v22, v23, s13
	s_delay_alu instid0(VALU_DEP_2)
	v_lshl_add_u32 v20, v20, 1, v10
	ds_load_u16 v24, v20
	ds_load_b64 v[19:20], v19 offset:4096
	s_wait_dscnt 0x1
	v_cndmask_b32_e64 v39, v24, v49, s13
	v_cndmask_b32_e64 v66, v65, v24, s13
	v_cmpx_lt_u32_e64 v21, v53
	s_cbranch_execz .LBB1961_625
; %bb.614:
	s_mov_b32 s17, 0
	s_mov_b32 s14, exec_lo
	v_cmpx_lt_u32_e64 v22, v52
	s_cbranch_execz .LBB1961_624
; %bb.615:
	v_lshlrev_b32_e32 v23, 16, v39
	s_delay_alu instid0(VALU_DEP_1) | instskip(NEXT) | instid1(VALU_DEP_1)
	v_add_f32_e32 v24, 0, v23
	v_and_b32_e32 v23, 0x7f800000, v24
	s_delay_alu instid0(VALU_DEP_1)
	v_cmp_ne_u32_e64 s7, 0x7f800000, v23
                                        ; implicit-def: $vgpr23
	s_and_saveexec_b32 s17, s7
	s_wait_alu 0xfffe
	s_xor_b32 s7, exec_lo, s17
; %bb.616:
	v_bfe_u32 v23, v24, 16, 1
	s_delay_alu instid0(VALU_DEP_1)
	v_add3_u32 v23, v24, v23, 0x7fff
                                        ; implicit-def: $vgpr24
; %bb.617:
	s_wait_alu 0xfffe
	s_and_not1_saveexec_b32 s17, s7
; %bb.618:
	v_and_b32_e32 v23, 0xffff, v24
	v_or_b32_e32 v25, 0x10000, v24
	s_delay_alu instid0(VALU_DEP_2) | instskip(SKIP_1) | instid1(VALU_DEP_1)
	v_cmp_eq_u32_e64 s7, 0, v23
	s_wait_alu 0xf1ff
	v_cndmask_b32_e64 v23, v25, v24, s7
; %bb.619:
	s_wait_alu 0xfffe
	s_or_b32 exec_lo, exec_lo, s17
	v_lshlrev_b32_e32 v24, 16, v66
	s_delay_alu instid0(VALU_DEP_1) | instskip(NEXT) | instid1(VALU_DEP_1)
	v_add_f32_e32 v25, 0, v24
	v_and_b32_e32 v24, 0x7f800000, v25
	s_delay_alu instid0(VALU_DEP_1)
	v_cmp_ne_u32_e64 s7, 0x7f800000, v24
                                        ; implicit-def: $vgpr24
	s_and_saveexec_b32 s17, s7
	s_wait_alu 0xfffe
	s_xor_b32 s7, exec_lo, s17
; %bb.620:
	v_bfe_u32 v24, v25, 16, 1
	s_delay_alu instid0(VALU_DEP_1)
	v_add3_u32 v24, v25, v24, 0x7fff
                                        ; implicit-def: $vgpr25
; %bb.621:
	s_wait_alu 0xfffe
	s_and_not1_saveexec_b32 s17, s7
; %bb.622:
	v_and_b32_e32 v24, 0xffff, v25
	v_or_b32_e32 v26, 0x10000, v25
	s_delay_alu instid0(VALU_DEP_2) | instskip(SKIP_1) | instid1(VALU_DEP_1)
	v_cmp_eq_u32_e64 s7, 0, v24
	s_wait_alu 0xf1ff
	v_cndmask_b32_e64 v24, v26, v25, s7
; %bb.623:
	s_wait_alu 0xfffe
	s_or_b32 exec_lo, exec_lo, s17
	v_cmp_lt_i32_e64 s7, -1, v23
	s_delay_alu instid0(VALU_DEP_2) | instskip(SKIP_1) | instid1(VALU_DEP_2)
	v_perm_b32 v23, v24, v23, 0x7060302
	s_wait_alu 0xf1ff
	v_cndmask_b32_e64 v25, -1, 0xffff8000, s7
	v_cmp_lt_i32_e64 s7, -1, v24
	s_wait_alu 0xf1ff
	s_delay_alu instid0(VALU_DEP_1) | instskip(NEXT) | instid1(VALU_DEP_1)
	v_cndmask_b32_e64 v26, -1, 0xffff8000, s7
	v_perm_b32 v24, v26, v25, 0x5040100
	s_delay_alu instid0(VALU_DEP_1) | instskip(NEXT) | instid1(VALU_DEP_1)
	v_xor_b32_e32 v23, v24, v23
	v_lshrrev_b32_e32 v24, 16, v23
	s_delay_alu instid0(VALU_DEP_1)
	v_cmp_le_u16_e64 s7, v23, v24
	s_and_b32 s17, s7, exec_lo
.LBB1961_624:
	s_wait_alu 0xfffe
	s_or_b32 exec_lo, exec_lo, s14
	s_delay_alu instid0(SALU_CYCLE_1)
	s_or_not1_b32 s14, s17, exec_lo
.LBB1961_625:
	s_wait_alu 0xfffe
	s_or_b32 exec_lo, exec_lo, s16
	v_cndmask_b32_e64 v23, v21, v22, s14
	v_cndmask_b32_e64 v24, v53, v52, s14
	s_mov_b32 s16, exec_lo
	s_delay_alu instid0(VALU_DEP_2) | instskip(NEXT) | instid1(VALU_DEP_2)
	v_add_nc_u32_e32 v26, 1, v23
	v_add_nc_u32_e32 v24, -1, v24
	v_lshl_add_u32 v23, v23, 3, v13
	s_delay_alu instid0(VALU_DEP_3) | instskip(NEXT) | instid1(VALU_DEP_3)
	v_cndmask_b32_e64 v25, v26, v21, s14
	v_min_u32_e32 v24, v26, v24
	v_cndmask_b32_e64 v26, v22, v26, s14
	s_delay_alu instid0(VALU_DEP_2)
	v_lshl_add_u32 v24, v24, 1, v10
	ds_load_u16 v67, v24
	ds_load_b64 v[23:24], v23 offset:4096
	s_wait_dscnt 0x1
	v_cndmask_b32_e64 v50, v67, v39, s14
	v_cndmask_b32_e64 v67, v66, v67, s14
	v_cmpx_lt_u32_e64 v25, v53
	s_cbranch_execz .LBB1961_637
; %bb.626:
	s_mov_b32 s17, 0
	s_mov_b32 s15, exec_lo
	v_cmpx_lt_u32_e64 v26, v52
	s_cbranch_execz .LBB1961_636
; %bb.627:
	v_lshlrev_b32_e32 v21, 16, v50
	s_delay_alu instid0(VALU_DEP_1) | instskip(NEXT) | instid1(VALU_DEP_1)
	v_add_f32_e32 v22, 0, v21
	v_and_b32_e32 v21, 0x7f800000, v22
	s_delay_alu instid0(VALU_DEP_1)
	v_cmp_ne_u32_e64 s7, 0x7f800000, v21
                                        ; implicit-def: $vgpr21
	s_and_saveexec_b32 s17, s7
	s_wait_alu 0xfffe
	s_xor_b32 s7, exec_lo, s17
; %bb.628:
	v_bfe_u32 v21, v22, 16, 1
	s_delay_alu instid0(VALU_DEP_1)
	v_add3_u32 v21, v22, v21, 0x7fff
                                        ; implicit-def: $vgpr22
; %bb.629:
	s_wait_alu 0xfffe
	s_and_not1_saveexec_b32 s17, s7
; %bb.630:
	v_and_b32_e32 v21, 0xffff, v22
	v_or_b32_e32 v68, 0x10000, v22
	s_delay_alu instid0(VALU_DEP_2) | instskip(SKIP_1) | instid1(VALU_DEP_1)
	v_cmp_eq_u32_e64 s7, 0, v21
	s_wait_alu 0xf1ff
	v_cndmask_b32_e64 v21, v68, v22, s7
; %bb.631:
	s_wait_alu 0xfffe
	s_or_b32 exec_lo, exec_lo, s17
	v_lshlrev_b32_e32 v22, 16, v67
	s_delay_alu instid0(VALU_DEP_1) | instskip(NEXT) | instid1(VALU_DEP_1)
	v_add_f32_e32 v68, 0, v22
	v_and_b32_e32 v22, 0x7f800000, v68
	s_delay_alu instid0(VALU_DEP_1)
	v_cmp_ne_u32_e64 s7, 0x7f800000, v22
                                        ; implicit-def: $vgpr22
	s_and_saveexec_b32 s17, s7
	s_wait_alu 0xfffe
	s_xor_b32 s7, exec_lo, s17
; %bb.632:
	v_bfe_u32 v22, v68, 16, 1
	s_delay_alu instid0(VALU_DEP_1)
	v_add3_u32 v22, v68, v22, 0x7fff
                                        ; implicit-def: $vgpr68
; %bb.633:
	s_wait_alu 0xfffe
	s_and_not1_saveexec_b32 s17, s7
; %bb.634:
	v_and_b32_e32 v22, 0xffff, v68
	v_or_b32_e32 v69, 0x10000, v68
	s_delay_alu instid0(VALU_DEP_2) | instskip(SKIP_1) | instid1(VALU_DEP_1)
	v_cmp_eq_u32_e64 s7, 0, v22
	s_wait_alu 0xf1ff
	v_cndmask_b32_e64 v22, v69, v68, s7
; %bb.635:
	s_wait_alu 0xfffe
	s_or_b32 exec_lo, exec_lo, s17
	v_cmp_lt_i32_e64 s7, -1, v21
	s_delay_alu instid0(VALU_DEP_2) | instskip(SKIP_1) | instid1(VALU_DEP_2)
	v_perm_b32 v21, v22, v21, 0x7060302
	s_wait_alu 0xf1ff
	v_cndmask_b32_e64 v68, -1, 0xffff8000, s7
	v_cmp_lt_i32_e64 s7, -1, v22
	s_wait_alu 0xf1ff
	s_delay_alu instid0(VALU_DEP_1) | instskip(NEXT) | instid1(VALU_DEP_1)
	v_cndmask_b32_e64 v69, -1, 0xffff8000, s7
	v_perm_b32 v22, v69, v68, 0x5040100
	s_delay_alu instid0(VALU_DEP_1) | instskip(NEXT) | instid1(VALU_DEP_1)
	v_xor_b32_e32 v21, v22, v21
	v_lshrrev_b32_e32 v22, 16, v21
	s_delay_alu instid0(VALU_DEP_1)
	v_cmp_le_u16_e64 s7, v21, v22
	s_and_b32 s17, s7, exec_lo
.LBB1961_636:
	s_wait_alu 0xfffe
	s_or_b32 exec_lo, exec_lo, s15
	s_delay_alu instid0(SALU_CYCLE_1)
	s_or_not1_b32 s15, s17, exec_lo
.LBB1961_637:
	s_wait_alu 0xfffe
	s_or_b32 exec_lo, exec_lo, s16
	v_cndmask_b32_e64 v21, v25, v26, s15
	v_cndmask_b32_e64 v22, v53, v52, s15
	s_mov_b32 s17, -1
	s_mov_b32 s16, exec_lo
	s_delay_alu instid0(VALU_DEP_2) | instskip(NEXT) | instid1(VALU_DEP_2)
	v_add_nc_u32_e32 v68, 1, v21
	v_add_nc_u32_e32 v22, -1, v22
	v_lshl_add_u32 v21, v21, 3, v13
	s_delay_alu instid0(VALU_DEP_3) | instskip(NEXT) | instid1(VALU_DEP_3)
	v_cndmask_b32_e64 v25, v68, v25, s15
	v_min_u32_e32 v22, v68, v22
	v_cndmask_b32_e64 v26, v26, v68, s15
	s_delay_alu instid0(VALU_DEP_2)
	v_lshl_add_u32 v22, v22, 1, v10
	ds_load_u16 v69, v22
	ds_load_b64 v[21:22], v21 offset:4096
	s_wait_dscnt 0x1
	v_cndmask_b32_e64 v68, v69, v50, s15
	v_cndmask_b32_e64 v69, v67, v69, s15
	v_cmpx_lt_u32_e64 v25, v53
	s_cbranch_execz .LBB1961_649
; %bb.638:
	s_mov_b32 s18, 0
	s_mov_b32 s17, exec_lo
	v_cmpx_lt_u32_e64 v26, v52
	s_cbranch_execz .LBB1961_648
; %bb.639:
	v_lshlrev_b32_e32 v52, 16, v68
	s_delay_alu instid0(VALU_DEP_1) | instskip(NEXT) | instid1(VALU_DEP_1)
	v_add_f32_e32 v53, 0, v52
	v_and_b32_e32 v52, 0x7f800000, v53
	s_delay_alu instid0(VALU_DEP_1)
	v_cmp_ne_u32_e64 s7, 0x7f800000, v52
                                        ; implicit-def: $vgpr52
	s_and_saveexec_b32 s18, s7
	s_wait_alu 0xfffe
	s_xor_b32 s7, exec_lo, s18
; %bb.640:
	v_bfe_u32 v52, v53, 16, 1
	s_delay_alu instid0(VALU_DEP_1)
	v_add3_u32 v52, v53, v52, 0x7fff
                                        ; implicit-def: $vgpr53
; %bb.641:
	s_wait_alu 0xfffe
	s_and_not1_saveexec_b32 s18, s7
; %bb.642:
	v_and_b32_e32 v52, 0xffff, v53
	v_or_b32_e32 v70, 0x10000, v53
	s_delay_alu instid0(VALU_DEP_2) | instskip(SKIP_1) | instid1(VALU_DEP_1)
	v_cmp_eq_u32_e64 s7, 0, v52
	s_wait_alu 0xf1ff
	v_cndmask_b32_e64 v52, v70, v53, s7
; %bb.643:
	s_wait_alu 0xfffe
	s_or_b32 exec_lo, exec_lo, s18
	v_lshlrev_b32_e32 v53, 16, v69
	s_delay_alu instid0(VALU_DEP_1) | instskip(NEXT) | instid1(VALU_DEP_1)
	v_add_f32_e32 v70, 0, v53
	v_and_b32_e32 v53, 0x7f800000, v70
	s_delay_alu instid0(VALU_DEP_1)
	v_cmp_ne_u32_e64 s7, 0x7f800000, v53
                                        ; implicit-def: $vgpr53
	s_and_saveexec_b32 s18, s7
	s_wait_alu 0xfffe
	s_xor_b32 s7, exec_lo, s18
; %bb.644:
	v_bfe_u32 v53, v70, 16, 1
	s_delay_alu instid0(VALU_DEP_1)
	v_add3_u32 v53, v70, v53, 0x7fff
                                        ; implicit-def: $vgpr70
; %bb.645:
	s_wait_alu 0xfffe
	s_and_not1_saveexec_b32 s18, s7
; %bb.646:
	v_and_b32_e32 v53, 0xffff, v70
	v_or_b32_e32 v71, 0x10000, v70
	s_delay_alu instid0(VALU_DEP_2) | instskip(SKIP_1) | instid1(VALU_DEP_1)
	v_cmp_eq_u32_e64 s7, 0, v53
	s_wait_alu 0xf1ff
	v_cndmask_b32_e64 v53, v71, v70, s7
; %bb.647:
	s_wait_alu 0xfffe
	s_or_b32 exec_lo, exec_lo, s18
	v_cmp_lt_i32_e64 s7, -1, v52
	s_delay_alu instid0(VALU_DEP_2) | instskip(SKIP_1) | instid1(VALU_DEP_2)
	v_perm_b32 v52, v53, v52, 0x7060302
	s_wait_alu 0xf1ff
	v_cndmask_b32_e64 v70, -1, 0xffff8000, s7
	v_cmp_lt_i32_e64 s7, -1, v53
	s_wait_alu 0xf1ff
	s_delay_alu instid0(VALU_DEP_1) | instskip(NEXT) | instid1(VALU_DEP_1)
	v_cndmask_b32_e64 v71, -1, 0xffff8000, s7
	v_perm_b32 v53, v71, v70, 0x5040100
	s_delay_alu instid0(VALU_DEP_1) | instskip(NEXT) | instid1(VALU_DEP_1)
	v_xor_b32_e32 v52, v53, v52
	v_lshrrev_b32_e32 v53, 16, v52
	s_delay_alu instid0(VALU_DEP_1)
	v_cmp_le_u16_e64 s7, v52, v53
	s_and_b32 s18, s7, exec_lo
.LBB1961_648:
	s_wait_alu 0xfffe
	s_or_b32 exec_lo, exec_lo, s17
	s_delay_alu instid0(SALU_CYCLE_1)
	s_or_not1_b32 s17, s18, exec_lo
.LBB1961_649:
	s_wait_alu 0xfffe
	s_or_b32 exec_lo, exec_lo, s16
	v_cndmask_b32_e64 v25, v25, v26, s17
	v_cndmask_b32_e64 v50, v50, v67, s15
	;; [unrolled: 1-line block ×5, first 2 shown]
	v_lshl_add_u32 v25, v25, 3, v13
	v_cndmask_b32_e64 v32, v32, v55, s11
	v_cndmask_b32_e64 v48, v48, v54, s8
	v_cndmask_b32_e64 v37, v38, v37, s10
	v_cndmask_b32_e64 v38, v68, v69, s17
	ds_load_b64 v[25:26], v25 offset:4096
.LBB1961_650:
	s_wait_alu 0xfffe
	s_or_b32 exec_lo, exec_lo, s9
	v_and_b32_e32 v53, 0x80, v36
	v_min_u32_e32 v35, v27, v35
	; wave barrier
	ds_store_2addr_b64 v30, v[15:16], v[17:18] offset1:1
	ds_store_2addr_b64 v31, v[19:20], v[23:24] offset1:1
	v_or_b32_e32 v36, 64, v53
	v_lshl_add_u32 v30, v53, 1, v10
	v_perm_b32 v65, v38, v50, 0x5040100
	v_perm_b32 v64, v39, v49, 0x5040100
	v_perm_b32 v67, v51, v32, 0x5040100
	v_min_u32_e32 v36, v27, v36
	v_perm_b32 v66, v48, v37, 0x5040100
	s_mov_b32 s8, exec_lo
	ds_store_2addr_b64 v29, v[4:5], v[8:9] offset1:1
	ds_store_2addr_b64 v14, v[66:67], v[64:65] offset1:1
	s_wait_dscnt 0x4
	ds_store_2addr_b64 v28, v[21:22], v[25:26] offset1:1
	v_add_nc_u32_e32 v52, 64, v36
	; wave barrier
	s_delay_alu instid0(VALU_DEP_1) | instskip(SKIP_1) | instid1(VALU_DEP_2)
	v_min_u32_e32 v52, v27, v52
	v_sub_nc_u32_e32 v27, v36, v53
	v_sub_nc_u32_e32 v55, v52, v36
	s_delay_alu instid0(VALU_DEP_2) | instskip(NEXT) | instid1(VALU_DEP_2)
	v_min_u32_e32 v54, v35, v27
	v_sub_nc_u32_e64 v27, v35, v55 clamp
	s_delay_alu instid0(VALU_DEP_1)
	v_cmpx_lt_u32_e64 v27, v54
	s_cbranch_execz .LBB1961_662
; %bb.651:
	v_lshlrev_b32_e32 v14, 1, v36
	v_lshlrev_b32_e32 v28, 1, v35
	s_mov_b32 s9, 0
	s_delay_alu instid0(VALU_DEP_1)
	v_add3_u32 v14, v10, v14, v28
	s_branch .LBB1961_653
.LBB1961_652:                           ;   in Loop: Header=BB1961_653 Depth=1
	s_wait_alu 0xfffe
	s_or_b32 exec_lo, exec_lo, s10
	v_cmp_lt_i32_e64 s7, -1, v29
	v_lshrrev_b32_e32 v55, 16, v29
	v_lshrrev_b32_e32 v64, 16, v31
	s_wait_alu 0xf1ff
	s_delay_alu instid0(VALU_DEP_3) | instskip(SKIP_1) | instid1(VALU_DEP_2)
	v_cndmask_b32_e64 v29, -1, 0xffff8000, s7
	v_cmp_lt_i32_e64 s7, -1, v31
	v_xor_b32_e32 v29, v29, v55
	s_wait_alu 0xf1ff
	s_delay_alu instid0(VALU_DEP_2) | instskip(SKIP_1) | instid1(VALU_DEP_2)
	v_cndmask_b32_e64 v31, -1, 0xffff8000, s7
	v_add_nc_u32_e32 v55, 1, v28
	v_xor_b32_e32 v31, v31, v64
	s_delay_alu instid0(VALU_DEP_1) | instskip(SKIP_1) | instid1(VALU_DEP_1)
	v_cmp_gt_u16_e64 s7, v29, v31
	s_wait_alu 0xf1ff
	v_cndmask_b32_e64 v54, v54, v28, s7
	v_cndmask_b32_e64 v27, v55, v27, s7
	s_delay_alu instid0(VALU_DEP_1)
	v_cmp_ge_u32_e64 s7, v27, v54
	s_or_b32 s9, s7, s9
	s_wait_alu 0xfffe
	s_and_not1_b32 exec_lo, exec_lo, s9
	s_cbranch_execz .LBB1961_661
.LBB1961_653:                           ; =>This Inner Loop Header: Depth=1
	v_add_nc_u32_e32 v29, v54, v27
	s_delay_alu instid0(VALU_DEP_1) | instskip(SKIP_1) | instid1(VALU_DEP_2)
	v_lshrrev_b32_e32 v28, 1, v29
	v_and_b32_e32 v29, -2, v29
	v_not_b32_e32 v31, v28
	s_delay_alu instid0(VALU_DEP_2) | instskip(NEXT) | instid1(VALU_DEP_2)
	v_add_nc_u32_e32 v29, v30, v29
	v_lshl_add_u32 v31, v31, 1, v14
	ds_load_u16 v55, v31
	ds_load_u16 v31, v29
	s_wait_dscnt 0x1
	v_lshlrev_b32_e32 v29, 16, v55
	s_delay_alu instid0(VALU_DEP_1) | instskip(NEXT) | instid1(VALU_DEP_1)
	v_add_f32_e32 v55, 0, v29
	v_and_b32_e32 v29, 0x7f800000, v55
	s_delay_alu instid0(VALU_DEP_1)
	v_cmp_ne_u32_e64 s7, 0x7f800000, v29
                                        ; implicit-def: $vgpr29
	s_and_saveexec_b32 s10, s7
	s_wait_alu 0xfffe
	s_xor_b32 s7, exec_lo, s10
; %bb.654:                              ;   in Loop: Header=BB1961_653 Depth=1
	v_bfe_u32 v29, v55, 16, 1
	s_delay_alu instid0(VALU_DEP_1)
	v_add3_u32 v29, v55, v29, 0x7fff
                                        ; implicit-def: $vgpr55
; %bb.655:                              ;   in Loop: Header=BB1961_653 Depth=1
	s_wait_alu 0xfffe
	s_and_not1_saveexec_b32 s10, s7
; %bb.656:                              ;   in Loop: Header=BB1961_653 Depth=1
	v_and_b32_e32 v29, 0xffff, v55
	v_or_b32_e32 v64, 0x10000, v55
	s_delay_alu instid0(VALU_DEP_2) | instskip(SKIP_1) | instid1(VALU_DEP_1)
	v_cmp_eq_u32_e64 s7, 0, v29
	s_wait_alu 0xf1ff
	v_cndmask_b32_e64 v29, v64, v55, s7
; %bb.657:                              ;   in Loop: Header=BB1961_653 Depth=1
	s_wait_alu 0xfffe
	s_or_b32 exec_lo, exec_lo, s10
	s_wait_dscnt 0x0
	v_lshlrev_b32_e32 v31, 16, v31
	s_delay_alu instid0(VALU_DEP_1) | instskip(NEXT) | instid1(VALU_DEP_1)
	v_add_f32_e32 v55, 0, v31
	v_and_b32_e32 v31, 0x7f800000, v55
	s_delay_alu instid0(VALU_DEP_1)
	v_cmp_ne_u32_e64 s7, 0x7f800000, v31
                                        ; implicit-def: $vgpr31
	s_and_saveexec_b32 s10, s7
	s_wait_alu 0xfffe
	s_xor_b32 s7, exec_lo, s10
; %bb.658:                              ;   in Loop: Header=BB1961_653 Depth=1
	v_bfe_u32 v31, v55, 16, 1
	s_delay_alu instid0(VALU_DEP_1)
	v_add3_u32 v31, v55, v31, 0x7fff
                                        ; implicit-def: $vgpr55
; %bb.659:                              ;   in Loop: Header=BB1961_653 Depth=1
	s_wait_alu 0xfffe
	s_and_not1_saveexec_b32 s10, s7
	s_cbranch_execz .LBB1961_652
; %bb.660:                              ;   in Loop: Header=BB1961_653 Depth=1
	v_and_b32_e32 v31, 0xffff, v55
	v_or_b32_e32 v64, 0x10000, v55
	s_delay_alu instid0(VALU_DEP_2) | instskip(SKIP_1) | instid1(VALU_DEP_1)
	v_cmp_eq_u32_e64 s7, 0, v31
	s_wait_alu 0xf1ff
	v_cndmask_b32_e64 v31, v64, v55, s7
	s_branch .LBB1961_652
.LBB1961_661:
	s_or_b32 exec_lo, exec_lo, s9
.LBB1961_662:
	s_wait_alu 0xfffe
	s_or_b32 exec_lo, exec_lo, s8
	v_add_nc_u32_e32 v14, v36, v35
	v_add_nc_u32_e32 v28, v27, v53
	s_delay_alu instid0(VALU_DEP_2) | instskip(NEXT) | instid1(VALU_DEP_2)
	v_sub_nc_u32_e32 v29, v14, v27
	v_cmp_le_u32_e64 s7, v28, v36
	s_delay_alu instid0(VALU_DEP_2)
	v_cmp_le_u32_e64 s8, v29, v52
	s_or_b32 s7, s7, s8
	s_wait_alu 0xfffe
	s_and_saveexec_b32 s9, s7
	s_cbranch_execz .LBB1961_762
; %bb.663:
	v_cmp_ge_u32_e64 s7, v28, v36
	s_mov_b32 s10, exec_lo
                                        ; implicit-def: $vgpr14
	v_cmpx_lt_u32_e64 v28, v36
; %bb.664:
	v_lshl_add_u32 v4, v27, 1, v30
	ds_load_u16 v14, v4
; %bb.665:
	s_wait_alu 0xfffe
	s_or_b32 exec_lo, exec_lo, s10
	v_cmp_ge_u32_e64 s10, v29, v52
	s_mov_b32 s11, exec_lo
                                        ; implicit-def: $vgpr27
	v_cmpx_lt_u32_e64 v29, v52
; %bb.666:
	v_lshl_add_u32 v4, v29, 1, v10
	ds_load_u16 v27, v4
; %bb.667:
	s_wait_alu 0xfffe
	s_or_b32 exec_lo, exec_lo, s11
	s_nor_b32 s7, s7, s10
	s_wait_alu 0xfffe
	s_and_saveexec_b32 s8, s7
	s_cbranch_execz .LBB1961_677
; %bb.668:
	s_wait_dscnt 0x0
	v_lshlrev_b32_e32 v4, 16, v27
	s_delay_alu instid0(VALU_DEP_1) | instskip(NEXT) | instid1(VALU_DEP_1)
	v_add_f32_e32 v5, 0, v4
	v_and_b32_e32 v4, 0x7f800000, v5
	s_delay_alu instid0(VALU_DEP_1)
	v_cmp_ne_u32_e64 s7, 0x7f800000, v4
                                        ; implicit-def: $vgpr4
	s_and_saveexec_b32 s11, s7
	s_wait_alu 0xfffe
	s_xor_b32 s7, exec_lo, s11
; %bb.669:
	v_bfe_u32 v4, v5, 16, 1
	s_delay_alu instid0(VALU_DEP_1)
	v_add3_u32 v4, v5, v4, 0x7fff
                                        ; implicit-def: $vgpr5
; %bb.670:
	s_wait_alu 0xfffe
	s_and_not1_saveexec_b32 s11, s7
; %bb.671:
	v_and_b32_e32 v4, 0xffff, v5
	v_or_b32_e32 v8, 0x10000, v5
	s_delay_alu instid0(VALU_DEP_2) | instskip(SKIP_1) | instid1(VALU_DEP_1)
	v_cmp_eq_u32_e64 s7, 0, v4
	s_wait_alu 0xf1ff
	v_cndmask_b32_e64 v4, v8, v5, s7
; %bb.672:
	s_wait_alu 0xfffe
	s_or_b32 exec_lo, exec_lo, s11
	v_lshlrev_b32_e32 v5, 16, v14
	s_delay_alu instid0(VALU_DEP_1) | instskip(NEXT) | instid1(VALU_DEP_1)
	v_add_f32_e32 v8, 0, v5
	v_and_b32_e32 v5, 0x7f800000, v8
	s_delay_alu instid0(VALU_DEP_1)
	v_cmp_ne_u32_e64 s7, 0x7f800000, v5
                                        ; implicit-def: $vgpr5
	s_and_saveexec_b32 s11, s7
	s_wait_alu 0xfffe
	s_xor_b32 s7, exec_lo, s11
; %bb.673:
	v_bfe_u32 v5, v8, 16, 1
	s_delay_alu instid0(VALU_DEP_1)
	v_add3_u32 v5, v8, v5, 0x7fff
                                        ; implicit-def: $vgpr8
; %bb.674:
	s_wait_alu 0xfffe
	s_and_not1_saveexec_b32 s11, s7
; %bb.675:
	v_and_b32_e32 v5, 0xffff, v8
	v_or_b32_e32 v9, 0x10000, v8
	s_delay_alu instid0(VALU_DEP_2) | instskip(SKIP_1) | instid1(VALU_DEP_1)
	v_cmp_eq_u32_e64 s7, 0, v5
	s_wait_alu 0xf1ff
	v_cndmask_b32_e64 v5, v9, v8, s7
; %bb.676:
	s_wait_alu 0xfffe
	s_or_b32 exec_lo, exec_lo, s11
	v_cmp_lt_i32_e64 s7, -1, v4
	s_delay_alu instid0(VALU_DEP_2) | instskip(SKIP_4) | instid1(VALU_DEP_1)
	v_perm_b32 v4, v5, v4, 0x7060302
	s_and_not1_b32 s10, s10, exec_lo
	v_cndmask_b32_e64 v8, -1, 0xffff8000, s7
	v_cmp_lt_i32_e64 s7, -1, v5
	s_wait_alu 0xf1ff
	v_cndmask_b32_e64 v9, -1, 0xffff8000, s7
	s_delay_alu instid0(VALU_DEP_1) | instskip(NEXT) | instid1(VALU_DEP_1)
	v_perm_b32 v5, v9, v8, 0x5040100
	v_xor_b32_e32 v4, v5, v4
	s_delay_alu instid0(VALU_DEP_1) | instskip(NEXT) | instid1(VALU_DEP_1)
	v_lshrrev_b32_e32 v5, 16, v4
	v_cmp_le_u16_e64 s7, v4, v5
	s_and_b32 s7, s7, exec_lo
	s_wait_alu 0xfffe
	s_or_b32 s10, s10, s7
.LBB1961_677:
	s_wait_alu 0xfffe
	s_or_b32 exec_lo, exec_lo, s8
	v_cndmask_b32_e64 v4, v29, v28, s10
	v_cndmask_b32_e64 v5, v52, v36, s10
	s_mov_b32 s11, -1
	s_mov_b32 s8, -1
	s_mov_b32 s12, exec_lo
	v_add_nc_u32_e32 v8, 1, v4
	v_add_nc_u32_e32 v5, -1, v5
	v_lshl_add_u32 v4, v4, 3, v13
	s_delay_alu instid0(VALU_DEP_3) | instskip(NEXT) | instid1(VALU_DEP_3)
	v_cndmask_b32_e64 v15, v8, v29, s10
	v_min_u32_e32 v5, v8, v5
	v_cndmask_b32_e64 v16, v28, v8, s10
	s_delay_alu instid0(VALU_DEP_2)
	v_lshl_add_u32 v5, v5, 1, v10
	ds_load_u16 v9, v5
	ds_load_b64 v[4:5], v4 offset:4096
	s_wait_dscnt 0x1
	v_cndmask_b32_e64 v28, v9, v27, s10
	v_cndmask_b32_e64 v29, v14, v9, s10
	v_cmpx_lt_u32_e64 v15, v52
	s_cbranch_execz .LBB1961_689
; %bb.678:
	s_mov_b32 s13, 0
	s_mov_b32 s8, exec_lo
	v_cmpx_lt_u32_e64 v16, v36
	s_cbranch_execz .LBB1961_688
; %bb.679:
	v_lshlrev_b32_e32 v8, 16, v28
	s_delay_alu instid0(VALU_DEP_1) | instskip(NEXT) | instid1(VALU_DEP_1)
	v_add_f32_e32 v9, 0, v8
	v_and_b32_e32 v8, 0x7f800000, v9
	s_delay_alu instid0(VALU_DEP_1)
	v_cmp_ne_u32_e64 s7, 0x7f800000, v8
                                        ; implicit-def: $vgpr8
	s_and_saveexec_b32 s13, s7
	s_wait_alu 0xfffe
	s_xor_b32 s7, exec_lo, s13
; %bb.680:
	v_bfe_u32 v8, v9, 16, 1
	s_delay_alu instid0(VALU_DEP_1)
	v_add3_u32 v8, v9, v8, 0x7fff
                                        ; implicit-def: $vgpr9
; %bb.681:
	s_wait_alu 0xfffe
	s_and_not1_saveexec_b32 s13, s7
; %bb.682:
	v_and_b32_e32 v8, 0xffff, v9
	v_or_b32_e32 v17, 0x10000, v9
	s_delay_alu instid0(VALU_DEP_2) | instskip(SKIP_1) | instid1(VALU_DEP_1)
	v_cmp_eq_u32_e64 s7, 0, v8
	s_wait_alu 0xf1ff
	v_cndmask_b32_e64 v8, v17, v9, s7
; %bb.683:
	s_wait_alu 0xfffe
	s_or_b32 exec_lo, exec_lo, s13
	v_lshlrev_b32_e32 v9, 16, v29
	s_delay_alu instid0(VALU_DEP_1) | instskip(NEXT) | instid1(VALU_DEP_1)
	v_add_f32_e32 v17, 0, v9
	v_and_b32_e32 v9, 0x7f800000, v17
	s_delay_alu instid0(VALU_DEP_1)
	v_cmp_ne_u32_e64 s7, 0x7f800000, v9
                                        ; implicit-def: $vgpr9
	s_and_saveexec_b32 s13, s7
	s_wait_alu 0xfffe
	s_xor_b32 s7, exec_lo, s13
; %bb.684:
	v_bfe_u32 v9, v17, 16, 1
	s_delay_alu instid0(VALU_DEP_1)
	v_add3_u32 v9, v17, v9, 0x7fff
                                        ; implicit-def: $vgpr17
; %bb.685:
	s_wait_alu 0xfffe
	s_and_not1_saveexec_b32 s13, s7
; %bb.686:
	v_and_b32_e32 v9, 0xffff, v17
	v_or_b32_e32 v18, 0x10000, v17
	s_delay_alu instid0(VALU_DEP_2) | instskip(SKIP_1) | instid1(VALU_DEP_1)
	v_cmp_eq_u32_e64 s7, 0, v9
	s_wait_alu 0xf1ff
	v_cndmask_b32_e64 v9, v18, v17, s7
; %bb.687:
	s_wait_alu 0xfffe
	s_or_b32 exec_lo, exec_lo, s13
	v_cmp_lt_i32_e64 s7, -1, v8
	s_delay_alu instid0(VALU_DEP_2) | instskip(SKIP_1) | instid1(VALU_DEP_2)
	v_perm_b32 v8, v9, v8, 0x7060302
	s_wait_alu 0xf1ff
	v_cndmask_b32_e64 v17, -1, 0xffff8000, s7
	v_cmp_lt_i32_e64 s7, -1, v9
	s_wait_alu 0xf1ff
	s_delay_alu instid0(VALU_DEP_1) | instskip(NEXT) | instid1(VALU_DEP_1)
	v_cndmask_b32_e64 v18, -1, 0xffff8000, s7
	v_perm_b32 v9, v18, v17, 0x5040100
	s_delay_alu instid0(VALU_DEP_1) | instskip(NEXT) | instid1(VALU_DEP_1)
	v_xor_b32_e32 v8, v9, v8
	v_lshrrev_b32_e32 v9, 16, v8
	s_delay_alu instid0(VALU_DEP_1)
	v_cmp_le_u16_e64 s7, v8, v9
	s_and_b32 s13, s7, exec_lo
.LBB1961_688:
	s_wait_alu 0xfffe
	s_or_b32 exec_lo, exec_lo, s8
	s_delay_alu instid0(SALU_CYCLE_1)
	s_or_not1_b32 s8, s13, exec_lo
.LBB1961_689:
	s_wait_alu 0xfffe
	s_or_b32 exec_lo, exec_lo, s12
	v_cndmask_b32_e64 v8, v15, v16, s8
	v_cndmask_b32_e64 v9, v52, v36, s8
	s_mov_b32 s12, exec_lo
	s_delay_alu instid0(VALU_DEP_2) | instskip(NEXT) | instid1(VALU_DEP_2)
	v_add_nc_u32_e32 v18, 1, v8
	v_add_nc_u32_e32 v9, -1, v9
	v_lshl_add_u32 v8, v8, 3, v13
	s_delay_alu instid0(VALU_DEP_3) | instskip(NEXT) | instid1(VALU_DEP_3)
	v_cndmask_b32_e64 v17, v18, v15, s8
	v_min_u32_e32 v9, v18, v9
	v_cndmask_b32_e64 v18, v16, v18, s8
	s_delay_alu instid0(VALU_DEP_2)
	v_lshl_add_u32 v9, v9, 1, v10
	ds_load_u16 v19, v9
	ds_load_b64 v[8:9], v8 offset:4096
	s_wait_dscnt 0x1
	v_cndmask_b32_e64 v30, v19, v28, s8
	v_cndmask_b32_e64 v31, v29, v19, s8
	v_cmpx_lt_u32_e64 v17, v52
	s_cbranch_execz .LBB1961_701
; %bb.690:
	s_mov_b32 s13, 0
	s_mov_b32 s11, exec_lo
	v_cmpx_lt_u32_e64 v18, v36
	s_cbranch_execz .LBB1961_700
; %bb.691:
	v_lshlrev_b32_e32 v15, 16, v30
	s_delay_alu instid0(VALU_DEP_1) | instskip(NEXT) | instid1(VALU_DEP_1)
	v_add_f32_e32 v16, 0, v15
	v_and_b32_e32 v15, 0x7f800000, v16
	s_delay_alu instid0(VALU_DEP_1)
	v_cmp_ne_u32_e64 s7, 0x7f800000, v15
                                        ; implicit-def: $vgpr15
	s_and_saveexec_b32 s13, s7
	s_wait_alu 0xfffe
	s_xor_b32 s7, exec_lo, s13
; %bb.692:
	v_bfe_u32 v15, v16, 16, 1
	s_delay_alu instid0(VALU_DEP_1)
	v_add3_u32 v15, v16, v15, 0x7fff
                                        ; implicit-def: $vgpr16
; %bb.693:
	s_wait_alu 0xfffe
	s_and_not1_saveexec_b32 s13, s7
; %bb.694:
	v_and_b32_e32 v15, 0xffff, v16
	v_or_b32_e32 v19, 0x10000, v16
	s_delay_alu instid0(VALU_DEP_2) | instskip(SKIP_1) | instid1(VALU_DEP_1)
	v_cmp_eq_u32_e64 s7, 0, v15
	s_wait_alu 0xf1ff
	v_cndmask_b32_e64 v15, v19, v16, s7
; %bb.695:
	s_wait_alu 0xfffe
	s_or_b32 exec_lo, exec_lo, s13
	v_lshlrev_b32_e32 v16, 16, v31
	s_delay_alu instid0(VALU_DEP_1) | instskip(NEXT) | instid1(VALU_DEP_1)
	v_add_f32_e32 v19, 0, v16
	v_and_b32_e32 v16, 0x7f800000, v19
	s_delay_alu instid0(VALU_DEP_1)
	v_cmp_ne_u32_e64 s7, 0x7f800000, v16
                                        ; implicit-def: $vgpr16
	s_and_saveexec_b32 s13, s7
	s_wait_alu 0xfffe
	s_xor_b32 s7, exec_lo, s13
; %bb.696:
	v_bfe_u32 v16, v19, 16, 1
	s_delay_alu instid0(VALU_DEP_1)
	v_add3_u32 v16, v19, v16, 0x7fff
                                        ; implicit-def: $vgpr19
; %bb.697:
	s_wait_alu 0xfffe
	s_and_not1_saveexec_b32 s13, s7
; %bb.698:
	v_and_b32_e32 v16, 0xffff, v19
	v_or_b32_e32 v20, 0x10000, v19
	s_delay_alu instid0(VALU_DEP_2) | instskip(SKIP_1) | instid1(VALU_DEP_1)
	v_cmp_eq_u32_e64 s7, 0, v16
	s_wait_alu 0xf1ff
	v_cndmask_b32_e64 v16, v20, v19, s7
; %bb.699:
	s_wait_alu 0xfffe
	s_or_b32 exec_lo, exec_lo, s13
	v_cmp_lt_i32_e64 s7, -1, v15
	s_delay_alu instid0(VALU_DEP_2) | instskip(SKIP_1) | instid1(VALU_DEP_2)
	v_perm_b32 v15, v16, v15, 0x7060302
	s_wait_alu 0xf1ff
	v_cndmask_b32_e64 v19, -1, 0xffff8000, s7
	v_cmp_lt_i32_e64 s7, -1, v16
	s_wait_alu 0xf1ff
	s_delay_alu instid0(VALU_DEP_1) | instskip(NEXT) | instid1(VALU_DEP_1)
	v_cndmask_b32_e64 v20, -1, 0xffff8000, s7
	v_perm_b32 v16, v20, v19, 0x5040100
	s_delay_alu instid0(VALU_DEP_1) | instskip(NEXT) | instid1(VALU_DEP_1)
	v_xor_b32_e32 v15, v16, v15
	v_lshrrev_b32_e32 v16, 16, v15
	s_delay_alu instid0(VALU_DEP_1)
	v_cmp_le_u16_e64 s7, v15, v16
	s_and_b32 s13, s7, exec_lo
.LBB1961_700:
	s_wait_alu 0xfffe
	s_or_b32 exec_lo, exec_lo, s11
	s_delay_alu instid0(SALU_CYCLE_1)
	s_or_not1_b32 s11, s13, exec_lo
.LBB1961_701:
	s_wait_alu 0xfffe
	s_or_b32 exec_lo, exec_lo, s12
	v_cndmask_b32_e64 v15, v17, v18, s11
	v_cndmask_b32_e64 v16, v52, v36, s11
	s_mov_b32 s13, -1
	s_mov_b32 s12, -1
	s_mov_b32 s14, exec_lo
	v_add_nc_u32_e32 v20, 1, v15
	v_add_nc_u32_e32 v16, -1, v16
	v_lshl_add_u32 v15, v15, 3, v13
	s_delay_alu instid0(VALU_DEP_3) | instskip(NEXT) | instid1(VALU_DEP_3)
	v_cndmask_b32_e64 v19, v20, v17, s11
	v_min_u32_e32 v16, v20, v16
	v_cndmask_b32_e64 v20, v18, v20, s11
	s_delay_alu instid0(VALU_DEP_2)
	v_lshl_add_u32 v16, v16, 1, v10
	ds_load_u16 v21, v16
	ds_load_b64 v[15:16], v15 offset:4096
	s_wait_dscnt 0x1
	v_cndmask_b32_e64 v32, v21, v30, s11
	v_cndmask_b32_e64 v35, v31, v21, s11
	v_cmpx_lt_u32_e64 v19, v52
	s_cbranch_execz .LBB1961_713
; %bb.702:
	s_mov_b32 s15, 0
	s_mov_b32 s12, exec_lo
	v_cmpx_lt_u32_e64 v20, v36
	s_cbranch_execz .LBB1961_712
; %bb.703:
	v_lshlrev_b32_e32 v17, 16, v32
	s_delay_alu instid0(VALU_DEP_1) | instskip(NEXT) | instid1(VALU_DEP_1)
	v_add_f32_e32 v18, 0, v17
	v_and_b32_e32 v17, 0x7f800000, v18
	s_delay_alu instid0(VALU_DEP_1)
	v_cmp_ne_u32_e64 s7, 0x7f800000, v17
                                        ; implicit-def: $vgpr17
	s_and_saveexec_b32 s15, s7
	s_wait_alu 0xfffe
	s_xor_b32 s7, exec_lo, s15
; %bb.704:
	v_bfe_u32 v17, v18, 16, 1
	s_delay_alu instid0(VALU_DEP_1)
	v_add3_u32 v17, v18, v17, 0x7fff
                                        ; implicit-def: $vgpr18
; %bb.705:
	s_wait_alu 0xfffe
	s_and_not1_saveexec_b32 s15, s7
; %bb.706:
	v_and_b32_e32 v17, 0xffff, v18
	v_or_b32_e32 v21, 0x10000, v18
	s_delay_alu instid0(VALU_DEP_2) | instskip(SKIP_1) | instid1(VALU_DEP_1)
	v_cmp_eq_u32_e64 s7, 0, v17
	s_wait_alu 0xf1ff
	v_cndmask_b32_e64 v17, v21, v18, s7
; %bb.707:
	s_wait_alu 0xfffe
	s_or_b32 exec_lo, exec_lo, s15
	v_lshlrev_b32_e32 v18, 16, v35
	s_delay_alu instid0(VALU_DEP_1) | instskip(NEXT) | instid1(VALU_DEP_1)
	v_add_f32_e32 v21, 0, v18
	v_and_b32_e32 v18, 0x7f800000, v21
	s_delay_alu instid0(VALU_DEP_1)
	v_cmp_ne_u32_e64 s7, 0x7f800000, v18
                                        ; implicit-def: $vgpr18
	s_and_saveexec_b32 s15, s7
	s_wait_alu 0xfffe
	s_xor_b32 s7, exec_lo, s15
; %bb.708:
	v_bfe_u32 v18, v21, 16, 1
	s_delay_alu instid0(VALU_DEP_1)
	v_add3_u32 v18, v21, v18, 0x7fff
                                        ; implicit-def: $vgpr21
; %bb.709:
	s_wait_alu 0xfffe
	s_and_not1_saveexec_b32 s15, s7
; %bb.710:
	v_and_b32_e32 v18, 0xffff, v21
	v_or_b32_e32 v22, 0x10000, v21
	s_delay_alu instid0(VALU_DEP_2) | instskip(SKIP_1) | instid1(VALU_DEP_1)
	v_cmp_eq_u32_e64 s7, 0, v18
	s_wait_alu 0xf1ff
	v_cndmask_b32_e64 v18, v22, v21, s7
; %bb.711:
	s_wait_alu 0xfffe
	s_or_b32 exec_lo, exec_lo, s15
	v_cmp_lt_i32_e64 s7, -1, v17
	s_delay_alu instid0(VALU_DEP_2) | instskip(SKIP_1) | instid1(VALU_DEP_2)
	v_perm_b32 v17, v18, v17, 0x7060302
	s_wait_alu 0xf1ff
	v_cndmask_b32_e64 v21, -1, 0xffff8000, s7
	v_cmp_lt_i32_e64 s7, -1, v18
	s_wait_alu 0xf1ff
	s_delay_alu instid0(VALU_DEP_1) | instskip(NEXT) | instid1(VALU_DEP_1)
	v_cndmask_b32_e64 v22, -1, 0xffff8000, s7
	v_perm_b32 v18, v22, v21, 0x5040100
	s_delay_alu instid0(VALU_DEP_1) | instskip(NEXT) | instid1(VALU_DEP_1)
	v_xor_b32_e32 v17, v18, v17
	v_lshrrev_b32_e32 v18, 16, v17
	s_delay_alu instid0(VALU_DEP_1)
	v_cmp_le_u16_e64 s7, v17, v18
	s_and_b32 s15, s7, exec_lo
.LBB1961_712:
	s_wait_alu 0xfffe
	s_or_b32 exec_lo, exec_lo, s12
	s_delay_alu instid0(SALU_CYCLE_1)
	s_or_not1_b32 s12, s15, exec_lo
.LBB1961_713:
	s_wait_alu 0xfffe
	s_or_b32 exec_lo, exec_lo, s14
	v_cndmask_b32_e64 v17, v19, v20, s12
	v_cndmask_b32_e64 v18, v52, v36, s12
	s_mov_b32 s14, exec_lo
	s_delay_alu instid0(VALU_DEP_2) | instskip(NEXT) | instid1(VALU_DEP_2)
	v_add_nc_u32_e32 v22, 1, v17
	v_add_nc_u32_e32 v18, -1, v18
	v_lshl_add_u32 v17, v17, 3, v13
	s_delay_alu instid0(VALU_DEP_3) | instskip(NEXT) | instid1(VALU_DEP_3)
	v_cndmask_b32_e64 v21, v22, v19, s12
	v_min_u32_e32 v18, v22, v18
	v_cndmask_b32_e64 v22, v20, v22, s12
	s_delay_alu instid0(VALU_DEP_2)
	v_lshl_add_u32 v18, v18, 1, v10
	ds_load_u16 v23, v18
	ds_load_b64 v[17:18], v17 offset:4096
	s_wait_dscnt 0x1
	v_cndmask_b32_e64 v37, v23, v32, s12
	v_cndmask_b32_e64 v38, v35, v23, s12
	v_cmpx_lt_u32_e64 v21, v52
	s_cbranch_execz .LBB1961_725
; %bb.714:
	s_mov_b32 s15, 0
	s_mov_b32 s13, exec_lo
	v_cmpx_lt_u32_e64 v22, v36
	s_cbranch_execz .LBB1961_724
; %bb.715:
	v_lshlrev_b32_e32 v19, 16, v37
	s_delay_alu instid0(VALU_DEP_1) | instskip(NEXT) | instid1(VALU_DEP_1)
	v_add_f32_e32 v20, 0, v19
	v_and_b32_e32 v19, 0x7f800000, v20
	s_delay_alu instid0(VALU_DEP_1)
	v_cmp_ne_u32_e64 s7, 0x7f800000, v19
                                        ; implicit-def: $vgpr19
	s_and_saveexec_b32 s15, s7
	s_wait_alu 0xfffe
	s_xor_b32 s7, exec_lo, s15
; %bb.716:
	v_bfe_u32 v19, v20, 16, 1
	s_delay_alu instid0(VALU_DEP_1)
	v_add3_u32 v19, v20, v19, 0x7fff
                                        ; implicit-def: $vgpr20
; %bb.717:
	s_wait_alu 0xfffe
	s_and_not1_saveexec_b32 s15, s7
; %bb.718:
	v_and_b32_e32 v19, 0xffff, v20
	v_or_b32_e32 v23, 0x10000, v20
	s_delay_alu instid0(VALU_DEP_2) | instskip(SKIP_1) | instid1(VALU_DEP_1)
	v_cmp_eq_u32_e64 s7, 0, v19
	s_wait_alu 0xf1ff
	v_cndmask_b32_e64 v19, v23, v20, s7
; %bb.719:
	s_wait_alu 0xfffe
	s_or_b32 exec_lo, exec_lo, s15
	v_lshlrev_b32_e32 v20, 16, v38
	s_delay_alu instid0(VALU_DEP_1) | instskip(NEXT) | instid1(VALU_DEP_1)
	v_add_f32_e32 v23, 0, v20
	v_and_b32_e32 v20, 0x7f800000, v23
	s_delay_alu instid0(VALU_DEP_1)
	v_cmp_ne_u32_e64 s7, 0x7f800000, v20
                                        ; implicit-def: $vgpr20
	s_and_saveexec_b32 s15, s7
	s_wait_alu 0xfffe
	s_xor_b32 s7, exec_lo, s15
; %bb.720:
	v_bfe_u32 v20, v23, 16, 1
	s_delay_alu instid0(VALU_DEP_1)
	v_add3_u32 v20, v23, v20, 0x7fff
                                        ; implicit-def: $vgpr23
; %bb.721:
	s_wait_alu 0xfffe
	s_and_not1_saveexec_b32 s15, s7
; %bb.722:
	v_and_b32_e32 v20, 0xffff, v23
	v_or_b32_e32 v24, 0x10000, v23
	s_delay_alu instid0(VALU_DEP_2) | instskip(SKIP_1) | instid1(VALU_DEP_1)
	v_cmp_eq_u32_e64 s7, 0, v20
	s_wait_alu 0xf1ff
	v_cndmask_b32_e64 v20, v24, v23, s7
; %bb.723:
	s_wait_alu 0xfffe
	s_or_b32 exec_lo, exec_lo, s15
	v_cmp_lt_i32_e64 s7, -1, v19
	s_delay_alu instid0(VALU_DEP_2) | instskip(SKIP_1) | instid1(VALU_DEP_2)
	v_perm_b32 v19, v20, v19, 0x7060302
	s_wait_alu 0xf1ff
	v_cndmask_b32_e64 v23, -1, 0xffff8000, s7
	v_cmp_lt_i32_e64 s7, -1, v20
	s_wait_alu 0xf1ff
	s_delay_alu instid0(VALU_DEP_1) | instskip(NEXT) | instid1(VALU_DEP_1)
	v_cndmask_b32_e64 v24, -1, 0xffff8000, s7
	v_perm_b32 v20, v24, v23, 0x5040100
	s_delay_alu instid0(VALU_DEP_1) | instskip(NEXT) | instid1(VALU_DEP_1)
	v_xor_b32_e32 v19, v20, v19
	v_lshrrev_b32_e32 v20, 16, v19
	s_delay_alu instid0(VALU_DEP_1)
	v_cmp_le_u16_e64 s7, v19, v20
	s_and_b32 s15, s7, exec_lo
.LBB1961_724:
	s_wait_alu 0xfffe
	s_or_b32 exec_lo, exec_lo, s13
	s_delay_alu instid0(SALU_CYCLE_1)
	s_or_not1_b32 s13, s15, exec_lo
.LBB1961_725:
	s_wait_alu 0xfffe
	s_or_b32 exec_lo, exec_lo, s14
	v_cndmask_b32_e64 v19, v21, v22, s13
	v_cndmask_b32_e64 v20, v52, v36, s13
	s_mov_b32 s15, -1
	s_mov_b32 s14, -1
	s_mov_b32 s16, exec_lo
	v_add_nc_u32_e32 v23, 1, v19
	v_add_nc_u32_e32 v20, -1, v20
	v_lshl_add_u32 v19, v19, 3, v13
	s_delay_alu instid0(VALU_DEP_3) | instskip(NEXT) | instid1(VALU_DEP_3)
	v_cndmask_b32_e64 v21, v23, v21, s13
	v_min_u32_e32 v20, v23, v20
	v_cndmask_b32_e64 v22, v22, v23, s13
	s_delay_alu instid0(VALU_DEP_2)
	v_lshl_add_u32 v20, v20, 1, v10
	ds_load_u16 v24, v20
	ds_load_b64 v[19:20], v19 offset:4096
	s_wait_dscnt 0x1
	v_cndmask_b32_e64 v39, v24, v37, s13
	v_cndmask_b32_e64 v48, v38, v24, s13
	v_cmpx_lt_u32_e64 v21, v52
	s_cbranch_execz .LBB1961_737
; %bb.726:
	s_mov_b32 s17, 0
	s_mov_b32 s14, exec_lo
	v_cmpx_lt_u32_e64 v22, v36
	s_cbranch_execz .LBB1961_736
; %bb.727:
	v_lshlrev_b32_e32 v23, 16, v39
	s_delay_alu instid0(VALU_DEP_1) | instskip(NEXT) | instid1(VALU_DEP_1)
	v_add_f32_e32 v24, 0, v23
	v_and_b32_e32 v23, 0x7f800000, v24
	s_delay_alu instid0(VALU_DEP_1)
	v_cmp_ne_u32_e64 s7, 0x7f800000, v23
                                        ; implicit-def: $vgpr23
	s_and_saveexec_b32 s17, s7
	s_wait_alu 0xfffe
	s_xor_b32 s7, exec_lo, s17
; %bb.728:
	v_bfe_u32 v23, v24, 16, 1
	s_delay_alu instid0(VALU_DEP_1)
	v_add3_u32 v23, v24, v23, 0x7fff
                                        ; implicit-def: $vgpr24
; %bb.729:
	s_wait_alu 0xfffe
	s_and_not1_saveexec_b32 s17, s7
; %bb.730:
	v_and_b32_e32 v23, 0xffff, v24
	v_or_b32_e32 v25, 0x10000, v24
	s_delay_alu instid0(VALU_DEP_2) | instskip(SKIP_1) | instid1(VALU_DEP_1)
	v_cmp_eq_u32_e64 s7, 0, v23
	s_wait_alu 0xf1ff
	v_cndmask_b32_e64 v23, v25, v24, s7
; %bb.731:
	s_wait_alu 0xfffe
	s_or_b32 exec_lo, exec_lo, s17
	v_lshlrev_b32_e32 v24, 16, v48
	s_delay_alu instid0(VALU_DEP_1) | instskip(NEXT) | instid1(VALU_DEP_1)
	v_add_f32_e32 v25, 0, v24
	v_and_b32_e32 v24, 0x7f800000, v25
	s_delay_alu instid0(VALU_DEP_1)
	v_cmp_ne_u32_e64 s7, 0x7f800000, v24
                                        ; implicit-def: $vgpr24
	s_and_saveexec_b32 s17, s7
	s_wait_alu 0xfffe
	s_xor_b32 s7, exec_lo, s17
; %bb.732:
	v_bfe_u32 v24, v25, 16, 1
	s_delay_alu instid0(VALU_DEP_1)
	v_add3_u32 v24, v25, v24, 0x7fff
                                        ; implicit-def: $vgpr25
; %bb.733:
	s_wait_alu 0xfffe
	s_and_not1_saveexec_b32 s17, s7
; %bb.734:
	v_and_b32_e32 v24, 0xffff, v25
	v_or_b32_e32 v26, 0x10000, v25
	s_delay_alu instid0(VALU_DEP_2) | instskip(SKIP_1) | instid1(VALU_DEP_1)
	v_cmp_eq_u32_e64 s7, 0, v24
	s_wait_alu 0xf1ff
	v_cndmask_b32_e64 v24, v26, v25, s7
; %bb.735:
	s_wait_alu 0xfffe
	s_or_b32 exec_lo, exec_lo, s17
	v_cmp_lt_i32_e64 s7, -1, v23
	s_delay_alu instid0(VALU_DEP_2) | instskip(SKIP_1) | instid1(VALU_DEP_2)
	v_perm_b32 v23, v24, v23, 0x7060302
	s_wait_alu 0xf1ff
	v_cndmask_b32_e64 v25, -1, 0xffff8000, s7
	v_cmp_lt_i32_e64 s7, -1, v24
	s_wait_alu 0xf1ff
	s_delay_alu instid0(VALU_DEP_1) | instskip(NEXT) | instid1(VALU_DEP_1)
	v_cndmask_b32_e64 v26, -1, 0xffff8000, s7
	v_perm_b32 v24, v26, v25, 0x5040100
	s_delay_alu instid0(VALU_DEP_1) | instskip(NEXT) | instid1(VALU_DEP_1)
	v_xor_b32_e32 v23, v24, v23
	v_lshrrev_b32_e32 v24, 16, v23
	s_delay_alu instid0(VALU_DEP_1)
	v_cmp_le_u16_e64 s7, v23, v24
	s_and_b32 s17, s7, exec_lo
.LBB1961_736:
	s_wait_alu 0xfffe
	s_or_b32 exec_lo, exec_lo, s14
	s_delay_alu instid0(SALU_CYCLE_1)
	s_or_not1_b32 s14, s17, exec_lo
.LBB1961_737:
	s_wait_alu 0xfffe
	s_or_b32 exec_lo, exec_lo, s16
	v_cndmask_b32_e64 v23, v21, v22, s14
	v_cndmask_b32_e64 v24, v52, v36, s14
	s_mov_b32 s16, exec_lo
	s_delay_alu instid0(VALU_DEP_2) | instskip(NEXT) | instid1(VALU_DEP_2)
	v_add_nc_u32_e32 v26, 1, v23
	v_add_nc_u32_e32 v24, -1, v24
	v_lshl_add_u32 v23, v23, 3, v13
	s_delay_alu instid0(VALU_DEP_3) | instskip(NEXT) | instid1(VALU_DEP_3)
	v_cndmask_b32_e64 v25, v26, v21, s14
	v_min_u32_e32 v24, v26, v24
	v_cndmask_b32_e64 v26, v22, v26, s14
	s_delay_alu instid0(VALU_DEP_2)
	v_lshl_add_u32 v24, v24, 1, v10
	ds_load_u16 v50, v24
	ds_load_b64 v[23:24], v23 offset:4096
	s_wait_dscnt 0x1
	v_cndmask_b32_e64 v49, v50, v39, s14
	v_cndmask_b32_e64 v50, v48, v50, s14
	v_cmpx_lt_u32_e64 v25, v52
	s_cbranch_execz .LBB1961_749
; %bb.738:
	s_mov_b32 s17, 0
	s_mov_b32 s15, exec_lo
	v_cmpx_lt_u32_e64 v26, v36
	s_cbranch_execz .LBB1961_748
; %bb.739:
	v_lshlrev_b32_e32 v21, 16, v49
	s_delay_alu instid0(VALU_DEP_1) | instskip(NEXT) | instid1(VALU_DEP_1)
	v_add_f32_e32 v22, 0, v21
	v_and_b32_e32 v21, 0x7f800000, v22
	s_delay_alu instid0(VALU_DEP_1)
	v_cmp_ne_u32_e64 s7, 0x7f800000, v21
                                        ; implicit-def: $vgpr21
	s_and_saveexec_b32 s17, s7
	s_wait_alu 0xfffe
	s_xor_b32 s7, exec_lo, s17
; %bb.740:
	v_bfe_u32 v21, v22, 16, 1
	s_delay_alu instid0(VALU_DEP_1)
	v_add3_u32 v21, v22, v21, 0x7fff
                                        ; implicit-def: $vgpr22
; %bb.741:
	s_wait_alu 0xfffe
	s_and_not1_saveexec_b32 s17, s7
; %bb.742:
	v_and_b32_e32 v21, 0xffff, v22
	v_or_b32_e32 v51, 0x10000, v22
	s_delay_alu instid0(VALU_DEP_2) | instskip(SKIP_1) | instid1(VALU_DEP_1)
	v_cmp_eq_u32_e64 s7, 0, v21
	s_wait_alu 0xf1ff
	v_cndmask_b32_e64 v21, v51, v22, s7
; %bb.743:
	s_wait_alu 0xfffe
	s_or_b32 exec_lo, exec_lo, s17
	v_lshlrev_b32_e32 v22, 16, v50
	s_delay_alu instid0(VALU_DEP_1) | instskip(NEXT) | instid1(VALU_DEP_1)
	v_add_f32_e32 v51, 0, v22
	v_and_b32_e32 v22, 0x7f800000, v51
	s_delay_alu instid0(VALU_DEP_1)
	v_cmp_ne_u32_e64 s7, 0x7f800000, v22
                                        ; implicit-def: $vgpr22
	s_and_saveexec_b32 s17, s7
	s_wait_alu 0xfffe
	s_xor_b32 s7, exec_lo, s17
; %bb.744:
	v_bfe_u32 v22, v51, 16, 1
	s_delay_alu instid0(VALU_DEP_1)
	v_add3_u32 v22, v51, v22, 0x7fff
                                        ; implicit-def: $vgpr51
; %bb.745:
	s_wait_alu 0xfffe
	s_and_not1_saveexec_b32 s17, s7
; %bb.746:
	v_and_b32_e32 v22, 0xffff, v51
	v_or_b32_e32 v53, 0x10000, v51
	s_delay_alu instid0(VALU_DEP_2) | instskip(SKIP_1) | instid1(VALU_DEP_1)
	v_cmp_eq_u32_e64 s7, 0, v22
	s_wait_alu 0xf1ff
	v_cndmask_b32_e64 v22, v53, v51, s7
; %bb.747:
	s_wait_alu 0xfffe
	s_or_b32 exec_lo, exec_lo, s17
	v_cmp_lt_i32_e64 s7, -1, v21
	s_delay_alu instid0(VALU_DEP_2) | instskip(SKIP_1) | instid1(VALU_DEP_2)
	v_perm_b32 v21, v22, v21, 0x7060302
	s_wait_alu 0xf1ff
	v_cndmask_b32_e64 v51, -1, 0xffff8000, s7
	v_cmp_lt_i32_e64 s7, -1, v22
	s_wait_alu 0xf1ff
	s_delay_alu instid0(VALU_DEP_1) | instskip(NEXT) | instid1(VALU_DEP_1)
	v_cndmask_b32_e64 v53, -1, 0xffff8000, s7
	v_perm_b32 v22, v53, v51, 0x5040100
	s_delay_alu instid0(VALU_DEP_1) | instskip(NEXT) | instid1(VALU_DEP_1)
	v_xor_b32_e32 v21, v22, v21
	v_lshrrev_b32_e32 v22, 16, v21
	s_delay_alu instid0(VALU_DEP_1)
	v_cmp_le_u16_e64 s7, v21, v22
	s_and_b32 s17, s7, exec_lo
.LBB1961_748:
	s_wait_alu 0xfffe
	s_or_b32 exec_lo, exec_lo, s15
	s_delay_alu instid0(SALU_CYCLE_1)
	s_or_not1_b32 s15, s17, exec_lo
.LBB1961_749:
	s_wait_alu 0xfffe
	s_or_b32 exec_lo, exec_lo, s16
	v_cndmask_b32_e64 v21, v25, v26, s15
	v_cndmask_b32_e64 v22, v52, v36, s15
	s_mov_b32 s17, -1
	s_mov_b32 s16, exec_lo
	s_delay_alu instid0(VALU_DEP_2) | instskip(NEXT) | instid1(VALU_DEP_2)
	v_add_nc_u32_e32 v51, 1, v21
	v_add_nc_u32_e32 v22, -1, v22
	s_delay_alu instid0(VALU_DEP_2) | instskip(NEXT) | instid1(VALU_DEP_2)
	v_cndmask_b32_e64 v25, v51, v25, s15
	v_min_u32_e32 v22, v51, v22
	v_cndmask_b32_e64 v26, v26, v51, s15
	s_delay_alu instid0(VALU_DEP_2)
	v_lshl_add_u32 v10, v22, 1, v10
	ds_load_u16 v53, v10
	v_lshl_add_u32 v10, v21, 3, v13
	ds_load_b64 v[21:22], v10 offset:4096
	s_wait_dscnt 0x1
	v_cndmask_b32_e64 v10, v53, v49, s15
	v_cndmask_b32_e64 v53, v50, v53, s15
	v_cmpx_lt_u32_e64 v25, v52
	s_cbranch_execz .LBB1961_761
; %bb.750:
	s_mov_b32 s18, 0
	s_mov_b32 s17, exec_lo
	v_cmpx_lt_u32_e64 v26, v36
	s_cbranch_execz .LBB1961_760
; %bb.751:
	v_lshlrev_b32_e32 v36, 16, v10
	s_delay_alu instid0(VALU_DEP_1) | instskip(NEXT) | instid1(VALU_DEP_1)
	v_add_f32_e32 v51, 0, v36
	v_and_b32_e32 v36, 0x7f800000, v51
	s_delay_alu instid0(VALU_DEP_1)
	v_cmp_ne_u32_e64 s7, 0x7f800000, v36
                                        ; implicit-def: $vgpr36
	s_and_saveexec_b32 s18, s7
	s_wait_alu 0xfffe
	s_xor_b32 s7, exec_lo, s18
; %bb.752:
	v_bfe_u32 v36, v51, 16, 1
	s_delay_alu instid0(VALU_DEP_1)
	v_add3_u32 v36, v51, v36, 0x7fff
                                        ; implicit-def: $vgpr51
; %bb.753:
	s_wait_alu 0xfffe
	s_and_not1_saveexec_b32 s18, s7
; %bb.754:
	v_and_b32_e32 v36, 0xffff, v51
	v_or_b32_e32 v52, 0x10000, v51
	s_delay_alu instid0(VALU_DEP_2) | instskip(SKIP_1) | instid1(VALU_DEP_1)
	v_cmp_eq_u32_e64 s7, 0, v36
	s_wait_alu 0xf1ff
	v_cndmask_b32_e64 v36, v52, v51, s7
; %bb.755:
	s_wait_alu 0xfffe
	s_or_b32 exec_lo, exec_lo, s18
	v_lshlrev_b32_e32 v51, 16, v53
	s_delay_alu instid0(VALU_DEP_1) | instskip(NEXT) | instid1(VALU_DEP_1)
	v_add_f32_e32 v52, 0, v51
	v_and_b32_e32 v51, 0x7f800000, v52
	s_delay_alu instid0(VALU_DEP_1)
	v_cmp_ne_u32_e64 s7, 0x7f800000, v51
                                        ; implicit-def: $vgpr51
	s_and_saveexec_b32 s18, s7
	s_wait_alu 0xfffe
	s_xor_b32 s7, exec_lo, s18
; %bb.756:
	v_bfe_u32 v51, v52, 16, 1
	s_delay_alu instid0(VALU_DEP_1)
	v_add3_u32 v51, v52, v51, 0x7fff
                                        ; implicit-def: $vgpr52
; %bb.757:
	s_wait_alu 0xfffe
	s_and_not1_saveexec_b32 s18, s7
; %bb.758:
	v_and_b32_e32 v51, 0xffff, v52
	v_or_b32_e32 v54, 0x10000, v52
	s_delay_alu instid0(VALU_DEP_2) | instskip(SKIP_1) | instid1(VALU_DEP_1)
	v_cmp_eq_u32_e64 s7, 0, v51
	s_wait_alu 0xf1ff
	v_cndmask_b32_e64 v51, v54, v52, s7
; %bb.759:
	s_wait_alu 0xfffe
	s_or_b32 exec_lo, exec_lo, s18
	v_cmp_lt_i32_e64 s7, -1, v36
	s_delay_alu instid0(VALU_DEP_2) | instskip(SKIP_1) | instid1(VALU_DEP_2)
	v_perm_b32 v36, v51, v36, 0x7060302
	s_wait_alu 0xf1ff
	v_cndmask_b32_e64 v52, -1, 0xffff8000, s7
	v_cmp_lt_i32_e64 s7, -1, v51
	s_wait_alu 0xf1ff
	s_delay_alu instid0(VALU_DEP_1) | instskip(NEXT) | instid1(VALU_DEP_1)
	v_cndmask_b32_e64 v54, -1, 0xffff8000, s7
	v_perm_b32 v51, v54, v52, 0x5040100
	s_delay_alu instid0(VALU_DEP_1) | instskip(NEXT) | instid1(VALU_DEP_1)
	v_xor_b32_e32 v36, v51, v36
	v_lshrrev_b32_e32 v51, 16, v36
	s_delay_alu instid0(VALU_DEP_1)
	v_cmp_le_u16_e64 s7, v36, v51
	s_and_b32 s18, s7, exec_lo
.LBB1961_760:
	s_wait_alu 0xfffe
	s_or_b32 exec_lo, exec_lo, s17
	s_delay_alu instid0(SALU_CYCLE_1)
	s_or_not1_b32 s17, s18, exec_lo
.LBB1961_761:
	s_wait_alu 0xfffe
	s_or_b32 exec_lo, exec_lo, s16
	v_cndmask_b32_e64 v25, v25, v26, s17
	v_cndmask_b32_e64 v50, v49, v50, s15
	;; [unrolled: 1-line block ×5, first 2 shown]
	v_lshl_add_u32 v13, v25, 3, v13
	v_cndmask_b32_e64 v32, v30, v31, s11
	v_cndmask_b32_e64 v48, v28, v29, s8
	;; [unrolled: 1-line block ×4, first 2 shown]
	ds_load_b64 v[25:26], v13 offset:4096
.LBB1961_762:
	s_wait_alu 0xfffe
	s_or_b32 exec_lo, exec_lo, s9
	v_add_co_u32 v2, s7, v2, v11
	s_wait_alu 0xf1ff
	v_add_co_ci_u32_e64 v3, null, v3, v12, s7
	s_delay_alu instid0(VALU_DEP_2) | instskip(SKIP_1) | instid1(VALU_DEP_2)
	v_add_co_u32 v2, s7, v2, v33
	s_wait_alu 0xf1ff
	v_add_co_ci_u32_e64 v3, null, 0, v3, s7
	; wave barrier
	s_wait_storecnt_dscnt 0x0
	s_barrier_signal -1
	s_barrier_wait -1
	global_inv scope:SCOPE_SE
	; wave barrier
	s_and_saveexec_b32 s7, vcc_lo
	s_cbranch_execnz .LBB1961_780
; %bb.763:
	s_wait_alu 0xfffe
	s_or_b32 exec_lo, exec_lo, s7
	s_and_saveexec_b32 s7, s0
	s_cbranch_execnz .LBB1961_781
.LBB1961_764:
	s_wait_alu 0xfffe
	s_or_b32 exec_lo, exec_lo, s7
	s_and_saveexec_b32 s7, s1
	s_cbranch_execnz .LBB1961_782
.LBB1961_765:
	s_wait_alu 0xfffe
	s_or_b32 exec_lo, exec_lo, s7
	s_and_saveexec_b32 s7, s2
	s_cbranch_execnz .LBB1961_783
.LBB1961_766:
	s_wait_alu 0xfffe
	s_or_b32 exec_lo, exec_lo, s7
	s_and_saveexec_b32 s7, s3
	s_cbranch_execnz .LBB1961_784
.LBB1961_767:
	s_wait_alu 0xfffe
	s_or_b32 exec_lo, exec_lo, s7
	s_and_saveexec_b32 s7, s4
	s_cbranch_execnz .LBB1961_785
.LBB1961_768:
	s_wait_alu 0xfffe
	s_or_b32 exec_lo, exec_lo, s7
	s_and_saveexec_b32 s7, s5
	s_cbranch_execnz .LBB1961_786
.LBB1961_769:
	s_wait_alu 0xfffe
	s_or_b32 exec_lo, exec_lo, s7
	s_and_saveexec_b32 s7, s6
	s_cbranch_execz .LBB1961_771
.LBB1961_770:
	flat_store_b16 v[2:3], v38 offset:14
.LBB1961_771:
	s_wait_alu 0xfffe
	s_or_b32 exec_lo, exec_lo, s7
	v_add_co_u32 v0, s7, v6, v0
	s_wait_alu 0xf1ff
	v_add_co_ci_u32_e64 v1, null, v7, v1, s7
	s_delay_alu instid0(VALU_DEP_2) | instskip(SKIP_1) | instid1(VALU_DEP_2)
	v_add_co_u32 v0, s7, v0, v34
	s_wait_alu 0xf1ff
	v_add_co_ci_u32_e64 v1, null, 0, v1, s7
	; wave barrier
	s_and_saveexec_b32 s7, vcc_lo
	s_cbranch_execnz .LBB1961_787
; %bb.772:
	s_wait_alu 0xfffe
	s_or_b32 exec_lo, exec_lo, s7
	s_and_saveexec_b32 s7, s0
	s_cbranch_execnz .LBB1961_788
.LBB1961_773:
	s_wait_alu 0xfffe
	s_or_b32 exec_lo, exec_lo, s7
	s_and_saveexec_b32 s0, s1
	s_cbranch_execnz .LBB1961_789
.LBB1961_774:
	s_wait_alu 0xfffe
	s_or_b32 exec_lo, exec_lo, s0
	s_and_saveexec_b32 s0, s2
	s_cbranch_execnz .LBB1961_790
.LBB1961_775:
	s_wait_alu 0xfffe
	s_or_b32 exec_lo, exec_lo, s0
	s_and_saveexec_b32 s0, s3
	s_cbranch_execnz .LBB1961_791
.LBB1961_776:
	s_wait_alu 0xfffe
	s_or_b32 exec_lo, exec_lo, s0
	s_and_saveexec_b32 s0, s4
	s_cbranch_execnz .LBB1961_792
.LBB1961_777:
	s_wait_alu 0xfffe
	s_or_b32 exec_lo, exec_lo, s0
	s_and_saveexec_b32 s0, s5
	s_cbranch_execnz .LBB1961_793
.LBB1961_778:
	s_wait_alu 0xfffe
	s_or_b32 exec_lo, exec_lo, s0
	s_and_saveexec_b32 s0, s6
	s_cbranch_execnz .LBB1961_794
.LBB1961_779:
	s_wait_alu 0xfffe
	s_or_b32 exec_lo, exec_lo, s0
	s_wait_loadcnt_dscnt 0x0
	s_setpc_b64 s[30:31]
.LBB1961_780:
	flat_store_b16 v[2:3], v37
	s_wait_alu 0xfffe
	s_or_b32 exec_lo, exec_lo, s7
	s_and_saveexec_b32 s7, s0
	s_cbranch_execz .LBB1961_764
.LBB1961_781:
	flat_store_b16 v[2:3], v48 offset:2
	s_wait_alu 0xfffe
	s_or_b32 exec_lo, exec_lo, s7
	s_and_saveexec_b32 s7, s1
	s_cbranch_execz .LBB1961_765
.LBB1961_782:
	flat_store_b16 v[2:3], v32 offset:4
	s_wait_alu 0xfffe
	s_or_b32 exec_lo, exec_lo, s7
	s_and_saveexec_b32 s7, s2
	s_cbranch_execz .LBB1961_766
.LBB1961_783:
	flat_store_b16 v[2:3], v51 offset:6
	s_wait_alu 0xfffe
	s_or_b32 exec_lo, exec_lo, s7
	s_and_saveexec_b32 s7, s3
	s_cbranch_execz .LBB1961_767
.LBB1961_784:
	flat_store_b16 v[2:3], v49 offset:8
	s_wait_alu 0xfffe
	s_or_b32 exec_lo, exec_lo, s7
	s_and_saveexec_b32 s7, s4
	s_cbranch_execz .LBB1961_768
.LBB1961_785:
	flat_store_b16 v[2:3], v39 offset:10
	s_wait_alu 0xfffe
	s_or_b32 exec_lo, exec_lo, s7
	s_and_saveexec_b32 s7, s5
	s_cbranch_execz .LBB1961_769
.LBB1961_786:
	flat_store_b16 v[2:3], v50 offset:12
	s_wait_alu 0xfffe
	s_or_b32 exec_lo, exec_lo, s7
	s_and_saveexec_b32 s7, s6
	s_cbranch_execnz .LBB1961_770
	s_branch .LBB1961_771
.LBB1961_787:
	flat_store_b64 v[0:1], v[4:5]
	s_wait_alu 0xfffe
	s_or_b32 exec_lo, exec_lo, s7
	s_and_saveexec_b32 s7, s0
	s_cbranch_execz .LBB1961_773
.LBB1961_788:
	flat_store_b64 v[0:1], v[8:9] offset:8
	s_wait_alu 0xfffe
	s_or_b32 exec_lo, exec_lo, s7
	s_and_saveexec_b32 s0, s1
	s_cbranch_execz .LBB1961_774
.LBB1961_789:
	flat_store_b64 v[0:1], v[15:16] offset:16
	s_wait_alu 0xfffe
	s_or_b32 exec_lo, exec_lo, s0
	s_and_saveexec_b32 s0, s2
	s_cbranch_execz .LBB1961_775
.LBB1961_790:
	flat_store_b64 v[0:1], v[17:18] offset:24
	s_wait_alu 0xfffe
	s_or_b32 exec_lo, exec_lo, s0
	s_and_saveexec_b32 s0, s3
	s_cbranch_execz .LBB1961_776
.LBB1961_791:
	flat_store_b64 v[0:1], v[19:20] offset:32
	s_wait_alu 0xfffe
	s_or_b32 exec_lo, exec_lo, s0
	s_and_saveexec_b32 s0, s4
	s_cbranch_execz .LBB1961_777
.LBB1961_792:
	flat_store_b64 v[0:1], v[23:24] offset:40
	s_wait_alu 0xfffe
	s_or_b32 exec_lo, exec_lo, s0
	s_and_saveexec_b32 s0, s5
	s_cbranch_execz .LBB1961_778
.LBB1961_793:
	flat_store_b64 v[0:1], v[21:22] offset:48
	s_wait_alu 0xfffe
	s_or_b32 exec_lo, exec_lo, s0
	s_and_saveexec_b32 s0, s6
	s_cbranch_execz .LBB1961_779
.LBB1961_794:
	flat_store_b64 v[0:1], v[25:26] offset:56
	s_wait_alu 0xfffe
	s_or_b32 exec_lo, exec_lo, s0
	s_wait_loadcnt_dscnt 0x0
	s_setpc_b64 s[30:31]
.Lfunc_end1961:
	.size	_ZN7rocprim17ROCPRIM_400000_NS6detail26segmented_warp_sort_helperINS1_20WarpSortHelperConfigILj16ELj8ELj256EEE12hip_bfloat16lLi256ELb1EvE4sortIPKS5_PS5_PKlPlEEvT_T0_T1_T2_jjjjRNS6_12storage_typeE, .Lfunc_end1961-_ZN7rocprim17ROCPRIM_400000_NS6detail26segmented_warp_sort_helperINS1_20WarpSortHelperConfigILj16ELj8ELj256EEE12hip_bfloat16lLi256ELb1EvE4sortIPKS5_PS5_PKlPlEEvT_T0_T1_T2_jjjjRNS6_12storage_typeE
                                        ; -- End function
	.set .L_ZN7rocprim17ROCPRIM_400000_NS6detail26segmented_warp_sort_helperINS1_20WarpSortHelperConfigILj16ELj8ELj256EEE12hip_bfloat16lLi256ELb1EvE4sortIPKS5_PS5_PKlPlEEvT_T0_T1_T2_jjjjRNS6_12storage_typeE.num_vgpr, 81
	.set .L_ZN7rocprim17ROCPRIM_400000_NS6detail26segmented_warp_sort_helperINS1_20WarpSortHelperConfigILj16ELj8ELj256EEE12hip_bfloat16lLi256ELb1EvE4sortIPKS5_PS5_PKlPlEEvT_T0_T1_T2_jjjjRNS6_12storage_typeE.num_agpr, 0
	.set .L_ZN7rocprim17ROCPRIM_400000_NS6detail26segmented_warp_sort_helperINS1_20WarpSortHelperConfigILj16ELj8ELj256EEE12hip_bfloat16lLi256ELb1EvE4sortIPKS5_PS5_PKlPlEEvT_T0_T1_T2_jjjjRNS6_12storage_typeE.numbered_sgpr, 32
	.set .L_ZN7rocprim17ROCPRIM_400000_NS6detail26segmented_warp_sort_helperINS1_20WarpSortHelperConfigILj16ELj8ELj256EEE12hip_bfloat16lLi256ELb1EvE4sortIPKS5_PS5_PKlPlEEvT_T0_T1_T2_jjjjRNS6_12storage_typeE.num_named_barrier, 0
	.set .L_ZN7rocprim17ROCPRIM_400000_NS6detail26segmented_warp_sort_helperINS1_20WarpSortHelperConfigILj16ELj8ELj256EEE12hip_bfloat16lLi256ELb1EvE4sortIPKS5_PS5_PKlPlEEvT_T0_T1_T2_jjjjRNS6_12storage_typeE.private_seg_size, 0
	.set .L_ZN7rocprim17ROCPRIM_400000_NS6detail26segmented_warp_sort_helperINS1_20WarpSortHelperConfigILj16ELj8ELj256EEE12hip_bfloat16lLi256ELb1EvE4sortIPKS5_PS5_PKlPlEEvT_T0_T1_T2_jjjjRNS6_12storage_typeE.uses_vcc, 1
	.set .L_ZN7rocprim17ROCPRIM_400000_NS6detail26segmented_warp_sort_helperINS1_20WarpSortHelperConfigILj16ELj8ELj256EEE12hip_bfloat16lLi256ELb1EvE4sortIPKS5_PS5_PKlPlEEvT_T0_T1_T2_jjjjRNS6_12storage_typeE.uses_flat_scratch, 0
	.set .L_ZN7rocprim17ROCPRIM_400000_NS6detail26segmented_warp_sort_helperINS1_20WarpSortHelperConfigILj16ELj8ELj256EEE12hip_bfloat16lLi256ELb1EvE4sortIPKS5_PS5_PKlPlEEvT_T0_T1_T2_jjjjRNS6_12storage_typeE.has_dyn_sized_stack, 0
	.set .L_ZN7rocprim17ROCPRIM_400000_NS6detail26segmented_warp_sort_helperINS1_20WarpSortHelperConfigILj16ELj8ELj256EEE12hip_bfloat16lLi256ELb1EvE4sortIPKS5_PS5_PKlPlEEvT_T0_T1_T2_jjjjRNS6_12storage_typeE.has_recursion, 0
	.set .L_ZN7rocprim17ROCPRIM_400000_NS6detail26segmented_warp_sort_helperINS1_20WarpSortHelperConfigILj16ELj8ELj256EEE12hip_bfloat16lLi256ELb1EvE4sortIPKS5_PS5_PKlPlEEvT_T0_T1_T2_jjjjRNS6_12storage_typeE.has_indirect_call, 0
	.section	.AMDGPU.csdata,"",@progbits
; Function info:
; codeLenInByte = 33532
; TotalNumSgprs: 34
; NumVgprs: 81
; ScratchSize: 0
; MemoryBound: 0
	.section	.text._ZN7rocprim17ROCPRIM_400000_NS6detail17trampoline_kernelINS0_14default_configENS1_36segmented_radix_sort_config_selectorI12hip_bfloat16lEEZNS1_25segmented_radix_sort_implIS3_Lb1EPKS5_PS5_PKlPlN2at6native12_GLOBAL__N_18offset_tEEE10hipError_tPvRmT1_PNSt15iterator_traitsISL_E10value_typeET2_T3_PNSM_ISR_E10value_typeET4_jRbjT5_SX_jjP12ihipStream_tbEUlT_E0_NS1_11comp_targetILNS1_3genE10ELNS1_11target_archE1201ELNS1_3gpuE5ELNS1_3repE0EEENS1_60segmented_radix_sort_warp_sort_medium_config_static_selectorELNS0_4arch9wavefront6targetE0EEEvSL_,"axG",@progbits,_ZN7rocprim17ROCPRIM_400000_NS6detail17trampoline_kernelINS0_14default_configENS1_36segmented_radix_sort_config_selectorI12hip_bfloat16lEEZNS1_25segmented_radix_sort_implIS3_Lb1EPKS5_PS5_PKlPlN2at6native12_GLOBAL__N_18offset_tEEE10hipError_tPvRmT1_PNSt15iterator_traitsISL_E10value_typeET2_T3_PNSM_ISR_E10value_typeET4_jRbjT5_SX_jjP12ihipStream_tbEUlT_E0_NS1_11comp_targetILNS1_3genE10ELNS1_11target_archE1201ELNS1_3gpuE5ELNS1_3repE0EEENS1_60segmented_radix_sort_warp_sort_medium_config_static_selectorELNS0_4arch9wavefront6targetE0EEEvSL_,comdat
	.globl	_ZN7rocprim17ROCPRIM_400000_NS6detail17trampoline_kernelINS0_14default_configENS1_36segmented_radix_sort_config_selectorI12hip_bfloat16lEEZNS1_25segmented_radix_sort_implIS3_Lb1EPKS5_PS5_PKlPlN2at6native12_GLOBAL__N_18offset_tEEE10hipError_tPvRmT1_PNSt15iterator_traitsISL_E10value_typeET2_T3_PNSM_ISR_E10value_typeET4_jRbjT5_SX_jjP12ihipStream_tbEUlT_E0_NS1_11comp_targetILNS1_3genE10ELNS1_11target_archE1201ELNS1_3gpuE5ELNS1_3repE0EEENS1_60segmented_radix_sort_warp_sort_medium_config_static_selectorELNS0_4arch9wavefront6targetE0EEEvSL_ ; -- Begin function _ZN7rocprim17ROCPRIM_400000_NS6detail17trampoline_kernelINS0_14default_configENS1_36segmented_radix_sort_config_selectorI12hip_bfloat16lEEZNS1_25segmented_radix_sort_implIS3_Lb1EPKS5_PS5_PKlPlN2at6native12_GLOBAL__N_18offset_tEEE10hipError_tPvRmT1_PNSt15iterator_traitsISL_E10value_typeET2_T3_PNSM_ISR_E10value_typeET4_jRbjT5_SX_jjP12ihipStream_tbEUlT_E0_NS1_11comp_targetILNS1_3genE10ELNS1_11target_archE1201ELNS1_3gpuE5ELNS1_3repE0EEENS1_60segmented_radix_sort_warp_sort_medium_config_static_selectorELNS0_4arch9wavefront6targetE0EEEvSL_
	.p2align	8
	.type	_ZN7rocprim17ROCPRIM_400000_NS6detail17trampoline_kernelINS0_14default_configENS1_36segmented_radix_sort_config_selectorI12hip_bfloat16lEEZNS1_25segmented_radix_sort_implIS3_Lb1EPKS5_PS5_PKlPlN2at6native12_GLOBAL__N_18offset_tEEE10hipError_tPvRmT1_PNSt15iterator_traitsISL_E10value_typeET2_T3_PNSM_ISR_E10value_typeET4_jRbjT5_SX_jjP12ihipStream_tbEUlT_E0_NS1_11comp_targetILNS1_3genE10ELNS1_11target_archE1201ELNS1_3gpuE5ELNS1_3repE0EEENS1_60segmented_radix_sort_warp_sort_medium_config_static_selectorELNS0_4arch9wavefront6targetE0EEEvSL_,@function
_ZN7rocprim17ROCPRIM_400000_NS6detail17trampoline_kernelINS0_14default_configENS1_36segmented_radix_sort_config_selectorI12hip_bfloat16lEEZNS1_25segmented_radix_sort_implIS3_Lb1EPKS5_PS5_PKlPlN2at6native12_GLOBAL__N_18offset_tEEE10hipError_tPvRmT1_PNSt15iterator_traitsISL_E10value_typeET2_T3_PNSM_ISR_E10value_typeET4_jRbjT5_SX_jjP12ihipStream_tbEUlT_E0_NS1_11comp_targetILNS1_3genE10ELNS1_11target_archE1201ELNS1_3gpuE5ELNS1_3repE0EEENS1_60segmented_radix_sort_warp_sort_medium_config_static_selectorELNS0_4arch9wavefront6targetE0EEEvSL_: ; @_ZN7rocprim17ROCPRIM_400000_NS6detail17trampoline_kernelINS0_14default_configENS1_36segmented_radix_sort_config_selectorI12hip_bfloat16lEEZNS1_25segmented_radix_sort_implIS3_Lb1EPKS5_PS5_PKlPlN2at6native12_GLOBAL__N_18offset_tEEE10hipError_tPvRmT1_PNSt15iterator_traitsISL_E10value_typeET2_T3_PNSM_ISR_E10value_typeET4_jRbjT5_SX_jjP12ihipStream_tbEUlT_E0_NS1_11comp_targetILNS1_3genE10ELNS1_11target_archE1201ELNS1_3gpuE5ELNS1_3repE0EEENS1_60segmented_radix_sort_warp_sort_medium_config_static_selectorELNS0_4arch9wavefront6targetE0EEEvSL_
; %bb.0:
	s_load_b32 s2, s[0:1], 0x64
	v_bfe_u32 v1, v0, 10, 10
	v_bfe_u32 v2, v0, 20, 10
	s_mov_b32 s32, 0
	s_wait_kmcnt 0x0
	s_lshr_b32 s3, s2, 16
	s_and_b32 s2, s2, 0xffff
	v_mad_u32_u24 v2, v2, s3, v1
	v_and_b32_e32 v1, 0x3ff, v0
	s_load_b32 s3, s[0:1], 0x34
	s_delay_alu instid0(VALU_DEP_1) | instskip(SKIP_2) | instid1(VALU_DEP_1)
	v_mad_co_u64_u32 v[1:2], null, v2, s2, v[1:2]
	s_mov_b32 s2, exec_lo
	v_lshrrev_b32_e32 v1, 4, v1
	v_lshl_add_u32 v1, ttmp9, 4, v1
	s_wait_kmcnt 0x0
	s_delay_alu instid0(VALU_DEP_1)
	v_cmpx_gt_u32_e64 s3, v1
	s_cbranch_execz .LBB1962_6
; %bb.1:
	s_clause 0x1
	s_load_b64 s[2:3], s[0:1], 0x38
	s_load_b128 s[4:7], s[0:1], 0x40
	v_mov_b32_e32 v2, 0
	s_delay_alu instid0(VALU_DEP_1) | instskip(SKIP_1) | instid1(VALU_DEP_1)
	v_lshlrev_b64_e32 v[1:2], 2, v[1:2]
	s_wait_kmcnt 0x0
	v_add_co_u32 v1, vcc_lo, s2, v1
	s_delay_alu instid0(VALU_DEP_1) | instskip(SKIP_4) | instid1(VALU_DEP_2)
	v_add_co_ci_u32_e64 v2, null, s3, v2, vcc_lo
	global_load_b32 v1, v[1:2], off
	s_wait_loadcnt 0x0
	v_add_nc_u32_e32 v2, s5, v1
	v_add_nc_u32_e32 v1, s7, v1
	v_mul_lo_u32 v40, v2, s4
	s_delay_alu instid0(VALU_DEP_2) | instskip(NEXT) | instid1(VALU_DEP_1)
	v_mul_lo_u32 v41, v1, s6
	v_cmp_gt_u32_e32 vcc_lo, v41, v40
	s_and_b32 exec_lo, exec_lo, vcc_lo
	s_cbranch_execz .LBB1962_6
; %bb.2:
	s_clause 0x2
	s_load_b32 s2, s[0:1], 0x30
	s_load_b128 s[24:27], s[0:1], 0x20
	s_load_b256 s[36:43], s[0:1], 0x0
	s_add_nc_u64 s[20:21], s[0:1], 0x58
	s_wait_kmcnt 0x0
	s_bitcmp0_b32 s2, 0
	s_mov_b32 s2, -1
	s_cbranch_scc0 .LBB1962_4
; %bb.3:
	v_dual_mov_b32 v31, v0 :: v_dual_mov_b32 v42, v0
	v_dual_mov_b32 v0, s36 :: v_dual_mov_b32 v1, s37
	;; [unrolled: 1-line block ×6, first 2 shown]
	s_getpc_b64 s[0:1]
	s_wait_alu 0xfffe
	s_sext_i32_i16 s1, s1
	s_add_co_u32 s0, s0, _ZN7rocprim17ROCPRIM_400000_NS6detail26segmented_warp_sort_helperINS1_20WarpSortHelperConfigILj16ELj8ELj256EEE12hip_bfloat16lLi256ELb1EvE4sortIPKS5_PS5_PKlPlEEvT_T0_T1_T2_jjjjRNS6_12storage_typeE@rel32@lo+12
	s_wait_alu 0xfffe
	s_add_co_ci_u32 s1, s1, _ZN7rocprim17ROCPRIM_400000_NS6detail26segmented_warp_sort_helperINS1_20WarpSortHelperConfigILj16ELj8ELj256EEE12hip_bfloat16lLi256ELb1EvE4sortIPKS5_PS5_PKlPlEEvT_T0_T1_T2_jjjjRNS6_12storage_typeE@rel32@hi+24
	s_mov_b64 s[8:9], s[20:21]
	s_wait_alu 0xfffe
	s_swappc_b64 s[30:31], s[0:1]
	v_mov_b32_e32 v0, v42
	s_mov_b32 s2, 0
.LBB1962_4:
	s_wait_alu 0xfffe
	s_and_not1_b32 vcc_lo, exec_lo, s2
	s_wait_alu 0xfffe
	s_cbranch_vccnz .LBB1962_6
; %bb.5:
	v_dual_mov_b32 v31, v0 :: v_dual_mov_b32 v0, s36
	v_dual_mov_b32 v1, s37 :: v_dual_mov_b32 v2, s40
	;; [unrolled: 1-line block ×5, first 2 shown]
	v_mov_b32_e32 v9, v41
	s_getpc_b64 s[0:1]
	s_wait_alu 0xfffe
	s_sext_i32_i16 s1, s1
	s_add_co_u32 s0, s0, _ZN7rocprim17ROCPRIM_400000_NS6detail26segmented_warp_sort_helperINS1_20WarpSortHelperConfigILj16ELj8ELj256EEE12hip_bfloat16lLi256ELb1EvE4sortIPKS5_PS5_PKlPlEEvT_T0_T1_T2_jjjjRNS6_12storage_typeE@rel32@lo+12
	s_wait_alu 0xfffe
	s_add_co_ci_u32 s1, s1, _ZN7rocprim17ROCPRIM_400000_NS6detail26segmented_warp_sort_helperINS1_20WarpSortHelperConfigILj16ELj8ELj256EEE12hip_bfloat16lLi256ELb1EvE4sortIPKS5_PS5_PKlPlEEvT_T0_T1_T2_jjjjRNS6_12storage_typeE@rel32@hi+24
	s_mov_b64 s[8:9], s[20:21]
	s_wait_alu 0xfffe
	s_swappc_b64 s[30:31], s[0:1]
.LBB1962_6:
	s_endpgm
	.section	.rodata,"a",@progbits
	.p2align	6, 0x0
	.amdhsa_kernel _ZN7rocprim17ROCPRIM_400000_NS6detail17trampoline_kernelINS0_14default_configENS1_36segmented_radix_sort_config_selectorI12hip_bfloat16lEEZNS1_25segmented_radix_sort_implIS3_Lb1EPKS5_PS5_PKlPlN2at6native12_GLOBAL__N_18offset_tEEE10hipError_tPvRmT1_PNSt15iterator_traitsISL_E10value_typeET2_T3_PNSM_ISR_E10value_typeET4_jRbjT5_SX_jjP12ihipStream_tbEUlT_E0_NS1_11comp_targetILNS1_3genE10ELNS1_11target_archE1201ELNS1_3gpuE5ELNS1_3repE0EEENS1_60segmented_radix_sort_warp_sort_medium_config_static_selectorELNS0_4arch9wavefront6targetE0EEEvSL_
		.amdhsa_group_segment_fixed_size 20480
		.amdhsa_private_segment_fixed_size 0
		.amdhsa_kernarg_size 344
		.amdhsa_user_sgpr_count 2
		.amdhsa_user_sgpr_dispatch_ptr 0
		.amdhsa_user_sgpr_queue_ptr 0
		.amdhsa_user_sgpr_kernarg_segment_ptr 1
		.amdhsa_user_sgpr_dispatch_id 0
		.amdhsa_user_sgpr_private_segment_size 0
		.amdhsa_wavefront_size32 1
		.amdhsa_uses_dynamic_stack 0
		.amdhsa_enable_private_segment 0
		.amdhsa_system_sgpr_workgroup_id_x 1
		.amdhsa_system_sgpr_workgroup_id_y 1
		.amdhsa_system_sgpr_workgroup_id_z 0
		.amdhsa_system_sgpr_workgroup_info 0
		.amdhsa_system_vgpr_workitem_id 2
		.amdhsa_next_free_vgpr 97
		.amdhsa_next_free_sgpr 44
		.amdhsa_reserve_vcc 1
		.amdhsa_float_round_mode_32 0
		.amdhsa_float_round_mode_16_64 0
		.amdhsa_float_denorm_mode_32 3
		.amdhsa_float_denorm_mode_16_64 3
		.amdhsa_fp16_overflow 0
		.amdhsa_workgroup_processor_mode 1
		.amdhsa_memory_ordered 1
		.amdhsa_forward_progress 1
		.amdhsa_inst_pref_size 4
		.amdhsa_round_robin_scheduling 0
		.amdhsa_exception_fp_ieee_invalid_op 0
		.amdhsa_exception_fp_denorm_src 0
		.amdhsa_exception_fp_ieee_div_zero 0
		.amdhsa_exception_fp_ieee_overflow 0
		.amdhsa_exception_fp_ieee_underflow 0
		.amdhsa_exception_fp_ieee_inexact 0
		.amdhsa_exception_int_div_zero 0
	.end_amdhsa_kernel
	.section	.text._ZN7rocprim17ROCPRIM_400000_NS6detail17trampoline_kernelINS0_14default_configENS1_36segmented_radix_sort_config_selectorI12hip_bfloat16lEEZNS1_25segmented_radix_sort_implIS3_Lb1EPKS5_PS5_PKlPlN2at6native12_GLOBAL__N_18offset_tEEE10hipError_tPvRmT1_PNSt15iterator_traitsISL_E10value_typeET2_T3_PNSM_ISR_E10value_typeET4_jRbjT5_SX_jjP12ihipStream_tbEUlT_E0_NS1_11comp_targetILNS1_3genE10ELNS1_11target_archE1201ELNS1_3gpuE5ELNS1_3repE0EEENS1_60segmented_radix_sort_warp_sort_medium_config_static_selectorELNS0_4arch9wavefront6targetE0EEEvSL_,"axG",@progbits,_ZN7rocprim17ROCPRIM_400000_NS6detail17trampoline_kernelINS0_14default_configENS1_36segmented_radix_sort_config_selectorI12hip_bfloat16lEEZNS1_25segmented_radix_sort_implIS3_Lb1EPKS5_PS5_PKlPlN2at6native12_GLOBAL__N_18offset_tEEE10hipError_tPvRmT1_PNSt15iterator_traitsISL_E10value_typeET2_T3_PNSM_ISR_E10value_typeET4_jRbjT5_SX_jjP12ihipStream_tbEUlT_E0_NS1_11comp_targetILNS1_3genE10ELNS1_11target_archE1201ELNS1_3gpuE5ELNS1_3repE0EEENS1_60segmented_radix_sort_warp_sort_medium_config_static_selectorELNS0_4arch9wavefront6targetE0EEEvSL_,comdat
.Lfunc_end1962:
	.size	_ZN7rocprim17ROCPRIM_400000_NS6detail17trampoline_kernelINS0_14default_configENS1_36segmented_radix_sort_config_selectorI12hip_bfloat16lEEZNS1_25segmented_radix_sort_implIS3_Lb1EPKS5_PS5_PKlPlN2at6native12_GLOBAL__N_18offset_tEEE10hipError_tPvRmT1_PNSt15iterator_traitsISL_E10value_typeET2_T3_PNSM_ISR_E10value_typeET4_jRbjT5_SX_jjP12ihipStream_tbEUlT_E0_NS1_11comp_targetILNS1_3genE10ELNS1_11target_archE1201ELNS1_3gpuE5ELNS1_3repE0EEENS1_60segmented_radix_sort_warp_sort_medium_config_static_selectorELNS0_4arch9wavefront6targetE0EEEvSL_, .Lfunc_end1962-_ZN7rocprim17ROCPRIM_400000_NS6detail17trampoline_kernelINS0_14default_configENS1_36segmented_radix_sort_config_selectorI12hip_bfloat16lEEZNS1_25segmented_radix_sort_implIS3_Lb1EPKS5_PS5_PKlPlN2at6native12_GLOBAL__N_18offset_tEEE10hipError_tPvRmT1_PNSt15iterator_traitsISL_E10value_typeET2_T3_PNSM_ISR_E10value_typeET4_jRbjT5_SX_jjP12ihipStream_tbEUlT_E0_NS1_11comp_targetILNS1_3genE10ELNS1_11target_archE1201ELNS1_3gpuE5ELNS1_3repE0EEENS1_60segmented_radix_sort_warp_sort_medium_config_static_selectorELNS0_4arch9wavefront6targetE0EEEvSL_
                                        ; -- End function
	.set _ZN7rocprim17ROCPRIM_400000_NS6detail17trampoline_kernelINS0_14default_configENS1_36segmented_radix_sort_config_selectorI12hip_bfloat16lEEZNS1_25segmented_radix_sort_implIS3_Lb1EPKS5_PS5_PKlPlN2at6native12_GLOBAL__N_18offset_tEEE10hipError_tPvRmT1_PNSt15iterator_traitsISL_E10value_typeET2_T3_PNSM_ISR_E10value_typeET4_jRbjT5_SX_jjP12ihipStream_tbEUlT_E0_NS1_11comp_targetILNS1_3genE10ELNS1_11target_archE1201ELNS1_3gpuE5ELNS1_3repE0EEENS1_60segmented_radix_sort_warp_sort_medium_config_static_selectorELNS0_4arch9wavefront6targetE0EEEvSL_.num_vgpr, max(43, .L_ZN7rocprim17ROCPRIM_400000_NS6detail26segmented_warp_sort_helperINS1_20WarpSortHelperConfigILj16ELj8ELj256EEE12hip_bfloat16lLi256ELb1EvE4sortIPKS5_PS5_PKlPlEEvT_T0_T1_T2_jjjjRNS6_12storage_typeE.num_vgpr)
	.set _ZN7rocprim17ROCPRIM_400000_NS6detail17trampoline_kernelINS0_14default_configENS1_36segmented_radix_sort_config_selectorI12hip_bfloat16lEEZNS1_25segmented_radix_sort_implIS3_Lb1EPKS5_PS5_PKlPlN2at6native12_GLOBAL__N_18offset_tEEE10hipError_tPvRmT1_PNSt15iterator_traitsISL_E10value_typeET2_T3_PNSM_ISR_E10value_typeET4_jRbjT5_SX_jjP12ihipStream_tbEUlT_E0_NS1_11comp_targetILNS1_3genE10ELNS1_11target_archE1201ELNS1_3gpuE5ELNS1_3repE0EEENS1_60segmented_radix_sort_warp_sort_medium_config_static_selectorELNS0_4arch9wavefront6targetE0EEEvSL_.num_agpr, max(0, .L_ZN7rocprim17ROCPRIM_400000_NS6detail26segmented_warp_sort_helperINS1_20WarpSortHelperConfigILj16ELj8ELj256EEE12hip_bfloat16lLi256ELb1EvE4sortIPKS5_PS5_PKlPlEEvT_T0_T1_T2_jjjjRNS6_12storage_typeE.num_agpr)
	.set _ZN7rocprim17ROCPRIM_400000_NS6detail17trampoline_kernelINS0_14default_configENS1_36segmented_radix_sort_config_selectorI12hip_bfloat16lEEZNS1_25segmented_radix_sort_implIS3_Lb1EPKS5_PS5_PKlPlN2at6native12_GLOBAL__N_18offset_tEEE10hipError_tPvRmT1_PNSt15iterator_traitsISL_E10value_typeET2_T3_PNSM_ISR_E10value_typeET4_jRbjT5_SX_jjP12ihipStream_tbEUlT_E0_NS1_11comp_targetILNS1_3genE10ELNS1_11target_archE1201ELNS1_3gpuE5ELNS1_3repE0EEENS1_60segmented_radix_sort_warp_sort_medium_config_static_selectorELNS0_4arch9wavefront6targetE0EEEvSL_.numbered_sgpr, max(44, .L_ZN7rocprim17ROCPRIM_400000_NS6detail26segmented_warp_sort_helperINS1_20WarpSortHelperConfigILj16ELj8ELj256EEE12hip_bfloat16lLi256ELb1EvE4sortIPKS5_PS5_PKlPlEEvT_T0_T1_T2_jjjjRNS6_12storage_typeE.numbered_sgpr)
	.set _ZN7rocprim17ROCPRIM_400000_NS6detail17trampoline_kernelINS0_14default_configENS1_36segmented_radix_sort_config_selectorI12hip_bfloat16lEEZNS1_25segmented_radix_sort_implIS3_Lb1EPKS5_PS5_PKlPlN2at6native12_GLOBAL__N_18offset_tEEE10hipError_tPvRmT1_PNSt15iterator_traitsISL_E10value_typeET2_T3_PNSM_ISR_E10value_typeET4_jRbjT5_SX_jjP12ihipStream_tbEUlT_E0_NS1_11comp_targetILNS1_3genE10ELNS1_11target_archE1201ELNS1_3gpuE5ELNS1_3repE0EEENS1_60segmented_radix_sort_warp_sort_medium_config_static_selectorELNS0_4arch9wavefront6targetE0EEEvSL_.num_named_barrier, max(0, .L_ZN7rocprim17ROCPRIM_400000_NS6detail26segmented_warp_sort_helperINS1_20WarpSortHelperConfigILj16ELj8ELj256EEE12hip_bfloat16lLi256ELb1EvE4sortIPKS5_PS5_PKlPlEEvT_T0_T1_T2_jjjjRNS6_12storage_typeE.num_named_barrier)
	.set _ZN7rocprim17ROCPRIM_400000_NS6detail17trampoline_kernelINS0_14default_configENS1_36segmented_radix_sort_config_selectorI12hip_bfloat16lEEZNS1_25segmented_radix_sort_implIS3_Lb1EPKS5_PS5_PKlPlN2at6native12_GLOBAL__N_18offset_tEEE10hipError_tPvRmT1_PNSt15iterator_traitsISL_E10value_typeET2_T3_PNSM_ISR_E10value_typeET4_jRbjT5_SX_jjP12ihipStream_tbEUlT_E0_NS1_11comp_targetILNS1_3genE10ELNS1_11target_archE1201ELNS1_3gpuE5ELNS1_3repE0EEENS1_60segmented_radix_sort_warp_sort_medium_config_static_selectorELNS0_4arch9wavefront6targetE0EEEvSL_.private_seg_size, 0+max(.L_ZN7rocprim17ROCPRIM_400000_NS6detail26segmented_warp_sort_helperINS1_20WarpSortHelperConfigILj16ELj8ELj256EEE12hip_bfloat16lLi256ELb1EvE4sortIPKS5_PS5_PKlPlEEvT_T0_T1_T2_jjjjRNS6_12storage_typeE.private_seg_size)
	.set _ZN7rocprim17ROCPRIM_400000_NS6detail17trampoline_kernelINS0_14default_configENS1_36segmented_radix_sort_config_selectorI12hip_bfloat16lEEZNS1_25segmented_radix_sort_implIS3_Lb1EPKS5_PS5_PKlPlN2at6native12_GLOBAL__N_18offset_tEEE10hipError_tPvRmT1_PNSt15iterator_traitsISL_E10value_typeET2_T3_PNSM_ISR_E10value_typeET4_jRbjT5_SX_jjP12ihipStream_tbEUlT_E0_NS1_11comp_targetILNS1_3genE10ELNS1_11target_archE1201ELNS1_3gpuE5ELNS1_3repE0EEENS1_60segmented_radix_sort_warp_sort_medium_config_static_selectorELNS0_4arch9wavefront6targetE0EEEvSL_.uses_vcc, or(1, .L_ZN7rocprim17ROCPRIM_400000_NS6detail26segmented_warp_sort_helperINS1_20WarpSortHelperConfigILj16ELj8ELj256EEE12hip_bfloat16lLi256ELb1EvE4sortIPKS5_PS5_PKlPlEEvT_T0_T1_T2_jjjjRNS6_12storage_typeE.uses_vcc)
	.set _ZN7rocprim17ROCPRIM_400000_NS6detail17trampoline_kernelINS0_14default_configENS1_36segmented_radix_sort_config_selectorI12hip_bfloat16lEEZNS1_25segmented_radix_sort_implIS3_Lb1EPKS5_PS5_PKlPlN2at6native12_GLOBAL__N_18offset_tEEE10hipError_tPvRmT1_PNSt15iterator_traitsISL_E10value_typeET2_T3_PNSM_ISR_E10value_typeET4_jRbjT5_SX_jjP12ihipStream_tbEUlT_E0_NS1_11comp_targetILNS1_3genE10ELNS1_11target_archE1201ELNS1_3gpuE5ELNS1_3repE0EEENS1_60segmented_radix_sort_warp_sort_medium_config_static_selectorELNS0_4arch9wavefront6targetE0EEEvSL_.uses_flat_scratch, or(0, .L_ZN7rocprim17ROCPRIM_400000_NS6detail26segmented_warp_sort_helperINS1_20WarpSortHelperConfigILj16ELj8ELj256EEE12hip_bfloat16lLi256ELb1EvE4sortIPKS5_PS5_PKlPlEEvT_T0_T1_T2_jjjjRNS6_12storage_typeE.uses_flat_scratch)
	.set _ZN7rocprim17ROCPRIM_400000_NS6detail17trampoline_kernelINS0_14default_configENS1_36segmented_radix_sort_config_selectorI12hip_bfloat16lEEZNS1_25segmented_radix_sort_implIS3_Lb1EPKS5_PS5_PKlPlN2at6native12_GLOBAL__N_18offset_tEEE10hipError_tPvRmT1_PNSt15iterator_traitsISL_E10value_typeET2_T3_PNSM_ISR_E10value_typeET4_jRbjT5_SX_jjP12ihipStream_tbEUlT_E0_NS1_11comp_targetILNS1_3genE10ELNS1_11target_archE1201ELNS1_3gpuE5ELNS1_3repE0EEENS1_60segmented_radix_sort_warp_sort_medium_config_static_selectorELNS0_4arch9wavefront6targetE0EEEvSL_.has_dyn_sized_stack, or(0, .L_ZN7rocprim17ROCPRIM_400000_NS6detail26segmented_warp_sort_helperINS1_20WarpSortHelperConfigILj16ELj8ELj256EEE12hip_bfloat16lLi256ELb1EvE4sortIPKS5_PS5_PKlPlEEvT_T0_T1_T2_jjjjRNS6_12storage_typeE.has_dyn_sized_stack)
	.set _ZN7rocprim17ROCPRIM_400000_NS6detail17trampoline_kernelINS0_14default_configENS1_36segmented_radix_sort_config_selectorI12hip_bfloat16lEEZNS1_25segmented_radix_sort_implIS3_Lb1EPKS5_PS5_PKlPlN2at6native12_GLOBAL__N_18offset_tEEE10hipError_tPvRmT1_PNSt15iterator_traitsISL_E10value_typeET2_T3_PNSM_ISR_E10value_typeET4_jRbjT5_SX_jjP12ihipStream_tbEUlT_E0_NS1_11comp_targetILNS1_3genE10ELNS1_11target_archE1201ELNS1_3gpuE5ELNS1_3repE0EEENS1_60segmented_radix_sort_warp_sort_medium_config_static_selectorELNS0_4arch9wavefront6targetE0EEEvSL_.has_recursion, or(0, .L_ZN7rocprim17ROCPRIM_400000_NS6detail26segmented_warp_sort_helperINS1_20WarpSortHelperConfigILj16ELj8ELj256EEE12hip_bfloat16lLi256ELb1EvE4sortIPKS5_PS5_PKlPlEEvT_T0_T1_T2_jjjjRNS6_12storage_typeE.has_recursion)
	.set _ZN7rocprim17ROCPRIM_400000_NS6detail17trampoline_kernelINS0_14default_configENS1_36segmented_radix_sort_config_selectorI12hip_bfloat16lEEZNS1_25segmented_radix_sort_implIS3_Lb1EPKS5_PS5_PKlPlN2at6native12_GLOBAL__N_18offset_tEEE10hipError_tPvRmT1_PNSt15iterator_traitsISL_E10value_typeET2_T3_PNSM_ISR_E10value_typeET4_jRbjT5_SX_jjP12ihipStream_tbEUlT_E0_NS1_11comp_targetILNS1_3genE10ELNS1_11target_archE1201ELNS1_3gpuE5ELNS1_3repE0EEENS1_60segmented_radix_sort_warp_sort_medium_config_static_selectorELNS0_4arch9wavefront6targetE0EEEvSL_.has_indirect_call, or(0, .L_ZN7rocprim17ROCPRIM_400000_NS6detail26segmented_warp_sort_helperINS1_20WarpSortHelperConfigILj16ELj8ELj256EEE12hip_bfloat16lLi256ELb1EvE4sortIPKS5_PS5_PKlPlEEvT_T0_T1_T2_jjjjRNS6_12storage_typeE.has_indirect_call)
	.section	.AMDGPU.csdata,"",@progbits
; Kernel info:
; codeLenInByte = 488
; TotalNumSgprs: 46
; NumVgprs: 81
; ScratchSize: 0
; MemoryBound: 0
; FloatMode: 240
; IeeeMode: 1
; LDSByteSize: 20480 bytes/workgroup (compile time only)
; SGPRBlocks: 0
; VGPRBlocks: 12
; NumSGPRsForWavesPerEU: 46
; NumVGPRsForWavesPerEU: 97
; Occupancy: 12
; WaveLimiterHint : 0
; COMPUTE_PGM_RSRC2:SCRATCH_EN: 0
; COMPUTE_PGM_RSRC2:USER_SGPR: 2
; COMPUTE_PGM_RSRC2:TRAP_HANDLER: 0
; COMPUTE_PGM_RSRC2:TGID_X_EN: 1
; COMPUTE_PGM_RSRC2:TGID_Y_EN: 1
; COMPUTE_PGM_RSRC2:TGID_Z_EN: 0
; COMPUTE_PGM_RSRC2:TIDIG_COMP_CNT: 2
	.section	.text._ZN7rocprim17ROCPRIM_400000_NS6detail17trampoline_kernelINS0_14default_configENS1_36segmented_radix_sort_config_selectorI12hip_bfloat16lEEZNS1_25segmented_radix_sort_implIS3_Lb1EPKS5_PS5_PKlPlN2at6native12_GLOBAL__N_18offset_tEEE10hipError_tPvRmT1_PNSt15iterator_traitsISL_E10value_typeET2_T3_PNSM_ISR_E10value_typeET4_jRbjT5_SX_jjP12ihipStream_tbEUlT_E0_NS1_11comp_targetILNS1_3genE10ELNS1_11target_archE1200ELNS1_3gpuE4ELNS1_3repE0EEENS1_60segmented_radix_sort_warp_sort_medium_config_static_selectorELNS0_4arch9wavefront6targetE0EEEvSL_,"axG",@progbits,_ZN7rocprim17ROCPRIM_400000_NS6detail17trampoline_kernelINS0_14default_configENS1_36segmented_radix_sort_config_selectorI12hip_bfloat16lEEZNS1_25segmented_radix_sort_implIS3_Lb1EPKS5_PS5_PKlPlN2at6native12_GLOBAL__N_18offset_tEEE10hipError_tPvRmT1_PNSt15iterator_traitsISL_E10value_typeET2_T3_PNSM_ISR_E10value_typeET4_jRbjT5_SX_jjP12ihipStream_tbEUlT_E0_NS1_11comp_targetILNS1_3genE10ELNS1_11target_archE1200ELNS1_3gpuE4ELNS1_3repE0EEENS1_60segmented_radix_sort_warp_sort_medium_config_static_selectorELNS0_4arch9wavefront6targetE0EEEvSL_,comdat
	.globl	_ZN7rocprim17ROCPRIM_400000_NS6detail17trampoline_kernelINS0_14default_configENS1_36segmented_radix_sort_config_selectorI12hip_bfloat16lEEZNS1_25segmented_radix_sort_implIS3_Lb1EPKS5_PS5_PKlPlN2at6native12_GLOBAL__N_18offset_tEEE10hipError_tPvRmT1_PNSt15iterator_traitsISL_E10value_typeET2_T3_PNSM_ISR_E10value_typeET4_jRbjT5_SX_jjP12ihipStream_tbEUlT_E0_NS1_11comp_targetILNS1_3genE10ELNS1_11target_archE1200ELNS1_3gpuE4ELNS1_3repE0EEENS1_60segmented_radix_sort_warp_sort_medium_config_static_selectorELNS0_4arch9wavefront6targetE0EEEvSL_ ; -- Begin function _ZN7rocprim17ROCPRIM_400000_NS6detail17trampoline_kernelINS0_14default_configENS1_36segmented_radix_sort_config_selectorI12hip_bfloat16lEEZNS1_25segmented_radix_sort_implIS3_Lb1EPKS5_PS5_PKlPlN2at6native12_GLOBAL__N_18offset_tEEE10hipError_tPvRmT1_PNSt15iterator_traitsISL_E10value_typeET2_T3_PNSM_ISR_E10value_typeET4_jRbjT5_SX_jjP12ihipStream_tbEUlT_E0_NS1_11comp_targetILNS1_3genE10ELNS1_11target_archE1200ELNS1_3gpuE4ELNS1_3repE0EEENS1_60segmented_radix_sort_warp_sort_medium_config_static_selectorELNS0_4arch9wavefront6targetE0EEEvSL_
	.p2align	8
	.type	_ZN7rocprim17ROCPRIM_400000_NS6detail17trampoline_kernelINS0_14default_configENS1_36segmented_radix_sort_config_selectorI12hip_bfloat16lEEZNS1_25segmented_radix_sort_implIS3_Lb1EPKS5_PS5_PKlPlN2at6native12_GLOBAL__N_18offset_tEEE10hipError_tPvRmT1_PNSt15iterator_traitsISL_E10value_typeET2_T3_PNSM_ISR_E10value_typeET4_jRbjT5_SX_jjP12ihipStream_tbEUlT_E0_NS1_11comp_targetILNS1_3genE10ELNS1_11target_archE1200ELNS1_3gpuE4ELNS1_3repE0EEENS1_60segmented_radix_sort_warp_sort_medium_config_static_selectorELNS0_4arch9wavefront6targetE0EEEvSL_,@function
_ZN7rocprim17ROCPRIM_400000_NS6detail17trampoline_kernelINS0_14default_configENS1_36segmented_radix_sort_config_selectorI12hip_bfloat16lEEZNS1_25segmented_radix_sort_implIS3_Lb1EPKS5_PS5_PKlPlN2at6native12_GLOBAL__N_18offset_tEEE10hipError_tPvRmT1_PNSt15iterator_traitsISL_E10value_typeET2_T3_PNSM_ISR_E10value_typeET4_jRbjT5_SX_jjP12ihipStream_tbEUlT_E0_NS1_11comp_targetILNS1_3genE10ELNS1_11target_archE1200ELNS1_3gpuE4ELNS1_3repE0EEENS1_60segmented_radix_sort_warp_sort_medium_config_static_selectorELNS0_4arch9wavefront6targetE0EEEvSL_: ; @_ZN7rocprim17ROCPRIM_400000_NS6detail17trampoline_kernelINS0_14default_configENS1_36segmented_radix_sort_config_selectorI12hip_bfloat16lEEZNS1_25segmented_radix_sort_implIS3_Lb1EPKS5_PS5_PKlPlN2at6native12_GLOBAL__N_18offset_tEEE10hipError_tPvRmT1_PNSt15iterator_traitsISL_E10value_typeET2_T3_PNSM_ISR_E10value_typeET4_jRbjT5_SX_jjP12ihipStream_tbEUlT_E0_NS1_11comp_targetILNS1_3genE10ELNS1_11target_archE1200ELNS1_3gpuE4ELNS1_3repE0EEENS1_60segmented_radix_sort_warp_sort_medium_config_static_selectorELNS0_4arch9wavefront6targetE0EEEvSL_
; %bb.0:
	.section	.rodata,"a",@progbits
	.p2align	6, 0x0
	.amdhsa_kernel _ZN7rocprim17ROCPRIM_400000_NS6detail17trampoline_kernelINS0_14default_configENS1_36segmented_radix_sort_config_selectorI12hip_bfloat16lEEZNS1_25segmented_radix_sort_implIS3_Lb1EPKS5_PS5_PKlPlN2at6native12_GLOBAL__N_18offset_tEEE10hipError_tPvRmT1_PNSt15iterator_traitsISL_E10value_typeET2_T3_PNSM_ISR_E10value_typeET4_jRbjT5_SX_jjP12ihipStream_tbEUlT_E0_NS1_11comp_targetILNS1_3genE10ELNS1_11target_archE1200ELNS1_3gpuE4ELNS1_3repE0EEENS1_60segmented_radix_sort_warp_sort_medium_config_static_selectorELNS0_4arch9wavefront6targetE0EEEvSL_
		.amdhsa_group_segment_fixed_size 0
		.amdhsa_private_segment_fixed_size 0
		.amdhsa_kernarg_size 88
		.amdhsa_user_sgpr_count 2
		.amdhsa_user_sgpr_dispatch_ptr 0
		.amdhsa_user_sgpr_queue_ptr 0
		.amdhsa_user_sgpr_kernarg_segment_ptr 1
		.amdhsa_user_sgpr_dispatch_id 0
		.amdhsa_user_sgpr_private_segment_size 0
		.amdhsa_wavefront_size32 1
		.amdhsa_uses_dynamic_stack 0
		.amdhsa_enable_private_segment 0
		.amdhsa_system_sgpr_workgroup_id_x 1
		.amdhsa_system_sgpr_workgroup_id_y 0
		.amdhsa_system_sgpr_workgroup_id_z 0
		.amdhsa_system_sgpr_workgroup_info 0
		.amdhsa_system_vgpr_workitem_id 0
		.amdhsa_next_free_vgpr 1
		.amdhsa_next_free_sgpr 1
		.amdhsa_reserve_vcc 0
		.amdhsa_float_round_mode_32 0
		.amdhsa_float_round_mode_16_64 0
		.amdhsa_float_denorm_mode_32 3
		.amdhsa_float_denorm_mode_16_64 3
		.amdhsa_fp16_overflow 0
		.amdhsa_workgroup_processor_mode 1
		.amdhsa_memory_ordered 1
		.amdhsa_forward_progress 1
		.amdhsa_inst_pref_size 0
		.amdhsa_round_robin_scheduling 0
		.amdhsa_exception_fp_ieee_invalid_op 0
		.amdhsa_exception_fp_denorm_src 0
		.amdhsa_exception_fp_ieee_div_zero 0
		.amdhsa_exception_fp_ieee_overflow 0
		.amdhsa_exception_fp_ieee_underflow 0
		.amdhsa_exception_fp_ieee_inexact 0
		.amdhsa_exception_int_div_zero 0
	.end_amdhsa_kernel
	.section	.text._ZN7rocprim17ROCPRIM_400000_NS6detail17trampoline_kernelINS0_14default_configENS1_36segmented_radix_sort_config_selectorI12hip_bfloat16lEEZNS1_25segmented_radix_sort_implIS3_Lb1EPKS5_PS5_PKlPlN2at6native12_GLOBAL__N_18offset_tEEE10hipError_tPvRmT1_PNSt15iterator_traitsISL_E10value_typeET2_T3_PNSM_ISR_E10value_typeET4_jRbjT5_SX_jjP12ihipStream_tbEUlT_E0_NS1_11comp_targetILNS1_3genE10ELNS1_11target_archE1200ELNS1_3gpuE4ELNS1_3repE0EEENS1_60segmented_radix_sort_warp_sort_medium_config_static_selectorELNS0_4arch9wavefront6targetE0EEEvSL_,"axG",@progbits,_ZN7rocprim17ROCPRIM_400000_NS6detail17trampoline_kernelINS0_14default_configENS1_36segmented_radix_sort_config_selectorI12hip_bfloat16lEEZNS1_25segmented_radix_sort_implIS3_Lb1EPKS5_PS5_PKlPlN2at6native12_GLOBAL__N_18offset_tEEE10hipError_tPvRmT1_PNSt15iterator_traitsISL_E10value_typeET2_T3_PNSM_ISR_E10value_typeET4_jRbjT5_SX_jjP12ihipStream_tbEUlT_E0_NS1_11comp_targetILNS1_3genE10ELNS1_11target_archE1200ELNS1_3gpuE4ELNS1_3repE0EEENS1_60segmented_radix_sort_warp_sort_medium_config_static_selectorELNS0_4arch9wavefront6targetE0EEEvSL_,comdat
.Lfunc_end1963:
	.size	_ZN7rocprim17ROCPRIM_400000_NS6detail17trampoline_kernelINS0_14default_configENS1_36segmented_radix_sort_config_selectorI12hip_bfloat16lEEZNS1_25segmented_radix_sort_implIS3_Lb1EPKS5_PS5_PKlPlN2at6native12_GLOBAL__N_18offset_tEEE10hipError_tPvRmT1_PNSt15iterator_traitsISL_E10value_typeET2_T3_PNSM_ISR_E10value_typeET4_jRbjT5_SX_jjP12ihipStream_tbEUlT_E0_NS1_11comp_targetILNS1_3genE10ELNS1_11target_archE1200ELNS1_3gpuE4ELNS1_3repE0EEENS1_60segmented_radix_sort_warp_sort_medium_config_static_selectorELNS0_4arch9wavefront6targetE0EEEvSL_, .Lfunc_end1963-_ZN7rocprim17ROCPRIM_400000_NS6detail17trampoline_kernelINS0_14default_configENS1_36segmented_radix_sort_config_selectorI12hip_bfloat16lEEZNS1_25segmented_radix_sort_implIS3_Lb1EPKS5_PS5_PKlPlN2at6native12_GLOBAL__N_18offset_tEEE10hipError_tPvRmT1_PNSt15iterator_traitsISL_E10value_typeET2_T3_PNSM_ISR_E10value_typeET4_jRbjT5_SX_jjP12ihipStream_tbEUlT_E0_NS1_11comp_targetILNS1_3genE10ELNS1_11target_archE1200ELNS1_3gpuE4ELNS1_3repE0EEENS1_60segmented_radix_sort_warp_sort_medium_config_static_selectorELNS0_4arch9wavefront6targetE0EEEvSL_
                                        ; -- End function
	.set _ZN7rocprim17ROCPRIM_400000_NS6detail17trampoline_kernelINS0_14default_configENS1_36segmented_radix_sort_config_selectorI12hip_bfloat16lEEZNS1_25segmented_radix_sort_implIS3_Lb1EPKS5_PS5_PKlPlN2at6native12_GLOBAL__N_18offset_tEEE10hipError_tPvRmT1_PNSt15iterator_traitsISL_E10value_typeET2_T3_PNSM_ISR_E10value_typeET4_jRbjT5_SX_jjP12ihipStream_tbEUlT_E0_NS1_11comp_targetILNS1_3genE10ELNS1_11target_archE1200ELNS1_3gpuE4ELNS1_3repE0EEENS1_60segmented_radix_sort_warp_sort_medium_config_static_selectorELNS0_4arch9wavefront6targetE0EEEvSL_.num_vgpr, 0
	.set _ZN7rocprim17ROCPRIM_400000_NS6detail17trampoline_kernelINS0_14default_configENS1_36segmented_radix_sort_config_selectorI12hip_bfloat16lEEZNS1_25segmented_radix_sort_implIS3_Lb1EPKS5_PS5_PKlPlN2at6native12_GLOBAL__N_18offset_tEEE10hipError_tPvRmT1_PNSt15iterator_traitsISL_E10value_typeET2_T3_PNSM_ISR_E10value_typeET4_jRbjT5_SX_jjP12ihipStream_tbEUlT_E0_NS1_11comp_targetILNS1_3genE10ELNS1_11target_archE1200ELNS1_3gpuE4ELNS1_3repE0EEENS1_60segmented_radix_sort_warp_sort_medium_config_static_selectorELNS0_4arch9wavefront6targetE0EEEvSL_.num_agpr, 0
	.set _ZN7rocprim17ROCPRIM_400000_NS6detail17trampoline_kernelINS0_14default_configENS1_36segmented_radix_sort_config_selectorI12hip_bfloat16lEEZNS1_25segmented_radix_sort_implIS3_Lb1EPKS5_PS5_PKlPlN2at6native12_GLOBAL__N_18offset_tEEE10hipError_tPvRmT1_PNSt15iterator_traitsISL_E10value_typeET2_T3_PNSM_ISR_E10value_typeET4_jRbjT5_SX_jjP12ihipStream_tbEUlT_E0_NS1_11comp_targetILNS1_3genE10ELNS1_11target_archE1200ELNS1_3gpuE4ELNS1_3repE0EEENS1_60segmented_radix_sort_warp_sort_medium_config_static_selectorELNS0_4arch9wavefront6targetE0EEEvSL_.numbered_sgpr, 0
	.set _ZN7rocprim17ROCPRIM_400000_NS6detail17trampoline_kernelINS0_14default_configENS1_36segmented_radix_sort_config_selectorI12hip_bfloat16lEEZNS1_25segmented_radix_sort_implIS3_Lb1EPKS5_PS5_PKlPlN2at6native12_GLOBAL__N_18offset_tEEE10hipError_tPvRmT1_PNSt15iterator_traitsISL_E10value_typeET2_T3_PNSM_ISR_E10value_typeET4_jRbjT5_SX_jjP12ihipStream_tbEUlT_E0_NS1_11comp_targetILNS1_3genE10ELNS1_11target_archE1200ELNS1_3gpuE4ELNS1_3repE0EEENS1_60segmented_radix_sort_warp_sort_medium_config_static_selectorELNS0_4arch9wavefront6targetE0EEEvSL_.num_named_barrier, 0
	.set _ZN7rocprim17ROCPRIM_400000_NS6detail17trampoline_kernelINS0_14default_configENS1_36segmented_radix_sort_config_selectorI12hip_bfloat16lEEZNS1_25segmented_radix_sort_implIS3_Lb1EPKS5_PS5_PKlPlN2at6native12_GLOBAL__N_18offset_tEEE10hipError_tPvRmT1_PNSt15iterator_traitsISL_E10value_typeET2_T3_PNSM_ISR_E10value_typeET4_jRbjT5_SX_jjP12ihipStream_tbEUlT_E0_NS1_11comp_targetILNS1_3genE10ELNS1_11target_archE1200ELNS1_3gpuE4ELNS1_3repE0EEENS1_60segmented_radix_sort_warp_sort_medium_config_static_selectorELNS0_4arch9wavefront6targetE0EEEvSL_.private_seg_size, 0
	.set _ZN7rocprim17ROCPRIM_400000_NS6detail17trampoline_kernelINS0_14default_configENS1_36segmented_radix_sort_config_selectorI12hip_bfloat16lEEZNS1_25segmented_radix_sort_implIS3_Lb1EPKS5_PS5_PKlPlN2at6native12_GLOBAL__N_18offset_tEEE10hipError_tPvRmT1_PNSt15iterator_traitsISL_E10value_typeET2_T3_PNSM_ISR_E10value_typeET4_jRbjT5_SX_jjP12ihipStream_tbEUlT_E0_NS1_11comp_targetILNS1_3genE10ELNS1_11target_archE1200ELNS1_3gpuE4ELNS1_3repE0EEENS1_60segmented_radix_sort_warp_sort_medium_config_static_selectorELNS0_4arch9wavefront6targetE0EEEvSL_.uses_vcc, 0
	.set _ZN7rocprim17ROCPRIM_400000_NS6detail17trampoline_kernelINS0_14default_configENS1_36segmented_radix_sort_config_selectorI12hip_bfloat16lEEZNS1_25segmented_radix_sort_implIS3_Lb1EPKS5_PS5_PKlPlN2at6native12_GLOBAL__N_18offset_tEEE10hipError_tPvRmT1_PNSt15iterator_traitsISL_E10value_typeET2_T3_PNSM_ISR_E10value_typeET4_jRbjT5_SX_jjP12ihipStream_tbEUlT_E0_NS1_11comp_targetILNS1_3genE10ELNS1_11target_archE1200ELNS1_3gpuE4ELNS1_3repE0EEENS1_60segmented_radix_sort_warp_sort_medium_config_static_selectorELNS0_4arch9wavefront6targetE0EEEvSL_.uses_flat_scratch, 0
	.set _ZN7rocprim17ROCPRIM_400000_NS6detail17trampoline_kernelINS0_14default_configENS1_36segmented_radix_sort_config_selectorI12hip_bfloat16lEEZNS1_25segmented_radix_sort_implIS3_Lb1EPKS5_PS5_PKlPlN2at6native12_GLOBAL__N_18offset_tEEE10hipError_tPvRmT1_PNSt15iterator_traitsISL_E10value_typeET2_T3_PNSM_ISR_E10value_typeET4_jRbjT5_SX_jjP12ihipStream_tbEUlT_E0_NS1_11comp_targetILNS1_3genE10ELNS1_11target_archE1200ELNS1_3gpuE4ELNS1_3repE0EEENS1_60segmented_radix_sort_warp_sort_medium_config_static_selectorELNS0_4arch9wavefront6targetE0EEEvSL_.has_dyn_sized_stack, 0
	.set _ZN7rocprim17ROCPRIM_400000_NS6detail17trampoline_kernelINS0_14default_configENS1_36segmented_radix_sort_config_selectorI12hip_bfloat16lEEZNS1_25segmented_radix_sort_implIS3_Lb1EPKS5_PS5_PKlPlN2at6native12_GLOBAL__N_18offset_tEEE10hipError_tPvRmT1_PNSt15iterator_traitsISL_E10value_typeET2_T3_PNSM_ISR_E10value_typeET4_jRbjT5_SX_jjP12ihipStream_tbEUlT_E0_NS1_11comp_targetILNS1_3genE10ELNS1_11target_archE1200ELNS1_3gpuE4ELNS1_3repE0EEENS1_60segmented_radix_sort_warp_sort_medium_config_static_selectorELNS0_4arch9wavefront6targetE0EEEvSL_.has_recursion, 0
	.set _ZN7rocprim17ROCPRIM_400000_NS6detail17trampoline_kernelINS0_14default_configENS1_36segmented_radix_sort_config_selectorI12hip_bfloat16lEEZNS1_25segmented_radix_sort_implIS3_Lb1EPKS5_PS5_PKlPlN2at6native12_GLOBAL__N_18offset_tEEE10hipError_tPvRmT1_PNSt15iterator_traitsISL_E10value_typeET2_T3_PNSM_ISR_E10value_typeET4_jRbjT5_SX_jjP12ihipStream_tbEUlT_E0_NS1_11comp_targetILNS1_3genE10ELNS1_11target_archE1200ELNS1_3gpuE4ELNS1_3repE0EEENS1_60segmented_radix_sort_warp_sort_medium_config_static_selectorELNS0_4arch9wavefront6targetE0EEEvSL_.has_indirect_call, 0
	.section	.AMDGPU.csdata,"",@progbits
; Kernel info:
; codeLenInByte = 0
; TotalNumSgprs: 0
; NumVgprs: 0
; ScratchSize: 0
; MemoryBound: 0
; FloatMode: 240
; IeeeMode: 1
; LDSByteSize: 0 bytes/workgroup (compile time only)
; SGPRBlocks: 0
; VGPRBlocks: 0
; NumSGPRsForWavesPerEU: 1
; NumVGPRsForWavesPerEU: 1
; Occupancy: 16
; WaveLimiterHint : 0
; COMPUTE_PGM_RSRC2:SCRATCH_EN: 0
; COMPUTE_PGM_RSRC2:USER_SGPR: 2
; COMPUTE_PGM_RSRC2:TRAP_HANDLER: 0
; COMPUTE_PGM_RSRC2:TGID_X_EN: 1
; COMPUTE_PGM_RSRC2:TGID_Y_EN: 0
; COMPUTE_PGM_RSRC2:TGID_Z_EN: 0
; COMPUTE_PGM_RSRC2:TIDIG_COMP_CNT: 0
	.section	.text._ZN7rocprim17ROCPRIM_400000_NS6detail17trampoline_kernelINS0_14default_configENS1_36segmented_radix_sort_config_selectorI12hip_bfloat16lEEZNS1_25segmented_radix_sort_implIS3_Lb1EPKS5_PS5_PKlPlN2at6native12_GLOBAL__N_18offset_tEEE10hipError_tPvRmT1_PNSt15iterator_traitsISL_E10value_typeET2_T3_PNSM_ISR_E10value_typeET4_jRbjT5_SX_jjP12ihipStream_tbEUlT_E0_NS1_11comp_targetILNS1_3genE9ELNS1_11target_archE1100ELNS1_3gpuE3ELNS1_3repE0EEENS1_60segmented_radix_sort_warp_sort_medium_config_static_selectorELNS0_4arch9wavefront6targetE0EEEvSL_,"axG",@progbits,_ZN7rocprim17ROCPRIM_400000_NS6detail17trampoline_kernelINS0_14default_configENS1_36segmented_radix_sort_config_selectorI12hip_bfloat16lEEZNS1_25segmented_radix_sort_implIS3_Lb1EPKS5_PS5_PKlPlN2at6native12_GLOBAL__N_18offset_tEEE10hipError_tPvRmT1_PNSt15iterator_traitsISL_E10value_typeET2_T3_PNSM_ISR_E10value_typeET4_jRbjT5_SX_jjP12ihipStream_tbEUlT_E0_NS1_11comp_targetILNS1_3genE9ELNS1_11target_archE1100ELNS1_3gpuE3ELNS1_3repE0EEENS1_60segmented_radix_sort_warp_sort_medium_config_static_selectorELNS0_4arch9wavefront6targetE0EEEvSL_,comdat
	.globl	_ZN7rocprim17ROCPRIM_400000_NS6detail17trampoline_kernelINS0_14default_configENS1_36segmented_radix_sort_config_selectorI12hip_bfloat16lEEZNS1_25segmented_radix_sort_implIS3_Lb1EPKS5_PS5_PKlPlN2at6native12_GLOBAL__N_18offset_tEEE10hipError_tPvRmT1_PNSt15iterator_traitsISL_E10value_typeET2_T3_PNSM_ISR_E10value_typeET4_jRbjT5_SX_jjP12ihipStream_tbEUlT_E0_NS1_11comp_targetILNS1_3genE9ELNS1_11target_archE1100ELNS1_3gpuE3ELNS1_3repE0EEENS1_60segmented_radix_sort_warp_sort_medium_config_static_selectorELNS0_4arch9wavefront6targetE0EEEvSL_ ; -- Begin function _ZN7rocprim17ROCPRIM_400000_NS6detail17trampoline_kernelINS0_14default_configENS1_36segmented_radix_sort_config_selectorI12hip_bfloat16lEEZNS1_25segmented_radix_sort_implIS3_Lb1EPKS5_PS5_PKlPlN2at6native12_GLOBAL__N_18offset_tEEE10hipError_tPvRmT1_PNSt15iterator_traitsISL_E10value_typeET2_T3_PNSM_ISR_E10value_typeET4_jRbjT5_SX_jjP12ihipStream_tbEUlT_E0_NS1_11comp_targetILNS1_3genE9ELNS1_11target_archE1100ELNS1_3gpuE3ELNS1_3repE0EEENS1_60segmented_radix_sort_warp_sort_medium_config_static_selectorELNS0_4arch9wavefront6targetE0EEEvSL_
	.p2align	8
	.type	_ZN7rocprim17ROCPRIM_400000_NS6detail17trampoline_kernelINS0_14default_configENS1_36segmented_radix_sort_config_selectorI12hip_bfloat16lEEZNS1_25segmented_radix_sort_implIS3_Lb1EPKS5_PS5_PKlPlN2at6native12_GLOBAL__N_18offset_tEEE10hipError_tPvRmT1_PNSt15iterator_traitsISL_E10value_typeET2_T3_PNSM_ISR_E10value_typeET4_jRbjT5_SX_jjP12ihipStream_tbEUlT_E0_NS1_11comp_targetILNS1_3genE9ELNS1_11target_archE1100ELNS1_3gpuE3ELNS1_3repE0EEENS1_60segmented_radix_sort_warp_sort_medium_config_static_selectorELNS0_4arch9wavefront6targetE0EEEvSL_,@function
_ZN7rocprim17ROCPRIM_400000_NS6detail17trampoline_kernelINS0_14default_configENS1_36segmented_radix_sort_config_selectorI12hip_bfloat16lEEZNS1_25segmented_radix_sort_implIS3_Lb1EPKS5_PS5_PKlPlN2at6native12_GLOBAL__N_18offset_tEEE10hipError_tPvRmT1_PNSt15iterator_traitsISL_E10value_typeET2_T3_PNSM_ISR_E10value_typeET4_jRbjT5_SX_jjP12ihipStream_tbEUlT_E0_NS1_11comp_targetILNS1_3genE9ELNS1_11target_archE1100ELNS1_3gpuE3ELNS1_3repE0EEENS1_60segmented_radix_sort_warp_sort_medium_config_static_selectorELNS0_4arch9wavefront6targetE0EEEvSL_: ; @_ZN7rocprim17ROCPRIM_400000_NS6detail17trampoline_kernelINS0_14default_configENS1_36segmented_radix_sort_config_selectorI12hip_bfloat16lEEZNS1_25segmented_radix_sort_implIS3_Lb1EPKS5_PS5_PKlPlN2at6native12_GLOBAL__N_18offset_tEEE10hipError_tPvRmT1_PNSt15iterator_traitsISL_E10value_typeET2_T3_PNSM_ISR_E10value_typeET4_jRbjT5_SX_jjP12ihipStream_tbEUlT_E0_NS1_11comp_targetILNS1_3genE9ELNS1_11target_archE1100ELNS1_3gpuE3ELNS1_3repE0EEENS1_60segmented_radix_sort_warp_sort_medium_config_static_selectorELNS0_4arch9wavefront6targetE0EEEvSL_
; %bb.0:
	.section	.rodata,"a",@progbits
	.p2align	6, 0x0
	.amdhsa_kernel _ZN7rocprim17ROCPRIM_400000_NS6detail17trampoline_kernelINS0_14default_configENS1_36segmented_radix_sort_config_selectorI12hip_bfloat16lEEZNS1_25segmented_radix_sort_implIS3_Lb1EPKS5_PS5_PKlPlN2at6native12_GLOBAL__N_18offset_tEEE10hipError_tPvRmT1_PNSt15iterator_traitsISL_E10value_typeET2_T3_PNSM_ISR_E10value_typeET4_jRbjT5_SX_jjP12ihipStream_tbEUlT_E0_NS1_11comp_targetILNS1_3genE9ELNS1_11target_archE1100ELNS1_3gpuE3ELNS1_3repE0EEENS1_60segmented_radix_sort_warp_sort_medium_config_static_selectorELNS0_4arch9wavefront6targetE0EEEvSL_
		.amdhsa_group_segment_fixed_size 0
		.amdhsa_private_segment_fixed_size 0
		.amdhsa_kernarg_size 88
		.amdhsa_user_sgpr_count 2
		.amdhsa_user_sgpr_dispatch_ptr 0
		.amdhsa_user_sgpr_queue_ptr 0
		.amdhsa_user_sgpr_kernarg_segment_ptr 1
		.amdhsa_user_sgpr_dispatch_id 0
		.amdhsa_user_sgpr_private_segment_size 0
		.amdhsa_wavefront_size32 1
		.amdhsa_uses_dynamic_stack 0
		.amdhsa_enable_private_segment 0
		.amdhsa_system_sgpr_workgroup_id_x 1
		.amdhsa_system_sgpr_workgroup_id_y 0
		.amdhsa_system_sgpr_workgroup_id_z 0
		.amdhsa_system_sgpr_workgroup_info 0
		.amdhsa_system_vgpr_workitem_id 0
		.amdhsa_next_free_vgpr 1
		.amdhsa_next_free_sgpr 1
		.amdhsa_reserve_vcc 0
		.amdhsa_float_round_mode_32 0
		.amdhsa_float_round_mode_16_64 0
		.amdhsa_float_denorm_mode_32 3
		.amdhsa_float_denorm_mode_16_64 3
		.amdhsa_fp16_overflow 0
		.amdhsa_workgroup_processor_mode 1
		.amdhsa_memory_ordered 1
		.amdhsa_forward_progress 1
		.amdhsa_inst_pref_size 0
		.amdhsa_round_robin_scheduling 0
		.amdhsa_exception_fp_ieee_invalid_op 0
		.amdhsa_exception_fp_denorm_src 0
		.amdhsa_exception_fp_ieee_div_zero 0
		.amdhsa_exception_fp_ieee_overflow 0
		.amdhsa_exception_fp_ieee_underflow 0
		.amdhsa_exception_fp_ieee_inexact 0
		.amdhsa_exception_int_div_zero 0
	.end_amdhsa_kernel
	.section	.text._ZN7rocprim17ROCPRIM_400000_NS6detail17trampoline_kernelINS0_14default_configENS1_36segmented_radix_sort_config_selectorI12hip_bfloat16lEEZNS1_25segmented_radix_sort_implIS3_Lb1EPKS5_PS5_PKlPlN2at6native12_GLOBAL__N_18offset_tEEE10hipError_tPvRmT1_PNSt15iterator_traitsISL_E10value_typeET2_T3_PNSM_ISR_E10value_typeET4_jRbjT5_SX_jjP12ihipStream_tbEUlT_E0_NS1_11comp_targetILNS1_3genE9ELNS1_11target_archE1100ELNS1_3gpuE3ELNS1_3repE0EEENS1_60segmented_radix_sort_warp_sort_medium_config_static_selectorELNS0_4arch9wavefront6targetE0EEEvSL_,"axG",@progbits,_ZN7rocprim17ROCPRIM_400000_NS6detail17trampoline_kernelINS0_14default_configENS1_36segmented_radix_sort_config_selectorI12hip_bfloat16lEEZNS1_25segmented_radix_sort_implIS3_Lb1EPKS5_PS5_PKlPlN2at6native12_GLOBAL__N_18offset_tEEE10hipError_tPvRmT1_PNSt15iterator_traitsISL_E10value_typeET2_T3_PNSM_ISR_E10value_typeET4_jRbjT5_SX_jjP12ihipStream_tbEUlT_E0_NS1_11comp_targetILNS1_3genE9ELNS1_11target_archE1100ELNS1_3gpuE3ELNS1_3repE0EEENS1_60segmented_radix_sort_warp_sort_medium_config_static_selectorELNS0_4arch9wavefront6targetE0EEEvSL_,comdat
.Lfunc_end1964:
	.size	_ZN7rocprim17ROCPRIM_400000_NS6detail17trampoline_kernelINS0_14default_configENS1_36segmented_radix_sort_config_selectorI12hip_bfloat16lEEZNS1_25segmented_radix_sort_implIS3_Lb1EPKS5_PS5_PKlPlN2at6native12_GLOBAL__N_18offset_tEEE10hipError_tPvRmT1_PNSt15iterator_traitsISL_E10value_typeET2_T3_PNSM_ISR_E10value_typeET4_jRbjT5_SX_jjP12ihipStream_tbEUlT_E0_NS1_11comp_targetILNS1_3genE9ELNS1_11target_archE1100ELNS1_3gpuE3ELNS1_3repE0EEENS1_60segmented_radix_sort_warp_sort_medium_config_static_selectorELNS0_4arch9wavefront6targetE0EEEvSL_, .Lfunc_end1964-_ZN7rocprim17ROCPRIM_400000_NS6detail17trampoline_kernelINS0_14default_configENS1_36segmented_radix_sort_config_selectorI12hip_bfloat16lEEZNS1_25segmented_radix_sort_implIS3_Lb1EPKS5_PS5_PKlPlN2at6native12_GLOBAL__N_18offset_tEEE10hipError_tPvRmT1_PNSt15iterator_traitsISL_E10value_typeET2_T3_PNSM_ISR_E10value_typeET4_jRbjT5_SX_jjP12ihipStream_tbEUlT_E0_NS1_11comp_targetILNS1_3genE9ELNS1_11target_archE1100ELNS1_3gpuE3ELNS1_3repE0EEENS1_60segmented_radix_sort_warp_sort_medium_config_static_selectorELNS0_4arch9wavefront6targetE0EEEvSL_
                                        ; -- End function
	.set _ZN7rocprim17ROCPRIM_400000_NS6detail17trampoline_kernelINS0_14default_configENS1_36segmented_radix_sort_config_selectorI12hip_bfloat16lEEZNS1_25segmented_radix_sort_implIS3_Lb1EPKS5_PS5_PKlPlN2at6native12_GLOBAL__N_18offset_tEEE10hipError_tPvRmT1_PNSt15iterator_traitsISL_E10value_typeET2_T3_PNSM_ISR_E10value_typeET4_jRbjT5_SX_jjP12ihipStream_tbEUlT_E0_NS1_11comp_targetILNS1_3genE9ELNS1_11target_archE1100ELNS1_3gpuE3ELNS1_3repE0EEENS1_60segmented_radix_sort_warp_sort_medium_config_static_selectorELNS0_4arch9wavefront6targetE0EEEvSL_.num_vgpr, 0
	.set _ZN7rocprim17ROCPRIM_400000_NS6detail17trampoline_kernelINS0_14default_configENS1_36segmented_radix_sort_config_selectorI12hip_bfloat16lEEZNS1_25segmented_radix_sort_implIS3_Lb1EPKS5_PS5_PKlPlN2at6native12_GLOBAL__N_18offset_tEEE10hipError_tPvRmT1_PNSt15iterator_traitsISL_E10value_typeET2_T3_PNSM_ISR_E10value_typeET4_jRbjT5_SX_jjP12ihipStream_tbEUlT_E0_NS1_11comp_targetILNS1_3genE9ELNS1_11target_archE1100ELNS1_3gpuE3ELNS1_3repE0EEENS1_60segmented_radix_sort_warp_sort_medium_config_static_selectorELNS0_4arch9wavefront6targetE0EEEvSL_.num_agpr, 0
	.set _ZN7rocprim17ROCPRIM_400000_NS6detail17trampoline_kernelINS0_14default_configENS1_36segmented_radix_sort_config_selectorI12hip_bfloat16lEEZNS1_25segmented_radix_sort_implIS3_Lb1EPKS5_PS5_PKlPlN2at6native12_GLOBAL__N_18offset_tEEE10hipError_tPvRmT1_PNSt15iterator_traitsISL_E10value_typeET2_T3_PNSM_ISR_E10value_typeET4_jRbjT5_SX_jjP12ihipStream_tbEUlT_E0_NS1_11comp_targetILNS1_3genE9ELNS1_11target_archE1100ELNS1_3gpuE3ELNS1_3repE0EEENS1_60segmented_radix_sort_warp_sort_medium_config_static_selectorELNS0_4arch9wavefront6targetE0EEEvSL_.numbered_sgpr, 0
	.set _ZN7rocprim17ROCPRIM_400000_NS6detail17trampoline_kernelINS0_14default_configENS1_36segmented_radix_sort_config_selectorI12hip_bfloat16lEEZNS1_25segmented_radix_sort_implIS3_Lb1EPKS5_PS5_PKlPlN2at6native12_GLOBAL__N_18offset_tEEE10hipError_tPvRmT1_PNSt15iterator_traitsISL_E10value_typeET2_T3_PNSM_ISR_E10value_typeET4_jRbjT5_SX_jjP12ihipStream_tbEUlT_E0_NS1_11comp_targetILNS1_3genE9ELNS1_11target_archE1100ELNS1_3gpuE3ELNS1_3repE0EEENS1_60segmented_radix_sort_warp_sort_medium_config_static_selectorELNS0_4arch9wavefront6targetE0EEEvSL_.num_named_barrier, 0
	.set _ZN7rocprim17ROCPRIM_400000_NS6detail17trampoline_kernelINS0_14default_configENS1_36segmented_radix_sort_config_selectorI12hip_bfloat16lEEZNS1_25segmented_radix_sort_implIS3_Lb1EPKS5_PS5_PKlPlN2at6native12_GLOBAL__N_18offset_tEEE10hipError_tPvRmT1_PNSt15iterator_traitsISL_E10value_typeET2_T3_PNSM_ISR_E10value_typeET4_jRbjT5_SX_jjP12ihipStream_tbEUlT_E0_NS1_11comp_targetILNS1_3genE9ELNS1_11target_archE1100ELNS1_3gpuE3ELNS1_3repE0EEENS1_60segmented_radix_sort_warp_sort_medium_config_static_selectorELNS0_4arch9wavefront6targetE0EEEvSL_.private_seg_size, 0
	.set _ZN7rocprim17ROCPRIM_400000_NS6detail17trampoline_kernelINS0_14default_configENS1_36segmented_radix_sort_config_selectorI12hip_bfloat16lEEZNS1_25segmented_radix_sort_implIS3_Lb1EPKS5_PS5_PKlPlN2at6native12_GLOBAL__N_18offset_tEEE10hipError_tPvRmT1_PNSt15iterator_traitsISL_E10value_typeET2_T3_PNSM_ISR_E10value_typeET4_jRbjT5_SX_jjP12ihipStream_tbEUlT_E0_NS1_11comp_targetILNS1_3genE9ELNS1_11target_archE1100ELNS1_3gpuE3ELNS1_3repE0EEENS1_60segmented_radix_sort_warp_sort_medium_config_static_selectorELNS0_4arch9wavefront6targetE0EEEvSL_.uses_vcc, 0
	.set _ZN7rocprim17ROCPRIM_400000_NS6detail17trampoline_kernelINS0_14default_configENS1_36segmented_radix_sort_config_selectorI12hip_bfloat16lEEZNS1_25segmented_radix_sort_implIS3_Lb1EPKS5_PS5_PKlPlN2at6native12_GLOBAL__N_18offset_tEEE10hipError_tPvRmT1_PNSt15iterator_traitsISL_E10value_typeET2_T3_PNSM_ISR_E10value_typeET4_jRbjT5_SX_jjP12ihipStream_tbEUlT_E0_NS1_11comp_targetILNS1_3genE9ELNS1_11target_archE1100ELNS1_3gpuE3ELNS1_3repE0EEENS1_60segmented_radix_sort_warp_sort_medium_config_static_selectorELNS0_4arch9wavefront6targetE0EEEvSL_.uses_flat_scratch, 0
	.set _ZN7rocprim17ROCPRIM_400000_NS6detail17trampoline_kernelINS0_14default_configENS1_36segmented_radix_sort_config_selectorI12hip_bfloat16lEEZNS1_25segmented_radix_sort_implIS3_Lb1EPKS5_PS5_PKlPlN2at6native12_GLOBAL__N_18offset_tEEE10hipError_tPvRmT1_PNSt15iterator_traitsISL_E10value_typeET2_T3_PNSM_ISR_E10value_typeET4_jRbjT5_SX_jjP12ihipStream_tbEUlT_E0_NS1_11comp_targetILNS1_3genE9ELNS1_11target_archE1100ELNS1_3gpuE3ELNS1_3repE0EEENS1_60segmented_radix_sort_warp_sort_medium_config_static_selectorELNS0_4arch9wavefront6targetE0EEEvSL_.has_dyn_sized_stack, 0
	.set _ZN7rocprim17ROCPRIM_400000_NS6detail17trampoline_kernelINS0_14default_configENS1_36segmented_radix_sort_config_selectorI12hip_bfloat16lEEZNS1_25segmented_radix_sort_implIS3_Lb1EPKS5_PS5_PKlPlN2at6native12_GLOBAL__N_18offset_tEEE10hipError_tPvRmT1_PNSt15iterator_traitsISL_E10value_typeET2_T3_PNSM_ISR_E10value_typeET4_jRbjT5_SX_jjP12ihipStream_tbEUlT_E0_NS1_11comp_targetILNS1_3genE9ELNS1_11target_archE1100ELNS1_3gpuE3ELNS1_3repE0EEENS1_60segmented_radix_sort_warp_sort_medium_config_static_selectorELNS0_4arch9wavefront6targetE0EEEvSL_.has_recursion, 0
	.set _ZN7rocprim17ROCPRIM_400000_NS6detail17trampoline_kernelINS0_14default_configENS1_36segmented_radix_sort_config_selectorI12hip_bfloat16lEEZNS1_25segmented_radix_sort_implIS3_Lb1EPKS5_PS5_PKlPlN2at6native12_GLOBAL__N_18offset_tEEE10hipError_tPvRmT1_PNSt15iterator_traitsISL_E10value_typeET2_T3_PNSM_ISR_E10value_typeET4_jRbjT5_SX_jjP12ihipStream_tbEUlT_E0_NS1_11comp_targetILNS1_3genE9ELNS1_11target_archE1100ELNS1_3gpuE3ELNS1_3repE0EEENS1_60segmented_radix_sort_warp_sort_medium_config_static_selectorELNS0_4arch9wavefront6targetE0EEEvSL_.has_indirect_call, 0
	.section	.AMDGPU.csdata,"",@progbits
; Kernel info:
; codeLenInByte = 0
; TotalNumSgprs: 0
; NumVgprs: 0
; ScratchSize: 0
; MemoryBound: 0
; FloatMode: 240
; IeeeMode: 1
; LDSByteSize: 0 bytes/workgroup (compile time only)
; SGPRBlocks: 0
; VGPRBlocks: 0
; NumSGPRsForWavesPerEU: 1
; NumVGPRsForWavesPerEU: 1
; Occupancy: 16
; WaveLimiterHint : 0
; COMPUTE_PGM_RSRC2:SCRATCH_EN: 0
; COMPUTE_PGM_RSRC2:USER_SGPR: 2
; COMPUTE_PGM_RSRC2:TRAP_HANDLER: 0
; COMPUTE_PGM_RSRC2:TGID_X_EN: 1
; COMPUTE_PGM_RSRC2:TGID_Y_EN: 0
; COMPUTE_PGM_RSRC2:TGID_Z_EN: 0
; COMPUTE_PGM_RSRC2:TIDIG_COMP_CNT: 0
	.section	.text._ZN7rocprim17ROCPRIM_400000_NS6detail17trampoline_kernelINS0_14default_configENS1_36segmented_radix_sort_config_selectorI12hip_bfloat16lEEZNS1_25segmented_radix_sort_implIS3_Lb1EPKS5_PS5_PKlPlN2at6native12_GLOBAL__N_18offset_tEEE10hipError_tPvRmT1_PNSt15iterator_traitsISL_E10value_typeET2_T3_PNSM_ISR_E10value_typeET4_jRbjT5_SX_jjP12ihipStream_tbEUlT_E0_NS1_11comp_targetILNS1_3genE8ELNS1_11target_archE1030ELNS1_3gpuE2ELNS1_3repE0EEENS1_60segmented_radix_sort_warp_sort_medium_config_static_selectorELNS0_4arch9wavefront6targetE0EEEvSL_,"axG",@progbits,_ZN7rocprim17ROCPRIM_400000_NS6detail17trampoline_kernelINS0_14default_configENS1_36segmented_radix_sort_config_selectorI12hip_bfloat16lEEZNS1_25segmented_radix_sort_implIS3_Lb1EPKS5_PS5_PKlPlN2at6native12_GLOBAL__N_18offset_tEEE10hipError_tPvRmT1_PNSt15iterator_traitsISL_E10value_typeET2_T3_PNSM_ISR_E10value_typeET4_jRbjT5_SX_jjP12ihipStream_tbEUlT_E0_NS1_11comp_targetILNS1_3genE8ELNS1_11target_archE1030ELNS1_3gpuE2ELNS1_3repE0EEENS1_60segmented_radix_sort_warp_sort_medium_config_static_selectorELNS0_4arch9wavefront6targetE0EEEvSL_,comdat
	.globl	_ZN7rocprim17ROCPRIM_400000_NS6detail17trampoline_kernelINS0_14default_configENS1_36segmented_radix_sort_config_selectorI12hip_bfloat16lEEZNS1_25segmented_radix_sort_implIS3_Lb1EPKS5_PS5_PKlPlN2at6native12_GLOBAL__N_18offset_tEEE10hipError_tPvRmT1_PNSt15iterator_traitsISL_E10value_typeET2_T3_PNSM_ISR_E10value_typeET4_jRbjT5_SX_jjP12ihipStream_tbEUlT_E0_NS1_11comp_targetILNS1_3genE8ELNS1_11target_archE1030ELNS1_3gpuE2ELNS1_3repE0EEENS1_60segmented_radix_sort_warp_sort_medium_config_static_selectorELNS0_4arch9wavefront6targetE0EEEvSL_ ; -- Begin function _ZN7rocprim17ROCPRIM_400000_NS6detail17trampoline_kernelINS0_14default_configENS1_36segmented_radix_sort_config_selectorI12hip_bfloat16lEEZNS1_25segmented_radix_sort_implIS3_Lb1EPKS5_PS5_PKlPlN2at6native12_GLOBAL__N_18offset_tEEE10hipError_tPvRmT1_PNSt15iterator_traitsISL_E10value_typeET2_T3_PNSM_ISR_E10value_typeET4_jRbjT5_SX_jjP12ihipStream_tbEUlT_E0_NS1_11comp_targetILNS1_3genE8ELNS1_11target_archE1030ELNS1_3gpuE2ELNS1_3repE0EEENS1_60segmented_radix_sort_warp_sort_medium_config_static_selectorELNS0_4arch9wavefront6targetE0EEEvSL_
	.p2align	8
	.type	_ZN7rocprim17ROCPRIM_400000_NS6detail17trampoline_kernelINS0_14default_configENS1_36segmented_radix_sort_config_selectorI12hip_bfloat16lEEZNS1_25segmented_radix_sort_implIS3_Lb1EPKS5_PS5_PKlPlN2at6native12_GLOBAL__N_18offset_tEEE10hipError_tPvRmT1_PNSt15iterator_traitsISL_E10value_typeET2_T3_PNSM_ISR_E10value_typeET4_jRbjT5_SX_jjP12ihipStream_tbEUlT_E0_NS1_11comp_targetILNS1_3genE8ELNS1_11target_archE1030ELNS1_3gpuE2ELNS1_3repE0EEENS1_60segmented_radix_sort_warp_sort_medium_config_static_selectorELNS0_4arch9wavefront6targetE0EEEvSL_,@function
_ZN7rocprim17ROCPRIM_400000_NS6detail17trampoline_kernelINS0_14default_configENS1_36segmented_radix_sort_config_selectorI12hip_bfloat16lEEZNS1_25segmented_radix_sort_implIS3_Lb1EPKS5_PS5_PKlPlN2at6native12_GLOBAL__N_18offset_tEEE10hipError_tPvRmT1_PNSt15iterator_traitsISL_E10value_typeET2_T3_PNSM_ISR_E10value_typeET4_jRbjT5_SX_jjP12ihipStream_tbEUlT_E0_NS1_11comp_targetILNS1_3genE8ELNS1_11target_archE1030ELNS1_3gpuE2ELNS1_3repE0EEENS1_60segmented_radix_sort_warp_sort_medium_config_static_selectorELNS0_4arch9wavefront6targetE0EEEvSL_: ; @_ZN7rocprim17ROCPRIM_400000_NS6detail17trampoline_kernelINS0_14default_configENS1_36segmented_radix_sort_config_selectorI12hip_bfloat16lEEZNS1_25segmented_radix_sort_implIS3_Lb1EPKS5_PS5_PKlPlN2at6native12_GLOBAL__N_18offset_tEEE10hipError_tPvRmT1_PNSt15iterator_traitsISL_E10value_typeET2_T3_PNSM_ISR_E10value_typeET4_jRbjT5_SX_jjP12ihipStream_tbEUlT_E0_NS1_11comp_targetILNS1_3genE8ELNS1_11target_archE1030ELNS1_3gpuE2ELNS1_3repE0EEENS1_60segmented_radix_sort_warp_sort_medium_config_static_selectorELNS0_4arch9wavefront6targetE0EEEvSL_
; %bb.0:
	.section	.rodata,"a",@progbits
	.p2align	6, 0x0
	.amdhsa_kernel _ZN7rocprim17ROCPRIM_400000_NS6detail17trampoline_kernelINS0_14default_configENS1_36segmented_radix_sort_config_selectorI12hip_bfloat16lEEZNS1_25segmented_radix_sort_implIS3_Lb1EPKS5_PS5_PKlPlN2at6native12_GLOBAL__N_18offset_tEEE10hipError_tPvRmT1_PNSt15iterator_traitsISL_E10value_typeET2_T3_PNSM_ISR_E10value_typeET4_jRbjT5_SX_jjP12ihipStream_tbEUlT_E0_NS1_11comp_targetILNS1_3genE8ELNS1_11target_archE1030ELNS1_3gpuE2ELNS1_3repE0EEENS1_60segmented_radix_sort_warp_sort_medium_config_static_selectorELNS0_4arch9wavefront6targetE0EEEvSL_
		.amdhsa_group_segment_fixed_size 0
		.amdhsa_private_segment_fixed_size 0
		.amdhsa_kernarg_size 88
		.amdhsa_user_sgpr_count 2
		.amdhsa_user_sgpr_dispatch_ptr 0
		.amdhsa_user_sgpr_queue_ptr 0
		.amdhsa_user_sgpr_kernarg_segment_ptr 1
		.amdhsa_user_sgpr_dispatch_id 0
		.amdhsa_user_sgpr_private_segment_size 0
		.amdhsa_wavefront_size32 1
		.amdhsa_uses_dynamic_stack 0
		.amdhsa_enable_private_segment 0
		.amdhsa_system_sgpr_workgroup_id_x 1
		.amdhsa_system_sgpr_workgroup_id_y 0
		.amdhsa_system_sgpr_workgroup_id_z 0
		.amdhsa_system_sgpr_workgroup_info 0
		.amdhsa_system_vgpr_workitem_id 0
		.amdhsa_next_free_vgpr 1
		.amdhsa_next_free_sgpr 1
		.amdhsa_reserve_vcc 0
		.amdhsa_float_round_mode_32 0
		.amdhsa_float_round_mode_16_64 0
		.amdhsa_float_denorm_mode_32 3
		.amdhsa_float_denorm_mode_16_64 3
		.amdhsa_fp16_overflow 0
		.amdhsa_workgroup_processor_mode 1
		.amdhsa_memory_ordered 1
		.amdhsa_forward_progress 1
		.amdhsa_inst_pref_size 0
		.amdhsa_round_robin_scheduling 0
		.amdhsa_exception_fp_ieee_invalid_op 0
		.amdhsa_exception_fp_denorm_src 0
		.amdhsa_exception_fp_ieee_div_zero 0
		.amdhsa_exception_fp_ieee_overflow 0
		.amdhsa_exception_fp_ieee_underflow 0
		.amdhsa_exception_fp_ieee_inexact 0
		.amdhsa_exception_int_div_zero 0
	.end_amdhsa_kernel
	.section	.text._ZN7rocprim17ROCPRIM_400000_NS6detail17trampoline_kernelINS0_14default_configENS1_36segmented_radix_sort_config_selectorI12hip_bfloat16lEEZNS1_25segmented_radix_sort_implIS3_Lb1EPKS5_PS5_PKlPlN2at6native12_GLOBAL__N_18offset_tEEE10hipError_tPvRmT1_PNSt15iterator_traitsISL_E10value_typeET2_T3_PNSM_ISR_E10value_typeET4_jRbjT5_SX_jjP12ihipStream_tbEUlT_E0_NS1_11comp_targetILNS1_3genE8ELNS1_11target_archE1030ELNS1_3gpuE2ELNS1_3repE0EEENS1_60segmented_radix_sort_warp_sort_medium_config_static_selectorELNS0_4arch9wavefront6targetE0EEEvSL_,"axG",@progbits,_ZN7rocprim17ROCPRIM_400000_NS6detail17trampoline_kernelINS0_14default_configENS1_36segmented_radix_sort_config_selectorI12hip_bfloat16lEEZNS1_25segmented_radix_sort_implIS3_Lb1EPKS5_PS5_PKlPlN2at6native12_GLOBAL__N_18offset_tEEE10hipError_tPvRmT1_PNSt15iterator_traitsISL_E10value_typeET2_T3_PNSM_ISR_E10value_typeET4_jRbjT5_SX_jjP12ihipStream_tbEUlT_E0_NS1_11comp_targetILNS1_3genE8ELNS1_11target_archE1030ELNS1_3gpuE2ELNS1_3repE0EEENS1_60segmented_radix_sort_warp_sort_medium_config_static_selectorELNS0_4arch9wavefront6targetE0EEEvSL_,comdat
.Lfunc_end1965:
	.size	_ZN7rocprim17ROCPRIM_400000_NS6detail17trampoline_kernelINS0_14default_configENS1_36segmented_radix_sort_config_selectorI12hip_bfloat16lEEZNS1_25segmented_radix_sort_implIS3_Lb1EPKS5_PS5_PKlPlN2at6native12_GLOBAL__N_18offset_tEEE10hipError_tPvRmT1_PNSt15iterator_traitsISL_E10value_typeET2_T3_PNSM_ISR_E10value_typeET4_jRbjT5_SX_jjP12ihipStream_tbEUlT_E0_NS1_11comp_targetILNS1_3genE8ELNS1_11target_archE1030ELNS1_3gpuE2ELNS1_3repE0EEENS1_60segmented_radix_sort_warp_sort_medium_config_static_selectorELNS0_4arch9wavefront6targetE0EEEvSL_, .Lfunc_end1965-_ZN7rocprim17ROCPRIM_400000_NS6detail17trampoline_kernelINS0_14default_configENS1_36segmented_radix_sort_config_selectorI12hip_bfloat16lEEZNS1_25segmented_radix_sort_implIS3_Lb1EPKS5_PS5_PKlPlN2at6native12_GLOBAL__N_18offset_tEEE10hipError_tPvRmT1_PNSt15iterator_traitsISL_E10value_typeET2_T3_PNSM_ISR_E10value_typeET4_jRbjT5_SX_jjP12ihipStream_tbEUlT_E0_NS1_11comp_targetILNS1_3genE8ELNS1_11target_archE1030ELNS1_3gpuE2ELNS1_3repE0EEENS1_60segmented_radix_sort_warp_sort_medium_config_static_selectorELNS0_4arch9wavefront6targetE0EEEvSL_
                                        ; -- End function
	.set _ZN7rocprim17ROCPRIM_400000_NS6detail17trampoline_kernelINS0_14default_configENS1_36segmented_radix_sort_config_selectorI12hip_bfloat16lEEZNS1_25segmented_radix_sort_implIS3_Lb1EPKS5_PS5_PKlPlN2at6native12_GLOBAL__N_18offset_tEEE10hipError_tPvRmT1_PNSt15iterator_traitsISL_E10value_typeET2_T3_PNSM_ISR_E10value_typeET4_jRbjT5_SX_jjP12ihipStream_tbEUlT_E0_NS1_11comp_targetILNS1_3genE8ELNS1_11target_archE1030ELNS1_3gpuE2ELNS1_3repE0EEENS1_60segmented_radix_sort_warp_sort_medium_config_static_selectorELNS0_4arch9wavefront6targetE0EEEvSL_.num_vgpr, 0
	.set _ZN7rocprim17ROCPRIM_400000_NS6detail17trampoline_kernelINS0_14default_configENS1_36segmented_radix_sort_config_selectorI12hip_bfloat16lEEZNS1_25segmented_radix_sort_implIS3_Lb1EPKS5_PS5_PKlPlN2at6native12_GLOBAL__N_18offset_tEEE10hipError_tPvRmT1_PNSt15iterator_traitsISL_E10value_typeET2_T3_PNSM_ISR_E10value_typeET4_jRbjT5_SX_jjP12ihipStream_tbEUlT_E0_NS1_11comp_targetILNS1_3genE8ELNS1_11target_archE1030ELNS1_3gpuE2ELNS1_3repE0EEENS1_60segmented_radix_sort_warp_sort_medium_config_static_selectorELNS0_4arch9wavefront6targetE0EEEvSL_.num_agpr, 0
	.set _ZN7rocprim17ROCPRIM_400000_NS6detail17trampoline_kernelINS0_14default_configENS1_36segmented_radix_sort_config_selectorI12hip_bfloat16lEEZNS1_25segmented_radix_sort_implIS3_Lb1EPKS5_PS5_PKlPlN2at6native12_GLOBAL__N_18offset_tEEE10hipError_tPvRmT1_PNSt15iterator_traitsISL_E10value_typeET2_T3_PNSM_ISR_E10value_typeET4_jRbjT5_SX_jjP12ihipStream_tbEUlT_E0_NS1_11comp_targetILNS1_3genE8ELNS1_11target_archE1030ELNS1_3gpuE2ELNS1_3repE0EEENS1_60segmented_radix_sort_warp_sort_medium_config_static_selectorELNS0_4arch9wavefront6targetE0EEEvSL_.numbered_sgpr, 0
	.set _ZN7rocprim17ROCPRIM_400000_NS6detail17trampoline_kernelINS0_14default_configENS1_36segmented_radix_sort_config_selectorI12hip_bfloat16lEEZNS1_25segmented_radix_sort_implIS3_Lb1EPKS5_PS5_PKlPlN2at6native12_GLOBAL__N_18offset_tEEE10hipError_tPvRmT1_PNSt15iterator_traitsISL_E10value_typeET2_T3_PNSM_ISR_E10value_typeET4_jRbjT5_SX_jjP12ihipStream_tbEUlT_E0_NS1_11comp_targetILNS1_3genE8ELNS1_11target_archE1030ELNS1_3gpuE2ELNS1_3repE0EEENS1_60segmented_radix_sort_warp_sort_medium_config_static_selectorELNS0_4arch9wavefront6targetE0EEEvSL_.num_named_barrier, 0
	.set _ZN7rocprim17ROCPRIM_400000_NS6detail17trampoline_kernelINS0_14default_configENS1_36segmented_radix_sort_config_selectorI12hip_bfloat16lEEZNS1_25segmented_radix_sort_implIS3_Lb1EPKS5_PS5_PKlPlN2at6native12_GLOBAL__N_18offset_tEEE10hipError_tPvRmT1_PNSt15iterator_traitsISL_E10value_typeET2_T3_PNSM_ISR_E10value_typeET4_jRbjT5_SX_jjP12ihipStream_tbEUlT_E0_NS1_11comp_targetILNS1_3genE8ELNS1_11target_archE1030ELNS1_3gpuE2ELNS1_3repE0EEENS1_60segmented_radix_sort_warp_sort_medium_config_static_selectorELNS0_4arch9wavefront6targetE0EEEvSL_.private_seg_size, 0
	.set _ZN7rocprim17ROCPRIM_400000_NS6detail17trampoline_kernelINS0_14default_configENS1_36segmented_radix_sort_config_selectorI12hip_bfloat16lEEZNS1_25segmented_radix_sort_implIS3_Lb1EPKS5_PS5_PKlPlN2at6native12_GLOBAL__N_18offset_tEEE10hipError_tPvRmT1_PNSt15iterator_traitsISL_E10value_typeET2_T3_PNSM_ISR_E10value_typeET4_jRbjT5_SX_jjP12ihipStream_tbEUlT_E0_NS1_11comp_targetILNS1_3genE8ELNS1_11target_archE1030ELNS1_3gpuE2ELNS1_3repE0EEENS1_60segmented_radix_sort_warp_sort_medium_config_static_selectorELNS0_4arch9wavefront6targetE0EEEvSL_.uses_vcc, 0
	.set _ZN7rocprim17ROCPRIM_400000_NS6detail17trampoline_kernelINS0_14default_configENS1_36segmented_radix_sort_config_selectorI12hip_bfloat16lEEZNS1_25segmented_radix_sort_implIS3_Lb1EPKS5_PS5_PKlPlN2at6native12_GLOBAL__N_18offset_tEEE10hipError_tPvRmT1_PNSt15iterator_traitsISL_E10value_typeET2_T3_PNSM_ISR_E10value_typeET4_jRbjT5_SX_jjP12ihipStream_tbEUlT_E0_NS1_11comp_targetILNS1_3genE8ELNS1_11target_archE1030ELNS1_3gpuE2ELNS1_3repE0EEENS1_60segmented_radix_sort_warp_sort_medium_config_static_selectorELNS0_4arch9wavefront6targetE0EEEvSL_.uses_flat_scratch, 0
	.set _ZN7rocprim17ROCPRIM_400000_NS6detail17trampoline_kernelINS0_14default_configENS1_36segmented_radix_sort_config_selectorI12hip_bfloat16lEEZNS1_25segmented_radix_sort_implIS3_Lb1EPKS5_PS5_PKlPlN2at6native12_GLOBAL__N_18offset_tEEE10hipError_tPvRmT1_PNSt15iterator_traitsISL_E10value_typeET2_T3_PNSM_ISR_E10value_typeET4_jRbjT5_SX_jjP12ihipStream_tbEUlT_E0_NS1_11comp_targetILNS1_3genE8ELNS1_11target_archE1030ELNS1_3gpuE2ELNS1_3repE0EEENS1_60segmented_radix_sort_warp_sort_medium_config_static_selectorELNS0_4arch9wavefront6targetE0EEEvSL_.has_dyn_sized_stack, 0
	.set _ZN7rocprim17ROCPRIM_400000_NS6detail17trampoline_kernelINS0_14default_configENS1_36segmented_radix_sort_config_selectorI12hip_bfloat16lEEZNS1_25segmented_radix_sort_implIS3_Lb1EPKS5_PS5_PKlPlN2at6native12_GLOBAL__N_18offset_tEEE10hipError_tPvRmT1_PNSt15iterator_traitsISL_E10value_typeET2_T3_PNSM_ISR_E10value_typeET4_jRbjT5_SX_jjP12ihipStream_tbEUlT_E0_NS1_11comp_targetILNS1_3genE8ELNS1_11target_archE1030ELNS1_3gpuE2ELNS1_3repE0EEENS1_60segmented_radix_sort_warp_sort_medium_config_static_selectorELNS0_4arch9wavefront6targetE0EEEvSL_.has_recursion, 0
	.set _ZN7rocprim17ROCPRIM_400000_NS6detail17trampoline_kernelINS0_14default_configENS1_36segmented_radix_sort_config_selectorI12hip_bfloat16lEEZNS1_25segmented_radix_sort_implIS3_Lb1EPKS5_PS5_PKlPlN2at6native12_GLOBAL__N_18offset_tEEE10hipError_tPvRmT1_PNSt15iterator_traitsISL_E10value_typeET2_T3_PNSM_ISR_E10value_typeET4_jRbjT5_SX_jjP12ihipStream_tbEUlT_E0_NS1_11comp_targetILNS1_3genE8ELNS1_11target_archE1030ELNS1_3gpuE2ELNS1_3repE0EEENS1_60segmented_radix_sort_warp_sort_medium_config_static_selectorELNS0_4arch9wavefront6targetE0EEEvSL_.has_indirect_call, 0
	.section	.AMDGPU.csdata,"",@progbits
; Kernel info:
; codeLenInByte = 0
; TotalNumSgprs: 0
; NumVgprs: 0
; ScratchSize: 0
; MemoryBound: 0
; FloatMode: 240
; IeeeMode: 1
; LDSByteSize: 0 bytes/workgroup (compile time only)
; SGPRBlocks: 0
; VGPRBlocks: 0
; NumSGPRsForWavesPerEU: 1
; NumVGPRsForWavesPerEU: 1
; Occupancy: 16
; WaveLimiterHint : 0
; COMPUTE_PGM_RSRC2:SCRATCH_EN: 0
; COMPUTE_PGM_RSRC2:USER_SGPR: 2
; COMPUTE_PGM_RSRC2:TRAP_HANDLER: 0
; COMPUTE_PGM_RSRC2:TGID_X_EN: 1
; COMPUTE_PGM_RSRC2:TGID_Y_EN: 0
; COMPUTE_PGM_RSRC2:TGID_Z_EN: 0
; COMPUTE_PGM_RSRC2:TIDIG_COMP_CNT: 0
	.section	.text._ZN7rocprim17ROCPRIM_400000_NS6detail17trampoline_kernelINS0_14default_configENS1_36segmented_radix_sort_config_selectorI12hip_bfloat16lEEZNS1_25segmented_radix_sort_implIS3_Lb1EPKS5_PS5_PKlPlN2at6native12_GLOBAL__N_18offset_tEEE10hipError_tPvRmT1_PNSt15iterator_traitsISL_E10value_typeET2_T3_PNSM_ISR_E10value_typeET4_jRbjT5_SX_jjP12ihipStream_tbEUlT_E1_NS1_11comp_targetILNS1_3genE0ELNS1_11target_archE4294967295ELNS1_3gpuE0ELNS1_3repE0EEENS1_59segmented_radix_sort_warp_sort_small_config_static_selectorELNS0_4arch9wavefront6targetE0EEEvSL_,"axG",@progbits,_ZN7rocprim17ROCPRIM_400000_NS6detail17trampoline_kernelINS0_14default_configENS1_36segmented_radix_sort_config_selectorI12hip_bfloat16lEEZNS1_25segmented_radix_sort_implIS3_Lb1EPKS5_PS5_PKlPlN2at6native12_GLOBAL__N_18offset_tEEE10hipError_tPvRmT1_PNSt15iterator_traitsISL_E10value_typeET2_T3_PNSM_ISR_E10value_typeET4_jRbjT5_SX_jjP12ihipStream_tbEUlT_E1_NS1_11comp_targetILNS1_3genE0ELNS1_11target_archE4294967295ELNS1_3gpuE0ELNS1_3repE0EEENS1_59segmented_radix_sort_warp_sort_small_config_static_selectorELNS0_4arch9wavefront6targetE0EEEvSL_,comdat
	.globl	_ZN7rocprim17ROCPRIM_400000_NS6detail17trampoline_kernelINS0_14default_configENS1_36segmented_radix_sort_config_selectorI12hip_bfloat16lEEZNS1_25segmented_radix_sort_implIS3_Lb1EPKS5_PS5_PKlPlN2at6native12_GLOBAL__N_18offset_tEEE10hipError_tPvRmT1_PNSt15iterator_traitsISL_E10value_typeET2_T3_PNSM_ISR_E10value_typeET4_jRbjT5_SX_jjP12ihipStream_tbEUlT_E1_NS1_11comp_targetILNS1_3genE0ELNS1_11target_archE4294967295ELNS1_3gpuE0ELNS1_3repE0EEENS1_59segmented_radix_sort_warp_sort_small_config_static_selectorELNS0_4arch9wavefront6targetE0EEEvSL_ ; -- Begin function _ZN7rocprim17ROCPRIM_400000_NS6detail17trampoline_kernelINS0_14default_configENS1_36segmented_radix_sort_config_selectorI12hip_bfloat16lEEZNS1_25segmented_radix_sort_implIS3_Lb1EPKS5_PS5_PKlPlN2at6native12_GLOBAL__N_18offset_tEEE10hipError_tPvRmT1_PNSt15iterator_traitsISL_E10value_typeET2_T3_PNSM_ISR_E10value_typeET4_jRbjT5_SX_jjP12ihipStream_tbEUlT_E1_NS1_11comp_targetILNS1_3genE0ELNS1_11target_archE4294967295ELNS1_3gpuE0ELNS1_3repE0EEENS1_59segmented_radix_sort_warp_sort_small_config_static_selectorELNS0_4arch9wavefront6targetE0EEEvSL_
	.p2align	8
	.type	_ZN7rocprim17ROCPRIM_400000_NS6detail17trampoline_kernelINS0_14default_configENS1_36segmented_radix_sort_config_selectorI12hip_bfloat16lEEZNS1_25segmented_radix_sort_implIS3_Lb1EPKS5_PS5_PKlPlN2at6native12_GLOBAL__N_18offset_tEEE10hipError_tPvRmT1_PNSt15iterator_traitsISL_E10value_typeET2_T3_PNSM_ISR_E10value_typeET4_jRbjT5_SX_jjP12ihipStream_tbEUlT_E1_NS1_11comp_targetILNS1_3genE0ELNS1_11target_archE4294967295ELNS1_3gpuE0ELNS1_3repE0EEENS1_59segmented_radix_sort_warp_sort_small_config_static_selectorELNS0_4arch9wavefront6targetE0EEEvSL_,@function
_ZN7rocprim17ROCPRIM_400000_NS6detail17trampoline_kernelINS0_14default_configENS1_36segmented_radix_sort_config_selectorI12hip_bfloat16lEEZNS1_25segmented_radix_sort_implIS3_Lb1EPKS5_PS5_PKlPlN2at6native12_GLOBAL__N_18offset_tEEE10hipError_tPvRmT1_PNSt15iterator_traitsISL_E10value_typeET2_T3_PNSM_ISR_E10value_typeET4_jRbjT5_SX_jjP12ihipStream_tbEUlT_E1_NS1_11comp_targetILNS1_3genE0ELNS1_11target_archE4294967295ELNS1_3gpuE0ELNS1_3repE0EEENS1_59segmented_radix_sort_warp_sort_small_config_static_selectorELNS0_4arch9wavefront6targetE0EEEvSL_: ; @_ZN7rocprim17ROCPRIM_400000_NS6detail17trampoline_kernelINS0_14default_configENS1_36segmented_radix_sort_config_selectorI12hip_bfloat16lEEZNS1_25segmented_radix_sort_implIS3_Lb1EPKS5_PS5_PKlPlN2at6native12_GLOBAL__N_18offset_tEEE10hipError_tPvRmT1_PNSt15iterator_traitsISL_E10value_typeET2_T3_PNSM_ISR_E10value_typeET4_jRbjT5_SX_jjP12ihipStream_tbEUlT_E1_NS1_11comp_targetILNS1_3genE0ELNS1_11target_archE4294967295ELNS1_3gpuE0ELNS1_3repE0EEENS1_59segmented_radix_sort_warp_sort_small_config_static_selectorELNS0_4arch9wavefront6targetE0EEEvSL_
; %bb.0:
	.section	.rodata,"a",@progbits
	.p2align	6, 0x0
	.amdhsa_kernel _ZN7rocprim17ROCPRIM_400000_NS6detail17trampoline_kernelINS0_14default_configENS1_36segmented_radix_sort_config_selectorI12hip_bfloat16lEEZNS1_25segmented_radix_sort_implIS3_Lb1EPKS5_PS5_PKlPlN2at6native12_GLOBAL__N_18offset_tEEE10hipError_tPvRmT1_PNSt15iterator_traitsISL_E10value_typeET2_T3_PNSM_ISR_E10value_typeET4_jRbjT5_SX_jjP12ihipStream_tbEUlT_E1_NS1_11comp_targetILNS1_3genE0ELNS1_11target_archE4294967295ELNS1_3gpuE0ELNS1_3repE0EEENS1_59segmented_radix_sort_warp_sort_small_config_static_selectorELNS0_4arch9wavefront6targetE0EEEvSL_
		.amdhsa_group_segment_fixed_size 0
		.amdhsa_private_segment_fixed_size 0
		.amdhsa_kernarg_size 88
		.amdhsa_user_sgpr_count 2
		.amdhsa_user_sgpr_dispatch_ptr 0
		.amdhsa_user_sgpr_queue_ptr 0
		.amdhsa_user_sgpr_kernarg_segment_ptr 1
		.amdhsa_user_sgpr_dispatch_id 0
		.amdhsa_user_sgpr_private_segment_size 0
		.amdhsa_wavefront_size32 1
		.amdhsa_uses_dynamic_stack 0
		.amdhsa_enable_private_segment 0
		.amdhsa_system_sgpr_workgroup_id_x 1
		.amdhsa_system_sgpr_workgroup_id_y 0
		.amdhsa_system_sgpr_workgroup_id_z 0
		.amdhsa_system_sgpr_workgroup_info 0
		.amdhsa_system_vgpr_workitem_id 0
		.amdhsa_next_free_vgpr 1
		.amdhsa_next_free_sgpr 1
		.amdhsa_reserve_vcc 0
		.amdhsa_float_round_mode_32 0
		.amdhsa_float_round_mode_16_64 0
		.amdhsa_float_denorm_mode_32 3
		.amdhsa_float_denorm_mode_16_64 3
		.amdhsa_fp16_overflow 0
		.amdhsa_workgroup_processor_mode 1
		.amdhsa_memory_ordered 1
		.amdhsa_forward_progress 1
		.amdhsa_inst_pref_size 0
		.amdhsa_round_robin_scheduling 0
		.amdhsa_exception_fp_ieee_invalid_op 0
		.amdhsa_exception_fp_denorm_src 0
		.amdhsa_exception_fp_ieee_div_zero 0
		.amdhsa_exception_fp_ieee_overflow 0
		.amdhsa_exception_fp_ieee_underflow 0
		.amdhsa_exception_fp_ieee_inexact 0
		.amdhsa_exception_int_div_zero 0
	.end_amdhsa_kernel
	.section	.text._ZN7rocprim17ROCPRIM_400000_NS6detail17trampoline_kernelINS0_14default_configENS1_36segmented_radix_sort_config_selectorI12hip_bfloat16lEEZNS1_25segmented_radix_sort_implIS3_Lb1EPKS5_PS5_PKlPlN2at6native12_GLOBAL__N_18offset_tEEE10hipError_tPvRmT1_PNSt15iterator_traitsISL_E10value_typeET2_T3_PNSM_ISR_E10value_typeET4_jRbjT5_SX_jjP12ihipStream_tbEUlT_E1_NS1_11comp_targetILNS1_3genE0ELNS1_11target_archE4294967295ELNS1_3gpuE0ELNS1_3repE0EEENS1_59segmented_radix_sort_warp_sort_small_config_static_selectorELNS0_4arch9wavefront6targetE0EEEvSL_,"axG",@progbits,_ZN7rocprim17ROCPRIM_400000_NS6detail17trampoline_kernelINS0_14default_configENS1_36segmented_radix_sort_config_selectorI12hip_bfloat16lEEZNS1_25segmented_radix_sort_implIS3_Lb1EPKS5_PS5_PKlPlN2at6native12_GLOBAL__N_18offset_tEEE10hipError_tPvRmT1_PNSt15iterator_traitsISL_E10value_typeET2_T3_PNSM_ISR_E10value_typeET4_jRbjT5_SX_jjP12ihipStream_tbEUlT_E1_NS1_11comp_targetILNS1_3genE0ELNS1_11target_archE4294967295ELNS1_3gpuE0ELNS1_3repE0EEENS1_59segmented_radix_sort_warp_sort_small_config_static_selectorELNS0_4arch9wavefront6targetE0EEEvSL_,comdat
.Lfunc_end1966:
	.size	_ZN7rocprim17ROCPRIM_400000_NS6detail17trampoline_kernelINS0_14default_configENS1_36segmented_radix_sort_config_selectorI12hip_bfloat16lEEZNS1_25segmented_radix_sort_implIS3_Lb1EPKS5_PS5_PKlPlN2at6native12_GLOBAL__N_18offset_tEEE10hipError_tPvRmT1_PNSt15iterator_traitsISL_E10value_typeET2_T3_PNSM_ISR_E10value_typeET4_jRbjT5_SX_jjP12ihipStream_tbEUlT_E1_NS1_11comp_targetILNS1_3genE0ELNS1_11target_archE4294967295ELNS1_3gpuE0ELNS1_3repE0EEENS1_59segmented_radix_sort_warp_sort_small_config_static_selectorELNS0_4arch9wavefront6targetE0EEEvSL_, .Lfunc_end1966-_ZN7rocprim17ROCPRIM_400000_NS6detail17trampoline_kernelINS0_14default_configENS1_36segmented_radix_sort_config_selectorI12hip_bfloat16lEEZNS1_25segmented_radix_sort_implIS3_Lb1EPKS5_PS5_PKlPlN2at6native12_GLOBAL__N_18offset_tEEE10hipError_tPvRmT1_PNSt15iterator_traitsISL_E10value_typeET2_T3_PNSM_ISR_E10value_typeET4_jRbjT5_SX_jjP12ihipStream_tbEUlT_E1_NS1_11comp_targetILNS1_3genE0ELNS1_11target_archE4294967295ELNS1_3gpuE0ELNS1_3repE0EEENS1_59segmented_radix_sort_warp_sort_small_config_static_selectorELNS0_4arch9wavefront6targetE0EEEvSL_
                                        ; -- End function
	.set _ZN7rocprim17ROCPRIM_400000_NS6detail17trampoline_kernelINS0_14default_configENS1_36segmented_radix_sort_config_selectorI12hip_bfloat16lEEZNS1_25segmented_radix_sort_implIS3_Lb1EPKS5_PS5_PKlPlN2at6native12_GLOBAL__N_18offset_tEEE10hipError_tPvRmT1_PNSt15iterator_traitsISL_E10value_typeET2_T3_PNSM_ISR_E10value_typeET4_jRbjT5_SX_jjP12ihipStream_tbEUlT_E1_NS1_11comp_targetILNS1_3genE0ELNS1_11target_archE4294967295ELNS1_3gpuE0ELNS1_3repE0EEENS1_59segmented_radix_sort_warp_sort_small_config_static_selectorELNS0_4arch9wavefront6targetE0EEEvSL_.num_vgpr, 0
	.set _ZN7rocprim17ROCPRIM_400000_NS6detail17trampoline_kernelINS0_14default_configENS1_36segmented_radix_sort_config_selectorI12hip_bfloat16lEEZNS1_25segmented_radix_sort_implIS3_Lb1EPKS5_PS5_PKlPlN2at6native12_GLOBAL__N_18offset_tEEE10hipError_tPvRmT1_PNSt15iterator_traitsISL_E10value_typeET2_T3_PNSM_ISR_E10value_typeET4_jRbjT5_SX_jjP12ihipStream_tbEUlT_E1_NS1_11comp_targetILNS1_3genE0ELNS1_11target_archE4294967295ELNS1_3gpuE0ELNS1_3repE0EEENS1_59segmented_radix_sort_warp_sort_small_config_static_selectorELNS0_4arch9wavefront6targetE0EEEvSL_.num_agpr, 0
	.set _ZN7rocprim17ROCPRIM_400000_NS6detail17trampoline_kernelINS0_14default_configENS1_36segmented_radix_sort_config_selectorI12hip_bfloat16lEEZNS1_25segmented_radix_sort_implIS3_Lb1EPKS5_PS5_PKlPlN2at6native12_GLOBAL__N_18offset_tEEE10hipError_tPvRmT1_PNSt15iterator_traitsISL_E10value_typeET2_T3_PNSM_ISR_E10value_typeET4_jRbjT5_SX_jjP12ihipStream_tbEUlT_E1_NS1_11comp_targetILNS1_3genE0ELNS1_11target_archE4294967295ELNS1_3gpuE0ELNS1_3repE0EEENS1_59segmented_radix_sort_warp_sort_small_config_static_selectorELNS0_4arch9wavefront6targetE0EEEvSL_.numbered_sgpr, 0
	.set _ZN7rocprim17ROCPRIM_400000_NS6detail17trampoline_kernelINS0_14default_configENS1_36segmented_radix_sort_config_selectorI12hip_bfloat16lEEZNS1_25segmented_radix_sort_implIS3_Lb1EPKS5_PS5_PKlPlN2at6native12_GLOBAL__N_18offset_tEEE10hipError_tPvRmT1_PNSt15iterator_traitsISL_E10value_typeET2_T3_PNSM_ISR_E10value_typeET4_jRbjT5_SX_jjP12ihipStream_tbEUlT_E1_NS1_11comp_targetILNS1_3genE0ELNS1_11target_archE4294967295ELNS1_3gpuE0ELNS1_3repE0EEENS1_59segmented_radix_sort_warp_sort_small_config_static_selectorELNS0_4arch9wavefront6targetE0EEEvSL_.num_named_barrier, 0
	.set _ZN7rocprim17ROCPRIM_400000_NS6detail17trampoline_kernelINS0_14default_configENS1_36segmented_radix_sort_config_selectorI12hip_bfloat16lEEZNS1_25segmented_radix_sort_implIS3_Lb1EPKS5_PS5_PKlPlN2at6native12_GLOBAL__N_18offset_tEEE10hipError_tPvRmT1_PNSt15iterator_traitsISL_E10value_typeET2_T3_PNSM_ISR_E10value_typeET4_jRbjT5_SX_jjP12ihipStream_tbEUlT_E1_NS1_11comp_targetILNS1_3genE0ELNS1_11target_archE4294967295ELNS1_3gpuE0ELNS1_3repE0EEENS1_59segmented_radix_sort_warp_sort_small_config_static_selectorELNS0_4arch9wavefront6targetE0EEEvSL_.private_seg_size, 0
	.set _ZN7rocprim17ROCPRIM_400000_NS6detail17trampoline_kernelINS0_14default_configENS1_36segmented_radix_sort_config_selectorI12hip_bfloat16lEEZNS1_25segmented_radix_sort_implIS3_Lb1EPKS5_PS5_PKlPlN2at6native12_GLOBAL__N_18offset_tEEE10hipError_tPvRmT1_PNSt15iterator_traitsISL_E10value_typeET2_T3_PNSM_ISR_E10value_typeET4_jRbjT5_SX_jjP12ihipStream_tbEUlT_E1_NS1_11comp_targetILNS1_3genE0ELNS1_11target_archE4294967295ELNS1_3gpuE0ELNS1_3repE0EEENS1_59segmented_radix_sort_warp_sort_small_config_static_selectorELNS0_4arch9wavefront6targetE0EEEvSL_.uses_vcc, 0
	.set _ZN7rocprim17ROCPRIM_400000_NS6detail17trampoline_kernelINS0_14default_configENS1_36segmented_radix_sort_config_selectorI12hip_bfloat16lEEZNS1_25segmented_radix_sort_implIS3_Lb1EPKS5_PS5_PKlPlN2at6native12_GLOBAL__N_18offset_tEEE10hipError_tPvRmT1_PNSt15iterator_traitsISL_E10value_typeET2_T3_PNSM_ISR_E10value_typeET4_jRbjT5_SX_jjP12ihipStream_tbEUlT_E1_NS1_11comp_targetILNS1_3genE0ELNS1_11target_archE4294967295ELNS1_3gpuE0ELNS1_3repE0EEENS1_59segmented_radix_sort_warp_sort_small_config_static_selectorELNS0_4arch9wavefront6targetE0EEEvSL_.uses_flat_scratch, 0
	.set _ZN7rocprim17ROCPRIM_400000_NS6detail17trampoline_kernelINS0_14default_configENS1_36segmented_radix_sort_config_selectorI12hip_bfloat16lEEZNS1_25segmented_radix_sort_implIS3_Lb1EPKS5_PS5_PKlPlN2at6native12_GLOBAL__N_18offset_tEEE10hipError_tPvRmT1_PNSt15iterator_traitsISL_E10value_typeET2_T3_PNSM_ISR_E10value_typeET4_jRbjT5_SX_jjP12ihipStream_tbEUlT_E1_NS1_11comp_targetILNS1_3genE0ELNS1_11target_archE4294967295ELNS1_3gpuE0ELNS1_3repE0EEENS1_59segmented_radix_sort_warp_sort_small_config_static_selectorELNS0_4arch9wavefront6targetE0EEEvSL_.has_dyn_sized_stack, 0
	.set _ZN7rocprim17ROCPRIM_400000_NS6detail17trampoline_kernelINS0_14default_configENS1_36segmented_radix_sort_config_selectorI12hip_bfloat16lEEZNS1_25segmented_radix_sort_implIS3_Lb1EPKS5_PS5_PKlPlN2at6native12_GLOBAL__N_18offset_tEEE10hipError_tPvRmT1_PNSt15iterator_traitsISL_E10value_typeET2_T3_PNSM_ISR_E10value_typeET4_jRbjT5_SX_jjP12ihipStream_tbEUlT_E1_NS1_11comp_targetILNS1_3genE0ELNS1_11target_archE4294967295ELNS1_3gpuE0ELNS1_3repE0EEENS1_59segmented_radix_sort_warp_sort_small_config_static_selectorELNS0_4arch9wavefront6targetE0EEEvSL_.has_recursion, 0
	.set _ZN7rocprim17ROCPRIM_400000_NS6detail17trampoline_kernelINS0_14default_configENS1_36segmented_radix_sort_config_selectorI12hip_bfloat16lEEZNS1_25segmented_radix_sort_implIS3_Lb1EPKS5_PS5_PKlPlN2at6native12_GLOBAL__N_18offset_tEEE10hipError_tPvRmT1_PNSt15iterator_traitsISL_E10value_typeET2_T3_PNSM_ISR_E10value_typeET4_jRbjT5_SX_jjP12ihipStream_tbEUlT_E1_NS1_11comp_targetILNS1_3genE0ELNS1_11target_archE4294967295ELNS1_3gpuE0ELNS1_3repE0EEENS1_59segmented_radix_sort_warp_sort_small_config_static_selectorELNS0_4arch9wavefront6targetE0EEEvSL_.has_indirect_call, 0
	.section	.AMDGPU.csdata,"",@progbits
; Kernel info:
; codeLenInByte = 0
; TotalNumSgprs: 0
; NumVgprs: 0
; ScratchSize: 0
; MemoryBound: 0
; FloatMode: 240
; IeeeMode: 1
; LDSByteSize: 0 bytes/workgroup (compile time only)
; SGPRBlocks: 0
; VGPRBlocks: 0
; NumSGPRsForWavesPerEU: 1
; NumVGPRsForWavesPerEU: 1
; Occupancy: 16
; WaveLimiterHint : 0
; COMPUTE_PGM_RSRC2:SCRATCH_EN: 0
; COMPUTE_PGM_RSRC2:USER_SGPR: 2
; COMPUTE_PGM_RSRC2:TRAP_HANDLER: 0
; COMPUTE_PGM_RSRC2:TGID_X_EN: 1
; COMPUTE_PGM_RSRC2:TGID_Y_EN: 0
; COMPUTE_PGM_RSRC2:TGID_Z_EN: 0
; COMPUTE_PGM_RSRC2:TIDIG_COMP_CNT: 0
	.section	.text._ZN7rocprim17ROCPRIM_400000_NS6detail17trampoline_kernelINS0_14default_configENS1_36segmented_radix_sort_config_selectorI12hip_bfloat16lEEZNS1_25segmented_radix_sort_implIS3_Lb1EPKS5_PS5_PKlPlN2at6native12_GLOBAL__N_18offset_tEEE10hipError_tPvRmT1_PNSt15iterator_traitsISL_E10value_typeET2_T3_PNSM_ISR_E10value_typeET4_jRbjT5_SX_jjP12ihipStream_tbEUlT_E1_NS1_11comp_targetILNS1_3genE5ELNS1_11target_archE942ELNS1_3gpuE9ELNS1_3repE0EEENS1_59segmented_radix_sort_warp_sort_small_config_static_selectorELNS0_4arch9wavefront6targetE0EEEvSL_,"axG",@progbits,_ZN7rocprim17ROCPRIM_400000_NS6detail17trampoline_kernelINS0_14default_configENS1_36segmented_radix_sort_config_selectorI12hip_bfloat16lEEZNS1_25segmented_radix_sort_implIS3_Lb1EPKS5_PS5_PKlPlN2at6native12_GLOBAL__N_18offset_tEEE10hipError_tPvRmT1_PNSt15iterator_traitsISL_E10value_typeET2_T3_PNSM_ISR_E10value_typeET4_jRbjT5_SX_jjP12ihipStream_tbEUlT_E1_NS1_11comp_targetILNS1_3genE5ELNS1_11target_archE942ELNS1_3gpuE9ELNS1_3repE0EEENS1_59segmented_radix_sort_warp_sort_small_config_static_selectorELNS0_4arch9wavefront6targetE0EEEvSL_,comdat
	.globl	_ZN7rocprim17ROCPRIM_400000_NS6detail17trampoline_kernelINS0_14default_configENS1_36segmented_radix_sort_config_selectorI12hip_bfloat16lEEZNS1_25segmented_radix_sort_implIS3_Lb1EPKS5_PS5_PKlPlN2at6native12_GLOBAL__N_18offset_tEEE10hipError_tPvRmT1_PNSt15iterator_traitsISL_E10value_typeET2_T3_PNSM_ISR_E10value_typeET4_jRbjT5_SX_jjP12ihipStream_tbEUlT_E1_NS1_11comp_targetILNS1_3genE5ELNS1_11target_archE942ELNS1_3gpuE9ELNS1_3repE0EEENS1_59segmented_radix_sort_warp_sort_small_config_static_selectorELNS0_4arch9wavefront6targetE0EEEvSL_ ; -- Begin function _ZN7rocprim17ROCPRIM_400000_NS6detail17trampoline_kernelINS0_14default_configENS1_36segmented_radix_sort_config_selectorI12hip_bfloat16lEEZNS1_25segmented_radix_sort_implIS3_Lb1EPKS5_PS5_PKlPlN2at6native12_GLOBAL__N_18offset_tEEE10hipError_tPvRmT1_PNSt15iterator_traitsISL_E10value_typeET2_T3_PNSM_ISR_E10value_typeET4_jRbjT5_SX_jjP12ihipStream_tbEUlT_E1_NS1_11comp_targetILNS1_3genE5ELNS1_11target_archE942ELNS1_3gpuE9ELNS1_3repE0EEENS1_59segmented_radix_sort_warp_sort_small_config_static_selectorELNS0_4arch9wavefront6targetE0EEEvSL_
	.p2align	8
	.type	_ZN7rocprim17ROCPRIM_400000_NS6detail17trampoline_kernelINS0_14default_configENS1_36segmented_radix_sort_config_selectorI12hip_bfloat16lEEZNS1_25segmented_radix_sort_implIS3_Lb1EPKS5_PS5_PKlPlN2at6native12_GLOBAL__N_18offset_tEEE10hipError_tPvRmT1_PNSt15iterator_traitsISL_E10value_typeET2_T3_PNSM_ISR_E10value_typeET4_jRbjT5_SX_jjP12ihipStream_tbEUlT_E1_NS1_11comp_targetILNS1_3genE5ELNS1_11target_archE942ELNS1_3gpuE9ELNS1_3repE0EEENS1_59segmented_radix_sort_warp_sort_small_config_static_selectorELNS0_4arch9wavefront6targetE0EEEvSL_,@function
_ZN7rocprim17ROCPRIM_400000_NS6detail17trampoline_kernelINS0_14default_configENS1_36segmented_radix_sort_config_selectorI12hip_bfloat16lEEZNS1_25segmented_radix_sort_implIS3_Lb1EPKS5_PS5_PKlPlN2at6native12_GLOBAL__N_18offset_tEEE10hipError_tPvRmT1_PNSt15iterator_traitsISL_E10value_typeET2_T3_PNSM_ISR_E10value_typeET4_jRbjT5_SX_jjP12ihipStream_tbEUlT_E1_NS1_11comp_targetILNS1_3genE5ELNS1_11target_archE942ELNS1_3gpuE9ELNS1_3repE0EEENS1_59segmented_radix_sort_warp_sort_small_config_static_selectorELNS0_4arch9wavefront6targetE0EEEvSL_: ; @_ZN7rocprim17ROCPRIM_400000_NS6detail17trampoline_kernelINS0_14default_configENS1_36segmented_radix_sort_config_selectorI12hip_bfloat16lEEZNS1_25segmented_radix_sort_implIS3_Lb1EPKS5_PS5_PKlPlN2at6native12_GLOBAL__N_18offset_tEEE10hipError_tPvRmT1_PNSt15iterator_traitsISL_E10value_typeET2_T3_PNSM_ISR_E10value_typeET4_jRbjT5_SX_jjP12ihipStream_tbEUlT_E1_NS1_11comp_targetILNS1_3genE5ELNS1_11target_archE942ELNS1_3gpuE9ELNS1_3repE0EEENS1_59segmented_radix_sort_warp_sort_small_config_static_selectorELNS0_4arch9wavefront6targetE0EEEvSL_
; %bb.0:
	.section	.rodata,"a",@progbits
	.p2align	6, 0x0
	.amdhsa_kernel _ZN7rocprim17ROCPRIM_400000_NS6detail17trampoline_kernelINS0_14default_configENS1_36segmented_radix_sort_config_selectorI12hip_bfloat16lEEZNS1_25segmented_radix_sort_implIS3_Lb1EPKS5_PS5_PKlPlN2at6native12_GLOBAL__N_18offset_tEEE10hipError_tPvRmT1_PNSt15iterator_traitsISL_E10value_typeET2_T3_PNSM_ISR_E10value_typeET4_jRbjT5_SX_jjP12ihipStream_tbEUlT_E1_NS1_11comp_targetILNS1_3genE5ELNS1_11target_archE942ELNS1_3gpuE9ELNS1_3repE0EEENS1_59segmented_radix_sort_warp_sort_small_config_static_selectorELNS0_4arch9wavefront6targetE0EEEvSL_
		.amdhsa_group_segment_fixed_size 0
		.amdhsa_private_segment_fixed_size 0
		.amdhsa_kernarg_size 88
		.amdhsa_user_sgpr_count 2
		.amdhsa_user_sgpr_dispatch_ptr 0
		.amdhsa_user_sgpr_queue_ptr 0
		.amdhsa_user_sgpr_kernarg_segment_ptr 1
		.amdhsa_user_sgpr_dispatch_id 0
		.amdhsa_user_sgpr_private_segment_size 0
		.amdhsa_wavefront_size32 1
		.amdhsa_uses_dynamic_stack 0
		.amdhsa_enable_private_segment 0
		.amdhsa_system_sgpr_workgroup_id_x 1
		.amdhsa_system_sgpr_workgroup_id_y 0
		.amdhsa_system_sgpr_workgroup_id_z 0
		.amdhsa_system_sgpr_workgroup_info 0
		.amdhsa_system_vgpr_workitem_id 0
		.amdhsa_next_free_vgpr 1
		.amdhsa_next_free_sgpr 1
		.amdhsa_reserve_vcc 0
		.amdhsa_float_round_mode_32 0
		.amdhsa_float_round_mode_16_64 0
		.amdhsa_float_denorm_mode_32 3
		.amdhsa_float_denorm_mode_16_64 3
		.amdhsa_fp16_overflow 0
		.amdhsa_workgroup_processor_mode 1
		.amdhsa_memory_ordered 1
		.amdhsa_forward_progress 1
		.amdhsa_inst_pref_size 0
		.amdhsa_round_robin_scheduling 0
		.amdhsa_exception_fp_ieee_invalid_op 0
		.amdhsa_exception_fp_denorm_src 0
		.amdhsa_exception_fp_ieee_div_zero 0
		.amdhsa_exception_fp_ieee_overflow 0
		.amdhsa_exception_fp_ieee_underflow 0
		.amdhsa_exception_fp_ieee_inexact 0
		.amdhsa_exception_int_div_zero 0
	.end_amdhsa_kernel
	.section	.text._ZN7rocprim17ROCPRIM_400000_NS6detail17trampoline_kernelINS0_14default_configENS1_36segmented_radix_sort_config_selectorI12hip_bfloat16lEEZNS1_25segmented_radix_sort_implIS3_Lb1EPKS5_PS5_PKlPlN2at6native12_GLOBAL__N_18offset_tEEE10hipError_tPvRmT1_PNSt15iterator_traitsISL_E10value_typeET2_T3_PNSM_ISR_E10value_typeET4_jRbjT5_SX_jjP12ihipStream_tbEUlT_E1_NS1_11comp_targetILNS1_3genE5ELNS1_11target_archE942ELNS1_3gpuE9ELNS1_3repE0EEENS1_59segmented_radix_sort_warp_sort_small_config_static_selectorELNS0_4arch9wavefront6targetE0EEEvSL_,"axG",@progbits,_ZN7rocprim17ROCPRIM_400000_NS6detail17trampoline_kernelINS0_14default_configENS1_36segmented_radix_sort_config_selectorI12hip_bfloat16lEEZNS1_25segmented_radix_sort_implIS3_Lb1EPKS5_PS5_PKlPlN2at6native12_GLOBAL__N_18offset_tEEE10hipError_tPvRmT1_PNSt15iterator_traitsISL_E10value_typeET2_T3_PNSM_ISR_E10value_typeET4_jRbjT5_SX_jjP12ihipStream_tbEUlT_E1_NS1_11comp_targetILNS1_3genE5ELNS1_11target_archE942ELNS1_3gpuE9ELNS1_3repE0EEENS1_59segmented_radix_sort_warp_sort_small_config_static_selectorELNS0_4arch9wavefront6targetE0EEEvSL_,comdat
.Lfunc_end1967:
	.size	_ZN7rocprim17ROCPRIM_400000_NS6detail17trampoline_kernelINS0_14default_configENS1_36segmented_radix_sort_config_selectorI12hip_bfloat16lEEZNS1_25segmented_radix_sort_implIS3_Lb1EPKS5_PS5_PKlPlN2at6native12_GLOBAL__N_18offset_tEEE10hipError_tPvRmT1_PNSt15iterator_traitsISL_E10value_typeET2_T3_PNSM_ISR_E10value_typeET4_jRbjT5_SX_jjP12ihipStream_tbEUlT_E1_NS1_11comp_targetILNS1_3genE5ELNS1_11target_archE942ELNS1_3gpuE9ELNS1_3repE0EEENS1_59segmented_radix_sort_warp_sort_small_config_static_selectorELNS0_4arch9wavefront6targetE0EEEvSL_, .Lfunc_end1967-_ZN7rocprim17ROCPRIM_400000_NS6detail17trampoline_kernelINS0_14default_configENS1_36segmented_radix_sort_config_selectorI12hip_bfloat16lEEZNS1_25segmented_radix_sort_implIS3_Lb1EPKS5_PS5_PKlPlN2at6native12_GLOBAL__N_18offset_tEEE10hipError_tPvRmT1_PNSt15iterator_traitsISL_E10value_typeET2_T3_PNSM_ISR_E10value_typeET4_jRbjT5_SX_jjP12ihipStream_tbEUlT_E1_NS1_11comp_targetILNS1_3genE5ELNS1_11target_archE942ELNS1_3gpuE9ELNS1_3repE0EEENS1_59segmented_radix_sort_warp_sort_small_config_static_selectorELNS0_4arch9wavefront6targetE0EEEvSL_
                                        ; -- End function
	.set _ZN7rocprim17ROCPRIM_400000_NS6detail17trampoline_kernelINS0_14default_configENS1_36segmented_radix_sort_config_selectorI12hip_bfloat16lEEZNS1_25segmented_radix_sort_implIS3_Lb1EPKS5_PS5_PKlPlN2at6native12_GLOBAL__N_18offset_tEEE10hipError_tPvRmT1_PNSt15iterator_traitsISL_E10value_typeET2_T3_PNSM_ISR_E10value_typeET4_jRbjT5_SX_jjP12ihipStream_tbEUlT_E1_NS1_11comp_targetILNS1_3genE5ELNS1_11target_archE942ELNS1_3gpuE9ELNS1_3repE0EEENS1_59segmented_radix_sort_warp_sort_small_config_static_selectorELNS0_4arch9wavefront6targetE0EEEvSL_.num_vgpr, 0
	.set _ZN7rocprim17ROCPRIM_400000_NS6detail17trampoline_kernelINS0_14default_configENS1_36segmented_radix_sort_config_selectorI12hip_bfloat16lEEZNS1_25segmented_radix_sort_implIS3_Lb1EPKS5_PS5_PKlPlN2at6native12_GLOBAL__N_18offset_tEEE10hipError_tPvRmT1_PNSt15iterator_traitsISL_E10value_typeET2_T3_PNSM_ISR_E10value_typeET4_jRbjT5_SX_jjP12ihipStream_tbEUlT_E1_NS1_11comp_targetILNS1_3genE5ELNS1_11target_archE942ELNS1_3gpuE9ELNS1_3repE0EEENS1_59segmented_radix_sort_warp_sort_small_config_static_selectorELNS0_4arch9wavefront6targetE0EEEvSL_.num_agpr, 0
	.set _ZN7rocprim17ROCPRIM_400000_NS6detail17trampoline_kernelINS0_14default_configENS1_36segmented_radix_sort_config_selectorI12hip_bfloat16lEEZNS1_25segmented_radix_sort_implIS3_Lb1EPKS5_PS5_PKlPlN2at6native12_GLOBAL__N_18offset_tEEE10hipError_tPvRmT1_PNSt15iterator_traitsISL_E10value_typeET2_T3_PNSM_ISR_E10value_typeET4_jRbjT5_SX_jjP12ihipStream_tbEUlT_E1_NS1_11comp_targetILNS1_3genE5ELNS1_11target_archE942ELNS1_3gpuE9ELNS1_3repE0EEENS1_59segmented_radix_sort_warp_sort_small_config_static_selectorELNS0_4arch9wavefront6targetE0EEEvSL_.numbered_sgpr, 0
	.set _ZN7rocprim17ROCPRIM_400000_NS6detail17trampoline_kernelINS0_14default_configENS1_36segmented_radix_sort_config_selectorI12hip_bfloat16lEEZNS1_25segmented_radix_sort_implIS3_Lb1EPKS5_PS5_PKlPlN2at6native12_GLOBAL__N_18offset_tEEE10hipError_tPvRmT1_PNSt15iterator_traitsISL_E10value_typeET2_T3_PNSM_ISR_E10value_typeET4_jRbjT5_SX_jjP12ihipStream_tbEUlT_E1_NS1_11comp_targetILNS1_3genE5ELNS1_11target_archE942ELNS1_3gpuE9ELNS1_3repE0EEENS1_59segmented_radix_sort_warp_sort_small_config_static_selectorELNS0_4arch9wavefront6targetE0EEEvSL_.num_named_barrier, 0
	.set _ZN7rocprim17ROCPRIM_400000_NS6detail17trampoline_kernelINS0_14default_configENS1_36segmented_radix_sort_config_selectorI12hip_bfloat16lEEZNS1_25segmented_radix_sort_implIS3_Lb1EPKS5_PS5_PKlPlN2at6native12_GLOBAL__N_18offset_tEEE10hipError_tPvRmT1_PNSt15iterator_traitsISL_E10value_typeET2_T3_PNSM_ISR_E10value_typeET4_jRbjT5_SX_jjP12ihipStream_tbEUlT_E1_NS1_11comp_targetILNS1_3genE5ELNS1_11target_archE942ELNS1_3gpuE9ELNS1_3repE0EEENS1_59segmented_radix_sort_warp_sort_small_config_static_selectorELNS0_4arch9wavefront6targetE0EEEvSL_.private_seg_size, 0
	.set _ZN7rocprim17ROCPRIM_400000_NS6detail17trampoline_kernelINS0_14default_configENS1_36segmented_radix_sort_config_selectorI12hip_bfloat16lEEZNS1_25segmented_radix_sort_implIS3_Lb1EPKS5_PS5_PKlPlN2at6native12_GLOBAL__N_18offset_tEEE10hipError_tPvRmT1_PNSt15iterator_traitsISL_E10value_typeET2_T3_PNSM_ISR_E10value_typeET4_jRbjT5_SX_jjP12ihipStream_tbEUlT_E1_NS1_11comp_targetILNS1_3genE5ELNS1_11target_archE942ELNS1_3gpuE9ELNS1_3repE0EEENS1_59segmented_radix_sort_warp_sort_small_config_static_selectorELNS0_4arch9wavefront6targetE0EEEvSL_.uses_vcc, 0
	.set _ZN7rocprim17ROCPRIM_400000_NS6detail17trampoline_kernelINS0_14default_configENS1_36segmented_radix_sort_config_selectorI12hip_bfloat16lEEZNS1_25segmented_radix_sort_implIS3_Lb1EPKS5_PS5_PKlPlN2at6native12_GLOBAL__N_18offset_tEEE10hipError_tPvRmT1_PNSt15iterator_traitsISL_E10value_typeET2_T3_PNSM_ISR_E10value_typeET4_jRbjT5_SX_jjP12ihipStream_tbEUlT_E1_NS1_11comp_targetILNS1_3genE5ELNS1_11target_archE942ELNS1_3gpuE9ELNS1_3repE0EEENS1_59segmented_radix_sort_warp_sort_small_config_static_selectorELNS0_4arch9wavefront6targetE0EEEvSL_.uses_flat_scratch, 0
	.set _ZN7rocprim17ROCPRIM_400000_NS6detail17trampoline_kernelINS0_14default_configENS1_36segmented_radix_sort_config_selectorI12hip_bfloat16lEEZNS1_25segmented_radix_sort_implIS3_Lb1EPKS5_PS5_PKlPlN2at6native12_GLOBAL__N_18offset_tEEE10hipError_tPvRmT1_PNSt15iterator_traitsISL_E10value_typeET2_T3_PNSM_ISR_E10value_typeET4_jRbjT5_SX_jjP12ihipStream_tbEUlT_E1_NS1_11comp_targetILNS1_3genE5ELNS1_11target_archE942ELNS1_3gpuE9ELNS1_3repE0EEENS1_59segmented_radix_sort_warp_sort_small_config_static_selectorELNS0_4arch9wavefront6targetE0EEEvSL_.has_dyn_sized_stack, 0
	.set _ZN7rocprim17ROCPRIM_400000_NS6detail17trampoline_kernelINS0_14default_configENS1_36segmented_radix_sort_config_selectorI12hip_bfloat16lEEZNS1_25segmented_radix_sort_implIS3_Lb1EPKS5_PS5_PKlPlN2at6native12_GLOBAL__N_18offset_tEEE10hipError_tPvRmT1_PNSt15iterator_traitsISL_E10value_typeET2_T3_PNSM_ISR_E10value_typeET4_jRbjT5_SX_jjP12ihipStream_tbEUlT_E1_NS1_11comp_targetILNS1_3genE5ELNS1_11target_archE942ELNS1_3gpuE9ELNS1_3repE0EEENS1_59segmented_radix_sort_warp_sort_small_config_static_selectorELNS0_4arch9wavefront6targetE0EEEvSL_.has_recursion, 0
	.set _ZN7rocprim17ROCPRIM_400000_NS6detail17trampoline_kernelINS0_14default_configENS1_36segmented_radix_sort_config_selectorI12hip_bfloat16lEEZNS1_25segmented_radix_sort_implIS3_Lb1EPKS5_PS5_PKlPlN2at6native12_GLOBAL__N_18offset_tEEE10hipError_tPvRmT1_PNSt15iterator_traitsISL_E10value_typeET2_T3_PNSM_ISR_E10value_typeET4_jRbjT5_SX_jjP12ihipStream_tbEUlT_E1_NS1_11comp_targetILNS1_3genE5ELNS1_11target_archE942ELNS1_3gpuE9ELNS1_3repE0EEENS1_59segmented_radix_sort_warp_sort_small_config_static_selectorELNS0_4arch9wavefront6targetE0EEEvSL_.has_indirect_call, 0
	.section	.AMDGPU.csdata,"",@progbits
; Kernel info:
; codeLenInByte = 0
; TotalNumSgprs: 0
; NumVgprs: 0
; ScratchSize: 0
; MemoryBound: 0
; FloatMode: 240
; IeeeMode: 1
; LDSByteSize: 0 bytes/workgroup (compile time only)
; SGPRBlocks: 0
; VGPRBlocks: 0
; NumSGPRsForWavesPerEU: 1
; NumVGPRsForWavesPerEU: 1
; Occupancy: 16
; WaveLimiterHint : 0
; COMPUTE_PGM_RSRC2:SCRATCH_EN: 0
; COMPUTE_PGM_RSRC2:USER_SGPR: 2
; COMPUTE_PGM_RSRC2:TRAP_HANDLER: 0
; COMPUTE_PGM_RSRC2:TGID_X_EN: 1
; COMPUTE_PGM_RSRC2:TGID_Y_EN: 0
; COMPUTE_PGM_RSRC2:TGID_Z_EN: 0
; COMPUTE_PGM_RSRC2:TIDIG_COMP_CNT: 0
	.section	.text._ZN7rocprim17ROCPRIM_400000_NS6detail17trampoline_kernelINS0_14default_configENS1_36segmented_radix_sort_config_selectorI12hip_bfloat16lEEZNS1_25segmented_radix_sort_implIS3_Lb1EPKS5_PS5_PKlPlN2at6native12_GLOBAL__N_18offset_tEEE10hipError_tPvRmT1_PNSt15iterator_traitsISL_E10value_typeET2_T3_PNSM_ISR_E10value_typeET4_jRbjT5_SX_jjP12ihipStream_tbEUlT_E1_NS1_11comp_targetILNS1_3genE4ELNS1_11target_archE910ELNS1_3gpuE8ELNS1_3repE0EEENS1_59segmented_radix_sort_warp_sort_small_config_static_selectorELNS0_4arch9wavefront6targetE0EEEvSL_,"axG",@progbits,_ZN7rocprim17ROCPRIM_400000_NS6detail17trampoline_kernelINS0_14default_configENS1_36segmented_radix_sort_config_selectorI12hip_bfloat16lEEZNS1_25segmented_radix_sort_implIS3_Lb1EPKS5_PS5_PKlPlN2at6native12_GLOBAL__N_18offset_tEEE10hipError_tPvRmT1_PNSt15iterator_traitsISL_E10value_typeET2_T3_PNSM_ISR_E10value_typeET4_jRbjT5_SX_jjP12ihipStream_tbEUlT_E1_NS1_11comp_targetILNS1_3genE4ELNS1_11target_archE910ELNS1_3gpuE8ELNS1_3repE0EEENS1_59segmented_radix_sort_warp_sort_small_config_static_selectorELNS0_4arch9wavefront6targetE0EEEvSL_,comdat
	.globl	_ZN7rocprim17ROCPRIM_400000_NS6detail17trampoline_kernelINS0_14default_configENS1_36segmented_radix_sort_config_selectorI12hip_bfloat16lEEZNS1_25segmented_radix_sort_implIS3_Lb1EPKS5_PS5_PKlPlN2at6native12_GLOBAL__N_18offset_tEEE10hipError_tPvRmT1_PNSt15iterator_traitsISL_E10value_typeET2_T3_PNSM_ISR_E10value_typeET4_jRbjT5_SX_jjP12ihipStream_tbEUlT_E1_NS1_11comp_targetILNS1_3genE4ELNS1_11target_archE910ELNS1_3gpuE8ELNS1_3repE0EEENS1_59segmented_radix_sort_warp_sort_small_config_static_selectorELNS0_4arch9wavefront6targetE0EEEvSL_ ; -- Begin function _ZN7rocprim17ROCPRIM_400000_NS6detail17trampoline_kernelINS0_14default_configENS1_36segmented_radix_sort_config_selectorI12hip_bfloat16lEEZNS1_25segmented_radix_sort_implIS3_Lb1EPKS5_PS5_PKlPlN2at6native12_GLOBAL__N_18offset_tEEE10hipError_tPvRmT1_PNSt15iterator_traitsISL_E10value_typeET2_T3_PNSM_ISR_E10value_typeET4_jRbjT5_SX_jjP12ihipStream_tbEUlT_E1_NS1_11comp_targetILNS1_3genE4ELNS1_11target_archE910ELNS1_3gpuE8ELNS1_3repE0EEENS1_59segmented_radix_sort_warp_sort_small_config_static_selectorELNS0_4arch9wavefront6targetE0EEEvSL_
	.p2align	8
	.type	_ZN7rocprim17ROCPRIM_400000_NS6detail17trampoline_kernelINS0_14default_configENS1_36segmented_radix_sort_config_selectorI12hip_bfloat16lEEZNS1_25segmented_radix_sort_implIS3_Lb1EPKS5_PS5_PKlPlN2at6native12_GLOBAL__N_18offset_tEEE10hipError_tPvRmT1_PNSt15iterator_traitsISL_E10value_typeET2_T3_PNSM_ISR_E10value_typeET4_jRbjT5_SX_jjP12ihipStream_tbEUlT_E1_NS1_11comp_targetILNS1_3genE4ELNS1_11target_archE910ELNS1_3gpuE8ELNS1_3repE0EEENS1_59segmented_radix_sort_warp_sort_small_config_static_selectorELNS0_4arch9wavefront6targetE0EEEvSL_,@function
_ZN7rocprim17ROCPRIM_400000_NS6detail17trampoline_kernelINS0_14default_configENS1_36segmented_radix_sort_config_selectorI12hip_bfloat16lEEZNS1_25segmented_radix_sort_implIS3_Lb1EPKS5_PS5_PKlPlN2at6native12_GLOBAL__N_18offset_tEEE10hipError_tPvRmT1_PNSt15iterator_traitsISL_E10value_typeET2_T3_PNSM_ISR_E10value_typeET4_jRbjT5_SX_jjP12ihipStream_tbEUlT_E1_NS1_11comp_targetILNS1_3genE4ELNS1_11target_archE910ELNS1_3gpuE8ELNS1_3repE0EEENS1_59segmented_radix_sort_warp_sort_small_config_static_selectorELNS0_4arch9wavefront6targetE0EEEvSL_: ; @_ZN7rocprim17ROCPRIM_400000_NS6detail17trampoline_kernelINS0_14default_configENS1_36segmented_radix_sort_config_selectorI12hip_bfloat16lEEZNS1_25segmented_radix_sort_implIS3_Lb1EPKS5_PS5_PKlPlN2at6native12_GLOBAL__N_18offset_tEEE10hipError_tPvRmT1_PNSt15iterator_traitsISL_E10value_typeET2_T3_PNSM_ISR_E10value_typeET4_jRbjT5_SX_jjP12ihipStream_tbEUlT_E1_NS1_11comp_targetILNS1_3genE4ELNS1_11target_archE910ELNS1_3gpuE8ELNS1_3repE0EEENS1_59segmented_radix_sort_warp_sort_small_config_static_selectorELNS0_4arch9wavefront6targetE0EEEvSL_
; %bb.0:
	.section	.rodata,"a",@progbits
	.p2align	6, 0x0
	.amdhsa_kernel _ZN7rocprim17ROCPRIM_400000_NS6detail17trampoline_kernelINS0_14default_configENS1_36segmented_radix_sort_config_selectorI12hip_bfloat16lEEZNS1_25segmented_radix_sort_implIS3_Lb1EPKS5_PS5_PKlPlN2at6native12_GLOBAL__N_18offset_tEEE10hipError_tPvRmT1_PNSt15iterator_traitsISL_E10value_typeET2_T3_PNSM_ISR_E10value_typeET4_jRbjT5_SX_jjP12ihipStream_tbEUlT_E1_NS1_11comp_targetILNS1_3genE4ELNS1_11target_archE910ELNS1_3gpuE8ELNS1_3repE0EEENS1_59segmented_radix_sort_warp_sort_small_config_static_selectorELNS0_4arch9wavefront6targetE0EEEvSL_
		.amdhsa_group_segment_fixed_size 0
		.amdhsa_private_segment_fixed_size 0
		.amdhsa_kernarg_size 88
		.amdhsa_user_sgpr_count 2
		.amdhsa_user_sgpr_dispatch_ptr 0
		.amdhsa_user_sgpr_queue_ptr 0
		.amdhsa_user_sgpr_kernarg_segment_ptr 1
		.amdhsa_user_sgpr_dispatch_id 0
		.amdhsa_user_sgpr_private_segment_size 0
		.amdhsa_wavefront_size32 1
		.amdhsa_uses_dynamic_stack 0
		.amdhsa_enable_private_segment 0
		.amdhsa_system_sgpr_workgroup_id_x 1
		.amdhsa_system_sgpr_workgroup_id_y 0
		.amdhsa_system_sgpr_workgroup_id_z 0
		.amdhsa_system_sgpr_workgroup_info 0
		.amdhsa_system_vgpr_workitem_id 0
		.amdhsa_next_free_vgpr 1
		.amdhsa_next_free_sgpr 1
		.amdhsa_reserve_vcc 0
		.amdhsa_float_round_mode_32 0
		.amdhsa_float_round_mode_16_64 0
		.amdhsa_float_denorm_mode_32 3
		.amdhsa_float_denorm_mode_16_64 3
		.amdhsa_fp16_overflow 0
		.amdhsa_workgroup_processor_mode 1
		.amdhsa_memory_ordered 1
		.amdhsa_forward_progress 1
		.amdhsa_inst_pref_size 0
		.amdhsa_round_robin_scheduling 0
		.amdhsa_exception_fp_ieee_invalid_op 0
		.amdhsa_exception_fp_denorm_src 0
		.amdhsa_exception_fp_ieee_div_zero 0
		.amdhsa_exception_fp_ieee_overflow 0
		.amdhsa_exception_fp_ieee_underflow 0
		.amdhsa_exception_fp_ieee_inexact 0
		.amdhsa_exception_int_div_zero 0
	.end_amdhsa_kernel
	.section	.text._ZN7rocprim17ROCPRIM_400000_NS6detail17trampoline_kernelINS0_14default_configENS1_36segmented_radix_sort_config_selectorI12hip_bfloat16lEEZNS1_25segmented_radix_sort_implIS3_Lb1EPKS5_PS5_PKlPlN2at6native12_GLOBAL__N_18offset_tEEE10hipError_tPvRmT1_PNSt15iterator_traitsISL_E10value_typeET2_T3_PNSM_ISR_E10value_typeET4_jRbjT5_SX_jjP12ihipStream_tbEUlT_E1_NS1_11comp_targetILNS1_3genE4ELNS1_11target_archE910ELNS1_3gpuE8ELNS1_3repE0EEENS1_59segmented_radix_sort_warp_sort_small_config_static_selectorELNS0_4arch9wavefront6targetE0EEEvSL_,"axG",@progbits,_ZN7rocprim17ROCPRIM_400000_NS6detail17trampoline_kernelINS0_14default_configENS1_36segmented_radix_sort_config_selectorI12hip_bfloat16lEEZNS1_25segmented_radix_sort_implIS3_Lb1EPKS5_PS5_PKlPlN2at6native12_GLOBAL__N_18offset_tEEE10hipError_tPvRmT1_PNSt15iterator_traitsISL_E10value_typeET2_T3_PNSM_ISR_E10value_typeET4_jRbjT5_SX_jjP12ihipStream_tbEUlT_E1_NS1_11comp_targetILNS1_3genE4ELNS1_11target_archE910ELNS1_3gpuE8ELNS1_3repE0EEENS1_59segmented_radix_sort_warp_sort_small_config_static_selectorELNS0_4arch9wavefront6targetE0EEEvSL_,comdat
.Lfunc_end1968:
	.size	_ZN7rocprim17ROCPRIM_400000_NS6detail17trampoline_kernelINS0_14default_configENS1_36segmented_radix_sort_config_selectorI12hip_bfloat16lEEZNS1_25segmented_radix_sort_implIS3_Lb1EPKS5_PS5_PKlPlN2at6native12_GLOBAL__N_18offset_tEEE10hipError_tPvRmT1_PNSt15iterator_traitsISL_E10value_typeET2_T3_PNSM_ISR_E10value_typeET4_jRbjT5_SX_jjP12ihipStream_tbEUlT_E1_NS1_11comp_targetILNS1_3genE4ELNS1_11target_archE910ELNS1_3gpuE8ELNS1_3repE0EEENS1_59segmented_radix_sort_warp_sort_small_config_static_selectorELNS0_4arch9wavefront6targetE0EEEvSL_, .Lfunc_end1968-_ZN7rocprim17ROCPRIM_400000_NS6detail17trampoline_kernelINS0_14default_configENS1_36segmented_radix_sort_config_selectorI12hip_bfloat16lEEZNS1_25segmented_radix_sort_implIS3_Lb1EPKS5_PS5_PKlPlN2at6native12_GLOBAL__N_18offset_tEEE10hipError_tPvRmT1_PNSt15iterator_traitsISL_E10value_typeET2_T3_PNSM_ISR_E10value_typeET4_jRbjT5_SX_jjP12ihipStream_tbEUlT_E1_NS1_11comp_targetILNS1_3genE4ELNS1_11target_archE910ELNS1_3gpuE8ELNS1_3repE0EEENS1_59segmented_radix_sort_warp_sort_small_config_static_selectorELNS0_4arch9wavefront6targetE0EEEvSL_
                                        ; -- End function
	.set _ZN7rocprim17ROCPRIM_400000_NS6detail17trampoline_kernelINS0_14default_configENS1_36segmented_radix_sort_config_selectorI12hip_bfloat16lEEZNS1_25segmented_radix_sort_implIS3_Lb1EPKS5_PS5_PKlPlN2at6native12_GLOBAL__N_18offset_tEEE10hipError_tPvRmT1_PNSt15iterator_traitsISL_E10value_typeET2_T3_PNSM_ISR_E10value_typeET4_jRbjT5_SX_jjP12ihipStream_tbEUlT_E1_NS1_11comp_targetILNS1_3genE4ELNS1_11target_archE910ELNS1_3gpuE8ELNS1_3repE0EEENS1_59segmented_radix_sort_warp_sort_small_config_static_selectorELNS0_4arch9wavefront6targetE0EEEvSL_.num_vgpr, 0
	.set _ZN7rocprim17ROCPRIM_400000_NS6detail17trampoline_kernelINS0_14default_configENS1_36segmented_radix_sort_config_selectorI12hip_bfloat16lEEZNS1_25segmented_radix_sort_implIS3_Lb1EPKS5_PS5_PKlPlN2at6native12_GLOBAL__N_18offset_tEEE10hipError_tPvRmT1_PNSt15iterator_traitsISL_E10value_typeET2_T3_PNSM_ISR_E10value_typeET4_jRbjT5_SX_jjP12ihipStream_tbEUlT_E1_NS1_11comp_targetILNS1_3genE4ELNS1_11target_archE910ELNS1_3gpuE8ELNS1_3repE0EEENS1_59segmented_radix_sort_warp_sort_small_config_static_selectorELNS0_4arch9wavefront6targetE0EEEvSL_.num_agpr, 0
	.set _ZN7rocprim17ROCPRIM_400000_NS6detail17trampoline_kernelINS0_14default_configENS1_36segmented_radix_sort_config_selectorI12hip_bfloat16lEEZNS1_25segmented_radix_sort_implIS3_Lb1EPKS5_PS5_PKlPlN2at6native12_GLOBAL__N_18offset_tEEE10hipError_tPvRmT1_PNSt15iterator_traitsISL_E10value_typeET2_T3_PNSM_ISR_E10value_typeET4_jRbjT5_SX_jjP12ihipStream_tbEUlT_E1_NS1_11comp_targetILNS1_3genE4ELNS1_11target_archE910ELNS1_3gpuE8ELNS1_3repE0EEENS1_59segmented_radix_sort_warp_sort_small_config_static_selectorELNS0_4arch9wavefront6targetE0EEEvSL_.numbered_sgpr, 0
	.set _ZN7rocprim17ROCPRIM_400000_NS6detail17trampoline_kernelINS0_14default_configENS1_36segmented_radix_sort_config_selectorI12hip_bfloat16lEEZNS1_25segmented_radix_sort_implIS3_Lb1EPKS5_PS5_PKlPlN2at6native12_GLOBAL__N_18offset_tEEE10hipError_tPvRmT1_PNSt15iterator_traitsISL_E10value_typeET2_T3_PNSM_ISR_E10value_typeET4_jRbjT5_SX_jjP12ihipStream_tbEUlT_E1_NS1_11comp_targetILNS1_3genE4ELNS1_11target_archE910ELNS1_3gpuE8ELNS1_3repE0EEENS1_59segmented_radix_sort_warp_sort_small_config_static_selectorELNS0_4arch9wavefront6targetE0EEEvSL_.num_named_barrier, 0
	.set _ZN7rocprim17ROCPRIM_400000_NS6detail17trampoline_kernelINS0_14default_configENS1_36segmented_radix_sort_config_selectorI12hip_bfloat16lEEZNS1_25segmented_radix_sort_implIS3_Lb1EPKS5_PS5_PKlPlN2at6native12_GLOBAL__N_18offset_tEEE10hipError_tPvRmT1_PNSt15iterator_traitsISL_E10value_typeET2_T3_PNSM_ISR_E10value_typeET4_jRbjT5_SX_jjP12ihipStream_tbEUlT_E1_NS1_11comp_targetILNS1_3genE4ELNS1_11target_archE910ELNS1_3gpuE8ELNS1_3repE0EEENS1_59segmented_radix_sort_warp_sort_small_config_static_selectorELNS0_4arch9wavefront6targetE0EEEvSL_.private_seg_size, 0
	.set _ZN7rocprim17ROCPRIM_400000_NS6detail17trampoline_kernelINS0_14default_configENS1_36segmented_radix_sort_config_selectorI12hip_bfloat16lEEZNS1_25segmented_radix_sort_implIS3_Lb1EPKS5_PS5_PKlPlN2at6native12_GLOBAL__N_18offset_tEEE10hipError_tPvRmT1_PNSt15iterator_traitsISL_E10value_typeET2_T3_PNSM_ISR_E10value_typeET4_jRbjT5_SX_jjP12ihipStream_tbEUlT_E1_NS1_11comp_targetILNS1_3genE4ELNS1_11target_archE910ELNS1_3gpuE8ELNS1_3repE0EEENS1_59segmented_radix_sort_warp_sort_small_config_static_selectorELNS0_4arch9wavefront6targetE0EEEvSL_.uses_vcc, 0
	.set _ZN7rocprim17ROCPRIM_400000_NS6detail17trampoline_kernelINS0_14default_configENS1_36segmented_radix_sort_config_selectorI12hip_bfloat16lEEZNS1_25segmented_radix_sort_implIS3_Lb1EPKS5_PS5_PKlPlN2at6native12_GLOBAL__N_18offset_tEEE10hipError_tPvRmT1_PNSt15iterator_traitsISL_E10value_typeET2_T3_PNSM_ISR_E10value_typeET4_jRbjT5_SX_jjP12ihipStream_tbEUlT_E1_NS1_11comp_targetILNS1_3genE4ELNS1_11target_archE910ELNS1_3gpuE8ELNS1_3repE0EEENS1_59segmented_radix_sort_warp_sort_small_config_static_selectorELNS0_4arch9wavefront6targetE0EEEvSL_.uses_flat_scratch, 0
	.set _ZN7rocprim17ROCPRIM_400000_NS6detail17trampoline_kernelINS0_14default_configENS1_36segmented_radix_sort_config_selectorI12hip_bfloat16lEEZNS1_25segmented_radix_sort_implIS3_Lb1EPKS5_PS5_PKlPlN2at6native12_GLOBAL__N_18offset_tEEE10hipError_tPvRmT1_PNSt15iterator_traitsISL_E10value_typeET2_T3_PNSM_ISR_E10value_typeET4_jRbjT5_SX_jjP12ihipStream_tbEUlT_E1_NS1_11comp_targetILNS1_3genE4ELNS1_11target_archE910ELNS1_3gpuE8ELNS1_3repE0EEENS1_59segmented_radix_sort_warp_sort_small_config_static_selectorELNS0_4arch9wavefront6targetE0EEEvSL_.has_dyn_sized_stack, 0
	.set _ZN7rocprim17ROCPRIM_400000_NS6detail17trampoline_kernelINS0_14default_configENS1_36segmented_radix_sort_config_selectorI12hip_bfloat16lEEZNS1_25segmented_radix_sort_implIS3_Lb1EPKS5_PS5_PKlPlN2at6native12_GLOBAL__N_18offset_tEEE10hipError_tPvRmT1_PNSt15iterator_traitsISL_E10value_typeET2_T3_PNSM_ISR_E10value_typeET4_jRbjT5_SX_jjP12ihipStream_tbEUlT_E1_NS1_11comp_targetILNS1_3genE4ELNS1_11target_archE910ELNS1_3gpuE8ELNS1_3repE0EEENS1_59segmented_radix_sort_warp_sort_small_config_static_selectorELNS0_4arch9wavefront6targetE0EEEvSL_.has_recursion, 0
	.set _ZN7rocprim17ROCPRIM_400000_NS6detail17trampoline_kernelINS0_14default_configENS1_36segmented_radix_sort_config_selectorI12hip_bfloat16lEEZNS1_25segmented_radix_sort_implIS3_Lb1EPKS5_PS5_PKlPlN2at6native12_GLOBAL__N_18offset_tEEE10hipError_tPvRmT1_PNSt15iterator_traitsISL_E10value_typeET2_T3_PNSM_ISR_E10value_typeET4_jRbjT5_SX_jjP12ihipStream_tbEUlT_E1_NS1_11comp_targetILNS1_3genE4ELNS1_11target_archE910ELNS1_3gpuE8ELNS1_3repE0EEENS1_59segmented_radix_sort_warp_sort_small_config_static_selectorELNS0_4arch9wavefront6targetE0EEEvSL_.has_indirect_call, 0
	.section	.AMDGPU.csdata,"",@progbits
; Kernel info:
; codeLenInByte = 0
; TotalNumSgprs: 0
; NumVgprs: 0
; ScratchSize: 0
; MemoryBound: 0
; FloatMode: 240
; IeeeMode: 1
; LDSByteSize: 0 bytes/workgroup (compile time only)
; SGPRBlocks: 0
; VGPRBlocks: 0
; NumSGPRsForWavesPerEU: 1
; NumVGPRsForWavesPerEU: 1
; Occupancy: 16
; WaveLimiterHint : 0
; COMPUTE_PGM_RSRC2:SCRATCH_EN: 0
; COMPUTE_PGM_RSRC2:USER_SGPR: 2
; COMPUTE_PGM_RSRC2:TRAP_HANDLER: 0
; COMPUTE_PGM_RSRC2:TGID_X_EN: 1
; COMPUTE_PGM_RSRC2:TGID_Y_EN: 0
; COMPUTE_PGM_RSRC2:TGID_Z_EN: 0
; COMPUTE_PGM_RSRC2:TIDIG_COMP_CNT: 0
	.section	.text._ZN7rocprim17ROCPRIM_400000_NS6detail17trampoline_kernelINS0_14default_configENS1_36segmented_radix_sort_config_selectorI12hip_bfloat16lEEZNS1_25segmented_radix_sort_implIS3_Lb1EPKS5_PS5_PKlPlN2at6native12_GLOBAL__N_18offset_tEEE10hipError_tPvRmT1_PNSt15iterator_traitsISL_E10value_typeET2_T3_PNSM_ISR_E10value_typeET4_jRbjT5_SX_jjP12ihipStream_tbEUlT_E1_NS1_11comp_targetILNS1_3genE3ELNS1_11target_archE908ELNS1_3gpuE7ELNS1_3repE0EEENS1_59segmented_radix_sort_warp_sort_small_config_static_selectorELNS0_4arch9wavefront6targetE0EEEvSL_,"axG",@progbits,_ZN7rocprim17ROCPRIM_400000_NS6detail17trampoline_kernelINS0_14default_configENS1_36segmented_radix_sort_config_selectorI12hip_bfloat16lEEZNS1_25segmented_radix_sort_implIS3_Lb1EPKS5_PS5_PKlPlN2at6native12_GLOBAL__N_18offset_tEEE10hipError_tPvRmT1_PNSt15iterator_traitsISL_E10value_typeET2_T3_PNSM_ISR_E10value_typeET4_jRbjT5_SX_jjP12ihipStream_tbEUlT_E1_NS1_11comp_targetILNS1_3genE3ELNS1_11target_archE908ELNS1_3gpuE7ELNS1_3repE0EEENS1_59segmented_radix_sort_warp_sort_small_config_static_selectorELNS0_4arch9wavefront6targetE0EEEvSL_,comdat
	.globl	_ZN7rocprim17ROCPRIM_400000_NS6detail17trampoline_kernelINS0_14default_configENS1_36segmented_radix_sort_config_selectorI12hip_bfloat16lEEZNS1_25segmented_radix_sort_implIS3_Lb1EPKS5_PS5_PKlPlN2at6native12_GLOBAL__N_18offset_tEEE10hipError_tPvRmT1_PNSt15iterator_traitsISL_E10value_typeET2_T3_PNSM_ISR_E10value_typeET4_jRbjT5_SX_jjP12ihipStream_tbEUlT_E1_NS1_11comp_targetILNS1_3genE3ELNS1_11target_archE908ELNS1_3gpuE7ELNS1_3repE0EEENS1_59segmented_radix_sort_warp_sort_small_config_static_selectorELNS0_4arch9wavefront6targetE0EEEvSL_ ; -- Begin function _ZN7rocprim17ROCPRIM_400000_NS6detail17trampoline_kernelINS0_14default_configENS1_36segmented_radix_sort_config_selectorI12hip_bfloat16lEEZNS1_25segmented_radix_sort_implIS3_Lb1EPKS5_PS5_PKlPlN2at6native12_GLOBAL__N_18offset_tEEE10hipError_tPvRmT1_PNSt15iterator_traitsISL_E10value_typeET2_T3_PNSM_ISR_E10value_typeET4_jRbjT5_SX_jjP12ihipStream_tbEUlT_E1_NS1_11comp_targetILNS1_3genE3ELNS1_11target_archE908ELNS1_3gpuE7ELNS1_3repE0EEENS1_59segmented_radix_sort_warp_sort_small_config_static_selectorELNS0_4arch9wavefront6targetE0EEEvSL_
	.p2align	8
	.type	_ZN7rocprim17ROCPRIM_400000_NS6detail17trampoline_kernelINS0_14default_configENS1_36segmented_radix_sort_config_selectorI12hip_bfloat16lEEZNS1_25segmented_radix_sort_implIS3_Lb1EPKS5_PS5_PKlPlN2at6native12_GLOBAL__N_18offset_tEEE10hipError_tPvRmT1_PNSt15iterator_traitsISL_E10value_typeET2_T3_PNSM_ISR_E10value_typeET4_jRbjT5_SX_jjP12ihipStream_tbEUlT_E1_NS1_11comp_targetILNS1_3genE3ELNS1_11target_archE908ELNS1_3gpuE7ELNS1_3repE0EEENS1_59segmented_radix_sort_warp_sort_small_config_static_selectorELNS0_4arch9wavefront6targetE0EEEvSL_,@function
_ZN7rocprim17ROCPRIM_400000_NS6detail17trampoline_kernelINS0_14default_configENS1_36segmented_radix_sort_config_selectorI12hip_bfloat16lEEZNS1_25segmented_radix_sort_implIS3_Lb1EPKS5_PS5_PKlPlN2at6native12_GLOBAL__N_18offset_tEEE10hipError_tPvRmT1_PNSt15iterator_traitsISL_E10value_typeET2_T3_PNSM_ISR_E10value_typeET4_jRbjT5_SX_jjP12ihipStream_tbEUlT_E1_NS1_11comp_targetILNS1_3genE3ELNS1_11target_archE908ELNS1_3gpuE7ELNS1_3repE0EEENS1_59segmented_radix_sort_warp_sort_small_config_static_selectorELNS0_4arch9wavefront6targetE0EEEvSL_: ; @_ZN7rocprim17ROCPRIM_400000_NS6detail17trampoline_kernelINS0_14default_configENS1_36segmented_radix_sort_config_selectorI12hip_bfloat16lEEZNS1_25segmented_radix_sort_implIS3_Lb1EPKS5_PS5_PKlPlN2at6native12_GLOBAL__N_18offset_tEEE10hipError_tPvRmT1_PNSt15iterator_traitsISL_E10value_typeET2_T3_PNSM_ISR_E10value_typeET4_jRbjT5_SX_jjP12ihipStream_tbEUlT_E1_NS1_11comp_targetILNS1_3genE3ELNS1_11target_archE908ELNS1_3gpuE7ELNS1_3repE0EEENS1_59segmented_radix_sort_warp_sort_small_config_static_selectorELNS0_4arch9wavefront6targetE0EEEvSL_
; %bb.0:
	.section	.rodata,"a",@progbits
	.p2align	6, 0x0
	.amdhsa_kernel _ZN7rocprim17ROCPRIM_400000_NS6detail17trampoline_kernelINS0_14default_configENS1_36segmented_radix_sort_config_selectorI12hip_bfloat16lEEZNS1_25segmented_radix_sort_implIS3_Lb1EPKS5_PS5_PKlPlN2at6native12_GLOBAL__N_18offset_tEEE10hipError_tPvRmT1_PNSt15iterator_traitsISL_E10value_typeET2_T3_PNSM_ISR_E10value_typeET4_jRbjT5_SX_jjP12ihipStream_tbEUlT_E1_NS1_11comp_targetILNS1_3genE3ELNS1_11target_archE908ELNS1_3gpuE7ELNS1_3repE0EEENS1_59segmented_radix_sort_warp_sort_small_config_static_selectorELNS0_4arch9wavefront6targetE0EEEvSL_
		.amdhsa_group_segment_fixed_size 0
		.amdhsa_private_segment_fixed_size 0
		.amdhsa_kernarg_size 88
		.amdhsa_user_sgpr_count 2
		.amdhsa_user_sgpr_dispatch_ptr 0
		.amdhsa_user_sgpr_queue_ptr 0
		.amdhsa_user_sgpr_kernarg_segment_ptr 1
		.amdhsa_user_sgpr_dispatch_id 0
		.amdhsa_user_sgpr_private_segment_size 0
		.amdhsa_wavefront_size32 1
		.amdhsa_uses_dynamic_stack 0
		.amdhsa_enable_private_segment 0
		.amdhsa_system_sgpr_workgroup_id_x 1
		.amdhsa_system_sgpr_workgroup_id_y 0
		.amdhsa_system_sgpr_workgroup_id_z 0
		.amdhsa_system_sgpr_workgroup_info 0
		.amdhsa_system_vgpr_workitem_id 0
		.amdhsa_next_free_vgpr 1
		.amdhsa_next_free_sgpr 1
		.amdhsa_reserve_vcc 0
		.amdhsa_float_round_mode_32 0
		.amdhsa_float_round_mode_16_64 0
		.amdhsa_float_denorm_mode_32 3
		.amdhsa_float_denorm_mode_16_64 3
		.amdhsa_fp16_overflow 0
		.amdhsa_workgroup_processor_mode 1
		.amdhsa_memory_ordered 1
		.amdhsa_forward_progress 1
		.amdhsa_inst_pref_size 0
		.amdhsa_round_robin_scheduling 0
		.amdhsa_exception_fp_ieee_invalid_op 0
		.amdhsa_exception_fp_denorm_src 0
		.amdhsa_exception_fp_ieee_div_zero 0
		.amdhsa_exception_fp_ieee_overflow 0
		.amdhsa_exception_fp_ieee_underflow 0
		.amdhsa_exception_fp_ieee_inexact 0
		.amdhsa_exception_int_div_zero 0
	.end_amdhsa_kernel
	.section	.text._ZN7rocprim17ROCPRIM_400000_NS6detail17trampoline_kernelINS0_14default_configENS1_36segmented_radix_sort_config_selectorI12hip_bfloat16lEEZNS1_25segmented_radix_sort_implIS3_Lb1EPKS5_PS5_PKlPlN2at6native12_GLOBAL__N_18offset_tEEE10hipError_tPvRmT1_PNSt15iterator_traitsISL_E10value_typeET2_T3_PNSM_ISR_E10value_typeET4_jRbjT5_SX_jjP12ihipStream_tbEUlT_E1_NS1_11comp_targetILNS1_3genE3ELNS1_11target_archE908ELNS1_3gpuE7ELNS1_3repE0EEENS1_59segmented_radix_sort_warp_sort_small_config_static_selectorELNS0_4arch9wavefront6targetE0EEEvSL_,"axG",@progbits,_ZN7rocprim17ROCPRIM_400000_NS6detail17trampoline_kernelINS0_14default_configENS1_36segmented_radix_sort_config_selectorI12hip_bfloat16lEEZNS1_25segmented_radix_sort_implIS3_Lb1EPKS5_PS5_PKlPlN2at6native12_GLOBAL__N_18offset_tEEE10hipError_tPvRmT1_PNSt15iterator_traitsISL_E10value_typeET2_T3_PNSM_ISR_E10value_typeET4_jRbjT5_SX_jjP12ihipStream_tbEUlT_E1_NS1_11comp_targetILNS1_3genE3ELNS1_11target_archE908ELNS1_3gpuE7ELNS1_3repE0EEENS1_59segmented_radix_sort_warp_sort_small_config_static_selectorELNS0_4arch9wavefront6targetE0EEEvSL_,comdat
.Lfunc_end1969:
	.size	_ZN7rocprim17ROCPRIM_400000_NS6detail17trampoline_kernelINS0_14default_configENS1_36segmented_radix_sort_config_selectorI12hip_bfloat16lEEZNS1_25segmented_radix_sort_implIS3_Lb1EPKS5_PS5_PKlPlN2at6native12_GLOBAL__N_18offset_tEEE10hipError_tPvRmT1_PNSt15iterator_traitsISL_E10value_typeET2_T3_PNSM_ISR_E10value_typeET4_jRbjT5_SX_jjP12ihipStream_tbEUlT_E1_NS1_11comp_targetILNS1_3genE3ELNS1_11target_archE908ELNS1_3gpuE7ELNS1_3repE0EEENS1_59segmented_radix_sort_warp_sort_small_config_static_selectorELNS0_4arch9wavefront6targetE0EEEvSL_, .Lfunc_end1969-_ZN7rocprim17ROCPRIM_400000_NS6detail17trampoline_kernelINS0_14default_configENS1_36segmented_radix_sort_config_selectorI12hip_bfloat16lEEZNS1_25segmented_radix_sort_implIS3_Lb1EPKS5_PS5_PKlPlN2at6native12_GLOBAL__N_18offset_tEEE10hipError_tPvRmT1_PNSt15iterator_traitsISL_E10value_typeET2_T3_PNSM_ISR_E10value_typeET4_jRbjT5_SX_jjP12ihipStream_tbEUlT_E1_NS1_11comp_targetILNS1_3genE3ELNS1_11target_archE908ELNS1_3gpuE7ELNS1_3repE0EEENS1_59segmented_radix_sort_warp_sort_small_config_static_selectorELNS0_4arch9wavefront6targetE0EEEvSL_
                                        ; -- End function
	.set _ZN7rocprim17ROCPRIM_400000_NS6detail17trampoline_kernelINS0_14default_configENS1_36segmented_radix_sort_config_selectorI12hip_bfloat16lEEZNS1_25segmented_radix_sort_implIS3_Lb1EPKS5_PS5_PKlPlN2at6native12_GLOBAL__N_18offset_tEEE10hipError_tPvRmT1_PNSt15iterator_traitsISL_E10value_typeET2_T3_PNSM_ISR_E10value_typeET4_jRbjT5_SX_jjP12ihipStream_tbEUlT_E1_NS1_11comp_targetILNS1_3genE3ELNS1_11target_archE908ELNS1_3gpuE7ELNS1_3repE0EEENS1_59segmented_radix_sort_warp_sort_small_config_static_selectorELNS0_4arch9wavefront6targetE0EEEvSL_.num_vgpr, 0
	.set _ZN7rocprim17ROCPRIM_400000_NS6detail17trampoline_kernelINS0_14default_configENS1_36segmented_radix_sort_config_selectorI12hip_bfloat16lEEZNS1_25segmented_radix_sort_implIS3_Lb1EPKS5_PS5_PKlPlN2at6native12_GLOBAL__N_18offset_tEEE10hipError_tPvRmT1_PNSt15iterator_traitsISL_E10value_typeET2_T3_PNSM_ISR_E10value_typeET4_jRbjT5_SX_jjP12ihipStream_tbEUlT_E1_NS1_11comp_targetILNS1_3genE3ELNS1_11target_archE908ELNS1_3gpuE7ELNS1_3repE0EEENS1_59segmented_radix_sort_warp_sort_small_config_static_selectorELNS0_4arch9wavefront6targetE0EEEvSL_.num_agpr, 0
	.set _ZN7rocprim17ROCPRIM_400000_NS6detail17trampoline_kernelINS0_14default_configENS1_36segmented_radix_sort_config_selectorI12hip_bfloat16lEEZNS1_25segmented_radix_sort_implIS3_Lb1EPKS5_PS5_PKlPlN2at6native12_GLOBAL__N_18offset_tEEE10hipError_tPvRmT1_PNSt15iterator_traitsISL_E10value_typeET2_T3_PNSM_ISR_E10value_typeET4_jRbjT5_SX_jjP12ihipStream_tbEUlT_E1_NS1_11comp_targetILNS1_3genE3ELNS1_11target_archE908ELNS1_3gpuE7ELNS1_3repE0EEENS1_59segmented_radix_sort_warp_sort_small_config_static_selectorELNS0_4arch9wavefront6targetE0EEEvSL_.numbered_sgpr, 0
	.set _ZN7rocprim17ROCPRIM_400000_NS6detail17trampoline_kernelINS0_14default_configENS1_36segmented_radix_sort_config_selectorI12hip_bfloat16lEEZNS1_25segmented_radix_sort_implIS3_Lb1EPKS5_PS5_PKlPlN2at6native12_GLOBAL__N_18offset_tEEE10hipError_tPvRmT1_PNSt15iterator_traitsISL_E10value_typeET2_T3_PNSM_ISR_E10value_typeET4_jRbjT5_SX_jjP12ihipStream_tbEUlT_E1_NS1_11comp_targetILNS1_3genE3ELNS1_11target_archE908ELNS1_3gpuE7ELNS1_3repE0EEENS1_59segmented_radix_sort_warp_sort_small_config_static_selectorELNS0_4arch9wavefront6targetE0EEEvSL_.num_named_barrier, 0
	.set _ZN7rocprim17ROCPRIM_400000_NS6detail17trampoline_kernelINS0_14default_configENS1_36segmented_radix_sort_config_selectorI12hip_bfloat16lEEZNS1_25segmented_radix_sort_implIS3_Lb1EPKS5_PS5_PKlPlN2at6native12_GLOBAL__N_18offset_tEEE10hipError_tPvRmT1_PNSt15iterator_traitsISL_E10value_typeET2_T3_PNSM_ISR_E10value_typeET4_jRbjT5_SX_jjP12ihipStream_tbEUlT_E1_NS1_11comp_targetILNS1_3genE3ELNS1_11target_archE908ELNS1_3gpuE7ELNS1_3repE0EEENS1_59segmented_radix_sort_warp_sort_small_config_static_selectorELNS0_4arch9wavefront6targetE0EEEvSL_.private_seg_size, 0
	.set _ZN7rocprim17ROCPRIM_400000_NS6detail17trampoline_kernelINS0_14default_configENS1_36segmented_radix_sort_config_selectorI12hip_bfloat16lEEZNS1_25segmented_radix_sort_implIS3_Lb1EPKS5_PS5_PKlPlN2at6native12_GLOBAL__N_18offset_tEEE10hipError_tPvRmT1_PNSt15iterator_traitsISL_E10value_typeET2_T3_PNSM_ISR_E10value_typeET4_jRbjT5_SX_jjP12ihipStream_tbEUlT_E1_NS1_11comp_targetILNS1_3genE3ELNS1_11target_archE908ELNS1_3gpuE7ELNS1_3repE0EEENS1_59segmented_radix_sort_warp_sort_small_config_static_selectorELNS0_4arch9wavefront6targetE0EEEvSL_.uses_vcc, 0
	.set _ZN7rocprim17ROCPRIM_400000_NS6detail17trampoline_kernelINS0_14default_configENS1_36segmented_radix_sort_config_selectorI12hip_bfloat16lEEZNS1_25segmented_radix_sort_implIS3_Lb1EPKS5_PS5_PKlPlN2at6native12_GLOBAL__N_18offset_tEEE10hipError_tPvRmT1_PNSt15iterator_traitsISL_E10value_typeET2_T3_PNSM_ISR_E10value_typeET4_jRbjT5_SX_jjP12ihipStream_tbEUlT_E1_NS1_11comp_targetILNS1_3genE3ELNS1_11target_archE908ELNS1_3gpuE7ELNS1_3repE0EEENS1_59segmented_radix_sort_warp_sort_small_config_static_selectorELNS0_4arch9wavefront6targetE0EEEvSL_.uses_flat_scratch, 0
	.set _ZN7rocprim17ROCPRIM_400000_NS6detail17trampoline_kernelINS0_14default_configENS1_36segmented_radix_sort_config_selectorI12hip_bfloat16lEEZNS1_25segmented_radix_sort_implIS3_Lb1EPKS5_PS5_PKlPlN2at6native12_GLOBAL__N_18offset_tEEE10hipError_tPvRmT1_PNSt15iterator_traitsISL_E10value_typeET2_T3_PNSM_ISR_E10value_typeET4_jRbjT5_SX_jjP12ihipStream_tbEUlT_E1_NS1_11comp_targetILNS1_3genE3ELNS1_11target_archE908ELNS1_3gpuE7ELNS1_3repE0EEENS1_59segmented_radix_sort_warp_sort_small_config_static_selectorELNS0_4arch9wavefront6targetE0EEEvSL_.has_dyn_sized_stack, 0
	.set _ZN7rocprim17ROCPRIM_400000_NS6detail17trampoline_kernelINS0_14default_configENS1_36segmented_radix_sort_config_selectorI12hip_bfloat16lEEZNS1_25segmented_radix_sort_implIS3_Lb1EPKS5_PS5_PKlPlN2at6native12_GLOBAL__N_18offset_tEEE10hipError_tPvRmT1_PNSt15iterator_traitsISL_E10value_typeET2_T3_PNSM_ISR_E10value_typeET4_jRbjT5_SX_jjP12ihipStream_tbEUlT_E1_NS1_11comp_targetILNS1_3genE3ELNS1_11target_archE908ELNS1_3gpuE7ELNS1_3repE0EEENS1_59segmented_radix_sort_warp_sort_small_config_static_selectorELNS0_4arch9wavefront6targetE0EEEvSL_.has_recursion, 0
	.set _ZN7rocprim17ROCPRIM_400000_NS6detail17trampoline_kernelINS0_14default_configENS1_36segmented_radix_sort_config_selectorI12hip_bfloat16lEEZNS1_25segmented_radix_sort_implIS3_Lb1EPKS5_PS5_PKlPlN2at6native12_GLOBAL__N_18offset_tEEE10hipError_tPvRmT1_PNSt15iterator_traitsISL_E10value_typeET2_T3_PNSM_ISR_E10value_typeET4_jRbjT5_SX_jjP12ihipStream_tbEUlT_E1_NS1_11comp_targetILNS1_3genE3ELNS1_11target_archE908ELNS1_3gpuE7ELNS1_3repE0EEENS1_59segmented_radix_sort_warp_sort_small_config_static_selectorELNS0_4arch9wavefront6targetE0EEEvSL_.has_indirect_call, 0
	.section	.AMDGPU.csdata,"",@progbits
; Kernel info:
; codeLenInByte = 0
; TotalNumSgprs: 0
; NumVgprs: 0
; ScratchSize: 0
; MemoryBound: 0
; FloatMode: 240
; IeeeMode: 1
; LDSByteSize: 0 bytes/workgroup (compile time only)
; SGPRBlocks: 0
; VGPRBlocks: 0
; NumSGPRsForWavesPerEU: 1
; NumVGPRsForWavesPerEU: 1
; Occupancy: 16
; WaveLimiterHint : 0
; COMPUTE_PGM_RSRC2:SCRATCH_EN: 0
; COMPUTE_PGM_RSRC2:USER_SGPR: 2
; COMPUTE_PGM_RSRC2:TRAP_HANDLER: 0
; COMPUTE_PGM_RSRC2:TGID_X_EN: 1
; COMPUTE_PGM_RSRC2:TGID_Y_EN: 0
; COMPUTE_PGM_RSRC2:TGID_Z_EN: 0
; COMPUTE_PGM_RSRC2:TIDIG_COMP_CNT: 0
	.section	.text._ZN7rocprim17ROCPRIM_400000_NS6detail17trampoline_kernelINS0_14default_configENS1_36segmented_radix_sort_config_selectorI12hip_bfloat16lEEZNS1_25segmented_radix_sort_implIS3_Lb1EPKS5_PS5_PKlPlN2at6native12_GLOBAL__N_18offset_tEEE10hipError_tPvRmT1_PNSt15iterator_traitsISL_E10value_typeET2_T3_PNSM_ISR_E10value_typeET4_jRbjT5_SX_jjP12ihipStream_tbEUlT_E1_NS1_11comp_targetILNS1_3genE2ELNS1_11target_archE906ELNS1_3gpuE6ELNS1_3repE0EEENS1_59segmented_radix_sort_warp_sort_small_config_static_selectorELNS0_4arch9wavefront6targetE0EEEvSL_,"axG",@progbits,_ZN7rocprim17ROCPRIM_400000_NS6detail17trampoline_kernelINS0_14default_configENS1_36segmented_radix_sort_config_selectorI12hip_bfloat16lEEZNS1_25segmented_radix_sort_implIS3_Lb1EPKS5_PS5_PKlPlN2at6native12_GLOBAL__N_18offset_tEEE10hipError_tPvRmT1_PNSt15iterator_traitsISL_E10value_typeET2_T3_PNSM_ISR_E10value_typeET4_jRbjT5_SX_jjP12ihipStream_tbEUlT_E1_NS1_11comp_targetILNS1_3genE2ELNS1_11target_archE906ELNS1_3gpuE6ELNS1_3repE0EEENS1_59segmented_radix_sort_warp_sort_small_config_static_selectorELNS0_4arch9wavefront6targetE0EEEvSL_,comdat
	.globl	_ZN7rocprim17ROCPRIM_400000_NS6detail17trampoline_kernelINS0_14default_configENS1_36segmented_radix_sort_config_selectorI12hip_bfloat16lEEZNS1_25segmented_radix_sort_implIS3_Lb1EPKS5_PS5_PKlPlN2at6native12_GLOBAL__N_18offset_tEEE10hipError_tPvRmT1_PNSt15iterator_traitsISL_E10value_typeET2_T3_PNSM_ISR_E10value_typeET4_jRbjT5_SX_jjP12ihipStream_tbEUlT_E1_NS1_11comp_targetILNS1_3genE2ELNS1_11target_archE906ELNS1_3gpuE6ELNS1_3repE0EEENS1_59segmented_radix_sort_warp_sort_small_config_static_selectorELNS0_4arch9wavefront6targetE0EEEvSL_ ; -- Begin function _ZN7rocprim17ROCPRIM_400000_NS6detail17trampoline_kernelINS0_14default_configENS1_36segmented_radix_sort_config_selectorI12hip_bfloat16lEEZNS1_25segmented_radix_sort_implIS3_Lb1EPKS5_PS5_PKlPlN2at6native12_GLOBAL__N_18offset_tEEE10hipError_tPvRmT1_PNSt15iterator_traitsISL_E10value_typeET2_T3_PNSM_ISR_E10value_typeET4_jRbjT5_SX_jjP12ihipStream_tbEUlT_E1_NS1_11comp_targetILNS1_3genE2ELNS1_11target_archE906ELNS1_3gpuE6ELNS1_3repE0EEENS1_59segmented_radix_sort_warp_sort_small_config_static_selectorELNS0_4arch9wavefront6targetE0EEEvSL_
	.p2align	8
	.type	_ZN7rocprim17ROCPRIM_400000_NS6detail17trampoline_kernelINS0_14default_configENS1_36segmented_radix_sort_config_selectorI12hip_bfloat16lEEZNS1_25segmented_radix_sort_implIS3_Lb1EPKS5_PS5_PKlPlN2at6native12_GLOBAL__N_18offset_tEEE10hipError_tPvRmT1_PNSt15iterator_traitsISL_E10value_typeET2_T3_PNSM_ISR_E10value_typeET4_jRbjT5_SX_jjP12ihipStream_tbEUlT_E1_NS1_11comp_targetILNS1_3genE2ELNS1_11target_archE906ELNS1_3gpuE6ELNS1_3repE0EEENS1_59segmented_radix_sort_warp_sort_small_config_static_selectorELNS0_4arch9wavefront6targetE0EEEvSL_,@function
_ZN7rocprim17ROCPRIM_400000_NS6detail17trampoline_kernelINS0_14default_configENS1_36segmented_radix_sort_config_selectorI12hip_bfloat16lEEZNS1_25segmented_radix_sort_implIS3_Lb1EPKS5_PS5_PKlPlN2at6native12_GLOBAL__N_18offset_tEEE10hipError_tPvRmT1_PNSt15iterator_traitsISL_E10value_typeET2_T3_PNSM_ISR_E10value_typeET4_jRbjT5_SX_jjP12ihipStream_tbEUlT_E1_NS1_11comp_targetILNS1_3genE2ELNS1_11target_archE906ELNS1_3gpuE6ELNS1_3repE0EEENS1_59segmented_radix_sort_warp_sort_small_config_static_selectorELNS0_4arch9wavefront6targetE0EEEvSL_: ; @_ZN7rocprim17ROCPRIM_400000_NS6detail17trampoline_kernelINS0_14default_configENS1_36segmented_radix_sort_config_selectorI12hip_bfloat16lEEZNS1_25segmented_radix_sort_implIS3_Lb1EPKS5_PS5_PKlPlN2at6native12_GLOBAL__N_18offset_tEEE10hipError_tPvRmT1_PNSt15iterator_traitsISL_E10value_typeET2_T3_PNSM_ISR_E10value_typeET4_jRbjT5_SX_jjP12ihipStream_tbEUlT_E1_NS1_11comp_targetILNS1_3genE2ELNS1_11target_archE906ELNS1_3gpuE6ELNS1_3repE0EEENS1_59segmented_radix_sort_warp_sort_small_config_static_selectorELNS0_4arch9wavefront6targetE0EEEvSL_
; %bb.0:
	.section	.rodata,"a",@progbits
	.p2align	6, 0x0
	.amdhsa_kernel _ZN7rocprim17ROCPRIM_400000_NS6detail17trampoline_kernelINS0_14default_configENS1_36segmented_radix_sort_config_selectorI12hip_bfloat16lEEZNS1_25segmented_radix_sort_implIS3_Lb1EPKS5_PS5_PKlPlN2at6native12_GLOBAL__N_18offset_tEEE10hipError_tPvRmT1_PNSt15iterator_traitsISL_E10value_typeET2_T3_PNSM_ISR_E10value_typeET4_jRbjT5_SX_jjP12ihipStream_tbEUlT_E1_NS1_11comp_targetILNS1_3genE2ELNS1_11target_archE906ELNS1_3gpuE6ELNS1_3repE0EEENS1_59segmented_radix_sort_warp_sort_small_config_static_selectorELNS0_4arch9wavefront6targetE0EEEvSL_
		.amdhsa_group_segment_fixed_size 0
		.amdhsa_private_segment_fixed_size 0
		.amdhsa_kernarg_size 88
		.amdhsa_user_sgpr_count 2
		.amdhsa_user_sgpr_dispatch_ptr 0
		.amdhsa_user_sgpr_queue_ptr 0
		.amdhsa_user_sgpr_kernarg_segment_ptr 1
		.amdhsa_user_sgpr_dispatch_id 0
		.amdhsa_user_sgpr_private_segment_size 0
		.amdhsa_wavefront_size32 1
		.amdhsa_uses_dynamic_stack 0
		.amdhsa_enable_private_segment 0
		.amdhsa_system_sgpr_workgroup_id_x 1
		.amdhsa_system_sgpr_workgroup_id_y 0
		.amdhsa_system_sgpr_workgroup_id_z 0
		.amdhsa_system_sgpr_workgroup_info 0
		.amdhsa_system_vgpr_workitem_id 0
		.amdhsa_next_free_vgpr 1
		.amdhsa_next_free_sgpr 1
		.amdhsa_reserve_vcc 0
		.amdhsa_float_round_mode_32 0
		.amdhsa_float_round_mode_16_64 0
		.amdhsa_float_denorm_mode_32 3
		.amdhsa_float_denorm_mode_16_64 3
		.amdhsa_fp16_overflow 0
		.amdhsa_workgroup_processor_mode 1
		.amdhsa_memory_ordered 1
		.amdhsa_forward_progress 1
		.amdhsa_inst_pref_size 0
		.amdhsa_round_robin_scheduling 0
		.amdhsa_exception_fp_ieee_invalid_op 0
		.amdhsa_exception_fp_denorm_src 0
		.amdhsa_exception_fp_ieee_div_zero 0
		.amdhsa_exception_fp_ieee_overflow 0
		.amdhsa_exception_fp_ieee_underflow 0
		.amdhsa_exception_fp_ieee_inexact 0
		.amdhsa_exception_int_div_zero 0
	.end_amdhsa_kernel
	.section	.text._ZN7rocprim17ROCPRIM_400000_NS6detail17trampoline_kernelINS0_14default_configENS1_36segmented_radix_sort_config_selectorI12hip_bfloat16lEEZNS1_25segmented_radix_sort_implIS3_Lb1EPKS5_PS5_PKlPlN2at6native12_GLOBAL__N_18offset_tEEE10hipError_tPvRmT1_PNSt15iterator_traitsISL_E10value_typeET2_T3_PNSM_ISR_E10value_typeET4_jRbjT5_SX_jjP12ihipStream_tbEUlT_E1_NS1_11comp_targetILNS1_3genE2ELNS1_11target_archE906ELNS1_3gpuE6ELNS1_3repE0EEENS1_59segmented_radix_sort_warp_sort_small_config_static_selectorELNS0_4arch9wavefront6targetE0EEEvSL_,"axG",@progbits,_ZN7rocprim17ROCPRIM_400000_NS6detail17trampoline_kernelINS0_14default_configENS1_36segmented_radix_sort_config_selectorI12hip_bfloat16lEEZNS1_25segmented_radix_sort_implIS3_Lb1EPKS5_PS5_PKlPlN2at6native12_GLOBAL__N_18offset_tEEE10hipError_tPvRmT1_PNSt15iterator_traitsISL_E10value_typeET2_T3_PNSM_ISR_E10value_typeET4_jRbjT5_SX_jjP12ihipStream_tbEUlT_E1_NS1_11comp_targetILNS1_3genE2ELNS1_11target_archE906ELNS1_3gpuE6ELNS1_3repE0EEENS1_59segmented_radix_sort_warp_sort_small_config_static_selectorELNS0_4arch9wavefront6targetE0EEEvSL_,comdat
.Lfunc_end1970:
	.size	_ZN7rocprim17ROCPRIM_400000_NS6detail17trampoline_kernelINS0_14default_configENS1_36segmented_radix_sort_config_selectorI12hip_bfloat16lEEZNS1_25segmented_radix_sort_implIS3_Lb1EPKS5_PS5_PKlPlN2at6native12_GLOBAL__N_18offset_tEEE10hipError_tPvRmT1_PNSt15iterator_traitsISL_E10value_typeET2_T3_PNSM_ISR_E10value_typeET4_jRbjT5_SX_jjP12ihipStream_tbEUlT_E1_NS1_11comp_targetILNS1_3genE2ELNS1_11target_archE906ELNS1_3gpuE6ELNS1_3repE0EEENS1_59segmented_radix_sort_warp_sort_small_config_static_selectorELNS0_4arch9wavefront6targetE0EEEvSL_, .Lfunc_end1970-_ZN7rocprim17ROCPRIM_400000_NS6detail17trampoline_kernelINS0_14default_configENS1_36segmented_radix_sort_config_selectorI12hip_bfloat16lEEZNS1_25segmented_radix_sort_implIS3_Lb1EPKS5_PS5_PKlPlN2at6native12_GLOBAL__N_18offset_tEEE10hipError_tPvRmT1_PNSt15iterator_traitsISL_E10value_typeET2_T3_PNSM_ISR_E10value_typeET4_jRbjT5_SX_jjP12ihipStream_tbEUlT_E1_NS1_11comp_targetILNS1_3genE2ELNS1_11target_archE906ELNS1_3gpuE6ELNS1_3repE0EEENS1_59segmented_radix_sort_warp_sort_small_config_static_selectorELNS0_4arch9wavefront6targetE0EEEvSL_
                                        ; -- End function
	.set _ZN7rocprim17ROCPRIM_400000_NS6detail17trampoline_kernelINS0_14default_configENS1_36segmented_radix_sort_config_selectorI12hip_bfloat16lEEZNS1_25segmented_radix_sort_implIS3_Lb1EPKS5_PS5_PKlPlN2at6native12_GLOBAL__N_18offset_tEEE10hipError_tPvRmT1_PNSt15iterator_traitsISL_E10value_typeET2_T3_PNSM_ISR_E10value_typeET4_jRbjT5_SX_jjP12ihipStream_tbEUlT_E1_NS1_11comp_targetILNS1_3genE2ELNS1_11target_archE906ELNS1_3gpuE6ELNS1_3repE0EEENS1_59segmented_radix_sort_warp_sort_small_config_static_selectorELNS0_4arch9wavefront6targetE0EEEvSL_.num_vgpr, 0
	.set _ZN7rocprim17ROCPRIM_400000_NS6detail17trampoline_kernelINS0_14default_configENS1_36segmented_radix_sort_config_selectorI12hip_bfloat16lEEZNS1_25segmented_radix_sort_implIS3_Lb1EPKS5_PS5_PKlPlN2at6native12_GLOBAL__N_18offset_tEEE10hipError_tPvRmT1_PNSt15iterator_traitsISL_E10value_typeET2_T3_PNSM_ISR_E10value_typeET4_jRbjT5_SX_jjP12ihipStream_tbEUlT_E1_NS1_11comp_targetILNS1_3genE2ELNS1_11target_archE906ELNS1_3gpuE6ELNS1_3repE0EEENS1_59segmented_radix_sort_warp_sort_small_config_static_selectorELNS0_4arch9wavefront6targetE0EEEvSL_.num_agpr, 0
	.set _ZN7rocprim17ROCPRIM_400000_NS6detail17trampoline_kernelINS0_14default_configENS1_36segmented_radix_sort_config_selectorI12hip_bfloat16lEEZNS1_25segmented_radix_sort_implIS3_Lb1EPKS5_PS5_PKlPlN2at6native12_GLOBAL__N_18offset_tEEE10hipError_tPvRmT1_PNSt15iterator_traitsISL_E10value_typeET2_T3_PNSM_ISR_E10value_typeET4_jRbjT5_SX_jjP12ihipStream_tbEUlT_E1_NS1_11comp_targetILNS1_3genE2ELNS1_11target_archE906ELNS1_3gpuE6ELNS1_3repE0EEENS1_59segmented_radix_sort_warp_sort_small_config_static_selectorELNS0_4arch9wavefront6targetE0EEEvSL_.numbered_sgpr, 0
	.set _ZN7rocprim17ROCPRIM_400000_NS6detail17trampoline_kernelINS0_14default_configENS1_36segmented_radix_sort_config_selectorI12hip_bfloat16lEEZNS1_25segmented_radix_sort_implIS3_Lb1EPKS5_PS5_PKlPlN2at6native12_GLOBAL__N_18offset_tEEE10hipError_tPvRmT1_PNSt15iterator_traitsISL_E10value_typeET2_T3_PNSM_ISR_E10value_typeET4_jRbjT5_SX_jjP12ihipStream_tbEUlT_E1_NS1_11comp_targetILNS1_3genE2ELNS1_11target_archE906ELNS1_3gpuE6ELNS1_3repE0EEENS1_59segmented_radix_sort_warp_sort_small_config_static_selectorELNS0_4arch9wavefront6targetE0EEEvSL_.num_named_barrier, 0
	.set _ZN7rocprim17ROCPRIM_400000_NS6detail17trampoline_kernelINS0_14default_configENS1_36segmented_radix_sort_config_selectorI12hip_bfloat16lEEZNS1_25segmented_radix_sort_implIS3_Lb1EPKS5_PS5_PKlPlN2at6native12_GLOBAL__N_18offset_tEEE10hipError_tPvRmT1_PNSt15iterator_traitsISL_E10value_typeET2_T3_PNSM_ISR_E10value_typeET4_jRbjT5_SX_jjP12ihipStream_tbEUlT_E1_NS1_11comp_targetILNS1_3genE2ELNS1_11target_archE906ELNS1_3gpuE6ELNS1_3repE0EEENS1_59segmented_radix_sort_warp_sort_small_config_static_selectorELNS0_4arch9wavefront6targetE0EEEvSL_.private_seg_size, 0
	.set _ZN7rocprim17ROCPRIM_400000_NS6detail17trampoline_kernelINS0_14default_configENS1_36segmented_radix_sort_config_selectorI12hip_bfloat16lEEZNS1_25segmented_radix_sort_implIS3_Lb1EPKS5_PS5_PKlPlN2at6native12_GLOBAL__N_18offset_tEEE10hipError_tPvRmT1_PNSt15iterator_traitsISL_E10value_typeET2_T3_PNSM_ISR_E10value_typeET4_jRbjT5_SX_jjP12ihipStream_tbEUlT_E1_NS1_11comp_targetILNS1_3genE2ELNS1_11target_archE906ELNS1_3gpuE6ELNS1_3repE0EEENS1_59segmented_radix_sort_warp_sort_small_config_static_selectorELNS0_4arch9wavefront6targetE0EEEvSL_.uses_vcc, 0
	.set _ZN7rocprim17ROCPRIM_400000_NS6detail17trampoline_kernelINS0_14default_configENS1_36segmented_radix_sort_config_selectorI12hip_bfloat16lEEZNS1_25segmented_radix_sort_implIS3_Lb1EPKS5_PS5_PKlPlN2at6native12_GLOBAL__N_18offset_tEEE10hipError_tPvRmT1_PNSt15iterator_traitsISL_E10value_typeET2_T3_PNSM_ISR_E10value_typeET4_jRbjT5_SX_jjP12ihipStream_tbEUlT_E1_NS1_11comp_targetILNS1_3genE2ELNS1_11target_archE906ELNS1_3gpuE6ELNS1_3repE0EEENS1_59segmented_radix_sort_warp_sort_small_config_static_selectorELNS0_4arch9wavefront6targetE0EEEvSL_.uses_flat_scratch, 0
	.set _ZN7rocprim17ROCPRIM_400000_NS6detail17trampoline_kernelINS0_14default_configENS1_36segmented_radix_sort_config_selectorI12hip_bfloat16lEEZNS1_25segmented_radix_sort_implIS3_Lb1EPKS5_PS5_PKlPlN2at6native12_GLOBAL__N_18offset_tEEE10hipError_tPvRmT1_PNSt15iterator_traitsISL_E10value_typeET2_T3_PNSM_ISR_E10value_typeET4_jRbjT5_SX_jjP12ihipStream_tbEUlT_E1_NS1_11comp_targetILNS1_3genE2ELNS1_11target_archE906ELNS1_3gpuE6ELNS1_3repE0EEENS1_59segmented_radix_sort_warp_sort_small_config_static_selectorELNS0_4arch9wavefront6targetE0EEEvSL_.has_dyn_sized_stack, 0
	.set _ZN7rocprim17ROCPRIM_400000_NS6detail17trampoline_kernelINS0_14default_configENS1_36segmented_radix_sort_config_selectorI12hip_bfloat16lEEZNS1_25segmented_radix_sort_implIS3_Lb1EPKS5_PS5_PKlPlN2at6native12_GLOBAL__N_18offset_tEEE10hipError_tPvRmT1_PNSt15iterator_traitsISL_E10value_typeET2_T3_PNSM_ISR_E10value_typeET4_jRbjT5_SX_jjP12ihipStream_tbEUlT_E1_NS1_11comp_targetILNS1_3genE2ELNS1_11target_archE906ELNS1_3gpuE6ELNS1_3repE0EEENS1_59segmented_radix_sort_warp_sort_small_config_static_selectorELNS0_4arch9wavefront6targetE0EEEvSL_.has_recursion, 0
	.set _ZN7rocprim17ROCPRIM_400000_NS6detail17trampoline_kernelINS0_14default_configENS1_36segmented_radix_sort_config_selectorI12hip_bfloat16lEEZNS1_25segmented_radix_sort_implIS3_Lb1EPKS5_PS5_PKlPlN2at6native12_GLOBAL__N_18offset_tEEE10hipError_tPvRmT1_PNSt15iterator_traitsISL_E10value_typeET2_T3_PNSM_ISR_E10value_typeET4_jRbjT5_SX_jjP12ihipStream_tbEUlT_E1_NS1_11comp_targetILNS1_3genE2ELNS1_11target_archE906ELNS1_3gpuE6ELNS1_3repE0EEENS1_59segmented_radix_sort_warp_sort_small_config_static_selectorELNS0_4arch9wavefront6targetE0EEEvSL_.has_indirect_call, 0
	.section	.AMDGPU.csdata,"",@progbits
; Kernel info:
; codeLenInByte = 0
; TotalNumSgprs: 0
; NumVgprs: 0
; ScratchSize: 0
; MemoryBound: 0
; FloatMode: 240
; IeeeMode: 1
; LDSByteSize: 0 bytes/workgroup (compile time only)
; SGPRBlocks: 0
; VGPRBlocks: 0
; NumSGPRsForWavesPerEU: 1
; NumVGPRsForWavesPerEU: 1
; Occupancy: 16
; WaveLimiterHint : 0
; COMPUTE_PGM_RSRC2:SCRATCH_EN: 0
; COMPUTE_PGM_RSRC2:USER_SGPR: 2
; COMPUTE_PGM_RSRC2:TRAP_HANDLER: 0
; COMPUTE_PGM_RSRC2:TGID_X_EN: 1
; COMPUTE_PGM_RSRC2:TGID_Y_EN: 0
; COMPUTE_PGM_RSRC2:TGID_Z_EN: 0
; COMPUTE_PGM_RSRC2:TIDIG_COMP_CNT: 0
	.text
	.p2align	2                               ; -- Begin function _ZN7rocprim17ROCPRIM_400000_NS6detail26segmented_warp_sort_helperINS1_20WarpSortHelperConfigILj8ELj4ELj256EEE12hip_bfloat16lLi256ELb1EvE4sortIPKS5_PS5_PKlPlEEvT_T0_T1_T2_jjjjRNS6_12storage_typeE
	.type	_ZN7rocprim17ROCPRIM_400000_NS6detail26segmented_warp_sort_helperINS1_20WarpSortHelperConfigILj8ELj4ELj256EEE12hip_bfloat16lLi256ELb1EvE4sortIPKS5_PS5_PKlPlEEvT_T0_T1_T2_jjjjRNS6_12storage_typeE,@function
_ZN7rocprim17ROCPRIM_400000_NS6detail26segmented_warp_sort_helperINS1_20WarpSortHelperConfigILj8ELj4ELj256EEE12hip_bfloat16lLi256ELb1EvE4sortIPKS5_PS5_PKlPlEEvT_T0_T1_T2_jjjjRNS6_12storage_typeE: ; @_ZN7rocprim17ROCPRIM_400000_NS6detail26segmented_warp_sort_helperINS1_20WarpSortHelperConfigILj8ELj4ELj256EEE12hip_bfloat16lLi256ELb1EvE4sortIPKS5_PS5_PKlPlEEvT_T0_T1_T2_jjjjRNS6_12storage_typeE
; %bb.0:
	s_wait_loadcnt_dscnt 0x0
	s_wait_expcnt 0x0
	s_wait_samplecnt 0x0
	s_wait_bvhcnt 0x0
	s_wait_kmcnt 0x0
	v_mov_b32_e32 v12, v9
	v_mbcnt_lo_u32_b32 v9, -1, 0
	v_dual_mov_b32 v37, -1 :: v_dual_mov_b32 v36, -1
	s_delay_alu instid0(VALU_DEP_2) | instskip(NEXT) | instid1(VALU_DEP_4)
	v_dual_mov_b32 v9, 0 :: v_dual_lshlrev_b32 v34, 2, v9
	v_sub_nc_u32_e32 v12, v12, v8
	s_delay_alu instid0(VALU_DEP_2) | instskip(NEXT) | instid1(VALU_DEP_3)
	v_and_b32_e32 v33, 28, v34
	v_lshlrev_b64_e32 v[28:29], 1, v[8:9]
	s_delay_alu instid0(VALU_DEP_2) | instskip(NEXT) | instid1(VALU_DEP_2)
	v_lshlrev_b32_e32 v30, 1, v33
	v_add_co_u32 v0, vcc_lo, v0, v28
	s_wait_alu 0xfffd
	s_delay_alu instid0(VALU_DEP_3) | instskip(NEXT) | instid1(VALU_DEP_2)
	v_add_co_ci_u32_e64 v1, null, v1, v29, vcc_lo
	v_add_co_u32 v0, vcc_lo, v0, v30
	s_wait_alu 0xfffd
	s_delay_alu instid0(VALU_DEP_2)
	v_add_co_ci_u32_e64 v1, null, 0, v1, vcc_lo
	v_cmp_lt_u32_e32 vcc_lo, v33, v12
	s_and_saveexec_b32 s0, vcc_lo
	s_cbranch_execz .LBB1971_2
; %bb.1:
	flat_load_u16 v37, v[0:1]
.LBB1971_2:
	s_wait_alu 0xfffe
	s_or_b32 exec_lo, exec_lo, s0
	v_or_b32_e32 v13, 1, v33
	s_delay_alu instid0(VALU_DEP_1)
	v_cmp_lt_u32_e64 s0, v13, v12
	s_and_saveexec_b32 s1, s0
	s_cbranch_execz .LBB1971_4
; %bb.3:
	flat_load_u16 v36, v[0:1] offset:2
.LBB1971_4:
	s_wait_alu 0xfffe
	s_or_b32 exec_lo, exec_lo, s1
	v_or_b32_e32 v13, 2, v33
	v_dual_mov_b32 v35, -1 :: v_dual_mov_b32 v38, -1
	s_delay_alu instid0(VALU_DEP_2)
	v_cmp_lt_u32_e64 s1, v13, v12
	s_and_saveexec_b32 s2, s1
	s_cbranch_execz .LBB1971_6
; %bb.5:
	flat_load_u16 v38, v[0:1] offset:4
.LBB1971_6:
	s_wait_alu 0xfffe
	s_or_b32 exec_lo, exec_lo, s2
	v_or_b32_e32 v13, 3, v33
	s_delay_alu instid0(VALU_DEP_1)
	v_cmp_lt_u32_e64 s2, v13, v12
	s_and_saveexec_b32 s3, s2
	s_cbranch_execz .LBB1971_8
; %bb.7:
	flat_load_u16 v35, v[0:1] offset:6
.LBB1971_8:
	s_wait_alu 0xfffe
	s_or_b32 exec_lo, exec_lo, s3
	v_lshlrev_b64_e32 v[0:1], 3, v[8:9]
	v_mov_b32_e32 v12, 0
	v_lshlrev_b32_e32 v32, 3, v33
	; wave barrier
	s_delay_alu instid0(VALU_DEP_2) | instskip(NEXT) | instid1(VALU_DEP_4)
	v_mov_b32_e32 v13, v12
	v_add_co_u32 v4, s3, v4, v0
	s_wait_alu 0xf1ff
	v_add_co_ci_u32_e64 v5, null, v5, v1, s3
	v_dual_mov_b32 v14, v12 :: v_dual_mov_b32 v15, v12
	s_delay_alu instid0(VALU_DEP_3) | instskip(SKIP_1) | instid1(VALU_DEP_3)
	v_add_co_u32 v4, s3, v4, v32
	s_wait_alu 0xf1ff
	v_add_co_ci_u32_e64 v5, null, 0, v5, s3
	v_dual_mov_b32 v16, v12 :: v_dual_mov_b32 v17, v12
	v_dual_mov_b32 v18, v12 :: v_dual_mov_b32 v19, v12
	s_and_saveexec_b32 s3, vcc_lo
	s_cbranch_execnz .LBB1971_82
; %bb.9:
	s_wait_alu 0xfffe
	s_or_b32 exec_lo, exec_lo, s3
	s_and_saveexec_b32 s3, s0
	s_cbranch_execnz .LBB1971_83
.LBB1971_10:
	s_wait_alu 0xfffe
	s_or_b32 exec_lo, exec_lo, s3
	s_and_saveexec_b32 s3, s1
	s_cbranch_execnz .LBB1971_84
.LBB1971_11:
	s_wait_alu 0xfffe
	s_or_b32 exec_lo, exec_lo, s3
	s_and_saveexec_b32 s3, s2
	s_cbranch_execz .LBB1971_13
.LBB1971_12:
	flat_load_b64 v[18:19], v[4:5] offset:24
.LBB1971_13:
	s_wait_alu 0xfffe
	s_or_b32 exec_lo, exec_lo, s3
	; wave barrier
	s_load_b64 s[4:5], s[8:9], 0x0
	s_and_b32 s3, ttmp7, 0xffff
	s_mov_b32 s7, 0
	v_bfe_u32 v4, v31, 10, 10
	v_bfe_u32 v5, v31, 20, 10
	s_wait_kmcnt 0x0
	s_wait_alu 0xfffe
	s_cmp_lt_u32 s3, s5
	s_cselect_b32 s6, 14, 20
	s_cmp_lt_u32 ttmp9, s4
	s_wait_alu 0xfffe
	s_add_nc_u64 s[10:11], s[8:9], s[6:7]
	s_cselect_b32 s6, 12, 18
	s_load_u16 s3, s[10:11], 0x0
	s_add_nc_u64 s[4:5], s[8:9], s[6:7]
	s_load_u16 s4, s[4:5], 0x0
	s_mov_b32 s5, exec_lo
	s_wait_kmcnt 0x0
	v_mad_u32_u24 v4, v5, s3, v4
	v_and_b32_e32 v5, 0x3ff, v31
	s_delay_alu instid0(VALU_DEP_2) | instskip(NEXT) | instid1(VALU_DEP_1)
	v_mul_lo_u32 v4, v4, s4
	v_add_lshl_u32 v4, v4, v5, 2
	s_delay_alu instid0(VALU_DEP_1)
	v_cmpx_gt_u32_e32 0x400, v4
	s_cbranch_execz .LBB1971_71
; %bb.14:
	s_wait_loadcnt_dscnt 0x0
	v_lshlrev_b32_e32 v5, 16, v36
	s_delay_alu instid0(VALU_DEP_1) | instskip(NEXT) | instid1(VALU_DEP_1)
	v_add_f32_e32 v8, 0, v5
	v_and_b32_e32 v5, 0x7f800000, v8
	s_delay_alu instid0(VALU_DEP_1)
	v_cmp_ne_u32_e64 s3, 0x7f800000, v5
                                        ; implicit-def: $vgpr5
	s_and_saveexec_b32 s4, s3
	s_wait_alu 0xfffe
	s_xor_b32 s3, exec_lo, s4
; %bb.15:
	v_bfe_u32 v5, v8, 16, 1
	s_delay_alu instid0(VALU_DEP_1)
	v_add3_u32 v5, v8, v5, 0x7fff
                                        ; implicit-def: $vgpr8
; %bb.16:
	s_wait_alu 0xfffe
	s_and_not1_saveexec_b32 s4, s3
; %bb.17:
	v_and_b32_e32 v5, 0xffff, v8
	v_or_b32_e32 v9, 0x10000, v8
	s_delay_alu instid0(VALU_DEP_2) | instskip(SKIP_1) | instid1(VALU_DEP_1)
	v_cmp_eq_u32_e64 s3, 0, v5
	s_wait_alu 0xf1ff
	v_cndmask_b32_e64 v5, v9, v8, s3
; %bb.18:
	s_wait_alu 0xfffe
	s_or_b32 exec_lo, exec_lo, s4
	v_lshlrev_b32_e32 v8, 16, v37
                                        ; implicit-def: $vgpr20
	s_delay_alu instid0(VALU_DEP_1) | instskip(NEXT) | instid1(VALU_DEP_1)
	v_add_f32_e32 v8, 0, v8
	v_and_b32_e32 v9, 0x7f800000, v8
	s_delay_alu instid0(VALU_DEP_1)
	v_cmp_ne_u32_e64 s3, 0x7f800000, v9
	s_and_saveexec_b32 s4, s3
	s_wait_alu 0xfffe
	s_xor_b32 s3, exec_lo, s4
; %bb.19:
	v_bfe_u32 v9, v8, 16, 1
	s_delay_alu instid0(VALU_DEP_1)
	v_add3_u32 v20, v8, v9, 0x7fff
                                        ; implicit-def: $vgpr8
; %bb.20:
	s_wait_alu 0xfffe
	s_and_not1_saveexec_b32 s4, s3
; %bb.21:
	v_and_b32_e32 v9, 0xffff, v8
	v_or_b32_e32 v20, 0x10000, v8
	s_delay_alu instid0(VALU_DEP_2) | instskip(SKIP_1) | instid1(VALU_DEP_1)
	v_cmp_eq_u32_e64 s3, 0, v9
	s_wait_alu 0xf1ff
	v_cndmask_b32_e64 v20, v20, v8, s3
; %bb.22:
	s_wait_alu 0xfffe
	s_or_b32 exec_lo, exec_lo, s4
	v_lshlrev_b32_e32 v8, 16, v35
                                        ; implicit-def: $vgpr21
	s_delay_alu instid0(VALU_DEP_1) | instskip(NEXT) | instid1(VALU_DEP_1)
	v_add_f32_e32 v8, 0, v8
	v_and_b32_e32 v9, 0x7f800000, v8
	s_delay_alu instid0(VALU_DEP_1)
	v_cmp_ne_u32_e64 s3, 0x7f800000, v9
	s_and_saveexec_b32 s4, s3
	s_wait_alu 0xfffe
	s_xor_b32 s3, exec_lo, s4
; %bb.23:
	v_bfe_u32 v9, v8, 16, 1
	s_delay_alu instid0(VALU_DEP_1)
	v_add3_u32 v21, v8, v9, 0x7fff
; %bb.24:
	s_wait_alu 0xfffe
	s_and_not1_saveexec_b32 s4, s3
; %bb.25:
	v_and_b32_e32 v9, 0xffff, v8
	v_or_b32_e32 v21, 0x10000, v8
	s_delay_alu instid0(VALU_DEP_2) | instskip(SKIP_1) | instid1(VALU_DEP_1)
	v_cmp_eq_u32_e64 s3, 0, v9
	s_wait_alu 0xf1ff
	v_cndmask_b32_e64 v21, v21, v8, s3
; %bb.26:
	s_wait_alu 0xfffe
	s_or_b32 exec_lo, exec_lo, s4
	v_lshlrev_b32_e32 v9, 16, v38
	s_delay_alu instid0(VALU_DEP_1) | instskip(NEXT) | instid1(VALU_DEP_1)
	v_add_f32_e32 v9, 0, v9
	v_and_b32_e32 v22, 0x7f800000, v9
	s_delay_alu instid0(VALU_DEP_1)
	v_cmp_ne_u32_e64 s3, 0x7f800000, v22
                                        ; implicit-def: $vgpr22
	s_and_saveexec_b32 s4, s3
	s_wait_alu 0xfffe
	s_xor_b32 s3, exec_lo, s4
; %bb.27:
	v_bfe_u32 v22, v9, 16, 1
	s_delay_alu instid0(VALU_DEP_1)
	v_add3_u32 v22, v9, v22, 0x7fff
; %bb.28:
	s_wait_alu 0xfffe
	s_and_not1_saveexec_b32 s4, s3
; %bb.29:
	v_and_b32_e32 v22, 0xffff, v9
	v_or_b32_e32 v23, 0x10000, v9
	s_delay_alu instid0(VALU_DEP_2) | instskip(SKIP_1) | instid1(VALU_DEP_1)
	v_cmp_eq_u32_e64 s3, 0, v22
	s_wait_alu 0xf1ff
	v_cndmask_b32_e64 v22, v23, v9, s3
; %bb.30:
	s_wait_alu 0xfffe
	s_or_b32 exec_lo, exec_lo, s4
	v_cmp_lt_i32_e64 s3, -1, v5
	v_perm_b32 v23, v20, v5, 0x7060302
	v_dual_mov_b32 v27, v19 :: v_dual_mov_b32 v26, v18
	s_wait_alu 0xf1ff
	s_delay_alu instid0(VALU_DEP_3) | instskip(SKIP_2) | instid1(VALU_DEP_1)
	v_cndmask_b32_e64 v5, -1, 0xffff8000, s3
	v_cmp_lt_i32_e64 s3, -1, v20
	s_wait_alu 0xf1ff
	v_cndmask_b32_e64 v20, -1, 0xffff8000, s3
	v_cmp_lt_i32_e64 s3, -1, v21
	s_delay_alu instid0(VALU_DEP_2) | instskip(SKIP_1) | instid1(VALU_DEP_2)
	v_perm_b32 v5, v20, v5, 0x5040100
	s_wait_alu 0xf1ff
	v_cndmask_b32_e64 v24, -1, 0xffff8000, s3
	v_cmp_lt_i32_e64 s3, -1, v22
	v_perm_b32 v20, v22, v21, 0x7060302
	v_xor_b32_e32 v5, v5, v23
	s_wait_alu 0xf1ff
	s_delay_alu instid0(VALU_DEP_3) | instskip(NEXT) | instid1(VALU_DEP_1)
	v_cndmask_b32_e64 v25, -1, 0xffff8000, s3
	v_perm_b32 v21, v25, v24, 0x5040100
	v_dual_mov_b32 v25, v17 :: v_dual_mov_b32 v24, v16
	s_delay_alu instid0(VALU_DEP_2) | instskip(SKIP_1) | instid1(VALU_DEP_2)
	v_xor_b32_e32 v20, v21, v20
	v_lshrrev_b32_e32 v21, 16, v5
	v_lshrrev_b32_e32 v22, 16, v20
	s_delay_alu instid0(VALU_DEP_2) | instskip(SKIP_1) | instid1(VALU_DEP_3)
	v_cmp_gt_u16_e64 s3, v5, v21
	v_mov_b32_e32 v5, v38
	v_cmp_gt_u16_e64 s4, v20, v22
	s_wait_alu 0xf1ff
	s_delay_alu instid0(VALU_DEP_3)
	v_cndmask_b32_e64 v23, v15, v13, s3
	v_cndmask_b32_e64 v22, v14, v12, s3
	;; [unrolled: 1-line block ×4, first 2 shown]
	s_and_saveexec_b32 s6, s4
; %bb.31:
	v_mov_b32_e32 v25, v19
	v_mov_b32_e32 v27, v17
	v_dual_mov_b32 v5, v35 :: v_dual_mov_b32 v24, v18
	v_dual_mov_b32 v35, v38 :: v_dual_mov_b32 v26, v16
	v_mov_b32_e32 v9, v8
; %bb.32:
	s_wait_alu 0xfffe
	s_or_b32 exec_lo, exec_lo, s6
	s_delay_alu instid0(VALU_DEP_1) | instskip(NEXT) | instid1(VALU_DEP_1)
	v_and_b32_e32 v8, 0x7f800000, v9
	v_cmp_ne_u32_e64 s4, 0x7f800000, v8
                                        ; implicit-def: $vgpr8
	s_and_saveexec_b32 s6, s4
	s_wait_alu 0xfffe
	s_xor_b32 s4, exec_lo, s6
; %bb.33:
	v_bfe_u32 v8, v9, 16, 1
	s_delay_alu instid0(VALU_DEP_1)
	v_add3_u32 v8, v9, v8, 0x7fff
; %bb.34:
	s_wait_alu 0xfffe
	s_and_not1_saveexec_b32 s6, s4
; %bb.35:
	v_and_b32_e32 v8, 0xffff, v9
	v_or_b32_e32 v12, 0x10000, v9
	s_delay_alu instid0(VALU_DEP_2) | instskip(SKIP_1) | instid1(VALU_DEP_1)
	v_cmp_eq_u32_e64 s4, 0, v8
	s_wait_alu 0xf1ff
	v_cndmask_b32_e64 v8, v12, v9, s4
; %bb.36:
	s_wait_alu 0xfffe
	s_or_b32 exec_lo, exec_lo, s6
	v_cndmask_b32_e64 v12, v36, v37, s3
	s_delay_alu instid0(VALU_DEP_1) | instskip(NEXT) | instid1(VALU_DEP_1)
	v_lshlrev_b32_e32 v13, 16, v12
	v_add_f32_e32 v13, 0, v13
	s_delay_alu instid0(VALU_DEP_1) | instskip(NEXT) | instid1(VALU_DEP_1)
	v_and_b32_e32 v14, 0x7f800000, v13
	v_cmp_ne_u32_e64 s4, 0x7f800000, v14
                                        ; implicit-def: $vgpr14
	s_and_saveexec_b32 s6, s4
	s_wait_alu 0xfffe
	s_xor_b32 s4, exec_lo, s6
; %bb.37:
	v_bfe_u32 v14, v13, 16, 1
	s_delay_alu instid0(VALU_DEP_1)
	v_add3_u32 v14, v13, v14, 0x7fff
; %bb.38:
	s_wait_alu 0xfffe
	s_and_not1_saveexec_b32 s6, s4
; %bb.39:
	v_and_b32_e32 v14, 0xffff, v13
	v_or_b32_e32 v15, 0x10000, v13
	s_delay_alu instid0(VALU_DEP_2) | instskip(SKIP_1) | instid1(VALU_DEP_1)
	v_cmp_eq_u32_e64 s4, 0, v14
	s_wait_alu 0xf1ff
	v_cndmask_b32_e64 v14, v15, v13, s4
; %bb.40:
	s_wait_alu 0xfffe
	s_or_b32 exec_lo, exec_lo, s6
	v_cmp_lt_i32_e64 s4, -1, v8
	s_delay_alu instid0(VALU_DEP_2) | instskip(SKIP_1) | instid1(VALU_DEP_2)
	v_perm_b32 v8, v14, v8, 0x7060302
	s_wait_alu 0xf1ff
	v_cndmask_b32_e64 v15, -1, 0xffff8000, s4
	v_cmp_lt_i32_e64 s4, -1, v14
	s_wait_alu 0xf1ff
	s_delay_alu instid0(VALU_DEP_1) | instskip(NEXT) | instid1(VALU_DEP_1)
	v_cndmask_b32_e64 v16, -1, 0xffff8000, s4
	v_perm_b32 v14, v16, v15, 0x5040100
	s_delay_alu instid0(VALU_DEP_1) | instskip(NEXT) | instid1(VALU_DEP_1)
	v_xor_b32_e32 v8, v14, v8
	v_lshrrev_b32_e32 v14, 16, v8
	s_delay_alu instid0(VALU_DEP_1)
	v_cmp_gt_u16_e64 s4, v8, v14
	v_mov_b32_e32 v8, v12
	s_and_saveexec_b32 s6, s4
	s_cbranch_execz .LBB1971_42
; %bb.41:
	v_mov_b32_e32 v13, v20
	v_mov_b32_e32 v16, v23
	;; [unrolled: 1-line block ×3, first 2 shown]
	v_dual_mov_b32 v14, v21 :: v_dual_mov_b32 v15, v22
	v_dual_mov_b32 v17, v24 :: v_dual_mov_b32 v18, v25
	;; [unrolled: 1-line block ×3, first 2 shown]
	v_mov_b32_e32 v15, v24
	v_dual_mov_b32 v19, v26 :: v_dual_mov_b32 v20, v27
	v_dual_mov_b32 v17, v22 :: v_dual_mov_b32 v18, v23
	;; [unrolled: 1-line block ×3, first 2 shown]
	s_delay_alu instid0(VALU_DEP_3) | instskip(NEXT) | instid1(VALU_DEP_3)
	v_mov_b32_e32 v27, v20
	v_dual_mov_b32 v26, v19 :: v_dual_mov_b32 v25, v18
	s_delay_alu instid0(VALU_DEP_4)
	v_dual_mov_b32 v24, v17 :: v_dual_mov_b32 v23, v16
	v_dual_mov_b32 v22, v15 :: v_dual_mov_b32 v21, v14
	;; [unrolled: 1-line block ×3, first 2 shown]
.LBB1971_42:
	s_wait_alu 0xfffe
	s_or_b32 exec_lo, exec_lo, s6
	s_delay_alu instid0(VALU_DEP_1) | instskip(NEXT) | instid1(VALU_DEP_1)
	v_and_b32_e32 v9, 0x7f800000, v13
                                        ; implicit-def: $vgpr12
	v_cmp_ne_u32_e64 s4, 0x7f800000, v9
	s_and_saveexec_b32 s6, s4
	s_wait_alu 0xfffe
	s_xor_b32 s4, exec_lo, s6
; %bb.43:
	v_bfe_u32 v9, v13, 16, 1
	s_delay_alu instid0(VALU_DEP_1)
	v_add3_u32 v12, v13, v9, 0x7fff
                                        ; implicit-def: $vgpr13
; %bb.44:
	s_wait_alu 0xfffe
	s_and_not1_saveexec_b32 s6, s4
; %bb.45:
	v_and_b32_e32 v9, 0xffff, v13
	v_or_b32_e32 v12, 0x10000, v13
	s_delay_alu instid0(VALU_DEP_2) | instskip(SKIP_1) | instid1(VALU_DEP_1)
	v_cmp_eq_u32_e64 s4, 0, v9
	s_wait_alu 0xf1ff
	v_cndmask_b32_e64 v12, v12, v13, s4
; %bb.46:
	s_wait_alu 0xfffe
	s_or_b32 exec_lo, exec_lo, s6
	v_cndmask_b32_e64 v9, v37, v36, s3
	s_delay_alu instid0(VALU_DEP_1) | instskip(NEXT) | instid1(VALU_DEP_1)
	v_lshlrev_b32_e32 v13, 16, v9
	v_add_f32_e32 v14, 0, v13
	s_delay_alu instid0(VALU_DEP_1) | instskip(NEXT) | instid1(VALU_DEP_1)
	v_and_b32_e32 v13, 0x7f800000, v14
	v_cmp_ne_u32_e64 s3, 0x7f800000, v13
                                        ; implicit-def: $vgpr13
	s_and_saveexec_b32 s4, s3
	s_wait_alu 0xfffe
	s_xor_b32 s3, exec_lo, s4
; %bb.47:
	v_bfe_u32 v13, v14, 16, 1
	s_delay_alu instid0(VALU_DEP_1)
	v_add3_u32 v13, v14, v13, 0x7fff
                                        ; implicit-def: $vgpr14
; %bb.48:
	s_wait_alu 0xfffe
	s_and_not1_saveexec_b32 s4, s3
; %bb.49:
	v_and_b32_e32 v13, 0xffff, v14
	v_or_b32_e32 v15, 0x10000, v14
	s_delay_alu instid0(VALU_DEP_2) | instskip(SKIP_1) | instid1(VALU_DEP_1)
	v_cmp_eq_u32_e64 s3, 0, v13
	s_wait_alu 0xf1ff
	v_cndmask_b32_e64 v13, v15, v14, s3
; %bb.50:
	s_wait_alu 0xfffe
	s_or_b32 exec_lo, exec_lo, s4
	v_lshlrev_b32_e32 v14, 16, v35
	s_delay_alu instid0(VALU_DEP_1) | instskip(NEXT) | instid1(VALU_DEP_1)
	v_add_f32_e32 v31, 0, v14
	v_and_b32_e32 v14, 0x7f800000, v31
	s_delay_alu instid0(VALU_DEP_1)
	v_cmp_ne_u32_e64 s3, 0x7f800000, v14
                                        ; implicit-def: $vgpr14
	s_and_saveexec_b32 s4, s3
	s_wait_alu 0xfffe
	s_xor_b32 s3, exec_lo, s4
; %bb.51:
	v_bfe_u32 v14, v31, 16, 1
	s_delay_alu instid0(VALU_DEP_1)
	v_add3_u32 v14, v31, v14, 0x7fff
; %bb.52:
	s_wait_alu 0xfffe
	s_and_not1_saveexec_b32 s4, s3
; %bb.53:
	v_and_b32_e32 v14, 0xffff, v31
	v_or_b32_e32 v15, 0x10000, v31
	s_delay_alu instid0(VALU_DEP_2) | instskip(SKIP_1) | instid1(VALU_DEP_1)
	v_cmp_eq_u32_e64 s3, 0, v14
	s_wait_alu 0xf1ff
	v_cndmask_b32_e64 v14, v15, v31, s3
; %bb.54:
	s_wait_alu 0xfffe
	s_or_b32 exec_lo, exec_lo, s4
	v_lshlrev_b32_e32 v15, 16, v5
	s_delay_alu instid0(VALU_DEP_1) | instskip(NEXT) | instid1(VALU_DEP_1)
	v_add_f32_e32 v36, 0, v15
	v_and_b32_e32 v15, 0x7f800000, v36
	s_delay_alu instid0(VALU_DEP_1)
	v_cmp_ne_u32_e64 s3, 0x7f800000, v15
                                        ; implicit-def: $vgpr15
	s_and_saveexec_b32 s4, s3
	s_wait_alu 0xfffe
	s_xor_b32 s3, exec_lo, s4
; %bb.55:
	v_bfe_u32 v15, v36, 16, 1
	s_delay_alu instid0(VALU_DEP_1)
	v_add3_u32 v15, v36, v15, 0x7fff
; %bb.56:
	s_wait_alu 0xfffe
	s_and_not1_saveexec_b32 s4, s3
; %bb.57:
	v_and_b32_e32 v15, 0xffff, v36
	v_or_b32_e32 v16, 0x10000, v36
	s_delay_alu instid0(VALU_DEP_2) | instskip(SKIP_1) | instid1(VALU_DEP_1)
	v_cmp_eq_u32_e64 s3, 0, v15
	s_wait_alu 0xf1ff
	v_cndmask_b32_e64 v15, v16, v36, s3
; %bb.58:
	s_wait_alu 0xfffe
	s_or_b32 exec_lo, exec_lo, s4
	v_cmp_lt_i32_e64 s3, -1, v12
	v_perm_b32 v16, v13, v12, 0x7060302
	v_mov_b32_e32 v19, v27
	s_wait_alu 0xf1ff
	s_delay_alu instid0(VALU_DEP_3) | instskip(SKIP_2) | instid1(VALU_DEP_1)
	v_cndmask_b32_e64 v12, -1, 0xffff8000, s3
	v_cmp_lt_i32_e64 s3, -1, v13
	s_wait_alu 0xf1ff
	v_cndmask_b32_e64 v13, -1, 0xffff8000, s3
	v_cmp_lt_i32_e64 s3, -1, v14
	s_delay_alu instid0(VALU_DEP_2) | instskip(SKIP_1) | instid1(VALU_DEP_2)
	v_perm_b32 v12, v13, v12, 0x5040100
	s_wait_alu 0xf1ff
	v_cndmask_b32_e64 v17, -1, 0xffff8000, s3
	v_cmp_lt_i32_e64 s3, -1, v15
	v_perm_b32 v13, v15, v14, 0x7060302
	v_xor_b32_e32 v12, v12, v16
	v_mov_b32_e32 v16, v24
	s_wait_alu 0xf1ff
	v_cndmask_b32_e64 v18, -1, 0xffff8000, s3
	s_delay_alu instid0(VALU_DEP_1) | instskip(SKIP_1) | instid1(VALU_DEP_2)
	v_perm_b32 v14, v18, v17, 0x5040100
	v_dual_mov_b32 v17, v25 :: v_dual_mov_b32 v18, v26
	v_xor_b32_e32 v13, v14, v13
	v_lshrrev_b32_e32 v14, 16, v12
	s_delay_alu instid0(VALU_DEP_2) | instskip(NEXT) | instid1(VALU_DEP_2)
	v_lshrrev_b32_e32 v37, 16, v13
	v_cmp_gt_u16_e64 s3, v12, v14
	s_delay_alu instid0(VALU_DEP_2) | instskip(SKIP_1) | instid1(VALU_DEP_2)
	v_cmp_gt_u16_e64 s4, v13, v37
	s_wait_alu 0xf1ff
	v_cndmask_b32_e64 v15, v23, v21, s3
	v_cndmask_b32_e64 v14, v22, v20, s3
	;; [unrolled: 1-line block ×4, first 2 shown]
	v_mov_b32_e32 v20, v5
	s_and_saveexec_b32 s6, s4
; %bb.59:
	v_dual_mov_b32 v16, v26 :: v_dual_mov_b32 v17, v27
	v_dual_mov_b32 v18, v24 :: v_dual_mov_b32 v19, v25
	;; [unrolled: 1-line block ×3, first 2 shown]
	v_mov_b32_e32 v36, v31
; %bb.60:
	s_wait_alu 0xfffe
	s_or_b32 exec_lo, exec_lo, s6
	s_delay_alu instid0(VALU_DEP_1) | instskip(NEXT) | instid1(VALU_DEP_1)
	v_and_b32_e32 v5, 0x7f800000, v36
	v_cmp_ne_u32_e64 s4, 0x7f800000, v5
                                        ; implicit-def: $vgpr5
	s_and_saveexec_b32 s6, s4
	s_wait_alu 0xfffe
	s_xor_b32 s4, exec_lo, s6
; %bb.61:
	v_bfe_u32 v5, v36, 16, 1
	s_delay_alu instid0(VALU_DEP_1)
	v_add3_u32 v5, v36, v5, 0x7fff
                                        ; implicit-def: $vgpr36
; %bb.62:
	s_wait_alu 0xfffe
	s_and_not1_saveexec_b32 s6, s4
; %bb.63:
	v_and_b32_e32 v5, 0xffff, v36
	v_or_b32_e32 v21, 0x10000, v36
	s_delay_alu instid0(VALU_DEP_2) | instskip(SKIP_1) | instid1(VALU_DEP_1)
	v_cmp_eq_u32_e64 s4, 0, v5
	s_wait_alu 0xf1ff
	v_cndmask_b32_e64 v5, v21, v36, s4
; %bb.64:
	s_wait_alu 0xfffe
	s_or_b32 exec_lo, exec_lo, s6
	v_cndmask_b32_e64 v36, v8, v9, s3
	s_delay_alu instid0(VALU_DEP_1) | instskip(NEXT) | instid1(VALU_DEP_1)
	v_lshlrev_b32_e32 v21, 16, v36
	v_add_f32_e32 v22, 0, v21
	s_delay_alu instid0(VALU_DEP_1) | instskip(NEXT) | instid1(VALU_DEP_1)
	v_and_b32_e32 v21, 0x7f800000, v22
	v_cmp_ne_u32_e64 s4, 0x7f800000, v21
                                        ; implicit-def: $vgpr21
	s_and_saveexec_b32 s6, s4
	s_wait_alu 0xfffe
	s_xor_b32 s4, exec_lo, s6
; %bb.65:
	v_bfe_u32 v21, v22, 16, 1
	s_delay_alu instid0(VALU_DEP_1)
	v_add3_u32 v21, v22, v21, 0x7fff
                                        ; implicit-def: $vgpr22
; %bb.66:
	s_wait_alu 0xfffe
	s_and_not1_saveexec_b32 s6, s4
; %bb.67:
	v_and_b32_e32 v21, 0xffff, v22
	v_or_b32_e32 v23, 0x10000, v22
	s_delay_alu instid0(VALU_DEP_2) | instskip(SKIP_1) | instid1(VALU_DEP_1)
	v_cmp_eq_u32_e64 s4, 0, v21
	s_wait_alu 0xf1ff
	v_cndmask_b32_e64 v21, v23, v22, s4
; %bb.68:
	s_wait_alu 0xfffe
	s_or_b32 exec_lo, exec_lo, s6
	v_cmp_lt_i32_e64 s4, -1, v5
	s_delay_alu instid0(VALU_DEP_2)
	v_perm_b32 v5, v21, v5, 0x7060302
	v_mov_b32_e32 v38, v20
	s_mov_b32 s6, exec_lo
	s_wait_alu 0xf1ff
	v_cndmask_b32_e64 v22, -1, 0xffff8000, s4
	v_cmp_lt_i32_e64 s4, -1, v21
	s_wait_alu 0xf1ff
	s_delay_alu instid0(VALU_DEP_1) | instskip(NEXT) | instid1(VALU_DEP_1)
	v_cndmask_b32_e64 v23, -1, 0xffff8000, s4
	v_perm_b32 v21, v23, v22, 0x5040100
	s_delay_alu instid0(VALU_DEP_1) | instskip(NEXT) | instid1(VALU_DEP_1)
	v_xor_b32_e32 v5, v21, v5
	v_lshrrev_b32_e32 v21, 16, v5
	s_delay_alu instid0(VALU_DEP_1)
	v_cmpx_gt_u16_e64 v5, v21
	s_cbranch_execz .LBB1971_70
; %bb.69:
	v_dual_mov_b32 v48, v12 :: v_dual_mov_b32 v49, v13
	v_dual_mov_b32 v50, v16 :: v_dual_mov_b32 v51, v17
	;; [unrolled: 1-line block ×4, first 2 shown]
	s_delay_alu instid0(VALU_DEP_4) | instskip(NEXT) | instid1(VALU_DEP_4)
	v_dual_mov_b32 v12, v48 :: v_dual_mov_b32 v13, v49
	v_dual_mov_b32 v14, v50 :: v_dual_mov_b32 v15, v51
	s_delay_alu instid0(VALU_DEP_4) | instskip(NEXT) | instid1(VALU_DEP_4)
	v_dual_mov_b32 v16, v52 :: v_dual_mov_b32 v17, v53
	v_dual_mov_b32 v18, v54 :: v_dual_mov_b32 v19, v55
	v_mov_b32_e32 v38, v36
	v_mov_b32_e32 v36, v20
.LBB1971_70:
	s_wait_alu 0xfffe
	s_or_b32 exec_lo, exec_lo, s6
	v_cndmask_b32_e64 v37, v9, v8, s3
.LBB1971_71:
	s_wait_alu 0xfffe
	s_or_b32 exec_lo, exec_lo, s5
	v_dual_mov_b32 v5, 0 :: v_dual_and_b32 v4, 0xffffff80, v4
	v_or_b32_e32 v21, 4, v34
	v_and_b32_e32 v27, 0x78, v34
	s_mov_b32 s4, exec_lo
	s_delay_alu instid0(VALU_DEP_3) | instskip(SKIP_1) | instid1(VALU_DEP_2)
	v_sub_nc_u32_e64 v20, 0x400, v4 clamp
	v_lshlrev_b64_e32 v[8:9], 1, v[4:5]
	v_min_u32_e32 v25, v20, v21
	s_delay_alu instid0(VALU_DEP_2) | instskip(SKIP_1) | instid1(VALU_DEP_3)
	v_add_co_u32 v8, s3, v10, v8
	s_wait_alu 0xf1ff
	v_add_co_ci_u32_e64 v9, null, v11, v9, s3
	s_delay_alu instid0(VALU_DEP_3) | instskip(NEXT) | instid1(VALU_DEP_2)
	v_add_nc_u32_e32 v10, 4, v25
	v_mad_co_u64_u32 v[4:5], null, v4, 6, v[8:9]
	v_and_b32_e32 v5, 4, v34
	s_delay_alu instid0(VALU_DEP_3) | instskip(NEXT) | instid1(VALU_DEP_2)
	v_min_u32_e32 v26, v20, v10
	v_min_u32_e32 v31, v20, v5
	v_sub_nc_u32_e32 v5, v25, v27
	v_lshl_add_u32 v24, v34, 3, v4
	s_delay_alu instid0(VALU_DEP_4) | instskip(NEXT) | instid1(VALU_DEP_3)
	v_sub_nc_u32_e32 v10, v26, v25
	v_min_u32_e32 v9, v31, v5
	s_delay_alu instid0(VALU_DEP_3) | instskip(NEXT) | instid1(VALU_DEP_3)
	v_add_nc_u32_e32 v11, 0x800, v24
	v_sub_nc_u32_e64 v48, v31, v10 clamp
	v_lshl_add_u32 v5, v34, 1, v8
	s_wait_loadcnt_dscnt 0x0
	ds_store_2addr_b64 v11, v[12:13], v[14:15] offset1:1
	ds_store_b16 v5, v37
	ds_store_b16 v5, v36 offset:2
	ds_store_b16 v5, v38 offset:4
	;; [unrolled: 1-line block ×3, first 2 shown]
	ds_store_2addr_b64 v11, v[16:17], v[18:19] offset0:2 offset1:3
	; wave barrier
	v_cmpx_lt_u32_e64 v48, v9
	s_cbranch_execz .LBB1971_86
; %bb.72:
	v_lshlrev_b32_e32 v10, 1, v27
	v_lshlrev_b32_e32 v11, 1, v25
	s_mov_b32 s5, 0
	s_delay_alu instid0(VALU_DEP_2) | instskip(NEXT) | instid1(VALU_DEP_2)
	v_add_co_u32 v10, null, v8, v10
	v_add_co_u32 v11, null, v8, v11
	s_branch .LBB1971_74
.LBB1971_73:                            ;   in Loop: Header=BB1971_74 Depth=1
	s_wait_alu 0xfffe
	s_or_b32 exec_lo, exec_lo, s6
	v_cmp_lt_i32_e64 s3, -1, v22
	v_lshrrev_b32_e32 v39, 16, v22
	v_lshrrev_b32_e32 v49, 16, v23
	s_wait_alu 0xf1ff
	s_delay_alu instid0(VALU_DEP_3) | instskip(SKIP_1) | instid1(VALU_DEP_2)
	v_cndmask_b32_e64 v22, -1, 0xffff8000, s3
	v_cmp_lt_i32_e64 s3, -1, v23
	v_xor_b32_e32 v22, v22, v39
	s_wait_alu 0xf1ff
	s_delay_alu instid0(VALU_DEP_2) | instskip(SKIP_1) | instid1(VALU_DEP_2)
	v_cndmask_b32_e64 v23, -1, 0xffff8000, s3
	v_add_nc_u32_e32 v39, 1, v21
	v_xor_b32_e32 v23, v23, v49
	s_delay_alu instid0(VALU_DEP_1) | instskip(SKIP_1) | instid1(VALU_DEP_1)
	v_cmp_gt_u16_e64 s3, v22, v23
	s_wait_alu 0xf1ff
	v_cndmask_b32_e64 v9, v9, v21, s3
	v_cndmask_b32_e64 v48, v39, v48, s3
	s_delay_alu instid0(VALU_DEP_1)
	v_cmp_ge_u32_e64 s3, v48, v9
	s_or_b32 s5, s3, s5
	s_wait_alu 0xfffe
	s_and_not1_b32 exec_lo, exec_lo, s5
	s_cbranch_execz .LBB1971_85
.LBB1971_74:                            ; =>This Inner Loop Header: Depth=1
	v_add_nc_u32_e32 v22, v9, v48
	s_delay_alu instid0(VALU_DEP_1) | instskip(SKIP_1) | instid1(VALU_DEP_2)
	v_lshrrev_b32_e32 v21, 1, v22
	v_and_b32_e32 v22, -2, v22
	v_xad_u32 v23, v21, -1, v31
	s_delay_alu instid0(VALU_DEP_2) | instskip(NEXT) | instid1(VALU_DEP_2)
	v_add_nc_u32_e32 v22, v10, v22
	v_lshl_add_u32 v23, v23, 1, v11
	ds_load_u16 v39, v23
	ds_load_u16 v23, v22
	s_wait_dscnt 0x1
	v_lshlrev_b32_e32 v22, 16, v39
	s_delay_alu instid0(VALU_DEP_1) | instskip(NEXT) | instid1(VALU_DEP_1)
	v_add_f32_e32 v39, 0, v22
	v_and_b32_e32 v22, 0x7f800000, v39
	s_delay_alu instid0(VALU_DEP_1)
	v_cmp_ne_u32_e64 s3, 0x7f800000, v22
                                        ; implicit-def: $vgpr22
	s_and_saveexec_b32 s6, s3
	s_wait_alu 0xfffe
	s_xor_b32 s3, exec_lo, s6
; %bb.75:                               ;   in Loop: Header=BB1971_74 Depth=1
	v_bfe_u32 v22, v39, 16, 1
	s_delay_alu instid0(VALU_DEP_1)
	v_add3_u32 v22, v39, v22, 0x7fff
                                        ; implicit-def: $vgpr39
; %bb.76:                               ;   in Loop: Header=BB1971_74 Depth=1
	s_wait_alu 0xfffe
	s_and_not1_saveexec_b32 s6, s3
; %bb.77:                               ;   in Loop: Header=BB1971_74 Depth=1
	v_and_b32_e32 v22, 0xffff, v39
	v_or_b32_e32 v49, 0x10000, v39
	s_delay_alu instid0(VALU_DEP_2) | instskip(SKIP_1) | instid1(VALU_DEP_1)
	v_cmp_eq_u32_e64 s3, 0, v22
	s_wait_alu 0xf1ff
	v_cndmask_b32_e64 v22, v49, v39, s3
; %bb.78:                               ;   in Loop: Header=BB1971_74 Depth=1
	s_wait_alu 0xfffe
	s_or_b32 exec_lo, exec_lo, s6
	s_wait_dscnt 0x0
	v_lshlrev_b32_e32 v23, 16, v23
	s_delay_alu instid0(VALU_DEP_1) | instskip(NEXT) | instid1(VALU_DEP_1)
	v_add_f32_e32 v39, 0, v23
	v_and_b32_e32 v23, 0x7f800000, v39
	s_delay_alu instid0(VALU_DEP_1)
	v_cmp_ne_u32_e64 s3, 0x7f800000, v23
                                        ; implicit-def: $vgpr23
	s_and_saveexec_b32 s6, s3
	s_wait_alu 0xfffe
	s_xor_b32 s3, exec_lo, s6
; %bb.79:                               ;   in Loop: Header=BB1971_74 Depth=1
	v_bfe_u32 v23, v39, 16, 1
	s_delay_alu instid0(VALU_DEP_1)
	v_add3_u32 v23, v39, v23, 0x7fff
                                        ; implicit-def: $vgpr39
; %bb.80:                               ;   in Loop: Header=BB1971_74 Depth=1
	s_wait_alu 0xfffe
	s_and_not1_saveexec_b32 s6, s3
	s_cbranch_execz .LBB1971_73
; %bb.81:                               ;   in Loop: Header=BB1971_74 Depth=1
	v_and_b32_e32 v23, 0xffff, v39
	v_or_b32_e32 v49, 0x10000, v39
	s_delay_alu instid0(VALU_DEP_2) | instskip(SKIP_1) | instid1(VALU_DEP_1)
	v_cmp_eq_u32_e64 s3, 0, v23
	s_wait_alu 0xf1ff
	v_cndmask_b32_e64 v23, v49, v39, s3
	s_branch .LBB1971_73
.LBB1971_82:
	flat_load_b64 v[13:14], v[4:5]
	v_dual_mov_b32 v19, v12 :: v_dual_mov_b32 v20, v12
	v_dual_mov_b32 v15, v12 :: v_dual_mov_b32 v16, v12
	;; [unrolled: 1-line block ×3, first 2 shown]
	s_wait_loadcnt_dscnt 0x0
	v_mov_b32_e32 v12, v13
	v_mov_b32_e32 v13, v14
	;; [unrolled: 1-line block ×8, first 2 shown]
	s_wait_alu 0xfffe
	s_or_b32 exec_lo, exec_lo, s3
	s_and_saveexec_b32 s3, s0
	s_cbranch_execz .LBB1971_10
.LBB1971_83:
	flat_load_b64 v[14:15], v[4:5] offset:8
	s_wait_alu 0xfffe
	s_or_b32 exec_lo, exec_lo, s3
	s_and_saveexec_b32 s3, s1
	s_cbranch_execz .LBB1971_11
.LBB1971_84:
	flat_load_b64 v[16:17], v[4:5] offset:16
	s_wait_alu 0xfffe
	s_or_b32 exec_lo, exec_lo, s3
	s_and_saveexec_b32 s3, s2
	s_cbranch_execnz .LBB1971_12
	s_branch .LBB1971_13
.LBB1971_85:
	s_or_b32 exec_lo, exec_lo, s5
.LBB1971_86:
	s_wait_alu 0xfffe
	s_or_b32 exec_lo, exec_lo, s4
	v_add_nc_u32_e32 v31, v25, v31
	v_add_nc_u32_e32 v39, v48, v27
	;; [unrolled: 1-line block ×5, first 2 shown]
	v_sub_nc_u32_e32 v48, v31, v48
	v_cmp_le_u32_e64 s3, v39, v25
	v_add_nc_u32_e32 v11, 4, v5
	v_add_nc_u32_e32 v23, 0x810, v24
	;; [unrolled: 1-line block ×3, first 2 shown]
	v_cmp_le_u32_e64 s4, v48, v26
	v_add_nc_u32_e32 v24, 0x818, v24
	s_or_b32 s3, s3, s4
	s_wait_alu 0xfffe
	s_and_saveexec_b32 s5, s3
	s_cbranch_execz .LBB1971_138
; %bb.87:
	v_cmp_ge_u32_e64 s3, v39, v25
	s_mov_b32 s6, exec_lo
                                        ; implicit-def: $vgpr27
	v_cmpx_lt_u32_e64 v39, v25
; %bb.88:
	v_lshl_add_u32 v12, v39, 1, v8
	ds_load_u16 v27, v12
; %bb.89:
	s_wait_alu 0xfffe
	s_or_b32 exec_lo, exec_lo, s6
	v_cmp_ge_u32_e64 s6, v48, v26
	s_mov_b32 s7, exec_lo
                                        ; implicit-def: $vgpr31
	v_cmpx_lt_u32_e64 v48, v26
; %bb.90:
	v_lshl_add_u32 v12, v48, 1, v8
	ds_load_u16 v31, v12
; %bb.91:
	s_wait_alu 0xfffe
	s_or_b32 exec_lo, exec_lo, s7
	s_nor_b32 s3, s3, s6
	s_wait_alu 0xfffe
	s_and_saveexec_b32 s4, s3
	s_cbranch_execz .LBB1971_101
; %bb.92:
	s_wait_dscnt 0x0
	v_lshlrev_b32_e32 v12, 16, v31
	s_delay_alu instid0(VALU_DEP_1) | instskip(NEXT) | instid1(VALU_DEP_1)
	v_add_f32_e32 v13, 0, v12
	v_and_b32_e32 v12, 0x7f800000, v13
	s_delay_alu instid0(VALU_DEP_1)
	v_cmp_ne_u32_e64 s3, 0x7f800000, v12
                                        ; implicit-def: $vgpr12
	s_and_saveexec_b32 s7, s3
	s_wait_alu 0xfffe
	s_xor_b32 s3, exec_lo, s7
; %bb.93:
	v_bfe_u32 v12, v13, 16, 1
	s_delay_alu instid0(VALU_DEP_1)
	v_add3_u32 v12, v13, v12, 0x7fff
                                        ; implicit-def: $vgpr13
; %bb.94:
	s_wait_alu 0xfffe
	s_and_not1_saveexec_b32 s7, s3
; %bb.95:
	v_and_b32_e32 v12, 0xffff, v13
	v_or_b32_e32 v14, 0x10000, v13
	s_delay_alu instid0(VALU_DEP_2) | instskip(SKIP_1) | instid1(VALU_DEP_1)
	v_cmp_eq_u32_e64 s3, 0, v12
	s_wait_alu 0xf1ff
	v_cndmask_b32_e64 v12, v14, v13, s3
; %bb.96:
	s_wait_alu 0xfffe
	s_or_b32 exec_lo, exec_lo, s7
	v_lshlrev_b32_e32 v13, 16, v27
	s_delay_alu instid0(VALU_DEP_1) | instskip(NEXT) | instid1(VALU_DEP_1)
	v_add_f32_e32 v14, 0, v13
	v_and_b32_e32 v13, 0x7f800000, v14
	s_delay_alu instid0(VALU_DEP_1)
	v_cmp_ne_u32_e64 s3, 0x7f800000, v13
                                        ; implicit-def: $vgpr13
	s_and_saveexec_b32 s7, s3
	s_wait_alu 0xfffe
	s_xor_b32 s3, exec_lo, s7
; %bb.97:
	v_bfe_u32 v13, v14, 16, 1
	s_delay_alu instid0(VALU_DEP_1)
	v_add3_u32 v13, v14, v13, 0x7fff
                                        ; implicit-def: $vgpr14
; %bb.98:
	s_wait_alu 0xfffe
	s_and_not1_saveexec_b32 s7, s3
; %bb.99:
	v_and_b32_e32 v13, 0xffff, v14
	v_or_b32_e32 v15, 0x10000, v14
	s_delay_alu instid0(VALU_DEP_2) | instskip(SKIP_1) | instid1(VALU_DEP_1)
	v_cmp_eq_u32_e64 s3, 0, v13
	s_wait_alu 0xf1ff
	v_cndmask_b32_e64 v13, v15, v14, s3
; %bb.100:
	s_wait_alu 0xfffe
	s_or_b32 exec_lo, exec_lo, s7
	v_cmp_lt_i32_e64 s3, -1, v12
	s_delay_alu instid0(VALU_DEP_2) | instskip(SKIP_4) | instid1(VALU_DEP_1)
	v_perm_b32 v12, v13, v12, 0x7060302
	s_and_not1_b32 s6, s6, exec_lo
	v_cndmask_b32_e64 v14, -1, 0xffff8000, s3
	v_cmp_lt_i32_e64 s3, -1, v13
	s_wait_alu 0xf1ff
	v_cndmask_b32_e64 v15, -1, 0xffff8000, s3
	s_delay_alu instid0(VALU_DEP_1) | instskip(NEXT) | instid1(VALU_DEP_1)
	v_perm_b32 v13, v15, v14, 0x5040100
	v_xor_b32_e32 v12, v13, v12
	s_delay_alu instid0(VALU_DEP_1) | instskip(NEXT) | instid1(VALU_DEP_1)
	v_lshrrev_b32_e32 v13, 16, v12
	v_cmp_le_u16_e64 s3, v12, v13
	s_and_b32 s3, s3, exec_lo
	s_wait_alu 0xfffe
	s_or_b32 s6, s6, s3
.LBB1971_101:
	s_wait_alu 0xfffe
	s_or_b32 exec_lo, exec_lo, s4
	v_cndmask_b32_e64 v12, v48, v39, s6
	v_cndmask_b32_e64 v13, v26, v25, s6
	s_mov_b32 s7, -1
	s_mov_b32 s4, -1
	s_mov_b32 s8, exec_lo
	v_add_nc_u32_e32 v14, 1, v12
	v_add_nc_u32_e32 v13, -1, v13
	v_lshl_add_u32 v12, v12, 3, v4
	s_delay_alu instid0(VALU_DEP_3) | instskip(NEXT) | instid1(VALU_DEP_3)
	v_cndmask_b32_e64 v16, v14, v48, s6
	v_min_u32_e32 v13, v14, v13
	v_cndmask_b32_e64 v17, v39, v14, s6
	s_delay_alu instid0(VALU_DEP_2)
	v_lshl_add_u32 v13, v13, 1, v8
	ds_load_u16 v15, v13
	ds_load_b64 v[12:13], v12 offset:2048
	s_wait_dscnt 0x1
	v_cndmask_b32_e64 v35, v15, v31, s6
	v_cndmask_b32_e64 v36, v27, v15, s6
	v_cmpx_lt_u32_e64 v16, v26
	s_cbranch_execz .LBB1971_113
; %bb.102:
	s_mov_b32 s9, 0
	s_mov_b32 s4, exec_lo
	v_cmpx_lt_u32_e64 v17, v25
	s_cbranch_execz .LBB1971_112
; %bb.103:
	v_lshlrev_b32_e32 v14, 16, v35
	s_delay_alu instid0(VALU_DEP_1) | instskip(NEXT) | instid1(VALU_DEP_1)
	v_add_f32_e32 v15, 0, v14
	v_and_b32_e32 v14, 0x7f800000, v15
	s_delay_alu instid0(VALU_DEP_1)
	v_cmp_ne_u32_e64 s3, 0x7f800000, v14
                                        ; implicit-def: $vgpr14
	s_and_saveexec_b32 s9, s3
	s_wait_alu 0xfffe
	s_xor_b32 s3, exec_lo, s9
; %bb.104:
	v_bfe_u32 v14, v15, 16, 1
	s_delay_alu instid0(VALU_DEP_1)
	v_add3_u32 v14, v15, v14, 0x7fff
                                        ; implicit-def: $vgpr15
; %bb.105:
	s_wait_alu 0xfffe
	s_and_not1_saveexec_b32 s9, s3
; %bb.106:
	v_and_b32_e32 v14, 0xffff, v15
	v_or_b32_e32 v18, 0x10000, v15
	s_delay_alu instid0(VALU_DEP_2) | instskip(SKIP_1) | instid1(VALU_DEP_1)
	v_cmp_eq_u32_e64 s3, 0, v14
	s_wait_alu 0xf1ff
	v_cndmask_b32_e64 v14, v18, v15, s3
; %bb.107:
	s_wait_alu 0xfffe
	s_or_b32 exec_lo, exec_lo, s9
	v_lshlrev_b32_e32 v15, 16, v36
	s_delay_alu instid0(VALU_DEP_1) | instskip(NEXT) | instid1(VALU_DEP_1)
	v_add_f32_e32 v18, 0, v15
	v_and_b32_e32 v15, 0x7f800000, v18
	s_delay_alu instid0(VALU_DEP_1)
	v_cmp_ne_u32_e64 s3, 0x7f800000, v15
                                        ; implicit-def: $vgpr15
	s_and_saveexec_b32 s9, s3
	s_wait_alu 0xfffe
	s_xor_b32 s3, exec_lo, s9
; %bb.108:
	v_bfe_u32 v15, v18, 16, 1
	s_delay_alu instid0(VALU_DEP_1)
	v_add3_u32 v15, v18, v15, 0x7fff
                                        ; implicit-def: $vgpr18
; %bb.109:
	s_wait_alu 0xfffe
	s_and_not1_saveexec_b32 s9, s3
; %bb.110:
	v_and_b32_e32 v15, 0xffff, v18
	v_or_b32_e32 v19, 0x10000, v18
	s_delay_alu instid0(VALU_DEP_2) | instskip(SKIP_1) | instid1(VALU_DEP_1)
	v_cmp_eq_u32_e64 s3, 0, v15
	s_wait_alu 0xf1ff
	v_cndmask_b32_e64 v15, v19, v18, s3
; %bb.111:
	s_wait_alu 0xfffe
	s_or_b32 exec_lo, exec_lo, s9
	v_cmp_lt_i32_e64 s3, -1, v14
	s_delay_alu instid0(VALU_DEP_2) | instskip(SKIP_1) | instid1(VALU_DEP_2)
	v_perm_b32 v14, v15, v14, 0x7060302
	s_wait_alu 0xf1ff
	v_cndmask_b32_e64 v18, -1, 0xffff8000, s3
	v_cmp_lt_i32_e64 s3, -1, v15
	s_wait_alu 0xf1ff
	s_delay_alu instid0(VALU_DEP_1) | instskip(NEXT) | instid1(VALU_DEP_1)
	v_cndmask_b32_e64 v19, -1, 0xffff8000, s3
	v_perm_b32 v15, v19, v18, 0x5040100
	s_delay_alu instid0(VALU_DEP_1) | instskip(NEXT) | instid1(VALU_DEP_1)
	v_xor_b32_e32 v14, v15, v14
	v_lshrrev_b32_e32 v15, 16, v14
	s_delay_alu instid0(VALU_DEP_1)
	v_cmp_le_u16_e64 s3, v14, v15
	s_and_b32 s9, s3, exec_lo
.LBB1971_112:
	s_wait_alu 0xfffe
	s_or_b32 exec_lo, exec_lo, s4
	s_delay_alu instid0(SALU_CYCLE_1)
	s_or_not1_b32 s4, s9, exec_lo
.LBB1971_113:
	s_wait_alu 0xfffe
	s_or_b32 exec_lo, exec_lo, s8
	v_cndmask_b32_e64 v14, v16, v17, s4
	v_cndmask_b32_e64 v15, v26, v25, s4
	s_mov_b32 s8, exec_lo
	s_delay_alu instid0(VALU_DEP_2) | instskip(NEXT) | instid1(VALU_DEP_2)
	v_add_nc_u32_e32 v19, 1, v14
	v_add_nc_u32_e32 v15, -1, v15
	v_lshl_add_u32 v14, v14, 3, v4
	s_delay_alu instid0(VALU_DEP_3) | instskip(NEXT) | instid1(VALU_DEP_3)
	v_cndmask_b32_e64 v18, v19, v16, s4
	v_min_u32_e32 v15, v19, v15
	v_cndmask_b32_e64 v19, v17, v19, s4
	s_delay_alu instid0(VALU_DEP_2)
	v_lshl_add_u32 v15, v15, 1, v8
	ds_load_u16 v38, v15
	ds_load_b64 v[14:15], v14 offset:2048
	s_wait_dscnt 0x1
	v_cndmask_b32_e64 v37, v38, v35, s4
	v_cndmask_b32_e64 v38, v36, v38, s4
	v_cmpx_lt_u32_e64 v18, v26
	s_cbranch_execz .LBB1971_125
; %bb.114:
	s_mov_b32 s9, 0
	s_mov_b32 s7, exec_lo
	v_cmpx_lt_u32_e64 v19, v25
	s_cbranch_execz .LBB1971_124
; %bb.115:
	v_lshlrev_b32_e32 v16, 16, v37
	s_delay_alu instid0(VALU_DEP_1) | instskip(NEXT) | instid1(VALU_DEP_1)
	v_add_f32_e32 v17, 0, v16
	v_and_b32_e32 v16, 0x7f800000, v17
	s_delay_alu instid0(VALU_DEP_1)
	v_cmp_ne_u32_e64 s3, 0x7f800000, v16
                                        ; implicit-def: $vgpr16
	s_and_saveexec_b32 s9, s3
	s_wait_alu 0xfffe
	s_xor_b32 s3, exec_lo, s9
; %bb.116:
	v_bfe_u32 v16, v17, 16, 1
	s_delay_alu instid0(VALU_DEP_1)
	v_add3_u32 v16, v17, v16, 0x7fff
                                        ; implicit-def: $vgpr17
; %bb.117:
	s_wait_alu 0xfffe
	s_and_not1_saveexec_b32 s9, s3
; %bb.118:
	v_and_b32_e32 v16, 0xffff, v17
	v_or_b32_e32 v39, 0x10000, v17
	s_delay_alu instid0(VALU_DEP_2) | instskip(SKIP_1) | instid1(VALU_DEP_1)
	v_cmp_eq_u32_e64 s3, 0, v16
	s_wait_alu 0xf1ff
	v_cndmask_b32_e64 v16, v39, v17, s3
; %bb.119:
	s_wait_alu 0xfffe
	s_or_b32 exec_lo, exec_lo, s9
	v_lshlrev_b32_e32 v17, 16, v38
	s_delay_alu instid0(VALU_DEP_1) | instskip(NEXT) | instid1(VALU_DEP_1)
	v_add_f32_e32 v39, 0, v17
	v_and_b32_e32 v17, 0x7f800000, v39
	s_delay_alu instid0(VALU_DEP_1)
	v_cmp_ne_u32_e64 s3, 0x7f800000, v17
                                        ; implicit-def: $vgpr17
	s_and_saveexec_b32 s9, s3
	s_wait_alu 0xfffe
	s_xor_b32 s3, exec_lo, s9
; %bb.120:
	v_bfe_u32 v17, v39, 16, 1
	s_delay_alu instid0(VALU_DEP_1)
	v_add3_u32 v17, v39, v17, 0x7fff
                                        ; implicit-def: $vgpr39
; %bb.121:
	s_wait_alu 0xfffe
	s_and_not1_saveexec_b32 s9, s3
; %bb.122:
	v_and_b32_e32 v17, 0xffff, v39
	v_or_b32_e32 v48, 0x10000, v39
	s_delay_alu instid0(VALU_DEP_2) | instskip(SKIP_1) | instid1(VALU_DEP_1)
	v_cmp_eq_u32_e64 s3, 0, v17
	s_wait_alu 0xf1ff
	v_cndmask_b32_e64 v17, v48, v39, s3
; %bb.123:
	s_wait_alu 0xfffe
	s_or_b32 exec_lo, exec_lo, s9
	v_cmp_lt_i32_e64 s3, -1, v16
	s_delay_alu instid0(VALU_DEP_2) | instskip(SKIP_1) | instid1(VALU_DEP_2)
	v_perm_b32 v16, v17, v16, 0x7060302
	s_wait_alu 0xf1ff
	v_cndmask_b32_e64 v39, -1, 0xffff8000, s3
	v_cmp_lt_i32_e64 s3, -1, v17
	s_wait_alu 0xf1ff
	s_delay_alu instid0(VALU_DEP_1) | instskip(NEXT) | instid1(VALU_DEP_1)
	v_cndmask_b32_e64 v48, -1, 0xffff8000, s3
	v_perm_b32 v17, v48, v39, 0x5040100
	s_delay_alu instid0(VALU_DEP_1) | instskip(NEXT) | instid1(VALU_DEP_1)
	v_xor_b32_e32 v16, v17, v16
	v_lshrrev_b32_e32 v17, 16, v16
	s_delay_alu instid0(VALU_DEP_1)
	v_cmp_le_u16_e64 s3, v16, v17
	s_and_b32 s9, s3, exec_lo
.LBB1971_124:
	s_wait_alu 0xfffe
	s_or_b32 exec_lo, exec_lo, s7
	s_delay_alu instid0(SALU_CYCLE_1)
	s_or_not1_b32 s7, s9, exec_lo
.LBB1971_125:
	s_wait_alu 0xfffe
	s_or_b32 exec_lo, exec_lo, s8
	v_cndmask_b32_e64 v16, v18, v19, s7
	v_cndmask_b32_e64 v17, v26, v25, s7
	s_mov_b32 s9, -1
	s_mov_b32 s8, exec_lo
	s_delay_alu instid0(VALU_DEP_2) | instskip(NEXT) | instid1(VALU_DEP_2)
	v_add_nc_u32_e32 v39, 1, v16
	v_add_nc_u32_e32 v17, -1, v17
	v_lshl_add_u32 v16, v16, 3, v4
	s_delay_alu instid0(VALU_DEP_3) | instskip(NEXT) | instid1(VALU_DEP_3)
	v_cndmask_b32_e64 v18, v39, v18, s7
	v_min_u32_e32 v17, v39, v17
	v_cndmask_b32_e64 v19, v19, v39, s7
	s_delay_alu instid0(VALU_DEP_2)
	v_lshl_add_u32 v17, v17, 1, v8
	ds_load_u16 v48, v17
	ds_load_b64 v[16:17], v16 offset:2048
	s_wait_dscnt 0x1
	v_cndmask_b32_e64 v39, v48, v37, s7
	v_cndmask_b32_e64 v48, v38, v48, s7
	v_cmpx_lt_u32_e64 v18, v26
	s_cbranch_execz .LBB1971_137
; %bb.126:
	s_mov_b32 s10, 0
	s_mov_b32 s9, exec_lo
	v_cmpx_lt_u32_e64 v19, v25
	s_cbranch_execz .LBB1971_136
; %bb.127:
	v_lshlrev_b32_e32 v25, 16, v39
	s_delay_alu instid0(VALU_DEP_1) | instskip(NEXT) | instid1(VALU_DEP_1)
	v_add_f32_e32 v26, 0, v25
	v_and_b32_e32 v25, 0x7f800000, v26
	s_delay_alu instid0(VALU_DEP_1)
	v_cmp_ne_u32_e64 s3, 0x7f800000, v25
                                        ; implicit-def: $vgpr25
	s_and_saveexec_b32 s10, s3
	s_wait_alu 0xfffe
	s_xor_b32 s3, exec_lo, s10
; %bb.128:
	v_bfe_u32 v25, v26, 16, 1
	s_delay_alu instid0(VALU_DEP_1)
	v_add3_u32 v25, v26, v25, 0x7fff
                                        ; implicit-def: $vgpr26
; %bb.129:
	s_wait_alu 0xfffe
	s_and_not1_saveexec_b32 s10, s3
; %bb.130:
	v_and_b32_e32 v25, 0xffff, v26
	v_or_b32_e32 v49, 0x10000, v26
	s_delay_alu instid0(VALU_DEP_2) | instskip(SKIP_1) | instid1(VALU_DEP_1)
	v_cmp_eq_u32_e64 s3, 0, v25
	s_wait_alu 0xf1ff
	v_cndmask_b32_e64 v25, v49, v26, s3
; %bb.131:
	s_wait_alu 0xfffe
	s_or_b32 exec_lo, exec_lo, s10
	v_lshlrev_b32_e32 v26, 16, v48
	s_delay_alu instid0(VALU_DEP_1) | instskip(NEXT) | instid1(VALU_DEP_1)
	v_add_f32_e32 v49, 0, v26
	v_and_b32_e32 v26, 0x7f800000, v49
	s_delay_alu instid0(VALU_DEP_1)
	v_cmp_ne_u32_e64 s3, 0x7f800000, v26
                                        ; implicit-def: $vgpr26
	s_and_saveexec_b32 s10, s3
	s_wait_alu 0xfffe
	s_xor_b32 s3, exec_lo, s10
; %bb.132:
	v_bfe_u32 v26, v49, 16, 1
	s_delay_alu instid0(VALU_DEP_1)
	v_add3_u32 v26, v49, v26, 0x7fff
                                        ; implicit-def: $vgpr49
; %bb.133:
	s_wait_alu 0xfffe
	s_and_not1_saveexec_b32 s10, s3
; %bb.134:
	v_and_b32_e32 v26, 0xffff, v49
	v_or_b32_e32 v50, 0x10000, v49
	s_delay_alu instid0(VALU_DEP_2) | instskip(SKIP_1) | instid1(VALU_DEP_1)
	v_cmp_eq_u32_e64 s3, 0, v26
	s_wait_alu 0xf1ff
	v_cndmask_b32_e64 v26, v50, v49, s3
; %bb.135:
	s_wait_alu 0xfffe
	s_or_b32 exec_lo, exec_lo, s10
	v_cmp_lt_i32_e64 s3, -1, v25
	s_delay_alu instid0(VALU_DEP_2) | instskip(SKIP_1) | instid1(VALU_DEP_2)
	v_perm_b32 v25, v26, v25, 0x7060302
	s_wait_alu 0xf1ff
	v_cndmask_b32_e64 v49, -1, 0xffff8000, s3
	v_cmp_lt_i32_e64 s3, -1, v26
	s_wait_alu 0xf1ff
	s_delay_alu instid0(VALU_DEP_1) | instskip(NEXT) | instid1(VALU_DEP_1)
	v_cndmask_b32_e64 v50, -1, 0xffff8000, s3
	v_perm_b32 v26, v50, v49, 0x5040100
	s_delay_alu instid0(VALU_DEP_1) | instskip(NEXT) | instid1(VALU_DEP_1)
	v_xor_b32_e32 v25, v26, v25
	v_lshrrev_b32_e32 v26, 16, v25
	s_delay_alu instid0(VALU_DEP_1)
	v_cmp_le_u16_e64 s3, v25, v26
	s_and_b32 s10, s3, exec_lo
.LBB1971_136:
	s_wait_alu 0xfffe
	s_or_b32 exec_lo, exec_lo, s9
	s_delay_alu instid0(SALU_CYCLE_1)
	s_or_not1_b32 s9, s10, exec_lo
.LBB1971_137:
	s_wait_alu 0xfffe
	s_or_b32 exec_lo, exec_lo, s8
	v_cndmask_b32_e64 v18, v18, v19, s9
	v_cndmask_b32_e64 v38, v37, v38, s7
	;; [unrolled: 1-line block ×5, first 2 shown]
	v_lshl_add_u32 v18, v18, 3, v4
	ds_load_b64 v[18:19], v18 offset:2048
.LBB1971_138:
	s_wait_alu 0xfffe
	s_or_b32 exec_lo, exec_lo, s5
	v_and_b32_e32 v27, 0x70, v34
	v_and_b32_e32 v31, 12, v34
	s_mov_b32 s4, exec_lo
	; wave barrier
	s_delay_alu instid0(VALU_DEP_2) | instskip(NEXT) | instid1(VALU_DEP_2)
	v_or_b32_e32 v25, 8, v27
	v_min_u32_e32 v31, v20, v31
	ds_store_b16 v5, v37
	ds_store_b64 v22, v[12:13]
	ds_store_b16 v9, v36
	ds_store_b64 v10, v[14:15]
	ds_store_b16 v11, v38
	s_wait_dscnt 0x6
	ds_store_b64 v23, v[16:17]
	ds_store_b16 v21, v35
	s_wait_dscnt 0x7
	ds_store_b64 v24, v[18:19]
	v_min_u32_e32 v25, v20, v25
	; wave barrier
	s_delay_alu instid0(VALU_DEP_1) | instskip(SKIP_1) | instid1(VALU_DEP_2)
	v_add_nc_u32_e32 v26, 8, v25
	v_sub_nc_u32_e32 v49, v25, v27
	v_min_u32_e32 v26, v20, v26
	s_delay_alu instid0(VALU_DEP_1) | instskip(NEXT) | instid1(VALU_DEP_1)
	v_sub_nc_u32_e32 v39, v26, v25
	v_sub_nc_u32_e64 v48, v31, v39 clamp
	s_delay_alu instid0(VALU_DEP_4) | instskip(NEXT) | instid1(VALU_DEP_1)
	v_min_u32_e32 v39, v31, v49
	v_cmpx_lt_u32_e64 v48, v39
	s_cbranch_execz .LBB1971_150
; %bb.139:
	v_lshlrev_b32_e32 v49, 1, v27
	v_lshlrev_b32_e32 v50, 1, v25
	s_mov_b32 s5, 0
	s_delay_alu instid0(VALU_DEP_2) | instskip(NEXT) | instid1(VALU_DEP_2)
	v_add_co_u32 v49, null, v8, v49
	v_add_co_u32 v50, null, v8, v50
	s_branch .LBB1971_141
.LBB1971_140:                           ;   in Loop: Header=BB1971_141 Depth=1
	s_wait_alu 0xfffe
	s_or_b32 exec_lo, exec_lo, s6
	v_cmp_lt_i32_e64 s3, -1, v52
	v_lshrrev_b32_e32 v54, 16, v52
	v_lshrrev_b32_e32 v55, 16, v53
	s_wait_alu 0xf1ff
	s_delay_alu instid0(VALU_DEP_3) | instskip(SKIP_1) | instid1(VALU_DEP_2)
	v_cndmask_b32_e64 v52, -1, 0xffff8000, s3
	v_cmp_lt_i32_e64 s3, -1, v53
	v_xor_b32_e32 v52, v52, v54
	s_wait_alu 0xf1ff
	s_delay_alu instid0(VALU_DEP_2) | instskip(SKIP_1) | instid1(VALU_DEP_2)
	v_cndmask_b32_e64 v53, -1, 0xffff8000, s3
	v_add_nc_u32_e32 v54, 1, v51
	v_xor_b32_e32 v53, v53, v55
	s_delay_alu instid0(VALU_DEP_1) | instskip(SKIP_1) | instid1(VALU_DEP_1)
	v_cmp_gt_u16_e64 s3, v52, v53
	s_wait_alu 0xf1ff
	v_cndmask_b32_e64 v39, v39, v51, s3
	v_cndmask_b32_e64 v48, v54, v48, s3
	s_delay_alu instid0(VALU_DEP_1)
	v_cmp_ge_u32_e64 s3, v48, v39
	s_or_b32 s5, s3, s5
	s_wait_alu 0xfffe
	s_and_not1_b32 exec_lo, exec_lo, s5
	s_cbranch_execz .LBB1971_149
.LBB1971_141:                           ; =>This Inner Loop Header: Depth=1
	v_add_nc_u32_e32 v52, v39, v48
	s_delay_alu instid0(VALU_DEP_1) | instskip(SKIP_1) | instid1(VALU_DEP_2)
	v_lshrrev_b32_e32 v51, 1, v52
	v_and_b32_e32 v52, -2, v52
	v_xad_u32 v53, v51, -1, v31
	s_delay_alu instid0(VALU_DEP_2) | instskip(NEXT) | instid1(VALU_DEP_2)
	v_add_nc_u32_e32 v52, v49, v52
	v_lshl_add_u32 v53, v53, 1, v50
	ds_load_u16 v54, v53
	ds_load_u16 v53, v52
	s_wait_dscnt 0x1
	v_lshlrev_b32_e32 v52, 16, v54
	s_delay_alu instid0(VALU_DEP_1) | instskip(NEXT) | instid1(VALU_DEP_1)
	v_add_f32_e32 v54, 0, v52
	v_and_b32_e32 v52, 0x7f800000, v54
	s_delay_alu instid0(VALU_DEP_1)
	v_cmp_ne_u32_e64 s3, 0x7f800000, v52
                                        ; implicit-def: $vgpr52
	s_and_saveexec_b32 s6, s3
	s_wait_alu 0xfffe
	s_xor_b32 s3, exec_lo, s6
; %bb.142:                              ;   in Loop: Header=BB1971_141 Depth=1
	v_bfe_u32 v52, v54, 16, 1
	s_delay_alu instid0(VALU_DEP_1)
	v_add3_u32 v52, v54, v52, 0x7fff
                                        ; implicit-def: $vgpr54
; %bb.143:                              ;   in Loop: Header=BB1971_141 Depth=1
	s_wait_alu 0xfffe
	s_and_not1_saveexec_b32 s6, s3
; %bb.144:                              ;   in Loop: Header=BB1971_141 Depth=1
	v_and_b32_e32 v52, 0xffff, v54
	v_or_b32_e32 v55, 0x10000, v54
	s_delay_alu instid0(VALU_DEP_2) | instskip(SKIP_1) | instid1(VALU_DEP_1)
	v_cmp_eq_u32_e64 s3, 0, v52
	s_wait_alu 0xf1ff
	v_cndmask_b32_e64 v52, v55, v54, s3
; %bb.145:                              ;   in Loop: Header=BB1971_141 Depth=1
	s_wait_alu 0xfffe
	s_or_b32 exec_lo, exec_lo, s6
	s_wait_dscnt 0x0
	v_lshlrev_b32_e32 v53, 16, v53
	s_delay_alu instid0(VALU_DEP_1) | instskip(NEXT) | instid1(VALU_DEP_1)
	v_add_f32_e32 v54, 0, v53
	v_and_b32_e32 v53, 0x7f800000, v54
	s_delay_alu instid0(VALU_DEP_1)
	v_cmp_ne_u32_e64 s3, 0x7f800000, v53
                                        ; implicit-def: $vgpr53
	s_and_saveexec_b32 s6, s3
	s_wait_alu 0xfffe
	s_xor_b32 s3, exec_lo, s6
; %bb.146:                              ;   in Loop: Header=BB1971_141 Depth=1
	v_bfe_u32 v53, v54, 16, 1
	s_delay_alu instid0(VALU_DEP_1)
	v_add3_u32 v53, v54, v53, 0x7fff
                                        ; implicit-def: $vgpr54
; %bb.147:                              ;   in Loop: Header=BB1971_141 Depth=1
	s_wait_alu 0xfffe
	s_and_not1_saveexec_b32 s6, s3
	s_cbranch_execz .LBB1971_140
; %bb.148:                              ;   in Loop: Header=BB1971_141 Depth=1
	v_and_b32_e32 v53, 0xffff, v54
	v_or_b32_e32 v55, 0x10000, v54
	s_delay_alu instid0(VALU_DEP_2) | instskip(SKIP_1) | instid1(VALU_DEP_1)
	v_cmp_eq_u32_e64 s3, 0, v53
	s_wait_alu 0xf1ff
	v_cndmask_b32_e64 v53, v55, v54, s3
	s_branch .LBB1971_140
.LBB1971_149:
	s_or_b32 exec_lo, exec_lo, s5
.LBB1971_150:
	s_wait_alu 0xfffe
	s_or_b32 exec_lo, exec_lo, s4
	v_add_nc_u32_e32 v31, v25, v31
	v_add_nc_u32_e32 v39, v48, v27
	s_delay_alu instid0(VALU_DEP_2) | instskip(NEXT) | instid1(VALU_DEP_2)
	v_sub_nc_u32_e32 v48, v31, v48
	v_cmp_le_u32_e64 s3, v39, v25
	s_delay_alu instid0(VALU_DEP_2)
	v_cmp_le_u32_e64 s4, v48, v26
	s_or_b32 s3, s3, s4
	s_wait_alu 0xfffe
	s_and_saveexec_b32 s5, s3
	s_cbranch_execz .LBB1971_202
; %bb.151:
	v_cmp_ge_u32_e64 s3, v39, v25
	s_mov_b32 s6, exec_lo
                                        ; implicit-def: $vgpr27
	v_cmpx_lt_u32_e64 v39, v25
; %bb.152:
	v_lshl_add_u32 v12, v39, 1, v8
	ds_load_u16 v27, v12
; %bb.153:
	s_wait_alu 0xfffe
	s_or_b32 exec_lo, exec_lo, s6
	v_cmp_ge_u32_e64 s6, v48, v26
	s_mov_b32 s7, exec_lo
                                        ; implicit-def: $vgpr31
	v_cmpx_lt_u32_e64 v48, v26
; %bb.154:
	v_lshl_add_u32 v12, v48, 1, v8
	ds_load_u16 v31, v12
; %bb.155:
	s_wait_alu 0xfffe
	s_or_b32 exec_lo, exec_lo, s7
	s_nor_b32 s3, s3, s6
	s_wait_alu 0xfffe
	s_and_saveexec_b32 s4, s3
	s_cbranch_execz .LBB1971_165
; %bb.156:
	s_wait_dscnt 0x0
	v_lshlrev_b32_e32 v12, 16, v31
	s_delay_alu instid0(VALU_DEP_1) | instskip(NEXT) | instid1(VALU_DEP_1)
	v_add_f32_e32 v13, 0, v12
	v_and_b32_e32 v12, 0x7f800000, v13
	s_delay_alu instid0(VALU_DEP_1)
	v_cmp_ne_u32_e64 s3, 0x7f800000, v12
                                        ; implicit-def: $vgpr12
	s_and_saveexec_b32 s7, s3
	s_wait_alu 0xfffe
	s_xor_b32 s3, exec_lo, s7
; %bb.157:
	v_bfe_u32 v12, v13, 16, 1
	s_delay_alu instid0(VALU_DEP_1)
	v_add3_u32 v12, v13, v12, 0x7fff
                                        ; implicit-def: $vgpr13
; %bb.158:
	s_wait_alu 0xfffe
	s_and_not1_saveexec_b32 s7, s3
; %bb.159:
	v_and_b32_e32 v12, 0xffff, v13
	v_or_b32_e32 v14, 0x10000, v13
	s_delay_alu instid0(VALU_DEP_2) | instskip(SKIP_1) | instid1(VALU_DEP_1)
	v_cmp_eq_u32_e64 s3, 0, v12
	s_wait_alu 0xf1ff
	v_cndmask_b32_e64 v12, v14, v13, s3
; %bb.160:
	s_wait_alu 0xfffe
	s_or_b32 exec_lo, exec_lo, s7
	v_lshlrev_b32_e32 v13, 16, v27
	s_delay_alu instid0(VALU_DEP_1) | instskip(NEXT) | instid1(VALU_DEP_1)
	v_add_f32_e32 v14, 0, v13
	v_and_b32_e32 v13, 0x7f800000, v14
	s_delay_alu instid0(VALU_DEP_1)
	v_cmp_ne_u32_e64 s3, 0x7f800000, v13
                                        ; implicit-def: $vgpr13
	s_and_saveexec_b32 s7, s3
	s_wait_alu 0xfffe
	s_xor_b32 s3, exec_lo, s7
; %bb.161:
	v_bfe_u32 v13, v14, 16, 1
	s_delay_alu instid0(VALU_DEP_1)
	v_add3_u32 v13, v14, v13, 0x7fff
                                        ; implicit-def: $vgpr14
; %bb.162:
	s_wait_alu 0xfffe
	s_and_not1_saveexec_b32 s7, s3
; %bb.163:
	v_and_b32_e32 v13, 0xffff, v14
	v_or_b32_e32 v15, 0x10000, v14
	s_delay_alu instid0(VALU_DEP_2) | instskip(SKIP_1) | instid1(VALU_DEP_1)
	v_cmp_eq_u32_e64 s3, 0, v13
	s_wait_alu 0xf1ff
	v_cndmask_b32_e64 v13, v15, v14, s3
; %bb.164:
	s_wait_alu 0xfffe
	s_or_b32 exec_lo, exec_lo, s7
	v_cmp_lt_i32_e64 s3, -1, v12
	s_delay_alu instid0(VALU_DEP_2) | instskip(SKIP_4) | instid1(VALU_DEP_1)
	v_perm_b32 v12, v13, v12, 0x7060302
	s_and_not1_b32 s6, s6, exec_lo
	v_cndmask_b32_e64 v14, -1, 0xffff8000, s3
	v_cmp_lt_i32_e64 s3, -1, v13
	s_wait_alu 0xf1ff
	v_cndmask_b32_e64 v15, -1, 0xffff8000, s3
	s_delay_alu instid0(VALU_DEP_1) | instskip(NEXT) | instid1(VALU_DEP_1)
	v_perm_b32 v13, v15, v14, 0x5040100
	v_xor_b32_e32 v12, v13, v12
	s_delay_alu instid0(VALU_DEP_1) | instskip(NEXT) | instid1(VALU_DEP_1)
	v_lshrrev_b32_e32 v13, 16, v12
	v_cmp_le_u16_e64 s3, v12, v13
	s_and_b32 s3, s3, exec_lo
	s_wait_alu 0xfffe
	s_or_b32 s6, s6, s3
.LBB1971_165:
	s_wait_alu 0xfffe
	s_or_b32 exec_lo, exec_lo, s4
	v_cndmask_b32_e64 v12, v48, v39, s6
	v_cndmask_b32_e64 v13, v26, v25, s6
	s_mov_b32 s7, -1
	s_mov_b32 s4, -1
	s_mov_b32 s8, exec_lo
	v_add_nc_u32_e32 v14, 1, v12
	v_add_nc_u32_e32 v13, -1, v13
	v_lshl_add_u32 v12, v12, 3, v4
	s_delay_alu instid0(VALU_DEP_3) | instskip(NEXT) | instid1(VALU_DEP_3)
	v_cndmask_b32_e64 v16, v14, v48, s6
	v_min_u32_e32 v13, v14, v13
	v_cndmask_b32_e64 v17, v39, v14, s6
	s_delay_alu instid0(VALU_DEP_2)
	v_lshl_add_u32 v13, v13, 1, v8
	ds_load_u16 v15, v13
	ds_load_b64 v[12:13], v12 offset:2048
	s_wait_dscnt 0x1
	v_cndmask_b32_e64 v35, v15, v31, s6
	v_cndmask_b32_e64 v36, v27, v15, s6
	v_cmpx_lt_u32_e64 v16, v26
	s_cbranch_execz .LBB1971_177
; %bb.166:
	s_mov_b32 s9, 0
	s_mov_b32 s4, exec_lo
	v_cmpx_lt_u32_e64 v17, v25
	s_cbranch_execz .LBB1971_176
; %bb.167:
	v_lshlrev_b32_e32 v14, 16, v35
	s_delay_alu instid0(VALU_DEP_1) | instskip(NEXT) | instid1(VALU_DEP_1)
	v_add_f32_e32 v15, 0, v14
	v_and_b32_e32 v14, 0x7f800000, v15
	s_delay_alu instid0(VALU_DEP_1)
	v_cmp_ne_u32_e64 s3, 0x7f800000, v14
                                        ; implicit-def: $vgpr14
	s_and_saveexec_b32 s9, s3
	s_wait_alu 0xfffe
	s_xor_b32 s3, exec_lo, s9
; %bb.168:
	v_bfe_u32 v14, v15, 16, 1
	s_delay_alu instid0(VALU_DEP_1)
	v_add3_u32 v14, v15, v14, 0x7fff
                                        ; implicit-def: $vgpr15
; %bb.169:
	s_wait_alu 0xfffe
	s_and_not1_saveexec_b32 s9, s3
; %bb.170:
	v_and_b32_e32 v14, 0xffff, v15
	v_or_b32_e32 v18, 0x10000, v15
	s_delay_alu instid0(VALU_DEP_2) | instskip(SKIP_1) | instid1(VALU_DEP_1)
	v_cmp_eq_u32_e64 s3, 0, v14
	s_wait_alu 0xf1ff
	v_cndmask_b32_e64 v14, v18, v15, s3
; %bb.171:
	s_wait_alu 0xfffe
	s_or_b32 exec_lo, exec_lo, s9
	v_lshlrev_b32_e32 v15, 16, v36
	s_delay_alu instid0(VALU_DEP_1) | instskip(NEXT) | instid1(VALU_DEP_1)
	v_add_f32_e32 v18, 0, v15
	v_and_b32_e32 v15, 0x7f800000, v18
	s_delay_alu instid0(VALU_DEP_1)
	v_cmp_ne_u32_e64 s3, 0x7f800000, v15
                                        ; implicit-def: $vgpr15
	s_and_saveexec_b32 s9, s3
	s_wait_alu 0xfffe
	s_xor_b32 s3, exec_lo, s9
; %bb.172:
	v_bfe_u32 v15, v18, 16, 1
	s_delay_alu instid0(VALU_DEP_1)
	v_add3_u32 v15, v18, v15, 0x7fff
                                        ; implicit-def: $vgpr18
; %bb.173:
	s_wait_alu 0xfffe
	s_and_not1_saveexec_b32 s9, s3
; %bb.174:
	v_and_b32_e32 v15, 0xffff, v18
	v_or_b32_e32 v19, 0x10000, v18
	s_delay_alu instid0(VALU_DEP_2) | instskip(SKIP_1) | instid1(VALU_DEP_1)
	v_cmp_eq_u32_e64 s3, 0, v15
	s_wait_alu 0xf1ff
	v_cndmask_b32_e64 v15, v19, v18, s3
; %bb.175:
	s_wait_alu 0xfffe
	s_or_b32 exec_lo, exec_lo, s9
	v_cmp_lt_i32_e64 s3, -1, v14
	s_delay_alu instid0(VALU_DEP_2) | instskip(SKIP_1) | instid1(VALU_DEP_2)
	v_perm_b32 v14, v15, v14, 0x7060302
	s_wait_alu 0xf1ff
	v_cndmask_b32_e64 v18, -1, 0xffff8000, s3
	v_cmp_lt_i32_e64 s3, -1, v15
	s_wait_alu 0xf1ff
	s_delay_alu instid0(VALU_DEP_1) | instskip(NEXT) | instid1(VALU_DEP_1)
	v_cndmask_b32_e64 v19, -1, 0xffff8000, s3
	v_perm_b32 v15, v19, v18, 0x5040100
	s_delay_alu instid0(VALU_DEP_1) | instskip(NEXT) | instid1(VALU_DEP_1)
	v_xor_b32_e32 v14, v15, v14
	v_lshrrev_b32_e32 v15, 16, v14
	s_delay_alu instid0(VALU_DEP_1)
	v_cmp_le_u16_e64 s3, v14, v15
	s_and_b32 s9, s3, exec_lo
.LBB1971_176:
	s_wait_alu 0xfffe
	s_or_b32 exec_lo, exec_lo, s4
	s_delay_alu instid0(SALU_CYCLE_1)
	s_or_not1_b32 s4, s9, exec_lo
.LBB1971_177:
	s_wait_alu 0xfffe
	s_or_b32 exec_lo, exec_lo, s8
	v_cndmask_b32_e64 v14, v16, v17, s4
	v_cndmask_b32_e64 v15, v26, v25, s4
	s_mov_b32 s8, exec_lo
	s_delay_alu instid0(VALU_DEP_2) | instskip(NEXT) | instid1(VALU_DEP_2)
	v_add_nc_u32_e32 v19, 1, v14
	v_add_nc_u32_e32 v15, -1, v15
	v_lshl_add_u32 v14, v14, 3, v4
	s_delay_alu instid0(VALU_DEP_3) | instskip(NEXT) | instid1(VALU_DEP_3)
	v_cndmask_b32_e64 v18, v19, v16, s4
	v_min_u32_e32 v15, v19, v15
	v_cndmask_b32_e64 v19, v17, v19, s4
	s_delay_alu instid0(VALU_DEP_2)
	v_lshl_add_u32 v15, v15, 1, v8
	ds_load_u16 v38, v15
	ds_load_b64 v[14:15], v14 offset:2048
	s_wait_dscnt 0x1
	v_cndmask_b32_e64 v37, v38, v35, s4
	v_cndmask_b32_e64 v38, v36, v38, s4
	v_cmpx_lt_u32_e64 v18, v26
	s_cbranch_execz .LBB1971_189
; %bb.178:
	s_mov_b32 s9, 0
	s_mov_b32 s7, exec_lo
	v_cmpx_lt_u32_e64 v19, v25
	s_cbranch_execz .LBB1971_188
; %bb.179:
	v_lshlrev_b32_e32 v16, 16, v37
	s_delay_alu instid0(VALU_DEP_1) | instskip(NEXT) | instid1(VALU_DEP_1)
	v_add_f32_e32 v17, 0, v16
	v_and_b32_e32 v16, 0x7f800000, v17
	s_delay_alu instid0(VALU_DEP_1)
	v_cmp_ne_u32_e64 s3, 0x7f800000, v16
                                        ; implicit-def: $vgpr16
	s_and_saveexec_b32 s9, s3
	s_wait_alu 0xfffe
	s_xor_b32 s3, exec_lo, s9
; %bb.180:
	v_bfe_u32 v16, v17, 16, 1
	s_delay_alu instid0(VALU_DEP_1)
	v_add3_u32 v16, v17, v16, 0x7fff
                                        ; implicit-def: $vgpr17
; %bb.181:
	s_wait_alu 0xfffe
	s_and_not1_saveexec_b32 s9, s3
; %bb.182:
	v_and_b32_e32 v16, 0xffff, v17
	v_or_b32_e32 v39, 0x10000, v17
	s_delay_alu instid0(VALU_DEP_2) | instskip(SKIP_1) | instid1(VALU_DEP_1)
	v_cmp_eq_u32_e64 s3, 0, v16
	s_wait_alu 0xf1ff
	v_cndmask_b32_e64 v16, v39, v17, s3
; %bb.183:
	s_wait_alu 0xfffe
	s_or_b32 exec_lo, exec_lo, s9
	v_lshlrev_b32_e32 v17, 16, v38
	s_delay_alu instid0(VALU_DEP_1) | instskip(NEXT) | instid1(VALU_DEP_1)
	v_add_f32_e32 v39, 0, v17
	v_and_b32_e32 v17, 0x7f800000, v39
	s_delay_alu instid0(VALU_DEP_1)
	v_cmp_ne_u32_e64 s3, 0x7f800000, v17
                                        ; implicit-def: $vgpr17
	s_and_saveexec_b32 s9, s3
	s_wait_alu 0xfffe
	s_xor_b32 s3, exec_lo, s9
; %bb.184:
	v_bfe_u32 v17, v39, 16, 1
	s_delay_alu instid0(VALU_DEP_1)
	v_add3_u32 v17, v39, v17, 0x7fff
                                        ; implicit-def: $vgpr39
; %bb.185:
	s_wait_alu 0xfffe
	s_and_not1_saveexec_b32 s9, s3
; %bb.186:
	v_and_b32_e32 v17, 0xffff, v39
	v_or_b32_e32 v48, 0x10000, v39
	s_delay_alu instid0(VALU_DEP_2) | instskip(SKIP_1) | instid1(VALU_DEP_1)
	v_cmp_eq_u32_e64 s3, 0, v17
	s_wait_alu 0xf1ff
	v_cndmask_b32_e64 v17, v48, v39, s3
; %bb.187:
	s_wait_alu 0xfffe
	s_or_b32 exec_lo, exec_lo, s9
	v_cmp_lt_i32_e64 s3, -1, v16
	s_delay_alu instid0(VALU_DEP_2) | instskip(SKIP_1) | instid1(VALU_DEP_2)
	v_perm_b32 v16, v17, v16, 0x7060302
	s_wait_alu 0xf1ff
	v_cndmask_b32_e64 v39, -1, 0xffff8000, s3
	v_cmp_lt_i32_e64 s3, -1, v17
	s_wait_alu 0xf1ff
	s_delay_alu instid0(VALU_DEP_1) | instskip(NEXT) | instid1(VALU_DEP_1)
	v_cndmask_b32_e64 v48, -1, 0xffff8000, s3
	v_perm_b32 v17, v48, v39, 0x5040100
	s_delay_alu instid0(VALU_DEP_1) | instskip(NEXT) | instid1(VALU_DEP_1)
	v_xor_b32_e32 v16, v17, v16
	v_lshrrev_b32_e32 v17, 16, v16
	s_delay_alu instid0(VALU_DEP_1)
	v_cmp_le_u16_e64 s3, v16, v17
	s_and_b32 s9, s3, exec_lo
.LBB1971_188:
	s_wait_alu 0xfffe
	s_or_b32 exec_lo, exec_lo, s7
	s_delay_alu instid0(SALU_CYCLE_1)
	s_or_not1_b32 s7, s9, exec_lo
.LBB1971_189:
	s_wait_alu 0xfffe
	s_or_b32 exec_lo, exec_lo, s8
	v_cndmask_b32_e64 v16, v18, v19, s7
	v_cndmask_b32_e64 v17, v26, v25, s7
	s_mov_b32 s9, -1
	s_mov_b32 s8, exec_lo
	s_delay_alu instid0(VALU_DEP_2) | instskip(NEXT) | instid1(VALU_DEP_2)
	v_add_nc_u32_e32 v39, 1, v16
	v_add_nc_u32_e32 v17, -1, v17
	v_lshl_add_u32 v16, v16, 3, v4
	s_delay_alu instid0(VALU_DEP_3) | instskip(NEXT) | instid1(VALU_DEP_3)
	v_cndmask_b32_e64 v18, v39, v18, s7
	v_min_u32_e32 v17, v39, v17
	v_cndmask_b32_e64 v19, v19, v39, s7
	s_delay_alu instid0(VALU_DEP_2)
	v_lshl_add_u32 v17, v17, 1, v8
	ds_load_u16 v48, v17
	ds_load_b64 v[16:17], v16 offset:2048
	s_wait_dscnt 0x1
	v_cndmask_b32_e64 v39, v48, v37, s7
	v_cndmask_b32_e64 v48, v38, v48, s7
	v_cmpx_lt_u32_e64 v18, v26
	s_cbranch_execz .LBB1971_201
; %bb.190:
	s_mov_b32 s10, 0
	s_mov_b32 s9, exec_lo
	v_cmpx_lt_u32_e64 v19, v25
	s_cbranch_execz .LBB1971_200
; %bb.191:
	v_lshlrev_b32_e32 v25, 16, v39
	s_delay_alu instid0(VALU_DEP_1) | instskip(NEXT) | instid1(VALU_DEP_1)
	v_add_f32_e32 v26, 0, v25
	v_and_b32_e32 v25, 0x7f800000, v26
	s_delay_alu instid0(VALU_DEP_1)
	v_cmp_ne_u32_e64 s3, 0x7f800000, v25
                                        ; implicit-def: $vgpr25
	s_and_saveexec_b32 s10, s3
	s_wait_alu 0xfffe
	s_xor_b32 s3, exec_lo, s10
; %bb.192:
	v_bfe_u32 v25, v26, 16, 1
	s_delay_alu instid0(VALU_DEP_1)
	v_add3_u32 v25, v26, v25, 0x7fff
                                        ; implicit-def: $vgpr26
; %bb.193:
	s_wait_alu 0xfffe
	s_and_not1_saveexec_b32 s10, s3
; %bb.194:
	v_and_b32_e32 v25, 0xffff, v26
	v_or_b32_e32 v49, 0x10000, v26
	s_delay_alu instid0(VALU_DEP_2) | instskip(SKIP_1) | instid1(VALU_DEP_1)
	v_cmp_eq_u32_e64 s3, 0, v25
	s_wait_alu 0xf1ff
	v_cndmask_b32_e64 v25, v49, v26, s3
; %bb.195:
	s_wait_alu 0xfffe
	s_or_b32 exec_lo, exec_lo, s10
	v_lshlrev_b32_e32 v26, 16, v48
	s_delay_alu instid0(VALU_DEP_1) | instskip(NEXT) | instid1(VALU_DEP_1)
	v_add_f32_e32 v49, 0, v26
	v_and_b32_e32 v26, 0x7f800000, v49
	s_delay_alu instid0(VALU_DEP_1)
	v_cmp_ne_u32_e64 s3, 0x7f800000, v26
                                        ; implicit-def: $vgpr26
	s_and_saveexec_b32 s10, s3
	s_wait_alu 0xfffe
	s_xor_b32 s3, exec_lo, s10
; %bb.196:
	v_bfe_u32 v26, v49, 16, 1
	s_delay_alu instid0(VALU_DEP_1)
	v_add3_u32 v26, v49, v26, 0x7fff
                                        ; implicit-def: $vgpr49
; %bb.197:
	s_wait_alu 0xfffe
	s_and_not1_saveexec_b32 s10, s3
; %bb.198:
	v_and_b32_e32 v26, 0xffff, v49
	v_or_b32_e32 v50, 0x10000, v49
	s_delay_alu instid0(VALU_DEP_2) | instskip(SKIP_1) | instid1(VALU_DEP_1)
	v_cmp_eq_u32_e64 s3, 0, v26
	s_wait_alu 0xf1ff
	v_cndmask_b32_e64 v26, v50, v49, s3
; %bb.199:
	s_wait_alu 0xfffe
	s_or_b32 exec_lo, exec_lo, s10
	v_cmp_lt_i32_e64 s3, -1, v25
	s_delay_alu instid0(VALU_DEP_2) | instskip(SKIP_1) | instid1(VALU_DEP_2)
	v_perm_b32 v25, v26, v25, 0x7060302
	s_wait_alu 0xf1ff
	v_cndmask_b32_e64 v49, -1, 0xffff8000, s3
	v_cmp_lt_i32_e64 s3, -1, v26
	s_wait_alu 0xf1ff
	s_delay_alu instid0(VALU_DEP_1) | instskip(NEXT) | instid1(VALU_DEP_1)
	v_cndmask_b32_e64 v50, -1, 0xffff8000, s3
	v_perm_b32 v26, v50, v49, 0x5040100
	s_delay_alu instid0(VALU_DEP_1) | instskip(NEXT) | instid1(VALU_DEP_1)
	v_xor_b32_e32 v25, v26, v25
	v_lshrrev_b32_e32 v26, 16, v25
	s_delay_alu instid0(VALU_DEP_1)
	v_cmp_le_u16_e64 s3, v25, v26
	s_and_b32 s10, s3, exec_lo
.LBB1971_200:
	s_wait_alu 0xfffe
	s_or_b32 exec_lo, exec_lo, s9
	s_delay_alu instid0(SALU_CYCLE_1)
	s_or_not1_b32 s9, s10, exec_lo
.LBB1971_201:
	s_wait_alu 0xfffe
	s_or_b32 exec_lo, exec_lo, s8
	v_cndmask_b32_e64 v18, v18, v19, s9
	v_cndmask_b32_e64 v38, v37, v38, s7
	;; [unrolled: 1-line block ×5, first 2 shown]
	v_lshl_add_u32 v18, v18, 3, v4
	ds_load_b64 v[18:19], v18 offset:2048
.LBB1971_202:
	s_wait_alu 0xfffe
	s_or_b32 exec_lo, exec_lo, s5
	v_and_b32_e32 v27, 0x60, v34
	; wave barrier
	ds_store_b16 v5, v37
	ds_store_b64 v22, v[12:13]
	s_mov_b32 s4, exec_lo
	v_or_b32_e32 v25, 16, v27
	ds_store_b16 v9, v36
	ds_store_b64 v10, v[14:15]
	ds_store_b16 v11, v38
	s_wait_dscnt 0x6
	ds_store_b64 v23, v[16:17]
	ds_store_b16 v21, v35
	s_wait_dscnt 0x7
	ds_store_b64 v24, v[18:19]
	; wave barrier
	v_min_u32_e32 v25, v20, v25
	s_delay_alu instid0(VALU_DEP_1) | instskip(NEXT) | instid1(VALU_DEP_1)
	v_add_nc_u32_e32 v26, 16, v25
	v_min_u32_e32 v26, v20, v26
	v_min_u32_e32 v20, v20, v33
	v_sub_nc_u32_e32 v33, v25, v27
	s_delay_alu instid0(VALU_DEP_3) | instskip(NEXT) | instid1(VALU_DEP_2)
	v_sub_nc_u32_e32 v31, v26, v25
	v_min_u32_e32 v22, v20, v33
	s_delay_alu instid0(VALU_DEP_2) | instskip(NEXT) | instid1(VALU_DEP_1)
	v_sub_nc_u32_e64 v5, v20, v31 clamp
	v_cmpx_lt_u32_e64 v5, v22
	s_cbranch_execz .LBB1971_214
; %bb.203:
	v_lshlrev_b32_e32 v9, 1, v27
	v_lshlrev_b32_e32 v10, 1, v25
	s_mov_b32 s5, 0
	s_delay_alu instid0(VALU_DEP_2) | instskip(NEXT) | instid1(VALU_DEP_2)
	v_add_co_u32 v9, null, v8, v9
	v_add_co_u32 v10, null, v8, v10
	s_branch .LBB1971_205
.LBB1971_204:                           ;   in Loop: Header=BB1971_205 Depth=1
	s_wait_alu 0xfffe
	s_or_b32 exec_lo, exec_lo, s6
	v_cmp_lt_i32_e64 s3, -1, v21
	v_lshrrev_b32_e32 v24, 16, v21
	v_lshrrev_b32_e32 v31, 16, v23
	s_wait_alu 0xf1ff
	s_delay_alu instid0(VALU_DEP_3) | instskip(SKIP_1) | instid1(VALU_DEP_2)
	v_cndmask_b32_e64 v21, -1, 0xffff8000, s3
	v_cmp_lt_i32_e64 s3, -1, v23
	v_xor_b32_e32 v21, v21, v24
	s_wait_alu 0xf1ff
	s_delay_alu instid0(VALU_DEP_2) | instskip(SKIP_1) | instid1(VALU_DEP_2)
	v_cndmask_b32_e64 v23, -1, 0xffff8000, s3
	v_add_nc_u32_e32 v24, 1, v11
	v_xor_b32_e32 v23, v23, v31
	s_delay_alu instid0(VALU_DEP_1) | instskip(SKIP_1) | instid1(VALU_DEP_1)
	v_cmp_gt_u16_e64 s3, v21, v23
	s_wait_alu 0xf1ff
	v_cndmask_b32_e64 v22, v22, v11, s3
	v_cndmask_b32_e64 v5, v24, v5, s3
	s_delay_alu instid0(VALU_DEP_1)
	v_cmp_ge_u32_e64 s3, v5, v22
	s_or_b32 s5, s3, s5
	s_wait_alu 0xfffe
	s_and_not1_b32 exec_lo, exec_lo, s5
	s_cbranch_execz .LBB1971_213
.LBB1971_205:                           ; =>This Inner Loop Header: Depth=1
	v_add_nc_u32_e32 v21, v22, v5
	s_delay_alu instid0(VALU_DEP_1) | instskip(SKIP_1) | instid1(VALU_DEP_2)
	v_lshrrev_b32_e32 v11, 1, v21
	v_and_b32_e32 v21, -2, v21
	v_xad_u32 v23, v11, -1, v20
	s_delay_alu instid0(VALU_DEP_2) | instskip(NEXT) | instid1(VALU_DEP_2)
	v_add_nc_u32_e32 v21, v9, v21
	v_lshl_add_u32 v23, v23, 1, v10
	ds_load_u16 v24, v23
	ds_load_u16 v23, v21
	s_wait_dscnt 0x1
	v_lshlrev_b32_e32 v21, 16, v24
	s_delay_alu instid0(VALU_DEP_1) | instskip(NEXT) | instid1(VALU_DEP_1)
	v_add_f32_e32 v24, 0, v21
	v_and_b32_e32 v21, 0x7f800000, v24
	s_delay_alu instid0(VALU_DEP_1)
	v_cmp_ne_u32_e64 s3, 0x7f800000, v21
                                        ; implicit-def: $vgpr21
	s_and_saveexec_b32 s6, s3
	s_wait_alu 0xfffe
	s_xor_b32 s3, exec_lo, s6
; %bb.206:                              ;   in Loop: Header=BB1971_205 Depth=1
	v_bfe_u32 v21, v24, 16, 1
	s_delay_alu instid0(VALU_DEP_1)
	v_add3_u32 v21, v24, v21, 0x7fff
                                        ; implicit-def: $vgpr24
; %bb.207:                              ;   in Loop: Header=BB1971_205 Depth=1
	s_wait_alu 0xfffe
	s_and_not1_saveexec_b32 s6, s3
; %bb.208:                              ;   in Loop: Header=BB1971_205 Depth=1
	v_and_b32_e32 v21, 0xffff, v24
	v_or_b32_e32 v31, 0x10000, v24
	s_delay_alu instid0(VALU_DEP_2) | instskip(SKIP_1) | instid1(VALU_DEP_1)
	v_cmp_eq_u32_e64 s3, 0, v21
	s_wait_alu 0xf1ff
	v_cndmask_b32_e64 v21, v31, v24, s3
; %bb.209:                              ;   in Loop: Header=BB1971_205 Depth=1
	s_wait_alu 0xfffe
	s_or_b32 exec_lo, exec_lo, s6
	s_wait_dscnt 0x0
	v_lshlrev_b32_e32 v23, 16, v23
	s_delay_alu instid0(VALU_DEP_1) | instskip(NEXT) | instid1(VALU_DEP_1)
	v_add_f32_e32 v24, 0, v23
	v_and_b32_e32 v23, 0x7f800000, v24
	s_delay_alu instid0(VALU_DEP_1)
	v_cmp_ne_u32_e64 s3, 0x7f800000, v23
                                        ; implicit-def: $vgpr23
	s_and_saveexec_b32 s6, s3
	s_wait_alu 0xfffe
	s_xor_b32 s3, exec_lo, s6
; %bb.210:                              ;   in Loop: Header=BB1971_205 Depth=1
	v_bfe_u32 v23, v24, 16, 1
	s_delay_alu instid0(VALU_DEP_1)
	v_add3_u32 v23, v24, v23, 0x7fff
                                        ; implicit-def: $vgpr24
; %bb.211:                              ;   in Loop: Header=BB1971_205 Depth=1
	s_wait_alu 0xfffe
	s_and_not1_saveexec_b32 s6, s3
	s_cbranch_execz .LBB1971_204
; %bb.212:                              ;   in Loop: Header=BB1971_205 Depth=1
	v_and_b32_e32 v23, 0xffff, v24
	v_or_b32_e32 v31, 0x10000, v24
	s_delay_alu instid0(VALU_DEP_2) | instskip(SKIP_1) | instid1(VALU_DEP_1)
	v_cmp_eq_u32_e64 s3, 0, v23
	s_wait_alu 0xf1ff
	v_cndmask_b32_e64 v23, v31, v24, s3
	s_branch .LBB1971_204
.LBB1971_213:
	s_or_b32 exec_lo, exec_lo, s5
.LBB1971_214:
	s_wait_alu 0xfffe
	s_or_b32 exec_lo, exec_lo, s4
	v_add_nc_u32_e32 v9, v25, v20
	v_add_nc_u32_e32 v10, v5, v27
	s_delay_alu instid0(VALU_DEP_2) | instskip(NEXT) | instid1(VALU_DEP_2)
	v_sub_nc_u32_e32 v11, v9, v5
	v_cmp_le_u32_e64 s3, v10, v25
	s_delay_alu instid0(VALU_DEP_2)
	v_cmp_le_u32_e64 s4, v11, v26
	s_or_b32 s3, s3, s4
	s_wait_alu 0xfffe
	s_and_saveexec_b32 s5, s3
	s_cbranch_execz .LBB1971_266
; %bb.215:
	v_cmp_ge_u32_e64 s3, v10, v25
	s_mov_b32 s6, exec_lo
                                        ; implicit-def: $vgpr5
	v_cmpx_lt_u32_e64 v10, v25
; %bb.216:
	v_lshl_add_u32 v5, v10, 1, v8
	ds_load_u16 v5, v5
; %bb.217:
	s_wait_alu 0xfffe
	s_or_b32 exec_lo, exec_lo, s6
	v_cmp_ge_u32_e64 s6, v11, v26
	s_mov_b32 s7, exec_lo
                                        ; implicit-def: $vgpr9
	v_cmpx_lt_u32_e64 v11, v26
; %bb.218:
	v_lshl_add_u32 v9, v11, 1, v8
	ds_load_u16 v9, v9
; %bb.219:
	s_wait_alu 0xfffe
	s_or_b32 exec_lo, exec_lo, s7
	s_nor_b32 s3, s3, s6
	s_wait_alu 0xfffe
	s_and_saveexec_b32 s4, s3
	s_cbranch_execz .LBB1971_229
; %bb.220:
	s_wait_dscnt 0x0
	v_lshlrev_b32_e32 v12, 16, v9
	s_delay_alu instid0(VALU_DEP_1) | instskip(NEXT) | instid1(VALU_DEP_1)
	v_add_f32_e32 v13, 0, v12
	v_and_b32_e32 v12, 0x7f800000, v13
	s_delay_alu instid0(VALU_DEP_1)
	v_cmp_ne_u32_e64 s3, 0x7f800000, v12
                                        ; implicit-def: $vgpr12
	s_and_saveexec_b32 s7, s3
	s_wait_alu 0xfffe
	s_xor_b32 s3, exec_lo, s7
; %bb.221:
	v_bfe_u32 v12, v13, 16, 1
	s_delay_alu instid0(VALU_DEP_1)
	v_add3_u32 v12, v13, v12, 0x7fff
                                        ; implicit-def: $vgpr13
; %bb.222:
	s_wait_alu 0xfffe
	s_and_not1_saveexec_b32 s7, s3
; %bb.223:
	v_and_b32_e32 v12, 0xffff, v13
	v_or_b32_e32 v14, 0x10000, v13
	s_delay_alu instid0(VALU_DEP_2) | instskip(SKIP_1) | instid1(VALU_DEP_1)
	v_cmp_eq_u32_e64 s3, 0, v12
	s_wait_alu 0xf1ff
	v_cndmask_b32_e64 v12, v14, v13, s3
; %bb.224:
	s_wait_alu 0xfffe
	s_or_b32 exec_lo, exec_lo, s7
	v_lshlrev_b32_e32 v13, 16, v5
	s_delay_alu instid0(VALU_DEP_1) | instskip(NEXT) | instid1(VALU_DEP_1)
	v_add_f32_e32 v14, 0, v13
	v_and_b32_e32 v13, 0x7f800000, v14
	s_delay_alu instid0(VALU_DEP_1)
	v_cmp_ne_u32_e64 s3, 0x7f800000, v13
                                        ; implicit-def: $vgpr13
	s_and_saveexec_b32 s7, s3
	s_wait_alu 0xfffe
	s_xor_b32 s3, exec_lo, s7
; %bb.225:
	v_bfe_u32 v13, v14, 16, 1
	s_delay_alu instid0(VALU_DEP_1)
	v_add3_u32 v13, v14, v13, 0x7fff
                                        ; implicit-def: $vgpr14
; %bb.226:
	s_wait_alu 0xfffe
	s_and_not1_saveexec_b32 s7, s3
; %bb.227:
	v_and_b32_e32 v13, 0xffff, v14
	v_or_b32_e32 v15, 0x10000, v14
	s_delay_alu instid0(VALU_DEP_2) | instskip(SKIP_1) | instid1(VALU_DEP_1)
	v_cmp_eq_u32_e64 s3, 0, v13
	s_wait_alu 0xf1ff
	v_cndmask_b32_e64 v13, v15, v14, s3
; %bb.228:
	s_wait_alu 0xfffe
	s_or_b32 exec_lo, exec_lo, s7
	v_cmp_lt_i32_e64 s3, -1, v12
	s_delay_alu instid0(VALU_DEP_2) | instskip(SKIP_4) | instid1(VALU_DEP_1)
	v_perm_b32 v12, v13, v12, 0x7060302
	s_and_not1_b32 s6, s6, exec_lo
	v_cndmask_b32_e64 v14, -1, 0xffff8000, s3
	v_cmp_lt_i32_e64 s3, -1, v13
	s_wait_alu 0xf1ff
	v_cndmask_b32_e64 v15, -1, 0xffff8000, s3
	s_delay_alu instid0(VALU_DEP_1) | instskip(NEXT) | instid1(VALU_DEP_1)
	v_perm_b32 v13, v15, v14, 0x5040100
	v_xor_b32_e32 v12, v13, v12
	s_delay_alu instid0(VALU_DEP_1) | instskip(NEXT) | instid1(VALU_DEP_1)
	v_lshrrev_b32_e32 v13, 16, v12
	v_cmp_le_u16_e64 s3, v12, v13
	s_and_b32 s3, s3, exec_lo
	s_wait_alu 0xfffe
	s_or_b32 s6, s6, s3
.LBB1971_229:
	s_wait_alu 0xfffe
	s_or_b32 exec_lo, exec_lo, s4
	v_cndmask_b32_e64 v12, v11, v10, s6
	v_cndmask_b32_e64 v13, v26, v25, s6
	s_mov_b32 s7, -1
	s_mov_b32 s4, -1
	s_mov_b32 s8, exec_lo
	v_add_nc_u32_e32 v14, 1, v12
	v_add_nc_u32_e32 v13, -1, v13
	v_lshl_add_u32 v12, v12, 3, v4
	s_delay_alu instid0(VALU_DEP_3) | instskip(NEXT) | instid1(VALU_DEP_3)
	v_cndmask_b32_e64 v16, v14, v11, s6
	v_min_u32_e32 v13, v14, v13
	v_cndmask_b32_e64 v17, v10, v14, s6
	s_delay_alu instid0(VALU_DEP_2)
	v_lshl_add_u32 v13, v13, 1, v8
	ds_load_u16 v15, v13
	ds_load_b64 v[12:13], v12 offset:2048
	s_wait_dscnt 0x1
	v_cndmask_b32_e64 v10, v15, v9, s6
	v_cndmask_b32_e64 v11, v5, v15, s6
	v_cmpx_lt_u32_e64 v16, v26
	s_cbranch_execz .LBB1971_241
; %bb.230:
	s_mov_b32 s9, 0
	s_mov_b32 s4, exec_lo
	v_cmpx_lt_u32_e64 v17, v25
	s_cbranch_execz .LBB1971_240
; %bb.231:
	v_lshlrev_b32_e32 v14, 16, v10
	s_delay_alu instid0(VALU_DEP_1) | instskip(NEXT) | instid1(VALU_DEP_1)
	v_add_f32_e32 v15, 0, v14
	v_and_b32_e32 v14, 0x7f800000, v15
	s_delay_alu instid0(VALU_DEP_1)
	v_cmp_ne_u32_e64 s3, 0x7f800000, v14
                                        ; implicit-def: $vgpr14
	s_and_saveexec_b32 s9, s3
	s_wait_alu 0xfffe
	s_xor_b32 s3, exec_lo, s9
; %bb.232:
	v_bfe_u32 v14, v15, 16, 1
	s_delay_alu instid0(VALU_DEP_1)
	v_add3_u32 v14, v15, v14, 0x7fff
                                        ; implicit-def: $vgpr15
; %bb.233:
	s_wait_alu 0xfffe
	s_and_not1_saveexec_b32 s9, s3
; %bb.234:
	v_and_b32_e32 v14, 0xffff, v15
	v_or_b32_e32 v18, 0x10000, v15
	s_delay_alu instid0(VALU_DEP_2) | instskip(SKIP_1) | instid1(VALU_DEP_1)
	v_cmp_eq_u32_e64 s3, 0, v14
	s_wait_alu 0xf1ff
	v_cndmask_b32_e64 v14, v18, v15, s3
; %bb.235:
	s_wait_alu 0xfffe
	s_or_b32 exec_lo, exec_lo, s9
	v_lshlrev_b32_e32 v15, 16, v11
	s_delay_alu instid0(VALU_DEP_1) | instskip(NEXT) | instid1(VALU_DEP_1)
	v_add_f32_e32 v18, 0, v15
	v_and_b32_e32 v15, 0x7f800000, v18
	s_delay_alu instid0(VALU_DEP_1)
	v_cmp_ne_u32_e64 s3, 0x7f800000, v15
                                        ; implicit-def: $vgpr15
	s_and_saveexec_b32 s9, s3
	s_wait_alu 0xfffe
	s_xor_b32 s3, exec_lo, s9
; %bb.236:
	v_bfe_u32 v15, v18, 16, 1
	s_delay_alu instid0(VALU_DEP_1)
	v_add3_u32 v15, v18, v15, 0x7fff
                                        ; implicit-def: $vgpr18
; %bb.237:
	s_wait_alu 0xfffe
	s_and_not1_saveexec_b32 s9, s3
; %bb.238:
	v_and_b32_e32 v15, 0xffff, v18
	v_or_b32_e32 v19, 0x10000, v18
	s_delay_alu instid0(VALU_DEP_2) | instskip(SKIP_1) | instid1(VALU_DEP_1)
	v_cmp_eq_u32_e64 s3, 0, v15
	s_wait_alu 0xf1ff
	v_cndmask_b32_e64 v15, v19, v18, s3
; %bb.239:
	s_wait_alu 0xfffe
	s_or_b32 exec_lo, exec_lo, s9
	v_cmp_lt_i32_e64 s3, -1, v14
	s_delay_alu instid0(VALU_DEP_2) | instskip(SKIP_1) | instid1(VALU_DEP_2)
	v_perm_b32 v14, v15, v14, 0x7060302
	s_wait_alu 0xf1ff
	v_cndmask_b32_e64 v18, -1, 0xffff8000, s3
	v_cmp_lt_i32_e64 s3, -1, v15
	s_wait_alu 0xf1ff
	s_delay_alu instid0(VALU_DEP_1) | instskip(NEXT) | instid1(VALU_DEP_1)
	v_cndmask_b32_e64 v19, -1, 0xffff8000, s3
	v_perm_b32 v15, v19, v18, 0x5040100
	s_delay_alu instid0(VALU_DEP_1) | instskip(NEXT) | instid1(VALU_DEP_1)
	v_xor_b32_e32 v14, v15, v14
	v_lshrrev_b32_e32 v15, 16, v14
	s_delay_alu instid0(VALU_DEP_1)
	v_cmp_le_u16_e64 s3, v14, v15
	s_and_b32 s9, s3, exec_lo
.LBB1971_240:
	s_wait_alu 0xfffe
	s_or_b32 exec_lo, exec_lo, s4
	s_delay_alu instid0(SALU_CYCLE_1)
	s_or_not1_b32 s4, s9, exec_lo
.LBB1971_241:
	s_wait_alu 0xfffe
	s_or_b32 exec_lo, exec_lo, s8
	v_cndmask_b32_e64 v14, v16, v17, s4
	v_cndmask_b32_e64 v15, v26, v25, s4
	s_mov_b32 s8, exec_lo
	s_delay_alu instid0(VALU_DEP_2) | instskip(NEXT) | instid1(VALU_DEP_2)
	v_add_nc_u32_e32 v19, 1, v14
	v_add_nc_u32_e32 v15, -1, v15
	v_lshl_add_u32 v14, v14, 3, v4
	s_delay_alu instid0(VALU_DEP_3) | instskip(NEXT) | instid1(VALU_DEP_3)
	v_cndmask_b32_e64 v18, v19, v16, s4
	v_min_u32_e32 v15, v19, v15
	v_cndmask_b32_e64 v19, v17, v19, s4
	s_delay_alu instid0(VALU_DEP_2)
	v_lshl_add_u32 v15, v15, 1, v8
	ds_load_u16 v21, v15
	ds_load_b64 v[14:15], v14 offset:2048
	s_wait_dscnt 0x1
	v_cndmask_b32_e64 v20, v21, v10, s4
	v_cndmask_b32_e64 v21, v11, v21, s4
	v_cmpx_lt_u32_e64 v18, v26
	s_cbranch_execz .LBB1971_253
; %bb.242:
	s_mov_b32 s9, 0
	s_mov_b32 s7, exec_lo
	v_cmpx_lt_u32_e64 v19, v25
	s_cbranch_execz .LBB1971_252
; %bb.243:
	v_lshlrev_b32_e32 v16, 16, v20
	s_delay_alu instid0(VALU_DEP_1) | instskip(NEXT) | instid1(VALU_DEP_1)
	v_add_f32_e32 v17, 0, v16
	v_and_b32_e32 v16, 0x7f800000, v17
	s_delay_alu instid0(VALU_DEP_1)
	v_cmp_ne_u32_e64 s3, 0x7f800000, v16
                                        ; implicit-def: $vgpr16
	s_and_saveexec_b32 s9, s3
	s_wait_alu 0xfffe
	s_xor_b32 s3, exec_lo, s9
; %bb.244:
	v_bfe_u32 v16, v17, 16, 1
	s_delay_alu instid0(VALU_DEP_1)
	v_add3_u32 v16, v17, v16, 0x7fff
                                        ; implicit-def: $vgpr17
; %bb.245:
	s_wait_alu 0xfffe
	s_and_not1_saveexec_b32 s9, s3
; %bb.246:
	v_and_b32_e32 v16, 0xffff, v17
	v_or_b32_e32 v22, 0x10000, v17
	s_delay_alu instid0(VALU_DEP_2) | instskip(SKIP_1) | instid1(VALU_DEP_1)
	v_cmp_eq_u32_e64 s3, 0, v16
	s_wait_alu 0xf1ff
	v_cndmask_b32_e64 v16, v22, v17, s3
; %bb.247:
	s_wait_alu 0xfffe
	s_or_b32 exec_lo, exec_lo, s9
	v_lshlrev_b32_e32 v17, 16, v21
	s_delay_alu instid0(VALU_DEP_1) | instskip(NEXT) | instid1(VALU_DEP_1)
	v_add_f32_e32 v22, 0, v17
	v_and_b32_e32 v17, 0x7f800000, v22
	s_delay_alu instid0(VALU_DEP_1)
	v_cmp_ne_u32_e64 s3, 0x7f800000, v17
                                        ; implicit-def: $vgpr17
	s_and_saveexec_b32 s9, s3
	s_wait_alu 0xfffe
	s_xor_b32 s3, exec_lo, s9
; %bb.248:
	v_bfe_u32 v17, v22, 16, 1
	s_delay_alu instid0(VALU_DEP_1)
	v_add3_u32 v17, v22, v17, 0x7fff
                                        ; implicit-def: $vgpr22
; %bb.249:
	s_wait_alu 0xfffe
	s_and_not1_saveexec_b32 s9, s3
; %bb.250:
	v_and_b32_e32 v17, 0xffff, v22
	v_or_b32_e32 v23, 0x10000, v22
	s_delay_alu instid0(VALU_DEP_2) | instskip(SKIP_1) | instid1(VALU_DEP_1)
	v_cmp_eq_u32_e64 s3, 0, v17
	s_wait_alu 0xf1ff
	v_cndmask_b32_e64 v17, v23, v22, s3
; %bb.251:
	s_wait_alu 0xfffe
	s_or_b32 exec_lo, exec_lo, s9
	v_cmp_lt_i32_e64 s3, -1, v16
	s_delay_alu instid0(VALU_DEP_2) | instskip(SKIP_1) | instid1(VALU_DEP_2)
	v_perm_b32 v16, v17, v16, 0x7060302
	s_wait_alu 0xf1ff
	v_cndmask_b32_e64 v22, -1, 0xffff8000, s3
	v_cmp_lt_i32_e64 s3, -1, v17
	s_wait_alu 0xf1ff
	s_delay_alu instid0(VALU_DEP_1) | instskip(NEXT) | instid1(VALU_DEP_1)
	v_cndmask_b32_e64 v23, -1, 0xffff8000, s3
	v_perm_b32 v17, v23, v22, 0x5040100
	s_delay_alu instid0(VALU_DEP_1) | instskip(NEXT) | instid1(VALU_DEP_1)
	v_xor_b32_e32 v16, v17, v16
	v_lshrrev_b32_e32 v17, 16, v16
	s_delay_alu instid0(VALU_DEP_1)
	v_cmp_le_u16_e64 s3, v16, v17
	s_and_b32 s9, s3, exec_lo
.LBB1971_252:
	s_wait_alu 0xfffe
	s_or_b32 exec_lo, exec_lo, s7
	s_delay_alu instid0(SALU_CYCLE_1)
	s_or_not1_b32 s7, s9, exec_lo
.LBB1971_253:
	s_wait_alu 0xfffe
	s_or_b32 exec_lo, exec_lo, s8
	v_cndmask_b32_e64 v16, v18, v19, s7
	v_cndmask_b32_e64 v17, v26, v25, s7
	s_mov_b32 s9, -1
	s_mov_b32 s8, exec_lo
	s_delay_alu instid0(VALU_DEP_2) | instskip(NEXT) | instid1(VALU_DEP_2)
	v_add_nc_u32_e32 v22, 1, v16
	v_add_nc_u32_e32 v17, -1, v17
	s_delay_alu instid0(VALU_DEP_2) | instskip(NEXT) | instid1(VALU_DEP_2)
	v_cndmask_b32_e64 v18, v22, v18, s7
	v_min_u32_e32 v17, v22, v17
	v_cndmask_b32_e64 v19, v19, v22, s7
	s_delay_alu instid0(VALU_DEP_2)
	v_lshl_add_u32 v8, v17, 1, v8
	ds_load_u16 v23, v8
	v_lshl_add_u32 v8, v16, 3, v4
	ds_load_b64 v[16:17], v8 offset:2048
	s_wait_dscnt 0x1
	v_cndmask_b32_e64 v8, v23, v20, s7
	v_cndmask_b32_e64 v22, v21, v23, s7
	v_cmpx_lt_u32_e64 v18, v26
	s_cbranch_execz .LBB1971_265
; %bb.254:
	s_mov_b32 s10, 0
	s_mov_b32 s9, exec_lo
	v_cmpx_lt_u32_e64 v19, v25
	s_cbranch_execz .LBB1971_264
; %bb.255:
	v_lshlrev_b32_e32 v23, 16, v8
	s_delay_alu instid0(VALU_DEP_1) | instskip(NEXT) | instid1(VALU_DEP_1)
	v_add_f32_e32 v24, 0, v23
	v_and_b32_e32 v23, 0x7f800000, v24
	s_delay_alu instid0(VALU_DEP_1)
	v_cmp_ne_u32_e64 s3, 0x7f800000, v23
                                        ; implicit-def: $vgpr23
	s_and_saveexec_b32 s10, s3
	s_wait_alu 0xfffe
	s_xor_b32 s3, exec_lo, s10
; %bb.256:
	v_bfe_u32 v23, v24, 16, 1
	s_delay_alu instid0(VALU_DEP_1)
	v_add3_u32 v23, v24, v23, 0x7fff
                                        ; implicit-def: $vgpr24
; %bb.257:
	s_wait_alu 0xfffe
	s_and_not1_saveexec_b32 s10, s3
; %bb.258:
	v_and_b32_e32 v23, 0xffff, v24
	v_or_b32_e32 v25, 0x10000, v24
	s_delay_alu instid0(VALU_DEP_2) | instskip(SKIP_1) | instid1(VALU_DEP_1)
	v_cmp_eq_u32_e64 s3, 0, v23
	s_wait_alu 0xf1ff
	v_cndmask_b32_e64 v23, v25, v24, s3
; %bb.259:
	s_wait_alu 0xfffe
	s_or_b32 exec_lo, exec_lo, s10
	v_lshlrev_b32_e32 v24, 16, v22
	s_delay_alu instid0(VALU_DEP_1) | instskip(NEXT) | instid1(VALU_DEP_1)
	v_add_f32_e32 v25, 0, v24
	v_and_b32_e32 v24, 0x7f800000, v25
	s_delay_alu instid0(VALU_DEP_1)
	v_cmp_ne_u32_e64 s3, 0x7f800000, v24
                                        ; implicit-def: $vgpr24
	s_and_saveexec_b32 s10, s3
	s_wait_alu 0xfffe
	s_xor_b32 s3, exec_lo, s10
; %bb.260:
	v_bfe_u32 v24, v25, 16, 1
	s_delay_alu instid0(VALU_DEP_1)
	v_add3_u32 v24, v25, v24, 0x7fff
                                        ; implicit-def: $vgpr25
; %bb.261:
	s_wait_alu 0xfffe
	s_and_not1_saveexec_b32 s10, s3
; %bb.262:
	v_and_b32_e32 v24, 0xffff, v25
	v_or_b32_e32 v26, 0x10000, v25
	s_delay_alu instid0(VALU_DEP_2) | instskip(SKIP_1) | instid1(VALU_DEP_1)
	v_cmp_eq_u32_e64 s3, 0, v24
	s_wait_alu 0xf1ff
	v_cndmask_b32_e64 v24, v26, v25, s3
; %bb.263:
	s_wait_alu 0xfffe
	s_or_b32 exec_lo, exec_lo, s10
	v_cmp_lt_i32_e64 s3, -1, v23
	s_delay_alu instid0(VALU_DEP_2) | instskip(SKIP_1) | instid1(VALU_DEP_2)
	v_perm_b32 v23, v24, v23, 0x7060302
	s_wait_alu 0xf1ff
	v_cndmask_b32_e64 v25, -1, 0xffff8000, s3
	v_cmp_lt_i32_e64 s3, -1, v24
	s_wait_alu 0xf1ff
	s_delay_alu instid0(VALU_DEP_1) | instskip(NEXT) | instid1(VALU_DEP_1)
	v_cndmask_b32_e64 v26, -1, 0xffff8000, s3
	v_perm_b32 v24, v26, v25, 0x5040100
	s_delay_alu instid0(VALU_DEP_1) | instskip(NEXT) | instid1(VALU_DEP_1)
	v_xor_b32_e32 v23, v24, v23
	v_lshrrev_b32_e32 v24, 16, v23
	s_delay_alu instid0(VALU_DEP_1)
	v_cmp_le_u16_e64 s3, v23, v24
	s_and_b32 s10, s3, exec_lo
.LBB1971_264:
	s_wait_alu 0xfffe
	s_or_b32 exec_lo, exec_lo, s9
	s_delay_alu instid0(SALU_CYCLE_1)
	s_or_not1_b32 s9, s10, exec_lo
.LBB1971_265:
	s_wait_alu 0xfffe
	s_or_b32 exec_lo, exec_lo, s8
	v_cndmask_b32_e64 v18, v18, v19, s9
	v_cndmask_b32_e64 v38, v20, v21, s7
	;; [unrolled: 1-line block ×5, first 2 shown]
	v_lshl_add_u32 v4, v18, 3, v4
	ds_load_b64 v[18:19], v4 offset:2048
.LBB1971_266:
	s_wait_alu 0xfffe
	s_or_b32 exec_lo, exec_lo, s5
	v_add_co_u32 v2, s3, v2, v28
	s_wait_alu 0xf1ff
	v_add_co_ci_u32_e64 v3, null, v3, v29, s3
	s_delay_alu instid0(VALU_DEP_2) | instskip(SKIP_1) | instid1(VALU_DEP_2)
	v_add_co_u32 v2, s3, v2, v30
	s_wait_alu 0xf1ff
	v_add_co_ci_u32_e64 v3, null, 0, v3, s3
	; wave barrier
	s_wait_storecnt_dscnt 0x0
	s_barrier_signal -1
	s_barrier_wait -1
	global_inv scope:SCOPE_SE
	; wave barrier
	s_and_saveexec_b32 s3, vcc_lo
	s_cbranch_execnz .LBB1971_276
; %bb.267:
	s_wait_alu 0xfffe
	s_or_b32 exec_lo, exec_lo, s3
	s_and_saveexec_b32 s3, s0
	s_cbranch_execnz .LBB1971_277
.LBB1971_268:
	s_wait_alu 0xfffe
	s_or_b32 exec_lo, exec_lo, s3
	s_and_saveexec_b32 s3, s1
	s_cbranch_execnz .LBB1971_278
.LBB1971_269:
	s_wait_alu 0xfffe
	s_or_b32 exec_lo, exec_lo, s3
	s_and_saveexec_b32 s3, s2
	s_cbranch_execz .LBB1971_271
.LBB1971_270:
	flat_store_b16 v[2:3], v35 offset:6
.LBB1971_271:
	s_wait_alu 0xfffe
	s_or_b32 exec_lo, exec_lo, s3
	v_add_co_u32 v0, s3, v6, v0
	s_wait_alu 0xf1ff
	v_add_co_ci_u32_e64 v1, null, v7, v1, s3
	s_delay_alu instid0(VALU_DEP_2) | instskip(SKIP_1) | instid1(VALU_DEP_2)
	v_add_co_u32 v0, s3, v0, v32
	s_wait_alu 0xf1ff
	v_add_co_ci_u32_e64 v1, null, 0, v1, s3
	; wave barrier
	s_and_saveexec_b32 s3, vcc_lo
	s_cbranch_execnz .LBB1971_279
; %bb.272:
	s_wait_alu 0xfffe
	s_or_b32 exec_lo, exec_lo, s3
	s_and_saveexec_b32 s3, s0
	s_cbranch_execnz .LBB1971_280
.LBB1971_273:
	s_wait_alu 0xfffe
	s_or_b32 exec_lo, exec_lo, s3
	s_and_saveexec_b32 s0, s1
	s_cbranch_execnz .LBB1971_281
.LBB1971_274:
	s_wait_alu 0xfffe
	s_or_b32 exec_lo, exec_lo, s0
	s_and_saveexec_b32 s0, s2
	s_cbranch_execnz .LBB1971_282
.LBB1971_275:
	s_wait_alu 0xfffe
	s_or_b32 exec_lo, exec_lo, s0
	s_wait_loadcnt_dscnt 0x0
	s_setpc_b64 s[30:31]
.LBB1971_276:
	flat_store_b16 v[2:3], v37
	s_wait_alu 0xfffe
	s_or_b32 exec_lo, exec_lo, s3
	s_and_saveexec_b32 s3, s0
	s_cbranch_execz .LBB1971_268
.LBB1971_277:
	flat_store_b16 v[2:3], v36 offset:2
	s_wait_alu 0xfffe
	s_or_b32 exec_lo, exec_lo, s3
	s_and_saveexec_b32 s3, s1
	s_cbranch_execz .LBB1971_269
.LBB1971_278:
	flat_store_b16 v[2:3], v38 offset:4
	s_wait_alu 0xfffe
	s_or_b32 exec_lo, exec_lo, s3
	s_and_saveexec_b32 s3, s2
	s_cbranch_execnz .LBB1971_270
	s_branch .LBB1971_271
.LBB1971_279:
	flat_store_b64 v[0:1], v[12:13]
	s_wait_alu 0xfffe
	s_or_b32 exec_lo, exec_lo, s3
	s_and_saveexec_b32 s3, s0
	s_cbranch_execz .LBB1971_273
.LBB1971_280:
	flat_store_b64 v[0:1], v[14:15] offset:8
	s_wait_alu 0xfffe
	s_or_b32 exec_lo, exec_lo, s3
	s_and_saveexec_b32 s0, s1
	s_cbranch_execz .LBB1971_274
.LBB1971_281:
	flat_store_b64 v[0:1], v[16:17] offset:16
	s_wait_alu 0xfffe
	s_or_b32 exec_lo, exec_lo, s0
	s_and_saveexec_b32 s0, s2
	s_cbranch_execz .LBB1971_275
.LBB1971_282:
	flat_store_b64 v[0:1], v[18:19] offset:24
	s_wait_alu 0xfffe
	s_or_b32 exec_lo, exec_lo, s0
	s_wait_loadcnt_dscnt 0x0
	s_setpc_b64 s[30:31]
.Lfunc_end1971:
	.size	_ZN7rocprim17ROCPRIM_400000_NS6detail26segmented_warp_sort_helperINS1_20WarpSortHelperConfigILj8ELj4ELj256EEE12hip_bfloat16lLi256ELb1EvE4sortIPKS5_PS5_PKlPlEEvT_T0_T1_T2_jjjjRNS6_12storage_typeE, .Lfunc_end1971-_ZN7rocprim17ROCPRIM_400000_NS6detail26segmented_warp_sort_helperINS1_20WarpSortHelperConfigILj8ELj4ELj256EEE12hip_bfloat16lLi256ELb1EvE4sortIPKS5_PS5_PKlPlEEvT_T0_T1_T2_jjjjRNS6_12storage_typeE
                                        ; -- End function
	.set .L_ZN7rocprim17ROCPRIM_400000_NS6detail26segmented_warp_sort_helperINS1_20WarpSortHelperConfigILj8ELj4ELj256EEE12hip_bfloat16lLi256ELb1EvE4sortIPKS5_PS5_PKlPlEEvT_T0_T1_T2_jjjjRNS6_12storage_typeE.num_vgpr, 56
	.set .L_ZN7rocprim17ROCPRIM_400000_NS6detail26segmented_warp_sort_helperINS1_20WarpSortHelperConfigILj8ELj4ELj256EEE12hip_bfloat16lLi256ELb1EvE4sortIPKS5_PS5_PKlPlEEvT_T0_T1_T2_jjjjRNS6_12storage_typeE.num_agpr, 0
	.set .L_ZN7rocprim17ROCPRIM_400000_NS6detail26segmented_warp_sort_helperINS1_20WarpSortHelperConfigILj8ELj4ELj256EEE12hip_bfloat16lLi256ELb1EvE4sortIPKS5_PS5_PKlPlEEvT_T0_T1_T2_jjjjRNS6_12storage_typeE.numbered_sgpr, 32
	.set .L_ZN7rocprim17ROCPRIM_400000_NS6detail26segmented_warp_sort_helperINS1_20WarpSortHelperConfigILj8ELj4ELj256EEE12hip_bfloat16lLi256ELb1EvE4sortIPKS5_PS5_PKlPlEEvT_T0_T1_T2_jjjjRNS6_12storage_typeE.num_named_barrier, 0
	.set .L_ZN7rocprim17ROCPRIM_400000_NS6detail26segmented_warp_sort_helperINS1_20WarpSortHelperConfigILj8ELj4ELj256EEE12hip_bfloat16lLi256ELb1EvE4sortIPKS5_PS5_PKlPlEEvT_T0_T1_T2_jjjjRNS6_12storage_typeE.private_seg_size, 0
	.set .L_ZN7rocprim17ROCPRIM_400000_NS6detail26segmented_warp_sort_helperINS1_20WarpSortHelperConfigILj8ELj4ELj256EEE12hip_bfloat16lLi256ELb1EvE4sortIPKS5_PS5_PKlPlEEvT_T0_T1_T2_jjjjRNS6_12storage_typeE.uses_vcc, 1
	.set .L_ZN7rocprim17ROCPRIM_400000_NS6detail26segmented_warp_sort_helperINS1_20WarpSortHelperConfigILj8ELj4ELj256EEE12hip_bfloat16lLi256ELb1EvE4sortIPKS5_PS5_PKlPlEEvT_T0_T1_T2_jjjjRNS6_12storage_typeE.uses_flat_scratch, 0
	.set .L_ZN7rocprim17ROCPRIM_400000_NS6detail26segmented_warp_sort_helperINS1_20WarpSortHelperConfigILj8ELj4ELj256EEE12hip_bfloat16lLi256ELb1EvE4sortIPKS5_PS5_PKlPlEEvT_T0_T1_T2_jjjjRNS6_12storage_typeE.has_dyn_sized_stack, 0
	.set .L_ZN7rocprim17ROCPRIM_400000_NS6detail26segmented_warp_sort_helperINS1_20WarpSortHelperConfigILj8ELj4ELj256EEE12hip_bfloat16lLi256ELb1EvE4sortIPKS5_PS5_PKlPlEEvT_T0_T1_T2_jjjjRNS6_12storage_typeE.has_recursion, 0
	.set .L_ZN7rocprim17ROCPRIM_400000_NS6detail26segmented_warp_sort_helperINS1_20WarpSortHelperConfigILj8ELj4ELj256EEE12hip_bfloat16lLi256ELb1EvE4sortIPKS5_PS5_PKlPlEEvT_T0_T1_T2_jjjjRNS6_12storage_typeE.has_indirect_call, 0
	.section	.AMDGPU.csdata,"",@progbits
; Function info:
; codeLenInByte = 12496
; TotalNumSgprs: 34
; NumVgprs: 56
; ScratchSize: 0
; MemoryBound: 1
	.section	.text._ZN7rocprim17ROCPRIM_400000_NS6detail17trampoline_kernelINS0_14default_configENS1_36segmented_radix_sort_config_selectorI12hip_bfloat16lEEZNS1_25segmented_radix_sort_implIS3_Lb1EPKS5_PS5_PKlPlN2at6native12_GLOBAL__N_18offset_tEEE10hipError_tPvRmT1_PNSt15iterator_traitsISL_E10value_typeET2_T3_PNSM_ISR_E10value_typeET4_jRbjT5_SX_jjP12ihipStream_tbEUlT_E1_NS1_11comp_targetILNS1_3genE10ELNS1_11target_archE1201ELNS1_3gpuE5ELNS1_3repE0EEENS1_59segmented_radix_sort_warp_sort_small_config_static_selectorELNS0_4arch9wavefront6targetE0EEEvSL_,"axG",@progbits,_ZN7rocprim17ROCPRIM_400000_NS6detail17trampoline_kernelINS0_14default_configENS1_36segmented_radix_sort_config_selectorI12hip_bfloat16lEEZNS1_25segmented_radix_sort_implIS3_Lb1EPKS5_PS5_PKlPlN2at6native12_GLOBAL__N_18offset_tEEE10hipError_tPvRmT1_PNSt15iterator_traitsISL_E10value_typeET2_T3_PNSM_ISR_E10value_typeET4_jRbjT5_SX_jjP12ihipStream_tbEUlT_E1_NS1_11comp_targetILNS1_3genE10ELNS1_11target_archE1201ELNS1_3gpuE5ELNS1_3repE0EEENS1_59segmented_radix_sort_warp_sort_small_config_static_selectorELNS0_4arch9wavefront6targetE0EEEvSL_,comdat
	.globl	_ZN7rocprim17ROCPRIM_400000_NS6detail17trampoline_kernelINS0_14default_configENS1_36segmented_radix_sort_config_selectorI12hip_bfloat16lEEZNS1_25segmented_radix_sort_implIS3_Lb1EPKS5_PS5_PKlPlN2at6native12_GLOBAL__N_18offset_tEEE10hipError_tPvRmT1_PNSt15iterator_traitsISL_E10value_typeET2_T3_PNSM_ISR_E10value_typeET4_jRbjT5_SX_jjP12ihipStream_tbEUlT_E1_NS1_11comp_targetILNS1_3genE10ELNS1_11target_archE1201ELNS1_3gpuE5ELNS1_3repE0EEENS1_59segmented_radix_sort_warp_sort_small_config_static_selectorELNS0_4arch9wavefront6targetE0EEEvSL_ ; -- Begin function _ZN7rocprim17ROCPRIM_400000_NS6detail17trampoline_kernelINS0_14default_configENS1_36segmented_radix_sort_config_selectorI12hip_bfloat16lEEZNS1_25segmented_radix_sort_implIS3_Lb1EPKS5_PS5_PKlPlN2at6native12_GLOBAL__N_18offset_tEEE10hipError_tPvRmT1_PNSt15iterator_traitsISL_E10value_typeET2_T3_PNSM_ISR_E10value_typeET4_jRbjT5_SX_jjP12ihipStream_tbEUlT_E1_NS1_11comp_targetILNS1_3genE10ELNS1_11target_archE1201ELNS1_3gpuE5ELNS1_3repE0EEENS1_59segmented_radix_sort_warp_sort_small_config_static_selectorELNS0_4arch9wavefront6targetE0EEEvSL_
	.p2align	8
	.type	_ZN7rocprim17ROCPRIM_400000_NS6detail17trampoline_kernelINS0_14default_configENS1_36segmented_radix_sort_config_selectorI12hip_bfloat16lEEZNS1_25segmented_radix_sort_implIS3_Lb1EPKS5_PS5_PKlPlN2at6native12_GLOBAL__N_18offset_tEEE10hipError_tPvRmT1_PNSt15iterator_traitsISL_E10value_typeET2_T3_PNSM_ISR_E10value_typeET4_jRbjT5_SX_jjP12ihipStream_tbEUlT_E1_NS1_11comp_targetILNS1_3genE10ELNS1_11target_archE1201ELNS1_3gpuE5ELNS1_3repE0EEENS1_59segmented_radix_sort_warp_sort_small_config_static_selectorELNS0_4arch9wavefront6targetE0EEEvSL_,@function
_ZN7rocprim17ROCPRIM_400000_NS6detail17trampoline_kernelINS0_14default_configENS1_36segmented_radix_sort_config_selectorI12hip_bfloat16lEEZNS1_25segmented_radix_sort_implIS3_Lb1EPKS5_PS5_PKlPlN2at6native12_GLOBAL__N_18offset_tEEE10hipError_tPvRmT1_PNSt15iterator_traitsISL_E10value_typeET2_T3_PNSM_ISR_E10value_typeET4_jRbjT5_SX_jjP12ihipStream_tbEUlT_E1_NS1_11comp_targetILNS1_3genE10ELNS1_11target_archE1201ELNS1_3gpuE5ELNS1_3repE0EEENS1_59segmented_radix_sort_warp_sort_small_config_static_selectorELNS0_4arch9wavefront6targetE0EEEvSL_: ; @_ZN7rocprim17ROCPRIM_400000_NS6detail17trampoline_kernelINS0_14default_configENS1_36segmented_radix_sort_config_selectorI12hip_bfloat16lEEZNS1_25segmented_radix_sort_implIS3_Lb1EPKS5_PS5_PKlPlN2at6native12_GLOBAL__N_18offset_tEEE10hipError_tPvRmT1_PNSt15iterator_traitsISL_E10value_typeET2_T3_PNSM_ISR_E10value_typeET4_jRbjT5_SX_jjP12ihipStream_tbEUlT_E1_NS1_11comp_targetILNS1_3genE10ELNS1_11target_archE1201ELNS1_3gpuE5ELNS1_3repE0EEENS1_59segmented_radix_sort_warp_sort_small_config_static_selectorELNS0_4arch9wavefront6targetE0EEEvSL_
; %bb.0:
	s_load_b32 s2, s[0:1], 0x64
	v_bfe_u32 v1, v0, 10, 10
	v_bfe_u32 v2, v0, 20, 10
	s_mov_b32 s32, 0
	s_wait_kmcnt 0x0
	s_lshr_b32 s3, s2, 16
	s_and_b32 s2, s2, 0xffff
	v_mad_u32_u24 v2, v2, s3, v1
	v_and_b32_e32 v1, 0x3ff, v0
	s_load_b32 s3, s[0:1], 0x34
	s_delay_alu instid0(VALU_DEP_1) | instskip(SKIP_2) | instid1(VALU_DEP_1)
	v_mad_co_u64_u32 v[1:2], null, v2, s2, v[1:2]
	s_mov_b32 s2, exec_lo
	v_lshrrev_b32_e32 v1, 3, v1
	v_lshl_add_u32 v1, ttmp9, 5, v1
	s_wait_kmcnt 0x0
	s_delay_alu instid0(VALU_DEP_1)
	v_cmpx_gt_u32_e64 s3, v1
	s_cbranch_execz .LBB1972_6
; %bb.1:
	s_clause 0x1
	s_load_b64 s[2:3], s[0:1], 0x38
	s_load_b128 s[4:7], s[0:1], 0x40
	v_mov_b32_e32 v2, 0
	s_delay_alu instid0(VALU_DEP_1) | instskip(SKIP_1) | instid1(VALU_DEP_1)
	v_lshlrev_b64_e32 v[1:2], 2, v[1:2]
	s_wait_kmcnt 0x0
	v_sub_co_u32 v1, vcc_lo, s2, v1
	s_delay_alu instid0(VALU_DEP_1) | instskip(SKIP_4) | instid1(VALU_DEP_2)
	v_sub_co_ci_u32_e64 v2, null, s3, v2, vcc_lo
	global_load_b32 v1, v[1:2], off offset:-4
	s_wait_loadcnt 0x0
	v_add_nc_u32_e32 v2, s5, v1
	v_add_nc_u32_e32 v1, s7, v1
	v_mul_lo_u32 v40, v2, s4
	s_delay_alu instid0(VALU_DEP_2) | instskip(NEXT) | instid1(VALU_DEP_1)
	v_mul_lo_u32 v41, v1, s6
	v_cmp_gt_u32_e32 vcc_lo, v41, v40
	s_and_b32 exec_lo, exec_lo, vcc_lo
	s_cbranch_execz .LBB1972_6
; %bb.2:
	s_clause 0x2
	s_load_b32 s2, s[0:1], 0x30
	s_load_b128 s[24:27], s[0:1], 0x20
	s_load_b256 s[16:23], s[0:1], 0x0
	s_add_nc_u64 s[12:13], s[0:1], 0x58
	s_wait_kmcnt 0x0
	s_bitcmp0_b32 s2, 0
	s_mov_b32 s2, -1
	s_cbranch_scc0 .LBB1972_4
; %bb.3:
	s_mov_b64 s[0:1], src_shared_base
	v_dual_mov_b32 v31, v0 :: v_dual_mov_b32 v42, v0
	v_dual_mov_b32 v0, s16 :: v_dual_mov_b32 v1, s17
	;; [unrolled: 1-line block ×6, first 2 shown]
	s_wait_alu 0xfffe
	v_dual_mov_b32 v10, 0 :: v_dual_mov_b32 v11, s1
	s_getpc_b64 s[2:3]
	s_wait_alu 0xfffe
	s_sext_i32_i16 s3, s3
	s_add_co_u32 s2, s2, _ZN7rocprim17ROCPRIM_400000_NS6detail26segmented_warp_sort_helperINS1_20WarpSortHelperConfigILj8ELj4ELj256EEE12hip_bfloat16lLi256ELb1EvE4sortIPKS5_PS5_PKlPlEEvT_T0_T1_T2_jjjjRNS6_12storage_typeE@rel32@lo+12
	s_wait_alu 0xfffe
	s_add_co_ci_u32 s3, s3, _ZN7rocprim17ROCPRIM_400000_NS6detail26segmented_warp_sort_helperINS1_20WarpSortHelperConfigILj8ELj4ELj256EEE12hip_bfloat16lLi256ELb1EvE4sortIPKS5_PS5_PKlPlEEvT_T0_T1_T2_jjjjRNS6_12storage_typeE@rel32@hi+24
	s_mov_b64 s[8:9], s[12:13]
	s_wait_alu 0xfffe
	s_swappc_b64 s[30:31], s[2:3]
	v_mov_b32_e32 v0, v42
	s_mov_b32 s2, 0
.LBB1972_4:
	s_wait_alu 0xfffe
	s_and_not1_b32 vcc_lo, exec_lo, s2
	s_wait_alu 0xfffe
	s_cbranch_vccnz .LBB1972_6
; %bb.5:
	s_mov_b64 s[0:1], src_shared_base
	v_dual_mov_b32 v31, v0 :: v_dual_mov_b32 v0, s16
	v_dual_mov_b32 v1, s17 :: v_dual_mov_b32 v2, s20
	;; [unrolled: 1-line block ×6, first 2 shown]
	s_wait_alu 0xfffe
	v_mov_b32_e32 v11, s1
	s_getpc_b64 s[2:3]
	s_wait_alu 0xfffe
	s_sext_i32_i16 s3, s3
	s_add_co_u32 s2, s2, _ZN7rocprim17ROCPRIM_400000_NS6detail26segmented_warp_sort_helperINS1_20WarpSortHelperConfigILj8ELj4ELj256EEE12hip_bfloat16lLi256ELb1EvE4sortIPKS5_PS5_PKlPlEEvT_T0_T1_T2_jjjjRNS6_12storage_typeE@rel32@lo+12
	s_wait_alu 0xfffe
	s_add_co_ci_u32 s3, s3, _ZN7rocprim17ROCPRIM_400000_NS6detail26segmented_warp_sort_helperINS1_20WarpSortHelperConfigILj8ELj4ELj256EEE12hip_bfloat16lLi256ELb1EvE4sortIPKS5_PS5_PKlPlEEvT_T0_T1_T2_jjjjRNS6_12storage_typeE@rel32@hi+24
	s_mov_b64 s[8:9], s[12:13]
	s_wait_alu 0xfffe
	s_swappc_b64 s[30:31], s[2:3]
.LBB1972_6:
	s_endpgm
	.section	.rodata,"a",@progbits
	.p2align	6, 0x0
	.amdhsa_kernel _ZN7rocprim17ROCPRIM_400000_NS6detail17trampoline_kernelINS0_14default_configENS1_36segmented_radix_sort_config_selectorI12hip_bfloat16lEEZNS1_25segmented_radix_sort_implIS3_Lb1EPKS5_PS5_PKlPlN2at6native12_GLOBAL__N_18offset_tEEE10hipError_tPvRmT1_PNSt15iterator_traitsISL_E10value_typeET2_T3_PNSM_ISR_E10value_typeET4_jRbjT5_SX_jjP12ihipStream_tbEUlT_E1_NS1_11comp_targetILNS1_3genE10ELNS1_11target_archE1201ELNS1_3gpuE5ELNS1_3repE0EEENS1_59segmented_radix_sort_warp_sort_small_config_static_selectorELNS0_4arch9wavefront6targetE0EEEvSL_
		.amdhsa_group_segment_fixed_size 10240
		.amdhsa_private_segment_fixed_size 0
		.amdhsa_kernarg_size 344
		.amdhsa_user_sgpr_count 2
		.amdhsa_user_sgpr_dispatch_ptr 0
		.amdhsa_user_sgpr_queue_ptr 0
		.amdhsa_user_sgpr_kernarg_segment_ptr 1
		.amdhsa_user_sgpr_dispatch_id 0
		.amdhsa_user_sgpr_private_segment_size 0
		.amdhsa_wavefront_size32 1
		.amdhsa_uses_dynamic_stack 0
		.amdhsa_enable_private_segment 0
		.amdhsa_system_sgpr_workgroup_id_x 1
		.amdhsa_system_sgpr_workgroup_id_y 1
		.amdhsa_system_sgpr_workgroup_id_z 0
		.amdhsa_system_sgpr_workgroup_info 0
		.amdhsa_system_vgpr_workitem_id 2
		.amdhsa_next_free_vgpr 56
		.amdhsa_next_free_sgpr 33
		.amdhsa_reserve_vcc 1
		.amdhsa_float_round_mode_32 0
		.amdhsa_float_round_mode_16_64 0
		.amdhsa_float_denorm_mode_32 3
		.amdhsa_float_denorm_mode_16_64 3
		.amdhsa_fp16_overflow 0
		.amdhsa_workgroup_processor_mode 1
		.amdhsa_memory_ordered 1
		.amdhsa_forward_progress 1
		.amdhsa_inst_pref_size 5
		.amdhsa_round_robin_scheduling 0
		.amdhsa_exception_fp_ieee_invalid_op 0
		.amdhsa_exception_fp_denorm_src 0
		.amdhsa_exception_fp_ieee_div_zero 0
		.amdhsa_exception_fp_ieee_overflow 0
		.amdhsa_exception_fp_ieee_underflow 0
		.amdhsa_exception_fp_ieee_inexact 0
		.amdhsa_exception_int_div_zero 0
	.end_amdhsa_kernel
	.section	.text._ZN7rocprim17ROCPRIM_400000_NS6detail17trampoline_kernelINS0_14default_configENS1_36segmented_radix_sort_config_selectorI12hip_bfloat16lEEZNS1_25segmented_radix_sort_implIS3_Lb1EPKS5_PS5_PKlPlN2at6native12_GLOBAL__N_18offset_tEEE10hipError_tPvRmT1_PNSt15iterator_traitsISL_E10value_typeET2_T3_PNSM_ISR_E10value_typeET4_jRbjT5_SX_jjP12ihipStream_tbEUlT_E1_NS1_11comp_targetILNS1_3genE10ELNS1_11target_archE1201ELNS1_3gpuE5ELNS1_3repE0EEENS1_59segmented_radix_sort_warp_sort_small_config_static_selectorELNS0_4arch9wavefront6targetE0EEEvSL_,"axG",@progbits,_ZN7rocprim17ROCPRIM_400000_NS6detail17trampoline_kernelINS0_14default_configENS1_36segmented_radix_sort_config_selectorI12hip_bfloat16lEEZNS1_25segmented_radix_sort_implIS3_Lb1EPKS5_PS5_PKlPlN2at6native12_GLOBAL__N_18offset_tEEE10hipError_tPvRmT1_PNSt15iterator_traitsISL_E10value_typeET2_T3_PNSM_ISR_E10value_typeET4_jRbjT5_SX_jjP12ihipStream_tbEUlT_E1_NS1_11comp_targetILNS1_3genE10ELNS1_11target_archE1201ELNS1_3gpuE5ELNS1_3repE0EEENS1_59segmented_radix_sort_warp_sort_small_config_static_selectorELNS0_4arch9wavefront6targetE0EEEvSL_,comdat
.Lfunc_end1972:
	.size	_ZN7rocprim17ROCPRIM_400000_NS6detail17trampoline_kernelINS0_14default_configENS1_36segmented_radix_sort_config_selectorI12hip_bfloat16lEEZNS1_25segmented_radix_sort_implIS3_Lb1EPKS5_PS5_PKlPlN2at6native12_GLOBAL__N_18offset_tEEE10hipError_tPvRmT1_PNSt15iterator_traitsISL_E10value_typeET2_T3_PNSM_ISR_E10value_typeET4_jRbjT5_SX_jjP12ihipStream_tbEUlT_E1_NS1_11comp_targetILNS1_3genE10ELNS1_11target_archE1201ELNS1_3gpuE5ELNS1_3repE0EEENS1_59segmented_radix_sort_warp_sort_small_config_static_selectorELNS0_4arch9wavefront6targetE0EEEvSL_, .Lfunc_end1972-_ZN7rocprim17ROCPRIM_400000_NS6detail17trampoline_kernelINS0_14default_configENS1_36segmented_radix_sort_config_selectorI12hip_bfloat16lEEZNS1_25segmented_radix_sort_implIS3_Lb1EPKS5_PS5_PKlPlN2at6native12_GLOBAL__N_18offset_tEEE10hipError_tPvRmT1_PNSt15iterator_traitsISL_E10value_typeET2_T3_PNSM_ISR_E10value_typeET4_jRbjT5_SX_jjP12ihipStream_tbEUlT_E1_NS1_11comp_targetILNS1_3genE10ELNS1_11target_archE1201ELNS1_3gpuE5ELNS1_3repE0EEENS1_59segmented_radix_sort_warp_sort_small_config_static_selectorELNS0_4arch9wavefront6targetE0EEEvSL_
                                        ; -- End function
	.set _ZN7rocprim17ROCPRIM_400000_NS6detail17trampoline_kernelINS0_14default_configENS1_36segmented_radix_sort_config_selectorI12hip_bfloat16lEEZNS1_25segmented_radix_sort_implIS3_Lb1EPKS5_PS5_PKlPlN2at6native12_GLOBAL__N_18offset_tEEE10hipError_tPvRmT1_PNSt15iterator_traitsISL_E10value_typeET2_T3_PNSM_ISR_E10value_typeET4_jRbjT5_SX_jjP12ihipStream_tbEUlT_E1_NS1_11comp_targetILNS1_3genE10ELNS1_11target_archE1201ELNS1_3gpuE5ELNS1_3repE0EEENS1_59segmented_radix_sort_warp_sort_small_config_static_selectorELNS0_4arch9wavefront6targetE0EEEvSL_.num_vgpr, max(43, .L_ZN7rocprim17ROCPRIM_400000_NS6detail26segmented_warp_sort_helperINS1_20WarpSortHelperConfigILj8ELj4ELj256EEE12hip_bfloat16lLi256ELb1EvE4sortIPKS5_PS5_PKlPlEEvT_T0_T1_T2_jjjjRNS6_12storage_typeE.num_vgpr)
	.set _ZN7rocprim17ROCPRIM_400000_NS6detail17trampoline_kernelINS0_14default_configENS1_36segmented_radix_sort_config_selectorI12hip_bfloat16lEEZNS1_25segmented_radix_sort_implIS3_Lb1EPKS5_PS5_PKlPlN2at6native12_GLOBAL__N_18offset_tEEE10hipError_tPvRmT1_PNSt15iterator_traitsISL_E10value_typeET2_T3_PNSM_ISR_E10value_typeET4_jRbjT5_SX_jjP12ihipStream_tbEUlT_E1_NS1_11comp_targetILNS1_3genE10ELNS1_11target_archE1201ELNS1_3gpuE5ELNS1_3repE0EEENS1_59segmented_radix_sort_warp_sort_small_config_static_selectorELNS0_4arch9wavefront6targetE0EEEvSL_.num_agpr, max(0, .L_ZN7rocprim17ROCPRIM_400000_NS6detail26segmented_warp_sort_helperINS1_20WarpSortHelperConfigILj8ELj4ELj256EEE12hip_bfloat16lLi256ELb1EvE4sortIPKS5_PS5_PKlPlEEvT_T0_T1_T2_jjjjRNS6_12storage_typeE.num_agpr)
	.set _ZN7rocprim17ROCPRIM_400000_NS6detail17trampoline_kernelINS0_14default_configENS1_36segmented_radix_sort_config_selectorI12hip_bfloat16lEEZNS1_25segmented_radix_sort_implIS3_Lb1EPKS5_PS5_PKlPlN2at6native12_GLOBAL__N_18offset_tEEE10hipError_tPvRmT1_PNSt15iterator_traitsISL_E10value_typeET2_T3_PNSM_ISR_E10value_typeET4_jRbjT5_SX_jjP12ihipStream_tbEUlT_E1_NS1_11comp_targetILNS1_3genE10ELNS1_11target_archE1201ELNS1_3gpuE5ELNS1_3repE0EEENS1_59segmented_radix_sort_warp_sort_small_config_static_selectorELNS0_4arch9wavefront6targetE0EEEvSL_.numbered_sgpr, max(33, .L_ZN7rocprim17ROCPRIM_400000_NS6detail26segmented_warp_sort_helperINS1_20WarpSortHelperConfigILj8ELj4ELj256EEE12hip_bfloat16lLi256ELb1EvE4sortIPKS5_PS5_PKlPlEEvT_T0_T1_T2_jjjjRNS6_12storage_typeE.numbered_sgpr)
	.set _ZN7rocprim17ROCPRIM_400000_NS6detail17trampoline_kernelINS0_14default_configENS1_36segmented_radix_sort_config_selectorI12hip_bfloat16lEEZNS1_25segmented_radix_sort_implIS3_Lb1EPKS5_PS5_PKlPlN2at6native12_GLOBAL__N_18offset_tEEE10hipError_tPvRmT1_PNSt15iterator_traitsISL_E10value_typeET2_T3_PNSM_ISR_E10value_typeET4_jRbjT5_SX_jjP12ihipStream_tbEUlT_E1_NS1_11comp_targetILNS1_3genE10ELNS1_11target_archE1201ELNS1_3gpuE5ELNS1_3repE0EEENS1_59segmented_radix_sort_warp_sort_small_config_static_selectorELNS0_4arch9wavefront6targetE0EEEvSL_.num_named_barrier, max(0, .L_ZN7rocprim17ROCPRIM_400000_NS6detail26segmented_warp_sort_helperINS1_20WarpSortHelperConfigILj8ELj4ELj256EEE12hip_bfloat16lLi256ELb1EvE4sortIPKS5_PS5_PKlPlEEvT_T0_T1_T2_jjjjRNS6_12storage_typeE.num_named_barrier)
	.set _ZN7rocprim17ROCPRIM_400000_NS6detail17trampoline_kernelINS0_14default_configENS1_36segmented_radix_sort_config_selectorI12hip_bfloat16lEEZNS1_25segmented_radix_sort_implIS3_Lb1EPKS5_PS5_PKlPlN2at6native12_GLOBAL__N_18offset_tEEE10hipError_tPvRmT1_PNSt15iterator_traitsISL_E10value_typeET2_T3_PNSM_ISR_E10value_typeET4_jRbjT5_SX_jjP12ihipStream_tbEUlT_E1_NS1_11comp_targetILNS1_3genE10ELNS1_11target_archE1201ELNS1_3gpuE5ELNS1_3repE0EEENS1_59segmented_radix_sort_warp_sort_small_config_static_selectorELNS0_4arch9wavefront6targetE0EEEvSL_.private_seg_size, 0+max(.L_ZN7rocprim17ROCPRIM_400000_NS6detail26segmented_warp_sort_helperINS1_20WarpSortHelperConfigILj8ELj4ELj256EEE12hip_bfloat16lLi256ELb1EvE4sortIPKS5_PS5_PKlPlEEvT_T0_T1_T2_jjjjRNS6_12storage_typeE.private_seg_size)
	.set _ZN7rocprim17ROCPRIM_400000_NS6detail17trampoline_kernelINS0_14default_configENS1_36segmented_radix_sort_config_selectorI12hip_bfloat16lEEZNS1_25segmented_radix_sort_implIS3_Lb1EPKS5_PS5_PKlPlN2at6native12_GLOBAL__N_18offset_tEEE10hipError_tPvRmT1_PNSt15iterator_traitsISL_E10value_typeET2_T3_PNSM_ISR_E10value_typeET4_jRbjT5_SX_jjP12ihipStream_tbEUlT_E1_NS1_11comp_targetILNS1_3genE10ELNS1_11target_archE1201ELNS1_3gpuE5ELNS1_3repE0EEENS1_59segmented_radix_sort_warp_sort_small_config_static_selectorELNS0_4arch9wavefront6targetE0EEEvSL_.uses_vcc, or(1, .L_ZN7rocprim17ROCPRIM_400000_NS6detail26segmented_warp_sort_helperINS1_20WarpSortHelperConfigILj8ELj4ELj256EEE12hip_bfloat16lLi256ELb1EvE4sortIPKS5_PS5_PKlPlEEvT_T0_T1_T2_jjjjRNS6_12storage_typeE.uses_vcc)
	.set _ZN7rocprim17ROCPRIM_400000_NS6detail17trampoline_kernelINS0_14default_configENS1_36segmented_radix_sort_config_selectorI12hip_bfloat16lEEZNS1_25segmented_radix_sort_implIS3_Lb1EPKS5_PS5_PKlPlN2at6native12_GLOBAL__N_18offset_tEEE10hipError_tPvRmT1_PNSt15iterator_traitsISL_E10value_typeET2_T3_PNSM_ISR_E10value_typeET4_jRbjT5_SX_jjP12ihipStream_tbEUlT_E1_NS1_11comp_targetILNS1_3genE10ELNS1_11target_archE1201ELNS1_3gpuE5ELNS1_3repE0EEENS1_59segmented_radix_sort_warp_sort_small_config_static_selectorELNS0_4arch9wavefront6targetE0EEEvSL_.uses_flat_scratch, or(0, .L_ZN7rocprim17ROCPRIM_400000_NS6detail26segmented_warp_sort_helperINS1_20WarpSortHelperConfigILj8ELj4ELj256EEE12hip_bfloat16lLi256ELb1EvE4sortIPKS5_PS5_PKlPlEEvT_T0_T1_T2_jjjjRNS6_12storage_typeE.uses_flat_scratch)
	.set _ZN7rocprim17ROCPRIM_400000_NS6detail17trampoline_kernelINS0_14default_configENS1_36segmented_radix_sort_config_selectorI12hip_bfloat16lEEZNS1_25segmented_radix_sort_implIS3_Lb1EPKS5_PS5_PKlPlN2at6native12_GLOBAL__N_18offset_tEEE10hipError_tPvRmT1_PNSt15iterator_traitsISL_E10value_typeET2_T3_PNSM_ISR_E10value_typeET4_jRbjT5_SX_jjP12ihipStream_tbEUlT_E1_NS1_11comp_targetILNS1_3genE10ELNS1_11target_archE1201ELNS1_3gpuE5ELNS1_3repE0EEENS1_59segmented_radix_sort_warp_sort_small_config_static_selectorELNS0_4arch9wavefront6targetE0EEEvSL_.has_dyn_sized_stack, or(0, .L_ZN7rocprim17ROCPRIM_400000_NS6detail26segmented_warp_sort_helperINS1_20WarpSortHelperConfigILj8ELj4ELj256EEE12hip_bfloat16lLi256ELb1EvE4sortIPKS5_PS5_PKlPlEEvT_T0_T1_T2_jjjjRNS6_12storage_typeE.has_dyn_sized_stack)
	.set _ZN7rocprim17ROCPRIM_400000_NS6detail17trampoline_kernelINS0_14default_configENS1_36segmented_radix_sort_config_selectorI12hip_bfloat16lEEZNS1_25segmented_radix_sort_implIS3_Lb1EPKS5_PS5_PKlPlN2at6native12_GLOBAL__N_18offset_tEEE10hipError_tPvRmT1_PNSt15iterator_traitsISL_E10value_typeET2_T3_PNSM_ISR_E10value_typeET4_jRbjT5_SX_jjP12ihipStream_tbEUlT_E1_NS1_11comp_targetILNS1_3genE10ELNS1_11target_archE1201ELNS1_3gpuE5ELNS1_3repE0EEENS1_59segmented_radix_sort_warp_sort_small_config_static_selectorELNS0_4arch9wavefront6targetE0EEEvSL_.has_recursion, or(0, .L_ZN7rocprim17ROCPRIM_400000_NS6detail26segmented_warp_sort_helperINS1_20WarpSortHelperConfigILj8ELj4ELj256EEE12hip_bfloat16lLi256ELb1EvE4sortIPKS5_PS5_PKlPlEEvT_T0_T1_T2_jjjjRNS6_12storage_typeE.has_recursion)
	.set _ZN7rocprim17ROCPRIM_400000_NS6detail17trampoline_kernelINS0_14default_configENS1_36segmented_radix_sort_config_selectorI12hip_bfloat16lEEZNS1_25segmented_radix_sort_implIS3_Lb1EPKS5_PS5_PKlPlN2at6native12_GLOBAL__N_18offset_tEEE10hipError_tPvRmT1_PNSt15iterator_traitsISL_E10value_typeET2_T3_PNSM_ISR_E10value_typeET4_jRbjT5_SX_jjP12ihipStream_tbEUlT_E1_NS1_11comp_targetILNS1_3genE10ELNS1_11target_archE1201ELNS1_3gpuE5ELNS1_3repE0EEENS1_59segmented_radix_sort_warp_sort_small_config_static_selectorELNS0_4arch9wavefront6targetE0EEEvSL_.has_indirect_call, or(0, .L_ZN7rocprim17ROCPRIM_400000_NS6detail26segmented_warp_sort_helperINS1_20WarpSortHelperConfigILj8ELj4ELj256EEE12hip_bfloat16lLi256ELb1EvE4sortIPKS5_PS5_PKlPlEEvT_T0_T1_T2_jjjjRNS6_12storage_typeE.has_indirect_call)
	.section	.AMDGPU.csdata,"",@progbits
; Kernel info:
; codeLenInByte = 520
; TotalNumSgprs: 35
; NumVgprs: 56
; ScratchSize: 0
; MemoryBound: 0
; FloatMode: 240
; IeeeMode: 1
; LDSByteSize: 10240 bytes/workgroup (compile time only)
; SGPRBlocks: 0
; VGPRBlocks: 6
; NumSGPRsForWavesPerEU: 35
; NumVGPRsForWavesPerEU: 56
; Occupancy: 16
; WaveLimiterHint : 0
; COMPUTE_PGM_RSRC2:SCRATCH_EN: 0
; COMPUTE_PGM_RSRC2:USER_SGPR: 2
; COMPUTE_PGM_RSRC2:TRAP_HANDLER: 0
; COMPUTE_PGM_RSRC2:TGID_X_EN: 1
; COMPUTE_PGM_RSRC2:TGID_Y_EN: 1
; COMPUTE_PGM_RSRC2:TGID_Z_EN: 0
; COMPUTE_PGM_RSRC2:TIDIG_COMP_CNT: 2
	.section	.text._ZN7rocprim17ROCPRIM_400000_NS6detail17trampoline_kernelINS0_14default_configENS1_36segmented_radix_sort_config_selectorI12hip_bfloat16lEEZNS1_25segmented_radix_sort_implIS3_Lb1EPKS5_PS5_PKlPlN2at6native12_GLOBAL__N_18offset_tEEE10hipError_tPvRmT1_PNSt15iterator_traitsISL_E10value_typeET2_T3_PNSM_ISR_E10value_typeET4_jRbjT5_SX_jjP12ihipStream_tbEUlT_E1_NS1_11comp_targetILNS1_3genE10ELNS1_11target_archE1200ELNS1_3gpuE4ELNS1_3repE0EEENS1_59segmented_radix_sort_warp_sort_small_config_static_selectorELNS0_4arch9wavefront6targetE0EEEvSL_,"axG",@progbits,_ZN7rocprim17ROCPRIM_400000_NS6detail17trampoline_kernelINS0_14default_configENS1_36segmented_radix_sort_config_selectorI12hip_bfloat16lEEZNS1_25segmented_radix_sort_implIS3_Lb1EPKS5_PS5_PKlPlN2at6native12_GLOBAL__N_18offset_tEEE10hipError_tPvRmT1_PNSt15iterator_traitsISL_E10value_typeET2_T3_PNSM_ISR_E10value_typeET4_jRbjT5_SX_jjP12ihipStream_tbEUlT_E1_NS1_11comp_targetILNS1_3genE10ELNS1_11target_archE1200ELNS1_3gpuE4ELNS1_3repE0EEENS1_59segmented_radix_sort_warp_sort_small_config_static_selectorELNS0_4arch9wavefront6targetE0EEEvSL_,comdat
	.globl	_ZN7rocprim17ROCPRIM_400000_NS6detail17trampoline_kernelINS0_14default_configENS1_36segmented_radix_sort_config_selectorI12hip_bfloat16lEEZNS1_25segmented_radix_sort_implIS3_Lb1EPKS5_PS5_PKlPlN2at6native12_GLOBAL__N_18offset_tEEE10hipError_tPvRmT1_PNSt15iterator_traitsISL_E10value_typeET2_T3_PNSM_ISR_E10value_typeET4_jRbjT5_SX_jjP12ihipStream_tbEUlT_E1_NS1_11comp_targetILNS1_3genE10ELNS1_11target_archE1200ELNS1_3gpuE4ELNS1_3repE0EEENS1_59segmented_radix_sort_warp_sort_small_config_static_selectorELNS0_4arch9wavefront6targetE0EEEvSL_ ; -- Begin function _ZN7rocprim17ROCPRIM_400000_NS6detail17trampoline_kernelINS0_14default_configENS1_36segmented_radix_sort_config_selectorI12hip_bfloat16lEEZNS1_25segmented_radix_sort_implIS3_Lb1EPKS5_PS5_PKlPlN2at6native12_GLOBAL__N_18offset_tEEE10hipError_tPvRmT1_PNSt15iterator_traitsISL_E10value_typeET2_T3_PNSM_ISR_E10value_typeET4_jRbjT5_SX_jjP12ihipStream_tbEUlT_E1_NS1_11comp_targetILNS1_3genE10ELNS1_11target_archE1200ELNS1_3gpuE4ELNS1_3repE0EEENS1_59segmented_radix_sort_warp_sort_small_config_static_selectorELNS0_4arch9wavefront6targetE0EEEvSL_
	.p2align	8
	.type	_ZN7rocprim17ROCPRIM_400000_NS6detail17trampoline_kernelINS0_14default_configENS1_36segmented_radix_sort_config_selectorI12hip_bfloat16lEEZNS1_25segmented_radix_sort_implIS3_Lb1EPKS5_PS5_PKlPlN2at6native12_GLOBAL__N_18offset_tEEE10hipError_tPvRmT1_PNSt15iterator_traitsISL_E10value_typeET2_T3_PNSM_ISR_E10value_typeET4_jRbjT5_SX_jjP12ihipStream_tbEUlT_E1_NS1_11comp_targetILNS1_3genE10ELNS1_11target_archE1200ELNS1_3gpuE4ELNS1_3repE0EEENS1_59segmented_radix_sort_warp_sort_small_config_static_selectorELNS0_4arch9wavefront6targetE0EEEvSL_,@function
_ZN7rocprim17ROCPRIM_400000_NS6detail17trampoline_kernelINS0_14default_configENS1_36segmented_radix_sort_config_selectorI12hip_bfloat16lEEZNS1_25segmented_radix_sort_implIS3_Lb1EPKS5_PS5_PKlPlN2at6native12_GLOBAL__N_18offset_tEEE10hipError_tPvRmT1_PNSt15iterator_traitsISL_E10value_typeET2_T3_PNSM_ISR_E10value_typeET4_jRbjT5_SX_jjP12ihipStream_tbEUlT_E1_NS1_11comp_targetILNS1_3genE10ELNS1_11target_archE1200ELNS1_3gpuE4ELNS1_3repE0EEENS1_59segmented_radix_sort_warp_sort_small_config_static_selectorELNS0_4arch9wavefront6targetE0EEEvSL_: ; @_ZN7rocprim17ROCPRIM_400000_NS6detail17trampoline_kernelINS0_14default_configENS1_36segmented_radix_sort_config_selectorI12hip_bfloat16lEEZNS1_25segmented_radix_sort_implIS3_Lb1EPKS5_PS5_PKlPlN2at6native12_GLOBAL__N_18offset_tEEE10hipError_tPvRmT1_PNSt15iterator_traitsISL_E10value_typeET2_T3_PNSM_ISR_E10value_typeET4_jRbjT5_SX_jjP12ihipStream_tbEUlT_E1_NS1_11comp_targetILNS1_3genE10ELNS1_11target_archE1200ELNS1_3gpuE4ELNS1_3repE0EEENS1_59segmented_radix_sort_warp_sort_small_config_static_selectorELNS0_4arch9wavefront6targetE0EEEvSL_
; %bb.0:
	.section	.rodata,"a",@progbits
	.p2align	6, 0x0
	.amdhsa_kernel _ZN7rocprim17ROCPRIM_400000_NS6detail17trampoline_kernelINS0_14default_configENS1_36segmented_radix_sort_config_selectorI12hip_bfloat16lEEZNS1_25segmented_radix_sort_implIS3_Lb1EPKS5_PS5_PKlPlN2at6native12_GLOBAL__N_18offset_tEEE10hipError_tPvRmT1_PNSt15iterator_traitsISL_E10value_typeET2_T3_PNSM_ISR_E10value_typeET4_jRbjT5_SX_jjP12ihipStream_tbEUlT_E1_NS1_11comp_targetILNS1_3genE10ELNS1_11target_archE1200ELNS1_3gpuE4ELNS1_3repE0EEENS1_59segmented_radix_sort_warp_sort_small_config_static_selectorELNS0_4arch9wavefront6targetE0EEEvSL_
		.amdhsa_group_segment_fixed_size 0
		.amdhsa_private_segment_fixed_size 0
		.amdhsa_kernarg_size 88
		.amdhsa_user_sgpr_count 2
		.amdhsa_user_sgpr_dispatch_ptr 0
		.amdhsa_user_sgpr_queue_ptr 0
		.amdhsa_user_sgpr_kernarg_segment_ptr 1
		.amdhsa_user_sgpr_dispatch_id 0
		.amdhsa_user_sgpr_private_segment_size 0
		.amdhsa_wavefront_size32 1
		.amdhsa_uses_dynamic_stack 0
		.amdhsa_enable_private_segment 0
		.amdhsa_system_sgpr_workgroup_id_x 1
		.amdhsa_system_sgpr_workgroup_id_y 0
		.amdhsa_system_sgpr_workgroup_id_z 0
		.amdhsa_system_sgpr_workgroup_info 0
		.amdhsa_system_vgpr_workitem_id 0
		.amdhsa_next_free_vgpr 1
		.amdhsa_next_free_sgpr 1
		.amdhsa_reserve_vcc 0
		.amdhsa_float_round_mode_32 0
		.amdhsa_float_round_mode_16_64 0
		.amdhsa_float_denorm_mode_32 3
		.amdhsa_float_denorm_mode_16_64 3
		.amdhsa_fp16_overflow 0
		.amdhsa_workgroup_processor_mode 1
		.amdhsa_memory_ordered 1
		.amdhsa_forward_progress 1
		.amdhsa_inst_pref_size 0
		.amdhsa_round_robin_scheduling 0
		.amdhsa_exception_fp_ieee_invalid_op 0
		.amdhsa_exception_fp_denorm_src 0
		.amdhsa_exception_fp_ieee_div_zero 0
		.amdhsa_exception_fp_ieee_overflow 0
		.amdhsa_exception_fp_ieee_underflow 0
		.amdhsa_exception_fp_ieee_inexact 0
		.amdhsa_exception_int_div_zero 0
	.end_amdhsa_kernel
	.section	.text._ZN7rocprim17ROCPRIM_400000_NS6detail17trampoline_kernelINS0_14default_configENS1_36segmented_radix_sort_config_selectorI12hip_bfloat16lEEZNS1_25segmented_radix_sort_implIS3_Lb1EPKS5_PS5_PKlPlN2at6native12_GLOBAL__N_18offset_tEEE10hipError_tPvRmT1_PNSt15iterator_traitsISL_E10value_typeET2_T3_PNSM_ISR_E10value_typeET4_jRbjT5_SX_jjP12ihipStream_tbEUlT_E1_NS1_11comp_targetILNS1_3genE10ELNS1_11target_archE1200ELNS1_3gpuE4ELNS1_3repE0EEENS1_59segmented_radix_sort_warp_sort_small_config_static_selectorELNS0_4arch9wavefront6targetE0EEEvSL_,"axG",@progbits,_ZN7rocprim17ROCPRIM_400000_NS6detail17trampoline_kernelINS0_14default_configENS1_36segmented_radix_sort_config_selectorI12hip_bfloat16lEEZNS1_25segmented_radix_sort_implIS3_Lb1EPKS5_PS5_PKlPlN2at6native12_GLOBAL__N_18offset_tEEE10hipError_tPvRmT1_PNSt15iterator_traitsISL_E10value_typeET2_T3_PNSM_ISR_E10value_typeET4_jRbjT5_SX_jjP12ihipStream_tbEUlT_E1_NS1_11comp_targetILNS1_3genE10ELNS1_11target_archE1200ELNS1_3gpuE4ELNS1_3repE0EEENS1_59segmented_radix_sort_warp_sort_small_config_static_selectorELNS0_4arch9wavefront6targetE0EEEvSL_,comdat
.Lfunc_end1973:
	.size	_ZN7rocprim17ROCPRIM_400000_NS6detail17trampoline_kernelINS0_14default_configENS1_36segmented_radix_sort_config_selectorI12hip_bfloat16lEEZNS1_25segmented_radix_sort_implIS3_Lb1EPKS5_PS5_PKlPlN2at6native12_GLOBAL__N_18offset_tEEE10hipError_tPvRmT1_PNSt15iterator_traitsISL_E10value_typeET2_T3_PNSM_ISR_E10value_typeET4_jRbjT5_SX_jjP12ihipStream_tbEUlT_E1_NS1_11comp_targetILNS1_3genE10ELNS1_11target_archE1200ELNS1_3gpuE4ELNS1_3repE0EEENS1_59segmented_radix_sort_warp_sort_small_config_static_selectorELNS0_4arch9wavefront6targetE0EEEvSL_, .Lfunc_end1973-_ZN7rocprim17ROCPRIM_400000_NS6detail17trampoline_kernelINS0_14default_configENS1_36segmented_radix_sort_config_selectorI12hip_bfloat16lEEZNS1_25segmented_radix_sort_implIS3_Lb1EPKS5_PS5_PKlPlN2at6native12_GLOBAL__N_18offset_tEEE10hipError_tPvRmT1_PNSt15iterator_traitsISL_E10value_typeET2_T3_PNSM_ISR_E10value_typeET4_jRbjT5_SX_jjP12ihipStream_tbEUlT_E1_NS1_11comp_targetILNS1_3genE10ELNS1_11target_archE1200ELNS1_3gpuE4ELNS1_3repE0EEENS1_59segmented_radix_sort_warp_sort_small_config_static_selectorELNS0_4arch9wavefront6targetE0EEEvSL_
                                        ; -- End function
	.set _ZN7rocprim17ROCPRIM_400000_NS6detail17trampoline_kernelINS0_14default_configENS1_36segmented_radix_sort_config_selectorI12hip_bfloat16lEEZNS1_25segmented_radix_sort_implIS3_Lb1EPKS5_PS5_PKlPlN2at6native12_GLOBAL__N_18offset_tEEE10hipError_tPvRmT1_PNSt15iterator_traitsISL_E10value_typeET2_T3_PNSM_ISR_E10value_typeET4_jRbjT5_SX_jjP12ihipStream_tbEUlT_E1_NS1_11comp_targetILNS1_3genE10ELNS1_11target_archE1200ELNS1_3gpuE4ELNS1_3repE0EEENS1_59segmented_radix_sort_warp_sort_small_config_static_selectorELNS0_4arch9wavefront6targetE0EEEvSL_.num_vgpr, 0
	.set _ZN7rocprim17ROCPRIM_400000_NS6detail17trampoline_kernelINS0_14default_configENS1_36segmented_radix_sort_config_selectorI12hip_bfloat16lEEZNS1_25segmented_radix_sort_implIS3_Lb1EPKS5_PS5_PKlPlN2at6native12_GLOBAL__N_18offset_tEEE10hipError_tPvRmT1_PNSt15iterator_traitsISL_E10value_typeET2_T3_PNSM_ISR_E10value_typeET4_jRbjT5_SX_jjP12ihipStream_tbEUlT_E1_NS1_11comp_targetILNS1_3genE10ELNS1_11target_archE1200ELNS1_3gpuE4ELNS1_3repE0EEENS1_59segmented_radix_sort_warp_sort_small_config_static_selectorELNS0_4arch9wavefront6targetE0EEEvSL_.num_agpr, 0
	.set _ZN7rocprim17ROCPRIM_400000_NS6detail17trampoline_kernelINS0_14default_configENS1_36segmented_radix_sort_config_selectorI12hip_bfloat16lEEZNS1_25segmented_radix_sort_implIS3_Lb1EPKS5_PS5_PKlPlN2at6native12_GLOBAL__N_18offset_tEEE10hipError_tPvRmT1_PNSt15iterator_traitsISL_E10value_typeET2_T3_PNSM_ISR_E10value_typeET4_jRbjT5_SX_jjP12ihipStream_tbEUlT_E1_NS1_11comp_targetILNS1_3genE10ELNS1_11target_archE1200ELNS1_3gpuE4ELNS1_3repE0EEENS1_59segmented_radix_sort_warp_sort_small_config_static_selectorELNS0_4arch9wavefront6targetE0EEEvSL_.numbered_sgpr, 0
	.set _ZN7rocprim17ROCPRIM_400000_NS6detail17trampoline_kernelINS0_14default_configENS1_36segmented_radix_sort_config_selectorI12hip_bfloat16lEEZNS1_25segmented_radix_sort_implIS3_Lb1EPKS5_PS5_PKlPlN2at6native12_GLOBAL__N_18offset_tEEE10hipError_tPvRmT1_PNSt15iterator_traitsISL_E10value_typeET2_T3_PNSM_ISR_E10value_typeET4_jRbjT5_SX_jjP12ihipStream_tbEUlT_E1_NS1_11comp_targetILNS1_3genE10ELNS1_11target_archE1200ELNS1_3gpuE4ELNS1_3repE0EEENS1_59segmented_radix_sort_warp_sort_small_config_static_selectorELNS0_4arch9wavefront6targetE0EEEvSL_.num_named_barrier, 0
	.set _ZN7rocprim17ROCPRIM_400000_NS6detail17trampoline_kernelINS0_14default_configENS1_36segmented_radix_sort_config_selectorI12hip_bfloat16lEEZNS1_25segmented_radix_sort_implIS3_Lb1EPKS5_PS5_PKlPlN2at6native12_GLOBAL__N_18offset_tEEE10hipError_tPvRmT1_PNSt15iterator_traitsISL_E10value_typeET2_T3_PNSM_ISR_E10value_typeET4_jRbjT5_SX_jjP12ihipStream_tbEUlT_E1_NS1_11comp_targetILNS1_3genE10ELNS1_11target_archE1200ELNS1_3gpuE4ELNS1_3repE0EEENS1_59segmented_radix_sort_warp_sort_small_config_static_selectorELNS0_4arch9wavefront6targetE0EEEvSL_.private_seg_size, 0
	.set _ZN7rocprim17ROCPRIM_400000_NS6detail17trampoline_kernelINS0_14default_configENS1_36segmented_radix_sort_config_selectorI12hip_bfloat16lEEZNS1_25segmented_radix_sort_implIS3_Lb1EPKS5_PS5_PKlPlN2at6native12_GLOBAL__N_18offset_tEEE10hipError_tPvRmT1_PNSt15iterator_traitsISL_E10value_typeET2_T3_PNSM_ISR_E10value_typeET4_jRbjT5_SX_jjP12ihipStream_tbEUlT_E1_NS1_11comp_targetILNS1_3genE10ELNS1_11target_archE1200ELNS1_3gpuE4ELNS1_3repE0EEENS1_59segmented_radix_sort_warp_sort_small_config_static_selectorELNS0_4arch9wavefront6targetE0EEEvSL_.uses_vcc, 0
	.set _ZN7rocprim17ROCPRIM_400000_NS6detail17trampoline_kernelINS0_14default_configENS1_36segmented_radix_sort_config_selectorI12hip_bfloat16lEEZNS1_25segmented_radix_sort_implIS3_Lb1EPKS5_PS5_PKlPlN2at6native12_GLOBAL__N_18offset_tEEE10hipError_tPvRmT1_PNSt15iterator_traitsISL_E10value_typeET2_T3_PNSM_ISR_E10value_typeET4_jRbjT5_SX_jjP12ihipStream_tbEUlT_E1_NS1_11comp_targetILNS1_3genE10ELNS1_11target_archE1200ELNS1_3gpuE4ELNS1_3repE0EEENS1_59segmented_radix_sort_warp_sort_small_config_static_selectorELNS0_4arch9wavefront6targetE0EEEvSL_.uses_flat_scratch, 0
	.set _ZN7rocprim17ROCPRIM_400000_NS6detail17trampoline_kernelINS0_14default_configENS1_36segmented_radix_sort_config_selectorI12hip_bfloat16lEEZNS1_25segmented_radix_sort_implIS3_Lb1EPKS5_PS5_PKlPlN2at6native12_GLOBAL__N_18offset_tEEE10hipError_tPvRmT1_PNSt15iterator_traitsISL_E10value_typeET2_T3_PNSM_ISR_E10value_typeET4_jRbjT5_SX_jjP12ihipStream_tbEUlT_E1_NS1_11comp_targetILNS1_3genE10ELNS1_11target_archE1200ELNS1_3gpuE4ELNS1_3repE0EEENS1_59segmented_radix_sort_warp_sort_small_config_static_selectorELNS0_4arch9wavefront6targetE0EEEvSL_.has_dyn_sized_stack, 0
	.set _ZN7rocprim17ROCPRIM_400000_NS6detail17trampoline_kernelINS0_14default_configENS1_36segmented_radix_sort_config_selectorI12hip_bfloat16lEEZNS1_25segmented_radix_sort_implIS3_Lb1EPKS5_PS5_PKlPlN2at6native12_GLOBAL__N_18offset_tEEE10hipError_tPvRmT1_PNSt15iterator_traitsISL_E10value_typeET2_T3_PNSM_ISR_E10value_typeET4_jRbjT5_SX_jjP12ihipStream_tbEUlT_E1_NS1_11comp_targetILNS1_3genE10ELNS1_11target_archE1200ELNS1_3gpuE4ELNS1_3repE0EEENS1_59segmented_radix_sort_warp_sort_small_config_static_selectorELNS0_4arch9wavefront6targetE0EEEvSL_.has_recursion, 0
	.set _ZN7rocprim17ROCPRIM_400000_NS6detail17trampoline_kernelINS0_14default_configENS1_36segmented_radix_sort_config_selectorI12hip_bfloat16lEEZNS1_25segmented_radix_sort_implIS3_Lb1EPKS5_PS5_PKlPlN2at6native12_GLOBAL__N_18offset_tEEE10hipError_tPvRmT1_PNSt15iterator_traitsISL_E10value_typeET2_T3_PNSM_ISR_E10value_typeET4_jRbjT5_SX_jjP12ihipStream_tbEUlT_E1_NS1_11comp_targetILNS1_3genE10ELNS1_11target_archE1200ELNS1_3gpuE4ELNS1_3repE0EEENS1_59segmented_radix_sort_warp_sort_small_config_static_selectorELNS0_4arch9wavefront6targetE0EEEvSL_.has_indirect_call, 0
	.section	.AMDGPU.csdata,"",@progbits
; Kernel info:
; codeLenInByte = 0
; TotalNumSgprs: 0
; NumVgprs: 0
; ScratchSize: 0
; MemoryBound: 0
; FloatMode: 240
; IeeeMode: 1
; LDSByteSize: 0 bytes/workgroup (compile time only)
; SGPRBlocks: 0
; VGPRBlocks: 0
; NumSGPRsForWavesPerEU: 1
; NumVGPRsForWavesPerEU: 1
; Occupancy: 16
; WaveLimiterHint : 0
; COMPUTE_PGM_RSRC2:SCRATCH_EN: 0
; COMPUTE_PGM_RSRC2:USER_SGPR: 2
; COMPUTE_PGM_RSRC2:TRAP_HANDLER: 0
; COMPUTE_PGM_RSRC2:TGID_X_EN: 1
; COMPUTE_PGM_RSRC2:TGID_Y_EN: 0
; COMPUTE_PGM_RSRC2:TGID_Z_EN: 0
; COMPUTE_PGM_RSRC2:TIDIG_COMP_CNT: 0
	.section	.text._ZN7rocprim17ROCPRIM_400000_NS6detail17trampoline_kernelINS0_14default_configENS1_36segmented_radix_sort_config_selectorI12hip_bfloat16lEEZNS1_25segmented_radix_sort_implIS3_Lb1EPKS5_PS5_PKlPlN2at6native12_GLOBAL__N_18offset_tEEE10hipError_tPvRmT1_PNSt15iterator_traitsISL_E10value_typeET2_T3_PNSM_ISR_E10value_typeET4_jRbjT5_SX_jjP12ihipStream_tbEUlT_E1_NS1_11comp_targetILNS1_3genE9ELNS1_11target_archE1100ELNS1_3gpuE3ELNS1_3repE0EEENS1_59segmented_radix_sort_warp_sort_small_config_static_selectorELNS0_4arch9wavefront6targetE0EEEvSL_,"axG",@progbits,_ZN7rocprim17ROCPRIM_400000_NS6detail17trampoline_kernelINS0_14default_configENS1_36segmented_radix_sort_config_selectorI12hip_bfloat16lEEZNS1_25segmented_radix_sort_implIS3_Lb1EPKS5_PS5_PKlPlN2at6native12_GLOBAL__N_18offset_tEEE10hipError_tPvRmT1_PNSt15iterator_traitsISL_E10value_typeET2_T3_PNSM_ISR_E10value_typeET4_jRbjT5_SX_jjP12ihipStream_tbEUlT_E1_NS1_11comp_targetILNS1_3genE9ELNS1_11target_archE1100ELNS1_3gpuE3ELNS1_3repE0EEENS1_59segmented_radix_sort_warp_sort_small_config_static_selectorELNS0_4arch9wavefront6targetE0EEEvSL_,comdat
	.globl	_ZN7rocprim17ROCPRIM_400000_NS6detail17trampoline_kernelINS0_14default_configENS1_36segmented_radix_sort_config_selectorI12hip_bfloat16lEEZNS1_25segmented_radix_sort_implIS3_Lb1EPKS5_PS5_PKlPlN2at6native12_GLOBAL__N_18offset_tEEE10hipError_tPvRmT1_PNSt15iterator_traitsISL_E10value_typeET2_T3_PNSM_ISR_E10value_typeET4_jRbjT5_SX_jjP12ihipStream_tbEUlT_E1_NS1_11comp_targetILNS1_3genE9ELNS1_11target_archE1100ELNS1_3gpuE3ELNS1_3repE0EEENS1_59segmented_radix_sort_warp_sort_small_config_static_selectorELNS0_4arch9wavefront6targetE0EEEvSL_ ; -- Begin function _ZN7rocprim17ROCPRIM_400000_NS6detail17trampoline_kernelINS0_14default_configENS1_36segmented_radix_sort_config_selectorI12hip_bfloat16lEEZNS1_25segmented_radix_sort_implIS3_Lb1EPKS5_PS5_PKlPlN2at6native12_GLOBAL__N_18offset_tEEE10hipError_tPvRmT1_PNSt15iterator_traitsISL_E10value_typeET2_T3_PNSM_ISR_E10value_typeET4_jRbjT5_SX_jjP12ihipStream_tbEUlT_E1_NS1_11comp_targetILNS1_3genE9ELNS1_11target_archE1100ELNS1_3gpuE3ELNS1_3repE0EEENS1_59segmented_radix_sort_warp_sort_small_config_static_selectorELNS0_4arch9wavefront6targetE0EEEvSL_
	.p2align	8
	.type	_ZN7rocprim17ROCPRIM_400000_NS6detail17trampoline_kernelINS0_14default_configENS1_36segmented_radix_sort_config_selectorI12hip_bfloat16lEEZNS1_25segmented_radix_sort_implIS3_Lb1EPKS5_PS5_PKlPlN2at6native12_GLOBAL__N_18offset_tEEE10hipError_tPvRmT1_PNSt15iterator_traitsISL_E10value_typeET2_T3_PNSM_ISR_E10value_typeET4_jRbjT5_SX_jjP12ihipStream_tbEUlT_E1_NS1_11comp_targetILNS1_3genE9ELNS1_11target_archE1100ELNS1_3gpuE3ELNS1_3repE0EEENS1_59segmented_radix_sort_warp_sort_small_config_static_selectorELNS0_4arch9wavefront6targetE0EEEvSL_,@function
_ZN7rocprim17ROCPRIM_400000_NS6detail17trampoline_kernelINS0_14default_configENS1_36segmented_radix_sort_config_selectorI12hip_bfloat16lEEZNS1_25segmented_radix_sort_implIS3_Lb1EPKS5_PS5_PKlPlN2at6native12_GLOBAL__N_18offset_tEEE10hipError_tPvRmT1_PNSt15iterator_traitsISL_E10value_typeET2_T3_PNSM_ISR_E10value_typeET4_jRbjT5_SX_jjP12ihipStream_tbEUlT_E1_NS1_11comp_targetILNS1_3genE9ELNS1_11target_archE1100ELNS1_3gpuE3ELNS1_3repE0EEENS1_59segmented_radix_sort_warp_sort_small_config_static_selectorELNS0_4arch9wavefront6targetE0EEEvSL_: ; @_ZN7rocprim17ROCPRIM_400000_NS6detail17trampoline_kernelINS0_14default_configENS1_36segmented_radix_sort_config_selectorI12hip_bfloat16lEEZNS1_25segmented_radix_sort_implIS3_Lb1EPKS5_PS5_PKlPlN2at6native12_GLOBAL__N_18offset_tEEE10hipError_tPvRmT1_PNSt15iterator_traitsISL_E10value_typeET2_T3_PNSM_ISR_E10value_typeET4_jRbjT5_SX_jjP12ihipStream_tbEUlT_E1_NS1_11comp_targetILNS1_3genE9ELNS1_11target_archE1100ELNS1_3gpuE3ELNS1_3repE0EEENS1_59segmented_radix_sort_warp_sort_small_config_static_selectorELNS0_4arch9wavefront6targetE0EEEvSL_
; %bb.0:
	.section	.rodata,"a",@progbits
	.p2align	6, 0x0
	.amdhsa_kernel _ZN7rocprim17ROCPRIM_400000_NS6detail17trampoline_kernelINS0_14default_configENS1_36segmented_radix_sort_config_selectorI12hip_bfloat16lEEZNS1_25segmented_radix_sort_implIS3_Lb1EPKS5_PS5_PKlPlN2at6native12_GLOBAL__N_18offset_tEEE10hipError_tPvRmT1_PNSt15iterator_traitsISL_E10value_typeET2_T3_PNSM_ISR_E10value_typeET4_jRbjT5_SX_jjP12ihipStream_tbEUlT_E1_NS1_11comp_targetILNS1_3genE9ELNS1_11target_archE1100ELNS1_3gpuE3ELNS1_3repE0EEENS1_59segmented_radix_sort_warp_sort_small_config_static_selectorELNS0_4arch9wavefront6targetE0EEEvSL_
		.amdhsa_group_segment_fixed_size 0
		.amdhsa_private_segment_fixed_size 0
		.amdhsa_kernarg_size 88
		.amdhsa_user_sgpr_count 2
		.amdhsa_user_sgpr_dispatch_ptr 0
		.amdhsa_user_sgpr_queue_ptr 0
		.amdhsa_user_sgpr_kernarg_segment_ptr 1
		.amdhsa_user_sgpr_dispatch_id 0
		.amdhsa_user_sgpr_private_segment_size 0
		.amdhsa_wavefront_size32 1
		.amdhsa_uses_dynamic_stack 0
		.amdhsa_enable_private_segment 0
		.amdhsa_system_sgpr_workgroup_id_x 1
		.amdhsa_system_sgpr_workgroup_id_y 0
		.amdhsa_system_sgpr_workgroup_id_z 0
		.amdhsa_system_sgpr_workgroup_info 0
		.amdhsa_system_vgpr_workitem_id 0
		.amdhsa_next_free_vgpr 1
		.amdhsa_next_free_sgpr 1
		.amdhsa_reserve_vcc 0
		.amdhsa_float_round_mode_32 0
		.amdhsa_float_round_mode_16_64 0
		.amdhsa_float_denorm_mode_32 3
		.amdhsa_float_denorm_mode_16_64 3
		.amdhsa_fp16_overflow 0
		.amdhsa_workgroup_processor_mode 1
		.amdhsa_memory_ordered 1
		.amdhsa_forward_progress 1
		.amdhsa_inst_pref_size 0
		.amdhsa_round_robin_scheduling 0
		.amdhsa_exception_fp_ieee_invalid_op 0
		.amdhsa_exception_fp_denorm_src 0
		.amdhsa_exception_fp_ieee_div_zero 0
		.amdhsa_exception_fp_ieee_overflow 0
		.amdhsa_exception_fp_ieee_underflow 0
		.amdhsa_exception_fp_ieee_inexact 0
		.amdhsa_exception_int_div_zero 0
	.end_amdhsa_kernel
	.section	.text._ZN7rocprim17ROCPRIM_400000_NS6detail17trampoline_kernelINS0_14default_configENS1_36segmented_radix_sort_config_selectorI12hip_bfloat16lEEZNS1_25segmented_radix_sort_implIS3_Lb1EPKS5_PS5_PKlPlN2at6native12_GLOBAL__N_18offset_tEEE10hipError_tPvRmT1_PNSt15iterator_traitsISL_E10value_typeET2_T3_PNSM_ISR_E10value_typeET4_jRbjT5_SX_jjP12ihipStream_tbEUlT_E1_NS1_11comp_targetILNS1_3genE9ELNS1_11target_archE1100ELNS1_3gpuE3ELNS1_3repE0EEENS1_59segmented_radix_sort_warp_sort_small_config_static_selectorELNS0_4arch9wavefront6targetE0EEEvSL_,"axG",@progbits,_ZN7rocprim17ROCPRIM_400000_NS6detail17trampoline_kernelINS0_14default_configENS1_36segmented_radix_sort_config_selectorI12hip_bfloat16lEEZNS1_25segmented_radix_sort_implIS3_Lb1EPKS5_PS5_PKlPlN2at6native12_GLOBAL__N_18offset_tEEE10hipError_tPvRmT1_PNSt15iterator_traitsISL_E10value_typeET2_T3_PNSM_ISR_E10value_typeET4_jRbjT5_SX_jjP12ihipStream_tbEUlT_E1_NS1_11comp_targetILNS1_3genE9ELNS1_11target_archE1100ELNS1_3gpuE3ELNS1_3repE0EEENS1_59segmented_radix_sort_warp_sort_small_config_static_selectorELNS0_4arch9wavefront6targetE0EEEvSL_,comdat
.Lfunc_end1974:
	.size	_ZN7rocprim17ROCPRIM_400000_NS6detail17trampoline_kernelINS0_14default_configENS1_36segmented_radix_sort_config_selectorI12hip_bfloat16lEEZNS1_25segmented_radix_sort_implIS3_Lb1EPKS5_PS5_PKlPlN2at6native12_GLOBAL__N_18offset_tEEE10hipError_tPvRmT1_PNSt15iterator_traitsISL_E10value_typeET2_T3_PNSM_ISR_E10value_typeET4_jRbjT5_SX_jjP12ihipStream_tbEUlT_E1_NS1_11comp_targetILNS1_3genE9ELNS1_11target_archE1100ELNS1_3gpuE3ELNS1_3repE0EEENS1_59segmented_radix_sort_warp_sort_small_config_static_selectorELNS0_4arch9wavefront6targetE0EEEvSL_, .Lfunc_end1974-_ZN7rocprim17ROCPRIM_400000_NS6detail17trampoline_kernelINS0_14default_configENS1_36segmented_radix_sort_config_selectorI12hip_bfloat16lEEZNS1_25segmented_radix_sort_implIS3_Lb1EPKS5_PS5_PKlPlN2at6native12_GLOBAL__N_18offset_tEEE10hipError_tPvRmT1_PNSt15iterator_traitsISL_E10value_typeET2_T3_PNSM_ISR_E10value_typeET4_jRbjT5_SX_jjP12ihipStream_tbEUlT_E1_NS1_11comp_targetILNS1_3genE9ELNS1_11target_archE1100ELNS1_3gpuE3ELNS1_3repE0EEENS1_59segmented_radix_sort_warp_sort_small_config_static_selectorELNS0_4arch9wavefront6targetE0EEEvSL_
                                        ; -- End function
	.set _ZN7rocprim17ROCPRIM_400000_NS6detail17trampoline_kernelINS0_14default_configENS1_36segmented_radix_sort_config_selectorI12hip_bfloat16lEEZNS1_25segmented_radix_sort_implIS3_Lb1EPKS5_PS5_PKlPlN2at6native12_GLOBAL__N_18offset_tEEE10hipError_tPvRmT1_PNSt15iterator_traitsISL_E10value_typeET2_T3_PNSM_ISR_E10value_typeET4_jRbjT5_SX_jjP12ihipStream_tbEUlT_E1_NS1_11comp_targetILNS1_3genE9ELNS1_11target_archE1100ELNS1_3gpuE3ELNS1_3repE0EEENS1_59segmented_radix_sort_warp_sort_small_config_static_selectorELNS0_4arch9wavefront6targetE0EEEvSL_.num_vgpr, 0
	.set _ZN7rocprim17ROCPRIM_400000_NS6detail17trampoline_kernelINS0_14default_configENS1_36segmented_radix_sort_config_selectorI12hip_bfloat16lEEZNS1_25segmented_radix_sort_implIS3_Lb1EPKS5_PS5_PKlPlN2at6native12_GLOBAL__N_18offset_tEEE10hipError_tPvRmT1_PNSt15iterator_traitsISL_E10value_typeET2_T3_PNSM_ISR_E10value_typeET4_jRbjT5_SX_jjP12ihipStream_tbEUlT_E1_NS1_11comp_targetILNS1_3genE9ELNS1_11target_archE1100ELNS1_3gpuE3ELNS1_3repE0EEENS1_59segmented_radix_sort_warp_sort_small_config_static_selectorELNS0_4arch9wavefront6targetE0EEEvSL_.num_agpr, 0
	.set _ZN7rocprim17ROCPRIM_400000_NS6detail17trampoline_kernelINS0_14default_configENS1_36segmented_radix_sort_config_selectorI12hip_bfloat16lEEZNS1_25segmented_radix_sort_implIS3_Lb1EPKS5_PS5_PKlPlN2at6native12_GLOBAL__N_18offset_tEEE10hipError_tPvRmT1_PNSt15iterator_traitsISL_E10value_typeET2_T3_PNSM_ISR_E10value_typeET4_jRbjT5_SX_jjP12ihipStream_tbEUlT_E1_NS1_11comp_targetILNS1_3genE9ELNS1_11target_archE1100ELNS1_3gpuE3ELNS1_3repE0EEENS1_59segmented_radix_sort_warp_sort_small_config_static_selectorELNS0_4arch9wavefront6targetE0EEEvSL_.numbered_sgpr, 0
	.set _ZN7rocprim17ROCPRIM_400000_NS6detail17trampoline_kernelINS0_14default_configENS1_36segmented_radix_sort_config_selectorI12hip_bfloat16lEEZNS1_25segmented_radix_sort_implIS3_Lb1EPKS5_PS5_PKlPlN2at6native12_GLOBAL__N_18offset_tEEE10hipError_tPvRmT1_PNSt15iterator_traitsISL_E10value_typeET2_T3_PNSM_ISR_E10value_typeET4_jRbjT5_SX_jjP12ihipStream_tbEUlT_E1_NS1_11comp_targetILNS1_3genE9ELNS1_11target_archE1100ELNS1_3gpuE3ELNS1_3repE0EEENS1_59segmented_radix_sort_warp_sort_small_config_static_selectorELNS0_4arch9wavefront6targetE0EEEvSL_.num_named_barrier, 0
	.set _ZN7rocprim17ROCPRIM_400000_NS6detail17trampoline_kernelINS0_14default_configENS1_36segmented_radix_sort_config_selectorI12hip_bfloat16lEEZNS1_25segmented_radix_sort_implIS3_Lb1EPKS5_PS5_PKlPlN2at6native12_GLOBAL__N_18offset_tEEE10hipError_tPvRmT1_PNSt15iterator_traitsISL_E10value_typeET2_T3_PNSM_ISR_E10value_typeET4_jRbjT5_SX_jjP12ihipStream_tbEUlT_E1_NS1_11comp_targetILNS1_3genE9ELNS1_11target_archE1100ELNS1_3gpuE3ELNS1_3repE0EEENS1_59segmented_radix_sort_warp_sort_small_config_static_selectorELNS0_4arch9wavefront6targetE0EEEvSL_.private_seg_size, 0
	.set _ZN7rocprim17ROCPRIM_400000_NS6detail17trampoline_kernelINS0_14default_configENS1_36segmented_radix_sort_config_selectorI12hip_bfloat16lEEZNS1_25segmented_radix_sort_implIS3_Lb1EPKS5_PS5_PKlPlN2at6native12_GLOBAL__N_18offset_tEEE10hipError_tPvRmT1_PNSt15iterator_traitsISL_E10value_typeET2_T3_PNSM_ISR_E10value_typeET4_jRbjT5_SX_jjP12ihipStream_tbEUlT_E1_NS1_11comp_targetILNS1_3genE9ELNS1_11target_archE1100ELNS1_3gpuE3ELNS1_3repE0EEENS1_59segmented_radix_sort_warp_sort_small_config_static_selectorELNS0_4arch9wavefront6targetE0EEEvSL_.uses_vcc, 0
	.set _ZN7rocprim17ROCPRIM_400000_NS6detail17trampoline_kernelINS0_14default_configENS1_36segmented_radix_sort_config_selectorI12hip_bfloat16lEEZNS1_25segmented_radix_sort_implIS3_Lb1EPKS5_PS5_PKlPlN2at6native12_GLOBAL__N_18offset_tEEE10hipError_tPvRmT1_PNSt15iterator_traitsISL_E10value_typeET2_T3_PNSM_ISR_E10value_typeET4_jRbjT5_SX_jjP12ihipStream_tbEUlT_E1_NS1_11comp_targetILNS1_3genE9ELNS1_11target_archE1100ELNS1_3gpuE3ELNS1_3repE0EEENS1_59segmented_radix_sort_warp_sort_small_config_static_selectorELNS0_4arch9wavefront6targetE0EEEvSL_.uses_flat_scratch, 0
	.set _ZN7rocprim17ROCPRIM_400000_NS6detail17trampoline_kernelINS0_14default_configENS1_36segmented_radix_sort_config_selectorI12hip_bfloat16lEEZNS1_25segmented_radix_sort_implIS3_Lb1EPKS5_PS5_PKlPlN2at6native12_GLOBAL__N_18offset_tEEE10hipError_tPvRmT1_PNSt15iterator_traitsISL_E10value_typeET2_T3_PNSM_ISR_E10value_typeET4_jRbjT5_SX_jjP12ihipStream_tbEUlT_E1_NS1_11comp_targetILNS1_3genE9ELNS1_11target_archE1100ELNS1_3gpuE3ELNS1_3repE0EEENS1_59segmented_radix_sort_warp_sort_small_config_static_selectorELNS0_4arch9wavefront6targetE0EEEvSL_.has_dyn_sized_stack, 0
	.set _ZN7rocprim17ROCPRIM_400000_NS6detail17trampoline_kernelINS0_14default_configENS1_36segmented_radix_sort_config_selectorI12hip_bfloat16lEEZNS1_25segmented_radix_sort_implIS3_Lb1EPKS5_PS5_PKlPlN2at6native12_GLOBAL__N_18offset_tEEE10hipError_tPvRmT1_PNSt15iterator_traitsISL_E10value_typeET2_T3_PNSM_ISR_E10value_typeET4_jRbjT5_SX_jjP12ihipStream_tbEUlT_E1_NS1_11comp_targetILNS1_3genE9ELNS1_11target_archE1100ELNS1_3gpuE3ELNS1_3repE0EEENS1_59segmented_radix_sort_warp_sort_small_config_static_selectorELNS0_4arch9wavefront6targetE0EEEvSL_.has_recursion, 0
	.set _ZN7rocprim17ROCPRIM_400000_NS6detail17trampoline_kernelINS0_14default_configENS1_36segmented_radix_sort_config_selectorI12hip_bfloat16lEEZNS1_25segmented_radix_sort_implIS3_Lb1EPKS5_PS5_PKlPlN2at6native12_GLOBAL__N_18offset_tEEE10hipError_tPvRmT1_PNSt15iterator_traitsISL_E10value_typeET2_T3_PNSM_ISR_E10value_typeET4_jRbjT5_SX_jjP12ihipStream_tbEUlT_E1_NS1_11comp_targetILNS1_3genE9ELNS1_11target_archE1100ELNS1_3gpuE3ELNS1_3repE0EEENS1_59segmented_radix_sort_warp_sort_small_config_static_selectorELNS0_4arch9wavefront6targetE0EEEvSL_.has_indirect_call, 0
	.section	.AMDGPU.csdata,"",@progbits
; Kernel info:
; codeLenInByte = 0
; TotalNumSgprs: 0
; NumVgprs: 0
; ScratchSize: 0
; MemoryBound: 0
; FloatMode: 240
; IeeeMode: 1
; LDSByteSize: 0 bytes/workgroup (compile time only)
; SGPRBlocks: 0
; VGPRBlocks: 0
; NumSGPRsForWavesPerEU: 1
; NumVGPRsForWavesPerEU: 1
; Occupancy: 16
; WaveLimiterHint : 0
; COMPUTE_PGM_RSRC2:SCRATCH_EN: 0
; COMPUTE_PGM_RSRC2:USER_SGPR: 2
; COMPUTE_PGM_RSRC2:TRAP_HANDLER: 0
; COMPUTE_PGM_RSRC2:TGID_X_EN: 1
; COMPUTE_PGM_RSRC2:TGID_Y_EN: 0
; COMPUTE_PGM_RSRC2:TGID_Z_EN: 0
; COMPUTE_PGM_RSRC2:TIDIG_COMP_CNT: 0
	.section	.text._ZN7rocprim17ROCPRIM_400000_NS6detail17trampoline_kernelINS0_14default_configENS1_36segmented_radix_sort_config_selectorI12hip_bfloat16lEEZNS1_25segmented_radix_sort_implIS3_Lb1EPKS5_PS5_PKlPlN2at6native12_GLOBAL__N_18offset_tEEE10hipError_tPvRmT1_PNSt15iterator_traitsISL_E10value_typeET2_T3_PNSM_ISR_E10value_typeET4_jRbjT5_SX_jjP12ihipStream_tbEUlT_E1_NS1_11comp_targetILNS1_3genE8ELNS1_11target_archE1030ELNS1_3gpuE2ELNS1_3repE0EEENS1_59segmented_radix_sort_warp_sort_small_config_static_selectorELNS0_4arch9wavefront6targetE0EEEvSL_,"axG",@progbits,_ZN7rocprim17ROCPRIM_400000_NS6detail17trampoline_kernelINS0_14default_configENS1_36segmented_radix_sort_config_selectorI12hip_bfloat16lEEZNS1_25segmented_radix_sort_implIS3_Lb1EPKS5_PS5_PKlPlN2at6native12_GLOBAL__N_18offset_tEEE10hipError_tPvRmT1_PNSt15iterator_traitsISL_E10value_typeET2_T3_PNSM_ISR_E10value_typeET4_jRbjT5_SX_jjP12ihipStream_tbEUlT_E1_NS1_11comp_targetILNS1_3genE8ELNS1_11target_archE1030ELNS1_3gpuE2ELNS1_3repE0EEENS1_59segmented_radix_sort_warp_sort_small_config_static_selectorELNS0_4arch9wavefront6targetE0EEEvSL_,comdat
	.globl	_ZN7rocprim17ROCPRIM_400000_NS6detail17trampoline_kernelINS0_14default_configENS1_36segmented_radix_sort_config_selectorI12hip_bfloat16lEEZNS1_25segmented_radix_sort_implIS3_Lb1EPKS5_PS5_PKlPlN2at6native12_GLOBAL__N_18offset_tEEE10hipError_tPvRmT1_PNSt15iterator_traitsISL_E10value_typeET2_T3_PNSM_ISR_E10value_typeET4_jRbjT5_SX_jjP12ihipStream_tbEUlT_E1_NS1_11comp_targetILNS1_3genE8ELNS1_11target_archE1030ELNS1_3gpuE2ELNS1_3repE0EEENS1_59segmented_radix_sort_warp_sort_small_config_static_selectorELNS0_4arch9wavefront6targetE0EEEvSL_ ; -- Begin function _ZN7rocprim17ROCPRIM_400000_NS6detail17trampoline_kernelINS0_14default_configENS1_36segmented_radix_sort_config_selectorI12hip_bfloat16lEEZNS1_25segmented_radix_sort_implIS3_Lb1EPKS5_PS5_PKlPlN2at6native12_GLOBAL__N_18offset_tEEE10hipError_tPvRmT1_PNSt15iterator_traitsISL_E10value_typeET2_T3_PNSM_ISR_E10value_typeET4_jRbjT5_SX_jjP12ihipStream_tbEUlT_E1_NS1_11comp_targetILNS1_3genE8ELNS1_11target_archE1030ELNS1_3gpuE2ELNS1_3repE0EEENS1_59segmented_radix_sort_warp_sort_small_config_static_selectorELNS0_4arch9wavefront6targetE0EEEvSL_
	.p2align	8
	.type	_ZN7rocprim17ROCPRIM_400000_NS6detail17trampoline_kernelINS0_14default_configENS1_36segmented_radix_sort_config_selectorI12hip_bfloat16lEEZNS1_25segmented_radix_sort_implIS3_Lb1EPKS5_PS5_PKlPlN2at6native12_GLOBAL__N_18offset_tEEE10hipError_tPvRmT1_PNSt15iterator_traitsISL_E10value_typeET2_T3_PNSM_ISR_E10value_typeET4_jRbjT5_SX_jjP12ihipStream_tbEUlT_E1_NS1_11comp_targetILNS1_3genE8ELNS1_11target_archE1030ELNS1_3gpuE2ELNS1_3repE0EEENS1_59segmented_radix_sort_warp_sort_small_config_static_selectorELNS0_4arch9wavefront6targetE0EEEvSL_,@function
_ZN7rocprim17ROCPRIM_400000_NS6detail17trampoline_kernelINS0_14default_configENS1_36segmented_radix_sort_config_selectorI12hip_bfloat16lEEZNS1_25segmented_radix_sort_implIS3_Lb1EPKS5_PS5_PKlPlN2at6native12_GLOBAL__N_18offset_tEEE10hipError_tPvRmT1_PNSt15iterator_traitsISL_E10value_typeET2_T3_PNSM_ISR_E10value_typeET4_jRbjT5_SX_jjP12ihipStream_tbEUlT_E1_NS1_11comp_targetILNS1_3genE8ELNS1_11target_archE1030ELNS1_3gpuE2ELNS1_3repE0EEENS1_59segmented_radix_sort_warp_sort_small_config_static_selectorELNS0_4arch9wavefront6targetE0EEEvSL_: ; @_ZN7rocprim17ROCPRIM_400000_NS6detail17trampoline_kernelINS0_14default_configENS1_36segmented_radix_sort_config_selectorI12hip_bfloat16lEEZNS1_25segmented_radix_sort_implIS3_Lb1EPKS5_PS5_PKlPlN2at6native12_GLOBAL__N_18offset_tEEE10hipError_tPvRmT1_PNSt15iterator_traitsISL_E10value_typeET2_T3_PNSM_ISR_E10value_typeET4_jRbjT5_SX_jjP12ihipStream_tbEUlT_E1_NS1_11comp_targetILNS1_3genE8ELNS1_11target_archE1030ELNS1_3gpuE2ELNS1_3repE0EEENS1_59segmented_radix_sort_warp_sort_small_config_static_selectorELNS0_4arch9wavefront6targetE0EEEvSL_
; %bb.0:
	.section	.rodata,"a",@progbits
	.p2align	6, 0x0
	.amdhsa_kernel _ZN7rocprim17ROCPRIM_400000_NS6detail17trampoline_kernelINS0_14default_configENS1_36segmented_radix_sort_config_selectorI12hip_bfloat16lEEZNS1_25segmented_radix_sort_implIS3_Lb1EPKS5_PS5_PKlPlN2at6native12_GLOBAL__N_18offset_tEEE10hipError_tPvRmT1_PNSt15iterator_traitsISL_E10value_typeET2_T3_PNSM_ISR_E10value_typeET4_jRbjT5_SX_jjP12ihipStream_tbEUlT_E1_NS1_11comp_targetILNS1_3genE8ELNS1_11target_archE1030ELNS1_3gpuE2ELNS1_3repE0EEENS1_59segmented_radix_sort_warp_sort_small_config_static_selectorELNS0_4arch9wavefront6targetE0EEEvSL_
		.amdhsa_group_segment_fixed_size 0
		.amdhsa_private_segment_fixed_size 0
		.amdhsa_kernarg_size 88
		.amdhsa_user_sgpr_count 2
		.amdhsa_user_sgpr_dispatch_ptr 0
		.amdhsa_user_sgpr_queue_ptr 0
		.amdhsa_user_sgpr_kernarg_segment_ptr 1
		.amdhsa_user_sgpr_dispatch_id 0
		.amdhsa_user_sgpr_private_segment_size 0
		.amdhsa_wavefront_size32 1
		.amdhsa_uses_dynamic_stack 0
		.amdhsa_enable_private_segment 0
		.amdhsa_system_sgpr_workgroup_id_x 1
		.amdhsa_system_sgpr_workgroup_id_y 0
		.amdhsa_system_sgpr_workgroup_id_z 0
		.amdhsa_system_sgpr_workgroup_info 0
		.amdhsa_system_vgpr_workitem_id 0
		.amdhsa_next_free_vgpr 1
		.amdhsa_next_free_sgpr 1
		.amdhsa_reserve_vcc 0
		.amdhsa_float_round_mode_32 0
		.amdhsa_float_round_mode_16_64 0
		.amdhsa_float_denorm_mode_32 3
		.amdhsa_float_denorm_mode_16_64 3
		.amdhsa_fp16_overflow 0
		.amdhsa_workgroup_processor_mode 1
		.amdhsa_memory_ordered 1
		.amdhsa_forward_progress 1
		.amdhsa_inst_pref_size 0
		.amdhsa_round_robin_scheduling 0
		.amdhsa_exception_fp_ieee_invalid_op 0
		.amdhsa_exception_fp_denorm_src 0
		.amdhsa_exception_fp_ieee_div_zero 0
		.amdhsa_exception_fp_ieee_overflow 0
		.amdhsa_exception_fp_ieee_underflow 0
		.amdhsa_exception_fp_ieee_inexact 0
		.amdhsa_exception_int_div_zero 0
	.end_amdhsa_kernel
	.section	.text._ZN7rocprim17ROCPRIM_400000_NS6detail17trampoline_kernelINS0_14default_configENS1_36segmented_radix_sort_config_selectorI12hip_bfloat16lEEZNS1_25segmented_radix_sort_implIS3_Lb1EPKS5_PS5_PKlPlN2at6native12_GLOBAL__N_18offset_tEEE10hipError_tPvRmT1_PNSt15iterator_traitsISL_E10value_typeET2_T3_PNSM_ISR_E10value_typeET4_jRbjT5_SX_jjP12ihipStream_tbEUlT_E1_NS1_11comp_targetILNS1_3genE8ELNS1_11target_archE1030ELNS1_3gpuE2ELNS1_3repE0EEENS1_59segmented_radix_sort_warp_sort_small_config_static_selectorELNS0_4arch9wavefront6targetE0EEEvSL_,"axG",@progbits,_ZN7rocprim17ROCPRIM_400000_NS6detail17trampoline_kernelINS0_14default_configENS1_36segmented_radix_sort_config_selectorI12hip_bfloat16lEEZNS1_25segmented_radix_sort_implIS3_Lb1EPKS5_PS5_PKlPlN2at6native12_GLOBAL__N_18offset_tEEE10hipError_tPvRmT1_PNSt15iterator_traitsISL_E10value_typeET2_T3_PNSM_ISR_E10value_typeET4_jRbjT5_SX_jjP12ihipStream_tbEUlT_E1_NS1_11comp_targetILNS1_3genE8ELNS1_11target_archE1030ELNS1_3gpuE2ELNS1_3repE0EEENS1_59segmented_radix_sort_warp_sort_small_config_static_selectorELNS0_4arch9wavefront6targetE0EEEvSL_,comdat
.Lfunc_end1975:
	.size	_ZN7rocprim17ROCPRIM_400000_NS6detail17trampoline_kernelINS0_14default_configENS1_36segmented_radix_sort_config_selectorI12hip_bfloat16lEEZNS1_25segmented_radix_sort_implIS3_Lb1EPKS5_PS5_PKlPlN2at6native12_GLOBAL__N_18offset_tEEE10hipError_tPvRmT1_PNSt15iterator_traitsISL_E10value_typeET2_T3_PNSM_ISR_E10value_typeET4_jRbjT5_SX_jjP12ihipStream_tbEUlT_E1_NS1_11comp_targetILNS1_3genE8ELNS1_11target_archE1030ELNS1_3gpuE2ELNS1_3repE0EEENS1_59segmented_radix_sort_warp_sort_small_config_static_selectorELNS0_4arch9wavefront6targetE0EEEvSL_, .Lfunc_end1975-_ZN7rocprim17ROCPRIM_400000_NS6detail17trampoline_kernelINS0_14default_configENS1_36segmented_radix_sort_config_selectorI12hip_bfloat16lEEZNS1_25segmented_radix_sort_implIS3_Lb1EPKS5_PS5_PKlPlN2at6native12_GLOBAL__N_18offset_tEEE10hipError_tPvRmT1_PNSt15iterator_traitsISL_E10value_typeET2_T3_PNSM_ISR_E10value_typeET4_jRbjT5_SX_jjP12ihipStream_tbEUlT_E1_NS1_11comp_targetILNS1_3genE8ELNS1_11target_archE1030ELNS1_3gpuE2ELNS1_3repE0EEENS1_59segmented_radix_sort_warp_sort_small_config_static_selectorELNS0_4arch9wavefront6targetE0EEEvSL_
                                        ; -- End function
	.set _ZN7rocprim17ROCPRIM_400000_NS6detail17trampoline_kernelINS0_14default_configENS1_36segmented_radix_sort_config_selectorI12hip_bfloat16lEEZNS1_25segmented_radix_sort_implIS3_Lb1EPKS5_PS5_PKlPlN2at6native12_GLOBAL__N_18offset_tEEE10hipError_tPvRmT1_PNSt15iterator_traitsISL_E10value_typeET2_T3_PNSM_ISR_E10value_typeET4_jRbjT5_SX_jjP12ihipStream_tbEUlT_E1_NS1_11comp_targetILNS1_3genE8ELNS1_11target_archE1030ELNS1_3gpuE2ELNS1_3repE0EEENS1_59segmented_radix_sort_warp_sort_small_config_static_selectorELNS0_4arch9wavefront6targetE0EEEvSL_.num_vgpr, 0
	.set _ZN7rocprim17ROCPRIM_400000_NS6detail17trampoline_kernelINS0_14default_configENS1_36segmented_radix_sort_config_selectorI12hip_bfloat16lEEZNS1_25segmented_radix_sort_implIS3_Lb1EPKS5_PS5_PKlPlN2at6native12_GLOBAL__N_18offset_tEEE10hipError_tPvRmT1_PNSt15iterator_traitsISL_E10value_typeET2_T3_PNSM_ISR_E10value_typeET4_jRbjT5_SX_jjP12ihipStream_tbEUlT_E1_NS1_11comp_targetILNS1_3genE8ELNS1_11target_archE1030ELNS1_3gpuE2ELNS1_3repE0EEENS1_59segmented_radix_sort_warp_sort_small_config_static_selectorELNS0_4arch9wavefront6targetE0EEEvSL_.num_agpr, 0
	.set _ZN7rocprim17ROCPRIM_400000_NS6detail17trampoline_kernelINS0_14default_configENS1_36segmented_radix_sort_config_selectorI12hip_bfloat16lEEZNS1_25segmented_radix_sort_implIS3_Lb1EPKS5_PS5_PKlPlN2at6native12_GLOBAL__N_18offset_tEEE10hipError_tPvRmT1_PNSt15iterator_traitsISL_E10value_typeET2_T3_PNSM_ISR_E10value_typeET4_jRbjT5_SX_jjP12ihipStream_tbEUlT_E1_NS1_11comp_targetILNS1_3genE8ELNS1_11target_archE1030ELNS1_3gpuE2ELNS1_3repE0EEENS1_59segmented_radix_sort_warp_sort_small_config_static_selectorELNS0_4arch9wavefront6targetE0EEEvSL_.numbered_sgpr, 0
	.set _ZN7rocprim17ROCPRIM_400000_NS6detail17trampoline_kernelINS0_14default_configENS1_36segmented_radix_sort_config_selectorI12hip_bfloat16lEEZNS1_25segmented_radix_sort_implIS3_Lb1EPKS5_PS5_PKlPlN2at6native12_GLOBAL__N_18offset_tEEE10hipError_tPvRmT1_PNSt15iterator_traitsISL_E10value_typeET2_T3_PNSM_ISR_E10value_typeET4_jRbjT5_SX_jjP12ihipStream_tbEUlT_E1_NS1_11comp_targetILNS1_3genE8ELNS1_11target_archE1030ELNS1_3gpuE2ELNS1_3repE0EEENS1_59segmented_radix_sort_warp_sort_small_config_static_selectorELNS0_4arch9wavefront6targetE0EEEvSL_.num_named_barrier, 0
	.set _ZN7rocprim17ROCPRIM_400000_NS6detail17trampoline_kernelINS0_14default_configENS1_36segmented_radix_sort_config_selectorI12hip_bfloat16lEEZNS1_25segmented_radix_sort_implIS3_Lb1EPKS5_PS5_PKlPlN2at6native12_GLOBAL__N_18offset_tEEE10hipError_tPvRmT1_PNSt15iterator_traitsISL_E10value_typeET2_T3_PNSM_ISR_E10value_typeET4_jRbjT5_SX_jjP12ihipStream_tbEUlT_E1_NS1_11comp_targetILNS1_3genE8ELNS1_11target_archE1030ELNS1_3gpuE2ELNS1_3repE0EEENS1_59segmented_radix_sort_warp_sort_small_config_static_selectorELNS0_4arch9wavefront6targetE0EEEvSL_.private_seg_size, 0
	.set _ZN7rocprim17ROCPRIM_400000_NS6detail17trampoline_kernelINS0_14default_configENS1_36segmented_radix_sort_config_selectorI12hip_bfloat16lEEZNS1_25segmented_radix_sort_implIS3_Lb1EPKS5_PS5_PKlPlN2at6native12_GLOBAL__N_18offset_tEEE10hipError_tPvRmT1_PNSt15iterator_traitsISL_E10value_typeET2_T3_PNSM_ISR_E10value_typeET4_jRbjT5_SX_jjP12ihipStream_tbEUlT_E1_NS1_11comp_targetILNS1_3genE8ELNS1_11target_archE1030ELNS1_3gpuE2ELNS1_3repE0EEENS1_59segmented_radix_sort_warp_sort_small_config_static_selectorELNS0_4arch9wavefront6targetE0EEEvSL_.uses_vcc, 0
	.set _ZN7rocprim17ROCPRIM_400000_NS6detail17trampoline_kernelINS0_14default_configENS1_36segmented_radix_sort_config_selectorI12hip_bfloat16lEEZNS1_25segmented_radix_sort_implIS3_Lb1EPKS5_PS5_PKlPlN2at6native12_GLOBAL__N_18offset_tEEE10hipError_tPvRmT1_PNSt15iterator_traitsISL_E10value_typeET2_T3_PNSM_ISR_E10value_typeET4_jRbjT5_SX_jjP12ihipStream_tbEUlT_E1_NS1_11comp_targetILNS1_3genE8ELNS1_11target_archE1030ELNS1_3gpuE2ELNS1_3repE0EEENS1_59segmented_radix_sort_warp_sort_small_config_static_selectorELNS0_4arch9wavefront6targetE0EEEvSL_.uses_flat_scratch, 0
	.set _ZN7rocprim17ROCPRIM_400000_NS6detail17trampoline_kernelINS0_14default_configENS1_36segmented_radix_sort_config_selectorI12hip_bfloat16lEEZNS1_25segmented_radix_sort_implIS3_Lb1EPKS5_PS5_PKlPlN2at6native12_GLOBAL__N_18offset_tEEE10hipError_tPvRmT1_PNSt15iterator_traitsISL_E10value_typeET2_T3_PNSM_ISR_E10value_typeET4_jRbjT5_SX_jjP12ihipStream_tbEUlT_E1_NS1_11comp_targetILNS1_3genE8ELNS1_11target_archE1030ELNS1_3gpuE2ELNS1_3repE0EEENS1_59segmented_radix_sort_warp_sort_small_config_static_selectorELNS0_4arch9wavefront6targetE0EEEvSL_.has_dyn_sized_stack, 0
	.set _ZN7rocprim17ROCPRIM_400000_NS6detail17trampoline_kernelINS0_14default_configENS1_36segmented_radix_sort_config_selectorI12hip_bfloat16lEEZNS1_25segmented_radix_sort_implIS3_Lb1EPKS5_PS5_PKlPlN2at6native12_GLOBAL__N_18offset_tEEE10hipError_tPvRmT1_PNSt15iterator_traitsISL_E10value_typeET2_T3_PNSM_ISR_E10value_typeET4_jRbjT5_SX_jjP12ihipStream_tbEUlT_E1_NS1_11comp_targetILNS1_3genE8ELNS1_11target_archE1030ELNS1_3gpuE2ELNS1_3repE0EEENS1_59segmented_radix_sort_warp_sort_small_config_static_selectorELNS0_4arch9wavefront6targetE0EEEvSL_.has_recursion, 0
	.set _ZN7rocprim17ROCPRIM_400000_NS6detail17trampoline_kernelINS0_14default_configENS1_36segmented_radix_sort_config_selectorI12hip_bfloat16lEEZNS1_25segmented_radix_sort_implIS3_Lb1EPKS5_PS5_PKlPlN2at6native12_GLOBAL__N_18offset_tEEE10hipError_tPvRmT1_PNSt15iterator_traitsISL_E10value_typeET2_T3_PNSM_ISR_E10value_typeET4_jRbjT5_SX_jjP12ihipStream_tbEUlT_E1_NS1_11comp_targetILNS1_3genE8ELNS1_11target_archE1030ELNS1_3gpuE2ELNS1_3repE0EEENS1_59segmented_radix_sort_warp_sort_small_config_static_selectorELNS0_4arch9wavefront6targetE0EEEvSL_.has_indirect_call, 0
	.section	.AMDGPU.csdata,"",@progbits
; Kernel info:
; codeLenInByte = 0
; TotalNumSgprs: 0
; NumVgprs: 0
; ScratchSize: 0
; MemoryBound: 0
; FloatMode: 240
; IeeeMode: 1
; LDSByteSize: 0 bytes/workgroup (compile time only)
; SGPRBlocks: 0
; VGPRBlocks: 0
; NumSGPRsForWavesPerEU: 1
; NumVGPRsForWavesPerEU: 1
; Occupancy: 16
; WaveLimiterHint : 0
; COMPUTE_PGM_RSRC2:SCRATCH_EN: 0
; COMPUTE_PGM_RSRC2:USER_SGPR: 2
; COMPUTE_PGM_RSRC2:TRAP_HANDLER: 0
; COMPUTE_PGM_RSRC2:TGID_X_EN: 1
; COMPUTE_PGM_RSRC2:TGID_Y_EN: 0
; COMPUTE_PGM_RSRC2:TGID_Z_EN: 0
; COMPUTE_PGM_RSRC2:TIDIG_COMP_CNT: 0
	.section	.text._ZN7rocprim17ROCPRIM_400000_NS6detail17trampoline_kernelINS0_14default_configENS1_36segmented_radix_sort_config_selectorI12hip_bfloat16lEEZNS1_25segmented_radix_sort_implIS3_Lb1EPKS5_PS5_PKlPlN2at6native12_GLOBAL__N_18offset_tEEE10hipError_tPvRmT1_PNSt15iterator_traitsISL_E10value_typeET2_T3_PNSM_ISR_E10value_typeET4_jRbjT5_SX_jjP12ihipStream_tbEUlT_E2_NS1_11comp_targetILNS1_3genE0ELNS1_11target_archE4294967295ELNS1_3gpuE0ELNS1_3repE0EEENS1_30default_config_static_selectorELNS0_4arch9wavefront6targetE0EEEvSL_,"axG",@progbits,_ZN7rocprim17ROCPRIM_400000_NS6detail17trampoline_kernelINS0_14default_configENS1_36segmented_radix_sort_config_selectorI12hip_bfloat16lEEZNS1_25segmented_radix_sort_implIS3_Lb1EPKS5_PS5_PKlPlN2at6native12_GLOBAL__N_18offset_tEEE10hipError_tPvRmT1_PNSt15iterator_traitsISL_E10value_typeET2_T3_PNSM_ISR_E10value_typeET4_jRbjT5_SX_jjP12ihipStream_tbEUlT_E2_NS1_11comp_targetILNS1_3genE0ELNS1_11target_archE4294967295ELNS1_3gpuE0ELNS1_3repE0EEENS1_30default_config_static_selectorELNS0_4arch9wavefront6targetE0EEEvSL_,comdat
	.globl	_ZN7rocprim17ROCPRIM_400000_NS6detail17trampoline_kernelINS0_14default_configENS1_36segmented_radix_sort_config_selectorI12hip_bfloat16lEEZNS1_25segmented_radix_sort_implIS3_Lb1EPKS5_PS5_PKlPlN2at6native12_GLOBAL__N_18offset_tEEE10hipError_tPvRmT1_PNSt15iterator_traitsISL_E10value_typeET2_T3_PNSM_ISR_E10value_typeET4_jRbjT5_SX_jjP12ihipStream_tbEUlT_E2_NS1_11comp_targetILNS1_3genE0ELNS1_11target_archE4294967295ELNS1_3gpuE0ELNS1_3repE0EEENS1_30default_config_static_selectorELNS0_4arch9wavefront6targetE0EEEvSL_ ; -- Begin function _ZN7rocprim17ROCPRIM_400000_NS6detail17trampoline_kernelINS0_14default_configENS1_36segmented_radix_sort_config_selectorI12hip_bfloat16lEEZNS1_25segmented_radix_sort_implIS3_Lb1EPKS5_PS5_PKlPlN2at6native12_GLOBAL__N_18offset_tEEE10hipError_tPvRmT1_PNSt15iterator_traitsISL_E10value_typeET2_T3_PNSM_ISR_E10value_typeET4_jRbjT5_SX_jjP12ihipStream_tbEUlT_E2_NS1_11comp_targetILNS1_3genE0ELNS1_11target_archE4294967295ELNS1_3gpuE0ELNS1_3repE0EEENS1_30default_config_static_selectorELNS0_4arch9wavefront6targetE0EEEvSL_
	.p2align	8
	.type	_ZN7rocprim17ROCPRIM_400000_NS6detail17trampoline_kernelINS0_14default_configENS1_36segmented_radix_sort_config_selectorI12hip_bfloat16lEEZNS1_25segmented_radix_sort_implIS3_Lb1EPKS5_PS5_PKlPlN2at6native12_GLOBAL__N_18offset_tEEE10hipError_tPvRmT1_PNSt15iterator_traitsISL_E10value_typeET2_T3_PNSM_ISR_E10value_typeET4_jRbjT5_SX_jjP12ihipStream_tbEUlT_E2_NS1_11comp_targetILNS1_3genE0ELNS1_11target_archE4294967295ELNS1_3gpuE0ELNS1_3repE0EEENS1_30default_config_static_selectorELNS0_4arch9wavefront6targetE0EEEvSL_,@function
_ZN7rocprim17ROCPRIM_400000_NS6detail17trampoline_kernelINS0_14default_configENS1_36segmented_radix_sort_config_selectorI12hip_bfloat16lEEZNS1_25segmented_radix_sort_implIS3_Lb1EPKS5_PS5_PKlPlN2at6native12_GLOBAL__N_18offset_tEEE10hipError_tPvRmT1_PNSt15iterator_traitsISL_E10value_typeET2_T3_PNSM_ISR_E10value_typeET4_jRbjT5_SX_jjP12ihipStream_tbEUlT_E2_NS1_11comp_targetILNS1_3genE0ELNS1_11target_archE4294967295ELNS1_3gpuE0ELNS1_3repE0EEENS1_30default_config_static_selectorELNS0_4arch9wavefront6targetE0EEEvSL_: ; @_ZN7rocprim17ROCPRIM_400000_NS6detail17trampoline_kernelINS0_14default_configENS1_36segmented_radix_sort_config_selectorI12hip_bfloat16lEEZNS1_25segmented_radix_sort_implIS3_Lb1EPKS5_PS5_PKlPlN2at6native12_GLOBAL__N_18offset_tEEE10hipError_tPvRmT1_PNSt15iterator_traitsISL_E10value_typeET2_T3_PNSM_ISR_E10value_typeET4_jRbjT5_SX_jjP12ihipStream_tbEUlT_E2_NS1_11comp_targetILNS1_3genE0ELNS1_11target_archE4294967295ELNS1_3gpuE0ELNS1_3repE0EEENS1_30default_config_static_selectorELNS0_4arch9wavefront6targetE0EEEvSL_
; %bb.0:
	.section	.rodata,"a",@progbits
	.p2align	6, 0x0
	.amdhsa_kernel _ZN7rocprim17ROCPRIM_400000_NS6detail17trampoline_kernelINS0_14default_configENS1_36segmented_radix_sort_config_selectorI12hip_bfloat16lEEZNS1_25segmented_radix_sort_implIS3_Lb1EPKS5_PS5_PKlPlN2at6native12_GLOBAL__N_18offset_tEEE10hipError_tPvRmT1_PNSt15iterator_traitsISL_E10value_typeET2_T3_PNSM_ISR_E10value_typeET4_jRbjT5_SX_jjP12ihipStream_tbEUlT_E2_NS1_11comp_targetILNS1_3genE0ELNS1_11target_archE4294967295ELNS1_3gpuE0ELNS1_3repE0EEENS1_30default_config_static_selectorELNS0_4arch9wavefront6targetE0EEEvSL_
		.amdhsa_group_segment_fixed_size 0
		.amdhsa_private_segment_fixed_size 0
		.amdhsa_kernarg_size 80
		.amdhsa_user_sgpr_count 2
		.amdhsa_user_sgpr_dispatch_ptr 0
		.amdhsa_user_sgpr_queue_ptr 0
		.amdhsa_user_sgpr_kernarg_segment_ptr 1
		.amdhsa_user_sgpr_dispatch_id 0
		.amdhsa_user_sgpr_private_segment_size 0
		.amdhsa_wavefront_size32 1
		.amdhsa_uses_dynamic_stack 0
		.amdhsa_enable_private_segment 0
		.amdhsa_system_sgpr_workgroup_id_x 1
		.amdhsa_system_sgpr_workgroup_id_y 0
		.amdhsa_system_sgpr_workgroup_id_z 0
		.amdhsa_system_sgpr_workgroup_info 0
		.amdhsa_system_vgpr_workitem_id 0
		.amdhsa_next_free_vgpr 1
		.amdhsa_next_free_sgpr 1
		.amdhsa_reserve_vcc 0
		.amdhsa_float_round_mode_32 0
		.amdhsa_float_round_mode_16_64 0
		.amdhsa_float_denorm_mode_32 3
		.amdhsa_float_denorm_mode_16_64 3
		.amdhsa_fp16_overflow 0
		.amdhsa_workgroup_processor_mode 1
		.amdhsa_memory_ordered 1
		.amdhsa_forward_progress 1
		.amdhsa_inst_pref_size 0
		.amdhsa_round_robin_scheduling 0
		.amdhsa_exception_fp_ieee_invalid_op 0
		.amdhsa_exception_fp_denorm_src 0
		.amdhsa_exception_fp_ieee_div_zero 0
		.amdhsa_exception_fp_ieee_overflow 0
		.amdhsa_exception_fp_ieee_underflow 0
		.amdhsa_exception_fp_ieee_inexact 0
		.amdhsa_exception_int_div_zero 0
	.end_amdhsa_kernel
	.section	.text._ZN7rocprim17ROCPRIM_400000_NS6detail17trampoline_kernelINS0_14default_configENS1_36segmented_radix_sort_config_selectorI12hip_bfloat16lEEZNS1_25segmented_radix_sort_implIS3_Lb1EPKS5_PS5_PKlPlN2at6native12_GLOBAL__N_18offset_tEEE10hipError_tPvRmT1_PNSt15iterator_traitsISL_E10value_typeET2_T3_PNSM_ISR_E10value_typeET4_jRbjT5_SX_jjP12ihipStream_tbEUlT_E2_NS1_11comp_targetILNS1_3genE0ELNS1_11target_archE4294967295ELNS1_3gpuE0ELNS1_3repE0EEENS1_30default_config_static_selectorELNS0_4arch9wavefront6targetE0EEEvSL_,"axG",@progbits,_ZN7rocprim17ROCPRIM_400000_NS6detail17trampoline_kernelINS0_14default_configENS1_36segmented_radix_sort_config_selectorI12hip_bfloat16lEEZNS1_25segmented_radix_sort_implIS3_Lb1EPKS5_PS5_PKlPlN2at6native12_GLOBAL__N_18offset_tEEE10hipError_tPvRmT1_PNSt15iterator_traitsISL_E10value_typeET2_T3_PNSM_ISR_E10value_typeET4_jRbjT5_SX_jjP12ihipStream_tbEUlT_E2_NS1_11comp_targetILNS1_3genE0ELNS1_11target_archE4294967295ELNS1_3gpuE0ELNS1_3repE0EEENS1_30default_config_static_selectorELNS0_4arch9wavefront6targetE0EEEvSL_,comdat
.Lfunc_end1976:
	.size	_ZN7rocprim17ROCPRIM_400000_NS6detail17trampoline_kernelINS0_14default_configENS1_36segmented_radix_sort_config_selectorI12hip_bfloat16lEEZNS1_25segmented_radix_sort_implIS3_Lb1EPKS5_PS5_PKlPlN2at6native12_GLOBAL__N_18offset_tEEE10hipError_tPvRmT1_PNSt15iterator_traitsISL_E10value_typeET2_T3_PNSM_ISR_E10value_typeET4_jRbjT5_SX_jjP12ihipStream_tbEUlT_E2_NS1_11comp_targetILNS1_3genE0ELNS1_11target_archE4294967295ELNS1_3gpuE0ELNS1_3repE0EEENS1_30default_config_static_selectorELNS0_4arch9wavefront6targetE0EEEvSL_, .Lfunc_end1976-_ZN7rocprim17ROCPRIM_400000_NS6detail17trampoline_kernelINS0_14default_configENS1_36segmented_radix_sort_config_selectorI12hip_bfloat16lEEZNS1_25segmented_radix_sort_implIS3_Lb1EPKS5_PS5_PKlPlN2at6native12_GLOBAL__N_18offset_tEEE10hipError_tPvRmT1_PNSt15iterator_traitsISL_E10value_typeET2_T3_PNSM_ISR_E10value_typeET4_jRbjT5_SX_jjP12ihipStream_tbEUlT_E2_NS1_11comp_targetILNS1_3genE0ELNS1_11target_archE4294967295ELNS1_3gpuE0ELNS1_3repE0EEENS1_30default_config_static_selectorELNS0_4arch9wavefront6targetE0EEEvSL_
                                        ; -- End function
	.set _ZN7rocprim17ROCPRIM_400000_NS6detail17trampoline_kernelINS0_14default_configENS1_36segmented_radix_sort_config_selectorI12hip_bfloat16lEEZNS1_25segmented_radix_sort_implIS3_Lb1EPKS5_PS5_PKlPlN2at6native12_GLOBAL__N_18offset_tEEE10hipError_tPvRmT1_PNSt15iterator_traitsISL_E10value_typeET2_T3_PNSM_ISR_E10value_typeET4_jRbjT5_SX_jjP12ihipStream_tbEUlT_E2_NS1_11comp_targetILNS1_3genE0ELNS1_11target_archE4294967295ELNS1_3gpuE0ELNS1_3repE0EEENS1_30default_config_static_selectorELNS0_4arch9wavefront6targetE0EEEvSL_.num_vgpr, 0
	.set _ZN7rocprim17ROCPRIM_400000_NS6detail17trampoline_kernelINS0_14default_configENS1_36segmented_radix_sort_config_selectorI12hip_bfloat16lEEZNS1_25segmented_radix_sort_implIS3_Lb1EPKS5_PS5_PKlPlN2at6native12_GLOBAL__N_18offset_tEEE10hipError_tPvRmT1_PNSt15iterator_traitsISL_E10value_typeET2_T3_PNSM_ISR_E10value_typeET4_jRbjT5_SX_jjP12ihipStream_tbEUlT_E2_NS1_11comp_targetILNS1_3genE0ELNS1_11target_archE4294967295ELNS1_3gpuE0ELNS1_3repE0EEENS1_30default_config_static_selectorELNS0_4arch9wavefront6targetE0EEEvSL_.num_agpr, 0
	.set _ZN7rocprim17ROCPRIM_400000_NS6detail17trampoline_kernelINS0_14default_configENS1_36segmented_radix_sort_config_selectorI12hip_bfloat16lEEZNS1_25segmented_radix_sort_implIS3_Lb1EPKS5_PS5_PKlPlN2at6native12_GLOBAL__N_18offset_tEEE10hipError_tPvRmT1_PNSt15iterator_traitsISL_E10value_typeET2_T3_PNSM_ISR_E10value_typeET4_jRbjT5_SX_jjP12ihipStream_tbEUlT_E2_NS1_11comp_targetILNS1_3genE0ELNS1_11target_archE4294967295ELNS1_3gpuE0ELNS1_3repE0EEENS1_30default_config_static_selectorELNS0_4arch9wavefront6targetE0EEEvSL_.numbered_sgpr, 0
	.set _ZN7rocprim17ROCPRIM_400000_NS6detail17trampoline_kernelINS0_14default_configENS1_36segmented_radix_sort_config_selectorI12hip_bfloat16lEEZNS1_25segmented_radix_sort_implIS3_Lb1EPKS5_PS5_PKlPlN2at6native12_GLOBAL__N_18offset_tEEE10hipError_tPvRmT1_PNSt15iterator_traitsISL_E10value_typeET2_T3_PNSM_ISR_E10value_typeET4_jRbjT5_SX_jjP12ihipStream_tbEUlT_E2_NS1_11comp_targetILNS1_3genE0ELNS1_11target_archE4294967295ELNS1_3gpuE0ELNS1_3repE0EEENS1_30default_config_static_selectorELNS0_4arch9wavefront6targetE0EEEvSL_.num_named_barrier, 0
	.set _ZN7rocprim17ROCPRIM_400000_NS6detail17trampoline_kernelINS0_14default_configENS1_36segmented_radix_sort_config_selectorI12hip_bfloat16lEEZNS1_25segmented_radix_sort_implIS3_Lb1EPKS5_PS5_PKlPlN2at6native12_GLOBAL__N_18offset_tEEE10hipError_tPvRmT1_PNSt15iterator_traitsISL_E10value_typeET2_T3_PNSM_ISR_E10value_typeET4_jRbjT5_SX_jjP12ihipStream_tbEUlT_E2_NS1_11comp_targetILNS1_3genE0ELNS1_11target_archE4294967295ELNS1_3gpuE0ELNS1_3repE0EEENS1_30default_config_static_selectorELNS0_4arch9wavefront6targetE0EEEvSL_.private_seg_size, 0
	.set _ZN7rocprim17ROCPRIM_400000_NS6detail17trampoline_kernelINS0_14default_configENS1_36segmented_radix_sort_config_selectorI12hip_bfloat16lEEZNS1_25segmented_radix_sort_implIS3_Lb1EPKS5_PS5_PKlPlN2at6native12_GLOBAL__N_18offset_tEEE10hipError_tPvRmT1_PNSt15iterator_traitsISL_E10value_typeET2_T3_PNSM_ISR_E10value_typeET4_jRbjT5_SX_jjP12ihipStream_tbEUlT_E2_NS1_11comp_targetILNS1_3genE0ELNS1_11target_archE4294967295ELNS1_3gpuE0ELNS1_3repE0EEENS1_30default_config_static_selectorELNS0_4arch9wavefront6targetE0EEEvSL_.uses_vcc, 0
	.set _ZN7rocprim17ROCPRIM_400000_NS6detail17trampoline_kernelINS0_14default_configENS1_36segmented_radix_sort_config_selectorI12hip_bfloat16lEEZNS1_25segmented_radix_sort_implIS3_Lb1EPKS5_PS5_PKlPlN2at6native12_GLOBAL__N_18offset_tEEE10hipError_tPvRmT1_PNSt15iterator_traitsISL_E10value_typeET2_T3_PNSM_ISR_E10value_typeET4_jRbjT5_SX_jjP12ihipStream_tbEUlT_E2_NS1_11comp_targetILNS1_3genE0ELNS1_11target_archE4294967295ELNS1_3gpuE0ELNS1_3repE0EEENS1_30default_config_static_selectorELNS0_4arch9wavefront6targetE0EEEvSL_.uses_flat_scratch, 0
	.set _ZN7rocprim17ROCPRIM_400000_NS6detail17trampoline_kernelINS0_14default_configENS1_36segmented_radix_sort_config_selectorI12hip_bfloat16lEEZNS1_25segmented_radix_sort_implIS3_Lb1EPKS5_PS5_PKlPlN2at6native12_GLOBAL__N_18offset_tEEE10hipError_tPvRmT1_PNSt15iterator_traitsISL_E10value_typeET2_T3_PNSM_ISR_E10value_typeET4_jRbjT5_SX_jjP12ihipStream_tbEUlT_E2_NS1_11comp_targetILNS1_3genE0ELNS1_11target_archE4294967295ELNS1_3gpuE0ELNS1_3repE0EEENS1_30default_config_static_selectorELNS0_4arch9wavefront6targetE0EEEvSL_.has_dyn_sized_stack, 0
	.set _ZN7rocprim17ROCPRIM_400000_NS6detail17trampoline_kernelINS0_14default_configENS1_36segmented_radix_sort_config_selectorI12hip_bfloat16lEEZNS1_25segmented_radix_sort_implIS3_Lb1EPKS5_PS5_PKlPlN2at6native12_GLOBAL__N_18offset_tEEE10hipError_tPvRmT1_PNSt15iterator_traitsISL_E10value_typeET2_T3_PNSM_ISR_E10value_typeET4_jRbjT5_SX_jjP12ihipStream_tbEUlT_E2_NS1_11comp_targetILNS1_3genE0ELNS1_11target_archE4294967295ELNS1_3gpuE0ELNS1_3repE0EEENS1_30default_config_static_selectorELNS0_4arch9wavefront6targetE0EEEvSL_.has_recursion, 0
	.set _ZN7rocprim17ROCPRIM_400000_NS6detail17trampoline_kernelINS0_14default_configENS1_36segmented_radix_sort_config_selectorI12hip_bfloat16lEEZNS1_25segmented_radix_sort_implIS3_Lb1EPKS5_PS5_PKlPlN2at6native12_GLOBAL__N_18offset_tEEE10hipError_tPvRmT1_PNSt15iterator_traitsISL_E10value_typeET2_T3_PNSM_ISR_E10value_typeET4_jRbjT5_SX_jjP12ihipStream_tbEUlT_E2_NS1_11comp_targetILNS1_3genE0ELNS1_11target_archE4294967295ELNS1_3gpuE0ELNS1_3repE0EEENS1_30default_config_static_selectorELNS0_4arch9wavefront6targetE0EEEvSL_.has_indirect_call, 0
	.section	.AMDGPU.csdata,"",@progbits
; Kernel info:
; codeLenInByte = 0
; TotalNumSgprs: 0
; NumVgprs: 0
; ScratchSize: 0
; MemoryBound: 0
; FloatMode: 240
; IeeeMode: 1
; LDSByteSize: 0 bytes/workgroup (compile time only)
; SGPRBlocks: 0
; VGPRBlocks: 0
; NumSGPRsForWavesPerEU: 1
; NumVGPRsForWavesPerEU: 1
; Occupancy: 16
; WaveLimiterHint : 0
; COMPUTE_PGM_RSRC2:SCRATCH_EN: 0
; COMPUTE_PGM_RSRC2:USER_SGPR: 2
; COMPUTE_PGM_RSRC2:TRAP_HANDLER: 0
; COMPUTE_PGM_RSRC2:TGID_X_EN: 1
; COMPUTE_PGM_RSRC2:TGID_Y_EN: 0
; COMPUTE_PGM_RSRC2:TGID_Z_EN: 0
; COMPUTE_PGM_RSRC2:TIDIG_COMP_CNT: 0
	.section	.text._ZN7rocprim17ROCPRIM_400000_NS6detail17trampoline_kernelINS0_14default_configENS1_36segmented_radix_sort_config_selectorI12hip_bfloat16lEEZNS1_25segmented_radix_sort_implIS3_Lb1EPKS5_PS5_PKlPlN2at6native12_GLOBAL__N_18offset_tEEE10hipError_tPvRmT1_PNSt15iterator_traitsISL_E10value_typeET2_T3_PNSM_ISR_E10value_typeET4_jRbjT5_SX_jjP12ihipStream_tbEUlT_E2_NS1_11comp_targetILNS1_3genE5ELNS1_11target_archE942ELNS1_3gpuE9ELNS1_3repE0EEENS1_30default_config_static_selectorELNS0_4arch9wavefront6targetE0EEEvSL_,"axG",@progbits,_ZN7rocprim17ROCPRIM_400000_NS6detail17trampoline_kernelINS0_14default_configENS1_36segmented_radix_sort_config_selectorI12hip_bfloat16lEEZNS1_25segmented_radix_sort_implIS3_Lb1EPKS5_PS5_PKlPlN2at6native12_GLOBAL__N_18offset_tEEE10hipError_tPvRmT1_PNSt15iterator_traitsISL_E10value_typeET2_T3_PNSM_ISR_E10value_typeET4_jRbjT5_SX_jjP12ihipStream_tbEUlT_E2_NS1_11comp_targetILNS1_3genE5ELNS1_11target_archE942ELNS1_3gpuE9ELNS1_3repE0EEENS1_30default_config_static_selectorELNS0_4arch9wavefront6targetE0EEEvSL_,comdat
	.globl	_ZN7rocprim17ROCPRIM_400000_NS6detail17trampoline_kernelINS0_14default_configENS1_36segmented_radix_sort_config_selectorI12hip_bfloat16lEEZNS1_25segmented_radix_sort_implIS3_Lb1EPKS5_PS5_PKlPlN2at6native12_GLOBAL__N_18offset_tEEE10hipError_tPvRmT1_PNSt15iterator_traitsISL_E10value_typeET2_T3_PNSM_ISR_E10value_typeET4_jRbjT5_SX_jjP12ihipStream_tbEUlT_E2_NS1_11comp_targetILNS1_3genE5ELNS1_11target_archE942ELNS1_3gpuE9ELNS1_3repE0EEENS1_30default_config_static_selectorELNS0_4arch9wavefront6targetE0EEEvSL_ ; -- Begin function _ZN7rocprim17ROCPRIM_400000_NS6detail17trampoline_kernelINS0_14default_configENS1_36segmented_radix_sort_config_selectorI12hip_bfloat16lEEZNS1_25segmented_radix_sort_implIS3_Lb1EPKS5_PS5_PKlPlN2at6native12_GLOBAL__N_18offset_tEEE10hipError_tPvRmT1_PNSt15iterator_traitsISL_E10value_typeET2_T3_PNSM_ISR_E10value_typeET4_jRbjT5_SX_jjP12ihipStream_tbEUlT_E2_NS1_11comp_targetILNS1_3genE5ELNS1_11target_archE942ELNS1_3gpuE9ELNS1_3repE0EEENS1_30default_config_static_selectorELNS0_4arch9wavefront6targetE0EEEvSL_
	.p2align	8
	.type	_ZN7rocprim17ROCPRIM_400000_NS6detail17trampoline_kernelINS0_14default_configENS1_36segmented_radix_sort_config_selectorI12hip_bfloat16lEEZNS1_25segmented_radix_sort_implIS3_Lb1EPKS5_PS5_PKlPlN2at6native12_GLOBAL__N_18offset_tEEE10hipError_tPvRmT1_PNSt15iterator_traitsISL_E10value_typeET2_T3_PNSM_ISR_E10value_typeET4_jRbjT5_SX_jjP12ihipStream_tbEUlT_E2_NS1_11comp_targetILNS1_3genE5ELNS1_11target_archE942ELNS1_3gpuE9ELNS1_3repE0EEENS1_30default_config_static_selectorELNS0_4arch9wavefront6targetE0EEEvSL_,@function
_ZN7rocprim17ROCPRIM_400000_NS6detail17trampoline_kernelINS0_14default_configENS1_36segmented_radix_sort_config_selectorI12hip_bfloat16lEEZNS1_25segmented_radix_sort_implIS3_Lb1EPKS5_PS5_PKlPlN2at6native12_GLOBAL__N_18offset_tEEE10hipError_tPvRmT1_PNSt15iterator_traitsISL_E10value_typeET2_T3_PNSM_ISR_E10value_typeET4_jRbjT5_SX_jjP12ihipStream_tbEUlT_E2_NS1_11comp_targetILNS1_3genE5ELNS1_11target_archE942ELNS1_3gpuE9ELNS1_3repE0EEENS1_30default_config_static_selectorELNS0_4arch9wavefront6targetE0EEEvSL_: ; @_ZN7rocprim17ROCPRIM_400000_NS6detail17trampoline_kernelINS0_14default_configENS1_36segmented_radix_sort_config_selectorI12hip_bfloat16lEEZNS1_25segmented_radix_sort_implIS3_Lb1EPKS5_PS5_PKlPlN2at6native12_GLOBAL__N_18offset_tEEE10hipError_tPvRmT1_PNSt15iterator_traitsISL_E10value_typeET2_T3_PNSM_ISR_E10value_typeET4_jRbjT5_SX_jjP12ihipStream_tbEUlT_E2_NS1_11comp_targetILNS1_3genE5ELNS1_11target_archE942ELNS1_3gpuE9ELNS1_3repE0EEENS1_30default_config_static_selectorELNS0_4arch9wavefront6targetE0EEEvSL_
; %bb.0:
	.section	.rodata,"a",@progbits
	.p2align	6, 0x0
	.amdhsa_kernel _ZN7rocprim17ROCPRIM_400000_NS6detail17trampoline_kernelINS0_14default_configENS1_36segmented_radix_sort_config_selectorI12hip_bfloat16lEEZNS1_25segmented_radix_sort_implIS3_Lb1EPKS5_PS5_PKlPlN2at6native12_GLOBAL__N_18offset_tEEE10hipError_tPvRmT1_PNSt15iterator_traitsISL_E10value_typeET2_T3_PNSM_ISR_E10value_typeET4_jRbjT5_SX_jjP12ihipStream_tbEUlT_E2_NS1_11comp_targetILNS1_3genE5ELNS1_11target_archE942ELNS1_3gpuE9ELNS1_3repE0EEENS1_30default_config_static_selectorELNS0_4arch9wavefront6targetE0EEEvSL_
		.amdhsa_group_segment_fixed_size 0
		.amdhsa_private_segment_fixed_size 0
		.amdhsa_kernarg_size 80
		.amdhsa_user_sgpr_count 2
		.amdhsa_user_sgpr_dispatch_ptr 0
		.amdhsa_user_sgpr_queue_ptr 0
		.amdhsa_user_sgpr_kernarg_segment_ptr 1
		.amdhsa_user_sgpr_dispatch_id 0
		.amdhsa_user_sgpr_private_segment_size 0
		.amdhsa_wavefront_size32 1
		.amdhsa_uses_dynamic_stack 0
		.amdhsa_enable_private_segment 0
		.amdhsa_system_sgpr_workgroup_id_x 1
		.amdhsa_system_sgpr_workgroup_id_y 0
		.amdhsa_system_sgpr_workgroup_id_z 0
		.amdhsa_system_sgpr_workgroup_info 0
		.amdhsa_system_vgpr_workitem_id 0
		.amdhsa_next_free_vgpr 1
		.amdhsa_next_free_sgpr 1
		.amdhsa_reserve_vcc 0
		.amdhsa_float_round_mode_32 0
		.amdhsa_float_round_mode_16_64 0
		.amdhsa_float_denorm_mode_32 3
		.amdhsa_float_denorm_mode_16_64 3
		.amdhsa_fp16_overflow 0
		.amdhsa_workgroup_processor_mode 1
		.amdhsa_memory_ordered 1
		.amdhsa_forward_progress 1
		.amdhsa_inst_pref_size 0
		.amdhsa_round_robin_scheduling 0
		.amdhsa_exception_fp_ieee_invalid_op 0
		.amdhsa_exception_fp_denorm_src 0
		.amdhsa_exception_fp_ieee_div_zero 0
		.amdhsa_exception_fp_ieee_overflow 0
		.amdhsa_exception_fp_ieee_underflow 0
		.amdhsa_exception_fp_ieee_inexact 0
		.amdhsa_exception_int_div_zero 0
	.end_amdhsa_kernel
	.section	.text._ZN7rocprim17ROCPRIM_400000_NS6detail17trampoline_kernelINS0_14default_configENS1_36segmented_radix_sort_config_selectorI12hip_bfloat16lEEZNS1_25segmented_radix_sort_implIS3_Lb1EPKS5_PS5_PKlPlN2at6native12_GLOBAL__N_18offset_tEEE10hipError_tPvRmT1_PNSt15iterator_traitsISL_E10value_typeET2_T3_PNSM_ISR_E10value_typeET4_jRbjT5_SX_jjP12ihipStream_tbEUlT_E2_NS1_11comp_targetILNS1_3genE5ELNS1_11target_archE942ELNS1_3gpuE9ELNS1_3repE0EEENS1_30default_config_static_selectorELNS0_4arch9wavefront6targetE0EEEvSL_,"axG",@progbits,_ZN7rocprim17ROCPRIM_400000_NS6detail17trampoline_kernelINS0_14default_configENS1_36segmented_radix_sort_config_selectorI12hip_bfloat16lEEZNS1_25segmented_radix_sort_implIS3_Lb1EPKS5_PS5_PKlPlN2at6native12_GLOBAL__N_18offset_tEEE10hipError_tPvRmT1_PNSt15iterator_traitsISL_E10value_typeET2_T3_PNSM_ISR_E10value_typeET4_jRbjT5_SX_jjP12ihipStream_tbEUlT_E2_NS1_11comp_targetILNS1_3genE5ELNS1_11target_archE942ELNS1_3gpuE9ELNS1_3repE0EEENS1_30default_config_static_selectorELNS0_4arch9wavefront6targetE0EEEvSL_,comdat
.Lfunc_end1977:
	.size	_ZN7rocprim17ROCPRIM_400000_NS6detail17trampoline_kernelINS0_14default_configENS1_36segmented_radix_sort_config_selectorI12hip_bfloat16lEEZNS1_25segmented_radix_sort_implIS3_Lb1EPKS5_PS5_PKlPlN2at6native12_GLOBAL__N_18offset_tEEE10hipError_tPvRmT1_PNSt15iterator_traitsISL_E10value_typeET2_T3_PNSM_ISR_E10value_typeET4_jRbjT5_SX_jjP12ihipStream_tbEUlT_E2_NS1_11comp_targetILNS1_3genE5ELNS1_11target_archE942ELNS1_3gpuE9ELNS1_3repE0EEENS1_30default_config_static_selectorELNS0_4arch9wavefront6targetE0EEEvSL_, .Lfunc_end1977-_ZN7rocprim17ROCPRIM_400000_NS6detail17trampoline_kernelINS0_14default_configENS1_36segmented_radix_sort_config_selectorI12hip_bfloat16lEEZNS1_25segmented_radix_sort_implIS3_Lb1EPKS5_PS5_PKlPlN2at6native12_GLOBAL__N_18offset_tEEE10hipError_tPvRmT1_PNSt15iterator_traitsISL_E10value_typeET2_T3_PNSM_ISR_E10value_typeET4_jRbjT5_SX_jjP12ihipStream_tbEUlT_E2_NS1_11comp_targetILNS1_3genE5ELNS1_11target_archE942ELNS1_3gpuE9ELNS1_3repE0EEENS1_30default_config_static_selectorELNS0_4arch9wavefront6targetE0EEEvSL_
                                        ; -- End function
	.set _ZN7rocprim17ROCPRIM_400000_NS6detail17trampoline_kernelINS0_14default_configENS1_36segmented_radix_sort_config_selectorI12hip_bfloat16lEEZNS1_25segmented_radix_sort_implIS3_Lb1EPKS5_PS5_PKlPlN2at6native12_GLOBAL__N_18offset_tEEE10hipError_tPvRmT1_PNSt15iterator_traitsISL_E10value_typeET2_T3_PNSM_ISR_E10value_typeET4_jRbjT5_SX_jjP12ihipStream_tbEUlT_E2_NS1_11comp_targetILNS1_3genE5ELNS1_11target_archE942ELNS1_3gpuE9ELNS1_3repE0EEENS1_30default_config_static_selectorELNS0_4arch9wavefront6targetE0EEEvSL_.num_vgpr, 0
	.set _ZN7rocprim17ROCPRIM_400000_NS6detail17trampoline_kernelINS0_14default_configENS1_36segmented_radix_sort_config_selectorI12hip_bfloat16lEEZNS1_25segmented_radix_sort_implIS3_Lb1EPKS5_PS5_PKlPlN2at6native12_GLOBAL__N_18offset_tEEE10hipError_tPvRmT1_PNSt15iterator_traitsISL_E10value_typeET2_T3_PNSM_ISR_E10value_typeET4_jRbjT5_SX_jjP12ihipStream_tbEUlT_E2_NS1_11comp_targetILNS1_3genE5ELNS1_11target_archE942ELNS1_3gpuE9ELNS1_3repE0EEENS1_30default_config_static_selectorELNS0_4arch9wavefront6targetE0EEEvSL_.num_agpr, 0
	.set _ZN7rocprim17ROCPRIM_400000_NS6detail17trampoline_kernelINS0_14default_configENS1_36segmented_radix_sort_config_selectorI12hip_bfloat16lEEZNS1_25segmented_radix_sort_implIS3_Lb1EPKS5_PS5_PKlPlN2at6native12_GLOBAL__N_18offset_tEEE10hipError_tPvRmT1_PNSt15iterator_traitsISL_E10value_typeET2_T3_PNSM_ISR_E10value_typeET4_jRbjT5_SX_jjP12ihipStream_tbEUlT_E2_NS1_11comp_targetILNS1_3genE5ELNS1_11target_archE942ELNS1_3gpuE9ELNS1_3repE0EEENS1_30default_config_static_selectorELNS0_4arch9wavefront6targetE0EEEvSL_.numbered_sgpr, 0
	.set _ZN7rocprim17ROCPRIM_400000_NS6detail17trampoline_kernelINS0_14default_configENS1_36segmented_radix_sort_config_selectorI12hip_bfloat16lEEZNS1_25segmented_radix_sort_implIS3_Lb1EPKS5_PS5_PKlPlN2at6native12_GLOBAL__N_18offset_tEEE10hipError_tPvRmT1_PNSt15iterator_traitsISL_E10value_typeET2_T3_PNSM_ISR_E10value_typeET4_jRbjT5_SX_jjP12ihipStream_tbEUlT_E2_NS1_11comp_targetILNS1_3genE5ELNS1_11target_archE942ELNS1_3gpuE9ELNS1_3repE0EEENS1_30default_config_static_selectorELNS0_4arch9wavefront6targetE0EEEvSL_.num_named_barrier, 0
	.set _ZN7rocprim17ROCPRIM_400000_NS6detail17trampoline_kernelINS0_14default_configENS1_36segmented_radix_sort_config_selectorI12hip_bfloat16lEEZNS1_25segmented_radix_sort_implIS3_Lb1EPKS5_PS5_PKlPlN2at6native12_GLOBAL__N_18offset_tEEE10hipError_tPvRmT1_PNSt15iterator_traitsISL_E10value_typeET2_T3_PNSM_ISR_E10value_typeET4_jRbjT5_SX_jjP12ihipStream_tbEUlT_E2_NS1_11comp_targetILNS1_3genE5ELNS1_11target_archE942ELNS1_3gpuE9ELNS1_3repE0EEENS1_30default_config_static_selectorELNS0_4arch9wavefront6targetE0EEEvSL_.private_seg_size, 0
	.set _ZN7rocprim17ROCPRIM_400000_NS6detail17trampoline_kernelINS0_14default_configENS1_36segmented_radix_sort_config_selectorI12hip_bfloat16lEEZNS1_25segmented_radix_sort_implIS3_Lb1EPKS5_PS5_PKlPlN2at6native12_GLOBAL__N_18offset_tEEE10hipError_tPvRmT1_PNSt15iterator_traitsISL_E10value_typeET2_T3_PNSM_ISR_E10value_typeET4_jRbjT5_SX_jjP12ihipStream_tbEUlT_E2_NS1_11comp_targetILNS1_3genE5ELNS1_11target_archE942ELNS1_3gpuE9ELNS1_3repE0EEENS1_30default_config_static_selectorELNS0_4arch9wavefront6targetE0EEEvSL_.uses_vcc, 0
	.set _ZN7rocprim17ROCPRIM_400000_NS6detail17trampoline_kernelINS0_14default_configENS1_36segmented_radix_sort_config_selectorI12hip_bfloat16lEEZNS1_25segmented_radix_sort_implIS3_Lb1EPKS5_PS5_PKlPlN2at6native12_GLOBAL__N_18offset_tEEE10hipError_tPvRmT1_PNSt15iterator_traitsISL_E10value_typeET2_T3_PNSM_ISR_E10value_typeET4_jRbjT5_SX_jjP12ihipStream_tbEUlT_E2_NS1_11comp_targetILNS1_3genE5ELNS1_11target_archE942ELNS1_3gpuE9ELNS1_3repE0EEENS1_30default_config_static_selectorELNS0_4arch9wavefront6targetE0EEEvSL_.uses_flat_scratch, 0
	.set _ZN7rocprim17ROCPRIM_400000_NS6detail17trampoline_kernelINS0_14default_configENS1_36segmented_radix_sort_config_selectorI12hip_bfloat16lEEZNS1_25segmented_radix_sort_implIS3_Lb1EPKS5_PS5_PKlPlN2at6native12_GLOBAL__N_18offset_tEEE10hipError_tPvRmT1_PNSt15iterator_traitsISL_E10value_typeET2_T3_PNSM_ISR_E10value_typeET4_jRbjT5_SX_jjP12ihipStream_tbEUlT_E2_NS1_11comp_targetILNS1_3genE5ELNS1_11target_archE942ELNS1_3gpuE9ELNS1_3repE0EEENS1_30default_config_static_selectorELNS0_4arch9wavefront6targetE0EEEvSL_.has_dyn_sized_stack, 0
	.set _ZN7rocprim17ROCPRIM_400000_NS6detail17trampoline_kernelINS0_14default_configENS1_36segmented_radix_sort_config_selectorI12hip_bfloat16lEEZNS1_25segmented_radix_sort_implIS3_Lb1EPKS5_PS5_PKlPlN2at6native12_GLOBAL__N_18offset_tEEE10hipError_tPvRmT1_PNSt15iterator_traitsISL_E10value_typeET2_T3_PNSM_ISR_E10value_typeET4_jRbjT5_SX_jjP12ihipStream_tbEUlT_E2_NS1_11comp_targetILNS1_3genE5ELNS1_11target_archE942ELNS1_3gpuE9ELNS1_3repE0EEENS1_30default_config_static_selectorELNS0_4arch9wavefront6targetE0EEEvSL_.has_recursion, 0
	.set _ZN7rocprim17ROCPRIM_400000_NS6detail17trampoline_kernelINS0_14default_configENS1_36segmented_radix_sort_config_selectorI12hip_bfloat16lEEZNS1_25segmented_radix_sort_implIS3_Lb1EPKS5_PS5_PKlPlN2at6native12_GLOBAL__N_18offset_tEEE10hipError_tPvRmT1_PNSt15iterator_traitsISL_E10value_typeET2_T3_PNSM_ISR_E10value_typeET4_jRbjT5_SX_jjP12ihipStream_tbEUlT_E2_NS1_11comp_targetILNS1_3genE5ELNS1_11target_archE942ELNS1_3gpuE9ELNS1_3repE0EEENS1_30default_config_static_selectorELNS0_4arch9wavefront6targetE0EEEvSL_.has_indirect_call, 0
	.section	.AMDGPU.csdata,"",@progbits
; Kernel info:
; codeLenInByte = 0
; TotalNumSgprs: 0
; NumVgprs: 0
; ScratchSize: 0
; MemoryBound: 0
; FloatMode: 240
; IeeeMode: 1
; LDSByteSize: 0 bytes/workgroup (compile time only)
; SGPRBlocks: 0
; VGPRBlocks: 0
; NumSGPRsForWavesPerEU: 1
; NumVGPRsForWavesPerEU: 1
; Occupancy: 16
; WaveLimiterHint : 0
; COMPUTE_PGM_RSRC2:SCRATCH_EN: 0
; COMPUTE_PGM_RSRC2:USER_SGPR: 2
; COMPUTE_PGM_RSRC2:TRAP_HANDLER: 0
; COMPUTE_PGM_RSRC2:TGID_X_EN: 1
; COMPUTE_PGM_RSRC2:TGID_Y_EN: 0
; COMPUTE_PGM_RSRC2:TGID_Z_EN: 0
; COMPUTE_PGM_RSRC2:TIDIG_COMP_CNT: 0
	.section	.text._ZN7rocprim17ROCPRIM_400000_NS6detail17trampoline_kernelINS0_14default_configENS1_36segmented_radix_sort_config_selectorI12hip_bfloat16lEEZNS1_25segmented_radix_sort_implIS3_Lb1EPKS5_PS5_PKlPlN2at6native12_GLOBAL__N_18offset_tEEE10hipError_tPvRmT1_PNSt15iterator_traitsISL_E10value_typeET2_T3_PNSM_ISR_E10value_typeET4_jRbjT5_SX_jjP12ihipStream_tbEUlT_E2_NS1_11comp_targetILNS1_3genE4ELNS1_11target_archE910ELNS1_3gpuE8ELNS1_3repE0EEENS1_30default_config_static_selectorELNS0_4arch9wavefront6targetE0EEEvSL_,"axG",@progbits,_ZN7rocprim17ROCPRIM_400000_NS6detail17trampoline_kernelINS0_14default_configENS1_36segmented_radix_sort_config_selectorI12hip_bfloat16lEEZNS1_25segmented_radix_sort_implIS3_Lb1EPKS5_PS5_PKlPlN2at6native12_GLOBAL__N_18offset_tEEE10hipError_tPvRmT1_PNSt15iterator_traitsISL_E10value_typeET2_T3_PNSM_ISR_E10value_typeET4_jRbjT5_SX_jjP12ihipStream_tbEUlT_E2_NS1_11comp_targetILNS1_3genE4ELNS1_11target_archE910ELNS1_3gpuE8ELNS1_3repE0EEENS1_30default_config_static_selectorELNS0_4arch9wavefront6targetE0EEEvSL_,comdat
	.globl	_ZN7rocprim17ROCPRIM_400000_NS6detail17trampoline_kernelINS0_14default_configENS1_36segmented_radix_sort_config_selectorI12hip_bfloat16lEEZNS1_25segmented_radix_sort_implIS3_Lb1EPKS5_PS5_PKlPlN2at6native12_GLOBAL__N_18offset_tEEE10hipError_tPvRmT1_PNSt15iterator_traitsISL_E10value_typeET2_T3_PNSM_ISR_E10value_typeET4_jRbjT5_SX_jjP12ihipStream_tbEUlT_E2_NS1_11comp_targetILNS1_3genE4ELNS1_11target_archE910ELNS1_3gpuE8ELNS1_3repE0EEENS1_30default_config_static_selectorELNS0_4arch9wavefront6targetE0EEEvSL_ ; -- Begin function _ZN7rocprim17ROCPRIM_400000_NS6detail17trampoline_kernelINS0_14default_configENS1_36segmented_radix_sort_config_selectorI12hip_bfloat16lEEZNS1_25segmented_radix_sort_implIS3_Lb1EPKS5_PS5_PKlPlN2at6native12_GLOBAL__N_18offset_tEEE10hipError_tPvRmT1_PNSt15iterator_traitsISL_E10value_typeET2_T3_PNSM_ISR_E10value_typeET4_jRbjT5_SX_jjP12ihipStream_tbEUlT_E2_NS1_11comp_targetILNS1_3genE4ELNS1_11target_archE910ELNS1_3gpuE8ELNS1_3repE0EEENS1_30default_config_static_selectorELNS0_4arch9wavefront6targetE0EEEvSL_
	.p2align	8
	.type	_ZN7rocprim17ROCPRIM_400000_NS6detail17trampoline_kernelINS0_14default_configENS1_36segmented_radix_sort_config_selectorI12hip_bfloat16lEEZNS1_25segmented_radix_sort_implIS3_Lb1EPKS5_PS5_PKlPlN2at6native12_GLOBAL__N_18offset_tEEE10hipError_tPvRmT1_PNSt15iterator_traitsISL_E10value_typeET2_T3_PNSM_ISR_E10value_typeET4_jRbjT5_SX_jjP12ihipStream_tbEUlT_E2_NS1_11comp_targetILNS1_3genE4ELNS1_11target_archE910ELNS1_3gpuE8ELNS1_3repE0EEENS1_30default_config_static_selectorELNS0_4arch9wavefront6targetE0EEEvSL_,@function
_ZN7rocprim17ROCPRIM_400000_NS6detail17trampoline_kernelINS0_14default_configENS1_36segmented_radix_sort_config_selectorI12hip_bfloat16lEEZNS1_25segmented_radix_sort_implIS3_Lb1EPKS5_PS5_PKlPlN2at6native12_GLOBAL__N_18offset_tEEE10hipError_tPvRmT1_PNSt15iterator_traitsISL_E10value_typeET2_T3_PNSM_ISR_E10value_typeET4_jRbjT5_SX_jjP12ihipStream_tbEUlT_E2_NS1_11comp_targetILNS1_3genE4ELNS1_11target_archE910ELNS1_3gpuE8ELNS1_3repE0EEENS1_30default_config_static_selectorELNS0_4arch9wavefront6targetE0EEEvSL_: ; @_ZN7rocprim17ROCPRIM_400000_NS6detail17trampoline_kernelINS0_14default_configENS1_36segmented_radix_sort_config_selectorI12hip_bfloat16lEEZNS1_25segmented_radix_sort_implIS3_Lb1EPKS5_PS5_PKlPlN2at6native12_GLOBAL__N_18offset_tEEE10hipError_tPvRmT1_PNSt15iterator_traitsISL_E10value_typeET2_T3_PNSM_ISR_E10value_typeET4_jRbjT5_SX_jjP12ihipStream_tbEUlT_E2_NS1_11comp_targetILNS1_3genE4ELNS1_11target_archE910ELNS1_3gpuE8ELNS1_3repE0EEENS1_30default_config_static_selectorELNS0_4arch9wavefront6targetE0EEEvSL_
; %bb.0:
	.section	.rodata,"a",@progbits
	.p2align	6, 0x0
	.amdhsa_kernel _ZN7rocprim17ROCPRIM_400000_NS6detail17trampoline_kernelINS0_14default_configENS1_36segmented_radix_sort_config_selectorI12hip_bfloat16lEEZNS1_25segmented_radix_sort_implIS3_Lb1EPKS5_PS5_PKlPlN2at6native12_GLOBAL__N_18offset_tEEE10hipError_tPvRmT1_PNSt15iterator_traitsISL_E10value_typeET2_T3_PNSM_ISR_E10value_typeET4_jRbjT5_SX_jjP12ihipStream_tbEUlT_E2_NS1_11comp_targetILNS1_3genE4ELNS1_11target_archE910ELNS1_3gpuE8ELNS1_3repE0EEENS1_30default_config_static_selectorELNS0_4arch9wavefront6targetE0EEEvSL_
		.amdhsa_group_segment_fixed_size 0
		.amdhsa_private_segment_fixed_size 0
		.amdhsa_kernarg_size 80
		.amdhsa_user_sgpr_count 2
		.amdhsa_user_sgpr_dispatch_ptr 0
		.amdhsa_user_sgpr_queue_ptr 0
		.amdhsa_user_sgpr_kernarg_segment_ptr 1
		.amdhsa_user_sgpr_dispatch_id 0
		.amdhsa_user_sgpr_private_segment_size 0
		.amdhsa_wavefront_size32 1
		.amdhsa_uses_dynamic_stack 0
		.amdhsa_enable_private_segment 0
		.amdhsa_system_sgpr_workgroup_id_x 1
		.amdhsa_system_sgpr_workgroup_id_y 0
		.amdhsa_system_sgpr_workgroup_id_z 0
		.amdhsa_system_sgpr_workgroup_info 0
		.amdhsa_system_vgpr_workitem_id 0
		.amdhsa_next_free_vgpr 1
		.amdhsa_next_free_sgpr 1
		.amdhsa_reserve_vcc 0
		.amdhsa_float_round_mode_32 0
		.amdhsa_float_round_mode_16_64 0
		.amdhsa_float_denorm_mode_32 3
		.amdhsa_float_denorm_mode_16_64 3
		.amdhsa_fp16_overflow 0
		.amdhsa_workgroup_processor_mode 1
		.amdhsa_memory_ordered 1
		.amdhsa_forward_progress 1
		.amdhsa_inst_pref_size 0
		.amdhsa_round_robin_scheduling 0
		.amdhsa_exception_fp_ieee_invalid_op 0
		.amdhsa_exception_fp_denorm_src 0
		.amdhsa_exception_fp_ieee_div_zero 0
		.amdhsa_exception_fp_ieee_overflow 0
		.amdhsa_exception_fp_ieee_underflow 0
		.amdhsa_exception_fp_ieee_inexact 0
		.amdhsa_exception_int_div_zero 0
	.end_amdhsa_kernel
	.section	.text._ZN7rocprim17ROCPRIM_400000_NS6detail17trampoline_kernelINS0_14default_configENS1_36segmented_radix_sort_config_selectorI12hip_bfloat16lEEZNS1_25segmented_radix_sort_implIS3_Lb1EPKS5_PS5_PKlPlN2at6native12_GLOBAL__N_18offset_tEEE10hipError_tPvRmT1_PNSt15iterator_traitsISL_E10value_typeET2_T3_PNSM_ISR_E10value_typeET4_jRbjT5_SX_jjP12ihipStream_tbEUlT_E2_NS1_11comp_targetILNS1_3genE4ELNS1_11target_archE910ELNS1_3gpuE8ELNS1_3repE0EEENS1_30default_config_static_selectorELNS0_4arch9wavefront6targetE0EEEvSL_,"axG",@progbits,_ZN7rocprim17ROCPRIM_400000_NS6detail17trampoline_kernelINS0_14default_configENS1_36segmented_radix_sort_config_selectorI12hip_bfloat16lEEZNS1_25segmented_radix_sort_implIS3_Lb1EPKS5_PS5_PKlPlN2at6native12_GLOBAL__N_18offset_tEEE10hipError_tPvRmT1_PNSt15iterator_traitsISL_E10value_typeET2_T3_PNSM_ISR_E10value_typeET4_jRbjT5_SX_jjP12ihipStream_tbEUlT_E2_NS1_11comp_targetILNS1_3genE4ELNS1_11target_archE910ELNS1_3gpuE8ELNS1_3repE0EEENS1_30default_config_static_selectorELNS0_4arch9wavefront6targetE0EEEvSL_,comdat
.Lfunc_end1978:
	.size	_ZN7rocprim17ROCPRIM_400000_NS6detail17trampoline_kernelINS0_14default_configENS1_36segmented_radix_sort_config_selectorI12hip_bfloat16lEEZNS1_25segmented_radix_sort_implIS3_Lb1EPKS5_PS5_PKlPlN2at6native12_GLOBAL__N_18offset_tEEE10hipError_tPvRmT1_PNSt15iterator_traitsISL_E10value_typeET2_T3_PNSM_ISR_E10value_typeET4_jRbjT5_SX_jjP12ihipStream_tbEUlT_E2_NS1_11comp_targetILNS1_3genE4ELNS1_11target_archE910ELNS1_3gpuE8ELNS1_3repE0EEENS1_30default_config_static_selectorELNS0_4arch9wavefront6targetE0EEEvSL_, .Lfunc_end1978-_ZN7rocprim17ROCPRIM_400000_NS6detail17trampoline_kernelINS0_14default_configENS1_36segmented_radix_sort_config_selectorI12hip_bfloat16lEEZNS1_25segmented_radix_sort_implIS3_Lb1EPKS5_PS5_PKlPlN2at6native12_GLOBAL__N_18offset_tEEE10hipError_tPvRmT1_PNSt15iterator_traitsISL_E10value_typeET2_T3_PNSM_ISR_E10value_typeET4_jRbjT5_SX_jjP12ihipStream_tbEUlT_E2_NS1_11comp_targetILNS1_3genE4ELNS1_11target_archE910ELNS1_3gpuE8ELNS1_3repE0EEENS1_30default_config_static_selectorELNS0_4arch9wavefront6targetE0EEEvSL_
                                        ; -- End function
	.set _ZN7rocprim17ROCPRIM_400000_NS6detail17trampoline_kernelINS0_14default_configENS1_36segmented_radix_sort_config_selectorI12hip_bfloat16lEEZNS1_25segmented_radix_sort_implIS3_Lb1EPKS5_PS5_PKlPlN2at6native12_GLOBAL__N_18offset_tEEE10hipError_tPvRmT1_PNSt15iterator_traitsISL_E10value_typeET2_T3_PNSM_ISR_E10value_typeET4_jRbjT5_SX_jjP12ihipStream_tbEUlT_E2_NS1_11comp_targetILNS1_3genE4ELNS1_11target_archE910ELNS1_3gpuE8ELNS1_3repE0EEENS1_30default_config_static_selectorELNS0_4arch9wavefront6targetE0EEEvSL_.num_vgpr, 0
	.set _ZN7rocprim17ROCPRIM_400000_NS6detail17trampoline_kernelINS0_14default_configENS1_36segmented_radix_sort_config_selectorI12hip_bfloat16lEEZNS1_25segmented_radix_sort_implIS3_Lb1EPKS5_PS5_PKlPlN2at6native12_GLOBAL__N_18offset_tEEE10hipError_tPvRmT1_PNSt15iterator_traitsISL_E10value_typeET2_T3_PNSM_ISR_E10value_typeET4_jRbjT5_SX_jjP12ihipStream_tbEUlT_E2_NS1_11comp_targetILNS1_3genE4ELNS1_11target_archE910ELNS1_3gpuE8ELNS1_3repE0EEENS1_30default_config_static_selectorELNS0_4arch9wavefront6targetE0EEEvSL_.num_agpr, 0
	.set _ZN7rocprim17ROCPRIM_400000_NS6detail17trampoline_kernelINS0_14default_configENS1_36segmented_radix_sort_config_selectorI12hip_bfloat16lEEZNS1_25segmented_radix_sort_implIS3_Lb1EPKS5_PS5_PKlPlN2at6native12_GLOBAL__N_18offset_tEEE10hipError_tPvRmT1_PNSt15iterator_traitsISL_E10value_typeET2_T3_PNSM_ISR_E10value_typeET4_jRbjT5_SX_jjP12ihipStream_tbEUlT_E2_NS1_11comp_targetILNS1_3genE4ELNS1_11target_archE910ELNS1_3gpuE8ELNS1_3repE0EEENS1_30default_config_static_selectorELNS0_4arch9wavefront6targetE0EEEvSL_.numbered_sgpr, 0
	.set _ZN7rocprim17ROCPRIM_400000_NS6detail17trampoline_kernelINS0_14default_configENS1_36segmented_radix_sort_config_selectorI12hip_bfloat16lEEZNS1_25segmented_radix_sort_implIS3_Lb1EPKS5_PS5_PKlPlN2at6native12_GLOBAL__N_18offset_tEEE10hipError_tPvRmT1_PNSt15iterator_traitsISL_E10value_typeET2_T3_PNSM_ISR_E10value_typeET4_jRbjT5_SX_jjP12ihipStream_tbEUlT_E2_NS1_11comp_targetILNS1_3genE4ELNS1_11target_archE910ELNS1_3gpuE8ELNS1_3repE0EEENS1_30default_config_static_selectorELNS0_4arch9wavefront6targetE0EEEvSL_.num_named_barrier, 0
	.set _ZN7rocprim17ROCPRIM_400000_NS6detail17trampoline_kernelINS0_14default_configENS1_36segmented_radix_sort_config_selectorI12hip_bfloat16lEEZNS1_25segmented_radix_sort_implIS3_Lb1EPKS5_PS5_PKlPlN2at6native12_GLOBAL__N_18offset_tEEE10hipError_tPvRmT1_PNSt15iterator_traitsISL_E10value_typeET2_T3_PNSM_ISR_E10value_typeET4_jRbjT5_SX_jjP12ihipStream_tbEUlT_E2_NS1_11comp_targetILNS1_3genE4ELNS1_11target_archE910ELNS1_3gpuE8ELNS1_3repE0EEENS1_30default_config_static_selectorELNS0_4arch9wavefront6targetE0EEEvSL_.private_seg_size, 0
	.set _ZN7rocprim17ROCPRIM_400000_NS6detail17trampoline_kernelINS0_14default_configENS1_36segmented_radix_sort_config_selectorI12hip_bfloat16lEEZNS1_25segmented_radix_sort_implIS3_Lb1EPKS5_PS5_PKlPlN2at6native12_GLOBAL__N_18offset_tEEE10hipError_tPvRmT1_PNSt15iterator_traitsISL_E10value_typeET2_T3_PNSM_ISR_E10value_typeET4_jRbjT5_SX_jjP12ihipStream_tbEUlT_E2_NS1_11comp_targetILNS1_3genE4ELNS1_11target_archE910ELNS1_3gpuE8ELNS1_3repE0EEENS1_30default_config_static_selectorELNS0_4arch9wavefront6targetE0EEEvSL_.uses_vcc, 0
	.set _ZN7rocprim17ROCPRIM_400000_NS6detail17trampoline_kernelINS0_14default_configENS1_36segmented_radix_sort_config_selectorI12hip_bfloat16lEEZNS1_25segmented_radix_sort_implIS3_Lb1EPKS5_PS5_PKlPlN2at6native12_GLOBAL__N_18offset_tEEE10hipError_tPvRmT1_PNSt15iterator_traitsISL_E10value_typeET2_T3_PNSM_ISR_E10value_typeET4_jRbjT5_SX_jjP12ihipStream_tbEUlT_E2_NS1_11comp_targetILNS1_3genE4ELNS1_11target_archE910ELNS1_3gpuE8ELNS1_3repE0EEENS1_30default_config_static_selectorELNS0_4arch9wavefront6targetE0EEEvSL_.uses_flat_scratch, 0
	.set _ZN7rocprim17ROCPRIM_400000_NS6detail17trampoline_kernelINS0_14default_configENS1_36segmented_radix_sort_config_selectorI12hip_bfloat16lEEZNS1_25segmented_radix_sort_implIS3_Lb1EPKS5_PS5_PKlPlN2at6native12_GLOBAL__N_18offset_tEEE10hipError_tPvRmT1_PNSt15iterator_traitsISL_E10value_typeET2_T3_PNSM_ISR_E10value_typeET4_jRbjT5_SX_jjP12ihipStream_tbEUlT_E2_NS1_11comp_targetILNS1_3genE4ELNS1_11target_archE910ELNS1_3gpuE8ELNS1_3repE0EEENS1_30default_config_static_selectorELNS0_4arch9wavefront6targetE0EEEvSL_.has_dyn_sized_stack, 0
	.set _ZN7rocprim17ROCPRIM_400000_NS6detail17trampoline_kernelINS0_14default_configENS1_36segmented_radix_sort_config_selectorI12hip_bfloat16lEEZNS1_25segmented_radix_sort_implIS3_Lb1EPKS5_PS5_PKlPlN2at6native12_GLOBAL__N_18offset_tEEE10hipError_tPvRmT1_PNSt15iterator_traitsISL_E10value_typeET2_T3_PNSM_ISR_E10value_typeET4_jRbjT5_SX_jjP12ihipStream_tbEUlT_E2_NS1_11comp_targetILNS1_3genE4ELNS1_11target_archE910ELNS1_3gpuE8ELNS1_3repE0EEENS1_30default_config_static_selectorELNS0_4arch9wavefront6targetE0EEEvSL_.has_recursion, 0
	.set _ZN7rocprim17ROCPRIM_400000_NS6detail17trampoline_kernelINS0_14default_configENS1_36segmented_radix_sort_config_selectorI12hip_bfloat16lEEZNS1_25segmented_radix_sort_implIS3_Lb1EPKS5_PS5_PKlPlN2at6native12_GLOBAL__N_18offset_tEEE10hipError_tPvRmT1_PNSt15iterator_traitsISL_E10value_typeET2_T3_PNSM_ISR_E10value_typeET4_jRbjT5_SX_jjP12ihipStream_tbEUlT_E2_NS1_11comp_targetILNS1_3genE4ELNS1_11target_archE910ELNS1_3gpuE8ELNS1_3repE0EEENS1_30default_config_static_selectorELNS0_4arch9wavefront6targetE0EEEvSL_.has_indirect_call, 0
	.section	.AMDGPU.csdata,"",@progbits
; Kernel info:
; codeLenInByte = 0
; TotalNumSgprs: 0
; NumVgprs: 0
; ScratchSize: 0
; MemoryBound: 0
; FloatMode: 240
; IeeeMode: 1
; LDSByteSize: 0 bytes/workgroup (compile time only)
; SGPRBlocks: 0
; VGPRBlocks: 0
; NumSGPRsForWavesPerEU: 1
; NumVGPRsForWavesPerEU: 1
; Occupancy: 16
; WaveLimiterHint : 0
; COMPUTE_PGM_RSRC2:SCRATCH_EN: 0
; COMPUTE_PGM_RSRC2:USER_SGPR: 2
; COMPUTE_PGM_RSRC2:TRAP_HANDLER: 0
; COMPUTE_PGM_RSRC2:TGID_X_EN: 1
; COMPUTE_PGM_RSRC2:TGID_Y_EN: 0
; COMPUTE_PGM_RSRC2:TGID_Z_EN: 0
; COMPUTE_PGM_RSRC2:TIDIG_COMP_CNT: 0
	.section	.text._ZN7rocprim17ROCPRIM_400000_NS6detail17trampoline_kernelINS0_14default_configENS1_36segmented_radix_sort_config_selectorI12hip_bfloat16lEEZNS1_25segmented_radix_sort_implIS3_Lb1EPKS5_PS5_PKlPlN2at6native12_GLOBAL__N_18offset_tEEE10hipError_tPvRmT1_PNSt15iterator_traitsISL_E10value_typeET2_T3_PNSM_ISR_E10value_typeET4_jRbjT5_SX_jjP12ihipStream_tbEUlT_E2_NS1_11comp_targetILNS1_3genE3ELNS1_11target_archE908ELNS1_3gpuE7ELNS1_3repE0EEENS1_30default_config_static_selectorELNS0_4arch9wavefront6targetE0EEEvSL_,"axG",@progbits,_ZN7rocprim17ROCPRIM_400000_NS6detail17trampoline_kernelINS0_14default_configENS1_36segmented_radix_sort_config_selectorI12hip_bfloat16lEEZNS1_25segmented_radix_sort_implIS3_Lb1EPKS5_PS5_PKlPlN2at6native12_GLOBAL__N_18offset_tEEE10hipError_tPvRmT1_PNSt15iterator_traitsISL_E10value_typeET2_T3_PNSM_ISR_E10value_typeET4_jRbjT5_SX_jjP12ihipStream_tbEUlT_E2_NS1_11comp_targetILNS1_3genE3ELNS1_11target_archE908ELNS1_3gpuE7ELNS1_3repE0EEENS1_30default_config_static_selectorELNS0_4arch9wavefront6targetE0EEEvSL_,comdat
	.globl	_ZN7rocprim17ROCPRIM_400000_NS6detail17trampoline_kernelINS0_14default_configENS1_36segmented_radix_sort_config_selectorI12hip_bfloat16lEEZNS1_25segmented_radix_sort_implIS3_Lb1EPKS5_PS5_PKlPlN2at6native12_GLOBAL__N_18offset_tEEE10hipError_tPvRmT1_PNSt15iterator_traitsISL_E10value_typeET2_T3_PNSM_ISR_E10value_typeET4_jRbjT5_SX_jjP12ihipStream_tbEUlT_E2_NS1_11comp_targetILNS1_3genE3ELNS1_11target_archE908ELNS1_3gpuE7ELNS1_3repE0EEENS1_30default_config_static_selectorELNS0_4arch9wavefront6targetE0EEEvSL_ ; -- Begin function _ZN7rocprim17ROCPRIM_400000_NS6detail17trampoline_kernelINS0_14default_configENS1_36segmented_radix_sort_config_selectorI12hip_bfloat16lEEZNS1_25segmented_radix_sort_implIS3_Lb1EPKS5_PS5_PKlPlN2at6native12_GLOBAL__N_18offset_tEEE10hipError_tPvRmT1_PNSt15iterator_traitsISL_E10value_typeET2_T3_PNSM_ISR_E10value_typeET4_jRbjT5_SX_jjP12ihipStream_tbEUlT_E2_NS1_11comp_targetILNS1_3genE3ELNS1_11target_archE908ELNS1_3gpuE7ELNS1_3repE0EEENS1_30default_config_static_selectorELNS0_4arch9wavefront6targetE0EEEvSL_
	.p2align	8
	.type	_ZN7rocprim17ROCPRIM_400000_NS6detail17trampoline_kernelINS0_14default_configENS1_36segmented_radix_sort_config_selectorI12hip_bfloat16lEEZNS1_25segmented_radix_sort_implIS3_Lb1EPKS5_PS5_PKlPlN2at6native12_GLOBAL__N_18offset_tEEE10hipError_tPvRmT1_PNSt15iterator_traitsISL_E10value_typeET2_T3_PNSM_ISR_E10value_typeET4_jRbjT5_SX_jjP12ihipStream_tbEUlT_E2_NS1_11comp_targetILNS1_3genE3ELNS1_11target_archE908ELNS1_3gpuE7ELNS1_3repE0EEENS1_30default_config_static_selectorELNS0_4arch9wavefront6targetE0EEEvSL_,@function
_ZN7rocprim17ROCPRIM_400000_NS6detail17trampoline_kernelINS0_14default_configENS1_36segmented_radix_sort_config_selectorI12hip_bfloat16lEEZNS1_25segmented_radix_sort_implIS3_Lb1EPKS5_PS5_PKlPlN2at6native12_GLOBAL__N_18offset_tEEE10hipError_tPvRmT1_PNSt15iterator_traitsISL_E10value_typeET2_T3_PNSM_ISR_E10value_typeET4_jRbjT5_SX_jjP12ihipStream_tbEUlT_E2_NS1_11comp_targetILNS1_3genE3ELNS1_11target_archE908ELNS1_3gpuE7ELNS1_3repE0EEENS1_30default_config_static_selectorELNS0_4arch9wavefront6targetE0EEEvSL_: ; @_ZN7rocprim17ROCPRIM_400000_NS6detail17trampoline_kernelINS0_14default_configENS1_36segmented_radix_sort_config_selectorI12hip_bfloat16lEEZNS1_25segmented_radix_sort_implIS3_Lb1EPKS5_PS5_PKlPlN2at6native12_GLOBAL__N_18offset_tEEE10hipError_tPvRmT1_PNSt15iterator_traitsISL_E10value_typeET2_T3_PNSM_ISR_E10value_typeET4_jRbjT5_SX_jjP12ihipStream_tbEUlT_E2_NS1_11comp_targetILNS1_3genE3ELNS1_11target_archE908ELNS1_3gpuE7ELNS1_3repE0EEENS1_30default_config_static_selectorELNS0_4arch9wavefront6targetE0EEEvSL_
; %bb.0:
	.section	.rodata,"a",@progbits
	.p2align	6, 0x0
	.amdhsa_kernel _ZN7rocprim17ROCPRIM_400000_NS6detail17trampoline_kernelINS0_14default_configENS1_36segmented_radix_sort_config_selectorI12hip_bfloat16lEEZNS1_25segmented_radix_sort_implIS3_Lb1EPKS5_PS5_PKlPlN2at6native12_GLOBAL__N_18offset_tEEE10hipError_tPvRmT1_PNSt15iterator_traitsISL_E10value_typeET2_T3_PNSM_ISR_E10value_typeET4_jRbjT5_SX_jjP12ihipStream_tbEUlT_E2_NS1_11comp_targetILNS1_3genE3ELNS1_11target_archE908ELNS1_3gpuE7ELNS1_3repE0EEENS1_30default_config_static_selectorELNS0_4arch9wavefront6targetE0EEEvSL_
		.amdhsa_group_segment_fixed_size 0
		.amdhsa_private_segment_fixed_size 0
		.amdhsa_kernarg_size 80
		.amdhsa_user_sgpr_count 2
		.amdhsa_user_sgpr_dispatch_ptr 0
		.amdhsa_user_sgpr_queue_ptr 0
		.amdhsa_user_sgpr_kernarg_segment_ptr 1
		.amdhsa_user_sgpr_dispatch_id 0
		.amdhsa_user_sgpr_private_segment_size 0
		.amdhsa_wavefront_size32 1
		.amdhsa_uses_dynamic_stack 0
		.amdhsa_enable_private_segment 0
		.amdhsa_system_sgpr_workgroup_id_x 1
		.amdhsa_system_sgpr_workgroup_id_y 0
		.amdhsa_system_sgpr_workgroup_id_z 0
		.amdhsa_system_sgpr_workgroup_info 0
		.amdhsa_system_vgpr_workitem_id 0
		.amdhsa_next_free_vgpr 1
		.amdhsa_next_free_sgpr 1
		.amdhsa_reserve_vcc 0
		.amdhsa_float_round_mode_32 0
		.amdhsa_float_round_mode_16_64 0
		.amdhsa_float_denorm_mode_32 3
		.amdhsa_float_denorm_mode_16_64 3
		.amdhsa_fp16_overflow 0
		.amdhsa_workgroup_processor_mode 1
		.amdhsa_memory_ordered 1
		.amdhsa_forward_progress 1
		.amdhsa_inst_pref_size 0
		.amdhsa_round_robin_scheduling 0
		.amdhsa_exception_fp_ieee_invalid_op 0
		.amdhsa_exception_fp_denorm_src 0
		.amdhsa_exception_fp_ieee_div_zero 0
		.amdhsa_exception_fp_ieee_overflow 0
		.amdhsa_exception_fp_ieee_underflow 0
		.amdhsa_exception_fp_ieee_inexact 0
		.amdhsa_exception_int_div_zero 0
	.end_amdhsa_kernel
	.section	.text._ZN7rocprim17ROCPRIM_400000_NS6detail17trampoline_kernelINS0_14default_configENS1_36segmented_radix_sort_config_selectorI12hip_bfloat16lEEZNS1_25segmented_radix_sort_implIS3_Lb1EPKS5_PS5_PKlPlN2at6native12_GLOBAL__N_18offset_tEEE10hipError_tPvRmT1_PNSt15iterator_traitsISL_E10value_typeET2_T3_PNSM_ISR_E10value_typeET4_jRbjT5_SX_jjP12ihipStream_tbEUlT_E2_NS1_11comp_targetILNS1_3genE3ELNS1_11target_archE908ELNS1_3gpuE7ELNS1_3repE0EEENS1_30default_config_static_selectorELNS0_4arch9wavefront6targetE0EEEvSL_,"axG",@progbits,_ZN7rocprim17ROCPRIM_400000_NS6detail17trampoline_kernelINS0_14default_configENS1_36segmented_radix_sort_config_selectorI12hip_bfloat16lEEZNS1_25segmented_radix_sort_implIS3_Lb1EPKS5_PS5_PKlPlN2at6native12_GLOBAL__N_18offset_tEEE10hipError_tPvRmT1_PNSt15iterator_traitsISL_E10value_typeET2_T3_PNSM_ISR_E10value_typeET4_jRbjT5_SX_jjP12ihipStream_tbEUlT_E2_NS1_11comp_targetILNS1_3genE3ELNS1_11target_archE908ELNS1_3gpuE7ELNS1_3repE0EEENS1_30default_config_static_selectorELNS0_4arch9wavefront6targetE0EEEvSL_,comdat
.Lfunc_end1979:
	.size	_ZN7rocprim17ROCPRIM_400000_NS6detail17trampoline_kernelINS0_14default_configENS1_36segmented_radix_sort_config_selectorI12hip_bfloat16lEEZNS1_25segmented_radix_sort_implIS3_Lb1EPKS5_PS5_PKlPlN2at6native12_GLOBAL__N_18offset_tEEE10hipError_tPvRmT1_PNSt15iterator_traitsISL_E10value_typeET2_T3_PNSM_ISR_E10value_typeET4_jRbjT5_SX_jjP12ihipStream_tbEUlT_E2_NS1_11comp_targetILNS1_3genE3ELNS1_11target_archE908ELNS1_3gpuE7ELNS1_3repE0EEENS1_30default_config_static_selectorELNS0_4arch9wavefront6targetE0EEEvSL_, .Lfunc_end1979-_ZN7rocprim17ROCPRIM_400000_NS6detail17trampoline_kernelINS0_14default_configENS1_36segmented_radix_sort_config_selectorI12hip_bfloat16lEEZNS1_25segmented_radix_sort_implIS3_Lb1EPKS5_PS5_PKlPlN2at6native12_GLOBAL__N_18offset_tEEE10hipError_tPvRmT1_PNSt15iterator_traitsISL_E10value_typeET2_T3_PNSM_ISR_E10value_typeET4_jRbjT5_SX_jjP12ihipStream_tbEUlT_E2_NS1_11comp_targetILNS1_3genE3ELNS1_11target_archE908ELNS1_3gpuE7ELNS1_3repE0EEENS1_30default_config_static_selectorELNS0_4arch9wavefront6targetE0EEEvSL_
                                        ; -- End function
	.set _ZN7rocprim17ROCPRIM_400000_NS6detail17trampoline_kernelINS0_14default_configENS1_36segmented_radix_sort_config_selectorI12hip_bfloat16lEEZNS1_25segmented_radix_sort_implIS3_Lb1EPKS5_PS5_PKlPlN2at6native12_GLOBAL__N_18offset_tEEE10hipError_tPvRmT1_PNSt15iterator_traitsISL_E10value_typeET2_T3_PNSM_ISR_E10value_typeET4_jRbjT5_SX_jjP12ihipStream_tbEUlT_E2_NS1_11comp_targetILNS1_3genE3ELNS1_11target_archE908ELNS1_3gpuE7ELNS1_3repE0EEENS1_30default_config_static_selectorELNS0_4arch9wavefront6targetE0EEEvSL_.num_vgpr, 0
	.set _ZN7rocprim17ROCPRIM_400000_NS6detail17trampoline_kernelINS0_14default_configENS1_36segmented_radix_sort_config_selectorI12hip_bfloat16lEEZNS1_25segmented_radix_sort_implIS3_Lb1EPKS5_PS5_PKlPlN2at6native12_GLOBAL__N_18offset_tEEE10hipError_tPvRmT1_PNSt15iterator_traitsISL_E10value_typeET2_T3_PNSM_ISR_E10value_typeET4_jRbjT5_SX_jjP12ihipStream_tbEUlT_E2_NS1_11comp_targetILNS1_3genE3ELNS1_11target_archE908ELNS1_3gpuE7ELNS1_3repE0EEENS1_30default_config_static_selectorELNS0_4arch9wavefront6targetE0EEEvSL_.num_agpr, 0
	.set _ZN7rocprim17ROCPRIM_400000_NS6detail17trampoline_kernelINS0_14default_configENS1_36segmented_radix_sort_config_selectorI12hip_bfloat16lEEZNS1_25segmented_radix_sort_implIS3_Lb1EPKS5_PS5_PKlPlN2at6native12_GLOBAL__N_18offset_tEEE10hipError_tPvRmT1_PNSt15iterator_traitsISL_E10value_typeET2_T3_PNSM_ISR_E10value_typeET4_jRbjT5_SX_jjP12ihipStream_tbEUlT_E2_NS1_11comp_targetILNS1_3genE3ELNS1_11target_archE908ELNS1_3gpuE7ELNS1_3repE0EEENS1_30default_config_static_selectorELNS0_4arch9wavefront6targetE0EEEvSL_.numbered_sgpr, 0
	.set _ZN7rocprim17ROCPRIM_400000_NS6detail17trampoline_kernelINS0_14default_configENS1_36segmented_radix_sort_config_selectorI12hip_bfloat16lEEZNS1_25segmented_radix_sort_implIS3_Lb1EPKS5_PS5_PKlPlN2at6native12_GLOBAL__N_18offset_tEEE10hipError_tPvRmT1_PNSt15iterator_traitsISL_E10value_typeET2_T3_PNSM_ISR_E10value_typeET4_jRbjT5_SX_jjP12ihipStream_tbEUlT_E2_NS1_11comp_targetILNS1_3genE3ELNS1_11target_archE908ELNS1_3gpuE7ELNS1_3repE0EEENS1_30default_config_static_selectorELNS0_4arch9wavefront6targetE0EEEvSL_.num_named_barrier, 0
	.set _ZN7rocprim17ROCPRIM_400000_NS6detail17trampoline_kernelINS0_14default_configENS1_36segmented_radix_sort_config_selectorI12hip_bfloat16lEEZNS1_25segmented_radix_sort_implIS3_Lb1EPKS5_PS5_PKlPlN2at6native12_GLOBAL__N_18offset_tEEE10hipError_tPvRmT1_PNSt15iterator_traitsISL_E10value_typeET2_T3_PNSM_ISR_E10value_typeET4_jRbjT5_SX_jjP12ihipStream_tbEUlT_E2_NS1_11comp_targetILNS1_3genE3ELNS1_11target_archE908ELNS1_3gpuE7ELNS1_3repE0EEENS1_30default_config_static_selectorELNS0_4arch9wavefront6targetE0EEEvSL_.private_seg_size, 0
	.set _ZN7rocprim17ROCPRIM_400000_NS6detail17trampoline_kernelINS0_14default_configENS1_36segmented_radix_sort_config_selectorI12hip_bfloat16lEEZNS1_25segmented_radix_sort_implIS3_Lb1EPKS5_PS5_PKlPlN2at6native12_GLOBAL__N_18offset_tEEE10hipError_tPvRmT1_PNSt15iterator_traitsISL_E10value_typeET2_T3_PNSM_ISR_E10value_typeET4_jRbjT5_SX_jjP12ihipStream_tbEUlT_E2_NS1_11comp_targetILNS1_3genE3ELNS1_11target_archE908ELNS1_3gpuE7ELNS1_3repE0EEENS1_30default_config_static_selectorELNS0_4arch9wavefront6targetE0EEEvSL_.uses_vcc, 0
	.set _ZN7rocprim17ROCPRIM_400000_NS6detail17trampoline_kernelINS0_14default_configENS1_36segmented_radix_sort_config_selectorI12hip_bfloat16lEEZNS1_25segmented_radix_sort_implIS3_Lb1EPKS5_PS5_PKlPlN2at6native12_GLOBAL__N_18offset_tEEE10hipError_tPvRmT1_PNSt15iterator_traitsISL_E10value_typeET2_T3_PNSM_ISR_E10value_typeET4_jRbjT5_SX_jjP12ihipStream_tbEUlT_E2_NS1_11comp_targetILNS1_3genE3ELNS1_11target_archE908ELNS1_3gpuE7ELNS1_3repE0EEENS1_30default_config_static_selectorELNS0_4arch9wavefront6targetE0EEEvSL_.uses_flat_scratch, 0
	.set _ZN7rocprim17ROCPRIM_400000_NS6detail17trampoline_kernelINS0_14default_configENS1_36segmented_radix_sort_config_selectorI12hip_bfloat16lEEZNS1_25segmented_radix_sort_implIS3_Lb1EPKS5_PS5_PKlPlN2at6native12_GLOBAL__N_18offset_tEEE10hipError_tPvRmT1_PNSt15iterator_traitsISL_E10value_typeET2_T3_PNSM_ISR_E10value_typeET4_jRbjT5_SX_jjP12ihipStream_tbEUlT_E2_NS1_11comp_targetILNS1_3genE3ELNS1_11target_archE908ELNS1_3gpuE7ELNS1_3repE0EEENS1_30default_config_static_selectorELNS0_4arch9wavefront6targetE0EEEvSL_.has_dyn_sized_stack, 0
	.set _ZN7rocprim17ROCPRIM_400000_NS6detail17trampoline_kernelINS0_14default_configENS1_36segmented_radix_sort_config_selectorI12hip_bfloat16lEEZNS1_25segmented_radix_sort_implIS3_Lb1EPKS5_PS5_PKlPlN2at6native12_GLOBAL__N_18offset_tEEE10hipError_tPvRmT1_PNSt15iterator_traitsISL_E10value_typeET2_T3_PNSM_ISR_E10value_typeET4_jRbjT5_SX_jjP12ihipStream_tbEUlT_E2_NS1_11comp_targetILNS1_3genE3ELNS1_11target_archE908ELNS1_3gpuE7ELNS1_3repE0EEENS1_30default_config_static_selectorELNS0_4arch9wavefront6targetE0EEEvSL_.has_recursion, 0
	.set _ZN7rocprim17ROCPRIM_400000_NS6detail17trampoline_kernelINS0_14default_configENS1_36segmented_radix_sort_config_selectorI12hip_bfloat16lEEZNS1_25segmented_radix_sort_implIS3_Lb1EPKS5_PS5_PKlPlN2at6native12_GLOBAL__N_18offset_tEEE10hipError_tPvRmT1_PNSt15iterator_traitsISL_E10value_typeET2_T3_PNSM_ISR_E10value_typeET4_jRbjT5_SX_jjP12ihipStream_tbEUlT_E2_NS1_11comp_targetILNS1_3genE3ELNS1_11target_archE908ELNS1_3gpuE7ELNS1_3repE0EEENS1_30default_config_static_selectorELNS0_4arch9wavefront6targetE0EEEvSL_.has_indirect_call, 0
	.section	.AMDGPU.csdata,"",@progbits
; Kernel info:
; codeLenInByte = 0
; TotalNumSgprs: 0
; NumVgprs: 0
; ScratchSize: 0
; MemoryBound: 0
; FloatMode: 240
; IeeeMode: 1
; LDSByteSize: 0 bytes/workgroup (compile time only)
; SGPRBlocks: 0
; VGPRBlocks: 0
; NumSGPRsForWavesPerEU: 1
; NumVGPRsForWavesPerEU: 1
; Occupancy: 16
; WaveLimiterHint : 0
; COMPUTE_PGM_RSRC2:SCRATCH_EN: 0
; COMPUTE_PGM_RSRC2:USER_SGPR: 2
; COMPUTE_PGM_RSRC2:TRAP_HANDLER: 0
; COMPUTE_PGM_RSRC2:TGID_X_EN: 1
; COMPUTE_PGM_RSRC2:TGID_Y_EN: 0
; COMPUTE_PGM_RSRC2:TGID_Z_EN: 0
; COMPUTE_PGM_RSRC2:TIDIG_COMP_CNT: 0
	.section	.text._ZN7rocprim17ROCPRIM_400000_NS6detail17trampoline_kernelINS0_14default_configENS1_36segmented_radix_sort_config_selectorI12hip_bfloat16lEEZNS1_25segmented_radix_sort_implIS3_Lb1EPKS5_PS5_PKlPlN2at6native12_GLOBAL__N_18offset_tEEE10hipError_tPvRmT1_PNSt15iterator_traitsISL_E10value_typeET2_T3_PNSM_ISR_E10value_typeET4_jRbjT5_SX_jjP12ihipStream_tbEUlT_E2_NS1_11comp_targetILNS1_3genE2ELNS1_11target_archE906ELNS1_3gpuE6ELNS1_3repE0EEENS1_30default_config_static_selectorELNS0_4arch9wavefront6targetE0EEEvSL_,"axG",@progbits,_ZN7rocprim17ROCPRIM_400000_NS6detail17trampoline_kernelINS0_14default_configENS1_36segmented_radix_sort_config_selectorI12hip_bfloat16lEEZNS1_25segmented_radix_sort_implIS3_Lb1EPKS5_PS5_PKlPlN2at6native12_GLOBAL__N_18offset_tEEE10hipError_tPvRmT1_PNSt15iterator_traitsISL_E10value_typeET2_T3_PNSM_ISR_E10value_typeET4_jRbjT5_SX_jjP12ihipStream_tbEUlT_E2_NS1_11comp_targetILNS1_3genE2ELNS1_11target_archE906ELNS1_3gpuE6ELNS1_3repE0EEENS1_30default_config_static_selectorELNS0_4arch9wavefront6targetE0EEEvSL_,comdat
	.globl	_ZN7rocprim17ROCPRIM_400000_NS6detail17trampoline_kernelINS0_14default_configENS1_36segmented_radix_sort_config_selectorI12hip_bfloat16lEEZNS1_25segmented_radix_sort_implIS3_Lb1EPKS5_PS5_PKlPlN2at6native12_GLOBAL__N_18offset_tEEE10hipError_tPvRmT1_PNSt15iterator_traitsISL_E10value_typeET2_T3_PNSM_ISR_E10value_typeET4_jRbjT5_SX_jjP12ihipStream_tbEUlT_E2_NS1_11comp_targetILNS1_3genE2ELNS1_11target_archE906ELNS1_3gpuE6ELNS1_3repE0EEENS1_30default_config_static_selectorELNS0_4arch9wavefront6targetE0EEEvSL_ ; -- Begin function _ZN7rocprim17ROCPRIM_400000_NS6detail17trampoline_kernelINS0_14default_configENS1_36segmented_radix_sort_config_selectorI12hip_bfloat16lEEZNS1_25segmented_radix_sort_implIS3_Lb1EPKS5_PS5_PKlPlN2at6native12_GLOBAL__N_18offset_tEEE10hipError_tPvRmT1_PNSt15iterator_traitsISL_E10value_typeET2_T3_PNSM_ISR_E10value_typeET4_jRbjT5_SX_jjP12ihipStream_tbEUlT_E2_NS1_11comp_targetILNS1_3genE2ELNS1_11target_archE906ELNS1_3gpuE6ELNS1_3repE0EEENS1_30default_config_static_selectorELNS0_4arch9wavefront6targetE0EEEvSL_
	.p2align	8
	.type	_ZN7rocprim17ROCPRIM_400000_NS6detail17trampoline_kernelINS0_14default_configENS1_36segmented_radix_sort_config_selectorI12hip_bfloat16lEEZNS1_25segmented_radix_sort_implIS3_Lb1EPKS5_PS5_PKlPlN2at6native12_GLOBAL__N_18offset_tEEE10hipError_tPvRmT1_PNSt15iterator_traitsISL_E10value_typeET2_T3_PNSM_ISR_E10value_typeET4_jRbjT5_SX_jjP12ihipStream_tbEUlT_E2_NS1_11comp_targetILNS1_3genE2ELNS1_11target_archE906ELNS1_3gpuE6ELNS1_3repE0EEENS1_30default_config_static_selectorELNS0_4arch9wavefront6targetE0EEEvSL_,@function
_ZN7rocprim17ROCPRIM_400000_NS6detail17trampoline_kernelINS0_14default_configENS1_36segmented_radix_sort_config_selectorI12hip_bfloat16lEEZNS1_25segmented_radix_sort_implIS3_Lb1EPKS5_PS5_PKlPlN2at6native12_GLOBAL__N_18offset_tEEE10hipError_tPvRmT1_PNSt15iterator_traitsISL_E10value_typeET2_T3_PNSM_ISR_E10value_typeET4_jRbjT5_SX_jjP12ihipStream_tbEUlT_E2_NS1_11comp_targetILNS1_3genE2ELNS1_11target_archE906ELNS1_3gpuE6ELNS1_3repE0EEENS1_30default_config_static_selectorELNS0_4arch9wavefront6targetE0EEEvSL_: ; @_ZN7rocprim17ROCPRIM_400000_NS6detail17trampoline_kernelINS0_14default_configENS1_36segmented_radix_sort_config_selectorI12hip_bfloat16lEEZNS1_25segmented_radix_sort_implIS3_Lb1EPKS5_PS5_PKlPlN2at6native12_GLOBAL__N_18offset_tEEE10hipError_tPvRmT1_PNSt15iterator_traitsISL_E10value_typeET2_T3_PNSM_ISR_E10value_typeET4_jRbjT5_SX_jjP12ihipStream_tbEUlT_E2_NS1_11comp_targetILNS1_3genE2ELNS1_11target_archE906ELNS1_3gpuE6ELNS1_3repE0EEENS1_30default_config_static_selectorELNS0_4arch9wavefront6targetE0EEEvSL_
; %bb.0:
	.section	.rodata,"a",@progbits
	.p2align	6, 0x0
	.amdhsa_kernel _ZN7rocprim17ROCPRIM_400000_NS6detail17trampoline_kernelINS0_14default_configENS1_36segmented_radix_sort_config_selectorI12hip_bfloat16lEEZNS1_25segmented_radix_sort_implIS3_Lb1EPKS5_PS5_PKlPlN2at6native12_GLOBAL__N_18offset_tEEE10hipError_tPvRmT1_PNSt15iterator_traitsISL_E10value_typeET2_T3_PNSM_ISR_E10value_typeET4_jRbjT5_SX_jjP12ihipStream_tbEUlT_E2_NS1_11comp_targetILNS1_3genE2ELNS1_11target_archE906ELNS1_3gpuE6ELNS1_3repE0EEENS1_30default_config_static_selectorELNS0_4arch9wavefront6targetE0EEEvSL_
		.amdhsa_group_segment_fixed_size 0
		.amdhsa_private_segment_fixed_size 0
		.amdhsa_kernarg_size 80
		.amdhsa_user_sgpr_count 2
		.amdhsa_user_sgpr_dispatch_ptr 0
		.amdhsa_user_sgpr_queue_ptr 0
		.amdhsa_user_sgpr_kernarg_segment_ptr 1
		.amdhsa_user_sgpr_dispatch_id 0
		.amdhsa_user_sgpr_private_segment_size 0
		.amdhsa_wavefront_size32 1
		.amdhsa_uses_dynamic_stack 0
		.amdhsa_enable_private_segment 0
		.amdhsa_system_sgpr_workgroup_id_x 1
		.amdhsa_system_sgpr_workgroup_id_y 0
		.amdhsa_system_sgpr_workgroup_id_z 0
		.amdhsa_system_sgpr_workgroup_info 0
		.amdhsa_system_vgpr_workitem_id 0
		.amdhsa_next_free_vgpr 1
		.amdhsa_next_free_sgpr 1
		.amdhsa_reserve_vcc 0
		.amdhsa_float_round_mode_32 0
		.amdhsa_float_round_mode_16_64 0
		.amdhsa_float_denorm_mode_32 3
		.amdhsa_float_denorm_mode_16_64 3
		.amdhsa_fp16_overflow 0
		.amdhsa_workgroup_processor_mode 1
		.amdhsa_memory_ordered 1
		.amdhsa_forward_progress 1
		.amdhsa_inst_pref_size 0
		.amdhsa_round_robin_scheduling 0
		.amdhsa_exception_fp_ieee_invalid_op 0
		.amdhsa_exception_fp_denorm_src 0
		.amdhsa_exception_fp_ieee_div_zero 0
		.amdhsa_exception_fp_ieee_overflow 0
		.amdhsa_exception_fp_ieee_underflow 0
		.amdhsa_exception_fp_ieee_inexact 0
		.amdhsa_exception_int_div_zero 0
	.end_amdhsa_kernel
	.section	.text._ZN7rocprim17ROCPRIM_400000_NS6detail17trampoline_kernelINS0_14default_configENS1_36segmented_radix_sort_config_selectorI12hip_bfloat16lEEZNS1_25segmented_radix_sort_implIS3_Lb1EPKS5_PS5_PKlPlN2at6native12_GLOBAL__N_18offset_tEEE10hipError_tPvRmT1_PNSt15iterator_traitsISL_E10value_typeET2_T3_PNSM_ISR_E10value_typeET4_jRbjT5_SX_jjP12ihipStream_tbEUlT_E2_NS1_11comp_targetILNS1_3genE2ELNS1_11target_archE906ELNS1_3gpuE6ELNS1_3repE0EEENS1_30default_config_static_selectorELNS0_4arch9wavefront6targetE0EEEvSL_,"axG",@progbits,_ZN7rocprim17ROCPRIM_400000_NS6detail17trampoline_kernelINS0_14default_configENS1_36segmented_radix_sort_config_selectorI12hip_bfloat16lEEZNS1_25segmented_radix_sort_implIS3_Lb1EPKS5_PS5_PKlPlN2at6native12_GLOBAL__N_18offset_tEEE10hipError_tPvRmT1_PNSt15iterator_traitsISL_E10value_typeET2_T3_PNSM_ISR_E10value_typeET4_jRbjT5_SX_jjP12ihipStream_tbEUlT_E2_NS1_11comp_targetILNS1_3genE2ELNS1_11target_archE906ELNS1_3gpuE6ELNS1_3repE0EEENS1_30default_config_static_selectorELNS0_4arch9wavefront6targetE0EEEvSL_,comdat
.Lfunc_end1980:
	.size	_ZN7rocprim17ROCPRIM_400000_NS6detail17trampoline_kernelINS0_14default_configENS1_36segmented_radix_sort_config_selectorI12hip_bfloat16lEEZNS1_25segmented_radix_sort_implIS3_Lb1EPKS5_PS5_PKlPlN2at6native12_GLOBAL__N_18offset_tEEE10hipError_tPvRmT1_PNSt15iterator_traitsISL_E10value_typeET2_T3_PNSM_ISR_E10value_typeET4_jRbjT5_SX_jjP12ihipStream_tbEUlT_E2_NS1_11comp_targetILNS1_3genE2ELNS1_11target_archE906ELNS1_3gpuE6ELNS1_3repE0EEENS1_30default_config_static_selectorELNS0_4arch9wavefront6targetE0EEEvSL_, .Lfunc_end1980-_ZN7rocprim17ROCPRIM_400000_NS6detail17trampoline_kernelINS0_14default_configENS1_36segmented_radix_sort_config_selectorI12hip_bfloat16lEEZNS1_25segmented_radix_sort_implIS3_Lb1EPKS5_PS5_PKlPlN2at6native12_GLOBAL__N_18offset_tEEE10hipError_tPvRmT1_PNSt15iterator_traitsISL_E10value_typeET2_T3_PNSM_ISR_E10value_typeET4_jRbjT5_SX_jjP12ihipStream_tbEUlT_E2_NS1_11comp_targetILNS1_3genE2ELNS1_11target_archE906ELNS1_3gpuE6ELNS1_3repE0EEENS1_30default_config_static_selectorELNS0_4arch9wavefront6targetE0EEEvSL_
                                        ; -- End function
	.set _ZN7rocprim17ROCPRIM_400000_NS6detail17trampoline_kernelINS0_14default_configENS1_36segmented_radix_sort_config_selectorI12hip_bfloat16lEEZNS1_25segmented_radix_sort_implIS3_Lb1EPKS5_PS5_PKlPlN2at6native12_GLOBAL__N_18offset_tEEE10hipError_tPvRmT1_PNSt15iterator_traitsISL_E10value_typeET2_T3_PNSM_ISR_E10value_typeET4_jRbjT5_SX_jjP12ihipStream_tbEUlT_E2_NS1_11comp_targetILNS1_3genE2ELNS1_11target_archE906ELNS1_3gpuE6ELNS1_3repE0EEENS1_30default_config_static_selectorELNS0_4arch9wavefront6targetE0EEEvSL_.num_vgpr, 0
	.set _ZN7rocprim17ROCPRIM_400000_NS6detail17trampoline_kernelINS0_14default_configENS1_36segmented_radix_sort_config_selectorI12hip_bfloat16lEEZNS1_25segmented_radix_sort_implIS3_Lb1EPKS5_PS5_PKlPlN2at6native12_GLOBAL__N_18offset_tEEE10hipError_tPvRmT1_PNSt15iterator_traitsISL_E10value_typeET2_T3_PNSM_ISR_E10value_typeET4_jRbjT5_SX_jjP12ihipStream_tbEUlT_E2_NS1_11comp_targetILNS1_3genE2ELNS1_11target_archE906ELNS1_3gpuE6ELNS1_3repE0EEENS1_30default_config_static_selectorELNS0_4arch9wavefront6targetE0EEEvSL_.num_agpr, 0
	.set _ZN7rocprim17ROCPRIM_400000_NS6detail17trampoline_kernelINS0_14default_configENS1_36segmented_radix_sort_config_selectorI12hip_bfloat16lEEZNS1_25segmented_radix_sort_implIS3_Lb1EPKS5_PS5_PKlPlN2at6native12_GLOBAL__N_18offset_tEEE10hipError_tPvRmT1_PNSt15iterator_traitsISL_E10value_typeET2_T3_PNSM_ISR_E10value_typeET4_jRbjT5_SX_jjP12ihipStream_tbEUlT_E2_NS1_11comp_targetILNS1_3genE2ELNS1_11target_archE906ELNS1_3gpuE6ELNS1_3repE0EEENS1_30default_config_static_selectorELNS0_4arch9wavefront6targetE0EEEvSL_.numbered_sgpr, 0
	.set _ZN7rocprim17ROCPRIM_400000_NS6detail17trampoline_kernelINS0_14default_configENS1_36segmented_radix_sort_config_selectorI12hip_bfloat16lEEZNS1_25segmented_radix_sort_implIS3_Lb1EPKS5_PS5_PKlPlN2at6native12_GLOBAL__N_18offset_tEEE10hipError_tPvRmT1_PNSt15iterator_traitsISL_E10value_typeET2_T3_PNSM_ISR_E10value_typeET4_jRbjT5_SX_jjP12ihipStream_tbEUlT_E2_NS1_11comp_targetILNS1_3genE2ELNS1_11target_archE906ELNS1_3gpuE6ELNS1_3repE0EEENS1_30default_config_static_selectorELNS0_4arch9wavefront6targetE0EEEvSL_.num_named_barrier, 0
	.set _ZN7rocprim17ROCPRIM_400000_NS6detail17trampoline_kernelINS0_14default_configENS1_36segmented_radix_sort_config_selectorI12hip_bfloat16lEEZNS1_25segmented_radix_sort_implIS3_Lb1EPKS5_PS5_PKlPlN2at6native12_GLOBAL__N_18offset_tEEE10hipError_tPvRmT1_PNSt15iterator_traitsISL_E10value_typeET2_T3_PNSM_ISR_E10value_typeET4_jRbjT5_SX_jjP12ihipStream_tbEUlT_E2_NS1_11comp_targetILNS1_3genE2ELNS1_11target_archE906ELNS1_3gpuE6ELNS1_3repE0EEENS1_30default_config_static_selectorELNS0_4arch9wavefront6targetE0EEEvSL_.private_seg_size, 0
	.set _ZN7rocprim17ROCPRIM_400000_NS6detail17trampoline_kernelINS0_14default_configENS1_36segmented_radix_sort_config_selectorI12hip_bfloat16lEEZNS1_25segmented_radix_sort_implIS3_Lb1EPKS5_PS5_PKlPlN2at6native12_GLOBAL__N_18offset_tEEE10hipError_tPvRmT1_PNSt15iterator_traitsISL_E10value_typeET2_T3_PNSM_ISR_E10value_typeET4_jRbjT5_SX_jjP12ihipStream_tbEUlT_E2_NS1_11comp_targetILNS1_3genE2ELNS1_11target_archE906ELNS1_3gpuE6ELNS1_3repE0EEENS1_30default_config_static_selectorELNS0_4arch9wavefront6targetE0EEEvSL_.uses_vcc, 0
	.set _ZN7rocprim17ROCPRIM_400000_NS6detail17trampoline_kernelINS0_14default_configENS1_36segmented_radix_sort_config_selectorI12hip_bfloat16lEEZNS1_25segmented_radix_sort_implIS3_Lb1EPKS5_PS5_PKlPlN2at6native12_GLOBAL__N_18offset_tEEE10hipError_tPvRmT1_PNSt15iterator_traitsISL_E10value_typeET2_T3_PNSM_ISR_E10value_typeET4_jRbjT5_SX_jjP12ihipStream_tbEUlT_E2_NS1_11comp_targetILNS1_3genE2ELNS1_11target_archE906ELNS1_3gpuE6ELNS1_3repE0EEENS1_30default_config_static_selectorELNS0_4arch9wavefront6targetE0EEEvSL_.uses_flat_scratch, 0
	.set _ZN7rocprim17ROCPRIM_400000_NS6detail17trampoline_kernelINS0_14default_configENS1_36segmented_radix_sort_config_selectorI12hip_bfloat16lEEZNS1_25segmented_radix_sort_implIS3_Lb1EPKS5_PS5_PKlPlN2at6native12_GLOBAL__N_18offset_tEEE10hipError_tPvRmT1_PNSt15iterator_traitsISL_E10value_typeET2_T3_PNSM_ISR_E10value_typeET4_jRbjT5_SX_jjP12ihipStream_tbEUlT_E2_NS1_11comp_targetILNS1_3genE2ELNS1_11target_archE906ELNS1_3gpuE6ELNS1_3repE0EEENS1_30default_config_static_selectorELNS0_4arch9wavefront6targetE0EEEvSL_.has_dyn_sized_stack, 0
	.set _ZN7rocprim17ROCPRIM_400000_NS6detail17trampoline_kernelINS0_14default_configENS1_36segmented_radix_sort_config_selectorI12hip_bfloat16lEEZNS1_25segmented_radix_sort_implIS3_Lb1EPKS5_PS5_PKlPlN2at6native12_GLOBAL__N_18offset_tEEE10hipError_tPvRmT1_PNSt15iterator_traitsISL_E10value_typeET2_T3_PNSM_ISR_E10value_typeET4_jRbjT5_SX_jjP12ihipStream_tbEUlT_E2_NS1_11comp_targetILNS1_3genE2ELNS1_11target_archE906ELNS1_3gpuE6ELNS1_3repE0EEENS1_30default_config_static_selectorELNS0_4arch9wavefront6targetE0EEEvSL_.has_recursion, 0
	.set _ZN7rocprim17ROCPRIM_400000_NS6detail17trampoline_kernelINS0_14default_configENS1_36segmented_radix_sort_config_selectorI12hip_bfloat16lEEZNS1_25segmented_radix_sort_implIS3_Lb1EPKS5_PS5_PKlPlN2at6native12_GLOBAL__N_18offset_tEEE10hipError_tPvRmT1_PNSt15iterator_traitsISL_E10value_typeET2_T3_PNSM_ISR_E10value_typeET4_jRbjT5_SX_jjP12ihipStream_tbEUlT_E2_NS1_11comp_targetILNS1_3genE2ELNS1_11target_archE906ELNS1_3gpuE6ELNS1_3repE0EEENS1_30default_config_static_selectorELNS0_4arch9wavefront6targetE0EEEvSL_.has_indirect_call, 0
	.section	.AMDGPU.csdata,"",@progbits
; Kernel info:
; codeLenInByte = 0
; TotalNumSgprs: 0
; NumVgprs: 0
; ScratchSize: 0
; MemoryBound: 0
; FloatMode: 240
; IeeeMode: 1
; LDSByteSize: 0 bytes/workgroup (compile time only)
; SGPRBlocks: 0
; VGPRBlocks: 0
; NumSGPRsForWavesPerEU: 1
; NumVGPRsForWavesPerEU: 1
; Occupancy: 16
; WaveLimiterHint : 0
; COMPUTE_PGM_RSRC2:SCRATCH_EN: 0
; COMPUTE_PGM_RSRC2:USER_SGPR: 2
; COMPUTE_PGM_RSRC2:TRAP_HANDLER: 0
; COMPUTE_PGM_RSRC2:TGID_X_EN: 1
; COMPUTE_PGM_RSRC2:TGID_Y_EN: 0
; COMPUTE_PGM_RSRC2:TGID_Z_EN: 0
; COMPUTE_PGM_RSRC2:TIDIG_COMP_CNT: 0
	.section	.text._ZN7rocprim17ROCPRIM_400000_NS6detail17trampoline_kernelINS0_14default_configENS1_36segmented_radix_sort_config_selectorI12hip_bfloat16lEEZNS1_25segmented_radix_sort_implIS3_Lb1EPKS5_PS5_PKlPlN2at6native12_GLOBAL__N_18offset_tEEE10hipError_tPvRmT1_PNSt15iterator_traitsISL_E10value_typeET2_T3_PNSM_ISR_E10value_typeET4_jRbjT5_SX_jjP12ihipStream_tbEUlT_E2_NS1_11comp_targetILNS1_3genE10ELNS1_11target_archE1201ELNS1_3gpuE5ELNS1_3repE0EEENS1_30default_config_static_selectorELNS0_4arch9wavefront6targetE0EEEvSL_,"axG",@progbits,_ZN7rocprim17ROCPRIM_400000_NS6detail17trampoline_kernelINS0_14default_configENS1_36segmented_radix_sort_config_selectorI12hip_bfloat16lEEZNS1_25segmented_radix_sort_implIS3_Lb1EPKS5_PS5_PKlPlN2at6native12_GLOBAL__N_18offset_tEEE10hipError_tPvRmT1_PNSt15iterator_traitsISL_E10value_typeET2_T3_PNSM_ISR_E10value_typeET4_jRbjT5_SX_jjP12ihipStream_tbEUlT_E2_NS1_11comp_targetILNS1_3genE10ELNS1_11target_archE1201ELNS1_3gpuE5ELNS1_3repE0EEENS1_30default_config_static_selectorELNS0_4arch9wavefront6targetE0EEEvSL_,comdat
	.globl	_ZN7rocprim17ROCPRIM_400000_NS6detail17trampoline_kernelINS0_14default_configENS1_36segmented_radix_sort_config_selectorI12hip_bfloat16lEEZNS1_25segmented_radix_sort_implIS3_Lb1EPKS5_PS5_PKlPlN2at6native12_GLOBAL__N_18offset_tEEE10hipError_tPvRmT1_PNSt15iterator_traitsISL_E10value_typeET2_T3_PNSM_ISR_E10value_typeET4_jRbjT5_SX_jjP12ihipStream_tbEUlT_E2_NS1_11comp_targetILNS1_3genE10ELNS1_11target_archE1201ELNS1_3gpuE5ELNS1_3repE0EEENS1_30default_config_static_selectorELNS0_4arch9wavefront6targetE0EEEvSL_ ; -- Begin function _ZN7rocprim17ROCPRIM_400000_NS6detail17trampoline_kernelINS0_14default_configENS1_36segmented_radix_sort_config_selectorI12hip_bfloat16lEEZNS1_25segmented_radix_sort_implIS3_Lb1EPKS5_PS5_PKlPlN2at6native12_GLOBAL__N_18offset_tEEE10hipError_tPvRmT1_PNSt15iterator_traitsISL_E10value_typeET2_T3_PNSM_ISR_E10value_typeET4_jRbjT5_SX_jjP12ihipStream_tbEUlT_E2_NS1_11comp_targetILNS1_3genE10ELNS1_11target_archE1201ELNS1_3gpuE5ELNS1_3repE0EEENS1_30default_config_static_selectorELNS0_4arch9wavefront6targetE0EEEvSL_
	.p2align	8
	.type	_ZN7rocprim17ROCPRIM_400000_NS6detail17trampoline_kernelINS0_14default_configENS1_36segmented_radix_sort_config_selectorI12hip_bfloat16lEEZNS1_25segmented_radix_sort_implIS3_Lb1EPKS5_PS5_PKlPlN2at6native12_GLOBAL__N_18offset_tEEE10hipError_tPvRmT1_PNSt15iterator_traitsISL_E10value_typeET2_T3_PNSM_ISR_E10value_typeET4_jRbjT5_SX_jjP12ihipStream_tbEUlT_E2_NS1_11comp_targetILNS1_3genE10ELNS1_11target_archE1201ELNS1_3gpuE5ELNS1_3repE0EEENS1_30default_config_static_selectorELNS0_4arch9wavefront6targetE0EEEvSL_,@function
_ZN7rocprim17ROCPRIM_400000_NS6detail17trampoline_kernelINS0_14default_configENS1_36segmented_radix_sort_config_selectorI12hip_bfloat16lEEZNS1_25segmented_radix_sort_implIS3_Lb1EPKS5_PS5_PKlPlN2at6native12_GLOBAL__N_18offset_tEEE10hipError_tPvRmT1_PNSt15iterator_traitsISL_E10value_typeET2_T3_PNSM_ISR_E10value_typeET4_jRbjT5_SX_jjP12ihipStream_tbEUlT_E2_NS1_11comp_targetILNS1_3genE10ELNS1_11target_archE1201ELNS1_3gpuE5ELNS1_3repE0EEENS1_30default_config_static_selectorELNS0_4arch9wavefront6targetE0EEEvSL_: ; @_ZN7rocprim17ROCPRIM_400000_NS6detail17trampoline_kernelINS0_14default_configENS1_36segmented_radix_sort_config_selectorI12hip_bfloat16lEEZNS1_25segmented_radix_sort_implIS3_Lb1EPKS5_PS5_PKlPlN2at6native12_GLOBAL__N_18offset_tEEE10hipError_tPvRmT1_PNSt15iterator_traitsISL_E10value_typeET2_T3_PNSM_ISR_E10value_typeET4_jRbjT5_SX_jjP12ihipStream_tbEUlT_E2_NS1_11comp_targetILNS1_3genE10ELNS1_11target_archE1201ELNS1_3gpuE5ELNS1_3repE0EEENS1_30default_config_static_selectorELNS0_4arch9wavefront6targetE0EEEvSL_
; %bb.0:
	s_load_b128 s[4:7], s[0:1], 0x34
	s_mov_b32 s32, 0
	s_wait_kmcnt 0x0
	s_add_co_i32 s33, s5, ttmp9
	s_add_co_i32 s34, s7, ttmp9
	s_mul_i32 s33, s33, s4
	s_mul_i32 s34, s34, s6
	s_delay_alu instid0(SALU_CYCLE_1)
	s_cmp_le_u32 s34, s33
	s_cbranch_scc1 .LBB1981_678
; %bb.1:
	s_clause 0x3
	s_load_b32 s2, s[0:1], 0x30
	s_load_b128 s[24:27], s[0:1], 0x20
	s_load_b96 s[44:46], s[0:1], 0x44
	s_load_b256 s[36:43], s[0:1], 0x0
	s_wait_kmcnt 0x0
	s_bitcmp1_b32 s2, 0
	s_mov_b32 s2, -1
	s_cselect_b32 s35, -1, 0
	s_sub_co_i32 s47, s34, s33
	s_delay_alu instid0(SALU_CYCLE_1)
	s_cmp_lt_u32 s47, 0x801
	s_cbranch_scc0 .LBB1981_15
; %bb.2:
	s_cmp_lt_u32 s47, 33
	s_cbranch_scc0 .LBB1981_9
; %bb.3:
	s_load_b32 s2, s[0:1], 0x5c
	v_bfe_u32 v1, v0, 10, 10
	v_bfe_u32 v2, v0, 20, 10
	s_mov_b32 s14, exec_lo
	s_wait_kmcnt 0x0
	s_lshr_b32 s3, s2, 16
	s_and_b32 s2, s2, 0xffff
	v_mad_u32_u24 v2, v2, s3, v1
	v_and_b32_e32 v1, 0x3ff, v0
	s_delay_alu instid0(VALU_DEP_1) | instskip(NEXT) | instid1(VALU_DEP_1)
	v_mad_co_u64_u32 v[1:2], null, v2, s2, v[1:2]
	v_cmpx_gt_u32_e32 8, v1
	s_cbranch_execz .LBB1981_8
; %bb.4:
	v_cndmask_b32_e64 v1, 0, 1, s35
	s_and_b32 s2, s44, 1
	s_wait_alu 0xfffe
	s_delay_alu instid0(VALU_DEP_1)
	v_cmp_ne_u32_e32 vcc_lo, s2, v1
	s_mov_b32 s2, -1
	s_cbranch_vccnz .LBB1981_6
; %bb.5:
	s_mov_b64 s[2:3], src_shared_base
	v_dual_mov_b32 v31, v0 :: v_dual_mov_b32 v40, v0
	v_dual_mov_b32 v0, s36 :: v_dual_mov_b32 v1, s37
	v_dual_mov_b32 v2, s40 :: v_dual_mov_b32 v3, s41
	v_dual_mov_b32 v4, s42 :: v_dual_mov_b32 v5, s43
	v_dual_mov_b32 v6, s26 :: v_dual_mov_b32 v7, s27
	v_dual_mov_b32 v8, s33 :: v_dual_mov_b32 v9, s34
	s_wait_alu 0xfffe
	v_dual_mov_b32 v10, 0 :: v_dual_mov_b32 v11, s3
	s_add_nc_u64 s[8:9], s[0:1], 0x50
	s_getpc_b64 s[4:5]
	s_sext_i32_i16 s5, s5
	s_add_co_u32 s4, s4, _ZN7rocprim17ROCPRIM_400000_NS6detail26segmented_warp_sort_helperINS1_20WarpSortHelperConfigILj8ELj4ELj256EEE12hip_bfloat16lLi256ELb1EvE4sortIPKS5_PS5_PKlPlEEvT_T0_T1_T2_jjjjRNS6_12storage_typeE@rel32@lo+8
	s_add_co_ci_u32 s5, s5, _ZN7rocprim17ROCPRIM_400000_NS6detail26segmented_warp_sort_helperINS1_20WarpSortHelperConfigILj8ELj4ELj256EEE12hip_bfloat16lLi256ELb1EvE4sortIPKS5_PS5_PKlPlEEvT_T0_T1_T2_jjjjRNS6_12storage_typeE@rel32@hi+16
	s_mov_b64 s[12:13], s[0:1]
	s_swappc_b64 s[30:31], s[4:5]
	v_mov_b32_e32 v0, v40
	s_mov_b64 s[0:1], s[12:13]
	s_mov_b32 s2, 0
.LBB1981_6:
	s_wait_alu 0xfffe
	s_and_not1_b32 vcc_lo, exec_lo, s2
	s_wait_alu 0xfffe
	s_cbranch_vccnz .LBB1981_8
; %bb.7:
	s_mov_b64 s[2:3], src_shared_base
	v_dual_mov_b32 v31, v0 :: v_dual_mov_b32 v40, v0
	v_dual_mov_b32 v0, s36 :: v_dual_mov_b32 v1, s37
	;; [unrolled: 1-line block ×6, first 2 shown]
	s_wait_alu 0xfffe
	v_dual_mov_b32 v10, 0 :: v_dual_mov_b32 v11, s3
	s_add_nc_u64 s[8:9], s[0:1], 0x50
	s_getpc_b64 s[4:5]
	s_wait_alu 0xfffe
	s_sext_i32_i16 s5, s5
	s_add_co_u32 s4, s4, _ZN7rocprim17ROCPRIM_400000_NS6detail26segmented_warp_sort_helperINS1_20WarpSortHelperConfigILj8ELj4ELj256EEE12hip_bfloat16lLi256ELb1EvE4sortIPKS5_PS5_PKlPlEEvT_T0_T1_T2_jjjjRNS6_12storage_typeE@rel32@lo+12
	s_wait_alu 0xfffe
	s_add_co_ci_u32 s5, s5, _ZN7rocprim17ROCPRIM_400000_NS6detail26segmented_warp_sort_helperINS1_20WarpSortHelperConfigILj8ELj4ELj256EEE12hip_bfloat16lLi256ELb1EvE4sortIPKS5_PS5_PKlPlEEvT_T0_T1_T2_jjjjRNS6_12storage_typeE@rel32@hi+24
	s_mov_b64 s[12:13], s[0:1]
	s_wait_alu 0xfffe
	s_swappc_b64 s[30:31], s[4:5]
	v_mov_b32_e32 v0, v40
	s_mov_b64 s[0:1], s[12:13]
.LBB1981_8:
	s_or_b32 exec_lo, exec_lo, s14
	s_mov_b32 s2, 0
.LBB1981_9:
	s_wait_alu 0xfffe
	s_and_not1_b32 vcc_lo, exec_lo, s2
	s_wait_alu 0xfffe
	s_cbranch_vccnz .LBB1981_14
; %bb.10:
	v_cndmask_b32_e64 v1, 0, 1, s35
	s_and_b32 s2, s44, 1
	s_wait_alu 0xfffe
	s_delay_alu instid0(VALU_DEP_1)
	v_cmp_ne_u32_e32 vcc_lo, s2, v1
	s_mov_b32 s2, -1
	s_cbranch_vccnz .LBB1981_12
; %bb.11:
	s_mov_b64 s[2:3], src_shared_base
	v_dual_mov_b32 v31, v0 :: v_dual_mov_b32 v40, v0
	v_dual_mov_b32 v0, s36 :: v_dual_mov_b32 v1, s37
	v_dual_mov_b32 v2, s40 :: v_dual_mov_b32 v3, s41
	v_dual_mov_b32 v4, s42 :: v_dual_mov_b32 v5, s43
	v_dual_mov_b32 v6, s26 :: v_dual_mov_b32 v7, s27
	v_dual_mov_b32 v8, s33 :: v_dual_mov_b32 v9, s34
	v_dual_mov_b32 v10, s45 :: v_dual_mov_b32 v11, s46
	s_wait_alu 0xfffe
	v_dual_mov_b32 v12, 0 :: v_dual_mov_b32 v13, s3
	s_add_nc_u64 s[8:9], s[0:1], 0x50
	s_getpc_b64 s[4:5]
	s_wait_alu 0xfffe
	s_sext_i32_i16 s5, s5
	s_add_co_u32 s4, s4, _ZN7rocprim17ROCPRIM_400000_NS6detail40segmented_radix_sort_single_block_helperI12hip_bfloat16lLj256ELj8ELb1EE4sortIPKS3_PS3_PKlPlEEbT_T0_T1_T2_jjjjRNS4_12storage_typeE@rel32@lo+12
	s_wait_alu 0xfffe
	s_add_co_ci_u32 s5, s5, _ZN7rocprim17ROCPRIM_400000_NS6detail40segmented_radix_sort_single_block_helperI12hip_bfloat16lLj256ELj8ELb1EE4sortIPKS3_PS3_PKlPlEEbT_T0_T1_T2_jjjjRNS4_12storage_typeE@rel32@hi+24
	s_mov_b64 s[22:23], s[0:1]
	s_wait_alu 0xfffe
	s_swappc_b64 s[30:31], s[4:5]
	v_mov_b32_e32 v0, v40
	s_mov_b64 s[0:1], s[22:23]
	s_mov_b32 s2, 0
.LBB1981_12:
	s_wait_alu 0xfffe
	s_and_not1_b32 vcc_lo, exec_lo, s2
	s_wait_alu 0xfffe
	s_cbranch_vccnz .LBB1981_14
; %bb.13:
	s_mov_b64 s[2:3], src_shared_base
	v_dual_mov_b32 v31, v0 :: v_dual_mov_b32 v40, v0
	v_dual_mov_b32 v0, s36 :: v_dual_mov_b32 v1, s37
	;; [unrolled: 1-line block ×7, first 2 shown]
	s_wait_alu 0xfffe
	v_dual_mov_b32 v12, 0 :: v_dual_mov_b32 v13, s3
	s_add_nc_u64 s[8:9], s[0:1], 0x50
	s_getpc_b64 s[4:5]
	s_wait_alu 0xfffe
	s_sext_i32_i16 s5, s5
	s_add_co_u32 s4, s4, _ZN7rocprim17ROCPRIM_400000_NS6detail40segmented_radix_sort_single_block_helperI12hip_bfloat16lLj256ELj8ELb1EE4sortIPKS3_PS3_PKlPlEEbT_T0_T1_T2_jjjjRNS4_12storage_typeE@rel32@lo+12
	s_wait_alu 0xfffe
	s_add_co_ci_u32 s5, s5, _ZN7rocprim17ROCPRIM_400000_NS6detail40segmented_radix_sort_single_block_helperI12hip_bfloat16lLj256ELj8ELb1EE4sortIPKS3_PS3_PKlPlEEbT_T0_T1_T2_jjjjRNS4_12storage_typeE@rel32@hi+24
	s_mov_b64 s[22:23], s[0:1]
	s_wait_alu 0xfffe
	s_swappc_b64 s[30:31], s[4:5]
	v_mov_b32_e32 v0, v40
	s_mov_b64 s[0:1], s[22:23]
.LBB1981_14:
	s_mov_b32 s2, 0
.LBB1981_15:
	s_wait_alu 0xfffe
	s_and_not1_b32 vcc_lo, exec_lo, s2
	s_wait_alu 0xfffe
	s_cbranch_vccnz .LBB1981_678
; %bb.16:
	s_cmp_ge_u32 s45, s46
	s_cbranch_scc1 .LBB1981_678
; %bb.17:
	v_dual_mov_b32 v62, 1 :: v_dual_and_b32 v1, 0x3ff, v0
	v_dual_mov_b32 v3, 0 :: v_dual_and_b32 v2, 3, v0
	v_lshrrev_b32_e32 v5, 3, v0
	s_delay_alu instid0(VALU_DEP_3)
	v_lshlrev_b32_e32 v28, 2, v1
	v_or_b32_e32 v6, 31, v1
	v_lshlrev_b32_e32 v4, 1, v1
	v_lshlrev_b32_e32 v39, 2, v2
	;; [unrolled: 1-line block ×3, first 2 shown]
	v_mad_u32_u24 v40, v1, 12, v28
	v_and_b32_e32 v38, 28, v5
	v_lshlrev_b32_e32 v5, 5, v1
	v_cmp_eq_u32_e64 s3, v1, v6
	v_and_b32_e32 v2, 0x700, v2
	v_mad_u32_u24 v43, v1, 20, v40
	v_mbcnt_lo_u32_b32 v59, -1, 0
	v_add_co_u32 v32, s2, s40, v4
	s_delay_alu instid0(VALU_DEP_4) | instskip(NEXT) | instid1(VALU_DEP_4)
	v_lshlrev_b32_e32 v6, 1, v2
	v_sub_nc_u32_e32 v46, v43, v5
	v_lshlrev_b32_e32 v5, 3, v2
	v_lshlrev_b32_e32 v69, 3, v59
	;; [unrolled: 1-line block ×3, first 2 shown]
	v_or_b32_e32 v66, v59, v2
	v_or_b32_e32 v29, 0x100, v1
	v_add_co_u32 v7, s8, s26, v5
	s_wait_alu 0xf1ff
	v_add_co_ci_u32_e64 v8, null, s27, 0, s8
	v_add_co_u32 v9, s8, s40, v6
	s_wait_alu 0xf1ff
	v_add_co_ci_u32_e64 v10, null, s41, 0, s8
	;; [unrolled: 3-line block ×6, first 2 shown]
	v_add_co_u32 v57, s8, s42, v5
	v_add_co_u32 v83, vcc_lo, v7, v69
	s_wait_alu 0xf1ff
	v_add_co_ci_u32_e64 v58, null, s43, 0, s8
	v_add_co_u32 v60, s8, s36, v6
	s_wait_alu 0xfffd
	v_add_co_ci_u32_e64 v84, null, 0, v8, vcc_lo
	v_add_co_u32 v85, vcc_lo, v9, v77
	v_or_b32_e32 v30, 0x200, v1
	v_or_b32_e32 v31, 0x300, v1
	v_add_co_ci_u32_e64 v33, null, s41, 0, s2
	v_or_b32_e32 v34, 0x400, v1
	v_or_b32_e32 v35, 0x500, v1
	;; [unrolled: 1-line block ×4, first 2 shown]
	v_cmp_gt_u32_e64 s2, 0x100, v1
	v_or_b32_e32 v41, 0x4400, v38
	v_cmp_gt_u32_e64 s4, 8, v1
	v_add_nc_u32_e32 v42, 0x4400, v28
	v_cmp_lt_u32_e64 s5, 31, v1
	v_add_nc_u32_e32 v44, 0x43fc, v38
	v_bfe_u32 v45, v0, 20, 10
	v_bfe_u32 v0, v0, 10, 10
	v_cmp_eq_u32_e64 s6, 0, v1
	v_cmp_ne_u32_e64 s7, 0xff, v1
	v_sub_nc_u32_e32 v47, v46, v4
	v_mul_u32_u24_e32 v48, 6, v1
	s_wait_alu 0xf1ff
	v_add_co_ci_u32_e64 v61, null, s37, 0, s8
	v_and_b32_e32 v63, 15, v59
	v_bfe_i32 v64, v59, 4, 1
	v_and_b32_e32 v65, 16, v59
	v_and_b32_e32 v67, 7, v59
	v_sub_co_u32 v68, s8, v59, 1
	v_or_b32_e32 v70, 32, v66
	v_or_b32_e32 v71, 64, v66
	;; [unrolled: 1-line block ×7, first 2 shown]
	v_add_nc_u32_e32 v78, 0x420, v43
	v_add_nc_u32_e32 v79, 0x428, v43
	v_add_nc_u32_e32 v80, 0x430, v43
	v_add_nc_u32_e32 v81, 0x438, v43
	v_lshlrev_b32_e32 v82, 1, v1
	s_wait_alu 0xfffd
	v_add_co_ci_u32_e64 v86, null, 0, v10, vcc_lo
	s_add_nc_u64 s[28:29], s[0:1], 0x50
	s_mov_b32 s31, 0
	s_mov_b32 s23, s45
	s_branch .LBB1981_20
.LBB1981_18:                            ;   in Loop: Header=BB1981_20 Depth=1
	s_wait_loadcnt_dscnt 0x0
	s_barrier_signal -1
	s_barrier_wait -1
.LBB1981_19:                            ;   in Loop: Header=BB1981_20 Depth=1
	s_add_co_i32 s23, s23, 8
	global_inv scope:SCOPE_SE
	s_wait_alu 0xfffe
	s_cmp_ge_u32 s23, s46
	s_cbranch_scc1 .LBB1981_678
.LBB1981_20:                            ; =>This Loop Header: Depth=1
                                        ;     Child Loop BB1981_24 Depth 2
                                        ;     Child Loop BB1981_72 Depth 2
	;; [unrolled: 1-line block ×8, first 2 shown]
	s_wait_alu 0xfffe
	s_sub_co_i32 s0, s46, s23
	s_xor_b32 s35, s35, -1
	s_wait_alu 0xfffe
	s_min_u32 s0, s0, 8
	ds_store_2addr_stride64_b32 v28, v3, v3 offset1:4
	s_wait_alu 0xfffe
	s_lshl_b32 s0, -1, s0
	ds_store_2addr_stride64_b32 v28, v3, v3 offset0:8 offset1:12
	s_wait_alu 0xfffe
	s_not_b32 s42, s0
	s_cmp_lg_u32 s23, s45
	s_mov_b32 s0, -1
	s_wait_storecnt_dscnt 0x0
	s_cbranch_scc0 .LBB1981_350
; %bb.21:                               ;   in Loop: Header=BB1981_20 Depth=1
	s_and_b32 vcc_lo, exec_lo, s35
	s_wait_alu 0xfffe
	s_cbranch_vccz .LBB1981_185
; %bb.22:                               ;   in Loop: Header=BB1981_20 Depth=1
	s_mov_b32 s9, s47
	s_mov_b32 s30, s33
	s_barrier_signal -1
	s_barrier_wait -1
	global_inv scope:SCOPE_SE
                                        ; implicit-def: $vgpr2
                                        ; implicit-def: $vgpr4
                                        ; implicit-def: $vgpr5
                                        ; implicit-def: $vgpr6
                                        ; implicit-def: $vgpr7
                                        ; implicit-def: $vgpr8
                                        ; implicit-def: $vgpr9
                                        ; implicit-def: $vgpr10
	s_branch .LBB1981_24
.LBB1981_23:                            ;   in Loop: Header=BB1981_24 Depth=2
	s_wait_alu 0xfffe
	s_or_b32 exec_lo, exec_lo, s0
	s_addk_co_i32 s9, 0xf800
	s_cmp_ge_u32 s10, s34
	s_mov_b32 s30, s10
	s_cbranch_scc1 .LBB1981_60
.LBB1981_24:                            ;   Parent Loop BB1981_20 Depth=1
                                        ; =>  This Inner Loop Header: Depth=2
	s_wait_alu 0xfffe
	s_add_co_i32 s10, s30, 0x800
	s_mov_b32 s0, -1
	s_wait_alu 0xfffe
	s_cmp_gt_u32 s10, s34
                                        ; implicit-def: $vgpr11
                                        ; implicit-def: $vgpr12
                                        ; implicit-def: $vgpr13
                                        ; implicit-def: $vgpr14
                                        ; implicit-def: $vgpr15
                                        ; implicit-def: $vgpr16
                                        ; implicit-def: $vgpr17
                                        ; implicit-def: $vgpr18
	s_cbranch_scc1 .LBB1981_26
; %bb.25:                               ;   in Loop: Header=BB1981_24 Depth=2
	s_lshl_b64 s[0:1], s[30:31], 1
	s_wait_alu 0xfffe
	v_add_co_u32 v18, vcc_lo, v32, s0
	s_wait_alu 0xfffd
	v_add_co_ci_u32_e64 v19, null, s1, v33, vcc_lo
	s_mov_b32 s0, 0
	s_clause 0x7
	global_load_u16 v11, v[18:19], off
	global_load_u16 v12, v[18:19], off offset:512
	global_load_u16 v13, v[18:19], off offset:1024
	;; [unrolled: 1-line block ×7, first 2 shown]
.LBB1981_26:                            ;   in Loop: Header=BB1981_24 Depth=2
	s_wait_alu 0xfffe
	s_and_not1_b32 vcc_lo, exec_lo, s0
	s_movk_i32 s0, 0x800
	s_wait_alu 0xfffe
	s_cbranch_vccnz .LBB1981_37
; %bb.27:                               ;   in Loop: Header=BB1981_24 Depth=2
	s_lshl_b64 s[0:1], s[30:31], 1
	s_mov_b32 s11, exec_lo
	s_wait_alu 0xfffe
	s_add_nc_u64 s[0:1], s[40:41], s[0:1]
	v_cmpx_gt_u32_e64 s9, v1
	s_cbranch_execnz .LBB1981_53
; %bb.28:                               ;   in Loop: Header=BB1981_24 Depth=2
	s_or_b32 exec_lo, exec_lo, s11
	s_delay_alu instid0(SALU_CYCLE_1)
	s_mov_b32 s11, exec_lo
	v_cmpx_gt_u32_e64 s9, v29
	s_cbranch_execnz .LBB1981_54
.LBB1981_29:                            ;   in Loop: Header=BB1981_24 Depth=2
	s_wait_alu 0xfffe
	s_or_b32 exec_lo, exec_lo, s11
	s_delay_alu instid0(SALU_CYCLE_1)
	s_mov_b32 s11, exec_lo
	v_cmpx_gt_u32_e64 s9, v30
	s_cbranch_execnz .LBB1981_55
.LBB1981_30:                            ;   in Loop: Header=BB1981_24 Depth=2
	s_wait_alu 0xfffe
	s_or_b32 exec_lo, exec_lo, s11
	s_delay_alu instid0(SALU_CYCLE_1)
	s_mov_b32 s11, exec_lo
	v_cmpx_gt_u32_e64 s9, v31
	s_cbranch_execnz .LBB1981_56
.LBB1981_31:                            ;   in Loop: Header=BB1981_24 Depth=2
	s_wait_alu 0xfffe
	s_or_b32 exec_lo, exec_lo, s11
	s_delay_alu instid0(SALU_CYCLE_1)
	s_mov_b32 s11, exec_lo
	v_cmpx_gt_u32_e64 s9, v34
	s_cbranch_execnz .LBB1981_57
.LBB1981_32:                            ;   in Loop: Header=BB1981_24 Depth=2
	s_wait_alu 0xfffe
	s_or_b32 exec_lo, exec_lo, s11
	s_delay_alu instid0(SALU_CYCLE_1)
	s_mov_b32 s11, exec_lo
	v_cmpx_gt_u32_e64 s9, v35
	s_cbranch_execnz .LBB1981_58
.LBB1981_33:                            ;   in Loop: Header=BB1981_24 Depth=2
	s_wait_alu 0xfffe
	s_or_b32 exec_lo, exec_lo, s11
	s_delay_alu instid0(SALU_CYCLE_1)
	s_mov_b32 s11, exec_lo
	v_cmpx_gt_u32_e64 s9, v36
	s_cbranch_execnz .LBB1981_59
.LBB1981_34:                            ;   in Loop: Header=BB1981_24 Depth=2
	s_wait_alu 0xfffe
	s_or_b32 exec_lo, exec_lo, s11
	s_delay_alu instid0(SALU_CYCLE_1)
	s_mov_b32 s11, exec_lo
	v_cmpx_gt_u32_e64 s9, v37
	s_cbranch_execz .LBB1981_36
.LBB1981_35:                            ;   in Loop: Header=BB1981_24 Depth=2
	global_load_u16 v2, v82, s[0:1] offset:3584
.LBB1981_36:                            ;   in Loop: Header=BB1981_24 Depth=2
	s_wait_alu 0xfffe
	s_or_b32 exec_lo, exec_lo, s11
	s_wait_loadcnt 0x0
	v_dual_mov_b32 v11, v10 :: v_dual_mov_b32 v12, v9
	v_dual_mov_b32 v13, v8 :: v_dual_mov_b32 v14, v7
	;; [unrolled: 1-line block ×4, first 2 shown]
	s_mov_b32 s0, s9
.LBB1981_37:                            ;   in Loop: Header=BB1981_24 Depth=2
	s_wait_loadcnt 0x0
	s_delay_alu instid0(VALU_DEP_1) | instskip(NEXT) | instid1(VALU_DEP_2)
	v_dual_mov_b32 v2, v18 :: v_dual_mov_b32 v5, v16
	v_dual_mov_b32 v4, v17 :: v_dual_mov_b32 v7, v14
	;; [unrolled: 1-line block ×3, first 2 shown]
	v_mov_b32_e32 v8, v13
	v_mov_b32_e32 v10, v11
	s_mov_b32 s1, exec_lo
	s_wait_alu 0xfffe
	v_cmpx_gt_u32_e64 s0, v1
	s_cbranch_execnz .LBB1981_45
; %bb.38:                               ;   in Loop: Header=BB1981_24 Depth=2
	s_or_b32 exec_lo, exec_lo, s1
	s_delay_alu instid0(SALU_CYCLE_1)
	s_mov_b32 s1, exec_lo
	v_cmpx_gt_u32_e64 s0, v29
	s_cbranch_execnz .LBB1981_46
.LBB1981_39:                            ;   in Loop: Header=BB1981_24 Depth=2
	s_wait_alu 0xfffe
	s_or_b32 exec_lo, exec_lo, s1
	s_delay_alu instid0(SALU_CYCLE_1)
	s_mov_b32 s1, exec_lo
	v_cmpx_gt_u32_e64 s0, v30
	s_cbranch_execnz .LBB1981_47
.LBB1981_40:                            ;   in Loop: Header=BB1981_24 Depth=2
	s_wait_alu 0xfffe
	s_or_b32 exec_lo, exec_lo, s1
	s_delay_alu instid0(SALU_CYCLE_1)
	s_mov_b32 s1, exec_lo
	v_cmpx_gt_u32_e64 s0, v31
	s_cbranch_execnz .LBB1981_48
.LBB1981_41:                            ;   in Loop: Header=BB1981_24 Depth=2
	s_wait_alu 0xfffe
	s_or_b32 exec_lo, exec_lo, s1
	s_delay_alu instid0(SALU_CYCLE_1)
	s_mov_b32 s1, exec_lo
	v_cmpx_gt_u32_e64 s0, v34
	s_cbranch_execnz .LBB1981_49
.LBB1981_42:                            ;   in Loop: Header=BB1981_24 Depth=2
	s_wait_alu 0xfffe
	s_or_b32 exec_lo, exec_lo, s1
	s_delay_alu instid0(SALU_CYCLE_1)
	s_mov_b32 s1, exec_lo
	v_cmpx_gt_u32_e64 s0, v35
	s_cbranch_execnz .LBB1981_50
.LBB1981_43:                            ;   in Loop: Header=BB1981_24 Depth=2
	s_wait_alu 0xfffe
	s_or_b32 exec_lo, exec_lo, s1
	s_delay_alu instid0(SALU_CYCLE_1)
	s_mov_b32 s1, exec_lo
	v_cmpx_gt_u32_e64 s0, v36
	s_cbranch_execnz .LBB1981_51
.LBB1981_44:                            ;   in Loop: Header=BB1981_24 Depth=2
	s_wait_alu 0xfffe
	s_or_b32 exec_lo, exec_lo, s1
	v_cmp_gt_u32_e32 vcc_lo, s0, v37
	s_and_saveexec_b32 s0, vcc_lo
	s_cbranch_execz .LBB1981_23
	s_branch .LBB1981_52
.LBB1981_45:                            ;   in Loop: Header=BB1981_24 Depth=2
	v_cmp_gt_i16_e32 vcc_lo, 0, v10
	s_wait_alu 0xfffd
	v_cndmask_b32_e64 v11, 0x7fff, 0, vcc_lo
	s_delay_alu instid0(VALU_DEP_1) | instskip(NEXT) | instid1(VALU_DEP_1)
	v_xor_b32_e32 v11, v11, v10
	v_cmp_ne_u16_e32 vcc_lo, 0x8000, v11
	s_wait_alu 0xfffd
	v_cndmask_b32_e32 v11, 0x7fff, v11, vcc_lo
	s_delay_alu instid0(VALU_DEP_1) | instskip(NEXT) | instid1(VALU_DEP_1)
	v_and_b32_e32 v11, 0xffff, v11
	v_lshrrev_b32_e32 v11, s23, v11
	s_delay_alu instid0(VALU_DEP_1) | instskip(NEXT) | instid1(VALU_DEP_1)
	v_and_b32_e32 v11, s42, v11
	v_lshl_or_b32 v11, v11, 4, v39
	ds_add_u32 v11, v62
	s_or_b32 exec_lo, exec_lo, s1
	s_delay_alu instid0(SALU_CYCLE_1)
	s_mov_b32 s1, exec_lo
	v_cmpx_gt_u32_e64 s0, v29
	s_cbranch_execz .LBB1981_39
.LBB1981_46:                            ;   in Loop: Header=BB1981_24 Depth=2
	v_cmp_gt_i16_e32 vcc_lo, 0, v9
	s_wait_alu 0xfffd
	v_cndmask_b32_e64 v11, 0x7fff, 0, vcc_lo
	s_delay_alu instid0(VALU_DEP_1) | instskip(NEXT) | instid1(VALU_DEP_1)
	v_xor_b32_e32 v11, v11, v9
	v_cmp_ne_u16_e32 vcc_lo, 0x8000, v11
	s_wait_alu 0xfffd
	v_cndmask_b32_e32 v11, 0x7fff, v11, vcc_lo
	s_delay_alu instid0(VALU_DEP_1) | instskip(NEXT) | instid1(VALU_DEP_1)
	v_and_b32_e32 v11, 0xffff, v11
	v_lshrrev_b32_e32 v11, s23, v11
	s_delay_alu instid0(VALU_DEP_1) | instskip(NEXT) | instid1(VALU_DEP_1)
	v_and_b32_e32 v11, s42, v11
	v_lshl_or_b32 v11, v11, 4, v39
	ds_add_u32 v11, v62
	s_wait_alu 0xfffe
	s_or_b32 exec_lo, exec_lo, s1
	s_delay_alu instid0(SALU_CYCLE_1)
	s_mov_b32 s1, exec_lo
	v_cmpx_gt_u32_e64 s0, v30
	s_cbranch_execz .LBB1981_40
.LBB1981_47:                            ;   in Loop: Header=BB1981_24 Depth=2
	v_cmp_gt_i16_e32 vcc_lo, 0, v8
	s_wait_alu 0xfffd
	v_cndmask_b32_e64 v11, 0x7fff, 0, vcc_lo
	s_delay_alu instid0(VALU_DEP_1) | instskip(NEXT) | instid1(VALU_DEP_1)
	v_xor_b32_e32 v11, v11, v8
	v_cmp_ne_u16_e32 vcc_lo, 0x8000, v11
	s_wait_alu 0xfffd
	v_cndmask_b32_e32 v11, 0x7fff, v11, vcc_lo
	s_delay_alu instid0(VALU_DEP_1) | instskip(NEXT) | instid1(VALU_DEP_1)
	v_and_b32_e32 v11, 0xffff, v11
	v_lshrrev_b32_e32 v11, s23, v11
	s_delay_alu instid0(VALU_DEP_1) | instskip(NEXT) | instid1(VALU_DEP_1)
	v_and_b32_e32 v11, s42, v11
	v_lshl_or_b32 v11, v11, 4, v39
	ds_add_u32 v11, v62
	s_wait_alu 0xfffe
	s_or_b32 exec_lo, exec_lo, s1
	s_delay_alu instid0(SALU_CYCLE_1)
	s_mov_b32 s1, exec_lo
	v_cmpx_gt_u32_e64 s0, v31
	s_cbranch_execz .LBB1981_41
.LBB1981_48:                            ;   in Loop: Header=BB1981_24 Depth=2
	v_cmp_gt_i16_e32 vcc_lo, 0, v7
	s_wait_alu 0xfffd
	v_cndmask_b32_e64 v11, 0x7fff, 0, vcc_lo
	s_delay_alu instid0(VALU_DEP_1) | instskip(NEXT) | instid1(VALU_DEP_1)
	v_xor_b32_e32 v11, v11, v7
	v_cmp_ne_u16_e32 vcc_lo, 0x8000, v11
	s_wait_alu 0xfffd
	v_cndmask_b32_e32 v11, 0x7fff, v11, vcc_lo
	s_delay_alu instid0(VALU_DEP_1) | instskip(NEXT) | instid1(VALU_DEP_1)
	v_and_b32_e32 v11, 0xffff, v11
	v_lshrrev_b32_e32 v11, s23, v11
	s_delay_alu instid0(VALU_DEP_1) | instskip(NEXT) | instid1(VALU_DEP_1)
	v_and_b32_e32 v11, s42, v11
	v_lshl_or_b32 v11, v11, 4, v39
	ds_add_u32 v11, v62
	s_wait_alu 0xfffe
	s_or_b32 exec_lo, exec_lo, s1
	s_delay_alu instid0(SALU_CYCLE_1)
	s_mov_b32 s1, exec_lo
	v_cmpx_gt_u32_e64 s0, v34
	s_cbranch_execz .LBB1981_42
.LBB1981_49:                            ;   in Loop: Header=BB1981_24 Depth=2
	v_cmp_gt_i16_e32 vcc_lo, 0, v6
	s_wait_alu 0xfffd
	v_cndmask_b32_e64 v11, 0x7fff, 0, vcc_lo
	s_delay_alu instid0(VALU_DEP_1) | instskip(NEXT) | instid1(VALU_DEP_1)
	v_xor_b32_e32 v11, v11, v6
	v_cmp_ne_u16_e32 vcc_lo, 0x8000, v11
	s_wait_alu 0xfffd
	v_cndmask_b32_e32 v11, 0x7fff, v11, vcc_lo
	s_delay_alu instid0(VALU_DEP_1) | instskip(NEXT) | instid1(VALU_DEP_1)
	v_and_b32_e32 v11, 0xffff, v11
	v_lshrrev_b32_e32 v11, s23, v11
	s_delay_alu instid0(VALU_DEP_1) | instskip(NEXT) | instid1(VALU_DEP_1)
	v_and_b32_e32 v11, s42, v11
	v_lshl_or_b32 v11, v11, 4, v39
	ds_add_u32 v11, v62
	s_wait_alu 0xfffe
	s_or_b32 exec_lo, exec_lo, s1
	s_delay_alu instid0(SALU_CYCLE_1)
	s_mov_b32 s1, exec_lo
	v_cmpx_gt_u32_e64 s0, v35
	s_cbranch_execz .LBB1981_43
.LBB1981_50:                            ;   in Loop: Header=BB1981_24 Depth=2
	v_cmp_gt_i16_e32 vcc_lo, 0, v5
	s_wait_alu 0xfffd
	v_cndmask_b32_e64 v11, 0x7fff, 0, vcc_lo
	s_delay_alu instid0(VALU_DEP_1) | instskip(NEXT) | instid1(VALU_DEP_1)
	v_xor_b32_e32 v11, v11, v5
	v_cmp_ne_u16_e32 vcc_lo, 0x8000, v11
	s_wait_alu 0xfffd
	v_cndmask_b32_e32 v11, 0x7fff, v11, vcc_lo
	s_delay_alu instid0(VALU_DEP_1) | instskip(NEXT) | instid1(VALU_DEP_1)
	v_and_b32_e32 v11, 0xffff, v11
	v_lshrrev_b32_e32 v11, s23, v11
	s_delay_alu instid0(VALU_DEP_1) | instskip(NEXT) | instid1(VALU_DEP_1)
	v_and_b32_e32 v11, s42, v11
	v_lshl_or_b32 v11, v11, 4, v39
	ds_add_u32 v11, v62
	s_wait_alu 0xfffe
	s_or_b32 exec_lo, exec_lo, s1
	s_delay_alu instid0(SALU_CYCLE_1)
	s_mov_b32 s1, exec_lo
	v_cmpx_gt_u32_e64 s0, v36
	s_cbranch_execz .LBB1981_44
.LBB1981_51:                            ;   in Loop: Header=BB1981_24 Depth=2
	v_cmp_gt_i16_e32 vcc_lo, 0, v4
	s_wait_alu 0xfffd
	v_cndmask_b32_e64 v11, 0x7fff, 0, vcc_lo
	s_delay_alu instid0(VALU_DEP_1) | instskip(NEXT) | instid1(VALU_DEP_1)
	v_xor_b32_e32 v11, v11, v4
	v_cmp_ne_u16_e32 vcc_lo, 0x8000, v11
	s_wait_alu 0xfffd
	v_cndmask_b32_e32 v11, 0x7fff, v11, vcc_lo
	s_delay_alu instid0(VALU_DEP_1) | instskip(NEXT) | instid1(VALU_DEP_1)
	v_and_b32_e32 v11, 0xffff, v11
	v_lshrrev_b32_e32 v11, s23, v11
	s_delay_alu instid0(VALU_DEP_1) | instskip(NEXT) | instid1(VALU_DEP_1)
	v_and_b32_e32 v11, s42, v11
	v_lshl_or_b32 v11, v11, 4, v39
	ds_add_u32 v11, v62
	s_wait_alu 0xfffe
	s_or_b32 exec_lo, exec_lo, s1
	v_cmp_gt_u32_e32 vcc_lo, s0, v37
	s_and_saveexec_b32 s0, vcc_lo
	s_cbranch_execz .LBB1981_23
.LBB1981_52:                            ;   in Loop: Header=BB1981_24 Depth=2
	v_cmp_gt_i16_e32 vcc_lo, 0, v2
	s_wait_alu 0xfffd
	v_cndmask_b32_e64 v11, 0x7fff, 0, vcc_lo
	s_delay_alu instid0(VALU_DEP_1) | instskip(NEXT) | instid1(VALU_DEP_1)
	v_xor_b32_e32 v11, v11, v2
	v_cmp_ne_u16_e32 vcc_lo, 0x8000, v11
	s_wait_alu 0xfffd
	v_cndmask_b32_e32 v11, 0x7fff, v11, vcc_lo
	s_delay_alu instid0(VALU_DEP_1) | instskip(NEXT) | instid1(VALU_DEP_1)
	v_and_b32_e32 v11, 0xffff, v11
	v_lshrrev_b32_e32 v11, s23, v11
	s_delay_alu instid0(VALU_DEP_1) | instskip(NEXT) | instid1(VALU_DEP_1)
	v_and_b32_e32 v11, s42, v11
	v_lshl_or_b32 v11, v11, 4, v39
	ds_add_u32 v11, v62
	s_branch .LBB1981_23
.LBB1981_53:                            ;   in Loop: Header=BB1981_24 Depth=2
	global_load_u16 v10, v82, s[0:1]
	s_or_b32 exec_lo, exec_lo, s11
	s_delay_alu instid0(SALU_CYCLE_1)
	s_mov_b32 s11, exec_lo
	v_cmpx_gt_u32_e64 s9, v29
	s_cbranch_execz .LBB1981_29
.LBB1981_54:                            ;   in Loop: Header=BB1981_24 Depth=2
	global_load_u16 v9, v82, s[0:1] offset:512
	s_wait_alu 0xfffe
	s_or_b32 exec_lo, exec_lo, s11
	s_delay_alu instid0(SALU_CYCLE_1)
	s_mov_b32 s11, exec_lo
	v_cmpx_gt_u32_e64 s9, v30
	s_cbranch_execz .LBB1981_30
.LBB1981_55:                            ;   in Loop: Header=BB1981_24 Depth=2
	global_load_u16 v8, v82, s[0:1] offset:1024
	s_wait_alu 0xfffe
	s_or_b32 exec_lo, exec_lo, s11
	s_delay_alu instid0(SALU_CYCLE_1)
	s_mov_b32 s11, exec_lo
	v_cmpx_gt_u32_e64 s9, v31
	s_cbranch_execz .LBB1981_31
.LBB1981_56:                            ;   in Loop: Header=BB1981_24 Depth=2
	global_load_u16 v7, v82, s[0:1] offset:1536
	s_wait_alu 0xfffe
	s_or_b32 exec_lo, exec_lo, s11
	s_delay_alu instid0(SALU_CYCLE_1)
	s_mov_b32 s11, exec_lo
	v_cmpx_gt_u32_e64 s9, v34
	s_cbranch_execz .LBB1981_32
.LBB1981_57:                            ;   in Loop: Header=BB1981_24 Depth=2
	global_load_u16 v6, v82, s[0:1] offset:2048
	s_wait_alu 0xfffe
	s_or_b32 exec_lo, exec_lo, s11
	s_delay_alu instid0(SALU_CYCLE_1)
	s_mov_b32 s11, exec_lo
	v_cmpx_gt_u32_e64 s9, v35
	s_cbranch_execz .LBB1981_33
.LBB1981_58:                            ;   in Loop: Header=BB1981_24 Depth=2
	global_load_u16 v5, v82, s[0:1] offset:2560
	s_wait_alu 0xfffe
	s_or_b32 exec_lo, exec_lo, s11
	s_delay_alu instid0(SALU_CYCLE_1)
	s_mov_b32 s11, exec_lo
	v_cmpx_gt_u32_e64 s9, v36
	s_cbranch_execz .LBB1981_34
.LBB1981_59:                            ;   in Loop: Header=BB1981_24 Depth=2
	global_load_u16 v4, v82, s[0:1] offset:3072
	s_wait_alu 0xfffe
	s_or_b32 exec_lo, exec_lo, s11
	s_delay_alu instid0(SALU_CYCLE_1)
	s_mov_b32 s11, exec_lo
	v_cmpx_gt_u32_e64 s9, v37
	s_cbranch_execnz .LBB1981_35
	s_branch .LBB1981_36
.LBB1981_60:                            ;   in Loop: Header=BB1981_20 Depth=1
	v_mov_b32_e32 v2, 0
	s_wait_dscnt 0x0
	s_barrier_signal -1
	s_barrier_wait -1
	global_inv scope:SCOPE_SE
	s_and_saveexec_b32 s0, s2
	s_cbranch_execz .LBB1981_62
; %bb.61:                               ;   in Loop: Header=BB1981_20 Depth=1
	ds_load_2addr_b64 v[4:7], v40 offset1:1
	s_wait_dscnt 0x0
	v_add_nc_u32_e32 v2, v5, v4
	s_delay_alu instid0(VALU_DEP_1)
	v_add3_u32 v2, v2, v6, v7
.LBB1981_62:                            ;   in Loop: Header=BB1981_20 Depth=1
	s_wait_alu 0xfffe
	s_or_b32 exec_lo, exec_lo, s0
	s_delay_alu instid0(VALU_DEP_1)
	v_mov_b32_dpp v4, v2 row_shr:1 row_mask:0xf bank_mask:0xf
	v_cmp_eq_u32_e64 s0, 0, v63
	v_cmp_lt_u32_e64 s1, 1, v63
	v_cmp_lt_u32_e64 s9, 3, v63
	;; [unrolled: 1-line block ×3, first 2 shown]
	v_cmp_eq_u32_e64 s11, 0, v65
	s_wait_alu 0xf1ff
	v_cndmask_b32_e64 v4, v4, 0, s0
	s_delay_alu instid0(VALU_DEP_1) | instskip(NEXT) | instid1(VALU_DEP_1)
	v_add_nc_u32_e32 v2, v4, v2
	v_mov_b32_dpp v4, v2 row_shr:2 row_mask:0xf bank_mask:0xf
	s_delay_alu instid0(VALU_DEP_1) | instskip(NEXT) | instid1(VALU_DEP_1)
	v_cndmask_b32_e64 v4, 0, v4, s1
	v_add_nc_u32_e32 v2, v2, v4
	s_delay_alu instid0(VALU_DEP_1) | instskip(NEXT) | instid1(VALU_DEP_1)
	v_mov_b32_dpp v4, v2 row_shr:4 row_mask:0xf bank_mask:0xf
	v_cndmask_b32_e64 v4, 0, v4, s9
	s_delay_alu instid0(VALU_DEP_1) | instskip(NEXT) | instid1(VALU_DEP_1)
	v_add_nc_u32_e32 v2, v2, v4
	v_mov_b32_dpp v4, v2 row_shr:8 row_mask:0xf bank_mask:0xf
	s_delay_alu instid0(VALU_DEP_1) | instskip(NEXT) | instid1(VALU_DEP_1)
	v_cndmask_b32_e64 v4, 0, v4, s10
	v_add_nc_u32_e32 v2, v2, v4
	ds_swizzle_b32 v4, v2 offset:swizzle(BROADCAST,32,15)
	s_wait_dscnt 0x0
	v_and_b32_e32 v4, v64, v4
	s_delay_alu instid0(VALU_DEP_1)
	v_add_nc_u32_e32 v2, v2, v4
	s_and_saveexec_b32 s12, s3
; %bb.63:                               ;   in Loop: Header=BB1981_20 Depth=1
	ds_store_b32 v41, v2
; %bb.64:                               ;   in Loop: Header=BB1981_20 Depth=1
	s_wait_alu 0xfffe
	s_or_b32 exec_lo, exec_lo, s12
	s_wait_loadcnt_dscnt 0x0
	s_barrier_signal -1
	s_barrier_wait -1
	global_inv scope:SCOPE_SE
	s_and_saveexec_b32 s12, s4
	s_cbranch_execz .LBB1981_66
; %bb.65:                               ;   in Loop: Header=BB1981_20 Depth=1
	ds_load_b32 v4, v42
	v_cmp_ne_u32_e32 vcc_lo, 0, v67
	s_wait_dscnt 0x0
	v_mov_b32_dpp v5, v4 row_shr:1 row_mask:0xf bank_mask:0xf
	s_wait_alu 0xfffd
	s_delay_alu instid0(VALU_DEP_1) | instskip(SKIP_1) | instid1(VALU_DEP_2)
	v_cndmask_b32_e32 v5, 0, v5, vcc_lo
	v_cmp_lt_u32_e32 vcc_lo, 1, v67
	v_add_nc_u32_e32 v4, v5, v4
	s_delay_alu instid0(VALU_DEP_1) | instskip(SKIP_1) | instid1(VALU_DEP_1)
	v_mov_b32_dpp v5, v4 row_shr:2 row_mask:0xf bank_mask:0xf
	s_wait_alu 0xfffd
	v_cndmask_b32_e32 v5, 0, v5, vcc_lo
	v_cmp_lt_u32_e32 vcc_lo, 3, v67
	s_delay_alu instid0(VALU_DEP_2) | instskip(NEXT) | instid1(VALU_DEP_1)
	v_add_nc_u32_e32 v4, v4, v5
	v_mov_b32_dpp v5, v4 row_shr:4 row_mask:0xf bank_mask:0xf
	s_wait_alu 0xfffd
	s_delay_alu instid0(VALU_DEP_1) | instskip(NEXT) | instid1(VALU_DEP_1)
	v_cndmask_b32_e32 v5, 0, v5, vcc_lo
	v_add_nc_u32_e32 v4, v4, v5
	ds_store_b32 v42, v4
.LBB1981_66:                            ;   in Loop: Header=BB1981_20 Depth=1
	s_wait_alu 0xfffe
	s_or_b32 exec_lo, exec_lo, s12
	v_mov_b32_e32 v4, 0
	s_wait_loadcnt_dscnt 0x0
	s_barrier_signal -1
	s_barrier_wait -1
	global_inv scope:SCOPE_SE
	s_and_saveexec_b32 s12, s5
; %bb.67:                               ;   in Loop: Header=BB1981_20 Depth=1
	ds_load_b32 v4, v44
; %bb.68:                               ;   in Loop: Header=BB1981_20 Depth=1
	s_wait_alu 0xfffe
	s_or_b32 exec_lo, exec_lo, s12
	v_cmp_gt_i32_e32 vcc_lo, 0, v68
	s_wait_dscnt 0x0
	v_add_nc_u32_e32 v2, v4, v2
	s_wait_loadcnt 0x0
	s_barrier_signal -1
	s_barrier_wait -1
	s_wait_alu 0xfffd
	v_cndmask_b32_e32 v5, v68, v59, vcc_lo
	global_inv scope:SCOPE_SE
	v_lshlrev_b32_e32 v87, 2, v5
	ds_bpermute_b32 v2, v87, v2
	s_and_saveexec_b32 s12, s2
	s_cbranch_execz .LBB1981_70
; %bb.69:                               ;   in Loop: Header=BB1981_20 Depth=1
	s_wait_dscnt 0x0
	v_cndmask_b32_e64 v2, v2, v4, s8
	s_delay_alu instid0(VALU_DEP_1)
	v_add_nc_u32_e32 v2, s33, v2
	ds_store_b32 v28, v2
.LBB1981_70:                            ;   in Loop: Header=BB1981_20 Depth=1
	s_wait_alu 0xfffe
	s_or_b32 exec_lo, exec_lo, s12
	s_clause 0x1
	s_load_b32 s12, s[28:29], 0x4
	s_load_b32 s14, s[28:29], 0xc
	s_mov_b32 s43, s47
                                        ; implicit-def: $vgpr6_vgpr7
                                        ; implicit-def: $vgpr8_vgpr9
                                        ; implicit-def: $vgpr10_vgpr11
                                        ; implicit-def: $vgpr12_vgpr13
                                        ; implicit-def: $vgpr14_vgpr15
                                        ; implicit-def: $vgpr16_vgpr17
                                        ; implicit-def: $vgpr18_vgpr19
                                        ; implicit-def: $vgpr89
                                        ; implicit-def: $vgpr90
                                        ; implicit-def: $vgpr91
                                        ; implicit-def: $vgpr92
                                        ; implicit-def: $vgpr93
                                        ; implicit-def: $vgpr94
                                        ; implicit-def: $vgpr95
                                        ; implicit-def: $vgpr96
	s_wait_kmcnt 0x0
	s_cmp_lt_u32 ttmp7, s12
	s_cselect_b32 s30, 14, 20
	s_wait_alu 0xfffe
	s_add_nc_u64 s[12:13], s[28:29], s[30:31]
	s_mov_b32 s30, s33
	s_load_u16 s12, s[12:13], 0x0
	v_cmp_lt_u32_e64 s13, 1, v67
	s_wait_dscnt 0x0
	s_wait_kmcnt 0x0
	v_mad_u32_u24 v2, v45, s12, v0
	s_and_b32 s12, s14, 0xffff
	v_cmp_lt_u32_e64 s14, 3, v67
	s_wait_alu 0xfffe
	s_delay_alu instid0(VALU_DEP_2) | instskip(SKIP_1) | instid1(VALU_DEP_2)
	v_mad_co_u64_u32 v[4:5], null, v2, s12, v[1:2]
	v_cmp_eq_u32_e64 s12, 0, v67
	v_lshrrev_b32_e32 v2, 3, v4
                                        ; implicit-def: $vgpr4_vgpr5
	s_delay_alu instid0(VALU_DEP_1)
	v_and_b32_e32 v88, 0x1ffffffc, v2
	s_branch .LBB1981_72
.LBB1981_71:                            ;   in Loop: Header=BB1981_72 Depth=2
	s_wait_alu 0xfffe
	s_or_b32 exec_lo, exec_lo, s15
	s_addk_co_i32 s43, 0xf800
	s_cmp_lt_u32 s44, s34
	s_mov_b32 s30, s44
	s_cbranch_scc0 .LBB1981_184
.LBB1981_72:                            ;   Parent Loop BB1981_20 Depth=1
                                        ; =>  This Inner Loop Header: Depth=2
	s_wait_alu 0xfffe
	s_add_co_i32 s44, s30, 0x800
	s_wait_alu 0xfffe
	s_cmp_gt_u32 s44, s34
	s_cbranch_scc1 .LBB1981_74
; %bb.73:                               ;   in Loop: Header=BB1981_72 Depth=2
	s_lshl_b64 s[16:17], s[30:31], 1
	s_mov_b32 s15, -1
	s_wait_alu 0xfffe
	v_add_co_u32 v20, vcc_lo, v85, s16
	s_wait_alu 0xfffd
	v_add_co_ci_u32_e64 v21, null, s17, v86, vcc_lo
	s_clause 0x6
	global_load_u16 v2, v[20:21], off
	global_load_u16 v27, v[20:21], off offset:64
	global_load_u16 v26, v[20:21], off offset:128
	;; [unrolled: 1-line block ×6, first 2 shown]
	s_movk_i32 s16, 0x800
	s_cbranch_execz .LBB1981_75
	s_branch .LBB1981_90
.LBB1981_74:                            ;   in Loop: Header=BB1981_72 Depth=2
	s_mov_b32 s15, 0
                                        ; implicit-def: $vgpr2
                                        ; implicit-def: $vgpr27
                                        ; implicit-def: $vgpr26
                                        ; implicit-def: $vgpr25
                                        ; implicit-def: $vgpr24
                                        ; implicit-def: $vgpr23
                                        ; implicit-def: $vgpr22
	s_movk_i32 s16, 0x800
.LBB1981_75:                            ;   in Loop: Header=BB1981_72 Depth=2
	s_lshl_b64 s[16:17], s[30:31], 1
	s_wait_loadcnt 0x5
	v_dual_mov_b32 v27, -1 :: v_dual_mov_b32 v2, -1
	s_wait_alu 0xfffe
	v_add_co_u32 v20, vcc_lo, v85, s16
	s_wait_alu 0xfffd
	v_add_co_ci_u32_e64 v21, null, s17, v86, vcc_lo
	s_mov_b32 s15, exec_lo
	v_cmpx_gt_u32_e64 s43, v66
	s_cbranch_execz .LBB1981_77
; %bb.76:                               ;   in Loop: Header=BB1981_72 Depth=2
	global_load_u16 v2, v[20:21], off
.LBB1981_77:                            ;   in Loop: Header=BB1981_72 Depth=2
	s_wait_alu 0xfffe
	s_or_b32 exec_lo, exec_lo, s15
	s_delay_alu instid0(SALU_CYCLE_1)
	s_mov_b32 s15, exec_lo
	v_cmpx_gt_u32_e64 s43, v70
	s_cbranch_execz .LBB1981_79
; %bb.78:                               ;   in Loop: Header=BB1981_72 Depth=2
	global_load_u16 v27, v[20:21], off offset:64
.LBB1981_79:                            ;   in Loop: Header=BB1981_72 Depth=2
	s_wait_alu 0xfffe
	s_or_b32 exec_lo, exec_lo, s15
	s_wait_loadcnt 0x3
	v_dual_mov_b32 v25, -1 :: v_dual_mov_b32 v26, -1
	s_mov_b32 s15, exec_lo
	v_cmpx_gt_u32_e64 s43, v71
	s_cbranch_execz .LBB1981_81
; %bb.80:                               ;   in Loop: Header=BB1981_72 Depth=2
	global_load_u16 v26, v[20:21], off offset:128
.LBB1981_81:                            ;   in Loop: Header=BB1981_72 Depth=2
	s_wait_alu 0xfffe
	s_or_b32 exec_lo, exec_lo, s15
	s_delay_alu instid0(SALU_CYCLE_1)
	s_mov_b32 s15, exec_lo
	v_cmpx_gt_u32_e64 s43, v72
	s_cbranch_execz .LBB1981_83
; %bb.82:                               ;   in Loop: Header=BB1981_72 Depth=2
	global_load_u16 v25, v[20:21], off offset:192
.LBB1981_83:                            ;   in Loop: Header=BB1981_72 Depth=2
	s_wait_alu 0xfffe
	s_or_b32 exec_lo, exec_lo, s15
	s_wait_loadcnt 0x1
	v_dual_mov_b32 v23, -1 :: v_dual_mov_b32 v24, -1
	s_mov_b32 s15, exec_lo
	v_cmpx_gt_u32_e64 s43, v73
	s_cbranch_execz .LBB1981_85
; %bb.84:                               ;   in Loop: Header=BB1981_72 Depth=2
	global_load_u16 v24, v[20:21], off offset:256
.LBB1981_85:                            ;   in Loop: Header=BB1981_72 Depth=2
	s_wait_alu 0xfffe
	s_or_b32 exec_lo, exec_lo, s15
	s_delay_alu instid0(SALU_CYCLE_1)
	s_mov_b32 s15, exec_lo
	v_cmpx_gt_u32_e64 s43, v74
	s_cbranch_execz .LBB1981_87
; %bb.86:                               ;   in Loop: Header=BB1981_72 Depth=2
	global_load_u16 v23, v[20:21], off offset:320
.LBB1981_87:                            ;   in Loop: Header=BB1981_72 Depth=2
	s_wait_alu 0xfffe
	s_or_b32 exec_lo, exec_lo, s15
	s_wait_loadcnt 0x0
	v_mov_b32_e32 v22, -1
	s_mov_b32 s15, exec_lo
	v_cmpx_gt_u32_e64 s43, v75
	s_cbranch_execz .LBB1981_89
; %bb.88:                               ;   in Loop: Header=BB1981_72 Depth=2
	global_load_u16 v22, v[20:21], off offset:384
.LBB1981_89:                            ;   in Loop: Header=BB1981_72 Depth=2
	s_wait_alu 0xfffe
	s_or_b32 exec_lo, exec_lo, s15
	v_cmp_gt_u32_e64 s15, s43, v76
	s_sub_co_i32 s16, s34, s30
.LBB1981_90:                            ;   in Loop: Header=BB1981_72 Depth=2
	v_dual_mov_b32 v20, -1 :: v_dual_mov_b32 v97, s43
	s_and_saveexec_b32 s17, s15
	s_cbranch_execz .LBB1981_92
; %bb.91:                               ;   in Loop: Header=BB1981_72 Depth=2
	s_lshl_b64 s[18:19], s[30:31], 1
	s_wait_alu 0xfffe
	v_mov_b32_e32 v97, s16
	v_add_co_u32 v20, vcc_lo, v85, s18
	s_wait_alu 0xfffd
	v_add_co_ci_u32_e64 v21, null, s19, v86, vcc_lo
	global_load_u16 v20, v[20:21], off offset:448
.LBB1981_92:                            ;   in Loop: Header=BB1981_72 Depth=2
	s_wait_alu 0xfffe
	s_or_b32 exec_lo, exec_lo, s17
	s_wait_loadcnt 0x6
	v_cmp_gt_i16_e32 vcc_lo, 0, v2
	ds_store_2addr_b32 v81, v3, v3 offset1:1
	ds_store_2addr_b32 v78, v3, v3 offset1:1
	;; [unrolled: 1-line block ×4, first 2 shown]
	ds_store_b32 v43, v3 offset:1088
	s_wait_loadcnt_dscnt 0x0
	s_barrier_signal -1
	s_wait_alu 0xfffd
	v_cndmask_b32_e64 v21, 0x7fff, 0, vcc_lo
	s_barrier_wait -1
	global_inv scope:SCOPE_SE
	; wave barrier
	v_xor_b32_e32 v2, v21, v2
	s_delay_alu instid0(VALU_DEP_1) | instskip(SKIP_2) | instid1(VALU_DEP_1)
	v_cmp_ne_u16_e32 vcc_lo, 0x8000, v2
	s_wait_alu 0xfffd
	v_cndmask_b32_e32 v21, 0x7fff, v2, vcc_lo
	v_and_b32_e32 v21, 0xffff, v21
	s_delay_alu instid0(VALU_DEP_1) | instskip(NEXT) | instid1(VALU_DEP_1)
	v_lshrrev_b32_e32 v21, s23, v21
	v_and_b32_e32 v99, s42, v21
	s_delay_alu instid0(VALU_DEP_1)
	v_and_b32_e32 v21, 1, v99
	v_lshlrev_b32_e32 v98, 30, v99
	v_lshlrev_b32_e32 v100, 29, v99
	;; [unrolled: 1-line block ×4, first 2 shown]
	v_add_co_u32 v21, s15, v21, -1
	s_wait_alu 0xf1ff
	v_cndmask_b32_e64 v102, 0, 1, s15
	v_not_b32_e32 v106, v98
	v_cmp_gt_i32_e64 s15, 0, v98
	v_not_b32_e32 v98, v100
	v_lshlrev_b32_e32 v104, 26, v99
	v_cmp_ne_u32_e32 vcc_lo, 0, v102
	v_ashrrev_i32_e32 v106, 31, v106
	v_lshlrev_b32_e32 v105, 25, v99
	v_ashrrev_i32_e32 v98, 31, v98
	v_lshlrev_b32_e32 v102, 24, v99
	s_wait_alu 0xfffd
	v_xor_b32_e32 v21, vcc_lo, v21
	v_cmp_gt_i32_e32 vcc_lo, 0, v100
	v_not_b32_e32 v100, v101
	s_wait_alu 0xf1ff
	v_xor_b32_e32 v106, s15, v106
	v_cmp_gt_i32_e64 s15, 0, v101
	v_and_b32_e32 v21, exec_lo, v21
	v_not_b32_e32 v101, v103
	v_ashrrev_i32_e32 v100, 31, v100
	s_wait_alu 0xfffd
	v_xor_b32_e32 v98, vcc_lo, v98
	v_cmp_gt_i32_e32 vcc_lo, 0, v103
	v_and_b32_e32 v21, v21, v106
	v_not_b32_e32 v103, v104
	v_ashrrev_i32_e32 v101, 31, v101
	s_wait_alu 0xf1ff
	v_xor_b32_e32 v100, s15, v100
	v_cmp_gt_i32_e64 s15, 0, v104
	v_and_b32_e32 v21, v21, v98
	v_not_b32_e32 v98, v105
	v_ashrrev_i32_e32 v103, 31, v103
	s_wait_alu 0xfffd
	v_xor_b32_e32 v101, vcc_lo, v101
	v_cmp_gt_i32_e32 vcc_lo, 0, v105
	v_and_b32_e32 v21, v21, v100
	v_not_b32_e32 v100, v102
	v_ashrrev_i32_e32 v98, 31, v98
	s_wait_alu 0xf1ff
	v_xor_b32_e32 v103, s15, v103
	v_cmp_gt_i32_e64 s15, 0, v102
	v_and_b32_e32 v21, v21, v101
	v_ashrrev_i32_e32 v100, 31, v100
	s_wait_alu 0xfffd
	v_xor_b32_e32 v98, vcc_lo, v98
	v_mul_u32_u24_e32 v99, 36, v99
	v_and_b32_e32 v21, v21, v103
	s_wait_alu 0xf1ff
	v_xor_b32_e32 v100, s15, v100
	s_delay_alu instid0(VALU_DEP_2) | instskip(NEXT) | instid1(VALU_DEP_1)
	v_and_b32_e32 v21, v21, v98
	v_and_b32_e32 v21, v21, v100
	v_add_nc_u32_e32 v100, v88, v99
	s_delay_alu instid0(VALU_DEP_2) | instskip(SKIP_1) | instid1(VALU_DEP_2)
	v_mbcnt_lo_u32_b32 v98, v21, 0
	v_cmp_ne_u32_e64 s15, 0, v21
	v_cmp_eq_u32_e32 vcc_lo, 0, v98
	s_and_b32 s16, s15, vcc_lo
	s_wait_alu 0xfffe
	s_and_saveexec_b32 s15, s16
; %bb.93:                               ;   in Loop: Header=BB1981_72 Depth=2
	v_bcnt_u32_b32 v21, v21, 0
	ds_store_b32 v100, v21 offset:1056
; %bb.94:                               ;   in Loop: Header=BB1981_72 Depth=2
	s_wait_alu 0xfffe
	s_or_b32 exec_lo, exec_lo, s15
	v_cmp_gt_i16_e32 vcc_lo, 0, v27
	; wave barrier
	s_wait_alu 0xfffd
	v_cndmask_b32_e64 v21, 0x7fff, 0, vcc_lo
	s_delay_alu instid0(VALU_DEP_1) | instskip(NEXT) | instid1(VALU_DEP_1)
	v_xor_b32_e32 v99, v21, v27
	v_cmp_ne_u16_e32 vcc_lo, 0x8000, v99
	s_wait_alu 0xfffd
	v_cndmask_b32_e32 v21, 0x7fff, v99, vcc_lo
	s_delay_alu instid0(VALU_DEP_1) | instskip(NEXT) | instid1(VALU_DEP_1)
	v_and_b32_e32 v21, 0xffff, v21
	v_lshrrev_b32_e32 v21, s23, v21
	s_delay_alu instid0(VALU_DEP_1) | instskip(NEXT) | instid1(VALU_DEP_1)
	v_and_b32_e32 v27, s42, v21
	v_and_b32_e32 v21, 1, v27
	v_lshlrev_b32_e32 v101, 30, v27
	v_lshlrev_b32_e32 v102, 29, v27
	;; [unrolled: 1-line block ×4, first 2 shown]
	v_add_co_u32 v21, s15, v21, -1
	s_wait_alu 0xf1ff
	v_cndmask_b32_e64 v104, 0, 1, s15
	v_not_b32_e32 v108, v101
	v_cmp_gt_i32_e64 s15, 0, v101
	v_not_b32_e32 v101, v102
	v_lshlrev_b32_e32 v106, 26, v27
	v_cmp_ne_u32_e32 vcc_lo, 0, v104
	v_ashrrev_i32_e32 v108, 31, v108
	v_lshlrev_b32_e32 v107, 25, v27
	v_ashrrev_i32_e32 v101, 31, v101
	v_lshlrev_b32_e32 v104, 24, v27
	s_wait_alu 0xfffd
	v_xor_b32_e32 v21, vcc_lo, v21
	v_cmp_gt_i32_e32 vcc_lo, 0, v102
	v_not_b32_e32 v102, v103
	s_wait_alu 0xf1ff
	v_xor_b32_e32 v108, s15, v108
	v_cmp_gt_i32_e64 s15, 0, v103
	v_and_b32_e32 v21, exec_lo, v21
	v_not_b32_e32 v103, v105
	v_ashrrev_i32_e32 v102, 31, v102
	s_wait_alu 0xfffd
	v_xor_b32_e32 v101, vcc_lo, v101
	v_cmp_gt_i32_e32 vcc_lo, 0, v105
	v_and_b32_e32 v21, v21, v108
	v_not_b32_e32 v105, v106
	v_ashrrev_i32_e32 v103, 31, v103
	s_wait_alu 0xf1ff
	v_xor_b32_e32 v102, s15, v102
	v_cmp_gt_i32_e64 s15, 0, v106
	v_and_b32_e32 v21, v21, v101
	v_not_b32_e32 v101, v107
	v_ashrrev_i32_e32 v105, 31, v105
	s_wait_alu 0xfffd
	v_xor_b32_e32 v103, vcc_lo, v103
	v_cmp_gt_i32_e32 vcc_lo, 0, v107
	v_and_b32_e32 v21, v21, v102
	v_not_b32_e32 v102, v104
	v_ashrrev_i32_e32 v101, 31, v101
	s_wait_alu 0xf1ff
	v_xor_b32_e32 v105, s15, v105
	v_cmp_gt_i32_e64 s15, 0, v104
	v_and_b32_e32 v21, v21, v103
	v_ashrrev_i32_e32 v102, 31, v102
	s_wait_alu 0xfffd
	v_xor_b32_e32 v101, vcc_lo, v101
	v_mad_u32_u24 v103, v27, 36, v88
	v_mul_u32_u24_e32 v27, 36, v27
	v_and_b32_e32 v21, v21, v105
	s_wait_alu 0xf1ff
	v_xor_b32_e32 v102, s15, v102
	s_delay_alu instid0(VALU_DEP_3) | instskip(NEXT) | instid1(VALU_DEP_3)
	v_add_nc_u32_e32 v104, v88, v27
	v_and_b32_e32 v21, v21, v101
	ds_load_b32 v101, v103 offset:1056
	; wave barrier
	v_and_b32_e32 v21, v21, v102
	s_delay_alu instid0(VALU_DEP_1) | instskip(SKIP_1) | instid1(VALU_DEP_2)
	v_mbcnt_lo_u32_b32 v102, v21, 0
	v_cmp_ne_u32_e64 s15, 0, v21
	v_cmp_eq_u32_e32 vcc_lo, 0, v102
	s_and_b32 s16, s15, vcc_lo
	s_wait_alu 0xfffe
	s_and_saveexec_b32 s15, s16
	s_cbranch_execz .LBB1981_96
; %bb.95:                               ;   in Loop: Header=BB1981_72 Depth=2
	s_wait_dscnt 0x0
	v_bcnt_u32_b32 v21, v21, v101
	ds_store_b32 v104, v21 offset:1056
.LBB1981_96:                            ;   in Loop: Header=BB1981_72 Depth=2
	s_wait_alu 0xfffe
	s_or_b32 exec_lo, exec_lo, s15
	v_cmp_gt_i16_e32 vcc_lo, 0, v26
	; wave barrier
	s_wait_alu 0xfffd
	v_cndmask_b32_e64 v21, 0x7fff, 0, vcc_lo
	s_delay_alu instid0(VALU_DEP_1) | instskip(NEXT) | instid1(VALU_DEP_1)
	v_xor_b32_e32 v103, v21, v26
	v_cmp_ne_u16_e32 vcc_lo, 0x8000, v103
	s_wait_alu 0xfffd
	v_cndmask_b32_e32 v21, 0x7fff, v103, vcc_lo
	s_delay_alu instid0(VALU_DEP_1) | instskip(NEXT) | instid1(VALU_DEP_1)
	v_and_b32_e32 v21, 0xffff, v21
	v_lshrrev_b32_e32 v21, s23, v21
	s_delay_alu instid0(VALU_DEP_1) | instskip(NEXT) | instid1(VALU_DEP_1)
	v_and_b32_e32 v26, s42, v21
	v_and_b32_e32 v21, 1, v26
	v_lshlrev_b32_e32 v27, 30, v26
	v_lshlrev_b32_e32 v105, 29, v26
	;; [unrolled: 1-line block ×4, first 2 shown]
	v_add_co_u32 v21, s15, v21, -1
	s_wait_alu 0xf1ff
	v_cndmask_b32_e64 v107, 0, 1, s15
	v_not_b32_e32 v111, v27
	v_cmp_gt_i32_e64 s15, 0, v27
	v_not_b32_e32 v27, v105
	v_lshlrev_b32_e32 v109, 26, v26
	v_cmp_ne_u32_e32 vcc_lo, 0, v107
	v_ashrrev_i32_e32 v111, 31, v111
	v_lshlrev_b32_e32 v110, 25, v26
	v_ashrrev_i32_e32 v27, 31, v27
	v_lshlrev_b32_e32 v107, 24, v26
	s_wait_alu 0xfffd
	v_xor_b32_e32 v21, vcc_lo, v21
	v_cmp_gt_i32_e32 vcc_lo, 0, v105
	v_not_b32_e32 v105, v106
	s_wait_alu 0xf1ff
	v_xor_b32_e32 v111, s15, v111
	v_cmp_gt_i32_e64 s15, 0, v106
	v_and_b32_e32 v21, exec_lo, v21
	v_not_b32_e32 v106, v108
	v_ashrrev_i32_e32 v105, 31, v105
	s_wait_alu 0xfffd
	v_xor_b32_e32 v27, vcc_lo, v27
	v_cmp_gt_i32_e32 vcc_lo, 0, v108
	v_and_b32_e32 v21, v21, v111
	v_not_b32_e32 v108, v109
	v_ashrrev_i32_e32 v106, 31, v106
	s_wait_alu 0xf1ff
	v_xor_b32_e32 v105, s15, v105
	v_cmp_gt_i32_e64 s15, 0, v109
	v_and_b32_e32 v21, v21, v27
	v_not_b32_e32 v27, v110
	v_ashrrev_i32_e32 v108, 31, v108
	s_wait_alu 0xfffd
	v_xor_b32_e32 v106, vcc_lo, v106
	v_cmp_gt_i32_e32 vcc_lo, 0, v110
	v_and_b32_e32 v21, v21, v105
	v_not_b32_e32 v105, v107
	v_ashrrev_i32_e32 v27, 31, v27
	s_wait_alu 0xf1ff
	v_xor_b32_e32 v108, s15, v108
	v_cmp_gt_i32_e64 s15, 0, v107
	v_and_b32_e32 v21, v21, v106
	v_ashrrev_i32_e32 v105, 31, v105
	s_wait_alu 0xfffd
	v_xor_b32_e32 v27, vcc_lo, v27
	v_mad_u32_u24 v106, v26, 36, v88
	v_mul_u32_u24_e32 v26, 36, v26
	v_and_b32_e32 v21, v21, v108
	s_wait_alu 0xf1ff
	v_xor_b32_e32 v107, s15, v105
	ds_load_b32 v105, v106 offset:1056
	v_add_nc_u32_e32 v108, v88, v26
	v_and_b32_e32 v21, v21, v27
	; wave barrier
	s_delay_alu instid0(VALU_DEP_1) | instskip(NEXT) | instid1(VALU_DEP_1)
	v_and_b32_e32 v21, v21, v107
	v_mbcnt_lo_u32_b32 v107, v21, 0
	v_cmp_ne_u32_e64 s15, 0, v21
	s_delay_alu instid0(VALU_DEP_2)
	v_cmp_eq_u32_e32 vcc_lo, 0, v107
	s_and_b32 s16, s15, vcc_lo
	s_wait_alu 0xfffe
	s_and_saveexec_b32 s15, s16
	s_cbranch_execz .LBB1981_98
; %bb.97:                               ;   in Loop: Header=BB1981_72 Depth=2
	s_wait_dscnt 0x0
	v_bcnt_u32_b32 v21, v21, v105
	ds_store_b32 v108, v21 offset:1056
.LBB1981_98:                            ;   in Loop: Header=BB1981_72 Depth=2
	s_wait_alu 0xfffe
	s_or_b32 exec_lo, exec_lo, s15
	v_cmp_gt_i16_e32 vcc_lo, 0, v25
	; wave barrier
	s_wait_alu 0xfffd
	v_cndmask_b32_e64 v21, 0x7fff, 0, vcc_lo
	s_delay_alu instid0(VALU_DEP_1) | instskip(NEXT) | instid1(VALU_DEP_1)
	v_xor_b32_e32 v106, v21, v25
	v_cmp_ne_u16_e32 vcc_lo, 0x8000, v106
	s_wait_alu 0xfffd
	v_cndmask_b32_e32 v21, 0x7fff, v106, vcc_lo
	s_delay_alu instid0(VALU_DEP_1) | instskip(NEXT) | instid1(VALU_DEP_1)
	v_and_b32_e32 v21, 0xffff, v21
	v_lshrrev_b32_e32 v21, s23, v21
	s_delay_alu instid0(VALU_DEP_1) | instskip(NEXT) | instid1(VALU_DEP_1)
	v_and_b32_e32 v25, s42, v21
	v_and_b32_e32 v21, 1, v25
	v_lshlrev_b32_e32 v26, 30, v25
	v_lshlrev_b32_e32 v27, 29, v25
	;; [unrolled: 1-line block ×4, first 2 shown]
	v_add_co_u32 v21, s15, v21, -1
	s_wait_alu 0xf1ff
	v_cndmask_b32_e64 v110, 0, 1, s15
	v_not_b32_e32 v114, v26
	v_cmp_gt_i32_e64 s15, 0, v26
	v_not_b32_e32 v26, v27
	v_lshlrev_b32_e32 v112, 26, v25
	v_cmp_ne_u32_e32 vcc_lo, 0, v110
	v_ashrrev_i32_e32 v114, 31, v114
	v_lshlrev_b32_e32 v113, 25, v25
	v_ashrrev_i32_e32 v26, 31, v26
	v_lshlrev_b32_e32 v110, 24, v25
	s_wait_alu 0xfffd
	v_xor_b32_e32 v21, vcc_lo, v21
	v_cmp_gt_i32_e32 vcc_lo, 0, v27
	v_not_b32_e32 v27, v109
	s_wait_alu 0xf1ff
	v_xor_b32_e32 v114, s15, v114
	v_cmp_gt_i32_e64 s15, 0, v109
	v_and_b32_e32 v21, exec_lo, v21
	v_not_b32_e32 v109, v111
	v_ashrrev_i32_e32 v27, 31, v27
	s_wait_alu 0xfffd
	v_xor_b32_e32 v26, vcc_lo, v26
	v_cmp_gt_i32_e32 vcc_lo, 0, v111
	v_and_b32_e32 v21, v21, v114
	v_not_b32_e32 v111, v112
	v_ashrrev_i32_e32 v109, 31, v109
	s_wait_alu 0xf1ff
	v_xor_b32_e32 v27, s15, v27
	v_cmp_gt_i32_e64 s15, 0, v112
	v_and_b32_e32 v21, v21, v26
	v_not_b32_e32 v26, v113
	v_ashrrev_i32_e32 v111, 31, v111
	s_wait_alu 0xfffd
	v_xor_b32_e32 v109, vcc_lo, v109
	v_cmp_gt_i32_e32 vcc_lo, 0, v113
	v_and_b32_e32 v21, v21, v27
	v_not_b32_e32 v27, v110
	v_ashrrev_i32_e32 v26, 31, v26
	s_wait_alu 0xf1ff
	v_xor_b32_e32 v111, s15, v111
	v_cmp_gt_i32_e64 s15, 0, v110
	v_and_b32_e32 v21, v21, v109
	v_ashrrev_i32_e32 v27, 31, v27
	s_wait_alu 0xfffd
	v_xor_b32_e32 v26, vcc_lo, v26
	v_mad_u32_u24 v109, v25, 36, v88
	v_mul_u32_u24_e32 v25, 36, v25
	v_and_b32_e32 v21, v21, v111
	s_wait_alu 0xf1ff
	v_xor_b32_e32 v27, s15, v27
	ds_load_b32 v109, v109 offset:1056
	v_add_nc_u32_e32 v112, v88, v25
	v_and_b32_e32 v21, v21, v26
	; wave barrier
	s_delay_alu instid0(VALU_DEP_1) | instskip(NEXT) | instid1(VALU_DEP_1)
	v_and_b32_e32 v21, v21, v27
	v_mbcnt_lo_u32_b32 v111, v21, 0
	v_cmp_ne_u32_e64 s15, 0, v21
	s_delay_alu instid0(VALU_DEP_2)
	v_cmp_eq_u32_e32 vcc_lo, 0, v111
	s_and_b32 s16, s15, vcc_lo
	s_wait_alu 0xfffe
	s_and_saveexec_b32 s15, s16
	s_cbranch_execz .LBB1981_100
; %bb.99:                               ;   in Loop: Header=BB1981_72 Depth=2
	s_wait_dscnt 0x0
	v_bcnt_u32_b32 v21, v21, v109
	ds_store_b32 v112, v21 offset:1056
.LBB1981_100:                           ;   in Loop: Header=BB1981_72 Depth=2
	s_wait_alu 0xfffe
	s_or_b32 exec_lo, exec_lo, s15
	v_cmp_gt_i16_e32 vcc_lo, 0, v24
	; wave barrier
	s_wait_alu 0xfffd
	v_cndmask_b32_e64 v21, 0x7fff, 0, vcc_lo
	s_delay_alu instid0(VALU_DEP_1) | instskip(NEXT) | instid1(VALU_DEP_1)
	v_xor_b32_e32 v110, v21, v24
	v_cmp_ne_u16_e32 vcc_lo, 0x8000, v110
	s_wait_alu 0xfffd
	v_cndmask_b32_e32 v21, 0x7fff, v110, vcc_lo
	s_delay_alu instid0(VALU_DEP_1) | instskip(NEXT) | instid1(VALU_DEP_1)
	v_and_b32_e32 v21, 0xffff, v21
	v_lshrrev_b32_e32 v21, s23, v21
	s_delay_alu instid0(VALU_DEP_1) | instskip(NEXT) | instid1(VALU_DEP_1)
	v_and_b32_e32 v24, s42, v21
	v_and_b32_e32 v21, 1, v24
	v_lshlrev_b32_e32 v25, 30, v24
	v_lshlrev_b32_e32 v26, 29, v24
	;; [unrolled: 1-line block ×4, first 2 shown]
	v_add_co_u32 v21, s15, v21, -1
	s_wait_alu 0xf1ff
	v_cndmask_b32_e64 v113, 0, 1, s15
	v_not_b32_e32 v117, v25
	v_cmp_gt_i32_e64 s15, 0, v25
	v_not_b32_e32 v25, v26
	v_lshlrev_b32_e32 v115, 26, v24
	v_cmp_ne_u32_e32 vcc_lo, 0, v113
	v_ashrrev_i32_e32 v117, 31, v117
	v_lshlrev_b32_e32 v116, 25, v24
	v_ashrrev_i32_e32 v25, 31, v25
	v_lshlrev_b32_e32 v113, 24, v24
	s_wait_alu 0xfffd
	v_xor_b32_e32 v21, vcc_lo, v21
	v_cmp_gt_i32_e32 vcc_lo, 0, v26
	v_not_b32_e32 v26, v27
	s_wait_alu 0xf1ff
	v_xor_b32_e32 v117, s15, v117
	v_cmp_gt_i32_e64 s15, 0, v27
	v_and_b32_e32 v21, exec_lo, v21
	v_not_b32_e32 v27, v114
	v_ashrrev_i32_e32 v26, 31, v26
	s_wait_alu 0xfffd
	v_xor_b32_e32 v25, vcc_lo, v25
	v_cmp_gt_i32_e32 vcc_lo, 0, v114
	v_and_b32_e32 v21, v21, v117
	v_not_b32_e32 v114, v115
	v_ashrrev_i32_e32 v27, 31, v27
	s_wait_alu 0xf1ff
	v_xor_b32_e32 v26, s15, v26
	v_cmp_gt_i32_e64 s15, 0, v115
	v_and_b32_e32 v21, v21, v25
	v_not_b32_e32 v25, v116
	v_ashrrev_i32_e32 v114, 31, v114
	s_wait_alu 0xfffd
	v_xor_b32_e32 v27, vcc_lo, v27
	v_cmp_gt_i32_e32 vcc_lo, 0, v116
	v_and_b32_e32 v21, v21, v26
	v_not_b32_e32 v26, v113
	v_ashrrev_i32_e32 v25, 31, v25
	s_wait_alu 0xf1ff
	v_xor_b32_e32 v114, s15, v114
	v_cmp_gt_i32_e64 s15, 0, v113
	v_and_b32_e32 v21, v21, v27
	v_ashrrev_i32_e32 v26, 31, v26
	s_wait_alu 0xfffd
	v_xor_b32_e32 v25, vcc_lo, v25
	v_mad_u32_u24 v27, v24, 36, v88
	v_mul_u32_u24_e32 v24, 36, v24
	v_and_b32_e32 v21, v21, v114
	s_wait_alu 0xf1ff
	v_xor_b32_e32 v26, s15, v26
	ds_load_b32 v113, v27 offset:1056
	v_add_nc_u32_e32 v116, v88, v24
	v_and_b32_e32 v21, v21, v25
	; wave barrier
	s_delay_alu instid0(VALU_DEP_1) | instskip(NEXT) | instid1(VALU_DEP_1)
	v_and_b32_e32 v21, v21, v26
	v_mbcnt_lo_u32_b32 v115, v21, 0
	v_cmp_ne_u32_e64 s15, 0, v21
	s_delay_alu instid0(VALU_DEP_2)
	v_cmp_eq_u32_e32 vcc_lo, 0, v115
	s_and_b32 s16, s15, vcc_lo
	s_wait_alu 0xfffe
	s_and_saveexec_b32 s15, s16
	s_cbranch_execz .LBB1981_102
; %bb.101:                              ;   in Loop: Header=BB1981_72 Depth=2
	s_wait_dscnt 0x0
	v_bcnt_u32_b32 v21, v21, v113
	ds_store_b32 v116, v21 offset:1056
.LBB1981_102:                           ;   in Loop: Header=BB1981_72 Depth=2
	s_wait_alu 0xfffe
	s_or_b32 exec_lo, exec_lo, s15
	v_cmp_gt_i16_e32 vcc_lo, 0, v23
	; wave barrier
	s_wait_alu 0xfffd
	v_cndmask_b32_e64 v21, 0x7fff, 0, vcc_lo
	s_delay_alu instid0(VALU_DEP_1) | instskip(NEXT) | instid1(VALU_DEP_1)
	v_xor_b32_e32 v114, v21, v23
	v_cmp_ne_u16_e32 vcc_lo, 0x8000, v114
	s_wait_alu 0xfffd
	v_cndmask_b32_e32 v21, 0x7fff, v114, vcc_lo
	s_delay_alu instid0(VALU_DEP_1) | instskip(NEXT) | instid1(VALU_DEP_1)
	v_and_b32_e32 v21, 0xffff, v21
	v_lshrrev_b32_e32 v21, s23, v21
	s_delay_alu instid0(VALU_DEP_1) | instskip(NEXT) | instid1(VALU_DEP_1)
	v_and_b32_e32 v23, s42, v21
	v_and_b32_e32 v21, 1, v23
	v_lshlrev_b32_e32 v24, 30, v23
	v_lshlrev_b32_e32 v25, 29, v23
	;; [unrolled: 1-line block ×4, first 2 shown]
	v_add_co_u32 v21, s15, v21, -1
	s_wait_alu 0xf1ff
	v_cndmask_b32_e64 v27, 0, 1, s15
	v_not_b32_e32 v120, v24
	v_cmp_gt_i32_e64 s15, 0, v24
	v_not_b32_e32 v24, v25
	v_lshlrev_b32_e32 v118, 26, v23
	v_cmp_ne_u32_e32 vcc_lo, 0, v27
	v_ashrrev_i32_e32 v120, 31, v120
	v_lshlrev_b32_e32 v119, 25, v23
	v_ashrrev_i32_e32 v24, 31, v24
	v_lshlrev_b32_e32 v27, 24, v23
	s_wait_alu 0xfffd
	v_xor_b32_e32 v21, vcc_lo, v21
	v_cmp_gt_i32_e32 vcc_lo, 0, v25
	v_not_b32_e32 v25, v26
	s_wait_alu 0xf1ff
	v_xor_b32_e32 v120, s15, v120
	v_cmp_gt_i32_e64 s15, 0, v26
	v_and_b32_e32 v21, exec_lo, v21
	v_not_b32_e32 v26, v117
	v_ashrrev_i32_e32 v25, 31, v25
	s_wait_alu 0xfffd
	v_xor_b32_e32 v24, vcc_lo, v24
	v_cmp_gt_i32_e32 vcc_lo, 0, v117
	v_and_b32_e32 v21, v21, v120
	v_not_b32_e32 v117, v118
	v_ashrrev_i32_e32 v26, 31, v26
	s_wait_alu 0xf1ff
	v_xor_b32_e32 v25, s15, v25
	v_cmp_gt_i32_e64 s15, 0, v118
	v_and_b32_e32 v21, v21, v24
	v_not_b32_e32 v24, v119
	v_ashrrev_i32_e32 v117, 31, v117
	s_wait_alu 0xfffd
	v_xor_b32_e32 v26, vcc_lo, v26
	v_cmp_gt_i32_e32 vcc_lo, 0, v119
	v_and_b32_e32 v21, v21, v25
	v_not_b32_e32 v25, v27
	v_ashrrev_i32_e32 v24, 31, v24
	s_wait_alu 0xf1ff
	v_xor_b32_e32 v117, s15, v117
	v_cmp_gt_i32_e64 s15, 0, v27
	v_and_b32_e32 v21, v21, v26
	v_ashrrev_i32_e32 v25, 31, v25
	s_wait_alu 0xfffd
	v_xor_b32_e32 v24, vcc_lo, v24
	v_mad_u32_u24 v26, v23, 36, v88
	v_mul_u32_u24_e32 v23, 36, v23
	v_and_b32_e32 v21, v21, v117
	s_wait_alu 0xf1ff
	v_xor_b32_e32 v25, s15, v25
	ds_load_b32 v117, v26 offset:1056
	v_add_nc_u32_e32 v120, v88, v23
	v_and_b32_e32 v21, v21, v24
	; wave barrier
	s_delay_alu instid0(VALU_DEP_1) | instskip(NEXT) | instid1(VALU_DEP_1)
	v_and_b32_e32 v21, v21, v25
	v_mbcnt_lo_u32_b32 v119, v21, 0
	v_cmp_ne_u32_e64 s15, 0, v21
	s_delay_alu instid0(VALU_DEP_2)
	v_cmp_eq_u32_e32 vcc_lo, 0, v119
	s_and_b32 s16, s15, vcc_lo
	s_wait_alu 0xfffe
	s_and_saveexec_b32 s15, s16
	s_cbranch_execz .LBB1981_104
; %bb.103:                              ;   in Loop: Header=BB1981_72 Depth=2
	s_wait_dscnt 0x0
	v_bcnt_u32_b32 v21, v21, v117
	ds_store_b32 v120, v21 offset:1056
.LBB1981_104:                           ;   in Loop: Header=BB1981_72 Depth=2
	s_wait_alu 0xfffe
	s_or_b32 exec_lo, exec_lo, s15
	v_cmp_gt_i16_e32 vcc_lo, 0, v22
	; wave barrier
	s_wait_alu 0xfffd
	v_cndmask_b32_e64 v21, 0x7fff, 0, vcc_lo
	s_delay_alu instid0(VALU_DEP_1) | instskip(NEXT) | instid1(VALU_DEP_1)
	v_xor_b32_e32 v118, v21, v22
	v_cmp_ne_u16_e32 vcc_lo, 0x8000, v118
	s_wait_alu 0xfffd
	v_cndmask_b32_e32 v21, 0x7fff, v118, vcc_lo
	s_delay_alu instid0(VALU_DEP_1) | instskip(NEXT) | instid1(VALU_DEP_1)
	v_and_b32_e32 v21, 0xffff, v21
	v_lshrrev_b32_e32 v21, s23, v21
	s_delay_alu instid0(VALU_DEP_1) | instskip(NEXT) | instid1(VALU_DEP_1)
	v_and_b32_e32 v22, s42, v21
	v_and_b32_e32 v21, 1, v22
	v_lshlrev_b32_e32 v23, 30, v22
	v_lshlrev_b32_e32 v24, 29, v22
	;; [unrolled: 1-line block ×4, first 2 shown]
	v_add_co_u32 v21, s15, v21, -1
	s_wait_alu 0xf1ff
	v_cndmask_b32_e64 v26, 0, 1, s15
	v_not_b32_e32 v123, v23
	v_cmp_gt_i32_e64 s15, 0, v23
	v_not_b32_e32 v23, v24
	v_lshlrev_b32_e32 v121, 26, v22
	v_cmp_ne_u32_e32 vcc_lo, 0, v26
	v_ashrrev_i32_e32 v123, 31, v123
	v_lshlrev_b32_e32 v122, 25, v22
	v_ashrrev_i32_e32 v23, 31, v23
	v_lshlrev_b32_e32 v26, 24, v22
	s_wait_alu 0xfffd
	v_xor_b32_e32 v21, vcc_lo, v21
	v_cmp_gt_i32_e32 vcc_lo, 0, v24
	v_not_b32_e32 v24, v25
	s_wait_alu 0xf1ff
	v_xor_b32_e32 v123, s15, v123
	v_cmp_gt_i32_e64 s15, 0, v25
	v_and_b32_e32 v21, exec_lo, v21
	v_not_b32_e32 v25, v27
	v_ashrrev_i32_e32 v24, 31, v24
	s_wait_alu 0xfffd
	v_xor_b32_e32 v23, vcc_lo, v23
	v_cmp_gt_i32_e32 vcc_lo, 0, v27
	v_and_b32_e32 v21, v21, v123
	v_not_b32_e32 v27, v121
	v_ashrrev_i32_e32 v25, 31, v25
	s_wait_alu 0xf1ff
	v_xor_b32_e32 v24, s15, v24
	v_cmp_gt_i32_e64 s15, 0, v121
	v_and_b32_e32 v21, v21, v23
	v_not_b32_e32 v23, v122
	v_ashrrev_i32_e32 v27, 31, v27
	s_wait_alu 0xfffd
	v_xor_b32_e32 v25, vcc_lo, v25
	v_cmp_gt_i32_e32 vcc_lo, 0, v122
	v_and_b32_e32 v21, v21, v24
	v_not_b32_e32 v24, v26
	v_ashrrev_i32_e32 v23, 31, v23
	s_wait_alu 0xf1ff
	v_xor_b32_e32 v27, s15, v27
	v_cmp_gt_i32_e64 s15, 0, v26
	v_and_b32_e32 v21, v21, v25
	v_ashrrev_i32_e32 v24, 31, v24
	s_wait_alu 0xfffd
	v_xor_b32_e32 v23, vcc_lo, v23
	v_mad_u32_u24 v25, v22, 36, v88
	v_mul_u32_u24_e32 v22, 36, v22
	v_and_b32_e32 v21, v21, v27
	s_wait_alu 0xf1ff
	v_xor_b32_e32 v24, s15, v24
	ds_load_b32 v121, v25 offset:1056
	v_add_nc_u32_e32 v124, v88, v22
	v_and_b32_e32 v21, v21, v23
	; wave barrier
	s_delay_alu instid0(VALU_DEP_1) | instskip(NEXT) | instid1(VALU_DEP_1)
	v_and_b32_e32 v21, v21, v24
	v_mbcnt_lo_u32_b32 v122, v21, 0
	v_cmp_ne_u32_e64 s15, 0, v21
	s_delay_alu instid0(VALU_DEP_2)
	v_cmp_eq_u32_e32 vcc_lo, 0, v122
	s_and_b32 s16, s15, vcc_lo
	s_wait_alu 0xfffe
	s_and_saveexec_b32 s15, s16
	s_cbranch_execz .LBB1981_106
; %bb.105:                              ;   in Loop: Header=BB1981_72 Depth=2
	s_wait_dscnt 0x0
	v_bcnt_u32_b32 v21, v21, v121
	ds_store_b32 v124, v21 offset:1056
.LBB1981_106:                           ;   in Loop: Header=BB1981_72 Depth=2
	s_wait_alu 0xfffe
	s_or_b32 exec_lo, exec_lo, s15
	v_cmp_gt_i16_e32 vcc_lo, 0, v20
	; wave barrier
	s_wait_alu 0xfffd
	v_cndmask_b32_e64 v21, 0x7fff, 0, vcc_lo
	s_delay_alu instid0(VALU_DEP_1) | instskip(NEXT) | instid1(VALU_DEP_1)
	v_xor_b32_e32 v123, v21, v20
	v_cmp_ne_u16_e32 vcc_lo, 0x8000, v123
	s_wait_alu 0xfffd
	v_cndmask_b32_e32 v20, 0x7fff, v123, vcc_lo
	s_delay_alu instid0(VALU_DEP_1) | instskip(NEXT) | instid1(VALU_DEP_1)
	v_and_b32_e32 v20, 0xffff, v20
	v_lshrrev_b32_e32 v20, s23, v20
	s_delay_alu instid0(VALU_DEP_1) | instskip(NEXT) | instid1(VALU_DEP_1)
	v_and_b32_e32 v21, s42, v20
	v_and_b32_e32 v20, 1, v21
	v_lshlrev_b32_e32 v22, 30, v21
	v_lshlrev_b32_e32 v23, 29, v21
	v_lshlrev_b32_e32 v24, 28, v21
	v_lshlrev_b32_e32 v26, 27, v21
	v_add_co_u32 v20, s15, v20, -1
	s_wait_alu 0xf1ff
	v_cndmask_b32_e64 v25, 0, 1, s15
	v_not_b32_e32 v126, v22
	v_cmp_gt_i32_e64 s15, 0, v22
	v_not_b32_e32 v22, v23
	v_lshlrev_b32_e32 v27, 26, v21
	v_cmp_ne_u32_e32 vcc_lo, 0, v25
	v_ashrrev_i32_e32 v126, 31, v126
	v_lshlrev_b32_e32 v125, 25, v21
	v_ashrrev_i32_e32 v22, 31, v22
	v_lshlrev_b32_e32 v25, 24, v21
	s_wait_alu 0xfffd
	v_xor_b32_e32 v20, vcc_lo, v20
	v_cmp_gt_i32_e32 vcc_lo, 0, v23
	v_not_b32_e32 v23, v24
	s_wait_alu 0xf1ff
	v_xor_b32_e32 v126, s15, v126
	v_cmp_gt_i32_e64 s15, 0, v24
	v_and_b32_e32 v20, exec_lo, v20
	v_not_b32_e32 v24, v26
	v_ashrrev_i32_e32 v23, 31, v23
	s_wait_alu 0xfffd
	v_xor_b32_e32 v22, vcc_lo, v22
	v_cmp_gt_i32_e32 vcc_lo, 0, v26
	v_and_b32_e32 v20, v20, v126
	v_not_b32_e32 v26, v27
	v_ashrrev_i32_e32 v24, 31, v24
	s_wait_alu 0xf1ff
	v_xor_b32_e32 v23, s15, v23
	v_cmp_gt_i32_e64 s15, 0, v27
	v_and_b32_e32 v20, v20, v22
	v_not_b32_e32 v22, v125
	v_ashrrev_i32_e32 v26, 31, v26
	s_wait_alu 0xfffd
	v_xor_b32_e32 v24, vcc_lo, v24
	v_cmp_gt_i32_e32 vcc_lo, 0, v125
	v_and_b32_e32 v20, v20, v23
	v_not_b32_e32 v23, v25
	v_ashrrev_i32_e32 v22, 31, v22
	s_wait_alu 0xf1ff
	v_xor_b32_e32 v26, s15, v26
	v_cmp_gt_i32_e64 s15, 0, v25
	v_and_b32_e32 v20, v20, v24
	v_ashrrev_i32_e32 v23, 31, v23
	s_wait_alu 0xfffd
	v_xor_b32_e32 v22, vcc_lo, v22
	v_mad_u32_u24 v24, v21, 36, v88
	v_mul_u32_u24_e32 v21, 36, v21
	v_and_b32_e32 v20, v20, v26
	s_wait_alu 0xf1ff
	v_xor_b32_e32 v23, s15, v23
	ds_load_b32 v125, v24 offset:1056
	v_add_nc_u32_e32 v127, v88, v21
	v_and_b32_e32 v20, v20, v22
	; wave barrier
	s_delay_alu instid0(VALU_DEP_1) | instskip(NEXT) | instid1(VALU_DEP_1)
	v_and_b32_e32 v20, v20, v23
	v_mbcnt_lo_u32_b32 v126, v20, 0
	v_cmp_ne_u32_e64 s15, 0, v20
	s_delay_alu instid0(VALU_DEP_2)
	v_cmp_eq_u32_e32 vcc_lo, 0, v126
	s_and_b32 s16, s15, vcc_lo
	s_wait_alu 0xfffe
	s_and_saveexec_b32 s15, s16
	s_cbranch_execz .LBB1981_108
; %bb.107:                              ;   in Loop: Header=BB1981_72 Depth=2
	s_wait_dscnt 0x0
	v_bcnt_u32_b32 v20, v20, v125
	ds_store_b32 v127, v20 offset:1056
.LBB1981_108:                           ;   in Loop: Header=BB1981_72 Depth=2
	s_wait_alu 0xfffe
	s_or_b32 exec_lo, exec_lo, s15
	; wave barrier
	s_wait_loadcnt_dscnt 0x0
	s_barrier_signal -1
	s_barrier_wait -1
	global_inv scope:SCOPE_SE
	ds_load_2addr_b32 v[26:27], v78 offset1:1
	ds_load_2addr_b32 v[24:25], v79 offset1:1
	;; [unrolled: 1-line block ×4, first 2 shown]
	ds_load_b32 v128, v43 offset:1088
	s_wait_dscnt 0x3
	v_add3_u32 v129, v27, v26, v24
	s_wait_dscnt 0x2
	s_delay_alu instid0(VALU_DEP_1) | instskip(SKIP_1) | instid1(VALU_DEP_1)
	v_add3_u32 v129, v129, v25, v22
	s_wait_dscnt 0x1
	v_add3_u32 v129, v129, v23, v20
	s_wait_dscnt 0x0
	s_delay_alu instid0(VALU_DEP_1) | instskip(NEXT) | instid1(VALU_DEP_1)
	v_add3_u32 v128, v129, v21, v128
	v_mov_b32_dpp v129, v128 row_shr:1 row_mask:0xf bank_mask:0xf
	s_delay_alu instid0(VALU_DEP_1) | instskip(NEXT) | instid1(VALU_DEP_1)
	v_cndmask_b32_e64 v129, v129, 0, s0
	v_add_nc_u32_e32 v128, v129, v128
	s_delay_alu instid0(VALU_DEP_1) | instskip(NEXT) | instid1(VALU_DEP_1)
	v_mov_b32_dpp v129, v128 row_shr:2 row_mask:0xf bank_mask:0xf
	v_cndmask_b32_e64 v129, 0, v129, s1
	s_delay_alu instid0(VALU_DEP_1) | instskip(NEXT) | instid1(VALU_DEP_1)
	v_add_nc_u32_e32 v128, v128, v129
	v_mov_b32_dpp v129, v128 row_shr:4 row_mask:0xf bank_mask:0xf
	s_delay_alu instid0(VALU_DEP_1) | instskip(NEXT) | instid1(VALU_DEP_1)
	v_cndmask_b32_e64 v129, 0, v129, s9
	v_add_nc_u32_e32 v128, v128, v129
	s_delay_alu instid0(VALU_DEP_1) | instskip(NEXT) | instid1(VALU_DEP_1)
	v_mov_b32_dpp v129, v128 row_shr:8 row_mask:0xf bank_mask:0xf
	v_cndmask_b32_e64 v129, 0, v129, s10
	s_delay_alu instid0(VALU_DEP_1) | instskip(SKIP_3) | instid1(VALU_DEP_1)
	v_add_nc_u32_e32 v128, v128, v129
	ds_swizzle_b32 v129, v128 offset:swizzle(BROADCAST,32,15)
	s_wait_dscnt 0x0
	v_cndmask_b32_e64 v129, v129, 0, s11
	v_add_nc_u32_e32 v128, v128, v129
	s_and_saveexec_b32 s15, s3
; %bb.109:                              ;   in Loop: Header=BB1981_72 Depth=2
	ds_store_b32 v38, v128 offset:1024
; %bb.110:                              ;   in Loop: Header=BB1981_72 Depth=2
	s_wait_alu 0xfffe
	s_or_b32 exec_lo, exec_lo, s15
	s_wait_loadcnt_dscnt 0x0
	s_barrier_signal -1
	s_barrier_wait -1
	global_inv scope:SCOPE_SE
	s_and_saveexec_b32 s15, s4
	s_cbranch_execz .LBB1981_112
; %bb.111:                              ;   in Loop: Header=BB1981_72 Depth=2
	ds_load_b32 v129, v46 offset:1024
	s_wait_dscnt 0x0
	v_mov_b32_dpp v130, v129 row_shr:1 row_mask:0xf bank_mask:0xf
	s_delay_alu instid0(VALU_DEP_1) | instskip(NEXT) | instid1(VALU_DEP_1)
	v_cndmask_b32_e64 v130, v130, 0, s12
	v_add_nc_u32_e32 v129, v130, v129
	s_delay_alu instid0(VALU_DEP_1) | instskip(NEXT) | instid1(VALU_DEP_1)
	v_mov_b32_dpp v130, v129 row_shr:2 row_mask:0xf bank_mask:0xf
	v_cndmask_b32_e64 v130, 0, v130, s13
	s_delay_alu instid0(VALU_DEP_1) | instskip(NEXT) | instid1(VALU_DEP_1)
	v_add_nc_u32_e32 v129, v129, v130
	v_mov_b32_dpp v130, v129 row_shr:4 row_mask:0xf bank_mask:0xf
	s_delay_alu instid0(VALU_DEP_1) | instskip(NEXT) | instid1(VALU_DEP_1)
	v_cndmask_b32_e64 v130, 0, v130, s14
	v_add_nc_u32_e32 v129, v129, v130
	ds_store_b32 v46, v129 offset:1024
.LBB1981_112:                           ;   in Loop: Header=BB1981_72 Depth=2
	s_wait_alu 0xfffe
	s_or_b32 exec_lo, exec_lo, s15
	v_mov_b32_e32 v129, 0
	s_wait_loadcnt_dscnt 0x0
	s_barrier_signal -1
	s_barrier_wait -1
	global_inv scope:SCOPE_SE
	s_and_saveexec_b32 s15, s5
; %bb.113:                              ;   in Loop: Header=BB1981_72 Depth=2
	ds_load_b32 v129, v38 offset:1020
; %bb.114:                              ;   in Loop: Header=BB1981_72 Depth=2
	s_wait_alu 0xfffe
	s_or_b32 exec_lo, exec_lo, s15
	s_wait_dscnt 0x0
	v_add_nc_u32_e32 v128, v129, v128
	ds_bpermute_b32 v128, v87, v128
	s_wait_dscnt 0x0
	v_cndmask_b32_e64 v128, v128, v129, s8
	s_delay_alu instid0(VALU_DEP_1) | instskip(NEXT) | instid1(VALU_DEP_1)
	v_cndmask_b32_e64 v128, v128, 0, s6
	v_add_nc_u32_e32 v26, v128, v26
	s_delay_alu instid0(VALU_DEP_1) | instskip(NEXT) | instid1(VALU_DEP_1)
	v_add_nc_u32_e32 v27, v26, v27
	v_add_nc_u32_e32 v24, v27, v24
	s_delay_alu instid0(VALU_DEP_1) | instskip(NEXT) | instid1(VALU_DEP_1)
	v_add_nc_u32_e32 v25, v24, v25
	;; [unrolled: 3-line block ×3, first 2 shown]
	v_add_nc_u32_e32 v20, v23, v20
	s_delay_alu instid0(VALU_DEP_1)
	v_add_nc_u32_e32 v21, v20, v21
	ds_store_2addr_b32 v81, v23, v20 offset1:1
	ds_store_2addr_b32 v78, v128, v26 offset1:1
	ds_store_2addr_b32 v79, v27, v24 offset1:1
	ds_store_2addr_b32 v80, v25, v22 offset1:1
	ds_store_b32 v43, v21 offset:1088
	s_wait_loadcnt_dscnt 0x0
	s_barrier_signal -1
	s_barrier_wait -1
	global_inv scope:SCOPE_SE
	ds_load_b32 v23, v100 offset:1056
	ds_load_b32 v24, v104 offset:1056
	;; [unrolled: 1-line block ×9, first 2 shown]
	v_mov_b32_e32 v22, 0x800
	s_and_saveexec_b32 s15, s7
; %bb.115:                              ;   in Loop: Header=BB1981_72 Depth=2
	ds_load_b32 v22, v43 offset:1092
; %bb.116:                              ;   in Loop: Header=BB1981_72 Depth=2
	s_wait_alu 0xfffe
	s_or_b32 exec_lo, exec_lo, s15
	s_wait_loadcnt_dscnt 0x0
	s_barrier_signal -1
	s_barrier_wait -1
	global_inv scope:SCOPE_SE
	s_and_saveexec_b32 s15, s2
	s_cbranch_execz .LBB1981_118
; %bb.117:                              ;   in Loop: Header=BB1981_72 Depth=2
	ds_load_b32 v104, v28
	s_wait_dscnt 0x0
	v_sub_nc_u32_e32 v100, v104, v100
	ds_store_b32 v28, v100
.LBB1981_118:                           ;   in Loop: Header=BB1981_72 Depth=2
	s_wait_alu 0xfffe
	s_or_b32 exec_lo, exec_lo, s15
	v_add_nc_u32_e32 v104, v23, v98
	v_add3_u32 v100, v102, v101, v24
	v_add3_u32 v98, v107, v105, v25
	;; [unrolled: 1-line block ×4, first 2 shown]
	v_lshlrev_b32_e32 v101, 1, v104
	v_lshlrev_b32_e32 v102, 1, v100
	v_add3_u32 v23, v119, v117, v108
	v_lshlrev_b32_e32 v105, 1, v98
	v_add3_u32 v27, v122, v121, v20
	v_add3_u32 v26, v126, v125, v21
	ds_store_b16 v101, v2 offset:1024
	ds_store_b16 v102, v99 offset:1024
	;; [unrolled: 1-line block ×3, first 2 shown]
	v_lshlrev_b32_e32 v2, 1, v25
	v_cmp_lt_u32_e32 vcc_lo, v1, v97
	v_lshlrev_b32_e32 v20, 1, v24
	v_lshlrev_b32_e32 v21, 1, v23
	;; [unrolled: 1-line block ×4, first 2 shown]
	ds_store_b16 v2, v106 offset:1024
	ds_store_b16 v20, v110 offset:1024
	;; [unrolled: 1-line block ×5, first 2 shown]
	s_wait_loadcnt_dscnt 0x0
	s_barrier_signal -1
	s_barrier_wait -1
	global_inv scope:SCOPE_SE
	s_and_saveexec_b32 s16, vcc_lo
	s_cbranch_execnz .LBB1981_155
; %bb.119:                              ;   in Loop: Header=BB1981_72 Depth=2
	s_wait_alu 0xfffe
	s_or_b32 exec_lo, exec_lo, s16
	v_cmp_lt_u32_e64 s15, v29, v97
	s_and_saveexec_b32 s17, s15
	s_cbranch_execnz .LBB1981_156
.LBB1981_120:                           ;   in Loop: Header=BB1981_72 Depth=2
	s_wait_alu 0xfffe
	s_or_b32 exec_lo, exec_lo, s17
	v_cmp_lt_u32_e64 s16, v30, v97
	s_and_saveexec_b32 s18, s16
	s_cbranch_execnz .LBB1981_157
.LBB1981_121:                           ;   in Loop: Header=BB1981_72 Depth=2
	s_wait_alu 0xfffe
	s_or_b32 exec_lo, exec_lo, s18
	v_cmp_lt_u32_e64 s17, v31, v97
	s_and_saveexec_b32 s19, s17
	s_cbranch_execnz .LBB1981_158
.LBB1981_122:                           ;   in Loop: Header=BB1981_72 Depth=2
	s_wait_alu 0xfffe
	s_or_b32 exec_lo, exec_lo, s19
	v_cmp_lt_u32_e64 s18, v34, v97
	s_and_saveexec_b32 s20, s18
	s_cbranch_execnz .LBB1981_159
.LBB1981_123:                           ;   in Loop: Header=BB1981_72 Depth=2
	s_wait_alu 0xfffe
	s_or_b32 exec_lo, exec_lo, s20
	v_cmp_lt_u32_e64 s19, v35, v97
	s_and_saveexec_b32 s21, s19
	s_cbranch_execnz .LBB1981_160
.LBB1981_124:                           ;   in Loop: Header=BB1981_72 Depth=2
	s_wait_alu 0xfffe
	s_or_b32 exec_lo, exec_lo, s21
	v_cmp_lt_u32_e64 s20, v36, v97
	s_and_saveexec_b32 s22, s20
	s_cbranch_execnz .LBB1981_161
.LBB1981_125:                           ;   in Loop: Header=BB1981_72 Depth=2
	s_wait_alu 0xfffe
	s_or_b32 exec_lo, exec_lo, s22
	v_cmp_lt_u32_e64 s21, v37, v97
	s_and_saveexec_b32 s48, s21
	s_cbranch_execz .LBB1981_127
.LBB1981_126:                           ;   in Loop: Header=BB1981_72 Depth=2
	ds_load_u16 v99, v47 offset:4608
	s_wait_dscnt 0x0
	v_cmp_ne_u16_e64 s22, 0x8000, v99
	s_wait_alu 0xf1ff
	s_delay_alu instid0(VALU_DEP_1) | instskip(SKIP_1) | instid1(VALU_DEP_2)
	v_cndmask_b32_e64 v2, 0x7fff, v99, s22
	v_cmp_gt_i16_e64 s22, 0, v99
	v_and_b32_e32 v2, 0xffff, v2
	s_wait_alu 0xf1ff
	s_delay_alu instid0(VALU_DEP_2) | instskip(NEXT) | instid1(VALU_DEP_2)
	v_cndmask_b32_e64 v101, 0x7fff, 0, s22
	v_lshrrev_b32_e32 v2, s23, v2
	s_delay_alu instid0(VALU_DEP_1) | instskip(NEXT) | instid1(VALU_DEP_1)
	v_and_b32_e32 v2, s42, v2
	v_lshlrev_b32_e32 v2, 2, v2
	ds_load_b32 v2, v2
	s_wait_dscnt 0x0
	v_add_nc_u32_e32 v2, v2, v37
	s_delay_alu instid0(VALU_DEP_1) | instskip(SKIP_1) | instid1(VALU_DEP_2)
	v_lshlrev_b64_e32 v[20:21], 1, v[2:3]
	v_xor_b32_e32 v2, v101, v99
	v_add_co_u32 v20, s22, s38, v20
	s_wait_alu 0xf1ff
	s_delay_alu instid0(VALU_DEP_3)
	v_add_co_ci_u32_e64 v21, null, s39, v21, s22
	global_store_b16 v[20:21], v2, off
.LBB1981_127:                           ;   in Loop: Header=BB1981_72 Depth=2
	s_wait_alu 0xfffe
	s_or_b32 exec_lo, exec_lo, s48
	s_lshl_b64 s[48:49], s[30:31], 3
	s_wait_alu 0xfffe
	v_add_co_u32 v20, s22, v83, s48
	s_wait_alu 0xf1ff
	v_add_co_ci_u32_e64 v21, null, s49, v84, s22
	v_cmp_lt_u32_e64 s22, v66, v97
	s_and_saveexec_b32 s30, s22
	s_wait_alu 0xfffe
	s_xor_b32 s22, exec_lo, s30
	s_cbranch_execnz .LBB1981_162
; %bb.128:                              ;   in Loop: Header=BB1981_72 Depth=2
	s_wait_alu 0xfffe
	s_or_b32 exec_lo, exec_lo, s22
	s_delay_alu instid0(SALU_CYCLE_1)
	s_mov_b32 s30, exec_lo
	v_cmpx_lt_u32_e64 v70, v97
	s_cbranch_execnz .LBB1981_163
.LBB1981_129:                           ;   in Loop: Header=BB1981_72 Depth=2
	s_wait_alu 0xfffe
	s_or_b32 exec_lo, exec_lo, s30
	s_delay_alu instid0(SALU_CYCLE_1)
	s_mov_b32 s30, exec_lo
	v_cmpx_lt_u32_e64 v71, v97
	s_cbranch_execnz .LBB1981_164
.LBB1981_130:                           ;   in Loop: Header=BB1981_72 Depth=2
	s_wait_alu 0xfffe
	s_or_b32 exec_lo, exec_lo, s30
	s_delay_alu instid0(SALU_CYCLE_1)
	s_mov_b32 s30, exec_lo
	v_cmpx_lt_u32_e64 v72, v97
	s_cbranch_execnz .LBB1981_165
.LBB1981_131:                           ;   in Loop: Header=BB1981_72 Depth=2
	s_wait_alu 0xfffe
	s_or_b32 exec_lo, exec_lo, s30
	s_delay_alu instid0(SALU_CYCLE_1)
	s_mov_b32 s30, exec_lo
	v_cmpx_lt_u32_e64 v73, v97
	s_cbranch_execnz .LBB1981_166
.LBB1981_132:                           ;   in Loop: Header=BB1981_72 Depth=2
	s_wait_alu 0xfffe
	s_or_b32 exec_lo, exec_lo, s30
	s_delay_alu instid0(SALU_CYCLE_1)
	s_mov_b32 s30, exec_lo
	v_cmpx_lt_u32_e64 v74, v97
	s_cbranch_execnz .LBB1981_167
.LBB1981_133:                           ;   in Loop: Header=BB1981_72 Depth=2
	s_wait_alu 0xfffe
	s_or_b32 exec_lo, exec_lo, s30
	s_delay_alu instid0(SALU_CYCLE_1)
	s_mov_b32 s30, exec_lo
	v_cmpx_lt_u32_e64 v75, v97
	s_cbranch_execnz .LBB1981_168
.LBB1981_134:                           ;   in Loop: Header=BB1981_72 Depth=2
	s_wait_alu 0xfffe
	s_or_b32 exec_lo, exec_lo, s30
	s_delay_alu instid0(SALU_CYCLE_1)
	s_mov_b32 s30, exec_lo
	v_cmpx_lt_u32_e64 v76, v97
	s_cbranch_execnz .LBB1981_169
.LBB1981_135:                           ;   in Loop: Header=BB1981_72 Depth=2
	s_wait_alu 0xfffe
	s_or_b32 exec_lo, exec_lo, s30
	s_and_saveexec_b32 s30, vcc_lo
	s_cbranch_execnz .LBB1981_170
.LBB1981_136:                           ;   in Loop: Header=BB1981_72 Depth=2
	s_wait_alu 0xfffe
	s_or_b32 exec_lo, exec_lo, s30
	s_and_saveexec_b32 s30, s15
	s_cbranch_execnz .LBB1981_171
.LBB1981_137:                           ;   in Loop: Header=BB1981_72 Depth=2
	s_wait_alu 0xfffe
	s_or_b32 exec_lo, exec_lo, s30
	s_and_saveexec_b32 s30, s16
	s_cbranch_execnz .LBB1981_172
.LBB1981_138:                           ;   in Loop: Header=BB1981_72 Depth=2
	s_wait_alu 0xfffe
	s_or_b32 exec_lo, exec_lo, s30
	s_and_saveexec_b32 s30, s17
	s_cbranch_execnz .LBB1981_173
.LBB1981_139:                           ;   in Loop: Header=BB1981_72 Depth=2
	s_wait_alu 0xfffe
	s_or_b32 exec_lo, exec_lo, s30
	s_and_saveexec_b32 s30, s18
	s_cbranch_execnz .LBB1981_174
.LBB1981_140:                           ;   in Loop: Header=BB1981_72 Depth=2
	s_wait_alu 0xfffe
	s_or_b32 exec_lo, exec_lo, s30
	s_and_saveexec_b32 s30, s19
	s_cbranch_execnz .LBB1981_175
.LBB1981_141:                           ;   in Loop: Header=BB1981_72 Depth=2
	s_wait_alu 0xfffe
	s_or_b32 exec_lo, exec_lo, s30
	s_and_saveexec_b32 s30, s20
	s_cbranch_execnz .LBB1981_176
.LBB1981_142:                           ;   in Loop: Header=BB1981_72 Depth=2
	s_wait_alu 0xfffe
	s_or_b32 exec_lo, exec_lo, s30
	s_and_saveexec_b32 s30, s21
	s_cbranch_execz .LBB1981_144
.LBB1981_143:                           ;   in Loop: Header=BB1981_72 Depth=2
	ds_load_u16 v2, v47 offset:4608
	s_wait_dscnt 0x0
	v_cmp_ne_u16_e64 s22, 0x8000, v2
	s_wait_alu 0xf1ff
	s_delay_alu instid0(VALU_DEP_1) | instskip(NEXT) | instid1(VALU_DEP_1)
	v_cndmask_b32_e64 v2, 0x7fff, v2, s22
	v_and_b32_e32 v2, 0xffff, v2
	s_delay_alu instid0(VALU_DEP_1) | instskip(NEXT) | instid1(VALU_DEP_1)
	v_lshrrev_b32_e32 v2, s23, v2
	v_and_b32_e32 v89, s42, v2
.LBB1981_144:                           ;   in Loop: Header=BB1981_72 Depth=2
	s_wait_alu 0xfffe
	s_or_b32 exec_lo, exec_lo, s30
	v_lshlrev_b32_e32 v2, 3, v104
	v_lshlrev_b32_e32 v20, 3, v100
	;; [unrolled: 1-line block ×3, first 2 shown]
	s_wait_loadcnt 0x0
	s_wait_storecnt 0x0
	s_barrier_signal -1
	s_barrier_wait -1
	global_inv scope:SCOPE_SE
	ds_store_b64 v2, v[18:19] offset:1024
	ds_store_b64 v20, v[16:17] offset:1024
	;; [unrolled: 1-line block ×3, first 2 shown]
	v_lshlrev_b32_e32 v2, 3, v25
	v_lshlrev_b32_e32 v20, 3, v24
	;; [unrolled: 1-line block ×5, first 2 shown]
	ds_store_b64 v2, v[12:13] offset:1024
	ds_store_b64 v20, v[10:11] offset:1024
	;; [unrolled: 1-line block ×5, first 2 shown]
	s_wait_loadcnt_dscnt 0x0
	s_barrier_signal -1
	s_barrier_wait -1
	global_inv scope:SCOPE_SE
	s_and_saveexec_b32 s22, vcc_lo
	s_cbranch_execnz .LBB1981_177
; %bb.145:                              ;   in Loop: Header=BB1981_72 Depth=2
	s_wait_alu 0xfffe
	s_or_b32 exec_lo, exec_lo, s22
	s_and_saveexec_b32 s22, s15
	s_cbranch_execnz .LBB1981_178
.LBB1981_146:                           ;   in Loop: Header=BB1981_72 Depth=2
	s_wait_alu 0xfffe
	s_or_b32 exec_lo, exec_lo, s22
	s_and_saveexec_b32 s15, s16
	s_cbranch_execnz .LBB1981_179
.LBB1981_147:                           ;   in Loop: Header=BB1981_72 Depth=2
	s_wait_alu 0xfffe
	s_or_b32 exec_lo, exec_lo, s15
	s_and_saveexec_b32 s15, s17
	s_cbranch_execnz .LBB1981_180
.LBB1981_148:                           ;   in Loop: Header=BB1981_72 Depth=2
	s_wait_alu 0xfffe
	s_or_b32 exec_lo, exec_lo, s15
	s_and_saveexec_b32 s15, s18
	s_cbranch_execnz .LBB1981_181
.LBB1981_149:                           ;   in Loop: Header=BB1981_72 Depth=2
	s_wait_alu 0xfffe
	s_or_b32 exec_lo, exec_lo, s15
	s_and_saveexec_b32 s15, s19
	s_cbranch_execnz .LBB1981_182
.LBB1981_150:                           ;   in Loop: Header=BB1981_72 Depth=2
	s_wait_alu 0xfffe
	s_or_b32 exec_lo, exec_lo, s15
	s_and_saveexec_b32 s15, s20
	s_cbranch_execnz .LBB1981_183
.LBB1981_151:                           ;   in Loop: Header=BB1981_72 Depth=2
	s_wait_alu 0xfffe
	s_or_b32 exec_lo, exec_lo, s15
	s_and_saveexec_b32 s15, s21
	s_cbranch_execz .LBB1981_153
.LBB1981_152:                           ;   in Loop: Header=BB1981_72 Depth=2
	v_lshlrev_b32_e32 v2, 2, v89
	v_add_nc_u32_e32 v20, v47, v48
	ds_load_b32 v2, v2
	ds_load_b64 v[20:21], v20 offset:15360
	s_wait_dscnt 0x1
	v_add_nc_u32_e32 v2, v2, v37
	s_delay_alu instid0(VALU_DEP_1) | instskip(NEXT) | instid1(VALU_DEP_1)
	v_lshlrev_b64_e32 v[23:24], 3, v[2:3]
	v_add_co_u32 v23, vcc_lo, s24, v23
	s_wait_alu 0xfffd
	s_delay_alu instid0(VALU_DEP_2)
	v_add_co_ci_u32_e64 v24, null, s25, v24, vcc_lo
	s_wait_dscnt 0x0
	global_store_b64 v[23:24], v[20:21], off
.LBB1981_153:                           ;   in Loop: Header=BB1981_72 Depth=2
	s_wait_alu 0xfffe
	s_or_b32 exec_lo, exec_lo, s15
	s_wait_loadcnt 0x0
	s_wait_storecnt 0x0
	s_barrier_signal -1
	s_barrier_wait -1
	global_inv scope:SCOPE_SE
	s_and_saveexec_b32 s15, s2
	s_cbranch_execz .LBB1981_71
; %bb.154:                              ;   in Loop: Header=BB1981_72 Depth=2
	ds_load_b32 v2, v28
	s_wait_dscnt 0x0
	v_add_nc_u32_e32 v2, v2, v22
	ds_store_b32 v28, v2
	s_branch .LBB1981_71
.LBB1981_155:                           ;   in Loop: Header=BB1981_72 Depth=2
	ds_load_u16 v99, v47 offset:1024
	s_wait_dscnt 0x0
	v_cmp_ne_u16_e64 s15, 0x8000, v99
	s_wait_alu 0xf1ff
	s_delay_alu instid0(VALU_DEP_1) | instskip(SKIP_1) | instid1(VALU_DEP_2)
	v_cndmask_b32_e64 v2, 0x7fff, v99, s15
	v_cmp_gt_i16_e64 s15, 0, v99
	v_and_b32_e32 v2, 0xffff, v2
	s_wait_alu 0xf1ff
	s_delay_alu instid0(VALU_DEP_2) | instskip(NEXT) | instid1(VALU_DEP_2)
	v_cndmask_b32_e64 v101, 0x7fff, 0, s15
	v_lshrrev_b32_e32 v2, s23, v2
	s_delay_alu instid0(VALU_DEP_1) | instskip(NEXT) | instid1(VALU_DEP_1)
	v_and_b32_e32 v2, s42, v2
	v_lshlrev_b32_e32 v2, 2, v2
	ds_load_b32 v2, v2
	s_wait_dscnt 0x0
	v_add_nc_u32_e32 v2, v2, v1
	s_delay_alu instid0(VALU_DEP_1) | instskip(SKIP_1) | instid1(VALU_DEP_2)
	v_lshlrev_b64_e32 v[20:21], 1, v[2:3]
	v_xor_b32_e32 v2, v101, v99
	v_add_co_u32 v20, s15, s38, v20
	s_wait_alu 0xf1ff
	s_delay_alu instid0(VALU_DEP_3)
	v_add_co_ci_u32_e64 v21, null, s39, v21, s15
	global_store_b16 v[20:21], v2, off
	s_wait_alu 0xfffe
	s_or_b32 exec_lo, exec_lo, s16
	v_cmp_lt_u32_e64 s15, v29, v97
	s_and_saveexec_b32 s17, s15
	s_cbranch_execz .LBB1981_120
.LBB1981_156:                           ;   in Loop: Header=BB1981_72 Depth=2
	ds_load_u16 v99, v47 offset:1536
	s_wait_dscnt 0x0
	v_cmp_ne_u16_e64 s16, 0x8000, v99
	s_wait_alu 0xf1ff
	s_delay_alu instid0(VALU_DEP_1) | instskip(SKIP_1) | instid1(VALU_DEP_2)
	v_cndmask_b32_e64 v2, 0x7fff, v99, s16
	v_cmp_gt_i16_e64 s16, 0, v99
	v_and_b32_e32 v2, 0xffff, v2
	s_wait_alu 0xf1ff
	s_delay_alu instid0(VALU_DEP_2) | instskip(NEXT) | instid1(VALU_DEP_2)
	v_cndmask_b32_e64 v101, 0x7fff, 0, s16
	v_lshrrev_b32_e32 v2, s23, v2
	s_delay_alu instid0(VALU_DEP_1) | instskip(NEXT) | instid1(VALU_DEP_1)
	v_and_b32_e32 v2, s42, v2
	v_lshlrev_b32_e32 v2, 2, v2
	ds_load_b32 v2, v2
	s_wait_dscnt 0x0
	v_add_nc_u32_e32 v2, v2, v29
	s_delay_alu instid0(VALU_DEP_1) | instskip(SKIP_1) | instid1(VALU_DEP_2)
	v_lshlrev_b64_e32 v[20:21], 1, v[2:3]
	v_xor_b32_e32 v2, v101, v99
	v_add_co_u32 v20, s16, s38, v20
	s_wait_alu 0xf1ff
	s_delay_alu instid0(VALU_DEP_3)
	v_add_co_ci_u32_e64 v21, null, s39, v21, s16
	global_store_b16 v[20:21], v2, off
	s_wait_alu 0xfffe
	s_or_b32 exec_lo, exec_lo, s17
	v_cmp_lt_u32_e64 s16, v30, v97
	s_and_saveexec_b32 s18, s16
	s_cbranch_execz .LBB1981_121
.LBB1981_157:                           ;   in Loop: Header=BB1981_72 Depth=2
	ds_load_u16 v99, v47 offset:2048
	s_wait_dscnt 0x0
	v_cmp_ne_u16_e64 s17, 0x8000, v99
	s_wait_alu 0xf1ff
	s_delay_alu instid0(VALU_DEP_1) | instskip(SKIP_1) | instid1(VALU_DEP_2)
	v_cndmask_b32_e64 v2, 0x7fff, v99, s17
	v_cmp_gt_i16_e64 s17, 0, v99
	v_and_b32_e32 v2, 0xffff, v2
	s_wait_alu 0xf1ff
	s_delay_alu instid0(VALU_DEP_2) | instskip(NEXT) | instid1(VALU_DEP_2)
	v_cndmask_b32_e64 v101, 0x7fff, 0, s17
	v_lshrrev_b32_e32 v2, s23, v2
	s_delay_alu instid0(VALU_DEP_1) | instskip(NEXT) | instid1(VALU_DEP_1)
	v_and_b32_e32 v2, s42, v2
	v_lshlrev_b32_e32 v2, 2, v2
	ds_load_b32 v2, v2
	s_wait_dscnt 0x0
	v_add_nc_u32_e32 v2, v2, v30
	s_delay_alu instid0(VALU_DEP_1) | instskip(SKIP_1) | instid1(VALU_DEP_2)
	v_lshlrev_b64_e32 v[20:21], 1, v[2:3]
	v_xor_b32_e32 v2, v101, v99
	v_add_co_u32 v20, s17, s38, v20
	s_wait_alu 0xf1ff
	s_delay_alu instid0(VALU_DEP_3)
	v_add_co_ci_u32_e64 v21, null, s39, v21, s17
	global_store_b16 v[20:21], v2, off
	s_wait_alu 0xfffe
	s_or_b32 exec_lo, exec_lo, s18
	v_cmp_lt_u32_e64 s17, v31, v97
	s_and_saveexec_b32 s19, s17
	s_cbranch_execz .LBB1981_122
.LBB1981_158:                           ;   in Loop: Header=BB1981_72 Depth=2
	ds_load_u16 v99, v47 offset:2560
	s_wait_dscnt 0x0
	v_cmp_ne_u16_e64 s18, 0x8000, v99
	s_wait_alu 0xf1ff
	s_delay_alu instid0(VALU_DEP_1) | instskip(SKIP_1) | instid1(VALU_DEP_2)
	v_cndmask_b32_e64 v2, 0x7fff, v99, s18
	v_cmp_gt_i16_e64 s18, 0, v99
	v_and_b32_e32 v2, 0xffff, v2
	s_wait_alu 0xf1ff
	s_delay_alu instid0(VALU_DEP_2) | instskip(NEXT) | instid1(VALU_DEP_2)
	v_cndmask_b32_e64 v101, 0x7fff, 0, s18
	v_lshrrev_b32_e32 v2, s23, v2
	s_delay_alu instid0(VALU_DEP_1) | instskip(NEXT) | instid1(VALU_DEP_1)
	v_and_b32_e32 v2, s42, v2
	v_lshlrev_b32_e32 v2, 2, v2
	ds_load_b32 v2, v2
	s_wait_dscnt 0x0
	v_add_nc_u32_e32 v2, v2, v31
	s_delay_alu instid0(VALU_DEP_1) | instskip(SKIP_1) | instid1(VALU_DEP_2)
	v_lshlrev_b64_e32 v[20:21], 1, v[2:3]
	v_xor_b32_e32 v2, v101, v99
	v_add_co_u32 v20, s18, s38, v20
	s_wait_alu 0xf1ff
	s_delay_alu instid0(VALU_DEP_3)
	v_add_co_ci_u32_e64 v21, null, s39, v21, s18
	global_store_b16 v[20:21], v2, off
	s_wait_alu 0xfffe
	s_or_b32 exec_lo, exec_lo, s19
	v_cmp_lt_u32_e64 s18, v34, v97
	s_and_saveexec_b32 s20, s18
	s_cbranch_execz .LBB1981_123
.LBB1981_159:                           ;   in Loop: Header=BB1981_72 Depth=2
	ds_load_u16 v99, v47 offset:3072
	s_wait_dscnt 0x0
	v_cmp_ne_u16_e64 s19, 0x8000, v99
	s_wait_alu 0xf1ff
	s_delay_alu instid0(VALU_DEP_1) | instskip(SKIP_1) | instid1(VALU_DEP_2)
	v_cndmask_b32_e64 v2, 0x7fff, v99, s19
	v_cmp_gt_i16_e64 s19, 0, v99
	v_and_b32_e32 v2, 0xffff, v2
	s_wait_alu 0xf1ff
	s_delay_alu instid0(VALU_DEP_2) | instskip(NEXT) | instid1(VALU_DEP_2)
	v_cndmask_b32_e64 v101, 0x7fff, 0, s19
	v_lshrrev_b32_e32 v2, s23, v2
	s_delay_alu instid0(VALU_DEP_1) | instskip(NEXT) | instid1(VALU_DEP_1)
	v_and_b32_e32 v2, s42, v2
	v_lshlrev_b32_e32 v2, 2, v2
	ds_load_b32 v2, v2
	s_wait_dscnt 0x0
	v_add_nc_u32_e32 v2, v2, v34
	s_delay_alu instid0(VALU_DEP_1) | instskip(SKIP_1) | instid1(VALU_DEP_2)
	v_lshlrev_b64_e32 v[20:21], 1, v[2:3]
	v_xor_b32_e32 v2, v101, v99
	v_add_co_u32 v20, s19, s38, v20
	s_wait_alu 0xf1ff
	s_delay_alu instid0(VALU_DEP_3)
	v_add_co_ci_u32_e64 v21, null, s39, v21, s19
	global_store_b16 v[20:21], v2, off
	s_wait_alu 0xfffe
	s_or_b32 exec_lo, exec_lo, s20
	v_cmp_lt_u32_e64 s19, v35, v97
	s_and_saveexec_b32 s21, s19
	s_cbranch_execz .LBB1981_124
.LBB1981_160:                           ;   in Loop: Header=BB1981_72 Depth=2
	ds_load_u16 v99, v47 offset:3584
	s_wait_dscnt 0x0
	v_cmp_ne_u16_e64 s20, 0x8000, v99
	s_wait_alu 0xf1ff
	s_delay_alu instid0(VALU_DEP_1) | instskip(SKIP_1) | instid1(VALU_DEP_2)
	v_cndmask_b32_e64 v2, 0x7fff, v99, s20
	v_cmp_gt_i16_e64 s20, 0, v99
	v_and_b32_e32 v2, 0xffff, v2
	s_wait_alu 0xf1ff
	s_delay_alu instid0(VALU_DEP_2) | instskip(NEXT) | instid1(VALU_DEP_2)
	v_cndmask_b32_e64 v101, 0x7fff, 0, s20
	v_lshrrev_b32_e32 v2, s23, v2
	s_delay_alu instid0(VALU_DEP_1) | instskip(NEXT) | instid1(VALU_DEP_1)
	v_and_b32_e32 v2, s42, v2
	v_lshlrev_b32_e32 v2, 2, v2
	ds_load_b32 v2, v2
	s_wait_dscnt 0x0
	v_add_nc_u32_e32 v2, v2, v35
	s_delay_alu instid0(VALU_DEP_1) | instskip(SKIP_1) | instid1(VALU_DEP_2)
	v_lshlrev_b64_e32 v[20:21], 1, v[2:3]
	v_xor_b32_e32 v2, v101, v99
	v_add_co_u32 v20, s20, s38, v20
	s_wait_alu 0xf1ff
	s_delay_alu instid0(VALU_DEP_3)
	v_add_co_ci_u32_e64 v21, null, s39, v21, s20
	global_store_b16 v[20:21], v2, off
	s_wait_alu 0xfffe
	s_or_b32 exec_lo, exec_lo, s21
	v_cmp_lt_u32_e64 s20, v36, v97
	s_and_saveexec_b32 s22, s20
	s_cbranch_execz .LBB1981_125
.LBB1981_161:                           ;   in Loop: Header=BB1981_72 Depth=2
	ds_load_u16 v99, v47 offset:4096
	s_wait_dscnt 0x0
	v_cmp_ne_u16_e64 s21, 0x8000, v99
	s_wait_alu 0xf1ff
	s_delay_alu instid0(VALU_DEP_1) | instskip(SKIP_1) | instid1(VALU_DEP_2)
	v_cndmask_b32_e64 v2, 0x7fff, v99, s21
	v_cmp_gt_i16_e64 s21, 0, v99
	v_and_b32_e32 v2, 0xffff, v2
	s_wait_alu 0xf1ff
	s_delay_alu instid0(VALU_DEP_2) | instskip(NEXT) | instid1(VALU_DEP_2)
	v_cndmask_b32_e64 v101, 0x7fff, 0, s21
	v_lshrrev_b32_e32 v2, s23, v2
	s_delay_alu instid0(VALU_DEP_1) | instskip(NEXT) | instid1(VALU_DEP_1)
	v_and_b32_e32 v2, s42, v2
	v_lshlrev_b32_e32 v2, 2, v2
	ds_load_b32 v2, v2
	s_wait_dscnt 0x0
	v_add_nc_u32_e32 v2, v2, v36
	s_delay_alu instid0(VALU_DEP_1) | instskip(SKIP_1) | instid1(VALU_DEP_2)
	v_lshlrev_b64_e32 v[20:21], 1, v[2:3]
	v_xor_b32_e32 v2, v101, v99
	v_add_co_u32 v20, s21, s38, v20
	s_wait_alu 0xf1ff
	s_delay_alu instid0(VALU_DEP_3)
	v_add_co_ci_u32_e64 v21, null, s39, v21, s21
	global_store_b16 v[20:21], v2, off
	s_wait_alu 0xfffe
	s_or_b32 exec_lo, exec_lo, s22
	v_cmp_lt_u32_e64 s21, v37, v97
	s_and_saveexec_b32 s48, s21
	s_cbranch_execnz .LBB1981_126
	s_branch .LBB1981_127
.LBB1981_162:                           ;   in Loop: Header=BB1981_72 Depth=2
	global_load_b64 v[18:19], v[20:21], off
	s_wait_alu 0xfffe
	s_or_b32 exec_lo, exec_lo, s22
	s_delay_alu instid0(SALU_CYCLE_1)
	s_mov_b32 s30, exec_lo
	v_cmpx_lt_u32_e64 v70, v97
	s_cbranch_execz .LBB1981_129
.LBB1981_163:                           ;   in Loop: Header=BB1981_72 Depth=2
	global_load_b64 v[16:17], v[20:21], off offset:256
	s_wait_alu 0xfffe
	s_or_b32 exec_lo, exec_lo, s30
	s_delay_alu instid0(SALU_CYCLE_1)
	s_mov_b32 s30, exec_lo
	v_cmpx_lt_u32_e64 v71, v97
	s_cbranch_execz .LBB1981_130
.LBB1981_164:                           ;   in Loop: Header=BB1981_72 Depth=2
	global_load_b64 v[14:15], v[20:21], off offset:512
	s_wait_alu 0xfffe
	s_or_b32 exec_lo, exec_lo, s30
	s_delay_alu instid0(SALU_CYCLE_1)
	s_mov_b32 s30, exec_lo
	v_cmpx_lt_u32_e64 v72, v97
	s_cbranch_execz .LBB1981_131
.LBB1981_165:                           ;   in Loop: Header=BB1981_72 Depth=2
	global_load_b64 v[12:13], v[20:21], off offset:768
	s_wait_alu 0xfffe
	s_or_b32 exec_lo, exec_lo, s30
	s_delay_alu instid0(SALU_CYCLE_1)
	s_mov_b32 s30, exec_lo
	v_cmpx_lt_u32_e64 v73, v97
	s_cbranch_execz .LBB1981_132
.LBB1981_166:                           ;   in Loop: Header=BB1981_72 Depth=2
	global_load_b64 v[10:11], v[20:21], off offset:1024
	s_wait_alu 0xfffe
	s_or_b32 exec_lo, exec_lo, s30
	s_delay_alu instid0(SALU_CYCLE_1)
	s_mov_b32 s30, exec_lo
	v_cmpx_lt_u32_e64 v74, v97
	s_cbranch_execz .LBB1981_133
.LBB1981_167:                           ;   in Loop: Header=BB1981_72 Depth=2
	global_load_b64 v[8:9], v[20:21], off offset:1280
	s_wait_alu 0xfffe
	s_or_b32 exec_lo, exec_lo, s30
	s_delay_alu instid0(SALU_CYCLE_1)
	s_mov_b32 s30, exec_lo
	v_cmpx_lt_u32_e64 v75, v97
	s_cbranch_execz .LBB1981_134
.LBB1981_168:                           ;   in Loop: Header=BB1981_72 Depth=2
	global_load_b64 v[6:7], v[20:21], off offset:1536
	s_wait_alu 0xfffe
	s_or_b32 exec_lo, exec_lo, s30
	s_delay_alu instid0(SALU_CYCLE_1)
	s_mov_b32 s30, exec_lo
	v_cmpx_lt_u32_e64 v76, v97
	s_cbranch_execz .LBB1981_135
.LBB1981_169:                           ;   in Loop: Header=BB1981_72 Depth=2
	global_load_b64 v[4:5], v[20:21], off offset:1792
	s_wait_alu 0xfffe
	s_or_b32 exec_lo, exec_lo, s30
	s_and_saveexec_b32 s30, vcc_lo
	s_cbranch_execz .LBB1981_136
.LBB1981_170:                           ;   in Loop: Header=BB1981_72 Depth=2
	ds_load_u16 v2, v47 offset:1024
	s_wait_dscnt 0x0
	v_cmp_ne_u16_e64 s22, 0x8000, v2
	s_wait_alu 0xf1ff
	s_delay_alu instid0(VALU_DEP_1) | instskip(NEXT) | instid1(VALU_DEP_1)
	v_cndmask_b32_e64 v2, 0x7fff, v2, s22
	v_and_b32_e32 v2, 0xffff, v2
	s_delay_alu instid0(VALU_DEP_1) | instskip(NEXT) | instid1(VALU_DEP_1)
	v_lshrrev_b32_e32 v2, s23, v2
	v_and_b32_e32 v96, s42, v2
	s_wait_alu 0xfffe
	s_or_b32 exec_lo, exec_lo, s30
	s_and_saveexec_b32 s30, s15
	s_cbranch_execz .LBB1981_137
.LBB1981_171:                           ;   in Loop: Header=BB1981_72 Depth=2
	ds_load_u16 v2, v47 offset:1536
	s_wait_dscnt 0x0
	v_cmp_ne_u16_e64 s22, 0x8000, v2
	s_wait_alu 0xf1ff
	s_delay_alu instid0(VALU_DEP_1) | instskip(NEXT) | instid1(VALU_DEP_1)
	v_cndmask_b32_e64 v2, 0x7fff, v2, s22
	v_and_b32_e32 v2, 0xffff, v2
	s_delay_alu instid0(VALU_DEP_1) | instskip(NEXT) | instid1(VALU_DEP_1)
	v_lshrrev_b32_e32 v2, s23, v2
	v_and_b32_e32 v95, s42, v2
	s_wait_alu 0xfffe
	s_or_b32 exec_lo, exec_lo, s30
	s_and_saveexec_b32 s30, s16
	s_cbranch_execz .LBB1981_138
.LBB1981_172:                           ;   in Loop: Header=BB1981_72 Depth=2
	ds_load_u16 v2, v47 offset:2048
	s_wait_dscnt 0x0
	v_cmp_ne_u16_e64 s22, 0x8000, v2
	s_wait_alu 0xf1ff
	s_delay_alu instid0(VALU_DEP_1) | instskip(NEXT) | instid1(VALU_DEP_1)
	v_cndmask_b32_e64 v2, 0x7fff, v2, s22
	v_and_b32_e32 v2, 0xffff, v2
	s_delay_alu instid0(VALU_DEP_1) | instskip(NEXT) | instid1(VALU_DEP_1)
	v_lshrrev_b32_e32 v2, s23, v2
	v_and_b32_e32 v94, s42, v2
	s_wait_alu 0xfffe
	s_or_b32 exec_lo, exec_lo, s30
	s_and_saveexec_b32 s30, s17
	s_cbranch_execz .LBB1981_139
.LBB1981_173:                           ;   in Loop: Header=BB1981_72 Depth=2
	ds_load_u16 v2, v47 offset:2560
	s_wait_dscnt 0x0
	v_cmp_ne_u16_e64 s22, 0x8000, v2
	s_wait_alu 0xf1ff
	s_delay_alu instid0(VALU_DEP_1) | instskip(NEXT) | instid1(VALU_DEP_1)
	v_cndmask_b32_e64 v2, 0x7fff, v2, s22
	v_and_b32_e32 v2, 0xffff, v2
	s_delay_alu instid0(VALU_DEP_1) | instskip(NEXT) | instid1(VALU_DEP_1)
	v_lshrrev_b32_e32 v2, s23, v2
	v_and_b32_e32 v93, s42, v2
	s_wait_alu 0xfffe
	s_or_b32 exec_lo, exec_lo, s30
	s_and_saveexec_b32 s30, s18
	s_cbranch_execz .LBB1981_140
.LBB1981_174:                           ;   in Loop: Header=BB1981_72 Depth=2
	ds_load_u16 v2, v47 offset:3072
	s_wait_dscnt 0x0
	v_cmp_ne_u16_e64 s22, 0x8000, v2
	s_wait_alu 0xf1ff
	s_delay_alu instid0(VALU_DEP_1) | instskip(NEXT) | instid1(VALU_DEP_1)
	v_cndmask_b32_e64 v2, 0x7fff, v2, s22
	v_and_b32_e32 v2, 0xffff, v2
	s_delay_alu instid0(VALU_DEP_1) | instskip(NEXT) | instid1(VALU_DEP_1)
	v_lshrrev_b32_e32 v2, s23, v2
	v_and_b32_e32 v92, s42, v2
	s_wait_alu 0xfffe
	s_or_b32 exec_lo, exec_lo, s30
	s_and_saveexec_b32 s30, s19
	s_cbranch_execz .LBB1981_141
.LBB1981_175:                           ;   in Loop: Header=BB1981_72 Depth=2
	ds_load_u16 v2, v47 offset:3584
	s_wait_dscnt 0x0
	v_cmp_ne_u16_e64 s22, 0x8000, v2
	s_wait_alu 0xf1ff
	s_delay_alu instid0(VALU_DEP_1) | instskip(NEXT) | instid1(VALU_DEP_1)
	v_cndmask_b32_e64 v2, 0x7fff, v2, s22
	v_and_b32_e32 v2, 0xffff, v2
	s_delay_alu instid0(VALU_DEP_1) | instskip(NEXT) | instid1(VALU_DEP_1)
	v_lshrrev_b32_e32 v2, s23, v2
	v_and_b32_e32 v91, s42, v2
	s_wait_alu 0xfffe
	s_or_b32 exec_lo, exec_lo, s30
	s_and_saveexec_b32 s30, s20
	s_cbranch_execz .LBB1981_142
.LBB1981_176:                           ;   in Loop: Header=BB1981_72 Depth=2
	ds_load_u16 v2, v47 offset:4096
	s_wait_dscnt 0x0
	v_cmp_ne_u16_e64 s22, 0x8000, v2
	s_wait_alu 0xf1ff
	s_delay_alu instid0(VALU_DEP_1) | instskip(NEXT) | instid1(VALU_DEP_1)
	v_cndmask_b32_e64 v2, 0x7fff, v2, s22
	v_and_b32_e32 v2, 0xffff, v2
	s_delay_alu instid0(VALU_DEP_1) | instskip(NEXT) | instid1(VALU_DEP_1)
	v_lshrrev_b32_e32 v2, s23, v2
	v_and_b32_e32 v90, s42, v2
	s_wait_alu 0xfffe
	s_or_b32 exec_lo, exec_lo, s30
	s_and_saveexec_b32 s30, s21
	s_cbranch_execnz .LBB1981_143
	s_branch .LBB1981_144
.LBB1981_177:                           ;   in Loop: Header=BB1981_72 Depth=2
	v_lshlrev_b32_e32 v2, 2, v96
	v_add_nc_u32_e32 v20, v47, v48
	ds_load_b32 v2, v2
	ds_load_b64 v[20:21], v20 offset:1024
	s_wait_dscnt 0x1
	v_add_nc_u32_e32 v2, v2, v1
	s_delay_alu instid0(VALU_DEP_1) | instskip(NEXT) | instid1(VALU_DEP_1)
	v_lshlrev_b64_e32 v[23:24], 3, v[2:3]
	v_add_co_u32 v23, vcc_lo, s24, v23
	s_wait_alu 0xfffd
	s_delay_alu instid0(VALU_DEP_2)
	v_add_co_ci_u32_e64 v24, null, s25, v24, vcc_lo
	s_wait_dscnt 0x0
	global_store_b64 v[23:24], v[20:21], off
	s_wait_alu 0xfffe
	s_or_b32 exec_lo, exec_lo, s22
	s_and_saveexec_b32 s22, s15
	s_cbranch_execz .LBB1981_146
.LBB1981_178:                           ;   in Loop: Header=BB1981_72 Depth=2
	v_lshlrev_b32_e32 v2, 2, v95
	v_add_nc_u32_e32 v20, v47, v48
	ds_load_b32 v2, v2
	ds_load_b64 v[20:21], v20 offset:3072
	s_wait_dscnt 0x1
	v_add_nc_u32_e32 v2, v2, v29
	s_delay_alu instid0(VALU_DEP_1) | instskip(NEXT) | instid1(VALU_DEP_1)
	v_lshlrev_b64_e32 v[23:24], 3, v[2:3]
	v_add_co_u32 v23, vcc_lo, s24, v23
	s_wait_alu 0xfffd
	s_delay_alu instid0(VALU_DEP_2)
	v_add_co_ci_u32_e64 v24, null, s25, v24, vcc_lo
	s_wait_dscnt 0x0
	global_store_b64 v[23:24], v[20:21], off
	s_wait_alu 0xfffe
	s_or_b32 exec_lo, exec_lo, s22
	s_and_saveexec_b32 s15, s16
	s_cbranch_execz .LBB1981_147
.LBB1981_179:                           ;   in Loop: Header=BB1981_72 Depth=2
	v_lshlrev_b32_e32 v2, 2, v94
	v_add_nc_u32_e32 v20, v47, v48
	ds_load_b32 v2, v2
	ds_load_b64 v[20:21], v20 offset:5120
	s_wait_dscnt 0x1
	v_add_nc_u32_e32 v2, v2, v30
	s_delay_alu instid0(VALU_DEP_1) | instskip(NEXT) | instid1(VALU_DEP_1)
	v_lshlrev_b64_e32 v[23:24], 3, v[2:3]
	v_add_co_u32 v23, vcc_lo, s24, v23
	s_wait_alu 0xfffd
	s_delay_alu instid0(VALU_DEP_2)
	v_add_co_ci_u32_e64 v24, null, s25, v24, vcc_lo
	s_wait_dscnt 0x0
	global_store_b64 v[23:24], v[20:21], off
	s_wait_alu 0xfffe
	s_or_b32 exec_lo, exec_lo, s15
	s_and_saveexec_b32 s15, s17
	s_cbranch_execz .LBB1981_148
.LBB1981_180:                           ;   in Loop: Header=BB1981_72 Depth=2
	v_lshlrev_b32_e32 v2, 2, v93
	v_add_nc_u32_e32 v20, v47, v48
	ds_load_b32 v2, v2
	ds_load_b64 v[20:21], v20 offset:7168
	s_wait_dscnt 0x1
	v_add_nc_u32_e32 v2, v2, v31
	s_delay_alu instid0(VALU_DEP_1) | instskip(NEXT) | instid1(VALU_DEP_1)
	v_lshlrev_b64_e32 v[23:24], 3, v[2:3]
	v_add_co_u32 v23, vcc_lo, s24, v23
	s_wait_alu 0xfffd
	s_delay_alu instid0(VALU_DEP_2)
	v_add_co_ci_u32_e64 v24, null, s25, v24, vcc_lo
	s_wait_dscnt 0x0
	global_store_b64 v[23:24], v[20:21], off
	s_wait_alu 0xfffe
	s_or_b32 exec_lo, exec_lo, s15
	s_and_saveexec_b32 s15, s18
	s_cbranch_execz .LBB1981_149
.LBB1981_181:                           ;   in Loop: Header=BB1981_72 Depth=2
	v_lshlrev_b32_e32 v2, 2, v92
	v_add_nc_u32_e32 v20, v47, v48
	ds_load_b32 v2, v2
	ds_load_b64 v[20:21], v20 offset:9216
	s_wait_dscnt 0x1
	v_add_nc_u32_e32 v2, v2, v34
	s_delay_alu instid0(VALU_DEP_1) | instskip(NEXT) | instid1(VALU_DEP_1)
	v_lshlrev_b64_e32 v[23:24], 3, v[2:3]
	v_add_co_u32 v23, vcc_lo, s24, v23
	s_wait_alu 0xfffd
	s_delay_alu instid0(VALU_DEP_2)
	v_add_co_ci_u32_e64 v24, null, s25, v24, vcc_lo
	s_wait_dscnt 0x0
	global_store_b64 v[23:24], v[20:21], off
	s_wait_alu 0xfffe
	s_or_b32 exec_lo, exec_lo, s15
	s_and_saveexec_b32 s15, s19
	s_cbranch_execz .LBB1981_150
.LBB1981_182:                           ;   in Loop: Header=BB1981_72 Depth=2
	v_lshlrev_b32_e32 v2, 2, v91
	v_add_nc_u32_e32 v20, v47, v48
	ds_load_b32 v2, v2
	ds_load_b64 v[20:21], v20 offset:11264
	s_wait_dscnt 0x1
	v_add_nc_u32_e32 v2, v2, v35
	s_delay_alu instid0(VALU_DEP_1) | instskip(NEXT) | instid1(VALU_DEP_1)
	v_lshlrev_b64_e32 v[23:24], 3, v[2:3]
	v_add_co_u32 v23, vcc_lo, s24, v23
	s_wait_alu 0xfffd
	s_delay_alu instid0(VALU_DEP_2)
	v_add_co_ci_u32_e64 v24, null, s25, v24, vcc_lo
	s_wait_dscnt 0x0
	global_store_b64 v[23:24], v[20:21], off
	s_wait_alu 0xfffe
	s_or_b32 exec_lo, exec_lo, s15
	s_and_saveexec_b32 s15, s20
	s_cbranch_execz .LBB1981_151
.LBB1981_183:                           ;   in Loop: Header=BB1981_72 Depth=2
	v_lshlrev_b32_e32 v2, 2, v90
	v_add_nc_u32_e32 v20, v47, v48
	ds_load_b32 v2, v2
	ds_load_b64 v[20:21], v20 offset:13312
	s_wait_dscnt 0x1
	v_add_nc_u32_e32 v2, v2, v36
	s_delay_alu instid0(VALU_DEP_1) | instskip(NEXT) | instid1(VALU_DEP_1)
	v_lshlrev_b64_e32 v[23:24], 3, v[2:3]
	v_add_co_u32 v23, vcc_lo, s24, v23
	s_wait_alu 0xfffd
	s_delay_alu instid0(VALU_DEP_2)
	v_add_co_ci_u32_e64 v24, null, s25, v24, vcc_lo
	s_wait_dscnt 0x0
	global_store_b64 v[23:24], v[20:21], off
	s_wait_alu 0xfffe
	s_or_b32 exec_lo, exec_lo, s15
	s_and_saveexec_b32 s15, s21
	s_cbranch_execnz .LBB1981_152
	s_branch .LBB1981_153
.LBB1981_184:                           ;   in Loop: Header=BB1981_20 Depth=1
	s_wait_loadcnt_dscnt 0x0
	s_barrier_signal -1
	s_mov_b32 s0, 0
	s_barrier_wait -1
.LBB1981_185:                           ;   in Loop: Header=BB1981_20 Depth=1
	s_wait_alu 0xfffe
	s_and_b32 vcc_lo, exec_lo, s0
	s_wait_alu 0xfffe
	s_cbranch_vccz .LBB1981_349
; %bb.186:                              ;   in Loop: Header=BB1981_20 Depth=1
	s_mov_b32 s9, s47
	s_mov_b32 s30, s33
	s_barrier_signal -1
	s_barrier_wait -1
	global_inv scope:SCOPE_SE
                                        ; implicit-def: $vgpr2
                                        ; implicit-def: $vgpr4
                                        ; implicit-def: $vgpr5
                                        ; implicit-def: $vgpr6
                                        ; implicit-def: $vgpr7
                                        ; implicit-def: $vgpr8
                                        ; implicit-def: $vgpr9
                                        ; implicit-def: $vgpr10
	s_branch .LBB1981_188
.LBB1981_187:                           ;   in Loop: Header=BB1981_188 Depth=2
	s_wait_alu 0xfffe
	s_or_b32 exec_lo, exec_lo, s0
	s_addk_co_i32 s9, 0xf800
	s_cmp_ge_u32 s10, s34
	s_mov_b32 s30, s10
	s_cbranch_scc1 .LBB1981_224
.LBB1981_188:                           ;   Parent Loop BB1981_20 Depth=1
                                        ; =>  This Inner Loop Header: Depth=2
	s_wait_alu 0xfffe
	s_add_co_i32 s10, s30, 0x800
	s_mov_b32 s0, -1
	s_wait_alu 0xfffe
	s_cmp_gt_u32 s10, s34
                                        ; implicit-def: $vgpr11
                                        ; implicit-def: $vgpr12
                                        ; implicit-def: $vgpr13
                                        ; implicit-def: $vgpr14
                                        ; implicit-def: $vgpr15
                                        ; implicit-def: $vgpr16
                                        ; implicit-def: $vgpr17
                                        ; implicit-def: $vgpr18
	s_cbranch_scc1 .LBB1981_190
; %bb.189:                              ;   in Loop: Header=BB1981_188 Depth=2
	s_lshl_b64 s[0:1], s[30:31], 1
	s_wait_alu 0xfffe
	v_add_co_u32 v18, vcc_lo, v49, s0
	s_wait_alu 0xfffd
	v_add_co_ci_u32_e64 v19, null, s1, v50, vcc_lo
	s_mov_b32 s0, 0
	s_clause 0x7
	global_load_u16 v11, v[18:19], off
	global_load_u16 v12, v[18:19], off offset:512
	global_load_u16 v13, v[18:19], off offset:1024
	;; [unrolled: 1-line block ×7, first 2 shown]
.LBB1981_190:                           ;   in Loop: Header=BB1981_188 Depth=2
	s_wait_alu 0xfffe
	s_and_not1_b32 vcc_lo, exec_lo, s0
	s_movk_i32 s0, 0x800
	s_wait_alu 0xfffe
	s_cbranch_vccnz .LBB1981_201
; %bb.191:                              ;   in Loop: Header=BB1981_188 Depth=2
	s_lshl_b64 s[0:1], s[30:31], 1
	s_mov_b32 s11, exec_lo
	s_wait_alu 0xfffe
	s_add_nc_u64 s[0:1], s[38:39], s[0:1]
	v_cmpx_gt_u32_e64 s9, v1
	s_cbranch_execnz .LBB1981_217
; %bb.192:                              ;   in Loop: Header=BB1981_188 Depth=2
	s_or_b32 exec_lo, exec_lo, s11
	s_delay_alu instid0(SALU_CYCLE_1)
	s_mov_b32 s11, exec_lo
	v_cmpx_gt_u32_e64 s9, v29
	s_cbranch_execnz .LBB1981_218
.LBB1981_193:                           ;   in Loop: Header=BB1981_188 Depth=2
	s_wait_alu 0xfffe
	s_or_b32 exec_lo, exec_lo, s11
	s_delay_alu instid0(SALU_CYCLE_1)
	s_mov_b32 s11, exec_lo
	v_cmpx_gt_u32_e64 s9, v30
	s_cbranch_execnz .LBB1981_219
.LBB1981_194:                           ;   in Loop: Header=BB1981_188 Depth=2
	s_wait_alu 0xfffe
	s_or_b32 exec_lo, exec_lo, s11
	s_delay_alu instid0(SALU_CYCLE_1)
	s_mov_b32 s11, exec_lo
	v_cmpx_gt_u32_e64 s9, v31
	s_cbranch_execnz .LBB1981_220
.LBB1981_195:                           ;   in Loop: Header=BB1981_188 Depth=2
	s_wait_alu 0xfffe
	s_or_b32 exec_lo, exec_lo, s11
	s_delay_alu instid0(SALU_CYCLE_1)
	s_mov_b32 s11, exec_lo
	v_cmpx_gt_u32_e64 s9, v34
	s_cbranch_execnz .LBB1981_221
.LBB1981_196:                           ;   in Loop: Header=BB1981_188 Depth=2
	s_wait_alu 0xfffe
	s_or_b32 exec_lo, exec_lo, s11
	s_delay_alu instid0(SALU_CYCLE_1)
	s_mov_b32 s11, exec_lo
	v_cmpx_gt_u32_e64 s9, v35
	s_cbranch_execnz .LBB1981_222
.LBB1981_197:                           ;   in Loop: Header=BB1981_188 Depth=2
	s_wait_alu 0xfffe
	s_or_b32 exec_lo, exec_lo, s11
	s_delay_alu instid0(SALU_CYCLE_1)
	s_mov_b32 s11, exec_lo
	v_cmpx_gt_u32_e64 s9, v36
	s_cbranch_execnz .LBB1981_223
.LBB1981_198:                           ;   in Loop: Header=BB1981_188 Depth=2
	s_wait_alu 0xfffe
	s_or_b32 exec_lo, exec_lo, s11
	s_delay_alu instid0(SALU_CYCLE_1)
	s_mov_b32 s11, exec_lo
	v_cmpx_gt_u32_e64 s9, v37
	s_cbranch_execz .LBB1981_200
.LBB1981_199:                           ;   in Loop: Header=BB1981_188 Depth=2
	global_load_u16 v2, v82, s[0:1] offset:3584
.LBB1981_200:                           ;   in Loop: Header=BB1981_188 Depth=2
	s_wait_alu 0xfffe
	s_or_b32 exec_lo, exec_lo, s11
	s_wait_loadcnt 0x0
	v_dual_mov_b32 v11, v10 :: v_dual_mov_b32 v12, v9
	v_dual_mov_b32 v13, v8 :: v_dual_mov_b32 v14, v7
	;; [unrolled: 1-line block ×4, first 2 shown]
	s_mov_b32 s0, s9
.LBB1981_201:                           ;   in Loop: Header=BB1981_188 Depth=2
	s_wait_loadcnt 0x0
	s_delay_alu instid0(VALU_DEP_1) | instskip(NEXT) | instid1(VALU_DEP_2)
	v_dual_mov_b32 v2, v18 :: v_dual_mov_b32 v5, v16
	v_dual_mov_b32 v4, v17 :: v_dual_mov_b32 v7, v14
	;; [unrolled: 1-line block ×3, first 2 shown]
	v_mov_b32_e32 v8, v13
	v_mov_b32_e32 v10, v11
	s_mov_b32 s1, exec_lo
	s_wait_alu 0xfffe
	v_cmpx_gt_u32_e64 s0, v1
	s_cbranch_execnz .LBB1981_209
; %bb.202:                              ;   in Loop: Header=BB1981_188 Depth=2
	s_or_b32 exec_lo, exec_lo, s1
	s_delay_alu instid0(SALU_CYCLE_1)
	s_mov_b32 s1, exec_lo
	v_cmpx_gt_u32_e64 s0, v29
	s_cbranch_execnz .LBB1981_210
.LBB1981_203:                           ;   in Loop: Header=BB1981_188 Depth=2
	s_wait_alu 0xfffe
	s_or_b32 exec_lo, exec_lo, s1
	s_delay_alu instid0(SALU_CYCLE_1)
	s_mov_b32 s1, exec_lo
	v_cmpx_gt_u32_e64 s0, v30
	s_cbranch_execnz .LBB1981_211
.LBB1981_204:                           ;   in Loop: Header=BB1981_188 Depth=2
	s_wait_alu 0xfffe
	s_or_b32 exec_lo, exec_lo, s1
	s_delay_alu instid0(SALU_CYCLE_1)
	s_mov_b32 s1, exec_lo
	v_cmpx_gt_u32_e64 s0, v31
	s_cbranch_execnz .LBB1981_212
.LBB1981_205:                           ;   in Loop: Header=BB1981_188 Depth=2
	s_wait_alu 0xfffe
	s_or_b32 exec_lo, exec_lo, s1
	s_delay_alu instid0(SALU_CYCLE_1)
	s_mov_b32 s1, exec_lo
	v_cmpx_gt_u32_e64 s0, v34
	s_cbranch_execnz .LBB1981_213
.LBB1981_206:                           ;   in Loop: Header=BB1981_188 Depth=2
	s_wait_alu 0xfffe
	s_or_b32 exec_lo, exec_lo, s1
	s_delay_alu instid0(SALU_CYCLE_1)
	s_mov_b32 s1, exec_lo
	v_cmpx_gt_u32_e64 s0, v35
	s_cbranch_execnz .LBB1981_214
.LBB1981_207:                           ;   in Loop: Header=BB1981_188 Depth=2
	s_wait_alu 0xfffe
	s_or_b32 exec_lo, exec_lo, s1
	s_delay_alu instid0(SALU_CYCLE_1)
	s_mov_b32 s1, exec_lo
	v_cmpx_gt_u32_e64 s0, v36
	s_cbranch_execnz .LBB1981_215
.LBB1981_208:                           ;   in Loop: Header=BB1981_188 Depth=2
	s_wait_alu 0xfffe
	s_or_b32 exec_lo, exec_lo, s1
	v_cmp_gt_u32_e32 vcc_lo, s0, v37
	s_and_saveexec_b32 s0, vcc_lo
	s_cbranch_execz .LBB1981_187
	s_branch .LBB1981_216
.LBB1981_209:                           ;   in Loop: Header=BB1981_188 Depth=2
	v_cmp_gt_i16_e32 vcc_lo, 0, v10
	s_wait_alu 0xfffd
	v_cndmask_b32_e64 v11, 0x7fff, 0, vcc_lo
	s_delay_alu instid0(VALU_DEP_1) | instskip(NEXT) | instid1(VALU_DEP_1)
	v_xor_b32_e32 v11, v11, v10
	v_cmp_ne_u16_e32 vcc_lo, 0x8000, v11
	s_wait_alu 0xfffd
	v_cndmask_b32_e32 v11, 0x7fff, v11, vcc_lo
	s_delay_alu instid0(VALU_DEP_1) | instskip(NEXT) | instid1(VALU_DEP_1)
	v_and_b32_e32 v11, 0xffff, v11
	v_lshrrev_b32_e32 v11, s23, v11
	s_delay_alu instid0(VALU_DEP_1) | instskip(NEXT) | instid1(VALU_DEP_1)
	v_and_b32_e32 v11, s42, v11
	v_lshl_or_b32 v11, v11, 4, v39
	ds_add_u32 v11, v62
	s_or_b32 exec_lo, exec_lo, s1
	s_delay_alu instid0(SALU_CYCLE_1)
	s_mov_b32 s1, exec_lo
	v_cmpx_gt_u32_e64 s0, v29
	s_cbranch_execz .LBB1981_203
.LBB1981_210:                           ;   in Loop: Header=BB1981_188 Depth=2
	v_cmp_gt_i16_e32 vcc_lo, 0, v9
	s_wait_alu 0xfffd
	v_cndmask_b32_e64 v11, 0x7fff, 0, vcc_lo
	s_delay_alu instid0(VALU_DEP_1) | instskip(NEXT) | instid1(VALU_DEP_1)
	v_xor_b32_e32 v11, v11, v9
	v_cmp_ne_u16_e32 vcc_lo, 0x8000, v11
	s_wait_alu 0xfffd
	v_cndmask_b32_e32 v11, 0x7fff, v11, vcc_lo
	s_delay_alu instid0(VALU_DEP_1) | instskip(NEXT) | instid1(VALU_DEP_1)
	v_and_b32_e32 v11, 0xffff, v11
	v_lshrrev_b32_e32 v11, s23, v11
	s_delay_alu instid0(VALU_DEP_1) | instskip(NEXT) | instid1(VALU_DEP_1)
	v_and_b32_e32 v11, s42, v11
	v_lshl_or_b32 v11, v11, 4, v39
	ds_add_u32 v11, v62
	s_wait_alu 0xfffe
	s_or_b32 exec_lo, exec_lo, s1
	s_delay_alu instid0(SALU_CYCLE_1)
	s_mov_b32 s1, exec_lo
	v_cmpx_gt_u32_e64 s0, v30
	s_cbranch_execz .LBB1981_204
.LBB1981_211:                           ;   in Loop: Header=BB1981_188 Depth=2
	v_cmp_gt_i16_e32 vcc_lo, 0, v8
	s_wait_alu 0xfffd
	v_cndmask_b32_e64 v11, 0x7fff, 0, vcc_lo
	s_delay_alu instid0(VALU_DEP_1) | instskip(NEXT) | instid1(VALU_DEP_1)
	v_xor_b32_e32 v11, v11, v8
	v_cmp_ne_u16_e32 vcc_lo, 0x8000, v11
	s_wait_alu 0xfffd
	v_cndmask_b32_e32 v11, 0x7fff, v11, vcc_lo
	s_delay_alu instid0(VALU_DEP_1) | instskip(NEXT) | instid1(VALU_DEP_1)
	v_and_b32_e32 v11, 0xffff, v11
	v_lshrrev_b32_e32 v11, s23, v11
	s_delay_alu instid0(VALU_DEP_1) | instskip(NEXT) | instid1(VALU_DEP_1)
	v_and_b32_e32 v11, s42, v11
	v_lshl_or_b32 v11, v11, 4, v39
	ds_add_u32 v11, v62
	s_wait_alu 0xfffe
	s_or_b32 exec_lo, exec_lo, s1
	s_delay_alu instid0(SALU_CYCLE_1)
	s_mov_b32 s1, exec_lo
	v_cmpx_gt_u32_e64 s0, v31
	s_cbranch_execz .LBB1981_205
.LBB1981_212:                           ;   in Loop: Header=BB1981_188 Depth=2
	v_cmp_gt_i16_e32 vcc_lo, 0, v7
	s_wait_alu 0xfffd
	v_cndmask_b32_e64 v11, 0x7fff, 0, vcc_lo
	s_delay_alu instid0(VALU_DEP_1) | instskip(NEXT) | instid1(VALU_DEP_1)
	v_xor_b32_e32 v11, v11, v7
	v_cmp_ne_u16_e32 vcc_lo, 0x8000, v11
	s_wait_alu 0xfffd
	v_cndmask_b32_e32 v11, 0x7fff, v11, vcc_lo
	s_delay_alu instid0(VALU_DEP_1) | instskip(NEXT) | instid1(VALU_DEP_1)
	v_and_b32_e32 v11, 0xffff, v11
	v_lshrrev_b32_e32 v11, s23, v11
	s_delay_alu instid0(VALU_DEP_1) | instskip(NEXT) | instid1(VALU_DEP_1)
	v_and_b32_e32 v11, s42, v11
	v_lshl_or_b32 v11, v11, 4, v39
	ds_add_u32 v11, v62
	s_wait_alu 0xfffe
	s_or_b32 exec_lo, exec_lo, s1
	s_delay_alu instid0(SALU_CYCLE_1)
	s_mov_b32 s1, exec_lo
	v_cmpx_gt_u32_e64 s0, v34
	s_cbranch_execz .LBB1981_206
.LBB1981_213:                           ;   in Loop: Header=BB1981_188 Depth=2
	v_cmp_gt_i16_e32 vcc_lo, 0, v6
	s_wait_alu 0xfffd
	v_cndmask_b32_e64 v11, 0x7fff, 0, vcc_lo
	s_delay_alu instid0(VALU_DEP_1) | instskip(NEXT) | instid1(VALU_DEP_1)
	v_xor_b32_e32 v11, v11, v6
	v_cmp_ne_u16_e32 vcc_lo, 0x8000, v11
	s_wait_alu 0xfffd
	v_cndmask_b32_e32 v11, 0x7fff, v11, vcc_lo
	s_delay_alu instid0(VALU_DEP_1) | instskip(NEXT) | instid1(VALU_DEP_1)
	v_and_b32_e32 v11, 0xffff, v11
	v_lshrrev_b32_e32 v11, s23, v11
	s_delay_alu instid0(VALU_DEP_1) | instskip(NEXT) | instid1(VALU_DEP_1)
	v_and_b32_e32 v11, s42, v11
	v_lshl_or_b32 v11, v11, 4, v39
	ds_add_u32 v11, v62
	s_wait_alu 0xfffe
	s_or_b32 exec_lo, exec_lo, s1
	s_delay_alu instid0(SALU_CYCLE_1)
	s_mov_b32 s1, exec_lo
	v_cmpx_gt_u32_e64 s0, v35
	s_cbranch_execz .LBB1981_207
.LBB1981_214:                           ;   in Loop: Header=BB1981_188 Depth=2
	v_cmp_gt_i16_e32 vcc_lo, 0, v5
	s_wait_alu 0xfffd
	v_cndmask_b32_e64 v11, 0x7fff, 0, vcc_lo
	s_delay_alu instid0(VALU_DEP_1) | instskip(NEXT) | instid1(VALU_DEP_1)
	v_xor_b32_e32 v11, v11, v5
	v_cmp_ne_u16_e32 vcc_lo, 0x8000, v11
	s_wait_alu 0xfffd
	v_cndmask_b32_e32 v11, 0x7fff, v11, vcc_lo
	s_delay_alu instid0(VALU_DEP_1) | instskip(NEXT) | instid1(VALU_DEP_1)
	v_and_b32_e32 v11, 0xffff, v11
	v_lshrrev_b32_e32 v11, s23, v11
	s_delay_alu instid0(VALU_DEP_1) | instskip(NEXT) | instid1(VALU_DEP_1)
	v_and_b32_e32 v11, s42, v11
	v_lshl_or_b32 v11, v11, 4, v39
	ds_add_u32 v11, v62
	s_wait_alu 0xfffe
	s_or_b32 exec_lo, exec_lo, s1
	s_delay_alu instid0(SALU_CYCLE_1)
	s_mov_b32 s1, exec_lo
	v_cmpx_gt_u32_e64 s0, v36
	s_cbranch_execz .LBB1981_208
.LBB1981_215:                           ;   in Loop: Header=BB1981_188 Depth=2
	v_cmp_gt_i16_e32 vcc_lo, 0, v4
	s_wait_alu 0xfffd
	v_cndmask_b32_e64 v11, 0x7fff, 0, vcc_lo
	s_delay_alu instid0(VALU_DEP_1) | instskip(NEXT) | instid1(VALU_DEP_1)
	v_xor_b32_e32 v11, v11, v4
	v_cmp_ne_u16_e32 vcc_lo, 0x8000, v11
	s_wait_alu 0xfffd
	v_cndmask_b32_e32 v11, 0x7fff, v11, vcc_lo
	s_delay_alu instid0(VALU_DEP_1) | instskip(NEXT) | instid1(VALU_DEP_1)
	v_and_b32_e32 v11, 0xffff, v11
	v_lshrrev_b32_e32 v11, s23, v11
	s_delay_alu instid0(VALU_DEP_1) | instskip(NEXT) | instid1(VALU_DEP_1)
	v_and_b32_e32 v11, s42, v11
	v_lshl_or_b32 v11, v11, 4, v39
	ds_add_u32 v11, v62
	s_wait_alu 0xfffe
	s_or_b32 exec_lo, exec_lo, s1
	v_cmp_gt_u32_e32 vcc_lo, s0, v37
	s_and_saveexec_b32 s0, vcc_lo
	s_cbranch_execz .LBB1981_187
.LBB1981_216:                           ;   in Loop: Header=BB1981_188 Depth=2
	v_cmp_gt_i16_e32 vcc_lo, 0, v2
	s_wait_alu 0xfffd
	v_cndmask_b32_e64 v11, 0x7fff, 0, vcc_lo
	s_delay_alu instid0(VALU_DEP_1) | instskip(NEXT) | instid1(VALU_DEP_1)
	v_xor_b32_e32 v11, v11, v2
	v_cmp_ne_u16_e32 vcc_lo, 0x8000, v11
	s_wait_alu 0xfffd
	v_cndmask_b32_e32 v11, 0x7fff, v11, vcc_lo
	s_delay_alu instid0(VALU_DEP_1) | instskip(NEXT) | instid1(VALU_DEP_1)
	v_and_b32_e32 v11, 0xffff, v11
	v_lshrrev_b32_e32 v11, s23, v11
	s_delay_alu instid0(VALU_DEP_1) | instskip(NEXT) | instid1(VALU_DEP_1)
	v_and_b32_e32 v11, s42, v11
	v_lshl_or_b32 v11, v11, 4, v39
	ds_add_u32 v11, v62
	s_branch .LBB1981_187
.LBB1981_217:                           ;   in Loop: Header=BB1981_188 Depth=2
	global_load_u16 v10, v82, s[0:1]
	s_or_b32 exec_lo, exec_lo, s11
	s_delay_alu instid0(SALU_CYCLE_1)
	s_mov_b32 s11, exec_lo
	v_cmpx_gt_u32_e64 s9, v29
	s_cbranch_execz .LBB1981_193
.LBB1981_218:                           ;   in Loop: Header=BB1981_188 Depth=2
	global_load_u16 v9, v82, s[0:1] offset:512
	s_wait_alu 0xfffe
	s_or_b32 exec_lo, exec_lo, s11
	s_delay_alu instid0(SALU_CYCLE_1)
	s_mov_b32 s11, exec_lo
	v_cmpx_gt_u32_e64 s9, v30
	s_cbranch_execz .LBB1981_194
.LBB1981_219:                           ;   in Loop: Header=BB1981_188 Depth=2
	global_load_u16 v8, v82, s[0:1] offset:1024
	s_wait_alu 0xfffe
	s_or_b32 exec_lo, exec_lo, s11
	s_delay_alu instid0(SALU_CYCLE_1)
	s_mov_b32 s11, exec_lo
	v_cmpx_gt_u32_e64 s9, v31
	s_cbranch_execz .LBB1981_195
.LBB1981_220:                           ;   in Loop: Header=BB1981_188 Depth=2
	global_load_u16 v7, v82, s[0:1] offset:1536
	s_wait_alu 0xfffe
	s_or_b32 exec_lo, exec_lo, s11
	s_delay_alu instid0(SALU_CYCLE_1)
	s_mov_b32 s11, exec_lo
	v_cmpx_gt_u32_e64 s9, v34
	s_cbranch_execz .LBB1981_196
.LBB1981_221:                           ;   in Loop: Header=BB1981_188 Depth=2
	global_load_u16 v6, v82, s[0:1] offset:2048
	s_wait_alu 0xfffe
	s_or_b32 exec_lo, exec_lo, s11
	s_delay_alu instid0(SALU_CYCLE_1)
	s_mov_b32 s11, exec_lo
	v_cmpx_gt_u32_e64 s9, v35
	s_cbranch_execz .LBB1981_197
.LBB1981_222:                           ;   in Loop: Header=BB1981_188 Depth=2
	global_load_u16 v5, v82, s[0:1] offset:2560
	s_wait_alu 0xfffe
	s_or_b32 exec_lo, exec_lo, s11
	s_delay_alu instid0(SALU_CYCLE_1)
	s_mov_b32 s11, exec_lo
	v_cmpx_gt_u32_e64 s9, v36
	s_cbranch_execz .LBB1981_198
.LBB1981_223:                           ;   in Loop: Header=BB1981_188 Depth=2
	global_load_u16 v4, v82, s[0:1] offset:3072
	s_wait_alu 0xfffe
	s_or_b32 exec_lo, exec_lo, s11
	s_delay_alu instid0(SALU_CYCLE_1)
	s_mov_b32 s11, exec_lo
	v_cmpx_gt_u32_e64 s9, v37
	s_cbranch_execnz .LBB1981_199
	s_branch .LBB1981_200
.LBB1981_224:                           ;   in Loop: Header=BB1981_20 Depth=1
	v_mov_b32_e32 v2, 0
	s_wait_dscnt 0x0
	s_barrier_signal -1
	s_barrier_wait -1
	global_inv scope:SCOPE_SE
	s_and_saveexec_b32 s0, s2
	s_cbranch_execz .LBB1981_226
; %bb.225:                              ;   in Loop: Header=BB1981_20 Depth=1
	ds_load_2addr_b64 v[4:7], v40 offset1:1
	s_wait_dscnt 0x0
	v_add_nc_u32_e32 v2, v5, v4
	s_delay_alu instid0(VALU_DEP_1)
	v_add3_u32 v2, v2, v6, v7
.LBB1981_226:                           ;   in Loop: Header=BB1981_20 Depth=1
	s_wait_alu 0xfffe
	s_or_b32 exec_lo, exec_lo, s0
	s_delay_alu instid0(VALU_DEP_1)
	v_mov_b32_dpp v4, v2 row_shr:1 row_mask:0xf bank_mask:0xf
	v_cmp_eq_u32_e64 s0, 0, v63
	v_cmp_lt_u32_e64 s1, 1, v63
	v_cmp_lt_u32_e64 s9, 3, v63
	;; [unrolled: 1-line block ×3, first 2 shown]
	v_cmp_eq_u32_e64 s11, 0, v65
	s_wait_alu 0xf1ff
	v_cndmask_b32_e64 v4, v4, 0, s0
	s_delay_alu instid0(VALU_DEP_1) | instskip(NEXT) | instid1(VALU_DEP_1)
	v_add_nc_u32_e32 v2, v4, v2
	v_mov_b32_dpp v4, v2 row_shr:2 row_mask:0xf bank_mask:0xf
	s_delay_alu instid0(VALU_DEP_1) | instskip(NEXT) | instid1(VALU_DEP_1)
	v_cndmask_b32_e64 v4, 0, v4, s1
	v_add_nc_u32_e32 v2, v2, v4
	s_delay_alu instid0(VALU_DEP_1) | instskip(NEXT) | instid1(VALU_DEP_1)
	v_mov_b32_dpp v4, v2 row_shr:4 row_mask:0xf bank_mask:0xf
	v_cndmask_b32_e64 v4, 0, v4, s9
	s_delay_alu instid0(VALU_DEP_1) | instskip(NEXT) | instid1(VALU_DEP_1)
	v_add_nc_u32_e32 v2, v2, v4
	v_mov_b32_dpp v4, v2 row_shr:8 row_mask:0xf bank_mask:0xf
	s_delay_alu instid0(VALU_DEP_1) | instskip(NEXT) | instid1(VALU_DEP_1)
	v_cndmask_b32_e64 v4, 0, v4, s10
	v_add_nc_u32_e32 v2, v2, v4
	ds_swizzle_b32 v4, v2 offset:swizzle(BROADCAST,32,15)
	s_wait_dscnt 0x0
	v_and_b32_e32 v4, v64, v4
	s_delay_alu instid0(VALU_DEP_1)
	v_add_nc_u32_e32 v2, v2, v4
	s_and_saveexec_b32 s12, s3
; %bb.227:                              ;   in Loop: Header=BB1981_20 Depth=1
	ds_store_b32 v41, v2
; %bb.228:                              ;   in Loop: Header=BB1981_20 Depth=1
	s_wait_alu 0xfffe
	s_or_b32 exec_lo, exec_lo, s12
	s_wait_loadcnt_dscnt 0x0
	s_barrier_signal -1
	s_barrier_wait -1
	global_inv scope:SCOPE_SE
	s_and_saveexec_b32 s12, s4
	s_cbranch_execz .LBB1981_230
; %bb.229:                              ;   in Loop: Header=BB1981_20 Depth=1
	ds_load_b32 v4, v42
	v_cmp_ne_u32_e32 vcc_lo, 0, v67
	s_wait_dscnt 0x0
	v_mov_b32_dpp v5, v4 row_shr:1 row_mask:0xf bank_mask:0xf
	s_wait_alu 0xfffd
	s_delay_alu instid0(VALU_DEP_1) | instskip(SKIP_1) | instid1(VALU_DEP_2)
	v_cndmask_b32_e32 v5, 0, v5, vcc_lo
	v_cmp_lt_u32_e32 vcc_lo, 1, v67
	v_add_nc_u32_e32 v4, v5, v4
	s_delay_alu instid0(VALU_DEP_1) | instskip(SKIP_1) | instid1(VALU_DEP_1)
	v_mov_b32_dpp v5, v4 row_shr:2 row_mask:0xf bank_mask:0xf
	s_wait_alu 0xfffd
	v_cndmask_b32_e32 v5, 0, v5, vcc_lo
	v_cmp_lt_u32_e32 vcc_lo, 3, v67
	s_delay_alu instid0(VALU_DEP_2) | instskip(NEXT) | instid1(VALU_DEP_1)
	v_add_nc_u32_e32 v4, v4, v5
	v_mov_b32_dpp v5, v4 row_shr:4 row_mask:0xf bank_mask:0xf
	s_wait_alu 0xfffd
	s_delay_alu instid0(VALU_DEP_1) | instskip(NEXT) | instid1(VALU_DEP_1)
	v_cndmask_b32_e32 v5, 0, v5, vcc_lo
	v_add_nc_u32_e32 v4, v4, v5
	ds_store_b32 v42, v4
.LBB1981_230:                           ;   in Loop: Header=BB1981_20 Depth=1
	s_wait_alu 0xfffe
	s_or_b32 exec_lo, exec_lo, s12
	v_mov_b32_e32 v4, 0
	s_wait_loadcnt_dscnt 0x0
	s_barrier_signal -1
	s_barrier_wait -1
	global_inv scope:SCOPE_SE
	s_and_saveexec_b32 s12, s5
; %bb.231:                              ;   in Loop: Header=BB1981_20 Depth=1
	ds_load_b32 v4, v44
; %bb.232:                              ;   in Loop: Header=BB1981_20 Depth=1
	s_wait_alu 0xfffe
	s_or_b32 exec_lo, exec_lo, s12
	v_cmp_gt_i32_e32 vcc_lo, 0, v68
	s_wait_dscnt 0x0
	v_add_nc_u32_e32 v2, v4, v2
	s_wait_loadcnt 0x0
	s_barrier_signal -1
	s_barrier_wait -1
	s_wait_alu 0xfffd
	v_cndmask_b32_e32 v5, v68, v59, vcc_lo
	global_inv scope:SCOPE_SE
	v_lshlrev_b32_e32 v87, 2, v5
	ds_bpermute_b32 v2, v87, v2
	s_and_saveexec_b32 s12, s2
	s_cbranch_execz .LBB1981_234
; %bb.233:                              ;   in Loop: Header=BB1981_20 Depth=1
	s_wait_dscnt 0x0
	v_cndmask_b32_e64 v2, v2, v4, s8
	s_delay_alu instid0(VALU_DEP_1)
	v_add_nc_u32_e32 v2, s33, v2
	ds_store_b32 v28, v2
.LBB1981_234:                           ;   in Loop: Header=BB1981_20 Depth=1
	s_wait_alu 0xfffe
	s_or_b32 exec_lo, exec_lo, s12
	s_load_b64 s[12:13], s[28:29], 0x0
	v_add_co_u32 v88, vcc_lo, v51, v69
	s_wait_alu 0xfffd
	v_add_co_ci_u32_e64 v89, null, 0, v52, vcc_lo
	v_add_co_u32 v90, vcc_lo, v53, v77
	s_wait_alu 0xfffd
	v_add_co_ci_u32_e64 v91, null, 0, v54, vcc_lo
	s_mov_b32 s43, s47
                                        ; implicit-def: $vgpr6_vgpr7
                                        ; implicit-def: $vgpr8_vgpr9
                                        ; implicit-def: $vgpr10_vgpr11
                                        ; implicit-def: $vgpr12_vgpr13
                                        ; implicit-def: $vgpr14_vgpr15
                                        ; implicit-def: $vgpr16_vgpr17
                                        ; implicit-def: $vgpr18_vgpr19
                                        ; implicit-def: $vgpr93
                                        ; implicit-def: $vgpr94
                                        ; implicit-def: $vgpr95
                                        ; implicit-def: $vgpr96
                                        ; implicit-def: $vgpr97
                                        ; implicit-def: $vgpr98
                                        ; implicit-def: $vgpr99
                                        ; implicit-def: $vgpr100
	s_wait_kmcnt 0x0
	s_cmp_lt_u32 ttmp7, s13
	s_cselect_b32 s30, 14, 20
	s_cmp_lt_u32 ttmp9, s12
	s_wait_alu 0xfffe
	s_add_nc_u64 s[14:15], s[28:29], s[30:31]
	s_cselect_b32 s30, 12, 18
	s_load_u16 s14, s[14:15], 0x0
	s_add_nc_u64 s[12:13], s[28:29], s[30:31]
	s_mov_b32 s30, s33
	s_load_u16 s12, s[12:13], 0x0
	v_cmp_lt_u32_e64 s13, 1, v67
	s_wait_dscnt 0x0
	s_wait_kmcnt 0x0
	v_mad_u32_u24 v2, v45, s14, v0
	v_cmp_lt_u32_e64 s14, 3, v67
	s_delay_alu instid0(VALU_DEP_2) | instskip(SKIP_1) | instid1(VALU_DEP_2)
	v_mad_co_u64_u32 v[4:5], null, v2, s12, v[1:2]
	v_cmp_eq_u32_e64 s12, 0, v67
	v_lshrrev_b32_e32 v2, 3, v4
                                        ; implicit-def: $vgpr4_vgpr5
	s_delay_alu instid0(VALU_DEP_1)
	v_and_b32_e32 v92, 0x1ffffffc, v2
	s_branch .LBB1981_236
.LBB1981_235:                           ;   in Loop: Header=BB1981_236 Depth=2
	s_wait_alu 0xfffe
	s_or_b32 exec_lo, exec_lo, s15
	s_addk_co_i32 s43, 0xf800
	s_cmp_lt_u32 s44, s34
	s_mov_b32 s30, s44
	s_cbranch_scc0 .LBB1981_348
.LBB1981_236:                           ;   Parent Loop BB1981_20 Depth=1
                                        ; =>  This Inner Loop Header: Depth=2
	s_wait_alu 0xfffe
	s_add_co_i32 s44, s30, 0x800
	s_wait_alu 0xfffe
	s_cmp_gt_u32 s44, s34
	s_cbranch_scc1 .LBB1981_238
; %bb.237:                              ;   in Loop: Header=BB1981_236 Depth=2
	s_lshl_b64 s[16:17], s[30:31], 1
	s_mov_b32 s15, -1
	s_wait_alu 0xfffe
	v_add_co_u32 v20, vcc_lo, v90, s16
	s_wait_alu 0xfffd
	v_add_co_ci_u32_e64 v21, null, s17, v91, vcc_lo
	s_clause 0x6
	global_load_u16 v2, v[20:21], off
	global_load_u16 v27, v[20:21], off offset:64
	global_load_u16 v26, v[20:21], off offset:128
	;; [unrolled: 1-line block ×6, first 2 shown]
	s_movk_i32 s16, 0x800
	s_cbranch_execz .LBB1981_239
	s_branch .LBB1981_254
.LBB1981_238:                           ;   in Loop: Header=BB1981_236 Depth=2
	s_mov_b32 s15, 0
                                        ; implicit-def: $vgpr2
                                        ; implicit-def: $vgpr27
                                        ; implicit-def: $vgpr26
                                        ; implicit-def: $vgpr25
                                        ; implicit-def: $vgpr24
                                        ; implicit-def: $vgpr23
                                        ; implicit-def: $vgpr22
	s_movk_i32 s16, 0x800
.LBB1981_239:                           ;   in Loop: Header=BB1981_236 Depth=2
	s_lshl_b64 s[16:17], s[30:31], 1
	s_wait_loadcnt 0x5
	v_dual_mov_b32 v27, -1 :: v_dual_mov_b32 v2, -1
	s_wait_alu 0xfffe
	v_add_co_u32 v20, vcc_lo, v90, s16
	s_wait_alu 0xfffd
	v_add_co_ci_u32_e64 v21, null, s17, v91, vcc_lo
	s_mov_b32 s15, exec_lo
	v_cmpx_gt_u32_e64 s43, v66
	s_cbranch_execz .LBB1981_241
; %bb.240:                              ;   in Loop: Header=BB1981_236 Depth=2
	global_load_u16 v2, v[20:21], off
.LBB1981_241:                           ;   in Loop: Header=BB1981_236 Depth=2
	s_wait_alu 0xfffe
	s_or_b32 exec_lo, exec_lo, s15
	s_delay_alu instid0(SALU_CYCLE_1)
	s_mov_b32 s15, exec_lo
	v_cmpx_gt_u32_e64 s43, v70
	s_cbranch_execz .LBB1981_243
; %bb.242:                              ;   in Loop: Header=BB1981_236 Depth=2
	global_load_u16 v27, v[20:21], off offset:64
.LBB1981_243:                           ;   in Loop: Header=BB1981_236 Depth=2
	s_wait_alu 0xfffe
	s_or_b32 exec_lo, exec_lo, s15
	s_wait_loadcnt 0x3
	v_dual_mov_b32 v25, -1 :: v_dual_mov_b32 v26, -1
	s_mov_b32 s15, exec_lo
	v_cmpx_gt_u32_e64 s43, v71
	s_cbranch_execz .LBB1981_245
; %bb.244:                              ;   in Loop: Header=BB1981_236 Depth=2
	global_load_u16 v26, v[20:21], off offset:128
.LBB1981_245:                           ;   in Loop: Header=BB1981_236 Depth=2
	s_wait_alu 0xfffe
	s_or_b32 exec_lo, exec_lo, s15
	s_delay_alu instid0(SALU_CYCLE_1)
	s_mov_b32 s15, exec_lo
	v_cmpx_gt_u32_e64 s43, v72
	s_cbranch_execz .LBB1981_247
; %bb.246:                              ;   in Loop: Header=BB1981_236 Depth=2
	global_load_u16 v25, v[20:21], off offset:192
.LBB1981_247:                           ;   in Loop: Header=BB1981_236 Depth=2
	s_wait_alu 0xfffe
	s_or_b32 exec_lo, exec_lo, s15
	s_wait_loadcnt 0x1
	v_dual_mov_b32 v23, -1 :: v_dual_mov_b32 v24, -1
	s_mov_b32 s15, exec_lo
	v_cmpx_gt_u32_e64 s43, v73
	s_cbranch_execz .LBB1981_249
; %bb.248:                              ;   in Loop: Header=BB1981_236 Depth=2
	global_load_u16 v24, v[20:21], off offset:256
.LBB1981_249:                           ;   in Loop: Header=BB1981_236 Depth=2
	s_wait_alu 0xfffe
	s_or_b32 exec_lo, exec_lo, s15
	s_delay_alu instid0(SALU_CYCLE_1)
	s_mov_b32 s15, exec_lo
	v_cmpx_gt_u32_e64 s43, v74
	s_cbranch_execz .LBB1981_251
; %bb.250:                              ;   in Loop: Header=BB1981_236 Depth=2
	global_load_u16 v23, v[20:21], off offset:320
.LBB1981_251:                           ;   in Loop: Header=BB1981_236 Depth=2
	s_wait_alu 0xfffe
	s_or_b32 exec_lo, exec_lo, s15
	s_wait_loadcnt 0x0
	v_mov_b32_e32 v22, -1
	s_mov_b32 s15, exec_lo
	v_cmpx_gt_u32_e64 s43, v75
	s_cbranch_execz .LBB1981_253
; %bb.252:                              ;   in Loop: Header=BB1981_236 Depth=2
	global_load_u16 v22, v[20:21], off offset:384
.LBB1981_253:                           ;   in Loop: Header=BB1981_236 Depth=2
	s_wait_alu 0xfffe
	s_or_b32 exec_lo, exec_lo, s15
	v_cmp_gt_u32_e64 s15, s43, v76
	s_sub_co_i32 s16, s34, s30
.LBB1981_254:                           ;   in Loop: Header=BB1981_236 Depth=2
	v_dual_mov_b32 v20, -1 :: v_dual_mov_b32 v101, s43
	s_and_saveexec_b32 s17, s15
	s_cbranch_execz .LBB1981_256
; %bb.255:                              ;   in Loop: Header=BB1981_236 Depth=2
	s_lshl_b64 s[18:19], s[30:31], 1
	s_wait_alu 0xfffe
	v_mov_b32_e32 v101, s16
	v_add_co_u32 v20, vcc_lo, v90, s18
	s_wait_alu 0xfffd
	v_add_co_ci_u32_e64 v21, null, s19, v91, vcc_lo
	global_load_u16 v20, v[20:21], off offset:448
.LBB1981_256:                           ;   in Loop: Header=BB1981_236 Depth=2
	s_wait_alu 0xfffe
	s_or_b32 exec_lo, exec_lo, s17
	s_wait_loadcnt 0x6
	v_cmp_gt_i16_e32 vcc_lo, 0, v2
	ds_store_2addr_b32 v81, v3, v3 offset1:1
	ds_store_2addr_b32 v78, v3, v3 offset1:1
	;; [unrolled: 1-line block ×4, first 2 shown]
	ds_store_b32 v43, v3 offset:1088
	s_wait_loadcnt_dscnt 0x0
	s_barrier_signal -1
	s_wait_alu 0xfffd
	v_cndmask_b32_e64 v21, 0x7fff, 0, vcc_lo
	s_barrier_wait -1
	global_inv scope:SCOPE_SE
	; wave barrier
	v_xor_b32_e32 v2, v21, v2
	s_delay_alu instid0(VALU_DEP_1) | instskip(SKIP_2) | instid1(VALU_DEP_1)
	v_cmp_ne_u16_e32 vcc_lo, 0x8000, v2
	s_wait_alu 0xfffd
	v_cndmask_b32_e32 v21, 0x7fff, v2, vcc_lo
	v_and_b32_e32 v21, 0xffff, v21
	s_delay_alu instid0(VALU_DEP_1) | instskip(NEXT) | instid1(VALU_DEP_1)
	v_lshrrev_b32_e32 v21, s23, v21
	v_and_b32_e32 v103, s42, v21
	s_delay_alu instid0(VALU_DEP_1)
	v_and_b32_e32 v21, 1, v103
	v_lshlrev_b32_e32 v102, 30, v103
	v_lshlrev_b32_e32 v104, 29, v103
	v_lshlrev_b32_e32 v105, 28, v103
	v_lshlrev_b32_e32 v107, 27, v103
	v_add_co_u32 v21, s15, v21, -1
	s_wait_alu 0xf1ff
	v_cndmask_b32_e64 v106, 0, 1, s15
	v_not_b32_e32 v110, v102
	v_cmp_gt_i32_e64 s15, 0, v102
	v_not_b32_e32 v102, v104
	v_lshlrev_b32_e32 v108, 26, v103
	v_cmp_ne_u32_e32 vcc_lo, 0, v106
	v_ashrrev_i32_e32 v110, 31, v110
	v_lshlrev_b32_e32 v109, 25, v103
	v_ashrrev_i32_e32 v102, 31, v102
	v_lshlrev_b32_e32 v106, 24, v103
	s_wait_alu 0xfffd
	v_xor_b32_e32 v21, vcc_lo, v21
	v_cmp_gt_i32_e32 vcc_lo, 0, v104
	v_not_b32_e32 v104, v105
	s_wait_alu 0xf1ff
	v_xor_b32_e32 v110, s15, v110
	v_cmp_gt_i32_e64 s15, 0, v105
	v_and_b32_e32 v21, exec_lo, v21
	v_not_b32_e32 v105, v107
	v_ashrrev_i32_e32 v104, 31, v104
	s_wait_alu 0xfffd
	v_xor_b32_e32 v102, vcc_lo, v102
	v_cmp_gt_i32_e32 vcc_lo, 0, v107
	v_and_b32_e32 v21, v21, v110
	v_not_b32_e32 v107, v108
	v_ashrrev_i32_e32 v105, 31, v105
	s_wait_alu 0xf1ff
	v_xor_b32_e32 v104, s15, v104
	v_cmp_gt_i32_e64 s15, 0, v108
	v_and_b32_e32 v21, v21, v102
	v_not_b32_e32 v102, v109
	v_ashrrev_i32_e32 v107, 31, v107
	s_wait_alu 0xfffd
	v_xor_b32_e32 v105, vcc_lo, v105
	v_cmp_gt_i32_e32 vcc_lo, 0, v109
	v_and_b32_e32 v21, v21, v104
	v_not_b32_e32 v104, v106
	v_ashrrev_i32_e32 v102, 31, v102
	s_wait_alu 0xf1ff
	v_xor_b32_e32 v107, s15, v107
	v_cmp_gt_i32_e64 s15, 0, v106
	v_and_b32_e32 v21, v21, v105
	v_ashrrev_i32_e32 v104, 31, v104
	s_wait_alu 0xfffd
	v_xor_b32_e32 v102, vcc_lo, v102
	v_mul_u32_u24_e32 v103, 36, v103
	v_and_b32_e32 v21, v21, v107
	s_wait_alu 0xf1ff
	v_xor_b32_e32 v104, s15, v104
	s_delay_alu instid0(VALU_DEP_2) | instskip(NEXT) | instid1(VALU_DEP_1)
	v_and_b32_e32 v21, v21, v102
	v_and_b32_e32 v21, v21, v104
	v_add_nc_u32_e32 v104, v92, v103
	s_delay_alu instid0(VALU_DEP_2) | instskip(SKIP_1) | instid1(VALU_DEP_2)
	v_mbcnt_lo_u32_b32 v102, v21, 0
	v_cmp_ne_u32_e64 s15, 0, v21
	v_cmp_eq_u32_e32 vcc_lo, 0, v102
	s_and_b32 s16, s15, vcc_lo
	s_wait_alu 0xfffe
	s_and_saveexec_b32 s15, s16
; %bb.257:                              ;   in Loop: Header=BB1981_236 Depth=2
	v_bcnt_u32_b32 v21, v21, 0
	ds_store_b32 v104, v21 offset:1056
; %bb.258:                              ;   in Loop: Header=BB1981_236 Depth=2
	s_wait_alu 0xfffe
	s_or_b32 exec_lo, exec_lo, s15
	v_cmp_gt_i16_e32 vcc_lo, 0, v27
	; wave barrier
	s_wait_alu 0xfffd
	v_cndmask_b32_e64 v21, 0x7fff, 0, vcc_lo
	s_delay_alu instid0(VALU_DEP_1) | instskip(NEXT) | instid1(VALU_DEP_1)
	v_xor_b32_e32 v103, v21, v27
	v_cmp_ne_u16_e32 vcc_lo, 0x8000, v103
	s_wait_alu 0xfffd
	v_cndmask_b32_e32 v21, 0x7fff, v103, vcc_lo
	s_delay_alu instid0(VALU_DEP_1) | instskip(NEXT) | instid1(VALU_DEP_1)
	v_and_b32_e32 v21, 0xffff, v21
	v_lshrrev_b32_e32 v21, s23, v21
	s_delay_alu instid0(VALU_DEP_1) | instskip(NEXT) | instid1(VALU_DEP_1)
	v_and_b32_e32 v27, s42, v21
	v_and_b32_e32 v21, 1, v27
	v_lshlrev_b32_e32 v105, 30, v27
	v_lshlrev_b32_e32 v106, 29, v27
	;; [unrolled: 1-line block ×4, first 2 shown]
	v_add_co_u32 v21, s15, v21, -1
	s_wait_alu 0xf1ff
	v_cndmask_b32_e64 v108, 0, 1, s15
	v_not_b32_e32 v112, v105
	v_cmp_gt_i32_e64 s15, 0, v105
	v_not_b32_e32 v105, v106
	v_lshlrev_b32_e32 v110, 26, v27
	v_cmp_ne_u32_e32 vcc_lo, 0, v108
	v_ashrrev_i32_e32 v112, 31, v112
	v_lshlrev_b32_e32 v111, 25, v27
	v_ashrrev_i32_e32 v105, 31, v105
	v_lshlrev_b32_e32 v108, 24, v27
	s_wait_alu 0xfffd
	v_xor_b32_e32 v21, vcc_lo, v21
	v_cmp_gt_i32_e32 vcc_lo, 0, v106
	v_not_b32_e32 v106, v107
	s_wait_alu 0xf1ff
	v_xor_b32_e32 v112, s15, v112
	v_cmp_gt_i32_e64 s15, 0, v107
	v_and_b32_e32 v21, exec_lo, v21
	v_not_b32_e32 v107, v109
	v_ashrrev_i32_e32 v106, 31, v106
	s_wait_alu 0xfffd
	v_xor_b32_e32 v105, vcc_lo, v105
	v_cmp_gt_i32_e32 vcc_lo, 0, v109
	v_and_b32_e32 v21, v21, v112
	v_not_b32_e32 v109, v110
	v_ashrrev_i32_e32 v107, 31, v107
	s_wait_alu 0xf1ff
	v_xor_b32_e32 v106, s15, v106
	v_cmp_gt_i32_e64 s15, 0, v110
	v_and_b32_e32 v21, v21, v105
	v_not_b32_e32 v105, v111
	v_ashrrev_i32_e32 v109, 31, v109
	s_wait_alu 0xfffd
	v_xor_b32_e32 v107, vcc_lo, v107
	v_cmp_gt_i32_e32 vcc_lo, 0, v111
	v_and_b32_e32 v21, v21, v106
	v_not_b32_e32 v106, v108
	v_ashrrev_i32_e32 v105, 31, v105
	s_wait_alu 0xf1ff
	v_xor_b32_e32 v109, s15, v109
	v_cmp_gt_i32_e64 s15, 0, v108
	v_and_b32_e32 v21, v21, v107
	v_ashrrev_i32_e32 v106, 31, v106
	s_wait_alu 0xfffd
	v_xor_b32_e32 v105, vcc_lo, v105
	v_mad_u32_u24 v107, v27, 36, v92
	v_mul_u32_u24_e32 v27, 36, v27
	v_and_b32_e32 v21, v21, v109
	s_wait_alu 0xf1ff
	v_xor_b32_e32 v106, s15, v106
	s_delay_alu instid0(VALU_DEP_3) | instskip(NEXT) | instid1(VALU_DEP_3)
	v_add_nc_u32_e32 v108, v92, v27
	v_and_b32_e32 v21, v21, v105
	ds_load_b32 v105, v107 offset:1056
	; wave barrier
	v_and_b32_e32 v21, v21, v106
	s_delay_alu instid0(VALU_DEP_1) | instskip(SKIP_1) | instid1(VALU_DEP_2)
	v_mbcnt_lo_u32_b32 v106, v21, 0
	v_cmp_ne_u32_e64 s15, 0, v21
	v_cmp_eq_u32_e32 vcc_lo, 0, v106
	s_and_b32 s16, s15, vcc_lo
	s_wait_alu 0xfffe
	s_and_saveexec_b32 s15, s16
	s_cbranch_execz .LBB1981_260
; %bb.259:                              ;   in Loop: Header=BB1981_236 Depth=2
	s_wait_dscnt 0x0
	v_bcnt_u32_b32 v21, v21, v105
	ds_store_b32 v108, v21 offset:1056
.LBB1981_260:                           ;   in Loop: Header=BB1981_236 Depth=2
	s_wait_alu 0xfffe
	s_or_b32 exec_lo, exec_lo, s15
	v_cmp_gt_i16_e32 vcc_lo, 0, v26
	; wave barrier
	s_wait_alu 0xfffd
	v_cndmask_b32_e64 v21, 0x7fff, 0, vcc_lo
	s_delay_alu instid0(VALU_DEP_1) | instskip(NEXT) | instid1(VALU_DEP_1)
	v_xor_b32_e32 v107, v21, v26
	v_cmp_ne_u16_e32 vcc_lo, 0x8000, v107
	s_wait_alu 0xfffd
	v_cndmask_b32_e32 v21, 0x7fff, v107, vcc_lo
	s_delay_alu instid0(VALU_DEP_1) | instskip(NEXT) | instid1(VALU_DEP_1)
	v_and_b32_e32 v21, 0xffff, v21
	v_lshrrev_b32_e32 v21, s23, v21
	s_delay_alu instid0(VALU_DEP_1) | instskip(NEXT) | instid1(VALU_DEP_1)
	v_and_b32_e32 v26, s42, v21
	v_and_b32_e32 v21, 1, v26
	v_lshlrev_b32_e32 v27, 30, v26
	v_lshlrev_b32_e32 v109, 29, v26
	;; [unrolled: 1-line block ×4, first 2 shown]
	v_add_co_u32 v21, s15, v21, -1
	s_wait_alu 0xf1ff
	v_cndmask_b32_e64 v111, 0, 1, s15
	v_not_b32_e32 v115, v27
	v_cmp_gt_i32_e64 s15, 0, v27
	v_not_b32_e32 v27, v109
	v_lshlrev_b32_e32 v113, 26, v26
	v_cmp_ne_u32_e32 vcc_lo, 0, v111
	v_ashrrev_i32_e32 v115, 31, v115
	v_lshlrev_b32_e32 v114, 25, v26
	v_ashrrev_i32_e32 v27, 31, v27
	v_lshlrev_b32_e32 v111, 24, v26
	s_wait_alu 0xfffd
	v_xor_b32_e32 v21, vcc_lo, v21
	v_cmp_gt_i32_e32 vcc_lo, 0, v109
	v_not_b32_e32 v109, v110
	s_wait_alu 0xf1ff
	v_xor_b32_e32 v115, s15, v115
	v_cmp_gt_i32_e64 s15, 0, v110
	v_and_b32_e32 v21, exec_lo, v21
	v_not_b32_e32 v110, v112
	v_ashrrev_i32_e32 v109, 31, v109
	s_wait_alu 0xfffd
	v_xor_b32_e32 v27, vcc_lo, v27
	v_cmp_gt_i32_e32 vcc_lo, 0, v112
	v_and_b32_e32 v21, v21, v115
	v_not_b32_e32 v112, v113
	v_ashrrev_i32_e32 v110, 31, v110
	s_wait_alu 0xf1ff
	v_xor_b32_e32 v109, s15, v109
	v_cmp_gt_i32_e64 s15, 0, v113
	v_and_b32_e32 v21, v21, v27
	v_not_b32_e32 v27, v114
	v_ashrrev_i32_e32 v112, 31, v112
	s_wait_alu 0xfffd
	v_xor_b32_e32 v110, vcc_lo, v110
	v_cmp_gt_i32_e32 vcc_lo, 0, v114
	v_and_b32_e32 v21, v21, v109
	v_not_b32_e32 v109, v111
	v_ashrrev_i32_e32 v27, 31, v27
	s_wait_alu 0xf1ff
	v_xor_b32_e32 v112, s15, v112
	v_cmp_gt_i32_e64 s15, 0, v111
	v_and_b32_e32 v21, v21, v110
	v_ashrrev_i32_e32 v109, 31, v109
	s_wait_alu 0xfffd
	v_xor_b32_e32 v27, vcc_lo, v27
	v_mad_u32_u24 v110, v26, 36, v92
	v_mul_u32_u24_e32 v26, 36, v26
	v_and_b32_e32 v21, v21, v112
	s_wait_alu 0xf1ff
	v_xor_b32_e32 v111, s15, v109
	ds_load_b32 v109, v110 offset:1056
	v_add_nc_u32_e32 v112, v92, v26
	v_and_b32_e32 v21, v21, v27
	; wave barrier
	s_delay_alu instid0(VALU_DEP_1) | instskip(NEXT) | instid1(VALU_DEP_1)
	v_and_b32_e32 v21, v21, v111
	v_mbcnt_lo_u32_b32 v111, v21, 0
	v_cmp_ne_u32_e64 s15, 0, v21
	s_delay_alu instid0(VALU_DEP_2)
	v_cmp_eq_u32_e32 vcc_lo, 0, v111
	s_and_b32 s16, s15, vcc_lo
	s_wait_alu 0xfffe
	s_and_saveexec_b32 s15, s16
	s_cbranch_execz .LBB1981_262
; %bb.261:                              ;   in Loop: Header=BB1981_236 Depth=2
	s_wait_dscnt 0x0
	v_bcnt_u32_b32 v21, v21, v109
	ds_store_b32 v112, v21 offset:1056
.LBB1981_262:                           ;   in Loop: Header=BB1981_236 Depth=2
	s_wait_alu 0xfffe
	s_or_b32 exec_lo, exec_lo, s15
	v_cmp_gt_i16_e32 vcc_lo, 0, v25
	; wave barrier
	s_wait_alu 0xfffd
	v_cndmask_b32_e64 v21, 0x7fff, 0, vcc_lo
	s_delay_alu instid0(VALU_DEP_1) | instskip(NEXT) | instid1(VALU_DEP_1)
	v_xor_b32_e32 v110, v21, v25
	v_cmp_ne_u16_e32 vcc_lo, 0x8000, v110
	s_wait_alu 0xfffd
	v_cndmask_b32_e32 v21, 0x7fff, v110, vcc_lo
	s_delay_alu instid0(VALU_DEP_1) | instskip(NEXT) | instid1(VALU_DEP_1)
	v_and_b32_e32 v21, 0xffff, v21
	v_lshrrev_b32_e32 v21, s23, v21
	s_delay_alu instid0(VALU_DEP_1) | instskip(NEXT) | instid1(VALU_DEP_1)
	v_and_b32_e32 v25, s42, v21
	v_and_b32_e32 v21, 1, v25
	v_lshlrev_b32_e32 v26, 30, v25
	v_lshlrev_b32_e32 v27, 29, v25
	;; [unrolled: 1-line block ×4, first 2 shown]
	v_add_co_u32 v21, s15, v21, -1
	s_wait_alu 0xf1ff
	v_cndmask_b32_e64 v114, 0, 1, s15
	v_not_b32_e32 v118, v26
	v_cmp_gt_i32_e64 s15, 0, v26
	v_not_b32_e32 v26, v27
	v_lshlrev_b32_e32 v116, 26, v25
	v_cmp_ne_u32_e32 vcc_lo, 0, v114
	v_ashrrev_i32_e32 v118, 31, v118
	v_lshlrev_b32_e32 v117, 25, v25
	v_ashrrev_i32_e32 v26, 31, v26
	v_lshlrev_b32_e32 v114, 24, v25
	s_wait_alu 0xfffd
	v_xor_b32_e32 v21, vcc_lo, v21
	v_cmp_gt_i32_e32 vcc_lo, 0, v27
	v_not_b32_e32 v27, v113
	s_wait_alu 0xf1ff
	v_xor_b32_e32 v118, s15, v118
	v_cmp_gt_i32_e64 s15, 0, v113
	v_and_b32_e32 v21, exec_lo, v21
	v_not_b32_e32 v113, v115
	v_ashrrev_i32_e32 v27, 31, v27
	s_wait_alu 0xfffd
	v_xor_b32_e32 v26, vcc_lo, v26
	v_cmp_gt_i32_e32 vcc_lo, 0, v115
	v_and_b32_e32 v21, v21, v118
	v_not_b32_e32 v115, v116
	v_ashrrev_i32_e32 v113, 31, v113
	s_wait_alu 0xf1ff
	v_xor_b32_e32 v27, s15, v27
	v_cmp_gt_i32_e64 s15, 0, v116
	v_and_b32_e32 v21, v21, v26
	v_not_b32_e32 v26, v117
	v_ashrrev_i32_e32 v115, 31, v115
	s_wait_alu 0xfffd
	v_xor_b32_e32 v113, vcc_lo, v113
	v_cmp_gt_i32_e32 vcc_lo, 0, v117
	v_and_b32_e32 v21, v21, v27
	v_not_b32_e32 v27, v114
	v_ashrrev_i32_e32 v26, 31, v26
	s_wait_alu 0xf1ff
	v_xor_b32_e32 v115, s15, v115
	v_cmp_gt_i32_e64 s15, 0, v114
	v_and_b32_e32 v21, v21, v113
	v_ashrrev_i32_e32 v27, 31, v27
	s_wait_alu 0xfffd
	v_xor_b32_e32 v26, vcc_lo, v26
	v_mad_u32_u24 v113, v25, 36, v92
	v_mul_u32_u24_e32 v25, 36, v25
	v_and_b32_e32 v21, v21, v115
	s_wait_alu 0xf1ff
	v_xor_b32_e32 v27, s15, v27
	ds_load_b32 v113, v113 offset:1056
	v_add_nc_u32_e32 v116, v92, v25
	v_and_b32_e32 v21, v21, v26
	; wave barrier
	s_delay_alu instid0(VALU_DEP_1) | instskip(NEXT) | instid1(VALU_DEP_1)
	v_and_b32_e32 v21, v21, v27
	v_mbcnt_lo_u32_b32 v115, v21, 0
	v_cmp_ne_u32_e64 s15, 0, v21
	s_delay_alu instid0(VALU_DEP_2)
	v_cmp_eq_u32_e32 vcc_lo, 0, v115
	s_and_b32 s16, s15, vcc_lo
	s_wait_alu 0xfffe
	s_and_saveexec_b32 s15, s16
	s_cbranch_execz .LBB1981_264
; %bb.263:                              ;   in Loop: Header=BB1981_236 Depth=2
	s_wait_dscnt 0x0
	v_bcnt_u32_b32 v21, v21, v113
	ds_store_b32 v116, v21 offset:1056
.LBB1981_264:                           ;   in Loop: Header=BB1981_236 Depth=2
	s_wait_alu 0xfffe
	s_or_b32 exec_lo, exec_lo, s15
	v_cmp_gt_i16_e32 vcc_lo, 0, v24
	; wave barrier
	s_wait_alu 0xfffd
	v_cndmask_b32_e64 v21, 0x7fff, 0, vcc_lo
	s_delay_alu instid0(VALU_DEP_1) | instskip(NEXT) | instid1(VALU_DEP_1)
	v_xor_b32_e32 v114, v21, v24
	v_cmp_ne_u16_e32 vcc_lo, 0x8000, v114
	s_wait_alu 0xfffd
	v_cndmask_b32_e32 v21, 0x7fff, v114, vcc_lo
	s_delay_alu instid0(VALU_DEP_1) | instskip(NEXT) | instid1(VALU_DEP_1)
	v_and_b32_e32 v21, 0xffff, v21
	v_lshrrev_b32_e32 v21, s23, v21
	s_delay_alu instid0(VALU_DEP_1) | instskip(NEXT) | instid1(VALU_DEP_1)
	v_and_b32_e32 v24, s42, v21
	v_and_b32_e32 v21, 1, v24
	v_lshlrev_b32_e32 v25, 30, v24
	v_lshlrev_b32_e32 v26, 29, v24
	;; [unrolled: 1-line block ×4, first 2 shown]
	v_add_co_u32 v21, s15, v21, -1
	s_wait_alu 0xf1ff
	v_cndmask_b32_e64 v117, 0, 1, s15
	v_not_b32_e32 v121, v25
	v_cmp_gt_i32_e64 s15, 0, v25
	v_not_b32_e32 v25, v26
	v_lshlrev_b32_e32 v119, 26, v24
	v_cmp_ne_u32_e32 vcc_lo, 0, v117
	v_ashrrev_i32_e32 v121, 31, v121
	v_lshlrev_b32_e32 v120, 25, v24
	v_ashrrev_i32_e32 v25, 31, v25
	v_lshlrev_b32_e32 v117, 24, v24
	s_wait_alu 0xfffd
	v_xor_b32_e32 v21, vcc_lo, v21
	v_cmp_gt_i32_e32 vcc_lo, 0, v26
	v_not_b32_e32 v26, v27
	s_wait_alu 0xf1ff
	v_xor_b32_e32 v121, s15, v121
	v_cmp_gt_i32_e64 s15, 0, v27
	v_and_b32_e32 v21, exec_lo, v21
	v_not_b32_e32 v27, v118
	v_ashrrev_i32_e32 v26, 31, v26
	s_wait_alu 0xfffd
	v_xor_b32_e32 v25, vcc_lo, v25
	v_cmp_gt_i32_e32 vcc_lo, 0, v118
	v_and_b32_e32 v21, v21, v121
	v_not_b32_e32 v118, v119
	v_ashrrev_i32_e32 v27, 31, v27
	s_wait_alu 0xf1ff
	v_xor_b32_e32 v26, s15, v26
	v_cmp_gt_i32_e64 s15, 0, v119
	v_and_b32_e32 v21, v21, v25
	v_not_b32_e32 v25, v120
	v_ashrrev_i32_e32 v118, 31, v118
	s_wait_alu 0xfffd
	v_xor_b32_e32 v27, vcc_lo, v27
	v_cmp_gt_i32_e32 vcc_lo, 0, v120
	v_and_b32_e32 v21, v21, v26
	v_not_b32_e32 v26, v117
	v_ashrrev_i32_e32 v25, 31, v25
	s_wait_alu 0xf1ff
	v_xor_b32_e32 v118, s15, v118
	v_cmp_gt_i32_e64 s15, 0, v117
	v_and_b32_e32 v21, v21, v27
	v_ashrrev_i32_e32 v26, 31, v26
	s_wait_alu 0xfffd
	v_xor_b32_e32 v25, vcc_lo, v25
	v_mad_u32_u24 v27, v24, 36, v92
	v_mul_u32_u24_e32 v24, 36, v24
	v_and_b32_e32 v21, v21, v118
	s_wait_alu 0xf1ff
	v_xor_b32_e32 v26, s15, v26
	ds_load_b32 v117, v27 offset:1056
	v_add_nc_u32_e32 v120, v92, v24
	v_and_b32_e32 v21, v21, v25
	; wave barrier
	s_delay_alu instid0(VALU_DEP_1) | instskip(NEXT) | instid1(VALU_DEP_1)
	v_and_b32_e32 v21, v21, v26
	v_mbcnt_lo_u32_b32 v119, v21, 0
	v_cmp_ne_u32_e64 s15, 0, v21
	s_delay_alu instid0(VALU_DEP_2)
	v_cmp_eq_u32_e32 vcc_lo, 0, v119
	s_and_b32 s16, s15, vcc_lo
	s_wait_alu 0xfffe
	s_and_saveexec_b32 s15, s16
	s_cbranch_execz .LBB1981_266
; %bb.265:                              ;   in Loop: Header=BB1981_236 Depth=2
	s_wait_dscnt 0x0
	v_bcnt_u32_b32 v21, v21, v117
	ds_store_b32 v120, v21 offset:1056
.LBB1981_266:                           ;   in Loop: Header=BB1981_236 Depth=2
	s_wait_alu 0xfffe
	s_or_b32 exec_lo, exec_lo, s15
	v_cmp_gt_i16_e32 vcc_lo, 0, v23
	; wave barrier
	s_wait_alu 0xfffd
	v_cndmask_b32_e64 v21, 0x7fff, 0, vcc_lo
	s_delay_alu instid0(VALU_DEP_1) | instskip(NEXT) | instid1(VALU_DEP_1)
	v_xor_b32_e32 v118, v21, v23
	v_cmp_ne_u16_e32 vcc_lo, 0x8000, v118
	s_wait_alu 0xfffd
	v_cndmask_b32_e32 v21, 0x7fff, v118, vcc_lo
	s_delay_alu instid0(VALU_DEP_1) | instskip(NEXT) | instid1(VALU_DEP_1)
	v_and_b32_e32 v21, 0xffff, v21
	v_lshrrev_b32_e32 v21, s23, v21
	s_delay_alu instid0(VALU_DEP_1) | instskip(NEXT) | instid1(VALU_DEP_1)
	v_and_b32_e32 v23, s42, v21
	v_and_b32_e32 v21, 1, v23
	v_lshlrev_b32_e32 v24, 30, v23
	v_lshlrev_b32_e32 v25, 29, v23
	;; [unrolled: 1-line block ×4, first 2 shown]
	v_add_co_u32 v21, s15, v21, -1
	s_wait_alu 0xf1ff
	v_cndmask_b32_e64 v27, 0, 1, s15
	v_not_b32_e32 v124, v24
	v_cmp_gt_i32_e64 s15, 0, v24
	v_not_b32_e32 v24, v25
	v_lshlrev_b32_e32 v122, 26, v23
	v_cmp_ne_u32_e32 vcc_lo, 0, v27
	v_ashrrev_i32_e32 v124, 31, v124
	v_lshlrev_b32_e32 v123, 25, v23
	v_ashrrev_i32_e32 v24, 31, v24
	v_lshlrev_b32_e32 v27, 24, v23
	s_wait_alu 0xfffd
	v_xor_b32_e32 v21, vcc_lo, v21
	v_cmp_gt_i32_e32 vcc_lo, 0, v25
	v_not_b32_e32 v25, v26
	s_wait_alu 0xf1ff
	v_xor_b32_e32 v124, s15, v124
	v_cmp_gt_i32_e64 s15, 0, v26
	v_and_b32_e32 v21, exec_lo, v21
	v_not_b32_e32 v26, v121
	v_ashrrev_i32_e32 v25, 31, v25
	s_wait_alu 0xfffd
	v_xor_b32_e32 v24, vcc_lo, v24
	v_cmp_gt_i32_e32 vcc_lo, 0, v121
	v_and_b32_e32 v21, v21, v124
	v_not_b32_e32 v121, v122
	v_ashrrev_i32_e32 v26, 31, v26
	s_wait_alu 0xf1ff
	v_xor_b32_e32 v25, s15, v25
	v_cmp_gt_i32_e64 s15, 0, v122
	v_and_b32_e32 v21, v21, v24
	v_not_b32_e32 v24, v123
	v_ashrrev_i32_e32 v121, 31, v121
	s_wait_alu 0xfffd
	v_xor_b32_e32 v26, vcc_lo, v26
	v_cmp_gt_i32_e32 vcc_lo, 0, v123
	v_and_b32_e32 v21, v21, v25
	v_not_b32_e32 v25, v27
	v_ashrrev_i32_e32 v24, 31, v24
	s_wait_alu 0xf1ff
	v_xor_b32_e32 v121, s15, v121
	v_cmp_gt_i32_e64 s15, 0, v27
	v_and_b32_e32 v21, v21, v26
	v_ashrrev_i32_e32 v25, 31, v25
	s_wait_alu 0xfffd
	v_xor_b32_e32 v24, vcc_lo, v24
	v_mad_u32_u24 v26, v23, 36, v92
	v_mul_u32_u24_e32 v23, 36, v23
	v_and_b32_e32 v21, v21, v121
	s_wait_alu 0xf1ff
	v_xor_b32_e32 v25, s15, v25
	ds_load_b32 v121, v26 offset:1056
	v_add_nc_u32_e32 v124, v92, v23
	v_and_b32_e32 v21, v21, v24
	; wave barrier
	s_delay_alu instid0(VALU_DEP_1) | instskip(NEXT) | instid1(VALU_DEP_1)
	v_and_b32_e32 v21, v21, v25
	v_mbcnt_lo_u32_b32 v123, v21, 0
	v_cmp_ne_u32_e64 s15, 0, v21
	s_delay_alu instid0(VALU_DEP_2)
	v_cmp_eq_u32_e32 vcc_lo, 0, v123
	s_and_b32 s16, s15, vcc_lo
	s_wait_alu 0xfffe
	s_and_saveexec_b32 s15, s16
	s_cbranch_execz .LBB1981_268
; %bb.267:                              ;   in Loop: Header=BB1981_236 Depth=2
	s_wait_dscnt 0x0
	v_bcnt_u32_b32 v21, v21, v121
	ds_store_b32 v124, v21 offset:1056
.LBB1981_268:                           ;   in Loop: Header=BB1981_236 Depth=2
	s_wait_alu 0xfffe
	s_or_b32 exec_lo, exec_lo, s15
	v_cmp_gt_i16_e32 vcc_lo, 0, v22
	; wave barrier
	s_wait_alu 0xfffd
	v_cndmask_b32_e64 v21, 0x7fff, 0, vcc_lo
	s_delay_alu instid0(VALU_DEP_1) | instskip(NEXT) | instid1(VALU_DEP_1)
	v_xor_b32_e32 v122, v21, v22
	v_cmp_ne_u16_e32 vcc_lo, 0x8000, v122
	s_wait_alu 0xfffd
	v_cndmask_b32_e32 v21, 0x7fff, v122, vcc_lo
	s_delay_alu instid0(VALU_DEP_1) | instskip(NEXT) | instid1(VALU_DEP_1)
	v_and_b32_e32 v21, 0xffff, v21
	v_lshrrev_b32_e32 v21, s23, v21
	s_delay_alu instid0(VALU_DEP_1) | instskip(NEXT) | instid1(VALU_DEP_1)
	v_and_b32_e32 v22, s42, v21
	v_and_b32_e32 v21, 1, v22
	v_lshlrev_b32_e32 v23, 30, v22
	v_lshlrev_b32_e32 v24, 29, v22
	;; [unrolled: 1-line block ×4, first 2 shown]
	v_add_co_u32 v21, s15, v21, -1
	s_wait_alu 0xf1ff
	v_cndmask_b32_e64 v26, 0, 1, s15
	v_not_b32_e32 v127, v23
	v_cmp_gt_i32_e64 s15, 0, v23
	v_not_b32_e32 v23, v24
	v_lshlrev_b32_e32 v125, 26, v22
	v_cmp_ne_u32_e32 vcc_lo, 0, v26
	v_ashrrev_i32_e32 v127, 31, v127
	v_lshlrev_b32_e32 v126, 25, v22
	v_ashrrev_i32_e32 v23, 31, v23
	v_lshlrev_b32_e32 v26, 24, v22
	s_wait_alu 0xfffd
	v_xor_b32_e32 v21, vcc_lo, v21
	v_cmp_gt_i32_e32 vcc_lo, 0, v24
	v_not_b32_e32 v24, v25
	s_wait_alu 0xf1ff
	v_xor_b32_e32 v127, s15, v127
	v_cmp_gt_i32_e64 s15, 0, v25
	v_and_b32_e32 v21, exec_lo, v21
	v_not_b32_e32 v25, v27
	v_ashrrev_i32_e32 v24, 31, v24
	s_wait_alu 0xfffd
	v_xor_b32_e32 v23, vcc_lo, v23
	v_cmp_gt_i32_e32 vcc_lo, 0, v27
	v_and_b32_e32 v21, v21, v127
	v_not_b32_e32 v27, v125
	v_ashrrev_i32_e32 v25, 31, v25
	s_wait_alu 0xf1ff
	v_xor_b32_e32 v24, s15, v24
	v_cmp_gt_i32_e64 s15, 0, v125
	v_and_b32_e32 v21, v21, v23
	v_not_b32_e32 v23, v126
	v_ashrrev_i32_e32 v27, 31, v27
	s_wait_alu 0xfffd
	v_xor_b32_e32 v25, vcc_lo, v25
	v_cmp_gt_i32_e32 vcc_lo, 0, v126
	v_and_b32_e32 v21, v21, v24
	v_not_b32_e32 v24, v26
	v_ashrrev_i32_e32 v23, 31, v23
	s_wait_alu 0xf1ff
	v_xor_b32_e32 v27, s15, v27
	v_cmp_gt_i32_e64 s15, 0, v26
	v_and_b32_e32 v21, v21, v25
	v_ashrrev_i32_e32 v24, 31, v24
	s_wait_alu 0xfffd
	v_xor_b32_e32 v23, vcc_lo, v23
	v_mad_u32_u24 v25, v22, 36, v92
	v_mul_u32_u24_e32 v22, 36, v22
	v_and_b32_e32 v21, v21, v27
	s_wait_alu 0xf1ff
	v_xor_b32_e32 v24, s15, v24
	ds_load_b32 v125, v25 offset:1056
	v_add_nc_u32_e32 v128, v92, v22
	v_and_b32_e32 v21, v21, v23
	; wave barrier
	s_delay_alu instid0(VALU_DEP_1) | instskip(NEXT) | instid1(VALU_DEP_1)
	v_and_b32_e32 v21, v21, v24
	v_mbcnt_lo_u32_b32 v126, v21, 0
	v_cmp_ne_u32_e64 s15, 0, v21
	s_delay_alu instid0(VALU_DEP_2)
	v_cmp_eq_u32_e32 vcc_lo, 0, v126
	s_and_b32 s16, s15, vcc_lo
	s_wait_alu 0xfffe
	s_and_saveexec_b32 s15, s16
	s_cbranch_execz .LBB1981_270
; %bb.269:                              ;   in Loop: Header=BB1981_236 Depth=2
	s_wait_dscnt 0x0
	v_bcnt_u32_b32 v21, v21, v125
	ds_store_b32 v128, v21 offset:1056
.LBB1981_270:                           ;   in Loop: Header=BB1981_236 Depth=2
	s_wait_alu 0xfffe
	s_or_b32 exec_lo, exec_lo, s15
	v_cmp_gt_i16_e32 vcc_lo, 0, v20
	; wave barrier
	s_wait_alu 0xfffd
	v_cndmask_b32_e64 v21, 0x7fff, 0, vcc_lo
	s_delay_alu instid0(VALU_DEP_1) | instskip(NEXT) | instid1(VALU_DEP_1)
	v_xor_b32_e32 v127, v21, v20
	v_cmp_ne_u16_e32 vcc_lo, 0x8000, v127
	s_wait_alu 0xfffd
	v_cndmask_b32_e32 v20, 0x7fff, v127, vcc_lo
	s_delay_alu instid0(VALU_DEP_1) | instskip(NEXT) | instid1(VALU_DEP_1)
	v_and_b32_e32 v20, 0xffff, v20
	v_lshrrev_b32_e32 v20, s23, v20
	s_delay_alu instid0(VALU_DEP_1) | instskip(NEXT) | instid1(VALU_DEP_1)
	v_and_b32_e32 v21, s42, v20
	v_and_b32_e32 v20, 1, v21
	v_lshlrev_b32_e32 v22, 30, v21
	v_lshlrev_b32_e32 v23, 29, v21
	;; [unrolled: 1-line block ×4, first 2 shown]
	v_add_co_u32 v20, s15, v20, -1
	s_wait_alu 0xf1ff
	v_cndmask_b32_e64 v25, 0, 1, s15
	v_not_b32_e32 v130, v22
	v_cmp_gt_i32_e64 s15, 0, v22
	v_not_b32_e32 v22, v23
	v_lshlrev_b32_e32 v27, 26, v21
	v_cmp_ne_u32_e32 vcc_lo, 0, v25
	v_ashrrev_i32_e32 v130, 31, v130
	v_lshlrev_b32_e32 v129, 25, v21
	v_ashrrev_i32_e32 v22, 31, v22
	v_lshlrev_b32_e32 v25, 24, v21
	s_wait_alu 0xfffd
	v_xor_b32_e32 v20, vcc_lo, v20
	v_cmp_gt_i32_e32 vcc_lo, 0, v23
	v_not_b32_e32 v23, v24
	s_wait_alu 0xf1ff
	v_xor_b32_e32 v130, s15, v130
	v_cmp_gt_i32_e64 s15, 0, v24
	v_and_b32_e32 v20, exec_lo, v20
	v_not_b32_e32 v24, v26
	v_ashrrev_i32_e32 v23, 31, v23
	s_wait_alu 0xfffd
	v_xor_b32_e32 v22, vcc_lo, v22
	v_cmp_gt_i32_e32 vcc_lo, 0, v26
	v_and_b32_e32 v20, v20, v130
	v_not_b32_e32 v26, v27
	v_ashrrev_i32_e32 v24, 31, v24
	s_wait_alu 0xf1ff
	v_xor_b32_e32 v23, s15, v23
	v_cmp_gt_i32_e64 s15, 0, v27
	v_and_b32_e32 v20, v20, v22
	v_not_b32_e32 v22, v129
	v_ashrrev_i32_e32 v26, 31, v26
	s_wait_alu 0xfffd
	v_xor_b32_e32 v24, vcc_lo, v24
	v_cmp_gt_i32_e32 vcc_lo, 0, v129
	v_and_b32_e32 v20, v20, v23
	v_not_b32_e32 v23, v25
	v_ashrrev_i32_e32 v22, 31, v22
	s_wait_alu 0xf1ff
	v_xor_b32_e32 v26, s15, v26
	v_cmp_gt_i32_e64 s15, 0, v25
	v_and_b32_e32 v20, v20, v24
	v_ashrrev_i32_e32 v23, 31, v23
	s_wait_alu 0xfffd
	v_xor_b32_e32 v22, vcc_lo, v22
	v_mad_u32_u24 v24, v21, 36, v92
	v_mul_u32_u24_e32 v21, 36, v21
	v_and_b32_e32 v20, v20, v26
	s_wait_alu 0xf1ff
	v_xor_b32_e32 v23, s15, v23
	ds_load_b32 v129, v24 offset:1056
	v_add_nc_u32_e32 v131, v92, v21
	v_and_b32_e32 v20, v20, v22
	; wave barrier
	s_delay_alu instid0(VALU_DEP_1) | instskip(NEXT) | instid1(VALU_DEP_1)
	v_and_b32_e32 v20, v20, v23
	v_mbcnt_lo_u32_b32 v130, v20, 0
	v_cmp_ne_u32_e64 s15, 0, v20
	s_delay_alu instid0(VALU_DEP_2)
	v_cmp_eq_u32_e32 vcc_lo, 0, v130
	s_and_b32 s16, s15, vcc_lo
	s_wait_alu 0xfffe
	s_and_saveexec_b32 s15, s16
	s_cbranch_execz .LBB1981_272
; %bb.271:                              ;   in Loop: Header=BB1981_236 Depth=2
	s_wait_dscnt 0x0
	v_bcnt_u32_b32 v20, v20, v129
	ds_store_b32 v131, v20 offset:1056
.LBB1981_272:                           ;   in Loop: Header=BB1981_236 Depth=2
	s_wait_alu 0xfffe
	s_or_b32 exec_lo, exec_lo, s15
	; wave barrier
	s_wait_loadcnt_dscnt 0x0
	s_barrier_signal -1
	s_barrier_wait -1
	global_inv scope:SCOPE_SE
	ds_load_2addr_b32 v[26:27], v78 offset1:1
	ds_load_2addr_b32 v[24:25], v79 offset1:1
	;; [unrolled: 1-line block ×4, first 2 shown]
	ds_load_b32 v132, v43 offset:1088
	s_wait_dscnt 0x3
	v_add3_u32 v133, v27, v26, v24
	s_wait_dscnt 0x2
	s_delay_alu instid0(VALU_DEP_1) | instskip(SKIP_1) | instid1(VALU_DEP_1)
	v_add3_u32 v133, v133, v25, v22
	s_wait_dscnt 0x1
	v_add3_u32 v133, v133, v23, v20
	s_wait_dscnt 0x0
	s_delay_alu instid0(VALU_DEP_1) | instskip(NEXT) | instid1(VALU_DEP_1)
	v_add3_u32 v132, v133, v21, v132
	v_mov_b32_dpp v133, v132 row_shr:1 row_mask:0xf bank_mask:0xf
	s_delay_alu instid0(VALU_DEP_1) | instskip(NEXT) | instid1(VALU_DEP_1)
	v_cndmask_b32_e64 v133, v133, 0, s0
	v_add_nc_u32_e32 v132, v133, v132
	s_delay_alu instid0(VALU_DEP_1) | instskip(NEXT) | instid1(VALU_DEP_1)
	v_mov_b32_dpp v133, v132 row_shr:2 row_mask:0xf bank_mask:0xf
	v_cndmask_b32_e64 v133, 0, v133, s1
	s_delay_alu instid0(VALU_DEP_1) | instskip(NEXT) | instid1(VALU_DEP_1)
	v_add_nc_u32_e32 v132, v132, v133
	v_mov_b32_dpp v133, v132 row_shr:4 row_mask:0xf bank_mask:0xf
	s_delay_alu instid0(VALU_DEP_1) | instskip(NEXT) | instid1(VALU_DEP_1)
	v_cndmask_b32_e64 v133, 0, v133, s9
	v_add_nc_u32_e32 v132, v132, v133
	s_delay_alu instid0(VALU_DEP_1) | instskip(NEXT) | instid1(VALU_DEP_1)
	v_mov_b32_dpp v133, v132 row_shr:8 row_mask:0xf bank_mask:0xf
	v_cndmask_b32_e64 v133, 0, v133, s10
	s_delay_alu instid0(VALU_DEP_1) | instskip(SKIP_3) | instid1(VALU_DEP_1)
	v_add_nc_u32_e32 v132, v132, v133
	ds_swizzle_b32 v133, v132 offset:swizzle(BROADCAST,32,15)
	s_wait_dscnt 0x0
	v_cndmask_b32_e64 v133, v133, 0, s11
	v_add_nc_u32_e32 v132, v132, v133
	s_and_saveexec_b32 s15, s3
; %bb.273:                              ;   in Loop: Header=BB1981_236 Depth=2
	ds_store_b32 v38, v132 offset:1024
; %bb.274:                              ;   in Loop: Header=BB1981_236 Depth=2
	s_wait_alu 0xfffe
	s_or_b32 exec_lo, exec_lo, s15
	s_wait_loadcnt_dscnt 0x0
	s_barrier_signal -1
	s_barrier_wait -1
	global_inv scope:SCOPE_SE
	s_and_saveexec_b32 s15, s4
	s_cbranch_execz .LBB1981_276
; %bb.275:                              ;   in Loop: Header=BB1981_236 Depth=2
	ds_load_b32 v133, v46 offset:1024
	s_wait_dscnt 0x0
	v_mov_b32_dpp v134, v133 row_shr:1 row_mask:0xf bank_mask:0xf
	s_delay_alu instid0(VALU_DEP_1) | instskip(NEXT) | instid1(VALU_DEP_1)
	v_cndmask_b32_e64 v134, v134, 0, s12
	v_add_nc_u32_e32 v133, v134, v133
	s_delay_alu instid0(VALU_DEP_1) | instskip(NEXT) | instid1(VALU_DEP_1)
	v_mov_b32_dpp v134, v133 row_shr:2 row_mask:0xf bank_mask:0xf
	v_cndmask_b32_e64 v134, 0, v134, s13
	s_delay_alu instid0(VALU_DEP_1) | instskip(NEXT) | instid1(VALU_DEP_1)
	v_add_nc_u32_e32 v133, v133, v134
	v_mov_b32_dpp v134, v133 row_shr:4 row_mask:0xf bank_mask:0xf
	s_delay_alu instid0(VALU_DEP_1) | instskip(NEXT) | instid1(VALU_DEP_1)
	v_cndmask_b32_e64 v134, 0, v134, s14
	v_add_nc_u32_e32 v133, v133, v134
	ds_store_b32 v46, v133 offset:1024
.LBB1981_276:                           ;   in Loop: Header=BB1981_236 Depth=2
	s_wait_alu 0xfffe
	s_or_b32 exec_lo, exec_lo, s15
	v_mov_b32_e32 v133, 0
	s_wait_loadcnt_dscnt 0x0
	s_barrier_signal -1
	s_barrier_wait -1
	global_inv scope:SCOPE_SE
	s_and_saveexec_b32 s15, s5
; %bb.277:                              ;   in Loop: Header=BB1981_236 Depth=2
	ds_load_b32 v133, v38 offset:1020
; %bb.278:                              ;   in Loop: Header=BB1981_236 Depth=2
	s_wait_alu 0xfffe
	s_or_b32 exec_lo, exec_lo, s15
	s_wait_dscnt 0x0
	v_add_nc_u32_e32 v132, v133, v132
	ds_bpermute_b32 v132, v87, v132
	s_wait_dscnt 0x0
	v_cndmask_b32_e64 v132, v132, v133, s8
	s_delay_alu instid0(VALU_DEP_1) | instskip(NEXT) | instid1(VALU_DEP_1)
	v_cndmask_b32_e64 v132, v132, 0, s6
	v_add_nc_u32_e32 v26, v132, v26
	s_delay_alu instid0(VALU_DEP_1) | instskip(NEXT) | instid1(VALU_DEP_1)
	v_add_nc_u32_e32 v27, v26, v27
	v_add_nc_u32_e32 v24, v27, v24
	s_delay_alu instid0(VALU_DEP_1) | instskip(NEXT) | instid1(VALU_DEP_1)
	v_add_nc_u32_e32 v25, v24, v25
	;; [unrolled: 3-line block ×3, first 2 shown]
	v_add_nc_u32_e32 v20, v23, v20
	s_delay_alu instid0(VALU_DEP_1)
	v_add_nc_u32_e32 v21, v20, v21
	ds_store_2addr_b32 v81, v23, v20 offset1:1
	ds_store_2addr_b32 v78, v132, v26 offset1:1
	;; [unrolled: 1-line block ×4, first 2 shown]
	ds_store_b32 v43, v21 offset:1088
	s_wait_loadcnt_dscnt 0x0
	s_barrier_signal -1
	s_barrier_wait -1
	global_inv scope:SCOPE_SE
	ds_load_b32 v23, v104 offset:1056
	ds_load_b32 v24, v108 offset:1056
	;; [unrolled: 1-line block ×9, first 2 shown]
	v_mov_b32_e32 v22, 0x800
	s_and_saveexec_b32 s15, s7
; %bb.279:                              ;   in Loop: Header=BB1981_236 Depth=2
	ds_load_b32 v22, v43 offset:1092
; %bb.280:                              ;   in Loop: Header=BB1981_236 Depth=2
	s_wait_alu 0xfffe
	s_or_b32 exec_lo, exec_lo, s15
	s_wait_loadcnt_dscnt 0x0
	s_barrier_signal -1
	s_barrier_wait -1
	global_inv scope:SCOPE_SE
	s_and_saveexec_b32 s15, s2
	s_cbranch_execz .LBB1981_282
; %bb.281:                              ;   in Loop: Header=BB1981_236 Depth=2
	ds_load_b32 v108, v28
	s_wait_dscnt 0x0
	v_sub_nc_u32_e32 v104, v108, v104
	ds_store_b32 v28, v104
.LBB1981_282:                           ;   in Loop: Header=BB1981_236 Depth=2
	s_wait_alu 0xfffe
	s_or_b32 exec_lo, exec_lo, s15
	v_add_nc_u32_e32 v108, v23, v102
	v_add3_u32 v104, v106, v105, v24
	v_add3_u32 v102, v111, v109, v25
	;; [unrolled: 1-line block ×4, first 2 shown]
	v_lshlrev_b32_e32 v105, 1, v108
	v_lshlrev_b32_e32 v106, 1, v104
	v_add3_u32 v23, v123, v121, v112
	v_lshlrev_b32_e32 v109, 1, v102
	v_add3_u32 v27, v126, v125, v20
	v_add3_u32 v26, v130, v129, v21
	ds_store_b16 v105, v2 offset:1024
	ds_store_b16 v106, v103 offset:1024
	ds_store_b16 v109, v107 offset:1024
	v_lshlrev_b32_e32 v2, 1, v25
	v_cmp_lt_u32_e32 vcc_lo, v1, v101
	v_lshlrev_b32_e32 v20, 1, v24
	v_lshlrev_b32_e32 v21, 1, v23
	v_lshlrev_b32_e32 v103, 1, v27
	v_lshlrev_b32_e32 v105, 1, v26
	ds_store_b16 v2, v110 offset:1024
	ds_store_b16 v20, v114 offset:1024
	;; [unrolled: 1-line block ×5, first 2 shown]
	s_wait_loadcnt_dscnt 0x0
	s_barrier_signal -1
	s_barrier_wait -1
	global_inv scope:SCOPE_SE
	s_and_saveexec_b32 s16, vcc_lo
	s_cbranch_execnz .LBB1981_319
; %bb.283:                              ;   in Loop: Header=BB1981_236 Depth=2
	s_wait_alu 0xfffe
	s_or_b32 exec_lo, exec_lo, s16
	v_cmp_lt_u32_e64 s15, v29, v101
	s_and_saveexec_b32 s17, s15
	s_cbranch_execnz .LBB1981_320
.LBB1981_284:                           ;   in Loop: Header=BB1981_236 Depth=2
	s_wait_alu 0xfffe
	s_or_b32 exec_lo, exec_lo, s17
	v_cmp_lt_u32_e64 s16, v30, v101
	s_and_saveexec_b32 s18, s16
	s_cbranch_execnz .LBB1981_321
.LBB1981_285:                           ;   in Loop: Header=BB1981_236 Depth=2
	s_wait_alu 0xfffe
	s_or_b32 exec_lo, exec_lo, s18
	v_cmp_lt_u32_e64 s17, v31, v101
	s_and_saveexec_b32 s19, s17
	s_cbranch_execnz .LBB1981_322
.LBB1981_286:                           ;   in Loop: Header=BB1981_236 Depth=2
	s_wait_alu 0xfffe
	s_or_b32 exec_lo, exec_lo, s19
	v_cmp_lt_u32_e64 s18, v34, v101
	s_and_saveexec_b32 s20, s18
	s_cbranch_execnz .LBB1981_323
.LBB1981_287:                           ;   in Loop: Header=BB1981_236 Depth=2
	s_wait_alu 0xfffe
	s_or_b32 exec_lo, exec_lo, s20
	v_cmp_lt_u32_e64 s19, v35, v101
	s_and_saveexec_b32 s21, s19
	s_cbranch_execnz .LBB1981_324
.LBB1981_288:                           ;   in Loop: Header=BB1981_236 Depth=2
	s_wait_alu 0xfffe
	s_or_b32 exec_lo, exec_lo, s21
	v_cmp_lt_u32_e64 s20, v36, v101
	s_and_saveexec_b32 s22, s20
	s_cbranch_execnz .LBB1981_325
.LBB1981_289:                           ;   in Loop: Header=BB1981_236 Depth=2
	s_wait_alu 0xfffe
	s_or_b32 exec_lo, exec_lo, s22
	v_cmp_lt_u32_e64 s21, v37, v101
	s_and_saveexec_b32 s48, s21
	s_cbranch_execz .LBB1981_291
.LBB1981_290:                           ;   in Loop: Header=BB1981_236 Depth=2
	ds_load_u16 v103, v47 offset:4608
	s_wait_dscnt 0x0
	v_cmp_ne_u16_e64 s22, 0x8000, v103
	s_wait_alu 0xf1ff
	s_delay_alu instid0(VALU_DEP_1) | instskip(SKIP_1) | instid1(VALU_DEP_2)
	v_cndmask_b32_e64 v2, 0x7fff, v103, s22
	v_cmp_gt_i16_e64 s22, 0, v103
	v_and_b32_e32 v2, 0xffff, v2
	s_wait_alu 0xf1ff
	s_delay_alu instid0(VALU_DEP_2) | instskip(NEXT) | instid1(VALU_DEP_2)
	v_cndmask_b32_e64 v105, 0x7fff, 0, s22
	v_lshrrev_b32_e32 v2, s23, v2
	s_delay_alu instid0(VALU_DEP_1) | instskip(NEXT) | instid1(VALU_DEP_1)
	v_and_b32_e32 v2, s42, v2
	v_lshlrev_b32_e32 v2, 2, v2
	ds_load_b32 v2, v2
	s_wait_dscnt 0x0
	v_add_nc_u32_e32 v2, v2, v37
	s_delay_alu instid0(VALU_DEP_1) | instskip(SKIP_1) | instid1(VALU_DEP_2)
	v_lshlrev_b64_e32 v[20:21], 1, v[2:3]
	v_xor_b32_e32 v2, v105, v103
	v_add_co_u32 v20, s22, s40, v20
	s_wait_alu 0xf1ff
	s_delay_alu instid0(VALU_DEP_3)
	v_add_co_ci_u32_e64 v21, null, s41, v21, s22
	global_store_b16 v[20:21], v2, off
.LBB1981_291:                           ;   in Loop: Header=BB1981_236 Depth=2
	s_wait_alu 0xfffe
	s_or_b32 exec_lo, exec_lo, s48
	s_lshl_b64 s[48:49], s[30:31], 3
	s_wait_alu 0xfffe
	v_add_co_u32 v20, s22, v88, s48
	s_wait_alu 0xf1ff
	v_add_co_ci_u32_e64 v21, null, s49, v89, s22
	v_cmp_lt_u32_e64 s22, v66, v101
	s_and_saveexec_b32 s30, s22
	s_wait_alu 0xfffe
	s_xor_b32 s22, exec_lo, s30
	s_cbranch_execnz .LBB1981_326
; %bb.292:                              ;   in Loop: Header=BB1981_236 Depth=2
	s_wait_alu 0xfffe
	s_or_b32 exec_lo, exec_lo, s22
	s_delay_alu instid0(SALU_CYCLE_1)
	s_mov_b32 s30, exec_lo
	v_cmpx_lt_u32_e64 v70, v101
	s_cbranch_execnz .LBB1981_327
.LBB1981_293:                           ;   in Loop: Header=BB1981_236 Depth=2
	s_wait_alu 0xfffe
	s_or_b32 exec_lo, exec_lo, s30
	s_delay_alu instid0(SALU_CYCLE_1)
	s_mov_b32 s30, exec_lo
	v_cmpx_lt_u32_e64 v71, v101
	s_cbranch_execnz .LBB1981_328
.LBB1981_294:                           ;   in Loop: Header=BB1981_236 Depth=2
	s_wait_alu 0xfffe
	s_or_b32 exec_lo, exec_lo, s30
	s_delay_alu instid0(SALU_CYCLE_1)
	s_mov_b32 s30, exec_lo
	v_cmpx_lt_u32_e64 v72, v101
	s_cbranch_execnz .LBB1981_329
.LBB1981_295:                           ;   in Loop: Header=BB1981_236 Depth=2
	s_wait_alu 0xfffe
	s_or_b32 exec_lo, exec_lo, s30
	s_delay_alu instid0(SALU_CYCLE_1)
	s_mov_b32 s30, exec_lo
	v_cmpx_lt_u32_e64 v73, v101
	s_cbranch_execnz .LBB1981_330
.LBB1981_296:                           ;   in Loop: Header=BB1981_236 Depth=2
	s_wait_alu 0xfffe
	s_or_b32 exec_lo, exec_lo, s30
	s_delay_alu instid0(SALU_CYCLE_1)
	s_mov_b32 s30, exec_lo
	v_cmpx_lt_u32_e64 v74, v101
	s_cbranch_execnz .LBB1981_331
.LBB1981_297:                           ;   in Loop: Header=BB1981_236 Depth=2
	s_wait_alu 0xfffe
	s_or_b32 exec_lo, exec_lo, s30
	s_delay_alu instid0(SALU_CYCLE_1)
	s_mov_b32 s30, exec_lo
	v_cmpx_lt_u32_e64 v75, v101
	s_cbranch_execnz .LBB1981_332
.LBB1981_298:                           ;   in Loop: Header=BB1981_236 Depth=2
	s_wait_alu 0xfffe
	s_or_b32 exec_lo, exec_lo, s30
	s_delay_alu instid0(SALU_CYCLE_1)
	s_mov_b32 s30, exec_lo
	v_cmpx_lt_u32_e64 v76, v101
	s_cbranch_execnz .LBB1981_333
.LBB1981_299:                           ;   in Loop: Header=BB1981_236 Depth=2
	s_wait_alu 0xfffe
	s_or_b32 exec_lo, exec_lo, s30
	s_and_saveexec_b32 s30, vcc_lo
	s_cbranch_execnz .LBB1981_334
.LBB1981_300:                           ;   in Loop: Header=BB1981_236 Depth=2
	s_wait_alu 0xfffe
	s_or_b32 exec_lo, exec_lo, s30
	s_and_saveexec_b32 s30, s15
	s_cbranch_execnz .LBB1981_335
.LBB1981_301:                           ;   in Loop: Header=BB1981_236 Depth=2
	s_wait_alu 0xfffe
	s_or_b32 exec_lo, exec_lo, s30
	s_and_saveexec_b32 s30, s16
	s_cbranch_execnz .LBB1981_336
.LBB1981_302:                           ;   in Loop: Header=BB1981_236 Depth=2
	s_wait_alu 0xfffe
	s_or_b32 exec_lo, exec_lo, s30
	s_and_saveexec_b32 s30, s17
	s_cbranch_execnz .LBB1981_337
.LBB1981_303:                           ;   in Loop: Header=BB1981_236 Depth=2
	s_wait_alu 0xfffe
	s_or_b32 exec_lo, exec_lo, s30
	s_and_saveexec_b32 s30, s18
	s_cbranch_execnz .LBB1981_338
.LBB1981_304:                           ;   in Loop: Header=BB1981_236 Depth=2
	s_wait_alu 0xfffe
	s_or_b32 exec_lo, exec_lo, s30
	s_and_saveexec_b32 s30, s19
	s_cbranch_execnz .LBB1981_339
.LBB1981_305:                           ;   in Loop: Header=BB1981_236 Depth=2
	s_wait_alu 0xfffe
	s_or_b32 exec_lo, exec_lo, s30
	s_and_saveexec_b32 s30, s20
	s_cbranch_execnz .LBB1981_340
.LBB1981_306:                           ;   in Loop: Header=BB1981_236 Depth=2
	s_wait_alu 0xfffe
	s_or_b32 exec_lo, exec_lo, s30
	s_and_saveexec_b32 s30, s21
	s_cbranch_execz .LBB1981_308
.LBB1981_307:                           ;   in Loop: Header=BB1981_236 Depth=2
	ds_load_u16 v2, v47 offset:4608
	s_wait_dscnt 0x0
	v_cmp_ne_u16_e64 s22, 0x8000, v2
	s_wait_alu 0xf1ff
	s_delay_alu instid0(VALU_DEP_1) | instskip(NEXT) | instid1(VALU_DEP_1)
	v_cndmask_b32_e64 v2, 0x7fff, v2, s22
	v_and_b32_e32 v2, 0xffff, v2
	s_delay_alu instid0(VALU_DEP_1) | instskip(NEXT) | instid1(VALU_DEP_1)
	v_lshrrev_b32_e32 v2, s23, v2
	v_and_b32_e32 v93, s42, v2
.LBB1981_308:                           ;   in Loop: Header=BB1981_236 Depth=2
	s_wait_alu 0xfffe
	s_or_b32 exec_lo, exec_lo, s30
	v_lshlrev_b32_e32 v2, 3, v108
	v_lshlrev_b32_e32 v20, 3, v104
	;; [unrolled: 1-line block ×3, first 2 shown]
	s_wait_loadcnt 0x0
	s_wait_storecnt 0x0
	s_barrier_signal -1
	s_barrier_wait -1
	global_inv scope:SCOPE_SE
	ds_store_b64 v2, v[18:19] offset:1024
	ds_store_b64 v20, v[16:17] offset:1024
	;; [unrolled: 1-line block ×3, first 2 shown]
	v_lshlrev_b32_e32 v2, 3, v25
	v_lshlrev_b32_e32 v20, 3, v24
	;; [unrolled: 1-line block ×5, first 2 shown]
	ds_store_b64 v2, v[12:13] offset:1024
	ds_store_b64 v20, v[10:11] offset:1024
	;; [unrolled: 1-line block ×5, first 2 shown]
	s_wait_loadcnt_dscnt 0x0
	s_barrier_signal -1
	s_barrier_wait -1
	global_inv scope:SCOPE_SE
	s_and_saveexec_b32 s22, vcc_lo
	s_cbranch_execnz .LBB1981_341
; %bb.309:                              ;   in Loop: Header=BB1981_236 Depth=2
	s_wait_alu 0xfffe
	s_or_b32 exec_lo, exec_lo, s22
	s_and_saveexec_b32 s22, s15
	s_cbranch_execnz .LBB1981_342
.LBB1981_310:                           ;   in Loop: Header=BB1981_236 Depth=2
	s_wait_alu 0xfffe
	s_or_b32 exec_lo, exec_lo, s22
	s_and_saveexec_b32 s15, s16
	s_cbranch_execnz .LBB1981_343
.LBB1981_311:                           ;   in Loop: Header=BB1981_236 Depth=2
	s_wait_alu 0xfffe
	s_or_b32 exec_lo, exec_lo, s15
	s_and_saveexec_b32 s15, s17
	s_cbranch_execnz .LBB1981_344
.LBB1981_312:                           ;   in Loop: Header=BB1981_236 Depth=2
	s_wait_alu 0xfffe
	s_or_b32 exec_lo, exec_lo, s15
	s_and_saveexec_b32 s15, s18
	s_cbranch_execnz .LBB1981_345
.LBB1981_313:                           ;   in Loop: Header=BB1981_236 Depth=2
	s_wait_alu 0xfffe
	s_or_b32 exec_lo, exec_lo, s15
	s_and_saveexec_b32 s15, s19
	s_cbranch_execnz .LBB1981_346
.LBB1981_314:                           ;   in Loop: Header=BB1981_236 Depth=2
	s_wait_alu 0xfffe
	s_or_b32 exec_lo, exec_lo, s15
	s_and_saveexec_b32 s15, s20
	s_cbranch_execnz .LBB1981_347
.LBB1981_315:                           ;   in Loop: Header=BB1981_236 Depth=2
	s_wait_alu 0xfffe
	s_or_b32 exec_lo, exec_lo, s15
	s_and_saveexec_b32 s15, s21
	s_cbranch_execz .LBB1981_317
.LBB1981_316:                           ;   in Loop: Header=BB1981_236 Depth=2
	v_lshlrev_b32_e32 v2, 2, v93
	v_add_nc_u32_e32 v20, v47, v48
	ds_load_b32 v2, v2
	ds_load_b64 v[20:21], v20 offset:15360
	s_wait_dscnt 0x1
	v_add_nc_u32_e32 v2, v2, v37
	s_delay_alu instid0(VALU_DEP_1) | instskip(NEXT) | instid1(VALU_DEP_1)
	v_lshlrev_b64_e32 v[23:24], 3, v[2:3]
	v_add_co_u32 v23, vcc_lo, s26, v23
	s_wait_alu 0xfffd
	s_delay_alu instid0(VALU_DEP_2)
	v_add_co_ci_u32_e64 v24, null, s27, v24, vcc_lo
	s_wait_dscnt 0x0
	global_store_b64 v[23:24], v[20:21], off
.LBB1981_317:                           ;   in Loop: Header=BB1981_236 Depth=2
	s_wait_alu 0xfffe
	s_or_b32 exec_lo, exec_lo, s15
	s_wait_loadcnt 0x0
	s_wait_storecnt 0x0
	s_barrier_signal -1
	s_barrier_wait -1
	global_inv scope:SCOPE_SE
	s_and_saveexec_b32 s15, s2
	s_cbranch_execz .LBB1981_235
; %bb.318:                              ;   in Loop: Header=BB1981_236 Depth=2
	ds_load_b32 v2, v28
	s_wait_dscnt 0x0
	v_add_nc_u32_e32 v2, v2, v22
	ds_store_b32 v28, v2
	s_branch .LBB1981_235
.LBB1981_319:                           ;   in Loop: Header=BB1981_236 Depth=2
	ds_load_u16 v103, v47 offset:1024
	s_wait_dscnt 0x0
	v_cmp_ne_u16_e64 s15, 0x8000, v103
	s_wait_alu 0xf1ff
	s_delay_alu instid0(VALU_DEP_1) | instskip(SKIP_1) | instid1(VALU_DEP_2)
	v_cndmask_b32_e64 v2, 0x7fff, v103, s15
	v_cmp_gt_i16_e64 s15, 0, v103
	v_and_b32_e32 v2, 0xffff, v2
	s_wait_alu 0xf1ff
	s_delay_alu instid0(VALU_DEP_2) | instskip(NEXT) | instid1(VALU_DEP_2)
	v_cndmask_b32_e64 v105, 0x7fff, 0, s15
	v_lshrrev_b32_e32 v2, s23, v2
	s_delay_alu instid0(VALU_DEP_1) | instskip(NEXT) | instid1(VALU_DEP_1)
	v_and_b32_e32 v2, s42, v2
	v_lshlrev_b32_e32 v2, 2, v2
	ds_load_b32 v2, v2
	s_wait_dscnt 0x0
	v_add_nc_u32_e32 v2, v2, v1
	s_delay_alu instid0(VALU_DEP_1) | instskip(SKIP_1) | instid1(VALU_DEP_2)
	v_lshlrev_b64_e32 v[20:21], 1, v[2:3]
	v_xor_b32_e32 v2, v105, v103
	v_add_co_u32 v20, s15, s40, v20
	s_wait_alu 0xf1ff
	s_delay_alu instid0(VALU_DEP_3)
	v_add_co_ci_u32_e64 v21, null, s41, v21, s15
	global_store_b16 v[20:21], v2, off
	s_wait_alu 0xfffe
	s_or_b32 exec_lo, exec_lo, s16
	v_cmp_lt_u32_e64 s15, v29, v101
	s_and_saveexec_b32 s17, s15
	s_cbranch_execz .LBB1981_284
.LBB1981_320:                           ;   in Loop: Header=BB1981_236 Depth=2
	ds_load_u16 v103, v47 offset:1536
	s_wait_dscnt 0x0
	v_cmp_ne_u16_e64 s16, 0x8000, v103
	s_wait_alu 0xf1ff
	s_delay_alu instid0(VALU_DEP_1) | instskip(SKIP_1) | instid1(VALU_DEP_2)
	v_cndmask_b32_e64 v2, 0x7fff, v103, s16
	v_cmp_gt_i16_e64 s16, 0, v103
	v_and_b32_e32 v2, 0xffff, v2
	s_wait_alu 0xf1ff
	s_delay_alu instid0(VALU_DEP_2) | instskip(NEXT) | instid1(VALU_DEP_2)
	v_cndmask_b32_e64 v105, 0x7fff, 0, s16
	v_lshrrev_b32_e32 v2, s23, v2
	s_delay_alu instid0(VALU_DEP_1) | instskip(NEXT) | instid1(VALU_DEP_1)
	v_and_b32_e32 v2, s42, v2
	v_lshlrev_b32_e32 v2, 2, v2
	ds_load_b32 v2, v2
	s_wait_dscnt 0x0
	v_add_nc_u32_e32 v2, v2, v29
	s_delay_alu instid0(VALU_DEP_1) | instskip(SKIP_1) | instid1(VALU_DEP_2)
	v_lshlrev_b64_e32 v[20:21], 1, v[2:3]
	v_xor_b32_e32 v2, v105, v103
	v_add_co_u32 v20, s16, s40, v20
	s_wait_alu 0xf1ff
	s_delay_alu instid0(VALU_DEP_3)
	v_add_co_ci_u32_e64 v21, null, s41, v21, s16
	global_store_b16 v[20:21], v2, off
	s_wait_alu 0xfffe
	s_or_b32 exec_lo, exec_lo, s17
	v_cmp_lt_u32_e64 s16, v30, v101
	s_and_saveexec_b32 s18, s16
	s_cbranch_execz .LBB1981_285
.LBB1981_321:                           ;   in Loop: Header=BB1981_236 Depth=2
	ds_load_u16 v103, v47 offset:2048
	s_wait_dscnt 0x0
	v_cmp_ne_u16_e64 s17, 0x8000, v103
	s_wait_alu 0xf1ff
	s_delay_alu instid0(VALU_DEP_1) | instskip(SKIP_1) | instid1(VALU_DEP_2)
	v_cndmask_b32_e64 v2, 0x7fff, v103, s17
	v_cmp_gt_i16_e64 s17, 0, v103
	v_and_b32_e32 v2, 0xffff, v2
	s_wait_alu 0xf1ff
	s_delay_alu instid0(VALU_DEP_2) | instskip(NEXT) | instid1(VALU_DEP_2)
	v_cndmask_b32_e64 v105, 0x7fff, 0, s17
	v_lshrrev_b32_e32 v2, s23, v2
	s_delay_alu instid0(VALU_DEP_1) | instskip(NEXT) | instid1(VALU_DEP_1)
	v_and_b32_e32 v2, s42, v2
	v_lshlrev_b32_e32 v2, 2, v2
	ds_load_b32 v2, v2
	s_wait_dscnt 0x0
	v_add_nc_u32_e32 v2, v2, v30
	s_delay_alu instid0(VALU_DEP_1) | instskip(SKIP_1) | instid1(VALU_DEP_2)
	v_lshlrev_b64_e32 v[20:21], 1, v[2:3]
	v_xor_b32_e32 v2, v105, v103
	v_add_co_u32 v20, s17, s40, v20
	s_wait_alu 0xf1ff
	s_delay_alu instid0(VALU_DEP_3)
	v_add_co_ci_u32_e64 v21, null, s41, v21, s17
	global_store_b16 v[20:21], v2, off
	s_wait_alu 0xfffe
	s_or_b32 exec_lo, exec_lo, s18
	v_cmp_lt_u32_e64 s17, v31, v101
	s_and_saveexec_b32 s19, s17
	s_cbranch_execz .LBB1981_286
.LBB1981_322:                           ;   in Loop: Header=BB1981_236 Depth=2
	ds_load_u16 v103, v47 offset:2560
	s_wait_dscnt 0x0
	v_cmp_ne_u16_e64 s18, 0x8000, v103
	s_wait_alu 0xf1ff
	s_delay_alu instid0(VALU_DEP_1) | instskip(SKIP_1) | instid1(VALU_DEP_2)
	v_cndmask_b32_e64 v2, 0x7fff, v103, s18
	v_cmp_gt_i16_e64 s18, 0, v103
	v_and_b32_e32 v2, 0xffff, v2
	s_wait_alu 0xf1ff
	s_delay_alu instid0(VALU_DEP_2) | instskip(NEXT) | instid1(VALU_DEP_2)
	v_cndmask_b32_e64 v105, 0x7fff, 0, s18
	v_lshrrev_b32_e32 v2, s23, v2
	s_delay_alu instid0(VALU_DEP_1) | instskip(NEXT) | instid1(VALU_DEP_1)
	v_and_b32_e32 v2, s42, v2
	v_lshlrev_b32_e32 v2, 2, v2
	ds_load_b32 v2, v2
	s_wait_dscnt 0x0
	v_add_nc_u32_e32 v2, v2, v31
	s_delay_alu instid0(VALU_DEP_1) | instskip(SKIP_1) | instid1(VALU_DEP_2)
	v_lshlrev_b64_e32 v[20:21], 1, v[2:3]
	v_xor_b32_e32 v2, v105, v103
	v_add_co_u32 v20, s18, s40, v20
	s_wait_alu 0xf1ff
	s_delay_alu instid0(VALU_DEP_3)
	v_add_co_ci_u32_e64 v21, null, s41, v21, s18
	global_store_b16 v[20:21], v2, off
	s_wait_alu 0xfffe
	s_or_b32 exec_lo, exec_lo, s19
	v_cmp_lt_u32_e64 s18, v34, v101
	s_and_saveexec_b32 s20, s18
	s_cbranch_execz .LBB1981_287
.LBB1981_323:                           ;   in Loop: Header=BB1981_236 Depth=2
	ds_load_u16 v103, v47 offset:3072
	s_wait_dscnt 0x0
	v_cmp_ne_u16_e64 s19, 0x8000, v103
	s_wait_alu 0xf1ff
	s_delay_alu instid0(VALU_DEP_1) | instskip(SKIP_1) | instid1(VALU_DEP_2)
	v_cndmask_b32_e64 v2, 0x7fff, v103, s19
	v_cmp_gt_i16_e64 s19, 0, v103
	v_and_b32_e32 v2, 0xffff, v2
	s_wait_alu 0xf1ff
	s_delay_alu instid0(VALU_DEP_2) | instskip(NEXT) | instid1(VALU_DEP_2)
	v_cndmask_b32_e64 v105, 0x7fff, 0, s19
	v_lshrrev_b32_e32 v2, s23, v2
	s_delay_alu instid0(VALU_DEP_1) | instskip(NEXT) | instid1(VALU_DEP_1)
	v_and_b32_e32 v2, s42, v2
	v_lshlrev_b32_e32 v2, 2, v2
	ds_load_b32 v2, v2
	s_wait_dscnt 0x0
	v_add_nc_u32_e32 v2, v2, v34
	s_delay_alu instid0(VALU_DEP_1) | instskip(SKIP_1) | instid1(VALU_DEP_2)
	v_lshlrev_b64_e32 v[20:21], 1, v[2:3]
	v_xor_b32_e32 v2, v105, v103
	v_add_co_u32 v20, s19, s40, v20
	s_wait_alu 0xf1ff
	s_delay_alu instid0(VALU_DEP_3)
	v_add_co_ci_u32_e64 v21, null, s41, v21, s19
	global_store_b16 v[20:21], v2, off
	s_wait_alu 0xfffe
	s_or_b32 exec_lo, exec_lo, s20
	v_cmp_lt_u32_e64 s19, v35, v101
	s_and_saveexec_b32 s21, s19
	s_cbranch_execz .LBB1981_288
.LBB1981_324:                           ;   in Loop: Header=BB1981_236 Depth=2
	ds_load_u16 v103, v47 offset:3584
	s_wait_dscnt 0x0
	v_cmp_ne_u16_e64 s20, 0x8000, v103
	s_wait_alu 0xf1ff
	s_delay_alu instid0(VALU_DEP_1) | instskip(SKIP_1) | instid1(VALU_DEP_2)
	v_cndmask_b32_e64 v2, 0x7fff, v103, s20
	v_cmp_gt_i16_e64 s20, 0, v103
	v_and_b32_e32 v2, 0xffff, v2
	s_wait_alu 0xf1ff
	s_delay_alu instid0(VALU_DEP_2) | instskip(NEXT) | instid1(VALU_DEP_2)
	v_cndmask_b32_e64 v105, 0x7fff, 0, s20
	v_lshrrev_b32_e32 v2, s23, v2
	s_delay_alu instid0(VALU_DEP_1) | instskip(NEXT) | instid1(VALU_DEP_1)
	v_and_b32_e32 v2, s42, v2
	v_lshlrev_b32_e32 v2, 2, v2
	ds_load_b32 v2, v2
	s_wait_dscnt 0x0
	v_add_nc_u32_e32 v2, v2, v35
	s_delay_alu instid0(VALU_DEP_1) | instskip(SKIP_1) | instid1(VALU_DEP_2)
	v_lshlrev_b64_e32 v[20:21], 1, v[2:3]
	v_xor_b32_e32 v2, v105, v103
	v_add_co_u32 v20, s20, s40, v20
	s_wait_alu 0xf1ff
	s_delay_alu instid0(VALU_DEP_3)
	v_add_co_ci_u32_e64 v21, null, s41, v21, s20
	global_store_b16 v[20:21], v2, off
	s_wait_alu 0xfffe
	s_or_b32 exec_lo, exec_lo, s21
	v_cmp_lt_u32_e64 s20, v36, v101
	s_and_saveexec_b32 s22, s20
	s_cbranch_execz .LBB1981_289
.LBB1981_325:                           ;   in Loop: Header=BB1981_236 Depth=2
	ds_load_u16 v103, v47 offset:4096
	s_wait_dscnt 0x0
	v_cmp_ne_u16_e64 s21, 0x8000, v103
	s_wait_alu 0xf1ff
	s_delay_alu instid0(VALU_DEP_1) | instskip(SKIP_1) | instid1(VALU_DEP_2)
	v_cndmask_b32_e64 v2, 0x7fff, v103, s21
	v_cmp_gt_i16_e64 s21, 0, v103
	v_and_b32_e32 v2, 0xffff, v2
	s_wait_alu 0xf1ff
	s_delay_alu instid0(VALU_DEP_2) | instskip(NEXT) | instid1(VALU_DEP_2)
	v_cndmask_b32_e64 v105, 0x7fff, 0, s21
	v_lshrrev_b32_e32 v2, s23, v2
	s_delay_alu instid0(VALU_DEP_1) | instskip(NEXT) | instid1(VALU_DEP_1)
	v_and_b32_e32 v2, s42, v2
	v_lshlrev_b32_e32 v2, 2, v2
	ds_load_b32 v2, v2
	s_wait_dscnt 0x0
	v_add_nc_u32_e32 v2, v2, v36
	s_delay_alu instid0(VALU_DEP_1) | instskip(SKIP_1) | instid1(VALU_DEP_2)
	v_lshlrev_b64_e32 v[20:21], 1, v[2:3]
	v_xor_b32_e32 v2, v105, v103
	v_add_co_u32 v20, s21, s40, v20
	s_wait_alu 0xf1ff
	s_delay_alu instid0(VALU_DEP_3)
	v_add_co_ci_u32_e64 v21, null, s41, v21, s21
	global_store_b16 v[20:21], v2, off
	s_wait_alu 0xfffe
	s_or_b32 exec_lo, exec_lo, s22
	v_cmp_lt_u32_e64 s21, v37, v101
	s_and_saveexec_b32 s48, s21
	s_cbranch_execnz .LBB1981_290
	s_branch .LBB1981_291
.LBB1981_326:                           ;   in Loop: Header=BB1981_236 Depth=2
	global_load_b64 v[18:19], v[20:21], off
	s_wait_alu 0xfffe
	s_or_b32 exec_lo, exec_lo, s22
	s_delay_alu instid0(SALU_CYCLE_1)
	s_mov_b32 s30, exec_lo
	v_cmpx_lt_u32_e64 v70, v101
	s_cbranch_execz .LBB1981_293
.LBB1981_327:                           ;   in Loop: Header=BB1981_236 Depth=2
	global_load_b64 v[16:17], v[20:21], off offset:256
	s_wait_alu 0xfffe
	s_or_b32 exec_lo, exec_lo, s30
	s_delay_alu instid0(SALU_CYCLE_1)
	s_mov_b32 s30, exec_lo
	v_cmpx_lt_u32_e64 v71, v101
	s_cbranch_execz .LBB1981_294
.LBB1981_328:                           ;   in Loop: Header=BB1981_236 Depth=2
	global_load_b64 v[14:15], v[20:21], off offset:512
	s_wait_alu 0xfffe
	s_or_b32 exec_lo, exec_lo, s30
	s_delay_alu instid0(SALU_CYCLE_1)
	s_mov_b32 s30, exec_lo
	v_cmpx_lt_u32_e64 v72, v101
	s_cbranch_execz .LBB1981_295
.LBB1981_329:                           ;   in Loop: Header=BB1981_236 Depth=2
	global_load_b64 v[12:13], v[20:21], off offset:768
	s_wait_alu 0xfffe
	s_or_b32 exec_lo, exec_lo, s30
	s_delay_alu instid0(SALU_CYCLE_1)
	s_mov_b32 s30, exec_lo
	v_cmpx_lt_u32_e64 v73, v101
	s_cbranch_execz .LBB1981_296
.LBB1981_330:                           ;   in Loop: Header=BB1981_236 Depth=2
	global_load_b64 v[10:11], v[20:21], off offset:1024
	s_wait_alu 0xfffe
	s_or_b32 exec_lo, exec_lo, s30
	s_delay_alu instid0(SALU_CYCLE_1)
	s_mov_b32 s30, exec_lo
	v_cmpx_lt_u32_e64 v74, v101
	s_cbranch_execz .LBB1981_297
.LBB1981_331:                           ;   in Loop: Header=BB1981_236 Depth=2
	global_load_b64 v[8:9], v[20:21], off offset:1280
	s_wait_alu 0xfffe
	s_or_b32 exec_lo, exec_lo, s30
	s_delay_alu instid0(SALU_CYCLE_1)
	s_mov_b32 s30, exec_lo
	v_cmpx_lt_u32_e64 v75, v101
	s_cbranch_execz .LBB1981_298
.LBB1981_332:                           ;   in Loop: Header=BB1981_236 Depth=2
	global_load_b64 v[6:7], v[20:21], off offset:1536
	s_wait_alu 0xfffe
	s_or_b32 exec_lo, exec_lo, s30
	s_delay_alu instid0(SALU_CYCLE_1)
	s_mov_b32 s30, exec_lo
	v_cmpx_lt_u32_e64 v76, v101
	s_cbranch_execz .LBB1981_299
.LBB1981_333:                           ;   in Loop: Header=BB1981_236 Depth=2
	global_load_b64 v[4:5], v[20:21], off offset:1792
	s_wait_alu 0xfffe
	s_or_b32 exec_lo, exec_lo, s30
	s_and_saveexec_b32 s30, vcc_lo
	s_cbranch_execz .LBB1981_300
.LBB1981_334:                           ;   in Loop: Header=BB1981_236 Depth=2
	ds_load_u16 v2, v47 offset:1024
	s_wait_dscnt 0x0
	v_cmp_ne_u16_e64 s22, 0x8000, v2
	s_wait_alu 0xf1ff
	s_delay_alu instid0(VALU_DEP_1) | instskip(NEXT) | instid1(VALU_DEP_1)
	v_cndmask_b32_e64 v2, 0x7fff, v2, s22
	v_and_b32_e32 v2, 0xffff, v2
	s_delay_alu instid0(VALU_DEP_1) | instskip(NEXT) | instid1(VALU_DEP_1)
	v_lshrrev_b32_e32 v2, s23, v2
	v_and_b32_e32 v100, s42, v2
	s_wait_alu 0xfffe
	s_or_b32 exec_lo, exec_lo, s30
	s_and_saveexec_b32 s30, s15
	s_cbranch_execz .LBB1981_301
.LBB1981_335:                           ;   in Loop: Header=BB1981_236 Depth=2
	ds_load_u16 v2, v47 offset:1536
	s_wait_dscnt 0x0
	v_cmp_ne_u16_e64 s22, 0x8000, v2
	s_wait_alu 0xf1ff
	s_delay_alu instid0(VALU_DEP_1) | instskip(NEXT) | instid1(VALU_DEP_1)
	v_cndmask_b32_e64 v2, 0x7fff, v2, s22
	v_and_b32_e32 v2, 0xffff, v2
	s_delay_alu instid0(VALU_DEP_1) | instskip(NEXT) | instid1(VALU_DEP_1)
	v_lshrrev_b32_e32 v2, s23, v2
	v_and_b32_e32 v99, s42, v2
	s_wait_alu 0xfffe
	s_or_b32 exec_lo, exec_lo, s30
	s_and_saveexec_b32 s30, s16
	s_cbranch_execz .LBB1981_302
.LBB1981_336:                           ;   in Loop: Header=BB1981_236 Depth=2
	ds_load_u16 v2, v47 offset:2048
	s_wait_dscnt 0x0
	v_cmp_ne_u16_e64 s22, 0x8000, v2
	s_wait_alu 0xf1ff
	s_delay_alu instid0(VALU_DEP_1) | instskip(NEXT) | instid1(VALU_DEP_1)
	v_cndmask_b32_e64 v2, 0x7fff, v2, s22
	v_and_b32_e32 v2, 0xffff, v2
	s_delay_alu instid0(VALU_DEP_1) | instskip(NEXT) | instid1(VALU_DEP_1)
	v_lshrrev_b32_e32 v2, s23, v2
	v_and_b32_e32 v98, s42, v2
	s_wait_alu 0xfffe
	s_or_b32 exec_lo, exec_lo, s30
	s_and_saveexec_b32 s30, s17
	s_cbranch_execz .LBB1981_303
.LBB1981_337:                           ;   in Loop: Header=BB1981_236 Depth=2
	ds_load_u16 v2, v47 offset:2560
	s_wait_dscnt 0x0
	v_cmp_ne_u16_e64 s22, 0x8000, v2
	s_wait_alu 0xf1ff
	s_delay_alu instid0(VALU_DEP_1) | instskip(NEXT) | instid1(VALU_DEP_1)
	v_cndmask_b32_e64 v2, 0x7fff, v2, s22
	v_and_b32_e32 v2, 0xffff, v2
	s_delay_alu instid0(VALU_DEP_1) | instskip(NEXT) | instid1(VALU_DEP_1)
	v_lshrrev_b32_e32 v2, s23, v2
	v_and_b32_e32 v97, s42, v2
	s_wait_alu 0xfffe
	s_or_b32 exec_lo, exec_lo, s30
	s_and_saveexec_b32 s30, s18
	s_cbranch_execz .LBB1981_304
.LBB1981_338:                           ;   in Loop: Header=BB1981_236 Depth=2
	ds_load_u16 v2, v47 offset:3072
	s_wait_dscnt 0x0
	v_cmp_ne_u16_e64 s22, 0x8000, v2
	s_wait_alu 0xf1ff
	s_delay_alu instid0(VALU_DEP_1) | instskip(NEXT) | instid1(VALU_DEP_1)
	v_cndmask_b32_e64 v2, 0x7fff, v2, s22
	v_and_b32_e32 v2, 0xffff, v2
	s_delay_alu instid0(VALU_DEP_1) | instskip(NEXT) | instid1(VALU_DEP_1)
	v_lshrrev_b32_e32 v2, s23, v2
	v_and_b32_e32 v96, s42, v2
	s_wait_alu 0xfffe
	s_or_b32 exec_lo, exec_lo, s30
	s_and_saveexec_b32 s30, s19
	s_cbranch_execz .LBB1981_305
.LBB1981_339:                           ;   in Loop: Header=BB1981_236 Depth=2
	ds_load_u16 v2, v47 offset:3584
	s_wait_dscnt 0x0
	v_cmp_ne_u16_e64 s22, 0x8000, v2
	s_wait_alu 0xf1ff
	s_delay_alu instid0(VALU_DEP_1) | instskip(NEXT) | instid1(VALU_DEP_1)
	v_cndmask_b32_e64 v2, 0x7fff, v2, s22
	v_and_b32_e32 v2, 0xffff, v2
	s_delay_alu instid0(VALU_DEP_1) | instskip(NEXT) | instid1(VALU_DEP_1)
	v_lshrrev_b32_e32 v2, s23, v2
	v_and_b32_e32 v95, s42, v2
	s_wait_alu 0xfffe
	s_or_b32 exec_lo, exec_lo, s30
	s_and_saveexec_b32 s30, s20
	s_cbranch_execz .LBB1981_306
.LBB1981_340:                           ;   in Loop: Header=BB1981_236 Depth=2
	ds_load_u16 v2, v47 offset:4096
	s_wait_dscnt 0x0
	v_cmp_ne_u16_e64 s22, 0x8000, v2
	s_wait_alu 0xf1ff
	s_delay_alu instid0(VALU_DEP_1) | instskip(NEXT) | instid1(VALU_DEP_1)
	v_cndmask_b32_e64 v2, 0x7fff, v2, s22
	v_and_b32_e32 v2, 0xffff, v2
	s_delay_alu instid0(VALU_DEP_1) | instskip(NEXT) | instid1(VALU_DEP_1)
	v_lshrrev_b32_e32 v2, s23, v2
	v_and_b32_e32 v94, s42, v2
	s_wait_alu 0xfffe
	s_or_b32 exec_lo, exec_lo, s30
	s_and_saveexec_b32 s30, s21
	s_cbranch_execnz .LBB1981_307
	s_branch .LBB1981_308
.LBB1981_341:                           ;   in Loop: Header=BB1981_236 Depth=2
	v_lshlrev_b32_e32 v2, 2, v100
	v_add_nc_u32_e32 v20, v47, v48
	ds_load_b32 v2, v2
	ds_load_b64 v[20:21], v20 offset:1024
	s_wait_dscnt 0x1
	v_add_nc_u32_e32 v2, v2, v1
	s_delay_alu instid0(VALU_DEP_1) | instskip(NEXT) | instid1(VALU_DEP_1)
	v_lshlrev_b64_e32 v[23:24], 3, v[2:3]
	v_add_co_u32 v23, vcc_lo, s26, v23
	s_wait_alu 0xfffd
	s_delay_alu instid0(VALU_DEP_2)
	v_add_co_ci_u32_e64 v24, null, s27, v24, vcc_lo
	s_wait_dscnt 0x0
	global_store_b64 v[23:24], v[20:21], off
	s_wait_alu 0xfffe
	s_or_b32 exec_lo, exec_lo, s22
	s_and_saveexec_b32 s22, s15
	s_cbranch_execz .LBB1981_310
.LBB1981_342:                           ;   in Loop: Header=BB1981_236 Depth=2
	v_lshlrev_b32_e32 v2, 2, v99
	v_add_nc_u32_e32 v20, v47, v48
	ds_load_b32 v2, v2
	ds_load_b64 v[20:21], v20 offset:3072
	s_wait_dscnt 0x1
	v_add_nc_u32_e32 v2, v2, v29
	s_delay_alu instid0(VALU_DEP_1) | instskip(NEXT) | instid1(VALU_DEP_1)
	v_lshlrev_b64_e32 v[23:24], 3, v[2:3]
	v_add_co_u32 v23, vcc_lo, s26, v23
	s_wait_alu 0xfffd
	s_delay_alu instid0(VALU_DEP_2)
	v_add_co_ci_u32_e64 v24, null, s27, v24, vcc_lo
	s_wait_dscnt 0x0
	global_store_b64 v[23:24], v[20:21], off
	s_wait_alu 0xfffe
	s_or_b32 exec_lo, exec_lo, s22
	s_and_saveexec_b32 s15, s16
	s_cbranch_execz .LBB1981_311
.LBB1981_343:                           ;   in Loop: Header=BB1981_236 Depth=2
	v_lshlrev_b32_e32 v2, 2, v98
	v_add_nc_u32_e32 v20, v47, v48
	ds_load_b32 v2, v2
	ds_load_b64 v[20:21], v20 offset:5120
	s_wait_dscnt 0x1
	v_add_nc_u32_e32 v2, v2, v30
	s_delay_alu instid0(VALU_DEP_1) | instskip(NEXT) | instid1(VALU_DEP_1)
	v_lshlrev_b64_e32 v[23:24], 3, v[2:3]
	v_add_co_u32 v23, vcc_lo, s26, v23
	s_wait_alu 0xfffd
	s_delay_alu instid0(VALU_DEP_2)
	v_add_co_ci_u32_e64 v24, null, s27, v24, vcc_lo
	s_wait_dscnt 0x0
	global_store_b64 v[23:24], v[20:21], off
	s_wait_alu 0xfffe
	s_or_b32 exec_lo, exec_lo, s15
	s_and_saveexec_b32 s15, s17
	s_cbranch_execz .LBB1981_312
.LBB1981_344:                           ;   in Loop: Header=BB1981_236 Depth=2
	v_lshlrev_b32_e32 v2, 2, v97
	v_add_nc_u32_e32 v20, v47, v48
	ds_load_b32 v2, v2
	ds_load_b64 v[20:21], v20 offset:7168
	s_wait_dscnt 0x1
	v_add_nc_u32_e32 v2, v2, v31
	s_delay_alu instid0(VALU_DEP_1) | instskip(NEXT) | instid1(VALU_DEP_1)
	v_lshlrev_b64_e32 v[23:24], 3, v[2:3]
	v_add_co_u32 v23, vcc_lo, s26, v23
	s_wait_alu 0xfffd
	s_delay_alu instid0(VALU_DEP_2)
	v_add_co_ci_u32_e64 v24, null, s27, v24, vcc_lo
	s_wait_dscnt 0x0
	global_store_b64 v[23:24], v[20:21], off
	s_wait_alu 0xfffe
	s_or_b32 exec_lo, exec_lo, s15
	s_and_saveexec_b32 s15, s18
	s_cbranch_execz .LBB1981_313
.LBB1981_345:                           ;   in Loop: Header=BB1981_236 Depth=2
	v_lshlrev_b32_e32 v2, 2, v96
	v_add_nc_u32_e32 v20, v47, v48
	ds_load_b32 v2, v2
	ds_load_b64 v[20:21], v20 offset:9216
	s_wait_dscnt 0x1
	v_add_nc_u32_e32 v2, v2, v34
	s_delay_alu instid0(VALU_DEP_1) | instskip(NEXT) | instid1(VALU_DEP_1)
	v_lshlrev_b64_e32 v[23:24], 3, v[2:3]
	v_add_co_u32 v23, vcc_lo, s26, v23
	s_wait_alu 0xfffd
	s_delay_alu instid0(VALU_DEP_2)
	v_add_co_ci_u32_e64 v24, null, s27, v24, vcc_lo
	s_wait_dscnt 0x0
	global_store_b64 v[23:24], v[20:21], off
	s_wait_alu 0xfffe
	s_or_b32 exec_lo, exec_lo, s15
	s_and_saveexec_b32 s15, s19
	s_cbranch_execz .LBB1981_314
.LBB1981_346:                           ;   in Loop: Header=BB1981_236 Depth=2
	v_lshlrev_b32_e32 v2, 2, v95
	v_add_nc_u32_e32 v20, v47, v48
	ds_load_b32 v2, v2
	ds_load_b64 v[20:21], v20 offset:11264
	s_wait_dscnt 0x1
	v_add_nc_u32_e32 v2, v2, v35
	s_delay_alu instid0(VALU_DEP_1) | instskip(NEXT) | instid1(VALU_DEP_1)
	v_lshlrev_b64_e32 v[23:24], 3, v[2:3]
	v_add_co_u32 v23, vcc_lo, s26, v23
	s_wait_alu 0xfffd
	s_delay_alu instid0(VALU_DEP_2)
	v_add_co_ci_u32_e64 v24, null, s27, v24, vcc_lo
	s_wait_dscnt 0x0
	global_store_b64 v[23:24], v[20:21], off
	s_wait_alu 0xfffe
	s_or_b32 exec_lo, exec_lo, s15
	s_and_saveexec_b32 s15, s20
	s_cbranch_execz .LBB1981_315
.LBB1981_347:                           ;   in Loop: Header=BB1981_236 Depth=2
	v_lshlrev_b32_e32 v2, 2, v94
	v_add_nc_u32_e32 v20, v47, v48
	ds_load_b32 v2, v2
	ds_load_b64 v[20:21], v20 offset:13312
	s_wait_dscnt 0x1
	v_add_nc_u32_e32 v2, v2, v36
	s_delay_alu instid0(VALU_DEP_1) | instskip(NEXT) | instid1(VALU_DEP_1)
	v_lshlrev_b64_e32 v[23:24], 3, v[2:3]
	v_add_co_u32 v23, vcc_lo, s26, v23
	s_wait_alu 0xfffd
	s_delay_alu instid0(VALU_DEP_2)
	v_add_co_ci_u32_e64 v24, null, s27, v24, vcc_lo
	s_wait_dscnt 0x0
	global_store_b64 v[23:24], v[20:21], off
	s_wait_alu 0xfffe
	s_or_b32 exec_lo, exec_lo, s15
	s_and_saveexec_b32 s15, s21
	s_cbranch_execnz .LBB1981_316
	s_branch .LBB1981_317
.LBB1981_348:                           ;   in Loop: Header=BB1981_20 Depth=1
	s_wait_loadcnt_dscnt 0x0
	s_barrier_signal -1
	s_barrier_wait -1
.LBB1981_349:                           ;   in Loop: Header=BB1981_20 Depth=1
	s_mov_b32 s0, 0
.LBB1981_350:                           ;   in Loop: Header=BB1981_20 Depth=1
	s_wait_alu 0xfffe
	s_and_not1_b32 vcc_lo, exec_lo, s0
	s_wait_alu 0xfffe
	s_cbranch_vccnz .LBB1981_19
; %bb.351:                              ;   in Loop: Header=BB1981_20 Depth=1
	s_and_b32 vcc_lo, exec_lo, s35
	s_mov_b32 s0, -1
	s_wait_alu 0xfffe
	s_cbranch_vccz .LBB1981_515
; %bb.352:                              ;   in Loop: Header=BB1981_20 Depth=1
	s_mov_b32 s9, s47
	s_mov_b32 s30, s33
	s_barrier_signal -1
	s_barrier_wait -1
	global_inv scope:SCOPE_SE
                                        ; implicit-def: $vgpr2
                                        ; implicit-def: $vgpr4
                                        ; implicit-def: $vgpr5
                                        ; implicit-def: $vgpr6
                                        ; implicit-def: $vgpr7
                                        ; implicit-def: $vgpr8
                                        ; implicit-def: $vgpr9
                                        ; implicit-def: $vgpr10
	s_branch .LBB1981_354
.LBB1981_353:                           ;   in Loop: Header=BB1981_354 Depth=2
	s_wait_alu 0xfffe
	s_or_b32 exec_lo, exec_lo, s0
	s_addk_co_i32 s9, 0xf800
	s_cmp_ge_u32 s10, s34
	s_mov_b32 s30, s10
	s_cbranch_scc1 .LBB1981_390
.LBB1981_354:                           ;   Parent Loop BB1981_20 Depth=1
                                        ; =>  This Inner Loop Header: Depth=2
	s_wait_alu 0xfffe
	s_add_co_i32 s10, s30, 0x800
	s_mov_b32 s0, -1
	s_wait_alu 0xfffe
	s_cmp_gt_u32 s10, s34
                                        ; implicit-def: $vgpr11
                                        ; implicit-def: $vgpr12
                                        ; implicit-def: $vgpr13
                                        ; implicit-def: $vgpr14
                                        ; implicit-def: $vgpr15
                                        ; implicit-def: $vgpr16
                                        ; implicit-def: $vgpr17
                                        ; implicit-def: $vgpr18
	s_cbranch_scc1 .LBB1981_356
; %bb.355:                              ;   in Loop: Header=BB1981_354 Depth=2
	s_lshl_b64 s[0:1], s[30:31], 1
	s_wait_alu 0xfffe
	v_add_co_u32 v18, vcc_lo, v55, s0
	s_wait_alu 0xfffd
	v_add_co_ci_u32_e64 v19, null, s1, v56, vcc_lo
	s_mov_b32 s0, 0
	s_clause 0x7
	global_load_u16 v11, v[18:19], off
	global_load_u16 v12, v[18:19], off offset:512
	global_load_u16 v13, v[18:19], off offset:1024
	;; [unrolled: 1-line block ×7, first 2 shown]
.LBB1981_356:                           ;   in Loop: Header=BB1981_354 Depth=2
	s_wait_alu 0xfffe
	s_and_not1_b32 vcc_lo, exec_lo, s0
	s_movk_i32 s0, 0x800
	s_wait_alu 0xfffe
	s_cbranch_vccnz .LBB1981_367
; %bb.357:                              ;   in Loop: Header=BB1981_354 Depth=2
	s_lshl_b64 s[0:1], s[30:31], 1
	s_mov_b32 s11, exec_lo
	s_wait_alu 0xfffe
	s_add_nc_u64 s[0:1], s[36:37], s[0:1]
	v_cmpx_gt_u32_e64 s9, v1
	s_cbranch_execnz .LBB1981_383
; %bb.358:                              ;   in Loop: Header=BB1981_354 Depth=2
	s_or_b32 exec_lo, exec_lo, s11
	s_delay_alu instid0(SALU_CYCLE_1)
	s_mov_b32 s11, exec_lo
	v_cmpx_gt_u32_e64 s9, v29
	s_cbranch_execnz .LBB1981_384
.LBB1981_359:                           ;   in Loop: Header=BB1981_354 Depth=2
	s_wait_alu 0xfffe
	s_or_b32 exec_lo, exec_lo, s11
	s_delay_alu instid0(SALU_CYCLE_1)
	s_mov_b32 s11, exec_lo
	v_cmpx_gt_u32_e64 s9, v30
	s_cbranch_execnz .LBB1981_385
.LBB1981_360:                           ;   in Loop: Header=BB1981_354 Depth=2
	s_wait_alu 0xfffe
	s_or_b32 exec_lo, exec_lo, s11
	s_delay_alu instid0(SALU_CYCLE_1)
	s_mov_b32 s11, exec_lo
	v_cmpx_gt_u32_e64 s9, v31
	s_cbranch_execnz .LBB1981_386
.LBB1981_361:                           ;   in Loop: Header=BB1981_354 Depth=2
	s_wait_alu 0xfffe
	s_or_b32 exec_lo, exec_lo, s11
	s_delay_alu instid0(SALU_CYCLE_1)
	s_mov_b32 s11, exec_lo
	v_cmpx_gt_u32_e64 s9, v34
	s_cbranch_execnz .LBB1981_387
.LBB1981_362:                           ;   in Loop: Header=BB1981_354 Depth=2
	s_wait_alu 0xfffe
	s_or_b32 exec_lo, exec_lo, s11
	s_delay_alu instid0(SALU_CYCLE_1)
	s_mov_b32 s11, exec_lo
	v_cmpx_gt_u32_e64 s9, v35
	s_cbranch_execnz .LBB1981_388
.LBB1981_363:                           ;   in Loop: Header=BB1981_354 Depth=2
	s_wait_alu 0xfffe
	s_or_b32 exec_lo, exec_lo, s11
	s_delay_alu instid0(SALU_CYCLE_1)
	s_mov_b32 s11, exec_lo
	v_cmpx_gt_u32_e64 s9, v36
	s_cbranch_execnz .LBB1981_389
.LBB1981_364:                           ;   in Loop: Header=BB1981_354 Depth=2
	s_wait_alu 0xfffe
	s_or_b32 exec_lo, exec_lo, s11
	s_delay_alu instid0(SALU_CYCLE_1)
	s_mov_b32 s11, exec_lo
	v_cmpx_gt_u32_e64 s9, v37
	s_cbranch_execz .LBB1981_366
.LBB1981_365:                           ;   in Loop: Header=BB1981_354 Depth=2
	global_load_u16 v2, v82, s[0:1] offset:3584
.LBB1981_366:                           ;   in Loop: Header=BB1981_354 Depth=2
	s_wait_alu 0xfffe
	s_or_b32 exec_lo, exec_lo, s11
	s_wait_loadcnt 0x0
	v_dual_mov_b32 v11, v10 :: v_dual_mov_b32 v12, v9
	v_dual_mov_b32 v13, v8 :: v_dual_mov_b32 v14, v7
	;; [unrolled: 1-line block ×4, first 2 shown]
	s_mov_b32 s0, s9
.LBB1981_367:                           ;   in Loop: Header=BB1981_354 Depth=2
	s_wait_loadcnt 0x0
	s_delay_alu instid0(VALU_DEP_1) | instskip(NEXT) | instid1(VALU_DEP_2)
	v_dual_mov_b32 v2, v18 :: v_dual_mov_b32 v5, v16
	v_dual_mov_b32 v4, v17 :: v_dual_mov_b32 v7, v14
	;; [unrolled: 1-line block ×3, first 2 shown]
	v_mov_b32_e32 v8, v13
	v_mov_b32_e32 v10, v11
	s_mov_b32 s1, exec_lo
	s_wait_alu 0xfffe
	v_cmpx_gt_u32_e64 s0, v1
	s_cbranch_execnz .LBB1981_375
; %bb.368:                              ;   in Loop: Header=BB1981_354 Depth=2
	s_or_b32 exec_lo, exec_lo, s1
	s_delay_alu instid0(SALU_CYCLE_1)
	s_mov_b32 s1, exec_lo
	v_cmpx_gt_u32_e64 s0, v29
	s_cbranch_execnz .LBB1981_376
.LBB1981_369:                           ;   in Loop: Header=BB1981_354 Depth=2
	s_wait_alu 0xfffe
	s_or_b32 exec_lo, exec_lo, s1
	s_delay_alu instid0(SALU_CYCLE_1)
	s_mov_b32 s1, exec_lo
	v_cmpx_gt_u32_e64 s0, v30
	s_cbranch_execnz .LBB1981_377
.LBB1981_370:                           ;   in Loop: Header=BB1981_354 Depth=2
	s_wait_alu 0xfffe
	s_or_b32 exec_lo, exec_lo, s1
	s_delay_alu instid0(SALU_CYCLE_1)
	s_mov_b32 s1, exec_lo
	v_cmpx_gt_u32_e64 s0, v31
	s_cbranch_execnz .LBB1981_378
.LBB1981_371:                           ;   in Loop: Header=BB1981_354 Depth=2
	s_wait_alu 0xfffe
	s_or_b32 exec_lo, exec_lo, s1
	s_delay_alu instid0(SALU_CYCLE_1)
	s_mov_b32 s1, exec_lo
	v_cmpx_gt_u32_e64 s0, v34
	s_cbranch_execnz .LBB1981_379
.LBB1981_372:                           ;   in Loop: Header=BB1981_354 Depth=2
	s_wait_alu 0xfffe
	s_or_b32 exec_lo, exec_lo, s1
	s_delay_alu instid0(SALU_CYCLE_1)
	s_mov_b32 s1, exec_lo
	v_cmpx_gt_u32_e64 s0, v35
	s_cbranch_execnz .LBB1981_380
.LBB1981_373:                           ;   in Loop: Header=BB1981_354 Depth=2
	s_wait_alu 0xfffe
	s_or_b32 exec_lo, exec_lo, s1
	s_delay_alu instid0(SALU_CYCLE_1)
	s_mov_b32 s1, exec_lo
	v_cmpx_gt_u32_e64 s0, v36
	s_cbranch_execnz .LBB1981_381
.LBB1981_374:                           ;   in Loop: Header=BB1981_354 Depth=2
	s_wait_alu 0xfffe
	s_or_b32 exec_lo, exec_lo, s1
	v_cmp_gt_u32_e32 vcc_lo, s0, v37
	s_and_saveexec_b32 s0, vcc_lo
	s_cbranch_execz .LBB1981_353
	s_branch .LBB1981_382
.LBB1981_375:                           ;   in Loop: Header=BB1981_354 Depth=2
	v_cmp_gt_i16_e32 vcc_lo, 0, v10
	s_wait_alu 0xfffd
	v_cndmask_b32_e64 v11, 0x7fff, 0, vcc_lo
	s_delay_alu instid0(VALU_DEP_1) | instskip(NEXT) | instid1(VALU_DEP_1)
	v_xor_b32_e32 v11, v11, v10
	v_cmp_ne_u16_e32 vcc_lo, 0x8000, v11
	s_wait_alu 0xfffd
	v_cndmask_b32_e32 v11, 0x7fff, v11, vcc_lo
	s_delay_alu instid0(VALU_DEP_1) | instskip(NEXT) | instid1(VALU_DEP_1)
	v_and_b32_e32 v11, 0xffff, v11
	v_lshrrev_b32_e32 v11, s45, v11
	s_delay_alu instid0(VALU_DEP_1) | instskip(NEXT) | instid1(VALU_DEP_1)
	v_and_b32_e32 v11, s42, v11
	v_lshl_or_b32 v11, v11, 4, v39
	ds_add_u32 v11, v62
	s_or_b32 exec_lo, exec_lo, s1
	s_delay_alu instid0(SALU_CYCLE_1)
	s_mov_b32 s1, exec_lo
	v_cmpx_gt_u32_e64 s0, v29
	s_cbranch_execz .LBB1981_369
.LBB1981_376:                           ;   in Loop: Header=BB1981_354 Depth=2
	v_cmp_gt_i16_e32 vcc_lo, 0, v9
	s_wait_alu 0xfffd
	v_cndmask_b32_e64 v11, 0x7fff, 0, vcc_lo
	s_delay_alu instid0(VALU_DEP_1) | instskip(NEXT) | instid1(VALU_DEP_1)
	v_xor_b32_e32 v11, v11, v9
	v_cmp_ne_u16_e32 vcc_lo, 0x8000, v11
	s_wait_alu 0xfffd
	v_cndmask_b32_e32 v11, 0x7fff, v11, vcc_lo
	s_delay_alu instid0(VALU_DEP_1) | instskip(NEXT) | instid1(VALU_DEP_1)
	v_and_b32_e32 v11, 0xffff, v11
	v_lshrrev_b32_e32 v11, s45, v11
	s_delay_alu instid0(VALU_DEP_1) | instskip(NEXT) | instid1(VALU_DEP_1)
	v_and_b32_e32 v11, s42, v11
	v_lshl_or_b32 v11, v11, 4, v39
	ds_add_u32 v11, v62
	s_wait_alu 0xfffe
	s_or_b32 exec_lo, exec_lo, s1
	s_delay_alu instid0(SALU_CYCLE_1)
	s_mov_b32 s1, exec_lo
	v_cmpx_gt_u32_e64 s0, v30
	s_cbranch_execz .LBB1981_370
.LBB1981_377:                           ;   in Loop: Header=BB1981_354 Depth=2
	v_cmp_gt_i16_e32 vcc_lo, 0, v8
	s_wait_alu 0xfffd
	v_cndmask_b32_e64 v11, 0x7fff, 0, vcc_lo
	s_delay_alu instid0(VALU_DEP_1) | instskip(NEXT) | instid1(VALU_DEP_1)
	v_xor_b32_e32 v11, v11, v8
	v_cmp_ne_u16_e32 vcc_lo, 0x8000, v11
	s_wait_alu 0xfffd
	v_cndmask_b32_e32 v11, 0x7fff, v11, vcc_lo
	s_delay_alu instid0(VALU_DEP_1) | instskip(NEXT) | instid1(VALU_DEP_1)
	v_and_b32_e32 v11, 0xffff, v11
	v_lshrrev_b32_e32 v11, s45, v11
	s_delay_alu instid0(VALU_DEP_1) | instskip(NEXT) | instid1(VALU_DEP_1)
	v_and_b32_e32 v11, s42, v11
	v_lshl_or_b32 v11, v11, 4, v39
	ds_add_u32 v11, v62
	s_wait_alu 0xfffe
	s_or_b32 exec_lo, exec_lo, s1
	s_delay_alu instid0(SALU_CYCLE_1)
	s_mov_b32 s1, exec_lo
	v_cmpx_gt_u32_e64 s0, v31
	s_cbranch_execz .LBB1981_371
.LBB1981_378:                           ;   in Loop: Header=BB1981_354 Depth=2
	v_cmp_gt_i16_e32 vcc_lo, 0, v7
	s_wait_alu 0xfffd
	v_cndmask_b32_e64 v11, 0x7fff, 0, vcc_lo
	s_delay_alu instid0(VALU_DEP_1) | instskip(NEXT) | instid1(VALU_DEP_1)
	v_xor_b32_e32 v11, v11, v7
	v_cmp_ne_u16_e32 vcc_lo, 0x8000, v11
	s_wait_alu 0xfffd
	v_cndmask_b32_e32 v11, 0x7fff, v11, vcc_lo
	s_delay_alu instid0(VALU_DEP_1) | instskip(NEXT) | instid1(VALU_DEP_1)
	v_and_b32_e32 v11, 0xffff, v11
	v_lshrrev_b32_e32 v11, s45, v11
	s_delay_alu instid0(VALU_DEP_1) | instskip(NEXT) | instid1(VALU_DEP_1)
	v_and_b32_e32 v11, s42, v11
	v_lshl_or_b32 v11, v11, 4, v39
	ds_add_u32 v11, v62
	s_wait_alu 0xfffe
	s_or_b32 exec_lo, exec_lo, s1
	s_delay_alu instid0(SALU_CYCLE_1)
	s_mov_b32 s1, exec_lo
	v_cmpx_gt_u32_e64 s0, v34
	s_cbranch_execz .LBB1981_372
.LBB1981_379:                           ;   in Loop: Header=BB1981_354 Depth=2
	v_cmp_gt_i16_e32 vcc_lo, 0, v6
	s_wait_alu 0xfffd
	v_cndmask_b32_e64 v11, 0x7fff, 0, vcc_lo
	s_delay_alu instid0(VALU_DEP_1) | instskip(NEXT) | instid1(VALU_DEP_1)
	v_xor_b32_e32 v11, v11, v6
	v_cmp_ne_u16_e32 vcc_lo, 0x8000, v11
	s_wait_alu 0xfffd
	v_cndmask_b32_e32 v11, 0x7fff, v11, vcc_lo
	s_delay_alu instid0(VALU_DEP_1) | instskip(NEXT) | instid1(VALU_DEP_1)
	v_and_b32_e32 v11, 0xffff, v11
	v_lshrrev_b32_e32 v11, s45, v11
	s_delay_alu instid0(VALU_DEP_1) | instskip(NEXT) | instid1(VALU_DEP_1)
	v_and_b32_e32 v11, s42, v11
	v_lshl_or_b32 v11, v11, 4, v39
	ds_add_u32 v11, v62
	s_wait_alu 0xfffe
	s_or_b32 exec_lo, exec_lo, s1
	s_delay_alu instid0(SALU_CYCLE_1)
	s_mov_b32 s1, exec_lo
	v_cmpx_gt_u32_e64 s0, v35
	s_cbranch_execz .LBB1981_373
.LBB1981_380:                           ;   in Loop: Header=BB1981_354 Depth=2
	v_cmp_gt_i16_e32 vcc_lo, 0, v5
	s_wait_alu 0xfffd
	v_cndmask_b32_e64 v11, 0x7fff, 0, vcc_lo
	s_delay_alu instid0(VALU_DEP_1) | instskip(NEXT) | instid1(VALU_DEP_1)
	v_xor_b32_e32 v11, v11, v5
	v_cmp_ne_u16_e32 vcc_lo, 0x8000, v11
	s_wait_alu 0xfffd
	v_cndmask_b32_e32 v11, 0x7fff, v11, vcc_lo
	s_delay_alu instid0(VALU_DEP_1) | instskip(NEXT) | instid1(VALU_DEP_1)
	v_and_b32_e32 v11, 0xffff, v11
	v_lshrrev_b32_e32 v11, s45, v11
	s_delay_alu instid0(VALU_DEP_1) | instskip(NEXT) | instid1(VALU_DEP_1)
	v_and_b32_e32 v11, s42, v11
	v_lshl_or_b32 v11, v11, 4, v39
	ds_add_u32 v11, v62
	s_wait_alu 0xfffe
	s_or_b32 exec_lo, exec_lo, s1
	s_delay_alu instid0(SALU_CYCLE_1)
	s_mov_b32 s1, exec_lo
	v_cmpx_gt_u32_e64 s0, v36
	s_cbranch_execz .LBB1981_374
.LBB1981_381:                           ;   in Loop: Header=BB1981_354 Depth=2
	v_cmp_gt_i16_e32 vcc_lo, 0, v4
	s_wait_alu 0xfffd
	v_cndmask_b32_e64 v11, 0x7fff, 0, vcc_lo
	s_delay_alu instid0(VALU_DEP_1) | instskip(NEXT) | instid1(VALU_DEP_1)
	v_xor_b32_e32 v11, v11, v4
	v_cmp_ne_u16_e32 vcc_lo, 0x8000, v11
	s_wait_alu 0xfffd
	v_cndmask_b32_e32 v11, 0x7fff, v11, vcc_lo
	s_delay_alu instid0(VALU_DEP_1) | instskip(NEXT) | instid1(VALU_DEP_1)
	v_and_b32_e32 v11, 0xffff, v11
	v_lshrrev_b32_e32 v11, s45, v11
	s_delay_alu instid0(VALU_DEP_1) | instskip(NEXT) | instid1(VALU_DEP_1)
	v_and_b32_e32 v11, s42, v11
	v_lshl_or_b32 v11, v11, 4, v39
	ds_add_u32 v11, v62
	s_wait_alu 0xfffe
	s_or_b32 exec_lo, exec_lo, s1
	v_cmp_gt_u32_e32 vcc_lo, s0, v37
	s_and_saveexec_b32 s0, vcc_lo
	s_cbranch_execz .LBB1981_353
.LBB1981_382:                           ;   in Loop: Header=BB1981_354 Depth=2
	v_cmp_gt_i16_e32 vcc_lo, 0, v2
	s_wait_alu 0xfffd
	v_cndmask_b32_e64 v11, 0x7fff, 0, vcc_lo
	s_delay_alu instid0(VALU_DEP_1) | instskip(NEXT) | instid1(VALU_DEP_1)
	v_xor_b32_e32 v11, v11, v2
	v_cmp_ne_u16_e32 vcc_lo, 0x8000, v11
	s_wait_alu 0xfffd
	v_cndmask_b32_e32 v11, 0x7fff, v11, vcc_lo
	s_delay_alu instid0(VALU_DEP_1) | instskip(NEXT) | instid1(VALU_DEP_1)
	v_and_b32_e32 v11, 0xffff, v11
	v_lshrrev_b32_e32 v11, s45, v11
	s_delay_alu instid0(VALU_DEP_1) | instskip(NEXT) | instid1(VALU_DEP_1)
	v_and_b32_e32 v11, s42, v11
	v_lshl_or_b32 v11, v11, 4, v39
	ds_add_u32 v11, v62
	s_branch .LBB1981_353
.LBB1981_383:                           ;   in Loop: Header=BB1981_354 Depth=2
	global_load_u16 v10, v82, s[0:1]
	s_or_b32 exec_lo, exec_lo, s11
	s_delay_alu instid0(SALU_CYCLE_1)
	s_mov_b32 s11, exec_lo
	v_cmpx_gt_u32_e64 s9, v29
	s_cbranch_execz .LBB1981_359
.LBB1981_384:                           ;   in Loop: Header=BB1981_354 Depth=2
	global_load_u16 v9, v82, s[0:1] offset:512
	s_wait_alu 0xfffe
	s_or_b32 exec_lo, exec_lo, s11
	s_delay_alu instid0(SALU_CYCLE_1)
	s_mov_b32 s11, exec_lo
	v_cmpx_gt_u32_e64 s9, v30
	s_cbranch_execz .LBB1981_360
.LBB1981_385:                           ;   in Loop: Header=BB1981_354 Depth=2
	global_load_u16 v8, v82, s[0:1] offset:1024
	s_wait_alu 0xfffe
	s_or_b32 exec_lo, exec_lo, s11
	s_delay_alu instid0(SALU_CYCLE_1)
	s_mov_b32 s11, exec_lo
	v_cmpx_gt_u32_e64 s9, v31
	s_cbranch_execz .LBB1981_361
.LBB1981_386:                           ;   in Loop: Header=BB1981_354 Depth=2
	global_load_u16 v7, v82, s[0:1] offset:1536
	s_wait_alu 0xfffe
	s_or_b32 exec_lo, exec_lo, s11
	s_delay_alu instid0(SALU_CYCLE_1)
	s_mov_b32 s11, exec_lo
	v_cmpx_gt_u32_e64 s9, v34
	s_cbranch_execz .LBB1981_362
.LBB1981_387:                           ;   in Loop: Header=BB1981_354 Depth=2
	global_load_u16 v6, v82, s[0:1] offset:2048
	s_wait_alu 0xfffe
	s_or_b32 exec_lo, exec_lo, s11
	s_delay_alu instid0(SALU_CYCLE_1)
	s_mov_b32 s11, exec_lo
	v_cmpx_gt_u32_e64 s9, v35
	s_cbranch_execz .LBB1981_363
.LBB1981_388:                           ;   in Loop: Header=BB1981_354 Depth=2
	global_load_u16 v5, v82, s[0:1] offset:2560
	s_wait_alu 0xfffe
	s_or_b32 exec_lo, exec_lo, s11
	s_delay_alu instid0(SALU_CYCLE_1)
	s_mov_b32 s11, exec_lo
	v_cmpx_gt_u32_e64 s9, v36
	s_cbranch_execz .LBB1981_364
.LBB1981_389:                           ;   in Loop: Header=BB1981_354 Depth=2
	global_load_u16 v4, v82, s[0:1] offset:3072
	s_wait_alu 0xfffe
	s_or_b32 exec_lo, exec_lo, s11
	s_delay_alu instid0(SALU_CYCLE_1)
	s_mov_b32 s11, exec_lo
	v_cmpx_gt_u32_e64 s9, v37
	s_cbranch_execnz .LBB1981_365
	s_branch .LBB1981_366
.LBB1981_390:                           ;   in Loop: Header=BB1981_20 Depth=1
	v_mov_b32_e32 v2, 0
	s_wait_dscnt 0x0
	s_barrier_signal -1
	s_barrier_wait -1
	global_inv scope:SCOPE_SE
	s_and_saveexec_b32 s0, s2
	s_cbranch_execz .LBB1981_392
; %bb.391:                              ;   in Loop: Header=BB1981_20 Depth=1
	ds_load_2addr_b64 v[4:7], v40 offset1:1
	s_wait_dscnt 0x0
	v_add_nc_u32_e32 v2, v5, v4
	s_delay_alu instid0(VALU_DEP_1)
	v_add3_u32 v2, v2, v6, v7
.LBB1981_392:                           ;   in Loop: Header=BB1981_20 Depth=1
	s_wait_alu 0xfffe
	s_or_b32 exec_lo, exec_lo, s0
	s_delay_alu instid0(VALU_DEP_1)
	v_mov_b32_dpp v4, v2 row_shr:1 row_mask:0xf bank_mask:0xf
	v_cmp_eq_u32_e64 s0, 0, v63
	v_cmp_lt_u32_e64 s1, 1, v63
	v_cmp_lt_u32_e64 s9, 3, v63
	;; [unrolled: 1-line block ×3, first 2 shown]
	v_cmp_eq_u32_e64 s11, 0, v65
	s_wait_alu 0xf1ff
	v_cndmask_b32_e64 v4, v4, 0, s0
	s_delay_alu instid0(VALU_DEP_1) | instskip(NEXT) | instid1(VALU_DEP_1)
	v_add_nc_u32_e32 v2, v4, v2
	v_mov_b32_dpp v4, v2 row_shr:2 row_mask:0xf bank_mask:0xf
	s_delay_alu instid0(VALU_DEP_1) | instskip(NEXT) | instid1(VALU_DEP_1)
	v_cndmask_b32_e64 v4, 0, v4, s1
	v_add_nc_u32_e32 v2, v2, v4
	s_delay_alu instid0(VALU_DEP_1) | instskip(NEXT) | instid1(VALU_DEP_1)
	v_mov_b32_dpp v4, v2 row_shr:4 row_mask:0xf bank_mask:0xf
	v_cndmask_b32_e64 v4, 0, v4, s9
	s_delay_alu instid0(VALU_DEP_1) | instskip(NEXT) | instid1(VALU_DEP_1)
	v_add_nc_u32_e32 v2, v2, v4
	v_mov_b32_dpp v4, v2 row_shr:8 row_mask:0xf bank_mask:0xf
	s_delay_alu instid0(VALU_DEP_1) | instskip(NEXT) | instid1(VALU_DEP_1)
	v_cndmask_b32_e64 v4, 0, v4, s10
	v_add_nc_u32_e32 v2, v2, v4
	ds_swizzle_b32 v4, v2 offset:swizzle(BROADCAST,32,15)
	s_wait_dscnt 0x0
	v_and_b32_e32 v4, v64, v4
	s_delay_alu instid0(VALU_DEP_1)
	v_add_nc_u32_e32 v2, v2, v4
	s_and_saveexec_b32 s12, s3
; %bb.393:                              ;   in Loop: Header=BB1981_20 Depth=1
	ds_store_b32 v41, v2
; %bb.394:                              ;   in Loop: Header=BB1981_20 Depth=1
	s_wait_alu 0xfffe
	s_or_b32 exec_lo, exec_lo, s12
	s_wait_loadcnt_dscnt 0x0
	s_barrier_signal -1
	s_barrier_wait -1
	global_inv scope:SCOPE_SE
	s_and_saveexec_b32 s12, s4
	s_cbranch_execz .LBB1981_396
; %bb.395:                              ;   in Loop: Header=BB1981_20 Depth=1
	ds_load_b32 v4, v42
	v_cmp_ne_u32_e32 vcc_lo, 0, v67
	s_wait_dscnt 0x0
	v_mov_b32_dpp v5, v4 row_shr:1 row_mask:0xf bank_mask:0xf
	s_wait_alu 0xfffd
	s_delay_alu instid0(VALU_DEP_1) | instskip(SKIP_1) | instid1(VALU_DEP_2)
	v_cndmask_b32_e32 v5, 0, v5, vcc_lo
	v_cmp_lt_u32_e32 vcc_lo, 1, v67
	v_add_nc_u32_e32 v4, v5, v4
	s_delay_alu instid0(VALU_DEP_1) | instskip(SKIP_1) | instid1(VALU_DEP_1)
	v_mov_b32_dpp v5, v4 row_shr:2 row_mask:0xf bank_mask:0xf
	s_wait_alu 0xfffd
	v_cndmask_b32_e32 v5, 0, v5, vcc_lo
	v_cmp_lt_u32_e32 vcc_lo, 3, v67
	s_delay_alu instid0(VALU_DEP_2) | instskip(NEXT) | instid1(VALU_DEP_1)
	v_add_nc_u32_e32 v4, v4, v5
	v_mov_b32_dpp v5, v4 row_shr:4 row_mask:0xf bank_mask:0xf
	s_wait_alu 0xfffd
	s_delay_alu instid0(VALU_DEP_1) | instskip(NEXT) | instid1(VALU_DEP_1)
	v_cndmask_b32_e32 v5, 0, v5, vcc_lo
	v_add_nc_u32_e32 v4, v4, v5
	ds_store_b32 v42, v4
.LBB1981_396:                           ;   in Loop: Header=BB1981_20 Depth=1
	s_wait_alu 0xfffe
	s_or_b32 exec_lo, exec_lo, s12
	v_mov_b32_e32 v4, 0
	s_wait_loadcnt_dscnt 0x0
	s_barrier_signal -1
	s_barrier_wait -1
	global_inv scope:SCOPE_SE
	s_and_saveexec_b32 s12, s5
; %bb.397:                              ;   in Loop: Header=BB1981_20 Depth=1
	ds_load_b32 v4, v44
; %bb.398:                              ;   in Loop: Header=BB1981_20 Depth=1
	s_wait_alu 0xfffe
	s_or_b32 exec_lo, exec_lo, s12
	v_cmp_gt_i32_e32 vcc_lo, 0, v68
	s_wait_dscnt 0x0
	v_add_nc_u32_e32 v2, v4, v2
	s_wait_loadcnt 0x0
	s_barrier_signal -1
	s_barrier_wait -1
	s_wait_alu 0xfffd
	v_cndmask_b32_e32 v5, v68, v59, vcc_lo
	global_inv scope:SCOPE_SE
	v_lshlrev_b32_e32 v87, 2, v5
	ds_bpermute_b32 v2, v87, v2
	s_and_saveexec_b32 s12, s2
	s_cbranch_execz .LBB1981_400
; %bb.399:                              ;   in Loop: Header=BB1981_20 Depth=1
	s_wait_dscnt 0x0
	v_cndmask_b32_e64 v2, v2, v4, s8
	s_delay_alu instid0(VALU_DEP_1)
	v_add_nc_u32_e32 v2, s33, v2
	ds_store_b32 v28, v2
.LBB1981_400:                           ;   in Loop: Header=BB1981_20 Depth=1
	s_wait_alu 0xfffe
	s_or_b32 exec_lo, exec_lo, s12
	s_load_b64 s[12:13], s[28:29], 0x0
	v_add_co_u32 v88, vcc_lo, v57, v69
	s_wait_alu 0xfffd
	v_add_co_ci_u32_e64 v89, null, 0, v58, vcc_lo
	v_add_co_u32 v90, vcc_lo, v60, v77
	s_wait_alu 0xfffd
	v_add_co_ci_u32_e64 v91, null, 0, v61, vcc_lo
	s_mov_b32 s43, s47
                                        ; implicit-def: $vgpr6_vgpr7
                                        ; implicit-def: $vgpr8_vgpr9
                                        ; implicit-def: $vgpr10_vgpr11
                                        ; implicit-def: $vgpr12_vgpr13
                                        ; implicit-def: $vgpr14_vgpr15
                                        ; implicit-def: $vgpr16_vgpr17
                                        ; implicit-def: $vgpr18_vgpr19
                                        ; implicit-def: $vgpr93
                                        ; implicit-def: $vgpr94
                                        ; implicit-def: $vgpr95
                                        ; implicit-def: $vgpr96
                                        ; implicit-def: $vgpr97
                                        ; implicit-def: $vgpr98
                                        ; implicit-def: $vgpr99
                                        ; implicit-def: $vgpr100
	s_wait_kmcnt 0x0
	s_cmp_lt_u32 ttmp7, s13
	s_cselect_b32 s30, 14, 20
	s_cmp_lt_u32 ttmp9, s12
	s_wait_alu 0xfffe
	s_add_nc_u64 s[14:15], s[28:29], s[30:31]
	s_cselect_b32 s30, 12, 18
	s_load_u16 s14, s[14:15], 0x0
	s_add_nc_u64 s[12:13], s[28:29], s[30:31]
	s_mov_b32 s30, s33
	s_load_u16 s12, s[12:13], 0x0
	v_cmp_lt_u32_e64 s13, 1, v67
	s_wait_dscnt 0x0
	s_wait_kmcnt 0x0
	v_mad_u32_u24 v2, v45, s14, v0
	v_cmp_lt_u32_e64 s14, 3, v67
	s_delay_alu instid0(VALU_DEP_2) | instskip(SKIP_1) | instid1(VALU_DEP_2)
	v_mad_co_u64_u32 v[4:5], null, v2, s12, v[1:2]
	v_cmp_eq_u32_e64 s12, 0, v67
	v_lshrrev_b32_e32 v2, 3, v4
                                        ; implicit-def: $vgpr4_vgpr5
	s_delay_alu instid0(VALU_DEP_1)
	v_and_b32_e32 v92, 0x1ffffffc, v2
	s_branch .LBB1981_402
.LBB1981_401:                           ;   in Loop: Header=BB1981_402 Depth=2
	s_wait_alu 0xfffe
	s_or_b32 exec_lo, exec_lo, s15
	s_addk_co_i32 s43, 0xf800
	s_cmp_lt_u32 s44, s34
	s_mov_b32 s30, s44
	s_cbranch_scc0 .LBB1981_514
.LBB1981_402:                           ;   Parent Loop BB1981_20 Depth=1
                                        ; =>  This Inner Loop Header: Depth=2
	s_wait_alu 0xfffe
	s_add_co_i32 s44, s30, 0x800
	s_wait_alu 0xfffe
	s_cmp_gt_u32 s44, s34
	s_cbranch_scc1 .LBB1981_404
; %bb.403:                              ;   in Loop: Header=BB1981_402 Depth=2
	s_lshl_b64 s[16:17], s[30:31], 1
	s_mov_b32 s15, -1
	s_wait_alu 0xfffe
	v_add_co_u32 v20, vcc_lo, v90, s16
	s_wait_alu 0xfffd
	v_add_co_ci_u32_e64 v21, null, s17, v91, vcc_lo
	s_clause 0x6
	global_load_u16 v2, v[20:21], off
	global_load_u16 v27, v[20:21], off offset:64
	global_load_u16 v26, v[20:21], off offset:128
	;; [unrolled: 1-line block ×6, first 2 shown]
	s_movk_i32 s16, 0x800
	s_cbranch_execz .LBB1981_405
	s_branch .LBB1981_420
.LBB1981_404:                           ;   in Loop: Header=BB1981_402 Depth=2
	s_mov_b32 s15, 0
                                        ; implicit-def: $vgpr2
                                        ; implicit-def: $vgpr27
                                        ; implicit-def: $vgpr26
                                        ; implicit-def: $vgpr25
                                        ; implicit-def: $vgpr24
                                        ; implicit-def: $vgpr23
                                        ; implicit-def: $vgpr22
	s_movk_i32 s16, 0x800
.LBB1981_405:                           ;   in Loop: Header=BB1981_402 Depth=2
	s_lshl_b64 s[16:17], s[30:31], 1
	s_wait_loadcnt 0x5
	v_dual_mov_b32 v27, -1 :: v_dual_mov_b32 v2, -1
	s_wait_alu 0xfffe
	v_add_co_u32 v20, vcc_lo, v90, s16
	s_wait_alu 0xfffd
	v_add_co_ci_u32_e64 v21, null, s17, v91, vcc_lo
	s_mov_b32 s15, exec_lo
	v_cmpx_gt_u32_e64 s43, v66
	s_cbranch_execz .LBB1981_407
; %bb.406:                              ;   in Loop: Header=BB1981_402 Depth=2
	global_load_u16 v2, v[20:21], off
.LBB1981_407:                           ;   in Loop: Header=BB1981_402 Depth=2
	s_wait_alu 0xfffe
	s_or_b32 exec_lo, exec_lo, s15
	s_delay_alu instid0(SALU_CYCLE_1)
	s_mov_b32 s15, exec_lo
	v_cmpx_gt_u32_e64 s43, v70
	s_cbranch_execz .LBB1981_409
; %bb.408:                              ;   in Loop: Header=BB1981_402 Depth=2
	global_load_u16 v27, v[20:21], off offset:64
.LBB1981_409:                           ;   in Loop: Header=BB1981_402 Depth=2
	s_wait_alu 0xfffe
	s_or_b32 exec_lo, exec_lo, s15
	s_wait_loadcnt 0x3
	v_dual_mov_b32 v25, -1 :: v_dual_mov_b32 v26, -1
	s_mov_b32 s15, exec_lo
	v_cmpx_gt_u32_e64 s43, v71
	s_cbranch_execz .LBB1981_411
; %bb.410:                              ;   in Loop: Header=BB1981_402 Depth=2
	global_load_u16 v26, v[20:21], off offset:128
.LBB1981_411:                           ;   in Loop: Header=BB1981_402 Depth=2
	s_wait_alu 0xfffe
	s_or_b32 exec_lo, exec_lo, s15
	s_delay_alu instid0(SALU_CYCLE_1)
	s_mov_b32 s15, exec_lo
	v_cmpx_gt_u32_e64 s43, v72
	s_cbranch_execz .LBB1981_413
; %bb.412:                              ;   in Loop: Header=BB1981_402 Depth=2
	global_load_u16 v25, v[20:21], off offset:192
.LBB1981_413:                           ;   in Loop: Header=BB1981_402 Depth=2
	s_wait_alu 0xfffe
	s_or_b32 exec_lo, exec_lo, s15
	s_wait_loadcnt 0x1
	v_dual_mov_b32 v23, -1 :: v_dual_mov_b32 v24, -1
	s_mov_b32 s15, exec_lo
	v_cmpx_gt_u32_e64 s43, v73
	s_cbranch_execz .LBB1981_415
; %bb.414:                              ;   in Loop: Header=BB1981_402 Depth=2
	global_load_u16 v24, v[20:21], off offset:256
.LBB1981_415:                           ;   in Loop: Header=BB1981_402 Depth=2
	s_wait_alu 0xfffe
	s_or_b32 exec_lo, exec_lo, s15
	s_delay_alu instid0(SALU_CYCLE_1)
	s_mov_b32 s15, exec_lo
	v_cmpx_gt_u32_e64 s43, v74
	s_cbranch_execz .LBB1981_417
; %bb.416:                              ;   in Loop: Header=BB1981_402 Depth=2
	global_load_u16 v23, v[20:21], off offset:320
.LBB1981_417:                           ;   in Loop: Header=BB1981_402 Depth=2
	s_wait_alu 0xfffe
	s_or_b32 exec_lo, exec_lo, s15
	s_wait_loadcnt 0x0
	v_mov_b32_e32 v22, -1
	s_mov_b32 s15, exec_lo
	v_cmpx_gt_u32_e64 s43, v75
	s_cbranch_execz .LBB1981_419
; %bb.418:                              ;   in Loop: Header=BB1981_402 Depth=2
	global_load_u16 v22, v[20:21], off offset:384
.LBB1981_419:                           ;   in Loop: Header=BB1981_402 Depth=2
	s_wait_alu 0xfffe
	s_or_b32 exec_lo, exec_lo, s15
	v_cmp_gt_u32_e64 s15, s43, v76
	s_sub_co_i32 s16, s34, s30
.LBB1981_420:                           ;   in Loop: Header=BB1981_402 Depth=2
	v_dual_mov_b32 v20, -1 :: v_dual_mov_b32 v101, s43
	s_and_saveexec_b32 s17, s15
	s_cbranch_execz .LBB1981_422
; %bb.421:                              ;   in Loop: Header=BB1981_402 Depth=2
	s_lshl_b64 s[18:19], s[30:31], 1
	s_wait_alu 0xfffe
	v_mov_b32_e32 v101, s16
	v_add_co_u32 v20, vcc_lo, v90, s18
	s_wait_alu 0xfffd
	v_add_co_ci_u32_e64 v21, null, s19, v91, vcc_lo
	global_load_u16 v20, v[20:21], off offset:448
.LBB1981_422:                           ;   in Loop: Header=BB1981_402 Depth=2
	s_wait_alu 0xfffe
	s_or_b32 exec_lo, exec_lo, s17
	s_wait_loadcnt 0x6
	v_cmp_gt_i16_e32 vcc_lo, 0, v2
	ds_store_2addr_b32 v81, v3, v3 offset1:1
	ds_store_2addr_b32 v78, v3, v3 offset1:1
	;; [unrolled: 1-line block ×4, first 2 shown]
	ds_store_b32 v43, v3 offset:1088
	s_wait_loadcnt_dscnt 0x0
	s_barrier_signal -1
	s_wait_alu 0xfffd
	v_cndmask_b32_e64 v21, 0x7fff, 0, vcc_lo
	s_barrier_wait -1
	global_inv scope:SCOPE_SE
	; wave barrier
	v_xor_b32_e32 v2, v21, v2
	s_delay_alu instid0(VALU_DEP_1) | instskip(SKIP_2) | instid1(VALU_DEP_1)
	v_cmp_ne_u16_e32 vcc_lo, 0x8000, v2
	s_wait_alu 0xfffd
	v_cndmask_b32_e32 v21, 0x7fff, v2, vcc_lo
	v_and_b32_e32 v21, 0xffff, v21
	s_delay_alu instid0(VALU_DEP_1) | instskip(NEXT) | instid1(VALU_DEP_1)
	v_lshrrev_b32_e32 v21, s45, v21
	v_and_b32_e32 v103, s42, v21
	s_delay_alu instid0(VALU_DEP_1)
	v_and_b32_e32 v21, 1, v103
	v_lshlrev_b32_e32 v102, 30, v103
	v_lshlrev_b32_e32 v104, 29, v103
	;; [unrolled: 1-line block ×4, first 2 shown]
	v_add_co_u32 v21, s15, v21, -1
	s_wait_alu 0xf1ff
	v_cndmask_b32_e64 v106, 0, 1, s15
	v_not_b32_e32 v110, v102
	v_cmp_gt_i32_e64 s15, 0, v102
	v_not_b32_e32 v102, v104
	v_lshlrev_b32_e32 v108, 26, v103
	v_cmp_ne_u32_e32 vcc_lo, 0, v106
	v_ashrrev_i32_e32 v110, 31, v110
	v_lshlrev_b32_e32 v109, 25, v103
	v_ashrrev_i32_e32 v102, 31, v102
	v_lshlrev_b32_e32 v106, 24, v103
	s_wait_alu 0xfffd
	v_xor_b32_e32 v21, vcc_lo, v21
	v_cmp_gt_i32_e32 vcc_lo, 0, v104
	v_not_b32_e32 v104, v105
	s_wait_alu 0xf1ff
	v_xor_b32_e32 v110, s15, v110
	v_cmp_gt_i32_e64 s15, 0, v105
	v_and_b32_e32 v21, exec_lo, v21
	v_not_b32_e32 v105, v107
	v_ashrrev_i32_e32 v104, 31, v104
	s_wait_alu 0xfffd
	v_xor_b32_e32 v102, vcc_lo, v102
	v_cmp_gt_i32_e32 vcc_lo, 0, v107
	v_and_b32_e32 v21, v21, v110
	v_not_b32_e32 v107, v108
	v_ashrrev_i32_e32 v105, 31, v105
	s_wait_alu 0xf1ff
	v_xor_b32_e32 v104, s15, v104
	v_cmp_gt_i32_e64 s15, 0, v108
	v_and_b32_e32 v21, v21, v102
	v_not_b32_e32 v102, v109
	v_ashrrev_i32_e32 v107, 31, v107
	s_wait_alu 0xfffd
	v_xor_b32_e32 v105, vcc_lo, v105
	v_cmp_gt_i32_e32 vcc_lo, 0, v109
	v_and_b32_e32 v21, v21, v104
	v_not_b32_e32 v104, v106
	v_ashrrev_i32_e32 v102, 31, v102
	s_wait_alu 0xf1ff
	v_xor_b32_e32 v107, s15, v107
	v_cmp_gt_i32_e64 s15, 0, v106
	v_and_b32_e32 v21, v21, v105
	v_ashrrev_i32_e32 v104, 31, v104
	s_wait_alu 0xfffd
	v_xor_b32_e32 v102, vcc_lo, v102
	v_mul_u32_u24_e32 v103, 36, v103
	v_and_b32_e32 v21, v21, v107
	s_wait_alu 0xf1ff
	v_xor_b32_e32 v104, s15, v104
	s_delay_alu instid0(VALU_DEP_2) | instskip(NEXT) | instid1(VALU_DEP_1)
	v_and_b32_e32 v21, v21, v102
	v_and_b32_e32 v21, v21, v104
	v_add_nc_u32_e32 v104, v92, v103
	s_delay_alu instid0(VALU_DEP_2) | instskip(SKIP_1) | instid1(VALU_DEP_2)
	v_mbcnt_lo_u32_b32 v102, v21, 0
	v_cmp_ne_u32_e64 s15, 0, v21
	v_cmp_eq_u32_e32 vcc_lo, 0, v102
	s_and_b32 s16, s15, vcc_lo
	s_wait_alu 0xfffe
	s_and_saveexec_b32 s15, s16
; %bb.423:                              ;   in Loop: Header=BB1981_402 Depth=2
	v_bcnt_u32_b32 v21, v21, 0
	ds_store_b32 v104, v21 offset:1056
; %bb.424:                              ;   in Loop: Header=BB1981_402 Depth=2
	s_wait_alu 0xfffe
	s_or_b32 exec_lo, exec_lo, s15
	v_cmp_gt_i16_e32 vcc_lo, 0, v27
	; wave barrier
	s_wait_alu 0xfffd
	v_cndmask_b32_e64 v21, 0x7fff, 0, vcc_lo
	s_delay_alu instid0(VALU_DEP_1) | instskip(NEXT) | instid1(VALU_DEP_1)
	v_xor_b32_e32 v103, v21, v27
	v_cmp_ne_u16_e32 vcc_lo, 0x8000, v103
	s_wait_alu 0xfffd
	v_cndmask_b32_e32 v21, 0x7fff, v103, vcc_lo
	s_delay_alu instid0(VALU_DEP_1) | instskip(NEXT) | instid1(VALU_DEP_1)
	v_and_b32_e32 v21, 0xffff, v21
	v_lshrrev_b32_e32 v21, s45, v21
	s_delay_alu instid0(VALU_DEP_1) | instskip(NEXT) | instid1(VALU_DEP_1)
	v_and_b32_e32 v27, s42, v21
	v_and_b32_e32 v21, 1, v27
	v_lshlrev_b32_e32 v105, 30, v27
	v_lshlrev_b32_e32 v106, 29, v27
	;; [unrolled: 1-line block ×4, first 2 shown]
	v_add_co_u32 v21, s15, v21, -1
	s_wait_alu 0xf1ff
	v_cndmask_b32_e64 v108, 0, 1, s15
	v_not_b32_e32 v112, v105
	v_cmp_gt_i32_e64 s15, 0, v105
	v_not_b32_e32 v105, v106
	v_lshlrev_b32_e32 v110, 26, v27
	v_cmp_ne_u32_e32 vcc_lo, 0, v108
	v_ashrrev_i32_e32 v112, 31, v112
	v_lshlrev_b32_e32 v111, 25, v27
	v_ashrrev_i32_e32 v105, 31, v105
	v_lshlrev_b32_e32 v108, 24, v27
	s_wait_alu 0xfffd
	v_xor_b32_e32 v21, vcc_lo, v21
	v_cmp_gt_i32_e32 vcc_lo, 0, v106
	v_not_b32_e32 v106, v107
	s_wait_alu 0xf1ff
	v_xor_b32_e32 v112, s15, v112
	v_cmp_gt_i32_e64 s15, 0, v107
	v_and_b32_e32 v21, exec_lo, v21
	v_not_b32_e32 v107, v109
	v_ashrrev_i32_e32 v106, 31, v106
	s_wait_alu 0xfffd
	v_xor_b32_e32 v105, vcc_lo, v105
	v_cmp_gt_i32_e32 vcc_lo, 0, v109
	v_and_b32_e32 v21, v21, v112
	v_not_b32_e32 v109, v110
	v_ashrrev_i32_e32 v107, 31, v107
	s_wait_alu 0xf1ff
	v_xor_b32_e32 v106, s15, v106
	v_cmp_gt_i32_e64 s15, 0, v110
	v_and_b32_e32 v21, v21, v105
	v_not_b32_e32 v105, v111
	v_ashrrev_i32_e32 v109, 31, v109
	s_wait_alu 0xfffd
	v_xor_b32_e32 v107, vcc_lo, v107
	v_cmp_gt_i32_e32 vcc_lo, 0, v111
	v_and_b32_e32 v21, v21, v106
	v_not_b32_e32 v106, v108
	v_ashrrev_i32_e32 v105, 31, v105
	s_wait_alu 0xf1ff
	v_xor_b32_e32 v109, s15, v109
	v_cmp_gt_i32_e64 s15, 0, v108
	v_and_b32_e32 v21, v21, v107
	v_ashrrev_i32_e32 v106, 31, v106
	s_wait_alu 0xfffd
	v_xor_b32_e32 v105, vcc_lo, v105
	v_mad_u32_u24 v107, v27, 36, v92
	v_mul_u32_u24_e32 v27, 36, v27
	v_and_b32_e32 v21, v21, v109
	s_wait_alu 0xf1ff
	v_xor_b32_e32 v106, s15, v106
	s_delay_alu instid0(VALU_DEP_3) | instskip(NEXT) | instid1(VALU_DEP_3)
	v_add_nc_u32_e32 v108, v92, v27
	v_and_b32_e32 v21, v21, v105
	ds_load_b32 v105, v107 offset:1056
	; wave barrier
	v_and_b32_e32 v21, v21, v106
	s_delay_alu instid0(VALU_DEP_1) | instskip(SKIP_1) | instid1(VALU_DEP_2)
	v_mbcnt_lo_u32_b32 v106, v21, 0
	v_cmp_ne_u32_e64 s15, 0, v21
	v_cmp_eq_u32_e32 vcc_lo, 0, v106
	s_and_b32 s16, s15, vcc_lo
	s_wait_alu 0xfffe
	s_and_saveexec_b32 s15, s16
	s_cbranch_execz .LBB1981_426
; %bb.425:                              ;   in Loop: Header=BB1981_402 Depth=2
	s_wait_dscnt 0x0
	v_bcnt_u32_b32 v21, v21, v105
	ds_store_b32 v108, v21 offset:1056
.LBB1981_426:                           ;   in Loop: Header=BB1981_402 Depth=2
	s_wait_alu 0xfffe
	s_or_b32 exec_lo, exec_lo, s15
	v_cmp_gt_i16_e32 vcc_lo, 0, v26
	; wave barrier
	s_wait_alu 0xfffd
	v_cndmask_b32_e64 v21, 0x7fff, 0, vcc_lo
	s_delay_alu instid0(VALU_DEP_1) | instskip(NEXT) | instid1(VALU_DEP_1)
	v_xor_b32_e32 v107, v21, v26
	v_cmp_ne_u16_e32 vcc_lo, 0x8000, v107
	s_wait_alu 0xfffd
	v_cndmask_b32_e32 v21, 0x7fff, v107, vcc_lo
	s_delay_alu instid0(VALU_DEP_1) | instskip(NEXT) | instid1(VALU_DEP_1)
	v_and_b32_e32 v21, 0xffff, v21
	v_lshrrev_b32_e32 v21, s45, v21
	s_delay_alu instid0(VALU_DEP_1) | instskip(NEXT) | instid1(VALU_DEP_1)
	v_and_b32_e32 v26, s42, v21
	v_and_b32_e32 v21, 1, v26
	v_lshlrev_b32_e32 v27, 30, v26
	v_lshlrev_b32_e32 v109, 29, v26
	;; [unrolled: 1-line block ×4, first 2 shown]
	v_add_co_u32 v21, s15, v21, -1
	s_wait_alu 0xf1ff
	v_cndmask_b32_e64 v111, 0, 1, s15
	v_not_b32_e32 v115, v27
	v_cmp_gt_i32_e64 s15, 0, v27
	v_not_b32_e32 v27, v109
	v_lshlrev_b32_e32 v113, 26, v26
	v_cmp_ne_u32_e32 vcc_lo, 0, v111
	v_ashrrev_i32_e32 v115, 31, v115
	v_lshlrev_b32_e32 v114, 25, v26
	v_ashrrev_i32_e32 v27, 31, v27
	v_lshlrev_b32_e32 v111, 24, v26
	s_wait_alu 0xfffd
	v_xor_b32_e32 v21, vcc_lo, v21
	v_cmp_gt_i32_e32 vcc_lo, 0, v109
	v_not_b32_e32 v109, v110
	s_wait_alu 0xf1ff
	v_xor_b32_e32 v115, s15, v115
	v_cmp_gt_i32_e64 s15, 0, v110
	v_and_b32_e32 v21, exec_lo, v21
	v_not_b32_e32 v110, v112
	v_ashrrev_i32_e32 v109, 31, v109
	s_wait_alu 0xfffd
	v_xor_b32_e32 v27, vcc_lo, v27
	v_cmp_gt_i32_e32 vcc_lo, 0, v112
	v_and_b32_e32 v21, v21, v115
	v_not_b32_e32 v112, v113
	v_ashrrev_i32_e32 v110, 31, v110
	s_wait_alu 0xf1ff
	v_xor_b32_e32 v109, s15, v109
	v_cmp_gt_i32_e64 s15, 0, v113
	v_and_b32_e32 v21, v21, v27
	v_not_b32_e32 v27, v114
	v_ashrrev_i32_e32 v112, 31, v112
	s_wait_alu 0xfffd
	v_xor_b32_e32 v110, vcc_lo, v110
	v_cmp_gt_i32_e32 vcc_lo, 0, v114
	v_and_b32_e32 v21, v21, v109
	v_not_b32_e32 v109, v111
	v_ashrrev_i32_e32 v27, 31, v27
	s_wait_alu 0xf1ff
	v_xor_b32_e32 v112, s15, v112
	v_cmp_gt_i32_e64 s15, 0, v111
	v_and_b32_e32 v21, v21, v110
	v_ashrrev_i32_e32 v109, 31, v109
	s_wait_alu 0xfffd
	v_xor_b32_e32 v27, vcc_lo, v27
	v_mad_u32_u24 v110, v26, 36, v92
	v_mul_u32_u24_e32 v26, 36, v26
	v_and_b32_e32 v21, v21, v112
	s_wait_alu 0xf1ff
	v_xor_b32_e32 v111, s15, v109
	ds_load_b32 v109, v110 offset:1056
	v_add_nc_u32_e32 v112, v92, v26
	v_and_b32_e32 v21, v21, v27
	; wave barrier
	s_delay_alu instid0(VALU_DEP_1) | instskip(NEXT) | instid1(VALU_DEP_1)
	v_and_b32_e32 v21, v21, v111
	v_mbcnt_lo_u32_b32 v111, v21, 0
	v_cmp_ne_u32_e64 s15, 0, v21
	s_delay_alu instid0(VALU_DEP_2)
	v_cmp_eq_u32_e32 vcc_lo, 0, v111
	s_and_b32 s16, s15, vcc_lo
	s_wait_alu 0xfffe
	s_and_saveexec_b32 s15, s16
	s_cbranch_execz .LBB1981_428
; %bb.427:                              ;   in Loop: Header=BB1981_402 Depth=2
	s_wait_dscnt 0x0
	v_bcnt_u32_b32 v21, v21, v109
	ds_store_b32 v112, v21 offset:1056
.LBB1981_428:                           ;   in Loop: Header=BB1981_402 Depth=2
	s_wait_alu 0xfffe
	s_or_b32 exec_lo, exec_lo, s15
	v_cmp_gt_i16_e32 vcc_lo, 0, v25
	; wave barrier
	s_wait_alu 0xfffd
	v_cndmask_b32_e64 v21, 0x7fff, 0, vcc_lo
	s_delay_alu instid0(VALU_DEP_1) | instskip(NEXT) | instid1(VALU_DEP_1)
	v_xor_b32_e32 v110, v21, v25
	v_cmp_ne_u16_e32 vcc_lo, 0x8000, v110
	s_wait_alu 0xfffd
	v_cndmask_b32_e32 v21, 0x7fff, v110, vcc_lo
	s_delay_alu instid0(VALU_DEP_1) | instskip(NEXT) | instid1(VALU_DEP_1)
	v_and_b32_e32 v21, 0xffff, v21
	v_lshrrev_b32_e32 v21, s45, v21
	s_delay_alu instid0(VALU_DEP_1) | instskip(NEXT) | instid1(VALU_DEP_1)
	v_and_b32_e32 v25, s42, v21
	v_and_b32_e32 v21, 1, v25
	v_lshlrev_b32_e32 v26, 30, v25
	v_lshlrev_b32_e32 v27, 29, v25
	;; [unrolled: 1-line block ×4, first 2 shown]
	v_add_co_u32 v21, s15, v21, -1
	s_wait_alu 0xf1ff
	v_cndmask_b32_e64 v114, 0, 1, s15
	v_not_b32_e32 v118, v26
	v_cmp_gt_i32_e64 s15, 0, v26
	v_not_b32_e32 v26, v27
	v_lshlrev_b32_e32 v116, 26, v25
	v_cmp_ne_u32_e32 vcc_lo, 0, v114
	v_ashrrev_i32_e32 v118, 31, v118
	v_lshlrev_b32_e32 v117, 25, v25
	v_ashrrev_i32_e32 v26, 31, v26
	v_lshlrev_b32_e32 v114, 24, v25
	s_wait_alu 0xfffd
	v_xor_b32_e32 v21, vcc_lo, v21
	v_cmp_gt_i32_e32 vcc_lo, 0, v27
	v_not_b32_e32 v27, v113
	s_wait_alu 0xf1ff
	v_xor_b32_e32 v118, s15, v118
	v_cmp_gt_i32_e64 s15, 0, v113
	v_and_b32_e32 v21, exec_lo, v21
	v_not_b32_e32 v113, v115
	v_ashrrev_i32_e32 v27, 31, v27
	s_wait_alu 0xfffd
	v_xor_b32_e32 v26, vcc_lo, v26
	v_cmp_gt_i32_e32 vcc_lo, 0, v115
	v_and_b32_e32 v21, v21, v118
	v_not_b32_e32 v115, v116
	v_ashrrev_i32_e32 v113, 31, v113
	s_wait_alu 0xf1ff
	v_xor_b32_e32 v27, s15, v27
	v_cmp_gt_i32_e64 s15, 0, v116
	v_and_b32_e32 v21, v21, v26
	v_not_b32_e32 v26, v117
	v_ashrrev_i32_e32 v115, 31, v115
	s_wait_alu 0xfffd
	v_xor_b32_e32 v113, vcc_lo, v113
	v_cmp_gt_i32_e32 vcc_lo, 0, v117
	v_and_b32_e32 v21, v21, v27
	v_not_b32_e32 v27, v114
	v_ashrrev_i32_e32 v26, 31, v26
	s_wait_alu 0xf1ff
	v_xor_b32_e32 v115, s15, v115
	v_cmp_gt_i32_e64 s15, 0, v114
	v_and_b32_e32 v21, v21, v113
	v_ashrrev_i32_e32 v27, 31, v27
	s_wait_alu 0xfffd
	v_xor_b32_e32 v26, vcc_lo, v26
	v_mad_u32_u24 v113, v25, 36, v92
	v_mul_u32_u24_e32 v25, 36, v25
	v_and_b32_e32 v21, v21, v115
	s_wait_alu 0xf1ff
	v_xor_b32_e32 v27, s15, v27
	ds_load_b32 v113, v113 offset:1056
	v_add_nc_u32_e32 v116, v92, v25
	v_and_b32_e32 v21, v21, v26
	; wave barrier
	s_delay_alu instid0(VALU_DEP_1) | instskip(NEXT) | instid1(VALU_DEP_1)
	v_and_b32_e32 v21, v21, v27
	v_mbcnt_lo_u32_b32 v115, v21, 0
	v_cmp_ne_u32_e64 s15, 0, v21
	s_delay_alu instid0(VALU_DEP_2)
	v_cmp_eq_u32_e32 vcc_lo, 0, v115
	s_and_b32 s16, s15, vcc_lo
	s_wait_alu 0xfffe
	s_and_saveexec_b32 s15, s16
	s_cbranch_execz .LBB1981_430
; %bb.429:                              ;   in Loop: Header=BB1981_402 Depth=2
	s_wait_dscnt 0x0
	v_bcnt_u32_b32 v21, v21, v113
	ds_store_b32 v116, v21 offset:1056
.LBB1981_430:                           ;   in Loop: Header=BB1981_402 Depth=2
	s_wait_alu 0xfffe
	s_or_b32 exec_lo, exec_lo, s15
	v_cmp_gt_i16_e32 vcc_lo, 0, v24
	; wave barrier
	s_wait_alu 0xfffd
	v_cndmask_b32_e64 v21, 0x7fff, 0, vcc_lo
	s_delay_alu instid0(VALU_DEP_1) | instskip(NEXT) | instid1(VALU_DEP_1)
	v_xor_b32_e32 v114, v21, v24
	v_cmp_ne_u16_e32 vcc_lo, 0x8000, v114
	s_wait_alu 0xfffd
	v_cndmask_b32_e32 v21, 0x7fff, v114, vcc_lo
	s_delay_alu instid0(VALU_DEP_1) | instskip(NEXT) | instid1(VALU_DEP_1)
	v_and_b32_e32 v21, 0xffff, v21
	v_lshrrev_b32_e32 v21, s45, v21
	s_delay_alu instid0(VALU_DEP_1) | instskip(NEXT) | instid1(VALU_DEP_1)
	v_and_b32_e32 v24, s42, v21
	v_and_b32_e32 v21, 1, v24
	v_lshlrev_b32_e32 v25, 30, v24
	v_lshlrev_b32_e32 v26, 29, v24
	;; [unrolled: 1-line block ×4, first 2 shown]
	v_add_co_u32 v21, s15, v21, -1
	s_wait_alu 0xf1ff
	v_cndmask_b32_e64 v117, 0, 1, s15
	v_not_b32_e32 v121, v25
	v_cmp_gt_i32_e64 s15, 0, v25
	v_not_b32_e32 v25, v26
	v_lshlrev_b32_e32 v119, 26, v24
	v_cmp_ne_u32_e32 vcc_lo, 0, v117
	v_ashrrev_i32_e32 v121, 31, v121
	v_lshlrev_b32_e32 v120, 25, v24
	v_ashrrev_i32_e32 v25, 31, v25
	v_lshlrev_b32_e32 v117, 24, v24
	s_wait_alu 0xfffd
	v_xor_b32_e32 v21, vcc_lo, v21
	v_cmp_gt_i32_e32 vcc_lo, 0, v26
	v_not_b32_e32 v26, v27
	s_wait_alu 0xf1ff
	v_xor_b32_e32 v121, s15, v121
	v_cmp_gt_i32_e64 s15, 0, v27
	v_and_b32_e32 v21, exec_lo, v21
	v_not_b32_e32 v27, v118
	v_ashrrev_i32_e32 v26, 31, v26
	s_wait_alu 0xfffd
	v_xor_b32_e32 v25, vcc_lo, v25
	v_cmp_gt_i32_e32 vcc_lo, 0, v118
	v_and_b32_e32 v21, v21, v121
	v_not_b32_e32 v118, v119
	v_ashrrev_i32_e32 v27, 31, v27
	s_wait_alu 0xf1ff
	v_xor_b32_e32 v26, s15, v26
	v_cmp_gt_i32_e64 s15, 0, v119
	v_and_b32_e32 v21, v21, v25
	v_not_b32_e32 v25, v120
	v_ashrrev_i32_e32 v118, 31, v118
	s_wait_alu 0xfffd
	v_xor_b32_e32 v27, vcc_lo, v27
	v_cmp_gt_i32_e32 vcc_lo, 0, v120
	v_and_b32_e32 v21, v21, v26
	v_not_b32_e32 v26, v117
	v_ashrrev_i32_e32 v25, 31, v25
	s_wait_alu 0xf1ff
	v_xor_b32_e32 v118, s15, v118
	v_cmp_gt_i32_e64 s15, 0, v117
	v_and_b32_e32 v21, v21, v27
	v_ashrrev_i32_e32 v26, 31, v26
	s_wait_alu 0xfffd
	v_xor_b32_e32 v25, vcc_lo, v25
	v_mad_u32_u24 v27, v24, 36, v92
	v_mul_u32_u24_e32 v24, 36, v24
	v_and_b32_e32 v21, v21, v118
	s_wait_alu 0xf1ff
	v_xor_b32_e32 v26, s15, v26
	ds_load_b32 v117, v27 offset:1056
	v_add_nc_u32_e32 v120, v92, v24
	v_and_b32_e32 v21, v21, v25
	; wave barrier
	s_delay_alu instid0(VALU_DEP_1) | instskip(NEXT) | instid1(VALU_DEP_1)
	v_and_b32_e32 v21, v21, v26
	v_mbcnt_lo_u32_b32 v119, v21, 0
	v_cmp_ne_u32_e64 s15, 0, v21
	s_delay_alu instid0(VALU_DEP_2)
	v_cmp_eq_u32_e32 vcc_lo, 0, v119
	s_and_b32 s16, s15, vcc_lo
	s_wait_alu 0xfffe
	s_and_saveexec_b32 s15, s16
	s_cbranch_execz .LBB1981_432
; %bb.431:                              ;   in Loop: Header=BB1981_402 Depth=2
	s_wait_dscnt 0x0
	v_bcnt_u32_b32 v21, v21, v117
	ds_store_b32 v120, v21 offset:1056
.LBB1981_432:                           ;   in Loop: Header=BB1981_402 Depth=2
	s_wait_alu 0xfffe
	s_or_b32 exec_lo, exec_lo, s15
	v_cmp_gt_i16_e32 vcc_lo, 0, v23
	; wave barrier
	s_wait_alu 0xfffd
	v_cndmask_b32_e64 v21, 0x7fff, 0, vcc_lo
	s_delay_alu instid0(VALU_DEP_1) | instskip(NEXT) | instid1(VALU_DEP_1)
	v_xor_b32_e32 v118, v21, v23
	v_cmp_ne_u16_e32 vcc_lo, 0x8000, v118
	s_wait_alu 0xfffd
	v_cndmask_b32_e32 v21, 0x7fff, v118, vcc_lo
	s_delay_alu instid0(VALU_DEP_1) | instskip(NEXT) | instid1(VALU_DEP_1)
	v_and_b32_e32 v21, 0xffff, v21
	v_lshrrev_b32_e32 v21, s45, v21
	s_delay_alu instid0(VALU_DEP_1) | instskip(NEXT) | instid1(VALU_DEP_1)
	v_and_b32_e32 v23, s42, v21
	v_and_b32_e32 v21, 1, v23
	v_lshlrev_b32_e32 v24, 30, v23
	v_lshlrev_b32_e32 v25, 29, v23
	;; [unrolled: 1-line block ×4, first 2 shown]
	v_add_co_u32 v21, s15, v21, -1
	s_wait_alu 0xf1ff
	v_cndmask_b32_e64 v27, 0, 1, s15
	v_not_b32_e32 v124, v24
	v_cmp_gt_i32_e64 s15, 0, v24
	v_not_b32_e32 v24, v25
	v_lshlrev_b32_e32 v122, 26, v23
	v_cmp_ne_u32_e32 vcc_lo, 0, v27
	v_ashrrev_i32_e32 v124, 31, v124
	v_lshlrev_b32_e32 v123, 25, v23
	v_ashrrev_i32_e32 v24, 31, v24
	v_lshlrev_b32_e32 v27, 24, v23
	s_wait_alu 0xfffd
	v_xor_b32_e32 v21, vcc_lo, v21
	v_cmp_gt_i32_e32 vcc_lo, 0, v25
	v_not_b32_e32 v25, v26
	s_wait_alu 0xf1ff
	v_xor_b32_e32 v124, s15, v124
	v_cmp_gt_i32_e64 s15, 0, v26
	v_and_b32_e32 v21, exec_lo, v21
	v_not_b32_e32 v26, v121
	v_ashrrev_i32_e32 v25, 31, v25
	s_wait_alu 0xfffd
	v_xor_b32_e32 v24, vcc_lo, v24
	v_cmp_gt_i32_e32 vcc_lo, 0, v121
	v_and_b32_e32 v21, v21, v124
	v_not_b32_e32 v121, v122
	v_ashrrev_i32_e32 v26, 31, v26
	s_wait_alu 0xf1ff
	v_xor_b32_e32 v25, s15, v25
	v_cmp_gt_i32_e64 s15, 0, v122
	v_and_b32_e32 v21, v21, v24
	v_not_b32_e32 v24, v123
	v_ashrrev_i32_e32 v121, 31, v121
	s_wait_alu 0xfffd
	v_xor_b32_e32 v26, vcc_lo, v26
	v_cmp_gt_i32_e32 vcc_lo, 0, v123
	v_and_b32_e32 v21, v21, v25
	v_not_b32_e32 v25, v27
	v_ashrrev_i32_e32 v24, 31, v24
	s_wait_alu 0xf1ff
	v_xor_b32_e32 v121, s15, v121
	v_cmp_gt_i32_e64 s15, 0, v27
	v_and_b32_e32 v21, v21, v26
	v_ashrrev_i32_e32 v25, 31, v25
	s_wait_alu 0xfffd
	v_xor_b32_e32 v24, vcc_lo, v24
	v_mad_u32_u24 v26, v23, 36, v92
	v_mul_u32_u24_e32 v23, 36, v23
	v_and_b32_e32 v21, v21, v121
	s_wait_alu 0xf1ff
	v_xor_b32_e32 v25, s15, v25
	ds_load_b32 v121, v26 offset:1056
	v_add_nc_u32_e32 v124, v92, v23
	v_and_b32_e32 v21, v21, v24
	; wave barrier
	s_delay_alu instid0(VALU_DEP_1) | instskip(NEXT) | instid1(VALU_DEP_1)
	v_and_b32_e32 v21, v21, v25
	v_mbcnt_lo_u32_b32 v123, v21, 0
	v_cmp_ne_u32_e64 s15, 0, v21
	s_delay_alu instid0(VALU_DEP_2)
	v_cmp_eq_u32_e32 vcc_lo, 0, v123
	s_and_b32 s16, s15, vcc_lo
	s_wait_alu 0xfffe
	s_and_saveexec_b32 s15, s16
	s_cbranch_execz .LBB1981_434
; %bb.433:                              ;   in Loop: Header=BB1981_402 Depth=2
	s_wait_dscnt 0x0
	v_bcnt_u32_b32 v21, v21, v121
	ds_store_b32 v124, v21 offset:1056
.LBB1981_434:                           ;   in Loop: Header=BB1981_402 Depth=2
	s_wait_alu 0xfffe
	s_or_b32 exec_lo, exec_lo, s15
	v_cmp_gt_i16_e32 vcc_lo, 0, v22
	; wave barrier
	s_wait_alu 0xfffd
	v_cndmask_b32_e64 v21, 0x7fff, 0, vcc_lo
	s_delay_alu instid0(VALU_DEP_1) | instskip(NEXT) | instid1(VALU_DEP_1)
	v_xor_b32_e32 v122, v21, v22
	v_cmp_ne_u16_e32 vcc_lo, 0x8000, v122
	s_wait_alu 0xfffd
	v_cndmask_b32_e32 v21, 0x7fff, v122, vcc_lo
	s_delay_alu instid0(VALU_DEP_1) | instskip(NEXT) | instid1(VALU_DEP_1)
	v_and_b32_e32 v21, 0xffff, v21
	v_lshrrev_b32_e32 v21, s45, v21
	s_delay_alu instid0(VALU_DEP_1) | instskip(NEXT) | instid1(VALU_DEP_1)
	v_and_b32_e32 v22, s42, v21
	v_and_b32_e32 v21, 1, v22
	v_lshlrev_b32_e32 v23, 30, v22
	v_lshlrev_b32_e32 v24, 29, v22
	;; [unrolled: 1-line block ×4, first 2 shown]
	v_add_co_u32 v21, s15, v21, -1
	s_wait_alu 0xf1ff
	v_cndmask_b32_e64 v26, 0, 1, s15
	v_not_b32_e32 v127, v23
	v_cmp_gt_i32_e64 s15, 0, v23
	v_not_b32_e32 v23, v24
	v_lshlrev_b32_e32 v125, 26, v22
	v_cmp_ne_u32_e32 vcc_lo, 0, v26
	v_ashrrev_i32_e32 v127, 31, v127
	v_lshlrev_b32_e32 v126, 25, v22
	v_ashrrev_i32_e32 v23, 31, v23
	v_lshlrev_b32_e32 v26, 24, v22
	s_wait_alu 0xfffd
	v_xor_b32_e32 v21, vcc_lo, v21
	v_cmp_gt_i32_e32 vcc_lo, 0, v24
	v_not_b32_e32 v24, v25
	s_wait_alu 0xf1ff
	v_xor_b32_e32 v127, s15, v127
	v_cmp_gt_i32_e64 s15, 0, v25
	v_and_b32_e32 v21, exec_lo, v21
	v_not_b32_e32 v25, v27
	v_ashrrev_i32_e32 v24, 31, v24
	s_wait_alu 0xfffd
	v_xor_b32_e32 v23, vcc_lo, v23
	v_cmp_gt_i32_e32 vcc_lo, 0, v27
	v_and_b32_e32 v21, v21, v127
	v_not_b32_e32 v27, v125
	v_ashrrev_i32_e32 v25, 31, v25
	s_wait_alu 0xf1ff
	v_xor_b32_e32 v24, s15, v24
	v_cmp_gt_i32_e64 s15, 0, v125
	v_and_b32_e32 v21, v21, v23
	v_not_b32_e32 v23, v126
	v_ashrrev_i32_e32 v27, 31, v27
	s_wait_alu 0xfffd
	v_xor_b32_e32 v25, vcc_lo, v25
	v_cmp_gt_i32_e32 vcc_lo, 0, v126
	v_and_b32_e32 v21, v21, v24
	v_not_b32_e32 v24, v26
	v_ashrrev_i32_e32 v23, 31, v23
	s_wait_alu 0xf1ff
	v_xor_b32_e32 v27, s15, v27
	v_cmp_gt_i32_e64 s15, 0, v26
	v_and_b32_e32 v21, v21, v25
	v_ashrrev_i32_e32 v24, 31, v24
	s_wait_alu 0xfffd
	v_xor_b32_e32 v23, vcc_lo, v23
	v_mad_u32_u24 v25, v22, 36, v92
	v_mul_u32_u24_e32 v22, 36, v22
	v_and_b32_e32 v21, v21, v27
	s_wait_alu 0xf1ff
	v_xor_b32_e32 v24, s15, v24
	ds_load_b32 v125, v25 offset:1056
	v_add_nc_u32_e32 v128, v92, v22
	v_and_b32_e32 v21, v21, v23
	; wave barrier
	s_delay_alu instid0(VALU_DEP_1) | instskip(NEXT) | instid1(VALU_DEP_1)
	v_and_b32_e32 v21, v21, v24
	v_mbcnt_lo_u32_b32 v126, v21, 0
	v_cmp_ne_u32_e64 s15, 0, v21
	s_delay_alu instid0(VALU_DEP_2)
	v_cmp_eq_u32_e32 vcc_lo, 0, v126
	s_and_b32 s16, s15, vcc_lo
	s_wait_alu 0xfffe
	s_and_saveexec_b32 s15, s16
	s_cbranch_execz .LBB1981_436
; %bb.435:                              ;   in Loop: Header=BB1981_402 Depth=2
	s_wait_dscnt 0x0
	v_bcnt_u32_b32 v21, v21, v125
	ds_store_b32 v128, v21 offset:1056
.LBB1981_436:                           ;   in Loop: Header=BB1981_402 Depth=2
	s_wait_alu 0xfffe
	s_or_b32 exec_lo, exec_lo, s15
	v_cmp_gt_i16_e32 vcc_lo, 0, v20
	; wave barrier
	s_wait_alu 0xfffd
	v_cndmask_b32_e64 v21, 0x7fff, 0, vcc_lo
	s_delay_alu instid0(VALU_DEP_1) | instskip(NEXT) | instid1(VALU_DEP_1)
	v_xor_b32_e32 v127, v21, v20
	v_cmp_ne_u16_e32 vcc_lo, 0x8000, v127
	s_wait_alu 0xfffd
	v_cndmask_b32_e32 v20, 0x7fff, v127, vcc_lo
	s_delay_alu instid0(VALU_DEP_1) | instskip(NEXT) | instid1(VALU_DEP_1)
	v_and_b32_e32 v20, 0xffff, v20
	v_lshrrev_b32_e32 v20, s45, v20
	s_delay_alu instid0(VALU_DEP_1) | instskip(NEXT) | instid1(VALU_DEP_1)
	v_and_b32_e32 v21, s42, v20
	v_and_b32_e32 v20, 1, v21
	v_lshlrev_b32_e32 v22, 30, v21
	v_lshlrev_b32_e32 v23, 29, v21
	;; [unrolled: 1-line block ×4, first 2 shown]
	v_add_co_u32 v20, s15, v20, -1
	s_wait_alu 0xf1ff
	v_cndmask_b32_e64 v25, 0, 1, s15
	v_not_b32_e32 v130, v22
	v_cmp_gt_i32_e64 s15, 0, v22
	v_not_b32_e32 v22, v23
	v_lshlrev_b32_e32 v27, 26, v21
	v_cmp_ne_u32_e32 vcc_lo, 0, v25
	v_ashrrev_i32_e32 v130, 31, v130
	v_lshlrev_b32_e32 v129, 25, v21
	v_ashrrev_i32_e32 v22, 31, v22
	v_lshlrev_b32_e32 v25, 24, v21
	s_wait_alu 0xfffd
	v_xor_b32_e32 v20, vcc_lo, v20
	v_cmp_gt_i32_e32 vcc_lo, 0, v23
	v_not_b32_e32 v23, v24
	s_wait_alu 0xf1ff
	v_xor_b32_e32 v130, s15, v130
	v_cmp_gt_i32_e64 s15, 0, v24
	v_and_b32_e32 v20, exec_lo, v20
	v_not_b32_e32 v24, v26
	v_ashrrev_i32_e32 v23, 31, v23
	s_wait_alu 0xfffd
	v_xor_b32_e32 v22, vcc_lo, v22
	v_cmp_gt_i32_e32 vcc_lo, 0, v26
	v_and_b32_e32 v20, v20, v130
	v_not_b32_e32 v26, v27
	v_ashrrev_i32_e32 v24, 31, v24
	s_wait_alu 0xf1ff
	v_xor_b32_e32 v23, s15, v23
	v_cmp_gt_i32_e64 s15, 0, v27
	v_and_b32_e32 v20, v20, v22
	v_not_b32_e32 v22, v129
	v_ashrrev_i32_e32 v26, 31, v26
	s_wait_alu 0xfffd
	v_xor_b32_e32 v24, vcc_lo, v24
	v_cmp_gt_i32_e32 vcc_lo, 0, v129
	v_and_b32_e32 v20, v20, v23
	v_not_b32_e32 v23, v25
	v_ashrrev_i32_e32 v22, 31, v22
	s_wait_alu 0xf1ff
	v_xor_b32_e32 v26, s15, v26
	v_cmp_gt_i32_e64 s15, 0, v25
	v_and_b32_e32 v20, v20, v24
	v_ashrrev_i32_e32 v23, 31, v23
	s_wait_alu 0xfffd
	v_xor_b32_e32 v22, vcc_lo, v22
	v_mad_u32_u24 v24, v21, 36, v92
	v_mul_u32_u24_e32 v21, 36, v21
	v_and_b32_e32 v20, v20, v26
	s_wait_alu 0xf1ff
	v_xor_b32_e32 v23, s15, v23
	ds_load_b32 v129, v24 offset:1056
	v_add_nc_u32_e32 v131, v92, v21
	v_and_b32_e32 v20, v20, v22
	; wave barrier
	s_delay_alu instid0(VALU_DEP_1) | instskip(NEXT) | instid1(VALU_DEP_1)
	v_and_b32_e32 v20, v20, v23
	v_mbcnt_lo_u32_b32 v130, v20, 0
	v_cmp_ne_u32_e64 s15, 0, v20
	s_delay_alu instid0(VALU_DEP_2)
	v_cmp_eq_u32_e32 vcc_lo, 0, v130
	s_and_b32 s16, s15, vcc_lo
	s_wait_alu 0xfffe
	s_and_saveexec_b32 s15, s16
	s_cbranch_execz .LBB1981_438
; %bb.437:                              ;   in Loop: Header=BB1981_402 Depth=2
	s_wait_dscnt 0x0
	v_bcnt_u32_b32 v20, v20, v129
	ds_store_b32 v131, v20 offset:1056
.LBB1981_438:                           ;   in Loop: Header=BB1981_402 Depth=2
	s_wait_alu 0xfffe
	s_or_b32 exec_lo, exec_lo, s15
	; wave barrier
	s_wait_loadcnt_dscnt 0x0
	s_barrier_signal -1
	s_barrier_wait -1
	global_inv scope:SCOPE_SE
	ds_load_2addr_b32 v[26:27], v78 offset1:1
	ds_load_2addr_b32 v[24:25], v79 offset1:1
	;; [unrolled: 1-line block ×4, first 2 shown]
	ds_load_b32 v132, v43 offset:1088
	s_wait_dscnt 0x3
	v_add3_u32 v133, v27, v26, v24
	s_wait_dscnt 0x2
	s_delay_alu instid0(VALU_DEP_1) | instskip(SKIP_1) | instid1(VALU_DEP_1)
	v_add3_u32 v133, v133, v25, v22
	s_wait_dscnt 0x1
	v_add3_u32 v133, v133, v23, v20
	s_wait_dscnt 0x0
	s_delay_alu instid0(VALU_DEP_1) | instskip(NEXT) | instid1(VALU_DEP_1)
	v_add3_u32 v132, v133, v21, v132
	v_mov_b32_dpp v133, v132 row_shr:1 row_mask:0xf bank_mask:0xf
	s_delay_alu instid0(VALU_DEP_1) | instskip(NEXT) | instid1(VALU_DEP_1)
	v_cndmask_b32_e64 v133, v133, 0, s0
	v_add_nc_u32_e32 v132, v133, v132
	s_delay_alu instid0(VALU_DEP_1) | instskip(NEXT) | instid1(VALU_DEP_1)
	v_mov_b32_dpp v133, v132 row_shr:2 row_mask:0xf bank_mask:0xf
	v_cndmask_b32_e64 v133, 0, v133, s1
	s_delay_alu instid0(VALU_DEP_1) | instskip(NEXT) | instid1(VALU_DEP_1)
	v_add_nc_u32_e32 v132, v132, v133
	v_mov_b32_dpp v133, v132 row_shr:4 row_mask:0xf bank_mask:0xf
	s_delay_alu instid0(VALU_DEP_1) | instskip(NEXT) | instid1(VALU_DEP_1)
	v_cndmask_b32_e64 v133, 0, v133, s9
	v_add_nc_u32_e32 v132, v132, v133
	s_delay_alu instid0(VALU_DEP_1) | instskip(NEXT) | instid1(VALU_DEP_1)
	v_mov_b32_dpp v133, v132 row_shr:8 row_mask:0xf bank_mask:0xf
	v_cndmask_b32_e64 v133, 0, v133, s10
	s_delay_alu instid0(VALU_DEP_1) | instskip(SKIP_3) | instid1(VALU_DEP_1)
	v_add_nc_u32_e32 v132, v132, v133
	ds_swizzle_b32 v133, v132 offset:swizzle(BROADCAST,32,15)
	s_wait_dscnt 0x0
	v_cndmask_b32_e64 v133, v133, 0, s11
	v_add_nc_u32_e32 v132, v132, v133
	s_and_saveexec_b32 s15, s3
; %bb.439:                              ;   in Loop: Header=BB1981_402 Depth=2
	ds_store_b32 v38, v132 offset:1024
; %bb.440:                              ;   in Loop: Header=BB1981_402 Depth=2
	s_wait_alu 0xfffe
	s_or_b32 exec_lo, exec_lo, s15
	s_wait_loadcnt_dscnt 0x0
	s_barrier_signal -1
	s_barrier_wait -1
	global_inv scope:SCOPE_SE
	s_and_saveexec_b32 s15, s4
	s_cbranch_execz .LBB1981_442
; %bb.441:                              ;   in Loop: Header=BB1981_402 Depth=2
	ds_load_b32 v133, v46 offset:1024
	s_wait_dscnt 0x0
	v_mov_b32_dpp v134, v133 row_shr:1 row_mask:0xf bank_mask:0xf
	s_delay_alu instid0(VALU_DEP_1) | instskip(NEXT) | instid1(VALU_DEP_1)
	v_cndmask_b32_e64 v134, v134, 0, s12
	v_add_nc_u32_e32 v133, v134, v133
	s_delay_alu instid0(VALU_DEP_1) | instskip(NEXT) | instid1(VALU_DEP_1)
	v_mov_b32_dpp v134, v133 row_shr:2 row_mask:0xf bank_mask:0xf
	v_cndmask_b32_e64 v134, 0, v134, s13
	s_delay_alu instid0(VALU_DEP_1) | instskip(NEXT) | instid1(VALU_DEP_1)
	v_add_nc_u32_e32 v133, v133, v134
	v_mov_b32_dpp v134, v133 row_shr:4 row_mask:0xf bank_mask:0xf
	s_delay_alu instid0(VALU_DEP_1) | instskip(NEXT) | instid1(VALU_DEP_1)
	v_cndmask_b32_e64 v134, 0, v134, s14
	v_add_nc_u32_e32 v133, v133, v134
	ds_store_b32 v46, v133 offset:1024
.LBB1981_442:                           ;   in Loop: Header=BB1981_402 Depth=2
	s_wait_alu 0xfffe
	s_or_b32 exec_lo, exec_lo, s15
	v_mov_b32_e32 v133, 0
	s_wait_loadcnt_dscnt 0x0
	s_barrier_signal -1
	s_barrier_wait -1
	global_inv scope:SCOPE_SE
	s_and_saveexec_b32 s15, s5
; %bb.443:                              ;   in Loop: Header=BB1981_402 Depth=2
	ds_load_b32 v133, v38 offset:1020
; %bb.444:                              ;   in Loop: Header=BB1981_402 Depth=2
	s_wait_alu 0xfffe
	s_or_b32 exec_lo, exec_lo, s15
	s_wait_dscnt 0x0
	v_add_nc_u32_e32 v132, v133, v132
	ds_bpermute_b32 v132, v87, v132
	s_wait_dscnt 0x0
	v_cndmask_b32_e64 v132, v132, v133, s8
	s_delay_alu instid0(VALU_DEP_1) | instskip(NEXT) | instid1(VALU_DEP_1)
	v_cndmask_b32_e64 v132, v132, 0, s6
	v_add_nc_u32_e32 v26, v132, v26
	s_delay_alu instid0(VALU_DEP_1) | instskip(NEXT) | instid1(VALU_DEP_1)
	v_add_nc_u32_e32 v27, v26, v27
	v_add_nc_u32_e32 v24, v27, v24
	s_delay_alu instid0(VALU_DEP_1) | instskip(NEXT) | instid1(VALU_DEP_1)
	v_add_nc_u32_e32 v25, v24, v25
	v_add_nc_u32_e32 v22, v25, v22
	s_delay_alu instid0(VALU_DEP_1) | instskip(NEXT) | instid1(VALU_DEP_1)
	v_add_nc_u32_e32 v23, v22, v23
	v_add_nc_u32_e32 v20, v23, v20
	s_delay_alu instid0(VALU_DEP_1)
	v_add_nc_u32_e32 v21, v20, v21
	ds_store_2addr_b32 v81, v23, v20 offset1:1
	ds_store_2addr_b32 v78, v132, v26 offset1:1
	;; [unrolled: 1-line block ×4, first 2 shown]
	ds_store_b32 v43, v21 offset:1088
	s_wait_loadcnt_dscnt 0x0
	s_barrier_signal -1
	s_barrier_wait -1
	global_inv scope:SCOPE_SE
	ds_load_b32 v23, v104 offset:1056
	ds_load_b32 v24, v108 offset:1056
	;; [unrolled: 1-line block ×9, first 2 shown]
	v_mov_b32_e32 v22, 0x800
	s_and_saveexec_b32 s15, s7
; %bb.445:                              ;   in Loop: Header=BB1981_402 Depth=2
	ds_load_b32 v22, v43 offset:1092
; %bb.446:                              ;   in Loop: Header=BB1981_402 Depth=2
	s_wait_alu 0xfffe
	s_or_b32 exec_lo, exec_lo, s15
	s_wait_loadcnt_dscnt 0x0
	s_barrier_signal -1
	s_barrier_wait -1
	global_inv scope:SCOPE_SE
	s_and_saveexec_b32 s15, s2
	s_cbranch_execz .LBB1981_448
; %bb.447:                              ;   in Loop: Header=BB1981_402 Depth=2
	ds_load_b32 v108, v28
	s_wait_dscnt 0x0
	v_sub_nc_u32_e32 v104, v108, v104
	ds_store_b32 v28, v104
.LBB1981_448:                           ;   in Loop: Header=BB1981_402 Depth=2
	s_wait_alu 0xfffe
	s_or_b32 exec_lo, exec_lo, s15
	v_add_nc_u32_e32 v108, v23, v102
	v_add3_u32 v104, v106, v105, v24
	v_add3_u32 v102, v111, v109, v25
	;; [unrolled: 1-line block ×4, first 2 shown]
	v_lshlrev_b32_e32 v105, 1, v108
	v_lshlrev_b32_e32 v106, 1, v104
	v_add3_u32 v23, v123, v121, v112
	v_lshlrev_b32_e32 v109, 1, v102
	v_add3_u32 v27, v126, v125, v20
	v_add3_u32 v26, v130, v129, v21
	ds_store_b16 v105, v2 offset:1024
	ds_store_b16 v106, v103 offset:1024
	;; [unrolled: 1-line block ×3, first 2 shown]
	v_lshlrev_b32_e32 v2, 1, v25
	v_cmp_lt_u32_e32 vcc_lo, v1, v101
	v_lshlrev_b32_e32 v20, 1, v24
	v_lshlrev_b32_e32 v21, 1, v23
	;; [unrolled: 1-line block ×4, first 2 shown]
	ds_store_b16 v2, v110 offset:1024
	ds_store_b16 v20, v114 offset:1024
	;; [unrolled: 1-line block ×5, first 2 shown]
	s_wait_loadcnt_dscnt 0x0
	s_barrier_signal -1
	s_barrier_wait -1
	global_inv scope:SCOPE_SE
	s_and_saveexec_b32 s16, vcc_lo
	s_cbranch_execnz .LBB1981_485
; %bb.449:                              ;   in Loop: Header=BB1981_402 Depth=2
	s_wait_alu 0xfffe
	s_or_b32 exec_lo, exec_lo, s16
	v_cmp_lt_u32_e64 s15, v29, v101
	s_and_saveexec_b32 s17, s15
	s_cbranch_execnz .LBB1981_486
.LBB1981_450:                           ;   in Loop: Header=BB1981_402 Depth=2
	s_wait_alu 0xfffe
	s_or_b32 exec_lo, exec_lo, s17
	v_cmp_lt_u32_e64 s16, v30, v101
	s_and_saveexec_b32 s18, s16
	s_cbranch_execnz .LBB1981_487
.LBB1981_451:                           ;   in Loop: Header=BB1981_402 Depth=2
	s_wait_alu 0xfffe
	s_or_b32 exec_lo, exec_lo, s18
	v_cmp_lt_u32_e64 s17, v31, v101
	s_and_saveexec_b32 s19, s17
	s_cbranch_execnz .LBB1981_488
.LBB1981_452:                           ;   in Loop: Header=BB1981_402 Depth=2
	s_wait_alu 0xfffe
	s_or_b32 exec_lo, exec_lo, s19
	v_cmp_lt_u32_e64 s18, v34, v101
	s_and_saveexec_b32 s20, s18
	s_cbranch_execnz .LBB1981_489
.LBB1981_453:                           ;   in Loop: Header=BB1981_402 Depth=2
	s_wait_alu 0xfffe
	s_or_b32 exec_lo, exec_lo, s20
	v_cmp_lt_u32_e64 s19, v35, v101
	s_and_saveexec_b32 s21, s19
	s_cbranch_execnz .LBB1981_490
.LBB1981_454:                           ;   in Loop: Header=BB1981_402 Depth=2
	s_wait_alu 0xfffe
	s_or_b32 exec_lo, exec_lo, s21
	v_cmp_lt_u32_e64 s20, v36, v101
	s_and_saveexec_b32 s22, s20
	s_cbranch_execnz .LBB1981_491
.LBB1981_455:                           ;   in Loop: Header=BB1981_402 Depth=2
	s_wait_alu 0xfffe
	s_or_b32 exec_lo, exec_lo, s22
	v_cmp_lt_u32_e64 s21, v37, v101
	s_and_saveexec_b32 s48, s21
	s_cbranch_execz .LBB1981_457
.LBB1981_456:                           ;   in Loop: Header=BB1981_402 Depth=2
	ds_load_u16 v103, v47 offset:4608
	s_wait_dscnt 0x0
	v_cmp_ne_u16_e64 s22, 0x8000, v103
	s_wait_alu 0xf1ff
	s_delay_alu instid0(VALU_DEP_1) | instskip(SKIP_1) | instid1(VALU_DEP_2)
	v_cndmask_b32_e64 v2, 0x7fff, v103, s22
	v_cmp_gt_i16_e64 s22, 0, v103
	v_and_b32_e32 v2, 0xffff, v2
	s_wait_alu 0xf1ff
	s_delay_alu instid0(VALU_DEP_2) | instskip(NEXT) | instid1(VALU_DEP_2)
	v_cndmask_b32_e64 v105, 0x7fff, 0, s22
	v_lshrrev_b32_e32 v2, s45, v2
	s_delay_alu instid0(VALU_DEP_1) | instskip(NEXT) | instid1(VALU_DEP_1)
	v_and_b32_e32 v2, s42, v2
	v_lshlrev_b32_e32 v2, 2, v2
	ds_load_b32 v2, v2
	s_wait_dscnt 0x0
	v_add_nc_u32_e32 v2, v2, v37
	s_delay_alu instid0(VALU_DEP_1) | instskip(SKIP_1) | instid1(VALU_DEP_2)
	v_lshlrev_b64_e32 v[20:21], 1, v[2:3]
	v_xor_b32_e32 v2, v105, v103
	v_add_co_u32 v20, s22, s38, v20
	s_wait_alu 0xf1ff
	s_delay_alu instid0(VALU_DEP_3)
	v_add_co_ci_u32_e64 v21, null, s39, v21, s22
	global_store_b16 v[20:21], v2, off
.LBB1981_457:                           ;   in Loop: Header=BB1981_402 Depth=2
	s_wait_alu 0xfffe
	s_or_b32 exec_lo, exec_lo, s48
	s_lshl_b64 s[48:49], s[30:31], 3
	s_wait_alu 0xfffe
	v_add_co_u32 v20, s22, v88, s48
	s_wait_alu 0xf1ff
	v_add_co_ci_u32_e64 v21, null, s49, v89, s22
	v_cmp_lt_u32_e64 s22, v66, v101
	s_and_saveexec_b32 s30, s22
	s_wait_alu 0xfffe
	s_xor_b32 s22, exec_lo, s30
	s_cbranch_execnz .LBB1981_492
; %bb.458:                              ;   in Loop: Header=BB1981_402 Depth=2
	s_wait_alu 0xfffe
	s_or_b32 exec_lo, exec_lo, s22
	s_delay_alu instid0(SALU_CYCLE_1)
	s_mov_b32 s30, exec_lo
	v_cmpx_lt_u32_e64 v70, v101
	s_cbranch_execnz .LBB1981_493
.LBB1981_459:                           ;   in Loop: Header=BB1981_402 Depth=2
	s_wait_alu 0xfffe
	s_or_b32 exec_lo, exec_lo, s30
	s_delay_alu instid0(SALU_CYCLE_1)
	s_mov_b32 s30, exec_lo
	v_cmpx_lt_u32_e64 v71, v101
	s_cbranch_execnz .LBB1981_494
.LBB1981_460:                           ;   in Loop: Header=BB1981_402 Depth=2
	s_wait_alu 0xfffe
	s_or_b32 exec_lo, exec_lo, s30
	s_delay_alu instid0(SALU_CYCLE_1)
	s_mov_b32 s30, exec_lo
	v_cmpx_lt_u32_e64 v72, v101
	s_cbranch_execnz .LBB1981_495
.LBB1981_461:                           ;   in Loop: Header=BB1981_402 Depth=2
	s_wait_alu 0xfffe
	s_or_b32 exec_lo, exec_lo, s30
	s_delay_alu instid0(SALU_CYCLE_1)
	s_mov_b32 s30, exec_lo
	v_cmpx_lt_u32_e64 v73, v101
	s_cbranch_execnz .LBB1981_496
.LBB1981_462:                           ;   in Loop: Header=BB1981_402 Depth=2
	s_wait_alu 0xfffe
	s_or_b32 exec_lo, exec_lo, s30
	s_delay_alu instid0(SALU_CYCLE_1)
	s_mov_b32 s30, exec_lo
	v_cmpx_lt_u32_e64 v74, v101
	s_cbranch_execnz .LBB1981_497
.LBB1981_463:                           ;   in Loop: Header=BB1981_402 Depth=2
	s_wait_alu 0xfffe
	s_or_b32 exec_lo, exec_lo, s30
	s_delay_alu instid0(SALU_CYCLE_1)
	s_mov_b32 s30, exec_lo
	v_cmpx_lt_u32_e64 v75, v101
	s_cbranch_execnz .LBB1981_498
.LBB1981_464:                           ;   in Loop: Header=BB1981_402 Depth=2
	s_wait_alu 0xfffe
	s_or_b32 exec_lo, exec_lo, s30
	s_delay_alu instid0(SALU_CYCLE_1)
	s_mov_b32 s30, exec_lo
	v_cmpx_lt_u32_e64 v76, v101
	s_cbranch_execnz .LBB1981_499
.LBB1981_465:                           ;   in Loop: Header=BB1981_402 Depth=2
	s_wait_alu 0xfffe
	s_or_b32 exec_lo, exec_lo, s30
	s_and_saveexec_b32 s30, vcc_lo
	s_cbranch_execnz .LBB1981_500
.LBB1981_466:                           ;   in Loop: Header=BB1981_402 Depth=2
	s_wait_alu 0xfffe
	s_or_b32 exec_lo, exec_lo, s30
	s_and_saveexec_b32 s30, s15
	s_cbranch_execnz .LBB1981_501
.LBB1981_467:                           ;   in Loop: Header=BB1981_402 Depth=2
	s_wait_alu 0xfffe
	s_or_b32 exec_lo, exec_lo, s30
	s_and_saveexec_b32 s30, s16
	s_cbranch_execnz .LBB1981_502
.LBB1981_468:                           ;   in Loop: Header=BB1981_402 Depth=2
	s_wait_alu 0xfffe
	s_or_b32 exec_lo, exec_lo, s30
	s_and_saveexec_b32 s30, s17
	s_cbranch_execnz .LBB1981_503
.LBB1981_469:                           ;   in Loop: Header=BB1981_402 Depth=2
	s_wait_alu 0xfffe
	s_or_b32 exec_lo, exec_lo, s30
	s_and_saveexec_b32 s30, s18
	s_cbranch_execnz .LBB1981_504
.LBB1981_470:                           ;   in Loop: Header=BB1981_402 Depth=2
	s_wait_alu 0xfffe
	s_or_b32 exec_lo, exec_lo, s30
	s_and_saveexec_b32 s30, s19
	s_cbranch_execnz .LBB1981_505
.LBB1981_471:                           ;   in Loop: Header=BB1981_402 Depth=2
	s_wait_alu 0xfffe
	s_or_b32 exec_lo, exec_lo, s30
	s_and_saveexec_b32 s30, s20
	s_cbranch_execnz .LBB1981_506
.LBB1981_472:                           ;   in Loop: Header=BB1981_402 Depth=2
	s_wait_alu 0xfffe
	s_or_b32 exec_lo, exec_lo, s30
	s_and_saveexec_b32 s30, s21
	s_cbranch_execz .LBB1981_474
.LBB1981_473:                           ;   in Loop: Header=BB1981_402 Depth=2
	ds_load_u16 v2, v47 offset:4608
	s_wait_dscnt 0x0
	v_cmp_ne_u16_e64 s22, 0x8000, v2
	s_wait_alu 0xf1ff
	s_delay_alu instid0(VALU_DEP_1) | instskip(NEXT) | instid1(VALU_DEP_1)
	v_cndmask_b32_e64 v2, 0x7fff, v2, s22
	v_and_b32_e32 v2, 0xffff, v2
	s_delay_alu instid0(VALU_DEP_1) | instskip(NEXT) | instid1(VALU_DEP_1)
	v_lshrrev_b32_e32 v2, s45, v2
	v_and_b32_e32 v93, s42, v2
.LBB1981_474:                           ;   in Loop: Header=BB1981_402 Depth=2
	s_wait_alu 0xfffe
	s_or_b32 exec_lo, exec_lo, s30
	v_lshlrev_b32_e32 v2, 3, v108
	v_lshlrev_b32_e32 v20, 3, v104
	;; [unrolled: 1-line block ×3, first 2 shown]
	s_wait_loadcnt 0x0
	s_wait_storecnt 0x0
	s_barrier_signal -1
	s_barrier_wait -1
	global_inv scope:SCOPE_SE
	ds_store_b64 v2, v[18:19] offset:1024
	ds_store_b64 v20, v[16:17] offset:1024
	ds_store_b64 v21, v[14:15] offset:1024
	v_lshlrev_b32_e32 v2, 3, v25
	v_lshlrev_b32_e32 v20, 3, v24
	;; [unrolled: 1-line block ×5, first 2 shown]
	ds_store_b64 v2, v[12:13] offset:1024
	ds_store_b64 v20, v[10:11] offset:1024
	;; [unrolled: 1-line block ×5, first 2 shown]
	s_wait_loadcnt_dscnt 0x0
	s_barrier_signal -1
	s_barrier_wait -1
	global_inv scope:SCOPE_SE
	s_and_saveexec_b32 s22, vcc_lo
	s_cbranch_execnz .LBB1981_507
; %bb.475:                              ;   in Loop: Header=BB1981_402 Depth=2
	s_wait_alu 0xfffe
	s_or_b32 exec_lo, exec_lo, s22
	s_and_saveexec_b32 s22, s15
	s_cbranch_execnz .LBB1981_508
.LBB1981_476:                           ;   in Loop: Header=BB1981_402 Depth=2
	s_wait_alu 0xfffe
	s_or_b32 exec_lo, exec_lo, s22
	s_and_saveexec_b32 s15, s16
	s_cbranch_execnz .LBB1981_509
.LBB1981_477:                           ;   in Loop: Header=BB1981_402 Depth=2
	s_wait_alu 0xfffe
	s_or_b32 exec_lo, exec_lo, s15
	s_and_saveexec_b32 s15, s17
	s_cbranch_execnz .LBB1981_510
.LBB1981_478:                           ;   in Loop: Header=BB1981_402 Depth=2
	s_wait_alu 0xfffe
	s_or_b32 exec_lo, exec_lo, s15
	s_and_saveexec_b32 s15, s18
	s_cbranch_execnz .LBB1981_511
.LBB1981_479:                           ;   in Loop: Header=BB1981_402 Depth=2
	s_wait_alu 0xfffe
	s_or_b32 exec_lo, exec_lo, s15
	s_and_saveexec_b32 s15, s19
	s_cbranch_execnz .LBB1981_512
.LBB1981_480:                           ;   in Loop: Header=BB1981_402 Depth=2
	s_wait_alu 0xfffe
	s_or_b32 exec_lo, exec_lo, s15
	s_and_saveexec_b32 s15, s20
	s_cbranch_execnz .LBB1981_513
.LBB1981_481:                           ;   in Loop: Header=BB1981_402 Depth=2
	s_wait_alu 0xfffe
	s_or_b32 exec_lo, exec_lo, s15
	s_and_saveexec_b32 s15, s21
	s_cbranch_execz .LBB1981_483
.LBB1981_482:                           ;   in Loop: Header=BB1981_402 Depth=2
	v_lshlrev_b32_e32 v2, 2, v93
	v_add_nc_u32_e32 v20, v47, v48
	ds_load_b32 v2, v2
	ds_load_b64 v[20:21], v20 offset:15360
	s_wait_dscnt 0x1
	v_add_nc_u32_e32 v2, v2, v37
	s_delay_alu instid0(VALU_DEP_1) | instskip(NEXT) | instid1(VALU_DEP_1)
	v_lshlrev_b64_e32 v[23:24], 3, v[2:3]
	v_add_co_u32 v23, vcc_lo, s24, v23
	s_wait_alu 0xfffd
	s_delay_alu instid0(VALU_DEP_2)
	v_add_co_ci_u32_e64 v24, null, s25, v24, vcc_lo
	s_wait_dscnt 0x0
	global_store_b64 v[23:24], v[20:21], off
.LBB1981_483:                           ;   in Loop: Header=BB1981_402 Depth=2
	s_wait_alu 0xfffe
	s_or_b32 exec_lo, exec_lo, s15
	s_wait_loadcnt 0x0
	s_wait_storecnt 0x0
	s_barrier_signal -1
	s_barrier_wait -1
	global_inv scope:SCOPE_SE
	s_and_saveexec_b32 s15, s2
	s_cbranch_execz .LBB1981_401
; %bb.484:                              ;   in Loop: Header=BB1981_402 Depth=2
	ds_load_b32 v2, v28
	s_wait_dscnt 0x0
	v_add_nc_u32_e32 v2, v2, v22
	ds_store_b32 v28, v2
	s_branch .LBB1981_401
.LBB1981_485:                           ;   in Loop: Header=BB1981_402 Depth=2
	ds_load_u16 v103, v47 offset:1024
	s_wait_dscnt 0x0
	v_cmp_ne_u16_e64 s15, 0x8000, v103
	s_wait_alu 0xf1ff
	s_delay_alu instid0(VALU_DEP_1) | instskip(SKIP_1) | instid1(VALU_DEP_2)
	v_cndmask_b32_e64 v2, 0x7fff, v103, s15
	v_cmp_gt_i16_e64 s15, 0, v103
	v_and_b32_e32 v2, 0xffff, v2
	s_wait_alu 0xf1ff
	s_delay_alu instid0(VALU_DEP_2) | instskip(NEXT) | instid1(VALU_DEP_2)
	v_cndmask_b32_e64 v105, 0x7fff, 0, s15
	v_lshrrev_b32_e32 v2, s45, v2
	s_delay_alu instid0(VALU_DEP_1) | instskip(NEXT) | instid1(VALU_DEP_1)
	v_and_b32_e32 v2, s42, v2
	v_lshlrev_b32_e32 v2, 2, v2
	ds_load_b32 v2, v2
	s_wait_dscnt 0x0
	v_add_nc_u32_e32 v2, v2, v1
	s_delay_alu instid0(VALU_DEP_1) | instskip(SKIP_1) | instid1(VALU_DEP_2)
	v_lshlrev_b64_e32 v[20:21], 1, v[2:3]
	v_xor_b32_e32 v2, v105, v103
	v_add_co_u32 v20, s15, s38, v20
	s_wait_alu 0xf1ff
	s_delay_alu instid0(VALU_DEP_3)
	v_add_co_ci_u32_e64 v21, null, s39, v21, s15
	global_store_b16 v[20:21], v2, off
	s_wait_alu 0xfffe
	s_or_b32 exec_lo, exec_lo, s16
	v_cmp_lt_u32_e64 s15, v29, v101
	s_and_saveexec_b32 s17, s15
	s_cbranch_execz .LBB1981_450
.LBB1981_486:                           ;   in Loop: Header=BB1981_402 Depth=2
	ds_load_u16 v103, v47 offset:1536
	s_wait_dscnt 0x0
	v_cmp_ne_u16_e64 s16, 0x8000, v103
	s_wait_alu 0xf1ff
	s_delay_alu instid0(VALU_DEP_1) | instskip(SKIP_1) | instid1(VALU_DEP_2)
	v_cndmask_b32_e64 v2, 0x7fff, v103, s16
	v_cmp_gt_i16_e64 s16, 0, v103
	v_and_b32_e32 v2, 0xffff, v2
	s_wait_alu 0xf1ff
	s_delay_alu instid0(VALU_DEP_2) | instskip(NEXT) | instid1(VALU_DEP_2)
	v_cndmask_b32_e64 v105, 0x7fff, 0, s16
	v_lshrrev_b32_e32 v2, s45, v2
	s_delay_alu instid0(VALU_DEP_1) | instskip(NEXT) | instid1(VALU_DEP_1)
	v_and_b32_e32 v2, s42, v2
	v_lshlrev_b32_e32 v2, 2, v2
	ds_load_b32 v2, v2
	s_wait_dscnt 0x0
	v_add_nc_u32_e32 v2, v2, v29
	s_delay_alu instid0(VALU_DEP_1) | instskip(SKIP_1) | instid1(VALU_DEP_2)
	v_lshlrev_b64_e32 v[20:21], 1, v[2:3]
	v_xor_b32_e32 v2, v105, v103
	v_add_co_u32 v20, s16, s38, v20
	s_wait_alu 0xf1ff
	s_delay_alu instid0(VALU_DEP_3)
	v_add_co_ci_u32_e64 v21, null, s39, v21, s16
	global_store_b16 v[20:21], v2, off
	s_wait_alu 0xfffe
	s_or_b32 exec_lo, exec_lo, s17
	v_cmp_lt_u32_e64 s16, v30, v101
	s_and_saveexec_b32 s18, s16
	s_cbranch_execz .LBB1981_451
.LBB1981_487:                           ;   in Loop: Header=BB1981_402 Depth=2
	ds_load_u16 v103, v47 offset:2048
	s_wait_dscnt 0x0
	v_cmp_ne_u16_e64 s17, 0x8000, v103
	s_wait_alu 0xf1ff
	s_delay_alu instid0(VALU_DEP_1) | instskip(SKIP_1) | instid1(VALU_DEP_2)
	v_cndmask_b32_e64 v2, 0x7fff, v103, s17
	v_cmp_gt_i16_e64 s17, 0, v103
	v_and_b32_e32 v2, 0xffff, v2
	s_wait_alu 0xf1ff
	s_delay_alu instid0(VALU_DEP_2) | instskip(NEXT) | instid1(VALU_DEP_2)
	v_cndmask_b32_e64 v105, 0x7fff, 0, s17
	v_lshrrev_b32_e32 v2, s45, v2
	s_delay_alu instid0(VALU_DEP_1) | instskip(NEXT) | instid1(VALU_DEP_1)
	v_and_b32_e32 v2, s42, v2
	v_lshlrev_b32_e32 v2, 2, v2
	ds_load_b32 v2, v2
	s_wait_dscnt 0x0
	v_add_nc_u32_e32 v2, v2, v30
	s_delay_alu instid0(VALU_DEP_1) | instskip(SKIP_1) | instid1(VALU_DEP_2)
	v_lshlrev_b64_e32 v[20:21], 1, v[2:3]
	v_xor_b32_e32 v2, v105, v103
	v_add_co_u32 v20, s17, s38, v20
	s_wait_alu 0xf1ff
	s_delay_alu instid0(VALU_DEP_3)
	v_add_co_ci_u32_e64 v21, null, s39, v21, s17
	global_store_b16 v[20:21], v2, off
	s_wait_alu 0xfffe
	s_or_b32 exec_lo, exec_lo, s18
	v_cmp_lt_u32_e64 s17, v31, v101
	s_and_saveexec_b32 s19, s17
	s_cbranch_execz .LBB1981_452
.LBB1981_488:                           ;   in Loop: Header=BB1981_402 Depth=2
	ds_load_u16 v103, v47 offset:2560
	s_wait_dscnt 0x0
	v_cmp_ne_u16_e64 s18, 0x8000, v103
	s_wait_alu 0xf1ff
	s_delay_alu instid0(VALU_DEP_1) | instskip(SKIP_1) | instid1(VALU_DEP_2)
	v_cndmask_b32_e64 v2, 0x7fff, v103, s18
	v_cmp_gt_i16_e64 s18, 0, v103
	v_and_b32_e32 v2, 0xffff, v2
	s_wait_alu 0xf1ff
	s_delay_alu instid0(VALU_DEP_2) | instskip(NEXT) | instid1(VALU_DEP_2)
	v_cndmask_b32_e64 v105, 0x7fff, 0, s18
	v_lshrrev_b32_e32 v2, s45, v2
	s_delay_alu instid0(VALU_DEP_1) | instskip(NEXT) | instid1(VALU_DEP_1)
	v_and_b32_e32 v2, s42, v2
	v_lshlrev_b32_e32 v2, 2, v2
	ds_load_b32 v2, v2
	s_wait_dscnt 0x0
	v_add_nc_u32_e32 v2, v2, v31
	s_delay_alu instid0(VALU_DEP_1) | instskip(SKIP_1) | instid1(VALU_DEP_2)
	v_lshlrev_b64_e32 v[20:21], 1, v[2:3]
	v_xor_b32_e32 v2, v105, v103
	v_add_co_u32 v20, s18, s38, v20
	s_wait_alu 0xf1ff
	s_delay_alu instid0(VALU_DEP_3)
	v_add_co_ci_u32_e64 v21, null, s39, v21, s18
	global_store_b16 v[20:21], v2, off
	s_wait_alu 0xfffe
	s_or_b32 exec_lo, exec_lo, s19
	v_cmp_lt_u32_e64 s18, v34, v101
	s_and_saveexec_b32 s20, s18
	s_cbranch_execz .LBB1981_453
.LBB1981_489:                           ;   in Loop: Header=BB1981_402 Depth=2
	ds_load_u16 v103, v47 offset:3072
	s_wait_dscnt 0x0
	v_cmp_ne_u16_e64 s19, 0x8000, v103
	s_wait_alu 0xf1ff
	s_delay_alu instid0(VALU_DEP_1) | instskip(SKIP_1) | instid1(VALU_DEP_2)
	v_cndmask_b32_e64 v2, 0x7fff, v103, s19
	v_cmp_gt_i16_e64 s19, 0, v103
	v_and_b32_e32 v2, 0xffff, v2
	s_wait_alu 0xf1ff
	s_delay_alu instid0(VALU_DEP_2) | instskip(NEXT) | instid1(VALU_DEP_2)
	v_cndmask_b32_e64 v105, 0x7fff, 0, s19
	v_lshrrev_b32_e32 v2, s45, v2
	s_delay_alu instid0(VALU_DEP_1) | instskip(NEXT) | instid1(VALU_DEP_1)
	v_and_b32_e32 v2, s42, v2
	v_lshlrev_b32_e32 v2, 2, v2
	ds_load_b32 v2, v2
	s_wait_dscnt 0x0
	v_add_nc_u32_e32 v2, v2, v34
	s_delay_alu instid0(VALU_DEP_1) | instskip(SKIP_1) | instid1(VALU_DEP_2)
	v_lshlrev_b64_e32 v[20:21], 1, v[2:3]
	v_xor_b32_e32 v2, v105, v103
	v_add_co_u32 v20, s19, s38, v20
	s_wait_alu 0xf1ff
	s_delay_alu instid0(VALU_DEP_3)
	v_add_co_ci_u32_e64 v21, null, s39, v21, s19
	global_store_b16 v[20:21], v2, off
	s_wait_alu 0xfffe
	s_or_b32 exec_lo, exec_lo, s20
	v_cmp_lt_u32_e64 s19, v35, v101
	s_and_saveexec_b32 s21, s19
	s_cbranch_execz .LBB1981_454
.LBB1981_490:                           ;   in Loop: Header=BB1981_402 Depth=2
	ds_load_u16 v103, v47 offset:3584
	s_wait_dscnt 0x0
	v_cmp_ne_u16_e64 s20, 0x8000, v103
	s_wait_alu 0xf1ff
	s_delay_alu instid0(VALU_DEP_1) | instskip(SKIP_1) | instid1(VALU_DEP_2)
	v_cndmask_b32_e64 v2, 0x7fff, v103, s20
	v_cmp_gt_i16_e64 s20, 0, v103
	v_and_b32_e32 v2, 0xffff, v2
	s_wait_alu 0xf1ff
	s_delay_alu instid0(VALU_DEP_2) | instskip(NEXT) | instid1(VALU_DEP_2)
	v_cndmask_b32_e64 v105, 0x7fff, 0, s20
	v_lshrrev_b32_e32 v2, s45, v2
	s_delay_alu instid0(VALU_DEP_1) | instskip(NEXT) | instid1(VALU_DEP_1)
	v_and_b32_e32 v2, s42, v2
	v_lshlrev_b32_e32 v2, 2, v2
	ds_load_b32 v2, v2
	s_wait_dscnt 0x0
	v_add_nc_u32_e32 v2, v2, v35
	s_delay_alu instid0(VALU_DEP_1) | instskip(SKIP_1) | instid1(VALU_DEP_2)
	v_lshlrev_b64_e32 v[20:21], 1, v[2:3]
	v_xor_b32_e32 v2, v105, v103
	v_add_co_u32 v20, s20, s38, v20
	s_wait_alu 0xf1ff
	s_delay_alu instid0(VALU_DEP_3)
	v_add_co_ci_u32_e64 v21, null, s39, v21, s20
	global_store_b16 v[20:21], v2, off
	s_wait_alu 0xfffe
	s_or_b32 exec_lo, exec_lo, s21
	v_cmp_lt_u32_e64 s20, v36, v101
	s_and_saveexec_b32 s22, s20
	s_cbranch_execz .LBB1981_455
.LBB1981_491:                           ;   in Loop: Header=BB1981_402 Depth=2
	ds_load_u16 v103, v47 offset:4096
	s_wait_dscnt 0x0
	v_cmp_ne_u16_e64 s21, 0x8000, v103
	s_wait_alu 0xf1ff
	s_delay_alu instid0(VALU_DEP_1) | instskip(SKIP_1) | instid1(VALU_DEP_2)
	v_cndmask_b32_e64 v2, 0x7fff, v103, s21
	v_cmp_gt_i16_e64 s21, 0, v103
	v_and_b32_e32 v2, 0xffff, v2
	s_wait_alu 0xf1ff
	s_delay_alu instid0(VALU_DEP_2) | instskip(NEXT) | instid1(VALU_DEP_2)
	v_cndmask_b32_e64 v105, 0x7fff, 0, s21
	v_lshrrev_b32_e32 v2, s45, v2
	s_delay_alu instid0(VALU_DEP_1) | instskip(NEXT) | instid1(VALU_DEP_1)
	v_and_b32_e32 v2, s42, v2
	v_lshlrev_b32_e32 v2, 2, v2
	ds_load_b32 v2, v2
	s_wait_dscnt 0x0
	v_add_nc_u32_e32 v2, v2, v36
	s_delay_alu instid0(VALU_DEP_1) | instskip(SKIP_1) | instid1(VALU_DEP_2)
	v_lshlrev_b64_e32 v[20:21], 1, v[2:3]
	v_xor_b32_e32 v2, v105, v103
	v_add_co_u32 v20, s21, s38, v20
	s_wait_alu 0xf1ff
	s_delay_alu instid0(VALU_DEP_3)
	v_add_co_ci_u32_e64 v21, null, s39, v21, s21
	global_store_b16 v[20:21], v2, off
	s_wait_alu 0xfffe
	s_or_b32 exec_lo, exec_lo, s22
	v_cmp_lt_u32_e64 s21, v37, v101
	s_and_saveexec_b32 s48, s21
	s_cbranch_execnz .LBB1981_456
	s_branch .LBB1981_457
.LBB1981_492:                           ;   in Loop: Header=BB1981_402 Depth=2
	global_load_b64 v[18:19], v[20:21], off
	s_wait_alu 0xfffe
	s_or_b32 exec_lo, exec_lo, s22
	s_delay_alu instid0(SALU_CYCLE_1)
	s_mov_b32 s30, exec_lo
	v_cmpx_lt_u32_e64 v70, v101
	s_cbranch_execz .LBB1981_459
.LBB1981_493:                           ;   in Loop: Header=BB1981_402 Depth=2
	global_load_b64 v[16:17], v[20:21], off offset:256
	s_wait_alu 0xfffe
	s_or_b32 exec_lo, exec_lo, s30
	s_delay_alu instid0(SALU_CYCLE_1)
	s_mov_b32 s30, exec_lo
	v_cmpx_lt_u32_e64 v71, v101
	s_cbranch_execz .LBB1981_460
.LBB1981_494:                           ;   in Loop: Header=BB1981_402 Depth=2
	global_load_b64 v[14:15], v[20:21], off offset:512
	s_wait_alu 0xfffe
	s_or_b32 exec_lo, exec_lo, s30
	s_delay_alu instid0(SALU_CYCLE_1)
	s_mov_b32 s30, exec_lo
	v_cmpx_lt_u32_e64 v72, v101
	s_cbranch_execz .LBB1981_461
.LBB1981_495:                           ;   in Loop: Header=BB1981_402 Depth=2
	global_load_b64 v[12:13], v[20:21], off offset:768
	s_wait_alu 0xfffe
	s_or_b32 exec_lo, exec_lo, s30
	s_delay_alu instid0(SALU_CYCLE_1)
	s_mov_b32 s30, exec_lo
	v_cmpx_lt_u32_e64 v73, v101
	s_cbranch_execz .LBB1981_462
.LBB1981_496:                           ;   in Loop: Header=BB1981_402 Depth=2
	global_load_b64 v[10:11], v[20:21], off offset:1024
	s_wait_alu 0xfffe
	s_or_b32 exec_lo, exec_lo, s30
	s_delay_alu instid0(SALU_CYCLE_1)
	s_mov_b32 s30, exec_lo
	v_cmpx_lt_u32_e64 v74, v101
	s_cbranch_execz .LBB1981_463
.LBB1981_497:                           ;   in Loop: Header=BB1981_402 Depth=2
	global_load_b64 v[8:9], v[20:21], off offset:1280
	s_wait_alu 0xfffe
	s_or_b32 exec_lo, exec_lo, s30
	s_delay_alu instid0(SALU_CYCLE_1)
	s_mov_b32 s30, exec_lo
	v_cmpx_lt_u32_e64 v75, v101
	s_cbranch_execz .LBB1981_464
.LBB1981_498:                           ;   in Loop: Header=BB1981_402 Depth=2
	global_load_b64 v[6:7], v[20:21], off offset:1536
	s_wait_alu 0xfffe
	s_or_b32 exec_lo, exec_lo, s30
	s_delay_alu instid0(SALU_CYCLE_1)
	s_mov_b32 s30, exec_lo
	v_cmpx_lt_u32_e64 v76, v101
	s_cbranch_execz .LBB1981_465
.LBB1981_499:                           ;   in Loop: Header=BB1981_402 Depth=2
	global_load_b64 v[4:5], v[20:21], off offset:1792
	s_wait_alu 0xfffe
	s_or_b32 exec_lo, exec_lo, s30
	s_and_saveexec_b32 s30, vcc_lo
	s_cbranch_execz .LBB1981_466
.LBB1981_500:                           ;   in Loop: Header=BB1981_402 Depth=2
	ds_load_u16 v2, v47 offset:1024
	s_wait_dscnt 0x0
	v_cmp_ne_u16_e64 s22, 0x8000, v2
	s_wait_alu 0xf1ff
	s_delay_alu instid0(VALU_DEP_1) | instskip(NEXT) | instid1(VALU_DEP_1)
	v_cndmask_b32_e64 v2, 0x7fff, v2, s22
	v_and_b32_e32 v2, 0xffff, v2
	s_delay_alu instid0(VALU_DEP_1) | instskip(NEXT) | instid1(VALU_DEP_1)
	v_lshrrev_b32_e32 v2, s45, v2
	v_and_b32_e32 v100, s42, v2
	s_wait_alu 0xfffe
	s_or_b32 exec_lo, exec_lo, s30
	s_and_saveexec_b32 s30, s15
	s_cbranch_execz .LBB1981_467
.LBB1981_501:                           ;   in Loop: Header=BB1981_402 Depth=2
	ds_load_u16 v2, v47 offset:1536
	s_wait_dscnt 0x0
	v_cmp_ne_u16_e64 s22, 0x8000, v2
	s_wait_alu 0xf1ff
	s_delay_alu instid0(VALU_DEP_1) | instskip(NEXT) | instid1(VALU_DEP_1)
	v_cndmask_b32_e64 v2, 0x7fff, v2, s22
	v_and_b32_e32 v2, 0xffff, v2
	s_delay_alu instid0(VALU_DEP_1) | instskip(NEXT) | instid1(VALU_DEP_1)
	v_lshrrev_b32_e32 v2, s45, v2
	v_and_b32_e32 v99, s42, v2
	s_wait_alu 0xfffe
	s_or_b32 exec_lo, exec_lo, s30
	s_and_saveexec_b32 s30, s16
	s_cbranch_execz .LBB1981_468
.LBB1981_502:                           ;   in Loop: Header=BB1981_402 Depth=2
	ds_load_u16 v2, v47 offset:2048
	s_wait_dscnt 0x0
	v_cmp_ne_u16_e64 s22, 0x8000, v2
	s_wait_alu 0xf1ff
	s_delay_alu instid0(VALU_DEP_1) | instskip(NEXT) | instid1(VALU_DEP_1)
	v_cndmask_b32_e64 v2, 0x7fff, v2, s22
	v_and_b32_e32 v2, 0xffff, v2
	s_delay_alu instid0(VALU_DEP_1) | instskip(NEXT) | instid1(VALU_DEP_1)
	v_lshrrev_b32_e32 v2, s45, v2
	v_and_b32_e32 v98, s42, v2
	s_wait_alu 0xfffe
	s_or_b32 exec_lo, exec_lo, s30
	s_and_saveexec_b32 s30, s17
	s_cbranch_execz .LBB1981_469
.LBB1981_503:                           ;   in Loop: Header=BB1981_402 Depth=2
	ds_load_u16 v2, v47 offset:2560
	s_wait_dscnt 0x0
	v_cmp_ne_u16_e64 s22, 0x8000, v2
	s_wait_alu 0xf1ff
	s_delay_alu instid0(VALU_DEP_1) | instskip(NEXT) | instid1(VALU_DEP_1)
	v_cndmask_b32_e64 v2, 0x7fff, v2, s22
	v_and_b32_e32 v2, 0xffff, v2
	s_delay_alu instid0(VALU_DEP_1) | instskip(NEXT) | instid1(VALU_DEP_1)
	v_lshrrev_b32_e32 v2, s45, v2
	v_and_b32_e32 v97, s42, v2
	s_wait_alu 0xfffe
	s_or_b32 exec_lo, exec_lo, s30
	s_and_saveexec_b32 s30, s18
	s_cbranch_execz .LBB1981_470
.LBB1981_504:                           ;   in Loop: Header=BB1981_402 Depth=2
	ds_load_u16 v2, v47 offset:3072
	s_wait_dscnt 0x0
	v_cmp_ne_u16_e64 s22, 0x8000, v2
	s_wait_alu 0xf1ff
	s_delay_alu instid0(VALU_DEP_1) | instskip(NEXT) | instid1(VALU_DEP_1)
	v_cndmask_b32_e64 v2, 0x7fff, v2, s22
	v_and_b32_e32 v2, 0xffff, v2
	s_delay_alu instid0(VALU_DEP_1) | instskip(NEXT) | instid1(VALU_DEP_1)
	v_lshrrev_b32_e32 v2, s45, v2
	v_and_b32_e32 v96, s42, v2
	s_wait_alu 0xfffe
	s_or_b32 exec_lo, exec_lo, s30
	s_and_saveexec_b32 s30, s19
	s_cbranch_execz .LBB1981_471
.LBB1981_505:                           ;   in Loop: Header=BB1981_402 Depth=2
	ds_load_u16 v2, v47 offset:3584
	s_wait_dscnt 0x0
	v_cmp_ne_u16_e64 s22, 0x8000, v2
	s_wait_alu 0xf1ff
	s_delay_alu instid0(VALU_DEP_1) | instskip(NEXT) | instid1(VALU_DEP_1)
	v_cndmask_b32_e64 v2, 0x7fff, v2, s22
	v_and_b32_e32 v2, 0xffff, v2
	s_delay_alu instid0(VALU_DEP_1) | instskip(NEXT) | instid1(VALU_DEP_1)
	v_lshrrev_b32_e32 v2, s45, v2
	v_and_b32_e32 v95, s42, v2
	s_wait_alu 0xfffe
	s_or_b32 exec_lo, exec_lo, s30
	s_and_saveexec_b32 s30, s20
	s_cbranch_execz .LBB1981_472
.LBB1981_506:                           ;   in Loop: Header=BB1981_402 Depth=2
	ds_load_u16 v2, v47 offset:4096
	s_wait_dscnt 0x0
	v_cmp_ne_u16_e64 s22, 0x8000, v2
	s_wait_alu 0xf1ff
	s_delay_alu instid0(VALU_DEP_1) | instskip(NEXT) | instid1(VALU_DEP_1)
	v_cndmask_b32_e64 v2, 0x7fff, v2, s22
	v_and_b32_e32 v2, 0xffff, v2
	s_delay_alu instid0(VALU_DEP_1) | instskip(NEXT) | instid1(VALU_DEP_1)
	v_lshrrev_b32_e32 v2, s45, v2
	v_and_b32_e32 v94, s42, v2
	s_wait_alu 0xfffe
	s_or_b32 exec_lo, exec_lo, s30
	s_and_saveexec_b32 s30, s21
	s_cbranch_execnz .LBB1981_473
	s_branch .LBB1981_474
.LBB1981_507:                           ;   in Loop: Header=BB1981_402 Depth=2
	v_lshlrev_b32_e32 v2, 2, v100
	v_add_nc_u32_e32 v20, v47, v48
	ds_load_b32 v2, v2
	ds_load_b64 v[20:21], v20 offset:1024
	s_wait_dscnt 0x1
	v_add_nc_u32_e32 v2, v2, v1
	s_delay_alu instid0(VALU_DEP_1) | instskip(NEXT) | instid1(VALU_DEP_1)
	v_lshlrev_b64_e32 v[23:24], 3, v[2:3]
	v_add_co_u32 v23, vcc_lo, s24, v23
	s_wait_alu 0xfffd
	s_delay_alu instid0(VALU_DEP_2)
	v_add_co_ci_u32_e64 v24, null, s25, v24, vcc_lo
	s_wait_dscnt 0x0
	global_store_b64 v[23:24], v[20:21], off
	s_wait_alu 0xfffe
	s_or_b32 exec_lo, exec_lo, s22
	s_and_saveexec_b32 s22, s15
	s_cbranch_execz .LBB1981_476
.LBB1981_508:                           ;   in Loop: Header=BB1981_402 Depth=2
	v_lshlrev_b32_e32 v2, 2, v99
	v_add_nc_u32_e32 v20, v47, v48
	ds_load_b32 v2, v2
	ds_load_b64 v[20:21], v20 offset:3072
	s_wait_dscnt 0x1
	v_add_nc_u32_e32 v2, v2, v29
	s_delay_alu instid0(VALU_DEP_1) | instskip(NEXT) | instid1(VALU_DEP_1)
	v_lshlrev_b64_e32 v[23:24], 3, v[2:3]
	v_add_co_u32 v23, vcc_lo, s24, v23
	s_wait_alu 0xfffd
	s_delay_alu instid0(VALU_DEP_2)
	v_add_co_ci_u32_e64 v24, null, s25, v24, vcc_lo
	s_wait_dscnt 0x0
	global_store_b64 v[23:24], v[20:21], off
	s_wait_alu 0xfffe
	s_or_b32 exec_lo, exec_lo, s22
	s_and_saveexec_b32 s15, s16
	s_cbranch_execz .LBB1981_477
.LBB1981_509:                           ;   in Loop: Header=BB1981_402 Depth=2
	v_lshlrev_b32_e32 v2, 2, v98
	v_add_nc_u32_e32 v20, v47, v48
	ds_load_b32 v2, v2
	ds_load_b64 v[20:21], v20 offset:5120
	s_wait_dscnt 0x1
	v_add_nc_u32_e32 v2, v2, v30
	s_delay_alu instid0(VALU_DEP_1) | instskip(NEXT) | instid1(VALU_DEP_1)
	v_lshlrev_b64_e32 v[23:24], 3, v[2:3]
	v_add_co_u32 v23, vcc_lo, s24, v23
	s_wait_alu 0xfffd
	s_delay_alu instid0(VALU_DEP_2)
	v_add_co_ci_u32_e64 v24, null, s25, v24, vcc_lo
	s_wait_dscnt 0x0
	global_store_b64 v[23:24], v[20:21], off
	s_wait_alu 0xfffe
	s_or_b32 exec_lo, exec_lo, s15
	s_and_saveexec_b32 s15, s17
	s_cbranch_execz .LBB1981_478
.LBB1981_510:                           ;   in Loop: Header=BB1981_402 Depth=2
	v_lshlrev_b32_e32 v2, 2, v97
	v_add_nc_u32_e32 v20, v47, v48
	ds_load_b32 v2, v2
	ds_load_b64 v[20:21], v20 offset:7168
	s_wait_dscnt 0x1
	v_add_nc_u32_e32 v2, v2, v31
	s_delay_alu instid0(VALU_DEP_1) | instskip(NEXT) | instid1(VALU_DEP_1)
	v_lshlrev_b64_e32 v[23:24], 3, v[2:3]
	v_add_co_u32 v23, vcc_lo, s24, v23
	s_wait_alu 0xfffd
	s_delay_alu instid0(VALU_DEP_2)
	v_add_co_ci_u32_e64 v24, null, s25, v24, vcc_lo
	s_wait_dscnt 0x0
	global_store_b64 v[23:24], v[20:21], off
	s_wait_alu 0xfffe
	s_or_b32 exec_lo, exec_lo, s15
	s_and_saveexec_b32 s15, s18
	s_cbranch_execz .LBB1981_479
.LBB1981_511:                           ;   in Loop: Header=BB1981_402 Depth=2
	v_lshlrev_b32_e32 v2, 2, v96
	v_add_nc_u32_e32 v20, v47, v48
	ds_load_b32 v2, v2
	ds_load_b64 v[20:21], v20 offset:9216
	s_wait_dscnt 0x1
	v_add_nc_u32_e32 v2, v2, v34
	s_delay_alu instid0(VALU_DEP_1) | instskip(NEXT) | instid1(VALU_DEP_1)
	v_lshlrev_b64_e32 v[23:24], 3, v[2:3]
	v_add_co_u32 v23, vcc_lo, s24, v23
	s_wait_alu 0xfffd
	s_delay_alu instid0(VALU_DEP_2)
	v_add_co_ci_u32_e64 v24, null, s25, v24, vcc_lo
	s_wait_dscnt 0x0
	global_store_b64 v[23:24], v[20:21], off
	s_wait_alu 0xfffe
	s_or_b32 exec_lo, exec_lo, s15
	s_and_saveexec_b32 s15, s19
	s_cbranch_execz .LBB1981_480
.LBB1981_512:                           ;   in Loop: Header=BB1981_402 Depth=2
	v_lshlrev_b32_e32 v2, 2, v95
	v_add_nc_u32_e32 v20, v47, v48
	ds_load_b32 v2, v2
	ds_load_b64 v[20:21], v20 offset:11264
	s_wait_dscnt 0x1
	v_add_nc_u32_e32 v2, v2, v35
	s_delay_alu instid0(VALU_DEP_1) | instskip(NEXT) | instid1(VALU_DEP_1)
	v_lshlrev_b64_e32 v[23:24], 3, v[2:3]
	v_add_co_u32 v23, vcc_lo, s24, v23
	s_wait_alu 0xfffd
	s_delay_alu instid0(VALU_DEP_2)
	v_add_co_ci_u32_e64 v24, null, s25, v24, vcc_lo
	s_wait_dscnt 0x0
	global_store_b64 v[23:24], v[20:21], off
	s_wait_alu 0xfffe
	s_or_b32 exec_lo, exec_lo, s15
	s_and_saveexec_b32 s15, s20
	s_cbranch_execz .LBB1981_481
.LBB1981_513:                           ;   in Loop: Header=BB1981_402 Depth=2
	v_lshlrev_b32_e32 v2, 2, v94
	v_add_nc_u32_e32 v20, v47, v48
	ds_load_b32 v2, v2
	ds_load_b64 v[20:21], v20 offset:13312
	s_wait_dscnt 0x1
	v_add_nc_u32_e32 v2, v2, v36
	s_delay_alu instid0(VALU_DEP_1) | instskip(NEXT) | instid1(VALU_DEP_1)
	v_lshlrev_b64_e32 v[23:24], 3, v[2:3]
	v_add_co_u32 v23, vcc_lo, s24, v23
	s_wait_alu 0xfffd
	s_delay_alu instid0(VALU_DEP_2)
	v_add_co_ci_u32_e64 v24, null, s25, v24, vcc_lo
	s_wait_dscnt 0x0
	global_store_b64 v[23:24], v[20:21], off
	s_wait_alu 0xfffe
	s_or_b32 exec_lo, exec_lo, s15
	s_and_saveexec_b32 s15, s21
	s_cbranch_execnz .LBB1981_482
	s_branch .LBB1981_483
.LBB1981_514:                           ;   in Loop: Header=BB1981_20 Depth=1
	s_wait_loadcnt_dscnt 0x0
	s_barrier_signal -1
	s_mov_b32 s0, 0
	s_barrier_wait -1
.LBB1981_515:                           ;   in Loop: Header=BB1981_20 Depth=1
	s_wait_alu 0xfffe
	s_and_b32 vcc_lo, exec_lo, s0
	s_wait_alu 0xfffe
	s_cbranch_vccz .LBB1981_19
; %bb.516:                              ;   in Loop: Header=BB1981_20 Depth=1
	s_mov_b32 s9, s47
	s_mov_b32 s30, s33
	s_barrier_signal -1
	s_barrier_wait -1
	global_inv scope:SCOPE_SE
                                        ; implicit-def: $vgpr2
                                        ; implicit-def: $vgpr4
                                        ; implicit-def: $vgpr5
                                        ; implicit-def: $vgpr6
                                        ; implicit-def: $vgpr7
                                        ; implicit-def: $vgpr8
                                        ; implicit-def: $vgpr9
                                        ; implicit-def: $vgpr10
	s_branch .LBB1981_518
.LBB1981_517:                           ;   in Loop: Header=BB1981_518 Depth=2
	s_wait_alu 0xfffe
	s_or_b32 exec_lo, exec_lo, s0
	s_addk_co_i32 s9, 0xf800
	s_cmp_ge_u32 s10, s34
	s_mov_b32 s30, s10
	s_cbranch_scc1 .LBB1981_554
.LBB1981_518:                           ;   Parent Loop BB1981_20 Depth=1
                                        ; =>  This Inner Loop Header: Depth=2
	s_wait_alu 0xfffe
	s_add_co_i32 s10, s30, 0x800
	s_mov_b32 s0, -1
	s_wait_alu 0xfffe
	s_cmp_gt_u32 s10, s34
                                        ; implicit-def: $vgpr11
                                        ; implicit-def: $vgpr12
                                        ; implicit-def: $vgpr13
                                        ; implicit-def: $vgpr14
                                        ; implicit-def: $vgpr15
                                        ; implicit-def: $vgpr16
                                        ; implicit-def: $vgpr17
                                        ; implicit-def: $vgpr18
	s_cbranch_scc1 .LBB1981_520
; %bb.519:                              ;   in Loop: Header=BB1981_518 Depth=2
	s_lshl_b64 s[0:1], s[30:31], 1
	s_wait_alu 0xfffe
	v_add_co_u32 v18, vcc_lo, v55, s0
	s_wait_alu 0xfffd
	v_add_co_ci_u32_e64 v19, null, s1, v56, vcc_lo
	s_mov_b32 s0, 0
	s_clause 0x7
	global_load_u16 v11, v[18:19], off
	global_load_u16 v12, v[18:19], off offset:512
	global_load_u16 v13, v[18:19], off offset:1024
	;; [unrolled: 1-line block ×7, first 2 shown]
.LBB1981_520:                           ;   in Loop: Header=BB1981_518 Depth=2
	s_wait_alu 0xfffe
	s_and_not1_b32 vcc_lo, exec_lo, s0
	s_movk_i32 s0, 0x800
	s_wait_alu 0xfffe
	s_cbranch_vccnz .LBB1981_531
; %bb.521:                              ;   in Loop: Header=BB1981_518 Depth=2
	s_lshl_b64 s[0:1], s[30:31], 1
	s_mov_b32 s11, exec_lo
	s_wait_alu 0xfffe
	s_add_nc_u64 s[0:1], s[36:37], s[0:1]
	v_cmpx_gt_u32_e64 s9, v1
	s_cbranch_execnz .LBB1981_547
; %bb.522:                              ;   in Loop: Header=BB1981_518 Depth=2
	s_or_b32 exec_lo, exec_lo, s11
	s_delay_alu instid0(SALU_CYCLE_1)
	s_mov_b32 s11, exec_lo
	v_cmpx_gt_u32_e64 s9, v29
	s_cbranch_execnz .LBB1981_548
.LBB1981_523:                           ;   in Loop: Header=BB1981_518 Depth=2
	s_wait_alu 0xfffe
	s_or_b32 exec_lo, exec_lo, s11
	s_delay_alu instid0(SALU_CYCLE_1)
	s_mov_b32 s11, exec_lo
	v_cmpx_gt_u32_e64 s9, v30
	s_cbranch_execnz .LBB1981_549
.LBB1981_524:                           ;   in Loop: Header=BB1981_518 Depth=2
	s_wait_alu 0xfffe
	s_or_b32 exec_lo, exec_lo, s11
	s_delay_alu instid0(SALU_CYCLE_1)
	s_mov_b32 s11, exec_lo
	v_cmpx_gt_u32_e64 s9, v31
	s_cbranch_execnz .LBB1981_550
.LBB1981_525:                           ;   in Loop: Header=BB1981_518 Depth=2
	s_wait_alu 0xfffe
	s_or_b32 exec_lo, exec_lo, s11
	s_delay_alu instid0(SALU_CYCLE_1)
	s_mov_b32 s11, exec_lo
	v_cmpx_gt_u32_e64 s9, v34
	s_cbranch_execnz .LBB1981_551
.LBB1981_526:                           ;   in Loop: Header=BB1981_518 Depth=2
	s_wait_alu 0xfffe
	s_or_b32 exec_lo, exec_lo, s11
	s_delay_alu instid0(SALU_CYCLE_1)
	s_mov_b32 s11, exec_lo
	v_cmpx_gt_u32_e64 s9, v35
	s_cbranch_execnz .LBB1981_552
.LBB1981_527:                           ;   in Loop: Header=BB1981_518 Depth=2
	s_wait_alu 0xfffe
	s_or_b32 exec_lo, exec_lo, s11
	s_delay_alu instid0(SALU_CYCLE_1)
	s_mov_b32 s11, exec_lo
	v_cmpx_gt_u32_e64 s9, v36
	s_cbranch_execnz .LBB1981_553
.LBB1981_528:                           ;   in Loop: Header=BB1981_518 Depth=2
	s_wait_alu 0xfffe
	s_or_b32 exec_lo, exec_lo, s11
	s_delay_alu instid0(SALU_CYCLE_1)
	s_mov_b32 s11, exec_lo
	v_cmpx_gt_u32_e64 s9, v37
	s_cbranch_execz .LBB1981_530
.LBB1981_529:                           ;   in Loop: Header=BB1981_518 Depth=2
	global_load_u16 v2, v82, s[0:1] offset:3584
.LBB1981_530:                           ;   in Loop: Header=BB1981_518 Depth=2
	s_wait_alu 0xfffe
	s_or_b32 exec_lo, exec_lo, s11
	s_wait_loadcnt 0x0
	v_dual_mov_b32 v11, v10 :: v_dual_mov_b32 v12, v9
	v_dual_mov_b32 v13, v8 :: v_dual_mov_b32 v14, v7
	;; [unrolled: 1-line block ×4, first 2 shown]
	s_mov_b32 s0, s9
.LBB1981_531:                           ;   in Loop: Header=BB1981_518 Depth=2
	s_wait_loadcnt 0x0
	s_delay_alu instid0(VALU_DEP_1) | instskip(NEXT) | instid1(VALU_DEP_2)
	v_dual_mov_b32 v2, v18 :: v_dual_mov_b32 v5, v16
	v_dual_mov_b32 v4, v17 :: v_dual_mov_b32 v7, v14
	;; [unrolled: 1-line block ×3, first 2 shown]
	v_mov_b32_e32 v8, v13
	v_mov_b32_e32 v10, v11
	s_mov_b32 s1, exec_lo
	s_wait_alu 0xfffe
	v_cmpx_gt_u32_e64 s0, v1
	s_cbranch_execnz .LBB1981_539
; %bb.532:                              ;   in Loop: Header=BB1981_518 Depth=2
	s_or_b32 exec_lo, exec_lo, s1
	s_delay_alu instid0(SALU_CYCLE_1)
	s_mov_b32 s1, exec_lo
	v_cmpx_gt_u32_e64 s0, v29
	s_cbranch_execnz .LBB1981_540
.LBB1981_533:                           ;   in Loop: Header=BB1981_518 Depth=2
	s_wait_alu 0xfffe
	s_or_b32 exec_lo, exec_lo, s1
	s_delay_alu instid0(SALU_CYCLE_1)
	s_mov_b32 s1, exec_lo
	v_cmpx_gt_u32_e64 s0, v30
	s_cbranch_execnz .LBB1981_541
.LBB1981_534:                           ;   in Loop: Header=BB1981_518 Depth=2
	s_wait_alu 0xfffe
	s_or_b32 exec_lo, exec_lo, s1
	s_delay_alu instid0(SALU_CYCLE_1)
	s_mov_b32 s1, exec_lo
	v_cmpx_gt_u32_e64 s0, v31
	s_cbranch_execnz .LBB1981_542
.LBB1981_535:                           ;   in Loop: Header=BB1981_518 Depth=2
	s_wait_alu 0xfffe
	s_or_b32 exec_lo, exec_lo, s1
	s_delay_alu instid0(SALU_CYCLE_1)
	s_mov_b32 s1, exec_lo
	v_cmpx_gt_u32_e64 s0, v34
	s_cbranch_execnz .LBB1981_543
.LBB1981_536:                           ;   in Loop: Header=BB1981_518 Depth=2
	s_wait_alu 0xfffe
	s_or_b32 exec_lo, exec_lo, s1
	s_delay_alu instid0(SALU_CYCLE_1)
	s_mov_b32 s1, exec_lo
	v_cmpx_gt_u32_e64 s0, v35
	s_cbranch_execnz .LBB1981_544
.LBB1981_537:                           ;   in Loop: Header=BB1981_518 Depth=2
	s_wait_alu 0xfffe
	s_or_b32 exec_lo, exec_lo, s1
	s_delay_alu instid0(SALU_CYCLE_1)
	s_mov_b32 s1, exec_lo
	v_cmpx_gt_u32_e64 s0, v36
	s_cbranch_execnz .LBB1981_545
.LBB1981_538:                           ;   in Loop: Header=BB1981_518 Depth=2
	s_wait_alu 0xfffe
	s_or_b32 exec_lo, exec_lo, s1
	v_cmp_gt_u32_e32 vcc_lo, s0, v37
	s_and_saveexec_b32 s0, vcc_lo
	s_cbranch_execz .LBB1981_517
	s_branch .LBB1981_546
.LBB1981_539:                           ;   in Loop: Header=BB1981_518 Depth=2
	v_cmp_gt_i16_e32 vcc_lo, 0, v10
	s_wait_alu 0xfffd
	v_cndmask_b32_e64 v11, 0x7fff, 0, vcc_lo
	s_delay_alu instid0(VALU_DEP_1) | instskip(NEXT) | instid1(VALU_DEP_1)
	v_xor_b32_e32 v11, v11, v10
	v_cmp_ne_u16_e32 vcc_lo, 0x8000, v11
	s_wait_alu 0xfffd
	v_cndmask_b32_e32 v11, 0x7fff, v11, vcc_lo
	s_delay_alu instid0(VALU_DEP_1) | instskip(NEXT) | instid1(VALU_DEP_1)
	v_and_b32_e32 v11, 0xffff, v11
	v_lshrrev_b32_e32 v11, s45, v11
	s_delay_alu instid0(VALU_DEP_1) | instskip(NEXT) | instid1(VALU_DEP_1)
	v_and_b32_e32 v11, s42, v11
	v_lshl_or_b32 v11, v11, 4, v39
	ds_add_u32 v11, v62
	s_or_b32 exec_lo, exec_lo, s1
	s_delay_alu instid0(SALU_CYCLE_1)
	s_mov_b32 s1, exec_lo
	v_cmpx_gt_u32_e64 s0, v29
	s_cbranch_execz .LBB1981_533
.LBB1981_540:                           ;   in Loop: Header=BB1981_518 Depth=2
	v_cmp_gt_i16_e32 vcc_lo, 0, v9
	s_wait_alu 0xfffd
	v_cndmask_b32_e64 v11, 0x7fff, 0, vcc_lo
	s_delay_alu instid0(VALU_DEP_1) | instskip(NEXT) | instid1(VALU_DEP_1)
	v_xor_b32_e32 v11, v11, v9
	v_cmp_ne_u16_e32 vcc_lo, 0x8000, v11
	s_wait_alu 0xfffd
	v_cndmask_b32_e32 v11, 0x7fff, v11, vcc_lo
	s_delay_alu instid0(VALU_DEP_1) | instskip(NEXT) | instid1(VALU_DEP_1)
	v_and_b32_e32 v11, 0xffff, v11
	v_lshrrev_b32_e32 v11, s45, v11
	s_delay_alu instid0(VALU_DEP_1) | instskip(NEXT) | instid1(VALU_DEP_1)
	v_and_b32_e32 v11, s42, v11
	v_lshl_or_b32 v11, v11, 4, v39
	ds_add_u32 v11, v62
	s_wait_alu 0xfffe
	s_or_b32 exec_lo, exec_lo, s1
	s_delay_alu instid0(SALU_CYCLE_1)
	s_mov_b32 s1, exec_lo
	v_cmpx_gt_u32_e64 s0, v30
	s_cbranch_execz .LBB1981_534
.LBB1981_541:                           ;   in Loop: Header=BB1981_518 Depth=2
	v_cmp_gt_i16_e32 vcc_lo, 0, v8
	s_wait_alu 0xfffd
	v_cndmask_b32_e64 v11, 0x7fff, 0, vcc_lo
	s_delay_alu instid0(VALU_DEP_1) | instskip(NEXT) | instid1(VALU_DEP_1)
	v_xor_b32_e32 v11, v11, v8
	v_cmp_ne_u16_e32 vcc_lo, 0x8000, v11
	s_wait_alu 0xfffd
	v_cndmask_b32_e32 v11, 0x7fff, v11, vcc_lo
	s_delay_alu instid0(VALU_DEP_1) | instskip(NEXT) | instid1(VALU_DEP_1)
	v_and_b32_e32 v11, 0xffff, v11
	v_lshrrev_b32_e32 v11, s45, v11
	s_delay_alu instid0(VALU_DEP_1) | instskip(NEXT) | instid1(VALU_DEP_1)
	v_and_b32_e32 v11, s42, v11
	v_lshl_or_b32 v11, v11, 4, v39
	ds_add_u32 v11, v62
	s_wait_alu 0xfffe
	s_or_b32 exec_lo, exec_lo, s1
	s_delay_alu instid0(SALU_CYCLE_1)
	s_mov_b32 s1, exec_lo
	v_cmpx_gt_u32_e64 s0, v31
	s_cbranch_execz .LBB1981_535
.LBB1981_542:                           ;   in Loop: Header=BB1981_518 Depth=2
	v_cmp_gt_i16_e32 vcc_lo, 0, v7
	s_wait_alu 0xfffd
	v_cndmask_b32_e64 v11, 0x7fff, 0, vcc_lo
	s_delay_alu instid0(VALU_DEP_1) | instskip(NEXT) | instid1(VALU_DEP_1)
	v_xor_b32_e32 v11, v11, v7
	v_cmp_ne_u16_e32 vcc_lo, 0x8000, v11
	s_wait_alu 0xfffd
	v_cndmask_b32_e32 v11, 0x7fff, v11, vcc_lo
	s_delay_alu instid0(VALU_DEP_1) | instskip(NEXT) | instid1(VALU_DEP_1)
	v_and_b32_e32 v11, 0xffff, v11
	v_lshrrev_b32_e32 v11, s45, v11
	s_delay_alu instid0(VALU_DEP_1) | instskip(NEXT) | instid1(VALU_DEP_1)
	v_and_b32_e32 v11, s42, v11
	v_lshl_or_b32 v11, v11, 4, v39
	ds_add_u32 v11, v62
	s_wait_alu 0xfffe
	s_or_b32 exec_lo, exec_lo, s1
	s_delay_alu instid0(SALU_CYCLE_1)
	s_mov_b32 s1, exec_lo
	v_cmpx_gt_u32_e64 s0, v34
	s_cbranch_execz .LBB1981_536
.LBB1981_543:                           ;   in Loop: Header=BB1981_518 Depth=2
	v_cmp_gt_i16_e32 vcc_lo, 0, v6
	s_wait_alu 0xfffd
	v_cndmask_b32_e64 v11, 0x7fff, 0, vcc_lo
	s_delay_alu instid0(VALU_DEP_1) | instskip(NEXT) | instid1(VALU_DEP_1)
	v_xor_b32_e32 v11, v11, v6
	v_cmp_ne_u16_e32 vcc_lo, 0x8000, v11
	s_wait_alu 0xfffd
	v_cndmask_b32_e32 v11, 0x7fff, v11, vcc_lo
	s_delay_alu instid0(VALU_DEP_1) | instskip(NEXT) | instid1(VALU_DEP_1)
	v_and_b32_e32 v11, 0xffff, v11
	v_lshrrev_b32_e32 v11, s45, v11
	s_delay_alu instid0(VALU_DEP_1) | instskip(NEXT) | instid1(VALU_DEP_1)
	v_and_b32_e32 v11, s42, v11
	v_lshl_or_b32 v11, v11, 4, v39
	ds_add_u32 v11, v62
	s_wait_alu 0xfffe
	s_or_b32 exec_lo, exec_lo, s1
	s_delay_alu instid0(SALU_CYCLE_1)
	s_mov_b32 s1, exec_lo
	v_cmpx_gt_u32_e64 s0, v35
	s_cbranch_execz .LBB1981_537
.LBB1981_544:                           ;   in Loop: Header=BB1981_518 Depth=2
	v_cmp_gt_i16_e32 vcc_lo, 0, v5
	s_wait_alu 0xfffd
	v_cndmask_b32_e64 v11, 0x7fff, 0, vcc_lo
	s_delay_alu instid0(VALU_DEP_1) | instskip(NEXT) | instid1(VALU_DEP_1)
	v_xor_b32_e32 v11, v11, v5
	v_cmp_ne_u16_e32 vcc_lo, 0x8000, v11
	s_wait_alu 0xfffd
	v_cndmask_b32_e32 v11, 0x7fff, v11, vcc_lo
	s_delay_alu instid0(VALU_DEP_1) | instskip(NEXT) | instid1(VALU_DEP_1)
	v_and_b32_e32 v11, 0xffff, v11
	v_lshrrev_b32_e32 v11, s45, v11
	s_delay_alu instid0(VALU_DEP_1) | instskip(NEXT) | instid1(VALU_DEP_1)
	v_and_b32_e32 v11, s42, v11
	v_lshl_or_b32 v11, v11, 4, v39
	ds_add_u32 v11, v62
	s_wait_alu 0xfffe
	s_or_b32 exec_lo, exec_lo, s1
	s_delay_alu instid0(SALU_CYCLE_1)
	s_mov_b32 s1, exec_lo
	v_cmpx_gt_u32_e64 s0, v36
	s_cbranch_execz .LBB1981_538
.LBB1981_545:                           ;   in Loop: Header=BB1981_518 Depth=2
	v_cmp_gt_i16_e32 vcc_lo, 0, v4
	s_wait_alu 0xfffd
	v_cndmask_b32_e64 v11, 0x7fff, 0, vcc_lo
	s_delay_alu instid0(VALU_DEP_1) | instskip(NEXT) | instid1(VALU_DEP_1)
	v_xor_b32_e32 v11, v11, v4
	v_cmp_ne_u16_e32 vcc_lo, 0x8000, v11
	s_wait_alu 0xfffd
	v_cndmask_b32_e32 v11, 0x7fff, v11, vcc_lo
	s_delay_alu instid0(VALU_DEP_1) | instskip(NEXT) | instid1(VALU_DEP_1)
	v_and_b32_e32 v11, 0xffff, v11
	v_lshrrev_b32_e32 v11, s45, v11
	s_delay_alu instid0(VALU_DEP_1) | instskip(NEXT) | instid1(VALU_DEP_1)
	v_and_b32_e32 v11, s42, v11
	v_lshl_or_b32 v11, v11, 4, v39
	ds_add_u32 v11, v62
	s_wait_alu 0xfffe
	s_or_b32 exec_lo, exec_lo, s1
	v_cmp_gt_u32_e32 vcc_lo, s0, v37
	s_and_saveexec_b32 s0, vcc_lo
	s_cbranch_execz .LBB1981_517
.LBB1981_546:                           ;   in Loop: Header=BB1981_518 Depth=2
	v_cmp_gt_i16_e32 vcc_lo, 0, v2
	s_wait_alu 0xfffd
	v_cndmask_b32_e64 v11, 0x7fff, 0, vcc_lo
	s_delay_alu instid0(VALU_DEP_1) | instskip(NEXT) | instid1(VALU_DEP_1)
	v_xor_b32_e32 v11, v11, v2
	v_cmp_ne_u16_e32 vcc_lo, 0x8000, v11
	s_wait_alu 0xfffd
	v_cndmask_b32_e32 v11, 0x7fff, v11, vcc_lo
	s_delay_alu instid0(VALU_DEP_1) | instskip(NEXT) | instid1(VALU_DEP_1)
	v_and_b32_e32 v11, 0xffff, v11
	v_lshrrev_b32_e32 v11, s45, v11
	s_delay_alu instid0(VALU_DEP_1) | instskip(NEXT) | instid1(VALU_DEP_1)
	v_and_b32_e32 v11, s42, v11
	v_lshl_or_b32 v11, v11, 4, v39
	ds_add_u32 v11, v62
	s_branch .LBB1981_517
.LBB1981_547:                           ;   in Loop: Header=BB1981_518 Depth=2
	global_load_u16 v10, v82, s[0:1]
	s_or_b32 exec_lo, exec_lo, s11
	s_delay_alu instid0(SALU_CYCLE_1)
	s_mov_b32 s11, exec_lo
	v_cmpx_gt_u32_e64 s9, v29
	s_cbranch_execz .LBB1981_523
.LBB1981_548:                           ;   in Loop: Header=BB1981_518 Depth=2
	global_load_u16 v9, v82, s[0:1] offset:512
	s_wait_alu 0xfffe
	s_or_b32 exec_lo, exec_lo, s11
	s_delay_alu instid0(SALU_CYCLE_1)
	s_mov_b32 s11, exec_lo
	v_cmpx_gt_u32_e64 s9, v30
	s_cbranch_execz .LBB1981_524
.LBB1981_549:                           ;   in Loop: Header=BB1981_518 Depth=2
	global_load_u16 v8, v82, s[0:1] offset:1024
	s_wait_alu 0xfffe
	s_or_b32 exec_lo, exec_lo, s11
	s_delay_alu instid0(SALU_CYCLE_1)
	s_mov_b32 s11, exec_lo
	v_cmpx_gt_u32_e64 s9, v31
	s_cbranch_execz .LBB1981_525
.LBB1981_550:                           ;   in Loop: Header=BB1981_518 Depth=2
	global_load_u16 v7, v82, s[0:1] offset:1536
	s_wait_alu 0xfffe
	s_or_b32 exec_lo, exec_lo, s11
	s_delay_alu instid0(SALU_CYCLE_1)
	s_mov_b32 s11, exec_lo
	v_cmpx_gt_u32_e64 s9, v34
	s_cbranch_execz .LBB1981_526
.LBB1981_551:                           ;   in Loop: Header=BB1981_518 Depth=2
	global_load_u16 v6, v82, s[0:1] offset:2048
	s_wait_alu 0xfffe
	s_or_b32 exec_lo, exec_lo, s11
	s_delay_alu instid0(SALU_CYCLE_1)
	s_mov_b32 s11, exec_lo
	v_cmpx_gt_u32_e64 s9, v35
	s_cbranch_execz .LBB1981_527
.LBB1981_552:                           ;   in Loop: Header=BB1981_518 Depth=2
	global_load_u16 v5, v82, s[0:1] offset:2560
	s_wait_alu 0xfffe
	s_or_b32 exec_lo, exec_lo, s11
	s_delay_alu instid0(SALU_CYCLE_1)
	s_mov_b32 s11, exec_lo
	v_cmpx_gt_u32_e64 s9, v36
	s_cbranch_execz .LBB1981_528
.LBB1981_553:                           ;   in Loop: Header=BB1981_518 Depth=2
	global_load_u16 v4, v82, s[0:1] offset:3072
	s_wait_alu 0xfffe
	s_or_b32 exec_lo, exec_lo, s11
	s_delay_alu instid0(SALU_CYCLE_1)
	s_mov_b32 s11, exec_lo
	v_cmpx_gt_u32_e64 s9, v37
	s_cbranch_execnz .LBB1981_529
	s_branch .LBB1981_530
.LBB1981_554:                           ;   in Loop: Header=BB1981_20 Depth=1
	v_mov_b32_e32 v2, 0
	s_wait_dscnt 0x0
	s_barrier_signal -1
	s_barrier_wait -1
	global_inv scope:SCOPE_SE
	s_and_saveexec_b32 s0, s2
	s_cbranch_execz .LBB1981_556
; %bb.555:                              ;   in Loop: Header=BB1981_20 Depth=1
	ds_load_2addr_b64 v[4:7], v40 offset1:1
	s_wait_dscnt 0x0
	v_add_nc_u32_e32 v2, v5, v4
	s_delay_alu instid0(VALU_DEP_1)
	v_add3_u32 v2, v2, v6, v7
.LBB1981_556:                           ;   in Loop: Header=BB1981_20 Depth=1
	s_wait_alu 0xfffe
	s_or_b32 exec_lo, exec_lo, s0
	s_delay_alu instid0(VALU_DEP_1)
	v_mov_b32_dpp v4, v2 row_shr:1 row_mask:0xf bank_mask:0xf
	v_cmp_eq_u32_e64 s0, 0, v63
	v_cmp_lt_u32_e64 s1, 1, v63
	v_cmp_lt_u32_e64 s9, 3, v63
	;; [unrolled: 1-line block ×3, first 2 shown]
	v_cmp_eq_u32_e64 s11, 0, v65
	s_wait_alu 0xf1ff
	v_cndmask_b32_e64 v4, v4, 0, s0
	s_delay_alu instid0(VALU_DEP_1) | instskip(NEXT) | instid1(VALU_DEP_1)
	v_add_nc_u32_e32 v2, v4, v2
	v_mov_b32_dpp v4, v2 row_shr:2 row_mask:0xf bank_mask:0xf
	s_delay_alu instid0(VALU_DEP_1) | instskip(NEXT) | instid1(VALU_DEP_1)
	v_cndmask_b32_e64 v4, 0, v4, s1
	v_add_nc_u32_e32 v2, v2, v4
	s_delay_alu instid0(VALU_DEP_1) | instskip(NEXT) | instid1(VALU_DEP_1)
	v_mov_b32_dpp v4, v2 row_shr:4 row_mask:0xf bank_mask:0xf
	v_cndmask_b32_e64 v4, 0, v4, s9
	s_delay_alu instid0(VALU_DEP_1) | instskip(NEXT) | instid1(VALU_DEP_1)
	v_add_nc_u32_e32 v2, v2, v4
	v_mov_b32_dpp v4, v2 row_shr:8 row_mask:0xf bank_mask:0xf
	s_delay_alu instid0(VALU_DEP_1) | instskip(NEXT) | instid1(VALU_DEP_1)
	v_cndmask_b32_e64 v4, 0, v4, s10
	v_add_nc_u32_e32 v2, v2, v4
	ds_swizzle_b32 v4, v2 offset:swizzle(BROADCAST,32,15)
	s_wait_dscnt 0x0
	v_and_b32_e32 v4, v64, v4
	s_delay_alu instid0(VALU_DEP_1)
	v_add_nc_u32_e32 v2, v2, v4
	s_and_saveexec_b32 s12, s3
; %bb.557:                              ;   in Loop: Header=BB1981_20 Depth=1
	ds_store_b32 v41, v2
; %bb.558:                              ;   in Loop: Header=BB1981_20 Depth=1
	s_wait_alu 0xfffe
	s_or_b32 exec_lo, exec_lo, s12
	s_wait_loadcnt_dscnt 0x0
	s_barrier_signal -1
	s_barrier_wait -1
	global_inv scope:SCOPE_SE
	s_and_saveexec_b32 s12, s4
	s_cbranch_execz .LBB1981_560
; %bb.559:                              ;   in Loop: Header=BB1981_20 Depth=1
	ds_load_b32 v4, v42
	v_cmp_ne_u32_e32 vcc_lo, 0, v67
	s_wait_dscnt 0x0
	v_mov_b32_dpp v5, v4 row_shr:1 row_mask:0xf bank_mask:0xf
	s_wait_alu 0xfffd
	s_delay_alu instid0(VALU_DEP_1) | instskip(SKIP_1) | instid1(VALU_DEP_2)
	v_cndmask_b32_e32 v5, 0, v5, vcc_lo
	v_cmp_lt_u32_e32 vcc_lo, 1, v67
	v_add_nc_u32_e32 v4, v5, v4
	s_delay_alu instid0(VALU_DEP_1) | instskip(SKIP_1) | instid1(VALU_DEP_1)
	v_mov_b32_dpp v5, v4 row_shr:2 row_mask:0xf bank_mask:0xf
	s_wait_alu 0xfffd
	v_cndmask_b32_e32 v5, 0, v5, vcc_lo
	v_cmp_lt_u32_e32 vcc_lo, 3, v67
	s_delay_alu instid0(VALU_DEP_2) | instskip(NEXT) | instid1(VALU_DEP_1)
	v_add_nc_u32_e32 v4, v4, v5
	v_mov_b32_dpp v5, v4 row_shr:4 row_mask:0xf bank_mask:0xf
	s_wait_alu 0xfffd
	s_delay_alu instid0(VALU_DEP_1) | instskip(NEXT) | instid1(VALU_DEP_1)
	v_cndmask_b32_e32 v5, 0, v5, vcc_lo
	v_add_nc_u32_e32 v4, v4, v5
	ds_store_b32 v42, v4
.LBB1981_560:                           ;   in Loop: Header=BB1981_20 Depth=1
	s_wait_alu 0xfffe
	s_or_b32 exec_lo, exec_lo, s12
	v_mov_b32_e32 v4, 0
	s_wait_loadcnt_dscnt 0x0
	s_barrier_signal -1
	s_barrier_wait -1
	global_inv scope:SCOPE_SE
	s_and_saveexec_b32 s12, s5
; %bb.561:                              ;   in Loop: Header=BB1981_20 Depth=1
	ds_load_b32 v4, v44
; %bb.562:                              ;   in Loop: Header=BB1981_20 Depth=1
	s_wait_alu 0xfffe
	s_or_b32 exec_lo, exec_lo, s12
	v_cmp_gt_i32_e32 vcc_lo, 0, v68
	s_wait_dscnt 0x0
	v_add_nc_u32_e32 v2, v4, v2
	s_wait_loadcnt 0x0
	s_barrier_signal -1
	s_barrier_wait -1
	s_wait_alu 0xfffd
	v_cndmask_b32_e32 v5, v68, v59, vcc_lo
	global_inv scope:SCOPE_SE
	v_lshlrev_b32_e32 v87, 2, v5
	ds_bpermute_b32 v2, v87, v2
	s_and_saveexec_b32 s12, s2
	s_cbranch_execz .LBB1981_564
; %bb.563:                              ;   in Loop: Header=BB1981_20 Depth=1
	s_wait_dscnt 0x0
	v_cndmask_b32_e64 v2, v2, v4, s8
	s_delay_alu instid0(VALU_DEP_1)
	v_add_nc_u32_e32 v2, s33, v2
	ds_store_b32 v28, v2
.LBB1981_564:                           ;   in Loop: Header=BB1981_20 Depth=1
	s_wait_alu 0xfffe
	s_or_b32 exec_lo, exec_lo, s12
	s_load_b64 s[12:13], s[28:29], 0x0
	v_add_co_u32 v88, vcc_lo, v57, v69
	s_wait_alu 0xfffd
	v_add_co_ci_u32_e64 v89, null, 0, v58, vcc_lo
	v_add_co_u32 v90, vcc_lo, v60, v77
	s_wait_alu 0xfffd
	v_add_co_ci_u32_e64 v91, null, 0, v61, vcc_lo
	s_mov_b32 s43, s47
                                        ; implicit-def: $vgpr6_vgpr7
                                        ; implicit-def: $vgpr8_vgpr9
                                        ; implicit-def: $vgpr10_vgpr11
                                        ; implicit-def: $vgpr12_vgpr13
                                        ; implicit-def: $vgpr14_vgpr15
                                        ; implicit-def: $vgpr16_vgpr17
                                        ; implicit-def: $vgpr18_vgpr19
                                        ; implicit-def: $vgpr93
                                        ; implicit-def: $vgpr94
                                        ; implicit-def: $vgpr95
                                        ; implicit-def: $vgpr96
                                        ; implicit-def: $vgpr97
                                        ; implicit-def: $vgpr98
                                        ; implicit-def: $vgpr99
                                        ; implicit-def: $vgpr100
	s_wait_kmcnt 0x0
	s_cmp_lt_u32 ttmp7, s13
	s_cselect_b32 s30, 14, 20
	s_cmp_lt_u32 ttmp9, s12
	s_wait_alu 0xfffe
	s_add_nc_u64 s[14:15], s[28:29], s[30:31]
	s_cselect_b32 s30, 12, 18
	s_load_u16 s14, s[14:15], 0x0
	s_add_nc_u64 s[12:13], s[28:29], s[30:31]
	s_mov_b32 s30, s33
	s_load_u16 s12, s[12:13], 0x0
	v_cmp_lt_u32_e64 s13, 1, v67
	s_wait_dscnt 0x0
	s_wait_kmcnt 0x0
	v_mad_u32_u24 v2, v45, s14, v0
	v_cmp_lt_u32_e64 s14, 3, v67
	s_delay_alu instid0(VALU_DEP_2) | instskip(SKIP_1) | instid1(VALU_DEP_2)
	v_mad_co_u64_u32 v[4:5], null, v2, s12, v[1:2]
	v_cmp_eq_u32_e64 s12, 0, v67
	v_lshrrev_b32_e32 v2, 3, v4
                                        ; implicit-def: $vgpr4_vgpr5
	s_delay_alu instid0(VALU_DEP_1)
	v_and_b32_e32 v92, 0x1ffffffc, v2
	s_branch .LBB1981_566
.LBB1981_565:                           ;   in Loop: Header=BB1981_566 Depth=2
	s_wait_alu 0xfffe
	s_or_b32 exec_lo, exec_lo, s15
	s_addk_co_i32 s43, 0xf800
	s_cmp_lt_u32 s44, s34
	s_mov_b32 s30, s44
	s_cbranch_scc0 .LBB1981_18
.LBB1981_566:                           ;   Parent Loop BB1981_20 Depth=1
                                        ; =>  This Inner Loop Header: Depth=2
	s_wait_alu 0xfffe
	s_add_co_i32 s44, s30, 0x800
	s_wait_alu 0xfffe
	s_cmp_gt_u32 s44, s34
	s_cbranch_scc1 .LBB1981_568
; %bb.567:                              ;   in Loop: Header=BB1981_566 Depth=2
	s_lshl_b64 s[16:17], s[30:31], 1
	s_mov_b32 s15, -1
	s_wait_alu 0xfffe
	v_add_co_u32 v20, vcc_lo, v90, s16
	s_wait_alu 0xfffd
	v_add_co_ci_u32_e64 v21, null, s17, v91, vcc_lo
	s_clause 0x6
	global_load_u16 v2, v[20:21], off
	global_load_u16 v27, v[20:21], off offset:64
	global_load_u16 v26, v[20:21], off offset:128
	;; [unrolled: 1-line block ×6, first 2 shown]
	s_movk_i32 s16, 0x800
	s_cbranch_execz .LBB1981_569
	s_branch .LBB1981_584
.LBB1981_568:                           ;   in Loop: Header=BB1981_566 Depth=2
	s_mov_b32 s15, 0
                                        ; implicit-def: $vgpr2
                                        ; implicit-def: $vgpr27
                                        ; implicit-def: $vgpr26
                                        ; implicit-def: $vgpr25
                                        ; implicit-def: $vgpr24
                                        ; implicit-def: $vgpr23
                                        ; implicit-def: $vgpr22
	s_movk_i32 s16, 0x800
.LBB1981_569:                           ;   in Loop: Header=BB1981_566 Depth=2
	s_lshl_b64 s[16:17], s[30:31], 1
	s_wait_loadcnt 0x5
	v_dual_mov_b32 v27, -1 :: v_dual_mov_b32 v2, -1
	s_wait_alu 0xfffe
	v_add_co_u32 v20, vcc_lo, v90, s16
	s_wait_alu 0xfffd
	v_add_co_ci_u32_e64 v21, null, s17, v91, vcc_lo
	s_mov_b32 s15, exec_lo
	v_cmpx_gt_u32_e64 s43, v66
	s_cbranch_execz .LBB1981_571
; %bb.570:                              ;   in Loop: Header=BB1981_566 Depth=2
	global_load_u16 v2, v[20:21], off
.LBB1981_571:                           ;   in Loop: Header=BB1981_566 Depth=2
	s_wait_alu 0xfffe
	s_or_b32 exec_lo, exec_lo, s15
	s_delay_alu instid0(SALU_CYCLE_1)
	s_mov_b32 s15, exec_lo
	v_cmpx_gt_u32_e64 s43, v70
	s_cbranch_execz .LBB1981_573
; %bb.572:                              ;   in Loop: Header=BB1981_566 Depth=2
	global_load_u16 v27, v[20:21], off offset:64
.LBB1981_573:                           ;   in Loop: Header=BB1981_566 Depth=2
	s_wait_alu 0xfffe
	s_or_b32 exec_lo, exec_lo, s15
	s_wait_loadcnt 0x3
	v_dual_mov_b32 v25, -1 :: v_dual_mov_b32 v26, -1
	s_mov_b32 s15, exec_lo
	v_cmpx_gt_u32_e64 s43, v71
	s_cbranch_execz .LBB1981_575
; %bb.574:                              ;   in Loop: Header=BB1981_566 Depth=2
	global_load_u16 v26, v[20:21], off offset:128
.LBB1981_575:                           ;   in Loop: Header=BB1981_566 Depth=2
	s_wait_alu 0xfffe
	s_or_b32 exec_lo, exec_lo, s15
	s_delay_alu instid0(SALU_CYCLE_1)
	s_mov_b32 s15, exec_lo
	v_cmpx_gt_u32_e64 s43, v72
	s_cbranch_execz .LBB1981_577
; %bb.576:                              ;   in Loop: Header=BB1981_566 Depth=2
	global_load_u16 v25, v[20:21], off offset:192
.LBB1981_577:                           ;   in Loop: Header=BB1981_566 Depth=2
	s_wait_alu 0xfffe
	s_or_b32 exec_lo, exec_lo, s15
	s_wait_loadcnt 0x1
	v_dual_mov_b32 v23, -1 :: v_dual_mov_b32 v24, -1
	s_mov_b32 s15, exec_lo
	v_cmpx_gt_u32_e64 s43, v73
	s_cbranch_execz .LBB1981_579
; %bb.578:                              ;   in Loop: Header=BB1981_566 Depth=2
	global_load_u16 v24, v[20:21], off offset:256
.LBB1981_579:                           ;   in Loop: Header=BB1981_566 Depth=2
	s_wait_alu 0xfffe
	s_or_b32 exec_lo, exec_lo, s15
	s_delay_alu instid0(SALU_CYCLE_1)
	s_mov_b32 s15, exec_lo
	v_cmpx_gt_u32_e64 s43, v74
	s_cbranch_execz .LBB1981_581
; %bb.580:                              ;   in Loop: Header=BB1981_566 Depth=2
	global_load_u16 v23, v[20:21], off offset:320
.LBB1981_581:                           ;   in Loop: Header=BB1981_566 Depth=2
	s_wait_alu 0xfffe
	s_or_b32 exec_lo, exec_lo, s15
	s_wait_loadcnt 0x0
	v_mov_b32_e32 v22, -1
	s_mov_b32 s15, exec_lo
	v_cmpx_gt_u32_e64 s43, v75
	s_cbranch_execz .LBB1981_583
; %bb.582:                              ;   in Loop: Header=BB1981_566 Depth=2
	global_load_u16 v22, v[20:21], off offset:384
.LBB1981_583:                           ;   in Loop: Header=BB1981_566 Depth=2
	s_wait_alu 0xfffe
	s_or_b32 exec_lo, exec_lo, s15
	v_cmp_gt_u32_e64 s15, s43, v76
	s_sub_co_i32 s16, s34, s30
.LBB1981_584:                           ;   in Loop: Header=BB1981_566 Depth=2
	v_dual_mov_b32 v20, -1 :: v_dual_mov_b32 v101, s43
	s_and_saveexec_b32 s17, s15
	s_cbranch_execz .LBB1981_586
; %bb.585:                              ;   in Loop: Header=BB1981_566 Depth=2
	s_lshl_b64 s[18:19], s[30:31], 1
	s_wait_alu 0xfffe
	v_mov_b32_e32 v101, s16
	v_add_co_u32 v20, vcc_lo, v90, s18
	s_wait_alu 0xfffd
	v_add_co_ci_u32_e64 v21, null, s19, v91, vcc_lo
	global_load_u16 v20, v[20:21], off offset:448
.LBB1981_586:                           ;   in Loop: Header=BB1981_566 Depth=2
	s_wait_alu 0xfffe
	s_or_b32 exec_lo, exec_lo, s17
	s_wait_loadcnt 0x6
	v_cmp_gt_i16_e32 vcc_lo, 0, v2
	ds_store_2addr_b32 v81, v3, v3 offset1:1
	ds_store_2addr_b32 v78, v3, v3 offset1:1
	;; [unrolled: 1-line block ×4, first 2 shown]
	ds_store_b32 v43, v3 offset:1088
	s_wait_loadcnt_dscnt 0x0
	s_barrier_signal -1
	s_wait_alu 0xfffd
	v_cndmask_b32_e64 v21, 0x7fff, 0, vcc_lo
	s_barrier_wait -1
	global_inv scope:SCOPE_SE
	; wave barrier
	v_xor_b32_e32 v2, v21, v2
	s_delay_alu instid0(VALU_DEP_1) | instskip(SKIP_2) | instid1(VALU_DEP_1)
	v_cmp_ne_u16_e32 vcc_lo, 0x8000, v2
	s_wait_alu 0xfffd
	v_cndmask_b32_e32 v21, 0x7fff, v2, vcc_lo
	v_and_b32_e32 v21, 0xffff, v21
	s_delay_alu instid0(VALU_DEP_1) | instskip(NEXT) | instid1(VALU_DEP_1)
	v_lshrrev_b32_e32 v21, s45, v21
	v_and_b32_e32 v103, s42, v21
	s_delay_alu instid0(VALU_DEP_1)
	v_and_b32_e32 v21, 1, v103
	v_lshlrev_b32_e32 v102, 30, v103
	v_lshlrev_b32_e32 v104, 29, v103
	;; [unrolled: 1-line block ×4, first 2 shown]
	v_add_co_u32 v21, s15, v21, -1
	s_wait_alu 0xf1ff
	v_cndmask_b32_e64 v106, 0, 1, s15
	v_not_b32_e32 v110, v102
	v_cmp_gt_i32_e64 s15, 0, v102
	v_not_b32_e32 v102, v104
	v_lshlrev_b32_e32 v108, 26, v103
	v_cmp_ne_u32_e32 vcc_lo, 0, v106
	v_ashrrev_i32_e32 v110, 31, v110
	v_lshlrev_b32_e32 v109, 25, v103
	v_ashrrev_i32_e32 v102, 31, v102
	v_lshlrev_b32_e32 v106, 24, v103
	s_wait_alu 0xfffd
	v_xor_b32_e32 v21, vcc_lo, v21
	v_cmp_gt_i32_e32 vcc_lo, 0, v104
	v_not_b32_e32 v104, v105
	s_wait_alu 0xf1ff
	v_xor_b32_e32 v110, s15, v110
	v_cmp_gt_i32_e64 s15, 0, v105
	v_and_b32_e32 v21, exec_lo, v21
	v_not_b32_e32 v105, v107
	v_ashrrev_i32_e32 v104, 31, v104
	s_wait_alu 0xfffd
	v_xor_b32_e32 v102, vcc_lo, v102
	v_cmp_gt_i32_e32 vcc_lo, 0, v107
	v_and_b32_e32 v21, v21, v110
	v_not_b32_e32 v107, v108
	v_ashrrev_i32_e32 v105, 31, v105
	s_wait_alu 0xf1ff
	v_xor_b32_e32 v104, s15, v104
	v_cmp_gt_i32_e64 s15, 0, v108
	v_and_b32_e32 v21, v21, v102
	v_not_b32_e32 v102, v109
	v_ashrrev_i32_e32 v107, 31, v107
	s_wait_alu 0xfffd
	v_xor_b32_e32 v105, vcc_lo, v105
	v_cmp_gt_i32_e32 vcc_lo, 0, v109
	v_and_b32_e32 v21, v21, v104
	v_not_b32_e32 v104, v106
	v_ashrrev_i32_e32 v102, 31, v102
	s_wait_alu 0xf1ff
	v_xor_b32_e32 v107, s15, v107
	v_cmp_gt_i32_e64 s15, 0, v106
	v_and_b32_e32 v21, v21, v105
	v_ashrrev_i32_e32 v104, 31, v104
	s_wait_alu 0xfffd
	v_xor_b32_e32 v102, vcc_lo, v102
	v_mul_u32_u24_e32 v103, 36, v103
	v_and_b32_e32 v21, v21, v107
	s_wait_alu 0xf1ff
	v_xor_b32_e32 v104, s15, v104
	s_delay_alu instid0(VALU_DEP_2) | instskip(NEXT) | instid1(VALU_DEP_1)
	v_and_b32_e32 v21, v21, v102
	v_and_b32_e32 v21, v21, v104
	v_add_nc_u32_e32 v104, v92, v103
	s_delay_alu instid0(VALU_DEP_2) | instskip(SKIP_1) | instid1(VALU_DEP_2)
	v_mbcnt_lo_u32_b32 v102, v21, 0
	v_cmp_ne_u32_e64 s15, 0, v21
	v_cmp_eq_u32_e32 vcc_lo, 0, v102
	s_and_b32 s16, s15, vcc_lo
	s_wait_alu 0xfffe
	s_and_saveexec_b32 s15, s16
; %bb.587:                              ;   in Loop: Header=BB1981_566 Depth=2
	v_bcnt_u32_b32 v21, v21, 0
	ds_store_b32 v104, v21 offset:1056
; %bb.588:                              ;   in Loop: Header=BB1981_566 Depth=2
	s_wait_alu 0xfffe
	s_or_b32 exec_lo, exec_lo, s15
	v_cmp_gt_i16_e32 vcc_lo, 0, v27
	; wave barrier
	s_wait_alu 0xfffd
	v_cndmask_b32_e64 v21, 0x7fff, 0, vcc_lo
	s_delay_alu instid0(VALU_DEP_1) | instskip(NEXT) | instid1(VALU_DEP_1)
	v_xor_b32_e32 v103, v21, v27
	v_cmp_ne_u16_e32 vcc_lo, 0x8000, v103
	s_wait_alu 0xfffd
	v_cndmask_b32_e32 v21, 0x7fff, v103, vcc_lo
	s_delay_alu instid0(VALU_DEP_1) | instskip(NEXT) | instid1(VALU_DEP_1)
	v_and_b32_e32 v21, 0xffff, v21
	v_lshrrev_b32_e32 v21, s45, v21
	s_delay_alu instid0(VALU_DEP_1) | instskip(NEXT) | instid1(VALU_DEP_1)
	v_and_b32_e32 v27, s42, v21
	v_and_b32_e32 v21, 1, v27
	v_lshlrev_b32_e32 v105, 30, v27
	v_lshlrev_b32_e32 v106, 29, v27
	;; [unrolled: 1-line block ×4, first 2 shown]
	v_add_co_u32 v21, s15, v21, -1
	s_wait_alu 0xf1ff
	v_cndmask_b32_e64 v108, 0, 1, s15
	v_not_b32_e32 v112, v105
	v_cmp_gt_i32_e64 s15, 0, v105
	v_not_b32_e32 v105, v106
	v_lshlrev_b32_e32 v110, 26, v27
	v_cmp_ne_u32_e32 vcc_lo, 0, v108
	v_ashrrev_i32_e32 v112, 31, v112
	v_lshlrev_b32_e32 v111, 25, v27
	v_ashrrev_i32_e32 v105, 31, v105
	v_lshlrev_b32_e32 v108, 24, v27
	s_wait_alu 0xfffd
	v_xor_b32_e32 v21, vcc_lo, v21
	v_cmp_gt_i32_e32 vcc_lo, 0, v106
	v_not_b32_e32 v106, v107
	s_wait_alu 0xf1ff
	v_xor_b32_e32 v112, s15, v112
	v_cmp_gt_i32_e64 s15, 0, v107
	v_and_b32_e32 v21, exec_lo, v21
	v_not_b32_e32 v107, v109
	v_ashrrev_i32_e32 v106, 31, v106
	s_wait_alu 0xfffd
	v_xor_b32_e32 v105, vcc_lo, v105
	v_cmp_gt_i32_e32 vcc_lo, 0, v109
	v_and_b32_e32 v21, v21, v112
	v_not_b32_e32 v109, v110
	v_ashrrev_i32_e32 v107, 31, v107
	s_wait_alu 0xf1ff
	v_xor_b32_e32 v106, s15, v106
	v_cmp_gt_i32_e64 s15, 0, v110
	v_and_b32_e32 v21, v21, v105
	v_not_b32_e32 v105, v111
	v_ashrrev_i32_e32 v109, 31, v109
	s_wait_alu 0xfffd
	v_xor_b32_e32 v107, vcc_lo, v107
	v_cmp_gt_i32_e32 vcc_lo, 0, v111
	v_and_b32_e32 v21, v21, v106
	v_not_b32_e32 v106, v108
	v_ashrrev_i32_e32 v105, 31, v105
	s_wait_alu 0xf1ff
	v_xor_b32_e32 v109, s15, v109
	v_cmp_gt_i32_e64 s15, 0, v108
	v_and_b32_e32 v21, v21, v107
	v_ashrrev_i32_e32 v106, 31, v106
	s_wait_alu 0xfffd
	v_xor_b32_e32 v105, vcc_lo, v105
	v_mad_u32_u24 v107, v27, 36, v92
	v_mul_u32_u24_e32 v27, 36, v27
	v_and_b32_e32 v21, v21, v109
	s_wait_alu 0xf1ff
	v_xor_b32_e32 v106, s15, v106
	s_delay_alu instid0(VALU_DEP_3) | instskip(NEXT) | instid1(VALU_DEP_3)
	v_add_nc_u32_e32 v108, v92, v27
	v_and_b32_e32 v21, v21, v105
	ds_load_b32 v105, v107 offset:1056
	; wave barrier
	v_and_b32_e32 v21, v21, v106
	s_delay_alu instid0(VALU_DEP_1) | instskip(SKIP_1) | instid1(VALU_DEP_2)
	v_mbcnt_lo_u32_b32 v106, v21, 0
	v_cmp_ne_u32_e64 s15, 0, v21
	v_cmp_eq_u32_e32 vcc_lo, 0, v106
	s_and_b32 s16, s15, vcc_lo
	s_wait_alu 0xfffe
	s_and_saveexec_b32 s15, s16
	s_cbranch_execz .LBB1981_590
; %bb.589:                              ;   in Loop: Header=BB1981_566 Depth=2
	s_wait_dscnt 0x0
	v_bcnt_u32_b32 v21, v21, v105
	ds_store_b32 v108, v21 offset:1056
.LBB1981_590:                           ;   in Loop: Header=BB1981_566 Depth=2
	s_wait_alu 0xfffe
	s_or_b32 exec_lo, exec_lo, s15
	v_cmp_gt_i16_e32 vcc_lo, 0, v26
	; wave barrier
	s_wait_alu 0xfffd
	v_cndmask_b32_e64 v21, 0x7fff, 0, vcc_lo
	s_delay_alu instid0(VALU_DEP_1) | instskip(NEXT) | instid1(VALU_DEP_1)
	v_xor_b32_e32 v107, v21, v26
	v_cmp_ne_u16_e32 vcc_lo, 0x8000, v107
	s_wait_alu 0xfffd
	v_cndmask_b32_e32 v21, 0x7fff, v107, vcc_lo
	s_delay_alu instid0(VALU_DEP_1) | instskip(NEXT) | instid1(VALU_DEP_1)
	v_and_b32_e32 v21, 0xffff, v21
	v_lshrrev_b32_e32 v21, s45, v21
	s_delay_alu instid0(VALU_DEP_1) | instskip(NEXT) | instid1(VALU_DEP_1)
	v_and_b32_e32 v26, s42, v21
	v_and_b32_e32 v21, 1, v26
	v_lshlrev_b32_e32 v27, 30, v26
	v_lshlrev_b32_e32 v109, 29, v26
	;; [unrolled: 1-line block ×4, first 2 shown]
	v_add_co_u32 v21, s15, v21, -1
	s_wait_alu 0xf1ff
	v_cndmask_b32_e64 v111, 0, 1, s15
	v_not_b32_e32 v115, v27
	v_cmp_gt_i32_e64 s15, 0, v27
	v_not_b32_e32 v27, v109
	v_lshlrev_b32_e32 v113, 26, v26
	v_cmp_ne_u32_e32 vcc_lo, 0, v111
	v_ashrrev_i32_e32 v115, 31, v115
	v_lshlrev_b32_e32 v114, 25, v26
	v_ashrrev_i32_e32 v27, 31, v27
	v_lshlrev_b32_e32 v111, 24, v26
	s_wait_alu 0xfffd
	v_xor_b32_e32 v21, vcc_lo, v21
	v_cmp_gt_i32_e32 vcc_lo, 0, v109
	v_not_b32_e32 v109, v110
	s_wait_alu 0xf1ff
	v_xor_b32_e32 v115, s15, v115
	v_cmp_gt_i32_e64 s15, 0, v110
	v_and_b32_e32 v21, exec_lo, v21
	v_not_b32_e32 v110, v112
	v_ashrrev_i32_e32 v109, 31, v109
	s_wait_alu 0xfffd
	v_xor_b32_e32 v27, vcc_lo, v27
	v_cmp_gt_i32_e32 vcc_lo, 0, v112
	v_and_b32_e32 v21, v21, v115
	v_not_b32_e32 v112, v113
	v_ashrrev_i32_e32 v110, 31, v110
	s_wait_alu 0xf1ff
	v_xor_b32_e32 v109, s15, v109
	v_cmp_gt_i32_e64 s15, 0, v113
	v_and_b32_e32 v21, v21, v27
	v_not_b32_e32 v27, v114
	v_ashrrev_i32_e32 v112, 31, v112
	s_wait_alu 0xfffd
	v_xor_b32_e32 v110, vcc_lo, v110
	v_cmp_gt_i32_e32 vcc_lo, 0, v114
	v_and_b32_e32 v21, v21, v109
	v_not_b32_e32 v109, v111
	v_ashrrev_i32_e32 v27, 31, v27
	s_wait_alu 0xf1ff
	v_xor_b32_e32 v112, s15, v112
	v_cmp_gt_i32_e64 s15, 0, v111
	v_and_b32_e32 v21, v21, v110
	v_ashrrev_i32_e32 v109, 31, v109
	s_wait_alu 0xfffd
	v_xor_b32_e32 v27, vcc_lo, v27
	v_mad_u32_u24 v110, v26, 36, v92
	v_mul_u32_u24_e32 v26, 36, v26
	v_and_b32_e32 v21, v21, v112
	s_wait_alu 0xf1ff
	v_xor_b32_e32 v111, s15, v109
	ds_load_b32 v109, v110 offset:1056
	v_add_nc_u32_e32 v112, v92, v26
	v_and_b32_e32 v21, v21, v27
	; wave barrier
	s_delay_alu instid0(VALU_DEP_1) | instskip(NEXT) | instid1(VALU_DEP_1)
	v_and_b32_e32 v21, v21, v111
	v_mbcnt_lo_u32_b32 v111, v21, 0
	v_cmp_ne_u32_e64 s15, 0, v21
	s_delay_alu instid0(VALU_DEP_2)
	v_cmp_eq_u32_e32 vcc_lo, 0, v111
	s_and_b32 s16, s15, vcc_lo
	s_wait_alu 0xfffe
	s_and_saveexec_b32 s15, s16
	s_cbranch_execz .LBB1981_592
; %bb.591:                              ;   in Loop: Header=BB1981_566 Depth=2
	s_wait_dscnt 0x0
	v_bcnt_u32_b32 v21, v21, v109
	ds_store_b32 v112, v21 offset:1056
.LBB1981_592:                           ;   in Loop: Header=BB1981_566 Depth=2
	s_wait_alu 0xfffe
	s_or_b32 exec_lo, exec_lo, s15
	v_cmp_gt_i16_e32 vcc_lo, 0, v25
	; wave barrier
	s_wait_alu 0xfffd
	v_cndmask_b32_e64 v21, 0x7fff, 0, vcc_lo
	s_delay_alu instid0(VALU_DEP_1) | instskip(NEXT) | instid1(VALU_DEP_1)
	v_xor_b32_e32 v110, v21, v25
	v_cmp_ne_u16_e32 vcc_lo, 0x8000, v110
	s_wait_alu 0xfffd
	v_cndmask_b32_e32 v21, 0x7fff, v110, vcc_lo
	s_delay_alu instid0(VALU_DEP_1) | instskip(NEXT) | instid1(VALU_DEP_1)
	v_and_b32_e32 v21, 0xffff, v21
	v_lshrrev_b32_e32 v21, s45, v21
	s_delay_alu instid0(VALU_DEP_1) | instskip(NEXT) | instid1(VALU_DEP_1)
	v_and_b32_e32 v25, s42, v21
	v_and_b32_e32 v21, 1, v25
	v_lshlrev_b32_e32 v26, 30, v25
	v_lshlrev_b32_e32 v27, 29, v25
	;; [unrolled: 1-line block ×4, first 2 shown]
	v_add_co_u32 v21, s15, v21, -1
	s_wait_alu 0xf1ff
	v_cndmask_b32_e64 v114, 0, 1, s15
	v_not_b32_e32 v118, v26
	v_cmp_gt_i32_e64 s15, 0, v26
	v_not_b32_e32 v26, v27
	v_lshlrev_b32_e32 v116, 26, v25
	v_cmp_ne_u32_e32 vcc_lo, 0, v114
	v_ashrrev_i32_e32 v118, 31, v118
	v_lshlrev_b32_e32 v117, 25, v25
	v_ashrrev_i32_e32 v26, 31, v26
	v_lshlrev_b32_e32 v114, 24, v25
	s_wait_alu 0xfffd
	v_xor_b32_e32 v21, vcc_lo, v21
	v_cmp_gt_i32_e32 vcc_lo, 0, v27
	v_not_b32_e32 v27, v113
	s_wait_alu 0xf1ff
	v_xor_b32_e32 v118, s15, v118
	v_cmp_gt_i32_e64 s15, 0, v113
	v_and_b32_e32 v21, exec_lo, v21
	v_not_b32_e32 v113, v115
	v_ashrrev_i32_e32 v27, 31, v27
	s_wait_alu 0xfffd
	v_xor_b32_e32 v26, vcc_lo, v26
	v_cmp_gt_i32_e32 vcc_lo, 0, v115
	v_and_b32_e32 v21, v21, v118
	v_not_b32_e32 v115, v116
	v_ashrrev_i32_e32 v113, 31, v113
	s_wait_alu 0xf1ff
	v_xor_b32_e32 v27, s15, v27
	v_cmp_gt_i32_e64 s15, 0, v116
	v_and_b32_e32 v21, v21, v26
	v_not_b32_e32 v26, v117
	v_ashrrev_i32_e32 v115, 31, v115
	s_wait_alu 0xfffd
	v_xor_b32_e32 v113, vcc_lo, v113
	v_cmp_gt_i32_e32 vcc_lo, 0, v117
	v_and_b32_e32 v21, v21, v27
	v_not_b32_e32 v27, v114
	v_ashrrev_i32_e32 v26, 31, v26
	s_wait_alu 0xf1ff
	v_xor_b32_e32 v115, s15, v115
	v_cmp_gt_i32_e64 s15, 0, v114
	v_and_b32_e32 v21, v21, v113
	v_ashrrev_i32_e32 v27, 31, v27
	s_wait_alu 0xfffd
	v_xor_b32_e32 v26, vcc_lo, v26
	v_mad_u32_u24 v113, v25, 36, v92
	v_mul_u32_u24_e32 v25, 36, v25
	v_and_b32_e32 v21, v21, v115
	s_wait_alu 0xf1ff
	v_xor_b32_e32 v27, s15, v27
	ds_load_b32 v113, v113 offset:1056
	v_add_nc_u32_e32 v116, v92, v25
	v_and_b32_e32 v21, v21, v26
	; wave barrier
	s_delay_alu instid0(VALU_DEP_1) | instskip(NEXT) | instid1(VALU_DEP_1)
	v_and_b32_e32 v21, v21, v27
	v_mbcnt_lo_u32_b32 v115, v21, 0
	v_cmp_ne_u32_e64 s15, 0, v21
	s_delay_alu instid0(VALU_DEP_2)
	v_cmp_eq_u32_e32 vcc_lo, 0, v115
	s_and_b32 s16, s15, vcc_lo
	s_wait_alu 0xfffe
	s_and_saveexec_b32 s15, s16
	s_cbranch_execz .LBB1981_594
; %bb.593:                              ;   in Loop: Header=BB1981_566 Depth=2
	s_wait_dscnt 0x0
	v_bcnt_u32_b32 v21, v21, v113
	ds_store_b32 v116, v21 offset:1056
.LBB1981_594:                           ;   in Loop: Header=BB1981_566 Depth=2
	s_wait_alu 0xfffe
	s_or_b32 exec_lo, exec_lo, s15
	v_cmp_gt_i16_e32 vcc_lo, 0, v24
	; wave barrier
	s_wait_alu 0xfffd
	v_cndmask_b32_e64 v21, 0x7fff, 0, vcc_lo
	s_delay_alu instid0(VALU_DEP_1) | instskip(NEXT) | instid1(VALU_DEP_1)
	v_xor_b32_e32 v114, v21, v24
	v_cmp_ne_u16_e32 vcc_lo, 0x8000, v114
	s_wait_alu 0xfffd
	v_cndmask_b32_e32 v21, 0x7fff, v114, vcc_lo
	s_delay_alu instid0(VALU_DEP_1) | instskip(NEXT) | instid1(VALU_DEP_1)
	v_and_b32_e32 v21, 0xffff, v21
	v_lshrrev_b32_e32 v21, s45, v21
	s_delay_alu instid0(VALU_DEP_1) | instskip(NEXT) | instid1(VALU_DEP_1)
	v_and_b32_e32 v24, s42, v21
	v_and_b32_e32 v21, 1, v24
	v_lshlrev_b32_e32 v25, 30, v24
	v_lshlrev_b32_e32 v26, 29, v24
	;; [unrolled: 1-line block ×4, first 2 shown]
	v_add_co_u32 v21, s15, v21, -1
	s_wait_alu 0xf1ff
	v_cndmask_b32_e64 v117, 0, 1, s15
	v_not_b32_e32 v121, v25
	v_cmp_gt_i32_e64 s15, 0, v25
	v_not_b32_e32 v25, v26
	v_lshlrev_b32_e32 v119, 26, v24
	v_cmp_ne_u32_e32 vcc_lo, 0, v117
	v_ashrrev_i32_e32 v121, 31, v121
	v_lshlrev_b32_e32 v120, 25, v24
	v_ashrrev_i32_e32 v25, 31, v25
	v_lshlrev_b32_e32 v117, 24, v24
	s_wait_alu 0xfffd
	v_xor_b32_e32 v21, vcc_lo, v21
	v_cmp_gt_i32_e32 vcc_lo, 0, v26
	v_not_b32_e32 v26, v27
	s_wait_alu 0xf1ff
	v_xor_b32_e32 v121, s15, v121
	v_cmp_gt_i32_e64 s15, 0, v27
	v_and_b32_e32 v21, exec_lo, v21
	v_not_b32_e32 v27, v118
	v_ashrrev_i32_e32 v26, 31, v26
	s_wait_alu 0xfffd
	v_xor_b32_e32 v25, vcc_lo, v25
	v_cmp_gt_i32_e32 vcc_lo, 0, v118
	v_and_b32_e32 v21, v21, v121
	v_not_b32_e32 v118, v119
	v_ashrrev_i32_e32 v27, 31, v27
	s_wait_alu 0xf1ff
	v_xor_b32_e32 v26, s15, v26
	v_cmp_gt_i32_e64 s15, 0, v119
	v_and_b32_e32 v21, v21, v25
	v_not_b32_e32 v25, v120
	v_ashrrev_i32_e32 v118, 31, v118
	s_wait_alu 0xfffd
	v_xor_b32_e32 v27, vcc_lo, v27
	v_cmp_gt_i32_e32 vcc_lo, 0, v120
	v_and_b32_e32 v21, v21, v26
	v_not_b32_e32 v26, v117
	v_ashrrev_i32_e32 v25, 31, v25
	s_wait_alu 0xf1ff
	v_xor_b32_e32 v118, s15, v118
	v_cmp_gt_i32_e64 s15, 0, v117
	v_and_b32_e32 v21, v21, v27
	v_ashrrev_i32_e32 v26, 31, v26
	s_wait_alu 0xfffd
	v_xor_b32_e32 v25, vcc_lo, v25
	v_mad_u32_u24 v27, v24, 36, v92
	v_mul_u32_u24_e32 v24, 36, v24
	v_and_b32_e32 v21, v21, v118
	s_wait_alu 0xf1ff
	v_xor_b32_e32 v26, s15, v26
	ds_load_b32 v117, v27 offset:1056
	v_add_nc_u32_e32 v120, v92, v24
	v_and_b32_e32 v21, v21, v25
	; wave barrier
	s_delay_alu instid0(VALU_DEP_1) | instskip(NEXT) | instid1(VALU_DEP_1)
	v_and_b32_e32 v21, v21, v26
	v_mbcnt_lo_u32_b32 v119, v21, 0
	v_cmp_ne_u32_e64 s15, 0, v21
	s_delay_alu instid0(VALU_DEP_2)
	v_cmp_eq_u32_e32 vcc_lo, 0, v119
	s_and_b32 s16, s15, vcc_lo
	s_wait_alu 0xfffe
	s_and_saveexec_b32 s15, s16
	s_cbranch_execz .LBB1981_596
; %bb.595:                              ;   in Loop: Header=BB1981_566 Depth=2
	s_wait_dscnt 0x0
	v_bcnt_u32_b32 v21, v21, v117
	ds_store_b32 v120, v21 offset:1056
.LBB1981_596:                           ;   in Loop: Header=BB1981_566 Depth=2
	s_wait_alu 0xfffe
	s_or_b32 exec_lo, exec_lo, s15
	v_cmp_gt_i16_e32 vcc_lo, 0, v23
	; wave barrier
	s_wait_alu 0xfffd
	v_cndmask_b32_e64 v21, 0x7fff, 0, vcc_lo
	s_delay_alu instid0(VALU_DEP_1) | instskip(NEXT) | instid1(VALU_DEP_1)
	v_xor_b32_e32 v118, v21, v23
	v_cmp_ne_u16_e32 vcc_lo, 0x8000, v118
	s_wait_alu 0xfffd
	v_cndmask_b32_e32 v21, 0x7fff, v118, vcc_lo
	s_delay_alu instid0(VALU_DEP_1) | instskip(NEXT) | instid1(VALU_DEP_1)
	v_and_b32_e32 v21, 0xffff, v21
	v_lshrrev_b32_e32 v21, s45, v21
	s_delay_alu instid0(VALU_DEP_1) | instskip(NEXT) | instid1(VALU_DEP_1)
	v_and_b32_e32 v23, s42, v21
	v_and_b32_e32 v21, 1, v23
	v_lshlrev_b32_e32 v24, 30, v23
	v_lshlrev_b32_e32 v25, 29, v23
	;; [unrolled: 1-line block ×4, first 2 shown]
	v_add_co_u32 v21, s15, v21, -1
	s_wait_alu 0xf1ff
	v_cndmask_b32_e64 v27, 0, 1, s15
	v_not_b32_e32 v124, v24
	v_cmp_gt_i32_e64 s15, 0, v24
	v_not_b32_e32 v24, v25
	v_lshlrev_b32_e32 v122, 26, v23
	v_cmp_ne_u32_e32 vcc_lo, 0, v27
	v_ashrrev_i32_e32 v124, 31, v124
	v_lshlrev_b32_e32 v123, 25, v23
	v_ashrrev_i32_e32 v24, 31, v24
	v_lshlrev_b32_e32 v27, 24, v23
	s_wait_alu 0xfffd
	v_xor_b32_e32 v21, vcc_lo, v21
	v_cmp_gt_i32_e32 vcc_lo, 0, v25
	v_not_b32_e32 v25, v26
	s_wait_alu 0xf1ff
	v_xor_b32_e32 v124, s15, v124
	v_cmp_gt_i32_e64 s15, 0, v26
	v_and_b32_e32 v21, exec_lo, v21
	v_not_b32_e32 v26, v121
	v_ashrrev_i32_e32 v25, 31, v25
	s_wait_alu 0xfffd
	v_xor_b32_e32 v24, vcc_lo, v24
	v_cmp_gt_i32_e32 vcc_lo, 0, v121
	v_and_b32_e32 v21, v21, v124
	v_not_b32_e32 v121, v122
	v_ashrrev_i32_e32 v26, 31, v26
	s_wait_alu 0xf1ff
	v_xor_b32_e32 v25, s15, v25
	v_cmp_gt_i32_e64 s15, 0, v122
	v_and_b32_e32 v21, v21, v24
	v_not_b32_e32 v24, v123
	v_ashrrev_i32_e32 v121, 31, v121
	s_wait_alu 0xfffd
	v_xor_b32_e32 v26, vcc_lo, v26
	v_cmp_gt_i32_e32 vcc_lo, 0, v123
	v_and_b32_e32 v21, v21, v25
	v_not_b32_e32 v25, v27
	v_ashrrev_i32_e32 v24, 31, v24
	s_wait_alu 0xf1ff
	v_xor_b32_e32 v121, s15, v121
	v_cmp_gt_i32_e64 s15, 0, v27
	v_and_b32_e32 v21, v21, v26
	v_ashrrev_i32_e32 v25, 31, v25
	s_wait_alu 0xfffd
	v_xor_b32_e32 v24, vcc_lo, v24
	v_mad_u32_u24 v26, v23, 36, v92
	v_mul_u32_u24_e32 v23, 36, v23
	v_and_b32_e32 v21, v21, v121
	s_wait_alu 0xf1ff
	v_xor_b32_e32 v25, s15, v25
	ds_load_b32 v121, v26 offset:1056
	v_add_nc_u32_e32 v124, v92, v23
	v_and_b32_e32 v21, v21, v24
	; wave barrier
	s_delay_alu instid0(VALU_DEP_1) | instskip(NEXT) | instid1(VALU_DEP_1)
	v_and_b32_e32 v21, v21, v25
	v_mbcnt_lo_u32_b32 v123, v21, 0
	v_cmp_ne_u32_e64 s15, 0, v21
	s_delay_alu instid0(VALU_DEP_2)
	v_cmp_eq_u32_e32 vcc_lo, 0, v123
	s_and_b32 s16, s15, vcc_lo
	s_wait_alu 0xfffe
	s_and_saveexec_b32 s15, s16
	s_cbranch_execz .LBB1981_598
; %bb.597:                              ;   in Loop: Header=BB1981_566 Depth=2
	s_wait_dscnt 0x0
	v_bcnt_u32_b32 v21, v21, v121
	ds_store_b32 v124, v21 offset:1056
.LBB1981_598:                           ;   in Loop: Header=BB1981_566 Depth=2
	s_wait_alu 0xfffe
	s_or_b32 exec_lo, exec_lo, s15
	v_cmp_gt_i16_e32 vcc_lo, 0, v22
	; wave barrier
	s_wait_alu 0xfffd
	v_cndmask_b32_e64 v21, 0x7fff, 0, vcc_lo
	s_delay_alu instid0(VALU_DEP_1) | instskip(NEXT) | instid1(VALU_DEP_1)
	v_xor_b32_e32 v122, v21, v22
	v_cmp_ne_u16_e32 vcc_lo, 0x8000, v122
	s_wait_alu 0xfffd
	v_cndmask_b32_e32 v21, 0x7fff, v122, vcc_lo
	s_delay_alu instid0(VALU_DEP_1) | instskip(NEXT) | instid1(VALU_DEP_1)
	v_and_b32_e32 v21, 0xffff, v21
	v_lshrrev_b32_e32 v21, s45, v21
	s_delay_alu instid0(VALU_DEP_1) | instskip(NEXT) | instid1(VALU_DEP_1)
	v_and_b32_e32 v22, s42, v21
	v_and_b32_e32 v21, 1, v22
	v_lshlrev_b32_e32 v23, 30, v22
	v_lshlrev_b32_e32 v24, 29, v22
	v_lshlrev_b32_e32 v25, 28, v22
	v_lshlrev_b32_e32 v27, 27, v22
	v_add_co_u32 v21, s15, v21, -1
	s_wait_alu 0xf1ff
	v_cndmask_b32_e64 v26, 0, 1, s15
	v_not_b32_e32 v127, v23
	v_cmp_gt_i32_e64 s15, 0, v23
	v_not_b32_e32 v23, v24
	v_lshlrev_b32_e32 v125, 26, v22
	v_cmp_ne_u32_e32 vcc_lo, 0, v26
	v_ashrrev_i32_e32 v127, 31, v127
	v_lshlrev_b32_e32 v126, 25, v22
	v_ashrrev_i32_e32 v23, 31, v23
	v_lshlrev_b32_e32 v26, 24, v22
	s_wait_alu 0xfffd
	v_xor_b32_e32 v21, vcc_lo, v21
	v_cmp_gt_i32_e32 vcc_lo, 0, v24
	v_not_b32_e32 v24, v25
	s_wait_alu 0xf1ff
	v_xor_b32_e32 v127, s15, v127
	v_cmp_gt_i32_e64 s15, 0, v25
	v_and_b32_e32 v21, exec_lo, v21
	v_not_b32_e32 v25, v27
	v_ashrrev_i32_e32 v24, 31, v24
	s_wait_alu 0xfffd
	v_xor_b32_e32 v23, vcc_lo, v23
	v_cmp_gt_i32_e32 vcc_lo, 0, v27
	v_and_b32_e32 v21, v21, v127
	v_not_b32_e32 v27, v125
	v_ashrrev_i32_e32 v25, 31, v25
	s_wait_alu 0xf1ff
	v_xor_b32_e32 v24, s15, v24
	v_cmp_gt_i32_e64 s15, 0, v125
	v_and_b32_e32 v21, v21, v23
	v_not_b32_e32 v23, v126
	v_ashrrev_i32_e32 v27, 31, v27
	s_wait_alu 0xfffd
	v_xor_b32_e32 v25, vcc_lo, v25
	v_cmp_gt_i32_e32 vcc_lo, 0, v126
	v_and_b32_e32 v21, v21, v24
	v_not_b32_e32 v24, v26
	v_ashrrev_i32_e32 v23, 31, v23
	s_wait_alu 0xf1ff
	v_xor_b32_e32 v27, s15, v27
	v_cmp_gt_i32_e64 s15, 0, v26
	v_and_b32_e32 v21, v21, v25
	v_ashrrev_i32_e32 v24, 31, v24
	s_wait_alu 0xfffd
	v_xor_b32_e32 v23, vcc_lo, v23
	v_mad_u32_u24 v25, v22, 36, v92
	v_mul_u32_u24_e32 v22, 36, v22
	v_and_b32_e32 v21, v21, v27
	s_wait_alu 0xf1ff
	v_xor_b32_e32 v24, s15, v24
	ds_load_b32 v125, v25 offset:1056
	v_add_nc_u32_e32 v128, v92, v22
	v_and_b32_e32 v21, v21, v23
	; wave barrier
	s_delay_alu instid0(VALU_DEP_1) | instskip(NEXT) | instid1(VALU_DEP_1)
	v_and_b32_e32 v21, v21, v24
	v_mbcnt_lo_u32_b32 v126, v21, 0
	v_cmp_ne_u32_e64 s15, 0, v21
	s_delay_alu instid0(VALU_DEP_2)
	v_cmp_eq_u32_e32 vcc_lo, 0, v126
	s_and_b32 s16, s15, vcc_lo
	s_wait_alu 0xfffe
	s_and_saveexec_b32 s15, s16
	s_cbranch_execz .LBB1981_600
; %bb.599:                              ;   in Loop: Header=BB1981_566 Depth=2
	s_wait_dscnt 0x0
	v_bcnt_u32_b32 v21, v21, v125
	ds_store_b32 v128, v21 offset:1056
.LBB1981_600:                           ;   in Loop: Header=BB1981_566 Depth=2
	s_wait_alu 0xfffe
	s_or_b32 exec_lo, exec_lo, s15
	v_cmp_gt_i16_e32 vcc_lo, 0, v20
	; wave barrier
	s_wait_alu 0xfffd
	v_cndmask_b32_e64 v21, 0x7fff, 0, vcc_lo
	s_delay_alu instid0(VALU_DEP_1) | instskip(NEXT) | instid1(VALU_DEP_1)
	v_xor_b32_e32 v127, v21, v20
	v_cmp_ne_u16_e32 vcc_lo, 0x8000, v127
	s_wait_alu 0xfffd
	v_cndmask_b32_e32 v20, 0x7fff, v127, vcc_lo
	s_delay_alu instid0(VALU_DEP_1) | instskip(NEXT) | instid1(VALU_DEP_1)
	v_and_b32_e32 v20, 0xffff, v20
	v_lshrrev_b32_e32 v20, s45, v20
	s_delay_alu instid0(VALU_DEP_1) | instskip(NEXT) | instid1(VALU_DEP_1)
	v_and_b32_e32 v21, s42, v20
	v_and_b32_e32 v20, 1, v21
	v_lshlrev_b32_e32 v22, 30, v21
	v_lshlrev_b32_e32 v23, 29, v21
	;; [unrolled: 1-line block ×4, first 2 shown]
	v_add_co_u32 v20, s15, v20, -1
	s_wait_alu 0xf1ff
	v_cndmask_b32_e64 v25, 0, 1, s15
	v_not_b32_e32 v130, v22
	v_cmp_gt_i32_e64 s15, 0, v22
	v_not_b32_e32 v22, v23
	v_lshlrev_b32_e32 v27, 26, v21
	v_cmp_ne_u32_e32 vcc_lo, 0, v25
	v_ashrrev_i32_e32 v130, 31, v130
	v_lshlrev_b32_e32 v129, 25, v21
	v_ashrrev_i32_e32 v22, 31, v22
	v_lshlrev_b32_e32 v25, 24, v21
	s_wait_alu 0xfffd
	v_xor_b32_e32 v20, vcc_lo, v20
	v_cmp_gt_i32_e32 vcc_lo, 0, v23
	v_not_b32_e32 v23, v24
	s_wait_alu 0xf1ff
	v_xor_b32_e32 v130, s15, v130
	v_cmp_gt_i32_e64 s15, 0, v24
	v_and_b32_e32 v20, exec_lo, v20
	v_not_b32_e32 v24, v26
	v_ashrrev_i32_e32 v23, 31, v23
	s_wait_alu 0xfffd
	v_xor_b32_e32 v22, vcc_lo, v22
	v_cmp_gt_i32_e32 vcc_lo, 0, v26
	v_and_b32_e32 v20, v20, v130
	v_not_b32_e32 v26, v27
	v_ashrrev_i32_e32 v24, 31, v24
	s_wait_alu 0xf1ff
	v_xor_b32_e32 v23, s15, v23
	v_cmp_gt_i32_e64 s15, 0, v27
	v_and_b32_e32 v20, v20, v22
	v_not_b32_e32 v22, v129
	v_ashrrev_i32_e32 v26, 31, v26
	s_wait_alu 0xfffd
	v_xor_b32_e32 v24, vcc_lo, v24
	v_cmp_gt_i32_e32 vcc_lo, 0, v129
	v_and_b32_e32 v20, v20, v23
	v_not_b32_e32 v23, v25
	v_ashrrev_i32_e32 v22, 31, v22
	s_wait_alu 0xf1ff
	v_xor_b32_e32 v26, s15, v26
	v_cmp_gt_i32_e64 s15, 0, v25
	v_and_b32_e32 v20, v20, v24
	v_ashrrev_i32_e32 v23, 31, v23
	s_wait_alu 0xfffd
	v_xor_b32_e32 v22, vcc_lo, v22
	v_mad_u32_u24 v24, v21, 36, v92
	v_mul_u32_u24_e32 v21, 36, v21
	v_and_b32_e32 v20, v20, v26
	s_wait_alu 0xf1ff
	v_xor_b32_e32 v23, s15, v23
	ds_load_b32 v129, v24 offset:1056
	v_add_nc_u32_e32 v131, v92, v21
	v_and_b32_e32 v20, v20, v22
	; wave barrier
	s_delay_alu instid0(VALU_DEP_1) | instskip(NEXT) | instid1(VALU_DEP_1)
	v_and_b32_e32 v20, v20, v23
	v_mbcnt_lo_u32_b32 v130, v20, 0
	v_cmp_ne_u32_e64 s15, 0, v20
	s_delay_alu instid0(VALU_DEP_2)
	v_cmp_eq_u32_e32 vcc_lo, 0, v130
	s_and_b32 s16, s15, vcc_lo
	s_wait_alu 0xfffe
	s_and_saveexec_b32 s15, s16
	s_cbranch_execz .LBB1981_602
; %bb.601:                              ;   in Loop: Header=BB1981_566 Depth=2
	s_wait_dscnt 0x0
	v_bcnt_u32_b32 v20, v20, v129
	ds_store_b32 v131, v20 offset:1056
.LBB1981_602:                           ;   in Loop: Header=BB1981_566 Depth=2
	s_wait_alu 0xfffe
	s_or_b32 exec_lo, exec_lo, s15
	; wave barrier
	s_wait_loadcnt_dscnt 0x0
	s_barrier_signal -1
	s_barrier_wait -1
	global_inv scope:SCOPE_SE
	ds_load_2addr_b32 v[26:27], v78 offset1:1
	ds_load_2addr_b32 v[24:25], v79 offset1:1
	;; [unrolled: 1-line block ×4, first 2 shown]
	ds_load_b32 v132, v43 offset:1088
	s_wait_dscnt 0x3
	v_add3_u32 v133, v27, v26, v24
	s_wait_dscnt 0x2
	s_delay_alu instid0(VALU_DEP_1) | instskip(SKIP_1) | instid1(VALU_DEP_1)
	v_add3_u32 v133, v133, v25, v22
	s_wait_dscnt 0x1
	v_add3_u32 v133, v133, v23, v20
	s_wait_dscnt 0x0
	s_delay_alu instid0(VALU_DEP_1) | instskip(NEXT) | instid1(VALU_DEP_1)
	v_add3_u32 v132, v133, v21, v132
	v_mov_b32_dpp v133, v132 row_shr:1 row_mask:0xf bank_mask:0xf
	s_delay_alu instid0(VALU_DEP_1) | instskip(NEXT) | instid1(VALU_DEP_1)
	v_cndmask_b32_e64 v133, v133, 0, s0
	v_add_nc_u32_e32 v132, v133, v132
	s_delay_alu instid0(VALU_DEP_1) | instskip(NEXT) | instid1(VALU_DEP_1)
	v_mov_b32_dpp v133, v132 row_shr:2 row_mask:0xf bank_mask:0xf
	v_cndmask_b32_e64 v133, 0, v133, s1
	s_delay_alu instid0(VALU_DEP_1) | instskip(NEXT) | instid1(VALU_DEP_1)
	v_add_nc_u32_e32 v132, v132, v133
	v_mov_b32_dpp v133, v132 row_shr:4 row_mask:0xf bank_mask:0xf
	s_delay_alu instid0(VALU_DEP_1) | instskip(NEXT) | instid1(VALU_DEP_1)
	v_cndmask_b32_e64 v133, 0, v133, s9
	v_add_nc_u32_e32 v132, v132, v133
	s_delay_alu instid0(VALU_DEP_1) | instskip(NEXT) | instid1(VALU_DEP_1)
	v_mov_b32_dpp v133, v132 row_shr:8 row_mask:0xf bank_mask:0xf
	v_cndmask_b32_e64 v133, 0, v133, s10
	s_delay_alu instid0(VALU_DEP_1) | instskip(SKIP_3) | instid1(VALU_DEP_1)
	v_add_nc_u32_e32 v132, v132, v133
	ds_swizzle_b32 v133, v132 offset:swizzle(BROADCAST,32,15)
	s_wait_dscnt 0x0
	v_cndmask_b32_e64 v133, v133, 0, s11
	v_add_nc_u32_e32 v132, v132, v133
	s_and_saveexec_b32 s15, s3
; %bb.603:                              ;   in Loop: Header=BB1981_566 Depth=2
	ds_store_b32 v38, v132 offset:1024
; %bb.604:                              ;   in Loop: Header=BB1981_566 Depth=2
	s_wait_alu 0xfffe
	s_or_b32 exec_lo, exec_lo, s15
	s_wait_loadcnt_dscnt 0x0
	s_barrier_signal -1
	s_barrier_wait -1
	global_inv scope:SCOPE_SE
	s_and_saveexec_b32 s15, s4
	s_cbranch_execz .LBB1981_606
; %bb.605:                              ;   in Loop: Header=BB1981_566 Depth=2
	ds_load_b32 v133, v46 offset:1024
	s_wait_dscnt 0x0
	v_mov_b32_dpp v134, v133 row_shr:1 row_mask:0xf bank_mask:0xf
	s_delay_alu instid0(VALU_DEP_1) | instskip(NEXT) | instid1(VALU_DEP_1)
	v_cndmask_b32_e64 v134, v134, 0, s12
	v_add_nc_u32_e32 v133, v134, v133
	s_delay_alu instid0(VALU_DEP_1) | instskip(NEXT) | instid1(VALU_DEP_1)
	v_mov_b32_dpp v134, v133 row_shr:2 row_mask:0xf bank_mask:0xf
	v_cndmask_b32_e64 v134, 0, v134, s13
	s_delay_alu instid0(VALU_DEP_1) | instskip(NEXT) | instid1(VALU_DEP_1)
	v_add_nc_u32_e32 v133, v133, v134
	v_mov_b32_dpp v134, v133 row_shr:4 row_mask:0xf bank_mask:0xf
	s_delay_alu instid0(VALU_DEP_1) | instskip(NEXT) | instid1(VALU_DEP_1)
	v_cndmask_b32_e64 v134, 0, v134, s14
	v_add_nc_u32_e32 v133, v133, v134
	ds_store_b32 v46, v133 offset:1024
.LBB1981_606:                           ;   in Loop: Header=BB1981_566 Depth=2
	s_wait_alu 0xfffe
	s_or_b32 exec_lo, exec_lo, s15
	v_mov_b32_e32 v133, 0
	s_wait_loadcnt_dscnt 0x0
	s_barrier_signal -1
	s_barrier_wait -1
	global_inv scope:SCOPE_SE
	s_and_saveexec_b32 s15, s5
; %bb.607:                              ;   in Loop: Header=BB1981_566 Depth=2
	ds_load_b32 v133, v38 offset:1020
; %bb.608:                              ;   in Loop: Header=BB1981_566 Depth=2
	s_wait_alu 0xfffe
	s_or_b32 exec_lo, exec_lo, s15
	s_wait_dscnt 0x0
	v_add_nc_u32_e32 v132, v133, v132
	ds_bpermute_b32 v132, v87, v132
	s_wait_dscnt 0x0
	v_cndmask_b32_e64 v132, v132, v133, s8
	s_delay_alu instid0(VALU_DEP_1) | instskip(NEXT) | instid1(VALU_DEP_1)
	v_cndmask_b32_e64 v132, v132, 0, s6
	v_add_nc_u32_e32 v26, v132, v26
	s_delay_alu instid0(VALU_DEP_1) | instskip(NEXT) | instid1(VALU_DEP_1)
	v_add_nc_u32_e32 v27, v26, v27
	v_add_nc_u32_e32 v24, v27, v24
	s_delay_alu instid0(VALU_DEP_1) | instskip(NEXT) | instid1(VALU_DEP_1)
	v_add_nc_u32_e32 v25, v24, v25
	;; [unrolled: 3-line block ×3, first 2 shown]
	v_add_nc_u32_e32 v20, v23, v20
	s_delay_alu instid0(VALU_DEP_1)
	v_add_nc_u32_e32 v21, v20, v21
	ds_store_2addr_b32 v81, v23, v20 offset1:1
	ds_store_2addr_b32 v78, v132, v26 offset1:1
	;; [unrolled: 1-line block ×4, first 2 shown]
	ds_store_b32 v43, v21 offset:1088
	s_wait_loadcnt_dscnt 0x0
	s_barrier_signal -1
	s_barrier_wait -1
	global_inv scope:SCOPE_SE
	ds_load_b32 v23, v104 offset:1056
	ds_load_b32 v24, v108 offset:1056
	;; [unrolled: 1-line block ×9, first 2 shown]
	v_mov_b32_e32 v22, 0x800
	s_and_saveexec_b32 s15, s7
; %bb.609:                              ;   in Loop: Header=BB1981_566 Depth=2
	ds_load_b32 v22, v43 offset:1092
; %bb.610:                              ;   in Loop: Header=BB1981_566 Depth=2
	s_wait_alu 0xfffe
	s_or_b32 exec_lo, exec_lo, s15
	s_wait_loadcnt_dscnt 0x0
	s_barrier_signal -1
	s_barrier_wait -1
	global_inv scope:SCOPE_SE
	s_and_saveexec_b32 s15, s2
	s_cbranch_execz .LBB1981_612
; %bb.611:                              ;   in Loop: Header=BB1981_566 Depth=2
	ds_load_b32 v108, v28
	s_wait_dscnt 0x0
	v_sub_nc_u32_e32 v104, v108, v104
	ds_store_b32 v28, v104
.LBB1981_612:                           ;   in Loop: Header=BB1981_566 Depth=2
	s_wait_alu 0xfffe
	s_or_b32 exec_lo, exec_lo, s15
	v_add_nc_u32_e32 v108, v23, v102
	v_add3_u32 v104, v106, v105, v24
	v_add3_u32 v102, v111, v109, v25
	;; [unrolled: 1-line block ×4, first 2 shown]
	v_lshlrev_b32_e32 v105, 1, v108
	v_lshlrev_b32_e32 v106, 1, v104
	v_add3_u32 v23, v123, v121, v112
	v_lshlrev_b32_e32 v109, 1, v102
	v_add3_u32 v27, v126, v125, v20
	v_add3_u32 v26, v130, v129, v21
	ds_store_b16 v105, v2 offset:1024
	ds_store_b16 v106, v103 offset:1024
	;; [unrolled: 1-line block ×3, first 2 shown]
	v_lshlrev_b32_e32 v2, 1, v25
	v_cmp_lt_u32_e32 vcc_lo, v1, v101
	v_lshlrev_b32_e32 v20, 1, v24
	v_lshlrev_b32_e32 v21, 1, v23
	;; [unrolled: 1-line block ×4, first 2 shown]
	ds_store_b16 v2, v110 offset:1024
	ds_store_b16 v20, v114 offset:1024
	;; [unrolled: 1-line block ×5, first 2 shown]
	s_wait_loadcnt_dscnt 0x0
	s_barrier_signal -1
	s_barrier_wait -1
	global_inv scope:SCOPE_SE
	s_and_saveexec_b32 s16, vcc_lo
	s_cbranch_execnz .LBB1981_649
; %bb.613:                              ;   in Loop: Header=BB1981_566 Depth=2
	s_wait_alu 0xfffe
	s_or_b32 exec_lo, exec_lo, s16
	v_cmp_lt_u32_e64 s15, v29, v101
	s_and_saveexec_b32 s17, s15
	s_cbranch_execnz .LBB1981_650
.LBB1981_614:                           ;   in Loop: Header=BB1981_566 Depth=2
	s_wait_alu 0xfffe
	s_or_b32 exec_lo, exec_lo, s17
	v_cmp_lt_u32_e64 s16, v30, v101
	s_and_saveexec_b32 s18, s16
	s_cbranch_execnz .LBB1981_651
.LBB1981_615:                           ;   in Loop: Header=BB1981_566 Depth=2
	s_wait_alu 0xfffe
	s_or_b32 exec_lo, exec_lo, s18
	v_cmp_lt_u32_e64 s17, v31, v101
	s_and_saveexec_b32 s19, s17
	s_cbranch_execnz .LBB1981_652
.LBB1981_616:                           ;   in Loop: Header=BB1981_566 Depth=2
	s_wait_alu 0xfffe
	s_or_b32 exec_lo, exec_lo, s19
	v_cmp_lt_u32_e64 s18, v34, v101
	s_and_saveexec_b32 s20, s18
	s_cbranch_execnz .LBB1981_653
.LBB1981_617:                           ;   in Loop: Header=BB1981_566 Depth=2
	s_wait_alu 0xfffe
	s_or_b32 exec_lo, exec_lo, s20
	v_cmp_lt_u32_e64 s19, v35, v101
	s_and_saveexec_b32 s21, s19
	s_cbranch_execnz .LBB1981_654
.LBB1981_618:                           ;   in Loop: Header=BB1981_566 Depth=2
	s_wait_alu 0xfffe
	s_or_b32 exec_lo, exec_lo, s21
	v_cmp_lt_u32_e64 s20, v36, v101
	s_and_saveexec_b32 s22, s20
	s_cbranch_execnz .LBB1981_655
.LBB1981_619:                           ;   in Loop: Header=BB1981_566 Depth=2
	s_wait_alu 0xfffe
	s_or_b32 exec_lo, exec_lo, s22
	v_cmp_lt_u32_e64 s21, v37, v101
	s_and_saveexec_b32 s48, s21
	s_cbranch_execz .LBB1981_621
.LBB1981_620:                           ;   in Loop: Header=BB1981_566 Depth=2
	ds_load_u16 v103, v47 offset:4608
	s_wait_dscnt 0x0
	v_cmp_ne_u16_e64 s22, 0x8000, v103
	s_wait_alu 0xf1ff
	s_delay_alu instid0(VALU_DEP_1) | instskip(SKIP_1) | instid1(VALU_DEP_2)
	v_cndmask_b32_e64 v2, 0x7fff, v103, s22
	v_cmp_gt_i16_e64 s22, 0, v103
	v_and_b32_e32 v2, 0xffff, v2
	s_wait_alu 0xf1ff
	s_delay_alu instid0(VALU_DEP_2) | instskip(NEXT) | instid1(VALU_DEP_2)
	v_cndmask_b32_e64 v105, 0x7fff, 0, s22
	v_lshrrev_b32_e32 v2, s45, v2
	s_delay_alu instid0(VALU_DEP_1) | instskip(NEXT) | instid1(VALU_DEP_1)
	v_and_b32_e32 v2, s42, v2
	v_lshlrev_b32_e32 v2, 2, v2
	ds_load_b32 v2, v2
	s_wait_dscnt 0x0
	v_add_nc_u32_e32 v2, v2, v37
	s_delay_alu instid0(VALU_DEP_1) | instskip(SKIP_1) | instid1(VALU_DEP_2)
	v_lshlrev_b64_e32 v[20:21], 1, v[2:3]
	v_xor_b32_e32 v2, v105, v103
	v_add_co_u32 v20, s22, s40, v20
	s_wait_alu 0xf1ff
	s_delay_alu instid0(VALU_DEP_3)
	v_add_co_ci_u32_e64 v21, null, s41, v21, s22
	global_store_b16 v[20:21], v2, off
.LBB1981_621:                           ;   in Loop: Header=BB1981_566 Depth=2
	s_wait_alu 0xfffe
	s_or_b32 exec_lo, exec_lo, s48
	s_lshl_b64 s[48:49], s[30:31], 3
	s_wait_alu 0xfffe
	v_add_co_u32 v20, s22, v88, s48
	s_wait_alu 0xf1ff
	v_add_co_ci_u32_e64 v21, null, s49, v89, s22
	v_cmp_lt_u32_e64 s22, v66, v101
	s_and_saveexec_b32 s30, s22
	s_wait_alu 0xfffe
	s_xor_b32 s22, exec_lo, s30
	s_cbranch_execnz .LBB1981_656
; %bb.622:                              ;   in Loop: Header=BB1981_566 Depth=2
	s_wait_alu 0xfffe
	s_or_b32 exec_lo, exec_lo, s22
	s_delay_alu instid0(SALU_CYCLE_1)
	s_mov_b32 s30, exec_lo
	v_cmpx_lt_u32_e64 v70, v101
	s_cbranch_execnz .LBB1981_657
.LBB1981_623:                           ;   in Loop: Header=BB1981_566 Depth=2
	s_wait_alu 0xfffe
	s_or_b32 exec_lo, exec_lo, s30
	s_delay_alu instid0(SALU_CYCLE_1)
	s_mov_b32 s30, exec_lo
	v_cmpx_lt_u32_e64 v71, v101
	s_cbranch_execnz .LBB1981_658
.LBB1981_624:                           ;   in Loop: Header=BB1981_566 Depth=2
	s_wait_alu 0xfffe
	s_or_b32 exec_lo, exec_lo, s30
	s_delay_alu instid0(SALU_CYCLE_1)
	s_mov_b32 s30, exec_lo
	v_cmpx_lt_u32_e64 v72, v101
	s_cbranch_execnz .LBB1981_659
.LBB1981_625:                           ;   in Loop: Header=BB1981_566 Depth=2
	s_wait_alu 0xfffe
	s_or_b32 exec_lo, exec_lo, s30
	s_delay_alu instid0(SALU_CYCLE_1)
	s_mov_b32 s30, exec_lo
	v_cmpx_lt_u32_e64 v73, v101
	s_cbranch_execnz .LBB1981_660
.LBB1981_626:                           ;   in Loop: Header=BB1981_566 Depth=2
	s_wait_alu 0xfffe
	s_or_b32 exec_lo, exec_lo, s30
	s_delay_alu instid0(SALU_CYCLE_1)
	s_mov_b32 s30, exec_lo
	v_cmpx_lt_u32_e64 v74, v101
	s_cbranch_execnz .LBB1981_661
.LBB1981_627:                           ;   in Loop: Header=BB1981_566 Depth=2
	s_wait_alu 0xfffe
	s_or_b32 exec_lo, exec_lo, s30
	s_delay_alu instid0(SALU_CYCLE_1)
	s_mov_b32 s30, exec_lo
	v_cmpx_lt_u32_e64 v75, v101
	s_cbranch_execnz .LBB1981_662
.LBB1981_628:                           ;   in Loop: Header=BB1981_566 Depth=2
	s_wait_alu 0xfffe
	s_or_b32 exec_lo, exec_lo, s30
	s_delay_alu instid0(SALU_CYCLE_1)
	s_mov_b32 s30, exec_lo
	v_cmpx_lt_u32_e64 v76, v101
	s_cbranch_execnz .LBB1981_663
.LBB1981_629:                           ;   in Loop: Header=BB1981_566 Depth=2
	s_wait_alu 0xfffe
	s_or_b32 exec_lo, exec_lo, s30
	s_and_saveexec_b32 s30, vcc_lo
	s_cbranch_execnz .LBB1981_664
.LBB1981_630:                           ;   in Loop: Header=BB1981_566 Depth=2
	s_wait_alu 0xfffe
	s_or_b32 exec_lo, exec_lo, s30
	s_and_saveexec_b32 s30, s15
	s_cbranch_execnz .LBB1981_665
.LBB1981_631:                           ;   in Loop: Header=BB1981_566 Depth=2
	s_wait_alu 0xfffe
	s_or_b32 exec_lo, exec_lo, s30
	s_and_saveexec_b32 s30, s16
	s_cbranch_execnz .LBB1981_666
.LBB1981_632:                           ;   in Loop: Header=BB1981_566 Depth=2
	s_wait_alu 0xfffe
	s_or_b32 exec_lo, exec_lo, s30
	s_and_saveexec_b32 s30, s17
	s_cbranch_execnz .LBB1981_667
.LBB1981_633:                           ;   in Loop: Header=BB1981_566 Depth=2
	s_wait_alu 0xfffe
	s_or_b32 exec_lo, exec_lo, s30
	s_and_saveexec_b32 s30, s18
	s_cbranch_execnz .LBB1981_668
.LBB1981_634:                           ;   in Loop: Header=BB1981_566 Depth=2
	s_wait_alu 0xfffe
	s_or_b32 exec_lo, exec_lo, s30
	s_and_saveexec_b32 s30, s19
	s_cbranch_execnz .LBB1981_669
.LBB1981_635:                           ;   in Loop: Header=BB1981_566 Depth=2
	s_wait_alu 0xfffe
	s_or_b32 exec_lo, exec_lo, s30
	s_and_saveexec_b32 s30, s20
	s_cbranch_execnz .LBB1981_670
.LBB1981_636:                           ;   in Loop: Header=BB1981_566 Depth=2
	s_wait_alu 0xfffe
	s_or_b32 exec_lo, exec_lo, s30
	s_and_saveexec_b32 s30, s21
	s_cbranch_execz .LBB1981_638
.LBB1981_637:                           ;   in Loop: Header=BB1981_566 Depth=2
	ds_load_u16 v2, v47 offset:4608
	s_wait_dscnt 0x0
	v_cmp_ne_u16_e64 s22, 0x8000, v2
	s_wait_alu 0xf1ff
	s_delay_alu instid0(VALU_DEP_1) | instskip(NEXT) | instid1(VALU_DEP_1)
	v_cndmask_b32_e64 v2, 0x7fff, v2, s22
	v_and_b32_e32 v2, 0xffff, v2
	s_delay_alu instid0(VALU_DEP_1) | instskip(NEXT) | instid1(VALU_DEP_1)
	v_lshrrev_b32_e32 v2, s45, v2
	v_and_b32_e32 v93, s42, v2
.LBB1981_638:                           ;   in Loop: Header=BB1981_566 Depth=2
	s_wait_alu 0xfffe
	s_or_b32 exec_lo, exec_lo, s30
	v_lshlrev_b32_e32 v2, 3, v108
	v_lshlrev_b32_e32 v20, 3, v104
	;; [unrolled: 1-line block ×3, first 2 shown]
	s_wait_loadcnt 0x0
	s_wait_storecnt 0x0
	s_barrier_signal -1
	s_barrier_wait -1
	global_inv scope:SCOPE_SE
	ds_store_b64 v2, v[18:19] offset:1024
	ds_store_b64 v20, v[16:17] offset:1024
	;; [unrolled: 1-line block ×3, first 2 shown]
	v_lshlrev_b32_e32 v2, 3, v25
	v_lshlrev_b32_e32 v20, 3, v24
	;; [unrolled: 1-line block ×5, first 2 shown]
	ds_store_b64 v2, v[12:13] offset:1024
	ds_store_b64 v20, v[10:11] offset:1024
	;; [unrolled: 1-line block ×5, first 2 shown]
	v_add_nc_u32_e32 v20, v47, v48
	s_wait_loadcnt_dscnt 0x0
	s_barrier_signal -1
	s_barrier_wait -1
	global_inv scope:SCOPE_SE
	s_and_saveexec_b32 s22, vcc_lo
	s_cbranch_execnz .LBB1981_671
; %bb.639:                              ;   in Loop: Header=BB1981_566 Depth=2
	s_wait_alu 0xfffe
	s_or_b32 exec_lo, exec_lo, s22
	s_and_saveexec_b32 s22, s15
	s_cbranch_execnz .LBB1981_672
.LBB1981_640:                           ;   in Loop: Header=BB1981_566 Depth=2
	s_wait_alu 0xfffe
	s_or_b32 exec_lo, exec_lo, s22
	s_and_saveexec_b32 s15, s16
	s_cbranch_execnz .LBB1981_673
.LBB1981_641:                           ;   in Loop: Header=BB1981_566 Depth=2
	s_wait_alu 0xfffe
	s_or_b32 exec_lo, exec_lo, s15
	s_and_saveexec_b32 s15, s17
	s_cbranch_execnz .LBB1981_674
.LBB1981_642:                           ;   in Loop: Header=BB1981_566 Depth=2
	s_wait_alu 0xfffe
	s_or_b32 exec_lo, exec_lo, s15
	s_and_saveexec_b32 s15, s18
	s_cbranch_execnz .LBB1981_675
.LBB1981_643:                           ;   in Loop: Header=BB1981_566 Depth=2
	s_wait_alu 0xfffe
	s_or_b32 exec_lo, exec_lo, s15
	s_and_saveexec_b32 s15, s19
	s_cbranch_execnz .LBB1981_676
.LBB1981_644:                           ;   in Loop: Header=BB1981_566 Depth=2
	s_wait_alu 0xfffe
	s_or_b32 exec_lo, exec_lo, s15
	s_and_saveexec_b32 s15, s20
	s_cbranch_execnz .LBB1981_677
.LBB1981_645:                           ;   in Loop: Header=BB1981_566 Depth=2
	s_wait_alu 0xfffe
	s_or_b32 exec_lo, exec_lo, s15
	s_and_saveexec_b32 s15, s21
	s_cbranch_execz .LBB1981_647
.LBB1981_646:                           ;   in Loop: Header=BB1981_566 Depth=2
	v_lshlrev_b32_e32 v2, 2, v93
	ds_load_b32 v2, v2
	ds_load_b64 v[20:21], v20 offset:15360
	s_wait_dscnt 0x1
	v_add_nc_u32_e32 v2, v2, v37
	s_delay_alu instid0(VALU_DEP_1) | instskip(NEXT) | instid1(VALU_DEP_1)
	v_lshlrev_b64_e32 v[23:24], 3, v[2:3]
	v_add_co_u32 v23, vcc_lo, s26, v23
	s_wait_alu 0xfffd
	s_delay_alu instid0(VALU_DEP_2)
	v_add_co_ci_u32_e64 v24, null, s27, v24, vcc_lo
	s_wait_dscnt 0x0
	global_store_b64 v[23:24], v[20:21], off
.LBB1981_647:                           ;   in Loop: Header=BB1981_566 Depth=2
	s_wait_alu 0xfffe
	s_or_b32 exec_lo, exec_lo, s15
	s_wait_loadcnt 0x0
	s_wait_storecnt 0x0
	s_barrier_signal -1
	s_barrier_wait -1
	global_inv scope:SCOPE_SE
	s_and_saveexec_b32 s15, s2
	s_cbranch_execz .LBB1981_565
; %bb.648:                              ;   in Loop: Header=BB1981_566 Depth=2
	ds_load_b32 v2, v28
	s_wait_dscnt 0x0
	v_add_nc_u32_e32 v2, v2, v22
	ds_store_b32 v28, v2
	s_branch .LBB1981_565
.LBB1981_649:                           ;   in Loop: Header=BB1981_566 Depth=2
	ds_load_u16 v103, v47 offset:1024
	s_wait_dscnt 0x0
	v_cmp_ne_u16_e64 s15, 0x8000, v103
	s_wait_alu 0xf1ff
	s_delay_alu instid0(VALU_DEP_1) | instskip(SKIP_1) | instid1(VALU_DEP_2)
	v_cndmask_b32_e64 v2, 0x7fff, v103, s15
	v_cmp_gt_i16_e64 s15, 0, v103
	v_and_b32_e32 v2, 0xffff, v2
	s_wait_alu 0xf1ff
	s_delay_alu instid0(VALU_DEP_2) | instskip(NEXT) | instid1(VALU_DEP_2)
	v_cndmask_b32_e64 v105, 0x7fff, 0, s15
	v_lshrrev_b32_e32 v2, s45, v2
	s_delay_alu instid0(VALU_DEP_1) | instskip(NEXT) | instid1(VALU_DEP_1)
	v_and_b32_e32 v2, s42, v2
	v_lshlrev_b32_e32 v2, 2, v2
	ds_load_b32 v2, v2
	s_wait_dscnt 0x0
	v_add_nc_u32_e32 v2, v2, v1
	s_delay_alu instid0(VALU_DEP_1) | instskip(SKIP_1) | instid1(VALU_DEP_2)
	v_lshlrev_b64_e32 v[20:21], 1, v[2:3]
	v_xor_b32_e32 v2, v105, v103
	v_add_co_u32 v20, s15, s40, v20
	s_wait_alu 0xf1ff
	s_delay_alu instid0(VALU_DEP_3)
	v_add_co_ci_u32_e64 v21, null, s41, v21, s15
	global_store_b16 v[20:21], v2, off
	s_wait_alu 0xfffe
	s_or_b32 exec_lo, exec_lo, s16
	v_cmp_lt_u32_e64 s15, v29, v101
	s_and_saveexec_b32 s17, s15
	s_cbranch_execz .LBB1981_614
.LBB1981_650:                           ;   in Loop: Header=BB1981_566 Depth=2
	ds_load_u16 v103, v47 offset:1536
	s_wait_dscnt 0x0
	v_cmp_ne_u16_e64 s16, 0x8000, v103
	s_wait_alu 0xf1ff
	s_delay_alu instid0(VALU_DEP_1) | instskip(SKIP_1) | instid1(VALU_DEP_2)
	v_cndmask_b32_e64 v2, 0x7fff, v103, s16
	v_cmp_gt_i16_e64 s16, 0, v103
	v_and_b32_e32 v2, 0xffff, v2
	s_wait_alu 0xf1ff
	s_delay_alu instid0(VALU_DEP_2) | instskip(NEXT) | instid1(VALU_DEP_2)
	v_cndmask_b32_e64 v105, 0x7fff, 0, s16
	v_lshrrev_b32_e32 v2, s45, v2
	s_delay_alu instid0(VALU_DEP_1) | instskip(NEXT) | instid1(VALU_DEP_1)
	v_and_b32_e32 v2, s42, v2
	v_lshlrev_b32_e32 v2, 2, v2
	ds_load_b32 v2, v2
	s_wait_dscnt 0x0
	v_add_nc_u32_e32 v2, v2, v29
	s_delay_alu instid0(VALU_DEP_1) | instskip(SKIP_1) | instid1(VALU_DEP_2)
	v_lshlrev_b64_e32 v[20:21], 1, v[2:3]
	v_xor_b32_e32 v2, v105, v103
	v_add_co_u32 v20, s16, s40, v20
	s_wait_alu 0xf1ff
	s_delay_alu instid0(VALU_DEP_3)
	v_add_co_ci_u32_e64 v21, null, s41, v21, s16
	global_store_b16 v[20:21], v2, off
	s_wait_alu 0xfffe
	s_or_b32 exec_lo, exec_lo, s17
	v_cmp_lt_u32_e64 s16, v30, v101
	s_and_saveexec_b32 s18, s16
	s_cbranch_execz .LBB1981_615
.LBB1981_651:                           ;   in Loop: Header=BB1981_566 Depth=2
	ds_load_u16 v103, v47 offset:2048
	s_wait_dscnt 0x0
	v_cmp_ne_u16_e64 s17, 0x8000, v103
	s_wait_alu 0xf1ff
	s_delay_alu instid0(VALU_DEP_1) | instskip(SKIP_1) | instid1(VALU_DEP_2)
	v_cndmask_b32_e64 v2, 0x7fff, v103, s17
	v_cmp_gt_i16_e64 s17, 0, v103
	v_and_b32_e32 v2, 0xffff, v2
	s_wait_alu 0xf1ff
	s_delay_alu instid0(VALU_DEP_2) | instskip(NEXT) | instid1(VALU_DEP_2)
	v_cndmask_b32_e64 v105, 0x7fff, 0, s17
	v_lshrrev_b32_e32 v2, s45, v2
	s_delay_alu instid0(VALU_DEP_1) | instskip(NEXT) | instid1(VALU_DEP_1)
	v_and_b32_e32 v2, s42, v2
	v_lshlrev_b32_e32 v2, 2, v2
	ds_load_b32 v2, v2
	s_wait_dscnt 0x0
	v_add_nc_u32_e32 v2, v2, v30
	s_delay_alu instid0(VALU_DEP_1) | instskip(SKIP_1) | instid1(VALU_DEP_2)
	v_lshlrev_b64_e32 v[20:21], 1, v[2:3]
	v_xor_b32_e32 v2, v105, v103
	v_add_co_u32 v20, s17, s40, v20
	s_wait_alu 0xf1ff
	s_delay_alu instid0(VALU_DEP_3)
	v_add_co_ci_u32_e64 v21, null, s41, v21, s17
	global_store_b16 v[20:21], v2, off
	s_wait_alu 0xfffe
	s_or_b32 exec_lo, exec_lo, s18
	v_cmp_lt_u32_e64 s17, v31, v101
	s_and_saveexec_b32 s19, s17
	s_cbranch_execz .LBB1981_616
.LBB1981_652:                           ;   in Loop: Header=BB1981_566 Depth=2
	ds_load_u16 v103, v47 offset:2560
	s_wait_dscnt 0x0
	v_cmp_ne_u16_e64 s18, 0x8000, v103
	s_wait_alu 0xf1ff
	s_delay_alu instid0(VALU_DEP_1) | instskip(SKIP_1) | instid1(VALU_DEP_2)
	v_cndmask_b32_e64 v2, 0x7fff, v103, s18
	v_cmp_gt_i16_e64 s18, 0, v103
	v_and_b32_e32 v2, 0xffff, v2
	s_wait_alu 0xf1ff
	s_delay_alu instid0(VALU_DEP_2) | instskip(NEXT) | instid1(VALU_DEP_2)
	v_cndmask_b32_e64 v105, 0x7fff, 0, s18
	v_lshrrev_b32_e32 v2, s45, v2
	s_delay_alu instid0(VALU_DEP_1) | instskip(NEXT) | instid1(VALU_DEP_1)
	v_and_b32_e32 v2, s42, v2
	v_lshlrev_b32_e32 v2, 2, v2
	ds_load_b32 v2, v2
	s_wait_dscnt 0x0
	v_add_nc_u32_e32 v2, v2, v31
	s_delay_alu instid0(VALU_DEP_1) | instskip(SKIP_1) | instid1(VALU_DEP_2)
	v_lshlrev_b64_e32 v[20:21], 1, v[2:3]
	v_xor_b32_e32 v2, v105, v103
	v_add_co_u32 v20, s18, s40, v20
	s_wait_alu 0xf1ff
	s_delay_alu instid0(VALU_DEP_3)
	v_add_co_ci_u32_e64 v21, null, s41, v21, s18
	global_store_b16 v[20:21], v2, off
	s_wait_alu 0xfffe
	s_or_b32 exec_lo, exec_lo, s19
	v_cmp_lt_u32_e64 s18, v34, v101
	s_and_saveexec_b32 s20, s18
	s_cbranch_execz .LBB1981_617
.LBB1981_653:                           ;   in Loop: Header=BB1981_566 Depth=2
	ds_load_u16 v103, v47 offset:3072
	s_wait_dscnt 0x0
	v_cmp_ne_u16_e64 s19, 0x8000, v103
	s_wait_alu 0xf1ff
	s_delay_alu instid0(VALU_DEP_1) | instskip(SKIP_1) | instid1(VALU_DEP_2)
	v_cndmask_b32_e64 v2, 0x7fff, v103, s19
	v_cmp_gt_i16_e64 s19, 0, v103
	v_and_b32_e32 v2, 0xffff, v2
	s_wait_alu 0xf1ff
	s_delay_alu instid0(VALU_DEP_2) | instskip(NEXT) | instid1(VALU_DEP_2)
	v_cndmask_b32_e64 v105, 0x7fff, 0, s19
	v_lshrrev_b32_e32 v2, s45, v2
	s_delay_alu instid0(VALU_DEP_1) | instskip(NEXT) | instid1(VALU_DEP_1)
	v_and_b32_e32 v2, s42, v2
	v_lshlrev_b32_e32 v2, 2, v2
	ds_load_b32 v2, v2
	s_wait_dscnt 0x0
	v_add_nc_u32_e32 v2, v2, v34
	s_delay_alu instid0(VALU_DEP_1) | instskip(SKIP_1) | instid1(VALU_DEP_2)
	v_lshlrev_b64_e32 v[20:21], 1, v[2:3]
	v_xor_b32_e32 v2, v105, v103
	v_add_co_u32 v20, s19, s40, v20
	s_wait_alu 0xf1ff
	s_delay_alu instid0(VALU_DEP_3)
	v_add_co_ci_u32_e64 v21, null, s41, v21, s19
	global_store_b16 v[20:21], v2, off
	s_wait_alu 0xfffe
	s_or_b32 exec_lo, exec_lo, s20
	v_cmp_lt_u32_e64 s19, v35, v101
	s_and_saveexec_b32 s21, s19
	s_cbranch_execz .LBB1981_618
.LBB1981_654:                           ;   in Loop: Header=BB1981_566 Depth=2
	ds_load_u16 v103, v47 offset:3584
	s_wait_dscnt 0x0
	v_cmp_ne_u16_e64 s20, 0x8000, v103
	s_wait_alu 0xf1ff
	s_delay_alu instid0(VALU_DEP_1) | instskip(SKIP_1) | instid1(VALU_DEP_2)
	v_cndmask_b32_e64 v2, 0x7fff, v103, s20
	v_cmp_gt_i16_e64 s20, 0, v103
	v_and_b32_e32 v2, 0xffff, v2
	s_wait_alu 0xf1ff
	s_delay_alu instid0(VALU_DEP_2) | instskip(NEXT) | instid1(VALU_DEP_2)
	v_cndmask_b32_e64 v105, 0x7fff, 0, s20
	v_lshrrev_b32_e32 v2, s45, v2
	s_delay_alu instid0(VALU_DEP_1) | instskip(NEXT) | instid1(VALU_DEP_1)
	v_and_b32_e32 v2, s42, v2
	v_lshlrev_b32_e32 v2, 2, v2
	ds_load_b32 v2, v2
	s_wait_dscnt 0x0
	v_add_nc_u32_e32 v2, v2, v35
	s_delay_alu instid0(VALU_DEP_1) | instskip(SKIP_1) | instid1(VALU_DEP_2)
	v_lshlrev_b64_e32 v[20:21], 1, v[2:3]
	v_xor_b32_e32 v2, v105, v103
	v_add_co_u32 v20, s20, s40, v20
	s_wait_alu 0xf1ff
	s_delay_alu instid0(VALU_DEP_3)
	v_add_co_ci_u32_e64 v21, null, s41, v21, s20
	global_store_b16 v[20:21], v2, off
	s_wait_alu 0xfffe
	s_or_b32 exec_lo, exec_lo, s21
	v_cmp_lt_u32_e64 s20, v36, v101
	s_and_saveexec_b32 s22, s20
	s_cbranch_execz .LBB1981_619
.LBB1981_655:                           ;   in Loop: Header=BB1981_566 Depth=2
	ds_load_u16 v103, v47 offset:4096
	s_wait_dscnt 0x0
	v_cmp_ne_u16_e64 s21, 0x8000, v103
	s_wait_alu 0xf1ff
	s_delay_alu instid0(VALU_DEP_1) | instskip(SKIP_1) | instid1(VALU_DEP_2)
	v_cndmask_b32_e64 v2, 0x7fff, v103, s21
	v_cmp_gt_i16_e64 s21, 0, v103
	v_and_b32_e32 v2, 0xffff, v2
	s_wait_alu 0xf1ff
	s_delay_alu instid0(VALU_DEP_2) | instskip(NEXT) | instid1(VALU_DEP_2)
	v_cndmask_b32_e64 v105, 0x7fff, 0, s21
	v_lshrrev_b32_e32 v2, s45, v2
	s_delay_alu instid0(VALU_DEP_1) | instskip(NEXT) | instid1(VALU_DEP_1)
	v_and_b32_e32 v2, s42, v2
	v_lshlrev_b32_e32 v2, 2, v2
	ds_load_b32 v2, v2
	s_wait_dscnt 0x0
	v_add_nc_u32_e32 v2, v2, v36
	s_delay_alu instid0(VALU_DEP_1) | instskip(SKIP_1) | instid1(VALU_DEP_2)
	v_lshlrev_b64_e32 v[20:21], 1, v[2:3]
	v_xor_b32_e32 v2, v105, v103
	v_add_co_u32 v20, s21, s40, v20
	s_wait_alu 0xf1ff
	s_delay_alu instid0(VALU_DEP_3)
	v_add_co_ci_u32_e64 v21, null, s41, v21, s21
	global_store_b16 v[20:21], v2, off
	s_wait_alu 0xfffe
	s_or_b32 exec_lo, exec_lo, s22
	v_cmp_lt_u32_e64 s21, v37, v101
	s_and_saveexec_b32 s48, s21
	s_cbranch_execnz .LBB1981_620
	s_branch .LBB1981_621
.LBB1981_656:                           ;   in Loop: Header=BB1981_566 Depth=2
	global_load_b64 v[18:19], v[20:21], off
	s_wait_alu 0xfffe
	s_or_b32 exec_lo, exec_lo, s22
	s_delay_alu instid0(SALU_CYCLE_1)
	s_mov_b32 s30, exec_lo
	v_cmpx_lt_u32_e64 v70, v101
	s_cbranch_execz .LBB1981_623
.LBB1981_657:                           ;   in Loop: Header=BB1981_566 Depth=2
	global_load_b64 v[16:17], v[20:21], off offset:256
	s_wait_alu 0xfffe
	s_or_b32 exec_lo, exec_lo, s30
	s_delay_alu instid0(SALU_CYCLE_1)
	s_mov_b32 s30, exec_lo
	v_cmpx_lt_u32_e64 v71, v101
	s_cbranch_execz .LBB1981_624
.LBB1981_658:                           ;   in Loop: Header=BB1981_566 Depth=2
	global_load_b64 v[14:15], v[20:21], off offset:512
	s_wait_alu 0xfffe
	s_or_b32 exec_lo, exec_lo, s30
	s_delay_alu instid0(SALU_CYCLE_1)
	s_mov_b32 s30, exec_lo
	v_cmpx_lt_u32_e64 v72, v101
	s_cbranch_execz .LBB1981_625
.LBB1981_659:                           ;   in Loop: Header=BB1981_566 Depth=2
	global_load_b64 v[12:13], v[20:21], off offset:768
	s_wait_alu 0xfffe
	s_or_b32 exec_lo, exec_lo, s30
	s_delay_alu instid0(SALU_CYCLE_1)
	s_mov_b32 s30, exec_lo
	v_cmpx_lt_u32_e64 v73, v101
	s_cbranch_execz .LBB1981_626
.LBB1981_660:                           ;   in Loop: Header=BB1981_566 Depth=2
	global_load_b64 v[10:11], v[20:21], off offset:1024
	s_wait_alu 0xfffe
	s_or_b32 exec_lo, exec_lo, s30
	s_delay_alu instid0(SALU_CYCLE_1)
	s_mov_b32 s30, exec_lo
	v_cmpx_lt_u32_e64 v74, v101
	s_cbranch_execz .LBB1981_627
.LBB1981_661:                           ;   in Loop: Header=BB1981_566 Depth=2
	global_load_b64 v[8:9], v[20:21], off offset:1280
	s_wait_alu 0xfffe
	s_or_b32 exec_lo, exec_lo, s30
	s_delay_alu instid0(SALU_CYCLE_1)
	s_mov_b32 s30, exec_lo
	v_cmpx_lt_u32_e64 v75, v101
	s_cbranch_execz .LBB1981_628
.LBB1981_662:                           ;   in Loop: Header=BB1981_566 Depth=2
	global_load_b64 v[6:7], v[20:21], off offset:1536
	s_wait_alu 0xfffe
	s_or_b32 exec_lo, exec_lo, s30
	s_delay_alu instid0(SALU_CYCLE_1)
	s_mov_b32 s30, exec_lo
	v_cmpx_lt_u32_e64 v76, v101
	s_cbranch_execz .LBB1981_629
.LBB1981_663:                           ;   in Loop: Header=BB1981_566 Depth=2
	global_load_b64 v[4:5], v[20:21], off offset:1792
	s_wait_alu 0xfffe
	s_or_b32 exec_lo, exec_lo, s30
	s_and_saveexec_b32 s30, vcc_lo
	s_cbranch_execz .LBB1981_630
.LBB1981_664:                           ;   in Loop: Header=BB1981_566 Depth=2
	ds_load_u16 v2, v47 offset:1024
	s_wait_dscnt 0x0
	v_cmp_ne_u16_e64 s22, 0x8000, v2
	s_wait_alu 0xf1ff
	s_delay_alu instid0(VALU_DEP_1) | instskip(NEXT) | instid1(VALU_DEP_1)
	v_cndmask_b32_e64 v2, 0x7fff, v2, s22
	v_and_b32_e32 v2, 0xffff, v2
	s_delay_alu instid0(VALU_DEP_1) | instskip(NEXT) | instid1(VALU_DEP_1)
	v_lshrrev_b32_e32 v2, s45, v2
	v_and_b32_e32 v100, s42, v2
	s_wait_alu 0xfffe
	s_or_b32 exec_lo, exec_lo, s30
	s_and_saveexec_b32 s30, s15
	s_cbranch_execz .LBB1981_631
.LBB1981_665:                           ;   in Loop: Header=BB1981_566 Depth=2
	ds_load_u16 v2, v47 offset:1536
	s_wait_dscnt 0x0
	v_cmp_ne_u16_e64 s22, 0x8000, v2
	s_wait_alu 0xf1ff
	s_delay_alu instid0(VALU_DEP_1) | instskip(NEXT) | instid1(VALU_DEP_1)
	v_cndmask_b32_e64 v2, 0x7fff, v2, s22
	v_and_b32_e32 v2, 0xffff, v2
	s_delay_alu instid0(VALU_DEP_1) | instskip(NEXT) | instid1(VALU_DEP_1)
	v_lshrrev_b32_e32 v2, s45, v2
	v_and_b32_e32 v99, s42, v2
	s_wait_alu 0xfffe
	s_or_b32 exec_lo, exec_lo, s30
	s_and_saveexec_b32 s30, s16
	s_cbranch_execz .LBB1981_632
.LBB1981_666:                           ;   in Loop: Header=BB1981_566 Depth=2
	ds_load_u16 v2, v47 offset:2048
	s_wait_dscnt 0x0
	v_cmp_ne_u16_e64 s22, 0x8000, v2
	s_wait_alu 0xf1ff
	s_delay_alu instid0(VALU_DEP_1) | instskip(NEXT) | instid1(VALU_DEP_1)
	v_cndmask_b32_e64 v2, 0x7fff, v2, s22
	v_and_b32_e32 v2, 0xffff, v2
	s_delay_alu instid0(VALU_DEP_1) | instskip(NEXT) | instid1(VALU_DEP_1)
	v_lshrrev_b32_e32 v2, s45, v2
	v_and_b32_e32 v98, s42, v2
	s_wait_alu 0xfffe
	s_or_b32 exec_lo, exec_lo, s30
	s_and_saveexec_b32 s30, s17
	s_cbranch_execz .LBB1981_633
.LBB1981_667:                           ;   in Loop: Header=BB1981_566 Depth=2
	ds_load_u16 v2, v47 offset:2560
	s_wait_dscnt 0x0
	v_cmp_ne_u16_e64 s22, 0x8000, v2
	s_wait_alu 0xf1ff
	s_delay_alu instid0(VALU_DEP_1) | instskip(NEXT) | instid1(VALU_DEP_1)
	v_cndmask_b32_e64 v2, 0x7fff, v2, s22
	v_and_b32_e32 v2, 0xffff, v2
	s_delay_alu instid0(VALU_DEP_1) | instskip(NEXT) | instid1(VALU_DEP_1)
	v_lshrrev_b32_e32 v2, s45, v2
	v_and_b32_e32 v97, s42, v2
	s_wait_alu 0xfffe
	s_or_b32 exec_lo, exec_lo, s30
	s_and_saveexec_b32 s30, s18
	s_cbranch_execz .LBB1981_634
.LBB1981_668:                           ;   in Loop: Header=BB1981_566 Depth=2
	ds_load_u16 v2, v47 offset:3072
	s_wait_dscnt 0x0
	v_cmp_ne_u16_e64 s22, 0x8000, v2
	s_wait_alu 0xf1ff
	s_delay_alu instid0(VALU_DEP_1) | instskip(NEXT) | instid1(VALU_DEP_1)
	v_cndmask_b32_e64 v2, 0x7fff, v2, s22
	v_and_b32_e32 v2, 0xffff, v2
	s_delay_alu instid0(VALU_DEP_1) | instskip(NEXT) | instid1(VALU_DEP_1)
	v_lshrrev_b32_e32 v2, s45, v2
	v_and_b32_e32 v96, s42, v2
	s_wait_alu 0xfffe
	s_or_b32 exec_lo, exec_lo, s30
	s_and_saveexec_b32 s30, s19
	s_cbranch_execz .LBB1981_635
.LBB1981_669:                           ;   in Loop: Header=BB1981_566 Depth=2
	ds_load_u16 v2, v47 offset:3584
	s_wait_dscnt 0x0
	v_cmp_ne_u16_e64 s22, 0x8000, v2
	s_wait_alu 0xf1ff
	s_delay_alu instid0(VALU_DEP_1) | instskip(NEXT) | instid1(VALU_DEP_1)
	v_cndmask_b32_e64 v2, 0x7fff, v2, s22
	v_and_b32_e32 v2, 0xffff, v2
	s_delay_alu instid0(VALU_DEP_1) | instskip(NEXT) | instid1(VALU_DEP_1)
	v_lshrrev_b32_e32 v2, s45, v2
	v_and_b32_e32 v95, s42, v2
	s_wait_alu 0xfffe
	s_or_b32 exec_lo, exec_lo, s30
	s_and_saveexec_b32 s30, s20
	s_cbranch_execz .LBB1981_636
.LBB1981_670:                           ;   in Loop: Header=BB1981_566 Depth=2
	ds_load_u16 v2, v47 offset:4096
	s_wait_dscnt 0x0
	v_cmp_ne_u16_e64 s22, 0x8000, v2
	s_wait_alu 0xf1ff
	s_delay_alu instid0(VALU_DEP_1) | instskip(NEXT) | instid1(VALU_DEP_1)
	v_cndmask_b32_e64 v2, 0x7fff, v2, s22
	v_and_b32_e32 v2, 0xffff, v2
	s_delay_alu instid0(VALU_DEP_1) | instskip(NEXT) | instid1(VALU_DEP_1)
	v_lshrrev_b32_e32 v2, s45, v2
	v_and_b32_e32 v94, s42, v2
	s_wait_alu 0xfffe
	s_or_b32 exec_lo, exec_lo, s30
	s_and_saveexec_b32 s30, s21
	s_cbranch_execnz .LBB1981_637
	s_branch .LBB1981_638
.LBB1981_671:                           ;   in Loop: Header=BB1981_566 Depth=2
	v_lshlrev_b32_e32 v2, 2, v100
	ds_load_b32 v2, v2
	ds_load_b64 v[23:24], v20 offset:1024
	s_wait_dscnt 0x1
	v_add_nc_u32_e32 v2, v2, v1
	s_delay_alu instid0(VALU_DEP_1) | instskip(NEXT) | instid1(VALU_DEP_1)
	v_lshlrev_b64_e32 v[25:26], 3, v[2:3]
	v_add_co_u32 v25, vcc_lo, s26, v25
	s_wait_alu 0xfffd
	s_delay_alu instid0(VALU_DEP_2)
	v_add_co_ci_u32_e64 v26, null, s27, v26, vcc_lo
	s_wait_dscnt 0x0
	global_store_b64 v[25:26], v[23:24], off
	s_wait_alu 0xfffe
	s_or_b32 exec_lo, exec_lo, s22
	s_and_saveexec_b32 s22, s15
	s_cbranch_execz .LBB1981_640
.LBB1981_672:                           ;   in Loop: Header=BB1981_566 Depth=2
	v_lshlrev_b32_e32 v2, 2, v99
	ds_load_b32 v2, v2
	ds_load_b64 v[23:24], v20 offset:3072
	s_wait_dscnt 0x1
	v_add_nc_u32_e32 v2, v2, v29
	s_delay_alu instid0(VALU_DEP_1) | instskip(NEXT) | instid1(VALU_DEP_1)
	v_lshlrev_b64_e32 v[25:26], 3, v[2:3]
	v_add_co_u32 v25, vcc_lo, s26, v25
	s_wait_alu 0xfffd
	s_delay_alu instid0(VALU_DEP_2)
	v_add_co_ci_u32_e64 v26, null, s27, v26, vcc_lo
	s_wait_dscnt 0x0
	global_store_b64 v[25:26], v[23:24], off
	s_wait_alu 0xfffe
	s_or_b32 exec_lo, exec_lo, s22
	s_and_saveexec_b32 s15, s16
	s_cbranch_execz .LBB1981_641
.LBB1981_673:                           ;   in Loop: Header=BB1981_566 Depth=2
	v_lshlrev_b32_e32 v2, 2, v98
	ds_load_b32 v2, v2
	ds_load_b64 v[23:24], v20 offset:5120
	s_wait_dscnt 0x1
	v_add_nc_u32_e32 v2, v2, v30
	s_delay_alu instid0(VALU_DEP_1) | instskip(NEXT) | instid1(VALU_DEP_1)
	v_lshlrev_b64_e32 v[25:26], 3, v[2:3]
	v_add_co_u32 v25, vcc_lo, s26, v25
	s_wait_alu 0xfffd
	s_delay_alu instid0(VALU_DEP_2)
	v_add_co_ci_u32_e64 v26, null, s27, v26, vcc_lo
	s_wait_dscnt 0x0
	global_store_b64 v[25:26], v[23:24], off
	s_wait_alu 0xfffe
	s_or_b32 exec_lo, exec_lo, s15
	s_and_saveexec_b32 s15, s17
	s_cbranch_execz .LBB1981_642
.LBB1981_674:                           ;   in Loop: Header=BB1981_566 Depth=2
	v_lshlrev_b32_e32 v2, 2, v97
	ds_load_b32 v2, v2
	ds_load_b64 v[23:24], v20 offset:7168
	s_wait_dscnt 0x1
	v_add_nc_u32_e32 v2, v2, v31
	s_delay_alu instid0(VALU_DEP_1) | instskip(NEXT) | instid1(VALU_DEP_1)
	v_lshlrev_b64_e32 v[25:26], 3, v[2:3]
	v_add_co_u32 v25, vcc_lo, s26, v25
	s_wait_alu 0xfffd
	s_delay_alu instid0(VALU_DEP_2)
	v_add_co_ci_u32_e64 v26, null, s27, v26, vcc_lo
	s_wait_dscnt 0x0
	global_store_b64 v[25:26], v[23:24], off
	s_wait_alu 0xfffe
	s_or_b32 exec_lo, exec_lo, s15
	s_and_saveexec_b32 s15, s18
	s_cbranch_execz .LBB1981_643
.LBB1981_675:                           ;   in Loop: Header=BB1981_566 Depth=2
	v_lshlrev_b32_e32 v2, 2, v96
	ds_load_b32 v2, v2
	ds_load_b64 v[23:24], v20 offset:9216
	s_wait_dscnt 0x1
	v_add_nc_u32_e32 v2, v2, v34
	s_delay_alu instid0(VALU_DEP_1) | instskip(NEXT) | instid1(VALU_DEP_1)
	v_lshlrev_b64_e32 v[25:26], 3, v[2:3]
	v_add_co_u32 v25, vcc_lo, s26, v25
	s_wait_alu 0xfffd
	s_delay_alu instid0(VALU_DEP_2)
	v_add_co_ci_u32_e64 v26, null, s27, v26, vcc_lo
	s_wait_dscnt 0x0
	global_store_b64 v[25:26], v[23:24], off
	s_wait_alu 0xfffe
	s_or_b32 exec_lo, exec_lo, s15
	s_and_saveexec_b32 s15, s19
	s_cbranch_execz .LBB1981_644
.LBB1981_676:                           ;   in Loop: Header=BB1981_566 Depth=2
	v_lshlrev_b32_e32 v2, 2, v95
	ds_load_b32 v2, v2
	ds_load_b64 v[23:24], v20 offset:11264
	s_wait_dscnt 0x1
	v_add_nc_u32_e32 v2, v2, v35
	s_delay_alu instid0(VALU_DEP_1) | instskip(NEXT) | instid1(VALU_DEP_1)
	v_lshlrev_b64_e32 v[25:26], 3, v[2:3]
	v_add_co_u32 v25, vcc_lo, s26, v25
	s_wait_alu 0xfffd
	s_delay_alu instid0(VALU_DEP_2)
	v_add_co_ci_u32_e64 v26, null, s27, v26, vcc_lo
	s_wait_dscnt 0x0
	global_store_b64 v[25:26], v[23:24], off
	s_wait_alu 0xfffe
	s_or_b32 exec_lo, exec_lo, s15
	s_and_saveexec_b32 s15, s20
	s_cbranch_execz .LBB1981_645
.LBB1981_677:                           ;   in Loop: Header=BB1981_566 Depth=2
	v_lshlrev_b32_e32 v2, 2, v94
	ds_load_b32 v2, v2
	ds_load_b64 v[23:24], v20 offset:13312
	s_wait_dscnt 0x1
	v_add_nc_u32_e32 v2, v2, v36
	s_delay_alu instid0(VALU_DEP_1) | instskip(NEXT) | instid1(VALU_DEP_1)
	v_lshlrev_b64_e32 v[25:26], 3, v[2:3]
	v_add_co_u32 v25, vcc_lo, s26, v25
	s_wait_alu 0xfffd
	s_delay_alu instid0(VALU_DEP_2)
	v_add_co_ci_u32_e64 v26, null, s27, v26, vcc_lo
	s_wait_dscnt 0x0
	global_store_b64 v[25:26], v[23:24], off
	s_wait_alu 0xfffe
	s_or_b32 exec_lo, exec_lo, s15
	s_and_saveexec_b32 s15, s21
	s_cbranch_execnz .LBB1981_646
	s_branch .LBB1981_647
.LBB1981_678:
	s_endpgm
	.section	.rodata,"a",@progbits
	.p2align	6, 0x0
	.amdhsa_kernel _ZN7rocprim17ROCPRIM_400000_NS6detail17trampoline_kernelINS0_14default_configENS1_36segmented_radix_sort_config_selectorI12hip_bfloat16lEEZNS1_25segmented_radix_sort_implIS3_Lb1EPKS5_PS5_PKlPlN2at6native12_GLOBAL__N_18offset_tEEE10hipError_tPvRmT1_PNSt15iterator_traitsISL_E10value_typeET2_T3_PNSM_ISR_E10value_typeET4_jRbjT5_SX_jjP12ihipStream_tbEUlT_E2_NS1_11comp_targetILNS1_3genE10ELNS1_11target_archE1201ELNS1_3gpuE5ELNS1_3repE0EEENS1_30default_config_static_selectorELNS0_4arch9wavefront6targetE0EEEvSL_
		.amdhsa_group_segment_fixed_size 17440
		.amdhsa_private_segment_fixed_size 0
		.amdhsa_kernarg_size 336
		.amdhsa_user_sgpr_count 2
		.amdhsa_user_sgpr_dispatch_ptr 0
		.amdhsa_user_sgpr_queue_ptr 0
		.amdhsa_user_sgpr_kernarg_segment_ptr 1
		.amdhsa_user_sgpr_dispatch_id 0
		.amdhsa_user_sgpr_private_segment_size 0
		.amdhsa_wavefront_size32 1
		.amdhsa_uses_dynamic_stack 0
		.amdhsa_enable_private_segment 0
		.amdhsa_system_sgpr_workgroup_id_x 1
		.amdhsa_system_sgpr_workgroup_id_y 1
		.amdhsa_system_sgpr_workgroup_id_z 0
		.amdhsa_system_sgpr_workgroup_info 0
		.amdhsa_system_vgpr_workitem_id 2
		.amdhsa_next_free_vgpr 198
		.amdhsa_next_free_sgpr 50
		.amdhsa_reserve_vcc 1
		.amdhsa_float_round_mode_32 0
		.amdhsa_float_round_mode_16_64 0
		.amdhsa_float_denorm_mode_32 3
		.amdhsa_float_denorm_mode_16_64 3
		.amdhsa_fp16_overflow 0
		.amdhsa_workgroup_processor_mode 1
		.amdhsa_memory_ordered 1
		.amdhsa_forward_progress 1
		.amdhsa_inst_pref_size 255
		.amdhsa_round_robin_scheduling 0
		.amdhsa_exception_fp_ieee_invalid_op 0
		.amdhsa_exception_fp_denorm_src 0
		.amdhsa_exception_fp_ieee_div_zero 0
		.amdhsa_exception_fp_ieee_overflow 0
		.amdhsa_exception_fp_ieee_underflow 0
		.amdhsa_exception_fp_ieee_inexact 0
		.amdhsa_exception_int_div_zero 0
	.end_amdhsa_kernel
	.section	.text._ZN7rocprim17ROCPRIM_400000_NS6detail17trampoline_kernelINS0_14default_configENS1_36segmented_radix_sort_config_selectorI12hip_bfloat16lEEZNS1_25segmented_radix_sort_implIS3_Lb1EPKS5_PS5_PKlPlN2at6native12_GLOBAL__N_18offset_tEEE10hipError_tPvRmT1_PNSt15iterator_traitsISL_E10value_typeET2_T3_PNSM_ISR_E10value_typeET4_jRbjT5_SX_jjP12ihipStream_tbEUlT_E2_NS1_11comp_targetILNS1_3genE10ELNS1_11target_archE1201ELNS1_3gpuE5ELNS1_3repE0EEENS1_30default_config_static_selectorELNS0_4arch9wavefront6targetE0EEEvSL_,"axG",@progbits,_ZN7rocprim17ROCPRIM_400000_NS6detail17trampoline_kernelINS0_14default_configENS1_36segmented_radix_sort_config_selectorI12hip_bfloat16lEEZNS1_25segmented_radix_sort_implIS3_Lb1EPKS5_PS5_PKlPlN2at6native12_GLOBAL__N_18offset_tEEE10hipError_tPvRmT1_PNSt15iterator_traitsISL_E10value_typeET2_T3_PNSM_ISR_E10value_typeET4_jRbjT5_SX_jjP12ihipStream_tbEUlT_E2_NS1_11comp_targetILNS1_3genE10ELNS1_11target_archE1201ELNS1_3gpuE5ELNS1_3repE0EEENS1_30default_config_static_selectorELNS0_4arch9wavefront6targetE0EEEvSL_,comdat
.Lfunc_end1981:
	.size	_ZN7rocprim17ROCPRIM_400000_NS6detail17trampoline_kernelINS0_14default_configENS1_36segmented_radix_sort_config_selectorI12hip_bfloat16lEEZNS1_25segmented_radix_sort_implIS3_Lb1EPKS5_PS5_PKlPlN2at6native12_GLOBAL__N_18offset_tEEE10hipError_tPvRmT1_PNSt15iterator_traitsISL_E10value_typeET2_T3_PNSM_ISR_E10value_typeET4_jRbjT5_SX_jjP12ihipStream_tbEUlT_E2_NS1_11comp_targetILNS1_3genE10ELNS1_11target_archE1201ELNS1_3gpuE5ELNS1_3repE0EEENS1_30default_config_static_selectorELNS0_4arch9wavefront6targetE0EEEvSL_, .Lfunc_end1981-_ZN7rocprim17ROCPRIM_400000_NS6detail17trampoline_kernelINS0_14default_configENS1_36segmented_radix_sort_config_selectorI12hip_bfloat16lEEZNS1_25segmented_radix_sort_implIS3_Lb1EPKS5_PS5_PKlPlN2at6native12_GLOBAL__N_18offset_tEEE10hipError_tPvRmT1_PNSt15iterator_traitsISL_E10value_typeET2_T3_PNSM_ISR_E10value_typeET4_jRbjT5_SX_jjP12ihipStream_tbEUlT_E2_NS1_11comp_targetILNS1_3genE10ELNS1_11target_archE1201ELNS1_3gpuE5ELNS1_3repE0EEENS1_30default_config_static_selectorELNS0_4arch9wavefront6targetE0EEEvSL_
                                        ; -- End function
	.set _ZN7rocprim17ROCPRIM_400000_NS6detail17trampoline_kernelINS0_14default_configENS1_36segmented_radix_sort_config_selectorI12hip_bfloat16lEEZNS1_25segmented_radix_sort_implIS3_Lb1EPKS5_PS5_PKlPlN2at6native12_GLOBAL__N_18offset_tEEE10hipError_tPvRmT1_PNSt15iterator_traitsISL_E10value_typeET2_T3_PNSM_ISR_E10value_typeET4_jRbjT5_SX_jjP12ihipStream_tbEUlT_E2_NS1_11comp_targetILNS1_3genE10ELNS1_11target_archE1201ELNS1_3gpuE5ELNS1_3repE0EEENS1_30default_config_static_selectorELNS0_4arch9wavefront6targetE0EEEvSL_.num_vgpr, max(135, .L_ZN7rocprim17ROCPRIM_400000_NS6detail26segmented_warp_sort_helperINS1_20WarpSortHelperConfigILj8ELj4ELj256EEE12hip_bfloat16lLi256ELb1EvE4sortIPKS5_PS5_PKlPlEEvT_T0_T1_T2_jjjjRNS6_12storage_typeE.num_vgpr, .L_ZN7rocprim17ROCPRIM_400000_NS6detail40segmented_radix_sort_single_block_helperI12hip_bfloat16lLj256ELj8ELb1EE4sortIPKS3_PS3_PKlPlEEbT_T0_T1_T2_jjjjRNS4_12storage_typeE.num_vgpr)
	.set _ZN7rocprim17ROCPRIM_400000_NS6detail17trampoline_kernelINS0_14default_configENS1_36segmented_radix_sort_config_selectorI12hip_bfloat16lEEZNS1_25segmented_radix_sort_implIS3_Lb1EPKS5_PS5_PKlPlN2at6native12_GLOBAL__N_18offset_tEEE10hipError_tPvRmT1_PNSt15iterator_traitsISL_E10value_typeET2_T3_PNSM_ISR_E10value_typeET4_jRbjT5_SX_jjP12ihipStream_tbEUlT_E2_NS1_11comp_targetILNS1_3genE10ELNS1_11target_archE1201ELNS1_3gpuE5ELNS1_3repE0EEENS1_30default_config_static_selectorELNS0_4arch9wavefront6targetE0EEEvSL_.num_agpr, max(0, .L_ZN7rocprim17ROCPRIM_400000_NS6detail26segmented_warp_sort_helperINS1_20WarpSortHelperConfigILj8ELj4ELj256EEE12hip_bfloat16lLi256ELb1EvE4sortIPKS5_PS5_PKlPlEEvT_T0_T1_T2_jjjjRNS6_12storage_typeE.num_agpr, .L_ZN7rocprim17ROCPRIM_400000_NS6detail40segmented_radix_sort_single_block_helperI12hip_bfloat16lLj256ELj8ELb1EE4sortIPKS3_PS3_PKlPlEEbT_T0_T1_T2_jjjjRNS4_12storage_typeE.num_agpr)
	.set _ZN7rocprim17ROCPRIM_400000_NS6detail17trampoline_kernelINS0_14default_configENS1_36segmented_radix_sort_config_selectorI12hip_bfloat16lEEZNS1_25segmented_radix_sort_implIS3_Lb1EPKS5_PS5_PKlPlN2at6native12_GLOBAL__N_18offset_tEEE10hipError_tPvRmT1_PNSt15iterator_traitsISL_E10value_typeET2_T3_PNSM_ISR_E10value_typeET4_jRbjT5_SX_jjP12ihipStream_tbEUlT_E2_NS1_11comp_targetILNS1_3genE10ELNS1_11target_archE1201ELNS1_3gpuE5ELNS1_3repE0EEENS1_30default_config_static_selectorELNS0_4arch9wavefront6targetE0EEEvSL_.numbered_sgpr, max(50, .L_ZN7rocprim17ROCPRIM_400000_NS6detail26segmented_warp_sort_helperINS1_20WarpSortHelperConfigILj8ELj4ELj256EEE12hip_bfloat16lLi256ELb1EvE4sortIPKS5_PS5_PKlPlEEvT_T0_T1_T2_jjjjRNS6_12storage_typeE.numbered_sgpr, .L_ZN7rocprim17ROCPRIM_400000_NS6detail40segmented_radix_sort_single_block_helperI12hip_bfloat16lLj256ELj8ELb1EE4sortIPKS3_PS3_PKlPlEEbT_T0_T1_T2_jjjjRNS4_12storage_typeE.numbered_sgpr)
	.set _ZN7rocprim17ROCPRIM_400000_NS6detail17trampoline_kernelINS0_14default_configENS1_36segmented_radix_sort_config_selectorI12hip_bfloat16lEEZNS1_25segmented_radix_sort_implIS3_Lb1EPKS5_PS5_PKlPlN2at6native12_GLOBAL__N_18offset_tEEE10hipError_tPvRmT1_PNSt15iterator_traitsISL_E10value_typeET2_T3_PNSM_ISR_E10value_typeET4_jRbjT5_SX_jjP12ihipStream_tbEUlT_E2_NS1_11comp_targetILNS1_3genE10ELNS1_11target_archE1201ELNS1_3gpuE5ELNS1_3repE0EEENS1_30default_config_static_selectorELNS0_4arch9wavefront6targetE0EEEvSL_.num_named_barrier, max(0, .L_ZN7rocprim17ROCPRIM_400000_NS6detail26segmented_warp_sort_helperINS1_20WarpSortHelperConfigILj8ELj4ELj256EEE12hip_bfloat16lLi256ELb1EvE4sortIPKS5_PS5_PKlPlEEvT_T0_T1_T2_jjjjRNS6_12storage_typeE.num_named_barrier, .L_ZN7rocprim17ROCPRIM_400000_NS6detail40segmented_radix_sort_single_block_helperI12hip_bfloat16lLj256ELj8ELb1EE4sortIPKS3_PS3_PKlPlEEbT_T0_T1_T2_jjjjRNS4_12storage_typeE.num_named_barrier)
	.set _ZN7rocprim17ROCPRIM_400000_NS6detail17trampoline_kernelINS0_14default_configENS1_36segmented_radix_sort_config_selectorI12hip_bfloat16lEEZNS1_25segmented_radix_sort_implIS3_Lb1EPKS5_PS5_PKlPlN2at6native12_GLOBAL__N_18offset_tEEE10hipError_tPvRmT1_PNSt15iterator_traitsISL_E10value_typeET2_T3_PNSM_ISR_E10value_typeET4_jRbjT5_SX_jjP12ihipStream_tbEUlT_E2_NS1_11comp_targetILNS1_3genE10ELNS1_11target_archE1201ELNS1_3gpuE5ELNS1_3repE0EEENS1_30default_config_static_selectorELNS0_4arch9wavefront6targetE0EEEvSL_.private_seg_size, 0+max(.L_ZN7rocprim17ROCPRIM_400000_NS6detail26segmented_warp_sort_helperINS1_20WarpSortHelperConfigILj8ELj4ELj256EEE12hip_bfloat16lLi256ELb1EvE4sortIPKS5_PS5_PKlPlEEvT_T0_T1_T2_jjjjRNS6_12storage_typeE.private_seg_size, .L_ZN7rocprim17ROCPRIM_400000_NS6detail40segmented_radix_sort_single_block_helperI12hip_bfloat16lLj256ELj8ELb1EE4sortIPKS3_PS3_PKlPlEEbT_T0_T1_T2_jjjjRNS4_12storage_typeE.private_seg_size)
	.set _ZN7rocprim17ROCPRIM_400000_NS6detail17trampoline_kernelINS0_14default_configENS1_36segmented_radix_sort_config_selectorI12hip_bfloat16lEEZNS1_25segmented_radix_sort_implIS3_Lb1EPKS5_PS5_PKlPlN2at6native12_GLOBAL__N_18offset_tEEE10hipError_tPvRmT1_PNSt15iterator_traitsISL_E10value_typeET2_T3_PNSM_ISR_E10value_typeET4_jRbjT5_SX_jjP12ihipStream_tbEUlT_E2_NS1_11comp_targetILNS1_3genE10ELNS1_11target_archE1201ELNS1_3gpuE5ELNS1_3repE0EEENS1_30default_config_static_selectorELNS0_4arch9wavefront6targetE0EEEvSL_.uses_vcc, or(1, .L_ZN7rocprim17ROCPRIM_400000_NS6detail26segmented_warp_sort_helperINS1_20WarpSortHelperConfigILj8ELj4ELj256EEE12hip_bfloat16lLi256ELb1EvE4sortIPKS5_PS5_PKlPlEEvT_T0_T1_T2_jjjjRNS6_12storage_typeE.uses_vcc, .L_ZN7rocprim17ROCPRIM_400000_NS6detail40segmented_radix_sort_single_block_helperI12hip_bfloat16lLj256ELj8ELb1EE4sortIPKS3_PS3_PKlPlEEbT_T0_T1_T2_jjjjRNS4_12storage_typeE.uses_vcc)
	.set _ZN7rocprim17ROCPRIM_400000_NS6detail17trampoline_kernelINS0_14default_configENS1_36segmented_radix_sort_config_selectorI12hip_bfloat16lEEZNS1_25segmented_radix_sort_implIS3_Lb1EPKS5_PS5_PKlPlN2at6native12_GLOBAL__N_18offset_tEEE10hipError_tPvRmT1_PNSt15iterator_traitsISL_E10value_typeET2_T3_PNSM_ISR_E10value_typeET4_jRbjT5_SX_jjP12ihipStream_tbEUlT_E2_NS1_11comp_targetILNS1_3genE10ELNS1_11target_archE1201ELNS1_3gpuE5ELNS1_3repE0EEENS1_30default_config_static_selectorELNS0_4arch9wavefront6targetE0EEEvSL_.uses_flat_scratch, or(0, .L_ZN7rocprim17ROCPRIM_400000_NS6detail26segmented_warp_sort_helperINS1_20WarpSortHelperConfigILj8ELj4ELj256EEE12hip_bfloat16lLi256ELb1EvE4sortIPKS5_PS5_PKlPlEEvT_T0_T1_T2_jjjjRNS6_12storage_typeE.uses_flat_scratch, .L_ZN7rocprim17ROCPRIM_400000_NS6detail40segmented_radix_sort_single_block_helperI12hip_bfloat16lLj256ELj8ELb1EE4sortIPKS3_PS3_PKlPlEEbT_T0_T1_T2_jjjjRNS4_12storage_typeE.uses_flat_scratch)
	.set _ZN7rocprim17ROCPRIM_400000_NS6detail17trampoline_kernelINS0_14default_configENS1_36segmented_radix_sort_config_selectorI12hip_bfloat16lEEZNS1_25segmented_radix_sort_implIS3_Lb1EPKS5_PS5_PKlPlN2at6native12_GLOBAL__N_18offset_tEEE10hipError_tPvRmT1_PNSt15iterator_traitsISL_E10value_typeET2_T3_PNSM_ISR_E10value_typeET4_jRbjT5_SX_jjP12ihipStream_tbEUlT_E2_NS1_11comp_targetILNS1_3genE10ELNS1_11target_archE1201ELNS1_3gpuE5ELNS1_3repE0EEENS1_30default_config_static_selectorELNS0_4arch9wavefront6targetE0EEEvSL_.has_dyn_sized_stack, or(0, .L_ZN7rocprim17ROCPRIM_400000_NS6detail26segmented_warp_sort_helperINS1_20WarpSortHelperConfigILj8ELj4ELj256EEE12hip_bfloat16lLi256ELb1EvE4sortIPKS5_PS5_PKlPlEEvT_T0_T1_T2_jjjjRNS6_12storage_typeE.has_dyn_sized_stack, .L_ZN7rocprim17ROCPRIM_400000_NS6detail40segmented_radix_sort_single_block_helperI12hip_bfloat16lLj256ELj8ELb1EE4sortIPKS3_PS3_PKlPlEEbT_T0_T1_T2_jjjjRNS4_12storage_typeE.has_dyn_sized_stack)
	.set _ZN7rocprim17ROCPRIM_400000_NS6detail17trampoline_kernelINS0_14default_configENS1_36segmented_radix_sort_config_selectorI12hip_bfloat16lEEZNS1_25segmented_radix_sort_implIS3_Lb1EPKS5_PS5_PKlPlN2at6native12_GLOBAL__N_18offset_tEEE10hipError_tPvRmT1_PNSt15iterator_traitsISL_E10value_typeET2_T3_PNSM_ISR_E10value_typeET4_jRbjT5_SX_jjP12ihipStream_tbEUlT_E2_NS1_11comp_targetILNS1_3genE10ELNS1_11target_archE1201ELNS1_3gpuE5ELNS1_3repE0EEENS1_30default_config_static_selectorELNS0_4arch9wavefront6targetE0EEEvSL_.has_recursion, or(0, .L_ZN7rocprim17ROCPRIM_400000_NS6detail26segmented_warp_sort_helperINS1_20WarpSortHelperConfigILj8ELj4ELj256EEE12hip_bfloat16lLi256ELb1EvE4sortIPKS5_PS5_PKlPlEEvT_T0_T1_T2_jjjjRNS6_12storage_typeE.has_recursion, .L_ZN7rocprim17ROCPRIM_400000_NS6detail40segmented_radix_sort_single_block_helperI12hip_bfloat16lLj256ELj8ELb1EE4sortIPKS3_PS3_PKlPlEEbT_T0_T1_T2_jjjjRNS4_12storage_typeE.has_recursion)
	.set _ZN7rocprim17ROCPRIM_400000_NS6detail17trampoline_kernelINS0_14default_configENS1_36segmented_radix_sort_config_selectorI12hip_bfloat16lEEZNS1_25segmented_radix_sort_implIS3_Lb1EPKS5_PS5_PKlPlN2at6native12_GLOBAL__N_18offset_tEEE10hipError_tPvRmT1_PNSt15iterator_traitsISL_E10value_typeET2_T3_PNSM_ISR_E10value_typeET4_jRbjT5_SX_jjP12ihipStream_tbEUlT_E2_NS1_11comp_targetILNS1_3genE10ELNS1_11target_archE1201ELNS1_3gpuE5ELNS1_3repE0EEENS1_30default_config_static_selectorELNS0_4arch9wavefront6targetE0EEEvSL_.has_indirect_call, or(0, .L_ZN7rocprim17ROCPRIM_400000_NS6detail26segmented_warp_sort_helperINS1_20WarpSortHelperConfigILj8ELj4ELj256EEE12hip_bfloat16lLi256ELb1EvE4sortIPKS5_PS5_PKlPlEEvT_T0_T1_T2_jjjjRNS6_12storage_typeE.has_indirect_call, .L_ZN7rocprim17ROCPRIM_400000_NS6detail40segmented_radix_sort_single_block_helperI12hip_bfloat16lLj256ELj8ELb1EE4sortIPKS3_PS3_PKlPlEEbT_T0_T1_T2_jjjjRNS4_12storage_typeE.has_indirect_call)
	.section	.AMDGPU.csdata,"",@progbits
; Kernel info:
; codeLenInByte = 48392
; TotalNumSgprs: 52
; NumVgprs: 198
; ScratchSize: 0
; MemoryBound: 0
; FloatMode: 240
; IeeeMode: 1
; LDSByteSize: 17440 bytes/workgroup (compile time only)
; SGPRBlocks: 0
; VGPRBlocks: 24
; NumSGPRsForWavesPerEU: 52
; NumVGPRsForWavesPerEU: 198
; Occupancy: 7
; WaveLimiterHint : 1
; COMPUTE_PGM_RSRC2:SCRATCH_EN: 0
; COMPUTE_PGM_RSRC2:USER_SGPR: 2
; COMPUTE_PGM_RSRC2:TRAP_HANDLER: 0
; COMPUTE_PGM_RSRC2:TGID_X_EN: 1
; COMPUTE_PGM_RSRC2:TGID_Y_EN: 1
; COMPUTE_PGM_RSRC2:TGID_Z_EN: 0
; COMPUTE_PGM_RSRC2:TIDIG_COMP_CNT: 2
	.section	.text._ZN7rocprim17ROCPRIM_400000_NS6detail17trampoline_kernelINS0_14default_configENS1_36segmented_radix_sort_config_selectorI12hip_bfloat16lEEZNS1_25segmented_radix_sort_implIS3_Lb1EPKS5_PS5_PKlPlN2at6native12_GLOBAL__N_18offset_tEEE10hipError_tPvRmT1_PNSt15iterator_traitsISL_E10value_typeET2_T3_PNSM_ISR_E10value_typeET4_jRbjT5_SX_jjP12ihipStream_tbEUlT_E2_NS1_11comp_targetILNS1_3genE10ELNS1_11target_archE1200ELNS1_3gpuE4ELNS1_3repE0EEENS1_30default_config_static_selectorELNS0_4arch9wavefront6targetE0EEEvSL_,"axG",@progbits,_ZN7rocprim17ROCPRIM_400000_NS6detail17trampoline_kernelINS0_14default_configENS1_36segmented_radix_sort_config_selectorI12hip_bfloat16lEEZNS1_25segmented_radix_sort_implIS3_Lb1EPKS5_PS5_PKlPlN2at6native12_GLOBAL__N_18offset_tEEE10hipError_tPvRmT1_PNSt15iterator_traitsISL_E10value_typeET2_T3_PNSM_ISR_E10value_typeET4_jRbjT5_SX_jjP12ihipStream_tbEUlT_E2_NS1_11comp_targetILNS1_3genE10ELNS1_11target_archE1200ELNS1_3gpuE4ELNS1_3repE0EEENS1_30default_config_static_selectorELNS0_4arch9wavefront6targetE0EEEvSL_,comdat
	.globl	_ZN7rocprim17ROCPRIM_400000_NS6detail17trampoline_kernelINS0_14default_configENS1_36segmented_radix_sort_config_selectorI12hip_bfloat16lEEZNS1_25segmented_radix_sort_implIS3_Lb1EPKS5_PS5_PKlPlN2at6native12_GLOBAL__N_18offset_tEEE10hipError_tPvRmT1_PNSt15iterator_traitsISL_E10value_typeET2_T3_PNSM_ISR_E10value_typeET4_jRbjT5_SX_jjP12ihipStream_tbEUlT_E2_NS1_11comp_targetILNS1_3genE10ELNS1_11target_archE1200ELNS1_3gpuE4ELNS1_3repE0EEENS1_30default_config_static_selectorELNS0_4arch9wavefront6targetE0EEEvSL_ ; -- Begin function _ZN7rocprim17ROCPRIM_400000_NS6detail17trampoline_kernelINS0_14default_configENS1_36segmented_radix_sort_config_selectorI12hip_bfloat16lEEZNS1_25segmented_radix_sort_implIS3_Lb1EPKS5_PS5_PKlPlN2at6native12_GLOBAL__N_18offset_tEEE10hipError_tPvRmT1_PNSt15iterator_traitsISL_E10value_typeET2_T3_PNSM_ISR_E10value_typeET4_jRbjT5_SX_jjP12ihipStream_tbEUlT_E2_NS1_11comp_targetILNS1_3genE10ELNS1_11target_archE1200ELNS1_3gpuE4ELNS1_3repE0EEENS1_30default_config_static_selectorELNS0_4arch9wavefront6targetE0EEEvSL_
	.p2align	8
	.type	_ZN7rocprim17ROCPRIM_400000_NS6detail17trampoline_kernelINS0_14default_configENS1_36segmented_radix_sort_config_selectorI12hip_bfloat16lEEZNS1_25segmented_radix_sort_implIS3_Lb1EPKS5_PS5_PKlPlN2at6native12_GLOBAL__N_18offset_tEEE10hipError_tPvRmT1_PNSt15iterator_traitsISL_E10value_typeET2_T3_PNSM_ISR_E10value_typeET4_jRbjT5_SX_jjP12ihipStream_tbEUlT_E2_NS1_11comp_targetILNS1_3genE10ELNS1_11target_archE1200ELNS1_3gpuE4ELNS1_3repE0EEENS1_30default_config_static_selectorELNS0_4arch9wavefront6targetE0EEEvSL_,@function
_ZN7rocprim17ROCPRIM_400000_NS6detail17trampoline_kernelINS0_14default_configENS1_36segmented_radix_sort_config_selectorI12hip_bfloat16lEEZNS1_25segmented_radix_sort_implIS3_Lb1EPKS5_PS5_PKlPlN2at6native12_GLOBAL__N_18offset_tEEE10hipError_tPvRmT1_PNSt15iterator_traitsISL_E10value_typeET2_T3_PNSM_ISR_E10value_typeET4_jRbjT5_SX_jjP12ihipStream_tbEUlT_E2_NS1_11comp_targetILNS1_3genE10ELNS1_11target_archE1200ELNS1_3gpuE4ELNS1_3repE0EEENS1_30default_config_static_selectorELNS0_4arch9wavefront6targetE0EEEvSL_: ; @_ZN7rocprim17ROCPRIM_400000_NS6detail17trampoline_kernelINS0_14default_configENS1_36segmented_radix_sort_config_selectorI12hip_bfloat16lEEZNS1_25segmented_radix_sort_implIS3_Lb1EPKS5_PS5_PKlPlN2at6native12_GLOBAL__N_18offset_tEEE10hipError_tPvRmT1_PNSt15iterator_traitsISL_E10value_typeET2_T3_PNSM_ISR_E10value_typeET4_jRbjT5_SX_jjP12ihipStream_tbEUlT_E2_NS1_11comp_targetILNS1_3genE10ELNS1_11target_archE1200ELNS1_3gpuE4ELNS1_3repE0EEENS1_30default_config_static_selectorELNS0_4arch9wavefront6targetE0EEEvSL_
; %bb.0:
	.section	.rodata,"a",@progbits
	.p2align	6, 0x0
	.amdhsa_kernel _ZN7rocprim17ROCPRIM_400000_NS6detail17trampoline_kernelINS0_14default_configENS1_36segmented_radix_sort_config_selectorI12hip_bfloat16lEEZNS1_25segmented_radix_sort_implIS3_Lb1EPKS5_PS5_PKlPlN2at6native12_GLOBAL__N_18offset_tEEE10hipError_tPvRmT1_PNSt15iterator_traitsISL_E10value_typeET2_T3_PNSM_ISR_E10value_typeET4_jRbjT5_SX_jjP12ihipStream_tbEUlT_E2_NS1_11comp_targetILNS1_3genE10ELNS1_11target_archE1200ELNS1_3gpuE4ELNS1_3repE0EEENS1_30default_config_static_selectorELNS0_4arch9wavefront6targetE0EEEvSL_
		.amdhsa_group_segment_fixed_size 0
		.amdhsa_private_segment_fixed_size 0
		.amdhsa_kernarg_size 80
		.amdhsa_user_sgpr_count 2
		.amdhsa_user_sgpr_dispatch_ptr 0
		.amdhsa_user_sgpr_queue_ptr 0
		.amdhsa_user_sgpr_kernarg_segment_ptr 1
		.amdhsa_user_sgpr_dispatch_id 0
		.amdhsa_user_sgpr_private_segment_size 0
		.amdhsa_wavefront_size32 1
		.amdhsa_uses_dynamic_stack 0
		.amdhsa_enable_private_segment 0
		.amdhsa_system_sgpr_workgroup_id_x 1
		.amdhsa_system_sgpr_workgroup_id_y 0
		.amdhsa_system_sgpr_workgroup_id_z 0
		.amdhsa_system_sgpr_workgroup_info 0
		.amdhsa_system_vgpr_workitem_id 0
		.amdhsa_next_free_vgpr 1
		.amdhsa_next_free_sgpr 1
		.amdhsa_reserve_vcc 0
		.amdhsa_float_round_mode_32 0
		.amdhsa_float_round_mode_16_64 0
		.amdhsa_float_denorm_mode_32 3
		.amdhsa_float_denorm_mode_16_64 3
		.amdhsa_fp16_overflow 0
		.amdhsa_workgroup_processor_mode 1
		.amdhsa_memory_ordered 1
		.amdhsa_forward_progress 1
		.amdhsa_inst_pref_size 0
		.amdhsa_round_robin_scheduling 0
		.amdhsa_exception_fp_ieee_invalid_op 0
		.amdhsa_exception_fp_denorm_src 0
		.amdhsa_exception_fp_ieee_div_zero 0
		.amdhsa_exception_fp_ieee_overflow 0
		.amdhsa_exception_fp_ieee_underflow 0
		.amdhsa_exception_fp_ieee_inexact 0
		.amdhsa_exception_int_div_zero 0
	.end_amdhsa_kernel
	.section	.text._ZN7rocprim17ROCPRIM_400000_NS6detail17trampoline_kernelINS0_14default_configENS1_36segmented_radix_sort_config_selectorI12hip_bfloat16lEEZNS1_25segmented_radix_sort_implIS3_Lb1EPKS5_PS5_PKlPlN2at6native12_GLOBAL__N_18offset_tEEE10hipError_tPvRmT1_PNSt15iterator_traitsISL_E10value_typeET2_T3_PNSM_ISR_E10value_typeET4_jRbjT5_SX_jjP12ihipStream_tbEUlT_E2_NS1_11comp_targetILNS1_3genE10ELNS1_11target_archE1200ELNS1_3gpuE4ELNS1_3repE0EEENS1_30default_config_static_selectorELNS0_4arch9wavefront6targetE0EEEvSL_,"axG",@progbits,_ZN7rocprim17ROCPRIM_400000_NS6detail17trampoline_kernelINS0_14default_configENS1_36segmented_radix_sort_config_selectorI12hip_bfloat16lEEZNS1_25segmented_radix_sort_implIS3_Lb1EPKS5_PS5_PKlPlN2at6native12_GLOBAL__N_18offset_tEEE10hipError_tPvRmT1_PNSt15iterator_traitsISL_E10value_typeET2_T3_PNSM_ISR_E10value_typeET4_jRbjT5_SX_jjP12ihipStream_tbEUlT_E2_NS1_11comp_targetILNS1_3genE10ELNS1_11target_archE1200ELNS1_3gpuE4ELNS1_3repE0EEENS1_30default_config_static_selectorELNS0_4arch9wavefront6targetE0EEEvSL_,comdat
.Lfunc_end1982:
	.size	_ZN7rocprim17ROCPRIM_400000_NS6detail17trampoline_kernelINS0_14default_configENS1_36segmented_radix_sort_config_selectorI12hip_bfloat16lEEZNS1_25segmented_radix_sort_implIS3_Lb1EPKS5_PS5_PKlPlN2at6native12_GLOBAL__N_18offset_tEEE10hipError_tPvRmT1_PNSt15iterator_traitsISL_E10value_typeET2_T3_PNSM_ISR_E10value_typeET4_jRbjT5_SX_jjP12ihipStream_tbEUlT_E2_NS1_11comp_targetILNS1_3genE10ELNS1_11target_archE1200ELNS1_3gpuE4ELNS1_3repE0EEENS1_30default_config_static_selectorELNS0_4arch9wavefront6targetE0EEEvSL_, .Lfunc_end1982-_ZN7rocprim17ROCPRIM_400000_NS6detail17trampoline_kernelINS0_14default_configENS1_36segmented_radix_sort_config_selectorI12hip_bfloat16lEEZNS1_25segmented_radix_sort_implIS3_Lb1EPKS5_PS5_PKlPlN2at6native12_GLOBAL__N_18offset_tEEE10hipError_tPvRmT1_PNSt15iterator_traitsISL_E10value_typeET2_T3_PNSM_ISR_E10value_typeET4_jRbjT5_SX_jjP12ihipStream_tbEUlT_E2_NS1_11comp_targetILNS1_3genE10ELNS1_11target_archE1200ELNS1_3gpuE4ELNS1_3repE0EEENS1_30default_config_static_selectorELNS0_4arch9wavefront6targetE0EEEvSL_
                                        ; -- End function
	.set _ZN7rocprim17ROCPRIM_400000_NS6detail17trampoline_kernelINS0_14default_configENS1_36segmented_radix_sort_config_selectorI12hip_bfloat16lEEZNS1_25segmented_radix_sort_implIS3_Lb1EPKS5_PS5_PKlPlN2at6native12_GLOBAL__N_18offset_tEEE10hipError_tPvRmT1_PNSt15iterator_traitsISL_E10value_typeET2_T3_PNSM_ISR_E10value_typeET4_jRbjT5_SX_jjP12ihipStream_tbEUlT_E2_NS1_11comp_targetILNS1_3genE10ELNS1_11target_archE1200ELNS1_3gpuE4ELNS1_3repE0EEENS1_30default_config_static_selectorELNS0_4arch9wavefront6targetE0EEEvSL_.num_vgpr, 0
	.set _ZN7rocprim17ROCPRIM_400000_NS6detail17trampoline_kernelINS0_14default_configENS1_36segmented_radix_sort_config_selectorI12hip_bfloat16lEEZNS1_25segmented_radix_sort_implIS3_Lb1EPKS5_PS5_PKlPlN2at6native12_GLOBAL__N_18offset_tEEE10hipError_tPvRmT1_PNSt15iterator_traitsISL_E10value_typeET2_T3_PNSM_ISR_E10value_typeET4_jRbjT5_SX_jjP12ihipStream_tbEUlT_E2_NS1_11comp_targetILNS1_3genE10ELNS1_11target_archE1200ELNS1_3gpuE4ELNS1_3repE0EEENS1_30default_config_static_selectorELNS0_4arch9wavefront6targetE0EEEvSL_.num_agpr, 0
	.set _ZN7rocprim17ROCPRIM_400000_NS6detail17trampoline_kernelINS0_14default_configENS1_36segmented_radix_sort_config_selectorI12hip_bfloat16lEEZNS1_25segmented_radix_sort_implIS3_Lb1EPKS5_PS5_PKlPlN2at6native12_GLOBAL__N_18offset_tEEE10hipError_tPvRmT1_PNSt15iterator_traitsISL_E10value_typeET2_T3_PNSM_ISR_E10value_typeET4_jRbjT5_SX_jjP12ihipStream_tbEUlT_E2_NS1_11comp_targetILNS1_3genE10ELNS1_11target_archE1200ELNS1_3gpuE4ELNS1_3repE0EEENS1_30default_config_static_selectorELNS0_4arch9wavefront6targetE0EEEvSL_.numbered_sgpr, 0
	.set _ZN7rocprim17ROCPRIM_400000_NS6detail17trampoline_kernelINS0_14default_configENS1_36segmented_radix_sort_config_selectorI12hip_bfloat16lEEZNS1_25segmented_radix_sort_implIS3_Lb1EPKS5_PS5_PKlPlN2at6native12_GLOBAL__N_18offset_tEEE10hipError_tPvRmT1_PNSt15iterator_traitsISL_E10value_typeET2_T3_PNSM_ISR_E10value_typeET4_jRbjT5_SX_jjP12ihipStream_tbEUlT_E2_NS1_11comp_targetILNS1_3genE10ELNS1_11target_archE1200ELNS1_3gpuE4ELNS1_3repE0EEENS1_30default_config_static_selectorELNS0_4arch9wavefront6targetE0EEEvSL_.num_named_barrier, 0
	.set _ZN7rocprim17ROCPRIM_400000_NS6detail17trampoline_kernelINS0_14default_configENS1_36segmented_radix_sort_config_selectorI12hip_bfloat16lEEZNS1_25segmented_radix_sort_implIS3_Lb1EPKS5_PS5_PKlPlN2at6native12_GLOBAL__N_18offset_tEEE10hipError_tPvRmT1_PNSt15iterator_traitsISL_E10value_typeET2_T3_PNSM_ISR_E10value_typeET4_jRbjT5_SX_jjP12ihipStream_tbEUlT_E2_NS1_11comp_targetILNS1_3genE10ELNS1_11target_archE1200ELNS1_3gpuE4ELNS1_3repE0EEENS1_30default_config_static_selectorELNS0_4arch9wavefront6targetE0EEEvSL_.private_seg_size, 0
	.set _ZN7rocprim17ROCPRIM_400000_NS6detail17trampoline_kernelINS0_14default_configENS1_36segmented_radix_sort_config_selectorI12hip_bfloat16lEEZNS1_25segmented_radix_sort_implIS3_Lb1EPKS5_PS5_PKlPlN2at6native12_GLOBAL__N_18offset_tEEE10hipError_tPvRmT1_PNSt15iterator_traitsISL_E10value_typeET2_T3_PNSM_ISR_E10value_typeET4_jRbjT5_SX_jjP12ihipStream_tbEUlT_E2_NS1_11comp_targetILNS1_3genE10ELNS1_11target_archE1200ELNS1_3gpuE4ELNS1_3repE0EEENS1_30default_config_static_selectorELNS0_4arch9wavefront6targetE0EEEvSL_.uses_vcc, 0
	.set _ZN7rocprim17ROCPRIM_400000_NS6detail17trampoline_kernelINS0_14default_configENS1_36segmented_radix_sort_config_selectorI12hip_bfloat16lEEZNS1_25segmented_radix_sort_implIS3_Lb1EPKS5_PS5_PKlPlN2at6native12_GLOBAL__N_18offset_tEEE10hipError_tPvRmT1_PNSt15iterator_traitsISL_E10value_typeET2_T3_PNSM_ISR_E10value_typeET4_jRbjT5_SX_jjP12ihipStream_tbEUlT_E2_NS1_11comp_targetILNS1_3genE10ELNS1_11target_archE1200ELNS1_3gpuE4ELNS1_3repE0EEENS1_30default_config_static_selectorELNS0_4arch9wavefront6targetE0EEEvSL_.uses_flat_scratch, 0
	.set _ZN7rocprim17ROCPRIM_400000_NS6detail17trampoline_kernelINS0_14default_configENS1_36segmented_radix_sort_config_selectorI12hip_bfloat16lEEZNS1_25segmented_radix_sort_implIS3_Lb1EPKS5_PS5_PKlPlN2at6native12_GLOBAL__N_18offset_tEEE10hipError_tPvRmT1_PNSt15iterator_traitsISL_E10value_typeET2_T3_PNSM_ISR_E10value_typeET4_jRbjT5_SX_jjP12ihipStream_tbEUlT_E2_NS1_11comp_targetILNS1_3genE10ELNS1_11target_archE1200ELNS1_3gpuE4ELNS1_3repE0EEENS1_30default_config_static_selectorELNS0_4arch9wavefront6targetE0EEEvSL_.has_dyn_sized_stack, 0
	.set _ZN7rocprim17ROCPRIM_400000_NS6detail17trampoline_kernelINS0_14default_configENS1_36segmented_radix_sort_config_selectorI12hip_bfloat16lEEZNS1_25segmented_radix_sort_implIS3_Lb1EPKS5_PS5_PKlPlN2at6native12_GLOBAL__N_18offset_tEEE10hipError_tPvRmT1_PNSt15iterator_traitsISL_E10value_typeET2_T3_PNSM_ISR_E10value_typeET4_jRbjT5_SX_jjP12ihipStream_tbEUlT_E2_NS1_11comp_targetILNS1_3genE10ELNS1_11target_archE1200ELNS1_3gpuE4ELNS1_3repE0EEENS1_30default_config_static_selectorELNS0_4arch9wavefront6targetE0EEEvSL_.has_recursion, 0
	.set _ZN7rocprim17ROCPRIM_400000_NS6detail17trampoline_kernelINS0_14default_configENS1_36segmented_radix_sort_config_selectorI12hip_bfloat16lEEZNS1_25segmented_radix_sort_implIS3_Lb1EPKS5_PS5_PKlPlN2at6native12_GLOBAL__N_18offset_tEEE10hipError_tPvRmT1_PNSt15iterator_traitsISL_E10value_typeET2_T3_PNSM_ISR_E10value_typeET4_jRbjT5_SX_jjP12ihipStream_tbEUlT_E2_NS1_11comp_targetILNS1_3genE10ELNS1_11target_archE1200ELNS1_3gpuE4ELNS1_3repE0EEENS1_30default_config_static_selectorELNS0_4arch9wavefront6targetE0EEEvSL_.has_indirect_call, 0
	.section	.AMDGPU.csdata,"",@progbits
; Kernel info:
; codeLenInByte = 0
; TotalNumSgprs: 0
; NumVgprs: 0
; ScratchSize: 0
; MemoryBound: 0
; FloatMode: 240
; IeeeMode: 1
; LDSByteSize: 0 bytes/workgroup (compile time only)
; SGPRBlocks: 0
; VGPRBlocks: 0
; NumSGPRsForWavesPerEU: 1
; NumVGPRsForWavesPerEU: 1
; Occupancy: 16
; WaveLimiterHint : 0
; COMPUTE_PGM_RSRC2:SCRATCH_EN: 0
; COMPUTE_PGM_RSRC2:USER_SGPR: 2
; COMPUTE_PGM_RSRC2:TRAP_HANDLER: 0
; COMPUTE_PGM_RSRC2:TGID_X_EN: 1
; COMPUTE_PGM_RSRC2:TGID_Y_EN: 0
; COMPUTE_PGM_RSRC2:TGID_Z_EN: 0
; COMPUTE_PGM_RSRC2:TIDIG_COMP_CNT: 0
	.section	.text._ZN7rocprim17ROCPRIM_400000_NS6detail17trampoline_kernelINS0_14default_configENS1_36segmented_radix_sort_config_selectorI12hip_bfloat16lEEZNS1_25segmented_radix_sort_implIS3_Lb1EPKS5_PS5_PKlPlN2at6native12_GLOBAL__N_18offset_tEEE10hipError_tPvRmT1_PNSt15iterator_traitsISL_E10value_typeET2_T3_PNSM_ISR_E10value_typeET4_jRbjT5_SX_jjP12ihipStream_tbEUlT_E2_NS1_11comp_targetILNS1_3genE9ELNS1_11target_archE1100ELNS1_3gpuE3ELNS1_3repE0EEENS1_30default_config_static_selectorELNS0_4arch9wavefront6targetE0EEEvSL_,"axG",@progbits,_ZN7rocprim17ROCPRIM_400000_NS6detail17trampoline_kernelINS0_14default_configENS1_36segmented_radix_sort_config_selectorI12hip_bfloat16lEEZNS1_25segmented_radix_sort_implIS3_Lb1EPKS5_PS5_PKlPlN2at6native12_GLOBAL__N_18offset_tEEE10hipError_tPvRmT1_PNSt15iterator_traitsISL_E10value_typeET2_T3_PNSM_ISR_E10value_typeET4_jRbjT5_SX_jjP12ihipStream_tbEUlT_E2_NS1_11comp_targetILNS1_3genE9ELNS1_11target_archE1100ELNS1_3gpuE3ELNS1_3repE0EEENS1_30default_config_static_selectorELNS0_4arch9wavefront6targetE0EEEvSL_,comdat
	.globl	_ZN7rocprim17ROCPRIM_400000_NS6detail17trampoline_kernelINS0_14default_configENS1_36segmented_radix_sort_config_selectorI12hip_bfloat16lEEZNS1_25segmented_radix_sort_implIS3_Lb1EPKS5_PS5_PKlPlN2at6native12_GLOBAL__N_18offset_tEEE10hipError_tPvRmT1_PNSt15iterator_traitsISL_E10value_typeET2_T3_PNSM_ISR_E10value_typeET4_jRbjT5_SX_jjP12ihipStream_tbEUlT_E2_NS1_11comp_targetILNS1_3genE9ELNS1_11target_archE1100ELNS1_3gpuE3ELNS1_3repE0EEENS1_30default_config_static_selectorELNS0_4arch9wavefront6targetE0EEEvSL_ ; -- Begin function _ZN7rocprim17ROCPRIM_400000_NS6detail17trampoline_kernelINS0_14default_configENS1_36segmented_radix_sort_config_selectorI12hip_bfloat16lEEZNS1_25segmented_radix_sort_implIS3_Lb1EPKS5_PS5_PKlPlN2at6native12_GLOBAL__N_18offset_tEEE10hipError_tPvRmT1_PNSt15iterator_traitsISL_E10value_typeET2_T3_PNSM_ISR_E10value_typeET4_jRbjT5_SX_jjP12ihipStream_tbEUlT_E2_NS1_11comp_targetILNS1_3genE9ELNS1_11target_archE1100ELNS1_3gpuE3ELNS1_3repE0EEENS1_30default_config_static_selectorELNS0_4arch9wavefront6targetE0EEEvSL_
	.p2align	8
	.type	_ZN7rocprim17ROCPRIM_400000_NS6detail17trampoline_kernelINS0_14default_configENS1_36segmented_radix_sort_config_selectorI12hip_bfloat16lEEZNS1_25segmented_radix_sort_implIS3_Lb1EPKS5_PS5_PKlPlN2at6native12_GLOBAL__N_18offset_tEEE10hipError_tPvRmT1_PNSt15iterator_traitsISL_E10value_typeET2_T3_PNSM_ISR_E10value_typeET4_jRbjT5_SX_jjP12ihipStream_tbEUlT_E2_NS1_11comp_targetILNS1_3genE9ELNS1_11target_archE1100ELNS1_3gpuE3ELNS1_3repE0EEENS1_30default_config_static_selectorELNS0_4arch9wavefront6targetE0EEEvSL_,@function
_ZN7rocprim17ROCPRIM_400000_NS6detail17trampoline_kernelINS0_14default_configENS1_36segmented_radix_sort_config_selectorI12hip_bfloat16lEEZNS1_25segmented_radix_sort_implIS3_Lb1EPKS5_PS5_PKlPlN2at6native12_GLOBAL__N_18offset_tEEE10hipError_tPvRmT1_PNSt15iterator_traitsISL_E10value_typeET2_T3_PNSM_ISR_E10value_typeET4_jRbjT5_SX_jjP12ihipStream_tbEUlT_E2_NS1_11comp_targetILNS1_3genE9ELNS1_11target_archE1100ELNS1_3gpuE3ELNS1_3repE0EEENS1_30default_config_static_selectorELNS0_4arch9wavefront6targetE0EEEvSL_: ; @_ZN7rocprim17ROCPRIM_400000_NS6detail17trampoline_kernelINS0_14default_configENS1_36segmented_radix_sort_config_selectorI12hip_bfloat16lEEZNS1_25segmented_radix_sort_implIS3_Lb1EPKS5_PS5_PKlPlN2at6native12_GLOBAL__N_18offset_tEEE10hipError_tPvRmT1_PNSt15iterator_traitsISL_E10value_typeET2_T3_PNSM_ISR_E10value_typeET4_jRbjT5_SX_jjP12ihipStream_tbEUlT_E2_NS1_11comp_targetILNS1_3genE9ELNS1_11target_archE1100ELNS1_3gpuE3ELNS1_3repE0EEENS1_30default_config_static_selectorELNS0_4arch9wavefront6targetE0EEEvSL_
; %bb.0:
	.section	.rodata,"a",@progbits
	.p2align	6, 0x0
	.amdhsa_kernel _ZN7rocprim17ROCPRIM_400000_NS6detail17trampoline_kernelINS0_14default_configENS1_36segmented_radix_sort_config_selectorI12hip_bfloat16lEEZNS1_25segmented_radix_sort_implIS3_Lb1EPKS5_PS5_PKlPlN2at6native12_GLOBAL__N_18offset_tEEE10hipError_tPvRmT1_PNSt15iterator_traitsISL_E10value_typeET2_T3_PNSM_ISR_E10value_typeET4_jRbjT5_SX_jjP12ihipStream_tbEUlT_E2_NS1_11comp_targetILNS1_3genE9ELNS1_11target_archE1100ELNS1_3gpuE3ELNS1_3repE0EEENS1_30default_config_static_selectorELNS0_4arch9wavefront6targetE0EEEvSL_
		.amdhsa_group_segment_fixed_size 0
		.amdhsa_private_segment_fixed_size 0
		.amdhsa_kernarg_size 80
		.amdhsa_user_sgpr_count 2
		.amdhsa_user_sgpr_dispatch_ptr 0
		.amdhsa_user_sgpr_queue_ptr 0
		.amdhsa_user_sgpr_kernarg_segment_ptr 1
		.amdhsa_user_sgpr_dispatch_id 0
		.amdhsa_user_sgpr_private_segment_size 0
		.amdhsa_wavefront_size32 1
		.amdhsa_uses_dynamic_stack 0
		.amdhsa_enable_private_segment 0
		.amdhsa_system_sgpr_workgroup_id_x 1
		.amdhsa_system_sgpr_workgroup_id_y 0
		.amdhsa_system_sgpr_workgroup_id_z 0
		.amdhsa_system_sgpr_workgroup_info 0
		.amdhsa_system_vgpr_workitem_id 0
		.amdhsa_next_free_vgpr 1
		.amdhsa_next_free_sgpr 1
		.amdhsa_reserve_vcc 0
		.amdhsa_float_round_mode_32 0
		.amdhsa_float_round_mode_16_64 0
		.amdhsa_float_denorm_mode_32 3
		.amdhsa_float_denorm_mode_16_64 3
		.amdhsa_fp16_overflow 0
		.amdhsa_workgroup_processor_mode 1
		.amdhsa_memory_ordered 1
		.amdhsa_forward_progress 1
		.amdhsa_inst_pref_size 0
		.amdhsa_round_robin_scheduling 0
		.amdhsa_exception_fp_ieee_invalid_op 0
		.amdhsa_exception_fp_denorm_src 0
		.amdhsa_exception_fp_ieee_div_zero 0
		.amdhsa_exception_fp_ieee_overflow 0
		.amdhsa_exception_fp_ieee_underflow 0
		.amdhsa_exception_fp_ieee_inexact 0
		.amdhsa_exception_int_div_zero 0
	.end_amdhsa_kernel
	.section	.text._ZN7rocprim17ROCPRIM_400000_NS6detail17trampoline_kernelINS0_14default_configENS1_36segmented_radix_sort_config_selectorI12hip_bfloat16lEEZNS1_25segmented_radix_sort_implIS3_Lb1EPKS5_PS5_PKlPlN2at6native12_GLOBAL__N_18offset_tEEE10hipError_tPvRmT1_PNSt15iterator_traitsISL_E10value_typeET2_T3_PNSM_ISR_E10value_typeET4_jRbjT5_SX_jjP12ihipStream_tbEUlT_E2_NS1_11comp_targetILNS1_3genE9ELNS1_11target_archE1100ELNS1_3gpuE3ELNS1_3repE0EEENS1_30default_config_static_selectorELNS0_4arch9wavefront6targetE0EEEvSL_,"axG",@progbits,_ZN7rocprim17ROCPRIM_400000_NS6detail17trampoline_kernelINS0_14default_configENS1_36segmented_radix_sort_config_selectorI12hip_bfloat16lEEZNS1_25segmented_radix_sort_implIS3_Lb1EPKS5_PS5_PKlPlN2at6native12_GLOBAL__N_18offset_tEEE10hipError_tPvRmT1_PNSt15iterator_traitsISL_E10value_typeET2_T3_PNSM_ISR_E10value_typeET4_jRbjT5_SX_jjP12ihipStream_tbEUlT_E2_NS1_11comp_targetILNS1_3genE9ELNS1_11target_archE1100ELNS1_3gpuE3ELNS1_3repE0EEENS1_30default_config_static_selectorELNS0_4arch9wavefront6targetE0EEEvSL_,comdat
.Lfunc_end1983:
	.size	_ZN7rocprim17ROCPRIM_400000_NS6detail17trampoline_kernelINS0_14default_configENS1_36segmented_radix_sort_config_selectorI12hip_bfloat16lEEZNS1_25segmented_radix_sort_implIS3_Lb1EPKS5_PS5_PKlPlN2at6native12_GLOBAL__N_18offset_tEEE10hipError_tPvRmT1_PNSt15iterator_traitsISL_E10value_typeET2_T3_PNSM_ISR_E10value_typeET4_jRbjT5_SX_jjP12ihipStream_tbEUlT_E2_NS1_11comp_targetILNS1_3genE9ELNS1_11target_archE1100ELNS1_3gpuE3ELNS1_3repE0EEENS1_30default_config_static_selectorELNS0_4arch9wavefront6targetE0EEEvSL_, .Lfunc_end1983-_ZN7rocprim17ROCPRIM_400000_NS6detail17trampoline_kernelINS0_14default_configENS1_36segmented_radix_sort_config_selectorI12hip_bfloat16lEEZNS1_25segmented_radix_sort_implIS3_Lb1EPKS5_PS5_PKlPlN2at6native12_GLOBAL__N_18offset_tEEE10hipError_tPvRmT1_PNSt15iterator_traitsISL_E10value_typeET2_T3_PNSM_ISR_E10value_typeET4_jRbjT5_SX_jjP12ihipStream_tbEUlT_E2_NS1_11comp_targetILNS1_3genE9ELNS1_11target_archE1100ELNS1_3gpuE3ELNS1_3repE0EEENS1_30default_config_static_selectorELNS0_4arch9wavefront6targetE0EEEvSL_
                                        ; -- End function
	.set _ZN7rocprim17ROCPRIM_400000_NS6detail17trampoline_kernelINS0_14default_configENS1_36segmented_radix_sort_config_selectorI12hip_bfloat16lEEZNS1_25segmented_radix_sort_implIS3_Lb1EPKS5_PS5_PKlPlN2at6native12_GLOBAL__N_18offset_tEEE10hipError_tPvRmT1_PNSt15iterator_traitsISL_E10value_typeET2_T3_PNSM_ISR_E10value_typeET4_jRbjT5_SX_jjP12ihipStream_tbEUlT_E2_NS1_11comp_targetILNS1_3genE9ELNS1_11target_archE1100ELNS1_3gpuE3ELNS1_3repE0EEENS1_30default_config_static_selectorELNS0_4arch9wavefront6targetE0EEEvSL_.num_vgpr, 0
	.set _ZN7rocprim17ROCPRIM_400000_NS6detail17trampoline_kernelINS0_14default_configENS1_36segmented_radix_sort_config_selectorI12hip_bfloat16lEEZNS1_25segmented_radix_sort_implIS3_Lb1EPKS5_PS5_PKlPlN2at6native12_GLOBAL__N_18offset_tEEE10hipError_tPvRmT1_PNSt15iterator_traitsISL_E10value_typeET2_T3_PNSM_ISR_E10value_typeET4_jRbjT5_SX_jjP12ihipStream_tbEUlT_E2_NS1_11comp_targetILNS1_3genE9ELNS1_11target_archE1100ELNS1_3gpuE3ELNS1_3repE0EEENS1_30default_config_static_selectorELNS0_4arch9wavefront6targetE0EEEvSL_.num_agpr, 0
	.set _ZN7rocprim17ROCPRIM_400000_NS6detail17trampoline_kernelINS0_14default_configENS1_36segmented_radix_sort_config_selectorI12hip_bfloat16lEEZNS1_25segmented_radix_sort_implIS3_Lb1EPKS5_PS5_PKlPlN2at6native12_GLOBAL__N_18offset_tEEE10hipError_tPvRmT1_PNSt15iterator_traitsISL_E10value_typeET2_T3_PNSM_ISR_E10value_typeET4_jRbjT5_SX_jjP12ihipStream_tbEUlT_E2_NS1_11comp_targetILNS1_3genE9ELNS1_11target_archE1100ELNS1_3gpuE3ELNS1_3repE0EEENS1_30default_config_static_selectorELNS0_4arch9wavefront6targetE0EEEvSL_.numbered_sgpr, 0
	.set _ZN7rocprim17ROCPRIM_400000_NS6detail17trampoline_kernelINS0_14default_configENS1_36segmented_radix_sort_config_selectorI12hip_bfloat16lEEZNS1_25segmented_radix_sort_implIS3_Lb1EPKS5_PS5_PKlPlN2at6native12_GLOBAL__N_18offset_tEEE10hipError_tPvRmT1_PNSt15iterator_traitsISL_E10value_typeET2_T3_PNSM_ISR_E10value_typeET4_jRbjT5_SX_jjP12ihipStream_tbEUlT_E2_NS1_11comp_targetILNS1_3genE9ELNS1_11target_archE1100ELNS1_3gpuE3ELNS1_3repE0EEENS1_30default_config_static_selectorELNS0_4arch9wavefront6targetE0EEEvSL_.num_named_barrier, 0
	.set _ZN7rocprim17ROCPRIM_400000_NS6detail17trampoline_kernelINS0_14default_configENS1_36segmented_radix_sort_config_selectorI12hip_bfloat16lEEZNS1_25segmented_radix_sort_implIS3_Lb1EPKS5_PS5_PKlPlN2at6native12_GLOBAL__N_18offset_tEEE10hipError_tPvRmT1_PNSt15iterator_traitsISL_E10value_typeET2_T3_PNSM_ISR_E10value_typeET4_jRbjT5_SX_jjP12ihipStream_tbEUlT_E2_NS1_11comp_targetILNS1_3genE9ELNS1_11target_archE1100ELNS1_3gpuE3ELNS1_3repE0EEENS1_30default_config_static_selectorELNS0_4arch9wavefront6targetE0EEEvSL_.private_seg_size, 0
	.set _ZN7rocprim17ROCPRIM_400000_NS6detail17trampoline_kernelINS0_14default_configENS1_36segmented_radix_sort_config_selectorI12hip_bfloat16lEEZNS1_25segmented_radix_sort_implIS3_Lb1EPKS5_PS5_PKlPlN2at6native12_GLOBAL__N_18offset_tEEE10hipError_tPvRmT1_PNSt15iterator_traitsISL_E10value_typeET2_T3_PNSM_ISR_E10value_typeET4_jRbjT5_SX_jjP12ihipStream_tbEUlT_E2_NS1_11comp_targetILNS1_3genE9ELNS1_11target_archE1100ELNS1_3gpuE3ELNS1_3repE0EEENS1_30default_config_static_selectorELNS0_4arch9wavefront6targetE0EEEvSL_.uses_vcc, 0
	.set _ZN7rocprim17ROCPRIM_400000_NS6detail17trampoline_kernelINS0_14default_configENS1_36segmented_radix_sort_config_selectorI12hip_bfloat16lEEZNS1_25segmented_radix_sort_implIS3_Lb1EPKS5_PS5_PKlPlN2at6native12_GLOBAL__N_18offset_tEEE10hipError_tPvRmT1_PNSt15iterator_traitsISL_E10value_typeET2_T3_PNSM_ISR_E10value_typeET4_jRbjT5_SX_jjP12ihipStream_tbEUlT_E2_NS1_11comp_targetILNS1_3genE9ELNS1_11target_archE1100ELNS1_3gpuE3ELNS1_3repE0EEENS1_30default_config_static_selectorELNS0_4arch9wavefront6targetE0EEEvSL_.uses_flat_scratch, 0
	.set _ZN7rocprim17ROCPRIM_400000_NS6detail17trampoline_kernelINS0_14default_configENS1_36segmented_radix_sort_config_selectorI12hip_bfloat16lEEZNS1_25segmented_radix_sort_implIS3_Lb1EPKS5_PS5_PKlPlN2at6native12_GLOBAL__N_18offset_tEEE10hipError_tPvRmT1_PNSt15iterator_traitsISL_E10value_typeET2_T3_PNSM_ISR_E10value_typeET4_jRbjT5_SX_jjP12ihipStream_tbEUlT_E2_NS1_11comp_targetILNS1_3genE9ELNS1_11target_archE1100ELNS1_3gpuE3ELNS1_3repE0EEENS1_30default_config_static_selectorELNS0_4arch9wavefront6targetE0EEEvSL_.has_dyn_sized_stack, 0
	.set _ZN7rocprim17ROCPRIM_400000_NS6detail17trampoline_kernelINS0_14default_configENS1_36segmented_radix_sort_config_selectorI12hip_bfloat16lEEZNS1_25segmented_radix_sort_implIS3_Lb1EPKS5_PS5_PKlPlN2at6native12_GLOBAL__N_18offset_tEEE10hipError_tPvRmT1_PNSt15iterator_traitsISL_E10value_typeET2_T3_PNSM_ISR_E10value_typeET4_jRbjT5_SX_jjP12ihipStream_tbEUlT_E2_NS1_11comp_targetILNS1_3genE9ELNS1_11target_archE1100ELNS1_3gpuE3ELNS1_3repE0EEENS1_30default_config_static_selectorELNS0_4arch9wavefront6targetE0EEEvSL_.has_recursion, 0
	.set _ZN7rocprim17ROCPRIM_400000_NS6detail17trampoline_kernelINS0_14default_configENS1_36segmented_radix_sort_config_selectorI12hip_bfloat16lEEZNS1_25segmented_radix_sort_implIS3_Lb1EPKS5_PS5_PKlPlN2at6native12_GLOBAL__N_18offset_tEEE10hipError_tPvRmT1_PNSt15iterator_traitsISL_E10value_typeET2_T3_PNSM_ISR_E10value_typeET4_jRbjT5_SX_jjP12ihipStream_tbEUlT_E2_NS1_11comp_targetILNS1_3genE9ELNS1_11target_archE1100ELNS1_3gpuE3ELNS1_3repE0EEENS1_30default_config_static_selectorELNS0_4arch9wavefront6targetE0EEEvSL_.has_indirect_call, 0
	.section	.AMDGPU.csdata,"",@progbits
; Kernel info:
; codeLenInByte = 0
; TotalNumSgprs: 0
; NumVgprs: 0
; ScratchSize: 0
; MemoryBound: 0
; FloatMode: 240
; IeeeMode: 1
; LDSByteSize: 0 bytes/workgroup (compile time only)
; SGPRBlocks: 0
; VGPRBlocks: 0
; NumSGPRsForWavesPerEU: 1
; NumVGPRsForWavesPerEU: 1
; Occupancy: 16
; WaveLimiterHint : 0
; COMPUTE_PGM_RSRC2:SCRATCH_EN: 0
; COMPUTE_PGM_RSRC2:USER_SGPR: 2
; COMPUTE_PGM_RSRC2:TRAP_HANDLER: 0
; COMPUTE_PGM_RSRC2:TGID_X_EN: 1
; COMPUTE_PGM_RSRC2:TGID_Y_EN: 0
; COMPUTE_PGM_RSRC2:TGID_Z_EN: 0
; COMPUTE_PGM_RSRC2:TIDIG_COMP_CNT: 0
	.section	.text._ZN7rocprim17ROCPRIM_400000_NS6detail17trampoline_kernelINS0_14default_configENS1_36segmented_radix_sort_config_selectorI12hip_bfloat16lEEZNS1_25segmented_radix_sort_implIS3_Lb1EPKS5_PS5_PKlPlN2at6native12_GLOBAL__N_18offset_tEEE10hipError_tPvRmT1_PNSt15iterator_traitsISL_E10value_typeET2_T3_PNSM_ISR_E10value_typeET4_jRbjT5_SX_jjP12ihipStream_tbEUlT_E2_NS1_11comp_targetILNS1_3genE8ELNS1_11target_archE1030ELNS1_3gpuE2ELNS1_3repE0EEENS1_30default_config_static_selectorELNS0_4arch9wavefront6targetE0EEEvSL_,"axG",@progbits,_ZN7rocprim17ROCPRIM_400000_NS6detail17trampoline_kernelINS0_14default_configENS1_36segmented_radix_sort_config_selectorI12hip_bfloat16lEEZNS1_25segmented_radix_sort_implIS3_Lb1EPKS5_PS5_PKlPlN2at6native12_GLOBAL__N_18offset_tEEE10hipError_tPvRmT1_PNSt15iterator_traitsISL_E10value_typeET2_T3_PNSM_ISR_E10value_typeET4_jRbjT5_SX_jjP12ihipStream_tbEUlT_E2_NS1_11comp_targetILNS1_3genE8ELNS1_11target_archE1030ELNS1_3gpuE2ELNS1_3repE0EEENS1_30default_config_static_selectorELNS0_4arch9wavefront6targetE0EEEvSL_,comdat
	.globl	_ZN7rocprim17ROCPRIM_400000_NS6detail17trampoline_kernelINS0_14default_configENS1_36segmented_radix_sort_config_selectorI12hip_bfloat16lEEZNS1_25segmented_radix_sort_implIS3_Lb1EPKS5_PS5_PKlPlN2at6native12_GLOBAL__N_18offset_tEEE10hipError_tPvRmT1_PNSt15iterator_traitsISL_E10value_typeET2_T3_PNSM_ISR_E10value_typeET4_jRbjT5_SX_jjP12ihipStream_tbEUlT_E2_NS1_11comp_targetILNS1_3genE8ELNS1_11target_archE1030ELNS1_3gpuE2ELNS1_3repE0EEENS1_30default_config_static_selectorELNS0_4arch9wavefront6targetE0EEEvSL_ ; -- Begin function _ZN7rocprim17ROCPRIM_400000_NS6detail17trampoline_kernelINS0_14default_configENS1_36segmented_radix_sort_config_selectorI12hip_bfloat16lEEZNS1_25segmented_radix_sort_implIS3_Lb1EPKS5_PS5_PKlPlN2at6native12_GLOBAL__N_18offset_tEEE10hipError_tPvRmT1_PNSt15iterator_traitsISL_E10value_typeET2_T3_PNSM_ISR_E10value_typeET4_jRbjT5_SX_jjP12ihipStream_tbEUlT_E2_NS1_11comp_targetILNS1_3genE8ELNS1_11target_archE1030ELNS1_3gpuE2ELNS1_3repE0EEENS1_30default_config_static_selectorELNS0_4arch9wavefront6targetE0EEEvSL_
	.p2align	8
	.type	_ZN7rocprim17ROCPRIM_400000_NS6detail17trampoline_kernelINS0_14default_configENS1_36segmented_radix_sort_config_selectorI12hip_bfloat16lEEZNS1_25segmented_radix_sort_implIS3_Lb1EPKS5_PS5_PKlPlN2at6native12_GLOBAL__N_18offset_tEEE10hipError_tPvRmT1_PNSt15iterator_traitsISL_E10value_typeET2_T3_PNSM_ISR_E10value_typeET4_jRbjT5_SX_jjP12ihipStream_tbEUlT_E2_NS1_11comp_targetILNS1_3genE8ELNS1_11target_archE1030ELNS1_3gpuE2ELNS1_3repE0EEENS1_30default_config_static_selectorELNS0_4arch9wavefront6targetE0EEEvSL_,@function
_ZN7rocprim17ROCPRIM_400000_NS6detail17trampoline_kernelINS0_14default_configENS1_36segmented_radix_sort_config_selectorI12hip_bfloat16lEEZNS1_25segmented_radix_sort_implIS3_Lb1EPKS5_PS5_PKlPlN2at6native12_GLOBAL__N_18offset_tEEE10hipError_tPvRmT1_PNSt15iterator_traitsISL_E10value_typeET2_T3_PNSM_ISR_E10value_typeET4_jRbjT5_SX_jjP12ihipStream_tbEUlT_E2_NS1_11comp_targetILNS1_3genE8ELNS1_11target_archE1030ELNS1_3gpuE2ELNS1_3repE0EEENS1_30default_config_static_selectorELNS0_4arch9wavefront6targetE0EEEvSL_: ; @_ZN7rocprim17ROCPRIM_400000_NS6detail17trampoline_kernelINS0_14default_configENS1_36segmented_radix_sort_config_selectorI12hip_bfloat16lEEZNS1_25segmented_radix_sort_implIS3_Lb1EPKS5_PS5_PKlPlN2at6native12_GLOBAL__N_18offset_tEEE10hipError_tPvRmT1_PNSt15iterator_traitsISL_E10value_typeET2_T3_PNSM_ISR_E10value_typeET4_jRbjT5_SX_jjP12ihipStream_tbEUlT_E2_NS1_11comp_targetILNS1_3genE8ELNS1_11target_archE1030ELNS1_3gpuE2ELNS1_3repE0EEENS1_30default_config_static_selectorELNS0_4arch9wavefront6targetE0EEEvSL_
; %bb.0:
	.section	.rodata,"a",@progbits
	.p2align	6, 0x0
	.amdhsa_kernel _ZN7rocprim17ROCPRIM_400000_NS6detail17trampoline_kernelINS0_14default_configENS1_36segmented_radix_sort_config_selectorI12hip_bfloat16lEEZNS1_25segmented_radix_sort_implIS3_Lb1EPKS5_PS5_PKlPlN2at6native12_GLOBAL__N_18offset_tEEE10hipError_tPvRmT1_PNSt15iterator_traitsISL_E10value_typeET2_T3_PNSM_ISR_E10value_typeET4_jRbjT5_SX_jjP12ihipStream_tbEUlT_E2_NS1_11comp_targetILNS1_3genE8ELNS1_11target_archE1030ELNS1_3gpuE2ELNS1_3repE0EEENS1_30default_config_static_selectorELNS0_4arch9wavefront6targetE0EEEvSL_
		.amdhsa_group_segment_fixed_size 0
		.amdhsa_private_segment_fixed_size 0
		.amdhsa_kernarg_size 80
		.amdhsa_user_sgpr_count 2
		.amdhsa_user_sgpr_dispatch_ptr 0
		.amdhsa_user_sgpr_queue_ptr 0
		.amdhsa_user_sgpr_kernarg_segment_ptr 1
		.amdhsa_user_sgpr_dispatch_id 0
		.amdhsa_user_sgpr_private_segment_size 0
		.amdhsa_wavefront_size32 1
		.amdhsa_uses_dynamic_stack 0
		.amdhsa_enable_private_segment 0
		.amdhsa_system_sgpr_workgroup_id_x 1
		.amdhsa_system_sgpr_workgroup_id_y 0
		.amdhsa_system_sgpr_workgroup_id_z 0
		.amdhsa_system_sgpr_workgroup_info 0
		.amdhsa_system_vgpr_workitem_id 0
		.amdhsa_next_free_vgpr 1
		.amdhsa_next_free_sgpr 1
		.amdhsa_reserve_vcc 0
		.amdhsa_float_round_mode_32 0
		.amdhsa_float_round_mode_16_64 0
		.amdhsa_float_denorm_mode_32 3
		.amdhsa_float_denorm_mode_16_64 3
		.amdhsa_fp16_overflow 0
		.amdhsa_workgroup_processor_mode 1
		.amdhsa_memory_ordered 1
		.amdhsa_forward_progress 1
		.amdhsa_inst_pref_size 0
		.amdhsa_round_robin_scheduling 0
		.amdhsa_exception_fp_ieee_invalid_op 0
		.amdhsa_exception_fp_denorm_src 0
		.amdhsa_exception_fp_ieee_div_zero 0
		.amdhsa_exception_fp_ieee_overflow 0
		.amdhsa_exception_fp_ieee_underflow 0
		.amdhsa_exception_fp_ieee_inexact 0
		.amdhsa_exception_int_div_zero 0
	.end_amdhsa_kernel
	.section	.text._ZN7rocprim17ROCPRIM_400000_NS6detail17trampoline_kernelINS0_14default_configENS1_36segmented_radix_sort_config_selectorI12hip_bfloat16lEEZNS1_25segmented_radix_sort_implIS3_Lb1EPKS5_PS5_PKlPlN2at6native12_GLOBAL__N_18offset_tEEE10hipError_tPvRmT1_PNSt15iterator_traitsISL_E10value_typeET2_T3_PNSM_ISR_E10value_typeET4_jRbjT5_SX_jjP12ihipStream_tbEUlT_E2_NS1_11comp_targetILNS1_3genE8ELNS1_11target_archE1030ELNS1_3gpuE2ELNS1_3repE0EEENS1_30default_config_static_selectorELNS0_4arch9wavefront6targetE0EEEvSL_,"axG",@progbits,_ZN7rocprim17ROCPRIM_400000_NS6detail17trampoline_kernelINS0_14default_configENS1_36segmented_radix_sort_config_selectorI12hip_bfloat16lEEZNS1_25segmented_radix_sort_implIS3_Lb1EPKS5_PS5_PKlPlN2at6native12_GLOBAL__N_18offset_tEEE10hipError_tPvRmT1_PNSt15iterator_traitsISL_E10value_typeET2_T3_PNSM_ISR_E10value_typeET4_jRbjT5_SX_jjP12ihipStream_tbEUlT_E2_NS1_11comp_targetILNS1_3genE8ELNS1_11target_archE1030ELNS1_3gpuE2ELNS1_3repE0EEENS1_30default_config_static_selectorELNS0_4arch9wavefront6targetE0EEEvSL_,comdat
.Lfunc_end1984:
	.size	_ZN7rocprim17ROCPRIM_400000_NS6detail17trampoline_kernelINS0_14default_configENS1_36segmented_radix_sort_config_selectorI12hip_bfloat16lEEZNS1_25segmented_radix_sort_implIS3_Lb1EPKS5_PS5_PKlPlN2at6native12_GLOBAL__N_18offset_tEEE10hipError_tPvRmT1_PNSt15iterator_traitsISL_E10value_typeET2_T3_PNSM_ISR_E10value_typeET4_jRbjT5_SX_jjP12ihipStream_tbEUlT_E2_NS1_11comp_targetILNS1_3genE8ELNS1_11target_archE1030ELNS1_3gpuE2ELNS1_3repE0EEENS1_30default_config_static_selectorELNS0_4arch9wavefront6targetE0EEEvSL_, .Lfunc_end1984-_ZN7rocprim17ROCPRIM_400000_NS6detail17trampoline_kernelINS0_14default_configENS1_36segmented_radix_sort_config_selectorI12hip_bfloat16lEEZNS1_25segmented_radix_sort_implIS3_Lb1EPKS5_PS5_PKlPlN2at6native12_GLOBAL__N_18offset_tEEE10hipError_tPvRmT1_PNSt15iterator_traitsISL_E10value_typeET2_T3_PNSM_ISR_E10value_typeET4_jRbjT5_SX_jjP12ihipStream_tbEUlT_E2_NS1_11comp_targetILNS1_3genE8ELNS1_11target_archE1030ELNS1_3gpuE2ELNS1_3repE0EEENS1_30default_config_static_selectorELNS0_4arch9wavefront6targetE0EEEvSL_
                                        ; -- End function
	.set _ZN7rocprim17ROCPRIM_400000_NS6detail17trampoline_kernelINS0_14default_configENS1_36segmented_radix_sort_config_selectorI12hip_bfloat16lEEZNS1_25segmented_radix_sort_implIS3_Lb1EPKS5_PS5_PKlPlN2at6native12_GLOBAL__N_18offset_tEEE10hipError_tPvRmT1_PNSt15iterator_traitsISL_E10value_typeET2_T3_PNSM_ISR_E10value_typeET4_jRbjT5_SX_jjP12ihipStream_tbEUlT_E2_NS1_11comp_targetILNS1_3genE8ELNS1_11target_archE1030ELNS1_3gpuE2ELNS1_3repE0EEENS1_30default_config_static_selectorELNS0_4arch9wavefront6targetE0EEEvSL_.num_vgpr, 0
	.set _ZN7rocprim17ROCPRIM_400000_NS6detail17trampoline_kernelINS0_14default_configENS1_36segmented_radix_sort_config_selectorI12hip_bfloat16lEEZNS1_25segmented_radix_sort_implIS3_Lb1EPKS5_PS5_PKlPlN2at6native12_GLOBAL__N_18offset_tEEE10hipError_tPvRmT1_PNSt15iterator_traitsISL_E10value_typeET2_T3_PNSM_ISR_E10value_typeET4_jRbjT5_SX_jjP12ihipStream_tbEUlT_E2_NS1_11comp_targetILNS1_3genE8ELNS1_11target_archE1030ELNS1_3gpuE2ELNS1_3repE0EEENS1_30default_config_static_selectorELNS0_4arch9wavefront6targetE0EEEvSL_.num_agpr, 0
	.set _ZN7rocprim17ROCPRIM_400000_NS6detail17trampoline_kernelINS0_14default_configENS1_36segmented_radix_sort_config_selectorI12hip_bfloat16lEEZNS1_25segmented_radix_sort_implIS3_Lb1EPKS5_PS5_PKlPlN2at6native12_GLOBAL__N_18offset_tEEE10hipError_tPvRmT1_PNSt15iterator_traitsISL_E10value_typeET2_T3_PNSM_ISR_E10value_typeET4_jRbjT5_SX_jjP12ihipStream_tbEUlT_E2_NS1_11comp_targetILNS1_3genE8ELNS1_11target_archE1030ELNS1_3gpuE2ELNS1_3repE0EEENS1_30default_config_static_selectorELNS0_4arch9wavefront6targetE0EEEvSL_.numbered_sgpr, 0
	.set _ZN7rocprim17ROCPRIM_400000_NS6detail17trampoline_kernelINS0_14default_configENS1_36segmented_radix_sort_config_selectorI12hip_bfloat16lEEZNS1_25segmented_radix_sort_implIS3_Lb1EPKS5_PS5_PKlPlN2at6native12_GLOBAL__N_18offset_tEEE10hipError_tPvRmT1_PNSt15iterator_traitsISL_E10value_typeET2_T3_PNSM_ISR_E10value_typeET4_jRbjT5_SX_jjP12ihipStream_tbEUlT_E2_NS1_11comp_targetILNS1_3genE8ELNS1_11target_archE1030ELNS1_3gpuE2ELNS1_3repE0EEENS1_30default_config_static_selectorELNS0_4arch9wavefront6targetE0EEEvSL_.num_named_barrier, 0
	.set _ZN7rocprim17ROCPRIM_400000_NS6detail17trampoline_kernelINS0_14default_configENS1_36segmented_radix_sort_config_selectorI12hip_bfloat16lEEZNS1_25segmented_radix_sort_implIS3_Lb1EPKS5_PS5_PKlPlN2at6native12_GLOBAL__N_18offset_tEEE10hipError_tPvRmT1_PNSt15iterator_traitsISL_E10value_typeET2_T3_PNSM_ISR_E10value_typeET4_jRbjT5_SX_jjP12ihipStream_tbEUlT_E2_NS1_11comp_targetILNS1_3genE8ELNS1_11target_archE1030ELNS1_3gpuE2ELNS1_3repE0EEENS1_30default_config_static_selectorELNS0_4arch9wavefront6targetE0EEEvSL_.private_seg_size, 0
	.set _ZN7rocprim17ROCPRIM_400000_NS6detail17trampoline_kernelINS0_14default_configENS1_36segmented_radix_sort_config_selectorI12hip_bfloat16lEEZNS1_25segmented_radix_sort_implIS3_Lb1EPKS5_PS5_PKlPlN2at6native12_GLOBAL__N_18offset_tEEE10hipError_tPvRmT1_PNSt15iterator_traitsISL_E10value_typeET2_T3_PNSM_ISR_E10value_typeET4_jRbjT5_SX_jjP12ihipStream_tbEUlT_E2_NS1_11comp_targetILNS1_3genE8ELNS1_11target_archE1030ELNS1_3gpuE2ELNS1_3repE0EEENS1_30default_config_static_selectorELNS0_4arch9wavefront6targetE0EEEvSL_.uses_vcc, 0
	.set _ZN7rocprim17ROCPRIM_400000_NS6detail17trampoline_kernelINS0_14default_configENS1_36segmented_radix_sort_config_selectorI12hip_bfloat16lEEZNS1_25segmented_radix_sort_implIS3_Lb1EPKS5_PS5_PKlPlN2at6native12_GLOBAL__N_18offset_tEEE10hipError_tPvRmT1_PNSt15iterator_traitsISL_E10value_typeET2_T3_PNSM_ISR_E10value_typeET4_jRbjT5_SX_jjP12ihipStream_tbEUlT_E2_NS1_11comp_targetILNS1_3genE8ELNS1_11target_archE1030ELNS1_3gpuE2ELNS1_3repE0EEENS1_30default_config_static_selectorELNS0_4arch9wavefront6targetE0EEEvSL_.uses_flat_scratch, 0
	.set _ZN7rocprim17ROCPRIM_400000_NS6detail17trampoline_kernelINS0_14default_configENS1_36segmented_radix_sort_config_selectorI12hip_bfloat16lEEZNS1_25segmented_radix_sort_implIS3_Lb1EPKS5_PS5_PKlPlN2at6native12_GLOBAL__N_18offset_tEEE10hipError_tPvRmT1_PNSt15iterator_traitsISL_E10value_typeET2_T3_PNSM_ISR_E10value_typeET4_jRbjT5_SX_jjP12ihipStream_tbEUlT_E2_NS1_11comp_targetILNS1_3genE8ELNS1_11target_archE1030ELNS1_3gpuE2ELNS1_3repE0EEENS1_30default_config_static_selectorELNS0_4arch9wavefront6targetE0EEEvSL_.has_dyn_sized_stack, 0
	.set _ZN7rocprim17ROCPRIM_400000_NS6detail17trampoline_kernelINS0_14default_configENS1_36segmented_radix_sort_config_selectorI12hip_bfloat16lEEZNS1_25segmented_radix_sort_implIS3_Lb1EPKS5_PS5_PKlPlN2at6native12_GLOBAL__N_18offset_tEEE10hipError_tPvRmT1_PNSt15iterator_traitsISL_E10value_typeET2_T3_PNSM_ISR_E10value_typeET4_jRbjT5_SX_jjP12ihipStream_tbEUlT_E2_NS1_11comp_targetILNS1_3genE8ELNS1_11target_archE1030ELNS1_3gpuE2ELNS1_3repE0EEENS1_30default_config_static_selectorELNS0_4arch9wavefront6targetE0EEEvSL_.has_recursion, 0
	.set _ZN7rocprim17ROCPRIM_400000_NS6detail17trampoline_kernelINS0_14default_configENS1_36segmented_radix_sort_config_selectorI12hip_bfloat16lEEZNS1_25segmented_radix_sort_implIS3_Lb1EPKS5_PS5_PKlPlN2at6native12_GLOBAL__N_18offset_tEEE10hipError_tPvRmT1_PNSt15iterator_traitsISL_E10value_typeET2_T3_PNSM_ISR_E10value_typeET4_jRbjT5_SX_jjP12ihipStream_tbEUlT_E2_NS1_11comp_targetILNS1_3genE8ELNS1_11target_archE1030ELNS1_3gpuE2ELNS1_3repE0EEENS1_30default_config_static_selectorELNS0_4arch9wavefront6targetE0EEEvSL_.has_indirect_call, 0
	.section	.AMDGPU.csdata,"",@progbits
; Kernel info:
; codeLenInByte = 0
; TotalNumSgprs: 0
; NumVgprs: 0
; ScratchSize: 0
; MemoryBound: 0
; FloatMode: 240
; IeeeMode: 1
; LDSByteSize: 0 bytes/workgroup (compile time only)
; SGPRBlocks: 0
; VGPRBlocks: 0
; NumSGPRsForWavesPerEU: 1
; NumVGPRsForWavesPerEU: 1
; Occupancy: 16
; WaveLimiterHint : 0
; COMPUTE_PGM_RSRC2:SCRATCH_EN: 0
; COMPUTE_PGM_RSRC2:USER_SGPR: 2
; COMPUTE_PGM_RSRC2:TRAP_HANDLER: 0
; COMPUTE_PGM_RSRC2:TGID_X_EN: 1
; COMPUTE_PGM_RSRC2:TGID_Y_EN: 0
; COMPUTE_PGM_RSRC2:TGID_Z_EN: 0
; COMPUTE_PGM_RSRC2:TIDIG_COMP_CNT: 0
	.section	.text._ZN7rocprim17ROCPRIM_400000_NS6detail17trampoline_kernelINS0_13select_configILj256ELj13ELNS0_17block_load_methodE3ELS4_3ELS4_3ELNS0_20block_scan_algorithmE0ELj4294967295EEENS1_25partition_config_selectorILNS1_17partition_subalgoE4EjNS0_10empty_typeEbEEZZNS1_14partition_implILS8_4ELb0ES6_15HIP_vector_typeIjLj2EENS0_17counting_iteratorIjlEEPS9_SG_NS0_5tupleIJPjSI_NS0_16reverse_iteratorISI_EEEEENSH_IJSG_SG_SG_EEES9_SI_JZNS1_25segmented_radix_sort_implINS0_14default_configELb0EPK12hip_bfloat16PSP_PKlPlN2at6native12_GLOBAL__N_18offset_tEEE10hipError_tPvRmT1_PNSt15iterator_traitsIS13_E10value_typeET2_T3_PNS14_IS19_E10value_typeET4_jRbjT5_S1F_jjP12ihipStream_tbEUljE_ZNSN_ISO_Lb0ESR_SS_SU_SV_SZ_EES10_S11_S12_S13_S17_S18_S19_S1C_S1D_jS1E_jS1F_S1F_jjS1H_bEUljE0_EEES10_S11_S12_S19_S1D_S1F_T6_T7_T9_mT8_S1H_bDpT10_ENKUlT_T0_E_clISt17integral_constantIbLb0EES1V_EEDaS1Q_S1R_EUlS1Q_E_NS1_11comp_targetILNS1_3genE0ELNS1_11target_archE4294967295ELNS1_3gpuE0ELNS1_3repE0EEENS1_30default_config_static_selectorELNS0_4arch9wavefront6targetE0EEEvS13_,"axG",@progbits,_ZN7rocprim17ROCPRIM_400000_NS6detail17trampoline_kernelINS0_13select_configILj256ELj13ELNS0_17block_load_methodE3ELS4_3ELS4_3ELNS0_20block_scan_algorithmE0ELj4294967295EEENS1_25partition_config_selectorILNS1_17partition_subalgoE4EjNS0_10empty_typeEbEEZZNS1_14partition_implILS8_4ELb0ES6_15HIP_vector_typeIjLj2EENS0_17counting_iteratorIjlEEPS9_SG_NS0_5tupleIJPjSI_NS0_16reverse_iteratorISI_EEEEENSH_IJSG_SG_SG_EEES9_SI_JZNS1_25segmented_radix_sort_implINS0_14default_configELb0EPK12hip_bfloat16PSP_PKlPlN2at6native12_GLOBAL__N_18offset_tEEE10hipError_tPvRmT1_PNSt15iterator_traitsIS13_E10value_typeET2_T3_PNS14_IS19_E10value_typeET4_jRbjT5_S1F_jjP12ihipStream_tbEUljE_ZNSN_ISO_Lb0ESR_SS_SU_SV_SZ_EES10_S11_S12_S13_S17_S18_S19_S1C_S1D_jS1E_jS1F_S1F_jjS1H_bEUljE0_EEES10_S11_S12_S19_S1D_S1F_T6_T7_T9_mT8_S1H_bDpT10_ENKUlT_T0_E_clISt17integral_constantIbLb0EES1V_EEDaS1Q_S1R_EUlS1Q_E_NS1_11comp_targetILNS1_3genE0ELNS1_11target_archE4294967295ELNS1_3gpuE0ELNS1_3repE0EEENS1_30default_config_static_selectorELNS0_4arch9wavefront6targetE0EEEvS13_,comdat
	.globl	_ZN7rocprim17ROCPRIM_400000_NS6detail17trampoline_kernelINS0_13select_configILj256ELj13ELNS0_17block_load_methodE3ELS4_3ELS4_3ELNS0_20block_scan_algorithmE0ELj4294967295EEENS1_25partition_config_selectorILNS1_17partition_subalgoE4EjNS0_10empty_typeEbEEZZNS1_14partition_implILS8_4ELb0ES6_15HIP_vector_typeIjLj2EENS0_17counting_iteratorIjlEEPS9_SG_NS0_5tupleIJPjSI_NS0_16reverse_iteratorISI_EEEEENSH_IJSG_SG_SG_EEES9_SI_JZNS1_25segmented_radix_sort_implINS0_14default_configELb0EPK12hip_bfloat16PSP_PKlPlN2at6native12_GLOBAL__N_18offset_tEEE10hipError_tPvRmT1_PNSt15iterator_traitsIS13_E10value_typeET2_T3_PNS14_IS19_E10value_typeET4_jRbjT5_S1F_jjP12ihipStream_tbEUljE_ZNSN_ISO_Lb0ESR_SS_SU_SV_SZ_EES10_S11_S12_S13_S17_S18_S19_S1C_S1D_jS1E_jS1F_S1F_jjS1H_bEUljE0_EEES10_S11_S12_S19_S1D_S1F_T6_T7_T9_mT8_S1H_bDpT10_ENKUlT_T0_E_clISt17integral_constantIbLb0EES1V_EEDaS1Q_S1R_EUlS1Q_E_NS1_11comp_targetILNS1_3genE0ELNS1_11target_archE4294967295ELNS1_3gpuE0ELNS1_3repE0EEENS1_30default_config_static_selectorELNS0_4arch9wavefront6targetE0EEEvS13_ ; -- Begin function _ZN7rocprim17ROCPRIM_400000_NS6detail17trampoline_kernelINS0_13select_configILj256ELj13ELNS0_17block_load_methodE3ELS4_3ELS4_3ELNS0_20block_scan_algorithmE0ELj4294967295EEENS1_25partition_config_selectorILNS1_17partition_subalgoE4EjNS0_10empty_typeEbEEZZNS1_14partition_implILS8_4ELb0ES6_15HIP_vector_typeIjLj2EENS0_17counting_iteratorIjlEEPS9_SG_NS0_5tupleIJPjSI_NS0_16reverse_iteratorISI_EEEEENSH_IJSG_SG_SG_EEES9_SI_JZNS1_25segmented_radix_sort_implINS0_14default_configELb0EPK12hip_bfloat16PSP_PKlPlN2at6native12_GLOBAL__N_18offset_tEEE10hipError_tPvRmT1_PNSt15iterator_traitsIS13_E10value_typeET2_T3_PNS14_IS19_E10value_typeET4_jRbjT5_S1F_jjP12ihipStream_tbEUljE_ZNSN_ISO_Lb0ESR_SS_SU_SV_SZ_EES10_S11_S12_S13_S17_S18_S19_S1C_S1D_jS1E_jS1F_S1F_jjS1H_bEUljE0_EEES10_S11_S12_S19_S1D_S1F_T6_T7_T9_mT8_S1H_bDpT10_ENKUlT_T0_E_clISt17integral_constantIbLb0EES1V_EEDaS1Q_S1R_EUlS1Q_E_NS1_11comp_targetILNS1_3genE0ELNS1_11target_archE4294967295ELNS1_3gpuE0ELNS1_3repE0EEENS1_30default_config_static_selectorELNS0_4arch9wavefront6targetE0EEEvS13_
	.p2align	8
	.type	_ZN7rocprim17ROCPRIM_400000_NS6detail17trampoline_kernelINS0_13select_configILj256ELj13ELNS0_17block_load_methodE3ELS4_3ELS4_3ELNS0_20block_scan_algorithmE0ELj4294967295EEENS1_25partition_config_selectorILNS1_17partition_subalgoE4EjNS0_10empty_typeEbEEZZNS1_14partition_implILS8_4ELb0ES6_15HIP_vector_typeIjLj2EENS0_17counting_iteratorIjlEEPS9_SG_NS0_5tupleIJPjSI_NS0_16reverse_iteratorISI_EEEEENSH_IJSG_SG_SG_EEES9_SI_JZNS1_25segmented_radix_sort_implINS0_14default_configELb0EPK12hip_bfloat16PSP_PKlPlN2at6native12_GLOBAL__N_18offset_tEEE10hipError_tPvRmT1_PNSt15iterator_traitsIS13_E10value_typeET2_T3_PNS14_IS19_E10value_typeET4_jRbjT5_S1F_jjP12ihipStream_tbEUljE_ZNSN_ISO_Lb0ESR_SS_SU_SV_SZ_EES10_S11_S12_S13_S17_S18_S19_S1C_S1D_jS1E_jS1F_S1F_jjS1H_bEUljE0_EEES10_S11_S12_S19_S1D_S1F_T6_T7_T9_mT8_S1H_bDpT10_ENKUlT_T0_E_clISt17integral_constantIbLb0EES1V_EEDaS1Q_S1R_EUlS1Q_E_NS1_11comp_targetILNS1_3genE0ELNS1_11target_archE4294967295ELNS1_3gpuE0ELNS1_3repE0EEENS1_30default_config_static_selectorELNS0_4arch9wavefront6targetE0EEEvS13_,@function
_ZN7rocprim17ROCPRIM_400000_NS6detail17trampoline_kernelINS0_13select_configILj256ELj13ELNS0_17block_load_methodE3ELS4_3ELS4_3ELNS0_20block_scan_algorithmE0ELj4294967295EEENS1_25partition_config_selectorILNS1_17partition_subalgoE4EjNS0_10empty_typeEbEEZZNS1_14partition_implILS8_4ELb0ES6_15HIP_vector_typeIjLj2EENS0_17counting_iteratorIjlEEPS9_SG_NS0_5tupleIJPjSI_NS0_16reverse_iteratorISI_EEEEENSH_IJSG_SG_SG_EEES9_SI_JZNS1_25segmented_radix_sort_implINS0_14default_configELb0EPK12hip_bfloat16PSP_PKlPlN2at6native12_GLOBAL__N_18offset_tEEE10hipError_tPvRmT1_PNSt15iterator_traitsIS13_E10value_typeET2_T3_PNS14_IS19_E10value_typeET4_jRbjT5_S1F_jjP12ihipStream_tbEUljE_ZNSN_ISO_Lb0ESR_SS_SU_SV_SZ_EES10_S11_S12_S13_S17_S18_S19_S1C_S1D_jS1E_jS1F_S1F_jjS1H_bEUljE0_EEES10_S11_S12_S19_S1D_S1F_T6_T7_T9_mT8_S1H_bDpT10_ENKUlT_T0_E_clISt17integral_constantIbLb0EES1V_EEDaS1Q_S1R_EUlS1Q_E_NS1_11comp_targetILNS1_3genE0ELNS1_11target_archE4294967295ELNS1_3gpuE0ELNS1_3repE0EEENS1_30default_config_static_selectorELNS0_4arch9wavefront6targetE0EEEvS13_: ; @_ZN7rocprim17ROCPRIM_400000_NS6detail17trampoline_kernelINS0_13select_configILj256ELj13ELNS0_17block_load_methodE3ELS4_3ELS4_3ELNS0_20block_scan_algorithmE0ELj4294967295EEENS1_25partition_config_selectorILNS1_17partition_subalgoE4EjNS0_10empty_typeEbEEZZNS1_14partition_implILS8_4ELb0ES6_15HIP_vector_typeIjLj2EENS0_17counting_iteratorIjlEEPS9_SG_NS0_5tupleIJPjSI_NS0_16reverse_iteratorISI_EEEEENSH_IJSG_SG_SG_EEES9_SI_JZNS1_25segmented_radix_sort_implINS0_14default_configELb0EPK12hip_bfloat16PSP_PKlPlN2at6native12_GLOBAL__N_18offset_tEEE10hipError_tPvRmT1_PNSt15iterator_traitsIS13_E10value_typeET2_T3_PNS14_IS19_E10value_typeET4_jRbjT5_S1F_jjP12ihipStream_tbEUljE_ZNSN_ISO_Lb0ESR_SS_SU_SV_SZ_EES10_S11_S12_S13_S17_S18_S19_S1C_S1D_jS1E_jS1F_S1F_jjS1H_bEUljE0_EEES10_S11_S12_S19_S1D_S1F_T6_T7_T9_mT8_S1H_bDpT10_ENKUlT_T0_E_clISt17integral_constantIbLb0EES1V_EEDaS1Q_S1R_EUlS1Q_E_NS1_11comp_targetILNS1_3genE0ELNS1_11target_archE4294967295ELNS1_3gpuE0ELNS1_3repE0EEENS1_30default_config_static_selectorELNS0_4arch9wavefront6targetE0EEEvS13_
; %bb.0:
	.section	.rodata,"a",@progbits
	.p2align	6, 0x0
	.amdhsa_kernel _ZN7rocprim17ROCPRIM_400000_NS6detail17trampoline_kernelINS0_13select_configILj256ELj13ELNS0_17block_load_methodE3ELS4_3ELS4_3ELNS0_20block_scan_algorithmE0ELj4294967295EEENS1_25partition_config_selectorILNS1_17partition_subalgoE4EjNS0_10empty_typeEbEEZZNS1_14partition_implILS8_4ELb0ES6_15HIP_vector_typeIjLj2EENS0_17counting_iteratorIjlEEPS9_SG_NS0_5tupleIJPjSI_NS0_16reverse_iteratorISI_EEEEENSH_IJSG_SG_SG_EEES9_SI_JZNS1_25segmented_radix_sort_implINS0_14default_configELb0EPK12hip_bfloat16PSP_PKlPlN2at6native12_GLOBAL__N_18offset_tEEE10hipError_tPvRmT1_PNSt15iterator_traitsIS13_E10value_typeET2_T3_PNS14_IS19_E10value_typeET4_jRbjT5_S1F_jjP12ihipStream_tbEUljE_ZNSN_ISO_Lb0ESR_SS_SU_SV_SZ_EES10_S11_S12_S13_S17_S18_S19_S1C_S1D_jS1E_jS1F_S1F_jjS1H_bEUljE0_EEES10_S11_S12_S19_S1D_S1F_T6_T7_T9_mT8_S1H_bDpT10_ENKUlT_T0_E_clISt17integral_constantIbLb0EES1V_EEDaS1Q_S1R_EUlS1Q_E_NS1_11comp_targetILNS1_3genE0ELNS1_11target_archE4294967295ELNS1_3gpuE0ELNS1_3repE0EEENS1_30default_config_static_selectorELNS0_4arch9wavefront6targetE0EEEvS13_
		.amdhsa_group_segment_fixed_size 0
		.amdhsa_private_segment_fixed_size 0
		.amdhsa_kernarg_size 176
		.amdhsa_user_sgpr_count 2
		.amdhsa_user_sgpr_dispatch_ptr 0
		.amdhsa_user_sgpr_queue_ptr 0
		.amdhsa_user_sgpr_kernarg_segment_ptr 1
		.amdhsa_user_sgpr_dispatch_id 0
		.amdhsa_user_sgpr_private_segment_size 0
		.amdhsa_wavefront_size32 1
		.amdhsa_uses_dynamic_stack 0
		.amdhsa_enable_private_segment 0
		.amdhsa_system_sgpr_workgroup_id_x 1
		.amdhsa_system_sgpr_workgroup_id_y 0
		.amdhsa_system_sgpr_workgroup_id_z 0
		.amdhsa_system_sgpr_workgroup_info 0
		.amdhsa_system_vgpr_workitem_id 0
		.amdhsa_next_free_vgpr 1
		.amdhsa_next_free_sgpr 1
		.amdhsa_reserve_vcc 0
		.amdhsa_float_round_mode_32 0
		.amdhsa_float_round_mode_16_64 0
		.amdhsa_float_denorm_mode_32 3
		.amdhsa_float_denorm_mode_16_64 3
		.amdhsa_fp16_overflow 0
		.amdhsa_workgroup_processor_mode 1
		.amdhsa_memory_ordered 1
		.amdhsa_forward_progress 1
		.amdhsa_inst_pref_size 0
		.amdhsa_round_robin_scheduling 0
		.amdhsa_exception_fp_ieee_invalid_op 0
		.amdhsa_exception_fp_denorm_src 0
		.amdhsa_exception_fp_ieee_div_zero 0
		.amdhsa_exception_fp_ieee_overflow 0
		.amdhsa_exception_fp_ieee_underflow 0
		.amdhsa_exception_fp_ieee_inexact 0
		.amdhsa_exception_int_div_zero 0
	.end_amdhsa_kernel
	.section	.text._ZN7rocprim17ROCPRIM_400000_NS6detail17trampoline_kernelINS0_13select_configILj256ELj13ELNS0_17block_load_methodE3ELS4_3ELS4_3ELNS0_20block_scan_algorithmE0ELj4294967295EEENS1_25partition_config_selectorILNS1_17partition_subalgoE4EjNS0_10empty_typeEbEEZZNS1_14partition_implILS8_4ELb0ES6_15HIP_vector_typeIjLj2EENS0_17counting_iteratorIjlEEPS9_SG_NS0_5tupleIJPjSI_NS0_16reverse_iteratorISI_EEEEENSH_IJSG_SG_SG_EEES9_SI_JZNS1_25segmented_radix_sort_implINS0_14default_configELb0EPK12hip_bfloat16PSP_PKlPlN2at6native12_GLOBAL__N_18offset_tEEE10hipError_tPvRmT1_PNSt15iterator_traitsIS13_E10value_typeET2_T3_PNS14_IS19_E10value_typeET4_jRbjT5_S1F_jjP12ihipStream_tbEUljE_ZNSN_ISO_Lb0ESR_SS_SU_SV_SZ_EES10_S11_S12_S13_S17_S18_S19_S1C_S1D_jS1E_jS1F_S1F_jjS1H_bEUljE0_EEES10_S11_S12_S19_S1D_S1F_T6_T7_T9_mT8_S1H_bDpT10_ENKUlT_T0_E_clISt17integral_constantIbLb0EES1V_EEDaS1Q_S1R_EUlS1Q_E_NS1_11comp_targetILNS1_3genE0ELNS1_11target_archE4294967295ELNS1_3gpuE0ELNS1_3repE0EEENS1_30default_config_static_selectorELNS0_4arch9wavefront6targetE0EEEvS13_,"axG",@progbits,_ZN7rocprim17ROCPRIM_400000_NS6detail17trampoline_kernelINS0_13select_configILj256ELj13ELNS0_17block_load_methodE3ELS4_3ELS4_3ELNS0_20block_scan_algorithmE0ELj4294967295EEENS1_25partition_config_selectorILNS1_17partition_subalgoE4EjNS0_10empty_typeEbEEZZNS1_14partition_implILS8_4ELb0ES6_15HIP_vector_typeIjLj2EENS0_17counting_iteratorIjlEEPS9_SG_NS0_5tupleIJPjSI_NS0_16reverse_iteratorISI_EEEEENSH_IJSG_SG_SG_EEES9_SI_JZNS1_25segmented_radix_sort_implINS0_14default_configELb0EPK12hip_bfloat16PSP_PKlPlN2at6native12_GLOBAL__N_18offset_tEEE10hipError_tPvRmT1_PNSt15iterator_traitsIS13_E10value_typeET2_T3_PNS14_IS19_E10value_typeET4_jRbjT5_S1F_jjP12ihipStream_tbEUljE_ZNSN_ISO_Lb0ESR_SS_SU_SV_SZ_EES10_S11_S12_S13_S17_S18_S19_S1C_S1D_jS1E_jS1F_S1F_jjS1H_bEUljE0_EEES10_S11_S12_S19_S1D_S1F_T6_T7_T9_mT8_S1H_bDpT10_ENKUlT_T0_E_clISt17integral_constantIbLb0EES1V_EEDaS1Q_S1R_EUlS1Q_E_NS1_11comp_targetILNS1_3genE0ELNS1_11target_archE4294967295ELNS1_3gpuE0ELNS1_3repE0EEENS1_30default_config_static_selectorELNS0_4arch9wavefront6targetE0EEEvS13_,comdat
.Lfunc_end1985:
	.size	_ZN7rocprim17ROCPRIM_400000_NS6detail17trampoline_kernelINS0_13select_configILj256ELj13ELNS0_17block_load_methodE3ELS4_3ELS4_3ELNS0_20block_scan_algorithmE0ELj4294967295EEENS1_25partition_config_selectorILNS1_17partition_subalgoE4EjNS0_10empty_typeEbEEZZNS1_14partition_implILS8_4ELb0ES6_15HIP_vector_typeIjLj2EENS0_17counting_iteratorIjlEEPS9_SG_NS0_5tupleIJPjSI_NS0_16reverse_iteratorISI_EEEEENSH_IJSG_SG_SG_EEES9_SI_JZNS1_25segmented_radix_sort_implINS0_14default_configELb0EPK12hip_bfloat16PSP_PKlPlN2at6native12_GLOBAL__N_18offset_tEEE10hipError_tPvRmT1_PNSt15iterator_traitsIS13_E10value_typeET2_T3_PNS14_IS19_E10value_typeET4_jRbjT5_S1F_jjP12ihipStream_tbEUljE_ZNSN_ISO_Lb0ESR_SS_SU_SV_SZ_EES10_S11_S12_S13_S17_S18_S19_S1C_S1D_jS1E_jS1F_S1F_jjS1H_bEUljE0_EEES10_S11_S12_S19_S1D_S1F_T6_T7_T9_mT8_S1H_bDpT10_ENKUlT_T0_E_clISt17integral_constantIbLb0EES1V_EEDaS1Q_S1R_EUlS1Q_E_NS1_11comp_targetILNS1_3genE0ELNS1_11target_archE4294967295ELNS1_3gpuE0ELNS1_3repE0EEENS1_30default_config_static_selectorELNS0_4arch9wavefront6targetE0EEEvS13_, .Lfunc_end1985-_ZN7rocprim17ROCPRIM_400000_NS6detail17trampoline_kernelINS0_13select_configILj256ELj13ELNS0_17block_load_methodE3ELS4_3ELS4_3ELNS0_20block_scan_algorithmE0ELj4294967295EEENS1_25partition_config_selectorILNS1_17partition_subalgoE4EjNS0_10empty_typeEbEEZZNS1_14partition_implILS8_4ELb0ES6_15HIP_vector_typeIjLj2EENS0_17counting_iteratorIjlEEPS9_SG_NS0_5tupleIJPjSI_NS0_16reverse_iteratorISI_EEEEENSH_IJSG_SG_SG_EEES9_SI_JZNS1_25segmented_radix_sort_implINS0_14default_configELb0EPK12hip_bfloat16PSP_PKlPlN2at6native12_GLOBAL__N_18offset_tEEE10hipError_tPvRmT1_PNSt15iterator_traitsIS13_E10value_typeET2_T3_PNS14_IS19_E10value_typeET4_jRbjT5_S1F_jjP12ihipStream_tbEUljE_ZNSN_ISO_Lb0ESR_SS_SU_SV_SZ_EES10_S11_S12_S13_S17_S18_S19_S1C_S1D_jS1E_jS1F_S1F_jjS1H_bEUljE0_EEES10_S11_S12_S19_S1D_S1F_T6_T7_T9_mT8_S1H_bDpT10_ENKUlT_T0_E_clISt17integral_constantIbLb0EES1V_EEDaS1Q_S1R_EUlS1Q_E_NS1_11comp_targetILNS1_3genE0ELNS1_11target_archE4294967295ELNS1_3gpuE0ELNS1_3repE0EEENS1_30default_config_static_selectorELNS0_4arch9wavefront6targetE0EEEvS13_
                                        ; -- End function
	.set _ZN7rocprim17ROCPRIM_400000_NS6detail17trampoline_kernelINS0_13select_configILj256ELj13ELNS0_17block_load_methodE3ELS4_3ELS4_3ELNS0_20block_scan_algorithmE0ELj4294967295EEENS1_25partition_config_selectorILNS1_17partition_subalgoE4EjNS0_10empty_typeEbEEZZNS1_14partition_implILS8_4ELb0ES6_15HIP_vector_typeIjLj2EENS0_17counting_iteratorIjlEEPS9_SG_NS0_5tupleIJPjSI_NS0_16reverse_iteratorISI_EEEEENSH_IJSG_SG_SG_EEES9_SI_JZNS1_25segmented_radix_sort_implINS0_14default_configELb0EPK12hip_bfloat16PSP_PKlPlN2at6native12_GLOBAL__N_18offset_tEEE10hipError_tPvRmT1_PNSt15iterator_traitsIS13_E10value_typeET2_T3_PNS14_IS19_E10value_typeET4_jRbjT5_S1F_jjP12ihipStream_tbEUljE_ZNSN_ISO_Lb0ESR_SS_SU_SV_SZ_EES10_S11_S12_S13_S17_S18_S19_S1C_S1D_jS1E_jS1F_S1F_jjS1H_bEUljE0_EEES10_S11_S12_S19_S1D_S1F_T6_T7_T9_mT8_S1H_bDpT10_ENKUlT_T0_E_clISt17integral_constantIbLb0EES1V_EEDaS1Q_S1R_EUlS1Q_E_NS1_11comp_targetILNS1_3genE0ELNS1_11target_archE4294967295ELNS1_3gpuE0ELNS1_3repE0EEENS1_30default_config_static_selectorELNS0_4arch9wavefront6targetE0EEEvS13_.num_vgpr, 0
	.set _ZN7rocprim17ROCPRIM_400000_NS6detail17trampoline_kernelINS0_13select_configILj256ELj13ELNS0_17block_load_methodE3ELS4_3ELS4_3ELNS0_20block_scan_algorithmE0ELj4294967295EEENS1_25partition_config_selectorILNS1_17partition_subalgoE4EjNS0_10empty_typeEbEEZZNS1_14partition_implILS8_4ELb0ES6_15HIP_vector_typeIjLj2EENS0_17counting_iteratorIjlEEPS9_SG_NS0_5tupleIJPjSI_NS0_16reverse_iteratorISI_EEEEENSH_IJSG_SG_SG_EEES9_SI_JZNS1_25segmented_radix_sort_implINS0_14default_configELb0EPK12hip_bfloat16PSP_PKlPlN2at6native12_GLOBAL__N_18offset_tEEE10hipError_tPvRmT1_PNSt15iterator_traitsIS13_E10value_typeET2_T3_PNS14_IS19_E10value_typeET4_jRbjT5_S1F_jjP12ihipStream_tbEUljE_ZNSN_ISO_Lb0ESR_SS_SU_SV_SZ_EES10_S11_S12_S13_S17_S18_S19_S1C_S1D_jS1E_jS1F_S1F_jjS1H_bEUljE0_EEES10_S11_S12_S19_S1D_S1F_T6_T7_T9_mT8_S1H_bDpT10_ENKUlT_T0_E_clISt17integral_constantIbLb0EES1V_EEDaS1Q_S1R_EUlS1Q_E_NS1_11comp_targetILNS1_3genE0ELNS1_11target_archE4294967295ELNS1_3gpuE0ELNS1_3repE0EEENS1_30default_config_static_selectorELNS0_4arch9wavefront6targetE0EEEvS13_.num_agpr, 0
	.set _ZN7rocprim17ROCPRIM_400000_NS6detail17trampoline_kernelINS0_13select_configILj256ELj13ELNS0_17block_load_methodE3ELS4_3ELS4_3ELNS0_20block_scan_algorithmE0ELj4294967295EEENS1_25partition_config_selectorILNS1_17partition_subalgoE4EjNS0_10empty_typeEbEEZZNS1_14partition_implILS8_4ELb0ES6_15HIP_vector_typeIjLj2EENS0_17counting_iteratorIjlEEPS9_SG_NS0_5tupleIJPjSI_NS0_16reverse_iteratorISI_EEEEENSH_IJSG_SG_SG_EEES9_SI_JZNS1_25segmented_radix_sort_implINS0_14default_configELb0EPK12hip_bfloat16PSP_PKlPlN2at6native12_GLOBAL__N_18offset_tEEE10hipError_tPvRmT1_PNSt15iterator_traitsIS13_E10value_typeET2_T3_PNS14_IS19_E10value_typeET4_jRbjT5_S1F_jjP12ihipStream_tbEUljE_ZNSN_ISO_Lb0ESR_SS_SU_SV_SZ_EES10_S11_S12_S13_S17_S18_S19_S1C_S1D_jS1E_jS1F_S1F_jjS1H_bEUljE0_EEES10_S11_S12_S19_S1D_S1F_T6_T7_T9_mT8_S1H_bDpT10_ENKUlT_T0_E_clISt17integral_constantIbLb0EES1V_EEDaS1Q_S1R_EUlS1Q_E_NS1_11comp_targetILNS1_3genE0ELNS1_11target_archE4294967295ELNS1_3gpuE0ELNS1_3repE0EEENS1_30default_config_static_selectorELNS0_4arch9wavefront6targetE0EEEvS13_.numbered_sgpr, 0
	.set _ZN7rocprim17ROCPRIM_400000_NS6detail17trampoline_kernelINS0_13select_configILj256ELj13ELNS0_17block_load_methodE3ELS4_3ELS4_3ELNS0_20block_scan_algorithmE0ELj4294967295EEENS1_25partition_config_selectorILNS1_17partition_subalgoE4EjNS0_10empty_typeEbEEZZNS1_14partition_implILS8_4ELb0ES6_15HIP_vector_typeIjLj2EENS0_17counting_iteratorIjlEEPS9_SG_NS0_5tupleIJPjSI_NS0_16reverse_iteratorISI_EEEEENSH_IJSG_SG_SG_EEES9_SI_JZNS1_25segmented_radix_sort_implINS0_14default_configELb0EPK12hip_bfloat16PSP_PKlPlN2at6native12_GLOBAL__N_18offset_tEEE10hipError_tPvRmT1_PNSt15iterator_traitsIS13_E10value_typeET2_T3_PNS14_IS19_E10value_typeET4_jRbjT5_S1F_jjP12ihipStream_tbEUljE_ZNSN_ISO_Lb0ESR_SS_SU_SV_SZ_EES10_S11_S12_S13_S17_S18_S19_S1C_S1D_jS1E_jS1F_S1F_jjS1H_bEUljE0_EEES10_S11_S12_S19_S1D_S1F_T6_T7_T9_mT8_S1H_bDpT10_ENKUlT_T0_E_clISt17integral_constantIbLb0EES1V_EEDaS1Q_S1R_EUlS1Q_E_NS1_11comp_targetILNS1_3genE0ELNS1_11target_archE4294967295ELNS1_3gpuE0ELNS1_3repE0EEENS1_30default_config_static_selectorELNS0_4arch9wavefront6targetE0EEEvS13_.num_named_barrier, 0
	.set _ZN7rocprim17ROCPRIM_400000_NS6detail17trampoline_kernelINS0_13select_configILj256ELj13ELNS0_17block_load_methodE3ELS4_3ELS4_3ELNS0_20block_scan_algorithmE0ELj4294967295EEENS1_25partition_config_selectorILNS1_17partition_subalgoE4EjNS0_10empty_typeEbEEZZNS1_14partition_implILS8_4ELb0ES6_15HIP_vector_typeIjLj2EENS0_17counting_iteratorIjlEEPS9_SG_NS0_5tupleIJPjSI_NS0_16reverse_iteratorISI_EEEEENSH_IJSG_SG_SG_EEES9_SI_JZNS1_25segmented_radix_sort_implINS0_14default_configELb0EPK12hip_bfloat16PSP_PKlPlN2at6native12_GLOBAL__N_18offset_tEEE10hipError_tPvRmT1_PNSt15iterator_traitsIS13_E10value_typeET2_T3_PNS14_IS19_E10value_typeET4_jRbjT5_S1F_jjP12ihipStream_tbEUljE_ZNSN_ISO_Lb0ESR_SS_SU_SV_SZ_EES10_S11_S12_S13_S17_S18_S19_S1C_S1D_jS1E_jS1F_S1F_jjS1H_bEUljE0_EEES10_S11_S12_S19_S1D_S1F_T6_T7_T9_mT8_S1H_bDpT10_ENKUlT_T0_E_clISt17integral_constantIbLb0EES1V_EEDaS1Q_S1R_EUlS1Q_E_NS1_11comp_targetILNS1_3genE0ELNS1_11target_archE4294967295ELNS1_3gpuE0ELNS1_3repE0EEENS1_30default_config_static_selectorELNS0_4arch9wavefront6targetE0EEEvS13_.private_seg_size, 0
	.set _ZN7rocprim17ROCPRIM_400000_NS6detail17trampoline_kernelINS0_13select_configILj256ELj13ELNS0_17block_load_methodE3ELS4_3ELS4_3ELNS0_20block_scan_algorithmE0ELj4294967295EEENS1_25partition_config_selectorILNS1_17partition_subalgoE4EjNS0_10empty_typeEbEEZZNS1_14partition_implILS8_4ELb0ES6_15HIP_vector_typeIjLj2EENS0_17counting_iteratorIjlEEPS9_SG_NS0_5tupleIJPjSI_NS0_16reverse_iteratorISI_EEEEENSH_IJSG_SG_SG_EEES9_SI_JZNS1_25segmented_radix_sort_implINS0_14default_configELb0EPK12hip_bfloat16PSP_PKlPlN2at6native12_GLOBAL__N_18offset_tEEE10hipError_tPvRmT1_PNSt15iterator_traitsIS13_E10value_typeET2_T3_PNS14_IS19_E10value_typeET4_jRbjT5_S1F_jjP12ihipStream_tbEUljE_ZNSN_ISO_Lb0ESR_SS_SU_SV_SZ_EES10_S11_S12_S13_S17_S18_S19_S1C_S1D_jS1E_jS1F_S1F_jjS1H_bEUljE0_EEES10_S11_S12_S19_S1D_S1F_T6_T7_T9_mT8_S1H_bDpT10_ENKUlT_T0_E_clISt17integral_constantIbLb0EES1V_EEDaS1Q_S1R_EUlS1Q_E_NS1_11comp_targetILNS1_3genE0ELNS1_11target_archE4294967295ELNS1_3gpuE0ELNS1_3repE0EEENS1_30default_config_static_selectorELNS0_4arch9wavefront6targetE0EEEvS13_.uses_vcc, 0
	.set _ZN7rocprim17ROCPRIM_400000_NS6detail17trampoline_kernelINS0_13select_configILj256ELj13ELNS0_17block_load_methodE3ELS4_3ELS4_3ELNS0_20block_scan_algorithmE0ELj4294967295EEENS1_25partition_config_selectorILNS1_17partition_subalgoE4EjNS0_10empty_typeEbEEZZNS1_14partition_implILS8_4ELb0ES6_15HIP_vector_typeIjLj2EENS0_17counting_iteratorIjlEEPS9_SG_NS0_5tupleIJPjSI_NS0_16reverse_iteratorISI_EEEEENSH_IJSG_SG_SG_EEES9_SI_JZNS1_25segmented_radix_sort_implINS0_14default_configELb0EPK12hip_bfloat16PSP_PKlPlN2at6native12_GLOBAL__N_18offset_tEEE10hipError_tPvRmT1_PNSt15iterator_traitsIS13_E10value_typeET2_T3_PNS14_IS19_E10value_typeET4_jRbjT5_S1F_jjP12ihipStream_tbEUljE_ZNSN_ISO_Lb0ESR_SS_SU_SV_SZ_EES10_S11_S12_S13_S17_S18_S19_S1C_S1D_jS1E_jS1F_S1F_jjS1H_bEUljE0_EEES10_S11_S12_S19_S1D_S1F_T6_T7_T9_mT8_S1H_bDpT10_ENKUlT_T0_E_clISt17integral_constantIbLb0EES1V_EEDaS1Q_S1R_EUlS1Q_E_NS1_11comp_targetILNS1_3genE0ELNS1_11target_archE4294967295ELNS1_3gpuE0ELNS1_3repE0EEENS1_30default_config_static_selectorELNS0_4arch9wavefront6targetE0EEEvS13_.uses_flat_scratch, 0
	.set _ZN7rocprim17ROCPRIM_400000_NS6detail17trampoline_kernelINS0_13select_configILj256ELj13ELNS0_17block_load_methodE3ELS4_3ELS4_3ELNS0_20block_scan_algorithmE0ELj4294967295EEENS1_25partition_config_selectorILNS1_17partition_subalgoE4EjNS0_10empty_typeEbEEZZNS1_14partition_implILS8_4ELb0ES6_15HIP_vector_typeIjLj2EENS0_17counting_iteratorIjlEEPS9_SG_NS0_5tupleIJPjSI_NS0_16reverse_iteratorISI_EEEEENSH_IJSG_SG_SG_EEES9_SI_JZNS1_25segmented_radix_sort_implINS0_14default_configELb0EPK12hip_bfloat16PSP_PKlPlN2at6native12_GLOBAL__N_18offset_tEEE10hipError_tPvRmT1_PNSt15iterator_traitsIS13_E10value_typeET2_T3_PNS14_IS19_E10value_typeET4_jRbjT5_S1F_jjP12ihipStream_tbEUljE_ZNSN_ISO_Lb0ESR_SS_SU_SV_SZ_EES10_S11_S12_S13_S17_S18_S19_S1C_S1D_jS1E_jS1F_S1F_jjS1H_bEUljE0_EEES10_S11_S12_S19_S1D_S1F_T6_T7_T9_mT8_S1H_bDpT10_ENKUlT_T0_E_clISt17integral_constantIbLb0EES1V_EEDaS1Q_S1R_EUlS1Q_E_NS1_11comp_targetILNS1_3genE0ELNS1_11target_archE4294967295ELNS1_3gpuE0ELNS1_3repE0EEENS1_30default_config_static_selectorELNS0_4arch9wavefront6targetE0EEEvS13_.has_dyn_sized_stack, 0
	.set _ZN7rocprim17ROCPRIM_400000_NS6detail17trampoline_kernelINS0_13select_configILj256ELj13ELNS0_17block_load_methodE3ELS4_3ELS4_3ELNS0_20block_scan_algorithmE0ELj4294967295EEENS1_25partition_config_selectorILNS1_17partition_subalgoE4EjNS0_10empty_typeEbEEZZNS1_14partition_implILS8_4ELb0ES6_15HIP_vector_typeIjLj2EENS0_17counting_iteratorIjlEEPS9_SG_NS0_5tupleIJPjSI_NS0_16reverse_iteratorISI_EEEEENSH_IJSG_SG_SG_EEES9_SI_JZNS1_25segmented_radix_sort_implINS0_14default_configELb0EPK12hip_bfloat16PSP_PKlPlN2at6native12_GLOBAL__N_18offset_tEEE10hipError_tPvRmT1_PNSt15iterator_traitsIS13_E10value_typeET2_T3_PNS14_IS19_E10value_typeET4_jRbjT5_S1F_jjP12ihipStream_tbEUljE_ZNSN_ISO_Lb0ESR_SS_SU_SV_SZ_EES10_S11_S12_S13_S17_S18_S19_S1C_S1D_jS1E_jS1F_S1F_jjS1H_bEUljE0_EEES10_S11_S12_S19_S1D_S1F_T6_T7_T9_mT8_S1H_bDpT10_ENKUlT_T0_E_clISt17integral_constantIbLb0EES1V_EEDaS1Q_S1R_EUlS1Q_E_NS1_11comp_targetILNS1_3genE0ELNS1_11target_archE4294967295ELNS1_3gpuE0ELNS1_3repE0EEENS1_30default_config_static_selectorELNS0_4arch9wavefront6targetE0EEEvS13_.has_recursion, 0
	.set _ZN7rocprim17ROCPRIM_400000_NS6detail17trampoline_kernelINS0_13select_configILj256ELj13ELNS0_17block_load_methodE3ELS4_3ELS4_3ELNS0_20block_scan_algorithmE0ELj4294967295EEENS1_25partition_config_selectorILNS1_17partition_subalgoE4EjNS0_10empty_typeEbEEZZNS1_14partition_implILS8_4ELb0ES6_15HIP_vector_typeIjLj2EENS0_17counting_iteratorIjlEEPS9_SG_NS0_5tupleIJPjSI_NS0_16reverse_iteratorISI_EEEEENSH_IJSG_SG_SG_EEES9_SI_JZNS1_25segmented_radix_sort_implINS0_14default_configELb0EPK12hip_bfloat16PSP_PKlPlN2at6native12_GLOBAL__N_18offset_tEEE10hipError_tPvRmT1_PNSt15iterator_traitsIS13_E10value_typeET2_T3_PNS14_IS19_E10value_typeET4_jRbjT5_S1F_jjP12ihipStream_tbEUljE_ZNSN_ISO_Lb0ESR_SS_SU_SV_SZ_EES10_S11_S12_S13_S17_S18_S19_S1C_S1D_jS1E_jS1F_S1F_jjS1H_bEUljE0_EEES10_S11_S12_S19_S1D_S1F_T6_T7_T9_mT8_S1H_bDpT10_ENKUlT_T0_E_clISt17integral_constantIbLb0EES1V_EEDaS1Q_S1R_EUlS1Q_E_NS1_11comp_targetILNS1_3genE0ELNS1_11target_archE4294967295ELNS1_3gpuE0ELNS1_3repE0EEENS1_30default_config_static_selectorELNS0_4arch9wavefront6targetE0EEEvS13_.has_indirect_call, 0
	.section	.AMDGPU.csdata,"",@progbits
; Kernel info:
; codeLenInByte = 0
; TotalNumSgprs: 0
; NumVgprs: 0
; ScratchSize: 0
; MemoryBound: 0
; FloatMode: 240
; IeeeMode: 1
; LDSByteSize: 0 bytes/workgroup (compile time only)
; SGPRBlocks: 0
; VGPRBlocks: 0
; NumSGPRsForWavesPerEU: 1
; NumVGPRsForWavesPerEU: 1
; Occupancy: 16
; WaveLimiterHint : 0
; COMPUTE_PGM_RSRC2:SCRATCH_EN: 0
; COMPUTE_PGM_RSRC2:USER_SGPR: 2
; COMPUTE_PGM_RSRC2:TRAP_HANDLER: 0
; COMPUTE_PGM_RSRC2:TGID_X_EN: 1
; COMPUTE_PGM_RSRC2:TGID_Y_EN: 0
; COMPUTE_PGM_RSRC2:TGID_Z_EN: 0
; COMPUTE_PGM_RSRC2:TIDIG_COMP_CNT: 0
	.section	.text._ZN7rocprim17ROCPRIM_400000_NS6detail17trampoline_kernelINS0_13select_configILj256ELj13ELNS0_17block_load_methodE3ELS4_3ELS4_3ELNS0_20block_scan_algorithmE0ELj4294967295EEENS1_25partition_config_selectorILNS1_17partition_subalgoE4EjNS0_10empty_typeEbEEZZNS1_14partition_implILS8_4ELb0ES6_15HIP_vector_typeIjLj2EENS0_17counting_iteratorIjlEEPS9_SG_NS0_5tupleIJPjSI_NS0_16reverse_iteratorISI_EEEEENSH_IJSG_SG_SG_EEES9_SI_JZNS1_25segmented_radix_sort_implINS0_14default_configELb0EPK12hip_bfloat16PSP_PKlPlN2at6native12_GLOBAL__N_18offset_tEEE10hipError_tPvRmT1_PNSt15iterator_traitsIS13_E10value_typeET2_T3_PNS14_IS19_E10value_typeET4_jRbjT5_S1F_jjP12ihipStream_tbEUljE_ZNSN_ISO_Lb0ESR_SS_SU_SV_SZ_EES10_S11_S12_S13_S17_S18_S19_S1C_S1D_jS1E_jS1F_S1F_jjS1H_bEUljE0_EEES10_S11_S12_S19_S1D_S1F_T6_T7_T9_mT8_S1H_bDpT10_ENKUlT_T0_E_clISt17integral_constantIbLb0EES1V_EEDaS1Q_S1R_EUlS1Q_E_NS1_11comp_targetILNS1_3genE5ELNS1_11target_archE942ELNS1_3gpuE9ELNS1_3repE0EEENS1_30default_config_static_selectorELNS0_4arch9wavefront6targetE0EEEvS13_,"axG",@progbits,_ZN7rocprim17ROCPRIM_400000_NS6detail17trampoline_kernelINS0_13select_configILj256ELj13ELNS0_17block_load_methodE3ELS4_3ELS4_3ELNS0_20block_scan_algorithmE0ELj4294967295EEENS1_25partition_config_selectorILNS1_17partition_subalgoE4EjNS0_10empty_typeEbEEZZNS1_14partition_implILS8_4ELb0ES6_15HIP_vector_typeIjLj2EENS0_17counting_iteratorIjlEEPS9_SG_NS0_5tupleIJPjSI_NS0_16reverse_iteratorISI_EEEEENSH_IJSG_SG_SG_EEES9_SI_JZNS1_25segmented_radix_sort_implINS0_14default_configELb0EPK12hip_bfloat16PSP_PKlPlN2at6native12_GLOBAL__N_18offset_tEEE10hipError_tPvRmT1_PNSt15iterator_traitsIS13_E10value_typeET2_T3_PNS14_IS19_E10value_typeET4_jRbjT5_S1F_jjP12ihipStream_tbEUljE_ZNSN_ISO_Lb0ESR_SS_SU_SV_SZ_EES10_S11_S12_S13_S17_S18_S19_S1C_S1D_jS1E_jS1F_S1F_jjS1H_bEUljE0_EEES10_S11_S12_S19_S1D_S1F_T6_T7_T9_mT8_S1H_bDpT10_ENKUlT_T0_E_clISt17integral_constantIbLb0EES1V_EEDaS1Q_S1R_EUlS1Q_E_NS1_11comp_targetILNS1_3genE5ELNS1_11target_archE942ELNS1_3gpuE9ELNS1_3repE0EEENS1_30default_config_static_selectorELNS0_4arch9wavefront6targetE0EEEvS13_,comdat
	.globl	_ZN7rocprim17ROCPRIM_400000_NS6detail17trampoline_kernelINS0_13select_configILj256ELj13ELNS0_17block_load_methodE3ELS4_3ELS4_3ELNS0_20block_scan_algorithmE0ELj4294967295EEENS1_25partition_config_selectorILNS1_17partition_subalgoE4EjNS0_10empty_typeEbEEZZNS1_14partition_implILS8_4ELb0ES6_15HIP_vector_typeIjLj2EENS0_17counting_iteratorIjlEEPS9_SG_NS0_5tupleIJPjSI_NS0_16reverse_iteratorISI_EEEEENSH_IJSG_SG_SG_EEES9_SI_JZNS1_25segmented_radix_sort_implINS0_14default_configELb0EPK12hip_bfloat16PSP_PKlPlN2at6native12_GLOBAL__N_18offset_tEEE10hipError_tPvRmT1_PNSt15iterator_traitsIS13_E10value_typeET2_T3_PNS14_IS19_E10value_typeET4_jRbjT5_S1F_jjP12ihipStream_tbEUljE_ZNSN_ISO_Lb0ESR_SS_SU_SV_SZ_EES10_S11_S12_S13_S17_S18_S19_S1C_S1D_jS1E_jS1F_S1F_jjS1H_bEUljE0_EEES10_S11_S12_S19_S1D_S1F_T6_T7_T9_mT8_S1H_bDpT10_ENKUlT_T0_E_clISt17integral_constantIbLb0EES1V_EEDaS1Q_S1R_EUlS1Q_E_NS1_11comp_targetILNS1_3genE5ELNS1_11target_archE942ELNS1_3gpuE9ELNS1_3repE0EEENS1_30default_config_static_selectorELNS0_4arch9wavefront6targetE0EEEvS13_ ; -- Begin function _ZN7rocprim17ROCPRIM_400000_NS6detail17trampoline_kernelINS0_13select_configILj256ELj13ELNS0_17block_load_methodE3ELS4_3ELS4_3ELNS0_20block_scan_algorithmE0ELj4294967295EEENS1_25partition_config_selectorILNS1_17partition_subalgoE4EjNS0_10empty_typeEbEEZZNS1_14partition_implILS8_4ELb0ES6_15HIP_vector_typeIjLj2EENS0_17counting_iteratorIjlEEPS9_SG_NS0_5tupleIJPjSI_NS0_16reverse_iteratorISI_EEEEENSH_IJSG_SG_SG_EEES9_SI_JZNS1_25segmented_radix_sort_implINS0_14default_configELb0EPK12hip_bfloat16PSP_PKlPlN2at6native12_GLOBAL__N_18offset_tEEE10hipError_tPvRmT1_PNSt15iterator_traitsIS13_E10value_typeET2_T3_PNS14_IS19_E10value_typeET4_jRbjT5_S1F_jjP12ihipStream_tbEUljE_ZNSN_ISO_Lb0ESR_SS_SU_SV_SZ_EES10_S11_S12_S13_S17_S18_S19_S1C_S1D_jS1E_jS1F_S1F_jjS1H_bEUljE0_EEES10_S11_S12_S19_S1D_S1F_T6_T7_T9_mT8_S1H_bDpT10_ENKUlT_T0_E_clISt17integral_constantIbLb0EES1V_EEDaS1Q_S1R_EUlS1Q_E_NS1_11comp_targetILNS1_3genE5ELNS1_11target_archE942ELNS1_3gpuE9ELNS1_3repE0EEENS1_30default_config_static_selectorELNS0_4arch9wavefront6targetE0EEEvS13_
	.p2align	8
	.type	_ZN7rocprim17ROCPRIM_400000_NS6detail17trampoline_kernelINS0_13select_configILj256ELj13ELNS0_17block_load_methodE3ELS4_3ELS4_3ELNS0_20block_scan_algorithmE0ELj4294967295EEENS1_25partition_config_selectorILNS1_17partition_subalgoE4EjNS0_10empty_typeEbEEZZNS1_14partition_implILS8_4ELb0ES6_15HIP_vector_typeIjLj2EENS0_17counting_iteratorIjlEEPS9_SG_NS0_5tupleIJPjSI_NS0_16reverse_iteratorISI_EEEEENSH_IJSG_SG_SG_EEES9_SI_JZNS1_25segmented_radix_sort_implINS0_14default_configELb0EPK12hip_bfloat16PSP_PKlPlN2at6native12_GLOBAL__N_18offset_tEEE10hipError_tPvRmT1_PNSt15iterator_traitsIS13_E10value_typeET2_T3_PNS14_IS19_E10value_typeET4_jRbjT5_S1F_jjP12ihipStream_tbEUljE_ZNSN_ISO_Lb0ESR_SS_SU_SV_SZ_EES10_S11_S12_S13_S17_S18_S19_S1C_S1D_jS1E_jS1F_S1F_jjS1H_bEUljE0_EEES10_S11_S12_S19_S1D_S1F_T6_T7_T9_mT8_S1H_bDpT10_ENKUlT_T0_E_clISt17integral_constantIbLb0EES1V_EEDaS1Q_S1R_EUlS1Q_E_NS1_11comp_targetILNS1_3genE5ELNS1_11target_archE942ELNS1_3gpuE9ELNS1_3repE0EEENS1_30default_config_static_selectorELNS0_4arch9wavefront6targetE0EEEvS13_,@function
_ZN7rocprim17ROCPRIM_400000_NS6detail17trampoline_kernelINS0_13select_configILj256ELj13ELNS0_17block_load_methodE3ELS4_3ELS4_3ELNS0_20block_scan_algorithmE0ELj4294967295EEENS1_25partition_config_selectorILNS1_17partition_subalgoE4EjNS0_10empty_typeEbEEZZNS1_14partition_implILS8_4ELb0ES6_15HIP_vector_typeIjLj2EENS0_17counting_iteratorIjlEEPS9_SG_NS0_5tupleIJPjSI_NS0_16reverse_iteratorISI_EEEEENSH_IJSG_SG_SG_EEES9_SI_JZNS1_25segmented_radix_sort_implINS0_14default_configELb0EPK12hip_bfloat16PSP_PKlPlN2at6native12_GLOBAL__N_18offset_tEEE10hipError_tPvRmT1_PNSt15iterator_traitsIS13_E10value_typeET2_T3_PNS14_IS19_E10value_typeET4_jRbjT5_S1F_jjP12ihipStream_tbEUljE_ZNSN_ISO_Lb0ESR_SS_SU_SV_SZ_EES10_S11_S12_S13_S17_S18_S19_S1C_S1D_jS1E_jS1F_S1F_jjS1H_bEUljE0_EEES10_S11_S12_S19_S1D_S1F_T6_T7_T9_mT8_S1H_bDpT10_ENKUlT_T0_E_clISt17integral_constantIbLb0EES1V_EEDaS1Q_S1R_EUlS1Q_E_NS1_11comp_targetILNS1_3genE5ELNS1_11target_archE942ELNS1_3gpuE9ELNS1_3repE0EEENS1_30default_config_static_selectorELNS0_4arch9wavefront6targetE0EEEvS13_: ; @_ZN7rocprim17ROCPRIM_400000_NS6detail17trampoline_kernelINS0_13select_configILj256ELj13ELNS0_17block_load_methodE3ELS4_3ELS4_3ELNS0_20block_scan_algorithmE0ELj4294967295EEENS1_25partition_config_selectorILNS1_17partition_subalgoE4EjNS0_10empty_typeEbEEZZNS1_14partition_implILS8_4ELb0ES6_15HIP_vector_typeIjLj2EENS0_17counting_iteratorIjlEEPS9_SG_NS0_5tupleIJPjSI_NS0_16reverse_iteratorISI_EEEEENSH_IJSG_SG_SG_EEES9_SI_JZNS1_25segmented_radix_sort_implINS0_14default_configELb0EPK12hip_bfloat16PSP_PKlPlN2at6native12_GLOBAL__N_18offset_tEEE10hipError_tPvRmT1_PNSt15iterator_traitsIS13_E10value_typeET2_T3_PNS14_IS19_E10value_typeET4_jRbjT5_S1F_jjP12ihipStream_tbEUljE_ZNSN_ISO_Lb0ESR_SS_SU_SV_SZ_EES10_S11_S12_S13_S17_S18_S19_S1C_S1D_jS1E_jS1F_S1F_jjS1H_bEUljE0_EEES10_S11_S12_S19_S1D_S1F_T6_T7_T9_mT8_S1H_bDpT10_ENKUlT_T0_E_clISt17integral_constantIbLb0EES1V_EEDaS1Q_S1R_EUlS1Q_E_NS1_11comp_targetILNS1_3genE5ELNS1_11target_archE942ELNS1_3gpuE9ELNS1_3repE0EEENS1_30default_config_static_selectorELNS0_4arch9wavefront6targetE0EEEvS13_
; %bb.0:
	.section	.rodata,"a",@progbits
	.p2align	6, 0x0
	.amdhsa_kernel _ZN7rocprim17ROCPRIM_400000_NS6detail17trampoline_kernelINS0_13select_configILj256ELj13ELNS0_17block_load_methodE3ELS4_3ELS4_3ELNS0_20block_scan_algorithmE0ELj4294967295EEENS1_25partition_config_selectorILNS1_17partition_subalgoE4EjNS0_10empty_typeEbEEZZNS1_14partition_implILS8_4ELb0ES6_15HIP_vector_typeIjLj2EENS0_17counting_iteratorIjlEEPS9_SG_NS0_5tupleIJPjSI_NS0_16reverse_iteratorISI_EEEEENSH_IJSG_SG_SG_EEES9_SI_JZNS1_25segmented_radix_sort_implINS0_14default_configELb0EPK12hip_bfloat16PSP_PKlPlN2at6native12_GLOBAL__N_18offset_tEEE10hipError_tPvRmT1_PNSt15iterator_traitsIS13_E10value_typeET2_T3_PNS14_IS19_E10value_typeET4_jRbjT5_S1F_jjP12ihipStream_tbEUljE_ZNSN_ISO_Lb0ESR_SS_SU_SV_SZ_EES10_S11_S12_S13_S17_S18_S19_S1C_S1D_jS1E_jS1F_S1F_jjS1H_bEUljE0_EEES10_S11_S12_S19_S1D_S1F_T6_T7_T9_mT8_S1H_bDpT10_ENKUlT_T0_E_clISt17integral_constantIbLb0EES1V_EEDaS1Q_S1R_EUlS1Q_E_NS1_11comp_targetILNS1_3genE5ELNS1_11target_archE942ELNS1_3gpuE9ELNS1_3repE0EEENS1_30default_config_static_selectorELNS0_4arch9wavefront6targetE0EEEvS13_
		.amdhsa_group_segment_fixed_size 0
		.amdhsa_private_segment_fixed_size 0
		.amdhsa_kernarg_size 176
		.amdhsa_user_sgpr_count 2
		.amdhsa_user_sgpr_dispatch_ptr 0
		.amdhsa_user_sgpr_queue_ptr 0
		.amdhsa_user_sgpr_kernarg_segment_ptr 1
		.amdhsa_user_sgpr_dispatch_id 0
		.amdhsa_user_sgpr_private_segment_size 0
		.amdhsa_wavefront_size32 1
		.amdhsa_uses_dynamic_stack 0
		.amdhsa_enable_private_segment 0
		.amdhsa_system_sgpr_workgroup_id_x 1
		.amdhsa_system_sgpr_workgroup_id_y 0
		.amdhsa_system_sgpr_workgroup_id_z 0
		.amdhsa_system_sgpr_workgroup_info 0
		.amdhsa_system_vgpr_workitem_id 0
		.amdhsa_next_free_vgpr 1
		.amdhsa_next_free_sgpr 1
		.amdhsa_reserve_vcc 0
		.amdhsa_float_round_mode_32 0
		.amdhsa_float_round_mode_16_64 0
		.amdhsa_float_denorm_mode_32 3
		.amdhsa_float_denorm_mode_16_64 3
		.amdhsa_fp16_overflow 0
		.amdhsa_workgroup_processor_mode 1
		.amdhsa_memory_ordered 1
		.amdhsa_forward_progress 1
		.amdhsa_inst_pref_size 0
		.amdhsa_round_robin_scheduling 0
		.amdhsa_exception_fp_ieee_invalid_op 0
		.amdhsa_exception_fp_denorm_src 0
		.amdhsa_exception_fp_ieee_div_zero 0
		.amdhsa_exception_fp_ieee_overflow 0
		.amdhsa_exception_fp_ieee_underflow 0
		.amdhsa_exception_fp_ieee_inexact 0
		.amdhsa_exception_int_div_zero 0
	.end_amdhsa_kernel
	.section	.text._ZN7rocprim17ROCPRIM_400000_NS6detail17trampoline_kernelINS0_13select_configILj256ELj13ELNS0_17block_load_methodE3ELS4_3ELS4_3ELNS0_20block_scan_algorithmE0ELj4294967295EEENS1_25partition_config_selectorILNS1_17partition_subalgoE4EjNS0_10empty_typeEbEEZZNS1_14partition_implILS8_4ELb0ES6_15HIP_vector_typeIjLj2EENS0_17counting_iteratorIjlEEPS9_SG_NS0_5tupleIJPjSI_NS0_16reverse_iteratorISI_EEEEENSH_IJSG_SG_SG_EEES9_SI_JZNS1_25segmented_radix_sort_implINS0_14default_configELb0EPK12hip_bfloat16PSP_PKlPlN2at6native12_GLOBAL__N_18offset_tEEE10hipError_tPvRmT1_PNSt15iterator_traitsIS13_E10value_typeET2_T3_PNS14_IS19_E10value_typeET4_jRbjT5_S1F_jjP12ihipStream_tbEUljE_ZNSN_ISO_Lb0ESR_SS_SU_SV_SZ_EES10_S11_S12_S13_S17_S18_S19_S1C_S1D_jS1E_jS1F_S1F_jjS1H_bEUljE0_EEES10_S11_S12_S19_S1D_S1F_T6_T7_T9_mT8_S1H_bDpT10_ENKUlT_T0_E_clISt17integral_constantIbLb0EES1V_EEDaS1Q_S1R_EUlS1Q_E_NS1_11comp_targetILNS1_3genE5ELNS1_11target_archE942ELNS1_3gpuE9ELNS1_3repE0EEENS1_30default_config_static_selectorELNS0_4arch9wavefront6targetE0EEEvS13_,"axG",@progbits,_ZN7rocprim17ROCPRIM_400000_NS6detail17trampoline_kernelINS0_13select_configILj256ELj13ELNS0_17block_load_methodE3ELS4_3ELS4_3ELNS0_20block_scan_algorithmE0ELj4294967295EEENS1_25partition_config_selectorILNS1_17partition_subalgoE4EjNS0_10empty_typeEbEEZZNS1_14partition_implILS8_4ELb0ES6_15HIP_vector_typeIjLj2EENS0_17counting_iteratorIjlEEPS9_SG_NS0_5tupleIJPjSI_NS0_16reverse_iteratorISI_EEEEENSH_IJSG_SG_SG_EEES9_SI_JZNS1_25segmented_radix_sort_implINS0_14default_configELb0EPK12hip_bfloat16PSP_PKlPlN2at6native12_GLOBAL__N_18offset_tEEE10hipError_tPvRmT1_PNSt15iterator_traitsIS13_E10value_typeET2_T3_PNS14_IS19_E10value_typeET4_jRbjT5_S1F_jjP12ihipStream_tbEUljE_ZNSN_ISO_Lb0ESR_SS_SU_SV_SZ_EES10_S11_S12_S13_S17_S18_S19_S1C_S1D_jS1E_jS1F_S1F_jjS1H_bEUljE0_EEES10_S11_S12_S19_S1D_S1F_T6_T7_T9_mT8_S1H_bDpT10_ENKUlT_T0_E_clISt17integral_constantIbLb0EES1V_EEDaS1Q_S1R_EUlS1Q_E_NS1_11comp_targetILNS1_3genE5ELNS1_11target_archE942ELNS1_3gpuE9ELNS1_3repE0EEENS1_30default_config_static_selectorELNS0_4arch9wavefront6targetE0EEEvS13_,comdat
.Lfunc_end1986:
	.size	_ZN7rocprim17ROCPRIM_400000_NS6detail17trampoline_kernelINS0_13select_configILj256ELj13ELNS0_17block_load_methodE3ELS4_3ELS4_3ELNS0_20block_scan_algorithmE0ELj4294967295EEENS1_25partition_config_selectorILNS1_17partition_subalgoE4EjNS0_10empty_typeEbEEZZNS1_14partition_implILS8_4ELb0ES6_15HIP_vector_typeIjLj2EENS0_17counting_iteratorIjlEEPS9_SG_NS0_5tupleIJPjSI_NS0_16reverse_iteratorISI_EEEEENSH_IJSG_SG_SG_EEES9_SI_JZNS1_25segmented_radix_sort_implINS0_14default_configELb0EPK12hip_bfloat16PSP_PKlPlN2at6native12_GLOBAL__N_18offset_tEEE10hipError_tPvRmT1_PNSt15iterator_traitsIS13_E10value_typeET2_T3_PNS14_IS19_E10value_typeET4_jRbjT5_S1F_jjP12ihipStream_tbEUljE_ZNSN_ISO_Lb0ESR_SS_SU_SV_SZ_EES10_S11_S12_S13_S17_S18_S19_S1C_S1D_jS1E_jS1F_S1F_jjS1H_bEUljE0_EEES10_S11_S12_S19_S1D_S1F_T6_T7_T9_mT8_S1H_bDpT10_ENKUlT_T0_E_clISt17integral_constantIbLb0EES1V_EEDaS1Q_S1R_EUlS1Q_E_NS1_11comp_targetILNS1_3genE5ELNS1_11target_archE942ELNS1_3gpuE9ELNS1_3repE0EEENS1_30default_config_static_selectorELNS0_4arch9wavefront6targetE0EEEvS13_, .Lfunc_end1986-_ZN7rocprim17ROCPRIM_400000_NS6detail17trampoline_kernelINS0_13select_configILj256ELj13ELNS0_17block_load_methodE3ELS4_3ELS4_3ELNS0_20block_scan_algorithmE0ELj4294967295EEENS1_25partition_config_selectorILNS1_17partition_subalgoE4EjNS0_10empty_typeEbEEZZNS1_14partition_implILS8_4ELb0ES6_15HIP_vector_typeIjLj2EENS0_17counting_iteratorIjlEEPS9_SG_NS0_5tupleIJPjSI_NS0_16reverse_iteratorISI_EEEEENSH_IJSG_SG_SG_EEES9_SI_JZNS1_25segmented_radix_sort_implINS0_14default_configELb0EPK12hip_bfloat16PSP_PKlPlN2at6native12_GLOBAL__N_18offset_tEEE10hipError_tPvRmT1_PNSt15iterator_traitsIS13_E10value_typeET2_T3_PNS14_IS19_E10value_typeET4_jRbjT5_S1F_jjP12ihipStream_tbEUljE_ZNSN_ISO_Lb0ESR_SS_SU_SV_SZ_EES10_S11_S12_S13_S17_S18_S19_S1C_S1D_jS1E_jS1F_S1F_jjS1H_bEUljE0_EEES10_S11_S12_S19_S1D_S1F_T6_T7_T9_mT8_S1H_bDpT10_ENKUlT_T0_E_clISt17integral_constantIbLb0EES1V_EEDaS1Q_S1R_EUlS1Q_E_NS1_11comp_targetILNS1_3genE5ELNS1_11target_archE942ELNS1_3gpuE9ELNS1_3repE0EEENS1_30default_config_static_selectorELNS0_4arch9wavefront6targetE0EEEvS13_
                                        ; -- End function
	.set _ZN7rocprim17ROCPRIM_400000_NS6detail17trampoline_kernelINS0_13select_configILj256ELj13ELNS0_17block_load_methodE3ELS4_3ELS4_3ELNS0_20block_scan_algorithmE0ELj4294967295EEENS1_25partition_config_selectorILNS1_17partition_subalgoE4EjNS0_10empty_typeEbEEZZNS1_14partition_implILS8_4ELb0ES6_15HIP_vector_typeIjLj2EENS0_17counting_iteratorIjlEEPS9_SG_NS0_5tupleIJPjSI_NS0_16reverse_iteratorISI_EEEEENSH_IJSG_SG_SG_EEES9_SI_JZNS1_25segmented_radix_sort_implINS0_14default_configELb0EPK12hip_bfloat16PSP_PKlPlN2at6native12_GLOBAL__N_18offset_tEEE10hipError_tPvRmT1_PNSt15iterator_traitsIS13_E10value_typeET2_T3_PNS14_IS19_E10value_typeET4_jRbjT5_S1F_jjP12ihipStream_tbEUljE_ZNSN_ISO_Lb0ESR_SS_SU_SV_SZ_EES10_S11_S12_S13_S17_S18_S19_S1C_S1D_jS1E_jS1F_S1F_jjS1H_bEUljE0_EEES10_S11_S12_S19_S1D_S1F_T6_T7_T9_mT8_S1H_bDpT10_ENKUlT_T0_E_clISt17integral_constantIbLb0EES1V_EEDaS1Q_S1R_EUlS1Q_E_NS1_11comp_targetILNS1_3genE5ELNS1_11target_archE942ELNS1_3gpuE9ELNS1_3repE0EEENS1_30default_config_static_selectorELNS0_4arch9wavefront6targetE0EEEvS13_.num_vgpr, 0
	.set _ZN7rocprim17ROCPRIM_400000_NS6detail17trampoline_kernelINS0_13select_configILj256ELj13ELNS0_17block_load_methodE3ELS4_3ELS4_3ELNS0_20block_scan_algorithmE0ELj4294967295EEENS1_25partition_config_selectorILNS1_17partition_subalgoE4EjNS0_10empty_typeEbEEZZNS1_14partition_implILS8_4ELb0ES6_15HIP_vector_typeIjLj2EENS0_17counting_iteratorIjlEEPS9_SG_NS0_5tupleIJPjSI_NS0_16reverse_iteratorISI_EEEEENSH_IJSG_SG_SG_EEES9_SI_JZNS1_25segmented_radix_sort_implINS0_14default_configELb0EPK12hip_bfloat16PSP_PKlPlN2at6native12_GLOBAL__N_18offset_tEEE10hipError_tPvRmT1_PNSt15iterator_traitsIS13_E10value_typeET2_T3_PNS14_IS19_E10value_typeET4_jRbjT5_S1F_jjP12ihipStream_tbEUljE_ZNSN_ISO_Lb0ESR_SS_SU_SV_SZ_EES10_S11_S12_S13_S17_S18_S19_S1C_S1D_jS1E_jS1F_S1F_jjS1H_bEUljE0_EEES10_S11_S12_S19_S1D_S1F_T6_T7_T9_mT8_S1H_bDpT10_ENKUlT_T0_E_clISt17integral_constantIbLb0EES1V_EEDaS1Q_S1R_EUlS1Q_E_NS1_11comp_targetILNS1_3genE5ELNS1_11target_archE942ELNS1_3gpuE9ELNS1_3repE0EEENS1_30default_config_static_selectorELNS0_4arch9wavefront6targetE0EEEvS13_.num_agpr, 0
	.set _ZN7rocprim17ROCPRIM_400000_NS6detail17trampoline_kernelINS0_13select_configILj256ELj13ELNS0_17block_load_methodE3ELS4_3ELS4_3ELNS0_20block_scan_algorithmE0ELj4294967295EEENS1_25partition_config_selectorILNS1_17partition_subalgoE4EjNS0_10empty_typeEbEEZZNS1_14partition_implILS8_4ELb0ES6_15HIP_vector_typeIjLj2EENS0_17counting_iteratorIjlEEPS9_SG_NS0_5tupleIJPjSI_NS0_16reverse_iteratorISI_EEEEENSH_IJSG_SG_SG_EEES9_SI_JZNS1_25segmented_radix_sort_implINS0_14default_configELb0EPK12hip_bfloat16PSP_PKlPlN2at6native12_GLOBAL__N_18offset_tEEE10hipError_tPvRmT1_PNSt15iterator_traitsIS13_E10value_typeET2_T3_PNS14_IS19_E10value_typeET4_jRbjT5_S1F_jjP12ihipStream_tbEUljE_ZNSN_ISO_Lb0ESR_SS_SU_SV_SZ_EES10_S11_S12_S13_S17_S18_S19_S1C_S1D_jS1E_jS1F_S1F_jjS1H_bEUljE0_EEES10_S11_S12_S19_S1D_S1F_T6_T7_T9_mT8_S1H_bDpT10_ENKUlT_T0_E_clISt17integral_constantIbLb0EES1V_EEDaS1Q_S1R_EUlS1Q_E_NS1_11comp_targetILNS1_3genE5ELNS1_11target_archE942ELNS1_3gpuE9ELNS1_3repE0EEENS1_30default_config_static_selectorELNS0_4arch9wavefront6targetE0EEEvS13_.numbered_sgpr, 0
	.set _ZN7rocprim17ROCPRIM_400000_NS6detail17trampoline_kernelINS0_13select_configILj256ELj13ELNS0_17block_load_methodE3ELS4_3ELS4_3ELNS0_20block_scan_algorithmE0ELj4294967295EEENS1_25partition_config_selectorILNS1_17partition_subalgoE4EjNS0_10empty_typeEbEEZZNS1_14partition_implILS8_4ELb0ES6_15HIP_vector_typeIjLj2EENS0_17counting_iteratorIjlEEPS9_SG_NS0_5tupleIJPjSI_NS0_16reverse_iteratorISI_EEEEENSH_IJSG_SG_SG_EEES9_SI_JZNS1_25segmented_radix_sort_implINS0_14default_configELb0EPK12hip_bfloat16PSP_PKlPlN2at6native12_GLOBAL__N_18offset_tEEE10hipError_tPvRmT1_PNSt15iterator_traitsIS13_E10value_typeET2_T3_PNS14_IS19_E10value_typeET4_jRbjT5_S1F_jjP12ihipStream_tbEUljE_ZNSN_ISO_Lb0ESR_SS_SU_SV_SZ_EES10_S11_S12_S13_S17_S18_S19_S1C_S1D_jS1E_jS1F_S1F_jjS1H_bEUljE0_EEES10_S11_S12_S19_S1D_S1F_T6_T7_T9_mT8_S1H_bDpT10_ENKUlT_T0_E_clISt17integral_constantIbLb0EES1V_EEDaS1Q_S1R_EUlS1Q_E_NS1_11comp_targetILNS1_3genE5ELNS1_11target_archE942ELNS1_3gpuE9ELNS1_3repE0EEENS1_30default_config_static_selectorELNS0_4arch9wavefront6targetE0EEEvS13_.num_named_barrier, 0
	.set _ZN7rocprim17ROCPRIM_400000_NS6detail17trampoline_kernelINS0_13select_configILj256ELj13ELNS0_17block_load_methodE3ELS4_3ELS4_3ELNS0_20block_scan_algorithmE0ELj4294967295EEENS1_25partition_config_selectorILNS1_17partition_subalgoE4EjNS0_10empty_typeEbEEZZNS1_14partition_implILS8_4ELb0ES6_15HIP_vector_typeIjLj2EENS0_17counting_iteratorIjlEEPS9_SG_NS0_5tupleIJPjSI_NS0_16reverse_iteratorISI_EEEEENSH_IJSG_SG_SG_EEES9_SI_JZNS1_25segmented_radix_sort_implINS0_14default_configELb0EPK12hip_bfloat16PSP_PKlPlN2at6native12_GLOBAL__N_18offset_tEEE10hipError_tPvRmT1_PNSt15iterator_traitsIS13_E10value_typeET2_T3_PNS14_IS19_E10value_typeET4_jRbjT5_S1F_jjP12ihipStream_tbEUljE_ZNSN_ISO_Lb0ESR_SS_SU_SV_SZ_EES10_S11_S12_S13_S17_S18_S19_S1C_S1D_jS1E_jS1F_S1F_jjS1H_bEUljE0_EEES10_S11_S12_S19_S1D_S1F_T6_T7_T9_mT8_S1H_bDpT10_ENKUlT_T0_E_clISt17integral_constantIbLb0EES1V_EEDaS1Q_S1R_EUlS1Q_E_NS1_11comp_targetILNS1_3genE5ELNS1_11target_archE942ELNS1_3gpuE9ELNS1_3repE0EEENS1_30default_config_static_selectorELNS0_4arch9wavefront6targetE0EEEvS13_.private_seg_size, 0
	.set _ZN7rocprim17ROCPRIM_400000_NS6detail17trampoline_kernelINS0_13select_configILj256ELj13ELNS0_17block_load_methodE3ELS4_3ELS4_3ELNS0_20block_scan_algorithmE0ELj4294967295EEENS1_25partition_config_selectorILNS1_17partition_subalgoE4EjNS0_10empty_typeEbEEZZNS1_14partition_implILS8_4ELb0ES6_15HIP_vector_typeIjLj2EENS0_17counting_iteratorIjlEEPS9_SG_NS0_5tupleIJPjSI_NS0_16reverse_iteratorISI_EEEEENSH_IJSG_SG_SG_EEES9_SI_JZNS1_25segmented_radix_sort_implINS0_14default_configELb0EPK12hip_bfloat16PSP_PKlPlN2at6native12_GLOBAL__N_18offset_tEEE10hipError_tPvRmT1_PNSt15iterator_traitsIS13_E10value_typeET2_T3_PNS14_IS19_E10value_typeET4_jRbjT5_S1F_jjP12ihipStream_tbEUljE_ZNSN_ISO_Lb0ESR_SS_SU_SV_SZ_EES10_S11_S12_S13_S17_S18_S19_S1C_S1D_jS1E_jS1F_S1F_jjS1H_bEUljE0_EEES10_S11_S12_S19_S1D_S1F_T6_T7_T9_mT8_S1H_bDpT10_ENKUlT_T0_E_clISt17integral_constantIbLb0EES1V_EEDaS1Q_S1R_EUlS1Q_E_NS1_11comp_targetILNS1_3genE5ELNS1_11target_archE942ELNS1_3gpuE9ELNS1_3repE0EEENS1_30default_config_static_selectorELNS0_4arch9wavefront6targetE0EEEvS13_.uses_vcc, 0
	.set _ZN7rocprim17ROCPRIM_400000_NS6detail17trampoline_kernelINS0_13select_configILj256ELj13ELNS0_17block_load_methodE3ELS4_3ELS4_3ELNS0_20block_scan_algorithmE0ELj4294967295EEENS1_25partition_config_selectorILNS1_17partition_subalgoE4EjNS0_10empty_typeEbEEZZNS1_14partition_implILS8_4ELb0ES6_15HIP_vector_typeIjLj2EENS0_17counting_iteratorIjlEEPS9_SG_NS0_5tupleIJPjSI_NS0_16reverse_iteratorISI_EEEEENSH_IJSG_SG_SG_EEES9_SI_JZNS1_25segmented_radix_sort_implINS0_14default_configELb0EPK12hip_bfloat16PSP_PKlPlN2at6native12_GLOBAL__N_18offset_tEEE10hipError_tPvRmT1_PNSt15iterator_traitsIS13_E10value_typeET2_T3_PNS14_IS19_E10value_typeET4_jRbjT5_S1F_jjP12ihipStream_tbEUljE_ZNSN_ISO_Lb0ESR_SS_SU_SV_SZ_EES10_S11_S12_S13_S17_S18_S19_S1C_S1D_jS1E_jS1F_S1F_jjS1H_bEUljE0_EEES10_S11_S12_S19_S1D_S1F_T6_T7_T9_mT8_S1H_bDpT10_ENKUlT_T0_E_clISt17integral_constantIbLb0EES1V_EEDaS1Q_S1R_EUlS1Q_E_NS1_11comp_targetILNS1_3genE5ELNS1_11target_archE942ELNS1_3gpuE9ELNS1_3repE0EEENS1_30default_config_static_selectorELNS0_4arch9wavefront6targetE0EEEvS13_.uses_flat_scratch, 0
	.set _ZN7rocprim17ROCPRIM_400000_NS6detail17trampoline_kernelINS0_13select_configILj256ELj13ELNS0_17block_load_methodE3ELS4_3ELS4_3ELNS0_20block_scan_algorithmE0ELj4294967295EEENS1_25partition_config_selectorILNS1_17partition_subalgoE4EjNS0_10empty_typeEbEEZZNS1_14partition_implILS8_4ELb0ES6_15HIP_vector_typeIjLj2EENS0_17counting_iteratorIjlEEPS9_SG_NS0_5tupleIJPjSI_NS0_16reverse_iteratorISI_EEEEENSH_IJSG_SG_SG_EEES9_SI_JZNS1_25segmented_radix_sort_implINS0_14default_configELb0EPK12hip_bfloat16PSP_PKlPlN2at6native12_GLOBAL__N_18offset_tEEE10hipError_tPvRmT1_PNSt15iterator_traitsIS13_E10value_typeET2_T3_PNS14_IS19_E10value_typeET4_jRbjT5_S1F_jjP12ihipStream_tbEUljE_ZNSN_ISO_Lb0ESR_SS_SU_SV_SZ_EES10_S11_S12_S13_S17_S18_S19_S1C_S1D_jS1E_jS1F_S1F_jjS1H_bEUljE0_EEES10_S11_S12_S19_S1D_S1F_T6_T7_T9_mT8_S1H_bDpT10_ENKUlT_T0_E_clISt17integral_constantIbLb0EES1V_EEDaS1Q_S1R_EUlS1Q_E_NS1_11comp_targetILNS1_3genE5ELNS1_11target_archE942ELNS1_3gpuE9ELNS1_3repE0EEENS1_30default_config_static_selectorELNS0_4arch9wavefront6targetE0EEEvS13_.has_dyn_sized_stack, 0
	.set _ZN7rocprim17ROCPRIM_400000_NS6detail17trampoline_kernelINS0_13select_configILj256ELj13ELNS0_17block_load_methodE3ELS4_3ELS4_3ELNS0_20block_scan_algorithmE0ELj4294967295EEENS1_25partition_config_selectorILNS1_17partition_subalgoE4EjNS0_10empty_typeEbEEZZNS1_14partition_implILS8_4ELb0ES6_15HIP_vector_typeIjLj2EENS0_17counting_iteratorIjlEEPS9_SG_NS0_5tupleIJPjSI_NS0_16reverse_iteratorISI_EEEEENSH_IJSG_SG_SG_EEES9_SI_JZNS1_25segmented_radix_sort_implINS0_14default_configELb0EPK12hip_bfloat16PSP_PKlPlN2at6native12_GLOBAL__N_18offset_tEEE10hipError_tPvRmT1_PNSt15iterator_traitsIS13_E10value_typeET2_T3_PNS14_IS19_E10value_typeET4_jRbjT5_S1F_jjP12ihipStream_tbEUljE_ZNSN_ISO_Lb0ESR_SS_SU_SV_SZ_EES10_S11_S12_S13_S17_S18_S19_S1C_S1D_jS1E_jS1F_S1F_jjS1H_bEUljE0_EEES10_S11_S12_S19_S1D_S1F_T6_T7_T9_mT8_S1H_bDpT10_ENKUlT_T0_E_clISt17integral_constantIbLb0EES1V_EEDaS1Q_S1R_EUlS1Q_E_NS1_11comp_targetILNS1_3genE5ELNS1_11target_archE942ELNS1_3gpuE9ELNS1_3repE0EEENS1_30default_config_static_selectorELNS0_4arch9wavefront6targetE0EEEvS13_.has_recursion, 0
	.set _ZN7rocprim17ROCPRIM_400000_NS6detail17trampoline_kernelINS0_13select_configILj256ELj13ELNS0_17block_load_methodE3ELS4_3ELS4_3ELNS0_20block_scan_algorithmE0ELj4294967295EEENS1_25partition_config_selectorILNS1_17partition_subalgoE4EjNS0_10empty_typeEbEEZZNS1_14partition_implILS8_4ELb0ES6_15HIP_vector_typeIjLj2EENS0_17counting_iteratorIjlEEPS9_SG_NS0_5tupleIJPjSI_NS0_16reverse_iteratorISI_EEEEENSH_IJSG_SG_SG_EEES9_SI_JZNS1_25segmented_radix_sort_implINS0_14default_configELb0EPK12hip_bfloat16PSP_PKlPlN2at6native12_GLOBAL__N_18offset_tEEE10hipError_tPvRmT1_PNSt15iterator_traitsIS13_E10value_typeET2_T3_PNS14_IS19_E10value_typeET4_jRbjT5_S1F_jjP12ihipStream_tbEUljE_ZNSN_ISO_Lb0ESR_SS_SU_SV_SZ_EES10_S11_S12_S13_S17_S18_S19_S1C_S1D_jS1E_jS1F_S1F_jjS1H_bEUljE0_EEES10_S11_S12_S19_S1D_S1F_T6_T7_T9_mT8_S1H_bDpT10_ENKUlT_T0_E_clISt17integral_constantIbLb0EES1V_EEDaS1Q_S1R_EUlS1Q_E_NS1_11comp_targetILNS1_3genE5ELNS1_11target_archE942ELNS1_3gpuE9ELNS1_3repE0EEENS1_30default_config_static_selectorELNS0_4arch9wavefront6targetE0EEEvS13_.has_indirect_call, 0
	.section	.AMDGPU.csdata,"",@progbits
; Kernel info:
; codeLenInByte = 0
; TotalNumSgprs: 0
; NumVgprs: 0
; ScratchSize: 0
; MemoryBound: 0
; FloatMode: 240
; IeeeMode: 1
; LDSByteSize: 0 bytes/workgroup (compile time only)
; SGPRBlocks: 0
; VGPRBlocks: 0
; NumSGPRsForWavesPerEU: 1
; NumVGPRsForWavesPerEU: 1
; Occupancy: 16
; WaveLimiterHint : 0
; COMPUTE_PGM_RSRC2:SCRATCH_EN: 0
; COMPUTE_PGM_RSRC2:USER_SGPR: 2
; COMPUTE_PGM_RSRC2:TRAP_HANDLER: 0
; COMPUTE_PGM_RSRC2:TGID_X_EN: 1
; COMPUTE_PGM_RSRC2:TGID_Y_EN: 0
; COMPUTE_PGM_RSRC2:TGID_Z_EN: 0
; COMPUTE_PGM_RSRC2:TIDIG_COMP_CNT: 0
	.section	.text._ZN7rocprim17ROCPRIM_400000_NS6detail17trampoline_kernelINS0_13select_configILj256ELj13ELNS0_17block_load_methodE3ELS4_3ELS4_3ELNS0_20block_scan_algorithmE0ELj4294967295EEENS1_25partition_config_selectorILNS1_17partition_subalgoE4EjNS0_10empty_typeEbEEZZNS1_14partition_implILS8_4ELb0ES6_15HIP_vector_typeIjLj2EENS0_17counting_iteratorIjlEEPS9_SG_NS0_5tupleIJPjSI_NS0_16reverse_iteratorISI_EEEEENSH_IJSG_SG_SG_EEES9_SI_JZNS1_25segmented_radix_sort_implINS0_14default_configELb0EPK12hip_bfloat16PSP_PKlPlN2at6native12_GLOBAL__N_18offset_tEEE10hipError_tPvRmT1_PNSt15iterator_traitsIS13_E10value_typeET2_T3_PNS14_IS19_E10value_typeET4_jRbjT5_S1F_jjP12ihipStream_tbEUljE_ZNSN_ISO_Lb0ESR_SS_SU_SV_SZ_EES10_S11_S12_S13_S17_S18_S19_S1C_S1D_jS1E_jS1F_S1F_jjS1H_bEUljE0_EEES10_S11_S12_S19_S1D_S1F_T6_T7_T9_mT8_S1H_bDpT10_ENKUlT_T0_E_clISt17integral_constantIbLb0EES1V_EEDaS1Q_S1R_EUlS1Q_E_NS1_11comp_targetILNS1_3genE4ELNS1_11target_archE910ELNS1_3gpuE8ELNS1_3repE0EEENS1_30default_config_static_selectorELNS0_4arch9wavefront6targetE0EEEvS13_,"axG",@progbits,_ZN7rocprim17ROCPRIM_400000_NS6detail17trampoline_kernelINS0_13select_configILj256ELj13ELNS0_17block_load_methodE3ELS4_3ELS4_3ELNS0_20block_scan_algorithmE0ELj4294967295EEENS1_25partition_config_selectorILNS1_17partition_subalgoE4EjNS0_10empty_typeEbEEZZNS1_14partition_implILS8_4ELb0ES6_15HIP_vector_typeIjLj2EENS0_17counting_iteratorIjlEEPS9_SG_NS0_5tupleIJPjSI_NS0_16reverse_iteratorISI_EEEEENSH_IJSG_SG_SG_EEES9_SI_JZNS1_25segmented_radix_sort_implINS0_14default_configELb0EPK12hip_bfloat16PSP_PKlPlN2at6native12_GLOBAL__N_18offset_tEEE10hipError_tPvRmT1_PNSt15iterator_traitsIS13_E10value_typeET2_T3_PNS14_IS19_E10value_typeET4_jRbjT5_S1F_jjP12ihipStream_tbEUljE_ZNSN_ISO_Lb0ESR_SS_SU_SV_SZ_EES10_S11_S12_S13_S17_S18_S19_S1C_S1D_jS1E_jS1F_S1F_jjS1H_bEUljE0_EEES10_S11_S12_S19_S1D_S1F_T6_T7_T9_mT8_S1H_bDpT10_ENKUlT_T0_E_clISt17integral_constantIbLb0EES1V_EEDaS1Q_S1R_EUlS1Q_E_NS1_11comp_targetILNS1_3genE4ELNS1_11target_archE910ELNS1_3gpuE8ELNS1_3repE0EEENS1_30default_config_static_selectorELNS0_4arch9wavefront6targetE0EEEvS13_,comdat
	.globl	_ZN7rocprim17ROCPRIM_400000_NS6detail17trampoline_kernelINS0_13select_configILj256ELj13ELNS0_17block_load_methodE3ELS4_3ELS4_3ELNS0_20block_scan_algorithmE0ELj4294967295EEENS1_25partition_config_selectorILNS1_17partition_subalgoE4EjNS0_10empty_typeEbEEZZNS1_14partition_implILS8_4ELb0ES6_15HIP_vector_typeIjLj2EENS0_17counting_iteratorIjlEEPS9_SG_NS0_5tupleIJPjSI_NS0_16reverse_iteratorISI_EEEEENSH_IJSG_SG_SG_EEES9_SI_JZNS1_25segmented_radix_sort_implINS0_14default_configELb0EPK12hip_bfloat16PSP_PKlPlN2at6native12_GLOBAL__N_18offset_tEEE10hipError_tPvRmT1_PNSt15iterator_traitsIS13_E10value_typeET2_T3_PNS14_IS19_E10value_typeET4_jRbjT5_S1F_jjP12ihipStream_tbEUljE_ZNSN_ISO_Lb0ESR_SS_SU_SV_SZ_EES10_S11_S12_S13_S17_S18_S19_S1C_S1D_jS1E_jS1F_S1F_jjS1H_bEUljE0_EEES10_S11_S12_S19_S1D_S1F_T6_T7_T9_mT8_S1H_bDpT10_ENKUlT_T0_E_clISt17integral_constantIbLb0EES1V_EEDaS1Q_S1R_EUlS1Q_E_NS1_11comp_targetILNS1_3genE4ELNS1_11target_archE910ELNS1_3gpuE8ELNS1_3repE0EEENS1_30default_config_static_selectorELNS0_4arch9wavefront6targetE0EEEvS13_ ; -- Begin function _ZN7rocprim17ROCPRIM_400000_NS6detail17trampoline_kernelINS0_13select_configILj256ELj13ELNS0_17block_load_methodE3ELS4_3ELS4_3ELNS0_20block_scan_algorithmE0ELj4294967295EEENS1_25partition_config_selectorILNS1_17partition_subalgoE4EjNS0_10empty_typeEbEEZZNS1_14partition_implILS8_4ELb0ES6_15HIP_vector_typeIjLj2EENS0_17counting_iteratorIjlEEPS9_SG_NS0_5tupleIJPjSI_NS0_16reverse_iteratorISI_EEEEENSH_IJSG_SG_SG_EEES9_SI_JZNS1_25segmented_radix_sort_implINS0_14default_configELb0EPK12hip_bfloat16PSP_PKlPlN2at6native12_GLOBAL__N_18offset_tEEE10hipError_tPvRmT1_PNSt15iterator_traitsIS13_E10value_typeET2_T3_PNS14_IS19_E10value_typeET4_jRbjT5_S1F_jjP12ihipStream_tbEUljE_ZNSN_ISO_Lb0ESR_SS_SU_SV_SZ_EES10_S11_S12_S13_S17_S18_S19_S1C_S1D_jS1E_jS1F_S1F_jjS1H_bEUljE0_EEES10_S11_S12_S19_S1D_S1F_T6_T7_T9_mT8_S1H_bDpT10_ENKUlT_T0_E_clISt17integral_constantIbLb0EES1V_EEDaS1Q_S1R_EUlS1Q_E_NS1_11comp_targetILNS1_3genE4ELNS1_11target_archE910ELNS1_3gpuE8ELNS1_3repE0EEENS1_30default_config_static_selectorELNS0_4arch9wavefront6targetE0EEEvS13_
	.p2align	8
	.type	_ZN7rocprim17ROCPRIM_400000_NS6detail17trampoline_kernelINS0_13select_configILj256ELj13ELNS0_17block_load_methodE3ELS4_3ELS4_3ELNS0_20block_scan_algorithmE0ELj4294967295EEENS1_25partition_config_selectorILNS1_17partition_subalgoE4EjNS0_10empty_typeEbEEZZNS1_14partition_implILS8_4ELb0ES6_15HIP_vector_typeIjLj2EENS0_17counting_iteratorIjlEEPS9_SG_NS0_5tupleIJPjSI_NS0_16reverse_iteratorISI_EEEEENSH_IJSG_SG_SG_EEES9_SI_JZNS1_25segmented_radix_sort_implINS0_14default_configELb0EPK12hip_bfloat16PSP_PKlPlN2at6native12_GLOBAL__N_18offset_tEEE10hipError_tPvRmT1_PNSt15iterator_traitsIS13_E10value_typeET2_T3_PNS14_IS19_E10value_typeET4_jRbjT5_S1F_jjP12ihipStream_tbEUljE_ZNSN_ISO_Lb0ESR_SS_SU_SV_SZ_EES10_S11_S12_S13_S17_S18_S19_S1C_S1D_jS1E_jS1F_S1F_jjS1H_bEUljE0_EEES10_S11_S12_S19_S1D_S1F_T6_T7_T9_mT8_S1H_bDpT10_ENKUlT_T0_E_clISt17integral_constantIbLb0EES1V_EEDaS1Q_S1R_EUlS1Q_E_NS1_11comp_targetILNS1_3genE4ELNS1_11target_archE910ELNS1_3gpuE8ELNS1_3repE0EEENS1_30default_config_static_selectorELNS0_4arch9wavefront6targetE0EEEvS13_,@function
_ZN7rocprim17ROCPRIM_400000_NS6detail17trampoline_kernelINS0_13select_configILj256ELj13ELNS0_17block_load_methodE3ELS4_3ELS4_3ELNS0_20block_scan_algorithmE0ELj4294967295EEENS1_25partition_config_selectorILNS1_17partition_subalgoE4EjNS0_10empty_typeEbEEZZNS1_14partition_implILS8_4ELb0ES6_15HIP_vector_typeIjLj2EENS0_17counting_iteratorIjlEEPS9_SG_NS0_5tupleIJPjSI_NS0_16reverse_iteratorISI_EEEEENSH_IJSG_SG_SG_EEES9_SI_JZNS1_25segmented_radix_sort_implINS0_14default_configELb0EPK12hip_bfloat16PSP_PKlPlN2at6native12_GLOBAL__N_18offset_tEEE10hipError_tPvRmT1_PNSt15iterator_traitsIS13_E10value_typeET2_T3_PNS14_IS19_E10value_typeET4_jRbjT5_S1F_jjP12ihipStream_tbEUljE_ZNSN_ISO_Lb0ESR_SS_SU_SV_SZ_EES10_S11_S12_S13_S17_S18_S19_S1C_S1D_jS1E_jS1F_S1F_jjS1H_bEUljE0_EEES10_S11_S12_S19_S1D_S1F_T6_T7_T9_mT8_S1H_bDpT10_ENKUlT_T0_E_clISt17integral_constantIbLb0EES1V_EEDaS1Q_S1R_EUlS1Q_E_NS1_11comp_targetILNS1_3genE4ELNS1_11target_archE910ELNS1_3gpuE8ELNS1_3repE0EEENS1_30default_config_static_selectorELNS0_4arch9wavefront6targetE0EEEvS13_: ; @_ZN7rocprim17ROCPRIM_400000_NS6detail17trampoline_kernelINS0_13select_configILj256ELj13ELNS0_17block_load_methodE3ELS4_3ELS4_3ELNS0_20block_scan_algorithmE0ELj4294967295EEENS1_25partition_config_selectorILNS1_17partition_subalgoE4EjNS0_10empty_typeEbEEZZNS1_14partition_implILS8_4ELb0ES6_15HIP_vector_typeIjLj2EENS0_17counting_iteratorIjlEEPS9_SG_NS0_5tupleIJPjSI_NS0_16reverse_iteratorISI_EEEEENSH_IJSG_SG_SG_EEES9_SI_JZNS1_25segmented_radix_sort_implINS0_14default_configELb0EPK12hip_bfloat16PSP_PKlPlN2at6native12_GLOBAL__N_18offset_tEEE10hipError_tPvRmT1_PNSt15iterator_traitsIS13_E10value_typeET2_T3_PNS14_IS19_E10value_typeET4_jRbjT5_S1F_jjP12ihipStream_tbEUljE_ZNSN_ISO_Lb0ESR_SS_SU_SV_SZ_EES10_S11_S12_S13_S17_S18_S19_S1C_S1D_jS1E_jS1F_S1F_jjS1H_bEUljE0_EEES10_S11_S12_S19_S1D_S1F_T6_T7_T9_mT8_S1H_bDpT10_ENKUlT_T0_E_clISt17integral_constantIbLb0EES1V_EEDaS1Q_S1R_EUlS1Q_E_NS1_11comp_targetILNS1_3genE4ELNS1_11target_archE910ELNS1_3gpuE8ELNS1_3repE0EEENS1_30default_config_static_selectorELNS0_4arch9wavefront6targetE0EEEvS13_
; %bb.0:
	.section	.rodata,"a",@progbits
	.p2align	6, 0x0
	.amdhsa_kernel _ZN7rocprim17ROCPRIM_400000_NS6detail17trampoline_kernelINS0_13select_configILj256ELj13ELNS0_17block_load_methodE3ELS4_3ELS4_3ELNS0_20block_scan_algorithmE0ELj4294967295EEENS1_25partition_config_selectorILNS1_17partition_subalgoE4EjNS0_10empty_typeEbEEZZNS1_14partition_implILS8_4ELb0ES6_15HIP_vector_typeIjLj2EENS0_17counting_iteratorIjlEEPS9_SG_NS0_5tupleIJPjSI_NS0_16reverse_iteratorISI_EEEEENSH_IJSG_SG_SG_EEES9_SI_JZNS1_25segmented_radix_sort_implINS0_14default_configELb0EPK12hip_bfloat16PSP_PKlPlN2at6native12_GLOBAL__N_18offset_tEEE10hipError_tPvRmT1_PNSt15iterator_traitsIS13_E10value_typeET2_T3_PNS14_IS19_E10value_typeET4_jRbjT5_S1F_jjP12ihipStream_tbEUljE_ZNSN_ISO_Lb0ESR_SS_SU_SV_SZ_EES10_S11_S12_S13_S17_S18_S19_S1C_S1D_jS1E_jS1F_S1F_jjS1H_bEUljE0_EEES10_S11_S12_S19_S1D_S1F_T6_T7_T9_mT8_S1H_bDpT10_ENKUlT_T0_E_clISt17integral_constantIbLb0EES1V_EEDaS1Q_S1R_EUlS1Q_E_NS1_11comp_targetILNS1_3genE4ELNS1_11target_archE910ELNS1_3gpuE8ELNS1_3repE0EEENS1_30default_config_static_selectorELNS0_4arch9wavefront6targetE0EEEvS13_
		.amdhsa_group_segment_fixed_size 0
		.amdhsa_private_segment_fixed_size 0
		.amdhsa_kernarg_size 176
		.amdhsa_user_sgpr_count 2
		.amdhsa_user_sgpr_dispatch_ptr 0
		.amdhsa_user_sgpr_queue_ptr 0
		.amdhsa_user_sgpr_kernarg_segment_ptr 1
		.amdhsa_user_sgpr_dispatch_id 0
		.amdhsa_user_sgpr_private_segment_size 0
		.amdhsa_wavefront_size32 1
		.amdhsa_uses_dynamic_stack 0
		.amdhsa_enable_private_segment 0
		.amdhsa_system_sgpr_workgroup_id_x 1
		.amdhsa_system_sgpr_workgroup_id_y 0
		.amdhsa_system_sgpr_workgroup_id_z 0
		.amdhsa_system_sgpr_workgroup_info 0
		.amdhsa_system_vgpr_workitem_id 0
		.amdhsa_next_free_vgpr 1
		.amdhsa_next_free_sgpr 1
		.amdhsa_reserve_vcc 0
		.amdhsa_float_round_mode_32 0
		.amdhsa_float_round_mode_16_64 0
		.amdhsa_float_denorm_mode_32 3
		.amdhsa_float_denorm_mode_16_64 3
		.amdhsa_fp16_overflow 0
		.amdhsa_workgroup_processor_mode 1
		.amdhsa_memory_ordered 1
		.amdhsa_forward_progress 1
		.amdhsa_inst_pref_size 0
		.amdhsa_round_robin_scheduling 0
		.amdhsa_exception_fp_ieee_invalid_op 0
		.amdhsa_exception_fp_denorm_src 0
		.amdhsa_exception_fp_ieee_div_zero 0
		.amdhsa_exception_fp_ieee_overflow 0
		.amdhsa_exception_fp_ieee_underflow 0
		.amdhsa_exception_fp_ieee_inexact 0
		.amdhsa_exception_int_div_zero 0
	.end_amdhsa_kernel
	.section	.text._ZN7rocprim17ROCPRIM_400000_NS6detail17trampoline_kernelINS0_13select_configILj256ELj13ELNS0_17block_load_methodE3ELS4_3ELS4_3ELNS0_20block_scan_algorithmE0ELj4294967295EEENS1_25partition_config_selectorILNS1_17partition_subalgoE4EjNS0_10empty_typeEbEEZZNS1_14partition_implILS8_4ELb0ES6_15HIP_vector_typeIjLj2EENS0_17counting_iteratorIjlEEPS9_SG_NS0_5tupleIJPjSI_NS0_16reverse_iteratorISI_EEEEENSH_IJSG_SG_SG_EEES9_SI_JZNS1_25segmented_radix_sort_implINS0_14default_configELb0EPK12hip_bfloat16PSP_PKlPlN2at6native12_GLOBAL__N_18offset_tEEE10hipError_tPvRmT1_PNSt15iterator_traitsIS13_E10value_typeET2_T3_PNS14_IS19_E10value_typeET4_jRbjT5_S1F_jjP12ihipStream_tbEUljE_ZNSN_ISO_Lb0ESR_SS_SU_SV_SZ_EES10_S11_S12_S13_S17_S18_S19_S1C_S1D_jS1E_jS1F_S1F_jjS1H_bEUljE0_EEES10_S11_S12_S19_S1D_S1F_T6_T7_T9_mT8_S1H_bDpT10_ENKUlT_T0_E_clISt17integral_constantIbLb0EES1V_EEDaS1Q_S1R_EUlS1Q_E_NS1_11comp_targetILNS1_3genE4ELNS1_11target_archE910ELNS1_3gpuE8ELNS1_3repE0EEENS1_30default_config_static_selectorELNS0_4arch9wavefront6targetE0EEEvS13_,"axG",@progbits,_ZN7rocprim17ROCPRIM_400000_NS6detail17trampoline_kernelINS0_13select_configILj256ELj13ELNS0_17block_load_methodE3ELS4_3ELS4_3ELNS0_20block_scan_algorithmE0ELj4294967295EEENS1_25partition_config_selectorILNS1_17partition_subalgoE4EjNS0_10empty_typeEbEEZZNS1_14partition_implILS8_4ELb0ES6_15HIP_vector_typeIjLj2EENS0_17counting_iteratorIjlEEPS9_SG_NS0_5tupleIJPjSI_NS0_16reverse_iteratorISI_EEEEENSH_IJSG_SG_SG_EEES9_SI_JZNS1_25segmented_radix_sort_implINS0_14default_configELb0EPK12hip_bfloat16PSP_PKlPlN2at6native12_GLOBAL__N_18offset_tEEE10hipError_tPvRmT1_PNSt15iterator_traitsIS13_E10value_typeET2_T3_PNS14_IS19_E10value_typeET4_jRbjT5_S1F_jjP12ihipStream_tbEUljE_ZNSN_ISO_Lb0ESR_SS_SU_SV_SZ_EES10_S11_S12_S13_S17_S18_S19_S1C_S1D_jS1E_jS1F_S1F_jjS1H_bEUljE0_EEES10_S11_S12_S19_S1D_S1F_T6_T7_T9_mT8_S1H_bDpT10_ENKUlT_T0_E_clISt17integral_constantIbLb0EES1V_EEDaS1Q_S1R_EUlS1Q_E_NS1_11comp_targetILNS1_3genE4ELNS1_11target_archE910ELNS1_3gpuE8ELNS1_3repE0EEENS1_30default_config_static_selectorELNS0_4arch9wavefront6targetE0EEEvS13_,comdat
.Lfunc_end1987:
	.size	_ZN7rocprim17ROCPRIM_400000_NS6detail17trampoline_kernelINS0_13select_configILj256ELj13ELNS0_17block_load_methodE3ELS4_3ELS4_3ELNS0_20block_scan_algorithmE0ELj4294967295EEENS1_25partition_config_selectorILNS1_17partition_subalgoE4EjNS0_10empty_typeEbEEZZNS1_14partition_implILS8_4ELb0ES6_15HIP_vector_typeIjLj2EENS0_17counting_iteratorIjlEEPS9_SG_NS0_5tupleIJPjSI_NS0_16reverse_iteratorISI_EEEEENSH_IJSG_SG_SG_EEES9_SI_JZNS1_25segmented_radix_sort_implINS0_14default_configELb0EPK12hip_bfloat16PSP_PKlPlN2at6native12_GLOBAL__N_18offset_tEEE10hipError_tPvRmT1_PNSt15iterator_traitsIS13_E10value_typeET2_T3_PNS14_IS19_E10value_typeET4_jRbjT5_S1F_jjP12ihipStream_tbEUljE_ZNSN_ISO_Lb0ESR_SS_SU_SV_SZ_EES10_S11_S12_S13_S17_S18_S19_S1C_S1D_jS1E_jS1F_S1F_jjS1H_bEUljE0_EEES10_S11_S12_S19_S1D_S1F_T6_T7_T9_mT8_S1H_bDpT10_ENKUlT_T0_E_clISt17integral_constantIbLb0EES1V_EEDaS1Q_S1R_EUlS1Q_E_NS1_11comp_targetILNS1_3genE4ELNS1_11target_archE910ELNS1_3gpuE8ELNS1_3repE0EEENS1_30default_config_static_selectorELNS0_4arch9wavefront6targetE0EEEvS13_, .Lfunc_end1987-_ZN7rocprim17ROCPRIM_400000_NS6detail17trampoline_kernelINS0_13select_configILj256ELj13ELNS0_17block_load_methodE3ELS4_3ELS4_3ELNS0_20block_scan_algorithmE0ELj4294967295EEENS1_25partition_config_selectorILNS1_17partition_subalgoE4EjNS0_10empty_typeEbEEZZNS1_14partition_implILS8_4ELb0ES6_15HIP_vector_typeIjLj2EENS0_17counting_iteratorIjlEEPS9_SG_NS0_5tupleIJPjSI_NS0_16reverse_iteratorISI_EEEEENSH_IJSG_SG_SG_EEES9_SI_JZNS1_25segmented_radix_sort_implINS0_14default_configELb0EPK12hip_bfloat16PSP_PKlPlN2at6native12_GLOBAL__N_18offset_tEEE10hipError_tPvRmT1_PNSt15iterator_traitsIS13_E10value_typeET2_T3_PNS14_IS19_E10value_typeET4_jRbjT5_S1F_jjP12ihipStream_tbEUljE_ZNSN_ISO_Lb0ESR_SS_SU_SV_SZ_EES10_S11_S12_S13_S17_S18_S19_S1C_S1D_jS1E_jS1F_S1F_jjS1H_bEUljE0_EEES10_S11_S12_S19_S1D_S1F_T6_T7_T9_mT8_S1H_bDpT10_ENKUlT_T0_E_clISt17integral_constantIbLb0EES1V_EEDaS1Q_S1R_EUlS1Q_E_NS1_11comp_targetILNS1_3genE4ELNS1_11target_archE910ELNS1_3gpuE8ELNS1_3repE0EEENS1_30default_config_static_selectorELNS0_4arch9wavefront6targetE0EEEvS13_
                                        ; -- End function
	.set _ZN7rocprim17ROCPRIM_400000_NS6detail17trampoline_kernelINS0_13select_configILj256ELj13ELNS0_17block_load_methodE3ELS4_3ELS4_3ELNS0_20block_scan_algorithmE0ELj4294967295EEENS1_25partition_config_selectorILNS1_17partition_subalgoE4EjNS0_10empty_typeEbEEZZNS1_14partition_implILS8_4ELb0ES6_15HIP_vector_typeIjLj2EENS0_17counting_iteratorIjlEEPS9_SG_NS0_5tupleIJPjSI_NS0_16reverse_iteratorISI_EEEEENSH_IJSG_SG_SG_EEES9_SI_JZNS1_25segmented_radix_sort_implINS0_14default_configELb0EPK12hip_bfloat16PSP_PKlPlN2at6native12_GLOBAL__N_18offset_tEEE10hipError_tPvRmT1_PNSt15iterator_traitsIS13_E10value_typeET2_T3_PNS14_IS19_E10value_typeET4_jRbjT5_S1F_jjP12ihipStream_tbEUljE_ZNSN_ISO_Lb0ESR_SS_SU_SV_SZ_EES10_S11_S12_S13_S17_S18_S19_S1C_S1D_jS1E_jS1F_S1F_jjS1H_bEUljE0_EEES10_S11_S12_S19_S1D_S1F_T6_T7_T9_mT8_S1H_bDpT10_ENKUlT_T0_E_clISt17integral_constantIbLb0EES1V_EEDaS1Q_S1R_EUlS1Q_E_NS1_11comp_targetILNS1_3genE4ELNS1_11target_archE910ELNS1_3gpuE8ELNS1_3repE0EEENS1_30default_config_static_selectorELNS0_4arch9wavefront6targetE0EEEvS13_.num_vgpr, 0
	.set _ZN7rocprim17ROCPRIM_400000_NS6detail17trampoline_kernelINS0_13select_configILj256ELj13ELNS0_17block_load_methodE3ELS4_3ELS4_3ELNS0_20block_scan_algorithmE0ELj4294967295EEENS1_25partition_config_selectorILNS1_17partition_subalgoE4EjNS0_10empty_typeEbEEZZNS1_14partition_implILS8_4ELb0ES6_15HIP_vector_typeIjLj2EENS0_17counting_iteratorIjlEEPS9_SG_NS0_5tupleIJPjSI_NS0_16reverse_iteratorISI_EEEEENSH_IJSG_SG_SG_EEES9_SI_JZNS1_25segmented_radix_sort_implINS0_14default_configELb0EPK12hip_bfloat16PSP_PKlPlN2at6native12_GLOBAL__N_18offset_tEEE10hipError_tPvRmT1_PNSt15iterator_traitsIS13_E10value_typeET2_T3_PNS14_IS19_E10value_typeET4_jRbjT5_S1F_jjP12ihipStream_tbEUljE_ZNSN_ISO_Lb0ESR_SS_SU_SV_SZ_EES10_S11_S12_S13_S17_S18_S19_S1C_S1D_jS1E_jS1F_S1F_jjS1H_bEUljE0_EEES10_S11_S12_S19_S1D_S1F_T6_T7_T9_mT8_S1H_bDpT10_ENKUlT_T0_E_clISt17integral_constantIbLb0EES1V_EEDaS1Q_S1R_EUlS1Q_E_NS1_11comp_targetILNS1_3genE4ELNS1_11target_archE910ELNS1_3gpuE8ELNS1_3repE0EEENS1_30default_config_static_selectorELNS0_4arch9wavefront6targetE0EEEvS13_.num_agpr, 0
	.set _ZN7rocprim17ROCPRIM_400000_NS6detail17trampoline_kernelINS0_13select_configILj256ELj13ELNS0_17block_load_methodE3ELS4_3ELS4_3ELNS0_20block_scan_algorithmE0ELj4294967295EEENS1_25partition_config_selectorILNS1_17partition_subalgoE4EjNS0_10empty_typeEbEEZZNS1_14partition_implILS8_4ELb0ES6_15HIP_vector_typeIjLj2EENS0_17counting_iteratorIjlEEPS9_SG_NS0_5tupleIJPjSI_NS0_16reverse_iteratorISI_EEEEENSH_IJSG_SG_SG_EEES9_SI_JZNS1_25segmented_radix_sort_implINS0_14default_configELb0EPK12hip_bfloat16PSP_PKlPlN2at6native12_GLOBAL__N_18offset_tEEE10hipError_tPvRmT1_PNSt15iterator_traitsIS13_E10value_typeET2_T3_PNS14_IS19_E10value_typeET4_jRbjT5_S1F_jjP12ihipStream_tbEUljE_ZNSN_ISO_Lb0ESR_SS_SU_SV_SZ_EES10_S11_S12_S13_S17_S18_S19_S1C_S1D_jS1E_jS1F_S1F_jjS1H_bEUljE0_EEES10_S11_S12_S19_S1D_S1F_T6_T7_T9_mT8_S1H_bDpT10_ENKUlT_T0_E_clISt17integral_constantIbLb0EES1V_EEDaS1Q_S1R_EUlS1Q_E_NS1_11comp_targetILNS1_3genE4ELNS1_11target_archE910ELNS1_3gpuE8ELNS1_3repE0EEENS1_30default_config_static_selectorELNS0_4arch9wavefront6targetE0EEEvS13_.numbered_sgpr, 0
	.set _ZN7rocprim17ROCPRIM_400000_NS6detail17trampoline_kernelINS0_13select_configILj256ELj13ELNS0_17block_load_methodE3ELS4_3ELS4_3ELNS0_20block_scan_algorithmE0ELj4294967295EEENS1_25partition_config_selectorILNS1_17partition_subalgoE4EjNS0_10empty_typeEbEEZZNS1_14partition_implILS8_4ELb0ES6_15HIP_vector_typeIjLj2EENS0_17counting_iteratorIjlEEPS9_SG_NS0_5tupleIJPjSI_NS0_16reverse_iteratorISI_EEEEENSH_IJSG_SG_SG_EEES9_SI_JZNS1_25segmented_radix_sort_implINS0_14default_configELb0EPK12hip_bfloat16PSP_PKlPlN2at6native12_GLOBAL__N_18offset_tEEE10hipError_tPvRmT1_PNSt15iterator_traitsIS13_E10value_typeET2_T3_PNS14_IS19_E10value_typeET4_jRbjT5_S1F_jjP12ihipStream_tbEUljE_ZNSN_ISO_Lb0ESR_SS_SU_SV_SZ_EES10_S11_S12_S13_S17_S18_S19_S1C_S1D_jS1E_jS1F_S1F_jjS1H_bEUljE0_EEES10_S11_S12_S19_S1D_S1F_T6_T7_T9_mT8_S1H_bDpT10_ENKUlT_T0_E_clISt17integral_constantIbLb0EES1V_EEDaS1Q_S1R_EUlS1Q_E_NS1_11comp_targetILNS1_3genE4ELNS1_11target_archE910ELNS1_3gpuE8ELNS1_3repE0EEENS1_30default_config_static_selectorELNS0_4arch9wavefront6targetE0EEEvS13_.num_named_barrier, 0
	.set _ZN7rocprim17ROCPRIM_400000_NS6detail17trampoline_kernelINS0_13select_configILj256ELj13ELNS0_17block_load_methodE3ELS4_3ELS4_3ELNS0_20block_scan_algorithmE0ELj4294967295EEENS1_25partition_config_selectorILNS1_17partition_subalgoE4EjNS0_10empty_typeEbEEZZNS1_14partition_implILS8_4ELb0ES6_15HIP_vector_typeIjLj2EENS0_17counting_iteratorIjlEEPS9_SG_NS0_5tupleIJPjSI_NS0_16reverse_iteratorISI_EEEEENSH_IJSG_SG_SG_EEES9_SI_JZNS1_25segmented_radix_sort_implINS0_14default_configELb0EPK12hip_bfloat16PSP_PKlPlN2at6native12_GLOBAL__N_18offset_tEEE10hipError_tPvRmT1_PNSt15iterator_traitsIS13_E10value_typeET2_T3_PNS14_IS19_E10value_typeET4_jRbjT5_S1F_jjP12ihipStream_tbEUljE_ZNSN_ISO_Lb0ESR_SS_SU_SV_SZ_EES10_S11_S12_S13_S17_S18_S19_S1C_S1D_jS1E_jS1F_S1F_jjS1H_bEUljE0_EEES10_S11_S12_S19_S1D_S1F_T6_T7_T9_mT8_S1H_bDpT10_ENKUlT_T0_E_clISt17integral_constantIbLb0EES1V_EEDaS1Q_S1R_EUlS1Q_E_NS1_11comp_targetILNS1_3genE4ELNS1_11target_archE910ELNS1_3gpuE8ELNS1_3repE0EEENS1_30default_config_static_selectorELNS0_4arch9wavefront6targetE0EEEvS13_.private_seg_size, 0
	.set _ZN7rocprim17ROCPRIM_400000_NS6detail17trampoline_kernelINS0_13select_configILj256ELj13ELNS0_17block_load_methodE3ELS4_3ELS4_3ELNS0_20block_scan_algorithmE0ELj4294967295EEENS1_25partition_config_selectorILNS1_17partition_subalgoE4EjNS0_10empty_typeEbEEZZNS1_14partition_implILS8_4ELb0ES6_15HIP_vector_typeIjLj2EENS0_17counting_iteratorIjlEEPS9_SG_NS0_5tupleIJPjSI_NS0_16reverse_iteratorISI_EEEEENSH_IJSG_SG_SG_EEES9_SI_JZNS1_25segmented_radix_sort_implINS0_14default_configELb0EPK12hip_bfloat16PSP_PKlPlN2at6native12_GLOBAL__N_18offset_tEEE10hipError_tPvRmT1_PNSt15iterator_traitsIS13_E10value_typeET2_T3_PNS14_IS19_E10value_typeET4_jRbjT5_S1F_jjP12ihipStream_tbEUljE_ZNSN_ISO_Lb0ESR_SS_SU_SV_SZ_EES10_S11_S12_S13_S17_S18_S19_S1C_S1D_jS1E_jS1F_S1F_jjS1H_bEUljE0_EEES10_S11_S12_S19_S1D_S1F_T6_T7_T9_mT8_S1H_bDpT10_ENKUlT_T0_E_clISt17integral_constantIbLb0EES1V_EEDaS1Q_S1R_EUlS1Q_E_NS1_11comp_targetILNS1_3genE4ELNS1_11target_archE910ELNS1_3gpuE8ELNS1_3repE0EEENS1_30default_config_static_selectorELNS0_4arch9wavefront6targetE0EEEvS13_.uses_vcc, 0
	.set _ZN7rocprim17ROCPRIM_400000_NS6detail17trampoline_kernelINS0_13select_configILj256ELj13ELNS0_17block_load_methodE3ELS4_3ELS4_3ELNS0_20block_scan_algorithmE0ELj4294967295EEENS1_25partition_config_selectorILNS1_17partition_subalgoE4EjNS0_10empty_typeEbEEZZNS1_14partition_implILS8_4ELb0ES6_15HIP_vector_typeIjLj2EENS0_17counting_iteratorIjlEEPS9_SG_NS0_5tupleIJPjSI_NS0_16reverse_iteratorISI_EEEEENSH_IJSG_SG_SG_EEES9_SI_JZNS1_25segmented_radix_sort_implINS0_14default_configELb0EPK12hip_bfloat16PSP_PKlPlN2at6native12_GLOBAL__N_18offset_tEEE10hipError_tPvRmT1_PNSt15iterator_traitsIS13_E10value_typeET2_T3_PNS14_IS19_E10value_typeET4_jRbjT5_S1F_jjP12ihipStream_tbEUljE_ZNSN_ISO_Lb0ESR_SS_SU_SV_SZ_EES10_S11_S12_S13_S17_S18_S19_S1C_S1D_jS1E_jS1F_S1F_jjS1H_bEUljE0_EEES10_S11_S12_S19_S1D_S1F_T6_T7_T9_mT8_S1H_bDpT10_ENKUlT_T0_E_clISt17integral_constantIbLb0EES1V_EEDaS1Q_S1R_EUlS1Q_E_NS1_11comp_targetILNS1_3genE4ELNS1_11target_archE910ELNS1_3gpuE8ELNS1_3repE0EEENS1_30default_config_static_selectorELNS0_4arch9wavefront6targetE0EEEvS13_.uses_flat_scratch, 0
	.set _ZN7rocprim17ROCPRIM_400000_NS6detail17trampoline_kernelINS0_13select_configILj256ELj13ELNS0_17block_load_methodE3ELS4_3ELS4_3ELNS0_20block_scan_algorithmE0ELj4294967295EEENS1_25partition_config_selectorILNS1_17partition_subalgoE4EjNS0_10empty_typeEbEEZZNS1_14partition_implILS8_4ELb0ES6_15HIP_vector_typeIjLj2EENS0_17counting_iteratorIjlEEPS9_SG_NS0_5tupleIJPjSI_NS0_16reverse_iteratorISI_EEEEENSH_IJSG_SG_SG_EEES9_SI_JZNS1_25segmented_radix_sort_implINS0_14default_configELb0EPK12hip_bfloat16PSP_PKlPlN2at6native12_GLOBAL__N_18offset_tEEE10hipError_tPvRmT1_PNSt15iterator_traitsIS13_E10value_typeET2_T3_PNS14_IS19_E10value_typeET4_jRbjT5_S1F_jjP12ihipStream_tbEUljE_ZNSN_ISO_Lb0ESR_SS_SU_SV_SZ_EES10_S11_S12_S13_S17_S18_S19_S1C_S1D_jS1E_jS1F_S1F_jjS1H_bEUljE0_EEES10_S11_S12_S19_S1D_S1F_T6_T7_T9_mT8_S1H_bDpT10_ENKUlT_T0_E_clISt17integral_constantIbLb0EES1V_EEDaS1Q_S1R_EUlS1Q_E_NS1_11comp_targetILNS1_3genE4ELNS1_11target_archE910ELNS1_3gpuE8ELNS1_3repE0EEENS1_30default_config_static_selectorELNS0_4arch9wavefront6targetE0EEEvS13_.has_dyn_sized_stack, 0
	.set _ZN7rocprim17ROCPRIM_400000_NS6detail17trampoline_kernelINS0_13select_configILj256ELj13ELNS0_17block_load_methodE3ELS4_3ELS4_3ELNS0_20block_scan_algorithmE0ELj4294967295EEENS1_25partition_config_selectorILNS1_17partition_subalgoE4EjNS0_10empty_typeEbEEZZNS1_14partition_implILS8_4ELb0ES6_15HIP_vector_typeIjLj2EENS0_17counting_iteratorIjlEEPS9_SG_NS0_5tupleIJPjSI_NS0_16reverse_iteratorISI_EEEEENSH_IJSG_SG_SG_EEES9_SI_JZNS1_25segmented_radix_sort_implINS0_14default_configELb0EPK12hip_bfloat16PSP_PKlPlN2at6native12_GLOBAL__N_18offset_tEEE10hipError_tPvRmT1_PNSt15iterator_traitsIS13_E10value_typeET2_T3_PNS14_IS19_E10value_typeET4_jRbjT5_S1F_jjP12ihipStream_tbEUljE_ZNSN_ISO_Lb0ESR_SS_SU_SV_SZ_EES10_S11_S12_S13_S17_S18_S19_S1C_S1D_jS1E_jS1F_S1F_jjS1H_bEUljE0_EEES10_S11_S12_S19_S1D_S1F_T6_T7_T9_mT8_S1H_bDpT10_ENKUlT_T0_E_clISt17integral_constantIbLb0EES1V_EEDaS1Q_S1R_EUlS1Q_E_NS1_11comp_targetILNS1_3genE4ELNS1_11target_archE910ELNS1_3gpuE8ELNS1_3repE0EEENS1_30default_config_static_selectorELNS0_4arch9wavefront6targetE0EEEvS13_.has_recursion, 0
	.set _ZN7rocprim17ROCPRIM_400000_NS6detail17trampoline_kernelINS0_13select_configILj256ELj13ELNS0_17block_load_methodE3ELS4_3ELS4_3ELNS0_20block_scan_algorithmE0ELj4294967295EEENS1_25partition_config_selectorILNS1_17partition_subalgoE4EjNS0_10empty_typeEbEEZZNS1_14partition_implILS8_4ELb0ES6_15HIP_vector_typeIjLj2EENS0_17counting_iteratorIjlEEPS9_SG_NS0_5tupleIJPjSI_NS0_16reverse_iteratorISI_EEEEENSH_IJSG_SG_SG_EEES9_SI_JZNS1_25segmented_radix_sort_implINS0_14default_configELb0EPK12hip_bfloat16PSP_PKlPlN2at6native12_GLOBAL__N_18offset_tEEE10hipError_tPvRmT1_PNSt15iterator_traitsIS13_E10value_typeET2_T3_PNS14_IS19_E10value_typeET4_jRbjT5_S1F_jjP12ihipStream_tbEUljE_ZNSN_ISO_Lb0ESR_SS_SU_SV_SZ_EES10_S11_S12_S13_S17_S18_S19_S1C_S1D_jS1E_jS1F_S1F_jjS1H_bEUljE0_EEES10_S11_S12_S19_S1D_S1F_T6_T7_T9_mT8_S1H_bDpT10_ENKUlT_T0_E_clISt17integral_constantIbLb0EES1V_EEDaS1Q_S1R_EUlS1Q_E_NS1_11comp_targetILNS1_3genE4ELNS1_11target_archE910ELNS1_3gpuE8ELNS1_3repE0EEENS1_30default_config_static_selectorELNS0_4arch9wavefront6targetE0EEEvS13_.has_indirect_call, 0
	.section	.AMDGPU.csdata,"",@progbits
; Kernel info:
; codeLenInByte = 0
; TotalNumSgprs: 0
; NumVgprs: 0
; ScratchSize: 0
; MemoryBound: 0
; FloatMode: 240
; IeeeMode: 1
; LDSByteSize: 0 bytes/workgroup (compile time only)
; SGPRBlocks: 0
; VGPRBlocks: 0
; NumSGPRsForWavesPerEU: 1
; NumVGPRsForWavesPerEU: 1
; Occupancy: 16
; WaveLimiterHint : 0
; COMPUTE_PGM_RSRC2:SCRATCH_EN: 0
; COMPUTE_PGM_RSRC2:USER_SGPR: 2
; COMPUTE_PGM_RSRC2:TRAP_HANDLER: 0
; COMPUTE_PGM_RSRC2:TGID_X_EN: 1
; COMPUTE_PGM_RSRC2:TGID_Y_EN: 0
; COMPUTE_PGM_RSRC2:TGID_Z_EN: 0
; COMPUTE_PGM_RSRC2:TIDIG_COMP_CNT: 0
	.section	.text._ZN7rocprim17ROCPRIM_400000_NS6detail17trampoline_kernelINS0_13select_configILj256ELj13ELNS0_17block_load_methodE3ELS4_3ELS4_3ELNS0_20block_scan_algorithmE0ELj4294967295EEENS1_25partition_config_selectorILNS1_17partition_subalgoE4EjNS0_10empty_typeEbEEZZNS1_14partition_implILS8_4ELb0ES6_15HIP_vector_typeIjLj2EENS0_17counting_iteratorIjlEEPS9_SG_NS0_5tupleIJPjSI_NS0_16reverse_iteratorISI_EEEEENSH_IJSG_SG_SG_EEES9_SI_JZNS1_25segmented_radix_sort_implINS0_14default_configELb0EPK12hip_bfloat16PSP_PKlPlN2at6native12_GLOBAL__N_18offset_tEEE10hipError_tPvRmT1_PNSt15iterator_traitsIS13_E10value_typeET2_T3_PNS14_IS19_E10value_typeET4_jRbjT5_S1F_jjP12ihipStream_tbEUljE_ZNSN_ISO_Lb0ESR_SS_SU_SV_SZ_EES10_S11_S12_S13_S17_S18_S19_S1C_S1D_jS1E_jS1F_S1F_jjS1H_bEUljE0_EEES10_S11_S12_S19_S1D_S1F_T6_T7_T9_mT8_S1H_bDpT10_ENKUlT_T0_E_clISt17integral_constantIbLb0EES1V_EEDaS1Q_S1R_EUlS1Q_E_NS1_11comp_targetILNS1_3genE3ELNS1_11target_archE908ELNS1_3gpuE7ELNS1_3repE0EEENS1_30default_config_static_selectorELNS0_4arch9wavefront6targetE0EEEvS13_,"axG",@progbits,_ZN7rocprim17ROCPRIM_400000_NS6detail17trampoline_kernelINS0_13select_configILj256ELj13ELNS0_17block_load_methodE3ELS4_3ELS4_3ELNS0_20block_scan_algorithmE0ELj4294967295EEENS1_25partition_config_selectorILNS1_17partition_subalgoE4EjNS0_10empty_typeEbEEZZNS1_14partition_implILS8_4ELb0ES6_15HIP_vector_typeIjLj2EENS0_17counting_iteratorIjlEEPS9_SG_NS0_5tupleIJPjSI_NS0_16reverse_iteratorISI_EEEEENSH_IJSG_SG_SG_EEES9_SI_JZNS1_25segmented_radix_sort_implINS0_14default_configELb0EPK12hip_bfloat16PSP_PKlPlN2at6native12_GLOBAL__N_18offset_tEEE10hipError_tPvRmT1_PNSt15iterator_traitsIS13_E10value_typeET2_T3_PNS14_IS19_E10value_typeET4_jRbjT5_S1F_jjP12ihipStream_tbEUljE_ZNSN_ISO_Lb0ESR_SS_SU_SV_SZ_EES10_S11_S12_S13_S17_S18_S19_S1C_S1D_jS1E_jS1F_S1F_jjS1H_bEUljE0_EEES10_S11_S12_S19_S1D_S1F_T6_T7_T9_mT8_S1H_bDpT10_ENKUlT_T0_E_clISt17integral_constantIbLb0EES1V_EEDaS1Q_S1R_EUlS1Q_E_NS1_11comp_targetILNS1_3genE3ELNS1_11target_archE908ELNS1_3gpuE7ELNS1_3repE0EEENS1_30default_config_static_selectorELNS0_4arch9wavefront6targetE0EEEvS13_,comdat
	.globl	_ZN7rocprim17ROCPRIM_400000_NS6detail17trampoline_kernelINS0_13select_configILj256ELj13ELNS0_17block_load_methodE3ELS4_3ELS4_3ELNS0_20block_scan_algorithmE0ELj4294967295EEENS1_25partition_config_selectorILNS1_17partition_subalgoE4EjNS0_10empty_typeEbEEZZNS1_14partition_implILS8_4ELb0ES6_15HIP_vector_typeIjLj2EENS0_17counting_iteratorIjlEEPS9_SG_NS0_5tupleIJPjSI_NS0_16reverse_iteratorISI_EEEEENSH_IJSG_SG_SG_EEES9_SI_JZNS1_25segmented_radix_sort_implINS0_14default_configELb0EPK12hip_bfloat16PSP_PKlPlN2at6native12_GLOBAL__N_18offset_tEEE10hipError_tPvRmT1_PNSt15iterator_traitsIS13_E10value_typeET2_T3_PNS14_IS19_E10value_typeET4_jRbjT5_S1F_jjP12ihipStream_tbEUljE_ZNSN_ISO_Lb0ESR_SS_SU_SV_SZ_EES10_S11_S12_S13_S17_S18_S19_S1C_S1D_jS1E_jS1F_S1F_jjS1H_bEUljE0_EEES10_S11_S12_S19_S1D_S1F_T6_T7_T9_mT8_S1H_bDpT10_ENKUlT_T0_E_clISt17integral_constantIbLb0EES1V_EEDaS1Q_S1R_EUlS1Q_E_NS1_11comp_targetILNS1_3genE3ELNS1_11target_archE908ELNS1_3gpuE7ELNS1_3repE0EEENS1_30default_config_static_selectorELNS0_4arch9wavefront6targetE0EEEvS13_ ; -- Begin function _ZN7rocprim17ROCPRIM_400000_NS6detail17trampoline_kernelINS0_13select_configILj256ELj13ELNS0_17block_load_methodE3ELS4_3ELS4_3ELNS0_20block_scan_algorithmE0ELj4294967295EEENS1_25partition_config_selectorILNS1_17partition_subalgoE4EjNS0_10empty_typeEbEEZZNS1_14partition_implILS8_4ELb0ES6_15HIP_vector_typeIjLj2EENS0_17counting_iteratorIjlEEPS9_SG_NS0_5tupleIJPjSI_NS0_16reverse_iteratorISI_EEEEENSH_IJSG_SG_SG_EEES9_SI_JZNS1_25segmented_radix_sort_implINS0_14default_configELb0EPK12hip_bfloat16PSP_PKlPlN2at6native12_GLOBAL__N_18offset_tEEE10hipError_tPvRmT1_PNSt15iterator_traitsIS13_E10value_typeET2_T3_PNS14_IS19_E10value_typeET4_jRbjT5_S1F_jjP12ihipStream_tbEUljE_ZNSN_ISO_Lb0ESR_SS_SU_SV_SZ_EES10_S11_S12_S13_S17_S18_S19_S1C_S1D_jS1E_jS1F_S1F_jjS1H_bEUljE0_EEES10_S11_S12_S19_S1D_S1F_T6_T7_T9_mT8_S1H_bDpT10_ENKUlT_T0_E_clISt17integral_constantIbLb0EES1V_EEDaS1Q_S1R_EUlS1Q_E_NS1_11comp_targetILNS1_3genE3ELNS1_11target_archE908ELNS1_3gpuE7ELNS1_3repE0EEENS1_30default_config_static_selectorELNS0_4arch9wavefront6targetE0EEEvS13_
	.p2align	8
	.type	_ZN7rocprim17ROCPRIM_400000_NS6detail17trampoline_kernelINS0_13select_configILj256ELj13ELNS0_17block_load_methodE3ELS4_3ELS4_3ELNS0_20block_scan_algorithmE0ELj4294967295EEENS1_25partition_config_selectorILNS1_17partition_subalgoE4EjNS0_10empty_typeEbEEZZNS1_14partition_implILS8_4ELb0ES6_15HIP_vector_typeIjLj2EENS0_17counting_iteratorIjlEEPS9_SG_NS0_5tupleIJPjSI_NS0_16reverse_iteratorISI_EEEEENSH_IJSG_SG_SG_EEES9_SI_JZNS1_25segmented_radix_sort_implINS0_14default_configELb0EPK12hip_bfloat16PSP_PKlPlN2at6native12_GLOBAL__N_18offset_tEEE10hipError_tPvRmT1_PNSt15iterator_traitsIS13_E10value_typeET2_T3_PNS14_IS19_E10value_typeET4_jRbjT5_S1F_jjP12ihipStream_tbEUljE_ZNSN_ISO_Lb0ESR_SS_SU_SV_SZ_EES10_S11_S12_S13_S17_S18_S19_S1C_S1D_jS1E_jS1F_S1F_jjS1H_bEUljE0_EEES10_S11_S12_S19_S1D_S1F_T6_T7_T9_mT8_S1H_bDpT10_ENKUlT_T0_E_clISt17integral_constantIbLb0EES1V_EEDaS1Q_S1R_EUlS1Q_E_NS1_11comp_targetILNS1_3genE3ELNS1_11target_archE908ELNS1_3gpuE7ELNS1_3repE0EEENS1_30default_config_static_selectorELNS0_4arch9wavefront6targetE0EEEvS13_,@function
_ZN7rocprim17ROCPRIM_400000_NS6detail17trampoline_kernelINS0_13select_configILj256ELj13ELNS0_17block_load_methodE3ELS4_3ELS4_3ELNS0_20block_scan_algorithmE0ELj4294967295EEENS1_25partition_config_selectorILNS1_17partition_subalgoE4EjNS0_10empty_typeEbEEZZNS1_14partition_implILS8_4ELb0ES6_15HIP_vector_typeIjLj2EENS0_17counting_iteratorIjlEEPS9_SG_NS0_5tupleIJPjSI_NS0_16reverse_iteratorISI_EEEEENSH_IJSG_SG_SG_EEES9_SI_JZNS1_25segmented_radix_sort_implINS0_14default_configELb0EPK12hip_bfloat16PSP_PKlPlN2at6native12_GLOBAL__N_18offset_tEEE10hipError_tPvRmT1_PNSt15iterator_traitsIS13_E10value_typeET2_T3_PNS14_IS19_E10value_typeET4_jRbjT5_S1F_jjP12ihipStream_tbEUljE_ZNSN_ISO_Lb0ESR_SS_SU_SV_SZ_EES10_S11_S12_S13_S17_S18_S19_S1C_S1D_jS1E_jS1F_S1F_jjS1H_bEUljE0_EEES10_S11_S12_S19_S1D_S1F_T6_T7_T9_mT8_S1H_bDpT10_ENKUlT_T0_E_clISt17integral_constantIbLb0EES1V_EEDaS1Q_S1R_EUlS1Q_E_NS1_11comp_targetILNS1_3genE3ELNS1_11target_archE908ELNS1_3gpuE7ELNS1_3repE0EEENS1_30default_config_static_selectorELNS0_4arch9wavefront6targetE0EEEvS13_: ; @_ZN7rocprim17ROCPRIM_400000_NS6detail17trampoline_kernelINS0_13select_configILj256ELj13ELNS0_17block_load_methodE3ELS4_3ELS4_3ELNS0_20block_scan_algorithmE0ELj4294967295EEENS1_25partition_config_selectorILNS1_17partition_subalgoE4EjNS0_10empty_typeEbEEZZNS1_14partition_implILS8_4ELb0ES6_15HIP_vector_typeIjLj2EENS0_17counting_iteratorIjlEEPS9_SG_NS0_5tupleIJPjSI_NS0_16reverse_iteratorISI_EEEEENSH_IJSG_SG_SG_EEES9_SI_JZNS1_25segmented_radix_sort_implINS0_14default_configELb0EPK12hip_bfloat16PSP_PKlPlN2at6native12_GLOBAL__N_18offset_tEEE10hipError_tPvRmT1_PNSt15iterator_traitsIS13_E10value_typeET2_T3_PNS14_IS19_E10value_typeET4_jRbjT5_S1F_jjP12ihipStream_tbEUljE_ZNSN_ISO_Lb0ESR_SS_SU_SV_SZ_EES10_S11_S12_S13_S17_S18_S19_S1C_S1D_jS1E_jS1F_S1F_jjS1H_bEUljE0_EEES10_S11_S12_S19_S1D_S1F_T6_T7_T9_mT8_S1H_bDpT10_ENKUlT_T0_E_clISt17integral_constantIbLb0EES1V_EEDaS1Q_S1R_EUlS1Q_E_NS1_11comp_targetILNS1_3genE3ELNS1_11target_archE908ELNS1_3gpuE7ELNS1_3repE0EEENS1_30default_config_static_selectorELNS0_4arch9wavefront6targetE0EEEvS13_
; %bb.0:
	.section	.rodata,"a",@progbits
	.p2align	6, 0x0
	.amdhsa_kernel _ZN7rocprim17ROCPRIM_400000_NS6detail17trampoline_kernelINS0_13select_configILj256ELj13ELNS0_17block_load_methodE3ELS4_3ELS4_3ELNS0_20block_scan_algorithmE0ELj4294967295EEENS1_25partition_config_selectorILNS1_17partition_subalgoE4EjNS0_10empty_typeEbEEZZNS1_14partition_implILS8_4ELb0ES6_15HIP_vector_typeIjLj2EENS0_17counting_iteratorIjlEEPS9_SG_NS0_5tupleIJPjSI_NS0_16reverse_iteratorISI_EEEEENSH_IJSG_SG_SG_EEES9_SI_JZNS1_25segmented_radix_sort_implINS0_14default_configELb0EPK12hip_bfloat16PSP_PKlPlN2at6native12_GLOBAL__N_18offset_tEEE10hipError_tPvRmT1_PNSt15iterator_traitsIS13_E10value_typeET2_T3_PNS14_IS19_E10value_typeET4_jRbjT5_S1F_jjP12ihipStream_tbEUljE_ZNSN_ISO_Lb0ESR_SS_SU_SV_SZ_EES10_S11_S12_S13_S17_S18_S19_S1C_S1D_jS1E_jS1F_S1F_jjS1H_bEUljE0_EEES10_S11_S12_S19_S1D_S1F_T6_T7_T9_mT8_S1H_bDpT10_ENKUlT_T0_E_clISt17integral_constantIbLb0EES1V_EEDaS1Q_S1R_EUlS1Q_E_NS1_11comp_targetILNS1_3genE3ELNS1_11target_archE908ELNS1_3gpuE7ELNS1_3repE0EEENS1_30default_config_static_selectorELNS0_4arch9wavefront6targetE0EEEvS13_
		.amdhsa_group_segment_fixed_size 0
		.amdhsa_private_segment_fixed_size 0
		.amdhsa_kernarg_size 176
		.amdhsa_user_sgpr_count 2
		.amdhsa_user_sgpr_dispatch_ptr 0
		.amdhsa_user_sgpr_queue_ptr 0
		.amdhsa_user_sgpr_kernarg_segment_ptr 1
		.amdhsa_user_sgpr_dispatch_id 0
		.amdhsa_user_sgpr_private_segment_size 0
		.amdhsa_wavefront_size32 1
		.amdhsa_uses_dynamic_stack 0
		.amdhsa_enable_private_segment 0
		.amdhsa_system_sgpr_workgroup_id_x 1
		.amdhsa_system_sgpr_workgroup_id_y 0
		.amdhsa_system_sgpr_workgroup_id_z 0
		.amdhsa_system_sgpr_workgroup_info 0
		.amdhsa_system_vgpr_workitem_id 0
		.amdhsa_next_free_vgpr 1
		.amdhsa_next_free_sgpr 1
		.amdhsa_reserve_vcc 0
		.amdhsa_float_round_mode_32 0
		.amdhsa_float_round_mode_16_64 0
		.amdhsa_float_denorm_mode_32 3
		.amdhsa_float_denorm_mode_16_64 3
		.amdhsa_fp16_overflow 0
		.amdhsa_workgroup_processor_mode 1
		.amdhsa_memory_ordered 1
		.amdhsa_forward_progress 1
		.amdhsa_inst_pref_size 0
		.amdhsa_round_robin_scheduling 0
		.amdhsa_exception_fp_ieee_invalid_op 0
		.amdhsa_exception_fp_denorm_src 0
		.amdhsa_exception_fp_ieee_div_zero 0
		.amdhsa_exception_fp_ieee_overflow 0
		.amdhsa_exception_fp_ieee_underflow 0
		.amdhsa_exception_fp_ieee_inexact 0
		.amdhsa_exception_int_div_zero 0
	.end_amdhsa_kernel
	.section	.text._ZN7rocprim17ROCPRIM_400000_NS6detail17trampoline_kernelINS0_13select_configILj256ELj13ELNS0_17block_load_methodE3ELS4_3ELS4_3ELNS0_20block_scan_algorithmE0ELj4294967295EEENS1_25partition_config_selectorILNS1_17partition_subalgoE4EjNS0_10empty_typeEbEEZZNS1_14partition_implILS8_4ELb0ES6_15HIP_vector_typeIjLj2EENS0_17counting_iteratorIjlEEPS9_SG_NS0_5tupleIJPjSI_NS0_16reverse_iteratorISI_EEEEENSH_IJSG_SG_SG_EEES9_SI_JZNS1_25segmented_radix_sort_implINS0_14default_configELb0EPK12hip_bfloat16PSP_PKlPlN2at6native12_GLOBAL__N_18offset_tEEE10hipError_tPvRmT1_PNSt15iterator_traitsIS13_E10value_typeET2_T3_PNS14_IS19_E10value_typeET4_jRbjT5_S1F_jjP12ihipStream_tbEUljE_ZNSN_ISO_Lb0ESR_SS_SU_SV_SZ_EES10_S11_S12_S13_S17_S18_S19_S1C_S1D_jS1E_jS1F_S1F_jjS1H_bEUljE0_EEES10_S11_S12_S19_S1D_S1F_T6_T7_T9_mT8_S1H_bDpT10_ENKUlT_T0_E_clISt17integral_constantIbLb0EES1V_EEDaS1Q_S1R_EUlS1Q_E_NS1_11comp_targetILNS1_3genE3ELNS1_11target_archE908ELNS1_3gpuE7ELNS1_3repE0EEENS1_30default_config_static_selectorELNS0_4arch9wavefront6targetE0EEEvS13_,"axG",@progbits,_ZN7rocprim17ROCPRIM_400000_NS6detail17trampoline_kernelINS0_13select_configILj256ELj13ELNS0_17block_load_methodE3ELS4_3ELS4_3ELNS0_20block_scan_algorithmE0ELj4294967295EEENS1_25partition_config_selectorILNS1_17partition_subalgoE4EjNS0_10empty_typeEbEEZZNS1_14partition_implILS8_4ELb0ES6_15HIP_vector_typeIjLj2EENS0_17counting_iteratorIjlEEPS9_SG_NS0_5tupleIJPjSI_NS0_16reverse_iteratorISI_EEEEENSH_IJSG_SG_SG_EEES9_SI_JZNS1_25segmented_radix_sort_implINS0_14default_configELb0EPK12hip_bfloat16PSP_PKlPlN2at6native12_GLOBAL__N_18offset_tEEE10hipError_tPvRmT1_PNSt15iterator_traitsIS13_E10value_typeET2_T3_PNS14_IS19_E10value_typeET4_jRbjT5_S1F_jjP12ihipStream_tbEUljE_ZNSN_ISO_Lb0ESR_SS_SU_SV_SZ_EES10_S11_S12_S13_S17_S18_S19_S1C_S1D_jS1E_jS1F_S1F_jjS1H_bEUljE0_EEES10_S11_S12_S19_S1D_S1F_T6_T7_T9_mT8_S1H_bDpT10_ENKUlT_T0_E_clISt17integral_constantIbLb0EES1V_EEDaS1Q_S1R_EUlS1Q_E_NS1_11comp_targetILNS1_3genE3ELNS1_11target_archE908ELNS1_3gpuE7ELNS1_3repE0EEENS1_30default_config_static_selectorELNS0_4arch9wavefront6targetE0EEEvS13_,comdat
.Lfunc_end1988:
	.size	_ZN7rocprim17ROCPRIM_400000_NS6detail17trampoline_kernelINS0_13select_configILj256ELj13ELNS0_17block_load_methodE3ELS4_3ELS4_3ELNS0_20block_scan_algorithmE0ELj4294967295EEENS1_25partition_config_selectorILNS1_17partition_subalgoE4EjNS0_10empty_typeEbEEZZNS1_14partition_implILS8_4ELb0ES6_15HIP_vector_typeIjLj2EENS0_17counting_iteratorIjlEEPS9_SG_NS0_5tupleIJPjSI_NS0_16reverse_iteratorISI_EEEEENSH_IJSG_SG_SG_EEES9_SI_JZNS1_25segmented_radix_sort_implINS0_14default_configELb0EPK12hip_bfloat16PSP_PKlPlN2at6native12_GLOBAL__N_18offset_tEEE10hipError_tPvRmT1_PNSt15iterator_traitsIS13_E10value_typeET2_T3_PNS14_IS19_E10value_typeET4_jRbjT5_S1F_jjP12ihipStream_tbEUljE_ZNSN_ISO_Lb0ESR_SS_SU_SV_SZ_EES10_S11_S12_S13_S17_S18_S19_S1C_S1D_jS1E_jS1F_S1F_jjS1H_bEUljE0_EEES10_S11_S12_S19_S1D_S1F_T6_T7_T9_mT8_S1H_bDpT10_ENKUlT_T0_E_clISt17integral_constantIbLb0EES1V_EEDaS1Q_S1R_EUlS1Q_E_NS1_11comp_targetILNS1_3genE3ELNS1_11target_archE908ELNS1_3gpuE7ELNS1_3repE0EEENS1_30default_config_static_selectorELNS0_4arch9wavefront6targetE0EEEvS13_, .Lfunc_end1988-_ZN7rocprim17ROCPRIM_400000_NS6detail17trampoline_kernelINS0_13select_configILj256ELj13ELNS0_17block_load_methodE3ELS4_3ELS4_3ELNS0_20block_scan_algorithmE0ELj4294967295EEENS1_25partition_config_selectorILNS1_17partition_subalgoE4EjNS0_10empty_typeEbEEZZNS1_14partition_implILS8_4ELb0ES6_15HIP_vector_typeIjLj2EENS0_17counting_iteratorIjlEEPS9_SG_NS0_5tupleIJPjSI_NS0_16reverse_iteratorISI_EEEEENSH_IJSG_SG_SG_EEES9_SI_JZNS1_25segmented_radix_sort_implINS0_14default_configELb0EPK12hip_bfloat16PSP_PKlPlN2at6native12_GLOBAL__N_18offset_tEEE10hipError_tPvRmT1_PNSt15iterator_traitsIS13_E10value_typeET2_T3_PNS14_IS19_E10value_typeET4_jRbjT5_S1F_jjP12ihipStream_tbEUljE_ZNSN_ISO_Lb0ESR_SS_SU_SV_SZ_EES10_S11_S12_S13_S17_S18_S19_S1C_S1D_jS1E_jS1F_S1F_jjS1H_bEUljE0_EEES10_S11_S12_S19_S1D_S1F_T6_T7_T9_mT8_S1H_bDpT10_ENKUlT_T0_E_clISt17integral_constantIbLb0EES1V_EEDaS1Q_S1R_EUlS1Q_E_NS1_11comp_targetILNS1_3genE3ELNS1_11target_archE908ELNS1_3gpuE7ELNS1_3repE0EEENS1_30default_config_static_selectorELNS0_4arch9wavefront6targetE0EEEvS13_
                                        ; -- End function
	.set _ZN7rocprim17ROCPRIM_400000_NS6detail17trampoline_kernelINS0_13select_configILj256ELj13ELNS0_17block_load_methodE3ELS4_3ELS4_3ELNS0_20block_scan_algorithmE0ELj4294967295EEENS1_25partition_config_selectorILNS1_17partition_subalgoE4EjNS0_10empty_typeEbEEZZNS1_14partition_implILS8_4ELb0ES6_15HIP_vector_typeIjLj2EENS0_17counting_iteratorIjlEEPS9_SG_NS0_5tupleIJPjSI_NS0_16reverse_iteratorISI_EEEEENSH_IJSG_SG_SG_EEES9_SI_JZNS1_25segmented_radix_sort_implINS0_14default_configELb0EPK12hip_bfloat16PSP_PKlPlN2at6native12_GLOBAL__N_18offset_tEEE10hipError_tPvRmT1_PNSt15iterator_traitsIS13_E10value_typeET2_T3_PNS14_IS19_E10value_typeET4_jRbjT5_S1F_jjP12ihipStream_tbEUljE_ZNSN_ISO_Lb0ESR_SS_SU_SV_SZ_EES10_S11_S12_S13_S17_S18_S19_S1C_S1D_jS1E_jS1F_S1F_jjS1H_bEUljE0_EEES10_S11_S12_S19_S1D_S1F_T6_T7_T9_mT8_S1H_bDpT10_ENKUlT_T0_E_clISt17integral_constantIbLb0EES1V_EEDaS1Q_S1R_EUlS1Q_E_NS1_11comp_targetILNS1_3genE3ELNS1_11target_archE908ELNS1_3gpuE7ELNS1_3repE0EEENS1_30default_config_static_selectorELNS0_4arch9wavefront6targetE0EEEvS13_.num_vgpr, 0
	.set _ZN7rocprim17ROCPRIM_400000_NS6detail17trampoline_kernelINS0_13select_configILj256ELj13ELNS0_17block_load_methodE3ELS4_3ELS4_3ELNS0_20block_scan_algorithmE0ELj4294967295EEENS1_25partition_config_selectorILNS1_17partition_subalgoE4EjNS0_10empty_typeEbEEZZNS1_14partition_implILS8_4ELb0ES6_15HIP_vector_typeIjLj2EENS0_17counting_iteratorIjlEEPS9_SG_NS0_5tupleIJPjSI_NS0_16reverse_iteratorISI_EEEEENSH_IJSG_SG_SG_EEES9_SI_JZNS1_25segmented_radix_sort_implINS0_14default_configELb0EPK12hip_bfloat16PSP_PKlPlN2at6native12_GLOBAL__N_18offset_tEEE10hipError_tPvRmT1_PNSt15iterator_traitsIS13_E10value_typeET2_T3_PNS14_IS19_E10value_typeET4_jRbjT5_S1F_jjP12ihipStream_tbEUljE_ZNSN_ISO_Lb0ESR_SS_SU_SV_SZ_EES10_S11_S12_S13_S17_S18_S19_S1C_S1D_jS1E_jS1F_S1F_jjS1H_bEUljE0_EEES10_S11_S12_S19_S1D_S1F_T6_T7_T9_mT8_S1H_bDpT10_ENKUlT_T0_E_clISt17integral_constantIbLb0EES1V_EEDaS1Q_S1R_EUlS1Q_E_NS1_11comp_targetILNS1_3genE3ELNS1_11target_archE908ELNS1_3gpuE7ELNS1_3repE0EEENS1_30default_config_static_selectorELNS0_4arch9wavefront6targetE0EEEvS13_.num_agpr, 0
	.set _ZN7rocprim17ROCPRIM_400000_NS6detail17trampoline_kernelINS0_13select_configILj256ELj13ELNS0_17block_load_methodE3ELS4_3ELS4_3ELNS0_20block_scan_algorithmE0ELj4294967295EEENS1_25partition_config_selectorILNS1_17partition_subalgoE4EjNS0_10empty_typeEbEEZZNS1_14partition_implILS8_4ELb0ES6_15HIP_vector_typeIjLj2EENS0_17counting_iteratorIjlEEPS9_SG_NS0_5tupleIJPjSI_NS0_16reverse_iteratorISI_EEEEENSH_IJSG_SG_SG_EEES9_SI_JZNS1_25segmented_radix_sort_implINS0_14default_configELb0EPK12hip_bfloat16PSP_PKlPlN2at6native12_GLOBAL__N_18offset_tEEE10hipError_tPvRmT1_PNSt15iterator_traitsIS13_E10value_typeET2_T3_PNS14_IS19_E10value_typeET4_jRbjT5_S1F_jjP12ihipStream_tbEUljE_ZNSN_ISO_Lb0ESR_SS_SU_SV_SZ_EES10_S11_S12_S13_S17_S18_S19_S1C_S1D_jS1E_jS1F_S1F_jjS1H_bEUljE0_EEES10_S11_S12_S19_S1D_S1F_T6_T7_T9_mT8_S1H_bDpT10_ENKUlT_T0_E_clISt17integral_constantIbLb0EES1V_EEDaS1Q_S1R_EUlS1Q_E_NS1_11comp_targetILNS1_3genE3ELNS1_11target_archE908ELNS1_3gpuE7ELNS1_3repE0EEENS1_30default_config_static_selectorELNS0_4arch9wavefront6targetE0EEEvS13_.numbered_sgpr, 0
	.set _ZN7rocprim17ROCPRIM_400000_NS6detail17trampoline_kernelINS0_13select_configILj256ELj13ELNS0_17block_load_methodE3ELS4_3ELS4_3ELNS0_20block_scan_algorithmE0ELj4294967295EEENS1_25partition_config_selectorILNS1_17partition_subalgoE4EjNS0_10empty_typeEbEEZZNS1_14partition_implILS8_4ELb0ES6_15HIP_vector_typeIjLj2EENS0_17counting_iteratorIjlEEPS9_SG_NS0_5tupleIJPjSI_NS0_16reverse_iteratorISI_EEEEENSH_IJSG_SG_SG_EEES9_SI_JZNS1_25segmented_radix_sort_implINS0_14default_configELb0EPK12hip_bfloat16PSP_PKlPlN2at6native12_GLOBAL__N_18offset_tEEE10hipError_tPvRmT1_PNSt15iterator_traitsIS13_E10value_typeET2_T3_PNS14_IS19_E10value_typeET4_jRbjT5_S1F_jjP12ihipStream_tbEUljE_ZNSN_ISO_Lb0ESR_SS_SU_SV_SZ_EES10_S11_S12_S13_S17_S18_S19_S1C_S1D_jS1E_jS1F_S1F_jjS1H_bEUljE0_EEES10_S11_S12_S19_S1D_S1F_T6_T7_T9_mT8_S1H_bDpT10_ENKUlT_T0_E_clISt17integral_constantIbLb0EES1V_EEDaS1Q_S1R_EUlS1Q_E_NS1_11comp_targetILNS1_3genE3ELNS1_11target_archE908ELNS1_3gpuE7ELNS1_3repE0EEENS1_30default_config_static_selectorELNS0_4arch9wavefront6targetE0EEEvS13_.num_named_barrier, 0
	.set _ZN7rocprim17ROCPRIM_400000_NS6detail17trampoline_kernelINS0_13select_configILj256ELj13ELNS0_17block_load_methodE3ELS4_3ELS4_3ELNS0_20block_scan_algorithmE0ELj4294967295EEENS1_25partition_config_selectorILNS1_17partition_subalgoE4EjNS0_10empty_typeEbEEZZNS1_14partition_implILS8_4ELb0ES6_15HIP_vector_typeIjLj2EENS0_17counting_iteratorIjlEEPS9_SG_NS0_5tupleIJPjSI_NS0_16reverse_iteratorISI_EEEEENSH_IJSG_SG_SG_EEES9_SI_JZNS1_25segmented_radix_sort_implINS0_14default_configELb0EPK12hip_bfloat16PSP_PKlPlN2at6native12_GLOBAL__N_18offset_tEEE10hipError_tPvRmT1_PNSt15iterator_traitsIS13_E10value_typeET2_T3_PNS14_IS19_E10value_typeET4_jRbjT5_S1F_jjP12ihipStream_tbEUljE_ZNSN_ISO_Lb0ESR_SS_SU_SV_SZ_EES10_S11_S12_S13_S17_S18_S19_S1C_S1D_jS1E_jS1F_S1F_jjS1H_bEUljE0_EEES10_S11_S12_S19_S1D_S1F_T6_T7_T9_mT8_S1H_bDpT10_ENKUlT_T0_E_clISt17integral_constantIbLb0EES1V_EEDaS1Q_S1R_EUlS1Q_E_NS1_11comp_targetILNS1_3genE3ELNS1_11target_archE908ELNS1_3gpuE7ELNS1_3repE0EEENS1_30default_config_static_selectorELNS0_4arch9wavefront6targetE0EEEvS13_.private_seg_size, 0
	.set _ZN7rocprim17ROCPRIM_400000_NS6detail17trampoline_kernelINS0_13select_configILj256ELj13ELNS0_17block_load_methodE3ELS4_3ELS4_3ELNS0_20block_scan_algorithmE0ELj4294967295EEENS1_25partition_config_selectorILNS1_17partition_subalgoE4EjNS0_10empty_typeEbEEZZNS1_14partition_implILS8_4ELb0ES6_15HIP_vector_typeIjLj2EENS0_17counting_iteratorIjlEEPS9_SG_NS0_5tupleIJPjSI_NS0_16reverse_iteratorISI_EEEEENSH_IJSG_SG_SG_EEES9_SI_JZNS1_25segmented_radix_sort_implINS0_14default_configELb0EPK12hip_bfloat16PSP_PKlPlN2at6native12_GLOBAL__N_18offset_tEEE10hipError_tPvRmT1_PNSt15iterator_traitsIS13_E10value_typeET2_T3_PNS14_IS19_E10value_typeET4_jRbjT5_S1F_jjP12ihipStream_tbEUljE_ZNSN_ISO_Lb0ESR_SS_SU_SV_SZ_EES10_S11_S12_S13_S17_S18_S19_S1C_S1D_jS1E_jS1F_S1F_jjS1H_bEUljE0_EEES10_S11_S12_S19_S1D_S1F_T6_T7_T9_mT8_S1H_bDpT10_ENKUlT_T0_E_clISt17integral_constantIbLb0EES1V_EEDaS1Q_S1R_EUlS1Q_E_NS1_11comp_targetILNS1_3genE3ELNS1_11target_archE908ELNS1_3gpuE7ELNS1_3repE0EEENS1_30default_config_static_selectorELNS0_4arch9wavefront6targetE0EEEvS13_.uses_vcc, 0
	.set _ZN7rocprim17ROCPRIM_400000_NS6detail17trampoline_kernelINS0_13select_configILj256ELj13ELNS0_17block_load_methodE3ELS4_3ELS4_3ELNS0_20block_scan_algorithmE0ELj4294967295EEENS1_25partition_config_selectorILNS1_17partition_subalgoE4EjNS0_10empty_typeEbEEZZNS1_14partition_implILS8_4ELb0ES6_15HIP_vector_typeIjLj2EENS0_17counting_iteratorIjlEEPS9_SG_NS0_5tupleIJPjSI_NS0_16reverse_iteratorISI_EEEEENSH_IJSG_SG_SG_EEES9_SI_JZNS1_25segmented_radix_sort_implINS0_14default_configELb0EPK12hip_bfloat16PSP_PKlPlN2at6native12_GLOBAL__N_18offset_tEEE10hipError_tPvRmT1_PNSt15iterator_traitsIS13_E10value_typeET2_T3_PNS14_IS19_E10value_typeET4_jRbjT5_S1F_jjP12ihipStream_tbEUljE_ZNSN_ISO_Lb0ESR_SS_SU_SV_SZ_EES10_S11_S12_S13_S17_S18_S19_S1C_S1D_jS1E_jS1F_S1F_jjS1H_bEUljE0_EEES10_S11_S12_S19_S1D_S1F_T6_T7_T9_mT8_S1H_bDpT10_ENKUlT_T0_E_clISt17integral_constantIbLb0EES1V_EEDaS1Q_S1R_EUlS1Q_E_NS1_11comp_targetILNS1_3genE3ELNS1_11target_archE908ELNS1_3gpuE7ELNS1_3repE0EEENS1_30default_config_static_selectorELNS0_4arch9wavefront6targetE0EEEvS13_.uses_flat_scratch, 0
	.set _ZN7rocprim17ROCPRIM_400000_NS6detail17trampoline_kernelINS0_13select_configILj256ELj13ELNS0_17block_load_methodE3ELS4_3ELS4_3ELNS0_20block_scan_algorithmE0ELj4294967295EEENS1_25partition_config_selectorILNS1_17partition_subalgoE4EjNS0_10empty_typeEbEEZZNS1_14partition_implILS8_4ELb0ES6_15HIP_vector_typeIjLj2EENS0_17counting_iteratorIjlEEPS9_SG_NS0_5tupleIJPjSI_NS0_16reverse_iteratorISI_EEEEENSH_IJSG_SG_SG_EEES9_SI_JZNS1_25segmented_radix_sort_implINS0_14default_configELb0EPK12hip_bfloat16PSP_PKlPlN2at6native12_GLOBAL__N_18offset_tEEE10hipError_tPvRmT1_PNSt15iterator_traitsIS13_E10value_typeET2_T3_PNS14_IS19_E10value_typeET4_jRbjT5_S1F_jjP12ihipStream_tbEUljE_ZNSN_ISO_Lb0ESR_SS_SU_SV_SZ_EES10_S11_S12_S13_S17_S18_S19_S1C_S1D_jS1E_jS1F_S1F_jjS1H_bEUljE0_EEES10_S11_S12_S19_S1D_S1F_T6_T7_T9_mT8_S1H_bDpT10_ENKUlT_T0_E_clISt17integral_constantIbLb0EES1V_EEDaS1Q_S1R_EUlS1Q_E_NS1_11comp_targetILNS1_3genE3ELNS1_11target_archE908ELNS1_3gpuE7ELNS1_3repE0EEENS1_30default_config_static_selectorELNS0_4arch9wavefront6targetE0EEEvS13_.has_dyn_sized_stack, 0
	.set _ZN7rocprim17ROCPRIM_400000_NS6detail17trampoline_kernelINS0_13select_configILj256ELj13ELNS0_17block_load_methodE3ELS4_3ELS4_3ELNS0_20block_scan_algorithmE0ELj4294967295EEENS1_25partition_config_selectorILNS1_17partition_subalgoE4EjNS0_10empty_typeEbEEZZNS1_14partition_implILS8_4ELb0ES6_15HIP_vector_typeIjLj2EENS0_17counting_iteratorIjlEEPS9_SG_NS0_5tupleIJPjSI_NS0_16reverse_iteratorISI_EEEEENSH_IJSG_SG_SG_EEES9_SI_JZNS1_25segmented_radix_sort_implINS0_14default_configELb0EPK12hip_bfloat16PSP_PKlPlN2at6native12_GLOBAL__N_18offset_tEEE10hipError_tPvRmT1_PNSt15iterator_traitsIS13_E10value_typeET2_T3_PNS14_IS19_E10value_typeET4_jRbjT5_S1F_jjP12ihipStream_tbEUljE_ZNSN_ISO_Lb0ESR_SS_SU_SV_SZ_EES10_S11_S12_S13_S17_S18_S19_S1C_S1D_jS1E_jS1F_S1F_jjS1H_bEUljE0_EEES10_S11_S12_S19_S1D_S1F_T6_T7_T9_mT8_S1H_bDpT10_ENKUlT_T0_E_clISt17integral_constantIbLb0EES1V_EEDaS1Q_S1R_EUlS1Q_E_NS1_11comp_targetILNS1_3genE3ELNS1_11target_archE908ELNS1_3gpuE7ELNS1_3repE0EEENS1_30default_config_static_selectorELNS0_4arch9wavefront6targetE0EEEvS13_.has_recursion, 0
	.set _ZN7rocprim17ROCPRIM_400000_NS6detail17trampoline_kernelINS0_13select_configILj256ELj13ELNS0_17block_load_methodE3ELS4_3ELS4_3ELNS0_20block_scan_algorithmE0ELj4294967295EEENS1_25partition_config_selectorILNS1_17partition_subalgoE4EjNS0_10empty_typeEbEEZZNS1_14partition_implILS8_4ELb0ES6_15HIP_vector_typeIjLj2EENS0_17counting_iteratorIjlEEPS9_SG_NS0_5tupleIJPjSI_NS0_16reverse_iteratorISI_EEEEENSH_IJSG_SG_SG_EEES9_SI_JZNS1_25segmented_radix_sort_implINS0_14default_configELb0EPK12hip_bfloat16PSP_PKlPlN2at6native12_GLOBAL__N_18offset_tEEE10hipError_tPvRmT1_PNSt15iterator_traitsIS13_E10value_typeET2_T3_PNS14_IS19_E10value_typeET4_jRbjT5_S1F_jjP12ihipStream_tbEUljE_ZNSN_ISO_Lb0ESR_SS_SU_SV_SZ_EES10_S11_S12_S13_S17_S18_S19_S1C_S1D_jS1E_jS1F_S1F_jjS1H_bEUljE0_EEES10_S11_S12_S19_S1D_S1F_T6_T7_T9_mT8_S1H_bDpT10_ENKUlT_T0_E_clISt17integral_constantIbLb0EES1V_EEDaS1Q_S1R_EUlS1Q_E_NS1_11comp_targetILNS1_3genE3ELNS1_11target_archE908ELNS1_3gpuE7ELNS1_3repE0EEENS1_30default_config_static_selectorELNS0_4arch9wavefront6targetE0EEEvS13_.has_indirect_call, 0
	.section	.AMDGPU.csdata,"",@progbits
; Kernel info:
; codeLenInByte = 0
; TotalNumSgprs: 0
; NumVgprs: 0
; ScratchSize: 0
; MemoryBound: 0
; FloatMode: 240
; IeeeMode: 1
; LDSByteSize: 0 bytes/workgroup (compile time only)
; SGPRBlocks: 0
; VGPRBlocks: 0
; NumSGPRsForWavesPerEU: 1
; NumVGPRsForWavesPerEU: 1
; Occupancy: 16
; WaveLimiterHint : 0
; COMPUTE_PGM_RSRC2:SCRATCH_EN: 0
; COMPUTE_PGM_RSRC2:USER_SGPR: 2
; COMPUTE_PGM_RSRC2:TRAP_HANDLER: 0
; COMPUTE_PGM_RSRC2:TGID_X_EN: 1
; COMPUTE_PGM_RSRC2:TGID_Y_EN: 0
; COMPUTE_PGM_RSRC2:TGID_Z_EN: 0
; COMPUTE_PGM_RSRC2:TIDIG_COMP_CNT: 0
	.section	.text._ZN7rocprim17ROCPRIM_400000_NS6detail17trampoline_kernelINS0_13select_configILj256ELj13ELNS0_17block_load_methodE3ELS4_3ELS4_3ELNS0_20block_scan_algorithmE0ELj4294967295EEENS1_25partition_config_selectorILNS1_17partition_subalgoE4EjNS0_10empty_typeEbEEZZNS1_14partition_implILS8_4ELb0ES6_15HIP_vector_typeIjLj2EENS0_17counting_iteratorIjlEEPS9_SG_NS0_5tupleIJPjSI_NS0_16reverse_iteratorISI_EEEEENSH_IJSG_SG_SG_EEES9_SI_JZNS1_25segmented_radix_sort_implINS0_14default_configELb0EPK12hip_bfloat16PSP_PKlPlN2at6native12_GLOBAL__N_18offset_tEEE10hipError_tPvRmT1_PNSt15iterator_traitsIS13_E10value_typeET2_T3_PNS14_IS19_E10value_typeET4_jRbjT5_S1F_jjP12ihipStream_tbEUljE_ZNSN_ISO_Lb0ESR_SS_SU_SV_SZ_EES10_S11_S12_S13_S17_S18_S19_S1C_S1D_jS1E_jS1F_S1F_jjS1H_bEUljE0_EEES10_S11_S12_S19_S1D_S1F_T6_T7_T9_mT8_S1H_bDpT10_ENKUlT_T0_E_clISt17integral_constantIbLb0EES1V_EEDaS1Q_S1R_EUlS1Q_E_NS1_11comp_targetILNS1_3genE2ELNS1_11target_archE906ELNS1_3gpuE6ELNS1_3repE0EEENS1_30default_config_static_selectorELNS0_4arch9wavefront6targetE0EEEvS13_,"axG",@progbits,_ZN7rocprim17ROCPRIM_400000_NS6detail17trampoline_kernelINS0_13select_configILj256ELj13ELNS0_17block_load_methodE3ELS4_3ELS4_3ELNS0_20block_scan_algorithmE0ELj4294967295EEENS1_25partition_config_selectorILNS1_17partition_subalgoE4EjNS0_10empty_typeEbEEZZNS1_14partition_implILS8_4ELb0ES6_15HIP_vector_typeIjLj2EENS0_17counting_iteratorIjlEEPS9_SG_NS0_5tupleIJPjSI_NS0_16reverse_iteratorISI_EEEEENSH_IJSG_SG_SG_EEES9_SI_JZNS1_25segmented_radix_sort_implINS0_14default_configELb0EPK12hip_bfloat16PSP_PKlPlN2at6native12_GLOBAL__N_18offset_tEEE10hipError_tPvRmT1_PNSt15iterator_traitsIS13_E10value_typeET2_T3_PNS14_IS19_E10value_typeET4_jRbjT5_S1F_jjP12ihipStream_tbEUljE_ZNSN_ISO_Lb0ESR_SS_SU_SV_SZ_EES10_S11_S12_S13_S17_S18_S19_S1C_S1D_jS1E_jS1F_S1F_jjS1H_bEUljE0_EEES10_S11_S12_S19_S1D_S1F_T6_T7_T9_mT8_S1H_bDpT10_ENKUlT_T0_E_clISt17integral_constantIbLb0EES1V_EEDaS1Q_S1R_EUlS1Q_E_NS1_11comp_targetILNS1_3genE2ELNS1_11target_archE906ELNS1_3gpuE6ELNS1_3repE0EEENS1_30default_config_static_selectorELNS0_4arch9wavefront6targetE0EEEvS13_,comdat
	.globl	_ZN7rocprim17ROCPRIM_400000_NS6detail17trampoline_kernelINS0_13select_configILj256ELj13ELNS0_17block_load_methodE3ELS4_3ELS4_3ELNS0_20block_scan_algorithmE0ELj4294967295EEENS1_25partition_config_selectorILNS1_17partition_subalgoE4EjNS0_10empty_typeEbEEZZNS1_14partition_implILS8_4ELb0ES6_15HIP_vector_typeIjLj2EENS0_17counting_iteratorIjlEEPS9_SG_NS0_5tupleIJPjSI_NS0_16reverse_iteratorISI_EEEEENSH_IJSG_SG_SG_EEES9_SI_JZNS1_25segmented_radix_sort_implINS0_14default_configELb0EPK12hip_bfloat16PSP_PKlPlN2at6native12_GLOBAL__N_18offset_tEEE10hipError_tPvRmT1_PNSt15iterator_traitsIS13_E10value_typeET2_T3_PNS14_IS19_E10value_typeET4_jRbjT5_S1F_jjP12ihipStream_tbEUljE_ZNSN_ISO_Lb0ESR_SS_SU_SV_SZ_EES10_S11_S12_S13_S17_S18_S19_S1C_S1D_jS1E_jS1F_S1F_jjS1H_bEUljE0_EEES10_S11_S12_S19_S1D_S1F_T6_T7_T9_mT8_S1H_bDpT10_ENKUlT_T0_E_clISt17integral_constantIbLb0EES1V_EEDaS1Q_S1R_EUlS1Q_E_NS1_11comp_targetILNS1_3genE2ELNS1_11target_archE906ELNS1_3gpuE6ELNS1_3repE0EEENS1_30default_config_static_selectorELNS0_4arch9wavefront6targetE0EEEvS13_ ; -- Begin function _ZN7rocprim17ROCPRIM_400000_NS6detail17trampoline_kernelINS0_13select_configILj256ELj13ELNS0_17block_load_methodE3ELS4_3ELS4_3ELNS0_20block_scan_algorithmE0ELj4294967295EEENS1_25partition_config_selectorILNS1_17partition_subalgoE4EjNS0_10empty_typeEbEEZZNS1_14partition_implILS8_4ELb0ES6_15HIP_vector_typeIjLj2EENS0_17counting_iteratorIjlEEPS9_SG_NS0_5tupleIJPjSI_NS0_16reverse_iteratorISI_EEEEENSH_IJSG_SG_SG_EEES9_SI_JZNS1_25segmented_radix_sort_implINS0_14default_configELb0EPK12hip_bfloat16PSP_PKlPlN2at6native12_GLOBAL__N_18offset_tEEE10hipError_tPvRmT1_PNSt15iterator_traitsIS13_E10value_typeET2_T3_PNS14_IS19_E10value_typeET4_jRbjT5_S1F_jjP12ihipStream_tbEUljE_ZNSN_ISO_Lb0ESR_SS_SU_SV_SZ_EES10_S11_S12_S13_S17_S18_S19_S1C_S1D_jS1E_jS1F_S1F_jjS1H_bEUljE0_EEES10_S11_S12_S19_S1D_S1F_T6_T7_T9_mT8_S1H_bDpT10_ENKUlT_T0_E_clISt17integral_constantIbLb0EES1V_EEDaS1Q_S1R_EUlS1Q_E_NS1_11comp_targetILNS1_3genE2ELNS1_11target_archE906ELNS1_3gpuE6ELNS1_3repE0EEENS1_30default_config_static_selectorELNS0_4arch9wavefront6targetE0EEEvS13_
	.p2align	8
	.type	_ZN7rocprim17ROCPRIM_400000_NS6detail17trampoline_kernelINS0_13select_configILj256ELj13ELNS0_17block_load_methodE3ELS4_3ELS4_3ELNS0_20block_scan_algorithmE0ELj4294967295EEENS1_25partition_config_selectorILNS1_17partition_subalgoE4EjNS0_10empty_typeEbEEZZNS1_14partition_implILS8_4ELb0ES6_15HIP_vector_typeIjLj2EENS0_17counting_iteratorIjlEEPS9_SG_NS0_5tupleIJPjSI_NS0_16reverse_iteratorISI_EEEEENSH_IJSG_SG_SG_EEES9_SI_JZNS1_25segmented_radix_sort_implINS0_14default_configELb0EPK12hip_bfloat16PSP_PKlPlN2at6native12_GLOBAL__N_18offset_tEEE10hipError_tPvRmT1_PNSt15iterator_traitsIS13_E10value_typeET2_T3_PNS14_IS19_E10value_typeET4_jRbjT5_S1F_jjP12ihipStream_tbEUljE_ZNSN_ISO_Lb0ESR_SS_SU_SV_SZ_EES10_S11_S12_S13_S17_S18_S19_S1C_S1D_jS1E_jS1F_S1F_jjS1H_bEUljE0_EEES10_S11_S12_S19_S1D_S1F_T6_T7_T9_mT8_S1H_bDpT10_ENKUlT_T0_E_clISt17integral_constantIbLb0EES1V_EEDaS1Q_S1R_EUlS1Q_E_NS1_11comp_targetILNS1_3genE2ELNS1_11target_archE906ELNS1_3gpuE6ELNS1_3repE0EEENS1_30default_config_static_selectorELNS0_4arch9wavefront6targetE0EEEvS13_,@function
_ZN7rocprim17ROCPRIM_400000_NS6detail17trampoline_kernelINS0_13select_configILj256ELj13ELNS0_17block_load_methodE3ELS4_3ELS4_3ELNS0_20block_scan_algorithmE0ELj4294967295EEENS1_25partition_config_selectorILNS1_17partition_subalgoE4EjNS0_10empty_typeEbEEZZNS1_14partition_implILS8_4ELb0ES6_15HIP_vector_typeIjLj2EENS0_17counting_iteratorIjlEEPS9_SG_NS0_5tupleIJPjSI_NS0_16reverse_iteratorISI_EEEEENSH_IJSG_SG_SG_EEES9_SI_JZNS1_25segmented_radix_sort_implINS0_14default_configELb0EPK12hip_bfloat16PSP_PKlPlN2at6native12_GLOBAL__N_18offset_tEEE10hipError_tPvRmT1_PNSt15iterator_traitsIS13_E10value_typeET2_T3_PNS14_IS19_E10value_typeET4_jRbjT5_S1F_jjP12ihipStream_tbEUljE_ZNSN_ISO_Lb0ESR_SS_SU_SV_SZ_EES10_S11_S12_S13_S17_S18_S19_S1C_S1D_jS1E_jS1F_S1F_jjS1H_bEUljE0_EEES10_S11_S12_S19_S1D_S1F_T6_T7_T9_mT8_S1H_bDpT10_ENKUlT_T0_E_clISt17integral_constantIbLb0EES1V_EEDaS1Q_S1R_EUlS1Q_E_NS1_11comp_targetILNS1_3genE2ELNS1_11target_archE906ELNS1_3gpuE6ELNS1_3repE0EEENS1_30default_config_static_selectorELNS0_4arch9wavefront6targetE0EEEvS13_: ; @_ZN7rocprim17ROCPRIM_400000_NS6detail17trampoline_kernelINS0_13select_configILj256ELj13ELNS0_17block_load_methodE3ELS4_3ELS4_3ELNS0_20block_scan_algorithmE0ELj4294967295EEENS1_25partition_config_selectorILNS1_17partition_subalgoE4EjNS0_10empty_typeEbEEZZNS1_14partition_implILS8_4ELb0ES6_15HIP_vector_typeIjLj2EENS0_17counting_iteratorIjlEEPS9_SG_NS0_5tupleIJPjSI_NS0_16reverse_iteratorISI_EEEEENSH_IJSG_SG_SG_EEES9_SI_JZNS1_25segmented_radix_sort_implINS0_14default_configELb0EPK12hip_bfloat16PSP_PKlPlN2at6native12_GLOBAL__N_18offset_tEEE10hipError_tPvRmT1_PNSt15iterator_traitsIS13_E10value_typeET2_T3_PNS14_IS19_E10value_typeET4_jRbjT5_S1F_jjP12ihipStream_tbEUljE_ZNSN_ISO_Lb0ESR_SS_SU_SV_SZ_EES10_S11_S12_S13_S17_S18_S19_S1C_S1D_jS1E_jS1F_S1F_jjS1H_bEUljE0_EEES10_S11_S12_S19_S1D_S1F_T6_T7_T9_mT8_S1H_bDpT10_ENKUlT_T0_E_clISt17integral_constantIbLb0EES1V_EEDaS1Q_S1R_EUlS1Q_E_NS1_11comp_targetILNS1_3genE2ELNS1_11target_archE906ELNS1_3gpuE6ELNS1_3repE0EEENS1_30default_config_static_selectorELNS0_4arch9wavefront6targetE0EEEvS13_
; %bb.0:
	.section	.rodata,"a",@progbits
	.p2align	6, 0x0
	.amdhsa_kernel _ZN7rocprim17ROCPRIM_400000_NS6detail17trampoline_kernelINS0_13select_configILj256ELj13ELNS0_17block_load_methodE3ELS4_3ELS4_3ELNS0_20block_scan_algorithmE0ELj4294967295EEENS1_25partition_config_selectorILNS1_17partition_subalgoE4EjNS0_10empty_typeEbEEZZNS1_14partition_implILS8_4ELb0ES6_15HIP_vector_typeIjLj2EENS0_17counting_iteratorIjlEEPS9_SG_NS0_5tupleIJPjSI_NS0_16reverse_iteratorISI_EEEEENSH_IJSG_SG_SG_EEES9_SI_JZNS1_25segmented_radix_sort_implINS0_14default_configELb0EPK12hip_bfloat16PSP_PKlPlN2at6native12_GLOBAL__N_18offset_tEEE10hipError_tPvRmT1_PNSt15iterator_traitsIS13_E10value_typeET2_T3_PNS14_IS19_E10value_typeET4_jRbjT5_S1F_jjP12ihipStream_tbEUljE_ZNSN_ISO_Lb0ESR_SS_SU_SV_SZ_EES10_S11_S12_S13_S17_S18_S19_S1C_S1D_jS1E_jS1F_S1F_jjS1H_bEUljE0_EEES10_S11_S12_S19_S1D_S1F_T6_T7_T9_mT8_S1H_bDpT10_ENKUlT_T0_E_clISt17integral_constantIbLb0EES1V_EEDaS1Q_S1R_EUlS1Q_E_NS1_11comp_targetILNS1_3genE2ELNS1_11target_archE906ELNS1_3gpuE6ELNS1_3repE0EEENS1_30default_config_static_selectorELNS0_4arch9wavefront6targetE0EEEvS13_
		.amdhsa_group_segment_fixed_size 0
		.amdhsa_private_segment_fixed_size 0
		.amdhsa_kernarg_size 176
		.amdhsa_user_sgpr_count 2
		.amdhsa_user_sgpr_dispatch_ptr 0
		.amdhsa_user_sgpr_queue_ptr 0
		.amdhsa_user_sgpr_kernarg_segment_ptr 1
		.amdhsa_user_sgpr_dispatch_id 0
		.amdhsa_user_sgpr_private_segment_size 0
		.amdhsa_wavefront_size32 1
		.amdhsa_uses_dynamic_stack 0
		.amdhsa_enable_private_segment 0
		.amdhsa_system_sgpr_workgroup_id_x 1
		.amdhsa_system_sgpr_workgroup_id_y 0
		.amdhsa_system_sgpr_workgroup_id_z 0
		.amdhsa_system_sgpr_workgroup_info 0
		.amdhsa_system_vgpr_workitem_id 0
		.amdhsa_next_free_vgpr 1
		.amdhsa_next_free_sgpr 1
		.amdhsa_reserve_vcc 0
		.amdhsa_float_round_mode_32 0
		.amdhsa_float_round_mode_16_64 0
		.amdhsa_float_denorm_mode_32 3
		.amdhsa_float_denorm_mode_16_64 3
		.amdhsa_fp16_overflow 0
		.amdhsa_workgroup_processor_mode 1
		.amdhsa_memory_ordered 1
		.amdhsa_forward_progress 1
		.amdhsa_inst_pref_size 0
		.amdhsa_round_robin_scheduling 0
		.amdhsa_exception_fp_ieee_invalid_op 0
		.amdhsa_exception_fp_denorm_src 0
		.amdhsa_exception_fp_ieee_div_zero 0
		.amdhsa_exception_fp_ieee_overflow 0
		.amdhsa_exception_fp_ieee_underflow 0
		.amdhsa_exception_fp_ieee_inexact 0
		.amdhsa_exception_int_div_zero 0
	.end_amdhsa_kernel
	.section	.text._ZN7rocprim17ROCPRIM_400000_NS6detail17trampoline_kernelINS0_13select_configILj256ELj13ELNS0_17block_load_methodE3ELS4_3ELS4_3ELNS0_20block_scan_algorithmE0ELj4294967295EEENS1_25partition_config_selectorILNS1_17partition_subalgoE4EjNS0_10empty_typeEbEEZZNS1_14partition_implILS8_4ELb0ES6_15HIP_vector_typeIjLj2EENS0_17counting_iteratorIjlEEPS9_SG_NS0_5tupleIJPjSI_NS0_16reverse_iteratorISI_EEEEENSH_IJSG_SG_SG_EEES9_SI_JZNS1_25segmented_radix_sort_implINS0_14default_configELb0EPK12hip_bfloat16PSP_PKlPlN2at6native12_GLOBAL__N_18offset_tEEE10hipError_tPvRmT1_PNSt15iterator_traitsIS13_E10value_typeET2_T3_PNS14_IS19_E10value_typeET4_jRbjT5_S1F_jjP12ihipStream_tbEUljE_ZNSN_ISO_Lb0ESR_SS_SU_SV_SZ_EES10_S11_S12_S13_S17_S18_S19_S1C_S1D_jS1E_jS1F_S1F_jjS1H_bEUljE0_EEES10_S11_S12_S19_S1D_S1F_T6_T7_T9_mT8_S1H_bDpT10_ENKUlT_T0_E_clISt17integral_constantIbLb0EES1V_EEDaS1Q_S1R_EUlS1Q_E_NS1_11comp_targetILNS1_3genE2ELNS1_11target_archE906ELNS1_3gpuE6ELNS1_3repE0EEENS1_30default_config_static_selectorELNS0_4arch9wavefront6targetE0EEEvS13_,"axG",@progbits,_ZN7rocprim17ROCPRIM_400000_NS6detail17trampoline_kernelINS0_13select_configILj256ELj13ELNS0_17block_load_methodE3ELS4_3ELS4_3ELNS0_20block_scan_algorithmE0ELj4294967295EEENS1_25partition_config_selectorILNS1_17partition_subalgoE4EjNS0_10empty_typeEbEEZZNS1_14partition_implILS8_4ELb0ES6_15HIP_vector_typeIjLj2EENS0_17counting_iteratorIjlEEPS9_SG_NS0_5tupleIJPjSI_NS0_16reverse_iteratorISI_EEEEENSH_IJSG_SG_SG_EEES9_SI_JZNS1_25segmented_radix_sort_implINS0_14default_configELb0EPK12hip_bfloat16PSP_PKlPlN2at6native12_GLOBAL__N_18offset_tEEE10hipError_tPvRmT1_PNSt15iterator_traitsIS13_E10value_typeET2_T3_PNS14_IS19_E10value_typeET4_jRbjT5_S1F_jjP12ihipStream_tbEUljE_ZNSN_ISO_Lb0ESR_SS_SU_SV_SZ_EES10_S11_S12_S13_S17_S18_S19_S1C_S1D_jS1E_jS1F_S1F_jjS1H_bEUljE0_EEES10_S11_S12_S19_S1D_S1F_T6_T7_T9_mT8_S1H_bDpT10_ENKUlT_T0_E_clISt17integral_constantIbLb0EES1V_EEDaS1Q_S1R_EUlS1Q_E_NS1_11comp_targetILNS1_3genE2ELNS1_11target_archE906ELNS1_3gpuE6ELNS1_3repE0EEENS1_30default_config_static_selectorELNS0_4arch9wavefront6targetE0EEEvS13_,comdat
.Lfunc_end1989:
	.size	_ZN7rocprim17ROCPRIM_400000_NS6detail17trampoline_kernelINS0_13select_configILj256ELj13ELNS0_17block_load_methodE3ELS4_3ELS4_3ELNS0_20block_scan_algorithmE0ELj4294967295EEENS1_25partition_config_selectorILNS1_17partition_subalgoE4EjNS0_10empty_typeEbEEZZNS1_14partition_implILS8_4ELb0ES6_15HIP_vector_typeIjLj2EENS0_17counting_iteratorIjlEEPS9_SG_NS0_5tupleIJPjSI_NS0_16reverse_iteratorISI_EEEEENSH_IJSG_SG_SG_EEES9_SI_JZNS1_25segmented_radix_sort_implINS0_14default_configELb0EPK12hip_bfloat16PSP_PKlPlN2at6native12_GLOBAL__N_18offset_tEEE10hipError_tPvRmT1_PNSt15iterator_traitsIS13_E10value_typeET2_T3_PNS14_IS19_E10value_typeET4_jRbjT5_S1F_jjP12ihipStream_tbEUljE_ZNSN_ISO_Lb0ESR_SS_SU_SV_SZ_EES10_S11_S12_S13_S17_S18_S19_S1C_S1D_jS1E_jS1F_S1F_jjS1H_bEUljE0_EEES10_S11_S12_S19_S1D_S1F_T6_T7_T9_mT8_S1H_bDpT10_ENKUlT_T0_E_clISt17integral_constantIbLb0EES1V_EEDaS1Q_S1R_EUlS1Q_E_NS1_11comp_targetILNS1_3genE2ELNS1_11target_archE906ELNS1_3gpuE6ELNS1_3repE0EEENS1_30default_config_static_selectorELNS0_4arch9wavefront6targetE0EEEvS13_, .Lfunc_end1989-_ZN7rocprim17ROCPRIM_400000_NS6detail17trampoline_kernelINS0_13select_configILj256ELj13ELNS0_17block_load_methodE3ELS4_3ELS4_3ELNS0_20block_scan_algorithmE0ELj4294967295EEENS1_25partition_config_selectorILNS1_17partition_subalgoE4EjNS0_10empty_typeEbEEZZNS1_14partition_implILS8_4ELb0ES6_15HIP_vector_typeIjLj2EENS0_17counting_iteratorIjlEEPS9_SG_NS0_5tupleIJPjSI_NS0_16reverse_iteratorISI_EEEEENSH_IJSG_SG_SG_EEES9_SI_JZNS1_25segmented_radix_sort_implINS0_14default_configELb0EPK12hip_bfloat16PSP_PKlPlN2at6native12_GLOBAL__N_18offset_tEEE10hipError_tPvRmT1_PNSt15iterator_traitsIS13_E10value_typeET2_T3_PNS14_IS19_E10value_typeET4_jRbjT5_S1F_jjP12ihipStream_tbEUljE_ZNSN_ISO_Lb0ESR_SS_SU_SV_SZ_EES10_S11_S12_S13_S17_S18_S19_S1C_S1D_jS1E_jS1F_S1F_jjS1H_bEUljE0_EEES10_S11_S12_S19_S1D_S1F_T6_T7_T9_mT8_S1H_bDpT10_ENKUlT_T0_E_clISt17integral_constantIbLb0EES1V_EEDaS1Q_S1R_EUlS1Q_E_NS1_11comp_targetILNS1_3genE2ELNS1_11target_archE906ELNS1_3gpuE6ELNS1_3repE0EEENS1_30default_config_static_selectorELNS0_4arch9wavefront6targetE0EEEvS13_
                                        ; -- End function
	.set _ZN7rocprim17ROCPRIM_400000_NS6detail17trampoline_kernelINS0_13select_configILj256ELj13ELNS0_17block_load_methodE3ELS4_3ELS4_3ELNS0_20block_scan_algorithmE0ELj4294967295EEENS1_25partition_config_selectorILNS1_17partition_subalgoE4EjNS0_10empty_typeEbEEZZNS1_14partition_implILS8_4ELb0ES6_15HIP_vector_typeIjLj2EENS0_17counting_iteratorIjlEEPS9_SG_NS0_5tupleIJPjSI_NS0_16reverse_iteratorISI_EEEEENSH_IJSG_SG_SG_EEES9_SI_JZNS1_25segmented_radix_sort_implINS0_14default_configELb0EPK12hip_bfloat16PSP_PKlPlN2at6native12_GLOBAL__N_18offset_tEEE10hipError_tPvRmT1_PNSt15iterator_traitsIS13_E10value_typeET2_T3_PNS14_IS19_E10value_typeET4_jRbjT5_S1F_jjP12ihipStream_tbEUljE_ZNSN_ISO_Lb0ESR_SS_SU_SV_SZ_EES10_S11_S12_S13_S17_S18_S19_S1C_S1D_jS1E_jS1F_S1F_jjS1H_bEUljE0_EEES10_S11_S12_S19_S1D_S1F_T6_T7_T9_mT8_S1H_bDpT10_ENKUlT_T0_E_clISt17integral_constantIbLb0EES1V_EEDaS1Q_S1R_EUlS1Q_E_NS1_11comp_targetILNS1_3genE2ELNS1_11target_archE906ELNS1_3gpuE6ELNS1_3repE0EEENS1_30default_config_static_selectorELNS0_4arch9wavefront6targetE0EEEvS13_.num_vgpr, 0
	.set _ZN7rocprim17ROCPRIM_400000_NS6detail17trampoline_kernelINS0_13select_configILj256ELj13ELNS0_17block_load_methodE3ELS4_3ELS4_3ELNS0_20block_scan_algorithmE0ELj4294967295EEENS1_25partition_config_selectorILNS1_17partition_subalgoE4EjNS0_10empty_typeEbEEZZNS1_14partition_implILS8_4ELb0ES6_15HIP_vector_typeIjLj2EENS0_17counting_iteratorIjlEEPS9_SG_NS0_5tupleIJPjSI_NS0_16reverse_iteratorISI_EEEEENSH_IJSG_SG_SG_EEES9_SI_JZNS1_25segmented_radix_sort_implINS0_14default_configELb0EPK12hip_bfloat16PSP_PKlPlN2at6native12_GLOBAL__N_18offset_tEEE10hipError_tPvRmT1_PNSt15iterator_traitsIS13_E10value_typeET2_T3_PNS14_IS19_E10value_typeET4_jRbjT5_S1F_jjP12ihipStream_tbEUljE_ZNSN_ISO_Lb0ESR_SS_SU_SV_SZ_EES10_S11_S12_S13_S17_S18_S19_S1C_S1D_jS1E_jS1F_S1F_jjS1H_bEUljE0_EEES10_S11_S12_S19_S1D_S1F_T6_T7_T9_mT8_S1H_bDpT10_ENKUlT_T0_E_clISt17integral_constantIbLb0EES1V_EEDaS1Q_S1R_EUlS1Q_E_NS1_11comp_targetILNS1_3genE2ELNS1_11target_archE906ELNS1_3gpuE6ELNS1_3repE0EEENS1_30default_config_static_selectorELNS0_4arch9wavefront6targetE0EEEvS13_.num_agpr, 0
	.set _ZN7rocprim17ROCPRIM_400000_NS6detail17trampoline_kernelINS0_13select_configILj256ELj13ELNS0_17block_load_methodE3ELS4_3ELS4_3ELNS0_20block_scan_algorithmE0ELj4294967295EEENS1_25partition_config_selectorILNS1_17partition_subalgoE4EjNS0_10empty_typeEbEEZZNS1_14partition_implILS8_4ELb0ES6_15HIP_vector_typeIjLj2EENS0_17counting_iteratorIjlEEPS9_SG_NS0_5tupleIJPjSI_NS0_16reverse_iteratorISI_EEEEENSH_IJSG_SG_SG_EEES9_SI_JZNS1_25segmented_radix_sort_implINS0_14default_configELb0EPK12hip_bfloat16PSP_PKlPlN2at6native12_GLOBAL__N_18offset_tEEE10hipError_tPvRmT1_PNSt15iterator_traitsIS13_E10value_typeET2_T3_PNS14_IS19_E10value_typeET4_jRbjT5_S1F_jjP12ihipStream_tbEUljE_ZNSN_ISO_Lb0ESR_SS_SU_SV_SZ_EES10_S11_S12_S13_S17_S18_S19_S1C_S1D_jS1E_jS1F_S1F_jjS1H_bEUljE0_EEES10_S11_S12_S19_S1D_S1F_T6_T7_T9_mT8_S1H_bDpT10_ENKUlT_T0_E_clISt17integral_constantIbLb0EES1V_EEDaS1Q_S1R_EUlS1Q_E_NS1_11comp_targetILNS1_3genE2ELNS1_11target_archE906ELNS1_3gpuE6ELNS1_3repE0EEENS1_30default_config_static_selectorELNS0_4arch9wavefront6targetE0EEEvS13_.numbered_sgpr, 0
	.set _ZN7rocprim17ROCPRIM_400000_NS6detail17trampoline_kernelINS0_13select_configILj256ELj13ELNS0_17block_load_methodE3ELS4_3ELS4_3ELNS0_20block_scan_algorithmE0ELj4294967295EEENS1_25partition_config_selectorILNS1_17partition_subalgoE4EjNS0_10empty_typeEbEEZZNS1_14partition_implILS8_4ELb0ES6_15HIP_vector_typeIjLj2EENS0_17counting_iteratorIjlEEPS9_SG_NS0_5tupleIJPjSI_NS0_16reverse_iteratorISI_EEEEENSH_IJSG_SG_SG_EEES9_SI_JZNS1_25segmented_radix_sort_implINS0_14default_configELb0EPK12hip_bfloat16PSP_PKlPlN2at6native12_GLOBAL__N_18offset_tEEE10hipError_tPvRmT1_PNSt15iterator_traitsIS13_E10value_typeET2_T3_PNS14_IS19_E10value_typeET4_jRbjT5_S1F_jjP12ihipStream_tbEUljE_ZNSN_ISO_Lb0ESR_SS_SU_SV_SZ_EES10_S11_S12_S13_S17_S18_S19_S1C_S1D_jS1E_jS1F_S1F_jjS1H_bEUljE0_EEES10_S11_S12_S19_S1D_S1F_T6_T7_T9_mT8_S1H_bDpT10_ENKUlT_T0_E_clISt17integral_constantIbLb0EES1V_EEDaS1Q_S1R_EUlS1Q_E_NS1_11comp_targetILNS1_3genE2ELNS1_11target_archE906ELNS1_3gpuE6ELNS1_3repE0EEENS1_30default_config_static_selectorELNS0_4arch9wavefront6targetE0EEEvS13_.num_named_barrier, 0
	.set _ZN7rocprim17ROCPRIM_400000_NS6detail17trampoline_kernelINS0_13select_configILj256ELj13ELNS0_17block_load_methodE3ELS4_3ELS4_3ELNS0_20block_scan_algorithmE0ELj4294967295EEENS1_25partition_config_selectorILNS1_17partition_subalgoE4EjNS0_10empty_typeEbEEZZNS1_14partition_implILS8_4ELb0ES6_15HIP_vector_typeIjLj2EENS0_17counting_iteratorIjlEEPS9_SG_NS0_5tupleIJPjSI_NS0_16reverse_iteratorISI_EEEEENSH_IJSG_SG_SG_EEES9_SI_JZNS1_25segmented_radix_sort_implINS0_14default_configELb0EPK12hip_bfloat16PSP_PKlPlN2at6native12_GLOBAL__N_18offset_tEEE10hipError_tPvRmT1_PNSt15iterator_traitsIS13_E10value_typeET2_T3_PNS14_IS19_E10value_typeET4_jRbjT5_S1F_jjP12ihipStream_tbEUljE_ZNSN_ISO_Lb0ESR_SS_SU_SV_SZ_EES10_S11_S12_S13_S17_S18_S19_S1C_S1D_jS1E_jS1F_S1F_jjS1H_bEUljE0_EEES10_S11_S12_S19_S1D_S1F_T6_T7_T9_mT8_S1H_bDpT10_ENKUlT_T0_E_clISt17integral_constantIbLb0EES1V_EEDaS1Q_S1R_EUlS1Q_E_NS1_11comp_targetILNS1_3genE2ELNS1_11target_archE906ELNS1_3gpuE6ELNS1_3repE0EEENS1_30default_config_static_selectorELNS0_4arch9wavefront6targetE0EEEvS13_.private_seg_size, 0
	.set _ZN7rocprim17ROCPRIM_400000_NS6detail17trampoline_kernelINS0_13select_configILj256ELj13ELNS0_17block_load_methodE3ELS4_3ELS4_3ELNS0_20block_scan_algorithmE0ELj4294967295EEENS1_25partition_config_selectorILNS1_17partition_subalgoE4EjNS0_10empty_typeEbEEZZNS1_14partition_implILS8_4ELb0ES6_15HIP_vector_typeIjLj2EENS0_17counting_iteratorIjlEEPS9_SG_NS0_5tupleIJPjSI_NS0_16reverse_iteratorISI_EEEEENSH_IJSG_SG_SG_EEES9_SI_JZNS1_25segmented_radix_sort_implINS0_14default_configELb0EPK12hip_bfloat16PSP_PKlPlN2at6native12_GLOBAL__N_18offset_tEEE10hipError_tPvRmT1_PNSt15iterator_traitsIS13_E10value_typeET2_T3_PNS14_IS19_E10value_typeET4_jRbjT5_S1F_jjP12ihipStream_tbEUljE_ZNSN_ISO_Lb0ESR_SS_SU_SV_SZ_EES10_S11_S12_S13_S17_S18_S19_S1C_S1D_jS1E_jS1F_S1F_jjS1H_bEUljE0_EEES10_S11_S12_S19_S1D_S1F_T6_T7_T9_mT8_S1H_bDpT10_ENKUlT_T0_E_clISt17integral_constantIbLb0EES1V_EEDaS1Q_S1R_EUlS1Q_E_NS1_11comp_targetILNS1_3genE2ELNS1_11target_archE906ELNS1_3gpuE6ELNS1_3repE0EEENS1_30default_config_static_selectorELNS0_4arch9wavefront6targetE0EEEvS13_.uses_vcc, 0
	.set _ZN7rocprim17ROCPRIM_400000_NS6detail17trampoline_kernelINS0_13select_configILj256ELj13ELNS0_17block_load_methodE3ELS4_3ELS4_3ELNS0_20block_scan_algorithmE0ELj4294967295EEENS1_25partition_config_selectorILNS1_17partition_subalgoE4EjNS0_10empty_typeEbEEZZNS1_14partition_implILS8_4ELb0ES6_15HIP_vector_typeIjLj2EENS0_17counting_iteratorIjlEEPS9_SG_NS0_5tupleIJPjSI_NS0_16reverse_iteratorISI_EEEEENSH_IJSG_SG_SG_EEES9_SI_JZNS1_25segmented_radix_sort_implINS0_14default_configELb0EPK12hip_bfloat16PSP_PKlPlN2at6native12_GLOBAL__N_18offset_tEEE10hipError_tPvRmT1_PNSt15iterator_traitsIS13_E10value_typeET2_T3_PNS14_IS19_E10value_typeET4_jRbjT5_S1F_jjP12ihipStream_tbEUljE_ZNSN_ISO_Lb0ESR_SS_SU_SV_SZ_EES10_S11_S12_S13_S17_S18_S19_S1C_S1D_jS1E_jS1F_S1F_jjS1H_bEUljE0_EEES10_S11_S12_S19_S1D_S1F_T6_T7_T9_mT8_S1H_bDpT10_ENKUlT_T0_E_clISt17integral_constantIbLb0EES1V_EEDaS1Q_S1R_EUlS1Q_E_NS1_11comp_targetILNS1_3genE2ELNS1_11target_archE906ELNS1_3gpuE6ELNS1_3repE0EEENS1_30default_config_static_selectorELNS0_4arch9wavefront6targetE0EEEvS13_.uses_flat_scratch, 0
	.set _ZN7rocprim17ROCPRIM_400000_NS6detail17trampoline_kernelINS0_13select_configILj256ELj13ELNS0_17block_load_methodE3ELS4_3ELS4_3ELNS0_20block_scan_algorithmE0ELj4294967295EEENS1_25partition_config_selectorILNS1_17partition_subalgoE4EjNS0_10empty_typeEbEEZZNS1_14partition_implILS8_4ELb0ES6_15HIP_vector_typeIjLj2EENS0_17counting_iteratorIjlEEPS9_SG_NS0_5tupleIJPjSI_NS0_16reverse_iteratorISI_EEEEENSH_IJSG_SG_SG_EEES9_SI_JZNS1_25segmented_radix_sort_implINS0_14default_configELb0EPK12hip_bfloat16PSP_PKlPlN2at6native12_GLOBAL__N_18offset_tEEE10hipError_tPvRmT1_PNSt15iterator_traitsIS13_E10value_typeET2_T3_PNS14_IS19_E10value_typeET4_jRbjT5_S1F_jjP12ihipStream_tbEUljE_ZNSN_ISO_Lb0ESR_SS_SU_SV_SZ_EES10_S11_S12_S13_S17_S18_S19_S1C_S1D_jS1E_jS1F_S1F_jjS1H_bEUljE0_EEES10_S11_S12_S19_S1D_S1F_T6_T7_T9_mT8_S1H_bDpT10_ENKUlT_T0_E_clISt17integral_constantIbLb0EES1V_EEDaS1Q_S1R_EUlS1Q_E_NS1_11comp_targetILNS1_3genE2ELNS1_11target_archE906ELNS1_3gpuE6ELNS1_3repE0EEENS1_30default_config_static_selectorELNS0_4arch9wavefront6targetE0EEEvS13_.has_dyn_sized_stack, 0
	.set _ZN7rocprim17ROCPRIM_400000_NS6detail17trampoline_kernelINS0_13select_configILj256ELj13ELNS0_17block_load_methodE3ELS4_3ELS4_3ELNS0_20block_scan_algorithmE0ELj4294967295EEENS1_25partition_config_selectorILNS1_17partition_subalgoE4EjNS0_10empty_typeEbEEZZNS1_14partition_implILS8_4ELb0ES6_15HIP_vector_typeIjLj2EENS0_17counting_iteratorIjlEEPS9_SG_NS0_5tupleIJPjSI_NS0_16reverse_iteratorISI_EEEEENSH_IJSG_SG_SG_EEES9_SI_JZNS1_25segmented_radix_sort_implINS0_14default_configELb0EPK12hip_bfloat16PSP_PKlPlN2at6native12_GLOBAL__N_18offset_tEEE10hipError_tPvRmT1_PNSt15iterator_traitsIS13_E10value_typeET2_T3_PNS14_IS19_E10value_typeET4_jRbjT5_S1F_jjP12ihipStream_tbEUljE_ZNSN_ISO_Lb0ESR_SS_SU_SV_SZ_EES10_S11_S12_S13_S17_S18_S19_S1C_S1D_jS1E_jS1F_S1F_jjS1H_bEUljE0_EEES10_S11_S12_S19_S1D_S1F_T6_T7_T9_mT8_S1H_bDpT10_ENKUlT_T0_E_clISt17integral_constantIbLb0EES1V_EEDaS1Q_S1R_EUlS1Q_E_NS1_11comp_targetILNS1_3genE2ELNS1_11target_archE906ELNS1_3gpuE6ELNS1_3repE0EEENS1_30default_config_static_selectorELNS0_4arch9wavefront6targetE0EEEvS13_.has_recursion, 0
	.set _ZN7rocprim17ROCPRIM_400000_NS6detail17trampoline_kernelINS0_13select_configILj256ELj13ELNS0_17block_load_methodE3ELS4_3ELS4_3ELNS0_20block_scan_algorithmE0ELj4294967295EEENS1_25partition_config_selectorILNS1_17partition_subalgoE4EjNS0_10empty_typeEbEEZZNS1_14partition_implILS8_4ELb0ES6_15HIP_vector_typeIjLj2EENS0_17counting_iteratorIjlEEPS9_SG_NS0_5tupleIJPjSI_NS0_16reverse_iteratorISI_EEEEENSH_IJSG_SG_SG_EEES9_SI_JZNS1_25segmented_radix_sort_implINS0_14default_configELb0EPK12hip_bfloat16PSP_PKlPlN2at6native12_GLOBAL__N_18offset_tEEE10hipError_tPvRmT1_PNSt15iterator_traitsIS13_E10value_typeET2_T3_PNS14_IS19_E10value_typeET4_jRbjT5_S1F_jjP12ihipStream_tbEUljE_ZNSN_ISO_Lb0ESR_SS_SU_SV_SZ_EES10_S11_S12_S13_S17_S18_S19_S1C_S1D_jS1E_jS1F_S1F_jjS1H_bEUljE0_EEES10_S11_S12_S19_S1D_S1F_T6_T7_T9_mT8_S1H_bDpT10_ENKUlT_T0_E_clISt17integral_constantIbLb0EES1V_EEDaS1Q_S1R_EUlS1Q_E_NS1_11comp_targetILNS1_3genE2ELNS1_11target_archE906ELNS1_3gpuE6ELNS1_3repE0EEENS1_30default_config_static_selectorELNS0_4arch9wavefront6targetE0EEEvS13_.has_indirect_call, 0
	.section	.AMDGPU.csdata,"",@progbits
; Kernel info:
; codeLenInByte = 0
; TotalNumSgprs: 0
; NumVgprs: 0
; ScratchSize: 0
; MemoryBound: 0
; FloatMode: 240
; IeeeMode: 1
; LDSByteSize: 0 bytes/workgroup (compile time only)
; SGPRBlocks: 0
; VGPRBlocks: 0
; NumSGPRsForWavesPerEU: 1
; NumVGPRsForWavesPerEU: 1
; Occupancy: 16
; WaveLimiterHint : 0
; COMPUTE_PGM_RSRC2:SCRATCH_EN: 0
; COMPUTE_PGM_RSRC2:USER_SGPR: 2
; COMPUTE_PGM_RSRC2:TRAP_HANDLER: 0
; COMPUTE_PGM_RSRC2:TGID_X_EN: 1
; COMPUTE_PGM_RSRC2:TGID_Y_EN: 0
; COMPUTE_PGM_RSRC2:TGID_Z_EN: 0
; COMPUTE_PGM_RSRC2:TIDIG_COMP_CNT: 0
	.section	.text._ZN7rocprim17ROCPRIM_400000_NS6detail17trampoline_kernelINS0_13select_configILj256ELj13ELNS0_17block_load_methodE3ELS4_3ELS4_3ELNS0_20block_scan_algorithmE0ELj4294967295EEENS1_25partition_config_selectorILNS1_17partition_subalgoE4EjNS0_10empty_typeEbEEZZNS1_14partition_implILS8_4ELb0ES6_15HIP_vector_typeIjLj2EENS0_17counting_iteratorIjlEEPS9_SG_NS0_5tupleIJPjSI_NS0_16reverse_iteratorISI_EEEEENSH_IJSG_SG_SG_EEES9_SI_JZNS1_25segmented_radix_sort_implINS0_14default_configELb0EPK12hip_bfloat16PSP_PKlPlN2at6native12_GLOBAL__N_18offset_tEEE10hipError_tPvRmT1_PNSt15iterator_traitsIS13_E10value_typeET2_T3_PNS14_IS19_E10value_typeET4_jRbjT5_S1F_jjP12ihipStream_tbEUljE_ZNSN_ISO_Lb0ESR_SS_SU_SV_SZ_EES10_S11_S12_S13_S17_S18_S19_S1C_S1D_jS1E_jS1F_S1F_jjS1H_bEUljE0_EEES10_S11_S12_S19_S1D_S1F_T6_T7_T9_mT8_S1H_bDpT10_ENKUlT_T0_E_clISt17integral_constantIbLb0EES1V_EEDaS1Q_S1R_EUlS1Q_E_NS1_11comp_targetILNS1_3genE10ELNS1_11target_archE1200ELNS1_3gpuE4ELNS1_3repE0EEENS1_30default_config_static_selectorELNS0_4arch9wavefront6targetE0EEEvS13_,"axG",@progbits,_ZN7rocprim17ROCPRIM_400000_NS6detail17trampoline_kernelINS0_13select_configILj256ELj13ELNS0_17block_load_methodE3ELS4_3ELS4_3ELNS0_20block_scan_algorithmE0ELj4294967295EEENS1_25partition_config_selectorILNS1_17partition_subalgoE4EjNS0_10empty_typeEbEEZZNS1_14partition_implILS8_4ELb0ES6_15HIP_vector_typeIjLj2EENS0_17counting_iteratorIjlEEPS9_SG_NS0_5tupleIJPjSI_NS0_16reverse_iteratorISI_EEEEENSH_IJSG_SG_SG_EEES9_SI_JZNS1_25segmented_radix_sort_implINS0_14default_configELb0EPK12hip_bfloat16PSP_PKlPlN2at6native12_GLOBAL__N_18offset_tEEE10hipError_tPvRmT1_PNSt15iterator_traitsIS13_E10value_typeET2_T3_PNS14_IS19_E10value_typeET4_jRbjT5_S1F_jjP12ihipStream_tbEUljE_ZNSN_ISO_Lb0ESR_SS_SU_SV_SZ_EES10_S11_S12_S13_S17_S18_S19_S1C_S1D_jS1E_jS1F_S1F_jjS1H_bEUljE0_EEES10_S11_S12_S19_S1D_S1F_T6_T7_T9_mT8_S1H_bDpT10_ENKUlT_T0_E_clISt17integral_constantIbLb0EES1V_EEDaS1Q_S1R_EUlS1Q_E_NS1_11comp_targetILNS1_3genE10ELNS1_11target_archE1200ELNS1_3gpuE4ELNS1_3repE0EEENS1_30default_config_static_selectorELNS0_4arch9wavefront6targetE0EEEvS13_,comdat
	.globl	_ZN7rocprim17ROCPRIM_400000_NS6detail17trampoline_kernelINS0_13select_configILj256ELj13ELNS0_17block_load_methodE3ELS4_3ELS4_3ELNS0_20block_scan_algorithmE0ELj4294967295EEENS1_25partition_config_selectorILNS1_17partition_subalgoE4EjNS0_10empty_typeEbEEZZNS1_14partition_implILS8_4ELb0ES6_15HIP_vector_typeIjLj2EENS0_17counting_iteratorIjlEEPS9_SG_NS0_5tupleIJPjSI_NS0_16reverse_iteratorISI_EEEEENSH_IJSG_SG_SG_EEES9_SI_JZNS1_25segmented_radix_sort_implINS0_14default_configELb0EPK12hip_bfloat16PSP_PKlPlN2at6native12_GLOBAL__N_18offset_tEEE10hipError_tPvRmT1_PNSt15iterator_traitsIS13_E10value_typeET2_T3_PNS14_IS19_E10value_typeET4_jRbjT5_S1F_jjP12ihipStream_tbEUljE_ZNSN_ISO_Lb0ESR_SS_SU_SV_SZ_EES10_S11_S12_S13_S17_S18_S19_S1C_S1D_jS1E_jS1F_S1F_jjS1H_bEUljE0_EEES10_S11_S12_S19_S1D_S1F_T6_T7_T9_mT8_S1H_bDpT10_ENKUlT_T0_E_clISt17integral_constantIbLb0EES1V_EEDaS1Q_S1R_EUlS1Q_E_NS1_11comp_targetILNS1_3genE10ELNS1_11target_archE1200ELNS1_3gpuE4ELNS1_3repE0EEENS1_30default_config_static_selectorELNS0_4arch9wavefront6targetE0EEEvS13_ ; -- Begin function _ZN7rocprim17ROCPRIM_400000_NS6detail17trampoline_kernelINS0_13select_configILj256ELj13ELNS0_17block_load_methodE3ELS4_3ELS4_3ELNS0_20block_scan_algorithmE0ELj4294967295EEENS1_25partition_config_selectorILNS1_17partition_subalgoE4EjNS0_10empty_typeEbEEZZNS1_14partition_implILS8_4ELb0ES6_15HIP_vector_typeIjLj2EENS0_17counting_iteratorIjlEEPS9_SG_NS0_5tupleIJPjSI_NS0_16reverse_iteratorISI_EEEEENSH_IJSG_SG_SG_EEES9_SI_JZNS1_25segmented_radix_sort_implINS0_14default_configELb0EPK12hip_bfloat16PSP_PKlPlN2at6native12_GLOBAL__N_18offset_tEEE10hipError_tPvRmT1_PNSt15iterator_traitsIS13_E10value_typeET2_T3_PNS14_IS19_E10value_typeET4_jRbjT5_S1F_jjP12ihipStream_tbEUljE_ZNSN_ISO_Lb0ESR_SS_SU_SV_SZ_EES10_S11_S12_S13_S17_S18_S19_S1C_S1D_jS1E_jS1F_S1F_jjS1H_bEUljE0_EEES10_S11_S12_S19_S1D_S1F_T6_T7_T9_mT8_S1H_bDpT10_ENKUlT_T0_E_clISt17integral_constantIbLb0EES1V_EEDaS1Q_S1R_EUlS1Q_E_NS1_11comp_targetILNS1_3genE10ELNS1_11target_archE1200ELNS1_3gpuE4ELNS1_3repE0EEENS1_30default_config_static_selectorELNS0_4arch9wavefront6targetE0EEEvS13_
	.p2align	8
	.type	_ZN7rocprim17ROCPRIM_400000_NS6detail17trampoline_kernelINS0_13select_configILj256ELj13ELNS0_17block_load_methodE3ELS4_3ELS4_3ELNS0_20block_scan_algorithmE0ELj4294967295EEENS1_25partition_config_selectorILNS1_17partition_subalgoE4EjNS0_10empty_typeEbEEZZNS1_14partition_implILS8_4ELb0ES6_15HIP_vector_typeIjLj2EENS0_17counting_iteratorIjlEEPS9_SG_NS0_5tupleIJPjSI_NS0_16reverse_iteratorISI_EEEEENSH_IJSG_SG_SG_EEES9_SI_JZNS1_25segmented_radix_sort_implINS0_14default_configELb0EPK12hip_bfloat16PSP_PKlPlN2at6native12_GLOBAL__N_18offset_tEEE10hipError_tPvRmT1_PNSt15iterator_traitsIS13_E10value_typeET2_T3_PNS14_IS19_E10value_typeET4_jRbjT5_S1F_jjP12ihipStream_tbEUljE_ZNSN_ISO_Lb0ESR_SS_SU_SV_SZ_EES10_S11_S12_S13_S17_S18_S19_S1C_S1D_jS1E_jS1F_S1F_jjS1H_bEUljE0_EEES10_S11_S12_S19_S1D_S1F_T6_T7_T9_mT8_S1H_bDpT10_ENKUlT_T0_E_clISt17integral_constantIbLb0EES1V_EEDaS1Q_S1R_EUlS1Q_E_NS1_11comp_targetILNS1_3genE10ELNS1_11target_archE1200ELNS1_3gpuE4ELNS1_3repE0EEENS1_30default_config_static_selectorELNS0_4arch9wavefront6targetE0EEEvS13_,@function
_ZN7rocprim17ROCPRIM_400000_NS6detail17trampoline_kernelINS0_13select_configILj256ELj13ELNS0_17block_load_methodE3ELS4_3ELS4_3ELNS0_20block_scan_algorithmE0ELj4294967295EEENS1_25partition_config_selectorILNS1_17partition_subalgoE4EjNS0_10empty_typeEbEEZZNS1_14partition_implILS8_4ELb0ES6_15HIP_vector_typeIjLj2EENS0_17counting_iteratorIjlEEPS9_SG_NS0_5tupleIJPjSI_NS0_16reverse_iteratorISI_EEEEENSH_IJSG_SG_SG_EEES9_SI_JZNS1_25segmented_radix_sort_implINS0_14default_configELb0EPK12hip_bfloat16PSP_PKlPlN2at6native12_GLOBAL__N_18offset_tEEE10hipError_tPvRmT1_PNSt15iterator_traitsIS13_E10value_typeET2_T3_PNS14_IS19_E10value_typeET4_jRbjT5_S1F_jjP12ihipStream_tbEUljE_ZNSN_ISO_Lb0ESR_SS_SU_SV_SZ_EES10_S11_S12_S13_S17_S18_S19_S1C_S1D_jS1E_jS1F_S1F_jjS1H_bEUljE0_EEES10_S11_S12_S19_S1D_S1F_T6_T7_T9_mT8_S1H_bDpT10_ENKUlT_T0_E_clISt17integral_constantIbLb0EES1V_EEDaS1Q_S1R_EUlS1Q_E_NS1_11comp_targetILNS1_3genE10ELNS1_11target_archE1200ELNS1_3gpuE4ELNS1_3repE0EEENS1_30default_config_static_selectorELNS0_4arch9wavefront6targetE0EEEvS13_: ; @_ZN7rocprim17ROCPRIM_400000_NS6detail17trampoline_kernelINS0_13select_configILj256ELj13ELNS0_17block_load_methodE3ELS4_3ELS4_3ELNS0_20block_scan_algorithmE0ELj4294967295EEENS1_25partition_config_selectorILNS1_17partition_subalgoE4EjNS0_10empty_typeEbEEZZNS1_14partition_implILS8_4ELb0ES6_15HIP_vector_typeIjLj2EENS0_17counting_iteratorIjlEEPS9_SG_NS0_5tupleIJPjSI_NS0_16reverse_iteratorISI_EEEEENSH_IJSG_SG_SG_EEES9_SI_JZNS1_25segmented_radix_sort_implINS0_14default_configELb0EPK12hip_bfloat16PSP_PKlPlN2at6native12_GLOBAL__N_18offset_tEEE10hipError_tPvRmT1_PNSt15iterator_traitsIS13_E10value_typeET2_T3_PNS14_IS19_E10value_typeET4_jRbjT5_S1F_jjP12ihipStream_tbEUljE_ZNSN_ISO_Lb0ESR_SS_SU_SV_SZ_EES10_S11_S12_S13_S17_S18_S19_S1C_S1D_jS1E_jS1F_S1F_jjS1H_bEUljE0_EEES10_S11_S12_S19_S1D_S1F_T6_T7_T9_mT8_S1H_bDpT10_ENKUlT_T0_E_clISt17integral_constantIbLb0EES1V_EEDaS1Q_S1R_EUlS1Q_E_NS1_11comp_targetILNS1_3genE10ELNS1_11target_archE1200ELNS1_3gpuE4ELNS1_3repE0EEENS1_30default_config_static_selectorELNS0_4arch9wavefront6targetE0EEEvS13_
; %bb.0:
	s_clause 0x6
	s_load_b32 s6, s[0:1], 0x80
	s_load_b128 s[24:27], s[0:1], 0x58
	s_load_b64 s[34:35], s[0:1], 0x10
	s_load_b64 s[2:3], s[0:1], 0x68
	s_load_b32 s7, s[0:1], 0x8
	s_load_b64 s[42:43], s[0:1], 0xa8
	s_load_b256 s[16:23], s[0:1], 0x88
	s_mov_b32 s5, 0
	s_mul_i32 s40, ttmp9, 0xd00
	s_wait_kmcnt 0x0
	s_mul_i32 s4, s6, 0xd00
	s_load_b128 s[28:31], s[26:27], 0x0
	s_add_co_i32 s8, s4, s34
	s_add_co_i32 s6, s6, -1
	s_sub_co_i32 s33, s2, s8
	s_add_nc_u64 s[4:5], s[34:35], s[4:5]
	s_addk_co_i32 s33, 0xd00
	s_cmp_eq_u32 ttmp9, s6
	v_cmp_gt_u64_e64 s2, s[2:3], s[4:5]
	s_cselect_b32 s15, -1, 0
	s_cmp_lg_u32 ttmp9, s6
	s_mov_b32 s5, -1
	s_cselect_b32 s3, -1, 0
	s_add_co_i32 s4, s7, s40
	s_wait_alu 0xfffe
	s_or_b32 s3, s3, s2
	s_add_co_i32 s4, s4, s34
	s_wait_alu 0xfffe
	s_and_b32 vcc_lo, exec_lo, s3
	v_add_nc_u32_e32 v1, s4, v0
	s_cbranch_vccz .LBB1990_2
; %bb.1:
	s_delay_alu instid0(VALU_DEP_1)
	v_add_nc_u32_e32 v2, 0x100, v1
	v_lshlrev_b32_e32 v10, 2, v0
	v_add_nc_u32_e32 v3, 0x200, v1
	v_add_nc_u32_e32 v4, 0x300, v1
	;; [unrolled: 1-line block ×11, first 2 shown]
	ds_store_2addr_stride64_b32 v10, v1, v2 offset1:4
	ds_store_2addr_stride64_b32 v10, v3, v4 offset0:8 offset1:12
	ds_store_2addr_stride64_b32 v10, v5, v6 offset0:16 offset1:20
	;; [unrolled: 1-line block ×5, first 2 shown]
	ds_store_b32 v10, v14 offset:12288
	s_wait_dscnt 0x0
	s_barrier_signal -1
	s_mov_b32 s5, 0
	s_barrier_wait -1
.LBB1990_2:
	v_cmp_gt_u32_e64 s2, s33, v0
	v_or_b32_e32 v38, 0x100, v0
	v_or_b32_e32 v37, 0x200, v0
	;; [unrolled: 1-line block ×12, first 2 shown]
	s_wait_alu 0xfffe
	s_and_not1_b32 vcc_lo, exec_lo, s5
	s_cbranch_vccnz .LBB1990_4
; %bb.3:
	v_cmp_gt_u32_e32 vcc_lo, s33, v38
	v_add_nc_u32_e32 v3, s4, v37
	v_add_nc_u32_e32 v2, s4, v38
	v_cndmask_b32_e64 v1, 0, v1, s2
	v_lshlrev_b32_e32 v14, 2, v0
	s_delay_alu instid0(VALU_DEP_3)
	v_cndmask_b32_e32 v2, 0, v2, vcc_lo
	v_cmp_gt_u32_e32 vcc_lo, s33, v37
	s_wait_alu 0xfffd
	v_cndmask_b32_e32 v3, 0, v3, vcc_lo
	v_cmp_gt_u32_e32 vcc_lo, s33, v36
	v_add_nc_u32_e32 v5, s4, v35
	v_add_nc_u32_e32 v4, s4, v36
	s_wait_alu 0xfffd
	s_delay_alu instid0(VALU_DEP_1)
	v_cndmask_b32_e32 v4, 0, v4, vcc_lo
	v_cmp_gt_u32_e32 vcc_lo, s33, v35
	s_wait_alu 0xfffd
	v_cndmask_b32_e32 v5, 0, v5, vcc_lo
	v_cmp_gt_u32_e32 vcc_lo, s33, v34
	v_add_nc_u32_e32 v7, s4, v33
	v_add_nc_u32_e32 v6, s4, v34
	s_wait_alu 0xfffd
	s_delay_alu instid0(VALU_DEP_1)
	v_cndmask_b32_e32 v6, 0, v6, vcc_lo
	v_cmp_gt_u32_e32 vcc_lo, s33, v33
	s_wait_alu 0xfffd
	v_cndmask_b32_e32 v7, 0, v7, vcc_lo
	v_cmp_gt_u32_e32 vcc_lo, s33, v32
	v_add_nc_u32_e32 v9, s4, v31
	v_add_nc_u32_e32 v8, s4, v32
	s_wait_alu 0xfffd
	s_delay_alu instid0(VALU_DEP_1)
	v_cndmask_b32_e32 v8, 0, v8, vcc_lo
	v_cmp_gt_u32_e32 vcc_lo, s33, v31
	s_wait_alu 0xfffd
	v_cndmask_b32_e32 v9, 0, v9, vcc_lo
	v_cmp_gt_u32_e32 vcc_lo, s33, v30
	v_add_nc_u32_e32 v11, s4, v29
	v_add_nc_u32_e32 v10, s4, v30
	s_wait_alu 0xfffd
	s_delay_alu instid0(VALU_DEP_1)
	v_cndmask_b32_e32 v10, 0, v10, vcc_lo
	v_cmp_gt_u32_e32 vcc_lo, s33, v29
	s_wait_alu 0xfffd
	v_cndmask_b32_e32 v11, 0, v11, vcc_lo
	v_cmp_gt_u32_e32 vcc_lo, s33, v28
	v_add_nc_u32_e32 v13, s4, v27
	v_add_nc_u32_e32 v12, s4, v28
	s_wait_alu 0xfffd
	s_delay_alu instid0(VALU_DEP_1)
	v_cndmask_b32_e32 v12, 0, v12, vcc_lo
	v_cmp_gt_u32_e32 vcc_lo, s33, v27
	s_wait_alu 0xfffd
	v_cndmask_b32_e32 v13, 0, v13, vcc_lo
	ds_store_2addr_stride64_b32 v14, v1, v2 offset1:4
	ds_store_2addr_stride64_b32 v14, v3, v4 offset0:8 offset1:12
	ds_store_2addr_stride64_b32 v14, v5, v6 offset0:16 offset1:20
	;; [unrolled: 1-line block ×5, first 2 shown]
	ds_store_b32 v14, v13 offset:12288
	s_wait_dscnt 0x0
	s_barrier_signal -1
	s_barrier_wait -1
.LBB1990_4:
	v_mul_u32_u24_e32 v41, 13, v0
	s_clause 0x1
	s_load_b128 s[36:39], s[0:1], 0x28
	s_load_b64 s[26:27], s[0:1], 0x38
	global_inv scope:SCOPE_SE
	v_cndmask_b32_e64 v39, 0, 1, s3
	s_and_not1_b32 vcc_lo, exec_lo, s3
	v_lshlrev_b32_e32 v1, 2, v41
	ds_load_2addr_b32 v[19:20], v1 offset1:1
	ds_load_2addr_b32 v[17:18], v1 offset0:2 offset1:3
	ds_load_2addr_b32 v[15:16], v1 offset0:4 offset1:5
	;; [unrolled: 1-line block ×5, first 2 shown]
	ds_load_b32 v40, v1 offset:48
	s_wait_loadcnt_dscnt 0x0
	s_barrier_signal -1
	s_barrier_wait -1
	global_inv scope:SCOPE_SE
	s_wait_alu 0xfffe
	s_cbranch_vccnz .LBB1990_32
; %bb.5:
	v_add_nc_u32_e32 v1, s17, v19
	v_add_nc_u32_e32 v2, s19, v19
	s_mov_b32 s44, 0
	s_mov_b32 s41, 0
	s_mov_b32 s3, exec_lo
	v_mul_lo_u32 v1, v1, s16
	v_mul_lo_u32 v2, v2, s18
	s_delay_alu instid0(VALU_DEP_1) | instskip(NEXT) | instid1(VALU_DEP_1)
	v_sub_nc_u32_e32 v1, v1, v2
	v_cmp_lt_u32_e32 vcc_lo, s20, v1
	v_cmpx_ge_u32_e64 s20, v1
	s_cbranch_execz .LBB1990_7
; %bb.6:
	v_add_nc_u32_e32 v1, s22, v19
	v_add_nc_u32_e32 v2, s42, v19
	s_delay_alu instid0(VALU_DEP_2) | instskip(NEXT) | instid1(VALU_DEP_2)
	v_mul_lo_u32 v1, v1, s21
	v_mul_lo_u32 v2, v2, s23
	s_delay_alu instid0(VALU_DEP_1) | instskip(NEXT) | instid1(VALU_DEP_1)
	v_sub_nc_u32_e32 v1, v1, v2
	v_cmp_lt_u32_e64 s2, s43, v1
	s_and_b32 s41, s2, exec_lo
.LBB1990_7:
	s_wait_alu 0xfffe
	s_or_b32 exec_lo, exec_lo, s3
	v_add_nc_u32_e32 v1, s17, v20
	v_add_nc_u32_e32 v2, s19, v20
	s_mov_b32 s4, exec_lo
	s_delay_alu instid0(VALU_DEP_2) | instskip(NEXT) | instid1(VALU_DEP_2)
	v_mul_lo_u32 v1, v1, s16
	v_mul_lo_u32 v2, v2, s18
	s_delay_alu instid0(VALU_DEP_1) | instskip(NEXT) | instid1(VALU_DEP_1)
	v_sub_nc_u32_e32 v1, v1, v2
	v_cmp_lt_u32_e64 s2, s20, v1
	v_cmpx_ge_u32_e64 s20, v1
	s_cbranch_execz .LBB1990_9
; %bb.8:
	v_add_nc_u32_e32 v1, s22, v20
	v_add_nc_u32_e32 v2, s42, v20
	s_delay_alu instid0(VALU_DEP_2) | instskip(NEXT) | instid1(VALU_DEP_2)
	v_mul_lo_u32 v1, v1, s21
	v_mul_lo_u32 v2, v2, s23
	s_delay_alu instid0(VALU_DEP_1) | instskip(NEXT) | instid1(VALU_DEP_1)
	v_sub_nc_u32_e32 v1, v1, v2
	v_cmp_lt_u32_e64 s3, s43, v1
	s_and_b32 s44, s3, exec_lo
.LBB1990_9:
	s_wait_alu 0xfffe
	s_or_b32 exec_lo, exec_lo, s4
	v_add_nc_u32_e32 v1, s17, v17
	v_add_nc_u32_e32 v2, s19, v17
	s_mov_b32 s46, 0
	s_mov_b32 s45, 0
	s_mov_b32 s5, exec_lo
	v_mul_lo_u32 v1, v1, s16
	v_mul_lo_u32 v2, v2, s18
	s_delay_alu instid0(VALU_DEP_1) | instskip(NEXT) | instid1(VALU_DEP_1)
	v_sub_nc_u32_e32 v1, v1, v2
	v_cmp_lt_u32_e64 s3, s20, v1
	v_cmpx_ge_u32_e64 s20, v1
	s_cbranch_execz .LBB1990_11
; %bb.10:
	v_add_nc_u32_e32 v1, s22, v17
	v_add_nc_u32_e32 v2, s42, v17
	s_delay_alu instid0(VALU_DEP_2) | instskip(NEXT) | instid1(VALU_DEP_2)
	v_mul_lo_u32 v1, v1, s21
	v_mul_lo_u32 v2, v2, s23
	s_delay_alu instid0(VALU_DEP_1) | instskip(NEXT) | instid1(VALU_DEP_1)
	v_sub_nc_u32_e32 v1, v1, v2
	v_cmp_lt_u32_e64 s4, s43, v1
	s_and_b32 s45, s4, exec_lo
.LBB1990_11:
	s_wait_alu 0xfffe
	s_or_b32 exec_lo, exec_lo, s5
	v_add_nc_u32_e32 v1, s17, v18
	v_add_nc_u32_e32 v2, s19, v18
	s_mov_b32 s6, exec_lo
	s_delay_alu instid0(VALU_DEP_2) | instskip(NEXT) | instid1(VALU_DEP_2)
	v_mul_lo_u32 v1, v1, s16
	v_mul_lo_u32 v2, v2, s18
	s_delay_alu instid0(VALU_DEP_1) | instskip(NEXT) | instid1(VALU_DEP_1)
	v_sub_nc_u32_e32 v1, v1, v2
	v_cmp_lt_u32_e64 s4, s20, v1
	v_cmpx_ge_u32_e64 s20, v1
	s_cbranch_execz .LBB1990_13
; %bb.12:
	v_add_nc_u32_e32 v1, s22, v18
	v_add_nc_u32_e32 v2, s42, v18
	s_delay_alu instid0(VALU_DEP_2) | instskip(NEXT) | instid1(VALU_DEP_2)
	v_mul_lo_u32 v1, v1, s21
	v_mul_lo_u32 v2, v2, s23
	s_delay_alu instid0(VALU_DEP_1) | instskip(NEXT) | instid1(VALU_DEP_1)
	v_sub_nc_u32_e32 v1, v1, v2
	v_cmp_lt_u32_e64 s5, s43, v1
	s_and_b32 s46, s5, exec_lo
.LBB1990_13:
	s_or_b32 exec_lo, exec_lo, s6
	v_add_nc_u32_e32 v1, s17, v15
	v_add_nc_u32_e32 v2, s19, v15
	s_mov_b32 s48, 0
	s_mov_b32 s47, 0
	s_mov_b32 s7, exec_lo
	v_mul_lo_u32 v1, v1, s16
	v_mul_lo_u32 v2, v2, s18
	s_delay_alu instid0(VALU_DEP_1) | instskip(NEXT) | instid1(VALU_DEP_1)
	v_sub_nc_u32_e32 v1, v1, v2
	v_cmp_lt_u32_e64 s5, s20, v1
	v_cmpx_ge_u32_e64 s20, v1
	s_cbranch_execz .LBB1990_15
; %bb.14:
	v_add_nc_u32_e32 v1, s22, v15
	v_add_nc_u32_e32 v2, s42, v15
	s_delay_alu instid0(VALU_DEP_2) | instskip(NEXT) | instid1(VALU_DEP_2)
	v_mul_lo_u32 v1, v1, s21
	v_mul_lo_u32 v2, v2, s23
	s_delay_alu instid0(VALU_DEP_1) | instskip(NEXT) | instid1(VALU_DEP_1)
	v_sub_nc_u32_e32 v1, v1, v2
	v_cmp_lt_u32_e64 s6, s43, v1
	s_and_b32 s47, s6, exec_lo
.LBB1990_15:
	s_or_b32 exec_lo, exec_lo, s7
	v_add_nc_u32_e32 v1, s17, v16
	v_add_nc_u32_e32 v2, s19, v16
	s_mov_b32 s8, exec_lo
	s_delay_alu instid0(VALU_DEP_2) | instskip(NEXT) | instid1(VALU_DEP_2)
	v_mul_lo_u32 v1, v1, s16
	v_mul_lo_u32 v2, v2, s18
	s_delay_alu instid0(VALU_DEP_1) | instskip(NEXT) | instid1(VALU_DEP_1)
	v_sub_nc_u32_e32 v1, v1, v2
	v_cmp_lt_u32_e64 s6, s20, v1
	v_cmpx_ge_u32_e64 s20, v1
	s_cbranch_execz .LBB1990_17
; %bb.16:
	v_add_nc_u32_e32 v1, s22, v16
	v_add_nc_u32_e32 v2, s42, v16
	s_delay_alu instid0(VALU_DEP_2) | instskip(NEXT) | instid1(VALU_DEP_2)
	v_mul_lo_u32 v1, v1, s21
	v_mul_lo_u32 v2, v2, s23
	s_delay_alu instid0(VALU_DEP_1) | instskip(NEXT) | instid1(VALU_DEP_1)
	v_sub_nc_u32_e32 v1, v1, v2
	v_cmp_lt_u32_e64 s7, s43, v1
	s_and_b32 s48, s7, exec_lo
.LBB1990_17:
	s_or_b32 exec_lo, exec_lo, s8
	v_add_nc_u32_e32 v1, s17, v13
	v_add_nc_u32_e32 v2, s19, v13
	s_mov_b32 s50, 0
	s_mov_b32 s49, 0
	s_mov_b32 s9, exec_lo
	v_mul_lo_u32 v1, v1, s16
	v_mul_lo_u32 v2, v2, s18
	s_delay_alu instid0(VALU_DEP_1) | instskip(NEXT) | instid1(VALU_DEP_1)
	v_sub_nc_u32_e32 v1, v1, v2
	v_cmp_lt_u32_e64 s7, s20, v1
	v_cmpx_ge_u32_e64 s20, v1
	s_cbranch_execz .LBB1990_19
; %bb.18:
	v_add_nc_u32_e32 v1, s22, v13
	v_add_nc_u32_e32 v2, s42, v13
	s_delay_alu instid0(VALU_DEP_2) | instskip(NEXT) | instid1(VALU_DEP_2)
	v_mul_lo_u32 v1, v1, s21
	v_mul_lo_u32 v2, v2, s23
	s_delay_alu instid0(VALU_DEP_1) | instskip(NEXT) | instid1(VALU_DEP_1)
	v_sub_nc_u32_e32 v1, v1, v2
	v_cmp_lt_u32_e64 s8, s43, v1
	s_and_b32 s49, s8, exec_lo
.LBB1990_19:
	;; [unrolled: 47-line block ×5, first 2 shown]
	s_or_b32 exec_lo, exec_lo, s57
	v_cndmask_b32_e64 v2, 0, 1, s2
	s_wait_alu 0xf1ff
	v_cndmask_b32_e64 v4, 0, 1, s4
	s_wait_alu 0xfffd
	v_cndmask_b32_e64 v1, 0, 1, vcc_lo
	v_cndmask_b32_e64 v3, 0, 1, s3
	v_cndmask_b32_e64 v6, 0, 1, s6
	v_lshlrev_b16 v2, 8, v2
	v_lshlrev_b16 v4, 8, v4
	v_cndmask_b32_e64 v8, 0, 1, s8
	v_cndmask_b32_e64 v22, 0, 1, s10
	;; [unrolled: 1-line block ×3, first 2 shown]
	v_or_b32_e32 v1, v1, v2
	v_or_b32_e32 v2, v3, v4
	v_cndmask_b32_e64 v51, 0, 1, s41
	v_cndmask_b32_e64 v5, 0, 1, s5
	;; [unrolled: 1-line block ×3, first 2 shown]
	v_and_b32_e32 v1, 0xffff, v1
	v_lshlrev_b32_e32 v2, 16, v2
	v_cndmask_b32_e64 v21, 0, 1, s9
	v_cndmask_b32_e64 v23, 0, 1, s11
	;; [unrolled: 1-line block ×8, first 2 shown]
	v_or_b32_e32 v42, v1, v2
	v_lshlrev_b16 v1, 8, v6
	v_lshlrev_b16 v2, 8, v8
	v_lshlrev_b16 v6, 8, v22
	v_lshlrev_b16 v8, 8, v25
	v_lshlrev_b16 v22, 8, v51
	v_cndmask_b32_e64 v26, 0, 1, s53
	v_cndmask_b32_e64 v44, 0, 1, s50
	;; [unrolled: 1-line block ×5, first 2 shown]
	v_or_b32_e32 v1, v5, v1
	v_or_b32_e32 v2, v7, v2
	;; [unrolled: 1-line block ×5, first 2 shown]
	v_lshlrev_b16 v4, 8, v4
	v_lshlrev_b16 v8, 8, v49
	;; [unrolled: 1-line block ×5, first 2 shown]
	v_or_b32_e32 v4, v50, v4
	v_or_b32_e32 v3, v3, v8
	;; [unrolled: 1-line block ×5, first 2 shown]
	v_and_b32_e32 v1, 0xffff, v1
	v_lshlrev_b32_e32 v2, 16, v2
	v_and_b32_e32 v5, 0xffff, v5
	v_lshlrev_b32_e32 v6, 16, v6
	;; [unrolled: 2-line block ×5, first 2 shown]
	v_cndmask_b32_e64 v45, 0, 1, s54
	v_cndmask_b32_e64 v48, 0, 1, s56
	v_or_b32_e32 v44, v1, v2
	v_or_b32_e32 v47, v5, v6
	v_or_b32_e32 v49, v7, v4
	v_or_b32_e32 v43, v3, v8
	v_or_b32_e32 v46, v21, v22
	s_load_b64 s[4:5], s[0:1], 0x78
	s_and_b32 vcc_lo, exec_lo, s51
	s_wait_alu 0xfffe
	s_cbranch_vccnz .LBB1990_33
	s_branch .LBB1990_110
.LBB1990_32:
                                        ; implicit-def: $vgpr48
                                        ; implicit-def: $vgpr45
                                        ; implicit-def: $vgpr46
                                        ; implicit-def: $vgpr43
                                        ; implicit-def: $vgpr49
                                        ; implicit-def: $vgpr47
                                        ; implicit-def: $vgpr44
                                        ; implicit-def: $vgpr42
	s_load_b64 s[4:5], s[0:1], 0x78
	s_cbranch_execz .LBB1990_110
.LBB1990_33:
	v_dual_mov_b32 v2, 0 :: v_dual_mov_b32 v1, 0
	s_mov_b32 s1, exec_lo
	v_cmpx_gt_u32_e64 s33, v41
	s_cbranch_execz .LBB1990_37
; %bb.34:
	v_add_nc_u32_e32 v1, s17, v19
	v_add_nc_u32_e32 v2, s19, v19
	s_mov_b32 s3, 0
	s_mov_b32 s2, exec_lo
	s_delay_alu instid0(VALU_DEP_2) | instskip(NEXT) | instid1(VALU_DEP_2)
	v_mul_lo_u32 v1, v1, s16
	v_mul_lo_u32 v2, v2, s18
	s_delay_alu instid0(VALU_DEP_1) | instskip(NEXT) | instid1(VALU_DEP_1)
	v_sub_nc_u32_e32 v1, v1, v2
	v_cmp_lt_u32_e32 vcc_lo, s20, v1
	v_cmpx_ge_u32_e64 s20, v1
	s_cbranch_execz .LBB1990_36
; %bb.35:
	v_add_nc_u32_e32 v1, s22, v19
	v_add_nc_u32_e32 v2, s42, v19
	s_delay_alu instid0(VALU_DEP_2) | instskip(NEXT) | instid1(VALU_DEP_2)
	v_mul_lo_u32 v1, v1, s21
	v_mul_lo_u32 v2, v2, s23
	s_delay_alu instid0(VALU_DEP_1) | instskip(NEXT) | instid1(VALU_DEP_1)
	v_sub_nc_u32_e32 v1, v1, v2
	v_cmp_lt_u32_e64 s0, s43, v1
	s_and_b32 s3, s0, exec_lo
.LBB1990_36:
	s_wait_alu 0xfffe
	s_or_b32 exec_lo, exec_lo, s2
	v_cndmask_b32_e64 v2, 0, 1, s3
	s_wait_alu 0xfffd
	v_cndmask_b32_e64 v1, 0, 1, vcc_lo
.LBB1990_37:
	s_or_b32 exec_lo, exec_lo, s1
	s_delay_alu instid0(VALU_DEP_2) | instskip(SKIP_1) | instid1(VALU_DEP_3)
	v_lshlrev_b16 v2, 8, v2
	v_add_nc_u32_e32 v3, 1, v41
	v_and_b32_e32 v6, 0xff, v1
	v_lshlrev_b16 v1, 8, 0
                                        ; implicit-def: $vgpr5
                                        ; implicit-def: $vgpr8
                                        ; implicit-def: $vgpr4
	s_delay_alu instid0(VALU_DEP_4) | instskip(NEXT) | instid1(VALU_DEP_4)
	v_and_b32_e32 v2, 0xffff, v2
	v_cmp_le_u32_e32 vcc_lo, s33, v3
                                        ; implicit-def: $vgpr3
	s_delay_alu instid0(VALU_DEP_2) | instskip(SKIP_2) | instid1(SALU_CYCLE_1)
	v_lshrrev_b32_e32 v21, 8, v2
	v_and_b32_e32 v7, 0xff, v2
                                        ; implicit-def: $vgpr2
	s_and_saveexec_b32 s0, vcc_lo
	s_xor_b32 s0, exec_lo, s0
	s_cbranch_execz .LBB1990_39
; %bb.38:
	v_lshlrev_b16 v2, 8, v21
	v_and_b32_e32 v4, 0xffff, v1
                                        ; implicit-def: $vgpr21
	v_mov_b32_e32 v5, 0
	s_delay_alu instid0(VALU_DEP_3) | instskip(SKIP_1) | instid1(VALU_DEP_2)
	v_or_b32_e32 v3, v7, v2
	v_mov_b32_e32 v2, 0
                                        ; implicit-def: $vgpr7
	v_and_b32_e32 v8, 0xffff, v3
	v_and_b32_e32 v3, 0xffff, v1
                                        ; implicit-def: $vgpr1
.LBB1990_39:
	s_and_not1_saveexec_b32 s1, s0
	s_cbranch_execz .LBB1990_43
; %bb.40:
	v_add_nc_u32_e32 v2, s17, v20
	v_add_nc_u32_e32 v3, s19, v20
	s_mov_b32 s2, 0
	s_mov_b32 s3, exec_lo
	s_delay_alu instid0(VALU_DEP_2) | instskip(NEXT) | instid1(VALU_DEP_2)
	v_mul_lo_u32 v2, v2, s16
	v_mul_lo_u32 v3, v3, s18
	s_delay_alu instid0(VALU_DEP_1) | instskip(NEXT) | instid1(VALU_DEP_1)
	v_sub_nc_u32_e32 v2, v2, v3
	v_cmp_lt_u32_e32 vcc_lo, s20, v2
	v_cmpx_ge_u32_e64 s20, v2
	s_cbranch_execz .LBB1990_42
; %bb.41:
	v_add_nc_u32_e32 v2, s22, v20
	v_add_nc_u32_e32 v3, s42, v20
	s_delay_alu instid0(VALU_DEP_2) | instskip(NEXT) | instid1(VALU_DEP_2)
	v_mul_lo_u32 v2, v2, s21
	v_mul_lo_u32 v3, v3, s23
	s_delay_alu instid0(VALU_DEP_1) | instskip(NEXT) | instid1(VALU_DEP_1)
	v_sub_nc_u32_e32 v2, v2, v3
	v_cmp_lt_u32_e64 s0, s43, v2
	s_and_b32 s2, s0, exec_lo
.LBB1990_42:
	s_wait_alu 0xfffe
	s_or_b32 exec_lo, exec_lo, s3
	s_wait_alu 0xfffd
	v_cndmask_b32_e64 v2, 0, 1, vcc_lo
	v_lshlrev_b16 v3, 8, v21
	v_dual_mov_b32 v5, 0 :: v_dual_and_b32 v4, 0xffff, v1
	s_delay_alu instid0(VALU_DEP_3) | instskip(NEXT) | instid1(VALU_DEP_3)
	v_lshlrev_b16 v2, 8, v2
	v_or_b32_e32 v3, v7, v3
	v_cndmask_b32_e64 v7, 0, 1, s2
	s_delay_alu instid0(VALU_DEP_3) | instskip(NEXT) | instid1(VALU_DEP_3)
	v_or_b32_e32 v6, v6, v2
	v_dual_mov_b32 v2, 0 :: v_dual_and_b32 v3, 0xffff, v3
	s_delay_alu instid0(VALU_DEP_2) | instskip(NEXT) | instid1(VALU_DEP_2)
	v_and_b32_e32 v6, 0xffff, v6
	v_lshl_or_b32 v8, v7, 16, v3
	v_and_b32_e32 v3, 0xffff, v1
.LBB1990_43:
	s_or_b32 exec_lo, exec_lo, s1
	v_add_nc_u32_e32 v1, 2, v41
	v_and_b32_e32 v21, 0xff, v6
	v_lshrrev_b32_e32 v22, 8, v6
                                        ; implicit-def: $vgpr7
	s_delay_alu instid0(VALU_DEP_3) | instskip(SKIP_1) | instid1(SALU_CYCLE_1)
	v_cmp_le_u32_e32 vcc_lo, s33, v1
                                        ; implicit-def: $vgpr1
	s_and_saveexec_b32 s0, vcc_lo
	s_xor_b32 s0, exec_lo, s0
	s_cbranch_execz .LBB1990_45
; %bb.44:
	v_lshlrev_b16 v1, 8, v22
	v_perm_b32 v4, v4, v4, 0x3060504
                                        ; implicit-def: $vgpr22
	s_delay_alu instid0(VALU_DEP_2) | instskip(SKIP_1) | instid1(VALU_DEP_2)
	v_or_b32_e32 v1, v21, v1
	v_and_b32_e32 v21, 0xff0000, v8
	v_and_b32_e32 v1, 0xffff, v1
	s_delay_alu instid0(VALU_DEP_1) | instskip(NEXT) | instid1(VALU_DEP_3)
	v_and_or_b32 v7, 0xff000000, v6, v1
	v_perm_b32 v1, v8, v21, 0x3020504
                                        ; implicit-def: $vgpr21
                                        ; implicit-def: $vgpr6
                                        ; implicit-def: $vgpr8
.LBB1990_45:
	s_and_not1_saveexec_b32 s1, s0
	s_cbranch_execz .LBB1990_49
; %bb.46:
	v_add_nc_u32_e32 v1, s17, v17
	v_add_nc_u32_e32 v7, s19, v17
	s_mov_b32 s2, 0
	s_mov_b32 s3, exec_lo
	s_delay_alu instid0(VALU_DEP_2) | instskip(NEXT) | instid1(VALU_DEP_2)
	v_mul_lo_u32 v1, v1, s16
	v_mul_lo_u32 v7, v7, s18
	s_delay_alu instid0(VALU_DEP_1) | instskip(NEXT) | instid1(VALU_DEP_1)
	v_sub_nc_u32_e32 v1, v1, v7
	v_cmp_lt_u32_e32 vcc_lo, s20, v1
	v_cmpx_ge_u32_e64 s20, v1
	s_cbranch_execz .LBB1990_48
; %bb.47:
	v_add_nc_u32_e32 v1, s22, v17
	v_add_nc_u32_e32 v7, s42, v17
	s_delay_alu instid0(VALU_DEP_2) | instskip(NEXT) | instid1(VALU_DEP_2)
	v_mul_lo_u32 v1, v1, s21
	v_mul_lo_u32 v7, v7, s23
	s_delay_alu instid0(VALU_DEP_1) | instskip(NEXT) | instid1(VALU_DEP_1)
	v_sub_nc_u32_e32 v1, v1, v7
	v_cmp_lt_u32_e64 s0, s43, v1
	s_and_b32 s2, s0, exec_lo
.LBB1990_48:
	s_wait_alu 0xfffe
	s_or_b32 exec_lo, exec_lo, s3
	v_lshrrev_b32_e32 v6, 24, v6
	v_cndmask_b32_e64 v7, 0, 1, s2
	v_lshrrev_b32_e32 v23, 8, v8
	v_lshrrev_b32_e32 v24, 16, v8
	s_wait_alu 0xfffd
	v_cndmask_b32_e64 v1, 0, 1, vcc_lo
	v_lshlrev_b16 v22, 8, v22
	v_lshlrev_b16 v6, 8, v6
	v_and_b32_e32 v8, 0xff, v8
	v_lshlrev_b16 v23, 8, v23
	v_lshlrev_b16 v7, 8, v7
	v_and_b32_e32 v24, 0xff, v24
	v_or_b32_e32 v21, v21, v22
	v_or_b32_e32 v1, v1, v6
	v_or_b32_e32 v6, v8, v23
	s_delay_alu instid0(VALU_DEP_4) | instskip(NEXT) | instid1(VALU_DEP_4)
	v_or_b32_e32 v7, v24, v7
	v_and_b32_e32 v8, 0xffff, v21
	s_delay_alu instid0(VALU_DEP_4) | instskip(NEXT) | instid1(VALU_DEP_4)
	v_lshlrev_b32_e32 v1, 16, v1
	v_and_b32_e32 v6, 0xffff, v6
	s_delay_alu instid0(VALU_DEP_4) | instskip(NEXT) | instid1(VALU_DEP_3)
	v_lshlrev_b32_e32 v21, 16, v7
	v_or_b32_e32 v7, v8, v1
	s_delay_alu instid0(VALU_DEP_2)
	v_or_b32_e32 v1, v6, v21
.LBB1990_49:
	s_or_b32 exec_lo, exec_lo, s1
	v_add_nc_u32_e32 v6, 3, v41
	v_lshrrev_b32_e32 v8, 24, v5
	v_lshrrev_b32_e32 v21, 16, v5
	;; [unrolled: 1-line block ×3, first 2 shown]
                                        ; implicit-def: $vgpr42
	s_delay_alu instid0(VALU_DEP_4) | instskip(SKIP_1) | instid1(SALU_CYCLE_1)
	v_cmp_le_u32_e32 vcc_lo, s33, v6
                                        ; implicit-def: $vgpr6
	s_and_saveexec_b32 s0, vcc_lo
	s_xor_b32 s0, exec_lo, s0
	s_cbranch_execz .LBB1990_51
; %bb.50:
	v_lshlrev_b16 v6, 8, v8
	v_and_b32_e32 v8, 0xff, v21
	v_lshlrev_b16 v5, 8, v5
	v_perm_b32 v4, v4, v4, 0x3060504
	v_perm_b32 v3, v3, v3, 0x3060504
                                        ; implicit-def: $vgpr21
	s_delay_alu instid0(VALU_DEP_4) | instskip(SKIP_2) | instid1(VALU_DEP_3)
	v_or_b32_e32 v6, v8, v6
	v_and_b32_e32 v8, 0xff0000, v7
	v_and_b32_e32 v5, 0xffff, v5
	v_lshlrev_b32_e32 v6, 16, v6
	s_delay_alu instid0(VALU_DEP_3) | instskip(NEXT) | instid1(VALU_DEP_2)
	v_perm_b32 v42, v7, v8, 0x3020504
                                        ; implicit-def: $vgpr7
                                        ; implicit-def: $vgpr8
	v_or_b32_e32 v6, v5, v6
                                        ; implicit-def: $vgpr5
.LBB1990_51:
	s_and_not1_saveexec_b32 s1, s0
	s_cbranch_execz .LBB1990_55
; %bb.52:
	v_add_nc_u32_e32 v6, s17, v18
	v_add_nc_u32_e32 v22, s19, v18
	s_mov_b32 s2, 0
	s_mov_b32 s3, exec_lo
	s_delay_alu instid0(VALU_DEP_2) | instskip(NEXT) | instid1(VALU_DEP_2)
	v_mul_lo_u32 v6, v6, s16
	v_mul_lo_u32 v22, v22, s18
	s_delay_alu instid0(VALU_DEP_1) | instskip(NEXT) | instid1(VALU_DEP_1)
	v_sub_nc_u32_e32 v6, v6, v22
	v_cmp_lt_u32_e32 vcc_lo, s20, v6
	v_cmpx_ge_u32_e64 s20, v6
	s_cbranch_execz .LBB1990_54
; %bb.53:
	v_add_nc_u32_e32 v6, s22, v18
	v_add_nc_u32_e32 v22, s42, v18
	s_delay_alu instid0(VALU_DEP_2) | instskip(NEXT) | instid1(VALU_DEP_2)
	v_mul_lo_u32 v6, v6, s21
	v_mul_lo_u32 v22, v22, s23
	s_delay_alu instid0(VALU_DEP_1) | instskip(NEXT) | instid1(VALU_DEP_1)
	v_sub_nc_u32_e32 v6, v6, v22
	v_cmp_lt_u32_e64 s0, s43, v6
	s_and_b32 s2, s0, exec_lo
.LBB1990_54:
	s_wait_alu 0xfffe
	s_or_b32 exec_lo, exec_lo, s3
	v_lshrrev_b32_e32 v6, 8, v7
	s_wait_alu 0xfffd
	v_cndmask_b32_e64 v22, 0, 1, vcc_lo
	v_lshrrev_b32_e32 v23, 16, v7
	v_cndmask_b32_e64 v24, 0, 1, s2
	v_and_b32_e32 v7, 0xff, v7
	v_lshlrev_b16 v6, 8, v6
	v_lshlrev_b16 v22, 8, v22
	v_and_b32_e32 v23, 0xff, v23
	v_lshlrev_b16 v8, 8, v8
	v_and_b32_e32 v21, 0xff, v21
	v_lshlrev_b16 v5, 8, v5
	v_or_b32_e32 v6, v7, v6
	v_or_b32_e32 v7, v23, v22
	s_delay_alu instid0(VALU_DEP_4) | instskip(NEXT) | instid1(VALU_DEP_4)
	v_or_b32_e32 v8, v21, v8
	v_or_b32_e32 v5, v24, v5
	s_delay_alu instid0(VALU_DEP_4) | instskip(NEXT) | instid1(VALU_DEP_4)
	v_and_b32_e32 v6, 0xffff, v6
	v_lshlrev_b32_e32 v7, 16, v7
	s_delay_alu instid0(VALU_DEP_4) | instskip(NEXT) | instid1(VALU_DEP_4)
	v_lshlrev_b32_e32 v8, 16, v8
	v_and_b32_e32 v5, 0xffff, v5
	s_delay_alu instid0(VALU_DEP_3) | instskip(NEXT) | instid1(VALU_DEP_2)
	v_or_b32_e32 v42, v6, v7
	v_or_b32_e32 v6, v5, v8
.LBB1990_55:
	s_or_b32 exec_lo, exec_lo, s1
	v_add_nc_u32_e32 v5, 4, v41
	v_lshrrev_b32_e32 v21, 8, v4
	v_lshrrev_b32_e32 v22, 16, v4
	;; [unrolled: 1-line block ×4, first 2 shown]
	v_cmp_le_u32_e32 vcc_lo, s33, v5
	v_lshrrev_b32_e32 v8, 16, v6
                                        ; implicit-def: $vgpr4
                                        ; implicit-def: $vgpr5
	s_and_saveexec_b32 s0, vcc_lo
	s_delay_alu instid0(SALU_CYCLE_1)
	s_xor_b32 s0, exec_lo, s0
	s_cbranch_execz .LBB1990_57
; %bb.56:
	v_lshlrev_b16 v4, 8, v23
	v_and_b32_e32 v5, 0xff, v22
	v_lshlrev_b16 v21, 8, v21
	v_lshlrev_b16 v7, 8, v7
	v_and_b32_e32 v8, 0xff, v8
	v_perm_b32 v3, v3, v3, 0x3060504
	v_or_b32_e32 v4, v5, v4
	v_and_b32_e32 v5, 0xffff, v21
                                        ; implicit-def: $vgpr21
                                        ; implicit-def: $vgpr22
                                        ; implicit-def: $vgpr23
	s_delay_alu instid0(VALU_DEP_4) | instskip(NEXT) | instid1(VALU_DEP_3)
	v_or_b32_e32 v7, v8, v7
	v_lshlrev_b32_e32 v8, 16, v4
	s_delay_alu instid0(VALU_DEP_2) | instskip(NEXT) | instid1(VALU_DEP_2)
	v_perm_b32 v4, v7, v6, 0x5040c00
                                        ; implicit-def: $vgpr6
                                        ; implicit-def: $vgpr7
	v_or_b32_e32 v5, v5, v8
                                        ; implicit-def: $vgpr8
.LBB1990_57:
	s_and_not1_saveexec_b32 s1, s0
	s_cbranch_execz .LBB1990_61
; %bb.58:
	v_add_nc_u32_e32 v4, s17, v15
	v_add_nc_u32_e32 v5, s19, v15
	s_mov_b32 s2, 0
	s_mov_b32 s3, exec_lo
	s_delay_alu instid0(VALU_DEP_2) | instskip(NEXT) | instid1(VALU_DEP_2)
	v_mul_lo_u32 v4, v4, s16
	v_mul_lo_u32 v5, v5, s18
	s_delay_alu instid0(VALU_DEP_1) | instskip(NEXT) | instid1(VALU_DEP_1)
	v_sub_nc_u32_e32 v4, v4, v5
	v_cmp_lt_u32_e32 vcc_lo, s20, v4
	v_cmpx_ge_u32_e64 s20, v4
	s_cbranch_execz .LBB1990_60
; %bb.59:
	v_add_nc_u32_e32 v4, s22, v15
	v_add_nc_u32_e32 v5, s42, v15
	s_delay_alu instid0(VALU_DEP_2) | instskip(NEXT) | instid1(VALU_DEP_2)
	v_mul_lo_u32 v4, v4, s21
	v_mul_lo_u32 v5, v5, s23
	s_delay_alu instid0(VALU_DEP_1) | instskip(NEXT) | instid1(VALU_DEP_1)
	v_sub_nc_u32_e32 v4, v4, v5
	v_cmp_lt_u32_e64 s0, s43, v4
	s_and_b32 s2, s0, exec_lo
.LBB1990_60:
	s_wait_alu 0xfffe
	s_or_b32 exec_lo, exec_lo, s3
	v_cndmask_b32_e64 v4, 0, 1, s2
	s_wait_alu 0xfffd
	v_cndmask_b32_e64 v5, 0, 1, vcc_lo
	v_lshlrev_b16 v23, 8, v23
	v_and_b32_e32 v22, 0xff, v22
	v_lshlrev_b16 v21, 8, v21
	v_lshlrev_b16 v4, 8, v4
	v_and_b32_e32 v6, 0xff, v6
	v_lshlrev_b16 v7, 8, v7
	v_and_b32_e32 v8, 0xff, v8
	v_or_b32_e32 v22, v22, v23
	v_or_b32_e32 v5, v5, v21
	;; [unrolled: 1-line block ×3, first 2 shown]
	s_delay_alu instid0(VALU_DEP_4) | instskip(NEXT) | instid1(VALU_DEP_4)
	v_or_b32_e32 v6, v8, v7
	v_lshlrev_b32_e32 v7, 16, v22
	s_delay_alu instid0(VALU_DEP_4) | instskip(NEXT) | instid1(VALU_DEP_4)
	v_and_b32_e32 v5, 0xffff, v5
	v_and_b32_e32 v4, 0xffff, v4
	s_delay_alu instid0(VALU_DEP_4) | instskip(NEXT) | instid1(VALU_DEP_3)
	v_lshlrev_b32_e32 v6, 16, v6
	v_or_b32_e32 v5, v5, v7
	s_delay_alu instid0(VALU_DEP_2)
	v_or_b32_e32 v4, v4, v6
.LBB1990_61:
	s_or_b32 exec_lo, exec_lo, s1
	v_add_nc_u32_e32 v6, 5, v41
	s_delay_alu instid0(VALU_DEP_2)
	v_lshrrev_b32_e32 v21, 16, v5
	v_lshrrev_b32_e32 v23, 24, v5
	v_and_b32_e32 v8, 0xff, v4
	v_lshrrev_b32_e32 v22, 8, v4
	v_cmp_le_u32_e32 vcc_lo, s33, v6
                                        ; implicit-def: $vgpr6
                                        ; implicit-def: $vgpr7
	s_and_saveexec_b32 s0, vcc_lo
	s_delay_alu instid0(SALU_CYCLE_1)
	s_xor_b32 s0, exec_lo, s0
	s_cbranch_execz .LBB1990_63
; %bb.62:
	v_lshlrev_b16 v6, 8, v22
	v_lshlrev_b16 v7, 8, v23
	v_and_b32_e32 v21, 0xff, v21
	v_perm_b32 v3, v3, v3, 0x3060504
                                        ; implicit-def: $vgpr23
                                        ; implicit-def: $vgpr22
	s_delay_alu instid0(VALU_DEP_4) | instskip(NEXT) | instid1(VALU_DEP_3)
	v_or_b32_e32 v6, v8, v6
                                        ; implicit-def: $vgpr8
	v_or_b32_e32 v7, v21, v7
                                        ; implicit-def: $vgpr21
	s_delay_alu instid0(VALU_DEP_2) | instskip(NEXT) | instid1(VALU_DEP_2)
	v_and_b32_e32 v6, 0xffff, v6
	v_perm_b32 v7, v7, v5, 0x5040c00
                                        ; implicit-def: $vgpr5
	s_delay_alu instid0(VALU_DEP_2)
	v_and_or_b32 v6, 0xff000000, v4, v6
                                        ; implicit-def: $vgpr4
.LBB1990_63:
	s_and_not1_saveexec_b32 s1, s0
	s_cbranch_execz .LBB1990_67
; %bb.64:
	v_add_nc_u32_e32 v6, s17, v16
	v_add_nc_u32_e32 v7, s19, v16
	s_mov_b32 s2, 0
	s_mov_b32 s3, exec_lo
	s_delay_alu instid0(VALU_DEP_2) | instskip(NEXT) | instid1(VALU_DEP_2)
	v_mul_lo_u32 v6, v6, s16
	v_mul_lo_u32 v7, v7, s18
	s_delay_alu instid0(VALU_DEP_1) | instskip(NEXT) | instid1(VALU_DEP_1)
	v_sub_nc_u32_e32 v6, v6, v7
	v_cmp_lt_u32_e32 vcc_lo, s20, v6
	v_cmpx_ge_u32_e64 s20, v6
	s_cbranch_execz .LBB1990_66
; %bb.65:
	v_add_nc_u32_e32 v6, s22, v16
	v_add_nc_u32_e32 v7, s42, v16
	s_delay_alu instid0(VALU_DEP_2) | instskip(NEXT) | instid1(VALU_DEP_2)
	v_mul_lo_u32 v6, v6, s21
	v_mul_lo_u32 v7, v7, s23
	s_delay_alu instid0(VALU_DEP_1) | instskip(NEXT) | instid1(VALU_DEP_1)
	v_sub_nc_u32_e32 v6, v6, v7
	v_cmp_lt_u32_e64 s0, s43, v6
	s_and_b32 s2, s0, exec_lo
.LBB1990_66:
	s_wait_alu 0xfffe
	s_or_b32 exec_lo, exec_lo, s3
	s_wait_alu 0xfffd
	v_cndmask_b32_e64 v6, 0, 1, vcc_lo
	v_lshrrev_b32_e32 v4, 24, v4
	v_cndmask_b32_e64 v7, 0, 1, s2
	v_lshlrev_b16 v23, 8, v23
	v_and_b32_e32 v21, 0xff, v21
	v_lshlrev_b16 v6, 8, v6
	v_lshlrev_b16 v22, 8, v22
	v_and_b32_e32 v5, 0xff, v5
	v_lshlrev_b16 v4, 8, v4
	v_or_b32_e32 v21, v21, v23
	s_delay_alu instid0(VALU_DEP_4) | instskip(NEXT) | instid1(VALU_DEP_4)
	v_or_b32_e32 v8, v8, v22
	v_or_b32_e32 v5, v5, v6
	s_delay_alu instid0(VALU_DEP_4) | instskip(NEXT) | instid1(VALU_DEP_4)
	v_or_b32_e32 v4, v7, v4
	v_lshlrev_b32_e32 v6, 16, v21
	s_delay_alu instid0(VALU_DEP_4) | instskip(NEXT) | instid1(VALU_DEP_4)
	v_and_b32_e32 v8, 0xffff, v8
	v_and_b32_e32 v5, 0xffff, v5
	s_delay_alu instid0(VALU_DEP_4) | instskip(NEXT) | instid1(VALU_DEP_2)
	v_lshlrev_b32_e32 v4, 16, v4
	v_or_b32_e32 v7, v5, v6
	s_delay_alu instid0(VALU_DEP_2)
	v_or_b32_e32 v6, v8, v4
.LBB1990_67:
	s_or_b32 exec_lo, exec_lo, s1
	v_add_nc_u32_e32 v4, 6, v41
	s_delay_alu instid0(VALU_DEP_3) | instskip(NEXT) | instid1(VALU_DEP_2)
	v_lshrrev_b32_e32 v8, 8, v7
                                        ; implicit-def: $vgpr43
                                        ; implicit-def: $vgpr5
	v_cmp_le_u32_e32 vcc_lo, s33, v4
	v_and_b32_e32 v4, 0xff, v7
	s_and_saveexec_b32 s0, vcc_lo
	s_delay_alu instid0(SALU_CYCLE_1)
	s_xor_b32 s0, exec_lo, s0
	s_cbranch_execz .LBB1990_69
; %bb.68:
	v_lshlrev_b16 v5, 8, v8
	v_perm_b32 v3, v3, v3, 0x3060504
                                        ; implicit-def: $vgpr8
	s_delay_alu instid0(VALU_DEP_2) | instskip(SKIP_1) | instid1(VALU_DEP_2)
	v_or_b32_e32 v4, v4, v5
	v_and_b32_e32 v5, 0xff0000, v6
	v_and_b32_e32 v4, 0xffff, v4
	s_delay_alu instid0(VALU_DEP_2) | instskip(NEXT) | instid1(VALU_DEP_2)
	v_perm_b32 v43, v6, v5, 0x3020504
                                        ; implicit-def: $vgpr6
	v_and_or_b32 v5, 0xff000000, v7, v4
                                        ; implicit-def: $vgpr4
                                        ; implicit-def: $vgpr7
.LBB1990_69:
	s_and_not1_saveexec_b32 s1, s0
	s_cbranch_execz .LBB1990_73
; %bb.70:
	v_add_nc_u32_e32 v5, s17, v13
	v_add_nc_u32_e32 v21, s19, v13
	s_mov_b32 s2, 0
	s_mov_b32 s3, exec_lo
	s_delay_alu instid0(VALU_DEP_2) | instskip(NEXT) | instid1(VALU_DEP_2)
	v_mul_lo_u32 v5, v5, s16
	v_mul_lo_u32 v21, v21, s18
	s_delay_alu instid0(VALU_DEP_1) | instskip(NEXT) | instid1(VALU_DEP_1)
	v_sub_nc_u32_e32 v5, v5, v21
	v_cmp_lt_u32_e32 vcc_lo, s20, v5
	v_cmpx_ge_u32_e64 s20, v5
	s_cbranch_execz .LBB1990_72
; %bb.71:
	v_add_nc_u32_e32 v5, s22, v13
	v_add_nc_u32_e32 v21, s42, v13
	s_delay_alu instid0(VALU_DEP_2) | instskip(NEXT) | instid1(VALU_DEP_2)
	v_mul_lo_u32 v5, v5, s21
	v_mul_lo_u32 v21, v21, s23
	s_delay_alu instid0(VALU_DEP_1) | instskip(NEXT) | instid1(VALU_DEP_1)
	v_sub_nc_u32_e32 v5, v5, v21
	v_cmp_lt_u32_e64 s0, s43, v5
	s_and_b32 s2, s0, exec_lo
.LBB1990_72:
	s_wait_alu 0xfffe
	s_or_b32 exec_lo, exec_lo, s3
	v_lshrrev_b32_e32 v7, 24, v7
	v_cndmask_b32_e64 v21, 0, 1, s2
	v_lshrrev_b32_e32 v22, 8, v6
	v_lshrrev_b32_e32 v23, 16, v6
	s_wait_alu 0xfffd
	v_cndmask_b32_e64 v5, 0, 1, vcc_lo
	v_lshlrev_b16 v8, 8, v8
	v_lshlrev_b16 v7, 8, v7
	v_and_b32_e32 v6, 0xff, v6
	v_lshlrev_b16 v22, 8, v22
	v_lshlrev_b16 v21, 8, v21
	v_and_b32_e32 v23, 0xff, v23
	v_or_b32_e32 v4, v4, v8
	v_or_b32_e32 v5, v5, v7
	;; [unrolled: 1-line block ×3, first 2 shown]
	s_delay_alu instid0(VALU_DEP_4) | instskip(NEXT) | instid1(VALU_DEP_4)
	v_or_b32_e32 v7, v23, v21
	v_and_b32_e32 v4, 0xffff, v4
	s_delay_alu instid0(VALU_DEP_4) | instskip(NEXT) | instid1(VALU_DEP_4)
	v_lshlrev_b32_e32 v5, 16, v5
	v_and_b32_e32 v6, 0xffff, v6
	s_delay_alu instid0(VALU_DEP_4) | instskip(NEXT) | instid1(VALU_DEP_3)
	v_lshlrev_b32_e32 v7, 16, v7
	v_or_b32_e32 v5, v4, v5
	s_delay_alu instid0(VALU_DEP_2)
	v_or_b32_e32 v43, v6, v7
.LBB1990_73:
	s_or_b32 exec_lo, exec_lo, s1
	v_add_nc_u32_e32 v4, 7, v41
	v_lshrrev_b32_e32 v6, 8, v3
	v_lshrrev_b32_e32 v7, 16, v3
	;; [unrolled: 1-line block ×3, first 2 shown]
                                        ; implicit-def: $vgpr44
	s_delay_alu instid0(VALU_DEP_4) | instskip(SKIP_1) | instid1(SALU_CYCLE_1)
	v_cmp_le_u32_e32 vcc_lo, s33, v4
                                        ; implicit-def: $vgpr4
	s_and_saveexec_b32 s0, vcc_lo
	s_xor_b32 s0, exec_lo, s0
	s_cbranch_execz .LBB1990_75
; %bb.74:
	v_lshlrev_b16 v3, 8, v3
	v_and_b32_e32 v4, 0xff, v7
                                        ; implicit-def: $vgpr7
	s_delay_alu instid0(VALU_DEP_1) | instskip(SKIP_2) | instid1(VALU_DEP_3)
	v_or_b32_e32 v3, v4, v3
	v_lshlrev_b16 v4, 8, v6
	v_and_b32_e32 v6, 0xff0000, v5
	v_lshlrev_b32_e32 v3, 16, v3
	s_delay_alu instid0(VALU_DEP_3) | instskip(NEXT) | instid1(VALU_DEP_3)
	v_and_b32_e32 v4, 0xffff, v4
	v_perm_b32 v44, v5, v6, 0x3020504
                                        ; implicit-def: $vgpr5
                                        ; implicit-def: $vgpr6
	s_delay_alu instid0(VALU_DEP_2)
	v_or_b32_e32 v4, v4, v3
                                        ; implicit-def: $vgpr3
.LBB1990_75:
	s_and_not1_saveexec_b32 s1, s0
	s_cbranch_execz .LBB1990_79
; %bb.76:
	v_add_nc_u32_e32 v4, s17, v14
	v_add_nc_u32_e32 v8, s19, v14
	s_mov_b32 s2, 0
	s_mov_b32 s3, exec_lo
	s_delay_alu instid0(VALU_DEP_2) | instskip(NEXT) | instid1(VALU_DEP_2)
	v_mul_lo_u32 v4, v4, s16
	v_mul_lo_u32 v8, v8, s18
	s_delay_alu instid0(VALU_DEP_1) | instskip(NEXT) | instid1(VALU_DEP_1)
	v_sub_nc_u32_e32 v4, v4, v8
	v_cmp_lt_u32_e32 vcc_lo, s20, v4
	v_cmpx_ge_u32_e64 s20, v4
	s_cbranch_execz .LBB1990_78
; %bb.77:
	v_add_nc_u32_e32 v4, s22, v14
	v_add_nc_u32_e32 v8, s42, v14
	s_delay_alu instid0(VALU_DEP_2) | instskip(NEXT) | instid1(VALU_DEP_2)
	v_mul_lo_u32 v4, v4, s21
	v_mul_lo_u32 v8, v8, s23
	s_delay_alu instid0(VALU_DEP_1) | instskip(NEXT) | instid1(VALU_DEP_1)
	v_sub_nc_u32_e32 v4, v4, v8
	v_cmp_lt_u32_e64 s0, s43, v4
	s_and_b32 s2, s0, exec_lo
.LBB1990_78:
	s_wait_alu 0xfffe
	s_or_b32 exec_lo, exec_lo, s3
	v_lshrrev_b32_e32 v4, 8, v5
	s_wait_alu 0xfffd
	v_cndmask_b32_e64 v8, 0, 1, vcc_lo
	v_lshrrev_b32_e32 v21, 16, v5
	v_cndmask_b32_e64 v22, 0, 1, s2
	v_and_b32_e32 v5, 0xff, v5
	v_lshlrev_b16 v4, 8, v4
	v_lshlrev_b16 v8, 8, v8
	v_and_b32_e32 v21, 0xff, v21
	v_lshlrev_b16 v3, 8, v3
	v_and_b32_e32 v7, 0xff, v7
	v_lshlrev_b16 v6, 8, v6
	v_or_b32_e32 v4, v5, v4
	v_or_b32_e32 v5, v21, v8
	s_delay_alu instid0(VALU_DEP_4) | instskip(NEXT) | instid1(VALU_DEP_4)
	v_or_b32_e32 v3, v7, v3
	v_or_b32_e32 v6, v22, v6
	s_delay_alu instid0(VALU_DEP_4) | instskip(NEXT) | instid1(VALU_DEP_4)
	v_and_b32_e32 v4, 0xffff, v4
	v_lshlrev_b32_e32 v5, 16, v5
	s_delay_alu instid0(VALU_DEP_4) | instskip(NEXT) | instid1(VALU_DEP_4)
	v_lshlrev_b32_e32 v3, 16, v3
	v_and_b32_e32 v6, 0xffff, v6
	s_delay_alu instid0(VALU_DEP_3) | instskip(NEXT) | instid1(VALU_DEP_2)
	v_or_b32_e32 v44, v4, v5
	v_or_b32_e32 v4, v6, v3
.LBB1990_79:
	s_or_b32 exec_lo, exec_lo, s1
	v_add_nc_u32_e32 v3, 8, v41
	s_delay_alu instid0(VALU_DEP_2)
	v_lshrrev_b32_e32 v5, 16, v4
	v_lshrrev_b32_e32 v6, 24, v4
	;; [unrolled: 1-line block ×4, first 2 shown]
	v_cmp_le_u32_e32 vcc_lo, s33, v3
	v_lshrrev_b32_e32 v7, 8, v2
                                        ; implicit-def: $vgpr2
                                        ; implicit-def: $vgpr3
	s_and_saveexec_b32 s0, vcc_lo
	s_delay_alu instid0(SALU_CYCLE_1)
	s_xor_b32 s0, exec_lo, s0
	s_cbranch_execz .LBB1990_81
; %bb.80:
	v_lshlrev_b16 v2, 8, v8
	v_and_b32_e32 v3, 0xff, v21
	v_lshlrev_b16 v7, 8, v7
	v_lshlrev_b16 v6, 8, v6
	v_perm_b32 v1, v1, v1, 0x3060504
                                        ; implicit-def: $vgpr8
                                        ; implicit-def: $vgpr21
	s_delay_alu instid0(VALU_DEP_4) | instskip(SKIP_2) | instid1(VALU_DEP_3)
	v_or_b32_e32 v2, v3, v2
	v_and_b32_e32 v3, 0xff, v5
	v_and_b32_e32 v5, 0xffff, v7
                                        ; implicit-def: $vgpr7
	v_lshlrev_b32_e32 v2, 16, v2
	s_delay_alu instid0(VALU_DEP_3) | instskip(NEXT) | instid1(VALU_DEP_2)
	v_or_b32_e32 v6, v3, v6
	v_or_b32_e32 v3, v5, v2
	s_delay_alu instid0(VALU_DEP_2)
	v_perm_b32 v2, v6, v4, 0x5040c00
                                        ; implicit-def: $vgpr4
                                        ; implicit-def: $vgpr5
                                        ; implicit-def: $vgpr6
.LBB1990_81:
	s_and_not1_saveexec_b32 s1, s0
	s_cbranch_execz .LBB1990_85
; %bb.82:
	v_add_nc_u32_e32 v2, s17, v11
	v_add_nc_u32_e32 v3, s19, v11
	s_mov_b32 s2, 0
	s_mov_b32 s3, exec_lo
	s_delay_alu instid0(VALU_DEP_2) | instskip(NEXT) | instid1(VALU_DEP_2)
	v_mul_lo_u32 v2, v2, s16
	v_mul_lo_u32 v3, v3, s18
	s_delay_alu instid0(VALU_DEP_1) | instskip(NEXT) | instid1(VALU_DEP_1)
	v_sub_nc_u32_e32 v2, v2, v3
	v_cmp_lt_u32_e32 vcc_lo, s20, v2
	v_cmpx_ge_u32_e64 s20, v2
	s_cbranch_execz .LBB1990_84
; %bb.83:
	v_add_nc_u32_e32 v2, s22, v11
	v_add_nc_u32_e32 v3, s42, v11
	s_delay_alu instid0(VALU_DEP_2) | instskip(NEXT) | instid1(VALU_DEP_2)
	v_mul_lo_u32 v2, v2, s21
	v_mul_lo_u32 v3, v3, s23
	s_delay_alu instid0(VALU_DEP_1) | instskip(NEXT) | instid1(VALU_DEP_1)
	v_sub_nc_u32_e32 v2, v2, v3
	v_cmp_lt_u32_e64 s0, s43, v2
	s_and_b32 s2, s0, exec_lo
.LBB1990_84:
	s_wait_alu 0xfffe
	s_or_b32 exec_lo, exec_lo, s3
	v_cndmask_b32_e64 v2, 0, 1, s2
	s_wait_alu 0xfffd
	v_cndmask_b32_e64 v3, 0, 1, vcc_lo
	v_lshlrev_b16 v8, 8, v8
	v_and_b32_e32 v21, 0xff, v21
	v_lshlrev_b16 v7, 8, v7
	v_lshlrev_b16 v2, 8, v2
	v_and_b32_e32 v4, 0xff, v4
	v_lshlrev_b16 v6, 8, v6
	v_and_b32_e32 v5, 0xff, v5
	v_or_b32_e32 v8, v21, v8
	v_or_b32_e32 v3, v3, v7
	;; [unrolled: 1-line block ×3, first 2 shown]
	s_delay_alu instid0(VALU_DEP_4) | instskip(NEXT) | instid1(VALU_DEP_4)
	v_or_b32_e32 v4, v5, v6
	v_lshlrev_b32_e32 v5, 16, v8
	s_delay_alu instid0(VALU_DEP_4) | instskip(NEXT) | instid1(VALU_DEP_4)
	v_and_b32_e32 v3, 0xffff, v3
	v_and_b32_e32 v2, 0xffff, v2
	s_delay_alu instid0(VALU_DEP_4) | instskip(NEXT) | instid1(VALU_DEP_3)
	v_lshlrev_b32_e32 v4, 16, v4
	v_or_b32_e32 v3, v3, v5
	s_delay_alu instid0(VALU_DEP_2)
	v_or_b32_e32 v2, v2, v4
.LBB1990_85:
	s_or_b32 exec_lo, exec_lo, s1
	v_add_nc_u32_e32 v4, 9, v41
	s_delay_alu instid0(VALU_DEP_2)
	v_lshrrev_b32_e32 v6, 8, v2
	v_lshrrev_b32_e32 v21, 24, v3
	;; [unrolled: 1-line block ×3, first 2 shown]
	v_and_b32_e32 v7, 0xff, v2
	v_cmp_le_u32_e32 vcc_lo, s33, v4
                                        ; implicit-def: $vgpr4
                                        ; implicit-def: $vgpr5
	s_and_saveexec_b32 s0, vcc_lo
	s_delay_alu instid0(SALU_CYCLE_1)
	s_xor_b32 s0, exec_lo, s0
	s_cbranch_execz .LBB1990_87
; %bb.86:
	v_lshlrev_b16 v4, 8, v6
	v_lshlrev_b16 v5, 8, v21
	v_and_b32_e32 v6, 0xff, v8
	v_perm_b32 v1, v1, v1, 0x3060504
                                        ; implicit-def: $vgpr21
                                        ; implicit-def: $vgpr8
	s_delay_alu instid0(VALU_DEP_4) | instskip(NEXT) | instid1(VALU_DEP_3)
	v_or_b32_e32 v4, v7, v4
                                        ; implicit-def: $vgpr7
	v_or_b32_e32 v5, v6, v5
                                        ; implicit-def: $vgpr6
	s_delay_alu instid0(VALU_DEP_2) | instskip(NEXT) | instid1(VALU_DEP_2)
	v_and_b32_e32 v4, 0xffff, v4
	v_perm_b32 v5, v5, v3, 0x5040c00
                                        ; implicit-def: $vgpr3
	s_delay_alu instid0(VALU_DEP_2)
	v_and_or_b32 v4, 0xff000000, v2, v4
                                        ; implicit-def: $vgpr2
.LBB1990_87:
	s_and_not1_saveexec_b32 s1, s0
	s_cbranch_execz .LBB1990_91
; %bb.88:
	v_add_nc_u32_e32 v4, s17, v12
	v_add_nc_u32_e32 v5, s19, v12
	s_mov_b32 s2, 0
	s_mov_b32 s3, exec_lo
	s_delay_alu instid0(VALU_DEP_2) | instskip(NEXT) | instid1(VALU_DEP_2)
	v_mul_lo_u32 v4, v4, s16
	v_mul_lo_u32 v5, v5, s18
	s_delay_alu instid0(VALU_DEP_1) | instskip(NEXT) | instid1(VALU_DEP_1)
	v_sub_nc_u32_e32 v4, v4, v5
	v_cmp_lt_u32_e32 vcc_lo, s20, v4
	v_cmpx_ge_u32_e64 s20, v4
	s_cbranch_execz .LBB1990_90
; %bb.89:
	v_add_nc_u32_e32 v4, s22, v12
	v_add_nc_u32_e32 v5, s42, v12
	s_delay_alu instid0(VALU_DEP_2) | instskip(NEXT) | instid1(VALU_DEP_2)
	v_mul_lo_u32 v4, v4, s21
	v_mul_lo_u32 v5, v5, s23
	s_delay_alu instid0(VALU_DEP_1) | instskip(NEXT) | instid1(VALU_DEP_1)
	v_sub_nc_u32_e32 v4, v4, v5
	v_cmp_lt_u32_e64 s0, s43, v4
	s_and_b32 s2, s0, exec_lo
.LBB1990_90:
	s_wait_alu 0xfffe
	s_or_b32 exec_lo, exec_lo, s3
	s_wait_alu 0xfffd
	v_cndmask_b32_e64 v4, 0, 1, vcc_lo
	v_lshrrev_b32_e32 v2, 24, v2
	v_cndmask_b32_e64 v5, 0, 1, s2
	v_lshlrev_b16 v21, 8, v21
	v_and_b32_e32 v8, 0xff, v8
	v_lshlrev_b16 v4, 8, v4
	v_lshlrev_b16 v6, 8, v6
	v_and_b32_e32 v3, 0xff, v3
	v_lshlrev_b16 v2, 8, v2
	v_or_b32_e32 v8, v8, v21
	s_delay_alu instid0(VALU_DEP_4) | instskip(NEXT) | instid1(VALU_DEP_4)
	v_or_b32_e32 v6, v7, v6
	v_or_b32_e32 v3, v3, v4
	s_delay_alu instid0(VALU_DEP_4) | instskip(NEXT) | instid1(VALU_DEP_4)
	v_or_b32_e32 v2, v5, v2
	v_lshlrev_b32_e32 v4, 16, v8
	s_delay_alu instid0(VALU_DEP_4) | instskip(NEXT) | instid1(VALU_DEP_4)
	v_and_b32_e32 v6, 0xffff, v6
	v_and_b32_e32 v3, 0xffff, v3
	s_delay_alu instid0(VALU_DEP_4) | instskip(NEXT) | instid1(VALU_DEP_2)
	v_lshlrev_b32_e32 v2, 16, v2
	v_or_b32_e32 v5, v3, v4
	s_delay_alu instid0(VALU_DEP_2)
	v_or_b32_e32 v4, v6, v2
.LBB1990_91:
	s_or_b32 exec_lo, exec_lo, s1
	v_add_nc_u32_e32 v2, 10, v41
	s_delay_alu instid0(VALU_DEP_3) | instskip(SKIP_1) | instid1(VALU_DEP_3)
	v_and_b32_e32 v3, 0xff, v5
	v_lshrrev_b32_e32 v6, 8, v5
                                        ; implicit-def: $vgpr46
	v_cmp_le_u32_e32 vcc_lo, s33, v2
                                        ; implicit-def: $vgpr2
	s_and_saveexec_b32 s0, vcc_lo
	s_delay_alu instid0(SALU_CYCLE_1)
	s_xor_b32 s0, exec_lo, s0
	s_cbranch_execz .LBB1990_93
; %bb.92:
	v_lshlrev_b16 v2, 8, v6
	v_perm_b32 v1, v1, v1, 0x3060504
                                        ; implicit-def: $vgpr6
	s_delay_alu instid0(VALU_DEP_2) | instskip(SKIP_1) | instid1(VALU_DEP_2)
	v_or_b32_e32 v2, v3, v2
	v_and_b32_e32 v3, 0xff0000, v4
	v_and_b32_e32 v2, 0xffff, v2
	s_delay_alu instid0(VALU_DEP_2) | instskip(NEXT) | instid1(VALU_DEP_2)
	v_perm_b32 v46, v4, v3, 0x3020504
                                        ; implicit-def: $vgpr3
                                        ; implicit-def: $vgpr4
	v_and_or_b32 v2, 0xff000000, v5, v2
                                        ; implicit-def: $vgpr5
.LBB1990_93:
	s_and_not1_saveexec_b32 s1, s0
	s_cbranch_execz .LBB1990_97
; %bb.94:
	v_add_nc_u32_e32 v2, s17, v9
	v_add_nc_u32_e32 v7, s19, v9
	s_mov_b32 s2, 0
	s_mov_b32 s3, exec_lo
	s_delay_alu instid0(VALU_DEP_2) | instskip(NEXT) | instid1(VALU_DEP_2)
	v_mul_lo_u32 v2, v2, s16
	v_mul_lo_u32 v7, v7, s18
	s_delay_alu instid0(VALU_DEP_1) | instskip(NEXT) | instid1(VALU_DEP_1)
	v_sub_nc_u32_e32 v2, v2, v7
	v_cmp_lt_u32_e32 vcc_lo, s20, v2
	v_cmpx_ge_u32_e64 s20, v2
	s_cbranch_execz .LBB1990_96
; %bb.95:
	v_add_nc_u32_e32 v2, s22, v9
	v_add_nc_u32_e32 v7, s42, v9
	s_delay_alu instid0(VALU_DEP_2) | instskip(NEXT) | instid1(VALU_DEP_2)
	v_mul_lo_u32 v2, v2, s21
	v_mul_lo_u32 v7, v7, s23
	s_delay_alu instid0(VALU_DEP_1) | instskip(NEXT) | instid1(VALU_DEP_1)
	v_sub_nc_u32_e32 v2, v2, v7
	v_cmp_lt_u32_e64 s0, s43, v2
	s_and_b32 s2, s0, exec_lo
.LBB1990_96:
	s_wait_alu 0xfffe
	s_or_b32 exec_lo, exec_lo, s3
	v_lshrrev_b32_e32 v5, 24, v5
	v_cndmask_b32_e64 v7, 0, 1, s2
	v_lshrrev_b32_e32 v8, 8, v4
	v_lshrrev_b32_e32 v21, 16, v4
	s_wait_alu 0xfffd
	v_cndmask_b32_e64 v2, 0, 1, vcc_lo
	v_lshlrev_b16 v6, 8, v6
	v_lshlrev_b16 v5, 8, v5
	v_and_b32_e32 v4, 0xff, v4
	v_lshlrev_b16 v8, 8, v8
	v_lshlrev_b16 v7, 8, v7
	v_and_b32_e32 v21, 0xff, v21
	v_or_b32_e32 v3, v3, v6
	v_or_b32_e32 v2, v2, v5
	;; [unrolled: 1-line block ×3, first 2 shown]
	s_delay_alu instid0(VALU_DEP_4) | instskip(NEXT) | instid1(VALU_DEP_4)
	v_or_b32_e32 v5, v21, v7
	v_and_b32_e32 v3, 0xffff, v3
	s_delay_alu instid0(VALU_DEP_4) | instskip(NEXT) | instid1(VALU_DEP_4)
	v_lshlrev_b32_e32 v2, 16, v2
	v_and_b32_e32 v4, 0xffff, v4
	s_delay_alu instid0(VALU_DEP_4) | instskip(NEXT) | instid1(VALU_DEP_3)
	v_lshlrev_b32_e32 v5, 16, v5
	v_or_b32_e32 v2, v3, v2
	s_delay_alu instid0(VALU_DEP_2)
	v_or_b32_e32 v46, v4, v5
.LBB1990_97:
	s_or_b32 exec_lo, exec_lo, s1
	v_add_nc_u32_e32 v3, 11, v41
	v_mov_b32_e32 v45, 0
	s_mov_b32 s0, exec_lo
                                        ; implicit-def: $vgpr47
	s_delay_alu instid0(VALU_DEP_2)
	v_cmpx_le_u32_e64 s33, v3
	s_xor_b32 s0, exec_lo, s0
; %bb.98:
	v_and_b32_e32 v3, 0xff0000, v2
	v_perm_b32 v1, v1, v1, 0x3060504
	s_delay_alu instid0(VALU_DEP_2)
	v_perm_b32 v47, v2, v3, 0x3020504
                                        ; implicit-def: $vgpr2
; %bb.99:
	s_and_not1_saveexec_b32 s1, s0
	s_cbranch_execz .LBB1990_103
; %bb.100:
	v_add_nc_u32_e32 v3, s17, v10
	v_add_nc_u32_e32 v4, s19, v10
	s_mov_b32 s2, 0
	s_mov_b32 s3, exec_lo
	s_delay_alu instid0(VALU_DEP_2) | instskip(NEXT) | instid1(VALU_DEP_2)
	v_mul_lo_u32 v3, v3, s16
	v_mul_lo_u32 v4, v4, s18
	s_delay_alu instid0(VALU_DEP_1) | instskip(NEXT) | instid1(VALU_DEP_1)
	v_sub_nc_u32_e32 v3, v3, v4
	v_cmp_lt_u32_e32 vcc_lo, s20, v3
	v_cmpx_ge_u32_e64 s20, v3
	s_cbranch_execz .LBB1990_102
; %bb.101:
	v_add_nc_u32_e32 v3, s22, v10
	v_add_nc_u32_e32 v4, s42, v10
	s_delay_alu instid0(VALU_DEP_2) | instskip(NEXT) | instid1(VALU_DEP_2)
	v_mul_lo_u32 v3, v3, s21
	v_mul_lo_u32 v4, v4, s23
	s_delay_alu instid0(VALU_DEP_1) | instskip(NEXT) | instid1(VALU_DEP_1)
	v_sub_nc_u32_e32 v3, v3, v4
	v_cmp_lt_u32_e64 s0, s43, v3
	s_and_b32 s2, s0, exec_lo
.LBB1990_102:
	s_wait_alu 0xfffe
	s_or_b32 exec_lo, exec_lo, s3
	v_lshrrev_b32_e32 v3, 8, v2
	s_wait_alu 0xfffd
	v_cndmask_b32_e64 v4, 0, 1, vcc_lo
	v_lshrrev_b32_e32 v5, 16, v2
	v_and_b32_e32 v2, 0xff, v2
	v_cndmask_b32_e64 v45, 0, 1, s2
	v_lshlrev_b16 v3, 8, v3
	v_lshlrev_b16 v4, 8, v4
	v_and_b32_e32 v5, 0xff, v5
	s_delay_alu instid0(VALU_DEP_3) | instskip(NEXT) | instid1(VALU_DEP_2)
	v_or_b32_e32 v2, v2, v3
	v_or_b32_e32 v3, v5, v4
	s_delay_alu instid0(VALU_DEP_2) | instskip(NEXT) | instid1(VALU_DEP_2)
	v_and_b32_e32 v2, 0xffff, v2
	v_lshlrev_b32_e32 v3, 16, v3
	s_delay_alu instid0(VALU_DEP_1)
	v_or_b32_e32 v47, v2, v3
.LBB1990_103:
	s_or_b32 exec_lo, exec_lo, s1
	v_add_nc_u32_e32 v4, 12, v41
	v_lshrrev_b32_e32 v2, 8, v1
	v_lshrrev_b32_e32 v3, 16, v1
	;; [unrolled: 1-line block ×3, first 2 shown]
	s_mov_b32 s0, exec_lo
                                        ; implicit-def: $vgpr49
	v_cmpx_le_u32_e64 s33, v4
	s_xor_b32 s0, exec_lo, s0
	s_cbranch_execz .LBB1990_105
; %bb.104:
	v_lshlrev_b16 v1, 8, v1
	v_and_b32_e32 v3, 0xff, v3
	v_lshlrev_b16 v2, 8, v2
	s_delay_alu instid0(VALU_DEP_2) | instskip(NEXT) | instid1(VALU_DEP_2)
	v_or_b32_e32 v1, v3, v1
	v_and_b32_e32 v2, 0xffff, v2
                                        ; implicit-def: $vgpr3
	s_delay_alu instid0(VALU_DEP_2) | instskip(NEXT) | instid1(VALU_DEP_1)
	v_lshlrev_b32_e32 v1, 16, v1
	v_or_b32_e32 v49, v2, v1
                                        ; implicit-def: $vgpr1
                                        ; implicit-def: $vgpr2
.LBB1990_105:
	s_or_saveexec_b32 s1, s0
	v_mov_b32_e32 v48, 0
	s_xor_b32 exec_lo, exec_lo, s1
	s_cbranch_execz .LBB1990_109
; %bb.106:
	v_add_nc_u32_e32 v4, s17, v40
	v_add_nc_u32_e32 v5, s19, v40
	s_mov_b32 s2, 0
	s_mov_b32 s3, exec_lo
	s_delay_alu instid0(VALU_DEP_2) | instskip(NEXT) | instid1(VALU_DEP_2)
	v_mul_lo_u32 v4, v4, s16
	v_mul_lo_u32 v5, v5, s18
	s_delay_alu instid0(VALU_DEP_1) | instskip(NEXT) | instid1(VALU_DEP_1)
	v_sub_nc_u32_e32 v4, v4, v5
	v_cmp_lt_u32_e32 vcc_lo, s20, v4
	v_cmpx_ge_u32_e64 s20, v4
	s_cbranch_execz .LBB1990_108
; %bb.107:
	v_add_nc_u32_e32 v4, s22, v40
	v_add_nc_u32_e32 v5, s42, v40
	s_delay_alu instid0(VALU_DEP_2) | instskip(NEXT) | instid1(VALU_DEP_2)
	v_mul_lo_u32 v4, v4, s21
	v_mul_lo_u32 v5, v5, s23
	s_delay_alu instid0(VALU_DEP_1) | instskip(NEXT) | instid1(VALU_DEP_1)
	v_sub_nc_u32_e32 v4, v4, v5
	v_cmp_lt_u32_e64 s0, s43, v4
	s_and_b32 s2, s0, exec_lo
.LBB1990_108:
	s_wait_alu 0xfffe
	s_or_b32 exec_lo, exec_lo, s3
	s_wait_alu 0xfffd
	v_cndmask_b32_e64 v4, 0, 1, vcc_lo
	v_lshlrev_b16 v1, 8, v1
	v_and_b32_e32 v3, 0xff, v3
	v_lshlrev_b16 v2, 8, v2
	v_cndmask_b32_e64 v48, 0, 1, s2
	s_delay_alu instid0(VALU_DEP_3) | instskip(NEXT) | instid1(VALU_DEP_3)
	v_or_b32_e32 v1, v3, v1
	v_or_b32_e32 v2, v4, v2
	s_delay_alu instid0(VALU_DEP_2) | instskip(NEXT) | instid1(VALU_DEP_2)
	v_lshlrev_b32_e32 v1, 16, v1
	v_and_b32_e32 v2, 0xffff, v2
	s_delay_alu instid0(VALU_DEP_1)
	v_or_b32_e32 v49, v2, v1
.LBB1990_109:
	s_or_b32 exec_lo, exec_lo, s1
.LBB1990_110:
	v_and_b32_e32 v72, 0xff, v42
	s_delay_alu instid0(VALU_DEP_2)
	v_bfe_u32 v73, v49, 8, 8
	v_bfe_u32 v70, v42, 8, 8
	;; [unrolled: 1-line block ×4, first 2 shown]
	v_lshrrev_b32_e32 v55, 24, v49
	v_lshrrev_b32_e32 v54, 24, v42
	v_and_b32_e32 v68, 0xff, v43
	v_and_b32_e32 v66, 0xff, v44
	v_bfe_u32 v67, v43, 8, 8
	v_add3_u32 v1, v70, v72, v69
	v_add3_u32 v2, v71, v73, v55
	v_bfe_u32 v64, v44, 8, 8
	v_bfe_u32 v65, v43, 16, 8
	;; [unrolled: 1-line block ×3, first 2 shown]
	v_lshrrev_b32_e32 v53, 24, v43
	v_add3_u32 v1, v1, v54, v66
	v_add3_u32 v2, v2, v68, v67
	v_lshrrev_b32_e32 v52, 24, v44
	v_and_b32_e32 v63, 0xff, v46
	v_and_b32_e32 v61, 0xff, v47
	v_bfe_u32 v62, v46, 8, 8
	v_add3_u32 v1, v1, v64, v59
	v_add3_u32 v2, v2, v65, v53
	v_bfe_u32 v58, v47, 8, 8
	v_bfe_u32 v60, v46, 16, 8
	;; [unrolled: 1-line block ×3, first 2 shown]
	v_lshrrev_b32_e32 v51, 24, v46
	v_add3_u32 v1, v1, v52, v61
	v_add3_u32 v2, v2, v63, v62
	v_mbcnt_lo_u32_b32 v74, -1, 0
	v_lshrrev_b32_e32 v50, 24, v47
	v_and_b32_e32 v57, 0xff, v45
	v_and_b32_e32 v3, 0xff, v49
	;; [unrolled: 1-line block ×3, first 2 shown]
	v_add3_u32 v1, v1, v58, v56
	v_add3_u32 v2, v2, v60, v51
	v_and_b32_e32 v76, 15, v74
	v_and_b32_e32 v78, 16, v74
	v_lshrrev_b32_e32 v75, 5, v0
	v_add3_u32 v79, v1, v50, v3
	v_add3_u32 v80, v2, v57, v4
	v_cmp_eq_u32_e64 s1, 0, v76
	v_cmp_lt_u32_e64 s0, 1, v76
	v_cmp_lt_u32_e64 s2, 3, v76
	v_or_b32_e32 v77, 31, v0
	s_cmp_lg_u32 ttmp9, 0
	s_mov_b32 s3, -1
	v_cmp_lt_u32_e32 vcc_lo, 7, v76
	s_cbranch_scc0 .LBB1990_131
; %bb.111:
	v_mov_b32_dpp v2, v79 row_shr:1 row_mask:0xf bank_mask:0xf
	v_mov_b32_dpp v1, v80 row_shr:1 row_mask:0xf bank_mask:0xf
	s_mov_b32 s3, exec_lo
	s_delay_alu instid0(VALU_DEP_2) | instskip(NEXT) | instid1(VALU_DEP_2)
	v_add_nc_u32_e32 v2, v2, v79
	v_add_nc_u32_e32 v1, v1, v80
	s_delay_alu instid0(VALU_DEP_2) | instskip(NEXT) | instid1(VALU_DEP_2)
	v_cndmask_b32_e64 v2, v2, v79, s1
	v_cndmask_b32_e64 v1, v1, v80, s1
	s_delay_alu instid0(VALU_DEP_2) | instskip(NEXT) | instid1(VALU_DEP_2)
	v_mov_b32_dpp v4, v2 row_shr:2 row_mask:0xf bank_mask:0xf
	v_mov_b32_dpp v3, v1 row_shr:2 row_mask:0xf bank_mask:0xf
	s_delay_alu instid0(VALU_DEP_2) | instskip(NEXT) | instid1(VALU_DEP_1)
	v_add_nc_u32_e32 v4, v2, v4
	v_cndmask_b32_e64 v2, v2, v4, s0
	s_delay_alu instid0(VALU_DEP_1) | instskip(NEXT) | instid1(VALU_DEP_1)
	v_mov_b32_dpp v4, v2 row_shr:4 row_mask:0xf bank_mask:0xf
	v_add_nc_u32_e32 v4, v2, v4
	s_wait_alu 0xf1ff
	s_delay_alu instid0(VALU_DEP_1) | instskip(NEXT) | instid1(VALU_DEP_1)
	v_cndmask_b32_e64 v2, v2, v4, s2
	v_mov_b32_dpp v4, v2 row_shr:8 row_mask:0xf bank_mask:0xf
	s_delay_alu instid0(VALU_DEP_1) | instskip(SKIP_1) | instid1(VALU_DEP_1)
	v_add_nc_u32_e32 v4, v2, v4
	s_wait_alu 0xfffd
	v_dual_cndmask_b32 v2, v2, v4 :: v_dual_add_nc_u32 v3, v1, v3
	s_delay_alu instid0(VALU_DEP_1) | instskip(SKIP_2) | instid1(VALU_DEP_1)
	v_cndmask_b32_e64 v1, v1, v3, s0
	ds_swizzle_b32 v4, v2 offset:swizzle(BROADCAST,32,15)
	v_mov_b32_dpp v3, v1 row_shr:4 row_mask:0xf bank_mask:0xf
	v_add_nc_u32_e32 v3, v1, v3
	s_delay_alu instid0(VALU_DEP_1) | instskip(NEXT) | instid1(VALU_DEP_1)
	v_cndmask_b32_e64 v1, v1, v3, s2
	v_mov_b32_dpp v3, v1 row_shr:8 row_mask:0xf bank_mask:0xf
	s_wait_dscnt 0x0
	v_add_nc_u32_e32 v4, v2, v4
	s_delay_alu instid0(VALU_DEP_2) | instskip(NEXT) | instid1(VALU_DEP_1)
	v_add_nc_u32_e32 v3, v1, v3
	v_cndmask_b32_e32 v1, v1, v3, vcc_lo
	v_cmp_eq_u32_e32 vcc_lo, 0, v78
	ds_swizzle_b32 v3, v1 offset:swizzle(BROADCAST,32,15)
	s_wait_dscnt 0x0
	v_add_nc_u32_e32 v3, v1, v3
	v_cmpx_eq_u32_e64 v0, v77
; %bb.112:
	s_wait_alu 0xfffd
	s_delay_alu instid0(VALU_DEP_2)
	v_dual_cndmask_b32 v6, v3, v1 :: v_dual_lshlrev_b32 v7, 3, v75
	v_cndmask_b32_e32 v5, v4, v2, vcc_lo
	ds_store_b64 v7, v[5:6]
; %bb.113:
	s_wait_alu 0xfffe
	s_or_b32 exec_lo, exec_lo, s3
	s_delay_alu instid0(SALU_CYCLE_1)
	s_mov_b32 s3, exec_lo
	s_wait_loadcnt_dscnt 0x0
	s_barrier_signal -1
	s_barrier_wait -1
	global_inv scope:SCOPE_SE
	v_cmpx_gt_u32_e32 8, v0
	s_cbranch_execz .LBB1990_115
; %bb.114:
	v_lshlrev_b32_e32 v7, 3, v0
	v_and_b32_e32 v22, 7, v74
	ds_load_b64 v[5:6], v7
	v_cmp_eq_u32_e64 s2, 0, v22
	s_wait_dscnt 0x0
	v_mov_b32_dpp v8, v5 row_shr:1 row_mask:0xf bank_mask:0xf
	v_mov_b32_dpp v21, v6 row_shr:1 row_mask:0xf bank_mask:0xf
	s_delay_alu instid0(VALU_DEP_2) | instskip(NEXT) | instid1(VALU_DEP_2)
	v_add_nc_u32_e32 v8, v8, v5
	v_add_nc_u32_e32 v21, v21, v6
	s_wait_alu 0xf1ff
	s_delay_alu instid0(VALU_DEP_2) | instskip(NEXT) | instid1(VALU_DEP_2)
	v_cndmask_b32_e64 v5, v8, v5, s2
	v_cndmask_b32_e64 v6, v21, v6, s2
	v_cmp_lt_u32_e64 s2, 1, v22
	s_delay_alu instid0(VALU_DEP_3) | instskip(NEXT) | instid1(VALU_DEP_3)
	v_mov_b32_dpp v8, v5 row_shr:2 row_mask:0xf bank_mask:0xf
	v_mov_b32_dpp v21, v6 row_shr:2 row_mask:0xf bank_mask:0xf
	s_delay_alu instid0(VALU_DEP_2) | instskip(NEXT) | instid1(VALU_DEP_2)
	v_add_nc_u32_e32 v8, v5, v8
	v_add_nc_u32_e32 v21, v6, v21
	s_wait_alu 0xf1ff
	s_delay_alu instid0(VALU_DEP_2) | instskip(NEXT) | instid1(VALU_DEP_2)
	v_cndmask_b32_e64 v5, v5, v8, s2
	v_cndmask_b32_e64 v6, v6, v21, s2
	v_cmp_lt_u32_e64 s2, 3, v22
	s_delay_alu instid0(VALU_DEP_3) | instskip(NEXT) | instid1(VALU_DEP_3)
	v_mov_b32_dpp v8, v5 row_shr:4 row_mask:0xf bank_mask:0xf
	v_mov_b32_dpp v21, v6 row_shr:4 row_mask:0xf bank_mask:0xf
	s_wait_alu 0xf1ff
	s_delay_alu instid0(VALU_DEP_2) | instskip(NEXT) | instid1(VALU_DEP_2)
	v_cndmask_b32_e64 v8, 0, v8, s2
	v_cndmask_b32_e64 v21, 0, v21, s2
	s_delay_alu instid0(VALU_DEP_2) | instskip(NEXT) | instid1(VALU_DEP_2)
	v_add_nc_u32_e32 v5, v8, v5
	v_add_nc_u32_e32 v6, v21, v6
	ds_store_b64 v7, v[5:6]
.LBB1990_115:
	s_wait_alu 0xfffe
	s_or_b32 exec_lo, exec_lo, s3
	v_dual_cndmask_b32 v1, v3, v1 :: v_dual_cndmask_b32 v2, v4, v2
	s_mov_b32 s3, exec_lo
	v_cmp_gt_u32_e32 vcc_lo, 32, v0
	s_wait_loadcnt_dscnt 0x0
	s_barrier_signal -1
	s_barrier_wait -1
	global_inv scope:SCOPE_SE
                                        ; implicit-def: $vgpr21
	v_cmpx_lt_u32_e32 31, v0
	s_cbranch_execz .LBB1990_117
; %bb.116:
	v_lshl_add_u32 v3, v75, 3, -8
	ds_load_b64 v[21:22], v3
	s_wait_dscnt 0x0
	v_add_nc_u32_e32 v1, v22, v1
	v_add_nc_u32_e32 v2, v21, v2
.LBB1990_117:
	s_wait_alu 0xfffe
	s_or_b32 exec_lo, exec_lo, s3
	v_sub_co_u32 v3, s2, v74, 1
	s_delay_alu instid0(VALU_DEP_1) | instskip(SKIP_1) | instid1(VALU_DEP_1)
	v_cmp_gt_i32_e64 s3, 0, v3
	s_wait_alu 0xf1ff
	v_cndmask_b32_e64 v3, v3, v74, s3
	s_delay_alu instid0(VALU_DEP_1)
	v_lshlrev_b32_e32 v3, 2, v3
	ds_bpermute_b32 v81, v3, v2
	ds_bpermute_b32 v82, v3, v1
	s_and_saveexec_b32 s3, vcc_lo
	s_cbranch_execz .LBB1990_136
; %bb.118:
	v_mov_b32_e32 v4, 0
	ds_load_b64 v[1:2], v4 offset:56
	s_and_saveexec_b32 s6, s2
	s_cbranch_execz .LBB1990_120
; %bb.119:
	s_add_co_i32 s8, ttmp9, 32
	s_mov_b32 s9, 0
	s_wait_alu 0xfffe
	s_lshl_b64 s[8:9], s[8:9], 4
	s_wait_kmcnt 0x0
	s_wait_alu 0xfffe
	s_add_nc_u64 s[8:9], s[4:5], s[8:9]
	v_mov_b32_e32 v3, 1
	s_wait_alu 0xfffe
	v_dual_mov_b32 v5, s8 :: v_dual_mov_b32 v6, s9
	s_wait_dscnt 0x0
	;;#ASMSTART
	global_store_b128 v[5:6], v[1:4] off scope:SCOPE_DEV	
s_wait_storecnt 0x0
	;;#ASMEND
.LBB1990_120:
	s_wait_alu 0xfffe
	s_or_b32 exec_lo, exec_lo, s6
	v_xad_u32 v23, v74, -1, ttmp9
	s_mov_b32 s7, 0
	s_mov_b32 s6, exec_lo
	s_delay_alu instid0(VALU_DEP_1) | instskip(NEXT) | instid1(VALU_DEP_1)
	v_add_nc_u32_e32 v3, 32, v23
	v_lshlrev_b64_e32 v[3:4], 4, v[3:4]
	s_wait_kmcnt 0x0
	s_delay_alu instid0(VALU_DEP_1) | instskip(SKIP_1) | instid1(VALU_DEP_2)
	v_add_co_u32 v3, vcc_lo, s4, v3
	s_wait_alu 0xfffd
	v_add_co_ci_u32_e64 v4, null, s5, v4, vcc_lo
	;;#ASMSTART
	global_load_b128 v[5:8], v[3:4] off scope:SCOPE_DEV	
s_wait_loadcnt 0x0
	;;#ASMEND
	v_and_b32_e32 v8, 0xff, v7
	s_delay_alu instid0(VALU_DEP_1)
	v_cmpx_eq_u16_e32 0, v8
	s_cbranch_execz .LBB1990_123
.LBB1990_121:                           ; =>This Inner Loop Header: Depth=1
	;;#ASMSTART
	global_load_b128 v[5:8], v[3:4] off scope:SCOPE_DEV	
s_wait_loadcnt 0x0
	;;#ASMEND
	v_and_b32_e32 v8, 0xff, v7
	s_delay_alu instid0(VALU_DEP_1)
	v_cmp_ne_u16_e32 vcc_lo, 0, v8
	s_wait_alu 0xfffe
	s_or_b32 s7, vcc_lo, s7
	s_wait_alu 0xfffe
	s_and_not1_b32 exec_lo, exec_lo, s7
	s_cbranch_execnz .LBB1990_121
; %bb.122:
	s_or_b32 exec_lo, exec_lo, s7
.LBB1990_123:
	s_wait_alu 0xfffe
	s_or_b32 exec_lo, exec_lo, s6
	v_cmp_ne_u32_e32 vcc_lo, 31, v74
	v_lshlrev_b32_e64 v84, v74, -1
	v_add_nc_u32_e32 v86, 2, v74
	v_add_nc_u32_e32 v88, 4, v74
	;; [unrolled: 1-line block ×3, first 2 shown]
	s_wait_alu 0xfffd
	v_add_co_ci_u32_e64 v3, null, 0, v74, vcc_lo
	v_lshl_or_b32 v91, v74, 2, 64
	v_add_nc_u32_e32 v92, 16, v74
	s_delay_alu instid0(VALU_DEP_3)
	v_lshlrev_b32_e32 v83, 2, v3
	v_and_b32_e32 v3, 0xff, v7
	ds_bpermute_b32 v4, v83, v6
	v_cmp_eq_u16_e32 vcc_lo, 2, v3
	s_wait_alu 0xfffd
	v_and_b32_e32 v8, vcc_lo, v84
	v_cmp_gt_u32_e32 vcc_lo, 30, v74
	s_delay_alu instid0(VALU_DEP_2) | instskip(SKIP_2) | instid1(VALU_DEP_2)
	v_or_b32_e32 v8, 0x80000000, v8
	s_wait_alu 0xfffd
	v_cndmask_b32_e64 v24, 0, 2, vcc_lo
	v_ctz_i32_b32_e32 v8, v8
	s_delay_alu instid0(VALU_DEP_2) | instskip(SKIP_2) | instid1(VALU_DEP_3)
	v_add_lshl_u32 v85, v24, v74, 2
	s_wait_dscnt 0x0
	v_add_nc_u32_e32 v4, v4, v6
	v_cmp_lt_u32_e32 vcc_lo, v74, v8
	s_wait_alu 0xfffd
	s_delay_alu instid0(VALU_DEP_2) | instskip(SKIP_3) | instid1(VALU_DEP_1)
	v_cndmask_b32_e32 v4, v6, v4, vcc_lo
	ds_bpermute_b32 v3, v83, v5
	s_wait_dscnt 0x0
	v_add_nc_u32_e32 v3, v3, v5
	v_cndmask_b32_e32 v3, v5, v3, vcc_lo
	ds_bpermute_b32 v5, v85, v4
	v_cmp_gt_u32_e32 vcc_lo, 28, v74
	ds_bpermute_b32 v6, v85, v3
	s_wait_alu 0xfffd
	v_cndmask_b32_e64 v24, 0, 4, vcc_lo
	v_cmp_gt_u32_e32 vcc_lo, v86, v8
	s_delay_alu instid0(VALU_DEP_2)
	v_add_lshl_u32 v87, v24, v74, 2
	s_wait_dscnt 0x1
	v_add_nc_u32_e32 v5, v4, v5
	s_wait_dscnt 0x0
	v_add_nc_u32_e32 v6, v3, v6
	s_wait_alu 0xfffd
	s_delay_alu instid0(VALU_DEP_1)
	v_dual_cndmask_b32 v4, v5, v4 :: v_dual_cndmask_b32 v3, v6, v3
	ds_bpermute_b32 v5, v87, v4
	v_cmp_gt_u32_e32 vcc_lo, 24, v74
	ds_bpermute_b32 v6, v87, v3
	s_wait_alu 0xfffd
	v_cndmask_b32_e64 v24, 0, 8, vcc_lo
	v_cmp_gt_u32_e32 vcc_lo, v88, v8
	s_delay_alu instid0(VALU_DEP_2)
	v_add_lshl_u32 v89, v24, v74, 2
	s_wait_dscnt 0x1
	v_dual_mov_b32 v24, 0 :: v_dual_add_nc_u32 v5, v4, v5
	s_wait_dscnt 0x0
	v_add_nc_u32_e32 v6, v3, v6
	s_wait_alu 0xfffd
	s_delay_alu instid0(VALU_DEP_1)
	v_dual_cndmask_b32 v4, v5, v4 :: v_dual_cndmask_b32 v3, v6, v3
	ds_bpermute_b32 v5, v89, v4
	v_cmp_gt_u32_e32 vcc_lo, v90, v8
	ds_bpermute_b32 v6, v89, v3
	s_wait_dscnt 0x1
	v_add_nc_u32_e32 v5, v4, v5
	s_wait_dscnt 0x0
	v_add_nc_u32_e32 v6, v3, v6
	s_wait_alu 0xfffd
	s_delay_alu instid0(VALU_DEP_1)
	v_dual_cndmask_b32 v4, v5, v4 :: v_dual_cndmask_b32 v3, v6, v3
	ds_bpermute_b32 v6, v91, v4
	v_cmp_le_u32_e32 vcc_lo, v92, v8
	ds_bpermute_b32 v5, v91, v3
	s_wait_dscnt 0x0
	s_wait_alu 0xfffd
	v_dual_cndmask_b32 v6, 0, v6 :: v_dual_cndmask_b32 v5, 0, v5
	s_delay_alu instid0(VALU_DEP_1) | instskip(NEXT) | instid1(VALU_DEP_2)
	v_add_nc_u32_e32 v6, v6, v4
	v_add_nc_u32_e32 v5, v5, v3
	s_branch .LBB1990_127
.LBB1990_124:                           ;   in Loop: Header=BB1990_127 Depth=1
	s_or_b32 exec_lo, exec_lo, s7
.LBB1990_125:                           ;   in Loop: Header=BB1990_127 Depth=1
	s_wait_alu 0xfffe
	s_or_b32 exec_lo, exec_lo, s6
	ds_bpermute_b32 v8, v83, v5
	ds_bpermute_b32 v25, v83, v6
	v_subrev_nc_u32_e32 v23, 32, v23
	s_mov_b32 s6, 0
	s_wait_dscnt 0x1
	v_add_nc_u32_e32 v8, v8, v5
	v_and_b32_e32 v26, 0xff, v7
	s_wait_dscnt 0x0
	v_add_nc_u32_e32 v25, v25, v6
	s_delay_alu instid0(VALU_DEP_2) | instskip(SKIP_2) | instid1(VALU_DEP_1)
	v_cmp_eq_u16_e32 vcc_lo, 2, v26
	s_wait_alu 0xfffd
	v_and_or_b32 v26, vcc_lo, v84, 0x80000000
	v_ctz_i32_b32_e32 v26, v26
	s_delay_alu instid0(VALU_DEP_1)
	v_cmp_lt_u32_e32 vcc_lo, v74, v26
	s_wait_alu 0xfffd
	v_dual_cndmask_b32 v6, v6, v25 :: v_dual_cndmask_b32 v5, v5, v8
	v_cmp_gt_u32_e32 vcc_lo, v86, v26
	ds_bpermute_b32 v25, v85, v6
	ds_bpermute_b32 v8, v85, v5
	s_wait_dscnt 0x1
	v_add_nc_u32_e32 v25, v6, v25
	s_wait_dscnt 0x0
	v_add_nc_u32_e32 v8, v5, v8
	s_wait_alu 0xfffd
	s_delay_alu instid0(VALU_DEP_1)
	v_dual_cndmask_b32 v6, v25, v6 :: v_dual_cndmask_b32 v5, v8, v5
	v_cmp_gt_u32_e32 vcc_lo, v88, v26
	ds_bpermute_b32 v25, v87, v6
	ds_bpermute_b32 v8, v87, v5
	s_wait_dscnt 0x1
	v_add_nc_u32_e32 v25, v6, v25
	s_wait_dscnt 0x0
	v_add_nc_u32_e32 v8, v5, v8
	s_wait_alu 0xfffd
	s_delay_alu instid0(VALU_DEP_1)
	v_dual_cndmask_b32 v6, v25, v6 :: v_dual_cndmask_b32 v5, v8, v5
	v_cmp_gt_u32_e32 vcc_lo, v90, v26
	ds_bpermute_b32 v25, v89, v6
	ds_bpermute_b32 v8, v89, v5
	s_wait_dscnt 0x1
	v_add_nc_u32_e32 v25, v6, v25
	s_wait_dscnt 0x0
	v_add_nc_u32_e32 v8, v5, v8
	s_wait_alu 0xfffd
	s_delay_alu instid0(VALU_DEP_1)
	v_dual_cndmask_b32 v6, v25, v6 :: v_dual_cndmask_b32 v5, v8, v5
	v_cmp_le_u32_e32 vcc_lo, v92, v26
	ds_bpermute_b32 v25, v91, v6
	ds_bpermute_b32 v8, v91, v5
	s_wait_dscnt 0x0
	s_wait_alu 0xfffd
	v_dual_cndmask_b32 v25, 0, v25 :: v_dual_cndmask_b32 v8, 0, v8
	s_delay_alu instid0(VALU_DEP_1) | instskip(NEXT) | instid1(VALU_DEP_2)
	v_add3_u32 v6, v6, v4, v25
	v_add3_u32 v5, v5, v3, v8
.LBB1990_126:                           ;   in Loop: Header=BB1990_127 Depth=1
	s_wait_alu 0xfffe
	s_and_b32 vcc_lo, exec_lo, s6
	s_wait_alu 0xfffe
	s_cbranch_vccnz .LBB1990_132
.LBB1990_127:                           ; =>This Loop Header: Depth=1
                                        ;     Child Loop BB1990_130 Depth 2
	v_and_b32_e32 v3, 0xff, v7
	s_mov_b32 s6, -1
                                        ; implicit-def: $vgpr7
	s_delay_alu instid0(VALU_DEP_1)
	v_cmp_ne_u16_e32 vcc_lo, 2, v3
	v_dual_mov_b32 v3, v5 :: v_dual_mov_b32 v4, v6
                                        ; implicit-def: $vgpr5_vgpr6
	s_cmp_lg_u32 vcc_lo, exec_lo
	s_cbranch_scc1 .LBB1990_126
; %bb.128:                              ;   in Loop: Header=BB1990_127 Depth=1
	v_lshlrev_b64_e32 v[5:6], 4, v[23:24]
	s_mov_b32 s6, exec_lo
	s_delay_alu instid0(VALU_DEP_1) | instskip(SKIP_1) | instid1(VALU_DEP_2)
	v_add_co_u32 v25, vcc_lo, s4, v5
	s_wait_alu 0xfffd
	v_add_co_ci_u32_e64 v26, null, s5, v6, vcc_lo
	;;#ASMSTART
	global_load_b128 v[5:8], v[25:26] off scope:SCOPE_DEV	
s_wait_loadcnt 0x0
	;;#ASMEND
	v_and_b32_e32 v8, 0xff, v7
	s_delay_alu instid0(VALU_DEP_1)
	v_cmpx_eq_u16_e32 0, v8
	s_cbranch_execz .LBB1990_125
; %bb.129:                              ;   in Loop: Header=BB1990_127 Depth=1
	s_mov_b32 s7, 0
.LBB1990_130:                           ;   Parent Loop BB1990_127 Depth=1
                                        ; =>  This Inner Loop Header: Depth=2
	;;#ASMSTART
	global_load_b128 v[5:8], v[25:26] off scope:SCOPE_DEV	
s_wait_loadcnt 0x0
	;;#ASMEND
	v_and_b32_e32 v8, 0xff, v7
	s_delay_alu instid0(VALU_DEP_1)
	v_cmp_ne_u16_e32 vcc_lo, 0, v8
	s_wait_alu 0xfffe
	s_or_b32 s7, vcc_lo, s7
	s_wait_alu 0xfffe
	s_and_not1_b32 exec_lo, exec_lo, s7
	s_cbranch_execnz .LBB1990_130
	s_branch .LBB1990_124
.LBB1990_131:
                                        ; implicit-def: $vgpr81
                                        ; implicit-def: $vgpr3
                                        ; implicit-def: $vgpr82
	s_wait_alu 0xfffe
	s_and_b32 vcc_lo, exec_lo, s3
	s_wait_alu 0xfffe
	s_cbranch_vccnz .LBB1990_137
	s_branch .LBB1990_146
.LBB1990_132:
	s_and_saveexec_b32 s6, s2
	s_cbranch_execnz .LBB1990_374
; %bb.133:
	s_wait_alu 0xfffe
	s_or_b32 exec_lo, exec_lo, s6
	s_and_saveexec_b32 s6, s2
	s_cbranch_execnz .LBB1990_375
.LBB1990_134:
	s_wait_alu 0xfffe
	s_or_b32 exec_lo, exec_lo, s6
	v_cmp_eq_u32_e32 vcc_lo, 0, v0
	s_and_b32 exec_lo, exec_lo, vcc_lo
.LBB1990_135:
	v_mov_b32_e32 v1, 0
	ds_store_b64 v1, v[3:4] offset:56
.LBB1990_136:
	s_wait_alu 0xfffe
	s_or_b32 exec_lo, exec_lo, s3
	s_wait_dscnt 0x0
	v_cndmask_b32_e64 v8, v82, v22, s2
	v_mov_b32_e32 v1, 0
	s_wait_loadcnt 0x0
	s_barrier_signal -1
	s_barrier_wait -1
	global_inv scope:SCOPE_SE
	ds_load_b64 v[5:6], v1 offset:56
	s_wait_loadcnt_dscnt 0x0
	s_barrier_signal -1
	s_barrier_wait -1
	global_inv scope:SCOPE_SE
	v_cndmask_b32_e64 v7, v81, v21, s2
	v_cmp_eq_u32_e32 vcc_lo, 0, v0
	v_add_nc_u32_e32 v8, v6, v8
	ds_load_b128 v[1:4], v1 offset:13312
	v_add_nc_u32_e32 v7, v5, v7
	s_wait_alu 0xfffd
	s_delay_alu instid0(VALU_DEP_1)
	v_dual_cndmask_b32 v81, v8, v6 :: v_dual_cndmask_b32 v82, v7, v5
	s_branch .LBB1990_146
.LBB1990_137:
	s_wait_dscnt 0x0
	v_mov_b32_dpp v2, v80 row_shr:1 row_mask:0xf bank_mask:0xf
	v_cmp_lt_u32_e32 vcc_lo, 3, v76
	v_mov_b32_dpp v1, v79 row_shr:1 row_mask:0xf bank_mask:0xf
	s_delay_alu instid0(VALU_DEP_3) | instskip(NEXT) | instid1(VALU_DEP_1)
	v_add_nc_u32_e32 v2, v2, v80
	v_cndmask_b32_e64 v2, v2, v80, s1
	s_delay_alu instid0(VALU_DEP_1) | instskip(NEXT) | instid1(VALU_DEP_1)
	v_mov_b32_dpp v4, v2 row_shr:2 row_mask:0xf bank_mask:0xf
	v_add_nc_u32_e32 v4, v2, v4
	s_delay_alu instid0(VALU_DEP_1) | instskip(NEXT) | instid1(VALU_DEP_1)
	v_cndmask_b32_e64 v2, v2, v4, s0
	v_mov_b32_dpp v4, v2 row_shr:4 row_mask:0xf bank_mask:0xf
	s_delay_alu instid0(VALU_DEP_1) | instskip(SKIP_1) | instid1(VALU_DEP_1)
	v_add_nc_u32_e32 v4, v2, v4
	s_wait_alu 0xfffd
	v_dual_cndmask_b32 v2, v2, v4 :: v_dual_add_nc_u32 v1, v1, v79
	s_delay_alu instid0(VALU_DEP_1) | instskip(SKIP_1) | instid1(VALU_DEP_2)
	v_cndmask_b32_e64 v1, v1, v79, s1
	s_mov_b32 s1, exec_lo
	v_mov_b32_dpp v4, v2 row_shr:8 row_mask:0xf bank_mask:0xf
	s_delay_alu instid0(VALU_DEP_2) | instskip(NEXT) | instid1(VALU_DEP_1)
	v_mov_b32_dpp v3, v1 row_shr:2 row_mask:0xf bank_mask:0xf
	v_add_nc_u32_e32 v3, v1, v3
	s_delay_alu instid0(VALU_DEP_1) | instskip(NEXT) | instid1(VALU_DEP_1)
	v_cndmask_b32_e64 v1, v1, v3, s0
	v_mov_b32_dpp v3, v1 row_shr:4 row_mask:0xf bank_mask:0xf
	s_delay_alu instid0(VALU_DEP_1) | instskip(NEXT) | instid1(VALU_DEP_1)
	v_add_nc_u32_e32 v3, v1, v3
	v_cndmask_b32_e32 v3, v1, v3, vcc_lo
	v_cmp_lt_u32_e32 vcc_lo, 7, v76
	s_delay_alu instid0(VALU_DEP_2) | instskip(NEXT) | instid1(VALU_DEP_1)
	v_mov_b32_dpp v1, v3 row_shr:8 row_mask:0xf bank_mask:0xf
	v_add_nc_u32_e32 v5, v3, v1
	v_add_nc_u32_e32 v1, v2, v4
	s_wait_alu 0xfffd
	s_delay_alu instid0(VALU_DEP_1) | instskip(NEXT) | instid1(VALU_DEP_3)
	v_cndmask_b32_e32 v1, v2, v1, vcc_lo
	v_cndmask_b32_e32 v2, v3, v5, vcc_lo
	v_cmp_eq_u32_e32 vcc_lo, 0, v78
	ds_swizzle_b32 v3, v1 offset:swizzle(BROADCAST,32,15)
	ds_swizzle_b32 v4, v2 offset:swizzle(BROADCAST,32,15)
	s_wait_dscnt 0x1
	v_add_nc_u32_e32 v3, v1, v3
	s_wait_dscnt 0x0
	v_add_nc_u32_e32 v4, v2, v4
	v_cmpx_eq_u32_e64 v0, v77
; %bb.138:
	s_wait_alu 0xfffd
	s_delay_alu instid0(VALU_DEP_2)
	v_dual_cndmask_b32 v5, v4, v2 :: v_dual_cndmask_b32 v6, v3, v1
	v_lshlrev_b32_e32 v7, 3, v75
	ds_store_b64 v7, v[5:6]
; %bb.139:
	s_wait_alu 0xfffe
	s_or_b32 exec_lo, exec_lo, s1
	s_delay_alu instid0(SALU_CYCLE_1)
	s_mov_b32 s1, exec_lo
	s_wait_loadcnt_dscnt 0x0
	s_barrier_signal -1
	s_barrier_wait -1
	global_inv scope:SCOPE_SE
	v_cmpx_gt_u32_e32 8, v0
	s_cbranch_execz .LBB1990_141
; %bb.140:
	v_lshlrev_b32_e32 v7, 3, v0
	v_and_b32_e32 v22, 7, v74
	ds_load_b64 v[5:6], v7
	v_cmp_eq_u32_e64 s0, 0, v22
	s_wait_dscnt 0x0
	v_mov_b32_dpp v8, v5 row_shr:1 row_mask:0xf bank_mask:0xf
	v_mov_b32_dpp v21, v6 row_shr:1 row_mask:0xf bank_mask:0xf
	s_delay_alu instid0(VALU_DEP_2) | instskip(NEXT) | instid1(VALU_DEP_2)
	v_add_nc_u32_e32 v8, v8, v5
	v_add_nc_u32_e32 v21, v21, v6
	s_wait_alu 0xf1ff
	s_delay_alu instid0(VALU_DEP_2) | instskip(NEXT) | instid1(VALU_DEP_2)
	v_cndmask_b32_e64 v5, v8, v5, s0
	v_cndmask_b32_e64 v6, v21, v6, s0
	v_cmp_lt_u32_e64 s0, 1, v22
	s_delay_alu instid0(VALU_DEP_3) | instskip(NEXT) | instid1(VALU_DEP_3)
	v_mov_b32_dpp v8, v5 row_shr:2 row_mask:0xf bank_mask:0xf
	v_mov_b32_dpp v21, v6 row_shr:2 row_mask:0xf bank_mask:0xf
	s_delay_alu instid0(VALU_DEP_2) | instskip(NEXT) | instid1(VALU_DEP_2)
	v_add_nc_u32_e32 v8, v5, v8
	v_add_nc_u32_e32 v21, v6, v21
	s_wait_alu 0xf1ff
	s_delay_alu instid0(VALU_DEP_2) | instskip(NEXT) | instid1(VALU_DEP_2)
	v_cndmask_b32_e64 v5, v5, v8, s0
	v_cndmask_b32_e64 v6, v6, v21, s0
	v_cmp_lt_u32_e64 s0, 3, v22
	s_delay_alu instid0(VALU_DEP_3) | instskip(NEXT) | instid1(VALU_DEP_3)
	v_mov_b32_dpp v8, v5 row_shr:4 row_mask:0xf bank_mask:0xf
	v_mov_b32_dpp v21, v6 row_shr:4 row_mask:0xf bank_mask:0xf
	s_wait_alu 0xf1ff
	s_delay_alu instid0(VALU_DEP_2) | instskip(NEXT) | instid1(VALU_DEP_2)
	v_cndmask_b32_e64 v8, 0, v8, s0
	v_cndmask_b32_e64 v21, 0, v21, s0
	s_delay_alu instid0(VALU_DEP_2) | instskip(NEXT) | instid1(VALU_DEP_2)
	v_add_nc_u32_e32 v5, v8, v5
	v_add_nc_u32_e32 v6, v21, v6
	ds_store_b64 v7, v[5:6]
.LBB1990_141:
	s_wait_alu 0xfffe
	s_or_b32 exec_lo, exec_lo, s1
	v_dual_mov_b32 v7, 0 :: v_dual_mov_b32 v6, 0
	v_mov_b32_e32 v5, 0
	s_mov_b32 s1, exec_lo
	s_wait_loadcnt_dscnt 0x0
	s_barrier_signal -1
	s_barrier_wait -1
	global_inv scope:SCOPE_SE
	v_cmpx_lt_u32_e32 31, v0
; %bb.142:
	v_lshl_add_u32 v5, v75, 3, -8
	ds_load_b64 v[5:6], v5
; %bb.143:
	s_wait_alu 0xfffe
	s_or_b32 exec_lo, exec_lo, s1
	v_sub_co_u32 v8, s0, v74, 1
	v_dual_cndmask_b32 v2, v4, v2 :: v_dual_cndmask_b32 v1, v3, v1
	v_cmp_eq_u32_e32 vcc_lo, 0, v0
	s_delay_alu instid0(VALU_DEP_3) | instskip(SKIP_1) | instid1(VALU_DEP_3)
	v_cmp_gt_i32_e64 s1, 0, v8
	s_wait_dscnt 0x0
	v_add_nc_u32_e32 v2, v5, v2
	v_add_nc_u32_e32 v1, v6, v1
	s_wait_alu 0xf1ff
	v_cndmask_b32_e64 v4, v8, v74, s1
	s_delay_alu instid0(VALU_DEP_1)
	v_lshlrev_b32_e32 v3, 2, v4
	ds_bpermute_b32 v8, v3, v2
	ds_bpermute_b32 v21, v3, v1
	ds_load_b64 v[1:2], v7 offset:56
	s_and_saveexec_b32 s1, vcc_lo
	s_cbranch_execz .LBB1990_145
; %bb.144:
	s_wait_kmcnt 0x0
	s_add_nc_u64 s[2:3], s[4:5], 0x200
	v_dual_mov_b32 v3, 2 :: v_dual_mov_b32 v4, 0
	s_wait_alu 0xfffe
	v_dual_mov_b32 v23, s3 :: v_dual_mov_b32 v22, s2
	s_wait_dscnt 0x0
	;;#ASMSTART
	global_store_b128 v[22:23], v[1:4] off scope:SCOPE_DEV	
s_wait_storecnt 0x0
	;;#ASMEND
.LBB1990_145:
	s_wait_alu 0xfffe
	s_or_b32 exec_lo, exec_lo, s1
	s_wait_dscnt 0x1
	v_cndmask_b32_e64 v3, v21, v6, s0
	v_cndmask_b32_e64 v5, v8, v5, s0
	v_mov_b32_e32 v4, 0
	s_wait_loadcnt_dscnt 0x0
	s_barrier_signal -1
	v_cndmask_b32_e64 v81, v3, 0, vcc_lo
	v_cndmask_b32_e64 v82, v5, 0, vcc_lo
	v_mov_b32_e32 v3, 0
	s_barrier_wait -1
	global_inv scope:SCOPE_SE
.LBB1990_146:
	v_lshrrev_b32_e32 v77, 8, v49
	s_delay_alu instid0(VALU_DEP_2)
	v_add_nc_u32_e32 v73, v81, v73
	s_wait_dscnt 0x0
	v_sub_nc_u32_e32 v81, v81, v4
	v_lshlrev_b32_e32 v84, 1, v1
	v_lshrrev_b32_e32 v75, 16, v49
	v_and_b32_e32 v77, 1, v77
	v_add_nc_u32_e32 v71, v73, v71
	v_add_nc_u32_e32 v81, v81, v1
	v_add3_u32 v87, v84, v2, v41
	v_and_b32_e32 v75, 1, v75
	v_cmp_eq_u32_e32 vcc_lo, 1, v77
	v_add_nc_u32_e32 v72, v82, v72
	v_sub_nc_u32_e32 v82, v82, v3
	v_sub_nc_u32_e32 v73, v73, v4
	v_lshrrev_b32_e32 v76, 8, v42
	v_lshrrev_b32_e32 v74, 16, v42
	v_and_b32_e32 v42, 1, v42
	v_add_nc_u32_e32 v41, v82, v81
	v_add_nc_u32_e32 v73, v73, v1
	v_and_b32_e32 v76, 1, v76
	s_wait_kmcnt 0x0
	v_add_co_u32 v5, s0, s28, v3
	v_sub_nc_u32_e32 v41, v87, v41
	s_wait_alu 0xf1ff
	v_add_co_ci_u32_e64 v6, null, s29, 0, s0
	v_sub_co_u32 v80, s0, s30, v1
	s_wait_alu 0xfffd
	v_cndmask_b32_e32 v41, v41, v81, vcc_lo
	v_cmp_eq_u32_e32 vcc_lo, 1, v75
	v_add_nc_u32_e32 v78, v71, v55
	v_sub_nc_u32_e32 v71, v71, v4
	s_wait_alu 0xf1ff
	v_sub_co_ci_u32_e64 v83, null, s31, 0, s0
	v_and_b32_e32 v55, 1, v55
	v_and_b32_e32 v74, 1, v74
	v_add_nc_u32_e32 v71, v71, v1
	v_add_nc_u32_e32 v70, v72, v70
	v_sub_nc_u32_e32 v72, v72, v3
	v_lshrrev_b32_e32 v26, 8, v43
	v_lshrrev_b32_e32 v25, 16, v43
	v_and_b32_e32 v43, 1, v43
	v_lshrrev_b32_e32 v23, 16, v44
	v_add_nc_u32_e32 v88, v73, v72
	v_and_b32_e32 v26, 1, v26
	v_lshrrev_b32_e32 v24, 8, v44
	v_and_b32_e32 v44, 1, v44
	v_lshrrev_b32_e32 v8, 16, v46
	v_sub_nc_u32_e32 v88, v87, v88
	v_lshrrev_b32_e32 v22, 8, v46
	v_and_b32_e32 v24, 1, v24
	v_lshrrev_b32_e32 v21, 8, v47
	v_and_b32_e32 v8, 1, v8
	v_add_nc_u32_e32 v88, 1, v88
	v_and_b32_e32 v22, 1, v22
	v_lshrrev_b32_e32 v7, 16, v47
	s_mov_b32 s41, 0
	s_wait_alu 0xfffd
	v_cndmask_b32_e32 v73, v88, v73, vcc_lo
	v_cmp_eq_u32_e32 vcc_lo, 1, v42
	v_add_nc_u32_e32 v68, v78, v68
	v_and_b32_e32 v7, 1, v7
	s_wait_alu 0xfffd
	v_cndmask_b32_e32 v81, v41, v82, vcc_lo
	v_cmp_eq_u32_e32 vcc_lo, 1, v76
	v_add_nc_u32_e32 v69, v70, v69
	v_sub_nc_u32_e32 v70, v70, v3
	v_sub_nc_u32_e32 v76, v78, v4
	s_wait_alu 0xfffd
	v_dual_cndmask_b32 v72, v73, v72 :: v_dual_add_nc_u32 v67, v68, v67
	v_add_co_u32 v41, vcc_lo, v80, v4
	v_add_nc_u32_e32 v75, v71, v70
	s_wait_alu 0xfffd
	v_add_co_ci_u32_e64 v42, null, 0, v83, vcc_lo
	v_cmp_eq_u32_e32 vcc_lo, 1, v55
	v_add_nc_u32_e32 v79, v69, v54
	v_sub_nc_u32_e32 v73, v87, v75
	v_sub_nc_u32_e32 v69, v69, v3
	;; [unrolled: 1-line block ×3, first 2 shown]
	v_lshlrev_b32_e32 v75, 2, v81
	v_lshlrev_b32_e32 v72, 2, v72
	v_add_nc_u32_e32 v73, 2, v73
	ds_store_b32 v75, v19
	ds_store_b32 v72, v20
	s_wait_alu 0xfffd
	v_dual_cndmask_b32 v55, v73, v71 :: v_dual_add_nc_u32 v68, v68, v1
	v_add_nc_u32_e32 v71, v76, v1
	v_cmp_eq_u32_e32 vcc_lo, 1, v74
	v_and_b32_e32 v54, 1, v54
	s_delay_alu instid0(VALU_DEP_3) | instskip(SKIP_4) | instid1(VALU_DEP_3)
	v_add_nc_u32_e32 v73, v69, v71
	s_wait_alu 0xfffd
	v_cndmask_b32_e32 v55, v55, v70, vcc_lo
	v_sub_nc_u32_e32 v70, v79, v3
	v_cmp_eq_u32_e32 vcc_lo, 1, v43
	v_lshlrev_b32_e32 v19, 2, v55
	s_delay_alu instid0(VALU_DEP_3)
	v_add_nc_u32_e32 v20, v70, v68
	v_sub_nc_u32_e32 v55, v87, v73
	ds_store_b32 v19, v17
	v_sub_nc_u32_e32 v20, v87, v20
	v_add_nc_u32_e32 v55, 3, v55
	v_and_b32_e32 v19, 1, v25
	s_wait_alu 0xfffd
	s_delay_alu instid0(VALU_DEP_2) | instskip(SKIP_2) | instid1(VALU_DEP_2)
	v_dual_cndmask_b32 v43, v55, v71 :: v_dual_add_nc_u32 v20, 4, v20
	v_cmp_eq_u32_e32 vcc_lo, 1, v26
	s_wait_alu 0xfffd
	v_cndmask_b32_e32 v20, v20, v68, vcc_lo
	v_cmp_eq_u32_e32 vcc_lo, 1, v54
	s_wait_alu 0xfffd
	v_cndmask_b32_e32 v26, v43, v69, vcc_lo
	v_cmp_eq_u32_e32 vcc_lo, 1, v44
	v_add_nc_u32_e32 v65, v67, v65
	v_sub_nc_u32_e32 v67, v67, v4
	s_delay_alu instid0(VALU_DEP_4)
	v_lshlrev_b32_e32 v17, 2, v26
	s_wait_alu 0xfffd
	v_cndmask_b32_e32 v20, v20, v70, vcc_lo
	v_cmp_eq_u32_e32 vcc_lo, 1, v19
	v_add_nc_u32_e32 v67, v67, v1
	v_add_nc_u32_e32 v66, v79, v66
	;; [unrolled: 1-line block ×3, first 2 shown]
	v_sub_nc_u32_e32 v26, v65, v4
	v_lshlrev_b32_e32 v20, 2, v20
	ds_store_b32 v17, v18
	ds_store_b32 v20, v15
	v_add_nc_u32_e32 v64, v66, v64
	v_sub_nc_u32_e32 v66, v66, v3
	v_add_nc_u32_e32 v26, v26, v1
	v_add_nc_u32_e32 v63, v85, v63
	v_and_b32_e32 v20, 1, v53
	s_delay_alu instid0(VALU_DEP_4) | instskip(NEXT) | instid1(VALU_DEP_1)
	v_add_nc_u32_e32 v55, v66, v67
	v_sub_nc_u32_e32 v43, v87, v55
	s_delay_alu instid0(VALU_DEP_1) | instskip(SKIP_2) | instid1(VALU_DEP_2)
	v_add_nc_u32_e32 v25, 5, v43
	v_sub_nc_u32_e32 v43, v85, v4
	s_wait_alu 0xfffd
	v_cndmask_b32_e32 v19, v25, v67, vcc_lo
	v_cmp_eq_u32_e32 vcc_lo, 1, v24
	s_delay_alu instid0(VALU_DEP_3) | instskip(SKIP_1) | instid1(VALU_DEP_3)
	v_add_nc_u32_e32 v43, v43, v1
	s_wait_alu 0xfffd
	v_cndmask_b32_e32 v19, v19, v66, vcc_lo
	v_add_nc_u32_e32 v59, v64, v59
	v_sub_nc_u32_e32 v25, v64, v3
	v_cmp_eq_u32_e32 vcc_lo, 1, v20
	v_and_b32_e32 v20, 1, v52
	v_lshlrev_b32_e32 v15, 2, v19
	v_sub_nc_u32_e32 v24, v59, v3
	v_add_nc_u32_e32 v44, v25, v26
	v_add_nc_u32_e32 v86, v59, v52
	v_and_b32_e32 v19, 1, v23
	v_sub_nc_u32_e32 v23, v63, v4
	v_add_nc_u32_e32 v17, v24, v43
	v_sub_nc_u32_e32 v18, v87, v44
	v_and_b32_e32 v44, 1, v46
	v_sub_nc_u32_e32 v46, v86, v3
	v_add_nc_u32_e32 v23, v23, v1
	v_sub_nc_u32_e32 v17, v87, v17
	v_add_nc_u32_e32 v18, 6, v18
	v_add_nc_u32_e32 v61, v86, v61
	s_wait_alu 0xfffd
	s_delay_alu instid0(VALU_DEP_2)
	v_dual_cndmask_b32 v18, v18, v26 :: v_dual_add_nc_u32 v17, 7, v17
	v_cmp_eq_u32_e32 vcc_lo, 1, v44
	v_add_nc_u32_e32 v26, v46, v23
	v_add_nc_u32_e32 v58, v61, v58
	s_wait_alu 0xfffd
	v_cndmask_b32_e32 v17, v17, v43, vcc_lo
	v_cmp_eq_u32_e32 vcc_lo, 1, v19
	v_sub_nc_u32_e32 v19, v87, v26
	s_wait_alu 0xfffd
	v_cndmask_b32_e32 v18, v18, v25, vcc_lo
	v_cmp_eq_u32_e32 vcc_lo, 1, v20
	v_add_nc_u32_e32 v62, v63, v62
	v_add_nc_u32_e32 v19, 8, v19
	v_sub_nc_u32_e32 v25, v61, v3
	s_wait_alu 0xfffd
	v_dual_cndmask_b32 v17, v17, v24 :: v_dual_lshlrev_b32 v18, 2, v18
	v_sub_nc_u32_e32 v20, v62, v4
	v_and_b32_e32 v24, 1, v47
	v_cmp_eq_u32_e32 vcc_lo, 1, v22
	s_delay_alu instid0(VALU_DEP_4) | instskip(NEXT) | instid1(VALU_DEP_4)
	v_lshlrev_b32_e32 v17, 2, v17
	v_add_nc_u32_e32 v20, v20, v1
	ds_store_b32 v15, v16
	ds_store_b32 v18, v13
	ds_store_b32 v17, v14
	s_wait_alu 0xfffd
	v_cndmask_b32_e32 v19, v19, v23, vcc_lo
	v_cmp_eq_u32_e32 vcc_lo, 1, v24
	v_add_nc_u32_e32 v60, v62, v60
	v_add_nc_u32_e32 v22, v25, v20
	v_sub_nc_u32_e32 v17, v58, v3
	v_and_b32_e32 v15, 1, v21
	s_wait_alu 0xfffd
	v_cndmask_b32_e32 v19, v19, v46, vcc_lo
	v_sub_nc_u32_e32 v16, v60, v4
	v_sub_nc_u32_e32 v13, v87, v22
	v_cmp_eq_u32_e32 vcc_lo, 1, v8
	v_add_nc_u32_e32 v89, v60, v51
	v_lshlrev_b32_e32 v14, 2, v19
	v_add_nc_u32_e32 v16, v16, v1
	v_add_nc_u32_e32 v13, 9, v13
	s_delay_alu instid0(VALU_DEP_4)
	v_sub_nc_u32_e32 v18, v89, v4
	ds_store_b32 v14, v11
	v_add_nc_u32_e32 v19, v17, v16
	s_wait_alu 0xfffd
	v_cndmask_b32_e32 v8, v13, v20, vcc_lo
	v_cmp_eq_u32_e32 vcc_lo, 1, v15
	v_and_b32_e32 v15, 1, v51
	v_and_b32_e32 v20, 1, v45
	v_sub_nc_u32_e32 v14, v87, v19
	v_add_nc_u32_e32 v18, v18, v1
	s_wait_alu 0xfffd
	v_cndmask_b32_e32 v8, v8, v25, vcc_lo
	v_cmp_eq_u32_e32 vcc_lo, 1, v15
	v_add_nc_u32_e32 v57, v89, v57
	v_add_nc_u32_e32 v14, 10, v14
	v_and_b32_e32 v15, 1, v50
	v_lshlrev_b32_e32 v8, 2, v8
	s_delay_alu instid0(VALU_DEP_4)
	v_sub_nc_u32_e32 v19, v57, v4
	s_wait_alu 0xfffd
	v_cndmask_b32_e32 v14, v14, v16, vcc_lo
	v_cmp_eq_u32_e32 vcc_lo, 1, v20
	v_add_nc_u32_e32 v56, v58, v56
	v_add_nc_u32_e32 v19, v19, v1
	s_delay_alu instid0(VALU_DEP_2) | instskip(NEXT) | instid1(VALU_DEP_1)
	v_sub_nc_u32_e32 v13, v56, v3
	v_add_nc_u32_e32 v11, v13, v18
	s_delay_alu instid0(VALU_DEP_1) | instskip(NEXT) | instid1(VALU_DEP_1)
	v_sub_nc_u32_e32 v11, v87, v11
	v_add_nc_u32_e32 v11, 11, v11
	s_wait_alu 0xfffd
	s_delay_alu instid0(VALU_DEP_1) | instskip(SKIP_2) | instid1(VALU_DEP_2)
	v_cndmask_b32_e32 v11, v11, v18, vcc_lo
	v_add_nc_u32_e32 v77, v56, v50
	v_cmp_eq_u32_e32 vcc_lo, 1, v7
	v_sub_nc_u32_e32 v3, v77, v3
	s_wait_alu 0xfffd
	v_cndmask_b32_e32 v7, v14, v17, vcc_lo
	v_cmp_eq_u32_e32 vcc_lo, 1, v15
	v_and_b32_e32 v15, 1, v49
	v_add_nc_u32_e32 v16, v3, v19
	s_delay_alu instid0(VALU_DEP_4) | instskip(SKIP_4) | instid1(VALU_DEP_3)
	v_lshlrev_b32_e32 v7, 2, v7
	s_wait_alu 0xfffd
	v_cndmask_b32_e32 v11, v11, v13, vcc_lo
	v_and_b32_e32 v13, 1, v48
	v_sub_nc_u32_e32 v14, v87, v16
	v_lshlrev_b32_e32 v11, 2, v11
	s_delay_alu instid0(VALU_DEP_3)
	v_cmp_eq_u32_e32 vcc_lo, 1, v13
	ds_store_b32 v8, v12
	ds_store_b32 v7, v9
	;; [unrolled: 1-line block ×3, first 2 shown]
	v_add_nc_u32_e32 v14, 12, v14
	v_add_co_u32 v7, s0, v2, v84
	s_wait_alu 0xf1ff
	v_add_co_ci_u32_e64 v8, null, 0, 0, s0
	s_wait_alu 0xfffd
	v_cndmask_b32_e32 v13, v14, v19, vcc_lo
	v_cmp_eq_u32_e32 vcc_lo, 1, v15
	s_wait_alu 0xfffe
	s_add_nc_u64 s[0:1], s[34:35], s[40:41]
	v_lshlrev_b64_e32 v[9:10], 2, v[5:6]
	v_add_nc_u32_e32 v12, v1, v2
	s_wait_alu 0xfffd
	v_cndmask_b32_e32 v3, v13, v3, vcc_lo
	v_add_co_u32 v7, vcc_lo, v7, v41
	s_wait_alu 0xfffd
	v_add_co_ci_u32_e64 v8, null, v8, v42, vcc_lo
	s_delay_alu instid0(VALU_DEP_3)
	v_lshlrev_b32_e32 v3, 2, v3
	ds_store_b32 v3, v40
	v_add_co_u32 v3, vcc_lo, v7, v5
	s_wait_alu 0xfffd
	v_add_co_ci_u32_e64 v7, null, v8, v6, vcc_lo
	s_wait_loadcnt_dscnt 0x0
	s_wait_alu 0xfffe
	v_sub_co_u32 v3, vcc_lo, s0, v3
	s_wait_alu 0xfffd
	v_sub_co_ci_u32_e64 v11, null, s1, v7, vcc_lo
	v_lshlrev_b64_e32 v[7:8], 2, v[41:42]
	v_add_co_u32 v9, s0, s36, v9
	s_wait_alu 0xf1ff
	v_add_co_ci_u32_e64 v10, null, s37, v10, s0
	s_mov_b32 s0, -1
	v_add_co_u32 v7, vcc_lo, s38, v7
	s_wait_alu 0xfffd
	v_add_co_ci_u32_e64 v8, null, s39, v8, vcc_lo
	v_cmp_ne_u32_e32 vcc_lo, 1, v39
	s_barrier_signal -1
	s_barrier_wait -1
	global_inv scope:SCOPE_SE
	s_cbranch_vccz .LBB1990_150
; %bb.147:
	s_wait_alu 0xfffe
	s_and_b32 vcc_lo, exec_lo, s0
	s_wait_alu 0xfffe
	s_cbranch_vccnz .LBB1990_255
.LBB1990_148:
	v_cmp_eq_u32_e32 vcc_lo, 0, v0
	s_and_b32 s0, vcc_lo, s15
	s_wait_alu 0xfffe
	s_and_saveexec_b32 s1, s0
	s_cbranch_execnz .LBB1990_373
.LBB1990_149:
	s_endpgm
.LBB1990_150:
	s_mov_b32 s0, exec_lo
	v_cmpx_ge_u32_e64 v0, v1
	s_wait_alu 0xfffe
	s_xor_b32 s0, exec_lo, s0
	s_cbranch_execz .LBB1990_156
; %bb.151:
	s_mov_b32 s1, exec_lo
	v_cmpx_ge_u32_e64 v0, v12
	s_wait_alu 0xfffe
	s_xor_b32 s1, exec_lo, s1
	s_cbranch_execz .LBB1990_153
; %bb.152:
	v_lshlrev_b32_e32 v13, 2, v0
	ds_load_b32 v15, v13
	v_add_co_u32 v13, vcc_lo, v3, v0
	s_wait_alu 0xfffd
	v_add_co_ci_u32_e64 v14, null, 0, v11, vcc_lo
	s_delay_alu instid0(VALU_DEP_1) | instskip(NEXT) | instid1(VALU_DEP_1)
	v_lshlrev_b64_e32 v[13:14], 2, v[13:14]
	v_sub_co_u32 v13, vcc_lo, s26, v13
	s_wait_alu 0xfffd
	s_delay_alu instid0(VALU_DEP_2)
	v_sub_co_ci_u32_e64 v14, null, s27, v14, vcc_lo
	s_wait_dscnt 0x0
	global_store_b32 v[13:14], v15, off offset:-4
.LBB1990_153:
	s_wait_alu 0xfffe
	s_and_not1_saveexec_b32 s1, s1
	s_cbranch_execz .LBB1990_155
; %bb.154:
	v_lshlrev_b32_e32 v13, 2, v0
	v_readfirstlane_b32 s2, v7
	v_readfirstlane_b32 s3, v8
	ds_load_b32 v14, v13
	s_wait_dscnt 0x0
	global_store_b32 v13, v14, s[2:3]
.LBB1990_155:
	s_wait_alu 0xfffe
	s_or_b32 exec_lo, exec_lo, s1
.LBB1990_156:
	s_wait_alu 0xfffe
	s_and_not1_saveexec_b32 s0, s0
	s_cbranch_execz .LBB1990_158
; %bb.157:
	v_lshlrev_b32_e32 v13, 2, v0
	v_readfirstlane_b32 s2, v9
	v_readfirstlane_b32 s3, v10
	ds_load_b32 v14, v13
	s_wait_dscnt 0x0
	global_store_b32 v13, v14, s[2:3]
.LBB1990_158:
	s_wait_alu 0xfffe
	s_or_b32 exec_lo, exec_lo, s0
	s_delay_alu instid0(SALU_CYCLE_1)
	s_mov_b32 s0, exec_lo
	v_cmpx_ge_u32_e64 v38, v1
	s_wait_alu 0xfffe
	s_xor_b32 s0, exec_lo, s0
	s_cbranch_execz .LBB1990_164
; %bb.159:
	s_mov_b32 s1, exec_lo
	v_cmpx_ge_u32_e64 v38, v12
	s_wait_alu 0xfffe
	s_xor_b32 s1, exec_lo, s1
	s_cbranch_execz .LBB1990_161
; %bb.160:
	v_lshlrev_b32_e32 v13, 2, v0
	ds_load_b32 v15, v13 offset:1024
	v_add_co_u32 v13, vcc_lo, v3, v0
	s_wait_alu 0xfffd
	v_add_co_ci_u32_e64 v14, null, 0, v11, vcc_lo
	s_delay_alu instid0(VALU_DEP_1) | instskip(NEXT) | instid1(VALU_DEP_1)
	v_lshlrev_b64_e32 v[13:14], 2, v[13:14]
	v_sub_co_u32 v13, vcc_lo, s26, v13
	s_wait_alu 0xfffd
	s_delay_alu instid0(VALU_DEP_2)
	v_sub_co_ci_u32_e64 v14, null, s27, v14, vcc_lo
	s_wait_dscnt 0x0
	global_store_b32 v[13:14], v15, off offset:-1028
.LBB1990_161:
	s_wait_alu 0xfffe
	s_and_not1_saveexec_b32 s1, s1
	s_cbranch_execz .LBB1990_163
; %bb.162:
	v_lshlrev_b32_e32 v13, 2, v0
	v_readfirstlane_b32 s2, v7
	v_readfirstlane_b32 s3, v8
	ds_load_b32 v14, v13 offset:1024
	s_wait_dscnt 0x0
	global_store_b32 v13, v14, s[2:3] offset:1024
.LBB1990_163:
	s_wait_alu 0xfffe
	s_or_b32 exec_lo, exec_lo, s1
.LBB1990_164:
	s_wait_alu 0xfffe
	s_and_not1_saveexec_b32 s0, s0
	s_cbranch_execz .LBB1990_166
; %bb.165:
	v_lshlrev_b32_e32 v13, 2, v0
	v_readfirstlane_b32 s2, v9
	v_readfirstlane_b32 s3, v10
	ds_load_b32 v14, v13 offset:1024
	s_wait_dscnt 0x0
	global_store_b32 v13, v14, s[2:3] offset:1024
.LBB1990_166:
	s_wait_alu 0xfffe
	s_or_b32 exec_lo, exec_lo, s0
	s_delay_alu instid0(SALU_CYCLE_1)
	s_mov_b32 s0, exec_lo
	v_cmpx_ge_u32_e64 v37, v1
	s_wait_alu 0xfffe
	s_xor_b32 s0, exec_lo, s0
	s_cbranch_execz .LBB1990_172
; %bb.167:
	s_mov_b32 s1, exec_lo
	v_cmpx_ge_u32_e64 v37, v12
	s_wait_alu 0xfffe
	s_xor_b32 s1, exec_lo, s1
	s_cbranch_execz .LBB1990_169
; %bb.168:
	v_lshlrev_b32_e32 v13, 2, v0
	ds_load_b32 v15, v13 offset:2048
	v_add_co_u32 v13, vcc_lo, v3, v0
	s_wait_alu 0xfffd
	v_add_co_ci_u32_e64 v14, null, 0, v11, vcc_lo
	s_delay_alu instid0(VALU_DEP_1) | instskip(NEXT) | instid1(VALU_DEP_1)
	v_lshlrev_b64_e32 v[13:14], 2, v[13:14]
	v_sub_co_u32 v13, vcc_lo, s26, v13
	s_wait_alu 0xfffd
	s_delay_alu instid0(VALU_DEP_2)
	v_sub_co_ci_u32_e64 v14, null, s27, v14, vcc_lo
	s_wait_dscnt 0x0
	global_store_b32 v[13:14], v15, off offset:-2052
.LBB1990_169:
	s_wait_alu 0xfffe
	s_and_not1_saveexec_b32 s1, s1
	s_cbranch_execz .LBB1990_171
; %bb.170:
	v_lshlrev_b32_e32 v13, 2, v0
	v_readfirstlane_b32 s2, v7
	v_readfirstlane_b32 s3, v8
	ds_load_b32 v14, v13 offset:2048
	s_wait_dscnt 0x0
	global_store_b32 v13, v14, s[2:3] offset:2048
.LBB1990_171:
	s_wait_alu 0xfffe
	s_or_b32 exec_lo, exec_lo, s1
.LBB1990_172:
	s_wait_alu 0xfffe
	s_and_not1_saveexec_b32 s0, s0
	s_cbranch_execz .LBB1990_174
; %bb.173:
	v_lshlrev_b32_e32 v13, 2, v0
	v_readfirstlane_b32 s2, v9
	v_readfirstlane_b32 s3, v10
	ds_load_b32 v14, v13 offset:2048
	s_wait_dscnt 0x0
	global_store_b32 v13, v14, s[2:3] offset:2048
.LBB1990_174:
	;; [unrolled: 54-line block ×12, first 2 shown]
	s_wait_alu 0xfffe
	s_or_b32 exec_lo, exec_lo, s0
	s_branch .LBB1990_148
.LBB1990_255:
	s_mov_b32 s0, exec_lo
	v_cmpx_gt_u32_e64 s33, v0
	s_cbranch_execz .LBB1990_264
; %bb.256:
	s_mov_b32 s1, exec_lo
	v_cmpx_ge_u32_e64 v0, v1
	s_wait_alu 0xfffe
	s_xor_b32 s1, exec_lo, s1
	s_cbranch_execz .LBB1990_262
; %bb.257:
	s_mov_b32 s2, exec_lo
	v_cmpx_ge_u32_e64 v0, v12
	s_wait_alu 0xfffe
	s_xor_b32 s2, exec_lo, s2
	s_cbranch_execz .LBB1990_259
; %bb.258:
	v_lshlrev_b32_e32 v13, 2, v0
	ds_load_b32 v15, v13
	v_add_co_u32 v13, vcc_lo, v3, v0
	s_wait_alu 0xfffd
	v_add_co_ci_u32_e64 v14, null, 0, v11, vcc_lo
	s_delay_alu instid0(VALU_DEP_1) | instskip(NEXT) | instid1(VALU_DEP_1)
	v_lshlrev_b64_e32 v[13:14], 2, v[13:14]
	v_sub_co_u32 v13, vcc_lo, s26, v13
	s_wait_alu 0xfffd
	s_delay_alu instid0(VALU_DEP_2)
	v_sub_co_ci_u32_e64 v14, null, s27, v14, vcc_lo
	s_wait_dscnt 0x0
	global_store_b32 v[13:14], v15, off offset:-4
.LBB1990_259:
	s_wait_alu 0xfffe
	s_and_not1_saveexec_b32 s2, s2
	s_cbranch_execz .LBB1990_261
; %bb.260:
	v_lshlrev_b32_e32 v13, 2, v0
	v_readfirstlane_b32 s4, v7
	v_readfirstlane_b32 s5, v8
	ds_load_b32 v14, v13
	s_wait_dscnt 0x0
	global_store_b32 v13, v14, s[4:5]
.LBB1990_261:
	s_wait_alu 0xfffe
	s_or_b32 exec_lo, exec_lo, s2
.LBB1990_262:
	s_wait_alu 0xfffe
	s_and_not1_saveexec_b32 s1, s1
	s_cbranch_execz .LBB1990_264
; %bb.263:
	v_lshlrev_b32_e32 v13, 2, v0
	v_readfirstlane_b32 s2, v9
	v_readfirstlane_b32 s3, v10
	ds_load_b32 v14, v13
	s_wait_dscnt 0x0
	global_store_b32 v13, v14, s[2:3]
.LBB1990_264:
	s_wait_alu 0xfffe
	s_or_b32 exec_lo, exec_lo, s0
	s_delay_alu instid0(SALU_CYCLE_1)
	s_mov_b32 s0, exec_lo
	v_cmpx_gt_u32_e64 s33, v38
	s_cbranch_execz .LBB1990_273
; %bb.265:
	s_mov_b32 s1, exec_lo
	v_cmpx_ge_u32_e64 v38, v1
	s_wait_alu 0xfffe
	s_xor_b32 s1, exec_lo, s1
	s_cbranch_execz .LBB1990_271
; %bb.266:
	s_mov_b32 s2, exec_lo
	v_cmpx_ge_u32_e64 v38, v12
	s_wait_alu 0xfffe
	s_xor_b32 s2, exec_lo, s2
	s_cbranch_execz .LBB1990_268
; %bb.267:
	v_lshlrev_b32_e32 v13, 2, v0
	ds_load_b32 v15, v13 offset:1024
	v_add_co_u32 v13, vcc_lo, v3, v0
	s_wait_alu 0xfffd
	v_add_co_ci_u32_e64 v14, null, 0, v11, vcc_lo
	s_delay_alu instid0(VALU_DEP_1) | instskip(NEXT) | instid1(VALU_DEP_1)
	v_lshlrev_b64_e32 v[13:14], 2, v[13:14]
	v_sub_co_u32 v13, vcc_lo, s26, v13
	s_wait_alu 0xfffd
	s_delay_alu instid0(VALU_DEP_2)
	v_sub_co_ci_u32_e64 v14, null, s27, v14, vcc_lo
	s_wait_dscnt 0x0
	global_store_b32 v[13:14], v15, off offset:-1028
.LBB1990_268:
	s_wait_alu 0xfffe
	s_and_not1_saveexec_b32 s2, s2
	s_cbranch_execz .LBB1990_270
; %bb.269:
	v_lshlrev_b32_e32 v13, 2, v0
	v_readfirstlane_b32 s4, v7
	v_readfirstlane_b32 s5, v8
	ds_load_b32 v14, v13 offset:1024
	s_wait_dscnt 0x0
	global_store_b32 v13, v14, s[4:5] offset:1024
.LBB1990_270:
	s_wait_alu 0xfffe
	s_or_b32 exec_lo, exec_lo, s2
.LBB1990_271:
	s_wait_alu 0xfffe
	s_and_not1_saveexec_b32 s1, s1
	s_cbranch_execz .LBB1990_273
; %bb.272:
	v_lshlrev_b32_e32 v13, 2, v0
	v_readfirstlane_b32 s2, v9
	v_readfirstlane_b32 s3, v10
	ds_load_b32 v14, v13 offset:1024
	s_wait_dscnt 0x0
	global_store_b32 v13, v14, s[2:3] offset:1024
.LBB1990_273:
	s_wait_alu 0xfffe
	s_or_b32 exec_lo, exec_lo, s0
	s_delay_alu instid0(SALU_CYCLE_1)
	s_mov_b32 s0, exec_lo
	v_cmpx_gt_u32_e64 s33, v37
	s_cbranch_execz .LBB1990_282
; %bb.274:
	s_mov_b32 s1, exec_lo
	v_cmpx_ge_u32_e64 v37, v1
	s_wait_alu 0xfffe
	s_xor_b32 s1, exec_lo, s1
	s_cbranch_execz .LBB1990_280
; %bb.275:
	s_mov_b32 s2, exec_lo
	v_cmpx_ge_u32_e64 v37, v12
	s_wait_alu 0xfffe
	s_xor_b32 s2, exec_lo, s2
	s_cbranch_execz .LBB1990_277
; %bb.276:
	v_lshlrev_b32_e32 v13, 2, v0
	ds_load_b32 v15, v13 offset:2048
	v_add_co_u32 v13, vcc_lo, v3, v0
	s_wait_alu 0xfffd
	v_add_co_ci_u32_e64 v14, null, 0, v11, vcc_lo
	s_delay_alu instid0(VALU_DEP_1) | instskip(NEXT) | instid1(VALU_DEP_1)
	v_lshlrev_b64_e32 v[13:14], 2, v[13:14]
	v_sub_co_u32 v13, vcc_lo, s26, v13
	s_wait_alu 0xfffd
	s_delay_alu instid0(VALU_DEP_2)
	v_sub_co_ci_u32_e64 v14, null, s27, v14, vcc_lo
	s_wait_dscnt 0x0
	global_store_b32 v[13:14], v15, off offset:-2052
.LBB1990_277:
	s_wait_alu 0xfffe
	s_and_not1_saveexec_b32 s2, s2
	s_cbranch_execz .LBB1990_279
; %bb.278:
	v_lshlrev_b32_e32 v13, 2, v0
	v_readfirstlane_b32 s4, v7
	v_readfirstlane_b32 s5, v8
	ds_load_b32 v14, v13 offset:2048
	s_wait_dscnt 0x0
	global_store_b32 v13, v14, s[4:5] offset:2048
.LBB1990_279:
	s_wait_alu 0xfffe
	s_or_b32 exec_lo, exec_lo, s2
.LBB1990_280:
	s_wait_alu 0xfffe
	s_and_not1_saveexec_b32 s1, s1
	s_cbranch_execz .LBB1990_282
; %bb.281:
	v_lshlrev_b32_e32 v13, 2, v0
	v_readfirstlane_b32 s2, v9
	v_readfirstlane_b32 s3, v10
	ds_load_b32 v14, v13 offset:2048
	s_wait_dscnt 0x0
	global_store_b32 v13, v14, s[2:3] offset:2048
.LBB1990_282:
	s_wait_alu 0xfffe
	s_or_b32 exec_lo, exec_lo, s0
	s_delay_alu instid0(SALU_CYCLE_1)
	s_mov_b32 s0, exec_lo
	v_cmpx_gt_u32_e64 s33, v36
	s_cbranch_execz .LBB1990_291
; %bb.283:
	s_mov_b32 s1, exec_lo
	v_cmpx_ge_u32_e64 v36, v1
	s_wait_alu 0xfffe
	s_xor_b32 s1, exec_lo, s1
	s_cbranch_execz .LBB1990_289
; %bb.284:
	s_mov_b32 s2, exec_lo
	v_cmpx_ge_u32_e64 v36, v12
	s_wait_alu 0xfffe
	s_xor_b32 s2, exec_lo, s2
	s_cbranch_execz .LBB1990_286
; %bb.285:
	v_lshlrev_b32_e32 v13, 2, v0
	ds_load_b32 v15, v13 offset:3072
	v_add_co_u32 v13, vcc_lo, v3, v0
	s_wait_alu 0xfffd
	v_add_co_ci_u32_e64 v14, null, 0, v11, vcc_lo
	s_delay_alu instid0(VALU_DEP_1) | instskip(NEXT) | instid1(VALU_DEP_1)
	v_lshlrev_b64_e32 v[13:14], 2, v[13:14]
	v_sub_co_u32 v13, vcc_lo, s26, v13
	s_wait_alu 0xfffd
	s_delay_alu instid0(VALU_DEP_2)
	v_sub_co_ci_u32_e64 v14, null, s27, v14, vcc_lo
	s_wait_dscnt 0x0
	global_store_b32 v[13:14], v15, off offset:-3076
.LBB1990_286:
	s_wait_alu 0xfffe
	s_and_not1_saveexec_b32 s2, s2
	s_cbranch_execz .LBB1990_288
; %bb.287:
	v_lshlrev_b32_e32 v13, 2, v0
	v_readfirstlane_b32 s4, v7
	v_readfirstlane_b32 s5, v8
	ds_load_b32 v14, v13 offset:3072
	s_wait_dscnt 0x0
	global_store_b32 v13, v14, s[4:5] offset:3072
.LBB1990_288:
	s_wait_alu 0xfffe
	s_or_b32 exec_lo, exec_lo, s2
.LBB1990_289:
	s_wait_alu 0xfffe
	s_and_not1_saveexec_b32 s1, s1
	s_cbranch_execz .LBB1990_291
; %bb.290:
	v_lshlrev_b32_e32 v13, 2, v0
	v_readfirstlane_b32 s2, v9
	v_readfirstlane_b32 s3, v10
	ds_load_b32 v14, v13 offset:3072
	s_wait_dscnt 0x0
	global_store_b32 v13, v14, s[2:3] offset:3072
.LBB1990_291:
	s_wait_alu 0xfffe
	s_or_b32 exec_lo, exec_lo, s0
	s_delay_alu instid0(SALU_CYCLE_1)
	s_mov_b32 s0, exec_lo
	v_cmpx_gt_u32_e64 s33, v35
	s_cbranch_execz .LBB1990_300
; %bb.292:
	s_mov_b32 s1, exec_lo
	v_cmpx_ge_u32_e64 v35, v1
	s_wait_alu 0xfffe
	s_xor_b32 s1, exec_lo, s1
	s_cbranch_execz .LBB1990_298
; %bb.293:
	s_mov_b32 s2, exec_lo
	v_cmpx_ge_u32_e64 v35, v12
	s_wait_alu 0xfffe
	s_xor_b32 s2, exec_lo, s2
	s_cbranch_execz .LBB1990_295
; %bb.294:
	v_lshlrev_b32_e32 v13, 2, v0
	ds_load_b32 v15, v13 offset:4096
	v_add_co_u32 v13, vcc_lo, v3, v0
	s_wait_alu 0xfffd
	v_add_co_ci_u32_e64 v14, null, 0, v11, vcc_lo
	s_delay_alu instid0(VALU_DEP_1) | instskip(NEXT) | instid1(VALU_DEP_1)
	v_lshlrev_b64_e32 v[13:14], 2, v[13:14]
	v_sub_co_u32 v13, vcc_lo, s26, v13
	s_wait_alu 0xfffd
	s_delay_alu instid0(VALU_DEP_2)
	v_sub_co_ci_u32_e64 v14, null, s27, v14, vcc_lo
	s_wait_dscnt 0x0
	global_store_b32 v[13:14], v15, off offset:-4100
.LBB1990_295:
	s_wait_alu 0xfffe
	s_and_not1_saveexec_b32 s2, s2
	s_cbranch_execz .LBB1990_297
; %bb.296:
	v_lshlrev_b32_e32 v13, 2, v0
	v_readfirstlane_b32 s4, v7
	v_readfirstlane_b32 s5, v8
	ds_load_b32 v14, v13 offset:4096
	s_wait_dscnt 0x0
	global_store_b32 v13, v14, s[4:5] offset:4096
.LBB1990_297:
	s_wait_alu 0xfffe
	s_or_b32 exec_lo, exec_lo, s2
.LBB1990_298:
	s_wait_alu 0xfffe
	s_and_not1_saveexec_b32 s1, s1
	s_cbranch_execz .LBB1990_300
; %bb.299:
	v_lshlrev_b32_e32 v13, 2, v0
	v_readfirstlane_b32 s2, v9
	v_readfirstlane_b32 s3, v10
	ds_load_b32 v14, v13 offset:4096
	s_wait_dscnt 0x0
	global_store_b32 v13, v14, s[2:3] offset:4096
.LBB1990_300:
	s_wait_alu 0xfffe
	s_or_b32 exec_lo, exec_lo, s0
	s_delay_alu instid0(SALU_CYCLE_1)
	s_mov_b32 s0, exec_lo
	v_cmpx_gt_u32_e64 s33, v34
	s_cbranch_execz .LBB1990_309
; %bb.301:
	s_mov_b32 s1, exec_lo
	v_cmpx_ge_u32_e64 v34, v1
	s_wait_alu 0xfffe
	s_xor_b32 s1, exec_lo, s1
	s_cbranch_execz .LBB1990_307
; %bb.302:
	s_mov_b32 s2, exec_lo
	v_cmpx_ge_u32_e64 v34, v12
	s_wait_alu 0xfffe
	s_xor_b32 s2, exec_lo, s2
	s_cbranch_execz .LBB1990_304
; %bb.303:
	v_lshlrev_b32_e32 v13, 2, v0
	ds_load_b32 v15, v13 offset:5120
	v_add_co_u32 v13, vcc_lo, v3, v0
	s_wait_alu 0xfffd
	v_add_co_ci_u32_e64 v14, null, 0, v11, vcc_lo
	s_delay_alu instid0(VALU_DEP_1) | instskip(NEXT) | instid1(VALU_DEP_1)
	v_lshlrev_b64_e32 v[13:14], 2, v[13:14]
	v_sub_co_u32 v13, vcc_lo, s26, v13
	s_wait_alu 0xfffd
	s_delay_alu instid0(VALU_DEP_2)
	v_sub_co_ci_u32_e64 v14, null, s27, v14, vcc_lo
	s_wait_dscnt 0x0
	global_store_b32 v[13:14], v15, off offset:-5124
.LBB1990_304:
	s_wait_alu 0xfffe
	s_and_not1_saveexec_b32 s2, s2
	s_cbranch_execz .LBB1990_306
; %bb.305:
	v_lshlrev_b32_e32 v13, 2, v0
	v_readfirstlane_b32 s4, v7
	v_readfirstlane_b32 s5, v8
	ds_load_b32 v14, v13 offset:5120
	s_wait_dscnt 0x0
	global_store_b32 v13, v14, s[4:5] offset:5120
.LBB1990_306:
	s_wait_alu 0xfffe
	s_or_b32 exec_lo, exec_lo, s2
.LBB1990_307:
	s_wait_alu 0xfffe
	s_and_not1_saveexec_b32 s1, s1
	s_cbranch_execz .LBB1990_309
; %bb.308:
	v_lshlrev_b32_e32 v13, 2, v0
	v_readfirstlane_b32 s2, v9
	v_readfirstlane_b32 s3, v10
	ds_load_b32 v14, v13 offset:5120
	s_wait_dscnt 0x0
	global_store_b32 v13, v14, s[2:3] offset:5120
.LBB1990_309:
	s_wait_alu 0xfffe
	s_or_b32 exec_lo, exec_lo, s0
	s_delay_alu instid0(SALU_CYCLE_1)
	s_mov_b32 s0, exec_lo
	v_cmpx_gt_u32_e64 s33, v33
	s_cbranch_execz .LBB1990_318
; %bb.310:
	s_mov_b32 s1, exec_lo
	v_cmpx_ge_u32_e64 v33, v1
	s_wait_alu 0xfffe
	s_xor_b32 s1, exec_lo, s1
	s_cbranch_execz .LBB1990_316
; %bb.311:
	s_mov_b32 s2, exec_lo
	v_cmpx_ge_u32_e64 v33, v12
	s_wait_alu 0xfffe
	s_xor_b32 s2, exec_lo, s2
	s_cbranch_execz .LBB1990_313
; %bb.312:
	v_lshlrev_b32_e32 v13, 2, v0
	ds_load_b32 v15, v13 offset:6144
	v_add_co_u32 v13, vcc_lo, v3, v0
	s_wait_alu 0xfffd
	v_add_co_ci_u32_e64 v14, null, 0, v11, vcc_lo
	s_delay_alu instid0(VALU_DEP_1) | instskip(NEXT) | instid1(VALU_DEP_1)
	v_lshlrev_b64_e32 v[13:14], 2, v[13:14]
	v_sub_co_u32 v13, vcc_lo, s26, v13
	s_wait_alu 0xfffd
	s_delay_alu instid0(VALU_DEP_2)
	v_sub_co_ci_u32_e64 v14, null, s27, v14, vcc_lo
	s_wait_dscnt 0x0
	global_store_b32 v[13:14], v15, off offset:-6148
.LBB1990_313:
	s_wait_alu 0xfffe
	s_and_not1_saveexec_b32 s2, s2
	s_cbranch_execz .LBB1990_315
; %bb.314:
	v_lshlrev_b32_e32 v13, 2, v0
	v_readfirstlane_b32 s4, v7
	v_readfirstlane_b32 s5, v8
	ds_load_b32 v14, v13 offset:6144
	s_wait_dscnt 0x0
	global_store_b32 v13, v14, s[4:5] offset:6144
.LBB1990_315:
	s_wait_alu 0xfffe
	s_or_b32 exec_lo, exec_lo, s2
.LBB1990_316:
	s_wait_alu 0xfffe
	s_and_not1_saveexec_b32 s1, s1
	s_cbranch_execz .LBB1990_318
; %bb.317:
	v_lshlrev_b32_e32 v13, 2, v0
	v_readfirstlane_b32 s2, v9
	v_readfirstlane_b32 s3, v10
	ds_load_b32 v14, v13 offset:6144
	s_wait_dscnt 0x0
	global_store_b32 v13, v14, s[2:3] offset:6144
.LBB1990_318:
	s_wait_alu 0xfffe
	s_or_b32 exec_lo, exec_lo, s0
	s_delay_alu instid0(SALU_CYCLE_1)
	s_mov_b32 s0, exec_lo
	v_cmpx_gt_u32_e64 s33, v32
	s_cbranch_execz .LBB1990_327
; %bb.319:
	s_mov_b32 s1, exec_lo
	v_cmpx_ge_u32_e64 v32, v1
	s_wait_alu 0xfffe
	s_xor_b32 s1, exec_lo, s1
	s_cbranch_execz .LBB1990_325
; %bb.320:
	s_mov_b32 s2, exec_lo
	v_cmpx_ge_u32_e64 v32, v12
	s_wait_alu 0xfffe
	s_xor_b32 s2, exec_lo, s2
	s_cbranch_execz .LBB1990_322
; %bb.321:
	v_lshlrev_b32_e32 v13, 2, v0
	ds_load_b32 v15, v13 offset:7168
	v_add_co_u32 v13, vcc_lo, v3, v0
	s_wait_alu 0xfffd
	v_add_co_ci_u32_e64 v14, null, 0, v11, vcc_lo
	s_delay_alu instid0(VALU_DEP_1) | instskip(NEXT) | instid1(VALU_DEP_1)
	v_lshlrev_b64_e32 v[13:14], 2, v[13:14]
	v_sub_co_u32 v13, vcc_lo, s26, v13
	s_wait_alu 0xfffd
	s_delay_alu instid0(VALU_DEP_2)
	v_sub_co_ci_u32_e64 v14, null, s27, v14, vcc_lo
	s_wait_dscnt 0x0
	global_store_b32 v[13:14], v15, off offset:-7172
.LBB1990_322:
	s_wait_alu 0xfffe
	s_and_not1_saveexec_b32 s2, s2
	s_cbranch_execz .LBB1990_324
; %bb.323:
	v_lshlrev_b32_e32 v13, 2, v0
	v_readfirstlane_b32 s4, v7
	v_readfirstlane_b32 s5, v8
	ds_load_b32 v14, v13 offset:7168
	s_wait_dscnt 0x0
	global_store_b32 v13, v14, s[4:5] offset:7168
.LBB1990_324:
	s_wait_alu 0xfffe
	s_or_b32 exec_lo, exec_lo, s2
.LBB1990_325:
	s_wait_alu 0xfffe
	s_and_not1_saveexec_b32 s1, s1
	s_cbranch_execz .LBB1990_327
; %bb.326:
	v_lshlrev_b32_e32 v13, 2, v0
	v_readfirstlane_b32 s2, v9
	v_readfirstlane_b32 s3, v10
	ds_load_b32 v14, v13 offset:7168
	s_wait_dscnt 0x0
	global_store_b32 v13, v14, s[2:3] offset:7168
.LBB1990_327:
	s_wait_alu 0xfffe
	s_or_b32 exec_lo, exec_lo, s0
	s_delay_alu instid0(SALU_CYCLE_1)
	s_mov_b32 s0, exec_lo
	v_cmpx_gt_u32_e64 s33, v31
	s_cbranch_execz .LBB1990_336
; %bb.328:
	s_mov_b32 s1, exec_lo
	v_cmpx_ge_u32_e64 v31, v1
	s_wait_alu 0xfffe
	s_xor_b32 s1, exec_lo, s1
	s_cbranch_execz .LBB1990_334
; %bb.329:
	s_mov_b32 s2, exec_lo
	v_cmpx_ge_u32_e64 v31, v12
	s_wait_alu 0xfffe
	s_xor_b32 s2, exec_lo, s2
	s_cbranch_execz .LBB1990_331
; %bb.330:
	v_lshlrev_b32_e32 v13, 2, v0
	ds_load_b32 v15, v13 offset:8192
	v_add_co_u32 v13, vcc_lo, v3, v0
	s_wait_alu 0xfffd
	v_add_co_ci_u32_e64 v14, null, 0, v11, vcc_lo
	s_delay_alu instid0(VALU_DEP_1) | instskip(NEXT) | instid1(VALU_DEP_1)
	v_lshlrev_b64_e32 v[13:14], 2, v[13:14]
	v_sub_co_u32 v13, vcc_lo, s26, v13
	s_wait_alu 0xfffd
	s_delay_alu instid0(VALU_DEP_2)
	v_sub_co_ci_u32_e64 v14, null, s27, v14, vcc_lo
	s_wait_dscnt 0x0
	global_store_b32 v[13:14], v15, off offset:-8196
.LBB1990_331:
	s_wait_alu 0xfffe
	s_and_not1_saveexec_b32 s2, s2
	s_cbranch_execz .LBB1990_333
; %bb.332:
	v_lshlrev_b32_e32 v13, 2, v0
	v_readfirstlane_b32 s4, v7
	v_readfirstlane_b32 s5, v8
	ds_load_b32 v14, v13 offset:8192
	s_wait_dscnt 0x0
	global_store_b32 v13, v14, s[4:5] offset:8192
.LBB1990_333:
	s_wait_alu 0xfffe
	s_or_b32 exec_lo, exec_lo, s2
.LBB1990_334:
	s_wait_alu 0xfffe
	s_and_not1_saveexec_b32 s1, s1
	s_cbranch_execz .LBB1990_336
; %bb.335:
	v_lshlrev_b32_e32 v13, 2, v0
	v_readfirstlane_b32 s2, v9
	v_readfirstlane_b32 s3, v10
	ds_load_b32 v14, v13 offset:8192
	s_wait_dscnt 0x0
	global_store_b32 v13, v14, s[2:3] offset:8192
.LBB1990_336:
	s_wait_alu 0xfffe
	s_or_b32 exec_lo, exec_lo, s0
	s_delay_alu instid0(SALU_CYCLE_1)
	s_mov_b32 s0, exec_lo
	v_cmpx_gt_u32_e64 s33, v30
	s_cbranch_execz .LBB1990_345
; %bb.337:
	s_mov_b32 s1, exec_lo
	v_cmpx_ge_u32_e64 v30, v1
	s_wait_alu 0xfffe
	s_xor_b32 s1, exec_lo, s1
	s_cbranch_execz .LBB1990_343
; %bb.338:
	s_mov_b32 s2, exec_lo
	v_cmpx_ge_u32_e64 v30, v12
	s_wait_alu 0xfffe
	s_xor_b32 s2, exec_lo, s2
	s_cbranch_execz .LBB1990_340
; %bb.339:
	v_lshlrev_b32_e32 v13, 2, v0
	ds_load_b32 v15, v13 offset:9216
	v_add_co_u32 v13, vcc_lo, v3, v0
	s_wait_alu 0xfffd
	v_add_co_ci_u32_e64 v14, null, 0, v11, vcc_lo
	s_delay_alu instid0(VALU_DEP_1) | instskip(NEXT) | instid1(VALU_DEP_1)
	v_lshlrev_b64_e32 v[13:14], 2, v[13:14]
	v_sub_co_u32 v13, vcc_lo, s26, v13
	s_wait_alu 0xfffd
	s_delay_alu instid0(VALU_DEP_2)
	v_sub_co_ci_u32_e64 v14, null, s27, v14, vcc_lo
	s_wait_dscnt 0x0
	global_store_b32 v[13:14], v15, off offset:-9220
.LBB1990_340:
	s_wait_alu 0xfffe
	s_and_not1_saveexec_b32 s2, s2
	s_cbranch_execz .LBB1990_342
; %bb.341:
	v_lshlrev_b32_e32 v13, 2, v0
	v_readfirstlane_b32 s4, v7
	v_readfirstlane_b32 s5, v8
	ds_load_b32 v14, v13 offset:9216
	s_wait_dscnt 0x0
	global_store_b32 v13, v14, s[4:5] offset:9216
.LBB1990_342:
	s_wait_alu 0xfffe
	s_or_b32 exec_lo, exec_lo, s2
.LBB1990_343:
	s_wait_alu 0xfffe
	s_and_not1_saveexec_b32 s1, s1
	s_cbranch_execz .LBB1990_345
; %bb.344:
	v_lshlrev_b32_e32 v13, 2, v0
	v_readfirstlane_b32 s2, v9
	v_readfirstlane_b32 s3, v10
	ds_load_b32 v14, v13 offset:9216
	s_wait_dscnt 0x0
	global_store_b32 v13, v14, s[2:3] offset:9216
.LBB1990_345:
	s_wait_alu 0xfffe
	s_or_b32 exec_lo, exec_lo, s0
	s_delay_alu instid0(SALU_CYCLE_1)
	s_mov_b32 s0, exec_lo
	v_cmpx_gt_u32_e64 s33, v29
	s_cbranch_execz .LBB1990_354
; %bb.346:
	s_mov_b32 s1, exec_lo
	v_cmpx_ge_u32_e64 v29, v1
	s_wait_alu 0xfffe
	s_xor_b32 s1, exec_lo, s1
	s_cbranch_execz .LBB1990_352
; %bb.347:
	s_mov_b32 s2, exec_lo
	v_cmpx_ge_u32_e64 v29, v12
	s_wait_alu 0xfffe
	s_xor_b32 s2, exec_lo, s2
	s_cbranch_execz .LBB1990_349
; %bb.348:
	v_lshlrev_b32_e32 v13, 2, v0
	ds_load_b32 v15, v13 offset:10240
	v_add_co_u32 v13, vcc_lo, v3, v0
	s_wait_alu 0xfffd
	v_add_co_ci_u32_e64 v14, null, 0, v11, vcc_lo
	s_delay_alu instid0(VALU_DEP_1) | instskip(NEXT) | instid1(VALU_DEP_1)
	v_lshlrev_b64_e32 v[13:14], 2, v[13:14]
	v_sub_co_u32 v13, vcc_lo, s26, v13
	s_wait_alu 0xfffd
	s_delay_alu instid0(VALU_DEP_2)
	v_sub_co_ci_u32_e64 v14, null, s27, v14, vcc_lo
	s_wait_dscnt 0x0
	global_store_b32 v[13:14], v15, off offset:-10244
.LBB1990_349:
	s_wait_alu 0xfffe
	s_and_not1_saveexec_b32 s2, s2
	s_cbranch_execz .LBB1990_351
; %bb.350:
	v_lshlrev_b32_e32 v13, 2, v0
	v_readfirstlane_b32 s4, v7
	v_readfirstlane_b32 s5, v8
	ds_load_b32 v14, v13 offset:10240
	s_wait_dscnt 0x0
	global_store_b32 v13, v14, s[4:5] offset:10240
.LBB1990_351:
	s_wait_alu 0xfffe
	s_or_b32 exec_lo, exec_lo, s2
.LBB1990_352:
	s_wait_alu 0xfffe
	s_and_not1_saveexec_b32 s1, s1
	s_cbranch_execz .LBB1990_354
; %bb.353:
	v_lshlrev_b32_e32 v13, 2, v0
	v_readfirstlane_b32 s2, v9
	v_readfirstlane_b32 s3, v10
	ds_load_b32 v14, v13 offset:10240
	s_wait_dscnt 0x0
	global_store_b32 v13, v14, s[2:3] offset:10240
.LBB1990_354:
	s_wait_alu 0xfffe
	s_or_b32 exec_lo, exec_lo, s0
	s_delay_alu instid0(SALU_CYCLE_1)
	s_mov_b32 s0, exec_lo
	v_cmpx_gt_u32_e64 s33, v28
	s_cbranch_execz .LBB1990_363
; %bb.355:
	s_mov_b32 s1, exec_lo
	v_cmpx_ge_u32_e64 v28, v1
	s_wait_alu 0xfffe
	s_xor_b32 s1, exec_lo, s1
	s_cbranch_execz .LBB1990_361
; %bb.356:
	s_mov_b32 s2, exec_lo
	v_cmpx_ge_u32_e64 v28, v12
	s_wait_alu 0xfffe
	s_xor_b32 s2, exec_lo, s2
	s_cbranch_execz .LBB1990_358
; %bb.357:
	v_lshlrev_b32_e32 v13, 2, v0
	ds_load_b32 v15, v13 offset:11264
	v_add_co_u32 v13, vcc_lo, v3, v0
	s_wait_alu 0xfffd
	v_add_co_ci_u32_e64 v14, null, 0, v11, vcc_lo
	s_delay_alu instid0(VALU_DEP_1) | instskip(NEXT) | instid1(VALU_DEP_1)
	v_lshlrev_b64_e32 v[13:14], 2, v[13:14]
	v_sub_co_u32 v13, vcc_lo, s26, v13
	s_wait_alu 0xfffd
	s_delay_alu instid0(VALU_DEP_2)
	v_sub_co_ci_u32_e64 v14, null, s27, v14, vcc_lo
	s_wait_dscnt 0x0
	global_store_b32 v[13:14], v15, off offset:-11268
.LBB1990_358:
	s_wait_alu 0xfffe
	s_and_not1_saveexec_b32 s2, s2
	s_cbranch_execz .LBB1990_360
; %bb.359:
	v_lshlrev_b32_e32 v13, 2, v0
	v_readfirstlane_b32 s4, v7
	v_readfirstlane_b32 s5, v8
	ds_load_b32 v14, v13 offset:11264
	s_wait_dscnt 0x0
	global_store_b32 v13, v14, s[4:5] offset:11264
.LBB1990_360:
	s_wait_alu 0xfffe
	s_or_b32 exec_lo, exec_lo, s2
.LBB1990_361:
	s_wait_alu 0xfffe
	s_and_not1_saveexec_b32 s1, s1
	s_cbranch_execz .LBB1990_363
; %bb.362:
	v_lshlrev_b32_e32 v13, 2, v0
	v_readfirstlane_b32 s2, v9
	v_readfirstlane_b32 s3, v10
	ds_load_b32 v14, v13 offset:11264
	s_wait_dscnt 0x0
	global_store_b32 v13, v14, s[2:3] offset:11264
.LBB1990_363:
	s_wait_alu 0xfffe
	s_or_b32 exec_lo, exec_lo, s0
	s_delay_alu instid0(SALU_CYCLE_1)
	s_mov_b32 s0, exec_lo
	v_cmpx_gt_u32_e64 s33, v27
	s_cbranch_execz .LBB1990_372
; %bb.364:
	s_mov_b32 s1, exec_lo
	v_cmpx_ge_u32_e64 v27, v1
	s_wait_alu 0xfffe
	s_xor_b32 s1, exec_lo, s1
	s_cbranch_execz .LBB1990_370
; %bb.365:
	s_mov_b32 s2, exec_lo
	v_cmpx_ge_u32_e64 v27, v12
	s_wait_alu 0xfffe
	s_xor_b32 s2, exec_lo, s2
	s_cbranch_execz .LBB1990_367
; %bb.366:
	v_lshlrev_b32_e32 v7, 2, v0
	ds_load_b32 v9, v7 offset:12288
	v_add_co_u32 v7, vcc_lo, v3, v0
	s_wait_alu 0xfffd
	v_add_co_ci_u32_e64 v8, null, 0, v11, vcc_lo
	s_delay_alu instid0(VALU_DEP_1) | instskip(NEXT) | instid1(VALU_DEP_1)
	v_lshlrev_b64_e32 v[7:8], 2, v[7:8]
	v_sub_co_u32 v7, vcc_lo, s26, v7
	s_wait_alu 0xfffd
	s_delay_alu instid0(VALU_DEP_2)
	v_sub_co_ci_u32_e64 v8, null, s27, v8, vcc_lo
	s_wait_dscnt 0x0
	global_store_b32 v[7:8], v9, off offset:-12292
                                        ; implicit-def: $vgpr7_vgpr8
.LBB1990_367:
	s_wait_alu 0xfffe
	s_and_not1_saveexec_b32 s2, s2
	s_cbranch_execz .LBB1990_369
; %bb.368:
	v_lshlrev_b32_e32 v3, 2, v0
	v_readfirstlane_b32 s4, v7
	v_readfirstlane_b32 s5, v8
	ds_load_b32 v9, v3 offset:12288
	s_wait_dscnt 0x0
	global_store_b32 v3, v9, s[4:5] offset:12288
.LBB1990_369:
	s_wait_alu 0xfffe
	s_or_b32 exec_lo, exec_lo, s2
                                        ; implicit-def: $vgpr9_vgpr10
.LBB1990_370:
	s_wait_alu 0xfffe
	s_and_not1_saveexec_b32 s1, s1
	s_cbranch_execz .LBB1990_372
; %bb.371:
	v_lshlrev_b32_e32 v3, 2, v0
	v_readfirstlane_b32 s2, v9
	v_readfirstlane_b32 s3, v10
	ds_load_b32 v7, v3 offset:12288
	s_wait_dscnt 0x0
	global_store_b32 v3, v7, s[2:3] offset:12288
.LBB1990_372:
	s_wait_alu 0xfffe
	s_or_b32 exec_lo, exec_lo, s0
	v_cmp_eq_u32_e32 vcc_lo, 0, v0
	s_and_b32 s0, vcc_lo, s15
	s_wait_alu 0xfffe
	s_and_saveexec_b32 s1, s0
	s_cbranch_execz .LBB1990_149
.LBB1990_373:
	v_add_co_u32 v0, s0, s30, v2
	s_wait_alu 0xf1ff
	v_add_co_ci_u32_e64 v3, null, s31, 0, s0
	v_mov_b32_e32 v7, 0
	s_delay_alu instid0(VALU_DEP_3) | instskip(SKIP_1) | instid1(VALU_DEP_3)
	v_add_co_u32 v2, vcc_lo, v0, v4
	s_wait_alu 0xfffd
	v_add_co_ci_u32_e64 v3, null, 0, v3, vcc_lo
	v_add_co_u32 v0, vcc_lo, v5, v1
	s_wait_alu 0xfffd
	v_add_co_ci_u32_e64 v1, null, 0, v6, vcc_lo
	global_store_b128 v7, v[0:3], s[24:25]
	s_endpgm
.LBB1990_374:
	s_add_co_i32 s8, ttmp9, 32
	s_mov_b32 s9, 0
	v_dual_mov_b32 v7, 2 :: v_dual_add_nc_u32 v6, v4, v2
	s_wait_alu 0xfffe
	s_lshl_b64 s[8:9], s[8:9], 4
	v_dual_mov_b32 v8, 0 :: v_dual_add_nc_u32 v5, v3, v1
	s_wait_alu 0xfffe
	s_add_nc_u64 s[8:9], s[4:5], s[8:9]
	s_wait_alu 0xfffe
	v_dual_mov_b32 v24, s9 :: v_dual_mov_b32 v23, s8
	;;#ASMSTART
	global_store_b128 v[23:24], v[5:8] off scope:SCOPE_DEV	
s_wait_storecnt 0x0
	;;#ASMEND
	s_or_b32 exec_lo, exec_lo, s6
	s_and_saveexec_b32 s6, s2
	s_cbranch_execz .LBB1990_134
.LBB1990_375:
	v_mov_b32_e32 v5, 0
	ds_store_b128 v5, v[1:4] offset:13312
	s_wait_alu 0xfffe
	s_or_b32 exec_lo, exec_lo, s6
	v_cmp_eq_u32_e32 vcc_lo, 0, v0
	s_and_b32 exec_lo, exec_lo, vcc_lo
	s_cbranch_execnz .LBB1990_135
	s_branch .LBB1990_136
	.section	.rodata,"a",@progbits
	.p2align	6, 0x0
	.amdhsa_kernel _ZN7rocprim17ROCPRIM_400000_NS6detail17trampoline_kernelINS0_13select_configILj256ELj13ELNS0_17block_load_methodE3ELS4_3ELS4_3ELNS0_20block_scan_algorithmE0ELj4294967295EEENS1_25partition_config_selectorILNS1_17partition_subalgoE4EjNS0_10empty_typeEbEEZZNS1_14partition_implILS8_4ELb0ES6_15HIP_vector_typeIjLj2EENS0_17counting_iteratorIjlEEPS9_SG_NS0_5tupleIJPjSI_NS0_16reverse_iteratorISI_EEEEENSH_IJSG_SG_SG_EEES9_SI_JZNS1_25segmented_radix_sort_implINS0_14default_configELb0EPK12hip_bfloat16PSP_PKlPlN2at6native12_GLOBAL__N_18offset_tEEE10hipError_tPvRmT1_PNSt15iterator_traitsIS13_E10value_typeET2_T3_PNS14_IS19_E10value_typeET4_jRbjT5_S1F_jjP12ihipStream_tbEUljE_ZNSN_ISO_Lb0ESR_SS_SU_SV_SZ_EES10_S11_S12_S13_S17_S18_S19_S1C_S1D_jS1E_jS1F_S1F_jjS1H_bEUljE0_EEES10_S11_S12_S19_S1D_S1F_T6_T7_T9_mT8_S1H_bDpT10_ENKUlT_T0_E_clISt17integral_constantIbLb0EES1V_EEDaS1Q_S1R_EUlS1Q_E_NS1_11comp_targetILNS1_3genE10ELNS1_11target_archE1200ELNS1_3gpuE4ELNS1_3repE0EEENS1_30default_config_static_selectorELNS0_4arch9wavefront6targetE0EEEvS13_
		.amdhsa_group_segment_fixed_size 13328
		.amdhsa_private_segment_fixed_size 0
		.amdhsa_kernarg_size 176
		.amdhsa_user_sgpr_count 2
		.amdhsa_user_sgpr_dispatch_ptr 0
		.amdhsa_user_sgpr_queue_ptr 0
		.amdhsa_user_sgpr_kernarg_segment_ptr 1
		.amdhsa_user_sgpr_dispatch_id 0
		.amdhsa_user_sgpr_private_segment_size 0
		.amdhsa_wavefront_size32 1
		.amdhsa_uses_dynamic_stack 0
		.amdhsa_enable_private_segment 0
		.amdhsa_system_sgpr_workgroup_id_x 1
		.amdhsa_system_sgpr_workgroup_id_y 0
		.amdhsa_system_sgpr_workgroup_id_z 0
		.amdhsa_system_sgpr_workgroup_info 0
		.amdhsa_system_vgpr_workitem_id 0
		.amdhsa_next_free_vgpr 93
		.amdhsa_next_free_sgpr 58
		.amdhsa_reserve_vcc 1
		.amdhsa_float_round_mode_32 0
		.amdhsa_float_round_mode_16_64 0
		.amdhsa_float_denorm_mode_32 3
		.amdhsa_float_denorm_mode_16_64 3
		.amdhsa_fp16_overflow 0
		.amdhsa_workgroup_processor_mode 1
		.amdhsa_memory_ordered 1
		.amdhsa_forward_progress 1
		.amdhsa_inst_pref_size 148
		.amdhsa_round_robin_scheduling 0
		.amdhsa_exception_fp_ieee_invalid_op 0
		.amdhsa_exception_fp_denorm_src 0
		.amdhsa_exception_fp_ieee_div_zero 0
		.amdhsa_exception_fp_ieee_overflow 0
		.amdhsa_exception_fp_ieee_underflow 0
		.amdhsa_exception_fp_ieee_inexact 0
		.amdhsa_exception_int_div_zero 0
	.end_amdhsa_kernel
	.section	.text._ZN7rocprim17ROCPRIM_400000_NS6detail17trampoline_kernelINS0_13select_configILj256ELj13ELNS0_17block_load_methodE3ELS4_3ELS4_3ELNS0_20block_scan_algorithmE0ELj4294967295EEENS1_25partition_config_selectorILNS1_17partition_subalgoE4EjNS0_10empty_typeEbEEZZNS1_14partition_implILS8_4ELb0ES6_15HIP_vector_typeIjLj2EENS0_17counting_iteratorIjlEEPS9_SG_NS0_5tupleIJPjSI_NS0_16reverse_iteratorISI_EEEEENSH_IJSG_SG_SG_EEES9_SI_JZNS1_25segmented_radix_sort_implINS0_14default_configELb0EPK12hip_bfloat16PSP_PKlPlN2at6native12_GLOBAL__N_18offset_tEEE10hipError_tPvRmT1_PNSt15iterator_traitsIS13_E10value_typeET2_T3_PNS14_IS19_E10value_typeET4_jRbjT5_S1F_jjP12ihipStream_tbEUljE_ZNSN_ISO_Lb0ESR_SS_SU_SV_SZ_EES10_S11_S12_S13_S17_S18_S19_S1C_S1D_jS1E_jS1F_S1F_jjS1H_bEUljE0_EEES10_S11_S12_S19_S1D_S1F_T6_T7_T9_mT8_S1H_bDpT10_ENKUlT_T0_E_clISt17integral_constantIbLb0EES1V_EEDaS1Q_S1R_EUlS1Q_E_NS1_11comp_targetILNS1_3genE10ELNS1_11target_archE1200ELNS1_3gpuE4ELNS1_3repE0EEENS1_30default_config_static_selectorELNS0_4arch9wavefront6targetE0EEEvS13_,"axG",@progbits,_ZN7rocprim17ROCPRIM_400000_NS6detail17trampoline_kernelINS0_13select_configILj256ELj13ELNS0_17block_load_methodE3ELS4_3ELS4_3ELNS0_20block_scan_algorithmE0ELj4294967295EEENS1_25partition_config_selectorILNS1_17partition_subalgoE4EjNS0_10empty_typeEbEEZZNS1_14partition_implILS8_4ELb0ES6_15HIP_vector_typeIjLj2EENS0_17counting_iteratorIjlEEPS9_SG_NS0_5tupleIJPjSI_NS0_16reverse_iteratorISI_EEEEENSH_IJSG_SG_SG_EEES9_SI_JZNS1_25segmented_radix_sort_implINS0_14default_configELb0EPK12hip_bfloat16PSP_PKlPlN2at6native12_GLOBAL__N_18offset_tEEE10hipError_tPvRmT1_PNSt15iterator_traitsIS13_E10value_typeET2_T3_PNS14_IS19_E10value_typeET4_jRbjT5_S1F_jjP12ihipStream_tbEUljE_ZNSN_ISO_Lb0ESR_SS_SU_SV_SZ_EES10_S11_S12_S13_S17_S18_S19_S1C_S1D_jS1E_jS1F_S1F_jjS1H_bEUljE0_EEES10_S11_S12_S19_S1D_S1F_T6_T7_T9_mT8_S1H_bDpT10_ENKUlT_T0_E_clISt17integral_constantIbLb0EES1V_EEDaS1Q_S1R_EUlS1Q_E_NS1_11comp_targetILNS1_3genE10ELNS1_11target_archE1200ELNS1_3gpuE4ELNS1_3repE0EEENS1_30default_config_static_selectorELNS0_4arch9wavefront6targetE0EEEvS13_,comdat
.Lfunc_end1990:
	.size	_ZN7rocprim17ROCPRIM_400000_NS6detail17trampoline_kernelINS0_13select_configILj256ELj13ELNS0_17block_load_methodE3ELS4_3ELS4_3ELNS0_20block_scan_algorithmE0ELj4294967295EEENS1_25partition_config_selectorILNS1_17partition_subalgoE4EjNS0_10empty_typeEbEEZZNS1_14partition_implILS8_4ELb0ES6_15HIP_vector_typeIjLj2EENS0_17counting_iteratorIjlEEPS9_SG_NS0_5tupleIJPjSI_NS0_16reverse_iteratorISI_EEEEENSH_IJSG_SG_SG_EEES9_SI_JZNS1_25segmented_radix_sort_implINS0_14default_configELb0EPK12hip_bfloat16PSP_PKlPlN2at6native12_GLOBAL__N_18offset_tEEE10hipError_tPvRmT1_PNSt15iterator_traitsIS13_E10value_typeET2_T3_PNS14_IS19_E10value_typeET4_jRbjT5_S1F_jjP12ihipStream_tbEUljE_ZNSN_ISO_Lb0ESR_SS_SU_SV_SZ_EES10_S11_S12_S13_S17_S18_S19_S1C_S1D_jS1E_jS1F_S1F_jjS1H_bEUljE0_EEES10_S11_S12_S19_S1D_S1F_T6_T7_T9_mT8_S1H_bDpT10_ENKUlT_T0_E_clISt17integral_constantIbLb0EES1V_EEDaS1Q_S1R_EUlS1Q_E_NS1_11comp_targetILNS1_3genE10ELNS1_11target_archE1200ELNS1_3gpuE4ELNS1_3repE0EEENS1_30default_config_static_selectorELNS0_4arch9wavefront6targetE0EEEvS13_, .Lfunc_end1990-_ZN7rocprim17ROCPRIM_400000_NS6detail17trampoline_kernelINS0_13select_configILj256ELj13ELNS0_17block_load_methodE3ELS4_3ELS4_3ELNS0_20block_scan_algorithmE0ELj4294967295EEENS1_25partition_config_selectorILNS1_17partition_subalgoE4EjNS0_10empty_typeEbEEZZNS1_14partition_implILS8_4ELb0ES6_15HIP_vector_typeIjLj2EENS0_17counting_iteratorIjlEEPS9_SG_NS0_5tupleIJPjSI_NS0_16reverse_iteratorISI_EEEEENSH_IJSG_SG_SG_EEES9_SI_JZNS1_25segmented_radix_sort_implINS0_14default_configELb0EPK12hip_bfloat16PSP_PKlPlN2at6native12_GLOBAL__N_18offset_tEEE10hipError_tPvRmT1_PNSt15iterator_traitsIS13_E10value_typeET2_T3_PNS14_IS19_E10value_typeET4_jRbjT5_S1F_jjP12ihipStream_tbEUljE_ZNSN_ISO_Lb0ESR_SS_SU_SV_SZ_EES10_S11_S12_S13_S17_S18_S19_S1C_S1D_jS1E_jS1F_S1F_jjS1H_bEUljE0_EEES10_S11_S12_S19_S1D_S1F_T6_T7_T9_mT8_S1H_bDpT10_ENKUlT_T0_E_clISt17integral_constantIbLb0EES1V_EEDaS1Q_S1R_EUlS1Q_E_NS1_11comp_targetILNS1_3genE10ELNS1_11target_archE1200ELNS1_3gpuE4ELNS1_3repE0EEENS1_30default_config_static_selectorELNS0_4arch9wavefront6targetE0EEEvS13_
                                        ; -- End function
	.set _ZN7rocprim17ROCPRIM_400000_NS6detail17trampoline_kernelINS0_13select_configILj256ELj13ELNS0_17block_load_methodE3ELS4_3ELS4_3ELNS0_20block_scan_algorithmE0ELj4294967295EEENS1_25partition_config_selectorILNS1_17partition_subalgoE4EjNS0_10empty_typeEbEEZZNS1_14partition_implILS8_4ELb0ES6_15HIP_vector_typeIjLj2EENS0_17counting_iteratorIjlEEPS9_SG_NS0_5tupleIJPjSI_NS0_16reverse_iteratorISI_EEEEENSH_IJSG_SG_SG_EEES9_SI_JZNS1_25segmented_radix_sort_implINS0_14default_configELb0EPK12hip_bfloat16PSP_PKlPlN2at6native12_GLOBAL__N_18offset_tEEE10hipError_tPvRmT1_PNSt15iterator_traitsIS13_E10value_typeET2_T3_PNS14_IS19_E10value_typeET4_jRbjT5_S1F_jjP12ihipStream_tbEUljE_ZNSN_ISO_Lb0ESR_SS_SU_SV_SZ_EES10_S11_S12_S13_S17_S18_S19_S1C_S1D_jS1E_jS1F_S1F_jjS1H_bEUljE0_EEES10_S11_S12_S19_S1D_S1F_T6_T7_T9_mT8_S1H_bDpT10_ENKUlT_T0_E_clISt17integral_constantIbLb0EES1V_EEDaS1Q_S1R_EUlS1Q_E_NS1_11comp_targetILNS1_3genE10ELNS1_11target_archE1200ELNS1_3gpuE4ELNS1_3repE0EEENS1_30default_config_static_selectorELNS0_4arch9wavefront6targetE0EEEvS13_.num_vgpr, 93
	.set _ZN7rocprim17ROCPRIM_400000_NS6detail17trampoline_kernelINS0_13select_configILj256ELj13ELNS0_17block_load_methodE3ELS4_3ELS4_3ELNS0_20block_scan_algorithmE0ELj4294967295EEENS1_25partition_config_selectorILNS1_17partition_subalgoE4EjNS0_10empty_typeEbEEZZNS1_14partition_implILS8_4ELb0ES6_15HIP_vector_typeIjLj2EENS0_17counting_iteratorIjlEEPS9_SG_NS0_5tupleIJPjSI_NS0_16reverse_iteratorISI_EEEEENSH_IJSG_SG_SG_EEES9_SI_JZNS1_25segmented_radix_sort_implINS0_14default_configELb0EPK12hip_bfloat16PSP_PKlPlN2at6native12_GLOBAL__N_18offset_tEEE10hipError_tPvRmT1_PNSt15iterator_traitsIS13_E10value_typeET2_T3_PNS14_IS19_E10value_typeET4_jRbjT5_S1F_jjP12ihipStream_tbEUljE_ZNSN_ISO_Lb0ESR_SS_SU_SV_SZ_EES10_S11_S12_S13_S17_S18_S19_S1C_S1D_jS1E_jS1F_S1F_jjS1H_bEUljE0_EEES10_S11_S12_S19_S1D_S1F_T6_T7_T9_mT8_S1H_bDpT10_ENKUlT_T0_E_clISt17integral_constantIbLb0EES1V_EEDaS1Q_S1R_EUlS1Q_E_NS1_11comp_targetILNS1_3genE10ELNS1_11target_archE1200ELNS1_3gpuE4ELNS1_3repE0EEENS1_30default_config_static_selectorELNS0_4arch9wavefront6targetE0EEEvS13_.num_agpr, 0
	.set _ZN7rocprim17ROCPRIM_400000_NS6detail17trampoline_kernelINS0_13select_configILj256ELj13ELNS0_17block_load_methodE3ELS4_3ELS4_3ELNS0_20block_scan_algorithmE0ELj4294967295EEENS1_25partition_config_selectorILNS1_17partition_subalgoE4EjNS0_10empty_typeEbEEZZNS1_14partition_implILS8_4ELb0ES6_15HIP_vector_typeIjLj2EENS0_17counting_iteratorIjlEEPS9_SG_NS0_5tupleIJPjSI_NS0_16reverse_iteratorISI_EEEEENSH_IJSG_SG_SG_EEES9_SI_JZNS1_25segmented_radix_sort_implINS0_14default_configELb0EPK12hip_bfloat16PSP_PKlPlN2at6native12_GLOBAL__N_18offset_tEEE10hipError_tPvRmT1_PNSt15iterator_traitsIS13_E10value_typeET2_T3_PNS14_IS19_E10value_typeET4_jRbjT5_S1F_jjP12ihipStream_tbEUljE_ZNSN_ISO_Lb0ESR_SS_SU_SV_SZ_EES10_S11_S12_S13_S17_S18_S19_S1C_S1D_jS1E_jS1F_S1F_jjS1H_bEUljE0_EEES10_S11_S12_S19_S1D_S1F_T6_T7_T9_mT8_S1H_bDpT10_ENKUlT_T0_E_clISt17integral_constantIbLb0EES1V_EEDaS1Q_S1R_EUlS1Q_E_NS1_11comp_targetILNS1_3genE10ELNS1_11target_archE1200ELNS1_3gpuE4ELNS1_3repE0EEENS1_30default_config_static_selectorELNS0_4arch9wavefront6targetE0EEEvS13_.numbered_sgpr, 58
	.set _ZN7rocprim17ROCPRIM_400000_NS6detail17trampoline_kernelINS0_13select_configILj256ELj13ELNS0_17block_load_methodE3ELS4_3ELS4_3ELNS0_20block_scan_algorithmE0ELj4294967295EEENS1_25partition_config_selectorILNS1_17partition_subalgoE4EjNS0_10empty_typeEbEEZZNS1_14partition_implILS8_4ELb0ES6_15HIP_vector_typeIjLj2EENS0_17counting_iteratorIjlEEPS9_SG_NS0_5tupleIJPjSI_NS0_16reverse_iteratorISI_EEEEENSH_IJSG_SG_SG_EEES9_SI_JZNS1_25segmented_radix_sort_implINS0_14default_configELb0EPK12hip_bfloat16PSP_PKlPlN2at6native12_GLOBAL__N_18offset_tEEE10hipError_tPvRmT1_PNSt15iterator_traitsIS13_E10value_typeET2_T3_PNS14_IS19_E10value_typeET4_jRbjT5_S1F_jjP12ihipStream_tbEUljE_ZNSN_ISO_Lb0ESR_SS_SU_SV_SZ_EES10_S11_S12_S13_S17_S18_S19_S1C_S1D_jS1E_jS1F_S1F_jjS1H_bEUljE0_EEES10_S11_S12_S19_S1D_S1F_T6_T7_T9_mT8_S1H_bDpT10_ENKUlT_T0_E_clISt17integral_constantIbLb0EES1V_EEDaS1Q_S1R_EUlS1Q_E_NS1_11comp_targetILNS1_3genE10ELNS1_11target_archE1200ELNS1_3gpuE4ELNS1_3repE0EEENS1_30default_config_static_selectorELNS0_4arch9wavefront6targetE0EEEvS13_.num_named_barrier, 0
	.set _ZN7rocprim17ROCPRIM_400000_NS6detail17trampoline_kernelINS0_13select_configILj256ELj13ELNS0_17block_load_methodE3ELS4_3ELS4_3ELNS0_20block_scan_algorithmE0ELj4294967295EEENS1_25partition_config_selectorILNS1_17partition_subalgoE4EjNS0_10empty_typeEbEEZZNS1_14partition_implILS8_4ELb0ES6_15HIP_vector_typeIjLj2EENS0_17counting_iteratorIjlEEPS9_SG_NS0_5tupleIJPjSI_NS0_16reverse_iteratorISI_EEEEENSH_IJSG_SG_SG_EEES9_SI_JZNS1_25segmented_radix_sort_implINS0_14default_configELb0EPK12hip_bfloat16PSP_PKlPlN2at6native12_GLOBAL__N_18offset_tEEE10hipError_tPvRmT1_PNSt15iterator_traitsIS13_E10value_typeET2_T3_PNS14_IS19_E10value_typeET4_jRbjT5_S1F_jjP12ihipStream_tbEUljE_ZNSN_ISO_Lb0ESR_SS_SU_SV_SZ_EES10_S11_S12_S13_S17_S18_S19_S1C_S1D_jS1E_jS1F_S1F_jjS1H_bEUljE0_EEES10_S11_S12_S19_S1D_S1F_T6_T7_T9_mT8_S1H_bDpT10_ENKUlT_T0_E_clISt17integral_constantIbLb0EES1V_EEDaS1Q_S1R_EUlS1Q_E_NS1_11comp_targetILNS1_3genE10ELNS1_11target_archE1200ELNS1_3gpuE4ELNS1_3repE0EEENS1_30default_config_static_selectorELNS0_4arch9wavefront6targetE0EEEvS13_.private_seg_size, 0
	.set _ZN7rocprim17ROCPRIM_400000_NS6detail17trampoline_kernelINS0_13select_configILj256ELj13ELNS0_17block_load_methodE3ELS4_3ELS4_3ELNS0_20block_scan_algorithmE0ELj4294967295EEENS1_25partition_config_selectorILNS1_17partition_subalgoE4EjNS0_10empty_typeEbEEZZNS1_14partition_implILS8_4ELb0ES6_15HIP_vector_typeIjLj2EENS0_17counting_iteratorIjlEEPS9_SG_NS0_5tupleIJPjSI_NS0_16reverse_iteratorISI_EEEEENSH_IJSG_SG_SG_EEES9_SI_JZNS1_25segmented_radix_sort_implINS0_14default_configELb0EPK12hip_bfloat16PSP_PKlPlN2at6native12_GLOBAL__N_18offset_tEEE10hipError_tPvRmT1_PNSt15iterator_traitsIS13_E10value_typeET2_T3_PNS14_IS19_E10value_typeET4_jRbjT5_S1F_jjP12ihipStream_tbEUljE_ZNSN_ISO_Lb0ESR_SS_SU_SV_SZ_EES10_S11_S12_S13_S17_S18_S19_S1C_S1D_jS1E_jS1F_S1F_jjS1H_bEUljE0_EEES10_S11_S12_S19_S1D_S1F_T6_T7_T9_mT8_S1H_bDpT10_ENKUlT_T0_E_clISt17integral_constantIbLb0EES1V_EEDaS1Q_S1R_EUlS1Q_E_NS1_11comp_targetILNS1_3genE10ELNS1_11target_archE1200ELNS1_3gpuE4ELNS1_3repE0EEENS1_30default_config_static_selectorELNS0_4arch9wavefront6targetE0EEEvS13_.uses_vcc, 1
	.set _ZN7rocprim17ROCPRIM_400000_NS6detail17trampoline_kernelINS0_13select_configILj256ELj13ELNS0_17block_load_methodE3ELS4_3ELS4_3ELNS0_20block_scan_algorithmE0ELj4294967295EEENS1_25partition_config_selectorILNS1_17partition_subalgoE4EjNS0_10empty_typeEbEEZZNS1_14partition_implILS8_4ELb0ES6_15HIP_vector_typeIjLj2EENS0_17counting_iteratorIjlEEPS9_SG_NS0_5tupleIJPjSI_NS0_16reverse_iteratorISI_EEEEENSH_IJSG_SG_SG_EEES9_SI_JZNS1_25segmented_radix_sort_implINS0_14default_configELb0EPK12hip_bfloat16PSP_PKlPlN2at6native12_GLOBAL__N_18offset_tEEE10hipError_tPvRmT1_PNSt15iterator_traitsIS13_E10value_typeET2_T3_PNS14_IS19_E10value_typeET4_jRbjT5_S1F_jjP12ihipStream_tbEUljE_ZNSN_ISO_Lb0ESR_SS_SU_SV_SZ_EES10_S11_S12_S13_S17_S18_S19_S1C_S1D_jS1E_jS1F_S1F_jjS1H_bEUljE0_EEES10_S11_S12_S19_S1D_S1F_T6_T7_T9_mT8_S1H_bDpT10_ENKUlT_T0_E_clISt17integral_constantIbLb0EES1V_EEDaS1Q_S1R_EUlS1Q_E_NS1_11comp_targetILNS1_3genE10ELNS1_11target_archE1200ELNS1_3gpuE4ELNS1_3repE0EEENS1_30default_config_static_selectorELNS0_4arch9wavefront6targetE0EEEvS13_.uses_flat_scratch, 0
	.set _ZN7rocprim17ROCPRIM_400000_NS6detail17trampoline_kernelINS0_13select_configILj256ELj13ELNS0_17block_load_methodE3ELS4_3ELS4_3ELNS0_20block_scan_algorithmE0ELj4294967295EEENS1_25partition_config_selectorILNS1_17partition_subalgoE4EjNS0_10empty_typeEbEEZZNS1_14partition_implILS8_4ELb0ES6_15HIP_vector_typeIjLj2EENS0_17counting_iteratorIjlEEPS9_SG_NS0_5tupleIJPjSI_NS0_16reverse_iteratorISI_EEEEENSH_IJSG_SG_SG_EEES9_SI_JZNS1_25segmented_radix_sort_implINS0_14default_configELb0EPK12hip_bfloat16PSP_PKlPlN2at6native12_GLOBAL__N_18offset_tEEE10hipError_tPvRmT1_PNSt15iterator_traitsIS13_E10value_typeET2_T3_PNS14_IS19_E10value_typeET4_jRbjT5_S1F_jjP12ihipStream_tbEUljE_ZNSN_ISO_Lb0ESR_SS_SU_SV_SZ_EES10_S11_S12_S13_S17_S18_S19_S1C_S1D_jS1E_jS1F_S1F_jjS1H_bEUljE0_EEES10_S11_S12_S19_S1D_S1F_T6_T7_T9_mT8_S1H_bDpT10_ENKUlT_T0_E_clISt17integral_constantIbLb0EES1V_EEDaS1Q_S1R_EUlS1Q_E_NS1_11comp_targetILNS1_3genE10ELNS1_11target_archE1200ELNS1_3gpuE4ELNS1_3repE0EEENS1_30default_config_static_selectorELNS0_4arch9wavefront6targetE0EEEvS13_.has_dyn_sized_stack, 0
	.set _ZN7rocprim17ROCPRIM_400000_NS6detail17trampoline_kernelINS0_13select_configILj256ELj13ELNS0_17block_load_methodE3ELS4_3ELS4_3ELNS0_20block_scan_algorithmE0ELj4294967295EEENS1_25partition_config_selectorILNS1_17partition_subalgoE4EjNS0_10empty_typeEbEEZZNS1_14partition_implILS8_4ELb0ES6_15HIP_vector_typeIjLj2EENS0_17counting_iteratorIjlEEPS9_SG_NS0_5tupleIJPjSI_NS0_16reverse_iteratorISI_EEEEENSH_IJSG_SG_SG_EEES9_SI_JZNS1_25segmented_radix_sort_implINS0_14default_configELb0EPK12hip_bfloat16PSP_PKlPlN2at6native12_GLOBAL__N_18offset_tEEE10hipError_tPvRmT1_PNSt15iterator_traitsIS13_E10value_typeET2_T3_PNS14_IS19_E10value_typeET4_jRbjT5_S1F_jjP12ihipStream_tbEUljE_ZNSN_ISO_Lb0ESR_SS_SU_SV_SZ_EES10_S11_S12_S13_S17_S18_S19_S1C_S1D_jS1E_jS1F_S1F_jjS1H_bEUljE0_EEES10_S11_S12_S19_S1D_S1F_T6_T7_T9_mT8_S1H_bDpT10_ENKUlT_T0_E_clISt17integral_constantIbLb0EES1V_EEDaS1Q_S1R_EUlS1Q_E_NS1_11comp_targetILNS1_3genE10ELNS1_11target_archE1200ELNS1_3gpuE4ELNS1_3repE0EEENS1_30default_config_static_selectorELNS0_4arch9wavefront6targetE0EEEvS13_.has_recursion, 0
	.set _ZN7rocprim17ROCPRIM_400000_NS6detail17trampoline_kernelINS0_13select_configILj256ELj13ELNS0_17block_load_methodE3ELS4_3ELS4_3ELNS0_20block_scan_algorithmE0ELj4294967295EEENS1_25partition_config_selectorILNS1_17partition_subalgoE4EjNS0_10empty_typeEbEEZZNS1_14partition_implILS8_4ELb0ES6_15HIP_vector_typeIjLj2EENS0_17counting_iteratorIjlEEPS9_SG_NS0_5tupleIJPjSI_NS0_16reverse_iteratorISI_EEEEENSH_IJSG_SG_SG_EEES9_SI_JZNS1_25segmented_radix_sort_implINS0_14default_configELb0EPK12hip_bfloat16PSP_PKlPlN2at6native12_GLOBAL__N_18offset_tEEE10hipError_tPvRmT1_PNSt15iterator_traitsIS13_E10value_typeET2_T3_PNS14_IS19_E10value_typeET4_jRbjT5_S1F_jjP12ihipStream_tbEUljE_ZNSN_ISO_Lb0ESR_SS_SU_SV_SZ_EES10_S11_S12_S13_S17_S18_S19_S1C_S1D_jS1E_jS1F_S1F_jjS1H_bEUljE0_EEES10_S11_S12_S19_S1D_S1F_T6_T7_T9_mT8_S1H_bDpT10_ENKUlT_T0_E_clISt17integral_constantIbLb0EES1V_EEDaS1Q_S1R_EUlS1Q_E_NS1_11comp_targetILNS1_3genE10ELNS1_11target_archE1200ELNS1_3gpuE4ELNS1_3repE0EEENS1_30default_config_static_selectorELNS0_4arch9wavefront6targetE0EEEvS13_.has_indirect_call, 0
	.section	.AMDGPU.csdata,"",@progbits
; Kernel info:
; codeLenInByte = 18900
; TotalNumSgprs: 60
; NumVgprs: 93
; ScratchSize: 0
; MemoryBound: 0
; FloatMode: 240
; IeeeMode: 1
; LDSByteSize: 13328 bytes/workgroup (compile time only)
; SGPRBlocks: 0
; VGPRBlocks: 11
; NumSGPRsForWavesPerEU: 60
; NumVGPRsForWavesPerEU: 93
; Occupancy: 16
; WaveLimiterHint : 1
; COMPUTE_PGM_RSRC2:SCRATCH_EN: 0
; COMPUTE_PGM_RSRC2:USER_SGPR: 2
; COMPUTE_PGM_RSRC2:TRAP_HANDLER: 0
; COMPUTE_PGM_RSRC2:TGID_X_EN: 1
; COMPUTE_PGM_RSRC2:TGID_Y_EN: 0
; COMPUTE_PGM_RSRC2:TGID_Z_EN: 0
; COMPUTE_PGM_RSRC2:TIDIG_COMP_CNT: 0
	.section	.text._ZN7rocprim17ROCPRIM_400000_NS6detail17trampoline_kernelINS0_13select_configILj256ELj13ELNS0_17block_load_methodE3ELS4_3ELS4_3ELNS0_20block_scan_algorithmE0ELj4294967295EEENS1_25partition_config_selectorILNS1_17partition_subalgoE4EjNS0_10empty_typeEbEEZZNS1_14partition_implILS8_4ELb0ES6_15HIP_vector_typeIjLj2EENS0_17counting_iteratorIjlEEPS9_SG_NS0_5tupleIJPjSI_NS0_16reverse_iteratorISI_EEEEENSH_IJSG_SG_SG_EEES9_SI_JZNS1_25segmented_radix_sort_implINS0_14default_configELb0EPK12hip_bfloat16PSP_PKlPlN2at6native12_GLOBAL__N_18offset_tEEE10hipError_tPvRmT1_PNSt15iterator_traitsIS13_E10value_typeET2_T3_PNS14_IS19_E10value_typeET4_jRbjT5_S1F_jjP12ihipStream_tbEUljE_ZNSN_ISO_Lb0ESR_SS_SU_SV_SZ_EES10_S11_S12_S13_S17_S18_S19_S1C_S1D_jS1E_jS1F_S1F_jjS1H_bEUljE0_EEES10_S11_S12_S19_S1D_S1F_T6_T7_T9_mT8_S1H_bDpT10_ENKUlT_T0_E_clISt17integral_constantIbLb0EES1V_EEDaS1Q_S1R_EUlS1Q_E_NS1_11comp_targetILNS1_3genE9ELNS1_11target_archE1100ELNS1_3gpuE3ELNS1_3repE0EEENS1_30default_config_static_selectorELNS0_4arch9wavefront6targetE0EEEvS13_,"axG",@progbits,_ZN7rocprim17ROCPRIM_400000_NS6detail17trampoline_kernelINS0_13select_configILj256ELj13ELNS0_17block_load_methodE3ELS4_3ELS4_3ELNS0_20block_scan_algorithmE0ELj4294967295EEENS1_25partition_config_selectorILNS1_17partition_subalgoE4EjNS0_10empty_typeEbEEZZNS1_14partition_implILS8_4ELb0ES6_15HIP_vector_typeIjLj2EENS0_17counting_iteratorIjlEEPS9_SG_NS0_5tupleIJPjSI_NS0_16reverse_iteratorISI_EEEEENSH_IJSG_SG_SG_EEES9_SI_JZNS1_25segmented_radix_sort_implINS0_14default_configELb0EPK12hip_bfloat16PSP_PKlPlN2at6native12_GLOBAL__N_18offset_tEEE10hipError_tPvRmT1_PNSt15iterator_traitsIS13_E10value_typeET2_T3_PNS14_IS19_E10value_typeET4_jRbjT5_S1F_jjP12ihipStream_tbEUljE_ZNSN_ISO_Lb0ESR_SS_SU_SV_SZ_EES10_S11_S12_S13_S17_S18_S19_S1C_S1D_jS1E_jS1F_S1F_jjS1H_bEUljE0_EEES10_S11_S12_S19_S1D_S1F_T6_T7_T9_mT8_S1H_bDpT10_ENKUlT_T0_E_clISt17integral_constantIbLb0EES1V_EEDaS1Q_S1R_EUlS1Q_E_NS1_11comp_targetILNS1_3genE9ELNS1_11target_archE1100ELNS1_3gpuE3ELNS1_3repE0EEENS1_30default_config_static_selectorELNS0_4arch9wavefront6targetE0EEEvS13_,comdat
	.globl	_ZN7rocprim17ROCPRIM_400000_NS6detail17trampoline_kernelINS0_13select_configILj256ELj13ELNS0_17block_load_methodE3ELS4_3ELS4_3ELNS0_20block_scan_algorithmE0ELj4294967295EEENS1_25partition_config_selectorILNS1_17partition_subalgoE4EjNS0_10empty_typeEbEEZZNS1_14partition_implILS8_4ELb0ES6_15HIP_vector_typeIjLj2EENS0_17counting_iteratorIjlEEPS9_SG_NS0_5tupleIJPjSI_NS0_16reverse_iteratorISI_EEEEENSH_IJSG_SG_SG_EEES9_SI_JZNS1_25segmented_radix_sort_implINS0_14default_configELb0EPK12hip_bfloat16PSP_PKlPlN2at6native12_GLOBAL__N_18offset_tEEE10hipError_tPvRmT1_PNSt15iterator_traitsIS13_E10value_typeET2_T3_PNS14_IS19_E10value_typeET4_jRbjT5_S1F_jjP12ihipStream_tbEUljE_ZNSN_ISO_Lb0ESR_SS_SU_SV_SZ_EES10_S11_S12_S13_S17_S18_S19_S1C_S1D_jS1E_jS1F_S1F_jjS1H_bEUljE0_EEES10_S11_S12_S19_S1D_S1F_T6_T7_T9_mT8_S1H_bDpT10_ENKUlT_T0_E_clISt17integral_constantIbLb0EES1V_EEDaS1Q_S1R_EUlS1Q_E_NS1_11comp_targetILNS1_3genE9ELNS1_11target_archE1100ELNS1_3gpuE3ELNS1_3repE0EEENS1_30default_config_static_selectorELNS0_4arch9wavefront6targetE0EEEvS13_ ; -- Begin function _ZN7rocprim17ROCPRIM_400000_NS6detail17trampoline_kernelINS0_13select_configILj256ELj13ELNS0_17block_load_methodE3ELS4_3ELS4_3ELNS0_20block_scan_algorithmE0ELj4294967295EEENS1_25partition_config_selectorILNS1_17partition_subalgoE4EjNS0_10empty_typeEbEEZZNS1_14partition_implILS8_4ELb0ES6_15HIP_vector_typeIjLj2EENS0_17counting_iteratorIjlEEPS9_SG_NS0_5tupleIJPjSI_NS0_16reverse_iteratorISI_EEEEENSH_IJSG_SG_SG_EEES9_SI_JZNS1_25segmented_radix_sort_implINS0_14default_configELb0EPK12hip_bfloat16PSP_PKlPlN2at6native12_GLOBAL__N_18offset_tEEE10hipError_tPvRmT1_PNSt15iterator_traitsIS13_E10value_typeET2_T3_PNS14_IS19_E10value_typeET4_jRbjT5_S1F_jjP12ihipStream_tbEUljE_ZNSN_ISO_Lb0ESR_SS_SU_SV_SZ_EES10_S11_S12_S13_S17_S18_S19_S1C_S1D_jS1E_jS1F_S1F_jjS1H_bEUljE0_EEES10_S11_S12_S19_S1D_S1F_T6_T7_T9_mT8_S1H_bDpT10_ENKUlT_T0_E_clISt17integral_constantIbLb0EES1V_EEDaS1Q_S1R_EUlS1Q_E_NS1_11comp_targetILNS1_3genE9ELNS1_11target_archE1100ELNS1_3gpuE3ELNS1_3repE0EEENS1_30default_config_static_selectorELNS0_4arch9wavefront6targetE0EEEvS13_
	.p2align	8
	.type	_ZN7rocprim17ROCPRIM_400000_NS6detail17trampoline_kernelINS0_13select_configILj256ELj13ELNS0_17block_load_methodE3ELS4_3ELS4_3ELNS0_20block_scan_algorithmE0ELj4294967295EEENS1_25partition_config_selectorILNS1_17partition_subalgoE4EjNS0_10empty_typeEbEEZZNS1_14partition_implILS8_4ELb0ES6_15HIP_vector_typeIjLj2EENS0_17counting_iteratorIjlEEPS9_SG_NS0_5tupleIJPjSI_NS0_16reverse_iteratorISI_EEEEENSH_IJSG_SG_SG_EEES9_SI_JZNS1_25segmented_radix_sort_implINS0_14default_configELb0EPK12hip_bfloat16PSP_PKlPlN2at6native12_GLOBAL__N_18offset_tEEE10hipError_tPvRmT1_PNSt15iterator_traitsIS13_E10value_typeET2_T3_PNS14_IS19_E10value_typeET4_jRbjT5_S1F_jjP12ihipStream_tbEUljE_ZNSN_ISO_Lb0ESR_SS_SU_SV_SZ_EES10_S11_S12_S13_S17_S18_S19_S1C_S1D_jS1E_jS1F_S1F_jjS1H_bEUljE0_EEES10_S11_S12_S19_S1D_S1F_T6_T7_T9_mT8_S1H_bDpT10_ENKUlT_T0_E_clISt17integral_constantIbLb0EES1V_EEDaS1Q_S1R_EUlS1Q_E_NS1_11comp_targetILNS1_3genE9ELNS1_11target_archE1100ELNS1_3gpuE3ELNS1_3repE0EEENS1_30default_config_static_selectorELNS0_4arch9wavefront6targetE0EEEvS13_,@function
_ZN7rocprim17ROCPRIM_400000_NS6detail17trampoline_kernelINS0_13select_configILj256ELj13ELNS0_17block_load_methodE3ELS4_3ELS4_3ELNS0_20block_scan_algorithmE0ELj4294967295EEENS1_25partition_config_selectorILNS1_17partition_subalgoE4EjNS0_10empty_typeEbEEZZNS1_14partition_implILS8_4ELb0ES6_15HIP_vector_typeIjLj2EENS0_17counting_iteratorIjlEEPS9_SG_NS0_5tupleIJPjSI_NS0_16reverse_iteratorISI_EEEEENSH_IJSG_SG_SG_EEES9_SI_JZNS1_25segmented_radix_sort_implINS0_14default_configELb0EPK12hip_bfloat16PSP_PKlPlN2at6native12_GLOBAL__N_18offset_tEEE10hipError_tPvRmT1_PNSt15iterator_traitsIS13_E10value_typeET2_T3_PNS14_IS19_E10value_typeET4_jRbjT5_S1F_jjP12ihipStream_tbEUljE_ZNSN_ISO_Lb0ESR_SS_SU_SV_SZ_EES10_S11_S12_S13_S17_S18_S19_S1C_S1D_jS1E_jS1F_S1F_jjS1H_bEUljE0_EEES10_S11_S12_S19_S1D_S1F_T6_T7_T9_mT8_S1H_bDpT10_ENKUlT_T0_E_clISt17integral_constantIbLb0EES1V_EEDaS1Q_S1R_EUlS1Q_E_NS1_11comp_targetILNS1_3genE9ELNS1_11target_archE1100ELNS1_3gpuE3ELNS1_3repE0EEENS1_30default_config_static_selectorELNS0_4arch9wavefront6targetE0EEEvS13_: ; @_ZN7rocprim17ROCPRIM_400000_NS6detail17trampoline_kernelINS0_13select_configILj256ELj13ELNS0_17block_load_methodE3ELS4_3ELS4_3ELNS0_20block_scan_algorithmE0ELj4294967295EEENS1_25partition_config_selectorILNS1_17partition_subalgoE4EjNS0_10empty_typeEbEEZZNS1_14partition_implILS8_4ELb0ES6_15HIP_vector_typeIjLj2EENS0_17counting_iteratorIjlEEPS9_SG_NS0_5tupleIJPjSI_NS0_16reverse_iteratorISI_EEEEENSH_IJSG_SG_SG_EEES9_SI_JZNS1_25segmented_radix_sort_implINS0_14default_configELb0EPK12hip_bfloat16PSP_PKlPlN2at6native12_GLOBAL__N_18offset_tEEE10hipError_tPvRmT1_PNSt15iterator_traitsIS13_E10value_typeET2_T3_PNS14_IS19_E10value_typeET4_jRbjT5_S1F_jjP12ihipStream_tbEUljE_ZNSN_ISO_Lb0ESR_SS_SU_SV_SZ_EES10_S11_S12_S13_S17_S18_S19_S1C_S1D_jS1E_jS1F_S1F_jjS1H_bEUljE0_EEES10_S11_S12_S19_S1D_S1F_T6_T7_T9_mT8_S1H_bDpT10_ENKUlT_T0_E_clISt17integral_constantIbLb0EES1V_EEDaS1Q_S1R_EUlS1Q_E_NS1_11comp_targetILNS1_3genE9ELNS1_11target_archE1100ELNS1_3gpuE3ELNS1_3repE0EEENS1_30default_config_static_selectorELNS0_4arch9wavefront6targetE0EEEvS13_
; %bb.0:
	.section	.rodata,"a",@progbits
	.p2align	6, 0x0
	.amdhsa_kernel _ZN7rocprim17ROCPRIM_400000_NS6detail17trampoline_kernelINS0_13select_configILj256ELj13ELNS0_17block_load_methodE3ELS4_3ELS4_3ELNS0_20block_scan_algorithmE0ELj4294967295EEENS1_25partition_config_selectorILNS1_17partition_subalgoE4EjNS0_10empty_typeEbEEZZNS1_14partition_implILS8_4ELb0ES6_15HIP_vector_typeIjLj2EENS0_17counting_iteratorIjlEEPS9_SG_NS0_5tupleIJPjSI_NS0_16reverse_iteratorISI_EEEEENSH_IJSG_SG_SG_EEES9_SI_JZNS1_25segmented_radix_sort_implINS0_14default_configELb0EPK12hip_bfloat16PSP_PKlPlN2at6native12_GLOBAL__N_18offset_tEEE10hipError_tPvRmT1_PNSt15iterator_traitsIS13_E10value_typeET2_T3_PNS14_IS19_E10value_typeET4_jRbjT5_S1F_jjP12ihipStream_tbEUljE_ZNSN_ISO_Lb0ESR_SS_SU_SV_SZ_EES10_S11_S12_S13_S17_S18_S19_S1C_S1D_jS1E_jS1F_S1F_jjS1H_bEUljE0_EEES10_S11_S12_S19_S1D_S1F_T6_T7_T9_mT8_S1H_bDpT10_ENKUlT_T0_E_clISt17integral_constantIbLb0EES1V_EEDaS1Q_S1R_EUlS1Q_E_NS1_11comp_targetILNS1_3genE9ELNS1_11target_archE1100ELNS1_3gpuE3ELNS1_3repE0EEENS1_30default_config_static_selectorELNS0_4arch9wavefront6targetE0EEEvS13_
		.amdhsa_group_segment_fixed_size 0
		.amdhsa_private_segment_fixed_size 0
		.amdhsa_kernarg_size 176
		.amdhsa_user_sgpr_count 2
		.amdhsa_user_sgpr_dispatch_ptr 0
		.amdhsa_user_sgpr_queue_ptr 0
		.amdhsa_user_sgpr_kernarg_segment_ptr 1
		.amdhsa_user_sgpr_dispatch_id 0
		.amdhsa_user_sgpr_private_segment_size 0
		.amdhsa_wavefront_size32 1
		.amdhsa_uses_dynamic_stack 0
		.amdhsa_enable_private_segment 0
		.amdhsa_system_sgpr_workgroup_id_x 1
		.amdhsa_system_sgpr_workgroup_id_y 0
		.amdhsa_system_sgpr_workgroup_id_z 0
		.amdhsa_system_sgpr_workgroup_info 0
		.amdhsa_system_vgpr_workitem_id 0
		.amdhsa_next_free_vgpr 1
		.amdhsa_next_free_sgpr 1
		.amdhsa_reserve_vcc 0
		.amdhsa_float_round_mode_32 0
		.amdhsa_float_round_mode_16_64 0
		.amdhsa_float_denorm_mode_32 3
		.amdhsa_float_denorm_mode_16_64 3
		.amdhsa_fp16_overflow 0
		.amdhsa_workgroup_processor_mode 1
		.amdhsa_memory_ordered 1
		.amdhsa_forward_progress 1
		.amdhsa_inst_pref_size 0
		.amdhsa_round_robin_scheduling 0
		.amdhsa_exception_fp_ieee_invalid_op 0
		.amdhsa_exception_fp_denorm_src 0
		.amdhsa_exception_fp_ieee_div_zero 0
		.amdhsa_exception_fp_ieee_overflow 0
		.amdhsa_exception_fp_ieee_underflow 0
		.amdhsa_exception_fp_ieee_inexact 0
		.amdhsa_exception_int_div_zero 0
	.end_amdhsa_kernel
	.section	.text._ZN7rocprim17ROCPRIM_400000_NS6detail17trampoline_kernelINS0_13select_configILj256ELj13ELNS0_17block_load_methodE3ELS4_3ELS4_3ELNS0_20block_scan_algorithmE0ELj4294967295EEENS1_25partition_config_selectorILNS1_17partition_subalgoE4EjNS0_10empty_typeEbEEZZNS1_14partition_implILS8_4ELb0ES6_15HIP_vector_typeIjLj2EENS0_17counting_iteratorIjlEEPS9_SG_NS0_5tupleIJPjSI_NS0_16reverse_iteratorISI_EEEEENSH_IJSG_SG_SG_EEES9_SI_JZNS1_25segmented_radix_sort_implINS0_14default_configELb0EPK12hip_bfloat16PSP_PKlPlN2at6native12_GLOBAL__N_18offset_tEEE10hipError_tPvRmT1_PNSt15iterator_traitsIS13_E10value_typeET2_T3_PNS14_IS19_E10value_typeET4_jRbjT5_S1F_jjP12ihipStream_tbEUljE_ZNSN_ISO_Lb0ESR_SS_SU_SV_SZ_EES10_S11_S12_S13_S17_S18_S19_S1C_S1D_jS1E_jS1F_S1F_jjS1H_bEUljE0_EEES10_S11_S12_S19_S1D_S1F_T6_T7_T9_mT8_S1H_bDpT10_ENKUlT_T0_E_clISt17integral_constantIbLb0EES1V_EEDaS1Q_S1R_EUlS1Q_E_NS1_11comp_targetILNS1_3genE9ELNS1_11target_archE1100ELNS1_3gpuE3ELNS1_3repE0EEENS1_30default_config_static_selectorELNS0_4arch9wavefront6targetE0EEEvS13_,"axG",@progbits,_ZN7rocprim17ROCPRIM_400000_NS6detail17trampoline_kernelINS0_13select_configILj256ELj13ELNS0_17block_load_methodE3ELS4_3ELS4_3ELNS0_20block_scan_algorithmE0ELj4294967295EEENS1_25partition_config_selectorILNS1_17partition_subalgoE4EjNS0_10empty_typeEbEEZZNS1_14partition_implILS8_4ELb0ES6_15HIP_vector_typeIjLj2EENS0_17counting_iteratorIjlEEPS9_SG_NS0_5tupleIJPjSI_NS0_16reverse_iteratorISI_EEEEENSH_IJSG_SG_SG_EEES9_SI_JZNS1_25segmented_radix_sort_implINS0_14default_configELb0EPK12hip_bfloat16PSP_PKlPlN2at6native12_GLOBAL__N_18offset_tEEE10hipError_tPvRmT1_PNSt15iterator_traitsIS13_E10value_typeET2_T3_PNS14_IS19_E10value_typeET4_jRbjT5_S1F_jjP12ihipStream_tbEUljE_ZNSN_ISO_Lb0ESR_SS_SU_SV_SZ_EES10_S11_S12_S13_S17_S18_S19_S1C_S1D_jS1E_jS1F_S1F_jjS1H_bEUljE0_EEES10_S11_S12_S19_S1D_S1F_T6_T7_T9_mT8_S1H_bDpT10_ENKUlT_T0_E_clISt17integral_constantIbLb0EES1V_EEDaS1Q_S1R_EUlS1Q_E_NS1_11comp_targetILNS1_3genE9ELNS1_11target_archE1100ELNS1_3gpuE3ELNS1_3repE0EEENS1_30default_config_static_selectorELNS0_4arch9wavefront6targetE0EEEvS13_,comdat
.Lfunc_end1991:
	.size	_ZN7rocprim17ROCPRIM_400000_NS6detail17trampoline_kernelINS0_13select_configILj256ELj13ELNS0_17block_load_methodE3ELS4_3ELS4_3ELNS0_20block_scan_algorithmE0ELj4294967295EEENS1_25partition_config_selectorILNS1_17partition_subalgoE4EjNS0_10empty_typeEbEEZZNS1_14partition_implILS8_4ELb0ES6_15HIP_vector_typeIjLj2EENS0_17counting_iteratorIjlEEPS9_SG_NS0_5tupleIJPjSI_NS0_16reverse_iteratorISI_EEEEENSH_IJSG_SG_SG_EEES9_SI_JZNS1_25segmented_radix_sort_implINS0_14default_configELb0EPK12hip_bfloat16PSP_PKlPlN2at6native12_GLOBAL__N_18offset_tEEE10hipError_tPvRmT1_PNSt15iterator_traitsIS13_E10value_typeET2_T3_PNS14_IS19_E10value_typeET4_jRbjT5_S1F_jjP12ihipStream_tbEUljE_ZNSN_ISO_Lb0ESR_SS_SU_SV_SZ_EES10_S11_S12_S13_S17_S18_S19_S1C_S1D_jS1E_jS1F_S1F_jjS1H_bEUljE0_EEES10_S11_S12_S19_S1D_S1F_T6_T7_T9_mT8_S1H_bDpT10_ENKUlT_T0_E_clISt17integral_constantIbLb0EES1V_EEDaS1Q_S1R_EUlS1Q_E_NS1_11comp_targetILNS1_3genE9ELNS1_11target_archE1100ELNS1_3gpuE3ELNS1_3repE0EEENS1_30default_config_static_selectorELNS0_4arch9wavefront6targetE0EEEvS13_, .Lfunc_end1991-_ZN7rocprim17ROCPRIM_400000_NS6detail17trampoline_kernelINS0_13select_configILj256ELj13ELNS0_17block_load_methodE3ELS4_3ELS4_3ELNS0_20block_scan_algorithmE0ELj4294967295EEENS1_25partition_config_selectorILNS1_17partition_subalgoE4EjNS0_10empty_typeEbEEZZNS1_14partition_implILS8_4ELb0ES6_15HIP_vector_typeIjLj2EENS0_17counting_iteratorIjlEEPS9_SG_NS0_5tupleIJPjSI_NS0_16reverse_iteratorISI_EEEEENSH_IJSG_SG_SG_EEES9_SI_JZNS1_25segmented_radix_sort_implINS0_14default_configELb0EPK12hip_bfloat16PSP_PKlPlN2at6native12_GLOBAL__N_18offset_tEEE10hipError_tPvRmT1_PNSt15iterator_traitsIS13_E10value_typeET2_T3_PNS14_IS19_E10value_typeET4_jRbjT5_S1F_jjP12ihipStream_tbEUljE_ZNSN_ISO_Lb0ESR_SS_SU_SV_SZ_EES10_S11_S12_S13_S17_S18_S19_S1C_S1D_jS1E_jS1F_S1F_jjS1H_bEUljE0_EEES10_S11_S12_S19_S1D_S1F_T6_T7_T9_mT8_S1H_bDpT10_ENKUlT_T0_E_clISt17integral_constantIbLb0EES1V_EEDaS1Q_S1R_EUlS1Q_E_NS1_11comp_targetILNS1_3genE9ELNS1_11target_archE1100ELNS1_3gpuE3ELNS1_3repE0EEENS1_30default_config_static_selectorELNS0_4arch9wavefront6targetE0EEEvS13_
                                        ; -- End function
	.set _ZN7rocprim17ROCPRIM_400000_NS6detail17trampoline_kernelINS0_13select_configILj256ELj13ELNS0_17block_load_methodE3ELS4_3ELS4_3ELNS0_20block_scan_algorithmE0ELj4294967295EEENS1_25partition_config_selectorILNS1_17partition_subalgoE4EjNS0_10empty_typeEbEEZZNS1_14partition_implILS8_4ELb0ES6_15HIP_vector_typeIjLj2EENS0_17counting_iteratorIjlEEPS9_SG_NS0_5tupleIJPjSI_NS0_16reverse_iteratorISI_EEEEENSH_IJSG_SG_SG_EEES9_SI_JZNS1_25segmented_radix_sort_implINS0_14default_configELb0EPK12hip_bfloat16PSP_PKlPlN2at6native12_GLOBAL__N_18offset_tEEE10hipError_tPvRmT1_PNSt15iterator_traitsIS13_E10value_typeET2_T3_PNS14_IS19_E10value_typeET4_jRbjT5_S1F_jjP12ihipStream_tbEUljE_ZNSN_ISO_Lb0ESR_SS_SU_SV_SZ_EES10_S11_S12_S13_S17_S18_S19_S1C_S1D_jS1E_jS1F_S1F_jjS1H_bEUljE0_EEES10_S11_S12_S19_S1D_S1F_T6_T7_T9_mT8_S1H_bDpT10_ENKUlT_T0_E_clISt17integral_constantIbLb0EES1V_EEDaS1Q_S1R_EUlS1Q_E_NS1_11comp_targetILNS1_3genE9ELNS1_11target_archE1100ELNS1_3gpuE3ELNS1_3repE0EEENS1_30default_config_static_selectorELNS0_4arch9wavefront6targetE0EEEvS13_.num_vgpr, 0
	.set _ZN7rocprim17ROCPRIM_400000_NS6detail17trampoline_kernelINS0_13select_configILj256ELj13ELNS0_17block_load_methodE3ELS4_3ELS4_3ELNS0_20block_scan_algorithmE0ELj4294967295EEENS1_25partition_config_selectorILNS1_17partition_subalgoE4EjNS0_10empty_typeEbEEZZNS1_14partition_implILS8_4ELb0ES6_15HIP_vector_typeIjLj2EENS0_17counting_iteratorIjlEEPS9_SG_NS0_5tupleIJPjSI_NS0_16reverse_iteratorISI_EEEEENSH_IJSG_SG_SG_EEES9_SI_JZNS1_25segmented_radix_sort_implINS0_14default_configELb0EPK12hip_bfloat16PSP_PKlPlN2at6native12_GLOBAL__N_18offset_tEEE10hipError_tPvRmT1_PNSt15iterator_traitsIS13_E10value_typeET2_T3_PNS14_IS19_E10value_typeET4_jRbjT5_S1F_jjP12ihipStream_tbEUljE_ZNSN_ISO_Lb0ESR_SS_SU_SV_SZ_EES10_S11_S12_S13_S17_S18_S19_S1C_S1D_jS1E_jS1F_S1F_jjS1H_bEUljE0_EEES10_S11_S12_S19_S1D_S1F_T6_T7_T9_mT8_S1H_bDpT10_ENKUlT_T0_E_clISt17integral_constantIbLb0EES1V_EEDaS1Q_S1R_EUlS1Q_E_NS1_11comp_targetILNS1_3genE9ELNS1_11target_archE1100ELNS1_3gpuE3ELNS1_3repE0EEENS1_30default_config_static_selectorELNS0_4arch9wavefront6targetE0EEEvS13_.num_agpr, 0
	.set _ZN7rocprim17ROCPRIM_400000_NS6detail17trampoline_kernelINS0_13select_configILj256ELj13ELNS0_17block_load_methodE3ELS4_3ELS4_3ELNS0_20block_scan_algorithmE0ELj4294967295EEENS1_25partition_config_selectorILNS1_17partition_subalgoE4EjNS0_10empty_typeEbEEZZNS1_14partition_implILS8_4ELb0ES6_15HIP_vector_typeIjLj2EENS0_17counting_iteratorIjlEEPS9_SG_NS0_5tupleIJPjSI_NS0_16reverse_iteratorISI_EEEEENSH_IJSG_SG_SG_EEES9_SI_JZNS1_25segmented_radix_sort_implINS0_14default_configELb0EPK12hip_bfloat16PSP_PKlPlN2at6native12_GLOBAL__N_18offset_tEEE10hipError_tPvRmT1_PNSt15iterator_traitsIS13_E10value_typeET2_T3_PNS14_IS19_E10value_typeET4_jRbjT5_S1F_jjP12ihipStream_tbEUljE_ZNSN_ISO_Lb0ESR_SS_SU_SV_SZ_EES10_S11_S12_S13_S17_S18_S19_S1C_S1D_jS1E_jS1F_S1F_jjS1H_bEUljE0_EEES10_S11_S12_S19_S1D_S1F_T6_T7_T9_mT8_S1H_bDpT10_ENKUlT_T0_E_clISt17integral_constantIbLb0EES1V_EEDaS1Q_S1R_EUlS1Q_E_NS1_11comp_targetILNS1_3genE9ELNS1_11target_archE1100ELNS1_3gpuE3ELNS1_3repE0EEENS1_30default_config_static_selectorELNS0_4arch9wavefront6targetE0EEEvS13_.numbered_sgpr, 0
	.set _ZN7rocprim17ROCPRIM_400000_NS6detail17trampoline_kernelINS0_13select_configILj256ELj13ELNS0_17block_load_methodE3ELS4_3ELS4_3ELNS0_20block_scan_algorithmE0ELj4294967295EEENS1_25partition_config_selectorILNS1_17partition_subalgoE4EjNS0_10empty_typeEbEEZZNS1_14partition_implILS8_4ELb0ES6_15HIP_vector_typeIjLj2EENS0_17counting_iteratorIjlEEPS9_SG_NS0_5tupleIJPjSI_NS0_16reverse_iteratorISI_EEEEENSH_IJSG_SG_SG_EEES9_SI_JZNS1_25segmented_radix_sort_implINS0_14default_configELb0EPK12hip_bfloat16PSP_PKlPlN2at6native12_GLOBAL__N_18offset_tEEE10hipError_tPvRmT1_PNSt15iterator_traitsIS13_E10value_typeET2_T3_PNS14_IS19_E10value_typeET4_jRbjT5_S1F_jjP12ihipStream_tbEUljE_ZNSN_ISO_Lb0ESR_SS_SU_SV_SZ_EES10_S11_S12_S13_S17_S18_S19_S1C_S1D_jS1E_jS1F_S1F_jjS1H_bEUljE0_EEES10_S11_S12_S19_S1D_S1F_T6_T7_T9_mT8_S1H_bDpT10_ENKUlT_T0_E_clISt17integral_constantIbLb0EES1V_EEDaS1Q_S1R_EUlS1Q_E_NS1_11comp_targetILNS1_3genE9ELNS1_11target_archE1100ELNS1_3gpuE3ELNS1_3repE0EEENS1_30default_config_static_selectorELNS0_4arch9wavefront6targetE0EEEvS13_.num_named_barrier, 0
	.set _ZN7rocprim17ROCPRIM_400000_NS6detail17trampoline_kernelINS0_13select_configILj256ELj13ELNS0_17block_load_methodE3ELS4_3ELS4_3ELNS0_20block_scan_algorithmE0ELj4294967295EEENS1_25partition_config_selectorILNS1_17partition_subalgoE4EjNS0_10empty_typeEbEEZZNS1_14partition_implILS8_4ELb0ES6_15HIP_vector_typeIjLj2EENS0_17counting_iteratorIjlEEPS9_SG_NS0_5tupleIJPjSI_NS0_16reverse_iteratorISI_EEEEENSH_IJSG_SG_SG_EEES9_SI_JZNS1_25segmented_radix_sort_implINS0_14default_configELb0EPK12hip_bfloat16PSP_PKlPlN2at6native12_GLOBAL__N_18offset_tEEE10hipError_tPvRmT1_PNSt15iterator_traitsIS13_E10value_typeET2_T3_PNS14_IS19_E10value_typeET4_jRbjT5_S1F_jjP12ihipStream_tbEUljE_ZNSN_ISO_Lb0ESR_SS_SU_SV_SZ_EES10_S11_S12_S13_S17_S18_S19_S1C_S1D_jS1E_jS1F_S1F_jjS1H_bEUljE0_EEES10_S11_S12_S19_S1D_S1F_T6_T7_T9_mT8_S1H_bDpT10_ENKUlT_T0_E_clISt17integral_constantIbLb0EES1V_EEDaS1Q_S1R_EUlS1Q_E_NS1_11comp_targetILNS1_3genE9ELNS1_11target_archE1100ELNS1_3gpuE3ELNS1_3repE0EEENS1_30default_config_static_selectorELNS0_4arch9wavefront6targetE0EEEvS13_.private_seg_size, 0
	.set _ZN7rocprim17ROCPRIM_400000_NS6detail17trampoline_kernelINS0_13select_configILj256ELj13ELNS0_17block_load_methodE3ELS4_3ELS4_3ELNS0_20block_scan_algorithmE0ELj4294967295EEENS1_25partition_config_selectorILNS1_17partition_subalgoE4EjNS0_10empty_typeEbEEZZNS1_14partition_implILS8_4ELb0ES6_15HIP_vector_typeIjLj2EENS0_17counting_iteratorIjlEEPS9_SG_NS0_5tupleIJPjSI_NS0_16reverse_iteratorISI_EEEEENSH_IJSG_SG_SG_EEES9_SI_JZNS1_25segmented_radix_sort_implINS0_14default_configELb0EPK12hip_bfloat16PSP_PKlPlN2at6native12_GLOBAL__N_18offset_tEEE10hipError_tPvRmT1_PNSt15iterator_traitsIS13_E10value_typeET2_T3_PNS14_IS19_E10value_typeET4_jRbjT5_S1F_jjP12ihipStream_tbEUljE_ZNSN_ISO_Lb0ESR_SS_SU_SV_SZ_EES10_S11_S12_S13_S17_S18_S19_S1C_S1D_jS1E_jS1F_S1F_jjS1H_bEUljE0_EEES10_S11_S12_S19_S1D_S1F_T6_T7_T9_mT8_S1H_bDpT10_ENKUlT_T0_E_clISt17integral_constantIbLb0EES1V_EEDaS1Q_S1R_EUlS1Q_E_NS1_11comp_targetILNS1_3genE9ELNS1_11target_archE1100ELNS1_3gpuE3ELNS1_3repE0EEENS1_30default_config_static_selectorELNS0_4arch9wavefront6targetE0EEEvS13_.uses_vcc, 0
	.set _ZN7rocprim17ROCPRIM_400000_NS6detail17trampoline_kernelINS0_13select_configILj256ELj13ELNS0_17block_load_methodE3ELS4_3ELS4_3ELNS0_20block_scan_algorithmE0ELj4294967295EEENS1_25partition_config_selectorILNS1_17partition_subalgoE4EjNS0_10empty_typeEbEEZZNS1_14partition_implILS8_4ELb0ES6_15HIP_vector_typeIjLj2EENS0_17counting_iteratorIjlEEPS9_SG_NS0_5tupleIJPjSI_NS0_16reverse_iteratorISI_EEEEENSH_IJSG_SG_SG_EEES9_SI_JZNS1_25segmented_radix_sort_implINS0_14default_configELb0EPK12hip_bfloat16PSP_PKlPlN2at6native12_GLOBAL__N_18offset_tEEE10hipError_tPvRmT1_PNSt15iterator_traitsIS13_E10value_typeET2_T3_PNS14_IS19_E10value_typeET4_jRbjT5_S1F_jjP12ihipStream_tbEUljE_ZNSN_ISO_Lb0ESR_SS_SU_SV_SZ_EES10_S11_S12_S13_S17_S18_S19_S1C_S1D_jS1E_jS1F_S1F_jjS1H_bEUljE0_EEES10_S11_S12_S19_S1D_S1F_T6_T7_T9_mT8_S1H_bDpT10_ENKUlT_T0_E_clISt17integral_constantIbLb0EES1V_EEDaS1Q_S1R_EUlS1Q_E_NS1_11comp_targetILNS1_3genE9ELNS1_11target_archE1100ELNS1_3gpuE3ELNS1_3repE0EEENS1_30default_config_static_selectorELNS0_4arch9wavefront6targetE0EEEvS13_.uses_flat_scratch, 0
	.set _ZN7rocprim17ROCPRIM_400000_NS6detail17trampoline_kernelINS0_13select_configILj256ELj13ELNS0_17block_load_methodE3ELS4_3ELS4_3ELNS0_20block_scan_algorithmE0ELj4294967295EEENS1_25partition_config_selectorILNS1_17partition_subalgoE4EjNS0_10empty_typeEbEEZZNS1_14partition_implILS8_4ELb0ES6_15HIP_vector_typeIjLj2EENS0_17counting_iteratorIjlEEPS9_SG_NS0_5tupleIJPjSI_NS0_16reverse_iteratorISI_EEEEENSH_IJSG_SG_SG_EEES9_SI_JZNS1_25segmented_radix_sort_implINS0_14default_configELb0EPK12hip_bfloat16PSP_PKlPlN2at6native12_GLOBAL__N_18offset_tEEE10hipError_tPvRmT1_PNSt15iterator_traitsIS13_E10value_typeET2_T3_PNS14_IS19_E10value_typeET4_jRbjT5_S1F_jjP12ihipStream_tbEUljE_ZNSN_ISO_Lb0ESR_SS_SU_SV_SZ_EES10_S11_S12_S13_S17_S18_S19_S1C_S1D_jS1E_jS1F_S1F_jjS1H_bEUljE0_EEES10_S11_S12_S19_S1D_S1F_T6_T7_T9_mT8_S1H_bDpT10_ENKUlT_T0_E_clISt17integral_constantIbLb0EES1V_EEDaS1Q_S1R_EUlS1Q_E_NS1_11comp_targetILNS1_3genE9ELNS1_11target_archE1100ELNS1_3gpuE3ELNS1_3repE0EEENS1_30default_config_static_selectorELNS0_4arch9wavefront6targetE0EEEvS13_.has_dyn_sized_stack, 0
	.set _ZN7rocprim17ROCPRIM_400000_NS6detail17trampoline_kernelINS0_13select_configILj256ELj13ELNS0_17block_load_methodE3ELS4_3ELS4_3ELNS0_20block_scan_algorithmE0ELj4294967295EEENS1_25partition_config_selectorILNS1_17partition_subalgoE4EjNS0_10empty_typeEbEEZZNS1_14partition_implILS8_4ELb0ES6_15HIP_vector_typeIjLj2EENS0_17counting_iteratorIjlEEPS9_SG_NS0_5tupleIJPjSI_NS0_16reverse_iteratorISI_EEEEENSH_IJSG_SG_SG_EEES9_SI_JZNS1_25segmented_radix_sort_implINS0_14default_configELb0EPK12hip_bfloat16PSP_PKlPlN2at6native12_GLOBAL__N_18offset_tEEE10hipError_tPvRmT1_PNSt15iterator_traitsIS13_E10value_typeET2_T3_PNS14_IS19_E10value_typeET4_jRbjT5_S1F_jjP12ihipStream_tbEUljE_ZNSN_ISO_Lb0ESR_SS_SU_SV_SZ_EES10_S11_S12_S13_S17_S18_S19_S1C_S1D_jS1E_jS1F_S1F_jjS1H_bEUljE0_EEES10_S11_S12_S19_S1D_S1F_T6_T7_T9_mT8_S1H_bDpT10_ENKUlT_T0_E_clISt17integral_constantIbLb0EES1V_EEDaS1Q_S1R_EUlS1Q_E_NS1_11comp_targetILNS1_3genE9ELNS1_11target_archE1100ELNS1_3gpuE3ELNS1_3repE0EEENS1_30default_config_static_selectorELNS0_4arch9wavefront6targetE0EEEvS13_.has_recursion, 0
	.set _ZN7rocprim17ROCPRIM_400000_NS6detail17trampoline_kernelINS0_13select_configILj256ELj13ELNS0_17block_load_methodE3ELS4_3ELS4_3ELNS0_20block_scan_algorithmE0ELj4294967295EEENS1_25partition_config_selectorILNS1_17partition_subalgoE4EjNS0_10empty_typeEbEEZZNS1_14partition_implILS8_4ELb0ES6_15HIP_vector_typeIjLj2EENS0_17counting_iteratorIjlEEPS9_SG_NS0_5tupleIJPjSI_NS0_16reverse_iteratorISI_EEEEENSH_IJSG_SG_SG_EEES9_SI_JZNS1_25segmented_radix_sort_implINS0_14default_configELb0EPK12hip_bfloat16PSP_PKlPlN2at6native12_GLOBAL__N_18offset_tEEE10hipError_tPvRmT1_PNSt15iterator_traitsIS13_E10value_typeET2_T3_PNS14_IS19_E10value_typeET4_jRbjT5_S1F_jjP12ihipStream_tbEUljE_ZNSN_ISO_Lb0ESR_SS_SU_SV_SZ_EES10_S11_S12_S13_S17_S18_S19_S1C_S1D_jS1E_jS1F_S1F_jjS1H_bEUljE0_EEES10_S11_S12_S19_S1D_S1F_T6_T7_T9_mT8_S1H_bDpT10_ENKUlT_T0_E_clISt17integral_constantIbLb0EES1V_EEDaS1Q_S1R_EUlS1Q_E_NS1_11comp_targetILNS1_3genE9ELNS1_11target_archE1100ELNS1_3gpuE3ELNS1_3repE0EEENS1_30default_config_static_selectorELNS0_4arch9wavefront6targetE0EEEvS13_.has_indirect_call, 0
	.section	.AMDGPU.csdata,"",@progbits
; Kernel info:
; codeLenInByte = 0
; TotalNumSgprs: 0
; NumVgprs: 0
; ScratchSize: 0
; MemoryBound: 0
; FloatMode: 240
; IeeeMode: 1
; LDSByteSize: 0 bytes/workgroup (compile time only)
; SGPRBlocks: 0
; VGPRBlocks: 0
; NumSGPRsForWavesPerEU: 1
; NumVGPRsForWavesPerEU: 1
; Occupancy: 16
; WaveLimiterHint : 0
; COMPUTE_PGM_RSRC2:SCRATCH_EN: 0
; COMPUTE_PGM_RSRC2:USER_SGPR: 2
; COMPUTE_PGM_RSRC2:TRAP_HANDLER: 0
; COMPUTE_PGM_RSRC2:TGID_X_EN: 1
; COMPUTE_PGM_RSRC2:TGID_Y_EN: 0
; COMPUTE_PGM_RSRC2:TGID_Z_EN: 0
; COMPUTE_PGM_RSRC2:TIDIG_COMP_CNT: 0
	.section	.text._ZN7rocprim17ROCPRIM_400000_NS6detail17trampoline_kernelINS0_13select_configILj256ELj13ELNS0_17block_load_methodE3ELS4_3ELS4_3ELNS0_20block_scan_algorithmE0ELj4294967295EEENS1_25partition_config_selectorILNS1_17partition_subalgoE4EjNS0_10empty_typeEbEEZZNS1_14partition_implILS8_4ELb0ES6_15HIP_vector_typeIjLj2EENS0_17counting_iteratorIjlEEPS9_SG_NS0_5tupleIJPjSI_NS0_16reverse_iteratorISI_EEEEENSH_IJSG_SG_SG_EEES9_SI_JZNS1_25segmented_radix_sort_implINS0_14default_configELb0EPK12hip_bfloat16PSP_PKlPlN2at6native12_GLOBAL__N_18offset_tEEE10hipError_tPvRmT1_PNSt15iterator_traitsIS13_E10value_typeET2_T3_PNS14_IS19_E10value_typeET4_jRbjT5_S1F_jjP12ihipStream_tbEUljE_ZNSN_ISO_Lb0ESR_SS_SU_SV_SZ_EES10_S11_S12_S13_S17_S18_S19_S1C_S1D_jS1E_jS1F_S1F_jjS1H_bEUljE0_EEES10_S11_S12_S19_S1D_S1F_T6_T7_T9_mT8_S1H_bDpT10_ENKUlT_T0_E_clISt17integral_constantIbLb0EES1V_EEDaS1Q_S1R_EUlS1Q_E_NS1_11comp_targetILNS1_3genE8ELNS1_11target_archE1030ELNS1_3gpuE2ELNS1_3repE0EEENS1_30default_config_static_selectorELNS0_4arch9wavefront6targetE0EEEvS13_,"axG",@progbits,_ZN7rocprim17ROCPRIM_400000_NS6detail17trampoline_kernelINS0_13select_configILj256ELj13ELNS0_17block_load_methodE3ELS4_3ELS4_3ELNS0_20block_scan_algorithmE0ELj4294967295EEENS1_25partition_config_selectorILNS1_17partition_subalgoE4EjNS0_10empty_typeEbEEZZNS1_14partition_implILS8_4ELb0ES6_15HIP_vector_typeIjLj2EENS0_17counting_iteratorIjlEEPS9_SG_NS0_5tupleIJPjSI_NS0_16reverse_iteratorISI_EEEEENSH_IJSG_SG_SG_EEES9_SI_JZNS1_25segmented_radix_sort_implINS0_14default_configELb0EPK12hip_bfloat16PSP_PKlPlN2at6native12_GLOBAL__N_18offset_tEEE10hipError_tPvRmT1_PNSt15iterator_traitsIS13_E10value_typeET2_T3_PNS14_IS19_E10value_typeET4_jRbjT5_S1F_jjP12ihipStream_tbEUljE_ZNSN_ISO_Lb0ESR_SS_SU_SV_SZ_EES10_S11_S12_S13_S17_S18_S19_S1C_S1D_jS1E_jS1F_S1F_jjS1H_bEUljE0_EEES10_S11_S12_S19_S1D_S1F_T6_T7_T9_mT8_S1H_bDpT10_ENKUlT_T0_E_clISt17integral_constantIbLb0EES1V_EEDaS1Q_S1R_EUlS1Q_E_NS1_11comp_targetILNS1_3genE8ELNS1_11target_archE1030ELNS1_3gpuE2ELNS1_3repE0EEENS1_30default_config_static_selectorELNS0_4arch9wavefront6targetE0EEEvS13_,comdat
	.globl	_ZN7rocprim17ROCPRIM_400000_NS6detail17trampoline_kernelINS0_13select_configILj256ELj13ELNS0_17block_load_methodE3ELS4_3ELS4_3ELNS0_20block_scan_algorithmE0ELj4294967295EEENS1_25partition_config_selectorILNS1_17partition_subalgoE4EjNS0_10empty_typeEbEEZZNS1_14partition_implILS8_4ELb0ES6_15HIP_vector_typeIjLj2EENS0_17counting_iteratorIjlEEPS9_SG_NS0_5tupleIJPjSI_NS0_16reverse_iteratorISI_EEEEENSH_IJSG_SG_SG_EEES9_SI_JZNS1_25segmented_radix_sort_implINS0_14default_configELb0EPK12hip_bfloat16PSP_PKlPlN2at6native12_GLOBAL__N_18offset_tEEE10hipError_tPvRmT1_PNSt15iterator_traitsIS13_E10value_typeET2_T3_PNS14_IS19_E10value_typeET4_jRbjT5_S1F_jjP12ihipStream_tbEUljE_ZNSN_ISO_Lb0ESR_SS_SU_SV_SZ_EES10_S11_S12_S13_S17_S18_S19_S1C_S1D_jS1E_jS1F_S1F_jjS1H_bEUljE0_EEES10_S11_S12_S19_S1D_S1F_T6_T7_T9_mT8_S1H_bDpT10_ENKUlT_T0_E_clISt17integral_constantIbLb0EES1V_EEDaS1Q_S1R_EUlS1Q_E_NS1_11comp_targetILNS1_3genE8ELNS1_11target_archE1030ELNS1_3gpuE2ELNS1_3repE0EEENS1_30default_config_static_selectorELNS0_4arch9wavefront6targetE0EEEvS13_ ; -- Begin function _ZN7rocprim17ROCPRIM_400000_NS6detail17trampoline_kernelINS0_13select_configILj256ELj13ELNS0_17block_load_methodE3ELS4_3ELS4_3ELNS0_20block_scan_algorithmE0ELj4294967295EEENS1_25partition_config_selectorILNS1_17partition_subalgoE4EjNS0_10empty_typeEbEEZZNS1_14partition_implILS8_4ELb0ES6_15HIP_vector_typeIjLj2EENS0_17counting_iteratorIjlEEPS9_SG_NS0_5tupleIJPjSI_NS0_16reverse_iteratorISI_EEEEENSH_IJSG_SG_SG_EEES9_SI_JZNS1_25segmented_radix_sort_implINS0_14default_configELb0EPK12hip_bfloat16PSP_PKlPlN2at6native12_GLOBAL__N_18offset_tEEE10hipError_tPvRmT1_PNSt15iterator_traitsIS13_E10value_typeET2_T3_PNS14_IS19_E10value_typeET4_jRbjT5_S1F_jjP12ihipStream_tbEUljE_ZNSN_ISO_Lb0ESR_SS_SU_SV_SZ_EES10_S11_S12_S13_S17_S18_S19_S1C_S1D_jS1E_jS1F_S1F_jjS1H_bEUljE0_EEES10_S11_S12_S19_S1D_S1F_T6_T7_T9_mT8_S1H_bDpT10_ENKUlT_T0_E_clISt17integral_constantIbLb0EES1V_EEDaS1Q_S1R_EUlS1Q_E_NS1_11comp_targetILNS1_3genE8ELNS1_11target_archE1030ELNS1_3gpuE2ELNS1_3repE0EEENS1_30default_config_static_selectorELNS0_4arch9wavefront6targetE0EEEvS13_
	.p2align	8
	.type	_ZN7rocprim17ROCPRIM_400000_NS6detail17trampoline_kernelINS0_13select_configILj256ELj13ELNS0_17block_load_methodE3ELS4_3ELS4_3ELNS0_20block_scan_algorithmE0ELj4294967295EEENS1_25partition_config_selectorILNS1_17partition_subalgoE4EjNS0_10empty_typeEbEEZZNS1_14partition_implILS8_4ELb0ES6_15HIP_vector_typeIjLj2EENS0_17counting_iteratorIjlEEPS9_SG_NS0_5tupleIJPjSI_NS0_16reverse_iteratorISI_EEEEENSH_IJSG_SG_SG_EEES9_SI_JZNS1_25segmented_radix_sort_implINS0_14default_configELb0EPK12hip_bfloat16PSP_PKlPlN2at6native12_GLOBAL__N_18offset_tEEE10hipError_tPvRmT1_PNSt15iterator_traitsIS13_E10value_typeET2_T3_PNS14_IS19_E10value_typeET4_jRbjT5_S1F_jjP12ihipStream_tbEUljE_ZNSN_ISO_Lb0ESR_SS_SU_SV_SZ_EES10_S11_S12_S13_S17_S18_S19_S1C_S1D_jS1E_jS1F_S1F_jjS1H_bEUljE0_EEES10_S11_S12_S19_S1D_S1F_T6_T7_T9_mT8_S1H_bDpT10_ENKUlT_T0_E_clISt17integral_constantIbLb0EES1V_EEDaS1Q_S1R_EUlS1Q_E_NS1_11comp_targetILNS1_3genE8ELNS1_11target_archE1030ELNS1_3gpuE2ELNS1_3repE0EEENS1_30default_config_static_selectorELNS0_4arch9wavefront6targetE0EEEvS13_,@function
_ZN7rocprim17ROCPRIM_400000_NS6detail17trampoline_kernelINS0_13select_configILj256ELj13ELNS0_17block_load_methodE3ELS4_3ELS4_3ELNS0_20block_scan_algorithmE0ELj4294967295EEENS1_25partition_config_selectorILNS1_17partition_subalgoE4EjNS0_10empty_typeEbEEZZNS1_14partition_implILS8_4ELb0ES6_15HIP_vector_typeIjLj2EENS0_17counting_iteratorIjlEEPS9_SG_NS0_5tupleIJPjSI_NS0_16reverse_iteratorISI_EEEEENSH_IJSG_SG_SG_EEES9_SI_JZNS1_25segmented_radix_sort_implINS0_14default_configELb0EPK12hip_bfloat16PSP_PKlPlN2at6native12_GLOBAL__N_18offset_tEEE10hipError_tPvRmT1_PNSt15iterator_traitsIS13_E10value_typeET2_T3_PNS14_IS19_E10value_typeET4_jRbjT5_S1F_jjP12ihipStream_tbEUljE_ZNSN_ISO_Lb0ESR_SS_SU_SV_SZ_EES10_S11_S12_S13_S17_S18_S19_S1C_S1D_jS1E_jS1F_S1F_jjS1H_bEUljE0_EEES10_S11_S12_S19_S1D_S1F_T6_T7_T9_mT8_S1H_bDpT10_ENKUlT_T0_E_clISt17integral_constantIbLb0EES1V_EEDaS1Q_S1R_EUlS1Q_E_NS1_11comp_targetILNS1_3genE8ELNS1_11target_archE1030ELNS1_3gpuE2ELNS1_3repE0EEENS1_30default_config_static_selectorELNS0_4arch9wavefront6targetE0EEEvS13_: ; @_ZN7rocprim17ROCPRIM_400000_NS6detail17trampoline_kernelINS0_13select_configILj256ELj13ELNS0_17block_load_methodE3ELS4_3ELS4_3ELNS0_20block_scan_algorithmE0ELj4294967295EEENS1_25partition_config_selectorILNS1_17partition_subalgoE4EjNS0_10empty_typeEbEEZZNS1_14partition_implILS8_4ELb0ES6_15HIP_vector_typeIjLj2EENS0_17counting_iteratorIjlEEPS9_SG_NS0_5tupleIJPjSI_NS0_16reverse_iteratorISI_EEEEENSH_IJSG_SG_SG_EEES9_SI_JZNS1_25segmented_radix_sort_implINS0_14default_configELb0EPK12hip_bfloat16PSP_PKlPlN2at6native12_GLOBAL__N_18offset_tEEE10hipError_tPvRmT1_PNSt15iterator_traitsIS13_E10value_typeET2_T3_PNS14_IS19_E10value_typeET4_jRbjT5_S1F_jjP12ihipStream_tbEUljE_ZNSN_ISO_Lb0ESR_SS_SU_SV_SZ_EES10_S11_S12_S13_S17_S18_S19_S1C_S1D_jS1E_jS1F_S1F_jjS1H_bEUljE0_EEES10_S11_S12_S19_S1D_S1F_T6_T7_T9_mT8_S1H_bDpT10_ENKUlT_T0_E_clISt17integral_constantIbLb0EES1V_EEDaS1Q_S1R_EUlS1Q_E_NS1_11comp_targetILNS1_3genE8ELNS1_11target_archE1030ELNS1_3gpuE2ELNS1_3repE0EEENS1_30default_config_static_selectorELNS0_4arch9wavefront6targetE0EEEvS13_
; %bb.0:
	.section	.rodata,"a",@progbits
	.p2align	6, 0x0
	.amdhsa_kernel _ZN7rocprim17ROCPRIM_400000_NS6detail17trampoline_kernelINS0_13select_configILj256ELj13ELNS0_17block_load_methodE3ELS4_3ELS4_3ELNS0_20block_scan_algorithmE0ELj4294967295EEENS1_25partition_config_selectorILNS1_17partition_subalgoE4EjNS0_10empty_typeEbEEZZNS1_14partition_implILS8_4ELb0ES6_15HIP_vector_typeIjLj2EENS0_17counting_iteratorIjlEEPS9_SG_NS0_5tupleIJPjSI_NS0_16reverse_iteratorISI_EEEEENSH_IJSG_SG_SG_EEES9_SI_JZNS1_25segmented_radix_sort_implINS0_14default_configELb0EPK12hip_bfloat16PSP_PKlPlN2at6native12_GLOBAL__N_18offset_tEEE10hipError_tPvRmT1_PNSt15iterator_traitsIS13_E10value_typeET2_T3_PNS14_IS19_E10value_typeET4_jRbjT5_S1F_jjP12ihipStream_tbEUljE_ZNSN_ISO_Lb0ESR_SS_SU_SV_SZ_EES10_S11_S12_S13_S17_S18_S19_S1C_S1D_jS1E_jS1F_S1F_jjS1H_bEUljE0_EEES10_S11_S12_S19_S1D_S1F_T6_T7_T9_mT8_S1H_bDpT10_ENKUlT_T0_E_clISt17integral_constantIbLb0EES1V_EEDaS1Q_S1R_EUlS1Q_E_NS1_11comp_targetILNS1_3genE8ELNS1_11target_archE1030ELNS1_3gpuE2ELNS1_3repE0EEENS1_30default_config_static_selectorELNS0_4arch9wavefront6targetE0EEEvS13_
		.amdhsa_group_segment_fixed_size 0
		.amdhsa_private_segment_fixed_size 0
		.amdhsa_kernarg_size 176
		.amdhsa_user_sgpr_count 2
		.amdhsa_user_sgpr_dispatch_ptr 0
		.amdhsa_user_sgpr_queue_ptr 0
		.amdhsa_user_sgpr_kernarg_segment_ptr 1
		.amdhsa_user_sgpr_dispatch_id 0
		.amdhsa_user_sgpr_private_segment_size 0
		.amdhsa_wavefront_size32 1
		.amdhsa_uses_dynamic_stack 0
		.amdhsa_enable_private_segment 0
		.amdhsa_system_sgpr_workgroup_id_x 1
		.amdhsa_system_sgpr_workgroup_id_y 0
		.amdhsa_system_sgpr_workgroup_id_z 0
		.amdhsa_system_sgpr_workgroup_info 0
		.amdhsa_system_vgpr_workitem_id 0
		.amdhsa_next_free_vgpr 1
		.amdhsa_next_free_sgpr 1
		.amdhsa_reserve_vcc 0
		.amdhsa_float_round_mode_32 0
		.amdhsa_float_round_mode_16_64 0
		.amdhsa_float_denorm_mode_32 3
		.amdhsa_float_denorm_mode_16_64 3
		.amdhsa_fp16_overflow 0
		.amdhsa_workgroup_processor_mode 1
		.amdhsa_memory_ordered 1
		.amdhsa_forward_progress 1
		.amdhsa_inst_pref_size 0
		.amdhsa_round_robin_scheduling 0
		.amdhsa_exception_fp_ieee_invalid_op 0
		.amdhsa_exception_fp_denorm_src 0
		.amdhsa_exception_fp_ieee_div_zero 0
		.amdhsa_exception_fp_ieee_overflow 0
		.amdhsa_exception_fp_ieee_underflow 0
		.amdhsa_exception_fp_ieee_inexact 0
		.amdhsa_exception_int_div_zero 0
	.end_amdhsa_kernel
	.section	.text._ZN7rocprim17ROCPRIM_400000_NS6detail17trampoline_kernelINS0_13select_configILj256ELj13ELNS0_17block_load_methodE3ELS4_3ELS4_3ELNS0_20block_scan_algorithmE0ELj4294967295EEENS1_25partition_config_selectorILNS1_17partition_subalgoE4EjNS0_10empty_typeEbEEZZNS1_14partition_implILS8_4ELb0ES6_15HIP_vector_typeIjLj2EENS0_17counting_iteratorIjlEEPS9_SG_NS0_5tupleIJPjSI_NS0_16reverse_iteratorISI_EEEEENSH_IJSG_SG_SG_EEES9_SI_JZNS1_25segmented_radix_sort_implINS0_14default_configELb0EPK12hip_bfloat16PSP_PKlPlN2at6native12_GLOBAL__N_18offset_tEEE10hipError_tPvRmT1_PNSt15iterator_traitsIS13_E10value_typeET2_T3_PNS14_IS19_E10value_typeET4_jRbjT5_S1F_jjP12ihipStream_tbEUljE_ZNSN_ISO_Lb0ESR_SS_SU_SV_SZ_EES10_S11_S12_S13_S17_S18_S19_S1C_S1D_jS1E_jS1F_S1F_jjS1H_bEUljE0_EEES10_S11_S12_S19_S1D_S1F_T6_T7_T9_mT8_S1H_bDpT10_ENKUlT_T0_E_clISt17integral_constantIbLb0EES1V_EEDaS1Q_S1R_EUlS1Q_E_NS1_11comp_targetILNS1_3genE8ELNS1_11target_archE1030ELNS1_3gpuE2ELNS1_3repE0EEENS1_30default_config_static_selectorELNS0_4arch9wavefront6targetE0EEEvS13_,"axG",@progbits,_ZN7rocprim17ROCPRIM_400000_NS6detail17trampoline_kernelINS0_13select_configILj256ELj13ELNS0_17block_load_methodE3ELS4_3ELS4_3ELNS0_20block_scan_algorithmE0ELj4294967295EEENS1_25partition_config_selectorILNS1_17partition_subalgoE4EjNS0_10empty_typeEbEEZZNS1_14partition_implILS8_4ELb0ES6_15HIP_vector_typeIjLj2EENS0_17counting_iteratorIjlEEPS9_SG_NS0_5tupleIJPjSI_NS0_16reverse_iteratorISI_EEEEENSH_IJSG_SG_SG_EEES9_SI_JZNS1_25segmented_radix_sort_implINS0_14default_configELb0EPK12hip_bfloat16PSP_PKlPlN2at6native12_GLOBAL__N_18offset_tEEE10hipError_tPvRmT1_PNSt15iterator_traitsIS13_E10value_typeET2_T3_PNS14_IS19_E10value_typeET4_jRbjT5_S1F_jjP12ihipStream_tbEUljE_ZNSN_ISO_Lb0ESR_SS_SU_SV_SZ_EES10_S11_S12_S13_S17_S18_S19_S1C_S1D_jS1E_jS1F_S1F_jjS1H_bEUljE0_EEES10_S11_S12_S19_S1D_S1F_T6_T7_T9_mT8_S1H_bDpT10_ENKUlT_T0_E_clISt17integral_constantIbLb0EES1V_EEDaS1Q_S1R_EUlS1Q_E_NS1_11comp_targetILNS1_3genE8ELNS1_11target_archE1030ELNS1_3gpuE2ELNS1_3repE0EEENS1_30default_config_static_selectorELNS0_4arch9wavefront6targetE0EEEvS13_,comdat
.Lfunc_end1992:
	.size	_ZN7rocprim17ROCPRIM_400000_NS6detail17trampoline_kernelINS0_13select_configILj256ELj13ELNS0_17block_load_methodE3ELS4_3ELS4_3ELNS0_20block_scan_algorithmE0ELj4294967295EEENS1_25partition_config_selectorILNS1_17partition_subalgoE4EjNS0_10empty_typeEbEEZZNS1_14partition_implILS8_4ELb0ES6_15HIP_vector_typeIjLj2EENS0_17counting_iteratorIjlEEPS9_SG_NS0_5tupleIJPjSI_NS0_16reverse_iteratorISI_EEEEENSH_IJSG_SG_SG_EEES9_SI_JZNS1_25segmented_radix_sort_implINS0_14default_configELb0EPK12hip_bfloat16PSP_PKlPlN2at6native12_GLOBAL__N_18offset_tEEE10hipError_tPvRmT1_PNSt15iterator_traitsIS13_E10value_typeET2_T3_PNS14_IS19_E10value_typeET4_jRbjT5_S1F_jjP12ihipStream_tbEUljE_ZNSN_ISO_Lb0ESR_SS_SU_SV_SZ_EES10_S11_S12_S13_S17_S18_S19_S1C_S1D_jS1E_jS1F_S1F_jjS1H_bEUljE0_EEES10_S11_S12_S19_S1D_S1F_T6_T7_T9_mT8_S1H_bDpT10_ENKUlT_T0_E_clISt17integral_constantIbLb0EES1V_EEDaS1Q_S1R_EUlS1Q_E_NS1_11comp_targetILNS1_3genE8ELNS1_11target_archE1030ELNS1_3gpuE2ELNS1_3repE0EEENS1_30default_config_static_selectorELNS0_4arch9wavefront6targetE0EEEvS13_, .Lfunc_end1992-_ZN7rocprim17ROCPRIM_400000_NS6detail17trampoline_kernelINS0_13select_configILj256ELj13ELNS0_17block_load_methodE3ELS4_3ELS4_3ELNS0_20block_scan_algorithmE0ELj4294967295EEENS1_25partition_config_selectorILNS1_17partition_subalgoE4EjNS0_10empty_typeEbEEZZNS1_14partition_implILS8_4ELb0ES6_15HIP_vector_typeIjLj2EENS0_17counting_iteratorIjlEEPS9_SG_NS0_5tupleIJPjSI_NS0_16reverse_iteratorISI_EEEEENSH_IJSG_SG_SG_EEES9_SI_JZNS1_25segmented_radix_sort_implINS0_14default_configELb0EPK12hip_bfloat16PSP_PKlPlN2at6native12_GLOBAL__N_18offset_tEEE10hipError_tPvRmT1_PNSt15iterator_traitsIS13_E10value_typeET2_T3_PNS14_IS19_E10value_typeET4_jRbjT5_S1F_jjP12ihipStream_tbEUljE_ZNSN_ISO_Lb0ESR_SS_SU_SV_SZ_EES10_S11_S12_S13_S17_S18_S19_S1C_S1D_jS1E_jS1F_S1F_jjS1H_bEUljE0_EEES10_S11_S12_S19_S1D_S1F_T6_T7_T9_mT8_S1H_bDpT10_ENKUlT_T0_E_clISt17integral_constantIbLb0EES1V_EEDaS1Q_S1R_EUlS1Q_E_NS1_11comp_targetILNS1_3genE8ELNS1_11target_archE1030ELNS1_3gpuE2ELNS1_3repE0EEENS1_30default_config_static_selectorELNS0_4arch9wavefront6targetE0EEEvS13_
                                        ; -- End function
	.set _ZN7rocprim17ROCPRIM_400000_NS6detail17trampoline_kernelINS0_13select_configILj256ELj13ELNS0_17block_load_methodE3ELS4_3ELS4_3ELNS0_20block_scan_algorithmE0ELj4294967295EEENS1_25partition_config_selectorILNS1_17partition_subalgoE4EjNS0_10empty_typeEbEEZZNS1_14partition_implILS8_4ELb0ES6_15HIP_vector_typeIjLj2EENS0_17counting_iteratorIjlEEPS9_SG_NS0_5tupleIJPjSI_NS0_16reverse_iteratorISI_EEEEENSH_IJSG_SG_SG_EEES9_SI_JZNS1_25segmented_radix_sort_implINS0_14default_configELb0EPK12hip_bfloat16PSP_PKlPlN2at6native12_GLOBAL__N_18offset_tEEE10hipError_tPvRmT1_PNSt15iterator_traitsIS13_E10value_typeET2_T3_PNS14_IS19_E10value_typeET4_jRbjT5_S1F_jjP12ihipStream_tbEUljE_ZNSN_ISO_Lb0ESR_SS_SU_SV_SZ_EES10_S11_S12_S13_S17_S18_S19_S1C_S1D_jS1E_jS1F_S1F_jjS1H_bEUljE0_EEES10_S11_S12_S19_S1D_S1F_T6_T7_T9_mT8_S1H_bDpT10_ENKUlT_T0_E_clISt17integral_constantIbLb0EES1V_EEDaS1Q_S1R_EUlS1Q_E_NS1_11comp_targetILNS1_3genE8ELNS1_11target_archE1030ELNS1_3gpuE2ELNS1_3repE0EEENS1_30default_config_static_selectorELNS0_4arch9wavefront6targetE0EEEvS13_.num_vgpr, 0
	.set _ZN7rocprim17ROCPRIM_400000_NS6detail17trampoline_kernelINS0_13select_configILj256ELj13ELNS0_17block_load_methodE3ELS4_3ELS4_3ELNS0_20block_scan_algorithmE0ELj4294967295EEENS1_25partition_config_selectorILNS1_17partition_subalgoE4EjNS0_10empty_typeEbEEZZNS1_14partition_implILS8_4ELb0ES6_15HIP_vector_typeIjLj2EENS0_17counting_iteratorIjlEEPS9_SG_NS0_5tupleIJPjSI_NS0_16reverse_iteratorISI_EEEEENSH_IJSG_SG_SG_EEES9_SI_JZNS1_25segmented_radix_sort_implINS0_14default_configELb0EPK12hip_bfloat16PSP_PKlPlN2at6native12_GLOBAL__N_18offset_tEEE10hipError_tPvRmT1_PNSt15iterator_traitsIS13_E10value_typeET2_T3_PNS14_IS19_E10value_typeET4_jRbjT5_S1F_jjP12ihipStream_tbEUljE_ZNSN_ISO_Lb0ESR_SS_SU_SV_SZ_EES10_S11_S12_S13_S17_S18_S19_S1C_S1D_jS1E_jS1F_S1F_jjS1H_bEUljE0_EEES10_S11_S12_S19_S1D_S1F_T6_T7_T9_mT8_S1H_bDpT10_ENKUlT_T0_E_clISt17integral_constantIbLb0EES1V_EEDaS1Q_S1R_EUlS1Q_E_NS1_11comp_targetILNS1_3genE8ELNS1_11target_archE1030ELNS1_3gpuE2ELNS1_3repE0EEENS1_30default_config_static_selectorELNS0_4arch9wavefront6targetE0EEEvS13_.num_agpr, 0
	.set _ZN7rocprim17ROCPRIM_400000_NS6detail17trampoline_kernelINS0_13select_configILj256ELj13ELNS0_17block_load_methodE3ELS4_3ELS4_3ELNS0_20block_scan_algorithmE0ELj4294967295EEENS1_25partition_config_selectorILNS1_17partition_subalgoE4EjNS0_10empty_typeEbEEZZNS1_14partition_implILS8_4ELb0ES6_15HIP_vector_typeIjLj2EENS0_17counting_iteratorIjlEEPS9_SG_NS0_5tupleIJPjSI_NS0_16reverse_iteratorISI_EEEEENSH_IJSG_SG_SG_EEES9_SI_JZNS1_25segmented_radix_sort_implINS0_14default_configELb0EPK12hip_bfloat16PSP_PKlPlN2at6native12_GLOBAL__N_18offset_tEEE10hipError_tPvRmT1_PNSt15iterator_traitsIS13_E10value_typeET2_T3_PNS14_IS19_E10value_typeET4_jRbjT5_S1F_jjP12ihipStream_tbEUljE_ZNSN_ISO_Lb0ESR_SS_SU_SV_SZ_EES10_S11_S12_S13_S17_S18_S19_S1C_S1D_jS1E_jS1F_S1F_jjS1H_bEUljE0_EEES10_S11_S12_S19_S1D_S1F_T6_T7_T9_mT8_S1H_bDpT10_ENKUlT_T0_E_clISt17integral_constantIbLb0EES1V_EEDaS1Q_S1R_EUlS1Q_E_NS1_11comp_targetILNS1_3genE8ELNS1_11target_archE1030ELNS1_3gpuE2ELNS1_3repE0EEENS1_30default_config_static_selectorELNS0_4arch9wavefront6targetE0EEEvS13_.numbered_sgpr, 0
	.set _ZN7rocprim17ROCPRIM_400000_NS6detail17trampoline_kernelINS0_13select_configILj256ELj13ELNS0_17block_load_methodE3ELS4_3ELS4_3ELNS0_20block_scan_algorithmE0ELj4294967295EEENS1_25partition_config_selectorILNS1_17partition_subalgoE4EjNS0_10empty_typeEbEEZZNS1_14partition_implILS8_4ELb0ES6_15HIP_vector_typeIjLj2EENS0_17counting_iteratorIjlEEPS9_SG_NS0_5tupleIJPjSI_NS0_16reverse_iteratorISI_EEEEENSH_IJSG_SG_SG_EEES9_SI_JZNS1_25segmented_radix_sort_implINS0_14default_configELb0EPK12hip_bfloat16PSP_PKlPlN2at6native12_GLOBAL__N_18offset_tEEE10hipError_tPvRmT1_PNSt15iterator_traitsIS13_E10value_typeET2_T3_PNS14_IS19_E10value_typeET4_jRbjT5_S1F_jjP12ihipStream_tbEUljE_ZNSN_ISO_Lb0ESR_SS_SU_SV_SZ_EES10_S11_S12_S13_S17_S18_S19_S1C_S1D_jS1E_jS1F_S1F_jjS1H_bEUljE0_EEES10_S11_S12_S19_S1D_S1F_T6_T7_T9_mT8_S1H_bDpT10_ENKUlT_T0_E_clISt17integral_constantIbLb0EES1V_EEDaS1Q_S1R_EUlS1Q_E_NS1_11comp_targetILNS1_3genE8ELNS1_11target_archE1030ELNS1_3gpuE2ELNS1_3repE0EEENS1_30default_config_static_selectorELNS0_4arch9wavefront6targetE0EEEvS13_.num_named_barrier, 0
	.set _ZN7rocprim17ROCPRIM_400000_NS6detail17trampoline_kernelINS0_13select_configILj256ELj13ELNS0_17block_load_methodE3ELS4_3ELS4_3ELNS0_20block_scan_algorithmE0ELj4294967295EEENS1_25partition_config_selectorILNS1_17partition_subalgoE4EjNS0_10empty_typeEbEEZZNS1_14partition_implILS8_4ELb0ES6_15HIP_vector_typeIjLj2EENS0_17counting_iteratorIjlEEPS9_SG_NS0_5tupleIJPjSI_NS0_16reverse_iteratorISI_EEEEENSH_IJSG_SG_SG_EEES9_SI_JZNS1_25segmented_radix_sort_implINS0_14default_configELb0EPK12hip_bfloat16PSP_PKlPlN2at6native12_GLOBAL__N_18offset_tEEE10hipError_tPvRmT1_PNSt15iterator_traitsIS13_E10value_typeET2_T3_PNS14_IS19_E10value_typeET4_jRbjT5_S1F_jjP12ihipStream_tbEUljE_ZNSN_ISO_Lb0ESR_SS_SU_SV_SZ_EES10_S11_S12_S13_S17_S18_S19_S1C_S1D_jS1E_jS1F_S1F_jjS1H_bEUljE0_EEES10_S11_S12_S19_S1D_S1F_T6_T7_T9_mT8_S1H_bDpT10_ENKUlT_T0_E_clISt17integral_constantIbLb0EES1V_EEDaS1Q_S1R_EUlS1Q_E_NS1_11comp_targetILNS1_3genE8ELNS1_11target_archE1030ELNS1_3gpuE2ELNS1_3repE0EEENS1_30default_config_static_selectorELNS0_4arch9wavefront6targetE0EEEvS13_.private_seg_size, 0
	.set _ZN7rocprim17ROCPRIM_400000_NS6detail17trampoline_kernelINS0_13select_configILj256ELj13ELNS0_17block_load_methodE3ELS4_3ELS4_3ELNS0_20block_scan_algorithmE0ELj4294967295EEENS1_25partition_config_selectorILNS1_17partition_subalgoE4EjNS0_10empty_typeEbEEZZNS1_14partition_implILS8_4ELb0ES6_15HIP_vector_typeIjLj2EENS0_17counting_iteratorIjlEEPS9_SG_NS0_5tupleIJPjSI_NS0_16reverse_iteratorISI_EEEEENSH_IJSG_SG_SG_EEES9_SI_JZNS1_25segmented_radix_sort_implINS0_14default_configELb0EPK12hip_bfloat16PSP_PKlPlN2at6native12_GLOBAL__N_18offset_tEEE10hipError_tPvRmT1_PNSt15iterator_traitsIS13_E10value_typeET2_T3_PNS14_IS19_E10value_typeET4_jRbjT5_S1F_jjP12ihipStream_tbEUljE_ZNSN_ISO_Lb0ESR_SS_SU_SV_SZ_EES10_S11_S12_S13_S17_S18_S19_S1C_S1D_jS1E_jS1F_S1F_jjS1H_bEUljE0_EEES10_S11_S12_S19_S1D_S1F_T6_T7_T9_mT8_S1H_bDpT10_ENKUlT_T0_E_clISt17integral_constantIbLb0EES1V_EEDaS1Q_S1R_EUlS1Q_E_NS1_11comp_targetILNS1_3genE8ELNS1_11target_archE1030ELNS1_3gpuE2ELNS1_3repE0EEENS1_30default_config_static_selectorELNS0_4arch9wavefront6targetE0EEEvS13_.uses_vcc, 0
	.set _ZN7rocprim17ROCPRIM_400000_NS6detail17trampoline_kernelINS0_13select_configILj256ELj13ELNS0_17block_load_methodE3ELS4_3ELS4_3ELNS0_20block_scan_algorithmE0ELj4294967295EEENS1_25partition_config_selectorILNS1_17partition_subalgoE4EjNS0_10empty_typeEbEEZZNS1_14partition_implILS8_4ELb0ES6_15HIP_vector_typeIjLj2EENS0_17counting_iteratorIjlEEPS9_SG_NS0_5tupleIJPjSI_NS0_16reverse_iteratorISI_EEEEENSH_IJSG_SG_SG_EEES9_SI_JZNS1_25segmented_radix_sort_implINS0_14default_configELb0EPK12hip_bfloat16PSP_PKlPlN2at6native12_GLOBAL__N_18offset_tEEE10hipError_tPvRmT1_PNSt15iterator_traitsIS13_E10value_typeET2_T3_PNS14_IS19_E10value_typeET4_jRbjT5_S1F_jjP12ihipStream_tbEUljE_ZNSN_ISO_Lb0ESR_SS_SU_SV_SZ_EES10_S11_S12_S13_S17_S18_S19_S1C_S1D_jS1E_jS1F_S1F_jjS1H_bEUljE0_EEES10_S11_S12_S19_S1D_S1F_T6_T7_T9_mT8_S1H_bDpT10_ENKUlT_T0_E_clISt17integral_constantIbLb0EES1V_EEDaS1Q_S1R_EUlS1Q_E_NS1_11comp_targetILNS1_3genE8ELNS1_11target_archE1030ELNS1_3gpuE2ELNS1_3repE0EEENS1_30default_config_static_selectorELNS0_4arch9wavefront6targetE0EEEvS13_.uses_flat_scratch, 0
	.set _ZN7rocprim17ROCPRIM_400000_NS6detail17trampoline_kernelINS0_13select_configILj256ELj13ELNS0_17block_load_methodE3ELS4_3ELS4_3ELNS0_20block_scan_algorithmE0ELj4294967295EEENS1_25partition_config_selectorILNS1_17partition_subalgoE4EjNS0_10empty_typeEbEEZZNS1_14partition_implILS8_4ELb0ES6_15HIP_vector_typeIjLj2EENS0_17counting_iteratorIjlEEPS9_SG_NS0_5tupleIJPjSI_NS0_16reverse_iteratorISI_EEEEENSH_IJSG_SG_SG_EEES9_SI_JZNS1_25segmented_radix_sort_implINS0_14default_configELb0EPK12hip_bfloat16PSP_PKlPlN2at6native12_GLOBAL__N_18offset_tEEE10hipError_tPvRmT1_PNSt15iterator_traitsIS13_E10value_typeET2_T3_PNS14_IS19_E10value_typeET4_jRbjT5_S1F_jjP12ihipStream_tbEUljE_ZNSN_ISO_Lb0ESR_SS_SU_SV_SZ_EES10_S11_S12_S13_S17_S18_S19_S1C_S1D_jS1E_jS1F_S1F_jjS1H_bEUljE0_EEES10_S11_S12_S19_S1D_S1F_T6_T7_T9_mT8_S1H_bDpT10_ENKUlT_T0_E_clISt17integral_constantIbLb0EES1V_EEDaS1Q_S1R_EUlS1Q_E_NS1_11comp_targetILNS1_3genE8ELNS1_11target_archE1030ELNS1_3gpuE2ELNS1_3repE0EEENS1_30default_config_static_selectorELNS0_4arch9wavefront6targetE0EEEvS13_.has_dyn_sized_stack, 0
	.set _ZN7rocprim17ROCPRIM_400000_NS6detail17trampoline_kernelINS0_13select_configILj256ELj13ELNS0_17block_load_methodE3ELS4_3ELS4_3ELNS0_20block_scan_algorithmE0ELj4294967295EEENS1_25partition_config_selectorILNS1_17partition_subalgoE4EjNS0_10empty_typeEbEEZZNS1_14partition_implILS8_4ELb0ES6_15HIP_vector_typeIjLj2EENS0_17counting_iteratorIjlEEPS9_SG_NS0_5tupleIJPjSI_NS0_16reverse_iteratorISI_EEEEENSH_IJSG_SG_SG_EEES9_SI_JZNS1_25segmented_radix_sort_implINS0_14default_configELb0EPK12hip_bfloat16PSP_PKlPlN2at6native12_GLOBAL__N_18offset_tEEE10hipError_tPvRmT1_PNSt15iterator_traitsIS13_E10value_typeET2_T3_PNS14_IS19_E10value_typeET4_jRbjT5_S1F_jjP12ihipStream_tbEUljE_ZNSN_ISO_Lb0ESR_SS_SU_SV_SZ_EES10_S11_S12_S13_S17_S18_S19_S1C_S1D_jS1E_jS1F_S1F_jjS1H_bEUljE0_EEES10_S11_S12_S19_S1D_S1F_T6_T7_T9_mT8_S1H_bDpT10_ENKUlT_T0_E_clISt17integral_constantIbLb0EES1V_EEDaS1Q_S1R_EUlS1Q_E_NS1_11comp_targetILNS1_3genE8ELNS1_11target_archE1030ELNS1_3gpuE2ELNS1_3repE0EEENS1_30default_config_static_selectorELNS0_4arch9wavefront6targetE0EEEvS13_.has_recursion, 0
	.set _ZN7rocprim17ROCPRIM_400000_NS6detail17trampoline_kernelINS0_13select_configILj256ELj13ELNS0_17block_load_methodE3ELS4_3ELS4_3ELNS0_20block_scan_algorithmE0ELj4294967295EEENS1_25partition_config_selectorILNS1_17partition_subalgoE4EjNS0_10empty_typeEbEEZZNS1_14partition_implILS8_4ELb0ES6_15HIP_vector_typeIjLj2EENS0_17counting_iteratorIjlEEPS9_SG_NS0_5tupleIJPjSI_NS0_16reverse_iteratorISI_EEEEENSH_IJSG_SG_SG_EEES9_SI_JZNS1_25segmented_radix_sort_implINS0_14default_configELb0EPK12hip_bfloat16PSP_PKlPlN2at6native12_GLOBAL__N_18offset_tEEE10hipError_tPvRmT1_PNSt15iterator_traitsIS13_E10value_typeET2_T3_PNS14_IS19_E10value_typeET4_jRbjT5_S1F_jjP12ihipStream_tbEUljE_ZNSN_ISO_Lb0ESR_SS_SU_SV_SZ_EES10_S11_S12_S13_S17_S18_S19_S1C_S1D_jS1E_jS1F_S1F_jjS1H_bEUljE0_EEES10_S11_S12_S19_S1D_S1F_T6_T7_T9_mT8_S1H_bDpT10_ENKUlT_T0_E_clISt17integral_constantIbLb0EES1V_EEDaS1Q_S1R_EUlS1Q_E_NS1_11comp_targetILNS1_3genE8ELNS1_11target_archE1030ELNS1_3gpuE2ELNS1_3repE0EEENS1_30default_config_static_selectorELNS0_4arch9wavefront6targetE0EEEvS13_.has_indirect_call, 0
	.section	.AMDGPU.csdata,"",@progbits
; Kernel info:
; codeLenInByte = 0
; TotalNumSgprs: 0
; NumVgprs: 0
; ScratchSize: 0
; MemoryBound: 0
; FloatMode: 240
; IeeeMode: 1
; LDSByteSize: 0 bytes/workgroup (compile time only)
; SGPRBlocks: 0
; VGPRBlocks: 0
; NumSGPRsForWavesPerEU: 1
; NumVGPRsForWavesPerEU: 1
; Occupancy: 16
; WaveLimiterHint : 0
; COMPUTE_PGM_RSRC2:SCRATCH_EN: 0
; COMPUTE_PGM_RSRC2:USER_SGPR: 2
; COMPUTE_PGM_RSRC2:TRAP_HANDLER: 0
; COMPUTE_PGM_RSRC2:TGID_X_EN: 1
; COMPUTE_PGM_RSRC2:TGID_Y_EN: 0
; COMPUTE_PGM_RSRC2:TGID_Z_EN: 0
; COMPUTE_PGM_RSRC2:TIDIG_COMP_CNT: 0
	.section	.text._ZN7rocprim17ROCPRIM_400000_NS6detail17trampoline_kernelINS0_13select_configILj256ELj13ELNS0_17block_load_methodE3ELS4_3ELS4_3ELNS0_20block_scan_algorithmE0ELj4294967295EEENS1_25partition_config_selectorILNS1_17partition_subalgoE4EjNS0_10empty_typeEbEEZZNS1_14partition_implILS8_4ELb0ES6_15HIP_vector_typeIjLj2EENS0_17counting_iteratorIjlEEPS9_SG_NS0_5tupleIJPjSI_NS0_16reverse_iteratorISI_EEEEENSH_IJSG_SG_SG_EEES9_SI_JZNS1_25segmented_radix_sort_implINS0_14default_configELb0EPK12hip_bfloat16PSP_PKlPlN2at6native12_GLOBAL__N_18offset_tEEE10hipError_tPvRmT1_PNSt15iterator_traitsIS13_E10value_typeET2_T3_PNS14_IS19_E10value_typeET4_jRbjT5_S1F_jjP12ihipStream_tbEUljE_ZNSN_ISO_Lb0ESR_SS_SU_SV_SZ_EES10_S11_S12_S13_S17_S18_S19_S1C_S1D_jS1E_jS1F_S1F_jjS1H_bEUljE0_EEES10_S11_S12_S19_S1D_S1F_T6_T7_T9_mT8_S1H_bDpT10_ENKUlT_T0_E_clISt17integral_constantIbLb1EES1V_EEDaS1Q_S1R_EUlS1Q_E_NS1_11comp_targetILNS1_3genE0ELNS1_11target_archE4294967295ELNS1_3gpuE0ELNS1_3repE0EEENS1_30default_config_static_selectorELNS0_4arch9wavefront6targetE0EEEvS13_,"axG",@progbits,_ZN7rocprim17ROCPRIM_400000_NS6detail17trampoline_kernelINS0_13select_configILj256ELj13ELNS0_17block_load_methodE3ELS4_3ELS4_3ELNS0_20block_scan_algorithmE0ELj4294967295EEENS1_25partition_config_selectorILNS1_17partition_subalgoE4EjNS0_10empty_typeEbEEZZNS1_14partition_implILS8_4ELb0ES6_15HIP_vector_typeIjLj2EENS0_17counting_iteratorIjlEEPS9_SG_NS0_5tupleIJPjSI_NS0_16reverse_iteratorISI_EEEEENSH_IJSG_SG_SG_EEES9_SI_JZNS1_25segmented_radix_sort_implINS0_14default_configELb0EPK12hip_bfloat16PSP_PKlPlN2at6native12_GLOBAL__N_18offset_tEEE10hipError_tPvRmT1_PNSt15iterator_traitsIS13_E10value_typeET2_T3_PNS14_IS19_E10value_typeET4_jRbjT5_S1F_jjP12ihipStream_tbEUljE_ZNSN_ISO_Lb0ESR_SS_SU_SV_SZ_EES10_S11_S12_S13_S17_S18_S19_S1C_S1D_jS1E_jS1F_S1F_jjS1H_bEUljE0_EEES10_S11_S12_S19_S1D_S1F_T6_T7_T9_mT8_S1H_bDpT10_ENKUlT_T0_E_clISt17integral_constantIbLb1EES1V_EEDaS1Q_S1R_EUlS1Q_E_NS1_11comp_targetILNS1_3genE0ELNS1_11target_archE4294967295ELNS1_3gpuE0ELNS1_3repE0EEENS1_30default_config_static_selectorELNS0_4arch9wavefront6targetE0EEEvS13_,comdat
	.globl	_ZN7rocprim17ROCPRIM_400000_NS6detail17trampoline_kernelINS0_13select_configILj256ELj13ELNS0_17block_load_methodE3ELS4_3ELS4_3ELNS0_20block_scan_algorithmE0ELj4294967295EEENS1_25partition_config_selectorILNS1_17partition_subalgoE4EjNS0_10empty_typeEbEEZZNS1_14partition_implILS8_4ELb0ES6_15HIP_vector_typeIjLj2EENS0_17counting_iteratorIjlEEPS9_SG_NS0_5tupleIJPjSI_NS0_16reverse_iteratorISI_EEEEENSH_IJSG_SG_SG_EEES9_SI_JZNS1_25segmented_radix_sort_implINS0_14default_configELb0EPK12hip_bfloat16PSP_PKlPlN2at6native12_GLOBAL__N_18offset_tEEE10hipError_tPvRmT1_PNSt15iterator_traitsIS13_E10value_typeET2_T3_PNS14_IS19_E10value_typeET4_jRbjT5_S1F_jjP12ihipStream_tbEUljE_ZNSN_ISO_Lb0ESR_SS_SU_SV_SZ_EES10_S11_S12_S13_S17_S18_S19_S1C_S1D_jS1E_jS1F_S1F_jjS1H_bEUljE0_EEES10_S11_S12_S19_S1D_S1F_T6_T7_T9_mT8_S1H_bDpT10_ENKUlT_T0_E_clISt17integral_constantIbLb1EES1V_EEDaS1Q_S1R_EUlS1Q_E_NS1_11comp_targetILNS1_3genE0ELNS1_11target_archE4294967295ELNS1_3gpuE0ELNS1_3repE0EEENS1_30default_config_static_selectorELNS0_4arch9wavefront6targetE0EEEvS13_ ; -- Begin function _ZN7rocprim17ROCPRIM_400000_NS6detail17trampoline_kernelINS0_13select_configILj256ELj13ELNS0_17block_load_methodE3ELS4_3ELS4_3ELNS0_20block_scan_algorithmE0ELj4294967295EEENS1_25partition_config_selectorILNS1_17partition_subalgoE4EjNS0_10empty_typeEbEEZZNS1_14partition_implILS8_4ELb0ES6_15HIP_vector_typeIjLj2EENS0_17counting_iteratorIjlEEPS9_SG_NS0_5tupleIJPjSI_NS0_16reverse_iteratorISI_EEEEENSH_IJSG_SG_SG_EEES9_SI_JZNS1_25segmented_radix_sort_implINS0_14default_configELb0EPK12hip_bfloat16PSP_PKlPlN2at6native12_GLOBAL__N_18offset_tEEE10hipError_tPvRmT1_PNSt15iterator_traitsIS13_E10value_typeET2_T3_PNS14_IS19_E10value_typeET4_jRbjT5_S1F_jjP12ihipStream_tbEUljE_ZNSN_ISO_Lb0ESR_SS_SU_SV_SZ_EES10_S11_S12_S13_S17_S18_S19_S1C_S1D_jS1E_jS1F_S1F_jjS1H_bEUljE0_EEES10_S11_S12_S19_S1D_S1F_T6_T7_T9_mT8_S1H_bDpT10_ENKUlT_T0_E_clISt17integral_constantIbLb1EES1V_EEDaS1Q_S1R_EUlS1Q_E_NS1_11comp_targetILNS1_3genE0ELNS1_11target_archE4294967295ELNS1_3gpuE0ELNS1_3repE0EEENS1_30default_config_static_selectorELNS0_4arch9wavefront6targetE0EEEvS13_
	.p2align	8
	.type	_ZN7rocprim17ROCPRIM_400000_NS6detail17trampoline_kernelINS0_13select_configILj256ELj13ELNS0_17block_load_methodE3ELS4_3ELS4_3ELNS0_20block_scan_algorithmE0ELj4294967295EEENS1_25partition_config_selectorILNS1_17partition_subalgoE4EjNS0_10empty_typeEbEEZZNS1_14partition_implILS8_4ELb0ES6_15HIP_vector_typeIjLj2EENS0_17counting_iteratorIjlEEPS9_SG_NS0_5tupleIJPjSI_NS0_16reverse_iteratorISI_EEEEENSH_IJSG_SG_SG_EEES9_SI_JZNS1_25segmented_radix_sort_implINS0_14default_configELb0EPK12hip_bfloat16PSP_PKlPlN2at6native12_GLOBAL__N_18offset_tEEE10hipError_tPvRmT1_PNSt15iterator_traitsIS13_E10value_typeET2_T3_PNS14_IS19_E10value_typeET4_jRbjT5_S1F_jjP12ihipStream_tbEUljE_ZNSN_ISO_Lb0ESR_SS_SU_SV_SZ_EES10_S11_S12_S13_S17_S18_S19_S1C_S1D_jS1E_jS1F_S1F_jjS1H_bEUljE0_EEES10_S11_S12_S19_S1D_S1F_T6_T7_T9_mT8_S1H_bDpT10_ENKUlT_T0_E_clISt17integral_constantIbLb1EES1V_EEDaS1Q_S1R_EUlS1Q_E_NS1_11comp_targetILNS1_3genE0ELNS1_11target_archE4294967295ELNS1_3gpuE0ELNS1_3repE0EEENS1_30default_config_static_selectorELNS0_4arch9wavefront6targetE0EEEvS13_,@function
_ZN7rocprim17ROCPRIM_400000_NS6detail17trampoline_kernelINS0_13select_configILj256ELj13ELNS0_17block_load_methodE3ELS4_3ELS4_3ELNS0_20block_scan_algorithmE0ELj4294967295EEENS1_25partition_config_selectorILNS1_17partition_subalgoE4EjNS0_10empty_typeEbEEZZNS1_14partition_implILS8_4ELb0ES6_15HIP_vector_typeIjLj2EENS0_17counting_iteratorIjlEEPS9_SG_NS0_5tupleIJPjSI_NS0_16reverse_iteratorISI_EEEEENSH_IJSG_SG_SG_EEES9_SI_JZNS1_25segmented_radix_sort_implINS0_14default_configELb0EPK12hip_bfloat16PSP_PKlPlN2at6native12_GLOBAL__N_18offset_tEEE10hipError_tPvRmT1_PNSt15iterator_traitsIS13_E10value_typeET2_T3_PNS14_IS19_E10value_typeET4_jRbjT5_S1F_jjP12ihipStream_tbEUljE_ZNSN_ISO_Lb0ESR_SS_SU_SV_SZ_EES10_S11_S12_S13_S17_S18_S19_S1C_S1D_jS1E_jS1F_S1F_jjS1H_bEUljE0_EEES10_S11_S12_S19_S1D_S1F_T6_T7_T9_mT8_S1H_bDpT10_ENKUlT_T0_E_clISt17integral_constantIbLb1EES1V_EEDaS1Q_S1R_EUlS1Q_E_NS1_11comp_targetILNS1_3genE0ELNS1_11target_archE4294967295ELNS1_3gpuE0ELNS1_3repE0EEENS1_30default_config_static_selectorELNS0_4arch9wavefront6targetE0EEEvS13_: ; @_ZN7rocprim17ROCPRIM_400000_NS6detail17trampoline_kernelINS0_13select_configILj256ELj13ELNS0_17block_load_methodE3ELS4_3ELS4_3ELNS0_20block_scan_algorithmE0ELj4294967295EEENS1_25partition_config_selectorILNS1_17partition_subalgoE4EjNS0_10empty_typeEbEEZZNS1_14partition_implILS8_4ELb0ES6_15HIP_vector_typeIjLj2EENS0_17counting_iteratorIjlEEPS9_SG_NS0_5tupleIJPjSI_NS0_16reverse_iteratorISI_EEEEENSH_IJSG_SG_SG_EEES9_SI_JZNS1_25segmented_radix_sort_implINS0_14default_configELb0EPK12hip_bfloat16PSP_PKlPlN2at6native12_GLOBAL__N_18offset_tEEE10hipError_tPvRmT1_PNSt15iterator_traitsIS13_E10value_typeET2_T3_PNS14_IS19_E10value_typeET4_jRbjT5_S1F_jjP12ihipStream_tbEUljE_ZNSN_ISO_Lb0ESR_SS_SU_SV_SZ_EES10_S11_S12_S13_S17_S18_S19_S1C_S1D_jS1E_jS1F_S1F_jjS1H_bEUljE0_EEES10_S11_S12_S19_S1D_S1F_T6_T7_T9_mT8_S1H_bDpT10_ENKUlT_T0_E_clISt17integral_constantIbLb1EES1V_EEDaS1Q_S1R_EUlS1Q_E_NS1_11comp_targetILNS1_3genE0ELNS1_11target_archE4294967295ELNS1_3gpuE0ELNS1_3repE0EEENS1_30default_config_static_selectorELNS0_4arch9wavefront6targetE0EEEvS13_
; %bb.0:
	.section	.rodata,"a",@progbits
	.p2align	6, 0x0
	.amdhsa_kernel _ZN7rocprim17ROCPRIM_400000_NS6detail17trampoline_kernelINS0_13select_configILj256ELj13ELNS0_17block_load_methodE3ELS4_3ELS4_3ELNS0_20block_scan_algorithmE0ELj4294967295EEENS1_25partition_config_selectorILNS1_17partition_subalgoE4EjNS0_10empty_typeEbEEZZNS1_14partition_implILS8_4ELb0ES6_15HIP_vector_typeIjLj2EENS0_17counting_iteratorIjlEEPS9_SG_NS0_5tupleIJPjSI_NS0_16reverse_iteratorISI_EEEEENSH_IJSG_SG_SG_EEES9_SI_JZNS1_25segmented_radix_sort_implINS0_14default_configELb0EPK12hip_bfloat16PSP_PKlPlN2at6native12_GLOBAL__N_18offset_tEEE10hipError_tPvRmT1_PNSt15iterator_traitsIS13_E10value_typeET2_T3_PNS14_IS19_E10value_typeET4_jRbjT5_S1F_jjP12ihipStream_tbEUljE_ZNSN_ISO_Lb0ESR_SS_SU_SV_SZ_EES10_S11_S12_S13_S17_S18_S19_S1C_S1D_jS1E_jS1F_S1F_jjS1H_bEUljE0_EEES10_S11_S12_S19_S1D_S1F_T6_T7_T9_mT8_S1H_bDpT10_ENKUlT_T0_E_clISt17integral_constantIbLb1EES1V_EEDaS1Q_S1R_EUlS1Q_E_NS1_11comp_targetILNS1_3genE0ELNS1_11target_archE4294967295ELNS1_3gpuE0ELNS1_3repE0EEENS1_30default_config_static_selectorELNS0_4arch9wavefront6targetE0EEEvS13_
		.amdhsa_group_segment_fixed_size 0
		.amdhsa_private_segment_fixed_size 0
		.amdhsa_kernarg_size 184
		.amdhsa_user_sgpr_count 2
		.amdhsa_user_sgpr_dispatch_ptr 0
		.amdhsa_user_sgpr_queue_ptr 0
		.amdhsa_user_sgpr_kernarg_segment_ptr 1
		.amdhsa_user_sgpr_dispatch_id 0
		.amdhsa_user_sgpr_private_segment_size 0
		.amdhsa_wavefront_size32 1
		.amdhsa_uses_dynamic_stack 0
		.amdhsa_enable_private_segment 0
		.amdhsa_system_sgpr_workgroup_id_x 1
		.amdhsa_system_sgpr_workgroup_id_y 0
		.amdhsa_system_sgpr_workgroup_id_z 0
		.amdhsa_system_sgpr_workgroup_info 0
		.amdhsa_system_vgpr_workitem_id 0
		.amdhsa_next_free_vgpr 1
		.amdhsa_next_free_sgpr 1
		.amdhsa_reserve_vcc 0
		.amdhsa_float_round_mode_32 0
		.amdhsa_float_round_mode_16_64 0
		.amdhsa_float_denorm_mode_32 3
		.amdhsa_float_denorm_mode_16_64 3
		.amdhsa_fp16_overflow 0
		.amdhsa_workgroup_processor_mode 1
		.amdhsa_memory_ordered 1
		.amdhsa_forward_progress 1
		.amdhsa_inst_pref_size 0
		.amdhsa_round_robin_scheduling 0
		.amdhsa_exception_fp_ieee_invalid_op 0
		.amdhsa_exception_fp_denorm_src 0
		.amdhsa_exception_fp_ieee_div_zero 0
		.amdhsa_exception_fp_ieee_overflow 0
		.amdhsa_exception_fp_ieee_underflow 0
		.amdhsa_exception_fp_ieee_inexact 0
		.amdhsa_exception_int_div_zero 0
	.end_amdhsa_kernel
	.section	.text._ZN7rocprim17ROCPRIM_400000_NS6detail17trampoline_kernelINS0_13select_configILj256ELj13ELNS0_17block_load_methodE3ELS4_3ELS4_3ELNS0_20block_scan_algorithmE0ELj4294967295EEENS1_25partition_config_selectorILNS1_17partition_subalgoE4EjNS0_10empty_typeEbEEZZNS1_14partition_implILS8_4ELb0ES6_15HIP_vector_typeIjLj2EENS0_17counting_iteratorIjlEEPS9_SG_NS0_5tupleIJPjSI_NS0_16reverse_iteratorISI_EEEEENSH_IJSG_SG_SG_EEES9_SI_JZNS1_25segmented_radix_sort_implINS0_14default_configELb0EPK12hip_bfloat16PSP_PKlPlN2at6native12_GLOBAL__N_18offset_tEEE10hipError_tPvRmT1_PNSt15iterator_traitsIS13_E10value_typeET2_T3_PNS14_IS19_E10value_typeET4_jRbjT5_S1F_jjP12ihipStream_tbEUljE_ZNSN_ISO_Lb0ESR_SS_SU_SV_SZ_EES10_S11_S12_S13_S17_S18_S19_S1C_S1D_jS1E_jS1F_S1F_jjS1H_bEUljE0_EEES10_S11_S12_S19_S1D_S1F_T6_T7_T9_mT8_S1H_bDpT10_ENKUlT_T0_E_clISt17integral_constantIbLb1EES1V_EEDaS1Q_S1R_EUlS1Q_E_NS1_11comp_targetILNS1_3genE0ELNS1_11target_archE4294967295ELNS1_3gpuE0ELNS1_3repE0EEENS1_30default_config_static_selectorELNS0_4arch9wavefront6targetE0EEEvS13_,"axG",@progbits,_ZN7rocprim17ROCPRIM_400000_NS6detail17trampoline_kernelINS0_13select_configILj256ELj13ELNS0_17block_load_methodE3ELS4_3ELS4_3ELNS0_20block_scan_algorithmE0ELj4294967295EEENS1_25partition_config_selectorILNS1_17partition_subalgoE4EjNS0_10empty_typeEbEEZZNS1_14partition_implILS8_4ELb0ES6_15HIP_vector_typeIjLj2EENS0_17counting_iteratorIjlEEPS9_SG_NS0_5tupleIJPjSI_NS0_16reverse_iteratorISI_EEEEENSH_IJSG_SG_SG_EEES9_SI_JZNS1_25segmented_radix_sort_implINS0_14default_configELb0EPK12hip_bfloat16PSP_PKlPlN2at6native12_GLOBAL__N_18offset_tEEE10hipError_tPvRmT1_PNSt15iterator_traitsIS13_E10value_typeET2_T3_PNS14_IS19_E10value_typeET4_jRbjT5_S1F_jjP12ihipStream_tbEUljE_ZNSN_ISO_Lb0ESR_SS_SU_SV_SZ_EES10_S11_S12_S13_S17_S18_S19_S1C_S1D_jS1E_jS1F_S1F_jjS1H_bEUljE0_EEES10_S11_S12_S19_S1D_S1F_T6_T7_T9_mT8_S1H_bDpT10_ENKUlT_T0_E_clISt17integral_constantIbLb1EES1V_EEDaS1Q_S1R_EUlS1Q_E_NS1_11comp_targetILNS1_3genE0ELNS1_11target_archE4294967295ELNS1_3gpuE0ELNS1_3repE0EEENS1_30default_config_static_selectorELNS0_4arch9wavefront6targetE0EEEvS13_,comdat
.Lfunc_end1993:
	.size	_ZN7rocprim17ROCPRIM_400000_NS6detail17trampoline_kernelINS0_13select_configILj256ELj13ELNS0_17block_load_methodE3ELS4_3ELS4_3ELNS0_20block_scan_algorithmE0ELj4294967295EEENS1_25partition_config_selectorILNS1_17partition_subalgoE4EjNS0_10empty_typeEbEEZZNS1_14partition_implILS8_4ELb0ES6_15HIP_vector_typeIjLj2EENS0_17counting_iteratorIjlEEPS9_SG_NS0_5tupleIJPjSI_NS0_16reverse_iteratorISI_EEEEENSH_IJSG_SG_SG_EEES9_SI_JZNS1_25segmented_radix_sort_implINS0_14default_configELb0EPK12hip_bfloat16PSP_PKlPlN2at6native12_GLOBAL__N_18offset_tEEE10hipError_tPvRmT1_PNSt15iterator_traitsIS13_E10value_typeET2_T3_PNS14_IS19_E10value_typeET4_jRbjT5_S1F_jjP12ihipStream_tbEUljE_ZNSN_ISO_Lb0ESR_SS_SU_SV_SZ_EES10_S11_S12_S13_S17_S18_S19_S1C_S1D_jS1E_jS1F_S1F_jjS1H_bEUljE0_EEES10_S11_S12_S19_S1D_S1F_T6_T7_T9_mT8_S1H_bDpT10_ENKUlT_T0_E_clISt17integral_constantIbLb1EES1V_EEDaS1Q_S1R_EUlS1Q_E_NS1_11comp_targetILNS1_3genE0ELNS1_11target_archE4294967295ELNS1_3gpuE0ELNS1_3repE0EEENS1_30default_config_static_selectorELNS0_4arch9wavefront6targetE0EEEvS13_, .Lfunc_end1993-_ZN7rocprim17ROCPRIM_400000_NS6detail17trampoline_kernelINS0_13select_configILj256ELj13ELNS0_17block_load_methodE3ELS4_3ELS4_3ELNS0_20block_scan_algorithmE0ELj4294967295EEENS1_25partition_config_selectorILNS1_17partition_subalgoE4EjNS0_10empty_typeEbEEZZNS1_14partition_implILS8_4ELb0ES6_15HIP_vector_typeIjLj2EENS0_17counting_iteratorIjlEEPS9_SG_NS0_5tupleIJPjSI_NS0_16reverse_iteratorISI_EEEEENSH_IJSG_SG_SG_EEES9_SI_JZNS1_25segmented_radix_sort_implINS0_14default_configELb0EPK12hip_bfloat16PSP_PKlPlN2at6native12_GLOBAL__N_18offset_tEEE10hipError_tPvRmT1_PNSt15iterator_traitsIS13_E10value_typeET2_T3_PNS14_IS19_E10value_typeET4_jRbjT5_S1F_jjP12ihipStream_tbEUljE_ZNSN_ISO_Lb0ESR_SS_SU_SV_SZ_EES10_S11_S12_S13_S17_S18_S19_S1C_S1D_jS1E_jS1F_S1F_jjS1H_bEUljE0_EEES10_S11_S12_S19_S1D_S1F_T6_T7_T9_mT8_S1H_bDpT10_ENKUlT_T0_E_clISt17integral_constantIbLb1EES1V_EEDaS1Q_S1R_EUlS1Q_E_NS1_11comp_targetILNS1_3genE0ELNS1_11target_archE4294967295ELNS1_3gpuE0ELNS1_3repE0EEENS1_30default_config_static_selectorELNS0_4arch9wavefront6targetE0EEEvS13_
                                        ; -- End function
	.set _ZN7rocprim17ROCPRIM_400000_NS6detail17trampoline_kernelINS0_13select_configILj256ELj13ELNS0_17block_load_methodE3ELS4_3ELS4_3ELNS0_20block_scan_algorithmE0ELj4294967295EEENS1_25partition_config_selectorILNS1_17partition_subalgoE4EjNS0_10empty_typeEbEEZZNS1_14partition_implILS8_4ELb0ES6_15HIP_vector_typeIjLj2EENS0_17counting_iteratorIjlEEPS9_SG_NS0_5tupleIJPjSI_NS0_16reverse_iteratorISI_EEEEENSH_IJSG_SG_SG_EEES9_SI_JZNS1_25segmented_radix_sort_implINS0_14default_configELb0EPK12hip_bfloat16PSP_PKlPlN2at6native12_GLOBAL__N_18offset_tEEE10hipError_tPvRmT1_PNSt15iterator_traitsIS13_E10value_typeET2_T3_PNS14_IS19_E10value_typeET4_jRbjT5_S1F_jjP12ihipStream_tbEUljE_ZNSN_ISO_Lb0ESR_SS_SU_SV_SZ_EES10_S11_S12_S13_S17_S18_S19_S1C_S1D_jS1E_jS1F_S1F_jjS1H_bEUljE0_EEES10_S11_S12_S19_S1D_S1F_T6_T7_T9_mT8_S1H_bDpT10_ENKUlT_T0_E_clISt17integral_constantIbLb1EES1V_EEDaS1Q_S1R_EUlS1Q_E_NS1_11comp_targetILNS1_3genE0ELNS1_11target_archE4294967295ELNS1_3gpuE0ELNS1_3repE0EEENS1_30default_config_static_selectorELNS0_4arch9wavefront6targetE0EEEvS13_.num_vgpr, 0
	.set _ZN7rocprim17ROCPRIM_400000_NS6detail17trampoline_kernelINS0_13select_configILj256ELj13ELNS0_17block_load_methodE3ELS4_3ELS4_3ELNS0_20block_scan_algorithmE0ELj4294967295EEENS1_25partition_config_selectorILNS1_17partition_subalgoE4EjNS0_10empty_typeEbEEZZNS1_14partition_implILS8_4ELb0ES6_15HIP_vector_typeIjLj2EENS0_17counting_iteratorIjlEEPS9_SG_NS0_5tupleIJPjSI_NS0_16reverse_iteratorISI_EEEEENSH_IJSG_SG_SG_EEES9_SI_JZNS1_25segmented_radix_sort_implINS0_14default_configELb0EPK12hip_bfloat16PSP_PKlPlN2at6native12_GLOBAL__N_18offset_tEEE10hipError_tPvRmT1_PNSt15iterator_traitsIS13_E10value_typeET2_T3_PNS14_IS19_E10value_typeET4_jRbjT5_S1F_jjP12ihipStream_tbEUljE_ZNSN_ISO_Lb0ESR_SS_SU_SV_SZ_EES10_S11_S12_S13_S17_S18_S19_S1C_S1D_jS1E_jS1F_S1F_jjS1H_bEUljE0_EEES10_S11_S12_S19_S1D_S1F_T6_T7_T9_mT8_S1H_bDpT10_ENKUlT_T0_E_clISt17integral_constantIbLb1EES1V_EEDaS1Q_S1R_EUlS1Q_E_NS1_11comp_targetILNS1_3genE0ELNS1_11target_archE4294967295ELNS1_3gpuE0ELNS1_3repE0EEENS1_30default_config_static_selectorELNS0_4arch9wavefront6targetE0EEEvS13_.num_agpr, 0
	.set _ZN7rocprim17ROCPRIM_400000_NS6detail17trampoline_kernelINS0_13select_configILj256ELj13ELNS0_17block_load_methodE3ELS4_3ELS4_3ELNS0_20block_scan_algorithmE0ELj4294967295EEENS1_25partition_config_selectorILNS1_17partition_subalgoE4EjNS0_10empty_typeEbEEZZNS1_14partition_implILS8_4ELb0ES6_15HIP_vector_typeIjLj2EENS0_17counting_iteratorIjlEEPS9_SG_NS0_5tupleIJPjSI_NS0_16reverse_iteratorISI_EEEEENSH_IJSG_SG_SG_EEES9_SI_JZNS1_25segmented_radix_sort_implINS0_14default_configELb0EPK12hip_bfloat16PSP_PKlPlN2at6native12_GLOBAL__N_18offset_tEEE10hipError_tPvRmT1_PNSt15iterator_traitsIS13_E10value_typeET2_T3_PNS14_IS19_E10value_typeET4_jRbjT5_S1F_jjP12ihipStream_tbEUljE_ZNSN_ISO_Lb0ESR_SS_SU_SV_SZ_EES10_S11_S12_S13_S17_S18_S19_S1C_S1D_jS1E_jS1F_S1F_jjS1H_bEUljE0_EEES10_S11_S12_S19_S1D_S1F_T6_T7_T9_mT8_S1H_bDpT10_ENKUlT_T0_E_clISt17integral_constantIbLb1EES1V_EEDaS1Q_S1R_EUlS1Q_E_NS1_11comp_targetILNS1_3genE0ELNS1_11target_archE4294967295ELNS1_3gpuE0ELNS1_3repE0EEENS1_30default_config_static_selectorELNS0_4arch9wavefront6targetE0EEEvS13_.numbered_sgpr, 0
	.set _ZN7rocprim17ROCPRIM_400000_NS6detail17trampoline_kernelINS0_13select_configILj256ELj13ELNS0_17block_load_methodE3ELS4_3ELS4_3ELNS0_20block_scan_algorithmE0ELj4294967295EEENS1_25partition_config_selectorILNS1_17partition_subalgoE4EjNS0_10empty_typeEbEEZZNS1_14partition_implILS8_4ELb0ES6_15HIP_vector_typeIjLj2EENS0_17counting_iteratorIjlEEPS9_SG_NS0_5tupleIJPjSI_NS0_16reverse_iteratorISI_EEEEENSH_IJSG_SG_SG_EEES9_SI_JZNS1_25segmented_radix_sort_implINS0_14default_configELb0EPK12hip_bfloat16PSP_PKlPlN2at6native12_GLOBAL__N_18offset_tEEE10hipError_tPvRmT1_PNSt15iterator_traitsIS13_E10value_typeET2_T3_PNS14_IS19_E10value_typeET4_jRbjT5_S1F_jjP12ihipStream_tbEUljE_ZNSN_ISO_Lb0ESR_SS_SU_SV_SZ_EES10_S11_S12_S13_S17_S18_S19_S1C_S1D_jS1E_jS1F_S1F_jjS1H_bEUljE0_EEES10_S11_S12_S19_S1D_S1F_T6_T7_T9_mT8_S1H_bDpT10_ENKUlT_T0_E_clISt17integral_constantIbLb1EES1V_EEDaS1Q_S1R_EUlS1Q_E_NS1_11comp_targetILNS1_3genE0ELNS1_11target_archE4294967295ELNS1_3gpuE0ELNS1_3repE0EEENS1_30default_config_static_selectorELNS0_4arch9wavefront6targetE0EEEvS13_.num_named_barrier, 0
	.set _ZN7rocprim17ROCPRIM_400000_NS6detail17trampoline_kernelINS0_13select_configILj256ELj13ELNS0_17block_load_methodE3ELS4_3ELS4_3ELNS0_20block_scan_algorithmE0ELj4294967295EEENS1_25partition_config_selectorILNS1_17partition_subalgoE4EjNS0_10empty_typeEbEEZZNS1_14partition_implILS8_4ELb0ES6_15HIP_vector_typeIjLj2EENS0_17counting_iteratorIjlEEPS9_SG_NS0_5tupleIJPjSI_NS0_16reverse_iteratorISI_EEEEENSH_IJSG_SG_SG_EEES9_SI_JZNS1_25segmented_radix_sort_implINS0_14default_configELb0EPK12hip_bfloat16PSP_PKlPlN2at6native12_GLOBAL__N_18offset_tEEE10hipError_tPvRmT1_PNSt15iterator_traitsIS13_E10value_typeET2_T3_PNS14_IS19_E10value_typeET4_jRbjT5_S1F_jjP12ihipStream_tbEUljE_ZNSN_ISO_Lb0ESR_SS_SU_SV_SZ_EES10_S11_S12_S13_S17_S18_S19_S1C_S1D_jS1E_jS1F_S1F_jjS1H_bEUljE0_EEES10_S11_S12_S19_S1D_S1F_T6_T7_T9_mT8_S1H_bDpT10_ENKUlT_T0_E_clISt17integral_constantIbLb1EES1V_EEDaS1Q_S1R_EUlS1Q_E_NS1_11comp_targetILNS1_3genE0ELNS1_11target_archE4294967295ELNS1_3gpuE0ELNS1_3repE0EEENS1_30default_config_static_selectorELNS0_4arch9wavefront6targetE0EEEvS13_.private_seg_size, 0
	.set _ZN7rocprim17ROCPRIM_400000_NS6detail17trampoline_kernelINS0_13select_configILj256ELj13ELNS0_17block_load_methodE3ELS4_3ELS4_3ELNS0_20block_scan_algorithmE0ELj4294967295EEENS1_25partition_config_selectorILNS1_17partition_subalgoE4EjNS0_10empty_typeEbEEZZNS1_14partition_implILS8_4ELb0ES6_15HIP_vector_typeIjLj2EENS0_17counting_iteratorIjlEEPS9_SG_NS0_5tupleIJPjSI_NS0_16reverse_iteratorISI_EEEEENSH_IJSG_SG_SG_EEES9_SI_JZNS1_25segmented_radix_sort_implINS0_14default_configELb0EPK12hip_bfloat16PSP_PKlPlN2at6native12_GLOBAL__N_18offset_tEEE10hipError_tPvRmT1_PNSt15iterator_traitsIS13_E10value_typeET2_T3_PNS14_IS19_E10value_typeET4_jRbjT5_S1F_jjP12ihipStream_tbEUljE_ZNSN_ISO_Lb0ESR_SS_SU_SV_SZ_EES10_S11_S12_S13_S17_S18_S19_S1C_S1D_jS1E_jS1F_S1F_jjS1H_bEUljE0_EEES10_S11_S12_S19_S1D_S1F_T6_T7_T9_mT8_S1H_bDpT10_ENKUlT_T0_E_clISt17integral_constantIbLb1EES1V_EEDaS1Q_S1R_EUlS1Q_E_NS1_11comp_targetILNS1_3genE0ELNS1_11target_archE4294967295ELNS1_3gpuE0ELNS1_3repE0EEENS1_30default_config_static_selectorELNS0_4arch9wavefront6targetE0EEEvS13_.uses_vcc, 0
	.set _ZN7rocprim17ROCPRIM_400000_NS6detail17trampoline_kernelINS0_13select_configILj256ELj13ELNS0_17block_load_methodE3ELS4_3ELS4_3ELNS0_20block_scan_algorithmE0ELj4294967295EEENS1_25partition_config_selectorILNS1_17partition_subalgoE4EjNS0_10empty_typeEbEEZZNS1_14partition_implILS8_4ELb0ES6_15HIP_vector_typeIjLj2EENS0_17counting_iteratorIjlEEPS9_SG_NS0_5tupleIJPjSI_NS0_16reverse_iteratorISI_EEEEENSH_IJSG_SG_SG_EEES9_SI_JZNS1_25segmented_radix_sort_implINS0_14default_configELb0EPK12hip_bfloat16PSP_PKlPlN2at6native12_GLOBAL__N_18offset_tEEE10hipError_tPvRmT1_PNSt15iterator_traitsIS13_E10value_typeET2_T3_PNS14_IS19_E10value_typeET4_jRbjT5_S1F_jjP12ihipStream_tbEUljE_ZNSN_ISO_Lb0ESR_SS_SU_SV_SZ_EES10_S11_S12_S13_S17_S18_S19_S1C_S1D_jS1E_jS1F_S1F_jjS1H_bEUljE0_EEES10_S11_S12_S19_S1D_S1F_T6_T7_T9_mT8_S1H_bDpT10_ENKUlT_T0_E_clISt17integral_constantIbLb1EES1V_EEDaS1Q_S1R_EUlS1Q_E_NS1_11comp_targetILNS1_3genE0ELNS1_11target_archE4294967295ELNS1_3gpuE0ELNS1_3repE0EEENS1_30default_config_static_selectorELNS0_4arch9wavefront6targetE0EEEvS13_.uses_flat_scratch, 0
	.set _ZN7rocprim17ROCPRIM_400000_NS6detail17trampoline_kernelINS0_13select_configILj256ELj13ELNS0_17block_load_methodE3ELS4_3ELS4_3ELNS0_20block_scan_algorithmE0ELj4294967295EEENS1_25partition_config_selectorILNS1_17partition_subalgoE4EjNS0_10empty_typeEbEEZZNS1_14partition_implILS8_4ELb0ES6_15HIP_vector_typeIjLj2EENS0_17counting_iteratorIjlEEPS9_SG_NS0_5tupleIJPjSI_NS0_16reverse_iteratorISI_EEEEENSH_IJSG_SG_SG_EEES9_SI_JZNS1_25segmented_radix_sort_implINS0_14default_configELb0EPK12hip_bfloat16PSP_PKlPlN2at6native12_GLOBAL__N_18offset_tEEE10hipError_tPvRmT1_PNSt15iterator_traitsIS13_E10value_typeET2_T3_PNS14_IS19_E10value_typeET4_jRbjT5_S1F_jjP12ihipStream_tbEUljE_ZNSN_ISO_Lb0ESR_SS_SU_SV_SZ_EES10_S11_S12_S13_S17_S18_S19_S1C_S1D_jS1E_jS1F_S1F_jjS1H_bEUljE0_EEES10_S11_S12_S19_S1D_S1F_T6_T7_T9_mT8_S1H_bDpT10_ENKUlT_T0_E_clISt17integral_constantIbLb1EES1V_EEDaS1Q_S1R_EUlS1Q_E_NS1_11comp_targetILNS1_3genE0ELNS1_11target_archE4294967295ELNS1_3gpuE0ELNS1_3repE0EEENS1_30default_config_static_selectorELNS0_4arch9wavefront6targetE0EEEvS13_.has_dyn_sized_stack, 0
	.set _ZN7rocprim17ROCPRIM_400000_NS6detail17trampoline_kernelINS0_13select_configILj256ELj13ELNS0_17block_load_methodE3ELS4_3ELS4_3ELNS0_20block_scan_algorithmE0ELj4294967295EEENS1_25partition_config_selectorILNS1_17partition_subalgoE4EjNS0_10empty_typeEbEEZZNS1_14partition_implILS8_4ELb0ES6_15HIP_vector_typeIjLj2EENS0_17counting_iteratorIjlEEPS9_SG_NS0_5tupleIJPjSI_NS0_16reverse_iteratorISI_EEEEENSH_IJSG_SG_SG_EEES9_SI_JZNS1_25segmented_radix_sort_implINS0_14default_configELb0EPK12hip_bfloat16PSP_PKlPlN2at6native12_GLOBAL__N_18offset_tEEE10hipError_tPvRmT1_PNSt15iterator_traitsIS13_E10value_typeET2_T3_PNS14_IS19_E10value_typeET4_jRbjT5_S1F_jjP12ihipStream_tbEUljE_ZNSN_ISO_Lb0ESR_SS_SU_SV_SZ_EES10_S11_S12_S13_S17_S18_S19_S1C_S1D_jS1E_jS1F_S1F_jjS1H_bEUljE0_EEES10_S11_S12_S19_S1D_S1F_T6_T7_T9_mT8_S1H_bDpT10_ENKUlT_T0_E_clISt17integral_constantIbLb1EES1V_EEDaS1Q_S1R_EUlS1Q_E_NS1_11comp_targetILNS1_3genE0ELNS1_11target_archE4294967295ELNS1_3gpuE0ELNS1_3repE0EEENS1_30default_config_static_selectorELNS0_4arch9wavefront6targetE0EEEvS13_.has_recursion, 0
	.set _ZN7rocprim17ROCPRIM_400000_NS6detail17trampoline_kernelINS0_13select_configILj256ELj13ELNS0_17block_load_methodE3ELS4_3ELS4_3ELNS0_20block_scan_algorithmE0ELj4294967295EEENS1_25partition_config_selectorILNS1_17partition_subalgoE4EjNS0_10empty_typeEbEEZZNS1_14partition_implILS8_4ELb0ES6_15HIP_vector_typeIjLj2EENS0_17counting_iteratorIjlEEPS9_SG_NS0_5tupleIJPjSI_NS0_16reverse_iteratorISI_EEEEENSH_IJSG_SG_SG_EEES9_SI_JZNS1_25segmented_radix_sort_implINS0_14default_configELb0EPK12hip_bfloat16PSP_PKlPlN2at6native12_GLOBAL__N_18offset_tEEE10hipError_tPvRmT1_PNSt15iterator_traitsIS13_E10value_typeET2_T3_PNS14_IS19_E10value_typeET4_jRbjT5_S1F_jjP12ihipStream_tbEUljE_ZNSN_ISO_Lb0ESR_SS_SU_SV_SZ_EES10_S11_S12_S13_S17_S18_S19_S1C_S1D_jS1E_jS1F_S1F_jjS1H_bEUljE0_EEES10_S11_S12_S19_S1D_S1F_T6_T7_T9_mT8_S1H_bDpT10_ENKUlT_T0_E_clISt17integral_constantIbLb1EES1V_EEDaS1Q_S1R_EUlS1Q_E_NS1_11comp_targetILNS1_3genE0ELNS1_11target_archE4294967295ELNS1_3gpuE0ELNS1_3repE0EEENS1_30default_config_static_selectorELNS0_4arch9wavefront6targetE0EEEvS13_.has_indirect_call, 0
	.section	.AMDGPU.csdata,"",@progbits
; Kernel info:
; codeLenInByte = 0
; TotalNumSgprs: 0
; NumVgprs: 0
; ScratchSize: 0
; MemoryBound: 0
; FloatMode: 240
; IeeeMode: 1
; LDSByteSize: 0 bytes/workgroup (compile time only)
; SGPRBlocks: 0
; VGPRBlocks: 0
; NumSGPRsForWavesPerEU: 1
; NumVGPRsForWavesPerEU: 1
; Occupancy: 16
; WaveLimiterHint : 0
; COMPUTE_PGM_RSRC2:SCRATCH_EN: 0
; COMPUTE_PGM_RSRC2:USER_SGPR: 2
; COMPUTE_PGM_RSRC2:TRAP_HANDLER: 0
; COMPUTE_PGM_RSRC2:TGID_X_EN: 1
; COMPUTE_PGM_RSRC2:TGID_Y_EN: 0
; COMPUTE_PGM_RSRC2:TGID_Z_EN: 0
; COMPUTE_PGM_RSRC2:TIDIG_COMP_CNT: 0
	.section	.text._ZN7rocprim17ROCPRIM_400000_NS6detail17trampoline_kernelINS0_13select_configILj256ELj13ELNS0_17block_load_methodE3ELS4_3ELS4_3ELNS0_20block_scan_algorithmE0ELj4294967295EEENS1_25partition_config_selectorILNS1_17partition_subalgoE4EjNS0_10empty_typeEbEEZZNS1_14partition_implILS8_4ELb0ES6_15HIP_vector_typeIjLj2EENS0_17counting_iteratorIjlEEPS9_SG_NS0_5tupleIJPjSI_NS0_16reverse_iteratorISI_EEEEENSH_IJSG_SG_SG_EEES9_SI_JZNS1_25segmented_radix_sort_implINS0_14default_configELb0EPK12hip_bfloat16PSP_PKlPlN2at6native12_GLOBAL__N_18offset_tEEE10hipError_tPvRmT1_PNSt15iterator_traitsIS13_E10value_typeET2_T3_PNS14_IS19_E10value_typeET4_jRbjT5_S1F_jjP12ihipStream_tbEUljE_ZNSN_ISO_Lb0ESR_SS_SU_SV_SZ_EES10_S11_S12_S13_S17_S18_S19_S1C_S1D_jS1E_jS1F_S1F_jjS1H_bEUljE0_EEES10_S11_S12_S19_S1D_S1F_T6_T7_T9_mT8_S1H_bDpT10_ENKUlT_T0_E_clISt17integral_constantIbLb1EES1V_EEDaS1Q_S1R_EUlS1Q_E_NS1_11comp_targetILNS1_3genE5ELNS1_11target_archE942ELNS1_3gpuE9ELNS1_3repE0EEENS1_30default_config_static_selectorELNS0_4arch9wavefront6targetE0EEEvS13_,"axG",@progbits,_ZN7rocprim17ROCPRIM_400000_NS6detail17trampoline_kernelINS0_13select_configILj256ELj13ELNS0_17block_load_methodE3ELS4_3ELS4_3ELNS0_20block_scan_algorithmE0ELj4294967295EEENS1_25partition_config_selectorILNS1_17partition_subalgoE4EjNS0_10empty_typeEbEEZZNS1_14partition_implILS8_4ELb0ES6_15HIP_vector_typeIjLj2EENS0_17counting_iteratorIjlEEPS9_SG_NS0_5tupleIJPjSI_NS0_16reverse_iteratorISI_EEEEENSH_IJSG_SG_SG_EEES9_SI_JZNS1_25segmented_radix_sort_implINS0_14default_configELb0EPK12hip_bfloat16PSP_PKlPlN2at6native12_GLOBAL__N_18offset_tEEE10hipError_tPvRmT1_PNSt15iterator_traitsIS13_E10value_typeET2_T3_PNS14_IS19_E10value_typeET4_jRbjT5_S1F_jjP12ihipStream_tbEUljE_ZNSN_ISO_Lb0ESR_SS_SU_SV_SZ_EES10_S11_S12_S13_S17_S18_S19_S1C_S1D_jS1E_jS1F_S1F_jjS1H_bEUljE0_EEES10_S11_S12_S19_S1D_S1F_T6_T7_T9_mT8_S1H_bDpT10_ENKUlT_T0_E_clISt17integral_constantIbLb1EES1V_EEDaS1Q_S1R_EUlS1Q_E_NS1_11comp_targetILNS1_3genE5ELNS1_11target_archE942ELNS1_3gpuE9ELNS1_3repE0EEENS1_30default_config_static_selectorELNS0_4arch9wavefront6targetE0EEEvS13_,comdat
	.globl	_ZN7rocprim17ROCPRIM_400000_NS6detail17trampoline_kernelINS0_13select_configILj256ELj13ELNS0_17block_load_methodE3ELS4_3ELS4_3ELNS0_20block_scan_algorithmE0ELj4294967295EEENS1_25partition_config_selectorILNS1_17partition_subalgoE4EjNS0_10empty_typeEbEEZZNS1_14partition_implILS8_4ELb0ES6_15HIP_vector_typeIjLj2EENS0_17counting_iteratorIjlEEPS9_SG_NS0_5tupleIJPjSI_NS0_16reverse_iteratorISI_EEEEENSH_IJSG_SG_SG_EEES9_SI_JZNS1_25segmented_radix_sort_implINS0_14default_configELb0EPK12hip_bfloat16PSP_PKlPlN2at6native12_GLOBAL__N_18offset_tEEE10hipError_tPvRmT1_PNSt15iterator_traitsIS13_E10value_typeET2_T3_PNS14_IS19_E10value_typeET4_jRbjT5_S1F_jjP12ihipStream_tbEUljE_ZNSN_ISO_Lb0ESR_SS_SU_SV_SZ_EES10_S11_S12_S13_S17_S18_S19_S1C_S1D_jS1E_jS1F_S1F_jjS1H_bEUljE0_EEES10_S11_S12_S19_S1D_S1F_T6_T7_T9_mT8_S1H_bDpT10_ENKUlT_T0_E_clISt17integral_constantIbLb1EES1V_EEDaS1Q_S1R_EUlS1Q_E_NS1_11comp_targetILNS1_3genE5ELNS1_11target_archE942ELNS1_3gpuE9ELNS1_3repE0EEENS1_30default_config_static_selectorELNS0_4arch9wavefront6targetE0EEEvS13_ ; -- Begin function _ZN7rocprim17ROCPRIM_400000_NS6detail17trampoline_kernelINS0_13select_configILj256ELj13ELNS0_17block_load_methodE3ELS4_3ELS4_3ELNS0_20block_scan_algorithmE0ELj4294967295EEENS1_25partition_config_selectorILNS1_17partition_subalgoE4EjNS0_10empty_typeEbEEZZNS1_14partition_implILS8_4ELb0ES6_15HIP_vector_typeIjLj2EENS0_17counting_iteratorIjlEEPS9_SG_NS0_5tupleIJPjSI_NS0_16reverse_iteratorISI_EEEEENSH_IJSG_SG_SG_EEES9_SI_JZNS1_25segmented_radix_sort_implINS0_14default_configELb0EPK12hip_bfloat16PSP_PKlPlN2at6native12_GLOBAL__N_18offset_tEEE10hipError_tPvRmT1_PNSt15iterator_traitsIS13_E10value_typeET2_T3_PNS14_IS19_E10value_typeET4_jRbjT5_S1F_jjP12ihipStream_tbEUljE_ZNSN_ISO_Lb0ESR_SS_SU_SV_SZ_EES10_S11_S12_S13_S17_S18_S19_S1C_S1D_jS1E_jS1F_S1F_jjS1H_bEUljE0_EEES10_S11_S12_S19_S1D_S1F_T6_T7_T9_mT8_S1H_bDpT10_ENKUlT_T0_E_clISt17integral_constantIbLb1EES1V_EEDaS1Q_S1R_EUlS1Q_E_NS1_11comp_targetILNS1_3genE5ELNS1_11target_archE942ELNS1_3gpuE9ELNS1_3repE0EEENS1_30default_config_static_selectorELNS0_4arch9wavefront6targetE0EEEvS13_
	.p2align	8
	.type	_ZN7rocprim17ROCPRIM_400000_NS6detail17trampoline_kernelINS0_13select_configILj256ELj13ELNS0_17block_load_methodE3ELS4_3ELS4_3ELNS0_20block_scan_algorithmE0ELj4294967295EEENS1_25partition_config_selectorILNS1_17partition_subalgoE4EjNS0_10empty_typeEbEEZZNS1_14partition_implILS8_4ELb0ES6_15HIP_vector_typeIjLj2EENS0_17counting_iteratorIjlEEPS9_SG_NS0_5tupleIJPjSI_NS0_16reverse_iteratorISI_EEEEENSH_IJSG_SG_SG_EEES9_SI_JZNS1_25segmented_radix_sort_implINS0_14default_configELb0EPK12hip_bfloat16PSP_PKlPlN2at6native12_GLOBAL__N_18offset_tEEE10hipError_tPvRmT1_PNSt15iterator_traitsIS13_E10value_typeET2_T3_PNS14_IS19_E10value_typeET4_jRbjT5_S1F_jjP12ihipStream_tbEUljE_ZNSN_ISO_Lb0ESR_SS_SU_SV_SZ_EES10_S11_S12_S13_S17_S18_S19_S1C_S1D_jS1E_jS1F_S1F_jjS1H_bEUljE0_EEES10_S11_S12_S19_S1D_S1F_T6_T7_T9_mT8_S1H_bDpT10_ENKUlT_T0_E_clISt17integral_constantIbLb1EES1V_EEDaS1Q_S1R_EUlS1Q_E_NS1_11comp_targetILNS1_3genE5ELNS1_11target_archE942ELNS1_3gpuE9ELNS1_3repE0EEENS1_30default_config_static_selectorELNS0_4arch9wavefront6targetE0EEEvS13_,@function
_ZN7rocprim17ROCPRIM_400000_NS6detail17trampoline_kernelINS0_13select_configILj256ELj13ELNS0_17block_load_methodE3ELS4_3ELS4_3ELNS0_20block_scan_algorithmE0ELj4294967295EEENS1_25partition_config_selectorILNS1_17partition_subalgoE4EjNS0_10empty_typeEbEEZZNS1_14partition_implILS8_4ELb0ES6_15HIP_vector_typeIjLj2EENS0_17counting_iteratorIjlEEPS9_SG_NS0_5tupleIJPjSI_NS0_16reverse_iteratorISI_EEEEENSH_IJSG_SG_SG_EEES9_SI_JZNS1_25segmented_radix_sort_implINS0_14default_configELb0EPK12hip_bfloat16PSP_PKlPlN2at6native12_GLOBAL__N_18offset_tEEE10hipError_tPvRmT1_PNSt15iterator_traitsIS13_E10value_typeET2_T3_PNS14_IS19_E10value_typeET4_jRbjT5_S1F_jjP12ihipStream_tbEUljE_ZNSN_ISO_Lb0ESR_SS_SU_SV_SZ_EES10_S11_S12_S13_S17_S18_S19_S1C_S1D_jS1E_jS1F_S1F_jjS1H_bEUljE0_EEES10_S11_S12_S19_S1D_S1F_T6_T7_T9_mT8_S1H_bDpT10_ENKUlT_T0_E_clISt17integral_constantIbLb1EES1V_EEDaS1Q_S1R_EUlS1Q_E_NS1_11comp_targetILNS1_3genE5ELNS1_11target_archE942ELNS1_3gpuE9ELNS1_3repE0EEENS1_30default_config_static_selectorELNS0_4arch9wavefront6targetE0EEEvS13_: ; @_ZN7rocprim17ROCPRIM_400000_NS6detail17trampoline_kernelINS0_13select_configILj256ELj13ELNS0_17block_load_methodE3ELS4_3ELS4_3ELNS0_20block_scan_algorithmE0ELj4294967295EEENS1_25partition_config_selectorILNS1_17partition_subalgoE4EjNS0_10empty_typeEbEEZZNS1_14partition_implILS8_4ELb0ES6_15HIP_vector_typeIjLj2EENS0_17counting_iteratorIjlEEPS9_SG_NS0_5tupleIJPjSI_NS0_16reverse_iteratorISI_EEEEENSH_IJSG_SG_SG_EEES9_SI_JZNS1_25segmented_radix_sort_implINS0_14default_configELb0EPK12hip_bfloat16PSP_PKlPlN2at6native12_GLOBAL__N_18offset_tEEE10hipError_tPvRmT1_PNSt15iterator_traitsIS13_E10value_typeET2_T3_PNS14_IS19_E10value_typeET4_jRbjT5_S1F_jjP12ihipStream_tbEUljE_ZNSN_ISO_Lb0ESR_SS_SU_SV_SZ_EES10_S11_S12_S13_S17_S18_S19_S1C_S1D_jS1E_jS1F_S1F_jjS1H_bEUljE0_EEES10_S11_S12_S19_S1D_S1F_T6_T7_T9_mT8_S1H_bDpT10_ENKUlT_T0_E_clISt17integral_constantIbLb1EES1V_EEDaS1Q_S1R_EUlS1Q_E_NS1_11comp_targetILNS1_3genE5ELNS1_11target_archE942ELNS1_3gpuE9ELNS1_3repE0EEENS1_30default_config_static_selectorELNS0_4arch9wavefront6targetE0EEEvS13_
; %bb.0:
	.section	.rodata,"a",@progbits
	.p2align	6, 0x0
	.amdhsa_kernel _ZN7rocprim17ROCPRIM_400000_NS6detail17trampoline_kernelINS0_13select_configILj256ELj13ELNS0_17block_load_methodE3ELS4_3ELS4_3ELNS0_20block_scan_algorithmE0ELj4294967295EEENS1_25partition_config_selectorILNS1_17partition_subalgoE4EjNS0_10empty_typeEbEEZZNS1_14partition_implILS8_4ELb0ES6_15HIP_vector_typeIjLj2EENS0_17counting_iteratorIjlEEPS9_SG_NS0_5tupleIJPjSI_NS0_16reverse_iteratorISI_EEEEENSH_IJSG_SG_SG_EEES9_SI_JZNS1_25segmented_radix_sort_implINS0_14default_configELb0EPK12hip_bfloat16PSP_PKlPlN2at6native12_GLOBAL__N_18offset_tEEE10hipError_tPvRmT1_PNSt15iterator_traitsIS13_E10value_typeET2_T3_PNS14_IS19_E10value_typeET4_jRbjT5_S1F_jjP12ihipStream_tbEUljE_ZNSN_ISO_Lb0ESR_SS_SU_SV_SZ_EES10_S11_S12_S13_S17_S18_S19_S1C_S1D_jS1E_jS1F_S1F_jjS1H_bEUljE0_EEES10_S11_S12_S19_S1D_S1F_T6_T7_T9_mT8_S1H_bDpT10_ENKUlT_T0_E_clISt17integral_constantIbLb1EES1V_EEDaS1Q_S1R_EUlS1Q_E_NS1_11comp_targetILNS1_3genE5ELNS1_11target_archE942ELNS1_3gpuE9ELNS1_3repE0EEENS1_30default_config_static_selectorELNS0_4arch9wavefront6targetE0EEEvS13_
		.amdhsa_group_segment_fixed_size 0
		.amdhsa_private_segment_fixed_size 0
		.amdhsa_kernarg_size 184
		.amdhsa_user_sgpr_count 2
		.amdhsa_user_sgpr_dispatch_ptr 0
		.amdhsa_user_sgpr_queue_ptr 0
		.amdhsa_user_sgpr_kernarg_segment_ptr 1
		.amdhsa_user_sgpr_dispatch_id 0
		.amdhsa_user_sgpr_private_segment_size 0
		.amdhsa_wavefront_size32 1
		.amdhsa_uses_dynamic_stack 0
		.amdhsa_enable_private_segment 0
		.amdhsa_system_sgpr_workgroup_id_x 1
		.amdhsa_system_sgpr_workgroup_id_y 0
		.amdhsa_system_sgpr_workgroup_id_z 0
		.amdhsa_system_sgpr_workgroup_info 0
		.amdhsa_system_vgpr_workitem_id 0
		.amdhsa_next_free_vgpr 1
		.amdhsa_next_free_sgpr 1
		.amdhsa_reserve_vcc 0
		.amdhsa_float_round_mode_32 0
		.amdhsa_float_round_mode_16_64 0
		.amdhsa_float_denorm_mode_32 3
		.amdhsa_float_denorm_mode_16_64 3
		.amdhsa_fp16_overflow 0
		.amdhsa_workgroup_processor_mode 1
		.amdhsa_memory_ordered 1
		.amdhsa_forward_progress 1
		.amdhsa_inst_pref_size 0
		.amdhsa_round_robin_scheduling 0
		.amdhsa_exception_fp_ieee_invalid_op 0
		.amdhsa_exception_fp_denorm_src 0
		.amdhsa_exception_fp_ieee_div_zero 0
		.amdhsa_exception_fp_ieee_overflow 0
		.amdhsa_exception_fp_ieee_underflow 0
		.amdhsa_exception_fp_ieee_inexact 0
		.amdhsa_exception_int_div_zero 0
	.end_amdhsa_kernel
	.section	.text._ZN7rocprim17ROCPRIM_400000_NS6detail17trampoline_kernelINS0_13select_configILj256ELj13ELNS0_17block_load_methodE3ELS4_3ELS4_3ELNS0_20block_scan_algorithmE0ELj4294967295EEENS1_25partition_config_selectorILNS1_17partition_subalgoE4EjNS0_10empty_typeEbEEZZNS1_14partition_implILS8_4ELb0ES6_15HIP_vector_typeIjLj2EENS0_17counting_iteratorIjlEEPS9_SG_NS0_5tupleIJPjSI_NS0_16reverse_iteratorISI_EEEEENSH_IJSG_SG_SG_EEES9_SI_JZNS1_25segmented_radix_sort_implINS0_14default_configELb0EPK12hip_bfloat16PSP_PKlPlN2at6native12_GLOBAL__N_18offset_tEEE10hipError_tPvRmT1_PNSt15iterator_traitsIS13_E10value_typeET2_T3_PNS14_IS19_E10value_typeET4_jRbjT5_S1F_jjP12ihipStream_tbEUljE_ZNSN_ISO_Lb0ESR_SS_SU_SV_SZ_EES10_S11_S12_S13_S17_S18_S19_S1C_S1D_jS1E_jS1F_S1F_jjS1H_bEUljE0_EEES10_S11_S12_S19_S1D_S1F_T6_T7_T9_mT8_S1H_bDpT10_ENKUlT_T0_E_clISt17integral_constantIbLb1EES1V_EEDaS1Q_S1R_EUlS1Q_E_NS1_11comp_targetILNS1_3genE5ELNS1_11target_archE942ELNS1_3gpuE9ELNS1_3repE0EEENS1_30default_config_static_selectorELNS0_4arch9wavefront6targetE0EEEvS13_,"axG",@progbits,_ZN7rocprim17ROCPRIM_400000_NS6detail17trampoline_kernelINS0_13select_configILj256ELj13ELNS0_17block_load_methodE3ELS4_3ELS4_3ELNS0_20block_scan_algorithmE0ELj4294967295EEENS1_25partition_config_selectorILNS1_17partition_subalgoE4EjNS0_10empty_typeEbEEZZNS1_14partition_implILS8_4ELb0ES6_15HIP_vector_typeIjLj2EENS0_17counting_iteratorIjlEEPS9_SG_NS0_5tupleIJPjSI_NS0_16reverse_iteratorISI_EEEEENSH_IJSG_SG_SG_EEES9_SI_JZNS1_25segmented_radix_sort_implINS0_14default_configELb0EPK12hip_bfloat16PSP_PKlPlN2at6native12_GLOBAL__N_18offset_tEEE10hipError_tPvRmT1_PNSt15iterator_traitsIS13_E10value_typeET2_T3_PNS14_IS19_E10value_typeET4_jRbjT5_S1F_jjP12ihipStream_tbEUljE_ZNSN_ISO_Lb0ESR_SS_SU_SV_SZ_EES10_S11_S12_S13_S17_S18_S19_S1C_S1D_jS1E_jS1F_S1F_jjS1H_bEUljE0_EEES10_S11_S12_S19_S1D_S1F_T6_T7_T9_mT8_S1H_bDpT10_ENKUlT_T0_E_clISt17integral_constantIbLb1EES1V_EEDaS1Q_S1R_EUlS1Q_E_NS1_11comp_targetILNS1_3genE5ELNS1_11target_archE942ELNS1_3gpuE9ELNS1_3repE0EEENS1_30default_config_static_selectorELNS0_4arch9wavefront6targetE0EEEvS13_,comdat
.Lfunc_end1994:
	.size	_ZN7rocprim17ROCPRIM_400000_NS6detail17trampoline_kernelINS0_13select_configILj256ELj13ELNS0_17block_load_methodE3ELS4_3ELS4_3ELNS0_20block_scan_algorithmE0ELj4294967295EEENS1_25partition_config_selectorILNS1_17partition_subalgoE4EjNS0_10empty_typeEbEEZZNS1_14partition_implILS8_4ELb0ES6_15HIP_vector_typeIjLj2EENS0_17counting_iteratorIjlEEPS9_SG_NS0_5tupleIJPjSI_NS0_16reverse_iteratorISI_EEEEENSH_IJSG_SG_SG_EEES9_SI_JZNS1_25segmented_radix_sort_implINS0_14default_configELb0EPK12hip_bfloat16PSP_PKlPlN2at6native12_GLOBAL__N_18offset_tEEE10hipError_tPvRmT1_PNSt15iterator_traitsIS13_E10value_typeET2_T3_PNS14_IS19_E10value_typeET4_jRbjT5_S1F_jjP12ihipStream_tbEUljE_ZNSN_ISO_Lb0ESR_SS_SU_SV_SZ_EES10_S11_S12_S13_S17_S18_S19_S1C_S1D_jS1E_jS1F_S1F_jjS1H_bEUljE0_EEES10_S11_S12_S19_S1D_S1F_T6_T7_T9_mT8_S1H_bDpT10_ENKUlT_T0_E_clISt17integral_constantIbLb1EES1V_EEDaS1Q_S1R_EUlS1Q_E_NS1_11comp_targetILNS1_3genE5ELNS1_11target_archE942ELNS1_3gpuE9ELNS1_3repE0EEENS1_30default_config_static_selectorELNS0_4arch9wavefront6targetE0EEEvS13_, .Lfunc_end1994-_ZN7rocprim17ROCPRIM_400000_NS6detail17trampoline_kernelINS0_13select_configILj256ELj13ELNS0_17block_load_methodE3ELS4_3ELS4_3ELNS0_20block_scan_algorithmE0ELj4294967295EEENS1_25partition_config_selectorILNS1_17partition_subalgoE4EjNS0_10empty_typeEbEEZZNS1_14partition_implILS8_4ELb0ES6_15HIP_vector_typeIjLj2EENS0_17counting_iteratorIjlEEPS9_SG_NS0_5tupleIJPjSI_NS0_16reverse_iteratorISI_EEEEENSH_IJSG_SG_SG_EEES9_SI_JZNS1_25segmented_radix_sort_implINS0_14default_configELb0EPK12hip_bfloat16PSP_PKlPlN2at6native12_GLOBAL__N_18offset_tEEE10hipError_tPvRmT1_PNSt15iterator_traitsIS13_E10value_typeET2_T3_PNS14_IS19_E10value_typeET4_jRbjT5_S1F_jjP12ihipStream_tbEUljE_ZNSN_ISO_Lb0ESR_SS_SU_SV_SZ_EES10_S11_S12_S13_S17_S18_S19_S1C_S1D_jS1E_jS1F_S1F_jjS1H_bEUljE0_EEES10_S11_S12_S19_S1D_S1F_T6_T7_T9_mT8_S1H_bDpT10_ENKUlT_T0_E_clISt17integral_constantIbLb1EES1V_EEDaS1Q_S1R_EUlS1Q_E_NS1_11comp_targetILNS1_3genE5ELNS1_11target_archE942ELNS1_3gpuE9ELNS1_3repE0EEENS1_30default_config_static_selectorELNS0_4arch9wavefront6targetE0EEEvS13_
                                        ; -- End function
	.set _ZN7rocprim17ROCPRIM_400000_NS6detail17trampoline_kernelINS0_13select_configILj256ELj13ELNS0_17block_load_methodE3ELS4_3ELS4_3ELNS0_20block_scan_algorithmE0ELj4294967295EEENS1_25partition_config_selectorILNS1_17partition_subalgoE4EjNS0_10empty_typeEbEEZZNS1_14partition_implILS8_4ELb0ES6_15HIP_vector_typeIjLj2EENS0_17counting_iteratorIjlEEPS9_SG_NS0_5tupleIJPjSI_NS0_16reverse_iteratorISI_EEEEENSH_IJSG_SG_SG_EEES9_SI_JZNS1_25segmented_radix_sort_implINS0_14default_configELb0EPK12hip_bfloat16PSP_PKlPlN2at6native12_GLOBAL__N_18offset_tEEE10hipError_tPvRmT1_PNSt15iterator_traitsIS13_E10value_typeET2_T3_PNS14_IS19_E10value_typeET4_jRbjT5_S1F_jjP12ihipStream_tbEUljE_ZNSN_ISO_Lb0ESR_SS_SU_SV_SZ_EES10_S11_S12_S13_S17_S18_S19_S1C_S1D_jS1E_jS1F_S1F_jjS1H_bEUljE0_EEES10_S11_S12_S19_S1D_S1F_T6_T7_T9_mT8_S1H_bDpT10_ENKUlT_T0_E_clISt17integral_constantIbLb1EES1V_EEDaS1Q_S1R_EUlS1Q_E_NS1_11comp_targetILNS1_3genE5ELNS1_11target_archE942ELNS1_3gpuE9ELNS1_3repE0EEENS1_30default_config_static_selectorELNS0_4arch9wavefront6targetE0EEEvS13_.num_vgpr, 0
	.set _ZN7rocprim17ROCPRIM_400000_NS6detail17trampoline_kernelINS0_13select_configILj256ELj13ELNS0_17block_load_methodE3ELS4_3ELS4_3ELNS0_20block_scan_algorithmE0ELj4294967295EEENS1_25partition_config_selectorILNS1_17partition_subalgoE4EjNS0_10empty_typeEbEEZZNS1_14partition_implILS8_4ELb0ES6_15HIP_vector_typeIjLj2EENS0_17counting_iteratorIjlEEPS9_SG_NS0_5tupleIJPjSI_NS0_16reverse_iteratorISI_EEEEENSH_IJSG_SG_SG_EEES9_SI_JZNS1_25segmented_radix_sort_implINS0_14default_configELb0EPK12hip_bfloat16PSP_PKlPlN2at6native12_GLOBAL__N_18offset_tEEE10hipError_tPvRmT1_PNSt15iterator_traitsIS13_E10value_typeET2_T3_PNS14_IS19_E10value_typeET4_jRbjT5_S1F_jjP12ihipStream_tbEUljE_ZNSN_ISO_Lb0ESR_SS_SU_SV_SZ_EES10_S11_S12_S13_S17_S18_S19_S1C_S1D_jS1E_jS1F_S1F_jjS1H_bEUljE0_EEES10_S11_S12_S19_S1D_S1F_T6_T7_T9_mT8_S1H_bDpT10_ENKUlT_T0_E_clISt17integral_constantIbLb1EES1V_EEDaS1Q_S1R_EUlS1Q_E_NS1_11comp_targetILNS1_3genE5ELNS1_11target_archE942ELNS1_3gpuE9ELNS1_3repE0EEENS1_30default_config_static_selectorELNS0_4arch9wavefront6targetE0EEEvS13_.num_agpr, 0
	.set _ZN7rocprim17ROCPRIM_400000_NS6detail17trampoline_kernelINS0_13select_configILj256ELj13ELNS0_17block_load_methodE3ELS4_3ELS4_3ELNS0_20block_scan_algorithmE0ELj4294967295EEENS1_25partition_config_selectorILNS1_17partition_subalgoE4EjNS0_10empty_typeEbEEZZNS1_14partition_implILS8_4ELb0ES6_15HIP_vector_typeIjLj2EENS0_17counting_iteratorIjlEEPS9_SG_NS0_5tupleIJPjSI_NS0_16reverse_iteratorISI_EEEEENSH_IJSG_SG_SG_EEES9_SI_JZNS1_25segmented_radix_sort_implINS0_14default_configELb0EPK12hip_bfloat16PSP_PKlPlN2at6native12_GLOBAL__N_18offset_tEEE10hipError_tPvRmT1_PNSt15iterator_traitsIS13_E10value_typeET2_T3_PNS14_IS19_E10value_typeET4_jRbjT5_S1F_jjP12ihipStream_tbEUljE_ZNSN_ISO_Lb0ESR_SS_SU_SV_SZ_EES10_S11_S12_S13_S17_S18_S19_S1C_S1D_jS1E_jS1F_S1F_jjS1H_bEUljE0_EEES10_S11_S12_S19_S1D_S1F_T6_T7_T9_mT8_S1H_bDpT10_ENKUlT_T0_E_clISt17integral_constantIbLb1EES1V_EEDaS1Q_S1R_EUlS1Q_E_NS1_11comp_targetILNS1_3genE5ELNS1_11target_archE942ELNS1_3gpuE9ELNS1_3repE0EEENS1_30default_config_static_selectorELNS0_4arch9wavefront6targetE0EEEvS13_.numbered_sgpr, 0
	.set _ZN7rocprim17ROCPRIM_400000_NS6detail17trampoline_kernelINS0_13select_configILj256ELj13ELNS0_17block_load_methodE3ELS4_3ELS4_3ELNS0_20block_scan_algorithmE0ELj4294967295EEENS1_25partition_config_selectorILNS1_17partition_subalgoE4EjNS0_10empty_typeEbEEZZNS1_14partition_implILS8_4ELb0ES6_15HIP_vector_typeIjLj2EENS0_17counting_iteratorIjlEEPS9_SG_NS0_5tupleIJPjSI_NS0_16reverse_iteratorISI_EEEEENSH_IJSG_SG_SG_EEES9_SI_JZNS1_25segmented_radix_sort_implINS0_14default_configELb0EPK12hip_bfloat16PSP_PKlPlN2at6native12_GLOBAL__N_18offset_tEEE10hipError_tPvRmT1_PNSt15iterator_traitsIS13_E10value_typeET2_T3_PNS14_IS19_E10value_typeET4_jRbjT5_S1F_jjP12ihipStream_tbEUljE_ZNSN_ISO_Lb0ESR_SS_SU_SV_SZ_EES10_S11_S12_S13_S17_S18_S19_S1C_S1D_jS1E_jS1F_S1F_jjS1H_bEUljE0_EEES10_S11_S12_S19_S1D_S1F_T6_T7_T9_mT8_S1H_bDpT10_ENKUlT_T0_E_clISt17integral_constantIbLb1EES1V_EEDaS1Q_S1R_EUlS1Q_E_NS1_11comp_targetILNS1_3genE5ELNS1_11target_archE942ELNS1_3gpuE9ELNS1_3repE0EEENS1_30default_config_static_selectorELNS0_4arch9wavefront6targetE0EEEvS13_.num_named_barrier, 0
	.set _ZN7rocprim17ROCPRIM_400000_NS6detail17trampoline_kernelINS0_13select_configILj256ELj13ELNS0_17block_load_methodE3ELS4_3ELS4_3ELNS0_20block_scan_algorithmE0ELj4294967295EEENS1_25partition_config_selectorILNS1_17partition_subalgoE4EjNS0_10empty_typeEbEEZZNS1_14partition_implILS8_4ELb0ES6_15HIP_vector_typeIjLj2EENS0_17counting_iteratorIjlEEPS9_SG_NS0_5tupleIJPjSI_NS0_16reverse_iteratorISI_EEEEENSH_IJSG_SG_SG_EEES9_SI_JZNS1_25segmented_radix_sort_implINS0_14default_configELb0EPK12hip_bfloat16PSP_PKlPlN2at6native12_GLOBAL__N_18offset_tEEE10hipError_tPvRmT1_PNSt15iterator_traitsIS13_E10value_typeET2_T3_PNS14_IS19_E10value_typeET4_jRbjT5_S1F_jjP12ihipStream_tbEUljE_ZNSN_ISO_Lb0ESR_SS_SU_SV_SZ_EES10_S11_S12_S13_S17_S18_S19_S1C_S1D_jS1E_jS1F_S1F_jjS1H_bEUljE0_EEES10_S11_S12_S19_S1D_S1F_T6_T7_T9_mT8_S1H_bDpT10_ENKUlT_T0_E_clISt17integral_constantIbLb1EES1V_EEDaS1Q_S1R_EUlS1Q_E_NS1_11comp_targetILNS1_3genE5ELNS1_11target_archE942ELNS1_3gpuE9ELNS1_3repE0EEENS1_30default_config_static_selectorELNS0_4arch9wavefront6targetE0EEEvS13_.private_seg_size, 0
	.set _ZN7rocprim17ROCPRIM_400000_NS6detail17trampoline_kernelINS0_13select_configILj256ELj13ELNS0_17block_load_methodE3ELS4_3ELS4_3ELNS0_20block_scan_algorithmE0ELj4294967295EEENS1_25partition_config_selectorILNS1_17partition_subalgoE4EjNS0_10empty_typeEbEEZZNS1_14partition_implILS8_4ELb0ES6_15HIP_vector_typeIjLj2EENS0_17counting_iteratorIjlEEPS9_SG_NS0_5tupleIJPjSI_NS0_16reverse_iteratorISI_EEEEENSH_IJSG_SG_SG_EEES9_SI_JZNS1_25segmented_radix_sort_implINS0_14default_configELb0EPK12hip_bfloat16PSP_PKlPlN2at6native12_GLOBAL__N_18offset_tEEE10hipError_tPvRmT1_PNSt15iterator_traitsIS13_E10value_typeET2_T3_PNS14_IS19_E10value_typeET4_jRbjT5_S1F_jjP12ihipStream_tbEUljE_ZNSN_ISO_Lb0ESR_SS_SU_SV_SZ_EES10_S11_S12_S13_S17_S18_S19_S1C_S1D_jS1E_jS1F_S1F_jjS1H_bEUljE0_EEES10_S11_S12_S19_S1D_S1F_T6_T7_T9_mT8_S1H_bDpT10_ENKUlT_T0_E_clISt17integral_constantIbLb1EES1V_EEDaS1Q_S1R_EUlS1Q_E_NS1_11comp_targetILNS1_3genE5ELNS1_11target_archE942ELNS1_3gpuE9ELNS1_3repE0EEENS1_30default_config_static_selectorELNS0_4arch9wavefront6targetE0EEEvS13_.uses_vcc, 0
	.set _ZN7rocprim17ROCPRIM_400000_NS6detail17trampoline_kernelINS0_13select_configILj256ELj13ELNS0_17block_load_methodE3ELS4_3ELS4_3ELNS0_20block_scan_algorithmE0ELj4294967295EEENS1_25partition_config_selectorILNS1_17partition_subalgoE4EjNS0_10empty_typeEbEEZZNS1_14partition_implILS8_4ELb0ES6_15HIP_vector_typeIjLj2EENS0_17counting_iteratorIjlEEPS9_SG_NS0_5tupleIJPjSI_NS0_16reverse_iteratorISI_EEEEENSH_IJSG_SG_SG_EEES9_SI_JZNS1_25segmented_radix_sort_implINS0_14default_configELb0EPK12hip_bfloat16PSP_PKlPlN2at6native12_GLOBAL__N_18offset_tEEE10hipError_tPvRmT1_PNSt15iterator_traitsIS13_E10value_typeET2_T3_PNS14_IS19_E10value_typeET4_jRbjT5_S1F_jjP12ihipStream_tbEUljE_ZNSN_ISO_Lb0ESR_SS_SU_SV_SZ_EES10_S11_S12_S13_S17_S18_S19_S1C_S1D_jS1E_jS1F_S1F_jjS1H_bEUljE0_EEES10_S11_S12_S19_S1D_S1F_T6_T7_T9_mT8_S1H_bDpT10_ENKUlT_T0_E_clISt17integral_constantIbLb1EES1V_EEDaS1Q_S1R_EUlS1Q_E_NS1_11comp_targetILNS1_3genE5ELNS1_11target_archE942ELNS1_3gpuE9ELNS1_3repE0EEENS1_30default_config_static_selectorELNS0_4arch9wavefront6targetE0EEEvS13_.uses_flat_scratch, 0
	.set _ZN7rocprim17ROCPRIM_400000_NS6detail17trampoline_kernelINS0_13select_configILj256ELj13ELNS0_17block_load_methodE3ELS4_3ELS4_3ELNS0_20block_scan_algorithmE0ELj4294967295EEENS1_25partition_config_selectorILNS1_17partition_subalgoE4EjNS0_10empty_typeEbEEZZNS1_14partition_implILS8_4ELb0ES6_15HIP_vector_typeIjLj2EENS0_17counting_iteratorIjlEEPS9_SG_NS0_5tupleIJPjSI_NS0_16reverse_iteratorISI_EEEEENSH_IJSG_SG_SG_EEES9_SI_JZNS1_25segmented_radix_sort_implINS0_14default_configELb0EPK12hip_bfloat16PSP_PKlPlN2at6native12_GLOBAL__N_18offset_tEEE10hipError_tPvRmT1_PNSt15iterator_traitsIS13_E10value_typeET2_T3_PNS14_IS19_E10value_typeET4_jRbjT5_S1F_jjP12ihipStream_tbEUljE_ZNSN_ISO_Lb0ESR_SS_SU_SV_SZ_EES10_S11_S12_S13_S17_S18_S19_S1C_S1D_jS1E_jS1F_S1F_jjS1H_bEUljE0_EEES10_S11_S12_S19_S1D_S1F_T6_T7_T9_mT8_S1H_bDpT10_ENKUlT_T0_E_clISt17integral_constantIbLb1EES1V_EEDaS1Q_S1R_EUlS1Q_E_NS1_11comp_targetILNS1_3genE5ELNS1_11target_archE942ELNS1_3gpuE9ELNS1_3repE0EEENS1_30default_config_static_selectorELNS0_4arch9wavefront6targetE0EEEvS13_.has_dyn_sized_stack, 0
	.set _ZN7rocprim17ROCPRIM_400000_NS6detail17trampoline_kernelINS0_13select_configILj256ELj13ELNS0_17block_load_methodE3ELS4_3ELS4_3ELNS0_20block_scan_algorithmE0ELj4294967295EEENS1_25partition_config_selectorILNS1_17partition_subalgoE4EjNS0_10empty_typeEbEEZZNS1_14partition_implILS8_4ELb0ES6_15HIP_vector_typeIjLj2EENS0_17counting_iteratorIjlEEPS9_SG_NS0_5tupleIJPjSI_NS0_16reverse_iteratorISI_EEEEENSH_IJSG_SG_SG_EEES9_SI_JZNS1_25segmented_radix_sort_implINS0_14default_configELb0EPK12hip_bfloat16PSP_PKlPlN2at6native12_GLOBAL__N_18offset_tEEE10hipError_tPvRmT1_PNSt15iterator_traitsIS13_E10value_typeET2_T3_PNS14_IS19_E10value_typeET4_jRbjT5_S1F_jjP12ihipStream_tbEUljE_ZNSN_ISO_Lb0ESR_SS_SU_SV_SZ_EES10_S11_S12_S13_S17_S18_S19_S1C_S1D_jS1E_jS1F_S1F_jjS1H_bEUljE0_EEES10_S11_S12_S19_S1D_S1F_T6_T7_T9_mT8_S1H_bDpT10_ENKUlT_T0_E_clISt17integral_constantIbLb1EES1V_EEDaS1Q_S1R_EUlS1Q_E_NS1_11comp_targetILNS1_3genE5ELNS1_11target_archE942ELNS1_3gpuE9ELNS1_3repE0EEENS1_30default_config_static_selectorELNS0_4arch9wavefront6targetE0EEEvS13_.has_recursion, 0
	.set _ZN7rocprim17ROCPRIM_400000_NS6detail17trampoline_kernelINS0_13select_configILj256ELj13ELNS0_17block_load_methodE3ELS4_3ELS4_3ELNS0_20block_scan_algorithmE0ELj4294967295EEENS1_25partition_config_selectorILNS1_17partition_subalgoE4EjNS0_10empty_typeEbEEZZNS1_14partition_implILS8_4ELb0ES6_15HIP_vector_typeIjLj2EENS0_17counting_iteratorIjlEEPS9_SG_NS0_5tupleIJPjSI_NS0_16reverse_iteratorISI_EEEEENSH_IJSG_SG_SG_EEES9_SI_JZNS1_25segmented_radix_sort_implINS0_14default_configELb0EPK12hip_bfloat16PSP_PKlPlN2at6native12_GLOBAL__N_18offset_tEEE10hipError_tPvRmT1_PNSt15iterator_traitsIS13_E10value_typeET2_T3_PNS14_IS19_E10value_typeET4_jRbjT5_S1F_jjP12ihipStream_tbEUljE_ZNSN_ISO_Lb0ESR_SS_SU_SV_SZ_EES10_S11_S12_S13_S17_S18_S19_S1C_S1D_jS1E_jS1F_S1F_jjS1H_bEUljE0_EEES10_S11_S12_S19_S1D_S1F_T6_T7_T9_mT8_S1H_bDpT10_ENKUlT_T0_E_clISt17integral_constantIbLb1EES1V_EEDaS1Q_S1R_EUlS1Q_E_NS1_11comp_targetILNS1_3genE5ELNS1_11target_archE942ELNS1_3gpuE9ELNS1_3repE0EEENS1_30default_config_static_selectorELNS0_4arch9wavefront6targetE0EEEvS13_.has_indirect_call, 0
	.section	.AMDGPU.csdata,"",@progbits
; Kernel info:
; codeLenInByte = 0
; TotalNumSgprs: 0
; NumVgprs: 0
; ScratchSize: 0
; MemoryBound: 0
; FloatMode: 240
; IeeeMode: 1
; LDSByteSize: 0 bytes/workgroup (compile time only)
; SGPRBlocks: 0
; VGPRBlocks: 0
; NumSGPRsForWavesPerEU: 1
; NumVGPRsForWavesPerEU: 1
; Occupancy: 16
; WaveLimiterHint : 0
; COMPUTE_PGM_RSRC2:SCRATCH_EN: 0
; COMPUTE_PGM_RSRC2:USER_SGPR: 2
; COMPUTE_PGM_RSRC2:TRAP_HANDLER: 0
; COMPUTE_PGM_RSRC2:TGID_X_EN: 1
; COMPUTE_PGM_RSRC2:TGID_Y_EN: 0
; COMPUTE_PGM_RSRC2:TGID_Z_EN: 0
; COMPUTE_PGM_RSRC2:TIDIG_COMP_CNT: 0
	.section	.text._ZN7rocprim17ROCPRIM_400000_NS6detail17trampoline_kernelINS0_13select_configILj256ELj13ELNS0_17block_load_methodE3ELS4_3ELS4_3ELNS0_20block_scan_algorithmE0ELj4294967295EEENS1_25partition_config_selectorILNS1_17partition_subalgoE4EjNS0_10empty_typeEbEEZZNS1_14partition_implILS8_4ELb0ES6_15HIP_vector_typeIjLj2EENS0_17counting_iteratorIjlEEPS9_SG_NS0_5tupleIJPjSI_NS0_16reverse_iteratorISI_EEEEENSH_IJSG_SG_SG_EEES9_SI_JZNS1_25segmented_radix_sort_implINS0_14default_configELb0EPK12hip_bfloat16PSP_PKlPlN2at6native12_GLOBAL__N_18offset_tEEE10hipError_tPvRmT1_PNSt15iterator_traitsIS13_E10value_typeET2_T3_PNS14_IS19_E10value_typeET4_jRbjT5_S1F_jjP12ihipStream_tbEUljE_ZNSN_ISO_Lb0ESR_SS_SU_SV_SZ_EES10_S11_S12_S13_S17_S18_S19_S1C_S1D_jS1E_jS1F_S1F_jjS1H_bEUljE0_EEES10_S11_S12_S19_S1D_S1F_T6_T7_T9_mT8_S1H_bDpT10_ENKUlT_T0_E_clISt17integral_constantIbLb1EES1V_EEDaS1Q_S1R_EUlS1Q_E_NS1_11comp_targetILNS1_3genE4ELNS1_11target_archE910ELNS1_3gpuE8ELNS1_3repE0EEENS1_30default_config_static_selectorELNS0_4arch9wavefront6targetE0EEEvS13_,"axG",@progbits,_ZN7rocprim17ROCPRIM_400000_NS6detail17trampoline_kernelINS0_13select_configILj256ELj13ELNS0_17block_load_methodE3ELS4_3ELS4_3ELNS0_20block_scan_algorithmE0ELj4294967295EEENS1_25partition_config_selectorILNS1_17partition_subalgoE4EjNS0_10empty_typeEbEEZZNS1_14partition_implILS8_4ELb0ES6_15HIP_vector_typeIjLj2EENS0_17counting_iteratorIjlEEPS9_SG_NS0_5tupleIJPjSI_NS0_16reverse_iteratorISI_EEEEENSH_IJSG_SG_SG_EEES9_SI_JZNS1_25segmented_radix_sort_implINS0_14default_configELb0EPK12hip_bfloat16PSP_PKlPlN2at6native12_GLOBAL__N_18offset_tEEE10hipError_tPvRmT1_PNSt15iterator_traitsIS13_E10value_typeET2_T3_PNS14_IS19_E10value_typeET4_jRbjT5_S1F_jjP12ihipStream_tbEUljE_ZNSN_ISO_Lb0ESR_SS_SU_SV_SZ_EES10_S11_S12_S13_S17_S18_S19_S1C_S1D_jS1E_jS1F_S1F_jjS1H_bEUljE0_EEES10_S11_S12_S19_S1D_S1F_T6_T7_T9_mT8_S1H_bDpT10_ENKUlT_T0_E_clISt17integral_constantIbLb1EES1V_EEDaS1Q_S1R_EUlS1Q_E_NS1_11comp_targetILNS1_3genE4ELNS1_11target_archE910ELNS1_3gpuE8ELNS1_3repE0EEENS1_30default_config_static_selectorELNS0_4arch9wavefront6targetE0EEEvS13_,comdat
	.globl	_ZN7rocprim17ROCPRIM_400000_NS6detail17trampoline_kernelINS0_13select_configILj256ELj13ELNS0_17block_load_methodE3ELS4_3ELS4_3ELNS0_20block_scan_algorithmE0ELj4294967295EEENS1_25partition_config_selectorILNS1_17partition_subalgoE4EjNS0_10empty_typeEbEEZZNS1_14partition_implILS8_4ELb0ES6_15HIP_vector_typeIjLj2EENS0_17counting_iteratorIjlEEPS9_SG_NS0_5tupleIJPjSI_NS0_16reverse_iteratorISI_EEEEENSH_IJSG_SG_SG_EEES9_SI_JZNS1_25segmented_radix_sort_implINS0_14default_configELb0EPK12hip_bfloat16PSP_PKlPlN2at6native12_GLOBAL__N_18offset_tEEE10hipError_tPvRmT1_PNSt15iterator_traitsIS13_E10value_typeET2_T3_PNS14_IS19_E10value_typeET4_jRbjT5_S1F_jjP12ihipStream_tbEUljE_ZNSN_ISO_Lb0ESR_SS_SU_SV_SZ_EES10_S11_S12_S13_S17_S18_S19_S1C_S1D_jS1E_jS1F_S1F_jjS1H_bEUljE0_EEES10_S11_S12_S19_S1D_S1F_T6_T7_T9_mT8_S1H_bDpT10_ENKUlT_T0_E_clISt17integral_constantIbLb1EES1V_EEDaS1Q_S1R_EUlS1Q_E_NS1_11comp_targetILNS1_3genE4ELNS1_11target_archE910ELNS1_3gpuE8ELNS1_3repE0EEENS1_30default_config_static_selectorELNS0_4arch9wavefront6targetE0EEEvS13_ ; -- Begin function _ZN7rocprim17ROCPRIM_400000_NS6detail17trampoline_kernelINS0_13select_configILj256ELj13ELNS0_17block_load_methodE3ELS4_3ELS4_3ELNS0_20block_scan_algorithmE0ELj4294967295EEENS1_25partition_config_selectorILNS1_17partition_subalgoE4EjNS0_10empty_typeEbEEZZNS1_14partition_implILS8_4ELb0ES6_15HIP_vector_typeIjLj2EENS0_17counting_iteratorIjlEEPS9_SG_NS0_5tupleIJPjSI_NS0_16reverse_iteratorISI_EEEEENSH_IJSG_SG_SG_EEES9_SI_JZNS1_25segmented_radix_sort_implINS0_14default_configELb0EPK12hip_bfloat16PSP_PKlPlN2at6native12_GLOBAL__N_18offset_tEEE10hipError_tPvRmT1_PNSt15iterator_traitsIS13_E10value_typeET2_T3_PNS14_IS19_E10value_typeET4_jRbjT5_S1F_jjP12ihipStream_tbEUljE_ZNSN_ISO_Lb0ESR_SS_SU_SV_SZ_EES10_S11_S12_S13_S17_S18_S19_S1C_S1D_jS1E_jS1F_S1F_jjS1H_bEUljE0_EEES10_S11_S12_S19_S1D_S1F_T6_T7_T9_mT8_S1H_bDpT10_ENKUlT_T0_E_clISt17integral_constantIbLb1EES1V_EEDaS1Q_S1R_EUlS1Q_E_NS1_11comp_targetILNS1_3genE4ELNS1_11target_archE910ELNS1_3gpuE8ELNS1_3repE0EEENS1_30default_config_static_selectorELNS0_4arch9wavefront6targetE0EEEvS13_
	.p2align	8
	.type	_ZN7rocprim17ROCPRIM_400000_NS6detail17trampoline_kernelINS0_13select_configILj256ELj13ELNS0_17block_load_methodE3ELS4_3ELS4_3ELNS0_20block_scan_algorithmE0ELj4294967295EEENS1_25partition_config_selectorILNS1_17partition_subalgoE4EjNS0_10empty_typeEbEEZZNS1_14partition_implILS8_4ELb0ES6_15HIP_vector_typeIjLj2EENS0_17counting_iteratorIjlEEPS9_SG_NS0_5tupleIJPjSI_NS0_16reverse_iteratorISI_EEEEENSH_IJSG_SG_SG_EEES9_SI_JZNS1_25segmented_radix_sort_implINS0_14default_configELb0EPK12hip_bfloat16PSP_PKlPlN2at6native12_GLOBAL__N_18offset_tEEE10hipError_tPvRmT1_PNSt15iterator_traitsIS13_E10value_typeET2_T3_PNS14_IS19_E10value_typeET4_jRbjT5_S1F_jjP12ihipStream_tbEUljE_ZNSN_ISO_Lb0ESR_SS_SU_SV_SZ_EES10_S11_S12_S13_S17_S18_S19_S1C_S1D_jS1E_jS1F_S1F_jjS1H_bEUljE0_EEES10_S11_S12_S19_S1D_S1F_T6_T7_T9_mT8_S1H_bDpT10_ENKUlT_T0_E_clISt17integral_constantIbLb1EES1V_EEDaS1Q_S1R_EUlS1Q_E_NS1_11comp_targetILNS1_3genE4ELNS1_11target_archE910ELNS1_3gpuE8ELNS1_3repE0EEENS1_30default_config_static_selectorELNS0_4arch9wavefront6targetE0EEEvS13_,@function
_ZN7rocprim17ROCPRIM_400000_NS6detail17trampoline_kernelINS0_13select_configILj256ELj13ELNS0_17block_load_methodE3ELS4_3ELS4_3ELNS0_20block_scan_algorithmE0ELj4294967295EEENS1_25partition_config_selectorILNS1_17partition_subalgoE4EjNS0_10empty_typeEbEEZZNS1_14partition_implILS8_4ELb0ES6_15HIP_vector_typeIjLj2EENS0_17counting_iteratorIjlEEPS9_SG_NS0_5tupleIJPjSI_NS0_16reverse_iteratorISI_EEEEENSH_IJSG_SG_SG_EEES9_SI_JZNS1_25segmented_radix_sort_implINS0_14default_configELb0EPK12hip_bfloat16PSP_PKlPlN2at6native12_GLOBAL__N_18offset_tEEE10hipError_tPvRmT1_PNSt15iterator_traitsIS13_E10value_typeET2_T3_PNS14_IS19_E10value_typeET4_jRbjT5_S1F_jjP12ihipStream_tbEUljE_ZNSN_ISO_Lb0ESR_SS_SU_SV_SZ_EES10_S11_S12_S13_S17_S18_S19_S1C_S1D_jS1E_jS1F_S1F_jjS1H_bEUljE0_EEES10_S11_S12_S19_S1D_S1F_T6_T7_T9_mT8_S1H_bDpT10_ENKUlT_T0_E_clISt17integral_constantIbLb1EES1V_EEDaS1Q_S1R_EUlS1Q_E_NS1_11comp_targetILNS1_3genE4ELNS1_11target_archE910ELNS1_3gpuE8ELNS1_3repE0EEENS1_30default_config_static_selectorELNS0_4arch9wavefront6targetE0EEEvS13_: ; @_ZN7rocprim17ROCPRIM_400000_NS6detail17trampoline_kernelINS0_13select_configILj256ELj13ELNS0_17block_load_methodE3ELS4_3ELS4_3ELNS0_20block_scan_algorithmE0ELj4294967295EEENS1_25partition_config_selectorILNS1_17partition_subalgoE4EjNS0_10empty_typeEbEEZZNS1_14partition_implILS8_4ELb0ES6_15HIP_vector_typeIjLj2EENS0_17counting_iteratorIjlEEPS9_SG_NS0_5tupleIJPjSI_NS0_16reverse_iteratorISI_EEEEENSH_IJSG_SG_SG_EEES9_SI_JZNS1_25segmented_radix_sort_implINS0_14default_configELb0EPK12hip_bfloat16PSP_PKlPlN2at6native12_GLOBAL__N_18offset_tEEE10hipError_tPvRmT1_PNSt15iterator_traitsIS13_E10value_typeET2_T3_PNS14_IS19_E10value_typeET4_jRbjT5_S1F_jjP12ihipStream_tbEUljE_ZNSN_ISO_Lb0ESR_SS_SU_SV_SZ_EES10_S11_S12_S13_S17_S18_S19_S1C_S1D_jS1E_jS1F_S1F_jjS1H_bEUljE0_EEES10_S11_S12_S19_S1D_S1F_T6_T7_T9_mT8_S1H_bDpT10_ENKUlT_T0_E_clISt17integral_constantIbLb1EES1V_EEDaS1Q_S1R_EUlS1Q_E_NS1_11comp_targetILNS1_3genE4ELNS1_11target_archE910ELNS1_3gpuE8ELNS1_3repE0EEENS1_30default_config_static_selectorELNS0_4arch9wavefront6targetE0EEEvS13_
; %bb.0:
	.section	.rodata,"a",@progbits
	.p2align	6, 0x0
	.amdhsa_kernel _ZN7rocprim17ROCPRIM_400000_NS6detail17trampoline_kernelINS0_13select_configILj256ELj13ELNS0_17block_load_methodE3ELS4_3ELS4_3ELNS0_20block_scan_algorithmE0ELj4294967295EEENS1_25partition_config_selectorILNS1_17partition_subalgoE4EjNS0_10empty_typeEbEEZZNS1_14partition_implILS8_4ELb0ES6_15HIP_vector_typeIjLj2EENS0_17counting_iteratorIjlEEPS9_SG_NS0_5tupleIJPjSI_NS0_16reverse_iteratorISI_EEEEENSH_IJSG_SG_SG_EEES9_SI_JZNS1_25segmented_radix_sort_implINS0_14default_configELb0EPK12hip_bfloat16PSP_PKlPlN2at6native12_GLOBAL__N_18offset_tEEE10hipError_tPvRmT1_PNSt15iterator_traitsIS13_E10value_typeET2_T3_PNS14_IS19_E10value_typeET4_jRbjT5_S1F_jjP12ihipStream_tbEUljE_ZNSN_ISO_Lb0ESR_SS_SU_SV_SZ_EES10_S11_S12_S13_S17_S18_S19_S1C_S1D_jS1E_jS1F_S1F_jjS1H_bEUljE0_EEES10_S11_S12_S19_S1D_S1F_T6_T7_T9_mT8_S1H_bDpT10_ENKUlT_T0_E_clISt17integral_constantIbLb1EES1V_EEDaS1Q_S1R_EUlS1Q_E_NS1_11comp_targetILNS1_3genE4ELNS1_11target_archE910ELNS1_3gpuE8ELNS1_3repE0EEENS1_30default_config_static_selectorELNS0_4arch9wavefront6targetE0EEEvS13_
		.amdhsa_group_segment_fixed_size 0
		.amdhsa_private_segment_fixed_size 0
		.amdhsa_kernarg_size 184
		.amdhsa_user_sgpr_count 2
		.amdhsa_user_sgpr_dispatch_ptr 0
		.amdhsa_user_sgpr_queue_ptr 0
		.amdhsa_user_sgpr_kernarg_segment_ptr 1
		.amdhsa_user_sgpr_dispatch_id 0
		.amdhsa_user_sgpr_private_segment_size 0
		.amdhsa_wavefront_size32 1
		.amdhsa_uses_dynamic_stack 0
		.amdhsa_enable_private_segment 0
		.amdhsa_system_sgpr_workgroup_id_x 1
		.amdhsa_system_sgpr_workgroup_id_y 0
		.amdhsa_system_sgpr_workgroup_id_z 0
		.amdhsa_system_sgpr_workgroup_info 0
		.amdhsa_system_vgpr_workitem_id 0
		.amdhsa_next_free_vgpr 1
		.amdhsa_next_free_sgpr 1
		.amdhsa_reserve_vcc 0
		.amdhsa_float_round_mode_32 0
		.amdhsa_float_round_mode_16_64 0
		.amdhsa_float_denorm_mode_32 3
		.amdhsa_float_denorm_mode_16_64 3
		.amdhsa_fp16_overflow 0
		.amdhsa_workgroup_processor_mode 1
		.amdhsa_memory_ordered 1
		.amdhsa_forward_progress 1
		.amdhsa_inst_pref_size 0
		.amdhsa_round_robin_scheduling 0
		.amdhsa_exception_fp_ieee_invalid_op 0
		.amdhsa_exception_fp_denorm_src 0
		.amdhsa_exception_fp_ieee_div_zero 0
		.amdhsa_exception_fp_ieee_overflow 0
		.amdhsa_exception_fp_ieee_underflow 0
		.amdhsa_exception_fp_ieee_inexact 0
		.amdhsa_exception_int_div_zero 0
	.end_amdhsa_kernel
	.section	.text._ZN7rocprim17ROCPRIM_400000_NS6detail17trampoline_kernelINS0_13select_configILj256ELj13ELNS0_17block_load_methodE3ELS4_3ELS4_3ELNS0_20block_scan_algorithmE0ELj4294967295EEENS1_25partition_config_selectorILNS1_17partition_subalgoE4EjNS0_10empty_typeEbEEZZNS1_14partition_implILS8_4ELb0ES6_15HIP_vector_typeIjLj2EENS0_17counting_iteratorIjlEEPS9_SG_NS0_5tupleIJPjSI_NS0_16reverse_iteratorISI_EEEEENSH_IJSG_SG_SG_EEES9_SI_JZNS1_25segmented_radix_sort_implINS0_14default_configELb0EPK12hip_bfloat16PSP_PKlPlN2at6native12_GLOBAL__N_18offset_tEEE10hipError_tPvRmT1_PNSt15iterator_traitsIS13_E10value_typeET2_T3_PNS14_IS19_E10value_typeET4_jRbjT5_S1F_jjP12ihipStream_tbEUljE_ZNSN_ISO_Lb0ESR_SS_SU_SV_SZ_EES10_S11_S12_S13_S17_S18_S19_S1C_S1D_jS1E_jS1F_S1F_jjS1H_bEUljE0_EEES10_S11_S12_S19_S1D_S1F_T6_T7_T9_mT8_S1H_bDpT10_ENKUlT_T0_E_clISt17integral_constantIbLb1EES1V_EEDaS1Q_S1R_EUlS1Q_E_NS1_11comp_targetILNS1_3genE4ELNS1_11target_archE910ELNS1_3gpuE8ELNS1_3repE0EEENS1_30default_config_static_selectorELNS0_4arch9wavefront6targetE0EEEvS13_,"axG",@progbits,_ZN7rocprim17ROCPRIM_400000_NS6detail17trampoline_kernelINS0_13select_configILj256ELj13ELNS0_17block_load_methodE3ELS4_3ELS4_3ELNS0_20block_scan_algorithmE0ELj4294967295EEENS1_25partition_config_selectorILNS1_17partition_subalgoE4EjNS0_10empty_typeEbEEZZNS1_14partition_implILS8_4ELb0ES6_15HIP_vector_typeIjLj2EENS0_17counting_iteratorIjlEEPS9_SG_NS0_5tupleIJPjSI_NS0_16reverse_iteratorISI_EEEEENSH_IJSG_SG_SG_EEES9_SI_JZNS1_25segmented_radix_sort_implINS0_14default_configELb0EPK12hip_bfloat16PSP_PKlPlN2at6native12_GLOBAL__N_18offset_tEEE10hipError_tPvRmT1_PNSt15iterator_traitsIS13_E10value_typeET2_T3_PNS14_IS19_E10value_typeET4_jRbjT5_S1F_jjP12ihipStream_tbEUljE_ZNSN_ISO_Lb0ESR_SS_SU_SV_SZ_EES10_S11_S12_S13_S17_S18_S19_S1C_S1D_jS1E_jS1F_S1F_jjS1H_bEUljE0_EEES10_S11_S12_S19_S1D_S1F_T6_T7_T9_mT8_S1H_bDpT10_ENKUlT_T0_E_clISt17integral_constantIbLb1EES1V_EEDaS1Q_S1R_EUlS1Q_E_NS1_11comp_targetILNS1_3genE4ELNS1_11target_archE910ELNS1_3gpuE8ELNS1_3repE0EEENS1_30default_config_static_selectorELNS0_4arch9wavefront6targetE0EEEvS13_,comdat
.Lfunc_end1995:
	.size	_ZN7rocprim17ROCPRIM_400000_NS6detail17trampoline_kernelINS0_13select_configILj256ELj13ELNS0_17block_load_methodE3ELS4_3ELS4_3ELNS0_20block_scan_algorithmE0ELj4294967295EEENS1_25partition_config_selectorILNS1_17partition_subalgoE4EjNS0_10empty_typeEbEEZZNS1_14partition_implILS8_4ELb0ES6_15HIP_vector_typeIjLj2EENS0_17counting_iteratorIjlEEPS9_SG_NS0_5tupleIJPjSI_NS0_16reverse_iteratorISI_EEEEENSH_IJSG_SG_SG_EEES9_SI_JZNS1_25segmented_radix_sort_implINS0_14default_configELb0EPK12hip_bfloat16PSP_PKlPlN2at6native12_GLOBAL__N_18offset_tEEE10hipError_tPvRmT1_PNSt15iterator_traitsIS13_E10value_typeET2_T3_PNS14_IS19_E10value_typeET4_jRbjT5_S1F_jjP12ihipStream_tbEUljE_ZNSN_ISO_Lb0ESR_SS_SU_SV_SZ_EES10_S11_S12_S13_S17_S18_S19_S1C_S1D_jS1E_jS1F_S1F_jjS1H_bEUljE0_EEES10_S11_S12_S19_S1D_S1F_T6_T7_T9_mT8_S1H_bDpT10_ENKUlT_T0_E_clISt17integral_constantIbLb1EES1V_EEDaS1Q_S1R_EUlS1Q_E_NS1_11comp_targetILNS1_3genE4ELNS1_11target_archE910ELNS1_3gpuE8ELNS1_3repE0EEENS1_30default_config_static_selectorELNS0_4arch9wavefront6targetE0EEEvS13_, .Lfunc_end1995-_ZN7rocprim17ROCPRIM_400000_NS6detail17trampoline_kernelINS0_13select_configILj256ELj13ELNS0_17block_load_methodE3ELS4_3ELS4_3ELNS0_20block_scan_algorithmE0ELj4294967295EEENS1_25partition_config_selectorILNS1_17partition_subalgoE4EjNS0_10empty_typeEbEEZZNS1_14partition_implILS8_4ELb0ES6_15HIP_vector_typeIjLj2EENS0_17counting_iteratorIjlEEPS9_SG_NS0_5tupleIJPjSI_NS0_16reverse_iteratorISI_EEEEENSH_IJSG_SG_SG_EEES9_SI_JZNS1_25segmented_radix_sort_implINS0_14default_configELb0EPK12hip_bfloat16PSP_PKlPlN2at6native12_GLOBAL__N_18offset_tEEE10hipError_tPvRmT1_PNSt15iterator_traitsIS13_E10value_typeET2_T3_PNS14_IS19_E10value_typeET4_jRbjT5_S1F_jjP12ihipStream_tbEUljE_ZNSN_ISO_Lb0ESR_SS_SU_SV_SZ_EES10_S11_S12_S13_S17_S18_S19_S1C_S1D_jS1E_jS1F_S1F_jjS1H_bEUljE0_EEES10_S11_S12_S19_S1D_S1F_T6_T7_T9_mT8_S1H_bDpT10_ENKUlT_T0_E_clISt17integral_constantIbLb1EES1V_EEDaS1Q_S1R_EUlS1Q_E_NS1_11comp_targetILNS1_3genE4ELNS1_11target_archE910ELNS1_3gpuE8ELNS1_3repE0EEENS1_30default_config_static_selectorELNS0_4arch9wavefront6targetE0EEEvS13_
                                        ; -- End function
	.set _ZN7rocprim17ROCPRIM_400000_NS6detail17trampoline_kernelINS0_13select_configILj256ELj13ELNS0_17block_load_methodE3ELS4_3ELS4_3ELNS0_20block_scan_algorithmE0ELj4294967295EEENS1_25partition_config_selectorILNS1_17partition_subalgoE4EjNS0_10empty_typeEbEEZZNS1_14partition_implILS8_4ELb0ES6_15HIP_vector_typeIjLj2EENS0_17counting_iteratorIjlEEPS9_SG_NS0_5tupleIJPjSI_NS0_16reverse_iteratorISI_EEEEENSH_IJSG_SG_SG_EEES9_SI_JZNS1_25segmented_radix_sort_implINS0_14default_configELb0EPK12hip_bfloat16PSP_PKlPlN2at6native12_GLOBAL__N_18offset_tEEE10hipError_tPvRmT1_PNSt15iterator_traitsIS13_E10value_typeET2_T3_PNS14_IS19_E10value_typeET4_jRbjT5_S1F_jjP12ihipStream_tbEUljE_ZNSN_ISO_Lb0ESR_SS_SU_SV_SZ_EES10_S11_S12_S13_S17_S18_S19_S1C_S1D_jS1E_jS1F_S1F_jjS1H_bEUljE0_EEES10_S11_S12_S19_S1D_S1F_T6_T7_T9_mT8_S1H_bDpT10_ENKUlT_T0_E_clISt17integral_constantIbLb1EES1V_EEDaS1Q_S1R_EUlS1Q_E_NS1_11comp_targetILNS1_3genE4ELNS1_11target_archE910ELNS1_3gpuE8ELNS1_3repE0EEENS1_30default_config_static_selectorELNS0_4arch9wavefront6targetE0EEEvS13_.num_vgpr, 0
	.set _ZN7rocprim17ROCPRIM_400000_NS6detail17trampoline_kernelINS0_13select_configILj256ELj13ELNS0_17block_load_methodE3ELS4_3ELS4_3ELNS0_20block_scan_algorithmE0ELj4294967295EEENS1_25partition_config_selectorILNS1_17partition_subalgoE4EjNS0_10empty_typeEbEEZZNS1_14partition_implILS8_4ELb0ES6_15HIP_vector_typeIjLj2EENS0_17counting_iteratorIjlEEPS9_SG_NS0_5tupleIJPjSI_NS0_16reverse_iteratorISI_EEEEENSH_IJSG_SG_SG_EEES9_SI_JZNS1_25segmented_radix_sort_implINS0_14default_configELb0EPK12hip_bfloat16PSP_PKlPlN2at6native12_GLOBAL__N_18offset_tEEE10hipError_tPvRmT1_PNSt15iterator_traitsIS13_E10value_typeET2_T3_PNS14_IS19_E10value_typeET4_jRbjT5_S1F_jjP12ihipStream_tbEUljE_ZNSN_ISO_Lb0ESR_SS_SU_SV_SZ_EES10_S11_S12_S13_S17_S18_S19_S1C_S1D_jS1E_jS1F_S1F_jjS1H_bEUljE0_EEES10_S11_S12_S19_S1D_S1F_T6_T7_T9_mT8_S1H_bDpT10_ENKUlT_T0_E_clISt17integral_constantIbLb1EES1V_EEDaS1Q_S1R_EUlS1Q_E_NS1_11comp_targetILNS1_3genE4ELNS1_11target_archE910ELNS1_3gpuE8ELNS1_3repE0EEENS1_30default_config_static_selectorELNS0_4arch9wavefront6targetE0EEEvS13_.num_agpr, 0
	.set _ZN7rocprim17ROCPRIM_400000_NS6detail17trampoline_kernelINS0_13select_configILj256ELj13ELNS0_17block_load_methodE3ELS4_3ELS4_3ELNS0_20block_scan_algorithmE0ELj4294967295EEENS1_25partition_config_selectorILNS1_17partition_subalgoE4EjNS0_10empty_typeEbEEZZNS1_14partition_implILS8_4ELb0ES6_15HIP_vector_typeIjLj2EENS0_17counting_iteratorIjlEEPS9_SG_NS0_5tupleIJPjSI_NS0_16reverse_iteratorISI_EEEEENSH_IJSG_SG_SG_EEES9_SI_JZNS1_25segmented_radix_sort_implINS0_14default_configELb0EPK12hip_bfloat16PSP_PKlPlN2at6native12_GLOBAL__N_18offset_tEEE10hipError_tPvRmT1_PNSt15iterator_traitsIS13_E10value_typeET2_T3_PNS14_IS19_E10value_typeET4_jRbjT5_S1F_jjP12ihipStream_tbEUljE_ZNSN_ISO_Lb0ESR_SS_SU_SV_SZ_EES10_S11_S12_S13_S17_S18_S19_S1C_S1D_jS1E_jS1F_S1F_jjS1H_bEUljE0_EEES10_S11_S12_S19_S1D_S1F_T6_T7_T9_mT8_S1H_bDpT10_ENKUlT_T0_E_clISt17integral_constantIbLb1EES1V_EEDaS1Q_S1R_EUlS1Q_E_NS1_11comp_targetILNS1_3genE4ELNS1_11target_archE910ELNS1_3gpuE8ELNS1_3repE0EEENS1_30default_config_static_selectorELNS0_4arch9wavefront6targetE0EEEvS13_.numbered_sgpr, 0
	.set _ZN7rocprim17ROCPRIM_400000_NS6detail17trampoline_kernelINS0_13select_configILj256ELj13ELNS0_17block_load_methodE3ELS4_3ELS4_3ELNS0_20block_scan_algorithmE0ELj4294967295EEENS1_25partition_config_selectorILNS1_17partition_subalgoE4EjNS0_10empty_typeEbEEZZNS1_14partition_implILS8_4ELb0ES6_15HIP_vector_typeIjLj2EENS0_17counting_iteratorIjlEEPS9_SG_NS0_5tupleIJPjSI_NS0_16reverse_iteratorISI_EEEEENSH_IJSG_SG_SG_EEES9_SI_JZNS1_25segmented_radix_sort_implINS0_14default_configELb0EPK12hip_bfloat16PSP_PKlPlN2at6native12_GLOBAL__N_18offset_tEEE10hipError_tPvRmT1_PNSt15iterator_traitsIS13_E10value_typeET2_T3_PNS14_IS19_E10value_typeET4_jRbjT5_S1F_jjP12ihipStream_tbEUljE_ZNSN_ISO_Lb0ESR_SS_SU_SV_SZ_EES10_S11_S12_S13_S17_S18_S19_S1C_S1D_jS1E_jS1F_S1F_jjS1H_bEUljE0_EEES10_S11_S12_S19_S1D_S1F_T6_T7_T9_mT8_S1H_bDpT10_ENKUlT_T0_E_clISt17integral_constantIbLb1EES1V_EEDaS1Q_S1R_EUlS1Q_E_NS1_11comp_targetILNS1_3genE4ELNS1_11target_archE910ELNS1_3gpuE8ELNS1_3repE0EEENS1_30default_config_static_selectorELNS0_4arch9wavefront6targetE0EEEvS13_.num_named_barrier, 0
	.set _ZN7rocprim17ROCPRIM_400000_NS6detail17trampoline_kernelINS0_13select_configILj256ELj13ELNS0_17block_load_methodE3ELS4_3ELS4_3ELNS0_20block_scan_algorithmE0ELj4294967295EEENS1_25partition_config_selectorILNS1_17partition_subalgoE4EjNS0_10empty_typeEbEEZZNS1_14partition_implILS8_4ELb0ES6_15HIP_vector_typeIjLj2EENS0_17counting_iteratorIjlEEPS9_SG_NS0_5tupleIJPjSI_NS0_16reverse_iteratorISI_EEEEENSH_IJSG_SG_SG_EEES9_SI_JZNS1_25segmented_radix_sort_implINS0_14default_configELb0EPK12hip_bfloat16PSP_PKlPlN2at6native12_GLOBAL__N_18offset_tEEE10hipError_tPvRmT1_PNSt15iterator_traitsIS13_E10value_typeET2_T3_PNS14_IS19_E10value_typeET4_jRbjT5_S1F_jjP12ihipStream_tbEUljE_ZNSN_ISO_Lb0ESR_SS_SU_SV_SZ_EES10_S11_S12_S13_S17_S18_S19_S1C_S1D_jS1E_jS1F_S1F_jjS1H_bEUljE0_EEES10_S11_S12_S19_S1D_S1F_T6_T7_T9_mT8_S1H_bDpT10_ENKUlT_T0_E_clISt17integral_constantIbLb1EES1V_EEDaS1Q_S1R_EUlS1Q_E_NS1_11comp_targetILNS1_3genE4ELNS1_11target_archE910ELNS1_3gpuE8ELNS1_3repE0EEENS1_30default_config_static_selectorELNS0_4arch9wavefront6targetE0EEEvS13_.private_seg_size, 0
	.set _ZN7rocprim17ROCPRIM_400000_NS6detail17trampoline_kernelINS0_13select_configILj256ELj13ELNS0_17block_load_methodE3ELS4_3ELS4_3ELNS0_20block_scan_algorithmE0ELj4294967295EEENS1_25partition_config_selectorILNS1_17partition_subalgoE4EjNS0_10empty_typeEbEEZZNS1_14partition_implILS8_4ELb0ES6_15HIP_vector_typeIjLj2EENS0_17counting_iteratorIjlEEPS9_SG_NS0_5tupleIJPjSI_NS0_16reverse_iteratorISI_EEEEENSH_IJSG_SG_SG_EEES9_SI_JZNS1_25segmented_radix_sort_implINS0_14default_configELb0EPK12hip_bfloat16PSP_PKlPlN2at6native12_GLOBAL__N_18offset_tEEE10hipError_tPvRmT1_PNSt15iterator_traitsIS13_E10value_typeET2_T3_PNS14_IS19_E10value_typeET4_jRbjT5_S1F_jjP12ihipStream_tbEUljE_ZNSN_ISO_Lb0ESR_SS_SU_SV_SZ_EES10_S11_S12_S13_S17_S18_S19_S1C_S1D_jS1E_jS1F_S1F_jjS1H_bEUljE0_EEES10_S11_S12_S19_S1D_S1F_T6_T7_T9_mT8_S1H_bDpT10_ENKUlT_T0_E_clISt17integral_constantIbLb1EES1V_EEDaS1Q_S1R_EUlS1Q_E_NS1_11comp_targetILNS1_3genE4ELNS1_11target_archE910ELNS1_3gpuE8ELNS1_3repE0EEENS1_30default_config_static_selectorELNS0_4arch9wavefront6targetE0EEEvS13_.uses_vcc, 0
	.set _ZN7rocprim17ROCPRIM_400000_NS6detail17trampoline_kernelINS0_13select_configILj256ELj13ELNS0_17block_load_methodE3ELS4_3ELS4_3ELNS0_20block_scan_algorithmE0ELj4294967295EEENS1_25partition_config_selectorILNS1_17partition_subalgoE4EjNS0_10empty_typeEbEEZZNS1_14partition_implILS8_4ELb0ES6_15HIP_vector_typeIjLj2EENS0_17counting_iteratorIjlEEPS9_SG_NS0_5tupleIJPjSI_NS0_16reverse_iteratorISI_EEEEENSH_IJSG_SG_SG_EEES9_SI_JZNS1_25segmented_radix_sort_implINS0_14default_configELb0EPK12hip_bfloat16PSP_PKlPlN2at6native12_GLOBAL__N_18offset_tEEE10hipError_tPvRmT1_PNSt15iterator_traitsIS13_E10value_typeET2_T3_PNS14_IS19_E10value_typeET4_jRbjT5_S1F_jjP12ihipStream_tbEUljE_ZNSN_ISO_Lb0ESR_SS_SU_SV_SZ_EES10_S11_S12_S13_S17_S18_S19_S1C_S1D_jS1E_jS1F_S1F_jjS1H_bEUljE0_EEES10_S11_S12_S19_S1D_S1F_T6_T7_T9_mT8_S1H_bDpT10_ENKUlT_T0_E_clISt17integral_constantIbLb1EES1V_EEDaS1Q_S1R_EUlS1Q_E_NS1_11comp_targetILNS1_3genE4ELNS1_11target_archE910ELNS1_3gpuE8ELNS1_3repE0EEENS1_30default_config_static_selectorELNS0_4arch9wavefront6targetE0EEEvS13_.uses_flat_scratch, 0
	.set _ZN7rocprim17ROCPRIM_400000_NS6detail17trampoline_kernelINS0_13select_configILj256ELj13ELNS0_17block_load_methodE3ELS4_3ELS4_3ELNS0_20block_scan_algorithmE0ELj4294967295EEENS1_25partition_config_selectorILNS1_17partition_subalgoE4EjNS0_10empty_typeEbEEZZNS1_14partition_implILS8_4ELb0ES6_15HIP_vector_typeIjLj2EENS0_17counting_iteratorIjlEEPS9_SG_NS0_5tupleIJPjSI_NS0_16reverse_iteratorISI_EEEEENSH_IJSG_SG_SG_EEES9_SI_JZNS1_25segmented_radix_sort_implINS0_14default_configELb0EPK12hip_bfloat16PSP_PKlPlN2at6native12_GLOBAL__N_18offset_tEEE10hipError_tPvRmT1_PNSt15iterator_traitsIS13_E10value_typeET2_T3_PNS14_IS19_E10value_typeET4_jRbjT5_S1F_jjP12ihipStream_tbEUljE_ZNSN_ISO_Lb0ESR_SS_SU_SV_SZ_EES10_S11_S12_S13_S17_S18_S19_S1C_S1D_jS1E_jS1F_S1F_jjS1H_bEUljE0_EEES10_S11_S12_S19_S1D_S1F_T6_T7_T9_mT8_S1H_bDpT10_ENKUlT_T0_E_clISt17integral_constantIbLb1EES1V_EEDaS1Q_S1R_EUlS1Q_E_NS1_11comp_targetILNS1_3genE4ELNS1_11target_archE910ELNS1_3gpuE8ELNS1_3repE0EEENS1_30default_config_static_selectorELNS0_4arch9wavefront6targetE0EEEvS13_.has_dyn_sized_stack, 0
	.set _ZN7rocprim17ROCPRIM_400000_NS6detail17trampoline_kernelINS0_13select_configILj256ELj13ELNS0_17block_load_methodE3ELS4_3ELS4_3ELNS0_20block_scan_algorithmE0ELj4294967295EEENS1_25partition_config_selectorILNS1_17partition_subalgoE4EjNS0_10empty_typeEbEEZZNS1_14partition_implILS8_4ELb0ES6_15HIP_vector_typeIjLj2EENS0_17counting_iteratorIjlEEPS9_SG_NS0_5tupleIJPjSI_NS0_16reverse_iteratorISI_EEEEENSH_IJSG_SG_SG_EEES9_SI_JZNS1_25segmented_radix_sort_implINS0_14default_configELb0EPK12hip_bfloat16PSP_PKlPlN2at6native12_GLOBAL__N_18offset_tEEE10hipError_tPvRmT1_PNSt15iterator_traitsIS13_E10value_typeET2_T3_PNS14_IS19_E10value_typeET4_jRbjT5_S1F_jjP12ihipStream_tbEUljE_ZNSN_ISO_Lb0ESR_SS_SU_SV_SZ_EES10_S11_S12_S13_S17_S18_S19_S1C_S1D_jS1E_jS1F_S1F_jjS1H_bEUljE0_EEES10_S11_S12_S19_S1D_S1F_T6_T7_T9_mT8_S1H_bDpT10_ENKUlT_T0_E_clISt17integral_constantIbLb1EES1V_EEDaS1Q_S1R_EUlS1Q_E_NS1_11comp_targetILNS1_3genE4ELNS1_11target_archE910ELNS1_3gpuE8ELNS1_3repE0EEENS1_30default_config_static_selectorELNS0_4arch9wavefront6targetE0EEEvS13_.has_recursion, 0
	.set _ZN7rocprim17ROCPRIM_400000_NS6detail17trampoline_kernelINS0_13select_configILj256ELj13ELNS0_17block_load_methodE3ELS4_3ELS4_3ELNS0_20block_scan_algorithmE0ELj4294967295EEENS1_25partition_config_selectorILNS1_17partition_subalgoE4EjNS0_10empty_typeEbEEZZNS1_14partition_implILS8_4ELb0ES6_15HIP_vector_typeIjLj2EENS0_17counting_iteratorIjlEEPS9_SG_NS0_5tupleIJPjSI_NS0_16reverse_iteratorISI_EEEEENSH_IJSG_SG_SG_EEES9_SI_JZNS1_25segmented_radix_sort_implINS0_14default_configELb0EPK12hip_bfloat16PSP_PKlPlN2at6native12_GLOBAL__N_18offset_tEEE10hipError_tPvRmT1_PNSt15iterator_traitsIS13_E10value_typeET2_T3_PNS14_IS19_E10value_typeET4_jRbjT5_S1F_jjP12ihipStream_tbEUljE_ZNSN_ISO_Lb0ESR_SS_SU_SV_SZ_EES10_S11_S12_S13_S17_S18_S19_S1C_S1D_jS1E_jS1F_S1F_jjS1H_bEUljE0_EEES10_S11_S12_S19_S1D_S1F_T6_T7_T9_mT8_S1H_bDpT10_ENKUlT_T0_E_clISt17integral_constantIbLb1EES1V_EEDaS1Q_S1R_EUlS1Q_E_NS1_11comp_targetILNS1_3genE4ELNS1_11target_archE910ELNS1_3gpuE8ELNS1_3repE0EEENS1_30default_config_static_selectorELNS0_4arch9wavefront6targetE0EEEvS13_.has_indirect_call, 0
	.section	.AMDGPU.csdata,"",@progbits
; Kernel info:
; codeLenInByte = 0
; TotalNumSgprs: 0
; NumVgprs: 0
; ScratchSize: 0
; MemoryBound: 0
; FloatMode: 240
; IeeeMode: 1
; LDSByteSize: 0 bytes/workgroup (compile time only)
; SGPRBlocks: 0
; VGPRBlocks: 0
; NumSGPRsForWavesPerEU: 1
; NumVGPRsForWavesPerEU: 1
; Occupancy: 16
; WaveLimiterHint : 0
; COMPUTE_PGM_RSRC2:SCRATCH_EN: 0
; COMPUTE_PGM_RSRC2:USER_SGPR: 2
; COMPUTE_PGM_RSRC2:TRAP_HANDLER: 0
; COMPUTE_PGM_RSRC2:TGID_X_EN: 1
; COMPUTE_PGM_RSRC2:TGID_Y_EN: 0
; COMPUTE_PGM_RSRC2:TGID_Z_EN: 0
; COMPUTE_PGM_RSRC2:TIDIG_COMP_CNT: 0
	.section	.text._ZN7rocprim17ROCPRIM_400000_NS6detail17trampoline_kernelINS0_13select_configILj256ELj13ELNS0_17block_load_methodE3ELS4_3ELS4_3ELNS0_20block_scan_algorithmE0ELj4294967295EEENS1_25partition_config_selectorILNS1_17partition_subalgoE4EjNS0_10empty_typeEbEEZZNS1_14partition_implILS8_4ELb0ES6_15HIP_vector_typeIjLj2EENS0_17counting_iteratorIjlEEPS9_SG_NS0_5tupleIJPjSI_NS0_16reverse_iteratorISI_EEEEENSH_IJSG_SG_SG_EEES9_SI_JZNS1_25segmented_radix_sort_implINS0_14default_configELb0EPK12hip_bfloat16PSP_PKlPlN2at6native12_GLOBAL__N_18offset_tEEE10hipError_tPvRmT1_PNSt15iterator_traitsIS13_E10value_typeET2_T3_PNS14_IS19_E10value_typeET4_jRbjT5_S1F_jjP12ihipStream_tbEUljE_ZNSN_ISO_Lb0ESR_SS_SU_SV_SZ_EES10_S11_S12_S13_S17_S18_S19_S1C_S1D_jS1E_jS1F_S1F_jjS1H_bEUljE0_EEES10_S11_S12_S19_S1D_S1F_T6_T7_T9_mT8_S1H_bDpT10_ENKUlT_T0_E_clISt17integral_constantIbLb1EES1V_EEDaS1Q_S1R_EUlS1Q_E_NS1_11comp_targetILNS1_3genE3ELNS1_11target_archE908ELNS1_3gpuE7ELNS1_3repE0EEENS1_30default_config_static_selectorELNS0_4arch9wavefront6targetE0EEEvS13_,"axG",@progbits,_ZN7rocprim17ROCPRIM_400000_NS6detail17trampoline_kernelINS0_13select_configILj256ELj13ELNS0_17block_load_methodE3ELS4_3ELS4_3ELNS0_20block_scan_algorithmE0ELj4294967295EEENS1_25partition_config_selectorILNS1_17partition_subalgoE4EjNS0_10empty_typeEbEEZZNS1_14partition_implILS8_4ELb0ES6_15HIP_vector_typeIjLj2EENS0_17counting_iteratorIjlEEPS9_SG_NS0_5tupleIJPjSI_NS0_16reverse_iteratorISI_EEEEENSH_IJSG_SG_SG_EEES9_SI_JZNS1_25segmented_radix_sort_implINS0_14default_configELb0EPK12hip_bfloat16PSP_PKlPlN2at6native12_GLOBAL__N_18offset_tEEE10hipError_tPvRmT1_PNSt15iterator_traitsIS13_E10value_typeET2_T3_PNS14_IS19_E10value_typeET4_jRbjT5_S1F_jjP12ihipStream_tbEUljE_ZNSN_ISO_Lb0ESR_SS_SU_SV_SZ_EES10_S11_S12_S13_S17_S18_S19_S1C_S1D_jS1E_jS1F_S1F_jjS1H_bEUljE0_EEES10_S11_S12_S19_S1D_S1F_T6_T7_T9_mT8_S1H_bDpT10_ENKUlT_T0_E_clISt17integral_constantIbLb1EES1V_EEDaS1Q_S1R_EUlS1Q_E_NS1_11comp_targetILNS1_3genE3ELNS1_11target_archE908ELNS1_3gpuE7ELNS1_3repE0EEENS1_30default_config_static_selectorELNS0_4arch9wavefront6targetE0EEEvS13_,comdat
	.globl	_ZN7rocprim17ROCPRIM_400000_NS6detail17trampoline_kernelINS0_13select_configILj256ELj13ELNS0_17block_load_methodE3ELS4_3ELS4_3ELNS0_20block_scan_algorithmE0ELj4294967295EEENS1_25partition_config_selectorILNS1_17partition_subalgoE4EjNS0_10empty_typeEbEEZZNS1_14partition_implILS8_4ELb0ES6_15HIP_vector_typeIjLj2EENS0_17counting_iteratorIjlEEPS9_SG_NS0_5tupleIJPjSI_NS0_16reverse_iteratorISI_EEEEENSH_IJSG_SG_SG_EEES9_SI_JZNS1_25segmented_radix_sort_implINS0_14default_configELb0EPK12hip_bfloat16PSP_PKlPlN2at6native12_GLOBAL__N_18offset_tEEE10hipError_tPvRmT1_PNSt15iterator_traitsIS13_E10value_typeET2_T3_PNS14_IS19_E10value_typeET4_jRbjT5_S1F_jjP12ihipStream_tbEUljE_ZNSN_ISO_Lb0ESR_SS_SU_SV_SZ_EES10_S11_S12_S13_S17_S18_S19_S1C_S1D_jS1E_jS1F_S1F_jjS1H_bEUljE0_EEES10_S11_S12_S19_S1D_S1F_T6_T7_T9_mT8_S1H_bDpT10_ENKUlT_T0_E_clISt17integral_constantIbLb1EES1V_EEDaS1Q_S1R_EUlS1Q_E_NS1_11comp_targetILNS1_3genE3ELNS1_11target_archE908ELNS1_3gpuE7ELNS1_3repE0EEENS1_30default_config_static_selectorELNS0_4arch9wavefront6targetE0EEEvS13_ ; -- Begin function _ZN7rocprim17ROCPRIM_400000_NS6detail17trampoline_kernelINS0_13select_configILj256ELj13ELNS0_17block_load_methodE3ELS4_3ELS4_3ELNS0_20block_scan_algorithmE0ELj4294967295EEENS1_25partition_config_selectorILNS1_17partition_subalgoE4EjNS0_10empty_typeEbEEZZNS1_14partition_implILS8_4ELb0ES6_15HIP_vector_typeIjLj2EENS0_17counting_iteratorIjlEEPS9_SG_NS0_5tupleIJPjSI_NS0_16reverse_iteratorISI_EEEEENSH_IJSG_SG_SG_EEES9_SI_JZNS1_25segmented_radix_sort_implINS0_14default_configELb0EPK12hip_bfloat16PSP_PKlPlN2at6native12_GLOBAL__N_18offset_tEEE10hipError_tPvRmT1_PNSt15iterator_traitsIS13_E10value_typeET2_T3_PNS14_IS19_E10value_typeET4_jRbjT5_S1F_jjP12ihipStream_tbEUljE_ZNSN_ISO_Lb0ESR_SS_SU_SV_SZ_EES10_S11_S12_S13_S17_S18_S19_S1C_S1D_jS1E_jS1F_S1F_jjS1H_bEUljE0_EEES10_S11_S12_S19_S1D_S1F_T6_T7_T9_mT8_S1H_bDpT10_ENKUlT_T0_E_clISt17integral_constantIbLb1EES1V_EEDaS1Q_S1R_EUlS1Q_E_NS1_11comp_targetILNS1_3genE3ELNS1_11target_archE908ELNS1_3gpuE7ELNS1_3repE0EEENS1_30default_config_static_selectorELNS0_4arch9wavefront6targetE0EEEvS13_
	.p2align	8
	.type	_ZN7rocprim17ROCPRIM_400000_NS6detail17trampoline_kernelINS0_13select_configILj256ELj13ELNS0_17block_load_methodE3ELS4_3ELS4_3ELNS0_20block_scan_algorithmE0ELj4294967295EEENS1_25partition_config_selectorILNS1_17partition_subalgoE4EjNS0_10empty_typeEbEEZZNS1_14partition_implILS8_4ELb0ES6_15HIP_vector_typeIjLj2EENS0_17counting_iteratorIjlEEPS9_SG_NS0_5tupleIJPjSI_NS0_16reverse_iteratorISI_EEEEENSH_IJSG_SG_SG_EEES9_SI_JZNS1_25segmented_radix_sort_implINS0_14default_configELb0EPK12hip_bfloat16PSP_PKlPlN2at6native12_GLOBAL__N_18offset_tEEE10hipError_tPvRmT1_PNSt15iterator_traitsIS13_E10value_typeET2_T3_PNS14_IS19_E10value_typeET4_jRbjT5_S1F_jjP12ihipStream_tbEUljE_ZNSN_ISO_Lb0ESR_SS_SU_SV_SZ_EES10_S11_S12_S13_S17_S18_S19_S1C_S1D_jS1E_jS1F_S1F_jjS1H_bEUljE0_EEES10_S11_S12_S19_S1D_S1F_T6_T7_T9_mT8_S1H_bDpT10_ENKUlT_T0_E_clISt17integral_constantIbLb1EES1V_EEDaS1Q_S1R_EUlS1Q_E_NS1_11comp_targetILNS1_3genE3ELNS1_11target_archE908ELNS1_3gpuE7ELNS1_3repE0EEENS1_30default_config_static_selectorELNS0_4arch9wavefront6targetE0EEEvS13_,@function
_ZN7rocprim17ROCPRIM_400000_NS6detail17trampoline_kernelINS0_13select_configILj256ELj13ELNS0_17block_load_methodE3ELS4_3ELS4_3ELNS0_20block_scan_algorithmE0ELj4294967295EEENS1_25partition_config_selectorILNS1_17partition_subalgoE4EjNS0_10empty_typeEbEEZZNS1_14partition_implILS8_4ELb0ES6_15HIP_vector_typeIjLj2EENS0_17counting_iteratorIjlEEPS9_SG_NS0_5tupleIJPjSI_NS0_16reverse_iteratorISI_EEEEENSH_IJSG_SG_SG_EEES9_SI_JZNS1_25segmented_radix_sort_implINS0_14default_configELb0EPK12hip_bfloat16PSP_PKlPlN2at6native12_GLOBAL__N_18offset_tEEE10hipError_tPvRmT1_PNSt15iterator_traitsIS13_E10value_typeET2_T3_PNS14_IS19_E10value_typeET4_jRbjT5_S1F_jjP12ihipStream_tbEUljE_ZNSN_ISO_Lb0ESR_SS_SU_SV_SZ_EES10_S11_S12_S13_S17_S18_S19_S1C_S1D_jS1E_jS1F_S1F_jjS1H_bEUljE0_EEES10_S11_S12_S19_S1D_S1F_T6_T7_T9_mT8_S1H_bDpT10_ENKUlT_T0_E_clISt17integral_constantIbLb1EES1V_EEDaS1Q_S1R_EUlS1Q_E_NS1_11comp_targetILNS1_3genE3ELNS1_11target_archE908ELNS1_3gpuE7ELNS1_3repE0EEENS1_30default_config_static_selectorELNS0_4arch9wavefront6targetE0EEEvS13_: ; @_ZN7rocprim17ROCPRIM_400000_NS6detail17trampoline_kernelINS0_13select_configILj256ELj13ELNS0_17block_load_methodE3ELS4_3ELS4_3ELNS0_20block_scan_algorithmE0ELj4294967295EEENS1_25partition_config_selectorILNS1_17partition_subalgoE4EjNS0_10empty_typeEbEEZZNS1_14partition_implILS8_4ELb0ES6_15HIP_vector_typeIjLj2EENS0_17counting_iteratorIjlEEPS9_SG_NS0_5tupleIJPjSI_NS0_16reverse_iteratorISI_EEEEENSH_IJSG_SG_SG_EEES9_SI_JZNS1_25segmented_radix_sort_implINS0_14default_configELb0EPK12hip_bfloat16PSP_PKlPlN2at6native12_GLOBAL__N_18offset_tEEE10hipError_tPvRmT1_PNSt15iterator_traitsIS13_E10value_typeET2_T3_PNS14_IS19_E10value_typeET4_jRbjT5_S1F_jjP12ihipStream_tbEUljE_ZNSN_ISO_Lb0ESR_SS_SU_SV_SZ_EES10_S11_S12_S13_S17_S18_S19_S1C_S1D_jS1E_jS1F_S1F_jjS1H_bEUljE0_EEES10_S11_S12_S19_S1D_S1F_T6_T7_T9_mT8_S1H_bDpT10_ENKUlT_T0_E_clISt17integral_constantIbLb1EES1V_EEDaS1Q_S1R_EUlS1Q_E_NS1_11comp_targetILNS1_3genE3ELNS1_11target_archE908ELNS1_3gpuE7ELNS1_3repE0EEENS1_30default_config_static_selectorELNS0_4arch9wavefront6targetE0EEEvS13_
; %bb.0:
	.section	.rodata,"a",@progbits
	.p2align	6, 0x0
	.amdhsa_kernel _ZN7rocprim17ROCPRIM_400000_NS6detail17trampoline_kernelINS0_13select_configILj256ELj13ELNS0_17block_load_methodE3ELS4_3ELS4_3ELNS0_20block_scan_algorithmE0ELj4294967295EEENS1_25partition_config_selectorILNS1_17partition_subalgoE4EjNS0_10empty_typeEbEEZZNS1_14partition_implILS8_4ELb0ES6_15HIP_vector_typeIjLj2EENS0_17counting_iteratorIjlEEPS9_SG_NS0_5tupleIJPjSI_NS0_16reverse_iteratorISI_EEEEENSH_IJSG_SG_SG_EEES9_SI_JZNS1_25segmented_radix_sort_implINS0_14default_configELb0EPK12hip_bfloat16PSP_PKlPlN2at6native12_GLOBAL__N_18offset_tEEE10hipError_tPvRmT1_PNSt15iterator_traitsIS13_E10value_typeET2_T3_PNS14_IS19_E10value_typeET4_jRbjT5_S1F_jjP12ihipStream_tbEUljE_ZNSN_ISO_Lb0ESR_SS_SU_SV_SZ_EES10_S11_S12_S13_S17_S18_S19_S1C_S1D_jS1E_jS1F_S1F_jjS1H_bEUljE0_EEES10_S11_S12_S19_S1D_S1F_T6_T7_T9_mT8_S1H_bDpT10_ENKUlT_T0_E_clISt17integral_constantIbLb1EES1V_EEDaS1Q_S1R_EUlS1Q_E_NS1_11comp_targetILNS1_3genE3ELNS1_11target_archE908ELNS1_3gpuE7ELNS1_3repE0EEENS1_30default_config_static_selectorELNS0_4arch9wavefront6targetE0EEEvS13_
		.amdhsa_group_segment_fixed_size 0
		.amdhsa_private_segment_fixed_size 0
		.amdhsa_kernarg_size 184
		.amdhsa_user_sgpr_count 2
		.amdhsa_user_sgpr_dispatch_ptr 0
		.amdhsa_user_sgpr_queue_ptr 0
		.amdhsa_user_sgpr_kernarg_segment_ptr 1
		.amdhsa_user_sgpr_dispatch_id 0
		.amdhsa_user_sgpr_private_segment_size 0
		.amdhsa_wavefront_size32 1
		.amdhsa_uses_dynamic_stack 0
		.amdhsa_enable_private_segment 0
		.amdhsa_system_sgpr_workgroup_id_x 1
		.amdhsa_system_sgpr_workgroup_id_y 0
		.amdhsa_system_sgpr_workgroup_id_z 0
		.amdhsa_system_sgpr_workgroup_info 0
		.amdhsa_system_vgpr_workitem_id 0
		.amdhsa_next_free_vgpr 1
		.amdhsa_next_free_sgpr 1
		.amdhsa_reserve_vcc 0
		.amdhsa_float_round_mode_32 0
		.amdhsa_float_round_mode_16_64 0
		.amdhsa_float_denorm_mode_32 3
		.amdhsa_float_denorm_mode_16_64 3
		.amdhsa_fp16_overflow 0
		.amdhsa_workgroup_processor_mode 1
		.amdhsa_memory_ordered 1
		.amdhsa_forward_progress 1
		.amdhsa_inst_pref_size 0
		.amdhsa_round_robin_scheduling 0
		.amdhsa_exception_fp_ieee_invalid_op 0
		.amdhsa_exception_fp_denorm_src 0
		.amdhsa_exception_fp_ieee_div_zero 0
		.amdhsa_exception_fp_ieee_overflow 0
		.amdhsa_exception_fp_ieee_underflow 0
		.amdhsa_exception_fp_ieee_inexact 0
		.amdhsa_exception_int_div_zero 0
	.end_amdhsa_kernel
	.section	.text._ZN7rocprim17ROCPRIM_400000_NS6detail17trampoline_kernelINS0_13select_configILj256ELj13ELNS0_17block_load_methodE3ELS4_3ELS4_3ELNS0_20block_scan_algorithmE0ELj4294967295EEENS1_25partition_config_selectorILNS1_17partition_subalgoE4EjNS0_10empty_typeEbEEZZNS1_14partition_implILS8_4ELb0ES6_15HIP_vector_typeIjLj2EENS0_17counting_iteratorIjlEEPS9_SG_NS0_5tupleIJPjSI_NS0_16reverse_iteratorISI_EEEEENSH_IJSG_SG_SG_EEES9_SI_JZNS1_25segmented_radix_sort_implINS0_14default_configELb0EPK12hip_bfloat16PSP_PKlPlN2at6native12_GLOBAL__N_18offset_tEEE10hipError_tPvRmT1_PNSt15iterator_traitsIS13_E10value_typeET2_T3_PNS14_IS19_E10value_typeET4_jRbjT5_S1F_jjP12ihipStream_tbEUljE_ZNSN_ISO_Lb0ESR_SS_SU_SV_SZ_EES10_S11_S12_S13_S17_S18_S19_S1C_S1D_jS1E_jS1F_S1F_jjS1H_bEUljE0_EEES10_S11_S12_S19_S1D_S1F_T6_T7_T9_mT8_S1H_bDpT10_ENKUlT_T0_E_clISt17integral_constantIbLb1EES1V_EEDaS1Q_S1R_EUlS1Q_E_NS1_11comp_targetILNS1_3genE3ELNS1_11target_archE908ELNS1_3gpuE7ELNS1_3repE0EEENS1_30default_config_static_selectorELNS0_4arch9wavefront6targetE0EEEvS13_,"axG",@progbits,_ZN7rocprim17ROCPRIM_400000_NS6detail17trampoline_kernelINS0_13select_configILj256ELj13ELNS0_17block_load_methodE3ELS4_3ELS4_3ELNS0_20block_scan_algorithmE0ELj4294967295EEENS1_25partition_config_selectorILNS1_17partition_subalgoE4EjNS0_10empty_typeEbEEZZNS1_14partition_implILS8_4ELb0ES6_15HIP_vector_typeIjLj2EENS0_17counting_iteratorIjlEEPS9_SG_NS0_5tupleIJPjSI_NS0_16reverse_iteratorISI_EEEEENSH_IJSG_SG_SG_EEES9_SI_JZNS1_25segmented_radix_sort_implINS0_14default_configELb0EPK12hip_bfloat16PSP_PKlPlN2at6native12_GLOBAL__N_18offset_tEEE10hipError_tPvRmT1_PNSt15iterator_traitsIS13_E10value_typeET2_T3_PNS14_IS19_E10value_typeET4_jRbjT5_S1F_jjP12ihipStream_tbEUljE_ZNSN_ISO_Lb0ESR_SS_SU_SV_SZ_EES10_S11_S12_S13_S17_S18_S19_S1C_S1D_jS1E_jS1F_S1F_jjS1H_bEUljE0_EEES10_S11_S12_S19_S1D_S1F_T6_T7_T9_mT8_S1H_bDpT10_ENKUlT_T0_E_clISt17integral_constantIbLb1EES1V_EEDaS1Q_S1R_EUlS1Q_E_NS1_11comp_targetILNS1_3genE3ELNS1_11target_archE908ELNS1_3gpuE7ELNS1_3repE0EEENS1_30default_config_static_selectorELNS0_4arch9wavefront6targetE0EEEvS13_,comdat
.Lfunc_end1996:
	.size	_ZN7rocprim17ROCPRIM_400000_NS6detail17trampoline_kernelINS0_13select_configILj256ELj13ELNS0_17block_load_methodE3ELS4_3ELS4_3ELNS0_20block_scan_algorithmE0ELj4294967295EEENS1_25partition_config_selectorILNS1_17partition_subalgoE4EjNS0_10empty_typeEbEEZZNS1_14partition_implILS8_4ELb0ES6_15HIP_vector_typeIjLj2EENS0_17counting_iteratorIjlEEPS9_SG_NS0_5tupleIJPjSI_NS0_16reverse_iteratorISI_EEEEENSH_IJSG_SG_SG_EEES9_SI_JZNS1_25segmented_radix_sort_implINS0_14default_configELb0EPK12hip_bfloat16PSP_PKlPlN2at6native12_GLOBAL__N_18offset_tEEE10hipError_tPvRmT1_PNSt15iterator_traitsIS13_E10value_typeET2_T3_PNS14_IS19_E10value_typeET4_jRbjT5_S1F_jjP12ihipStream_tbEUljE_ZNSN_ISO_Lb0ESR_SS_SU_SV_SZ_EES10_S11_S12_S13_S17_S18_S19_S1C_S1D_jS1E_jS1F_S1F_jjS1H_bEUljE0_EEES10_S11_S12_S19_S1D_S1F_T6_T7_T9_mT8_S1H_bDpT10_ENKUlT_T0_E_clISt17integral_constantIbLb1EES1V_EEDaS1Q_S1R_EUlS1Q_E_NS1_11comp_targetILNS1_3genE3ELNS1_11target_archE908ELNS1_3gpuE7ELNS1_3repE0EEENS1_30default_config_static_selectorELNS0_4arch9wavefront6targetE0EEEvS13_, .Lfunc_end1996-_ZN7rocprim17ROCPRIM_400000_NS6detail17trampoline_kernelINS0_13select_configILj256ELj13ELNS0_17block_load_methodE3ELS4_3ELS4_3ELNS0_20block_scan_algorithmE0ELj4294967295EEENS1_25partition_config_selectorILNS1_17partition_subalgoE4EjNS0_10empty_typeEbEEZZNS1_14partition_implILS8_4ELb0ES6_15HIP_vector_typeIjLj2EENS0_17counting_iteratorIjlEEPS9_SG_NS0_5tupleIJPjSI_NS0_16reverse_iteratorISI_EEEEENSH_IJSG_SG_SG_EEES9_SI_JZNS1_25segmented_radix_sort_implINS0_14default_configELb0EPK12hip_bfloat16PSP_PKlPlN2at6native12_GLOBAL__N_18offset_tEEE10hipError_tPvRmT1_PNSt15iterator_traitsIS13_E10value_typeET2_T3_PNS14_IS19_E10value_typeET4_jRbjT5_S1F_jjP12ihipStream_tbEUljE_ZNSN_ISO_Lb0ESR_SS_SU_SV_SZ_EES10_S11_S12_S13_S17_S18_S19_S1C_S1D_jS1E_jS1F_S1F_jjS1H_bEUljE0_EEES10_S11_S12_S19_S1D_S1F_T6_T7_T9_mT8_S1H_bDpT10_ENKUlT_T0_E_clISt17integral_constantIbLb1EES1V_EEDaS1Q_S1R_EUlS1Q_E_NS1_11comp_targetILNS1_3genE3ELNS1_11target_archE908ELNS1_3gpuE7ELNS1_3repE0EEENS1_30default_config_static_selectorELNS0_4arch9wavefront6targetE0EEEvS13_
                                        ; -- End function
	.set _ZN7rocprim17ROCPRIM_400000_NS6detail17trampoline_kernelINS0_13select_configILj256ELj13ELNS0_17block_load_methodE3ELS4_3ELS4_3ELNS0_20block_scan_algorithmE0ELj4294967295EEENS1_25partition_config_selectorILNS1_17partition_subalgoE4EjNS0_10empty_typeEbEEZZNS1_14partition_implILS8_4ELb0ES6_15HIP_vector_typeIjLj2EENS0_17counting_iteratorIjlEEPS9_SG_NS0_5tupleIJPjSI_NS0_16reverse_iteratorISI_EEEEENSH_IJSG_SG_SG_EEES9_SI_JZNS1_25segmented_radix_sort_implINS0_14default_configELb0EPK12hip_bfloat16PSP_PKlPlN2at6native12_GLOBAL__N_18offset_tEEE10hipError_tPvRmT1_PNSt15iterator_traitsIS13_E10value_typeET2_T3_PNS14_IS19_E10value_typeET4_jRbjT5_S1F_jjP12ihipStream_tbEUljE_ZNSN_ISO_Lb0ESR_SS_SU_SV_SZ_EES10_S11_S12_S13_S17_S18_S19_S1C_S1D_jS1E_jS1F_S1F_jjS1H_bEUljE0_EEES10_S11_S12_S19_S1D_S1F_T6_T7_T9_mT8_S1H_bDpT10_ENKUlT_T0_E_clISt17integral_constantIbLb1EES1V_EEDaS1Q_S1R_EUlS1Q_E_NS1_11comp_targetILNS1_3genE3ELNS1_11target_archE908ELNS1_3gpuE7ELNS1_3repE0EEENS1_30default_config_static_selectorELNS0_4arch9wavefront6targetE0EEEvS13_.num_vgpr, 0
	.set _ZN7rocprim17ROCPRIM_400000_NS6detail17trampoline_kernelINS0_13select_configILj256ELj13ELNS0_17block_load_methodE3ELS4_3ELS4_3ELNS0_20block_scan_algorithmE0ELj4294967295EEENS1_25partition_config_selectorILNS1_17partition_subalgoE4EjNS0_10empty_typeEbEEZZNS1_14partition_implILS8_4ELb0ES6_15HIP_vector_typeIjLj2EENS0_17counting_iteratorIjlEEPS9_SG_NS0_5tupleIJPjSI_NS0_16reverse_iteratorISI_EEEEENSH_IJSG_SG_SG_EEES9_SI_JZNS1_25segmented_radix_sort_implINS0_14default_configELb0EPK12hip_bfloat16PSP_PKlPlN2at6native12_GLOBAL__N_18offset_tEEE10hipError_tPvRmT1_PNSt15iterator_traitsIS13_E10value_typeET2_T3_PNS14_IS19_E10value_typeET4_jRbjT5_S1F_jjP12ihipStream_tbEUljE_ZNSN_ISO_Lb0ESR_SS_SU_SV_SZ_EES10_S11_S12_S13_S17_S18_S19_S1C_S1D_jS1E_jS1F_S1F_jjS1H_bEUljE0_EEES10_S11_S12_S19_S1D_S1F_T6_T7_T9_mT8_S1H_bDpT10_ENKUlT_T0_E_clISt17integral_constantIbLb1EES1V_EEDaS1Q_S1R_EUlS1Q_E_NS1_11comp_targetILNS1_3genE3ELNS1_11target_archE908ELNS1_3gpuE7ELNS1_3repE0EEENS1_30default_config_static_selectorELNS0_4arch9wavefront6targetE0EEEvS13_.num_agpr, 0
	.set _ZN7rocprim17ROCPRIM_400000_NS6detail17trampoline_kernelINS0_13select_configILj256ELj13ELNS0_17block_load_methodE3ELS4_3ELS4_3ELNS0_20block_scan_algorithmE0ELj4294967295EEENS1_25partition_config_selectorILNS1_17partition_subalgoE4EjNS0_10empty_typeEbEEZZNS1_14partition_implILS8_4ELb0ES6_15HIP_vector_typeIjLj2EENS0_17counting_iteratorIjlEEPS9_SG_NS0_5tupleIJPjSI_NS0_16reverse_iteratorISI_EEEEENSH_IJSG_SG_SG_EEES9_SI_JZNS1_25segmented_radix_sort_implINS0_14default_configELb0EPK12hip_bfloat16PSP_PKlPlN2at6native12_GLOBAL__N_18offset_tEEE10hipError_tPvRmT1_PNSt15iterator_traitsIS13_E10value_typeET2_T3_PNS14_IS19_E10value_typeET4_jRbjT5_S1F_jjP12ihipStream_tbEUljE_ZNSN_ISO_Lb0ESR_SS_SU_SV_SZ_EES10_S11_S12_S13_S17_S18_S19_S1C_S1D_jS1E_jS1F_S1F_jjS1H_bEUljE0_EEES10_S11_S12_S19_S1D_S1F_T6_T7_T9_mT8_S1H_bDpT10_ENKUlT_T0_E_clISt17integral_constantIbLb1EES1V_EEDaS1Q_S1R_EUlS1Q_E_NS1_11comp_targetILNS1_3genE3ELNS1_11target_archE908ELNS1_3gpuE7ELNS1_3repE0EEENS1_30default_config_static_selectorELNS0_4arch9wavefront6targetE0EEEvS13_.numbered_sgpr, 0
	.set _ZN7rocprim17ROCPRIM_400000_NS6detail17trampoline_kernelINS0_13select_configILj256ELj13ELNS0_17block_load_methodE3ELS4_3ELS4_3ELNS0_20block_scan_algorithmE0ELj4294967295EEENS1_25partition_config_selectorILNS1_17partition_subalgoE4EjNS0_10empty_typeEbEEZZNS1_14partition_implILS8_4ELb0ES6_15HIP_vector_typeIjLj2EENS0_17counting_iteratorIjlEEPS9_SG_NS0_5tupleIJPjSI_NS0_16reverse_iteratorISI_EEEEENSH_IJSG_SG_SG_EEES9_SI_JZNS1_25segmented_radix_sort_implINS0_14default_configELb0EPK12hip_bfloat16PSP_PKlPlN2at6native12_GLOBAL__N_18offset_tEEE10hipError_tPvRmT1_PNSt15iterator_traitsIS13_E10value_typeET2_T3_PNS14_IS19_E10value_typeET4_jRbjT5_S1F_jjP12ihipStream_tbEUljE_ZNSN_ISO_Lb0ESR_SS_SU_SV_SZ_EES10_S11_S12_S13_S17_S18_S19_S1C_S1D_jS1E_jS1F_S1F_jjS1H_bEUljE0_EEES10_S11_S12_S19_S1D_S1F_T6_T7_T9_mT8_S1H_bDpT10_ENKUlT_T0_E_clISt17integral_constantIbLb1EES1V_EEDaS1Q_S1R_EUlS1Q_E_NS1_11comp_targetILNS1_3genE3ELNS1_11target_archE908ELNS1_3gpuE7ELNS1_3repE0EEENS1_30default_config_static_selectorELNS0_4arch9wavefront6targetE0EEEvS13_.num_named_barrier, 0
	.set _ZN7rocprim17ROCPRIM_400000_NS6detail17trampoline_kernelINS0_13select_configILj256ELj13ELNS0_17block_load_methodE3ELS4_3ELS4_3ELNS0_20block_scan_algorithmE0ELj4294967295EEENS1_25partition_config_selectorILNS1_17partition_subalgoE4EjNS0_10empty_typeEbEEZZNS1_14partition_implILS8_4ELb0ES6_15HIP_vector_typeIjLj2EENS0_17counting_iteratorIjlEEPS9_SG_NS0_5tupleIJPjSI_NS0_16reverse_iteratorISI_EEEEENSH_IJSG_SG_SG_EEES9_SI_JZNS1_25segmented_radix_sort_implINS0_14default_configELb0EPK12hip_bfloat16PSP_PKlPlN2at6native12_GLOBAL__N_18offset_tEEE10hipError_tPvRmT1_PNSt15iterator_traitsIS13_E10value_typeET2_T3_PNS14_IS19_E10value_typeET4_jRbjT5_S1F_jjP12ihipStream_tbEUljE_ZNSN_ISO_Lb0ESR_SS_SU_SV_SZ_EES10_S11_S12_S13_S17_S18_S19_S1C_S1D_jS1E_jS1F_S1F_jjS1H_bEUljE0_EEES10_S11_S12_S19_S1D_S1F_T6_T7_T9_mT8_S1H_bDpT10_ENKUlT_T0_E_clISt17integral_constantIbLb1EES1V_EEDaS1Q_S1R_EUlS1Q_E_NS1_11comp_targetILNS1_3genE3ELNS1_11target_archE908ELNS1_3gpuE7ELNS1_3repE0EEENS1_30default_config_static_selectorELNS0_4arch9wavefront6targetE0EEEvS13_.private_seg_size, 0
	.set _ZN7rocprim17ROCPRIM_400000_NS6detail17trampoline_kernelINS0_13select_configILj256ELj13ELNS0_17block_load_methodE3ELS4_3ELS4_3ELNS0_20block_scan_algorithmE0ELj4294967295EEENS1_25partition_config_selectorILNS1_17partition_subalgoE4EjNS0_10empty_typeEbEEZZNS1_14partition_implILS8_4ELb0ES6_15HIP_vector_typeIjLj2EENS0_17counting_iteratorIjlEEPS9_SG_NS0_5tupleIJPjSI_NS0_16reverse_iteratorISI_EEEEENSH_IJSG_SG_SG_EEES9_SI_JZNS1_25segmented_radix_sort_implINS0_14default_configELb0EPK12hip_bfloat16PSP_PKlPlN2at6native12_GLOBAL__N_18offset_tEEE10hipError_tPvRmT1_PNSt15iterator_traitsIS13_E10value_typeET2_T3_PNS14_IS19_E10value_typeET4_jRbjT5_S1F_jjP12ihipStream_tbEUljE_ZNSN_ISO_Lb0ESR_SS_SU_SV_SZ_EES10_S11_S12_S13_S17_S18_S19_S1C_S1D_jS1E_jS1F_S1F_jjS1H_bEUljE0_EEES10_S11_S12_S19_S1D_S1F_T6_T7_T9_mT8_S1H_bDpT10_ENKUlT_T0_E_clISt17integral_constantIbLb1EES1V_EEDaS1Q_S1R_EUlS1Q_E_NS1_11comp_targetILNS1_3genE3ELNS1_11target_archE908ELNS1_3gpuE7ELNS1_3repE0EEENS1_30default_config_static_selectorELNS0_4arch9wavefront6targetE0EEEvS13_.uses_vcc, 0
	.set _ZN7rocprim17ROCPRIM_400000_NS6detail17trampoline_kernelINS0_13select_configILj256ELj13ELNS0_17block_load_methodE3ELS4_3ELS4_3ELNS0_20block_scan_algorithmE0ELj4294967295EEENS1_25partition_config_selectorILNS1_17partition_subalgoE4EjNS0_10empty_typeEbEEZZNS1_14partition_implILS8_4ELb0ES6_15HIP_vector_typeIjLj2EENS0_17counting_iteratorIjlEEPS9_SG_NS0_5tupleIJPjSI_NS0_16reverse_iteratorISI_EEEEENSH_IJSG_SG_SG_EEES9_SI_JZNS1_25segmented_radix_sort_implINS0_14default_configELb0EPK12hip_bfloat16PSP_PKlPlN2at6native12_GLOBAL__N_18offset_tEEE10hipError_tPvRmT1_PNSt15iterator_traitsIS13_E10value_typeET2_T3_PNS14_IS19_E10value_typeET4_jRbjT5_S1F_jjP12ihipStream_tbEUljE_ZNSN_ISO_Lb0ESR_SS_SU_SV_SZ_EES10_S11_S12_S13_S17_S18_S19_S1C_S1D_jS1E_jS1F_S1F_jjS1H_bEUljE0_EEES10_S11_S12_S19_S1D_S1F_T6_T7_T9_mT8_S1H_bDpT10_ENKUlT_T0_E_clISt17integral_constantIbLb1EES1V_EEDaS1Q_S1R_EUlS1Q_E_NS1_11comp_targetILNS1_3genE3ELNS1_11target_archE908ELNS1_3gpuE7ELNS1_3repE0EEENS1_30default_config_static_selectorELNS0_4arch9wavefront6targetE0EEEvS13_.uses_flat_scratch, 0
	.set _ZN7rocprim17ROCPRIM_400000_NS6detail17trampoline_kernelINS0_13select_configILj256ELj13ELNS0_17block_load_methodE3ELS4_3ELS4_3ELNS0_20block_scan_algorithmE0ELj4294967295EEENS1_25partition_config_selectorILNS1_17partition_subalgoE4EjNS0_10empty_typeEbEEZZNS1_14partition_implILS8_4ELb0ES6_15HIP_vector_typeIjLj2EENS0_17counting_iteratorIjlEEPS9_SG_NS0_5tupleIJPjSI_NS0_16reverse_iteratorISI_EEEEENSH_IJSG_SG_SG_EEES9_SI_JZNS1_25segmented_radix_sort_implINS0_14default_configELb0EPK12hip_bfloat16PSP_PKlPlN2at6native12_GLOBAL__N_18offset_tEEE10hipError_tPvRmT1_PNSt15iterator_traitsIS13_E10value_typeET2_T3_PNS14_IS19_E10value_typeET4_jRbjT5_S1F_jjP12ihipStream_tbEUljE_ZNSN_ISO_Lb0ESR_SS_SU_SV_SZ_EES10_S11_S12_S13_S17_S18_S19_S1C_S1D_jS1E_jS1F_S1F_jjS1H_bEUljE0_EEES10_S11_S12_S19_S1D_S1F_T6_T7_T9_mT8_S1H_bDpT10_ENKUlT_T0_E_clISt17integral_constantIbLb1EES1V_EEDaS1Q_S1R_EUlS1Q_E_NS1_11comp_targetILNS1_3genE3ELNS1_11target_archE908ELNS1_3gpuE7ELNS1_3repE0EEENS1_30default_config_static_selectorELNS0_4arch9wavefront6targetE0EEEvS13_.has_dyn_sized_stack, 0
	.set _ZN7rocprim17ROCPRIM_400000_NS6detail17trampoline_kernelINS0_13select_configILj256ELj13ELNS0_17block_load_methodE3ELS4_3ELS4_3ELNS0_20block_scan_algorithmE0ELj4294967295EEENS1_25partition_config_selectorILNS1_17partition_subalgoE4EjNS0_10empty_typeEbEEZZNS1_14partition_implILS8_4ELb0ES6_15HIP_vector_typeIjLj2EENS0_17counting_iteratorIjlEEPS9_SG_NS0_5tupleIJPjSI_NS0_16reverse_iteratorISI_EEEEENSH_IJSG_SG_SG_EEES9_SI_JZNS1_25segmented_radix_sort_implINS0_14default_configELb0EPK12hip_bfloat16PSP_PKlPlN2at6native12_GLOBAL__N_18offset_tEEE10hipError_tPvRmT1_PNSt15iterator_traitsIS13_E10value_typeET2_T3_PNS14_IS19_E10value_typeET4_jRbjT5_S1F_jjP12ihipStream_tbEUljE_ZNSN_ISO_Lb0ESR_SS_SU_SV_SZ_EES10_S11_S12_S13_S17_S18_S19_S1C_S1D_jS1E_jS1F_S1F_jjS1H_bEUljE0_EEES10_S11_S12_S19_S1D_S1F_T6_T7_T9_mT8_S1H_bDpT10_ENKUlT_T0_E_clISt17integral_constantIbLb1EES1V_EEDaS1Q_S1R_EUlS1Q_E_NS1_11comp_targetILNS1_3genE3ELNS1_11target_archE908ELNS1_3gpuE7ELNS1_3repE0EEENS1_30default_config_static_selectorELNS0_4arch9wavefront6targetE0EEEvS13_.has_recursion, 0
	.set _ZN7rocprim17ROCPRIM_400000_NS6detail17trampoline_kernelINS0_13select_configILj256ELj13ELNS0_17block_load_methodE3ELS4_3ELS4_3ELNS0_20block_scan_algorithmE0ELj4294967295EEENS1_25partition_config_selectorILNS1_17partition_subalgoE4EjNS0_10empty_typeEbEEZZNS1_14partition_implILS8_4ELb0ES6_15HIP_vector_typeIjLj2EENS0_17counting_iteratorIjlEEPS9_SG_NS0_5tupleIJPjSI_NS0_16reverse_iteratorISI_EEEEENSH_IJSG_SG_SG_EEES9_SI_JZNS1_25segmented_radix_sort_implINS0_14default_configELb0EPK12hip_bfloat16PSP_PKlPlN2at6native12_GLOBAL__N_18offset_tEEE10hipError_tPvRmT1_PNSt15iterator_traitsIS13_E10value_typeET2_T3_PNS14_IS19_E10value_typeET4_jRbjT5_S1F_jjP12ihipStream_tbEUljE_ZNSN_ISO_Lb0ESR_SS_SU_SV_SZ_EES10_S11_S12_S13_S17_S18_S19_S1C_S1D_jS1E_jS1F_S1F_jjS1H_bEUljE0_EEES10_S11_S12_S19_S1D_S1F_T6_T7_T9_mT8_S1H_bDpT10_ENKUlT_T0_E_clISt17integral_constantIbLb1EES1V_EEDaS1Q_S1R_EUlS1Q_E_NS1_11comp_targetILNS1_3genE3ELNS1_11target_archE908ELNS1_3gpuE7ELNS1_3repE0EEENS1_30default_config_static_selectorELNS0_4arch9wavefront6targetE0EEEvS13_.has_indirect_call, 0
	.section	.AMDGPU.csdata,"",@progbits
; Kernel info:
; codeLenInByte = 0
; TotalNumSgprs: 0
; NumVgprs: 0
; ScratchSize: 0
; MemoryBound: 0
; FloatMode: 240
; IeeeMode: 1
; LDSByteSize: 0 bytes/workgroup (compile time only)
; SGPRBlocks: 0
; VGPRBlocks: 0
; NumSGPRsForWavesPerEU: 1
; NumVGPRsForWavesPerEU: 1
; Occupancy: 16
; WaveLimiterHint : 0
; COMPUTE_PGM_RSRC2:SCRATCH_EN: 0
; COMPUTE_PGM_RSRC2:USER_SGPR: 2
; COMPUTE_PGM_RSRC2:TRAP_HANDLER: 0
; COMPUTE_PGM_RSRC2:TGID_X_EN: 1
; COMPUTE_PGM_RSRC2:TGID_Y_EN: 0
; COMPUTE_PGM_RSRC2:TGID_Z_EN: 0
; COMPUTE_PGM_RSRC2:TIDIG_COMP_CNT: 0
	.section	.text._ZN7rocprim17ROCPRIM_400000_NS6detail17trampoline_kernelINS0_13select_configILj256ELj13ELNS0_17block_load_methodE3ELS4_3ELS4_3ELNS0_20block_scan_algorithmE0ELj4294967295EEENS1_25partition_config_selectorILNS1_17partition_subalgoE4EjNS0_10empty_typeEbEEZZNS1_14partition_implILS8_4ELb0ES6_15HIP_vector_typeIjLj2EENS0_17counting_iteratorIjlEEPS9_SG_NS0_5tupleIJPjSI_NS0_16reverse_iteratorISI_EEEEENSH_IJSG_SG_SG_EEES9_SI_JZNS1_25segmented_radix_sort_implINS0_14default_configELb0EPK12hip_bfloat16PSP_PKlPlN2at6native12_GLOBAL__N_18offset_tEEE10hipError_tPvRmT1_PNSt15iterator_traitsIS13_E10value_typeET2_T3_PNS14_IS19_E10value_typeET4_jRbjT5_S1F_jjP12ihipStream_tbEUljE_ZNSN_ISO_Lb0ESR_SS_SU_SV_SZ_EES10_S11_S12_S13_S17_S18_S19_S1C_S1D_jS1E_jS1F_S1F_jjS1H_bEUljE0_EEES10_S11_S12_S19_S1D_S1F_T6_T7_T9_mT8_S1H_bDpT10_ENKUlT_T0_E_clISt17integral_constantIbLb1EES1V_EEDaS1Q_S1R_EUlS1Q_E_NS1_11comp_targetILNS1_3genE2ELNS1_11target_archE906ELNS1_3gpuE6ELNS1_3repE0EEENS1_30default_config_static_selectorELNS0_4arch9wavefront6targetE0EEEvS13_,"axG",@progbits,_ZN7rocprim17ROCPRIM_400000_NS6detail17trampoline_kernelINS0_13select_configILj256ELj13ELNS0_17block_load_methodE3ELS4_3ELS4_3ELNS0_20block_scan_algorithmE0ELj4294967295EEENS1_25partition_config_selectorILNS1_17partition_subalgoE4EjNS0_10empty_typeEbEEZZNS1_14partition_implILS8_4ELb0ES6_15HIP_vector_typeIjLj2EENS0_17counting_iteratorIjlEEPS9_SG_NS0_5tupleIJPjSI_NS0_16reverse_iteratorISI_EEEEENSH_IJSG_SG_SG_EEES9_SI_JZNS1_25segmented_radix_sort_implINS0_14default_configELb0EPK12hip_bfloat16PSP_PKlPlN2at6native12_GLOBAL__N_18offset_tEEE10hipError_tPvRmT1_PNSt15iterator_traitsIS13_E10value_typeET2_T3_PNS14_IS19_E10value_typeET4_jRbjT5_S1F_jjP12ihipStream_tbEUljE_ZNSN_ISO_Lb0ESR_SS_SU_SV_SZ_EES10_S11_S12_S13_S17_S18_S19_S1C_S1D_jS1E_jS1F_S1F_jjS1H_bEUljE0_EEES10_S11_S12_S19_S1D_S1F_T6_T7_T9_mT8_S1H_bDpT10_ENKUlT_T0_E_clISt17integral_constantIbLb1EES1V_EEDaS1Q_S1R_EUlS1Q_E_NS1_11comp_targetILNS1_3genE2ELNS1_11target_archE906ELNS1_3gpuE6ELNS1_3repE0EEENS1_30default_config_static_selectorELNS0_4arch9wavefront6targetE0EEEvS13_,comdat
	.globl	_ZN7rocprim17ROCPRIM_400000_NS6detail17trampoline_kernelINS0_13select_configILj256ELj13ELNS0_17block_load_methodE3ELS4_3ELS4_3ELNS0_20block_scan_algorithmE0ELj4294967295EEENS1_25partition_config_selectorILNS1_17partition_subalgoE4EjNS0_10empty_typeEbEEZZNS1_14partition_implILS8_4ELb0ES6_15HIP_vector_typeIjLj2EENS0_17counting_iteratorIjlEEPS9_SG_NS0_5tupleIJPjSI_NS0_16reverse_iteratorISI_EEEEENSH_IJSG_SG_SG_EEES9_SI_JZNS1_25segmented_radix_sort_implINS0_14default_configELb0EPK12hip_bfloat16PSP_PKlPlN2at6native12_GLOBAL__N_18offset_tEEE10hipError_tPvRmT1_PNSt15iterator_traitsIS13_E10value_typeET2_T3_PNS14_IS19_E10value_typeET4_jRbjT5_S1F_jjP12ihipStream_tbEUljE_ZNSN_ISO_Lb0ESR_SS_SU_SV_SZ_EES10_S11_S12_S13_S17_S18_S19_S1C_S1D_jS1E_jS1F_S1F_jjS1H_bEUljE0_EEES10_S11_S12_S19_S1D_S1F_T6_T7_T9_mT8_S1H_bDpT10_ENKUlT_T0_E_clISt17integral_constantIbLb1EES1V_EEDaS1Q_S1R_EUlS1Q_E_NS1_11comp_targetILNS1_3genE2ELNS1_11target_archE906ELNS1_3gpuE6ELNS1_3repE0EEENS1_30default_config_static_selectorELNS0_4arch9wavefront6targetE0EEEvS13_ ; -- Begin function _ZN7rocprim17ROCPRIM_400000_NS6detail17trampoline_kernelINS0_13select_configILj256ELj13ELNS0_17block_load_methodE3ELS4_3ELS4_3ELNS0_20block_scan_algorithmE0ELj4294967295EEENS1_25partition_config_selectorILNS1_17partition_subalgoE4EjNS0_10empty_typeEbEEZZNS1_14partition_implILS8_4ELb0ES6_15HIP_vector_typeIjLj2EENS0_17counting_iteratorIjlEEPS9_SG_NS0_5tupleIJPjSI_NS0_16reverse_iteratorISI_EEEEENSH_IJSG_SG_SG_EEES9_SI_JZNS1_25segmented_radix_sort_implINS0_14default_configELb0EPK12hip_bfloat16PSP_PKlPlN2at6native12_GLOBAL__N_18offset_tEEE10hipError_tPvRmT1_PNSt15iterator_traitsIS13_E10value_typeET2_T3_PNS14_IS19_E10value_typeET4_jRbjT5_S1F_jjP12ihipStream_tbEUljE_ZNSN_ISO_Lb0ESR_SS_SU_SV_SZ_EES10_S11_S12_S13_S17_S18_S19_S1C_S1D_jS1E_jS1F_S1F_jjS1H_bEUljE0_EEES10_S11_S12_S19_S1D_S1F_T6_T7_T9_mT8_S1H_bDpT10_ENKUlT_T0_E_clISt17integral_constantIbLb1EES1V_EEDaS1Q_S1R_EUlS1Q_E_NS1_11comp_targetILNS1_3genE2ELNS1_11target_archE906ELNS1_3gpuE6ELNS1_3repE0EEENS1_30default_config_static_selectorELNS0_4arch9wavefront6targetE0EEEvS13_
	.p2align	8
	.type	_ZN7rocprim17ROCPRIM_400000_NS6detail17trampoline_kernelINS0_13select_configILj256ELj13ELNS0_17block_load_methodE3ELS4_3ELS4_3ELNS0_20block_scan_algorithmE0ELj4294967295EEENS1_25partition_config_selectorILNS1_17partition_subalgoE4EjNS0_10empty_typeEbEEZZNS1_14partition_implILS8_4ELb0ES6_15HIP_vector_typeIjLj2EENS0_17counting_iteratorIjlEEPS9_SG_NS0_5tupleIJPjSI_NS0_16reverse_iteratorISI_EEEEENSH_IJSG_SG_SG_EEES9_SI_JZNS1_25segmented_radix_sort_implINS0_14default_configELb0EPK12hip_bfloat16PSP_PKlPlN2at6native12_GLOBAL__N_18offset_tEEE10hipError_tPvRmT1_PNSt15iterator_traitsIS13_E10value_typeET2_T3_PNS14_IS19_E10value_typeET4_jRbjT5_S1F_jjP12ihipStream_tbEUljE_ZNSN_ISO_Lb0ESR_SS_SU_SV_SZ_EES10_S11_S12_S13_S17_S18_S19_S1C_S1D_jS1E_jS1F_S1F_jjS1H_bEUljE0_EEES10_S11_S12_S19_S1D_S1F_T6_T7_T9_mT8_S1H_bDpT10_ENKUlT_T0_E_clISt17integral_constantIbLb1EES1V_EEDaS1Q_S1R_EUlS1Q_E_NS1_11comp_targetILNS1_3genE2ELNS1_11target_archE906ELNS1_3gpuE6ELNS1_3repE0EEENS1_30default_config_static_selectorELNS0_4arch9wavefront6targetE0EEEvS13_,@function
_ZN7rocprim17ROCPRIM_400000_NS6detail17trampoline_kernelINS0_13select_configILj256ELj13ELNS0_17block_load_methodE3ELS4_3ELS4_3ELNS0_20block_scan_algorithmE0ELj4294967295EEENS1_25partition_config_selectorILNS1_17partition_subalgoE4EjNS0_10empty_typeEbEEZZNS1_14partition_implILS8_4ELb0ES6_15HIP_vector_typeIjLj2EENS0_17counting_iteratorIjlEEPS9_SG_NS0_5tupleIJPjSI_NS0_16reverse_iteratorISI_EEEEENSH_IJSG_SG_SG_EEES9_SI_JZNS1_25segmented_radix_sort_implINS0_14default_configELb0EPK12hip_bfloat16PSP_PKlPlN2at6native12_GLOBAL__N_18offset_tEEE10hipError_tPvRmT1_PNSt15iterator_traitsIS13_E10value_typeET2_T3_PNS14_IS19_E10value_typeET4_jRbjT5_S1F_jjP12ihipStream_tbEUljE_ZNSN_ISO_Lb0ESR_SS_SU_SV_SZ_EES10_S11_S12_S13_S17_S18_S19_S1C_S1D_jS1E_jS1F_S1F_jjS1H_bEUljE0_EEES10_S11_S12_S19_S1D_S1F_T6_T7_T9_mT8_S1H_bDpT10_ENKUlT_T0_E_clISt17integral_constantIbLb1EES1V_EEDaS1Q_S1R_EUlS1Q_E_NS1_11comp_targetILNS1_3genE2ELNS1_11target_archE906ELNS1_3gpuE6ELNS1_3repE0EEENS1_30default_config_static_selectorELNS0_4arch9wavefront6targetE0EEEvS13_: ; @_ZN7rocprim17ROCPRIM_400000_NS6detail17trampoline_kernelINS0_13select_configILj256ELj13ELNS0_17block_load_methodE3ELS4_3ELS4_3ELNS0_20block_scan_algorithmE0ELj4294967295EEENS1_25partition_config_selectorILNS1_17partition_subalgoE4EjNS0_10empty_typeEbEEZZNS1_14partition_implILS8_4ELb0ES6_15HIP_vector_typeIjLj2EENS0_17counting_iteratorIjlEEPS9_SG_NS0_5tupleIJPjSI_NS0_16reverse_iteratorISI_EEEEENSH_IJSG_SG_SG_EEES9_SI_JZNS1_25segmented_radix_sort_implINS0_14default_configELb0EPK12hip_bfloat16PSP_PKlPlN2at6native12_GLOBAL__N_18offset_tEEE10hipError_tPvRmT1_PNSt15iterator_traitsIS13_E10value_typeET2_T3_PNS14_IS19_E10value_typeET4_jRbjT5_S1F_jjP12ihipStream_tbEUljE_ZNSN_ISO_Lb0ESR_SS_SU_SV_SZ_EES10_S11_S12_S13_S17_S18_S19_S1C_S1D_jS1E_jS1F_S1F_jjS1H_bEUljE0_EEES10_S11_S12_S19_S1D_S1F_T6_T7_T9_mT8_S1H_bDpT10_ENKUlT_T0_E_clISt17integral_constantIbLb1EES1V_EEDaS1Q_S1R_EUlS1Q_E_NS1_11comp_targetILNS1_3genE2ELNS1_11target_archE906ELNS1_3gpuE6ELNS1_3repE0EEENS1_30default_config_static_selectorELNS0_4arch9wavefront6targetE0EEEvS13_
; %bb.0:
	.section	.rodata,"a",@progbits
	.p2align	6, 0x0
	.amdhsa_kernel _ZN7rocprim17ROCPRIM_400000_NS6detail17trampoline_kernelINS0_13select_configILj256ELj13ELNS0_17block_load_methodE3ELS4_3ELS4_3ELNS0_20block_scan_algorithmE0ELj4294967295EEENS1_25partition_config_selectorILNS1_17partition_subalgoE4EjNS0_10empty_typeEbEEZZNS1_14partition_implILS8_4ELb0ES6_15HIP_vector_typeIjLj2EENS0_17counting_iteratorIjlEEPS9_SG_NS0_5tupleIJPjSI_NS0_16reverse_iteratorISI_EEEEENSH_IJSG_SG_SG_EEES9_SI_JZNS1_25segmented_radix_sort_implINS0_14default_configELb0EPK12hip_bfloat16PSP_PKlPlN2at6native12_GLOBAL__N_18offset_tEEE10hipError_tPvRmT1_PNSt15iterator_traitsIS13_E10value_typeET2_T3_PNS14_IS19_E10value_typeET4_jRbjT5_S1F_jjP12ihipStream_tbEUljE_ZNSN_ISO_Lb0ESR_SS_SU_SV_SZ_EES10_S11_S12_S13_S17_S18_S19_S1C_S1D_jS1E_jS1F_S1F_jjS1H_bEUljE0_EEES10_S11_S12_S19_S1D_S1F_T6_T7_T9_mT8_S1H_bDpT10_ENKUlT_T0_E_clISt17integral_constantIbLb1EES1V_EEDaS1Q_S1R_EUlS1Q_E_NS1_11comp_targetILNS1_3genE2ELNS1_11target_archE906ELNS1_3gpuE6ELNS1_3repE0EEENS1_30default_config_static_selectorELNS0_4arch9wavefront6targetE0EEEvS13_
		.amdhsa_group_segment_fixed_size 0
		.amdhsa_private_segment_fixed_size 0
		.amdhsa_kernarg_size 184
		.amdhsa_user_sgpr_count 2
		.amdhsa_user_sgpr_dispatch_ptr 0
		.amdhsa_user_sgpr_queue_ptr 0
		.amdhsa_user_sgpr_kernarg_segment_ptr 1
		.amdhsa_user_sgpr_dispatch_id 0
		.amdhsa_user_sgpr_private_segment_size 0
		.amdhsa_wavefront_size32 1
		.amdhsa_uses_dynamic_stack 0
		.amdhsa_enable_private_segment 0
		.amdhsa_system_sgpr_workgroup_id_x 1
		.amdhsa_system_sgpr_workgroup_id_y 0
		.amdhsa_system_sgpr_workgroup_id_z 0
		.amdhsa_system_sgpr_workgroup_info 0
		.amdhsa_system_vgpr_workitem_id 0
		.amdhsa_next_free_vgpr 1
		.amdhsa_next_free_sgpr 1
		.amdhsa_reserve_vcc 0
		.amdhsa_float_round_mode_32 0
		.amdhsa_float_round_mode_16_64 0
		.amdhsa_float_denorm_mode_32 3
		.amdhsa_float_denorm_mode_16_64 3
		.amdhsa_fp16_overflow 0
		.amdhsa_workgroup_processor_mode 1
		.amdhsa_memory_ordered 1
		.amdhsa_forward_progress 1
		.amdhsa_inst_pref_size 0
		.amdhsa_round_robin_scheduling 0
		.amdhsa_exception_fp_ieee_invalid_op 0
		.amdhsa_exception_fp_denorm_src 0
		.amdhsa_exception_fp_ieee_div_zero 0
		.amdhsa_exception_fp_ieee_overflow 0
		.amdhsa_exception_fp_ieee_underflow 0
		.amdhsa_exception_fp_ieee_inexact 0
		.amdhsa_exception_int_div_zero 0
	.end_amdhsa_kernel
	.section	.text._ZN7rocprim17ROCPRIM_400000_NS6detail17trampoline_kernelINS0_13select_configILj256ELj13ELNS0_17block_load_methodE3ELS4_3ELS4_3ELNS0_20block_scan_algorithmE0ELj4294967295EEENS1_25partition_config_selectorILNS1_17partition_subalgoE4EjNS0_10empty_typeEbEEZZNS1_14partition_implILS8_4ELb0ES6_15HIP_vector_typeIjLj2EENS0_17counting_iteratorIjlEEPS9_SG_NS0_5tupleIJPjSI_NS0_16reverse_iteratorISI_EEEEENSH_IJSG_SG_SG_EEES9_SI_JZNS1_25segmented_radix_sort_implINS0_14default_configELb0EPK12hip_bfloat16PSP_PKlPlN2at6native12_GLOBAL__N_18offset_tEEE10hipError_tPvRmT1_PNSt15iterator_traitsIS13_E10value_typeET2_T3_PNS14_IS19_E10value_typeET4_jRbjT5_S1F_jjP12ihipStream_tbEUljE_ZNSN_ISO_Lb0ESR_SS_SU_SV_SZ_EES10_S11_S12_S13_S17_S18_S19_S1C_S1D_jS1E_jS1F_S1F_jjS1H_bEUljE0_EEES10_S11_S12_S19_S1D_S1F_T6_T7_T9_mT8_S1H_bDpT10_ENKUlT_T0_E_clISt17integral_constantIbLb1EES1V_EEDaS1Q_S1R_EUlS1Q_E_NS1_11comp_targetILNS1_3genE2ELNS1_11target_archE906ELNS1_3gpuE6ELNS1_3repE0EEENS1_30default_config_static_selectorELNS0_4arch9wavefront6targetE0EEEvS13_,"axG",@progbits,_ZN7rocprim17ROCPRIM_400000_NS6detail17trampoline_kernelINS0_13select_configILj256ELj13ELNS0_17block_load_methodE3ELS4_3ELS4_3ELNS0_20block_scan_algorithmE0ELj4294967295EEENS1_25partition_config_selectorILNS1_17partition_subalgoE4EjNS0_10empty_typeEbEEZZNS1_14partition_implILS8_4ELb0ES6_15HIP_vector_typeIjLj2EENS0_17counting_iteratorIjlEEPS9_SG_NS0_5tupleIJPjSI_NS0_16reverse_iteratorISI_EEEEENSH_IJSG_SG_SG_EEES9_SI_JZNS1_25segmented_radix_sort_implINS0_14default_configELb0EPK12hip_bfloat16PSP_PKlPlN2at6native12_GLOBAL__N_18offset_tEEE10hipError_tPvRmT1_PNSt15iterator_traitsIS13_E10value_typeET2_T3_PNS14_IS19_E10value_typeET4_jRbjT5_S1F_jjP12ihipStream_tbEUljE_ZNSN_ISO_Lb0ESR_SS_SU_SV_SZ_EES10_S11_S12_S13_S17_S18_S19_S1C_S1D_jS1E_jS1F_S1F_jjS1H_bEUljE0_EEES10_S11_S12_S19_S1D_S1F_T6_T7_T9_mT8_S1H_bDpT10_ENKUlT_T0_E_clISt17integral_constantIbLb1EES1V_EEDaS1Q_S1R_EUlS1Q_E_NS1_11comp_targetILNS1_3genE2ELNS1_11target_archE906ELNS1_3gpuE6ELNS1_3repE0EEENS1_30default_config_static_selectorELNS0_4arch9wavefront6targetE0EEEvS13_,comdat
.Lfunc_end1997:
	.size	_ZN7rocprim17ROCPRIM_400000_NS6detail17trampoline_kernelINS0_13select_configILj256ELj13ELNS0_17block_load_methodE3ELS4_3ELS4_3ELNS0_20block_scan_algorithmE0ELj4294967295EEENS1_25partition_config_selectorILNS1_17partition_subalgoE4EjNS0_10empty_typeEbEEZZNS1_14partition_implILS8_4ELb0ES6_15HIP_vector_typeIjLj2EENS0_17counting_iteratorIjlEEPS9_SG_NS0_5tupleIJPjSI_NS0_16reverse_iteratorISI_EEEEENSH_IJSG_SG_SG_EEES9_SI_JZNS1_25segmented_radix_sort_implINS0_14default_configELb0EPK12hip_bfloat16PSP_PKlPlN2at6native12_GLOBAL__N_18offset_tEEE10hipError_tPvRmT1_PNSt15iterator_traitsIS13_E10value_typeET2_T3_PNS14_IS19_E10value_typeET4_jRbjT5_S1F_jjP12ihipStream_tbEUljE_ZNSN_ISO_Lb0ESR_SS_SU_SV_SZ_EES10_S11_S12_S13_S17_S18_S19_S1C_S1D_jS1E_jS1F_S1F_jjS1H_bEUljE0_EEES10_S11_S12_S19_S1D_S1F_T6_T7_T9_mT8_S1H_bDpT10_ENKUlT_T0_E_clISt17integral_constantIbLb1EES1V_EEDaS1Q_S1R_EUlS1Q_E_NS1_11comp_targetILNS1_3genE2ELNS1_11target_archE906ELNS1_3gpuE6ELNS1_3repE0EEENS1_30default_config_static_selectorELNS0_4arch9wavefront6targetE0EEEvS13_, .Lfunc_end1997-_ZN7rocprim17ROCPRIM_400000_NS6detail17trampoline_kernelINS0_13select_configILj256ELj13ELNS0_17block_load_methodE3ELS4_3ELS4_3ELNS0_20block_scan_algorithmE0ELj4294967295EEENS1_25partition_config_selectorILNS1_17partition_subalgoE4EjNS0_10empty_typeEbEEZZNS1_14partition_implILS8_4ELb0ES6_15HIP_vector_typeIjLj2EENS0_17counting_iteratorIjlEEPS9_SG_NS0_5tupleIJPjSI_NS0_16reverse_iteratorISI_EEEEENSH_IJSG_SG_SG_EEES9_SI_JZNS1_25segmented_radix_sort_implINS0_14default_configELb0EPK12hip_bfloat16PSP_PKlPlN2at6native12_GLOBAL__N_18offset_tEEE10hipError_tPvRmT1_PNSt15iterator_traitsIS13_E10value_typeET2_T3_PNS14_IS19_E10value_typeET4_jRbjT5_S1F_jjP12ihipStream_tbEUljE_ZNSN_ISO_Lb0ESR_SS_SU_SV_SZ_EES10_S11_S12_S13_S17_S18_S19_S1C_S1D_jS1E_jS1F_S1F_jjS1H_bEUljE0_EEES10_S11_S12_S19_S1D_S1F_T6_T7_T9_mT8_S1H_bDpT10_ENKUlT_T0_E_clISt17integral_constantIbLb1EES1V_EEDaS1Q_S1R_EUlS1Q_E_NS1_11comp_targetILNS1_3genE2ELNS1_11target_archE906ELNS1_3gpuE6ELNS1_3repE0EEENS1_30default_config_static_selectorELNS0_4arch9wavefront6targetE0EEEvS13_
                                        ; -- End function
	.set _ZN7rocprim17ROCPRIM_400000_NS6detail17trampoline_kernelINS0_13select_configILj256ELj13ELNS0_17block_load_methodE3ELS4_3ELS4_3ELNS0_20block_scan_algorithmE0ELj4294967295EEENS1_25partition_config_selectorILNS1_17partition_subalgoE4EjNS0_10empty_typeEbEEZZNS1_14partition_implILS8_4ELb0ES6_15HIP_vector_typeIjLj2EENS0_17counting_iteratorIjlEEPS9_SG_NS0_5tupleIJPjSI_NS0_16reverse_iteratorISI_EEEEENSH_IJSG_SG_SG_EEES9_SI_JZNS1_25segmented_radix_sort_implINS0_14default_configELb0EPK12hip_bfloat16PSP_PKlPlN2at6native12_GLOBAL__N_18offset_tEEE10hipError_tPvRmT1_PNSt15iterator_traitsIS13_E10value_typeET2_T3_PNS14_IS19_E10value_typeET4_jRbjT5_S1F_jjP12ihipStream_tbEUljE_ZNSN_ISO_Lb0ESR_SS_SU_SV_SZ_EES10_S11_S12_S13_S17_S18_S19_S1C_S1D_jS1E_jS1F_S1F_jjS1H_bEUljE0_EEES10_S11_S12_S19_S1D_S1F_T6_T7_T9_mT8_S1H_bDpT10_ENKUlT_T0_E_clISt17integral_constantIbLb1EES1V_EEDaS1Q_S1R_EUlS1Q_E_NS1_11comp_targetILNS1_3genE2ELNS1_11target_archE906ELNS1_3gpuE6ELNS1_3repE0EEENS1_30default_config_static_selectorELNS0_4arch9wavefront6targetE0EEEvS13_.num_vgpr, 0
	.set _ZN7rocprim17ROCPRIM_400000_NS6detail17trampoline_kernelINS0_13select_configILj256ELj13ELNS0_17block_load_methodE3ELS4_3ELS4_3ELNS0_20block_scan_algorithmE0ELj4294967295EEENS1_25partition_config_selectorILNS1_17partition_subalgoE4EjNS0_10empty_typeEbEEZZNS1_14partition_implILS8_4ELb0ES6_15HIP_vector_typeIjLj2EENS0_17counting_iteratorIjlEEPS9_SG_NS0_5tupleIJPjSI_NS0_16reverse_iteratorISI_EEEEENSH_IJSG_SG_SG_EEES9_SI_JZNS1_25segmented_radix_sort_implINS0_14default_configELb0EPK12hip_bfloat16PSP_PKlPlN2at6native12_GLOBAL__N_18offset_tEEE10hipError_tPvRmT1_PNSt15iterator_traitsIS13_E10value_typeET2_T3_PNS14_IS19_E10value_typeET4_jRbjT5_S1F_jjP12ihipStream_tbEUljE_ZNSN_ISO_Lb0ESR_SS_SU_SV_SZ_EES10_S11_S12_S13_S17_S18_S19_S1C_S1D_jS1E_jS1F_S1F_jjS1H_bEUljE0_EEES10_S11_S12_S19_S1D_S1F_T6_T7_T9_mT8_S1H_bDpT10_ENKUlT_T0_E_clISt17integral_constantIbLb1EES1V_EEDaS1Q_S1R_EUlS1Q_E_NS1_11comp_targetILNS1_3genE2ELNS1_11target_archE906ELNS1_3gpuE6ELNS1_3repE0EEENS1_30default_config_static_selectorELNS0_4arch9wavefront6targetE0EEEvS13_.num_agpr, 0
	.set _ZN7rocprim17ROCPRIM_400000_NS6detail17trampoline_kernelINS0_13select_configILj256ELj13ELNS0_17block_load_methodE3ELS4_3ELS4_3ELNS0_20block_scan_algorithmE0ELj4294967295EEENS1_25partition_config_selectorILNS1_17partition_subalgoE4EjNS0_10empty_typeEbEEZZNS1_14partition_implILS8_4ELb0ES6_15HIP_vector_typeIjLj2EENS0_17counting_iteratorIjlEEPS9_SG_NS0_5tupleIJPjSI_NS0_16reverse_iteratorISI_EEEEENSH_IJSG_SG_SG_EEES9_SI_JZNS1_25segmented_radix_sort_implINS0_14default_configELb0EPK12hip_bfloat16PSP_PKlPlN2at6native12_GLOBAL__N_18offset_tEEE10hipError_tPvRmT1_PNSt15iterator_traitsIS13_E10value_typeET2_T3_PNS14_IS19_E10value_typeET4_jRbjT5_S1F_jjP12ihipStream_tbEUljE_ZNSN_ISO_Lb0ESR_SS_SU_SV_SZ_EES10_S11_S12_S13_S17_S18_S19_S1C_S1D_jS1E_jS1F_S1F_jjS1H_bEUljE0_EEES10_S11_S12_S19_S1D_S1F_T6_T7_T9_mT8_S1H_bDpT10_ENKUlT_T0_E_clISt17integral_constantIbLb1EES1V_EEDaS1Q_S1R_EUlS1Q_E_NS1_11comp_targetILNS1_3genE2ELNS1_11target_archE906ELNS1_3gpuE6ELNS1_3repE0EEENS1_30default_config_static_selectorELNS0_4arch9wavefront6targetE0EEEvS13_.numbered_sgpr, 0
	.set _ZN7rocprim17ROCPRIM_400000_NS6detail17trampoline_kernelINS0_13select_configILj256ELj13ELNS0_17block_load_methodE3ELS4_3ELS4_3ELNS0_20block_scan_algorithmE0ELj4294967295EEENS1_25partition_config_selectorILNS1_17partition_subalgoE4EjNS0_10empty_typeEbEEZZNS1_14partition_implILS8_4ELb0ES6_15HIP_vector_typeIjLj2EENS0_17counting_iteratorIjlEEPS9_SG_NS0_5tupleIJPjSI_NS0_16reverse_iteratorISI_EEEEENSH_IJSG_SG_SG_EEES9_SI_JZNS1_25segmented_radix_sort_implINS0_14default_configELb0EPK12hip_bfloat16PSP_PKlPlN2at6native12_GLOBAL__N_18offset_tEEE10hipError_tPvRmT1_PNSt15iterator_traitsIS13_E10value_typeET2_T3_PNS14_IS19_E10value_typeET4_jRbjT5_S1F_jjP12ihipStream_tbEUljE_ZNSN_ISO_Lb0ESR_SS_SU_SV_SZ_EES10_S11_S12_S13_S17_S18_S19_S1C_S1D_jS1E_jS1F_S1F_jjS1H_bEUljE0_EEES10_S11_S12_S19_S1D_S1F_T6_T7_T9_mT8_S1H_bDpT10_ENKUlT_T0_E_clISt17integral_constantIbLb1EES1V_EEDaS1Q_S1R_EUlS1Q_E_NS1_11comp_targetILNS1_3genE2ELNS1_11target_archE906ELNS1_3gpuE6ELNS1_3repE0EEENS1_30default_config_static_selectorELNS0_4arch9wavefront6targetE0EEEvS13_.num_named_barrier, 0
	.set _ZN7rocprim17ROCPRIM_400000_NS6detail17trampoline_kernelINS0_13select_configILj256ELj13ELNS0_17block_load_methodE3ELS4_3ELS4_3ELNS0_20block_scan_algorithmE0ELj4294967295EEENS1_25partition_config_selectorILNS1_17partition_subalgoE4EjNS0_10empty_typeEbEEZZNS1_14partition_implILS8_4ELb0ES6_15HIP_vector_typeIjLj2EENS0_17counting_iteratorIjlEEPS9_SG_NS0_5tupleIJPjSI_NS0_16reverse_iteratorISI_EEEEENSH_IJSG_SG_SG_EEES9_SI_JZNS1_25segmented_radix_sort_implINS0_14default_configELb0EPK12hip_bfloat16PSP_PKlPlN2at6native12_GLOBAL__N_18offset_tEEE10hipError_tPvRmT1_PNSt15iterator_traitsIS13_E10value_typeET2_T3_PNS14_IS19_E10value_typeET4_jRbjT5_S1F_jjP12ihipStream_tbEUljE_ZNSN_ISO_Lb0ESR_SS_SU_SV_SZ_EES10_S11_S12_S13_S17_S18_S19_S1C_S1D_jS1E_jS1F_S1F_jjS1H_bEUljE0_EEES10_S11_S12_S19_S1D_S1F_T6_T7_T9_mT8_S1H_bDpT10_ENKUlT_T0_E_clISt17integral_constantIbLb1EES1V_EEDaS1Q_S1R_EUlS1Q_E_NS1_11comp_targetILNS1_3genE2ELNS1_11target_archE906ELNS1_3gpuE6ELNS1_3repE0EEENS1_30default_config_static_selectorELNS0_4arch9wavefront6targetE0EEEvS13_.private_seg_size, 0
	.set _ZN7rocprim17ROCPRIM_400000_NS6detail17trampoline_kernelINS0_13select_configILj256ELj13ELNS0_17block_load_methodE3ELS4_3ELS4_3ELNS0_20block_scan_algorithmE0ELj4294967295EEENS1_25partition_config_selectorILNS1_17partition_subalgoE4EjNS0_10empty_typeEbEEZZNS1_14partition_implILS8_4ELb0ES6_15HIP_vector_typeIjLj2EENS0_17counting_iteratorIjlEEPS9_SG_NS0_5tupleIJPjSI_NS0_16reverse_iteratorISI_EEEEENSH_IJSG_SG_SG_EEES9_SI_JZNS1_25segmented_radix_sort_implINS0_14default_configELb0EPK12hip_bfloat16PSP_PKlPlN2at6native12_GLOBAL__N_18offset_tEEE10hipError_tPvRmT1_PNSt15iterator_traitsIS13_E10value_typeET2_T3_PNS14_IS19_E10value_typeET4_jRbjT5_S1F_jjP12ihipStream_tbEUljE_ZNSN_ISO_Lb0ESR_SS_SU_SV_SZ_EES10_S11_S12_S13_S17_S18_S19_S1C_S1D_jS1E_jS1F_S1F_jjS1H_bEUljE0_EEES10_S11_S12_S19_S1D_S1F_T6_T7_T9_mT8_S1H_bDpT10_ENKUlT_T0_E_clISt17integral_constantIbLb1EES1V_EEDaS1Q_S1R_EUlS1Q_E_NS1_11comp_targetILNS1_3genE2ELNS1_11target_archE906ELNS1_3gpuE6ELNS1_3repE0EEENS1_30default_config_static_selectorELNS0_4arch9wavefront6targetE0EEEvS13_.uses_vcc, 0
	.set _ZN7rocprim17ROCPRIM_400000_NS6detail17trampoline_kernelINS0_13select_configILj256ELj13ELNS0_17block_load_methodE3ELS4_3ELS4_3ELNS0_20block_scan_algorithmE0ELj4294967295EEENS1_25partition_config_selectorILNS1_17partition_subalgoE4EjNS0_10empty_typeEbEEZZNS1_14partition_implILS8_4ELb0ES6_15HIP_vector_typeIjLj2EENS0_17counting_iteratorIjlEEPS9_SG_NS0_5tupleIJPjSI_NS0_16reverse_iteratorISI_EEEEENSH_IJSG_SG_SG_EEES9_SI_JZNS1_25segmented_radix_sort_implINS0_14default_configELb0EPK12hip_bfloat16PSP_PKlPlN2at6native12_GLOBAL__N_18offset_tEEE10hipError_tPvRmT1_PNSt15iterator_traitsIS13_E10value_typeET2_T3_PNS14_IS19_E10value_typeET4_jRbjT5_S1F_jjP12ihipStream_tbEUljE_ZNSN_ISO_Lb0ESR_SS_SU_SV_SZ_EES10_S11_S12_S13_S17_S18_S19_S1C_S1D_jS1E_jS1F_S1F_jjS1H_bEUljE0_EEES10_S11_S12_S19_S1D_S1F_T6_T7_T9_mT8_S1H_bDpT10_ENKUlT_T0_E_clISt17integral_constantIbLb1EES1V_EEDaS1Q_S1R_EUlS1Q_E_NS1_11comp_targetILNS1_3genE2ELNS1_11target_archE906ELNS1_3gpuE6ELNS1_3repE0EEENS1_30default_config_static_selectorELNS0_4arch9wavefront6targetE0EEEvS13_.uses_flat_scratch, 0
	.set _ZN7rocprim17ROCPRIM_400000_NS6detail17trampoline_kernelINS0_13select_configILj256ELj13ELNS0_17block_load_methodE3ELS4_3ELS4_3ELNS0_20block_scan_algorithmE0ELj4294967295EEENS1_25partition_config_selectorILNS1_17partition_subalgoE4EjNS0_10empty_typeEbEEZZNS1_14partition_implILS8_4ELb0ES6_15HIP_vector_typeIjLj2EENS0_17counting_iteratorIjlEEPS9_SG_NS0_5tupleIJPjSI_NS0_16reverse_iteratorISI_EEEEENSH_IJSG_SG_SG_EEES9_SI_JZNS1_25segmented_radix_sort_implINS0_14default_configELb0EPK12hip_bfloat16PSP_PKlPlN2at6native12_GLOBAL__N_18offset_tEEE10hipError_tPvRmT1_PNSt15iterator_traitsIS13_E10value_typeET2_T3_PNS14_IS19_E10value_typeET4_jRbjT5_S1F_jjP12ihipStream_tbEUljE_ZNSN_ISO_Lb0ESR_SS_SU_SV_SZ_EES10_S11_S12_S13_S17_S18_S19_S1C_S1D_jS1E_jS1F_S1F_jjS1H_bEUljE0_EEES10_S11_S12_S19_S1D_S1F_T6_T7_T9_mT8_S1H_bDpT10_ENKUlT_T0_E_clISt17integral_constantIbLb1EES1V_EEDaS1Q_S1R_EUlS1Q_E_NS1_11comp_targetILNS1_3genE2ELNS1_11target_archE906ELNS1_3gpuE6ELNS1_3repE0EEENS1_30default_config_static_selectorELNS0_4arch9wavefront6targetE0EEEvS13_.has_dyn_sized_stack, 0
	.set _ZN7rocprim17ROCPRIM_400000_NS6detail17trampoline_kernelINS0_13select_configILj256ELj13ELNS0_17block_load_methodE3ELS4_3ELS4_3ELNS0_20block_scan_algorithmE0ELj4294967295EEENS1_25partition_config_selectorILNS1_17partition_subalgoE4EjNS0_10empty_typeEbEEZZNS1_14partition_implILS8_4ELb0ES6_15HIP_vector_typeIjLj2EENS0_17counting_iteratorIjlEEPS9_SG_NS0_5tupleIJPjSI_NS0_16reverse_iteratorISI_EEEEENSH_IJSG_SG_SG_EEES9_SI_JZNS1_25segmented_radix_sort_implINS0_14default_configELb0EPK12hip_bfloat16PSP_PKlPlN2at6native12_GLOBAL__N_18offset_tEEE10hipError_tPvRmT1_PNSt15iterator_traitsIS13_E10value_typeET2_T3_PNS14_IS19_E10value_typeET4_jRbjT5_S1F_jjP12ihipStream_tbEUljE_ZNSN_ISO_Lb0ESR_SS_SU_SV_SZ_EES10_S11_S12_S13_S17_S18_S19_S1C_S1D_jS1E_jS1F_S1F_jjS1H_bEUljE0_EEES10_S11_S12_S19_S1D_S1F_T6_T7_T9_mT8_S1H_bDpT10_ENKUlT_T0_E_clISt17integral_constantIbLb1EES1V_EEDaS1Q_S1R_EUlS1Q_E_NS1_11comp_targetILNS1_3genE2ELNS1_11target_archE906ELNS1_3gpuE6ELNS1_3repE0EEENS1_30default_config_static_selectorELNS0_4arch9wavefront6targetE0EEEvS13_.has_recursion, 0
	.set _ZN7rocprim17ROCPRIM_400000_NS6detail17trampoline_kernelINS0_13select_configILj256ELj13ELNS0_17block_load_methodE3ELS4_3ELS4_3ELNS0_20block_scan_algorithmE0ELj4294967295EEENS1_25partition_config_selectorILNS1_17partition_subalgoE4EjNS0_10empty_typeEbEEZZNS1_14partition_implILS8_4ELb0ES6_15HIP_vector_typeIjLj2EENS0_17counting_iteratorIjlEEPS9_SG_NS0_5tupleIJPjSI_NS0_16reverse_iteratorISI_EEEEENSH_IJSG_SG_SG_EEES9_SI_JZNS1_25segmented_radix_sort_implINS0_14default_configELb0EPK12hip_bfloat16PSP_PKlPlN2at6native12_GLOBAL__N_18offset_tEEE10hipError_tPvRmT1_PNSt15iterator_traitsIS13_E10value_typeET2_T3_PNS14_IS19_E10value_typeET4_jRbjT5_S1F_jjP12ihipStream_tbEUljE_ZNSN_ISO_Lb0ESR_SS_SU_SV_SZ_EES10_S11_S12_S13_S17_S18_S19_S1C_S1D_jS1E_jS1F_S1F_jjS1H_bEUljE0_EEES10_S11_S12_S19_S1D_S1F_T6_T7_T9_mT8_S1H_bDpT10_ENKUlT_T0_E_clISt17integral_constantIbLb1EES1V_EEDaS1Q_S1R_EUlS1Q_E_NS1_11comp_targetILNS1_3genE2ELNS1_11target_archE906ELNS1_3gpuE6ELNS1_3repE0EEENS1_30default_config_static_selectorELNS0_4arch9wavefront6targetE0EEEvS13_.has_indirect_call, 0
	.section	.AMDGPU.csdata,"",@progbits
; Kernel info:
; codeLenInByte = 0
; TotalNumSgprs: 0
; NumVgprs: 0
; ScratchSize: 0
; MemoryBound: 0
; FloatMode: 240
; IeeeMode: 1
; LDSByteSize: 0 bytes/workgroup (compile time only)
; SGPRBlocks: 0
; VGPRBlocks: 0
; NumSGPRsForWavesPerEU: 1
; NumVGPRsForWavesPerEU: 1
; Occupancy: 16
; WaveLimiterHint : 0
; COMPUTE_PGM_RSRC2:SCRATCH_EN: 0
; COMPUTE_PGM_RSRC2:USER_SGPR: 2
; COMPUTE_PGM_RSRC2:TRAP_HANDLER: 0
; COMPUTE_PGM_RSRC2:TGID_X_EN: 1
; COMPUTE_PGM_RSRC2:TGID_Y_EN: 0
; COMPUTE_PGM_RSRC2:TGID_Z_EN: 0
; COMPUTE_PGM_RSRC2:TIDIG_COMP_CNT: 0
	.section	.text._ZN7rocprim17ROCPRIM_400000_NS6detail17trampoline_kernelINS0_13select_configILj256ELj13ELNS0_17block_load_methodE3ELS4_3ELS4_3ELNS0_20block_scan_algorithmE0ELj4294967295EEENS1_25partition_config_selectorILNS1_17partition_subalgoE4EjNS0_10empty_typeEbEEZZNS1_14partition_implILS8_4ELb0ES6_15HIP_vector_typeIjLj2EENS0_17counting_iteratorIjlEEPS9_SG_NS0_5tupleIJPjSI_NS0_16reverse_iteratorISI_EEEEENSH_IJSG_SG_SG_EEES9_SI_JZNS1_25segmented_radix_sort_implINS0_14default_configELb0EPK12hip_bfloat16PSP_PKlPlN2at6native12_GLOBAL__N_18offset_tEEE10hipError_tPvRmT1_PNSt15iterator_traitsIS13_E10value_typeET2_T3_PNS14_IS19_E10value_typeET4_jRbjT5_S1F_jjP12ihipStream_tbEUljE_ZNSN_ISO_Lb0ESR_SS_SU_SV_SZ_EES10_S11_S12_S13_S17_S18_S19_S1C_S1D_jS1E_jS1F_S1F_jjS1H_bEUljE0_EEES10_S11_S12_S19_S1D_S1F_T6_T7_T9_mT8_S1H_bDpT10_ENKUlT_T0_E_clISt17integral_constantIbLb1EES1V_EEDaS1Q_S1R_EUlS1Q_E_NS1_11comp_targetILNS1_3genE10ELNS1_11target_archE1200ELNS1_3gpuE4ELNS1_3repE0EEENS1_30default_config_static_selectorELNS0_4arch9wavefront6targetE0EEEvS13_,"axG",@progbits,_ZN7rocprim17ROCPRIM_400000_NS6detail17trampoline_kernelINS0_13select_configILj256ELj13ELNS0_17block_load_methodE3ELS4_3ELS4_3ELNS0_20block_scan_algorithmE0ELj4294967295EEENS1_25partition_config_selectorILNS1_17partition_subalgoE4EjNS0_10empty_typeEbEEZZNS1_14partition_implILS8_4ELb0ES6_15HIP_vector_typeIjLj2EENS0_17counting_iteratorIjlEEPS9_SG_NS0_5tupleIJPjSI_NS0_16reverse_iteratorISI_EEEEENSH_IJSG_SG_SG_EEES9_SI_JZNS1_25segmented_radix_sort_implINS0_14default_configELb0EPK12hip_bfloat16PSP_PKlPlN2at6native12_GLOBAL__N_18offset_tEEE10hipError_tPvRmT1_PNSt15iterator_traitsIS13_E10value_typeET2_T3_PNS14_IS19_E10value_typeET4_jRbjT5_S1F_jjP12ihipStream_tbEUljE_ZNSN_ISO_Lb0ESR_SS_SU_SV_SZ_EES10_S11_S12_S13_S17_S18_S19_S1C_S1D_jS1E_jS1F_S1F_jjS1H_bEUljE0_EEES10_S11_S12_S19_S1D_S1F_T6_T7_T9_mT8_S1H_bDpT10_ENKUlT_T0_E_clISt17integral_constantIbLb1EES1V_EEDaS1Q_S1R_EUlS1Q_E_NS1_11comp_targetILNS1_3genE10ELNS1_11target_archE1200ELNS1_3gpuE4ELNS1_3repE0EEENS1_30default_config_static_selectorELNS0_4arch9wavefront6targetE0EEEvS13_,comdat
	.globl	_ZN7rocprim17ROCPRIM_400000_NS6detail17trampoline_kernelINS0_13select_configILj256ELj13ELNS0_17block_load_methodE3ELS4_3ELS4_3ELNS0_20block_scan_algorithmE0ELj4294967295EEENS1_25partition_config_selectorILNS1_17partition_subalgoE4EjNS0_10empty_typeEbEEZZNS1_14partition_implILS8_4ELb0ES6_15HIP_vector_typeIjLj2EENS0_17counting_iteratorIjlEEPS9_SG_NS0_5tupleIJPjSI_NS0_16reverse_iteratorISI_EEEEENSH_IJSG_SG_SG_EEES9_SI_JZNS1_25segmented_radix_sort_implINS0_14default_configELb0EPK12hip_bfloat16PSP_PKlPlN2at6native12_GLOBAL__N_18offset_tEEE10hipError_tPvRmT1_PNSt15iterator_traitsIS13_E10value_typeET2_T3_PNS14_IS19_E10value_typeET4_jRbjT5_S1F_jjP12ihipStream_tbEUljE_ZNSN_ISO_Lb0ESR_SS_SU_SV_SZ_EES10_S11_S12_S13_S17_S18_S19_S1C_S1D_jS1E_jS1F_S1F_jjS1H_bEUljE0_EEES10_S11_S12_S19_S1D_S1F_T6_T7_T9_mT8_S1H_bDpT10_ENKUlT_T0_E_clISt17integral_constantIbLb1EES1V_EEDaS1Q_S1R_EUlS1Q_E_NS1_11comp_targetILNS1_3genE10ELNS1_11target_archE1200ELNS1_3gpuE4ELNS1_3repE0EEENS1_30default_config_static_selectorELNS0_4arch9wavefront6targetE0EEEvS13_ ; -- Begin function _ZN7rocprim17ROCPRIM_400000_NS6detail17trampoline_kernelINS0_13select_configILj256ELj13ELNS0_17block_load_methodE3ELS4_3ELS4_3ELNS0_20block_scan_algorithmE0ELj4294967295EEENS1_25partition_config_selectorILNS1_17partition_subalgoE4EjNS0_10empty_typeEbEEZZNS1_14partition_implILS8_4ELb0ES6_15HIP_vector_typeIjLj2EENS0_17counting_iteratorIjlEEPS9_SG_NS0_5tupleIJPjSI_NS0_16reverse_iteratorISI_EEEEENSH_IJSG_SG_SG_EEES9_SI_JZNS1_25segmented_radix_sort_implINS0_14default_configELb0EPK12hip_bfloat16PSP_PKlPlN2at6native12_GLOBAL__N_18offset_tEEE10hipError_tPvRmT1_PNSt15iterator_traitsIS13_E10value_typeET2_T3_PNS14_IS19_E10value_typeET4_jRbjT5_S1F_jjP12ihipStream_tbEUljE_ZNSN_ISO_Lb0ESR_SS_SU_SV_SZ_EES10_S11_S12_S13_S17_S18_S19_S1C_S1D_jS1E_jS1F_S1F_jjS1H_bEUljE0_EEES10_S11_S12_S19_S1D_S1F_T6_T7_T9_mT8_S1H_bDpT10_ENKUlT_T0_E_clISt17integral_constantIbLb1EES1V_EEDaS1Q_S1R_EUlS1Q_E_NS1_11comp_targetILNS1_3genE10ELNS1_11target_archE1200ELNS1_3gpuE4ELNS1_3repE0EEENS1_30default_config_static_selectorELNS0_4arch9wavefront6targetE0EEEvS13_
	.p2align	8
	.type	_ZN7rocprim17ROCPRIM_400000_NS6detail17trampoline_kernelINS0_13select_configILj256ELj13ELNS0_17block_load_methodE3ELS4_3ELS4_3ELNS0_20block_scan_algorithmE0ELj4294967295EEENS1_25partition_config_selectorILNS1_17partition_subalgoE4EjNS0_10empty_typeEbEEZZNS1_14partition_implILS8_4ELb0ES6_15HIP_vector_typeIjLj2EENS0_17counting_iteratorIjlEEPS9_SG_NS0_5tupleIJPjSI_NS0_16reverse_iteratorISI_EEEEENSH_IJSG_SG_SG_EEES9_SI_JZNS1_25segmented_radix_sort_implINS0_14default_configELb0EPK12hip_bfloat16PSP_PKlPlN2at6native12_GLOBAL__N_18offset_tEEE10hipError_tPvRmT1_PNSt15iterator_traitsIS13_E10value_typeET2_T3_PNS14_IS19_E10value_typeET4_jRbjT5_S1F_jjP12ihipStream_tbEUljE_ZNSN_ISO_Lb0ESR_SS_SU_SV_SZ_EES10_S11_S12_S13_S17_S18_S19_S1C_S1D_jS1E_jS1F_S1F_jjS1H_bEUljE0_EEES10_S11_S12_S19_S1D_S1F_T6_T7_T9_mT8_S1H_bDpT10_ENKUlT_T0_E_clISt17integral_constantIbLb1EES1V_EEDaS1Q_S1R_EUlS1Q_E_NS1_11comp_targetILNS1_3genE10ELNS1_11target_archE1200ELNS1_3gpuE4ELNS1_3repE0EEENS1_30default_config_static_selectorELNS0_4arch9wavefront6targetE0EEEvS13_,@function
_ZN7rocprim17ROCPRIM_400000_NS6detail17trampoline_kernelINS0_13select_configILj256ELj13ELNS0_17block_load_methodE3ELS4_3ELS4_3ELNS0_20block_scan_algorithmE0ELj4294967295EEENS1_25partition_config_selectorILNS1_17partition_subalgoE4EjNS0_10empty_typeEbEEZZNS1_14partition_implILS8_4ELb0ES6_15HIP_vector_typeIjLj2EENS0_17counting_iteratorIjlEEPS9_SG_NS0_5tupleIJPjSI_NS0_16reverse_iteratorISI_EEEEENSH_IJSG_SG_SG_EEES9_SI_JZNS1_25segmented_radix_sort_implINS0_14default_configELb0EPK12hip_bfloat16PSP_PKlPlN2at6native12_GLOBAL__N_18offset_tEEE10hipError_tPvRmT1_PNSt15iterator_traitsIS13_E10value_typeET2_T3_PNS14_IS19_E10value_typeET4_jRbjT5_S1F_jjP12ihipStream_tbEUljE_ZNSN_ISO_Lb0ESR_SS_SU_SV_SZ_EES10_S11_S12_S13_S17_S18_S19_S1C_S1D_jS1E_jS1F_S1F_jjS1H_bEUljE0_EEES10_S11_S12_S19_S1D_S1F_T6_T7_T9_mT8_S1H_bDpT10_ENKUlT_T0_E_clISt17integral_constantIbLb1EES1V_EEDaS1Q_S1R_EUlS1Q_E_NS1_11comp_targetILNS1_3genE10ELNS1_11target_archE1200ELNS1_3gpuE4ELNS1_3repE0EEENS1_30default_config_static_selectorELNS0_4arch9wavefront6targetE0EEEvS13_: ; @_ZN7rocprim17ROCPRIM_400000_NS6detail17trampoline_kernelINS0_13select_configILj256ELj13ELNS0_17block_load_methodE3ELS4_3ELS4_3ELNS0_20block_scan_algorithmE0ELj4294967295EEENS1_25partition_config_selectorILNS1_17partition_subalgoE4EjNS0_10empty_typeEbEEZZNS1_14partition_implILS8_4ELb0ES6_15HIP_vector_typeIjLj2EENS0_17counting_iteratorIjlEEPS9_SG_NS0_5tupleIJPjSI_NS0_16reverse_iteratorISI_EEEEENSH_IJSG_SG_SG_EEES9_SI_JZNS1_25segmented_radix_sort_implINS0_14default_configELb0EPK12hip_bfloat16PSP_PKlPlN2at6native12_GLOBAL__N_18offset_tEEE10hipError_tPvRmT1_PNSt15iterator_traitsIS13_E10value_typeET2_T3_PNS14_IS19_E10value_typeET4_jRbjT5_S1F_jjP12ihipStream_tbEUljE_ZNSN_ISO_Lb0ESR_SS_SU_SV_SZ_EES10_S11_S12_S13_S17_S18_S19_S1C_S1D_jS1E_jS1F_S1F_jjS1H_bEUljE0_EEES10_S11_S12_S19_S1D_S1F_T6_T7_T9_mT8_S1H_bDpT10_ENKUlT_T0_E_clISt17integral_constantIbLb1EES1V_EEDaS1Q_S1R_EUlS1Q_E_NS1_11comp_targetILNS1_3genE10ELNS1_11target_archE1200ELNS1_3gpuE4ELNS1_3repE0EEENS1_30default_config_static_selectorELNS0_4arch9wavefront6targetE0EEEvS13_
; %bb.0:
	s_endpgm
	.section	.rodata,"a",@progbits
	.p2align	6, 0x0
	.amdhsa_kernel _ZN7rocprim17ROCPRIM_400000_NS6detail17trampoline_kernelINS0_13select_configILj256ELj13ELNS0_17block_load_methodE3ELS4_3ELS4_3ELNS0_20block_scan_algorithmE0ELj4294967295EEENS1_25partition_config_selectorILNS1_17partition_subalgoE4EjNS0_10empty_typeEbEEZZNS1_14partition_implILS8_4ELb0ES6_15HIP_vector_typeIjLj2EENS0_17counting_iteratorIjlEEPS9_SG_NS0_5tupleIJPjSI_NS0_16reverse_iteratorISI_EEEEENSH_IJSG_SG_SG_EEES9_SI_JZNS1_25segmented_radix_sort_implINS0_14default_configELb0EPK12hip_bfloat16PSP_PKlPlN2at6native12_GLOBAL__N_18offset_tEEE10hipError_tPvRmT1_PNSt15iterator_traitsIS13_E10value_typeET2_T3_PNS14_IS19_E10value_typeET4_jRbjT5_S1F_jjP12ihipStream_tbEUljE_ZNSN_ISO_Lb0ESR_SS_SU_SV_SZ_EES10_S11_S12_S13_S17_S18_S19_S1C_S1D_jS1E_jS1F_S1F_jjS1H_bEUljE0_EEES10_S11_S12_S19_S1D_S1F_T6_T7_T9_mT8_S1H_bDpT10_ENKUlT_T0_E_clISt17integral_constantIbLb1EES1V_EEDaS1Q_S1R_EUlS1Q_E_NS1_11comp_targetILNS1_3genE10ELNS1_11target_archE1200ELNS1_3gpuE4ELNS1_3repE0EEENS1_30default_config_static_selectorELNS0_4arch9wavefront6targetE0EEEvS13_
		.amdhsa_group_segment_fixed_size 0
		.amdhsa_private_segment_fixed_size 0
		.amdhsa_kernarg_size 184
		.amdhsa_user_sgpr_count 2
		.amdhsa_user_sgpr_dispatch_ptr 0
		.amdhsa_user_sgpr_queue_ptr 0
		.amdhsa_user_sgpr_kernarg_segment_ptr 1
		.amdhsa_user_sgpr_dispatch_id 0
		.amdhsa_user_sgpr_private_segment_size 0
		.amdhsa_wavefront_size32 1
		.amdhsa_uses_dynamic_stack 0
		.amdhsa_enable_private_segment 0
		.amdhsa_system_sgpr_workgroup_id_x 1
		.amdhsa_system_sgpr_workgroup_id_y 0
		.amdhsa_system_sgpr_workgroup_id_z 0
		.amdhsa_system_sgpr_workgroup_info 0
		.amdhsa_system_vgpr_workitem_id 0
		.amdhsa_next_free_vgpr 1
		.amdhsa_next_free_sgpr 1
		.amdhsa_reserve_vcc 0
		.amdhsa_float_round_mode_32 0
		.amdhsa_float_round_mode_16_64 0
		.amdhsa_float_denorm_mode_32 3
		.amdhsa_float_denorm_mode_16_64 3
		.amdhsa_fp16_overflow 0
		.amdhsa_workgroup_processor_mode 1
		.amdhsa_memory_ordered 1
		.amdhsa_forward_progress 1
		.amdhsa_inst_pref_size 1
		.amdhsa_round_robin_scheduling 0
		.amdhsa_exception_fp_ieee_invalid_op 0
		.amdhsa_exception_fp_denorm_src 0
		.amdhsa_exception_fp_ieee_div_zero 0
		.amdhsa_exception_fp_ieee_overflow 0
		.amdhsa_exception_fp_ieee_underflow 0
		.amdhsa_exception_fp_ieee_inexact 0
		.amdhsa_exception_int_div_zero 0
	.end_amdhsa_kernel
	.section	.text._ZN7rocprim17ROCPRIM_400000_NS6detail17trampoline_kernelINS0_13select_configILj256ELj13ELNS0_17block_load_methodE3ELS4_3ELS4_3ELNS0_20block_scan_algorithmE0ELj4294967295EEENS1_25partition_config_selectorILNS1_17partition_subalgoE4EjNS0_10empty_typeEbEEZZNS1_14partition_implILS8_4ELb0ES6_15HIP_vector_typeIjLj2EENS0_17counting_iteratorIjlEEPS9_SG_NS0_5tupleIJPjSI_NS0_16reverse_iteratorISI_EEEEENSH_IJSG_SG_SG_EEES9_SI_JZNS1_25segmented_radix_sort_implINS0_14default_configELb0EPK12hip_bfloat16PSP_PKlPlN2at6native12_GLOBAL__N_18offset_tEEE10hipError_tPvRmT1_PNSt15iterator_traitsIS13_E10value_typeET2_T3_PNS14_IS19_E10value_typeET4_jRbjT5_S1F_jjP12ihipStream_tbEUljE_ZNSN_ISO_Lb0ESR_SS_SU_SV_SZ_EES10_S11_S12_S13_S17_S18_S19_S1C_S1D_jS1E_jS1F_S1F_jjS1H_bEUljE0_EEES10_S11_S12_S19_S1D_S1F_T6_T7_T9_mT8_S1H_bDpT10_ENKUlT_T0_E_clISt17integral_constantIbLb1EES1V_EEDaS1Q_S1R_EUlS1Q_E_NS1_11comp_targetILNS1_3genE10ELNS1_11target_archE1200ELNS1_3gpuE4ELNS1_3repE0EEENS1_30default_config_static_selectorELNS0_4arch9wavefront6targetE0EEEvS13_,"axG",@progbits,_ZN7rocprim17ROCPRIM_400000_NS6detail17trampoline_kernelINS0_13select_configILj256ELj13ELNS0_17block_load_methodE3ELS4_3ELS4_3ELNS0_20block_scan_algorithmE0ELj4294967295EEENS1_25partition_config_selectorILNS1_17partition_subalgoE4EjNS0_10empty_typeEbEEZZNS1_14partition_implILS8_4ELb0ES6_15HIP_vector_typeIjLj2EENS0_17counting_iteratorIjlEEPS9_SG_NS0_5tupleIJPjSI_NS0_16reverse_iteratorISI_EEEEENSH_IJSG_SG_SG_EEES9_SI_JZNS1_25segmented_radix_sort_implINS0_14default_configELb0EPK12hip_bfloat16PSP_PKlPlN2at6native12_GLOBAL__N_18offset_tEEE10hipError_tPvRmT1_PNSt15iterator_traitsIS13_E10value_typeET2_T3_PNS14_IS19_E10value_typeET4_jRbjT5_S1F_jjP12ihipStream_tbEUljE_ZNSN_ISO_Lb0ESR_SS_SU_SV_SZ_EES10_S11_S12_S13_S17_S18_S19_S1C_S1D_jS1E_jS1F_S1F_jjS1H_bEUljE0_EEES10_S11_S12_S19_S1D_S1F_T6_T7_T9_mT8_S1H_bDpT10_ENKUlT_T0_E_clISt17integral_constantIbLb1EES1V_EEDaS1Q_S1R_EUlS1Q_E_NS1_11comp_targetILNS1_3genE10ELNS1_11target_archE1200ELNS1_3gpuE4ELNS1_3repE0EEENS1_30default_config_static_selectorELNS0_4arch9wavefront6targetE0EEEvS13_,comdat
.Lfunc_end1998:
	.size	_ZN7rocprim17ROCPRIM_400000_NS6detail17trampoline_kernelINS0_13select_configILj256ELj13ELNS0_17block_load_methodE3ELS4_3ELS4_3ELNS0_20block_scan_algorithmE0ELj4294967295EEENS1_25partition_config_selectorILNS1_17partition_subalgoE4EjNS0_10empty_typeEbEEZZNS1_14partition_implILS8_4ELb0ES6_15HIP_vector_typeIjLj2EENS0_17counting_iteratorIjlEEPS9_SG_NS0_5tupleIJPjSI_NS0_16reverse_iteratorISI_EEEEENSH_IJSG_SG_SG_EEES9_SI_JZNS1_25segmented_radix_sort_implINS0_14default_configELb0EPK12hip_bfloat16PSP_PKlPlN2at6native12_GLOBAL__N_18offset_tEEE10hipError_tPvRmT1_PNSt15iterator_traitsIS13_E10value_typeET2_T3_PNS14_IS19_E10value_typeET4_jRbjT5_S1F_jjP12ihipStream_tbEUljE_ZNSN_ISO_Lb0ESR_SS_SU_SV_SZ_EES10_S11_S12_S13_S17_S18_S19_S1C_S1D_jS1E_jS1F_S1F_jjS1H_bEUljE0_EEES10_S11_S12_S19_S1D_S1F_T6_T7_T9_mT8_S1H_bDpT10_ENKUlT_T0_E_clISt17integral_constantIbLb1EES1V_EEDaS1Q_S1R_EUlS1Q_E_NS1_11comp_targetILNS1_3genE10ELNS1_11target_archE1200ELNS1_3gpuE4ELNS1_3repE0EEENS1_30default_config_static_selectorELNS0_4arch9wavefront6targetE0EEEvS13_, .Lfunc_end1998-_ZN7rocprim17ROCPRIM_400000_NS6detail17trampoline_kernelINS0_13select_configILj256ELj13ELNS0_17block_load_methodE3ELS4_3ELS4_3ELNS0_20block_scan_algorithmE0ELj4294967295EEENS1_25partition_config_selectorILNS1_17partition_subalgoE4EjNS0_10empty_typeEbEEZZNS1_14partition_implILS8_4ELb0ES6_15HIP_vector_typeIjLj2EENS0_17counting_iteratorIjlEEPS9_SG_NS0_5tupleIJPjSI_NS0_16reverse_iteratorISI_EEEEENSH_IJSG_SG_SG_EEES9_SI_JZNS1_25segmented_radix_sort_implINS0_14default_configELb0EPK12hip_bfloat16PSP_PKlPlN2at6native12_GLOBAL__N_18offset_tEEE10hipError_tPvRmT1_PNSt15iterator_traitsIS13_E10value_typeET2_T3_PNS14_IS19_E10value_typeET4_jRbjT5_S1F_jjP12ihipStream_tbEUljE_ZNSN_ISO_Lb0ESR_SS_SU_SV_SZ_EES10_S11_S12_S13_S17_S18_S19_S1C_S1D_jS1E_jS1F_S1F_jjS1H_bEUljE0_EEES10_S11_S12_S19_S1D_S1F_T6_T7_T9_mT8_S1H_bDpT10_ENKUlT_T0_E_clISt17integral_constantIbLb1EES1V_EEDaS1Q_S1R_EUlS1Q_E_NS1_11comp_targetILNS1_3genE10ELNS1_11target_archE1200ELNS1_3gpuE4ELNS1_3repE0EEENS1_30default_config_static_selectorELNS0_4arch9wavefront6targetE0EEEvS13_
                                        ; -- End function
	.set _ZN7rocprim17ROCPRIM_400000_NS6detail17trampoline_kernelINS0_13select_configILj256ELj13ELNS0_17block_load_methodE3ELS4_3ELS4_3ELNS0_20block_scan_algorithmE0ELj4294967295EEENS1_25partition_config_selectorILNS1_17partition_subalgoE4EjNS0_10empty_typeEbEEZZNS1_14partition_implILS8_4ELb0ES6_15HIP_vector_typeIjLj2EENS0_17counting_iteratorIjlEEPS9_SG_NS0_5tupleIJPjSI_NS0_16reverse_iteratorISI_EEEEENSH_IJSG_SG_SG_EEES9_SI_JZNS1_25segmented_radix_sort_implINS0_14default_configELb0EPK12hip_bfloat16PSP_PKlPlN2at6native12_GLOBAL__N_18offset_tEEE10hipError_tPvRmT1_PNSt15iterator_traitsIS13_E10value_typeET2_T3_PNS14_IS19_E10value_typeET4_jRbjT5_S1F_jjP12ihipStream_tbEUljE_ZNSN_ISO_Lb0ESR_SS_SU_SV_SZ_EES10_S11_S12_S13_S17_S18_S19_S1C_S1D_jS1E_jS1F_S1F_jjS1H_bEUljE0_EEES10_S11_S12_S19_S1D_S1F_T6_T7_T9_mT8_S1H_bDpT10_ENKUlT_T0_E_clISt17integral_constantIbLb1EES1V_EEDaS1Q_S1R_EUlS1Q_E_NS1_11comp_targetILNS1_3genE10ELNS1_11target_archE1200ELNS1_3gpuE4ELNS1_3repE0EEENS1_30default_config_static_selectorELNS0_4arch9wavefront6targetE0EEEvS13_.num_vgpr, 0
	.set _ZN7rocprim17ROCPRIM_400000_NS6detail17trampoline_kernelINS0_13select_configILj256ELj13ELNS0_17block_load_methodE3ELS4_3ELS4_3ELNS0_20block_scan_algorithmE0ELj4294967295EEENS1_25partition_config_selectorILNS1_17partition_subalgoE4EjNS0_10empty_typeEbEEZZNS1_14partition_implILS8_4ELb0ES6_15HIP_vector_typeIjLj2EENS0_17counting_iteratorIjlEEPS9_SG_NS0_5tupleIJPjSI_NS0_16reverse_iteratorISI_EEEEENSH_IJSG_SG_SG_EEES9_SI_JZNS1_25segmented_radix_sort_implINS0_14default_configELb0EPK12hip_bfloat16PSP_PKlPlN2at6native12_GLOBAL__N_18offset_tEEE10hipError_tPvRmT1_PNSt15iterator_traitsIS13_E10value_typeET2_T3_PNS14_IS19_E10value_typeET4_jRbjT5_S1F_jjP12ihipStream_tbEUljE_ZNSN_ISO_Lb0ESR_SS_SU_SV_SZ_EES10_S11_S12_S13_S17_S18_S19_S1C_S1D_jS1E_jS1F_S1F_jjS1H_bEUljE0_EEES10_S11_S12_S19_S1D_S1F_T6_T7_T9_mT8_S1H_bDpT10_ENKUlT_T0_E_clISt17integral_constantIbLb1EES1V_EEDaS1Q_S1R_EUlS1Q_E_NS1_11comp_targetILNS1_3genE10ELNS1_11target_archE1200ELNS1_3gpuE4ELNS1_3repE0EEENS1_30default_config_static_selectorELNS0_4arch9wavefront6targetE0EEEvS13_.num_agpr, 0
	.set _ZN7rocprim17ROCPRIM_400000_NS6detail17trampoline_kernelINS0_13select_configILj256ELj13ELNS0_17block_load_methodE3ELS4_3ELS4_3ELNS0_20block_scan_algorithmE0ELj4294967295EEENS1_25partition_config_selectorILNS1_17partition_subalgoE4EjNS0_10empty_typeEbEEZZNS1_14partition_implILS8_4ELb0ES6_15HIP_vector_typeIjLj2EENS0_17counting_iteratorIjlEEPS9_SG_NS0_5tupleIJPjSI_NS0_16reverse_iteratorISI_EEEEENSH_IJSG_SG_SG_EEES9_SI_JZNS1_25segmented_radix_sort_implINS0_14default_configELb0EPK12hip_bfloat16PSP_PKlPlN2at6native12_GLOBAL__N_18offset_tEEE10hipError_tPvRmT1_PNSt15iterator_traitsIS13_E10value_typeET2_T3_PNS14_IS19_E10value_typeET4_jRbjT5_S1F_jjP12ihipStream_tbEUljE_ZNSN_ISO_Lb0ESR_SS_SU_SV_SZ_EES10_S11_S12_S13_S17_S18_S19_S1C_S1D_jS1E_jS1F_S1F_jjS1H_bEUljE0_EEES10_S11_S12_S19_S1D_S1F_T6_T7_T9_mT8_S1H_bDpT10_ENKUlT_T0_E_clISt17integral_constantIbLb1EES1V_EEDaS1Q_S1R_EUlS1Q_E_NS1_11comp_targetILNS1_3genE10ELNS1_11target_archE1200ELNS1_3gpuE4ELNS1_3repE0EEENS1_30default_config_static_selectorELNS0_4arch9wavefront6targetE0EEEvS13_.numbered_sgpr, 0
	.set _ZN7rocprim17ROCPRIM_400000_NS6detail17trampoline_kernelINS0_13select_configILj256ELj13ELNS0_17block_load_methodE3ELS4_3ELS4_3ELNS0_20block_scan_algorithmE0ELj4294967295EEENS1_25partition_config_selectorILNS1_17partition_subalgoE4EjNS0_10empty_typeEbEEZZNS1_14partition_implILS8_4ELb0ES6_15HIP_vector_typeIjLj2EENS0_17counting_iteratorIjlEEPS9_SG_NS0_5tupleIJPjSI_NS0_16reverse_iteratorISI_EEEEENSH_IJSG_SG_SG_EEES9_SI_JZNS1_25segmented_radix_sort_implINS0_14default_configELb0EPK12hip_bfloat16PSP_PKlPlN2at6native12_GLOBAL__N_18offset_tEEE10hipError_tPvRmT1_PNSt15iterator_traitsIS13_E10value_typeET2_T3_PNS14_IS19_E10value_typeET4_jRbjT5_S1F_jjP12ihipStream_tbEUljE_ZNSN_ISO_Lb0ESR_SS_SU_SV_SZ_EES10_S11_S12_S13_S17_S18_S19_S1C_S1D_jS1E_jS1F_S1F_jjS1H_bEUljE0_EEES10_S11_S12_S19_S1D_S1F_T6_T7_T9_mT8_S1H_bDpT10_ENKUlT_T0_E_clISt17integral_constantIbLb1EES1V_EEDaS1Q_S1R_EUlS1Q_E_NS1_11comp_targetILNS1_3genE10ELNS1_11target_archE1200ELNS1_3gpuE4ELNS1_3repE0EEENS1_30default_config_static_selectorELNS0_4arch9wavefront6targetE0EEEvS13_.num_named_barrier, 0
	.set _ZN7rocprim17ROCPRIM_400000_NS6detail17trampoline_kernelINS0_13select_configILj256ELj13ELNS0_17block_load_methodE3ELS4_3ELS4_3ELNS0_20block_scan_algorithmE0ELj4294967295EEENS1_25partition_config_selectorILNS1_17partition_subalgoE4EjNS0_10empty_typeEbEEZZNS1_14partition_implILS8_4ELb0ES6_15HIP_vector_typeIjLj2EENS0_17counting_iteratorIjlEEPS9_SG_NS0_5tupleIJPjSI_NS0_16reverse_iteratorISI_EEEEENSH_IJSG_SG_SG_EEES9_SI_JZNS1_25segmented_radix_sort_implINS0_14default_configELb0EPK12hip_bfloat16PSP_PKlPlN2at6native12_GLOBAL__N_18offset_tEEE10hipError_tPvRmT1_PNSt15iterator_traitsIS13_E10value_typeET2_T3_PNS14_IS19_E10value_typeET4_jRbjT5_S1F_jjP12ihipStream_tbEUljE_ZNSN_ISO_Lb0ESR_SS_SU_SV_SZ_EES10_S11_S12_S13_S17_S18_S19_S1C_S1D_jS1E_jS1F_S1F_jjS1H_bEUljE0_EEES10_S11_S12_S19_S1D_S1F_T6_T7_T9_mT8_S1H_bDpT10_ENKUlT_T0_E_clISt17integral_constantIbLb1EES1V_EEDaS1Q_S1R_EUlS1Q_E_NS1_11comp_targetILNS1_3genE10ELNS1_11target_archE1200ELNS1_3gpuE4ELNS1_3repE0EEENS1_30default_config_static_selectorELNS0_4arch9wavefront6targetE0EEEvS13_.private_seg_size, 0
	.set _ZN7rocprim17ROCPRIM_400000_NS6detail17trampoline_kernelINS0_13select_configILj256ELj13ELNS0_17block_load_methodE3ELS4_3ELS4_3ELNS0_20block_scan_algorithmE0ELj4294967295EEENS1_25partition_config_selectorILNS1_17partition_subalgoE4EjNS0_10empty_typeEbEEZZNS1_14partition_implILS8_4ELb0ES6_15HIP_vector_typeIjLj2EENS0_17counting_iteratorIjlEEPS9_SG_NS0_5tupleIJPjSI_NS0_16reverse_iteratorISI_EEEEENSH_IJSG_SG_SG_EEES9_SI_JZNS1_25segmented_radix_sort_implINS0_14default_configELb0EPK12hip_bfloat16PSP_PKlPlN2at6native12_GLOBAL__N_18offset_tEEE10hipError_tPvRmT1_PNSt15iterator_traitsIS13_E10value_typeET2_T3_PNS14_IS19_E10value_typeET4_jRbjT5_S1F_jjP12ihipStream_tbEUljE_ZNSN_ISO_Lb0ESR_SS_SU_SV_SZ_EES10_S11_S12_S13_S17_S18_S19_S1C_S1D_jS1E_jS1F_S1F_jjS1H_bEUljE0_EEES10_S11_S12_S19_S1D_S1F_T6_T7_T9_mT8_S1H_bDpT10_ENKUlT_T0_E_clISt17integral_constantIbLb1EES1V_EEDaS1Q_S1R_EUlS1Q_E_NS1_11comp_targetILNS1_3genE10ELNS1_11target_archE1200ELNS1_3gpuE4ELNS1_3repE0EEENS1_30default_config_static_selectorELNS0_4arch9wavefront6targetE0EEEvS13_.uses_vcc, 0
	.set _ZN7rocprim17ROCPRIM_400000_NS6detail17trampoline_kernelINS0_13select_configILj256ELj13ELNS0_17block_load_methodE3ELS4_3ELS4_3ELNS0_20block_scan_algorithmE0ELj4294967295EEENS1_25partition_config_selectorILNS1_17partition_subalgoE4EjNS0_10empty_typeEbEEZZNS1_14partition_implILS8_4ELb0ES6_15HIP_vector_typeIjLj2EENS0_17counting_iteratorIjlEEPS9_SG_NS0_5tupleIJPjSI_NS0_16reverse_iteratorISI_EEEEENSH_IJSG_SG_SG_EEES9_SI_JZNS1_25segmented_radix_sort_implINS0_14default_configELb0EPK12hip_bfloat16PSP_PKlPlN2at6native12_GLOBAL__N_18offset_tEEE10hipError_tPvRmT1_PNSt15iterator_traitsIS13_E10value_typeET2_T3_PNS14_IS19_E10value_typeET4_jRbjT5_S1F_jjP12ihipStream_tbEUljE_ZNSN_ISO_Lb0ESR_SS_SU_SV_SZ_EES10_S11_S12_S13_S17_S18_S19_S1C_S1D_jS1E_jS1F_S1F_jjS1H_bEUljE0_EEES10_S11_S12_S19_S1D_S1F_T6_T7_T9_mT8_S1H_bDpT10_ENKUlT_T0_E_clISt17integral_constantIbLb1EES1V_EEDaS1Q_S1R_EUlS1Q_E_NS1_11comp_targetILNS1_3genE10ELNS1_11target_archE1200ELNS1_3gpuE4ELNS1_3repE0EEENS1_30default_config_static_selectorELNS0_4arch9wavefront6targetE0EEEvS13_.uses_flat_scratch, 0
	.set _ZN7rocprim17ROCPRIM_400000_NS6detail17trampoline_kernelINS0_13select_configILj256ELj13ELNS0_17block_load_methodE3ELS4_3ELS4_3ELNS0_20block_scan_algorithmE0ELj4294967295EEENS1_25partition_config_selectorILNS1_17partition_subalgoE4EjNS0_10empty_typeEbEEZZNS1_14partition_implILS8_4ELb0ES6_15HIP_vector_typeIjLj2EENS0_17counting_iteratorIjlEEPS9_SG_NS0_5tupleIJPjSI_NS0_16reverse_iteratorISI_EEEEENSH_IJSG_SG_SG_EEES9_SI_JZNS1_25segmented_radix_sort_implINS0_14default_configELb0EPK12hip_bfloat16PSP_PKlPlN2at6native12_GLOBAL__N_18offset_tEEE10hipError_tPvRmT1_PNSt15iterator_traitsIS13_E10value_typeET2_T3_PNS14_IS19_E10value_typeET4_jRbjT5_S1F_jjP12ihipStream_tbEUljE_ZNSN_ISO_Lb0ESR_SS_SU_SV_SZ_EES10_S11_S12_S13_S17_S18_S19_S1C_S1D_jS1E_jS1F_S1F_jjS1H_bEUljE0_EEES10_S11_S12_S19_S1D_S1F_T6_T7_T9_mT8_S1H_bDpT10_ENKUlT_T0_E_clISt17integral_constantIbLb1EES1V_EEDaS1Q_S1R_EUlS1Q_E_NS1_11comp_targetILNS1_3genE10ELNS1_11target_archE1200ELNS1_3gpuE4ELNS1_3repE0EEENS1_30default_config_static_selectorELNS0_4arch9wavefront6targetE0EEEvS13_.has_dyn_sized_stack, 0
	.set _ZN7rocprim17ROCPRIM_400000_NS6detail17trampoline_kernelINS0_13select_configILj256ELj13ELNS0_17block_load_methodE3ELS4_3ELS4_3ELNS0_20block_scan_algorithmE0ELj4294967295EEENS1_25partition_config_selectorILNS1_17partition_subalgoE4EjNS0_10empty_typeEbEEZZNS1_14partition_implILS8_4ELb0ES6_15HIP_vector_typeIjLj2EENS0_17counting_iteratorIjlEEPS9_SG_NS0_5tupleIJPjSI_NS0_16reverse_iteratorISI_EEEEENSH_IJSG_SG_SG_EEES9_SI_JZNS1_25segmented_radix_sort_implINS0_14default_configELb0EPK12hip_bfloat16PSP_PKlPlN2at6native12_GLOBAL__N_18offset_tEEE10hipError_tPvRmT1_PNSt15iterator_traitsIS13_E10value_typeET2_T3_PNS14_IS19_E10value_typeET4_jRbjT5_S1F_jjP12ihipStream_tbEUljE_ZNSN_ISO_Lb0ESR_SS_SU_SV_SZ_EES10_S11_S12_S13_S17_S18_S19_S1C_S1D_jS1E_jS1F_S1F_jjS1H_bEUljE0_EEES10_S11_S12_S19_S1D_S1F_T6_T7_T9_mT8_S1H_bDpT10_ENKUlT_T0_E_clISt17integral_constantIbLb1EES1V_EEDaS1Q_S1R_EUlS1Q_E_NS1_11comp_targetILNS1_3genE10ELNS1_11target_archE1200ELNS1_3gpuE4ELNS1_3repE0EEENS1_30default_config_static_selectorELNS0_4arch9wavefront6targetE0EEEvS13_.has_recursion, 0
	.set _ZN7rocprim17ROCPRIM_400000_NS6detail17trampoline_kernelINS0_13select_configILj256ELj13ELNS0_17block_load_methodE3ELS4_3ELS4_3ELNS0_20block_scan_algorithmE0ELj4294967295EEENS1_25partition_config_selectorILNS1_17partition_subalgoE4EjNS0_10empty_typeEbEEZZNS1_14partition_implILS8_4ELb0ES6_15HIP_vector_typeIjLj2EENS0_17counting_iteratorIjlEEPS9_SG_NS0_5tupleIJPjSI_NS0_16reverse_iteratorISI_EEEEENSH_IJSG_SG_SG_EEES9_SI_JZNS1_25segmented_radix_sort_implINS0_14default_configELb0EPK12hip_bfloat16PSP_PKlPlN2at6native12_GLOBAL__N_18offset_tEEE10hipError_tPvRmT1_PNSt15iterator_traitsIS13_E10value_typeET2_T3_PNS14_IS19_E10value_typeET4_jRbjT5_S1F_jjP12ihipStream_tbEUljE_ZNSN_ISO_Lb0ESR_SS_SU_SV_SZ_EES10_S11_S12_S13_S17_S18_S19_S1C_S1D_jS1E_jS1F_S1F_jjS1H_bEUljE0_EEES10_S11_S12_S19_S1D_S1F_T6_T7_T9_mT8_S1H_bDpT10_ENKUlT_T0_E_clISt17integral_constantIbLb1EES1V_EEDaS1Q_S1R_EUlS1Q_E_NS1_11comp_targetILNS1_3genE10ELNS1_11target_archE1200ELNS1_3gpuE4ELNS1_3repE0EEENS1_30default_config_static_selectorELNS0_4arch9wavefront6targetE0EEEvS13_.has_indirect_call, 0
	.section	.AMDGPU.csdata,"",@progbits
; Kernel info:
; codeLenInByte = 4
; TotalNumSgprs: 0
; NumVgprs: 0
; ScratchSize: 0
; MemoryBound: 0
; FloatMode: 240
; IeeeMode: 1
; LDSByteSize: 0 bytes/workgroup (compile time only)
; SGPRBlocks: 0
; VGPRBlocks: 0
; NumSGPRsForWavesPerEU: 1
; NumVGPRsForWavesPerEU: 1
; Occupancy: 16
; WaveLimiterHint : 0
; COMPUTE_PGM_RSRC2:SCRATCH_EN: 0
; COMPUTE_PGM_RSRC2:USER_SGPR: 2
; COMPUTE_PGM_RSRC2:TRAP_HANDLER: 0
; COMPUTE_PGM_RSRC2:TGID_X_EN: 1
; COMPUTE_PGM_RSRC2:TGID_Y_EN: 0
; COMPUTE_PGM_RSRC2:TGID_Z_EN: 0
; COMPUTE_PGM_RSRC2:TIDIG_COMP_CNT: 0
	.section	.text._ZN7rocprim17ROCPRIM_400000_NS6detail17trampoline_kernelINS0_13select_configILj256ELj13ELNS0_17block_load_methodE3ELS4_3ELS4_3ELNS0_20block_scan_algorithmE0ELj4294967295EEENS1_25partition_config_selectorILNS1_17partition_subalgoE4EjNS0_10empty_typeEbEEZZNS1_14partition_implILS8_4ELb0ES6_15HIP_vector_typeIjLj2EENS0_17counting_iteratorIjlEEPS9_SG_NS0_5tupleIJPjSI_NS0_16reverse_iteratorISI_EEEEENSH_IJSG_SG_SG_EEES9_SI_JZNS1_25segmented_radix_sort_implINS0_14default_configELb0EPK12hip_bfloat16PSP_PKlPlN2at6native12_GLOBAL__N_18offset_tEEE10hipError_tPvRmT1_PNSt15iterator_traitsIS13_E10value_typeET2_T3_PNS14_IS19_E10value_typeET4_jRbjT5_S1F_jjP12ihipStream_tbEUljE_ZNSN_ISO_Lb0ESR_SS_SU_SV_SZ_EES10_S11_S12_S13_S17_S18_S19_S1C_S1D_jS1E_jS1F_S1F_jjS1H_bEUljE0_EEES10_S11_S12_S19_S1D_S1F_T6_T7_T9_mT8_S1H_bDpT10_ENKUlT_T0_E_clISt17integral_constantIbLb1EES1V_EEDaS1Q_S1R_EUlS1Q_E_NS1_11comp_targetILNS1_3genE9ELNS1_11target_archE1100ELNS1_3gpuE3ELNS1_3repE0EEENS1_30default_config_static_selectorELNS0_4arch9wavefront6targetE0EEEvS13_,"axG",@progbits,_ZN7rocprim17ROCPRIM_400000_NS6detail17trampoline_kernelINS0_13select_configILj256ELj13ELNS0_17block_load_methodE3ELS4_3ELS4_3ELNS0_20block_scan_algorithmE0ELj4294967295EEENS1_25partition_config_selectorILNS1_17partition_subalgoE4EjNS0_10empty_typeEbEEZZNS1_14partition_implILS8_4ELb0ES6_15HIP_vector_typeIjLj2EENS0_17counting_iteratorIjlEEPS9_SG_NS0_5tupleIJPjSI_NS0_16reverse_iteratorISI_EEEEENSH_IJSG_SG_SG_EEES9_SI_JZNS1_25segmented_radix_sort_implINS0_14default_configELb0EPK12hip_bfloat16PSP_PKlPlN2at6native12_GLOBAL__N_18offset_tEEE10hipError_tPvRmT1_PNSt15iterator_traitsIS13_E10value_typeET2_T3_PNS14_IS19_E10value_typeET4_jRbjT5_S1F_jjP12ihipStream_tbEUljE_ZNSN_ISO_Lb0ESR_SS_SU_SV_SZ_EES10_S11_S12_S13_S17_S18_S19_S1C_S1D_jS1E_jS1F_S1F_jjS1H_bEUljE0_EEES10_S11_S12_S19_S1D_S1F_T6_T7_T9_mT8_S1H_bDpT10_ENKUlT_T0_E_clISt17integral_constantIbLb1EES1V_EEDaS1Q_S1R_EUlS1Q_E_NS1_11comp_targetILNS1_3genE9ELNS1_11target_archE1100ELNS1_3gpuE3ELNS1_3repE0EEENS1_30default_config_static_selectorELNS0_4arch9wavefront6targetE0EEEvS13_,comdat
	.globl	_ZN7rocprim17ROCPRIM_400000_NS6detail17trampoline_kernelINS0_13select_configILj256ELj13ELNS0_17block_load_methodE3ELS4_3ELS4_3ELNS0_20block_scan_algorithmE0ELj4294967295EEENS1_25partition_config_selectorILNS1_17partition_subalgoE4EjNS0_10empty_typeEbEEZZNS1_14partition_implILS8_4ELb0ES6_15HIP_vector_typeIjLj2EENS0_17counting_iteratorIjlEEPS9_SG_NS0_5tupleIJPjSI_NS0_16reverse_iteratorISI_EEEEENSH_IJSG_SG_SG_EEES9_SI_JZNS1_25segmented_radix_sort_implINS0_14default_configELb0EPK12hip_bfloat16PSP_PKlPlN2at6native12_GLOBAL__N_18offset_tEEE10hipError_tPvRmT1_PNSt15iterator_traitsIS13_E10value_typeET2_T3_PNS14_IS19_E10value_typeET4_jRbjT5_S1F_jjP12ihipStream_tbEUljE_ZNSN_ISO_Lb0ESR_SS_SU_SV_SZ_EES10_S11_S12_S13_S17_S18_S19_S1C_S1D_jS1E_jS1F_S1F_jjS1H_bEUljE0_EEES10_S11_S12_S19_S1D_S1F_T6_T7_T9_mT8_S1H_bDpT10_ENKUlT_T0_E_clISt17integral_constantIbLb1EES1V_EEDaS1Q_S1R_EUlS1Q_E_NS1_11comp_targetILNS1_3genE9ELNS1_11target_archE1100ELNS1_3gpuE3ELNS1_3repE0EEENS1_30default_config_static_selectorELNS0_4arch9wavefront6targetE0EEEvS13_ ; -- Begin function _ZN7rocprim17ROCPRIM_400000_NS6detail17trampoline_kernelINS0_13select_configILj256ELj13ELNS0_17block_load_methodE3ELS4_3ELS4_3ELNS0_20block_scan_algorithmE0ELj4294967295EEENS1_25partition_config_selectorILNS1_17partition_subalgoE4EjNS0_10empty_typeEbEEZZNS1_14partition_implILS8_4ELb0ES6_15HIP_vector_typeIjLj2EENS0_17counting_iteratorIjlEEPS9_SG_NS0_5tupleIJPjSI_NS0_16reverse_iteratorISI_EEEEENSH_IJSG_SG_SG_EEES9_SI_JZNS1_25segmented_radix_sort_implINS0_14default_configELb0EPK12hip_bfloat16PSP_PKlPlN2at6native12_GLOBAL__N_18offset_tEEE10hipError_tPvRmT1_PNSt15iterator_traitsIS13_E10value_typeET2_T3_PNS14_IS19_E10value_typeET4_jRbjT5_S1F_jjP12ihipStream_tbEUljE_ZNSN_ISO_Lb0ESR_SS_SU_SV_SZ_EES10_S11_S12_S13_S17_S18_S19_S1C_S1D_jS1E_jS1F_S1F_jjS1H_bEUljE0_EEES10_S11_S12_S19_S1D_S1F_T6_T7_T9_mT8_S1H_bDpT10_ENKUlT_T0_E_clISt17integral_constantIbLb1EES1V_EEDaS1Q_S1R_EUlS1Q_E_NS1_11comp_targetILNS1_3genE9ELNS1_11target_archE1100ELNS1_3gpuE3ELNS1_3repE0EEENS1_30default_config_static_selectorELNS0_4arch9wavefront6targetE0EEEvS13_
	.p2align	8
	.type	_ZN7rocprim17ROCPRIM_400000_NS6detail17trampoline_kernelINS0_13select_configILj256ELj13ELNS0_17block_load_methodE3ELS4_3ELS4_3ELNS0_20block_scan_algorithmE0ELj4294967295EEENS1_25partition_config_selectorILNS1_17partition_subalgoE4EjNS0_10empty_typeEbEEZZNS1_14partition_implILS8_4ELb0ES6_15HIP_vector_typeIjLj2EENS0_17counting_iteratorIjlEEPS9_SG_NS0_5tupleIJPjSI_NS0_16reverse_iteratorISI_EEEEENSH_IJSG_SG_SG_EEES9_SI_JZNS1_25segmented_radix_sort_implINS0_14default_configELb0EPK12hip_bfloat16PSP_PKlPlN2at6native12_GLOBAL__N_18offset_tEEE10hipError_tPvRmT1_PNSt15iterator_traitsIS13_E10value_typeET2_T3_PNS14_IS19_E10value_typeET4_jRbjT5_S1F_jjP12ihipStream_tbEUljE_ZNSN_ISO_Lb0ESR_SS_SU_SV_SZ_EES10_S11_S12_S13_S17_S18_S19_S1C_S1D_jS1E_jS1F_S1F_jjS1H_bEUljE0_EEES10_S11_S12_S19_S1D_S1F_T6_T7_T9_mT8_S1H_bDpT10_ENKUlT_T0_E_clISt17integral_constantIbLb1EES1V_EEDaS1Q_S1R_EUlS1Q_E_NS1_11comp_targetILNS1_3genE9ELNS1_11target_archE1100ELNS1_3gpuE3ELNS1_3repE0EEENS1_30default_config_static_selectorELNS0_4arch9wavefront6targetE0EEEvS13_,@function
_ZN7rocprim17ROCPRIM_400000_NS6detail17trampoline_kernelINS0_13select_configILj256ELj13ELNS0_17block_load_methodE3ELS4_3ELS4_3ELNS0_20block_scan_algorithmE0ELj4294967295EEENS1_25partition_config_selectorILNS1_17partition_subalgoE4EjNS0_10empty_typeEbEEZZNS1_14partition_implILS8_4ELb0ES6_15HIP_vector_typeIjLj2EENS0_17counting_iteratorIjlEEPS9_SG_NS0_5tupleIJPjSI_NS0_16reverse_iteratorISI_EEEEENSH_IJSG_SG_SG_EEES9_SI_JZNS1_25segmented_radix_sort_implINS0_14default_configELb0EPK12hip_bfloat16PSP_PKlPlN2at6native12_GLOBAL__N_18offset_tEEE10hipError_tPvRmT1_PNSt15iterator_traitsIS13_E10value_typeET2_T3_PNS14_IS19_E10value_typeET4_jRbjT5_S1F_jjP12ihipStream_tbEUljE_ZNSN_ISO_Lb0ESR_SS_SU_SV_SZ_EES10_S11_S12_S13_S17_S18_S19_S1C_S1D_jS1E_jS1F_S1F_jjS1H_bEUljE0_EEES10_S11_S12_S19_S1D_S1F_T6_T7_T9_mT8_S1H_bDpT10_ENKUlT_T0_E_clISt17integral_constantIbLb1EES1V_EEDaS1Q_S1R_EUlS1Q_E_NS1_11comp_targetILNS1_3genE9ELNS1_11target_archE1100ELNS1_3gpuE3ELNS1_3repE0EEENS1_30default_config_static_selectorELNS0_4arch9wavefront6targetE0EEEvS13_: ; @_ZN7rocprim17ROCPRIM_400000_NS6detail17trampoline_kernelINS0_13select_configILj256ELj13ELNS0_17block_load_methodE3ELS4_3ELS4_3ELNS0_20block_scan_algorithmE0ELj4294967295EEENS1_25partition_config_selectorILNS1_17partition_subalgoE4EjNS0_10empty_typeEbEEZZNS1_14partition_implILS8_4ELb0ES6_15HIP_vector_typeIjLj2EENS0_17counting_iteratorIjlEEPS9_SG_NS0_5tupleIJPjSI_NS0_16reverse_iteratorISI_EEEEENSH_IJSG_SG_SG_EEES9_SI_JZNS1_25segmented_radix_sort_implINS0_14default_configELb0EPK12hip_bfloat16PSP_PKlPlN2at6native12_GLOBAL__N_18offset_tEEE10hipError_tPvRmT1_PNSt15iterator_traitsIS13_E10value_typeET2_T3_PNS14_IS19_E10value_typeET4_jRbjT5_S1F_jjP12ihipStream_tbEUljE_ZNSN_ISO_Lb0ESR_SS_SU_SV_SZ_EES10_S11_S12_S13_S17_S18_S19_S1C_S1D_jS1E_jS1F_S1F_jjS1H_bEUljE0_EEES10_S11_S12_S19_S1D_S1F_T6_T7_T9_mT8_S1H_bDpT10_ENKUlT_T0_E_clISt17integral_constantIbLb1EES1V_EEDaS1Q_S1R_EUlS1Q_E_NS1_11comp_targetILNS1_3genE9ELNS1_11target_archE1100ELNS1_3gpuE3ELNS1_3repE0EEENS1_30default_config_static_selectorELNS0_4arch9wavefront6targetE0EEEvS13_
; %bb.0:
	.section	.rodata,"a",@progbits
	.p2align	6, 0x0
	.amdhsa_kernel _ZN7rocprim17ROCPRIM_400000_NS6detail17trampoline_kernelINS0_13select_configILj256ELj13ELNS0_17block_load_methodE3ELS4_3ELS4_3ELNS0_20block_scan_algorithmE0ELj4294967295EEENS1_25partition_config_selectorILNS1_17partition_subalgoE4EjNS0_10empty_typeEbEEZZNS1_14partition_implILS8_4ELb0ES6_15HIP_vector_typeIjLj2EENS0_17counting_iteratorIjlEEPS9_SG_NS0_5tupleIJPjSI_NS0_16reverse_iteratorISI_EEEEENSH_IJSG_SG_SG_EEES9_SI_JZNS1_25segmented_radix_sort_implINS0_14default_configELb0EPK12hip_bfloat16PSP_PKlPlN2at6native12_GLOBAL__N_18offset_tEEE10hipError_tPvRmT1_PNSt15iterator_traitsIS13_E10value_typeET2_T3_PNS14_IS19_E10value_typeET4_jRbjT5_S1F_jjP12ihipStream_tbEUljE_ZNSN_ISO_Lb0ESR_SS_SU_SV_SZ_EES10_S11_S12_S13_S17_S18_S19_S1C_S1D_jS1E_jS1F_S1F_jjS1H_bEUljE0_EEES10_S11_S12_S19_S1D_S1F_T6_T7_T9_mT8_S1H_bDpT10_ENKUlT_T0_E_clISt17integral_constantIbLb1EES1V_EEDaS1Q_S1R_EUlS1Q_E_NS1_11comp_targetILNS1_3genE9ELNS1_11target_archE1100ELNS1_3gpuE3ELNS1_3repE0EEENS1_30default_config_static_selectorELNS0_4arch9wavefront6targetE0EEEvS13_
		.amdhsa_group_segment_fixed_size 0
		.amdhsa_private_segment_fixed_size 0
		.amdhsa_kernarg_size 184
		.amdhsa_user_sgpr_count 2
		.amdhsa_user_sgpr_dispatch_ptr 0
		.amdhsa_user_sgpr_queue_ptr 0
		.amdhsa_user_sgpr_kernarg_segment_ptr 1
		.amdhsa_user_sgpr_dispatch_id 0
		.amdhsa_user_sgpr_private_segment_size 0
		.amdhsa_wavefront_size32 1
		.amdhsa_uses_dynamic_stack 0
		.amdhsa_enable_private_segment 0
		.amdhsa_system_sgpr_workgroup_id_x 1
		.amdhsa_system_sgpr_workgroup_id_y 0
		.amdhsa_system_sgpr_workgroup_id_z 0
		.amdhsa_system_sgpr_workgroup_info 0
		.amdhsa_system_vgpr_workitem_id 0
		.amdhsa_next_free_vgpr 1
		.amdhsa_next_free_sgpr 1
		.amdhsa_reserve_vcc 0
		.amdhsa_float_round_mode_32 0
		.amdhsa_float_round_mode_16_64 0
		.amdhsa_float_denorm_mode_32 3
		.amdhsa_float_denorm_mode_16_64 3
		.amdhsa_fp16_overflow 0
		.amdhsa_workgroup_processor_mode 1
		.amdhsa_memory_ordered 1
		.amdhsa_forward_progress 1
		.amdhsa_inst_pref_size 0
		.amdhsa_round_robin_scheduling 0
		.amdhsa_exception_fp_ieee_invalid_op 0
		.amdhsa_exception_fp_denorm_src 0
		.amdhsa_exception_fp_ieee_div_zero 0
		.amdhsa_exception_fp_ieee_overflow 0
		.amdhsa_exception_fp_ieee_underflow 0
		.amdhsa_exception_fp_ieee_inexact 0
		.amdhsa_exception_int_div_zero 0
	.end_amdhsa_kernel
	.section	.text._ZN7rocprim17ROCPRIM_400000_NS6detail17trampoline_kernelINS0_13select_configILj256ELj13ELNS0_17block_load_methodE3ELS4_3ELS4_3ELNS0_20block_scan_algorithmE0ELj4294967295EEENS1_25partition_config_selectorILNS1_17partition_subalgoE4EjNS0_10empty_typeEbEEZZNS1_14partition_implILS8_4ELb0ES6_15HIP_vector_typeIjLj2EENS0_17counting_iteratorIjlEEPS9_SG_NS0_5tupleIJPjSI_NS0_16reverse_iteratorISI_EEEEENSH_IJSG_SG_SG_EEES9_SI_JZNS1_25segmented_radix_sort_implINS0_14default_configELb0EPK12hip_bfloat16PSP_PKlPlN2at6native12_GLOBAL__N_18offset_tEEE10hipError_tPvRmT1_PNSt15iterator_traitsIS13_E10value_typeET2_T3_PNS14_IS19_E10value_typeET4_jRbjT5_S1F_jjP12ihipStream_tbEUljE_ZNSN_ISO_Lb0ESR_SS_SU_SV_SZ_EES10_S11_S12_S13_S17_S18_S19_S1C_S1D_jS1E_jS1F_S1F_jjS1H_bEUljE0_EEES10_S11_S12_S19_S1D_S1F_T6_T7_T9_mT8_S1H_bDpT10_ENKUlT_T0_E_clISt17integral_constantIbLb1EES1V_EEDaS1Q_S1R_EUlS1Q_E_NS1_11comp_targetILNS1_3genE9ELNS1_11target_archE1100ELNS1_3gpuE3ELNS1_3repE0EEENS1_30default_config_static_selectorELNS0_4arch9wavefront6targetE0EEEvS13_,"axG",@progbits,_ZN7rocprim17ROCPRIM_400000_NS6detail17trampoline_kernelINS0_13select_configILj256ELj13ELNS0_17block_load_methodE3ELS4_3ELS4_3ELNS0_20block_scan_algorithmE0ELj4294967295EEENS1_25partition_config_selectorILNS1_17partition_subalgoE4EjNS0_10empty_typeEbEEZZNS1_14partition_implILS8_4ELb0ES6_15HIP_vector_typeIjLj2EENS0_17counting_iteratorIjlEEPS9_SG_NS0_5tupleIJPjSI_NS0_16reverse_iteratorISI_EEEEENSH_IJSG_SG_SG_EEES9_SI_JZNS1_25segmented_radix_sort_implINS0_14default_configELb0EPK12hip_bfloat16PSP_PKlPlN2at6native12_GLOBAL__N_18offset_tEEE10hipError_tPvRmT1_PNSt15iterator_traitsIS13_E10value_typeET2_T3_PNS14_IS19_E10value_typeET4_jRbjT5_S1F_jjP12ihipStream_tbEUljE_ZNSN_ISO_Lb0ESR_SS_SU_SV_SZ_EES10_S11_S12_S13_S17_S18_S19_S1C_S1D_jS1E_jS1F_S1F_jjS1H_bEUljE0_EEES10_S11_S12_S19_S1D_S1F_T6_T7_T9_mT8_S1H_bDpT10_ENKUlT_T0_E_clISt17integral_constantIbLb1EES1V_EEDaS1Q_S1R_EUlS1Q_E_NS1_11comp_targetILNS1_3genE9ELNS1_11target_archE1100ELNS1_3gpuE3ELNS1_3repE0EEENS1_30default_config_static_selectorELNS0_4arch9wavefront6targetE0EEEvS13_,comdat
.Lfunc_end1999:
	.size	_ZN7rocprim17ROCPRIM_400000_NS6detail17trampoline_kernelINS0_13select_configILj256ELj13ELNS0_17block_load_methodE3ELS4_3ELS4_3ELNS0_20block_scan_algorithmE0ELj4294967295EEENS1_25partition_config_selectorILNS1_17partition_subalgoE4EjNS0_10empty_typeEbEEZZNS1_14partition_implILS8_4ELb0ES6_15HIP_vector_typeIjLj2EENS0_17counting_iteratorIjlEEPS9_SG_NS0_5tupleIJPjSI_NS0_16reverse_iteratorISI_EEEEENSH_IJSG_SG_SG_EEES9_SI_JZNS1_25segmented_radix_sort_implINS0_14default_configELb0EPK12hip_bfloat16PSP_PKlPlN2at6native12_GLOBAL__N_18offset_tEEE10hipError_tPvRmT1_PNSt15iterator_traitsIS13_E10value_typeET2_T3_PNS14_IS19_E10value_typeET4_jRbjT5_S1F_jjP12ihipStream_tbEUljE_ZNSN_ISO_Lb0ESR_SS_SU_SV_SZ_EES10_S11_S12_S13_S17_S18_S19_S1C_S1D_jS1E_jS1F_S1F_jjS1H_bEUljE0_EEES10_S11_S12_S19_S1D_S1F_T6_T7_T9_mT8_S1H_bDpT10_ENKUlT_T0_E_clISt17integral_constantIbLb1EES1V_EEDaS1Q_S1R_EUlS1Q_E_NS1_11comp_targetILNS1_3genE9ELNS1_11target_archE1100ELNS1_3gpuE3ELNS1_3repE0EEENS1_30default_config_static_selectorELNS0_4arch9wavefront6targetE0EEEvS13_, .Lfunc_end1999-_ZN7rocprim17ROCPRIM_400000_NS6detail17trampoline_kernelINS0_13select_configILj256ELj13ELNS0_17block_load_methodE3ELS4_3ELS4_3ELNS0_20block_scan_algorithmE0ELj4294967295EEENS1_25partition_config_selectorILNS1_17partition_subalgoE4EjNS0_10empty_typeEbEEZZNS1_14partition_implILS8_4ELb0ES6_15HIP_vector_typeIjLj2EENS0_17counting_iteratorIjlEEPS9_SG_NS0_5tupleIJPjSI_NS0_16reverse_iteratorISI_EEEEENSH_IJSG_SG_SG_EEES9_SI_JZNS1_25segmented_radix_sort_implINS0_14default_configELb0EPK12hip_bfloat16PSP_PKlPlN2at6native12_GLOBAL__N_18offset_tEEE10hipError_tPvRmT1_PNSt15iterator_traitsIS13_E10value_typeET2_T3_PNS14_IS19_E10value_typeET4_jRbjT5_S1F_jjP12ihipStream_tbEUljE_ZNSN_ISO_Lb0ESR_SS_SU_SV_SZ_EES10_S11_S12_S13_S17_S18_S19_S1C_S1D_jS1E_jS1F_S1F_jjS1H_bEUljE0_EEES10_S11_S12_S19_S1D_S1F_T6_T7_T9_mT8_S1H_bDpT10_ENKUlT_T0_E_clISt17integral_constantIbLb1EES1V_EEDaS1Q_S1R_EUlS1Q_E_NS1_11comp_targetILNS1_3genE9ELNS1_11target_archE1100ELNS1_3gpuE3ELNS1_3repE0EEENS1_30default_config_static_selectorELNS0_4arch9wavefront6targetE0EEEvS13_
                                        ; -- End function
	.set _ZN7rocprim17ROCPRIM_400000_NS6detail17trampoline_kernelINS0_13select_configILj256ELj13ELNS0_17block_load_methodE3ELS4_3ELS4_3ELNS0_20block_scan_algorithmE0ELj4294967295EEENS1_25partition_config_selectorILNS1_17partition_subalgoE4EjNS0_10empty_typeEbEEZZNS1_14partition_implILS8_4ELb0ES6_15HIP_vector_typeIjLj2EENS0_17counting_iteratorIjlEEPS9_SG_NS0_5tupleIJPjSI_NS0_16reverse_iteratorISI_EEEEENSH_IJSG_SG_SG_EEES9_SI_JZNS1_25segmented_radix_sort_implINS0_14default_configELb0EPK12hip_bfloat16PSP_PKlPlN2at6native12_GLOBAL__N_18offset_tEEE10hipError_tPvRmT1_PNSt15iterator_traitsIS13_E10value_typeET2_T3_PNS14_IS19_E10value_typeET4_jRbjT5_S1F_jjP12ihipStream_tbEUljE_ZNSN_ISO_Lb0ESR_SS_SU_SV_SZ_EES10_S11_S12_S13_S17_S18_S19_S1C_S1D_jS1E_jS1F_S1F_jjS1H_bEUljE0_EEES10_S11_S12_S19_S1D_S1F_T6_T7_T9_mT8_S1H_bDpT10_ENKUlT_T0_E_clISt17integral_constantIbLb1EES1V_EEDaS1Q_S1R_EUlS1Q_E_NS1_11comp_targetILNS1_3genE9ELNS1_11target_archE1100ELNS1_3gpuE3ELNS1_3repE0EEENS1_30default_config_static_selectorELNS0_4arch9wavefront6targetE0EEEvS13_.num_vgpr, 0
	.set _ZN7rocprim17ROCPRIM_400000_NS6detail17trampoline_kernelINS0_13select_configILj256ELj13ELNS0_17block_load_methodE3ELS4_3ELS4_3ELNS0_20block_scan_algorithmE0ELj4294967295EEENS1_25partition_config_selectorILNS1_17partition_subalgoE4EjNS0_10empty_typeEbEEZZNS1_14partition_implILS8_4ELb0ES6_15HIP_vector_typeIjLj2EENS0_17counting_iteratorIjlEEPS9_SG_NS0_5tupleIJPjSI_NS0_16reverse_iteratorISI_EEEEENSH_IJSG_SG_SG_EEES9_SI_JZNS1_25segmented_radix_sort_implINS0_14default_configELb0EPK12hip_bfloat16PSP_PKlPlN2at6native12_GLOBAL__N_18offset_tEEE10hipError_tPvRmT1_PNSt15iterator_traitsIS13_E10value_typeET2_T3_PNS14_IS19_E10value_typeET4_jRbjT5_S1F_jjP12ihipStream_tbEUljE_ZNSN_ISO_Lb0ESR_SS_SU_SV_SZ_EES10_S11_S12_S13_S17_S18_S19_S1C_S1D_jS1E_jS1F_S1F_jjS1H_bEUljE0_EEES10_S11_S12_S19_S1D_S1F_T6_T7_T9_mT8_S1H_bDpT10_ENKUlT_T0_E_clISt17integral_constantIbLb1EES1V_EEDaS1Q_S1R_EUlS1Q_E_NS1_11comp_targetILNS1_3genE9ELNS1_11target_archE1100ELNS1_3gpuE3ELNS1_3repE0EEENS1_30default_config_static_selectorELNS0_4arch9wavefront6targetE0EEEvS13_.num_agpr, 0
	.set _ZN7rocprim17ROCPRIM_400000_NS6detail17trampoline_kernelINS0_13select_configILj256ELj13ELNS0_17block_load_methodE3ELS4_3ELS4_3ELNS0_20block_scan_algorithmE0ELj4294967295EEENS1_25partition_config_selectorILNS1_17partition_subalgoE4EjNS0_10empty_typeEbEEZZNS1_14partition_implILS8_4ELb0ES6_15HIP_vector_typeIjLj2EENS0_17counting_iteratorIjlEEPS9_SG_NS0_5tupleIJPjSI_NS0_16reverse_iteratorISI_EEEEENSH_IJSG_SG_SG_EEES9_SI_JZNS1_25segmented_radix_sort_implINS0_14default_configELb0EPK12hip_bfloat16PSP_PKlPlN2at6native12_GLOBAL__N_18offset_tEEE10hipError_tPvRmT1_PNSt15iterator_traitsIS13_E10value_typeET2_T3_PNS14_IS19_E10value_typeET4_jRbjT5_S1F_jjP12ihipStream_tbEUljE_ZNSN_ISO_Lb0ESR_SS_SU_SV_SZ_EES10_S11_S12_S13_S17_S18_S19_S1C_S1D_jS1E_jS1F_S1F_jjS1H_bEUljE0_EEES10_S11_S12_S19_S1D_S1F_T6_T7_T9_mT8_S1H_bDpT10_ENKUlT_T0_E_clISt17integral_constantIbLb1EES1V_EEDaS1Q_S1R_EUlS1Q_E_NS1_11comp_targetILNS1_3genE9ELNS1_11target_archE1100ELNS1_3gpuE3ELNS1_3repE0EEENS1_30default_config_static_selectorELNS0_4arch9wavefront6targetE0EEEvS13_.numbered_sgpr, 0
	.set _ZN7rocprim17ROCPRIM_400000_NS6detail17trampoline_kernelINS0_13select_configILj256ELj13ELNS0_17block_load_methodE3ELS4_3ELS4_3ELNS0_20block_scan_algorithmE0ELj4294967295EEENS1_25partition_config_selectorILNS1_17partition_subalgoE4EjNS0_10empty_typeEbEEZZNS1_14partition_implILS8_4ELb0ES6_15HIP_vector_typeIjLj2EENS0_17counting_iteratorIjlEEPS9_SG_NS0_5tupleIJPjSI_NS0_16reverse_iteratorISI_EEEEENSH_IJSG_SG_SG_EEES9_SI_JZNS1_25segmented_radix_sort_implINS0_14default_configELb0EPK12hip_bfloat16PSP_PKlPlN2at6native12_GLOBAL__N_18offset_tEEE10hipError_tPvRmT1_PNSt15iterator_traitsIS13_E10value_typeET2_T3_PNS14_IS19_E10value_typeET4_jRbjT5_S1F_jjP12ihipStream_tbEUljE_ZNSN_ISO_Lb0ESR_SS_SU_SV_SZ_EES10_S11_S12_S13_S17_S18_S19_S1C_S1D_jS1E_jS1F_S1F_jjS1H_bEUljE0_EEES10_S11_S12_S19_S1D_S1F_T6_T7_T9_mT8_S1H_bDpT10_ENKUlT_T0_E_clISt17integral_constantIbLb1EES1V_EEDaS1Q_S1R_EUlS1Q_E_NS1_11comp_targetILNS1_3genE9ELNS1_11target_archE1100ELNS1_3gpuE3ELNS1_3repE0EEENS1_30default_config_static_selectorELNS0_4arch9wavefront6targetE0EEEvS13_.num_named_barrier, 0
	.set _ZN7rocprim17ROCPRIM_400000_NS6detail17trampoline_kernelINS0_13select_configILj256ELj13ELNS0_17block_load_methodE3ELS4_3ELS4_3ELNS0_20block_scan_algorithmE0ELj4294967295EEENS1_25partition_config_selectorILNS1_17partition_subalgoE4EjNS0_10empty_typeEbEEZZNS1_14partition_implILS8_4ELb0ES6_15HIP_vector_typeIjLj2EENS0_17counting_iteratorIjlEEPS9_SG_NS0_5tupleIJPjSI_NS0_16reverse_iteratorISI_EEEEENSH_IJSG_SG_SG_EEES9_SI_JZNS1_25segmented_radix_sort_implINS0_14default_configELb0EPK12hip_bfloat16PSP_PKlPlN2at6native12_GLOBAL__N_18offset_tEEE10hipError_tPvRmT1_PNSt15iterator_traitsIS13_E10value_typeET2_T3_PNS14_IS19_E10value_typeET4_jRbjT5_S1F_jjP12ihipStream_tbEUljE_ZNSN_ISO_Lb0ESR_SS_SU_SV_SZ_EES10_S11_S12_S13_S17_S18_S19_S1C_S1D_jS1E_jS1F_S1F_jjS1H_bEUljE0_EEES10_S11_S12_S19_S1D_S1F_T6_T7_T9_mT8_S1H_bDpT10_ENKUlT_T0_E_clISt17integral_constantIbLb1EES1V_EEDaS1Q_S1R_EUlS1Q_E_NS1_11comp_targetILNS1_3genE9ELNS1_11target_archE1100ELNS1_3gpuE3ELNS1_3repE0EEENS1_30default_config_static_selectorELNS0_4arch9wavefront6targetE0EEEvS13_.private_seg_size, 0
	.set _ZN7rocprim17ROCPRIM_400000_NS6detail17trampoline_kernelINS0_13select_configILj256ELj13ELNS0_17block_load_methodE3ELS4_3ELS4_3ELNS0_20block_scan_algorithmE0ELj4294967295EEENS1_25partition_config_selectorILNS1_17partition_subalgoE4EjNS0_10empty_typeEbEEZZNS1_14partition_implILS8_4ELb0ES6_15HIP_vector_typeIjLj2EENS0_17counting_iteratorIjlEEPS9_SG_NS0_5tupleIJPjSI_NS0_16reverse_iteratorISI_EEEEENSH_IJSG_SG_SG_EEES9_SI_JZNS1_25segmented_radix_sort_implINS0_14default_configELb0EPK12hip_bfloat16PSP_PKlPlN2at6native12_GLOBAL__N_18offset_tEEE10hipError_tPvRmT1_PNSt15iterator_traitsIS13_E10value_typeET2_T3_PNS14_IS19_E10value_typeET4_jRbjT5_S1F_jjP12ihipStream_tbEUljE_ZNSN_ISO_Lb0ESR_SS_SU_SV_SZ_EES10_S11_S12_S13_S17_S18_S19_S1C_S1D_jS1E_jS1F_S1F_jjS1H_bEUljE0_EEES10_S11_S12_S19_S1D_S1F_T6_T7_T9_mT8_S1H_bDpT10_ENKUlT_T0_E_clISt17integral_constantIbLb1EES1V_EEDaS1Q_S1R_EUlS1Q_E_NS1_11comp_targetILNS1_3genE9ELNS1_11target_archE1100ELNS1_3gpuE3ELNS1_3repE0EEENS1_30default_config_static_selectorELNS0_4arch9wavefront6targetE0EEEvS13_.uses_vcc, 0
	.set _ZN7rocprim17ROCPRIM_400000_NS6detail17trampoline_kernelINS0_13select_configILj256ELj13ELNS0_17block_load_methodE3ELS4_3ELS4_3ELNS0_20block_scan_algorithmE0ELj4294967295EEENS1_25partition_config_selectorILNS1_17partition_subalgoE4EjNS0_10empty_typeEbEEZZNS1_14partition_implILS8_4ELb0ES6_15HIP_vector_typeIjLj2EENS0_17counting_iteratorIjlEEPS9_SG_NS0_5tupleIJPjSI_NS0_16reverse_iteratorISI_EEEEENSH_IJSG_SG_SG_EEES9_SI_JZNS1_25segmented_radix_sort_implINS0_14default_configELb0EPK12hip_bfloat16PSP_PKlPlN2at6native12_GLOBAL__N_18offset_tEEE10hipError_tPvRmT1_PNSt15iterator_traitsIS13_E10value_typeET2_T3_PNS14_IS19_E10value_typeET4_jRbjT5_S1F_jjP12ihipStream_tbEUljE_ZNSN_ISO_Lb0ESR_SS_SU_SV_SZ_EES10_S11_S12_S13_S17_S18_S19_S1C_S1D_jS1E_jS1F_S1F_jjS1H_bEUljE0_EEES10_S11_S12_S19_S1D_S1F_T6_T7_T9_mT8_S1H_bDpT10_ENKUlT_T0_E_clISt17integral_constantIbLb1EES1V_EEDaS1Q_S1R_EUlS1Q_E_NS1_11comp_targetILNS1_3genE9ELNS1_11target_archE1100ELNS1_3gpuE3ELNS1_3repE0EEENS1_30default_config_static_selectorELNS0_4arch9wavefront6targetE0EEEvS13_.uses_flat_scratch, 0
	.set _ZN7rocprim17ROCPRIM_400000_NS6detail17trampoline_kernelINS0_13select_configILj256ELj13ELNS0_17block_load_methodE3ELS4_3ELS4_3ELNS0_20block_scan_algorithmE0ELj4294967295EEENS1_25partition_config_selectorILNS1_17partition_subalgoE4EjNS0_10empty_typeEbEEZZNS1_14partition_implILS8_4ELb0ES6_15HIP_vector_typeIjLj2EENS0_17counting_iteratorIjlEEPS9_SG_NS0_5tupleIJPjSI_NS0_16reverse_iteratorISI_EEEEENSH_IJSG_SG_SG_EEES9_SI_JZNS1_25segmented_radix_sort_implINS0_14default_configELb0EPK12hip_bfloat16PSP_PKlPlN2at6native12_GLOBAL__N_18offset_tEEE10hipError_tPvRmT1_PNSt15iterator_traitsIS13_E10value_typeET2_T3_PNS14_IS19_E10value_typeET4_jRbjT5_S1F_jjP12ihipStream_tbEUljE_ZNSN_ISO_Lb0ESR_SS_SU_SV_SZ_EES10_S11_S12_S13_S17_S18_S19_S1C_S1D_jS1E_jS1F_S1F_jjS1H_bEUljE0_EEES10_S11_S12_S19_S1D_S1F_T6_T7_T9_mT8_S1H_bDpT10_ENKUlT_T0_E_clISt17integral_constantIbLb1EES1V_EEDaS1Q_S1R_EUlS1Q_E_NS1_11comp_targetILNS1_3genE9ELNS1_11target_archE1100ELNS1_3gpuE3ELNS1_3repE0EEENS1_30default_config_static_selectorELNS0_4arch9wavefront6targetE0EEEvS13_.has_dyn_sized_stack, 0
	.set _ZN7rocprim17ROCPRIM_400000_NS6detail17trampoline_kernelINS0_13select_configILj256ELj13ELNS0_17block_load_methodE3ELS4_3ELS4_3ELNS0_20block_scan_algorithmE0ELj4294967295EEENS1_25partition_config_selectorILNS1_17partition_subalgoE4EjNS0_10empty_typeEbEEZZNS1_14partition_implILS8_4ELb0ES6_15HIP_vector_typeIjLj2EENS0_17counting_iteratorIjlEEPS9_SG_NS0_5tupleIJPjSI_NS0_16reverse_iteratorISI_EEEEENSH_IJSG_SG_SG_EEES9_SI_JZNS1_25segmented_radix_sort_implINS0_14default_configELb0EPK12hip_bfloat16PSP_PKlPlN2at6native12_GLOBAL__N_18offset_tEEE10hipError_tPvRmT1_PNSt15iterator_traitsIS13_E10value_typeET2_T3_PNS14_IS19_E10value_typeET4_jRbjT5_S1F_jjP12ihipStream_tbEUljE_ZNSN_ISO_Lb0ESR_SS_SU_SV_SZ_EES10_S11_S12_S13_S17_S18_S19_S1C_S1D_jS1E_jS1F_S1F_jjS1H_bEUljE0_EEES10_S11_S12_S19_S1D_S1F_T6_T7_T9_mT8_S1H_bDpT10_ENKUlT_T0_E_clISt17integral_constantIbLb1EES1V_EEDaS1Q_S1R_EUlS1Q_E_NS1_11comp_targetILNS1_3genE9ELNS1_11target_archE1100ELNS1_3gpuE3ELNS1_3repE0EEENS1_30default_config_static_selectorELNS0_4arch9wavefront6targetE0EEEvS13_.has_recursion, 0
	.set _ZN7rocprim17ROCPRIM_400000_NS6detail17trampoline_kernelINS0_13select_configILj256ELj13ELNS0_17block_load_methodE3ELS4_3ELS4_3ELNS0_20block_scan_algorithmE0ELj4294967295EEENS1_25partition_config_selectorILNS1_17partition_subalgoE4EjNS0_10empty_typeEbEEZZNS1_14partition_implILS8_4ELb0ES6_15HIP_vector_typeIjLj2EENS0_17counting_iteratorIjlEEPS9_SG_NS0_5tupleIJPjSI_NS0_16reverse_iteratorISI_EEEEENSH_IJSG_SG_SG_EEES9_SI_JZNS1_25segmented_radix_sort_implINS0_14default_configELb0EPK12hip_bfloat16PSP_PKlPlN2at6native12_GLOBAL__N_18offset_tEEE10hipError_tPvRmT1_PNSt15iterator_traitsIS13_E10value_typeET2_T3_PNS14_IS19_E10value_typeET4_jRbjT5_S1F_jjP12ihipStream_tbEUljE_ZNSN_ISO_Lb0ESR_SS_SU_SV_SZ_EES10_S11_S12_S13_S17_S18_S19_S1C_S1D_jS1E_jS1F_S1F_jjS1H_bEUljE0_EEES10_S11_S12_S19_S1D_S1F_T6_T7_T9_mT8_S1H_bDpT10_ENKUlT_T0_E_clISt17integral_constantIbLb1EES1V_EEDaS1Q_S1R_EUlS1Q_E_NS1_11comp_targetILNS1_3genE9ELNS1_11target_archE1100ELNS1_3gpuE3ELNS1_3repE0EEENS1_30default_config_static_selectorELNS0_4arch9wavefront6targetE0EEEvS13_.has_indirect_call, 0
	.section	.AMDGPU.csdata,"",@progbits
; Kernel info:
; codeLenInByte = 0
; TotalNumSgprs: 0
; NumVgprs: 0
; ScratchSize: 0
; MemoryBound: 0
; FloatMode: 240
; IeeeMode: 1
; LDSByteSize: 0 bytes/workgroup (compile time only)
; SGPRBlocks: 0
; VGPRBlocks: 0
; NumSGPRsForWavesPerEU: 1
; NumVGPRsForWavesPerEU: 1
; Occupancy: 16
; WaveLimiterHint : 0
; COMPUTE_PGM_RSRC2:SCRATCH_EN: 0
; COMPUTE_PGM_RSRC2:USER_SGPR: 2
; COMPUTE_PGM_RSRC2:TRAP_HANDLER: 0
; COMPUTE_PGM_RSRC2:TGID_X_EN: 1
; COMPUTE_PGM_RSRC2:TGID_Y_EN: 0
; COMPUTE_PGM_RSRC2:TGID_Z_EN: 0
; COMPUTE_PGM_RSRC2:TIDIG_COMP_CNT: 0
	.section	.text._ZN7rocprim17ROCPRIM_400000_NS6detail17trampoline_kernelINS0_13select_configILj256ELj13ELNS0_17block_load_methodE3ELS4_3ELS4_3ELNS0_20block_scan_algorithmE0ELj4294967295EEENS1_25partition_config_selectorILNS1_17partition_subalgoE4EjNS0_10empty_typeEbEEZZNS1_14partition_implILS8_4ELb0ES6_15HIP_vector_typeIjLj2EENS0_17counting_iteratorIjlEEPS9_SG_NS0_5tupleIJPjSI_NS0_16reverse_iteratorISI_EEEEENSH_IJSG_SG_SG_EEES9_SI_JZNS1_25segmented_radix_sort_implINS0_14default_configELb0EPK12hip_bfloat16PSP_PKlPlN2at6native12_GLOBAL__N_18offset_tEEE10hipError_tPvRmT1_PNSt15iterator_traitsIS13_E10value_typeET2_T3_PNS14_IS19_E10value_typeET4_jRbjT5_S1F_jjP12ihipStream_tbEUljE_ZNSN_ISO_Lb0ESR_SS_SU_SV_SZ_EES10_S11_S12_S13_S17_S18_S19_S1C_S1D_jS1E_jS1F_S1F_jjS1H_bEUljE0_EEES10_S11_S12_S19_S1D_S1F_T6_T7_T9_mT8_S1H_bDpT10_ENKUlT_T0_E_clISt17integral_constantIbLb1EES1V_EEDaS1Q_S1R_EUlS1Q_E_NS1_11comp_targetILNS1_3genE8ELNS1_11target_archE1030ELNS1_3gpuE2ELNS1_3repE0EEENS1_30default_config_static_selectorELNS0_4arch9wavefront6targetE0EEEvS13_,"axG",@progbits,_ZN7rocprim17ROCPRIM_400000_NS6detail17trampoline_kernelINS0_13select_configILj256ELj13ELNS0_17block_load_methodE3ELS4_3ELS4_3ELNS0_20block_scan_algorithmE0ELj4294967295EEENS1_25partition_config_selectorILNS1_17partition_subalgoE4EjNS0_10empty_typeEbEEZZNS1_14partition_implILS8_4ELb0ES6_15HIP_vector_typeIjLj2EENS0_17counting_iteratorIjlEEPS9_SG_NS0_5tupleIJPjSI_NS0_16reverse_iteratorISI_EEEEENSH_IJSG_SG_SG_EEES9_SI_JZNS1_25segmented_radix_sort_implINS0_14default_configELb0EPK12hip_bfloat16PSP_PKlPlN2at6native12_GLOBAL__N_18offset_tEEE10hipError_tPvRmT1_PNSt15iterator_traitsIS13_E10value_typeET2_T3_PNS14_IS19_E10value_typeET4_jRbjT5_S1F_jjP12ihipStream_tbEUljE_ZNSN_ISO_Lb0ESR_SS_SU_SV_SZ_EES10_S11_S12_S13_S17_S18_S19_S1C_S1D_jS1E_jS1F_S1F_jjS1H_bEUljE0_EEES10_S11_S12_S19_S1D_S1F_T6_T7_T9_mT8_S1H_bDpT10_ENKUlT_T0_E_clISt17integral_constantIbLb1EES1V_EEDaS1Q_S1R_EUlS1Q_E_NS1_11comp_targetILNS1_3genE8ELNS1_11target_archE1030ELNS1_3gpuE2ELNS1_3repE0EEENS1_30default_config_static_selectorELNS0_4arch9wavefront6targetE0EEEvS13_,comdat
	.globl	_ZN7rocprim17ROCPRIM_400000_NS6detail17trampoline_kernelINS0_13select_configILj256ELj13ELNS0_17block_load_methodE3ELS4_3ELS4_3ELNS0_20block_scan_algorithmE0ELj4294967295EEENS1_25partition_config_selectorILNS1_17partition_subalgoE4EjNS0_10empty_typeEbEEZZNS1_14partition_implILS8_4ELb0ES6_15HIP_vector_typeIjLj2EENS0_17counting_iteratorIjlEEPS9_SG_NS0_5tupleIJPjSI_NS0_16reverse_iteratorISI_EEEEENSH_IJSG_SG_SG_EEES9_SI_JZNS1_25segmented_radix_sort_implINS0_14default_configELb0EPK12hip_bfloat16PSP_PKlPlN2at6native12_GLOBAL__N_18offset_tEEE10hipError_tPvRmT1_PNSt15iterator_traitsIS13_E10value_typeET2_T3_PNS14_IS19_E10value_typeET4_jRbjT5_S1F_jjP12ihipStream_tbEUljE_ZNSN_ISO_Lb0ESR_SS_SU_SV_SZ_EES10_S11_S12_S13_S17_S18_S19_S1C_S1D_jS1E_jS1F_S1F_jjS1H_bEUljE0_EEES10_S11_S12_S19_S1D_S1F_T6_T7_T9_mT8_S1H_bDpT10_ENKUlT_T0_E_clISt17integral_constantIbLb1EES1V_EEDaS1Q_S1R_EUlS1Q_E_NS1_11comp_targetILNS1_3genE8ELNS1_11target_archE1030ELNS1_3gpuE2ELNS1_3repE0EEENS1_30default_config_static_selectorELNS0_4arch9wavefront6targetE0EEEvS13_ ; -- Begin function _ZN7rocprim17ROCPRIM_400000_NS6detail17trampoline_kernelINS0_13select_configILj256ELj13ELNS0_17block_load_methodE3ELS4_3ELS4_3ELNS0_20block_scan_algorithmE0ELj4294967295EEENS1_25partition_config_selectorILNS1_17partition_subalgoE4EjNS0_10empty_typeEbEEZZNS1_14partition_implILS8_4ELb0ES6_15HIP_vector_typeIjLj2EENS0_17counting_iteratorIjlEEPS9_SG_NS0_5tupleIJPjSI_NS0_16reverse_iteratorISI_EEEEENSH_IJSG_SG_SG_EEES9_SI_JZNS1_25segmented_radix_sort_implINS0_14default_configELb0EPK12hip_bfloat16PSP_PKlPlN2at6native12_GLOBAL__N_18offset_tEEE10hipError_tPvRmT1_PNSt15iterator_traitsIS13_E10value_typeET2_T3_PNS14_IS19_E10value_typeET4_jRbjT5_S1F_jjP12ihipStream_tbEUljE_ZNSN_ISO_Lb0ESR_SS_SU_SV_SZ_EES10_S11_S12_S13_S17_S18_S19_S1C_S1D_jS1E_jS1F_S1F_jjS1H_bEUljE0_EEES10_S11_S12_S19_S1D_S1F_T6_T7_T9_mT8_S1H_bDpT10_ENKUlT_T0_E_clISt17integral_constantIbLb1EES1V_EEDaS1Q_S1R_EUlS1Q_E_NS1_11comp_targetILNS1_3genE8ELNS1_11target_archE1030ELNS1_3gpuE2ELNS1_3repE0EEENS1_30default_config_static_selectorELNS0_4arch9wavefront6targetE0EEEvS13_
	.p2align	8
	.type	_ZN7rocprim17ROCPRIM_400000_NS6detail17trampoline_kernelINS0_13select_configILj256ELj13ELNS0_17block_load_methodE3ELS4_3ELS4_3ELNS0_20block_scan_algorithmE0ELj4294967295EEENS1_25partition_config_selectorILNS1_17partition_subalgoE4EjNS0_10empty_typeEbEEZZNS1_14partition_implILS8_4ELb0ES6_15HIP_vector_typeIjLj2EENS0_17counting_iteratorIjlEEPS9_SG_NS0_5tupleIJPjSI_NS0_16reverse_iteratorISI_EEEEENSH_IJSG_SG_SG_EEES9_SI_JZNS1_25segmented_radix_sort_implINS0_14default_configELb0EPK12hip_bfloat16PSP_PKlPlN2at6native12_GLOBAL__N_18offset_tEEE10hipError_tPvRmT1_PNSt15iterator_traitsIS13_E10value_typeET2_T3_PNS14_IS19_E10value_typeET4_jRbjT5_S1F_jjP12ihipStream_tbEUljE_ZNSN_ISO_Lb0ESR_SS_SU_SV_SZ_EES10_S11_S12_S13_S17_S18_S19_S1C_S1D_jS1E_jS1F_S1F_jjS1H_bEUljE0_EEES10_S11_S12_S19_S1D_S1F_T6_T7_T9_mT8_S1H_bDpT10_ENKUlT_T0_E_clISt17integral_constantIbLb1EES1V_EEDaS1Q_S1R_EUlS1Q_E_NS1_11comp_targetILNS1_3genE8ELNS1_11target_archE1030ELNS1_3gpuE2ELNS1_3repE0EEENS1_30default_config_static_selectorELNS0_4arch9wavefront6targetE0EEEvS13_,@function
_ZN7rocprim17ROCPRIM_400000_NS6detail17trampoline_kernelINS0_13select_configILj256ELj13ELNS0_17block_load_methodE3ELS4_3ELS4_3ELNS0_20block_scan_algorithmE0ELj4294967295EEENS1_25partition_config_selectorILNS1_17partition_subalgoE4EjNS0_10empty_typeEbEEZZNS1_14partition_implILS8_4ELb0ES6_15HIP_vector_typeIjLj2EENS0_17counting_iteratorIjlEEPS9_SG_NS0_5tupleIJPjSI_NS0_16reverse_iteratorISI_EEEEENSH_IJSG_SG_SG_EEES9_SI_JZNS1_25segmented_radix_sort_implINS0_14default_configELb0EPK12hip_bfloat16PSP_PKlPlN2at6native12_GLOBAL__N_18offset_tEEE10hipError_tPvRmT1_PNSt15iterator_traitsIS13_E10value_typeET2_T3_PNS14_IS19_E10value_typeET4_jRbjT5_S1F_jjP12ihipStream_tbEUljE_ZNSN_ISO_Lb0ESR_SS_SU_SV_SZ_EES10_S11_S12_S13_S17_S18_S19_S1C_S1D_jS1E_jS1F_S1F_jjS1H_bEUljE0_EEES10_S11_S12_S19_S1D_S1F_T6_T7_T9_mT8_S1H_bDpT10_ENKUlT_T0_E_clISt17integral_constantIbLb1EES1V_EEDaS1Q_S1R_EUlS1Q_E_NS1_11comp_targetILNS1_3genE8ELNS1_11target_archE1030ELNS1_3gpuE2ELNS1_3repE0EEENS1_30default_config_static_selectorELNS0_4arch9wavefront6targetE0EEEvS13_: ; @_ZN7rocprim17ROCPRIM_400000_NS6detail17trampoline_kernelINS0_13select_configILj256ELj13ELNS0_17block_load_methodE3ELS4_3ELS4_3ELNS0_20block_scan_algorithmE0ELj4294967295EEENS1_25partition_config_selectorILNS1_17partition_subalgoE4EjNS0_10empty_typeEbEEZZNS1_14partition_implILS8_4ELb0ES6_15HIP_vector_typeIjLj2EENS0_17counting_iteratorIjlEEPS9_SG_NS0_5tupleIJPjSI_NS0_16reverse_iteratorISI_EEEEENSH_IJSG_SG_SG_EEES9_SI_JZNS1_25segmented_radix_sort_implINS0_14default_configELb0EPK12hip_bfloat16PSP_PKlPlN2at6native12_GLOBAL__N_18offset_tEEE10hipError_tPvRmT1_PNSt15iterator_traitsIS13_E10value_typeET2_T3_PNS14_IS19_E10value_typeET4_jRbjT5_S1F_jjP12ihipStream_tbEUljE_ZNSN_ISO_Lb0ESR_SS_SU_SV_SZ_EES10_S11_S12_S13_S17_S18_S19_S1C_S1D_jS1E_jS1F_S1F_jjS1H_bEUljE0_EEES10_S11_S12_S19_S1D_S1F_T6_T7_T9_mT8_S1H_bDpT10_ENKUlT_T0_E_clISt17integral_constantIbLb1EES1V_EEDaS1Q_S1R_EUlS1Q_E_NS1_11comp_targetILNS1_3genE8ELNS1_11target_archE1030ELNS1_3gpuE2ELNS1_3repE0EEENS1_30default_config_static_selectorELNS0_4arch9wavefront6targetE0EEEvS13_
; %bb.0:
	.section	.rodata,"a",@progbits
	.p2align	6, 0x0
	.amdhsa_kernel _ZN7rocprim17ROCPRIM_400000_NS6detail17trampoline_kernelINS0_13select_configILj256ELj13ELNS0_17block_load_methodE3ELS4_3ELS4_3ELNS0_20block_scan_algorithmE0ELj4294967295EEENS1_25partition_config_selectorILNS1_17partition_subalgoE4EjNS0_10empty_typeEbEEZZNS1_14partition_implILS8_4ELb0ES6_15HIP_vector_typeIjLj2EENS0_17counting_iteratorIjlEEPS9_SG_NS0_5tupleIJPjSI_NS0_16reverse_iteratorISI_EEEEENSH_IJSG_SG_SG_EEES9_SI_JZNS1_25segmented_radix_sort_implINS0_14default_configELb0EPK12hip_bfloat16PSP_PKlPlN2at6native12_GLOBAL__N_18offset_tEEE10hipError_tPvRmT1_PNSt15iterator_traitsIS13_E10value_typeET2_T3_PNS14_IS19_E10value_typeET4_jRbjT5_S1F_jjP12ihipStream_tbEUljE_ZNSN_ISO_Lb0ESR_SS_SU_SV_SZ_EES10_S11_S12_S13_S17_S18_S19_S1C_S1D_jS1E_jS1F_S1F_jjS1H_bEUljE0_EEES10_S11_S12_S19_S1D_S1F_T6_T7_T9_mT8_S1H_bDpT10_ENKUlT_T0_E_clISt17integral_constantIbLb1EES1V_EEDaS1Q_S1R_EUlS1Q_E_NS1_11comp_targetILNS1_3genE8ELNS1_11target_archE1030ELNS1_3gpuE2ELNS1_3repE0EEENS1_30default_config_static_selectorELNS0_4arch9wavefront6targetE0EEEvS13_
		.amdhsa_group_segment_fixed_size 0
		.amdhsa_private_segment_fixed_size 0
		.amdhsa_kernarg_size 184
		.amdhsa_user_sgpr_count 2
		.amdhsa_user_sgpr_dispatch_ptr 0
		.amdhsa_user_sgpr_queue_ptr 0
		.amdhsa_user_sgpr_kernarg_segment_ptr 1
		.amdhsa_user_sgpr_dispatch_id 0
		.amdhsa_user_sgpr_private_segment_size 0
		.amdhsa_wavefront_size32 1
		.amdhsa_uses_dynamic_stack 0
		.amdhsa_enable_private_segment 0
		.amdhsa_system_sgpr_workgroup_id_x 1
		.amdhsa_system_sgpr_workgroup_id_y 0
		.amdhsa_system_sgpr_workgroup_id_z 0
		.amdhsa_system_sgpr_workgroup_info 0
		.amdhsa_system_vgpr_workitem_id 0
		.amdhsa_next_free_vgpr 1
		.amdhsa_next_free_sgpr 1
		.amdhsa_reserve_vcc 0
		.amdhsa_float_round_mode_32 0
		.amdhsa_float_round_mode_16_64 0
		.amdhsa_float_denorm_mode_32 3
		.amdhsa_float_denorm_mode_16_64 3
		.amdhsa_fp16_overflow 0
		.amdhsa_workgroup_processor_mode 1
		.amdhsa_memory_ordered 1
		.amdhsa_forward_progress 1
		.amdhsa_inst_pref_size 0
		.amdhsa_round_robin_scheduling 0
		.amdhsa_exception_fp_ieee_invalid_op 0
		.amdhsa_exception_fp_denorm_src 0
		.amdhsa_exception_fp_ieee_div_zero 0
		.amdhsa_exception_fp_ieee_overflow 0
		.amdhsa_exception_fp_ieee_underflow 0
		.amdhsa_exception_fp_ieee_inexact 0
		.amdhsa_exception_int_div_zero 0
	.end_amdhsa_kernel
	.section	.text._ZN7rocprim17ROCPRIM_400000_NS6detail17trampoline_kernelINS0_13select_configILj256ELj13ELNS0_17block_load_methodE3ELS4_3ELS4_3ELNS0_20block_scan_algorithmE0ELj4294967295EEENS1_25partition_config_selectorILNS1_17partition_subalgoE4EjNS0_10empty_typeEbEEZZNS1_14partition_implILS8_4ELb0ES6_15HIP_vector_typeIjLj2EENS0_17counting_iteratorIjlEEPS9_SG_NS0_5tupleIJPjSI_NS0_16reverse_iteratorISI_EEEEENSH_IJSG_SG_SG_EEES9_SI_JZNS1_25segmented_radix_sort_implINS0_14default_configELb0EPK12hip_bfloat16PSP_PKlPlN2at6native12_GLOBAL__N_18offset_tEEE10hipError_tPvRmT1_PNSt15iterator_traitsIS13_E10value_typeET2_T3_PNS14_IS19_E10value_typeET4_jRbjT5_S1F_jjP12ihipStream_tbEUljE_ZNSN_ISO_Lb0ESR_SS_SU_SV_SZ_EES10_S11_S12_S13_S17_S18_S19_S1C_S1D_jS1E_jS1F_S1F_jjS1H_bEUljE0_EEES10_S11_S12_S19_S1D_S1F_T6_T7_T9_mT8_S1H_bDpT10_ENKUlT_T0_E_clISt17integral_constantIbLb1EES1V_EEDaS1Q_S1R_EUlS1Q_E_NS1_11comp_targetILNS1_3genE8ELNS1_11target_archE1030ELNS1_3gpuE2ELNS1_3repE0EEENS1_30default_config_static_selectorELNS0_4arch9wavefront6targetE0EEEvS13_,"axG",@progbits,_ZN7rocprim17ROCPRIM_400000_NS6detail17trampoline_kernelINS0_13select_configILj256ELj13ELNS0_17block_load_methodE3ELS4_3ELS4_3ELNS0_20block_scan_algorithmE0ELj4294967295EEENS1_25partition_config_selectorILNS1_17partition_subalgoE4EjNS0_10empty_typeEbEEZZNS1_14partition_implILS8_4ELb0ES6_15HIP_vector_typeIjLj2EENS0_17counting_iteratorIjlEEPS9_SG_NS0_5tupleIJPjSI_NS0_16reverse_iteratorISI_EEEEENSH_IJSG_SG_SG_EEES9_SI_JZNS1_25segmented_radix_sort_implINS0_14default_configELb0EPK12hip_bfloat16PSP_PKlPlN2at6native12_GLOBAL__N_18offset_tEEE10hipError_tPvRmT1_PNSt15iterator_traitsIS13_E10value_typeET2_T3_PNS14_IS19_E10value_typeET4_jRbjT5_S1F_jjP12ihipStream_tbEUljE_ZNSN_ISO_Lb0ESR_SS_SU_SV_SZ_EES10_S11_S12_S13_S17_S18_S19_S1C_S1D_jS1E_jS1F_S1F_jjS1H_bEUljE0_EEES10_S11_S12_S19_S1D_S1F_T6_T7_T9_mT8_S1H_bDpT10_ENKUlT_T0_E_clISt17integral_constantIbLb1EES1V_EEDaS1Q_S1R_EUlS1Q_E_NS1_11comp_targetILNS1_3genE8ELNS1_11target_archE1030ELNS1_3gpuE2ELNS1_3repE0EEENS1_30default_config_static_selectorELNS0_4arch9wavefront6targetE0EEEvS13_,comdat
.Lfunc_end2000:
	.size	_ZN7rocprim17ROCPRIM_400000_NS6detail17trampoline_kernelINS0_13select_configILj256ELj13ELNS0_17block_load_methodE3ELS4_3ELS4_3ELNS0_20block_scan_algorithmE0ELj4294967295EEENS1_25partition_config_selectorILNS1_17partition_subalgoE4EjNS0_10empty_typeEbEEZZNS1_14partition_implILS8_4ELb0ES6_15HIP_vector_typeIjLj2EENS0_17counting_iteratorIjlEEPS9_SG_NS0_5tupleIJPjSI_NS0_16reverse_iteratorISI_EEEEENSH_IJSG_SG_SG_EEES9_SI_JZNS1_25segmented_radix_sort_implINS0_14default_configELb0EPK12hip_bfloat16PSP_PKlPlN2at6native12_GLOBAL__N_18offset_tEEE10hipError_tPvRmT1_PNSt15iterator_traitsIS13_E10value_typeET2_T3_PNS14_IS19_E10value_typeET4_jRbjT5_S1F_jjP12ihipStream_tbEUljE_ZNSN_ISO_Lb0ESR_SS_SU_SV_SZ_EES10_S11_S12_S13_S17_S18_S19_S1C_S1D_jS1E_jS1F_S1F_jjS1H_bEUljE0_EEES10_S11_S12_S19_S1D_S1F_T6_T7_T9_mT8_S1H_bDpT10_ENKUlT_T0_E_clISt17integral_constantIbLb1EES1V_EEDaS1Q_S1R_EUlS1Q_E_NS1_11comp_targetILNS1_3genE8ELNS1_11target_archE1030ELNS1_3gpuE2ELNS1_3repE0EEENS1_30default_config_static_selectorELNS0_4arch9wavefront6targetE0EEEvS13_, .Lfunc_end2000-_ZN7rocprim17ROCPRIM_400000_NS6detail17trampoline_kernelINS0_13select_configILj256ELj13ELNS0_17block_load_methodE3ELS4_3ELS4_3ELNS0_20block_scan_algorithmE0ELj4294967295EEENS1_25partition_config_selectorILNS1_17partition_subalgoE4EjNS0_10empty_typeEbEEZZNS1_14partition_implILS8_4ELb0ES6_15HIP_vector_typeIjLj2EENS0_17counting_iteratorIjlEEPS9_SG_NS0_5tupleIJPjSI_NS0_16reverse_iteratorISI_EEEEENSH_IJSG_SG_SG_EEES9_SI_JZNS1_25segmented_radix_sort_implINS0_14default_configELb0EPK12hip_bfloat16PSP_PKlPlN2at6native12_GLOBAL__N_18offset_tEEE10hipError_tPvRmT1_PNSt15iterator_traitsIS13_E10value_typeET2_T3_PNS14_IS19_E10value_typeET4_jRbjT5_S1F_jjP12ihipStream_tbEUljE_ZNSN_ISO_Lb0ESR_SS_SU_SV_SZ_EES10_S11_S12_S13_S17_S18_S19_S1C_S1D_jS1E_jS1F_S1F_jjS1H_bEUljE0_EEES10_S11_S12_S19_S1D_S1F_T6_T7_T9_mT8_S1H_bDpT10_ENKUlT_T0_E_clISt17integral_constantIbLb1EES1V_EEDaS1Q_S1R_EUlS1Q_E_NS1_11comp_targetILNS1_3genE8ELNS1_11target_archE1030ELNS1_3gpuE2ELNS1_3repE0EEENS1_30default_config_static_selectorELNS0_4arch9wavefront6targetE0EEEvS13_
                                        ; -- End function
	.set _ZN7rocprim17ROCPRIM_400000_NS6detail17trampoline_kernelINS0_13select_configILj256ELj13ELNS0_17block_load_methodE3ELS4_3ELS4_3ELNS0_20block_scan_algorithmE0ELj4294967295EEENS1_25partition_config_selectorILNS1_17partition_subalgoE4EjNS0_10empty_typeEbEEZZNS1_14partition_implILS8_4ELb0ES6_15HIP_vector_typeIjLj2EENS0_17counting_iteratorIjlEEPS9_SG_NS0_5tupleIJPjSI_NS0_16reverse_iteratorISI_EEEEENSH_IJSG_SG_SG_EEES9_SI_JZNS1_25segmented_radix_sort_implINS0_14default_configELb0EPK12hip_bfloat16PSP_PKlPlN2at6native12_GLOBAL__N_18offset_tEEE10hipError_tPvRmT1_PNSt15iterator_traitsIS13_E10value_typeET2_T3_PNS14_IS19_E10value_typeET4_jRbjT5_S1F_jjP12ihipStream_tbEUljE_ZNSN_ISO_Lb0ESR_SS_SU_SV_SZ_EES10_S11_S12_S13_S17_S18_S19_S1C_S1D_jS1E_jS1F_S1F_jjS1H_bEUljE0_EEES10_S11_S12_S19_S1D_S1F_T6_T7_T9_mT8_S1H_bDpT10_ENKUlT_T0_E_clISt17integral_constantIbLb1EES1V_EEDaS1Q_S1R_EUlS1Q_E_NS1_11comp_targetILNS1_3genE8ELNS1_11target_archE1030ELNS1_3gpuE2ELNS1_3repE0EEENS1_30default_config_static_selectorELNS0_4arch9wavefront6targetE0EEEvS13_.num_vgpr, 0
	.set _ZN7rocprim17ROCPRIM_400000_NS6detail17trampoline_kernelINS0_13select_configILj256ELj13ELNS0_17block_load_methodE3ELS4_3ELS4_3ELNS0_20block_scan_algorithmE0ELj4294967295EEENS1_25partition_config_selectorILNS1_17partition_subalgoE4EjNS0_10empty_typeEbEEZZNS1_14partition_implILS8_4ELb0ES6_15HIP_vector_typeIjLj2EENS0_17counting_iteratorIjlEEPS9_SG_NS0_5tupleIJPjSI_NS0_16reverse_iteratorISI_EEEEENSH_IJSG_SG_SG_EEES9_SI_JZNS1_25segmented_radix_sort_implINS0_14default_configELb0EPK12hip_bfloat16PSP_PKlPlN2at6native12_GLOBAL__N_18offset_tEEE10hipError_tPvRmT1_PNSt15iterator_traitsIS13_E10value_typeET2_T3_PNS14_IS19_E10value_typeET4_jRbjT5_S1F_jjP12ihipStream_tbEUljE_ZNSN_ISO_Lb0ESR_SS_SU_SV_SZ_EES10_S11_S12_S13_S17_S18_S19_S1C_S1D_jS1E_jS1F_S1F_jjS1H_bEUljE0_EEES10_S11_S12_S19_S1D_S1F_T6_T7_T9_mT8_S1H_bDpT10_ENKUlT_T0_E_clISt17integral_constantIbLb1EES1V_EEDaS1Q_S1R_EUlS1Q_E_NS1_11comp_targetILNS1_3genE8ELNS1_11target_archE1030ELNS1_3gpuE2ELNS1_3repE0EEENS1_30default_config_static_selectorELNS0_4arch9wavefront6targetE0EEEvS13_.num_agpr, 0
	.set _ZN7rocprim17ROCPRIM_400000_NS6detail17trampoline_kernelINS0_13select_configILj256ELj13ELNS0_17block_load_methodE3ELS4_3ELS4_3ELNS0_20block_scan_algorithmE0ELj4294967295EEENS1_25partition_config_selectorILNS1_17partition_subalgoE4EjNS0_10empty_typeEbEEZZNS1_14partition_implILS8_4ELb0ES6_15HIP_vector_typeIjLj2EENS0_17counting_iteratorIjlEEPS9_SG_NS0_5tupleIJPjSI_NS0_16reverse_iteratorISI_EEEEENSH_IJSG_SG_SG_EEES9_SI_JZNS1_25segmented_radix_sort_implINS0_14default_configELb0EPK12hip_bfloat16PSP_PKlPlN2at6native12_GLOBAL__N_18offset_tEEE10hipError_tPvRmT1_PNSt15iterator_traitsIS13_E10value_typeET2_T3_PNS14_IS19_E10value_typeET4_jRbjT5_S1F_jjP12ihipStream_tbEUljE_ZNSN_ISO_Lb0ESR_SS_SU_SV_SZ_EES10_S11_S12_S13_S17_S18_S19_S1C_S1D_jS1E_jS1F_S1F_jjS1H_bEUljE0_EEES10_S11_S12_S19_S1D_S1F_T6_T7_T9_mT8_S1H_bDpT10_ENKUlT_T0_E_clISt17integral_constantIbLb1EES1V_EEDaS1Q_S1R_EUlS1Q_E_NS1_11comp_targetILNS1_3genE8ELNS1_11target_archE1030ELNS1_3gpuE2ELNS1_3repE0EEENS1_30default_config_static_selectorELNS0_4arch9wavefront6targetE0EEEvS13_.numbered_sgpr, 0
	.set _ZN7rocprim17ROCPRIM_400000_NS6detail17trampoline_kernelINS0_13select_configILj256ELj13ELNS0_17block_load_methodE3ELS4_3ELS4_3ELNS0_20block_scan_algorithmE0ELj4294967295EEENS1_25partition_config_selectorILNS1_17partition_subalgoE4EjNS0_10empty_typeEbEEZZNS1_14partition_implILS8_4ELb0ES6_15HIP_vector_typeIjLj2EENS0_17counting_iteratorIjlEEPS9_SG_NS0_5tupleIJPjSI_NS0_16reverse_iteratorISI_EEEEENSH_IJSG_SG_SG_EEES9_SI_JZNS1_25segmented_radix_sort_implINS0_14default_configELb0EPK12hip_bfloat16PSP_PKlPlN2at6native12_GLOBAL__N_18offset_tEEE10hipError_tPvRmT1_PNSt15iterator_traitsIS13_E10value_typeET2_T3_PNS14_IS19_E10value_typeET4_jRbjT5_S1F_jjP12ihipStream_tbEUljE_ZNSN_ISO_Lb0ESR_SS_SU_SV_SZ_EES10_S11_S12_S13_S17_S18_S19_S1C_S1D_jS1E_jS1F_S1F_jjS1H_bEUljE0_EEES10_S11_S12_S19_S1D_S1F_T6_T7_T9_mT8_S1H_bDpT10_ENKUlT_T0_E_clISt17integral_constantIbLb1EES1V_EEDaS1Q_S1R_EUlS1Q_E_NS1_11comp_targetILNS1_3genE8ELNS1_11target_archE1030ELNS1_3gpuE2ELNS1_3repE0EEENS1_30default_config_static_selectorELNS0_4arch9wavefront6targetE0EEEvS13_.num_named_barrier, 0
	.set _ZN7rocprim17ROCPRIM_400000_NS6detail17trampoline_kernelINS0_13select_configILj256ELj13ELNS0_17block_load_methodE3ELS4_3ELS4_3ELNS0_20block_scan_algorithmE0ELj4294967295EEENS1_25partition_config_selectorILNS1_17partition_subalgoE4EjNS0_10empty_typeEbEEZZNS1_14partition_implILS8_4ELb0ES6_15HIP_vector_typeIjLj2EENS0_17counting_iteratorIjlEEPS9_SG_NS0_5tupleIJPjSI_NS0_16reverse_iteratorISI_EEEEENSH_IJSG_SG_SG_EEES9_SI_JZNS1_25segmented_radix_sort_implINS0_14default_configELb0EPK12hip_bfloat16PSP_PKlPlN2at6native12_GLOBAL__N_18offset_tEEE10hipError_tPvRmT1_PNSt15iterator_traitsIS13_E10value_typeET2_T3_PNS14_IS19_E10value_typeET4_jRbjT5_S1F_jjP12ihipStream_tbEUljE_ZNSN_ISO_Lb0ESR_SS_SU_SV_SZ_EES10_S11_S12_S13_S17_S18_S19_S1C_S1D_jS1E_jS1F_S1F_jjS1H_bEUljE0_EEES10_S11_S12_S19_S1D_S1F_T6_T7_T9_mT8_S1H_bDpT10_ENKUlT_T0_E_clISt17integral_constantIbLb1EES1V_EEDaS1Q_S1R_EUlS1Q_E_NS1_11comp_targetILNS1_3genE8ELNS1_11target_archE1030ELNS1_3gpuE2ELNS1_3repE0EEENS1_30default_config_static_selectorELNS0_4arch9wavefront6targetE0EEEvS13_.private_seg_size, 0
	.set _ZN7rocprim17ROCPRIM_400000_NS6detail17trampoline_kernelINS0_13select_configILj256ELj13ELNS0_17block_load_methodE3ELS4_3ELS4_3ELNS0_20block_scan_algorithmE0ELj4294967295EEENS1_25partition_config_selectorILNS1_17partition_subalgoE4EjNS0_10empty_typeEbEEZZNS1_14partition_implILS8_4ELb0ES6_15HIP_vector_typeIjLj2EENS0_17counting_iteratorIjlEEPS9_SG_NS0_5tupleIJPjSI_NS0_16reverse_iteratorISI_EEEEENSH_IJSG_SG_SG_EEES9_SI_JZNS1_25segmented_radix_sort_implINS0_14default_configELb0EPK12hip_bfloat16PSP_PKlPlN2at6native12_GLOBAL__N_18offset_tEEE10hipError_tPvRmT1_PNSt15iterator_traitsIS13_E10value_typeET2_T3_PNS14_IS19_E10value_typeET4_jRbjT5_S1F_jjP12ihipStream_tbEUljE_ZNSN_ISO_Lb0ESR_SS_SU_SV_SZ_EES10_S11_S12_S13_S17_S18_S19_S1C_S1D_jS1E_jS1F_S1F_jjS1H_bEUljE0_EEES10_S11_S12_S19_S1D_S1F_T6_T7_T9_mT8_S1H_bDpT10_ENKUlT_T0_E_clISt17integral_constantIbLb1EES1V_EEDaS1Q_S1R_EUlS1Q_E_NS1_11comp_targetILNS1_3genE8ELNS1_11target_archE1030ELNS1_3gpuE2ELNS1_3repE0EEENS1_30default_config_static_selectorELNS0_4arch9wavefront6targetE0EEEvS13_.uses_vcc, 0
	.set _ZN7rocprim17ROCPRIM_400000_NS6detail17trampoline_kernelINS0_13select_configILj256ELj13ELNS0_17block_load_methodE3ELS4_3ELS4_3ELNS0_20block_scan_algorithmE0ELj4294967295EEENS1_25partition_config_selectorILNS1_17partition_subalgoE4EjNS0_10empty_typeEbEEZZNS1_14partition_implILS8_4ELb0ES6_15HIP_vector_typeIjLj2EENS0_17counting_iteratorIjlEEPS9_SG_NS0_5tupleIJPjSI_NS0_16reverse_iteratorISI_EEEEENSH_IJSG_SG_SG_EEES9_SI_JZNS1_25segmented_radix_sort_implINS0_14default_configELb0EPK12hip_bfloat16PSP_PKlPlN2at6native12_GLOBAL__N_18offset_tEEE10hipError_tPvRmT1_PNSt15iterator_traitsIS13_E10value_typeET2_T3_PNS14_IS19_E10value_typeET4_jRbjT5_S1F_jjP12ihipStream_tbEUljE_ZNSN_ISO_Lb0ESR_SS_SU_SV_SZ_EES10_S11_S12_S13_S17_S18_S19_S1C_S1D_jS1E_jS1F_S1F_jjS1H_bEUljE0_EEES10_S11_S12_S19_S1D_S1F_T6_T7_T9_mT8_S1H_bDpT10_ENKUlT_T0_E_clISt17integral_constantIbLb1EES1V_EEDaS1Q_S1R_EUlS1Q_E_NS1_11comp_targetILNS1_3genE8ELNS1_11target_archE1030ELNS1_3gpuE2ELNS1_3repE0EEENS1_30default_config_static_selectorELNS0_4arch9wavefront6targetE0EEEvS13_.uses_flat_scratch, 0
	.set _ZN7rocprim17ROCPRIM_400000_NS6detail17trampoline_kernelINS0_13select_configILj256ELj13ELNS0_17block_load_methodE3ELS4_3ELS4_3ELNS0_20block_scan_algorithmE0ELj4294967295EEENS1_25partition_config_selectorILNS1_17partition_subalgoE4EjNS0_10empty_typeEbEEZZNS1_14partition_implILS8_4ELb0ES6_15HIP_vector_typeIjLj2EENS0_17counting_iteratorIjlEEPS9_SG_NS0_5tupleIJPjSI_NS0_16reverse_iteratorISI_EEEEENSH_IJSG_SG_SG_EEES9_SI_JZNS1_25segmented_radix_sort_implINS0_14default_configELb0EPK12hip_bfloat16PSP_PKlPlN2at6native12_GLOBAL__N_18offset_tEEE10hipError_tPvRmT1_PNSt15iterator_traitsIS13_E10value_typeET2_T3_PNS14_IS19_E10value_typeET4_jRbjT5_S1F_jjP12ihipStream_tbEUljE_ZNSN_ISO_Lb0ESR_SS_SU_SV_SZ_EES10_S11_S12_S13_S17_S18_S19_S1C_S1D_jS1E_jS1F_S1F_jjS1H_bEUljE0_EEES10_S11_S12_S19_S1D_S1F_T6_T7_T9_mT8_S1H_bDpT10_ENKUlT_T0_E_clISt17integral_constantIbLb1EES1V_EEDaS1Q_S1R_EUlS1Q_E_NS1_11comp_targetILNS1_3genE8ELNS1_11target_archE1030ELNS1_3gpuE2ELNS1_3repE0EEENS1_30default_config_static_selectorELNS0_4arch9wavefront6targetE0EEEvS13_.has_dyn_sized_stack, 0
	.set _ZN7rocprim17ROCPRIM_400000_NS6detail17trampoline_kernelINS0_13select_configILj256ELj13ELNS0_17block_load_methodE3ELS4_3ELS4_3ELNS0_20block_scan_algorithmE0ELj4294967295EEENS1_25partition_config_selectorILNS1_17partition_subalgoE4EjNS0_10empty_typeEbEEZZNS1_14partition_implILS8_4ELb0ES6_15HIP_vector_typeIjLj2EENS0_17counting_iteratorIjlEEPS9_SG_NS0_5tupleIJPjSI_NS0_16reverse_iteratorISI_EEEEENSH_IJSG_SG_SG_EEES9_SI_JZNS1_25segmented_radix_sort_implINS0_14default_configELb0EPK12hip_bfloat16PSP_PKlPlN2at6native12_GLOBAL__N_18offset_tEEE10hipError_tPvRmT1_PNSt15iterator_traitsIS13_E10value_typeET2_T3_PNS14_IS19_E10value_typeET4_jRbjT5_S1F_jjP12ihipStream_tbEUljE_ZNSN_ISO_Lb0ESR_SS_SU_SV_SZ_EES10_S11_S12_S13_S17_S18_S19_S1C_S1D_jS1E_jS1F_S1F_jjS1H_bEUljE0_EEES10_S11_S12_S19_S1D_S1F_T6_T7_T9_mT8_S1H_bDpT10_ENKUlT_T0_E_clISt17integral_constantIbLb1EES1V_EEDaS1Q_S1R_EUlS1Q_E_NS1_11comp_targetILNS1_3genE8ELNS1_11target_archE1030ELNS1_3gpuE2ELNS1_3repE0EEENS1_30default_config_static_selectorELNS0_4arch9wavefront6targetE0EEEvS13_.has_recursion, 0
	.set _ZN7rocprim17ROCPRIM_400000_NS6detail17trampoline_kernelINS0_13select_configILj256ELj13ELNS0_17block_load_methodE3ELS4_3ELS4_3ELNS0_20block_scan_algorithmE0ELj4294967295EEENS1_25partition_config_selectorILNS1_17partition_subalgoE4EjNS0_10empty_typeEbEEZZNS1_14partition_implILS8_4ELb0ES6_15HIP_vector_typeIjLj2EENS0_17counting_iteratorIjlEEPS9_SG_NS0_5tupleIJPjSI_NS0_16reverse_iteratorISI_EEEEENSH_IJSG_SG_SG_EEES9_SI_JZNS1_25segmented_radix_sort_implINS0_14default_configELb0EPK12hip_bfloat16PSP_PKlPlN2at6native12_GLOBAL__N_18offset_tEEE10hipError_tPvRmT1_PNSt15iterator_traitsIS13_E10value_typeET2_T3_PNS14_IS19_E10value_typeET4_jRbjT5_S1F_jjP12ihipStream_tbEUljE_ZNSN_ISO_Lb0ESR_SS_SU_SV_SZ_EES10_S11_S12_S13_S17_S18_S19_S1C_S1D_jS1E_jS1F_S1F_jjS1H_bEUljE0_EEES10_S11_S12_S19_S1D_S1F_T6_T7_T9_mT8_S1H_bDpT10_ENKUlT_T0_E_clISt17integral_constantIbLb1EES1V_EEDaS1Q_S1R_EUlS1Q_E_NS1_11comp_targetILNS1_3genE8ELNS1_11target_archE1030ELNS1_3gpuE2ELNS1_3repE0EEENS1_30default_config_static_selectorELNS0_4arch9wavefront6targetE0EEEvS13_.has_indirect_call, 0
	.section	.AMDGPU.csdata,"",@progbits
; Kernel info:
; codeLenInByte = 0
; TotalNumSgprs: 0
; NumVgprs: 0
; ScratchSize: 0
; MemoryBound: 0
; FloatMode: 240
; IeeeMode: 1
; LDSByteSize: 0 bytes/workgroup (compile time only)
; SGPRBlocks: 0
; VGPRBlocks: 0
; NumSGPRsForWavesPerEU: 1
; NumVGPRsForWavesPerEU: 1
; Occupancy: 16
; WaveLimiterHint : 0
; COMPUTE_PGM_RSRC2:SCRATCH_EN: 0
; COMPUTE_PGM_RSRC2:USER_SGPR: 2
; COMPUTE_PGM_RSRC2:TRAP_HANDLER: 0
; COMPUTE_PGM_RSRC2:TGID_X_EN: 1
; COMPUTE_PGM_RSRC2:TGID_Y_EN: 0
; COMPUTE_PGM_RSRC2:TGID_Z_EN: 0
; COMPUTE_PGM_RSRC2:TIDIG_COMP_CNT: 0
	.section	.text._ZN7rocprim17ROCPRIM_400000_NS6detail17trampoline_kernelINS0_13select_configILj256ELj13ELNS0_17block_load_methodE3ELS4_3ELS4_3ELNS0_20block_scan_algorithmE0ELj4294967295EEENS1_25partition_config_selectorILNS1_17partition_subalgoE4EjNS0_10empty_typeEbEEZZNS1_14partition_implILS8_4ELb0ES6_15HIP_vector_typeIjLj2EENS0_17counting_iteratorIjlEEPS9_SG_NS0_5tupleIJPjSI_NS0_16reverse_iteratorISI_EEEEENSH_IJSG_SG_SG_EEES9_SI_JZNS1_25segmented_radix_sort_implINS0_14default_configELb0EPK12hip_bfloat16PSP_PKlPlN2at6native12_GLOBAL__N_18offset_tEEE10hipError_tPvRmT1_PNSt15iterator_traitsIS13_E10value_typeET2_T3_PNS14_IS19_E10value_typeET4_jRbjT5_S1F_jjP12ihipStream_tbEUljE_ZNSN_ISO_Lb0ESR_SS_SU_SV_SZ_EES10_S11_S12_S13_S17_S18_S19_S1C_S1D_jS1E_jS1F_S1F_jjS1H_bEUljE0_EEES10_S11_S12_S19_S1D_S1F_T6_T7_T9_mT8_S1H_bDpT10_ENKUlT_T0_E_clISt17integral_constantIbLb1EES1U_IbLb0EEEEDaS1Q_S1R_EUlS1Q_E_NS1_11comp_targetILNS1_3genE0ELNS1_11target_archE4294967295ELNS1_3gpuE0ELNS1_3repE0EEENS1_30default_config_static_selectorELNS0_4arch9wavefront6targetE0EEEvS13_,"axG",@progbits,_ZN7rocprim17ROCPRIM_400000_NS6detail17trampoline_kernelINS0_13select_configILj256ELj13ELNS0_17block_load_methodE3ELS4_3ELS4_3ELNS0_20block_scan_algorithmE0ELj4294967295EEENS1_25partition_config_selectorILNS1_17partition_subalgoE4EjNS0_10empty_typeEbEEZZNS1_14partition_implILS8_4ELb0ES6_15HIP_vector_typeIjLj2EENS0_17counting_iteratorIjlEEPS9_SG_NS0_5tupleIJPjSI_NS0_16reverse_iteratorISI_EEEEENSH_IJSG_SG_SG_EEES9_SI_JZNS1_25segmented_radix_sort_implINS0_14default_configELb0EPK12hip_bfloat16PSP_PKlPlN2at6native12_GLOBAL__N_18offset_tEEE10hipError_tPvRmT1_PNSt15iterator_traitsIS13_E10value_typeET2_T3_PNS14_IS19_E10value_typeET4_jRbjT5_S1F_jjP12ihipStream_tbEUljE_ZNSN_ISO_Lb0ESR_SS_SU_SV_SZ_EES10_S11_S12_S13_S17_S18_S19_S1C_S1D_jS1E_jS1F_S1F_jjS1H_bEUljE0_EEES10_S11_S12_S19_S1D_S1F_T6_T7_T9_mT8_S1H_bDpT10_ENKUlT_T0_E_clISt17integral_constantIbLb1EES1U_IbLb0EEEEDaS1Q_S1R_EUlS1Q_E_NS1_11comp_targetILNS1_3genE0ELNS1_11target_archE4294967295ELNS1_3gpuE0ELNS1_3repE0EEENS1_30default_config_static_selectorELNS0_4arch9wavefront6targetE0EEEvS13_,comdat
	.globl	_ZN7rocprim17ROCPRIM_400000_NS6detail17trampoline_kernelINS0_13select_configILj256ELj13ELNS0_17block_load_methodE3ELS4_3ELS4_3ELNS0_20block_scan_algorithmE0ELj4294967295EEENS1_25partition_config_selectorILNS1_17partition_subalgoE4EjNS0_10empty_typeEbEEZZNS1_14partition_implILS8_4ELb0ES6_15HIP_vector_typeIjLj2EENS0_17counting_iteratorIjlEEPS9_SG_NS0_5tupleIJPjSI_NS0_16reverse_iteratorISI_EEEEENSH_IJSG_SG_SG_EEES9_SI_JZNS1_25segmented_radix_sort_implINS0_14default_configELb0EPK12hip_bfloat16PSP_PKlPlN2at6native12_GLOBAL__N_18offset_tEEE10hipError_tPvRmT1_PNSt15iterator_traitsIS13_E10value_typeET2_T3_PNS14_IS19_E10value_typeET4_jRbjT5_S1F_jjP12ihipStream_tbEUljE_ZNSN_ISO_Lb0ESR_SS_SU_SV_SZ_EES10_S11_S12_S13_S17_S18_S19_S1C_S1D_jS1E_jS1F_S1F_jjS1H_bEUljE0_EEES10_S11_S12_S19_S1D_S1F_T6_T7_T9_mT8_S1H_bDpT10_ENKUlT_T0_E_clISt17integral_constantIbLb1EES1U_IbLb0EEEEDaS1Q_S1R_EUlS1Q_E_NS1_11comp_targetILNS1_3genE0ELNS1_11target_archE4294967295ELNS1_3gpuE0ELNS1_3repE0EEENS1_30default_config_static_selectorELNS0_4arch9wavefront6targetE0EEEvS13_ ; -- Begin function _ZN7rocprim17ROCPRIM_400000_NS6detail17trampoline_kernelINS0_13select_configILj256ELj13ELNS0_17block_load_methodE3ELS4_3ELS4_3ELNS0_20block_scan_algorithmE0ELj4294967295EEENS1_25partition_config_selectorILNS1_17partition_subalgoE4EjNS0_10empty_typeEbEEZZNS1_14partition_implILS8_4ELb0ES6_15HIP_vector_typeIjLj2EENS0_17counting_iteratorIjlEEPS9_SG_NS0_5tupleIJPjSI_NS0_16reverse_iteratorISI_EEEEENSH_IJSG_SG_SG_EEES9_SI_JZNS1_25segmented_radix_sort_implINS0_14default_configELb0EPK12hip_bfloat16PSP_PKlPlN2at6native12_GLOBAL__N_18offset_tEEE10hipError_tPvRmT1_PNSt15iterator_traitsIS13_E10value_typeET2_T3_PNS14_IS19_E10value_typeET4_jRbjT5_S1F_jjP12ihipStream_tbEUljE_ZNSN_ISO_Lb0ESR_SS_SU_SV_SZ_EES10_S11_S12_S13_S17_S18_S19_S1C_S1D_jS1E_jS1F_S1F_jjS1H_bEUljE0_EEES10_S11_S12_S19_S1D_S1F_T6_T7_T9_mT8_S1H_bDpT10_ENKUlT_T0_E_clISt17integral_constantIbLb1EES1U_IbLb0EEEEDaS1Q_S1R_EUlS1Q_E_NS1_11comp_targetILNS1_3genE0ELNS1_11target_archE4294967295ELNS1_3gpuE0ELNS1_3repE0EEENS1_30default_config_static_selectorELNS0_4arch9wavefront6targetE0EEEvS13_
	.p2align	8
	.type	_ZN7rocprim17ROCPRIM_400000_NS6detail17trampoline_kernelINS0_13select_configILj256ELj13ELNS0_17block_load_methodE3ELS4_3ELS4_3ELNS0_20block_scan_algorithmE0ELj4294967295EEENS1_25partition_config_selectorILNS1_17partition_subalgoE4EjNS0_10empty_typeEbEEZZNS1_14partition_implILS8_4ELb0ES6_15HIP_vector_typeIjLj2EENS0_17counting_iteratorIjlEEPS9_SG_NS0_5tupleIJPjSI_NS0_16reverse_iteratorISI_EEEEENSH_IJSG_SG_SG_EEES9_SI_JZNS1_25segmented_radix_sort_implINS0_14default_configELb0EPK12hip_bfloat16PSP_PKlPlN2at6native12_GLOBAL__N_18offset_tEEE10hipError_tPvRmT1_PNSt15iterator_traitsIS13_E10value_typeET2_T3_PNS14_IS19_E10value_typeET4_jRbjT5_S1F_jjP12ihipStream_tbEUljE_ZNSN_ISO_Lb0ESR_SS_SU_SV_SZ_EES10_S11_S12_S13_S17_S18_S19_S1C_S1D_jS1E_jS1F_S1F_jjS1H_bEUljE0_EEES10_S11_S12_S19_S1D_S1F_T6_T7_T9_mT8_S1H_bDpT10_ENKUlT_T0_E_clISt17integral_constantIbLb1EES1U_IbLb0EEEEDaS1Q_S1R_EUlS1Q_E_NS1_11comp_targetILNS1_3genE0ELNS1_11target_archE4294967295ELNS1_3gpuE0ELNS1_3repE0EEENS1_30default_config_static_selectorELNS0_4arch9wavefront6targetE0EEEvS13_,@function
_ZN7rocprim17ROCPRIM_400000_NS6detail17trampoline_kernelINS0_13select_configILj256ELj13ELNS0_17block_load_methodE3ELS4_3ELS4_3ELNS0_20block_scan_algorithmE0ELj4294967295EEENS1_25partition_config_selectorILNS1_17partition_subalgoE4EjNS0_10empty_typeEbEEZZNS1_14partition_implILS8_4ELb0ES6_15HIP_vector_typeIjLj2EENS0_17counting_iteratorIjlEEPS9_SG_NS0_5tupleIJPjSI_NS0_16reverse_iteratorISI_EEEEENSH_IJSG_SG_SG_EEES9_SI_JZNS1_25segmented_radix_sort_implINS0_14default_configELb0EPK12hip_bfloat16PSP_PKlPlN2at6native12_GLOBAL__N_18offset_tEEE10hipError_tPvRmT1_PNSt15iterator_traitsIS13_E10value_typeET2_T3_PNS14_IS19_E10value_typeET4_jRbjT5_S1F_jjP12ihipStream_tbEUljE_ZNSN_ISO_Lb0ESR_SS_SU_SV_SZ_EES10_S11_S12_S13_S17_S18_S19_S1C_S1D_jS1E_jS1F_S1F_jjS1H_bEUljE0_EEES10_S11_S12_S19_S1D_S1F_T6_T7_T9_mT8_S1H_bDpT10_ENKUlT_T0_E_clISt17integral_constantIbLb1EES1U_IbLb0EEEEDaS1Q_S1R_EUlS1Q_E_NS1_11comp_targetILNS1_3genE0ELNS1_11target_archE4294967295ELNS1_3gpuE0ELNS1_3repE0EEENS1_30default_config_static_selectorELNS0_4arch9wavefront6targetE0EEEvS13_: ; @_ZN7rocprim17ROCPRIM_400000_NS6detail17trampoline_kernelINS0_13select_configILj256ELj13ELNS0_17block_load_methodE3ELS4_3ELS4_3ELNS0_20block_scan_algorithmE0ELj4294967295EEENS1_25partition_config_selectorILNS1_17partition_subalgoE4EjNS0_10empty_typeEbEEZZNS1_14partition_implILS8_4ELb0ES6_15HIP_vector_typeIjLj2EENS0_17counting_iteratorIjlEEPS9_SG_NS0_5tupleIJPjSI_NS0_16reverse_iteratorISI_EEEEENSH_IJSG_SG_SG_EEES9_SI_JZNS1_25segmented_radix_sort_implINS0_14default_configELb0EPK12hip_bfloat16PSP_PKlPlN2at6native12_GLOBAL__N_18offset_tEEE10hipError_tPvRmT1_PNSt15iterator_traitsIS13_E10value_typeET2_T3_PNS14_IS19_E10value_typeET4_jRbjT5_S1F_jjP12ihipStream_tbEUljE_ZNSN_ISO_Lb0ESR_SS_SU_SV_SZ_EES10_S11_S12_S13_S17_S18_S19_S1C_S1D_jS1E_jS1F_S1F_jjS1H_bEUljE0_EEES10_S11_S12_S19_S1D_S1F_T6_T7_T9_mT8_S1H_bDpT10_ENKUlT_T0_E_clISt17integral_constantIbLb1EES1U_IbLb0EEEEDaS1Q_S1R_EUlS1Q_E_NS1_11comp_targetILNS1_3genE0ELNS1_11target_archE4294967295ELNS1_3gpuE0ELNS1_3repE0EEENS1_30default_config_static_selectorELNS0_4arch9wavefront6targetE0EEEvS13_
; %bb.0:
	.section	.rodata,"a",@progbits
	.p2align	6, 0x0
	.amdhsa_kernel _ZN7rocprim17ROCPRIM_400000_NS6detail17trampoline_kernelINS0_13select_configILj256ELj13ELNS0_17block_load_methodE3ELS4_3ELS4_3ELNS0_20block_scan_algorithmE0ELj4294967295EEENS1_25partition_config_selectorILNS1_17partition_subalgoE4EjNS0_10empty_typeEbEEZZNS1_14partition_implILS8_4ELb0ES6_15HIP_vector_typeIjLj2EENS0_17counting_iteratorIjlEEPS9_SG_NS0_5tupleIJPjSI_NS0_16reverse_iteratorISI_EEEEENSH_IJSG_SG_SG_EEES9_SI_JZNS1_25segmented_radix_sort_implINS0_14default_configELb0EPK12hip_bfloat16PSP_PKlPlN2at6native12_GLOBAL__N_18offset_tEEE10hipError_tPvRmT1_PNSt15iterator_traitsIS13_E10value_typeET2_T3_PNS14_IS19_E10value_typeET4_jRbjT5_S1F_jjP12ihipStream_tbEUljE_ZNSN_ISO_Lb0ESR_SS_SU_SV_SZ_EES10_S11_S12_S13_S17_S18_S19_S1C_S1D_jS1E_jS1F_S1F_jjS1H_bEUljE0_EEES10_S11_S12_S19_S1D_S1F_T6_T7_T9_mT8_S1H_bDpT10_ENKUlT_T0_E_clISt17integral_constantIbLb1EES1U_IbLb0EEEEDaS1Q_S1R_EUlS1Q_E_NS1_11comp_targetILNS1_3genE0ELNS1_11target_archE4294967295ELNS1_3gpuE0ELNS1_3repE0EEENS1_30default_config_static_selectorELNS0_4arch9wavefront6targetE0EEEvS13_
		.amdhsa_group_segment_fixed_size 0
		.amdhsa_private_segment_fixed_size 0
		.amdhsa_kernarg_size 176
		.amdhsa_user_sgpr_count 2
		.amdhsa_user_sgpr_dispatch_ptr 0
		.amdhsa_user_sgpr_queue_ptr 0
		.amdhsa_user_sgpr_kernarg_segment_ptr 1
		.amdhsa_user_sgpr_dispatch_id 0
		.amdhsa_user_sgpr_private_segment_size 0
		.amdhsa_wavefront_size32 1
		.amdhsa_uses_dynamic_stack 0
		.amdhsa_enable_private_segment 0
		.amdhsa_system_sgpr_workgroup_id_x 1
		.amdhsa_system_sgpr_workgroup_id_y 0
		.amdhsa_system_sgpr_workgroup_id_z 0
		.amdhsa_system_sgpr_workgroup_info 0
		.amdhsa_system_vgpr_workitem_id 0
		.amdhsa_next_free_vgpr 1
		.amdhsa_next_free_sgpr 1
		.amdhsa_reserve_vcc 0
		.amdhsa_float_round_mode_32 0
		.amdhsa_float_round_mode_16_64 0
		.amdhsa_float_denorm_mode_32 3
		.amdhsa_float_denorm_mode_16_64 3
		.amdhsa_fp16_overflow 0
		.amdhsa_workgroup_processor_mode 1
		.amdhsa_memory_ordered 1
		.amdhsa_forward_progress 1
		.amdhsa_inst_pref_size 0
		.amdhsa_round_robin_scheduling 0
		.amdhsa_exception_fp_ieee_invalid_op 0
		.amdhsa_exception_fp_denorm_src 0
		.amdhsa_exception_fp_ieee_div_zero 0
		.amdhsa_exception_fp_ieee_overflow 0
		.amdhsa_exception_fp_ieee_underflow 0
		.amdhsa_exception_fp_ieee_inexact 0
		.amdhsa_exception_int_div_zero 0
	.end_amdhsa_kernel
	.section	.text._ZN7rocprim17ROCPRIM_400000_NS6detail17trampoline_kernelINS0_13select_configILj256ELj13ELNS0_17block_load_methodE3ELS4_3ELS4_3ELNS0_20block_scan_algorithmE0ELj4294967295EEENS1_25partition_config_selectorILNS1_17partition_subalgoE4EjNS0_10empty_typeEbEEZZNS1_14partition_implILS8_4ELb0ES6_15HIP_vector_typeIjLj2EENS0_17counting_iteratorIjlEEPS9_SG_NS0_5tupleIJPjSI_NS0_16reverse_iteratorISI_EEEEENSH_IJSG_SG_SG_EEES9_SI_JZNS1_25segmented_radix_sort_implINS0_14default_configELb0EPK12hip_bfloat16PSP_PKlPlN2at6native12_GLOBAL__N_18offset_tEEE10hipError_tPvRmT1_PNSt15iterator_traitsIS13_E10value_typeET2_T3_PNS14_IS19_E10value_typeET4_jRbjT5_S1F_jjP12ihipStream_tbEUljE_ZNSN_ISO_Lb0ESR_SS_SU_SV_SZ_EES10_S11_S12_S13_S17_S18_S19_S1C_S1D_jS1E_jS1F_S1F_jjS1H_bEUljE0_EEES10_S11_S12_S19_S1D_S1F_T6_T7_T9_mT8_S1H_bDpT10_ENKUlT_T0_E_clISt17integral_constantIbLb1EES1U_IbLb0EEEEDaS1Q_S1R_EUlS1Q_E_NS1_11comp_targetILNS1_3genE0ELNS1_11target_archE4294967295ELNS1_3gpuE0ELNS1_3repE0EEENS1_30default_config_static_selectorELNS0_4arch9wavefront6targetE0EEEvS13_,"axG",@progbits,_ZN7rocprim17ROCPRIM_400000_NS6detail17trampoline_kernelINS0_13select_configILj256ELj13ELNS0_17block_load_methodE3ELS4_3ELS4_3ELNS0_20block_scan_algorithmE0ELj4294967295EEENS1_25partition_config_selectorILNS1_17partition_subalgoE4EjNS0_10empty_typeEbEEZZNS1_14partition_implILS8_4ELb0ES6_15HIP_vector_typeIjLj2EENS0_17counting_iteratorIjlEEPS9_SG_NS0_5tupleIJPjSI_NS0_16reverse_iteratorISI_EEEEENSH_IJSG_SG_SG_EEES9_SI_JZNS1_25segmented_radix_sort_implINS0_14default_configELb0EPK12hip_bfloat16PSP_PKlPlN2at6native12_GLOBAL__N_18offset_tEEE10hipError_tPvRmT1_PNSt15iterator_traitsIS13_E10value_typeET2_T3_PNS14_IS19_E10value_typeET4_jRbjT5_S1F_jjP12ihipStream_tbEUljE_ZNSN_ISO_Lb0ESR_SS_SU_SV_SZ_EES10_S11_S12_S13_S17_S18_S19_S1C_S1D_jS1E_jS1F_S1F_jjS1H_bEUljE0_EEES10_S11_S12_S19_S1D_S1F_T6_T7_T9_mT8_S1H_bDpT10_ENKUlT_T0_E_clISt17integral_constantIbLb1EES1U_IbLb0EEEEDaS1Q_S1R_EUlS1Q_E_NS1_11comp_targetILNS1_3genE0ELNS1_11target_archE4294967295ELNS1_3gpuE0ELNS1_3repE0EEENS1_30default_config_static_selectorELNS0_4arch9wavefront6targetE0EEEvS13_,comdat
.Lfunc_end2001:
	.size	_ZN7rocprim17ROCPRIM_400000_NS6detail17trampoline_kernelINS0_13select_configILj256ELj13ELNS0_17block_load_methodE3ELS4_3ELS4_3ELNS0_20block_scan_algorithmE0ELj4294967295EEENS1_25partition_config_selectorILNS1_17partition_subalgoE4EjNS0_10empty_typeEbEEZZNS1_14partition_implILS8_4ELb0ES6_15HIP_vector_typeIjLj2EENS0_17counting_iteratorIjlEEPS9_SG_NS0_5tupleIJPjSI_NS0_16reverse_iteratorISI_EEEEENSH_IJSG_SG_SG_EEES9_SI_JZNS1_25segmented_radix_sort_implINS0_14default_configELb0EPK12hip_bfloat16PSP_PKlPlN2at6native12_GLOBAL__N_18offset_tEEE10hipError_tPvRmT1_PNSt15iterator_traitsIS13_E10value_typeET2_T3_PNS14_IS19_E10value_typeET4_jRbjT5_S1F_jjP12ihipStream_tbEUljE_ZNSN_ISO_Lb0ESR_SS_SU_SV_SZ_EES10_S11_S12_S13_S17_S18_S19_S1C_S1D_jS1E_jS1F_S1F_jjS1H_bEUljE0_EEES10_S11_S12_S19_S1D_S1F_T6_T7_T9_mT8_S1H_bDpT10_ENKUlT_T0_E_clISt17integral_constantIbLb1EES1U_IbLb0EEEEDaS1Q_S1R_EUlS1Q_E_NS1_11comp_targetILNS1_3genE0ELNS1_11target_archE4294967295ELNS1_3gpuE0ELNS1_3repE0EEENS1_30default_config_static_selectorELNS0_4arch9wavefront6targetE0EEEvS13_, .Lfunc_end2001-_ZN7rocprim17ROCPRIM_400000_NS6detail17trampoline_kernelINS0_13select_configILj256ELj13ELNS0_17block_load_methodE3ELS4_3ELS4_3ELNS0_20block_scan_algorithmE0ELj4294967295EEENS1_25partition_config_selectorILNS1_17partition_subalgoE4EjNS0_10empty_typeEbEEZZNS1_14partition_implILS8_4ELb0ES6_15HIP_vector_typeIjLj2EENS0_17counting_iteratorIjlEEPS9_SG_NS0_5tupleIJPjSI_NS0_16reverse_iteratorISI_EEEEENSH_IJSG_SG_SG_EEES9_SI_JZNS1_25segmented_radix_sort_implINS0_14default_configELb0EPK12hip_bfloat16PSP_PKlPlN2at6native12_GLOBAL__N_18offset_tEEE10hipError_tPvRmT1_PNSt15iterator_traitsIS13_E10value_typeET2_T3_PNS14_IS19_E10value_typeET4_jRbjT5_S1F_jjP12ihipStream_tbEUljE_ZNSN_ISO_Lb0ESR_SS_SU_SV_SZ_EES10_S11_S12_S13_S17_S18_S19_S1C_S1D_jS1E_jS1F_S1F_jjS1H_bEUljE0_EEES10_S11_S12_S19_S1D_S1F_T6_T7_T9_mT8_S1H_bDpT10_ENKUlT_T0_E_clISt17integral_constantIbLb1EES1U_IbLb0EEEEDaS1Q_S1R_EUlS1Q_E_NS1_11comp_targetILNS1_3genE0ELNS1_11target_archE4294967295ELNS1_3gpuE0ELNS1_3repE0EEENS1_30default_config_static_selectorELNS0_4arch9wavefront6targetE0EEEvS13_
                                        ; -- End function
	.set _ZN7rocprim17ROCPRIM_400000_NS6detail17trampoline_kernelINS0_13select_configILj256ELj13ELNS0_17block_load_methodE3ELS4_3ELS4_3ELNS0_20block_scan_algorithmE0ELj4294967295EEENS1_25partition_config_selectorILNS1_17partition_subalgoE4EjNS0_10empty_typeEbEEZZNS1_14partition_implILS8_4ELb0ES6_15HIP_vector_typeIjLj2EENS0_17counting_iteratorIjlEEPS9_SG_NS0_5tupleIJPjSI_NS0_16reverse_iteratorISI_EEEEENSH_IJSG_SG_SG_EEES9_SI_JZNS1_25segmented_radix_sort_implINS0_14default_configELb0EPK12hip_bfloat16PSP_PKlPlN2at6native12_GLOBAL__N_18offset_tEEE10hipError_tPvRmT1_PNSt15iterator_traitsIS13_E10value_typeET2_T3_PNS14_IS19_E10value_typeET4_jRbjT5_S1F_jjP12ihipStream_tbEUljE_ZNSN_ISO_Lb0ESR_SS_SU_SV_SZ_EES10_S11_S12_S13_S17_S18_S19_S1C_S1D_jS1E_jS1F_S1F_jjS1H_bEUljE0_EEES10_S11_S12_S19_S1D_S1F_T6_T7_T9_mT8_S1H_bDpT10_ENKUlT_T0_E_clISt17integral_constantIbLb1EES1U_IbLb0EEEEDaS1Q_S1R_EUlS1Q_E_NS1_11comp_targetILNS1_3genE0ELNS1_11target_archE4294967295ELNS1_3gpuE0ELNS1_3repE0EEENS1_30default_config_static_selectorELNS0_4arch9wavefront6targetE0EEEvS13_.num_vgpr, 0
	.set _ZN7rocprim17ROCPRIM_400000_NS6detail17trampoline_kernelINS0_13select_configILj256ELj13ELNS0_17block_load_methodE3ELS4_3ELS4_3ELNS0_20block_scan_algorithmE0ELj4294967295EEENS1_25partition_config_selectorILNS1_17partition_subalgoE4EjNS0_10empty_typeEbEEZZNS1_14partition_implILS8_4ELb0ES6_15HIP_vector_typeIjLj2EENS0_17counting_iteratorIjlEEPS9_SG_NS0_5tupleIJPjSI_NS0_16reverse_iteratorISI_EEEEENSH_IJSG_SG_SG_EEES9_SI_JZNS1_25segmented_radix_sort_implINS0_14default_configELb0EPK12hip_bfloat16PSP_PKlPlN2at6native12_GLOBAL__N_18offset_tEEE10hipError_tPvRmT1_PNSt15iterator_traitsIS13_E10value_typeET2_T3_PNS14_IS19_E10value_typeET4_jRbjT5_S1F_jjP12ihipStream_tbEUljE_ZNSN_ISO_Lb0ESR_SS_SU_SV_SZ_EES10_S11_S12_S13_S17_S18_S19_S1C_S1D_jS1E_jS1F_S1F_jjS1H_bEUljE0_EEES10_S11_S12_S19_S1D_S1F_T6_T7_T9_mT8_S1H_bDpT10_ENKUlT_T0_E_clISt17integral_constantIbLb1EES1U_IbLb0EEEEDaS1Q_S1R_EUlS1Q_E_NS1_11comp_targetILNS1_3genE0ELNS1_11target_archE4294967295ELNS1_3gpuE0ELNS1_3repE0EEENS1_30default_config_static_selectorELNS0_4arch9wavefront6targetE0EEEvS13_.num_agpr, 0
	.set _ZN7rocprim17ROCPRIM_400000_NS6detail17trampoline_kernelINS0_13select_configILj256ELj13ELNS0_17block_load_methodE3ELS4_3ELS4_3ELNS0_20block_scan_algorithmE0ELj4294967295EEENS1_25partition_config_selectorILNS1_17partition_subalgoE4EjNS0_10empty_typeEbEEZZNS1_14partition_implILS8_4ELb0ES6_15HIP_vector_typeIjLj2EENS0_17counting_iteratorIjlEEPS9_SG_NS0_5tupleIJPjSI_NS0_16reverse_iteratorISI_EEEEENSH_IJSG_SG_SG_EEES9_SI_JZNS1_25segmented_radix_sort_implINS0_14default_configELb0EPK12hip_bfloat16PSP_PKlPlN2at6native12_GLOBAL__N_18offset_tEEE10hipError_tPvRmT1_PNSt15iterator_traitsIS13_E10value_typeET2_T3_PNS14_IS19_E10value_typeET4_jRbjT5_S1F_jjP12ihipStream_tbEUljE_ZNSN_ISO_Lb0ESR_SS_SU_SV_SZ_EES10_S11_S12_S13_S17_S18_S19_S1C_S1D_jS1E_jS1F_S1F_jjS1H_bEUljE0_EEES10_S11_S12_S19_S1D_S1F_T6_T7_T9_mT8_S1H_bDpT10_ENKUlT_T0_E_clISt17integral_constantIbLb1EES1U_IbLb0EEEEDaS1Q_S1R_EUlS1Q_E_NS1_11comp_targetILNS1_3genE0ELNS1_11target_archE4294967295ELNS1_3gpuE0ELNS1_3repE0EEENS1_30default_config_static_selectorELNS0_4arch9wavefront6targetE0EEEvS13_.numbered_sgpr, 0
	.set _ZN7rocprim17ROCPRIM_400000_NS6detail17trampoline_kernelINS0_13select_configILj256ELj13ELNS0_17block_load_methodE3ELS4_3ELS4_3ELNS0_20block_scan_algorithmE0ELj4294967295EEENS1_25partition_config_selectorILNS1_17partition_subalgoE4EjNS0_10empty_typeEbEEZZNS1_14partition_implILS8_4ELb0ES6_15HIP_vector_typeIjLj2EENS0_17counting_iteratorIjlEEPS9_SG_NS0_5tupleIJPjSI_NS0_16reverse_iteratorISI_EEEEENSH_IJSG_SG_SG_EEES9_SI_JZNS1_25segmented_radix_sort_implINS0_14default_configELb0EPK12hip_bfloat16PSP_PKlPlN2at6native12_GLOBAL__N_18offset_tEEE10hipError_tPvRmT1_PNSt15iterator_traitsIS13_E10value_typeET2_T3_PNS14_IS19_E10value_typeET4_jRbjT5_S1F_jjP12ihipStream_tbEUljE_ZNSN_ISO_Lb0ESR_SS_SU_SV_SZ_EES10_S11_S12_S13_S17_S18_S19_S1C_S1D_jS1E_jS1F_S1F_jjS1H_bEUljE0_EEES10_S11_S12_S19_S1D_S1F_T6_T7_T9_mT8_S1H_bDpT10_ENKUlT_T0_E_clISt17integral_constantIbLb1EES1U_IbLb0EEEEDaS1Q_S1R_EUlS1Q_E_NS1_11comp_targetILNS1_3genE0ELNS1_11target_archE4294967295ELNS1_3gpuE0ELNS1_3repE0EEENS1_30default_config_static_selectorELNS0_4arch9wavefront6targetE0EEEvS13_.num_named_barrier, 0
	.set _ZN7rocprim17ROCPRIM_400000_NS6detail17trampoline_kernelINS0_13select_configILj256ELj13ELNS0_17block_load_methodE3ELS4_3ELS4_3ELNS0_20block_scan_algorithmE0ELj4294967295EEENS1_25partition_config_selectorILNS1_17partition_subalgoE4EjNS0_10empty_typeEbEEZZNS1_14partition_implILS8_4ELb0ES6_15HIP_vector_typeIjLj2EENS0_17counting_iteratorIjlEEPS9_SG_NS0_5tupleIJPjSI_NS0_16reverse_iteratorISI_EEEEENSH_IJSG_SG_SG_EEES9_SI_JZNS1_25segmented_radix_sort_implINS0_14default_configELb0EPK12hip_bfloat16PSP_PKlPlN2at6native12_GLOBAL__N_18offset_tEEE10hipError_tPvRmT1_PNSt15iterator_traitsIS13_E10value_typeET2_T3_PNS14_IS19_E10value_typeET4_jRbjT5_S1F_jjP12ihipStream_tbEUljE_ZNSN_ISO_Lb0ESR_SS_SU_SV_SZ_EES10_S11_S12_S13_S17_S18_S19_S1C_S1D_jS1E_jS1F_S1F_jjS1H_bEUljE0_EEES10_S11_S12_S19_S1D_S1F_T6_T7_T9_mT8_S1H_bDpT10_ENKUlT_T0_E_clISt17integral_constantIbLb1EES1U_IbLb0EEEEDaS1Q_S1R_EUlS1Q_E_NS1_11comp_targetILNS1_3genE0ELNS1_11target_archE4294967295ELNS1_3gpuE0ELNS1_3repE0EEENS1_30default_config_static_selectorELNS0_4arch9wavefront6targetE0EEEvS13_.private_seg_size, 0
	.set _ZN7rocprim17ROCPRIM_400000_NS6detail17trampoline_kernelINS0_13select_configILj256ELj13ELNS0_17block_load_methodE3ELS4_3ELS4_3ELNS0_20block_scan_algorithmE0ELj4294967295EEENS1_25partition_config_selectorILNS1_17partition_subalgoE4EjNS0_10empty_typeEbEEZZNS1_14partition_implILS8_4ELb0ES6_15HIP_vector_typeIjLj2EENS0_17counting_iteratorIjlEEPS9_SG_NS0_5tupleIJPjSI_NS0_16reverse_iteratorISI_EEEEENSH_IJSG_SG_SG_EEES9_SI_JZNS1_25segmented_radix_sort_implINS0_14default_configELb0EPK12hip_bfloat16PSP_PKlPlN2at6native12_GLOBAL__N_18offset_tEEE10hipError_tPvRmT1_PNSt15iterator_traitsIS13_E10value_typeET2_T3_PNS14_IS19_E10value_typeET4_jRbjT5_S1F_jjP12ihipStream_tbEUljE_ZNSN_ISO_Lb0ESR_SS_SU_SV_SZ_EES10_S11_S12_S13_S17_S18_S19_S1C_S1D_jS1E_jS1F_S1F_jjS1H_bEUljE0_EEES10_S11_S12_S19_S1D_S1F_T6_T7_T9_mT8_S1H_bDpT10_ENKUlT_T0_E_clISt17integral_constantIbLb1EES1U_IbLb0EEEEDaS1Q_S1R_EUlS1Q_E_NS1_11comp_targetILNS1_3genE0ELNS1_11target_archE4294967295ELNS1_3gpuE0ELNS1_3repE0EEENS1_30default_config_static_selectorELNS0_4arch9wavefront6targetE0EEEvS13_.uses_vcc, 0
	.set _ZN7rocprim17ROCPRIM_400000_NS6detail17trampoline_kernelINS0_13select_configILj256ELj13ELNS0_17block_load_methodE3ELS4_3ELS4_3ELNS0_20block_scan_algorithmE0ELj4294967295EEENS1_25partition_config_selectorILNS1_17partition_subalgoE4EjNS0_10empty_typeEbEEZZNS1_14partition_implILS8_4ELb0ES6_15HIP_vector_typeIjLj2EENS0_17counting_iteratorIjlEEPS9_SG_NS0_5tupleIJPjSI_NS0_16reverse_iteratorISI_EEEEENSH_IJSG_SG_SG_EEES9_SI_JZNS1_25segmented_radix_sort_implINS0_14default_configELb0EPK12hip_bfloat16PSP_PKlPlN2at6native12_GLOBAL__N_18offset_tEEE10hipError_tPvRmT1_PNSt15iterator_traitsIS13_E10value_typeET2_T3_PNS14_IS19_E10value_typeET4_jRbjT5_S1F_jjP12ihipStream_tbEUljE_ZNSN_ISO_Lb0ESR_SS_SU_SV_SZ_EES10_S11_S12_S13_S17_S18_S19_S1C_S1D_jS1E_jS1F_S1F_jjS1H_bEUljE0_EEES10_S11_S12_S19_S1D_S1F_T6_T7_T9_mT8_S1H_bDpT10_ENKUlT_T0_E_clISt17integral_constantIbLb1EES1U_IbLb0EEEEDaS1Q_S1R_EUlS1Q_E_NS1_11comp_targetILNS1_3genE0ELNS1_11target_archE4294967295ELNS1_3gpuE0ELNS1_3repE0EEENS1_30default_config_static_selectorELNS0_4arch9wavefront6targetE0EEEvS13_.uses_flat_scratch, 0
	.set _ZN7rocprim17ROCPRIM_400000_NS6detail17trampoline_kernelINS0_13select_configILj256ELj13ELNS0_17block_load_methodE3ELS4_3ELS4_3ELNS0_20block_scan_algorithmE0ELj4294967295EEENS1_25partition_config_selectorILNS1_17partition_subalgoE4EjNS0_10empty_typeEbEEZZNS1_14partition_implILS8_4ELb0ES6_15HIP_vector_typeIjLj2EENS0_17counting_iteratorIjlEEPS9_SG_NS0_5tupleIJPjSI_NS0_16reverse_iteratorISI_EEEEENSH_IJSG_SG_SG_EEES9_SI_JZNS1_25segmented_radix_sort_implINS0_14default_configELb0EPK12hip_bfloat16PSP_PKlPlN2at6native12_GLOBAL__N_18offset_tEEE10hipError_tPvRmT1_PNSt15iterator_traitsIS13_E10value_typeET2_T3_PNS14_IS19_E10value_typeET4_jRbjT5_S1F_jjP12ihipStream_tbEUljE_ZNSN_ISO_Lb0ESR_SS_SU_SV_SZ_EES10_S11_S12_S13_S17_S18_S19_S1C_S1D_jS1E_jS1F_S1F_jjS1H_bEUljE0_EEES10_S11_S12_S19_S1D_S1F_T6_T7_T9_mT8_S1H_bDpT10_ENKUlT_T0_E_clISt17integral_constantIbLb1EES1U_IbLb0EEEEDaS1Q_S1R_EUlS1Q_E_NS1_11comp_targetILNS1_3genE0ELNS1_11target_archE4294967295ELNS1_3gpuE0ELNS1_3repE0EEENS1_30default_config_static_selectorELNS0_4arch9wavefront6targetE0EEEvS13_.has_dyn_sized_stack, 0
	.set _ZN7rocprim17ROCPRIM_400000_NS6detail17trampoline_kernelINS0_13select_configILj256ELj13ELNS0_17block_load_methodE3ELS4_3ELS4_3ELNS0_20block_scan_algorithmE0ELj4294967295EEENS1_25partition_config_selectorILNS1_17partition_subalgoE4EjNS0_10empty_typeEbEEZZNS1_14partition_implILS8_4ELb0ES6_15HIP_vector_typeIjLj2EENS0_17counting_iteratorIjlEEPS9_SG_NS0_5tupleIJPjSI_NS0_16reverse_iteratorISI_EEEEENSH_IJSG_SG_SG_EEES9_SI_JZNS1_25segmented_radix_sort_implINS0_14default_configELb0EPK12hip_bfloat16PSP_PKlPlN2at6native12_GLOBAL__N_18offset_tEEE10hipError_tPvRmT1_PNSt15iterator_traitsIS13_E10value_typeET2_T3_PNS14_IS19_E10value_typeET4_jRbjT5_S1F_jjP12ihipStream_tbEUljE_ZNSN_ISO_Lb0ESR_SS_SU_SV_SZ_EES10_S11_S12_S13_S17_S18_S19_S1C_S1D_jS1E_jS1F_S1F_jjS1H_bEUljE0_EEES10_S11_S12_S19_S1D_S1F_T6_T7_T9_mT8_S1H_bDpT10_ENKUlT_T0_E_clISt17integral_constantIbLb1EES1U_IbLb0EEEEDaS1Q_S1R_EUlS1Q_E_NS1_11comp_targetILNS1_3genE0ELNS1_11target_archE4294967295ELNS1_3gpuE0ELNS1_3repE0EEENS1_30default_config_static_selectorELNS0_4arch9wavefront6targetE0EEEvS13_.has_recursion, 0
	.set _ZN7rocprim17ROCPRIM_400000_NS6detail17trampoline_kernelINS0_13select_configILj256ELj13ELNS0_17block_load_methodE3ELS4_3ELS4_3ELNS0_20block_scan_algorithmE0ELj4294967295EEENS1_25partition_config_selectorILNS1_17partition_subalgoE4EjNS0_10empty_typeEbEEZZNS1_14partition_implILS8_4ELb0ES6_15HIP_vector_typeIjLj2EENS0_17counting_iteratorIjlEEPS9_SG_NS0_5tupleIJPjSI_NS0_16reverse_iteratorISI_EEEEENSH_IJSG_SG_SG_EEES9_SI_JZNS1_25segmented_radix_sort_implINS0_14default_configELb0EPK12hip_bfloat16PSP_PKlPlN2at6native12_GLOBAL__N_18offset_tEEE10hipError_tPvRmT1_PNSt15iterator_traitsIS13_E10value_typeET2_T3_PNS14_IS19_E10value_typeET4_jRbjT5_S1F_jjP12ihipStream_tbEUljE_ZNSN_ISO_Lb0ESR_SS_SU_SV_SZ_EES10_S11_S12_S13_S17_S18_S19_S1C_S1D_jS1E_jS1F_S1F_jjS1H_bEUljE0_EEES10_S11_S12_S19_S1D_S1F_T6_T7_T9_mT8_S1H_bDpT10_ENKUlT_T0_E_clISt17integral_constantIbLb1EES1U_IbLb0EEEEDaS1Q_S1R_EUlS1Q_E_NS1_11comp_targetILNS1_3genE0ELNS1_11target_archE4294967295ELNS1_3gpuE0ELNS1_3repE0EEENS1_30default_config_static_selectorELNS0_4arch9wavefront6targetE0EEEvS13_.has_indirect_call, 0
	.section	.AMDGPU.csdata,"",@progbits
; Kernel info:
; codeLenInByte = 0
; TotalNumSgprs: 0
; NumVgprs: 0
; ScratchSize: 0
; MemoryBound: 0
; FloatMode: 240
; IeeeMode: 1
; LDSByteSize: 0 bytes/workgroup (compile time only)
; SGPRBlocks: 0
; VGPRBlocks: 0
; NumSGPRsForWavesPerEU: 1
; NumVGPRsForWavesPerEU: 1
; Occupancy: 16
; WaveLimiterHint : 0
; COMPUTE_PGM_RSRC2:SCRATCH_EN: 0
; COMPUTE_PGM_RSRC2:USER_SGPR: 2
; COMPUTE_PGM_RSRC2:TRAP_HANDLER: 0
; COMPUTE_PGM_RSRC2:TGID_X_EN: 1
; COMPUTE_PGM_RSRC2:TGID_Y_EN: 0
; COMPUTE_PGM_RSRC2:TGID_Z_EN: 0
; COMPUTE_PGM_RSRC2:TIDIG_COMP_CNT: 0
	.section	.text._ZN7rocprim17ROCPRIM_400000_NS6detail17trampoline_kernelINS0_13select_configILj256ELj13ELNS0_17block_load_methodE3ELS4_3ELS4_3ELNS0_20block_scan_algorithmE0ELj4294967295EEENS1_25partition_config_selectorILNS1_17partition_subalgoE4EjNS0_10empty_typeEbEEZZNS1_14partition_implILS8_4ELb0ES6_15HIP_vector_typeIjLj2EENS0_17counting_iteratorIjlEEPS9_SG_NS0_5tupleIJPjSI_NS0_16reverse_iteratorISI_EEEEENSH_IJSG_SG_SG_EEES9_SI_JZNS1_25segmented_radix_sort_implINS0_14default_configELb0EPK12hip_bfloat16PSP_PKlPlN2at6native12_GLOBAL__N_18offset_tEEE10hipError_tPvRmT1_PNSt15iterator_traitsIS13_E10value_typeET2_T3_PNS14_IS19_E10value_typeET4_jRbjT5_S1F_jjP12ihipStream_tbEUljE_ZNSN_ISO_Lb0ESR_SS_SU_SV_SZ_EES10_S11_S12_S13_S17_S18_S19_S1C_S1D_jS1E_jS1F_S1F_jjS1H_bEUljE0_EEES10_S11_S12_S19_S1D_S1F_T6_T7_T9_mT8_S1H_bDpT10_ENKUlT_T0_E_clISt17integral_constantIbLb1EES1U_IbLb0EEEEDaS1Q_S1R_EUlS1Q_E_NS1_11comp_targetILNS1_3genE5ELNS1_11target_archE942ELNS1_3gpuE9ELNS1_3repE0EEENS1_30default_config_static_selectorELNS0_4arch9wavefront6targetE0EEEvS13_,"axG",@progbits,_ZN7rocprim17ROCPRIM_400000_NS6detail17trampoline_kernelINS0_13select_configILj256ELj13ELNS0_17block_load_methodE3ELS4_3ELS4_3ELNS0_20block_scan_algorithmE0ELj4294967295EEENS1_25partition_config_selectorILNS1_17partition_subalgoE4EjNS0_10empty_typeEbEEZZNS1_14partition_implILS8_4ELb0ES6_15HIP_vector_typeIjLj2EENS0_17counting_iteratorIjlEEPS9_SG_NS0_5tupleIJPjSI_NS0_16reverse_iteratorISI_EEEEENSH_IJSG_SG_SG_EEES9_SI_JZNS1_25segmented_radix_sort_implINS0_14default_configELb0EPK12hip_bfloat16PSP_PKlPlN2at6native12_GLOBAL__N_18offset_tEEE10hipError_tPvRmT1_PNSt15iterator_traitsIS13_E10value_typeET2_T3_PNS14_IS19_E10value_typeET4_jRbjT5_S1F_jjP12ihipStream_tbEUljE_ZNSN_ISO_Lb0ESR_SS_SU_SV_SZ_EES10_S11_S12_S13_S17_S18_S19_S1C_S1D_jS1E_jS1F_S1F_jjS1H_bEUljE0_EEES10_S11_S12_S19_S1D_S1F_T6_T7_T9_mT8_S1H_bDpT10_ENKUlT_T0_E_clISt17integral_constantIbLb1EES1U_IbLb0EEEEDaS1Q_S1R_EUlS1Q_E_NS1_11comp_targetILNS1_3genE5ELNS1_11target_archE942ELNS1_3gpuE9ELNS1_3repE0EEENS1_30default_config_static_selectorELNS0_4arch9wavefront6targetE0EEEvS13_,comdat
	.globl	_ZN7rocprim17ROCPRIM_400000_NS6detail17trampoline_kernelINS0_13select_configILj256ELj13ELNS0_17block_load_methodE3ELS4_3ELS4_3ELNS0_20block_scan_algorithmE0ELj4294967295EEENS1_25partition_config_selectorILNS1_17partition_subalgoE4EjNS0_10empty_typeEbEEZZNS1_14partition_implILS8_4ELb0ES6_15HIP_vector_typeIjLj2EENS0_17counting_iteratorIjlEEPS9_SG_NS0_5tupleIJPjSI_NS0_16reverse_iteratorISI_EEEEENSH_IJSG_SG_SG_EEES9_SI_JZNS1_25segmented_radix_sort_implINS0_14default_configELb0EPK12hip_bfloat16PSP_PKlPlN2at6native12_GLOBAL__N_18offset_tEEE10hipError_tPvRmT1_PNSt15iterator_traitsIS13_E10value_typeET2_T3_PNS14_IS19_E10value_typeET4_jRbjT5_S1F_jjP12ihipStream_tbEUljE_ZNSN_ISO_Lb0ESR_SS_SU_SV_SZ_EES10_S11_S12_S13_S17_S18_S19_S1C_S1D_jS1E_jS1F_S1F_jjS1H_bEUljE0_EEES10_S11_S12_S19_S1D_S1F_T6_T7_T9_mT8_S1H_bDpT10_ENKUlT_T0_E_clISt17integral_constantIbLb1EES1U_IbLb0EEEEDaS1Q_S1R_EUlS1Q_E_NS1_11comp_targetILNS1_3genE5ELNS1_11target_archE942ELNS1_3gpuE9ELNS1_3repE0EEENS1_30default_config_static_selectorELNS0_4arch9wavefront6targetE0EEEvS13_ ; -- Begin function _ZN7rocprim17ROCPRIM_400000_NS6detail17trampoline_kernelINS0_13select_configILj256ELj13ELNS0_17block_load_methodE3ELS4_3ELS4_3ELNS0_20block_scan_algorithmE0ELj4294967295EEENS1_25partition_config_selectorILNS1_17partition_subalgoE4EjNS0_10empty_typeEbEEZZNS1_14partition_implILS8_4ELb0ES6_15HIP_vector_typeIjLj2EENS0_17counting_iteratorIjlEEPS9_SG_NS0_5tupleIJPjSI_NS0_16reverse_iteratorISI_EEEEENSH_IJSG_SG_SG_EEES9_SI_JZNS1_25segmented_radix_sort_implINS0_14default_configELb0EPK12hip_bfloat16PSP_PKlPlN2at6native12_GLOBAL__N_18offset_tEEE10hipError_tPvRmT1_PNSt15iterator_traitsIS13_E10value_typeET2_T3_PNS14_IS19_E10value_typeET4_jRbjT5_S1F_jjP12ihipStream_tbEUljE_ZNSN_ISO_Lb0ESR_SS_SU_SV_SZ_EES10_S11_S12_S13_S17_S18_S19_S1C_S1D_jS1E_jS1F_S1F_jjS1H_bEUljE0_EEES10_S11_S12_S19_S1D_S1F_T6_T7_T9_mT8_S1H_bDpT10_ENKUlT_T0_E_clISt17integral_constantIbLb1EES1U_IbLb0EEEEDaS1Q_S1R_EUlS1Q_E_NS1_11comp_targetILNS1_3genE5ELNS1_11target_archE942ELNS1_3gpuE9ELNS1_3repE0EEENS1_30default_config_static_selectorELNS0_4arch9wavefront6targetE0EEEvS13_
	.p2align	8
	.type	_ZN7rocprim17ROCPRIM_400000_NS6detail17trampoline_kernelINS0_13select_configILj256ELj13ELNS0_17block_load_methodE3ELS4_3ELS4_3ELNS0_20block_scan_algorithmE0ELj4294967295EEENS1_25partition_config_selectorILNS1_17partition_subalgoE4EjNS0_10empty_typeEbEEZZNS1_14partition_implILS8_4ELb0ES6_15HIP_vector_typeIjLj2EENS0_17counting_iteratorIjlEEPS9_SG_NS0_5tupleIJPjSI_NS0_16reverse_iteratorISI_EEEEENSH_IJSG_SG_SG_EEES9_SI_JZNS1_25segmented_radix_sort_implINS0_14default_configELb0EPK12hip_bfloat16PSP_PKlPlN2at6native12_GLOBAL__N_18offset_tEEE10hipError_tPvRmT1_PNSt15iterator_traitsIS13_E10value_typeET2_T3_PNS14_IS19_E10value_typeET4_jRbjT5_S1F_jjP12ihipStream_tbEUljE_ZNSN_ISO_Lb0ESR_SS_SU_SV_SZ_EES10_S11_S12_S13_S17_S18_S19_S1C_S1D_jS1E_jS1F_S1F_jjS1H_bEUljE0_EEES10_S11_S12_S19_S1D_S1F_T6_T7_T9_mT8_S1H_bDpT10_ENKUlT_T0_E_clISt17integral_constantIbLb1EES1U_IbLb0EEEEDaS1Q_S1R_EUlS1Q_E_NS1_11comp_targetILNS1_3genE5ELNS1_11target_archE942ELNS1_3gpuE9ELNS1_3repE0EEENS1_30default_config_static_selectorELNS0_4arch9wavefront6targetE0EEEvS13_,@function
_ZN7rocprim17ROCPRIM_400000_NS6detail17trampoline_kernelINS0_13select_configILj256ELj13ELNS0_17block_load_methodE3ELS4_3ELS4_3ELNS0_20block_scan_algorithmE0ELj4294967295EEENS1_25partition_config_selectorILNS1_17partition_subalgoE4EjNS0_10empty_typeEbEEZZNS1_14partition_implILS8_4ELb0ES6_15HIP_vector_typeIjLj2EENS0_17counting_iteratorIjlEEPS9_SG_NS0_5tupleIJPjSI_NS0_16reverse_iteratorISI_EEEEENSH_IJSG_SG_SG_EEES9_SI_JZNS1_25segmented_radix_sort_implINS0_14default_configELb0EPK12hip_bfloat16PSP_PKlPlN2at6native12_GLOBAL__N_18offset_tEEE10hipError_tPvRmT1_PNSt15iterator_traitsIS13_E10value_typeET2_T3_PNS14_IS19_E10value_typeET4_jRbjT5_S1F_jjP12ihipStream_tbEUljE_ZNSN_ISO_Lb0ESR_SS_SU_SV_SZ_EES10_S11_S12_S13_S17_S18_S19_S1C_S1D_jS1E_jS1F_S1F_jjS1H_bEUljE0_EEES10_S11_S12_S19_S1D_S1F_T6_T7_T9_mT8_S1H_bDpT10_ENKUlT_T0_E_clISt17integral_constantIbLb1EES1U_IbLb0EEEEDaS1Q_S1R_EUlS1Q_E_NS1_11comp_targetILNS1_3genE5ELNS1_11target_archE942ELNS1_3gpuE9ELNS1_3repE0EEENS1_30default_config_static_selectorELNS0_4arch9wavefront6targetE0EEEvS13_: ; @_ZN7rocprim17ROCPRIM_400000_NS6detail17trampoline_kernelINS0_13select_configILj256ELj13ELNS0_17block_load_methodE3ELS4_3ELS4_3ELNS0_20block_scan_algorithmE0ELj4294967295EEENS1_25partition_config_selectorILNS1_17partition_subalgoE4EjNS0_10empty_typeEbEEZZNS1_14partition_implILS8_4ELb0ES6_15HIP_vector_typeIjLj2EENS0_17counting_iteratorIjlEEPS9_SG_NS0_5tupleIJPjSI_NS0_16reverse_iteratorISI_EEEEENSH_IJSG_SG_SG_EEES9_SI_JZNS1_25segmented_radix_sort_implINS0_14default_configELb0EPK12hip_bfloat16PSP_PKlPlN2at6native12_GLOBAL__N_18offset_tEEE10hipError_tPvRmT1_PNSt15iterator_traitsIS13_E10value_typeET2_T3_PNS14_IS19_E10value_typeET4_jRbjT5_S1F_jjP12ihipStream_tbEUljE_ZNSN_ISO_Lb0ESR_SS_SU_SV_SZ_EES10_S11_S12_S13_S17_S18_S19_S1C_S1D_jS1E_jS1F_S1F_jjS1H_bEUljE0_EEES10_S11_S12_S19_S1D_S1F_T6_T7_T9_mT8_S1H_bDpT10_ENKUlT_T0_E_clISt17integral_constantIbLb1EES1U_IbLb0EEEEDaS1Q_S1R_EUlS1Q_E_NS1_11comp_targetILNS1_3genE5ELNS1_11target_archE942ELNS1_3gpuE9ELNS1_3repE0EEENS1_30default_config_static_selectorELNS0_4arch9wavefront6targetE0EEEvS13_
; %bb.0:
	.section	.rodata,"a",@progbits
	.p2align	6, 0x0
	.amdhsa_kernel _ZN7rocprim17ROCPRIM_400000_NS6detail17trampoline_kernelINS0_13select_configILj256ELj13ELNS0_17block_load_methodE3ELS4_3ELS4_3ELNS0_20block_scan_algorithmE0ELj4294967295EEENS1_25partition_config_selectorILNS1_17partition_subalgoE4EjNS0_10empty_typeEbEEZZNS1_14partition_implILS8_4ELb0ES6_15HIP_vector_typeIjLj2EENS0_17counting_iteratorIjlEEPS9_SG_NS0_5tupleIJPjSI_NS0_16reverse_iteratorISI_EEEEENSH_IJSG_SG_SG_EEES9_SI_JZNS1_25segmented_radix_sort_implINS0_14default_configELb0EPK12hip_bfloat16PSP_PKlPlN2at6native12_GLOBAL__N_18offset_tEEE10hipError_tPvRmT1_PNSt15iterator_traitsIS13_E10value_typeET2_T3_PNS14_IS19_E10value_typeET4_jRbjT5_S1F_jjP12ihipStream_tbEUljE_ZNSN_ISO_Lb0ESR_SS_SU_SV_SZ_EES10_S11_S12_S13_S17_S18_S19_S1C_S1D_jS1E_jS1F_S1F_jjS1H_bEUljE0_EEES10_S11_S12_S19_S1D_S1F_T6_T7_T9_mT8_S1H_bDpT10_ENKUlT_T0_E_clISt17integral_constantIbLb1EES1U_IbLb0EEEEDaS1Q_S1R_EUlS1Q_E_NS1_11comp_targetILNS1_3genE5ELNS1_11target_archE942ELNS1_3gpuE9ELNS1_3repE0EEENS1_30default_config_static_selectorELNS0_4arch9wavefront6targetE0EEEvS13_
		.amdhsa_group_segment_fixed_size 0
		.amdhsa_private_segment_fixed_size 0
		.amdhsa_kernarg_size 176
		.amdhsa_user_sgpr_count 2
		.amdhsa_user_sgpr_dispatch_ptr 0
		.amdhsa_user_sgpr_queue_ptr 0
		.amdhsa_user_sgpr_kernarg_segment_ptr 1
		.amdhsa_user_sgpr_dispatch_id 0
		.amdhsa_user_sgpr_private_segment_size 0
		.amdhsa_wavefront_size32 1
		.amdhsa_uses_dynamic_stack 0
		.amdhsa_enable_private_segment 0
		.amdhsa_system_sgpr_workgroup_id_x 1
		.amdhsa_system_sgpr_workgroup_id_y 0
		.amdhsa_system_sgpr_workgroup_id_z 0
		.amdhsa_system_sgpr_workgroup_info 0
		.amdhsa_system_vgpr_workitem_id 0
		.amdhsa_next_free_vgpr 1
		.amdhsa_next_free_sgpr 1
		.amdhsa_reserve_vcc 0
		.amdhsa_float_round_mode_32 0
		.amdhsa_float_round_mode_16_64 0
		.amdhsa_float_denorm_mode_32 3
		.amdhsa_float_denorm_mode_16_64 3
		.amdhsa_fp16_overflow 0
		.amdhsa_workgroup_processor_mode 1
		.amdhsa_memory_ordered 1
		.amdhsa_forward_progress 1
		.amdhsa_inst_pref_size 0
		.amdhsa_round_robin_scheduling 0
		.amdhsa_exception_fp_ieee_invalid_op 0
		.amdhsa_exception_fp_denorm_src 0
		.amdhsa_exception_fp_ieee_div_zero 0
		.amdhsa_exception_fp_ieee_overflow 0
		.amdhsa_exception_fp_ieee_underflow 0
		.amdhsa_exception_fp_ieee_inexact 0
		.amdhsa_exception_int_div_zero 0
	.end_amdhsa_kernel
	.section	.text._ZN7rocprim17ROCPRIM_400000_NS6detail17trampoline_kernelINS0_13select_configILj256ELj13ELNS0_17block_load_methodE3ELS4_3ELS4_3ELNS0_20block_scan_algorithmE0ELj4294967295EEENS1_25partition_config_selectorILNS1_17partition_subalgoE4EjNS0_10empty_typeEbEEZZNS1_14partition_implILS8_4ELb0ES6_15HIP_vector_typeIjLj2EENS0_17counting_iteratorIjlEEPS9_SG_NS0_5tupleIJPjSI_NS0_16reverse_iteratorISI_EEEEENSH_IJSG_SG_SG_EEES9_SI_JZNS1_25segmented_radix_sort_implINS0_14default_configELb0EPK12hip_bfloat16PSP_PKlPlN2at6native12_GLOBAL__N_18offset_tEEE10hipError_tPvRmT1_PNSt15iterator_traitsIS13_E10value_typeET2_T3_PNS14_IS19_E10value_typeET4_jRbjT5_S1F_jjP12ihipStream_tbEUljE_ZNSN_ISO_Lb0ESR_SS_SU_SV_SZ_EES10_S11_S12_S13_S17_S18_S19_S1C_S1D_jS1E_jS1F_S1F_jjS1H_bEUljE0_EEES10_S11_S12_S19_S1D_S1F_T6_T7_T9_mT8_S1H_bDpT10_ENKUlT_T0_E_clISt17integral_constantIbLb1EES1U_IbLb0EEEEDaS1Q_S1R_EUlS1Q_E_NS1_11comp_targetILNS1_3genE5ELNS1_11target_archE942ELNS1_3gpuE9ELNS1_3repE0EEENS1_30default_config_static_selectorELNS0_4arch9wavefront6targetE0EEEvS13_,"axG",@progbits,_ZN7rocprim17ROCPRIM_400000_NS6detail17trampoline_kernelINS0_13select_configILj256ELj13ELNS0_17block_load_methodE3ELS4_3ELS4_3ELNS0_20block_scan_algorithmE0ELj4294967295EEENS1_25partition_config_selectorILNS1_17partition_subalgoE4EjNS0_10empty_typeEbEEZZNS1_14partition_implILS8_4ELb0ES6_15HIP_vector_typeIjLj2EENS0_17counting_iteratorIjlEEPS9_SG_NS0_5tupleIJPjSI_NS0_16reverse_iteratorISI_EEEEENSH_IJSG_SG_SG_EEES9_SI_JZNS1_25segmented_radix_sort_implINS0_14default_configELb0EPK12hip_bfloat16PSP_PKlPlN2at6native12_GLOBAL__N_18offset_tEEE10hipError_tPvRmT1_PNSt15iterator_traitsIS13_E10value_typeET2_T3_PNS14_IS19_E10value_typeET4_jRbjT5_S1F_jjP12ihipStream_tbEUljE_ZNSN_ISO_Lb0ESR_SS_SU_SV_SZ_EES10_S11_S12_S13_S17_S18_S19_S1C_S1D_jS1E_jS1F_S1F_jjS1H_bEUljE0_EEES10_S11_S12_S19_S1D_S1F_T6_T7_T9_mT8_S1H_bDpT10_ENKUlT_T0_E_clISt17integral_constantIbLb1EES1U_IbLb0EEEEDaS1Q_S1R_EUlS1Q_E_NS1_11comp_targetILNS1_3genE5ELNS1_11target_archE942ELNS1_3gpuE9ELNS1_3repE0EEENS1_30default_config_static_selectorELNS0_4arch9wavefront6targetE0EEEvS13_,comdat
.Lfunc_end2002:
	.size	_ZN7rocprim17ROCPRIM_400000_NS6detail17trampoline_kernelINS0_13select_configILj256ELj13ELNS0_17block_load_methodE3ELS4_3ELS4_3ELNS0_20block_scan_algorithmE0ELj4294967295EEENS1_25partition_config_selectorILNS1_17partition_subalgoE4EjNS0_10empty_typeEbEEZZNS1_14partition_implILS8_4ELb0ES6_15HIP_vector_typeIjLj2EENS0_17counting_iteratorIjlEEPS9_SG_NS0_5tupleIJPjSI_NS0_16reverse_iteratorISI_EEEEENSH_IJSG_SG_SG_EEES9_SI_JZNS1_25segmented_radix_sort_implINS0_14default_configELb0EPK12hip_bfloat16PSP_PKlPlN2at6native12_GLOBAL__N_18offset_tEEE10hipError_tPvRmT1_PNSt15iterator_traitsIS13_E10value_typeET2_T3_PNS14_IS19_E10value_typeET4_jRbjT5_S1F_jjP12ihipStream_tbEUljE_ZNSN_ISO_Lb0ESR_SS_SU_SV_SZ_EES10_S11_S12_S13_S17_S18_S19_S1C_S1D_jS1E_jS1F_S1F_jjS1H_bEUljE0_EEES10_S11_S12_S19_S1D_S1F_T6_T7_T9_mT8_S1H_bDpT10_ENKUlT_T0_E_clISt17integral_constantIbLb1EES1U_IbLb0EEEEDaS1Q_S1R_EUlS1Q_E_NS1_11comp_targetILNS1_3genE5ELNS1_11target_archE942ELNS1_3gpuE9ELNS1_3repE0EEENS1_30default_config_static_selectorELNS0_4arch9wavefront6targetE0EEEvS13_, .Lfunc_end2002-_ZN7rocprim17ROCPRIM_400000_NS6detail17trampoline_kernelINS0_13select_configILj256ELj13ELNS0_17block_load_methodE3ELS4_3ELS4_3ELNS0_20block_scan_algorithmE0ELj4294967295EEENS1_25partition_config_selectorILNS1_17partition_subalgoE4EjNS0_10empty_typeEbEEZZNS1_14partition_implILS8_4ELb0ES6_15HIP_vector_typeIjLj2EENS0_17counting_iteratorIjlEEPS9_SG_NS0_5tupleIJPjSI_NS0_16reverse_iteratorISI_EEEEENSH_IJSG_SG_SG_EEES9_SI_JZNS1_25segmented_radix_sort_implINS0_14default_configELb0EPK12hip_bfloat16PSP_PKlPlN2at6native12_GLOBAL__N_18offset_tEEE10hipError_tPvRmT1_PNSt15iterator_traitsIS13_E10value_typeET2_T3_PNS14_IS19_E10value_typeET4_jRbjT5_S1F_jjP12ihipStream_tbEUljE_ZNSN_ISO_Lb0ESR_SS_SU_SV_SZ_EES10_S11_S12_S13_S17_S18_S19_S1C_S1D_jS1E_jS1F_S1F_jjS1H_bEUljE0_EEES10_S11_S12_S19_S1D_S1F_T6_T7_T9_mT8_S1H_bDpT10_ENKUlT_T0_E_clISt17integral_constantIbLb1EES1U_IbLb0EEEEDaS1Q_S1R_EUlS1Q_E_NS1_11comp_targetILNS1_3genE5ELNS1_11target_archE942ELNS1_3gpuE9ELNS1_3repE0EEENS1_30default_config_static_selectorELNS0_4arch9wavefront6targetE0EEEvS13_
                                        ; -- End function
	.set _ZN7rocprim17ROCPRIM_400000_NS6detail17trampoline_kernelINS0_13select_configILj256ELj13ELNS0_17block_load_methodE3ELS4_3ELS4_3ELNS0_20block_scan_algorithmE0ELj4294967295EEENS1_25partition_config_selectorILNS1_17partition_subalgoE4EjNS0_10empty_typeEbEEZZNS1_14partition_implILS8_4ELb0ES6_15HIP_vector_typeIjLj2EENS0_17counting_iteratorIjlEEPS9_SG_NS0_5tupleIJPjSI_NS0_16reverse_iteratorISI_EEEEENSH_IJSG_SG_SG_EEES9_SI_JZNS1_25segmented_radix_sort_implINS0_14default_configELb0EPK12hip_bfloat16PSP_PKlPlN2at6native12_GLOBAL__N_18offset_tEEE10hipError_tPvRmT1_PNSt15iterator_traitsIS13_E10value_typeET2_T3_PNS14_IS19_E10value_typeET4_jRbjT5_S1F_jjP12ihipStream_tbEUljE_ZNSN_ISO_Lb0ESR_SS_SU_SV_SZ_EES10_S11_S12_S13_S17_S18_S19_S1C_S1D_jS1E_jS1F_S1F_jjS1H_bEUljE0_EEES10_S11_S12_S19_S1D_S1F_T6_T7_T9_mT8_S1H_bDpT10_ENKUlT_T0_E_clISt17integral_constantIbLb1EES1U_IbLb0EEEEDaS1Q_S1R_EUlS1Q_E_NS1_11comp_targetILNS1_3genE5ELNS1_11target_archE942ELNS1_3gpuE9ELNS1_3repE0EEENS1_30default_config_static_selectorELNS0_4arch9wavefront6targetE0EEEvS13_.num_vgpr, 0
	.set _ZN7rocprim17ROCPRIM_400000_NS6detail17trampoline_kernelINS0_13select_configILj256ELj13ELNS0_17block_load_methodE3ELS4_3ELS4_3ELNS0_20block_scan_algorithmE0ELj4294967295EEENS1_25partition_config_selectorILNS1_17partition_subalgoE4EjNS0_10empty_typeEbEEZZNS1_14partition_implILS8_4ELb0ES6_15HIP_vector_typeIjLj2EENS0_17counting_iteratorIjlEEPS9_SG_NS0_5tupleIJPjSI_NS0_16reverse_iteratorISI_EEEEENSH_IJSG_SG_SG_EEES9_SI_JZNS1_25segmented_radix_sort_implINS0_14default_configELb0EPK12hip_bfloat16PSP_PKlPlN2at6native12_GLOBAL__N_18offset_tEEE10hipError_tPvRmT1_PNSt15iterator_traitsIS13_E10value_typeET2_T3_PNS14_IS19_E10value_typeET4_jRbjT5_S1F_jjP12ihipStream_tbEUljE_ZNSN_ISO_Lb0ESR_SS_SU_SV_SZ_EES10_S11_S12_S13_S17_S18_S19_S1C_S1D_jS1E_jS1F_S1F_jjS1H_bEUljE0_EEES10_S11_S12_S19_S1D_S1F_T6_T7_T9_mT8_S1H_bDpT10_ENKUlT_T0_E_clISt17integral_constantIbLb1EES1U_IbLb0EEEEDaS1Q_S1R_EUlS1Q_E_NS1_11comp_targetILNS1_3genE5ELNS1_11target_archE942ELNS1_3gpuE9ELNS1_3repE0EEENS1_30default_config_static_selectorELNS0_4arch9wavefront6targetE0EEEvS13_.num_agpr, 0
	.set _ZN7rocprim17ROCPRIM_400000_NS6detail17trampoline_kernelINS0_13select_configILj256ELj13ELNS0_17block_load_methodE3ELS4_3ELS4_3ELNS0_20block_scan_algorithmE0ELj4294967295EEENS1_25partition_config_selectorILNS1_17partition_subalgoE4EjNS0_10empty_typeEbEEZZNS1_14partition_implILS8_4ELb0ES6_15HIP_vector_typeIjLj2EENS0_17counting_iteratorIjlEEPS9_SG_NS0_5tupleIJPjSI_NS0_16reverse_iteratorISI_EEEEENSH_IJSG_SG_SG_EEES9_SI_JZNS1_25segmented_radix_sort_implINS0_14default_configELb0EPK12hip_bfloat16PSP_PKlPlN2at6native12_GLOBAL__N_18offset_tEEE10hipError_tPvRmT1_PNSt15iterator_traitsIS13_E10value_typeET2_T3_PNS14_IS19_E10value_typeET4_jRbjT5_S1F_jjP12ihipStream_tbEUljE_ZNSN_ISO_Lb0ESR_SS_SU_SV_SZ_EES10_S11_S12_S13_S17_S18_S19_S1C_S1D_jS1E_jS1F_S1F_jjS1H_bEUljE0_EEES10_S11_S12_S19_S1D_S1F_T6_T7_T9_mT8_S1H_bDpT10_ENKUlT_T0_E_clISt17integral_constantIbLb1EES1U_IbLb0EEEEDaS1Q_S1R_EUlS1Q_E_NS1_11comp_targetILNS1_3genE5ELNS1_11target_archE942ELNS1_3gpuE9ELNS1_3repE0EEENS1_30default_config_static_selectorELNS0_4arch9wavefront6targetE0EEEvS13_.numbered_sgpr, 0
	.set _ZN7rocprim17ROCPRIM_400000_NS6detail17trampoline_kernelINS0_13select_configILj256ELj13ELNS0_17block_load_methodE3ELS4_3ELS4_3ELNS0_20block_scan_algorithmE0ELj4294967295EEENS1_25partition_config_selectorILNS1_17partition_subalgoE4EjNS0_10empty_typeEbEEZZNS1_14partition_implILS8_4ELb0ES6_15HIP_vector_typeIjLj2EENS0_17counting_iteratorIjlEEPS9_SG_NS0_5tupleIJPjSI_NS0_16reverse_iteratorISI_EEEEENSH_IJSG_SG_SG_EEES9_SI_JZNS1_25segmented_radix_sort_implINS0_14default_configELb0EPK12hip_bfloat16PSP_PKlPlN2at6native12_GLOBAL__N_18offset_tEEE10hipError_tPvRmT1_PNSt15iterator_traitsIS13_E10value_typeET2_T3_PNS14_IS19_E10value_typeET4_jRbjT5_S1F_jjP12ihipStream_tbEUljE_ZNSN_ISO_Lb0ESR_SS_SU_SV_SZ_EES10_S11_S12_S13_S17_S18_S19_S1C_S1D_jS1E_jS1F_S1F_jjS1H_bEUljE0_EEES10_S11_S12_S19_S1D_S1F_T6_T7_T9_mT8_S1H_bDpT10_ENKUlT_T0_E_clISt17integral_constantIbLb1EES1U_IbLb0EEEEDaS1Q_S1R_EUlS1Q_E_NS1_11comp_targetILNS1_3genE5ELNS1_11target_archE942ELNS1_3gpuE9ELNS1_3repE0EEENS1_30default_config_static_selectorELNS0_4arch9wavefront6targetE0EEEvS13_.num_named_barrier, 0
	.set _ZN7rocprim17ROCPRIM_400000_NS6detail17trampoline_kernelINS0_13select_configILj256ELj13ELNS0_17block_load_methodE3ELS4_3ELS4_3ELNS0_20block_scan_algorithmE0ELj4294967295EEENS1_25partition_config_selectorILNS1_17partition_subalgoE4EjNS0_10empty_typeEbEEZZNS1_14partition_implILS8_4ELb0ES6_15HIP_vector_typeIjLj2EENS0_17counting_iteratorIjlEEPS9_SG_NS0_5tupleIJPjSI_NS0_16reverse_iteratorISI_EEEEENSH_IJSG_SG_SG_EEES9_SI_JZNS1_25segmented_radix_sort_implINS0_14default_configELb0EPK12hip_bfloat16PSP_PKlPlN2at6native12_GLOBAL__N_18offset_tEEE10hipError_tPvRmT1_PNSt15iterator_traitsIS13_E10value_typeET2_T3_PNS14_IS19_E10value_typeET4_jRbjT5_S1F_jjP12ihipStream_tbEUljE_ZNSN_ISO_Lb0ESR_SS_SU_SV_SZ_EES10_S11_S12_S13_S17_S18_S19_S1C_S1D_jS1E_jS1F_S1F_jjS1H_bEUljE0_EEES10_S11_S12_S19_S1D_S1F_T6_T7_T9_mT8_S1H_bDpT10_ENKUlT_T0_E_clISt17integral_constantIbLb1EES1U_IbLb0EEEEDaS1Q_S1R_EUlS1Q_E_NS1_11comp_targetILNS1_3genE5ELNS1_11target_archE942ELNS1_3gpuE9ELNS1_3repE0EEENS1_30default_config_static_selectorELNS0_4arch9wavefront6targetE0EEEvS13_.private_seg_size, 0
	.set _ZN7rocprim17ROCPRIM_400000_NS6detail17trampoline_kernelINS0_13select_configILj256ELj13ELNS0_17block_load_methodE3ELS4_3ELS4_3ELNS0_20block_scan_algorithmE0ELj4294967295EEENS1_25partition_config_selectorILNS1_17partition_subalgoE4EjNS0_10empty_typeEbEEZZNS1_14partition_implILS8_4ELb0ES6_15HIP_vector_typeIjLj2EENS0_17counting_iteratorIjlEEPS9_SG_NS0_5tupleIJPjSI_NS0_16reverse_iteratorISI_EEEEENSH_IJSG_SG_SG_EEES9_SI_JZNS1_25segmented_radix_sort_implINS0_14default_configELb0EPK12hip_bfloat16PSP_PKlPlN2at6native12_GLOBAL__N_18offset_tEEE10hipError_tPvRmT1_PNSt15iterator_traitsIS13_E10value_typeET2_T3_PNS14_IS19_E10value_typeET4_jRbjT5_S1F_jjP12ihipStream_tbEUljE_ZNSN_ISO_Lb0ESR_SS_SU_SV_SZ_EES10_S11_S12_S13_S17_S18_S19_S1C_S1D_jS1E_jS1F_S1F_jjS1H_bEUljE0_EEES10_S11_S12_S19_S1D_S1F_T6_T7_T9_mT8_S1H_bDpT10_ENKUlT_T0_E_clISt17integral_constantIbLb1EES1U_IbLb0EEEEDaS1Q_S1R_EUlS1Q_E_NS1_11comp_targetILNS1_3genE5ELNS1_11target_archE942ELNS1_3gpuE9ELNS1_3repE0EEENS1_30default_config_static_selectorELNS0_4arch9wavefront6targetE0EEEvS13_.uses_vcc, 0
	.set _ZN7rocprim17ROCPRIM_400000_NS6detail17trampoline_kernelINS0_13select_configILj256ELj13ELNS0_17block_load_methodE3ELS4_3ELS4_3ELNS0_20block_scan_algorithmE0ELj4294967295EEENS1_25partition_config_selectorILNS1_17partition_subalgoE4EjNS0_10empty_typeEbEEZZNS1_14partition_implILS8_4ELb0ES6_15HIP_vector_typeIjLj2EENS0_17counting_iteratorIjlEEPS9_SG_NS0_5tupleIJPjSI_NS0_16reverse_iteratorISI_EEEEENSH_IJSG_SG_SG_EEES9_SI_JZNS1_25segmented_radix_sort_implINS0_14default_configELb0EPK12hip_bfloat16PSP_PKlPlN2at6native12_GLOBAL__N_18offset_tEEE10hipError_tPvRmT1_PNSt15iterator_traitsIS13_E10value_typeET2_T3_PNS14_IS19_E10value_typeET4_jRbjT5_S1F_jjP12ihipStream_tbEUljE_ZNSN_ISO_Lb0ESR_SS_SU_SV_SZ_EES10_S11_S12_S13_S17_S18_S19_S1C_S1D_jS1E_jS1F_S1F_jjS1H_bEUljE0_EEES10_S11_S12_S19_S1D_S1F_T6_T7_T9_mT8_S1H_bDpT10_ENKUlT_T0_E_clISt17integral_constantIbLb1EES1U_IbLb0EEEEDaS1Q_S1R_EUlS1Q_E_NS1_11comp_targetILNS1_3genE5ELNS1_11target_archE942ELNS1_3gpuE9ELNS1_3repE0EEENS1_30default_config_static_selectorELNS0_4arch9wavefront6targetE0EEEvS13_.uses_flat_scratch, 0
	.set _ZN7rocprim17ROCPRIM_400000_NS6detail17trampoline_kernelINS0_13select_configILj256ELj13ELNS0_17block_load_methodE3ELS4_3ELS4_3ELNS0_20block_scan_algorithmE0ELj4294967295EEENS1_25partition_config_selectorILNS1_17partition_subalgoE4EjNS0_10empty_typeEbEEZZNS1_14partition_implILS8_4ELb0ES6_15HIP_vector_typeIjLj2EENS0_17counting_iteratorIjlEEPS9_SG_NS0_5tupleIJPjSI_NS0_16reverse_iteratorISI_EEEEENSH_IJSG_SG_SG_EEES9_SI_JZNS1_25segmented_radix_sort_implINS0_14default_configELb0EPK12hip_bfloat16PSP_PKlPlN2at6native12_GLOBAL__N_18offset_tEEE10hipError_tPvRmT1_PNSt15iterator_traitsIS13_E10value_typeET2_T3_PNS14_IS19_E10value_typeET4_jRbjT5_S1F_jjP12ihipStream_tbEUljE_ZNSN_ISO_Lb0ESR_SS_SU_SV_SZ_EES10_S11_S12_S13_S17_S18_S19_S1C_S1D_jS1E_jS1F_S1F_jjS1H_bEUljE0_EEES10_S11_S12_S19_S1D_S1F_T6_T7_T9_mT8_S1H_bDpT10_ENKUlT_T0_E_clISt17integral_constantIbLb1EES1U_IbLb0EEEEDaS1Q_S1R_EUlS1Q_E_NS1_11comp_targetILNS1_3genE5ELNS1_11target_archE942ELNS1_3gpuE9ELNS1_3repE0EEENS1_30default_config_static_selectorELNS0_4arch9wavefront6targetE0EEEvS13_.has_dyn_sized_stack, 0
	.set _ZN7rocprim17ROCPRIM_400000_NS6detail17trampoline_kernelINS0_13select_configILj256ELj13ELNS0_17block_load_methodE3ELS4_3ELS4_3ELNS0_20block_scan_algorithmE0ELj4294967295EEENS1_25partition_config_selectorILNS1_17partition_subalgoE4EjNS0_10empty_typeEbEEZZNS1_14partition_implILS8_4ELb0ES6_15HIP_vector_typeIjLj2EENS0_17counting_iteratorIjlEEPS9_SG_NS0_5tupleIJPjSI_NS0_16reverse_iteratorISI_EEEEENSH_IJSG_SG_SG_EEES9_SI_JZNS1_25segmented_radix_sort_implINS0_14default_configELb0EPK12hip_bfloat16PSP_PKlPlN2at6native12_GLOBAL__N_18offset_tEEE10hipError_tPvRmT1_PNSt15iterator_traitsIS13_E10value_typeET2_T3_PNS14_IS19_E10value_typeET4_jRbjT5_S1F_jjP12ihipStream_tbEUljE_ZNSN_ISO_Lb0ESR_SS_SU_SV_SZ_EES10_S11_S12_S13_S17_S18_S19_S1C_S1D_jS1E_jS1F_S1F_jjS1H_bEUljE0_EEES10_S11_S12_S19_S1D_S1F_T6_T7_T9_mT8_S1H_bDpT10_ENKUlT_T0_E_clISt17integral_constantIbLb1EES1U_IbLb0EEEEDaS1Q_S1R_EUlS1Q_E_NS1_11comp_targetILNS1_3genE5ELNS1_11target_archE942ELNS1_3gpuE9ELNS1_3repE0EEENS1_30default_config_static_selectorELNS0_4arch9wavefront6targetE0EEEvS13_.has_recursion, 0
	.set _ZN7rocprim17ROCPRIM_400000_NS6detail17trampoline_kernelINS0_13select_configILj256ELj13ELNS0_17block_load_methodE3ELS4_3ELS4_3ELNS0_20block_scan_algorithmE0ELj4294967295EEENS1_25partition_config_selectorILNS1_17partition_subalgoE4EjNS0_10empty_typeEbEEZZNS1_14partition_implILS8_4ELb0ES6_15HIP_vector_typeIjLj2EENS0_17counting_iteratorIjlEEPS9_SG_NS0_5tupleIJPjSI_NS0_16reverse_iteratorISI_EEEEENSH_IJSG_SG_SG_EEES9_SI_JZNS1_25segmented_radix_sort_implINS0_14default_configELb0EPK12hip_bfloat16PSP_PKlPlN2at6native12_GLOBAL__N_18offset_tEEE10hipError_tPvRmT1_PNSt15iterator_traitsIS13_E10value_typeET2_T3_PNS14_IS19_E10value_typeET4_jRbjT5_S1F_jjP12ihipStream_tbEUljE_ZNSN_ISO_Lb0ESR_SS_SU_SV_SZ_EES10_S11_S12_S13_S17_S18_S19_S1C_S1D_jS1E_jS1F_S1F_jjS1H_bEUljE0_EEES10_S11_S12_S19_S1D_S1F_T6_T7_T9_mT8_S1H_bDpT10_ENKUlT_T0_E_clISt17integral_constantIbLb1EES1U_IbLb0EEEEDaS1Q_S1R_EUlS1Q_E_NS1_11comp_targetILNS1_3genE5ELNS1_11target_archE942ELNS1_3gpuE9ELNS1_3repE0EEENS1_30default_config_static_selectorELNS0_4arch9wavefront6targetE0EEEvS13_.has_indirect_call, 0
	.section	.AMDGPU.csdata,"",@progbits
; Kernel info:
; codeLenInByte = 0
; TotalNumSgprs: 0
; NumVgprs: 0
; ScratchSize: 0
; MemoryBound: 0
; FloatMode: 240
; IeeeMode: 1
; LDSByteSize: 0 bytes/workgroup (compile time only)
; SGPRBlocks: 0
; VGPRBlocks: 0
; NumSGPRsForWavesPerEU: 1
; NumVGPRsForWavesPerEU: 1
; Occupancy: 16
; WaveLimiterHint : 0
; COMPUTE_PGM_RSRC2:SCRATCH_EN: 0
; COMPUTE_PGM_RSRC2:USER_SGPR: 2
; COMPUTE_PGM_RSRC2:TRAP_HANDLER: 0
; COMPUTE_PGM_RSRC2:TGID_X_EN: 1
; COMPUTE_PGM_RSRC2:TGID_Y_EN: 0
; COMPUTE_PGM_RSRC2:TGID_Z_EN: 0
; COMPUTE_PGM_RSRC2:TIDIG_COMP_CNT: 0
	.section	.text._ZN7rocprim17ROCPRIM_400000_NS6detail17trampoline_kernelINS0_13select_configILj256ELj13ELNS0_17block_load_methodE3ELS4_3ELS4_3ELNS0_20block_scan_algorithmE0ELj4294967295EEENS1_25partition_config_selectorILNS1_17partition_subalgoE4EjNS0_10empty_typeEbEEZZNS1_14partition_implILS8_4ELb0ES6_15HIP_vector_typeIjLj2EENS0_17counting_iteratorIjlEEPS9_SG_NS0_5tupleIJPjSI_NS0_16reverse_iteratorISI_EEEEENSH_IJSG_SG_SG_EEES9_SI_JZNS1_25segmented_radix_sort_implINS0_14default_configELb0EPK12hip_bfloat16PSP_PKlPlN2at6native12_GLOBAL__N_18offset_tEEE10hipError_tPvRmT1_PNSt15iterator_traitsIS13_E10value_typeET2_T3_PNS14_IS19_E10value_typeET4_jRbjT5_S1F_jjP12ihipStream_tbEUljE_ZNSN_ISO_Lb0ESR_SS_SU_SV_SZ_EES10_S11_S12_S13_S17_S18_S19_S1C_S1D_jS1E_jS1F_S1F_jjS1H_bEUljE0_EEES10_S11_S12_S19_S1D_S1F_T6_T7_T9_mT8_S1H_bDpT10_ENKUlT_T0_E_clISt17integral_constantIbLb1EES1U_IbLb0EEEEDaS1Q_S1R_EUlS1Q_E_NS1_11comp_targetILNS1_3genE4ELNS1_11target_archE910ELNS1_3gpuE8ELNS1_3repE0EEENS1_30default_config_static_selectorELNS0_4arch9wavefront6targetE0EEEvS13_,"axG",@progbits,_ZN7rocprim17ROCPRIM_400000_NS6detail17trampoline_kernelINS0_13select_configILj256ELj13ELNS0_17block_load_methodE3ELS4_3ELS4_3ELNS0_20block_scan_algorithmE0ELj4294967295EEENS1_25partition_config_selectorILNS1_17partition_subalgoE4EjNS0_10empty_typeEbEEZZNS1_14partition_implILS8_4ELb0ES6_15HIP_vector_typeIjLj2EENS0_17counting_iteratorIjlEEPS9_SG_NS0_5tupleIJPjSI_NS0_16reverse_iteratorISI_EEEEENSH_IJSG_SG_SG_EEES9_SI_JZNS1_25segmented_radix_sort_implINS0_14default_configELb0EPK12hip_bfloat16PSP_PKlPlN2at6native12_GLOBAL__N_18offset_tEEE10hipError_tPvRmT1_PNSt15iterator_traitsIS13_E10value_typeET2_T3_PNS14_IS19_E10value_typeET4_jRbjT5_S1F_jjP12ihipStream_tbEUljE_ZNSN_ISO_Lb0ESR_SS_SU_SV_SZ_EES10_S11_S12_S13_S17_S18_S19_S1C_S1D_jS1E_jS1F_S1F_jjS1H_bEUljE0_EEES10_S11_S12_S19_S1D_S1F_T6_T7_T9_mT8_S1H_bDpT10_ENKUlT_T0_E_clISt17integral_constantIbLb1EES1U_IbLb0EEEEDaS1Q_S1R_EUlS1Q_E_NS1_11comp_targetILNS1_3genE4ELNS1_11target_archE910ELNS1_3gpuE8ELNS1_3repE0EEENS1_30default_config_static_selectorELNS0_4arch9wavefront6targetE0EEEvS13_,comdat
	.globl	_ZN7rocprim17ROCPRIM_400000_NS6detail17trampoline_kernelINS0_13select_configILj256ELj13ELNS0_17block_load_methodE3ELS4_3ELS4_3ELNS0_20block_scan_algorithmE0ELj4294967295EEENS1_25partition_config_selectorILNS1_17partition_subalgoE4EjNS0_10empty_typeEbEEZZNS1_14partition_implILS8_4ELb0ES6_15HIP_vector_typeIjLj2EENS0_17counting_iteratorIjlEEPS9_SG_NS0_5tupleIJPjSI_NS0_16reverse_iteratorISI_EEEEENSH_IJSG_SG_SG_EEES9_SI_JZNS1_25segmented_radix_sort_implINS0_14default_configELb0EPK12hip_bfloat16PSP_PKlPlN2at6native12_GLOBAL__N_18offset_tEEE10hipError_tPvRmT1_PNSt15iterator_traitsIS13_E10value_typeET2_T3_PNS14_IS19_E10value_typeET4_jRbjT5_S1F_jjP12ihipStream_tbEUljE_ZNSN_ISO_Lb0ESR_SS_SU_SV_SZ_EES10_S11_S12_S13_S17_S18_S19_S1C_S1D_jS1E_jS1F_S1F_jjS1H_bEUljE0_EEES10_S11_S12_S19_S1D_S1F_T6_T7_T9_mT8_S1H_bDpT10_ENKUlT_T0_E_clISt17integral_constantIbLb1EES1U_IbLb0EEEEDaS1Q_S1R_EUlS1Q_E_NS1_11comp_targetILNS1_3genE4ELNS1_11target_archE910ELNS1_3gpuE8ELNS1_3repE0EEENS1_30default_config_static_selectorELNS0_4arch9wavefront6targetE0EEEvS13_ ; -- Begin function _ZN7rocprim17ROCPRIM_400000_NS6detail17trampoline_kernelINS0_13select_configILj256ELj13ELNS0_17block_load_methodE3ELS4_3ELS4_3ELNS0_20block_scan_algorithmE0ELj4294967295EEENS1_25partition_config_selectorILNS1_17partition_subalgoE4EjNS0_10empty_typeEbEEZZNS1_14partition_implILS8_4ELb0ES6_15HIP_vector_typeIjLj2EENS0_17counting_iteratorIjlEEPS9_SG_NS0_5tupleIJPjSI_NS0_16reverse_iteratorISI_EEEEENSH_IJSG_SG_SG_EEES9_SI_JZNS1_25segmented_radix_sort_implINS0_14default_configELb0EPK12hip_bfloat16PSP_PKlPlN2at6native12_GLOBAL__N_18offset_tEEE10hipError_tPvRmT1_PNSt15iterator_traitsIS13_E10value_typeET2_T3_PNS14_IS19_E10value_typeET4_jRbjT5_S1F_jjP12ihipStream_tbEUljE_ZNSN_ISO_Lb0ESR_SS_SU_SV_SZ_EES10_S11_S12_S13_S17_S18_S19_S1C_S1D_jS1E_jS1F_S1F_jjS1H_bEUljE0_EEES10_S11_S12_S19_S1D_S1F_T6_T7_T9_mT8_S1H_bDpT10_ENKUlT_T0_E_clISt17integral_constantIbLb1EES1U_IbLb0EEEEDaS1Q_S1R_EUlS1Q_E_NS1_11comp_targetILNS1_3genE4ELNS1_11target_archE910ELNS1_3gpuE8ELNS1_3repE0EEENS1_30default_config_static_selectorELNS0_4arch9wavefront6targetE0EEEvS13_
	.p2align	8
	.type	_ZN7rocprim17ROCPRIM_400000_NS6detail17trampoline_kernelINS0_13select_configILj256ELj13ELNS0_17block_load_methodE3ELS4_3ELS4_3ELNS0_20block_scan_algorithmE0ELj4294967295EEENS1_25partition_config_selectorILNS1_17partition_subalgoE4EjNS0_10empty_typeEbEEZZNS1_14partition_implILS8_4ELb0ES6_15HIP_vector_typeIjLj2EENS0_17counting_iteratorIjlEEPS9_SG_NS0_5tupleIJPjSI_NS0_16reverse_iteratorISI_EEEEENSH_IJSG_SG_SG_EEES9_SI_JZNS1_25segmented_radix_sort_implINS0_14default_configELb0EPK12hip_bfloat16PSP_PKlPlN2at6native12_GLOBAL__N_18offset_tEEE10hipError_tPvRmT1_PNSt15iterator_traitsIS13_E10value_typeET2_T3_PNS14_IS19_E10value_typeET4_jRbjT5_S1F_jjP12ihipStream_tbEUljE_ZNSN_ISO_Lb0ESR_SS_SU_SV_SZ_EES10_S11_S12_S13_S17_S18_S19_S1C_S1D_jS1E_jS1F_S1F_jjS1H_bEUljE0_EEES10_S11_S12_S19_S1D_S1F_T6_T7_T9_mT8_S1H_bDpT10_ENKUlT_T0_E_clISt17integral_constantIbLb1EES1U_IbLb0EEEEDaS1Q_S1R_EUlS1Q_E_NS1_11comp_targetILNS1_3genE4ELNS1_11target_archE910ELNS1_3gpuE8ELNS1_3repE0EEENS1_30default_config_static_selectorELNS0_4arch9wavefront6targetE0EEEvS13_,@function
_ZN7rocprim17ROCPRIM_400000_NS6detail17trampoline_kernelINS0_13select_configILj256ELj13ELNS0_17block_load_methodE3ELS4_3ELS4_3ELNS0_20block_scan_algorithmE0ELj4294967295EEENS1_25partition_config_selectorILNS1_17partition_subalgoE4EjNS0_10empty_typeEbEEZZNS1_14partition_implILS8_4ELb0ES6_15HIP_vector_typeIjLj2EENS0_17counting_iteratorIjlEEPS9_SG_NS0_5tupleIJPjSI_NS0_16reverse_iteratorISI_EEEEENSH_IJSG_SG_SG_EEES9_SI_JZNS1_25segmented_radix_sort_implINS0_14default_configELb0EPK12hip_bfloat16PSP_PKlPlN2at6native12_GLOBAL__N_18offset_tEEE10hipError_tPvRmT1_PNSt15iterator_traitsIS13_E10value_typeET2_T3_PNS14_IS19_E10value_typeET4_jRbjT5_S1F_jjP12ihipStream_tbEUljE_ZNSN_ISO_Lb0ESR_SS_SU_SV_SZ_EES10_S11_S12_S13_S17_S18_S19_S1C_S1D_jS1E_jS1F_S1F_jjS1H_bEUljE0_EEES10_S11_S12_S19_S1D_S1F_T6_T7_T9_mT8_S1H_bDpT10_ENKUlT_T0_E_clISt17integral_constantIbLb1EES1U_IbLb0EEEEDaS1Q_S1R_EUlS1Q_E_NS1_11comp_targetILNS1_3genE4ELNS1_11target_archE910ELNS1_3gpuE8ELNS1_3repE0EEENS1_30default_config_static_selectorELNS0_4arch9wavefront6targetE0EEEvS13_: ; @_ZN7rocprim17ROCPRIM_400000_NS6detail17trampoline_kernelINS0_13select_configILj256ELj13ELNS0_17block_load_methodE3ELS4_3ELS4_3ELNS0_20block_scan_algorithmE0ELj4294967295EEENS1_25partition_config_selectorILNS1_17partition_subalgoE4EjNS0_10empty_typeEbEEZZNS1_14partition_implILS8_4ELb0ES6_15HIP_vector_typeIjLj2EENS0_17counting_iteratorIjlEEPS9_SG_NS0_5tupleIJPjSI_NS0_16reverse_iteratorISI_EEEEENSH_IJSG_SG_SG_EEES9_SI_JZNS1_25segmented_radix_sort_implINS0_14default_configELb0EPK12hip_bfloat16PSP_PKlPlN2at6native12_GLOBAL__N_18offset_tEEE10hipError_tPvRmT1_PNSt15iterator_traitsIS13_E10value_typeET2_T3_PNS14_IS19_E10value_typeET4_jRbjT5_S1F_jjP12ihipStream_tbEUljE_ZNSN_ISO_Lb0ESR_SS_SU_SV_SZ_EES10_S11_S12_S13_S17_S18_S19_S1C_S1D_jS1E_jS1F_S1F_jjS1H_bEUljE0_EEES10_S11_S12_S19_S1D_S1F_T6_T7_T9_mT8_S1H_bDpT10_ENKUlT_T0_E_clISt17integral_constantIbLb1EES1U_IbLb0EEEEDaS1Q_S1R_EUlS1Q_E_NS1_11comp_targetILNS1_3genE4ELNS1_11target_archE910ELNS1_3gpuE8ELNS1_3repE0EEENS1_30default_config_static_selectorELNS0_4arch9wavefront6targetE0EEEvS13_
; %bb.0:
	.section	.rodata,"a",@progbits
	.p2align	6, 0x0
	.amdhsa_kernel _ZN7rocprim17ROCPRIM_400000_NS6detail17trampoline_kernelINS0_13select_configILj256ELj13ELNS0_17block_load_methodE3ELS4_3ELS4_3ELNS0_20block_scan_algorithmE0ELj4294967295EEENS1_25partition_config_selectorILNS1_17partition_subalgoE4EjNS0_10empty_typeEbEEZZNS1_14partition_implILS8_4ELb0ES6_15HIP_vector_typeIjLj2EENS0_17counting_iteratorIjlEEPS9_SG_NS0_5tupleIJPjSI_NS0_16reverse_iteratorISI_EEEEENSH_IJSG_SG_SG_EEES9_SI_JZNS1_25segmented_radix_sort_implINS0_14default_configELb0EPK12hip_bfloat16PSP_PKlPlN2at6native12_GLOBAL__N_18offset_tEEE10hipError_tPvRmT1_PNSt15iterator_traitsIS13_E10value_typeET2_T3_PNS14_IS19_E10value_typeET4_jRbjT5_S1F_jjP12ihipStream_tbEUljE_ZNSN_ISO_Lb0ESR_SS_SU_SV_SZ_EES10_S11_S12_S13_S17_S18_S19_S1C_S1D_jS1E_jS1F_S1F_jjS1H_bEUljE0_EEES10_S11_S12_S19_S1D_S1F_T6_T7_T9_mT8_S1H_bDpT10_ENKUlT_T0_E_clISt17integral_constantIbLb1EES1U_IbLb0EEEEDaS1Q_S1R_EUlS1Q_E_NS1_11comp_targetILNS1_3genE4ELNS1_11target_archE910ELNS1_3gpuE8ELNS1_3repE0EEENS1_30default_config_static_selectorELNS0_4arch9wavefront6targetE0EEEvS13_
		.amdhsa_group_segment_fixed_size 0
		.amdhsa_private_segment_fixed_size 0
		.amdhsa_kernarg_size 176
		.amdhsa_user_sgpr_count 2
		.amdhsa_user_sgpr_dispatch_ptr 0
		.amdhsa_user_sgpr_queue_ptr 0
		.amdhsa_user_sgpr_kernarg_segment_ptr 1
		.amdhsa_user_sgpr_dispatch_id 0
		.amdhsa_user_sgpr_private_segment_size 0
		.amdhsa_wavefront_size32 1
		.amdhsa_uses_dynamic_stack 0
		.amdhsa_enable_private_segment 0
		.amdhsa_system_sgpr_workgroup_id_x 1
		.amdhsa_system_sgpr_workgroup_id_y 0
		.amdhsa_system_sgpr_workgroup_id_z 0
		.amdhsa_system_sgpr_workgroup_info 0
		.amdhsa_system_vgpr_workitem_id 0
		.amdhsa_next_free_vgpr 1
		.amdhsa_next_free_sgpr 1
		.amdhsa_reserve_vcc 0
		.amdhsa_float_round_mode_32 0
		.amdhsa_float_round_mode_16_64 0
		.amdhsa_float_denorm_mode_32 3
		.amdhsa_float_denorm_mode_16_64 3
		.amdhsa_fp16_overflow 0
		.amdhsa_workgroup_processor_mode 1
		.amdhsa_memory_ordered 1
		.amdhsa_forward_progress 1
		.amdhsa_inst_pref_size 0
		.amdhsa_round_robin_scheduling 0
		.amdhsa_exception_fp_ieee_invalid_op 0
		.amdhsa_exception_fp_denorm_src 0
		.amdhsa_exception_fp_ieee_div_zero 0
		.amdhsa_exception_fp_ieee_overflow 0
		.amdhsa_exception_fp_ieee_underflow 0
		.amdhsa_exception_fp_ieee_inexact 0
		.amdhsa_exception_int_div_zero 0
	.end_amdhsa_kernel
	.section	.text._ZN7rocprim17ROCPRIM_400000_NS6detail17trampoline_kernelINS0_13select_configILj256ELj13ELNS0_17block_load_methodE3ELS4_3ELS4_3ELNS0_20block_scan_algorithmE0ELj4294967295EEENS1_25partition_config_selectorILNS1_17partition_subalgoE4EjNS0_10empty_typeEbEEZZNS1_14partition_implILS8_4ELb0ES6_15HIP_vector_typeIjLj2EENS0_17counting_iteratorIjlEEPS9_SG_NS0_5tupleIJPjSI_NS0_16reverse_iteratorISI_EEEEENSH_IJSG_SG_SG_EEES9_SI_JZNS1_25segmented_radix_sort_implINS0_14default_configELb0EPK12hip_bfloat16PSP_PKlPlN2at6native12_GLOBAL__N_18offset_tEEE10hipError_tPvRmT1_PNSt15iterator_traitsIS13_E10value_typeET2_T3_PNS14_IS19_E10value_typeET4_jRbjT5_S1F_jjP12ihipStream_tbEUljE_ZNSN_ISO_Lb0ESR_SS_SU_SV_SZ_EES10_S11_S12_S13_S17_S18_S19_S1C_S1D_jS1E_jS1F_S1F_jjS1H_bEUljE0_EEES10_S11_S12_S19_S1D_S1F_T6_T7_T9_mT8_S1H_bDpT10_ENKUlT_T0_E_clISt17integral_constantIbLb1EES1U_IbLb0EEEEDaS1Q_S1R_EUlS1Q_E_NS1_11comp_targetILNS1_3genE4ELNS1_11target_archE910ELNS1_3gpuE8ELNS1_3repE0EEENS1_30default_config_static_selectorELNS0_4arch9wavefront6targetE0EEEvS13_,"axG",@progbits,_ZN7rocprim17ROCPRIM_400000_NS6detail17trampoline_kernelINS0_13select_configILj256ELj13ELNS0_17block_load_methodE3ELS4_3ELS4_3ELNS0_20block_scan_algorithmE0ELj4294967295EEENS1_25partition_config_selectorILNS1_17partition_subalgoE4EjNS0_10empty_typeEbEEZZNS1_14partition_implILS8_4ELb0ES6_15HIP_vector_typeIjLj2EENS0_17counting_iteratorIjlEEPS9_SG_NS0_5tupleIJPjSI_NS0_16reverse_iteratorISI_EEEEENSH_IJSG_SG_SG_EEES9_SI_JZNS1_25segmented_radix_sort_implINS0_14default_configELb0EPK12hip_bfloat16PSP_PKlPlN2at6native12_GLOBAL__N_18offset_tEEE10hipError_tPvRmT1_PNSt15iterator_traitsIS13_E10value_typeET2_T3_PNS14_IS19_E10value_typeET4_jRbjT5_S1F_jjP12ihipStream_tbEUljE_ZNSN_ISO_Lb0ESR_SS_SU_SV_SZ_EES10_S11_S12_S13_S17_S18_S19_S1C_S1D_jS1E_jS1F_S1F_jjS1H_bEUljE0_EEES10_S11_S12_S19_S1D_S1F_T6_T7_T9_mT8_S1H_bDpT10_ENKUlT_T0_E_clISt17integral_constantIbLb1EES1U_IbLb0EEEEDaS1Q_S1R_EUlS1Q_E_NS1_11comp_targetILNS1_3genE4ELNS1_11target_archE910ELNS1_3gpuE8ELNS1_3repE0EEENS1_30default_config_static_selectorELNS0_4arch9wavefront6targetE0EEEvS13_,comdat
.Lfunc_end2003:
	.size	_ZN7rocprim17ROCPRIM_400000_NS6detail17trampoline_kernelINS0_13select_configILj256ELj13ELNS0_17block_load_methodE3ELS4_3ELS4_3ELNS0_20block_scan_algorithmE0ELj4294967295EEENS1_25partition_config_selectorILNS1_17partition_subalgoE4EjNS0_10empty_typeEbEEZZNS1_14partition_implILS8_4ELb0ES6_15HIP_vector_typeIjLj2EENS0_17counting_iteratorIjlEEPS9_SG_NS0_5tupleIJPjSI_NS0_16reverse_iteratorISI_EEEEENSH_IJSG_SG_SG_EEES9_SI_JZNS1_25segmented_radix_sort_implINS0_14default_configELb0EPK12hip_bfloat16PSP_PKlPlN2at6native12_GLOBAL__N_18offset_tEEE10hipError_tPvRmT1_PNSt15iterator_traitsIS13_E10value_typeET2_T3_PNS14_IS19_E10value_typeET4_jRbjT5_S1F_jjP12ihipStream_tbEUljE_ZNSN_ISO_Lb0ESR_SS_SU_SV_SZ_EES10_S11_S12_S13_S17_S18_S19_S1C_S1D_jS1E_jS1F_S1F_jjS1H_bEUljE0_EEES10_S11_S12_S19_S1D_S1F_T6_T7_T9_mT8_S1H_bDpT10_ENKUlT_T0_E_clISt17integral_constantIbLb1EES1U_IbLb0EEEEDaS1Q_S1R_EUlS1Q_E_NS1_11comp_targetILNS1_3genE4ELNS1_11target_archE910ELNS1_3gpuE8ELNS1_3repE0EEENS1_30default_config_static_selectorELNS0_4arch9wavefront6targetE0EEEvS13_, .Lfunc_end2003-_ZN7rocprim17ROCPRIM_400000_NS6detail17trampoline_kernelINS0_13select_configILj256ELj13ELNS0_17block_load_methodE3ELS4_3ELS4_3ELNS0_20block_scan_algorithmE0ELj4294967295EEENS1_25partition_config_selectorILNS1_17partition_subalgoE4EjNS0_10empty_typeEbEEZZNS1_14partition_implILS8_4ELb0ES6_15HIP_vector_typeIjLj2EENS0_17counting_iteratorIjlEEPS9_SG_NS0_5tupleIJPjSI_NS0_16reverse_iteratorISI_EEEEENSH_IJSG_SG_SG_EEES9_SI_JZNS1_25segmented_radix_sort_implINS0_14default_configELb0EPK12hip_bfloat16PSP_PKlPlN2at6native12_GLOBAL__N_18offset_tEEE10hipError_tPvRmT1_PNSt15iterator_traitsIS13_E10value_typeET2_T3_PNS14_IS19_E10value_typeET4_jRbjT5_S1F_jjP12ihipStream_tbEUljE_ZNSN_ISO_Lb0ESR_SS_SU_SV_SZ_EES10_S11_S12_S13_S17_S18_S19_S1C_S1D_jS1E_jS1F_S1F_jjS1H_bEUljE0_EEES10_S11_S12_S19_S1D_S1F_T6_T7_T9_mT8_S1H_bDpT10_ENKUlT_T0_E_clISt17integral_constantIbLb1EES1U_IbLb0EEEEDaS1Q_S1R_EUlS1Q_E_NS1_11comp_targetILNS1_3genE4ELNS1_11target_archE910ELNS1_3gpuE8ELNS1_3repE0EEENS1_30default_config_static_selectorELNS0_4arch9wavefront6targetE0EEEvS13_
                                        ; -- End function
	.set _ZN7rocprim17ROCPRIM_400000_NS6detail17trampoline_kernelINS0_13select_configILj256ELj13ELNS0_17block_load_methodE3ELS4_3ELS4_3ELNS0_20block_scan_algorithmE0ELj4294967295EEENS1_25partition_config_selectorILNS1_17partition_subalgoE4EjNS0_10empty_typeEbEEZZNS1_14partition_implILS8_4ELb0ES6_15HIP_vector_typeIjLj2EENS0_17counting_iteratorIjlEEPS9_SG_NS0_5tupleIJPjSI_NS0_16reverse_iteratorISI_EEEEENSH_IJSG_SG_SG_EEES9_SI_JZNS1_25segmented_radix_sort_implINS0_14default_configELb0EPK12hip_bfloat16PSP_PKlPlN2at6native12_GLOBAL__N_18offset_tEEE10hipError_tPvRmT1_PNSt15iterator_traitsIS13_E10value_typeET2_T3_PNS14_IS19_E10value_typeET4_jRbjT5_S1F_jjP12ihipStream_tbEUljE_ZNSN_ISO_Lb0ESR_SS_SU_SV_SZ_EES10_S11_S12_S13_S17_S18_S19_S1C_S1D_jS1E_jS1F_S1F_jjS1H_bEUljE0_EEES10_S11_S12_S19_S1D_S1F_T6_T7_T9_mT8_S1H_bDpT10_ENKUlT_T0_E_clISt17integral_constantIbLb1EES1U_IbLb0EEEEDaS1Q_S1R_EUlS1Q_E_NS1_11comp_targetILNS1_3genE4ELNS1_11target_archE910ELNS1_3gpuE8ELNS1_3repE0EEENS1_30default_config_static_selectorELNS0_4arch9wavefront6targetE0EEEvS13_.num_vgpr, 0
	.set _ZN7rocprim17ROCPRIM_400000_NS6detail17trampoline_kernelINS0_13select_configILj256ELj13ELNS0_17block_load_methodE3ELS4_3ELS4_3ELNS0_20block_scan_algorithmE0ELj4294967295EEENS1_25partition_config_selectorILNS1_17partition_subalgoE4EjNS0_10empty_typeEbEEZZNS1_14partition_implILS8_4ELb0ES6_15HIP_vector_typeIjLj2EENS0_17counting_iteratorIjlEEPS9_SG_NS0_5tupleIJPjSI_NS0_16reverse_iteratorISI_EEEEENSH_IJSG_SG_SG_EEES9_SI_JZNS1_25segmented_radix_sort_implINS0_14default_configELb0EPK12hip_bfloat16PSP_PKlPlN2at6native12_GLOBAL__N_18offset_tEEE10hipError_tPvRmT1_PNSt15iterator_traitsIS13_E10value_typeET2_T3_PNS14_IS19_E10value_typeET4_jRbjT5_S1F_jjP12ihipStream_tbEUljE_ZNSN_ISO_Lb0ESR_SS_SU_SV_SZ_EES10_S11_S12_S13_S17_S18_S19_S1C_S1D_jS1E_jS1F_S1F_jjS1H_bEUljE0_EEES10_S11_S12_S19_S1D_S1F_T6_T7_T9_mT8_S1H_bDpT10_ENKUlT_T0_E_clISt17integral_constantIbLb1EES1U_IbLb0EEEEDaS1Q_S1R_EUlS1Q_E_NS1_11comp_targetILNS1_3genE4ELNS1_11target_archE910ELNS1_3gpuE8ELNS1_3repE0EEENS1_30default_config_static_selectorELNS0_4arch9wavefront6targetE0EEEvS13_.num_agpr, 0
	.set _ZN7rocprim17ROCPRIM_400000_NS6detail17trampoline_kernelINS0_13select_configILj256ELj13ELNS0_17block_load_methodE3ELS4_3ELS4_3ELNS0_20block_scan_algorithmE0ELj4294967295EEENS1_25partition_config_selectorILNS1_17partition_subalgoE4EjNS0_10empty_typeEbEEZZNS1_14partition_implILS8_4ELb0ES6_15HIP_vector_typeIjLj2EENS0_17counting_iteratorIjlEEPS9_SG_NS0_5tupleIJPjSI_NS0_16reverse_iteratorISI_EEEEENSH_IJSG_SG_SG_EEES9_SI_JZNS1_25segmented_radix_sort_implINS0_14default_configELb0EPK12hip_bfloat16PSP_PKlPlN2at6native12_GLOBAL__N_18offset_tEEE10hipError_tPvRmT1_PNSt15iterator_traitsIS13_E10value_typeET2_T3_PNS14_IS19_E10value_typeET4_jRbjT5_S1F_jjP12ihipStream_tbEUljE_ZNSN_ISO_Lb0ESR_SS_SU_SV_SZ_EES10_S11_S12_S13_S17_S18_S19_S1C_S1D_jS1E_jS1F_S1F_jjS1H_bEUljE0_EEES10_S11_S12_S19_S1D_S1F_T6_T7_T9_mT8_S1H_bDpT10_ENKUlT_T0_E_clISt17integral_constantIbLb1EES1U_IbLb0EEEEDaS1Q_S1R_EUlS1Q_E_NS1_11comp_targetILNS1_3genE4ELNS1_11target_archE910ELNS1_3gpuE8ELNS1_3repE0EEENS1_30default_config_static_selectorELNS0_4arch9wavefront6targetE0EEEvS13_.numbered_sgpr, 0
	.set _ZN7rocprim17ROCPRIM_400000_NS6detail17trampoline_kernelINS0_13select_configILj256ELj13ELNS0_17block_load_methodE3ELS4_3ELS4_3ELNS0_20block_scan_algorithmE0ELj4294967295EEENS1_25partition_config_selectorILNS1_17partition_subalgoE4EjNS0_10empty_typeEbEEZZNS1_14partition_implILS8_4ELb0ES6_15HIP_vector_typeIjLj2EENS0_17counting_iteratorIjlEEPS9_SG_NS0_5tupleIJPjSI_NS0_16reverse_iteratorISI_EEEEENSH_IJSG_SG_SG_EEES9_SI_JZNS1_25segmented_radix_sort_implINS0_14default_configELb0EPK12hip_bfloat16PSP_PKlPlN2at6native12_GLOBAL__N_18offset_tEEE10hipError_tPvRmT1_PNSt15iterator_traitsIS13_E10value_typeET2_T3_PNS14_IS19_E10value_typeET4_jRbjT5_S1F_jjP12ihipStream_tbEUljE_ZNSN_ISO_Lb0ESR_SS_SU_SV_SZ_EES10_S11_S12_S13_S17_S18_S19_S1C_S1D_jS1E_jS1F_S1F_jjS1H_bEUljE0_EEES10_S11_S12_S19_S1D_S1F_T6_T7_T9_mT8_S1H_bDpT10_ENKUlT_T0_E_clISt17integral_constantIbLb1EES1U_IbLb0EEEEDaS1Q_S1R_EUlS1Q_E_NS1_11comp_targetILNS1_3genE4ELNS1_11target_archE910ELNS1_3gpuE8ELNS1_3repE0EEENS1_30default_config_static_selectorELNS0_4arch9wavefront6targetE0EEEvS13_.num_named_barrier, 0
	.set _ZN7rocprim17ROCPRIM_400000_NS6detail17trampoline_kernelINS0_13select_configILj256ELj13ELNS0_17block_load_methodE3ELS4_3ELS4_3ELNS0_20block_scan_algorithmE0ELj4294967295EEENS1_25partition_config_selectorILNS1_17partition_subalgoE4EjNS0_10empty_typeEbEEZZNS1_14partition_implILS8_4ELb0ES6_15HIP_vector_typeIjLj2EENS0_17counting_iteratorIjlEEPS9_SG_NS0_5tupleIJPjSI_NS0_16reverse_iteratorISI_EEEEENSH_IJSG_SG_SG_EEES9_SI_JZNS1_25segmented_radix_sort_implINS0_14default_configELb0EPK12hip_bfloat16PSP_PKlPlN2at6native12_GLOBAL__N_18offset_tEEE10hipError_tPvRmT1_PNSt15iterator_traitsIS13_E10value_typeET2_T3_PNS14_IS19_E10value_typeET4_jRbjT5_S1F_jjP12ihipStream_tbEUljE_ZNSN_ISO_Lb0ESR_SS_SU_SV_SZ_EES10_S11_S12_S13_S17_S18_S19_S1C_S1D_jS1E_jS1F_S1F_jjS1H_bEUljE0_EEES10_S11_S12_S19_S1D_S1F_T6_T7_T9_mT8_S1H_bDpT10_ENKUlT_T0_E_clISt17integral_constantIbLb1EES1U_IbLb0EEEEDaS1Q_S1R_EUlS1Q_E_NS1_11comp_targetILNS1_3genE4ELNS1_11target_archE910ELNS1_3gpuE8ELNS1_3repE0EEENS1_30default_config_static_selectorELNS0_4arch9wavefront6targetE0EEEvS13_.private_seg_size, 0
	.set _ZN7rocprim17ROCPRIM_400000_NS6detail17trampoline_kernelINS0_13select_configILj256ELj13ELNS0_17block_load_methodE3ELS4_3ELS4_3ELNS0_20block_scan_algorithmE0ELj4294967295EEENS1_25partition_config_selectorILNS1_17partition_subalgoE4EjNS0_10empty_typeEbEEZZNS1_14partition_implILS8_4ELb0ES6_15HIP_vector_typeIjLj2EENS0_17counting_iteratorIjlEEPS9_SG_NS0_5tupleIJPjSI_NS0_16reverse_iteratorISI_EEEEENSH_IJSG_SG_SG_EEES9_SI_JZNS1_25segmented_radix_sort_implINS0_14default_configELb0EPK12hip_bfloat16PSP_PKlPlN2at6native12_GLOBAL__N_18offset_tEEE10hipError_tPvRmT1_PNSt15iterator_traitsIS13_E10value_typeET2_T3_PNS14_IS19_E10value_typeET4_jRbjT5_S1F_jjP12ihipStream_tbEUljE_ZNSN_ISO_Lb0ESR_SS_SU_SV_SZ_EES10_S11_S12_S13_S17_S18_S19_S1C_S1D_jS1E_jS1F_S1F_jjS1H_bEUljE0_EEES10_S11_S12_S19_S1D_S1F_T6_T7_T9_mT8_S1H_bDpT10_ENKUlT_T0_E_clISt17integral_constantIbLb1EES1U_IbLb0EEEEDaS1Q_S1R_EUlS1Q_E_NS1_11comp_targetILNS1_3genE4ELNS1_11target_archE910ELNS1_3gpuE8ELNS1_3repE0EEENS1_30default_config_static_selectorELNS0_4arch9wavefront6targetE0EEEvS13_.uses_vcc, 0
	.set _ZN7rocprim17ROCPRIM_400000_NS6detail17trampoline_kernelINS0_13select_configILj256ELj13ELNS0_17block_load_methodE3ELS4_3ELS4_3ELNS0_20block_scan_algorithmE0ELj4294967295EEENS1_25partition_config_selectorILNS1_17partition_subalgoE4EjNS0_10empty_typeEbEEZZNS1_14partition_implILS8_4ELb0ES6_15HIP_vector_typeIjLj2EENS0_17counting_iteratorIjlEEPS9_SG_NS0_5tupleIJPjSI_NS0_16reverse_iteratorISI_EEEEENSH_IJSG_SG_SG_EEES9_SI_JZNS1_25segmented_radix_sort_implINS0_14default_configELb0EPK12hip_bfloat16PSP_PKlPlN2at6native12_GLOBAL__N_18offset_tEEE10hipError_tPvRmT1_PNSt15iterator_traitsIS13_E10value_typeET2_T3_PNS14_IS19_E10value_typeET4_jRbjT5_S1F_jjP12ihipStream_tbEUljE_ZNSN_ISO_Lb0ESR_SS_SU_SV_SZ_EES10_S11_S12_S13_S17_S18_S19_S1C_S1D_jS1E_jS1F_S1F_jjS1H_bEUljE0_EEES10_S11_S12_S19_S1D_S1F_T6_T7_T9_mT8_S1H_bDpT10_ENKUlT_T0_E_clISt17integral_constantIbLb1EES1U_IbLb0EEEEDaS1Q_S1R_EUlS1Q_E_NS1_11comp_targetILNS1_3genE4ELNS1_11target_archE910ELNS1_3gpuE8ELNS1_3repE0EEENS1_30default_config_static_selectorELNS0_4arch9wavefront6targetE0EEEvS13_.uses_flat_scratch, 0
	.set _ZN7rocprim17ROCPRIM_400000_NS6detail17trampoline_kernelINS0_13select_configILj256ELj13ELNS0_17block_load_methodE3ELS4_3ELS4_3ELNS0_20block_scan_algorithmE0ELj4294967295EEENS1_25partition_config_selectorILNS1_17partition_subalgoE4EjNS0_10empty_typeEbEEZZNS1_14partition_implILS8_4ELb0ES6_15HIP_vector_typeIjLj2EENS0_17counting_iteratorIjlEEPS9_SG_NS0_5tupleIJPjSI_NS0_16reverse_iteratorISI_EEEEENSH_IJSG_SG_SG_EEES9_SI_JZNS1_25segmented_radix_sort_implINS0_14default_configELb0EPK12hip_bfloat16PSP_PKlPlN2at6native12_GLOBAL__N_18offset_tEEE10hipError_tPvRmT1_PNSt15iterator_traitsIS13_E10value_typeET2_T3_PNS14_IS19_E10value_typeET4_jRbjT5_S1F_jjP12ihipStream_tbEUljE_ZNSN_ISO_Lb0ESR_SS_SU_SV_SZ_EES10_S11_S12_S13_S17_S18_S19_S1C_S1D_jS1E_jS1F_S1F_jjS1H_bEUljE0_EEES10_S11_S12_S19_S1D_S1F_T6_T7_T9_mT8_S1H_bDpT10_ENKUlT_T0_E_clISt17integral_constantIbLb1EES1U_IbLb0EEEEDaS1Q_S1R_EUlS1Q_E_NS1_11comp_targetILNS1_3genE4ELNS1_11target_archE910ELNS1_3gpuE8ELNS1_3repE0EEENS1_30default_config_static_selectorELNS0_4arch9wavefront6targetE0EEEvS13_.has_dyn_sized_stack, 0
	.set _ZN7rocprim17ROCPRIM_400000_NS6detail17trampoline_kernelINS0_13select_configILj256ELj13ELNS0_17block_load_methodE3ELS4_3ELS4_3ELNS0_20block_scan_algorithmE0ELj4294967295EEENS1_25partition_config_selectorILNS1_17partition_subalgoE4EjNS0_10empty_typeEbEEZZNS1_14partition_implILS8_4ELb0ES6_15HIP_vector_typeIjLj2EENS0_17counting_iteratorIjlEEPS9_SG_NS0_5tupleIJPjSI_NS0_16reverse_iteratorISI_EEEEENSH_IJSG_SG_SG_EEES9_SI_JZNS1_25segmented_radix_sort_implINS0_14default_configELb0EPK12hip_bfloat16PSP_PKlPlN2at6native12_GLOBAL__N_18offset_tEEE10hipError_tPvRmT1_PNSt15iterator_traitsIS13_E10value_typeET2_T3_PNS14_IS19_E10value_typeET4_jRbjT5_S1F_jjP12ihipStream_tbEUljE_ZNSN_ISO_Lb0ESR_SS_SU_SV_SZ_EES10_S11_S12_S13_S17_S18_S19_S1C_S1D_jS1E_jS1F_S1F_jjS1H_bEUljE0_EEES10_S11_S12_S19_S1D_S1F_T6_T7_T9_mT8_S1H_bDpT10_ENKUlT_T0_E_clISt17integral_constantIbLb1EES1U_IbLb0EEEEDaS1Q_S1R_EUlS1Q_E_NS1_11comp_targetILNS1_3genE4ELNS1_11target_archE910ELNS1_3gpuE8ELNS1_3repE0EEENS1_30default_config_static_selectorELNS0_4arch9wavefront6targetE0EEEvS13_.has_recursion, 0
	.set _ZN7rocprim17ROCPRIM_400000_NS6detail17trampoline_kernelINS0_13select_configILj256ELj13ELNS0_17block_load_methodE3ELS4_3ELS4_3ELNS0_20block_scan_algorithmE0ELj4294967295EEENS1_25partition_config_selectorILNS1_17partition_subalgoE4EjNS0_10empty_typeEbEEZZNS1_14partition_implILS8_4ELb0ES6_15HIP_vector_typeIjLj2EENS0_17counting_iteratorIjlEEPS9_SG_NS0_5tupleIJPjSI_NS0_16reverse_iteratorISI_EEEEENSH_IJSG_SG_SG_EEES9_SI_JZNS1_25segmented_radix_sort_implINS0_14default_configELb0EPK12hip_bfloat16PSP_PKlPlN2at6native12_GLOBAL__N_18offset_tEEE10hipError_tPvRmT1_PNSt15iterator_traitsIS13_E10value_typeET2_T3_PNS14_IS19_E10value_typeET4_jRbjT5_S1F_jjP12ihipStream_tbEUljE_ZNSN_ISO_Lb0ESR_SS_SU_SV_SZ_EES10_S11_S12_S13_S17_S18_S19_S1C_S1D_jS1E_jS1F_S1F_jjS1H_bEUljE0_EEES10_S11_S12_S19_S1D_S1F_T6_T7_T9_mT8_S1H_bDpT10_ENKUlT_T0_E_clISt17integral_constantIbLb1EES1U_IbLb0EEEEDaS1Q_S1R_EUlS1Q_E_NS1_11comp_targetILNS1_3genE4ELNS1_11target_archE910ELNS1_3gpuE8ELNS1_3repE0EEENS1_30default_config_static_selectorELNS0_4arch9wavefront6targetE0EEEvS13_.has_indirect_call, 0
	.section	.AMDGPU.csdata,"",@progbits
; Kernel info:
; codeLenInByte = 0
; TotalNumSgprs: 0
; NumVgprs: 0
; ScratchSize: 0
; MemoryBound: 0
; FloatMode: 240
; IeeeMode: 1
; LDSByteSize: 0 bytes/workgroup (compile time only)
; SGPRBlocks: 0
; VGPRBlocks: 0
; NumSGPRsForWavesPerEU: 1
; NumVGPRsForWavesPerEU: 1
; Occupancy: 16
; WaveLimiterHint : 0
; COMPUTE_PGM_RSRC2:SCRATCH_EN: 0
; COMPUTE_PGM_RSRC2:USER_SGPR: 2
; COMPUTE_PGM_RSRC2:TRAP_HANDLER: 0
; COMPUTE_PGM_RSRC2:TGID_X_EN: 1
; COMPUTE_PGM_RSRC2:TGID_Y_EN: 0
; COMPUTE_PGM_RSRC2:TGID_Z_EN: 0
; COMPUTE_PGM_RSRC2:TIDIG_COMP_CNT: 0
	.section	.text._ZN7rocprim17ROCPRIM_400000_NS6detail17trampoline_kernelINS0_13select_configILj256ELj13ELNS0_17block_load_methodE3ELS4_3ELS4_3ELNS0_20block_scan_algorithmE0ELj4294967295EEENS1_25partition_config_selectorILNS1_17partition_subalgoE4EjNS0_10empty_typeEbEEZZNS1_14partition_implILS8_4ELb0ES6_15HIP_vector_typeIjLj2EENS0_17counting_iteratorIjlEEPS9_SG_NS0_5tupleIJPjSI_NS0_16reverse_iteratorISI_EEEEENSH_IJSG_SG_SG_EEES9_SI_JZNS1_25segmented_radix_sort_implINS0_14default_configELb0EPK12hip_bfloat16PSP_PKlPlN2at6native12_GLOBAL__N_18offset_tEEE10hipError_tPvRmT1_PNSt15iterator_traitsIS13_E10value_typeET2_T3_PNS14_IS19_E10value_typeET4_jRbjT5_S1F_jjP12ihipStream_tbEUljE_ZNSN_ISO_Lb0ESR_SS_SU_SV_SZ_EES10_S11_S12_S13_S17_S18_S19_S1C_S1D_jS1E_jS1F_S1F_jjS1H_bEUljE0_EEES10_S11_S12_S19_S1D_S1F_T6_T7_T9_mT8_S1H_bDpT10_ENKUlT_T0_E_clISt17integral_constantIbLb1EES1U_IbLb0EEEEDaS1Q_S1R_EUlS1Q_E_NS1_11comp_targetILNS1_3genE3ELNS1_11target_archE908ELNS1_3gpuE7ELNS1_3repE0EEENS1_30default_config_static_selectorELNS0_4arch9wavefront6targetE0EEEvS13_,"axG",@progbits,_ZN7rocprim17ROCPRIM_400000_NS6detail17trampoline_kernelINS0_13select_configILj256ELj13ELNS0_17block_load_methodE3ELS4_3ELS4_3ELNS0_20block_scan_algorithmE0ELj4294967295EEENS1_25partition_config_selectorILNS1_17partition_subalgoE4EjNS0_10empty_typeEbEEZZNS1_14partition_implILS8_4ELb0ES6_15HIP_vector_typeIjLj2EENS0_17counting_iteratorIjlEEPS9_SG_NS0_5tupleIJPjSI_NS0_16reverse_iteratorISI_EEEEENSH_IJSG_SG_SG_EEES9_SI_JZNS1_25segmented_radix_sort_implINS0_14default_configELb0EPK12hip_bfloat16PSP_PKlPlN2at6native12_GLOBAL__N_18offset_tEEE10hipError_tPvRmT1_PNSt15iterator_traitsIS13_E10value_typeET2_T3_PNS14_IS19_E10value_typeET4_jRbjT5_S1F_jjP12ihipStream_tbEUljE_ZNSN_ISO_Lb0ESR_SS_SU_SV_SZ_EES10_S11_S12_S13_S17_S18_S19_S1C_S1D_jS1E_jS1F_S1F_jjS1H_bEUljE0_EEES10_S11_S12_S19_S1D_S1F_T6_T7_T9_mT8_S1H_bDpT10_ENKUlT_T0_E_clISt17integral_constantIbLb1EES1U_IbLb0EEEEDaS1Q_S1R_EUlS1Q_E_NS1_11comp_targetILNS1_3genE3ELNS1_11target_archE908ELNS1_3gpuE7ELNS1_3repE0EEENS1_30default_config_static_selectorELNS0_4arch9wavefront6targetE0EEEvS13_,comdat
	.globl	_ZN7rocprim17ROCPRIM_400000_NS6detail17trampoline_kernelINS0_13select_configILj256ELj13ELNS0_17block_load_methodE3ELS4_3ELS4_3ELNS0_20block_scan_algorithmE0ELj4294967295EEENS1_25partition_config_selectorILNS1_17partition_subalgoE4EjNS0_10empty_typeEbEEZZNS1_14partition_implILS8_4ELb0ES6_15HIP_vector_typeIjLj2EENS0_17counting_iteratorIjlEEPS9_SG_NS0_5tupleIJPjSI_NS0_16reverse_iteratorISI_EEEEENSH_IJSG_SG_SG_EEES9_SI_JZNS1_25segmented_radix_sort_implINS0_14default_configELb0EPK12hip_bfloat16PSP_PKlPlN2at6native12_GLOBAL__N_18offset_tEEE10hipError_tPvRmT1_PNSt15iterator_traitsIS13_E10value_typeET2_T3_PNS14_IS19_E10value_typeET4_jRbjT5_S1F_jjP12ihipStream_tbEUljE_ZNSN_ISO_Lb0ESR_SS_SU_SV_SZ_EES10_S11_S12_S13_S17_S18_S19_S1C_S1D_jS1E_jS1F_S1F_jjS1H_bEUljE0_EEES10_S11_S12_S19_S1D_S1F_T6_T7_T9_mT8_S1H_bDpT10_ENKUlT_T0_E_clISt17integral_constantIbLb1EES1U_IbLb0EEEEDaS1Q_S1R_EUlS1Q_E_NS1_11comp_targetILNS1_3genE3ELNS1_11target_archE908ELNS1_3gpuE7ELNS1_3repE0EEENS1_30default_config_static_selectorELNS0_4arch9wavefront6targetE0EEEvS13_ ; -- Begin function _ZN7rocprim17ROCPRIM_400000_NS6detail17trampoline_kernelINS0_13select_configILj256ELj13ELNS0_17block_load_methodE3ELS4_3ELS4_3ELNS0_20block_scan_algorithmE0ELj4294967295EEENS1_25partition_config_selectorILNS1_17partition_subalgoE4EjNS0_10empty_typeEbEEZZNS1_14partition_implILS8_4ELb0ES6_15HIP_vector_typeIjLj2EENS0_17counting_iteratorIjlEEPS9_SG_NS0_5tupleIJPjSI_NS0_16reverse_iteratorISI_EEEEENSH_IJSG_SG_SG_EEES9_SI_JZNS1_25segmented_radix_sort_implINS0_14default_configELb0EPK12hip_bfloat16PSP_PKlPlN2at6native12_GLOBAL__N_18offset_tEEE10hipError_tPvRmT1_PNSt15iterator_traitsIS13_E10value_typeET2_T3_PNS14_IS19_E10value_typeET4_jRbjT5_S1F_jjP12ihipStream_tbEUljE_ZNSN_ISO_Lb0ESR_SS_SU_SV_SZ_EES10_S11_S12_S13_S17_S18_S19_S1C_S1D_jS1E_jS1F_S1F_jjS1H_bEUljE0_EEES10_S11_S12_S19_S1D_S1F_T6_T7_T9_mT8_S1H_bDpT10_ENKUlT_T0_E_clISt17integral_constantIbLb1EES1U_IbLb0EEEEDaS1Q_S1R_EUlS1Q_E_NS1_11comp_targetILNS1_3genE3ELNS1_11target_archE908ELNS1_3gpuE7ELNS1_3repE0EEENS1_30default_config_static_selectorELNS0_4arch9wavefront6targetE0EEEvS13_
	.p2align	8
	.type	_ZN7rocprim17ROCPRIM_400000_NS6detail17trampoline_kernelINS0_13select_configILj256ELj13ELNS0_17block_load_methodE3ELS4_3ELS4_3ELNS0_20block_scan_algorithmE0ELj4294967295EEENS1_25partition_config_selectorILNS1_17partition_subalgoE4EjNS0_10empty_typeEbEEZZNS1_14partition_implILS8_4ELb0ES6_15HIP_vector_typeIjLj2EENS0_17counting_iteratorIjlEEPS9_SG_NS0_5tupleIJPjSI_NS0_16reverse_iteratorISI_EEEEENSH_IJSG_SG_SG_EEES9_SI_JZNS1_25segmented_radix_sort_implINS0_14default_configELb0EPK12hip_bfloat16PSP_PKlPlN2at6native12_GLOBAL__N_18offset_tEEE10hipError_tPvRmT1_PNSt15iterator_traitsIS13_E10value_typeET2_T3_PNS14_IS19_E10value_typeET4_jRbjT5_S1F_jjP12ihipStream_tbEUljE_ZNSN_ISO_Lb0ESR_SS_SU_SV_SZ_EES10_S11_S12_S13_S17_S18_S19_S1C_S1D_jS1E_jS1F_S1F_jjS1H_bEUljE0_EEES10_S11_S12_S19_S1D_S1F_T6_T7_T9_mT8_S1H_bDpT10_ENKUlT_T0_E_clISt17integral_constantIbLb1EES1U_IbLb0EEEEDaS1Q_S1R_EUlS1Q_E_NS1_11comp_targetILNS1_3genE3ELNS1_11target_archE908ELNS1_3gpuE7ELNS1_3repE0EEENS1_30default_config_static_selectorELNS0_4arch9wavefront6targetE0EEEvS13_,@function
_ZN7rocprim17ROCPRIM_400000_NS6detail17trampoline_kernelINS0_13select_configILj256ELj13ELNS0_17block_load_methodE3ELS4_3ELS4_3ELNS0_20block_scan_algorithmE0ELj4294967295EEENS1_25partition_config_selectorILNS1_17partition_subalgoE4EjNS0_10empty_typeEbEEZZNS1_14partition_implILS8_4ELb0ES6_15HIP_vector_typeIjLj2EENS0_17counting_iteratorIjlEEPS9_SG_NS0_5tupleIJPjSI_NS0_16reverse_iteratorISI_EEEEENSH_IJSG_SG_SG_EEES9_SI_JZNS1_25segmented_radix_sort_implINS0_14default_configELb0EPK12hip_bfloat16PSP_PKlPlN2at6native12_GLOBAL__N_18offset_tEEE10hipError_tPvRmT1_PNSt15iterator_traitsIS13_E10value_typeET2_T3_PNS14_IS19_E10value_typeET4_jRbjT5_S1F_jjP12ihipStream_tbEUljE_ZNSN_ISO_Lb0ESR_SS_SU_SV_SZ_EES10_S11_S12_S13_S17_S18_S19_S1C_S1D_jS1E_jS1F_S1F_jjS1H_bEUljE0_EEES10_S11_S12_S19_S1D_S1F_T6_T7_T9_mT8_S1H_bDpT10_ENKUlT_T0_E_clISt17integral_constantIbLb1EES1U_IbLb0EEEEDaS1Q_S1R_EUlS1Q_E_NS1_11comp_targetILNS1_3genE3ELNS1_11target_archE908ELNS1_3gpuE7ELNS1_3repE0EEENS1_30default_config_static_selectorELNS0_4arch9wavefront6targetE0EEEvS13_: ; @_ZN7rocprim17ROCPRIM_400000_NS6detail17trampoline_kernelINS0_13select_configILj256ELj13ELNS0_17block_load_methodE3ELS4_3ELS4_3ELNS0_20block_scan_algorithmE0ELj4294967295EEENS1_25partition_config_selectorILNS1_17partition_subalgoE4EjNS0_10empty_typeEbEEZZNS1_14partition_implILS8_4ELb0ES6_15HIP_vector_typeIjLj2EENS0_17counting_iteratorIjlEEPS9_SG_NS0_5tupleIJPjSI_NS0_16reverse_iteratorISI_EEEEENSH_IJSG_SG_SG_EEES9_SI_JZNS1_25segmented_radix_sort_implINS0_14default_configELb0EPK12hip_bfloat16PSP_PKlPlN2at6native12_GLOBAL__N_18offset_tEEE10hipError_tPvRmT1_PNSt15iterator_traitsIS13_E10value_typeET2_T3_PNS14_IS19_E10value_typeET4_jRbjT5_S1F_jjP12ihipStream_tbEUljE_ZNSN_ISO_Lb0ESR_SS_SU_SV_SZ_EES10_S11_S12_S13_S17_S18_S19_S1C_S1D_jS1E_jS1F_S1F_jjS1H_bEUljE0_EEES10_S11_S12_S19_S1D_S1F_T6_T7_T9_mT8_S1H_bDpT10_ENKUlT_T0_E_clISt17integral_constantIbLb1EES1U_IbLb0EEEEDaS1Q_S1R_EUlS1Q_E_NS1_11comp_targetILNS1_3genE3ELNS1_11target_archE908ELNS1_3gpuE7ELNS1_3repE0EEENS1_30default_config_static_selectorELNS0_4arch9wavefront6targetE0EEEvS13_
; %bb.0:
	.section	.rodata,"a",@progbits
	.p2align	6, 0x0
	.amdhsa_kernel _ZN7rocprim17ROCPRIM_400000_NS6detail17trampoline_kernelINS0_13select_configILj256ELj13ELNS0_17block_load_methodE3ELS4_3ELS4_3ELNS0_20block_scan_algorithmE0ELj4294967295EEENS1_25partition_config_selectorILNS1_17partition_subalgoE4EjNS0_10empty_typeEbEEZZNS1_14partition_implILS8_4ELb0ES6_15HIP_vector_typeIjLj2EENS0_17counting_iteratorIjlEEPS9_SG_NS0_5tupleIJPjSI_NS0_16reverse_iteratorISI_EEEEENSH_IJSG_SG_SG_EEES9_SI_JZNS1_25segmented_radix_sort_implINS0_14default_configELb0EPK12hip_bfloat16PSP_PKlPlN2at6native12_GLOBAL__N_18offset_tEEE10hipError_tPvRmT1_PNSt15iterator_traitsIS13_E10value_typeET2_T3_PNS14_IS19_E10value_typeET4_jRbjT5_S1F_jjP12ihipStream_tbEUljE_ZNSN_ISO_Lb0ESR_SS_SU_SV_SZ_EES10_S11_S12_S13_S17_S18_S19_S1C_S1D_jS1E_jS1F_S1F_jjS1H_bEUljE0_EEES10_S11_S12_S19_S1D_S1F_T6_T7_T9_mT8_S1H_bDpT10_ENKUlT_T0_E_clISt17integral_constantIbLb1EES1U_IbLb0EEEEDaS1Q_S1R_EUlS1Q_E_NS1_11comp_targetILNS1_3genE3ELNS1_11target_archE908ELNS1_3gpuE7ELNS1_3repE0EEENS1_30default_config_static_selectorELNS0_4arch9wavefront6targetE0EEEvS13_
		.amdhsa_group_segment_fixed_size 0
		.amdhsa_private_segment_fixed_size 0
		.amdhsa_kernarg_size 176
		.amdhsa_user_sgpr_count 2
		.amdhsa_user_sgpr_dispatch_ptr 0
		.amdhsa_user_sgpr_queue_ptr 0
		.amdhsa_user_sgpr_kernarg_segment_ptr 1
		.amdhsa_user_sgpr_dispatch_id 0
		.amdhsa_user_sgpr_private_segment_size 0
		.amdhsa_wavefront_size32 1
		.amdhsa_uses_dynamic_stack 0
		.amdhsa_enable_private_segment 0
		.amdhsa_system_sgpr_workgroup_id_x 1
		.amdhsa_system_sgpr_workgroup_id_y 0
		.amdhsa_system_sgpr_workgroup_id_z 0
		.amdhsa_system_sgpr_workgroup_info 0
		.amdhsa_system_vgpr_workitem_id 0
		.amdhsa_next_free_vgpr 1
		.amdhsa_next_free_sgpr 1
		.amdhsa_reserve_vcc 0
		.amdhsa_float_round_mode_32 0
		.amdhsa_float_round_mode_16_64 0
		.amdhsa_float_denorm_mode_32 3
		.amdhsa_float_denorm_mode_16_64 3
		.amdhsa_fp16_overflow 0
		.amdhsa_workgroup_processor_mode 1
		.amdhsa_memory_ordered 1
		.amdhsa_forward_progress 1
		.amdhsa_inst_pref_size 0
		.amdhsa_round_robin_scheduling 0
		.amdhsa_exception_fp_ieee_invalid_op 0
		.amdhsa_exception_fp_denorm_src 0
		.amdhsa_exception_fp_ieee_div_zero 0
		.amdhsa_exception_fp_ieee_overflow 0
		.amdhsa_exception_fp_ieee_underflow 0
		.amdhsa_exception_fp_ieee_inexact 0
		.amdhsa_exception_int_div_zero 0
	.end_amdhsa_kernel
	.section	.text._ZN7rocprim17ROCPRIM_400000_NS6detail17trampoline_kernelINS0_13select_configILj256ELj13ELNS0_17block_load_methodE3ELS4_3ELS4_3ELNS0_20block_scan_algorithmE0ELj4294967295EEENS1_25partition_config_selectorILNS1_17partition_subalgoE4EjNS0_10empty_typeEbEEZZNS1_14partition_implILS8_4ELb0ES6_15HIP_vector_typeIjLj2EENS0_17counting_iteratorIjlEEPS9_SG_NS0_5tupleIJPjSI_NS0_16reverse_iteratorISI_EEEEENSH_IJSG_SG_SG_EEES9_SI_JZNS1_25segmented_radix_sort_implINS0_14default_configELb0EPK12hip_bfloat16PSP_PKlPlN2at6native12_GLOBAL__N_18offset_tEEE10hipError_tPvRmT1_PNSt15iterator_traitsIS13_E10value_typeET2_T3_PNS14_IS19_E10value_typeET4_jRbjT5_S1F_jjP12ihipStream_tbEUljE_ZNSN_ISO_Lb0ESR_SS_SU_SV_SZ_EES10_S11_S12_S13_S17_S18_S19_S1C_S1D_jS1E_jS1F_S1F_jjS1H_bEUljE0_EEES10_S11_S12_S19_S1D_S1F_T6_T7_T9_mT8_S1H_bDpT10_ENKUlT_T0_E_clISt17integral_constantIbLb1EES1U_IbLb0EEEEDaS1Q_S1R_EUlS1Q_E_NS1_11comp_targetILNS1_3genE3ELNS1_11target_archE908ELNS1_3gpuE7ELNS1_3repE0EEENS1_30default_config_static_selectorELNS0_4arch9wavefront6targetE0EEEvS13_,"axG",@progbits,_ZN7rocprim17ROCPRIM_400000_NS6detail17trampoline_kernelINS0_13select_configILj256ELj13ELNS0_17block_load_methodE3ELS4_3ELS4_3ELNS0_20block_scan_algorithmE0ELj4294967295EEENS1_25partition_config_selectorILNS1_17partition_subalgoE4EjNS0_10empty_typeEbEEZZNS1_14partition_implILS8_4ELb0ES6_15HIP_vector_typeIjLj2EENS0_17counting_iteratorIjlEEPS9_SG_NS0_5tupleIJPjSI_NS0_16reverse_iteratorISI_EEEEENSH_IJSG_SG_SG_EEES9_SI_JZNS1_25segmented_radix_sort_implINS0_14default_configELb0EPK12hip_bfloat16PSP_PKlPlN2at6native12_GLOBAL__N_18offset_tEEE10hipError_tPvRmT1_PNSt15iterator_traitsIS13_E10value_typeET2_T3_PNS14_IS19_E10value_typeET4_jRbjT5_S1F_jjP12ihipStream_tbEUljE_ZNSN_ISO_Lb0ESR_SS_SU_SV_SZ_EES10_S11_S12_S13_S17_S18_S19_S1C_S1D_jS1E_jS1F_S1F_jjS1H_bEUljE0_EEES10_S11_S12_S19_S1D_S1F_T6_T7_T9_mT8_S1H_bDpT10_ENKUlT_T0_E_clISt17integral_constantIbLb1EES1U_IbLb0EEEEDaS1Q_S1R_EUlS1Q_E_NS1_11comp_targetILNS1_3genE3ELNS1_11target_archE908ELNS1_3gpuE7ELNS1_3repE0EEENS1_30default_config_static_selectorELNS0_4arch9wavefront6targetE0EEEvS13_,comdat
.Lfunc_end2004:
	.size	_ZN7rocprim17ROCPRIM_400000_NS6detail17trampoline_kernelINS0_13select_configILj256ELj13ELNS0_17block_load_methodE3ELS4_3ELS4_3ELNS0_20block_scan_algorithmE0ELj4294967295EEENS1_25partition_config_selectorILNS1_17partition_subalgoE4EjNS0_10empty_typeEbEEZZNS1_14partition_implILS8_4ELb0ES6_15HIP_vector_typeIjLj2EENS0_17counting_iteratorIjlEEPS9_SG_NS0_5tupleIJPjSI_NS0_16reverse_iteratorISI_EEEEENSH_IJSG_SG_SG_EEES9_SI_JZNS1_25segmented_radix_sort_implINS0_14default_configELb0EPK12hip_bfloat16PSP_PKlPlN2at6native12_GLOBAL__N_18offset_tEEE10hipError_tPvRmT1_PNSt15iterator_traitsIS13_E10value_typeET2_T3_PNS14_IS19_E10value_typeET4_jRbjT5_S1F_jjP12ihipStream_tbEUljE_ZNSN_ISO_Lb0ESR_SS_SU_SV_SZ_EES10_S11_S12_S13_S17_S18_S19_S1C_S1D_jS1E_jS1F_S1F_jjS1H_bEUljE0_EEES10_S11_S12_S19_S1D_S1F_T6_T7_T9_mT8_S1H_bDpT10_ENKUlT_T0_E_clISt17integral_constantIbLb1EES1U_IbLb0EEEEDaS1Q_S1R_EUlS1Q_E_NS1_11comp_targetILNS1_3genE3ELNS1_11target_archE908ELNS1_3gpuE7ELNS1_3repE0EEENS1_30default_config_static_selectorELNS0_4arch9wavefront6targetE0EEEvS13_, .Lfunc_end2004-_ZN7rocprim17ROCPRIM_400000_NS6detail17trampoline_kernelINS0_13select_configILj256ELj13ELNS0_17block_load_methodE3ELS4_3ELS4_3ELNS0_20block_scan_algorithmE0ELj4294967295EEENS1_25partition_config_selectorILNS1_17partition_subalgoE4EjNS0_10empty_typeEbEEZZNS1_14partition_implILS8_4ELb0ES6_15HIP_vector_typeIjLj2EENS0_17counting_iteratorIjlEEPS9_SG_NS0_5tupleIJPjSI_NS0_16reverse_iteratorISI_EEEEENSH_IJSG_SG_SG_EEES9_SI_JZNS1_25segmented_radix_sort_implINS0_14default_configELb0EPK12hip_bfloat16PSP_PKlPlN2at6native12_GLOBAL__N_18offset_tEEE10hipError_tPvRmT1_PNSt15iterator_traitsIS13_E10value_typeET2_T3_PNS14_IS19_E10value_typeET4_jRbjT5_S1F_jjP12ihipStream_tbEUljE_ZNSN_ISO_Lb0ESR_SS_SU_SV_SZ_EES10_S11_S12_S13_S17_S18_S19_S1C_S1D_jS1E_jS1F_S1F_jjS1H_bEUljE0_EEES10_S11_S12_S19_S1D_S1F_T6_T7_T9_mT8_S1H_bDpT10_ENKUlT_T0_E_clISt17integral_constantIbLb1EES1U_IbLb0EEEEDaS1Q_S1R_EUlS1Q_E_NS1_11comp_targetILNS1_3genE3ELNS1_11target_archE908ELNS1_3gpuE7ELNS1_3repE0EEENS1_30default_config_static_selectorELNS0_4arch9wavefront6targetE0EEEvS13_
                                        ; -- End function
	.set _ZN7rocprim17ROCPRIM_400000_NS6detail17trampoline_kernelINS0_13select_configILj256ELj13ELNS0_17block_load_methodE3ELS4_3ELS4_3ELNS0_20block_scan_algorithmE0ELj4294967295EEENS1_25partition_config_selectorILNS1_17partition_subalgoE4EjNS0_10empty_typeEbEEZZNS1_14partition_implILS8_4ELb0ES6_15HIP_vector_typeIjLj2EENS0_17counting_iteratorIjlEEPS9_SG_NS0_5tupleIJPjSI_NS0_16reverse_iteratorISI_EEEEENSH_IJSG_SG_SG_EEES9_SI_JZNS1_25segmented_radix_sort_implINS0_14default_configELb0EPK12hip_bfloat16PSP_PKlPlN2at6native12_GLOBAL__N_18offset_tEEE10hipError_tPvRmT1_PNSt15iterator_traitsIS13_E10value_typeET2_T3_PNS14_IS19_E10value_typeET4_jRbjT5_S1F_jjP12ihipStream_tbEUljE_ZNSN_ISO_Lb0ESR_SS_SU_SV_SZ_EES10_S11_S12_S13_S17_S18_S19_S1C_S1D_jS1E_jS1F_S1F_jjS1H_bEUljE0_EEES10_S11_S12_S19_S1D_S1F_T6_T7_T9_mT8_S1H_bDpT10_ENKUlT_T0_E_clISt17integral_constantIbLb1EES1U_IbLb0EEEEDaS1Q_S1R_EUlS1Q_E_NS1_11comp_targetILNS1_3genE3ELNS1_11target_archE908ELNS1_3gpuE7ELNS1_3repE0EEENS1_30default_config_static_selectorELNS0_4arch9wavefront6targetE0EEEvS13_.num_vgpr, 0
	.set _ZN7rocprim17ROCPRIM_400000_NS6detail17trampoline_kernelINS0_13select_configILj256ELj13ELNS0_17block_load_methodE3ELS4_3ELS4_3ELNS0_20block_scan_algorithmE0ELj4294967295EEENS1_25partition_config_selectorILNS1_17partition_subalgoE4EjNS0_10empty_typeEbEEZZNS1_14partition_implILS8_4ELb0ES6_15HIP_vector_typeIjLj2EENS0_17counting_iteratorIjlEEPS9_SG_NS0_5tupleIJPjSI_NS0_16reverse_iteratorISI_EEEEENSH_IJSG_SG_SG_EEES9_SI_JZNS1_25segmented_radix_sort_implINS0_14default_configELb0EPK12hip_bfloat16PSP_PKlPlN2at6native12_GLOBAL__N_18offset_tEEE10hipError_tPvRmT1_PNSt15iterator_traitsIS13_E10value_typeET2_T3_PNS14_IS19_E10value_typeET4_jRbjT5_S1F_jjP12ihipStream_tbEUljE_ZNSN_ISO_Lb0ESR_SS_SU_SV_SZ_EES10_S11_S12_S13_S17_S18_S19_S1C_S1D_jS1E_jS1F_S1F_jjS1H_bEUljE0_EEES10_S11_S12_S19_S1D_S1F_T6_T7_T9_mT8_S1H_bDpT10_ENKUlT_T0_E_clISt17integral_constantIbLb1EES1U_IbLb0EEEEDaS1Q_S1R_EUlS1Q_E_NS1_11comp_targetILNS1_3genE3ELNS1_11target_archE908ELNS1_3gpuE7ELNS1_3repE0EEENS1_30default_config_static_selectorELNS0_4arch9wavefront6targetE0EEEvS13_.num_agpr, 0
	.set _ZN7rocprim17ROCPRIM_400000_NS6detail17trampoline_kernelINS0_13select_configILj256ELj13ELNS0_17block_load_methodE3ELS4_3ELS4_3ELNS0_20block_scan_algorithmE0ELj4294967295EEENS1_25partition_config_selectorILNS1_17partition_subalgoE4EjNS0_10empty_typeEbEEZZNS1_14partition_implILS8_4ELb0ES6_15HIP_vector_typeIjLj2EENS0_17counting_iteratorIjlEEPS9_SG_NS0_5tupleIJPjSI_NS0_16reverse_iteratorISI_EEEEENSH_IJSG_SG_SG_EEES9_SI_JZNS1_25segmented_radix_sort_implINS0_14default_configELb0EPK12hip_bfloat16PSP_PKlPlN2at6native12_GLOBAL__N_18offset_tEEE10hipError_tPvRmT1_PNSt15iterator_traitsIS13_E10value_typeET2_T3_PNS14_IS19_E10value_typeET4_jRbjT5_S1F_jjP12ihipStream_tbEUljE_ZNSN_ISO_Lb0ESR_SS_SU_SV_SZ_EES10_S11_S12_S13_S17_S18_S19_S1C_S1D_jS1E_jS1F_S1F_jjS1H_bEUljE0_EEES10_S11_S12_S19_S1D_S1F_T6_T7_T9_mT8_S1H_bDpT10_ENKUlT_T0_E_clISt17integral_constantIbLb1EES1U_IbLb0EEEEDaS1Q_S1R_EUlS1Q_E_NS1_11comp_targetILNS1_3genE3ELNS1_11target_archE908ELNS1_3gpuE7ELNS1_3repE0EEENS1_30default_config_static_selectorELNS0_4arch9wavefront6targetE0EEEvS13_.numbered_sgpr, 0
	.set _ZN7rocprim17ROCPRIM_400000_NS6detail17trampoline_kernelINS0_13select_configILj256ELj13ELNS0_17block_load_methodE3ELS4_3ELS4_3ELNS0_20block_scan_algorithmE0ELj4294967295EEENS1_25partition_config_selectorILNS1_17partition_subalgoE4EjNS0_10empty_typeEbEEZZNS1_14partition_implILS8_4ELb0ES6_15HIP_vector_typeIjLj2EENS0_17counting_iteratorIjlEEPS9_SG_NS0_5tupleIJPjSI_NS0_16reverse_iteratorISI_EEEEENSH_IJSG_SG_SG_EEES9_SI_JZNS1_25segmented_radix_sort_implINS0_14default_configELb0EPK12hip_bfloat16PSP_PKlPlN2at6native12_GLOBAL__N_18offset_tEEE10hipError_tPvRmT1_PNSt15iterator_traitsIS13_E10value_typeET2_T3_PNS14_IS19_E10value_typeET4_jRbjT5_S1F_jjP12ihipStream_tbEUljE_ZNSN_ISO_Lb0ESR_SS_SU_SV_SZ_EES10_S11_S12_S13_S17_S18_S19_S1C_S1D_jS1E_jS1F_S1F_jjS1H_bEUljE0_EEES10_S11_S12_S19_S1D_S1F_T6_T7_T9_mT8_S1H_bDpT10_ENKUlT_T0_E_clISt17integral_constantIbLb1EES1U_IbLb0EEEEDaS1Q_S1R_EUlS1Q_E_NS1_11comp_targetILNS1_3genE3ELNS1_11target_archE908ELNS1_3gpuE7ELNS1_3repE0EEENS1_30default_config_static_selectorELNS0_4arch9wavefront6targetE0EEEvS13_.num_named_barrier, 0
	.set _ZN7rocprim17ROCPRIM_400000_NS6detail17trampoline_kernelINS0_13select_configILj256ELj13ELNS0_17block_load_methodE3ELS4_3ELS4_3ELNS0_20block_scan_algorithmE0ELj4294967295EEENS1_25partition_config_selectorILNS1_17partition_subalgoE4EjNS0_10empty_typeEbEEZZNS1_14partition_implILS8_4ELb0ES6_15HIP_vector_typeIjLj2EENS0_17counting_iteratorIjlEEPS9_SG_NS0_5tupleIJPjSI_NS0_16reverse_iteratorISI_EEEEENSH_IJSG_SG_SG_EEES9_SI_JZNS1_25segmented_radix_sort_implINS0_14default_configELb0EPK12hip_bfloat16PSP_PKlPlN2at6native12_GLOBAL__N_18offset_tEEE10hipError_tPvRmT1_PNSt15iterator_traitsIS13_E10value_typeET2_T3_PNS14_IS19_E10value_typeET4_jRbjT5_S1F_jjP12ihipStream_tbEUljE_ZNSN_ISO_Lb0ESR_SS_SU_SV_SZ_EES10_S11_S12_S13_S17_S18_S19_S1C_S1D_jS1E_jS1F_S1F_jjS1H_bEUljE0_EEES10_S11_S12_S19_S1D_S1F_T6_T7_T9_mT8_S1H_bDpT10_ENKUlT_T0_E_clISt17integral_constantIbLb1EES1U_IbLb0EEEEDaS1Q_S1R_EUlS1Q_E_NS1_11comp_targetILNS1_3genE3ELNS1_11target_archE908ELNS1_3gpuE7ELNS1_3repE0EEENS1_30default_config_static_selectorELNS0_4arch9wavefront6targetE0EEEvS13_.private_seg_size, 0
	.set _ZN7rocprim17ROCPRIM_400000_NS6detail17trampoline_kernelINS0_13select_configILj256ELj13ELNS0_17block_load_methodE3ELS4_3ELS4_3ELNS0_20block_scan_algorithmE0ELj4294967295EEENS1_25partition_config_selectorILNS1_17partition_subalgoE4EjNS0_10empty_typeEbEEZZNS1_14partition_implILS8_4ELb0ES6_15HIP_vector_typeIjLj2EENS0_17counting_iteratorIjlEEPS9_SG_NS0_5tupleIJPjSI_NS0_16reverse_iteratorISI_EEEEENSH_IJSG_SG_SG_EEES9_SI_JZNS1_25segmented_radix_sort_implINS0_14default_configELb0EPK12hip_bfloat16PSP_PKlPlN2at6native12_GLOBAL__N_18offset_tEEE10hipError_tPvRmT1_PNSt15iterator_traitsIS13_E10value_typeET2_T3_PNS14_IS19_E10value_typeET4_jRbjT5_S1F_jjP12ihipStream_tbEUljE_ZNSN_ISO_Lb0ESR_SS_SU_SV_SZ_EES10_S11_S12_S13_S17_S18_S19_S1C_S1D_jS1E_jS1F_S1F_jjS1H_bEUljE0_EEES10_S11_S12_S19_S1D_S1F_T6_T7_T9_mT8_S1H_bDpT10_ENKUlT_T0_E_clISt17integral_constantIbLb1EES1U_IbLb0EEEEDaS1Q_S1R_EUlS1Q_E_NS1_11comp_targetILNS1_3genE3ELNS1_11target_archE908ELNS1_3gpuE7ELNS1_3repE0EEENS1_30default_config_static_selectorELNS0_4arch9wavefront6targetE0EEEvS13_.uses_vcc, 0
	.set _ZN7rocprim17ROCPRIM_400000_NS6detail17trampoline_kernelINS0_13select_configILj256ELj13ELNS0_17block_load_methodE3ELS4_3ELS4_3ELNS0_20block_scan_algorithmE0ELj4294967295EEENS1_25partition_config_selectorILNS1_17partition_subalgoE4EjNS0_10empty_typeEbEEZZNS1_14partition_implILS8_4ELb0ES6_15HIP_vector_typeIjLj2EENS0_17counting_iteratorIjlEEPS9_SG_NS0_5tupleIJPjSI_NS0_16reverse_iteratorISI_EEEEENSH_IJSG_SG_SG_EEES9_SI_JZNS1_25segmented_radix_sort_implINS0_14default_configELb0EPK12hip_bfloat16PSP_PKlPlN2at6native12_GLOBAL__N_18offset_tEEE10hipError_tPvRmT1_PNSt15iterator_traitsIS13_E10value_typeET2_T3_PNS14_IS19_E10value_typeET4_jRbjT5_S1F_jjP12ihipStream_tbEUljE_ZNSN_ISO_Lb0ESR_SS_SU_SV_SZ_EES10_S11_S12_S13_S17_S18_S19_S1C_S1D_jS1E_jS1F_S1F_jjS1H_bEUljE0_EEES10_S11_S12_S19_S1D_S1F_T6_T7_T9_mT8_S1H_bDpT10_ENKUlT_T0_E_clISt17integral_constantIbLb1EES1U_IbLb0EEEEDaS1Q_S1R_EUlS1Q_E_NS1_11comp_targetILNS1_3genE3ELNS1_11target_archE908ELNS1_3gpuE7ELNS1_3repE0EEENS1_30default_config_static_selectorELNS0_4arch9wavefront6targetE0EEEvS13_.uses_flat_scratch, 0
	.set _ZN7rocprim17ROCPRIM_400000_NS6detail17trampoline_kernelINS0_13select_configILj256ELj13ELNS0_17block_load_methodE3ELS4_3ELS4_3ELNS0_20block_scan_algorithmE0ELj4294967295EEENS1_25partition_config_selectorILNS1_17partition_subalgoE4EjNS0_10empty_typeEbEEZZNS1_14partition_implILS8_4ELb0ES6_15HIP_vector_typeIjLj2EENS0_17counting_iteratorIjlEEPS9_SG_NS0_5tupleIJPjSI_NS0_16reverse_iteratorISI_EEEEENSH_IJSG_SG_SG_EEES9_SI_JZNS1_25segmented_radix_sort_implINS0_14default_configELb0EPK12hip_bfloat16PSP_PKlPlN2at6native12_GLOBAL__N_18offset_tEEE10hipError_tPvRmT1_PNSt15iterator_traitsIS13_E10value_typeET2_T3_PNS14_IS19_E10value_typeET4_jRbjT5_S1F_jjP12ihipStream_tbEUljE_ZNSN_ISO_Lb0ESR_SS_SU_SV_SZ_EES10_S11_S12_S13_S17_S18_S19_S1C_S1D_jS1E_jS1F_S1F_jjS1H_bEUljE0_EEES10_S11_S12_S19_S1D_S1F_T6_T7_T9_mT8_S1H_bDpT10_ENKUlT_T0_E_clISt17integral_constantIbLb1EES1U_IbLb0EEEEDaS1Q_S1R_EUlS1Q_E_NS1_11comp_targetILNS1_3genE3ELNS1_11target_archE908ELNS1_3gpuE7ELNS1_3repE0EEENS1_30default_config_static_selectorELNS0_4arch9wavefront6targetE0EEEvS13_.has_dyn_sized_stack, 0
	.set _ZN7rocprim17ROCPRIM_400000_NS6detail17trampoline_kernelINS0_13select_configILj256ELj13ELNS0_17block_load_methodE3ELS4_3ELS4_3ELNS0_20block_scan_algorithmE0ELj4294967295EEENS1_25partition_config_selectorILNS1_17partition_subalgoE4EjNS0_10empty_typeEbEEZZNS1_14partition_implILS8_4ELb0ES6_15HIP_vector_typeIjLj2EENS0_17counting_iteratorIjlEEPS9_SG_NS0_5tupleIJPjSI_NS0_16reverse_iteratorISI_EEEEENSH_IJSG_SG_SG_EEES9_SI_JZNS1_25segmented_radix_sort_implINS0_14default_configELb0EPK12hip_bfloat16PSP_PKlPlN2at6native12_GLOBAL__N_18offset_tEEE10hipError_tPvRmT1_PNSt15iterator_traitsIS13_E10value_typeET2_T3_PNS14_IS19_E10value_typeET4_jRbjT5_S1F_jjP12ihipStream_tbEUljE_ZNSN_ISO_Lb0ESR_SS_SU_SV_SZ_EES10_S11_S12_S13_S17_S18_S19_S1C_S1D_jS1E_jS1F_S1F_jjS1H_bEUljE0_EEES10_S11_S12_S19_S1D_S1F_T6_T7_T9_mT8_S1H_bDpT10_ENKUlT_T0_E_clISt17integral_constantIbLb1EES1U_IbLb0EEEEDaS1Q_S1R_EUlS1Q_E_NS1_11comp_targetILNS1_3genE3ELNS1_11target_archE908ELNS1_3gpuE7ELNS1_3repE0EEENS1_30default_config_static_selectorELNS0_4arch9wavefront6targetE0EEEvS13_.has_recursion, 0
	.set _ZN7rocprim17ROCPRIM_400000_NS6detail17trampoline_kernelINS0_13select_configILj256ELj13ELNS0_17block_load_methodE3ELS4_3ELS4_3ELNS0_20block_scan_algorithmE0ELj4294967295EEENS1_25partition_config_selectorILNS1_17partition_subalgoE4EjNS0_10empty_typeEbEEZZNS1_14partition_implILS8_4ELb0ES6_15HIP_vector_typeIjLj2EENS0_17counting_iteratorIjlEEPS9_SG_NS0_5tupleIJPjSI_NS0_16reverse_iteratorISI_EEEEENSH_IJSG_SG_SG_EEES9_SI_JZNS1_25segmented_radix_sort_implINS0_14default_configELb0EPK12hip_bfloat16PSP_PKlPlN2at6native12_GLOBAL__N_18offset_tEEE10hipError_tPvRmT1_PNSt15iterator_traitsIS13_E10value_typeET2_T3_PNS14_IS19_E10value_typeET4_jRbjT5_S1F_jjP12ihipStream_tbEUljE_ZNSN_ISO_Lb0ESR_SS_SU_SV_SZ_EES10_S11_S12_S13_S17_S18_S19_S1C_S1D_jS1E_jS1F_S1F_jjS1H_bEUljE0_EEES10_S11_S12_S19_S1D_S1F_T6_T7_T9_mT8_S1H_bDpT10_ENKUlT_T0_E_clISt17integral_constantIbLb1EES1U_IbLb0EEEEDaS1Q_S1R_EUlS1Q_E_NS1_11comp_targetILNS1_3genE3ELNS1_11target_archE908ELNS1_3gpuE7ELNS1_3repE0EEENS1_30default_config_static_selectorELNS0_4arch9wavefront6targetE0EEEvS13_.has_indirect_call, 0
	.section	.AMDGPU.csdata,"",@progbits
; Kernel info:
; codeLenInByte = 0
; TotalNumSgprs: 0
; NumVgprs: 0
; ScratchSize: 0
; MemoryBound: 0
; FloatMode: 240
; IeeeMode: 1
; LDSByteSize: 0 bytes/workgroup (compile time only)
; SGPRBlocks: 0
; VGPRBlocks: 0
; NumSGPRsForWavesPerEU: 1
; NumVGPRsForWavesPerEU: 1
; Occupancy: 16
; WaveLimiterHint : 0
; COMPUTE_PGM_RSRC2:SCRATCH_EN: 0
; COMPUTE_PGM_RSRC2:USER_SGPR: 2
; COMPUTE_PGM_RSRC2:TRAP_HANDLER: 0
; COMPUTE_PGM_RSRC2:TGID_X_EN: 1
; COMPUTE_PGM_RSRC2:TGID_Y_EN: 0
; COMPUTE_PGM_RSRC2:TGID_Z_EN: 0
; COMPUTE_PGM_RSRC2:TIDIG_COMP_CNT: 0
	.section	.text._ZN7rocprim17ROCPRIM_400000_NS6detail17trampoline_kernelINS0_13select_configILj256ELj13ELNS0_17block_load_methodE3ELS4_3ELS4_3ELNS0_20block_scan_algorithmE0ELj4294967295EEENS1_25partition_config_selectorILNS1_17partition_subalgoE4EjNS0_10empty_typeEbEEZZNS1_14partition_implILS8_4ELb0ES6_15HIP_vector_typeIjLj2EENS0_17counting_iteratorIjlEEPS9_SG_NS0_5tupleIJPjSI_NS0_16reverse_iteratorISI_EEEEENSH_IJSG_SG_SG_EEES9_SI_JZNS1_25segmented_radix_sort_implINS0_14default_configELb0EPK12hip_bfloat16PSP_PKlPlN2at6native12_GLOBAL__N_18offset_tEEE10hipError_tPvRmT1_PNSt15iterator_traitsIS13_E10value_typeET2_T3_PNS14_IS19_E10value_typeET4_jRbjT5_S1F_jjP12ihipStream_tbEUljE_ZNSN_ISO_Lb0ESR_SS_SU_SV_SZ_EES10_S11_S12_S13_S17_S18_S19_S1C_S1D_jS1E_jS1F_S1F_jjS1H_bEUljE0_EEES10_S11_S12_S19_S1D_S1F_T6_T7_T9_mT8_S1H_bDpT10_ENKUlT_T0_E_clISt17integral_constantIbLb1EES1U_IbLb0EEEEDaS1Q_S1R_EUlS1Q_E_NS1_11comp_targetILNS1_3genE2ELNS1_11target_archE906ELNS1_3gpuE6ELNS1_3repE0EEENS1_30default_config_static_selectorELNS0_4arch9wavefront6targetE0EEEvS13_,"axG",@progbits,_ZN7rocprim17ROCPRIM_400000_NS6detail17trampoline_kernelINS0_13select_configILj256ELj13ELNS0_17block_load_methodE3ELS4_3ELS4_3ELNS0_20block_scan_algorithmE0ELj4294967295EEENS1_25partition_config_selectorILNS1_17partition_subalgoE4EjNS0_10empty_typeEbEEZZNS1_14partition_implILS8_4ELb0ES6_15HIP_vector_typeIjLj2EENS0_17counting_iteratorIjlEEPS9_SG_NS0_5tupleIJPjSI_NS0_16reverse_iteratorISI_EEEEENSH_IJSG_SG_SG_EEES9_SI_JZNS1_25segmented_radix_sort_implINS0_14default_configELb0EPK12hip_bfloat16PSP_PKlPlN2at6native12_GLOBAL__N_18offset_tEEE10hipError_tPvRmT1_PNSt15iterator_traitsIS13_E10value_typeET2_T3_PNS14_IS19_E10value_typeET4_jRbjT5_S1F_jjP12ihipStream_tbEUljE_ZNSN_ISO_Lb0ESR_SS_SU_SV_SZ_EES10_S11_S12_S13_S17_S18_S19_S1C_S1D_jS1E_jS1F_S1F_jjS1H_bEUljE0_EEES10_S11_S12_S19_S1D_S1F_T6_T7_T9_mT8_S1H_bDpT10_ENKUlT_T0_E_clISt17integral_constantIbLb1EES1U_IbLb0EEEEDaS1Q_S1R_EUlS1Q_E_NS1_11comp_targetILNS1_3genE2ELNS1_11target_archE906ELNS1_3gpuE6ELNS1_3repE0EEENS1_30default_config_static_selectorELNS0_4arch9wavefront6targetE0EEEvS13_,comdat
	.globl	_ZN7rocprim17ROCPRIM_400000_NS6detail17trampoline_kernelINS0_13select_configILj256ELj13ELNS0_17block_load_methodE3ELS4_3ELS4_3ELNS0_20block_scan_algorithmE0ELj4294967295EEENS1_25partition_config_selectorILNS1_17partition_subalgoE4EjNS0_10empty_typeEbEEZZNS1_14partition_implILS8_4ELb0ES6_15HIP_vector_typeIjLj2EENS0_17counting_iteratorIjlEEPS9_SG_NS0_5tupleIJPjSI_NS0_16reverse_iteratorISI_EEEEENSH_IJSG_SG_SG_EEES9_SI_JZNS1_25segmented_radix_sort_implINS0_14default_configELb0EPK12hip_bfloat16PSP_PKlPlN2at6native12_GLOBAL__N_18offset_tEEE10hipError_tPvRmT1_PNSt15iterator_traitsIS13_E10value_typeET2_T3_PNS14_IS19_E10value_typeET4_jRbjT5_S1F_jjP12ihipStream_tbEUljE_ZNSN_ISO_Lb0ESR_SS_SU_SV_SZ_EES10_S11_S12_S13_S17_S18_S19_S1C_S1D_jS1E_jS1F_S1F_jjS1H_bEUljE0_EEES10_S11_S12_S19_S1D_S1F_T6_T7_T9_mT8_S1H_bDpT10_ENKUlT_T0_E_clISt17integral_constantIbLb1EES1U_IbLb0EEEEDaS1Q_S1R_EUlS1Q_E_NS1_11comp_targetILNS1_3genE2ELNS1_11target_archE906ELNS1_3gpuE6ELNS1_3repE0EEENS1_30default_config_static_selectorELNS0_4arch9wavefront6targetE0EEEvS13_ ; -- Begin function _ZN7rocprim17ROCPRIM_400000_NS6detail17trampoline_kernelINS0_13select_configILj256ELj13ELNS0_17block_load_methodE3ELS4_3ELS4_3ELNS0_20block_scan_algorithmE0ELj4294967295EEENS1_25partition_config_selectorILNS1_17partition_subalgoE4EjNS0_10empty_typeEbEEZZNS1_14partition_implILS8_4ELb0ES6_15HIP_vector_typeIjLj2EENS0_17counting_iteratorIjlEEPS9_SG_NS0_5tupleIJPjSI_NS0_16reverse_iteratorISI_EEEEENSH_IJSG_SG_SG_EEES9_SI_JZNS1_25segmented_radix_sort_implINS0_14default_configELb0EPK12hip_bfloat16PSP_PKlPlN2at6native12_GLOBAL__N_18offset_tEEE10hipError_tPvRmT1_PNSt15iterator_traitsIS13_E10value_typeET2_T3_PNS14_IS19_E10value_typeET4_jRbjT5_S1F_jjP12ihipStream_tbEUljE_ZNSN_ISO_Lb0ESR_SS_SU_SV_SZ_EES10_S11_S12_S13_S17_S18_S19_S1C_S1D_jS1E_jS1F_S1F_jjS1H_bEUljE0_EEES10_S11_S12_S19_S1D_S1F_T6_T7_T9_mT8_S1H_bDpT10_ENKUlT_T0_E_clISt17integral_constantIbLb1EES1U_IbLb0EEEEDaS1Q_S1R_EUlS1Q_E_NS1_11comp_targetILNS1_3genE2ELNS1_11target_archE906ELNS1_3gpuE6ELNS1_3repE0EEENS1_30default_config_static_selectorELNS0_4arch9wavefront6targetE0EEEvS13_
	.p2align	8
	.type	_ZN7rocprim17ROCPRIM_400000_NS6detail17trampoline_kernelINS0_13select_configILj256ELj13ELNS0_17block_load_methodE3ELS4_3ELS4_3ELNS0_20block_scan_algorithmE0ELj4294967295EEENS1_25partition_config_selectorILNS1_17partition_subalgoE4EjNS0_10empty_typeEbEEZZNS1_14partition_implILS8_4ELb0ES6_15HIP_vector_typeIjLj2EENS0_17counting_iteratorIjlEEPS9_SG_NS0_5tupleIJPjSI_NS0_16reverse_iteratorISI_EEEEENSH_IJSG_SG_SG_EEES9_SI_JZNS1_25segmented_radix_sort_implINS0_14default_configELb0EPK12hip_bfloat16PSP_PKlPlN2at6native12_GLOBAL__N_18offset_tEEE10hipError_tPvRmT1_PNSt15iterator_traitsIS13_E10value_typeET2_T3_PNS14_IS19_E10value_typeET4_jRbjT5_S1F_jjP12ihipStream_tbEUljE_ZNSN_ISO_Lb0ESR_SS_SU_SV_SZ_EES10_S11_S12_S13_S17_S18_S19_S1C_S1D_jS1E_jS1F_S1F_jjS1H_bEUljE0_EEES10_S11_S12_S19_S1D_S1F_T6_T7_T9_mT8_S1H_bDpT10_ENKUlT_T0_E_clISt17integral_constantIbLb1EES1U_IbLb0EEEEDaS1Q_S1R_EUlS1Q_E_NS1_11comp_targetILNS1_3genE2ELNS1_11target_archE906ELNS1_3gpuE6ELNS1_3repE0EEENS1_30default_config_static_selectorELNS0_4arch9wavefront6targetE0EEEvS13_,@function
_ZN7rocprim17ROCPRIM_400000_NS6detail17trampoline_kernelINS0_13select_configILj256ELj13ELNS0_17block_load_methodE3ELS4_3ELS4_3ELNS0_20block_scan_algorithmE0ELj4294967295EEENS1_25partition_config_selectorILNS1_17partition_subalgoE4EjNS0_10empty_typeEbEEZZNS1_14partition_implILS8_4ELb0ES6_15HIP_vector_typeIjLj2EENS0_17counting_iteratorIjlEEPS9_SG_NS0_5tupleIJPjSI_NS0_16reverse_iteratorISI_EEEEENSH_IJSG_SG_SG_EEES9_SI_JZNS1_25segmented_radix_sort_implINS0_14default_configELb0EPK12hip_bfloat16PSP_PKlPlN2at6native12_GLOBAL__N_18offset_tEEE10hipError_tPvRmT1_PNSt15iterator_traitsIS13_E10value_typeET2_T3_PNS14_IS19_E10value_typeET4_jRbjT5_S1F_jjP12ihipStream_tbEUljE_ZNSN_ISO_Lb0ESR_SS_SU_SV_SZ_EES10_S11_S12_S13_S17_S18_S19_S1C_S1D_jS1E_jS1F_S1F_jjS1H_bEUljE0_EEES10_S11_S12_S19_S1D_S1F_T6_T7_T9_mT8_S1H_bDpT10_ENKUlT_T0_E_clISt17integral_constantIbLb1EES1U_IbLb0EEEEDaS1Q_S1R_EUlS1Q_E_NS1_11comp_targetILNS1_3genE2ELNS1_11target_archE906ELNS1_3gpuE6ELNS1_3repE0EEENS1_30default_config_static_selectorELNS0_4arch9wavefront6targetE0EEEvS13_: ; @_ZN7rocprim17ROCPRIM_400000_NS6detail17trampoline_kernelINS0_13select_configILj256ELj13ELNS0_17block_load_methodE3ELS4_3ELS4_3ELNS0_20block_scan_algorithmE0ELj4294967295EEENS1_25partition_config_selectorILNS1_17partition_subalgoE4EjNS0_10empty_typeEbEEZZNS1_14partition_implILS8_4ELb0ES6_15HIP_vector_typeIjLj2EENS0_17counting_iteratorIjlEEPS9_SG_NS0_5tupleIJPjSI_NS0_16reverse_iteratorISI_EEEEENSH_IJSG_SG_SG_EEES9_SI_JZNS1_25segmented_radix_sort_implINS0_14default_configELb0EPK12hip_bfloat16PSP_PKlPlN2at6native12_GLOBAL__N_18offset_tEEE10hipError_tPvRmT1_PNSt15iterator_traitsIS13_E10value_typeET2_T3_PNS14_IS19_E10value_typeET4_jRbjT5_S1F_jjP12ihipStream_tbEUljE_ZNSN_ISO_Lb0ESR_SS_SU_SV_SZ_EES10_S11_S12_S13_S17_S18_S19_S1C_S1D_jS1E_jS1F_S1F_jjS1H_bEUljE0_EEES10_S11_S12_S19_S1D_S1F_T6_T7_T9_mT8_S1H_bDpT10_ENKUlT_T0_E_clISt17integral_constantIbLb1EES1U_IbLb0EEEEDaS1Q_S1R_EUlS1Q_E_NS1_11comp_targetILNS1_3genE2ELNS1_11target_archE906ELNS1_3gpuE6ELNS1_3repE0EEENS1_30default_config_static_selectorELNS0_4arch9wavefront6targetE0EEEvS13_
; %bb.0:
	.section	.rodata,"a",@progbits
	.p2align	6, 0x0
	.amdhsa_kernel _ZN7rocprim17ROCPRIM_400000_NS6detail17trampoline_kernelINS0_13select_configILj256ELj13ELNS0_17block_load_methodE3ELS4_3ELS4_3ELNS0_20block_scan_algorithmE0ELj4294967295EEENS1_25partition_config_selectorILNS1_17partition_subalgoE4EjNS0_10empty_typeEbEEZZNS1_14partition_implILS8_4ELb0ES6_15HIP_vector_typeIjLj2EENS0_17counting_iteratorIjlEEPS9_SG_NS0_5tupleIJPjSI_NS0_16reverse_iteratorISI_EEEEENSH_IJSG_SG_SG_EEES9_SI_JZNS1_25segmented_radix_sort_implINS0_14default_configELb0EPK12hip_bfloat16PSP_PKlPlN2at6native12_GLOBAL__N_18offset_tEEE10hipError_tPvRmT1_PNSt15iterator_traitsIS13_E10value_typeET2_T3_PNS14_IS19_E10value_typeET4_jRbjT5_S1F_jjP12ihipStream_tbEUljE_ZNSN_ISO_Lb0ESR_SS_SU_SV_SZ_EES10_S11_S12_S13_S17_S18_S19_S1C_S1D_jS1E_jS1F_S1F_jjS1H_bEUljE0_EEES10_S11_S12_S19_S1D_S1F_T6_T7_T9_mT8_S1H_bDpT10_ENKUlT_T0_E_clISt17integral_constantIbLb1EES1U_IbLb0EEEEDaS1Q_S1R_EUlS1Q_E_NS1_11comp_targetILNS1_3genE2ELNS1_11target_archE906ELNS1_3gpuE6ELNS1_3repE0EEENS1_30default_config_static_selectorELNS0_4arch9wavefront6targetE0EEEvS13_
		.amdhsa_group_segment_fixed_size 0
		.amdhsa_private_segment_fixed_size 0
		.amdhsa_kernarg_size 176
		.amdhsa_user_sgpr_count 2
		.amdhsa_user_sgpr_dispatch_ptr 0
		.amdhsa_user_sgpr_queue_ptr 0
		.amdhsa_user_sgpr_kernarg_segment_ptr 1
		.amdhsa_user_sgpr_dispatch_id 0
		.amdhsa_user_sgpr_private_segment_size 0
		.amdhsa_wavefront_size32 1
		.amdhsa_uses_dynamic_stack 0
		.amdhsa_enable_private_segment 0
		.amdhsa_system_sgpr_workgroup_id_x 1
		.amdhsa_system_sgpr_workgroup_id_y 0
		.amdhsa_system_sgpr_workgroup_id_z 0
		.amdhsa_system_sgpr_workgroup_info 0
		.amdhsa_system_vgpr_workitem_id 0
		.amdhsa_next_free_vgpr 1
		.amdhsa_next_free_sgpr 1
		.amdhsa_reserve_vcc 0
		.amdhsa_float_round_mode_32 0
		.amdhsa_float_round_mode_16_64 0
		.amdhsa_float_denorm_mode_32 3
		.amdhsa_float_denorm_mode_16_64 3
		.amdhsa_fp16_overflow 0
		.amdhsa_workgroup_processor_mode 1
		.amdhsa_memory_ordered 1
		.amdhsa_forward_progress 1
		.amdhsa_inst_pref_size 0
		.amdhsa_round_robin_scheduling 0
		.amdhsa_exception_fp_ieee_invalid_op 0
		.amdhsa_exception_fp_denorm_src 0
		.amdhsa_exception_fp_ieee_div_zero 0
		.amdhsa_exception_fp_ieee_overflow 0
		.amdhsa_exception_fp_ieee_underflow 0
		.amdhsa_exception_fp_ieee_inexact 0
		.amdhsa_exception_int_div_zero 0
	.end_amdhsa_kernel
	.section	.text._ZN7rocprim17ROCPRIM_400000_NS6detail17trampoline_kernelINS0_13select_configILj256ELj13ELNS0_17block_load_methodE3ELS4_3ELS4_3ELNS0_20block_scan_algorithmE0ELj4294967295EEENS1_25partition_config_selectorILNS1_17partition_subalgoE4EjNS0_10empty_typeEbEEZZNS1_14partition_implILS8_4ELb0ES6_15HIP_vector_typeIjLj2EENS0_17counting_iteratorIjlEEPS9_SG_NS0_5tupleIJPjSI_NS0_16reverse_iteratorISI_EEEEENSH_IJSG_SG_SG_EEES9_SI_JZNS1_25segmented_radix_sort_implINS0_14default_configELb0EPK12hip_bfloat16PSP_PKlPlN2at6native12_GLOBAL__N_18offset_tEEE10hipError_tPvRmT1_PNSt15iterator_traitsIS13_E10value_typeET2_T3_PNS14_IS19_E10value_typeET4_jRbjT5_S1F_jjP12ihipStream_tbEUljE_ZNSN_ISO_Lb0ESR_SS_SU_SV_SZ_EES10_S11_S12_S13_S17_S18_S19_S1C_S1D_jS1E_jS1F_S1F_jjS1H_bEUljE0_EEES10_S11_S12_S19_S1D_S1F_T6_T7_T9_mT8_S1H_bDpT10_ENKUlT_T0_E_clISt17integral_constantIbLb1EES1U_IbLb0EEEEDaS1Q_S1R_EUlS1Q_E_NS1_11comp_targetILNS1_3genE2ELNS1_11target_archE906ELNS1_3gpuE6ELNS1_3repE0EEENS1_30default_config_static_selectorELNS0_4arch9wavefront6targetE0EEEvS13_,"axG",@progbits,_ZN7rocprim17ROCPRIM_400000_NS6detail17trampoline_kernelINS0_13select_configILj256ELj13ELNS0_17block_load_methodE3ELS4_3ELS4_3ELNS0_20block_scan_algorithmE0ELj4294967295EEENS1_25partition_config_selectorILNS1_17partition_subalgoE4EjNS0_10empty_typeEbEEZZNS1_14partition_implILS8_4ELb0ES6_15HIP_vector_typeIjLj2EENS0_17counting_iteratorIjlEEPS9_SG_NS0_5tupleIJPjSI_NS0_16reverse_iteratorISI_EEEEENSH_IJSG_SG_SG_EEES9_SI_JZNS1_25segmented_radix_sort_implINS0_14default_configELb0EPK12hip_bfloat16PSP_PKlPlN2at6native12_GLOBAL__N_18offset_tEEE10hipError_tPvRmT1_PNSt15iterator_traitsIS13_E10value_typeET2_T3_PNS14_IS19_E10value_typeET4_jRbjT5_S1F_jjP12ihipStream_tbEUljE_ZNSN_ISO_Lb0ESR_SS_SU_SV_SZ_EES10_S11_S12_S13_S17_S18_S19_S1C_S1D_jS1E_jS1F_S1F_jjS1H_bEUljE0_EEES10_S11_S12_S19_S1D_S1F_T6_T7_T9_mT8_S1H_bDpT10_ENKUlT_T0_E_clISt17integral_constantIbLb1EES1U_IbLb0EEEEDaS1Q_S1R_EUlS1Q_E_NS1_11comp_targetILNS1_3genE2ELNS1_11target_archE906ELNS1_3gpuE6ELNS1_3repE0EEENS1_30default_config_static_selectorELNS0_4arch9wavefront6targetE0EEEvS13_,comdat
.Lfunc_end2005:
	.size	_ZN7rocprim17ROCPRIM_400000_NS6detail17trampoline_kernelINS0_13select_configILj256ELj13ELNS0_17block_load_methodE3ELS4_3ELS4_3ELNS0_20block_scan_algorithmE0ELj4294967295EEENS1_25partition_config_selectorILNS1_17partition_subalgoE4EjNS0_10empty_typeEbEEZZNS1_14partition_implILS8_4ELb0ES6_15HIP_vector_typeIjLj2EENS0_17counting_iteratorIjlEEPS9_SG_NS0_5tupleIJPjSI_NS0_16reverse_iteratorISI_EEEEENSH_IJSG_SG_SG_EEES9_SI_JZNS1_25segmented_radix_sort_implINS0_14default_configELb0EPK12hip_bfloat16PSP_PKlPlN2at6native12_GLOBAL__N_18offset_tEEE10hipError_tPvRmT1_PNSt15iterator_traitsIS13_E10value_typeET2_T3_PNS14_IS19_E10value_typeET4_jRbjT5_S1F_jjP12ihipStream_tbEUljE_ZNSN_ISO_Lb0ESR_SS_SU_SV_SZ_EES10_S11_S12_S13_S17_S18_S19_S1C_S1D_jS1E_jS1F_S1F_jjS1H_bEUljE0_EEES10_S11_S12_S19_S1D_S1F_T6_T7_T9_mT8_S1H_bDpT10_ENKUlT_T0_E_clISt17integral_constantIbLb1EES1U_IbLb0EEEEDaS1Q_S1R_EUlS1Q_E_NS1_11comp_targetILNS1_3genE2ELNS1_11target_archE906ELNS1_3gpuE6ELNS1_3repE0EEENS1_30default_config_static_selectorELNS0_4arch9wavefront6targetE0EEEvS13_, .Lfunc_end2005-_ZN7rocprim17ROCPRIM_400000_NS6detail17trampoline_kernelINS0_13select_configILj256ELj13ELNS0_17block_load_methodE3ELS4_3ELS4_3ELNS0_20block_scan_algorithmE0ELj4294967295EEENS1_25partition_config_selectorILNS1_17partition_subalgoE4EjNS0_10empty_typeEbEEZZNS1_14partition_implILS8_4ELb0ES6_15HIP_vector_typeIjLj2EENS0_17counting_iteratorIjlEEPS9_SG_NS0_5tupleIJPjSI_NS0_16reverse_iteratorISI_EEEEENSH_IJSG_SG_SG_EEES9_SI_JZNS1_25segmented_radix_sort_implINS0_14default_configELb0EPK12hip_bfloat16PSP_PKlPlN2at6native12_GLOBAL__N_18offset_tEEE10hipError_tPvRmT1_PNSt15iterator_traitsIS13_E10value_typeET2_T3_PNS14_IS19_E10value_typeET4_jRbjT5_S1F_jjP12ihipStream_tbEUljE_ZNSN_ISO_Lb0ESR_SS_SU_SV_SZ_EES10_S11_S12_S13_S17_S18_S19_S1C_S1D_jS1E_jS1F_S1F_jjS1H_bEUljE0_EEES10_S11_S12_S19_S1D_S1F_T6_T7_T9_mT8_S1H_bDpT10_ENKUlT_T0_E_clISt17integral_constantIbLb1EES1U_IbLb0EEEEDaS1Q_S1R_EUlS1Q_E_NS1_11comp_targetILNS1_3genE2ELNS1_11target_archE906ELNS1_3gpuE6ELNS1_3repE0EEENS1_30default_config_static_selectorELNS0_4arch9wavefront6targetE0EEEvS13_
                                        ; -- End function
	.set _ZN7rocprim17ROCPRIM_400000_NS6detail17trampoline_kernelINS0_13select_configILj256ELj13ELNS0_17block_load_methodE3ELS4_3ELS4_3ELNS0_20block_scan_algorithmE0ELj4294967295EEENS1_25partition_config_selectorILNS1_17partition_subalgoE4EjNS0_10empty_typeEbEEZZNS1_14partition_implILS8_4ELb0ES6_15HIP_vector_typeIjLj2EENS0_17counting_iteratorIjlEEPS9_SG_NS0_5tupleIJPjSI_NS0_16reverse_iteratorISI_EEEEENSH_IJSG_SG_SG_EEES9_SI_JZNS1_25segmented_radix_sort_implINS0_14default_configELb0EPK12hip_bfloat16PSP_PKlPlN2at6native12_GLOBAL__N_18offset_tEEE10hipError_tPvRmT1_PNSt15iterator_traitsIS13_E10value_typeET2_T3_PNS14_IS19_E10value_typeET4_jRbjT5_S1F_jjP12ihipStream_tbEUljE_ZNSN_ISO_Lb0ESR_SS_SU_SV_SZ_EES10_S11_S12_S13_S17_S18_S19_S1C_S1D_jS1E_jS1F_S1F_jjS1H_bEUljE0_EEES10_S11_S12_S19_S1D_S1F_T6_T7_T9_mT8_S1H_bDpT10_ENKUlT_T0_E_clISt17integral_constantIbLb1EES1U_IbLb0EEEEDaS1Q_S1R_EUlS1Q_E_NS1_11comp_targetILNS1_3genE2ELNS1_11target_archE906ELNS1_3gpuE6ELNS1_3repE0EEENS1_30default_config_static_selectorELNS0_4arch9wavefront6targetE0EEEvS13_.num_vgpr, 0
	.set _ZN7rocprim17ROCPRIM_400000_NS6detail17trampoline_kernelINS0_13select_configILj256ELj13ELNS0_17block_load_methodE3ELS4_3ELS4_3ELNS0_20block_scan_algorithmE0ELj4294967295EEENS1_25partition_config_selectorILNS1_17partition_subalgoE4EjNS0_10empty_typeEbEEZZNS1_14partition_implILS8_4ELb0ES6_15HIP_vector_typeIjLj2EENS0_17counting_iteratorIjlEEPS9_SG_NS0_5tupleIJPjSI_NS0_16reverse_iteratorISI_EEEEENSH_IJSG_SG_SG_EEES9_SI_JZNS1_25segmented_radix_sort_implINS0_14default_configELb0EPK12hip_bfloat16PSP_PKlPlN2at6native12_GLOBAL__N_18offset_tEEE10hipError_tPvRmT1_PNSt15iterator_traitsIS13_E10value_typeET2_T3_PNS14_IS19_E10value_typeET4_jRbjT5_S1F_jjP12ihipStream_tbEUljE_ZNSN_ISO_Lb0ESR_SS_SU_SV_SZ_EES10_S11_S12_S13_S17_S18_S19_S1C_S1D_jS1E_jS1F_S1F_jjS1H_bEUljE0_EEES10_S11_S12_S19_S1D_S1F_T6_T7_T9_mT8_S1H_bDpT10_ENKUlT_T0_E_clISt17integral_constantIbLb1EES1U_IbLb0EEEEDaS1Q_S1R_EUlS1Q_E_NS1_11comp_targetILNS1_3genE2ELNS1_11target_archE906ELNS1_3gpuE6ELNS1_3repE0EEENS1_30default_config_static_selectorELNS0_4arch9wavefront6targetE0EEEvS13_.num_agpr, 0
	.set _ZN7rocprim17ROCPRIM_400000_NS6detail17trampoline_kernelINS0_13select_configILj256ELj13ELNS0_17block_load_methodE3ELS4_3ELS4_3ELNS0_20block_scan_algorithmE0ELj4294967295EEENS1_25partition_config_selectorILNS1_17partition_subalgoE4EjNS0_10empty_typeEbEEZZNS1_14partition_implILS8_4ELb0ES6_15HIP_vector_typeIjLj2EENS0_17counting_iteratorIjlEEPS9_SG_NS0_5tupleIJPjSI_NS0_16reverse_iteratorISI_EEEEENSH_IJSG_SG_SG_EEES9_SI_JZNS1_25segmented_radix_sort_implINS0_14default_configELb0EPK12hip_bfloat16PSP_PKlPlN2at6native12_GLOBAL__N_18offset_tEEE10hipError_tPvRmT1_PNSt15iterator_traitsIS13_E10value_typeET2_T3_PNS14_IS19_E10value_typeET4_jRbjT5_S1F_jjP12ihipStream_tbEUljE_ZNSN_ISO_Lb0ESR_SS_SU_SV_SZ_EES10_S11_S12_S13_S17_S18_S19_S1C_S1D_jS1E_jS1F_S1F_jjS1H_bEUljE0_EEES10_S11_S12_S19_S1D_S1F_T6_T7_T9_mT8_S1H_bDpT10_ENKUlT_T0_E_clISt17integral_constantIbLb1EES1U_IbLb0EEEEDaS1Q_S1R_EUlS1Q_E_NS1_11comp_targetILNS1_3genE2ELNS1_11target_archE906ELNS1_3gpuE6ELNS1_3repE0EEENS1_30default_config_static_selectorELNS0_4arch9wavefront6targetE0EEEvS13_.numbered_sgpr, 0
	.set _ZN7rocprim17ROCPRIM_400000_NS6detail17trampoline_kernelINS0_13select_configILj256ELj13ELNS0_17block_load_methodE3ELS4_3ELS4_3ELNS0_20block_scan_algorithmE0ELj4294967295EEENS1_25partition_config_selectorILNS1_17partition_subalgoE4EjNS0_10empty_typeEbEEZZNS1_14partition_implILS8_4ELb0ES6_15HIP_vector_typeIjLj2EENS0_17counting_iteratorIjlEEPS9_SG_NS0_5tupleIJPjSI_NS0_16reverse_iteratorISI_EEEEENSH_IJSG_SG_SG_EEES9_SI_JZNS1_25segmented_radix_sort_implINS0_14default_configELb0EPK12hip_bfloat16PSP_PKlPlN2at6native12_GLOBAL__N_18offset_tEEE10hipError_tPvRmT1_PNSt15iterator_traitsIS13_E10value_typeET2_T3_PNS14_IS19_E10value_typeET4_jRbjT5_S1F_jjP12ihipStream_tbEUljE_ZNSN_ISO_Lb0ESR_SS_SU_SV_SZ_EES10_S11_S12_S13_S17_S18_S19_S1C_S1D_jS1E_jS1F_S1F_jjS1H_bEUljE0_EEES10_S11_S12_S19_S1D_S1F_T6_T7_T9_mT8_S1H_bDpT10_ENKUlT_T0_E_clISt17integral_constantIbLb1EES1U_IbLb0EEEEDaS1Q_S1R_EUlS1Q_E_NS1_11comp_targetILNS1_3genE2ELNS1_11target_archE906ELNS1_3gpuE6ELNS1_3repE0EEENS1_30default_config_static_selectorELNS0_4arch9wavefront6targetE0EEEvS13_.num_named_barrier, 0
	.set _ZN7rocprim17ROCPRIM_400000_NS6detail17trampoline_kernelINS0_13select_configILj256ELj13ELNS0_17block_load_methodE3ELS4_3ELS4_3ELNS0_20block_scan_algorithmE0ELj4294967295EEENS1_25partition_config_selectorILNS1_17partition_subalgoE4EjNS0_10empty_typeEbEEZZNS1_14partition_implILS8_4ELb0ES6_15HIP_vector_typeIjLj2EENS0_17counting_iteratorIjlEEPS9_SG_NS0_5tupleIJPjSI_NS0_16reverse_iteratorISI_EEEEENSH_IJSG_SG_SG_EEES9_SI_JZNS1_25segmented_radix_sort_implINS0_14default_configELb0EPK12hip_bfloat16PSP_PKlPlN2at6native12_GLOBAL__N_18offset_tEEE10hipError_tPvRmT1_PNSt15iterator_traitsIS13_E10value_typeET2_T3_PNS14_IS19_E10value_typeET4_jRbjT5_S1F_jjP12ihipStream_tbEUljE_ZNSN_ISO_Lb0ESR_SS_SU_SV_SZ_EES10_S11_S12_S13_S17_S18_S19_S1C_S1D_jS1E_jS1F_S1F_jjS1H_bEUljE0_EEES10_S11_S12_S19_S1D_S1F_T6_T7_T9_mT8_S1H_bDpT10_ENKUlT_T0_E_clISt17integral_constantIbLb1EES1U_IbLb0EEEEDaS1Q_S1R_EUlS1Q_E_NS1_11comp_targetILNS1_3genE2ELNS1_11target_archE906ELNS1_3gpuE6ELNS1_3repE0EEENS1_30default_config_static_selectorELNS0_4arch9wavefront6targetE0EEEvS13_.private_seg_size, 0
	.set _ZN7rocprim17ROCPRIM_400000_NS6detail17trampoline_kernelINS0_13select_configILj256ELj13ELNS0_17block_load_methodE3ELS4_3ELS4_3ELNS0_20block_scan_algorithmE0ELj4294967295EEENS1_25partition_config_selectorILNS1_17partition_subalgoE4EjNS0_10empty_typeEbEEZZNS1_14partition_implILS8_4ELb0ES6_15HIP_vector_typeIjLj2EENS0_17counting_iteratorIjlEEPS9_SG_NS0_5tupleIJPjSI_NS0_16reverse_iteratorISI_EEEEENSH_IJSG_SG_SG_EEES9_SI_JZNS1_25segmented_radix_sort_implINS0_14default_configELb0EPK12hip_bfloat16PSP_PKlPlN2at6native12_GLOBAL__N_18offset_tEEE10hipError_tPvRmT1_PNSt15iterator_traitsIS13_E10value_typeET2_T3_PNS14_IS19_E10value_typeET4_jRbjT5_S1F_jjP12ihipStream_tbEUljE_ZNSN_ISO_Lb0ESR_SS_SU_SV_SZ_EES10_S11_S12_S13_S17_S18_S19_S1C_S1D_jS1E_jS1F_S1F_jjS1H_bEUljE0_EEES10_S11_S12_S19_S1D_S1F_T6_T7_T9_mT8_S1H_bDpT10_ENKUlT_T0_E_clISt17integral_constantIbLb1EES1U_IbLb0EEEEDaS1Q_S1R_EUlS1Q_E_NS1_11comp_targetILNS1_3genE2ELNS1_11target_archE906ELNS1_3gpuE6ELNS1_3repE0EEENS1_30default_config_static_selectorELNS0_4arch9wavefront6targetE0EEEvS13_.uses_vcc, 0
	.set _ZN7rocprim17ROCPRIM_400000_NS6detail17trampoline_kernelINS0_13select_configILj256ELj13ELNS0_17block_load_methodE3ELS4_3ELS4_3ELNS0_20block_scan_algorithmE0ELj4294967295EEENS1_25partition_config_selectorILNS1_17partition_subalgoE4EjNS0_10empty_typeEbEEZZNS1_14partition_implILS8_4ELb0ES6_15HIP_vector_typeIjLj2EENS0_17counting_iteratorIjlEEPS9_SG_NS0_5tupleIJPjSI_NS0_16reverse_iteratorISI_EEEEENSH_IJSG_SG_SG_EEES9_SI_JZNS1_25segmented_radix_sort_implINS0_14default_configELb0EPK12hip_bfloat16PSP_PKlPlN2at6native12_GLOBAL__N_18offset_tEEE10hipError_tPvRmT1_PNSt15iterator_traitsIS13_E10value_typeET2_T3_PNS14_IS19_E10value_typeET4_jRbjT5_S1F_jjP12ihipStream_tbEUljE_ZNSN_ISO_Lb0ESR_SS_SU_SV_SZ_EES10_S11_S12_S13_S17_S18_S19_S1C_S1D_jS1E_jS1F_S1F_jjS1H_bEUljE0_EEES10_S11_S12_S19_S1D_S1F_T6_T7_T9_mT8_S1H_bDpT10_ENKUlT_T0_E_clISt17integral_constantIbLb1EES1U_IbLb0EEEEDaS1Q_S1R_EUlS1Q_E_NS1_11comp_targetILNS1_3genE2ELNS1_11target_archE906ELNS1_3gpuE6ELNS1_3repE0EEENS1_30default_config_static_selectorELNS0_4arch9wavefront6targetE0EEEvS13_.uses_flat_scratch, 0
	.set _ZN7rocprim17ROCPRIM_400000_NS6detail17trampoline_kernelINS0_13select_configILj256ELj13ELNS0_17block_load_methodE3ELS4_3ELS4_3ELNS0_20block_scan_algorithmE0ELj4294967295EEENS1_25partition_config_selectorILNS1_17partition_subalgoE4EjNS0_10empty_typeEbEEZZNS1_14partition_implILS8_4ELb0ES6_15HIP_vector_typeIjLj2EENS0_17counting_iteratorIjlEEPS9_SG_NS0_5tupleIJPjSI_NS0_16reverse_iteratorISI_EEEEENSH_IJSG_SG_SG_EEES9_SI_JZNS1_25segmented_radix_sort_implINS0_14default_configELb0EPK12hip_bfloat16PSP_PKlPlN2at6native12_GLOBAL__N_18offset_tEEE10hipError_tPvRmT1_PNSt15iterator_traitsIS13_E10value_typeET2_T3_PNS14_IS19_E10value_typeET4_jRbjT5_S1F_jjP12ihipStream_tbEUljE_ZNSN_ISO_Lb0ESR_SS_SU_SV_SZ_EES10_S11_S12_S13_S17_S18_S19_S1C_S1D_jS1E_jS1F_S1F_jjS1H_bEUljE0_EEES10_S11_S12_S19_S1D_S1F_T6_T7_T9_mT8_S1H_bDpT10_ENKUlT_T0_E_clISt17integral_constantIbLb1EES1U_IbLb0EEEEDaS1Q_S1R_EUlS1Q_E_NS1_11comp_targetILNS1_3genE2ELNS1_11target_archE906ELNS1_3gpuE6ELNS1_3repE0EEENS1_30default_config_static_selectorELNS0_4arch9wavefront6targetE0EEEvS13_.has_dyn_sized_stack, 0
	.set _ZN7rocprim17ROCPRIM_400000_NS6detail17trampoline_kernelINS0_13select_configILj256ELj13ELNS0_17block_load_methodE3ELS4_3ELS4_3ELNS0_20block_scan_algorithmE0ELj4294967295EEENS1_25partition_config_selectorILNS1_17partition_subalgoE4EjNS0_10empty_typeEbEEZZNS1_14partition_implILS8_4ELb0ES6_15HIP_vector_typeIjLj2EENS0_17counting_iteratorIjlEEPS9_SG_NS0_5tupleIJPjSI_NS0_16reverse_iteratorISI_EEEEENSH_IJSG_SG_SG_EEES9_SI_JZNS1_25segmented_radix_sort_implINS0_14default_configELb0EPK12hip_bfloat16PSP_PKlPlN2at6native12_GLOBAL__N_18offset_tEEE10hipError_tPvRmT1_PNSt15iterator_traitsIS13_E10value_typeET2_T3_PNS14_IS19_E10value_typeET4_jRbjT5_S1F_jjP12ihipStream_tbEUljE_ZNSN_ISO_Lb0ESR_SS_SU_SV_SZ_EES10_S11_S12_S13_S17_S18_S19_S1C_S1D_jS1E_jS1F_S1F_jjS1H_bEUljE0_EEES10_S11_S12_S19_S1D_S1F_T6_T7_T9_mT8_S1H_bDpT10_ENKUlT_T0_E_clISt17integral_constantIbLb1EES1U_IbLb0EEEEDaS1Q_S1R_EUlS1Q_E_NS1_11comp_targetILNS1_3genE2ELNS1_11target_archE906ELNS1_3gpuE6ELNS1_3repE0EEENS1_30default_config_static_selectorELNS0_4arch9wavefront6targetE0EEEvS13_.has_recursion, 0
	.set _ZN7rocprim17ROCPRIM_400000_NS6detail17trampoline_kernelINS0_13select_configILj256ELj13ELNS0_17block_load_methodE3ELS4_3ELS4_3ELNS0_20block_scan_algorithmE0ELj4294967295EEENS1_25partition_config_selectorILNS1_17partition_subalgoE4EjNS0_10empty_typeEbEEZZNS1_14partition_implILS8_4ELb0ES6_15HIP_vector_typeIjLj2EENS0_17counting_iteratorIjlEEPS9_SG_NS0_5tupleIJPjSI_NS0_16reverse_iteratorISI_EEEEENSH_IJSG_SG_SG_EEES9_SI_JZNS1_25segmented_radix_sort_implINS0_14default_configELb0EPK12hip_bfloat16PSP_PKlPlN2at6native12_GLOBAL__N_18offset_tEEE10hipError_tPvRmT1_PNSt15iterator_traitsIS13_E10value_typeET2_T3_PNS14_IS19_E10value_typeET4_jRbjT5_S1F_jjP12ihipStream_tbEUljE_ZNSN_ISO_Lb0ESR_SS_SU_SV_SZ_EES10_S11_S12_S13_S17_S18_S19_S1C_S1D_jS1E_jS1F_S1F_jjS1H_bEUljE0_EEES10_S11_S12_S19_S1D_S1F_T6_T7_T9_mT8_S1H_bDpT10_ENKUlT_T0_E_clISt17integral_constantIbLb1EES1U_IbLb0EEEEDaS1Q_S1R_EUlS1Q_E_NS1_11comp_targetILNS1_3genE2ELNS1_11target_archE906ELNS1_3gpuE6ELNS1_3repE0EEENS1_30default_config_static_selectorELNS0_4arch9wavefront6targetE0EEEvS13_.has_indirect_call, 0
	.section	.AMDGPU.csdata,"",@progbits
; Kernel info:
; codeLenInByte = 0
; TotalNumSgprs: 0
; NumVgprs: 0
; ScratchSize: 0
; MemoryBound: 0
; FloatMode: 240
; IeeeMode: 1
; LDSByteSize: 0 bytes/workgroup (compile time only)
; SGPRBlocks: 0
; VGPRBlocks: 0
; NumSGPRsForWavesPerEU: 1
; NumVGPRsForWavesPerEU: 1
; Occupancy: 16
; WaveLimiterHint : 0
; COMPUTE_PGM_RSRC2:SCRATCH_EN: 0
; COMPUTE_PGM_RSRC2:USER_SGPR: 2
; COMPUTE_PGM_RSRC2:TRAP_HANDLER: 0
; COMPUTE_PGM_RSRC2:TGID_X_EN: 1
; COMPUTE_PGM_RSRC2:TGID_Y_EN: 0
; COMPUTE_PGM_RSRC2:TGID_Z_EN: 0
; COMPUTE_PGM_RSRC2:TIDIG_COMP_CNT: 0
	.section	.text._ZN7rocprim17ROCPRIM_400000_NS6detail17trampoline_kernelINS0_13select_configILj256ELj13ELNS0_17block_load_methodE3ELS4_3ELS4_3ELNS0_20block_scan_algorithmE0ELj4294967295EEENS1_25partition_config_selectorILNS1_17partition_subalgoE4EjNS0_10empty_typeEbEEZZNS1_14partition_implILS8_4ELb0ES6_15HIP_vector_typeIjLj2EENS0_17counting_iteratorIjlEEPS9_SG_NS0_5tupleIJPjSI_NS0_16reverse_iteratorISI_EEEEENSH_IJSG_SG_SG_EEES9_SI_JZNS1_25segmented_radix_sort_implINS0_14default_configELb0EPK12hip_bfloat16PSP_PKlPlN2at6native12_GLOBAL__N_18offset_tEEE10hipError_tPvRmT1_PNSt15iterator_traitsIS13_E10value_typeET2_T3_PNS14_IS19_E10value_typeET4_jRbjT5_S1F_jjP12ihipStream_tbEUljE_ZNSN_ISO_Lb0ESR_SS_SU_SV_SZ_EES10_S11_S12_S13_S17_S18_S19_S1C_S1D_jS1E_jS1F_S1F_jjS1H_bEUljE0_EEES10_S11_S12_S19_S1D_S1F_T6_T7_T9_mT8_S1H_bDpT10_ENKUlT_T0_E_clISt17integral_constantIbLb1EES1U_IbLb0EEEEDaS1Q_S1R_EUlS1Q_E_NS1_11comp_targetILNS1_3genE10ELNS1_11target_archE1200ELNS1_3gpuE4ELNS1_3repE0EEENS1_30default_config_static_selectorELNS0_4arch9wavefront6targetE0EEEvS13_,"axG",@progbits,_ZN7rocprim17ROCPRIM_400000_NS6detail17trampoline_kernelINS0_13select_configILj256ELj13ELNS0_17block_load_methodE3ELS4_3ELS4_3ELNS0_20block_scan_algorithmE0ELj4294967295EEENS1_25partition_config_selectorILNS1_17partition_subalgoE4EjNS0_10empty_typeEbEEZZNS1_14partition_implILS8_4ELb0ES6_15HIP_vector_typeIjLj2EENS0_17counting_iteratorIjlEEPS9_SG_NS0_5tupleIJPjSI_NS0_16reverse_iteratorISI_EEEEENSH_IJSG_SG_SG_EEES9_SI_JZNS1_25segmented_radix_sort_implINS0_14default_configELb0EPK12hip_bfloat16PSP_PKlPlN2at6native12_GLOBAL__N_18offset_tEEE10hipError_tPvRmT1_PNSt15iterator_traitsIS13_E10value_typeET2_T3_PNS14_IS19_E10value_typeET4_jRbjT5_S1F_jjP12ihipStream_tbEUljE_ZNSN_ISO_Lb0ESR_SS_SU_SV_SZ_EES10_S11_S12_S13_S17_S18_S19_S1C_S1D_jS1E_jS1F_S1F_jjS1H_bEUljE0_EEES10_S11_S12_S19_S1D_S1F_T6_T7_T9_mT8_S1H_bDpT10_ENKUlT_T0_E_clISt17integral_constantIbLb1EES1U_IbLb0EEEEDaS1Q_S1R_EUlS1Q_E_NS1_11comp_targetILNS1_3genE10ELNS1_11target_archE1200ELNS1_3gpuE4ELNS1_3repE0EEENS1_30default_config_static_selectorELNS0_4arch9wavefront6targetE0EEEvS13_,comdat
	.globl	_ZN7rocprim17ROCPRIM_400000_NS6detail17trampoline_kernelINS0_13select_configILj256ELj13ELNS0_17block_load_methodE3ELS4_3ELS4_3ELNS0_20block_scan_algorithmE0ELj4294967295EEENS1_25partition_config_selectorILNS1_17partition_subalgoE4EjNS0_10empty_typeEbEEZZNS1_14partition_implILS8_4ELb0ES6_15HIP_vector_typeIjLj2EENS0_17counting_iteratorIjlEEPS9_SG_NS0_5tupleIJPjSI_NS0_16reverse_iteratorISI_EEEEENSH_IJSG_SG_SG_EEES9_SI_JZNS1_25segmented_radix_sort_implINS0_14default_configELb0EPK12hip_bfloat16PSP_PKlPlN2at6native12_GLOBAL__N_18offset_tEEE10hipError_tPvRmT1_PNSt15iterator_traitsIS13_E10value_typeET2_T3_PNS14_IS19_E10value_typeET4_jRbjT5_S1F_jjP12ihipStream_tbEUljE_ZNSN_ISO_Lb0ESR_SS_SU_SV_SZ_EES10_S11_S12_S13_S17_S18_S19_S1C_S1D_jS1E_jS1F_S1F_jjS1H_bEUljE0_EEES10_S11_S12_S19_S1D_S1F_T6_T7_T9_mT8_S1H_bDpT10_ENKUlT_T0_E_clISt17integral_constantIbLb1EES1U_IbLb0EEEEDaS1Q_S1R_EUlS1Q_E_NS1_11comp_targetILNS1_3genE10ELNS1_11target_archE1200ELNS1_3gpuE4ELNS1_3repE0EEENS1_30default_config_static_selectorELNS0_4arch9wavefront6targetE0EEEvS13_ ; -- Begin function _ZN7rocprim17ROCPRIM_400000_NS6detail17trampoline_kernelINS0_13select_configILj256ELj13ELNS0_17block_load_methodE3ELS4_3ELS4_3ELNS0_20block_scan_algorithmE0ELj4294967295EEENS1_25partition_config_selectorILNS1_17partition_subalgoE4EjNS0_10empty_typeEbEEZZNS1_14partition_implILS8_4ELb0ES6_15HIP_vector_typeIjLj2EENS0_17counting_iteratorIjlEEPS9_SG_NS0_5tupleIJPjSI_NS0_16reverse_iteratorISI_EEEEENSH_IJSG_SG_SG_EEES9_SI_JZNS1_25segmented_radix_sort_implINS0_14default_configELb0EPK12hip_bfloat16PSP_PKlPlN2at6native12_GLOBAL__N_18offset_tEEE10hipError_tPvRmT1_PNSt15iterator_traitsIS13_E10value_typeET2_T3_PNS14_IS19_E10value_typeET4_jRbjT5_S1F_jjP12ihipStream_tbEUljE_ZNSN_ISO_Lb0ESR_SS_SU_SV_SZ_EES10_S11_S12_S13_S17_S18_S19_S1C_S1D_jS1E_jS1F_S1F_jjS1H_bEUljE0_EEES10_S11_S12_S19_S1D_S1F_T6_T7_T9_mT8_S1H_bDpT10_ENKUlT_T0_E_clISt17integral_constantIbLb1EES1U_IbLb0EEEEDaS1Q_S1R_EUlS1Q_E_NS1_11comp_targetILNS1_3genE10ELNS1_11target_archE1200ELNS1_3gpuE4ELNS1_3repE0EEENS1_30default_config_static_selectorELNS0_4arch9wavefront6targetE0EEEvS13_
	.p2align	8
	.type	_ZN7rocprim17ROCPRIM_400000_NS6detail17trampoline_kernelINS0_13select_configILj256ELj13ELNS0_17block_load_methodE3ELS4_3ELS4_3ELNS0_20block_scan_algorithmE0ELj4294967295EEENS1_25partition_config_selectorILNS1_17partition_subalgoE4EjNS0_10empty_typeEbEEZZNS1_14partition_implILS8_4ELb0ES6_15HIP_vector_typeIjLj2EENS0_17counting_iteratorIjlEEPS9_SG_NS0_5tupleIJPjSI_NS0_16reverse_iteratorISI_EEEEENSH_IJSG_SG_SG_EEES9_SI_JZNS1_25segmented_radix_sort_implINS0_14default_configELb0EPK12hip_bfloat16PSP_PKlPlN2at6native12_GLOBAL__N_18offset_tEEE10hipError_tPvRmT1_PNSt15iterator_traitsIS13_E10value_typeET2_T3_PNS14_IS19_E10value_typeET4_jRbjT5_S1F_jjP12ihipStream_tbEUljE_ZNSN_ISO_Lb0ESR_SS_SU_SV_SZ_EES10_S11_S12_S13_S17_S18_S19_S1C_S1D_jS1E_jS1F_S1F_jjS1H_bEUljE0_EEES10_S11_S12_S19_S1D_S1F_T6_T7_T9_mT8_S1H_bDpT10_ENKUlT_T0_E_clISt17integral_constantIbLb1EES1U_IbLb0EEEEDaS1Q_S1R_EUlS1Q_E_NS1_11comp_targetILNS1_3genE10ELNS1_11target_archE1200ELNS1_3gpuE4ELNS1_3repE0EEENS1_30default_config_static_selectorELNS0_4arch9wavefront6targetE0EEEvS13_,@function
_ZN7rocprim17ROCPRIM_400000_NS6detail17trampoline_kernelINS0_13select_configILj256ELj13ELNS0_17block_load_methodE3ELS4_3ELS4_3ELNS0_20block_scan_algorithmE0ELj4294967295EEENS1_25partition_config_selectorILNS1_17partition_subalgoE4EjNS0_10empty_typeEbEEZZNS1_14partition_implILS8_4ELb0ES6_15HIP_vector_typeIjLj2EENS0_17counting_iteratorIjlEEPS9_SG_NS0_5tupleIJPjSI_NS0_16reverse_iteratorISI_EEEEENSH_IJSG_SG_SG_EEES9_SI_JZNS1_25segmented_radix_sort_implINS0_14default_configELb0EPK12hip_bfloat16PSP_PKlPlN2at6native12_GLOBAL__N_18offset_tEEE10hipError_tPvRmT1_PNSt15iterator_traitsIS13_E10value_typeET2_T3_PNS14_IS19_E10value_typeET4_jRbjT5_S1F_jjP12ihipStream_tbEUljE_ZNSN_ISO_Lb0ESR_SS_SU_SV_SZ_EES10_S11_S12_S13_S17_S18_S19_S1C_S1D_jS1E_jS1F_S1F_jjS1H_bEUljE0_EEES10_S11_S12_S19_S1D_S1F_T6_T7_T9_mT8_S1H_bDpT10_ENKUlT_T0_E_clISt17integral_constantIbLb1EES1U_IbLb0EEEEDaS1Q_S1R_EUlS1Q_E_NS1_11comp_targetILNS1_3genE10ELNS1_11target_archE1200ELNS1_3gpuE4ELNS1_3repE0EEENS1_30default_config_static_selectorELNS0_4arch9wavefront6targetE0EEEvS13_: ; @_ZN7rocprim17ROCPRIM_400000_NS6detail17trampoline_kernelINS0_13select_configILj256ELj13ELNS0_17block_load_methodE3ELS4_3ELS4_3ELNS0_20block_scan_algorithmE0ELj4294967295EEENS1_25partition_config_selectorILNS1_17partition_subalgoE4EjNS0_10empty_typeEbEEZZNS1_14partition_implILS8_4ELb0ES6_15HIP_vector_typeIjLj2EENS0_17counting_iteratorIjlEEPS9_SG_NS0_5tupleIJPjSI_NS0_16reverse_iteratorISI_EEEEENSH_IJSG_SG_SG_EEES9_SI_JZNS1_25segmented_radix_sort_implINS0_14default_configELb0EPK12hip_bfloat16PSP_PKlPlN2at6native12_GLOBAL__N_18offset_tEEE10hipError_tPvRmT1_PNSt15iterator_traitsIS13_E10value_typeET2_T3_PNS14_IS19_E10value_typeET4_jRbjT5_S1F_jjP12ihipStream_tbEUljE_ZNSN_ISO_Lb0ESR_SS_SU_SV_SZ_EES10_S11_S12_S13_S17_S18_S19_S1C_S1D_jS1E_jS1F_S1F_jjS1H_bEUljE0_EEES10_S11_S12_S19_S1D_S1F_T6_T7_T9_mT8_S1H_bDpT10_ENKUlT_T0_E_clISt17integral_constantIbLb1EES1U_IbLb0EEEEDaS1Q_S1R_EUlS1Q_E_NS1_11comp_targetILNS1_3genE10ELNS1_11target_archE1200ELNS1_3gpuE4ELNS1_3repE0EEENS1_30default_config_static_selectorELNS0_4arch9wavefront6targetE0EEEvS13_
; %bb.0:
	s_endpgm
	.section	.rodata,"a",@progbits
	.p2align	6, 0x0
	.amdhsa_kernel _ZN7rocprim17ROCPRIM_400000_NS6detail17trampoline_kernelINS0_13select_configILj256ELj13ELNS0_17block_load_methodE3ELS4_3ELS4_3ELNS0_20block_scan_algorithmE0ELj4294967295EEENS1_25partition_config_selectorILNS1_17partition_subalgoE4EjNS0_10empty_typeEbEEZZNS1_14partition_implILS8_4ELb0ES6_15HIP_vector_typeIjLj2EENS0_17counting_iteratorIjlEEPS9_SG_NS0_5tupleIJPjSI_NS0_16reverse_iteratorISI_EEEEENSH_IJSG_SG_SG_EEES9_SI_JZNS1_25segmented_radix_sort_implINS0_14default_configELb0EPK12hip_bfloat16PSP_PKlPlN2at6native12_GLOBAL__N_18offset_tEEE10hipError_tPvRmT1_PNSt15iterator_traitsIS13_E10value_typeET2_T3_PNS14_IS19_E10value_typeET4_jRbjT5_S1F_jjP12ihipStream_tbEUljE_ZNSN_ISO_Lb0ESR_SS_SU_SV_SZ_EES10_S11_S12_S13_S17_S18_S19_S1C_S1D_jS1E_jS1F_S1F_jjS1H_bEUljE0_EEES10_S11_S12_S19_S1D_S1F_T6_T7_T9_mT8_S1H_bDpT10_ENKUlT_T0_E_clISt17integral_constantIbLb1EES1U_IbLb0EEEEDaS1Q_S1R_EUlS1Q_E_NS1_11comp_targetILNS1_3genE10ELNS1_11target_archE1200ELNS1_3gpuE4ELNS1_3repE0EEENS1_30default_config_static_selectorELNS0_4arch9wavefront6targetE0EEEvS13_
		.amdhsa_group_segment_fixed_size 0
		.amdhsa_private_segment_fixed_size 0
		.amdhsa_kernarg_size 176
		.amdhsa_user_sgpr_count 2
		.amdhsa_user_sgpr_dispatch_ptr 0
		.amdhsa_user_sgpr_queue_ptr 0
		.amdhsa_user_sgpr_kernarg_segment_ptr 1
		.amdhsa_user_sgpr_dispatch_id 0
		.amdhsa_user_sgpr_private_segment_size 0
		.amdhsa_wavefront_size32 1
		.amdhsa_uses_dynamic_stack 0
		.amdhsa_enable_private_segment 0
		.amdhsa_system_sgpr_workgroup_id_x 1
		.amdhsa_system_sgpr_workgroup_id_y 0
		.amdhsa_system_sgpr_workgroup_id_z 0
		.amdhsa_system_sgpr_workgroup_info 0
		.amdhsa_system_vgpr_workitem_id 0
		.amdhsa_next_free_vgpr 1
		.amdhsa_next_free_sgpr 1
		.amdhsa_reserve_vcc 0
		.amdhsa_float_round_mode_32 0
		.amdhsa_float_round_mode_16_64 0
		.amdhsa_float_denorm_mode_32 3
		.amdhsa_float_denorm_mode_16_64 3
		.amdhsa_fp16_overflow 0
		.amdhsa_workgroup_processor_mode 1
		.amdhsa_memory_ordered 1
		.amdhsa_forward_progress 1
		.amdhsa_inst_pref_size 1
		.amdhsa_round_robin_scheduling 0
		.amdhsa_exception_fp_ieee_invalid_op 0
		.amdhsa_exception_fp_denorm_src 0
		.amdhsa_exception_fp_ieee_div_zero 0
		.amdhsa_exception_fp_ieee_overflow 0
		.amdhsa_exception_fp_ieee_underflow 0
		.amdhsa_exception_fp_ieee_inexact 0
		.amdhsa_exception_int_div_zero 0
	.end_amdhsa_kernel
	.section	.text._ZN7rocprim17ROCPRIM_400000_NS6detail17trampoline_kernelINS0_13select_configILj256ELj13ELNS0_17block_load_methodE3ELS4_3ELS4_3ELNS0_20block_scan_algorithmE0ELj4294967295EEENS1_25partition_config_selectorILNS1_17partition_subalgoE4EjNS0_10empty_typeEbEEZZNS1_14partition_implILS8_4ELb0ES6_15HIP_vector_typeIjLj2EENS0_17counting_iteratorIjlEEPS9_SG_NS0_5tupleIJPjSI_NS0_16reverse_iteratorISI_EEEEENSH_IJSG_SG_SG_EEES9_SI_JZNS1_25segmented_radix_sort_implINS0_14default_configELb0EPK12hip_bfloat16PSP_PKlPlN2at6native12_GLOBAL__N_18offset_tEEE10hipError_tPvRmT1_PNSt15iterator_traitsIS13_E10value_typeET2_T3_PNS14_IS19_E10value_typeET4_jRbjT5_S1F_jjP12ihipStream_tbEUljE_ZNSN_ISO_Lb0ESR_SS_SU_SV_SZ_EES10_S11_S12_S13_S17_S18_S19_S1C_S1D_jS1E_jS1F_S1F_jjS1H_bEUljE0_EEES10_S11_S12_S19_S1D_S1F_T6_T7_T9_mT8_S1H_bDpT10_ENKUlT_T0_E_clISt17integral_constantIbLb1EES1U_IbLb0EEEEDaS1Q_S1R_EUlS1Q_E_NS1_11comp_targetILNS1_3genE10ELNS1_11target_archE1200ELNS1_3gpuE4ELNS1_3repE0EEENS1_30default_config_static_selectorELNS0_4arch9wavefront6targetE0EEEvS13_,"axG",@progbits,_ZN7rocprim17ROCPRIM_400000_NS6detail17trampoline_kernelINS0_13select_configILj256ELj13ELNS0_17block_load_methodE3ELS4_3ELS4_3ELNS0_20block_scan_algorithmE0ELj4294967295EEENS1_25partition_config_selectorILNS1_17partition_subalgoE4EjNS0_10empty_typeEbEEZZNS1_14partition_implILS8_4ELb0ES6_15HIP_vector_typeIjLj2EENS0_17counting_iteratorIjlEEPS9_SG_NS0_5tupleIJPjSI_NS0_16reverse_iteratorISI_EEEEENSH_IJSG_SG_SG_EEES9_SI_JZNS1_25segmented_radix_sort_implINS0_14default_configELb0EPK12hip_bfloat16PSP_PKlPlN2at6native12_GLOBAL__N_18offset_tEEE10hipError_tPvRmT1_PNSt15iterator_traitsIS13_E10value_typeET2_T3_PNS14_IS19_E10value_typeET4_jRbjT5_S1F_jjP12ihipStream_tbEUljE_ZNSN_ISO_Lb0ESR_SS_SU_SV_SZ_EES10_S11_S12_S13_S17_S18_S19_S1C_S1D_jS1E_jS1F_S1F_jjS1H_bEUljE0_EEES10_S11_S12_S19_S1D_S1F_T6_T7_T9_mT8_S1H_bDpT10_ENKUlT_T0_E_clISt17integral_constantIbLb1EES1U_IbLb0EEEEDaS1Q_S1R_EUlS1Q_E_NS1_11comp_targetILNS1_3genE10ELNS1_11target_archE1200ELNS1_3gpuE4ELNS1_3repE0EEENS1_30default_config_static_selectorELNS0_4arch9wavefront6targetE0EEEvS13_,comdat
.Lfunc_end2006:
	.size	_ZN7rocprim17ROCPRIM_400000_NS6detail17trampoline_kernelINS0_13select_configILj256ELj13ELNS0_17block_load_methodE3ELS4_3ELS4_3ELNS0_20block_scan_algorithmE0ELj4294967295EEENS1_25partition_config_selectorILNS1_17partition_subalgoE4EjNS0_10empty_typeEbEEZZNS1_14partition_implILS8_4ELb0ES6_15HIP_vector_typeIjLj2EENS0_17counting_iteratorIjlEEPS9_SG_NS0_5tupleIJPjSI_NS0_16reverse_iteratorISI_EEEEENSH_IJSG_SG_SG_EEES9_SI_JZNS1_25segmented_radix_sort_implINS0_14default_configELb0EPK12hip_bfloat16PSP_PKlPlN2at6native12_GLOBAL__N_18offset_tEEE10hipError_tPvRmT1_PNSt15iterator_traitsIS13_E10value_typeET2_T3_PNS14_IS19_E10value_typeET4_jRbjT5_S1F_jjP12ihipStream_tbEUljE_ZNSN_ISO_Lb0ESR_SS_SU_SV_SZ_EES10_S11_S12_S13_S17_S18_S19_S1C_S1D_jS1E_jS1F_S1F_jjS1H_bEUljE0_EEES10_S11_S12_S19_S1D_S1F_T6_T7_T9_mT8_S1H_bDpT10_ENKUlT_T0_E_clISt17integral_constantIbLb1EES1U_IbLb0EEEEDaS1Q_S1R_EUlS1Q_E_NS1_11comp_targetILNS1_3genE10ELNS1_11target_archE1200ELNS1_3gpuE4ELNS1_3repE0EEENS1_30default_config_static_selectorELNS0_4arch9wavefront6targetE0EEEvS13_, .Lfunc_end2006-_ZN7rocprim17ROCPRIM_400000_NS6detail17trampoline_kernelINS0_13select_configILj256ELj13ELNS0_17block_load_methodE3ELS4_3ELS4_3ELNS0_20block_scan_algorithmE0ELj4294967295EEENS1_25partition_config_selectorILNS1_17partition_subalgoE4EjNS0_10empty_typeEbEEZZNS1_14partition_implILS8_4ELb0ES6_15HIP_vector_typeIjLj2EENS0_17counting_iteratorIjlEEPS9_SG_NS0_5tupleIJPjSI_NS0_16reverse_iteratorISI_EEEEENSH_IJSG_SG_SG_EEES9_SI_JZNS1_25segmented_radix_sort_implINS0_14default_configELb0EPK12hip_bfloat16PSP_PKlPlN2at6native12_GLOBAL__N_18offset_tEEE10hipError_tPvRmT1_PNSt15iterator_traitsIS13_E10value_typeET2_T3_PNS14_IS19_E10value_typeET4_jRbjT5_S1F_jjP12ihipStream_tbEUljE_ZNSN_ISO_Lb0ESR_SS_SU_SV_SZ_EES10_S11_S12_S13_S17_S18_S19_S1C_S1D_jS1E_jS1F_S1F_jjS1H_bEUljE0_EEES10_S11_S12_S19_S1D_S1F_T6_T7_T9_mT8_S1H_bDpT10_ENKUlT_T0_E_clISt17integral_constantIbLb1EES1U_IbLb0EEEEDaS1Q_S1R_EUlS1Q_E_NS1_11comp_targetILNS1_3genE10ELNS1_11target_archE1200ELNS1_3gpuE4ELNS1_3repE0EEENS1_30default_config_static_selectorELNS0_4arch9wavefront6targetE0EEEvS13_
                                        ; -- End function
	.set _ZN7rocprim17ROCPRIM_400000_NS6detail17trampoline_kernelINS0_13select_configILj256ELj13ELNS0_17block_load_methodE3ELS4_3ELS4_3ELNS0_20block_scan_algorithmE0ELj4294967295EEENS1_25partition_config_selectorILNS1_17partition_subalgoE4EjNS0_10empty_typeEbEEZZNS1_14partition_implILS8_4ELb0ES6_15HIP_vector_typeIjLj2EENS0_17counting_iteratorIjlEEPS9_SG_NS0_5tupleIJPjSI_NS0_16reverse_iteratorISI_EEEEENSH_IJSG_SG_SG_EEES9_SI_JZNS1_25segmented_radix_sort_implINS0_14default_configELb0EPK12hip_bfloat16PSP_PKlPlN2at6native12_GLOBAL__N_18offset_tEEE10hipError_tPvRmT1_PNSt15iterator_traitsIS13_E10value_typeET2_T3_PNS14_IS19_E10value_typeET4_jRbjT5_S1F_jjP12ihipStream_tbEUljE_ZNSN_ISO_Lb0ESR_SS_SU_SV_SZ_EES10_S11_S12_S13_S17_S18_S19_S1C_S1D_jS1E_jS1F_S1F_jjS1H_bEUljE0_EEES10_S11_S12_S19_S1D_S1F_T6_T7_T9_mT8_S1H_bDpT10_ENKUlT_T0_E_clISt17integral_constantIbLb1EES1U_IbLb0EEEEDaS1Q_S1R_EUlS1Q_E_NS1_11comp_targetILNS1_3genE10ELNS1_11target_archE1200ELNS1_3gpuE4ELNS1_3repE0EEENS1_30default_config_static_selectorELNS0_4arch9wavefront6targetE0EEEvS13_.num_vgpr, 0
	.set _ZN7rocprim17ROCPRIM_400000_NS6detail17trampoline_kernelINS0_13select_configILj256ELj13ELNS0_17block_load_methodE3ELS4_3ELS4_3ELNS0_20block_scan_algorithmE0ELj4294967295EEENS1_25partition_config_selectorILNS1_17partition_subalgoE4EjNS0_10empty_typeEbEEZZNS1_14partition_implILS8_4ELb0ES6_15HIP_vector_typeIjLj2EENS0_17counting_iteratorIjlEEPS9_SG_NS0_5tupleIJPjSI_NS0_16reverse_iteratorISI_EEEEENSH_IJSG_SG_SG_EEES9_SI_JZNS1_25segmented_radix_sort_implINS0_14default_configELb0EPK12hip_bfloat16PSP_PKlPlN2at6native12_GLOBAL__N_18offset_tEEE10hipError_tPvRmT1_PNSt15iterator_traitsIS13_E10value_typeET2_T3_PNS14_IS19_E10value_typeET4_jRbjT5_S1F_jjP12ihipStream_tbEUljE_ZNSN_ISO_Lb0ESR_SS_SU_SV_SZ_EES10_S11_S12_S13_S17_S18_S19_S1C_S1D_jS1E_jS1F_S1F_jjS1H_bEUljE0_EEES10_S11_S12_S19_S1D_S1F_T6_T7_T9_mT8_S1H_bDpT10_ENKUlT_T0_E_clISt17integral_constantIbLb1EES1U_IbLb0EEEEDaS1Q_S1R_EUlS1Q_E_NS1_11comp_targetILNS1_3genE10ELNS1_11target_archE1200ELNS1_3gpuE4ELNS1_3repE0EEENS1_30default_config_static_selectorELNS0_4arch9wavefront6targetE0EEEvS13_.num_agpr, 0
	.set _ZN7rocprim17ROCPRIM_400000_NS6detail17trampoline_kernelINS0_13select_configILj256ELj13ELNS0_17block_load_methodE3ELS4_3ELS4_3ELNS0_20block_scan_algorithmE0ELj4294967295EEENS1_25partition_config_selectorILNS1_17partition_subalgoE4EjNS0_10empty_typeEbEEZZNS1_14partition_implILS8_4ELb0ES6_15HIP_vector_typeIjLj2EENS0_17counting_iteratorIjlEEPS9_SG_NS0_5tupleIJPjSI_NS0_16reverse_iteratorISI_EEEEENSH_IJSG_SG_SG_EEES9_SI_JZNS1_25segmented_radix_sort_implINS0_14default_configELb0EPK12hip_bfloat16PSP_PKlPlN2at6native12_GLOBAL__N_18offset_tEEE10hipError_tPvRmT1_PNSt15iterator_traitsIS13_E10value_typeET2_T3_PNS14_IS19_E10value_typeET4_jRbjT5_S1F_jjP12ihipStream_tbEUljE_ZNSN_ISO_Lb0ESR_SS_SU_SV_SZ_EES10_S11_S12_S13_S17_S18_S19_S1C_S1D_jS1E_jS1F_S1F_jjS1H_bEUljE0_EEES10_S11_S12_S19_S1D_S1F_T6_T7_T9_mT8_S1H_bDpT10_ENKUlT_T0_E_clISt17integral_constantIbLb1EES1U_IbLb0EEEEDaS1Q_S1R_EUlS1Q_E_NS1_11comp_targetILNS1_3genE10ELNS1_11target_archE1200ELNS1_3gpuE4ELNS1_3repE0EEENS1_30default_config_static_selectorELNS0_4arch9wavefront6targetE0EEEvS13_.numbered_sgpr, 0
	.set _ZN7rocprim17ROCPRIM_400000_NS6detail17trampoline_kernelINS0_13select_configILj256ELj13ELNS0_17block_load_methodE3ELS4_3ELS4_3ELNS0_20block_scan_algorithmE0ELj4294967295EEENS1_25partition_config_selectorILNS1_17partition_subalgoE4EjNS0_10empty_typeEbEEZZNS1_14partition_implILS8_4ELb0ES6_15HIP_vector_typeIjLj2EENS0_17counting_iteratorIjlEEPS9_SG_NS0_5tupleIJPjSI_NS0_16reverse_iteratorISI_EEEEENSH_IJSG_SG_SG_EEES9_SI_JZNS1_25segmented_radix_sort_implINS0_14default_configELb0EPK12hip_bfloat16PSP_PKlPlN2at6native12_GLOBAL__N_18offset_tEEE10hipError_tPvRmT1_PNSt15iterator_traitsIS13_E10value_typeET2_T3_PNS14_IS19_E10value_typeET4_jRbjT5_S1F_jjP12ihipStream_tbEUljE_ZNSN_ISO_Lb0ESR_SS_SU_SV_SZ_EES10_S11_S12_S13_S17_S18_S19_S1C_S1D_jS1E_jS1F_S1F_jjS1H_bEUljE0_EEES10_S11_S12_S19_S1D_S1F_T6_T7_T9_mT8_S1H_bDpT10_ENKUlT_T0_E_clISt17integral_constantIbLb1EES1U_IbLb0EEEEDaS1Q_S1R_EUlS1Q_E_NS1_11comp_targetILNS1_3genE10ELNS1_11target_archE1200ELNS1_3gpuE4ELNS1_3repE0EEENS1_30default_config_static_selectorELNS0_4arch9wavefront6targetE0EEEvS13_.num_named_barrier, 0
	.set _ZN7rocprim17ROCPRIM_400000_NS6detail17trampoline_kernelINS0_13select_configILj256ELj13ELNS0_17block_load_methodE3ELS4_3ELS4_3ELNS0_20block_scan_algorithmE0ELj4294967295EEENS1_25partition_config_selectorILNS1_17partition_subalgoE4EjNS0_10empty_typeEbEEZZNS1_14partition_implILS8_4ELb0ES6_15HIP_vector_typeIjLj2EENS0_17counting_iteratorIjlEEPS9_SG_NS0_5tupleIJPjSI_NS0_16reverse_iteratorISI_EEEEENSH_IJSG_SG_SG_EEES9_SI_JZNS1_25segmented_radix_sort_implINS0_14default_configELb0EPK12hip_bfloat16PSP_PKlPlN2at6native12_GLOBAL__N_18offset_tEEE10hipError_tPvRmT1_PNSt15iterator_traitsIS13_E10value_typeET2_T3_PNS14_IS19_E10value_typeET4_jRbjT5_S1F_jjP12ihipStream_tbEUljE_ZNSN_ISO_Lb0ESR_SS_SU_SV_SZ_EES10_S11_S12_S13_S17_S18_S19_S1C_S1D_jS1E_jS1F_S1F_jjS1H_bEUljE0_EEES10_S11_S12_S19_S1D_S1F_T6_T7_T9_mT8_S1H_bDpT10_ENKUlT_T0_E_clISt17integral_constantIbLb1EES1U_IbLb0EEEEDaS1Q_S1R_EUlS1Q_E_NS1_11comp_targetILNS1_3genE10ELNS1_11target_archE1200ELNS1_3gpuE4ELNS1_3repE0EEENS1_30default_config_static_selectorELNS0_4arch9wavefront6targetE0EEEvS13_.private_seg_size, 0
	.set _ZN7rocprim17ROCPRIM_400000_NS6detail17trampoline_kernelINS0_13select_configILj256ELj13ELNS0_17block_load_methodE3ELS4_3ELS4_3ELNS0_20block_scan_algorithmE0ELj4294967295EEENS1_25partition_config_selectorILNS1_17partition_subalgoE4EjNS0_10empty_typeEbEEZZNS1_14partition_implILS8_4ELb0ES6_15HIP_vector_typeIjLj2EENS0_17counting_iteratorIjlEEPS9_SG_NS0_5tupleIJPjSI_NS0_16reverse_iteratorISI_EEEEENSH_IJSG_SG_SG_EEES9_SI_JZNS1_25segmented_radix_sort_implINS0_14default_configELb0EPK12hip_bfloat16PSP_PKlPlN2at6native12_GLOBAL__N_18offset_tEEE10hipError_tPvRmT1_PNSt15iterator_traitsIS13_E10value_typeET2_T3_PNS14_IS19_E10value_typeET4_jRbjT5_S1F_jjP12ihipStream_tbEUljE_ZNSN_ISO_Lb0ESR_SS_SU_SV_SZ_EES10_S11_S12_S13_S17_S18_S19_S1C_S1D_jS1E_jS1F_S1F_jjS1H_bEUljE0_EEES10_S11_S12_S19_S1D_S1F_T6_T7_T9_mT8_S1H_bDpT10_ENKUlT_T0_E_clISt17integral_constantIbLb1EES1U_IbLb0EEEEDaS1Q_S1R_EUlS1Q_E_NS1_11comp_targetILNS1_3genE10ELNS1_11target_archE1200ELNS1_3gpuE4ELNS1_3repE0EEENS1_30default_config_static_selectorELNS0_4arch9wavefront6targetE0EEEvS13_.uses_vcc, 0
	.set _ZN7rocprim17ROCPRIM_400000_NS6detail17trampoline_kernelINS0_13select_configILj256ELj13ELNS0_17block_load_methodE3ELS4_3ELS4_3ELNS0_20block_scan_algorithmE0ELj4294967295EEENS1_25partition_config_selectorILNS1_17partition_subalgoE4EjNS0_10empty_typeEbEEZZNS1_14partition_implILS8_4ELb0ES6_15HIP_vector_typeIjLj2EENS0_17counting_iteratorIjlEEPS9_SG_NS0_5tupleIJPjSI_NS0_16reverse_iteratorISI_EEEEENSH_IJSG_SG_SG_EEES9_SI_JZNS1_25segmented_radix_sort_implINS0_14default_configELb0EPK12hip_bfloat16PSP_PKlPlN2at6native12_GLOBAL__N_18offset_tEEE10hipError_tPvRmT1_PNSt15iterator_traitsIS13_E10value_typeET2_T3_PNS14_IS19_E10value_typeET4_jRbjT5_S1F_jjP12ihipStream_tbEUljE_ZNSN_ISO_Lb0ESR_SS_SU_SV_SZ_EES10_S11_S12_S13_S17_S18_S19_S1C_S1D_jS1E_jS1F_S1F_jjS1H_bEUljE0_EEES10_S11_S12_S19_S1D_S1F_T6_T7_T9_mT8_S1H_bDpT10_ENKUlT_T0_E_clISt17integral_constantIbLb1EES1U_IbLb0EEEEDaS1Q_S1R_EUlS1Q_E_NS1_11comp_targetILNS1_3genE10ELNS1_11target_archE1200ELNS1_3gpuE4ELNS1_3repE0EEENS1_30default_config_static_selectorELNS0_4arch9wavefront6targetE0EEEvS13_.uses_flat_scratch, 0
	.set _ZN7rocprim17ROCPRIM_400000_NS6detail17trampoline_kernelINS0_13select_configILj256ELj13ELNS0_17block_load_methodE3ELS4_3ELS4_3ELNS0_20block_scan_algorithmE0ELj4294967295EEENS1_25partition_config_selectorILNS1_17partition_subalgoE4EjNS0_10empty_typeEbEEZZNS1_14partition_implILS8_4ELb0ES6_15HIP_vector_typeIjLj2EENS0_17counting_iteratorIjlEEPS9_SG_NS0_5tupleIJPjSI_NS0_16reverse_iteratorISI_EEEEENSH_IJSG_SG_SG_EEES9_SI_JZNS1_25segmented_radix_sort_implINS0_14default_configELb0EPK12hip_bfloat16PSP_PKlPlN2at6native12_GLOBAL__N_18offset_tEEE10hipError_tPvRmT1_PNSt15iterator_traitsIS13_E10value_typeET2_T3_PNS14_IS19_E10value_typeET4_jRbjT5_S1F_jjP12ihipStream_tbEUljE_ZNSN_ISO_Lb0ESR_SS_SU_SV_SZ_EES10_S11_S12_S13_S17_S18_S19_S1C_S1D_jS1E_jS1F_S1F_jjS1H_bEUljE0_EEES10_S11_S12_S19_S1D_S1F_T6_T7_T9_mT8_S1H_bDpT10_ENKUlT_T0_E_clISt17integral_constantIbLb1EES1U_IbLb0EEEEDaS1Q_S1R_EUlS1Q_E_NS1_11comp_targetILNS1_3genE10ELNS1_11target_archE1200ELNS1_3gpuE4ELNS1_3repE0EEENS1_30default_config_static_selectorELNS0_4arch9wavefront6targetE0EEEvS13_.has_dyn_sized_stack, 0
	.set _ZN7rocprim17ROCPRIM_400000_NS6detail17trampoline_kernelINS0_13select_configILj256ELj13ELNS0_17block_load_methodE3ELS4_3ELS4_3ELNS0_20block_scan_algorithmE0ELj4294967295EEENS1_25partition_config_selectorILNS1_17partition_subalgoE4EjNS0_10empty_typeEbEEZZNS1_14partition_implILS8_4ELb0ES6_15HIP_vector_typeIjLj2EENS0_17counting_iteratorIjlEEPS9_SG_NS0_5tupleIJPjSI_NS0_16reverse_iteratorISI_EEEEENSH_IJSG_SG_SG_EEES9_SI_JZNS1_25segmented_radix_sort_implINS0_14default_configELb0EPK12hip_bfloat16PSP_PKlPlN2at6native12_GLOBAL__N_18offset_tEEE10hipError_tPvRmT1_PNSt15iterator_traitsIS13_E10value_typeET2_T3_PNS14_IS19_E10value_typeET4_jRbjT5_S1F_jjP12ihipStream_tbEUljE_ZNSN_ISO_Lb0ESR_SS_SU_SV_SZ_EES10_S11_S12_S13_S17_S18_S19_S1C_S1D_jS1E_jS1F_S1F_jjS1H_bEUljE0_EEES10_S11_S12_S19_S1D_S1F_T6_T7_T9_mT8_S1H_bDpT10_ENKUlT_T0_E_clISt17integral_constantIbLb1EES1U_IbLb0EEEEDaS1Q_S1R_EUlS1Q_E_NS1_11comp_targetILNS1_3genE10ELNS1_11target_archE1200ELNS1_3gpuE4ELNS1_3repE0EEENS1_30default_config_static_selectorELNS0_4arch9wavefront6targetE0EEEvS13_.has_recursion, 0
	.set _ZN7rocprim17ROCPRIM_400000_NS6detail17trampoline_kernelINS0_13select_configILj256ELj13ELNS0_17block_load_methodE3ELS4_3ELS4_3ELNS0_20block_scan_algorithmE0ELj4294967295EEENS1_25partition_config_selectorILNS1_17partition_subalgoE4EjNS0_10empty_typeEbEEZZNS1_14partition_implILS8_4ELb0ES6_15HIP_vector_typeIjLj2EENS0_17counting_iteratorIjlEEPS9_SG_NS0_5tupleIJPjSI_NS0_16reverse_iteratorISI_EEEEENSH_IJSG_SG_SG_EEES9_SI_JZNS1_25segmented_radix_sort_implINS0_14default_configELb0EPK12hip_bfloat16PSP_PKlPlN2at6native12_GLOBAL__N_18offset_tEEE10hipError_tPvRmT1_PNSt15iterator_traitsIS13_E10value_typeET2_T3_PNS14_IS19_E10value_typeET4_jRbjT5_S1F_jjP12ihipStream_tbEUljE_ZNSN_ISO_Lb0ESR_SS_SU_SV_SZ_EES10_S11_S12_S13_S17_S18_S19_S1C_S1D_jS1E_jS1F_S1F_jjS1H_bEUljE0_EEES10_S11_S12_S19_S1D_S1F_T6_T7_T9_mT8_S1H_bDpT10_ENKUlT_T0_E_clISt17integral_constantIbLb1EES1U_IbLb0EEEEDaS1Q_S1R_EUlS1Q_E_NS1_11comp_targetILNS1_3genE10ELNS1_11target_archE1200ELNS1_3gpuE4ELNS1_3repE0EEENS1_30default_config_static_selectorELNS0_4arch9wavefront6targetE0EEEvS13_.has_indirect_call, 0
	.section	.AMDGPU.csdata,"",@progbits
; Kernel info:
; codeLenInByte = 4
; TotalNumSgprs: 0
; NumVgprs: 0
; ScratchSize: 0
; MemoryBound: 0
; FloatMode: 240
; IeeeMode: 1
; LDSByteSize: 0 bytes/workgroup (compile time only)
; SGPRBlocks: 0
; VGPRBlocks: 0
; NumSGPRsForWavesPerEU: 1
; NumVGPRsForWavesPerEU: 1
; Occupancy: 16
; WaveLimiterHint : 0
; COMPUTE_PGM_RSRC2:SCRATCH_EN: 0
; COMPUTE_PGM_RSRC2:USER_SGPR: 2
; COMPUTE_PGM_RSRC2:TRAP_HANDLER: 0
; COMPUTE_PGM_RSRC2:TGID_X_EN: 1
; COMPUTE_PGM_RSRC2:TGID_Y_EN: 0
; COMPUTE_PGM_RSRC2:TGID_Z_EN: 0
; COMPUTE_PGM_RSRC2:TIDIG_COMP_CNT: 0
	.section	.text._ZN7rocprim17ROCPRIM_400000_NS6detail17trampoline_kernelINS0_13select_configILj256ELj13ELNS0_17block_load_methodE3ELS4_3ELS4_3ELNS0_20block_scan_algorithmE0ELj4294967295EEENS1_25partition_config_selectorILNS1_17partition_subalgoE4EjNS0_10empty_typeEbEEZZNS1_14partition_implILS8_4ELb0ES6_15HIP_vector_typeIjLj2EENS0_17counting_iteratorIjlEEPS9_SG_NS0_5tupleIJPjSI_NS0_16reverse_iteratorISI_EEEEENSH_IJSG_SG_SG_EEES9_SI_JZNS1_25segmented_radix_sort_implINS0_14default_configELb0EPK12hip_bfloat16PSP_PKlPlN2at6native12_GLOBAL__N_18offset_tEEE10hipError_tPvRmT1_PNSt15iterator_traitsIS13_E10value_typeET2_T3_PNS14_IS19_E10value_typeET4_jRbjT5_S1F_jjP12ihipStream_tbEUljE_ZNSN_ISO_Lb0ESR_SS_SU_SV_SZ_EES10_S11_S12_S13_S17_S18_S19_S1C_S1D_jS1E_jS1F_S1F_jjS1H_bEUljE0_EEES10_S11_S12_S19_S1D_S1F_T6_T7_T9_mT8_S1H_bDpT10_ENKUlT_T0_E_clISt17integral_constantIbLb1EES1U_IbLb0EEEEDaS1Q_S1R_EUlS1Q_E_NS1_11comp_targetILNS1_3genE9ELNS1_11target_archE1100ELNS1_3gpuE3ELNS1_3repE0EEENS1_30default_config_static_selectorELNS0_4arch9wavefront6targetE0EEEvS13_,"axG",@progbits,_ZN7rocprim17ROCPRIM_400000_NS6detail17trampoline_kernelINS0_13select_configILj256ELj13ELNS0_17block_load_methodE3ELS4_3ELS4_3ELNS0_20block_scan_algorithmE0ELj4294967295EEENS1_25partition_config_selectorILNS1_17partition_subalgoE4EjNS0_10empty_typeEbEEZZNS1_14partition_implILS8_4ELb0ES6_15HIP_vector_typeIjLj2EENS0_17counting_iteratorIjlEEPS9_SG_NS0_5tupleIJPjSI_NS0_16reverse_iteratorISI_EEEEENSH_IJSG_SG_SG_EEES9_SI_JZNS1_25segmented_radix_sort_implINS0_14default_configELb0EPK12hip_bfloat16PSP_PKlPlN2at6native12_GLOBAL__N_18offset_tEEE10hipError_tPvRmT1_PNSt15iterator_traitsIS13_E10value_typeET2_T3_PNS14_IS19_E10value_typeET4_jRbjT5_S1F_jjP12ihipStream_tbEUljE_ZNSN_ISO_Lb0ESR_SS_SU_SV_SZ_EES10_S11_S12_S13_S17_S18_S19_S1C_S1D_jS1E_jS1F_S1F_jjS1H_bEUljE0_EEES10_S11_S12_S19_S1D_S1F_T6_T7_T9_mT8_S1H_bDpT10_ENKUlT_T0_E_clISt17integral_constantIbLb1EES1U_IbLb0EEEEDaS1Q_S1R_EUlS1Q_E_NS1_11comp_targetILNS1_3genE9ELNS1_11target_archE1100ELNS1_3gpuE3ELNS1_3repE0EEENS1_30default_config_static_selectorELNS0_4arch9wavefront6targetE0EEEvS13_,comdat
	.globl	_ZN7rocprim17ROCPRIM_400000_NS6detail17trampoline_kernelINS0_13select_configILj256ELj13ELNS0_17block_load_methodE3ELS4_3ELS4_3ELNS0_20block_scan_algorithmE0ELj4294967295EEENS1_25partition_config_selectorILNS1_17partition_subalgoE4EjNS0_10empty_typeEbEEZZNS1_14partition_implILS8_4ELb0ES6_15HIP_vector_typeIjLj2EENS0_17counting_iteratorIjlEEPS9_SG_NS0_5tupleIJPjSI_NS0_16reverse_iteratorISI_EEEEENSH_IJSG_SG_SG_EEES9_SI_JZNS1_25segmented_radix_sort_implINS0_14default_configELb0EPK12hip_bfloat16PSP_PKlPlN2at6native12_GLOBAL__N_18offset_tEEE10hipError_tPvRmT1_PNSt15iterator_traitsIS13_E10value_typeET2_T3_PNS14_IS19_E10value_typeET4_jRbjT5_S1F_jjP12ihipStream_tbEUljE_ZNSN_ISO_Lb0ESR_SS_SU_SV_SZ_EES10_S11_S12_S13_S17_S18_S19_S1C_S1D_jS1E_jS1F_S1F_jjS1H_bEUljE0_EEES10_S11_S12_S19_S1D_S1F_T6_T7_T9_mT8_S1H_bDpT10_ENKUlT_T0_E_clISt17integral_constantIbLb1EES1U_IbLb0EEEEDaS1Q_S1R_EUlS1Q_E_NS1_11comp_targetILNS1_3genE9ELNS1_11target_archE1100ELNS1_3gpuE3ELNS1_3repE0EEENS1_30default_config_static_selectorELNS0_4arch9wavefront6targetE0EEEvS13_ ; -- Begin function _ZN7rocprim17ROCPRIM_400000_NS6detail17trampoline_kernelINS0_13select_configILj256ELj13ELNS0_17block_load_methodE3ELS4_3ELS4_3ELNS0_20block_scan_algorithmE0ELj4294967295EEENS1_25partition_config_selectorILNS1_17partition_subalgoE4EjNS0_10empty_typeEbEEZZNS1_14partition_implILS8_4ELb0ES6_15HIP_vector_typeIjLj2EENS0_17counting_iteratorIjlEEPS9_SG_NS0_5tupleIJPjSI_NS0_16reverse_iteratorISI_EEEEENSH_IJSG_SG_SG_EEES9_SI_JZNS1_25segmented_radix_sort_implINS0_14default_configELb0EPK12hip_bfloat16PSP_PKlPlN2at6native12_GLOBAL__N_18offset_tEEE10hipError_tPvRmT1_PNSt15iterator_traitsIS13_E10value_typeET2_T3_PNS14_IS19_E10value_typeET4_jRbjT5_S1F_jjP12ihipStream_tbEUljE_ZNSN_ISO_Lb0ESR_SS_SU_SV_SZ_EES10_S11_S12_S13_S17_S18_S19_S1C_S1D_jS1E_jS1F_S1F_jjS1H_bEUljE0_EEES10_S11_S12_S19_S1D_S1F_T6_T7_T9_mT8_S1H_bDpT10_ENKUlT_T0_E_clISt17integral_constantIbLb1EES1U_IbLb0EEEEDaS1Q_S1R_EUlS1Q_E_NS1_11comp_targetILNS1_3genE9ELNS1_11target_archE1100ELNS1_3gpuE3ELNS1_3repE0EEENS1_30default_config_static_selectorELNS0_4arch9wavefront6targetE0EEEvS13_
	.p2align	8
	.type	_ZN7rocprim17ROCPRIM_400000_NS6detail17trampoline_kernelINS0_13select_configILj256ELj13ELNS0_17block_load_methodE3ELS4_3ELS4_3ELNS0_20block_scan_algorithmE0ELj4294967295EEENS1_25partition_config_selectorILNS1_17partition_subalgoE4EjNS0_10empty_typeEbEEZZNS1_14partition_implILS8_4ELb0ES6_15HIP_vector_typeIjLj2EENS0_17counting_iteratorIjlEEPS9_SG_NS0_5tupleIJPjSI_NS0_16reverse_iteratorISI_EEEEENSH_IJSG_SG_SG_EEES9_SI_JZNS1_25segmented_radix_sort_implINS0_14default_configELb0EPK12hip_bfloat16PSP_PKlPlN2at6native12_GLOBAL__N_18offset_tEEE10hipError_tPvRmT1_PNSt15iterator_traitsIS13_E10value_typeET2_T3_PNS14_IS19_E10value_typeET4_jRbjT5_S1F_jjP12ihipStream_tbEUljE_ZNSN_ISO_Lb0ESR_SS_SU_SV_SZ_EES10_S11_S12_S13_S17_S18_S19_S1C_S1D_jS1E_jS1F_S1F_jjS1H_bEUljE0_EEES10_S11_S12_S19_S1D_S1F_T6_T7_T9_mT8_S1H_bDpT10_ENKUlT_T0_E_clISt17integral_constantIbLb1EES1U_IbLb0EEEEDaS1Q_S1R_EUlS1Q_E_NS1_11comp_targetILNS1_3genE9ELNS1_11target_archE1100ELNS1_3gpuE3ELNS1_3repE0EEENS1_30default_config_static_selectorELNS0_4arch9wavefront6targetE0EEEvS13_,@function
_ZN7rocprim17ROCPRIM_400000_NS6detail17trampoline_kernelINS0_13select_configILj256ELj13ELNS0_17block_load_methodE3ELS4_3ELS4_3ELNS0_20block_scan_algorithmE0ELj4294967295EEENS1_25partition_config_selectorILNS1_17partition_subalgoE4EjNS0_10empty_typeEbEEZZNS1_14partition_implILS8_4ELb0ES6_15HIP_vector_typeIjLj2EENS0_17counting_iteratorIjlEEPS9_SG_NS0_5tupleIJPjSI_NS0_16reverse_iteratorISI_EEEEENSH_IJSG_SG_SG_EEES9_SI_JZNS1_25segmented_radix_sort_implINS0_14default_configELb0EPK12hip_bfloat16PSP_PKlPlN2at6native12_GLOBAL__N_18offset_tEEE10hipError_tPvRmT1_PNSt15iterator_traitsIS13_E10value_typeET2_T3_PNS14_IS19_E10value_typeET4_jRbjT5_S1F_jjP12ihipStream_tbEUljE_ZNSN_ISO_Lb0ESR_SS_SU_SV_SZ_EES10_S11_S12_S13_S17_S18_S19_S1C_S1D_jS1E_jS1F_S1F_jjS1H_bEUljE0_EEES10_S11_S12_S19_S1D_S1F_T6_T7_T9_mT8_S1H_bDpT10_ENKUlT_T0_E_clISt17integral_constantIbLb1EES1U_IbLb0EEEEDaS1Q_S1R_EUlS1Q_E_NS1_11comp_targetILNS1_3genE9ELNS1_11target_archE1100ELNS1_3gpuE3ELNS1_3repE0EEENS1_30default_config_static_selectorELNS0_4arch9wavefront6targetE0EEEvS13_: ; @_ZN7rocprim17ROCPRIM_400000_NS6detail17trampoline_kernelINS0_13select_configILj256ELj13ELNS0_17block_load_methodE3ELS4_3ELS4_3ELNS0_20block_scan_algorithmE0ELj4294967295EEENS1_25partition_config_selectorILNS1_17partition_subalgoE4EjNS0_10empty_typeEbEEZZNS1_14partition_implILS8_4ELb0ES6_15HIP_vector_typeIjLj2EENS0_17counting_iteratorIjlEEPS9_SG_NS0_5tupleIJPjSI_NS0_16reverse_iteratorISI_EEEEENSH_IJSG_SG_SG_EEES9_SI_JZNS1_25segmented_radix_sort_implINS0_14default_configELb0EPK12hip_bfloat16PSP_PKlPlN2at6native12_GLOBAL__N_18offset_tEEE10hipError_tPvRmT1_PNSt15iterator_traitsIS13_E10value_typeET2_T3_PNS14_IS19_E10value_typeET4_jRbjT5_S1F_jjP12ihipStream_tbEUljE_ZNSN_ISO_Lb0ESR_SS_SU_SV_SZ_EES10_S11_S12_S13_S17_S18_S19_S1C_S1D_jS1E_jS1F_S1F_jjS1H_bEUljE0_EEES10_S11_S12_S19_S1D_S1F_T6_T7_T9_mT8_S1H_bDpT10_ENKUlT_T0_E_clISt17integral_constantIbLb1EES1U_IbLb0EEEEDaS1Q_S1R_EUlS1Q_E_NS1_11comp_targetILNS1_3genE9ELNS1_11target_archE1100ELNS1_3gpuE3ELNS1_3repE0EEENS1_30default_config_static_selectorELNS0_4arch9wavefront6targetE0EEEvS13_
; %bb.0:
	.section	.rodata,"a",@progbits
	.p2align	6, 0x0
	.amdhsa_kernel _ZN7rocprim17ROCPRIM_400000_NS6detail17trampoline_kernelINS0_13select_configILj256ELj13ELNS0_17block_load_methodE3ELS4_3ELS4_3ELNS0_20block_scan_algorithmE0ELj4294967295EEENS1_25partition_config_selectorILNS1_17partition_subalgoE4EjNS0_10empty_typeEbEEZZNS1_14partition_implILS8_4ELb0ES6_15HIP_vector_typeIjLj2EENS0_17counting_iteratorIjlEEPS9_SG_NS0_5tupleIJPjSI_NS0_16reverse_iteratorISI_EEEEENSH_IJSG_SG_SG_EEES9_SI_JZNS1_25segmented_radix_sort_implINS0_14default_configELb0EPK12hip_bfloat16PSP_PKlPlN2at6native12_GLOBAL__N_18offset_tEEE10hipError_tPvRmT1_PNSt15iterator_traitsIS13_E10value_typeET2_T3_PNS14_IS19_E10value_typeET4_jRbjT5_S1F_jjP12ihipStream_tbEUljE_ZNSN_ISO_Lb0ESR_SS_SU_SV_SZ_EES10_S11_S12_S13_S17_S18_S19_S1C_S1D_jS1E_jS1F_S1F_jjS1H_bEUljE0_EEES10_S11_S12_S19_S1D_S1F_T6_T7_T9_mT8_S1H_bDpT10_ENKUlT_T0_E_clISt17integral_constantIbLb1EES1U_IbLb0EEEEDaS1Q_S1R_EUlS1Q_E_NS1_11comp_targetILNS1_3genE9ELNS1_11target_archE1100ELNS1_3gpuE3ELNS1_3repE0EEENS1_30default_config_static_selectorELNS0_4arch9wavefront6targetE0EEEvS13_
		.amdhsa_group_segment_fixed_size 0
		.amdhsa_private_segment_fixed_size 0
		.amdhsa_kernarg_size 176
		.amdhsa_user_sgpr_count 2
		.amdhsa_user_sgpr_dispatch_ptr 0
		.amdhsa_user_sgpr_queue_ptr 0
		.amdhsa_user_sgpr_kernarg_segment_ptr 1
		.amdhsa_user_sgpr_dispatch_id 0
		.amdhsa_user_sgpr_private_segment_size 0
		.amdhsa_wavefront_size32 1
		.amdhsa_uses_dynamic_stack 0
		.amdhsa_enable_private_segment 0
		.amdhsa_system_sgpr_workgroup_id_x 1
		.amdhsa_system_sgpr_workgroup_id_y 0
		.amdhsa_system_sgpr_workgroup_id_z 0
		.amdhsa_system_sgpr_workgroup_info 0
		.amdhsa_system_vgpr_workitem_id 0
		.amdhsa_next_free_vgpr 1
		.amdhsa_next_free_sgpr 1
		.amdhsa_reserve_vcc 0
		.amdhsa_float_round_mode_32 0
		.amdhsa_float_round_mode_16_64 0
		.amdhsa_float_denorm_mode_32 3
		.amdhsa_float_denorm_mode_16_64 3
		.amdhsa_fp16_overflow 0
		.amdhsa_workgroup_processor_mode 1
		.amdhsa_memory_ordered 1
		.amdhsa_forward_progress 1
		.amdhsa_inst_pref_size 0
		.amdhsa_round_robin_scheduling 0
		.amdhsa_exception_fp_ieee_invalid_op 0
		.amdhsa_exception_fp_denorm_src 0
		.amdhsa_exception_fp_ieee_div_zero 0
		.amdhsa_exception_fp_ieee_overflow 0
		.amdhsa_exception_fp_ieee_underflow 0
		.amdhsa_exception_fp_ieee_inexact 0
		.amdhsa_exception_int_div_zero 0
	.end_amdhsa_kernel
	.section	.text._ZN7rocprim17ROCPRIM_400000_NS6detail17trampoline_kernelINS0_13select_configILj256ELj13ELNS0_17block_load_methodE3ELS4_3ELS4_3ELNS0_20block_scan_algorithmE0ELj4294967295EEENS1_25partition_config_selectorILNS1_17partition_subalgoE4EjNS0_10empty_typeEbEEZZNS1_14partition_implILS8_4ELb0ES6_15HIP_vector_typeIjLj2EENS0_17counting_iteratorIjlEEPS9_SG_NS0_5tupleIJPjSI_NS0_16reverse_iteratorISI_EEEEENSH_IJSG_SG_SG_EEES9_SI_JZNS1_25segmented_radix_sort_implINS0_14default_configELb0EPK12hip_bfloat16PSP_PKlPlN2at6native12_GLOBAL__N_18offset_tEEE10hipError_tPvRmT1_PNSt15iterator_traitsIS13_E10value_typeET2_T3_PNS14_IS19_E10value_typeET4_jRbjT5_S1F_jjP12ihipStream_tbEUljE_ZNSN_ISO_Lb0ESR_SS_SU_SV_SZ_EES10_S11_S12_S13_S17_S18_S19_S1C_S1D_jS1E_jS1F_S1F_jjS1H_bEUljE0_EEES10_S11_S12_S19_S1D_S1F_T6_T7_T9_mT8_S1H_bDpT10_ENKUlT_T0_E_clISt17integral_constantIbLb1EES1U_IbLb0EEEEDaS1Q_S1R_EUlS1Q_E_NS1_11comp_targetILNS1_3genE9ELNS1_11target_archE1100ELNS1_3gpuE3ELNS1_3repE0EEENS1_30default_config_static_selectorELNS0_4arch9wavefront6targetE0EEEvS13_,"axG",@progbits,_ZN7rocprim17ROCPRIM_400000_NS6detail17trampoline_kernelINS0_13select_configILj256ELj13ELNS0_17block_load_methodE3ELS4_3ELS4_3ELNS0_20block_scan_algorithmE0ELj4294967295EEENS1_25partition_config_selectorILNS1_17partition_subalgoE4EjNS0_10empty_typeEbEEZZNS1_14partition_implILS8_4ELb0ES6_15HIP_vector_typeIjLj2EENS0_17counting_iteratorIjlEEPS9_SG_NS0_5tupleIJPjSI_NS0_16reverse_iteratorISI_EEEEENSH_IJSG_SG_SG_EEES9_SI_JZNS1_25segmented_radix_sort_implINS0_14default_configELb0EPK12hip_bfloat16PSP_PKlPlN2at6native12_GLOBAL__N_18offset_tEEE10hipError_tPvRmT1_PNSt15iterator_traitsIS13_E10value_typeET2_T3_PNS14_IS19_E10value_typeET4_jRbjT5_S1F_jjP12ihipStream_tbEUljE_ZNSN_ISO_Lb0ESR_SS_SU_SV_SZ_EES10_S11_S12_S13_S17_S18_S19_S1C_S1D_jS1E_jS1F_S1F_jjS1H_bEUljE0_EEES10_S11_S12_S19_S1D_S1F_T6_T7_T9_mT8_S1H_bDpT10_ENKUlT_T0_E_clISt17integral_constantIbLb1EES1U_IbLb0EEEEDaS1Q_S1R_EUlS1Q_E_NS1_11comp_targetILNS1_3genE9ELNS1_11target_archE1100ELNS1_3gpuE3ELNS1_3repE0EEENS1_30default_config_static_selectorELNS0_4arch9wavefront6targetE0EEEvS13_,comdat
.Lfunc_end2007:
	.size	_ZN7rocprim17ROCPRIM_400000_NS6detail17trampoline_kernelINS0_13select_configILj256ELj13ELNS0_17block_load_methodE3ELS4_3ELS4_3ELNS0_20block_scan_algorithmE0ELj4294967295EEENS1_25partition_config_selectorILNS1_17partition_subalgoE4EjNS0_10empty_typeEbEEZZNS1_14partition_implILS8_4ELb0ES6_15HIP_vector_typeIjLj2EENS0_17counting_iteratorIjlEEPS9_SG_NS0_5tupleIJPjSI_NS0_16reverse_iteratorISI_EEEEENSH_IJSG_SG_SG_EEES9_SI_JZNS1_25segmented_radix_sort_implINS0_14default_configELb0EPK12hip_bfloat16PSP_PKlPlN2at6native12_GLOBAL__N_18offset_tEEE10hipError_tPvRmT1_PNSt15iterator_traitsIS13_E10value_typeET2_T3_PNS14_IS19_E10value_typeET4_jRbjT5_S1F_jjP12ihipStream_tbEUljE_ZNSN_ISO_Lb0ESR_SS_SU_SV_SZ_EES10_S11_S12_S13_S17_S18_S19_S1C_S1D_jS1E_jS1F_S1F_jjS1H_bEUljE0_EEES10_S11_S12_S19_S1D_S1F_T6_T7_T9_mT8_S1H_bDpT10_ENKUlT_T0_E_clISt17integral_constantIbLb1EES1U_IbLb0EEEEDaS1Q_S1R_EUlS1Q_E_NS1_11comp_targetILNS1_3genE9ELNS1_11target_archE1100ELNS1_3gpuE3ELNS1_3repE0EEENS1_30default_config_static_selectorELNS0_4arch9wavefront6targetE0EEEvS13_, .Lfunc_end2007-_ZN7rocprim17ROCPRIM_400000_NS6detail17trampoline_kernelINS0_13select_configILj256ELj13ELNS0_17block_load_methodE3ELS4_3ELS4_3ELNS0_20block_scan_algorithmE0ELj4294967295EEENS1_25partition_config_selectorILNS1_17partition_subalgoE4EjNS0_10empty_typeEbEEZZNS1_14partition_implILS8_4ELb0ES6_15HIP_vector_typeIjLj2EENS0_17counting_iteratorIjlEEPS9_SG_NS0_5tupleIJPjSI_NS0_16reverse_iteratorISI_EEEEENSH_IJSG_SG_SG_EEES9_SI_JZNS1_25segmented_radix_sort_implINS0_14default_configELb0EPK12hip_bfloat16PSP_PKlPlN2at6native12_GLOBAL__N_18offset_tEEE10hipError_tPvRmT1_PNSt15iterator_traitsIS13_E10value_typeET2_T3_PNS14_IS19_E10value_typeET4_jRbjT5_S1F_jjP12ihipStream_tbEUljE_ZNSN_ISO_Lb0ESR_SS_SU_SV_SZ_EES10_S11_S12_S13_S17_S18_S19_S1C_S1D_jS1E_jS1F_S1F_jjS1H_bEUljE0_EEES10_S11_S12_S19_S1D_S1F_T6_T7_T9_mT8_S1H_bDpT10_ENKUlT_T0_E_clISt17integral_constantIbLb1EES1U_IbLb0EEEEDaS1Q_S1R_EUlS1Q_E_NS1_11comp_targetILNS1_3genE9ELNS1_11target_archE1100ELNS1_3gpuE3ELNS1_3repE0EEENS1_30default_config_static_selectorELNS0_4arch9wavefront6targetE0EEEvS13_
                                        ; -- End function
	.set _ZN7rocprim17ROCPRIM_400000_NS6detail17trampoline_kernelINS0_13select_configILj256ELj13ELNS0_17block_load_methodE3ELS4_3ELS4_3ELNS0_20block_scan_algorithmE0ELj4294967295EEENS1_25partition_config_selectorILNS1_17partition_subalgoE4EjNS0_10empty_typeEbEEZZNS1_14partition_implILS8_4ELb0ES6_15HIP_vector_typeIjLj2EENS0_17counting_iteratorIjlEEPS9_SG_NS0_5tupleIJPjSI_NS0_16reverse_iteratorISI_EEEEENSH_IJSG_SG_SG_EEES9_SI_JZNS1_25segmented_radix_sort_implINS0_14default_configELb0EPK12hip_bfloat16PSP_PKlPlN2at6native12_GLOBAL__N_18offset_tEEE10hipError_tPvRmT1_PNSt15iterator_traitsIS13_E10value_typeET2_T3_PNS14_IS19_E10value_typeET4_jRbjT5_S1F_jjP12ihipStream_tbEUljE_ZNSN_ISO_Lb0ESR_SS_SU_SV_SZ_EES10_S11_S12_S13_S17_S18_S19_S1C_S1D_jS1E_jS1F_S1F_jjS1H_bEUljE0_EEES10_S11_S12_S19_S1D_S1F_T6_T7_T9_mT8_S1H_bDpT10_ENKUlT_T0_E_clISt17integral_constantIbLb1EES1U_IbLb0EEEEDaS1Q_S1R_EUlS1Q_E_NS1_11comp_targetILNS1_3genE9ELNS1_11target_archE1100ELNS1_3gpuE3ELNS1_3repE0EEENS1_30default_config_static_selectorELNS0_4arch9wavefront6targetE0EEEvS13_.num_vgpr, 0
	.set _ZN7rocprim17ROCPRIM_400000_NS6detail17trampoline_kernelINS0_13select_configILj256ELj13ELNS0_17block_load_methodE3ELS4_3ELS4_3ELNS0_20block_scan_algorithmE0ELj4294967295EEENS1_25partition_config_selectorILNS1_17partition_subalgoE4EjNS0_10empty_typeEbEEZZNS1_14partition_implILS8_4ELb0ES6_15HIP_vector_typeIjLj2EENS0_17counting_iteratorIjlEEPS9_SG_NS0_5tupleIJPjSI_NS0_16reverse_iteratorISI_EEEEENSH_IJSG_SG_SG_EEES9_SI_JZNS1_25segmented_radix_sort_implINS0_14default_configELb0EPK12hip_bfloat16PSP_PKlPlN2at6native12_GLOBAL__N_18offset_tEEE10hipError_tPvRmT1_PNSt15iterator_traitsIS13_E10value_typeET2_T3_PNS14_IS19_E10value_typeET4_jRbjT5_S1F_jjP12ihipStream_tbEUljE_ZNSN_ISO_Lb0ESR_SS_SU_SV_SZ_EES10_S11_S12_S13_S17_S18_S19_S1C_S1D_jS1E_jS1F_S1F_jjS1H_bEUljE0_EEES10_S11_S12_S19_S1D_S1F_T6_T7_T9_mT8_S1H_bDpT10_ENKUlT_T0_E_clISt17integral_constantIbLb1EES1U_IbLb0EEEEDaS1Q_S1R_EUlS1Q_E_NS1_11comp_targetILNS1_3genE9ELNS1_11target_archE1100ELNS1_3gpuE3ELNS1_3repE0EEENS1_30default_config_static_selectorELNS0_4arch9wavefront6targetE0EEEvS13_.num_agpr, 0
	.set _ZN7rocprim17ROCPRIM_400000_NS6detail17trampoline_kernelINS0_13select_configILj256ELj13ELNS0_17block_load_methodE3ELS4_3ELS4_3ELNS0_20block_scan_algorithmE0ELj4294967295EEENS1_25partition_config_selectorILNS1_17partition_subalgoE4EjNS0_10empty_typeEbEEZZNS1_14partition_implILS8_4ELb0ES6_15HIP_vector_typeIjLj2EENS0_17counting_iteratorIjlEEPS9_SG_NS0_5tupleIJPjSI_NS0_16reverse_iteratorISI_EEEEENSH_IJSG_SG_SG_EEES9_SI_JZNS1_25segmented_radix_sort_implINS0_14default_configELb0EPK12hip_bfloat16PSP_PKlPlN2at6native12_GLOBAL__N_18offset_tEEE10hipError_tPvRmT1_PNSt15iterator_traitsIS13_E10value_typeET2_T3_PNS14_IS19_E10value_typeET4_jRbjT5_S1F_jjP12ihipStream_tbEUljE_ZNSN_ISO_Lb0ESR_SS_SU_SV_SZ_EES10_S11_S12_S13_S17_S18_S19_S1C_S1D_jS1E_jS1F_S1F_jjS1H_bEUljE0_EEES10_S11_S12_S19_S1D_S1F_T6_T7_T9_mT8_S1H_bDpT10_ENKUlT_T0_E_clISt17integral_constantIbLb1EES1U_IbLb0EEEEDaS1Q_S1R_EUlS1Q_E_NS1_11comp_targetILNS1_3genE9ELNS1_11target_archE1100ELNS1_3gpuE3ELNS1_3repE0EEENS1_30default_config_static_selectorELNS0_4arch9wavefront6targetE0EEEvS13_.numbered_sgpr, 0
	.set _ZN7rocprim17ROCPRIM_400000_NS6detail17trampoline_kernelINS0_13select_configILj256ELj13ELNS0_17block_load_methodE3ELS4_3ELS4_3ELNS0_20block_scan_algorithmE0ELj4294967295EEENS1_25partition_config_selectorILNS1_17partition_subalgoE4EjNS0_10empty_typeEbEEZZNS1_14partition_implILS8_4ELb0ES6_15HIP_vector_typeIjLj2EENS0_17counting_iteratorIjlEEPS9_SG_NS0_5tupleIJPjSI_NS0_16reverse_iteratorISI_EEEEENSH_IJSG_SG_SG_EEES9_SI_JZNS1_25segmented_radix_sort_implINS0_14default_configELb0EPK12hip_bfloat16PSP_PKlPlN2at6native12_GLOBAL__N_18offset_tEEE10hipError_tPvRmT1_PNSt15iterator_traitsIS13_E10value_typeET2_T3_PNS14_IS19_E10value_typeET4_jRbjT5_S1F_jjP12ihipStream_tbEUljE_ZNSN_ISO_Lb0ESR_SS_SU_SV_SZ_EES10_S11_S12_S13_S17_S18_S19_S1C_S1D_jS1E_jS1F_S1F_jjS1H_bEUljE0_EEES10_S11_S12_S19_S1D_S1F_T6_T7_T9_mT8_S1H_bDpT10_ENKUlT_T0_E_clISt17integral_constantIbLb1EES1U_IbLb0EEEEDaS1Q_S1R_EUlS1Q_E_NS1_11comp_targetILNS1_3genE9ELNS1_11target_archE1100ELNS1_3gpuE3ELNS1_3repE0EEENS1_30default_config_static_selectorELNS0_4arch9wavefront6targetE0EEEvS13_.num_named_barrier, 0
	.set _ZN7rocprim17ROCPRIM_400000_NS6detail17trampoline_kernelINS0_13select_configILj256ELj13ELNS0_17block_load_methodE3ELS4_3ELS4_3ELNS0_20block_scan_algorithmE0ELj4294967295EEENS1_25partition_config_selectorILNS1_17partition_subalgoE4EjNS0_10empty_typeEbEEZZNS1_14partition_implILS8_4ELb0ES6_15HIP_vector_typeIjLj2EENS0_17counting_iteratorIjlEEPS9_SG_NS0_5tupleIJPjSI_NS0_16reverse_iteratorISI_EEEEENSH_IJSG_SG_SG_EEES9_SI_JZNS1_25segmented_radix_sort_implINS0_14default_configELb0EPK12hip_bfloat16PSP_PKlPlN2at6native12_GLOBAL__N_18offset_tEEE10hipError_tPvRmT1_PNSt15iterator_traitsIS13_E10value_typeET2_T3_PNS14_IS19_E10value_typeET4_jRbjT5_S1F_jjP12ihipStream_tbEUljE_ZNSN_ISO_Lb0ESR_SS_SU_SV_SZ_EES10_S11_S12_S13_S17_S18_S19_S1C_S1D_jS1E_jS1F_S1F_jjS1H_bEUljE0_EEES10_S11_S12_S19_S1D_S1F_T6_T7_T9_mT8_S1H_bDpT10_ENKUlT_T0_E_clISt17integral_constantIbLb1EES1U_IbLb0EEEEDaS1Q_S1R_EUlS1Q_E_NS1_11comp_targetILNS1_3genE9ELNS1_11target_archE1100ELNS1_3gpuE3ELNS1_3repE0EEENS1_30default_config_static_selectorELNS0_4arch9wavefront6targetE0EEEvS13_.private_seg_size, 0
	.set _ZN7rocprim17ROCPRIM_400000_NS6detail17trampoline_kernelINS0_13select_configILj256ELj13ELNS0_17block_load_methodE3ELS4_3ELS4_3ELNS0_20block_scan_algorithmE0ELj4294967295EEENS1_25partition_config_selectorILNS1_17partition_subalgoE4EjNS0_10empty_typeEbEEZZNS1_14partition_implILS8_4ELb0ES6_15HIP_vector_typeIjLj2EENS0_17counting_iteratorIjlEEPS9_SG_NS0_5tupleIJPjSI_NS0_16reverse_iteratorISI_EEEEENSH_IJSG_SG_SG_EEES9_SI_JZNS1_25segmented_radix_sort_implINS0_14default_configELb0EPK12hip_bfloat16PSP_PKlPlN2at6native12_GLOBAL__N_18offset_tEEE10hipError_tPvRmT1_PNSt15iterator_traitsIS13_E10value_typeET2_T3_PNS14_IS19_E10value_typeET4_jRbjT5_S1F_jjP12ihipStream_tbEUljE_ZNSN_ISO_Lb0ESR_SS_SU_SV_SZ_EES10_S11_S12_S13_S17_S18_S19_S1C_S1D_jS1E_jS1F_S1F_jjS1H_bEUljE0_EEES10_S11_S12_S19_S1D_S1F_T6_T7_T9_mT8_S1H_bDpT10_ENKUlT_T0_E_clISt17integral_constantIbLb1EES1U_IbLb0EEEEDaS1Q_S1R_EUlS1Q_E_NS1_11comp_targetILNS1_3genE9ELNS1_11target_archE1100ELNS1_3gpuE3ELNS1_3repE0EEENS1_30default_config_static_selectorELNS0_4arch9wavefront6targetE0EEEvS13_.uses_vcc, 0
	.set _ZN7rocprim17ROCPRIM_400000_NS6detail17trampoline_kernelINS0_13select_configILj256ELj13ELNS0_17block_load_methodE3ELS4_3ELS4_3ELNS0_20block_scan_algorithmE0ELj4294967295EEENS1_25partition_config_selectorILNS1_17partition_subalgoE4EjNS0_10empty_typeEbEEZZNS1_14partition_implILS8_4ELb0ES6_15HIP_vector_typeIjLj2EENS0_17counting_iteratorIjlEEPS9_SG_NS0_5tupleIJPjSI_NS0_16reverse_iteratorISI_EEEEENSH_IJSG_SG_SG_EEES9_SI_JZNS1_25segmented_radix_sort_implINS0_14default_configELb0EPK12hip_bfloat16PSP_PKlPlN2at6native12_GLOBAL__N_18offset_tEEE10hipError_tPvRmT1_PNSt15iterator_traitsIS13_E10value_typeET2_T3_PNS14_IS19_E10value_typeET4_jRbjT5_S1F_jjP12ihipStream_tbEUljE_ZNSN_ISO_Lb0ESR_SS_SU_SV_SZ_EES10_S11_S12_S13_S17_S18_S19_S1C_S1D_jS1E_jS1F_S1F_jjS1H_bEUljE0_EEES10_S11_S12_S19_S1D_S1F_T6_T7_T9_mT8_S1H_bDpT10_ENKUlT_T0_E_clISt17integral_constantIbLb1EES1U_IbLb0EEEEDaS1Q_S1R_EUlS1Q_E_NS1_11comp_targetILNS1_3genE9ELNS1_11target_archE1100ELNS1_3gpuE3ELNS1_3repE0EEENS1_30default_config_static_selectorELNS0_4arch9wavefront6targetE0EEEvS13_.uses_flat_scratch, 0
	.set _ZN7rocprim17ROCPRIM_400000_NS6detail17trampoline_kernelINS0_13select_configILj256ELj13ELNS0_17block_load_methodE3ELS4_3ELS4_3ELNS0_20block_scan_algorithmE0ELj4294967295EEENS1_25partition_config_selectorILNS1_17partition_subalgoE4EjNS0_10empty_typeEbEEZZNS1_14partition_implILS8_4ELb0ES6_15HIP_vector_typeIjLj2EENS0_17counting_iteratorIjlEEPS9_SG_NS0_5tupleIJPjSI_NS0_16reverse_iteratorISI_EEEEENSH_IJSG_SG_SG_EEES9_SI_JZNS1_25segmented_radix_sort_implINS0_14default_configELb0EPK12hip_bfloat16PSP_PKlPlN2at6native12_GLOBAL__N_18offset_tEEE10hipError_tPvRmT1_PNSt15iterator_traitsIS13_E10value_typeET2_T3_PNS14_IS19_E10value_typeET4_jRbjT5_S1F_jjP12ihipStream_tbEUljE_ZNSN_ISO_Lb0ESR_SS_SU_SV_SZ_EES10_S11_S12_S13_S17_S18_S19_S1C_S1D_jS1E_jS1F_S1F_jjS1H_bEUljE0_EEES10_S11_S12_S19_S1D_S1F_T6_T7_T9_mT8_S1H_bDpT10_ENKUlT_T0_E_clISt17integral_constantIbLb1EES1U_IbLb0EEEEDaS1Q_S1R_EUlS1Q_E_NS1_11comp_targetILNS1_3genE9ELNS1_11target_archE1100ELNS1_3gpuE3ELNS1_3repE0EEENS1_30default_config_static_selectorELNS0_4arch9wavefront6targetE0EEEvS13_.has_dyn_sized_stack, 0
	.set _ZN7rocprim17ROCPRIM_400000_NS6detail17trampoline_kernelINS0_13select_configILj256ELj13ELNS0_17block_load_methodE3ELS4_3ELS4_3ELNS0_20block_scan_algorithmE0ELj4294967295EEENS1_25partition_config_selectorILNS1_17partition_subalgoE4EjNS0_10empty_typeEbEEZZNS1_14partition_implILS8_4ELb0ES6_15HIP_vector_typeIjLj2EENS0_17counting_iteratorIjlEEPS9_SG_NS0_5tupleIJPjSI_NS0_16reverse_iteratorISI_EEEEENSH_IJSG_SG_SG_EEES9_SI_JZNS1_25segmented_radix_sort_implINS0_14default_configELb0EPK12hip_bfloat16PSP_PKlPlN2at6native12_GLOBAL__N_18offset_tEEE10hipError_tPvRmT1_PNSt15iterator_traitsIS13_E10value_typeET2_T3_PNS14_IS19_E10value_typeET4_jRbjT5_S1F_jjP12ihipStream_tbEUljE_ZNSN_ISO_Lb0ESR_SS_SU_SV_SZ_EES10_S11_S12_S13_S17_S18_S19_S1C_S1D_jS1E_jS1F_S1F_jjS1H_bEUljE0_EEES10_S11_S12_S19_S1D_S1F_T6_T7_T9_mT8_S1H_bDpT10_ENKUlT_T0_E_clISt17integral_constantIbLb1EES1U_IbLb0EEEEDaS1Q_S1R_EUlS1Q_E_NS1_11comp_targetILNS1_3genE9ELNS1_11target_archE1100ELNS1_3gpuE3ELNS1_3repE0EEENS1_30default_config_static_selectorELNS0_4arch9wavefront6targetE0EEEvS13_.has_recursion, 0
	.set _ZN7rocprim17ROCPRIM_400000_NS6detail17trampoline_kernelINS0_13select_configILj256ELj13ELNS0_17block_load_methodE3ELS4_3ELS4_3ELNS0_20block_scan_algorithmE0ELj4294967295EEENS1_25partition_config_selectorILNS1_17partition_subalgoE4EjNS0_10empty_typeEbEEZZNS1_14partition_implILS8_4ELb0ES6_15HIP_vector_typeIjLj2EENS0_17counting_iteratorIjlEEPS9_SG_NS0_5tupleIJPjSI_NS0_16reverse_iteratorISI_EEEEENSH_IJSG_SG_SG_EEES9_SI_JZNS1_25segmented_radix_sort_implINS0_14default_configELb0EPK12hip_bfloat16PSP_PKlPlN2at6native12_GLOBAL__N_18offset_tEEE10hipError_tPvRmT1_PNSt15iterator_traitsIS13_E10value_typeET2_T3_PNS14_IS19_E10value_typeET4_jRbjT5_S1F_jjP12ihipStream_tbEUljE_ZNSN_ISO_Lb0ESR_SS_SU_SV_SZ_EES10_S11_S12_S13_S17_S18_S19_S1C_S1D_jS1E_jS1F_S1F_jjS1H_bEUljE0_EEES10_S11_S12_S19_S1D_S1F_T6_T7_T9_mT8_S1H_bDpT10_ENKUlT_T0_E_clISt17integral_constantIbLb1EES1U_IbLb0EEEEDaS1Q_S1R_EUlS1Q_E_NS1_11comp_targetILNS1_3genE9ELNS1_11target_archE1100ELNS1_3gpuE3ELNS1_3repE0EEENS1_30default_config_static_selectorELNS0_4arch9wavefront6targetE0EEEvS13_.has_indirect_call, 0
	.section	.AMDGPU.csdata,"",@progbits
; Kernel info:
; codeLenInByte = 0
; TotalNumSgprs: 0
; NumVgprs: 0
; ScratchSize: 0
; MemoryBound: 0
; FloatMode: 240
; IeeeMode: 1
; LDSByteSize: 0 bytes/workgroup (compile time only)
; SGPRBlocks: 0
; VGPRBlocks: 0
; NumSGPRsForWavesPerEU: 1
; NumVGPRsForWavesPerEU: 1
; Occupancy: 16
; WaveLimiterHint : 0
; COMPUTE_PGM_RSRC2:SCRATCH_EN: 0
; COMPUTE_PGM_RSRC2:USER_SGPR: 2
; COMPUTE_PGM_RSRC2:TRAP_HANDLER: 0
; COMPUTE_PGM_RSRC2:TGID_X_EN: 1
; COMPUTE_PGM_RSRC2:TGID_Y_EN: 0
; COMPUTE_PGM_RSRC2:TGID_Z_EN: 0
; COMPUTE_PGM_RSRC2:TIDIG_COMP_CNT: 0
	.section	.text._ZN7rocprim17ROCPRIM_400000_NS6detail17trampoline_kernelINS0_13select_configILj256ELj13ELNS0_17block_load_methodE3ELS4_3ELS4_3ELNS0_20block_scan_algorithmE0ELj4294967295EEENS1_25partition_config_selectorILNS1_17partition_subalgoE4EjNS0_10empty_typeEbEEZZNS1_14partition_implILS8_4ELb0ES6_15HIP_vector_typeIjLj2EENS0_17counting_iteratorIjlEEPS9_SG_NS0_5tupleIJPjSI_NS0_16reverse_iteratorISI_EEEEENSH_IJSG_SG_SG_EEES9_SI_JZNS1_25segmented_radix_sort_implINS0_14default_configELb0EPK12hip_bfloat16PSP_PKlPlN2at6native12_GLOBAL__N_18offset_tEEE10hipError_tPvRmT1_PNSt15iterator_traitsIS13_E10value_typeET2_T3_PNS14_IS19_E10value_typeET4_jRbjT5_S1F_jjP12ihipStream_tbEUljE_ZNSN_ISO_Lb0ESR_SS_SU_SV_SZ_EES10_S11_S12_S13_S17_S18_S19_S1C_S1D_jS1E_jS1F_S1F_jjS1H_bEUljE0_EEES10_S11_S12_S19_S1D_S1F_T6_T7_T9_mT8_S1H_bDpT10_ENKUlT_T0_E_clISt17integral_constantIbLb1EES1U_IbLb0EEEEDaS1Q_S1R_EUlS1Q_E_NS1_11comp_targetILNS1_3genE8ELNS1_11target_archE1030ELNS1_3gpuE2ELNS1_3repE0EEENS1_30default_config_static_selectorELNS0_4arch9wavefront6targetE0EEEvS13_,"axG",@progbits,_ZN7rocprim17ROCPRIM_400000_NS6detail17trampoline_kernelINS0_13select_configILj256ELj13ELNS0_17block_load_methodE3ELS4_3ELS4_3ELNS0_20block_scan_algorithmE0ELj4294967295EEENS1_25partition_config_selectorILNS1_17partition_subalgoE4EjNS0_10empty_typeEbEEZZNS1_14partition_implILS8_4ELb0ES6_15HIP_vector_typeIjLj2EENS0_17counting_iteratorIjlEEPS9_SG_NS0_5tupleIJPjSI_NS0_16reverse_iteratorISI_EEEEENSH_IJSG_SG_SG_EEES9_SI_JZNS1_25segmented_radix_sort_implINS0_14default_configELb0EPK12hip_bfloat16PSP_PKlPlN2at6native12_GLOBAL__N_18offset_tEEE10hipError_tPvRmT1_PNSt15iterator_traitsIS13_E10value_typeET2_T3_PNS14_IS19_E10value_typeET4_jRbjT5_S1F_jjP12ihipStream_tbEUljE_ZNSN_ISO_Lb0ESR_SS_SU_SV_SZ_EES10_S11_S12_S13_S17_S18_S19_S1C_S1D_jS1E_jS1F_S1F_jjS1H_bEUljE0_EEES10_S11_S12_S19_S1D_S1F_T6_T7_T9_mT8_S1H_bDpT10_ENKUlT_T0_E_clISt17integral_constantIbLb1EES1U_IbLb0EEEEDaS1Q_S1R_EUlS1Q_E_NS1_11comp_targetILNS1_3genE8ELNS1_11target_archE1030ELNS1_3gpuE2ELNS1_3repE0EEENS1_30default_config_static_selectorELNS0_4arch9wavefront6targetE0EEEvS13_,comdat
	.globl	_ZN7rocprim17ROCPRIM_400000_NS6detail17trampoline_kernelINS0_13select_configILj256ELj13ELNS0_17block_load_methodE3ELS4_3ELS4_3ELNS0_20block_scan_algorithmE0ELj4294967295EEENS1_25partition_config_selectorILNS1_17partition_subalgoE4EjNS0_10empty_typeEbEEZZNS1_14partition_implILS8_4ELb0ES6_15HIP_vector_typeIjLj2EENS0_17counting_iteratorIjlEEPS9_SG_NS0_5tupleIJPjSI_NS0_16reverse_iteratorISI_EEEEENSH_IJSG_SG_SG_EEES9_SI_JZNS1_25segmented_radix_sort_implINS0_14default_configELb0EPK12hip_bfloat16PSP_PKlPlN2at6native12_GLOBAL__N_18offset_tEEE10hipError_tPvRmT1_PNSt15iterator_traitsIS13_E10value_typeET2_T3_PNS14_IS19_E10value_typeET4_jRbjT5_S1F_jjP12ihipStream_tbEUljE_ZNSN_ISO_Lb0ESR_SS_SU_SV_SZ_EES10_S11_S12_S13_S17_S18_S19_S1C_S1D_jS1E_jS1F_S1F_jjS1H_bEUljE0_EEES10_S11_S12_S19_S1D_S1F_T6_T7_T9_mT8_S1H_bDpT10_ENKUlT_T0_E_clISt17integral_constantIbLb1EES1U_IbLb0EEEEDaS1Q_S1R_EUlS1Q_E_NS1_11comp_targetILNS1_3genE8ELNS1_11target_archE1030ELNS1_3gpuE2ELNS1_3repE0EEENS1_30default_config_static_selectorELNS0_4arch9wavefront6targetE0EEEvS13_ ; -- Begin function _ZN7rocprim17ROCPRIM_400000_NS6detail17trampoline_kernelINS0_13select_configILj256ELj13ELNS0_17block_load_methodE3ELS4_3ELS4_3ELNS0_20block_scan_algorithmE0ELj4294967295EEENS1_25partition_config_selectorILNS1_17partition_subalgoE4EjNS0_10empty_typeEbEEZZNS1_14partition_implILS8_4ELb0ES6_15HIP_vector_typeIjLj2EENS0_17counting_iteratorIjlEEPS9_SG_NS0_5tupleIJPjSI_NS0_16reverse_iteratorISI_EEEEENSH_IJSG_SG_SG_EEES9_SI_JZNS1_25segmented_radix_sort_implINS0_14default_configELb0EPK12hip_bfloat16PSP_PKlPlN2at6native12_GLOBAL__N_18offset_tEEE10hipError_tPvRmT1_PNSt15iterator_traitsIS13_E10value_typeET2_T3_PNS14_IS19_E10value_typeET4_jRbjT5_S1F_jjP12ihipStream_tbEUljE_ZNSN_ISO_Lb0ESR_SS_SU_SV_SZ_EES10_S11_S12_S13_S17_S18_S19_S1C_S1D_jS1E_jS1F_S1F_jjS1H_bEUljE0_EEES10_S11_S12_S19_S1D_S1F_T6_T7_T9_mT8_S1H_bDpT10_ENKUlT_T0_E_clISt17integral_constantIbLb1EES1U_IbLb0EEEEDaS1Q_S1R_EUlS1Q_E_NS1_11comp_targetILNS1_3genE8ELNS1_11target_archE1030ELNS1_3gpuE2ELNS1_3repE0EEENS1_30default_config_static_selectorELNS0_4arch9wavefront6targetE0EEEvS13_
	.p2align	8
	.type	_ZN7rocprim17ROCPRIM_400000_NS6detail17trampoline_kernelINS0_13select_configILj256ELj13ELNS0_17block_load_methodE3ELS4_3ELS4_3ELNS0_20block_scan_algorithmE0ELj4294967295EEENS1_25partition_config_selectorILNS1_17partition_subalgoE4EjNS0_10empty_typeEbEEZZNS1_14partition_implILS8_4ELb0ES6_15HIP_vector_typeIjLj2EENS0_17counting_iteratorIjlEEPS9_SG_NS0_5tupleIJPjSI_NS0_16reverse_iteratorISI_EEEEENSH_IJSG_SG_SG_EEES9_SI_JZNS1_25segmented_radix_sort_implINS0_14default_configELb0EPK12hip_bfloat16PSP_PKlPlN2at6native12_GLOBAL__N_18offset_tEEE10hipError_tPvRmT1_PNSt15iterator_traitsIS13_E10value_typeET2_T3_PNS14_IS19_E10value_typeET4_jRbjT5_S1F_jjP12ihipStream_tbEUljE_ZNSN_ISO_Lb0ESR_SS_SU_SV_SZ_EES10_S11_S12_S13_S17_S18_S19_S1C_S1D_jS1E_jS1F_S1F_jjS1H_bEUljE0_EEES10_S11_S12_S19_S1D_S1F_T6_T7_T9_mT8_S1H_bDpT10_ENKUlT_T0_E_clISt17integral_constantIbLb1EES1U_IbLb0EEEEDaS1Q_S1R_EUlS1Q_E_NS1_11comp_targetILNS1_3genE8ELNS1_11target_archE1030ELNS1_3gpuE2ELNS1_3repE0EEENS1_30default_config_static_selectorELNS0_4arch9wavefront6targetE0EEEvS13_,@function
_ZN7rocprim17ROCPRIM_400000_NS6detail17trampoline_kernelINS0_13select_configILj256ELj13ELNS0_17block_load_methodE3ELS4_3ELS4_3ELNS0_20block_scan_algorithmE0ELj4294967295EEENS1_25partition_config_selectorILNS1_17partition_subalgoE4EjNS0_10empty_typeEbEEZZNS1_14partition_implILS8_4ELb0ES6_15HIP_vector_typeIjLj2EENS0_17counting_iteratorIjlEEPS9_SG_NS0_5tupleIJPjSI_NS0_16reverse_iteratorISI_EEEEENSH_IJSG_SG_SG_EEES9_SI_JZNS1_25segmented_radix_sort_implINS0_14default_configELb0EPK12hip_bfloat16PSP_PKlPlN2at6native12_GLOBAL__N_18offset_tEEE10hipError_tPvRmT1_PNSt15iterator_traitsIS13_E10value_typeET2_T3_PNS14_IS19_E10value_typeET4_jRbjT5_S1F_jjP12ihipStream_tbEUljE_ZNSN_ISO_Lb0ESR_SS_SU_SV_SZ_EES10_S11_S12_S13_S17_S18_S19_S1C_S1D_jS1E_jS1F_S1F_jjS1H_bEUljE0_EEES10_S11_S12_S19_S1D_S1F_T6_T7_T9_mT8_S1H_bDpT10_ENKUlT_T0_E_clISt17integral_constantIbLb1EES1U_IbLb0EEEEDaS1Q_S1R_EUlS1Q_E_NS1_11comp_targetILNS1_3genE8ELNS1_11target_archE1030ELNS1_3gpuE2ELNS1_3repE0EEENS1_30default_config_static_selectorELNS0_4arch9wavefront6targetE0EEEvS13_: ; @_ZN7rocprim17ROCPRIM_400000_NS6detail17trampoline_kernelINS0_13select_configILj256ELj13ELNS0_17block_load_methodE3ELS4_3ELS4_3ELNS0_20block_scan_algorithmE0ELj4294967295EEENS1_25partition_config_selectorILNS1_17partition_subalgoE4EjNS0_10empty_typeEbEEZZNS1_14partition_implILS8_4ELb0ES6_15HIP_vector_typeIjLj2EENS0_17counting_iteratorIjlEEPS9_SG_NS0_5tupleIJPjSI_NS0_16reverse_iteratorISI_EEEEENSH_IJSG_SG_SG_EEES9_SI_JZNS1_25segmented_radix_sort_implINS0_14default_configELb0EPK12hip_bfloat16PSP_PKlPlN2at6native12_GLOBAL__N_18offset_tEEE10hipError_tPvRmT1_PNSt15iterator_traitsIS13_E10value_typeET2_T3_PNS14_IS19_E10value_typeET4_jRbjT5_S1F_jjP12ihipStream_tbEUljE_ZNSN_ISO_Lb0ESR_SS_SU_SV_SZ_EES10_S11_S12_S13_S17_S18_S19_S1C_S1D_jS1E_jS1F_S1F_jjS1H_bEUljE0_EEES10_S11_S12_S19_S1D_S1F_T6_T7_T9_mT8_S1H_bDpT10_ENKUlT_T0_E_clISt17integral_constantIbLb1EES1U_IbLb0EEEEDaS1Q_S1R_EUlS1Q_E_NS1_11comp_targetILNS1_3genE8ELNS1_11target_archE1030ELNS1_3gpuE2ELNS1_3repE0EEENS1_30default_config_static_selectorELNS0_4arch9wavefront6targetE0EEEvS13_
; %bb.0:
	.section	.rodata,"a",@progbits
	.p2align	6, 0x0
	.amdhsa_kernel _ZN7rocprim17ROCPRIM_400000_NS6detail17trampoline_kernelINS0_13select_configILj256ELj13ELNS0_17block_load_methodE3ELS4_3ELS4_3ELNS0_20block_scan_algorithmE0ELj4294967295EEENS1_25partition_config_selectorILNS1_17partition_subalgoE4EjNS0_10empty_typeEbEEZZNS1_14partition_implILS8_4ELb0ES6_15HIP_vector_typeIjLj2EENS0_17counting_iteratorIjlEEPS9_SG_NS0_5tupleIJPjSI_NS0_16reverse_iteratorISI_EEEEENSH_IJSG_SG_SG_EEES9_SI_JZNS1_25segmented_radix_sort_implINS0_14default_configELb0EPK12hip_bfloat16PSP_PKlPlN2at6native12_GLOBAL__N_18offset_tEEE10hipError_tPvRmT1_PNSt15iterator_traitsIS13_E10value_typeET2_T3_PNS14_IS19_E10value_typeET4_jRbjT5_S1F_jjP12ihipStream_tbEUljE_ZNSN_ISO_Lb0ESR_SS_SU_SV_SZ_EES10_S11_S12_S13_S17_S18_S19_S1C_S1D_jS1E_jS1F_S1F_jjS1H_bEUljE0_EEES10_S11_S12_S19_S1D_S1F_T6_T7_T9_mT8_S1H_bDpT10_ENKUlT_T0_E_clISt17integral_constantIbLb1EES1U_IbLb0EEEEDaS1Q_S1R_EUlS1Q_E_NS1_11comp_targetILNS1_3genE8ELNS1_11target_archE1030ELNS1_3gpuE2ELNS1_3repE0EEENS1_30default_config_static_selectorELNS0_4arch9wavefront6targetE0EEEvS13_
		.amdhsa_group_segment_fixed_size 0
		.amdhsa_private_segment_fixed_size 0
		.amdhsa_kernarg_size 176
		.amdhsa_user_sgpr_count 2
		.amdhsa_user_sgpr_dispatch_ptr 0
		.amdhsa_user_sgpr_queue_ptr 0
		.amdhsa_user_sgpr_kernarg_segment_ptr 1
		.amdhsa_user_sgpr_dispatch_id 0
		.amdhsa_user_sgpr_private_segment_size 0
		.amdhsa_wavefront_size32 1
		.amdhsa_uses_dynamic_stack 0
		.amdhsa_enable_private_segment 0
		.amdhsa_system_sgpr_workgroup_id_x 1
		.amdhsa_system_sgpr_workgroup_id_y 0
		.amdhsa_system_sgpr_workgroup_id_z 0
		.amdhsa_system_sgpr_workgroup_info 0
		.amdhsa_system_vgpr_workitem_id 0
		.amdhsa_next_free_vgpr 1
		.amdhsa_next_free_sgpr 1
		.amdhsa_reserve_vcc 0
		.amdhsa_float_round_mode_32 0
		.amdhsa_float_round_mode_16_64 0
		.amdhsa_float_denorm_mode_32 3
		.amdhsa_float_denorm_mode_16_64 3
		.amdhsa_fp16_overflow 0
		.amdhsa_workgroup_processor_mode 1
		.amdhsa_memory_ordered 1
		.amdhsa_forward_progress 1
		.amdhsa_inst_pref_size 0
		.amdhsa_round_robin_scheduling 0
		.amdhsa_exception_fp_ieee_invalid_op 0
		.amdhsa_exception_fp_denorm_src 0
		.amdhsa_exception_fp_ieee_div_zero 0
		.amdhsa_exception_fp_ieee_overflow 0
		.amdhsa_exception_fp_ieee_underflow 0
		.amdhsa_exception_fp_ieee_inexact 0
		.amdhsa_exception_int_div_zero 0
	.end_amdhsa_kernel
	.section	.text._ZN7rocprim17ROCPRIM_400000_NS6detail17trampoline_kernelINS0_13select_configILj256ELj13ELNS0_17block_load_methodE3ELS4_3ELS4_3ELNS0_20block_scan_algorithmE0ELj4294967295EEENS1_25partition_config_selectorILNS1_17partition_subalgoE4EjNS0_10empty_typeEbEEZZNS1_14partition_implILS8_4ELb0ES6_15HIP_vector_typeIjLj2EENS0_17counting_iteratorIjlEEPS9_SG_NS0_5tupleIJPjSI_NS0_16reverse_iteratorISI_EEEEENSH_IJSG_SG_SG_EEES9_SI_JZNS1_25segmented_radix_sort_implINS0_14default_configELb0EPK12hip_bfloat16PSP_PKlPlN2at6native12_GLOBAL__N_18offset_tEEE10hipError_tPvRmT1_PNSt15iterator_traitsIS13_E10value_typeET2_T3_PNS14_IS19_E10value_typeET4_jRbjT5_S1F_jjP12ihipStream_tbEUljE_ZNSN_ISO_Lb0ESR_SS_SU_SV_SZ_EES10_S11_S12_S13_S17_S18_S19_S1C_S1D_jS1E_jS1F_S1F_jjS1H_bEUljE0_EEES10_S11_S12_S19_S1D_S1F_T6_T7_T9_mT8_S1H_bDpT10_ENKUlT_T0_E_clISt17integral_constantIbLb1EES1U_IbLb0EEEEDaS1Q_S1R_EUlS1Q_E_NS1_11comp_targetILNS1_3genE8ELNS1_11target_archE1030ELNS1_3gpuE2ELNS1_3repE0EEENS1_30default_config_static_selectorELNS0_4arch9wavefront6targetE0EEEvS13_,"axG",@progbits,_ZN7rocprim17ROCPRIM_400000_NS6detail17trampoline_kernelINS0_13select_configILj256ELj13ELNS0_17block_load_methodE3ELS4_3ELS4_3ELNS0_20block_scan_algorithmE0ELj4294967295EEENS1_25partition_config_selectorILNS1_17partition_subalgoE4EjNS0_10empty_typeEbEEZZNS1_14partition_implILS8_4ELb0ES6_15HIP_vector_typeIjLj2EENS0_17counting_iteratorIjlEEPS9_SG_NS0_5tupleIJPjSI_NS0_16reverse_iteratorISI_EEEEENSH_IJSG_SG_SG_EEES9_SI_JZNS1_25segmented_radix_sort_implINS0_14default_configELb0EPK12hip_bfloat16PSP_PKlPlN2at6native12_GLOBAL__N_18offset_tEEE10hipError_tPvRmT1_PNSt15iterator_traitsIS13_E10value_typeET2_T3_PNS14_IS19_E10value_typeET4_jRbjT5_S1F_jjP12ihipStream_tbEUljE_ZNSN_ISO_Lb0ESR_SS_SU_SV_SZ_EES10_S11_S12_S13_S17_S18_S19_S1C_S1D_jS1E_jS1F_S1F_jjS1H_bEUljE0_EEES10_S11_S12_S19_S1D_S1F_T6_T7_T9_mT8_S1H_bDpT10_ENKUlT_T0_E_clISt17integral_constantIbLb1EES1U_IbLb0EEEEDaS1Q_S1R_EUlS1Q_E_NS1_11comp_targetILNS1_3genE8ELNS1_11target_archE1030ELNS1_3gpuE2ELNS1_3repE0EEENS1_30default_config_static_selectorELNS0_4arch9wavefront6targetE0EEEvS13_,comdat
.Lfunc_end2008:
	.size	_ZN7rocprim17ROCPRIM_400000_NS6detail17trampoline_kernelINS0_13select_configILj256ELj13ELNS0_17block_load_methodE3ELS4_3ELS4_3ELNS0_20block_scan_algorithmE0ELj4294967295EEENS1_25partition_config_selectorILNS1_17partition_subalgoE4EjNS0_10empty_typeEbEEZZNS1_14partition_implILS8_4ELb0ES6_15HIP_vector_typeIjLj2EENS0_17counting_iteratorIjlEEPS9_SG_NS0_5tupleIJPjSI_NS0_16reverse_iteratorISI_EEEEENSH_IJSG_SG_SG_EEES9_SI_JZNS1_25segmented_radix_sort_implINS0_14default_configELb0EPK12hip_bfloat16PSP_PKlPlN2at6native12_GLOBAL__N_18offset_tEEE10hipError_tPvRmT1_PNSt15iterator_traitsIS13_E10value_typeET2_T3_PNS14_IS19_E10value_typeET4_jRbjT5_S1F_jjP12ihipStream_tbEUljE_ZNSN_ISO_Lb0ESR_SS_SU_SV_SZ_EES10_S11_S12_S13_S17_S18_S19_S1C_S1D_jS1E_jS1F_S1F_jjS1H_bEUljE0_EEES10_S11_S12_S19_S1D_S1F_T6_T7_T9_mT8_S1H_bDpT10_ENKUlT_T0_E_clISt17integral_constantIbLb1EES1U_IbLb0EEEEDaS1Q_S1R_EUlS1Q_E_NS1_11comp_targetILNS1_3genE8ELNS1_11target_archE1030ELNS1_3gpuE2ELNS1_3repE0EEENS1_30default_config_static_selectorELNS0_4arch9wavefront6targetE0EEEvS13_, .Lfunc_end2008-_ZN7rocprim17ROCPRIM_400000_NS6detail17trampoline_kernelINS0_13select_configILj256ELj13ELNS0_17block_load_methodE3ELS4_3ELS4_3ELNS0_20block_scan_algorithmE0ELj4294967295EEENS1_25partition_config_selectorILNS1_17partition_subalgoE4EjNS0_10empty_typeEbEEZZNS1_14partition_implILS8_4ELb0ES6_15HIP_vector_typeIjLj2EENS0_17counting_iteratorIjlEEPS9_SG_NS0_5tupleIJPjSI_NS0_16reverse_iteratorISI_EEEEENSH_IJSG_SG_SG_EEES9_SI_JZNS1_25segmented_radix_sort_implINS0_14default_configELb0EPK12hip_bfloat16PSP_PKlPlN2at6native12_GLOBAL__N_18offset_tEEE10hipError_tPvRmT1_PNSt15iterator_traitsIS13_E10value_typeET2_T3_PNS14_IS19_E10value_typeET4_jRbjT5_S1F_jjP12ihipStream_tbEUljE_ZNSN_ISO_Lb0ESR_SS_SU_SV_SZ_EES10_S11_S12_S13_S17_S18_S19_S1C_S1D_jS1E_jS1F_S1F_jjS1H_bEUljE0_EEES10_S11_S12_S19_S1D_S1F_T6_T7_T9_mT8_S1H_bDpT10_ENKUlT_T0_E_clISt17integral_constantIbLb1EES1U_IbLb0EEEEDaS1Q_S1R_EUlS1Q_E_NS1_11comp_targetILNS1_3genE8ELNS1_11target_archE1030ELNS1_3gpuE2ELNS1_3repE0EEENS1_30default_config_static_selectorELNS0_4arch9wavefront6targetE0EEEvS13_
                                        ; -- End function
	.set _ZN7rocprim17ROCPRIM_400000_NS6detail17trampoline_kernelINS0_13select_configILj256ELj13ELNS0_17block_load_methodE3ELS4_3ELS4_3ELNS0_20block_scan_algorithmE0ELj4294967295EEENS1_25partition_config_selectorILNS1_17partition_subalgoE4EjNS0_10empty_typeEbEEZZNS1_14partition_implILS8_4ELb0ES6_15HIP_vector_typeIjLj2EENS0_17counting_iteratorIjlEEPS9_SG_NS0_5tupleIJPjSI_NS0_16reverse_iteratorISI_EEEEENSH_IJSG_SG_SG_EEES9_SI_JZNS1_25segmented_radix_sort_implINS0_14default_configELb0EPK12hip_bfloat16PSP_PKlPlN2at6native12_GLOBAL__N_18offset_tEEE10hipError_tPvRmT1_PNSt15iterator_traitsIS13_E10value_typeET2_T3_PNS14_IS19_E10value_typeET4_jRbjT5_S1F_jjP12ihipStream_tbEUljE_ZNSN_ISO_Lb0ESR_SS_SU_SV_SZ_EES10_S11_S12_S13_S17_S18_S19_S1C_S1D_jS1E_jS1F_S1F_jjS1H_bEUljE0_EEES10_S11_S12_S19_S1D_S1F_T6_T7_T9_mT8_S1H_bDpT10_ENKUlT_T0_E_clISt17integral_constantIbLb1EES1U_IbLb0EEEEDaS1Q_S1R_EUlS1Q_E_NS1_11comp_targetILNS1_3genE8ELNS1_11target_archE1030ELNS1_3gpuE2ELNS1_3repE0EEENS1_30default_config_static_selectorELNS0_4arch9wavefront6targetE0EEEvS13_.num_vgpr, 0
	.set _ZN7rocprim17ROCPRIM_400000_NS6detail17trampoline_kernelINS0_13select_configILj256ELj13ELNS0_17block_load_methodE3ELS4_3ELS4_3ELNS0_20block_scan_algorithmE0ELj4294967295EEENS1_25partition_config_selectorILNS1_17partition_subalgoE4EjNS0_10empty_typeEbEEZZNS1_14partition_implILS8_4ELb0ES6_15HIP_vector_typeIjLj2EENS0_17counting_iteratorIjlEEPS9_SG_NS0_5tupleIJPjSI_NS0_16reverse_iteratorISI_EEEEENSH_IJSG_SG_SG_EEES9_SI_JZNS1_25segmented_radix_sort_implINS0_14default_configELb0EPK12hip_bfloat16PSP_PKlPlN2at6native12_GLOBAL__N_18offset_tEEE10hipError_tPvRmT1_PNSt15iterator_traitsIS13_E10value_typeET2_T3_PNS14_IS19_E10value_typeET4_jRbjT5_S1F_jjP12ihipStream_tbEUljE_ZNSN_ISO_Lb0ESR_SS_SU_SV_SZ_EES10_S11_S12_S13_S17_S18_S19_S1C_S1D_jS1E_jS1F_S1F_jjS1H_bEUljE0_EEES10_S11_S12_S19_S1D_S1F_T6_T7_T9_mT8_S1H_bDpT10_ENKUlT_T0_E_clISt17integral_constantIbLb1EES1U_IbLb0EEEEDaS1Q_S1R_EUlS1Q_E_NS1_11comp_targetILNS1_3genE8ELNS1_11target_archE1030ELNS1_3gpuE2ELNS1_3repE0EEENS1_30default_config_static_selectorELNS0_4arch9wavefront6targetE0EEEvS13_.num_agpr, 0
	.set _ZN7rocprim17ROCPRIM_400000_NS6detail17trampoline_kernelINS0_13select_configILj256ELj13ELNS0_17block_load_methodE3ELS4_3ELS4_3ELNS0_20block_scan_algorithmE0ELj4294967295EEENS1_25partition_config_selectorILNS1_17partition_subalgoE4EjNS0_10empty_typeEbEEZZNS1_14partition_implILS8_4ELb0ES6_15HIP_vector_typeIjLj2EENS0_17counting_iteratorIjlEEPS9_SG_NS0_5tupleIJPjSI_NS0_16reverse_iteratorISI_EEEEENSH_IJSG_SG_SG_EEES9_SI_JZNS1_25segmented_radix_sort_implINS0_14default_configELb0EPK12hip_bfloat16PSP_PKlPlN2at6native12_GLOBAL__N_18offset_tEEE10hipError_tPvRmT1_PNSt15iterator_traitsIS13_E10value_typeET2_T3_PNS14_IS19_E10value_typeET4_jRbjT5_S1F_jjP12ihipStream_tbEUljE_ZNSN_ISO_Lb0ESR_SS_SU_SV_SZ_EES10_S11_S12_S13_S17_S18_S19_S1C_S1D_jS1E_jS1F_S1F_jjS1H_bEUljE0_EEES10_S11_S12_S19_S1D_S1F_T6_T7_T9_mT8_S1H_bDpT10_ENKUlT_T0_E_clISt17integral_constantIbLb1EES1U_IbLb0EEEEDaS1Q_S1R_EUlS1Q_E_NS1_11comp_targetILNS1_3genE8ELNS1_11target_archE1030ELNS1_3gpuE2ELNS1_3repE0EEENS1_30default_config_static_selectorELNS0_4arch9wavefront6targetE0EEEvS13_.numbered_sgpr, 0
	.set _ZN7rocprim17ROCPRIM_400000_NS6detail17trampoline_kernelINS0_13select_configILj256ELj13ELNS0_17block_load_methodE3ELS4_3ELS4_3ELNS0_20block_scan_algorithmE0ELj4294967295EEENS1_25partition_config_selectorILNS1_17partition_subalgoE4EjNS0_10empty_typeEbEEZZNS1_14partition_implILS8_4ELb0ES6_15HIP_vector_typeIjLj2EENS0_17counting_iteratorIjlEEPS9_SG_NS0_5tupleIJPjSI_NS0_16reverse_iteratorISI_EEEEENSH_IJSG_SG_SG_EEES9_SI_JZNS1_25segmented_radix_sort_implINS0_14default_configELb0EPK12hip_bfloat16PSP_PKlPlN2at6native12_GLOBAL__N_18offset_tEEE10hipError_tPvRmT1_PNSt15iterator_traitsIS13_E10value_typeET2_T3_PNS14_IS19_E10value_typeET4_jRbjT5_S1F_jjP12ihipStream_tbEUljE_ZNSN_ISO_Lb0ESR_SS_SU_SV_SZ_EES10_S11_S12_S13_S17_S18_S19_S1C_S1D_jS1E_jS1F_S1F_jjS1H_bEUljE0_EEES10_S11_S12_S19_S1D_S1F_T6_T7_T9_mT8_S1H_bDpT10_ENKUlT_T0_E_clISt17integral_constantIbLb1EES1U_IbLb0EEEEDaS1Q_S1R_EUlS1Q_E_NS1_11comp_targetILNS1_3genE8ELNS1_11target_archE1030ELNS1_3gpuE2ELNS1_3repE0EEENS1_30default_config_static_selectorELNS0_4arch9wavefront6targetE0EEEvS13_.num_named_barrier, 0
	.set _ZN7rocprim17ROCPRIM_400000_NS6detail17trampoline_kernelINS0_13select_configILj256ELj13ELNS0_17block_load_methodE3ELS4_3ELS4_3ELNS0_20block_scan_algorithmE0ELj4294967295EEENS1_25partition_config_selectorILNS1_17partition_subalgoE4EjNS0_10empty_typeEbEEZZNS1_14partition_implILS8_4ELb0ES6_15HIP_vector_typeIjLj2EENS0_17counting_iteratorIjlEEPS9_SG_NS0_5tupleIJPjSI_NS0_16reverse_iteratorISI_EEEEENSH_IJSG_SG_SG_EEES9_SI_JZNS1_25segmented_radix_sort_implINS0_14default_configELb0EPK12hip_bfloat16PSP_PKlPlN2at6native12_GLOBAL__N_18offset_tEEE10hipError_tPvRmT1_PNSt15iterator_traitsIS13_E10value_typeET2_T3_PNS14_IS19_E10value_typeET4_jRbjT5_S1F_jjP12ihipStream_tbEUljE_ZNSN_ISO_Lb0ESR_SS_SU_SV_SZ_EES10_S11_S12_S13_S17_S18_S19_S1C_S1D_jS1E_jS1F_S1F_jjS1H_bEUljE0_EEES10_S11_S12_S19_S1D_S1F_T6_T7_T9_mT8_S1H_bDpT10_ENKUlT_T0_E_clISt17integral_constantIbLb1EES1U_IbLb0EEEEDaS1Q_S1R_EUlS1Q_E_NS1_11comp_targetILNS1_3genE8ELNS1_11target_archE1030ELNS1_3gpuE2ELNS1_3repE0EEENS1_30default_config_static_selectorELNS0_4arch9wavefront6targetE0EEEvS13_.private_seg_size, 0
	.set _ZN7rocprim17ROCPRIM_400000_NS6detail17trampoline_kernelINS0_13select_configILj256ELj13ELNS0_17block_load_methodE3ELS4_3ELS4_3ELNS0_20block_scan_algorithmE0ELj4294967295EEENS1_25partition_config_selectorILNS1_17partition_subalgoE4EjNS0_10empty_typeEbEEZZNS1_14partition_implILS8_4ELb0ES6_15HIP_vector_typeIjLj2EENS0_17counting_iteratorIjlEEPS9_SG_NS0_5tupleIJPjSI_NS0_16reverse_iteratorISI_EEEEENSH_IJSG_SG_SG_EEES9_SI_JZNS1_25segmented_radix_sort_implINS0_14default_configELb0EPK12hip_bfloat16PSP_PKlPlN2at6native12_GLOBAL__N_18offset_tEEE10hipError_tPvRmT1_PNSt15iterator_traitsIS13_E10value_typeET2_T3_PNS14_IS19_E10value_typeET4_jRbjT5_S1F_jjP12ihipStream_tbEUljE_ZNSN_ISO_Lb0ESR_SS_SU_SV_SZ_EES10_S11_S12_S13_S17_S18_S19_S1C_S1D_jS1E_jS1F_S1F_jjS1H_bEUljE0_EEES10_S11_S12_S19_S1D_S1F_T6_T7_T9_mT8_S1H_bDpT10_ENKUlT_T0_E_clISt17integral_constantIbLb1EES1U_IbLb0EEEEDaS1Q_S1R_EUlS1Q_E_NS1_11comp_targetILNS1_3genE8ELNS1_11target_archE1030ELNS1_3gpuE2ELNS1_3repE0EEENS1_30default_config_static_selectorELNS0_4arch9wavefront6targetE0EEEvS13_.uses_vcc, 0
	.set _ZN7rocprim17ROCPRIM_400000_NS6detail17trampoline_kernelINS0_13select_configILj256ELj13ELNS0_17block_load_methodE3ELS4_3ELS4_3ELNS0_20block_scan_algorithmE0ELj4294967295EEENS1_25partition_config_selectorILNS1_17partition_subalgoE4EjNS0_10empty_typeEbEEZZNS1_14partition_implILS8_4ELb0ES6_15HIP_vector_typeIjLj2EENS0_17counting_iteratorIjlEEPS9_SG_NS0_5tupleIJPjSI_NS0_16reverse_iteratorISI_EEEEENSH_IJSG_SG_SG_EEES9_SI_JZNS1_25segmented_radix_sort_implINS0_14default_configELb0EPK12hip_bfloat16PSP_PKlPlN2at6native12_GLOBAL__N_18offset_tEEE10hipError_tPvRmT1_PNSt15iterator_traitsIS13_E10value_typeET2_T3_PNS14_IS19_E10value_typeET4_jRbjT5_S1F_jjP12ihipStream_tbEUljE_ZNSN_ISO_Lb0ESR_SS_SU_SV_SZ_EES10_S11_S12_S13_S17_S18_S19_S1C_S1D_jS1E_jS1F_S1F_jjS1H_bEUljE0_EEES10_S11_S12_S19_S1D_S1F_T6_T7_T9_mT8_S1H_bDpT10_ENKUlT_T0_E_clISt17integral_constantIbLb1EES1U_IbLb0EEEEDaS1Q_S1R_EUlS1Q_E_NS1_11comp_targetILNS1_3genE8ELNS1_11target_archE1030ELNS1_3gpuE2ELNS1_3repE0EEENS1_30default_config_static_selectorELNS0_4arch9wavefront6targetE0EEEvS13_.uses_flat_scratch, 0
	.set _ZN7rocprim17ROCPRIM_400000_NS6detail17trampoline_kernelINS0_13select_configILj256ELj13ELNS0_17block_load_methodE3ELS4_3ELS4_3ELNS0_20block_scan_algorithmE0ELj4294967295EEENS1_25partition_config_selectorILNS1_17partition_subalgoE4EjNS0_10empty_typeEbEEZZNS1_14partition_implILS8_4ELb0ES6_15HIP_vector_typeIjLj2EENS0_17counting_iteratorIjlEEPS9_SG_NS0_5tupleIJPjSI_NS0_16reverse_iteratorISI_EEEEENSH_IJSG_SG_SG_EEES9_SI_JZNS1_25segmented_radix_sort_implINS0_14default_configELb0EPK12hip_bfloat16PSP_PKlPlN2at6native12_GLOBAL__N_18offset_tEEE10hipError_tPvRmT1_PNSt15iterator_traitsIS13_E10value_typeET2_T3_PNS14_IS19_E10value_typeET4_jRbjT5_S1F_jjP12ihipStream_tbEUljE_ZNSN_ISO_Lb0ESR_SS_SU_SV_SZ_EES10_S11_S12_S13_S17_S18_S19_S1C_S1D_jS1E_jS1F_S1F_jjS1H_bEUljE0_EEES10_S11_S12_S19_S1D_S1F_T6_T7_T9_mT8_S1H_bDpT10_ENKUlT_T0_E_clISt17integral_constantIbLb1EES1U_IbLb0EEEEDaS1Q_S1R_EUlS1Q_E_NS1_11comp_targetILNS1_3genE8ELNS1_11target_archE1030ELNS1_3gpuE2ELNS1_3repE0EEENS1_30default_config_static_selectorELNS0_4arch9wavefront6targetE0EEEvS13_.has_dyn_sized_stack, 0
	.set _ZN7rocprim17ROCPRIM_400000_NS6detail17trampoline_kernelINS0_13select_configILj256ELj13ELNS0_17block_load_methodE3ELS4_3ELS4_3ELNS0_20block_scan_algorithmE0ELj4294967295EEENS1_25partition_config_selectorILNS1_17partition_subalgoE4EjNS0_10empty_typeEbEEZZNS1_14partition_implILS8_4ELb0ES6_15HIP_vector_typeIjLj2EENS0_17counting_iteratorIjlEEPS9_SG_NS0_5tupleIJPjSI_NS0_16reverse_iteratorISI_EEEEENSH_IJSG_SG_SG_EEES9_SI_JZNS1_25segmented_radix_sort_implINS0_14default_configELb0EPK12hip_bfloat16PSP_PKlPlN2at6native12_GLOBAL__N_18offset_tEEE10hipError_tPvRmT1_PNSt15iterator_traitsIS13_E10value_typeET2_T3_PNS14_IS19_E10value_typeET4_jRbjT5_S1F_jjP12ihipStream_tbEUljE_ZNSN_ISO_Lb0ESR_SS_SU_SV_SZ_EES10_S11_S12_S13_S17_S18_S19_S1C_S1D_jS1E_jS1F_S1F_jjS1H_bEUljE0_EEES10_S11_S12_S19_S1D_S1F_T6_T7_T9_mT8_S1H_bDpT10_ENKUlT_T0_E_clISt17integral_constantIbLb1EES1U_IbLb0EEEEDaS1Q_S1R_EUlS1Q_E_NS1_11comp_targetILNS1_3genE8ELNS1_11target_archE1030ELNS1_3gpuE2ELNS1_3repE0EEENS1_30default_config_static_selectorELNS0_4arch9wavefront6targetE0EEEvS13_.has_recursion, 0
	.set _ZN7rocprim17ROCPRIM_400000_NS6detail17trampoline_kernelINS0_13select_configILj256ELj13ELNS0_17block_load_methodE3ELS4_3ELS4_3ELNS0_20block_scan_algorithmE0ELj4294967295EEENS1_25partition_config_selectorILNS1_17partition_subalgoE4EjNS0_10empty_typeEbEEZZNS1_14partition_implILS8_4ELb0ES6_15HIP_vector_typeIjLj2EENS0_17counting_iteratorIjlEEPS9_SG_NS0_5tupleIJPjSI_NS0_16reverse_iteratorISI_EEEEENSH_IJSG_SG_SG_EEES9_SI_JZNS1_25segmented_radix_sort_implINS0_14default_configELb0EPK12hip_bfloat16PSP_PKlPlN2at6native12_GLOBAL__N_18offset_tEEE10hipError_tPvRmT1_PNSt15iterator_traitsIS13_E10value_typeET2_T3_PNS14_IS19_E10value_typeET4_jRbjT5_S1F_jjP12ihipStream_tbEUljE_ZNSN_ISO_Lb0ESR_SS_SU_SV_SZ_EES10_S11_S12_S13_S17_S18_S19_S1C_S1D_jS1E_jS1F_S1F_jjS1H_bEUljE0_EEES10_S11_S12_S19_S1D_S1F_T6_T7_T9_mT8_S1H_bDpT10_ENKUlT_T0_E_clISt17integral_constantIbLb1EES1U_IbLb0EEEEDaS1Q_S1R_EUlS1Q_E_NS1_11comp_targetILNS1_3genE8ELNS1_11target_archE1030ELNS1_3gpuE2ELNS1_3repE0EEENS1_30default_config_static_selectorELNS0_4arch9wavefront6targetE0EEEvS13_.has_indirect_call, 0
	.section	.AMDGPU.csdata,"",@progbits
; Kernel info:
; codeLenInByte = 0
; TotalNumSgprs: 0
; NumVgprs: 0
; ScratchSize: 0
; MemoryBound: 0
; FloatMode: 240
; IeeeMode: 1
; LDSByteSize: 0 bytes/workgroup (compile time only)
; SGPRBlocks: 0
; VGPRBlocks: 0
; NumSGPRsForWavesPerEU: 1
; NumVGPRsForWavesPerEU: 1
; Occupancy: 16
; WaveLimiterHint : 0
; COMPUTE_PGM_RSRC2:SCRATCH_EN: 0
; COMPUTE_PGM_RSRC2:USER_SGPR: 2
; COMPUTE_PGM_RSRC2:TRAP_HANDLER: 0
; COMPUTE_PGM_RSRC2:TGID_X_EN: 1
; COMPUTE_PGM_RSRC2:TGID_Y_EN: 0
; COMPUTE_PGM_RSRC2:TGID_Z_EN: 0
; COMPUTE_PGM_RSRC2:TIDIG_COMP_CNT: 0
	.section	.text._ZN7rocprim17ROCPRIM_400000_NS6detail17trampoline_kernelINS0_13select_configILj256ELj13ELNS0_17block_load_methodE3ELS4_3ELS4_3ELNS0_20block_scan_algorithmE0ELj4294967295EEENS1_25partition_config_selectorILNS1_17partition_subalgoE4EjNS0_10empty_typeEbEEZZNS1_14partition_implILS8_4ELb0ES6_15HIP_vector_typeIjLj2EENS0_17counting_iteratorIjlEEPS9_SG_NS0_5tupleIJPjSI_NS0_16reverse_iteratorISI_EEEEENSH_IJSG_SG_SG_EEES9_SI_JZNS1_25segmented_radix_sort_implINS0_14default_configELb0EPK12hip_bfloat16PSP_PKlPlN2at6native12_GLOBAL__N_18offset_tEEE10hipError_tPvRmT1_PNSt15iterator_traitsIS13_E10value_typeET2_T3_PNS14_IS19_E10value_typeET4_jRbjT5_S1F_jjP12ihipStream_tbEUljE_ZNSN_ISO_Lb0ESR_SS_SU_SV_SZ_EES10_S11_S12_S13_S17_S18_S19_S1C_S1D_jS1E_jS1F_S1F_jjS1H_bEUljE0_EEES10_S11_S12_S19_S1D_S1F_T6_T7_T9_mT8_S1H_bDpT10_ENKUlT_T0_E_clISt17integral_constantIbLb0EES1U_IbLb1EEEEDaS1Q_S1R_EUlS1Q_E_NS1_11comp_targetILNS1_3genE0ELNS1_11target_archE4294967295ELNS1_3gpuE0ELNS1_3repE0EEENS1_30default_config_static_selectorELNS0_4arch9wavefront6targetE0EEEvS13_,"axG",@progbits,_ZN7rocprim17ROCPRIM_400000_NS6detail17trampoline_kernelINS0_13select_configILj256ELj13ELNS0_17block_load_methodE3ELS4_3ELS4_3ELNS0_20block_scan_algorithmE0ELj4294967295EEENS1_25partition_config_selectorILNS1_17partition_subalgoE4EjNS0_10empty_typeEbEEZZNS1_14partition_implILS8_4ELb0ES6_15HIP_vector_typeIjLj2EENS0_17counting_iteratorIjlEEPS9_SG_NS0_5tupleIJPjSI_NS0_16reverse_iteratorISI_EEEEENSH_IJSG_SG_SG_EEES9_SI_JZNS1_25segmented_radix_sort_implINS0_14default_configELb0EPK12hip_bfloat16PSP_PKlPlN2at6native12_GLOBAL__N_18offset_tEEE10hipError_tPvRmT1_PNSt15iterator_traitsIS13_E10value_typeET2_T3_PNS14_IS19_E10value_typeET4_jRbjT5_S1F_jjP12ihipStream_tbEUljE_ZNSN_ISO_Lb0ESR_SS_SU_SV_SZ_EES10_S11_S12_S13_S17_S18_S19_S1C_S1D_jS1E_jS1F_S1F_jjS1H_bEUljE0_EEES10_S11_S12_S19_S1D_S1F_T6_T7_T9_mT8_S1H_bDpT10_ENKUlT_T0_E_clISt17integral_constantIbLb0EES1U_IbLb1EEEEDaS1Q_S1R_EUlS1Q_E_NS1_11comp_targetILNS1_3genE0ELNS1_11target_archE4294967295ELNS1_3gpuE0ELNS1_3repE0EEENS1_30default_config_static_selectorELNS0_4arch9wavefront6targetE0EEEvS13_,comdat
	.globl	_ZN7rocprim17ROCPRIM_400000_NS6detail17trampoline_kernelINS0_13select_configILj256ELj13ELNS0_17block_load_methodE3ELS4_3ELS4_3ELNS0_20block_scan_algorithmE0ELj4294967295EEENS1_25partition_config_selectorILNS1_17partition_subalgoE4EjNS0_10empty_typeEbEEZZNS1_14partition_implILS8_4ELb0ES6_15HIP_vector_typeIjLj2EENS0_17counting_iteratorIjlEEPS9_SG_NS0_5tupleIJPjSI_NS0_16reverse_iteratorISI_EEEEENSH_IJSG_SG_SG_EEES9_SI_JZNS1_25segmented_radix_sort_implINS0_14default_configELb0EPK12hip_bfloat16PSP_PKlPlN2at6native12_GLOBAL__N_18offset_tEEE10hipError_tPvRmT1_PNSt15iterator_traitsIS13_E10value_typeET2_T3_PNS14_IS19_E10value_typeET4_jRbjT5_S1F_jjP12ihipStream_tbEUljE_ZNSN_ISO_Lb0ESR_SS_SU_SV_SZ_EES10_S11_S12_S13_S17_S18_S19_S1C_S1D_jS1E_jS1F_S1F_jjS1H_bEUljE0_EEES10_S11_S12_S19_S1D_S1F_T6_T7_T9_mT8_S1H_bDpT10_ENKUlT_T0_E_clISt17integral_constantIbLb0EES1U_IbLb1EEEEDaS1Q_S1R_EUlS1Q_E_NS1_11comp_targetILNS1_3genE0ELNS1_11target_archE4294967295ELNS1_3gpuE0ELNS1_3repE0EEENS1_30default_config_static_selectorELNS0_4arch9wavefront6targetE0EEEvS13_ ; -- Begin function _ZN7rocprim17ROCPRIM_400000_NS6detail17trampoline_kernelINS0_13select_configILj256ELj13ELNS0_17block_load_methodE3ELS4_3ELS4_3ELNS0_20block_scan_algorithmE0ELj4294967295EEENS1_25partition_config_selectorILNS1_17partition_subalgoE4EjNS0_10empty_typeEbEEZZNS1_14partition_implILS8_4ELb0ES6_15HIP_vector_typeIjLj2EENS0_17counting_iteratorIjlEEPS9_SG_NS0_5tupleIJPjSI_NS0_16reverse_iteratorISI_EEEEENSH_IJSG_SG_SG_EEES9_SI_JZNS1_25segmented_radix_sort_implINS0_14default_configELb0EPK12hip_bfloat16PSP_PKlPlN2at6native12_GLOBAL__N_18offset_tEEE10hipError_tPvRmT1_PNSt15iterator_traitsIS13_E10value_typeET2_T3_PNS14_IS19_E10value_typeET4_jRbjT5_S1F_jjP12ihipStream_tbEUljE_ZNSN_ISO_Lb0ESR_SS_SU_SV_SZ_EES10_S11_S12_S13_S17_S18_S19_S1C_S1D_jS1E_jS1F_S1F_jjS1H_bEUljE0_EEES10_S11_S12_S19_S1D_S1F_T6_T7_T9_mT8_S1H_bDpT10_ENKUlT_T0_E_clISt17integral_constantIbLb0EES1U_IbLb1EEEEDaS1Q_S1R_EUlS1Q_E_NS1_11comp_targetILNS1_3genE0ELNS1_11target_archE4294967295ELNS1_3gpuE0ELNS1_3repE0EEENS1_30default_config_static_selectorELNS0_4arch9wavefront6targetE0EEEvS13_
	.p2align	8
	.type	_ZN7rocprim17ROCPRIM_400000_NS6detail17trampoline_kernelINS0_13select_configILj256ELj13ELNS0_17block_load_methodE3ELS4_3ELS4_3ELNS0_20block_scan_algorithmE0ELj4294967295EEENS1_25partition_config_selectorILNS1_17partition_subalgoE4EjNS0_10empty_typeEbEEZZNS1_14partition_implILS8_4ELb0ES6_15HIP_vector_typeIjLj2EENS0_17counting_iteratorIjlEEPS9_SG_NS0_5tupleIJPjSI_NS0_16reverse_iteratorISI_EEEEENSH_IJSG_SG_SG_EEES9_SI_JZNS1_25segmented_radix_sort_implINS0_14default_configELb0EPK12hip_bfloat16PSP_PKlPlN2at6native12_GLOBAL__N_18offset_tEEE10hipError_tPvRmT1_PNSt15iterator_traitsIS13_E10value_typeET2_T3_PNS14_IS19_E10value_typeET4_jRbjT5_S1F_jjP12ihipStream_tbEUljE_ZNSN_ISO_Lb0ESR_SS_SU_SV_SZ_EES10_S11_S12_S13_S17_S18_S19_S1C_S1D_jS1E_jS1F_S1F_jjS1H_bEUljE0_EEES10_S11_S12_S19_S1D_S1F_T6_T7_T9_mT8_S1H_bDpT10_ENKUlT_T0_E_clISt17integral_constantIbLb0EES1U_IbLb1EEEEDaS1Q_S1R_EUlS1Q_E_NS1_11comp_targetILNS1_3genE0ELNS1_11target_archE4294967295ELNS1_3gpuE0ELNS1_3repE0EEENS1_30default_config_static_selectorELNS0_4arch9wavefront6targetE0EEEvS13_,@function
_ZN7rocprim17ROCPRIM_400000_NS6detail17trampoline_kernelINS0_13select_configILj256ELj13ELNS0_17block_load_methodE3ELS4_3ELS4_3ELNS0_20block_scan_algorithmE0ELj4294967295EEENS1_25partition_config_selectorILNS1_17partition_subalgoE4EjNS0_10empty_typeEbEEZZNS1_14partition_implILS8_4ELb0ES6_15HIP_vector_typeIjLj2EENS0_17counting_iteratorIjlEEPS9_SG_NS0_5tupleIJPjSI_NS0_16reverse_iteratorISI_EEEEENSH_IJSG_SG_SG_EEES9_SI_JZNS1_25segmented_radix_sort_implINS0_14default_configELb0EPK12hip_bfloat16PSP_PKlPlN2at6native12_GLOBAL__N_18offset_tEEE10hipError_tPvRmT1_PNSt15iterator_traitsIS13_E10value_typeET2_T3_PNS14_IS19_E10value_typeET4_jRbjT5_S1F_jjP12ihipStream_tbEUljE_ZNSN_ISO_Lb0ESR_SS_SU_SV_SZ_EES10_S11_S12_S13_S17_S18_S19_S1C_S1D_jS1E_jS1F_S1F_jjS1H_bEUljE0_EEES10_S11_S12_S19_S1D_S1F_T6_T7_T9_mT8_S1H_bDpT10_ENKUlT_T0_E_clISt17integral_constantIbLb0EES1U_IbLb1EEEEDaS1Q_S1R_EUlS1Q_E_NS1_11comp_targetILNS1_3genE0ELNS1_11target_archE4294967295ELNS1_3gpuE0ELNS1_3repE0EEENS1_30default_config_static_selectorELNS0_4arch9wavefront6targetE0EEEvS13_: ; @_ZN7rocprim17ROCPRIM_400000_NS6detail17trampoline_kernelINS0_13select_configILj256ELj13ELNS0_17block_load_methodE3ELS4_3ELS4_3ELNS0_20block_scan_algorithmE0ELj4294967295EEENS1_25partition_config_selectorILNS1_17partition_subalgoE4EjNS0_10empty_typeEbEEZZNS1_14partition_implILS8_4ELb0ES6_15HIP_vector_typeIjLj2EENS0_17counting_iteratorIjlEEPS9_SG_NS0_5tupleIJPjSI_NS0_16reverse_iteratorISI_EEEEENSH_IJSG_SG_SG_EEES9_SI_JZNS1_25segmented_radix_sort_implINS0_14default_configELb0EPK12hip_bfloat16PSP_PKlPlN2at6native12_GLOBAL__N_18offset_tEEE10hipError_tPvRmT1_PNSt15iterator_traitsIS13_E10value_typeET2_T3_PNS14_IS19_E10value_typeET4_jRbjT5_S1F_jjP12ihipStream_tbEUljE_ZNSN_ISO_Lb0ESR_SS_SU_SV_SZ_EES10_S11_S12_S13_S17_S18_S19_S1C_S1D_jS1E_jS1F_S1F_jjS1H_bEUljE0_EEES10_S11_S12_S19_S1D_S1F_T6_T7_T9_mT8_S1H_bDpT10_ENKUlT_T0_E_clISt17integral_constantIbLb0EES1U_IbLb1EEEEDaS1Q_S1R_EUlS1Q_E_NS1_11comp_targetILNS1_3genE0ELNS1_11target_archE4294967295ELNS1_3gpuE0ELNS1_3repE0EEENS1_30default_config_static_selectorELNS0_4arch9wavefront6targetE0EEEvS13_
; %bb.0:
	.section	.rodata,"a",@progbits
	.p2align	6, 0x0
	.amdhsa_kernel _ZN7rocprim17ROCPRIM_400000_NS6detail17trampoline_kernelINS0_13select_configILj256ELj13ELNS0_17block_load_methodE3ELS4_3ELS4_3ELNS0_20block_scan_algorithmE0ELj4294967295EEENS1_25partition_config_selectorILNS1_17partition_subalgoE4EjNS0_10empty_typeEbEEZZNS1_14partition_implILS8_4ELb0ES6_15HIP_vector_typeIjLj2EENS0_17counting_iteratorIjlEEPS9_SG_NS0_5tupleIJPjSI_NS0_16reverse_iteratorISI_EEEEENSH_IJSG_SG_SG_EEES9_SI_JZNS1_25segmented_radix_sort_implINS0_14default_configELb0EPK12hip_bfloat16PSP_PKlPlN2at6native12_GLOBAL__N_18offset_tEEE10hipError_tPvRmT1_PNSt15iterator_traitsIS13_E10value_typeET2_T3_PNS14_IS19_E10value_typeET4_jRbjT5_S1F_jjP12ihipStream_tbEUljE_ZNSN_ISO_Lb0ESR_SS_SU_SV_SZ_EES10_S11_S12_S13_S17_S18_S19_S1C_S1D_jS1E_jS1F_S1F_jjS1H_bEUljE0_EEES10_S11_S12_S19_S1D_S1F_T6_T7_T9_mT8_S1H_bDpT10_ENKUlT_T0_E_clISt17integral_constantIbLb0EES1U_IbLb1EEEEDaS1Q_S1R_EUlS1Q_E_NS1_11comp_targetILNS1_3genE0ELNS1_11target_archE4294967295ELNS1_3gpuE0ELNS1_3repE0EEENS1_30default_config_static_selectorELNS0_4arch9wavefront6targetE0EEEvS13_
		.amdhsa_group_segment_fixed_size 0
		.amdhsa_private_segment_fixed_size 0
		.amdhsa_kernarg_size 184
		.amdhsa_user_sgpr_count 2
		.amdhsa_user_sgpr_dispatch_ptr 0
		.amdhsa_user_sgpr_queue_ptr 0
		.amdhsa_user_sgpr_kernarg_segment_ptr 1
		.amdhsa_user_sgpr_dispatch_id 0
		.amdhsa_user_sgpr_private_segment_size 0
		.amdhsa_wavefront_size32 1
		.amdhsa_uses_dynamic_stack 0
		.amdhsa_enable_private_segment 0
		.amdhsa_system_sgpr_workgroup_id_x 1
		.amdhsa_system_sgpr_workgroup_id_y 0
		.amdhsa_system_sgpr_workgroup_id_z 0
		.amdhsa_system_sgpr_workgroup_info 0
		.amdhsa_system_vgpr_workitem_id 0
		.amdhsa_next_free_vgpr 1
		.amdhsa_next_free_sgpr 1
		.amdhsa_reserve_vcc 0
		.amdhsa_float_round_mode_32 0
		.amdhsa_float_round_mode_16_64 0
		.amdhsa_float_denorm_mode_32 3
		.amdhsa_float_denorm_mode_16_64 3
		.amdhsa_fp16_overflow 0
		.amdhsa_workgroup_processor_mode 1
		.amdhsa_memory_ordered 1
		.amdhsa_forward_progress 1
		.amdhsa_inst_pref_size 0
		.amdhsa_round_robin_scheduling 0
		.amdhsa_exception_fp_ieee_invalid_op 0
		.amdhsa_exception_fp_denorm_src 0
		.amdhsa_exception_fp_ieee_div_zero 0
		.amdhsa_exception_fp_ieee_overflow 0
		.amdhsa_exception_fp_ieee_underflow 0
		.amdhsa_exception_fp_ieee_inexact 0
		.amdhsa_exception_int_div_zero 0
	.end_amdhsa_kernel
	.section	.text._ZN7rocprim17ROCPRIM_400000_NS6detail17trampoline_kernelINS0_13select_configILj256ELj13ELNS0_17block_load_methodE3ELS4_3ELS4_3ELNS0_20block_scan_algorithmE0ELj4294967295EEENS1_25partition_config_selectorILNS1_17partition_subalgoE4EjNS0_10empty_typeEbEEZZNS1_14partition_implILS8_4ELb0ES6_15HIP_vector_typeIjLj2EENS0_17counting_iteratorIjlEEPS9_SG_NS0_5tupleIJPjSI_NS0_16reverse_iteratorISI_EEEEENSH_IJSG_SG_SG_EEES9_SI_JZNS1_25segmented_radix_sort_implINS0_14default_configELb0EPK12hip_bfloat16PSP_PKlPlN2at6native12_GLOBAL__N_18offset_tEEE10hipError_tPvRmT1_PNSt15iterator_traitsIS13_E10value_typeET2_T3_PNS14_IS19_E10value_typeET4_jRbjT5_S1F_jjP12ihipStream_tbEUljE_ZNSN_ISO_Lb0ESR_SS_SU_SV_SZ_EES10_S11_S12_S13_S17_S18_S19_S1C_S1D_jS1E_jS1F_S1F_jjS1H_bEUljE0_EEES10_S11_S12_S19_S1D_S1F_T6_T7_T9_mT8_S1H_bDpT10_ENKUlT_T0_E_clISt17integral_constantIbLb0EES1U_IbLb1EEEEDaS1Q_S1R_EUlS1Q_E_NS1_11comp_targetILNS1_3genE0ELNS1_11target_archE4294967295ELNS1_3gpuE0ELNS1_3repE0EEENS1_30default_config_static_selectorELNS0_4arch9wavefront6targetE0EEEvS13_,"axG",@progbits,_ZN7rocprim17ROCPRIM_400000_NS6detail17trampoline_kernelINS0_13select_configILj256ELj13ELNS0_17block_load_methodE3ELS4_3ELS4_3ELNS0_20block_scan_algorithmE0ELj4294967295EEENS1_25partition_config_selectorILNS1_17partition_subalgoE4EjNS0_10empty_typeEbEEZZNS1_14partition_implILS8_4ELb0ES6_15HIP_vector_typeIjLj2EENS0_17counting_iteratorIjlEEPS9_SG_NS0_5tupleIJPjSI_NS0_16reverse_iteratorISI_EEEEENSH_IJSG_SG_SG_EEES9_SI_JZNS1_25segmented_radix_sort_implINS0_14default_configELb0EPK12hip_bfloat16PSP_PKlPlN2at6native12_GLOBAL__N_18offset_tEEE10hipError_tPvRmT1_PNSt15iterator_traitsIS13_E10value_typeET2_T3_PNS14_IS19_E10value_typeET4_jRbjT5_S1F_jjP12ihipStream_tbEUljE_ZNSN_ISO_Lb0ESR_SS_SU_SV_SZ_EES10_S11_S12_S13_S17_S18_S19_S1C_S1D_jS1E_jS1F_S1F_jjS1H_bEUljE0_EEES10_S11_S12_S19_S1D_S1F_T6_T7_T9_mT8_S1H_bDpT10_ENKUlT_T0_E_clISt17integral_constantIbLb0EES1U_IbLb1EEEEDaS1Q_S1R_EUlS1Q_E_NS1_11comp_targetILNS1_3genE0ELNS1_11target_archE4294967295ELNS1_3gpuE0ELNS1_3repE0EEENS1_30default_config_static_selectorELNS0_4arch9wavefront6targetE0EEEvS13_,comdat
.Lfunc_end2009:
	.size	_ZN7rocprim17ROCPRIM_400000_NS6detail17trampoline_kernelINS0_13select_configILj256ELj13ELNS0_17block_load_methodE3ELS4_3ELS4_3ELNS0_20block_scan_algorithmE0ELj4294967295EEENS1_25partition_config_selectorILNS1_17partition_subalgoE4EjNS0_10empty_typeEbEEZZNS1_14partition_implILS8_4ELb0ES6_15HIP_vector_typeIjLj2EENS0_17counting_iteratorIjlEEPS9_SG_NS0_5tupleIJPjSI_NS0_16reverse_iteratorISI_EEEEENSH_IJSG_SG_SG_EEES9_SI_JZNS1_25segmented_radix_sort_implINS0_14default_configELb0EPK12hip_bfloat16PSP_PKlPlN2at6native12_GLOBAL__N_18offset_tEEE10hipError_tPvRmT1_PNSt15iterator_traitsIS13_E10value_typeET2_T3_PNS14_IS19_E10value_typeET4_jRbjT5_S1F_jjP12ihipStream_tbEUljE_ZNSN_ISO_Lb0ESR_SS_SU_SV_SZ_EES10_S11_S12_S13_S17_S18_S19_S1C_S1D_jS1E_jS1F_S1F_jjS1H_bEUljE0_EEES10_S11_S12_S19_S1D_S1F_T6_T7_T9_mT8_S1H_bDpT10_ENKUlT_T0_E_clISt17integral_constantIbLb0EES1U_IbLb1EEEEDaS1Q_S1R_EUlS1Q_E_NS1_11comp_targetILNS1_3genE0ELNS1_11target_archE4294967295ELNS1_3gpuE0ELNS1_3repE0EEENS1_30default_config_static_selectorELNS0_4arch9wavefront6targetE0EEEvS13_, .Lfunc_end2009-_ZN7rocprim17ROCPRIM_400000_NS6detail17trampoline_kernelINS0_13select_configILj256ELj13ELNS0_17block_load_methodE3ELS4_3ELS4_3ELNS0_20block_scan_algorithmE0ELj4294967295EEENS1_25partition_config_selectorILNS1_17partition_subalgoE4EjNS0_10empty_typeEbEEZZNS1_14partition_implILS8_4ELb0ES6_15HIP_vector_typeIjLj2EENS0_17counting_iteratorIjlEEPS9_SG_NS0_5tupleIJPjSI_NS0_16reverse_iteratorISI_EEEEENSH_IJSG_SG_SG_EEES9_SI_JZNS1_25segmented_radix_sort_implINS0_14default_configELb0EPK12hip_bfloat16PSP_PKlPlN2at6native12_GLOBAL__N_18offset_tEEE10hipError_tPvRmT1_PNSt15iterator_traitsIS13_E10value_typeET2_T3_PNS14_IS19_E10value_typeET4_jRbjT5_S1F_jjP12ihipStream_tbEUljE_ZNSN_ISO_Lb0ESR_SS_SU_SV_SZ_EES10_S11_S12_S13_S17_S18_S19_S1C_S1D_jS1E_jS1F_S1F_jjS1H_bEUljE0_EEES10_S11_S12_S19_S1D_S1F_T6_T7_T9_mT8_S1H_bDpT10_ENKUlT_T0_E_clISt17integral_constantIbLb0EES1U_IbLb1EEEEDaS1Q_S1R_EUlS1Q_E_NS1_11comp_targetILNS1_3genE0ELNS1_11target_archE4294967295ELNS1_3gpuE0ELNS1_3repE0EEENS1_30default_config_static_selectorELNS0_4arch9wavefront6targetE0EEEvS13_
                                        ; -- End function
	.set _ZN7rocprim17ROCPRIM_400000_NS6detail17trampoline_kernelINS0_13select_configILj256ELj13ELNS0_17block_load_methodE3ELS4_3ELS4_3ELNS0_20block_scan_algorithmE0ELj4294967295EEENS1_25partition_config_selectorILNS1_17partition_subalgoE4EjNS0_10empty_typeEbEEZZNS1_14partition_implILS8_4ELb0ES6_15HIP_vector_typeIjLj2EENS0_17counting_iteratorIjlEEPS9_SG_NS0_5tupleIJPjSI_NS0_16reverse_iteratorISI_EEEEENSH_IJSG_SG_SG_EEES9_SI_JZNS1_25segmented_radix_sort_implINS0_14default_configELb0EPK12hip_bfloat16PSP_PKlPlN2at6native12_GLOBAL__N_18offset_tEEE10hipError_tPvRmT1_PNSt15iterator_traitsIS13_E10value_typeET2_T3_PNS14_IS19_E10value_typeET4_jRbjT5_S1F_jjP12ihipStream_tbEUljE_ZNSN_ISO_Lb0ESR_SS_SU_SV_SZ_EES10_S11_S12_S13_S17_S18_S19_S1C_S1D_jS1E_jS1F_S1F_jjS1H_bEUljE0_EEES10_S11_S12_S19_S1D_S1F_T6_T7_T9_mT8_S1H_bDpT10_ENKUlT_T0_E_clISt17integral_constantIbLb0EES1U_IbLb1EEEEDaS1Q_S1R_EUlS1Q_E_NS1_11comp_targetILNS1_3genE0ELNS1_11target_archE4294967295ELNS1_3gpuE0ELNS1_3repE0EEENS1_30default_config_static_selectorELNS0_4arch9wavefront6targetE0EEEvS13_.num_vgpr, 0
	.set _ZN7rocprim17ROCPRIM_400000_NS6detail17trampoline_kernelINS0_13select_configILj256ELj13ELNS0_17block_load_methodE3ELS4_3ELS4_3ELNS0_20block_scan_algorithmE0ELj4294967295EEENS1_25partition_config_selectorILNS1_17partition_subalgoE4EjNS0_10empty_typeEbEEZZNS1_14partition_implILS8_4ELb0ES6_15HIP_vector_typeIjLj2EENS0_17counting_iteratorIjlEEPS9_SG_NS0_5tupleIJPjSI_NS0_16reverse_iteratorISI_EEEEENSH_IJSG_SG_SG_EEES9_SI_JZNS1_25segmented_radix_sort_implINS0_14default_configELb0EPK12hip_bfloat16PSP_PKlPlN2at6native12_GLOBAL__N_18offset_tEEE10hipError_tPvRmT1_PNSt15iterator_traitsIS13_E10value_typeET2_T3_PNS14_IS19_E10value_typeET4_jRbjT5_S1F_jjP12ihipStream_tbEUljE_ZNSN_ISO_Lb0ESR_SS_SU_SV_SZ_EES10_S11_S12_S13_S17_S18_S19_S1C_S1D_jS1E_jS1F_S1F_jjS1H_bEUljE0_EEES10_S11_S12_S19_S1D_S1F_T6_T7_T9_mT8_S1H_bDpT10_ENKUlT_T0_E_clISt17integral_constantIbLb0EES1U_IbLb1EEEEDaS1Q_S1R_EUlS1Q_E_NS1_11comp_targetILNS1_3genE0ELNS1_11target_archE4294967295ELNS1_3gpuE0ELNS1_3repE0EEENS1_30default_config_static_selectorELNS0_4arch9wavefront6targetE0EEEvS13_.num_agpr, 0
	.set _ZN7rocprim17ROCPRIM_400000_NS6detail17trampoline_kernelINS0_13select_configILj256ELj13ELNS0_17block_load_methodE3ELS4_3ELS4_3ELNS0_20block_scan_algorithmE0ELj4294967295EEENS1_25partition_config_selectorILNS1_17partition_subalgoE4EjNS0_10empty_typeEbEEZZNS1_14partition_implILS8_4ELb0ES6_15HIP_vector_typeIjLj2EENS0_17counting_iteratorIjlEEPS9_SG_NS0_5tupleIJPjSI_NS0_16reverse_iteratorISI_EEEEENSH_IJSG_SG_SG_EEES9_SI_JZNS1_25segmented_radix_sort_implINS0_14default_configELb0EPK12hip_bfloat16PSP_PKlPlN2at6native12_GLOBAL__N_18offset_tEEE10hipError_tPvRmT1_PNSt15iterator_traitsIS13_E10value_typeET2_T3_PNS14_IS19_E10value_typeET4_jRbjT5_S1F_jjP12ihipStream_tbEUljE_ZNSN_ISO_Lb0ESR_SS_SU_SV_SZ_EES10_S11_S12_S13_S17_S18_S19_S1C_S1D_jS1E_jS1F_S1F_jjS1H_bEUljE0_EEES10_S11_S12_S19_S1D_S1F_T6_T7_T9_mT8_S1H_bDpT10_ENKUlT_T0_E_clISt17integral_constantIbLb0EES1U_IbLb1EEEEDaS1Q_S1R_EUlS1Q_E_NS1_11comp_targetILNS1_3genE0ELNS1_11target_archE4294967295ELNS1_3gpuE0ELNS1_3repE0EEENS1_30default_config_static_selectorELNS0_4arch9wavefront6targetE0EEEvS13_.numbered_sgpr, 0
	.set _ZN7rocprim17ROCPRIM_400000_NS6detail17trampoline_kernelINS0_13select_configILj256ELj13ELNS0_17block_load_methodE3ELS4_3ELS4_3ELNS0_20block_scan_algorithmE0ELj4294967295EEENS1_25partition_config_selectorILNS1_17partition_subalgoE4EjNS0_10empty_typeEbEEZZNS1_14partition_implILS8_4ELb0ES6_15HIP_vector_typeIjLj2EENS0_17counting_iteratorIjlEEPS9_SG_NS0_5tupleIJPjSI_NS0_16reverse_iteratorISI_EEEEENSH_IJSG_SG_SG_EEES9_SI_JZNS1_25segmented_radix_sort_implINS0_14default_configELb0EPK12hip_bfloat16PSP_PKlPlN2at6native12_GLOBAL__N_18offset_tEEE10hipError_tPvRmT1_PNSt15iterator_traitsIS13_E10value_typeET2_T3_PNS14_IS19_E10value_typeET4_jRbjT5_S1F_jjP12ihipStream_tbEUljE_ZNSN_ISO_Lb0ESR_SS_SU_SV_SZ_EES10_S11_S12_S13_S17_S18_S19_S1C_S1D_jS1E_jS1F_S1F_jjS1H_bEUljE0_EEES10_S11_S12_S19_S1D_S1F_T6_T7_T9_mT8_S1H_bDpT10_ENKUlT_T0_E_clISt17integral_constantIbLb0EES1U_IbLb1EEEEDaS1Q_S1R_EUlS1Q_E_NS1_11comp_targetILNS1_3genE0ELNS1_11target_archE4294967295ELNS1_3gpuE0ELNS1_3repE0EEENS1_30default_config_static_selectorELNS0_4arch9wavefront6targetE0EEEvS13_.num_named_barrier, 0
	.set _ZN7rocprim17ROCPRIM_400000_NS6detail17trampoline_kernelINS0_13select_configILj256ELj13ELNS0_17block_load_methodE3ELS4_3ELS4_3ELNS0_20block_scan_algorithmE0ELj4294967295EEENS1_25partition_config_selectorILNS1_17partition_subalgoE4EjNS0_10empty_typeEbEEZZNS1_14partition_implILS8_4ELb0ES6_15HIP_vector_typeIjLj2EENS0_17counting_iteratorIjlEEPS9_SG_NS0_5tupleIJPjSI_NS0_16reverse_iteratorISI_EEEEENSH_IJSG_SG_SG_EEES9_SI_JZNS1_25segmented_radix_sort_implINS0_14default_configELb0EPK12hip_bfloat16PSP_PKlPlN2at6native12_GLOBAL__N_18offset_tEEE10hipError_tPvRmT1_PNSt15iterator_traitsIS13_E10value_typeET2_T3_PNS14_IS19_E10value_typeET4_jRbjT5_S1F_jjP12ihipStream_tbEUljE_ZNSN_ISO_Lb0ESR_SS_SU_SV_SZ_EES10_S11_S12_S13_S17_S18_S19_S1C_S1D_jS1E_jS1F_S1F_jjS1H_bEUljE0_EEES10_S11_S12_S19_S1D_S1F_T6_T7_T9_mT8_S1H_bDpT10_ENKUlT_T0_E_clISt17integral_constantIbLb0EES1U_IbLb1EEEEDaS1Q_S1R_EUlS1Q_E_NS1_11comp_targetILNS1_3genE0ELNS1_11target_archE4294967295ELNS1_3gpuE0ELNS1_3repE0EEENS1_30default_config_static_selectorELNS0_4arch9wavefront6targetE0EEEvS13_.private_seg_size, 0
	.set _ZN7rocprim17ROCPRIM_400000_NS6detail17trampoline_kernelINS0_13select_configILj256ELj13ELNS0_17block_load_methodE3ELS4_3ELS4_3ELNS0_20block_scan_algorithmE0ELj4294967295EEENS1_25partition_config_selectorILNS1_17partition_subalgoE4EjNS0_10empty_typeEbEEZZNS1_14partition_implILS8_4ELb0ES6_15HIP_vector_typeIjLj2EENS0_17counting_iteratorIjlEEPS9_SG_NS0_5tupleIJPjSI_NS0_16reverse_iteratorISI_EEEEENSH_IJSG_SG_SG_EEES9_SI_JZNS1_25segmented_radix_sort_implINS0_14default_configELb0EPK12hip_bfloat16PSP_PKlPlN2at6native12_GLOBAL__N_18offset_tEEE10hipError_tPvRmT1_PNSt15iterator_traitsIS13_E10value_typeET2_T3_PNS14_IS19_E10value_typeET4_jRbjT5_S1F_jjP12ihipStream_tbEUljE_ZNSN_ISO_Lb0ESR_SS_SU_SV_SZ_EES10_S11_S12_S13_S17_S18_S19_S1C_S1D_jS1E_jS1F_S1F_jjS1H_bEUljE0_EEES10_S11_S12_S19_S1D_S1F_T6_T7_T9_mT8_S1H_bDpT10_ENKUlT_T0_E_clISt17integral_constantIbLb0EES1U_IbLb1EEEEDaS1Q_S1R_EUlS1Q_E_NS1_11comp_targetILNS1_3genE0ELNS1_11target_archE4294967295ELNS1_3gpuE0ELNS1_3repE0EEENS1_30default_config_static_selectorELNS0_4arch9wavefront6targetE0EEEvS13_.uses_vcc, 0
	.set _ZN7rocprim17ROCPRIM_400000_NS6detail17trampoline_kernelINS0_13select_configILj256ELj13ELNS0_17block_load_methodE3ELS4_3ELS4_3ELNS0_20block_scan_algorithmE0ELj4294967295EEENS1_25partition_config_selectorILNS1_17partition_subalgoE4EjNS0_10empty_typeEbEEZZNS1_14partition_implILS8_4ELb0ES6_15HIP_vector_typeIjLj2EENS0_17counting_iteratorIjlEEPS9_SG_NS0_5tupleIJPjSI_NS0_16reverse_iteratorISI_EEEEENSH_IJSG_SG_SG_EEES9_SI_JZNS1_25segmented_radix_sort_implINS0_14default_configELb0EPK12hip_bfloat16PSP_PKlPlN2at6native12_GLOBAL__N_18offset_tEEE10hipError_tPvRmT1_PNSt15iterator_traitsIS13_E10value_typeET2_T3_PNS14_IS19_E10value_typeET4_jRbjT5_S1F_jjP12ihipStream_tbEUljE_ZNSN_ISO_Lb0ESR_SS_SU_SV_SZ_EES10_S11_S12_S13_S17_S18_S19_S1C_S1D_jS1E_jS1F_S1F_jjS1H_bEUljE0_EEES10_S11_S12_S19_S1D_S1F_T6_T7_T9_mT8_S1H_bDpT10_ENKUlT_T0_E_clISt17integral_constantIbLb0EES1U_IbLb1EEEEDaS1Q_S1R_EUlS1Q_E_NS1_11comp_targetILNS1_3genE0ELNS1_11target_archE4294967295ELNS1_3gpuE0ELNS1_3repE0EEENS1_30default_config_static_selectorELNS0_4arch9wavefront6targetE0EEEvS13_.uses_flat_scratch, 0
	.set _ZN7rocprim17ROCPRIM_400000_NS6detail17trampoline_kernelINS0_13select_configILj256ELj13ELNS0_17block_load_methodE3ELS4_3ELS4_3ELNS0_20block_scan_algorithmE0ELj4294967295EEENS1_25partition_config_selectorILNS1_17partition_subalgoE4EjNS0_10empty_typeEbEEZZNS1_14partition_implILS8_4ELb0ES6_15HIP_vector_typeIjLj2EENS0_17counting_iteratorIjlEEPS9_SG_NS0_5tupleIJPjSI_NS0_16reverse_iteratorISI_EEEEENSH_IJSG_SG_SG_EEES9_SI_JZNS1_25segmented_radix_sort_implINS0_14default_configELb0EPK12hip_bfloat16PSP_PKlPlN2at6native12_GLOBAL__N_18offset_tEEE10hipError_tPvRmT1_PNSt15iterator_traitsIS13_E10value_typeET2_T3_PNS14_IS19_E10value_typeET4_jRbjT5_S1F_jjP12ihipStream_tbEUljE_ZNSN_ISO_Lb0ESR_SS_SU_SV_SZ_EES10_S11_S12_S13_S17_S18_S19_S1C_S1D_jS1E_jS1F_S1F_jjS1H_bEUljE0_EEES10_S11_S12_S19_S1D_S1F_T6_T7_T9_mT8_S1H_bDpT10_ENKUlT_T0_E_clISt17integral_constantIbLb0EES1U_IbLb1EEEEDaS1Q_S1R_EUlS1Q_E_NS1_11comp_targetILNS1_3genE0ELNS1_11target_archE4294967295ELNS1_3gpuE0ELNS1_3repE0EEENS1_30default_config_static_selectorELNS0_4arch9wavefront6targetE0EEEvS13_.has_dyn_sized_stack, 0
	.set _ZN7rocprim17ROCPRIM_400000_NS6detail17trampoline_kernelINS0_13select_configILj256ELj13ELNS0_17block_load_methodE3ELS4_3ELS4_3ELNS0_20block_scan_algorithmE0ELj4294967295EEENS1_25partition_config_selectorILNS1_17partition_subalgoE4EjNS0_10empty_typeEbEEZZNS1_14partition_implILS8_4ELb0ES6_15HIP_vector_typeIjLj2EENS0_17counting_iteratorIjlEEPS9_SG_NS0_5tupleIJPjSI_NS0_16reverse_iteratorISI_EEEEENSH_IJSG_SG_SG_EEES9_SI_JZNS1_25segmented_radix_sort_implINS0_14default_configELb0EPK12hip_bfloat16PSP_PKlPlN2at6native12_GLOBAL__N_18offset_tEEE10hipError_tPvRmT1_PNSt15iterator_traitsIS13_E10value_typeET2_T3_PNS14_IS19_E10value_typeET4_jRbjT5_S1F_jjP12ihipStream_tbEUljE_ZNSN_ISO_Lb0ESR_SS_SU_SV_SZ_EES10_S11_S12_S13_S17_S18_S19_S1C_S1D_jS1E_jS1F_S1F_jjS1H_bEUljE0_EEES10_S11_S12_S19_S1D_S1F_T6_T7_T9_mT8_S1H_bDpT10_ENKUlT_T0_E_clISt17integral_constantIbLb0EES1U_IbLb1EEEEDaS1Q_S1R_EUlS1Q_E_NS1_11comp_targetILNS1_3genE0ELNS1_11target_archE4294967295ELNS1_3gpuE0ELNS1_3repE0EEENS1_30default_config_static_selectorELNS0_4arch9wavefront6targetE0EEEvS13_.has_recursion, 0
	.set _ZN7rocprim17ROCPRIM_400000_NS6detail17trampoline_kernelINS0_13select_configILj256ELj13ELNS0_17block_load_methodE3ELS4_3ELS4_3ELNS0_20block_scan_algorithmE0ELj4294967295EEENS1_25partition_config_selectorILNS1_17partition_subalgoE4EjNS0_10empty_typeEbEEZZNS1_14partition_implILS8_4ELb0ES6_15HIP_vector_typeIjLj2EENS0_17counting_iteratorIjlEEPS9_SG_NS0_5tupleIJPjSI_NS0_16reverse_iteratorISI_EEEEENSH_IJSG_SG_SG_EEES9_SI_JZNS1_25segmented_radix_sort_implINS0_14default_configELb0EPK12hip_bfloat16PSP_PKlPlN2at6native12_GLOBAL__N_18offset_tEEE10hipError_tPvRmT1_PNSt15iterator_traitsIS13_E10value_typeET2_T3_PNS14_IS19_E10value_typeET4_jRbjT5_S1F_jjP12ihipStream_tbEUljE_ZNSN_ISO_Lb0ESR_SS_SU_SV_SZ_EES10_S11_S12_S13_S17_S18_S19_S1C_S1D_jS1E_jS1F_S1F_jjS1H_bEUljE0_EEES10_S11_S12_S19_S1D_S1F_T6_T7_T9_mT8_S1H_bDpT10_ENKUlT_T0_E_clISt17integral_constantIbLb0EES1U_IbLb1EEEEDaS1Q_S1R_EUlS1Q_E_NS1_11comp_targetILNS1_3genE0ELNS1_11target_archE4294967295ELNS1_3gpuE0ELNS1_3repE0EEENS1_30default_config_static_selectorELNS0_4arch9wavefront6targetE0EEEvS13_.has_indirect_call, 0
	.section	.AMDGPU.csdata,"",@progbits
; Kernel info:
; codeLenInByte = 0
; TotalNumSgprs: 0
; NumVgprs: 0
; ScratchSize: 0
; MemoryBound: 0
; FloatMode: 240
; IeeeMode: 1
; LDSByteSize: 0 bytes/workgroup (compile time only)
; SGPRBlocks: 0
; VGPRBlocks: 0
; NumSGPRsForWavesPerEU: 1
; NumVGPRsForWavesPerEU: 1
; Occupancy: 16
; WaveLimiterHint : 0
; COMPUTE_PGM_RSRC2:SCRATCH_EN: 0
; COMPUTE_PGM_RSRC2:USER_SGPR: 2
; COMPUTE_PGM_RSRC2:TRAP_HANDLER: 0
; COMPUTE_PGM_RSRC2:TGID_X_EN: 1
; COMPUTE_PGM_RSRC2:TGID_Y_EN: 0
; COMPUTE_PGM_RSRC2:TGID_Z_EN: 0
; COMPUTE_PGM_RSRC2:TIDIG_COMP_CNT: 0
	.section	.text._ZN7rocprim17ROCPRIM_400000_NS6detail17trampoline_kernelINS0_13select_configILj256ELj13ELNS0_17block_load_methodE3ELS4_3ELS4_3ELNS0_20block_scan_algorithmE0ELj4294967295EEENS1_25partition_config_selectorILNS1_17partition_subalgoE4EjNS0_10empty_typeEbEEZZNS1_14partition_implILS8_4ELb0ES6_15HIP_vector_typeIjLj2EENS0_17counting_iteratorIjlEEPS9_SG_NS0_5tupleIJPjSI_NS0_16reverse_iteratorISI_EEEEENSH_IJSG_SG_SG_EEES9_SI_JZNS1_25segmented_radix_sort_implINS0_14default_configELb0EPK12hip_bfloat16PSP_PKlPlN2at6native12_GLOBAL__N_18offset_tEEE10hipError_tPvRmT1_PNSt15iterator_traitsIS13_E10value_typeET2_T3_PNS14_IS19_E10value_typeET4_jRbjT5_S1F_jjP12ihipStream_tbEUljE_ZNSN_ISO_Lb0ESR_SS_SU_SV_SZ_EES10_S11_S12_S13_S17_S18_S19_S1C_S1D_jS1E_jS1F_S1F_jjS1H_bEUljE0_EEES10_S11_S12_S19_S1D_S1F_T6_T7_T9_mT8_S1H_bDpT10_ENKUlT_T0_E_clISt17integral_constantIbLb0EES1U_IbLb1EEEEDaS1Q_S1R_EUlS1Q_E_NS1_11comp_targetILNS1_3genE5ELNS1_11target_archE942ELNS1_3gpuE9ELNS1_3repE0EEENS1_30default_config_static_selectorELNS0_4arch9wavefront6targetE0EEEvS13_,"axG",@progbits,_ZN7rocprim17ROCPRIM_400000_NS6detail17trampoline_kernelINS0_13select_configILj256ELj13ELNS0_17block_load_methodE3ELS4_3ELS4_3ELNS0_20block_scan_algorithmE0ELj4294967295EEENS1_25partition_config_selectorILNS1_17partition_subalgoE4EjNS0_10empty_typeEbEEZZNS1_14partition_implILS8_4ELb0ES6_15HIP_vector_typeIjLj2EENS0_17counting_iteratorIjlEEPS9_SG_NS0_5tupleIJPjSI_NS0_16reverse_iteratorISI_EEEEENSH_IJSG_SG_SG_EEES9_SI_JZNS1_25segmented_radix_sort_implINS0_14default_configELb0EPK12hip_bfloat16PSP_PKlPlN2at6native12_GLOBAL__N_18offset_tEEE10hipError_tPvRmT1_PNSt15iterator_traitsIS13_E10value_typeET2_T3_PNS14_IS19_E10value_typeET4_jRbjT5_S1F_jjP12ihipStream_tbEUljE_ZNSN_ISO_Lb0ESR_SS_SU_SV_SZ_EES10_S11_S12_S13_S17_S18_S19_S1C_S1D_jS1E_jS1F_S1F_jjS1H_bEUljE0_EEES10_S11_S12_S19_S1D_S1F_T6_T7_T9_mT8_S1H_bDpT10_ENKUlT_T0_E_clISt17integral_constantIbLb0EES1U_IbLb1EEEEDaS1Q_S1R_EUlS1Q_E_NS1_11comp_targetILNS1_3genE5ELNS1_11target_archE942ELNS1_3gpuE9ELNS1_3repE0EEENS1_30default_config_static_selectorELNS0_4arch9wavefront6targetE0EEEvS13_,comdat
	.globl	_ZN7rocprim17ROCPRIM_400000_NS6detail17trampoline_kernelINS0_13select_configILj256ELj13ELNS0_17block_load_methodE3ELS4_3ELS4_3ELNS0_20block_scan_algorithmE0ELj4294967295EEENS1_25partition_config_selectorILNS1_17partition_subalgoE4EjNS0_10empty_typeEbEEZZNS1_14partition_implILS8_4ELb0ES6_15HIP_vector_typeIjLj2EENS0_17counting_iteratorIjlEEPS9_SG_NS0_5tupleIJPjSI_NS0_16reverse_iteratorISI_EEEEENSH_IJSG_SG_SG_EEES9_SI_JZNS1_25segmented_radix_sort_implINS0_14default_configELb0EPK12hip_bfloat16PSP_PKlPlN2at6native12_GLOBAL__N_18offset_tEEE10hipError_tPvRmT1_PNSt15iterator_traitsIS13_E10value_typeET2_T3_PNS14_IS19_E10value_typeET4_jRbjT5_S1F_jjP12ihipStream_tbEUljE_ZNSN_ISO_Lb0ESR_SS_SU_SV_SZ_EES10_S11_S12_S13_S17_S18_S19_S1C_S1D_jS1E_jS1F_S1F_jjS1H_bEUljE0_EEES10_S11_S12_S19_S1D_S1F_T6_T7_T9_mT8_S1H_bDpT10_ENKUlT_T0_E_clISt17integral_constantIbLb0EES1U_IbLb1EEEEDaS1Q_S1R_EUlS1Q_E_NS1_11comp_targetILNS1_3genE5ELNS1_11target_archE942ELNS1_3gpuE9ELNS1_3repE0EEENS1_30default_config_static_selectorELNS0_4arch9wavefront6targetE0EEEvS13_ ; -- Begin function _ZN7rocprim17ROCPRIM_400000_NS6detail17trampoline_kernelINS0_13select_configILj256ELj13ELNS0_17block_load_methodE3ELS4_3ELS4_3ELNS0_20block_scan_algorithmE0ELj4294967295EEENS1_25partition_config_selectorILNS1_17partition_subalgoE4EjNS0_10empty_typeEbEEZZNS1_14partition_implILS8_4ELb0ES6_15HIP_vector_typeIjLj2EENS0_17counting_iteratorIjlEEPS9_SG_NS0_5tupleIJPjSI_NS0_16reverse_iteratorISI_EEEEENSH_IJSG_SG_SG_EEES9_SI_JZNS1_25segmented_radix_sort_implINS0_14default_configELb0EPK12hip_bfloat16PSP_PKlPlN2at6native12_GLOBAL__N_18offset_tEEE10hipError_tPvRmT1_PNSt15iterator_traitsIS13_E10value_typeET2_T3_PNS14_IS19_E10value_typeET4_jRbjT5_S1F_jjP12ihipStream_tbEUljE_ZNSN_ISO_Lb0ESR_SS_SU_SV_SZ_EES10_S11_S12_S13_S17_S18_S19_S1C_S1D_jS1E_jS1F_S1F_jjS1H_bEUljE0_EEES10_S11_S12_S19_S1D_S1F_T6_T7_T9_mT8_S1H_bDpT10_ENKUlT_T0_E_clISt17integral_constantIbLb0EES1U_IbLb1EEEEDaS1Q_S1R_EUlS1Q_E_NS1_11comp_targetILNS1_3genE5ELNS1_11target_archE942ELNS1_3gpuE9ELNS1_3repE0EEENS1_30default_config_static_selectorELNS0_4arch9wavefront6targetE0EEEvS13_
	.p2align	8
	.type	_ZN7rocprim17ROCPRIM_400000_NS6detail17trampoline_kernelINS0_13select_configILj256ELj13ELNS0_17block_load_methodE3ELS4_3ELS4_3ELNS0_20block_scan_algorithmE0ELj4294967295EEENS1_25partition_config_selectorILNS1_17partition_subalgoE4EjNS0_10empty_typeEbEEZZNS1_14partition_implILS8_4ELb0ES6_15HIP_vector_typeIjLj2EENS0_17counting_iteratorIjlEEPS9_SG_NS0_5tupleIJPjSI_NS0_16reverse_iteratorISI_EEEEENSH_IJSG_SG_SG_EEES9_SI_JZNS1_25segmented_radix_sort_implINS0_14default_configELb0EPK12hip_bfloat16PSP_PKlPlN2at6native12_GLOBAL__N_18offset_tEEE10hipError_tPvRmT1_PNSt15iterator_traitsIS13_E10value_typeET2_T3_PNS14_IS19_E10value_typeET4_jRbjT5_S1F_jjP12ihipStream_tbEUljE_ZNSN_ISO_Lb0ESR_SS_SU_SV_SZ_EES10_S11_S12_S13_S17_S18_S19_S1C_S1D_jS1E_jS1F_S1F_jjS1H_bEUljE0_EEES10_S11_S12_S19_S1D_S1F_T6_T7_T9_mT8_S1H_bDpT10_ENKUlT_T0_E_clISt17integral_constantIbLb0EES1U_IbLb1EEEEDaS1Q_S1R_EUlS1Q_E_NS1_11comp_targetILNS1_3genE5ELNS1_11target_archE942ELNS1_3gpuE9ELNS1_3repE0EEENS1_30default_config_static_selectorELNS0_4arch9wavefront6targetE0EEEvS13_,@function
_ZN7rocprim17ROCPRIM_400000_NS6detail17trampoline_kernelINS0_13select_configILj256ELj13ELNS0_17block_load_methodE3ELS4_3ELS4_3ELNS0_20block_scan_algorithmE0ELj4294967295EEENS1_25partition_config_selectorILNS1_17partition_subalgoE4EjNS0_10empty_typeEbEEZZNS1_14partition_implILS8_4ELb0ES6_15HIP_vector_typeIjLj2EENS0_17counting_iteratorIjlEEPS9_SG_NS0_5tupleIJPjSI_NS0_16reverse_iteratorISI_EEEEENSH_IJSG_SG_SG_EEES9_SI_JZNS1_25segmented_radix_sort_implINS0_14default_configELb0EPK12hip_bfloat16PSP_PKlPlN2at6native12_GLOBAL__N_18offset_tEEE10hipError_tPvRmT1_PNSt15iterator_traitsIS13_E10value_typeET2_T3_PNS14_IS19_E10value_typeET4_jRbjT5_S1F_jjP12ihipStream_tbEUljE_ZNSN_ISO_Lb0ESR_SS_SU_SV_SZ_EES10_S11_S12_S13_S17_S18_S19_S1C_S1D_jS1E_jS1F_S1F_jjS1H_bEUljE0_EEES10_S11_S12_S19_S1D_S1F_T6_T7_T9_mT8_S1H_bDpT10_ENKUlT_T0_E_clISt17integral_constantIbLb0EES1U_IbLb1EEEEDaS1Q_S1R_EUlS1Q_E_NS1_11comp_targetILNS1_3genE5ELNS1_11target_archE942ELNS1_3gpuE9ELNS1_3repE0EEENS1_30default_config_static_selectorELNS0_4arch9wavefront6targetE0EEEvS13_: ; @_ZN7rocprim17ROCPRIM_400000_NS6detail17trampoline_kernelINS0_13select_configILj256ELj13ELNS0_17block_load_methodE3ELS4_3ELS4_3ELNS0_20block_scan_algorithmE0ELj4294967295EEENS1_25partition_config_selectorILNS1_17partition_subalgoE4EjNS0_10empty_typeEbEEZZNS1_14partition_implILS8_4ELb0ES6_15HIP_vector_typeIjLj2EENS0_17counting_iteratorIjlEEPS9_SG_NS0_5tupleIJPjSI_NS0_16reverse_iteratorISI_EEEEENSH_IJSG_SG_SG_EEES9_SI_JZNS1_25segmented_radix_sort_implINS0_14default_configELb0EPK12hip_bfloat16PSP_PKlPlN2at6native12_GLOBAL__N_18offset_tEEE10hipError_tPvRmT1_PNSt15iterator_traitsIS13_E10value_typeET2_T3_PNS14_IS19_E10value_typeET4_jRbjT5_S1F_jjP12ihipStream_tbEUljE_ZNSN_ISO_Lb0ESR_SS_SU_SV_SZ_EES10_S11_S12_S13_S17_S18_S19_S1C_S1D_jS1E_jS1F_S1F_jjS1H_bEUljE0_EEES10_S11_S12_S19_S1D_S1F_T6_T7_T9_mT8_S1H_bDpT10_ENKUlT_T0_E_clISt17integral_constantIbLb0EES1U_IbLb1EEEEDaS1Q_S1R_EUlS1Q_E_NS1_11comp_targetILNS1_3genE5ELNS1_11target_archE942ELNS1_3gpuE9ELNS1_3repE0EEENS1_30default_config_static_selectorELNS0_4arch9wavefront6targetE0EEEvS13_
; %bb.0:
	.section	.rodata,"a",@progbits
	.p2align	6, 0x0
	.amdhsa_kernel _ZN7rocprim17ROCPRIM_400000_NS6detail17trampoline_kernelINS0_13select_configILj256ELj13ELNS0_17block_load_methodE3ELS4_3ELS4_3ELNS0_20block_scan_algorithmE0ELj4294967295EEENS1_25partition_config_selectorILNS1_17partition_subalgoE4EjNS0_10empty_typeEbEEZZNS1_14partition_implILS8_4ELb0ES6_15HIP_vector_typeIjLj2EENS0_17counting_iteratorIjlEEPS9_SG_NS0_5tupleIJPjSI_NS0_16reverse_iteratorISI_EEEEENSH_IJSG_SG_SG_EEES9_SI_JZNS1_25segmented_radix_sort_implINS0_14default_configELb0EPK12hip_bfloat16PSP_PKlPlN2at6native12_GLOBAL__N_18offset_tEEE10hipError_tPvRmT1_PNSt15iterator_traitsIS13_E10value_typeET2_T3_PNS14_IS19_E10value_typeET4_jRbjT5_S1F_jjP12ihipStream_tbEUljE_ZNSN_ISO_Lb0ESR_SS_SU_SV_SZ_EES10_S11_S12_S13_S17_S18_S19_S1C_S1D_jS1E_jS1F_S1F_jjS1H_bEUljE0_EEES10_S11_S12_S19_S1D_S1F_T6_T7_T9_mT8_S1H_bDpT10_ENKUlT_T0_E_clISt17integral_constantIbLb0EES1U_IbLb1EEEEDaS1Q_S1R_EUlS1Q_E_NS1_11comp_targetILNS1_3genE5ELNS1_11target_archE942ELNS1_3gpuE9ELNS1_3repE0EEENS1_30default_config_static_selectorELNS0_4arch9wavefront6targetE0EEEvS13_
		.amdhsa_group_segment_fixed_size 0
		.amdhsa_private_segment_fixed_size 0
		.amdhsa_kernarg_size 184
		.amdhsa_user_sgpr_count 2
		.amdhsa_user_sgpr_dispatch_ptr 0
		.amdhsa_user_sgpr_queue_ptr 0
		.amdhsa_user_sgpr_kernarg_segment_ptr 1
		.amdhsa_user_sgpr_dispatch_id 0
		.amdhsa_user_sgpr_private_segment_size 0
		.amdhsa_wavefront_size32 1
		.amdhsa_uses_dynamic_stack 0
		.amdhsa_enable_private_segment 0
		.amdhsa_system_sgpr_workgroup_id_x 1
		.amdhsa_system_sgpr_workgroup_id_y 0
		.amdhsa_system_sgpr_workgroup_id_z 0
		.amdhsa_system_sgpr_workgroup_info 0
		.amdhsa_system_vgpr_workitem_id 0
		.amdhsa_next_free_vgpr 1
		.amdhsa_next_free_sgpr 1
		.amdhsa_reserve_vcc 0
		.amdhsa_float_round_mode_32 0
		.amdhsa_float_round_mode_16_64 0
		.amdhsa_float_denorm_mode_32 3
		.amdhsa_float_denorm_mode_16_64 3
		.amdhsa_fp16_overflow 0
		.amdhsa_workgroup_processor_mode 1
		.amdhsa_memory_ordered 1
		.amdhsa_forward_progress 1
		.amdhsa_inst_pref_size 0
		.amdhsa_round_robin_scheduling 0
		.amdhsa_exception_fp_ieee_invalid_op 0
		.amdhsa_exception_fp_denorm_src 0
		.amdhsa_exception_fp_ieee_div_zero 0
		.amdhsa_exception_fp_ieee_overflow 0
		.amdhsa_exception_fp_ieee_underflow 0
		.amdhsa_exception_fp_ieee_inexact 0
		.amdhsa_exception_int_div_zero 0
	.end_amdhsa_kernel
	.section	.text._ZN7rocprim17ROCPRIM_400000_NS6detail17trampoline_kernelINS0_13select_configILj256ELj13ELNS0_17block_load_methodE3ELS4_3ELS4_3ELNS0_20block_scan_algorithmE0ELj4294967295EEENS1_25partition_config_selectorILNS1_17partition_subalgoE4EjNS0_10empty_typeEbEEZZNS1_14partition_implILS8_4ELb0ES6_15HIP_vector_typeIjLj2EENS0_17counting_iteratorIjlEEPS9_SG_NS0_5tupleIJPjSI_NS0_16reverse_iteratorISI_EEEEENSH_IJSG_SG_SG_EEES9_SI_JZNS1_25segmented_radix_sort_implINS0_14default_configELb0EPK12hip_bfloat16PSP_PKlPlN2at6native12_GLOBAL__N_18offset_tEEE10hipError_tPvRmT1_PNSt15iterator_traitsIS13_E10value_typeET2_T3_PNS14_IS19_E10value_typeET4_jRbjT5_S1F_jjP12ihipStream_tbEUljE_ZNSN_ISO_Lb0ESR_SS_SU_SV_SZ_EES10_S11_S12_S13_S17_S18_S19_S1C_S1D_jS1E_jS1F_S1F_jjS1H_bEUljE0_EEES10_S11_S12_S19_S1D_S1F_T6_T7_T9_mT8_S1H_bDpT10_ENKUlT_T0_E_clISt17integral_constantIbLb0EES1U_IbLb1EEEEDaS1Q_S1R_EUlS1Q_E_NS1_11comp_targetILNS1_3genE5ELNS1_11target_archE942ELNS1_3gpuE9ELNS1_3repE0EEENS1_30default_config_static_selectorELNS0_4arch9wavefront6targetE0EEEvS13_,"axG",@progbits,_ZN7rocprim17ROCPRIM_400000_NS6detail17trampoline_kernelINS0_13select_configILj256ELj13ELNS0_17block_load_methodE3ELS4_3ELS4_3ELNS0_20block_scan_algorithmE0ELj4294967295EEENS1_25partition_config_selectorILNS1_17partition_subalgoE4EjNS0_10empty_typeEbEEZZNS1_14partition_implILS8_4ELb0ES6_15HIP_vector_typeIjLj2EENS0_17counting_iteratorIjlEEPS9_SG_NS0_5tupleIJPjSI_NS0_16reverse_iteratorISI_EEEEENSH_IJSG_SG_SG_EEES9_SI_JZNS1_25segmented_radix_sort_implINS0_14default_configELb0EPK12hip_bfloat16PSP_PKlPlN2at6native12_GLOBAL__N_18offset_tEEE10hipError_tPvRmT1_PNSt15iterator_traitsIS13_E10value_typeET2_T3_PNS14_IS19_E10value_typeET4_jRbjT5_S1F_jjP12ihipStream_tbEUljE_ZNSN_ISO_Lb0ESR_SS_SU_SV_SZ_EES10_S11_S12_S13_S17_S18_S19_S1C_S1D_jS1E_jS1F_S1F_jjS1H_bEUljE0_EEES10_S11_S12_S19_S1D_S1F_T6_T7_T9_mT8_S1H_bDpT10_ENKUlT_T0_E_clISt17integral_constantIbLb0EES1U_IbLb1EEEEDaS1Q_S1R_EUlS1Q_E_NS1_11comp_targetILNS1_3genE5ELNS1_11target_archE942ELNS1_3gpuE9ELNS1_3repE0EEENS1_30default_config_static_selectorELNS0_4arch9wavefront6targetE0EEEvS13_,comdat
.Lfunc_end2010:
	.size	_ZN7rocprim17ROCPRIM_400000_NS6detail17trampoline_kernelINS0_13select_configILj256ELj13ELNS0_17block_load_methodE3ELS4_3ELS4_3ELNS0_20block_scan_algorithmE0ELj4294967295EEENS1_25partition_config_selectorILNS1_17partition_subalgoE4EjNS0_10empty_typeEbEEZZNS1_14partition_implILS8_4ELb0ES6_15HIP_vector_typeIjLj2EENS0_17counting_iteratorIjlEEPS9_SG_NS0_5tupleIJPjSI_NS0_16reverse_iteratorISI_EEEEENSH_IJSG_SG_SG_EEES9_SI_JZNS1_25segmented_radix_sort_implINS0_14default_configELb0EPK12hip_bfloat16PSP_PKlPlN2at6native12_GLOBAL__N_18offset_tEEE10hipError_tPvRmT1_PNSt15iterator_traitsIS13_E10value_typeET2_T3_PNS14_IS19_E10value_typeET4_jRbjT5_S1F_jjP12ihipStream_tbEUljE_ZNSN_ISO_Lb0ESR_SS_SU_SV_SZ_EES10_S11_S12_S13_S17_S18_S19_S1C_S1D_jS1E_jS1F_S1F_jjS1H_bEUljE0_EEES10_S11_S12_S19_S1D_S1F_T6_T7_T9_mT8_S1H_bDpT10_ENKUlT_T0_E_clISt17integral_constantIbLb0EES1U_IbLb1EEEEDaS1Q_S1R_EUlS1Q_E_NS1_11comp_targetILNS1_3genE5ELNS1_11target_archE942ELNS1_3gpuE9ELNS1_3repE0EEENS1_30default_config_static_selectorELNS0_4arch9wavefront6targetE0EEEvS13_, .Lfunc_end2010-_ZN7rocprim17ROCPRIM_400000_NS6detail17trampoline_kernelINS0_13select_configILj256ELj13ELNS0_17block_load_methodE3ELS4_3ELS4_3ELNS0_20block_scan_algorithmE0ELj4294967295EEENS1_25partition_config_selectorILNS1_17partition_subalgoE4EjNS0_10empty_typeEbEEZZNS1_14partition_implILS8_4ELb0ES6_15HIP_vector_typeIjLj2EENS0_17counting_iteratorIjlEEPS9_SG_NS0_5tupleIJPjSI_NS0_16reverse_iteratorISI_EEEEENSH_IJSG_SG_SG_EEES9_SI_JZNS1_25segmented_radix_sort_implINS0_14default_configELb0EPK12hip_bfloat16PSP_PKlPlN2at6native12_GLOBAL__N_18offset_tEEE10hipError_tPvRmT1_PNSt15iterator_traitsIS13_E10value_typeET2_T3_PNS14_IS19_E10value_typeET4_jRbjT5_S1F_jjP12ihipStream_tbEUljE_ZNSN_ISO_Lb0ESR_SS_SU_SV_SZ_EES10_S11_S12_S13_S17_S18_S19_S1C_S1D_jS1E_jS1F_S1F_jjS1H_bEUljE0_EEES10_S11_S12_S19_S1D_S1F_T6_T7_T9_mT8_S1H_bDpT10_ENKUlT_T0_E_clISt17integral_constantIbLb0EES1U_IbLb1EEEEDaS1Q_S1R_EUlS1Q_E_NS1_11comp_targetILNS1_3genE5ELNS1_11target_archE942ELNS1_3gpuE9ELNS1_3repE0EEENS1_30default_config_static_selectorELNS0_4arch9wavefront6targetE0EEEvS13_
                                        ; -- End function
	.set _ZN7rocprim17ROCPRIM_400000_NS6detail17trampoline_kernelINS0_13select_configILj256ELj13ELNS0_17block_load_methodE3ELS4_3ELS4_3ELNS0_20block_scan_algorithmE0ELj4294967295EEENS1_25partition_config_selectorILNS1_17partition_subalgoE4EjNS0_10empty_typeEbEEZZNS1_14partition_implILS8_4ELb0ES6_15HIP_vector_typeIjLj2EENS0_17counting_iteratorIjlEEPS9_SG_NS0_5tupleIJPjSI_NS0_16reverse_iteratorISI_EEEEENSH_IJSG_SG_SG_EEES9_SI_JZNS1_25segmented_radix_sort_implINS0_14default_configELb0EPK12hip_bfloat16PSP_PKlPlN2at6native12_GLOBAL__N_18offset_tEEE10hipError_tPvRmT1_PNSt15iterator_traitsIS13_E10value_typeET2_T3_PNS14_IS19_E10value_typeET4_jRbjT5_S1F_jjP12ihipStream_tbEUljE_ZNSN_ISO_Lb0ESR_SS_SU_SV_SZ_EES10_S11_S12_S13_S17_S18_S19_S1C_S1D_jS1E_jS1F_S1F_jjS1H_bEUljE0_EEES10_S11_S12_S19_S1D_S1F_T6_T7_T9_mT8_S1H_bDpT10_ENKUlT_T0_E_clISt17integral_constantIbLb0EES1U_IbLb1EEEEDaS1Q_S1R_EUlS1Q_E_NS1_11comp_targetILNS1_3genE5ELNS1_11target_archE942ELNS1_3gpuE9ELNS1_3repE0EEENS1_30default_config_static_selectorELNS0_4arch9wavefront6targetE0EEEvS13_.num_vgpr, 0
	.set _ZN7rocprim17ROCPRIM_400000_NS6detail17trampoline_kernelINS0_13select_configILj256ELj13ELNS0_17block_load_methodE3ELS4_3ELS4_3ELNS0_20block_scan_algorithmE0ELj4294967295EEENS1_25partition_config_selectorILNS1_17partition_subalgoE4EjNS0_10empty_typeEbEEZZNS1_14partition_implILS8_4ELb0ES6_15HIP_vector_typeIjLj2EENS0_17counting_iteratorIjlEEPS9_SG_NS0_5tupleIJPjSI_NS0_16reverse_iteratorISI_EEEEENSH_IJSG_SG_SG_EEES9_SI_JZNS1_25segmented_radix_sort_implINS0_14default_configELb0EPK12hip_bfloat16PSP_PKlPlN2at6native12_GLOBAL__N_18offset_tEEE10hipError_tPvRmT1_PNSt15iterator_traitsIS13_E10value_typeET2_T3_PNS14_IS19_E10value_typeET4_jRbjT5_S1F_jjP12ihipStream_tbEUljE_ZNSN_ISO_Lb0ESR_SS_SU_SV_SZ_EES10_S11_S12_S13_S17_S18_S19_S1C_S1D_jS1E_jS1F_S1F_jjS1H_bEUljE0_EEES10_S11_S12_S19_S1D_S1F_T6_T7_T9_mT8_S1H_bDpT10_ENKUlT_T0_E_clISt17integral_constantIbLb0EES1U_IbLb1EEEEDaS1Q_S1R_EUlS1Q_E_NS1_11comp_targetILNS1_3genE5ELNS1_11target_archE942ELNS1_3gpuE9ELNS1_3repE0EEENS1_30default_config_static_selectorELNS0_4arch9wavefront6targetE0EEEvS13_.num_agpr, 0
	.set _ZN7rocprim17ROCPRIM_400000_NS6detail17trampoline_kernelINS0_13select_configILj256ELj13ELNS0_17block_load_methodE3ELS4_3ELS4_3ELNS0_20block_scan_algorithmE0ELj4294967295EEENS1_25partition_config_selectorILNS1_17partition_subalgoE4EjNS0_10empty_typeEbEEZZNS1_14partition_implILS8_4ELb0ES6_15HIP_vector_typeIjLj2EENS0_17counting_iteratorIjlEEPS9_SG_NS0_5tupleIJPjSI_NS0_16reverse_iteratorISI_EEEEENSH_IJSG_SG_SG_EEES9_SI_JZNS1_25segmented_radix_sort_implINS0_14default_configELb0EPK12hip_bfloat16PSP_PKlPlN2at6native12_GLOBAL__N_18offset_tEEE10hipError_tPvRmT1_PNSt15iterator_traitsIS13_E10value_typeET2_T3_PNS14_IS19_E10value_typeET4_jRbjT5_S1F_jjP12ihipStream_tbEUljE_ZNSN_ISO_Lb0ESR_SS_SU_SV_SZ_EES10_S11_S12_S13_S17_S18_S19_S1C_S1D_jS1E_jS1F_S1F_jjS1H_bEUljE0_EEES10_S11_S12_S19_S1D_S1F_T6_T7_T9_mT8_S1H_bDpT10_ENKUlT_T0_E_clISt17integral_constantIbLb0EES1U_IbLb1EEEEDaS1Q_S1R_EUlS1Q_E_NS1_11comp_targetILNS1_3genE5ELNS1_11target_archE942ELNS1_3gpuE9ELNS1_3repE0EEENS1_30default_config_static_selectorELNS0_4arch9wavefront6targetE0EEEvS13_.numbered_sgpr, 0
	.set _ZN7rocprim17ROCPRIM_400000_NS6detail17trampoline_kernelINS0_13select_configILj256ELj13ELNS0_17block_load_methodE3ELS4_3ELS4_3ELNS0_20block_scan_algorithmE0ELj4294967295EEENS1_25partition_config_selectorILNS1_17partition_subalgoE4EjNS0_10empty_typeEbEEZZNS1_14partition_implILS8_4ELb0ES6_15HIP_vector_typeIjLj2EENS0_17counting_iteratorIjlEEPS9_SG_NS0_5tupleIJPjSI_NS0_16reverse_iteratorISI_EEEEENSH_IJSG_SG_SG_EEES9_SI_JZNS1_25segmented_radix_sort_implINS0_14default_configELb0EPK12hip_bfloat16PSP_PKlPlN2at6native12_GLOBAL__N_18offset_tEEE10hipError_tPvRmT1_PNSt15iterator_traitsIS13_E10value_typeET2_T3_PNS14_IS19_E10value_typeET4_jRbjT5_S1F_jjP12ihipStream_tbEUljE_ZNSN_ISO_Lb0ESR_SS_SU_SV_SZ_EES10_S11_S12_S13_S17_S18_S19_S1C_S1D_jS1E_jS1F_S1F_jjS1H_bEUljE0_EEES10_S11_S12_S19_S1D_S1F_T6_T7_T9_mT8_S1H_bDpT10_ENKUlT_T0_E_clISt17integral_constantIbLb0EES1U_IbLb1EEEEDaS1Q_S1R_EUlS1Q_E_NS1_11comp_targetILNS1_3genE5ELNS1_11target_archE942ELNS1_3gpuE9ELNS1_3repE0EEENS1_30default_config_static_selectorELNS0_4arch9wavefront6targetE0EEEvS13_.num_named_barrier, 0
	.set _ZN7rocprim17ROCPRIM_400000_NS6detail17trampoline_kernelINS0_13select_configILj256ELj13ELNS0_17block_load_methodE3ELS4_3ELS4_3ELNS0_20block_scan_algorithmE0ELj4294967295EEENS1_25partition_config_selectorILNS1_17partition_subalgoE4EjNS0_10empty_typeEbEEZZNS1_14partition_implILS8_4ELb0ES6_15HIP_vector_typeIjLj2EENS0_17counting_iteratorIjlEEPS9_SG_NS0_5tupleIJPjSI_NS0_16reverse_iteratorISI_EEEEENSH_IJSG_SG_SG_EEES9_SI_JZNS1_25segmented_radix_sort_implINS0_14default_configELb0EPK12hip_bfloat16PSP_PKlPlN2at6native12_GLOBAL__N_18offset_tEEE10hipError_tPvRmT1_PNSt15iterator_traitsIS13_E10value_typeET2_T3_PNS14_IS19_E10value_typeET4_jRbjT5_S1F_jjP12ihipStream_tbEUljE_ZNSN_ISO_Lb0ESR_SS_SU_SV_SZ_EES10_S11_S12_S13_S17_S18_S19_S1C_S1D_jS1E_jS1F_S1F_jjS1H_bEUljE0_EEES10_S11_S12_S19_S1D_S1F_T6_T7_T9_mT8_S1H_bDpT10_ENKUlT_T0_E_clISt17integral_constantIbLb0EES1U_IbLb1EEEEDaS1Q_S1R_EUlS1Q_E_NS1_11comp_targetILNS1_3genE5ELNS1_11target_archE942ELNS1_3gpuE9ELNS1_3repE0EEENS1_30default_config_static_selectorELNS0_4arch9wavefront6targetE0EEEvS13_.private_seg_size, 0
	.set _ZN7rocprim17ROCPRIM_400000_NS6detail17trampoline_kernelINS0_13select_configILj256ELj13ELNS0_17block_load_methodE3ELS4_3ELS4_3ELNS0_20block_scan_algorithmE0ELj4294967295EEENS1_25partition_config_selectorILNS1_17partition_subalgoE4EjNS0_10empty_typeEbEEZZNS1_14partition_implILS8_4ELb0ES6_15HIP_vector_typeIjLj2EENS0_17counting_iteratorIjlEEPS9_SG_NS0_5tupleIJPjSI_NS0_16reverse_iteratorISI_EEEEENSH_IJSG_SG_SG_EEES9_SI_JZNS1_25segmented_radix_sort_implINS0_14default_configELb0EPK12hip_bfloat16PSP_PKlPlN2at6native12_GLOBAL__N_18offset_tEEE10hipError_tPvRmT1_PNSt15iterator_traitsIS13_E10value_typeET2_T3_PNS14_IS19_E10value_typeET4_jRbjT5_S1F_jjP12ihipStream_tbEUljE_ZNSN_ISO_Lb0ESR_SS_SU_SV_SZ_EES10_S11_S12_S13_S17_S18_S19_S1C_S1D_jS1E_jS1F_S1F_jjS1H_bEUljE0_EEES10_S11_S12_S19_S1D_S1F_T6_T7_T9_mT8_S1H_bDpT10_ENKUlT_T0_E_clISt17integral_constantIbLb0EES1U_IbLb1EEEEDaS1Q_S1R_EUlS1Q_E_NS1_11comp_targetILNS1_3genE5ELNS1_11target_archE942ELNS1_3gpuE9ELNS1_3repE0EEENS1_30default_config_static_selectorELNS0_4arch9wavefront6targetE0EEEvS13_.uses_vcc, 0
	.set _ZN7rocprim17ROCPRIM_400000_NS6detail17trampoline_kernelINS0_13select_configILj256ELj13ELNS0_17block_load_methodE3ELS4_3ELS4_3ELNS0_20block_scan_algorithmE0ELj4294967295EEENS1_25partition_config_selectorILNS1_17partition_subalgoE4EjNS0_10empty_typeEbEEZZNS1_14partition_implILS8_4ELb0ES6_15HIP_vector_typeIjLj2EENS0_17counting_iteratorIjlEEPS9_SG_NS0_5tupleIJPjSI_NS0_16reverse_iteratorISI_EEEEENSH_IJSG_SG_SG_EEES9_SI_JZNS1_25segmented_radix_sort_implINS0_14default_configELb0EPK12hip_bfloat16PSP_PKlPlN2at6native12_GLOBAL__N_18offset_tEEE10hipError_tPvRmT1_PNSt15iterator_traitsIS13_E10value_typeET2_T3_PNS14_IS19_E10value_typeET4_jRbjT5_S1F_jjP12ihipStream_tbEUljE_ZNSN_ISO_Lb0ESR_SS_SU_SV_SZ_EES10_S11_S12_S13_S17_S18_S19_S1C_S1D_jS1E_jS1F_S1F_jjS1H_bEUljE0_EEES10_S11_S12_S19_S1D_S1F_T6_T7_T9_mT8_S1H_bDpT10_ENKUlT_T0_E_clISt17integral_constantIbLb0EES1U_IbLb1EEEEDaS1Q_S1R_EUlS1Q_E_NS1_11comp_targetILNS1_3genE5ELNS1_11target_archE942ELNS1_3gpuE9ELNS1_3repE0EEENS1_30default_config_static_selectorELNS0_4arch9wavefront6targetE0EEEvS13_.uses_flat_scratch, 0
	.set _ZN7rocprim17ROCPRIM_400000_NS6detail17trampoline_kernelINS0_13select_configILj256ELj13ELNS0_17block_load_methodE3ELS4_3ELS4_3ELNS0_20block_scan_algorithmE0ELj4294967295EEENS1_25partition_config_selectorILNS1_17partition_subalgoE4EjNS0_10empty_typeEbEEZZNS1_14partition_implILS8_4ELb0ES6_15HIP_vector_typeIjLj2EENS0_17counting_iteratorIjlEEPS9_SG_NS0_5tupleIJPjSI_NS0_16reverse_iteratorISI_EEEEENSH_IJSG_SG_SG_EEES9_SI_JZNS1_25segmented_radix_sort_implINS0_14default_configELb0EPK12hip_bfloat16PSP_PKlPlN2at6native12_GLOBAL__N_18offset_tEEE10hipError_tPvRmT1_PNSt15iterator_traitsIS13_E10value_typeET2_T3_PNS14_IS19_E10value_typeET4_jRbjT5_S1F_jjP12ihipStream_tbEUljE_ZNSN_ISO_Lb0ESR_SS_SU_SV_SZ_EES10_S11_S12_S13_S17_S18_S19_S1C_S1D_jS1E_jS1F_S1F_jjS1H_bEUljE0_EEES10_S11_S12_S19_S1D_S1F_T6_T7_T9_mT8_S1H_bDpT10_ENKUlT_T0_E_clISt17integral_constantIbLb0EES1U_IbLb1EEEEDaS1Q_S1R_EUlS1Q_E_NS1_11comp_targetILNS1_3genE5ELNS1_11target_archE942ELNS1_3gpuE9ELNS1_3repE0EEENS1_30default_config_static_selectorELNS0_4arch9wavefront6targetE0EEEvS13_.has_dyn_sized_stack, 0
	.set _ZN7rocprim17ROCPRIM_400000_NS6detail17trampoline_kernelINS0_13select_configILj256ELj13ELNS0_17block_load_methodE3ELS4_3ELS4_3ELNS0_20block_scan_algorithmE0ELj4294967295EEENS1_25partition_config_selectorILNS1_17partition_subalgoE4EjNS0_10empty_typeEbEEZZNS1_14partition_implILS8_4ELb0ES6_15HIP_vector_typeIjLj2EENS0_17counting_iteratorIjlEEPS9_SG_NS0_5tupleIJPjSI_NS0_16reverse_iteratorISI_EEEEENSH_IJSG_SG_SG_EEES9_SI_JZNS1_25segmented_radix_sort_implINS0_14default_configELb0EPK12hip_bfloat16PSP_PKlPlN2at6native12_GLOBAL__N_18offset_tEEE10hipError_tPvRmT1_PNSt15iterator_traitsIS13_E10value_typeET2_T3_PNS14_IS19_E10value_typeET4_jRbjT5_S1F_jjP12ihipStream_tbEUljE_ZNSN_ISO_Lb0ESR_SS_SU_SV_SZ_EES10_S11_S12_S13_S17_S18_S19_S1C_S1D_jS1E_jS1F_S1F_jjS1H_bEUljE0_EEES10_S11_S12_S19_S1D_S1F_T6_T7_T9_mT8_S1H_bDpT10_ENKUlT_T0_E_clISt17integral_constantIbLb0EES1U_IbLb1EEEEDaS1Q_S1R_EUlS1Q_E_NS1_11comp_targetILNS1_3genE5ELNS1_11target_archE942ELNS1_3gpuE9ELNS1_3repE0EEENS1_30default_config_static_selectorELNS0_4arch9wavefront6targetE0EEEvS13_.has_recursion, 0
	.set _ZN7rocprim17ROCPRIM_400000_NS6detail17trampoline_kernelINS0_13select_configILj256ELj13ELNS0_17block_load_methodE3ELS4_3ELS4_3ELNS0_20block_scan_algorithmE0ELj4294967295EEENS1_25partition_config_selectorILNS1_17partition_subalgoE4EjNS0_10empty_typeEbEEZZNS1_14partition_implILS8_4ELb0ES6_15HIP_vector_typeIjLj2EENS0_17counting_iteratorIjlEEPS9_SG_NS0_5tupleIJPjSI_NS0_16reverse_iteratorISI_EEEEENSH_IJSG_SG_SG_EEES9_SI_JZNS1_25segmented_radix_sort_implINS0_14default_configELb0EPK12hip_bfloat16PSP_PKlPlN2at6native12_GLOBAL__N_18offset_tEEE10hipError_tPvRmT1_PNSt15iterator_traitsIS13_E10value_typeET2_T3_PNS14_IS19_E10value_typeET4_jRbjT5_S1F_jjP12ihipStream_tbEUljE_ZNSN_ISO_Lb0ESR_SS_SU_SV_SZ_EES10_S11_S12_S13_S17_S18_S19_S1C_S1D_jS1E_jS1F_S1F_jjS1H_bEUljE0_EEES10_S11_S12_S19_S1D_S1F_T6_T7_T9_mT8_S1H_bDpT10_ENKUlT_T0_E_clISt17integral_constantIbLb0EES1U_IbLb1EEEEDaS1Q_S1R_EUlS1Q_E_NS1_11comp_targetILNS1_3genE5ELNS1_11target_archE942ELNS1_3gpuE9ELNS1_3repE0EEENS1_30default_config_static_selectorELNS0_4arch9wavefront6targetE0EEEvS13_.has_indirect_call, 0
	.section	.AMDGPU.csdata,"",@progbits
; Kernel info:
; codeLenInByte = 0
; TotalNumSgprs: 0
; NumVgprs: 0
; ScratchSize: 0
; MemoryBound: 0
; FloatMode: 240
; IeeeMode: 1
; LDSByteSize: 0 bytes/workgroup (compile time only)
; SGPRBlocks: 0
; VGPRBlocks: 0
; NumSGPRsForWavesPerEU: 1
; NumVGPRsForWavesPerEU: 1
; Occupancy: 16
; WaveLimiterHint : 0
; COMPUTE_PGM_RSRC2:SCRATCH_EN: 0
; COMPUTE_PGM_RSRC2:USER_SGPR: 2
; COMPUTE_PGM_RSRC2:TRAP_HANDLER: 0
; COMPUTE_PGM_RSRC2:TGID_X_EN: 1
; COMPUTE_PGM_RSRC2:TGID_Y_EN: 0
; COMPUTE_PGM_RSRC2:TGID_Z_EN: 0
; COMPUTE_PGM_RSRC2:TIDIG_COMP_CNT: 0
	.section	.text._ZN7rocprim17ROCPRIM_400000_NS6detail17trampoline_kernelINS0_13select_configILj256ELj13ELNS0_17block_load_methodE3ELS4_3ELS4_3ELNS0_20block_scan_algorithmE0ELj4294967295EEENS1_25partition_config_selectorILNS1_17partition_subalgoE4EjNS0_10empty_typeEbEEZZNS1_14partition_implILS8_4ELb0ES6_15HIP_vector_typeIjLj2EENS0_17counting_iteratorIjlEEPS9_SG_NS0_5tupleIJPjSI_NS0_16reverse_iteratorISI_EEEEENSH_IJSG_SG_SG_EEES9_SI_JZNS1_25segmented_radix_sort_implINS0_14default_configELb0EPK12hip_bfloat16PSP_PKlPlN2at6native12_GLOBAL__N_18offset_tEEE10hipError_tPvRmT1_PNSt15iterator_traitsIS13_E10value_typeET2_T3_PNS14_IS19_E10value_typeET4_jRbjT5_S1F_jjP12ihipStream_tbEUljE_ZNSN_ISO_Lb0ESR_SS_SU_SV_SZ_EES10_S11_S12_S13_S17_S18_S19_S1C_S1D_jS1E_jS1F_S1F_jjS1H_bEUljE0_EEES10_S11_S12_S19_S1D_S1F_T6_T7_T9_mT8_S1H_bDpT10_ENKUlT_T0_E_clISt17integral_constantIbLb0EES1U_IbLb1EEEEDaS1Q_S1R_EUlS1Q_E_NS1_11comp_targetILNS1_3genE4ELNS1_11target_archE910ELNS1_3gpuE8ELNS1_3repE0EEENS1_30default_config_static_selectorELNS0_4arch9wavefront6targetE0EEEvS13_,"axG",@progbits,_ZN7rocprim17ROCPRIM_400000_NS6detail17trampoline_kernelINS0_13select_configILj256ELj13ELNS0_17block_load_methodE3ELS4_3ELS4_3ELNS0_20block_scan_algorithmE0ELj4294967295EEENS1_25partition_config_selectorILNS1_17partition_subalgoE4EjNS0_10empty_typeEbEEZZNS1_14partition_implILS8_4ELb0ES6_15HIP_vector_typeIjLj2EENS0_17counting_iteratorIjlEEPS9_SG_NS0_5tupleIJPjSI_NS0_16reverse_iteratorISI_EEEEENSH_IJSG_SG_SG_EEES9_SI_JZNS1_25segmented_radix_sort_implINS0_14default_configELb0EPK12hip_bfloat16PSP_PKlPlN2at6native12_GLOBAL__N_18offset_tEEE10hipError_tPvRmT1_PNSt15iterator_traitsIS13_E10value_typeET2_T3_PNS14_IS19_E10value_typeET4_jRbjT5_S1F_jjP12ihipStream_tbEUljE_ZNSN_ISO_Lb0ESR_SS_SU_SV_SZ_EES10_S11_S12_S13_S17_S18_S19_S1C_S1D_jS1E_jS1F_S1F_jjS1H_bEUljE0_EEES10_S11_S12_S19_S1D_S1F_T6_T7_T9_mT8_S1H_bDpT10_ENKUlT_T0_E_clISt17integral_constantIbLb0EES1U_IbLb1EEEEDaS1Q_S1R_EUlS1Q_E_NS1_11comp_targetILNS1_3genE4ELNS1_11target_archE910ELNS1_3gpuE8ELNS1_3repE0EEENS1_30default_config_static_selectorELNS0_4arch9wavefront6targetE0EEEvS13_,comdat
	.globl	_ZN7rocprim17ROCPRIM_400000_NS6detail17trampoline_kernelINS0_13select_configILj256ELj13ELNS0_17block_load_methodE3ELS4_3ELS4_3ELNS0_20block_scan_algorithmE0ELj4294967295EEENS1_25partition_config_selectorILNS1_17partition_subalgoE4EjNS0_10empty_typeEbEEZZNS1_14partition_implILS8_4ELb0ES6_15HIP_vector_typeIjLj2EENS0_17counting_iteratorIjlEEPS9_SG_NS0_5tupleIJPjSI_NS0_16reverse_iteratorISI_EEEEENSH_IJSG_SG_SG_EEES9_SI_JZNS1_25segmented_radix_sort_implINS0_14default_configELb0EPK12hip_bfloat16PSP_PKlPlN2at6native12_GLOBAL__N_18offset_tEEE10hipError_tPvRmT1_PNSt15iterator_traitsIS13_E10value_typeET2_T3_PNS14_IS19_E10value_typeET4_jRbjT5_S1F_jjP12ihipStream_tbEUljE_ZNSN_ISO_Lb0ESR_SS_SU_SV_SZ_EES10_S11_S12_S13_S17_S18_S19_S1C_S1D_jS1E_jS1F_S1F_jjS1H_bEUljE0_EEES10_S11_S12_S19_S1D_S1F_T6_T7_T9_mT8_S1H_bDpT10_ENKUlT_T0_E_clISt17integral_constantIbLb0EES1U_IbLb1EEEEDaS1Q_S1R_EUlS1Q_E_NS1_11comp_targetILNS1_3genE4ELNS1_11target_archE910ELNS1_3gpuE8ELNS1_3repE0EEENS1_30default_config_static_selectorELNS0_4arch9wavefront6targetE0EEEvS13_ ; -- Begin function _ZN7rocprim17ROCPRIM_400000_NS6detail17trampoline_kernelINS0_13select_configILj256ELj13ELNS0_17block_load_methodE3ELS4_3ELS4_3ELNS0_20block_scan_algorithmE0ELj4294967295EEENS1_25partition_config_selectorILNS1_17partition_subalgoE4EjNS0_10empty_typeEbEEZZNS1_14partition_implILS8_4ELb0ES6_15HIP_vector_typeIjLj2EENS0_17counting_iteratorIjlEEPS9_SG_NS0_5tupleIJPjSI_NS0_16reverse_iteratorISI_EEEEENSH_IJSG_SG_SG_EEES9_SI_JZNS1_25segmented_radix_sort_implINS0_14default_configELb0EPK12hip_bfloat16PSP_PKlPlN2at6native12_GLOBAL__N_18offset_tEEE10hipError_tPvRmT1_PNSt15iterator_traitsIS13_E10value_typeET2_T3_PNS14_IS19_E10value_typeET4_jRbjT5_S1F_jjP12ihipStream_tbEUljE_ZNSN_ISO_Lb0ESR_SS_SU_SV_SZ_EES10_S11_S12_S13_S17_S18_S19_S1C_S1D_jS1E_jS1F_S1F_jjS1H_bEUljE0_EEES10_S11_S12_S19_S1D_S1F_T6_T7_T9_mT8_S1H_bDpT10_ENKUlT_T0_E_clISt17integral_constantIbLb0EES1U_IbLb1EEEEDaS1Q_S1R_EUlS1Q_E_NS1_11comp_targetILNS1_3genE4ELNS1_11target_archE910ELNS1_3gpuE8ELNS1_3repE0EEENS1_30default_config_static_selectorELNS0_4arch9wavefront6targetE0EEEvS13_
	.p2align	8
	.type	_ZN7rocprim17ROCPRIM_400000_NS6detail17trampoline_kernelINS0_13select_configILj256ELj13ELNS0_17block_load_methodE3ELS4_3ELS4_3ELNS0_20block_scan_algorithmE0ELj4294967295EEENS1_25partition_config_selectorILNS1_17partition_subalgoE4EjNS0_10empty_typeEbEEZZNS1_14partition_implILS8_4ELb0ES6_15HIP_vector_typeIjLj2EENS0_17counting_iteratorIjlEEPS9_SG_NS0_5tupleIJPjSI_NS0_16reverse_iteratorISI_EEEEENSH_IJSG_SG_SG_EEES9_SI_JZNS1_25segmented_radix_sort_implINS0_14default_configELb0EPK12hip_bfloat16PSP_PKlPlN2at6native12_GLOBAL__N_18offset_tEEE10hipError_tPvRmT1_PNSt15iterator_traitsIS13_E10value_typeET2_T3_PNS14_IS19_E10value_typeET4_jRbjT5_S1F_jjP12ihipStream_tbEUljE_ZNSN_ISO_Lb0ESR_SS_SU_SV_SZ_EES10_S11_S12_S13_S17_S18_S19_S1C_S1D_jS1E_jS1F_S1F_jjS1H_bEUljE0_EEES10_S11_S12_S19_S1D_S1F_T6_T7_T9_mT8_S1H_bDpT10_ENKUlT_T0_E_clISt17integral_constantIbLb0EES1U_IbLb1EEEEDaS1Q_S1R_EUlS1Q_E_NS1_11comp_targetILNS1_3genE4ELNS1_11target_archE910ELNS1_3gpuE8ELNS1_3repE0EEENS1_30default_config_static_selectorELNS0_4arch9wavefront6targetE0EEEvS13_,@function
_ZN7rocprim17ROCPRIM_400000_NS6detail17trampoline_kernelINS0_13select_configILj256ELj13ELNS0_17block_load_methodE3ELS4_3ELS4_3ELNS0_20block_scan_algorithmE0ELj4294967295EEENS1_25partition_config_selectorILNS1_17partition_subalgoE4EjNS0_10empty_typeEbEEZZNS1_14partition_implILS8_4ELb0ES6_15HIP_vector_typeIjLj2EENS0_17counting_iteratorIjlEEPS9_SG_NS0_5tupleIJPjSI_NS0_16reverse_iteratorISI_EEEEENSH_IJSG_SG_SG_EEES9_SI_JZNS1_25segmented_radix_sort_implINS0_14default_configELb0EPK12hip_bfloat16PSP_PKlPlN2at6native12_GLOBAL__N_18offset_tEEE10hipError_tPvRmT1_PNSt15iterator_traitsIS13_E10value_typeET2_T3_PNS14_IS19_E10value_typeET4_jRbjT5_S1F_jjP12ihipStream_tbEUljE_ZNSN_ISO_Lb0ESR_SS_SU_SV_SZ_EES10_S11_S12_S13_S17_S18_S19_S1C_S1D_jS1E_jS1F_S1F_jjS1H_bEUljE0_EEES10_S11_S12_S19_S1D_S1F_T6_T7_T9_mT8_S1H_bDpT10_ENKUlT_T0_E_clISt17integral_constantIbLb0EES1U_IbLb1EEEEDaS1Q_S1R_EUlS1Q_E_NS1_11comp_targetILNS1_3genE4ELNS1_11target_archE910ELNS1_3gpuE8ELNS1_3repE0EEENS1_30default_config_static_selectorELNS0_4arch9wavefront6targetE0EEEvS13_: ; @_ZN7rocprim17ROCPRIM_400000_NS6detail17trampoline_kernelINS0_13select_configILj256ELj13ELNS0_17block_load_methodE3ELS4_3ELS4_3ELNS0_20block_scan_algorithmE0ELj4294967295EEENS1_25partition_config_selectorILNS1_17partition_subalgoE4EjNS0_10empty_typeEbEEZZNS1_14partition_implILS8_4ELb0ES6_15HIP_vector_typeIjLj2EENS0_17counting_iteratorIjlEEPS9_SG_NS0_5tupleIJPjSI_NS0_16reverse_iteratorISI_EEEEENSH_IJSG_SG_SG_EEES9_SI_JZNS1_25segmented_radix_sort_implINS0_14default_configELb0EPK12hip_bfloat16PSP_PKlPlN2at6native12_GLOBAL__N_18offset_tEEE10hipError_tPvRmT1_PNSt15iterator_traitsIS13_E10value_typeET2_T3_PNS14_IS19_E10value_typeET4_jRbjT5_S1F_jjP12ihipStream_tbEUljE_ZNSN_ISO_Lb0ESR_SS_SU_SV_SZ_EES10_S11_S12_S13_S17_S18_S19_S1C_S1D_jS1E_jS1F_S1F_jjS1H_bEUljE0_EEES10_S11_S12_S19_S1D_S1F_T6_T7_T9_mT8_S1H_bDpT10_ENKUlT_T0_E_clISt17integral_constantIbLb0EES1U_IbLb1EEEEDaS1Q_S1R_EUlS1Q_E_NS1_11comp_targetILNS1_3genE4ELNS1_11target_archE910ELNS1_3gpuE8ELNS1_3repE0EEENS1_30default_config_static_selectorELNS0_4arch9wavefront6targetE0EEEvS13_
; %bb.0:
	.section	.rodata,"a",@progbits
	.p2align	6, 0x0
	.amdhsa_kernel _ZN7rocprim17ROCPRIM_400000_NS6detail17trampoline_kernelINS0_13select_configILj256ELj13ELNS0_17block_load_methodE3ELS4_3ELS4_3ELNS0_20block_scan_algorithmE0ELj4294967295EEENS1_25partition_config_selectorILNS1_17partition_subalgoE4EjNS0_10empty_typeEbEEZZNS1_14partition_implILS8_4ELb0ES6_15HIP_vector_typeIjLj2EENS0_17counting_iteratorIjlEEPS9_SG_NS0_5tupleIJPjSI_NS0_16reverse_iteratorISI_EEEEENSH_IJSG_SG_SG_EEES9_SI_JZNS1_25segmented_radix_sort_implINS0_14default_configELb0EPK12hip_bfloat16PSP_PKlPlN2at6native12_GLOBAL__N_18offset_tEEE10hipError_tPvRmT1_PNSt15iterator_traitsIS13_E10value_typeET2_T3_PNS14_IS19_E10value_typeET4_jRbjT5_S1F_jjP12ihipStream_tbEUljE_ZNSN_ISO_Lb0ESR_SS_SU_SV_SZ_EES10_S11_S12_S13_S17_S18_S19_S1C_S1D_jS1E_jS1F_S1F_jjS1H_bEUljE0_EEES10_S11_S12_S19_S1D_S1F_T6_T7_T9_mT8_S1H_bDpT10_ENKUlT_T0_E_clISt17integral_constantIbLb0EES1U_IbLb1EEEEDaS1Q_S1R_EUlS1Q_E_NS1_11comp_targetILNS1_3genE4ELNS1_11target_archE910ELNS1_3gpuE8ELNS1_3repE0EEENS1_30default_config_static_selectorELNS0_4arch9wavefront6targetE0EEEvS13_
		.amdhsa_group_segment_fixed_size 0
		.amdhsa_private_segment_fixed_size 0
		.amdhsa_kernarg_size 184
		.amdhsa_user_sgpr_count 2
		.amdhsa_user_sgpr_dispatch_ptr 0
		.amdhsa_user_sgpr_queue_ptr 0
		.amdhsa_user_sgpr_kernarg_segment_ptr 1
		.amdhsa_user_sgpr_dispatch_id 0
		.amdhsa_user_sgpr_private_segment_size 0
		.amdhsa_wavefront_size32 1
		.amdhsa_uses_dynamic_stack 0
		.amdhsa_enable_private_segment 0
		.amdhsa_system_sgpr_workgroup_id_x 1
		.amdhsa_system_sgpr_workgroup_id_y 0
		.amdhsa_system_sgpr_workgroup_id_z 0
		.amdhsa_system_sgpr_workgroup_info 0
		.amdhsa_system_vgpr_workitem_id 0
		.amdhsa_next_free_vgpr 1
		.amdhsa_next_free_sgpr 1
		.amdhsa_reserve_vcc 0
		.amdhsa_float_round_mode_32 0
		.amdhsa_float_round_mode_16_64 0
		.amdhsa_float_denorm_mode_32 3
		.amdhsa_float_denorm_mode_16_64 3
		.amdhsa_fp16_overflow 0
		.amdhsa_workgroup_processor_mode 1
		.amdhsa_memory_ordered 1
		.amdhsa_forward_progress 1
		.amdhsa_inst_pref_size 0
		.amdhsa_round_robin_scheduling 0
		.amdhsa_exception_fp_ieee_invalid_op 0
		.amdhsa_exception_fp_denorm_src 0
		.amdhsa_exception_fp_ieee_div_zero 0
		.amdhsa_exception_fp_ieee_overflow 0
		.amdhsa_exception_fp_ieee_underflow 0
		.amdhsa_exception_fp_ieee_inexact 0
		.amdhsa_exception_int_div_zero 0
	.end_amdhsa_kernel
	.section	.text._ZN7rocprim17ROCPRIM_400000_NS6detail17trampoline_kernelINS0_13select_configILj256ELj13ELNS0_17block_load_methodE3ELS4_3ELS4_3ELNS0_20block_scan_algorithmE0ELj4294967295EEENS1_25partition_config_selectorILNS1_17partition_subalgoE4EjNS0_10empty_typeEbEEZZNS1_14partition_implILS8_4ELb0ES6_15HIP_vector_typeIjLj2EENS0_17counting_iteratorIjlEEPS9_SG_NS0_5tupleIJPjSI_NS0_16reverse_iteratorISI_EEEEENSH_IJSG_SG_SG_EEES9_SI_JZNS1_25segmented_radix_sort_implINS0_14default_configELb0EPK12hip_bfloat16PSP_PKlPlN2at6native12_GLOBAL__N_18offset_tEEE10hipError_tPvRmT1_PNSt15iterator_traitsIS13_E10value_typeET2_T3_PNS14_IS19_E10value_typeET4_jRbjT5_S1F_jjP12ihipStream_tbEUljE_ZNSN_ISO_Lb0ESR_SS_SU_SV_SZ_EES10_S11_S12_S13_S17_S18_S19_S1C_S1D_jS1E_jS1F_S1F_jjS1H_bEUljE0_EEES10_S11_S12_S19_S1D_S1F_T6_T7_T9_mT8_S1H_bDpT10_ENKUlT_T0_E_clISt17integral_constantIbLb0EES1U_IbLb1EEEEDaS1Q_S1R_EUlS1Q_E_NS1_11comp_targetILNS1_3genE4ELNS1_11target_archE910ELNS1_3gpuE8ELNS1_3repE0EEENS1_30default_config_static_selectorELNS0_4arch9wavefront6targetE0EEEvS13_,"axG",@progbits,_ZN7rocprim17ROCPRIM_400000_NS6detail17trampoline_kernelINS0_13select_configILj256ELj13ELNS0_17block_load_methodE3ELS4_3ELS4_3ELNS0_20block_scan_algorithmE0ELj4294967295EEENS1_25partition_config_selectorILNS1_17partition_subalgoE4EjNS0_10empty_typeEbEEZZNS1_14partition_implILS8_4ELb0ES6_15HIP_vector_typeIjLj2EENS0_17counting_iteratorIjlEEPS9_SG_NS0_5tupleIJPjSI_NS0_16reverse_iteratorISI_EEEEENSH_IJSG_SG_SG_EEES9_SI_JZNS1_25segmented_radix_sort_implINS0_14default_configELb0EPK12hip_bfloat16PSP_PKlPlN2at6native12_GLOBAL__N_18offset_tEEE10hipError_tPvRmT1_PNSt15iterator_traitsIS13_E10value_typeET2_T3_PNS14_IS19_E10value_typeET4_jRbjT5_S1F_jjP12ihipStream_tbEUljE_ZNSN_ISO_Lb0ESR_SS_SU_SV_SZ_EES10_S11_S12_S13_S17_S18_S19_S1C_S1D_jS1E_jS1F_S1F_jjS1H_bEUljE0_EEES10_S11_S12_S19_S1D_S1F_T6_T7_T9_mT8_S1H_bDpT10_ENKUlT_T0_E_clISt17integral_constantIbLb0EES1U_IbLb1EEEEDaS1Q_S1R_EUlS1Q_E_NS1_11comp_targetILNS1_3genE4ELNS1_11target_archE910ELNS1_3gpuE8ELNS1_3repE0EEENS1_30default_config_static_selectorELNS0_4arch9wavefront6targetE0EEEvS13_,comdat
.Lfunc_end2011:
	.size	_ZN7rocprim17ROCPRIM_400000_NS6detail17trampoline_kernelINS0_13select_configILj256ELj13ELNS0_17block_load_methodE3ELS4_3ELS4_3ELNS0_20block_scan_algorithmE0ELj4294967295EEENS1_25partition_config_selectorILNS1_17partition_subalgoE4EjNS0_10empty_typeEbEEZZNS1_14partition_implILS8_4ELb0ES6_15HIP_vector_typeIjLj2EENS0_17counting_iteratorIjlEEPS9_SG_NS0_5tupleIJPjSI_NS0_16reverse_iteratorISI_EEEEENSH_IJSG_SG_SG_EEES9_SI_JZNS1_25segmented_radix_sort_implINS0_14default_configELb0EPK12hip_bfloat16PSP_PKlPlN2at6native12_GLOBAL__N_18offset_tEEE10hipError_tPvRmT1_PNSt15iterator_traitsIS13_E10value_typeET2_T3_PNS14_IS19_E10value_typeET4_jRbjT5_S1F_jjP12ihipStream_tbEUljE_ZNSN_ISO_Lb0ESR_SS_SU_SV_SZ_EES10_S11_S12_S13_S17_S18_S19_S1C_S1D_jS1E_jS1F_S1F_jjS1H_bEUljE0_EEES10_S11_S12_S19_S1D_S1F_T6_T7_T9_mT8_S1H_bDpT10_ENKUlT_T0_E_clISt17integral_constantIbLb0EES1U_IbLb1EEEEDaS1Q_S1R_EUlS1Q_E_NS1_11comp_targetILNS1_3genE4ELNS1_11target_archE910ELNS1_3gpuE8ELNS1_3repE0EEENS1_30default_config_static_selectorELNS0_4arch9wavefront6targetE0EEEvS13_, .Lfunc_end2011-_ZN7rocprim17ROCPRIM_400000_NS6detail17trampoline_kernelINS0_13select_configILj256ELj13ELNS0_17block_load_methodE3ELS4_3ELS4_3ELNS0_20block_scan_algorithmE0ELj4294967295EEENS1_25partition_config_selectorILNS1_17partition_subalgoE4EjNS0_10empty_typeEbEEZZNS1_14partition_implILS8_4ELb0ES6_15HIP_vector_typeIjLj2EENS0_17counting_iteratorIjlEEPS9_SG_NS0_5tupleIJPjSI_NS0_16reverse_iteratorISI_EEEEENSH_IJSG_SG_SG_EEES9_SI_JZNS1_25segmented_radix_sort_implINS0_14default_configELb0EPK12hip_bfloat16PSP_PKlPlN2at6native12_GLOBAL__N_18offset_tEEE10hipError_tPvRmT1_PNSt15iterator_traitsIS13_E10value_typeET2_T3_PNS14_IS19_E10value_typeET4_jRbjT5_S1F_jjP12ihipStream_tbEUljE_ZNSN_ISO_Lb0ESR_SS_SU_SV_SZ_EES10_S11_S12_S13_S17_S18_S19_S1C_S1D_jS1E_jS1F_S1F_jjS1H_bEUljE0_EEES10_S11_S12_S19_S1D_S1F_T6_T7_T9_mT8_S1H_bDpT10_ENKUlT_T0_E_clISt17integral_constantIbLb0EES1U_IbLb1EEEEDaS1Q_S1R_EUlS1Q_E_NS1_11comp_targetILNS1_3genE4ELNS1_11target_archE910ELNS1_3gpuE8ELNS1_3repE0EEENS1_30default_config_static_selectorELNS0_4arch9wavefront6targetE0EEEvS13_
                                        ; -- End function
	.set _ZN7rocprim17ROCPRIM_400000_NS6detail17trampoline_kernelINS0_13select_configILj256ELj13ELNS0_17block_load_methodE3ELS4_3ELS4_3ELNS0_20block_scan_algorithmE0ELj4294967295EEENS1_25partition_config_selectorILNS1_17partition_subalgoE4EjNS0_10empty_typeEbEEZZNS1_14partition_implILS8_4ELb0ES6_15HIP_vector_typeIjLj2EENS0_17counting_iteratorIjlEEPS9_SG_NS0_5tupleIJPjSI_NS0_16reverse_iteratorISI_EEEEENSH_IJSG_SG_SG_EEES9_SI_JZNS1_25segmented_radix_sort_implINS0_14default_configELb0EPK12hip_bfloat16PSP_PKlPlN2at6native12_GLOBAL__N_18offset_tEEE10hipError_tPvRmT1_PNSt15iterator_traitsIS13_E10value_typeET2_T3_PNS14_IS19_E10value_typeET4_jRbjT5_S1F_jjP12ihipStream_tbEUljE_ZNSN_ISO_Lb0ESR_SS_SU_SV_SZ_EES10_S11_S12_S13_S17_S18_S19_S1C_S1D_jS1E_jS1F_S1F_jjS1H_bEUljE0_EEES10_S11_S12_S19_S1D_S1F_T6_T7_T9_mT8_S1H_bDpT10_ENKUlT_T0_E_clISt17integral_constantIbLb0EES1U_IbLb1EEEEDaS1Q_S1R_EUlS1Q_E_NS1_11comp_targetILNS1_3genE4ELNS1_11target_archE910ELNS1_3gpuE8ELNS1_3repE0EEENS1_30default_config_static_selectorELNS0_4arch9wavefront6targetE0EEEvS13_.num_vgpr, 0
	.set _ZN7rocprim17ROCPRIM_400000_NS6detail17trampoline_kernelINS0_13select_configILj256ELj13ELNS0_17block_load_methodE3ELS4_3ELS4_3ELNS0_20block_scan_algorithmE0ELj4294967295EEENS1_25partition_config_selectorILNS1_17partition_subalgoE4EjNS0_10empty_typeEbEEZZNS1_14partition_implILS8_4ELb0ES6_15HIP_vector_typeIjLj2EENS0_17counting_iteratorIjlEEPS9_SG_NS0_5tupleIJPjSI_NS0_16reverse_iteratorISI_EEEEENSH_IJSG_SG_SG_EEES9_SI_JZNS1_25segmented_radix_sort_implINS0_14default_configELb0EPK12hip_bfloat16PSP_PKlPlN2at6native12_GLOBAL__N_18offset_tEEE10hipError_tPvRmT1_PNSt15iterator_traitsIS13_E10value_typeET2_T3_PNS14_IS19_E10value_typeET4_jRbjT5_S1F_jjP12ihipStream_tbEUljE_ZNSN_ISO_Lb0ESR_SS_SU_SV_SZ_EES10_S11_S12_S13_S17_S18_S19_S1C_S1D_jS1E_jS1F_S1F_jjS1H_bEUljE0_EEES10_S11_S12_S19_S1D_S1F_T6_T7_T9_mT8_S1H_bDpT10_ENKUlT_T0_E_clISt17integral_constantIbLb0EES1U_IbLb1EEEEDaS1Q_S1R_EUlS1Q_E_NS1_11comp_targetILNS1_3genE4ELNS1_11target_archE910ELNS1_3gpuE8ELNS1_3repE0EEENS1_30default_config_static_selectorELNS0_4arch9wavefront6targetE0EEEvS13_.num_agpr, 0
	.set _ZN7rocprim17ROCPRIM_400000_NS6detail17trampoline_kernelINS0_13select_configILj256ELj13ELNS0_17block_load_methodE3ELS4_3ELS4_3ELNS0_20block_scan_algorithmE0ELj4294967295EEENS1_25partition_config_selectorILNS1_17partition_subalgoE4EjNS0_10empty_typeEbEEZZNS1_14partition_implILS8_4ELb0ES6_15HIP_vector_typeIjLj2EENS0_17counting_iteratorIjlEEPS9_SG_NS0_5tupleIJPjSI_NS0_16reverse_iteratorISI_EEEEENSH_IJSG_SG_SG_EEES9_SI_JZNS1_25segmented_radix_sort_implINS0_14default_configELb0EPK12hip_bfloat16PSP_PKlPlN2at6native12_GLOBAL__N_18offset_tEEE10hipError_tPvRmT1_PNSt15iterator_traitsIS13_E10value_typeET2_T3_PNS14_IS19_E10value_typeET4_jRbjT5_S1F_jjP12ihipStream_tbEUljE_ZNSN_ISO_Lb0ESR_SS_SU_SV_SZ_EES10_S11_S12_S13_S17_S18_S19_S1C_S1D_jS1E_jS1F_S1F_jjS1H_bEUljE0_EEES10_S11_S12_S19_S1D_S1F_T6_T7_T9_mT8_S1H_bDpT10_ENKUlT_T0_E_clISt17integral_constantIbLb0EES1U_IbLb1EEEEDaS1Q_S1R_EUlS1Q_E_NS1_11comp_targetILNS1_3genE4ELNS1_11target_archE910ELNS1_3gpuE8ELNS1_3repE0EEENS1_30default_config_static_selectorELNS0_4arch9wavefront6targetE0EEEvS13_.numbered_sgpr, 0
	.set _ZN7rocprim17ROCPRIM_400000_NS6detail17trampoline_kernelINS0_13select_configILj256ELj13ELNS0_17block_load_methodE3ELS4_3ELS4_3ELNS0_20block_scan_algorithmE0ELj4294967295EEENS1_25partition_config_selectorILNS1_17partition_subalgoE4EjNS0_10empty_typeEbEEZZNS1_14partition_implILS8_4ELb0ES6_15HIP_vector_typeIjLj2EENS0_17counting_iteratorIjlEEPS9_SG_NS0_5tupleIJPjSI_NS0_16reverse_iteratorISI_EEEEENSH_IJSG_SG_SG_EEES9_SI_JZNS1_25segmented_radix_sort_implINS0_14default_configELb0EPK12hip_bfloat16PSP_PKlPlN2at6native12_GLOBAL__N_18offset_tEEE10hipError_tPvRmT1_PNSt15iterator_traitsIS13_E10value_typeET2_T3_PNS14_IS19_E10value_typeET4_jRbjT5_S1F_jjP12ihipStream_tbEUljE_ZNSN_ISO_Lb0ESR_SS_SU_SV_SZ_EES10_S11_S12_S13_S17_S18_S19_S1C_S1D_jS1E_jS1F_S1F_jjS1H_bEUljE0_EEES10_S11_S12_S19_S1D_S1F_T6_T7_T9_mT8_S1H_bDpT10_ENKUlT_T0_E_clISt17integral_constantIbLb0EES1U_IbLb1EEEEDaS1Q_S1R_EUlS1Q_E_NS1_11comp_targetILNS1_3genE4ELNS1_11target_archE910ELNS1_3gpuE8ELNS1_3repE0EEENS1_30default_config_static_selectorELNS0_4arch9wavefront6targetE0EEEvS13_.num_named_barrier, 0
	.set _ZN7rocprim17ROCPRIM_400000_NS6detail17trampoline_kernelINS0_13select_configILj256ELj13ELNS0_17block_load_methodE3ELS4_3ELS4_3ELNS0_20block_scan_algorithmE0ELj4294967295EEENS1_25partition_config_selectorILNS1_17partition_subalgoE4EjNS0_10empty_typeEbEEZZNS1_14partition_implILS8_4ELb0ES6_15HIP_vector_typeIjLj2EENS0_17counting_iteratorIjlEEPS9_SG_NS0_5tupleIJPjSI_NS0_16reverse_iteratorISI_EEEEENSH_IJSG_SG_SG_EEES9_SI_JZNS1_25segmented_radix_sort_implINS0_14default_configELb0EPK12hip_bfloat16PSP_PKlPlN2at6native12_GLOBAL__N_18offset_tEEE10hipError_tPvRmT1_PNSt15iterator_traitsIS13_E10value_typeET2_T3_PNS14_IS19_E10value_typeET4_jRbjT5_S1F_jjP12ihipStream_tbEUljE_ZNSN_ISO_Lb0ESR_SS_SU_SV_SZ_EES10_S11_S12_S13_S17_S18_S19_S1C_S1D_jS1E_jS1F_S1F_jjS1H_bEUljE0_EEES10_S11_S12_S19_S1D_S1F_T6_T7_T9_mT8_S1H_bDpT10_ENKUlT_T0_E_clISt17integral_constantIbLb0EES1U_IbLb1EEEEDaS1Q_S1R_EUlS1Q_E_NS1_11comp_targetILNS1_3genE4ELNS1_11target_archE910ELNS1_3gpuE8ELNS1_3repE0EEENS1_30default_config_static_selectorELNS0_4arch9wavefront6targetE0EEEvS13_.private_seg_size, 0
	.set _ZN7rocprim17ROCPRIM_400000_NS6detail17trampoline_kernelINS0_13select_configILj256ELj13ELNS0_17block_load_methodE3ELS4_3ELS4_3ELNS0_20block_scan_algorithmE0ELj4294967295EEENS1_25partition_config_selectorILNS1_17partition_subalgoE4EjNS0_10empty_typeEbEEZZNS1_14partition_implILS8_4ELb0ES6_15HIP_vector_typeIjLj2EENS0_17counting_iteratorIjlEEPS9_SG_NS0_5tupleIJPjSI_NS0_16reverse_iteratorISI_EEEEENSH_IJSG_SG_SG_EEES9_SI_JZNS1_25segmented_radix_sort_implINS0_14default_configELb0EPK12hip_bfloat16PSP_PKlPlN2at6native12_GLOBAL__N_18offset_tEEE10hipError_tPvRmT1_PNSt15iterator_traitsIS13_E10value_typeET2_T3_PNS14_IS19_E10value_typeET4_jRbjT5_S1F_jjP12ihipStream_tbEUljE_ZNSN_ISO_Lb0ESR_SS_SU_SV_SZ_EES10_S11_S12_S13_S17_S18_S19_S1C_S1D_jS1E_jS1F_S1F_jjS1H_bEUljE0_EEES10_S11_S12_S19_S1D_S1F_T6_T7_T9_mT8_S1H_bDpT10_ENKUlT_T0_E_clISt17integral_constantIbLb0EES1U_IbLb1EEEEDaS1Q_S1R_EUlS1Q_E_NS1_11comp_targetILNS1_3genE4ELNS1_11target_archE910ELNS1_3gpuE8ELNS1_3repE0EEENS1_30default_config_static_selectorELNS0_4arch9wavefront6targetE0EEEvS13_.uses_vcc, 0
	.set _ZN7rocprim17ROCPRIM_400000_NS6detail17trampoline_kernelINS0_13select_configILj256ELj13ELNS0_17block_load_methodE3ELS4_3ELS4_3ELNS0_20block_scan_algorithmE0ELj4294967295EEENS1_25partition_config_selectorILNS1_17partition_subalgoE4EjNS0_10empty_typeEbEEZZNS1_14partition_implILS8_4ELb0ES6_15HIP_vector_typeIjLj2EENS0_17counting_iteratorIjlEEPS9_SG_NS0_5tupleIJPjSI_NS0_16reverse_iteratorISI_EEEEENSH_IJSG_SG_SG_EEES9_SI_JZNS1_25segmented_radix_sort_implINS0_14default_configELb0EPK12hip_bfloat16PSP_PKlPlN2at6native12_GLOBAL__N_18offset_tEEE10hipError_tPvRmT1_PNSt15iterator_traitsIS13_E10value_typeET2_T3_PNS14_IS19_E10value_typeET4_jRbjT5_S1F_jjP12ihipStream_tbEUljE_ZNSN_ISO_Lb0ESR_SS_SU_SV_SZ_EES10_S11_S12_S13_S17_S18_S19_S1C_S1D_jS1E_jS1F_S1F_jjS1H_bEUljE0_EEES10_S11_S12_S19_S1D_S1F_T6_T7_T9_mT8_S1H_bDpT10_ENKUlT_T0_E_clISt17integral_constantIbLb0EES1U_IbLb1EEEEDaS1Q_S1R_EUlS1Q_E_NS1_11comp_targetILNS1_3genE4ELNS1_11target_archE910ELNS1_3gpuE8ELNS1_3repE0EEENS1_30default_config_static_selectorELNS0_4arch9wavefront6targetE0EEEvS13_.uses_flat_scratch, 0
	.set _ZN7rocprim17ROCPRIM_400000_NS6detail17trampoline_kernelINS0_13select_configILj256ELj13ELNS0_17block_load_methodE3ELS4_3ELS4_3ELNS0_20block_scan_algorithmE0ELj4294967295EEENS1_25partition_config_selectorILNS1_17partition_subalgoE4EjNS0_10empty_typeEbEEZZNS1_14partition_implILS8_4ELb0ES6_15HIP_vector_typeIjLj2EENS0_17counting_iteratorIjlEEPS9_SG_NS0_5tupleIJPjSI_NS0_16reverse_iteratorISI_EEEEENSH_IJSG_SG_SG_EEES9_SI_JZNS1_25segmented_radix_sort_implINS0_14default_configELb0EPK12hip_bfloat16PSP_PKlPlN2at6native12_GLOBAL__N_18offset_tEEE10hipError_tPvRmT1_PNSt15iterator_traitsIS13_E10value_typeET2_T3_PNS14_IS19_E10value_typeET4_jRbjT5_S1F_jjP12ihipStream_tbEUljE_ZNSN_ISO_Lb0ESR_SS_SU_SV_SZ_EES10_S11_S12_S13_S17_S18_S19_S1C_S1D_jS1E_jS1F_S1F_jjS1H_bEUljE0_EEES10_S11_S12_S19_S1D_S1F_T6_T7_T9_mT8_S1H_bDpT10_ENKUlT_T0_E_clISt17integral_constantIbLb0EES1U_IbLb1EEEEDaS1Q_S1R_EUlS1Q_E_NS1_11comp_targetILNS1_3genE4ELNS1_11target_archE910ELNS1_3gpuE8ELNS1_3repE0EEENS1_30default_config_static_selectorELNS0_4arch9wavefront6targetE0EEEvS13_.has_dyn_sized_stack, 0
	.set _ZN7rocprim17ROCPRIM_400000_NS6detail17trampoline_kernelINS0_13select_configILj256ELj13ELNS0_17block_load_methodE3ELS4_3ELS4_3ELNS0_20block_scan_algorithmE0ELj4294967295EEENS1_25partition_config_selectorILNS1_17partition_subalgoE4EjNS0_10empty_typeEbEEZZNS1_14partition_implILS8_4ELb0ES6_15HIP_vector_typeIjLj2EENS0_17counting_iteratorIjlEEPS9_SG_NS0_5tupleIJPjSI_NS0_16reverse_iteratorISI_EEEEENSH_IJSG_SG_SG_EEES9_SI_JZNS1_25segmented_radix_sort_implINS0_14default_configELb0EPK12hip_bfloat16PSP_PKlPlN2at6native12_GLOBAL__N_18offset_tEEE10hipError_tPvRmT1_PNSt15iterator_traitsIS13_E10value_typeET2_T3_PNS14_IS19_E10value_typeET4_jRbjT5_S1F_jjP12ihipStream_tbEUljE_ZNSN_ISO_Lb0ESR_SS_SU_SV_SZ_EES10_S11_S12_S13_S17_S18_S19_S1C_S1D_jS1E_jS1F_S1F_jjS1H_bEUljE0_EEES10_S11_S12_S19_S1D_S1F_T6_T7_T9_mT8_S1H_bDpT10_ENKUlT_T0_E_clISt17integral_constantIbLb0EES1U_IbLb1EEEEDaS1Q_S1R_EUlS1Q_E_NS1_11comp_targetILNS1_3genE4ELNS1_11target_archE910ELNS1_3gpuE8ELNS1_3repE0EEENS1_30default_config_static_selectorELNS0_4arch9wavefront6targetE0EEEvS13_.has_recursion, 0
	.set _ZN7rocprim17ROCPRIM_400000_NS6detail17trampoline_kernelINS0_13select_configILj256ELj13ELNS0_17block_load_methodE3ELS4_3ELS4_3ELNS0_20block_scan_algorithmE0ELj4294967295EEENS1_25partition_config_selectorILNS1_17partition_subalgoE4EjNS0_10empty_typeEbEEZZNS1_14partition_implILS8_4ELb0ES6_15HIP_vector_typeIjLj2EENS0_17counting_iteratorIjlEEPS9_SG_NS0_5tupleIJPjSI_NS0_16reverse_iteratorISI_EEEEENSH_IJSG_SG_SG_EEES9_SI_JZNS1_25segmented_radix_sort_implINS0_14default_configELb0EPK12hip_bfloat16PSP_PKlPlN2at6native12_GLOBAL__N_18offset_tEEE10hipError_tPvRmT1_PNSt15iterator_traitsIS13_E10value_typeET2_T3_PNS14_IS19_E10value_typeET4_jRbjT5_S1F_jjP12ihipStream_tbEUljE_ZNSN_ISO_Lb0ESR_SS_SU_SV_SZ_EES10_S11_S12_S13_S17_S18_S19_S1C_S1D_jS1E_jS1F_S1F_jjS1H_bEUljE0_EEES10_S11_S12_S19_S1D_S1F_T6_T7_T9_mT8_S1H_bDpT10_ENKUlT_T0_E_clISt17integral_constantIbLb0EES1U_IbLb1EEEEDaS1Q_S1R_EUlS1Q_E_NS1_11comp_targetILNS1_3genE4ELNS1_11target_archE910ELNS1_3gpuE8ELNS1_3repE0EEENS1_30default_config_static_selectorELNS0_4arch9wavefront6targetE0EEEvS13_.has_indirect_call, 0
	.section	.AMDGPU.csdata,"",@progbits
; Kernel info:
; codeLenInByte = 0
; TotalNumSgprs: 0
; NumVgprs: 0
; ScratchSize: 0
; MemoryBound: 0
; FloatMode: 240
; IeeeMode: 1
; LDSByteSize: 0 bytes/workgroup (compile time only)
; SGPRBlocks: 0
; VGPRBlocks: 0
; NumSGPRsForWavesPerEU: 1
; NumVGPRsForWavesPerEU: 1
; Occupancy: 16
; WaveLimiterHint : 0
; COMPUTE_PGM_RSRC2:SCRATCH_EN: 0
; COMPUTE_PGM_RSRC2:USER_SGPR: 2
; COMPUTE_PGM_RSRC2:TRAP_HANDLER: 0
; COMPUTE_PGM_RSRC2:TGID_X_EN: 1
; COMPUTE_PGM_RSRC2:TGID_Y_EN: 0
; COMPUTE_PGM_RSRC2:TGID_Z_EN: 0
; COMPUTE_PGM_RSRC2:TIDIG_COMP_CNT: 0
	.section	.text._ZN7rocprim17ROCPRIM_400000_NS6detail17trampoline_kernelINS0_13select_configILj256ELj13ELNS0_17block_load_methodE3ELS4_3ELS4_3ELNS0_20block_scan_algorithmE0ELj4294967295EEENS1_25partition_config_selectorILNS1_17partition_subalgoE4EjNS0_10empty_typeEbEEZZNS1_14partition_implILS8_4ELb0ES6_15HIP_vector_typeIjLj2EENS0_17counting_iteratorIjlEEPS9_SG_NS0_5tupleIJPjSI_NS0_16reverse_iteratorISI_EEEEENSH_IJSG_SG_SG_EEES9_SI_JZNS1_25segmented_radix_sort_implINS0_14default_configELb0EPK12hip_bfloat16PSP_PKlPlN2at6native12_GLOBAL__N_18offset_tEEE10hipError_tPvRmT1_PNSt15iterator_traitsIS13_E10value_typeET2_T3_PNS14_IS19_E10value_typeET4_jRbjT5_S1F_jjP12ihipStream_tbEUljE_ZNSN_ISO_Lb0ESR_SS_SU_SV_SZ_EES10_S11_S12_S13_S17_S18_S19_S1C_S1D_jS1E_jS1F_S1F_jjS1H_bEUljE0_EEES10_S11_S12_S19_S1D_S1F_T6_T7_T9_mT8_S1H_bDpT10_ENKUlT_T0_E_clISt17integral_constantIbLb0EES1U_IbLb1EEEEDaS1Q_S1R_EUlS1Q_E_NS1_11comp_targetILNS1_3genE3ELNS1_11target_archE908ELNS1_3gpuE7ELNS1_3repE0EEENS1_30default_config_static_selectorELNS0_4arch9wavefront6targetE0EEEvS13_,"axG",@progbits,_ZN7rocprim17ROCPRIM_400000_NS6detail17trampoline_kernelINS0_13select_configILj256ELj13ELNS0_17block_load_methodE3ELS4_3ELS4_3ELNS0_20block_scan_algorithmE0ELj4294967295EEENS1_25partition_config_selectorILNS1_17partition_subalgoE4EjNS0_10empty_typeEbEEZZNS1_14partition_implILS8_4ELb0ES6_15HIP_vector_typeIjLj2EENS0_17counting_iteratorIjlEEPS9_SG_NS0_5tupleIJPjSI_NS0_16reverse_iteratorISI_EEEEENSH_IJSG_SG_SG_EEES9_SI_JZNS1_25segmented_radix_sort_implINS0_14default_configELb0EPK12hip_bfloat16PSP_PKlPlN2at6native12_GLOBAL__N_18offset_tEEE10hipError_tPvRmT1_PNSt15iterator_traitsIS13_E10value_typeET2_T3_PNS14_IS19_E10value_typeET4_jRbjT5_S1F_jjP12ihipStream_tbEUljE_ZNSN_ISO_Lb0ESR_SS_SU_SV_SZ_EES10_S11_S12_S13_S17_S18_S19_S1C_S1D_jS1E_jS1F_S1F_jjS1H_bEUljE0_EEES10_S11_S12_S19_S1D_S1F_T6_T7_T9_mT8_S1H_bDpT10_ENKUlT_T0_E_clISt17integral_constantIbLb0EES1U_IbLb1EEEEDaS1Q_S1R_EUlS1Q_E_NS1_11comp_targetILNS1_3genE3ELNS1_11target_archE908ELNS1_3gpuE7ELNS1_3repE0EEENS1_30default_config_static_selectorELNS0_4arch9wavefront6targetE0EEEvS13_,comdat
	.globl	_ZN7rocprim17ROCPRIM_400000_NS6detail17trampoline_kernelINS0_13select_configILj256ELj13ELNS0_17block_load_methodE3ELS4_3ELS4_3ELNS0_20block_scan_algorithmE0ELj4294967295EEENS1_25partition_config_selectorILNS1_17partition_subalgoE4EjNS0_10empty_typeEbEEZZNS1_14partition_implILS8_4ELb0ES6_15HIP_vector_typeIjLj2EENS0_17counting_iteratorIjlEEPS9_SG_NS0_5tupleIJPjSI_NS0_16reverse_iteratorISI_EEEEENSH_IJSG_SG_SG_EEES9_SI_JZNS1_25segmented_radix_sort_implINS0_14default_configELb0EPK12hip_bfloat16PSP_PKlPlN2at6native12_GLOBAL__N_18offset_tEEE10hipError_tPvRmT1_PNSt15iterator_traitsIS13_E10value_typeET2_T3_PNS14_IS19_E10value_typeET4_jRbjT5_S1F_jjP12ihipStream_tbEUljE_ZNSN_ISO_Lb0ESR_SS_SU_SV_SZ_EES10_S11_S12_S13_S17_S18_S19_S1C_S1D_jS1E_jS1F_S1F_jjS1H_bEUljE0_EEES10_S11_S12_S19_S1D_S1F_T6_T7_T9_mT8_S1H_bDpT10_ENKUlT_T0_E_clISt17integral_constantIbLb0EES1U_IbLb1EEEEDaS1Q_S1R_EUlS1Q_E_NS1_11comp_targetILNS1_3genE3ELNS1_11target_archE908ELNS1_3gpuE7ELNS1_3repE0EEENS1_30default_config_static_selectorELNS0_4arch9wavefront6targetE0EEEvS13_ ; -- Begin function _ZN7rocprim17ROCPRIM_400000_NS6detail17trampoline_kernelINS0_13select_configILj256ELj13ELNS0_17block_load_methodE3ELS4_3ELS4_3ELNS0_20block_scan_algorithmE0ELj4294967295EEENS1_25partition_config_selectorILNS1_17partition_subalgoE4EjNS0_10empty_typeEbEEZZNS1_14partition_implILS8_4ELb0ES6_15HIP_vector_typeIjLj2EENS0_17counting_iteratorIjlEEPS9_SG_NS0_5tupleIJPjSI_NS0_16reverse_iteratorISI_EEEEENSH_IJSG_SG_SG_EEES9_SI_JZNS1_25segmented_radix_sort_implINS0_14default_configELb0EPK12hip_bfloat16PSP_PKlPlN2at6native12_GLOBAL__N_18offset_tEEE10hipError_tPvRmT1_PNSt15iterator_traitsIS13_E10value_typeET2_T3_PNS14_IS19_E10value_typeET4_jRbjT5_S1F_jjP12ihipStream_tbEUljE_ZNSN_ISO_Lb0ESR_SS_SU_SV_SZ_EES10_S11_S12_S13_S17_S18_S19_S1C_S1D_jS1E_jS1F_S1F_jjS1H_bEUljE0_EEES10_S11_S12_S19_S1D_S1F_T6_T7_T9_mT8_S1H_bDpT10_ENKUlT_T0_E_clISt17integral_constantIbLb0EES1U_IbLb1EEEEDaS1Q_S1R_EUlS1Q_E_NS1_11comp_targetILNS1_3genE3ELNS1_11target_archE908ELNS1_3gpuE7ELNS1_3repE0EEENS1_30default_config_static_selectorELNS0_4arch9wavefront6targetE0EEEvS13_
	.p2align	8
	.type	_ZN7rocprim17ROCPRIM_400000_NS6detail17trampoline_kernelINS0_13select_configILj256ELj13ELNS0_17block_load_methodE3ELS4_3ELS4_3ELNS0_20block_scan_algorithmE0ELj4294967295EEENS1_25partition_config_selectorILNS1_17partition_subalgoE4EjNS0_10empty_typeEbEEZZNS1_14partition_implILS8_4ELb0ES6_15HIP_vector_typeIjLj2EENS0_17counting_iteratorIjlEEPS9_SG_NS0_5tupleIJPjSI_NS0_16reverse_iteratorISI_EEEEENSH_IJSG_SG_SG_EEES9_SI_JZNS1_25segmented_radix_sort_implINS0_14default_configELb0EPK12hip_bfloat16PSP_PKlPlN2at6native12_GLOBAL__N_18offset_tEEE10hipError_tPvRmT1_PNSt15iterator_traitsIS13_E10value_typeET2_T3_PNS14_IS19_E10value_typeET4_jRbjT5_S1F_jjP12ihipStream_tbEUljE_ZNSN_ISO_Lb0ESR_SS_SU_SV_SZ_EES10_S11_S12_S13_S17_S18_S19_S1C_S1D_jS1E_jS1F_S1F_jjS1H_bEUljE0_EEES10_S11_S12_S19_S1D_S1F_T6_T7_T9_mT8_S1H_bDpT10_ENKUlT_T0_E_clISt17integral_constantIbLb0EES1U_IbLb1EEEEDaS1Q_S1R_EUlS1Q_E_NS1_11comp_targetILNS1_3genE3ELNS1_11target_archE908ELNS1_3gpuE7ELNS1_3repE0EEENS1_30default_config_static_selectorELNS0_4arch9wavefront6targetE0EEEvS13_,@function
_ZN7rocprim17ROCPRIM_400000_NS6detail17trampoline_kernelINS0_13select_configILj256ELj13ELNS0_17block_load_methodE3ELS4_3ELS4_3ELNS0_20block_scan_algorithmE0ELj4294967295EEENS1_25partition_config_selectorILNS1_17partition_subalgoE4EjNS0_10empty_typeEbEEZZNS1_14partition_implILS8_4ELb0ES6_15HIP_vector_typeIjLj2EENS0_17counting_iteratorIjlEEPS9_SG_NS0_5tupleIJPjSI_NS0_16reverse_iteratorISI_EEEEENSH_IJSG_SG_SG_EEES9_SI_JZNS1_25segmented_radix_sort_implINS0_14default_configELb0EPK12hip_bfloat16PSP_PKlPlN2at6native12_GLOBAL__N_18offset_tEEE10hipError_tPvRmT1_PNSt15iterator_traitsIS13_E10value_typeET2_T3_PNS14_IS19_E10value_typeET4_jRbjT5_S1F_jjP12ihipStream_tbEUljE_ZNSN_ISO_Lb0ESR_SS_SU_SV_SZ_EES10_S11_S12_S13_S17_S18_S19_S1C_S1D_jS1E_jS1F_S1F_jjS1H_bEUljE0_EEES10_S11_S12_S19_S1D_S1F_T6_T7_T9_mT8_S1H_bDpT10_ENKUlT_T0_E_clISt17integral_constantIbLb0EES1U_IbLb1EEEEDaS1Q_S1R_EUlS1Q_E_NS1_11comp_targetILNS1_3genE3ELNS1_11target_archE908ELNS1_3gpuE7ELNS1_3repE0EEENS1_30default_config_static_selectorELNS0_4arch9wavefront6targetE0EEEvS13_: ; @_ZN7rocprim17ROCPRIM_400000_NS6detail17trampoline_kernelINS0_13select_configILj256ELj13ELNS0_17block_load_methodE3ELS4_3ELS4_3ELNS0_20block_scan_algorithmE0ELj4294967295EEENS1_25partition_config_selectorILNS1_17partition_subalgoE4EjNS0_10empty_typeEbEEZZNS1_14partition_implILS8_4ELb0ES6_15HIP_vector_typeIjLj2EENS0_17counting_iteratorIjlEEPS9_SG_NS0_5tupleIJPjSI_NS0_16reverse_iteratorISI_EEEEENSH_IJSG_SG_SG_EEES9_SI_JZNS1_25segmented_radix_sort_implINS0_14default_configELb0EPK12hip_bfloat16PSP_PKlPlN2at6native12_GLOBAL__N_18offset_tEEE10hipError_tPvRmT1_PNSt15iterator_traitsIS13_E10value_typeET2_T3_PNS14_IS19_E10value_typeET4_jRbjT5_S1F_jjP12ihipStream_tbEUljE_ZNSN_ISO_Lb0ESR_SS_SU_SV_SZ_EES10_S11_S12_S13_S17_S18_S19_S1C_S1D_jS1E_jS1F_S1F_jjS1H_bEUljE0_EEES10_S11_S12_S19_S1D_S1F_T6_T7_T9_mT8_S1H_bDpT10_ENKUlT_T0_E_clISt17integral_constantIbLb0EES1U_IbLb1EEEEDaS1Q_S1R_EUlS1Q_E_NS1_11comp_targetILNS1_3genE3ELNS1_11target_archE908ELNS1_3gpuE7ELNS1_3repE0EEENS1_30default_config_static_selectorELNS0_4arch9wavefront6targetE0EEEvS13_
; %bb.0:
	.section	.rodata,"a",@progbits
	.p2align	6, 0x0
	.amdhsa_kernel _ZN7rocprim17ROCPRIM_400000_NS6detail17trampoline_kernelINS0_13select_configILj256ELj13ELNS0_17block_load_methodE3ELS4_3ELS4_3ELNS0_20block_scan_algorithmE0ELj4294967295EEENS1_25partition_config_selectorILNS1_17partition_subalgoE4EjNS0_10empty_typeEbEEZZNS1_14partition_implILS8_4ELb0ES6_15HIP_vector_typeIjLj2EENS0_17counting_iteratorIjlEEPS9_SG_NS0_5tupleIJPjSI_NS0_16reverse_iteratorISI_EEEEENSH_IJSG_SG_SG_EEES9_SI_JZNS1_25segmented_radix_sort_implINS0_14default_configELb0EPK12hip_bfloat16PSP_PKlPlN2at6native12_GLOBAL__N_18offset_tEEE10hipError_tPvRmT1_PNSt15iterator_traitsIS13_E10value_typeET2_T3_PNS14_IS19_E10value_typeET4_jRbjT5_S1F_jjP12ihipStream_tbEUljE_ZNSN_ISO_Lb0ESR_SS_SU_SV_SZ_EES10_S11_S12_S13_S17_S18_S19_S1C_S1D_jS1E_jS1F_S1F_jjS1H_bEUljE0_EEES10_S11_S12_S19_S1D_S1F_T6_T7_T9_mT8_S1H_bDpT10_ENKUlT_T0_E_clISt17integral_constantIbLb0EES1U_IbLb1EEEEDaS1Q_S1R_EUlS1Q_E_NS1_11comp_targetILNS1_3genE3ELNS1_11target_archE908ELNS1_3gpuE7ELNS1_3repE0EEENS1_30default_config_static_selectorELNS0_4arch9wavefront6targetE0EEEvS13_
		.amdhsa_group_segment_fixed_size 0
		.amdhsa_private_segment_fixed_size 0
		.amdhsa_kernarg_size 184
		.amdhsa_user_sgpr_count 2
		.amdhsa_user_sgpr_dispatch_ptr 0
		.amdhsa_user_sgpr_queue_ptr 0
		.amdhsa_user_sgpr_kernarg_segment_ptr 1
		.amdhsa_user_sgpr_dispatch_id 0
		.amdhsa_user_sgpr_private_segment_size 0
		.amdhsa_wavefront_size32 1
		.amdhsa_uses_dynamic_stack 0
		.amdhsa_enable_private_segment 0
		.amdhsa_system_sgpr_workgroup_id_x 1
		.amdhsa_system_sgpr_workgroup_id_y 0
		.amdhsa_system_sgpr_workgroup_id_z 0
		.amdhsa_system_sgpr_workgroup_info 0
		.amdhsa_system_vgpr_workitem_id 0
		.amdhsa_next_free_vgpr 1
		.amdhsa_next_free_sgpr 1
		.amdhsa_reserve_vcc 0
		.amdhsa_float_round_mode_32 0
		.amdhsa_float_round_mode_16_64 0
		.amdhsa_float_denorm_mode_32 3
		.amdhsa_float_denorm_mode_16_64 3
		.amdhsa_fp16_overflow 0
		.amdhsa_workgroup_processor_mode 1
		.amdhsa_memory_ordered 1
		.amdhsa_forward_progress 1
		.amdhsa_inst_pref_size 0
		.amdhsa_round_robin_scheduling 0
		.amdhsa_exception_fp_ieee_invalid_op 0
		.amdhsa_exception_fp_denorm_src 0
		.amdhsa_exception_fp_ieee_div_zero 0
		.amdhsa_exception_fp_ieee_overflow 0
		.amdhsa_exception_fp_ieee_underflow 0
		.amdhsa_exception_fp_ieee_inexact 0
		.amdhsa_exception_int_div_zero 0
	.end_amdhsa_kernel
	.section	.text._ZN7rocprim17ROCPRIM_400000_NS6detail17trampoline_kernelINS0_13select_configILj256ELj13ELNS0_17block_load_methodE3ELS4_3ELS4_3ELNS0_20block_scan_algorithmE0ELj4294967295EEENS1_25partition_config_selectorILNS1_17partition_subalgoE4EjNS0_10empty_typeEbEEZZNS1_14partition_implILS8_4ELb0ES6_15HIP_vector_typeIjLj2EENS0_17counting_iteratorIjlEEPS9_SG_NS0_5tupleIJPjSI_NS0_16reverse_iteratorISI_EEEEENSH_IJSG_SG_SG_EEES9_SI_JZNS1_25segmented_radix_sort_implINS0_14default_configELb0EPK12hip_bfloat16PSP_PKlPlN2at6native12_GLOBAL__N_18offset_tEEE10hipError_tPvRmT1_PNSt15iterator_traitsIS13_E10value_typeET2_T3_PNS14_IS19_E10value_typeET4_jRbjT5_S1F_jjP12ihipStream_tbEUljE_ZNSN_ISO_Lb0ESR_SS_SU_SV_SZ_EES10_S11_S12_S13_S17_S18_S19_S1C_S1D_jS1E_jS1F_S1F_jjS1H_bEUljE0_EEES10_S11_S12_S19_S1D_S1F_T6_T7_T9_mT8_S1H_bDpT10_ENKUlT_T0_E_clISt17integral_constantIbLb0EES1U_IbLb1EEEEDaS1Q_S1R_EUlS1Q_E_NS1_11comp_targetILNS1_3genE3ELNS1_11target_archE908ELNS1_3gpuE7ELNS1_3repE0EEENS1_30default_config_static_selectorELNS0_4arch9wavefront6targetE0EEEvS13_,"axG",@progbits,_ZN7rocprim17ROCPRIM_400000_NS6detail17trampoline_kernelINS0_13select_configILj256ELj13ELNS0_17block_load_methodE3ELS4_3ELS4_3ELNS0_20block_scan_algorithmE0ELj4294967295EEENS1_25partition_config_selectorILNS1_17partition_subalgoE4EjNS0_10empty_typeEbEEZZNS1_14partition_implILS8_4ELb0ES6_15HIP_vector_typeIjLj2EENS0_17counting_iteratorIjlEEPS9_SG_NS0_5tupleIJPjSI_NS0_16reverse_iteratorISI_EEEEENSH_IJSG_SG_SG_EEES9_SI_JZNS1_25segmented_radix_sort_implINS0_14default_configELb0EPK12hip_bfloat16PSP_PKlPlN2at6native12_GLOBAL__N_18offset_tEEE10hipError_tPvRmT1_PNSt15iterator_traitsIS13_E10value_typeET2_T3_PNS14_IS19_E10value_typeET4_jRbjT5_S1F_jjP12ihipStream_tbEUljE_ZNSN_ISO_Lb0ESR_SS_SU_SV_SZ_EES10_S11_S12_S13_S17_S18_S19_S1C_S1D_jS1E_jS1F_S1F_jjS1H_bEUljE0_EEES10_S11_S12_S19_S1D_S1F_T6_T7_T9_mT8_S1H_bDpT10_ENKUlT_T0_E_clISt17integral_constantIbLb0EES1U_IbLb1EEEEDaS1Q_S1R_EUlS1Q_E_NS1_11comp_targetILNS1_3genE3ELNS1_11target_archE908ELNS1_3gpuE7ELNS1_3repE0EEENS1_30default_config_static_selectorELNS0_4arch9wavefront6targetE0EEEvS13_,comdat
.Lfunc_end2012:
	.size	_ZN7rocprim17ROCPRIM_400000_NS6detail17trampoline_kernelINS0_13select_configILj256ELj13ELNS0_17block_load_methodE3ELS4_3ELS4_3ELNS0_20block_scan_algorithmE0ELj4294967295EEENS1_25partition_config_selectorILNS1_17partition_subalgoE4EjNS0_10empty_typeEbEEZZNS1_14partition_implILS8_4ELb0ES6_15HIP_vector_typeIjLj2EENS0_17counting_iteratorIjlEEPS9_SG_NS0_5tupleIJPjSI_NS0_16reverse_iteratorISI_EEEEENSH_IJSG_SG_SG_EEES9_SI_JZNS1_25segmented_radix_sort_implINS0_14default_configELb0EPK12hip_bfloat16PSP_PKlPlN2at6native12_GLOBAL__N_18offset_tEEE10hipError_tPvRmT1_PNSt15iterator_traitsIS13_E10value_typeET2_T3_PNS14_IS19_E10value_typeET4_jRbjT5_S1F_jjP12ihipStream_tbEUljE_ZNSN_ISO_Lb0ESR_SS_SU_SV_SZ_EES10_S11_S12_S13_S17_S18_S19_S1C_S1D_jS1E_jS1F_S1F_jjS1H_bEUljE0_EEES10_S11_S12_S19_S1D_S1F_T6_T7_T9_mT8_S1H_bDpT10_ENKUlT_T0_E_clISt17integral_constantIbLb0EES1U_IbLb1EEEEDaS1Q_S1R_EUlS1Q_E_NS1_11comp_targetILNS1_3genE3ELNS1_11target_archE908ELNS1_3gpuE7ELNS1_3repE0EEENS1_30default_config_static_selectorELNS0_4arch9wavefront6targetE0EEEvS13_, .Lfunc_end2012-_ZN7rocprim17ROCPRIM_400000_NS6detail17trampoline_kernelINS0_13select_configILj256ELj13ELNS0_17block_load_methodE3ELS4_3ELS4_3ELNS0_20block_scan_algorithmE0ELj4294967295EEENS1_25partition_config_selectorILNS1_17partition_subalgoE4EjNS0_10empty_typeEbEEZZNS1_14partition_implILS8_4ELb0ES6_15HIP_vector_typeIjLj2EENS0_17counting_iteratorIjlEEPS9_SG_NS0_5tupleIJPjSI_NS0_16reverse_iteratorISI_EEEEENSH_IJSG_SG_SG_EEES9_SI_JZNS1_25segmented_radix_sort_implINS0_14default_configELb0EPK12hip_bfloat16PSP_PKlPlN2at6native12_GLOBAL__N_18offset_tEEE10hipError_tPvRmT1_PNSt15iterator_traitsIS13_E10value_typeET2_T3_PNS14_IS19_E10value_typeET4_jRbjT5_S1F_jjP12ihipStream_tbEUljE_ZNSN_ISO_Lb0ESR_SS_SU_SV_SZ_EES10_S11_S12_S13_S17_S18_S19_S1C_S1D_jS1E_jS1F_S1F_jjS1H_bEUljE0_EEES10_S11_S12_S19_S1D_S1F_T6_T7_T9_mT8_S1H_bDpT10_ENKUlT_T0_E_clISt17integral_constantIbLb0EES1U_IbLb1EEEEDaS1Q_S1R_EUlS1Q_E_NS1_11comp_targetILNS1_3genE3ELNS1_11target_archE908ELNS1_3gpuE7ELNS1_3repE0EEENS1_30default_config_static_selectorELNS0_4arch9wavefront6targetE0EEEvS13_
                                        ; -- End function
	.set _ZN7rocprim17ROCPRIM_400000_NS6detail17trampoline_kernelINS0_13select_configILj256ELj13ELNS0_17block_load_methodE3ELS4_3ELS4_3ELNS0_20block_scan_algorithmE0ELj4294967295EEENS1_25partition_config_selectorILNS1_17partition_subalgoE4EjNS0_10empty_typeEbEEZZNS1_14partition_implILS8_4ELb0ES6_15HIP_vector_typeIjLj2EENS0_17counting_iteratorIjlEEPS9_SG_NS0_5tupleIJPjSI_NS0_16reverse_iteratorISI_EEEEENSH_IJSG_SG_SG_EEES9_SI_JZNS1_25segmented_radix_sort_implINS0_14default_configELb0EPK12hip_bfloat16PSP_PKlPlN2at6native12_GLOBAL__N_18offset_tEEE10hipError_tPvRmT1_PNSt15iterator_traitsIS13_E10value_typeET2_T3_PNS14_IS19_E10value_typeET4_jRbjT5_S1F_jjP12ihipStream_tbEUljE_ZNSN_ISO_Lb0ESR_SS_SU_SV_SZ_EES10_S11_S12_S13_S17_S18_S19_S1C_S1D_jS1E_jS1F_S1F_jjS1H_bEUljE0_EEES10_S11_S12_S19_S1D_S1F_T6_T7_T9_mT8_S1H_bDpT10_ENKUlT_T0_E_clISt17integral_constantIbLb0EES1U_IbLb1EEEEDaS1Q_S1R_EUlS1Q_E_NS1_11comp_targetILNS1_3genE3ELNS1_11target_archE908ELNS1_3gpuE7ELNS1_3repE0EEENS1_30default_config_static_selectorELNS0_4arch9wavefront6targetE0EEEvS13_.num_vgpr, 0
	.set _ZN7rocprim17ROCPRIM_400000_NS6detail17trampoline_kernelINS0_13select_configILj256ELj13ELNS0_17block_load_methodE3ELS4_3ELS4_3ELNS0_20block_scan_algorithmE0ELj4294967295EEENS1_25partition_config_selectorILNS1_17partition_subalgoE4EjNS0_10empty_typeEbEEZZNS1_14partition_implILS8_4ELb0ES6_15HIP_vector_typeIjLj2EENS0_17counting_iteratorIjlEEPS9_SG_NS0_5tupleIJPjSI_NS0_16reverse_iteratorISI_EEEEENSH_IJSG_SG_SG_EEES9_SI_JZNS1_25segmented_radix_sort_implINS0_14default_configELb0EPK12hip_bfloat16PSP_PKlPlN2at6native12_GLOBAL__N_18offset_tEEE10hipError_tPvRmT1_PNSt15iterator_traitsIS13_E10value_typeET2_T3_PNS14_IS19_E10value_typeET4_jRbjT5_S1F_jjP12ihipStream_tbEUljE_ZNSN_ISO_Lb0ESR_SS_SU_SV_SZ_EES10_S11_S12_S13_S17_S18_S19_S1C_S1D_jS1E_jS1F_S1F_jjS1H_bEUljE0_EEES10_S11_S12_S19_S1D_S1F_T6_T7_T9_mT8_S1H_bDpT10_ENKUlT_T0_E_clISt17integral_constantIbLb0EES1U_IbLb1EEEEDaS1Q_S1R_EUlS1Q_E_NS1_11comp_targetILNS1_3genE3ELNS1_11target_archE908ELNS1_3gpuE7ELNS1_3repE0EEENS1_30default_config_static_selectorELNS0_4arch9wavefront6targetE0EEEvS13_.num_agpr, 0
	.set _ZN7rocprim17ROCPRIM_400000_NS6detail17trampoline_kernelINS0_13select_configILj256ELj13ELNS0_17block_load_methodE3ELS4_3ELS4_3ELNS0_20block_scan_algorithmE0ELj4294967295EEENS1_25partition_config_selectorILNS1_17partition_subalgoE4EjNS0_10empty_typeEbEEZZNS1_14partition_implILS8_4ELb0ES6_15HIP_vector_typeIjLj2EENS0_17counting_iteratorIjlEEPS9_SG_NS0_5tupleIJPjSI_NS0_16reverse_iteratorISI_EEEEENSH_IJSG_SG_SG_EEES9_SI_JZNS1_25segmented_radix_sort_implINS0_14default_configELb0EPK12hip_bfloat16PSP_PKlPlN2at6native12_GLOBAL__N_18offset_tEEE10hipError_tPvRmT1_PNSt15iterator_traitsIS13_E10value_typeET2_T3_PNS14_IS19_E10value_typeET4_jRbjT5_S1F_jjP12ihipStream_tbEUljE_ZNSN_ISO_Lb0ESR_SS_SU_SV_SZ_EES10_S11_S12_S13_S17_S18_S19_S1C_S1D_jS1E_jS1F_S1F_jjS1H_bEUljE0_EEES10_S11_S12_S19_S1D_S1F_T6_T7_T9_mT8_S1H_bDpT10_ENKUlT_T0_E_clISt17integral_constantIbLb0EES1U_IbLb1EEEEDaS1Q_S1R_EUlS1Q_E_NS1_11comp_targetILNS1_3genE3ELNS1_11target_archE908ELNS1_3gpuE7ELNS1_3repE0EEENS1_30default_config_static_selectorELNS0_4arch9wavefront6targetE0EEEvS13_.numbered_sgpr, 0
	.set _ZN7rocprim17ROCPRIM_400000_NS6detail17trampoline_kernelINS0_13select_configILj256ELj13ELNS0_17block_load_methodE3ELS4_3ELS4_3ELNS0_20block_scan_algorithmE0ELj4294967295EEENS1_25partition_config_selectorILNS1_17partition_subalgoE4EjNS0_10empty_typeEbEEZZNS1_14partition_implILS8_4ELb0ES6_15HIP_vector_typeIjLj2EENS0_17counting_iteratorIjlEEPS9_SG_NS0_5tupleIJPjSI_NS0_16reverse_iteratorISI_EEEEENSH_IJSG_SG_SG_EEES9_SI_JZNS1_25segmented_radix_sort_implINS0_14default_configELb0EPK12hip_bfloat16PSP_PKlPlN2at6native12_GLOBAL__N_18offset_tEEE10hipError_tPvRmT1_PNSt15iterator_traitsIS13_E10value_typeET2_T3_PNS14_IS19_E10value_typeET4_jRbjT5_S1F_jjP12ihipStream_tbEUljE_ZNSN_ISO_Lb0ESR_SS_SU_SV_SZ_EES10_S11_S12_S13_S17_S18_S19_S1C_S1D_jS1E_jS1F_S1F_jjS1H_bEUljE0_EEES10_S11_S12_S19_S1D_S1F_T6_T7_T9_mT8_S1H_bDpT10_ENKUlT_T0_E_clISt17integral_constantIbLb0EES1U_IbLb1EEEEDaS1Q_S1R_EUlS1Q_E_NS1_11comp_targetILNS1_3genE3ELNS1_11target_archE908ELNS1_3gpuE7ELNS1_3repE0EEENS1_30default_config_static_selectorELNS0_4arch9wavefront6targetE0EEEvS13_.num_named_barrier, 0
	.set _ZN7rocprim17ROCPRIM_400000_NS6detail17trampoline_kernelINS0_13select_configILj256ELj13ELNS0_17block_load_methodE3ELS4_3ELS4_3ELNS0_20block_scan_algorithmE0ELj4294967295EEENS1_25partition_config_selectorILNS1_17partition_subalgoE4EjNS0_10empty_typeEbEEZZNS1_14partition_implILS8_4ELb0ES6_15HIP_vector_typeIjLj2EENS0_17counting_iteratorIjlEEPS9_SG_NS0_5tupleIJPjSI_NS0_16reverse_iteratorISI_EEEEENSH_IJSG_SG_SG_EEES9_SI_JZNS1_25segmented_radix_sort_implINS0_14default_configELb0EPK12hip_bfloat16PSP_PKlPlN2at6native12_GLOBAL__N_18offset_tEEE10hipError_tPvRmT1_PNSt15iterator_traitsIS13_E10value_typeET2_T3_PNS14_IS19_E10value_typeET4_jRbjT5_S1F_jjP12ihipStream_tbEUljE_ZNSN_ISO_Lb0ESR_SS_SU_SV_SZ_EES10_S11_S12_S13_S17_S18_S19_S1C_S1D_jS1E_jS1F_S1F_jjS1H_bEUljE0_EEES10_S11_S12_S19_S1D_S1F_T6_T7_T9_mT8_S1H_bDpT10_ENKUlT_T0_E_clISt17integral_constantIbLb0EES1U_IbLb1EEEEDaS1Q_S1R_EUlS1Q_E_NS1_11comp_targetILNS1_3genE3ELNS1_11target_archE908ELNS1_3gpuE7ELNS1_3repE0EEENS1_30default_config_static_selectorELNS0_4arch9wavefront6targetE0EEEvS13_.private_seg_size, 0
	.set _ZN7rocprim17ROCPRIM_400000_NS6detail17trampoline_kernelINS0_13select_configILj256ELj13ELNS0_17block_load_methodE3ELS4_3ELS4_3ELNS0_20block_scan_algorithmE0ELj4294967295EEENS1_25partition_config_selectorILNS1_17partition_subalgoE4EjNS0_10empty_typeEbEEZZNS1_14partition_implILS8_4ELb0ES6_15HIP_vector_typeIjLj2EENS0_17counting_iteratorIjlEEPS9_SG_NS0_5tupleIJPjSI_NS0_16reverse_iteratorISI_EEEEENSH_IJSG_SG_SG_EEES9_SI_JZNS1_25segmented_radix_sort_implINS0_14default_configELb0EPK12hip_bfloat16PSP_PKlPlN2at6native12_GLOBAL__N_18offset_tEEE10hipError_tPvRmT1_PNSt15iterator_traitsIS13_E10value_typeET2_T3_PNS14_IS19_E10value_typeET4_jRbjT5_S1F_jjP12ihipStream_tbEUljE_ZNSN_ISO_Lb0ESR_SS_SU_SV_SZ_EES10_S11_S12_S13_S17_S18_S19_S1C_S1D_jS1E_jS1F_S1F_jjS1H_bEUljE0_EEES10_S11_S12_S19_S1D_S1F_T6_T7_T9_mT8_S1H_bDpT10_ENKUlT_T0_E_clISt17integral_constantIbLb0EES1U_IbLb1EEEEDaS1Q_S1R_EUlS1Q_E_NS1_11comp_targetILNS1_3genE3ELNS1_11target_archE908ELNS1_3gpuE7ELNS1_3repE0EEENS1_30default_config_static_selectorELNS0_4arch9wavefront6targetE0EEEvS13_.uses_vcc, 0
	.set _ZN7rocprim17ROCPRIM_400000_NS6detail17trampoline_kernelINS0_13select_configILj256ELj13ELNS0_17block_load_methodE3ELS4_3ELS4_3ELNS0_20block_scan_algorithmE0ELj4294967295EEENS1_25partition_config_selectorILNS1_17partition_subalgoE4EjNS0_10empty_typeEbEEZZNS1_14partition_implILS8_4ELb0ES6_15HIP_vector_typeIjLj2EENS0_17counting_iteratorIjlEEPS9_SG_NS0_5tupleIJPjSI_NS0_16reverse_iteratorISI_EEEEENSH_IJSG_SG_SG_EEES9_SI_JZNS1_25segmented_radix_sort_implINS0_14default_configELb0EPK12hip_bfloat16PSP_PKlPlN2at6native12_GLOBAL__N_18offset_tEEE10hipError_tPvRmT1_PNSt15iterator_traitsIS13_E10value_typeET2_T3_PNS14_IS19_E10value_typeET4_jRbjT5_S1F_jjP12ihipStream_tbEUljE_ZNSN_ISO_Lb0ESR_SS_SU_SV_SZ_EES10_S11_S12_S13_S17_S18_S19_S1C_S1D_jS1E_jS1F_S1F_jjS1H_bEUljE0_EEES10_S11_S12_S19_S1D_S1F_T6_T7_T9_mT8_S1H_bDpT10_ENKUlT_T0_E_clISt17integral_constantIbLb0EES1U_IbLb1EEEEDaS1Q_S1R_EUlS1Q_E_NS1_11comp_targetILNS1_3genE3ELNS1_11target_archE908ELNS1_3gpuE7ELNS1_3repE0EEENS1_30default_config_static_selectorELNS0_4arch9wavefront6targetE0EEEvS13_.uses_flat_scratch, 0
	.set _ZN7rocprim17ROCPRIM_400000_NS6detail17trampoline_kernelINS0_13select_configILj256ELj13ELNS0_17block_load_methodE3ELS4_3ELS4_3ELNS0_20block_scan_algorithmE0ELj4294967295EEENS1_25partition_config_selectorILNS1_17partition_subalgoE4EjNS0_10empty_typeEbEEZZNS1_14partition_implILS8_4ELb0ES6_15HIP_vector_typeIjLj2EENS0_17counting_iteratorIjlEEPS9_SG_NS0_5tupleIJPjSI_NS0_16reverse_iteratorISI_EEEEENSH_IJSG_SG_SG_EEES9_SI_JZNS1_25segmented_radix_sort_implINS0_14default_configELb0EPK12hip_bfloat16PSP_PKlPlN2at6native12_GLOBAL__N_18offset_tEEE10hipError_tPvRmT1_PNSt15iterator_traitsIS13_E10value_typeET2_T3_PNS14_IS19_E10value_typeET4_jRbjT5_S1F_jjP12ihipStream_tbEUljE_ZNSN_ISO_Lb0ESR_SS_SU_SV_SZ_EES10_S11_S12_S13_S17_S18_S19_S1C_S1D_jS1E_jS1F_S1F_jjS1H_bEUljE0_EEES10_S11_S12_S19_S1D_S1F_T6_T7_T9_mT8_S1H_bDpT10_ENKUlT_T0_E_clISt17integral_constantIbLb0EES1U_IbLb1EEEEDaS1Q_S1R_EUlS1Q_E_NS1_11comp_targetILNS1_3genE3ELNS1_11target_archE908ELNS1_3gpuE7ELNS1_3repE0EEENS1_30default_config_static_selectorELNS0_4arch9wavefront6targetE0EEEvS13_.has_dyn_sized_stack, 0
	.set _ZN7rocprim17ROCPRIM_400000_NS6detail17trampoline_kernelINS0_13select_configILj256ELj13ELNS0_17block_load_methodE3ELS4_3ELS4_3ELNS0_20block_scan_algorithmE0ELj4294967295EEENS1_25partition_config_selectorILNS1_17partition_subalgoE4EjNS0_10empty_typeEbEEZZNS1_14partition_implILS8_4ELb0ES6_15HIP_vector_typeIjLj2EENS0_17counting_iteratorIjlEEPS9_SG_NS0_5tupleIJPjSI_NS0_16reverse_iteratorISI_EEEEENSH_IJSG_SG_SG_EEES9_SI_JZNS1_25segmented_radix_sort_implINS0_14default_configELb0EPK12hip_bfloat16PSP_PKlPlN2at6native12_GLOBAL__N_18offset_tEEE10hipError_tPvRmT1_PNSt15iterator_traitsIS13_E10value_typeET2_T3_PNS14_IS19_E10value_typeET4_jRbjT5_S1F_jjP12ihipStream_tbEUljE_ZNSN_ISO_Lb0ESR_SS_SU_SV_SZ_EES10_S11_S12_S13_S17_S18_S19_S1C_S1D_jS1E_jS1F_S1F_jjS1H_bEUljE0_EEES10_S11_S12_S19_S1D_S1F_T6_T7_T9_mT8_S1H_bDpT10_ENKUlT_T0_E_clISt17integral_constantIbLb0EES1U_IbLb1EEEEDaS1Q_S1R_EUlS1Q_E_NS1_11comp_targetILNS1_3genE3ELNS1_11target_archE908ELNS1_3gpuE7ELNS1_3repE0EEENS1_30default_config_static_selectorELNS0_4arch9wavefront6targetE0EEEvS13_.has_recursion, 0
	.set _ZN7rocprim17ROCPRIM_400000_NS6detail17trampoline_kernelINS0_13select_configILj256ELj13ELNS0_17block_load_methodE3ELS4_3ELS4_3ELNS0_20block_scan_algorithmE0ELj4294967295EEENS1_25partition_config_selectorILNS1_17partition_subalgoE4EjNS0_10empty_typeEbEEZZNS1_14partition_implILS8_4ELb0ES6_15HIP_vector_typeIjLj2EENS0_17counting_iteratorIjlEEPS9_SG_NS0_5tupleIJPjSI_NS0_16reverse_iteratorISI_EEEEENSH_IJSG_SG_SG_EEES9_SI_JZNS1_25segmented_radix_sort_implINS0_14default_configELb0EPK12hip_bfloat16PSP_PKlPlN2at6native12_GLOBAL__N_18offset_tEEE10hipError_tPvRmT1_PNSt15iterator_traitsIS13_E10value_typeET2_T3_PNS14_IS19_E10value_typeET4_jRbjT5_S1F_jjP12ihipStream_tbEUljE_ZNSN_ISO_Lb0ESR_SS_SU_SV_SZ_EES10_S11_S12_S13_S17_S18_S19_S1C_S1D_jS1E_jS1F_S1F_jjS1H_bEUljE0_EEES10_S11_S12_S19_S1D_S1F_T6_T7_T9_mT8_S1H_bDpT10_ENKUlT_T0_E_clISt17integral_constantIbLb0EES1U_IbLb1EEEEDaS1Q_S1R_EUlS1Q_E_NS1_11comp_targetILNS1_3genE3ELNS1_11target_archE908ELNS1_3gpuE7ELNS1_3repE0EEENS1_30default_config_static_selectorELNS0_4arch9wavefront6targetE0EEEvS13_.has_indirect_call, 0
	.section	.AMDGPU.csdata,"",@progbits
; Kernel info:
; codeLenInByte = 0
; TotalNumSgprs: 0
; NumVgprs: 0
; ScratchSize: 0
; MemoryBound: 0
; FloatMode: 240
; IeeeMode: 1
; LDSByteSize: 0 bytes/workgroup (compile time only)
; SGPRBlocks: 0
; VGPRBlocks: 0
; NumSGPRsForWavesPerEU: 1
; NumVGPRsForWavesPerEU: 1
; Occupancy: 16
; WaveLimiterHint : 0
; COMPUTE_PGM_RSRC2:SCRATCH_EN: 0
; COMPUTE_PGM_RSRC2:USER_SGPR: 2
; COMPUTE_PGM_RSRC2:TRAP_HANDLER: 0
; COMPUTE_PGM_RSRC2:TGID_X_EN: 1
; COMPUTE_PGM_RSRC2:TGID_Y_EN: 0
; COMPUTE_PGM_RSRC2:TGID_Z_EN: 0
; COMPUTE_PGM_RSRC2:TIDIG_COMP_CNT: 0
	.section	.text._ZN7rocprim17ROCPRIM_400000_NS6detail17trampoline_kernelINS0_13select_configILj256ELj13ELNS0_17block_load_methodE3ELS4_3ELS4_3ELNS0_20block_scan_algorithmE0ELj4294967295EEENS1_25partition_config_selectorILNS1_17partition_subalgoE4EjNS0_10empty_typeEbEEZZNS1_14partition_implILS8_4ELb0ES6_15HIP_vector_typeIjLj2EENS0_17counting_iteratorIjlEEPS9_SG_NS0_5tupleIJPjSI_NS0_16reverse_iteratorISI_EEEEENSH_IJSG_SG_SG_EEES9_SI_JZNS1_25segmented_radix_sort_implINS0_14default_configELb0EPK12hip_bfloat16PSP_PKlPlN2at6native12_GLOBAL__N_18offset_tEEE10hipError_tPvRmT1_PNSt15iterator_traitsIS13_E10value_typeET2_T3_PNS14_IS19_E10value_typeET4_jRbjT5_S1F_jjP12ihipStream_tbEUljE_ZNSN_ISO_Lb0ESR_SS_SU_SV_SZ_EES10_S11_S12_S13_S17_S18_S19_S1C_S1D_jS1E_jS1F_S1F_jjS1H_bEUljE0_EEES10_S11_S12_S19_S1D_S1F_T6_T7_T9_mT8_S1H_bDpT10_ENKUlT_T0_E_clISt17integral_constantIbLb0EES1U_IbLb1EEEEDaS1Q_S1R_EUlS1Q_E_NS1_11comp_targetILNS1_3genE2ELNS1_11target_archE906ELNS1_3gpuE6ELNS1_3repE0EEENS1_30default_config_static_selectorELNS0_4arch9wavefront6targetE0EEEvS13_,"axG",@progbits,_ZN7rocprim17ROCPRIM_400000_NS6detail17trampoline_kernelINS0_13select_configILj256ELj13ELNS0_17block_load_methodE3ELS4_3ELS4_3ELNS0_20block_scan_algorithmE0ELj4294967295EEENS1_25partition_config_selectorILNS1_17partition_subalgoE4EjNS0_10empty_typeEbEEZZNS1_14partition_implILS8_4ELb0ES6_15HIP_vector_typeIjLj2EENS0_17counting_iteratorIjlEEPS9_SG_NS0_5tupleIJPjSI_NS0_16reverse_iteratorISI_EEEEENSH_IJSG_SG_SG_EEES9_SI_JZNS1_25segmented_radix_sort_implINS0_14default_configELb0EPK12hip_bfloat16PSP_PKlPlN2at6native12_GLOBAL__N_18offset_tEEE10hipError_tPvRmT1_PNSt15iterator_traitsIS13_E10value_typeET2_T3_PNS14_IS19_E10value_typeET4_jRbjT5_S1F_jjP12ihipStream_tbEUljE_ZNSN_ISO_Lb0ESR_SS_SU_SV_SZ_EES10_S11_S12_S13_S17_S18_S19_S1C_S1D_jS1E_jS1F_S1F_jjS1H_bEUljE0_EEES10_S11_S12_S19_S1D_S1F_T6_T7_T9_mT8_S1H_bDpT10_ENKUlT_T0_E_clISt17integral_constantIbLb0EES1U_IbLb1EEEEDaS1Q_S1R_EUlS1Q_E_NS1_11comp_targetILNS1_3genE2ELNS1_11target_archE906ELNS1_3gpuE6ELNS1_3repE0EEENS1_30default_config_static_selectorELNS0_4arch9wavefront6targetE0EEEvS13_,comdat
	.globl	_ZN7rocprim17ROCPRIM_400000_NS6detail17trampoline_kernelINS0_13select_configILj256ELj13ELNS0_17block_load_methodE3ELS4_3ELS4_3ELNS0_20block_scan_algorithmE0ELj4294967295EEENS1_25partition_config_selectorILNS1_17partition_subalgoE4EjNS0_10empty_typeEbEEZZNS1_14partition_implILS8_4ELb0ES6_15HIP_vector_typeIjLj2EENS0_17counting_iteratorIjlEEPS9_SG_NS0_5tupleIJPjSI_NS0_16reverse_iteratorISI_EEEEENSH_IJSG_SG_SG_EEES9_SI_JZNS1_25segmented_radix_sort_implINS0_14default_configELb0EPK12hip_bfloat16PSP_PKlPlN2at6native12_GLOBAL__N_18offset_tEEE10hipError_tPvRmT1_PNSt15iterator_traitsIS13_E10value_typeET2_T3_PNS14_IS19_E10value_typeET4_jRbjT5_S1F_jjP12ihipStream_tbEUljE_ZNSN_ISO_Lb0ESR_SS_SU_SV_SZ_EES10_S11_S12_S13_S17_S18_S19_S1C_S1D_jS1E_jS1F_S1F_jjS1H_bEUljE0_EEES10_S11_S12_S19_S1D_S1F_T6_T7_T9_mT8_S1H_bDpT10_ENKUlT_T0_E_clISt17integral_constantIbLb0EES1U_IbLb1EEEEDaS1Q_S1R_EUlS1Q_E_NS1_11comp_targetILNS1_3genE2ELNS1_11target_archE906ELNS1_3gpuE6ELNS1_3repE0EEENS1_30default_config_static_selectorELNS0_4arch9wavefront6targetE0EEEvS13_ ; -- Begin function _ZN7rocprim17ROCPRIM_400000_NS6detail17trampoline_kernelINS0_13select_configILj256ELj13ELNS0_17block_load_methodE3ELS4_3ELS4_3ELNS0_20block_scan_algorithmE0ELj4294967295EEENS1_25partition_config_selectorILNS1_17partition_subalgoE4EjNS0_10empty_typeEbEEZZNS1_14partition_implILS8_4ELb0ES6_15HIP_vector_typeIjLj2EENS0_17counting_iteratorIjlEEPS9_SG_NS0_5tupleIJPjSI_NS0_16reverse_iteratorISI_EEEEENSH_IJSG_SG_SG_EEES9_SI_JZNS1_25segmented_radix_sort_implINS0_14default_configELb0EPK12hip_bfloat16PSP_PKlPlN2at6native12_GLOBAL__N_18offset_tEEE10hipError_tPvRmT1_PNSt15iterator_traitsIS13_E10value_typeET2_T3_PNS14_IS19_E10value_typeET4_jRbjT5_S1F_jjP12ihipStream_tbEUljE_ZNSN_ISO_Lb0ESR_SS_SU_SV_SZ_EES10_S11_S12_S13_S17_S18_S19_S1C_S1D_jS1E_jS1F_S1F_jjS1H_bEUljE0_EEES10_S11_S12_S19_S1D_S1F_T6_T7_T9_mT8_S1H_bDpT10_ENKUlT_T0_E_clISt17integral_constantIbLb0EES1U_IbLb1EEEEDaS1Q_S1R_EUlS1Q_E_NS1_11comp_targetILNS1_3genE2ELNS1_11target_archE906ELNS1_3gpuE6ELNS1_3repE0EEENS1_30default_config_static_selectorELNS0_4arch9wavefront6targetE0EEEvS13_
	.p2align	8
	.type	_ZN7rocprim17ROCPRIM_400000_NS6detail17trampoline_kernelINS0_13select_configILj256ELj13ELNS0_17block_load_methodE3ELS4_3ELS4_3ELNS0_20block_scan_algorithmE0ELj4294967295EEENS1_25partition_config_selectorILNS1_17partition_subalgoE4EjNS0_10empty_typeEbEEZZNS1_14partition_implILS8_4ELb0ES6_15HIP_vector_typeIjLj2EENS0_17counting_iteratorIjlEEPS9_SG_NS0_5tupleIJPjSI_NS0_16reverse_iteratorISI_EEEEENSH_IJSG_SG_SG_EEES9_SI_JZNS1_25segmented_radix_sort_implINS0_14default_configELb0EPK12hip_bfloat16PSP_PKlPlN2at6native12_GLOBAL__N_18offset_tEEE10hipError_tPvRmT1_PNSt15iterator_traitsIS13_E10value_typeET2_T3_PNS14_IS19_E10value_typeET4_jRbjT5_S1F_jjP12ihipStream_tbEUljE_ZNSN_ISO_Lb0ESR_SS_SU_SV_SZ_EES10_S11_S12_S13_S17_S18_S19_S1C_S1D_jS1E_jS1F_S1F_jjS1H_bEUljE0_EEES10_S11_S12_S19_S1D_S1F_T6_T7_T9_mT8_S1H_bDpT10_ENKUlT_T0_E_clISt17integral_constantIbLb0EES1U_IbLb1EEEEDaS1Q_S1R_EUlS1Q_E_NS1_11comp_targetILNS1_3genE2ELNS1_11target_archE906ELNS1_3gpuE6ELNS1_3repE0EEENS1_30default_config_static_selectorELNS0_4arch9wavefront6targetE0EEEvS13_,@function
_ZN7rocprim17ROCPRIM_400000_NS6detail17trampoline_kernelINS0_13select_configILj256ELj13ELNS0_17block_load_methodE3ELS4_3ELS4_3ELNS0_20block_scan_algorithmE0ELj4294967295EEENS1_25partition_config_selectorILNS1_17partition_subalgoE4EjNS0_10empty_typeEbEEZZNS1_14partition_implILS8_4ELb0ES6_15HIP_vector_typeIjLj2EENS0_17counting_iteratorIjlEEPS9_SG_NS0_5tupleIJPjSI_NS0_16reverse_iteratorISI_EEEEENSH_IJSG_SG_SG_EEES9_SI_JZNS1_25segmented_radix_sort_implINS0_14default_configELb0EPK12hip_bfloat16PSP_PKlPlN2at6native12_GLOBAL__N_18offset_tEEE10hipError_tPvRmT1_PNSt15iterator_traitsIS13_E10value_typeET2_T3_PNS14_IS19_E10value_typeET4_jRbjT5_S1F_jjP12ihipStream_tbEUljE_ZNSN_ISO_Lb0ESR_SS_SU_SV_SZ_EES10_S11_S12_S13_S17_S18_S19_S1C_S1D_jS1E_jS1F_S1F_jjS1H_bEUljE0_EEES10_S11_S12_S19_S1D_S1F_T6_T7_T9_mT8_S1H_bDpT10_ENKUlT_T0_E_clISt17integral_constantIbLb0EES1U_IbLb1EEEEDaS1Q_S1R_EUlS1Q_E_NS1_11comp_targetILNS1_3genE2ELNS1_11target_archE906ELNS1_3gpuE6ELNS1_3repE0EEENS1_30default_config_static_selectorELNS0_4arch9wavefront6targetE0EEEvS13_: ; @_ZN7rocprim17ROCPRIM_400000_NS6detail17trampoline_kernelINS0_13select_configILj256ELj13ELNS0_17block_load_methodE3ELS4_3ELS4_3ELNS0_20block_scan_algorithmE0ELj4294967295EEENS1_25partition_config_selectorILNS1_17partition_subalgoE4EjNS0_10empty_typeEbEEZZNS1_14partition_implILS8_4ELb0ES6_15HIP_vector_typeIjLj2EENS0_17counting_iteratorIjlEEPS9_SG_NS0_5tupleIJPjSI_NS0_16reverse_iteratorISI_EEEEENSH_IJSG_SG_SG_EEES9_SI_JZNS1_25segmented_radix_sort_implINS0_14default_configELb0EPK12hip_bfloat16PSP_PKlPlN2at6native12_GLOBAL__N_18offset_tEEE10hipError_tPvRmT1_PNSt15iterator_traitsIS13_E10value_typeET2_T3_PNS14_IS19_E10value_typeET4_jRbjT5_S1F_jjP12ihipStream_tbEUljE_ZNSN_ISO_Lb0ESR_SS_SU_SV_SZ_EES10_S11_S12_S13_S17_S18_S19_S1C_S1D_jS1E_jS1F_S1F_jjS1H_bEUljE0_EEES10_S11_S12_S19_S1D_S1F_T6_T7_T9_mT8_S1H_bDpT10_ENKUlT_T0_E_clISt17integral_constantIbLb0EES1U_IbLb1EEEEDaS1Q_S1R_EUlS1Q_E_NS1_11comp_targetILNS1_3genE2ELNS1_11target_archE906ELNS1_3gpuE6ELNS1_3repE0EEENS1_30default_config_static_selectorELNS0_4arch9wavefront6targetE0EEEvS13_
; %bb.0:
	.section	.rodata,"a",@progbits
	.p2align	6, 0x0
	.amdhsa_kernel _ZN7rocprim17ROCPRIM_400000_NS6detail17trampoline_kernelINS0_13select_configILj256ELj13ELNS0_17block_load_methodE3ELS4_3ELS4_3ELNS0_20block_scan_algorithmE0ELj4294967295EEENS1_25partition_config_selectorILNS1_17partition_subalgoE4EjNS0_10empty_typeEbEEZZNS1_14partition_implILS8_4ELb0ES6_15HIP_vector_typeIjLj2EENS0_17counting_iteratorIjlEEPS9_SG_NS0_5tupleIJPjSI_NS0_16reverse_iteratorISI_EEEEENSH_IJSG_SG_SG_EEES9_SI_JZNS1_25segmented_radix_sort_implINS0_14default_configELb0EPK12hip_bfloat16PSP_PKlPlN2at6native12_GLOBAL__N_18offset_tEEE10hipError_tPvRmT1_PNSt15iterator_traitsIS13_E10value_typeET2_T3_PNS14_IS19_E10value_typeET4_jRbjT5_S1F_jjP12ihipStream_tbEUljE_ZNSN_ISO_Lb0ESR_SS_SU_SV_SZ_EES10_S11_S12_S13_S17_S18_S19_S1C_S1D_jS1E_jS1F_S1F_jjS1H_bEUljE0_EEES10_S11_S12_S19_S1D_S1F_T6_T7_T9_mT8_S1H_bDpT10_ENKUlT_T0_E_clISt17integral_constantIbLb0EES1U_IbLb1EEEEDaS1Q_S1R_EUlS1Q_E_NS1_11comp_targetILNS1_3genE2ELNS1_11target_archE906ELNS1_3gpuE6ELNS1_3repE0EEENS1_30default_config_static_selectorELNS0_4arch9wavefront6targetE0EEEvS13_
		.amdhsa_group_segment_fixed_size 0
		.amdhsa_private_segment_fixed_size 0
		.amdhsa_kernarg_size 184
		.amdhsa_user_sgpr_count 2
		.amdhsa_user_sgpr_dispatch_ptr 0
		.amdhsa_user_sgpr_queue_ptr 0
		.amdhsa_user_sgpr_kernarg_segment_ptr 1
		.amdhsa_user_sgpr_dispatch_id 0
		.amdhsa_user_sgpr_private_segment_size 0
		.amdhsa_wavefront_size32 1
		.amdhsa_uses_dynamic_stack 0
		.amdhsa_enable_private_segment 0
		.amdhsa_system_sgpr_workgroup_id_x 1
		.amdhsa_system_sgpr_workgroup_id_y 0
		.amdhsa_system_sgpr_workgroup_id_z 0
		.amdhsa_system_sgpr_workgroup_info 0
		.amdhsa_system_vgpr_workitem_id 0
		.amdhsa_next_free_vgpr 1
		.amdhsa_next_free_sgpr 1
		.amdhsa_reserve_vcc 0
		.amdhsa_float_round_mode_32 0
		.amdhsa_float_round_mode_16_64 0
		.amdhsa_float_denorm_mode_32 3
		.amdhsa_float_denorm_mode_16_64 3
		.amdhsa_fp16_overflow 0
		.amdhsa_workgroup_processor_mode 1
		.amdhsa_memory_ordered 1
		.amdhsa_forward_progress 1
		.amdhsa_inst_pref_size 0
		.amdhsa_round_robin_scheduling 0
		.amdhsa_exception_fp_ieee_invalid_op 0
		.amdhsa_exception_fp_denorm_src 0
		.amdhsa_exception_fp_ieee_div_zero 0
		.amdhsa_exception_fp_ieee_overflow 0
		.amdhsa_exception_fp_ieee_underflow 0
		.amdhsa_exception_fp_ieee_inexact 0
		.amdhsa_exception_int_div_zero 0
	.end_amdhsa_kernel
	.section	.text._ZN7rocprim17ROCPRIM_400000_NS6detail17trampoline_kernelINS0_13select_configILj256ELj13ELNS0_17block_load_methodE3ELS4_3ELS4_3ELNS0_20block_scan_algorithmE0ELj4294967295EEENS1_25partition_config_selectorILNS1_17partition_subalgoE4EjNS0_10empty_typeEbEEZZNS1_14partition_implILS8_4ELb0ES6_15HIP_vector_typeIjLj2EENS0_17counting_iteratorIjlEEPS9_SG_NS0_5tupleIJPjSI_NS0_16reverse_iteratorISI_EEEEENSH_IJSG_SG_SG_EEES9_SI_JZNS1_25segmented_radix_sort_implINS0_14default_configELb0EPK12hip_bfloat16PSP_PKlPlN2at6native12_GLOBAL__N_18offset_tEEE10hipError_tPvRmT1_PNSt15iterator_traitsIS13_E10value_typeET2_T3_PNS14_IS19_E10value_typeET4_jRbjT5_S1F_jjP12ihipStream_tbEUljE_ZNSN_ISO_Lb0ESR_SS_SU_SV_SZ_EES10_S11_S12_S13_S17_S18_S19_S1C_S1D_jS1E_jS1F_S1F_jjS1H_bEUljE0_EEES10_S11_S12_S19_S1D_S1F_T6_T7_T9_mT8_S1H_bDpT10_ENKUlT_T0_E_clISt17integral_constantIbLb0EES1U_IbLb1EEEEDaS1Q_S1R_EUlS1Q_E_NS1_11comp_targetILNS1_3genE2ELNS1_11target_archE906ELNS1_3gpuE6ELNS1_3repE0EEENS1_30default_config_static_selectorELNS0_4arch9wavefront6targetE0EEEvS13_,"axG",@progbits,_ZN7rocprim17ROCPRIM_400000_NS6detail17trampoline_kernelINS0_13select_configILj256ELj13ELNS0_17block_load_methodE3ELS4_3ELS4_3ELNS0_20block_scan_algorithmE0ELj4294967295EEENS1_25partition_config_selectorILNS1_17partition_subalgoE4EjNS0_10empty_typeEbEEZZNS1_14partition_implILS8_4ELb0ES6_15HIP_vector_typeIjLj2EENS0_17counting_iteratorIjlEEPS9_SG_NS0_5tupleIJPjSI_NS0_16reverse_iteratorISI_EEEEENSH_IJSG_SG_SG_EEES9_SI_JZNS1_25segmented_radix_sort_implINS0_14default_configELb0EPK12hip_bfloat16PSP_PKlPlN2at6native12_GLOBAL__N_18offset_tEEE10hipError_tPvRmT1_PNSt15iterator_traitsIS13_E10value_typeET2_T3_PNS14_IS19_E10value_typeET4_jRbjT5_S1F_jjP12ihipStream_tbEUljE_ZNSN_ISO_Lb0ESR_SS_SU_SV_SZ_EES10_S11_S12_S13_S17_S18_S19_S1C_S1D_jS1E_jS1F_S1F_jjS1H_bEUljE0_EEES10_S11_S12_S19_S1D_S1F_T6_T7_T9_mT8_S1H_bDpT10_ENKUlT_T0_E_clISt17integral_constantIbLb0EES1U_IbLb1EEEEDaS1Q_S1R_EUlS1Q_E_NS1_11comp_targetILNS1_3genE2ELNS1_11target_archE906ELNS1_3gpuE6ELNS1_3repE0EEENS1_30default_config_static_selectorELNS0_4arch9wavefront6targetE0EEEvS13_,comdat
.Lfunc_end2013:
	.size	_ZN7rocprim17ROCPRIM_400000_NS6detail17trampoline_kernelINS0_13select_configILj256ELj13ELNS0_17block_load_methodE3ELS4_3ELS4_3ELNS0_20block_scan_algorithmE0ELj4294967295EEENS1_25partition_config_selectorILNS1_17partition_subalgoE4EjNS0_10empty_typeEbEEZZNS1_14partition_implILS8_4ELb0ES6_15HIP_vector_typeIjLj2EENS0_17counting_iteratorIjlEEPS9_SG_NS0_5tupleIJPjSI_NS0_16reverse_iteratorISI_EEEEENSH_IJSG_SG_SG_EEES9_SI_JZNS1_25segmented_radix_sort_implINS0_14default_configELb0EPK12hip_bfloat16PSP_PKlPlN2at6native12_GLOBAL__N_18offset_tEEE10hipError_tPvRmT1_PNSt15iterator_traitsIS13_E10value_typeET2_T3_PNS14_IS19_E10value_typeET4_jRbjT5_S1F_jjP12ihipStream_tbEUljE_ZNSN_ISO_Lb0ESR_SS_SU_SV_SZ_EES10_S11_S12_S13_S17_S18_S19_S1C_S1D_jS1E_jS1F_S1F_jjS1H_bEUljE0_EEES10_S11_S12_S19_S1D_S1F_T6_T7_T9_mT8_S1H_bDpT10_ENKUlT_T0_E_clISt17integral_constantIbLb0EES1U_IbLb1EEEEDaS1Q_S1R_EUlS1Q_E_NS1_11comp_targetILNS1_3genE2ELNS1_11target_archE906ELNS1_3gpuE6ELNS1_3repE0EEENS1_30default_config_static_selectorELNS0_4arch9wavefront6targetE0EEEvS13_, .Lfunc_end2013-_ZN7rocprim17ROCPRIM_400000_NS6detail17trampoline_kernelINS0_13select_configILj256ELj13ELNS0_17block_load_methodE3ELS4_3ELS4_3ELNS0_20block_scan_algorithmE0ELj4294967295EEENS1_25partition_config_selectorILNS1_17partition_subalgoE4EjNS0_10empty_typeEbEEZZNS1_14partition_implILS8_4ELb0ES6_15HIP_vector_typeIjLj2EENS0_17counting_iteratorIjlEEPS9_SG_NS0_5tupleIJPjSI_NS0_16reverse_iteratorISI_EEEEENSH_IJSG_SG_SG_EEES9_SI_JZNS1_25segmented_radix_sort_implINS0_14default_configELb0EPK12hip_bfloat16PSP_PKlPlN2at6native12_GLOBAL__N_18offset_tEEE10hipError_tPvRmT1_PNSt15iterator_traitsIS13_E10value_typeET2_T3_PNS14_IS19_E10value_typeET4_jRbjT5_S1F_jjP12ihipStream_tbEUljE_ZNSN_ISO_Lb0ESR_SS_SU_SV_SZ_EES10_S11_S12_S13_S17_S18_S19_S1C_S1D_jS1E_jS1F_S1F_jjS1H_bEUljE0_EEES10_S11_S12_S19_S1D_S1F_T6_T7_T9_mT8_S1H_bDpT10_ENKUlT_T0_E_clISt17integral_constantIbLb0EES1U_IbLb1EEEEDaS1Q_S1R_EUlS1Q_E_NS1_11comp_targetILNS1_3genE2ELNS1_11target_archE906ELNS1_3gpuE6ELNS1_3repE0EEENS1_30default_config_static_selectorELNS0_4arch9wavefront6targetE0EEEvS13_
                                        ; -- End function
	.set _ZN7rocprim17ROCPRIM_400000_NS6detail17trampoline_kernelINS0_13select_configILj256ELj13ELNS0_17block_load_methodE3ELS4_3ELS4_3ELNS0_20block_scan_algorithmE0ELj4294967295EEENS1_25partition_config_selectorILNS1_17partition_subalgoE4EjNS0_10empty_typeEbEEZZNS1_14partition_implILS8_4ELb0ES6_15HIP_vector_typeIjLj2EENS0_17counting_iteratorIjlEEPS9_SG_NS0_5tupleIJPjSI_NS0_16reverse_iteratorISI_EEEEENSH_IJSG_SG_SG_EEES9_SI_JZNS1_25segmented_radix_sort_implINS0_14default_configELb0EPK12hip_bfloat16PSP_PKlPlN2at6native12_GLOBAL__N_18offset_tEEE10hipError_tPvRmT1_PNSt15iterator_traitsIS13_E10value_typeET2_T3_PNS14_IS19_E10value_typeET4_jRbjT5_S1F_jjP12ihipStream_tbEUljE_ZNSN_ISO_Lb0ESR_SS_SU_SV_SZ_EES10_S11_S12_S13_S17_S18_S19_S1C_S1D_jS1E_jS1F_S1F_jjS1H_bEUljE0_EEES10_S11_S12_S19_S1D_S1F_T6_T7_T9_mT8_S1H_bDpT10_ENKUlT_T0_E_clISt17integral_constantIbLb0EES1U_IbLb1EEEEDaS1Q_S1R_EUlS1Q_E_NS1_11comp_targetILNS1_3genE2ELNS1_11target_archE906ELNS1_3gpuE6ELNS1_3repE0EEENS1_30default_config_static_selectorELNS0_4arch9wavefront6targetE0EEEvS13_.num_vgpr, 0
	.set _ZN7rocprim17ROCPRIM_400000_NS6detail17trampoline_kernelINS0_13select_configILj256ELj13ELNS0_17block_load_methodE3ELS4_3ELS4_3ELNS0_20block_scan_algorithmE0ELj4294967295EEENS1_25partition_config_selectorILNS1_17partition_subalgoE4EjNS0_10empty_typeEbEEZZNS1_14partition_implILS8_4ELb0ES6_15HIP_vector_typeIjLj2EENS0_17counting_iteratorIjlEEPS9_SG_NS0_5tupleIJPjSI_NS0_16reverse_iteratorISI_EEEEENSH_IJSG_SG_SG_EEES9_SI_JZNS1_25segmented_radix_sort_implINS0_14default_configELb0EPK12hip_bfloat16PSP_PKlPlN2at6native12_GLOBAL__N_18offset_tEEE10hipError_tPvRmT1_PNSt15iterator_traitsIS13_E10value_typeET2_T3_PNS14_IS19_E10value_typeET4_jRbjT5_S1F_jjP12ihipStream_tbEUljE_ZNSN_ISO_Lb0ESR_SS_SU_SV_SZ_EES10_S11_S12_S13_S17_S18_S19_S1C_S1D_jS1E_jS1F_S1F_jjS1H_bEUljE0_EEES10_S11_S12_S19_S1D_S1F_T6_T7_T9_mT8_S1H_bDpT10_ENKUlT_T0_E_clISt17integral_constantIbLb0EES1U_IbLb1EEEEDaS1Q_S1R_EUlS1Q_E_NS1_11comp_targetILNS1_3genE2ELNS1_11target_archE906ELNS1_3gpuE6ELNS1_3repE0EEENS1_30default_config_static_selectorELNS0_4arch9wavefront6targetE0EEEvS13_.num_agpr, 0
	.set _ZN7rocprim17ROCPRIM_400000_NS6detail17trampoline_kernelINS0_13select_configILj256ELj13ELNS0_17block_load_methodE3ELS4_3ELS4_3ELNS0_20block_scan_algorithmE0ELj4294967295EEENS1_25partition_config_selectorILNS1_17partition_subalgoE4EjNS0_10empty_typeEbEEZZNS1_14partition_implILS8_4ELb0ES6_15HIP_vector_typeIjLj2EENS0_17counting_iteratorIjlEEPS9_SG_NS0_5tupleIJPjSI_NS0_16reverse_iteratorISI_EEEEENSH_IJSG_SG_SG_EEES9_SI_JZNS1_25segmented_radix_sort_implINS0_14default_configELb0EPK12hip_bfloat16PSP_PKlPlN2at6native12_GLOBAL__N_18offset_tEEE10hipError_tPvRmT1_PNSt15iterator_traitsIS13_E10value_typeET2_T3_PNS14_IS19_E10value_typeET4_jRbjT5_S1F_jjP12ihipStream_tbEUljE_ZNSN_ISO_Lb0ESR_SS_SU_SV_SZ_EES10_S11_S12_S13_S17_S18_S19_S1C_S1D_jS1E_jS1F_S1F_jjS1H_bEUljE0_EEES10_S11_S12_S19_S1D_S1F_T6_T7_T9_mT8_S1H_bDpT10_ENKUlT_T0_E_clISt17integral_constantIbLb0EES1U_IbLb1EEEEDaS1Q_S1R_EUlS1Q_E_NS1_11comp_targetILNS1_3genE2ELNS1_11target_archE906ELNS1_3gpuE6ELNS1_3repE0EEENS1_30default_config_static_selectorELNS0_4arch9wavefront6targetE0EEEvS13_.numbered_sgpr, 0
	.set _ZN7rocprim17ROCPRIM_400000_NS6detail17trampoline_kernelINS0_13select_configILj256ELj13ELNS0_17block_load_methodE3ELS4_3ELS4_3ELNS0_20block_scan_algorithmE0ELj4294967295EEENS1_25partition_config_selectorILNS1_17partition_subalgoE4EjNS0_10empty_typeEbEEZZNS1_14partition_implILS8_4ELb0ES6_15HIP_vector_typeIjLj2EENS0_17counting_iteratorIjlEEPS9_SG_NS0_5tupleIJPjSI_NS0_16reverse_iteratorISI_EEEEENSH_IJSG_SG_SG_EEES9_SI_JZNS1_25segmented_radix_sort_implINS0_14default_configELb0EPK12hip_bfloat16PSP_PKlPlN2at6native12_GLOBAL__N_18offset_tEEE10hipError_tPvRmT1_PNSt15iterator_traitsIS13_E10value_typeET2_T3_PNS14_IS19_E10value_typeET4_jRbjT5_S1F_jjP12ihipStream_tbEUljE_ZNSN_ISO_Lb0ESR_SS_SU_SV_SZ_EES10_S11_S12_S13_S17_S18_S19_S1C_S1D_jS1E_jS1F_S1F_jjS1H_bEUljE0_EEES10_S11_S12_S19_S1D_S1F_T6_T7_T9_mT8_S1H_bDpT10_ENKUlT_T0_E_clISt17integral_constantIbLb0EES1U_IbLb1EEEEDaS1Q_S1R_EUlS1Q_E_NS1_11comp_targetILNS1_3genE2ELNS1_11target_archE906ELNS1_3gpuE6ELNS1_3repE0EEENS1_30default_config_static_selectorELNS0_4arch9wavefront6targetE0EEEvS13_.num_named_barrier, 0
	.set _ZN7rocprim17ROCPRIM_400000_NS6detail17trampoline_kernelINS0_13select_configILj256ELj13ELNS0_17block_load_methodE3ELS4_3ELS4_3ELNS0_20block_scan_algorithmE0ELj4294967295EEENS1_25partition_config_selectorILNS1_17partition_subalgoE4EjNS0_10empty_typeEbEEZZNS1_14partition_implILS8_4ELb0ES6_15HIP_vector_typeIjLj2EENS0_17counting_iteratorIjlEEPS9_SG_NS0_5tupleIJPjSI_NS0_16reverse_iteratorISI_EEEEENSH_IJSG_SG_SG_EEES9_SI_JZNS1_25segmented_radix_sort_implINS0_14default_configELb0EPK12hip_bfloat16PSP_PKlPlN2at6native12_GLOBAL__N_18offset_tEEE10hipError_tPvRmT1_PNSt15iterator_traitsIS13_E10value_typeET2_T3_PNS14_IS19_E10value_typeET4_jRbjT5_S1F_jjP12ihipStream_tbEUljE_ZNSN_ISO_Lb0ESR_SS_SU_SV_SZ_EES10_S11_S12_S13_S17_S18_S19_S1C_S1D_jS1E_jS1F_S1F_jjS1H_bEUljE0_EEES10_S11_S12_S19_S1D_S1F_T6_T7_T9_mT8_S1H_bDpT10_ENKUlT_T0_E_clISt17integral_constantIbLb0EES1U_IbLb1EEEEDaS1Q_S1R_EUlS1Q_E_NS1_11comp_targetILNS1_3genE2ELNS1_11target_archE906ELNS1_3gpuE6ELNS1_3repE0EEENS1_30default_config_static_selectorELNS0_4arch9wavefront6targetE0EEEvS13_.private_seg_size, 0
	.set _ZN7rocprim17ROCPRIM_400000_NS6detail17trampoline_kernelINS0_13select_configILj256ELj13ELNS0_17block_load_methodE3ELS4_3ELS4_3ELNS0_20block_scan_algorithmE0ELj4294967295EEENS1_25partition_config_selectorILNS1_17partition_subalgoE4EjNS0_10empty_typeEbEEZZNS1_14partition_implILS8_4ELb0ES6_15HIP_vector_typeIjLj2EENS0_17counting_iteratorIjlEEPS9_SG_NS0_5tupleIJPjSI_NS0_16reverse_iteratorISI_EEEEENSH_IJSG_SG_SG_EEES9_SI_JZNS1_25segmented_radix_sort_implINS0_14default_configELb0EPK12hip_bfloat16PSP_PKlPlN2at6native12_GLOBAL__N_18offset_tEEE10hipError_tPvRmT1_PNSt15iterator_traitsIS13_E10value_typeET2_T3_PNS14_IS19_E10value_typeET4_jRbjT5_S1F_jjP12ihipStream_tbEUljE_ZNSN_ISO_Lb0ESR_SS_SU_SV_SZ_EES10_S11_S12_S13_S17_S18_S19_S1C_S1D_jS1E_jS1F_S1F_jjS1H_bEUljE0_EEES10_S11_S12_S19_S1D_S1F_T6_T7_T9_mT8_S1H_bDpT10_ENKUlT_T0_E_clISt17integral_constantIbLb0EES1U_IbLb1EEEEDaS1Q_S1R_EUlS1Q_E_NS1_11comp_targetILNS1_3genE2ELNS1_11target_archE906ELNS1_3gpuE6ELNS1_3repE0EEENS1_30default_config_static_selectorELNS0_4arch9wavefront6targetE0EEEvS13_.uses_vcc, 0
	.set _ZN7rocprim17ROCPRIM_400000_NS6detail17trampoline_kernelINS0_13select_configILj256ELj13ELNS0_17block_load_methodE3ELS4_3ELS4_3ELNS0_20block_scan_algorithmE0ELj4294967295EEENS1_25partition_config_selectorILNS1_17partition_subalgoE4EjNS0_10empty_typeEbEEZZNS1_14partition_implILS8_4ELb0ES6_15HIP_vector_typeIjLj2EENS0_17counting_iteratorIjlEEPS9_SG_NS0_5tupleIJPjSI_NS0_16reverse_iteratorISI_EEEEENSH_IJSG_SG_SG_EEES9_SI_JZNS1_25segmented_radix_sort_implINS0_14default_configELb0EPK12hip_bfloat16PSP_PKlPlN2at6native12_GLOBAL__N_18offset_tEEE10hipError_tPvRmT1_PNSt15iterator_traitsIS13_E10value_typeET2_T3_PNS14_IS19_E10value_typeET4_jRbjT5_S1F_jjP12ihipStream_tbEUljE_ZNSN_ISO_Lb0ESR_SS_SU_SV_SZ_EES10_S11_S12_S13_S17_S18_S19_S1C_S1D_jS1E_jS1F_S1F_jjS1H_bEUljE0_EEES10_S11_S12_S19_S1D_S1F_T6_T7_T9_mT8_S1H_bDpT10_ENKUlT_T0_E_clISt17integral_constantIbLb0EES1U_IbLb1EEEEDaS1Q_S1R_EUlS1Q_E_NS1_11comp_targetILNS1_3genE2ELNS1_11target_archE906ELNS1_3gpuE6ELNS1_3repE0EEENS1_30default_config_static_selectorELNS0_4arch9wavefront6targetE0EEEvS13_.uses_flat_scratch, 0
	.set _ZN7rocprim17ROCPRIM_400000_NS6detail17trampoline_kernelINS0_13select_configILj256ELj13ELNS0_17block_load_methodE3ELS4_3ELS4_3ELNS0_20block_scan_algorithmE0ELj4294967295EEENS1_25partition_config_selectorILNS1_17partition_subalgoE4EjNS0_10empty_typeEbEEZZNS1_14partition_implILS8_4ELb0ES6_15HIP_vector_typeIjLj2EENS0_17counting_iteratorIjlEEPS9_SG_NS0_5tupleIJPjSI_NS0_16reverse_iteratorISI_EEEEENSH_IJSG_SG_SG_EEES9_SI_JZNS1_25segmented_radix_sort_implINS0_14default_configELb0EPK12hip_bfloat16PSP_PKlPlN2at6native12_GLOBAL__N_18offset_tEEE10hipError_tPvRmT1_PNSt15iterator_traitsIS13_E10value_typeET2_T3_PNS14_IS19_E10value_typeET4_jRbjT5_S1F_jjP12ihipStream_tbEUljE_ZNSN_ISO_Lb0ESR_SS_SU_SV_SZ_EES10_S11_S12_S13_S17_S18_S19_S1C_S1D_jS1E_jS1F_S1F_jjS1H_bEUljE0_EEES10_S11_S12_S19_S1D_S1F_T6_T7_T9_mT8_S1H_bDpT10_ENKUlT_T0_E_clISt17integral_constantIbLb0EES1U_IbLb1EEEEDaS1Q_S1R_EUlS1Q_E_NS1_11comp_targetILNS1_3genE2ELNS1_11target_archE906ELNS1_3gpuE6ELNS1_3repE0EEENS1_30default_config_static_selectorELNS0_4arch9wavefront6targetE0EEEvS13_.has_dyn_sized_stack, 0
	.set _ZN7rocprim17ROCPRIM_400000_NS6detail17trampoline_kernelINS0_13select_configILj256ELj13ELNS0_17block_load_methodE3ELS4_3ELS4_3ELNS0_20block_scan_algorithmE0ELj4294967295EEENS1_25partition_config_selectorILNS1_17partition_subalgoE4EjNS0_10empty_typeEbEEZZNS1_14partition_implILS8_4ELb0ES6_15HIP_vector_typeIjLj2EENS0_17counting_iteratorIjlEEPS9_SG_NS0_5tupleIJPjSI_NS0_16reverse_iteratorISI_EEEEENSH_IJSG_SG_SG_EEES9_SI_JZNS1_25segmented_radix_sort_implINS0_14default_configELb0EPK12hip_bfloat16PSP_PKlPlN2at6native12_GLOBAL__N_18offset_tEEE10hipError_tPvRmT1_PNSt15iterator_traitsIS13_E10value_typeET2_T3_PNS14_IS19_E10value_typeET4_jRbjT5_S1F_jjP12ihipStream_tbEUljE_ZNSN_ISO_Lb0ESR_SS_SU_SV_SZ_EES10_S11_S12_S13_S17_S18_S19_S1C_S1D_jS1E_jS1F_S1F_jjS1H_bEUljE0_EEES10_S11_S12_S19_S1D_S1F_T6_T7_T9_mT8_S1H_bDpT10_ENKUlT_T0_E_clISt17integral_constantIbLb0EES1U_IbLb1EEEEDaS1Q_S1R_EUlS1Q_E_NS1_11comp_targetILNS1_3genE2ELNS1_11target_archE906ELNS1_3gpuE6ELNS1_3repE0EEENS1_30default_config_static_selectorELNS0_4arch9wavefront6targetE0EEEvS13_.has_recursion, 0
	.set _ZN7rocprim17ROCPRIM_400000_NS6detail17trampoline_kernelINS0_13select_configILj256ELj13ELNS0_17block_load_methodE3ELS4_3ELS4_3ELNS0_20block_scan_algorithmE0ELj4294967295EEENS1_25partition_config_selectorILNS1_17partition_subalgoE4EjNS0_10empty_typeEbEEZZNS1_14partition_implILS8_4ELb0ES6_15HIP_vector_typeIjLj2EENS0_17counting_iteratorIjlEEPS9_SG_NS0_5tupleIJPjSI_NS0_16reverse_iteratorISI_EEEEENSH_IJSG_SG_SG_EEES9_SI_JZNS1_25segmented_radix_sort_implINS0_14default_configELb0EPK12hip_bfloat16PSP_PKlPlN2at6native12_GLOBAL__N_18offset_tEEE10hipError_tPvRmT1_PNSt15iterator_traitsIS13_E10value_typeET2_T3_PNS14_IS19_E10value_typeET4_jRbjT5_S1F_jjP12ihipStream_tbEUljE_ZNSN_ISO_Lb0ESR_SS_SU_SV_SZ_EES10_S11_S12_S13_S17_S18_S19_S1C_S1D_jS1E_jS1F_S1F_jjS1H_bEUljE0_EEES10_S11_S12_S19_S1D_S1F_T6_T7_T9_mT8_S1H_bDpT10_ENKUlT_T0_E_clISt17integral_constantIbLb0EES1U_IbLb1EEEEDaS1Q_S1R_EUlS1Q_E_NS1_11comp_targetILNS1_3genE2ELNS1_11target_archE906ELNS1_3gpuE6ELNS1_3repE0EEENS1_30default_config_static_selectorELNS0_4arch9wavefront6targetE0EEEvS13_.has_indirect_call, 0
	.section	.AMDGPU.csdata,"",@progbits
; Kernel info:
; codeLenInByte = 0
; TotalNumSgprs: 0
; NumVgprs: 0
; ScratchSize: 0
; MemoryBound: 0
; FloatMode: 240
; IeeeMode: 1
; LDSByteSize: 0 bytes/workgroup (compile time only)
; SGPRBlocks: 0
; VGPRBlocks: 0
; NumSGPRsForWavesPerEU: 1
; NumVGPRsForWavesPerEU: 1
; Occupancy: 16
; WaveLimiterHint : 0
; COMPUTE_PGM_RSRC2:SCRATCH_EN: 0
; COMPUTE_PGM_RSRC2:USER_SGPR: 2
; COMPUTE_PGM_RSRC2:TRAP_HANDLER: 0
; COMPUTE_PGM_RSRC2:TGID_X_EN: 1
; COMPUTE_PGM_RSRC2:TGID_Y_EN: 0
; COMPUTE_PGM_RSRC2:TGID_Z_EN: 0
; COMPUTE_PGM_RSRC2:TIDIG_COMP_CNT: 0
	.section	.text._ZN7rocprim17ROCPRIM_400000_NS6detail17trampoline_kernelINS0_13select_configILj256ELj13ELNS0_17block_load_methodE3ELS4_3ELS4_3ELNS0_20block_scan_algorithmE0ELj4294967295EEENS1_25partition_config_selectorILNS1_17partition_subalgoE4EjNS0_10empty_typeEbEEZZNS1_14partition_implILS8_4ELb0ES6_15HIP_vector_typeIjLj2EENS0_17counting_iteratorIjlEEPS9_SG_NS0_5tupleIJPjSI_NS0_16reverse_iteratorISI_EEEEENSH_IJSG_SG_SG_EEES9_SI_JZNS1_25segmented_radix_sort_implINS0_14default_configELb0EPK12hip_bfloat16PSP_PKlPlN2at6native12_GLOBAL__N_18offset_tEEE10hipError_tPvRmT1_PNSt15iterator_traitsIS13_E10value_typeET2_T3_PNS14_IS19_E10value_typeET4_jRbjT5_S1F_jjP12ihipStream_tbEUljE_ZNSN_ISO_Lb0ESR_SS_SU_SV_SZ_EES10_S11_S12_S13_S17_S18_S19_S1C_S1D_jS1E_jS1F_S1F_jjS1H_bEUljE0_EEES10_S11_S12_S19_S1D_S1F_T6_T7_T9_mT8_S1H_bDpT10_ENKUlT_T0_E_clISt17integral_constantIbLb0EES1U_IbLb1EEEEDaS1Q_S1R_EUlS1Q_E_NS1_11comp_targetILNS1_3genE10ELNS1_11target_archE1200ELNS1_3gpuE4ELNS1_3repE0EEENS1_30default_config_static_selectorELNS0_4arch9wavefront6targetE0EEEvS13_,"axG",@progbits,_ZN7rocprim17ROCPRIM_400000_NS6detail17trampoline_kernelINS0_13select_configILj256ELj13ELNS0_17block_load_methodE3ELS4_3ELS4_3ELNS0_20block_scan_algorithmE0ELj4294967295EEENS1_25partition_config_selectorILNS1_17partition_subalgoE4EjNS0_10empty_typeEbEEZZNS1_14partition_implILS8_4ELb0ES6_15HIP_vector_typeIjLj2EENS0_17counting_iteratorIjlEEPS9_SG_NS0_5tupleIJPjSI_NS0_16reverse_iteratorISI_EEEEENSH_IJSG_SG_SG_EEES9_SI_JZNS1_25segmented_radix_sort_implINS0_14default_configELb0EPK12hip_bfloat16PSP_PKlPlN2at6native12_GLOBAL__N_18offset_tEEE10hipError_tPvRmT1_PNSt15iterator_traitsIS13_E10value_typeET2_T3_PNS14_IS19_E10value_typeET4_jRbjT5_S1F_jjP12ihipStream_tbEUljE_ZNSN_ISO_Lb0ESR_SS_SU_SV_SZ_EES10_S11_S12_S13_S17_S18_S19_S1C_S1D_jS1E_jS1F_S1F_jjS1H_bEUljE0_EEES10_S11_S12_S19_S1D_S1F_T6_T7_T9_mT8_S1H_bDpT10_ENKUlT_T0_E_clISt17integral_constantIbLb0EES1U_IbLb1EEEEDaS1Q_S1R_EUlS1Q_E_NS1_11comp_targetILNS1_3genE10ELNS1_11target_archE1200ELNS1_3gpuE4ELNS1_3repE0EEENS1_30default_config_static_selectorELNS0_4arch9wavefront6targetE0EEEvS13_,comdat
	.globl	_ZN7rocprim17ROCPRIM_400000_NS6detail17trampoline_kernelINS0_13select_configILj256ELj13ELNS0_17block_load_methodE3ELS4_3ELS4_3ELNS0_20block_scan_algorithmE0ELj4294967295EEENS1_25partition_config_selectorILNS1_17partition_subalgoE4EjNS0_10empty_typeEbEEZZNS1_14partition_implILS8_4ELb0ES6_15HIP_vector_typeIjLj2EENS0_17counting_iteratorIjlEEPS9_SG_NS0_5tupleIJPjSI_NS0_16reverse_iteratorISI_EEEEENSH_IJSG_SG_SG_EEES9_SI_JZNS1_25segmented_radix_sort_implINS0_14default_configELb0EPK12hip_bfloat16PSP_PKlPlN2at6native12_GLOBAL__N_18offset_tEEE10hipError_tPvRmT1_PNSt15iterator_traitsIS13_E10value_typeET2_T3_PNS14_IS19_E10value_typeET4_jRbjT5_S1F_jjP12ihipStream_tbEUljE_ZNSN_ISO_Lb0ESR_SS_SU_SV_SZ_EES10_S11_S12_S13_S17_S18_S19_S1C_S1D_jS1E_jS1F_S1F_jjS1H_bEUljE0_EEES10_S11_S12_S19_S1D_S1F_T6_T7_T9_mT8_S1H_bDpT10_ENKUlT_T0_E_clISt17integral_constantIbLb0EES1U_IbLb1EEEEDaS1Q_S1R_EUlS1Q_E_NS1_11comp_targetILNS1_3genE10ELNS1_11target_archE1200ELNS1_3gpuE4ELNS1_3repE0EEENS1_30default_config_static_selectorELNS0_4arch9wavefront6targetE0EEEvS13_ ; -- Begin function _ZN7rocprim17ROCPRIM_400000_NS6detail17trampoline_kernelINS0_13select_configILj256ELj13ELNS0_17block_load_methodE3ELS4_3ELS4_3ELNS0_20block_scan_algorithmE0ELj4294967295EEENS1_25partition_config_selectorILNS1_17partition_subalgoE4EjNS0_10empty_typeEbEEZZNS1_14partition_implILS8_4ELb0ES6_15HIP_vector_typeIjLj2EENS0_17counting_iteratorIjlEEPS9_SG_NS0_5tupleIJPjSI_NS0_16reverse_iteratorISI_EEEEENSH_IJSG_SG_SG_EEES9_SI_JZNS1_25segmented_radix_sort_implINS0_14default_configELb0EPK12hip_bfloat16PSP_PKlPlN2at6native12_GLOBAL__N_18offset_tEEE10hipError_tPvRmT1_PNSt15iterator_traitsIS13_E10value_typeET2_T3_PNS14_IS19_E10value_typeET4_jRbjT5_S1F_jjP12ihipStream_tbEUljE_ZNSN_ISO_Lb0ESR_SS_SU_SV_SZ_EES10_S11_S12_S13_S17_S18_S19_S1C_S1D_jS1E_jS1F_S1F_jjS1H_bEUljE0_EEES10_S11_S12_S19_S1D_S1F_T6_T7_T9_mT8_S1H_bDpT10_ENKUlT_T0_E_clISt17integral_constantIbLb0EES1U_IbLb1EEEEDaS1Q_S1R_EUlS1Q_E_NS1_11comp_targetILNS1_3genE10ELNS1_11target_archE1200ELNS1_3gpuE4ELNS1_3repE0EEENS1_30default_config_static_selectorELNS0_4arch9wavefront6targetE0EEEvS13_
	.p2align	8
	.type	_ZN7rocprim17ROCPRIM_400000_NS6detail17trampoline_kernelINS0_13select_configILj256ELj13ELNS0_17block_load_methodE3ELS4_3ELS4_3ELNS0_20block_scan_algorithmE0ELj4294967295EEENS1_25partition_config_selectorILNS1_17partition_subalgoE4EjNS0_10empty_typeEbEEZZNS1_14partition_implILS8_4ELb0ES6_15HIP_vector_typeIjLj2EENS0_17counting_iteratorIjlEEPS9_SG_NS0_5tupleIJPjSI_NS0_16reverse_iteratorISI_EEEEENSH_IJSG_SG_SG_EEES9_SI_JZNS1_25segmented_radix_sort_implINS0_14default_configELb0EPK12hip_bfloat16PSP_PKlPlN2at6native12_GLOBAL__N_18offset_tEEE10hipError_tPvRmT1_PNSt15iterator_traitsIS13_E10value_typeET2_T3_PNS14_IS19_E10value_typeET4_jRbjT5_S1F_jjP12ihipStream_tbEUljE_ZNSN_ISO_Lb0ESR_SS_SU_SV_SZ_EES10_S11_S12_S13_S17_S18_S19_S1C_S1D_jS1E_jS1F_S1F_jjS1H_bEUljE0_EEES10_S11_S12_S19_S1D_S1F_T6_T7_T9_mT8_S1H_bDpT10_ENKUlT_T0_E_clISt17integral_constantIbLb0EES1U_IbLb1EEEEDaS1Q_S1R_EUlS1Q_E_NS1_11comp_targetILNS1_3genE10ELNS1_11target_archE1200ELNS1_3gpuE4ELNS1_3repE0EEENS1_30default_config_static_selectorELNS0_4arch9wavefront6targetE0EEEvS13_,@function
_ZN7rocprim17ROCPRIM_400000_NS6detail17trampoline_kernelINS0_13select_configILj256ELj13ELNS0_17block_load_methodE3ELS4_3ELS4_3ELNS0_20block_scan_algorithmE0ELj4294967295EEENS1_25partition_config_selectorILNS1_17partition_subalgoE4EjNS0_10empty_typeEbEEZZNS1_14partition_implILS8_4ELb0ES6_15HIP_vector_typeIjLj2EENS0_17counting_iteratorIjlEEPS9_SG_NS0_5tupleIJPjSI_NS0_16reverse_iteratorISI_EEEEENSH_IJSG_SG_SG_EEES9_SI_JZNS1_25segmented_radix_sort_implINS0_14default_configELb0EPK12hip_bfloat16PSP_PKlPlN2at6native12_GLOBAL__N_18offset_tEEE10hipError_tPvRmT1_PNSt15iterator_traitsIS13_E10value_typeET2_T3_PNS14_IS19_E10value_typeET4_jRbjT5_S1F_jjP12ihipStream_tbEUljE_ZNSN_ISO_Lb0ESR_SS_SU_SV_SZ_EES10_S11_S12_S13_S17_S18_S19_S1C_S1D_jS1E_jS1F_S1F_jjS1H_bEUljE0_EEES10_S11_S12_S19_S1D_S1F_T6_T7_T9_mT8_S1H_bDpT10_ENKUlT_T0_E_clISt17integral_constantIbLb0EES1U_IbLb1EEEEDaS1Q_S1R_EUlS1Q_E_NS1_11comp_targetILNS1_3genE10ELNS1_11target_archE1200ELNS1_3gpuE4ELNS1_3repE0EEENS1_30default_config_static_selectorELNS0_4arch9wavefront6targetE0EEEvS13_: ; @_ZN7rocprim17ROCPRIM_400000_NS6detail17trampoline_kernelINS0_13select_configILj256ELj13ELNS0_17block_load_methodE3ELS4_3ELS4_3ELNS0_20block_scan_algorithmE0ELj4294967295EEENS1_25partition_config_selectorILNS1_17partition_subalgoE4EjNS0_10empty_typeEbEEZZNS1_14partition_implILS8_4ELb0ES6_15HIP_vector_typeIjLj2EENS0_17counting_iteratorIjlEEPS9_SG_NS0_5tupleIJPjSI_NS0_16reverse_iteratorISI_EEEEENSH_IJSG_SG_SG_EEES9_SI_JZNS1_25segmented_radix_sort_implINS0_14default_configELb0EPK12hip_bfloat16PSP_PKlPlN2at6native12_GLOBAL__N_18offset_tEEE10hipError_tPvRmT1_PNSt15iterator_traitsIS13_E10value_typeET2_T3_PNS14_IS19_E10value_typeET4_jRbjT5_S1F_jjP12ihipStream_tbEUljE_ZNSN_ISO_Lb0ESR_SS_SU_SV_SZ_EES10_S11_S12_S13_S17_S18_S19_S1C_S1D_jS1E_jS1F_S1F_jjS1H_bEUljE0_EEES10_S11_S12_S19_S1D_S1F_T6_T7_T9_mT8_S1H_bDpT10_ENKUlT_T0_E_clISt17integral_constantIbLb0EES1U_IbLb1EEEEDaS1Q_S1R_EUlS1Q_E_NS1_11comp_targetILNS1_3genE10ELNS1_11target_archE1200ELNS1_3gpuE4ELNS1_3repE0EEENS1_30default_config_static_selectorELNS0_4arch9wavefront6targetE0EEEvS13_
; %bb.0:
	s_clause 0x7
	s_load_b64 s[34:35], s[0:1], 0x10
	s_load_b128 s[28:31], s[0:1], 0x28
	s_load_b64 s[14:15], s[0:1], 0x38
	s_load_b128 s[24:27], s[0:1], 0x58
	s_load_b64 s[4:5], s[0:1], 0x68
	s_load_b64 s[36:37], s[0:1], 0x78
	;; [unrolled: 1-line block ×3, first 2 shown]
	s_load_b256 s[16:23], s[0:1], 0x90
	v_cmp_eq_u32_e64 s2, 0, v0
	s_and_saveexec_b32 s3, s2
	s_cbranch_execz .LBB2014_4
; %bb.1:
	s_mov_b32 s7, exec_lo
	s_mov_b32 s6, exec_lo
	v_mbcnt_lo_u32_b32 v1, s7, 0
                                        ; implicit-def: $vgpr2
	s_delay_alu instid0(VALU_DEP_1)
	v_cmpx_eq_u32_e32 0, v1
	s_cbranch_execz .LBB2014_3
; %bb.2:
	s_load_b64 s[8:9], s[0:1], 0x88
	s_bcnt1_i32_b32 s7, s7
	s_wait_alu 0xfffe
	v_dual_mov_b32 v2, 0 :: v_dual_mov_b32 v3, s7
	s_wait_kmcnt 0x0
	global_atomic_add_u32 v2, v2, v3, s[8:9] th:TH_ATOMIC_RETURN scope:SCOPE_DEV
.LBB2014_3:
	s_or_b32 exec_lo, exec_lo, s6
	s_wait_loadcnt 0x0
	v_readfirstlane_b32 s6, v2
	s_wait_alu 0xf1ff
	s_delay_alu instid0(VALU_DEP_1)
	v_dual_mov_b32 v2, 0 :: v_dual_add_nc_u32 v1, s6, v1
	ds_store_b32 v2, v1
.LBB2014_4:
	s_or_b32 exec_lo, exec_lo, s3
	v_mov_b32_e32 v1, 0
	s_clause 0x1
	s_load_b32 s3, s[0:1], 0x8
	s_load_b32 s0, s[0:1], 0x80
	s_wait_dscnt 0x0
	s_barrier_signal -1
	s_barrier_wait -1
	global_inv scope:SCOPE_SE
	ds_load_b32 v5, v1
	s_wait_loadcnt_dscnt 0x0
	s_barrier_signal -1
	s_barrier_wait -1
	global_inv scope:SCOPE_SE
	s_wait_kmcnt 0x0
	global_load_b128 v[1:4], v1, s[26:27]
	s_mov_b32 s1, 0
	s_add_co_i32 s3, s3, s34
	s_add_co_i32 s6, s0, -1
	s_mulk_i32 s0, 0xd00
	s_delay_alu instid0(SALU_CYCLE_1)
	s_add_co_i32 s7, s0, s34
	s_add_nc_u64 s[0:1], s[34:35], s[0:1]
	v_readfirstlane_b32 s33, v5
	v_cmp_gt_u64_e64 s0, s[4:5], s[0:1]
	s_wait_alu 0xfffe
	s_sub_co_i32 s27, s4, s7
	v_cmp_ne_u32_e32 vcc_lo, s6, v5
	v_mul_lo_u32 v43, 0xd00, v5
	s_addk_co_i32 s27, 0xd00
	s_cmp_eq_u32 s33, s6
	s_mov_b32 s4, -1
	s_cselect_b32 s26, -1, 0
	s_or_b32 s1, s0, vcc_lo
	s_wait_alu 0xfffe
	s_and_b32 vcc_lo, exec_lo, s1
	s_cbranch_vccz .LBB2014_6
; %bb.5:
	v_add3_u32 v5, v43, s3, v0
	v_lshlrev_b32_e32 v14, 2, v0
	s_mov_b32 s4, 0
	s_delay_alu instid0(VALU_DEP_2)
	v_add_nc_u32_e32 v6, 0x100, v5
	v_add_nc_u32_e32 v7, 0x200, v5
	;; [unrolled: 1-line block ×12, first 2 shown]
	ds_store_2addr_stride64_b32 v14, v5, v6 offset1:4
	ds_store_2addr_stride64_b32 v14, v7, v8 offset0:8 offset1:12
	ds_store_2addr_stride64_b32 v14, v9, v10 offset0:16 offset1:20
	;; [unrolled: 1-line block ×5, first 2 shown]
	ds_store_b32 v14, v18 offset:12288
	s_wait_loadcnt_dscnt 0x0
	s_barrier_signal -1
	s_barrier_wait -1
.LBB2014_6:
	v_cmp_gt_u32_e64 s0, s27, v0
	v_or_b32_e32 v42, 0x100, v0
	v_or_b32_e32 v41, 0x200, v0
	;; [unrolled: 1-line block ×12, first 2 shown]
	s_wait_alu 0xfffe
	s_and_not1_b32 vcc_lo, exec_lo, s4
	s_cbranch_vccnz .LBB2014_8
; %bb.7:
	v_add_nc_u32_e32 v5, s3, v43
	v_cmp_gt_u32_e32 vcc_lo, s27, v42
	s_delay_alu instid0(VALU_DEP_2) | instskip(NEXT) | instid1(VALU_DEP_1)
	v_add_nc_u32_e32 v7, v5, v42
	v_dual_cndmask_b32 v7, 0, v7 :: v_dual_add_nc_u32 v8, v5, v41
	v_cmp_gt_u32_e32 vcc_lo, s27, v41
	s_wait_alu 0xfffd
	s_delay_alu instid0(VALU_DEP_2)
	v_cndmask_b32_e32 v8, 0, v8, vcc_lo
	v_cmp_gt_u32_e32 vcc_lo, s27, v40
	v_add_nc_u32_e32 v17, v5, v32
	v_add_nc_u32_e32 v14, v5, v35
	;; [unrolled: 1-line block ×9, first 2 shown]
	s_wait_alu 0xfffd
	v_cndmask_b32_e32 v9, 0, v9, vcc_lo
	v_cmp_gt_u32_e32 vcc_lo, s27, v39
	v_cndmask_b32_e64 v6, 0, v6, s0
	s_wait_alu 0xfffd
	v_cndmask_b32_e32 v10, 0, v10, vcc_lo
	v_cmp_gt_u32_e32 vcc_lo, s27, v38
	v_add_nc_u32_e32 v12, v5, v37
	v_add_nc_u32_e32 v5, v5, v31
	s_wait_alu 0xfffd
	v_cndmask_b32_e32 v11, 0, v11, vcc_lo
	v_cmp_gt_u32_e32 vcc_lo, s27, v37
	s_wait_alu 0xfffd
	v_cndmask_b32_e32 v12, 0, v12, vcc_lo
	v_cmp_gt_u32_e32 vcc_lo, s27, v36
	;; [unrolled: 3-line block ×7, first 2 shown]
	s_wait_alu 0xfffd
	v_dual_cndmask_b32 v5, 0, v5 :: v_dual_lshlrev_b32 v18, 2, v0
	ds_store_2addr_stride64_b32 v18, v6, v7 offset1:4
	ds_store_2addr_stride64_b32 v18, v8, v9 offset0:8 offset1:12
	ds_store_2addr_stride64_b32 v18, v10, v11 offset0:16 offset1:20
	;; [unrolled: 1-line block ×5, first 2 shown]
	ds_store_b32 v18, v5 offset:12288
	s_wait_loadcnt_dscnt 0x0
	s_barrier_signal -1
	s_barrier_wait -1
.LBB2014_8:
	v_mul_u32_u24_e32 v46, 13, v0
	s_wait_loadcnt 0x0
	global_inv scope:SCOPE_SE
	v_cndmask_b32_e64 v44, 0, 1, s1
	s_and_not1_b32 vcc_lo, exec_lo, s1
	v_lshlrev_b32_e32 v5, 2, v46
	ds_load_2addr_b32 v[23:24], v5 offset1:1
	ds_load_2addr_b32 v[21:22], v5 offset0:2 offset1:3
	ds_load_2addr_b32 v[19:20], v5 offset0:4 offset1:5
	;; [unrolled: 1-line block ×5, first 2 shown]
	ds_load_b32 v45, v5 offset:48
	s_wait_loadcnt_dscnt 0x0
	s_barrier_signal -1
	s_barrier_wait -1
	global_inv scope:SCOPE_SE
	s_wait_alu 0xfffe
	s_cbranch_vccnz .LBB2014_36
; %bb.9:
	v_add_nc_u32_e32 v5, s17, v23
	v_add_nc_u32_e32 v6, s19, v23
	s_mov_b32 s41, 0
	s_mov_b32 s40, 0
	s_mov_b32 s1, exec_lo
	v_mul_lo_u32 v5, v5, s16
	v_mul_lo_u32 v6, v6, s18
	s_delay_alu instid0(VALU_DEP_1) | instskip(NEXT) | instid1(VALU_DEP_1)
	v_sub_nc_u32_e32 v5, v5, v6
	v_cmp_lt_u32_e32 vcc_lo, s20, v5
	v_cmpx_ge_u32_e64 s20, v5
	s_cbranch_execz .LBB2014_11
; %bb.10:
	v_add_nc_u32_e32 v5, s22, v23
	v_add_nc_u32_e32 v6, s38, v23
	s_delay_alu instid0(VALU_DEP_2) | instskip(NEXT) | instid1(VALU_DEP_2)
	v_mul_lo_u32 v5, v5, s21
	v_mul_lo_u32 v6, v6, s23
	s_delay_alu instid0(VALU_DEP_1) | instskip(NEXT) | instid1(VALU_DEP_1)
	v_sub_nc_u32_e32 v5, v5, v6
	v_cmp_lt_u32_e64 s0, s39, v5
	s_and_b32 s40, s0, exec_lo
.LBB2014_11:
	s_wait_alu 0xfffe
	s_or_b32 exec_lo, exec_lo, s1
	v_add_nc_u32_e32 v5, s17, v24
	v_add_nc_u32_e32 v6, s19, v24
	s_mov_b32 s3, exec_lo
	s_delay_alu instid0(VALU_DEP_2) | instskip(NEXT) | instid1(VALU_DEP_2)
	v_mul_lo_u32 v5, v5, s16
	v_mul_lo_u32 v6, v6, s18
	s_delay_alu instid0(VALU_DEP_1) | instskip(NEXT) | instid1(VALU_DEP_1)
	v_sub_nc_u32_e32 v5, v5, v6
	v_cmp_lt_u32_e64 s0, s20, v5
	v_cmpx_ge_u32_e64 s20, v5
	s_cbranch_execz .LBB2014_13
; %bb.12:
	v_add_nc_u32_e32 v5, s22, v24
	v_add_nc_u32_e32 v6, s38, v24
	s_delay_alu instid0(VALU_DEP_2) | instskip(NEXT) | instid1(VALU_DEP_2)
	v_mul_lo_u32 v5, v5, s21
	v_mul_lo_u32 v6, v6, s23
	s_delay_alu instid0(VALU_DEP_1) | instskip(NEXT) | instid1(VALU_DEP_1)
	v_sub_nc_u32_e32 v5, v5, v6
	v_cmp_lt_u32_e64 s1, s39, v5
	s_and_b32 s41, s1, exec_lo
.LBB2014_13:
	s_wait_alu 0xfffe
	s_or_b32 exec_lo, exec_lo, s3
	v_add_nc_u32_e32 v5, s17, v21
	v_add_nc_u32_e32 v6, s19, v21
	s_mov_b32 s43, 0
	s_mov_b32 s42, 0
	s_mov_b32 s4, exec_lo
	v_mul_lo_u32 v5, v5, s16
	v_mul_lo_u32 v6, v6, s18
	s_delay_alu instid0(VALU_DEP_1) | instskip(NEXT) | instid1(VALU_DEP_1)
	v_sub_nc_u32_e32 v5, v5, v6
	v_cmp_lt_u32_e64 s1, s20, v5
	v_cmpx_ge_u32_e64 s20, v5
	s_cbranch_execz .LBB2014_15
; %bb.14:
	v_add_nc_u32_e32 v5, s22, v21
	v_add_nc_u32_e32 v6, s38, v21
	s_delay_alu instid0(VALU_DEP_2) | instskip(NEXT) | instid1(VALU_DEP_2)
	v_mul_lo_u32 v5, v5, s21
	v_mul_lo_u32 v6, v6, s23
	s_delay_alu instid0(VALU_DEP_1) | instskip(NEXT) | instid1(VALU_DEP_1)
	v_sub_nc_u32_e32 v5, v5, v6
	v_cmp_lt_u32_e64 s3, s39, v5
	s_and_b32 s42, s3, exec_lo
.LBB2014_15:
	s_wait_alu 0xfffe
	s_or_b32 exec_lo, exec_lo, s4
	v_add_nc_u32_e32 v5, s17, v22
	v_add_nc_u32_e32 v6, s19, v22
	s_mov_b32 s5, exec_lo
	s_delay_alu instid0(VALU_DEP_2) | instskip(NEXT) | instid1(VALU_DEP_2)
	v_mul_lo_u32 v5, v5, s16
	v_mul_lo_u32 v6, v6, s18
	s_delay_alu instid0(VALU_DEP_1) | instskip(NEXT) | instid1(VALU_DEP_1)
	v_sub_nc_u32_e32 v5, v5, v6
	v_cmp_lt_u32_e64 s3, s20, v5
	v_cmpx_ge_u32_e64 s20, v5
	s_cbranch_execz .LBB2014_17
; %bb.16:
	v_add_nc_u32_e32 v5, s22, v22
	v_add_nc_u32_e32 v6, s38, v22
	s_delay_alu instid0(VALU_DEP_2) | instskip(NEXT) | instid1(VALU_DEP_2)
	v_mul_lo_u32 v5, v5, s21
	v_mul_lo_u32 v6, v6, s23
	s_delay_alu instid0(VALU_DEP_1) | instskip(NEXT) | instid1(VALU_DEP_1)
	v_sub_nc_u32_e32 v5, v5, v6
	v_cmp_lt_u32_e64 s4, s39, v5
	s_and_b32 s43, s4, exec_lo
.LBB2014_17:
	s_wait_alu 0xfffe
	s_or_b32 exec_lo, exec_lo, s5
	v_add_nc_u32_e32 v5, s17, v19
	v_add_nc_u32_e32 v6, s19, v19
	s_mov_b32 s45, 0
	s_mov_b32 s44, 0
	s_mov_b32 s6, exec_lo
	v_mul_lo_u32 v5, v5, s16
	v_mul_lo_u32 v6, v6, s18
	s_delay_alu instid0(VALU_DEP_1) | instskip(NEXT) | instid1(VALU_DEP_1)
	v_sub_nc_u32_e32 v5, v5, v6
	v_cmp_lt_u32_e64 s4, s20, v5
	v_cmpx_ge_u32_e64 s20, v5
	s_cbranch_execz .LBB2014_19
; %bb.18:
	v_add_nc_u32_e32 v5, s22, v19
	v_add_nc_u32_e32 v6, s38, v19
	s_delay_alu instid0(VALU_DEP_2) | instskip(NEXT) | instid1(VALU_DEP_2)
	v_mul_lo_u32 v5, v5, s21
	v_mul_lo_u32 v6, v6, s23
	s_delay_alu instid0(VALU_DEP_1) | instskip(NEXT) | instid1(VALU_DEP_1)
	v_sub_nc_u32_e32 v5, v5, v6
	v_cmp_lt_u32_e64 s5, s39, v5
	s_and_b32 s44, s5, exec_lo
.LBB2014_19:
	s_wait_alu 0xfffe
	s_or_b32 exec_lo, exec_lo, s6
	v_add_nc_u32_e32 v5, s17, v20
	v_add_nc_u32_e32 v6, s19, v20
	s_mov_b32 s7, exec_lo
	s_delay_alu instid0(VALU_DEP_2) | instskip(NEXT) | instid1(VALU_DEP_2)
	v_mul_lo_u32 v5, v5, s16
	v_mul_lo_u32 v6, v6, s18
	s_delay_alu instid0(VALU_DEP_1) | instskip(NEXT) | instid1(VALU_DEP_1)
	v_sub_nc_u32_e32 v5, v5, v6
	v_cmp_lt_u32_e64 s5, s20, v5
	v_cmpx_ge_u32_e64 s20, v5
	s_cbranch_execz .LBB2014_21
; %bb.20:
	v_add_nc_u32_e32 v5, s22, v20
	v_add_nc_u32_e32 v6, s38, v20
	s_delay_alu instid0(VALU_DEP_2) | instskip(NEXT) | instid1(VALU_DEP_2)
	v_mul_lo_u32 v5, v5, s21
	v_mul_lo_u32 v6, v6, s23
	s_delay_alu instid0(VALU_DEP_1) | instskip(NEXT) | instid1(VALU_DEP_1)
	v_sub_nc_u32_e32 v5, v5, v6
	v_cmp_lt_u32_e64 s6, s39, v5
	s_and_b32 s45, s6, exec_lo
.LBB2014_21:
	s_wait_alu 0xfffe
	s_or_b32 exec_lo, exec_lo, s7
	v_add_nc_u32_e32 v5, s17, v17
	v_add_nc_u32_e32 v6, s19, v17
	s_mov_b32 s47, 0
	s_mov_b32 s46, 0
	s_mov_b32 s8, exec_lo
	v_mul_lo_u32 v5, v5, s16
	v_mul_lo_u32 v6, v6, s18
	s_delay_alu instid0(VALU_DEP_1) | instskip(NEXT) | instid1(VALU_DEP_1)
	v_sub_nc_u32_e32 v5, v5, v6
	v_cmp_lt_u32_e64 s6, s20, v5
	v_cmpx_ge_u32_e64 s20, v5
	s_cbranch_execz .LBB2014_23
; %bb.22:
	v_add_nc_u32_e32 v5, s22, v17
	v_add_nc_u32_e32 v6, s38, v17
	s_delay_alu instid0(VALU_DEP_2) | instskip(NEXT) | instid1(VALU_DEP_2)
	v_mul_lo_u32 v5, v5, s21
	v_mul_lo_u32 v6, v6, s23
	s_delay_alu instid0(VALU_DEP_1) | instskip(NEXT) | instid1(VALU_DEP_1)
	v_sub_nc_u32_e32 v5, v5, v6
	v_cmp_lt_u32_e64 s7, s39, v5
	s_and_b32 s46, s7, exec_lo
.LBB2014_23:
	s_or_b32 exec_lo, exec_lo, s8
	v_add_nc_u32_e32 v5, s17, v18
	v_add_nc_u32_e32 v6, s19, v18
	s_mov_b32 s9, exec_lo
	s_delay_alu instid0(VALU_DEP_2) | instskip(NEXT) | instid1(VALU_DEP_2)
	v_mul_lo_u32 v5, v5, s16
	v_mul_lo_u32 v6, v6, s18
	s_delay_alu instid0(VALU_DEP_1) | instskip(NEXT) | instid1(VALU_DEP_1)
	v_sub_nc_u32_e32 v5, v5, v6
	v_cmp_lt_u32_e64 s7, s20, v5
	v_cmpx_ge_u32_e64 s20, v5
	s_cbranch_execz .LBB2014_25
; %bb.24:
	v_add_nc_u32_e32 v5, s22, v18
	v_add_nc_u32_e32 v6, s38, v18
	s_delay_alu instid0(VALU_DEP_2) | instskip(NEXT) | instid1(VALU_DEP_2)
	v_mul_lo_u32 v5, v5, s21
	v_mul_lo_u32 v6, v6, s23
	s_delay_alu instid0(VALU_DEP_1) | instskip(NEXT) | instid1(VALU_DEP_1)
	v_sub_nc_u32_e32 v5, v5, v6
	v_cmp_lt_u32_e64 s8, s39, v5
	s_and_b32 s47, s8, exec_lo
.LBB2014_25:
	s_or_b32 exec_lo, exec_lo, s9
	v_add_nc_u32_e32 v5, s17, v15
	v_add_nc_u32_e32 v6, s19, v15
	s_mov_b32 s50, 0
	s_mov_b32 s49, 0
	s_mov_b32 s10, exec_lo
	v_mul_lo_u32 v5, v5, s16
	v_mul_lo_u32 v6, v6, s18
	s_delay_alu instid0(VALU_DEP_1) | instskip(NEXT) | instid1(VALU_DEP_1)
	v_sub_nc_u32_e32 v5, v5, v6
	v_cmp_lt_u32_e64 s8, s20, v5
	v_cmpx_ge_u32_e64 s20, v5
	s_cbranch_execz .LBB2014_27
; %bb.26:
	v_add_nc_u32_e32 v5, s22, v15
	v_add_nc_u32_e32 v6, s38, v15
	s_delay_alu instid0(VALU_DEP_2) | instskip(NEXT) | instid1(VALU_DEP_2)
	v_mul_lo_u32 v5, v5, s21
	v_mul_lo_u32 v6, v6, s23
	s_delay_alu instid0(VALU_DEP_1) | instskip(NEXT) | instid1(VALU_DEP_1)
	v_sub_nc_u32_e32 v5, v5, v6
	v_cmp_lt_u32_e64 s9, s39, v5
	s_and_b32 s49, s9, exec_lo
.LBB2014_27:
	s_or_b32 exec_lo, exec_lo, s10
	v_add_nc_u32_e32 v5, s17, v16
	v_add_nc_u32_e32 v6, s19, v16
	s_mov_b32 s11, exec_lo
	s_delay_alu instid0(VALU_DEP_2) | instskip(NEXT) | instid1(VALU_DEP_2)
	v_mul_lo_u32 v5, v5, s16
	v_mul_lo_u32 v6, v6, s18
	s_delay_alu instid0(VALU_DEP_1) | instskip(NEXT) | instid1(VALU_DEP_1)
	v_sub_nc_u32_e32 v5, v5, v6
	v_cmp_lt_u32_e64 s9, s20, v5
	v_cmpx_ge_u32_e64 s20, v5
	s_cbranch_execz .LBB2014_29
; %bb.28:
	v_add_nc_u32_e32 v5, s22, v16
	v_add_nc_u32_e32 v6, s38, v16
	s_delay_alu instid0(VALU_DEP_2) | instskip(NEXT) | instid1(VALU_DEP_2)
	v_mul_lo_u32 v5, v5, s21
	v_mul_lo_u32 v6, v6, s23
	s_delay_alu instid0(VALU_DEP_1) | instskip(NEXT) | instid1(VALU_DEP_1)
	v_sub_nc_u32_e32 v5, v5, v6
	v_cmp_lt_u32_e64 s10, s39, v5
	s_and_b32 s50, s10, exec_lo
.LBB2014_29:
	s_or_b32 exec_lo, exec_lo, s11
	v_add_nc_u32_e32 v5, s17, v13
	v_add_nc_u32_e32 v6, s19, v13
	s_mov_b32 s51, 0
	s_mov_b32 s52, 0
	s_mov_b32 s12, exec_lo
	v_mul_lo_u32 v5, v5, s16
	v_mul_lo_u32 v6, v6, s18
	s_delay_alu instid0(VALU_DEP_1) | instskip(NEXT) | instid1(VALU_DEP_1)
	v_sub_nc_u32_e32 v5, v5, v6
	v_cmp_lt_u32_e64 s10, s20, v5
	;; [unrolled: 47-line block ×3, first 2 shown]
	v_cmpx_ge_u32_e64 s20, v5
	s_cbranch_execz .LBB2014_35
; %bb.34:
	v_add_nc_u32_e32 v5, s22, v45
	v_add_nc_u32_e32 v6, s38, v45
	s_delay_alu instid0(VALU_DEP_2) | instskip(NEXT) | instid1(VALU_DEP_2)
	v_mul_lo_u32 v5, v5, s21
	v_mul_lo_u32 v6, v6, s23
	s_delay_alu instid0(VALU_DEP_1) | instskip(NEXT) | instid1(VALU_DEP_1)
	v_sub_nc_u32_e32 v5, v5, v6
	v_cmp_lt_u32_e64 s13, s39, v5
	s_and_b32 s53, s13, exec_lo
.LBB2014_35:
	s_or_b32 exec_lo, exec_lo, s54
	v_cndmask_b32_e64 v6, 0, 1, s0
	v_cndmask_b32_e64 v8, 0, 1, s3
	s_wait_alu 0xfffd
	v_cndmask_b32_e64 v5, 0, 1, vcc_lo
	v_cndmask_b32_e64 v7, 0, 1, s1
	v_cndmask_b32_e64 v10, 0, 1, s5
	v_lshlrev_b16 v6, 8, v6
	v_lshlrev_b16 v8, 8, v8
	s_wait_alu 0xf1ff
	v_cndmask_b32_e64 v12, 0, 1, s7
	v_cndmask_b32_e64 v26, 0, 1, s9
	;; [unrolled: 1-line block ×3, first 2 shown]
	v_or_b32_e32 v5, v5, v6
	v_or_b32_e32 v6, v7, v8
	v_cndmask_b32_e64 v56, 0, 1, s40
	v_cndmask_b32_e64 v9, 0, 1, s4
	;; [unrolled: 1-line block ×3, first 2 shown]
	v_and_b32_e32 v5, 0xffff, v5
	v_lshlrev_b32_e32 v6, 16, v6
	v_cndmask_b32_e64 v25, 0, 1, s8
	v_cndmask_b32_e64 v27, 0, 1, s10
	;; [unrolled: 1-line block ×8, first 2 shown]
	v_or_b32_e32 v47, v5, v6
	v_lshlrev_b16 v5, 8, v10
	v_lshlrev_b16 v6, 8, v12
	;; [unrolled: 1-line block ×5, first 2 shown]
	v_cndmask_b32_e64 v30, 0, 1, s50
	v_cndmask_b32_e64 v49, 0, 1, s47
	;; [unrolled: 1-line block ×5, first 2 shown]
	v_or_b32_e32 v5, v9, v5
	v_or_b32_e32 v6, v11, v6
	v_or_b32_e32 v9, v25, v10
	v_or_b32_e32 v10, v27, v12
	v_or_b32_e32 v11, v57, v26
	v_lshlrev_b16 v8, 8, v8
	v_lshlrev_b16 v12, 8, v54
	v_lshlrev_b16 v25, 8, v51
	v_lshlrev_b16 v26, 8, v48
	v_lshlrev_b16 v27, 8, v28
	v_or_b32_e32 v8, v55, v8
	v_or_b32_e32 v7, v7, v12
	;; [unrolled: 1-line block ×5, first 2 shown]
	v_and_b32_e32 v5, 0xffff, v5
	v_lshlrev_b32_e32 v6, 16, v6
	v_and_b32_e32 v9, 0xffff, v9
	v_lshlrev_b32_e32 v10, 16, v10
	v_and_b32_e32 v11, 0xffff, v11
	v_lshlrev_b32_e32 v8, 16, v8
	v_and_b32_e32 v7, 0xffff, v7
	v_lshlrev_b32_e32 v12, 16, v12
	v_and_b32_e32 v25, 0xffff, v25
	v_lshlrev_b32_e32 v26, 16, v26
	v_cndmask_b32_e64 v50, 0, 1, s51
	v_cndmask_b32_e64 v53, 0, 1, s53
	v_or_b32_e32 v49, v5, v6
	v_or_b32_e32 v52, v9, v10
	;; [unrolled: 1-line block ×5, first 2 shown]
	s_and_b32 vcc_lo, exec_lo, s48
	s_wait_alu 0xfffe
	s_cbranch_vccnz .LBB2014_37
	s_branch .LBB2014_114
.LBB2014_36:
                                        ; implicit-def: $vgpr53
                                        ; implicit-def: $vgpr50
                                        ; implicit-def: $vgpr51
                                        ; implicit-def: $vgpr48
                                        ; implicit-def: $vgpr54
                                        ; implicit-def: $vgpr52
                                        ; implicit-def: $vgpr49
                                        ; implicit-def: $vgpr47
	s_cbranch_execz .LBB2014_114
.LBB2014_37:
	v_dual_mov_b32 v6, 0 :: v_dual_mov_b32 v5, 0
	s_mov_b32 s1, exec_lo
	v_cmpx_gt_u32_e64 s27, v46
	s_cbranch_execz .LBB2014_41
; %bb.38:
	v_add_nc_u32_e32 v5, s17, v23
	v_add_nc_u32_e32 v6, s19, v23
	s_mov_b32 s4, 0
	s_mov_b32 s3, exec_lo
	s_delay_alu instid0(VALU_DEP_2) | instskip(NEXT) | instid1(VALU_DEP_2)
	v_mul_lo_u32 v5, v5, s16
	v_mul_lo_u32 v6, v6, s18
	s_delay_alu instid0(VALU_DEP_1) | instskip(NEXT) | instid1(VALU_DEP_1)
	v_sub_nc_u32_e32 v5, v5, v6
	v_cmp_lt_u32_e32 vcc_lo, s20, v5
	v_cmpx_ge_u32_e64 s20, v5
	s_cbranch_execz .LBB2014_40
; %bb.39:
	v_add_nc_u32_e32 v5, s22, v23
	v_add_nc_u32_e32 v6, s38, v23
	s_delay_alu instid0(VALU_DEP_2) | instskip(NEXT) | instid1(VALU_DEP_2)
	v_mul_lo_u32 v5, v5, s21
	v_mul_lo_u32 v6, v6, s23
	s_delay_alu instid0(VALU_DEP_1) | instskip(NEXT) | instid1(VALU_DEP_1)
	v_sub_nc_u32_e32 v5, v5, v6
	v_cmp_lt_u32_e64 s0, s39, v5
	s_and_b32 s4, s0, exec_lo
.LBB2014_40:
	s_wait_alu 0xfffe
	s_or_b32 exec_lo, exec_lo, s3
	v_cndmask_b32_e64 v6, 0, 1, s4
	s_wait_alu 0xfffd
	v_cndmask_b32_e64 v5, 0, 1, vcc_lo
.LBB2014_41:
	s_wait_alu 0xfffe
	s_or_b32 exec_lo, exec_lo, s1
	v_lshlrev_b16 v6, 8, v6
	v_add_nc_u32_e32 v7, 1, v46
	v_and_b32_e32 v10, 0xff, v5
	v_lshlrev_b16 v5, 8, 0
                                        ; implicit-def: $vgpr9
                                        ; implicit-def: $vgpr12
                                        ; implicit-def: $vgpr8
	s_delay_alu instid0(VALU_DEP_4) | instskip(NEXT) | instid1(VALU_DEP_4)
	v_and_b32_e32 v6, 0xffff, v6
	v_cmp_le_u32_e32 vcc_lo, s27, v7
                                        ; implicit-def: $vgpr7
	s_delay_alu instid0(VALU_DEP_2)
	v_lshrrev_b32_e32 v25, 8, v6
	v_and_b32_e32 v11, 0xff, v6
                                        ; implicit-def: $vgpr6
	s_and_saveexec_b32 s0, vcc_lo
	s_wait_alu 0xfffe
	s_xor_b32 s0, exec_lo, s0
	s_cbranch_execz .LBB2014_43
; %bb.42:
	v_lshlrev_b16 v6, 8, v25
	v_and_b32_e32 v8, 0xffff, v5
                                        ; implicit-def: $vgpr25
	v_mov_b32_e32 v9, 0
	s_delay_alu instid0(VALU_DEP_3) | instskip(SKIP_1) | instid1(VALU_DEP_2)
	v_or_b32_e32 v7, v11, v6
	v_mov_b32_e32 v6, 0
                                        ; implicit-def: $vgpr11
	v_and_b32_e32 v12, 0xffff, v7
	v_and_b32_e32 v7, 0xffff, v5
                                        ; implicit-def: $vgpr5
.LBB2014_43:
	s_wait_alu 0xfffe
	s_and_not1_saveexec_b32 s1, s0
	s_cbranch_execz .LBB2014_47
; %bb.44:
	v_add_nc_u32_e32 v6, s17, v24
	v_add_nc_u32_e32 v7, s19, v24
	s_mov_b32 s3, 0
	s_mov_b32 s4, exec_lo
	s_delay_alu instid0(VALU_DEP_2) | instskip(NEXT) | instid1(VALU_DEP_2)
	v_mul_lo_u32 v6, v6, s16
	v_mul_lo_u32 v7, v7, s18
	s_delay_alu instid0(VALU_DEP_1) | instskip(NEXT) | instid1(VALU_DEP_1)
	v_sub_nc_u32_e32 v6, v6, v7
	v_cmp_lt_u32_e32 vcc_lo, s20, v6
	v_cmpx_ge_u32_e64 s20, v6
	s_cbranch_execz .LBB2014_46
; %bb.45:
	v_add_nc_u32_e32 v6, s22, v24
	v_add_nc_u32_e32 v7, s38, v24
	s_delay_alu instid0(VALU_DEP_2) | instskip(NEXT) | instid1(VALU_DEP_2)
	v_mul_lo_u32 v6, v6, s21
	v_mul_lo_u32 v7, v7, s23
	s_delay_alu instid0(VALU_DEP_1) | instskip(NEXT) | instid1(VALU_DEP_1)
	v_sub_nc_u32_e32 v6, v6, v7
	v_cmp_lt_u32_e64 s0, s39, v6
	s_and_b32 s3, s0, exec_lo
.LBB2014_46:
	s_wait_alu 0xfffe
	s_or_b32 exec_lo, exec_lo, s4
	s_wait_alu 0xfffd
	v_cndmask_b32_e64 v6, 0, 1, vcc_lo
	v_lshlrev_b16 v7, 8, v25
	v_dual_mov_b32 v9, 0 :: v_dual_and_b32 v8, 0xffff, v5
	s_delay_alu instid0(VALU_DEP_3) | instskip(NEXT) | instid1(VALU_DEP_3)
	v_lshlrev_b16 v6, 8, v6
	v_or_b32_e32 v7, v11, v7
	v_cndmask_b32_e64 v11, 0, 1, s3
	s_delay_alu instid0(VALU_DEP_3) | instskip(NEXT) | instid1(VALU_DEP_3)
	v_or_b32_e32 v10, v10, v6
	v_dual_mov_b32 v6, 0 :: v_dual_and_b32 v7, 0xffff, v7
	s_delay_alu instid0(VALU_DEP_2) | instskip(NEXT) | instid1(VALU_DEP_2)
	v_and_b32_e32 v10, 0xffff, v10
	v_lshl_or_b32 v12, v11, 16, v7
	v_and_b32_e32 v7, 0xffff, v5
.LBB2014_47:
	s_wait_alu 0xfffe
	s_or_b32 exec_lo, exec_lo, s1
	v_add_nc_u32_e32 v5, 2, v46
	v_and_b32_e32 v25, 0xff, v10
	v_lshrrev_b32_e32 v26, 8, v10
                                        ; implicit-def: $vgpr11
	s_delay_alu instid0(VALU_DEP_3)
	v_cmp_le_u32_e32 vcc_lo, s27, v5
                                        ; implicit-def: $vgpr5
	s_and_saveexec_b32 s0, vcc_lo
	s_wait_alu 0xfffe
	s_xor_b32 s0, exec_lo, s0
	s_cbranch_execz .LBB2014_49
; %bb.48:
	v_lshlrev_b16 v5, 8, v26
	v_perm_b32 v8, v8, v8, 0x3060504
                                        ; implicit-def: $vgpr26
	s_delay_alu instid0(VALU_DEP_2) | instskip(SKIP_1) | instid1(VALU_DEP_2)
	v_or_b32_e32 v5, v25, v5
	v_and_b32_e32 v25, 0xff0000, v12
	v_and_b32_e32 v5, 0xffff, v5
	s_delay_alu instid0(VALU_DEP_1) | instskip(NEXT) | instid1(VALU_DEP_3)
	v_and_or_b32 v11, 0xff000000, v10, v5
	v_perm_b32 v5, v12, v25, 0x3020504
                                        ; implicit-def: $vgpr25
                                        ; implicit-def: $vgpr10
                                        ; implicit-def: $vgpr12
.LBB2014_49:
	s_wait_alu 0xfffe
	s_and_not1_saveexec_b32 s1, s0
	s_cbranch_execz .LBB2014_53
; %bb.50:
	v_add_nc_u32_e32 v5, s17, v21
	v_add_nc_u32_e32 v11, s19, v21
	s_mov_b32 s3, 0
	s_mov_b32 s4, exec_lo
	s_delay_alu instid0(VALU_DEP_2) | instskip(NEXT) | instid1(VALU_DEP_2)
	v_mul_lo_u32 v5, v5, s16
	v_mul_lo_u32 v11, v11, s18
	s_delay_alu instid0(VALU_DEP_1) | instskip(NEXT) | instid1(VALU_DEP_1)
	v_sub_nc_u32_e32 v5, v5, v11
	v_cmp_lt_u32_e32 vcc_lo, s20, v5
	v_cmpx_ge_u32_e64 s20, v5
	s_cbranch_execz .LBB2014_52
; %bb.51:
	v_add_nc_u32_e32 v5, s22, v21
	v_add_nc_u32_e32 v11, s38, v21
	s_delay_alu instid0(VALU_DEP_2) | instskip(NEXT) | instid1(VALU_DEP_2)
	v_mul_lo_u32 v5, v5, s21
	v_mul_lo_u32 v11, v11, s23
	s_delay_alu instid0(VALU_DEP_1) | instskip(NEXT) | instid1(VALU_DEP_1)
	v_sub_nc_u32_e32 v5, v5, v11
	v_cmp_lt_u32_e64 s0, s39, v5
	s_and_b32 s3, s0, exec_lo
.LBB2014_52:
	s_wait_alu 0xfffe
	s_or_b32 exec_lo, exec_lo, s4
	v_lshrrev_b32_e32 v10, 24, v10
	v_cndmask_b32_e64 v11, 0, 1, s3
	v_lshrrev_b32_e32 v27, 8, v12
	v_lshrrev_b32_e32 v28, 16, v12
	s_wait_alu 0xfffd
	v_cndmask_b32_e64 v5, 0, 1, vcc_lo
	v_lshlrev_b16 v26, 8, v26
	v_lshlrev_b16 v10, 8, v10
	v_and_b32_e32 v12, 0xff, v12
	v_lshlrev_b16 v27, 8, v27
	v_lshlrev_b16 v11, 8, v11
	v_and_b32_e32 v28, 0xff, v28
	v_or_b32_e32 v25, v25, v26
	v_or_b32_e32 v5, v5, v10
	;; [unrolled: 1-line block ×3, first 2 shown]
	s_delay_alu instid0(VALU_DEP_4) | instskip(NEXT) | instid1(VALU_DEP_4)
	v_or_b32_e32 v11, v28, v11
	v_and_b32_e32 v12, 0xffff, v25
	s_delay_alu instid0(VALU_DEP_4) | instskip(NEXT) | instid1(VALU_DEP_4)
	v_lshlrev_b32_e32 v5, 16, v5
	v_and_b32_e32 v10, 0xffff, v10
	s_delay_alu instid0(VALU_DEP_4) | instskip(NEXT) | instid1(VALU_DEP_3)
	v_lshlrev_b32_e32 v25, 16, v11
	v_or_b32_e32 v11, v12, v5
	s_delay_alu instid0(VALU_DEP_2)
	v_or_b32_e32 v5, v10, v25
.LBB2014_53:
	s_wait_alu 0xfffe
	s_or_b32 exec_lo, exec_lo, s1
	v_add_nc_u32_e32 v10, 3, v46
	v_lshrrev_b32_e32 v12, 24, v9
	v_lshrrev_b32_e32 v25, 16, v9
	;; [unrolled: 1-line block ×3, first 2 shown]
                                        ; implicit-def: $vgpr47
	s_delay_alu instid0(VALU_DEP_4)
	v_cmp_le_u32_e32 vcc_lo, s27, v10
                                        ; implicit-def: $vgpr10
	s_and_saveexec_b32 s0, vcc_lo
	s_wait_alu 0xfffe
	s_xor_b32 s0, exec_lo, s0
	s_cbranch_execz .LBB2014_55
; %bb.54:
	v_lshlrev_b16 v10, 8, v12
	v_and_b32_e32 v12, 0xff, v25
	v_lshlrev_b16 v9, 8, v9
	v_perm_b32 v8, v8, v8, 0x3060504
	v_perm_b32 v7, v7, v7, 0x3060504
                                        ; implicit-def: $vgpr25
	s_delay_alu instid0(VALU_DEP_4) | instskip(SKIP_2) | instid1(VALU_DEP_3)
	v_or_b32_e32 v10, v12, v10
	v_and_b32_e32 v12, 0xff0000, v11
	v_and_b32_e32 v9, 0xffff, v9
	v_lshlrev_b32_e32 v10, 16, v10
	s_delay_alu instid0(VALU_DEP_3) | instskip(NEXT) | instid1(VALU_DEP_2)
	v_perm_b32 v47, v11, v12, 0x3020504
                                        ; implicit-def: $vgpr11
                                        ; implicit-def: $vgpr12
	v_or_b32_e32 v10, v9, v10
                                        ; implicit-def: $vgpr9
.LBB2014_55:
	s_wait_alu 0xfffe
	s_and_not1_saveexec_b32 s1, s0
	s_cbranch_execz .LBB2014_59
; %bb.56:
	v_add_nc_u32_e32 v10, s17, v22
	v_add_nc_u32_e32 v26, s19, v22
	s_mov_b32 s3, 0
	s_mov_b32 s4, exec_lo
	s_delay_alu instid0(VALU_DEP_2) | instskip(NEXT) | instid1(VALU_DEP_2)
	v_mul_lo_u32 v10, v10, s16
	v_mul_lo_u32 v26, v26, s18
	s_delay_alu instid0(VALU_DEP_1) | instskip(NEXT) | instid1(VALU_DEP_1)
	v_sub_nc_u32_e32 v10, v10, v26
	v_cmp_lt_u32_e32 vcc_lo, s20, v10
	v_cmpx_ge_u32_e64 s20, v10
	s_cbranch_execz .LBB2014_58
; %bb.57:
	v_add_nc_u32_e32 v10, s22, v22
	v_add_nc_u32_e32 v26, s38, v22
	s_delay_alu instid0(VALU_DEP_2) | instskip(NEXT) | instid1(VALU_DEP_2)
	v_mul_lo_u32 v10, v10, s21
	v_mul_lo_u32 v26, v26, s23
	s_delay_alu instid0(VALU_DEP_1) | instskip(NEXT) | instid1(VALU_DEP_1)
	v_sub_nc_u32_e32 v10, v10, v26
	v_cmp_lt_u32_e64 s0, s39, v10
	s_and_b32 s3, s0, exec_lo
.LBB2014_58:
	s_wait_alu 0xfffe
	s_or_b32 exec_lo, exec_lo, s4
	v_lshrrev_b32_e32 v10, 8, v11
	s_wait_alu 0xfffd
	v_cndmask_b32_e64 v26, 0, 1, vcc_lo
	v_lshrrev_b32_e32 v27, 16, v11
	v_cndmask_b32_e64 v28, 0, 1, s3
	v_and_b32_e32 v11, 0xff, v11
	v_lshlrev_b16 v10, 8, v10
	v_lshlrev_b16 v26, 8, v26
	v_and_b32_e32 v27, 0xff, v27
	v_lshlrev_b16 v12, 8, v12
	v_and_b32_e32 v25, 0xff, v25
	v_lshlrev_b16 v9, 8, v9
	v_or_b32_e32 v10, v11, v10
	v_or_b32_e32 v11, v27, v26
	s_delay_alu instid0(VALU_DEP_4) | instskip(NEXT) | instid1(VALU_DEP_4)
	v_or_b32_e32 v12, v25, v12
	v_or_b32_e32 v9, v28, v9
	s_delay_alu instid0(VALU_DEP_4) | instskip(NEXT) | instid1(VALU_DEP_4)
	v_and_b32_e32 v10, 0xffff, v10
	v_lshlrev_b32_e32 v11, 16, v11
	s_delay_alu instid0(VALU_DEP_4) | instskip(NEXT) | instid1(VALU_DEP_4)
	v_lshlrev_b32_e32 v12, 16, v12
	v_and_b32_e32 v9, 0xffff, v9
	s_delay_alu instid0(VALU_DEP_3) | instskip(NEXT) | instid1(VALU_DEP_2)
	v_or_b32_e32 v47, v10, v11
	v_or_b32_e32 v10, v9, v12
.LBB2014_59:
	s_wait_alu 0xfffe
	s_or_b32 exec_lo, exec_lo, s1
	v_add_nc_u32_e32 v9, 4, v46
	v_lshrrev_b32_e32 v25, 8, v8
	v_lshrrev_b32_e32 v26, 16, v8
	;; [unrolled: 1-line block ×4, first 2 shown]
	v_cmp_le_u32_e32 vcc_lo, s27, v9
	v_lshrrev_b32_e32 v12, 16, v10
                                        ; implicit-def: $vgpr8
                                        ; implicit-def: $vgpr9
	s_and_saveexec_b32 s0, vcc_lo
	s_wait_alu 0xfffe
	s_xor_b32 s0, exec_lo, s0
	s_cbranch_execz .LBB2014_61
; %bb.60:
	v_lshlrev_b16 v8, 8, v27
	v_and_b32_e32 v9, 0xff, v26
	v_lshlrev_b16 v25, 8, v25
	v_lshlrev_b16 v11, 8, v11
	v_and_b32_e32 v12, 0xff, v12
	v_perm_b32 v7, v7, v7, 0x3060504
	v_or_b32_e32 v8, v9, v8
	v_and_b32_e32 v9, 0xffff, v25
                                        ; implicit-def: $vgpr25
                                        ; implicit-def: $vgpr26
                                        ; implicit-def: $vgpr27
	s_delay_alu instid0(VALU_DEP_4) | instskip(NEXT) | instid1(VALU_DEP_3)
	v_or_b32_e32 v11, v12, v11
	v_lshlrev_b32_e32 v12, 16, v8
	s_delay_alu instid0(VALU_DEP_2) | instskip(NEXT) | instid1(VALU_DEP_2)
	v_perm_b32 v8, v11, v10, 0x5040c00
                                        ; implicit-def: $vgpr10
                                        ; implicit-def: $vgpr11
	v_or_b32_e32 v9, v9, v12
                                        ; implicit-def: $vgpr12
.LBB2014_61:
	s_wait_alu 0xfffe
	s_and_not1_saveexec_b32 s1, s0
	s_cbranch_execz .LBB2014_65
; %bb.62:
	v_add_nc_u32_e32 v8, s17, v19
	v_add_nc_u32_e32 v9, s19, v19
	s_mov_b32 s3, 0
	s_mov_b32 s4, exec_lo
	s_delay_alu instid0(VALU_DEP_2) | instskip(NEXT) | instid1(VALU_DEP_2)
	v_mul_lo_u32 v8, v8, s16
	v_mul_lo_u32 v9, v9, s18
	s_delay_alu instid0(VALU_DEP_1) | instskip(NEXT) | instid1(VALU_DEP_1)
	v_sub_nc_u32_e32 v8, v8, v9
	v_cmp_lt_u32_e32 vcc_lo, s20, v8
	v_cmpx_ge_u32_e64 s20, v8
	s_cbranch_execz .LBB2014_64
; %bb.63:
	v_add_nc_u32_e32 v8, s22, v19
	v_add_nc_u32_e32 v9, s38, v19
	s_delay_alu instid0(VALU_DEP_2) | instskip(NEXT) | instid1(VALU_DEP_2)
	v_mul_lo_u32 v8, v8, s21
	v_mul_lo_u32 v9, v9, s23
	s_delay_alu instid0(VALU_DEP_1) | instskip(NEXT) | instid1(VALU_DEP_1)
	v_sub_nc_u32_e32 v8, v8, v9
	v_cmp_lt_u32_e64 s0, s39, v8
	s_and_b32 s3, s0, exec_lo
.LBB2014_64:
	s_wait_alu 0xfffe
	s_or_b32 exec_lo, exec_lo, s4
	v_cndmask_b32_e64 v8, 0, 1, s3
	s_wait_alu 0xfffd
	v_cndmask_b32_e64 v9, 0, 1, vcc_lo
	v_lshlrev_b16 v27, 8, v27
	v_and_b32_e32 v26, 0xff, v26
	v_lshlrev_b16 v25, 8, v25
	v_lshlrev_b16 v8, 8, v8
	v_and_b32_e32 v10, 0xff, v10
	v_lshlrev_b16 v11, 8, v11
	v_and_b32_e32 v12, 0xff, v12
	v_or_b32_e32 v26, v26, v27
	v_or_b32_e32 v9, v9, v25
	;; [unrolled: 1-line block ×3, first 2 shown]
	s_delay_alu instid0(VALU_DEP_4) | instskip(NEXT) | instid1(VALU_DEP_4)
	v_or_b32_e32 v10, v12, v11
	v_lshlrev_b32_e32 v11, 16, v26
	s_delay_alu instid0(VALU_DEP_4) | instskip(NEXT) | instid1(VALU_DEP_4)
	v_and_b32_e32 v9, 0xffff, v9
	v_and_b32_e32 v8, 0xffff, v8
	s_delay_alu instid0(VALU_DEP_4) | instskip(NEXT) | instid1(VALU_DEP_3)
	v_lshlrev_b32_e32 v10, 16, v10
	v_or_b32_e32 v9, v9, v11
	s_delay_alu instid0(VALU_DEP_2)
	v_or_b32_e32 v8, v8, v10
.LBB2014_65:
	s_wait_alu 0xfffe
	s_or_b32 exec_lo, exec_lo, s1
	v_add_nc_u32_e32 v10, 5, v46
	v_lshrrev_b32_e32 v25, 16, v9
	v_lshrrev_b32_e32 v27, 24, v9
	v_and_b32_e32 v12, 0xff, v8
	v_lshrrev_b32_e32 v26, 8, v8
	v_cmp_le_u32_e32 vcc_lo, s27, v10
                                        ; implicit-def: $vgpr10
                                        ; implicit-def: $vgpr11
	s_and_saveexec_b32 s0, vcc_lo
	s_wait_alu 0xfffe
	s_xor_b32 s0, exec_lo, s0
	s_cbranch_execz .LBB2014_67
; %bb.66:
	v_lshlrev_b16 v10, 8, v26
	v_lshlrev_b16 v11, 8, v27
	v_and_b32_e32 v25, 0xff, v25
	v_perm_b32 v7, v7, v7, 0x3060504
                                        ; implicit-def: $vgpr27
                                        ; implicit-def: $vgpr26
	s_delay_alu instid0(VALU_DEP_4) | instskip(NEXT) | instid1(VALU_DEP_3)
	v_or_b32_e32 v10, v12, v10
                                        ; implicit-def: $vgpr12
	v_or_b32_e32 v11, v25, v11
                                        ; implicit-def: $vgpr25
	s_delay_alu instid0(VALU_DEP_2) | instskip(NEXT) | instid1(VALU_DEP_2)
	v_and_b32_e32 v10, 0xffff, v10
	v_perm_b32 v11, v11, v9, 0x5040c00
                                        ; implicit-def: $vgpr9
	s_delay_alu instid0(VALU_DEP_2)
	v_and_or_b32 v10, 0xff000000, v8, v10
                                        ; implicit-def: $vgpr8
.LBB2014_67:
	s_wait_alu 0xfffe
	s_and_not1_saveexec_b32 s1, s0
	s_cbranch_execz .LBB2014_71
; %bb.68:
	v_add_nc_u32_e32 v10, s17, v20
	v_add_nc_u32_e32 v11, s19, v20
	s_mov_b32 s3, 0
	s_mov_b32 s4, exec_lo
	s_delay_alu instid0(VALU_DEP_2) | instskip(NEXT) | instid1(VALU_DEP_2)
	v_mul_lo_u32 v10, v10, s16
	v_mul_lo_u32 v11, v11, s18
	s_delay_alu instid0(VALU_DEP_1) | instskip(NEXT) | instid1(VALU_DEP_1)
	v_sub_nc_u32_e32 v10, v10, v11
	v_cmp_lt_u32_e32 vcc_lo, s20, v10
	v_cmpx_ge_u32_e64 s20, v10
	s_cbranch_execz .LBB2014_70
; %bb.69:
	v_add_nc_u32_e32 v10, s22, v20
	v_add_nc_u32_e32 v11, s38, v20
	s_delay_alu instid0(VALU_DEP_2) | instskip(NEXT) | instid1(VALU_DEP_2)
	v_mul_lo_u32 v10, v10, s21
	v_mul_lo_u32 v11, v11, s23
	s_delay_alu instid0(VALU_DEP_1) | instskip(NEXT) | instid1(VALU_DEP_1)
	v_sub_nc_u32_e32 v10, v10, v11
	v_cmp_lt_u32_e64 s0, s39, v10
	s_and_b32 s3, s0, exec_lo
.LBB2014_70:
	s_wait_alu 0xfffe
	s_or_b32 exec_lo, exec_lo, s4
	s_wait_alu 0xfffd
	v_cndmask_b32_e64 v10, 0, 1, vcc_lo
	v_lshrrev_b32_e32 v8, 24, v8
	v_cndmask_b32_e64 v11, 0, 1, s3
	v_lshlrev_b16 v27, 8, v27
	v_and_b32_e32 v25, 0xff, v25
	v_lshlrev_b16 v10, 8, v10
	v_lshlrev_b16 v26, 8, v26
	v_and_b32_e32 v9, 0xff, v9
	v_lshlrev_b16 v8, 8, v8
	v_or_b32_e32 v25, v25, v27
	s_delay_alu instid0(VALU_DEP_4) | instskip(NEXT) | instid1(VALU_DEP_4)
	v_or_b32_e32 v12, v12, v26
	v_or_b32_e32 v9, v9, v10
	s_delay_alu instid0(VALU_DEP_4) | instskip(NEXT) | instid1(VALU_DEP_4)
	v_or_b32_e32 v8, v11, v8
	v_lshlrev_b32_e32 v10, 16, v25
	s_delay_alu instid0(VALU_DEP_4) | instskip(NEXT) | instid1(VALU_DEP_4)
	v_and_b32_e32 v12, 0xffff, v12
	v_and_b32_e32 v9, 0xffff, v9
	s_delay_alu instid0(VALU_DEP_4) | instskip(NEXT) | instid1(VALU_DEP_2)
	v_lshlrev_b32_e32 v8, 16, v8
	v_or_b32_e32 v11, v9, v10
	s_delay_alu instid0(VALU_DEP_2)
	v_or_b32_e32 v10, v12, v8
.LBB2014_71:
	s_wait_alu 0xfffe
	s_or_b32 exec_lo, exec_lo, s1
	v_add_nc_u32_e32 v8, 6, v46
	v_lshrrev_b32_e32 v12, 8, v11
                                        ; implicit-def: $vgpr48
                                        ; implicit-def: $vgpr9
	s_delay_alu instid0(VALU_DEP_2)
	v_cmp_le_u32_e32 vcc_lo, s27, v8
	v_and_b32_e32 v8, 0xff, v11
	s_and_saveexec_b32 s0, vcc_lo
	s_wait_alu 0xfffe
	s_xor_b32 s0, exec_lo, s0
	s_cbranch_execz .LBB2014_73
; %bb.72:
	v_lshlrev_b16 v9, 8, v12
	v_perm_b32 v7, v7, v7, 0x3060504
                                        ; implicit-def: $vgpr12
	s_delay_alu instid0(VALU_DEP_2) | instskip(SKIP_1) | instid1(VALU_DEP_2)
	v_or_b32_e32 v8, v8, v9
	v_and_b32_e32 v9, 0xff0000, v10
	v_and_b32_e32 v8, 0xffff, v8
	s_delay_alu instid0(VALU_DEP_2) | instskip(NEXT) | instid1(VALU_DEP_2)
	v_perm_b32 v48, v10, v9, 0x3020504
                                        ; implicit-def: $vgpr10
	v_and_or_b32 v9, 0xff000000, v11, v8
                                        ; implicit-def: $vgpr8
                                        ; implicit-def: $vgpr11
.LBB2014_73:
	s_wait_alu 0xfffe
	s_and_not1_saveexec_b32 s1, s0
	s_cbranch_execz .LBB2014_77
; %bb.74:
	v_add_nc_u32_e32 v9, s17, v17
	v_add_nc_u32_e32 v25, s19, v17
	s_mov_b32 s3, 0
	s_mov_b32 s4, exec_lo
	s_delay_alu instid0(VALU_DEP_2) | instskip(NEXT) | instid1(VALU_DEP_2)
	v_mul_lo_u32 v9, v9, s16
	v_mul_lo_u32 v25, v25, s18
	s_delay_alu instid0(VALU_DEP_1) | instskip(NEXT) | instid1(VALU_DEP_1)
	v_sub_nc_u32_e32 v9, v9, v25
	v_cmp_lt_u32_e32 vcc_lo, s20, v9
	v_cmpx_ge_u32_e64 s20, v9
	s_cbranch_execz .LBB2014_76
; %bb.75:
	v_add_nc_u32_e32 v9, s22, v17
	v_add_nc_u32_e32 v25, s38, v17
	s_delay_alu instid0(VALU_DEP_2) | instskip(NEXT) | instid1(VALU_DEP_2)
	v_mul_lo_u32 v9, v9, s21
	v_mul_lo_u32 v25, v25, s23
	s_delay_alu instid0(VALU_DEP_1) | instskip(NEXT) | instid1(VALU_DEP_1)
	v_sub_nc_u32_e32 v9, v9, v25
	v_cmp_lt_u32_e64 s0, s39, v9
	s_and_b32 s3, s0, exec_lo
.LBB2014_76:
	s_wait_alu 0xfffe
	s_or_b32 exec_lo, exec_lo, s4
	v_lshrrev_b32_e32 v11, 24, v11
	v_cndmask_b32_e64 v25, 0, 1, s3
	v_lshrrev_b32_e32 v26, 8, v10
	v_lshrrev_b32_e32 v27, 16, v10
	s_wait_alu 0xfffd
	v_cndmask_b32_e64 v9, 0, 1, vcc_lo
	v_lshlrev_b16 v12, 8, v12
	v_lshlrev_b16 v11, 8, v11
	v_and_b32_e32 v10, 0xff, v10
	v_lshlrev_b16 v26, 8, v26
	v_lshlrev_b16 v25, 8, v25
	v_and_b32_e32 v27, 0xff, v27
	v_or_b32_e32 v8, v8, v12
	v_or_b32_e32 v9, v9, v11
	;; [unrolled: 1-line block ×3, first 2 shown]
	s_delay_alu instid0(VALU_DEP_4) | instskip(NEXT) | instid1(VALU_DEP_4)
	v_or_b32_e32 v11, v27, v25
	v_and_b32_e32 v8, 0xffff, v8
	s_delay_alu instid0(VALU_DEP_4) | instskip(NEXT) | instid1(VALU_DEP_4)
	v_lshlrev_b32_e32 v9, 16, v9
	v_and_b32_e32 v10, 0xffff, v10
	s_delay_alu instid0(VALU_DEP_4) | instskip(NEXT) | instid1(VALU_DEP_3)
	v_lshlrev_b32_e32 v11, 16, v11
	v_or_b32_e32 v9, v8, v9
	s_delay_alu instid0(VALU_DEP_2)
	v_or_b32_e32 v48, v10, v11
.LBB2014_77:
	s_wait_alu 0xfffe
	s_or_b32 exec_lo, exec_lo, s1
	v_add_nc_u32_e32 v8, 7, v46
	v_lshrrev_b32_e32 v10, 8, v7
	v_lshrrev_b32_e32 v11, 16, v7
	;; [unrolled: 1-line block ×3, first 2 shown]
                                        ; implicit-def: $vgpr49
	s_delay_alu instid0(VALU_DEP_4)
	v_cmp_le_u32_e32 vcc_lo, s27, v8
                                        ; implicit-def: $vgpr8
	s_and_saveexec_b32 s0, vcc_lo
	s_wait_alu 0xfffe
	s_xor_b32 s0, exec_lo, s0
	s_cbranch_execz .LBB2014_79
; %bb.78:
	v_lshlrev_b16 v7, 8, v7
	v_and_b32_e32 v8, 0xff, v11
                                        ; implicit-def: $vgpr11
	s_delay_alu instid0(VALU_DEP_1) | instskip(SKIP_2) | instid1(VALU_DEP_3)
	v_or_b32_e32 v7, v8, v7
	v_lshlrev_b16 v8, 8, v10
	v_and_b32_e32 v10, 0xff0000, v9
	v_lshlrev_b32_e32 v7, 16, v7
	s_delay_alu instid0(VALU_DEP_3) | instskip(NEXT) | instid1(VALU_DEP_3)
	v_and_b32_e32 v8, 0xffff, v8
	v_perm_b32 v49, v9, v10, 0x3020504
                                        ; implicit-def: $vgpr9
                                        ; implicit-def: $vgpr10
	s_delay_alu instid0(VALU_DEP_2)
	v_or_b32_e32 v8, v8, v7
                                        ; implicit-def: $vgpr7
.LBB2014_79:
	s_wait_alu 0xfffe
	s_and_not1_saveexec_b32 s1, s0
	s_cbranch_execz .LBB2014_83
; %bb.80:
	v_add_nc_u32_e32 v8, s17, v18
	v_add_nc_u32_e32 v12, s19, v18
	s_mov_b32 s3, 0
	s_mov_b32 s4, exec_lo
	s_delay_alu instid0(VALU_DEP_2) | instskip(NEXT) | instid1(VALU_DEP_2)
	v_mul_lo_u32 v8, v8, s16
	v_mul_lo_u32 v12, v12, s18
	s_delay_alu instid0(VALU_DEP_1) | instskip(NEXT) | instid1(VALU_DEP_1)
	v_sub_nc_u32_e32 v8, v8, v12
	v_cmp_lt_u32_e32 vcc_lo, s20, v8
	v_cmpx_ge_u32_e64 s20, v8
	s_cbranch_execz .LBB2014_82
; %bb.81:
	v_add_nc_u32_e32 v8, s22, v18
	v_add_nc_u32_e32 v12, s38, v18
	s_delay_alu instid0(VALU_DEP_2) | instskip(NEXT) | instid1(VALU_DEP_2)
	v_mul_lo_u32 v8, v8, s21
	v_mul_lo_u32 v12, v12, s23
	s_delay_alu instid0(VALU_DEP_1) | instskip(NEXT) | instid1(VALU_DEP_1)
	v_sub_nc_u32_e32 v8, v8, v12
	v_cmp_lt_u32_e64 s0, s39, v8
	s_and_b32 s3, s0, exec_lo
.LBB2014_82:
	s_wait_alu 0xfffe
	s_or_b32 exec_lo, exec_lo, s4
	v_lshrrev_b32_e32 v8, 8, v9
	s_wait_alu 0xfffd
	v_cndmask_b32_e64 v12, 0, 1, vcc_lo
	v_lshrrev_b32_e32 v25, 16, v9
	v_cndmask_b32_e64 v26, 0, 1, s3
	v_and_b32_e32 v9, 0xff, v9
	v_lshlrev_b16 v8, 8, v8
	v_lshlrev_b16 v12, 8, v12
	v_and_b32_e32 v25, 0xff, v25
	v_lshlrev_b16 v7, 8, v7
	v_and_b32_e32 v11, 0xff, v11
	v_lshlrev_b16 v10, 8, v10
	v_or_b32_e32 v8, v9, v8
	v_or_b32_e32 v9, v25, v12
	s_delay_alu instid0(VALU_DEP_4) | instskip(NEXT) | instid1(VALU_DEP_4)
	v_or_b32_e32 v7, v11, v7
	v_or_b32_e32 v10, v26, v10
	s_delay_alu instid0(VALU_DEP_4) | instskip(NEXT) | instid1(VALU_DEP_4)
	v_and_b32_e32 v8, 0xffff, v8
	v_lshlrev_b32_e32 v9, 16, v9
	s_delay_alu instid0(VALU_DEP_4) | instskip(NEXT) | instid1(VALU_DEP_4)
	v_lshlrev_b32_e32 v7, 16, v7
	v_and_b32_e32 v10, 0xffff, v10
	s_delay_alu instid0(VALU_DEP_3) | instskip(NEXT) | instid1(VALU_DEP_2)
	v_or_b32_e32 v49, v8, v9
	v_or_b32_e32 v8, v10, v7
.LBB2014_83:
	s_wait_alu 0xfffe
	s_or_b32 exec_lo, exec_lo, s1
	v_add_nc_u32_e32 v7, 8, v46
	s_delay_alu instid0(VALU_DEP_2)
	v_lshrrev_b32_e32 v9, 16, v8
	v_lshrrev_b32_e32 v10, 24, v8
	;; [unrolled: 1-line block ×4, first 2 shown]
	v_cmp_le_u32_e32 vcc_lo, s27, v7
	v_lshrrev_b32_e32 v11, 8, v6
                                        ; implicit-def: $vgpr6
                                        ; implicit-def: $vgpr7
	s_and_saveexec_b32 s0, vcc_lo
	s_wait_alu 0xfffe
	s_xor_b32 s0, exec_lo, s0
	s_cbranch_execz .LBB2014_85
; %bb.84:
	v_lshlrev_b16 v6, 8, v12
	v_and_b32_e32 v7, 0xff, v25
	v_lshlrev_b16 v11, 8, v11
	v_lshlrev_b16 v10, 8, v10
	v_perm_b32 v5, v5, v5, 0x3060504
                                        ; implicit-def: $vgpr12
                                        ; implicit-def: $vgpr25
	s_delay_alu instid0(VALU_DEP_4) | instskip(SKIP_2) | instid1(VALU_DEP_3)
	v_or_b32_e32 v6, v7, v6
	v_and_b32_e32 v7, 0xff, v9
	v_and_b32_e32 v9, 0xffff, v11
                                        ; implicit-def: $vgpr11
	v_lshlrev_b32_e32 v6, 16, v6
	s_delay_alu instid0(VALU_DEP_3) | instskip(NEXT) | instid1(VALU_DEP_2)
	v_or_b32_e32 v10, v7, v10
	v_or_b32_e32 v7, v9, v6
	s_delay_alu instid0(VALU_DEP_2)
	v_perm_b32 v6, v10, v8, 0x5040c00
                                        ; implicit-def: $vgpr8
                                        ; implicit-def: $vgpr9
                                        ; implicit-def: $vgpr10
.LBB2014_85:
	s_wait_alu 0xfffe
	s_and_not1_saveexec_b32 s1, s0
	s_cbranch_execz .LBB2014_89
; %bb.86:
	v_add_nc_u32_e32 v6, s17, v15
	v_add_nc_u32_e32 v7, s19, v15
	s_mov_b32 s3, 0
	s_mov_b32 s4, exec_lo
	s_delay_alu instid0(VALU_DEP_2) | instskip(NEXT) | instid1(VALU_DEP_2)
	v_mul_lo_u32 v6, v6, s16
	v_mul_lo_u32 v7, v7, s18
	s_delay_alu instid0(VALU_DEP_1) | instskip(NEXT) | instid1(VALU_DEP_1)
	v_sub_nc_u32_e32 v6, v6, v7
	v_cmp_lt_u32_e32 vcc_lo, s20, v6
	v_cmpx_ge_u32_e64 s20, v6
	s_cbranch_execz .LBB2014_88
; %bb.87:
	v_add_nc_u32_e32 v6, s22, v15
	v_add_nc_u32_e32 v7, s38, v15
	s_delay_alu instid0(VALU_DEP_2) | instskip(NEXT) | instid1(VALU_DEP_2)
	v_mul_lo_u32 v6, v6, s21
	v_mul_lo_u32 v7, v7, s23
	s_delay_alu instid0(VALU_DEP_1) | instskip(NEXT) | instid1(VALU_DEP_1)
	v_sub_nc_u32_e32 v6, v6, v7
	v_cmp_lt_u32_e64 s0, s39, v6
	s_and_b32 s3, s0, exec_lo
.LBB2014_88:
	s_wait_alu 0xfffe
	s_or_b32 exec_lo, exec_lo, s4
	v_cndmask_b32_e64 v6, 0, 1, s3
	s_wait_alu 0xfffd
	v_cndmask_b32_e64 v7, 0, 1, vcc_lo
	v_lshlrev_b16 v12, 8, v12
	v_and_b32_e32 v25, 0xff, v25
	v_lshlrev_b16 v11, 8, v11
	v_lshlrev_b16 v6, 8, v6
	v_and_b32_e32 v8, 0xff, v8
	v_lshlrev_b16 v10, 8, v10
	v_and_b32_e32 v9, 0xff, v9
	v_or_b32_e32 v12, v25, v12
	v_or_b32_e32 v7, v7, v11
	;; [unrolled: 1-line block ×3, first 2 shown]
	s_delay_alu instid0(VALU_DEP_4) | instskip(NEXT) | instid1(VALU_DEP_4)
	v_or_b32_e32 v8, v9, v10
	v_lshlrev_b32_e32 v9, 16, v12
	s_delay_alu instid0(VALU_DEP_4) | instskip(NEXT) | instid1(VALU_DEP_4)
	v_and_b32_e32 v7, 0xffff, v7
	v_and_b32_e32 v6, 0xffff, v6
	s_delay_alu instid0(VALU_DEP_4) | instskip(NEXT) | instid1(VALU_DEP_3)
	v_lshlrev_b32_e32 v8, 16, v8
	v_or_b32_e32 v7, v7, v9
	s_delay_alu instid0(VALU_DEP_2)
	v_or_b32_e32 v6, v6, v8
.LBB2014_89:
	s_wait_alu 0xfffe
	s_or_b32 exec_lo, exec_lo, s1
	v_add_nc_u32_e32 v8, 9, v46
	s_delay_alu instid0(VALU_DEP_2)
	v_lshrrev_b32_e32 v10, 8, v6
	v_lshrrev_b32_e32 v25, 24, v7
	;; [unrolled: 1-line block ×3, first 2 shown]
	v_and_b32_e32 v11, 0xff, v6
	v_cmp_le_u32_e32 vcc_lo, s27, v8
                                        ; implicit-def: $vgpr8
                                        ; implicit-def: $vgpr9
	s_and_saveexec_b32 s0, vcc_lo
	s_wait_alu 0xfffe
	s_xor_b32 s0, exec_lo, s0
	s_cbranch_execz .LBB2014_91
; %bb.90:
	v_lshlrev_b16 v8, 8, v10
	v_lshlrev_b16 v9, 8, v25
	v_and_b32_e32 v10, 0xff, v12
	v_perm_b32 v5, v5, v5, 0x3060504
                                        ; implicit-def: $vgpr25
                                        ; implicit-def: $vgpr12
	s_delay_alu instid0(VALU_DEP_4) | instskip(NEXT) | instid1(VALU_DEP_3)
	v_or_b32_e32 v8, v11, v8
                                        ; implicit-def: $vgpr11
	v_or_b32_e32 v9, v10, v9
                                        ; implicit-def: $vgpr10
	s_delay_alu instid0(VALU_DEP_2) | instskip(NEXT) | instid1(VALU_DEP_2)
	v_and_b32_e32 v8, 0xffff, v8
	v_perm_b32 v9, v9, v7, 0x5040c00
                                        ; implicit-def: $vgpr7
	s_delay_alu instid0(VALU_DEP_2)
	v_and_or_b32 v8, 0xff000000, v6, v8
                                        ; implicit-def: $vgpr6
.LBB2014_91:
	s_wait_alu 0xfffe
	s_and_not1_saveexec_b32 s1, s0
	s_cbranch_execz .LBB2014_95
; %bb.92:
	v_add_nc_u32_e32 v8, s17, v16
	v_add_nc_u32_e32 v9, s19, v16
	s_mov_b32 s3, 0
	s_mov_b32 s4, exec_lo
	s_delay_alu instid0(VALU_DEP_2) | instskip(NEXT) | instid1(VALU_DEP_2)
	v_mul_lo_u32 v8, v8, s16
	v_mul_lo_u32 v9, v9, s18
	s_delay_alu instid0(VALU_DEP_1) | instskip(NEXT) | instid1(VALU_DEP_1)
	v_sub_nc_u32_e32 v8, v8, v9
	v_cmp_lt_u32_e32 vcc_lo, s20, v8
	v_cmpx_ge_u32_e64 s20, v8
	s_cbranch_execz .LBB2014_94
; %bb.93:
	v_add_nc_u32_e32 v8, s22, v16
	v_add_nc_u32_e32 v9, s38, v16
	s_delay_alu instid0(VALU_DEP_2) | instskip(NEXT) | instid1(VALU_DEP_2)
	v_mul_lo_u32 v8, v8, s21
	v_mul_lo_u32 v9, v9, s23
	s_delay_alu instid0(VALU_DEP_1) | instskip(NEXT) | instid1(VALU_DEP_1)
	v_sub_nc_u32_e32 v8, v8, v9
	v_cmp_lt_u32_e64 s0, s39, v8
	s_and_b32 s3, s0, exec_lo
.LBB2014_94:
	s_wait_alu 0xfffe
	s_or_b32 exec_lo, exec_lo, s4
	s_wait_alu 0xfffd
	v_cndmask_b32_e64 v8, 0, 1, vcc_lo
	v_lshrrev_b32_e32 v6, 24, v6
	v_cndmask_b32_e64 v9, 0, 1, s3
	v_lshlrev_b16 v25, 8, v25
	v_and_b32_e32 v12, 0xff, v12
	v_lshlrev_b16 v8, 8, v8
	v_lshlrev_b16 v10, 8, v10
	v_and_b32_e32 v7, 0xff, v7
	v_lshlrev_b16 v6, 8, v6
	v_or_b32_e32 v12, v12, v25
	s_delay_alu instid0(VALU_DEP_4) | instskip(NEXT) | instid1(VALU_DEP_4)
	v_or_b32_e32 v10, v11, v10
	v_or_b32_e32 v7, v7, v8
	s_delay_alu instid0(VALU_DEP_4) | instskip(NEXT) | instid1(VALU_DEP_4)
	v_or_b32_e32 v6, v9, v6
	v_lshlrev_b32_e32 v8, 16, v12
	s_delay_alu instid0(VALU_DEP_4) | instskip(NEXT) | instid1(VALU_DEP_4)
	v_and_b32_e32 v10, 0xffff, v10
	v_and_b32_e32 v7, 0xffff, v7
	s_delay_alu instid0(VALU_DEP_4) | instskip(NEXT) | instid1(VALU_DEP_2)
	v_lshlrev_b32_e32 v6, 16, v6
	v_or_b32_e32 v9, v7, v8
	s_delay_alu instid0(VALU_DEP_2)
	v_or_b32_e32 v8, v10, v6
.LBB2014_95:
	s_wait_alu 0xfffe
	s_or_b32 exec_lo, exec_lo, s1
	v_add_nc_u32_e32 v6, 10, v46
	v_and_b32_e32 v7, 0xff, v9
	v_lshrrev_b32_e32 v10, 8, v9
                                        ; implicit-def: $vgpr51
	s_delay_alu instid0(VALU_DEP_3)
	v_cmp_le_u32_e32 vcc_lo, s27, v6
                                        ; implicit-def: $vgpr6
	s_and_saveexec_b32 s0, vcc_lo
	s_wait_alu 0xfffe
	s_xor_b32 s0, exec_lo, s0
	s_cbranch_execz .LBB2014_97
; %bb.96:
	v_lshlrev_b16 v6, 8, v10
	v_perm_b32 v5, v5, v5, 0x3060504
                                        ; implicit-def: $vgpr10
	s_delay_alu instid0(VALU_DEP_2) | instskip(SKIP_1) | instid1(VALU_DEP_2)
	v_or_b32_e32 v6, v7, v6
	v_and_b32_e32 v7, 0xff0000, v8
	v_and_b32_e32 v6, 0xffff, v6
	s_delay_alu instid0(VALU_DEP_2) | instskip(NEXT) | instid1(VALU_DEP_2)
	v_perm_b32 v51, v8, v7, 0x3020504
                                        ; implicit-def: $vgpr7
                                        ; implicit-def: $vgpr8
	v_and_or_b32 v6, 0xff000000, v9, v6
                                        ; implicit-def: $vgpr9
.LBB2014_97:
	s_wait_alu 0xfffe
	s_and_not1_saveexec_b32 s1, s0
	s_cbranch_execz .LBB2014_101
; %bb.98:
	v_add_nc_u32_e32 v6, s17, v13
	v_add_nc_u32_e32 v11, s19, v13
	s_mov_b32 s3, 0
	s_mov_b32 s4, exec_lo
	s_delay_alu instid0(VALU_DEP_2) | instskip(NEXT) | instid1(VALU_DEP_2)
	v_mul_lo_u32 v6, v6, s16
	v_mul_lo_u32 v11, v11, s18
	s_delay_alu instid0(VALU_DEP_1) | instskip(NEXT) | instid1(VALU_DEP_1)
	v_sub_nc_u32_e32 v6, v6, v11
	v_cmp_lt_u32_e32 vcc_lo, s20, v6
	v_cmpx_ge_u32_e64 s20, v6
	s_cbranch_execz .LBB2014_100
; %bb.99:
	v_add_nc_u32_e32 v6, s22, v13
	v_add_nc_u32_e32 v11, s38, v13
	s_delay_alu instid0(VALU_DEP_2) | instskip(NEXT) | instid1(VALU_DEP_2)
	v_mul_lo_u32 v6, v6, s21
	v_mul_lo_u32 v11, v11, s23
	s_delay_alu instid0(VALU_DEP_1) | instskip(NEXT) | instid1(VALU_DEP_1)
	v_sub_nc_u32_e32 v6, v6, v11
	v_cmp_lt_u32_e64 s0, s39, v6
	s_and_b32 s3, s0, exec_lo
.LBB2014_100:
	s_wait_alu 0xfffe
	s_or_b32 exec_lo, exec_lo, s4
	v_lshrrev_b32_e32 v9, 24, v9
	v_cndmask_b32_e64 v11, 0, 1, s3
	v_lshrrev_b32_e32 v12, 8, v8
	v_lshrrev_b32_e32 v25, 16, v8
	s_wait_alu 0xfffd
	v_cndmask_b32_e64 v6, 0, 1, vcc_lo
	v_lshlrev_b16 v10, 8, v10
	v_lshlrev_b16 v9, 8, v9
	v_and_b32_e32 v8, 0xff, v8
	v_lshlrev_b16 v12, 8, v12
	v_lshlrev_b16 v11, 8, v11
	v_and_b32_e32 v25, 0xff, v25
	v_or_b32_e32 v7, v7, v10
	v_or_b32_e32 v6, v6, v9
	;; [unrolled: 1-line block ×3, first 2 shown]
	s_delay_alu instid0(VALU_DEP_4) | instskip(NEXT) | instid1(VALU_DEP_4)
	v_or_b32_e32 v9, v25, v11
	v_and_b32_e32 v7, 0xffff, v7
	s_delay_alu instid0(VALU_DEP_4) | instskip(NEXT) | instid1(VALU_DEP_4)
	v_lshlrev_b32_e32 v6, 16, v6
	v_and_b32_e32 v8, 0xffff, v8
	s_delay_alu instid0(VALU_DEP_4) | instskip(NEXT) | instid1(VALU_DEP_3)
	v_lshlrev_b32_e32 v9, 16, v9
	v_or_b32_e32 v6, v7, v6
	s_delay_alu instid0(VALU_DEP_2)
	v_or_b32_e32 v51, v8, v9
.LBB2014_101:
	s_wait_alu 0xfffe
	s_or_b32 exec_lo, exec_lo, s1
	v_dual_mov_b32 v50, 0 :: v_dual_add_nc_u32 v7, 11, v46
	s_mov_b32 s0, exec_lo
                                        ; implicit-def: $vgpr52
	s_delay_alu instid0(VALU_DEP_1)
	v_cmpx_le_u32_e64 s27, v7
	s_wait_alu 0xfffe
	s_xor_b32 s0, exec_lo, s0
; %bb.102:
	v_and_b32_e32 v7, 0xff0000, v6
	v_perm_b32 v5, v5, v5, 0x3060504
	s_delay_alu instid0(VALU_DEP_2)
	v_perm_b32 v52, v6, v7, 0x3020504
                                        ; implicit-def: $vgpr6
; %bb.103:
	s_wait_alu 0xfffe
	s_and_not1_saveexec_b32 s1, s0
	s_cbranch_execz .LBB2014_107
; %bb.104:
	v_add_nc_u32_e32 v7, s17, v14
	v_add_nc_u32_e32 v8, s19, v14
	s_mov_b32 s3, 0
	s_mov_b32 s4, exec_lo
	s_delay_alu instid0(VALU_DEP_2) | instskip(NEXT) | instid1(VALU_DEP_2)
	v_mul_lo_u32 v7, v7, s16
	v_mul_lo_u32 v8, v8, s18
	s_delay_alu instid0(VALU_DEP_1) | instskip(NEXT) | instid1(VALU_DEP_1)
	v_sub_nc_u32_e32 v7, v7, v8
	v_cmp_lt_u32_e32 vcc_lo, s20, v7
	v_cmpx_ge_u32_e64 s20, v7
	s_cbranch_execz .LBB2014_106
; %bb.105:
	v_add_nc_u32_e32 v7, s22, v14
	v_add_nc_u32_e32 v8, s38, v14
	s_delay_alu instid0(VALU_DEP_2) | instskip(NEXT) | instid1(VALU_DEP_2)
	v_mul_lo_u32 v7, v7, s21
	v_mul_lo_u32 v8, v8, s23
	s_delay_alu instid0(VALU_DEP_1) | instskip(NEXT) | instid1(VALU_DEP_1)
	v_sub_nc_u32_e32 v7, v7, v8
	v_cmp_lt_u32_e64 s0, s39, v7
	s_and_b32 s3, s0, exec_lo
.LBB2014_106:
	s_wait_alu 0xfffe
	s_or_b32 exec_lo, exec_lo, s4
	v_lshrrev_b32_e32 v7, 8, v6
	s_wait_alu 0xfffd
	v_cndmask_b32_e64 v8, 0, 1, vcc_lo
	v_lshrrev_b32_e32 v9, 16, v6
	v_and_b32_e32 v6, 0xff, v6
	v_cndmask_b32_e64 v50, 0, 1, s3
	v_lshlrev_b16 v7, 8, v7
	v_lshlrev_b16 v8, 8, v8
	v_and_b32_e32 v9, 0xff, v9
	s_delay_alu instid0(VALU_DEP_3) | instskip(NEXT) | instid1(VALU_DEP_2)
	v_or_b32_e32 v6, v6, v7
	v_or_b32_e32 v7, v9, v8
	s_delay_alu instid0(VALU_DEP_2) | instskip(NEXT) | instid1(VALU_DEP_2)
	v_and_b32_e32 v6, 0xffff, v6
	v_lshlrev_b32_e32 v7, 16, v7
	s_delay_alu instid0(VALU_DEP_1)
	v_or_b32_e32 v52, v6, v7
.LBB2014_107:
	s_wait_alu 0xfffe
	s_or_b32 exec_lo, exec_lo, s1
	v_add_nc_u32_e32 v8, 12, v46
	v_lshrrev_b32_e32 v6, 8, v5
	v_lshrrev_b32_e32 v7, 16, v5
	v_lshrrev_b32_e32 v5, 24, v5
	s_mov_b32 s0, exec_lo
                                        ; implicit-def: $vgpr54
	v_cmpx_le_u32_e64 s27, v8
	s_wait_alu 0xfffe
	s_xor_b32 s0, exec_lo, s0
	s_cbranch_execz .LBB2014_109
; %bb.108:
	v_lshlrev_b16 v5, 8, v5
	v_and_b32_e32 v7, 0xff, v7
	v_lshlrev_b16 v6, 8, v6
	s_delay_alu instid0(VALU_DEP_2) | instskip(NEXT) | instid1(VALU_DEP_2)
	v_or_b32_e32 v5, v7, v5
	v_and_b32_e32 v6, 0xffff, v6
                                        ; implicit-def: $vgpr7
	s_delay_alu instid0(VALU_DEP_2) | instskip(NEXT) | instid1(VALU_DEP_1)
	v_lshlrev_b32_e32 v5, 16, v5
	v_or_b32_e32 v54, v6, v5
                                        ; implicit-def: $vgpr5
                                        ; implicit-def: $vgpr6
.LBB2014_109:
	s_wait_alu 0xfffe
	s_or_saveexec_b32 s1, s0
	v_mov_b32_e32 v53, 0
	s_wait_alu 0xfffe
	s_xor_b32 exec_lo, exec_lo, s1
	s_cbranch_execz .LBB2014_113
; %bb.110:
	v_add_nc_u32_e32 v8, s17, v45
	v_add_nc_u32_e32 v9, s19, v45
	s_mov_b32 s3, 0
	s_mov_b32 s4, exec_lo
	s_delay_alu instid0(VALU_DEP_2) | instskip(NEXT) | instid1(VALU_DEP_2)
	v_mul_lo_u32 v8, v8, s16
	v_mul_lo_u32 v9, v9, s18
	s_delay_alu instid0(VALU_DEP_1) | instskip(NEXT) | instid1(VALU_DEP_1)
	v_sub_nc_u32_e32 v8, v8, v9
	v_cmp_lt_u32_e32 vcc_lo, s20, v8
	v_cmpx_ge_u32_e64 s20, v8
	s_cbranch_execz .LBB2014_112
; %bb.111:
	v_add_nc_u32_e32 v8, s22, v45
	v_add_nc_u32_e32 v9, s38, v45
	s_delay_alu instid0(VALU_DEP_2) | instskip(NEXT) | instid1(VALU_DEP_2)
	v_mul_lo_u32 v8, v8, s21
	v_mul_lo_u32 v9, v9, s23
	s_delay_alu instid0(VALU_DEP_1) | instskip(NEXT) | instid1(VALU_DEP_1)
	v_sub_nc_u32_e32 v8, v8, v9
	v_cmp_lt_u32_e64 s0, s39, v8
	s_and_b32 s3, s0, exec_lo
.LBB2014_112:
	s_wait_alu 0xfffe
	s_or_b32 exec_lo, exec_lo, s4
	s_wait_alu 0xfffd
	v_cndmask_b32_e64 v8, 0, 1, vcc_lo
	v_lshlrev_b16 v5, 8, v5
	v_and_b32_e32 v7, 0xff, v7
	v_lshlrev_b16 v6, 8, v6
	v_cndmask_b32_e64 v53, 0, 1, s3
	s_delay_alu instid0(VALU_DEP_3) | instskip(NEXT) | instid1(VALU_DEP_3)
	v_or_b32_e32 v5, v7, v5
	v_or_b32_e32 v6, v8, v6
	s_delay_alu instid0(VALU_DEP_2) | instskip(NEXT) | instid1(VALU_DEP_2)
	v_lshlrev_b32_e32 v5, 16, v5
	v_and_b32_e32 v6, 0xffff, v6
	s_delay_alu instid0(VALU_DEP_1)
	v_or_b32_e32 v54, v6, v5
.LBB2014_113:
	s_or_b32 exec_lo, exec_lo, s1
.LBB2014_114:
	v_and_b32_e32 v77, 0xff, v47
	s_delay_alu instid0(VALU_DEP_2)
	v_bfe_u32 v78, v54, 8, 8
	v_bfe_u32 v74, v47, 8, 8
	;; [unrolled: 1-line block ×4, first 2 shown]
	v_lshrrev_b32_e32 v60, 24, v54
	v_lshrrev_b32_e32 v59, 24, v47
	v_and_b32_e32 v73, 0xff, v48
	v_and_b32_e32 v71, 0xff, v49
	v_bfe_u32 v72, v48, 8, 8
	v_add3_u32 v5, v74, v77, v76
	v_add3_u32 v6, v75, v78, v60
	v_bfe_u32 v69, v49, 8, 8
	v_bfe_u32 v70, v48, 16, 8
	v_bfe_u32 v65, v49, 16, 8
	v_lshrrev_b32_e32 v58, 24, v48
	v_add3_u32 v5, v5, v59, v71
	v_add3_u32 v6, v6, v73, v72
	v_lshrrev_b32_e32 v57, 24, v49
	v_and_b32_e32 v68, 0xff, v51
	v_and_b32_e32 v66, 0xff, v52
	v_bfe_u32 v67, v51, 8, 8
	v_add3_u32 v5, v5, v69, v65
	v_add3_u32 v6, v6, v70, v58
	v_bfe_u32 v63, v52, 8, 8
	v_bfe_u32 v64, v51, 16, 8
	;; [unrolled: 1-line block ×3, first 2 shown]
	v_lshrrev_b32_e32 v56, 24, v51
	v_add3_u32 v5, v5, v57, v66
	v_add3_u32 v6, v6, v68, v67
	v_mbcnt_lo_u32_b32 v79, -1, 0
	v_lshrrev_b32_e32 v55, 24, v52
	v_and_b32_e32 v61, 0xff, v50
	v_and_b32_e32 v7, 0xff, v54
	;; [unrolled: 1-line block ×3, first 2 shown]
	v_add3_u32 v5, v5, v63, v62
	v_add3_u32 v6, v6, v64, v56
	v_and_b32_e32 v81, 15, v79
	v_and_b32_e32 v83, 16, v79
	v_lshrrev_b32_e32 v80, 5, v0
	v_add3_u32 v84, v5, v55, v7
	v_add3_u32 v85, v6, v61, v8
	v_cmp_eq_u32_e64 s1, 0, v81
	v_cmp_lt_u32_e64 s0, 1, v81
	v_cmp_lt_u32_e64 s3, 3, v81
	v_or_b32_e32 v82, 31, v0
	s_cmp_lg_u32 s33, 0
	s_mov_b32 s4, -1
	v_cmp_lt_u32_e32 vcc_lo, 7, v81
	s_cbranch_scc0 .LBB2014_135
; %bb.115:
	v_mov_b32_dpp v6, v84 row_shr:1 row_mask:0xf bank_mask:0xf
	v_mov_b32_dpp v5, v85 row_shr:1 row_mask:0xf bank_mask:0xf
	s_mov_b32 s4, exec_lo
	s_delay_alu instid0(VALU_DEP_2) | instskip(SKIP_1) | instid1(VALU_DEP_1)
	v_add_nc_u32_e32 v6, v6, v84
	s_wait_alu 0xf1ff
	v_cndmask_b32_e64 v6, v6, v84, s1
	s_delay_alu instid0(VALU_DEP_1) | instskip(NEXT) | instid1(VALU_DEP_1)
	v_mov_b32_dpp v8, v6 row_shr:2 row_mask:0xf bank_mask:0xf
	v_add_nc_u32_e32 v8, v6, v8
	s_delay_alu instid0(VALU_DEP_1) | instskip(NEXT) | instid1(VALU_DEP_1)
	v_cndmask_b32_e64 v6, v6, v8, s0
	v_mov_b32_dpp v8, v6 row_shr:4 row_mask:0xf bank_mask:0xf
	s_delay_alu instid0(VALU_DEP_1) | instskip(NEXT) | instid1(VALU_DEP_1)
	v_add_nc_u32_e32 v8, v6, v8
	v_cndmask_b32_e64 v6, v6, v8, s3
	s_delay_alu instid0(VALU_DEP_1) | instskip(NEXT) | instid1(VALU_DEP_1)
	v_mov_b32_dpp v8, v6 row_shr:8 row_mask:0xf bank_mask:0xf
	v_add_nc_u32_e32 v8, v6, v8
	s_wait_alu 0xfffd
	s_delay_alu instid0(VALU_DEP_1) | instskip(NEXT) | instid1(VALU_DEP_1)
	v_dual_cndmask_b32 v6, v6, v8 :: v_dual_add_nc_u32 v5, v5, v85
	v_cndmask_b32_e64 v5, v5, v85, s1
	ds_swizzle_b32 v8, v6 offset:swizzle(BROADCAST,32,15)
	v_mov_b32_dpp v7, v5 row_shr:2 row_mask:0xf bank_mask:0xf
	s_delay_alu instid0(VALU_DEP_1) | instskip(NEXT) | instid1(VALU_DEP_1)
	v_add_nc_u32_e32 v7, v5, v7
	v_cndmask_b32_e64 v5, v5, v7, s0
	s_delay_alu instid0(VALU_DEP_1) | instskip(SKIP_2) | instid1(VALU_DEP_2)
	v_mov_b32_dpp v7, v5 row_shr:4 row_mask:0xf bank_mask:0xf
	s_wait_dscnt 0x0
	v_add_nc_u32_e32 v8, v6, v8
	v_add_nc_u32_e32 v7, v5, v7
	s_delay_alu instid0(VALU_DEP_1) | instskip(NEXT) | instid1(VALU_DEP_1)
	v_cndmask_b32_e64 v5, v5, v7, s3
	v_mov_b32_dpp v7, v5 row_shr:8 row_mask:0xf bank_mask:0xf
	s_delay_alu instid0(VALU_DEP_1) | instskip(NEXT) | instid1(VALU_DEP_1)
	v_add_nc_u32_e32 v7, v5, v7
	v_cndmask_b32_e32 v5, v5, v7, vcc_lo
	v_cmp_eq_u32_e32 vcc_lo, 0, v83
	ds_swizzle_b32 v7, v5 offset:swizzle(BROADCAST,32,15)
	s_wait_dscnt 0x0
	v_add_nc_u32_e32 v7, v5, v7
	v_cmpx_eq_u32_e64 v0, v82
; %bb.116:
	s_wait_alu 0xfffd
	s_delay_alu instid0(VALU_DEP_2)
	v_dual_cndmask_b32 v10, v7, v5 :: v_dual_lshlrev_b32 v11, 3, v80
	v_cndmask_b32_e32 v9, v8, v6, vcc_lo
	ds_store_b64 v11, v[9:10]
; %bb.117:
	s_wait_alu 0xfffe
	s_or_b32 exec_lo, exec_lo, s4
	s_delay_alu instid0(SALU_CYCLE_1)
	s_mov_b32 s4, exec_lo
	s_wait_loadcnt_dscnt 0x0
	s_barrier_signal -1
	s_barrier_wait -1
	global_inv scope:SCOPE_SE
	v_cmpx_gt_u32_e32 8, v0
	s_cbranch_execz .LBB2014_119
; %bb.118:
	v_lshlrev_b32_e32 v11, 3, v0
	v_and_b32_e32 v26, 7, v79
	ds_load_b64 v[9:10], v11
	v_cmp_eq_u32_e64 s3, 0, v26
	s_wait_dscnt 0x0
	v_mov_b32_dpp v12, v9 row_shr:1 row_mask:0xf bank_mask:0xf
	v_mov_b32_dpp v25, v10 row_shr:1 row_mask:0xf bank_mask:0xf
	s_delay_alu instid0(VALU_DEP_2) | instskip(NEXT) | instid1(VALU_DEP_2)
	v_add_nc_u32_e32 v12, v12, v9
	v_add_nc_u32_e32 v25, v25, v10
	s_wait_alu 0xf1ff
	s_delay_alu instid0(VALU_DEP_2) | instskip(NEXT) | instid1(VALU_DEP_2)
	v_cndmask_b32_e64 v9, v12, v9, s3
	v_cndmask_b32_e64 v10, v25, v10, s3
	v_cmp_lt_u32_e64 s3, 1, v26
	s_delay_alu instid0(VALU_DEP_3) | instskip(NEXT) | instid1(VALU_DEP_3)
	v_mov_b32_dpp v12, v9 row_shr:2 row_mask:0xf bank_mask:0xf
	v_mov_b32_dpp v25, v10 row_shr:2 row_mask:0xf bank_mask:0xf
	s_delay_alu instid0(VALU_DEP_2) | instskip(NEXT) | instid1(VALU_DEP_2)
	v_add_nc_u32_e32 v12, v9, v12
	v_add_nc_u32_e32 v25, v10, v25
	s_wait_alu 0xf1ff
	s_delay_alu instid0(VALU_DEP_2) | instskip(NEXT) | instid1(VALU_DEP_2)
	v_cndmask_b32_e64 v9, v9, v12, s3
	v_cndmask_b32_e64 v10, v10, v25, s3
	v_cmp_lt_u32_e64 s3, 3, v26
	s_delay_alu instid0(VALU_DEP_3) | instskip(NEXT) | instid1(VALU_DEP_3)
	v_mov_b32_dpp v12, v9 row_shr:4 row_mask:0xf bank_mask:0xf
	v_mov_b32_dpp v25, v10 row_shr:4 row_mask:0xf bank_mask:0xf
	s_wait_alu 0xf1ff
	s_delay_alu instid0(VALU_DEP_2) | instskip(NEXT) | instid1(VALU_DEP_2)
	v_cndmask_b32_e64 v12, 0, v12, s3
	v_cndmask_b32_e64 v25, 0, v25, s3
	s_delay_alu instid0(VALU_DEP_2) | instskip(NEXT) | instid1(VALU_DEP_2)
	v_add_nc_u32_e32 v9, v12, v9
	v_add_nc_u32_e32 v10, v25, v10
	ds_store_b64 v11, v[9:10]
.LBB2014_119:
	s_wait_alu 0xfffe
	s_or_b32 exec_lo, exec_lo, s4
	v_dual_cndmask_b32 v5, v7, v5 :: v_dual_cndmask_b32 v6, v8, v6
	s_mov_b32 s4, exec_lo
	v_cmp_gt_u32_e32 vcc_lo, 32, v0
	s_wait_loadcnt_dscnt 0x0
	s_barrier_signal -1
	s_barrier_wait -1
	global_inv scope:SCOPE_SE
                                        ; implicit-def: $vgpr25
	v_cmpx_lt_u32_e32 31, v0
	s_cbranch_execz .LBB2014_121
; %bb.120:
	v_lshl_add_u32 v7, v80, 3, -8
	ds_load_b64 v[25:26], v7
	s_wait_dscnt 0x0
	v_add_nc_u32_e32 v5, v26, v5
	v_add_nc_u32_e32 v6, v25, v6
.LBB2014_121:
	s_wait_alu 0xfffe
	s_or_b32 exec_lo, exec_lo, s4
	v_sub_co_u32 v7, s3, v79, 1
	s_delay_alu instid0(VALU_DEP_1) | instskip(SKIP_1) | instid1(VALU_DEP_1)
	v_cmp_gt_i32_e64 s4, 0, v7
	s_wait_alu 0xf1ff
	v_cndmask_b32_e64 v7, v7, v79, s4
	s_delay_alu instid0(VALU_DEP_1)
	v_lshlrev_b32_e32 v7, 2, v7
	ds_bpermute_b32 v86, v7, v6
	ds_bpermute_b32 v87, v7, v5
	s_and_saveexec_b32 s4, vcc_lo
	s_cbranch_execz .LBB2014_140
; %bb.122:
	v_mov_b32_e32 v8, 0
	ds_load_b64 v[5:6], v8 offset:56
	s_and_saveexec_b32 s5, s3
	s_cbranch_execz .LBB2014_124
; %bb.123:
	s_add_co_i32 s6, s33, 32
	s_mov_b32 s7, 0
	s_wait_alu 0xfffe
	s_lshl_b64 s[6:7], s[6:7], 4
	s_wait_alu 0xfffe
	s_add_nc_u64 s[6:7], s[36:37], s[6:7]
	s_wait_alu 0xfffe
	v_dual_mov_b32 v7, 1 :: v_dual_mov_b32 v10, s7
	v_mov_b32_e32 v9, s6
	s_wait_dscnt 0x0
	;;#ASMSTART
	global_store_b128 v[9:10], v[5:8] off scope:SCOPE_DEV	
s_wait_storecnt 0x0
	;;#ASMEND
.LBB2014_124:
	s_wait_alu 0xfffe
	s_or_b32 exec_lo, exec_lo, s5
	v_xad_u32 v27, v79, -1, s33
	s_mov_b32 s6, 0
	s_mov_b32 s5, exec_lo
	s_delay_alu instid0(VALU_DEP_1) | instskip(NEXT) | instid1(VALU_DEP_1)
	v_add_nc_u32_e32 v7, 32, v27
	v_lshlrev_b64_e32 v[7:8], 4, v[7:8]
	s_delay_alu instid0(VALU_DEP_1) | instskip(SKIP_1) | instid1(VALU_DEP_2)
	v_add_co_u32 v7, vcc_lo, s36, v7
	s_wait_alu 0xfffd
	v_add_co_ci_u32_e64 v8, null, s37, v8, vcc_lo
	;;#ASMSTART
	global_load_b128 v[9:12], v[7:8] off scope:SCOPE_DEV	
s_wait_loadcnt 0x0
	;;#ASMEND
	v_and_b32_e32 v12, 0xff, v11
	s_delay_alu instid0(VALU_DEP_1)
	v_cmpx_eq_u16_e32 0, v12
	s_cbranch_execz .LBB2014_127
.LBB2014_125:                           ; =>This Inner Loop Header: Depth=1
	;;#ASMSTART
	global_load_b128 v[9:12], v[7:8] off scope:SCOPE_DEV	
s_wait_loadcnt 0x0
	;;#ASMEND
	v_and_b32_e32 v12, 0xff, v11
	s_delay_alu instid0(VALU_DEP_1)
	v_cmp_ne_u16_e32 vcc_lo, 0, v12
	s_wait_alu 0xfffe
	s_or_b32 s6, vcc_lo, s6
	s_wait_alu 0xfffe
	s_and_not1_b32 exec_lo, exec_lo, s6
	s_cbranch_execnz .LBB2014_125
; %bb.126:
	s_or_b32 exec_lo, exec_lo, s6
.LBB2014_127:
	s_wait_alu 0xfffe
	s_or_b32 exec_lo, exec_lo, s5
	v_cmp_ne_u32_e32 vcc_lo, 31, v79
	v_lshlrev_b32_e64 v89, v79, -1
	v_add_nc_u32_e32 v91, 2, v79
	v_add_nc_u32_e32 v93, 4, v79
	;; [unrolled: 1-line block ×3, first 2 shown]
	s_wait_alu 0xfffd
	v_add_co_ci_u32_e64 v7, null, 0, v79, vcc_lo
	v_lshl_or_b32 v96, v79, 2, 64
	v_add_nc_u32_e32 v97, 16, v79
	s_delay_alu instid0(VALU_DEP_3) | instskip(SKIP_4) | instid1(VALU_DEP_1)
	v_lshlrev_b32_e32 v88, 2, v7
	ds_bpermute_b32 v8, v88, v10
	s_wait_dscnt 0x0
	v_add_nc_u32_e32 v8, v8, v10
	v_and_b32_e32 v7, 0xff, v11
	v_cmp_eq_u16_e32 vcc_lo, 2, v7
	ds_bpermute_b32 v7, v88, v9
	s_wait_dscnt 0x0
	v_add_nc_u32_e32 v7, v7, v9
	s_wait_alu 0xfffd
	v_and_b32_e32 v12, vcc_lo, v89
	v_cmp_gt_u32_e32 vcc_lo, 30, v79
	s_delay_alu instid0(VALU_DEP_2) | instskip(SKIP_2) | instid1(VALU_DEP_2)
	v_or_b32_e32 v12, 0x80000000, v12
	s_wait_alu 0xfffd
	v_cndmask_b32_e64 v28, 0, 2, vcc_lo
	v_ctz_i32_b32_e32 v12, v12
	s_delay_alu instid0(VALU_DEP_2) | instskip(NEXT) | instid1(VALU_DEP_2)
	v_add_lshl_u32 v90, v28, v79, 2
	v_cmp_lt_u32_e32 vcc_lo, v79, v12
	s_wait_alu 0xfffd
	v_dual_cndmask_b32 v8, v10, v8 :: v_dual_cndmask_b32 v7, v9, v7
	v_cmp_gt_u32_e32 vcc_lo, 28, v79
	ds_bpermute_b32 v9, v90, v8
	ds_bpermute_b32 v10, v90, v7
	s_wait_alu 0xfffd
	v_cndmask_b32_e64 v28, 0, 4, vcc_lo
	v_cmp_gt_u32_e32 vcc_lo, v91, v12
	s_delay_alu instid0(VALU_DEP_2)
	v_add_lshl_u32 v92, v28, v79, 2
	s_wait_dscnt 0x1
	v_add_nc_u32_e32 v9, v8, v9
	s_wait_dscnt 0x0
	v_add_nc_u32_e32 v10, v7, v10
	s_wait_alu 0xfffd
	s_delay_alu instid0(VALU_DEP_1)
	v_dual_cndmask_b32 v8, v9, v8 :: v_dual_cndmask_b32 v7, v10, v7
	v_cmp_gt_u32_e32 vcc_lo, 24, v79
	ds_bpermute_b32 v9, v92, v8
	ds_bpermute_b32 v10, v92, v7
	s_wait_alu 0xfffd
	v_cndmask_b32_e64 v28, 0, 8, vcc_lo
	v_cmp_gt_u32_e32 vcc_lo, v93, v12
	s_delay_alu instid0(VALU_DEP_2)
	v_add_lshl_u32 v94, v28, v79, 2
	s_wait_dscnt 0x1
	v_dual_mov_b32 v28, 0 :: v_dual_add_nc_u32 v9, v8, v9
	s_wait_dscnt 0x0
	v_add_nc_u32_e32 v10, v7, v10
	s_wait_alu 0xfffd
	s_delay_alu instid0(VALU_DEP_1)
	v_dual_cndmask_b32 v8, v9, v8 :: v_dual_cndmask_b32 v7, v10, v7
	v_cmp_gt_u32_e32 vcc_lo, v95, v12
	ds_bpermute_b32 v9, v94, v8
	ds_bpermute_b32 v10, v94, v7
	s_wait_dscnt 0x1
	v_add_nc_u32_e32 v9, v8, v9
	s_wait_dscnt 0x0
	v_add_nc_u32_e32 v10, v7, v10
	s_wait_alu 0xfffd
	s_delay_alu instid0(VALU_DEP_1)
	v_dual_cndmask_b32 v8, v9, v8 :: v_dual_cndmask_b32 v7, v10, v7
	v_cmp_le_u32_e32 vcc_lo, v97, v12
	ds_bpermute_b32 v10, v96, v8
	ds_bpermute_b32 v9, v96, v7
	s_wait_dscnt 0x0
	s_wait_alu 0xfffd
	v_dual_cndmask_b32 v10, 0, v10 :: v_dual_cndmask_b32 v9, 0, v9
	s_delay_alu instid0(VALU_DEP_1) | instskip(NEXT) | instid1(VALU_DEP_2)
	v_add_nc_u32_e32 v10, v10, v8
	v_add_nc_u32_e32 v9, v9, v7
	s_branch .LBB2014_131
.LBB2014_128:                           ;   in Loop: Header=BB2014_131 Depth=1
	s_or_b32 exec_lo, exec_lo, s6
.LBB2014_129:                           ;   in Loop: Header=BB2014_131 Depth=1
	s_wait_alu 0xfffe
	s_or_b32 exec_lo, exec_lo, s5
	ds_bpermute_b32 v12, v88, v9
	ds_bpermute_b32 v29, v88, v10
	v_subrev_nc_u32_e32 v27, 32, v27
	s_mov_b32 s5, 0
	s_wait_dscnt 0x1
	v_add_nc_u32_e32 v12, v12, v9
	v_and_b32_e32 v30, 0xff, v11
	s_wait_dscnt 0x0
	v_add_nc_u32_e32 v29, v29, v10
	s_delay_alu instid0(VALU_DEP_2) | instskip(SKIP_2) | instid1(VALU_DEP_1)
	v_cmp_eq_u16_e32 vcc_lo, 2, v30
	s_wait_alu 0xfffd
	v_and_or_b32 v30, vcc_lo, v89, 0x80000000
	v_ctz_i32_b32_e32 v30, v30
	s_delay_alu instid0(VALU_DEP_1)
	v_cmp_lt_u32_e32 vcc_lo, v79, v30
	s_wait_alu 0xfffd
	v_dual_cndmask_b32 v10, v10, v29 :: v_dual_cndmask_b32 v9, v9, v12
	v_cmp_gt_u32_e32 vcc_lo, v91, v30
	ds_bpermute_b32 v29, v90, v10
	ds_bpermute_b32 v12, v90, v9
	s_wait_dscnt 0x1
	v_add_nc_u32_e32 v29, v10, v29
	s_wait_dscnt 0x0
	v_add_nc_u32_e32 v12, v9, v12
	s_wait_alu 0xfffd
	s_delay_alu instid0(VALU_DEP_1)
	v_dual_cndmask_b32 v10, v29, v10 :: v_dual_cndmask_b32 v9, v12, v9
	v_cmp_gt_u32_e32 vcc_lo, v93, v30
	ds_bpermute_b32 v29, v92, v10
	ds_bpermute_b32 v12, v92, v9
	s_wait_dscnt 0x1
	v_add_nc_u32_e32 v29, v10, v29
	s_wait_dscnt 0x0
	v_add_nc_u32_e32 v12, v9, v12
	s_wait_alu 0xfffd
	s_delay_alu instid0(VALU_DEP_1)
	;; [unrolled: 10-line block ×3, first 2 shown]
	v_dual_cndmask_b32 v10, v29, v10 :: v_dual_cndmask_b32 v9, v12, v9
	v_cmp_le_u32_e32 vcc_lo, v97, v30
	ds_bpermute_b32 v29, v96, v10
	ds_bpermute_b32 v12, v96, v9
	s_wait_dscnt 0x0
	s_wait_alu 0xfffd
	v_dual_cndmask_b32 v29, 0, v29 :: v_dual_cndmask_b32 v12, 0, v12
	s_delay_alu instid0(VALU_DEP_1) | instskip(NEXT) | instid1(VALU_DEP_2)
	v_add3_u32 v10, v10, v8, v29
	v_add3_u32 v9, v9, v7, v12
.LBB2014_130:                           ;   in Loop: Header=BB2014_131 Depth=1
	s_wait_alu 0xfffe
	s_and_b32 vcc_lo, exec_lo, s5
	s_wait_alu 0xfffe
	s_cbranch_vccnz .LBB2014_136
.LBB2014_131:                           ; =>This Loop Header: Depth=1
                                        ;     Child Loop BB2014_134 Depth 2
	v_and_b32_e32 v7, 0xff, v11
	s_mov_b32 s5, -1
                                        ; implicit-def: $vgpr11
	s_delay_alu instid0(VALU_DEP_1)
	v_cmp_ne_u16_e32 vcc_lo, 2, v7
	v_dual_mov_b32 v7, v9 :: v_dual_mov_b32 v8, v10
                                        ; implicit-def: $vgpr9_vgpr10
	s_cmp_lg_u32 vcc_lo, exec_lo
	s_cbranch_scc1 .LBB2014_130
; %bb.132:                              ;   in Loop: Header=BB2014_131 Depth=1
	v_lshlrev_b64_e32 v[9:10], 4, v[27:28]
	s_mov_b32 s5, exec_lo
	s_delay_alu instid0(VALU_DEP_1) | instskip(SKIP_1) | instid1(VALU_DEP_2)
	v_add_co_u32 v29, vcc_lo, s36, v9
	s_wait_alu 0xfffd
	v_add_co_ci_u32_e64 v30, null, s37, v10, vcc_lo
	;;#ASMSTART
	global_load_b128 v[9:12], v[29:30] off scope:SCOPE_DEV	
s_wait_loadcnt 0x0
	;;#ASMEND
	v_and_b32_e32 v12, 0xff, v11
	s_delay_alu instid0(VALU_DEP_1)
	v_cmpx_eq_u16_e32 0, v12
	s_cbranch_execz .LBB2014_129
; %bb.133:                              ;   in Loop: Header=BB2014_131 Depth=1
	s_mov_b32 s6, 0
.LBB2014_134:                           ;   Parent Loop BB2014_131 Depth=1
                                        ; =>  This Inner Loop Header: Depth=2
	;;#ASMSTART
	global_load_b128 v[9:12], v[29:30] off scope:SCOPE_DEV	
s_wait_loadcnt 0x0
	;;#ASMEND
	v_and_b32_e32 v12, 0xff, v11
	s_delay_alu instid0(VALU_DEP_1)
	v_cmp_ne_u16_e32 vcc_lo, 0, v12
	s_wait_alu 0xfffe
	s_or_b32 s6, vcc_lo, s6
	s_wait_alu 0xfffe
	s_and_not1_b32 exec_lo, exec_lo, s6
	s_cbranch_execnz .LBB2014_134
	s_branch .LBB2014_128
.LBB2014_135:
                                        ; implicit-def: $vgpr29
                                        ; implicit-def: $vgpr7
                                        ; implicit-def: $vgpr86
	s_wait_alu 0xfffe
	s_and_b32 vcc_lo, exec_lo, s4
	s_wait_alu 0xfffe
	s_cbranch_vccnz .LBB2014_141
	s_branch .LBB2014_150
.LBB2014_136:
	s_and_saveexec_b32 s5, s3
	s_cbranch_execnz .LBB2014_378
; %bb.137:
	s_wait_alu 0xfffe
	s_or_b32 exec_lo, exec_lo, s5
	s_and_saveexec_b32 s5, s3
	s_cbranch_execnz .LBB2014_379
.LBB2014_138:
	s_wait_alu 0xfffe
	s_or_b32 exec_lo, exec_lo, s5
	s_delay_alu instid0(SALU_CYCLE_1)
	s_and_b32 exec_lo, exec_lo, s2
.LBB2014_139:
	v_mov_b32_e32 v5, 0
	ds_store_b64 v5, v[7:8] offset:56
.LBB2014_140:
	s_wait_alu 0xfffe
	s_or_b32 exec_lo, exec_lo, s4
	s_wait_dscnt 0x1
	v_cndmask_b32_e64 v12, v86, v25, s3
	v_mov_b32_e32 v5, 0
	s_wait_loadcnt_dscnt 0x0
	s_barrier_signal -1
	s_barrier_wait -1
	global_inv scope:SCOPE_SE
	ds_load_b64 v[9:10], v5 offset:56
	s_wait_loadcnt_dscnt 0x0
	s_barrier_signal -1
	s_barrier_wait -1
	global_inv scope:SCOPE_SE
	v_cndmask_b32_e64 v11, v87, v26, s3
	v_add_nc_u32_e32 v12, v9, v12
	ds_load_b128 v[5:8], v5 offset:13312
	v_add_nc_u32_e32 v11, v10, v11
	v_cndmask_b32_e64 v86, v12, v9, s2
	s_delay_alu instid0(VALU_DEP_2)
	v_cndmask_b32_e64 v29, v11, v10, s2
	s_branch .LBB2014_150
.LBB2014_141:
	s_wait_dscnt 0x0
	v_mov_b32_dpp v5, v84 row_shr:1 row_mask:0xf bank_mask:0xf
	v_cmp_lt_u32_e32 vcc_lo, 3, v81
	v_mov_b32_dpp v6, v85 row_shr:1 row_mask:0xf bank_mask:0xf
	s_delay_alu instid0(VALU_DEP_3) | instskip(NEXT) | instid1(VALU_DEP_1)
	v_add_nc_u32_e32 v5, v5, v84
	v_cndmask_b32_e64 v5, v5, v84, s1
	s_delay_alu instid0(VALU_DEP_1) | instskip(NEXT) | instid1(VALU_DEP_1)
	v_mov_b32_dpp v7, v5 row_shr:2 row_mask:0xf bank_mask:0xf
	v_add_nc_u32_e32 v7, v5, v7
	s_delay_alu instid0(VALU_DEP_1) | instskip(NEXT) | instid1(VALU_DEP_1)
	v_cndmask_b32_e64 v5, v5, v7, s0
	v_mov_b32_dpp v7, v5 row_shr:4 row_mask:0xf bank_mask:0xf
	s_delay_alu instid0(VALU_DEP_1) | instskip(SKIP_1) | instid1(VALU_DEP_1)
	v_add_nc_u32_e32 v7, v5, v7
	s_wait_alu 0xfffd
	v_dual_cndmask_b32 v7, v5, v7 :: v_dual_add_nc_u32 v6, v6, v85
	s_delay_alu instid0(VALU_DEP_1) | instskip(SKIP_1) | instid1(VALU_DEP_2)
	v_cndmask_b32_e64 v6, v6, v85, s1
	s_mov_b32 s1, exec_lo
	v_mov_b32_dpp v5, v7 row_shr:8 row_mask:0xf bank_mask:0xf
	s_delay_alu instid0(VALU_DEP_2) | instskip(NEXT) | instid1(VALU_DEP_2)
	v_mov_b32_dpp v8, v6 row_shr:2 row_mask:0xf bank_mask:0xf
	v_add_nc_u32_e32 v9, v7, v5
	s_delay_alu instid0(VALU_DEP_2) | instskip(NEXT) | instid1(VALU_DEP_1)
	v_add_nc_u32_e32 v8, v6, v8
	v_cndmask_b32_e64 v6, v6, v8, s0
	s_delay_alu instid0(VALU_DEP_1) | instskip(NEXT) | instid1(VALU_DEP_1)
	v_mov_b32_dpp v8, v6 row_shr:4 row_mask:0xf bank_mask:0xf
	v_add_nc_u32_e32 v8, v6, v8
	s_delay_alu instid0(VALU_DEP_1) | instskip(SKIP_1) | instid1(VALU_DEP_2)
	v_cndmask_b32_e32 v6, v6, v8, vcc_lo
	v_cmp_lt_u32_e32 vcc_lo, 7, v81
	v_mov_b32_dpp v8, v6 row_shr:8 row_mask:0xf bank_mask:0xf
	s_delay_alu instid0(VALU_DEP_1) | instskip(SKIP_1) | instid1(VALU_DEP_1)
	v_add_nc_u32_e32 v5, v6, v8
	s_wait_alu 0xfffd
	v_cndmask_b32_e32 v5, v6, v5, vcc_lo
	v_cndmask_b32_e32 v6, v7, v9, vcc_lo
	v_cmp_eq_u32_e32 vcc_lo, 0, v83
	ds_swizzle_b32 v7, v5 offset:swizzle(BROADCAST,32,15)
	ds_swizzle_b32 v8, v6 offset:swizzle(BROADCAST,32,15)
	s_wait_dscnt 0x1
	v_add_nc_u32_e32 v7, v5, v7
	s_wait_dscnt 0x0
	v_add_nc_u32_e32 v8, v6, v8
	v_cmpx_eq_u32_e64 v0, v82
; %bb.142:
	s_wait_alu 0xfffd
	s_delay_alu instid0(VALU_DEP_2)
	v_dual_cndmask_b32 v9, v8, v6 :: v_dual_cndmask_b32 v10, v7, v5
	v_lshlrev_b32_e32 v11, 3, v80
	ds_store_b64 v11, v[9:10]
; %bb.143:
	s_wait_alu 0xfffe
	s_or_b32 exec_lo, exec_lo, s1
	s_delay_alu instid0(SALU_CYCLE_1)
	s_mov_b32 s1, exec_lo
	s_wait_loadcnt_dscnt 0x0
	s_barrier_signal -1
	s_barrier_wait -1
	global_inv scope:SCOPE_SE
	v_cmpx_gt_u32_e32 8, v0
	s_cbranch_execz .LBB2014_145
; %bb.144:
	v_lshlrev_b32_e32 v11, 3, v0
	v_and_b32_e32 v26, 7, v79
	ds_load_b64 v[9:10], v11
	v_cmp_eq_u32_e64 s0, 0, v26
	s_wait_dscnt 0x0
	v_mov_b32_dpp v12, v9 row_shr:1 row_mask:0xf bank_mask:0xf
	v_mov_b32_dpp v25, v10 row_shr:1 row_mask:0xf bank_mask:0xf
	s_delay_alu instid0(VALU_DEP_2) | instskip(NEXT) | instid1(VALU_DEP_2)
	v_add_nc_u32_e32 v12, v12, v9
	v_add_nc_u32_e32 v25, v25, v10
	s_wait_alu 0xf1ff
	s_delay_alu instid0(VALU_DEP_2) | instskip(NEXT) | instid1(VALU_DEP_2)
	v_cndmask_b32_e64 v9, v12, v9, s0
	v_cndmask_b32_e64 v10, v25, v10, s0
	v_cmp_lt_u32_e64 s0, 1, v26
	s_delay_alu instid0(VALU_DEP_3) | instskip(NEXT) | instid1(VALU_DEP_3)
	v_mov_b32_dpp v12, v9 row_shr:2 row_mask:0xf bank_mask:0xf
	v_mov_b32_dpp v25, v10 row_shr:2 row_mask:0xf bank_mask:0xf
	s_delay_alu instid0(VALU_DEP_2) | instskip(NEXT) | instid1(VALU_DEP_2)
	v_add_nc_u32_e32 v12, v9, v12
	v_add_nc_u32_e32 v25, v10, v25
	s_wait_alu 0xf1ff
	s_delay_alu instid0(VALU_DEP_2) | instskip(NEXT) | instid1(VALU_DEP_2)
	v_cndmask_b32_e64 v9, v9, v12, s0
	v_cndmask_b32_e64 v10, v10, v25, s0
	v_cmp_lt_u32_e64 s0, 3, v26
	s_delay_alu instid0(VALU_DEP_3) | instskip(NEXT) | instid1(VALU_DEP_3)
	v_mov_b32_dpp v12, v9 row_shr:4 row_mask:0xf bank_mask:0xf
	v_mov_b32_dpp v25, v10 row_shr:4 row_mask:0xf bank_mask:0xf
	s_wait_alu 0xf1ff
	s_delay_alu instid0(VALU_DEP_2) | instskip(NEXT) | instid1(VALU_DEP_2)
	v_cndmask_b32_e64 v12, 0, v12, s0
	v_cndmask_b32_e64 v25, 0, v25, s0
	s_delay_alu instid0(VALU_DEP_2) | instskip(NEXT) | instid1(VALU_DEP_2)
	v_add_nc_u32_e32 v9, v12, v9
	v_add_nc_u32_e32 v10, v25, v10
	ds_store_b64 v11, v[9:10]
.LBB2014_145:
	s_wait_alu 0xfffe
	s_or_b32 exec_lo, exec_lo, s1
	v_dual_mov_b32 v11, 0 :: v_dual_mov_b32 v10, 0
	v_mov_b32_e32 v9, 0
	s_mov_b32 s1, exec_lo
	s_wait_loadcnt_dscnt 0x0
	s_barrier_signal -1
	s_barrier_wait -1
	global_inv scope:SCOPE_SE
	v_cmpx_lt_u32_e32 31, v0
; %bb.146:
	v_lshl_add_u32 v9, v80, 3, -8
	ds_load_b64 v[9:10], v9
; %bb.147:
	s_wait_alu 0xfffe
	s_or_b32 exec_lo, exec_lo, s1
	v_sub_co_u32 v12, s0, v79, 1
	v_dual_cndmask_b32 v6, v8, v6 :: v_dual_cndmask_b32 v5, v7, v5
	s_delay_alu instid0(VALU_DEP_2) | instskip(SKIP_1) | instid1(VALU_DEP_2)
	v_cmp_gt_i32_e64 s1, 0, v12
	s_wait_dscnt 0x0
	v_add_nc_u32_e32 v6, v9, v6
	s_delay_alu instid0(VALU_DEP_3) | instskip(SKIP_2) | instid1(VALU_DEP_1)
	v_add_nc_u32_e32 v5, v10, v5
	s_wait_alu 0xf1ff
	v_cndmask_b32_e64 v8, v12, v79, s1
	v_lshlrev_b32_e32 v7, 2, v8
	ds_bpermute_b32 v12, v7, v6
	ds_bpermute_b32 v25, v7, v5
	ds_load_b64 v[5:6], v11 offset:56
	s_and_saveexec_b32 s1, s2
	s_cbranch_execz .LBB2014_149
; %bb.148:
	s_add_nc_u64 s[4:5], s[36:37], 0x200
	v_dual_mov_b32 v7, 2 :: v_dual_mov_b32 v8, 0
	s_wait_alu 0xfffe
	v_dual_mov_b32 v27, s5 :: v_dual_mov_b32 v26, s4
	s_wait_dscnt 0x0
	;;#ASMSTART
	global_store_b128 v[26:27], v[5:8] off scope:SCOPE_DEV	
s_wait_storecnt 0x0
	;;#ASMEND
.LBB2014_149:
	s_wait_alu 0xfffe
	s_or_b32 exec_lo, exec_lo, s1
	s_wait_dscnt 0x1
	v_cndmask_b32_e64 v7, v25, v10, s0
	v_cndmask_b32_e64 v9, v12, v9, s0
	v_mov_b32_e32 v8, 0
	s_wait_loadcnt_dscnt 0x0
	s_barrier_signal -1
	v_cndmask_b32_e64 v29, v7, 0, s2
	v_cndmask_b32_e64 v86, v9, 0, s2
	v_mov_b32_e32 v7, 0
	s_barrier_wait -1
	global_inv scope:SCOPE_SE
.LBB2014_150:
	v_lshrrev_b32_e32 v81, 8, v54
	s_wait_dscnt 0x0
	v_add_co_u32 v1, vcc_lo, v1, v7
	s_wait_alu 0xfffd
	v_add_co_ci_u32_e64 v2, null, 0, v2, vcc_lo
	v_and_b32_e32 v81, 1, v81
	v_sub_co_u32 v84, vcc_lo, v3, v5
	s_wait_alu 0xfffd
	v_subrev_co_ci_u32_e64 v85, null, 0, v4, vcc_lo
	s_delay_alu instid0(VALU_DEP_3)
	v_cmp_eq_u32_e32 vcc_lo, 1, v81
	v_add_nc_u32_e32 v78, v29, v78
	v_sub_nc_u32_e32 v29, v29, v8
	v_lshlrev_b32_e32 v87, 1, v5
	v_lshrrev_b32_e32 v79, 16, v54
	v_lshrrev_b32_e32 v80, 8, v47
	v_add_nc_u32_e32 v75, v78, v75
	v_sub_nc_u32_e32 v78, v78, v8
	v_add_nc_u32_e32 v29, v29, v5
	v_add3_u32 v90, v87, v6, v46
	v_and_b32_e32 v79, 1, v79
	v_lshrrev_b32_e32 v30, 16, v47
	v_add_nc_u32_e32 v78, v78, v5
	v_add_nc_u32_e32 v77, v86, v77
	v_sub_nc_u32_e32 v86, v86, v7
	v_and_b32_e32 v47, 1, v47
	v_and_b32_e32 v80, 1, v80
	;; [unrolled: 1-line block ×3, first 2 shown]
	v_add_nc_u32_e32 v74, v77, v74
	v_sub_nc_u32_e32 v77, v77, v7
	v_add_nc_u32_e32 v46, v86, v29
	v_lshrrev_b32_e32 v28, 8, v48
	v_lshrrev_b32_e32 v27, 16, v48
	v_and_b32_e32 v48, 1, v48
	v_add_nc_u32_e32 v91, v78, v77
	v_sub_nc_u32_e32 v46, v90, v46
	v_and_b32_e32 v28, 1, v28
	v_lshrrev_b32_e32 v25, 16, v49
	v_lshrrev_b32_e32 v26, 8, v49
	v_sub_nc_u32_e32 v91, v90, v91
	s_wait_alu 0xfffd
	v_cndmask_b32_e32 v29, v46, v29, vcc_lo
	v_cmp_eq_u32_e32 vcc_lo, 1, v79
	v_lshrrev_b32_e32 v12, 8, v51
	v_and_b32_e32 v26, 1, v26
	v_add_nc_u32_e32 v91, 1, v91
	v_lshrrev_b32_e32 v10, 16, v51
	v_lshrrev_b32_e32 v11, 8, v52
	v_and_b32_e32 v12, 1, v12
	v_lshrrev_b32_e32 v9, 16, v52
	s_wait_alu 0xfffd
	v_cndmask_b32_e32 v46, v91, v78, vcc_lo
	v_cmp_eq_u32_e32 vcc_lo, 1, v47
	v_add_nc_u32_e32 v82, v75, v60
	v_sub_nc_u32_e32 v75, v75, v8
	v_and_b32_e32 v60, 1, v60
	v_and_b32_e32 v10, 1, v10
	s_wait_alu 0xfffd
	v_cndmask_b32_e32 v29, v29, v86, vcc_lo
	v_cmp_eq_u32_e32 vcc_lo, 1, v80
	v_add_nc_u32_e32 v75, v75, v5
	v_sub_nc_u32_e32 v80, v82, v8
	v_and_b32_e32 v11, 1, v11
	v_lshlrev_b32_e32 v29, 2, v29
	s_wait_alu 0xfffd
	v_cndmask_b32_e32 v77, v46, v77, vcc_lo
	v_add_nc_u32_e32 v76, v74, v76
	v_sub_nc_u32_e32 v74, v74, v7
	v_add_co_u32 v46, vcc_lo, v84, v8
	s_wait_alu 0xfffd
	v_add_co_ci_u32_e64 v47, null, 0, v85, vcc_lo
	s_delay_alu instid0(VALU_DEP_3)
	v_add_nc_u32_e32 v79, v75, v74
	v_cmp_eq_u32_e32 vcc_lo, 1, v60
	v_add_nc_u32_e32 v83, v76, v59
	v_lshlrev_b32_e32 v77, 2, v77
	ds_store_b32 v29, v23
	ds_store_b32 v77, v24
	v_sub_nc_u32_e32 v79, v90, v79
	v_and_b32_e32 v9, 1, v9
	s_delay_alu instid0(VALU_DEP_2) | instskip(SKIP_1) | instid1(VALU_DEP_1)
	v_add_nc_u32_e32 v79, 2, v79
	s_wait_alu 0xfffd
	v_dual_cndmask_b32 v60, v79, v75 :: v_dual_add_nc_u32 v73, v82, v73
	s_delay_alu instid0(VALU_DEP_1)
	v_add_nc_u32_e32 v72, v73, v72
	v_sub_nc_u32_e32 v75, v76, v7
	v_sub_nc_u32_e32 v73, v73, v8
	v_add_nc_u32_e32 v76, v80, v5
	v_cmp_eq_u32_e32 vcc_lo, 1, v30
	s_wait_alu 0xfffd
	s_delay_alu instid0(VALU_DEP_3)
	v_dual_cndmask_b32 v30, v60, v74 :: v_dual_add_nc_u32 v73, v73, v5
	v_sub_nc_u32_e32 v60, v83, v7
	v_add_nc_u32_e32 v74, v75, v76
	v_cmp_eq_u32_e32 vcc_lo, 1, v48
	v_and_b32_e32 v48, 1, v49
	v_lshlrev_b32_e32 v23, 2, v30
	v_add_nc_u32_e32 v24, v60, v73
	v_sub_nc_u32_e32 v29, v90, v74
	v_and_b32_e32 v30, 1, v59
	v_sub_nc_u32_e32 v59, v72, v8
	ds_store_b32 v23, v21
	v_sub_nc_u32_e32 v24, v90, v24
	v_add_nc_u32_e32 v29, 3, v29
	v_and_b32_e32 v23, 1, v27
	v_add_nc_u32_e32 v59, v59, v5
	s_delay_alu instid0(VALU_DEP_4)
	v_add_nc_u32_e32 v24, 4, v24
	s_wait_alu 0xfffd
	v_cndmask_b32_e32 v29, v29, v76, vcc_lo
	v_cmp_eq_u32_e32 vcc_lo, 1, v28
	s_wait_alu 0xfffd
	v_dual_cndmask_b32 v24, v24, v73 :: v_dual_add_nc_u32 v71, v83, v71
	s_delay_alu instid0(VALU_DEP_1) | instskip(SKIP_2) | instid1(VALU_DEP_3)
	v_add_nc_u32_e32 v69, v71, v69
	v_sub_nc_u32_e32 v71, v71, v7
	v_cmp_eq_u32_e32 vcc_lo, 1, v30
	v_add_nc_u32_e32 v65, v69, v65
	s_delay_alu instid0(VALU_DEP_3)
	v_add_nc_u32_e32 v49, v71, v59
	s_wait_alu 0xfffd
	v_cndmask_b32_e32 v28, v29, v75, vcc_lo
	v_cmp_eq_u32_e32 vcc_lo, 1, v48
	v_add_nc_u32_e32 v89, v65, v57
	v_sub_nc_u32_e32 v29, v90, v49
	s_delay_alu instid0(VALU_DEP_4)
	v_lshlrev_b32_e32 v21, 2, v28
	s_wait_alu 0xfffd
	v_cndmask_b32_e32 v24, v24, v60, vcc_lo
	v_cmp_eq_u32_e32 vcc_lo, 1, v23
	v_sub_nc_u32_e32 v48, v89, v7
	v_add_nc_u32_e32 v27, 5, v29
	v_add_nc_u32_e32 v66, v89, v66
	v_lshlrev_b32_e32 v24, 2, v24
	ds_store_b32 v21, v22
	ds_store_b32 v24, v19
	s_wait_alu 0xfffd
	v_cndmask_b32_e32 v23, v27, v59, vcc_lo
	v_cmp_eq_u32_e32 vcc_lo, 1, v26
	v_sub_nc_u32_e32 v27, v69, v7
	v_sub_nc_u32_e32 v26, v65, v7
	v_and_b32_e32 v24, 1, v58
	v_add_nc_u32_e32 v63, v66, v63
	s_wait_alu 0xfffd
	v_dual_cndmask_b32 v23, v23, v71 :: v_dual_add_nc_u32 v70, v72, v70
	s_delay_alu instid0(VALU_DEP_3) | instskip(SKIP_1) | instid1(VALU_DEP_3)
	v_cmp_eq_u32_e32 vcc_lo, 1, v24
	v_and_b32_e32 v24, 1, v57
	v_lshlrev_b32_e32 v19, 2, v23
	s_delay_alu instid0(VALU_DEP_4) | instskip(SKIP_3) | instid1(VALU_DEP_4)
	v_add_nc_u32_e32 v88, v70, v58
	v_sub_nc_u32_e32 v28, v70, v8
	v_and_b32_e32 v23, 1, v25
	v_add_nc_u32_e32 v62, v63, v62
	v_sub_nc_u32_e32 v29, v88, v8
	s_delay_alu instid0(VALU_DEP_4) | instskip(SKIP_1) | instid1(VALU_DEP_4)
	v_add_nc_u32_e32 v28, v28, v5
	v_add_nc_u32_e32 v68, v88, v68
	;; [unrolled: 1-line block ×3, first 2 shown]
	s_delay_alu instid0(VALU_DEP_4) | instskip(NEXT) | instid1(VALU_DEP_4)
	v_add_nc_u32_e32 v29, v29, v5
	v_add_nc_u32_e32 v30, v27, v28
	s_delay_alu instid0(VALU_DEP_4) | instskip(SKIP_1) | instid1(VALU_DEP_4)
	v_sub_nc_u32_e32 v25, v68, v8
	v_add_nc_u32_e32 v67, v68, v67
	v_add_nc_u32_e32 v21, v26, v29
	s_delay_alu instid0(VALU_DEP_4)
	v_sub_nc_u32_e32 v22, v90, v30
	v_and_b32_e32 v30, 1, v51
	v_add_nc_u32_e32 v25, v25, v5
	v_add_nc_u32_e32 v64, v67, v64
	v_sub_nc_u32_e32 v21, v90, v21
	v_add_nc_u32_e32 v22, 6, v22
	s_delay_alu instid0(VALU_DEP_3) | instskip(SKIP_1) | instid1(VALU_DEP_2)
	v_add_nc_u32_e32 v92, v64, v56
	s_wait_alu 0xfffd
	v_dual_cndmask_b32 v22, v22, v28 :: v_dual_add_nc_u32 v21, 7, v21
	v_cmp_eq_u32_e32 vcc_lo, 1, v30
	v_add_nc_u32_e32 v28, v48, v25
	v_add_nc_u32_e32 v61, v92, v61
	s_wait_alu 0xfffd
	v_cndmask_b32_e32 v21, v21, v29, vcc_lo
	v_cmp_eq_u32_e32 vcc_lo, 1, v23
	v_sub_nc_u32_e32 v23, v90, v28
	s_wait_alu 0xfffd
	v_cndmask_b32_e32 v22, v22, v27, vcc_lo
	v_cmp_eq_u32_e32 vcc_lo, 1, v24
	v_sub_nc_u32_e32 v24, v67, v8
	v_add_nc_u32_e32 v23, 8, v23
	v_sub_nc_u32_e32 v27, v66, v7
	v_lshlrev_b32_e32 v22, 2, v22
	s_wait_alu 0xfffd
	v_dual_cndmask_b32 v21, v21, v26 :: v_dual_add_nc_u32 v24, v24, v5
	v_cmp_eq_u32_e32 vcc_lo, 1, v12
	v_and_b32_e32 v26, 1, v52
	s_delay_alu instid0(VALU_DEP_3)
	v_lshlrev_b32_e32 v21, 2, v21
	ds_store_b32 v19, v20
	ds_store_b32 v22, v17
	;; [unrolled: 1-line block ×3, first 2 shown]
	s_wait_alu 0xfffd
	v_cndmask_b32_e32 v12, v23, v25, vcc_lo
	v_add_nc_u32_e32 v23, v27, v24
	v_cmp_eq_u32_e32 vcc_lo, 1, v26
	v_sub_nc_u32_e32 v18, v64, v8
	v_sub_nc_u32_e32 v19, v63, v7
	;; [unrolled: 1-line block ×4, first 2 shown]
	s_wait_alu 0xfffd
	v_cndmask_b32_e32 v12, v12, v48, vcc_lo
	v_add_nc_u32_e32 v18, v18, v5
	v_cmp_eq_u32_e32 vcc_lo, 1, v10
	v_add_nc_u32_e32 v20, v20, v5
	v_add_nc_u32_e32 v17, 9, v17
	v_lshlrev_b32_e32 v12, 2, v12
	v_add_nc_u32_e32 v21, v19, v18
	v_and_b32_e32 v22, 1, v50
	s_wait_alu 0xfffd
	v_cndmask_b32_e32 v10, v17, v24, vcc_lo
	v_sub_nc_u32_e32 v17, v62, v7
	ds_store_b32 v12, v15
	v_cmp_eq_u32_e32 vcc_lo, 1, v11
	v_sub_nc_u32_e32 v12, v90, v21
	v_and_b32_e32 v15, 1, v56
	v_add_nc_u32_e32 v11, v17, v20
	v_sub_nc_u32_e32 v21, v61, v8
	s_wait_alu 0xfffd
	v_cndmask_b32_e32 v10, v10, v27, vcc_lo
	v_add_nc_u32_e32 v12, 10, v12
	v_cmp_eq_u32_e32 vcc_lo, 1, v15
	v_sub_nc_u32_e32 v11, v90, v11
	v_sub_nc_u32_e32 v7, v78, v7
	v_add_nc_u32_e32 v21, v21, v5
	s_wait_alu 0xfffd
	v_dual_cndmask_b32 v12, v12, v18 :: v_dual_and_b32 v15, 1, v55
	v_add_nc_u32_e32 v11, 11, v11
	v_cmp_eq_u32_e32 vcc_lo, 1, v22
	v_add_nc_u32_e32 v18, v7, v21
	s_wait_alu 0xfffd
	s_delay_alu instid0(VALU_DEP_3)
	v_dual_cndmask_b32 v11, v11, v20 :: v_dual_lshlrev_b32 v10, 2, v10
	v_cmp_eq_u32_e32 vcc_lo, 1, v9
	s_wait_alu 0xfffd
	v_cndmask_b32_e32 v9, v12, v19, vcc_lo
	v_cmp_eq_u32_e32 vcc_lo, 1, v15
	v_sub_nc_u32_e32 v12, v90, v18
	v_and_b32_e32 v15, 1, v53
	s_delay_alu instid0(VALU_DEP_4) | instskip(SKIP_1) | instid1(VALU_DEP_3)
	v_lshlrev_b32_e32 v9, 2, v9
	s_wait_alu 0xfffd
	v_dual_cndmask_b32 v11, v11, v17 :: v_dual_add_nc_u32 v12, 12, v12
	v_and_b32_e32 v17, 1, v54
	v_cmp_eq_u32_e32 vcc_lo, 1, v15
	s_delay_alu instid0(VALU_DEP_3)
	v_lshlrev_b32_e32 v11, 2, v11
	ds_store_b32 v10, v16
	ds_store_b32 v9, v13
	;; [unrolled: 1-line block ×3, first 2 shown]
	s_wait_alu 0xfffd
	v_cndmask_b32_e32 v12, v12, v21, vcc_lo
	v_cmp_eq_u32_e32 vcc_lo, 1, v17
	v_add_co_u32 v9, s0, v6, v87
	s_wait_alu 0xf1ff
	v_add_co_ci_u32_e64 v10, null, 0, 0, s0
	s_wait_alu 0xfffd
	v_cndmask_b32_e32 v7, v12, v7, vcc_lo
	v_add_co_u32 v9, vcc_lo, v9, v46
	s_wait_alu 0xfffd
	v_add_co_ci_u32_e64 v10, null, v10, v47, vcc_lo
	s_delay_alu instid0(VALU_DEP_3)
	v_lshlrev_b32_e32 v7, 2, v7
	v_add_co_u32 v11, s0, s34, v43
	v_add_co_u32 v9, vcc_lo, v9, v1
	s_wait_alu 0xf1ff
	v_add_co_ci_u32_e64 v12, null, s35, 0, s0
	s_wait_alu 0xfffd
	v_add_co_ci_u32_e64 v10, null, v10, v2, vcc_lo
	ds_store_b32 v7, v45
	v_sub_co_u32 v7, vcc_lo, v11, v9
	s_wait_alu 0xfffd
	v_sub_co_ci_u32_e64 v13, null, v12, v10, vcc_lo
	v_lshlrev_b64_e32 v[9:10], 2, v[46:47]
	v_lshlrev_b64_e32 v[11:12], 2, v[1:2]
	v_add_nc_u32_e32 v14, v5, v6
	s_wait_loadcnt_dscnt 0x0
	s_barrier_signal -1
	s_barrier_wait -1
	v_add_co_u32 v9, vcc_lo, s30, v9
	s_wait_alu 0xfffd
	v_add_co_ci_u32_e64 v10, null, s31, v10, vcc_lo
	v_cmp_ne_u32_e32 vcc_lo, 1, v44
	v_add_co_u32 v11, s0, s28, v11
	s_wait_alu 0xf1ff
	v_add_co_ci_u32_e64 v12, null, s29, v12, s0
	s_mov_b32 s0, -1
	global_inv scope:SCOPE_SE
	s_cbranch_vccz .LBB2014_154
; %bb.151:
	s_wait_alu 0xfffe
	s_and_b32 vcc_lo, exec_lo, s0
	s_wait_alu 0xfffe
	s_cbranch_vccnz .LBB2014_259
.LBB2014_152:
	s_and_b32 s0, s2, s26
	s_wait_alu 0xfffe
	s_and_saveexec_b32 s1, s0
	s_cbranch_execnz .LBB2014_377
.LBB2014_153:
	s_nop 0
	s_sendmsg sendmsg(MSG_DEALLOC_VGPRS)
	s_endpgm
.LBB2014_154:
	s_mov_b32 s0, exec_lo
	v_cmpx_ge_u32_e64 v0, v5
	s_wait_alu 0xfffe
	s_xor_b32 s0, exec_lo, s0
	s_cbranch_execz .LBB2014_160
; %bb.155:
	s_mov_b32 s1, exec_lo
	v_cmpx_ge_u32_e64 v0, v14
	s_wait_alu 0xfffe
	s_xor_b32 s1, exec_lo, s1
	s_cbranch_execz .LBB2014_157
; %bb.156:
	v_lshlrev_b32_e32 v15, 2, v0
	ds_load_b32 v17, v15
	v_add_co_u32 v15, vcc_lo, v7, v0
	s_wait_alu 0xfffd
	v_add_co_ci_u32_e64 v16, null, 0, v13, vcc_lo
	s_delay_alu instid0(VALU_DEP_1) | instskip(NEXT) | instid1(VALU_DEP_1)
	v_lshlrev_b64_e32 v[15:16], 2, v[15:16]
	v_sub_co_u32 v15, vcc_lo, s14, v15
	s_wait_alu 0xfffd
	s_delay_alu instid0(VALU_DEP_2)
	v_sub_co_ci_u32_e64 v16, null, s15, v16, vcc_lo
	s_wait_dscnt 0x0
	global_store_b32 v[15:16], v17, off offset:-4
.LBB2014_157:
	s_wait_alu 0xfffe
	s_and_not1_saveexec_b32 s1, s1
	s_cbranch_execz .LBB2014_159
; %bb.158:
	v_lshlrev_b32_e32 v15, 2, v0
	v_readfirstlane_b32 s4, v9
	v_readfirstlane_b32 s5, v10
	ds_load_b32 v16, v15
	s_wait_dscnt 0x0
	global_store_b32 v15, v16, s[4:5]
.LBB2014_159:
	s_wait_alu 0xfffe
	s_or_b32 exec_lo, exec_lo, s1
.LBB2014_160:
	s_wait_alu 0xfffe
	s_and_not1_saveexec_b32 s0, s0
	s_cbranch_execz .LBB2014_162
; %bb.161:
	v_lshlrev_b32_e32 v15, 2, v0
	v_readfirstlane_b32 s4, v11
	v_readfirstlane_b32 s5, v12
	ds_load_b32 v16, v15
	s_wait_dscnt 0x0
	global_store_b32 v15, v16, s[4:5]
.LBB2014_162:
	s_wait_alu 0xfffe
	s_or_b32 exec_lo, exec_lo, s0
	s_delay_alu instid0(SALU_CYCLE_1)
	s_mov_b32 s0, exec_lo
	v_cmpx_ge_u32_e64 v42, v5
	s_wait_alu 0xfffe
	s_xor_b32 s0, exec_lo, s0
	s_cbranch_execz .LBB2014_168
; %bb.163:
	s_mov_b32 s1, exec_lo
	v_cmpx_ge_u32_e64 v42, v14
	s_wait_alu 0xfffe
	s_xor_b32 s1, exec_lo, s1
	s_cbranch_execz .LBB2014_165
; %bb.164:
	v_lshlrev_b32_e32 v15, 2, v0
	ds_load_b32 v17, v15 offset:1024
	v_add_co_u32 v15, vcc_lo, v7, v0
	s_wait_alu 0xfffd
	v_add_co_ci_u32_e64 v16, null, 0, v13, vcc_lo
	s_delay_alu instid0(VALU_DEP_1) | instskip(NEXT) | instid1(VALU_DEP_1)
	v_lshlrev_b64_e32 v[15:16], 2, v[15:16]
	v_sub_co_u32 v15, vcc_lo, s14, v15
	s_wait_alu 0xfffd
	s_delay_alu instid0(VALU_DEP_2)
	v_sub_co_ci_u32_e64 v16, null, s15, v16, vcc_lo
	s_wait_dscnt 0x0
	global_store_b32 v[15:16], v17, off offset:-1028
.LBB2014_165:
	s_wait_alu 0xfffe
	s_and_not1_saveexec_b32 s1, s1
	s_cbranch_execz .LBB2014_167
; %bb.166:
	v_lshlrev_b32_e32 v15, 2, v0
	v_readfirstlane_b32 s4, v9
	v_readfirstlane_b32 s5, v10
	ds_load_b32 v16, v15 offset:1024
	s_wait_dscnt 0x0
	global_store_b32 v15, v16, s[4:5] offset:1024
.LBB2014_167:
	s_wait_alu 0xfffe
	s_or_b32 exec_lo, exec_lo, s1
.LBB2014_168:
	s_wait_alu 0xfffe
	s_and_not1_saveexec_b32 s0, s0
	s_cbranch_execz .LBB2014_170
; %bb.169:
	v_lshlrev_b32_e32 v15, 2, v0
	v_readfirstlane_b32 s4, v11
	v_readfirstlane_b32 s5, v12
	ds_load_b32 v16, v15 offset:1024
	s_wait_dscnt 0x0
	global_store_b32 v15, v16, s[4:5] offset:1024
.LBB2014_170:
	s_wait_alu 0xfffe
	s_or_b32 exec_lo, exec_lo, s0
	s_delay_alu instid0(SALU_CYCLE_1)
	s_mov_b32 s0, exec_lo
	v_cmpx_ge_u32_e64 v41, v5
	s_wait_alu 0xfffe
	s_xor_b32 s0, exec_lo, s0
	s_cbranch_execz .LBB2014_176
; %bb.171:
	s_mov_b32 s1, exec_lo
	v_cmpx_ge_u32_e64 v41, v14
	s_wait_alu 0xfffe
	s_xor_b32 s1, exec_lo, s1
	s_cbranch_execz .LBB2014_173
; %bb.172:
	v_lshlrev_b32_e32 v15, 2, v0
	ds_load_b32 v17, v15 offset:2048
	v_add_co_u32 v15, vcc_lo, v7, v0
	s_wait_alu 0xfffd
	v_add_co_ci_u32_e64 v16, null, 0, v13, vcc_lo
	s_delay_alu instid0(VALU_DEP_1) | instskip(NEXT) | instid1(VALU_DEP_1)
	v_lshlrev_b64_e32 v[15:16], 2, v[15:16]
	v_sub_co_u32 v15, vcc_lo, s14, v15
	s_wait_alu 0xfffd
	s_delay_alu instid0(VALU_DEP_2)
	v_sub_co_ci_u32_e64 v16, null, s15, v16, vcc_lo
	s_wait_dscnt 0x0
	global_store_b32 v[15:16], v17, off offset:-2052
.LBB2014_173:
	s_wait_alu 0xfffe
	s_and_not1_saveexec_b32 s1, s1
	s_cbranch_execz .LBB2014_175
; %bb.174:
	v_lshlrev_b32_e32 v15, 2, v0
	v_readfirstlane_b32 s4, v9
	v_readfirstlane_b32 s5, v10
	ds_load_b32 v16, v15 offset:2048
	s_wait_dscnt 0x0
	global_store_b32 v15, v16, s[4:5] offset:2048
.LBB2014_175:
	s_wait_alu 0xfffe
	s_or_b32 exec_lo, exec_lo, s1
.LBB2014_176:
	s_wait_alu 0xfffe
	s_and_not1_saveexec_b32 s0, s0
	s_cbranch_execz .LBB2014_178
; %bb.177:
	v_lshlrev_b32_e32 v15, 2, v0
	v_readfirstlane_b32 s4, v11
	v_readfirstlane_b32 s5, v12
	ds_load_b32 v16, v15 offset:2048
	s_wait_dscnt 0x0
	global_store_b32 v15, v16, s[4:5] offset:2048
.LBB2014_178:
	s_wait_alu 0xfffe
	s_or_b32 exec_lo, exec_lo, s0
	s_delay_alu instid0(SALU_CYCLE_1)
	s_mov_b32 s0, exec_lo
	v_cmpx_ge_u32_e64 v40, v5
	s_wait_alu 0xfffe
	s_xor_b32 s0, exec_lo, s0
	s_cbranch_execz .LBB2014_184
; %bb.179:
	s_mov_b32 s1, exec_lo
	v_cmpx_ge_u32_e64 v40, v14
	s_wait_alu 0xfffe
	s_xor_b32 s1, exec_lo, s1
	s_cbranch_execz .LBB2014_181
; %bb.180:
	v_lshlrev_b32_e32 v15, 2, v0
	ds_load_b32 v17, v15 offset:3072
	v_add_co_u32 v15, vcc_lo, v7, v0
	s_wait_alu 0xfffd
	v_add_co_ci_u32_e64 v16, null, 0, v13, vcc_lo
	s_delay_alu instid0(VALU_DEP_1) | instskip(NEXT) | instid1(VALU_DEP_1)
	v_lshlrev_b64_e32 v[15:16], 2, v[15:16]
	v_sub_co_u32 v15, vcc_lo, s14, v15
	s_wait_alu 0xfffd
	s_delay_alu instid0(VALU_DEP_2)
	v_sub_co_ci_u32_e64 v16, null, s15, v16, vcc_lo
	s_wait_dscnt 0x0
	global_store_b32 v[15:16], v17, off offset:-3076
.LBB2014_181:
	s_wait_alu 0xfffe
	s_and_not1_saveexec_b32 s1, s1
	s_cbranch_execz .LBB2014_183
; %bb.182:
	v_lshlrev_b32_e32 v15, 2, v0
	v_readfirstlane_b32 s4, v9
	v_readfirstlane_b32 s5, v10
	ds_load_b32 v16, v15 offset:3072
	s_wait_dscnt 0x0
	global_store_b32 v15, v16, s[4:5] offset:3072
.LBB2014_183:
	s_wait_alu 0xfffe
	s_or_b32 exec_lo, exec_lo, s1
.LBB2014_184:
	s_wait_alu 0xfffe
	s_and_not1_saveexec_b32 s0, s0
	s_cbranch_execz .LBB2014_186
; %bb.185:
	v_lshlrev_b32_e32 v15, 2, v0
	v_readfirstlane_b32 s4, v11
	v_readfirstlane_b32 s5, v12
	ds_load_b32 v16, v15 offset:3072
	s_wait_dscnt 0x0
	global_store_b32 v15, v16, s[4:5] offset:3072
.LBB2014_186:
	s_wait_alu 0xfffe
	s_or_b32 exec_lo, exec_lo, s0
	s_delay_alu instid0(SALU_CYCLE_1)
	s_mov_b32 s0, exec_lo
	v_cmpx_ge_u32_e64 v39, v5
	s_wait_alu 0xfffe
	s_xor_b32 s0, exec_lo, s0
	s_cbranch_execz .LBB2014_192
; %bb.187:
	s_mov_b32 s1, exec_lo
	v_cmpx_ge_u32_e64 v39, v14
	s_wait_alu 0xfffe
	s_xor_b32 s1, exec_lo, s1
	s_cbranch_execz .LBB2014_189
; %bb.188:
	v_lshlrev_b32_e32 v15, 2, v0
	ds_load_b32 v17, v15 offset:4096
	v_add_co_u32 v15, vcc_lo, v7, v0
	s_wait_alu 0xfffd
	v_add_co_ci_u32_e64 v16, null, 0, v13, vcc_lo
	s_delay_alu instid0(VALU_DEP_1) | instskip(NEXT) | instid1(VALU_DEP_1)
	v_lshlrev_b64_e32 v[15:16], 2, v[15:16]
	v_sub_co_u32 v15, vcc_lo, s14, v15
	s_wait_alu 0xfffd
	s_delay_alu instid0(VALU_DEP_2)
	v_sub_co_ci_u32_e64 v16, null, s15, v16, vcc_lo
	s_wait_dscnt 0x0
	global_store_b32 v[15:16], v17, off offset:-4100
.LBB2014_189:
	s_wait_alu 0xfffe
	s_and_not1_saveexec_b32 s1, s1
	s_cbranch_execz .LBB2014_191
; %bb.190:
	v_lshlrev_b32_e32 v15, 2, v0
	v_readfirstlane_b32 s4, v9
	v_readfirstlane_b32 s5, v10
	ds_load_b32 v16, v15 offset:4096
	s_wait_dscnt 0x0
	global_store_b32 v15, v16, s[4:5] offset:4096
.LBB2014_191:
	s_wait_alu 0xfffe
	s_or_b32 exec_lo, exec_lo, s1
.LBB2014_192:
	s_wait_alu 0xfffe
	s_and_not1_saveexec_b32 s0, s0
	s_cbranch_execz .LBB2014_194
; %bb.193:
	v_lshlrev_b32_e32 v15, 2, v0
	v_readfirstlane_b32 s4, v11
	v_readfirstlane_b32 s5, v12
	ds_load_b32 v16, v15 offset:4096
	s_wait_dscnt 0x0
	global_store_b32 v15, v16, s[4:5] offset:4096
.LBB2014_194:
	s_wait_alu 0xfffe
	s_or_b32 exec_lo, exec_lo, s0
	s_delay_alu instid0(SALU_CYCLE_1)
	s_mov_b32 s0, exec_lo
	v_cmpx_ge_u32_e64 v38, v5
	s_wait_alu 0xfffe
	s_xor_b32 s0, exec_lo, s0
	s_cbranch_execz .LBB2014_200
; %bb.195:
	s_mov_b32 s1, exec_lo
	v_cmpx_ge_u32_e64 v38, v14
	s_wait_alu 0xfffe
	s_xor_b32 s1, exec_lo, s1
	s_cbranch_execz .LBB2014_197
; %bb.196:
	v_lshlrev_b32_e32 v15, 2, v0
	ds_load_b32 v17, v15 offset:5120
	v_add_co_u32 v15, vcc_lo, v7, v0
	s_wait_alu 0xfffd
	v_add_co_ci_u32_e64 v16, null, 0, v13, vcc_lo
	s_delay_alu instid0(VALU_DEP_1) | instskip(NEXT) | instid1(VALU_DEP_1)
	v_lshlrev_b64_e32 v[15:16], 2, v[15:16]
	v_sub_co_u32 v15, vcc_lo, s14, v15
	s_wait_alu 0xfffd
	s_delay_alu instid0(VALU_DEP_2)
	v_sub_co_ci_u32_e64 v16, null, s15, v16, vcc_lo
	s_wait_dscnt 0x0
	global_store_b32 v[15:16], v17, off offset:-5124
.LBB2014_197:
	s_wait_alu 0xfffe
	s_and_not1_saveexec_b32 s1, s1
	s_cbranch_execz .LBB2014_199
; %bb.198:
	v_lshlrev_b32_e32 v15, 2, v0
	v_readfirstlane_b32 s4, v9
	v_readfirstlane_b32 s5, v10
	ds_load_b32 v16, v15 offset:5120
	s_wait_dscnt 0x0
	global_store_b32 v15, v16, s[4:5] offset:5120
.LBB2014_199:
	s_wait_alu 0xfffe
	s_or_b32 exec_lo, exec_lo, s1
.LBB2014_200:
	s_wait_alu 0xfffe
	s_and_not1_saveexec_b32 s0, s0
	s_cbranch_execz .LBB2014_202
; %bb.201:
	v_lshlrev_b32_e32 v15, 2, v0
	v_readfirstlane_b32 s4, v11
	v_readfirstlane_b32 s5, v12
	ds_load_b32 v16, v15 offset:5120
	s_wait_dscnt 0x0
	global_store_b32 v15, v16, s[4:5] offset:5120
.LBB2014_202:
	s_wait_alu 0xfffe
	s_or_b32 exec_lo, exec_lo, s0
	s_delay_alu instid0(SALU_CYCLE_1)
	s_mov_b32 s0, exec_lo
	v_cmpx_ge_u32_e64 v37, v5
	s_wait_alu 0xfffe
	s_xor_b32 s0, exec_lo, s0
	s_cbranch_execz .LBB2014_208
; %bb.203:
	s_mov_b32 s1, exec_lo
	v_cmpx_ge_u32_e64 v37, v14
	s_wait_alu 0xfffe
	s_xor_b32 s1, exec_lo, s1
	s_cbranch_execz .LBB2014_205
; %bb.204:
	v_lshlrev_b32_e32 v15, 2, v0
	ds_load_b32 v17, v15 offset:6144
	v_add_co_u32 v15, vcc_lo, v7, v0
	s_wait_alu 0xfffd
	v_add_co_ci_u32_e64 v16, null, 0, v13, vcc_lo
	s_delay_alu instid0(VALU_DEP_1) | instskip(NEXT) | instid1(VALU_DEP_1)
	v_lshlrev_b64_e32 v[15:16], 2, v[15:16]
	v_sub_co_u32 v15, vcc_lo, s14, v15
	s_wait_alu 0xfffd
	s_delay_alu instid0(VALU_DEP_2)
	v_sub_co_ci_u32_e64 v16, null, s15, v16, vcc_lo
	s_wait_dscnt 0x0
	global_store_b32 v[15:16], v17, off offset:-6148
.LBB2014_205:
	s_wait_alu 0xfffe
	s_and_not1_saveexec_b32 s1, s1
	s_cbranch_execz .LBB2014_207
; %bb.206:
	v_lshlrev_b32_e32 v15, 2, v0
	v_readfirstlane_b32 s4, v9
	v_readfirstlane_b32 s5, v10
	ds_load_b32 v16, v15 offset:6144
	s_wait_dscnt 0x0
	global_store_b32 v15, v16, s[4:5] offset:6144
.LBB2014_207:
	s_wait_alu 0xfffe
	s_or_b32 exec_lo, exec_lo, s1
.LBB2014_208:
	s_wait_alu 0xfffe
	s_and_not1_saveexec_b32 s0, s0
	s_cbranch_execz .LBB2014_210
; %bb.209:
	v_lshlrev_b32_e32 v15, 2, v0
	v_readfirstlane_b32 s4, v11
	v_readfirstlane_b32 s5, v12
	ds_load_b32 v16, v15 offset:6144
	s_wait_dscnt 0x0
	global_store_b32 v15, v16, s[4:5] offset:6144
.LBB2014_210:
	s_wait_alu 0xfffe
	s_or_b32 exec_lo, exec_lo, s0
	s_delay_alu instid0(SALU_CYCLE_1)
	s_mov_b32 s0, exec_lo
	v_cmpx_ge_u32_e64 v36, v5
	s_wait_alu 0xfffe
	s_xor_b32 s0, exec_lo, s0
	s_cbranch_execz .LBB2014_216
; %bb.211:
	s_mov_b32 s1, exec_lo
	v_cmpx_ge_u32_e64 v36, v14
	s_wait_alu 0xfffe
	s_xor_b32 s1, exec_lo, s1
	s_cbranch_execz .LBB2014_213
; %bb.212:
	v_lshlrev_b32_e32 v15, 2, v0
	ds_load_b32 v17, v15 offset:7168
	v_add_co_u32 v15, vcc_lo, v7, v0
	s_wait_alu 0xfffd
	v_add_co_ci_u32_e64 v16, null, 0, v13, vcc_lo
	s_delay_alu instid0(VALU_DEP_1) | instskip(NEXT) | instid1(VALU_DEP_1)
	v_lshlrev_b64_e32 v[15:16], 2, v[15:16]
	v_sub_co_u32 v15, vcc_lo, s14, v15
	s_wait_alu 0xfffd
	s_delay_alu instid0(VALU_DEP_2)
	v_sub_co_ci_u32_e64 v16, null, s15, v16, vcc_lo
	s_wait_dscnt 0x0
	global_store_b32 v[15:16], v17, off offset:-7172
.LBB2014_213:
	s_wait_alu 0xfffe
	s_and_not1_saveexec_b32 s1, s1
	s_cbranch_execz .LBB2014_215
; %bb.214:
	v_lshlrev_b32_e32 v15, 2, v0
	v_readfirstlane_b32 s4, v9
	v_readfirstlane_b32 s5, v10
	ds_load_b32 v16, v15 offset:7168
	s_wait_dscnt 0x0
	global_store_b32 v15, v16, s[4:5] offset:7168
.LBB2014_215:
	s_wait_alu 0xfffe
	s_or_b32 exec_lo, exec_lo, s1
.LBB2014_216:
	s_wait_alu 0xfffe
	s_and_not1_saveexec_b32 s0, s0
	s_cbranch_execz .LBB2014_218
; %bb.217:
	v_lshlrev_b32_e32 v15, 2, v0
	v_readfirstlane_b32 s4, v11
	v_readfirstlane_b32 s5, v12
	ds_load_b32 v16, v15 offset:7168
	s_wait_dscnt 0x0
	global_store_b32 v15, v16, s[4:5] offset:7168
.LBB2014_218:
	s_wait_alu 0xfffe
	s_or_b32 exec_lo, exec_lo, s0
	s_delay_alu instid0(SALU_CYCLE_1)
	s_mov_b32 s0, exec_lo
	v_cmpx_ge_u32_e64 v35, v5
	s_wait_alu 0xfffe
	s_xor_b32 s0, exec_lo, s0
	s_cbranch_execz .LBB2014_224
; %bb.219:
	s_mov_b32 s1, exec_lo
	v_cmpx_ge_u32_e64 v35, v14
	s_wait_alu 0xfffe
	s_xor_b32 s1, exec_lo, s1
	s_cbranch_execz .LBB2014_221
; %bb.220:
	v_lshlrev_b32_e32 v15, 2, v0
	ds_load_b32 v17, v15 offset:8192
	v_add_co_u32 v15, vcc_lo, v7, v0
	s_wait_alu 0xfffd
	v_add_co_ci_u32_e64 v16, null, 0, v13, vcc_lo
	s_delay_alu instid0(VALU_DEP_1) | instskip(NEXT) | instid1(VALU_DEP_1)
	v_lshlrev_b64_e32 v[15:16], 2, v[15:16]
	v_sub_co_u32 v15, vcc_lo, s14, v15
	s_wait_alu 0xfffd
	s_delay_alu instid0(VALU_DEP_2)
	v_sub_co_ci_u32_e64 v16, null, s15, v16, vcc_lo
	s_wait_dscnt 0x0
	global_store_b32 v[15:16], v17, off offset:-8196
.LBB2014_221:
	s_wait_alu 0xfffe
	s_and_not1_saveexec_b32 s1, s1
	s_cbranch_execz .LBB2014_223
; %bb.222:
	v_lshlrev_b32_e32 v15, 2, v0
	v_readfirstlane_b32 s4, v9
	v_readfirstlane_b32 s5, v10
	ds_load_b32 v16, v15 offset:8192
	s_wait_dscnt 0x0
	global_store_b32 v15, v16, s[4:5] offset:8192
.LBB2014_223:
	s_wait_alu 0xfffe
	s_or_b32 exec_lo, exec_lo, s1
.LBB2014_224:
	s_wait_alu 0xfffe
	s_and_not1_saveexec_b32 s0, s0
	s_cbranch_execz .LBB2014_226
; %bb.225:
	v_lshlrev_b32_e32 v15, 2, v0
	v_readfirstlane_b32 s4, v11
	v_readfirstlane_b32 s5, v12
	ds_load_b32 v16, v15 offset:8192
	s_wait_dscnt 0x0
	global_store_b32 v15, v16, s[4:5] offset:8192
.LBB2014_226:
	s_wait_alu 0xfffe
	s_or_b32 exec_lo, exec_lo, s0
	s_delay_alu instid0(SALU_CYCLE_1)
	s_mov_b32 s0, exec_lo
	v_cmpx_ge_u32_e64 v34, v5
	s_wait_alu 0xfffe
	s_xor_b32 s0, exec_lo, s0
	s_cbranch_execz .LBB2014_232
; %bb.227:
	s_mov_b32 s1, exec_lo
	v_cmpx_ge_u32_e64 v34, v14
	s_wait_alu 0xfffe
	s_xor_b32 s1, exec_lo, s1
	s_cbranch_execz .LBB2014_229
; %bb.228:
	v_lshlrev_b32_e32 v15, 2, v0
	ds_load_b32 v17, v15 offset:9216
	v_add_co_u32 v15, vcc_lo, v7, v0
	s_wait_alu 0xfffd
	v_add_co_ci_u32_e64 v16, null, 0, v13, vcc_lo
	s_delay_alu instid0(VALU_DEP_1) | instskip(NEXT) | instid1(VALU_DEP_1)
	v_lshlrev_b64_e32 v[15:16], 2, v[15:16]
	v_sub_co_u32 v15, vcc_lo, s14, v15
	s_wait_alu 0xfffd
	s_delay_alu instid0(VALU_DEP_2)
	v_sub_co_ci_u32_e64 v16, null, s15, v16, vcc_lo
	s_wait_dscnt 0x0
	global_store_b32 v[15:16], v17, off offset:-9220
.LBB2014_229:
	s_wait_alu 0xfffe
	s_and_not1_saveexec_b32 s1, s1
	s_cbranch_execz .LBB2014_231
; %bb.230:
	v_lshlrev_b32_e32 v15, 2, v0
	v_readfirstlane_b32 s4, v9
	v_readfirstlane_b32 s5, v10
	ds_load_b32 v16, v15 offset:9216
	s_wait_dscnt 0x0
	global_store_b32 v15, v16, s[4:5] offset:9216
.LBB2014_231:
	s_wait_alu 0xfffe
	s_or_b32 exec_lo, exec_lo, s1
.LBB2014_232:
	s_wait_alu 0xfffe
	s_and_not1_saveexec_b32 s0, s0
	s_cbranch_execz .LBB2014_234
; %bb.233:
	v_lshlrev_b32_e32 v15, 2, v0
	v_readfirstlane_b32 s4, v11
	v_readfirstlane_b32 s5, v12
	ds_load_b32 v16, v15 offset:9216
	s_wait_dscnt 0x0
	global_store_b32 v15, v16, s[4:5] offset:9216
.LBB2014_234:
	s_wait_alu 0xfffe
	s_or_b32 exec_lo, exec_lo, s0
	s_delay_alu instid0(SALU_CYCLE_1)
	s_mov_b32 s0, exec_lo
	v_cmpx_ge_u32_e64 v33, v5
	s_wait_alu 0xfffe
	s_xor_b32 s0, exec_lo, s0
	s_cbranch_execz .LBB2014_240
; %bb.235:
	s_mov_b32 s1, exec_lo
	v_cmpx_ge_u32_e64 v33, v14
	s_wait_alu 0xfffe
	s_xor_b32 s1, exec_lo, s1
	s_cbranch_execz .LBB2014_237
; %bb.236:
	v_lshlrev_b32_e32 v15, 2, v0
	ds_load_b32 v17, v15 offset:10240
	v_add_co_u32 v15, vcc_lo, v7, v0
	s_wait_alu 0xfffd
	v_add_co_ci_u32_e64 v16, null, 0, v13, vcc_lo
	s_delay_alu instid0(VALU_DEP_1) | instskip(NEXT) | instid1(VALU_DEP_1)
	v_lshlrev_b64_e32 v[15:16], 2, v[15:16]
	v_sub_co_u32 v15, vcc_lo, s14, v15
	s_wait_alu 0xfffd
	s_delay_alu instid0(VALU_DEP_2)
	v_sub_co_ci_u32_e64 v16, null, s15, v16, vcc_lo
	s_wait_dscnt 0x0
	global_store_b32 v[15:16], v17, off offset:-10244
.LBB2014_237:
	s_wait_alu 0xfffe
	s_and_not1_saveexec_b32 s1, s1
	s_cbranch_execz .LBB2014_239
; %bb.238:
	v_lshlrev_b32_e32 v15, 2, v0
	v_readfirstlane_b32 s4, v9
	v_readfirstlane_b32 s5, v10
	ds_load_b32 v16, v15 offset:10240
	s_wait_dscnt 0x0
	global_store_b32 v15, v16, s[4:5] offset:10240
.LBB2014_239:
	s_wait_alu 0xfffe
	s_or_b32 exec_lo, exec_lo, s1
.LBB2014_240:
	s_wait_alu 0xfffe
	s_and_not1_saveexec_b32 s0, s0
	s_cbranch_execz .LBB2014_242
; %bb.241:
	v_lshlrev_b32_e32 v15, 2, v0
	v_readfirstlane_b32 s4, v11
	v_readfirstlane_b32 s5, v12
	ds_load_b32 v16, v15 offset:10240
	s_wait_dscnt 0x0
	global_store_b32 v15, v16, s[4:5] offset:10240
.LBB2014_242:
	s_wait_alu 0xfffe
	s_or_b32 exec_lo, exec_lo, s0
	s_delay_alu instid0(SALU_CYCLE_1)
	s_mov_b32 s0, exec_lo
	v_cmpx_ge_u32_e64 v32, v5
	s_wait_alu 0xfffe
	s_xor_b32 s0, exec_lo, s0
	s_cbranch_execz .LBB2014_248
; %bb.243:
	s_mov_b32 s1, exec_lo
	v_cmpx_ge_u32_e64 v32, v14
	s_wait_alu 0xfffe
	s_xor_b32 s1, exec_lo, s1
	s_cbranch_execz .LBB2014_245
; %bb.244:
	v_lshlrev_b32_e32 v15, 2, v0
	ds_load_b32 v17, v15 offset:11264
	v_add_co_u32 v15, vcc_lo, v7, v0
	s_wait_alu 0xfffd
	v_add_co_ci_u32_e64 v16, null, 0, v13, vcc_lo
	s_delay_alu instid0(VALU_DEP_1) | instskip(NEXT) | instid1(VALU_DEP_1)
	v_lshlrev_b64_e32 v[15:16], 2, v[15:16]
	v_sub_co_u32 v15, vcc_lo, s14, v15
	s_wait_alu 0xfffd
	s_delay_alu instid0(VALU_DEP_2)
	v_sub_co_ci_u32_e64 v16, null, s15, v16, vcc_lo
	s_wait_dscnt 0x0
	global_store_b32 v[15:16], v17, off offset:-11268
.LBB2014_245:
	s_wait_alu 0xfffe
	s_and_not1_saveexec_b32 s1, s1
	s_cbranch_execz .LBB2014_247
; %bb.246:
	v_lshlrev_b32_e32 v15, 2, v0
	v_readfirstlane_b32 s4, v9
	v_readfirstlane_b32 s5, v10
	ds_load_b32 v16, v15 offset:11264
	s_wait_dscnt 0x0
	global_store_b32 v15, v16, s[4:5] offset:11264
.LBB2014_247:
	s_wait_alu 0xfffe
	s_or_b32 exec_lo, exec_lo, s1
.LBB2014_248:
	s_wait_alu 0xfffe
	s_and_not1_saveexec_b32 s0, s0
	s_cbranch_execz .LBB2014_250
; %bb.249:
	v_lshlrev_b32_e32 v15, 2, v0
	v_readfirstlane_b32 s4, v11
	v_readfirstlane_b32 s5, v12
	ds_load_b32 v16, v15 offset:11264
	s_wait_dscnt 0x0
	global_store_b32 v15, v16, s[4:5] offset:11264
.LBB2014_250:
	s_wait_alu 0xfffe
	s_or_b32 exec_lo, exec_lo, s0
	s_delay_alu instid0(SALU_CYCLE_1)
	s_mov_b32 s0, exec_lo
	v_cmpx_ge_u32_e64 v31, v5
	s_wait_alu 0xfffe
	s_xor_b32 s0, exec_lo, s0
	s_cbranch_execz .LBB2014_256
; %bb.251:
	s_mov_b32 s1, exec_lo
	v_cmpx_ge_u32_e64 v31, v14
	s_wait_alu 0xfffe
	s_xor_b32 s1, exec_lo, s1
	s_cbranch_execz .LBB2014_253
; %bb.252:
	v_lshlrev_b32_e32 v15, 2, v0
	ds_load_b32 v17, v15 offset:12288
	v_add_co_u32 v15, vcc_lo, v7, v0
	s_wait_alu 0xfffd
	v_add_co_ci_u32_e64 v16, null, 0, v13, vcc_lo
	s_delay_alu instid0(VALU_DEP_1) | instskip(NEXT) | instid1(VALU_DEP_1)
	v_lshlrev_b64_e32 v[15:16], 2, v[15:16]
	v_sub_co_u32 v15, vcc_lo, s14, v15
	s_wait_alu 0xfffd
	s_delay_alu instid0(VALU_DEP_2)
	v_sub_co_ci_u32_e64 v16, null, s15, v16, vcc_lo
	s_wait_dscnt 0x0
	global_store_b32 v[15:16], v17, off offset:-12292
.LBB2014_253:
	s_wait_alu 0xfffe
	s_and_not1_saveexec_b32 s1, s1
	s_cbranch_execz .LBB2014_255
; %bb.254:
	v_lshlrev_b32_e32 v15, 2, v0
	v_readfirstlane_b32 s4, v9
	v_readfirstlane_b32 s5, v10
	ds_load_b32 v16, v15 offset:12288
	s_wait_dscnt 0x0
	global_store_b32 v15, v16, s[4:5] offset:12288
.LBB2014_255:
	s_wait_alu 0xfffe
	s_or_b32 exec_lo, exec_lo, s1
.LBB2014_256:
	s_wait_alu 0xfffe
	s_and_not1_saveexec_b32 s0, s0
	s_cbranch_execz .LBB2014_258
; %bb.257:
	v_lshlrev_b32_e32 v15, 2, v0
	v_readfirstlane_b32 s4, v11
	v_readfirstlane_b32 s5, v12
	ds_load_b32 v16, v15 offset:12288
	s_wait_dscnt 0x0
	global_store_b32 v15, v16, s[4:5] offset:12288
.LBB2014_258:
	s_wait_alu 0xfffe
	s_or_b32 exec_lo, exec_lo, s0
	s_branch .LBB2014_152
.LBB2014_259:
	s_mov_b32 s0, exec_lo
	v_cmpx_gt_u32_e64 s27, v0
	s_cbranch_execz .LBB2014_268
; %bb.260:
	s_mov_b32 s1, exec_lo
	v_cmpx_ge_u32_e64 v0, v5
	s_wait_alu 0xfffe
	s_xor_b32 s1, exec_lo, s1
	s_cbranch_execz .LBB2014_266
; %bb.261:
	s_mov_b32 s3, exec_lo
	v_cmpx_ge_u32_e64 v0, v14
	s_wait_alu 0xfffe
	s_xor_b32 s3, exec_lo, s3
	s_cbranch_execz .LBB2014_263
; %bb.262:
	v_lshlrev_b32_e32 v15, 2, v0
	ds_load_b32 v17, v15
	v_add_co_u32 v15, vcc_lo, v7, v0
	s_wait_alu 0xfffd
	v_add_co_ci_u32_e64 v16, null, 0, v13, vcc_lo
	s_delay_alu instid0(VALU_DEP_1) | instskip(NEXT) | instid1(VALU_DEP_1)
	v_lshlrev_b64_e32 v[15:16], 2, v[15:16]
	v_sub_co_u32 v15, vcc_lo, s14, v15
	s_wait_alu 0xfffd
	s_delay_alu instid0(VALU_DEP_2)
	v_sub_co_ci_u32_e64 v16, null, s15, v16, vcc_lo
	s_wait_dscnt 0x0
	global_store_b32 v[15:16], v17, off offset:-4
.LBB2014_263:
	s_wait_alu 0xfffe
	s_and_not1_saveexec_b32 s3, s3
	s_cbranch_execz .LBB2014_265
; %bb.264:
	v_lshlrev_b32_e32 v15, 2, v0
	v_readfirstlane_b32 s4, v9
	v_readfirstlane_b32 s5, v10
	ds_load_b32 v16, v15
	s_wait_dscnt 0x0
	global_store_b32 v15, v16, s[4:5]
.LBB2014_265:
	s_wait_alu 0xfffe
	s_or_b32 exec_lo, exec_lo, s3
.LBB2014_266:
	s_wait_alu 0xfffe
	s_and_not1_saveexec_b32 s1, s1
	s_cbranch_execz .LBB2014_268
; %bb.267:
	v_lshlrev_b32_e32 v15, 2, v0
	v_readfirstlane_b32 s4, v11
	v_readfirstlane_b32 s5, v12
	ds_load_b32 v16, v15
	s_wait_dscnt 0x0
	global_store_b32 v15, v16, s[4:5]
.LBB2014_268:
	s_wait_alu 0xfffe
	s_or_b32 exec_lo, exec_lo, s0
	s_delay_alu instid0(SALU_CYCLE_1)
	s_mov_b32 s0, exec_lo
	v_cmpx_gt_u32_e64 s27, v42
	s_cbranch_execz .LBB2014_277
; %bb.269:
	s_mov_b32 s1, exec_lo
	v_cmpx_ge_u32_e64 v42, v5
	s_wait_alu 0xfffe
	s_xor_b32 s1, exec_lo, s1
	s_cbranch_execz .LBB2014_275
; %bb.270:
	s_mov_b32 s3, exec_lo
	v_cmpx_ge_u32_e64 v42, v14
	s_wait_alu 0xfffe
	s_xor_b32 s3, exec_lo, s3
	s_cbranch_execz .LBB2014_272
; %bb.271:
	v_lshlrev_b32_e32 v15, 2, v0
	ds_load_b32 v17, v15 offset:1024
	v_add_co_u32 v15, vcc_lo, v7, v0
	s_wait_alu 0xfffd
	v_add_co_ci_u32_e64 v16, null, 0, v13, vcc_lo
	s_delay_alu instid0(VALU_DEP_1) | instskip(NEXT) | instid1(VALU_DEP_1)
	v_lshlrev_b64_e32 v[15:16], 2, v[15:16]
	v_sub_co_u32 v15, vcc_lo, s14, v15
	s_wait_alu 0xfffd
	s_delay_alu instid0(VALU_DEP_2)
	v_sub_co_ci_u32_e64 v16, null, s15, v16, vcc_lo
	s_wait_dscnt 0x0
	global_store_b32 v[15:16], v17, off offset:-1028
.LBB2014_272:
	s_wait_alu 0xfffe
	s_and_not1_saveexec_b32 s3, s3
	s_cbranch_execz .LBB2014_274
; %bb.273:
	v_lshlrev_b32_e32 v15, 2, v0
	v_readfirstlane_b32 s4, v9
	v_readfirstlane_b32 s5, v10
	ds_load_b32 v16, v15 offset:1024
	s_wait_dscnt 0x0
	global_store_b32 v15, v16, s[4:5] offset:1024
.LBB2014_274:
	s_wait_alu 0xfffe
	s_or_b32 exec_lo, exec_lo, s3
.LBB2014_275:
	s_wait_alu 0xfffe
	s_and_not1_saveexec_b32 s1, s1
	s_cbranch_execz .LBB2014_277
; %bb.276:
	v_lshlrev_b32_e32 v15, 2, v0
	v_readfirstlane_b32 s4, v11
	v_readfirstlane_b32 s5, v12
	ds_load_b32 v16, v15 offset:1024
	s_wait_dscnt 0x0
	global_store_b32 v15, v16, s[4:5] offset:1024
.LBB2014_277:
	s_wait_alu 0xfffe
	s_or_b32 exec_lo, exec_lo, s0
	s_delay_alu instid0(SALU_CYCLE_1)
	s_mov_b32 s0, exec_lo
	v_cmpx_gt_u32_e64 s27, v41
	s_cbranch_execz .LBB2014_286
; %bb.278:
	s_mov_b32 s1, exec_lo
	v_cmpx_ge_u32_e64 v41, v5
	s_wait_alu 0xfffe
	s_xor_b32 s1, exec_lo, s1
	s_cbranch_execz .LBB2014_284
; %bb.279:
	s_mov_b32 s3, exec_lo
	v_cmpx_ge_u32_e64 v41, v14
	s_wait_alu 0xfffe
	s_xor_b32 s3, exec_lo, s3
	s_cbranch_execz .LBB2014_281
; %bb.280:
	v_lshlrev_b32_e32 v15, 2, v0
	ds_load_b32 v17, v15 offset:2048
	v_add_co_u32 v15, vcc_lo, v7, v0
	s_wait_alu 0xfffd
	v_add_co_ci_u32_e64 v16, null, 0, v13, vcc_lo
	s_delay_alu instid0(VALU_DEP_1) | instskip(NEXT) | instid1(VALU_DEP_1)
	v_lshlrev_b64_e32 v[15:16], 2, v[15:16]
	v_sub_co_u32 v15, vcc_lo, s14, v15
	s_wait_alu 0xfffd
	s_delay_alu instid0(VALU_DEP_2)
	v_sub_co_ci_u32_e64 v16, null, s15, v16, vcc_lo
	s_wait_dscnt 0x0
	global_store_b32 v[15:16], v17, off offset:-2052
.LBB2014_281:
	s_wait_alu 0xfffe
	s_and_not1_saveexec_b32 s3, s3
	s_cbranch_execz .LBB2014_283
; %bb.282:
	v_lshlrev_b32_e32 v15, 2, v0
	v_readfirstlane_b32 s4, v9
	v_readfirstlane_b32 s5, v10
	ds_load_b32 v16, v15 offset:2048
	s_wait_dscnt 0x0
	global_store_b32 v15, v16, s[4:5] offset:2048
.LBB2014_283:
	s_wait_alu 0xfffe
	s_or_b32 exec_lo, exec_lo, s3
.LBB2014_284:
	s_wait_alu 0xfffe
	s_and_not1_saveexec_b32 s1, s1
	s_cbranch_execz .LBB2014_286
; %bb.285:
	v_lshlrev_b32_e32 v15, 2, v0
	v_readfirstlane_b32 s4, v11
	v_readfirstlane_b32 s5, v12
	ds_load_b32 v16, v15 offset:2048
	s_wait_dscnt 0x0
	global_store_b32 v15, v16, s[4:5] offset:2048
.LBB2014_286:
	;; [unrolled: 58-line block ×11, first 2 shown]
	s_wait_alu 0xfffe
	s_or_b32 exec_lo, exec_lo, s0
	s_delay_alu instid0(SALU_CYCLE_1)
	s_mov_b32 s0, exec_lo
	v_cmpx_gt_u32_e64 s27, v31
	s_cbranch_execz .LBB2014_376
; %bb.368:
	s_mov_b32 s1, exec_lo
	v_cmpx_ge_u32_e64 v31, v5
	s_wait_alu 0xfffe
	s_xor_b32 s1, exec_lo, s1
	s_cbranch_execz .LBB2014_374
; %bb.369:
	s_mov_b32 s3, exec_lo
	v_cmpx_ge_u32_e64 v31, v14
	s_wait_alu 0xfffe
	s_xor_b32 s3, exec_lo, s3
	s_cbranch_execz .LBB2014_371
; %bb.370:
	v_lshlrev_b32_e32 v9, 2, v0
	ds_load_b32 v11, v9 offset:12288
	v_add_co_u32 v9, vcc_lo, v7, v0
	s_wait_alu 0xfffd
	v_add_co_ci_u32_e64 v10, null, 0, v13, vcc_lo
                                        ; implicit-def: $vgpr0
	s_delay_alu instid0(VALU_DEP_1) | instskip(NEXT) | instid1(VALU_DEP_1)
	v_lshlrev_b64_e32 v[9:10], 2, v[9:10]
	v_sub_co_u32 v9, vcc_lo, s14, v9
	s_wait_alu 0xfffd
	s_delay_alu instid0(VALU_DEP_2)
	v_sub_co_ci_u32_e64 v10, null, s15, v10, vcc_lo
	s_wait_dscnt 0x0
	global_store_b32 v[9:10], v11, off offset:-12292
                                        ; implicit-def: $vgpr9_vgpr10
.LBB2014_371:
	s_wait_alu 0xfffe
	s_and_not1_saveexec_b32 s3, s3
	s_cbranch_execz .LBB2014_373
; %bb.372:
	v_lshlrev_b32_e32 v0, 2, v0
	v_readfirstlane_b32 s4, v9
	v_readfirstlane_b32 s5, v10
	ds_load_b32 v7, v0 offset:12288
	s_wait_dscnt 0x0
	global_store_b32 v0, v7, s[4:5] offset:12288
.LBB2014_373:
	s_wait_alu 0xfffe
	s_or_b32 exec_lo, exec_lo, s3
                                        ; implicit-def: $vgpr0
                                        ; implicit-def: $vgpr11_vgpr12
.LBB2014_374:
	s_wait_alu 0xfffe
	s_and_not1_saveexec_b32 s1, s1
	s_cbranch_execz .LBB2014_376
; %bb.375:
	v_lshlrev_b32_e32 v0, 2, v0
	v_readfirstlane_b32 s4, v11
	v_readfirstlane_b32 s5, v12
	ds_load_b32 v7, v0 offset:12288
	s_wait_dscnt 0x0
	global_store_b32 v0, v7, s[4:5] offset:12288
.LBB2014_376:
	s_wait_alu 0xfffe
	s_or_b32 exec_lo, exec_lo, s0
	s_and_b32 s0, s2, s26
	s_wait_alu 0xfffe
	s_and_saveexec_b32 s1, s0
	s_cbranch_execz .LBB2014_153
.LBB2014_377:
	v_add_co_u32 v0, vcc_lo, v3, v6
	s_wait_alu 0xfffd
	v_add_co_ci_u32_e64 v4, null, 0, v4, vcc_lo
	v_mov_b32_e32 v6, 0
	s_delay_alu instid0(VALU_DEP_3) | instskip(SKIP_1) | instid1(VALU_DEP_3)
	v_add_co_u32 v3, vcc_lo, v0, v8
	s_wait_alu 0xfffd
	v_add_co_ci_u32_e64 v4, null, 0, v4, vcc_lo
	v_add_co_u32 v1, vcc_lo, v1, v5
	s_wait_alu 0xfffd
	v_add_co_ci_u32_e64 v2, null, 0, v2, vcc_lo
	global_store_b128 v6, v[1:4], s[24:25]
	s_nop 0
	s_sendmsg sendmsg(MSG_DEALLOC_VGPRS)
	s_endpgm
.LBB2014_378:
	s_add_co_i32 s6, s33, 32
	s_mov_b32 s7, 0
	v_dual_mov_b32 v11, 2 :: v_dual_add_nc_u32 v10, v8, v6
	s_wait_alu 0xfffe
	s_lshl_b64 s[6:7], s[6:7], 4
	v_dual_mov_b32 v12, 0 :: v_dual_add_nc_u32 v9, v7, v5
	s_wait_alu 0xfffe
	s_add_nc_u64 s[6:7], s[36:37], s[6:7]
	s_wait_alu 0xfffe
	v_dual_mov_b32 v28, s7 :: v_dual_mov_b32 v27, s6
	;;#ASMSTART
	global_store_b128 v[27:28], v[9:12] off scope:SCOPE_DEV	
s_wait_storecnt 0x0
	;;#ASMEND
	s_or_b32 exec_lo, exec_lo, s5
	s_and_saveexec_b32 s5, s3
	s_cbranch_execz .LBB2014_138
.LBB2014_379:
	v_mov_b32_e32 v9, 0
	ds_store_b128 v9, v[5:8] offset:13312
	s_wait_alu 0xfffe
	s_or_b32 exec_lo, exec_lo, s5
	s_delay_alu instid0(SALU_CYCLE_1)
	s_and_b32 exec_lo, exec_lo, s2
	s_cbranch_execnz .LBB2014_139
	s_branch .LBB2014_140
	.section	.rodata,"a",@progbits
	.p2align	6, 0x0
	.amdhsa_kernel _ZN7rocprim17ROCPRIM_400000_NS6detail17trampoline_kernelINS0_13select_configILj256ELj13ELNS0_17block_load_methodE3ELS4_3ELS4_3ELNS0_20block_scan_algorithmE0ELj4294967295EEENS1_25partition_config_selectorILNS1_17partition_subalgoE4EjNS0_10empty_typeEbEEZZNS1_14partition_implILS8_4ELb0ES6_15HIP_vector_typeIjLj2EENS0_17counting_iteratorIjlEEPS9_SG_NS0_5tupleIJPjSI_NS0_16reverse_iteratorISI_EEEEENSH_IJSG_SG_SG_EEES9_SI_JZNS1_25segmented_radix_sort_implINS0_14default_configELb0EPK12hip_bfloat16PSP_PKlPlN2at6native12_GLOBAL__N_18offset_tEEE10hipError_tPvRmT1_PNSt15iterator_traitsIS13_E10value_typeET2_T3_PNS14_IS19_E10value_typeET4_jRbjT5_S1F_jjP12ihipStream_tbEUljE_ZNSN_ISO_Lb0ESR_SS_SU_SV_SZ_EES10_S11_S12_S13_S17_S18_S19_S1C_S1D_jS1E_jS1F_S1F_jjS1H_bEUljE0_EEES10_S11_S12_S19_S1D_S1F_T6_T7_T9_mT8_S1H_bDpT10_ENKUlT_T0_E_clISt17integral_constantIbLb0EES1U_IbLb1EEEEDaS1Q_S1R_EUlS1Q_E_NS1_11comp_targetILNS1_3genE10ELNS1_11target_archE1200ELNS1_3gpuE4ELNS1_3repE0EEENS1_30default_config_static_selectorELNS0_4arch9wavefront6targetE0EEEvS13_
		.amdhsa_group_segment_fixed_size 13328
		.amdhsa_private_segment_fixed_size 0
		.amdhsa_kernarg_size 184
		.amdhsa_user_sgpr_count 2
		.amdhsa_user_sgpr_dispatch_ptr 0
		.amdhsa_user_sgpr_queue_ptr 0
		.amdhsa_user_sgpr_kernarg_segment_ptr 1
		.amdhsa_user_sgpr_dispatch_id 0
		.amdhsa_user_sgpr_private_segment_size 0
		.amdhsa_wavefront_size32 1
		.amdhsa_uses_dynamic_stack 0
		.amdhsa_enable_private_segment 0
		.amdhsa_system_sgpr_workgroup_id_x 1
		.amdhsa_system_sgpr_workgroup_id_y 0
		.amdhsa_system_sgpr_workgroup_id_z 0
		.amdhsa_system_sgpr_workgroup_info 0
		.amdhsa_system_vgpr_workitem_id 0
		.amdhsa_next_free_vgpr 98
		.amdhsa_next_free_sgpr 55
		.amdhsa_reserve_vcc 1
		.amdhsa_float_round_mode_32 0
		.amdhsa_float_round_mode_16_64 0
		.amdhsa_float_denorm_mode_32 3
		.amdhsa_float_denorm_mode_16_64 3
		.amdhsa_fp16_overflow 0
		.amdhsa_workgroup_processor_mode 1
		.amdhsa_memory_ordered 1
		.amdhsa_forward_progress 1
		.amdhsa_inst_pref_size 151
		.amdhsa_round_robin_scheduling 0
		.amdhsa_exception_fp_ieee_invalid_op 0
		.amdhsa_exception_fp_denorm_src 0
		.amdhsa_exception_fp_ieee_div_zero 0
		.amdhsa_exception_fp_ieee_overflow 0
		.amdhsa_exception_fp_ieee_underflow 0
		.amdhsa_exception_fp_ieee_inexact 0
		.amdhsa_exception_int_div_zero 0
	.end_amdhsa_kernel
	.section	.text._ZN7rocprim17ROCPRIM_400000_NS6detail17trampoline_kernelINS0_13select_configILj256ELj13ELNS0_17block_load_methodE3ELS4_3ELS4_3ELNS0_20block_scan_algorithmE0ELj4294967295EEENS1_25partition_config_selectorILNS1_17partition_subalgoE4EjNS0_10empty_typeEbEEZZNS1_14partition_implILS8_4ELb0ES6_15HIP_vector_typeIjLj2EENS0_17counting_iteratorIjlEEPS9_SG_NS0_5tupleIJPjSI_NS0_16reverse_iteratorISI_EEEEENSH_IJSG_SG_SG_EEES9_SI_JZNS1_25segmented_radix_sort_implINS0_14default_configELb0EPK12hip_bfloat16PSP_PKlPlN2at6native12_GLOBAL__N_18offset_tEEE10hipError_tPvRmT1_PNSt15iterator_traitsIS13_E10value_typeET2_T3_PNS14_IS19_E10value_typeET4_jRbjT5_S1F_jjP12ihipStream_tbEUljE_ZNSN_ISO_Lb0ESR_SS_SU_SV_SZ_EES10_S11_S12_S13_S17_S18_S19_S1C_S1D_jS1E_jS1F_S1F_jjS1H_bEUljE0_EEES10_S11_S12_S19_S1D_S1F_T6_T7_T9_mT8_S1H_bDpT10_ENKUlT_T0_E_clISt17integral_constantIbLb0EES1U_IbLb1EEEEDaS1Q_S1R_EUlS1Q_E_NS1_11comp_targetILNS1_3genE10ELNS1_11target_archE1200ELNS1_3gpuE4ELNS1_3repE0EEENS1_30default_config_static_selectorELNS0_4arch9wavefront6targetE0EEEvS13_,"axG",@progbits,_ZN7rocprim17ROCPRIM_400000_NS6detail17trampoline_kernelINS0_13select_configILj256ELj13ELNS0_17block_load_methodE3ELS4_3ELS4_3ELNS0_20block_scan_algorithmE0ELj4294967295EEENS1_25partition_config_selectorILNS1_17partition_subalgoE4EjNS0_10empty_typeEbEEZZNS1_14partition_implILS8_4ELb0ES6_15HIP_vector_typeIjLj2EENS0_17counting_iteratorIjlEEPS9_SG_NS0_5tupleIJPjSI_NS0_16reverse_iteratorISI_EEEEENSH_IJSG_SG_SG_EEES9_SI_JZNS1_25segmented_radix_sort_implINS0_14default_configELb0EPK12hip_bfloat16PSP_PKlPlN2at6native12_GLOBAL__N_18offset_tEEE10hipError_tPvRmT1_PNSt15iterator_traitsIS13_E10value_typeET2_T3_PNS14_IS19_E10value_typeET4_jRbjT5_S1F_jjP12ihipStream_tbEUljE_ZNSN_ISO_Lb0ESR_SS_SU_SV_SZ_EES10_S11_S12_S13_S17_S18_S19_S1C_S1D_jS1E_jS1F_S1F_jjS1H_bEUljE0_EEES10_S11_S12_S19_S1D_S1F_T6_T7_T9_mT8_S1H_bDpT10_ENKUlT_T0_E_clISt17integral_constantIbLb0EES1U_IbLb1EEEEDaS1Q_S1R_EUlS1Q_E_NS1_11comp_targetILNS1_3genE10ELNS1_11target_archE1200ELNS1_3gpuE4ELNS1_3repE0EEENS1_30default_config_static_selectorELNS0_4arch9wavefront6targetE0EEEvS13_,comdat
.Lfunc_end2014:
	.size	_ZN7rocprim17ROCPRIM_400000_NS6detail17trampoline_kernelINS0_13select_configILj256ELj13ELNS0_17block_load_methodE3ELS4_3ELS4_3ELNS0_20block_scan_algorithmE0ELj4294967295EEENS1_25partition_config_selectorILNS1_17partition_subalgoE4EjNS0_10empty_typeEbEEZZNS1_14partition_implILS8_4ELb0ES6_15HIP_vector_typeIjLj2EENS0_17counting_iteratorIjlEEPS9_SG_NS0_5tupleIJPjSI_NS0_16reverse_iteratorISI_EEEEENSH_IJSG_SG_SG_EEES9_SI_JZNS1_25segmented_radix_sort_implINS0_14default_configELb0EPK12hip_bfloat16PSP_PKlPlN2at6native12_GLOBAL__N_18offset_tEEE10hipError_tPvRmT1_PNSt15iterator_traitsIS13_E10value_typeET2_T3_PNS14_IS19_E10value_typeET4_jRbjT5_S1F_jjP12ihipStream_tbEUljE_ZNSN_ISO_Lb0ESR_SS_SU_SV_SZ_EES10_S11_S12_S13_S17_S18_S19_S1C_S1D_jS1E_jS1F_S1F_jjS1H_bEUljE0_EEES10_S11_S12_S19_S1D_S1F_T6_T7_T9_mT8_S1H_bDpT10_ENKUlT_T0_E_clISt17integral_constantIbLb0EES1U_IbLb1EEEEDaS1Q_S1R_EUlS1Q_E_NS1_11comp_targetILNS1_3genE10ELNS1_11target_archE1200ELNS1_3gpuE4ELNS1_3repE0EEENS1_30default_config_static_selectorELNS0_4arch9wavefront6targetE0EEEvS13_, .Lfunc_end2014-_ZN7rocprim17ROCPRIM_400000_NS6detail17trampoline_kernelINS0_13select_configILj256ELj13ELNS0_17block_load_methodE3ELS4_3ELS4_3ELNS0_20block_scan_algorithmE0ELj4294967295EEENS1_25partition_config_selectorILNS1_17partition_subalgoE4EjNS0_10empty_typeEbEEZZNS1_14partition_implILS8_4ELb0ES6_15HIP_vector_typeIjLj2EENS0_17counting_iteratorIjlEEPS9_SG_NS0_5tupleIJPjSI_NS0_16reverse_iteratorISI_EEEEENSH_IJSG_SG_SG_EEES9_SI_JZNS1_25segmented_radix_sort_implINS0_14default_configELb0EPK12hip_bfloat16PSP_PKlPlN2at6native12_GLOBAL__N_18offset_tEEE10hipError_tPvRmT1_PNSt15iterator_traitsIS13_E10value_typeET2_T3_PNS14_IS19_E10value_typeET4_jRbjT5_S1F_jjP12ihipStream_tbEUljE_ZNSN_ISO_Lb0ESR_SS_SU_SV_SZ_EES10_S11_S12_S13_S17_S18_S19_S1C_S1D_jS1E_jS1F_S1F_jjS1H_bEUljE0_EEES10_S11_S12_S19_S1D_S1F_T6_T7_T9_mT8_S1H_bDpT10_ENKUlT_T0_E_clISt17integral_constantIbLb0EES1U_IbLb1EEEEDaS1Q_S1R_EUlS1Q_E_NS1_11comp_targetILNS1_3genE10ELNS1_11target_archE1200ELNS1_3gpuE4ELNS1_3repE0EEENS1_30default_config_static_selectorELNS0_4arch9wavefront6targetE0EEEvS13_
                                        ; -- End function
	.set _ZN7rocprim17ROCPRIM_400000_NS6detail17trampoline_kernelINS0_13select_configILj256ELj13ELNS0_17block_load_methodE3ELS4_3ELS4_3ELNS0_20block_scan_algorithmE0ELj4294967295EEENS1_25partition_config_selectorILNS1_17partition_subalgoE4EjNS0_10empty_typeEbEEZZNS1_14partition_implILS8_4ELb0ES6_15HIP_vector_typeIjLj2EENS0_17counting_iteratorIjlEEPS9_SG_NS0_5tupleIJPjSI_NS0_16reverse_iteratorISI_EEEEENSH_IJSG_SG_SG_EEES9_SI_JZNS1_25segmented_radix_sort_implINS0_14default_configELb0EPK12hip_bfloat16PSP_PKlPlN2at6native12_GLOBAL__N_18offset_tEEE10hipError_tPvRmT1_PNSt15iterator_traitsIS13_E10value_typeET2_T3_PNS14_IS19_E10value_typeET4_jRbjT5_S1F_jjP12ihipStream_tbEUljE_ZNSN_ISO_Lb0ESR_SS_SU_SV_SZ_EES10_S11_S12_S13_S17_S18_S19_S1C_S1D_jS1E_jS1F_S1F_jjS1H_bEUljE0_EEES10_S11_S12_S19_S1D_S1F_T6_T7_T9_mT8_S1H_bDpT10_ENKUlT_T0_E_clISt17integral_constantIbLb0EES1U_IbLb1EEEEDaS1Q_S1R_EUlS1Q_E_NS1_11comp_targetILNS1_3genE10ELNS1_11target_archE1200ELNS1_3gpuE4ELNS1_3repE0EEENS1_30default_config_static_selectorELNS0_4arch9wavefront6targetE0EEEvS13_.num_vgpr, 98
	.set _ZN7rocprim17ROCPRIM_400000_NS6detail17trampoline_kernelINS0_13select_configILj256ELj13ELNS0_17block_load_methodE3ELS4_3ELS4_3ELNS0_20block_scan_algorithmE0ELj4294967295EEENS1_25partition_config_selectorILNS1_17partition_subalgoE4EjNS0_10empty_typeEbEEZZNS1_14partition_implILS8_4ELb0ES6_15HIP_vector_typeIjLj2EENS0_17counting_iteratorIjlEEPS9_SG_NS0_5tupleIJPjSI_NS0_16reverse_iteratorISI_EEEEENSH_IJSG_SG_SG_EEES9_SI_JZNS1_25segmented_radix_sort_implINS0_14default_configELb0EPK12hip_bfloat16PSP_PKlPlN2at6native12_GLOBAL__N_18offset_tEEE10hipError_tPvRmT1_PNSt15iterator_traitsIS13_E10value_typeET2_T3_PNS14_IS19_E10value_typeET4_jRbjT5_S1F_jjP12ihipStream_tbEUljE_ZNSN_ISO_Lb0ESR_SS_SU_SV_SZ_EES10_S11_S12_S13_S17_S18_S19_S1C_S1D_jS1E_jS1F_S1F_jjS1H_bEUljE0_EEES10_S11_S12_S19_S1D_S1F_T6_T7_T9_mT8_S1H_bDpT10_ENKUlT_T0_E_clISt17integral_constantIbLb0EES1U_IbLb1EEEEDaS1Q_S1R_EUlS1Q_E_NS1_11comp_targetILNS1_3genE10ELNS1_11target_archE1200ELNS1_3gpuE4ELNS1_3repE0EEENS1_30default_config_static_selectorELNS0_4arch9wavefront6targetE0EEEvS13_.num_agpr, 0
	.set _ZN7rocprim17ROCPRIM_400000_NS6detail17trampoline_kernelINS0_13select_configILj256ELj13ELNS0_17block_load_methodE3ELS4_3ELS4_3ELNS0_20block_scan_algorithmE0ELj4294967295EEENS1_25partition_config_selectorILNS1_17partition_subalgoE4EjNS0_10empty_typeEbEEZZNS1_14partition_implILS8_4ELb0ES6_15HIP_vector_typeIjLj2EENS0_17counting_iteratorIjlEEPS9_SG_NS0_5tupleIJPjSI_NS0_16reverse_iteratorISI_EEEEENSH_IJSG_SG_SG_EEES9_SI_JZNS1_25segmented_radix_sort_implINS0_14default_configELb0EPK12hip_bfloat16PSP_PKlPlN2at6native12_GLOBAL__N_18offset_tEEE10hipError_tPvRmT1_PNSt15iterator_traitsIS13_E10value_typeET2_T3_PNS14_IS19_E10value_typeET4_jRbjT5_S1F_jjP12ihipStream_tbEUljE_ZNSN_ISO_Lb0ESR_SS_SU_SV_SZ_EES10_S11_S12_S13_S17_S18_S19_S1C_S1D_jS1E_jS1F_S1F_jjS1H_bEUljE0_EEES10_S11_S12_S19_S1D_S1F_T6_T7_T9_mT8_S1H_bDpT10_ENKUlT_T0_E_clISt17integral_constantIbLb0EES1U_IbLb1EEEEDaS1Q_S1R_EUlS1Q_E_NS1_11comp_targetILNS1_3genE10ELNS1_11target_archE1200ELNS1_3gpuE4ELNS1_3repE0EEENS1_30default_config_static_selectorELNS0_4arch9wavefront6targetE0EEEvS13_.numbered_sgpr, 55
	.set _ZN7rocprim17ROCPRIM_400000_NS6detail17trampoline_kernelINS0_13select_configILj256ELj13ELNS0_17block_load_methodE3ELS4_3ELS4_3ELNS0_20block_scan_algorithmE0ELj4294967295EEENS1_25partition_config_selectorILNS1_17partition_subalgoE4EjNS0_10empty_typeEbEEZZNS1_14partition_implILS8_4ELb0ES6_15HIP_vector_typeIjLj2EENS0_17counting_iteratorIjlEEPS9_SG_NS0_5tupleIJPjSI_NS0_16reverse_iteratorISI_EEEEENSH_IJSG_SG_SG_EEES9_SI_JZNS1_25segmented_radix_sort_implINS0_14default_configELb0EPK12hip_bfloat16PSP_PKlPlN2at6native12_GLOBAL__N_18offset_tEEE10hipError_tPvRmT1_PNSt15iterator_traitsIS13_E10value_typeET2_T3_PNS14_IS19_E10value_typeET4_jRbjT5_S1F_jjP12ihipStream_tbEUljE_ZNSN_ISO_Lb0ESR_SS_SU_SV_SZ_EES10_S11_S12_S13_S17_S18_S19_S1C_S1D_jS1E_jS1F_S1F_jjS1H_bEUljE0_EEES10_S11_S12_S19_S1D_S1F_T6_T7_T9_mT8_S1H_bDpT10_ENKUlT_T0_E_clISt17integral_constantIbLb0EES1U_IbLb1EEEEDaS1Q_S1R_EUlS1Q_E_NS1_11comp_targetILNS1_3genE10ELNS1_11target_archE1200ELNS1_3gpuE4ELNS1_3repE0EEENS1_30default_config_static_selectorELNS0_4arch9wavefront6targetE0EEEvS13_.num_named_barrier, 0
	.set _ZN7rocprim17ROCPRIM_400000_NS6detail17trampoline_kernelINS0_13select_configILj256ELj13ELNS0_17block_load_methodE3ELS4_3ELS4_3ELNS0_20block_scan_algorithmE0ELj4294967295EEENS1_25partition_config_selectorILNS1_17partition_subalgoE4EjNS0_10empty_typeEbEEZZNS1_14partition_implILS8_4ELb0ES6_15HIP_vector_typeIjLj2EENS0_17counting_iteratorIjlEEPS9_SG_NS0_5tupleIJPjSI_NS0_16reverse_iteratorISI_EEEEENSH_IJSG_SG_SG_EEES9_SI_JZNS1_25segmented_radix_sort_implINS0_14default_configELb0EPK12hip_bfloat16PSP_PKlPlN2at6native12_GLOBAL__N_18offset_tEEE10hipError_tPvRmT1_PNSt15iterator_traitsIS13_E10value_typeET2_T3_PNS14_IS19_E10value_typeET4_jRbjT5_S1F_jjP12ihipStream_tbEUljE_ZNSN_ISO_Lb0ESR_SS_SU_SV_SZ_EES10_S11_S12_S13_S17_S18_S19_S1C_S1D_jS1E_jS1F_S1F_jjS1H_bEUljE0_EEES10_S11_S12_S19_S1D_S1F_T6_T7_T9_mT8_S1H_bDpT10_ENKUlT_T0_E_clISt17integral_constantIbLb0EES1U_IbLb1EEEEDaS1Q_S1R_EUlS1Q_E_NS1_11comp_targetILNS1_3genE10ELNS1_11target_archE1200ELNS1_3gpuE4ELNS1_3repE0EEENS1_30default_config_static_selectorELNS0_4arch9wavefront6targetE0EEEvS13_.private_seg_size, 0
	.set _ZN7rocprim17ROCPRIM_400000_NS6detail17trampoline_kernelINS0_13select_configILj256ELj13ELNS0_17block_load_methodE3ELS4_3ELS4_3ELNS0_20block_scan_algorithmE0ELj4294967295EEENS1_25partition_config_selectorILNS1_17partition_subalgoE4EjNS0_10empty_typeEbEEZZNS1_14partition_implILS8_4ELb0ES6_15HIP_vector_typeIjLj2EENS0_17counting_iteratorIjlEEPS9_SG_NS0_5tupleIJPjSI_NS0_16reverse_iteratorISI_EEEEENSH_IJSG_SG_SG_EEES9_SI_JZNS1_25segmented_radix_sort_implINS0_14default_configELb0EPK12hip_bfloat16PSP_PKlPlN2at6native12_GLOBAL__N_18offset_tEEE10hipError_tPvRmT1_PNSt15iterator_traitsIS13_E10value_typeET2_T3_PNS14_IS19_E10value_typeET4_jRbjT5_S1F_jjP12ihipStream_tbEUljE_ZNSN_ISO_Lb0ESR_SS_SU_SV_SZ_EES10_S11_S12_S13_S17_S18_S19_S1C_S1D_jS1E_jS1F_S1F_jjS1H_bEUljE0_EEES10_S11_S12_S19_S1D_S1F_T6_T7_T9_mT8_S1H_bDpT10_ENKUlT_T0_E_clISt17integral_constantIbLb0EES1U_IbLb1EEEEDaS1Q_S1R_EUlS1Q_E_NS1_11comp_targetILNS1_3genE10ELNS1_11target_archE1200ELNS1_3gpuE4ELNS1_3repE0EEENS1_30default_config_static_selectorELNS0_4arch9wavefront6targetE0EEEvS13_.uses_vcc, 1
	.set _ZN7rocprim17ROCPRIM_400000_NS6detail17trampoline_kernelINS0_13select_configILj256ELj13ELNS0_17block_load_methodE3ELS4_3ELS4_3ELNS0_20block_scan_algorithmE0ELj4294967295EEENS1_25partition_config_selectorILNS1_17partition_subalgoE4EjNS0_10empty_typeEbEEZZNS1_14partition_implILS8_4ELb0ES6_15HIP_vector_typeIjLj2EENS0_17counting_iteratorIjlEEPS9_SG_NS0_5tupleIJPjSI_NS0_16reverse_iteratorISI_EEEEENSH_IJSG_SG_SG_EEES9_SI_JZNS1_25segmented_radix_sort_implINS0_14default_configELb0EPK12hip_bfloat16PSP_PKlPlN2at6native12_GLOBAL__N_18offset_tEEE10hipError_tPvRmT1_PNSt15iterator_traitsIS13_E10value_typeET2_T3_PNS14_IS19_E10value_typeET4_jRbjT5_S1F_jjP12ihipStream_tbEUljE_ZNSN_ISO_Lb0ESR_SS_SU_SV_SZ_EES10_S11_S12_S13_S17_S18_S19_S1C_S1D_jS1E_jS1F_S1F_jjS1H_bEUljE0_EEES10_S11_S12_S19_S1D_S1F_T6_T7_T9_mT8_S1H_bDpT10_ENKUlT_T0_E_clISt17integral_constantIbLb0EES1U_IbLb1EEEEDaS1Q_S1R_EUlS1Q_E_NS1_11comp_targetILNS1_3genE10ELNS1_11target_archE1200ELNS1_3gpuE4ELNS1_3repE0EEENS1_30default_config_static_selectorELNS0_4arch9wavefront6targetE0EEEvS13_.uses_flat_scratch, 0
	.set _ZN7rocprim17ROCPRIM_400000_NS6detail17trampoline_kernelINS0_13select_configILj256ELj13ELNS0_17block_load_methodE3ELS4_3ELS4_3ELNS0_20block_scan_algorithmE0ELj4294967295EEENS1_25partition_config_selectorILNS1_17partition_subalgoE4EjNS0_10empty_typeEbEEZZNS1_14partition_implILS8_4ELb0ES6_15HIP_vector_typeIjLj2EENS0_17counting_iteratorIjlEEPS9_SG_NS0_5tupleIJPjSI_NS0_16reverse_iteratorISI_EEEEENSH_IJSG_SG_SG_EEES9_SI_JZNS1_25segmented_radix_sort_implINS0_14default_configELb0EPK12hip_bfloat16PSP_PKlPlN2at6native12_GLOBAL__N_18offset_tEEE10hipError_tPvRmT1_PNSt15iterator_traitsIS13_E10value_typeET2_T3_PNS14_IS19_E10value_typeET4_jRbjT5_S1F_jjP12ihipStream_tbEUljE_ZNSN_ISO_Lb0ESR_SS_SU_SV_SZ_EES10_S11_S12_S13_S17_S18_S19_S1C_S1D_jS1E_jS1F_S1F_jjS1H_bEUljE0_EEES10_S11_S12_S19_S1D_S1F_T6_T7_T9_mT8_S1H_bDpT10_ENKUlT_T0_E_clISt17integral_constantIbLb0EES1U_IbLb1EEEEDaS1Q_S1R_EUlS1Q_E_NS1_11comp_targetILNS1_3genE10ELNS1_11target_archE1200ELNS1_3gpuE4ELNS1_3repE0EEENS1_30default_config_static_selectorELNS0_4arch9wavefront6targetE0EEEvS13_.has_dyn_sized_stack, 0
	.set _ZN7rocprim17ROCPRIM_400000_NS6detail17trampoline_kernelINS0_13select_configILj256ELj13ELNS0_17block_load_methodE3ELS4_3ELS4_3ELNS0_20block_scan_algorithmE0ELj4294967295EEENS1_25partition_config_selectorILNS1_17partition_subalgoE4EjNS0_10empty_typeEbEEZZNS1_14partition_implILS8_4ELb0ES6_15HIP_vector_typeIjLj2EENS0_17counting_iteratorIjlEEPS9_SG_NS0_5tupleIJPjSI_NS0_16reverse_iteratorISI_EEEEENSH_IJSG_SG_SG_EEES9_SI_JZNS1_25segmented_radix_sort_implINS0_14default_configELb0EPK12hip_bfloat16PSP_PKlPlN2at6native12_GLOBAL__N_18offset_tEEE10hipError_tPvRmT1_PNSt15iterator_traitsIS13_E10value_typeET2_T3_PNS14_IS19_E10value_typeET4_jRbjT5_S1F_jjP12ihipStream_tbEUljE_ZNSN_ISO_Lb0ESR_SS_SU_SV_SZ_EES10_S11_S12_S13_S17_S18_S19_S1C_S1D_jS1E_jS1F_S1F_jjS1H_bEUljE0_EEES10_S11_S12_S19_S1D_S1F_T6_T7_T9_mT8_S1H_bDpT10_ENKUlT_T0_E_clISt17integral_constantIbLb0EES1U_IbLb1EEEEDaS1Q_S1R_EUlS1Q_E_NS1_11comp_targetILNS1_3genE10ELNS1_11target_archE1200ELNS1_3gpuE4ELNS1_3repE0EEENS1_30default_config_static_selectorELNS0_4arch9wavefront6targetE0EEEvS13_.has_recursion, 0
	.set _ZN7rocprim17ROCPRIM_400000_NS6detail17trampoline_kernelINS0_13select_configILj256ELj13ELNS0_17block_load_methodE3ELS4_3ELS4_3ELNS0_20block_scan_algorithmE0ELj4294967295EEENS1_25partition_config_selectorILNS1_17partition_subalgoE4EjNS0_10empty_typeEbEEZZNS1_14partition_implILS8_4ELb0ES6_15HIP_vector_typeIjLj2EENS0_17counting_iteratorIjlEEPS9_SG_NS0_5tupleIJPjSI_NS0_16reverse_iteratorISI_EEEEENSH_IJSG_SG_SG_EEES9_SI_JZNS1_25segmented_radix_sort_implINS0_14default_configELb0EPK12hip_bfloat16PSP_PKlPlN2at6native12_GLOBAL__N_18offset_tEEE10hipError_tPvRmT1_PNSt15iterator_traitsIS13_E10value_typeET2_T3_PNS14_IS19_E10value_typeET4_jRbjT5_S1F_jjP12ihipStream_tbEUljE_ZNSN_ISO_Lb0ESR_SS_SU_SV_SZ_EES10_S11_S12_S13_S17_S18_S19_S1C_S1D_jS1E_jS1F_S1F_jjS1H_bEUljE0_EEES10_S11_S12_S19_S1D_S1F_T6_T7_T9_mT8_S1H_bDpT10_ENKUlT_T0_E_clISt17integral_constantIbLb0EES1U_IbLb1EEEEDaS1Q_S1R_EUlS1Q_E_NS1_11comp_targetILNS1_3genE10ELNS1_11target_archE1200ELNS1_3gpuE4ELNS1_3repE0EEENS1_30default_config_static_selectorELNS0_4arch9wavefront6targetE0EEEvS13_.has_indirect_call, 0
	.section	.AMDGPU.csdata,"",@progbits
; Kernel info:
; codeLenInByte = 19208
; TotalNumSgprs: 57
; NumVgprs: 98
; ScratchSize: 0
; MemoryBound: 0
; FloatMode: 240
; IeeeMode: 1
; LDSByteSize: 13328 bytes/workgroup (compile time only)
; SGPRBlocks: 0
; VGPRBlocks: 12
; NumSGPRsForWavesPerEU: 57
; NumVGPRsForWavesPerEU: 98
; Occupancy: 12
; WaveLimiterHint : 1
; COMPUTE_PGM_RSRC2:SCRATCH_EN: 0
; COMPUTE_PGM_RSRC2:USER_SGPR: 2
; COMPUTE_PGM_RSRC2:TRAP_HANDLER: 0
; COMPUTE_PGM_RSRC2:TGID_X_EN: 1
; COMPUTE_PGM_RSRC2:TGID_Y_EN: 0
; COMPUTE_PGM_RSRC2:TGID_Z_EN: 0
; COMPUTE_PGM_RSRC2:TIDIG_COMP_CNT: 0
	.section	.text._ZN7rocprim17ROCPRIM_400000_NS6detail17trampoline_kernelINS0_13select_configILj256ELj13ELNS0_17block_load_methodE3ELS4_3ELS4_3ELNS0_20block_scan_algorithmE0ELj4294967295EEENS1_25partition_config_selectorILNS1_17partition_subalgoE4EjNS0_10empty_typeEbEEZZNS1_14partition_implILS8_4ELb0ES6_15HIP_vector_typeIjLj2EENS0_17counting_iteratorIjlEEPS9_SG_NS0_5tupleIJPjSI_NS0_16reverse_iteratorISI_EEEEENSH_IJSG_SG_SG_EEES9_SI_JZNS1_25segmented_radix_sort_implINS0_14default_configELb0EPK12hip_bfloat16PSP_PKlPlN2at6native12_GLOBAL__N_18offset_tEEE10hipError_tPvRmT1_PNSt15iterator_traitsIS13_E10value_typeET2_T3_PNS14_IS19_E10value_typeET4_jRbjT5_S1F_jjP12ihipStream_tbEUljE_ZNSN_ISO_Lb0ESR_SS_SU_SV_SZ_EES10_S11_S12_S13_S17_S18_S19_S1C_S1D_jS1E_jS1F_S1F_jjS1H_bEUljE0_EEES10_S11_S12_S19_S1D_S1F_T6_T7_T9_mT8_S1H_bDpT10_ENKUlT_T0_E_clISt17integral_constantIbLb0EES1U_IbLb1EEEEDaS1Q_S1R_EUlS1Q_E_NS1_11comp_targetILNS1_3genE9ELNS1_11target_archE1100ELNS1_3gpuE3ELNS1_3repE0EEENS1_30default_config_static_selectorELNS0_4arch9wavefront6targetE0EEEvS13_,"axG",@progbits,_ZN7rocprim17ROCPRIM_400000_NS6detail17trampoline_kernelINS0_13select_configILj256ELj13ELNS0_17block_load_methodE3ELS4_3ELS4_3ELNS0_20block_scan_algorithmE0ELj4294967295EEENS1_25partition_config_selectorILNS1_17partition_subalgoE4EjNS0_10empty_typeEbEEZZNS1_14partition_implILS8_4ELb0ES6_15HIP_vector_typeIjLj2EENS0_17counting_iteratorIjlEEPS9_SG_NS0_5tupleIJPjSI_NS0_16reverse_iteratorISI_EEEEENSH_IJSG_SG_SG_EEES9_SI_JZNS1_25segmented_radix_sort_implINS0_14default_configELb0EPK12hip_bfloat16PSP_PKlPlN2at6native12_GLOBAL__N_18offset_tEEE10hipError_tPvRmT1_PNSt15iterator_traitsIS13_E10value_typeET2_T3_PNS14_IS19_E10value_typeET4_jRbjT5_S1F_jjP12ihipStream_tbEUljE_ZNSN_ISO_Lb0ESR_SS_SU_SV_SZ_EES10_S11_S12_S13_S17_S18_S19_S1C_S1D_jS1E_jS1F_S1F_jjS1H_bEUljE0_EEES10_S11_S12_S19_S1D_S1F_T6_T7_T9_mT8_S1H_bDpT10_ENKUlT_T0_E_clISt17integral_constantIbLb0EES1U_IbLb1EEEEDaS1Q_S1R_EUlS1Q_E_NS1_11comp_targetILNS1_3genE9ELNS1_11target_archE1100ELNS1_3gpuE3ELNS1_3repE0EEENS1_30default_config_static_selectorELNS0_4arch9wavefront6targetE0EEEvS13_,comdat
	.globl	_ZN7rocprim17ROCPRIM_400000_NS6detail17trampoline_kernelINS0_13select_configILj256ELj13ELNS0_17block_load_methodE3ELS4_3ELS4_3ELNS0_20block_scan_algorithmE0ELj4294967295EEENS1_25partition_config_selectorILNS1_17partition_subalgoE4EjNS0_10empty_typeEbEEZZNS1_14partition_implILS8_4ELb0ES6_15HIP_vector_typeIjLj2EENS0_17counting_iteratorIjlEEPS9_SG_NS0_5tupleIJPjSI_NS0_16reverse_iteratorISI_EEEEENSH_IJSG_SG_SG_EEES9_SI_JZNS1_25segmented_radix_sort_implINS0_14default_configELb0EPK12hip_bfloat16PSP_PKlPlN2at6native12_GLOBAL__N_18offset_tEEE10hipError_tPvRmT1_PNSt15iterator_traitsIS13_E10value_typeET2_T3_PNS14_IS19_E10value_typeET4_jRbjT5_S1F_jjP12ihipStream_tbEUljE_ZNSN_ISO_Lb0ESR_SS_SU_SV_SZ_EES10_S11_S12_S13_S17_S18_S19_S1C_S1D_jS1E_jS1F_S1F_jjS1H_bEUljE0_EEES10_S11_S12_S19_S1D_S1F_T6_T7_T9_mT8_S1H_bDpT10_ENKUlT_T0_E_clISt17integral_constantIbLb0EES1U_IbLb1EEEEDaS1Q_S1R_EUlS1Q_E_NS1_11comp_targetILNS1_3genE9ELNS1_11target_archE1100ELNS1_3gpuE3ELNS1_3repE0EEENS1_30default_config_static_selectorELNS0_4arch9wavefront6targetE0EEEvS13_ ; -- Begin function _ZN7rocprim17ROCPRIM_400000_NS6detail17trampoline_kernelINS0_13select_configILj256ELj13ELNS0_17block_load_methodE3ELS4_3ELS4_3ELNS0_20block_scan_algorithmE0ELj4294967295EEENS1_25partition_config_selectorILNS1_17partition_subalgoE4EjNS0_10empty_typeEbEEZZNS1_14partition_implILS8_4ELb0ES6_15HIP_vector_typeIjLj2EENS0_17counting_iteratorIjlEEPS9_SG_NS0_5tupleIJPjSI_NS0_16reverse_iteratorISI_EEEEENSH_IJSG_SG_SG_EEES9_SI_JZNS1_25segmented_radix_sort_implINS0_14default_configELb0EPK12hip_bfloat16PSP_PKlPlN2at6native12_GLOBAL__N_18offset_tEEE10hipError_tPvRmT1_PNSt15iterator_traitsIS13_E10value_typeET2_T3_PNS14_IS19_E10value_typeET4_jRbjT5_S1F_jjP12ihipStream_tbEUljE_ZNSN_ISO_Lb0ESR_SS_SU_SV_SZ_EES10_S11_S12_S13_S17_S18_S19_S1C_S1D_jS1E_jS1F_S1F_jjS1H_bEUljE0_EEES10_S11_S12_S19_S1D_S1F_T6_T7_T9_mT8_S1H_bDpT10_ENKUlT_T0_E_clISt17integral_constantIbLb0EES1U_IbLb1EEEEDaS1Q_S1R_EUlS1Q_E_NS1_11comp_targetILNS1_3genE9ELNS1_11target_archE1100ELNS1_3gpuE3ELNS1_3repE0EEENS1_30default_config_static_selectorELNS0_4arch9wavefront6targetE0EEEvS13_
	.p2align	8
	.type	_ZN7rocprim17ROCPRIM_400000_NS6detail17trampoline_kernelINS0_13select_configILj256ELj13ELNS0_17block_load_methodE3ELS4_3ELS4_3ELNS0_20block_scan_algorithmE0ELj4294967295EEENS1_25partition_config_selectorILNS1_17partition_subalgoE4EjNS0_10empty_typeEbEEZZNS1_14partition_implILS8_4ELb0ES6_15HIP_vector_typeIjLj2EENS0_17counting_iteratorIjlEEPS9_SG_NS0_5tupleIJPjSI_NS0_16reverse_iteratorISI_EEEEENSH_IJSG_SG_SG_EEES9_SI_JZNS1_25segmented_radix_sort_implINS0_14default_configELb0EPK12hip_bfloat16PSP_PKlPlN2at6native12_GLOBAL__N_18offset_tEEE10hipError_tPvRmT1_PNSt15iterator_traitsIS13_E10value_typeET2_T3_PNS14_IS19_E10value_typeET4_jRbjT5_S1F_jjP12ihipStream_tbEUljE_ZNSN_ISO_Lb0ESR_SS_SU_SV_SZ_EES10_S11_S12_S13_S17_S18_S19_S1C_S1D_jS1E_jS1F_S1F_jjS1H_bEUljE0_EEES10_S11_S12_S19_S1D_S1F_T6_T7_T9_mT8_S1H_bDpT10_ENKUlT_T0_E_clISt17integral_constantIbLb0EES1U_IbLb1EEEEDaS1Q_S1R_EUlS1Q_E_NS1_11comp_targetILNS1_3genE9ELNS1_11target_archE1100ELNS1_3gpuE3ELNS1_3repE0EEENS1_30default_config_static_selectorELNS0_4arch9wavefront6targetE0EEEvS13_,@function
_ZN7rocprim17ROCPRIM_400000_NS6detail17trampoline_kernelINS0_13select_configILj256ELj13ELNS0_17block_load_methodE3ELS4_3ELS4_3ELNS0_20block_scan_algorithmE0ELj4294967295EEENS1_25partition_config_selectorILNS1_17partition_subalgoE4EjNS0_10empty_typeEbEEZZNS1_14partition_implILS8_4ELb0ES6_15HIP_vector_typeIjLj2EENS0_17counting_iteratorIjlEEPS9_SG_NS0_5tupleIJPjSI_NS0_16reverse_iteratorISI_EEEEENSH_IJSG_SG_SG_EEES9_SI_JZNS1_25segmented_radix_sort_implINS0_14default_configELb0EPK12hip_bfloat16PSP_PKlPlN2at6native12_GLOBAL__N_18offset_tEEE10hipError_tPvRmT1_PNSt15iterator_traitsIS13_E10value_typeET2_T3_PNS14_IS19_E10value_typeET4_jRbjT5_S1F_jjP12ihipStream_tbEUljE_ZNSN_ISO_Lb0ESR_SS_SU_SV_SZ_EES10_S11_S12_S13_S17_S18_S19_S1C_S1D_jS1E_jS1F_S1F_jjS1H_bEUljE0_EEES10_S11_S12_S19_S1D_S1F_T6_T7_T9_mT8_S1H_bDpT10_ENKUlT_T0_E_clISt17integral_constantIbLb0EES1U_IbLb1EEEEDaS1Q_S1R_EUlS1Q_E_NS1_11comp_targetILNS1_3genE9ELNS1_11target_archE1100ELNS1_3gpuE3ELNS1_3repE0EEENS1_30default_config_static_selectorELNS0_4arch9wavefront6targetE0EEEvS13_: ; @_ZN7rocprim17ROCPRIM_400000_NS6detail17trampoline_kernelINS0_13select_configILj256ELj13ELNS0_17block_load_methodE3ELS4_3ELS4_3ELNS0_20block_scan_algorithmE0ELj4294967295EEENS1_25partition_config_selectorILNS1_17partition_subalgoE4EjNS0_10empty_typeEbEEZZNS1_14partition_implILS8_4ELb0ES6_15HIP_vector_typeIjLj2EENS0_17counting_iteratorIjlEEPS9_SG_NS0_5tupleIJPjSI_NS0_16reverse_iteratorISI_EEEEENSH_IJSG_SG_SG_EEES9_SI_JZNS1_25segmented_radix_sort_implINS0_14default_configELb0EPK12hip_bfloat16PSP_PKlPlN2at6native12_GLOBAL__N_18offset_tEEE10hipError_tPvRmT1_PNSt15iterator_traitsIS13_E10value_typeET2_T3_PNS14_IS19_E10value_typeET4_jRbjT5_S1F_jjP12ihipStream_tbEUljE_ZNSN_ISO_Lb0ESR_SS_SU_SV_SZ_EES10_S11_S12_S13_S17_S18_S19_S1C_S1D_jS1E_jS1F_S1F_jjS1H_bEUljE0_EEES10_S11_S12_S19_S1D_S1F_T6_T7_T9_mT8_S1H_bDpT10_ENKUlT_T0_E_clISt17integral_constantIbLb0EES1U_IbLb1EEEEDaS1Q_S1R_EUlS1Q_E_NS1_11comp_targetILNS1_3genE9ELNS1_11target_archE1100ELNS1_3gpuE3ELNS1_3repE0EEENS1_30default_config_static_selectorELNS0_4arch9wavefront6targetE0EEEvS13_
; %bb.0:
	.section	.rodata,"a",@progbits
	.p2align	6, 0x0
	.amdhsa_kernel _ZN7rocprim17ROCPRIM_400000_NS6detail17trampoline_kernelINS0_13select_configILj256ELj13ELNS0_17block_load_methodE3ELS4_3ELS4_3ELNS0_20block_scan_algorithmE0ELj4294967295EEENS1_25partition_config_selectorILNS1_17partition_subalgoE4EjNS0_10empty_typeEbEEZZNS1_14partition_implILS8_4ELb0ES6_15HIP_vector_typeIjLj2EENS0_17counting_iteratorIjlEEPS9_SG_NS0_5tupleIJPjSI_NS0_16reverse_iteratorISI_EEEEENSH_IJSG_SG_SG_EEES9_SI_JZNS1_25segmented_radix_sort_implINS0_14default_configELb0EPK12hip_bfloat16PSP_PKlPlN2at6native12_GLOBAL__N_18offset_tEEE10hipError_tPvRmT1_PNSt15iterator_traitsIS13_E10value_typeET2_T3_PNS14_IS19_E10value_typeET4_jRbjT5_S1F_jjP12ihipStream_tbEUljE_ZNSN_ISO_Lb0ESR_SS_SU_SV_SZ_EES10_S11_S12_S13_S17_S18_S19_S1C_S1D_jS1E_jS1F_S1F_jjS1H_bEUljE0_EEES10_S11_S12_S19_S1D_S1F_T6_T7_T9_mT8_S1H_bDpT10_ENKUlT_T0_E_clISt17integral_constantIbLb0EES1U_IbLb1EEEEDaS1Q_S1R_EUlS1Q_E_NS1_11comp_targetILNS1_3genE9ELNS1_11target_archE1100ELNS1_3gpuE3ELNS1_3repE0EEENS1_30default_config_static_selectorELNS0_4arch9wavefront6targetE0EEEvS13_
		.amdhsa_group_segment_fixed_size 0
		.amdhsa_private_segment_fixed_size 0
		.amdhsa_kernarg_size 184
		.amdhsa_user_sgpr_count 2
		.amdhsa_user_sgpr_dispatch_ptr 0
		.amdhsa_user_sgpr_queue_ptr 0
		.amdhsa_user_sgpr_kernarg_segment_ptr 1
		.amdhsa_user_sgpr_dispatch_id 0
		.amdhsa_user_sgpr_private_segment_size 0
		.amdhsa_wavefront_size32 1
		.amdhsa_uses_dynamic_stack 0
		.amdhsa_enable_private_segment 0
		.amdhsa_system_sgpr_workgroup_id_x 1
		.amdhsa_system_sgpr_workgroup_id_y 0
		.amdhsa_system_sgpr_workgroup_id_z 0
		.amdhsa_system_sgpr_workgroup_info 0
		.amdhsa_system_vgpr_workitem_id 0
		.amdhsa_next_free_vgpr 1
		.amdhsa_next_free_sgpr 1
		.amdhsa_reserve_vcc 0
		.amdhsa_float_round_mode_32 0
		.amdhsa_float_round_mode_16_64 0
		.amdhsa_float_denorm_mode_32 3
		.amdhsa_float_denorm_mode_16_64 3
		.amdhsa_fp16_overflow 0
		.amdhsa_workgroup_processor_mode 1
		.amdhsa_memory_ordered 1
		.amdhsa_forward_progress 1
		.amdhsa_inst_pref_size 0
		.amdhsa_round_robin_scheduling 0
		.amdhsa_exception_fp_ieee_invalid_op 0
		.amdhsa_exception_fp_denorm_src 0
		.amdhsa_exception_fp_ieee_div_zero 0
		.amdhsa_exception_fp_ieee_overflow 0
		.amdhsa_exception_fp_ieee_underflow 0
		.amdhsa_exception_fp_ieee_inexact 0
		.amdhsa_exception_int_div_zero 0
	.end_amdhsa_kernel
	.section	.text._ZN7rocprim17ROCPRIM_400000_NS6detail17trampoline_kernelINS0_13select_configILj256ELj13ELNS0_17block_load_methodE3ELS4_3ELS4_3ELNS0_20block_scan_algorithmE0ELj4294967295EEENS1_25partition_config_selectorILNS1_17partition_subalgoE4EjNS0_10empty_typeEbEEZZNS1_14partition_implILS8_4ELb0ES6_15HIP_vector_typeIjLj2EENS0_17counting_iteratorIjlEEPS9_SG_NS0_5tupleIJPjSI_NS0_16reverse_iteratorISI_EEEEENSH_IJSG_SG_SG_EEES9_SI_JZNS1_25segmented_radix_sort_implINS0_14default_configELb0EPK12hip_bfloat16PSP_PKlPlN2at6native12_GLOBAL__N_18offset_tEEE10hipError_tPvRmT1_PNSt15iterator_traitsIS13_E10value_typeET2_T3_PNS14_IS19_E10value_typeET4_jRbjT5_S1F_jjP12ihipStream_tbEUljE_ZNSN_ISO_Lb0ESR_SS_SU_SV_SZ_EES10_S11_S12_S13_S17_S18_S19_S1C_S1D_jS1E_jS1F_S1F_jjS1H_bEUljE0_EEES10_S11_S12_S19_S1D_S1F_T6_T7_T9_mT8_S1H_bDpT10_ENKUlT_T0_E_clISt17integral_constantIbLb0EES1U_IbLb1EEEEDaS1Q_S1R_EUlS1Q_E_NS1_11comp_targetILNS1_3genE9ELNS1_11target_archE1100ELNS1_3gpuE3ELNS1_3repE0EEENS1_30default_config_static_selectorELNS0_4arch9wavefront6targetE0EEEvS13_,"axG",@progbits,_ZN7rocprim17ROCPRIM_400000_NS6detail17trampoline_kernelINS0_13select_configILj256ELj13ELNS0_17block_load_methodE3ELS4_3ELS4_3ELNS0_20block_scan_algorithmE0ELj4294967295EEENS1_25partition_config_selectorILNS1_17partition_subalgoE4EjNS0_10empty_typeEbEEZZNS1_14partition_implILS8_4ELb0ES6_15HIP_vector_typeIjLj2EENS0_17counting_iteratorIjlEEPS9_SG_NS0_5tupleIJPjSI_NS0_16reverse_iteratorISI_EEEEENSH_IJSG_SG_SG_EEES9_SI_JZNS1_25segmented_radix_sort_implINS0_14default_configELb0EPK12hip_bfloat16PSP_PKlPlN2at6native12_GLOBAL__N_18offset_tEEE10hipError_tPvRmT1_PNSt15iterator_traitsIS13_E10value_typeET2_T3_PNS14_IS19_E10value_typeET4_jRbjT5_S1F_jjP12ihipStream_tbEUljE_ZNSN_ISO_Lb0ESR_SS_SU_SV_SZ_EES10_S11_S12_S13_S17_S18_S19_S1C_S1D_jS1E_jS1F_S1F_jjS1H_bEUljE0_EEES10_S11_S12_S19_S1D_S1F_T6_T7_T9_mT8_S1H_bDpT10_ENKUlT_T0_E_clISt17integral_constantIbLb0EES1U_IbLb1EEEEDaS1Q_S1R_EUlS1Q_E_NS1_11comp_targetILNS1_3genE9ELNS1_11target_archE1100ELNS1_3gpuE3ELNS1_3repE0EEENS1_30default_config_static_selectorELNS0_4arch9wavefront6targetE0EEEvS13_,comdat
.Lfunc_end2015:
	.size	_ZN7rocprim17ROCPRIM_400000_NS6detail17trampoline_kernelINS0_13select_configILj256ELj13ELNS0_17block_load_methodE3ELS4_3ELS4_3ELNS0_20block_scan_algorithmE0ELj4294967295EEENS1_25partition_config_selectorILNS1_17partition_subalgoE4EjNS0_10empty_typeEbEEZZNS1_14partition_implILS8_4ELb0ES6_15HIP_vector_typeIjLj2EENS0_17counting_iteratorIjlEEPS9_SG_NS0_5tupleIJPjSI_NS0_16reverse_iteratorISI_EEEEENSH_IJSG_SG_SG_EEES9_SI_JZNS1_25segmented_radix_sort_implINS0_14default_configELb0EPK12hip_bfloat16PSP_PKlPlN2at6native12_GLOBAL__N_18offset_tEEE10hipError_tPvRmT1_PNSt15iterator_traitsIS13_E10value_typeET2_T3_PNS14_IS19_E10value_typeET4_jRbjT5_S1F_jjP12ihipStream_tbEUljE_ZNSN_ISO_Lb0ESR_SS_SU_SV_SZ_EES10_S11_S12_S13_S17_S18_S19_S1C_S1D_jS1E_jS1F_S1F_jjS1H_bEUljE0_EEES10_S11_S12_S19_S1D_S1F_T6_T7_T9_mT8_S1H_bDpT10_ENKUlT_T0_E_clISt17integral_constantIbLb0EES1U_IbLb1EEEEDaS1Q_S1R_EUlS1Q_E_NS1_11comp_targetILNS1_3genE9ELNS1_11target_archE1100ELNS1_3gpuE3ELNS1_3repE0EEENS1_30default_config_static_selectorELNS0_4arch9wavefront6targetE0EEEvS13_, .Lfunc_end2015-_ZN7rocprim17ROCPRIM_400000_NS6detail17trampoline_kernelINS0_13select_configILj256ELj13ELNS0_17block_load_methodE3ELS4_3ELS4_3ELNS0_20block_scan_algorithmE0ELj4294967295EEENS1_25partition_config_selectorILNS1_17partition_subalgoE4EjNS0_10empty_typeEbEEZZNS1_14partition_implILS8_4ELb0ES6_15HIP_vector_typeIjLj2EENS0_17counting_iteratorIjlEEPS9_SG_NS0_5tupleIJPjSI_NS0_16reverse_iteratorISI_EEEEENSH_IJSG_SG_SG_EEES9_SI_JZNS1_25segmented_radix_sort_implINS0_14default_configELb0EPK12hip_bfloat16PSP_PKlPlN2at6native12_GLOBAL__N_18offset_tEEE10hipError_tPvRmT1_PNSt15iterator_traitsIS13_E10value_typeET2_T3_PNS14_IS19_E10value_typeET4_jRbjT5_S1F_jjP12ihipStream_tbEUljE_ZNSN_ISO_Lb0ESR_SS_SU_SV_SZ_EES10_S11_S12_S13_S17_S18_S19_S1C_S1D_jS1E_jS1F_S1F_jjS1H_bEUljE0_EEES10_S11_S12_S19_S1D_S1F_T6_T7_T9_mT8_S1H_bDpT10_ENKUlT_T0_E_clISt17integral_constantIbLb0EES1U_IbLb1EEEEDaS1Q_S1R_EUlS1Q_E_NS1_11comp_targetILNS1_3genE9ELNS1_11target_archE1100ELNS1_3gpuE3ELNS1_3repE0EEENS1_30default_config_static_selectorELNS0_4arch9wavefront6targetE0EEEvS13_
                                        ; -- End function
	.set _ZN7rocprim17ROCPRIM_400000_NS6detail17trampoline_kernelINS0_13select_configILj256ELj13ELNS0_17block_load_methodE3ELS4_3ELS4_3ELNS0_20block_scan_algorithmE0ELj4294967295EEENS1_25partition_config_selectorILNS1_17partition_subalgoE4EjNS0_10empty_typeEbEEZZNS1_14partition_implILS8_4ELb0ES6_15HIP_vector_typeIjLj2EENS0_17counting_iteratorIjlEEPS9_SG_NS0_5tupleIJPjSI_NS0_16reverse_iteratorISI_EEEEENSH_IJSG_SG_SG_EEES9_SI_JZNS1_25segmented_radix_sort_implINS0_14default_configELb0EPK12hip_bfloat16PSP_PKlPlN2at6native12_GLOBAL__N_18offset_tEEE10hipError_tPvRmT1_PNSt15iterator_traitsIS13_E10value_typeET2_T3_PNS14_IS19_E10value_typeET4_jRbjT5_S1F_jjP12ihipStream_tbEUljE_ZNSN_ISO_Lb0ESR_SS_SU_SV_SZ_EES10_S11_S12_S13_S17_S18_S19_S1C_S1D_jS1E_jS1F_S1F_jjS1H_bEUljE0_EEES10_S11_S12_S19_S1D_S1F_T6_T7_T9_mT8_S1H_bDpT10_ENKUlT_T0_E_clISt17integral_constantIbLb0EES1U_IbLb1EEEEDaS1Q_S1R_EUlS1Q_E_NS1_11comp_targetILNS1_3genE9ELNS1_11target_archE1100ELNS1_3gpuE3ELNS1_3repE0EEENS1_30default_config_static_selectorELNS0_4arch9wavefront6targetE0EEEvS13_.num_vgpr, 0
	.set _ZN7rocprim17ROCPRIM_400000_NS6detail17trampoline_kernelINS0_13select_configILj256ELj13ELNS0_17block_load_methodE3ELS4_3ELS4_3ELNS0_20block_scan_algorithmE0ELj4294967295EEENS1_25partition_config_selectorILNS1_17partition_subalgoE4EjNS0_10empty_typeEbEEZZNS1_14partition_implILS8_4ELb0ES6_15HIP_vector_typeIjLj2EENS0_17counting_iteratorIjlEEPS9_SG_NS0_5tupleIJPjSI_NS0_16reverse_iteratorISI_EEEEENSH_IJSG_SG_SG_EEES9_SI_JZNS1_25segmented_radix_sort_implINS0_14default_configELb0EPK12hip_bfloat16PSP_PKlPlN2at6native12_GLOBAL__N_18offset_tEEE10hipError_tPvRmT1_PNSt15iterator_traitsIS13_E10value_typeET2_T3_PNS14_IS19_E10value_typeET4_jRbjT5_S1F_jjP12ihipStream_tbEUljE_ZNSN_ISO_Lb0ESR_SS_SU_SV_SZ_EES10_S11_S12_S13_S17_S18_S19_S1C_S1D_jS1E_jS1F_S1F_jjS1H_bEUljE0_EEES10_S11_S12_S19_S1D_S1F_T6_T7_T9_mT8_S1H_bDpT10_ENKUlT_T0_E_clISt17integral_constantIbLb0EES1U_IbLb1EEEEDaS1Q_S1R_EUlS1Q_E_NS1_11comp_targetILNS1_3genE9ELNS1_11target_archE1100ELNS1_3gpuE3ELNS1_3repE0EEENS1_30default_config_static_selectorELNS0_4arch9wavefront6targetE0EEEvS13_.num_agpr, 0
	.set _ZN7rocprim17ROCPRIM_400000_NS6detail17trampoline_kernelINS0_13select_configILj256ELj13ELNS0_17block_load_methodE3ELS4_3ELS4_3ELNS0_20block_scan_algorithmE0ELj4294967295EEENS1_25partition_config_selectorILNS1_17partition_subalgoE4EjNS0_10empty_typeEbEEZZNS1_14partition_implILS8_4ELb0ES6_15HIP_vector_typeIjLj2EENS0_17counting_iteratorIjlEEPS9_SG_NS0_5tupleIJPjSI_NS0_16reverse_iteratorISI_EEEEENSH_IJSG_SG_SG_EEES9_SI_JZNS1_25segmented_radix_sort_implINS0_14default_configELb0EPK12hip_bfloat16PSP_PKlPlN2at6native12_GLOBAL__N_18offset_tEEE10hipError_tPvRmT1_PNSt15iterator_traitsIS13_E10value_typeET2_T3_PNS14_IS19_E10value_typeET4_jRbjT5_S1F_jjP12ihipStream_tbEUljE_ZNSN_ISO_Lb0ESR_SS_SU_SV_SZ_EES10_S11_S12_S13_S17_S18_S19_S1C_S1D_jS1E_jS1F_S1F_jjS1H_bEUljE0_EEES10_S11_S12_S19_S1D_S1F_T6_T7_T9_mT8_S1H_bDpT10_ENKUlT_T0_E_clISt17integral_constantIbLb0EES1U_IbLb1EEEEDaS1Q_S1R_EUlS1Q_E_NS1_11comp_targetILNS1_3genE9ELNS1_11target_archE1100ELNS1_3gpuE3ELNS1_3repE0EEENS1_30default_config_static_selectorELNS0_4arch9wavefront6targetE0EEEvS13_.numbered_sgpr, 0
	.set _ZN7rocprim17ROCPRIM_400000_NS6detail17trampoline_kernelINS0_13select_configILj256ELj13ELNS0_17block_load_methodE3ELS4_3ELS4_3ELNS0_20block_scan_algorithmE0ELj4294967295EEENS1_25partition_config_selectorILNS1_17partition_subalgoE4EjNS0_10empty_typeEbEEZZNS1_14partition_implILS8_4ELb0ES6_15HIP_vector_typeIjLj2EENS0_17counting_iteratorIjlEEPS9_SG_NS0_5tupleIJPjSI_NS0_16reverse_iteratorISI_EEEEENSH_IJSG_SG_SG_EEES9_SI_JZNS1_25segmented_radix_sort_implINS0_14default_configELb0EPK12hip_bfloat16PSP_PKlPlN2at6native12_GLOBAL__N_18offset_tEEE10hipError_tPvRmT1_PNSt15iterator_traitsIS13_E10value_typeET2_T3_PNS14_IS19_E10value_typeET4_jRbjT5_S1F_jjP12ihipStream_tbEUljE_ZNSN_ISO_Lb0ESR_SS_SU_SV_SZ_EES10_S11_S12_S13_S17_S18_S19_S1C_S1D_jS1E_jS1F_S1F_jjS1H_bEUljE0_EEES10_S11_S12_S19_S1D_S1F_T6_T7_T9_mT8_S1H_bDpT10_ENKUlT_T0_E_clISt17integral_constantIbLb0EES1U_IbLb1EEEEDaS1Q_S1R_EUlS1Q_E_NS1_11comp_targetILNS1_3genE9ELNS1_11target_archE1100ELNS1_3gpuE3ELNS1_3repE0EEENS1_30default_config_static_selectorELNS0_4arch9wavefront6targetE0EEEvS13_.num_named_barrier, 0
	.set _ZN7rocprim17ROCPRIM_400000_NS6detail17trampoline_kernelINS0_13select_configILj256ELj13ELNS0_17block_load_methodE3ELS4_3ELS4_3ELNS0_20block_scan_algorithmE0ELj4294967295EEENS1_25partition_config_selectorILNS1_17partition_subalgoE4EjNS0_10empty_typeEbEEZZNS1_14partition_implILS8_4ELb0ES6_15HIP_vector_typeIjLj2EENS0_17counting_iteratorIjlEEPS9_SG_NS0_5tupleIJPjSI_NS0_16reverse_iteratorISI_EEEEENSH_IJSG_SG_SG_EEES9_SI_JZNS1_25segmented_radix_sort_implINS0_14default_configELb0EPK12hip_bfloat16PSP_PKlPlN2at6native12_GLOBAL__N_18offset_tEEE10hipError_tPvRmT1_PNSt15iterator_traitsIS13_E10value_typeET2_T3_PNS14_IS19_E10value_typeET4_jRbjT5_S1F_jjP12ihipStream_tbEUljE_ZNSN_ISO_Lb0ESR_SS_SU_SV_SZ_EES10_S11_S12_S13_S17_S18_S19_S1C_S1D_jS1E_jS1F_S1F_jjS1H_bEUljE0_EEES10_S11_S12_S19_S1D_S1F_T6_T7_T9_mT8_S1H_bDpT10_ENKUlT_T0_E_clISt17integral_constantIbLb0EES1U_IbLb1EEEEDaS1Q_S1R_EUlS1Q_E_NS1_11comp_targetILNS1_3genE9ELNS1_11target_archE1100ELNS1_3gpuE3ELNS1_3repE0EEENS1_30default_config_static_selectorELNS0_4arch9wavefront6targetE0EEEvS13_.private_seg_size, 0
	.set _ZN7rocprim17ROCPRIM_400000_NS6detail17trampoline_kernelINS0_13select_configILj256ELj13ELNS0_17block_load_methodE3ELS4_3ELS4_3ELNS0_20block_scan_algorithmE0ELj4294967295EEENS1_25partition_config_selectorILNS1_17partition_subalgoE4EjNS0_10empty_typeEbEEZZNS1_14partition_implILS8_4ELb0ES6_15HIP_vector_typeIjLj2EENS0_17counting_iteratorIjlEEPS9_SG_NS0_5tupleIJPjSI_NS0_16reverse_iteratorISI_EEEEENSH_IJSG_SG_SG_EEES9_SI_JZNS1_25segmented_radix_sort_implINS0_14default_configELb0EPK12hip_bfloat16PSP_PKlPlN2at6native12_GLOBAL__N_18offset_tEEE10hipError_tPvRmT1_PNSt15iterator_traitsIS13_E10value_typeET2_T3_PNS14_IS19_E10value_typeET4_jRbjT5_S1F_jjP12ihipStream_tbEUljE_ZNSN_ISO_Lb0ESR_SS_SU_SV_SZ_EES10_S11_S12_S13_S17_S18_S19_S1C_S1D_jS1E_jS1F_S1F_jjS1H_bEUljE0_EEES10_S11_S12_S19_S1D_S1F_T6_T7_T9_mT8_S1H_bDpT10_ENKUlT_T0_E_clISt17integral_constantIbLb0EES1U_IbLb1EEEEDaS1Q_S1R_EUlS1Q_E_NS1_11comp_targetILNS1_3genE9ELNS1_11target_archE1100ELNS1_3gpuE3ELNS1_3repE0EEENS1_30default_config_static_selectorELNS0_4arch9wavefront6targetE0EEEvS13_.uses_vcc, 0
	.set _ZN7rocprim17ROCPRIM_400000_NS6detail17trampoline_kernelINS0_13select_configILj256ELj13ELNS0_17block_load_methodE3ELS4_3ELS4_3ELNS0_20block_scan_algorithmE0ELj4294967295EEENS1_25partition_config_selectorILNS1_17partition_subalgoE4EjNS0_10empty_typeEbEEZZNS1_14partition_implILS8_4ELb0ES6_15HIP_vector_typeIjLj2EENS0_17counting_iteratorIjlEEPS9_SG_NS0_5tupleIJPjSI_NS0_16reverse_iteratorISI_EEEEENSH_IJSG_SG_SG_EEES9_SI_JZNS1_25segmented_radix_sort_implINS0_14default_configELb0EPK12hip_bfloat16PSP_PKlPlN2at6native12_GLOBAL__N_18offset_tEEE10hipError_tPvRmT1_PNSt15iterator_traitsIS13_E10value_typeET2_T3_PNS14_IS19_E10value_typeET4_jRbjT5_S1F_jjP12ihipStream_tbEUljE_ZNSN_ISO_Lb0ESR_SS_SU_SV_SZ_EES10_S11_S12_S13_S17_S18_S19_S1C_S1D_jS1E_jS1F_S1F_jjS1H_bEUljE0_EEES10_S11_S12_S19_S1D_S1F_T6_T7_T9_mT8_S1H_bDpT10_ENKUlT_T0_E_clISt17integral_constantIbLb0EES1U_IbLb1EEEEDaS1Q_S1R_EUlS1Q_E_NS1_11comp_targetILNS1_3genE9ELNS1_11target_archE1100ELNS1_3gpuE3ELNS1_3repE0EEENS1_30default_config_static_selectorELNS0_4arch9wavefront6targetE0EEEvS13_.uses_flat_scratch, 0
	.set _ZN7rocprim17ROCPRIM_400000_NS6detail17trampoline_kernelINS0_13select_configILj256ELj13ELNS0_17block_load_methodE3ELS4_3ELS4_3ELNS0_20block_scan_algorithmE0ELj4294967295EEENS1_25partition_config_selectorILNS1_17partition_subalgoE4EjNS0_10empty_typeEbEEZZNS1_14partition_implILS8_4ELb0ES6_15HIP_vector_typeIjLj2EENS0_17counting_iteratorIjlEEPS9_SG_NS0_5tupleIJPjSI_NS0_16reverse_iteratorISI_EEEEENSH_IJSG_SG_SG_EEES9_SI_JZNS1_25segmented_radix_sort_implINS0_14default_configELb0EPK12hip_bfloat16PSP_PKlPlN2at6native12_GLOBAL__N_18offset_tEEE10hipError_tPvRmT1_PNSt15iterator_traitsIS13_E10value_typeET2_T3_PNS14_IS19_E10value_typeET4_jRbjT5_S1F_jjP12ihipStream_tbEUljE_ZNSN_ISO_Lb0ESR_SS_SU_SV_SZ_EES10_S11_S12_S13_S17_S18_S19_S1C_S1D_jS1E_jS1F_S1F_jjS1H_bEUljE0_EEES10_S11_S12_S19_S1D_S1F_T6_T7_T9_mT8_S1H_bDpT10_ENKUlT_T0_E_clISt17integral_constantIbLb0EES1U_IbLb1EEEEDaS1Q_S1R_EUlS1Q_E_NS1_11comp_targetILNS1_3genE9ELNS1_11target_archE1100ELNS1_3gpuE3ELNS1_3repE0EEENS1_30default_config_static_selectorELNS0_4arch9wavefront6targetE0EEEvS13_.has_dyn_sized_stack, 0
	.set _ZN7rocprim17ROCPRIM_400000_NS6detail17trampoline_kernelINS0_13select_configILj256ELj13ELNS0_17block_load_methodE3ELS4_3ELS4_3ELNS0_20block_scan_algorithmE0ELj4294967295EEENS1_25partition_config_selectorILNS1_17partition_subalgoE4EjNS0_10empty_typeEbEEZZNS1_14partition_implILS8_4ELb0ES6_15HIP_vector_typeIjLj2EENS0_17counting_iteratorIjlEEPS9_SG_NS0_5tupleIJPjSI_NS0_16reverse_iteratorISI_EEEEENSH_IJSG_SG_SG_EEES9_SI_JZNS1_25segmented_radix_sort_implINS0_14default_configELb0EPK12hip_bfloat16PSP_PKlPlN2at6native12_GLOBAL__N_18offset_tEEE10hipError_tPvRmT1_PNSt15iterator_traitsIS13_E10value_typeET2_T3_PNS14_IS19_E10value_typeET4_jRbjT5_S1F_jjP12ihipStream_tbEUljE_ZNSN_ISO_Lb0ESR_SS_SU_SV_SZ_EES10_S11_S12_S13_S17_S18_S19_S1C_S1D_jS1E_jS1F_S1F_jjS1H_bEUljE0_EEES10_S11_S12_S19_S1D_S1F_T6_T7_T9_mT8_S1H_bDpT10_ENKUlT_T0_E_clISt17integral_constantIbLb0EES1U_IbLb1EEEEDaS1Q_S1R_EUlS1Q_E_NS1_11comp_targetILNS1_3genE9ELNS1_11target_archE1100ELNS1_3gpuE3ELNS1_3repE0EEENS1_30default_config_static_selectorELNS0_4arch9wavefront6targetE0EEEvS13_.has_recursion, 0
	.set _ZN7rocprim17ROCPRIM_400000_NS6detail17trampoline_kernelINS0_13select_configILj256ELj13ELNS0_17block_load_methodE3ELS4_3ELS4_3ELNS0_20block_scan_algorithmE0ELj4294967295EEENS1_25partition_config_selectorILNS1_17partition_subalgoE4EjNS0_10empty_typeEbEEZZNS1_14partition_implILS8_4ELb0ES6_15HIP_vector_typeIjLj2EENS0_17counting_iteratorIjlEEPS9_SG_NS0_5tupleIJPjSI_NS0_16reverse_iteratorISI_EEEEENSH_IJSG_SG_SG_EEES9_SI_JZNS1_25segmented_radix_sort_implINS0_14default_configELb0EPK12hip_bfloat16PSP_PKlPlN2at6native12_GLOBAL__N_18offset_tEEE10hipError_tPvRmT1_PNSt15iterator_traitsIS13_E10value_typeET2_T3_PNS14_IS19_E10value_typeET4_jRbjT5_S1F_jjP12ihipStream_tbEUljE_ZNSN_ISO_Lb0ESR_SS_SU_SV_SZ_EES10_S11_S12_S13_S17_S18_S19_S1C_S1D_jS1E_jS1F_S1F_jjS1H_bEUljE0_EEES10_S11_S12_S19_S1D_S1F_T6_T7_T9_mT8_S1H_bDpT10_ENKUlT_T0_E_clISt17integral_constantIbLb0EES1U_IbLb1EEEEDaS1Q_S1R_EUlS1Q_E_NS1_11comp_targetILNS1_3genE9ELNS1_11target_archE1100ELNS1_3gpuE3ELNS1_3repE0EEENS1_30default_config_static_selectorELNS0_4arch9wavefront6targetE0EEEvS13_.has_indirect_call, 0
	.section	.AMDGPU.csdata,"",@progbits
; Kernel info:
; codeLenInByte = 0
; TotalNumSgprs: 0
; NumVgprs: 0
; ScratchSize: 0
; MemoryBound: 0
; FloatMode: 240
; IeeeMode: 1
; LDSByteSize: 0 bytes/workgroup (compile time only)
; SGPRBlocks: 0
; VGPRBlocks: 0
; NumSGPRsForWavesPerEU: 1
; NumVGPRsForWavesPerEU: 1
; Occupancy: 16
; WaveLimiterHint : 0
; COMPUTE_PGM_RSRC2:SCRATCH_EN: 0
; COMPUTE_PGM_RSRC2:USER_SGPR: 2
; COMPUTE_PGM_RSRC2:TRAP_HANDLER: 0
; COMPUTE_PGM_RSRC2:TGID_X_EN: 1
; COMPUTE_PGM_RSRC2:TGID_Y_EN: 0
; COMPUTE_PGM_RSRC2:TGID_Z_EN: 0
; COMPUTE_PGM_RSRC2:TIDIG_COMP_CNT: 0
	.section	.text._ZN7rocprim17ROCPRIM_400000_NS6detail17trampoline_kernelINS0_13select_configILj256ELj13ELNS0_17block_load_methodE3ELS4_3ELS4_3ELNS0_20block_scan_algorithmE0ELj4294967295EEENS1_25partition_config_selectorILNS1_17partition_subalgoE4EjNS0_10empty_typeEbEEZZNS1_14partition_implILS8_4ELb0ES6_15HIP_vector_typeIjLj2EENS0_17counting_iteratorIjlEEPS9_SG_NS0_5tupleIJPjSI_NS0_16reverse_iteratorISI_EEEEENSH_IJSG_SG_SG_EEES9_SI_JZNS1_25segmented_radix_sort_implINS0_14default_configELb0EPK12hip_bfloat16PSP_PKlPlN2at6native12_GLOBAL__N_18offset_tEEE10hipError_tPvRmT1_PNSt15iterator_traitsIS13_E10value_typeET2_T3_PNS14_IS19_E10value_typeET4_jRbjT5_S1F_jjP12ihipStream_tbEUljE_ZNSN_ISO_Lb0ESR_SS_SU_SV_SZ_EES10_S11_S12_S13_S17_S18_S19_S1C_S1D_jS1E_jS1F_S1F_jjS1H_bEUljE0_EEES10_S11_S12_S19_S1D_S1F_T6_T7_T9_mT8_S1H_bDpT10_ENKUlT_T0_E_clISt17integral_constantIbLb0EES1U_IbLb1EEEEDaS1Q_S1R_EUlS1Q_E_NS1_11comp_targetILNS1_3genE8ELNS1_11target_archE1030ELNS1_3gpuE2ELNS1_3repE0EEENS1_30default_config_static_selectorELNS0_4arch9wavefront6targetE0EEEvS13_,"axG",@progbits,_ZN7rocprim17ROCPRIM_400000_NS6detail17trampoline_kernelINS0_13select_configILj256ELj13ELNS0_17block_load_methodE3ELS4_3ELS4_3ELNS0_20block_scan_algorithmE0ELj4294967295EEENS1_25partition_config_selectorILNS1_17partition_subalgoE4EjNS0_10empty_typeEbEEZZNS1_14partition_implILS8_4ELb0ES6_15HIP_vector_typeIjLj2EENS0_17counting_iteratorIjlEEPS9_SG_NS0_5tupleIJPjSI_NS0_16reverse_iteratorISI_EEEEENSH_IJSG_SG_SG_EEES9_SI_JZNS1_25segmented_radix_sort_implINS0_14default_configELb0EPK12hip_bfloat16PSP_PKlPlN2at6native12_GLOBAL__N_18offset_tEEE10hipError_tPvRmT1_PNSt15iterator_traitsIS13_E10value_typeET2_T3_PNS14_IS19_E10value_typeET4_jRbjT5_S1F_jjP12ihipStream_tbEUljE_ZNSN_ISO_Lb0ESR_SS_SU_SV_SZ_EES10_S11_S12_S13_S17_S18_S19_S1C_S1D_jS1E_jS1F_S1F_jjS1H_bEUljE0_EEES10_S11_S12_S19_S1D_S1F_T6_T7_T9_mT8_S1H_bDpT10_ENKUlT_T0_E_clISt17integral_constantIbLb0EES1U_IbLb1EEEEDaS1Q_S1R_EUlS1Q_E_NS1_11comp_targetILNS1_3genE8ELNS1_11target_archE1030ELNS1_3gpuE2ELNS1_3repE0EEENS1_30default_config_static_selectorELNS0_4arch9wavefront6targetE0EEEvS13_,comdat
	.globl	_ZN7rocprim17ROCPRIM_400000_NS6detail17trampoline_kernelINS0_13select_configILj256ELj13ELNS0_17block_load_methodE3ELS4_3ELS4_3ELNS0_20block_scan_algorithmE0ELj4294967295EEENS1_25partition_config_selectorILNS1_17partition_subalgoE4EjNS0_10empty_typeEbEEZZNS1_14partition_implILS8_4ELb0ES6_15HIP_vector_typeIjLj2EENS0_17counting_iteratorIjlEEPS9_SG_NS0_5tupleIJPjSI_NS0_16reverse_iteratorISI_EEEEENSH_IJSG_SG_SG_EEES9_SI_JZNS1_25segmented_radix_sort_implINS0_14default_configELb0EPK12hip_bfloat16PSP_PKlPlN2at6native12_GLOBAL__N_18offset_tEEE10hipError_tPvRmT1_PNSt15iterator_traitsIS13_E10value_typeET2_T3_PNS14_IS19_E10value_typeET4_jRbjT5_S1F_jjP12ihipStream_tbEUljE_ZNSN_ISO_Lb0ESR_SS_SU_SV_SZ_EES10_S11_S12_S13_S17_S18_S19_S1C_S1D_jS1E_jS1F_S1F_jjS1H_bEUljE0_EEES10_S11_S12_S19_S1D_S1F_T6_T7_T9_mT8_S1H_bDpT10_ENKUlT_T0_E_clISt17integral_constantIbLb0EES1U_IbLb1EEEEDaS1Q_S1R_EUlS1Q_E_NS1_11comp_targetILNS1_3genE8ELNS1_11target_archE1030ELNS1_3gpuE2ELNS1_3repE0EEENS1_30default_config_static_selectorELNS0_4arch9wavefront6targetE0EEEvS13_ ; -- Begin function _ZN7rocprim17ROCPRIM_400000_NS6detail17trampoline_kernelINS0_13select_configILj256ELj13ELNS0_17block_load_methodE3ELS4_3ELS4_3ELNS0_20block_scan_algorithmE0ELj4294967295EEENS1_25partition_config_selectorILNS1_17partition_subalgoE4EjNS0_10empty_typeEbEEZZNS1_14partition_implILS8_4ELb0ES6_15HIP_vector_typeIjLj2EENS0_17counting_iteratorIjlEEPS9_SG_NS0_5tupleIJPjSI_NS0_16reverse_iteratorISI_EEEEENSH_IJSG_SG_SG_EEES9_SI_JZNS1_25segmented_radix_sort_implINS0_14default_configELb0EPK12hip_bfloat16PSP_PKlPlN2at6native12_GLOBAL__N_18offset_tEEE10hipError_tPvRmT1_PNSt15iterator_traitsIS13_E10value_typeET2_T3_PNS14_IS19_E10value_typeET4_jRbjT5_S1F_jjP12ihipStream_tbEUljE_ZNSN_ISO_Lb0ESR_SS_SU_SV_SZ_EES10_S11_S12_S13_S17_S18_S19_S1C_S1D_jS1E_jS1F_S1F_jjS1H_bEUljE0_EEES10_S11_S12_S19_S1D_S1F_T6_T7_T9_mT8_S1H_bDpT10_ENKUlT_T0_E_clISt17integral_constantIbLb0EES1U_IbLb1EEEEDaS1Q_S1R_EUlS1Q_E_NS1_11comp_targetILNS1_3genE8ELNS1_11target_archE1030ELNS1_3gpuE2ELNS1_3repE0EEENS1_30default_config_static_selectorELNS0_4arch9wavefront6targetE0EEEvS13_
	.p2align	8
	.type	_ZN7rocprim17ROCPRIM_400000_NS6detail17trampoline_kernelINS0_13select_configILj256ELj13ELNS0_17block_load_methodE3ELS4_3ELS4_3ELNS0_20block_scan_algorithmE0ELj4294967295EEENS1_25partition_config_selectorILNS1_17partition_subalgoE4EjNS0_10empty_typeEbEEZZNS1_14partition_implILS8_4ELb0ES6_15HIP_vector_typeIjLj2EENS0_17counting_iteratorIjlEEPS9_SG_NS0_5tupleIJPjSI_NS0_16reverse_iteratorISI_EEEEENSH_IJSG_SG_SG_EEES9_SI_JZNS1_25segmented_radix_sort_implINS0_14default_configELb0EPK12hip_bfloat16PSP_PKlPlN2at6native12_GLOBAL__N_18offset_tEEE10hipError_tPvRmT1_PNSt15iterator_traitsIS13_E10value_typeET2_T3_PNS14_IS19_E10value_typeET4_jRbjT5_S1F_jjP12ihipStream_tbEUljE_ZNSN_ISO_Lb0ESR_SS_SU_SV_SZ_EES10_S11_S12_S13_S17_S18_S19_S1C_S1D_jS1E_jS1F_S1F_jjS1H_bEUljE0_EEES10_S11_S12_S19_S1D_S1F_T6_T7_T9_mT8_S1H_bDpT10_ENKUlT_T0_E_clISt17integral_constantIbLb0EES1U_IbLb1EEEEDaS1Q_S1R_EUlS1Q_E_NS1_11comp_targetILNS1_3genE8ELNS1_11target_archE1030ELNS1_3gpuE2ELNS1_3repE0EEENS1_30default_config_static_selectorELNS0_4arch9wavefront6targetE0EEEvS13_,@function
_ZN7rocprim17ROCPRIM_400000_NS6detail17trampoline_kernelINS0_13select_configILj256ELj13ELNS0_17block_load_methodE3ELS4_3ELS4_3ELNS0_20block_scan_algorithmE0ELj4294967295EEENS1_25partition_config_selectorILNS1_17partition_subalgoE4EjNS0_10empty_typeEbEEZZNS1_14partition_implILS8_4ELb0ES6_15HIP_vector_typeIjLj2EENS0_17counting_iteratorIjlEEPS9_SG_NS0_5tupleIJPjSI_NS0_16reverse_iteratorISI_EEEEENSH_IJSG_SG_SG_EEES9_SI_JZNS1_25segmented_radix_sort_implINS0_14default_configELb0EPK12hip_bfloat16PSP_PKlPlN2at6native12_GLOBAL__N_18offset_tEEE10hipError_tPvRmT1_PNSt15iterator_traitsIS13_E10value_typeET2_T3_PNS14_IS19_E10value_typeET4_jRbjT5_S1F_jjP12ihipStream_tbEUljE_ZNSN_ISO_Lb0ESR_SS_SU_SV_SZ_EES10_S11_S12_S13_S17_S18_S19_S1C_S1D_jS1E_jS1F_S1F_jjS1H_bEUljE0_EEES10_S11_S12_S19_S1D_S1F_T6_T7_T9_mT8_S1H_bDpT10_ENKUlT_T0_E_clISt17integral_constantIbLb0EES1U_IbLb1EEEEDaS1Q_S1R_EUlS1Q_E_NS1_11comp_targetILNS1_3genE8ELNS1_11target_archE1030ELNS1_3gpuE2ELNS1_3repE0EEENS1_30default_config_static_selectorELNS0_4arch9wavefront6targetE0EEEvS13_: ; @_ZN7rocprim17ROCPRIM_400000_NS6detail17trampoline_kernelINS0_13select_configILj256ELj13ELNS0_17block_load_methodE3ELS4_3ELS4_3ELNS0_20block_scan_algorithmE0ELj4294967295EEENS1_25partition_config_selectorILNS1_17partition_subalgoE4EjNS0_10empty_typeEbEEZZNS1_14partition_implILS8_4ELb0ES6_15HIP_vector_typeIjLj2EENS0_17counting_iteratorIjlEEPS9_SG_NS0_5tupleIJPjSI_NS0_16reverse_iteratorISI_EEEEENSH_IJSG_SG_SG_EEES9_SI_JZNS1_25segmented_radix_sort_implINS0_14default_configELb0EPK12hip_bfloat16PSP_PKlPlN2at6native12_GLOBAL__N_18offset_tEEE10hipError_tPvRmT1_PNSt15iterator_traitsIS13_E10value_typeET2_T3_PNS14_IS19_E10value_typeET4_jRbjT5_S1F_jjP12ihipStream_tbEUljE_ZNSN_ISO_Lb0ESR_SS_SU_SV_SZ_EES10_S11_S12_S13_S17_S18_S19_S1C_S1D_jS1E_jS1F_S1F_jjS1H_bEUljE0_EEES10_S11_S12_S19_S1D_S1F_T6_T7_T9_mT8_S1H_bDpT10_ENKUlT_T0_E_clISt17integral_constantIbLb0EES1U_IbLb1EEEEDaS1Q_S1R_EUlS1Q_E_NS1_11comp_targetILNS1_3genE8ELNS1_11target_archE1030ELNS1_3gpuE2ELNS1_3repE0EEENS1_30default_config_static_selectorELNS0_4arch9wavefront6targetE0EEEvS13_
; %bb.0:
	.section	.rodata,"a",@progbits
	.p2align	6, 0x0
	.amdhsa_kernel _ZN7rocprim17ROCPRIM_400000_NS6detail17trampoline_kernelINS0_13select_configILj256ELj13ELNS0_17block_load_methodE3ELS4_3ELS4_3ELNS0_20block_scan_algorithmE0ELj4294967295EEENS1_25partition_config_selectorILNS1_17partition_subalgoE4EjNS0_10empty_typeEbEEZZNS1_14partition_implILS8_4ELb0ES6_15HIP_vector_typeIjLj2EENS0_17counting_iteratorIjlEEPS9_SG_NS0_5tupleIJPjSI_NS0_16reverse_iteratorISI_EEEEENSH_IJSG_SG_SG_EEES9_SI_JZNS1_25segmented_radix_sort_implINS0_14default_configELb0EPK12hip_bfloat16PSP_PKlPlN2at6native12_GLOBAL__N_18offset_tEEE10hipError_tPvRmT1_PNSt15iterator_traitsIS13_E10value_typeET2_T3_PNS14_IS19_E10value_typeET4_jRbjT5_S1F_jjP12ihipStream_tbEUljE_ZNSN_ISO_Lb0ESR_SS_SU_SV_SZ_EES10_S11_S12_S13_S17_S18_S19_S1C_S1D_jS1E_jS1F_S1F_jjS1H_bEUljE0_EEES10_S11_S12_S19_S1D_S1F_T6_T7_T9_mT8_S1H_bDpT10_ENKUlT_T0_E_clISt17integral_constantIbLb0EES1U_IbLb1EEEEDaS1Q_S1R_EUlS1Q_E_NS1_11comp_targetILNS1_3genE8ELNS1_11target_archE1030ELNS1_3gpuE2ELNS1_3repE0EEENS1_30default_config_static_selectorELNS0_4arch9wavefront6targetE0EEEvS13_
		.amdhsa_group_segment_fixed_size 0
		.amdhsa_private_segment_fixed_size 0
		.amdhsa_kernarg_size 184
		.amdhsa_user_sgpr_count 2
		.amdhsa_user_sgpr_dispatch_ptr 0
		.amdhsa_user_sgpr_queue_ptr 0
		.amdhsa_user_sgpr_kernarg_segment_ptr 1
		.amdhsa_user_sgpr_dispatch_id 0
		.amdhsa_user_sgpr_private_segment_size 0
		.amdhsa_wavefront_size32 1
		.amdhsa_uses_dynamic_stack 0
		.amdhsa_enable_private_segment 0
		.amdhsa_system_sgpr_workgroup_id_x 1
		.amdhsa_system_sgpr_workgroup_id_y 0
		.amdhsa_system_sgpr_workgroup_id_z 0
		.amdhsa_system_sgpr_workgroup_info 0
		.amdhsa_system_vgpr_workitem_id 0
		.amdhsa_next_free_vgpr 1
		.amdhsa_next_free_sgpr 1
		.amdhsa_reserve_vcc 0
		.amdhsa_float_round_mode_32 0
		.amdhsa_float_round_mode_16_64 0
		.amdhsa_float_denorm_mode_32 3
		.amdhsa_float_denorm_mode_16_64 3
		.amdhsa_fp16_overflow 0
		.amdhsa_workgroup_processor_mode 1
		.amdhsa_memory_ordered 1
		.amdhsa_forward_progress 1
		.amdhsa_inst_pref_size 0
		.amdhsa_round_robin_scheduling 0
		.amdhsa_exception_fp_ieee_invalid_op 0
		.amdhsa_exception_fp_denorm_src 0
		.amdhsa_exception_fp_ieee_div_zero 0
		.amdhsa_exception_fp_ieee_overflow 0
		.amdhsa_exception_fp_ieee_underflow 0
		.amdhsa_exception_fp_ieee_inexact 0
		.amdhsa_exception_int_div_zero 0
	.end_amdhsa_kernel
	.section	.text._ZN7rocprim17ROCPRIM_400000_NS6detail17trampoline_kernelINS0_13select_configILj256ELj13ELNS0_17block_load_methodE3ELS4_3ELS4_3ELNS0_20block_scan_algorithmE0ELj4294967295EEENS1_25partition_config_selectorILNS1_17partition_subalgoE4EjNS0_10empty_typeEbEEZZNS1_14partition_implILS8_4ELb0ES6_15HIP_vector_typeIjLj2EENS0_17counting_iteratorIjlEEPS9_SG_NS0_5tupleIJPjSI_NS0_16reverse_iteratorISI_EEEEENSH_IJSG_SG_SG_EEES9_SI_JZNS1_25segmented_radix_sort_implINS0_14default_configELb0EPK12hip_bfloat16PSP_PKlPlN2at6native12_GLOBAL__N_18offset_tEEE10hipError_tPvRmT1_PNSt15iterator_traitsIS13_E10value_typeET2_T3_PNS14_IS19_E10value_typeET4_jRbjT5_S1F_jjP12ihipStream_tbEUljE_ZNSN_ISO_Lb0ESR_SS_SU_SV_SZ_EES10_S11_S12_S13_S17_S18_S19_S1C_S1D_jS1E_jS1F_S1F_jjS1H_bEUljE0_EEES10_S11_S12_S19_S1D_S1F_T6_T7_T9_mT8_S1H_bDpT10_ENKUlT_T0_E_clISt17integral_constantIbLb0EES1U_IbLb1EEEEDaS1Q_S1R_EUlS1Q_E_NS1_11comp_targetILNS1_3genE8ELNS1_11target_archE1030ELNS1_3gpuE2ELNS1_3repE0EEENS1_30default_config_static_selectorELNS0_4arch9wavefront6targetE0EEEvS13_,"axG",@progbits,_ZN7rocprim17ROCPRIM_400000_NS6detail17trampoline_kernelINS0_13select_configILj256ELj13ELNS0_17block_load_methodE3ELS4_3ELS4_3ELNS0_20block_scan_algorithmE0ELj4294967295EEENS1_25partition_config_selectorILNS1_17partition_subalgoE4EjNS0_10empty_typeEbEEZZNS1_14partition_implILS8_4ELb0ES6_15HIP_vector_typeIjLj2EENS0_17counting_iteratorIjlEEPS9_SG_NS0_5tupleIJPjSI_NS0_16reverse_iteratorISI_EEEEENSH_IJSG_SG_SG_EEES9_SI_JZNS1_25segmented_radix_sort_implINS0_14default_configELb0EPK12hip_bfloat16PSP_PKlPlN2at6native12_GLOBAL__N_18offset_tEEE10hipError_tPvRmT1_PNSt15iterator_traitsIS13_E10value_typeET2_T3_PNS14_IS19_E10value_typeET4_jRbjT5_S1F_jjP12ihipStream_tbEUljE_ZNSN_ISO_Lb0ESR_SS_SU_SV_SZ_EES10_S11_S12_S13_S17_S18_S19_S1C_S1D_jS1E_jS1F_S1F_jjS1H_bEUljE0_EEES10_S11_S12_S19_S1D_S1F_T6_T7_T9_mT8_S1H_bDpT10_ENKUlT_T0_E_clISt17integral_constantIbLb0EES1U_IbLb1EEEEDaS1Q_S1R_EUlS1Q_E_NS1_11comp_targetILNS1_3genE8ELNS1_11target_archE1030ELNS1_3gpuE2ELNS1_3repE0EEENS1_30default_config_static_selectorELNS0_4arch9wavefront6targetE0EEEvS13_,comdat
.Lfunc_end2016:
	.size	_ZN7rocprim17ROCPRIM_400000_NS6detail17trampoline_kernelINS0_13select_configILj256ELj13ELNS0_17block_load_methodE3ELS4_3ELS4_3ELNS0_20block_scan_algorithmE0ELj4294967295EEENS1_25partition_config_selectorILNS1_17partition_subalgoE4EjNS0_10empty_typeEbEEZZNS1_14partition_implILS8_4ELb0ES6_15HIP_vector_typeIjLj2EENS0_17counting_iteratorIjlEEPS9_SG_NS0_5tupleIJPjSI_NS0_16reverse_iteratorISI_EEEEENSH_IJSG_SG_SG_EEES9_SI_JZNS1_25segmented_radix_sort_implINS0_14default_configELb0EPK12hip_bfloat16PSP_PKlPlN2at6native12_GLOBAL__N_18offset_tEEE10hipError_tPvRmT1_PNSt15iterator_traitsIS13_E10value_typeET2_T3_PNS14_IS19_E10value_typeET4_jRbjT5_S1F_jjP12ihipStream_tbEUljE_ZNSN_ISO_Lb0ESR_SS_SU_SV_SZ_EES10_S11_S12_S13_S17_S18_S19_S1C_S1D_jS1E_jS1F_S1F_jjS1H_bEUljE0_EEES10_S11_S12_S19_S1D_S1F_T6_T7_T9_mT8_S1H_bDpT10_ENKUlT_T0_E_clISt17integral_constantIbLb0EES1U_IbLb1EEEEDaS1Q_S1R_EUlS1Q_E_NS1_11comp_targetILNS1_3genE8ELNS1_11target_archE1030ELNS1_3gpuE2ELNS1_3repE0EEENS1_30default_config_static_selectorELNS0_4arch9wavefront6targetE0EEEvS13_, .Lfunc_end2016-_ZN7rocprim17ROCPRIM_400000_NS6detail17trampoline_kernelINS0_13select_configILj256ELj13ELNS0_17block_load_methodE3ELS4_3ELS4_3ELNS0_20block_scan_algorithmE0ELj4294967295EEENS1_25partition_config_selectorILNS1_17partition_subalgoE4EjNS0_10empty_typeEbEEZZNS1_14partition_implILS8_4ELb0ES6_15HIP_vector_typeIjLj2EENS0_17counting_iteratorIjlEEPS9_SG_NS0_5tupleIJPjSI_NS0_16reverse_iteratorISI_EEEEENSH_IJSG_SG_SG_EEES9_SI_JZNS1_25segmented_radix_sort_implINS0_14default_configELb0EPK12hip_bfloat16PSP_PKlPlN2at6native12_GLOBAL__N_18offset_tEEE10hipError_tPvRmT1_PNSt15iterator_traitsIS13_E10value_typeET2_T3_PNS14_IS19_E10value_typeET4_jRbjT5_S1F_jjP12ihipStream_tbEUljE_ZNSN_ISO_Lb0ESR_SS_SU_SV_SZ_EES10_S11_S12_S13_S17_S18_S19_S1C_S1D_jS1E_jS1F_S1F_jjS1H_bEUljE0_EEES10_S11_S12_S19_S1D_S1F_T6_T7_T9_mT8_S1H_bDpT10_ENKUlT_T0_E_clISt17integral_constantIbLb0EES1U_IbLb1EEEEDaS1Q_S1R_EUlS1Q_E_NS1_11comp_targetILNS1_3genE8ELNS1_11target_archE1030ELNS1_3gpuE2ELNS1_3repE0EEENS1_30default_config_static_selectorELNS0_4arch9wavefront6targetE0EEEvS13_
                                        ; -- End function
	.set _ZN7rocprim17ROCPRIM_400000_NS6detail17trampoline_kernelINS0_13select_configILj256ELj13ELNS0_17block_load_methodE3ELS4_3ELS4_3ELNS0_20block_scan_algorithmE0ELj4294967295EEENS1_25partition_config_selectorILNS1_17partition_subalgoE4EjNS0_10empty_typeEbEEZZNS1_14partition_implILS8_4ELb0ES6_15HIP_vector_typeIjLj2EENS0_17counting_iteratorIjlEEPS9_SG_NS0_5tupleIJPjSI_NS0_16reverse_iteratorISI_EEEEENSH_IJSG_SG_SG_EEES9_SI_JZNS1_25segmented_radix_sort_implINS0_14default_configELb0EPK12hip_bfloat16PSP_PKlPlN2at6native12_GLOBAL__N_18offset_tEEE10hipError_tPvRmT1_PNSt15iterator_traitsIS13_E10value_typeET2_T3_PNS14_IS19_E10value_typeET4_jRbjT5_S1F_jjP12ihipStream_tbEUljE_ZNSN_ISO_Lb0ESR_SS_SU_SV_SZ_EES10_S11_S12_S13_S17_S18_S19_S1C_S1D_jS1E_jS1F_S1F_jjS1H_bEUljE0_EEES10_S11_S12_S19_S1D_S1F_T6_T7_T9_mT8_S1H_bDpT10_ENKUlT_T0_E_clISt17integral_constantIbLb0EES1U_IbLb1EEEEDaS1Q_S1R_EUlS1Q_E_NS1_11comp_targetILNS1_3genE8ELNS1_11target_archE1030ELNS1_3gpuE2ELNS1_3repE0EEENS1_30default_config_static_selectorELNS0_4arch9wavefront6targetE0EEEvS13_.num_vgpr, 0
	.set _ZN7rocprim17ROCPRIM_400000_NS6detail17trampoline_kernelINS0_13select_configILj256ELj13ELNS0_17block_load_methodE3ELS4_3ELS4_3ELNS0_20block_scan_algorithmE0ELj4294967295EEENS1_25partition_config_selectorILNS1_17partition_subalgoE4EjNS0_10empty_typeEbEEZZNS1_14partition_implILS8_4ELb0ES6_15HIP_vector_typeIjLj2EENS0_17counting_iteratorIjlEEPS9_SG_NS0_5tupleIJPjSI_NS0_16reverse_iteratorISI_EEEEENSH_IJSG_SG_SG_EEES9_SI_JZNS1_25segmented_radix_sort_implINS0_14default_configELb0EPK12hip_bfloat16PSP_PKlPlN2at6native12_GLOBAL__N_18offset_tEEE10hipError_tPvRmT1_PNSt15iterator_traitsIS13_E10value_typeET2_T3_PNS14_IS19_E10value_typeET4_jRbjT5_S1F_jjP12ihipStream_tbEUljE_ZNSN_ISO_Lb0ESR_SS_SU_SV_SZ_EES10_S11_S12_S13_S17_S18_S19_S1C_S1D_jS1E_jS1F_S1F_jjS1H_bEUljE0_EEES10_S11_S12_S19_S1D_S1F_T6_T7_T9_mT8_S1H_bDpT10_ENKUlT_T0_E_clISt17integral_constantIbLb0EES1U_IbLb1EEEEDaS1Q_S1R_EUlS1Q_E_NS1_11comp_targetILNS1_3genE8ELNS1_11target_archE1030ELNS1_3gpuE2ELNS1_3repE0EEENS1_30default_config_static_selectorELNS0_4arch9wavefront6targetE0EEEvS13_.num_agpr, 0
	.set _ZN7rocprim17ROCPRIM_400000_NS6detail17trampoline_kernelINS0_13select_configILj256ELj13ELNS0_17block_load_methodE3ELS4_3ELS4_3ELNS0_20block_scan_algorithmE0ELj4294967295EEENS1_25partition_config_selectorILNS1_17partition_subalgoE4EjNS0_10empty_typeEbEEZZNS1_14partition_implILS8_4ELb0ES6_15HIP_vector_typeIjLj2EENS0_17counting_iteratorIjlEEPS9_SG_NS0_5tupleIJPjSI_NS0_16reverse_iteratorISI_EEEEENSH_IJSG_SG_SG_EEES9_SI_JZNS1_25segmented_radix_sort_implINS0_14default_configELb0EPK12hip_bfloat16PSP_PKlPlN2at6native12_GLOBAL__N_18offset_tEEE10hipError_tPvRmT1_PNSt15iterator_traitsIS13_E10value_typeET2_T3_PNS14_IS19_E10value_typeET4_jRbjT5_S1F_jjP12ihipStream_tbEUljE_ZNSN_ISO_Lb0ESR_SS_SU_SV_SZ_EES10_S11_S12_S13_S17_S18_S19_S1C_S1D_jS1E_jS1F_S1F_jjS1H_bEUljE0_EEES10_S11_S12_S19_S1D_S1F_T6_T7_T9_mT8_S1H_bDpT10_ENKUlT_T0_E_clISt17integral_constantIbLb0EES1U_IbLb1EEEEDaS1Q_S1R_EUlS1Q_E_NS1_11comp_targetILNS1_3genE8ELNS1_11target_archE1030ELNS1_3gpuE2ELNS1_3repE0EEENS1_30default_config_static_selectorELNS0_4arch9wavefront6targetE0EEEvS13_.numbered_sgpr, 0
	.set _ZN7rocprim17ROCPRIM_400000_NS6detail17trampoline_kernelINS0_13select_configILj256ELj13ELNS0_17block_load_methodE3ELS4_3ELS4_3ELNS0_20block_scan_algorithmE0ELj4294967295EEENS1_25partition_config_selectorILNS1_17partition_subalgoE4EjNS0_10empty_typeEbEEZZNS1_14partition_implILS8_4ELb0ES6_15HIP_vector_typeIjLj2EENS0_17counting_iteratorIjlEEPS9_SG_NS0_5tupleIJPjSI_NS0_16reverse_iteratorISI_EEEEENSH_IJSG_SG_SG_EEES9_SI_JZNS1_25segmented_radix_sort_implINS0_14default_configELb0EPK12hip_bfloat16PSP_PKlPlN2at6native12_GLOBAL__N_18offset_tEEE10hipError_tPvRmT1_PNSt15iterator_traitsIS13_E10value_typeET2_T3_PNS14_IS19_E10value_typeET4_jRbjT5_S1F_jjP12ihipStream_tbEUljE_ZNSN_ISO_Lb0ESR_SS_SU_SV_SZ_EES10_S11_S12_S13_S17_S18_S19_S1C_S1D_jS1E_jS1F_S1F_jjS1H_bEUljE0_EEES10_S11_S12_S19_S1D_S1F_T6_T7_T9_mT8_S1H_bDpT10_ENKUlT_T0_E_clISt17integral_constantIbLb0EES1U_IbLb1EEEEDaS1Q_S1R_EUlS1Q_E_NS1_11comp_targetILNS1_3genE8ELNS1_11target_archE1030ELNS1_3gpuE2ELNS1_3repE0EEENS1_30default_config_static_selectorELNS0_4arch9wavefront6targetE0EEEvS13_.num_named_barrier, 0
	.set _ZN7rocprim17ROCPRIM_400000_NS6detail17trampoline_kernelINS0_13select_configILj256ELj13ELNS0_17block_load_methodE3ELS4_3ELS4_3ELNS0_20block_scan_algorithmE0ELj4294967295EEENS1_25partition_config_selectorILNS1_17partition_subalgoE4EjNS0_10empty_typeEbEEZZNS1_14partition_implILS8_4ELb0ES6_15HIP_vector_typeIjLj2EENS0_17counting_iteratorIjlEEPS9_SG_NS0_5tupleIJPjSI_NS0_16reverse_iteratorISI_EEEEENSH_IJSG_SG_SG_EEES9_SI_JZNS1_25segmented_radix_sort_implINS0_14default_configELb0EPK12hip_bfloat16PSP_PKlPlN2at6native12_GLOBAL__N_18offset_tEEE10hipError_tPvRmT1_PNSt15iterator_traitsIS13_E10value_typeET2_T3_PNS14_IS19_E10value_typeET4_jRbjT5_S1F_jjP12ihipStream_tbEUljE_ZNSN_ISO_Lb0ESR_SS_SU_SV_SZ_EES10_S11_S12_S13_S17_S18_S19_S1C_S1D_jS1E_jS1F_S1F_jjS1H_bEUljE0_EEES10_S11_S12_S19_S1D_S1F_T6_T7_T9_mT8_S1H_bDpT10_ENKUlT_T0_E_clISt17integral_constantIbLb0EES1U_IbLb1EEEEDaS1Q_S1R_EUlS1Q_E_NS1_11comp_targetILNS1_3genE8ELNS1_11target_archE1030ELNS1_3gpuE2ELNS1_3repE0EEENS1_30default_config_static_selectorELNS0_4arch9wavefront6targetE0EEEvS13_.private_seg_size, 0
	.set _ZN7rocprim17ROCPRIM_400000_NS6detail17trampoline_kernelINS0_13select_configILj256ELj13ELNS0_17block_load_methodE3ELS4_3ELS4_3ELNS0_20block_scan_algorithmE0ELj4294967295EEENS1_25partition_config_selectorILNS1_17partition_subalgoE4EjNS0_10empty_typeEbEEZZNS1_14partition_implILS8_4ELb0ES6_15HIP_vector_typeIjLj2EENS0_17counting_iteratorIjlEEPS9_SG_NS0_5tupleIJPjSI_NS0_16reverse_iteratorISI_EEEEENSH_IJSG_SG_SG_EEES9_SI_JZNS1_25segmented_radix_sort_implINS0_14default_configELb0EPK12hip_bfloat16PSP_PKlPlN2at6native12_GLOBAL__N_18offset_tEEE10hipError_tPvRmT1_PNSt15iterator_traitsIS13_E10value_typeET2_T3_PNS14_IS19_E10value_typeET4_jRbjT5_S1F_jjP12ihipStream_tbEUljE_ZNSN_ISO_Lb0ESR_SS_SU_SV_SZ_EES10_S11_S12_S13_S17_S18_S19_S1C_S1D_jS1E_jS1F_S1F_jjS1H_bEUljE0_EEES10_S11_S12_S19_S1D_S1F_T6_T7_T9_mT8_S1H_bDpT10_ENKUlT_T0_E_clISt17integral_constantIbLb0EES1U_IbLb1EEEEDaS1Q_S1R_EUlS1Q_E_NS1_11comp_targetILNS1_3genE8ELNS1_11target_archE1030ELNS1_3gpuE2ELNS1_3repE0EEENS1_30default_config_static_selectorELNS0_4arch9wavefront6targetE0EEEvS13_.uses_vcc, 0
	.set _ZN7rocprim17ROCPRIM_400000_NS6detail17trampoline_kernelINS0_13select_configILj256ELj13ELNS0_17block_load_methodE3ELS4_3ELS4_3ELNS0_20block_scan_algorithmE0ELj4294967295EEENS1_25partition_config_selectorILNS1_17partition_subalgoE4EjNS0_10empty_typeEbEEZZNS1_14partition_implILS8_4ELb0ES6_15HIP_vector_typeIjLj2EENS0_17counting_iteratorIjlEEPS9_SG_NS0_5tupleIJPjSI_NS0_16reverse_iteratorISI_EEEEENSH_IJSG_SG_SG_EEES9_SI_JZNS1_25segmented_radix_sort_implINS0_14default_configELb0EPK12hip_bfloat16PSP_PKlPlN2at6native12_GLOBAL__N_18offset_tEEE10hipError_tPvRmT1_PNSt15iterator_traitsIS13_E10value_typeET2_T3_PNS14_IS19_E10value_typeET4_jRbjT5_S1F_jjP12ihipStream_tbEUljE_ZNSN_ISO_Lb0ESR_SS_SU_SV_SZ_EES10_S11_S12_S13_S17_S18_S19_S1C_S1D_jS1E_jS1F_S1F_jjS1H_bEUljE0_EEES10_S11_S12_S19_S1D_S1F_T6_T7_T9_mT8_S1H_bDpT10_ENKUlT_T0_E_clISt17integral_constantIbLb0EES1U_IbLb1EEEEDaS1Q_S1R_EUlS1Q_E_NS1_11comp_targetILNS1_3genE8ELNS1_11target_archE1030ELNS1_3gpuE2ELNS1_3repE0EEENS1_30default_config_static_selectorELNS0_4arch9wavefront6targetE0EEEvS13_.uses_flat_scratch, 0
	.set _ZN7rocprim17ROCPRIM_400000_NS6detail17trampoline_kernelINS0_13select_configILj256ELj13ELNS0_17block_load_methodE3ELS4_3ELS4_3ELNS0_20block_scan_algorithmE0ELj4294967295EEENS1_25partition_config_selectorILNS1_17partition_subalgoE4EjNS0_10empty_typeEbEEZZNS1_14partition_implILS8_4ELb0ES6_15HIP_vector_typeIjLj2EENS0_17counting_iteratorIjlEEPS9_SG_NS0_5tupleIJPjSI_NS0_16reverse_iteratorISI_EEEEENSH_IJSG_SG_SG_EEES9_SI_JZNS1_25segmented_radix_sort_implINS0_14default_configELb0EPK12hip_bfloat16PSP_PKlPlN2at6native12_GLOBAL__N_18offset_tEEE10hipError_tPvRmT1_PNSt15iterator_traitsIS13_E10value_typeET2_T3_PNS14_IS19_E10value_typeET4_jRbjT5_S1F_jjP12ihipStream_tbEUljE_ZNSN_ISO_Lb0ESR_SS_SU_SV_SZ_EES10_S11_S12_S13_S17_S18_S19_S1C_S1D_jS1E_jS1F_S1F_jjS1H_bEUljE0_EEES10_S11_S12_S19_S1D_S1F_T6_T7_T9_mT8_S1H_bDpT10_ENKUlT_T0_E_clISt17integral_constantIbLb0EES1U_IbLb1EEEEDaS1Q_S1R_EUlS1Q_E_NS1_11comp_targetILNS1_3genE8ELNS1_11target_archE1030ELNS1_3gpuE2ELNS1_3repE0EEENS1_30default_config_static_selectorELNS0_4arch9wavefront6targetE0EEEvS13_.has_dyn_sized_stack, 0
	.set _ZN7rocprim17ROCPRIM_400000_NS6detail17trampoline_kernelINS0_13select_configILj256ELj13ELNS0_17block_load_methodE3ELS4_3ELS4_3ELNS0_20block_scan_algorithmE0ELj4294967295EEENS1_25partition_config_selectorILNS1_17partition_subalgoE4EjNS0_10empty_typeEbEEZZNS1_14partition_implILS8_4ELb0ES6_15HIP_vector_typeIjLj2EENS0_17counting_iteratorIjlEEPS9_SG_NS0_5tupleIJPjSI_NS0_16reverse_iteratorISI_EEEEENSH_IJSG_SG_SG_EEES9_SI_JZNS1_25segmented_radix_sort_implINS0_14default_configELb0EPK12hip_bfloat16PSP_PKlPlN2at6native12_GLOBAL__N_18offset_tEEE10hipError_tPvRmT1_PNSt15iterator_traitsIS13_E10value_typeET2_T3_PNS14_IS19_E10value_typeET4_jRbjT5_S1F_jjP12ihipStream_tbEUljE_ZNSN_ISO_Lb0ESR_SS_SU_SV_SZ_EES10_S11_S12_S13_S17_S18_S19_S1C_S1D_jS1E_jS1F_S1F_jjS1H_bEUljE0_EEES10_S11_S12_S19_S1D_S1F_T6_T7_T9_mT8_S1H_bDpT10_ENKUlT_T0_E_clISt17integral_constantIbLb0EES1U_IbLb1EEEEDaS1Q_S1R_EUlS1Q_E_NS1_11comp_targetILNS1_3genE8ELNS1_11target_archE1030ELNS1_3gpuE2ELNS1_3repE0EEENS1_30default_config_static_selectorELNS0_4arch9wavefront6targetE0EEEvS13_.has_recursion, 0
	.set _ZN7rocprim17ROCPRIM_400000_NS6detail17trampoline_kernelINS0_13select_configILj256ELj13ELNS0_17block_load_methodE3ELS4_3ELS4_3ELNS0_20block_scan_algorithmE0ELj4294967295EEENS1_25partition_config_selectorILNS1_17partition_subalgoE4EjNS0_10empty_typeEbEEZZNS1_14partition_implILS8_4ELb0ES6_15HIP_vector_typeIjLj2EENS0_17counting_iteratorIjlEEPS9_SG_NS0_5tupleIJPjSI_NS0_16reverse_iteratorISI_EEEEENSH_IJSG_SG_SG_EEES9_SI_JZNS1_25segmented_radix_sort_implINS0_14default_configELb0EPK12hip_bfloat16PSP_PKlPlN2at6native12_GLOBAL__N_18offset_tEEE10hipError_tPvRmT1_PNSt15iterator_traitsIS13_E10value_typeET2_T3_PNS14_IS19_E10value_typeET4_jRbjT5_S1F_jjP12ihipStream_tbEUljE_ZNSN_ISO_Lb0ESR_SS_SU_SV_SZ_EES10_S11_S12_S13_S17_S18_S19_S1C_S1D_jS1E_jS1F_S1F_jjS1H_bEUljE0_EEES10_S11_S12_S19_S1D_S1F_T6_T7_T9_mT8_S1H_bDpT10_ENKUlT_T0_E_clISt17integral_constantIbLb0EES1U_IbLb1EEEEDaS1Q_S1R_EUlS1Q_E_NS1_11comp_targetILNS1_3genE8ELNS1_11target_archE1030ELNS1_3gpuE2ELNS1_3repE0EEENS1_30default_config_static_selectorELNS0_4arch9wavefront6targetE0EEEvS13_.has_indirect_call, 0
	.section	.AMDGPU.csdata,"",@progbits
; Kernel info:
; codeLenInByte = 0
; TotalNumSgprs: 0
; NumVgprs: 0
; ScratchSize: 0
; MemoryBound: 0
; FloatMode: 240
; IeeeMode: 1
; LDSByteSize: 0 bytes/workgroup (compile time only)
; SGPRBlocks: 0
; VGPRBlocks: 0
; NumSGPRsForWavesPerEU: 1
; NumVGPRsForWavesPerEU: 1
; Occupancy: 16
; WaveLimiterHint : 0
; COMPUTE_PGM_RSRC2:SCRATCH_EN: 0
; COMPUTE_PGM_RSRC2:USER_SGPR: 2
; COMPUTE_PGM_RSRC2:TRAP_HANDLER: 0
; COMPUTE_PGM_RSRC2:TGID_X_EN: 1
; COMPUTE_PGM_RSRC2:TGID_Y_EN: 0
; COMPUTE_PGM_RSRC2:TGID_Z_EN: 0
; COMPUTE_PGM_RSRC2:TIDIG_COMP_CNT: 0
	.section	.text._ZN7rocprim17ROCPRIM_400000_NS6detail17trampoline_kernelINS0_13select_configILj256ELj13ELNS0_17block_load_methodE3ELS4_3ELS4_3ELNS0_20block_scan_algorithmE0ELj4294967295EEENS1_25partition_config_selectorILNS1_17partition_subalgoE3EjNS0_10empty_typeEbEEZZNS1_14partition_implILS8_3ELb0ES6_jNS0_17counting_iteratorIjlEEPS9_SE_NS0_5tupleIJPjSE_EEENSF_IJSE_SE_EEES9_SG_JZNS1_25segmented_radix_sort_implINS0_14default_configELb0EPK12hip_bfloat16PSL_PKlPlN2at6native12_GLOBAL__N_18offset_tEEE10hipError_tPvRmT1_PNSt15iterator_traitsISZ_E10value_typeET2_T3_PNS10_IS15_E10value_typeET4_jRbjT5_S1B_jjP12ihipStream_tbEUljE_EEESW_SX_SY_S15_S19_S1B_T6_T7_T9_mT8_S1D_bDpT10_ENKUlT_T0_E_clISt17integral_constantIbLb0EES1Q_EEDaS1L_S1M_EUlS1L_E_NS1_11comp_targetILNS1_3genE0ELNS1_11target_archE4294967295ELNS1_3gpuE0ELNS1_3repE0EEENS1_30default_config_static_selectorELNS0_4arch9wavefront6targetE0EEEvSZ_,"axG",@progbits,_ZN7rocprim17ROCPRIM_400000_NS6detail17trampoline_kernelINS0_13select_configILj256ELj13ELNS0_17block_load_methodE3ELS4_3ELS4_3ELNS0_20block_scan_algorithmE0ELj4294967295EEENS1_25partition_config_selectorILNS1_17partition_subalgoE3EjNS0_10empty_typeEbEEZZNS1_14partition_implILS8_3ELb0ES6_jNS0_17counting_iteratorIjlEEPS9_SE_NS0_5tupleIJPjSE_EEENSF_IJSE_SE_EEES9_SG_JZNS1_25segmented_radix_sort_implINS0_14default_configELb0EPK12hip_bfloat16PSL_PKlPlN2at6native12_GLOBAL__N_18offset_tEEE10hipError_tPvRmT1_PNSt15iterator_traitsISZ_E10value_typeET2_T3_PNS10_IS15_E10value_typeET4_jRbjT5_S1B_jjP12ihipStream_tbEUljE_EEESW_SX_SY_S15_S19_S1B_T6_T7_T9_mT8_S1D_bDpT10_ENKUlT_T0_E_clISt17integral_constantIbLb0EES1Q_EEDaS1L_S1M_EUlS1L_E_NS1_11comp_targetILNS1_3genE0ELNS1_11target_archE4294967295ELNS1_3gpuE0ELNS1_3repE0EEENS1_30default_config_static_selectorELNS0_4arch9wavefront6targetE0EEEvSZ_,comdat
	.globl	_ZN7rocprim17ROCPRIM_400000_NS6detail17trampoline_kernelINS0_13select_configILj256ELj13ELNS0_17block_load_methodE3ELS4_3ELS4_3ELNS0_20block_scan_algorithmE0ELj4294967295EEENS1_25partition_config_selectorILNS1_17partition_subalgoE3EjNS0_10empty_typeEbEEZZNS1_14partition_implILS8_3ELb0ES6_jNS0_17counting_iteratorIjlEEPS9_SE_NS0_5tupleIJPjSE_EEENSF_IJSE_SE_EEES9_SG_JZNS1_25segmented_radix_sort_implINS0_14default_configELb0EPK12hip_bfloat16PSL_PKlPlN2at6native12_GLOBAL__N_18offset_tEEE10hipError_tPvRmT1_PNSt15iterator_traitsISZ_E10value_typeET2_T3_PNS10_IS15_E10value_typeET4_jRbjT5_S1B_jjP12ihipStream_tbEUljE_EEESW_SX_SY_S15_S19_S1B_T6_T7_T9_mT8_S1D_bDpT10_ENKUlT_T0_E_clISt17integral_constantIbLb0EES1Q_EEDaS1L_S1M_EUlS1L_E_NS1_11comp_targetILNS1_3genE0ELNS1_11target_archE4294967295ELNS1_3gpuE0ELNS1_3repE0EEENS1_30default_config_static_selectorELNS0_4arch9wavefront6targetE0EEEvSZ_ ; -- Begin function _ZN7rocprim17ROCPRIM_400000_NS6detail17trampoline_kernelINS0_13select_configILj256ELj13ELNS0_17block_load_methodE3ELS4_3ELS4_3ELNS0_20block_scan_algorithmE0ELj4294967295EEENS1_25partition_config_selectorILNS1_17partition_subalgoE3EjNS0_10empty_typeEbEEZZNS1_14partition_implILS8_3ELb0ES6_jNS0_17counting_iteratorIjlEEPS9_SE_NS0_5tupleIJPjSE_EEENSF_IJSE_SE_EEES9_SG_JZNS1_25segmented_radix_sort_implINS0_14default_configELb0EPK12hip_bfloat16PSL_PKlPlN2at6native12_GLOBAL__N_18offset_tEEE10hipError_tPvRmT1_PNSt15iterator_traitsISZ_E10value_typeET2_T3_PNS10_IS15_E10value_typeET4_jRbjT5_S1B_jjP12ihipStream_tbEUljE_EEESW_SX_SY_S15_S19_S1B_T6_T7_T9_mT8_S1D_bDpT10_ENKUlT_T0_E_clISt17integral_constantIbLb0EES1Q_EEDaS1L_S1M_EUlS1L_E_NS1_11comp_targetILNS1_3genE0ELNS1_11target_archE4294967295ELNS1_3gpuE0ELNS1_3repE0EEENS1_30default_config_static_selectorELNS0_4arch9wavefront6targetE0EEEvSZ_
	.p2align	8
	.type	_ZN7rocprim17ROCPRIM_400000_NS6detail17trampoline_kernelINS0_13select_configILj256ELj13ELNS0_17block_load_methodE3ELS4_3ELS4_3ELNS0_20block_scan_algorithmE0ELj4294967295EEENS1_25partition_config_selectorILNS1_17partition_subalgoE3EjNS0_10empty_typeEbEEZZNS1_14partition_implILS8_3ELb0ES6_jNS0_17counting_iteratorIjlEEPS9_SE_NS0_5tupleIJPjSE_EEENSF_IJSE_SE_EEES9_SG_JZNS1_25segmented_radix_sort_implINS0_14default_configELb0EPK12hip_bfloat16PSL_PKlPlN2at6native12_GLOBAL__N_18offset_tEEE10hipError_tPvRmT1_PNSt15iterator_traitsISZ_E10value_typeET2_T3_PNS10_IS15_E10value_typeET4_jRbjT5_S1B_jjP12ihipStream_tbEUljE_EEESW_SX_SY_S15_S19_S1B_T6_T7_T9_mT8_S1D_bDpT10_ENKUlT_T0_E_clISt17integral_constantIbLb0EES1Q_EEDaS1L_S1M_EUlS1L_E_NS1_11comp_targetILNS1_3genE0ELNS1_11target_archE4294967295ELNS1_3gpuE0ELNS1_3repE0EEENS1_30default_config_static_selectorELNS0_4arch9wavefront6targetE0EEEvSZ_,@function
_ZN7rocprim17ROCPRIM_400000_NS6detail17trampoline_kernelINS0_13select_configILj256ELj13ELNS0_17block_load_methodE3ELS4_3ELS4_3ELNS0_20block_scan_algorithmE0ELj4294967295EEENS1_25partition_config_selectorILNS1_17partition_subalgoE3EjNS0_10empty_typeEbEEZZNS1_14partition_implILS8_3ELb0ES6_jNS0_17counting_iteratorIjlEEPS9_SE_NS0_5tupleIJPjSE_EEENSF_IJSE_SE_EEES9_SG_JZNS1_25segmented_radix_sort_implINS0_14default_configELb0EPK12hip_bfloat16PSL_PKlPlN2at6native12_GLOBAL__N_18offset_tEEE10hipError_tPvRmT1_PNSt15iterator_traitsISZ_E10value_typeET2_T3_PNS10_IS15_E10value_typeET4_jRbjT5_S1B_jjP12ihipStream_tbEUljE_EEESW_SX_SY_S15_S19_S1B_T6_T7_T9_mT8_S1D_bDpT10_ENKUlT_T0_E_clISt17integral_constantIbLb0EES1Q_EEDaS1L_S1M_EUlS1L_E_NS1_11comp_targetILNS1_3genE0ELNS1_11target_archE4294967295ELNS1_3gpuE0ELNS1_3repE0EEENS1_30default_config_static_selectorELNS0_4arch9wavefront6targetE0EEEvSZ_: ; @_ZN7rocprim17ROCPRIM_400000_NS6detail17trampoline_kernelINS0_13select_configILj256ELj13ELNS0_17block_load_methodE3ELS4_3ELS4_3ELNS0_20block_scan_algorithmE0ELj4294967295EEENS1_25partition_config_selectorILNS1_17partition_subalgoE3EjNS0_10empty_typeEbEEZZNS1_14partition_implILS8_3ELb0ES6_jNS0_17counting_iteratorIjlEEPS9_SE_NS0_5tupleIJPjSE_EEENSF_IJSE_SE_EEES9_SG_JZNS1_25segmented_radix_sort_implINS0_14default_configELb0EPK12hip_bfloat16PSL_PKlPlN2at6native12_GLOBAL__N_18offset_tEEE10hipError_tPvRmT1_PNSt15iterator_traitsISZ_E10value_typeET2_T3_PNS10_IS15_E10value_typeET4_jRbjT5_S1B_jjP12ihipStream_tbEUljE_EEESW_SX_SY_S15_S19_S1B_T6_T7_T9_mT8_S1D_bDpT10_ENKUlT_T0_E_clISt17integral_constantIbLb0EES1Q_EEDaS1L_S1M_EUlS1L_E_NS1_11comp_targetILNS1_3genE0ELNS1_11target_archE4294967295ELNS1_3gpuE0ELNS1_3repE0EEENS1_30default_config_static_selectorELNS0_4arch9wavefront6targetE0EEEvSZ_
; %bb.0:
	.section	.rodata,"a",@progbits
	.p2align	6, 0x0
	.amdhsa_kernel _ZN7rocprim17ROCPRIM_400000_NS6detail17trampoline_kernelINS0_13select_configILj256ELj13ELNS0_17block_load_methodE3ELS4_3ELS4_3ELNS0_20block_scan_algorithmE0ELj4294967295EEENS1_25partition_config_selectorILNS1_17partition_subalgoE3EjNS0_10empty_typeEbEEZZNS1_14partition_implILS8_3ELb0ES6_jNS0_17counting_iteratorIjlEEPS9_SE_NS0_5tupleIJPjSE_EEENSF_IJSE_SE_EEES9_SG_JZNS1_25segmented_radix_sort_implINS0_14default_configELb0EPK12hip_bfloat16PSL_PKlPlN2at6native12_GLOBAL__N_18offset_tEEE10hipError_tPvRmT1_PNSt15iterator_traitsISZ_E10value_typeET2_T3_PNS10_IS15_E10value_typeET4_jRbjT5_S1B_jjP12ihipStream_tbEUljE_EEESW_SX_SY_S15_S19_S1B_T6_T7_T9_mT8_S1D_bDpT10_ENKUlT_T0_E_clISt17integral_constantIbLb0EES1Q_EEDaS1L_S1M_EUlS1L_E_NS1_11comp_targetILNS1_3genE0ELNS1_11target_archE4294967295ELNS1_3gpuE0ELNS1_3repE0EEENS1_30default_config_static_selectorELNS0_4arch9wavefront6targetE0EEEvSZ_
		.amdhsa_group_segment_fixed_size 0
		.amdhsa_private_segment_fixed_size 0
		.amdhsa_kernarg_size 144
		.amdhsa_user_sgpr_count 2
		.amdhsa_user_sgpr_dispatch_ptr 0
		.amdhsa_user_sgpr_queue_ptr 0
		.amdhsa_user_sgpr_kernarg_segment_ptr 1
		.amdhsa_user_sgpr_dispatch_id 0
		.amdhsa_user_sgpr_private_segment_size 0
		.amdhsa_wavefront_size32 1
		.amdhsa_uses_dynamic_stack 0
		.amdhsa_enable_private_segment 0
		.amdhsa_system_sgpr_workgroup_id_x 1
		.amdhsa_system_sgpr_workgroup_id_y 0
		.amdhsa_system_sgpr_workgroup_id_z 0
		.amdhsa_system_sgpr_workgroup_info 0
		.amdhsa_system_vgpr_workitem_id 0
		.amdhsa_next_free_vgpr 1
		.amdhsa_next_free_sgpr 1
		.amdhsa_reserve_vcc 0
		.amdhsa_float_round_mode_32 0
		.amdhsa_float_round_mode_16_64 0
		.amdhsa_float_denorm_mode_32 3
		.amdhsa_float_denorm_mode_16_64 3
		.amdhsa_fp16_overflow 0
		.amdhsa_workgroup_processor_mode 1
		.amdhsa_memory_ordered 1
		.amdhsa_forward_progress 1
		.amdhsa_inst_pref_size 0
		.amdhsa_round_robin_scheduling 0
		.amdhsa_exception_fp_ieee_invalid_op 0
		.amdhsa_exception_fp_denorm_src 0
		.amdhsa_exception_fp_ieee_div_zero 0
		.amdhsa_exception_fp_ieee_overflow 0
		.amdhsa_exception_fp_ieee_underflow 0
		.amdhsa_exception_fp_ieee_inexact 0
		.amdhsa_exception_int_div_zero 0
	.end_amdhsa_kernel
	.section	.text._ZN7rocprim17ROCPRIM_400000_NS6detail17trampoline_kernelINS0_13select_configILj256ELj13ELNS0_17block_load_methodE3ELS4_3ELS4_3ELNS0_20block_scan_algorithmE0ELj4294967295EEENS1_25partition_config_selectorILNS1_17partition_subalgoE3EjNS0_10empty_typeEbEEZZNS1_14partition_implILS8_3ELb0ES6_jNS0_17counting_iteratorIjlEEPS9_SE_NS0_5tupleIJPjSE_EEENSF_IJSE_SE_EEES9_SG_JZNS1_25segmented_radix_sort_implINS0_14default_configELb0EPK12hip_bfloat16PSL_PKlPlN2at6native12_GLOBAL__N_18offset_tEEE10hipError_tPvRmT1_PNSt15iterator_traitsISZ_E10value_typeET2_T3_PNS10_IS15_E10value_typeET4_jRbjT5_S1B_jjP12ihipStream_tbEUljE_EEESW_SX_SY_S15_S19_S1B_T6_T7_T9_mT8_S1D_bDpT10_ENKUlT_T0_E_clISt17integral_constantIbLb0EES1Q_EEDaS1L_S1M_EUlS1L_E_NS1_11comp_targetILNS1_3genE0ELNS1_11target_archE4294967295ELNS1_3gpuE0ELNS1_3repE0EEENS1_30default_config_static_selectorELNS0_4arch9wavefront6targetE0EEEvSZ_,"axG",@progbits,_ZN7rocprim17ROCPRIM_400000_NS6detail17trampoline_kernelINS0_13select_configILj256ELj13ELNS0_17block_load_methodE3ELS4_3ELS4_3ELNS0_20block_scan_algorithmE0ELj4294967295EEENS1_25partition_config_selectorILNS1_17partition_subalgoE3EjNS0_10empty_typeEbEEZZNS1_14partition_implILS8_3ELb0ES6_jNS0_17counting_iteratorIjlEEPS9_SE_NS0_5tupleIJPjSE_EEENSF_IJSE_SE_EEES9_SG_JZNS1_25segmented_radix_sort_implINS0_14default_configELb0EPK12hip_bfloat16PSL_PKlPlN2at6native12_GLOBAL__N_18offset_tEEE10hipError_tPvRmT1_PNSt15iterator_traitsISZ_E10value_typeET2_T3_PNS10_IS15_E10value_typeET4_jRbjT5_S1B_jjP12ihipStream_tbEUljE_EEESW_SX_SY_S15_S19_S1B_T6_T7_T9_mT8_S1D_bDpT10_ENKUlT_T0_E_clISt17integral_constantIbLb0EES1Q_EEDaS1L_S1M_EUlS1L_E_NS1_11comp_targetILNS1_3genE0ELNS1_11target_archE4294967295ELNS1_3gpuE0ELNS1_3repE0EEENS1_30default_config_static_selectorELNS0_4arch9wavefront6targetE0EEEvSZ_,comdat
.Lfunc_end2017:
	.size	_ZN7rocprim17ROCPRIM_400000_NS6detail17trampoline_kernelINS0_13select_configILj256ELj13ELNS0_17block_load_methodE3ELS4_3ELS4_3ELNS0_20block_scan_algorithmE0ELj4294967295EEENS1_25partition_config_selectorILNS1_17partition_subalgoE3EjNS0_10empty_typeEbEEZZNS1_14partition_implILS8_3ELb0ES6_jNS0_17counting_iteratorIjlEEPS9_SE_NS0_5tupleIJPjSE_EEENSF_IJSE_SE_EEES9_SG_JZNS1_25segmented_radix_sort_implINS0_14default_configELb0EPK12hip_bfloat16PSL_PKlPlN2at6native12_GLOBAL__N_18offset_tEEE10hipError_tPvRmT1_PNSt15iterator_traitsISZ_E10value_typeET2_T3_PNS10_IS15_E10value_typeET4_jRbjT5_S1B_jjP12ihipStream_tbEUljE_EEESW_SX_SY_S15_S19_S1B_T6_T7_T9_mT8_S1D_bDpT10_ENKUlT_T0_E_clISt17integral_constantIbLb0EES1Q_EEDaS1L_S1M_EUlS1L_E_NS1_11comp_targetILNS1_3genE0ELNS1_11target_archE4294967295ELNS1_3gpuE0ELNS1_3repE0EEENS1_30default_config_static_selectorELNS0_4arch9wavefront6targetE0EEEvSZ_, .Lfunc_end2017-_ZN7rocprim17ROCPRIM_400000_NS6detail17trampoline_kernelINS0_13select_configILj256ELj13ELNS0_17block_load_methodE3ELS4_3ELS4_3ELNS0_20block_scan_algorithmE0ELj4294967295EEENS1_25partition_config_selectorILNS1_17partition_subalgoE3EjNS0_10empty_typeEbEEZZNS1_14partition_implILS8_3ELb0ES6_jNS0_17counting_iteratorIjlEEPS9_SE_NS0_5tupleIJPjSE_EEENSF_IJSE_SE_EEES9_SG_JZNS1_25segmented_radix_sort_implINS0_14default_configELb0EPK12hip_bfloat16PSL_PKlPlN2at6native12_GLOBAL__N_18offset_tEEE10hipError_tPvRmT1_PNSt15iterator_traitsISZ_E10value_typeET2_T3_PNS10_IS15_E10value_typeET4_jRbjT5_S1B_jjP12ihipStream_tbEUljE_EEESW_SX_SY_S15_S19_S1B_T6_T7_T9_mT8_S1D_bDpT10_ENKUlT_T0_E_clISt17integral_constantIbLb0EES1Q_EEDaS1L_S1M_EUlS1L_E_NS1_11comp_targetILNS1_3genE0ELNS1_11target_archE4294967295ELNS1_3gpuE0ELNS1_3repE0EEENS1_30default_config_static_selectorELNS0_4arch9wavefront6targetE0EEEvSZ_
                                        ; -- End function
	.set _ZN7rocprim17ROCPRIM_400000_NS6detail17trampoline_kernelINS0_13select_configILj256ELj13ELNS0_17block_load_methodE3ELS4_3ELS4_3ELNS0_20block_scan_algorithmE0ELj4294967295EEENS1_25partition_config_selectorILNS1_17partition_subalgoE3EjNS0_10empty_typeEbEEZZNS1_14partition_implILS8_3ELb0ES6_jNS0_17counting_iteratorIjlEEPS9_SE_NS0_5tupleIJPjSE_EEENSF_IJSE_SE_EEES9_SG_JZNS1_25segmented_radix_sort_implINS0_14default_configELb0EPK12hip_bfloat16PSL_PKlPlN2at6native12_GLOBAL__N_18offset_tEEE10hipError_tPvRmT1_PNSt15iterator_traitsISZ_E10value_typeET2_T3_PNS10_IS15_E10value_typeET4_jRbjT5_S1B_jjP12ihipStream_tbEUljE_EEESW_SX_SY_S15_S19_S1B_T6_T7_T9_mT8_S1D_bDpT10_ENKUlT_T0_E_clISt17integral_constantIbLb0EES1Q_EEDaS1L_S1M_EUlS1L_E_NS1_11comp_targetILNS1_3genE0ELNS1_11target_archE4294967295ELNS1_3gpuE0ELNS1_3repE0EEENS1_30default_config_static_selectorELNS0_4arch9wavefront6targetE0EEEvSZ_.num_vgpr, 0
	.set _ZN7rocprim17ROCPRIM_400000_NS6detail17trampoline_kernelINS0_13select_configILj256ELj13ELNS0_17block_load_methodE3ELS4_3ELS4_3ELNS0_20block_scan_algorithmE0ELj4294967295EEENS1_25partition_config_selectorILNS1_17partition_subalgoE3EjNS0_10empty_typeEbEEZZNS1_14partition_implILS8_3ELb0ES6_jNS0_17counting_iteratorIjlEEPS9_SE_NS0_5tupleIJPjSE_EEENSF_IJSE_SE_EEES9_SG_JZNS1_25segmented_radix_sort_implINS0_14default_configELb0EPK12hip_bfloat16PSL_PKlPlN2at6native12_GLOBAL__N_18offset_tEEE10hipError_tPvRmT1_PNSt15iterator_traitsISZ_E10value_typeET2_T3_PNS10_IS15_E10value_typeET4_jRbjT5_S1B_jjP12ihipStream_tbEUljE_EEESW_SX_SY_S15_S19_S1B_T6_T7_T9_mT8_S1D_bDpT10_ENKUlT_T0_E_clISt17integral_constantIbLb0EES1Q_EEDaS1L_S1M_EUlS1L_E_NS1_11comp_targetILNS1_3genE0ELNS1_11target_archE4294967295ELNS1_3gpuE0ELNS1_3repE0EEENS1_30default_config_static_selectorELNS0_4arch9wavefront6targetE0EEEvSZ_.num_agpr, 0
	.set _ZN7rocprim17ROCPRIM_400000_NS6detail17trampoline_kernelINS0_13select_configILj256ELj13ELNS0_17block_load_methodE3ELS4_3ELS4_3ELNS0_20block_scan_algorithmE0ELj4294967295EEENS1_25partition_config_selectorILNS1_17partition_subalgoE3EjNS0_10empty_typeEbEEZZNS1_14partition_implILS8_3ELb0ES6_jNS0_17counting_iteratorIjlEEPS9_SE_NS0_5tupleIJPjSE_EEENSF_IJSE_SE_EEES9_SG_JZNS1_25segmented_radix_sort_implINS0_14default_configELb0EPK12hip_bfloat16PSL_PKlPlN2at6native12_GLOBAL__N_18offset_tEEE10hipError_tPvRmT1_PNSt15iterator_traitsISZ_E10value_typeET2_T3_PNS10_IS15_E10value_typeET4_jRbjT5_S1B_jjP12ihipStream_tbEUljE_EEESW_SX_SY_S15_S19_S1B_T6_T7_T9_mT8_S1D_bDpT10_ENKUlT_T0_E_clISt17integral_constantIbLb0EES1Q_EEDaS1L_S1M_EUlS1L_E_NS1_11comp_targetILNS1_3genE0ELNS1_11target_archE4294967295ELNS1_3gpuE0ELNS1_3repE0EEENS1_30default_config_static_selectorELNS0_4arch9wavefront6targetE0EEEvSZ_.numbered_sgpr, 0
	.set _ZN7rocprim17ROCPRIM_400000_NS6detail17trampoline_kernelINS0_13select_configILj256ELj13ELNS0_17block_load_methodE3ELS4_3ELS4_3ELNS0_20block_scan_algorithmE0ELj4294967295EEENS1_25partition_config_selectorILNS1_17partition_subalgoE3EjNS0_10empty_typeEbEEZZNS1_14partition_implILS8_3ELb0ES6_jNS0_17counting_iteratorIjlEEPS9_SE_NS0_5tupleIJPjSE_EEENSF_IJSE_SE_EEES9_SG_JZNS1_25segmented_radix_sort_implINS0_14default_configELb0EPK12hip_bfloat16PSL_PKlPlN2at6native12_GLOBAL__N_18offset_tEEE10hipError_tPvRmT1_PNSt15iterator_traitsISZ_E10value_typeET2_T3_PNS10_IS15_E10value_typeET4_jRbjT5_S1B_jjP12ihipStream_tbEUljE_EEESW_SX_SY_S15_S19_S1B_T6_T7_T9_mT8_S1D_bDpT10_ENKUlT_T0_E_clISt17integral_constantIbLb0EES1Q_EEDaS1L_S1M_EUlS1L_E_NS1_11comp_targetILNS1_3genE0ELNS1_11target_archE4294967295ELNS1_3gpuE0ELNS1_3repE0EEENS1_30default_config_static_selectorELNS0_4arch9wavefront6targetE0EEEvSZ_.num_named_barrier, 0
	.set _ZN7rocprim17ROCPRIM_400000_NS6detail17trampoline_kernelINS0_13select_configILj256ELj13ELNS0_17block_load_methodE3ELS4_3ELS4_3ELNS0_20block_scan_algorithmE0ELj4294967295EEENS1_25partition_config_selectorILNS1_17partition_subalgoE3EjNS0_10empty_typeEbEEZZNS1_14partition_implILS8_3ELb0ES6_jNS0_17counting_iteratorIjlEEPS9_SE_NS0_5tupleIJPjSE_EEENSF_IJSE_SE_EEES9_SG_JZNS1_25segmented_radix_sort_implINS0_14default_configELb0EPK12hip_bfloat16PSL_PKlPlN2at6native12_GLOBAL__N_18offset_tEEE10hipError_tPvRmT1_PNSt15iterator_traitsISZ_E10value_typeET2_T3_PNS10_IS15_E10value_typeET4_jRbjT5_S1B_jjP12ihipStream_tbEUljE_EEESW_SX_SY_S15_S19_S1B_T6_T7_T9_mT8_S1D_bDpT10_ENKUlT_T0_E_clISt17integral_constantIbLb0EES1Q_EEDaS1L_S1M_EUlS1L_E_NS1_11comp_targetILNS1_3genE0ELNS1_11target_archE4294967295ELNS1_3gpuE0ELNS1_3repE0EEENS1_30default_config_static_selectorELNS0_4arch9wavefront6targetE0EEEvSZ_.private_seg_size, 0
	.set _ZN7rocprim17ROCPRIM_400000_NS6detail17trampoline_kernelINS0_13select_configILj256ELj13ELNS0_17block_load_methodE3ELS4_3ELS4_3ELNS0_20block_scan_algorithmE0ELj4294967295EEENS1_25partition_config_selectorILNS1_17partition_subalgoE3EjNS0_10empty_typeEbEEZZNS1_14partition_implILS8_3ELb0ES6_jNS0_17counting_iteratorIjlEEPS9_SE_NS0_5tupleIJPjSE_EEENSF_IJSE_SE_EEES9_SG_JZNS1_25segmented_radix_sort_implINS0_14default_configELb0EPK12hip_bfloat16PSL_PKlPlN2at6native12_GLOBAL__N_18offset_tEEE10hipError_tPvRmT1_PNSt15iterator_traitsISZ_E10value_typeET2_T3_PNS10_IS15_E10value_typeET4_jRbjT5_S1B_jjP12ihipStream_tbEUljE_EEESW_SX_SY_S15_S19_S1B_T6_T7_T9_mT8_S1D_bDpT10_ENKUlT_T0_E_clISt17integral_constantIbLb0EES1Q_EEDaS1L_S1M_EUlS1L_E_NS1_11comp_targetILNS1_3genE0ELNS1_11target_archE4294967295ELNS1_3gpuE0ELNS1_3repE0EEENS1_30default_config_static_selectorELNS0_4arch9wavefront6targetE0EEEvSZ_.uses_vcc, 0
	.set _ZN7rocprim17ROCPRIM_400000_NS6detail17trampoline_kernelINS0_13select_configILj256ELj13ELNS0_17block_load_methodE3ELS4_3ELS4_3ELNS0_20block_scan_algorithmE0ELj4294967295EEENS1_25partition_config_selectorILNS1_17partition_subalgoE3EjNS0_10empty_typeEbEEZZNS1_14partition_implILS8_3ELb0ES6_jNS0_17counting_iteratorIjlEEPS9_SE_NS0_5tupleIJPjSE_EEENSF_IJSE_SE_EEES9_SG_JZNS1_25segmented_radix_sort_implINS0_14default_configELb0EPK12hip_bfloat16PSL_PKlPlN2at6native12_GLOBAL__N_18offset_tEEE10hipError_tPvRmT1_PNSt15iterator_traitsISZ_E10value_typeET2_T3_PNS10_IS15_E10value_typeET4_jRbjT5_S1B_jjP12ihipStream_tbEUljE_EEESW_SX_SY_S15_S19_S1B_T6_T7_T9_mT8_S1D_bDpT10_ENKUlT_T0_E_clISt17integral_constantIbLb0EES1Q_EEDaS1L_S1M_EUlS1L_E_NS1_11comp_targetILNS1_3genE0ELNS1_11target_archE4294967295ELNS1_3gpuE0ELNS1_3repE0EEENS1_30default_config_static_selectorELNS0_4arch9wavefront6targetE0EEEvSZ_.uses_flat_scratch, 0
	.set _ZN7rocprim17ROCPRIM_400000_NS6detail17trampoline_kernelINS0_13select_configILj256ELj13ELNS0_17block_load_methodE3ELS4_3ELS4_3ELNS0_20block_scan_algorithmE0ELj4294967295EEENS1_25partition_config_selectorILNS1_17partition_subalgoE3EjNS0_10empty_typeEbEEZZNS1_14partition_implILS8_3ELb0ES6_jNS0_17counting_iteratorIjlEEPS9_SE_NS0_5tupleIJPjSE_EEENSF_IJSE_SE_EEES9_SG_JZNS1_25segmented_radix_sort_implINS0_14default_configELb0EPK12hip_bfloat16PSL_PKlPlN2at6native12_GLOBAL__N_18offset_tEEE10hipError_tPvRmT1_PNSt15iterator_traitsISZ_E10value_typeET2_T3_PNS10_IS15_E10value_typeET4_jRbjT5_S1B_jjP12ihipStream_tbEUljE_EEESW_SX_SY_S15_S19_S1B_T6_T7_T9_mT8_S1D_bDpT10_ENKUlT_T0_E_clISt17integral_constantIbLb0EES1Q_EEDaS1L_S1M_EUlS1L_E_NS1_11comp_targetILNS1_3genE0ELNS1_11target_archE4294967295ELNS1_3gpuE0ELNS1_3repE0EEENS1_30default_config_static_selectorELNS0_4arch9wavefront6targetE0EEEvSZ_.has_dyn_sized_stack, 0
	.set _ZN7rocprim17ROCPRIM_400000_NS6detail17trampoline_kernelINS0_13select_configILj256ELj13ELNS0_17block_load_methodE3ELS4_3ELS4_3ELNS0_20block_scan_algorithmE0ELj4294967295EEENS1_25partition_config_selectorILNS1_17partition_subalgoE3EjNS0_10empty_typeEbEEZZNS1_14partition_implILS8_3ELb0ES6_jNS0_17counting_iteratorIjlEEPS9_SE_NS0_5tupleIJPjSE_EEENSF_IJSE_SE_EEES9_SG_JZNS1_25segmented_radix_sort_implINS0_14default_configELb0EPK12hip_bfloat16PSL_PKlPlN2at6native12_GLOBAL__N_18offset_tEEE10hipError_tPvRmT1_PNSt15iterator_traitsISZ_E10value_typeET2_T3_PNS10_IS15_E10value_typeET4_jRbjT5_S1B_jjP12ihipStream_tbEUljE_EEESW_SX_SY_S15_S19_S1B_T6_T7_T9_mT8_S1D_bDpT10_ENKUlT_T0_E_clISt17integral_constantIbLb0EES1Q_EEDaS1L_S1M_EUlS1L_E_NS1_11comp_targetILNS1_3genE0ELNS1_11target_archE4294967295ELNS1_3gpuE0ELNS1_3repE0EEENS1_30default_config_static_selectorELNS0_4arch9wavefront6targetE0EEEvSZ_.has_recursion, 0
	.set _ZN7rocprim17ROCPRIM_400000_NS6detail17trampoline_kernelINS0_13select_configILj256ELj13ELNS0_17block_load_methodE3ELS4_3ELS4_3ELNS0_20block_scan_algorithmE0ELj4294967295EEENS1_25partition_config_selectorILNS1_17partition_subalgoE3EjNS0_10empty_typeEbEEZZNS1_14partition_implILS8_3ELb0ES6_jNS0_17counting_iteratorIjlEEPS9_SE_NS0_5tupleIJPjSE_EEENSF_IJSE_SE_EEES9_SG_JZNS1_25segmented_radix_sort_implINS0_14default_configELb0EPK12hip_bfloat16PSL_PKlPlN2at6native12_GLOBAL__N_18offset_tEEE10hipError_tPvRmT1_PNSt15iterator_traitsISZ_E10value_typeET2_T3_PNS10_IS15_E10value_typeET4_jRbjT5_S1B_jjP12ihipStream_tbEUljE_EEESW_SX_SY_S15_S19_S1B_T6_T7_T9_mT8_S1D_bDpT10_ENKUlT_T0_E_clISt17integral_constantIbLb0EES1Q_EEDaS1L_S1M_EUlS1L_E_NS1_11comp_targetILNS1_3genE0ELNS1_11target_archE4294967295ELNS1_3gpuE0ELNS1_3repE0EEENS1_30default_config_static_selectorELNS0_4arch9wavefront6targetE0EEEvSZ_.has_indirect_call, 0
	.section	.AMDGPU.csdata,"",@progbits
; Kernel info:
; codeLenInByte = 0
; TotalNumSgprs: 0
; NumVgprs: 0
; ScratchSize: 0
; MemoryBound: 0
; FloatMode: 240
; IeeeMode: 1
; LDSByteSize: 0 bytes/workgroup (compile time only)
; SGPRBlocks: 0
; VGPRBlocks: 0
; NumSGPRsForWavesPerEU: 1
; NumVGPRsForWavesPerEU: 1
; Occupancy: 16
; WaveLimiterHint : 0
; COMPUTE_PGM_RSRC2:SCRATCH_EN: 0
; COMPUTE_PGM_RSRC2:USER_SGPR: 2
; COMPUTE_PGM_RSRC2:TRAP_HANDLER: 0
; COMPUTE_PGM_RSRC2:TGID_X_EN: 1
; COMPUTE_PGM_RSRC2:TGID_Y_EN: 0
; COMPUTE_PGM_RSRC2:TGID_Z_EN: 0
; COMPUTE_PGM_RSRC2:TIDIG_COMP_CNT: 0
	.section	.text._ZN7rocprim17ROCPRIM_400000_NS6detail17trampoline_kernelINS0_13select_configILj256ELj13ELNS0_17block_load_methodE3ELS4_3ELS4_3ELNS0_20block_scan_algorithmE0ELj4294967295EEENS1_25partition_config_selectorILNS1_17partition_subalgoE3EjNS0_10empty_typeEbEEZZNS1_14partition_implILS8_3ELb0ES6_jNS0_17counting_iteratorIjlEEPS9_SE_NS0_5tupleIJPjSE_EEENSF_IJSE_SE_EEES9_SG_JZNS1_25segmented_radix_sort_implINS0_14default_configELb0EPK12hip_bfloat16PSL_PKlPlN2at6native12_GLOBAL__N_18offset_tEEE10hipError_tPvRmT1_PNSt15iterator_traitsISZ_E10value_typeET2_T3_PNS10_IS15_E10value_typeET4_jRbjT5_S1B_jjP12ihipStream_tbEUljE_EEESW_SX_SY_S15_S19_S1B_T6_T7_T9_mT8_S1D_bDpT10_ENKUlT_T0_E_clISt17integral_constantIbLb0EES1Q_EEDaS1L_S1M_EUlS1L_E_NS1_11comp_targetILNS1_3genE5ELNS1_11target_archE942ELNS1_3gpuE9ELNS1_3repE0EEENS1_30default_config_static_selectorELNS0_4arch9wavefront6targetE0EEEvSZ_,"axG",@progbits,_ZN7rocprim17ROCPRIM_400000_NS6detail17trampoline_kernelINS0_13select_configILj256ELj13ELNS0_17block_load_methodE3ELS4_3ELS4_3ELNS0_20block_scan_algorithmE0ELj4294967295EEENS1_25partition_config_selectorILNS1_17partition_subalgoE3EjNS0_10empty_typeEbEEZZNS1_14partition_implILS8_3ELb0ES6_jNS0_17counting_iteratorIjlEEPS9_SE_NS0_5tupleIJPjSE_EEENSF_IJSE_SE_EEES9_SG_JZNS1_25segmented_radix_sort_implINS0_14default_configELb0EPK12hip_bfloat16PSL_PKlPlN2at6native12_GLOBAL__N_18offset_tEEE10hipError_tPvRmT1_PNSt15iterator_traitsISZ_E10value_typeET2_T3_PNS10_IS15_E10value_typeET4_jRbjT5_S1B_jjP12ihipStream_tbEUljE_EEESW_SX_SY_S15_S19_S1B_T6_T7_T9_mT8_S1D_bDpT10_ENKUlT_T0_E_clISt17integral_constantIbLb0EES1Q_EEDaS1L_S1M_EUlS1L_E_NS1_11comp_targetILNS1_3genE5ELNS1_11target_archE942ELNS1_3gpuE9ELNS1_3repE0EEENS1_30default_config_static_selectorELNS0_4arch9wavefront6targetE0EEEvSZ_,comdat
	.globl	_ZN7rocprim17ROCPRIM_400000_NS6detail17trampoline_kernelINS0_13select_configILj256ELj13ELNS0_17block_load_methodE3ELS4_3ELS4_3ELNS0_20block_scan_algorithmE0ELj4294967295EEENS1_25partition_config_selectorILNS1_17partition_subalgoE3EjNS0_10empty_typeEbEEZZNS1_14partition_implILS8_3ELb0ES6_jNS0_17counting_iteratorIjlEEPS9_SE_NS0_5tupleIJPjSE_EEENSF_IJSE_SE_EEES9_SG_JZNS1_25segmented_radix_sort_implINS0_14default_configELb0EPK12hip_bfloat16PSL_PKlPlN2at6native12_GLOBAL__N_18offset_tEEE10hipError_tPvRmT1_PNSt15iterator_traitsISZ_E10value_typeET2_T3_PNS10_IS15_E10value_typeET4_jRbjT5_S1B_jjP12ihipStream_tbEUljE_EEESW_SX_SY_S15_S19_S1B_T6_T7_T9_mT8_S1D_bDpT10_ENKUlT_T0_E_clISt17integral_constantIbLb0EES1Q_EEDaS1L_S1M_EUlS1L_E_NS1_11comp_targetILNS1_3genE5ELNS1_11target_archE942ELNS1_3gpuE9ELNS1_3repE0EEENS1_30default_config_static_selectorELNS0_4arch9wavefront6targetE0EEEvSZ_ ; -- Begin function _ZN7rocprim17ROCPRIM_400000_NS6detail17trampoline_kernelINS0_13select_configILj256ELj13ELNS0_17block_load_methodE3ELS4_3ELS4_3ELNS0_20block_scan_algorithmE0ELj4294967295EEENS1_25partition_config_selectorILNS1_17partition_subalgoE3EjNS0_10empty_typeEbEEZZNS1_14partition_implILS8_3ELb0ES6_jNS0_17counting_iteratorIjlEEPS9_SE_NS0_5tupleIJPjSE_EEENSF_IJSE_SE_EEES9_SG_JZNS1_25segmented_radix_sort_implINS0_14default_configELb0EPK12hip_bfloat16PSL_PKlPlN2at6native12_GLOBAL__N_18offset_tEEE10hipError_tPvRmT1_PNSt15iterator_traitsISZ_E10value_typeET2_T3_PNS10_IS15_E10value_typeET4_jRbjT5_S1B_jjP12ihipStream_tbEUljE_EEESW_SX_SY_S15_S19_S1B_T6_T7_T9_mT8_S1D_bDpT10_ENKUlT_T0_E_clISt17integral_constantIbLb0EES1Q_EEDaS1L_S1M_EUlS1L_E_NS1_11comp_targetILNS1_3genE5ELNS1_11target_archE942ELNS1_3gpuE9ELNS1_3repE0EEENS1_30default_config_static_selectorELNS0_4arch9wavefront6targetE0EEEvSZ_
	.p2align	8
	.type	_ZN7rocprim17ROCPRIM_400000_NS6detail17trampoline_kernelINS0_13select_configILj256ELj13ELNS0_17block_load_methodE3ELS4_3ELS4_3ELNS0_20block_scan_algorithmE0ELj4294967295EEENS1_25partition_config_selectorILNS1_17partition_subalgoE3EjNS0_10empty_typeEbEEZZNS1_14partition_implILS8_3ELb0ES6_jNS0_17counting_iteratorIjlEEPS9_SE_NS0_5tupleIJPjSE_EEENSF_IJSE_SE_EEES9_SG_JZNS1_25segmented_radix_sort_implINS0_14default_configELb0EPK12hip_bfloat16PSL_PKlPlN2at6native12_GLOBAL__N_18offset_tEEE10hipError_tPvRmT1_PNSt15iterator_traitsISZ_E10value_typeET2_T3_PNS10_IS15_E10value_typeET4_jRbjT5_S1B_jjP12ihipStream_tbEUljE_EEESW_SX_SY_S15_S19_S1B_T6_T7_T9_mT8_S1D_bDpT10_ENKUlT_T0_E_clISt17integral_constantIbLb0EES1Q_EEDaS1L_S1M_EUlS1L_E_NS1_11comp_targetILNS1_3genE5ELNS1_11target_archE942ELNS1_3gpuE9ELNS1_3repE0EEENS1_30default_config_static_selectorELNS0_4arch9wavefront6targetE0EEEvSZ_,@function
_ZN7rocprim17ROCPRIM_400000_NS6detail17trampoline_kernelINS0_13select_configILj256ELj13ELNS0_17block_load_methodE3ELS4_3ELS4_3ELNS0_20block_scan_algorithmE0ELj4294967295EEENS1_25partition_config_selectorILNS1_17partition_subalgoE3EjNS0_10empty_typeEbEEZZNS1_14partition_implILS8_3ELb0ES6_jNS0_17counting_iteratorIjlEEPS9_SE_NS0_5tupleIJPjSE_EEENSF_IJSE_SE_EEES9_SG_JZNS1_25segmented_radix_sort_implINS0_14default_configELb0EPK12hip_bfloat16PSL_PKlPlN2at6native12_GLOBAL__N_18offset_tEEE10hipError_tPvRmT1_PNSt15iterator_traitsISZ_E10value_typeET2_T3_PNS10_IS15_E10value_typeET4_jRbjT5_S1B_jjP12ihipStream_tbEUljE_EEESW_SX_SY_S15_S19_S1B_T6_T7_T9_mT8_S1D_bDpT10_ENKUlT_T0_E_clISt17integral_constantIbLb0EES1Q_EEDaS1L_S1M_EUlS1L_E_NS1_11comp_targetILNS1_3genE5ELNS1_11target_archE942ELNS1_3gpuE9ELNS1_3repE0EEENS1_30default_config_static_selectorELNS0_4arch9wavefront6targetE0EEEvSZ_: ; @_ZN7rocprim17ROCPRIM_400000_NS6detail17trampoline_kernelINS0_13select_configILj256ELj13ELNS0_17block_load_methodE3ELS4_3ELS4_3ELNS0_20block_scan_algorithmE0ELj4294967295EEENS1_25partition_config_selectorILNS1_17partition_subalgoE3EjNS0_10empty_typeEbEEZZNS1_14partition_implILS8_3ELb0ES6_jNS0_17counting_iteratorIjlEEPS9_SE_NS0_5tupleIJPjSE_EEENSF_IJSE_SE_EEES9_SG_JZNS1_25segmented_radix_sort_implINS0_14default_configELb0EPK12hip_bfloat16PSL_PKlPlN2at6native12_GLOBAL__N_18offset_tEEE10hipError_tPvRmT1_PNSt15iterator_traitsISZ_E10value_typeET2_T3_PNS10_IS15_E10value_typeET4_jRbjT5_S1B_jjP12ihipStream_tbEUljE_EEESW_SX_SY_S15_S19_S1B_T6_T7_T9_mT8_S1D_bDpT10_ENKUlT_T0_E_clISt17integral_constantIbLb0EES1Q_EEDaS1L_S1M_EUlS1L_E_NS1_11comp_targetILNS1_3genE5ELNS1_11target_archE942ELNS1_3gpuE9ELNS1_3repE0EEENS1_30default_config_static_selectorELNS0_4arch9wavefront6targetE0EEEvSZ_
; %bb.0:
	.section	.rodata,"a",@progbits
	.p2align	6, 0x0
	.amdhsa_kernel _ZN7rocprim17ROCPRIM_400000_NS6detail17trampoline_kernelINS0_13select_configILj256ELj13ELNS0_17block_load_methodE3ELS4_3ELS4_3ELNS0_20block_scan_algorithmE0ELj4294967295EEENS1_25partition_config_selectorILNS1_17partition_subalgoE3EjNS0_10empty_typeEbEEZZNS1_14partition_implILS8_3ELb0ES6_jNS0_17counting_iteratorIjlEEPS9_SE_NS0_5tupleIJPjSE_EEENSF_IJSE_SE_EEES9_SG_JZNS1_25segmented_radix_sort_implINS0_14default_configELb0EPK12hip_bfloat16PSL_PKlPlN2at6native12_GLOBAL__N_18offset_tEEE10hipError_tPvRmT1_PNSt15iterator_traitsISZ_E10value_typeET2_T3_PNS10_IS15_E10value_typeET4_jRbjT5_S1B_jjP12ihipStream_tbEUljE_EEESW_SX_SY_S15_S19_S1B_T6_T7_T9_mT8_S1D_bDpT10_ENKUlT_T0_E_clISt17integral_constantIbLb0EES1Q_EEDaS1L_S1M_EUlS1L_E_NS1_11comp_targetILNS1_3genE5ELNS1_11target_archE942ELNS1_3gpuE9ELNS1_3repE0EEENS1_30default_config_static_selectorELNS0_4arch9wavefront6targetE0EEEvSZ_
		.amdhsa_group_segment_fixed_size 0
		.amdhsa_private_segment_fixed_size 0
		.amdhsa_kernarg_size 144
		.amdhsa_user_sgpr_count 2
		.amdhsa_user_sgpr_dispatch_ptr 0
		.amdhsa_user_sgpr_queue_ptr 0
		.amdhsa_user_sgpr_kernarg_segment_ptr 1
		.amdhsa_user_sgpr_dispatch_id 0
		.amdhsa_user_sgpr_private_segment_size 0
		.amdhsa_wavefront_size32 1
		.amdhsa_uses_dynamic_stack 0
		.amdhsa_enable_private_segment 0
		.amdhsa_system_sgpr_workgroup_id_x 1
		.amdhsa_system_sgpr_workgroup_id_y 0
		.amdhsa_system_sgpr_workgroup_id_z 0
		.amdhsa_system_sgpr_workgroup_info 0
		.amdhsa_system_vgpr_workitem_id 0
		.amdhsa_next_free_vgpr 1
		.amdhsa_next_free_sgpr 1
		.amdhsa_reserve_vcc 0
		.amdhsa_float_round_mode_32 0
		.amdhsa_float_round_mode_16_64 0
		.amdhsa_float_denorm_mode_32 3
		.amdhsa_float_denorm_mode_16_64 3
		.amdhsa_fp16_overflow 0
		.amdhsa_workgroup_processor_mode 1
		.amdhsa_memory_ordered 1
		.amdhsa_forward_progress 1
		.amdhsa_inst_pref_size 0
		.amdhsa_round_robin_scheduling 0
		.amdhsa_exception_fp_ieee_invalid_op 0
		.amdhsa_exception_fp_denorm_src 0
		.amdhsa_exception_fp_ieee_div_zero 0
		.amdhsa_exception_fp_ieee_overflow 0
		.amdhsa_exception_fp_ieee_underflow 0
		.amdhsa_exception_fp_ieee_inexact 0
		.amdhsa_exception_int_div_zero 0
	.end_amdhsa_kernel
	.section	.text._ZN7rocprim17ROCPRIM_400000_NS6detail17trampoline_kernelINS0_13select_configILj256ELj13ELNS0_17block_load_methodE3ELS4_3ELS4_3ELNS0_20block_scan_algorithmE0ELj4294967295EEENS1_25partition_config_selectorILNS1_17partition_subalgoE3EjNS0_10empty_typeEbEEZZNS1_14partition_implILS8_3ELb0ES6_jNS0_17counting_iteratorIjlEEPS9_SE_NS0_5tupleIJPjSE_EEENSF_IJSE_SE_EEES9_SG_JZNS1_25segmented_radix_sort_implINS0_14default_configELb0EPK12hip_bfloat16PSL_PKlPlN2at6native12_GLOBAL__N_18offset_tEEE10hipError_tPvRmT1_PNSt15iterator_traitsISZ_E10value_typeET2_T3_PNS10_IS15_E10value_typeET4_jRbjT5_S1B_jjP12ihipStream_tbEUljE_EEESW_SX_SY_S15_S19_S1B_T6_T7_T9_mT8_S1D_bDpT10_ENKUlT_T0_E_clISt17integral_constantIbLb0EES1Q_EEDaS1L_S1M_EUlS1L_E_NS1_11comp_targetILNS1_3genE5ELNS1_11target_archE942ELNS1_3gpuE9ELNS1_3repE0EEENS1_30default_config_static_selectorELNS0_4arch9wavefront6targetE0EEEvSZ_,"axG",@progbits,_ZN7rocprim17ROCPRIM_400000_NS6detail17trampoline_kernelINS0_13select_configILj256ELj13ELNS0_17block_load_methodE3ELS4_3ELS4_3ELNS0_20block_scan_algorithmE0ELj4294967295EEENS1_25partition_config_selectorILNS1_17partition_subalgoE3EjNS0_10empty_typeEbEEZZNS1_14partition_implILS8_3ELb0ES6_jNS0_17counting_iteratorIjlEEPS9_SE_NS0_5tupleIJPjSE_EEENSF_IJSE_SE_EEES9_SG_JZNS1_25segmented_radix_sort_implINS0_14default_configELb0EPK12hip_bfloat16PSL_PKlPlN2at6native12_GLOBAL__N_18offset_tEEE10hipError_tPvRmT1_PNSt15iterator_traitsISZ_E10value_typeET2_T3_PNS10_IS15_E10value_typeET4_jRbjT5_S1B_jjP12ihipStream_tbEUljE_EEESW_SX_SY_S15_S19_S1B_T6_T7_T9_mT8_S1D_bDpT10_ENKUlT_T0_E_clISt17integral_constantIbLb0EES1Q_EEDaS1L_S1M_EUlS1L_E_NS1_11comp_targetILNS1_3genE5ELNS1_11target_archE942ELNS1_3gpuE9ELNS1_3repE0EEENS1_30default_config_static_selectorELNS0_4arch9wavefront6targetE0EEEvSZ_,comdat
.Lfunc_end2018:
	.size	_ZN7rocprim17ROCPRIM_400000_NS6detail17trampoline_kernelINS0_13select_configILj256ELj13ELNS0_17block_load_methodE3ELS4_3ELS4_3ELNS0_20block_scan_algorithmE0ELj4294967295EEENS1_25partition_config_selectorILNS1_17partition_subalgoE3EjNS0_10empty_typeEbEEZZNS1_14partition_implILS8_3ELb0ES6_jNS0_17counting_iteratorIjlEEPS9_SE_NS0_5tupleIJPjSE_EEENSF_IJSE_SE_EEES9_SG_JZNS1_25segmented_radix_sort_implINS0_14default_configELb0EPK12hip_bfloat16PSL_PKlPlN2at6native12_GLOBAL__N_18offset_tEEE10hipError_tPvRmT1_PNSt15iterator_traitsISZ_E10value_typeET2_T3_PNS10_IS15_E10value_typeET4_jRbjT5_S1B_jjP12ihipStream_tbEUljE_EEESW_SX_SY_S15_S19_S1B_T6_T7_T9_mT8_S1D_bDpT10_ENKUlT_T0_E_clISt17integral_constantIbLb0EES1Q_EEDaS1L_S1M_EUlS1L_E_NS1_11comp_targetILNS1_3genE5ELNS1_11target_archE942ELNS1_3gpuE9ELNS1_3repE0EEENS1_30default_config_static_selectorELNS0_4arch9wavefront6targetE0EEEvSZ_, .Lfunc_end2018-_ZN7rocprim17ROCPRIM_400000_NS6detail17trampoline_kernelINS0_13select_configILj256ELj13ELNS0_17block_load_methodE3ELS4_3ELS4_3ELNS0_20block_scan_algorithmE0ELj4294967295EEENS1_25partition_config_selectorILNS1_17partition_subalgoE3EjNS0_10empty_typeEbEEZZNS1_14partition_implILS8_3ELb0ES6_jNS0_17counting_iteratorIjlEEPS9_SE_NS0_5tupleIJPjSE_EEENSF_IJSE_SE_EEES9_SG_JZNS1_25segmented_radix_sort_implINS0_14default_configELb0EPK12hip_bfloat16PSL_PKlPlN2at6native12_GLOBAL__N_18offset_tEEE10hipError_tPvRmT1_PNSt15iterator_traitsISZ_E10value_typeET2_T3_PNS10_IS15_E10value_typeET4_jRbjT5_S1B_jjP12ihipStream_tbEUljE_EEESW_SX_SY_S15_S19_S1B_T6_T7_T9_mT8_S1D_bDpT10_ENKUlT_T0_E_clISt17integral_constantIbLb0EES1Q_EEDaS1L_S1M_EUlS1L_E_NS1_11comp_targetILNS1_3genE5ELNS1_11target_archE942ELNS1_3gpuE9ELNS1_3repE0EEENS1_30default_config_static_selectorELNS0_4arch9wavefront6targetE0EEEvSZ_
                                        ; -- End function
	.set _ZN7rocprim17ROCPRIM_400000_NS6detail17trampoline_kernelINS0_13select_configILj256ELj13ELNS0_17block_load_methodE3ELS4_3ELS4_3ELNS0_20block_scan_algorithmE0ELj4294967295EEENS1_25partition_config_selectorILNS1_17partition_subalgoE3EjNS0_10empty_typeEbEEZZNS1_14partition_implILS8_3ELb0ES6_jNS0_17counting_iteratorIjlEEPS9_SE_NS0_5tupleIJPjSE_EEENSF_IJSE_SE_EEES9_SG_JZNS1_25segmented_radix_sort_implINS0_14default_configELb0EPK12hip_bfloat16PSL_PKlPlN2at6native12_GLOBAL__N_18offset_tEEE10hipError_tPvRmT1_PNSt15iterator_traitsISZ_E10value_typeET2_T3_PNS10_IS15_E10value_typeET4_jRbjT5_S1B_jjP12ihipStream_tbEUljE_EEESW_SX_SY_S15_S19_S1B_T6_T7_T9_mT8_S1D_bDpT10_ENKUlT_T0_E_clISt17integral_constantIbLb0EES1Q_EEDaS1L_S1M_EUlS1L_E_NS1_11comp_targetILNS1_3genE5ELNS1_11target_archE942ELNS1_3gpuE9ELNS1_3repE0EEENS1_30default_config_static_selectorELNS0_4arch9wavefront6targetE0EEEvSZ_.num_vgpr, 0
	.set _ZN7rocprim17ROCPRIM_400000_NS6detail17trampoline_kernelINS0_13select_configILj256ELj13ELNS0_17block_load_methodE3ELS4_3ELS4_3ELNS0_20block_scan_algorithmE0ELj4294967295EEENS1_25partition_config_selectorILNS1_17partition_subalgoE3EjNS0_10empty_typeEbEEZZNS1_14partition_implILS8_3ELb0ES6_jNS0_17counting_iteratorIjlEEPS9_SE_NS0_5tupleIJPjSE_EEENSF_IJSE_SE_EEES9_SG_JZNS1_25segmented_radix_sort_implINS0_14default_configELb0EPK12hip_bfloat16PSL_PKlPlN2at6native12_GLOBAL__N_18offset_tEEE10hipError_tPvRmT1_PNSt15iterator_traitsISZ_E10value_typeET2_T3_PNS10_IS15_E10value_typeET4_jRbjT5_S1B_jjP12ihipStream_tbEUljE_EEESW_SX_SY_S15_S19_S1B_T6_T7_T9_mT8_S1D_bDpT10_ENKUlT_T0_E_clISt17integral_constantIbLb0EES1Q_EEDaS1L_S1M_EUlS1L_E_NS1_11comp_targetILNS1_3genE5ELNS1_11target_archE942ELNS1_3gpuE9ELNS1_3repE0EEENS1_30default_config_static_selectorELNS0_4arch9wavefront6targetE0EEEvSZ_.num_agpr, 0
	.set _ZN7rocprim17ROCPRIM_400000_NS6detail17trampoline_kernelINS0_13select_configILj256ELj13ELNS0_17block_load_methodE3ELS4_3ELS4_3ELNS0_20block_scan_algorithmE0ELj4294967295EEENS1_25partition_config_selectorILNS1_17partition_subalgoE3EjNS0_10empty_typeEbEEZZNS1_14partition_implILS8_3ELb0ES6_jNS0_17counting_iteratorIjlEEPS9_SE_NS0_5tupleIJPjSE_EEENSF_IJSE_SE_EEES9_SG_JZNS1_25segmented_radix_sort_implINS0_14default_configELb0EPK12hip_bfloat16PSL_PKlPlN2at6native12_GLOBAL__N_18offset_tEEE10hipError_tPvRmT1_PNSt15iterator_traitsISZ_E10value_typeET2_T3_PNS10_IS15_E10value_typeET4_jRbjT5_S1B_jjP12ihipStream_tbEUljE_EEESW_SX_SY_S15_S19_S1B_T6_T7_T9_mT8_S1D_bDpT10_ENKUlT_T0_E_clISt17integral_constantIbLb0EES1Q_EEDaS1L_S1M_EUlS1L_E_NS1_11comp_targetILNS1_3genE5ELNS1_11target_archE942ELNS1_3gpuE9ELNS1_3repE0EEENS1_30default_config_static_selectorELNS0_4arch9wavefront6targetE0EEEvSZ_.numbered_sgpr, 0
	.set _ZN7rocprim17ROCPRIM_400000_NS6detail17trampoline_kernelINS0_13select_configILj256ELj13ELNS0_17block_load_methodE3ELS4_3ELS4_3ELNS0_20block_scan_algorithmE0ELj4294967295EEENS1_25partition_config_selectorILNS1_17partition_subalgoE3EjNS0_10empty_typeEbEEZZNS1_14partition_implILS8_3ELb0ES6_jNS0_17counting_iteratorIjlEEPS9_SE_NS0_5tupleIJPjSE_EEENSF_IJSE_SE_EEES9_SG_JZNS1_25segmented_radix_sort_implINS0_14default_configELb0EPK12hip_bfloat16PSL_PKlPlN2at6native12_GLOBAL__N_18offset_tEEE10hipError_tPvRmT1_PNSt15iterator_traitsISZ_E10value_typeET2_T3_PNS10_IS15_E10value_typeET4_jRbjT5_S1B_jjP12ihipStream_tbEUljE_EEESW_SX_SY_S15_S19_S1B_T6_T7_T9_mT8_S1D_bDpT10_ENKUlT_T0_E_clISt17integral_constantIbLb0EES1Q_EEDaS1L_S1M_EUlS1L_E_NS1_11comp_targetILNS1_3genE5ELNS1_11target_archE942ELNS1_3gpuE9ELNS1_3repE0EEENS1_30default_config_static_selectorELNS0_4arch9wavefront6targetE0EEEvSZ_.num_named_barrier, 0
	.set _ZN7rocprim17ROCPRIM_400000_NS6detail17trampoline_kernelINS0_13select_configILj256ELj13ELNS0_17block_load_methodE3ELS4_3ELS4_3ELNS0_20block_scan_algorithmE0ELj4294967295EEENS1_25partition_config_selectorILNS1_17partition_subalgoE3EjNS0_10empty_typeEbEEZZNS1_14partition_implILS8_3ELb0ES6_jNS0_17counting_iteratorIjlEEPS9_SE_NS0_5tupleIJPjSE_EEENSF_IJSE_SE_EEES9_SG_JZNS1_25segmented_radix_sort_implINS0_14default_configELb0EPK12hip_bfloat16PSL_PKlPlN2at6native12_GLOBAL__N_18offset_tEEE10hipError_tPvRmT1_PNSt15iterator_traitsISZ_E10value_typeET2_T3_PNS10_IS15_E10value_typeET4_jRbjT5_S1B_jjP12ihipStream_tbEUljE_EEESW_SX_SY_S15_S19_S1B_T6_T7_T9_mT8_S1D_bDpT10_ENKUlT_T0_E_clISt17integral_constantIbLb0EES1Q_EEDaS1L_S1M_EUlS1L_E_NS1_11comp_targetILNS1_3genE5ELNS1_11target_archE942ELNS1_3gpuE9ELNS1_3repE0EEENS1_30default_config_static_selectorELNS0_4arch9wavefront6targetE0EEEvSZ_.private_seg_size, 0
	.set _ZN7rocprim17ROCPRIM_400000_NS6detail17trampoline_kernelINS0_13select_configILj256ELj13ELNS0_17block_load_methodE3ELS4_3ELS4_3ELNS0_20block_scan_algorithmE0ELj4294967295EEENS1_25partition_config_selectorILNS1_17partition_subalgoE3EjNS0_10empty_typeEbEEZZNS1_14partition_implILS8_3ELb0ES6_jNS0_17counting_iteratorIjlEEPS9_SE_NS0_5tupleIJPjSE_EEENSF_IJSE_SE_EEES9_SG_JZNS1_25segmented_radix_sort_implINS0_14default_configELb0EPK12hip_bfloat16PSL_PKlPlN2at6native12_GLOBAL__N_18offset_tEEE10hipError_tPvRmT1_PNSt15iterator_traitsISZ_E10value_typeET2_T3_PNS10_IS15_E10value_typeET4_jRbjT5_S1B_jjP12ihipStream_tbEUljE_EEESW_SX_SY_S15_S19_S1B_T6_T7_T9_mT8_S1D_bDpT10_ENKUlT_T0_E_clISt17integral_constantIbLb0EES1Q_EEDaS1L_S1M_EUlS1L_E_NS1_11comp_targetILNS1_3genE5ELNS1_11target_archE942ELNS1_3gpuE9ELNS1_3repE0EEENS1_30default_config_static_selectorELNS0_4arch9wavefront6targetE0EEEvSZ_.uses_vcc, 0
	.set _ZN7rocprim17ROCPRIM_400000_NS6detail17trampoline_kernelINS0_13select_configILj256ELj13ELNS0_17block_load_methodE3ELS4_3ELS4_3ELNS0_20block_scan_algorithmE0ELj4294967295EEENS1_25partition_config_selectorILNS1_17partition_subalgoE3EjNS0_10empty_typeEbEEZZNS1_14partition_implILS8_3ELb0ES6_jNS0_17counting_iteratorIjlEEPS9_SE_NS0_5tupleIJPjSE_EEENSF_IJSE_SE_EEES9_SG_JZNS1_25segmented_radix_sort_implINS0_14default_configELb0EPK12hip_bfloat16PSL_PKlPlN2at6native12_GLOBAL__N_18offset_tEEE10hipError_tPvRmT1_PNSt15iterator_traitsISZ_E10value_typeET2_T3_PNS10_IS15_E10value_typeET4_jRbjT5_S1B_jjP12ihipStream_tbEUljE_EEESW_SX_SY_S15_S19_S1B_T6_T7_T9_mT8_S1D_bDpT10_ENKUlT_T0_E_clISt17integral_constantIbLb0EES1Q_EEDaS1L_S1M_EUlS1L_E_NS1_11comp_targetILNS1_3genE5ELNS1_11target_archE942ELNS1_3gpuE9ELNS1_3repE0EEENS1_30default_config_static_selectorELNS0_4arch9wavefront6targetE0EEEvSZ_.uses_flat_scratch, 0
	.set _ZN7rocprim17ROCPRIM_400000_NS6detail17trampoline_kernelINS0_13select_configILj256ELj13ELNS0_17block_load_methodE3ELS4_3ELS4_3ELNS0_20block_scan_algorithmE0ELj4294967295EEENS1_25partition_config_selectorILNS1_17partition_subalgoE3EjNS0_10empty_typeEbEEZZNS1_14partition_implILS8_3ELb0ES6_jNS0_17counting_iteratorIjlEEPS9_SE_NS0_5tupleIJPjSE_EEENSF_IJSE_SE_EEES9_SG_JZNS1_25segmented_radix_sort_implINS0_14default_configELb0EPK12hip_bfloat16PSL_PKlPlN2at6native12_GLOBAL__N_18offset_tEEE10hipError_tPvRmT1_PNSt15iterator_traitsISZ_E10value_typeET2_T3_PNS10_IS15_E10value_typeET4_jRbjT5_S1B_jjP12ihipStream_tbEUljE_EEESW_SX_SY_S15_S19_S1B_T6_T7_T9_mT8_S1D_bDpT10_ENKUlT_T0_E_clISt17integral_constantIbLb0EES1Q_EEDaS1L_S1M_EUlS1L_E_NS1_11comp_targetILNS1_3genE5ELNS1_11target_archE942ELNS1_3gpuE9ELNS1_3repE0EEENS1_30default_config_static_selectorELNS0_4arch9wavefront6targetE0EEEvSZ_.has_dyn_sized_stack, 0
	.set _ZN7rocprim17ROCPRIM_400000_NS6detail17trampoline_kernelINS0_13select_configILj256ELj13ELNS0_17block_load_methodE3ELS4_3ELS4_3ELNS0_20block_scan_algorithmE0ELj4294967295EEENS1_25partition_config_selectorILNS1_17partition_subalgoE3EjNS0_10empty_typeEbEEZZNS1_14partition_implILS8_3ELb0ES6_jNS0_17counting_iteratorIjlEEPS9_SE_NS0_5tupleIJPjSE_EEENSF_IJSE_SE_EEES9_SG_JZNS1_25segmented_radix_sort_implINS0_14default_configELb0EPK12hip_bfloat16PSL_PKlPlN2at6native12_GLOBAL__N_18offset_tEEE10hipError_tPvRmT1_PNSt15iterator_traitsISZ_E10value_typeET2_T3_PNS10_IS15_E10value_typeET4_jRbjT5_S1B_jjP12ihipStream_tbEUljE_EEESW_SX_SY_S15_S19_S1B_T6_T7_T9_mT8_S1D_bDpT10_ENKUlT_T0_E_clISt17integral_constantIbLb0EES1Q_EEDaS1L_S1M_EUlS1L_E_NS1_11comp_targetILNS1_3genE5ELNS1_11target_archE942ELNS1_3gpuE9ELNS1_3repE0EEENS1_30default_config_static_selectorELNS0_4arch9wavefront6targetE0EEEvSZ_.has_recursion, 0
	.set _ZN7rocprim17ROCPRIM_400000_NS6detail17trampoline_kernelINS0_13select_configILj256ELj13ELNS0_17block_load_methodE3ELS4_3ELS4_3ELNS0_20block_scan_algorithmE0ELj4294967295EEENS1_25partition_config_selectorILNS1_17partition_subalgoE3EjNS0_10empty_typeEbEEZZNS1_14partition_implILS8_3ELb0ES6_jNS0_17counting_iteratorIjlEEPS9_SE_NS0_5tupleIJPjSE_EEENSF_IJSE_SE_EEES9_SG_JZNS1_25segmented_radix_sort_implINS0_14default_configELb0EPK12hip_bfloat16PSL_PKlPlN2at6native12_GLOBAL__N_18offset_tEEE10hipError_tPvRmT1_PNSt15iterator_traitsISZ_E10value_typeET2_T3_PNS10_IS15_E10value_typeET4_jRbjT5_S1B_jjP12ihipStream_tbEUljE_EEESW_SX_SY_S15_S19_S1B_T6_T7_T9_mT8_S1D_bDpT10_ENKUlT_T0_E_clISt17integral_constantIbLb0EES1Q_EEDaS1L_S1M_EUlS1L_E_NS1_11comp_targetILNS1_3genE5ELNS1_11target_archE942ELNS1_3gpuE9ELNS1_3repE0EEENS1_30default_config_static_selectorELNS0_4arch9wavefront6targetE0EEEvSZ_.has_indirect_call, 0
	.section	.AMDGPU.csdata,"",@progbits
; Kernel info:
; codeLenInByte = 0
; TotalNumSgprs: 0
; NumVgprs: 0
; ScratchSize: 0
; MemoryBound: 0
; FloatMode: 240
; IeeeMode: 1
; LDSByteSize: 0 bytes/workgroup (compile time only)
; SGPRBlocks: 0
; VGPRBlocks: 0
; NumSGPRsForWavesPerEU: 1
; NumVGPRsForWavesPerEU: 1
; Occupancy: 16
; WaveLimiterHint : 0
; COMPUTE_PGM_RSRC2:SCRATCH_EN: 0
; COMPUTE_PGM_RSRC2:USER_SGPR: 2
; COMPUTE_PGM_RSRC2:TRAP_HANDLER: 0
; COMPUTE_PGM_RSRC2:TGID_X_EN: 1
; COMPUTE_PGM_RSRC2:TGID_Y_EN: 0
; COMPUTE_PGM_RSRC2:TGID_Z_EN: 0
; COMPUTE_PGM_RSRC2:TIDIG_COMP_CNT: 0
	.section	.text._ZN7rocprim17ROCPRIM_400000_NS6detail17trampoline_kernelINS0_13select_configILj256ELj13ELNS0_17block_load_methodE3ELS4_3ELS4_3ELNS0_20block_scan_algorithmE0ELj4294967295EEENS1_25partition_config_selectorILNS1_17partition_subalgoE3EjNS0_10empty_typeEbEEZZNS1_14partition_implILS8_3ELb0ES6_jNS0_17counting_iteratorIjlEEPS9_SE_NS0_5tupleIJPjSE_EEENSF_IJSE_SE_EEES9_SG_JZNS1_25segmented_radix_sort_implINS0_14default_configELb0EPK12hip_bfloat16PSL_PKlPlN2at6native12_GLOBAL__N_18offset_tEEE10hipError_tPvRmT1_PNSt15iterator_traitsISZ_E10value_typeET2_T3_PNS10_IS15_E10value_typeET4_jRbjT5_S1B_jjP12ihipStream_tbEUljE_EEESW_SX_SY_S15_S19_S1B_T6_T7_T9_mT8_S1D_bDpT10_ENKUlT_T0_E_clISt17integral_constantIbLb0EES1Q_EEDaS1L_S1M_EUlS1L_E_NS1_11comp_targetILNS1_3genE4ELNS1_11target_archE910ELNS1_3gpuE8ELNS1_3repE0EEENS1_30default_config_static_selectorELNS0_4arch9wavefront6targetE0EEEvSZ_,"axG",@progbits,_ZN7rocprim17ROCPRIM_400000_NS6detail17trampoline_kernelINS0_13select_configILj256ELj13ELNS0_17block_load_methodE3ELS4_3ELS4_3ELNS0_20block_scan_algorithmE0ELj4294967295EEENS1_25partition_config_selectorILNS1_17partition_subalgoE3EjNS0_10empty_typeEbEEZZNS1_14partition_implILS8_3ELb0ES6_jNS0_17counting_iteratorIjlEEPS9_SE_NS0_5tupleIJPjSE_EEENSF_IJSE_SE_EEES9_SG_JZNS1_25segmented_radix_sort_implINS0_14default_configELb0EPK12hip_bfloat16PSL_PKlPlN2at6native12_GLOBAL__N_18offset_tEEE10hipError_tPvRmT1_PNSt15iterator_traitsISZ_E10value_typeET2_T3_PNS10_IS15_E10value_typeET4_jRbjT5_S1B_jjP12ihipStream_tbEUljE_EEESW_SX_SY_S15_S19_S1B_T6_T7_T9_mT8_S1D_bDpT10_ENKUlT_T0_E_clISt17integral_constantIbLb0EES1Q_EEDaS1L_S1M_EUlS1L_E_NS1_11comp_targetILNS1_3genE4ELNS1_11target_archE910ELNS1_3gpuE8ELNS1_3repE0EEENS1_30default_config_static_selectorELNS0_4arch9wavefront6targetE0EEEvSZ_,comdat
	.globl	_ZN7rocprim17ROCPRIM_400000_NS6detail17trampoline_kernelINS0_13select_configILj256ELj13ELNS0_17block_load_methodE3ELS4_3ELS4_3ELNS0_20block_scan_algorithmE0ELj4294967295EEENS1_25partition_config_selectorILNS1_17partition_subalgoE3EjNS0_10empty_typeEbEEZZNS1_14partition_implILS8_3ELb0ES6_jNS0_17counting_iteratorIjlEEPS9_SE_NS0_5tupleIJPjSE_EEENSF_IJSE_SE_EEES9_SG_JZNS1_25segmented_radix_sort_implINS0_14default_configELb0EPK12hip_bfloat16PSL_PKlPlN2at6native12_GLOBAL__N_18offset_tEEE10hipError_tPvRmT1_PNSt15iterator_traitsISZ_E10value_typeET2_T3_PNS10_IS15_E10value_typeET4_jRbjT5_S1B_jjP12ihipStream_tbEUljE_EEESW_SX_SY_S15_S19_S1B_T6_T7_T9_mT8_S1D_bDpT10_ENKUlT_T0_E_clISt17integral_constantIbLb0EES1Q_EEDaS1L_S1M_EUlS1L_E_NS1_11comp_targetILNS1_3genE4ELNS1_11target_archE910ELNS1_3gpuE8ELNS1_3repE0EEENS1_30default_config_static_selectorELNS0_4arch9wavefront6targetE0EEEvSZ_ ; -- Begin function _ZN7rocprim17ROCPRIM_400000_NS6detail17trampoline_kernelINS0_13select_configILj256ELj13ELNS0_17block_load_methodE3ELS4_3ELS4_3ELNS0_20block_scan_algorithmE0ELj4294967295EEENS1_25partition_config_selectorILNS1_17partition_subalgoE3EjNS0_10empty_typeEbEEZZNS1_14partition_implILS8_3ELb0ES6_jNS0_17counting_iteratorIjlEEPS9_SE_NS0_5tupleIJPjSE_EEENSF_IJSE_SE_EEES9_SG_JZNS1_25segmented_radix_sort_implINS0_14default_configELb0EPK12hip_bfloat16PSL_PKlPlN2at6native12_GLOBAL__N_18offset_tEEE10hipError_tPvRmT1_PNSt15iterator_traitsISZ_E10value_typeET2_T3_PNS10_IS15_E10value_typeET4_jRbjT5_S1B_jjP12ihipStream_tbEUljE_EEESW_SX_SY_S15_S19_S1B_T6_T7_T9_mT8_S1D_bDpT10_ENKUlT_T0_E_clISt17integral_constantIbLb0EES1Q_EEDaS1L_S1M_EUlS1L_E_NS1_11comp_targetILNS1_3genE4ELNS1_11target_archE910ELNS1_3gpuE8ELNS1_3repE0EEENS1_30default_config_static_selectorELNS0_4arch9wavefront6targetE0EEEvSZ_
	.p2align	8
	.type	_ZN7rocprim17ROCPRIM_400000_NS6detail17trampoline_kernelINS0_13select_configILj256ELj13ELNS0_17block_load_methodE3ELS4_3ELS4_3ELNS0_20block_scan_algorithmE0ELj4294967295EEENS1_25partition_config_selectorILNS1_17partition_subalgoE3EjNS0_10empty_typeEbEEZZNS1_14partition_implILS8_3ELb0ES6_jNS0_17counting_iteratorIjlEEPS9_SE_NS0_5tupleIJPjSE_EEENSF_IJSE_SE_EEES9_SG_JZNS1_25segmented_radix_sort_implINS0_14default_configELb0EPK12hip_bfloat16PSL_PKlPlN2at6native12_GLOBAL__N_18offset_tEEE10hipError_tPvRmT1_PNSt15iterator_traitsISZ_E10value_typeET2_T3_PNS10_IS15_E10value_typeET4_jRbjT5_S1B_jjP12ihipStream_tbEUljE_EEESW_SX_SY_S15_S19_S1B_T6_T7_T9_mT8_S1D_bDpT10_ENKUlT_T0_E_clISt17integral_constantIbLb0EES1Q_EEDaS1L_S1M_EUlS1L_E_NS1_11comp_targetILNS1_3genE4ELNS1_11target_archE910ELNS1_3gpuE8ELNS1_3repE0EEENS1_30default_config_static_selectorELNS0_4arch9wavefront6targetE0EEEvSZ_,@function
_ZN7rocprim17ROCPRIM_400000_NS6detail17trampoline_kernelINS0_13select_configILj256ELj13ELNS0_17block_load_methodE3ELS4_3ELS4_3ELNS0_20block_scan_algorithmE0ELj4294967295EEENS1_25partition_config_selectorILNS1_17partition_subalgoE3EjNS0_10empty_typeEbEEZZNS1_14partition_implILS8_3ELb0ES6_jNS0_17counting_iteratorIjlEEPS9_SE_NS0_5tupleIJPjSE_EEENSF_IJSE_SE_EEES9_SG_JZNS1_25segmented_radix_sort_implINS0_14default_configELb0EPK12hip_bfloat16PSL_PKlPlN2at6native12_GLOBAL__N_18offset_tEEE10hipError_tPvRmT1_PNSt15iterator_traitsISZ_E10value_typeET2_T3_PNS10_IS15_E10value_typeET4_jRbjT5_S1B_jjP12ihipStream_tbEUljE_EEESW_SX_SY_S15_S19_S1B_T6_T7_T9_mT8_S1D_bDpT10_ENKUlT_T0_E_clISt17integral_constantIbLb0EES1Q_EEDaS1L_S1M_EUlS1L_E_NS1_11comp_targetILNS1_3genE4ELNS1_11target_archE910ELNS1_3gpuE8ELNS1_3repE0EEENS1_30default_config_static_selectorELNS0_4arch9wavefront6targetE0EEEvSZ_: ; @_ZN7rocprim17ROCPRIM_400000_NS6detail17trampoline_kernelINS0_13select_configILj256ELj13ELNS0_17block_load_methodE3ELS4_3ELS4_3ELNS0_20block_scan_algorithmE0ELj4294967295EEENS1_25partition_config_selectorILNS1_17partition_subalgoE3EjNS0_10empty_typeEbEEZZNS1_14partition_implILS8_3ELb0ES6_jNS0_17counting_iteratorIjlEEPS9_SE_NS0_5tupleIJPjSE_EEENSF_IJSE_SE_EEES9_SG_JZNS1_25segmented_radix_sort_implINS0_14default_configELb0EPK12hip_bfloat16PSL_PKlPlN2at6native12_GLOBAL__N_18offset_tEEE10hipError_tPvRmT1_PNSt15iterator_traitsISZ_E10value_typeET2_T3_PNS10_IS15_E10value_typeET4_jRbjT5_S1B_jjP12ihipStream_tbEUljE_EEESW_SX_SY_S15_S19_S1B_T6_T7_T9_mT8_S1D_bDpT10_ENKUlT_T0_E_clISt17integral_constantIbLb0EES1Q_EEDaS1L_S1M_EUlS1L_E_NS1_11comp_targetILNS1_3genE4ELNS1_11target_archE910ELNS1_3gpuE8ELNS1_3repE0EEENS1_30default_config_static_selectorELNS0_4arch9wavefront6targetE0EEEvSZ_
; %bb.0:
	.section	.rodata,"a",@progbits
	.p2align	6, 0x0
	.amdhsa_kernel _ZN7rocprim17ROCPRIM_400000_NS6detail17trampoline_kernelINS0_13select_configILj256ELj13ELNS0_17block_load_methodE3ELS4_3ELS4_3ELNS0_20block_scan_algorithmE0ELj4294967295EEENS1_25partition_config_selectorILNS1_17partition_subalgoE3EjNS0_10empty_typeEbEEZZNS1_14partition_implILS8_3ELb0ES6_jNS0_17counting_iteratorIjlEEPS9_SE_NS0_5tupleIJPjSE_EEENSF_IJSE_SE_EEES9_SG_JZNS1_25segmented_radix_sort_implINS0_14default_configELb0EPK12hip_bfloat16PSL_PKlPlN2at6native12_GLOBAL__N_18offset_tEEE10hipError_tPvRmT1_PNSt15iterator_traitsISZ_E10value_typeET2_T3_PNS10_IS15_E10value_typeET4_jRbjT5_S1B_jjP12ihipStream_tbEUljE_EEESW_SX_SY_S15_S19_S1B_T6_T7_T9_mT8_S1D_bDpT10_ENKUlT_T0_E_clISt17integral_constantIbLb0EES1Q_EEDaS1L_S1M_EUlS1L_E_NS1_11comp_targetILNS1_3genE4ELNS1_11target_archE910ELNS1_3gpuE8ELNS1_3repE0EEENS1_30default_config_static_selectorELNS0_4arch9wavefront6targetE0EEEvSZ_
		.amdhsa_group_segment_fixed_size 0
		.amdhsa_private_segment_fixed_size 0
		.amdhsa_kernarg_size 144
		.amdhsa_user_sgpr_count 2
		.amdhsa_user_sgpr_dispatch_ptr 0
		.amdhsa_user_sgpr_queue_ptr 0
		.amdhsa_user_sgpr_kernarg_segment_ptr 1
		.amdhsa_user_sgpr_dispatch_id 0
		.amdhsa_user_sgpr_private_segment_size 0
		.amdhsa_wavefront_size32 1
		.amdhsa_uses_dynamic_stack 0
		.amdhsa_enable_private_segment 0
		.amdhsa_system_sgpr_workgroup_id_x 1
		.amdhsa_system_sgpr_workgroup_id_y 0
		.amdhsa_system_sgpr_workgroup_id_z 0
		.amdhsa_system_sgpr_workgroup_info 0
		.amdhsa_system_vgpr_workitem_id 0
		.amdhsa_next_free_vgpr 1
		.amdhsa_next_free_sgpr 1
		.amdhsa_reserve_vcc 0
		.amdhsa_float_round_mode_32 0
		.amdhsa_float_round_mode_16_64 0
		.amdhsa_float_denorm_mode_32 3
		.amdhsa_float_denorm_mode_16_64 3
		.amdhsa_fp16_overflow 0
		.amdhsa_workgroup_processor_mode 1
		.amdhsa_memory_ordered 1
		.amdhsa_forward_progress 1
		.amdhsa_inst_pref_size 0
		.amdhsa_round_robin_scheduling 0
		.amdhsa_exception_fp_ieee_invalid_op 0
		.amdhsa_exception_fp_denorm_src 0
		.amdhsa_exception_fp_ieee_div_zero 0
		.amdhsa_exception_fp_ieee_overflow 0
		.amdhsa_exception_fp_ieee_underflow 0
		.amdhsa_exception_fp_ieee_inexact 0
		.amdhsa_exception_int_div_zero 0
	.end_amdhsa_kernel
	.section	.text._ZN7rocprim17ROCPRIM_400000_NS6detail17trampoline_kernelINS0_13select_configILj256ELj13ELNS0_17block_load_methodE3ELS4_3ELS4_3ELNS0_20block_scan_algorithmE0ELj4294967295EEENS1_25partition_config_selectorILNS1_17partition_subalgoE3EjNS0_10empty_typeEbEEZZNS1_14partition_implILS8_3ELb0ES6_jNS0_17counting_iteratorIjlEEPS9_SE_NS0_5tupleIJPjSE_EEENSF_IJSE_SE_EEES9_SG_JZNS1_25segmented_radix_sort_implINS0_14default_configELb0EPK12hip_bfloat16PSL_PKlPlN2at6native12_GLOBAL__N_18offset_tEEE10hipError_tPvRmT1_PNSt15iterator_traitsISZ_E10value_typeET2_T3_PNS10_IS15_E10value_typeET4_jRbjT5_S1B_jjP12ihipStream_tbEUljE_EEESW_SX_SY_S15_S19_S1B_T6_T7_T9_mT8_S1D_bDpT10_ENKUlT_T0_E_clISt17integral_constantIbLb0EES1Q_EEDaS1L_S1M_EUlS1L_E_NS1_11comp_targetILNS1_3genE4ELNS1_11target_archE910ELNS1_3gpuE8ELNS1_3repE0EEENS1_30default_config_static_selectorELNS0_4arch9wavefront6targetE0EEEvSZ_,"axG",@progbits,_ZN7rocprim17ROCPRIM_400000_NS6detail17trampoline_kernelINS0_13select_configILj256ELj13ELNS0_17block_load_methodE3ELS4_3ELS4_3ELNS0_20block_scan_algorithmE0ELj4294967295EEENS1_25partition_config_selectorILNS1_17partition_subalgoE3EjNS0_10empty_typeEbEEZZNS1_14partition_implILS8_3ELb0ES6_jNS0_17counting_iteratorIjlEEPS9_SE_NS0_5tupleIJPjSE_EEENSF_IJSE_SE_EEES9_SG_JZNS1_25segmented_radix_sort_implINS0_14default_configELb0EPK12hip_bfloat16PSL_PKlPlN2at6native12_GLOBAL__N_18offset_tEEE10hipError_tPvRmT1_PNSt15iterator_traitsISZ_E10value_typeET2_T3_PNS10_IS15_E10value_typeET4_jRbjT5_S1B_jjP12ihipStream_tbEUljE_EEESW_SX_SY_S15_S19_S1B_T6_T7_T9_mT8_S1D_bDpT10_ENKUlT_T0_E_clISt17integral_constantIbLb0EES1Q_EEDaS1L_S1M_EUlS1L_E_NS1_11comp_targetILNS1_3genE4ELNS1_11target_archE910ELNS1_3gpuE8ELNS1_3repE0EEENS1_30default_config_static_selectorELNS0_4arch9wavefront6targetE0EEEvSZ_,comdat
.Lfunc_end2019:
	.size	_ZN7rocprim17ROCPRIM_400000_NS6detail17trampoline_kernelINS0_13select_configILj256ELj13ELNS0_17block_load_methodE3ELS4_3ELS4_3ELNS0_20block_scan_algorithmE0ELj4294967295EEENS1_25partition_config_selectorILNS1_17partition_subalgoE3EjNS0_10empty_typeEbEEZZNS1_14partition_implILS8_3ELb0ES6_jNS0_17counting_iteratorIjlEEPS9_SE_NS0_5tupleIJPjSE_EEENSF_IJSE_SE_EEES9_SG_JZNS1_25segmented_radix_sort_implINS0_14default_configELb0EPK12hip_bfloat16PSL_PKlPlN2at6native12_GLOBAL__N_18offset_tEEE10hipError_tPvRmT1_PNSt15iterator_traitsISZ_E10value_typeET2_T3_PNS10_IS15_E10value_typeET4_jRbjT5_S1B_jjP12ihipStream_tbEUljE_EEESW_SX_SY_S15_S19_S1B_T6_T7_T9_mT8_S1D_bDpT10_ENKUlT_T0_E_clISt17integral_constantIbLb0EES1Q_EEDaS1L_S1M_EUlS1L_E_NS1_11comp_targetILNS1_3genE4ELNS1_11target_archE910ELNS1_3gpuE8ELNS1_3repE0EEENS1_30default_config_static_selectorELNS0_4arch9wavefront6targetE0EEEvSZ_, .Lfunc_end2019-_ZN7rocprim17ROCPRIM_400000_NS6detail17trampoline_kernelINS0_13select_configILj256ELj13ELNS0_17block_load_methodE3ELS4_3ELS4_3ELNS0_20block_scan_algorithmE0ELj4294967295EEENS1_25partition_config_selectorILNS1_17partition_subalgoE3EjNS0_10empty_typeEbEEZZNS1_14partition_implILS8_3ELb0ES6_jNS0_17counting_iteratorIjlEEPS9_SE_NS0_5tupleIJPjSE_EEENSF_IJSE_SE_EEES9_SG_JZNS1_25segmented_radix_sort_implINS0_14default_configELb0EPK12hip_bfloat16PSL_PKlPlN2at6native12_GLOBAL__N_18offset_tEEE10hipError_tPvRmT1_PNSt15iterator_traitsISZ_E10value_typeET2_T3_PNS10_IS15_E10value_typeET4_jRbjT5_S1B_jjP12ihipStream_tbEUljE_EEESW_SX_SY_S15_S19_S1B_T6_T7_T9_mT8_S1D_bDpT10_ENKUlT_T0_E_clISt17integral_constantIbLb0EES1Q_EEDaS1L_S1M_EUlS1L_E_NS1_11comp_targetILNS1_3genE4ELNS1_11target_archE910ELNS1_3gpuE8ELNS1_3repE0EEENS1_30default_config_static_selectorELNS0_4arch9wavefront6targetE0EEEvSZ_
                                        ; -- End function
	.set _ZN7rocprim17ROCPRIM_400000_NS6detail17trampoline_kernelINS0_13select_configILj256ELj13ELNS0_17block_load_methodE3ELS4_3ELS4_3ELNS0_20block_scan_algorithmE0ELj4294967295EEENS1_25partition_config_selectorILNS1_17partition_subalgoE3EjNS0_10empty_typeEbEEZZNS1_14partition_implILS8_3ELb0ES6_jNS0_17counting_iteratorIjlEEPS9_SE_NS0_5tupleIJPjSE_EEENSF_IJSE_SE_EEES9_SG_JZNS1_25segmented_radix_sort_implINS0_14default_configELb0EPK12hip_bfloat16PSL_PKlPlN2at6native12_GLOBAL__N_18offset_tEEE10hipError_tPvRmT1_PNSt15iterator_traitsISZ_E10value_typeET2_T3_PNS10_IS15_E10value_typeET4_jRbjT5_S1B_jjP12ihipStream_tbEUljE_EEESW_SX_SY_S15_S19_S1B_T6_T7_T9_mT8_S1D_bDpT10_ENKUlT_T0_E_clISt17integral_constantIbLb0EES1Q_EEDaS1L_S1M_EUlS1L_E_NS1_11comp_targetILNS1_3genE4ELNS1_11target_archE910ELNS1_3gpuE8ELNS1_3repE0EEENS1_30default_config_static_selectorELNS0_4arch9wavefront6targetE0EEEvSZ_.num_vgpr, 0
	.set _ZN7rocprim17ROCPRIM_400000_NS6detail17trampoline_kernelINS0_13select_configILj256ELj13ELNS0_17block_load_methodE3ELS4_3ELS4_3ELNS0_20block_scan_algorithmE0ELj4294967295EEENS1_25partition_config_selectorILNS1_17partition_subalgoE3EjNS0_10empty_typeEbEEZZNS1_14partition_implILS8_3ELb0ES6_jNS0_17counting_iteratorIjlEEPS9_SE_NS0_5tupleIJPjSE_EEENSF_IJSE_SE_EEES9_SG_JZNS1_25segmented_radix_sort_implINS0_14default_configELb0EPK12hip_bfloat16PSL_PKlPlN2at6native12_GLOBAL__N_18offset_tEEE10hipError_tPvRmT1_PNSt15iterator_traitsISZ_E10value_typeET2_T3_PNS10_IS15_E10value_typeET4_jRbjT5_S1B_jjP12ihipStream_tbEUljE_EEESW_SX_SY_S15_S19_S1B_T6_T7_T9_mT8_S1D_bDpT10_ENKUlT_T0_E_clISt17integral_constantIbLb0EES1Q_EEDaS1L_S1M_EUlS1L_E_NS1_11comp_targetILNS1_3genE4ELNS1_11target_archE910ELNS1_3gpuE8ELNS1_3repE0EEENS1_30default_config_static_selectorELNS0_4arch9wavefront6targetE0EEEvSZ_.num_agpr, 0
	.set _ZN7rocprim17ROCPRIM_400000_NS6detail17trampoline_kernelINS0_13select_configILj256ELj13ELNS0_17block_load_methodE3ELS4_3ELS4_3ELNS0_20block_scan_algorithmE0ELj4294967295EEENS1_25partition_config_selectorILNS1_17partition_subalgoE3EjNS0_10empty_typeEbEEZZNS1_14partition_implILS8_3ELb0ES6_jNS0_17counting_iteratorIjlEEPS9_SE_NS0_5tupleIJPjSE_EEENSF_IJSE_SE_EEES9_SG_JZNS1_25segmented_radix_sort_implINS0_14default_configELb0EPK12hip_bfloat16PSL_PKlPlN2at6native12_GLOBAL__N_18offset_tEEE10hipError_tPvRmT1_PNSt15iterator_traitsISZ_E10value_typeET2_T3_PNS10_IS15_E10value_typeET4_jRbjT5_S1B_jjP12ihipStream_tbEUljE_EEESW_SX_SY_S15_S19_S1B_T6_T7_T9_mT8_S1D_bDpT10_ENKUlT_T0_E_clISt17integral_constantIbLb0EES1Q_EEDaS1L_S1M_EUlS1L_E_NS1_11comp_targetILNS1_3genE4ELNS1_11target_archE910ELNS1_3gpuE8ELNS1_3repE0EEENS1_30default_config_static_selectorELNS0_4arch9wavefront6targetE0EEEvSZ_.numbered_sgpr, 0
	.set _ZN7rocprim17ROCPRIM_400000_NS6detail17trampoline_kernelINS0_13select_configILj256ELj13ELNS0_17block_load_methodE3ELS4_3ELS4_3ELNS0_20block_scan_algorithmE0ELj4294967295EEENS1_25partition_config_selectorILNS1_17partition_subalgoE3EjNS0_10empty_typeEbEEZZNS1_14partition_implILS8_3ELb0ES6_jNS0_17counting_iteratorIjlEEPS9_SE_NS0_5tupleIJPjSE_EEENSF_IJSE_SE_EEES9_SG_JZNS1_25segmented_radix_sort_implINS0_14default_configELb0EPK12hip_bfloat16PSL_PKlPlN2at6native12_GLOBAL__N_18offset_tEEE10hipError_tPvRmT1_PNSt15iterator_traitsISZ_E10value_typeET2_T3_PNS10_IS15_E10value_typeET4_jRbjT5_S1B_jjP12ihipStream_tbEUljE_EEESW_SX_SY_S15_S19_S1B_T6_T7_T9_mT8_S1D_bDpT10_ENKUlT_T0_E_clISt17integral_constantIbLb0EES1Q_EEDaS1L_S1M_EUlS1L_E_NS1_11comp_targetILNS1_3genE4ELNS1_11target_archE910ELNS1_3gpuE8ELNS1_3repE0EEENS1_30default_config_static_selectorELNS0_4arch9wavefront6targetE0EEEvSZ_.num_named_barrier, 0
	.set _ZN7rocprim17ROCPRIM_400000_NS6detail17trampoline_kernelINS0_13select_configILj256ELj13ELNS0_17block_load_methodE3ELS4_3ELS4_3ELNS0_20block_scan_algorithmE0ELj4294967295EEENS1_25partition_config_selectorILNS1_17partition_subalgoE3EjNS0_10empty_typeEbEEZZNS1_14partition_implILS8_3ELb0ES6_jNS0_17counting_iteratorIjlEEPS9_SE_NS0_5tupleIJPjSE_EEENSF_IJSE_SE_EEES9_SG_JZNS1_25segmented_radix_sort_implINS0_14default_configELb0EPK12hip_bfloat16PSL_PKlPlN2at6native12_GLOBAL__N_18offset_tEEE10hipError_tPvRmT1_PNSt15iterator_traitsISZ_E10value_typeET2_T3_PNS10_IS15_E10value_typeET4_jRbjT5_S1B_jjP12ihipStream_tbEUljE_EEESW_SX_SY_S15_S19_S1B_T6_T7_T9_mT8_S1D_bDpT10_ENKUlT_T0_E_clISt17integral_constantIbLb0EES1Q_EEDaS1L_S1M_EUlS1L_E_NS1_11comp_targetILNS1_3genE4ELNS1_11target_archE910ELNS1_3gpuE8ELNS1_3repE0EEENS1_30default_config_static_selectorELNS0_4arch9wavefront6targetE0EEEvSZ_.private_seg_size, 0
	.set _ZN7rocprim17ROCPRIM_400000_NS6detail17trampoline_kernelINS0_13select_configILj256ELj13ELNS0_17block_load_methodE3ELS4_3ELS4_3ELNS0_20block_scan_algorithmE0ELj4294967295EEENS1_25partition_config_selectorILNS1_17partition_subalgoE3EjNS0_10empty_typeEbEEZZNS1_14partition_implILS8_3ELb0ES6_jNS0_17counting_iteratorIjlEEPS9_SE_NS0_5tupleIJPjSE_EEENSF_IJSE_SE_EEES9_SG_JZNS1_25segmented_radix_sort_implINS0_14default_configELb0EPK12hip_bfloat16PSL_PKlPlN2at6native12_GLOBAL__N_18offset_tEEE10hipError_tPvRmT1_PNSt15iterator_traitsISZ_E10value_typeET2_T3_PNS10_IS15_E10value_typeET4_jRbjT5_S1B_jjP12ihipStream_tbEUljE_EEESW_SX_SY_S15_S19_S1B_T6_T7_T9_mT8_S1D_bDpT10_ENKUlT_T0_E_clISt17integral_constantIbLb0EES1Q_EEDaS1L_S1M_EUlS1L_E_NS1_11comp_targetILNS1_3genE4ELNS1_11target_archE910ELNS1_3gpuE8ELNS1_3repE0EEENS1_30default_config_static_selectorELNS0_4arch9wavefront6targetE0EEEvSZ_.uses_vcc, 0
	.set _ZN7rocprim17ROCPRIM_400000_NS6detail17trampoline_kernelINS0_13select_configILj256ELj13ELNS0_17block_load_methodE3ELS4_3ELS4_3ELNS0_20block_scan_algorithmE0ELj4294967295EEENS1_25partition_config_selectorILNS1_17partition_subalgoE3EjNS0_10empty_typeEbEEZZNS1_14partition_implILS8_3ELb0ES6_jNS0_17counting_iteratorIjlEEPS9_SE_NS0_5tupleIJPjSE_EEENSF_IJSE_SE_EEES9_SG_JZNS1_25segmented_radix_sort_implINS0_14default_configELb0EPK12hip_bfloat16PSL_PKlPlN2at6native12_GLOBAL__N_18offset_tEEE10hipError_tPvRmT1_PNSt15iterator_traitsISZ_E10value_typeET2_T3_PNS10_IS15_E10value_typeET4_jRbjT5_S1B_jjP12ihipStream_tbEUljE_EEESW_SX_SY_S15_S19_S1B_T6_T7_T9_mT8_S1D_bDpT10_ENKUlT_T0_E_clISt17integral_constantIbLb0EES1Q_EEDaS1L_S1M_EUlS1L_E_NS1_11comp_targetILNS1_3genE4ELNS1_11target_archE910ELNS1_3gpuE8ELNS1_3repE0EEENS1_30default_config_static_selectorELNS0_4arch9wavefront6targetE0EEEvSZ_.uses_flat_scratch, 0
	.set _ZN7rocprim17ROCPRIM_400000_NS6detail17trampoline_kernelINS0_13select_configILj256ELj13ELNS0_17block_load_methodE3ELS4_3ELS4_3ELNS0_20block_scan_algorithmE0ELj4294967295EEENS1_25partition_config_selectorILNS1_17partition_subalgoE3EjNS0_10empty_typeEbEEZZNS1_14partition_implILS8_3ELb0ES6_jNS0_17counting_iteratorIjlEEPS9_SE_NS0_5tupleIJPjSE_EEENSF_IJSE_SE_EEES9_SG_JZNS1_25segmented_radix_sort_implINS0_14default_configELb0EPK12hip_bfloat16PSL_PKlPlN2at6native12_GLOBAL__N_18offset_tEEE10hipError_tPvRmT1_PNSt15iterator_traitsISZ_E10value_typeET2_T3_PNS10_IS15_E10value_typeET4_jRbjT5_S1B_jjP12ihipStream_tbEUljE_EEESW_SX_SY_S15_S19_S1B_T6_T7_T9_mT8_S1D_bDpT10_ENKUlT_T0_E_clISt17integral_constantIbLb0EES1Q_EEDaS1L_S1M_EUlS1L_E_NS1_11comp_targetILNS1_3genE4ELNS1_11target_archE910ELNS1_3gpuE8ELNS1_3repE0EEENS1_30default_config_static_selectorELNS0_4arch9wavefront6targetE0EEEvSZ_.has_dyn_sized_stack, 0
	.set _ZN7rocprim17ROCPRIM_400000_NS6detail17trampoline_kernelINS0_13select_configILj256ELj13ELNS0_17block_load_methodE3ELS4_3ELS4_3ELNS0_20block_scan_algorithmE0ELj4294967295EEENS1_25partition_config_selectorILNS1_17partition_subalgoE3EjNS0_10empty_typeEbEEZZNS1_14partition_implILS8_3ELb0ES6_jNS0_17counting_iteratorIjlEEPS9_SE_NS0_5tupleIJPjSE_EEENSF_IJSE_SE_EEES9_SG_JZNS1_25segmented_radix_sort_implINS0_14default_configELb0EPK12hip_bfloat16PSL_PKlPlN2at6native12_GLOBAL__N_18offset_tEEE10hipError_tPvRmT1_PNSt15iterator_traitsISZ_E10value_typeET2_T3_PNS10_IS15_E10value_typeET4_jRbjT5_S1B_jjP12ihipStream_tbEUljE_EEESW_SX_SY_S15_S19_S1B_T6_T7_T9_mT8_S1D_bDpT10_ENKUlT_T0_E_clISt17integral_constantIbLb0EES1Q_EEDaS1L_S1M_EUlS1L_E_NS1_11comp_targetILNS1_3genE4ELNS1_11target_archE910ELNS1_3gpuE8ELNS1_3repE0EEENS1_30default_config_static_selectorELNS0_4arch9wavefront6targetE0EEEvSZ_.has_recursion, 0
	.set _ZN7rocprim17ROCPRIM_400000_NS6detail17trampoline_kernelINS0_13select_configILj256ELj13ELNS0_17block_load_methodE3ELS4_3ELS4_3ELNS0_20block_scan_algorithmE0ELj4294967295EEENS1_25partition_config_selectorILNS1_17partition_subalgoE3EjNS0_10empty_typeEbEEZZNS1_14partition_implILS8_3ELb0ES6_jNS0_17counting_iteratorIjlEEPS9_SE_NS0_5tupleIJPjSE_EEENSF_IJSE_SE_EEES9_SG_JZNS1_25segmented_radix_sort_implINS0_14default_configELb0EPK12hip_bfloat16PSL_PKlPlN2at6native12_GLOBAL__N_18offset_tEEE10hipError_tPvRmT1_PNSt15iterator_traitsISZ_E10value_typeET2_T3_PNS10_IS15_E10value_typeET4_jRbjT5_S1B_jjP12ihipStream_tbEUljE_EEESW_SX_SY_S15_S19_S1B_T6_T7_T9_mT8_S1D_bDpT10_ENKUlT_T0_E_clISt17integral_constantIbLb0EES1Q_EEDaS1L_S1M_EUlS1L_E_NS1_11comp_targetILNS1_3genE4ELNS1_11target_archE910ELNS1_3gpuE8ELNS1_3repE0EEENS1_30default_config_static_selectorELNS0_4arch9wavefront6targetE0EEEvSZ_.has_indirect_call, 0
	.section	.AMDGPU.csdata,"",@progbits
; Kernel info:
; codeLenInByte = 0
; TotalNumSgprs: 0
; NumVgprs: 0
; ScratchSize: 0
; MemoryBound: 0
; FloatMode: 240
; IeeeMode: 1
; LDSByteSize: 0 bytes/workgroup (compile time only)
; SGPRBlocks: 0
; VGPRBlocks: 0
; NumSGPRsForWavesPerEU: 1
; NumVGPRsForWavesPerEU: 1
; Occupancy: 16
; WaveLimiterHint : 0
; COMPUTE_PGM_RSRC2:SCRATCH_EN: 0
; COMPUTE_PGM_RSRC2:USER_SGPR: 2
; COMPUTE_PGM_RSRC2:TRAP_HANDLER: 0
; COMPUTE_PGM_RSRC2:TGID_X_EN: 1
; COMPUTE_PGM_RSRC2:TGID_Y_EN: 0
; COMPUTE_PGM_RSRC2:TGID_Z_EN: 0
; COMPUTE_PGM_RSRC2:TIDIG_COMP_CNT: 0
	.section	.text._ZN7rocprim17ROCPRIM_400000_NS6detail17trampoline_kernelINS0_13select_configILj256ELj13ELNS0_17block_load_methodE3ELS4_3ELS4_3ELNS0_20block_scan_algorithmE0ELj4294967295EEENS1_25partition_config_selectorILNS1_17partition_subalgoE3EjNS0_10empty_typeEbEEZZNS1_14partition_implILS8_3ELb0ES6_jNS0_17counting_iteratorIjlEEPS9_SE_NS0_5tupleIJPjSE_EEENSF_IJSE_SE_EEES9_SG_JZNS1_25segmented_radix_sort_implINS0_14default_configELb0EPK12hip_bfloat16PSL_PKlPlN2at6native12_GLOBAL__N_18offset_tEEE10hipError_tPvRmT1_PNSt15iterator_traitsISZ_E10value_typeET2_T3_PNS10_IS15_E10value_typeET4_jRbjT5_S1B_jjP12ihipStream_tbEUljE_EEESW_SX_SY_S15_S19_S1B_T6_T7_T9_mT8_S1D_bDpT10_ENKUlT_T0_E_clISt17integral_constantIbLb0EES1Q_EEDaS1L_S1M_EUlS1L_E_NS1_11comp_targetILNS1_3genE3ELNS1_11target_archE908ELNS1_3gpuE7ELNS1_3repE0EEENS1_30default_config_static_selectorELNS0_4arch9wavefront6targetE0EEEvSZ_,"axG",@progbits,_ZN7rocprim17ROCPRIM_400000_NS6detail17trampoline_kernelINS0_13select_configILj256ELj13ELNS0_17block_load_methodE3ELS4_3ELS4_3ELNS0_20block_scan_algorithmE0ELj4294967295EEENS1_25partition_config_selectorILNS1_17partition_subalgoE3EjNS0_10empty_typeEbEEZZNS1_14partition_implILS8_3ELb0ES6_jNS0_17counting_iteratorIjlEEPS9_SE_NS0_5tupleIJPjSE_EEENSF_IJSE_SE_EEES9_SG_JZNS1_25segmented_radix_sort_implINS0_14default_configELb0EPK12hip_bfloat16PSL_PKlPlN2at6native12_GLOBAL__N_18offset_tEEE10hipError_tPvRmT1_PNSt15iterator_traitsISZ_E10value_typeET2_T3_PNS10_IS15_E10value_typeET4_jRbjT5_S1B_jjP12ihipStream_tbEUljE_EEESW_SX_SY_S15_S19_S1B_T6_T7_T9_mT8_S1D_bDpT10_ENKUlT_T0_E_clISt17integral_constantIbLb0EES1Q_EEDaS1L_S1M_EUlS1L_E_NS1_11comp_targetILNS1_3genE3ELNS1_11target_archE908ELNS1_3gpuE7ELNS1_3repE0EEENS1_30default_config_static_selectorELNS0_4arch9wavefront6targetE0EEEvSZ_,comdat
	.globl	_ZN7rocprim17ROCPRIM_400000_NS6detail17trampoline_kernelINS0_13select_configILj256ELj13ELNS0_17block_load_methodE3ELS4_3ELS4_3ELNS0_20block_scan_algorithmE0ELj4294967295EEENS1_25partition_config_selectorILNS1_17partition_subalgoE3EjNS0_10empty_typeEbEEZZNS1_14partition_implILS8_3ELb0ES6_jNS0_17counting_iteratorIjlEEPS9_SE_NS0_5tupleIJPjSE_EEENSF_IJSE_SE_EEES9_SG_JZNS1_25segmented_radix_sort_implINS0_14default_configELb0EPK12hip_bfloat16PSL_PKlPlN2at6native12_GLOBAL__N_18offset_tEEE10hipError_tPvRmT1_PNSt15iterator_traitsISZ_E10value_typeET2_T3_PNS10_IS15_E10value_typeET4_jRbjT5_S1B_jjP12ihipStream_tbEUljE_EEESW_SX_SY_S15_S19_S1B_T6_T7_T9_mT8_S1D_bDpT10_ENKUlT_T0_E_clISt17integral_constantIbLb0EES1Q_EEDaS1L_S1M_EUlS1L_E_NS1_11comp_targetILNS1_3genE3ELNS1_11target_archE908ELNS1_3gpuE7ELNS1_3repE0EEENS1_30default_config_static_selectorELNS0_4arch9wavefront6targetE0EEEvSZ_ ; -- Begin function _ZN7rocprim17ROCPRIM_400000_NS6detail17trampoline_kernelINS0_13select_configILj256ELj13ELNS0_17block_load_methodE3ELS4_3ELS4_3ELNS0_20block_scan_algorithmE0ELj4294967295EEENS1_25partition_config_selectorILNS1_17partition_subalgoE3EjNS0_10empty_typeEbEEZZNS1_14partition_implILS8_3ELb0ES6_jNS0_17counting_iteratorIjlEEPS9_SE_NS0_5tupleIJPjSE_EEENSF_IJSE_SE_EEES9_SG_JZNS1_25segmented_radix_sort_implINS0_14default_configELb0EPK12hip_bfloat16PSL_PKlPlN2at6native12_GLOBAL__N_18offset_tEEE10hipError_tPvRmT1_PNSt15iterator_traitsISZ_E10value_typeET2_T3_PNS10_IS15_E10value_typeET4_jRbjT5_S1B_jjP12ihipStream_tbEUljE_EEESW_SX_SY_S15_S19_S1B_T6_T7_T9_mT8_S1D_bDpT10_ENKUlT_T0_E_clISt17integral_constantIbLb0EES1Q_EEDaS1L_S1M_EUlS1L_E_NS1_11comp_targetILNS1_3genE3ELNS1_11target_archE908ELNS1_3gpuE7ELNS1_3repE0EEENS1_30default_config_static_selectorELNS0_4arch9wavefront6targetE0EEEvSZ_
	.p2align	8
	.type	_ZN7rocprim17ROCPRIM_400000_NS6detail17trampoline_kernelINS0_13select_configILj256ELj13ELNS0_17block_load_methodE3ELS4_3ELS4_3ELNS0_20block_scan_algorithmE0ELj4294967295EEENS1_25partition_config_selectorILNS1_17partition_subalgoE3EjNS0_10empty_typeEbEEZZNS1_14partition_implILS8_3ELb0ES6_jNS0_17counting_iteratorIjlEEPS9_SE_NS0_5tupleIJPjSE_EEENSF_IJSE_SE_EEES9_SG_JZNS1_25segmented_radix_sort_implINS0_14default_configELb0EPK12hip_bfloat16PSL_PKlPlN2at6native12_GLOBAL__N_18offset_tEEE10hipError_tPvRmT1_PNSt15iterator_traitsISZ_E10value_typeET2_T3_PNS10_IS15_E10value_typeET4_jRbjT5_S1B_jjP12ihipStream_tbEUljE_EEESW_SX_SY_S15_S19_S1B_T6_T7_T9_mT8_S1D_bDpT10_ENKUlT_T0_E_clISt17integral_constantIbLb0EES1Q_EEDaS1L_S1M_EUlS1L_E_NS1_11comp_targetILNS1_3genE3ELNS1_11target_archE908ELNS1_3gpuE7ELNS1_3repE0EEENS1_30default_config_static_selectorELNS0_4arch9wavefront6targetE0EEEvSZ_,@function
_ZN7rocprim17ROCPRIM_400000_NS6detail17trampoline_kernelINS0_13select_configILj256ELj13ELNS0_17block_load_methodE3ELS4_3ELS4_3ELNS0_20block_scan_algorithmE0ELj4294967295EEENS1_25partition_config_selectorILNS1_17partition_subalgoE3EjNS0_10empty_typeEbEEZZNS1_14partition_implILS8_3ELb0ES6_jNS0_17counting_iteratorIjlEEPS9_SE_NS0_5tupleIJPjSE_EEENSF_IJSE_SE_EEES9_SG_JZNS1_25segmented_radix_sort_implINS0_14default_configELb0EPK12hip_bfloat16PSL_PKlPlN2at6native12_GLOBAL__N_18offset_tEEE10hipError_tPvRmT1_PNSt15iterator_traitsISZ_E10value_typeET2_T3_PNS10_IS15_E10value_typeET4_jRbjT5_S1B_jjP12ihipStream_tbEUljE_EEESW_SX_SY_S15_S19_S1B_T6_T7_T9_mT8_S1D_bDpT10_ENKUlT_T0_E_clISt17integral_constantIbLb0EES1Q_EEDaS1L_S1M_EUlS1L_E_NS1_11comp_targetILNS1_3genE3ELNS1_11target_archE908ELNS1_3gpuE7ELNS1_3repE0EEENS1_30default_config_static_selectorELNS0_4arch9wavefront6targetE0EEEvSZ_: ; @_ZN7rocprim17ROCPRIM_400000_NS6detail17trampoline_kernelINS0_13select_configILj256ELj13ELNS0_17block_load_methodE3ELS4_3ELS4_3ELNS0_20block_scan_algorithmE0ELj4294967295EEENS1_25partition_config_selectorILNS1_17partition_subalgoE3EjNS0_10empty_typeEbEEZZNS1_14partition_implILS8_3ELb0ES6_jNS0_17counting_iteratorIjlEEPS9_SE_NS0_5tupleIJPjSE_EEENSF_IJSE_SE_EEES9_SG_JZNS1_25segmented_radix_sort_implINS0_14default_configELb0EPK12hip_bfloat16PSL_PKlPlN2at6native12_GLOBAL__N_18offset_tEEE10hipError_tPvRmT1_PNSt15iterator_traitsISZ_E10value_typeET2_T3_PNS10_IS15_E10value_typeET4_jRbjT5_S1B_jjP12ihipStream_tbEUljE_EEESW_SX_SY_S15_S19_S1B_T6_T7_T9_mT8_S1D_bDpT10_ENKUlT_T0_E_clISt17integral_constantIbLb0EES1Q_EEDaS1L_S1M_EUlS1L_E_NS1_11comp_targetILNS1_3genE3ELNS1_11target_archE908ELNS1_3gpuE7ELNS1_3repE0EEENS1_30default_config_static_selectorELNS0_4arch9wavefront6targetE0EEEvSZ_
; %bb.0:
	.section	.rodata,"a",@progbits
	.p2align	6, 0x0
	.amdhsa_kernel _ZN7rocprim17ROCPRIM_400000_NS6detail17trampoline_kernelINS0_13select_configILj256ELj13ELNS0_17block_load_methodE3ELS4_3ELS4_3ELNS0_20block_scan_algorithmE0ELj4294967295EEENS1_25partition_config_selectorILNS1_17partition_subalgoE3EjNS0_10empty_typeEbEEZZNS1_14partition_implILS8_3ELb0ES6_jNS0_17counting_iteratorIjlEEPS9_SE_NS0_5tupleIJPjSE_EEENSF_IJSE_SE_EEES9_SG_JZNS1_25segmented_radix_sort_implINS0_14default_configELb0EPK12hip_bfloat16PSL_PKlPlN2at6native12_GLOBAL__N_18offset_tEEE10hipError_tPvRmT1_PNSt15iterator_traitsISZ_E10value_typeET2_T3_PNS10_IS15_E10value_typeET4_jRbjT5_S1B_jjP12ihipStream_tbEUljE_EEESW_SX_SY_S15_S19_S1B_T6_T7_T9_mT8_S1D_bDpT10_ENKUlT_T0_E_clISt17integral_constantIbLb0EES1Q_EEDaS1L_S1M_EUlS1L_E_NS1_11comp_targetILNS1_3genE3ELNS1_11target_archE908ELNS1_3gpuE7ELNS1_3repE0EEENS1_30default_config_static_selectorELNS0_4arch9wavefront6targetE0EEEvSZ_
		.amdhsa_group_segment_fixed_size 0
		.amdhsa_private_segment_fixed_size 0
		.amdhsa_kernarg_size 144
		.amdhsa_user_sgpr_count 2
		.amdhsa_user_sgpr_dispatch_ptr 0
		.amdhsa_user_sgpr_queue_ptr 0
		.amdhsa_user_sgpr_kernarg_segment_ptr 1
		.amdhsa_user_sgpr_dispatch_id 0
		.amdhsa_user_sgpr_private_segment_size 0
		.amdhsa_wavefront_size32 1
		.amdhsa_uses_dynamic_stack 0
		.amdhsa_enable_private_segment 0
		.amdhsa_system_sgpr_workgroup_id_x 1
		.amdhsa_system_sgpr_workgroup_id_y 0
		.amdhsa_system_sgpr_workgroup_id_z 0
		.amdhsa_system_sgpr_workgroup_info 0
		.amdhsa_system_vgpr_workitem_id 0
		.amdhsa_next_free_vgpr 1
		.amdhsa_next_free_sgpr 1
		.amdhsa_reserve_vcc 0
		.amdhsa_float_round_mode_32 0
		.amdhsa_float_round_mode_16_64 0
		.amdhsa_float_denorm_mode_32 3
		.amdhsa_float_denorm_mode_16_64 3
		.amdhsa_fp16_overflow 0
		.amdhsa_workgroup_processor_mode 1
		.amdhsa_memory_ordered 1
		.amdhsa_forward_progress 1
		.amdhsa_inst_pref_size 0
		.amdhsa_round_robin_scheduling 0
		.amdhsa_exception_fp_ieee_invalid_op 0
		.amdhsa_exception_fp_denorm_src 0
		.amdhsa_exception_fp_ieee_div_zero 0
		.amdhsa_exception_fp_ieee_overflow 0
		.amdhsa_exception_fp_ieee_underflow 0
		.amdhsa_exception_fp_ieee_inexact 0
		.amdhsa_exception_int_div_zero 0
	.end_amdhsa_kernel
	.section	.text._ZN7rocprim17ROCPRIM_400000_NS6detail17trampoline_kernelINS0_13select_configILj256ELj13ELNS0_17block_load_methodE3ELS4_3ELS4_3ELNS0_20block_scan_algorithmE0ELj4294967295EEENS1_25partition_config_selectorILNS1_17partition_subalgoE3EjNS0_10empty_typeEbEEZZNS1_14partition_implILS8_3ELb0ES6_jNS0_17counting_iteratorIjlEEPS9_SE_NS0_5tupleIJPjSE_EEENSF_IJSE_SE_EEES9_SG_JZNS1_25segmented_radix_sort_implINS0_14default_configELb0EPK12hip_bfloat16PSL_PKlPlN2at6native12_GLOBAL__N_18offset_tEEE10hipError_tPvRmT1_PNSt15iterator_traitsISZ_E10value_typeET2_T3_PNS10_IS15_E10value_typeET4_jRbjT5_S1B_jjP12ihipStream_tbEUljE_EEESW_SX_SY_S15_S19_S1B_T6_T7_T9_mT8_S1D_bDpT10_ENKUlT_T0_E_clISt17integral_constantIbLb0EES1Q_EEDaS1L_S1M_EUlS1L_E_NS1_11comp_targetILNS1_3genE3ELNS1_11target_archE908ELNS1_3gpuE7ELNS1_3repE0EEENS1_30default_config_static_selectorELNS0_4arch9wavefront6targetE0EEEvSZ_,"axG",@progbits,_ZN7rocprim17ROCPRIM_400000_NS6detail17trampoline_kernelINS0_13select_configILj256ELj13ELNS0_17block_load_methodE3ELS4_3ELS4_3ELNS0_20block_scan_algorithmE0ELj4294967295EEENS1_25partition_config_selectorILNS1_17partition_subalgoE3EjNS0_10empty_typeEbEEZZNS1_14partition_implILS8_3ELb0ES6_jNS0_17counting_iteratorIjlEEPS9_SE_NS0_5tupleIJPjSE_EEENSF_IJSE_SE_EEES9_SG_JZNS1_25segmented_radix_sort_implINS0_14default_configELb0EPK12hip_bfloat16PSL_PKlPlN2at6native12_GLOBAL__N_18offset_tEEE10hipError_tPvRmT1_PNSt15iterator_traitsISZ_E10value_typeET2_T3_PNS10_IS15_E10value_typeET4_jRbjT5_S1B_jjP12ihipStream_tbEUljE_EEESW_SX_SY_S15_S19_S1B_T6_T7_T9_mT8_S1D_bDpT10_ENKUlT_T0_E_clISt17integral_constantIbLb0EES1Q_EEDaS1L_S1M_EUlS1L_E_NS1_11comp_targetILNS1_3genE3ELNS1_11target_archE908ELNS1_3gpuE7ELNS1_3repE0EEENS1_30default_config_static_selectorELNS0_4arch9wavefront6targetE0EEEvSZ_,comdat
.Lfunc_end2020:
	.size	_ZN7rocprim17ROCPRIM_400000_NS6detail17trampoline_kernelINS0_13select_configILj256ELj13ELNS0_17block_load_methodE3ELS4_3ELS4_3ELNS0_20block_scan_algorithmE0ELj4294967295EEENS1_25partition_config_selectorILNS1_17partition_subalgoE3EjNS0_10empty_typeEbEEZZNS1_14partition_implILS8_3ELb0ES6_jNS0_17counting_iteratorIjlEEPS9_SE_NS0_5tupleIJPjSE_EEENSF_IJSE_SE_EEES9_SG_JZNS1_25segmented_radix_sort_implINS0_14default_configELb0EPK12hip_bfloat16PSL_PKlPlN2at6native12_GLOBAL__N_18offset_tEEE10hipError_tPvRmT1_PNSt15iterator_traitsISZ_E10value_typeET2_T3_PNS10_IS15_E10value_typeET4_jRbjT5_S1B_jjP12ihipStream_tbEUljE_EEESW_SX_SY_S15_S19_S1B_T6_T7_T9_mT8_S1D_bDpT10_ENKUlT_T0_E_clISt17integral_constantIbLb0EES1Q_EEDaS1L_S1M_EUlS1L_E_NS1_11comp_targetILNS1_3genE3ELNS1_11target_archE908ELNS1_3gpuE7ELNS1_3repE0EEENS1_30default_config_static_selectorELNS0_4arch9wavefront6targetE0EEEvSZ_, .Lfunc_end2020-_ZN7rocprim17ROCPRIM_400000_NS6detail17trampoline_kernelINS0_13select_configILj256ELj13ELNS0_17block_load_methodE3ELS4_3ELS4_3ELNS0_20block_scan_algorithmE0ELj4294967295EEENS1_25partition_config_selectorILNS1_17partition_subalgoE3EjNS0_10empty_typeEbEEZZNS1_14partition_implILS8_3ELb0ES6_jNS0_17counting_iteratorIjlEEPS9_SE_NS0_5tupleIJPjSE_EEENSF_IJSE_SE_EEES9_SG_JZNS1_25segmented_radix_sort_implINS0_14default_configELb0EPK12hip_bfloat16PSL_PKlPlN2at6native12_GLOBAL__N_18offset_tEEE10hipError_tPvRmT1_PNSt15iterator_traitsISZ_E10value_typeET2_T3_PNS10_IS15_E10value_typeET4_jRbjT5_S1B_jjP12ihipStream_tbEUljE_EEESW_SX_SY_S15_S19_S1B_T6_T7_T9_mT8_S1D_bDpT10_ENKUlT_T0_E_clISt17integral_constantIbLb0EES1Q_EEDaS1L_S1M_EUlS1L_E_NS1_11comp_targetILNS1_3genE3ELNS1_11target_archE908ELNS1_3gpuE7ELNS1_3repE0EEENS1_30default_config_static_selectorELNS0_4arch9wavefront6targetE0EEEvSZ_
                                        ; -- End function
	.set _ZN7rocprim17ROCPRIM_400000_NS6detail17trampoline_kernelINS0_13select_configILj256ELj13ELNS0_17block_load_methodE3ELS4_3ELS4_3ELNS0_20block_scan_algorithmE0ELj4294967295EEENS1_25partition_config_selectorILNS1_17partition_subalgoE3EjNS0_10empty_typeEbEEZZNS1_14partition_implILS8_3ELb0ES6_jNS0_17counting_iteratorIjlEEPS9_SE_NS0_5tupleIJPjSE_EEENSF_IJSE_SE_EEES9_SG_JZNS1_25segmented_radix_sort_implINS0_14default_configELb0EPK12hip_bfloat16PSL_PKlPlN2at6native12_GLOBAL__N_18offset_tEEE10hipError_tPvRmT1_PNSt15iterator_traitsISZ_E10value_typeET2_T3_PNS10_IS15_E10value_typeET4_jRbjT5_S1B_jjP12ihipStream_tbEUljE_EEESW_SX_SY_S15_S19_S1B_T6_T7_T9_mT8_S1D_bDpT10_ENKUlT_T0_E_clISt17integral_constantIbLb0EES1Q_EEDaS1L_S1M_EUlS1L_E_NS1_11comp_targetILNS1_3genE3ELNS1_11target_archE908ELNS1_3gpuE7ELNS1_3repE0EEENS1_30default_config_static_selectorELNS0_4arch9wavefront6targetE0EEEvSZ_.num_vgpr, 0
	.set _ZN7rocprim17ROCPRIM_400000_NS6detail17trampoline_kernelINS0_13select_configILj256ELj13ELNS0_17block_load_methodE3ELS4_3ELS4_3ELNS0_20block_scan_algorithmE0ELj4294967295EEENS1_25partition_config_selectorILNS1_17partition_subalgoE3EjNS0_10empty_typeEbEEZZNS1_14partition_implILS8_3ELb0ES6_jNS0_17counting_iteratorIjlEEPS9_SE_NS0_5tupleIJPjSE_EEENSF_IJSE_SE_EEES9_SG_JZNS1_25segmented_radix_sort_implINS0_14default_configELb0EPK12hip_bfloat16PSL_PKlPlN2at6native12_GLOBAL__N_18offset_tEEE10hipError_tPvRmT1_PNSt15iterator_traitsISZ_E10value_typeET2_T3_PNS10_IS15_E10value_typeET4_jRbjT5_S1B_jjP12ihipStream_tbEUljE_EEESW_SX_SY_S15_S19_S1B_T6_T7_T9_mT8_S1D_bDpT10_ENKUlT_T0_E_clISt17integral_constantIbLb0EES1Q_EEDaS1L_S1M_EUlS1L_E_NS1_11comp_targetILNS1_3genE3ELNS1_11target_archE908ELNS1_3gpuE7ELNS1_3repE0EEENS1_30default_config_static_selectorELNS0_4arch9wavefront6targetE0EEEvSZ_.num_agpr, 0
	.set _ZN7rocprim17ROCPRIM_400000_NS6detail17trampoline_kernelINS0_13select_configILj256ELj13ELNS0_17block_load_methodE3ELS4_3ELS4_3ELNS0_20block_scan_algorithmE0ELj4294967295EEENS1_25partition_config_selectorILNS1_17partition_subalgoE3EjNS0_10empty_typeEbEEZZNS1_14partition_implILS8_3ELb0ES6_jNS0_17counting_iteratorIjlEEPS9_SE_NS0_5tupleIJPjSE_EEENSF_IJSE_SE_EEES9_SG_JZNS1_25segmented_radix_sort_implINS0_14default_configELb0EPK12hip_bfloat16PSL_PKlPlN2at6native12_GLOBAL__N_18offset_tEEE10hipError_tPvRmT1_PNSt15iterator_traitsISZ_E10value_typeET2_T3_PNS10_IS15_E10value_typeET4_jRbjT5_S1B_jjP12ihipStream_tbEUljE_EEESW_SX_SY_S15_S19_S1B_T6_T7_T9_mT8_S1D_bDpT10_ENKUlT_T0_E_clISt17integral_constantIbLb0EES1Q_EEDaS1L_S1M_EUlS1L_E_NS1_11comp_targetILNS1_3genE3ELNS1_11target_archE908ELNS1_3gpuE7ELNS1_3repE0EEENS1_30default_config_static_selectorELNS0_4arch9wavefront6targetE0EEEvSZ_.numbered_sgpr, 0
	.set _ZN7rocprim17ROCPRIM_400000_NS6detail17trampoline_kernelINS0_13select_configILj256ELj13ELNS0_17block_load_methodE3ELS4_3ELS4_3ELNS0_20block_scan_algorithmE0ELj4294967295EEENS1_25partition_config_selectorILNS1_17partition_subalgoE3EjNS0_10empty_typeEbEEZZNS1_14partition_implILS8_3ELb0ES6_jNS0_17counting_iteratorIjlEEPS9_SE_NS0_5tupleIJPjSE_EEENSF_IJSE_SE_EEES9_SG_JZNS1_25segmented_radix_sort_implINS0_14default_configELb0EPK12hip_bfloat16PSL_PKlPlN2at6native12_GLOBAL__N_18offset_tEEE10hipError_tPvRmT1_PNSt15iterator_traitsISZ_E10value_typeET2_T3_PNS10_IS15_E10value_typeET4_jRbjT5_S1B_jjP12ihipStream_tbEUljE_EEESW_SX_SY_S15_S19_S1B_T6_T7_T9_mT8_S1D_bDpT10_ENKUlT_T0_E_clISt17integral_constantIbLb0EES1Q_EEDaS1L_S1M_EUlS1L_E_NS1_11comp_targetILNS1_3genE3ELNS1_11target_archE908ELNS1_3gpuE7ELNS1_3repE0EEENS1_30default_config_static_selectorELNS0_4arch9wavefront6targetE0EEEvSZ_.num_named_barrier, 0
	.set _ZN7rocprim17ROCPRIM_400000_NS6detail17trampoline_kernelINS0_13select_configILj256ELj13ELNS0_17block_load_methodE3ELS4_3ELS4_3ELNS0_20block_scan_algorithmE0ELj4294967295EEENS1_25partition_config_selectorILNS1_17partition_subalgoE3EjNS0_10empty_typeEbEEZZNS1_14partition_implILS8_3ELb0ES6_jNS0_17counting_iteratorIjlEEPS9_SE_NS0_5tupleIJPjSE_EEENSF_IJSE_SE_EEES9_SG_JZNS1_25segmented_radix_sort_implINS0_14default_configELb0EPK12hip_bfloat16PSL_PKlPlN2at6native12_GLOBAL__N_18offset_tEEE10hipError_tPvRmT1_PNSt15iterator_traitsISZ_E10value_typeET2_T3_PNS10_IS15_E10value_typeET4_jRbjT5_S1B_jjP12ihipStream_tbEUljE_EEESW_SX_SY_S15_S19_S1B_T6_T7_T9_mT8_S1D_bDpT10_ENKUlT_T0_E_clISt17integral_constantIbLb0EES1Q_EEDaS1L_S1M_EUlS1L_E_NS1_11comp_targetILNS1_3genE3ELNS1_11target_archE908ELNS1_3gpuE7ELNS1_3repE0EEENS1_30default_config_static_selectorELNS0_4arch9wavefront6targetE0EEEvSZ_.private_seg_size, 0
	.set _ZN7rocprim17ROCPRIM_400000_NS6detail17trampoline_kernelINS0_13select_configILj256ELj13ELNS0_17block_load_methodE3ELS4_3ELS4_3ELNS0_20block_scan_algorithmE0ELj4294967295EEENS1_25partition_config_selectorILNS1_17partition_subalgoE3EjNS0_10empty_typeEbEEZZNS1_14partition_implILS8_3ELb0ES6_jNS0_17counting_iteratorIjlEEPS9_SE_NS0_5tupleIJPjSE_EEENSF_IJSE_SE_EEES9_SG_JZNS1_25segmented_radix_sort_implINS0_14default_configELb0EPK12hip_bfloat16PSL_PKlPlN2at6native12_GLOBAL__N_18offset_tEEE10hipError_tPvRmT1_PNSt15iterator_traitsISZ_E10value_typeET2_T3_PNS10_IS15_E10value_typeET4_jRbjT5_S1B_jjP12ihipStream_tbEUljE_EEESW_SX_SY_S15_S19_S1B_T6_T7_T9_mT8_S1D_bDpT10_ENKUlT_T0_E_clISt17integral_constantIbLb0EES1Q_EEDaS1L_S1M_EUlS1L_E_NS1_11comp_targetILNS1_3genE3ELNS1_11target_archE908ELNS1_3gpuE7ELNS1_3repE0EEENS1_30default_config_static_selectorELNS0_4arch9wavefront6targetE0EEEvSZ_.uses_vcc, 0
	.set _ZN7rocprim17ROCPRIM_400000_NS6detail17trampoline_kernelINS0_13select_configILj256ELj13ELNS0_17block_load_methodE3ELS4_3ELS4_3ELNS0_20block_scan_algorithmE0ELj4294967295EEENS1_25partition_config_selectorILNS1_17partition_subalgoE3EjNS0_10empty_typeEbEEZZNS1_14partition_implILS8_3ELb0ES6_jNS0_17counting_iteratorIjlEEPS9_SE_NS0_5tupleIJPjSE_EEENSF_IJSE_SE_EEES9_SG_JZNS1_25segmented_radix_sort_implINS0_14default_configELb0EPK12hip_bfloat16PSL_PKlPlN2at6native12_GLOBAL__N_18offset_tEEE10hipError_tPvRmT1_PNSt15iterator_traitsISZ_E10value_typeET2_T3_PNS10_IS15_E10value_typeET4_jRbjT5_S1B_jjP12ihipStream_tbEUljE_EEESW_SX_SY_S15_S19_S1B_T6_T7_T9_mT8_S1D_bDpT10_ENKUlT_T0_E_clISt17integral_constantIbLb0EES1Q_EEDaS1L_S1M_EUlS1L_E_NS1_11comp_targetILNS1_3genE3ELNS1_11target_archE908ELNS1_3gpuE7ELNS1_3repE0EEENS1_30default_config_static_selectorELNS0_4arch9wavefront6targetE0EEEvSZ_.uses_flat_scratch, 0
	.set _ZN7rocprim17ROCPRIM_400000_NS6detail17trampoline_kernelINS0_13select_configILj256ELj13ELNS0_17block_load_methodE3ELS4_3ELS4_3ELNS0_20block_scan_algorithmE0ELj4294967295EEENS1_25partition_config_selectorILNS1_17partition_subalgoE3EjNS0_10empty_typeEbEEZZNS1_14partition_implILS8_3ELb0ES6_jNS0_17counting_iteratorIjlEEPS9_SE_NS0_5tupleIJPjSE_EEENSF_IJSE_SE_EEES9_SG_JZNS1_25segmented_radix_sort_implINS0_14default_configELb0EPK12hip_bfloat16PSL_PKlPlN2at6native12_GLOBAL__N_18offset_tEEE10hipError_tPvRmT1_PNSt15iterator_traitsISZ_E10value_typeET2_T3_PNS10_IS15_E10value_typeET4_jRbjT5_S1B_jjP12ihipStream_tbEUljE_EEESW_SX_SY_S15_S19_S1B_T6_T7_T9_mT8_S1D_bDpT10_ENKUlT_T0_E_clISt17integral_constantIbLb0EES1Q_EEDaS1L_S1M_EUlS1L_E_NS1_11comp_targetILNS1_3genE3ELNS1_11target_archE908ELNS1_3gpuE7ELNS1_3repE0EEENS1_30default_config_static_selectorELNS0_4arch9wavefront6targetE0EEEvSZ_.has_dyn_sized_stack, 0
	.set _ZN7rocprim17ROCPRIM_400000_NS6detail17trampoline_kernelINS0_13select_configILj256ELj13ELNS0_17block_load_methodE3ELS4_3ELS4_3ELNS0_20block_scan_algorithmE0ELj4294967295EEENS1_25partition_config_selectorILNS1_17partition_subalgoE3EjNS0_10empty_typeEbEEZZNS1_14partition_implILS8_3ELb0ES6_jNS0_17counting_iteratorIjlEEPS9_SE_NS0_5tupleIJPjSE_EEENSF_IJSE_SE_EEES9_SG_JZNS1_25segmented_radix_sort_implINS0_14default_configELb0EPK12hip_bfloat16PSL_PKlPlN2at6native12_GLOBAL__N_18offset_tEEE10hipError_tPvRmT1_PNSt15iterator_traitsISZ_E10value_typeET2_T3_PNS10_IS15_E10value_typeET4_jRbjT5_S1B_jjP12ihipStream_tbEUljE_EEESW_SX_SY_S15_S19_S1B_T6_T7_T9_mT8_S1D_bDpT10_ENKUlT_T0_E_clISt17integral_constantIbLb0EES1Q_EEDaS1L_S1M_EUlS1L_E_NS1_11comp_targetILNS1_3genE3ELNS1_11target_archE908ELNS1_3gpuE7ELNS1_3repE0EEENS1_30default_config_static_selectorELNS0_4arch9wavefront6targetE0EEEvSZ_.has_recursion, 0
	.set _ZN7rocprim17ROCPRIM_400000_NS6detail17trampoline_kernelINS0_13select_configILj256ELj13ELNS0_17block_load_methodE3ELS4_3ELS4_3ELNS0_20block_scan_algorithmE0ELj4294967295EEENS1_25partition_config_selectorILNS1_17partition_subalgoE3EjNS0_10empty_typeEbEEZZNS1_14partition_implILS8_3ELb0ES6_jNS0_17counting_iteratorIjlEEPS9_SE_NS0_5tupleIJPjSE_EEENSF_IJSE_SE_EEES9_SG_JZNS1_25segmented_radix_sort_implINS0_14default_configELb0EPK12hip_bfloat16PSL_PKlPlN2at6native12_GLOBAL__N_18offset_tEEE10hipError_tPvRmT1_PNSt15iterator_traitsISZ_E10value_typeET2_T3_PNS10_IS15_E10value_typeET4_jRbjT5_S1B_jjP12ihipStream_tbEUljE_EEESW_SX_SY_S15_S19_S1B_T6_T7_T9_mT8_S1D_bDpT10_ENKUlT_T0_E_clISt17integral_constantIbLb0EES1Q_EEDaS1L_S1M_EUlS1L_E_NS1_11comp_targetILNS1_3genE3ELNS1_11target_archE908ELNS1_3gpuE7ELNS1_3repE0EEENS1_30default_config_static_selectorELNS0_4arch9wavefront6targetE0EEEvSZ_.has_indirect_call, 0
	.section	.AMDGPU.csdata,"",@progbits
; Kernel info:
; codeLenInByte = 0
; TotalNumSgprs: 0
; NumVgprs: 0
; ScratchSize: 0
; MemoryBound: 0
; FloatMode: 240
; IeeeMode: 1
; LDSByteSize: 0 bytes/workgroup (compile time only)
; SGPRBlocks: 0
; VGPRBlocks: 0
; NumSGPRsForWavesPerEU: 1
; NumVGPRsForWavesPerEU: 1
; Occupancy: 16
; WaveLimiterHint : 0
; COMPUTE_PGM_RSRC2:SCRATCH_EN: 0
; COMPUTE_PGM_RSRC2:USER_SGPR: 2
; COMPUTE_PGM_RSRC2:TRAP_HANDLER: 0
; COMPUTE_PGM_RSRC2:TGID_X_EN: 1
; COMPUTE_PGM_RSRC2:TGID_Y_EN: 0
; COMPUTE_PGM_RSRC2:TGID_Z_EN: 0
; COMPUTE_PGM_RSRC2:TIDIG_COMP_CNT: 0
	.section	.text._ZN7rocprim17ROCPRIM_400000_NS6detail17trampoline_kernelINS0_13select_configILj256ELj13ELNS0_17block_load_methodE3ELS4_3ELS4_3ELNS0_20block_scan_algorithmE0ELj4294967295EEENS1_25partition_config_selectorILNS1_17partition_subalgoE3EjNS0_10empty_typeEbEEZZNS1_14partition_implILS8_3ELb0ES6_jNS0_17counting_iteratorIjlEEPS9_SE_NS0_5tupleIJPjSE_EEENSF_IJSE_SE_EEES9_SG_JZNS1_25segmented_radix_sort_implINS0_14default_configELb0EPK12hip_bfloat16PSL_PKlPlN2at6native12_GLOBAL__N_18offset_tEEE10hipError_tPvRmT1_PNSt15iterator_traitsISZ_E10value_typeET2_T3_PNS10_IS15_E10value_typeET4_jRbjT5_S1B_jjP12ihipStream_tbEUljE_EEESW_SX_SY_S15_S19_S1B_T6_T7_T9_mT8_S1D_bDpT10_ENKUlT_T0_E_clISt17integral_constantIbLb0EES1Q_EEDaS1L_S1M_EUlS1L_E_NS1_11comp_targetILNS1_3genE2ELNS1_11target_archE906ELNS1_3gpuE6ELNS1_3repE0EEENS1_30default_config_static_selectorELNS0_4arch9wavefront6targetE0EEEvSZ_,"axG",@progbits,_ZN7rocprim17ROCPRIM_400000_NS6detail17trampoline_kernelINS0_13select_configILj256ELj13ELNS0_17block_load_methodE3ELS4_3ELS4_3ELNS0_20block_scan_algorithmE0ELj4294967295EEENS1_25partition_config_selectorILNS1_17partition_subalgoE3EjNS0_10empty_typeEbEEZZNS1_14partition_implILS8_3ELb0ES6_jNS0_17counting_iteratorIjlEEPS9_SE_NS0_5tupleIJPjSE_EEENSF_IJSE_SE_EEES9_SG_JZNS1_25segmented_radix_sort_implINS0_14default_configELb0EPK12hip_bfloat16PSL_PKlPlN2at6native12_GLOBAL__N_18offset_tEEE10hipError_tPvRmT1_PNSt15iterator_traitsISZ_E10value_typeET2_T3_PNS10_IS15_E10value_typeET4_jRbjT5_S1B_jjP12ihipStream_tbEUljE_EEESW_SX_SY_S15_S19_S1B_T6_T7_T9_mT8_S1D_bDpT10_ENKUlT_T0_E_clISt17integral_constantIbLb0EES1Q_EEDaS1L_S1M_EUlS1L_E_NS1_11comp_targetILNS1_3genE2ELNS1_11target_archE906ELNS1_3gpuE6ELNS1_3repE0EEENS1_30default_config_static_selectorELNS0_4arch9wavefront6targetE0EEEvSZ_,comdat
	.globl	_ZN7rocprim17ROCPRIM_400000_NS6detail17trampoline_kernelINS0_13select_configILj256ELj13ELNS0_17block_load_methodE3ELS4_3ELS4_3ELNS0_20block_scan_algorithmE0ELj4294967295EEENS1_25partition_config_selectorILNS1_17partition_subalgoE3EjNS0_10empty_typeEbEEZZNS1_14partition_implILS8_3ELb0ES6_jNS0_17counting_iteratorIjlEEPS9_SE_NS0_5tupleIJPjSE_EEENSF_IJSE_SE_EEES9_SG_JZNS1_25segmented_radix_sort_implINS0_14default_configELb0EPK12hip_bfloat16PSL_PKlPlN2at6native12_GLOBAL__N_18offset_tEEE10hipError_tPvRmT1_PNSt15iterator_traitsISZ_E10value_typeET2_T3_PNS10_IS15_E10value_typeET4_jRbjT5_S1B_jjP12ihipStream_tbEUljE_EEESW_SX_SY_S15_S19_S1B_T6_T7_T9_mT8_S1D_bDpT10_ENKUlT_T0_E_clISt17integral_constantIbLb0EES1Q_EEDaS1L_S1M_EUlS1L_E_NS1_11comp_targetILNS1_3genE2ELNS1_11target_archE906ELNS1_3gpuE6ELNS1_3repE0EEENS1_30default_config_static_selectorELNS0_4arch9wavefront6targetE0EEEvSZ_ ; -- Begin function _ZN7rocprim17ROCPRIM_400000_NS6detail17trampoline_kernelINS0_13select_configILj256ELj13ELNS0_17block_load_methodE3ELS4_3ELS4_3ELNS0_20block_scan_algorithmE0ELj4294967295EEENS1_25partition_config_selectorILNS1_17partition_subalgoE3EjNS0_10empty_typeEbEEZZNS1_14partition_implILS8_3ELb0ES6_jNS0_17counting_iteratorIjlEEPS9_SE_NS0_5tupleIJPjSE_EEENSF_IJSE_SE_EEES9_SG_JZNS1_25segmented_radix_sort_implINS0_14default_configELb0EPK12hip_bfloat16PSL_PKlPlN2at6native12_GLOBAL__N_18offset_tEEE10hipError_tPvRmT1_PNSt15iterator_traitsISZ_E10value_typeET2_T3_PNS10_IS15_E10value_typeET4_jRbjT5_S1B_jjP12ihipStream_tbEUljE_EEESW_SX_SY_S15_S19_S1B_T6_T7_T9_mT8_S1D_bDpT10_ENKUlT_T0_E_clISt17integral_constantIbLb0EES1Q_EEDaS1L_S1M_EUlS1L_E_NS1_11comp_targetILNS1_3genE2ELNS1_11target_archE906ELNS1_3gpuE6ELNS1_3repE0EEENS1_30default_config_static_selectorELNS0_4arch9wavefront6targetE0EEEvSZ_
	.p2align	8
	.type	_ZN7rocprim17ROCPRIM_400000_NS6detail17trampoline_kernelINS0_13select_configILj256ELj13ELNS0_17block_load_methodE3ELS4_3ELS4_3ELNS0_20block_scan_algorithmE0ELj4294967295EEENS1_25partition_config_selectorILNS1_17partition_subalgoE3EjNS0_10empty_typeEbEEZZNS1_14partition_implILS8_3ELb0ES6_jNS0_17counting_iteratorIjlEEPS9_SE_NS0_5tupleIJPjSE_EEENSF_IJSE_SE_EEES9_SG_JZNS1_25segmented_radix_sort_implINS0_14default_configELb0EPK12hip_bfloat16PSL_PKlPlN2at6native12_GLOBAL__N_18offset_tEEE10hipError_tPvRmT1_PNSt15iterator_traitsISZ_E10value_typeET2_T3_PNS10_IS15_E10value_typeET4_jRbjT5_S1B_jjP12ihipStream_tbEUljE_EEESW_SX_SY_S15_S19_S1B_T6_T7_T9_mT8_S1D_bDpT10_ENKUlT_T0_E_clISt17integral_constantIbLb0EES1Q_EEDaS1L_S1M_EUlS1L_E_NS1_11comp_targetILNS1_3genE2ELNS1_11target_archE906ELNS1_3gpuE6ELNS1_3repE0EEENS1_30default_config_static_selectorELNS0_4arch9wavefront6targetE0EEEvSZ_,@function
_ZN7rocprim17ROCPRIM_400000_NS6detail17trampoline_kernelINS0_13select_configILj256ELj13ELNS0_17block_load_methodE3ELS4_3ELS4_3ELNS0_20block_scan_algorithmE0ELj4294967295EEENS1_25partition_config_selectorILNS1_17partition_subalgoE3EjNS0_10empty_typeEbEEZZNS1_14partition_implILS8_3ELb0ES6_jNS0_17counting_iteratorIjlEEPS9_SE_NS0_5tupleIJPjSE_EEENSF_IJSE_SE_EEES9_SG_JZNS1_25segmented_radix_sort_implINS0_14default_configELb0EPK12hip_bfloat16PSL_PKlPlN2at6native12_GLOBAL__N_18offset_tEEE10hipError_tPvRmT1_PNSt15iterator_traitsISZ_E10value_typeET2_T3_PNS10_IS15_E10value_typeET4_jRbjT5_S1B_jjP12ihipStream_tbEUljE_EEESW_SX_SY_S15_S19_S1B_T6_T7_T9_mT8_S1D_bDpT10_ENKUlT_T0_E_clISt17integral_constantIbLb0EES1Q_EEDaS1L_S1M_EUlS1L_E_NS1_11comp_targetILNS1_3genE2ELNS1_11target_archE906ELNS1_3gpuE6ELNS1_3repE0EEENS1_30default_config_static_selectorELNS0_4arch9wavefront6targetE0EEEvSZ_: ; @_ZN7rocprim17ROCPRIM_400000_NS6detail17trampoline_kernelINS0_13select_configILj256ELj13ELNS0_17block_load_methodE3ELS4_3ELS4_3ELNS0_20block_scan_algorithmE0ELj4294967295EEENS1_25partition_config_selectorILNS1_17partition_subalgoE3EjNS0_10empty_typeEbEEZZNS1_14partition_implILS8_3ELb0ES6_jNS0_17counting_iteratorIjlEEPS9_SE_NS0_5tupleIJPjSE_EEENSF_IJSE_SE_EEES9_SG_JZNS1_25segmented_radix_sort_implINS0_14default_configELb0EPK12hip_bfloat16PSL_PKlPlN2at6native12_GLOBAL__N_18offset_tEEE10hipError_tPvRmT1_PNSt15iterator_traitsISZ_E10value_typeET2_T3_PNS10_IS15_E10value_typeET4_jRbjT5_S1B_jjP12ihipStream_tbEUljE_EEESW_SX_SY_S15_S19_S1B_T6_T7_T9_mT8_S1D_bDpT10_ENKUlT_T0_E_clISt17integral_constantIbLb0EES1Q_EEDaS1L_S1M_EUlS1L_E_NS1_11comp_targetILNS1_3genE2ELNS1_11target_archE906ELNS1_3gpuE6ELNS1_3repE0EEENS1_30default_config_static_selectorELNS0_4arch9wavefront6targetE0EEEvSZ_
; %bb.0:
	.section	.rodata,"a",@progbits
	.p2align	6, 0x0
	.amdhsa_kernel _ZN7rocprim17ROCPRIM_400000_NS6detail17trampoline_kernelINS0_13select_configILj256ELj13ELNS0_17block_load_methodE3ELS4_3ELS4_3ELNS0_20block_scan_algorithmE0ELj4294967295EEENS1_25partition_config_selectorILNS1_17partition_subalgoE3EjNS0_10empty_typeEbEEZZNS1_14partition_implILS8_3ELb0ES6_jNS0_17counting_iteratorIjlEEPS9_SE_NS0_5tupleIJPjSE_EEENSF_IJSE_SE_EEES9_SG_JZNS1_25segmented_radix_sort_implINS0_14default_configELb0EPK12hip_bfloat16PSL_PKlPlN2at6native12_GLOBAL__N_18offset_tEEE10hipError_tPvRmT1_PNSt15iterator_traitsISZ_E10value_typeET2_T3_PNS10_IS15_E10value_typeET4_jRbjT5_S1B_jjP12ihipStream_tbEUljE_EEESW_SX_SY_S15_S19_S1B_T6_T7_T9_mT8_S1D_bDpT10_ENKUlT_T0_E_clISt17integral_constantIbLb0EES1Q_EEDaS1L_S1M_EUlS1L_E_NS1_11comp_targetILNS1_3genE2ELNS1_11target_archE906ELNS1_3gpuE6ELNS1_3repE0EEENS1_30default_config_static_selectorELNS0_4arch9wavefront6targetE0EEEvSZ_
		.amdhsa_group_segment_fixed_size 0
		.amdhsa_private_segment_fixed_size 0
		.amdhsa_kernarg_size 144
		.amdhsa_user_sgpr_count 2
		.amdhsa_user_sgpr_dispatch_ptr 0
		.amdhsa_user_sgpr_queue_ptr 0
		.amdhsa_user_sgpr_kernarg_segment_ptr 1
		.amdhsa_user_sgpr_dispatch_id 0
		.amdhsa_user_sgpr_private_segment_size 0
		.amdhsa_wavefront_size32 1
		.amdhsa_uses_dynamic_stack 0
		.amdhsa_enable_private_segment 0
		.amdhsa_system_sgpr_workgroup_id_x 1
		.amdhsa_system_sgpr_workgroup_id_y 0
		.amdhsa_system_sgpr_workgroup_id_z 0
		.amdhsa_system_sgpr_workgroup_info 0
		.amdhsa_system_vgpr_workitem_id 0
		.amdhsa_next_free_vgpr 1
		.amdhsa_next_free_sgpr 1
		.amdhsa_reserve_vcc 0
		.amdhsa_float_round_mode_32 0
		.amdhsa_float_round_mode_16_64 0
		.amdhsa_float_denorm_mode_32 3
		.amdhsa_float_denorm_mode_16_64 3
		.amdhsa_fp16_overflow 0
		.amdhsa_workgroup_processor_mode 1
		.amdhsa_memory_ordered 1
		.amdhsa_forward_progress 1
		.amdhsa_inst_pref_size 0
		.amdhsa_round_robin_scheduling 0
		.amdhsa_exception_fp_ieee_invalid_op 0
		.amdhsa_exception_fp_denorm_src 0
		.amdhsa_exception_fp_ieee_div_zero 0
		.amdhsa_exception_fp_ieee_overflow 0
		.amdhsa_exception_fp_ieee_underflow 0
		.amdhsa_exception_fp_ieee_inexact 0
		.amdhsa_exception_int_div_zero 0
	.end_amdhsa_kernel
	.section	.text._ZN7rocprim17ROCPRIM_400000_NS6detail17trampoline_kernelINS0_13select_configILj256ELj13ELNS0_17block_load_methodE3ELS4_3ELS4_3ELNS0_20block_scan_algorithmE0ELj4294967295EEENS1_25partition_config_selectorILNS1_17partition_subalgoE3EjNS0_10empty_typeEbEEZZNS1_14partition_implILS8_3ELb0ES6_jNS0_17counting_iteratorIjlEEPS9_SE_NS0_5tupleIJPjSE_EEENSF_IJSE_SE_EEES9_SG_JZNS1_25segmented_radix_sort_implINS0_14default_configELb0EPK12hip_bfloat16PSL_PKlPlN2at6native12_GLOBAL__N_18offset_tEEE10hipError_tPvRmT1_PNSt15iterator_traitsISZ_E10value_typeET2_T3_PNS10_IS15_E10value_typeET4_jRbjT5_S1B_jjP12ihipStream_tbEUljE_EEESW_SX_SY_S15_S19_S1B_T6_T7_T9_mT8_S1D_bDpT10_ENKUlT_T0_E_clISt17integral_constantIbLb0EES1Q_EEDaS1L_S1M_EUlS1L_E_NS1_11comp_targetILNS1_3genE2ELNS1_11target_archE906ELNS1_3gpuE6ELNS1_3repE0EEENS1_30default_config_static_selectorELNS0_4arch9wavefront6targetE0EEEvSZ_,"axG",@progbits,_ZN7rocprim17ROCPRIM_400000_NS6detail17trampoline_kernelINS0_13select_configILj256ELj13ELNS0_17block_load_methodE3ELS4_3ELS4_3ELNS0_20block_scan_algorithmE0ELj4294967295EEENS1_25partition_config_selectorILNS1_17partition_subalgoE3EjNS0_10empty_typeEbEEZZNS1_14partition_implILS8_3ELb0ES6_jNS0_17counting_iteratorIjlEEPS9_SE_NS0_5tupleIJPjSE_EEENSF_IJSE_SE_EEES9_SG_JZNS1_25segmented_radix_sort_implINS0_14default_configELb0EPK12hip_bfloat16PSL_PKlPlN2at6native12_GLOBAL__N_18offset_tEEE10hipError_tPvRmT1_PNSt15iterator_traitsISZ_E10value_typeET2_T3_PNS10_IS15_E10value_typeET4_jRbjT5_S1B_jjP12ihipStream_tbEUljE_EEESW_SX_SY_S15_S19_S1B_T6_T7_T9_mT8_S1D_bDpT10_ENKUlT_T0_E_clISt17integral_constantIbLb0EES1Q_EEDaS1L_S1M_EUlS1L_E_NS1_11comp_targetILNS1_3genE2ELNS1_11target_archE906ELNS1_3gpuE6ELNS1_3repE0EEENS1_30default_config_static_selectorELNS0_4arch9wavefront6targetE0EEEvSZ_,comdat
.Lfunc_end2021:
	.size	_ZN7rocprim17ROCPRIM_400000_NS6detail17trampoline_kernelINS0_13select_configILj256ELj13ELNS0_17block_load_methodE3ELS4_3ELS4_3ELNS0_20block_scan_algorithmE0ELj4294967295EEENS1_25partition_config_selectorILNS1_17partition_subalgoE3EjNS0_10empty_typeEbEEZZNS1_14partition_implILS8_3ELb0ES6_jNS0_17counting_iteratorIjlEEPS9_SE_NS0_5tupleIJPjSE_EEENSF_IJSE_SE_EEES9_SG_JZNS1_25segmented_radix_sort_implINS0_14default_configELb0EPK12hip_bfloat16PSL_PKlPlN2at6native12_GLOBAL__N_18offset_tEEE10hipError_tPvRmT1_PNSt15iterator_traitsISZ_E10value_typeET2_T3_PNS10_IS15_E10value_typeET4_jRbjT5_S1B_jjP12ihipStream_tbEUljE_EEESW_SX_SY_S15_S19_S1B_T6_T7_T9_mT8_S1D_bDpT10_ENKUlT_T0_E_clISt17integral_constantIbLb0EES1Q_EEDaS1L_S1M_EUlS1L_E_NS1_11comp_targetILNS1_3genE2ELNS1_11target_archE906ELNS1_3gpuE6ELNS1_3repE0EEENS1_30default_config_static_selectorELNS0_4arch9wavefront6targetE0EEEvSZ_, .Lfunc_end2021-_ZN7rocprim17ROCPRIM_400000_NS6detail17trampoline_kernelINS0_13select_configILj256ELj13ELNS0_17block_load_methodE3ELS4_3ELS4_3ELNS0_20block_scan_algorithmE0ELj4294967295EEENS1_25partition_config_selectorILNS1_17partition_subalgoE3EjNS0_10empty_typeEbEEZZNS1_14partition_implILS8_3ELb0ES6_jNS0_17counting_iteratorIjlEEPS9_SE_NS0_5tupleIJPjSE_EEENSF_IJSE_SE_EEES9_SG_JZNS1_25segmented_radix_sort_implINS0_14default_configELb0EPK12hip_bfloat16PSL_PKlPlN2at6native12_GLOBAL__N_18offset_tEEE10hipError_tPvRmT1_PNSt15iterator_traitsISZ_E10value_typeET2_T3_PNS10_IS15_E10value_typeET4_jRbjT5_S1B_jjP12ihipStream_tbEUljE_EEESW_SX_SY_S15_S19_S1B_T6_T7_T9_mT8_S1D_bDpT10_ENKUlT_T0_E_clISt17integral_constantIbLb0EES1Q_EEDaS1L_S1M_EUlS1L_E_NS1_11comp_targetILNS1_3genE2ELNS1_11target_archE906ELNS1_3gpuE6ELNS1_3repE0EEENS1_30default_config_static_selectorELNS0_4arch9wavefront6targetE0EEEvSZ_
                                        ; -- End function
	.set _ZN7rocprim17ROCPRIM_400000_NS6detail17trampoline_kernelINS0_13select_configILj256ELj13ELNS0_17block_load_methodE3ELS4_3ELS4_3ELNS0_20block_scan_algorithmE0ELj4294967295EEENS1_25partition_config_selectorILNS1_17partition_subalgoE3EjNS0_10empty_typeEbEEZZNS1_14partition_implILS8_3ELb0ES6_jNS0_17counting_iteratorIjlEEPS9_SE_NS0_5tupleIJPjSE_EEENSF_IJSE_SE_EEES9_SG_JZNS1_25segmented_radix_sort_implINS0_14default_configELb0EPK12hip_bfloat16PSL_PKlPlN2at6native12_GLOBAL__N_18offset_tEEE10hipError_tPvRmT1_PNSt15iterator_traitsISZ_E10value_typeET2_T3_PNS10_IS15_E10value_typeET4_jRbjT5_S1B_jjP12ihipStream_tbEUljE_EEESW_SX_SY_S15_S19_S1B_T6_T7_T9_mT8_S1D_bDpT10_ENKUlT_T0_E_clISt17integral_constantIbLb0EES1Q_EEDaS1L_S1M_EUlS1L_E_NS1_11comp_targetILNS1_3genE2ELNS1_11target_archE906ELNS1_3gpuE6ELNS1_3repE0EEENS1_30default_config_static_selectorELNS0_4arch9wavefront6targetE0EEEvSZ_.num_vgpr, 0
	.set _ZN7rocprim17ROCPRIM_400000_NS6detail17trampoline_kernelINS0_13select_configILj256ELj13ELNS0_17block_load_methodE3ELS4_3ELS4_3ELNS0_20block_scan_algorithmE0ELj4294967295EEENS1_25partition_config_selectorILNS1_17partition_subalgoE3EjNS0_10empty_typeEbEEZZNS1_14partition_implILS8_3ELb0ES6_jNS0_17counting_iteratorIjlEEPS9_SE_NS0_5tupleIJPjSE_EEENSF_IJSE_SE_EEES9_SG_JZNS1_25segmented_radix_sort_implINS0_14default_configELb0EPK12hip_bfloat16PSL_PKlPlN2at6native12_GLOBAL__N_18offset_tEEE10hipError_tPvRmT1_PNSt15iterator_traitsISZ_E10value_typeET2_T3_PNS10_IS15_E10value_typeET4_jRbjT5_S1B_jjP12ihipStream_tbEUljE_EEESW_SX_SY_S15_S19_S1B_T6_T7_T9_mT8_S1D_bDpT10_ENKUlT_T0_E_clISt17integral_constantIbLb0EES1Q_EEDaS1L_S1M_EUlS1L_E_NS1_11comp_targetILNS1_3genE2ELNS1_11target_archE906ELNS1_3gpuE6ELNS1_3repE0EEENS1_30default_config_static_selectorELNS0_4arch9wavefront6targetE0EEEvSZ_.num_agpr, 0
	.set _ZN7rocprim17ROCPRIM_400000_NS6detail17trampoline_kernelINS0_13select_configILj256ELj13ELNS0_17block_load_methodE3ELS4_3ELS4_3ELNS0_20block_scan_algorithmE0ELj4294967295EEENS1_25partition_config_selectorILNS1_17partition_subalgoE3EjNS0_10empty_typeEbEEZZNS1_14partition_implILS8_3ELb0ES6_jNS0_17counting_iteratorIjlEEPS9_SE_NS0_5tupleIJPjSE_EEENSF_IJSE_SE_EEES9_SG_JZNS1_25segmented_radix_sort_implINS0_14default_configELb0EPK12hip_bfloat16PSL_PKlPlN2at6native12_GLOBAL__N_18offset_tEEE10hipError_tPvRmT1_PNSt15iterator_traitsISZ_E10value_typeET2_T3_PNS10_IS15_E10value_typeET4_jRbjT5_S1B_jjP12ihipStream_tbEUljE_EEESW_SX_SY_S15_S19_S1B_T6_T7_T9_mT8_S1D_bDpT10_ENKUlT_T0_E_clISt17integral_constantIbLb0EES1Q_EEDaS1L_S1M_EUlS1L_E_NS1_11comp_targetILNS1_3genE2ELNS1_11target_archE906ELNS1_3gpuE6ELNS1_3repE0EEENS1_30default_config_static_selectorELNS0_4arch9wavefront6targetE0EEEvSZ_.numbered_sgpr, 0
	.set _ZN7rocprim17ROCPRIM_400000_NS6detail17trampoline_kernelINS0_13select_configILj256ELj13ELNS0_17block_load_methodE3ELS4_3ELS4_3ELNS0_20block_scan_algorithmE0ELj4294967295EEENS1_25partition_config_selectorILNS1_17partition_subalgoE3EjNS0_10empty_typeEbEEZZNS1_14partition_implILS8_3ELb0ES6_jNS0_17counting_iteratorIjlEEPS9_SE_NS0_5tupleIJPjSE_EEENSF_IJSE_SE_EEES9_SG_JZNS1_25segmented_radix_sort_implINS0_14default_configELb0EPK12hip_bfloat16PSL_PKlPlN2at6native12_GLOBAL__N_18offset_tEEE10hipError_tPvRmT1_PNSt15iterator_traitsISZ_E10value_typeET2_T3_PNS10_IS15_E10value_typeET4_jRbjT5_S1B_jjP12ihipStream_tbEUljE_EEESW_SX_SY_S15_S19_S1B_T6_T7_T9_mT8_S1D_bDpT10_ENKUlT_T0_E_clISt17integral_constantIbLb0EES1Q_EEDaS1L_S1M_EUlS1L_E_NS1_11comp_targetILNS1_3genE2ELNS1_11target_archE906ELNS1_3gpuE6ELNS1_3repE0EEENS1_30default_config_static_selectorELNS0_4arch9wavefront6targetE0EEEvSZ_.num_named_barrier, 0
	.set _ZN7rocprim17ROCPRIM_400000_NS6detail17trampoline_kernelINS0_13select_configILj256ELj13ELNS0_17block_load_methodE3ELS4_3ELS4_3ELNS0_20block_scan_algorithmE0ELj4294967295EEENS1_25partition_config_selectorILNS1_17partition_subalgoE3EjNS0_10empty_typeEbEEZZNS1_14partition_implILS8_3ELb0ES6_jNS0_17counting_iteratorIjlEEPS9_SE_NS0_5tupleIJPjSE_EEENSF_IJSE_SE_EEES9_SG_JZNS1_25segmented_radix_sort_implINS0_14default_configELb0EPK12hip_bfloat16PSL_PKlPlN2at6native12_GLOBAL__N_18offset_tEEE10hipError_tPvRmT1_PNSt15iterator_traitsISZ_E10value_typeET2_T3_PNS10_IS15_E10value_typeET4_jRbjT5_S1B_jjP12ihipStream_tbEUljE_EEESW_SX_SY_S15_S19_S1B_T6_T7_T9_mT8_S1D_bDpT10_ENKUlT_T0_E_clISt17integral_constantIbLb0EES1Q_EEDaS1L_S1M_EUlS1L_E_NS1_11comp_targetILNS1_3genE2ELNS1_11target_archE906ELNS1_3gpuE6ELNS1_3repE0EEENS1_30default_config_static_selectorELNS0_4arch9wavefront6targetE0EEEvSZ_.private_seg_size, 0
	.set _ZN7rocprim17ROCPRIM_400000_NS6detail17trampoline_kernelINS0_13select_configILj256ELj13ELNS0_17block_load_methodE3ELS4_3ELS4_3ELNS0_20block_scan_algorithmE0ELj4294967295EEENS1_25partition_config_selectorILNS1_17partition_subalgoE3EjNS0_10empty_typeEbEEZZNS1_14partition_implILS8_3ELb0ES6_jNS0_17counting_iteratorIjlEEPS9_SE_NS0_5tupleIJPjSE_EEENSF_IJSE_SE_EEES9_SG_JZNS1_25segmented_radix_sort_implINS0_14default_configELb0EPK12hip_bfloat16PSL_PKlPlN2at6native12_GLOBAL__N_18offset_tEEE10hipError_tPvRmT1_PNSt15iterator_traitsISZ_E10value_typeET2_T3_PNS10_IS15_E10value_typeET4_jRbjT5_S1B_jjP12ihipStream_tbEUljE_EEESW_SX_SY_S15_S19_S1B_T6_T7_T9_mT8_S1D_bDpT10_ENKUlT_T0_E_clISt17integral_constantIbLb0EES1Q_EEDaS1L_S1M_EUlS1L_E_NS1_11comp_targetILNS1_3genE2ELNS1_11target_archE906ELNS1_3gpuE6ELNS1_3repE0EEENS1_30default_config_static_selectorELNS0_4arch9wavefront6targetE0EEEvSZ_.uses_vcc, 0
	.set _ZN7rocprim17ROCPRIM_400000_NS6detail17trampoline_kernelINS0_13select_configILj256ELj13ELNS0_17block_load_methodE3ELS4_3ELS4_3ELNS0_20block_scan_algorithmE0ELj4294967295EEENS1_25partition_config_selectorILNS1_17partition_subalgoE3EjNS0_10empty_typeEbEEZZNS1_14partition_implILS8_3ELb0ES6_jNS0_17counting_iteratorIjlEEPS9_SE_NS0_5tupleIJPjSE_EEENSF_IJSE_SE_EEES9_SG_JZNS1_25segmented_radix_sort_implINS0_14default_configELb0EPK12hip_bfloat16PSL_PKlPlN2at6native12_GLOBAL__N_18offset_tEEE10hipError_tPvRmT1_PNSt15iterator_traitsISZ_E10value_typeET2_T3_PNS10_IS15_E10value_typeET4_jRbjT5_S1B_jjP12ihipStream_tbEUljE_EEESW_SX_SY_S15_S19_S1B_T6_T7_T9_mT8_S1D_bDpT10_ENKUlT_T0_E_clISt17integral_constantIbLb0EES1Q_EEDaS1L_S1M_EUlS1L_E_NS1_11comp_targetILNS1_3genE2ELNS1_11target_archE906ELNS1_3gpuE6ELNS1_3repE0EEENS1_30default_config_static_selectorELNS0_4arch9wavefront6targetE0EEEvSZ_.uses_flat_scratch, 0
	.set _ZN7rocprim17ROCPRIM_400000_NS6detail17trampoline_kernelINS0_13select_configILj256ELj13ELNS0_17block_load_methodE3ELS4_3ELS4_3ELNS0_20block_scan_algorithmE0ELj4294967295EEENS1_25partition_config_selectorILNS1_17partition_subalgoE3EjNS0_10empty_typeEbEEZZNS1_14partition_implILS8_3ELb0ES6_jNS0_17counting_iteratorIjlEEPS9_SE_NS0_5tupleIJPjSE_EEENSF_IJSE_SE_EEES9_SG_JZNS1_25segmented_radix_sort_implINS0_14default_configELb0EPK12hip_bfloat16PSL_PKlPlN2at6native12_GLOBAL__N_18offset_tEEE10hipError_tPvRmT1_PNSt15iterator_traitsISZ_E10value_typeET2_T3_PNS10_IS15_E10value_typeET4_jRbjT5_S1B_jjP12ihipStream_tbEUljE_EEESW_SX_SY_S15_S19_S1B_T6_T7_T9_mT8_S1D_bDpT10_ENKUlT_T0_E_clISt17integral_constantIbLb0EES1Q_EEDaS1L_S1M_EUlS1L_E_NS1_11comp_targetILNS1_3genE2ELNS1_11target_archE906ELNS1_3gpuE6ELNS1_3repE0EEENS1_30default_config_static_selectorELNS0_4arch9wavefront6targetE0EEEvSZ_.has_dyn_sized_stack, 0
	.set _ZN7rocprim17ROCPRIM_400000_NS6detail17trampoline_kernelINS0_13select_configILj256ELj13ELNS0_17block_load_methodE3ELS4_3ELS4_3ELNS0_20block_scan_algorithmE0ELj4294967295EEENS1_25partition_config_selectorILNS1_17partition_subalgoE3EjNS0_10empty_typeEbEEZZNS1_14partition_implILS8_3ELb0ES6_jNS0_17counting_iteratorIjlEEPS9_SE_NS0_5tupleIJPjSE_EEENSF_IJSE_SE_EEES9_SG_JZNS1_25segmented_radix_sort_implINS0_14default_configELb0EPK12hip_bfloat16PSL_PKlPlN2at6native12_GLOBAL__N_18offset_tEEE10hipError_tPvRmT1_PNSt15iterator_traitsISZ_E10value_typeET2_T3_PNS10_IS15_E10value_typeET4_jRbjT5_S1B_jjP12ihipStream_tbEUljE_EEESW_SX_SY_S15_S19_S1B_T6_T7_T9_mT8_S1D_bDpT10_ENKUlT_T0_E_clISt17integral_constantIbLb0EES1Q_EEDaS1L_S1M_EUlS1L_E_NS1_11comp_targetILNS1_3genE2ELNS1_11target_archE906ELNS1_3gpuE6ELNS1_3repE0EEENS1_30default_config_static_selectorELNS0_4arch9wavefront6targetE0EEEvSZ_.has_recursion, 0
	.set _ZN7rocprim17ROCPRIM_400000_NS6detail17trampoline_kernelINS0_13select_configILj256ELj13ELNS0_17block_load_methodE3ELS4_3ELS4_3ELNS0_20block_scan_algorithmE0ELj4294967295EEENS1_25partition_config_selectorILNS1_17partition_subalgoE3EjNS0_10empty_typeEbEEZZNS1_14partition_implILS8_3ELb0ES6_jNS0_17counting_iteratorIjlEEPS9_SE_NS0_5tupleIJPjSE_EEENSF_IJSE_SE_EEES9_SG_JZNS1_25segmented_radix_sort_implINS0_14default_configELb0EPK12hip_bfloat16PSL_PKlPlN2at6native12_GLOBAL__N_18offset_tEEE10hipError_tPvRmT1_PNSt15iterator_traitsISZ_E10value_typeET2_T3_PNS10_IS15_E10value_typeET4_jRbjT5_S1B_jjP12ihipStream_tbEUljE_EEESW_SX_SY_S15_S19_S1B_T6_T7_T9_mT8_S1D_bDpT10_ENKUlT_T0_E_clISt17integral_constantIbLb0EES1Q_EEDaS1L_S1M_EUlS1L_E_NS1_11comp_targetILNS1_3genE2ELNS1_11target_archE906ELNS1_3gpuE6ELNS1_3repE0EEENS1_30default_config_static_selectorELNS0_4arch9wavefront6targetE0EEEvSZ_.has_indirect_call, 0
	.section	.AMDGPU.csdata,"",@progbits
; Kernel info:
; codeLenInByte = 0
; TotalNumSgprs: 0
; NumVgprs: 0
; ScratchSize: 0
; MemoryBound: 0
; FloatMode: 240
; IeeeMode: 1
; LDSByteSize: 0 bytes/workgroup (compile time only)
; SGPRBlocks: 0
; VGPRBlocks: 0
; NumSGPRsForWavesPerEU: 1
; NumVGPRsForWavesPerEU: 1
; Occupancy: 16
; WaveLimiterHint : 0
; COMPUTE_PGM_RSRC2:SCRATCH_EN: 0
; COMPUTE_PGM_RSRC2:USER_SGPR: 2
; COMPUTE_PGM_RSRC2:TRAP_HANDLER: 0
; COMPUTE_PGM_RSRC2:TGID_X_EN: 1
; COMPUTE_PGM_RSRC2:TGID_Y_EN: 0
; COMPUTE_PGM_RSRC2:TGID_Z_EN: 0
; COMPUTE_PGM_RSRC2:TIDIG_COMP_CNT: 0
	.section	.text._ZN7rocprim17ROCPRIM_400000_NS6detail17trampoline_kernelINS0_13select_configILj256ELj13ELNS0_17block_load_methodE3ELS4_3ELS4_3ELNS0_20block_scan_algorithmE0ELj4294967295EEENS1_25partition_config_selectorILNS1_17partition_subalgoE3EjNS0_10empty_typeEbEEZZNS1_14partition_implILS8_3ELb0ES6_jNS0_17counting_iteratorIjlEEPS9_SE_NS0_5tupleIJPjSE_EEENSF_IJSE_SE_EEES9_SG_JZNS1_25segmented_radix_sort_implINS0_14default_configELb0EPK12hip_bfloat16PSL_PKlPlN2at6native12_GLOBAL__N_18offset_tEEE10hipError_tPvRmT1_PNSt15iterator_traitsISZ_E10value_typeET2_T3_PNS10_IS15_E10value_typeET4_jRbjT5_S1B_jjP12ihipStream_tbEUljE_EEESW_SX_SY_S15_S19_S1B_T6_T7_T9_mT8_S1D_bDpT10_ENKUlT_T0_E_clISt17integral_constantIbLb0EES1Q_EEDaS1L_S1M_EUlS1L_E_NS1_11comp_targetILNS1_3genE10ELNS1_11target_archE1200ELNS1_3gpuE4ELNS1_3repE0EEENS1_30default_config_static_selectorELNS0_4arch9wavefront6targetE0EEEvSZ_,"axG",@progbits,_ZN7rocprim17ROCPRIM_400000_NS6detail17trampoline_kernelINS0_13select_configILj256ELj13ELNS0_17block_load_methodE3ELS4_3ELS4_3ELNS0_20block_scan_algorithmE0ELj4294967295EEENS1_25partition_config_selectorILNS1_17partition_subalgoE3EjNS0_10empty_typeEbEEZZNS1_14partition_implILS8_3ELb0ES6_jNS0_17counting_iteratorIjlEEPS9_SE_NS0_5tupleIJPjSE_EEENSF_IJSE_SE_EEES9_SG_JZNS1_25segmented_radix_sort_implINS0_14default_configELb0EPK12hip_bfloat16PSL_PKlPlN2at6native12_GLOBAL__N_18offset_tEEE10hipError_tPvRmT1_PNSt15iterator_traitsISZ_E10value_typeET2_T3_PNS10_IS15_E10value_typeET4_jRbjT5_S1B_jjP12ihipStream_tbEUljE_EEESW_SX_SY_S15_S19_S1B_T6_T7_T9_mT8_S1D_bDpT10_ENKUlT_T0_E_clISt17integral_constantIbLb0EES1Q_EEDaS1L_S1M_EUlS1L_E_NS1_11comp_targetILNS1_3genE10ELNS1_11target_archE1200ELNS1_3gpuE4ELNS1_3repE0EEENS1_30default_config_static_selectorELNS0_4arch9wavefront6targetE0EEEvSZ_,comdat
	.globl	_ZN7rocprim17ROCPRIM_400000_NS6detail17trampoline_kernelINS0_13select_configILj256ELj13ELNS0_17block_load_methodE3ELS4_3ELS4_3ELNS0_20block_scan_algorithmE0ELj4294967295EEENS1_25partition_config_selectorILNS1_17partition_subalgoE3EjNS0_10empty_typeEbEEZZNS1_14partition_implILS8_3ELb0ES6_jNS0_17counting_iteratorIjlEEPS9_SE_NS0_5tupleIJPjSE_EEENSF_IJSE_SE_EEES9_SG_JZNS1_25segmented_radix_sort_implINS0_14default_configELb0EPK12hip_bfloat16PSL_PKlPlN2at6native12_GLOBAL__N_18offset_tEEE10hipError_tPvRmT1_PNSt15iterator_traitsISZ_E10value_typeET2_T3_PNS10_IS15_E10value_typeET4_jRbjT5_S1B_jjP12ihipStream_tbEUljE_EEESW_SX_SY_S15_S19_S1B_T6_T7_T9_mT8_S1D_bDpT10_ENKUlT_T0_E_clISt17integral_constantIbLb0EES1Q_EEDaS1L_S1M_EUlS1L_E_NS1_11comp_targetILNS1_3genE10ELNS1_11target_archE1200ELNS1_3gpuE4ELNS1_3repE0EEENS1_30default_config_static_selectorELNS0_4arch9wavefront6targetE0EEEvSZ_ ; -- Begin function _ZN7rocprim17ROCPRIM_400000_NS6detail17trampoline_kernelINS0_13select_configILj256ELj13ELNS0_17block_load_methodE3ELS4_3ELS4_3ELNS0_20block_scan_algorithmE0ELj4294967295EEENS1_25partition_config_selectorILNS1_17partition_subalgoE3EjNS0_10empty_typeEbEEZZNS1_14partition_implILS8_3ELb0ES6_jNS0_17counting_iteratorIjlEEPS9_SE_NS0_5tupleIJPjSE_EEENSF_IJSE_SE_EEES9_SG_JZNS1_25segmented_radix_sort_implINS0_14default_configELb0EPK12hip_bfloat16PSL_PKlPlN2at6native12_GLOBAL__N_18offset_tEEE10hipError_tPvRmT1_PNSt15iterator_traitsISZ_E10value_typeET2_T3_PNS10_IS15_E10value_typeET4_jRbjT5_S1B_jjP12ihipStream_tbEUljE_EEESW_SX_SY_S15_S19_S1B_T6_T7_T9_mT8_S1D_bDpT10_ENKUlT_T0_E_clISt17integral_constantIbLb0EES1Q_EEDaS1L_S1M_EUlS1L_E_NS1_11comp_targetILNS1_3genE10ELNS1_11target_archE1200ELNS1_3gpuE4ELNS1_3repE0EEENS1_30default_config_static_selectorELNS0_4arch9wavefront6targetE0EEEvSZ_
	.p2align	8
	.type	_ZN7rocprim17ROCPRIM_400000_NS6detail17trampoline_kernelINS0_13select_configILj256ELj13ELNS0_17block_load_methodE3ELS4_3ELS4_3ELNS0_20block_scan_algorithmE0ELj4294967295EEENS1_25partition_config_selectorILNS1_17partition_subalgoE3EjNS0_10empty_typeEbEEZZNS1_14partition_implILS8_3ELb0ES6_jNS0_17counting_iteratorIjlEEPS9_SE_NS0_5tupleIJPjSE_EEENSF_IJSE_SE_EEES9_SG_JZNS1_25segmented_radix_sort_implINS0_14default_configELb0EPK12hip_bfloat16PSL_PKlPlN2at6native12_GLOBAL__N_18offset_tEEE10hipError_tPvRmT1_PNSt15iterator_traitsISZ_E10value_typeET2_T3_PNS10_IS15_E10value_typeET4_jRbjT5_S1B_jjP12ihipStream_tbEUljE_EEESW_SX_SY_S15_S19_S1B_T6_T7_T9_mT8_S1D_bDpT10_ENKUlT_T0_E_clISt17integral_constantIbLb0EES1Q_EEDaS1L_S1M_EUlS1L_E_NS1_11comp_targetILNS1_3genE10ELNS1_11target_archE1200ELNS1_3gpuE4ELNS1_3repE0EEENS1_30default_config_static_selectorELNS0_4arch9wavefront6targetE0EEEvSZ_,@function
_ZN7rocprim17ROCPRIM_400000_NS6detail17trampoline_kernelINS0_13select_configILj256ELj13ELNS0_17block_load_methodE3ELS4_3ELS4_3ELNS0_20block_scan_algorithmE0ELj4294967295EEENS1_25partition_config_selectorILNS1_17partition_subalgoE3EjNS0_10empty_typeEbEEZZNS1_14partition_implILS8_3ELb0ES6_jNS0_17counting_iteratorIjlEEPS9_SE_NS0_5tupleIJPjSE_EEENSF_IJSE_SE_EEES9_SG_JZNS1_25segmented_radix_sort_implINS0_14default_configELb0EPK12hip_bfloat16PSL_PKlPlN2at6native12_GLOBAL__N_18offset_tEEE10hipError_tPvRmT1_PNSt15iterator_traitsISZ_E10value_typeET2_T3_PNS10_IS15_E10value_typeET4_jRbjT5_S1B_jjP12ihipStream_tbEUljE_EEESW_SX_SY_S15_S19_S1B_T6_T7_T9_mT8_S1D_bDpT10_ENKUlT_T0_E_clISt17integral_constantIbLb0EES1Q_EEDaS1L_S1M_EUlS1L_E_NS1_11comp_targetILNS1_3genE10ELNS1_11target_archE1200ELNS1_3gpuE4ELNS1_3repE0EEENS1_30default_config_static_selectorELNS0_4arch9wavefront6targetE0EEEvSZ_: ; @_ZN7rocprim17ROCPRIM_400000_NS6detail17trampoline_kernelINS0_13select_configILj256ELj13ELNS0_17block_load_methodE3ELS4_3ELS4_3ELNS0_20block_scan_algorithmE0ELj4294967295EEENS1_25partition_config_selectorILNS1_17partition_subalgoE3EjNS0_10empty_typeEbEEZZNS1_14partition_implILS8_3ELb0ES6_jNS0_17counting_iteratorIjlEEPS9_SE_NS0_5tupleIJPjSE_EEENSF_IJSE_SE_EEES9_SG_JZNS1_25segmented_radix_sort_implINS0_14default_configELb0EPK12hip_bfloat16PSL_PKlPlN2at6native12_GLOBAL__N_18offset_tEEE10hipError_tPvRmT1_PNSt15iterator_traitsISZ_E10value_typeET2_T3_PNS10_IS15_E10value_typeET4_jRbjT5_S1B_jjP12ihipStream_tbEUljE_EEESW_SX_SY_S15_S19_S1B_T6_T7_T9_mT8_S1D_bDpT10_ENKUlT_T0_E_clISt17integral_constantIbLb0EES1Q_EEDaS1L_S1M_EUlS1L_E_NS1_11comp_targetILNS1_3genE10ELNS1_11target_archE1200ELNS1_3gpuE4ELNS1_3repE0EEENS1_30default_config_static_selectorELNS0_4arch9wavefront6targetE0EEEvSZ_
; %bb.0:
	s_clause 0x6
	s_load_b32 s2, s[0:1], 0x70
	s_load_b128 s[8:11], s[0:1], 0x48
	s_load_b64 s[12:13], s[0:1], 0x10
	s_load_b64 s[14:15], s[0:1], 0x58
	s_load_b32 s20, s[0:1], 0x8
	s_load_b32 s3, s[0:1], 0x88
	s_load_b128 s[4:7], s[0:1], 0x78
	s_mov_b32 s17, 0
	v_lshlrev_b32_e32 v42, 2, v0
	s_wait_kmcnt 0x0
	s_mul_i32 s16, s2, 0xd00
	s_load_b64 s[18:19], s[10:11], 0x0
	s_add_co_i32 s10, s16, s12
	s_add_co_i32 s2, s2, -1
	s_sub_co_i32 s23, s14, s10
	s_add_nc_u64 s[10:11], s[12:13], s[16:17]
	s_addk_co_i32 s23, 0xd00
	s_cmp_eq_u32 ttmp9, s2
	s_mul_i32 s16, ttmp9, 0xd00
	s_cselect_b32 s22, -1, 0
	s_cmp_lg_u32 ttmp9, s2
	v_cmp_gt_u64_e64 s10, s[14:15], s[10:11]
	s_cselect_b32 s2, -1, 0
	s_add_co_i32 s11, s20, s16
	s_mov_b32 s17, -1
	s_wait_alu 0xfffe
	s_add_co_i32 s11, s11, s12
	s_wait_alu 0xfffe
	v_add_nc_u32_e32 v1, s11, v0
	s_or_b32 s10, s2, s10
	s_wait_alu 0xfffe
	s_and_b32 vcc_lo, exec_lo, s10
	s_cbranch_vccz .LBB2022_2
; %bb.1:
	v_add_nc_u32_e32 v2, 0x100, v1
	v_add_nc_u32_e32 v3, 0x200, v1
	;; [unrolled: 1-line block ×12, first 2 shown]
	ds_store_2addr_stride64_b32 v42, v1, v2 offset1:4
	ds_store_2addr_stride64_b32 v42, v3, v4 offset0:8 offset1:12
	ds_store_2addr_stride64_b32 v42, v5, v6 offset0:16 offset1:20
	;; [unrolled: 1-line block ×5, first 2 shown]
	ds_store_b32 v42, v13 offset:12288
	s_wait_dscnt 0x0
	s_barrier_signal -1
	s_mov_b32 s17, 0
	s_barrier_wait -1
.LBB2022_2:
	v_cmp_gt_u32_e64 s2, s23, v0
	v_or_b32_e32 v41, 0x100, v0
	v_or_b32_e32 v40, 0x200, v0
	;; [unrolled: 1-line block ×12, first 2 shown]
	s_and_not1_b32 vcc_lo, exec_lo, s17
	s_cbranch_vccnz .LBB2022_4
; %bb.3:
	v_cmp_gt_u32_e32 vcc_lo, s23, v41
	v_add_nc_u32_e32 v3, s11, v40
	v_add_nc_u32_e32 v2, s11, v41
	v_cndmask_b32_e64 v1, 0, v1, s2
	s_delay_alu instid0(VALU_DEP_2)
	v_cndmask_b32_e32 v2, 0, v2, vcc_lo
	v_cmp_gt_u32_e32 vcc_lo, s23, v40
	s_wait_alu 0xfffd
	v_cndmask_b32_e32 v3, 0, v3, vcc_lo
	v_cmp_gt_u32_e32 vcc_lo, s23, v39
	v_add_nc_u32_e32 v5, s11, v38
	v_add_nc_u32_e32 v4, s11, v39
	s_wait_alu 0xfffd
	s_delay_alu instid0(VALU_DEP_1)
	v_cndmask_b32_e32 v4, 0, v4, vcc_lo
	v_cmp_gt_u32_e32 vcc_lo, s23, v38
	s_wait_alu 0xfffd
	v_cndmask_b32_e32 v5, 0, v5, vcc_lo
	v_cmp_gt_u32_e32 vcc_lo, s23, v37
	v_add_nc_u32_e32 v7, s11, v36
	v_add_nc_u32_e32 v6, s11, v37
	s_wait_alu 0xfffd
	s_delay_alu instid0(VALU_DEP_1)
	;; [unrolled: 9-line block ×5, first 2 shown]
	v_cndmask_b32_e32 v12, 0, v12, vcc_lo
	v_cmp_gt_u32_e32 vcc_lo, s23, v30
	s_wait_alu 0xfffd
	v_cndmask_b32_e32 v13, 0, v13, vcc_lo
	ds_store_2addr_stride64_b32 v42, v1, v2 offset1:4
	ds_store_2addr_stride64_b32 v42, v3, v4 offset0:8 offset1:12
	ds_store_2addr_stride64_b32 v42, v5, v6 offset0:16 offset1:20
	;; [unrolled: 1-line block ×5, first 2 shown]
	ds_store_b32 v42, v13 offset:12288
	s_wait_dscnt 0x0
	s_barrier_signal -1
	s_barrier_wait -1
.LBB2022_4:
	v_mul_u32_u24_e32 v45, 13, v0
	global_inv scope:SCOPE_SE
	v_cndmask_b32_e64 v43, 0, 1, s10
	s_and_not1_b32 vcc_lo, exec_lo, s10
	v_lshlrev_b32_e32 v1, 2, v45
	ds_load_2addr_b32 v[26:27], v1 offset0:2 offset1:3
	ds_load_2addr_b32 v[22:23], v1 offset0:6 offset1:7
	;; [unrolled: 1-line block ×3, first 2 shown]
	ds_load_2addr_b32 v[28:29], v1 offset1:1
	ds_load_2addr_b32 v[18:19], v1 offset0:10 offset1:11
	ds_load_b32 v44, v1 offset:48
	ds_load_2addr_b32 v[20:21], v1 offset0:8 offset1:9
	s_wait_loadcnt_dscnt 0x0
	s_barrier_signal -1
	s_barrier_wait -1
	global_inv scope:SCOPE_SE
	s_wait_alu 0xfffe
	s_cbranch_vccnz .LBB2022_6
; %bb.5:
	v_add_nc_u32_e32 v1, s5, v27
	v_add_nc_u32_e32 v2, s7, v27
	;; [unrolled: 1-line block ×5, first 2 shown]
	v_mul_lo_u32 v1, v1, s4
	v_mul_lo_u32 v2, v2, s6
	v_add_nc_u32_e32 v8, s7, v26
	v_add_nc_u32_e32 v3, s5, v29
	;; [unrolled: 1-line block ×3, first 2 shown]
	v_mul_lo_u32 v5, v5, s4
	v_mul_lo_u32 v4, v4, s4
	v_add_nc_u32_e32 v9, s5, v24
	v_mul_lo_u32 v3, v3, s4
	v_sub_nc_u32_e32 v1, v1, v2
	v_mul_lo_u32 v2, v7, s6
	v_mul_lo_u32 v7, v8, s6
	;; [unrolled: 1-line block ×3, first 2 shown]
	v_add_nc_u32_e32 v8, s5, v25
	v_add_nc_u32_e32 v10, s7, v24
	v_mul_lo_u32 v9, v9, s4
	v_cmp_lt_u32_e32 vcc_lo, s3, v1
	v_add_nc_u32_e32 v14, s7, v19
	v_sub_nc_u32_e32 v2, v4, v2
	v_sub_nc_u32_e32 v4, v5, v7
	v_add_nc_u32_e32 v5, s7, v25
	v_sub_nc_u32_e32 v3, v3, v6
	v_add_nc_u32_e32 v6, s5, v23
	v_add_nc_u32_e32 v7, s7, v23
	v_mul_lo_u32 v8, v8, s4
	v_mul_lo_u32 v5, v5, s6
	;; [unrolled: 1-line block ×5, first 2 shown]
	s_wait_alu 0xfffd
	v_cndmask_b32_e64 v1, 0, 1, vcc_lo
	v_cmp_lt_u32_e32 vcc_lo, s3, v3
	v_mul_lo_u32 v14, v14, s6
	v_add_nc_u32_e32 v15, s7, v21
	v_sub_nc_u32_e32 v5, v8, v5
	v_add_nc_u32_e32 v8, s7, v22
	s_wait_alu 0xfffd
	v_cndmask_b32_e64 v3, 0, 1, vcc_lo
	v_sub_nc_u32_e32 v6, v6, v7
	v_mul_lo_u32 v15, v15, s6
	v_cmp_lt_u32_e32 vcc_lo, s3, v5
	v_mul_lo_u32 v7, v8, s6
	v_sub_nc_u32_e32 v8, v9, v10
	v_add_nc_u32_e32 v9, s5, v19
	v_add_nc_u32_e32 v10, s5, v21
	s_wait_alu 0xfffd
	v_cndmask_b32_e64 v5, 0, 1, vcc_lo
	v_cmp_lt_u32_e32 vcc_lo, s3, v6
	v_add_nc_u32_e32 v11, s5, v22
	v_mul_lo_u32 v9, v9, s4
	v_mul_lo_u32 v10, v10, s4
	v_add_nc_u32_e32 v12, s5, v20
	s_wait_alu 0xfffd
	v_cndmask_b32_e64 v6, 0, 1, vcc_lo
	v_mul_lo_u32 v11, v11, s4
	v_add_nc_u32_e32 v16, s7, v20
	v_lshlrev_b16 v3, 8, v3
	v_add_nc_u32_e32 v13, s5, v18
	v_sub_nc_u32_e32 v9, v9, v14
	v_sub_nc_u32_e32 v10, v10, v15
	v_add_nc_u32_e32 v17, s7, v18
	v_mul_lo_u32 v12, v12, s4
	v_mul_lo_u32 v16, v16, s6
	v_cmp_lt_u32_e32 vcc_lo, s3, v9
	v_sub_nc_u32_e32 v7, v11, v7
	v_lshrrev_b32_e32 v3, 8, v3
	v_mul_lo_u32 v11, v13, s4
	v_mul_lo_u32 v13, v17, s6
	s_wait_alu 0xfffd
	v_cndmask_b32_e64 v9, 0, 1, vcc_lo
	v_cmp_lt_u32_e32 vcc_lo, s3, v2
	v_sub_nc_u32_e32 v12, v12, v16
	v_lshlrev_b16 v3, 8, v3
	v_lshlrev_b16 v1, 8, v1
	;; [unrolled: 1-line block ×3, first 2 shown]
	s_wait_alu 0xfffd
	v_cndmask_b32_e64 v2, 0, 1, vcc_lo
	v_cmp_lt_u32_e32 vcc_lo, s3, v10
	v_sub_nc_u32_e32 v11, v11, v13
	v_add_nc_u32_e32 v14, s5, v44
	v_add_nc_u32_e32 v15, s7, v44
	v_or_b32_e32 v2, v2, v3
	s_wait_alu 0xfffd
	v_cndmask_b32_e64 v10, 0, 1, vcc_lo
	v_cmp_lt_u32_e32 vcc_lo, s3, v4
	v_lshlrev_b16 v3, 8, v9
	v_lshrrev_b32_e32 v5, 8, v5
	v_lshrrev_b32_e32 v1, 8, v1
	v_lshlrev_b16 v9, 8, v10
	s_wait_alu 0xfffd
	v_cndmask_b32_e64 v4, 0, 1, vcc_lo
	v_cmp_lt_u32_e32 vcc_lo, s3, v8
	v_lshrrev_b32_e32 v3, 8, v3
	v_mul_lo_u32 v14, v14, s4
	v_lshrrev_b32_e32 v9, 8, v9
	v_mul_lo_u32 v15, v15, s6
	s_wait_alu 0xfffd
	v_cndmask_b32_e64 v8, 0, 1, vcc_lo
	v_cmp_lt_u32_e32 vcc_lo, s3, v7
	v_lshlrev_b16 v6, 8, v6
	v_lshlrev_b16 v1, 8, v1
	;; [unrolled: 1-line block ×4, first 2 shown]
	s_wait_alu 0xfffd
	v_cndmask_b32_e64 v7, 0, 1, vcc_lo
	v_cmp_lt_u32_e32 vcc_lo, s3, v12
	v_lshlrev_b16 v3, 8, v3
	v_sub_nc_u32_e32 v10, v14, v15
	v_or_b32_e32 v1, v4, v1
	v_or_b32_e32 v4, v8, v5
	s_wait_alu 0xfffd
	v_cndmask_b32_e64 v12, 0, 1, vcc_lo
	v_cmp_lt_u32_e32 vcc_lo, s3, v11
	v_or_b32_e32 v5, v7, v6
	v_and_b32_e32 v2, 0xffff, v2
	v_lshlrev_b32_e32 v1, 16, v1
	v_or_b32_e32 v6, v12, v9
	s_wait_alu 0xfffd
	v_cndmask_b32_e64 v11, 0, 1, vcc_lo
	v_and_b32_e32 v4, 0xffff, v4
	v_lshlrev_b32_e32 v5, 16, v5
	v_cmp_lt_u32_e32 vcc_lo, s3, v10
	v_and_b32_e32 v6, 0xffff, v6
	v_or_b32_e32 v3, v11, v3
	v_or_b32_e32 v51, v2, v1
	v_or_b32_e32 v49, v4, v5
	s_wait_alu 0xfffd
	v_cndmask_b32_e64 v46, 0, 1, vcc_lo
	v_lshlrev_b32_e32 v3, 16, v3
	s_delay_alu instid0(VALU_DEP_1)
	v_or_b32_e32 v47, v6, v3
	s_clause 0x1
	s_load_b64 s[10:11], s[0:1], 0x28
	s_load_b64 s[20:21], s[0:1], 0x68
	s_cbranch_execz .LBB2022_7
	s_branch .LBB2022_34
.LBB2022_6:
                                        ; implicit-def: $vgpr46
                                        ; implicit-def: $vgpr47
                                        ; implicit-def: $vgpr49
                                        ; implicit-def: $vgpr51
	s_clause 0x1
	s_load_b64 s[10:11], s[0:1], 0x28
	s_load_b64 s[20:21], s[0:1], 0x68
.LBB2022_7:
	v_dual_mov_b32 v2, 0 :: v_dual_mov_b32 v1, 0
	s_mov_b32 s0, exec_lo
	v_cmpx_gt_u32_e64 s23, v45
	s_cbranch_execz .LBB2022_9
; %bb.8:
	v_add_nc_u32_e32 v1, s5, v28
	v_add_nc_u32_e32 v3, s7, v28
	s_delay_alu instid0(VALU_DEP_2) | instskip(NEXT) | instid1(VALU_DEP_2)
	v_mul_lo_u32 v1, v1, s4
	v_mul_lo_u32 v3, v3, s6
	s_delay_alu instid0(VALU_DEP_1) | instskip(NEXT) | instid1(VALU_DEP_1)
	v_sub_nc_u32_e32 v1, v1, v3
	v_cmp_lt_u32_e32 vcc_lo, s3, v1
	s_wait_alu 0xfffd
	v_cndmask_b32_e64 v1, 0, 1, vcc_lo
.LBB2022_9:
	s_or_b32 exec_lo, exec_lo, s0
	v_add_nc_u32_e32 v3, 1, v45
	s_mov_b32 s0, exec_lo
	s_delay_alu instid0(VALU_DEP_1)
	v_cmpx_gt_u32_e64 s23, v3
	s_cbranch_execz .LBB2022_11
; %bb.10:
	v_add_nc_u32_e32 v2, s5, v29
	v_add_nc_u32_e32 v3, s7, v29
	s_delay_alu instid0(VALU_DEP_2) | instskip(NEXT) | instid1(VALU_DEP_2)
	v_mul_lo_u32 v2, v2, s4
	v_mul_lo_u32 v3, v3, s6
	s_delay_alu instid0(VALU_DEP_1) | instskip(NEXT) | instid1(VALU_DEP_1)
	v_sub_nc_u32_e32 v2, v2, v3
	v_cmp_lt_u32_e32 vcc_lo, s3, v2
	s_wait_alu 0xfffd
	v_cndmask_b32_e64 v2, 0, 1, vcc_lo
.LBB2022_11:
	s_or_b32 exec_lo, exec_lo, s0
	v_dual_mov_b32 v4, 0 :: v_dual_add_nc_u32 v3, 2, v45
	s_delay_alu instid0(VALU_DEP_1)
	v_cmp_gt_u32_e32 vcc_lo, s23, v3
	v_mov_b32_e32 v3, 0
	s_and_saveexec_b32 s0, vcc_lo
	s_cbranch_execz .LBB2022_13
; %bb.12:
	v_add_nc_u32_e32 v3, s5, v26
	v_add_nc_u32_e32 v5, s7, v26
	s_delay_alu instid0(VALU_DEP_2) | instskip(NEXT) | instid1(VALU_DEP_2)
	v_mul_lo_u32 v3, v3, s4
	v_mul_lo_u32 v5, v5, s6
	s_delay_alu instid0(VALU_DEP_1) | instskip(NEXT) | instid1(VALU_DEP_1)
	v_sub_nc_u32_e32 v3, v3, v5
	v_cmp_lt_u32_e32 vcc_lo, s3, v3
	s_wait_alu 0xfffd
	v_cndmask_b32_e64 v3, 0, 1, vcc_lo
.LBB2022_13:
	s_or_b32 exec_lo, exec_lo, s0
	v_add_nc_u32_e32 v5, 3, v45
	s_mov_b32 s0, exec_lo
	s_delay_alu instid0(VALU_DEP_1)
	v_cmpx_gt_u32_e64 s23, v5
	s_cbranch_execz .LBB2022_15
; %bb.14:
	v_add_nc_u32_e32 v4, s5, v27
	v_add_nc_u32_e32 v5, s7, v27
	s_delay_alu instid0(VALU_DEP_2) | instskip(NEXT) | instid1(VALU_DEP_2)
	v_mul_lo_u32 v4, v4, s4
	v_mul_lo_u32 v5, v5, s6
	s_delay_alu instid0(VALU_DEP_1) | instskip(NEXT) | instid1(VALU_DEP_1)
	v_sub_nc_u32_e32 v4, v4, v5
	v_cmp_lt_u32_e32 vcc_lo, s3, v4
	s_wait_alu 0xfffd
	v_cndmask_b32_e64 v4, 0, 1, vcc_lo
.LBB2022_15:
	s_or_b32 exec_lo, exec_lo, s0
	v_dual_mov_b32 v6, 0 :: v_dual_add_nc_u32 v5, 4, v45
	s_delay_alu instid0(VALU_DEP_1)
	v_cmp_gt_u32_e32 vcc_lo, s23, v5
	v_mov_b32_e32 v5, 0
	s_and_saveexec_b32 s0, vcc_lo
	;; [unrolled: 37-line block ×5, first 2 shown]
	s_cbranch_execz .LBB2022_29
; %bb.28:
	v_add_nc_u32_e32 v11, s5, v18
	v_add_nc_u32_e32 v13, s7, v18
	s_delay_alu instid0(VALU_DEP_2) | instskip(NEXT) | instid1(VALU_DEP_2)
	v_mul_lo_u32 v11, v11, s4
	v_mul_lo_u32 v13, v13, s6
	s_delay_alu instid0(VALU_DEP_1) | instskip(NEXT) | instid1(VALU_DEP_1)
	v_sub_nc_u32_e32 v11, v11, v13
	v_cmp_lt_u32_e32 vcc_lo, s3, v11
	s_wait_alu 0xfffd
	v_cndmask_b32_e64 v11, 0, 1, vcc_lo
.LBB2022_29:
	s_or_b32 exec_lo, exec_lo, s0
	v_add_nc_u32_e32 v13, 11, v45
	s_mov_b32 s0, exec_lo
	s_delay_alu instid0(VALU_DEP_1)
	v_cmpx_gt_u32_e64 s23, v13
	s_cbranch_execz .LBB2022_31
; %bb.30:
	v_add_nc_u32_e32 v12, s5, v19
	v_add_nc_u32_e32 v13, s7, v19
	s_delay_alu instid0(VALU_DEP_2) | instskip(NEXT) | instid1(VALU_DEP_2)
	v_mul_lo_u32 v12, v12, s4
	v_mul_lo_u32 v13, v13, s6
	s_delay_alu instid0(VALU_DEP_1) | instskip(NEXT) | instid1(VALU_DEP_1)
	v_sub_nc_u32_e32 v12, v12, v13
	v_cmp_lt_u32_e32 vcc_lo, s3, v12
	s_wait_alu 0xfffd
	v_cndmask_b32_e64 v12, 0, 1, vcc_lo
.LBB2022_31:
	s_or_b32 exec_lo, exec_lo, s0
	v_dual_mov_b32 v46, 0 :: v_dual_add_nc_u32 v13, 12, v45
	s_mov_b32 s0, exec_lo
	s_delay_alu instid0(VALU_DEP_1)
	v_cmpx_gt_u32_e64 s23, v13
	s_cbranch_execz .LBB2022_33
; %bb.32:
	v_add_nc_u32_e32 v13, s5, v44
	v_add_nc_u32_e32 v14, s7, v44
	s_delay_alu instid0(VALU_DEP_2) | instskip(NEXT) | instid1(VALU_DEP_2)
	v_mul_lo_u32 v13, v13, s4
	v_mul_lo_u32 v14, v14, s6
	s_delay_alu instid0(VALU_DEP_1) | instskip(NEXT) | instid1(VALU_DEP_1)
	v_sub_nc_u32_e32 v13, v13, v14
	v_cmp_lt_u32_e32 vcc_lo, s3, v13
	s_wait_alu 0xfffd
	v_cndmask_b32_e64 v46, 0, 1, vcc_lo
.LBB2022_33:
	s_or_b32 exec_lo, exec_lo, s0
	v_lshlrev_b16 v2, 8, v2
	v_lshlrev_b16 v4, 8, v4
	;; [unrolled: 1-line block ×5, first 2 shown]
	v_or_b32_e32 v1, v1, v2
	v_lshlrev_b16 v2, 8, v12
	v_or_b32_e32 v3, v3, v4
	v_or_b32_e32 v4, v5, v6
	;; [unrolled: 1-line block ×5, first 2 shown]
	v_and_b32_e32 v1, 0xffff, v1
	v_lshlrev_b32_e32 v3, 16, v3
	v_and_b32_e32 v4, 0xffff, v4
	v_lshlrev_b32_e32 v5, 16, v5
	;; [unrolled: 2-line block ×3, first 2 shown]
	v_or_b32_e32 v51, v1, v3
	s_delay_alu instid0(VALU_DEP_4) | instskip(NEXT) | instid1(VALU_DEP_3)
	v_or_b32_e32 v49, v4, v5
	v_or_b32_e32 v47, v6, v2
.LBB2022_34:
	s_delay_alu instid0(VALU_DEP_3)
	v_and_b32_e32 v53, 0xff, v51
	v_bfe_u32 v54, v51, 8, 8
	v_bfe_u32 v55, v51, 16, 8
	v_lshrrev_b32_e32 v52, 24, v51
	v_and_b32_e32 v56, 0xff, v49
	v_bfe_u32 v57, v49, 8, 8
	v_bfe_u32 v58, v49, 16, 8
	v_add3_u32 v1, v54, v53, v55
	v_lshrrev_b32_e32 v50, 24, v49
	v_and_b32_e32 v59, 0xff, v47
	v_bfe_u32 v60, v47, 8, 8
	v_mbcnt_lo_u32_b32 v62, -1, 0
	v_add3_u32 v1, v1, v52, v56
	v_bfe_u32 v61, v47, 16, 8
	v_lshrrev_b32_e32 v48, 24, v47
	v_and_b32_e32 v2, 0xff, v46
	v_and_b32_e32 v3, 15, v62
	v_add3_u32 v1, v1, v57, v58
	v_or_b32_e32 v4, 31, v0
	v_and_b32_e32 v5, 16, v62
	v_lshrrev_b32_e32 v63, 5, v0
	v_cmp_eq_u32_e64 s5, 0, v3
	v_add3_u32 v1, v1, v50, v59
	v_cmp_lt_u32_e64 s4, 1, v3
	v_cmp_lt_u32_e64 s3, 3, v3
	;; [unrolled: 1-line block ×3, first 2 shown]
	v_cmp_eq_u32_e64 s1, 0, v5
	v_add3_u32 v1, v1, v60, v61
	v_cmp_eq_u32_e64 s0, v0, v4
	s_cmp_lg_u32 ttmp9, 0
	s_mov_b32 s6, -1
	v_add3_u32 v64, v1, v48, v2
	s_cbranch_scc0 .LBB2022_55
; %bb.35:
	s_delay_alu instid0(VALU_DEP_1) | instskip(SKIP_1) | instid1(VALU_DEP_1)
	v_mov_b32_dpp v1, v64 row_shr:1 row_mask:0xf bank_mask:0xf
	s_wait_alu 0xf1ff
	v_cndmask_b32_e64 v1, v1, 0, s5
	s_delay_alu instid0(VALU_DEP_1) | instskip(NEXT) | instid1(VALU_DEP_1)
	v_add_nc_u32_e32 v1, v1, v64
	v_mov_b32_dpp v2, v1 row_shr:2 row_mask:0xf bank_mask:0xf
	s_delay_alu instid0(VALU_DEP_1) | instskip(NEXT) | instid1(VALU_DEP_1)
	v_cndmask_b32_e64 v2, 0, v2, s4
	v_add_nc_u32_e32 v1, v1, v2
	s_delay_alu instid0(VALU_DEP_1) | instskip(NEXT) | instid1(VALU_DEP_1)
	v_mov_b32_dpp v2, v1 row_shr:4 row_mask:0xf bank_mask:0xf
	v_cndmask_b32_e64 v2, 0, v2, s3
	s_delay_alu instid0(VALU_DEP_1) | instskip(NEXT) | instid1(VALU_DEP_1)
	v_add_nc_u32_e32 v1, v1, v2
	v_mov_b32_dpp v2, v1 row_shr:8 row_mask:0xf bank_mask:0xf
	s_delay_alu instid0(VALU_DEP_1) | instskip(NEXT) | instid1(VALU_DEP_1)
	v_cndmask_b32_e64 v2, 0, v2, s2
	v_add_nc_u32_e32 v1, v1, v2
	ds_swizzle_b32 v2, v1 offset:swizzle(BROADCAST,32,15)
	s_wait_dscnt 0x0
	v_cndmask_b32_e64 v2, v2, 0, s1
	s_delay_alu instid0(VALU_DEP_1)
	v_add_nc_u32_e32 v1, v1, v2
	s_and_saveexec_b32 s6, s0
; %bb.36:
	v_lshlrev_b32_e32 v2, 2, v63
	ds_store_b32 v2, v1
; %bb.37:
	s_wait_alu 0xfffe
	s_or_b32 exec_lo, exec_lo, s6
	s_delay_alu instid0(SALU_CYCLE_1)
	s_mov_b32 s6, exec_lo
	s_wait_loadcnt_dscnt 0x0
	s_barrier_signal -1
	s_barrier_wait -1
	global_inv scope:SCOPE_SE
	v_cmpx_gt_u32_e32 8, v0
	s_cbranch_execz .LBB2022_39
; %bb.38:
	ds_load_b32 v2, v42
	s_wait_dscnt 0x0
	v_mov_b32_dpp v4, v2 row_shr:1 row_mask:0xf bank_mask:0xf
	v_and_b32_e32 v3, 7, v62
	s_delay_alu instid0(VALU_DEP_1) | instskip(SKIP_1) | instid1(VALU_DEP_3)
	v_cmp_ne_u32_e32 vcc_lo, 0, v3
	s_wait_alu 0xfffd
	v_cndmask_b32_e32 v4, 0, v4, vcc_lo
	v_cmp_lt_u32_e32 vcc_lo, 1, v3
	s_delay_alu instid0(VALU_DEP_2) | instskip(NEXT) | instid1(VALU_DEP_1)
	v_add_nc_u32_e32 v2, v4, v2
	v_mov_b32_dpp v4, v2 row_shr:2 row_mask:0xf bank_mask:0xf
	s_wait_alu 0xfffd
	s_delay_alu instid0(VALU_DEP_1) | instskip(SKIP_1) | instid1(VALU_DEP_2)
	v_cndmask_b32_e32 v4, 0, v4, vcc_lo
	v_cmp_lt_u32_e32 vcc_lo, 3, v3
	v_add_nc_u32_e32 v2, v2, v4
	s_delay_alu instid0(VALU_DEP_1) | instskip(SKIP_1) | instid1(VALU_DEP_1)
	v_mov_b32_dpp v4, v2 row_shr:4 row_mask:0xf bank_mask:0xf
	s_wait_alu 0xfffd
	v_cndmask_b32_e32 v3, 0, v4, vcc_lo
	s_delay_alu instid0(VALU_DEP_1)
	v_add_nc_u32_e32 v2, v2, v3
	ds_store_b32 v42, v2
.LBB2022_39:
	s_wait_alu 0xfffe
	s_or_b32 exec_lo, exec_lo, s6
	s_delay_alu instid0(SALU_CYCLE_1)
	s_mov_b32 s7, exec_lo
	v_cmp_gt_u32_e32 vcc_lo, 32, v0
	s_wait_loadcnt_dscnt 0x0
	s_barrier_signal -1
	s_barrier_wait -1
	global_inv scope:SCOPE_SE
                                        ; implicit-def: $vgpr9
	v_cmpx_lt_u32_e32 31, v0
	s_cbranch_execz .LBB2022_41
; %bb.40:
	v_lshl_add_u32 v2, v63, 2, -4
	ds_load_b32 v9, v2
	s_wait_dscnt 0x0
	v_add_nc_u32_e32 v1, v9, v1
.LBB2022_41:
	s_wait_alu 0xfffe
	s_or_b32 exec_lo, exec_lo, s7
	v_sub_co_u32 v2, s6, v62, 1
	s_delay_alu instid0(VALU_DEP_1) | instskip(SKIP_1) | instid1(VALU_DEP_1)
	v_cmp_gt_i32_e64 s7, 0, v2
	s_wait_alu 0xf1ff
	v_cndmask_b32_e64 v2, v2, v62, s7
	s_delay_alu instid0(VALU_DEP_1)
	v_lshlrev_b32_e32 v2, 2, v2
	ds_bpermute_b32 v10, v2, v1
	s_and_saveexec_b32 s7, vcc_lo
	s_cbranch_execz .LBB2022_60
; %bb.42:
	v_mov_b32_e32 v5, 0
	ds_load_b32 v1, v5 offset:28
	s_and_saveexec_b32 s17, s6
	s_cbranch_execz .LBB2022_44
; %bb.43:
	s_add_co_i32 s24, ttmp9, 32
	s_mov_b32 s25, 0
	v_mov_b32_e32 v2, 1
	s_lshl_b64 s[24:25], s[24:25], 3
	s_wait_kmcnt 0x0
	s_add_nc_u64 s[24:25], s[20:21], s[24:25]
	s_wait_dscnt 0x0
	global_store_b64 v5, v[1:2], s[24:25] scope:SCOPE_DEV
.LBB2022_44:
	s_or_b32 exec_lo, exec_lo, s17
	v_xad_u32 v3, v62, -1, ttmp9
	s_mov_b32 s24, 0
	s_mov_b32 s17, exec_lo
	s_delay_alu instid0(VALU_DEP_1) | instskip(NEXT) | instid1(VALU_DEP_1)
	v_add_nc_u32_e32 v4, 32, v3
	v_lshlrev_b64_e32 v[4:5], 3, v[4:5]
	s_wait_kmcnt 0x0
	s_delay_alu instid0(VALU_DEP_1) | instskip(SKIP_1) | instid1(VALU_DEP_2)
	v_add_co_u32 v7, vcc_lo, s20, v4
	s_wait_alu 0xfffd
	v_add_co_ci_u32_e64 v8, null, s21, v5, vcc_lo
	global_load_b64 v[5:6], v[7:8], off scope:SCOPE_DEV
	s_wait_loadcnt 0x0
	v_and_b32_e32 v2, 0xff, v6
	s_delay_alu instid0(VALU_DEP_1)
	v_cmpx_eq_u16_e32 0, v2
	s_cbranch_execz .LBB2022_47
.LBB2022_45:                            ; =>This Inner Loop Header: Depth=1
	global_load_b64 v[5:6], v[7:8], off scope:SCOPE_DEV
	s_wait_loadcnt 0x0
	v_and_b32_e32 v2, 0xff, v6
	s_delay_alu instid0(VALU_DEP_1) | instskip(SKIP_1) | instid1(SALU_CYCLE_1)
	v_cmp_ne_u16_e32 vcc_lo, 0, v2
	s_or_b32 s24, vcc_lo, s24
	s_and_not1_b32 exec_lo, exec_lo, s24
	s_cbranch_execnz .LBB2022_45
; %bb.46:
	s_or_b32 exec_lo, exec_lo, s24
.LBB2022_47:
	s_delay_alu instid0(SALU_CYCLE_1)
	s_or_b32 exec_lo, exec_lo, s17
	v_cmp_ne_u32_e32 vcc_lo, 31, v62
	v_lshlrev_b32_e64 v12, v62, -1
	v_add_nc_u32_e32 v14, 2, v62
	v_add_nc_u32_e32 v16, 4, v62
	v_add_nc_u32_e32 v65, 8, v62
	s_wait_alu 0xfffd
	v_add_co_ci_u32_e64 v2, null, 0, v62, vcc_lo
	v_lshl_or_b32 v66, v62, 2, 64
	v_add_nc_u32_e32 v67, 16, v62
	s_delay_alu instid0(VALU_DEP_3)
	v_lshlrev_b32_e32 v11, 2, v2
	v_and_b32_e32 v2, 0xff, v6
	ds_bpermute_b32 v4, v11, v5
	v_cmp_eq_u16_e32 vcc_lo, 2, v2
	s_wait_alu 0xfffd
	v_and_or_b32 v2, vcc_lo, v12, 0x80000000
	v_cmp_gt_u32_e32 vcc_lo, 30, v62
	s_delay_alu instid0(VALU_DEP_2) | instskip(SKIP_2) | instid1(VALU_DEP_2)
	v_ctz_i32_b32_e32 v2, v2
	s_wait_alu 0xfffd
	v_cndmask_b32_e64 v7, 0, 2, vcc_lo
	v_cmp_lt_u32_e32 vcc_lo, v62, v2
	s_delay_alu instid0(VALU_DEP_2) | instskip(SKIP_4) | instid1(VALU_DEP_2)
	v_add_lshl_u32 v13, v7, v62, 2
	s_wait_dscnt 0x0
	s_wait_alu 0xfffd
	v_cndmask_b32_e32 v4, 0, v4, vcc_lo
	v_cmp_gt_u32_e32 vcc_lo, 28, v62
	v_add_nc_u32_e32 v4, v4, v5
	s_wait_alu 0xfffd
	v_cndmask_b32_e64 v7, 0, 4, vcc_lo
	v_cmp_le_u32_e32 vcc_lo, v14, v2
	ds_bpermute_b32 v5, v13, v4
	v_add_lshl_u32 v15, v7, v62, 2
	s_wait_dscnt 0x0
	s_wait_alu 0xfffd
	v_cndmask_b32_e32 v5, 0, v5, vcc_lo
	v_cmp_gt_u32_e32 vcc_lo, 24, v62
	s_delay_alu instid0(VALU_DEP_2)
	v_add_nc_u32_e32 v4, v4, v5
	s_wait_alu 0xfffd
	v_cndmask_b32_e64 v7, 0, 8, vcc_lo
	v_cmp_le_u32_e32 vcc_lo, v16, v2
	ds_bpermute_b32 v5, v15, v4
	v_add_lshl_u32 v17, v7, v62, 2
	s_wait_dscnt 0x0
	s_wait_alu 0xfffd
	v_cndmask_b32_e32 v5, 0, v5, vcc_lo
	v_cmp_le_u32_e32 vcc_lo, v65, v2
	s_delay_alu instid0(VALU_DEP_2)
	v_add_nc_u32_e32 v4, v4, v5
	ds_bpermute_b32 v5, v17, v4
	s_wait_dscnt 0x0
	s_wait_alu 0xfffd
	v_cndmask_b32_e32 v5, 0, v5, vcc_lo
	v_cmp_le_u32_e32 vcc_lo, v67, v2
	s_delay_alu instid0(VALU_DEP_2) | instskip(SKIP_4) | instid1(VALU_DEP_1)
	v_add_nc_u32_e32 v4, v4, v5
	ds_bpermute_b32 v5, v66, v4
	s_wait_dscnt 0x0
	s_wait_alu 0xfffd
	v_cndmask_b32_e32 v2, 0, v5, vcc_lo
	v_dual_mov_b32 v4, 0 :: v_dual_add_nc_u32 v5, v4, v2
	s_branch .LBB2022_51
.LBB2022_48:                            ;   in Loop: Header=BB2022_51 Depth=1
	s_or_b32 exec_lo, exec_lo, s24
.LBB2022_49:                            ;   in Loop: Header=BB2022_51 Depth=1
	s_delay_alu instid0(SALU_CYCLE_1) | instskip(SKIP_4) | instid1(VALU_DEP_2)
	s_or_b32 exec_lo, exec_lo, s17
	ds_bpermute_b32 v8, v11, v5
	v_and_b32_e32 v7, 0xff, v6
	v_subrev_nc_u32_e32 v3, 32, v3
	s_mov_b32 s17, 0
	v_cmp_eq_u16_e32 vcc_lo, 2, v7
	s_wait_alu 0xfffd
	v_and_or_b32 v7, vcc_lo, v12, 0x80000000
	s_delay_alu instid0(VALU_DEP_1) | instskip(NEXT) | instid1(VALU_DEP_1)
	v_ctz_i32_b32_e32 v7, v7
	v_cmp_lt_u32_e32 vcc_lo, v62, v7
	s_wait_dscnt 0x0
	s_wait_alu 0xfffd
	v_cndmask_b32_e32 v8, 0, v8, vcc_lo
	v_cmp_le_u32_e32 vcc_lo, v14, v7
	s_delay_alu instid0(VALU_DEP_2)
	v_add_nc_u32_e32 v5, v8, v5
	ds_bpermute_b32 v8, v13, v5
	s_wait_dscnt 0x0
	s_wait_alu 0xfffd
	v_cndmask_b32_e32 v8, 0, v8, vcc_lo
	v_cmp_le_u32_e32 vcc_lo, v16, v7
	s_delay_alu instid0(VALU_DEP_2)
	v_add_nc_u32_e32 v5, v5, v8
	ds_bpermute_b32 v8, v15, v5
	s_wait_dscnt 0x0
	s_wait_alu 0xfffd
	v_cndmask_b32_e32 v8, 0, v8, vcc_lo
	v_cmp_le_u32_e32 vcc_lo, v65, v7
	s_delay_alu instid0(VALU_DEP_2)
	v_add_nc_u32_e32 v5, v5, v8
	ds_bpermute_b32 v8, v17, v5
	s_wait_dscnt 0x0
	s_wait_alu 0xfffd
	v_cndmask_b32_e32 v8, 0, v8, vcc_lo
	v_cmp_le_u32_e32 vcc_lo, v67, v7
	s_delay_alu instid0(VALU_DEP_2) | instskip(SKIP_4) | instid1(VALU_DEP_1)
	v_add_nc_u32_e32 v5, v5, v8
	ds_bpermute_b32 v8, v66, v5
	s_wait_dscnt 0x0
	s_wait_alu 0xfffd
	v_cndmask_b32_e32 v7, 0, v8, vcc_lo
	v_add3_u32 v5, v7, v2, v5
.LBB2022_50:                            ;   in Loop: Header=BB2022_51 Depth=1
	s_and_b32 vcc_lo, exec_lo, s17
	s_wait_alu 0xfffe
	s_cbranch_vccnz .LBB2022_56
.LBB2022_51:                            ; =>This Loop Header: Depth=1
                                        ;     Child Loop BB2022_54 Depth 2
	v_and_b32_e32 v2, 0xff, v6
	s_mov_b32 s17, -1
                                        ; implicit-def: $vgpr6
	s_delay_alu instid0(VALU_DEP_1)
	v_cmp_ne_u16_e32 vcc_lo, 2, v2
	v_mov_b32_e32 v2, v5
                                        ; implicit-def: $vgpr5
	s_cmp_lg_u32 vcc_lo, exec_lo
	s_cbranch_scc1 .LBB2022_50
; %bb.52:                               ;   in Loop: Header=BB2022_51 Depth=1
	v_lshlrev_b64_e32 v[5:6], 3, v[3:4]
	s_mov_b32 s17, exec_lo
	s_delay_alu instid0(VALU_DEP_1) | instskip(SKIP_1) | instid1(VALU_DEP_2)
	v_add_co_u32 v7, vcc_lo, s20, v5
	s_wait_alu 0xfffd
	v_add_co_ci_u32_e64 v8, null, s21, v6, vcc_lo
	global_load_b64 v[5:6], v[7:8], off scope:SCOPE_DEV
	s_wait_loadcnt 0x0
	v_and_b32_e32 v68, 0xff, v6
	s_delay_alu instid0(VALU_DEP_1)
	v_cmpx_eq_u16_e32 0, v68
	s_cbranch_execz .LBB2022_49
; %bb.53:                               ;   in Loop: Header=BB2022_51 Depth=1
	s_mov_b32 s24, 0
.LBB2022_54:                            ;   Parent Loop BB2022_51 Depth=1
                                        ; =>  This Inner Loop Header: Depth=2
	global_load_b64 v[5:6], v[7:8], off scope:SCOPE_DEV
	s_wait_loadcnt 0x0
	v_and_b32_e32 v68, 0xff, v6
	s_delay_alu instid0(VALU_DEP_1) | instskip(SKIP_1) | instid1(SALU_CYCLE_1)
	v_cmp_ne_u16_e32 vcc_lo, 0, v68
	s_or_b32 s24, vcc_lo, s24
	s_and_not1_b32 exec_lo, exec_lo, s24
	s_cbranch_execnz .LBB2022_54
	s_branch .LBB2022_48
.LBB2022_55:
                                        ; implicit-def: $vgpr17
                                        ; implicit-def: $vgpr1_vgpr2_vgpr3_vgpr4_vgpr5_vgpr6_vgpr7_vgpr8_vgpr9_vgpr10_vgpr11_vgpr12_vgpr13_vgpr14_vgpr15_vgpr16
	s_wait_alu 0xfffe
	s_and_b32 vcc_lo, exec_lo, s6
	s_wait_alu 0xfffe
	s_cbranch_vccnz .LBB2022_61
	s_branch .LBB2022_70
.LBB2022_56:
	s_and_saveexec_b32 s17, s6
	s_cbranch_execz .LBB2022_58
; %bb.57:
	s_add_co_i32 s24, ttmp9, 32
	s_mov_b32 s25, 0
	v_dual_mov_b32 v4, 2 :: v_dual_add_nc_u32 v3, v2, v1
	v_mov_b32_e32 v5, 0
	s_lshl_b64 s[24:25], s[24:25], 3
	s_delay_alu instid0(SALU_CYCLE_1)
	s_add_nc_u64 s[24:25], s[20:21], s[24:25]
	global_store_b64 v5, v[3:4], s[24:25] scope:SCOPE_DEV
	ds_store_b64 v5, v[1:2] offset:13312
.LBB2022_58:
	s_or_b32 exec_lo, exec_lo, s17
	v_cmp_eq_u32_e32 vcc_lo, 0, v0
	s_and_b32 exec_lo, exec_lo, vcc_lo
; %bb.59:
	v_mov_b32_e32 v1, 0
	ds_store_b32 v1, v2 offset:28
.LBB2022_60:
	s_wait_alu 0xfffe
	s_or_b32 exec_lo, exec_lo, s7
	s_wait_dscnt 0x0
	v_cndmask_b32_e64 v2, v10, v9, s6
	v_cmp_ne_u32_e32 vcc_lo, 0, v0
	v_mov_b32_e32 v11, 0
	s_wait_loadcnt 0x0
	s_wait_storecnt 0x0
	s_barrier_signal -1
	s_barrier_wait -1
	global_inv scope:SCOPE_SE
	s_wait_alu 0xfffd
	v_cndmask_b32_e32 v2, 0, v2, vcc_lo
	ds_load_b32 v1, v11 offset:28
	s_wait_loadcnt_dscnt 0x0
	s_barrier_signal -1
	s_barrier_wait -1
	global_inv scope:SCOPE_SE
	ds_load_b64 v[16:17], v11 offset:13312
	v_add_nc_u32_e32 v1, v1, v2
	s_delay_alu instid0(VALU_DEP_1) | instskip(NEXT) | instid1(VALU_DEP_1)
	v_add_nc_u32_e32 v2, v1, v53
	v_add_nc_u32_e32 v3, v2, v54
	s_delay_alu instid0(VALU_DEP_1) | instskip(NEXT) | instid1(VALU_DEP_1)
	v_add_nc_u32_e32 v4, v3, v55
	;; [unrolled: 3-line block ×6, first 2 shown]
	v_add_nc_u32_e32 v13, v12, v48
	s_branch .LBB2022_70
.LBB2022_61:
	v_mov_b32_dpp v1, v64 row_shr:1 row_mask:0xf bank_mask:0xf
	s_delay_alu instid0(VALU_DEP_1) | instskip(NEXT) | instid1(VALU_DEP_1)
	v_cndmask_b32_e64 v1, v1, 0, s5
	v_add_nc_u32_e32 v1, v1, v64
	s_delay_alu instid0(VALU_DEP_1) | instskip(NEXT) | instid1(VALU_DEP_1)
	v_mov_b32_dpp v2, v1 row_shr:2 row_mask:0xf bank_mask:0xf
	v_cndmask_b32_e64 v2, 0, v2, s4
	s_delay_alu instid0(VALU_DEP_1) | instskip(NEXT) | instid1(VALU_DEP_1)
	v_add_nc_u32_e32 v1, v1, v2
	v_mov_b32_dpp v2, v1 row_shr:4 row_mask:0xf bank_mask:0xf
	s_delay_alu instid0(VALU_DEP_1) | instskip(NEXT) | instid1(VALU_DEP_1)
	v_cndmask_b32_e64 v2, 0, v2, s3
	v_add_nc_u32_e32 v1, v1, v2
	s_delay_alu instid0(VALU_DEP_1) | instskip(NEXT) | instid1(VALU_DEP_1)
	v_mov_b32_dpp v2, v1 row_shr:8 row_mask:0xf bank_mask:0xf
	v_cndmask_b32_e64 v2, 0, v2, s2
	s_delay_alu instid0(VALU_DEP_1) | instskip(SKIP_3) | instid1(VALU_DEP_1)
	v_add_nc_u32_e32 v1, v1, v2
	ds_swizzle_b32 v2, v1 offset:swizzle(BROADCAST,32,15)
	s_wait_dscnt 0x0
	v_cndmask_b32_e64 v2, v2, 0, s1
	v_add_nc_u32_e32 v1, v1, v2
	s_and_saveexec_b32 s1, s0
; %bb.62:
	v_lshlrev_b32_e32 v2, 2, v63
	ds_store_b32 v2, v1
; %bb.63:
	s_wait_alu 0xfffe
	s_or_b32 exec_lo, exec_lo, s1
	s_delay_alu instid0(SALU_CYCLE_1)
	s_mov_b32 s0, exec_lo
	s_wait_loadcnt_dscnt 0x0
	s_barrier_signal -1
	s_barrier_wait -1
	global_inv scope:SCOPE_SE
	v_cmpx_gt_u32_e32 8, v0
	s_cbranch_execz .LBB2022_65
; %bb.64:
	ds_load_b32 v2, v42
	s_wait_dscnt 0x0
	v_mov_b32_dpp v4, v2 row_shr:1 row_mask:0xf bank_mask:0xf
	v_and_b32_e32 v3, 7, v62
	s_delay_alu instid0(VALU_DEP_1) | instskip(SKIP_1) | instid1(VALU_DEP_3)
	v_cmp_ne_u32_e32 vcc_lo, 0, v3
	s_wait_alu 0xfffd
	v_cndmask_b32_e32 v4, 0, v4, vcc_lo
	v_cmp_lt_u32_e32 vcc_lo, 1, v3
	s_delay_alu instid0(VALU_DEP_2) | instskip(NEXT) | instid1(VALU_DEP_1)
	v_add_nc_u32_e32 v2, v4, v2
	v_mov_b32_dpp v4, v2 row_shr:2 row_mask:0xf bank_mask:0xf
	s_wait_alu 0xfffd
	s_delay_alu instid0(VALU_DEP_1) | instskip(SKIP_1) | instid1(VALU_DEP_2)
	v_cndmask_b32_e32 v4, 0, v4, vcc_lo
	v_cmp_lt_u32_e32 vcc_lo, 3, v3
	v_add_nc_u32_e32 v2, v2, v4
	s_delay_alu instid0(VALU_DEP_1) | instskip(SKIP_1) | instid1(VALU_DEP_1)
	v_mov_b32_dpp v4, v2 row_shr:4 row_mask:0xf bank_mask:0xf
	s_wait_alu 0xfffd
	v_cndmask_b32_e32 v3, 0, v4, vcc_lo
	s_delay_alu instid0(VALU_DEP_1)
	v_add_nc_u32_e32 v2, v2, v3
	ds_store_b32 v42, v2
.LBB2022_65:
	s_wait_alu 0xfffe
	s_or_b32 exec_lo, exec_lo, s0
	v_dual_mov_b32 v3, 0 :: v_dual_mov_b32 v2, 0
	s_mov_b32 s0, exec_lo
	s_wait_loadcnt_dscnt 0x0
	s_barrier_signal -1
	s_barrier_wait -1
	global_inv scope:SCOPE_SE
	v_cmpx_lt_u32_e32 31, v0
; %bb.66:
	v_lshl_add_u32 v2, v63, 2, -4
	ds_load_b32 v2, v2
; %bb.67:
	s_wait_alu 0xfffe
	s_or_b32 exec_lo, exec_lo, s0
	v_sub_co_u32 v4, vcc_lo, v62, 1
	s_wait_dscnt 0x0
	v_add_nc_u32_e32 v1, v2, v1
	ds_load_b32 v16, v3 offset:28
	v_cmp_gt_i32_e64 s0, 0, v4
	s_wait_alu 0xf1ff
	s_delay_alu instid0(VALU_DEP_1) | instskip(SKIP_1) | instid1(VALU_DEP_2)
	v_cndmask_b32_e64 v4, v4, v62, s0
	v_cmp_eq_u32_e64 s0, 0, v0
	v_lshlrev_b32_e32 v4, 2, v4
	ds_bpermute_b32 v1, v4, v1
	s_and_saveexec_b32 s1, s0
	s_cbranch_execz .LBB2022_69
; %bb.68:
	v_mov_b32_e32 v3, 0
	v_mov_b32_e32 v17, 2
	s_wait_dscnt 0x1
	s_wait_kmcnt 0x0
	global_store_b64 v3, v[16:17], s[20:21] offset:256 scope:SCOPE_DEV
.LBB2022_69:
	s_wait_alu 0xfffe
	s_or_b32 exec_lo, exec_lo, s1
	s_wait_dscnt 0x0
	s_wait_alu 0xfffd
	v_cndmask_b32_e32 v1, v1, v2, vcc_lo
	s_wait_loadcnt 0x0
	s_wait_storecnt 0x0
	s_barrier_signal -1
	s_barrier_wait -1
	global_inv scope:SCOPE_SE
	v_cndmask_b32_e64 v1, v1, 0, s0
	s_delay_alu instid0(VALU_DEP_1) | instskip(NEXT) | instid1(VALU_DEP_1)
	v_dual_mov_b32 v17, 0 :: v_dual_add_nc_u32 v2, v1, v53
	v_add_nc_u32_e32 v3, v2, v54
	s_delay_alu instid0(VALU_DEP_1) | instskip(NEXT) | instid1(VALU_DEP_1)
	v_add_nc_u32_e32 v4, v3, v55
	v_add_nc_u32_e32 v5, v4, v52
	s_delay_alu instid0(VALU_DEP_1) | instskip(NEXT) | instid1(VALU_DEP_1)
	v_add_nc_u32_e32 v6, v5, v56
	;; [unrolled: 3-line block ×5, first 2 shown]
	v_add_nc_u32_e32 v13, v12, v48
.LBB2022_70:
	v_lshrrev_b32_e32 v56, 8, v51
	v_lshrrev_b32_e32 v55, 16, v51
	s_wait_dscnt 0x0
	v_sub_nc_u32_e32 v1, v1, v17
	v_and_b32_e32 v51, 1, v51
	v_sub_nc_u32_e32 v3, v3, v17
	v_add_nc_u32_e32 v45, v16, v45
	v_sub_nc_u32_e32 v2, v2, v17
	v_sub_nc_u32_e32 v4, v4, v17
	v_cmp_eq_u32_e32 vcc_lo, 1, v51
	v_and_b32_e32 v51, 1, v55
	v_sub_nc_u32_e32 v57, v45, v1
	v_and_b32_e32 v56, 1, v56
	v_sub_nc_u32_e32 v55, v45, v2
	v_lshrrev_b32_e32 v54, 8, v49
	v_lshrrev_b32_e32 v53, 16, v49
	s_wait_alu 0xfffd
	v_cndmask_b32_e32 v1, v57, v1, vcc_lo
	v_sub_nc_u32_e32 v57, v45, v3
	v_add_nc_u32_e32 v55, 1, v55
	v_cmp_eq_u32_e32 vcc_lo, 1, v56
	v_and_b32_e32 v52, 1, v52
	v_lshlrev_b32_e32 v1, 2, v1
	v_add_nc_u32_e32 v57, 2, v57
	v_lshrrev_b32_e32 v15, 8, v47
	v_lshrrev_b32_e32 v14, 16, v47
	ds_store_b32 v1, v28
	s_wait_alu 0xfffd
	v_cndmask_b32_e32 v1, v55, v2, vcc_lo
	v_cmp_eq_u32_e32 vcc_lo, 1, v51
	s_wait_alu 0xfffd
	s_delay_alu instid0(VALU_DEP_2)
	v_dual_cndmask_b32 v2, v57, v3 :: v_dual_lshlrev_b32 v1, 2, v1
	v_sub_nc_u32_e32 v58, v45, v4
	v_cmp_eq_u32_e32 vcc_lo, 1, v52
	ds_store_b32 v1, v29
	v_lshlrev_b32_e32 v2, 2, v2
	v_add_nc_u32_e32 v58, 3, v58
	s_wait_alu 0xfffd
	s_delay_alu instid0(VALU_DEP_1) | instskip(SKIP_2) | instid1(VALU_DEP_3)
	v_cndmask_b32_e32 v3, v58, v4, vcc_lo
	v_sub_nc_u32_e32 v4, v5, v17
	v_sub_nc_u32_e32 v5, v6, v17
	v_lshlrev_b32_e32 v3, 2, v3
	s_delay_alu instid0(VALU_DEP_3) | instskip(NEXT) | instid1(VALU_DEP_3)
	v_sub_nc_u32_e32 v1, v45, v4
	v_sub_nc_u32_e32 v6, v45, v5
	ds_store_b32 v2, v26
	ds_store_b32 v3, v27
	v_and_b32_e32 v2, 1, v49
	v_add_nc_u32_e32 v1, 4, v1
	v_add_nc_u32_e32 v3, 5, v6
	v_sub_nc_u32_e32 v6, v7, v17
	v_and_b32_e32 v7, 1, v54
	v_cmp_eq_u32_e32 vcc_lo, 1, v2
	v_sub_nc_u32_e32 v2, v8, v17
	s_wait_alu 0xfffd
	v_dual_cndmask_b32 v1, v1, v4 :: v_dual_and_b32 v8, 1, v50
	v_sub_nc_u32_e32 v4, v45, v6
	v_cmp_eq_u32_e32 vcc_lo, 1, v7
	v_and_b32_e32 v7, 1, v53
	s_delay_alu instid0(VALU_DEP_4)
	v_lshlrev_b32_e32 v1, 2, v1
	s_wait_alu 0xfffd
	v_dual_cndmask_b32 v3, v3, v5 :: v_dual_add_nc_u32 v4, 6, v4
	v_sub_nc_u32_e32 v5, v45, v2
	v_cmp_eq_u32_e32 vcc_lo, 1, v7
	v_sub_nc_u32_e32 v7, v13, v17
	s_delay_alu instid0(VALU_DEP_4)
	v_lshlrev_b32_e32 v3, 2, v3
	s_wait_alu 0xfffd
	v_dual_cndmask_b32 v4, v4, v6 :: v_dual_add_nc_u32 v5, 7, v5
	v_cmp_eq_u32_e32 vcc_lo, 1, v8
	v_sub_nc_u32_e32 v6, v9, v17
	ds_store_b32 v1, v24
	ds_store_b32 v3, v25
	s_wait_alu 0xfffd
	v_dual_cndmask_b32 v2, v5, v2 :: v_dual_lshlrev_b32 v3, 2, v4
	v_and_b32_e32 v5, 1, v47
	v_sub_nc_u32_e32 v1, v45, v6
	v_sub_nc_u32_e32 v4, v10, v17
	v_and_b32_e32 v10, 1, v48
	s_delay_alu instid0(VALU_DEP_4) | instskip(SKIP_2) | instid1(VALU_DEP_2)
	v_cmp_eq_u32_e32 vcc_lo, 1, v5
	v_sub_nc_u32_e32 v5, v12, v17
	v_add_nc_u32_e32 v1, 8, v1
	v_sub_nc_u32_e32 v9, v45, v5
	s_wait_alu 0xfffd
	s_delay_alu instid0(VALU_DEP_2)
	v_dual_cndmask_b32 v1, v1, v6 :: v_dual_and_b32 v6, 1, v15
	s_wait_kmcnt 0x0
	v_add_co_u32 v15, s0, s18, v17
	v_add_nc_u32_e32 v9, 11, v9
	v_lshlrev_b32_e32 v2, 2, v2
	ds_store_b32 v3, v22
	ds_store_b32 v2, v23
	v_sub_nc_u32_e32 v3, v11, v17
	v_sub_nc_u32_e32 v2, v45, v4
	v_cmp_eq_u32_e32 vcc_lo, 1, v6
	v_and_b32_e32 v11, 1, v46
	v_lshlrev_b32_e32 v1, 2, v1
	v_sub_nc_u32_e32 v8, v45, v3
	v_add_nc_u32_e32 v2, 9, v2
	s_wait_alu 0xf1ff
	v_add_co_ci_u32_e64 v17, null, s19, 0, s0
	s_delay_alu instid0(VALU_DEP_3) | instskip(SKIP_4) | instid1(VALU_DEP_3)
	v_add_nc_u32_e32 v6, 10, v8
	v_and_b32_e32 v8, 1, v14
	s_wait_alu 0xfffd
	v_cndmask_b32_e32 v2, v2, v4, vcc_lo
	v_sub_nc_u32_e32 v4, v45, v7
	v_cmp_eq_u32_e32 vcc_lo, 1, v8
	s_delay_alu instid0(VALU_DEP_3) | instskip(SKIP_1) | instid1(VALU_DEP_3)
	v_lshlrev_b32_e32 v2, 2, v2
	s_wait_alu 0xfffd
	v_dual_cndmask_b32 v3, v6, v3 :: v_dual_add_nc_u32 v4, 12, v4
	v_cmp_eq_u32_e32 vcc_lo, 1, v10
	s_delay_alu instid0(VALU_DEP_2) | instskip(SKIP_4) | instid1(VALU_DEP_2)
	v_lshlrev_b32_e32 v3, 2, v3
	s_wait_alu 0xfffd
	v_cndmask_b32_e32 v5, v9, v5, vcc_lo
	v_cmp_eq_u32_e32 vcc_lo, 1, v11
	s_wait_alu 0xfffd
	v_dual_cndmask_b32 v4, v4, v7 :: v_dual_lshlrev_b32 v5, 2, v5
	v_cmp_ne_u32_e32 vcc_lo, 1, v43
	s_delay_alu instid0(VALU_DEP_2)
	v_lshlrev_b32_e32 v4, 2, v4
	ds_store_b32 v1, v20
	ds_store_b32 v2, v21
	;; [unrolled: 1-line block ×5, first 2 shown]
	s_wait_loadcnt_dscnt 0x0
	s_barrier_signal -1
	s_barrier_wait -1
	global_inv scope:SCOPE_SE
	ds_load_2addr_stride64_b32 v[11:12], v42 offset1:4
	ds_load_2addr_stride64_b32 v[9:10], v42 offset0:8 offset1:12
	ds_load_2addr_stride64_b32 v[7:8], v42 offset0:16 offset1:20
	;; [unrolled: 1-line block ×5, first 2 shown]
	ds_load_b32 v18, v42 offset:12288
	s_cbranch_vccnz .LBB2022_124
; %bb.71:
	s_mov_b32 s17, 0
	v_sub_co_u32 v13, vcc_lo, v15, s12
	s_sub_nc_u64 s[0:1], s[14:15], s[16:17]
	s_wait_alu 0xfffd
	v_subrev_co_ci_u32_e64 v14, null, s13, v17, vcc_lo
	s_wait_alu 0xfffe
	v_add_co_u32 v19, s0, s0, v16
	s_wait_alu 0xf1ff
	v_add_co_ci_u32_e64 v20, null, s1, 0, s0
	s_mov_b32 s0, exec_lo
	v_add_co_u32 v19, vcc_lo, v19, v13
	s_wait_alu 0xfffd
	v_add_co_ci_u32_e64 v20, null, v20, v14, vcc_lo
                                        ; implicit-def: $vgpr13_vgpr14
	v_cmpx_ge_u32_e64 v0, v16
	s_wait_alu 0xfffe
	s_xor_b32 s0, exec_lo, s0
; %bb.72:
	v_not_b32_e32 v13, v0
	s_delay_alu instid0(VALU_DEP_1) | instskip(SKIP_2) | instid1(VALU_DEP_2)
	v_ashrrev_i32_e32 v14, 31, v13
	v_add_co_u32 v13, vcc_lo, v19, v13
	s_wait_alu 0xfffd
	v_add_co_ci_u32_e64 v14, null, v20, v14, vcc_lo
; %bb.73:
	s_wait_alu 0xfffe
	s_and_not1_saveexec_b32 s0, s0
; %bb.74:
	v_add_co_u32 v13, vcc_lo, v15, v0
	s_wait_alu 0xfffd
	v_add_co_ci_u32_e64 v14, null, 0, v17, vcc_lo
; %bb.75:
	s_wait_alu 0xfffe
	s_or_b32 exec_lo, exec_lo, s0
	s_delay_alu instid0(VALU_DEP_1) | instskip(SKIP_1) | instid1(VALU_DEP_1)
	v_lshlrev_b64_e32 v[13:14], 2, v[13:14]
	s_mov_b32 s0, exec_lo
	v_add_co_u32 v13, vcc_lo, s10, v13
	s_wait_alu 0xfffd
	s_delay_alu instid0(VALU_DEP_2)
	v_add_co_ci_u32_e64 v14, null, s11, v14, vcc_lo
	s_wait_dscnt 0x6
	global_store_b32 v[13:14], v11, off
                                        ; implicit-def: $vgpr13_vgpr14
	v_cmpx_ge_u32_e64 v41, v16
	s_wait_alu 0xfffe
	s_xor_b32 s0, exec_lo, s0
; %bb.76:
	v_xor_b32_e32 v13, 0xfffffeff, v0
	s_delay_alu instid0(VALU_DEP_1) | instskip(SKIP_2) | instid1(VALU_DEP_2)
	v_ashrrev_i32_e32 v14, 31, v13
	v_add_co_u32 v13, vcc_lo, v19, v13
	s_wait_alu 0xfffd
	v_add_co_ci_u32_e64 v14, null, v20, v14, vcc_lo
; %bb.77:
	s_wait_alu 0xfffe
	s_and_not1_saveexec_b32 s0, s0
; %bb.78:
	v_add_co_u32 v13, vcc_lo, v15, v41
	s_wait_alu 0xfffd
	v_add_co_ci_u32_e64 v14, null, 0, v17, vcc_lo
; %bb.79:
	s_wait_alu 0xfffe
	s_or_b32 exec_lo, exec_lo, s0
	s_delay_alu instid0(VALU_DEP_1) | instskip(SKIP_1) | instid1(VALU_DEP_1)
	v_lshlrev_b64_e32 v[13:14], 2, v[13:14]
	s_mov_b32 s0, exec_lo
	v_add_co_u32 v13, vcc_lo, s10, v13
	s_wait_alu 0xfffd
	s_delay_alu instid0(VALU_DEP_2)
	v_add_co_ci_u32_e64 v14, null, s11, v14, vcc_lo
	global_store_b32 v[13:14], v12, off
                                        ; implicit-def: $vgpr13_vgpr14
	v_cmpx_ge_u32_e64 v40, v16
	s_wait_alu 0xfffe
	s_xor_b32 s0, exec_lo, s0
; %bb.80:
	v_xor_b32_e32 v13, 0xfffffdff, v0
	s_delay_alu instid0(VALU_DEP_1) | instskip(SKIP_2) | instid1(VALU_DEP_2)
	v_ashrrev_i32_e32 v14, 31, v13
	v_add_co_u32 v13, vcc_lo, v19, v13
	s_wait_alu 0xfffd
	v_add_co_ci_u32_e64 v14, null, v20, v14, vcc_lo
; %bb.81:
	s_wait_alu 0xfffe
	s_and_not1_saveexec_b32 s0, s0
; %bb.82:
	v_add_co_u32 v13, vcc_lo, v15, v40
	s_wait_alu 0xfffd
	v_add_co_ci_u32_e64 v14, null, 0, v17, vcc_lo
; %bb.83:
	s_wait_alu 0xfffe
	s_or_b32 exec_lo, exec_lo, s0
	s_delay_alu instid0(VALU_DEP_1) | instskip(SKIP_1) | instid1(VALU_DEP_1)
	v_lshlrev_b64_e32 v[13:14], 2, v[13:14]
	s_mov_b32 s0, exec_lo
	v_add_co_u32 v13, vcc_lo, s10, v13
	s_wait_alu 0xfffd
	s_delay_alu instid0(VALU_DEP_2)
	v_add_co_ci_u32_e64 v14, null, s11, v14, vcc_lo
	s_wait_dscnt 0x5
	global_store_b32 v[13:14], v9, off
                                        ; implicit-def: $vgpr13_vgpr14
	v_cmpx_ge_u32_e64 v39, v16
	s_wait_alu 0xfffe
	s_xor_b32 s0, exec_lo, s0
; %bb.84:
	v_xor_b32_e32 v13, 0xfffffcff, v0
	s_delay_alu instid0(VALU_DEP_1) | instskip(SKIP_2) | instid1(VALU_DEP_2)
	v_ashrrev_i32_e32 v14, 31, v13
	v_add_co_u32 v13, vcc_lo, v19, v13
	s_wait_alu 0xfffd
	v_add_co_ci_u32_e64 v14, null, v20, v14, vcc_lo
; %bb.85:
	s_wait_alu 0xfffe
	s_and_not1_saveexec_b32 s0, s0
; %bb.86:
	v_add_co_u32 v13, vcc_lo, v15, v39
	s_wait_alu 0xfffd
	v_add_co_ci_u32_e64 v14, null, 0, v17, vcc_lo
; %bb.87:
	s_wait_alu 0xfffe
	s_or_b32 exec_lo, exec_lo, s0
	s_delay_alu instid0(VALU_DEP_1) | instskip(SKIP_1) | instid1(VALU_DEP_1)
	v_lshlrev_b64_e32 v[13:14], 2, v[13:14]
	s_mov_b32 s0, exec_lo
	v_add_co_u32 v13, vcc_lo, s10, v13
	s_wait_alu 0xfffd
	s_delay_alu instid0(VALU_DEP_2)
	v_add_co_ci_u32_e64 v14, null, s11, v14, vcc_lo
	global_store_b32 v[13:14], v10, off
                                        ; implicit-def: $vgpr13_vgpr14
	v_cmpx_ge_u32_e64 v38, v16
	s_wait_alu 0xfffe
	s_xor_b32 s0, exec_lo, s0
; %bb.88:
	v_xor_b32_e32 v13, 0xfffffbff, v0
	;; [unrolled: 59-line block ×6, first 2 shown]
	s_delay_alu instid0(VALU_DEP_1) | instskip(SKIP_2) | instid1(VALU_DEP_2)
	v_ashrrev_i32_e32 v14, 31, v13
	v_add_co_u32 v13, vcc_lo, v19, v13
	s_wait_alu 0xfffd
	v_add_co_ci_u32_e64 v14, null, v20, v14, vcc_lo
; %bb.121:
	s_wait_alu 0xfffe
	s_and_not1_saveexec_b32 s0, s0
; %bb.122:
	v_add_co_u32 v13, vcc_lo, v15, v30
	s_wait_alu 0xfffd
	v_add_co_ci_u32_e64 v14, null, 0, v17, vcc_lo
; %bb.123:
	s_wait_alu 0xfffe
	s_or_b32 exec_lo, exec_lo, s0
	s_mov_b32 s0, -1
	s_branch .LBB2022_204
.LBB2022_124:
	s_mov_b32 s0, 0
                                        ; implicit-def: $vgpr13_vgpr14
	s_cbranch_execz .LBB2022_204
; %bb.125:
	s_mov_b32 s17, 0
	s_delay_alu instid0(SALU_CYCLE_1)
	s_add_nc_u64 s[2:3], s[12:13], s[16:17]
	s_wait_alu 0xfffe
	s_sub_nc_u64 s[2:3], s[14:15], s[2:3]
	s_wait_alu 0xfffe
	v_add_co_u32 v13, s1, s2, v16
	s_wait_alu 0xf1ff
	v_add_co_ci_u32_e64 v14, null, s3, 0, s1
	s_mov_b32 s1, exec_lo
	v_add_co_u32 v19, vcc_lo, v13, v15
	s_wait_alu 0xfffd
	v_add_co_ci_u32_e64 v20, null, v14, v17, vcc_lo
	v_cmpx_gt_u32_e64 s23, v0
	s_cbranch_execz .LBB2022_161
; %bb.126:
	s_mov_b32 s2, exec_lo
                                        ; implicit-def: $vgpr13_vgpr14
	v_cmpx_ge_u32_e64 v0, v16
	s_wait_alu 0xfffe
	s_xor_b32 s2, exec_lo, s2
; %bb.127:
	v_not_b32_e32 v13, v0
	s_delay_alu instid0(VALU_DEP_1) | instskip(SKIP_2) | instid1(VALU_DEP_2)
	v_ashrrev_i32_e32 v14, 31, v13
	v_add_co_u32 v13, vcc_lo, v19, v13
	s_wait_alu 0xfffd
	v_add_co_ci_u32_e64 v14, null, v20, v14, vcc_lo
; %bb.128:
	s_wait_alu 0xfffe
	s_and_not1_saveexec_b32 s2, s2
; %bb.129:
	v_add_co_u32 v13, vcc_lo, v15, v0
	s_wait_alu 0xfffd
	v_add_co_ci_u32_e64 v14, null, 0, v17, vcc_lo
; %bb.130:
	s_wait_alu 0xfffe
	s_or_b32 exec_lo, exec_lo, s2
	s_delay_alu instid0(VALU_DEP_1) | instskip(NEXT) | instid1(VALU_DEP_1)
	v_lshlrev_b64_e32 v[13:14], 2, v[13:14]
	v_add_co_u32 v13, vcc_lo, s10, v13
	s_wait_alu 0xfffd
	s_delay_alu instid0(VALU_DEP_2) | instskip(SKIP_3) | instid1(SALU_CYCLE_1)
	v_add_co_ci_u32_e64 v14, null, s11, v14, vcc_lo
	s_wait_dscnt 0x6
	global_store_b32 v[13:14], v11, off
	s_or_b32 exec_lo, exec_lo, s1
	s_mov_b32 s1, exec_lo
	v_cmpx_gt_u32_e64 s23, v41
	s_cbranch_execnz .LBB2022_162
.LBB2022_131:
	s_wait_alu 0xfffe
	s_or_b32 exec_lo, exec_lo, s1
	s_delay_alu instid0(SALU_CYCLE_1)
	s_mov_b32 s1, exec_lo
	v_cmpx_gt_u32_e64 s23, v40
	s_cbranch_execz .LBB2022_167
.LBB2022_132:
	s_mov_b32 s2, exec_lo
                                        ; implicit-def: $vgpr11_vgpr12
	v_cmpx_ge_u32_e64 v40, v16
	s_wait_alu 0xfffe
	s_xor_b32 s2, exec_lo, s2
	s_cbranch_execz .LBB2022_134
; %bb.133:
	s_wait_dscnt 0x6
	v_xor_b32_e32 v11, 0xfffffdff, v0
                                        ; implicit-def: $vgpr40
	s_delay_alu instid0(VALU_DEP_1) | instskip(SKIP_2) | instid1(VALU_DEP_2)
	v_ashrrev_i32_e32 v12, 31, v11
	v_add_co_u32 v11, vcc_lo, v19, v11
	s_wait_alu 0xfffd
	v_add_co_ci_u32_e64 v12, null, v20, v12, vcc_lo
.LBB2022_134:
	s_wait_alu 0xfffe
	s_and_not1_saveexec_b32 s2, s2
	s_cbranch_execz .LBB2022_136
; %bb.135:
	s_wait_dscnt 0x6
	v_add_co_u32 v11, vcc_lo, v15, v40
	s_wait_alu 0xfffd
	v_add_co_ci_u32_e64 v12, null, 0, v17, vcc_lo
.LBB2022_136:
	s_wait_alu 0xfffe
	s_or_b32 exec_lo, exec_lo, s2
	s_wait_dscnt 0x6
	s_delay_alu instid0(VALU_DEP_1) | instskip(NEXT) | instid1(VALU_DEP_1)
	v_lshlrev_b64_e32 v[11:12], 2, v[11:12]
	v_add_co_u32 v11, vcc_lo, s10, v11
	s_wait_alu 0xfffd
	s_delay_alu instid0(VALU_DEP_2) | instskip(SKIP_3) | instid1(SALU_CYCLE_1)
	v_add_co_ci_u32_e64 v12, null, s11, v12, vcc_lo
	s_wait_dscnt 0x5
	global_store_b32 v[11:12], v9, off
	s_or_b32 exec_lo, exec_lo, s1
	s_mov_b32 s1, exec_lo
	v_cmpx_gt_u32_e64 s23, v39
	s_cbranch_execnz .LBB2022_168
.LBB2022_137:
	s_wait_alu 0xfffe
	s_or_b32 exec_lo, exec_lo, s1
	s_delay_alu instid0(SALU_CYCLE_1)
	s_mov_b32 s1, exec_lo
	v_cmpx_gt_u32_e64 s23, v38
	s_cbranch_execz .LBB2022_173
.LBB2022_138:
	s_mov_b32 s2, exec_lo
                                        ; implicit-def: $vgpr9_vgpr10
	v_cmpx_ge_u32_e64 v38, v16
	s_wait_alu 0xfffe
	s_xor_b32 s2, exec_lo, s2
	s_cbranch_execz .LBB2022_140
; %bb.139:
	s_wait_dscnt 0x5
	v_xor_b32_e32 v9, 0xfffffbff, v0
                                        ; implicit-def: $vgpr38
	s_delay_alu instid0(VALU_DEP_1) | instskip(SKIP_2) | instid1(VALU_DEP_2)
	v_ashrrev_i32_e32 v10, 31, v9
	v_add_co_u32 v9, vcc_lo, v19, v9
	s_wait_alu 0xfffd
	v_add_co_ci_u32_e64 v10, null, v20, v10, vcc_lo
.LBB2022_140:
	s_wait_alu 0xfffe
	s_and_not1_saveexec_b32 s2, s2
	s_cbranch_execz .LBB2022_142
; %bb.141:
	s_wait_dscnt 0x5
	v_add_co_u32 v9, vcc_lo, v15, v38
	s_wait_alu 0xfffd
	v_add_co_ci_u32_e64 v10, null, 0, v17, vcc_lo
.LBB2022_142:
	s_wait_alu 0xfffe
	s_or_b32 exec_lo, exec_lo, s2
	s_wait_dscnt 0x5
	s_delay_alu instid0(VALU_DEP_1) | instskip(NEXT) | instid1(VALU_DEP_1)
	v_lshlrev_b64_e32 v[9:10], 2, v[9:10]
	v_add_co_u32 v9, vcc_lo, s10, v9
	s_wait_alu 0xfffd
	s_delay_alu instid0(VALU_DEP_2) | instskip(SKIP_3) | instid1(SALU_CYCLE_1)
	v_add_co_ci_u32_e64 v10, null, s11, v10, vcc_lo
	s_wait_dscnt 0x4
	global_store_b32 v[9:10], v7, off
	s_or_b32 exec_lo, exec_lo, s1
	s_mov_b32 s1, exec_lo
	v_cmpx_gt_u32_e64 s23, v37
	s_cbranch_execnz .LBB2022_174
.LBB2022_143:
	s_wait_alu 0xfffe
	s_or_b32 exec_lo, exec_lo, s1
	s_delay_alu instid0(SALU_CYCLE_1)
	s_mov_b32 s1, exec_lo
	v_cmpx_gt_u32_e64 s23, v36
	s_cbranch_execz .LBB2022_179
.LBB2022_144:
	s_mov_b32 s2, exec_lo
                                        ; implicit-def: $vgpr7_vgpr8
	v_cmpx_ge_u32_e64 v36, v16
	s_wait_alu 0xfffe
	s_xor_b32 s2, exec_lo, s2
	s_cbranch_execz .LBB2022_146
; %bb.145:
	s_wait_dscnt 0x4
	v_xor_b32_e32 v7, 0xfffff9ff, v0
                                        ; implicit-def: $vgpr36
	s_delay_alu instid0(VALU_DEP_1) | instskip(SKIP_2) | instid1(VALU_DEP_2)
	v_ashrrev_i32_e32 v8, 31, v7
	v_add_co_u32 v7, vcc_lo, v19, v7
	s_wait_alu 0xfffd
	v_add_co_ci_u32_e64 v8, null, v20, v8, vcc_lo
.LBB2022_146:
	s_wait_alu 0xfffe
	s_and_not1_saveexec_b32 s2, s2
	s_cbranch_execz .LBB2022_148
; %bb.147:
	s_wait_dscnt 0x4
	v_add_co_u32 v7, vcc_lo, v15, v36
	s_wait_alu 0xfffd
	v_add_co_ci_u32_e64 v8, null, 0, v17, vcc_lo
.LBB2022_148:
	s_wait_alu 0xfffe
	s_or_b32 exec_lo, exec_lo, s2
	s_wait_dscnt 0x4
	s_delay_alu instid0(VALU_DEP_1) | instskip(NEXT) | instid1(VALU_DEP_1)
	v_lshlrev_b64_e32 v[7:8], 2, v[7:8]
	v_add_co_u32 v7, vcc_lo, s10, v7
	s_wait_alu 0xfffd
	s_delay_alu instid0(VALU_DEP_2) | instskip(SKIP_3) | instid1(SALU_CYCLE_1)
	v_add_co_ci_u32_e64 v8, null, s11, v8, vcc_lo
	s_wait_dscnt 0x3
	global_store_b32 v[7:8], v5, off
	s_or_b32 exec_lo, exec_lo, s1
	s_mov_b32 s1, exec_lo
	v_cmpx_gt_u32_e64 s23, v35
	s_cbranch_execnz .LBB2022_180
.LBB2022_149:
	s_wait_alu 0xfffe
	s_or_b32 exec_lo, exec_lo, s1
	s_delay_alu instid0(SALU_CYCLE_1)
	s_mov_b32 s1, exec_lo
	v_cmpx_gt_u32_e64 s23, v34
	s_cbranch_execz .LBB2022_185
.LBB2022_150:
	s_mov_b32 s2, exec_lo
                                        ; implicit-def: $vgpr5_vgpr6
	v_cmpx_ge_u32_e64 v34, v16
	s_wait_alu 0xfffe
	s_xor_b32 s2, exec_lo, s2
	s_cbranch_execz .LBB2022_152
; %bb.151:
	s_wait_dscnt 0x3
	v_xor_b32_e32 v5, 0xfffff7ff, v0
                                        ; implicit-def: $vgpr34
	s_delay_alu instid0(VALU_DEP_1) | instskip(SKIP_2) | instid1(VALU_DEP_2)
	v_ashrrev_i32_e32 v6, 31, v5
	v_add_co_u32 v5, vcc_lo, v19, v5
	s_wait_alu 0xfffd
	v_add_co_ci_u32_e64 v6, null, v20, v6, vcc_lo
.LBB2022_152:
	s_wait_alu 0xfffe
	s_and_not1_saveexec_b32 s2, s2
	s_cbranch_execz .LBB2022_154
; %bb.153:
	s_wait_dscnt 0x3
	v_add_co_u32 v5, vcc_lo, v15, v34
	s_wait_alu 0xfffd
	v_add_co_ci_u32_e64 v6, null, 0, v17, vcc_lo
.LBB2022_154:
	s_wait_alu 0xfffe
	s_or_b32 exec_lo, exec_lo, s2
	s_wait_dscnt 0x3
	s_delay_alu instid0(VALU_DEP_1) | instskip(NEXT) | instid1(VALU_DEP_1)
	v_lshlrev_b64_e32 v[5:6], 2, v[5:6]
	v_add_co_u32 v5, vcc_lo, s10, v5
	s_wait_alu 0xfffd
	s_delay_alu instid0(VALU_DEP_2) | instskip(SKIP_3) | instid1(SALU_CYCLE_1)
	v_add_co_ci_u32_e64 v6, null, s11, v6, vcc_lo
	s_wait_dscnt 0x2
	global_store_b32 v[5:6], v3, off
	s_or_b32 exec_lo, exec_lo, s1
	s_mov_b32 s1, exec_lo
	v_cmpx_gt_u32_e64 s23, v33
	s_cbranch_execnz .LBB2022_186
.LBB2022_155:
	s_wait_alu 0xfffe
	s_or_b32 exec_lo, exec_lo, s1
	s_delay_alu instid0(SALU_CYCLE_1)
	s_mov_b32 s1, exec_lo
	v_cmpx_gt_u32_e64 s23, v32
	s_cbranch_execz .LBB2022_191
.LBB2022_156:
	s_mov_b32 s2, exec_lo
                                        ; implicit-def: $vgpr3_vgpr4
	v_cmpx_ge_u32_e64 v32, v16
	s_wait_alu 0xfffe
	s_xor_b32 s2, exec_lo, s2
	s_cbranch_execz .LBB2022_158
; %bb.157:
	s_wait_dscnt 0x2
	v_xor_b32_e32 v3, 0xfffff5ff, v0
                                        ; implicit-def: $vgpr32
	s_delay_alu instid0(VALU_DEP_1) | instskip(SKIP_2) | instid1(VALU_DEP_2)
	v_ashrrev_i32_e32 v4, 31, v3
	v_add_co_u32 v3, vcc_lo, v19, v3
	s_wait_alu 0xfffd
	v_add_co_ci_u32_e64 v4, null, v20, v4, vcc_lo
.LBB2022_158:
	s_wait_alu 0xfffe
	s_and_not1_saveexec_b32 s2, s2
	s_cbranch_execz .LBB2022_160
; %bb.159:
	s_wait_dscnt 0x2
	v_add_co_u32 v3, vcc_lo, v15, v32
	s_wait_alu 0xfffd
	v_add_co_ci_u32_e64 v4, null, 0, v17, vcc_lo
.LBB2022_160:
	s_wait_alu 0xfffe
	s_or_b32 exec_lo, exec_lo, s2
	s_wait_dscnt 0x2
	s_delay_alu instid0(VALU_DEP_1) | instskip(NEXT) | instid1(VALU_DEP_1)
	v_lshlrev_b64_e32 v[3:4], 2, v[3:4]
	v_add_co_u32 v3, vcc_lo, s10, v3
	s_wait_alu 0xfffd
	s_delay_alu instid0(VALU_DEP_2) | instskip(SKIP_3) | instid1(SALU_CYCLE_1)
	v_add_co_ci_u32_e64 v4, null, s11, v4, vcc_lo
	s_wait_dscnt 0x1
	global_store_b32 v[3:4], v1, off
	s_or_b32 exec_lo, exec_lo, s1
	s_mov_b32 s1, exec_lo
	v_cmpx_gt_u32_e64 s23, v31
	s_cbranch_execz .LBB2022_197
	s_branch .LBB2022_192
.LBB2022_161:
	s_wait_alu 0xfffe
	s_or_b32 exec_lo, exec_lo, s1
	s_delay_alu instid0(SALU_CYCLE_1)
	s_mov_b32 s1, exec_lo
	v_cmpx_gt_u32_e64 s23, v41
	s_cbranch_execz .LBB2022_131
.LBB2022_162:
	s_mov_b32 s2, exec_lo
                                        ; implicit-def: $vgpr13_vgpr14
	v_cmpx_ge_u32_e64 v41, v16
	s_wait_alu 0xfffe
	s_xor_b32 s2, exec_lo, s2
	s_cbranch_execz .LBB2022_164
; %bb.163:
	s_wait_dscnt 0x6
	v_xor_b32_e32 v11, 0xfffffeff, v0
                                        ; implicit-def: $vgpr41
	s_delay_alu instid0(VALU_DEP_1) | instskip(SKIP_2) | instid1(VALU_DEP_2)
	v_ashrrev_i32_e32 v14, 31, v11
	v_add_co_u32 v13, vcc_lo, v19, v11
	s_wait_alu 0xfffd
	v_add_co_ci_u32_e64 v14, null, v20, v14, vcc_lo
.LBB2022_164:
	s_wait_alu 0xfffe
	s_and_not1_saveexec_b32 s2, s2
; %bb.165:
	v_add_co_u32 v13, vcc_lo, v15, v41
	s_wait_alu 0xfffd
	v_add_co_ci_u32_e64 v14, null, 0, v17, vcc_lo
; %bb.166:
	s_wait_alu 0xfffe
	s_or_b32 exec_lo, exec_lo, s2
	s_delay_alu instid0(VALU_DEP_1) | instskip(NEXT) | instid1(VALU_DEP_1)
	v_lshlrev_b64_e32 v[13:14], 2, v[13:14]
	v_add_co_u32 v13, vcc_lo, s10, v13
	s_wait_alu 0xfffd
	s_delay_alu instid0(VALU_DEP_2) | instskip(SKIP_3) | instid1(SALU_CYCLE_1)
	v_add_co_ci_u32_e64 v14, null, s11, v14, vcc_lo
	s_wait_dscnt 0x6
	global_store_b32 v[13:14], v12, off
	s_or_b32 exec_lo, exec_lo, s1
	s_mov_b32 s1, exec_lo
	v_cmpx_gt_u32_e64 s23, v40
	s_cbranch_execnz .LBB2022_132
.LBB2022_167:
	s_wait_alu 0xfffe
	s_or_b32 exec_lo, exec_lo, s1
	s_delay_alu instid0(SALU_CYCLE_1)
	s_mov_b32 s1, exec_lo
	v_cmpx_gt_u32_e64 s23, v39
	s_cbranch_execz .LBB2022_137
.LBB2022_168:
	s_mov_b32 s2, exec_lo
                                        ; implicit-def: $vgpr11_vgpr12
	v_cmpx_ge_u32_e64 v39, v16
	s_wait_alu 0xfffe
	s_xor_b32 s2, exec_lo, s2
	s_cbranch_execz .LBB2022_170
; %bb.169:
	s_wait_dscnt 0x5
	v_xor_b32_e32 v9, 0xfffffcff, v0
                                        ; implicit-def: $vgpr39
	s_delay_alu instid0(VALU_DEP_1) | instskip(SKIP_2) | instid1(VALU_DEP_2)
	v_ashrrev_i32_e32 v12, 31, v9
	v_add_co_u32 v11, vcc_lo, v19, v9
	s_wait_alu 0xfffd
	v_add_co_ci_u32_e64 v12, null, v20, v12, vcc_lo
.LBB2022_170:
	s_wait_alu 0xfffe
	s_and_not1_saveexec_b32 s2, s2
	s_cbranch_execz .LBB2022_172
; %bb.171:
	s_wait_dscnt 0x6
	v_add_co_u32 v11, vcc_lo, v15, v39
	s_wait_alu 0xfffd
	v_add_co_ci_u32_e64 v12, null, 0, v17, vcc_lo
.LBB2022_172:
	s_wait_alu 0xfffe
	s_or_b32 exec_lo, exec_lo, s2
	s_wait_dscnt 0x6
	s_delay_alu instid0(VALU_DEP_1) | instskip(NEXT) | instid1(VALU_DEP_1)
	v_lshlrev_b64_e32 v[11:12], 2, v[11:12]
	v_add_co_u32 v11, vcc_lo, s10, v11
	s_wait_alu 0xfffd
	s_delay_alu instid0(VALU_DEP_2) | instskip(SKIP_3) | instid1(SALU_CYCLE_1)
	v_add_co_ci_u32_e64 v12, null, s11, v12, vcc_lo
	s_wait_dscnt 0x5
	global_store_b32 v[11:12], v10, off
	s_or_b32 exec_lo, exec_lo, s1
	s_mov_b32 s1, exec_lo
	v_cmpx_gt_u32_e64 s23, v38
	s_cbranch_execnz .LBB2022_138
.LBB2022_173:
	s_wait_alu 0xfffe
	s_or_b32 exec_lo, exec_lo, s1
	s_delay_alu instid0(SALU_CYCLE_1)
	s_mov_b32 s1, exec_lo
	v_cmpx_gt_u32_e64 s23, v37
	s_cbranch_execz .LBB2022_143
.LBB2022_174:
	s_mov_b32 s2, exec_lo
                                        ; implicit-def: $vgpr9_vgpr10
	v_cmpx_ge_u32_e64 v37, v16
	s_wait_alu 0xfffe
	s_xor_b32 s2, exec_lo, s2
	s_cbranch_execz .LBB2022_176
; %bb.175:
	s_wait_dscnt 0x4
	v_xor_b32_e32 v7, 0xfffffaff, v0
                                        ; implicit-def: $vgpr37
	s_delay_alu instid0(VALU_DEP_1) | instskip(SKIP_2) | instid1(VALU_DEP_2)
	v_ashrrev_i32_e32 v10, 31, v7
	v_add_co_u32 v9, vcc_lo, v19, v7
	s_wait_alu 0xfffd
	v_add_co_ci_u32_e64 v10, null, v20, v10, vcc_lo
.LBB2022_176:
	s_wait_alu 0xfffe
	s_and_not1_saveexec_b32 s2, s2
	s_cbranch_execz .LBB2022_178
; %bb.177:
	s_wait_dscnt 0x5
	v_add_co_u32 v9, vcc_lo, v15, v37
	s_wait_alu 0xfffd
	v_add_co_ci_u32_e64 v10, null, 0, v17, vcc_lo
.LBB2022_178:
	s_wait_alu 0xfffe
	s_or_b32 exec_lo, exec_lo, s2
	s_wait_dscnt 0x5
	s_delay_alu instid0(VALU_DEP_1) | instskip(NEXT) | instid1(VALU_DEP_1)
	v_lshlrev_b64_e32 v[9:10], 2, v[9:10]
	v_add_co_u32 v9, vcc_lo, s10, v9
	s_wait_alu 0xfffd
	s_delay_alu instid0(VALU_DEP_2) | instskip(SKIP_3) | instid1(SALU_CYCLE_1)
	v_add_co_ci_u32_e64 v10, null, s11, v10, vcc_lo
	s_wait_dscnt 0x4
	global_store_b32 v[9:10], v8, off
	s_or_b32 exec_lo, exec_lo, s1
	s_mov_b32 s1, exec_lo
	v_cmpx_gt_u32_e64 s23, v36
	s_cbranch_execnz .LBB2022_144
.LBB2022_179:
	s_wait_alu 0xfffe
	s_or_b32 exec_lo, exec_lo, s1
	s_delay_alu instid0(SALU_CYCLE_1)
	s_mov_b32 s1, exec_lo
	v_cmpx_gt_u32_e64 s23, v35
	s_cbranch_execz .LBB2022_149
.LBB2022_180:
	s_mov_b32 s2, exec_lo
                                        ; implicit-def: $vgpr7_vgpr8
	v_cmpx_ge_u32_e64 v35, v16
	s_wait_alu 0xfffe
	s_xor_b32 s2, exec_lo, s2
	s_cbranch_execz .LBB2022_182
; %bb.181:
	s_wait_dscnt 0x3
	v_xor_b32_e32 v5, 0xfffff8ff, v0
                                        ; implicit-def: $vgpr35
	s_delay_alu instid0(VALU_DEP_1) | instskip(SKIP_2) | instid1(VALU_DEP_2)
	v_ashrrev_i32_e32 v8, 31, v5
	v_add_co_u32 v7, vcc_lo, v19, v5
	s_wait_alu 0xfffd
	v_add_co_ci_u32_e64 v8, null, v20, v8, vcc_lo
.LBB2022_182:
	s_wait_alu 0xfffe
	s_and_not1_saveexec_b32 s2, s2
	s_cbranch_execz .LBB2022_184
; %bb.183:
	s_wait_dscnt 0x4
	v_add_co_u32 v7, vcc_lo, v15, v35
	s_wait_alu 0xfffd
	v_add_co_ci_u32_e64 v8, null, 0, v17, vcc_lo
.LBB2022_184:
	s_wait_alu 0xfffe
	s_or_b32 exec_lo, exec_lo, s2
	s_wait_dscnt 0x4
	s_delay_alu instid0(VALU_DEP_1) | instskip(NEXT) | instid1(VALU_DEP_1)
	v_lshlrev_b64_e32 v[7:8], 2, v[7:8]
	v_add_co_u32 v7, vcc_lo, s10, v7
	s_wait_alu 0xfffd
	s_delay_alu instid0(VALU_DEP_2) | instskip(SKIP_3) | instid1(SALU_CYCLE_1)
	v_add_co_ci_u32_e64 v8, null, s11, v8, vcc_lo
	s_wait_dscnt 0x3
	global_store_b32 v[7:8], v6, off
	s_or_b32 exec_lo, exec_lo, s1
	s_mov_b32 s1, exec_lo
	v_cmpx_gt_u32_e64 s23, v34
	s_cbranch_execnz .LBB2022_150
.LBB2022_185:
	s_wait_alu 0xfffe
	s_or_b32 exec_lo, exec_lo, s1
	s_delay_alu instid0(SALU_CYCLE_1)
	s_mov_b32 s1, exec_lo
	v_cmpx_gt_u32_e64 s23, v33
	s_cbranch_execz .LBB2022_155
.LBB2022_186:
	s_mov_b32 s2, exec_lo
                                        ; implicit-def: $vgpr5_vgpr6
	v_cmpx_ge_u32_e64 v33, v16
	s_wait_alu 0xfffe
	s_xor_b32 s2, exec_lo, s2
	s_cbranch_execz .LBB2022_188
; %bb.187:
	s_wait_dscnt 0x2
	v_xor_b32_e32 v3, 0xfffff6ff, v0
                                        ; implicit-def: $vgpr33
	s_delay_alu instid0(VALU_DEP_1) | instskip(SKIP_2) | instid1(VALU_DEP_2)
	v_ashrrev_i32_e32 v6, 31, v3
	v_add_co_u32 v5, vcc_lo, v19, v3
	s_wait_alu 0xfffd
	v_add_co_ci_u32_e64 v6, null, v20, v6, vcc_lo
.LBB2022_188:
	s_wait_alu 0xfffe
	s_and_not1_saveexec_b32 s2, s2
	s_cbranch_execz .LBB2022_190
; %bb.189:
	s_wait_dscnt 0x3
	v_add_co_u32 v5, vcc_lo, v15, v33
	s_wait_alu 0xfffd
	v_add_co_ci_u32_e64 v6, null, 0, v17, vcc_lo
.LBB2022_190:
	s_wait_alu 0xfffe
	s_or_b32 exec_lo, exec_lo, s2
	s_wait_dscnt 0x3
	s_delay_alu instid0(VALU_DEP_1) | instskip(NEXT) | instid1(VALU_DEP_1)
	v_lshlrev_b64_e32 v[5:6], 2, v[5:6]
	v_add_co_u32 v5, vcc_lo, s10, v5
	s_wait_alu 0xfffd
	s_delay_alu instid0(VALU_DEP_2) | instskip(SKIP_3) | instid1(SALU_CYCLE_1)
	v_add_co_ci_u32_e64 v6, null, s11, v6, vcc_lo
	s_wait_dscnt 0x2
	global_store_b32 v[5:6], v4, off
	s_or_b32 exec_lo, exec_lo, s1
	s_mov_b32 s1, exec_lo
	v_cmpx_gt_u32_e64 s23, v32
	s_cbranch_execnz .LBB2022_156
.LBB2022_191:
	s_wait_alu 0xfffe
	s_or_b32 exec_lo, exec_lo, s1
	s_delay_alu instid0(SALU_CYCLE_1)
	s_mov_b32 s1, exec_lo
	v_cmpx_gt_u32_e64 s23, v31
	s_cbranch_execz .LBB2022_197
.LBB2022_192:
	s_mov_b32 s2, exec_lo
                                        ; implicit-def: $vgpr3_vgpr4
	v_cmpx_ge_u32_e64 v31, v16
	s_wait_alu 0xfffe
	s_xor_b32 s2, exec_lo, s2
	s_cbranch_execz .LBB2022_194
; %bb.193:
	s_wait_dscnt 0x1
	v_xor_b32_e32 v1, 0xfffff4ff, v0
                                        ; implicit-def: $vgpr31
	s_delay_alu instid0(VALU_DEP_1) | instskip(SKIP_2) | instid1(VALU_DEP_2)
	v_ashrrev_i32_e32 v4, 31, v1
	v_add_co_u32 v3, vcc_lo, v19, v1
	s_wait_alu 0xfffd
	v_add_co_ci_u32_e64 v4, null, v20, v4, vcc_lo
.LBB2022_194:
	s_wait_alu 0xfffe
	s_and_not1_saveexec_b32 s2, s2
	s_cbranch_execz .LBB2022_196
; %bb.195:
	s_wait_dscnt 0x2
	v_add_co_u32 v3, vcc_lo, v15, v31
	s_wait_alu 0xfffd
	v_add_co_ci_u32_e64 v4, null, 0, v17, vcc_lo
.LBB2022_196:
	s_wait_alu 0xfffe
	s_or_b32 exec_lo, exec_lo, s2
	s_wait_dscnt 0x2
	s_delay_alu instid0(VALU_DEP_1) | instskip(NEXT) | instid1(VALU_DEP_1)
	v_lshlrev_b64_e32 v[3:4], 2, v[3:4]
	v_add_co_u32 v3, vcc_lo, s10, v3
	s_wait_alu 0xfffd
	s_delay_alu instid0(VALU_DEP_2)
	v_add_co_ci_u32_e64 v4, null, s11, v4, vcc_lo
	s_wait_dscnt 0x1
	global_store_b32 v[3:4], v2, off
.LBB2022_197:
	s_wait_alu 0xfffe
	s_or_b32 exec_lo, exec_lo, s1
	s_delay_alu instid0(SALU_CYCLE_1)
	s_mov_b32 s1, exec_lo
                                        ; implicit-def: $vgpr13_vgpr14
	v_cmpx_gt_u32_e64 s23, v30
	s_cbranch_execz .LBB2022_203
; %bb.198:
	s_mov_b32 s2, exec_lo
                                        ; implicit-def: $vgpr13_vgpr14
	v_cmpx_ge_u32_e64 v30, v16
	s_wait_alu 0xfffe
	s_xor_b32 s2, exec_lo, s2
	s_cbranch_execz .LBB2022_200
; %bb.199:
	s_wait_dscnt 0x1
	v_xor_b32_e32 v1, 0xfffff3ff, v0
                                        ; implicit-def: $vgpr30
	s_delay_alu instid0(VALU_DEP_1) | instskip(SKIP_2) | instid1(VALU_DEP_2)
	v_ashrrev_i32_e32 v2, 31, v1
	v_add_co_u32 v13, vcc_lo, v19, v1
	s_wait_alu 0xfffd
	v_add_co_ci_u32_e64 v14, null, v20, v2, vcc_lo
.LBB2022_200:
	s_wait_alu 0xfffe
	s_and_not1_saveexec_b32 s2, s2
; %bb.201:
	v_add_co_u32 v13, vcc_lo, v15, v30
	s_wait_alu 0xfffd
	v_add_co_ci_u32_e64 v14, null, 0, v17, vcc_lo
; %bb.202:
	s_wait_alu 0xfffe
	s_or_b32 exec_lo, exec_lo, s2
	s_delay_alu instid0(SALU_CYCLE_1)
	s_or_b32 s0, s0, exec_lo
.LBB2022_203:
	s_wait_alu 0xfffe
	s_or_b32 exec_lo, exec_lo, s1
.LBB2022_204:
	s_wait_alu 0xfffe
	s_and_saveexec_b32 s1, s0
	s_cbranch_execz .LBB2022_206
; %bb.205:
	s_wait_dscnt 0x1
	v_lshlrev_b64_e32 v[1:2], 2, v[13:14]
	s_delay_alu instid0(VALU_DEP_1) | instskip(SKIP_1) | instid1(VALU_DEP_2)
	v_add_co_u32 v1, vcc_lo, s10, v1
	s_wait_alu 0xfffd
	v_add_co_ci_u32_e64 v2, null, s11, v2, vcc_lo
	s_wait_dscnt 0x0
	global_store_b32 v[1:2], v18, off
.LBB2022_206:
	s_wait_alu 0xfffe
	s_or_b32 exec_lo, exec_lo, s1
	v_cmp_eq_u32_e32 vcc_lo, 0, v0
	s_and_b32 s0, vcc_lo, s22
	s_wait_alu 0xfffe
	s_and_saveexec_b32 s1, s0
	s_cbranch_execz .LBB2022_208
; %bb.207:
	v_add_co_u32 v0, vcc_lo, v15, v16
	s_wait_dscnt 0x1
	v_mov_b32_e32 v2, 0
	s_wait_alu 0xfffd
	v_add_co_ci_u32_e64 v1, null, 0, v17, vcc_lo
	global_store_b64 v2, v[0:1], s[8:9]
.LBB2022_208:
	s_endpgm
	.section	.rodata,"a",@progbits
	.p2align	6, 0x0
	.amdhsa_kernel _ZN7rocprim17ROCPRIM_400000_NS6detail17trampoline_kernelINS0_13select_configILj256ELj13ELNS0_17block_load_methodE3ELS4_3ELS4_3ELNS0_20block_scan_algorithmE0ELj4294967295EEENS1_25partition_config_selectorILNS1_17partition_subalgoE3EjNS0_10empty_typeEbEEZZNS1_14partition_implILS8_3ELb0ES6_jNS0_17counting_iteratorIjlEEPS9_SE_NS0_5tupleIJPjSE_EEENSF_IJSE_SE_EEES9_SG_JZNS1_25segmented_radix_sort_implINS0_14default_configELb0EPK12hip_bfloat16PSL_PKlPlN2at6native12_GLOBAL__N_18offset_tEEE10hipError_tPvRmT1_PNSt15iterator_traitsISZ_E10value_typeET2_T3_PNS10_IS15_E10value_typeET4_jRbjT5_S1B_jjP12ihipStream_tbEUljE_EEESW_SX_SY_S15_S19_S1B_T6_T7_T9_mT8_S1D_bDpT10_ENKUlT_T0_E_clISt17integral_constantIbLb0EES1Q_EEDaS1L_S1M_EUlS1L_E_NS1_11comp_targetILNS1_3genE10ELNS1_11target_archE1200ELNS1_3gpuE4ELNS1_3repE0EEENS1_30default_config_static_selectorELNS0_4arch9wavefront6targetE0EEEvSZ_
		.amdhsa_group_segment_fixed_size 13320
		.amdhsa_private_segment_fixed_size 0
		.amdhsa_kernarg_size 144
		.amdhsa_user_sgpr_count 2
		.amdhsa_user_sgpr_dispatch_ptr 0
		.amdhsa_user_sgpr_queue_ptr 0
		.amdhsa_user_sgpr_kernarg_segment_ptr 1
		.amdhsa_user_sgpr_dispatch_id 0
		.amdhsa_user_sgpr_private_segment_size 0
		.amdhsa_wavefront_size32 1
		.amdhsa_uses_dynamic_stack 0
		.amdhsa_enable_private_segment 0
		.amdhsa_system_sgpr_workgroup_id_x 1
		.amdhsa_system_sgpr_workgroup_id_y 0
		.amdhsa_system_sgpr_workgroup_id_z 0
		.amdhsa_system_sgpr_workgroup_info 0
		.amdhsa_system_vgpr_workitem_id 0
		.amdhsa_next_free_vgpr 69
		.amdhsa_next_free_sgpr 26
		.amdhsa_reserve_vcc 1
		.amdhsa_float_round_mode_32 0
		.amdhsa_float_round_mode_16_64 0
		.amdhsa_float_denorm_mode_32 3
		.amdhsa_float_denorm_mode_16_64 3
		.amdhsa_fp16_overflow 0
		.amdhsa_workgroup_processor_mode 1
		.amdhsa_memory_ordered 1
		.amdhsa_forward_progress 1
		.amdhsa_inst_pref_size 84
		.amdhsa_round_robin_scheduling 0
		.amdhsa_exception_fp_ieee_invalid_op 0
		.amdhsa_exception_fp_denorm_src 0
		.amdhsa_exception_fp_ieee_div_zero 0
		.amdhsa_exception_fp_ieee_overflow 0
		.amdhsa_exception_fp_ieee_underflow 0
		.amdhsa_exception_fp_ieee_inexact 0
		.amdhsa_exception_int_div_zero 0
	.end_amdhsa_kernel
	.section	.text._ZN7rocprim17ROCPRIM_400000_NS6detail17trampoline_kernelINS0_13select_configILj256ELj13ELNS0_17block_load_methodE3ELS4_3ELS4_3ELNS0_20block_scan_algorithmE0ELj4294967295EEENS1_25partition_config_selectorILNS1_17partition_subalgoE3EjNS0_10empty_typeEbEEZZNS1_14partition_implILS8_3ELb0ES6_jNS0_17counting_iteratorIjlEEPS9_SE_NS0_5tupleIJPjSE_EEENSF_IJSE_SE_EEES9_SG_JZNS1_25segmented_radix_sort_implINS0_14default_configELb0EPK12hip_bfloat16PSL_PKlPlN2at6native12_GLOBAL__N_18offset_tEEE10hipError_tPvRmT1_PNSt15iterator_traitsISZ_E10value_typeET2_T3_PNS10_IS15_E10value_typeET4_jRbjT5_S1B_jjP12ihipStream_tbEUljE_EEESW_SX_SY_S15_S19_S1B_T6_T7_T9_mT8_S1D_bDpT10_ENKUlT_T0_E_clISt17integral_constantIbLb0EES1Q_EEDaS1L_S1M_EUlS1L_E_NS1_11comp_targetILNS1_3genE10ELNS1_11target_archE1200ELNS1_3gpuE4ELNS1_3repE0EEENS1_30default_config_static_selectorELNS0_4arch9wavefront6targetE0EEEvSZ_,"axG",@progbits,_ZN7rocprim17ROCPRIM_400000_NS6detail17trampoline_kernelINS0_13select_configILj256ELj13ELNS0_17block_load_methodE3ELS4_3ELS4_3ELNS0_20block_scan_algorithmE0ELj4294967295EEENS1_25partition_config_selectorILNS1_17partition_subalgoE3EjNS0_10empty_typeEbEEZZNS1_14partition_implILS8_3ELb0ES6_jNS0_17counting_iteratorIjlEEPS9_SE_NS0_5tupleIJPjSE_EEENSF_IJSE_SE_EEES9_SG_JZNS1_25segmented_radix_sort_implINS0_14default_configELb0EPK12hip_bfloat16PSL_PKlPlN2at6native12_GLOBAL__N_18offset_tEEE10hipError_tPvRmT1_PNSt15iterator_traitsISZ_E10value_typeET2_T3_PNS10_IS15_E10value_typeET4_jRbjT5_S1B_jjP12ihipStream_tbEUljE_EEESW_SX_SY_S15_S19_S1B_T6_T7_T9_mT8_S1D_bDpT10_ENKUlT_T0_E_clISt17integral_constantIbLb0EES1Q_EEDaS1L_S1M_EUlS1L_E_NS1_11comp_targetILNS1_3genE10ELNS1_11target_archE1200ELNS1_3gpuE4ELNS1_3repE0EEENS1_30default_config_static_selectorELNS0_4arch9wavefront6targetE0EEEvSZ_,comdat
.Lfunc_end2022:
	.size	_ZN7rocprim17ROCPRIM_400000_NS6detail17trampoline_kernelINS0_13select_configILj256ELj13ELNS0_17block_load_methodE3ELS4_3ELS4_3ELNS0_20block_scan_algorithmE0ELj4294967295EEENS1_25partition_config_selectorILNS1_17partition_subalgoE3EjNS0_10empty_typeEbEEZZNS1_14partition_implILS8_3ELb0ES6_jNS0_17counting_iteratorIjlEEPS9_SE_NS0_5tupleIJPjSE_EEENSF_IJSE_SE_EEES9_SG_JZNS1_25segmented_radix_sort_implINS0_14default_configELb0EPK12hip_bfloat16PSL_PKlPlN2at6native12_GLOBAL__N_18offset_tEEE10hipError_tPvRmT1_PNSt15iterator_traitsISZ_E10value_typeET2_T3_PNS10_IS15_E10value_typeET4_jRbjT5_S1B_jjP12ihipStream_tbEUljE_EEESW_SX_SY_S15_S19_S1B_T6_T7_T9_mT8_S1D_bDpT10_ENKUlT_T0_E_clISt17integral_constantIbLb0EES1Q_EEDaS1L_S1M_EUlS1L_E_NS1_11comp_targetILNS1_3genE10ELNS1_11target_archE1200ELNS1_3gpuE4ELNS1_3repE0EEENS1_30default_config_static_selectorELNS0_4arch9wavefront6targetE0EEEvSZ_, .Lfunc_end2022-_ZN7rocprim17ROCPRIM_400000_NS6detail17trampoline_kernelINS0_13select_configILj256ELj13ELNS0_17block_load_methodE3ELS4_3ELS4_3ELNS0_20block_scan_algorithmE0ELj4294967295EEENS1_25partition_config_selectorILNS1_17partition_subalgoE3EjNS0_10empty_typeEbEEZZNS1_14partition_implILS8_3ELb0ES6_jNS0_17counting_iteratorIjlEEPS9_SE_NS0_5tupleIJPjSE_EEENSF_IJSE_SE_EEES9_SG_JZNS1_25segmented_radix_sort_implINS0_14default_configELb0EPK12hip_bfloat16PSL_PKlPlN2at6native12_GLOBAL__N_18offset_tEEE10hipError_tPvRmT1_PNSt15iterator_traitsISZ_E10value_typeET2_T3_PNS10_IS15_E10value_typeET4_jRbjT5_S1B_jjP12ihipStream_tbEUljE_EEESW_SX_SY_S15_S19_S1B_T6_T7_T9_mT8_S1D_bDpT10_ENKUlT_T0_E_clISt17integral_constantIbLb0EES1Q_EEDaS1L_S1M_EUlS1L_E_NS1_11comp_targetILNS1_3genE10ELNS1_11target_archE1200ELNS1_3gpuE4ELNS1_3repE0EEENS1_30default_config_static_selectorELNS0_4arch9wavefront6targetE0EEEvSZ_
                                        ; -- End function
	.set _ZN7rocprim17ROCPRIM_400000_NS6detail17trampoline_kernelINS0_13select_configILj256ELj13ELNS0_17block_load_methodE3ELS4_3ELS4_3ELNS0_20block_scan_algorithmE0ELj4294967295EEENS1_25partition_config_selectorILNS1_17partition_subalgoE3EjNS0_10empty_typeEbEEZZNS1_14partition_implILS8_3ELb0ES6_jNS0_17counting_iteratorIjlEEPS9_SE_NS0_5tupleIJPjSE_EEENSF_IJSE_SE_EEES9_SG_JZNS1_25segmented_radix_sort_implINS0_14default_configELb0EPK12hip_bfloat16PSL_PKlPlN2at6native12_GLOBAL__N_18offset_tEEE10hipError_tPvRmT1_PNSt15iterator_traitsISZ_E10value_typeET2_T3_PNS10_IS15_E10value_typeET4_jRbjT5_S1B_jjP12ihipStream_tbEUljE_EEESW_SX_SY_S15_S19_S1B_T6_T7_T9_mT8_S1D_bDpT10_ENKUlT_T0_E_clISt17integral_constantIbLb0EES1Q_EEDaS1L_S1M_EUlS1L_E_NS1_11comp_targetILNS1_3genE10ELNS1_11target_archE1200ELNS1_3gpuE4ELNS1_3repE0EEENS1_30default_config_static_selectorELNS0_4arch9wavefront6targetE0EEEvSZ_.num_vgpr, 69
	.set _ZN7rocprim17ROCPRIM_400000_NS6detail17trampoline_kernelINS0_13select_configILj256ELj13ELNS0_17block_load_methodE3ELS4_3ELS4_3ELNS0_20block_scan_algorithmE0ELj4294967295EEENS1_25partition_config_selectorILNS1_17partition_subalgoE3EjNS0_10empty_typeEbEEZZNS1_14partition_implILS8_3ELb0ES6_jNS0_17counting_iteratorIjlEEPS9_SE_NS0_5tupleIJPjSE_EEENSF_IJSE_SE_EEES9_SG_JZNS1_25segmented_radix_sort_implINS0_14default_configELb0EPK12hip_bfloat16PSL_PKlPlN2at6native12_GLOBAL__N_18offset_tEEE10hipError_tPvRmT1_PNSt15iterator_traitsISZ_E10value_typeET2_T3_PNS10_IS15_E10value_typeET4_jRbjT5_S1B_jjP12ihipStream_tbEUljE_EEESW_SX_SY_S15_S19_S1B_T6_T7_T9_mT8_S1D_bDpT10_ENKUlT_T0_E_clISt17integral_constantIbLb0EES1Q_EEDaS1L_S1M_EUlS1L_E_NS1_11comp_targetILNS1_3genE10ELNS1_11target_archE1200ELNS1_3gpuE4ELNS1_3repE0EEENS1_30default_config_static_selectorELNS0_4arch9wavefront6targetE0EEEvSZ_.num_agpr, 0
	.set _ZN7rocprim17ROCPRIM_400000_NS6detail17trampoline_kernelINS0_13select_configILj256ELj13ELNS0_17block_load_methodE3ELS4_3ELS4_3ELNS0_20block_scan_algorithmE0ELj4294967295EEENS1_25partition_config_selectorILNS1_17partition_subalgoE3EjNS0_10empty_typeEbEEZZNS1_14partition_implILS8_3ELb0ES6_jNS0_17counting_iteratorIjlEEPS9_SE_NS0_5tupleIJPjSE_EEENSF_IJSE_SE_EEES9_SG_JZNS1_25segmented_radix_sort_implINS0_14default_configELb0EPK12hip_bfloat16PSL_PKlPlN2at6native12_GLOBAL__N_18offset_tEEE10hipError_tPvRmT1_PNSt15iterator_traitsISZ_E10value_typeET2_T3_PNS10_IS15_E10value_typeET4_jRbjT5_S1B_jjP12ihipStream_tbEUljE_EEESW_SX_SY_S15_S19_S1B_T6_T7_T9_mT8_S1D_bDpT10_ENKUlT_T0_E_clISt17integral_constantIbLb0EES1Q_EEDaS1L_S1M_EUlS1L_E_NS1_11comp_targetILNS1_3genE10ELNS1_11target_archE1200ELNS1_3gpuE4ELNS1_3repE0EEENS1_30default_config_static_selectorELNS0_4arch9wavefront6targetE0EEEvSZ_.numbered_sgpr, 26
	.set _ZN7rocprim17ROCPRIM_400000_NS6detail17trampoline_kernelINS0_13select_configILj256ELj13ELNS0_17block_load_methodE3ELS4_3ELS4_3ELNS0_20block_scan_algorithmE0ELj4294967295EEENS1_25partition_config_selectorILNS1_17partition_subalgoE3EjNS0_10empty_typeEbEEZZNS1_14partition_implILS8_3ELb0ES6_jNS0_17counting_iteratorIjlEEPS9_SE_NS0_5tupleIJPjSE_EEENSF_IJSE_SE_EEES9_SG_JZNS1_25segmented_radix_sort_implINS0_14default_configELb0EPK12hip_bfloat16PSL_PKlPlN2at6native12_GLOBAL__N_18offset_tEEE10hipError_tPvRmT1_PNSt15iterator_traitsISZ_E10value_typeET2_T3_PNS10_IS15_E10value_typeET4_jRbjT5_S1B_jjP12ihipStream_tbEUljE_EEESW_SX_SY_S15_S19_S1B_T6_T7_T9_mT8_S1D_bDpT10_ENKUlT_T0_E_clISt17integral_constantIbLb0EES1Q_EEDaS1L_S1M_EUlS1L_E_NS1_11comp_targetILNS1_3genE10ELNS1_11target_archE1200ELNS1_3gpuE4ELNS1_3repE0EEENS1_30default_config_static_selectorELNS0_4arch9wavefront6targetE0EEEvSZ_.num_named_barrier, 0
	.set _ZN7rocprim17ROCPRIM_400000_NS6detail17trampoline_kernelINS0_13select_configILj256ELj13ELNS0_17block_load_methodE3ELS4_3ELS4_3ELNS0_20block_scan_algorithmE0ELj4294967295EEENS1_25partition_config_selectorILNS1_17partition_subalgoE3EjNS0_10empty_typeEbEEZZNS1_14partition_implILS8_3ELb0ES6_jNS0_17counting_iteratorIjlEEPS9_SE_NS0_5tupleIJPjSE_EEENSF_IJSE_SE_EEES9_SG_JZNS1_25segmented_radix_sort_implINS0_14default_configELb0EPK12hip_bfloat16PSL_PKlPlN2at6native12_GLOBAL__N_18offset_tEEE10hipError_tPvRmT1_PNSt15iterator_traitsISZ_E10value_typeET2_T3_PNS10_IS15_E10value_typeET4_jRbjT5_S1B_jjP12ihipStream_tbEUljE_EEESW_SX_SY_S15_S19_S1B_T6_T7_T9_mT8_S1D_bDpT10_ENKUlT_T0_E_clISt17integral_constantIbLb0EES1Q_EEDaS1L_S1M_EUlS1L_E_NS1_11comp_targetILNS1_3genE10ELNS1_11target_archE1200ELNS1_3gpuE4ELNS1_3repE0EEENS1_30default_config_static_selectorELNS0_4arch9wavefront6targetE0EEEvSZ_.private_seg_size, 0
	.set _ZN7rocprim17ROCPRIM_400000_NS6detail17trampoline_kernelINS0_13select_configILj256ELj13ELNS0_17block_load_methodE3ELS4_3ELS4_3ELNS0_20block_scan_algorithmE0ELj4294967295EEENS1_25partition_config_selectorILNS1_17partition_subalgoE3EjNS0_10empty_typeEbEEZZNS1_14partition_implILS8_3ELb0ES6_jNS0_17counting_iteratorIjlEEPS9_SE_NS0_5tupleIJPjSE_EEENSF_IJSE_SE_EEES9_SG_JZNS1_25segmented_radix_sort_implINS0_14default_configELb0EPK12hip_bfloat16PSL_PKlPlN2at6native12_GLOBAL__N_18offset_tEEE10hipError_tPvRmT1_PNSt15iterator_traitsISZ_E10value_typeET2_T3_PNS10_IS15_E10value_typeET4_jRbjT5_S1B_jjP12ihipStream_tbEUljE_EEESW_SX_SY_S15_S19_S1B_T6_T7_T9_mT8_S1D_bDpT10_ENKUlT_T0_E_clISt17integral_constantIbLb0EES1Q_EEDaS1L_S1M_EUlS1L_E_NS1_11comp_targetILNS1_3genE10ELNS1_11target_archE1200ELNS1_3gpuE4ELNS1_3repE0EEENS1_30default_config_static_selectorELNS0_4arch9wavefront6targetE0EEEvSZ_.uses_vcc, 1
	.set _ZN7rocprim17ROCPRIM_400000_NS6detail17trampoline_kernelINS0_13select_configILj256ELj13ELNS0_17block_load_methodE3ELS4_3ELS4_3ELNS0_20block_scan_algorithmE0ELj4294967295EEENS1_25partition_config_selectorILNS1_17partition_subalgoE3EjNS0_10empty_typeEbEEZZNS1_14partition_implILS8_3ELb0ES6_jNS0_17counting_iteratorIjlEEPS9_SE_NS0_5tupleIJPjSE_EEENSF_IJSE_SE_EEES9_SG_JZNS1_25segmented_radix_sort_implINS0_14default_configELb0EPK12hip_bfloat16PSL_PKlPlN2at6native12_GLOBAL__N_18offset_tEEE10hipError_tPvRmT1_PNSt15iterator_traitsISZ_E10value_typeET2_T3_PNS10_IS15_E10value_typeET4_jRbjT5_S1B_jjP12ihipStream_tbEUljE_EEESW_SX_SY_S15_S19_S1B_T6_T7_T9_mT8_S1D_bDpT10_ENKUlT_T0_E_clISt17integral_constantIbLb0EES1Q_EEDaS1L_S1M_EUlS1L_E_NS1_11comp_targetILNS1_3genE10ELNS1_11target_archE1200ELNS1_3gpuE4ELNS1_3repE0EEENS1_30default_config_static_selectorELNS0_4arch9wavefront6targetE0EEEvSZ_.uses_flat_scratch, 0
	.set _ZN7rocprim17ROCPRIM_400000_NS6detail17trampoline_kernelINS0_13select_configILj256ELj13ELNS0_17block_load_methodE3ELS4_3ELS4_3ELNS0_20block_scan_algorithmE0ELj4294967295EEENS1_25partition_config_selectorILNS1_17partition_subalgoE3EjNS0_10empty_typeEbEEZZNS1_14partition_implILS8_3ELb0ES6_jNS0_17counting_iteratorIjlEEPS9_SE_NS0_5tupleIJPjSE_EEENSF_IJSE_SE_EEES9_SG_JZNS1_25segmented_radix_sort_implINS0_14default_configELb0EPK12hip_bfloat16PSL_PKlPlN2at6native12_GLOBAL__N_18offset_tEEE10hipError_tPvRmT1_PNSt15iterator_traitsISZ_E10value_typeET2_T3_PNS10_IS15_E10value_typeET4_jRbjT5_S1B_jjP12ihipStream_tbEUljE_EEESW_SX_SY_S15_S19_S1B_T6_T7_T9_mT8_S1D_bDpT10_ENKUlT_T0_E_clISt17integral_constantIbLb0EES1Q_EEDaS1L_S1M_EUlS1L_E_NS1_11comp_targetILNS1_3genE10ELNS1_11target_archE1200ELNS1_3gpuE4ELNS1_3repE0EEENS1_30default_config_static_selectorELNS0_4arch9wavefront6targetE0EEEvSZ_.has_dyn_sized_stack, 0
	.set _ZN7rocprim17ROCPRIM_400000_NS6detail17trampoline_kernelINS0_13select_configILj256ELj13ELNS0_17block_load_methodE3ELS4_3ELS4_3ELNS0_20block_scan_algorithmE0ELj4294967295EEENS1_25partition_config_selectorILNS1_17partition_subalgoE3EjNS0_10empty_typeEbEEZZNS1_14partition_implILS8_3ELb0ES6_jNS0_17counting_iteratorIjlEEPS9_SE_NS0_5tupleIJPjSE_EEENSF_IJSE_SE_EEES9_SG_JZNS1_25segmented_radix_sort_implINS0_14default_configELb0EPK12hip_bfloat16PSL_PKlPlN2at6native12_GLOBAL__N_18offset_tEEE10hipError_tPvRmT1_PNSt15iterator_traitsISZ_E10value_typeET2_T3_PNS10_IS15_E10value_typeET4_jRbjT5_S1B_jjP12ihipStream_tbEUljE_EEESW_SX_SY_S15_S19_S1B_T6_T7_T9_mT8_S1D_bDpT10_ENKUlT_T0_E_clISt17integral_constantIbLb0EES1Q_EEDaS1L_S1M_EUlS1L_E_NS1_11comp_targetILNS1_3genE10ELNS1_11target_archE1200ELNS1_3gpuE4ELNS1_3repE0EEENS1_30default_config_static_selectorELNS0_4arch9wavefront6targetE0EEEvSZ_.has_recursion, 0
	.set _ZN7rocprim17ROCPRIM_400000_NS6detail17trampoline_kernelINS0_13select_configILj256ELj13ELNS0_17block_load_methodE3ELS4_3ELS4_3ELNS0_20block_scan_algorithmE0ELj4294967295EEENS1_25partition_config_selectorILNS1_17partition_subalgoE3EjNS0_10empty_typeEbEEZZNS1_14partition_implILS8_3ELb0ES6_jNS0_17counting_iteratorIjlEEPS9_SE_NS0_5tupleIJPjSE_EEENSF_IJSE_SE_EEES9_SG_JZNS1_25segmented_radix_sort_implINS0_14default_configELb0EPK12hip_bfloat16PSL_PKlPlN2at6native12_GLOBAL__N_18offset_tEEE10hipError_tPvRmT1_PNSt15iterator_traitsISZ_E10value_typeET2_T3_PNS10_IS15_E10value_typeET4_jRbjT5_S1B_jjP12ihipStream_tbEUljE_EEESW_SX_SY_S15_S19_S1B_T6_T7_T9_mT8_S1D_bDpT10_ENKUlT_T0_E_clISt17integral_constantIbLb0EES1Q_EEDaS1L_S1M_EUlS1L_E_NS1_11comp_targetILNS1_3genE10ELNS1_11target_archE1200ELNS1_3gpuE4ELNS1_3repE0EEENS1_30default_config_static_selectorELNS0_4arch9wavefront6targetE0EEEvSZ_.has_indirect_call, 0
	.section	.AMDGPU.csdata,"",@progbits
; Kernel info:
; codeLenInByte = 10676
; TotalNumSgprs: 28
; NumVgprs: 69
; ScratchSize: 0
; MemoryBound: 0
; FloatMode: 240
; IeeeMode: 1
; LDSByteSize: 13320 bytes/workgroup (compile time only)
; SGPRBlocks: 0
; VGPRBlocks: 8
; NumSGPRsForWavesPerEU: 28
; NumVGPRsForWavesPerEU: 69
; Occupancy: 16
; WaveLimiterHint : 0
; COMPUTE_PGM_RSRC2:SCRATCH_EN: 0
; COMPUTE_PGM_RSRC2:USER_SGPR: 2
; COMPUTE_PGM_RSRC2:TRAP_HANDLER: 0
; COMPUTE_PGM_RSRC2:TGID_X_EN: 1
; COMPUTE_PGM_RSRC2:TGID_Y_EN: 0
; COMPUTE_PGM_RSRC2:TGID_Z_EN: 0
; COMPUTE_PGM_RSRC2:TIDIG_COMP_CNT: 0
	.section	.text._ZN7rocprim17ROCPRIM_400000_NS6detail17trampoline_kernelINS0_13select_configILj256ELj13ELNS0_17block_load_methodE3ELS4_3ELS4_3ELNS0_20block_scan_algorithmE0ELj4294967295EEENS1_25partition_config_selectorILNS1_17partition_subalgoE3EjNS0_10empty_typeEbEEZZNS1_14partition_implILS8_3ELb0ES6_jNS0_17counting_iteratorIjlEEPS9_SE_NS0_5tupleIJPjSE_EEENSF_IJSE_SE_EEES9_SG_JZNS1_25segmented_radix_sort_implINS0_14default_configELb0EPK12hip_bfloat16PSL_PKlPlN2at6native12_GLOBAL__N_18offset_tEEE10hipError_tPvRmT1_PNSt15iterator_traitsISZ_E10value_typeET2_T3_PNS10_IS15_E10value_typeET4_jRbjT5_S1B_jjP12ihipStream_tbEUljE_EEESW_SX_SY_S15_S19_S1B_T6_T7_T9_mT8_S1D_bDpT10_ENKUlT_T0_E_clISt17integral_constantIbLb0EES1Q_EEDaS1L_S1M_EUlS1L_E_NS1_11comp_targetILNS1_3genE9ELNS1_11target_archE1100ELNS1_3gpuE3ELNS1_3repE0EEENS1_30default_config_static_selectorELNS0_4arch9wavefront6targetE0EEEvSZ_,"axG",@progbits,_ZN7rocprim17ROCPRIM_400000_NS6detail17trampoline_kernelINS0_13select_configILj256ELj13ELNS0_17block_load_methodE3ELS4_3ELS4_3ELNS0_20block_scan_algorithmE0ELj4294967295EEENS1_25partition_config_selectorILNS1_17partition_subalgoE3EjNS0_10empty_typeEbEEZZNS1_14partition_implILS8_3ELb0ES6_jNS0_17counting_iteratorIjlEEPS9_SE_NS0_5tupleIJPjSE_EEENSF_IJSE_SE_EEES9_SG_JZNS1_25segmented_radix_sort_implINS0_14default_configELb0EPK12hip_bfloat16PSL_PKlPlN2at6native12_GLOBAL__N_18offset_tEEE10hipError_tPvRmT1_PNSt15iterator_traitsISZ_E10value_typeET2_T3_PNS10_IS15_E10value_typeET4_jRbjT5_S1B_jjP12ihipStream_tbEUljE_EEESW_SX_SY_S15_S19_S1B_T6_T7_T9_mT8_S1D_bDpT10_ENKUlT_T0_E_clISt17integral_constantIbLb0EES1Q_EEDaS1L_S1M_EUlS1L_E_NS1_11comp_targetILNS1_3genE9ELNS1_11target_archE1100ELNS1_3gpuE3ELNS1_3repE0EEENS1_30default_config_static_selectorELNS0_4arch9wavefront6targetE0EEEvSZ_,comdat
	.globl	_ZN7rocprim17ROCPRIM_400000_NS6detail17trampoline_kernelINS0_13select_configILj256ELj13ELNS0_17block_load_methodE3ELS4_3ELS4_3ELNS0_20block_scan_algorithmE0ELj4294967295EEENS1_25partition_config_selectorILNS1_17partition_subalgoE3EjNS0_10empty_typeEbEEZZNS1_14partition_implILS8_3ELb0ES6_jNS0_17counting_iteratorIjlEEPS9_SE_NS0_5tupleIJPjSE_EEENSF_IJSE_SE_EEES9_SG_JZNS1_25segmented_radix_sort_implINS0_14default_configELb0EPK12hip_bfloat16PSL_PKlPlN2at6native12_GLOBAL__N_18offset_tEEE10hipError_tPvRmT1_PNSt15iterator_traitsISZ_E10value_typeET2_T3_PNS10_IS15_E10value_typeET4_jRbjT5_S1B_jjP12ihipStream_tbEUljE_EEESW_SX_SY_S15_S19_S1B_T6_T7_T9_mT8_S1D_bDpT10_ENKUlT_T0_E_clISt17integral_constantIbLb0EES1Q_EEDaS1L_S1M_EUlS1L_E_NS1_11comp_targetILNS1_3genE9ELNS1_11target_archE1100ELNS1_3gpuE3ELNS1_3repE0EEENS1_30default_config_static_selectorELNS0_4arch9wavefront6targetE0EEEvSZ_ ; -- Begin function _ZN7rocprim17ROCPRIM_400000_NS6detail17trampoline_kernelINS0_13select_configILj256ELj13ELNS0_17block_load_methodE3ELS4_3ELS4_3ELNS0_20block_scan_algorithmE0ELj4294967295EEENS1_25partition_config_selectorILNS1_17partition_subalgoE3EjNS0_10empty_typeEbEEZZNS1_14partition_implILS8_3ELb0ES6_jNS0_17counting_iteratorIjlEEPS9_SE_NS0_5tupleIJPjSE_EEENSF_IJSE_SE_EEES9_SG_JZNS1_25segmented_radix_sort_implINS0_14default_configELb0EPK12hip_bfloat16PSL_PKlPlN2at6native12_GLOBAL__N_18offset_tEEE10hipError_tPvRmT1_PNSt15iterator_traitsISZ_E10value_typeET2_T3_PNS10_IS15_E10value_typeET4_jRbjT5_S1B_jjP12ihipStream_tbEUljE_EEESW_SX_SY_S15_S19_S1B_T6_T7_T9_mT8_S1D_bDpT10_ENKUlT_T0_E_clISt17integral_constantIbLb0EES1Q_EEDaS1L_S1M_EUlS1L_E_NS1_11comp_targetILNS1_3genE9ELNS1_11target_archE1100ELNS1_3gpuE3ELNS1_3repE0EEENS1_30default_config_static_selectorELNS0_4arch9wavefront6targetE0EEEvSZ_
	.p2align	8
	.type	_ZN7rocprim17ROCPRIM_400000_NS6detail17trampoline_kernelINS0_13select_configILj256ELj13ELNS0_17block_load_methodE3ELS4_3ELS4_3ELNS0_20block_scan_algorithmE0ELj4294967295EEENS1_25partition_config_selectorILNS1_17partition_subalgoE3EjNS0_10empty_typeEbEEZZNS1_14partition_implILS8_3ELb0ES6_jNS0_17counting_iteratorIjlEEPS9_SE_NS0_5tupleIJPjSE_EEENSF_IJSE_SE_EEES9_SG_JZNS1_25segmented_radix_sort_implINS0_14default_configELb0EPK12hip_bfloat16PSL_PKlPlN2at6native12_GLOBAL__N_18offset_tEEE10hipError_tPvRmT1_PNSt15iterator_traitsISZ_E10value_typeET2_T3_PNS10_IS15_E10value_typeET4_jRbjT5_S1B_jjP12ihipStream_tbEUljE_EEESW_SX_SY_S15_S19_S1B_T6_T7_T9_mT8_S1D_bDpT10_ENKUlT_T0_E_clISt17integral_constantIbLb0EES1Q_EEDaS1L_S1M_EUlS1L_E_NS1_11comp_targetILNS1_3genE9ELNS1_11target_archE1100ELNS1_3gpuE3ELNS1_3repE0EEENS1_30default_config_static_selectorELNS0_4arch9wavefront6targetE0EEEvSZ_,@function
_ZN7rocprim17ROCPRIM_400000_NS6detail17trampoline_kernelINS0_13select_configILj256ELj13ELNS0_17block_load_methodE3ELS4_3ELS4_3ELNS0_20block_scan_algorithmE0ELj4294967295EEENS1_25partition_config_selectorILNS1_17partition_subalgoE3EjNS0_10empty_typeEbEEZZNS1_14partition_implILS8_3ELb0ES6_jNS0_17counting_iteratorIjlEEPS9_SE_NS0_5tupleIJPjSE_EEENSF_IJSE_SE_EEES9_SG_JZNS1_25segmented_radix_sort_implINS0_14default_configELb0EPK12hip_bfloat16PSL_PKlPlN2at6native12_GLOBAL__N_18offset_tEEE10hipError_tPvRmT1_PNSt15iterator_traitsISZ_E10value_typeET2_T3_PNS10_IS15_E10value_typeET4_jRbjT5_S1B_jjP12ihipStream_tbEUljE_EEESW_SX_SY_S15_S19_S1B_T6_T7_T9_mT8_S1D_bDpT10_ENKUlT_T0_E_clISt17integral_constantIbLb0EES1Q_EEDaS1L_S1M_EUlS1L_E_NS1_11comp_targetILNS1_3genE9ELNS1_11target_archE1100ELNS1_3gpuE3ELNS1_3repE0EEENS1_30default_config_static_selectorELNS0_4arch9wavefront6targetE0EEEvSZ_: ; @_ZN7rocprim17ROCPRIM_400000_NS6detail17trampoline_kernelINS0_13select_configILj256ELj13ELNS0_17block_load_methodE3ELS4_3ELS4_3ELNS0_20block_scan_algorithmE0ELj4294967295EEENS1_25partition_config_selectorILNS1_17partition_subalgoE3EjNS0_10empty_typeEbEEZZNS1_14partition_implILS8_3ELb0ES6_jNS0_17counting_iteratorIjlEEPS9_SE_NS0_5tupleIJPjSE_EEENSF_IJSE_SE_EEES9_SG_JZNS1_25segmented_radix_sort_implINS0_14default_configELb0EPK12hip_bfloat16PSL_PKlPlN2at6native12_GLOBAL__N_18offset_tEEE10hipError_tPvRmT1_PNSt15iterator_traitsISZ_E10value_typeET2_T3_PNS10_IS15_E10value_typeET4_jRbjT5_S1B_jjP12ihipStream_tbEUljE_EEESW_SX_SY_S15_S19_S1B_T6_T7_T9_mT8_S1D_bDpT10_ENKUlT_T0_E_clISt17integral_constantIbLb0EES1Q_EEDaS1L_S1M_EUlS1L_E_NS1_11comp_targetILNS1_3genE9ELNS1_11target_archE1100ELNS1_3gpuE3ELNS1_3repE0EEENS1_30default_config_static_selectorELNS0_4arch9wavefront6targetE0EEEvSZ_
; %bb.0:
	.section	.rodata,"a",@progbits
	.p2align	6, 0x0
	.amdhsa_kernel _ZN7rocprim17ROCPRIM_400000_NS6detail17trampoline_kernelINS0_13select_configILj256ELj13ELNS0_17block_load_methodE3ELS4_3ELS4_3ELNS0_20block_scan_algorithmE0ELj4294967295EEENS1_25partition_config_selectorILNS1_17partition_subalgoE3EjNS0_10empty_typeEbEEZZNS1_14partition_implILS8_3ELb0ES6_jNS0_17counting_iteratorIjlEEPS9_SE_NS0_5tupleIJPjSE_EEENSF_IJSE_SE_EEES9_SG_JZNS1_25segmented_radix_sort_implINS0_14default_configELb0EPK12hip_bfloat16PSL_PKlPlN2at6native12_GLOBAL__N_18offset_tEEE10hipError_tPvRmT1_PNSt15iterator_traitsISZ_E10value_typeET2_T3_PNS10_IS15_E10value_typeET4_jRbjT5_S1B_jjP12ihipStream_tbEUljE_EEESW_SX_SY_S15_S19_S1B_T6_T7_T9_mT8_S1D_bDpT10_ENKUlT_T0_E_clISt17integral_constantIbLb0EES1Q_EEDaS1L_S1M_EUlS1L_E_NS1_11comp_targetILNS1_3genE9ELNS1_11target_archE1100ELNS1_3gpuE3ELNS1_3repE0EEENS1_30default_config_static_selectorELNS0_4arch9wavefront6targetE0EEEvSZ_
		.amdhsa_group_segment_fixed_size 0
		.amdhsa_private_segment_fixed_size 0
		.amdhsa_kernarg_size 144
		.amdhsa_user_sgpr_count 2
		.amdhsa_user_sgpr_dispatch_ptr 0
		.amdhsa_user_sgpr_queue_ptr 0
		.amdhsa_user_sgpr_kernarg_segment_ptr 1
		.amdhsa_user_sgpr_dispatch_id 0
		.amdhsa_user_sgpr_private_segment_size 0
		.amdhsa_wavefront_size32 1
		.amdhsa_uses_dynamic_stack 0
		.amdhsa_enable_private_segment 0
		.amdhsa_system_sgpr_workgroup_id_x 1
		.amdhsa_system_sgpr_workgroup_id_y 0
		.amdhsa_system_sgpr_workgroup_id_z 0
		.amdhsa_system_sgpr_workgroup_info 0
		.amdhsa_system_vgpr_workitem_id 0
		.amdhsa_next_free_vgpr 1
		.amdhsa_next_free_sgpr 1
		.amdhsa_reserve_vcc 0
		.amdhsa_float_round_mode_32 0
		.amdhsa_float_round_mode_16_64 0
		.amdhsa_float_denorm_mode_32 3
		.amdhsa_float_denorm_mode_16_64 3
		.amdhsa_fp16_overflow 0
		.amdhsa_workgroup_processor_mode 1
		.amdhsa_memory_ordered 1
		.amdhsa_forward_progress 1
		.amdhsa_inst_pref_size 0
		.amdhsa_round_robin_scheduling 0
		.amdhsa_exception_fp_ieee_invalid_op 0
		.amdhsa_exception_fp_denorm_src 0
		.amdhsa_exception_fp_ieee_div_zero 0
		.amdhsa_exception_fp_ieee_overflow 0
		.amdhsa_exception_fp_ieee_underflow 0
		.amdhsa_exception_fp_ieee_inexact 0
		.amdhsa_exception_int_div_zero 0
	.end_amdhsa_kernel
	.section	.text._ZN7rocprim17ROCPRIM_400000_NS6detail17trampoline_kernelINS0_13select_configILj256ELj13ELNS0_17block_load_methodE3ELS4_3ELS4_3ELNS0_20block_scan_algorithmE0ELj4294967295EEENS1_25partition_config_selectorILNS1_17partition_subalgoE3EjNS0_10empty_typeEbEEZZNS1_14partition_implILS8_3ELb0ES6_jNS0_17counting_iteratorIjlEEPS9_SE_NS0_5tupleIJPjSE_EEENSF_IJSE_SE_EEES9_SG_JZNS1_25segmented_radix_sort_implINS0_14default_configELb0EPK12hip_bfloat16PSL_PKlPlN2at6native12_GLOBAL__N_18offset_tEEE10hipError_tPvRmT1_PNSt15iterator_traitsISZ_E10value_typeET2_T3_PNS10_IS15_E10value_typeET4_jRbjT5_S1B_jjP12ihipStream_tbEUljE_EEESW_SX_SY_S15_S19_S1B_T6_T7_T9_mT8_S1D_bDpT10_ENKUlT_T0_E_clISt17integral_constantIbLb0EES1Q_EEDaS1L_S1M_EUlS1L_E_NS1_11comp_targetILNS1_3genE9ELNS1_11target_archE1100ELNS1_3gpuE3ELNS1_3repE0EEENS1_30default_config_static_selectorELNS0_4arch9wavefront6targetE0EEEvSZ_,"axG",@progbits,_ZN7rocprim17ROCPRIM_400000_NS6detail17trampoline_kernelINS0_13select_configILj256ELj13ELNS0_17block_load_methodE3ELS4_3ELS4_3ELNS0_20block_scan_algorithmE0ELj4294967295EEENS1_25partition_config_selectorILNS1_17partition_subalgoE3EjNS0_10empty_typeEbEEZZNS1_14partition_implILS8_3ELb0ES6_jNS0_17counting_iteratorIjlEEPS9_SE_NS0_5tupleIJPjSE_EEENSF_IJSE_SE_EEES9_SG_JZNS1_25segmented_radix_sort_implINS0_14default_configELb0EPK12hip_bfloat16PSL_PKlPlN2at6native12_GLOBAL__N_18offset_tEEE10hipError_tPvRmT1_PNSt15iterator_traitsISZ_E10value_typeET2_T3_PNS10_IS15_E10value_typeET4_jRbjT5_S1B_jjP12ihipStream_tbEUljE_EEESW_SX_SY_S15_S19_S1B_T6_T7_T9_mT8_S1D_bDpT10_ENKUlT_T0_E_clISt17integral_constantIbLb0EES1Q_EEDaS1L_S1M_EUlS1L_E_NS1_11comp_targetILNS1_3genE9ELNS1_11target_archE1100ELNS1_3gpuE3ELNS1_3repE0EEENS1_30default_config_static_selectorELNS0_4arch9wavefront6targetE0EEEvSZ_,comdat
.Lfunc_end2023:
	.size	_ZN7rocprim17ROCPRIM_400000_NS6detail17trampoline_kernelINS0_13select_configILj256ELj13ELNS0_17block_load_methodE3ELS4_3ELS4_3ELNS0_20block_scan_algorithmE0ELj4294967295EEENS1_25partition_config_selectorILNS1_17partition_subalgoE3EjNS0_10empty_typeEbEEZZNS1_14partition_implILS8_3ELb0ES6_jNS0_17counting_iteratorIjlEEPS9_SE_NS0_5tupleIJPjSE_EEENSF_IJSE_SE_EEES9_SG_JZNS1_25segmented_radix_sort_implINS0_14default_configELb0EPK12hip_bfloat16PSL_PKlPlN2at6native12_GLOBAL__N_18offset_tEEE10hipError_tPvRmT1_PNSt15iterator_traitsISZ_E10value_typeET2_T3_PNS10_IS15_E10value_typeET4_jRbjT5_S1B_jjP12ihipStream_tbEUljE_EEESW_SX_SY_S15_S19_S1B_T6_T7_T9_mT8_S1D_bDpT10_ENKUlT_T0_E_clISt17integral_constantIbLb0EES1Q_EEDaS1L_S1M_EUlS1L_E_NS1_11comp_targetILNS1_3genE9ELNS1_11target_archE1100ELNS1_3gpuE3ELNS1_3repE0EEENS1_30default_config_static_selectorELNS0_4arch9wavefront6targetE0EEEvSZ_, .Lfunc_end2023-_ZN7rocprim17ROCPRIM_400000_NS6detail17trampoline_kernelINS0_13select_configILj256ELj13ELNS0_17block_load_methodE3ELS4_3ELS4_3ELNS0_20block_scan_algorithmE0ELj4294967295EEENS1_25partition_config_selectorILNS1_17partition_subalgoE3EjNS0_10empty_typeEbEEZZNS1_14partition_implILS8_3ELb0ES6_jNS0_17counting_iteratorIjlEEPS9_SE_NS0_5tupleIJPjSE_EEENSF_IJSE_SE_EEES9_SG_JZNS1_25segmented_radix_sort_implINS0_14default_configELb0EPK12hip_bfloat16PSL_PKlPlN2at6native12_GLOBAL__N_18offset_tEEE10hipError_tPvRmT1_PNSt15iterator_traitsISZ_E10value_typeET2_T3_PNS10_IS15_E10value_typeET4_jRbjT5_S1B_jjP12ihipStream_tbEUljE_EEESW_SX_SY_S15_S19_S1B_T6_T7_T9_mT8_S1D_bDpT10_ENKUlT_T0_E_clISt17integral_constantIbLb0EES1Q_EEDaS1L_S1M_EUlS1L_E_NS1_11comp_targetILNS1_3genE9ELNS1_11target_archE1100ELNS1_3gpuE3ELNS1_3repE0EEENS1_30default_config_static_selectorELNS0_4arch9wavefront6targetE0EEEvSZ_
                                        ; -- End function
	.set _ZN7rocprim17ROCPRIM_400000_NS6detail17trampoline_kernelINS0_13select_configILj256ELj13ELNS0_17block_load_methodE3ELS4_3ELS4_3ELNS0_20block_scan_algorithmE0ELj4294967295EEENS1_25partition_config_selectorILNS1_17partition_subalgoE3EjNS0_10empty_typeEbEEZZNS1_14partition_implILS8_3ELb0ES6_jNS0_17counting_iteratorIjlEEPS9_SE_NS0_5tupleIJPjSE_EEENSF_IJSE_SE_EEES9_SG_JZNS1_25segmented_radix_sort_implINS0_14default_configELb0EPK12hip_bfloat16PSL_PKlPlN2at6native12_GLOBAL__N_18offset_tEEE10hipError_tPvRmT1_PNSt15iterator_traitsISZ_E10value_typeET2_T3_PNS10_IS15_E10value_typeET4_jRbjT5_S1B_jjP12ihipStream_tbEUljE_EEESW_SX_SY_S15_S19_S1B_T6_T7_T9_mT8_S1D_bDpT10_ENKUlT_T0_E_clISt17integral_constantIbLb0EES1Q_EEDaS1L_S1M_EUlS1L_E_NS1_11comp_targetILNS1_3genE9ELNS1_11target_archE1100ELNS1_3gpuE3ELNS1_3repE0EEENS1_30default_config_static_selectorELNS0_4arch9wavefront6targetE0EEEvSZ_.num_vgpr, 0
	.set _ZN7rocprim17ROCPRIM_400000_NS6detail17trampoline_kernelINS0_13select_configILj256ELj13ELNS0_17block_load_methodE3ELS4_3ELS4_3ELNS0_20block_scan_algorithmE0ELj4294967295EEENS1_25partition_config_selectorILNS1_17partition_subalgoE3EjNS0_10empty_typeEbEEZZNS1_14partition_implILS8_3ELb0ES6_jNS0_17counting_iteratorIjlEEPS9_SE_NS0_5tupleIJPjSE_EEENSF_IJSE_SE_EEES9_SG_JZNS1_25segmented_radix_sort_implINS0_14default_configELb0EPK12hip_bfloat16PSL_PKlPlN2at6native12_GLOBAL__N_18offset_tEEE10hipError_tPvRmT1_PNSt15iterator_traitsISZ_E10value_typeET2_T3_PNS10_IS15_E10value_typeET4_jRbjT5_S1B_jjP12ihipStream_tbEUljE_EEESW_SX_SY_S15_S19_S1B_T6_T7_T9_mT8_S1D_bDpT10_ENKUlT_T0_E_clISt17integral_constantIbLb0EES1Q_EEDaS1L_S1M_EUlS1L_E_NS1_11comp_targetILNS1_3genE9ELNS1_11target_archE1100ELNS1_3gpuE3ELNS1_3repE0EEENS1_30default_config_static_selectorELNS0_4arch9wavefront6targetE0EEEvSZ_.num_agpr, 0
	.set _ZN7rocprim17ROCPRIM_400000_NS6detail17trampoline_kernelINS0_13select_configILj256ELj13ELNS0_17block_load_methodE3ELS4_3ELS4_3ELNS0_20block_scan_algorithmE0ELj4294967295EEENS1_25partition_config_selectorILNS1_17partition_subalgoE3EjNS0_10empty_typeEbEEZZNS1_14partition_implILS8_3ELb0ES6_jNS0_17counting_iteratorIjlEEPS9_SE_NS0_5tupleIJPjSE_EEENSF_IJSE_SE_EEES9_SG_JZNS1_25segmented_radix_sort_implINS0_14default_configELb0EPK12hip_bfloat16PSL_PKlPlN2at6native12_GLOBAL__N_18offset_tEEE10hipError_tPvRmT1_PNSt15iterator_traitsISZ_E10value_typeET2_T3_PNS10_IS15_E10value_typeET4_jRbjT5_S1B_jjP12ihipStream_tbEUljE_EEESW_SX_SY_S15_S19_S1B_T6_T7_T9_mT8_S1D_bDpT10_ENKUlT_T0_E_clISt17integral_constantIbLb0EES1Q_EEDaS1L_S1M_EUlS1L_E_NS1_11comp_targetILNS1_3genE9ELNS1_11target_archE1100ELNS1_3gpuE3ELNS1_3repE0EEENS1_30default_config_static_selectorELNS0_4arch9wavefront6targetE0EEEvSZ_.numbered_sgpr, 0
	.set _ZN7rocprim17ROCPRIM_400000_NS6detail17trampoline_kernelINS0_13select_configILj256ELj13ELNS0_17block_load_methodE3ELS4_3ELS4_3ELNS0_20block_scan_algorithmE0ELj4294967295EEENS1_25partition_config_selectorILNS1_17partition_subalgoE3EjNS0_10empty_typeEbEEZZNS1_14partition_implILS8_3ELb0ES6_jNS0_17counting_iteratorIjlEEPS9_SE_NS0_5tupleIJPjSE_EEENSF_IJSE_SE_EEES9_SG_JZNS1_25segmented_radix_sort_implINS0_14default_configELb0EPK12hip_bfloat16PSL_PKlPlN2at6native12_GLOBAL__N_18offset_tEEE10hipError_tPvRmT1_PNSt15iterator_traitsISZ_E10value_typeET2_T3_PNS10_IS15_E10value_typeET4_jRbjT5_S1B_jjP12ihipStream_tbEUljE_EEESW_SX_SY_S15_S19_S1B_T6_T7_T9_mT8_S1D_bDpT10_ENKUlT_T0_E_clISt17integral_constantIbLb0EES1Q_EEDaS1L_S1M_EUlS1L_E_NS1_11comp_targetILNS1_3genE9ELNS1_11target_archE1100ELNS1_3gpuE3ELNS1_3repE0EEENS1_30default_config_static_selectorELNS0_4arch9wavefront6targetE0EEEvSZ_.num_named_barrier, 0
	.set _ZN7rocprim17ROCPRIM_400000_NS6detail17trampoline_kernelINS0_13select_configILj256ELj13ELNS0_17block_load_methodE3ELS4_3ELS4_3ELNS0_20block_scan_algorithmE0ELj4294967295EEENS1_25partition_config_selectorILNS1_17partition_subalgoE3EjNS0_10empty_typeEbEEZZNS1_14partition_implILS8_3ELb0ES6_jNS0_17counting_iteratorIjlEEPS9_SE_NS0_5tupleIJPjSE_EEENSF_IJSE_SE_EEES9_SG_JZNS1_25segmented_radix_sort_implINS0_14default_configELb0EPK12hip_bfloat16PSL_PKlPlN2at6native12_GLOBAL__N_18offset_tEEE10hipError_tPvRmT1_PNSt15iterator_traitsISZ_E10value_typeET2_T3_PNS10_IS15_E10value_typeET4_jRbjT5_S1B_jjP12ihipStream_tbEUljE_EEESW_SX_SY_S15_S19_S1B_T6_T7_T9_mT8_S1D_bDpT10_ENKUlT_T0_E_clISt17integral_constantIbLb0EES1Q_EEDaS1L_S1M_EUlS1L_E_NS1_11comp_targetILNS1_3genE9ELNS1_11target_archE1100ELNS1_3gpuE3ELNS1_3repE0EEENS1_30default_config_static_selectorELNS0_4arch9wavefront6targetE0EEEvSZ_.private_seg_size, 0
	.set _ZN7rocprim17ROCPRIM_400000_NS6detail17trampoline_kernelINS0_13select_configILj256ELj13ELNS0_17block_load_methodE3ELS4_3ELS4_3ELNS0_20block_scan_algorithmE0ELj4294967295EEENS1_25partition_config_selectorILNS1_17partition_subalgoE3EjNS0_10empty_typeEbEEZZNS1_14partition_implILS8_3ELb0ES6_jNS0_17counting_iteratorIjlEEPS9_SE_NS0_5tupleIJPjSE_EEENSF_IJSE_SE_EEES9_SG_JZNS1_25segmented_radix_sort_implINS0_14default_configELb0EPK12hip_bfloat16PSL_PKlPlN2at6native12_GLOBAL__N_18offset_tEEE10hipError_tPvRmT1_PNSt15iterator_traitsISZ_E10value_typeET2_T3_PNS10_IS15_E10value_typeET4_jRbjT5_S1B_jjP12ihipStream_tbEUljE_EEESW_SX_SY_S15_S19_S1B_T6_T7_T9_mT8_S1D_bDpT10_ENKUlT_T0_E_clISt17integral_constantIbLb0EES1Q_EEDaS1L_S1M_EUlS1L_E_NS1_11comp_targetILNS1_3genE9ELNS1_11target_archE1100ELNS1_3gpuE3ELNS1_3repE0EEENS1_30default_config_static_selectorELNS0_4arch9wavefront6targetE0EEEvSZ_.uses_vcc, 0
	.set _ZN7rocprim17ROCPRIM_400000_NS6detail17trampoline_kernelINS0_13select_configILj256ELj13ELNS0_17block_load_methodE3ELS4_3ELS4_3ELNS0_20block_scan_algorithmE0ELj4294967295EEENS1_25partition_config_selectorILNS1_17partition_subalgoE3EjNS0_10empty_typeEbEEZZNS1_14partition_implILS8_3ELb0ES6_jNS0_17counting_iteratorIjlEEPS9_SE_NS0_5tupleIJPjSE_EEENSF_IJSE_SE_EEES9_SG_JZNS1_25segmented_radix_sort_implINS0_14default_configELb0EPK12hip_bfloat16PSL_PKlPlN2at6native12_GLOBAL__N_18offset_tEEE10hipError_tPvRmT1_PNSt15iterator_traitsISZ_E10value_typeET2_T3_PNS10_IS15_E10value_typeET4_jRbjT5_S1B_jjP12ihipStream_tbEUljE_EEESW_SX_SY_S15_S19_S1B_T6_T7_T9_mT8_S1D_bDpT10_ENKUlT_T0_E_clISt17integral_constantIbLb0EES1Q_EEDaS1L_S1M_EUlS1L_E_NS1_11comp_targetILNS1_3genE9ELNS1_11target_archE1100ELNS1_3gpuE3ELNS1_3repE0EEENS1_30default_config_static_selectorELNS0_4arch9wavefront6targetE0EEEvSZ_.uses_flat_scratch, 0
	.set _ZN7rocprim17ROCPRIM_400000_NS6detail17trampoline_kernelINS0_13select_configILj256ELj13ELNS0_17block_load_methodE3ELS4_3ELS4_3ELNS0_20block_scan_algorithmE0ELj4294967295EEENS1_25partition_config_selectorILNS1_17partition_subalgoE3EjNS0_10empty_typeEbEEZZNS1_14partition_implILS8_3ELb0ES6_jNS0_17counting_iteratorIjlEEPS9_SE_NS0_5tupleIJPjSE_EEENSF_IJSE_SE_EEES9_SG_JZNS1_25segmented_radix_sort_implINS0_14default_configELb0EPK12hip_bfloat16PSL_PKlPlN2at6native12_GLOBAL__N_18offset_tEEE10hipError_tPvRmT1_PNSt15iterator_traitsISZ_E10value_typeET2_T3_PNS10_IS15_E10value_typeET4_jRbjT5_S1B_jjP12ihipStream_tbEUljE_EEESW_SX_SY_S15_S19_S1B_T6_T7_T9_mT8_S1D_bDpT10_ENKUlT_T0_E_clISt17integral_constantIbLb0EES1Q_EEDaS1L_S1M_EUlS1L_E_NS1_11comp_targetILNS1_3genE9ELNS1_11target_archE1100ELNS1_3gpuE3ELNS1_3repE0EEENS1_30default_config_static_selectorELNS0_4arch9wavefront6targetE0EEEvSZ_.has_dyn_sized_stack, 0
	.set _ZN7rocprim17ROCPRIM_400000_NS6detail17trampoline_kernelINS0_13select_configILj256ELj13ELNS0_17block_load_methodE3ELS4_3ELS4_3ELNS0_20block_scan_algorithmE0ELj4294967295EEENS1_25partition_config_selectorILNS1_17partition_subalgoE3EjNS0_10empty_typeEbEEZZNS1_14partition_implILS8_3ELb0ES6_jNS0_17counting_iteratorIjlEEPS9_SE_NS0_5tupleIJPjSE_EEENSF_IJSE_SE_EEES9_SG_JZNS1_25segmented_radix_sort_implINS0_14default_configELb0EPK12hip_bfloat16PSL_PKlPlN2at6native12_GLOBAL__N_18offset_tEEE10hipError_tPvRmT1_PNSt15iterator_traitsISZ_E10value_typeET2_T3_PNS10_IS15_E10value_typeET4_jRbjT5_S1B_jjP12ihipStream_tbEUljE_EEESW_SX_SY_S15_S19_S1B_T6_T7_T9_mT8_S1D_bDpT10_ENKUlT_T0_E_clISt17integral_constantIbLb0EES1Q_EEDaS1L_S1M_EUlS1L_E_NS1_11comp_targetILNS1_3genE9ELNS1_11target_archE1100ELNS1_3gpuE3ELNS1_3repE0EEENS1_30default_config_static_selectorELNS0_4arch9wavefront6targetE0EEEvSZ_.has_recursion, 0
	.set _ZN7rocprim17ROCPRIM_400000_NS6detail17trampoline_kernelINS0_13select_configILj256ELj13ELNS0_17block_load_methodE3ELS4_3ELS4_3ELNS0_20block_scan_algorithmE0ELj4294967295EEENS1_25partition_config_selectorILNS1_17partition_subalgoE3EjNS0_10empty_typeEbEEZZNS1_14partition_implILS8_3ELb0ES6_jNS0_17counting_iteratorIjlEEPS9_SE_NS0_5tupleIJPjSE_EEENSF_IJSE_SE_EEES9_SG_JZNS1_25segmented_radix_sort_implINS0_14default_configELb0EPK12hip_bfloat16PSL_PKlPlN2at6native12_GLOBAL__N_18offset_tEEE10hipError_tPvRmT1_PNSt15iterator_traitsISZ_E10value_typeET2_T3_PNS10_IS15_E10value_typeET4_jRbjT5_S1B_jjP12ihipStream_tbEUljE_EEESW_SX_SY_S15_S19_S1B_T6_T7_T9_mT8_S1D_bDpT10_ENKUlT_T0_E_clISt17integral_constantIbLb0EES1Q_EEDaS1L_S1M_EUlS1L_E_NS1_11comp_targetILNS1_3genE9ELNS1_11target_archE1100ELNS1_3gpuE3ELNS1_3repE0EEENS1_30default_config_static_selectorELNS0_4arch9wavefront6targetE0EEEvSZ_.has_indirect_call, 0
	.section	.AMDGPU.csdata,"",@progbits
; Kernel info:
; codeLenInByte = 0
; TotalNumSgprs: 0
; NumVgprs: 0
; ScratchSize: 0
; MemoryBound: 0
; FloatMode: 240
; IeeeMode: 1
; LDSByteSize: 0 bytes/workgroup (compile time only)
; SGPRBlocks: 0
; VGPRBlocks: 0
; NumSGPRsForWavesPerEU: 1
; NumVGPRsForWavesPerEU: 1
; Occupancy: 16
; WaveLimiterHint : 0
; COMPUTE_PGM_RSRC2:SCRATCH_EN: 0
; COMPUTE_PGM_RSRC2:USER_SGPR: 2
; COMPUTE_PGM_RSRC2:TRAP_HANDLER: 0
; COMPUTE_PGM_RSRC2:TGID_X_EN: 1
; COMPUTE_PGM_RSRC2:TGID_Y_EN: 0
; COMPUTE_PGM_RSRC2:TGID_Z_EN: 0
; COMPUTE_PGM_RSRC2:TIDIG_COMP_CNT: 0
	.section	.text._ZN7rocprim17ROCPRIM_400000_NS6detail17trampoline_kernelINS0_13select_configILj256ELj13ELNS0_17block_load_methodE3ELS4_3ELS4_3ELNS0_20block_scan_algorithmE0ELj4294967295EEENS1_25partition_config_selectorILNS1_17partition_subalgoE3EjNS0_10empty_typeEbEEZZNS1_14partition_implILS8_3ELb0ES6_jNS0_17counting_iteratorIjlEEPS9_SE_NS0_5tupleIJPjSE_EEENSF_IJSE_SE_EEES9_SG_JZNS1_25segmented_radix_sort_implINS0_14default_configELb0EPK12hip_bfloat16PSL_PKlPlN2at6native12_GLOBAL__N_18offset_tEEE10hipError_tPvRmT1_PNSt15iterator_traitsISZ_E10value_typeET2_T3_PNS10_IS15_E10value_typeET4_jRbjT5_S1B_jjP12ihipStream_tbEUljE_EEESW_SX_SY_S15_S19_S1B_T6_T7_T9_mT8_S1D_bDpT10_ENKUlT_T0_E_clISt17integral_constantIbLb0EES1Q_EEDaS1L_S1M_EUlS1L_E_NS1_11comp_targetILNS1_3genE8ELNS1_11target_archE1030ELNS1_3gpuE2ELNS1_3repE0EEENS1_30default_config_static_selectorELNS0_4arch9wavefront6targetE0EEEvSZ_,"axG",@progbits,_ZN7rocprim17ROCPRIM_400000_NS6detail17trampoline_kernelINS0_13select_configILj256ELj13ELNS0_17block_load_methodE3ELS4_3ELS4_3ELNS0_20block_scan_algorithmE0ELj4294967295EEENS1_25partition_config_selectorILNS1_17partition_subalgoE3EjNS0_10empty_typeEbEEZZNS1_14partition_implILS8_3ELb0ES6_jNS0_17counting_iteratorIjlEEPS9_SE_NS0_5tupleIJPjSE_EEENSF_IJSE_SE_EEES9_SG_JZNS1_25segmented_radix_sort_implINS0_14default_configELb0EPK12hip_bfloat16PSL_PKlPlN2at6native12_GLOBAL__N_18offset_tEEE10hipError_tPvRmT1_PNSt15iterator_traitsISZ_E10value_typeET2_T3_PNS10_IS15_E10value_typeET4_jRbjT5_S1B_jjP12ihipStream_tbEUljE_EEESW_SX_SY_S15_S19_S1B_T6_T7_T9_mT8_S1D_bDpT10_ENKUlT_T0_E_clISt17integral_constantIbLb0EES1Q_EEDaS1L_S1M_EUlS1L_E_NS1_11comp_targetILNS1_3genE8ELNS1_11target_archE1030ELNS1_3gpuE2ELNS1_3repE0EEENS1_30default_config_static_selectorELNS0_4arch9wavefront6targetE0EEEvSZ_,comdat
	.globl	_ZN7rocprim17ROCPRIM_400000_NS6detail17trampoline_kernelINS0_13select_configILj256ELj13ELNS0_17block_load_methodE3ELS4_3ELS4_3ELNS0_20block_scan_algorithmE0ELj4294967295EEENS1_25partition_config_selectorILNS1_17partition_subalgoE3EjNS0_10empty_typeEbEEZZNS1_14partition_implILS8_3ELb0ES6_jNS0_17counting_iteratorIjlEEPS9_SE_NS0_5tupleIJPjSE_EEENSF_IJSE_SE_EEES9_SG_JZNS1_25segmented_radix_sort_implINS0_14default_configELb0EPK12hip_bfloat16PSL_PKlPlN2at6native12_GLOBAL__N_18offset_tEEE10hipError_tPvRmT1_PNSt15iterator_traitsISZ_E10value_typeET2_T3_PNS10_IS15_E10value_typeET4_jRbjT5_S1B_jjP12ihipStream_tbEUljE_EEESW_SX_SY_S15_S19_S1B_T6_T7_T9_mT8_S1D_bDpT10_ENKUlT_T0_E_clISt17integral_constantIbLb0EES1Q_EEDaS1L_S1M_EUlS1L_E_NS1_11comp_targetILNS1_3genE8ELNS1_11target_archE1030ELNS1_3gpuE2ELNS1_3repE0EEENS1_30default_config_static_selectorELNS0_4arch9wavefront6targetE0EEEvSZ_ ; -- Begin function _ZN7rocprim17ROCPRIM_400000_NS6detail17trampoline_kernelINS0_13select_configILj256ELj13ELNS0_17block_load_methodE3ELS4_3ELS4_3ELNS0_20block_scan_algorithmE0ELj4294967295EEENS1_25partition_config_selectorILNS1_17partition_subalgoE3EjNS0_10empty_typeEbEEZZNS1_14partition_implILS8_3ELb0ES6_jNS0_17counting_iteratorIjlEEPS9_SE_NS0_5tupleIJPjSE_EEENSF_IJSE_SE_EEES9_SG_JZNS1_25segmented_radix_sort_implINS0_14default_configELb0EPK12hip_bfloat16PSL_PKlPlN2at6native12_GLOBAL__N_18offset_tEEE10hipError_tPvRmT1_PNSt15iterator_traitsISZ_E10value_typeET2_T3_PNS10_IS15_E10value_typeET4_jRbjT5_S1B_jjP12ihipStream_tbEUljE_EEESW_SX_SY_S15_S19_S1B_T6_T7_T9_mT8_S1D_bDpT10_ENKUlT_T0_E_clISt17integral_constantIbLb0EES1Q_EEDaS1L_S1M_EUlS1L_E_NS1_11comp_targetILNS1_3genE8ELNS1_11target_archE1030ELNS1_3gpuE2ELNS1_3repE0EEENS1_30default_config_static_selectorELNS0_4arch9wavefront6targetE0EEEvSZ_
	.p2align	8
	.type	_ZN7rocprim17ROCPRIM_400000_NS6detail17trampoline_kernelINS0_13select_configILj256ELj13ELNS0_17block_load_methodE3ELS4_3ELS4_3ELNS0_20block_scan_algorithmE0ELj4294967295EEENS1_25partition_config_selectorILNS1_17partition_subalgoE3EjNS0_10empty_typeEbEEZZNS1_14partition_implILS8_3ELb0ES6_jNS0_17counting_iteratorIjlEEPS9_SE_NS0_5tupleIJPjSE_EEENSF_IJSE_SE_EEES9_SG_JZNS1_25segmented_radix_sort_implINS0_14default_configELb0EPK12hip_bfloat16PSL_PKlPlN2at6native12_GLOBAL__N_18offset_tEEE10hipError_tPvRmT1_PNSt15iterator_traitsISZ_E10value_typeET2_T3_PNS10_IS15_E10value_typeET4_jRbjT5_S1B_jjP12ihipStream_tbEUljE_EEESW_SX_SY_S15_S19_S1B_T6_T7_T9_mT8_S1D_bDpT10_ENKUlT_T0_E_clISt17integral_constantIbLb0EES1Q_EEDaS1L_S1M_EUlS1L_E_NS1_11comp_targetILNS1_3genE8ELNS1_11target_archE1030ELNS1_3gpuE2ELNS1_3repE0EEENS1_30default_config_static_selectorELNS0_4arch9wavefront6targetE0EEEvSZ_,@function
_ZN7rocprim17ROCPRIM_400000_NS6detail17trampoline_kernelINS0_13select_configILj256ELj13ELNS0_17block_load_methodE3ELS4_3ELS4_3ELNS0_20block_scan_algorithmE0ELj4294967295EEENS1_25partition_config_selectorILNS1_17partition_subalgoE3EjNS0_10empty_typeEbEEZZNS1_14partition_implILS8_3ELb0ES6_jNS0_17counting_iteratorIjlEEPS9_SE_NS0_5tupleIJPjSE_EEENSF_IJSE_SE_EEES9_SG_JZNS1_25segmented_radix_sort_implINS0_14default_configELb0EPK12hip_bfloat16PSL_PKlPlN2at6native12_GLOBAL__N_18offset_tEEE10hipError_tPvRmT1_PNSt15iterator_traitsISZ_E10value_typeET2_T3_PNS10_IS15_E10value_typeET4_jRbjT5_S1B_jjP12ihipStream_tbEUljE_EEESW_SX_SY_S15_S19_S1B_T6_T7_T9_mT8_S1D_bDpT10_ENKUlT_T0_E_clISt17integral_constantIbLb0EES1Q_EEDaS1L_S1M_EUlS1L_E_NS1_11comp_targetILNS1_3genE8ELNS1_11target_archE1030ELNS1_3gpuE2ELNS1_3repE0EEENS1_30default_config_static_selectorELNS0_4arch9wavefront6targetE0EEEvSZ_: ; @_ZN7rocprim17ROCPRIM_400000_NS6detail17trampoline_kernelINS0_13select_configILj256ELj13ELNS0_17block_load_methodE3ELS4_3ELS4_3ELNS0_20block_scan_algorithmE0ELj4294967295EEENS1_25partition_config_selectorILNS1_17partition_subalgoE3EjNS0_10empty_typeEbEEZZNS1_14partition_implILS8_3ELb0ES6_jNS0_17counting_iteratorIjlEEPS9_SE_NS0_5tupleIJPjSE_EEENSF_IJSE_SE_EEES9_SG_JZNS1_25segmented_radix_sort_implINS0_14default_configELb0EPK12hip_bfloat16PSL_PKlPlN2at6native12_GLOBAL__N_18offset_tEEE10hipError_tPvRmT1_PNSt15iterator_traitsISZ_E10value_typeET2_T3_PNS10_IS15_E10value_typeET4_jRbjT5_S1B_jjP12ihipStream_tbEUljE_EEESW_SX_SY_S15_S19_S1B_T6_T7_T9_mT8_S1D_bDpT10_ENKUlT_T0_E_clISt17integral_constantIbLb0EES1Q_EEDaS1L_S1M_EUlS1L_E_NS1_11comp_targetILNS1_3genE8ELNS1_11target_archE1030ELNS1_3gpuE2ELNS1_3repE0EEENS1_30default_config_static_selectorELNS0_4arch9wavefront6targetE0EEEvSZ_
; %bb.0:
	.section	.rodata,"a",@progbits
	.p2align	6, 0x0
	.amdhsa_kernel _ZN7rocprim17ROCPRIM_400000_NS6detail17trampoline_kernelINS0_13select_configILj256ELj13ELNS0_17block_load_methodE3ELS4_3ELS4_3ELNS0_20block_scan_algorithmE0ELj4294967295EEENS1_25partition_config_selectorILNS1_17partition_subalgoE3EjNS0_10empty_typeEbEEZZNS1_14partition_implILS8_3ELb0ES6_jNS0_17counting_iteratorIjlEEPS9_SE_NS0_5tupleIJPjSE_EEENSF_IJSE_SE_EEES9_SG_JZNS1_25segmented_radix_sort_implINS0_14default_configELb0EPK12hip_bfloat16PSL_PKlPlN2at6native12_GLOBAL__N_18offset_tEEE10hipError_tPvRmT1_PNSt15iterator_traitsISZ_E10value_typeET2_T3_PNS10_IS15_E10value_typeET4_jRbjT5_S1B_jjP12ihipStream_tbEUljE_EEESW_SX_SY_S15_S19_S1B_T6_T7_T9_mT8_S1D_bDpT10_ENKUlT_T0_E_clISt17integral_constantIbLb0EES1Q_EEDaS1L_S1M_EUlS1L_E_NS1_11comp_targetILNS1_3genE8ELNS1_11target_archE1030ELNS1_3gpuE2ELNS1_3repE0EEENS1_30default_config_static_selectorELNS0_4arch9wavefront6targetE0EEEvSZ_
		.amdhsa_group_segment_fixed_size 0
		.amdhsa_private_segment_fixed_size 0
		.amdhsa_kernarg_size 144
		.amdhsa_user_sgpr_count 2
		.amdhsa_user_sgpr_dispatch_ptr 0
		.amdhsa_user_sgpr_queue_ptr 0
		.amdhsa_user_sgpr_kernarg_segment_ptr 1
		.amdhsa_user_sgpr_dispatch_id 0
		.amdhsa_user_sgpr_private_segment_size 0
		.amdhsa_wavefront_size32 1
		.amdhsa_uses_dynamic_stack 0
		.amdhsa_enable_private_segment 0
		.amdhsa_system_sgpr_workgroup_id_x 1
		.amdhsa_system_sgpr_workgroup_id_y 0
		.amdhsa_system_sgpr_workgroup_id_z 0
		.amdhsa_system_sgpr_workgroup_info 0
		.amdhsa_system_vgpr_workitem_id 0
		.amdhsa_next_free_vgpr 1
		.amdhsa_next_free_sgpr 1
		.amdhsa_reserve_vcc 0
		.amdhsa_float_round_mode_32 0
		.amdhsa_float_round_mode_16_64 0
		.amdhsa_float_denorm_mode_32 3
		.amdhsa_float_denorm_mode_16_64 3
		.amdhsa_fp16_overflow 0
		.amdhsa_workgroup_processor_mode 1
		.amdhsa_memory_ordered 1
		.amdhsa_forward_progress 1
		.amdhsa_inst_pref_size 0
		.amdhsa_round_robin_scheduling 0
		.amdhsa_exception_fp_ieee_invalid_op 0
		.amdhsa_exception_fp_denorm_src 0
		.amdhsa_exception_fp_ieee_div_zero 0
		.amdhsa_exception_fp_ieee_overflow 0
		.amdhsa_exception_fp_ieee_underflow 0
		.amdhsa_exception_fp_ieee_inexact 0
		.amdhsa_exception_int_div_zero 0
	.end_amdhsa_kernel
	.section	.text._ZN7rocprim17ROCPRIM_400000_NS6detail17trampoline_kernelINS0_13select_configILj256ELj13ELNS0_17block_load_methodE3ELS4_3ELS4_3ELNS0_20block_scan_algorithmE0ELj4294967295EEENS1_25partition_config_selectorILNS1_17partition_subalgoE3EjNS0_10empty_typeEbEEZZNS1_14partition_implILS8_3ELb0ES6_jNS0_17counting_iteratorIjlEEPS9_SE_NS0_5tupleIJPjSE_EEENSF_IJSE_SE_EEES9_SG_JZNS1_25segmented_radix_sort_implINS0_14default_configELb0EPK12hip_bfloat16PSL_PKlPlN2at6native12_GLOBAL__N_18offset_tEEE10hipError_tPvRmT1_PNSt15iterator_traitsISZ_E10value_typeET2_T3_PNS10_IS15_E10value_typeET4_jRbjT5_S1B_jjP12ihipStream_tbEUljE_EEESW_SX_SY_S15_S19_S1B_T6_T7_T9_mT8_S1D_bDpT10_ENKUlT_T0_E_clISt17integral_constantIbLb0EES1Q_EEDaS1L_S1M_EUlS1L_E_NS1_11comp_targetILNS1_3genE8ELNS1_11target_archE1030ELNS1_3gpuE2ELNS1_3repE0EEENS1_30default_config_static_selectorELNS0_4arch9wavefront6targetE0EEEvSZ_,"axG",@progbits,_ZN7rocprim17ROCPRIM_400000_NS6detail17trampoline_kernelINS0_13select_configILj256ELj13ELNS0_17block_load_methodE3ELS4_3ELS4_3ELNS0_20block_scan_algorithmE0ELj4294967295EEENS1_25partition_config_selectorILNS1_17partition_subalgoE3EjNS0_10empty_typeEbEEZZNS1_14partition_implILS8_3ELb0ES6_jNS0_17counting_iteratorIjlEEPS9_SE_NS0_5tupleIJPjSE_EEENSF_IJSE_SE_EEES9_SG_JZNS1_25segmented_radix_sort_implINS0_14default_configELb0EPK12hip_bfloat16PSL_PKlPlN2at6native12_GLOBAL__N_18offset_tEEE10hipError_tPvRmT1_PNSt15iterator_traitsISZ_E10value_typeET2_T3_PNS10_IS15_E10value_typeET4_jRbjT5_S1B_jjP12ihipStream_tbEUljE_EEESW_SX_SY_S15_S19_S1B_T6_T7_T9_mT8_S1D_bDpT10_ENKUlT_T0_E_clISt17integral_constantIbLb0EES1Q_EEDaS1L_S1M_EUlS1L_E_NS1_11comp_targetILNS1_3genE8ELNS1_11target_archE1030ELNS1_3gpuE2ELNS1_3repE0EEENS1_30default_config_static_selectorELNS0_4arch9wavefront6targetE0EEEvSZ_,comdat
.Lfunc_end2024:
	.size	_ZN7rocprim17ROCPRIM_400000_NS6detail17trampoline_kernelINS0_13select_configILj256ELj13ELNS0_17block_load_methodE3ELS4_3ELS4_3ELNS0_20block_scan_algorithmE0ELj4294967295EEENS1_25partition_config_selectorILNS1_17partition_subalgoE3EjNS0_10empty_typeEbEEZZNS1_14partition_implILS8_3ELb0ES6_jNS0_17counting_iteratorIjlEEPS9_SE_NS0_5tupleIJPjSE_EEENSF_IJSE_SE_EEES9_SG_JZNS1_25segmented_radix_sort_implINS0_14default_configELb0EPK12hip_bfloat16PSL_PKlPlN2at6native12_GLOBAL__N_18offset_tEEE10hipError_tPvRmT1_PNSt15iterator_traitsISZ_E10value_typeET2_T3_PNS10_IS15_E10value_typeET4_jRbjT5_S1B_jjP12ihipStream_tbEUljE_EEESW_SX_SY_S15_S19_S1B_T6_T7_T9_mT8_S1D_bDpT10_ENKUlT_T0_E_clISt17integral_constantIbLb0EES1Q_EEDaS1L_S1M_EUlS1L_E_NS1_11comp_targetILNS1_3genE8ELNS1_11target_archE1030ELNS1_3gpuE2ELNS1_3repE0EEENS1_30default_config_static_selectorELNS0_4arch9wavefront6targetE0EEEvSZ_, .Lfunc_end2024-_ZN7rocprim17ROCPRIM_400000_NS6detail17trampoline_kernelINS0_13select_configILj256ELj13ELNS0_17block_load_methodE3ELS4_3ELS4_3ELNS0_20block_scan_algorithmE0ELj4294967295EEENS1_25partition_config_selectorILNS1_17partition_subalgoE3EjNS0_10empty_typeEbEEZZNS1_14partition_implILS8_3ELb0ES6_jNS0_17counting_iteratorIjlEEPS9_SE_NS0_5tupleIJPjSE_EEENSF_IJSE_SE_EEES9_SG_JZNS1_25segmented_radix_sort_implINS0_14default_configELb0EPK12hip_bfloat16PSL_PKlPlN2at6native12_GLOBAL__N_18offset_tEEE10hipError_tPvRmT1_PNSt15iterator_traitsISZ_E10value_typeET2_T3_PNS10_IS15_E10value_typeET4_jRbjT5_S1B_jjP12ihipStream_tbEUljE_EEESW_SX_SY_S15_S19_S1B_T6_T7_T9_mT8_S1D_bDpT10_ENKUlT_T0_E_clISt17integral_constantIbLb0EES1Q_EEDaS1L_S1M_EUlS1L_E_NS1_11comp_targetILNS1_3genE8ELNS1_11target_archE1030ELNS1_3gpuE2ELNS1_3repE0EEENS1_30default_config_static_selectorELNS0_4arch9wavefront6targetE0EEEvSZ_
                                        ; -- End function
	.set _ZN7rocprim17ROCPRIM_400000_NS6detail17trampoline_kernelINS0_13select_configILj256ELj13ELNS0_17block_load_methodE3ELS4_3ELS4_3ELNS0_20block_scan_algorithmE0ELj4294967295EEENS1_25partition_config_selectorILNS1_17partition_subalgoE3EjNS0_10empty_typeEbEEZZNS1_14partition_implILS8_3ELb0ES6_jNS0_17counting_iteratorIjlEEPS9_SE_NS0_5tupleIJPjSE_EEENSF_IJSE_SE_EEES9_SG_JZNS1_25segmented_radix_sort_implINS0_14default_configELb0EPK12hip_bfloat16PSL_PKlPlN2at6native12_GLOBAL__N_18offset_tEEE10hipError_tPvRmT1_PNSt15iterator_traitsISZ_E10value_typeET2_T3_PNS10_IS15_E10value_typeET4_jRbjT5_S1B_jjP12ihipStream_tbEUljE_EEESW_SX_SY_S15_S19_S1B_T6_T7_T9_mT8_S1D_bDpT10_ENKUlT_T0_E_clISt17integral_constantIbLb0EES1Q_EEDaS1L_S1M_EUlS1L_E_NS1_11comp_targetILNS1_3genE8ELNS1_11target_archE1030ELNS1_3gpuE2ELNS1_3repE0EEENS1_30default_config_static_selectorELNS0_4arch9wavefront6targetE0EEEvSZ_.num_vgpr, 0
	.set _ZN7rocprim17ROCPRIM_400000_NS6detail17trampoline_kernelINS0_13select_configILj256ELj13ELNS0_17block_load_methodE3ELS4_3ELS4_3ELNS0_20block_scan_algorithmE0ELj4294967295EEENS1_25partition_config_selectorILNS1_17partition_subalgoE3EjNS0_10empty_typeEbEEZZNS1_14partition_implILS8_3ELb0ES6_jNS0_17counting_iteratorIjlEEPS9_SE_NS0_5tupleIJPjSE_EEENSF_IJSE_SE_EEES9_SG_JZNS1_25segmented_radix_sort_implINS0_14default_configELb0EPK12hip_bfloat16PSL_PKlPlN2at6native12_GLOBAL__N_18offset_tEEE10hipError_tPvRmT1_PNSt15iterator_traitsISZ_E10value_typeET2_T3_PNS10_IS15_E10value_typeET4_jRbjT5_S1B_jjP12ihipStream_tbEUljE_EEESW_SX_SY_S15_S19_S1B_T6_T7_T9_mT8_S1D_bDpT10_ENKUlT_T0_E_clISt17integral_constantIbLb0EES1Q_EEDaS1L_S1M_EUlS1L_E_NS1_11comp_targetILNS1_3genE8ELNS1_11target_archE1030ELNS1_3gpuE2ELNS1_3repE0EEENS1_30default_config_static_selectorELNS0_4arch9wavefront6targetE0EEEvSZ_.num_agpr, 0
	.set _ZN7rocprim17ROCPRIM_400000_NS6detail17trampoline_kernelINS0_13select_configILj256ELj13ELNS0_17block_load_methodE3ELS4_3ELS4_3ELNS0_20block_scan_algorithmE0ELj4294967295EEENS1_25partition_config_selectorILNS1_17partition_subalgoE3EjNS0_10empty_typeEbEEZZNS1_14partition_implILS8_3ELb0ES6_jNS0_17counting_iteratorIjlEEPS9_SE_NS0_5tupleIJPjSE_EEENSF_IJSE_SE_EEES9_SG_JZNS1_25segmented_radix_sort_implINS0_14default_configELb0EPK12hip_bfloat16PSL_PKlPlN2at6native12_GLOBAL__N_18offset_tEEE10hipError_tPvRmT1_PNSt15iterator_traitsISZ_E10value_typeET2_T3_PNS10_IS15_E10value_typeET4_jRbjT5_S1B_jjP12ihipStream_tbEUljE_EEESW_SX_SY_S15_S19_S1B_T6_T7_T9_mT8_S1D_bDpT10_ENKUlT_T0_E_clISt17integral_constantIbLb0EES1Q_EEDaS1L_S1M_EUlS1L_E_NS1_11comp_targetILNS1_3genE8ELNS1_11target_archE1030ELNS1_3gpuE2ELNS1_3repE0EEENS1_30default_config_static_selectorELNS0_4arch9wavefront6targetE0EEEvSZ_.numbered_sgpr, 0
	.set _ZN7rocprim17ROCPRIM_400000_NS6detail17trampoline_kernelINS0_13select_configILj256ELj13ELNS0_17block_load_methodE3ELS4_3ELS4_3ELNS0_20block_scan_algorithmE0ELj4294967295EEENS1_25partition_config_selectorILNS1_17partition_subalgoE3EjNS0_10empty_typeEbEEZZNS1_14partition_implILS8_3ELb0ES6_jNS0_17counting_iteratorIjlEEPS9_SE_NS0_5tupleIJPjSE_EEENSF_IJSE_SE_EEES9_SG_JZNS1_25segmented_radix_sort_implINS0_14default_configELb0EPK12hip_bfloat16PSL_PKlPlN2at6native12_GLOBAL__N_18offset_tEEE10hipError_tPvRmT1_PNSt15iterator_traitsISZ_E10value_typeET2_T3_PNS10_IS15_E10value_typeET4_jRbjT5_S1B_jjP12ihipStream_tbEUljE_EEESW_SX_SY_S15_S19_S1B_T6_T7_T9_mT8_S1D_bDpT10_ENKUlT_T0_E_clISt17integral_constantIbLb0EES1Q_EEDaS1L_S1M_EUlS1L_E_NS1_11comp_targetILNS1_3genE8ELNS1_11target_archE1030ELNS1_3gpuE2ELNS1_3repE0EEENS1_30default_config_static_selectorELNS0_4arch9wavefront6targetE0EEEvSZ_.num_named_barrier, 0
	.set _ZN7rocprim17ROCPRIM_400000_NS6detail17trampoline_kernelINS0_13select_configILj256ELj13ELNS0_17block_load_methodE3ELS4_3ELS4_3ELNS0_20block_scan_algorithmE0ELj4294967295EEENS1_25partition_config_selectorILNS1_17partition_subalgoE3EjNS0_10empty_typeEbEEZZNS1_14partition_implILS8_3ELb0ES6_jNS0_17counting_iteratorIjlEEPS9_SE_NS0_5tupleIJPjSE_EEENSF_IJSE_SE_EEES9_SG_JZNS1_25segmented_radix_sort_implINS0_14default_configELb0EPK12hip_bfloat16PSL_PKlPlN2at6native12_GLOBAL__N_18offset_tEEE10hipError_tPvRmT1_PNSt15iterator_traitsISZ_E10value_typeET2_T3_PNS10_IS15_E10value_typeET4_jRbjT5_S1B_jjP12ihipStream_tbEUljE_EEESW_SX_SY_S15_S19_S1B_T6_T7_T9_mT8_S1D_bDpT10_ENKUlT_T0_E_clISt17integral_constantIbLb0EES1Q_EEDaS1L_S1M_EUlS1L_E_NS1_11comp_targetILNS1_3genE8ELNS1_11target_archE1030ELNS1_3gpuE2ELNS1_3repE0EEENS1_30default_config_static_selectorELNS0_4arch9wavefront6targetE0EEEvSZ_.private_seg_size, 0
	.set _ZN7rocprim17ROCPRIM_400000_NS6detail17trampoline_kernelINS0_13select_configILj256ELj13ELNS0_17block_load_methodE3ELS4_3ELS4_3ELNS0_20block_scan_algorithmE0ELj4294967295EEENS1_25partition_config_selectorILNS1_17partition_subalgoE3EjNS0_10empty_typeEbEEZZNS1_14partition_implILS8_3ELb0ES6_jNS0_17counting_iteratorIjlEEPS9_SE_NS0_5tupleIJPjSE_EEENSF_IJSE_SE_EEES9_SG_JZNS1_25segmented_radix_sort_implINS0_14default_configELb0EPK12hip_bfloat16PSL_PKlPlN2at6native12_GLOBAL__N_18offset_tEEE10hipError_tPvRmT1_PNSt15iterator_traitsISZ_E10value_typeET2_T3_PNS10_IS15_E10value_typeET4_jRbjT5_S1B_jjP12ihipStream_tbEUljE_EEESW_SX_SY_S15_S19_S1B_T6_T7_T9_mT8_S1D_bDpT10_ENKUlT_T0_E_clISt17integral_constantIbLb0EES1Q_EEDaS1L_S1M_EUlS1L_E_NS1_11comp_targetILNS1_3genE8ELNS1_11target_archE1030ELNS1_3gpuE2ELNS1_3repE0EEENS1_30default_config_static_selectorELNS0_4arch9wavefront6targetE0EEEvSZ_.uses_vcc, 0
	.set _ZN7rocprim17ROCPRIM_400000_NS6detail17trampoline_kernelINS0_13select_configILj256ELj13ELNS0_17block_load_methodE3ELS4_3ELS4_3ELNS0_20block_scan_algorithmE0ELj4294967295EEENS1_25partition_config_selectorILNS1_17partition_subalgoE3EjNS0_10empty_typeEbEEZZNS1_14partition_implILS8_3ELb0ES6_jNS0_17counting_iteratorIjlEEPS9_SE_NS0_5tupleIJPjSE_EEENSF_IJSE_SE_EEES9_SG_JZNS1_25segmented_radix_sort_implINS0_14default_configELb0EPK12hip_bfloat16PSL_PKlPlN2at6native12_GLOBAL__N_18offset_tEEE10hipError_tPvRmT1_PNSt15iterator_traitsISZ_E10value_typeET2_T3_PNS10_IS15_E10value_typeET4_jRbjT5_S1B_jjP12ihipStream_tbEUljE_EEESW_SX_SY_S15_S19_S1B_T6_T7_T9_mT8_S1D_bDpT10_ENKUlT_T0_E_clISt17integral_constantIbLb0EES1Q_EEDaS1L_S1M_EUlS1L_E_NS1_11comp_targetILNS1_3genE8ELNS1_11target_archE1030ELNS1_3gpuE2ELNS1_3repE0EEENS1_30default_config_static_selectorELNS0_4arch9wavefront6targetE0EEEvSZ_.uses_flat_scratch, 0
	.set _ZN7rocprim17ROCPRIM_400000_NS6detail17trampoline_kernelINS0_13select_configILj256ELj13ELNS0_17block_load_methodE3ELS4_3ELS4_3ELNS0_20block_scan_algorithmE0ELj4294967295EEENS1_25partition_config_selectorILNS1_17partition_subalgoE3EjNS0_10empty_typeEbEEZZNS1_14partition_implILS8_3ELb0ES6_jNS0_17counting_iteratorIjlEEPS9_SE_NS0_5tupleIJPjSE_EEENSF_IJSE_SE_EEES9_SG_JZNS1_25segmented_radix_sort_implINS0_14default_configELb0EPK12hip_bfloat16PSL_PKlPlN2at6native12_GLOBAL__N_18offset_tEEE10hipError_tPvRmT1_PNSt15iterator_traitsISZ_E10value_typeET2_T3_PNS10_IS15_E10value_typeET4_jRbjT5_S1B_jjP12ihipStream_tbEUljE_EEESW_SX_SY_S15_S19_S1B_T6_T7_T9_mT8_S1D_bDpT10_ENKUlT_T0_E_clISt17integral_constantIbLb0EES1Q_EEDaS1L_S1M_EUlS1L_E_NS1_11comp_targetILNS1_3genE8ELNS1_11target_archE1030ELNS1_3gpuE2ELNS1_3repE0EEENS1_30default_config_static_selectorELNS0_4arch9wavefront6targetE0EEEvSZ_.has_dyn_sized_stack, 0
	.set _ZN7rocprim17ROCPRIM_400000_NS6detail17trampoline_kernelINS0_13select_configILj256ELj13ELNS0_17block_load_methodE3ELS4_3ELS4_3ELNS0_20block_scan_algorithmE0ELj4294967295EEENS1_25partition_config_selectorILNS1_17partition_subalgoE3EjNS0_10empty_typeEbEEZZNS1_14partition_implILS8_3ELb0ES6_jNS0_17counting_iteratorIjlEEPS9_SE_NS0_5tupleIJPjSE_EEENSF_IJSE_SE_EEES9_SG_JZNS1_25segmented_radix_sort_implINS0_14default_configELb0EPK12hip_bfloat16PSL_PKlPlN2at6native12_GLOBAL__N_18offset_tEEE10hipError_tPvRmT1_PNSt15iterator_traitsISZ_E10value_typeET2_T3_PNS10_IS15_E10value_typeET4_jRbjT5_S1B_jjP12ihipStream_tbEUljE_EEESW_SX_SY_S15_S19_S1B_T6_T7_T9_mT8_S1D_bDpT10_ENKUlT_T0_E_clISt17integral_constantIbLb0EES1Q_EEDaS1L_S1M_EUlS1L_E_NS1_11comp_targetILNS1_3genE8ELNS1_11target_archE1030ELNS1_3gpuE2ELNS1_3repE0EEENS1_30default_config_static_selectorELNS0_4arch9wavefront6targetE0EEEvSZ_.has_recursion, 0
	.set _ZN7rocprim17ROCPRIM_400000_NS6detail17trampoline_kernelINS0_13select_configILj256ELj13ELNS0_17block_load_methodE3ELS4_3ELS4_3ELNS0_20block_scan_algorithmE0ELj4294967295EEENS1_25partition_config_selectorILNS1_17partition_subalgoE3EjNS0_10empty_typeEbEEZZNS1_14partition_implILS8_3ELb0ES6_jNS0_17counting_iteratorIjlEEPS9_SE_NS0_5tupleIJPjSE_EEENSF_IJSE_SE_EEES9_SG_JZNS1_25segmented_radix_sort_implINS0_14default_configELb0EPK12hip_bfloat16PSL_PKlPlN2at6native12_GLOBAL__N_18offset_tEEE10hipError_tPvRmT1_PNSt15iterator_traitsISZ_E10value_typeET2_T3_PNS10_IS15_E10value_typeET4_jRbjT5_S1B_jjP12ihipStream_tbEUljE_EEESW_SX_SY_S15_S19_S1B_T6_T7_T9_mT8_S1D_bDpT10_ENKUlT_T0_E_clISt17integral_constantIbLb0EES1Q_EEDaS1L_S1M_EUlS1L_E_NS1_11comp_targetILNS1_3genE8ELNS1_11target_archE1030ELNS1_3gpuE2ELNS1_3repE0EEENS1_30default_config_static_selectorELNS0_4arch9wavefront6targetE0EEEvSZ_.has_indirect_call, 0
	.section	.AMDGPU.csdata,"",@progbits
; Kernel info:
; codeLenInByte = 0
; TotalNumSgprs: 0
; NumVgprs: 0
; ScratchSize: 0
; MemoryBound: 0
; FloatMode: 240
; IeeeMode: 1
; LDSByteSize: 0 bytes/workgroup (compile time only)
; SGPRBlocks: 0
; VGPRBlocks: 0
; NumSGPRsForWavesPerEU: 1
; NumVGPRsForWavesPerEU: 1
; Occupancy: 16
; WaveLimiterHint : 0
; COMPUTE_PGM_RSRC2:SCRATCH_EN: 0
; COMPUTE_PGM_RSRC2:USER_SGPR: 2
; COMPUTE_PGM_RSRC2:TRAP_HANDLER: 0
; COMPUTE_PGM_RSRC2:TGID_X_EN: 1
; COMPUTE_PGM_RSRC2:TGID_Y_EN: 0
; COMPUTE_PGM_RSRC2:TGID_Z_EN: 0
; COMPUTE_PGM_RSRC2:TIDIG_COMP_CNT: 0
	.section	.text._ZN7rocprim17ROCPRIM_400000_NS6detail17trampoline_kernelINS0_13select_configILj256ELj13ELNS0_17block_load_methodE3ELS4_3ELS4_3ELNS0_20block_scan_algorithmE0ELj4294967295EEENS1_25partition_config_selectorILNS1_17partition_subalgoE3EjNS0_10empty_typeEbEEZZNS1_14partition_implILS8_3ELb0ES6_jNS0_17counting_iteratorIjlEEPS9_SE_NS0_5tupleIJPjSE_EEENSF_IJSE_SE_EEES9_SG_JZNS1_25segmented_radix_sort_implINS0_14default_configELb0EPK12hip_bfloat16PSL_PKlPlN2at6native12_GLOBAL__N_18offset_tEEE10hipError_tPvRmT1_PNSt15iterator_traitsISZ_E10value_typeET2_T3_PNS10_IS15_E10value_typeET4_jRbjT5_S1B_jjP12ihipStream_tbEUljE_EEESW_SX_SY_S15_S19_S1B_T6_T7_T9_mT8_S1D_bDpT10_ENKUlT_T0_E_clISt17integral_constantIbLb1EES1Q_EEDaS1L_S1M_EUlS1L_E_NS1_11comp_targetILNS1_3genE0ELNS1_11target_archE4294967295ELNS1_3gpuE0ELNS1_3repE0EEENS1_30default_config_static_selectorELNS0_4arch9wavefront6targetE0EEEvSZ_,"axG",@progbits,_ZN7rocprim17ROCPRIM_400000_NS6detail17trampoline_kernelINS0_13select_configILj256ELj13ELNS0_17block_load_methodE3ELS4_3ELS4_3ELNS0_20block_scan_algorithmE0ELj4294967295EEENS1_25partition_config_selectorILNS1_17partition_subalgoE3EjNS0_10empty_typeEbEEZZNS1_14partition_implILS8_3ELb0ES6_jNS0_17counting_iteratorIjlEEPS9_SE_NS0_5tupleIJPjSE_EEENSF_IJSE_SE_EEES9_SG_JZNS1_25segmented_radix_sort_implINS0_14default_configELb0EPK12hip_bfloat16PSL_PKlPlN2at6native12_GLOBAL__N_18offset_tEEE10hipError_tPvRmT1_PNSt15iterator_traitsISZ_E10value_typeET2_T3_PNS10_IS15_E10value_typeET4_jRbjT5_S1B_jjP12ihipStream_tbEUljE_EEESW_SX_SY_S15_S19_S1B_T6_T7_T9_mT8_S1D_bDpT10_ENKUlT_T0_E_clISt17integral_constantIbLb1EES1Q_EEDaS1L_S1M_EUlS1L_E_NS1_11comp_targetILNS1_3genE0ELNS1_11target_archE4294967295ELNS1_3gpuE0ELNS1_3repE0EEENS1_30default_config_static_selectorELNS0_4arch9wavefront6targetE0EEEvSZ_,comdat
	.globl	_ZN7rocprim17ROCPRIM_400000_NS6detail17trampoline_kernelINS0_13select_configILj256ELj13ELNS0_17block_load_methodE3ELS4_3ELS4_3ELNS0_20block_scan_algorithmE0ELj4294967295EEENS1_25partition_config_selectorILNS1_17partition_subalgoE3EjNS0_10empty_typeEbEEZZNS1_14partition_implILS8_3ELb0ES6_jNS0_17counting_iteratorIjlEEPS9_SE_NS0_5tupleIJPjSE_EEENSF_IJSE_SE_EEES9_SG_JZNS1_25segmented_radix_sort_implINS0_14default_configELb0EPK12hip_bfloat16PSL_PKlPlN2at6native12_GLOBAL__N_18offset_tEEE10hipError_tPvRmT1_PNSt15iterator_traitsISZ_E10value_typeET2_T3_PNS10_IS15_E10value_typeET4_jRbjT5_S1B_jjP12ihipStream_tbEUljE_EEESW_SX_SY_S15_S19_S1B_T6_T7_T9_mT8_S1D_bDpT10_ENKUlT_T0_E_clISt17integral_constantIbLb1EES1Q_EEDaS1L_S1M_EUlS1L_E_NS1_11comp_targetILNS1_3genE0ELNS1_11target_archE4294967295ELNS1_3gpuE0ELNS1_3repE0EEENS1_30default_config_static_selectorELNS0_4arch9wavefront6targetE0EEEvSZ_ ; -- Begin function _ZN7rocprim17ROCPRIM_400000_NS6detail17trampoline_kernelINS0_13select_configILj256ELj13ELNS0_17block_load_methodE3ELS4_3ELS4_3ELNS0_20block_scan_algorithmE0ELj4294967295EEENS1_25partition_config_selectorILNS1_17partition_subalgoE3EjNS0_10empty_typeEbEEZZNS1_14partition_implILS8_3ELb0ES6_jNS0_17counting_iteratorIjlEEPS9_SE_NS0_5tupleIJPjSE_EEENSF_IJSE_SE_EEES9_SG_JZNS1_25segmented_radix_sort_implINS0_14default_configELb0EPK12hip_bfloat16PSL_PKlPlN2at6native12_GLOBAL__N_18offset_tEEE10hipError_tPvRmT1_PNSt15iterator_traitsISZ_E10value_typeET2_T3_PNS10_IS15_E10value_typeET4_jRbjT5_S1B_jjP12ihipStream_tbEUljE_EEESW_SX_SY_S15_S19_S1B_T6_T7_T9_mT8_S1D_bDpT10_ENKUlT_T0_E_clISt17integral_constantIbLb1EES1Q_EEDaS1L_S1M_EUlS1L_E_NS1_11comp_targetILNS1_3genE0ELNS1_11target_archE4294967295ELNS1_3gpuE0ELNS1_3repE0EEENS1_30default_config_static_selectorELNS0_4arch9wavefront6targetE0EEEvSZ_
	.p2align	8
	.type	_ZN7rocprim17ROCPRIM_400000_NS6detail17trampoline_kernelINS0_13select_configILj256ELj13ELNS0_17block_load_methodE3ELS4_3ELS4_3ELNS0_20block_scan_algorithmE0ELj4294967295EEENS1_25partition_config_selectorILNS1_17partition_subalgoE3EjNS0_10empty_typeEbEEZZNS1_14partition_implILS8_3ELb0ES6_jNS0_17counting_iteratorIjlEEPS9_SE_NS0_5tupleIJPjSE_EEENSF_IJSE_SE_EEES9_SG_JZNS1_25segmented_radix_sort_implINS0_14default_configELb0EPK12hip_bfloat16PSL_PKlPlN2at6native12_GLOBAL__N_18offset_tEEE10hipError_tPvRmT1_PNSt15iterator_traitsISZ_E10value_typeET2_T3_PNS10_IS15_E10value_typeET4_jRbjT5_S1B_jjP12ihipStream_tbEUljE_EEESW_SX_SY_S15_S19_S1B_T6_T7_T9_mT8_S1D_bDpT10_ENKUlT_T0_E_clISt17integral_constantIbLb1EES1Q_EEDaS1L_S1M_EUlS1L_E_NS1_11comp_targetILNS1_3genE0ELNS1_11target_archE4294967295ELNS1_3gpuE0ELNS1_3repE0EEENS1_30default_config_static_selectorELNS0_4arch9wavefront6targetE0EEEvSZ_,@function
_ZN7rocprim17ROCPRIM_400000_NS6detail17trampoline_kernelINS0_13select_configILj256ELj13ELNS0_17block_load_methodE3ELS4_3ELS4_3ELNS0_20block_scan_algorithmE0ELj4294967295EEENS1_25partition_config_selectorILNS1_17partition_subalgoE3EjNS0_10empty_typeEbEEZZNS1_14partition_implILS8_3ELb0ES6_jNS0_17counting_iteratorIjlEEPS9_SE_NS0_5tupleIJPjSE_EEENSF_IJSE_SE_EEES9_SG_JZNS1_25segmented_radix_sort_implINS0_14default_configELb0EPK12hip_bfloat16PSL_PKlPlN2at6native12_GLOBAL__N_18offset_tEEE10hipError_tPvRmT1_PNSt15iterator_traitsISZ_E10value_typeET2_T3_PNS10_IS15_E10value_typeET4_jRbjT5_S1B_jjP12ihipStream_tbEUljE_EEESW_SX_SY_S15_S19_S1B_T6_T7_T9_mT8_S1D_bDpT10_ENKUlT_T0_E_clISt17integral_constantIbLb1EES1Q_EEDaS1L_S1M_EUlS1L_E_NS1_11comp_targetILNS1_3genE0ELNS1_11target_archE4294967295ELNS1_3gpuE0ELNS1_3repE0EEENS1_30default_config_static_selectorELNS0_4arch9wavefront6targetE0EEEvSZ_: ; @_ZN7rocprim17ROCPRIM_400000_NS6detail17trampoline_kernelINS0_13select_configILj256ELj13ELNS0_17block_load_methodE3ELS4_3ELS4_3ELNS0_20block_scan_algorithmE0ELj4294967295EEENS1_25partition_config_selectorILNS1_17partition_subalgoE3EjNS0_10empty_typeEbEEZZNS1_14partition_implILS8_3ELb0ES6_jNS0_17counting_iteratorIjlEEPS9_SE_NS0_5tupleIJPjSE_EEENSF_IJSE_SE_EEES9_SG_JZNS1_25segmented_radix_sort_implINS0_14default_configELb0EPK12hip_bfloat16PSL_PKlPlN2at6native12_GLOBAL__N_18offset_tEEE10hipError_tPvRmT1_PNSt15iterator_traitsISZ_E10value_typeET2_T3_PNS10_IS15_E10value_typeET4_jRbjT5_S1B_jjP12ihipStream_tbEUljE_EEESW_SX_SY_S15_S19_S1B_T6_T7_T9_mT8_S1D_bDpT10_ENKUlT_T0_E_clISt17integral_constantIbLb1EES1Q_EEDaS1L_S1M_EUlS1L_E_NS1_11comp_targetILNS1_3genE0ELNS1_11target_archE4294967295ELNS1_3gpuE0ELNS1_3repE0EEENS1_30default_config_static_selectorELNS0_4arch9wavefront6targetE0EEEvSZ_
; %bb.0:
	.section	.rodata,"a",@progbits
	.p2align	6, 0x0
	.amdhsa_kernel _ZN7rocprim17ROCPRIM_400000_NS6detail17trampoline_kernelINS0_13select_configILj256ELj13ELNS0_17block_load_methodE3ELS4_3ELS4_3ELNS0_20block_scan_algorithmE0ELj4294967295EEENS1_25partition_config_selectorILNS1_17partition_subalgoE3EjNS0_10empty_typeEbEEZZNS1_14partition_implILS8_3ELb0ES6_jNS0_17counting_iteratorIjlEEPS9_SE_NS0_5tupleIJPjSE_EEENSF_IJSE_SE_EEES9_SG_JZNS1_25segmented_radix_sort_implINS0_14default_configELb0EPK12hip_bfloat16PSL_PKlPlN2at6native12_GLOBAL__N_18offset_tEEE10hipError_tPvRmT1_PNSt15iterator_traitsISZ_E10value_typeET2_T3_PNS10_IS15_E10value_typeET4_jRbjT5_S1B_jjP12ihipStream_tbEUljE_EEESW_SX_SY_S15_S19_S1B_T6_T7_T9_mT8_S1D_bDpT10_ENKUlT_T0_E_clISt17integral_constantIbLb1EES1Q_EEDaS1L_S1M_EUlS1L_E_NS1_11comp_targetILNS1_3genE0ELNS1_11target_archE4294967295ELNS1_3gpuE0ELNS1_3repE0EEENS1_30default_config_static_selectorELNS0_4arch9wavefront6targetE0EEEvSZ_
		.amdhsa_group_segment_fixed_size 0
		.amdhsa_private_segment_fixed_size 0
		.amdhsa_kernarg_size 152
		.amdhsa_user_sgpr_count 2
		.amdhsa_user_sgpr_dispatch_ptr 0
		.amdhsa_user_sgpr_queue_ptr 0
		.amdhsa_user_sgpr_kernarg_segment_ptr 1
		.amdhsa_user_sgpr_dispatch_id 0
		.amdhsa_user_sgpr_private_segment_size 0
		.amdhsa_wavefront_size32 1
		.amdhsa_uses_dynamic_stack 0
		.amdhsa_enable_private_segment 0
		.amdhsa_system_sgpr_workgroup_id_x 1
		.amdhsa_system_sgpr_workgroup_id_y 0
		.amdhsa_system_sgpr_workgroup_id_z 0
		.amdhsa_system_sgpr_workgroup_info 0
		.amdhsa_system_vgpr_workitem_id 0
		.amdhsa_next_free_vgpr 1
		.amdhsa_next_free_sgpr 1
		.amdhsa_reserve_vcc 0
		.amdhsa_float_round_mode_32 0
		.amdhsa_float_round_mode_16_64 0
		.amdhsa_float_denorm_mode_32 3
		.amdhsa_float_denorm_mode_16_64 3
		.amdhsa_fp16_overflow 0
		.amdhsa_workgroup_processor_mode 1
		.amdhsa_memory_ordered 1
		.amdhsa_forward_progress 1
		.amdhsa_inst_pref_size 0
		.amdhsa_round_robin_scheduling 0
		.amdhsa_exception_fp_ieee_invalid_op 0
		.amdhsa_exception_fp_denorm_src 0
		.amdhsa_exception_fp_ieee_div_zero 0
		.amdhsa_exception_fp_ieee_overflow 0
		.amdhsa_exception_fp_ieee_underflow 0
		.amdhsa_exception_fp_ieee_inexact 0
		.amdhsa_exception_int_div_zero 0
	.end_amdhsa_kernel
	.section	.text._ZN7rocprim17ROCPRIM_400000_NS6detail17trampoline_kernelINS0_13select_configILj256ELj13ELNS0_17block_load_methodE3ELS4_3ELS4_3ELNS0_20block_scan_algorithmE0ELj4294967295EEENS1_25partition_config_selectorILNS1_17partition_subalgoE3EjNS0_10empty_typeEbEEZZNS1_14partition_implILS8_3ELb0ES6_jNS0_17counting_iteratorIjlEEPS9_SE_NS0_5tupleIJPjSE_EEENSF_IJSE_SE_EEES9_SG_JZNS1_25segmented_radix_sort_implINS0_14default_configELb0EPK12hip_bfloat16PSL_PKlPlN2at6native12_GLOBAL__N_18offset_tEEE10hipError_tPvRmT1_PNSt15iterator_traitsISZ_E10value_typeET2_T3_PNS10_IS15_E10value_typeET4_jRbjT5_S1B_jjP12ihipStream_tbEUljE_EEESW_SX_SY_S15_S19_S1B_T6_T7_T9_mT8_S1D_bDpT10_ENKUlT_T0_E_clISt17integral_constantIbLb1EES1Q_EEDaS1L_S1M_EUlS1L_E_NS1_11comp_targetILNS1_3genE0ELNS1_11target_archE4294967295ELNS1_3gpuE0ELNS1_3repE0EEENS1_30default_config_static_selectorELNS0_4arch9wavefront6targetE0EEEvSZ_,"axG",@progbits,_ZN7rocprim17ROCPRIM_400000_NS6detail17trampoline_kernelINS0_13select_configILj256ELj13ELNS0_17block_load_methodE3ELS4_3ELS4_3ELNS0_20block_scan_algorithmE0ELj4294967295EEENS1_25partition_config_selectorILNS1_17partition_subalgoE3EjNS0_10empty_typeEbEEZZNS1_14partition_implILS8_3ELb0ES6_jNS0_17counting_iteratorIjlEEPS9_SE_NS0_5tupleIJPjSE_EEENSF_IJSE_SE_EEES9_SG_JZNS1_25segmented_radix_sort_implINS0_14default_configELb0EPK12hip_bfloat16PSL_PKlPlN2at6native12_GLOBAL__N_18offset_tEEE10hipError_tPvRmT1_PNSt15iterator_traitsISZ_E10value_typeET2_T3_PNS10_IS15_E10value_typeET4_jRbjT5_S1B_jjP12ihipStream_tbEUljE_EEESW_SX_SY_S15_S19_S1B_T6_T7_T9_mT8_S1D_bDpT10_ENKUlT_T0_E_clISt17integral_constantIbLb1EES1Q_EEDaS1L_S1M_EUlS1L_E_NS1_11comp_targetILNS1_3genE0ELNS1_11target_archE4294967295ELNS1_3gpuE0ELNS1_3repE0EEENS1_30default_config_static_selectorELNS0_4arch9wavefront6targetE0EEEvSZ_,comdat
.Lfunc_end2025:
	.size	_ZN7rocprim17ROCPRIM_400000_NS6detail17trampoline_kernelINS0_13select_configILj256ELj13ELNS0_17block_load_methodE3ELS4_3ELS4_3ELNS0_20block_scan_algorithmE0ELj4294967295EEENS1_25partition_config_selectorILNS1_17partition_subalgoE3EjNS0_10empty_typeEbEEZZNS1_14partition_implILS8_3ELb0ES6_jNS0_17counting_iteratorIjlEEPS9_SE_NS0_5tupleIJPjSE_EEENSF_IJSE_SE_EEES9_SG_JZNS1_25segmented_radix_sort_implINS0_14default_configELb0EPK12hip_bfloat16PSL_PKlPlN2at6native12_GLOBAL__N_18offset_tEEE10hipError_tPvRmT1_PNSt15iterator_traitsISZ_E10value_typeET2_T3_PNS10_IS15_E10value_typeET4_jRbjT5_S1B_jjP12ihipStream_tbEUljE_EEESW_SX_SY_S15_S19_S1B_T6_T7_T9_mT8_S1D_bDpT10_ENKUlT_T0_E_clISt17integral_constantIbLb1EES1Q_EEDaS1L_S1M_EUlS1L_E_NS1_11comp_targetILNS1_3genE0ELNS1_11target_archE4294967295ELNS1_3gpuE0ELNS1_3repE0EEENS1_30default_config_static_selectorELNS0_4arch9wavefront6targetE0EEEvSZ_, .Lfunc_end2025-_ZN7rocprim17ROCPRIM_400000_NS6detail17trampoline_kernelINS0_13select_configILj256ELj13ELNS0_17block_load_methodE3ELS4_3ELS4_3ELNS0_20block_scan_algorithmE0ELj4294967295EEENS1_25partition_config_selectorILNS1_17partition_subalgoE3EjNS0_10empty_typeEbEEZZNS1_14partition_implILS8_3ELb0ES6_jNS0_17counting_iteratorIjlEEPS9_SE_NS0_5tupleIJPjSE_EEENSF_IJSE_SE_EEES9_SG_JZNS1_25segmented_radix_sort_implINS0_14default_configELb0EPK12hip_bfloat16PSL_PKlPlN2at6native12_GLOBAL__N_18offset_tEEE10hipError_tPvRmT1_PNSt15iterator_traitsISZ_E10value_typeET2_T3_PNS10_IS15_E10value_typeET4_jRbjT5_S1B_jjP12ihipStream_tbEUljE_EEESW_SX_SY_S15_S19_S1B_T6_T7_T9_mT8_S1D_bDpT10_ENKUlT_T0_E_clISt17integral_constantIbLb1EES1Q_EEDaS1L_S1M_EUlS1L_E_NS1_11comp_targetILNS1_3genE0ELNS1_11target_archE4294967295ELNS1_3gpuE0ELNS1_3repE0EEENS1_30default_config_static_selectorELNS0_4arch9wavefront6targetE0EEEvSZ_
                                        ; -- End function
	.set _ZN7rocprim17ROCPRIM_400000_NS6detail17trampoline_kernelINS0_13select_configILj256ELj13ELNS0_17block_load_methodE3ELS4_3ELS4_3ELNS0_20block_scan_algorithmE0ELj4294967295EEENS1_25partition_config_selectorILNS1_17partition_subalgoE3EjNS0_10empty_typeEbEEZZNS1_14partition_implILS8_3ELb0ES6_jNS0_17counting_iteratorIjlEEPS9_SE_NS0_5tupleIJPjSE_EEENSF_IJSE_SE_EEES9_SG_JZNS1_25segmented_radix_sort_implINS0_14default_configELb0EPK12hip_bfloat16PSL_PKlPlN2at6native12_GLOBAL__N_18offset_tEEE10hipError_tPvRmT1_PNSt15iterator_traitsISZ_E10value_typeET2_T3_PNS10_IS15_E10value_typeET4_jRbjT5_S1B_jjP12ihipStream_tbEUljE_EEESW_SX_SY_S15_S19_S1B_T6_T7_T9_mT8_S1D_bDpT10_ENKUlT_T0_E_clISt17integral_constantIbLb1EES1Q_EEDaS1L_S1M_EUlS1L_E_NS1_11comp_targetILNS1_3genE0ELNS1_11target_archE4294967295ELNS1_3gpuE0ELNS1_3repE0EEENS1_30default_config_static_selectorELNS0_4arch9wavefront6targetE0EEEvSZ_.num_vgpr, 0
	.set _ZN7rocprim17ROCPRIM_400000_NS6detail17trampoline_kernelINS0_13select_configILj256ELj13ELNS0_17block_load_methodE3ELS4_3ELS4_3ELNS0_20block_scan_algorithmE0ELj4294967295EEENS1_25partition_config_selectorILNS1_17partition_subalgoE3EjNS0_10empty_typeEbEEZZNS1_14partition_implILS8_3ELb0ES6_jNS0_17counting_iteratorIjlEEPS9_SE_NS0_5tupleIJPjSE_EEENSF_IJSE_SE_EEES9_SG_JZNS1_25segmented_radix_sort_implINS0_14default_configELb0EPK12hip_bfloat16PSL_PKlPlN2at6native12_GLOBAL__N_18offset_tEEE10hipError_tPvRmT1_PNSt15iterator_traitsISZ_E10value_typeET2_T3_PNS10_IS15_E10value_typeET4_jRbjT5_S1B_jjP12ihipStream_tbEUljE_EEESW_SX_SY_S15_S19_S1B_T6_T7_T9_mT8_S1D_bDpT10_ENKUlT_T0_E_clISt17integral_constantIbLb1EES1Q_EEDaS1L_S1M_EUlS1L_E_NS1_11comp_targetILNS1_3genE0ELNS1_11target_archE4294967295ELNS1_3gpuE0ELNS1_3repE0EEENS1_30default_config_static_selectorELNS0_4arch9wavefront6targetE0EEEvSZ_.num_agpr, 0
	.set _ZN7rocprim17ROCPRIM_400000_NS6detail17trampoline_kernelINS0_13select_configILj256ELj13ELNS0_17block_load_methodE3ELS4_3ELS4_3ELNS0_20block_scan_algorithmE0ELj4294967295EEENS1_25partition_config_selectorILNS1_17partition_subalgoE3EjNS0_10empty_typeEbEEZZNS1_14partition_implILS8_3ELb0ES6_jNS0_17counting_iteratorIjlEEPS9_SE_NS0_5tupleIJPjSE_EEENSF_IJSE_SE_EEES9_SG_JZNS1_25segmented_radix_sort_implINS0_14default_configELb0EPK12hip_bfloat16PSL_PKlPlN2at6native12_GLOBAL__N_18offset_tEEE10hipError_tPvRmT1_PNSt15iterator_traitsISZ_E10value_typeET2_T3_PNS10_IS15_E10value_typeET4_jRbjT5_S1B_jjP12ihipStream_tbEUljE_EEESW_SX_SY_S15_S19_S1B_T6_T7_T9_mT8_S1D_bDpT10_ENKUlT_T0_E_clISt17integral_constantIbLb1EES1Q_EEDaS1L_S1M_EUlS1L_E_NS1_11comp_targetILNS1_3genE0ELNS1_11target_archE4294967295ELNS1_3gpuE0ELNS1_3repE0EEENS1_30default_config_static_selectorELNS0_4arch9wavefront6targetE0EEEvSZ_.numbered_sgpr, 0
	.set _ZN7rocprim17ROCPRIM_400000_NS6detail17trampoline_kernelINS0_13select_configILj256ELj13ELNS0_17block_load_methodE3ELS4_3ELS4_3ELNS0_20block_scan_algorithmE0ELj4294967295EEENS1_25partition_config_selectorILNS1_17partition_subalgoE3EjNS0_10empty_typeEbEEZZNS1_14partition_implILS8_3ELb0ES6_jNS0_17counting_iteratorIjlEEPS9_SE_NS0_5tupleIJPjSE_EEENSF_IJSE_SE_EEES9_SG_JZNS1_25segmented_radix_sort_implINS0_14default_configELb0EPK12hip_bfloat16PSL_PKlPlN2at6native12_GLOBAL__N_18offset_tEEE10hipError_tPvRmT1_PNSt15iterator_traitsISZ_E10value_typeET2_T3_PNS10_IS15_E10value_typeET4_jRbjT5_S1B_jjP12ihipStream_tbEUljE_EEESW_SX_SY_S15_S19_S1B_T6_T7_T9_mT8_S1D_bDpT10_ENKUlT_T0_E_clISt17integral_constantIbLb1EES1Q_EEDaS1L_S1M_EUlS1L_E_NS1_11comp_targetILNS1_3genE0ELNS1_11target_archE4294967295ELNS1_3gpuE0ELNS1_3repE0EEENS1_30default_config_static_selectorELNS0_4arch9wavefront6targetE0EEEvSZ_.num_named_barrier, 0
	.set _ZN7rocprim17ROCPRIM_400000_NS6detail17trampoline_kernelINS0_13select_configILj256ELj13ELNS0_17block_load_methodE3ELS4_3ELS4_3ELNS0_20block_scan_algorithmE0ELj4294967295EEENS1_25partition_config_selectorILNS1_17partition_subalgoE3EjNS0_10empty_typeEbEEZZNS1_14partition_implILS8_3ELb0ES6_jNS0_17counting_iteratorIjlEEPS9_SE_NS0_5tupleIJPjSE_EEENSF_IJSE_SE_EEES9_SG_JZNS1_25segmented_radix_sort_implINS0_14default_configELb0EPK12hip_bfloat16PSL_PKlPlN2at6native12_GLOBAL__N_18offset_tEEE10hipError_tPvRmT1_PNSt15iterator_traitsISZ_E10value_typeET2_T3_PNS10_IS15_E10value_typeET4_jRbjT5_S1B_jjP12ihipStream_tbEUljE_EEESW_SX_SY_S15_S19_S1B_T6_T7_T9_mT8_S1D_bDpT10_ENKUlT_T0_E_clISt17integral_constantIbLb1EES1Q_EEDaS1L_S1M_EUlS1L_E_NS1_11comp_targetILNS1_3genE0ELNS1_11target_archE4294967295ELNS1_3gpuE0ELNS1_3repE0EEENS1_30default_config_static_selectorELNS0_4arch9wavefront6targetE0EEEvSZ_.private_seg_size, 0
	.set _ZN7rocprim17ROCPRIM_400000_NS6detail17trampoline_kernelINS0_13select_configILj256ELj13ELNS0_17block_load_methodE3ELS4_3ELS4_3ELNS0_20block_scan_algorithmE0ELj4294967295EEENS1_25partition_config_selectorILNS1_17partition_subalgoE3EjNS0_10empty_typeEbEEZZNS1_14partition_implILS8_3ELb0ES6_jNS0_17counting_iteratorIjlEEPS9_SE_NS0_5tupleIJPjSE_EEENSF_IJSE_SE_EEES9_SG_JZNS1_25segmented_radix_sort_implINS0_14default_configELb0EPK12hip_bfloat16PSL_PKlPlN2at6native12_GLOBAL__N_18offset_tEEE10hipError_tPvRmT1_PNSt15iterator_traitsISZ_E10value_typeET2_T3_PNS10_IS15_E10value_typeET4_jRbjT5_S1B_jjP12ihipStream_tbEUljE_EEESW_SX_SY_S15_S19_S1B_T6_T7_T9_mT8_S1D_bDpT10_ENKUlT_T0_E_clISt17integral_constantIbLb1EES1Q_EEDaS1L_S1M_EUlS1L_E_NS1_11comp_targetILNS1_3genE0ELNS1_11target_archE4294967295ELNS1_3gpuE0ELNS1_3repE0EEENS1_30default_config_static_selectorELNS0_4arch9wavefront6targetE0EEEvSZ_.uses_vcc, 0
	.set _ZN7rocprim17ROCPRIM_400000_NS6detail17trampoline_kernelINS0_13select_configILj256ELj13ELNS0_17block_load_methodE3ELS4_3ELS4_3ELNS0_20block_scan_algorithmE0ELj4294967295EEENS1_25partition_config_selectorILNS1_17partition_subalgoE3EjNS0_10empty_typeEbEEZZNS1_14partition_implILS8_3ELb0ES6_jNS0_17counting_iteratorIjlEEPS9_SE_NS0_5tupleIJPjSE_EEENSF_IJSE_SE_EEES9_SG_JZNS1_25segmented_radix_sort_implINS0_14default_configELb0EPK12hip_bfloat16PSL_PKlPlN2at6native12_GLOBAL__N_18offset_tEEE10hipError_tPvRmT1_PNSt15iterator_traitsISZ_E10value_typeET2_T3_PNS10_IS15_E10value_typeET4_jRbjT5_S1B_jjP12ihipStream_tbEUljE_EEESW_SX_SY_S15_S19_S1B_T6_T7_T9_mT8_S1D_bDpT10_ENKUlT_T0_E_clISt17integral_constantIbLb1EES1Q_EEDaS1L_S1M_EUlS1L_E_NS1_11comp_targetILNS1_3genE0ELNS1_11target_archE4294967295ELNS1_3gpuE0ELNS1_3repE0EEENS1_30default_config_static_selectorELNS0_4arch9wavefront6targetE0EEEvSZ_.uses_flat_scratch, 0
	.set _ZN7rocprim17ROCPRIM_400000_NS6detail17trampoline_kernelINS0_13select_configILj256ELj13ELNS0_17block_load_methodE3ELS4_3ELS4_3ELNS0_20block_scan_algorithmE0ELj4294967295EEENS1_25partition_config_selectorILNS1_17partition_subalgoE3EjNS0_10empty_typeEbEEZZNS1_14partition_implILS8_3ELb0ES6_jNS0_17counting_iteratorIjlEEPS9_SE_NS0_5tupleIJPjSE_EEENSF_IJSE_SE_EEES9_SG_JZNS1_25segmented_radix_sort_implINS0_14default_configELb0EPK12hip_bfloat16PSL_PKlPlN2at6native12_GLOBAL__N_18offset_tEEE10hipError_tPvRmT1_PNSt15iterator_traitsISZ_E10value_typeET2_T3_PNS10_IS15_E10value_typeET4_jRbjT5_S1B_jjP12ihipStream_tbEUljE_EEESW_SX_SY_S15_S19_S1B_T6_T7_T9_mT8_S1D_bDpT10_ENKUlT_T0_E_clISt17integral_constantIbLb1EES1Q_EEDaS1L_S1M_EUlS1L_E_NS1_11comp_targetILNS1_3genE0ELNS1_11target_archE4294967295ELNS1_3gpuE0ELNS1_3repE0EEENS1_30default_config_static_selectorELNS0_4arch9wavefront6targetE0EEEvSZ_.has_dyn_sized_stack, 0
	.set _ZN7rocprim17ROCPRIM_400000_NS6detail17trampoline_kernelINS0_13select_configILj256ELj13ELNS0_17block_load_methodE3ELS4_3ELS4_3ELNS0_20block_scan_algorithmE0ELj4294967295EEENS1_25partition_config_selectorILNS1_17partition_subalgoE3EjNS0_10empty_typeEbEEZZNS1_14partition_implILS8_3ELb0ES6_jNS0_17counting_iteratorIjlEEPS9_SE_NS0_5tupleIJPjSE_EEENSF_IJSE_SE_EEES9_SG_JZNS1_25segmented_radix_sort_implINS0_14default_configELb0EPK12hip_bfloat16PSL_PKlPlN2at6native12_GLOBAL__N_18offset_tEEE10hipError_tPvRmT1_PNSt15iterator_traitsISZ_E10value_typeET2_T3_PNS10_IS15_E10value_typeET4_jRbjT5_S1B_jjP12ihipStream_tbEUljE_EEESW_SX_SY_S15_S19_S1B_T6_T7_T9_mT8_S1D_bDpT10_ENKUlT_T0_E_clISt17integral_constantIbLb1EES1Q_EEDaS1L_S1M_EUlS1L_E_NS1_11comp_targetILNS1_3genE0ELNS1_11target_archE4294967295ELNS1_3gpuE0ELNS1_3repE0EEENS1_30default_config_static_selectorELNS0_4arch9wavefront6targetE0EEEvSZ_.has_recursion, 0
	.set _ZN7rocprim17ROCPRIM_400000_NS6detail17trampoline_kernelINS0_13select_configILj256ELj13ELNS0_17block_load_methodE3ELS4_3ELS4_3ELNS0_20block_scan_algorithmE0ELj4294967295EEENS1_25partition_config_selectorILNS1_17partition_subalgoE3EjNS0_10empty_typeEbEEZZNS1_14partition_implILS8_3ELb0ES6_jNS0_17counting_iteratorIjlEEPS9_SE_NS0_5tupleIJPjSE_EEENSF_IJSE_SE_EEES9_SG_JZNS1_25segmented_radix_sort_implINS0_14default_configELb0EPK12hip_bfloat16PSL_PKlPlN2at6native12_GLOBAL__N_18offset_tEEE10hipError_tPvRmT1_PNSt15iterator_traitsISZ_E10value_typeET2_T3_PNS10_IS15_E10value_typeET4_jRbjT5_S1B_jjP12ihipStream_tbEUljE_EEESW_SX_SY_S15_S19_S1B_T6_T7_T9_mT8_S1D_bDpT10_ENKUlT_T0_E_clISt17integral_constantIbLb1EES1Q_EEDaS1L_S1M_EUlS1L_E_NS1_11comp_targetILNS1_3genE0ELNS1_11target_archE4294967295ELNS1_3gpuE0ELNS1_3repE0EEENS1_30default_config_static_selectorELNS0_4arch9wavefront6targetE0EEEvSZ_.has_indirect_call, 0
	.section	.AMDGPU.csdata,"",@progbits
; Kernel info:
; codeLenInByte = 0
; TotalNumSgprs: 0
; NumVgprs: 0
; ScratchSize: 0
; MemoryBound: 0
; FloatMode: 240
; IeeeMode: 1
; LDSByteSize: 0 bytes/workgroup (compile time only)
; SGPRBlocks: 0
; VGPRBlocks: 0
; NumSGPRsForWavesPerEU: 1
; NumVGPRsForWavesPerEU: 1
; Occupancy: 16
; WaveLimiterHint : 0
; COMPUTE_PGM_RSRC2:SCRATCH_EN: 0
; COMPUTE_PGM_RSRC2:USER_SGPR: 2
; COMPUTE_PGM_RSRC2:TRAP_HANDLER: 0
; COMPUTE_PGM_RSRC2:TGID_X_EN: 1
; COMPUTE_PGM_RSRC2:TGID_Y_EN: 0
; COMPUTE_PGM_RSRC2:TGID_Z_EN: 0
; COMPUTE_PGM_RSRC2:TIDIG_COMP_CNT: 0
	.section	.text._ZN7rocprim17ROCPRIM_400000_NS6detail17trampoline_kernelINS0_13select_configILj256ELj13ELNS0_17block_load_methodE3ELS4_3ELS4_3ELNS0_20block_scan_algorithmE0ELj4294967295EEENS1_25partition_config_selectorILNS1_17partition_subalgoE3EjNS0_10empty_typeEbEEZZNS1_14partition_implILS8_3ELb0ES6_jNS0_17counting_iteratorIjlEEPS9_SE_NS0_5tupleIJPjSE_EEENSF_IJSE_SE_EEES9_SG_JZNS1_25segmented_radix_sort_implINS0_14default_configELb0EPK12hip_bfloat16PSL_PKlPlN2at6native12_GLOBAL__N_18offset_tEEE10hipError_tPvRmT1_PNSt15iterator_traitsISZ_E10value_typeET2_T3_PNS10_IS15_E10value_typeET4_jRbjT5_S1B_jjP12ihipStream_tbEUljE_EEESW_SX_SY_S15_S19_S1B_T6_T7_T9_mT8_S1D_bDpT10_ENKUlT_T0_E_clISt17integral_constantIbLb1EES1Q_EEDaS1L_S1M_EUlS1L_E_NS1_11comp_targetILNS1_3genE5ELNS1_11target_archE942ELNS1_3gpuE9ELNS1_3repE0EEENS1_30default_config_static_selectorELNS0_4arch9wavefront6targetE0EEEvSZ_,"axG",@progbits,_ZN7rocprim17ROCPRIM_400000_NS6detail17trampoline_kernelINS0_13select_configILj256ELj13ELNS0_17block_load_methodE3ELS4_3ELS4_3ELNS0_20block_scan_algorithmE0ELj4294967295EEENS1_25partition_config_selectorILNS1_17partition_subalgoE3EjNS0_10empty_typeEbEEZZNS1_14partition_implILS8_3ELb0ES6_jNS0_17counting_iteratorIjlEEPS9_SE_NS0_5tupleIJPjSE_EEENSF_IJSE_SE_EEES9_SG_JZNS1_25segmented_radix_sort_implINS0_14default_configELb0EPK12hip_bfloat16PSL_PKlPlN2at6native12_GLOBAL__N_18offset_tEEE10hipError_tPvRmT1_PNSt15iterator_traitsISZ_E10value_typeET2_T3_PNS10_IS15_E10value_typeET4_jRbjT5_S1B_jjP12ihipStream_tbEUljE_EEESW_SX_SY_S15_S19_S1B_T6_T7_T9_mT8_S1D_bDpT10_ENKUlT_T0_E_clISt17integral_constantIbLb1EES1Q_EEDaS1L_S1M_EUlS1L_E_NS1_11comp_targetILNS1_3genE5ELNS1_11target_archE942ELNS1_3gpuE9ELNS1_3repE0EEENS1_30default_config_static_selectorELNS0_4arch9wavefront6targetE0EEEvSZ_,comdat
	.globl	_ZN7rocprim17ROCPRIM_400000_NS6detail17trampoline_kernelINS0_13select_configILj256ELj13ELNS0_17block_load_methodE3ELS4_3ELS4_3ELNS0_20block_scan_algorithmE0ELj4294967295EEENS1_25partition_config_selectorILNS1_17partition_subalgoE3EjNS0_10empty_typeEbEEZZNS1_14partition_implILS8_3ELb0ES6_jNS0_17counting_iteratorIjlEEPS9_SE_NS0_5tupleIJPjSE_EEENSF_IJSE_SE_EEES9_SG_JZNS1_25segmented_radix_sort_implINS0_14default_configELb0EPK12hip_bfloat16PSL_PKlPlN2at6native12_GLOBAL__N_18offset_tEEE10hipError_tPvRmT1_PNSt15iterator_traitsISZ_E10value_typeET2_T3_PNS10_IS15_E10value_typeET4_jRbjT5_S1B_jjP12ihipStream_tbEUljE_EEESW_SX_SY_S15_S19_S1B_T6_T7_T9_mT8_S1D_bDpT10_ENKUlT_T0_E_clISt17integral_constantIbLb1EES1Q_EEDaS1L_S1M_EUlS1L_E_NS1_11comp_targetILNS1_3genE5ELNS1_11target_archE942ELNS1_3gpuE9ELNS1_3repE0EEENS1_30default_config_static_selectorELNS0_4arch9wavefront6targetE0EEEvSZ_ ; -- Begin function _ZN7rocprim17ROCPRIM_400000_NS6detail17trampoline_kernelINS0_13select_configILj256ELj13ELNS0_17block_load_methodE3ELS4_3ELS4_3ELNS0_20block_scan_algorithmE0ELj4294967295EEENS1_25partition_config_selectorILNS1_17partition_subalgoE3EjNS0_10empty_typeEbEEZZNS1_14partition_implILS8_3ELb0ES6_jNS0_17counting_iteratorIjlEEPS9_SE_NS0_5tupleIJPjSE_EEENSF_IJSE_SE_EEES9_SG_JZNS1_25segmented_radix_sort_implINS0_14default_configELb0EPK12hip_bfloat16PSL_PKlPlN2at6native12_GLOBAL__N_18offset_tEEE10hipError_tPvRmT1_PNSt15iterator_traitsISZ_E10value_typeET2_T3_PNS10_IS15_E10value_typeET4_jRbjT5_S1B_jjP12ihipStream_tbEUljE_EEESW_SX_SY_S15_S19_S1B_T6_T7_T9_mT8_S1D_bDpT10_ENKUlT_T0_E_clISt17integral_constantIbLb1EES1Q_EEDaS1L_S1M_EUlS1L_E_NS1_11comp_targetILNS1_3genE5ELNS1_11target_archE942ELNS1_3gpuE9ELNS1_3repE0EEENS1_30default_config_static_selectorELNS0_4arch9wavefront6targetE0EEEvSZ_
	.p2align	8
	.type	_ZN7rocprim17ROCPRIM_400000_NS6detail17trampoline_kernelINS0_13select_configILj256ELj13ELNS0_17block_load_methodE3ELS4_3ELS4_3ELNS0_20block_scan_algorithmE0ELj4294967295EEENS1_25partition_config_selectorILNS1_17partition_subalgoE3EjNS0_10empty_typeEbEEZZNS1_14partition_implILS8_3ELb0ES6_jNS0_17counting_iteratorIjlEEPS9_SE_NS0_5tupleIJPjSE_EEENSF_IJSE_SE_EEES9_SG_JZNS1_25segmented_radix_sort_implINS0_14default_configELb0EPK12hip_bfloat16PSL_PKlPlN2at6native12_GLOBAL__N_18offset_tEEE10hipError_tPvRmT1_PNSt15iterator_traitsISZ_E10value_typeET2_T3_PNS10_IS15_E10value_typeET4_jRbjT5_S1B_jjP12ihipStream_tbEUljE_EEESW_SX_SY_S15_S19_S1B_T6_T7_T9_mT8_S1D_bDpT10_ENKUlT_T0_E_clISt17integral_constantIbLb1EES1Q_EEDaS1L_S1M_EUlS1L_E_NS1_11comp_targetILNS1_3genE5ELNS1_11target_archE942ELNS1_3gpuE9ELNS1_3repE0EEENS1_30default_config_static_selectorELNS0_4arch9wavefront6targetE0EEEvSZ_,@function
_ZN7rocprim17ROCPRIM_400000_NS6detail17trampoline_kernelINS0_13select_configILj256ELj13ELNS0_17block_load_methodE3ELS4_3ELS4_3ELNS0_20block_scan_algorithmE0ELj4294967295EEENS1_25partition_config_selectorILNS1_17partition_subalgoE3EjNS0_10empty_typeEbEEZZNS1_14partition_implILS8_3ELb0ES6_jNS0_17counting_iteratorIjlEEPS9_SE_NS0_5tupleIJPjSE_EEENSF_IJSE_SE_EEES9_SG_JZNS1_25segmented_radix_sort_implINS0_14default_configELb0EPK12hip_bfloat16PSL_PKlPlN2at6native12_GLOBAL__N_18offset_tEEE10hipError_tPvRmT1_PNSt15iterator_traitsISZ_E10value_typeET2_T3_PNS10_IS15_E10value_typeET4_jRbjT5_S1B_jjP12ihipStream_tbEUljE_EEESW_SX_SY_S15_S19_S1B_T6_T7_T9_mT8_S1D_bDpT10_ENKUlT_T0_E_clISt17integral_constantIbLb1EES1Q_EEDaS1L_S1M_EUlS1L_E_NS1_11comp_targetILNS1_3genE5ELNS1_11target_archE942ELNS1_3gpuE9ELNS1_3repE0EEENS1_30default_config_static_selectorELNS0_4arch9wavefront6targetE0EEEvSZ_: ; @_ZN7rocprim17ROCPRIM_400000_NS6detail17trampoline_kernelINS0_13select_configILj256ELj13ELNS0_17block_load_methodE3ELS4_3ELS4_3ELNS0_20block_scan_algorithmE0ELj4294967295EEENS1_25partition_config_selectorILNS1_17partition_subalgoE3EjNS0_10empty_typeEbEEZZNS1_14partition_implILS8_3ELb0ES6_jNS0_17counting_iteratorIjlEEPS9_SE_NS0_5tupleIJPjSE_EEENSF_IJSE_SE_EEES9_SG_JZNS1_25segmented_radix_sort_implINS0_14default_configELb0EPK12hip_bfloat16PSL_PKlPlN2at6native12_GLOBAL__N_18offset_tEEE10hipError_tPvRmT1_PNSt15iterator_traitsISZ_E10value_typeET2_T3_PNS10_IS15_E10value_typeET4_jRbjT5_S1B_jjP12ihipStream_tbEUljE_EEESW_SX_SY_S15_S19_S1B_T6_T7_T9_mT8_S1D_bDpT10_ENKUlT_T0_E_clISt17integral_constantIbLb1EES1Q_EEDaS1L_S1M_EUlS1L_E_NS1_11comp_targetILNS1_3genE5ELNS1_11target_archE942ELNS1_3gpuE9ELNS1_3repE0EEENS1_30default_config_static_selectorELNS0_4arch9wavefront6targetE0EEEvSZ_
; %bb.0:
	.section	.rodata,"a",@progbits
	.p2align	6, 0x0
	.amdhsa_kernel _ZN7rocprim17ROCPRIM_400000_NS6detail17trampoline_kernelINS0_13select_configILj256ELj13ELNS0_17block_load_methodE3ELS4_3ELS4_3ELNS0_20block_scan_algorithmE0ELj4294967295EEENS1_25partition_config_selectorILNS1_17partition_subalgoE3EjNS0_10empty_typeEbEEZZNS1_14partition_implILS8_3ELb0ES6_jNS0_17counting_iteratorIjlEEPS9_SE_NS0_5tupleIJPjSE_EEENSF_IJSE_SE_EEES9_SG_JZNS1_25segmented_radix_sort_implINS0_14default_configELb0EPK12hip_bfloat16PSL_PKlPlN2at6native12_GLOBAL__N_18offset_tEEE10hipError_tPvRmT1_PNSt15iterator_traitsISZ_E10value_typeET2_T3_PNS10_IS15_E10value_typeET4_jRbjT5_S1B_jjP12ihipStream_tbEUljE_EEESW_SX_SY_S15_S19_S1B_T6_T7_T9_mT8_S1D_bDpT10_ENKUlT_T0_E_clISt17integral_constantIbLb1EES1Q_EEDaS1L_S1M_EUlS1L_E_NS1_11comp_targetILNS1_3genE5ELNS1_11target_archE942ELNS1_3gpuE9ELNS1_3repE0EEENS1_30default_config_static_selectorELNS0_4arch9wavefront6targetE0EEEvSZ_
		.amdhsa_group_segment_fixed_size 0
		.amdhsa_private_segment_fixed_size 0
		.amdhsa_kernarg_size 152
		.amdhsa_user_sgpr_count 2
		.amdhsa_user_sgpr_dispatch_ptr 0
		.amdhsa_user_sgpr_queue_ptr 0
		.amdhsa_user_sgpr_kernarg_segment_ptr 1
		.amdhsa_user_sgpr_dispatch_id 0
		.amdhsa_user_sgpr_private_segment_size 0
		.amdhsa_wavefront_size32 1
		.amdhsa_uses_dynamic_stack 0
		.amdhsa_enable_private_segment 0
		.amdhsa_system_sgpr_workgroup_id_x 1
		.amdhsa_system_sgpr_workgroup_id_y 0
		.amdhsa_system_sgpr_workgroup_id_z 0
		.amdhsa_system_sgpr_workgroup_info 0
		.amdhsa_system_vgpr_workitem_id 0
		.amdhsa_next_free_vgpr 1
		.amdhsa_next_free_sgpr 1
		.amdhsa_reserve_vcc 0
		.amdhsa_float_round_mode_32 0
		.amdhsa_float_round_mode_16_64 0
		.amdhsa_float_denorm_mode_32 3
		.amdhsa_float_denorm_mode_16_64 3
		.amdhsa_fp16_overflow 0
		.amdhsa_workgroup_processor_mode 1
		.amdhsa_memory_ordered 1
		.amdhsa_forward_progress 1
		.amdhsa_inst_pref_size 0
		.amdhsa_round_robin_scheduling 0
		.amdhsa_exception_fp_ieee_invalid_op 0
		.amdhsa_exception_fp_denorm_src 0
		.amdhsa_exception_fp_ieee_div_zero 0
		.amdhsa_exception_fp_ieee_overflow 0
		.amdhsa_exception_fp_ieee_underflow 0
		.amdhsa_exception_fp_ieee_inexact 0
		.amdhsa_exception_int_div_zero 0
	.end_amdhsa_kernel
	.section	.text._ZN7rocprim17ROCPRIM_400000_NS6detail17trampoline_kernelINS0_13select_configILj256ELj13ELNS0_17block_load_methodE3ELS4_3ELS4_3ELNS0_20block_scan_algorithmE0ELj4294967295EEENS1_25partition_config_selectorILNS1_17partition_subalgoE3EjNS0_10empty_typeEbEEZZNS1_14partition_implILS8_3ELb0ES6_jNS0_17counting_iteratorIjlEEPS9_SE_NS0_5tupleIJPjSE_EEENSF_IJSE_SE_EEES9_SG_JZNS1_25segmented_radix_sort_implINS0_14default_configELb0EPK12hip_bfloat16PSL_PKlPlN2at6native12_GLOBAL__N_18offset_tEEE10hipError_tPvRmT1_PNSt15iterator_traitsISZ_E10value_typeET2_T3_PNS10_IS15_E10value_typeET4_jRbjT5_S1B_jjP12ihipStream_tbEUljE_EEESW_SX_SY_S15_S19_S1B_T6_T7_T9_mT8_S1D_bDpT10_ENKUlT_T0_E_clISt17integral_constantIbLb1EES1Q_EEDaS1L_S1M_EUlS1L_E_NS1_11comp_targetILNS1_3genE5ELNS1_11target_archE942ELNS1_3gpuE9ELNS1_3repE0EEENS1_30default_config_static_selectorELNS0_4arch9wavefront6targetE0EEEvSZ_,"axG",@progbits,_ZN7rocprim17ROCPRIM_400000_NS6detail17trampoline_kernelINS0_13select_configILj256ELj13ELNS0_17block_load_methodE3ELS4_3ELS4_3ELNS0_20block_scan_algorithmE0ELj4294967295EEENS1_25partition_config_selectorILNS1_17partition_subalgoE3EjNS0_10empty_typeEbEEZZNS1_14partition_implILS8_3ELb0ES6_jNS0_17counting_iteratorIjlEEPS9_SE_NS0_5tupleIJPjSE_EEENSF_IJSE_SE_EEES9_SG_JZNS1_25segmented_radix_sort_implINS0_14default_configELb0EPK12hip_bfloat16PSL_PKlPlN2at6native12_GLOBAL__N_18offset_tEEE10hipError_tPvRmT1_PNSt15iterator_traitsISZ_E10value_typeET2_T3_PNS10_IS15_E10value_typeET4_jRbjT5_S1B_jjP12ihipStream_tbEUljE_EEESW_SX_SY_S15_S19_S1B_T6_T7_T9_mT8_S1D_bDpT10_ENKUlT_T0_E_clISt17integral_constantIbLb1EES1Q_EEDaS1L_S1M_EUlS1L_E_NS1_11comp_targetILNS1_3genE5ELNS1_11target_archE942ELNS1_3gpuE9ELNS1_3repE0EEENS1_30default_config_static_selectorELNS0_4arch9wavefront6targetE0EEEvSZ_,comdat
.Lfunc_end2026:
	.size	_ZN7rocprim17ROCPRIM_400000_NS6detail17trampoline_kernelINS0_13select_configILj256ELj13ELNS0_17block_load_methodE3ELS4_3ELS4_3ELNS0_20block_scan_algorithmE0ELj4294967295EEENS1_25partition_config_selectorILNS1_17partition_subalgoE3EjNS0_10empty_typeEbEEZZNS1_14partition_implILS8_3ELb0ES6_jNS0_17counting_iteratorIjlEEPS9_SE_NS0_5tupleIJPjSE_EEENSF_IJSE_SE_EEES9_SG_JZNS1_25segmented_radix_sort_implINS0_14default_configELb0EPK12hip_bfloat16PSL_PKlPlN2at6native12_GLOBAL__N_18offset_tEEE10hipError_tPvRmT1_PNSt15iterator_traitsISZ_E10value_typeET2_T3_PNS10_IS15_E10value_typeET4_jRbjT5_S1B_jjP12ihipStream_tbEUljE_EEESW_SX_SY_S15_S19_S1B_T6_T7_T9_mT8_S1D_bDpT10_ENKUlT_T0_E_clISt17integral_constantIbLb1EES1Q_EEDaS1L_S1M_EUlS1L_E_NS1_11comp_targetILNS1_3genE5ELNS1_11target_archE942ELNS1_3gpuE9ELNS1_3repE0EEENS1_30default_config_static_selectorELNS0_4arch9wavefront6targetE0EEEvSZ_, .Lfunc_end2026-_ZN7rocprim17ROCPRIM_400000_NS6detail17trampoline_kernelINS0_13select_configILj256ELj13ELNS0_17block_load_methodE3ELS4_3ELS4_3ELNS0_20block_scan_algorithmE0ELj4294967295EEENS1_25partition_config_selectorILNS1_17partition_subalgoE3EjNS0_10empty_typeEbEEZZNS1_14partition_implILS8_3ELb0ES6_jNS0_17counting_iteratorIjlEEPS9_SE_NS0_5tupleIJPjSE_EEENSF_IJSE_SE_EEES9_SG_JZNS1_25segmented_radix_sort_implINS0_14default_configELb0EPK12hip_bfloat16PSL_PKlPlN2at6native12_GLOBAL__N_18offset_tEEE10hipError_tPvRmT1_PNSt15iterator_traitsISZ_E10value_typeET2_T3_PNS10_IS15_E10value_typeET4_jRbjT5_S1B_jjP12ihipStream_tbEUljE_EEESW_SX_SY_S15_S19_S1B_T6_T7_T9_mT8_S1D_bDpT10_ENKUlT_T0_E_clISt17integral_constantIbLb1EES1Q_EEDaS1L_S1M_EUlS1L_E_NS1_11comp_targetILNS1_3genE5ELNS1_11target_archE942ELNS1_3gpuE9ELNS1_3repE0EEENS1_30default_config_static_selectorELNS0_4arch9wavefront6targetE0EEEvSZ_
                                        ; -- End function
	.set _ZN7rocprim17ROCPRIM_400000_NS6detail17trampoline_kernelINS0_13select_configILj256ELj13ELNS0_17block_load_methodE3ELS4_3ELS4_3ELNS0_20block_scan_algorithmE0ELj4294967295EEENS1_25partition_config_selectorILNS1_17partition_subalgoE3EjNS0_10empty_typeEbEEZZNS1_14partition_implILS8_3ELb0ES6_jNS0_17counting_iteratorIjlEEPS9_SE_NS0_5tupleIJPjSE_EEENSF_IJSE_SE_EEES9_SG_JZNS1_25segmented_radix_sort_implINS0_14default_configELb0EPK12hip_bfloat16PSL_PKlPlN2at6native12_GLOBAL__N_18offset_tEEE10hipError_tPvRmT1_PNSt15iterator_traitsISZ_E10value_typeET2_T3_PNS10_IS15_E10value_typeET4_jRbjT5_S1B_jjP12ihipStream_tbEUljE_EEESW_SX_SY_S15_S19_S1B_T6_T7_T9_mT8_S1D_bDpT10_ENKUlT_T0_E_clISt17integral_constantIbLb1EES1Q_EEDaS1L_S1M_EUlS1L_E_NS1_11comp_targetILNS1_3genE5ELNS1_11target_archE942ELNS1_3gpuE9ELNS1_3repE0EEENS1_30default_config_static_selectorELNS0_4arch9wavefront6targetE0EEEvSZ_.num_vgpr, 0
	.set _ZN7rocprim17ROCPRIM_400000_NS6detail17trampoline_kernelINS0_13select_configILj256ELj13ELNS0_17block_load_methodE3ELS4_3ELS4_3ELNS0_20block_scan_algorithmE0ELj4294967295EEENS1_25partition_config_selectorILNS1_17partition_subalgoE3EjNS0_10empty_typeEbEEZZNS1_14partition_implILS8_3ELb0ES6_jNS0_17counting_iteratorIjlEEPS9_SE_NS0_5tupleIJPjSE_EEENSF_IJSE_SE_EEES9_SG_JZNS1_25segmented_radix_sort_implINS0_14default_configELb0EPK12hip_bfloat16PSL_PKlPlN2at6native12_GLOBAL__N_18offset_tEEE10hipError_tPvRmT1_PNSt15iterator_traitsISZ_E10value_typeET2_T3_PNS10_IS15_E10value_typeET4_jRbjT5_S1B_jjP12ihipStream_tbEUljE_EEESW_SX_SY_S15_S19_S1B_T6_T7_T9_mT8_S1D_bDpT10_ENKUlT_T0_E_clISt17integral_constantIbLb1EES1Q_EEDaS1L_S1M_EUlS1L_E_NS1_11comp_targetILNS1_3genE5ELNS1_11target_archE942ELNS1_3gpuE9ELNS1_3repE0EEENS1_30default_config_static_selectorELNS0_4arch9wavefront6targetE0EEEvSZ_.num_agpr, 0
	.set _ZN7rocprim17ROCPRIM_400000_NS6detail17trampoline_kernelINS0_13select_configILj256ELj13ELNS0_17block_load_methodE3ELS4_3ELS4_3ELNS0_20block_scan_algorithmE0ELj4294967295EEENS1_25partition_config_selectorILNS1_17partition_subalgoE3EjNS0_10empty_typeEbEEZZNS1_14partition_implILS8_3ELb0ES6_jNS0_17counting_iteratorIjlEEPS9_SE_NS0_5tupleIJPjSE_EEENSF_IJSE_SE_EEES9_SG_JZNS1_25segmented_radix_sort_implINS0_14default_configELb0EPK12hip_bfloat16PSL_PKlPlN2at6native12_GLOBAL__N_18offset_tEEE10hipError_tPvRmT1_PNSt15iterator_traitsISZ_E10value_typeET2_T3_PNS10_IS15_E10value_typeET4_jRbjT5_S1B_jjP12ihipStream_tbEUljE_EEESW_SX_SY_S15_S19_S1B_T6_T7_T9_mT8_S1D_bDpT10_ENKUlT_T0_E_clISt17integral_constantIbLb1EES1Q_EEDaS1L_S1M_EUlS1L_E_NS1_11comp_targetILNS1_3genE5ELNS1_11target_archE942ELNS1_3gpuE9ELNS1_3repE0EEENS1_30default_config_static_selectorELNS0_4arch9wavefront6targetE0EEEvSZ_.numbered_sgpr, 0
	.set _ZN7rocprim17ROCPRIM_400000_NS6detail17trampoline_kernelINS0_13select_configILj256ELj13ELNS0_17block_load_methodE3ELS4_3ELS4_3ELNS0_20block_scan_algorithmE0ELj4294967295EEENS1_25partition_config_selectorILNS1_17partition_subalgoE3EjNS0_10empty_typeEbEEZZNS1_14partition_implILS8_3ELb0ES6_jNS0_17counting_iteratorIjlEEPS9_SE_NS0_5tupleIJPjSE_EEENSF_IJSE_SE_EEES9_SG_JZNS1_25segmented_radix_sort_implINS0_14default_configELb0EPK12hip_bfloat16PSL_PKlPlN2at6native12_GLOBAL__N_18offset_tEEE10hipError_tPvRmT1_PNSt15iterator_traitsISZ_E10value_typeET2_T3_PNS10_IS15_E10value_typeET4_jRbjT5_S1B_jjP12ihipStream_tbEUljE_EEESW_SX_SY_S15_S19_S1B_T6_T7_T9_mT8_S1D_bDpT10_ENKUlT_T0_E_clISt17integral_constantIbLb1EES1Q_EEDaS1L_S1M_EUlS1L_E_NS1_11comp_targetILNS1_3genE5ELNS1_11target_archE942ELNS1_3gpuE9ELNS1_3repE0EEENS1_30default_config_static_selectorELNS0_4arch9wavefront6targetE0EEEvSZ_.num_named_barrier, 0
	.set _ZN7rocprim17ROCPRIM_400000_NS6detail17trampoline_kernelINS0_13select_configILj256ELj13ELNS0_17block_load_methodE3ELS4_3ELS4_3ELNS0_20block_scan_algorithmE0ELj4294967295EEENS1_25partition_config_selectorILNS1_17partition_subalgoE3EjNS0_10empty_typeEbEEZZNS1_14partition_implILS8_3ELb0ES6_jNS0_17counting_iteratorIjlEEPS9_SE_NS0_5tupleIJPjSE_EEENSF_IJSE_SE_EEES9_SG_JZNS1_25segmented_radix_sort_implINS0_14default_configELb0EPK12hip_bfloat16PSL_PKlPlN2at6native12_GLOBAL__N_18offset_tEEE10hipError_tPvRmT1_PNSt15iterator_traitsISZ_E10value_typeET2_T3_PNS10_IS15_E10value_typeET4_jRbjT5_S1B_jjP12ihipStream_tbEUljE_EEESW_SX_SY_S15_S19_S1B_T6_T7_T9_mT8_S1D_bDpT10_ENKUlT_T0_E_clISt17integral_constantIbLb1EES1Q_EEDaS1L_S1M_EUlS1L_E_NS1_11comp_targetILNS1_3genE5ELNS1_11target_archE942ELNS1_3gpuE9ELNS1_3repE0EEENS1_30default_config_static_selectorELNS0_4arch9wavefront6targetE0EEEvSZ_.private_seg_size, 0
	.set _ZN7rocprim17ROCPRIM_400000_NS6detail17trampoline_kernelINS0_13select_configILj256ELj13ELNS0_17block_load_methodE3ELS4_3ELS4_3ELNS0_20block_scan_algorithmE0ELj4294967295EEENS1_25partition_config_selectorILNS1_17partition_subalgoE3EjNS0_10empty_typeEbEEZZNS1_14partition_implILS8_3ELb0ES6_jNS0_17counting_iteratorIjlEEPS9_SE_NS0_5tupleIJPjSE_EEENSF_IJSE_SE_EEES9_SG_JZNS1_25segmented_radix_sort_implINS0_14default_configELb0EPK12hip_bfloat16PSL_PKlPlN2at6native12_GLOBAL__N_18offset_tEEE10hipError_tPvRmT1_PNSt15iterator_traitsISZ_E10value_typeET2_T3_PNS10_IS15_E10value_typeET4_jRbjT5_S1B_jjP12ihipStream_tbEUljE_EEESW_SX_SY_S15_S19_S1B_T6_T7_T9_mT8_S1D_bDpT10_ENKUlT_T0_E_clISt17integral_constantIbLb1EES1Q_EEDaS1L_S1M_EUlS1L_E_NS1_11comp_targetILNS1_3genE5ELNS1_11target_archE942ELNS1_3gpuE9ELNS1_3repE0EEENS1_30default_config_static_selectorELNS0_4arch9wavefront6targetE0EEEvSZ_.uses_vcc, 0
	.set _ZN7rocprim17ROCPRIM_400000_NS6detail17trampoline_kernelINS0_13select_configILj256ELj13ELNS0_17block_load_methodE3ELS4_3ELS4_3ELNS0_20block_scan_algorithmE0ELj4294967295EEENS1_25partition_config_selectorILNS1_17partition_subalgoE3EjNS0_10empty_typeEbEEZZNS1_14partition_implILS8_3ELb0ES6_jNS0_17counting_iteratorIjlEEPS9_SE_NS0_5tupleIJPjSE_EEENSF_IJSE_SE_EEES9_SG_JZNS1_25segmented_radix_sort_implINS0_14default_configELb0EPK12hip_bfloat16PSL_PKlPlN2at6native12_GLOBAL__N_18offset_tEEE10hipError_tPvRmT1_PNSt15iterator_traitsISZ_E10value_typeET2_T3_PNS10_IS15_E10value_typeET4_jRbjT5_S1B_jjP12ihipStream_tbEUljE_EEESW_SX_SY_S15_S19_S1B_T6_T7_T9_mT8_S1D_bDpT10_ENKUlT_T0_E_clISt17integral_constantIbLb1EES1Q_EEDaS1L_S1M_EUlS1L_E_NS1_11comp_targetILNS1_3genE5ELNS1_11target_archE942ELNS1_3gpuE9ELNS1_3repE0EEENS1_30default_config_static_selectorELNS0_4arch9wavefront6targetE0EEEvSZ_.uses_flat_scratch, 0
	.set _ZN7rocprim17ROCPRIM_400000_NS6detail17trampoline_kernelINS0_13select_configILj256ELj13ELNS0_17block_load_methodE3ELS4_3ELS4_3ELNS0_20block_scan_algorithmE0ELj4294967295EEENS1_25partition_config_selectorILNS1_17partition_subalgoE3EjNS0_10empty_typeEbEEZZNS1_14partition_implILS8_3ELb0ES6_jNS0_17counting_iteratorIjlEEPS9_SE_NS0_5tupleIJPjSE_EEENSF_IJSE_SE_EEES9_SG_JZNS1_25segmented_radix_sort_implINS0_14default_configELb0EPK12hip_bfloat16PSL_PKlPlN2at6native12_GLOBAL__N_18offset_tEEE10hipError_tPvRmT1_PNSt15iterator_traitsISZ_E10value_typeET2_T3_PNS10_IS15_E10value_typeET4_jRbjT5_S1B_jjP12ihipStream_tbEUljE_EEESW_SX_SY_S15_S19_S1B_T6_T7_T9_mT8_S1D_bDpT10_ENKUlT_T0_E_clISt17integral_constantIbLb1EES1Q_EEDaS1L_S1M_EUlS1L_E_NS1_11comp_targetILNS1_3genE5ELNS1_11target_archE942ELNS1_3gpuE9ELNS1_3repE0EEENS1_30default_config_static_selectorELNS0_4arch9wavefront6targetE0EEEvSZ_.has_dyn_sized_stack, 0
	.set _ZN7rocprim17ROCPRIM_400000_NS6detail17trampoline_kernelINS0_13select_configILj256ELj13ELNS0_17block_load_methodE3ELS4_3ELS4_3ELNS0_20block_scan_algorithmE0ELj4294967295EEENS1_25partition_config_selectorILNS1_17partition_subalgoE3EjNS0_10empty_typeEbEEZZNS1_14partition_implILS8_3ELb0ES6_jNS0_17counting_iteratorIjlEEPS9_SE_NS0_5tupleIJPjSE_EEENSF_IJSE_SE_EEES9_SG_JZNS1_25segmented_radix_sort_implINS0_14default_configELb0EPK12hip_bfloat16PSL_PKlPlN2at6native12_GLOBAL__N_18offset_tEEE10hipError_tPvRmT1_PNSt15iterator_traitsISZ_E10value_typeET2_T3_PNS10_IS15_E10value_typeET4_jRbjT5_S1B_jjP12ihipStream_tbEUljE_EEESW_SX_SY_S15_S19_S1B_T6_T7_T9_mT8_S1D_bDpT10_ENKUlT_T0_E_clISt17integral_constantIbLb1EES1Q_EEDaS1L_S1M_EUlS1L_E_NS1_11comp_targetILNS1_3genE5ELNS1_11target_archE942ELNS1_3gpuE9ELNS1_3repE0EEENS1_30default_config_static_selectorELNS0_4arch9wavefront6targetE0EEEvSZ_.has_recursion, 0
	.set _ZN7rocprim17ROCPRIM_400000_NS6detail17trampoline_kernelINS0_13select_configILj256ELj13ELNS0_17block_load_methodE3ELS4_3ELS4_3ELNS0_20block_scan_algorithmE0ELj4294967295EEENS1_25partition_config_selectorILNS1_17partition_subalgoE3EjNS0_10empty_typeEbEEZZNS1_14partition_implILS8_3ELb0ES6_jNS0_17counting_iteratorIjlEEPS9_SE_NS0_5tupleIJPjSE_EEENSF_IJSE_SE_EEES9_SG_JZNS1_25segmented_radix_sort_implINS0_14default_configELb0EPK12hip_bfloat16PSL_PKlPlN2at6native12_GLOBAL__N_18offset_tEEE10hipError_tPvRmT1_PNSt15iterator_traitsISZ_E10value_typeET2_T3_PNS10_IS15_E10value_typeET4_jRbjT5_S1B_jjP12ihipStream_tbEUljE_EEESW_SX_SY_S15_S19_S1B_T6_T7_T9_mT8_S1D_bDpT10_ENKUlT_T0_E_clISt17integral_constantIbLb1EES1Q_EEDaS1L_S1M_EUlS1L_E_NS1_11comp_targetILNS1_3genE5ELNS1_11target_archE942ELNS1_3gpuE9ELNS1_3repE0EEENS1_30default_config_static_selectorELNS0_4arch9wavefront6targetE0EEEvSZ_.has_indirect_call, 0
	.section	.AMDGPU.csdata,"",@progbits
; Kernel info:
; codeLenInByte = 0
; TotalNumSgprs: 0
; NumVgprs: 0
; ScratchSize: 0
; MemoryBound: 0
; FloatMode: 240
; IeeeMode: 1
; LDSByteSize: 0 bytes/workgroup (compile time only)
; SGPRBlocks: 0
; VGPRBlocks: 0
; NumSGPRsForWavesPerEU: 1
; NumVGPRsForWavesPerEU: 1
; Occupancy: 16
; WaveLimiterHint : 0
; COMPUTE_PGM_RSRC2:SCRATCH_EN: 0
; COMPUTE_PGM_RSRC2:USER_SGPR: 2
; COMPUTE_PGM_RSRC2:TRAP_HANDLER: 0
; COMPUTE_PGM_RSRC2:TGID_X_EN: 1
; COMPUTE_PGM_RSRC2:TGID_Y_EN: 0
; COMPUTE_PGM_RSRC2:TGID_Z_EN: 0
; COMPUTE_PGM_RSRC2:TIDIG_COMP_CNT: 0
	.section	.text._ZN7rocprim17ROCPRIM_400000_NS6detail17trampoline_kernelINS0_13select_configILj256ELj13ELNS0_17block_load_methodE3ELS4_3ELS4_3ELNS0_20block_scan_algorithmE0ELj4294967295EEENS1_25partition_config_selectorILNS1_17partition_subalgoE3EjNS0_10empty_typeEbEEZZNS1_14partition_implILS8_3ELb0ES6_jNS0_17counting_iteratorIjlEEPS9_SE_NS0_5tupleIJPjSE_EEENSF_IJSE_SE_EEES9_SG_JZNS1_25segmented_radix_sort_implINS0_14default_configELb0EPK12hip_bfloat16PSL_PKlPlN2at6native12_GLOBAL__N_18offset_tEEE10hipError_tPvRmT1_PNSt15iterator_traitsISZ_E10value_typeET2_T3_PNS10_IS15_E10value_typeET4_jRbjT5_S1B_jjP12ihipStream_tbEUljE_EEESW_SX_SY_S15_S19_S1B_T6_T7_T9_mT8_S1D_bDpT10_ENKUlT_T0_E_clISt17integral_constantIbLb1EES1Q_EEDaS1L_S1M_EUlS1L_E_NS1_11comp_targetILNS1_3genE4ELNS1_11target_archE910ELNS1_3gpuE8ELNS1_3repE0EEENS1_30default_config_static_selectorELNS0_4arch9wavefront6targetE0EEEvSZ_,"axG",@progbits,_ZN7rocprim17ROCPRIM_400000_NS6detail17trampoline_kernelINS0_13select_configILj256ELj13ELNS0_17block_load_methodE3ELS4_3ELS4_3ELNS0_20block_scan_algorithmE0ELj4294967295EEENS1_25partition_config_selectorILNS1_17partition_subalgoE3EjNS0_10empty_typeEbEEZZNS1_14partition_implILS8_3ELb0ES6_jNS0_17counting_iteratorIjlEEPS9_SE_NS0_5tupleIJPjSE_EEENSF_IJSE_SE_EEES9_SG_JZNS1_25segmented_radix_sort_implINS0_14default_configELb0EPK12hip_bfloat16PSL_PKlPlN2at6native12_GLOBAL__N_18offset_tEEE10hipError_tPvRmT1_PNSt15iterator_traitsISZ_E10value_typeET2_T3_PNS10_IS15_E10value_typeET4_jRbjT5_S1B_jjP12ihipStream_tbEUljE_EEESW_SX_SY_S15_S19_S1B_T6_T7_T9_mT8_S1D_bDpT10_ENKUlT_T0_E_clISt17integral_constantIbLb1EES1Q_EEDaS1L_S1M_EUlS1L_E_NS1_11comp_targetILNS1_3genE4ELNS1_11target_archE910ELNS1_3gpuE8ELNS1_3repE0EEENS1_30default_config_static_selectorELNS0_4arch9wavefront6targetE0EEEvSZ_,comdat
	.globl	_ZN7rocprim17ROCPRIM_400000_NS6detail17trampoline_kernelINS0_13select_configILj256ELj13ELNS0_17block_load_methodE3ELS4_3ELS4_3ELNS0_20block_scan_algorithmE0ELj4294967295EEENS1_25partition_config_selectorILNS1_17partition_subalgoE3EjNS0_10empty_typeEbEEZZNS1_14partition_implILS8_3ELb0ES6_jNS0_17counting_iteratorIjlEEPS9_SE_NS0_5tupleIJPjSE_EEENSF_IJSE_SE_EEES9_SG_JZNS1_25segmented_radix_sort_implINS0_14default_configELb0EPK12hip_bfloat16PSL_PKlPlN2at6native12_GLOBAL__N_18offset_tEEE10hipError_tPvRmT1_PNSt15iterator_traitsISZ_E10value_typeET2_T3_PNS10_IS15_E10value_typeET4_jRbjT5_S1B_jjP12ihipStream_tbEUljE_EEESW_SX_SY_S15_S19_S1B_T6_T7_T9_mT8_S1D_bDpT10_ENKUlT_T0_E_clISt17integral_constantIbLb1EES1Q_EEDaS1L_S1M_EUlS1L_E_NS1_11comp_targetILNS1_3genE4ELNS1_11target_archE910ELNS1_3gpuE8ELNS1_3repE0EEENS1_30default_config_static_selectorELNS0_4arch9wavefront6targetE0EEEvSZ_ ; -- Begin function _ZN7rocprim17ROCPRIM_400000_NS6detail17trampoline_kernelINS0_13select_configILj256ELj13ELNS0_17block_load_methodE3ELS4_3ELS4_3ELNS0_20block_scan_algorithmE0ELj4294967295EEENS1_25partition_config_selectorILNS1_17partition_subalgoE3EjNS0_10empty_typeEbEEZZNS1_14partition_implILS8_3ELb0ES6_jNS0_17counting_iteratorIjlEEPS9_SE_NS0_5tupleIJPjSE_EEENSF_IJSE_SE_EEES9_SG_JZNS1_25segmented_radix_sort_implINS0_14default_configELb0EPK12hip_bfloat16PSL_PKlPlN2at6native12_GLOBAL__N_18offset_tEEE10hipError_tPvRmT1_PNSt15iterator_traitsISZ_E10value_typeET2_T3_PNS10_IS15_E10value_typeET4_jRbjT5_S1B_jjP12ihipStream_tbEUljE_EEESW_SX_SY_S15_S19_S1B_T6_T7_T9_mT8_S1D_bDpT10_ENKUlT_T0_E_clISt17integral_constantIbLb1EES1Q_EEDaS1L_S1M_EUlS1L_E_NS1_11comp_targetILNS1_3genE4ELNS1_11target_archE910ELNS1_3gpuE8ELNS1_3repE0EEENS1_30default_config_static_selectorELNS0_4arch9wavefront6targetE0EEEvSZ_
	.p2align	8
	.type	_ZN7rocprim17ROCPRIM_400000_NS6detail17trampoline_kernelINS0_13select_configILj256ELj13ELNS0_17block_load_methodE3ELS4_3ELS4_3ELNS0_20block_scan_algorithmE0ELj4294967295EEENS1_25partition_config_selectorILNS1_17partition_subalgoE3EjNS0_10empty_typeEbEEZZNS1_14partition_implILS8_3ELb0ES6_jNS0_17counting_iteratorIjlEEPS9_SE_NS0_5tupleIJPjSE_EEENSF_IJSE_SE_EEES9_SG_JZNS1_25segmented_radix_sort_implINS0_14default_configELb0EPK12hip_bfloat16PSL_PKlPlN2at6native12_GLOBAL__N_18offset_tEEE10hipError_tPvRmT1_PNSt15iterator_traitsISZ_E10value_typeET2_T3_PNS10_IS15_E10value_typeET4_jRbjT5_S1B_jjP12ihipStream_tbEUljE_EEESW_SX_SY_S15_S19_S1B_T6_T7_T9_mT8_S1D_bDpT10_ENKUlT_T0_E_clISt17integral_constantIbLb1EES1Q_EEDaS1L_S1M_EUlS1L_E_NS1_11comp_targetILNS1_3genE4ELNS1_11target_archE910ELNS1_3gpuE8ELNS1_3repE0EEENS1_30default_config_static_selectorELNS0_4arch9wavefront6targetE0EEEvSZ_,@function
_ZN7rocprim17ROCPRIM_400000_NS6detail17trampoline_kernelINS0_13select_configILj256ELj13ELNS0_17block_load_methodE3ELS4_3ELS4_3ELNS0_20block_scan_algorithmE0ELj4294967295EEENS1_25partition_config_selectorILNS1_17partition_subalgoE3EjNS0_10empty_typeEbEEZZNS1_14partition_implILS8_3ELb0ES6_jNS0_17counting_iteratorIjlEEPS9_SE_NS0_5tupleIJPjSE_EEENSF_IJSE_SE_EEES9_SG_JZNS1_25segmented_radix_sort_implINS0_14default_configELb0EPK12hip_bfloat16PSL_PKlPlN2at6native12_GLOBAL__N_18offset_tEEE10hipError_tPvRmT1_PNSt15iterator_traitsISZ_E10value_typeET2_T3_PNS10_IS15_E10value_typeET4_jRbjT5_S1B_jjP12ihipStream_tbEUljE_EEESW_SX_SY_S15_S19_S1B_T6_T7_T9_mT8_S1D_bDpT10_ENKUlT_T0_E_clISt17integral_constantIbLb1EES1Q_EEDaS1L_S1M_EUlS1L_E_NS1_11comp_targetILNS1_3genE4ELNS1_11target_archE910ELNS1_3gpuE8ELNS1_3repE0EEENS1_30default_config_static_selectorELNS0_4arch9wavefront6targetE0EEEvSZ_: ; @_ZN7rocprim17ROCPRIM_400000_NS6detail17trampoline_kernelINS0_13select_configILj256ELj13ELNS0_17block_load_methodE3ELS4_3ELS4_3ELNS0_20block_scan_algorithmE0ELj4294967295EEENS1_25partition_config_selectorILNS1_17partition_subalgoE3EjNS0_10empty_typeEbEEZZNS1_14partition_implILS8_3ELb0ES6_jNS0_17counting_iteratorIjlEEPS9_SE_NS0_5tupleIJPjSE_EEENSF_IJSE_SE_EEES9_SG_JZNS1_25segmented_radix_sort_implINS0_14default_configELb0EPK12hip_bfloat16PSL_PKlPlN2at6native12_GLOBAL__N_18offset_tEEE10hipError_tPvRmT1_PNSt15iterator_traitsISZ_E10value_typeET2_T3_PNS10_IS15_E10value_typeET4_jRbjT5_S1B_jjP12ihipStream_tbEUljE_EEESW_SX_SY_S15_S19_S1B_T6_T7_T9_mT8_S1D_bDpT10_ENKUlT_T0_E_clISt17integral_constantIbLb1EES1Q_EEDaS1L_S1M_EUlS1L_E_NS1_11comp_targetILNS1_3genE4ELNS1_11target_archE910ELNS1_3gpuE8ELNS1_3repE0EEENS1_30default_config_static_selectorELNS0_4arch9wavefront6targetE0EEEvSZ_
; %bb.0:
	.section	.rodata,"a",@progbits
	.p2align	6, 0x0
	.amdhsa_kernel _ZN7rocprim17ROCPRIM_400000_NS6detail17trampoline_kernelINS0_13select_configILj256ELj13ELNS0_17block_load_methodE3ELS4_3ELS4_3ELNS0_20block_scan_algorithmE0ELj4294967295EEENS1_25partition_config_selectorILNS1_17partition_subalgoE3EjNS0_10empty_typeEbEEZZNS1_14partition_implILS8_3ELb0ES6_jNS0_17counting_iteratorIjlEEPS9_SE_NS0_5tupleIJPjSE_EEENSF_IJSE_SE_EEES9_SG_JZNS1_25segmented_radix_sort_implINS0_14default_configELb0EPK12hip_bfloat16PSL_PKlPlN2at6native12_GLOBAL__N_18offset_tEEE10hipError_tPvRmT1_PNSt15iterator_traitsISZ_E10value_typeET2_T3_PNS10_IS15_E10value_typeET4_jRbjT5_S1B_jjP12ihipStream_tbEUljE_EEESW_SX_SY_S15_S19_S1B_T6_T7_T9_mT8_S1D_bDpT10_ENKUlT_T0_E_clISt17integral_constantIbLb1EES1Q_EEDaS1L_S1M_EUlS1L_E_NS1_11comp_targetILNS1_3genE4ELNS1_11target_archE910ELNS1_3gpuE8ELNS1_3repE0EEENS1_30default_config_static_selectorELNS0_4arch9wavefront6targetE0EEEvSZ_
		.amdhsa_group_segment_fixed_size 0
		.amdhsa_private_segment_fixed_size 0
		.amdhsa_kernarg_size 152
		.amdhsa_user_sgpr_count 2
		.amdhsa_user_sgpr_dispatch_ptr 0
		.amdhsa_user_sgpr_queue_ptr 0
		.amdhsa_user_sgpr_kernarg_segment_ptr 1
		.amdhsa_user_sgpr_dispatch_id 0
		.amdhsa_user_sgpr_private_segment_size 0
		.amdhsa_wavefront_size32 1
		.amdhsa_uses_dynamic_stack 0
		.amdhsa_enable_private_segment 0
		.amdhsa_system_sgpr_workgroup_id_x 1
		.amdhsa_system_sgpr_workgroup_id_y 0
		.amdhsa_system_sgpr_workgroup_id_z 0
		.amdhsa_system_sgpr_workgroup_info 0
		.amdhsa_system_vgpr_workitem_id 0
		.amdhsa_next_free_vgpr 1
		.amdhsa_next_free_sgpr 1
		.amdhsa_reserve_vcc 0
		.amdhsa_float_round_mode_32 0
		.amdhsa_float_round_mode_16_64 0
		.amdhsa_float_denorm_mode_32 3
		.amdhsa_float_denorm_mode_16_64 3
		.amdhsa_fp16_overflow 0
		.amdhsa_workgroup_processor_mode 1
		.amdhsa_memory_ordered 1
		.amdhsa_forward_progress 1
		.amdhsa_inst_pref_size 0
		.amdhsa_round_robin_scheduling 0
		.amdhsa_exception_fp_ieee_invalid_op 0
		.amdhsa_exception_fp_denorm_src 0
		.amdhsa_exception_fp_ieee_div_zero 0
		.amdhsa_exception_fp_ieee_overflow 0
		.amdhsa_exception_fp_ieee_underflow 0
		.amdhsa_exception_fp_ieee_inexact 0
		.amdhsa_exception_int_div_zero 0
	.end_amdhsa_kernel
	.section	.text._ZN7rocprim17ROCPRIM_400000_NS6detail17trampoline_kernelINS0_13select_configILj256ELj13ELNS0_17block_load_methodE3ELS4_3ELS4_3ELNS0_20block_scan_algorithmE0ELj4294967295EEENS1_25partition_config_selectorILNS1_17partition_subalgoE3EjNS0_10empty_typeEbEEZZNS1_14partition_implILS8_3ELb0ES6_jNS0_17counting_iteratorIjlEEPS9_SE_NS0_5tupleIJPjSE_EEENSF_IJSE_SE_EEES9_SG_JZNS1_25segmented_radix_sort_implINS0_14default_configELb0EPK12hip_bfloat16PSL_PKlPlN2at6native12_GLOBAL__N_18offset_tEEE10hipError_tPvRmT1_PNSt15iterator_traitsISZ_E10value_typeET2_T3_PNS10_IS15_E10value_typeET4_jRbjT5_S1B_jjP12ihipStream_tbEUljE_EEESW_SX_SY_S15_S19_S1B_T6_T7_T9_mT8_S1D_bDpT10_ENKUlT_T0_E_clISt17integral_constantIbLb1EES1Q_EEDaS1L_S1M_EUlS1L_E_NS1_11comp_targetILNS1_3genE4ELNS1_11target_archE910ELNS1_3gpuE8ELNS1_3repE0EEENS1_30default_config_static_selectorELNS0_4arch9wavefront6targetE0EEEvSZ_,"axG",@progbits,_ZN7rocprim17ROCPRIM_400000_NS6detail17trampoline_kernelINS0_13select_configILj256ELj13ELNS0_17block_load_methodE3ELS4_3ELS4_3ELNS0_20block_scan_algorithmE0ELj4294967295EEENS1_25partition_config_selectorILNS1_17partition_subalgoE3EjNS0_10empty_typeEbEEZZNS1_14partition_implILS8_3ELb0ES6_jNS0_17counting_iteratorIjlEEPS9_SE_NS0_5tupleIJPjSE_EEENSF_IJSE_SE_EEES9_SG_JZNS1_25segmented_radix_sort_implINS0_14default_configELb0EPK12hip_bfloat16PSL_PKlPlN2at6native12_GLOBAL__N_18offset_tEEE10hipError_tPvRmT1_PNSt15iterator_traitsISZ_E10value_typeET2_T3_PNS10_IS15_E10value_typeET4_jRbjT5_S1B_jjP12ihipStream_tbEUljE_EEESW_SX_SY_S15_S19_S1B_T6_T7_T9_mT8_S1D_bDpT10_ENKUlT_T0_E_clISt17integral_constantIbLb1EES1Q_EEDaS1L_S1M_EUlS1L_E_NS1_11comp_targetILNS1_3genE4ELNS1_11target_archE910ELNS1_3gpuE8ELNS1_3repE0EEENS1_30default_config_static_selectorELNS0_4arch9wavefront6targetE0EEEvSZ_,comdat
.Lfunc_end2027:
	.size	_ZN7rocprim17ROCPRIM_400000_NS6detail17trampoline_kernelINS0_13select_configILj256ELj13ELNS0_17block_load_methodE3ELS4_3ELS4_3ELNS0_20block_scan_algorithmE0ELj4294967295EEENS1_25partition_config_selectorILNS1_17partition_subalgoE3EjNS0_10empty_typeEbEEZZNS1_14partition_implILS8_3ELb0ES6_jNS0_17counting_iteratorIjlEEPS9_SE_NS0_5tupleIJPjSE_EEENSF_IJSE_SE_EEES9_SG_JZNS1_25segmented_radix_sort_implINS0_14default_configELb0EPK12hip_bfloat16PSL_PKlPlN2at6native12_GLOBAL__N_18offset_tEEE10hipError_tPvRmT1_PNSt15iterator_traitsISZ_E10value_typeET2_T3_PNS10_IS15_E10value_typeET4_jRbjT5_S1B_jjP12ihipStream_tbEUljE_EEESW_SX_SY_S15_S19_S1B_T6_T7_T9_mT8_S1D_bDpT10_ENKUlT_T0_E_clISt17integral_constantIbLb1EES1Q_EEDaS1L_S1M_EUlS1L_E_NS1_11comp_targetILNS1_3genE4ELNS1_11target_archE910ELNS1_3gpuE8ELNS1_3repE0EEENS1_30default_config_static_selectorELNS0_4arch9wavefront6targetE0EEEvSZ_, .Lfunc_end2027-_ZN7rocprim17ROCPRIM_400000_NS6detail17trampoline_kernelINS0_13select_configILj256ELj13ELNS0_17block_load_methodE3ELS4_3ELS4_3ELNS0_20block_scan_algorithmE0ELj4294967295EEENS1_25partition_config_selectorILNS1_17partition_subalgoE3EjNS0_10empty_typeEbEEZZNS1_14partition_implILS8_3ELb0ES6_jNS0_17counting_iteratorIjlEEPS9_SE_NS0_5tupleIJPjSE_EEENSF_IJSE_SE_EEES9_SG_JZNS1_25segmented_radix_sort_implINS0_14default_configELb0EPK12hip_bfloat16PSL_PKlPlN2at6native12_GLOBAL__N_18offset_tEEE10hipError_tPvRmT1_PNSt15iterator_traitsISZ_E10value_typeET2_T3_PNS10_IS15_E10value_typeET4_jRbjT5_S1B_jjP12ihipStream_tbEUljE_EEESW_SX_SY_S15_S19_S1B_T6_T7_T9_mT8_S1D_bDpT10_ENKUlT_T0_E_clISt17integral_constantIbLb1EES1Q_EEDaS1L_S1M_EUlS1L_E_NS1_11comp_targetILNS1_3genE4ELNS1_11target_archE910ELNS1_3gpuE8ELNS1_3repE0EEENS1_30default_config_static_selectorELNS0_4arch9wavefront6targetE0EEEvSZ_
                                        ; -- End function
	.set _ZN7rocprim17ROCPRIM_400000_NS6detail17trampoline_kernelINS0_13select_configILj256ELj13ELNS0_17block_load_methodE3ELS4_3ELS4_3ELNS0_20block_scan_algorithmE0ELj4294967295EEENS1_25partition_config_selectorILNS1_17partition_subalgoE3EjNS0_10empty_typeEbEEZZNS1_14partition_implILS8_3ELb0ES6_jNS0_17counting_iteratorIjlEEPS9_SE_NS0_5tupleIJPjSE_EEENSF_IJSE_SE_EEES9_SG_JZNS1_25segmented_radix_sort_implINS0_14default_configELb0EPK12hip_bfloat16PSL_PKlPlN2at6native12_GLOBAL__N_18offset_tEEE10hipError_tPvRmT1_PNSt15iterator_traitsISZ_E10value_typeET2_T3_PNS10_IS15_E10value_typeET4_jRbjT5_S1B_jjP12ihipStream_tbEUljE_EEESW_SX_SY_S15_S19_S1B_T6_T7_T9_mT8_S1D_bDpT10_ENKUlT_T0_E_clISt17integral_constantIbLb1EES1Q_EEDaS1L_S1M_EUlS1L_E_NS1_11comp_targetILNS1_3genE4ELNS1_11target_archE910ELNS1_3gpuE8ELNS1_3repE0EEENS1_30default_config_static_selectorELNS0_4arch9wavefront6targetE0EEEvSZ_.num_vgpr, 0
	.set _ZN7rocprim17ROCPRIM_400000_NS6detail17trampoline_kernelINS0_13select_configILj256ELj13ELNS0_17block_load_methodE3ELS4_3ELS4_3ELNS0_20block_scan_algorithmE0ELj4294967295EEENS1_25partition_config_selectorILNS1_17partition_subalgoE3EjNS0_10empty_typeEbEEZZNS1_14partition_implILS8_3ELb0ES6_jNS0_17counting_iteratorIjlEEPS9_SE_NS0_5tupleIJPjSE_EEENSF_IJSE_SE_EEES9_SG_JZNS1_25segmented_radix_sort_implINS0_14default_configELb0EPK12hip_bfloat16PSL_PKlPlN2at6native12_GLOBAL__N_18offset_tEEE10hipError_tPvRmT1_PNSt15iterator_traitsISZ_E10value_typeET2_T3_PNS10_IS15_E10value_typeET4_jRbjT5_S1B_jjP12ihipStream_tbEUljE_EEESW_SX_SY_S15_S19_S1B_T6_T7_T9_mT8_S1D_bDpT10_ENKUlT_T0_E_clISt17integral_constantIbLb1EES1Q_EEDaS1L_S1M_EUlS1L_E_NS1_11comp_targetILNS1_3genE4ELNS1_11target_archE910ELNS1_3gpuE8ELNS1_3repE0EEENS1_30default_config_static_selectorELNS0_4arch9wavefront6targetE0EEEvSZ_.num_agpr, 0
	.set _ZN7rocprim17ROCPRIM_400000_NS6detail17trampoline_kernelINS0_13select_configILj256ELj13ELNS0_17block_load_methodE3ELS4_3ELS4_3ELNS0_20block_scan_algorithmE0ELj4294967295EEENS1_25partition_config_selectorILNS1_17partition_subalgoE3EjNS0_10empty_typeEbEEZZNS1_14partition_implILS8_3ELb0ES6_jNS0_17counting_iteratorIjlEEPS9_SE_NS0_5tupleIJPjSE_EEENSF_IJSE_SE_EEES9_SG_JZNS1_25segmented_radix_sort_implINS0_14default_configELb0EPK12hip_bfloat16PSL_PKlPlN2at6native12_GLOBAL__N_18offset_tEEE10hipError_tPvRmT1_PNSt15iterator_traitsISZ_E10value_typeET2_T3_PNS10_IS15_E10value_typeET4_jRbjT5_S1B_jjP12ihipStream_tbEUljE_EEESW_SX_SY_S15_S19_S1B_T6_T7_T9_mT8_S1D_bDpT10_ENKUlT_T0_E_clISt17integral_constantIbLb1EES1Q_EEDaS1L_S1M_EUlS1L_E_NS1_11comp_targetILNS1_3genE4ELNS1_11target_archE910ELNS1_3gpuE8ELNS1_3repE0EEENS1_30default_config_static_selectorELNS0_4arch9wavefront6targetE0EEEvSZ_.numbered_sgpr, 0
	.set _ZN7rocprim17ROCPRIM_400000_NS6detail17trampoline_kernelINS0_13select_configILj256ELj13ELNS0_17block_load_methodE3ELS4_3ELS4_3ELNS0_20block_scan_algorithmE0ELj4294967295EEENS1_25partition_config_selectorILNS1_17partition_subalgoE3EjNS0_10empty_typeEbEEZZNS1_14partition_implILS8_3ELb0ES6_jNS0_17counting_iteratorIjlEEPS9_SE_NS0_5tupleIJPjSE_EEENSF_IJSE_SE_EEES9_SG_JZNS1_25segmented_radix_sort_implINS0_14default_configELb0EPK12hip_bfloat16PSL_PKlPlN2at6native12_GLOBAL__N_18offset_tEEE10hipError_tPvRmT1_PNSt15iterator_traitsISZ_E10value_typeET2_T3_PNS10_IS15_E10value_typeET4_jRbjT5_S1B_jjP12ihipStream_tbEUljE_EEESW_SX_SY_S15_S19_S1B_T6_T7_T9_mT8_S1D_bDpT10_ENKUlT_T0_E_clISt17integral_constantIbLb1EES1Q_EEDaS1L_S1M_EUlS1L_E_NS1_11comp_targetILNS1_3genE4ELNS1_11target_archE910ELNS1_3gpuE8ELNS1_3repE0EEENS1_30default_config_static_selectorELNS0_4arch9wavefront6targetE0EEEvSZ_.num_named_barrier, 0
	.set _ZN7rocprim17ROCPRIM_400000_NS6detail17trampoline_kernelINS0_13select_configILj256ELj13ELNS0_17block_load_methodE3ELS4_3ELS4_3ELNS0_20block_scan_algorithmE0ELj4294967295EEENS1_25partition_config_selectorILNS1_17partition_subalgoE3EjNS0_10empty_typeEbEEZZNS1_14partition_implILS8_3ELb0ES6_jNS0_17counting_iteratorIjlEEPS9_SE_NS0_5tupleIJPjSE_EEENSF_IJSE_SE_EEES9_SG_JZNS1_25segmented_radix_sort_implINS0_14default_configELb0EPK12hip_bfloat16PSL_PKlPlN2at6native12_GLOBAL__N_18offset_tEEE10hipError_tPvRmT1_PNSt15iterator_traitsISZ_E10value_typeET2_T3_PNS10_IS15_E10value_typeET4_jRbjT5_S1B_jjP12ihipStream_tbEUljE_EEESW_SX_SY_S15_S19_S1B_T6_T7_T9_mT8_S1D_bDpT10_ENKUlT_T0_E_clISt17integral_constantIbLb1EES1Q_EEDaS1L_S1M_EUlS1L_E_NS1_11comp_targetILNS1_3genE4ELNS1_11target_archE910ELNS1_3gpuE8ELNS1_3repE0EEENS1_30default_config_static_selectorELNS0_4arch9wavefront6targetE0EEEvSZ_.private_seg_size, 0
	.set _ZN7rocprim17ROCPRIM_400000_NS6detail17trampoline_kernelINS0_13select_configILj256ELj13ELNS0_17block_load_methodE3ELS4_3ELS4_3ELNS0_20block_scan_algorithmE0ELj4294967295EEENS1_25partition_config_selectorILNS1_17partition_subalgoE3EjNS0_10empty_typeEbEEZZNS1_14partition_implILS8_3ELb0ES6_jNS0_17counting_iteratorIjlEEPS9_SE_NS0_5tupleIJPjSE_EEENSF_IJSE_SE_EEES9_SG_JZNS1_25segmented_radix_sort_implINS0_14default_configELb0EPK12hip_bfloat16PSL_PKlPlN2at6native12_GLOBAL__N_18offset_tEEE10hipError_tPvRmT1_PNSt15iterator_traitsISZ_E10value_typeET2_T3_PNS10_IS15_E10value_typeET4_jRbjT5_S1B_jjP12ihipStream_tbEUljE_EEESW_SX_SY_S15_S19_S1B_T6_T7_T9_mT8_S1D_bDpT10_ENKUlT_T0_E_clISt17integral_constantIbLb1EES1Q_EEDaS1L_S1M_EUlS1L_E_NS1_11comp_targetILNS1_3genE4ELNS1_11target_archE910ELNS1_3gpuE8ELNS1_3repE0EEENS1_30default_config_static_selectorELNS0_4arch9wavefront6targetE0EEEvSZ_.uses_vcc, 0
	.set _ZN7rocprim17ROCPRIM_400000_NS6detail17trampoline_kernelINS0_13select_configILj256ELj13ELNS0_17block_load_methodE3ELS4_3ELS4_3ELNS0_20block_scan_algorithmE0ELj4294967295EEENS1_25partition_config_selectorILNS1_17partition_subalgoE3EjNS0_10empty_typeEbEEZZNS1_14partition_implILS8_3ELb0ES6_jNS0_17counting_iteratorIjlEEPS9_SE_NS0_5tupleIJPjSE_EEENSF_IJSE_SE_EEES9_SG_JZNS1_25segmented_radix_sort_implINS0_14default_configELb0EPK12hip_bfloat16PSL_PKlPlN2at6native12_GLOBAL__N_18offset_tEEE10hipError_tPvRmT1_PNSt15iterator_traitsISZ_E10value_typeET2_T3_PNS10_IS15_E10value_typeET4_jRbjT5_S1B_jjP12ihipStream_tbEUljE_EEESW_SX_SY_S15_S19_S1B_T6_T7_T9_mT8_S1D_bDpT10_ENKUlT_T0_E_clISt17integral_constantIbLb1EES1Q_EEDaS1L_S1M_EUlS1L_E_NS1_11comp_targetILNS1_3genE4ELNS1_11target_archE910ELNS1_3gpuE8ELNS1_3repE0EEENS1_30default_config_static_selectorELNS0_4arch9wavefront6targetE0EEEvSZ_.uses_flat_scratch, 0
	.set _ZN7rocprim17ROCPRIM_400000_NS6detail17trampoline_kernelINS0_13select_configILj256ELj13ELNS0_17block_load_methodE3ELS4_3ELS4_3ELNS0_20block_scan_algorithmE0ELj4294967295EEENS1_25partition_config_selectorILNS1_17partition_subalgoE3EjNS0_10empty_typeEbEEZZNS1_14partition_implILS8_3ELb0ES6_jNS0_17counting_iteratorIjlEEPS9_SE_NS0_5tupleIJPjSE_EEENSF_IJSE_SE_EEES9_SG_JZNS1_25segmented_radix_sort_implINS0_14default_configELb0EPK12hip_bfloat16PSL_PKlPlN2at6native12_GLOBAL__N_18offset_tEEE10hipError_tPvRmT1_PNSt15iterator_traitsISZ_E10value_typeET2_T3_PNS10_IS15_E10value_typeET4_jRbjT5_S1B_jjP12ihipStream_tbEUljE_EEESW_SX_SY_S15_S19_S1B_T6_T7_T9_mT8_S1D_bDpT10_ENKUlT_T0_E_clISt17integral_constantIbLb1EES1Q_EEDaS1L_S1M_EUlS1L_E_NS1_11comp_targetILNS1_3genE4ELNS1_11target_archE910ELNS1_3gpuE8ELNS1_3repE0EEENS1_30default_config_static_selectorELNS0_4arch9wavefront6targetE0EEEvSZ_.has_dyn_sized_stack, 0
	.set _ZN7rocprim17ROCPRIM_400000_NS6detail17trampoline_kernelINS0_13select_configILj256ELj13ELNS0_17block_load_methodE3ELS4_3ELS4_3ELNS0_20block_scan_algorithmE0ELj4294967295EEENS1_25partition_config_selectorILNS1_17partition_subalgoE3EjNS0_10empty_typeEbEEZZNS1_14partition_implILS8_3ELb0ES6_jNS0_17counting_iteratorIjlEEPS9_SE_NS0_5tupleIJPjSE_EEENSF_IJSE_SE_EEES9_SG_JZNS1_25segmented_radix_sort_implINS0_14default_configELb0EPK12hip_bfloat16PSL_PKlPlN2at6native12_GLOBAL__N_18offset_tEEE10hipError_tPvRmT1_PNSt15iterator_traitsISZ_E10value_typeET2_T3_PNS10_IS15_E10value_typeET4_jRbjT5_S1B_jjP12ihipStream_tbEUljE_EEESW_SX_SY_S15_S19_S1B_T6_T7_T9_mT8_S1D_bDpT10_ENKUlT_T0_E_clISt17integral_constantIbLb1EES1Q_EEDaS1L_S1M_EUlS1L_E_NS1_11comp_targetILNS1_3genE4ELNS1_11target_archE910ELNS1_3gpuE8ELNS1_3repE0EEENS1_30default_config_static_selectorELNS0_4arch9wavefront6targetE0EEEvSZ_.has_recursion, 0
	.set _ZN7rocprim17ROCPRIM_400000_NS6detail17trampoline_kernelINS0_13select_configILj256ELj13ELNS0_17block_load_methodE3ELS4_3ELS4_3ELNS0_20block_scan_algorithmE0ELj4294967295EEENS1_25partition_config_selectorILNS1_17partition_subalgoE3EjNS0_10empty_typeEbEEZZNS1_14partition_implILS8_3ELb0ES6_jNS0_17counting_iteratorIjlEEPS9_SE_NS0_5tupleIJPjSE_EEENSF_IJSE_SE_EEES9_SG_JZNS1_25segmented_radix_sort_implINS0_14default_configELb0EPK12hip_bfloat16PSL_PKlPlN2at6native12_GLOBAL__N_18offset_tEEE10hipError_tPvRmT1_PNSt15iterator_traitsISZ_E10value_typeET2_T3_PNS10_IS15_E10value_typeET4_jRbjT5_S1B_jjP12ihipStream_tbEUljE_EEESW_SX_SY_S15_S19_S1B_T6_T7_T9_mT8_S1D_bDpT10_ENKUlT_T0_E_clISt17integral_constantIbLb1EES1Q_EEDaS1L_S1M_EUlS1L_E_NS1_11comp_targetILNS1_3genE4ELNS1_11target_archE910ELNS1_3gpuE8ELNS1_3repE0EEENS1_30default_config_static_selectorELNS0_4arch9wavefront6targetE0EEEvSZ_.has_indirect_call, 0
	.section	.AMDGPU.csdata,"",@progbits
; Kernel info:
; codeLenInByte = 0
; TotalNumSgprs: 0
; NumVgprs: 0
; ScratchSize: 0
; MemoryBound: 0
; FloatMode: 240
; IeeeMode: 1
; LDSByteSize: 0 bytes/workgroup (compile time only)
; SGPRBlocks: 0
; VGPRBlocks: 0
; NumSGPRsForWavesPerEU: 1
; NumVGPRsForWavesPerEU: 1
; Occupancy: 16
; WaveLimiterHint : 0
; COMPUTE_PGM_RSRC2:SCRATCH_EN: 0
; COMPUTE_PGM_RSRC2:USER_SGPR: 2
; COMPUTE_PGM_RSRC2:TRAP_HANDLER: 0
; COMPUTE_PGM_RSRC2:TGID_X_EN: 1
; COMPUTE_PGM_RSRC2:TGID_Y_EN: 0
; COMPUTE_PGM_RSRC2:TGID_Z_EN: 0
; COMPUTE_PGM_RSRC2:TIDIG_COMP_CNT: 0
	.section	.text._ZN7rocprim17ROCPRIM_400000_NS6detail17trampoline_kernelINS0_13select_configILj256ELj13ELNS0_17block_load_methodE3ELS4_3ELS4_3ELNS0_20block_scan_algorithmE0ELj4294967295EEENS1_25partition_config_selectorILNS1_17partition_subalgoE3EjNS0_10empty_typeEbEEZZNS1_14partition_implILS8_3ELb0ES6_jNS0_17counting_iteratorIjlEEPS9_SE_NS0_5tupleIJPjSE_EEENSF_IJSE_SE_EEES9_SG_JZNS1_25segmented_radix_sort_implINS0_14default_configELb0EPK12hip_bfloat16PSL_PKlPlN2at6native12_GLOBAL__N_18offset_tEEE10hipError_tPvRmT1_PNSt15iterator_traitsISZ_E10value_typeET2_T3_PNS10_IS15_E10value_typeET4_jRbjT5_S1B_jjP12ihipStream_tbEUljE_EEESW_SX_SY_S15_S19_S1B_T6_T7_T9_mT8_S1D_bDpT10_ENKUlT_T0_E_clISt17integral_constantIbLb1EES1Q_EEDaS1L_S1M_EUlS1L_E_NS1_11comp_targetILNS1_3genE3ELNS1_11target_archE908ELNS1_3gpuE7ELNS1_3repE0EEENS1_30default_config_static_selectorELNS0_4arch9wavefront6targetE0EEEvSZ_,"axG",@progbits,_ZN7rocprim17ROCPRIM_400000_NS6detail17trampoline_kernelINS0_13select_configILj256ELj13ELNS0_17block_load_methodE3ELS4_3ELS4_3ELNS0_20block_scan_algorithmE0ELj4294967295EEENS1_25partition_config_selectorILNS1_17partition_subalgoE3EjNS0_10empty_typeEbEEZZNS1_14partition_implILS8_3ELb0ES6_jNS0_17counting_iteratorIjlEEPS9_SE_NS0_5tupleIJPjSE_EEENSF_IJSE_SE_EEES9_SG_JZNS1_25segmented_radix_sort_implINS0_14default_configELb0EPK12hip_bfloat16PSL_PKlPlN2at6native12_GLOBAL__N_18offset_tEEE10hipError_tPvRmT1_PNSt15iterator_traitsISZ_E10value_typeET2_T3_PNS10_IS15_E10value_typeET4_jRbjT5_S1B_jjP12ihipStream_tbEUljE_EEESW_SX_SY_S15_S19_S1B_T6_T7_T9_mT8_S1D_bDpT10_ENKUlT_T0_E_clISt17integral_constantIbLb1EES1Q_EEDaS1L_S1M_EUlS1L_E_NS1_11comp_targetILNS1_3genE3ELNS1_11target_archE908ELNS1_3gpuE7ELNS1_3repE0EEENS1_30default_config_static_selectorELNS0_4arch9wavefront6targetE0EEEvSZ_,comdat
	.globl	_ZN7rocprim17ROCPRIM_400000_NS6detail17trampoline_kernelINS0_13select_configILj256ELj13ELNS0_17block_load_methodE3ELS4_3ELS4_3ELNS0_20block_scan_algorithmE0ELj4294967295EEENS1_25partition_config_selectorILNS1_17partition_subalgoE3EjNS0_10empty_typeEbEEZZNS1_14partition_implILS8_3ELb0ES6_jNS0_17counting_iteratorIjlEEPS9_SE_NS0_5tupleIJPjSE_EEENSF_IJSE_SE_EEES9_SG_JZNS1_25segmented_radix_sort_implINS0_14default_configELb0EPK12hip_bfloat16PSL_PKlPlN2at6native12_GLOBAL__N_18offset_tEEE10hipError_tPvRmT1_PNSt15iterator_traitsISZ_E10value_typeET2_T3_PNS10_IS15_E10value_typeET4_jRbjT5_S1B_jjP12ihipStream_tbEUljE_EEESW_SX_SY_S15_S19_S1B_T6_T7_T9_mT8_S1D_bDpT10_ENKUlT_T0_E_clISt17integral_constantIbLb1EES1Q_EEDaS1L_S1M_EUlS1L_E_NS1_11comp_targetILNS1_3genE3ELNS1_11target_archE908ELNS1_3gpuE7ELNS1_3repE0EEENS1_30default_config_static_selectorELNS0_4arch9wavefront6targetE0EEEvSZ_ ; -- Begin function _ZN7rocprim17ROCPRIM_400000_NS6detail17trampoline_kernelINS0_13select_configILj256ELj13ELNS0_17block_load_methodE3ELS4_3ELS4_3ELNS0_20block_scan_algorithmE0ELj4294967295EEENS1_25partition_config_selectorILNS1_17partition_subalgoE3EjNS0_10empty_typeEbEEZZNS1_14partition_implILS8_3ELb0ES6_jNS0_17counting_iteratorIjlEEPS9_SE_NS0_5tupleIJPjSE_EEENSF_IJSE_SE_EEES9_SG_JZNS1_25segmented_radix_sort_implINS0_14default_configELb0EPK12hip_bfloat16PSL_PKlPlN2at6native12_GLOBAL__N_18offset_tEEE10hipError_tPvRmT1_PNSt15iterator_traitsISZ_E10value_typeET2_T3_PNS10_IS15_E10value_typeET4_jRbjT5_S1B_jjP12ihipStream_tbEUljE_EEESW_SX_SY_S15_S19_S1B_T6_T7_T9_mT8_S1D_bDpT10_ENKUlT_T0_E_clISt17integral_constantIbLb1EES1Q_EEDaS1L_S1M_EUlS1L_E_NS1_11comp_targetILNS1_3genE3ELNS1_11target_archE908ELNS1_3gpuE7ELNS1_3repE0EEENS1_30default_config_static_selectorELNS0_4arch9wavefront6targetE0EEEvSZ_
	.p2align	8
	.type	_ZN7rocprim17ROCPRIM_400000_NS6detail17trampoline_kernelINS0_13select_configILj256ELj13ELNS0_17block_load_methodE3ELS4_3ELS4_3ELNS0_20block_scan_algorithmE0ELj4294967295EEENS1_25partition_config_selectorILNS1_17partition_subalgoE3EjNS0_10empty_typeEbEEZZNS1_14partition_implILS8_3ELb0ES6_jNS0_17counting_iteratorIjlEEPS9_SE_NS0_5tupleIJPjSE_EEENSF_IJSE_SE_EEES9_SG_JZNS1_25segmented_radix_sort_implINS0_14default_configELb0EPK12hip_bfloat16PSL_PKlPlN2at6native12_GLOBAL__N_18offset_tEEE10hipError_tPvRmT1_PNSt15iterator_traitsISZ_E10value_typeET2_T3_PNS10_IS15_E10value_typeET4_jRbjT5_S1B_jjP12ihipStream_tbEUljE_EEESW_SX_SY_S15_S19_S1B_T6_T7_T9_mT8_S1D_bDpT10_ENKUlT_T0_E_clISt17integral_constantIbLb1EES1Q_EEDaS1L_S1M_EUlS1L_E_NS1_11comp_targetILNS1_3genE3ELNS1_11target_archE908ELNS1_3gpuE7ELNS1_3repE0EEENS1_30default_config_static_selectorELNS0_4arch9wavefront6targetE0EEEvSZ_,@function
_ZN7rocprim17ROCPRIM_400000_NS6detail17trampoline_kernelINS0_13select_configILj256ELj13ELNS0_17block_load_methodE3ELS4_3ELS4_3ELNS0_20block_scan_algorithmE0ELj4294967295EEENS1_25partition_config_selectorILNS1_17partition_subalgoE3EjNS0_10empty_typeEbEEZZNS1_14partition_implILS8_3ELb0ES6_jNS0_17counting_iteratorIjlEEPS9_SE_NS0_5tupleIJPjSE_EEENSF_IJSE_SE_EEES9_SG_JZNS1_25segmented_radix_sort_implINS0_14default_configELb0EPK12hip_bfloat16PSL_PKlPlN2at6native12_GLOBAL__N_18offset_tEEE10hipError_tPvRmT1_PNSt15iterator_traitsISZ_E10value_typeET2_T3_PNS10_IS15_E10value_typeET4_jRbjT5_S1B_jjP12ihipStream_tbEUljE_EEESW_SX_SY_S15_S19_S1B_T6_T7_T9_mT8_S1D_bDpT10_ENKUlT_T0_E_clISt17integral_constantIbLb1EES1Q_EEDaS1L_S1M_EUlS1L_E_NS1_11comp_targetILNS1_3genE3ELNS1_11target_archE908ELNS1_3gpuE7ELNS1_3repE0EEENS1_30default_config_static_selectorELNS0_4arch9wavefront6targetE0EEEvSZ_: ; @_ZN7rocprim17ROCPRIM_400000_NS6detail17trampoline_kernelINS0_13select_configILj256ELj13ELNS0_17block_load_methodE3ELS4_3ELS4_3ELNS0_20block_scan_algorithmE0ELj4294967295EEENS1_25partition_config_selectorILNS1_17partition_subalgoE3EjNS0_10empty_typeEbEEZZNS1_14partition_implILS8_3ELb0ES6_jNS0_17counting_iteratorIjlEEPS9_SE_NS0_5tupleIJPjSE_EEENSF_IJSE_SE_EEES9_SG_JZNS1_25segmented_radix_sort_implINS0_14default_configELb0EPK12hip_bfloat16PSL_PKlPlN2at6native12_GLOBAL__N_18offset_tEEE10hipError_tPvRmT1_PNSt15iterator_traitsISZ_E10value_typeET2_T3_PNS10_IS15_E10value_typeET4_jRbjT5_S1B_jjP12ihipStream_tbEUljE_EEESW_SX_SY_S15_S19_S1B_T6_T7_T9_mT8_S1D_bDpT10_ENKUlT_T0_E_clISt17integral_constantIbLb1EES1Q_EEDaS1L_S1M_EUlS1L_E_NS1_11comp_targetILNS1_3genE3ELNS1_11target_archE908ELNS1_3gpuE7ELNS1_3repE0EEENS1_30default_config_static_selectorELNS0_4arch9wavefront6targetE0EEEvSZ_
; %bb.0:
	.section	.rodata,"a",@progbits
	.p2align	6, 0x0
	.amdhsa_kernel _ZN7rocprim17ROCPRIM_400000_NS6detail17trampoline_kernelINS0_13select_configILj256ELj13ELNS0_17block_load_methodE3ELS4_3ELS4_3ELNS0_20block_scan_algorithmE0ELj4294967295EEENS1_25partition_config_selectorILNS1_17partition_subalgoE3EjNS0_10empty_typeEbEEZZNS1_14partition_implILS8_3ELb0ES6_jNS0_17counting_iteratorIjlEEPS9_SE_NS0_5tupleIJPjSE_EEENSF_IJSE_SE_EEES9_SG_JZNS1_25segmented_radix_sort_implINS0_14default_configELb0EPK12hip_bfloat16PSL_PKlPlN2at6native12_GLOBAL__N_18offset_tEEE10hipError_tPvRmT1_PNSt15iterator_traitsISZ_E10value_typeET2_T3_PNS10_IS15_E10value_typeET4_jRbjT5_S1B_jjP12ihipStream_tbEUljE_EEESW_SX_SY_S15_S19_S1B_T6_T7_T9_mT8_S1D_bDpT10_ENKUlT_T0_E_clISt17integral_constantIbLb1EES1Q_EEDaS1L_S1M_EUlS1L_E_NS1_11comp_targetILNS1_3genE3ELNS1_11target_archE908ELNS1_3gpuE7ELNS1_3repE0EEENS1_30default_config_static_selectorELNS0_4arch9wavefront6targetE0EEEvSZ_
		.amdhsa_group_segment_fixed_size 0
		.amdhsa_private_segment_fixed_size 0
		.amdhsa_kernarg_size 152
		.amdhsa_user_sgpr_count 2
		.amdhsa_user_sgpr_dispatch_ptr 0
		.amdhsa_user_sgpr_queue_ptr 0
		.amdhsa_user_sgpr_kernarg_segment_ptr 1
		.amdhsa_user_sgpr_dispatch_id 0
		.amdhsa_user_sgpr_private_segment_size 0
		.amdhsa_wavefront_size32 1
		.amdhsa_uses_dynamic_stack 0
		.amdhsa_enable_private_segment 0
		.amdhsa_system_sgpr_workgroup_id_x 1
		.amdhsa_system_sgpr_workgroup_id_y 0
		.amdhsa_system_sgpr_workgroup_id_z 0
		.amdhsa_system_sgpr_workgroup_info 0
		.amdhsa_system_vgpr_workitem_id 0
		.amdhsa_next_free_vgpr 1
		.amdhsa_next_free_sgpr 1
		.amdhsa_reserve_vcc 0
		.amdhsa_float_round_mode_32 0
		.amdhsa_float_round_mode_16_64 0
		.amdhsa_float_denorm_mode_32 3
		.amdhsa_float_denorm_mode_16_64 3
		.amdhsa_fp16_overflow 0
		.amdhsa_workgroup_processor_mode 1
		.amdhsa_memory_ordered 1
		.amdhsa_forward_progress 1
		.amdhsa_inst_pref_size 0
		.amdhsa_round_robin_scheduling 0
		.amdhsa_exception_fp_ieee_invalid_op 0
		.amdhsa_exception_fp_denorm_src 0
		.amdhsa_exception_fp_ieee_div_zero 0
		.amdhsa_exception_fp_ieee_overflow 0
		.amdhsa_exception_fp_ieee_underflow 0
		.amdhsa_exception_fp_ieee_inexact 0
		.amdhsa_exception_int_div_zero 0
	.end_amdhsa_kernel
	.section	.text._ZN7rocprim17ROCPRIM_400000_NS6detail17trampoline_kernelINS0_13select_configILj256ELj13ELNS0_17block_load_methodE3ELS4_3ELS4_3ELNS0_20block_scan_algorithmE0ELj4294967295EEENS1_25partition_config_selectorILNS1_17partition_subalgoE3EjNS0_10empty_typeEbEEZZNS1_14partition_implILS8_3ELb0ES6_jNS0_17counting_iteratorIjlEEPS9_SE_NS0_5tupleIJPjSE_EEENSF_IJSE_SE_EEES9_SG_JZNS1_25segmented_radix_sort_implINS0_14default_configELb0EPK12hip_bfloat16PSL_PKlPlN2at6native12_GLOBAL__N_18offset_tEEE10hipError_tPvRmT1_PNSt15iterator_traitsISZ_E10value_typeET2_T3_PNS10_IS15_E10value_typeET4_jRbjT5_S1B_jjP12ihipStream_tbEUljE_EEESW_SX_SY_S15_S19_S1B_T6_T7_T9_mT8_S1D_bDpT10_ENKUlT_T0_E_clISt17integral_constantIbLb1EES1Q_EEDaS1L_S1M_EUlS1L_E_NS1_11comp_targetILNS1_3genE3ELNS1_11target_archE908ELNS1_3gpuE7ELNS1_3repE0EEENS1_30default_config_static_selectorELNS0_4arch9wavefront6targetE0EEEvSZ_,"axG",@progbits,_ZN7rocprim17ROCPRIM_400000_NS6detail17trampoline_kernelINS0_13select_configILj256ELj13ELNS0_17block_load_methodE3ELS4_3ELS4_3ELNS0_20block_scan_algorithmE0ELj4294967295EEENS1_25partition_config_selectorILNS1_17partition_subalgoE3EjNS0_10empty_typeEbEEZZNS1_14partition_implILS8_3ELb0ES6_jNS0_17counting_iteratorIjlEEPS9_SE_NS0_5tupleIJPjSE_EEENSF_IJSE_SE_EEES9_SG_JZNS1_25segmented_radix_sort_implINS0_14default_configELb0EPK12hip_bfloat16PSL_PKlPlN2at6native12_GLOBAL__N_18offset_tEEE10hipError_tPvRmT1_PNSt15iterator_traitsISZ_E10value_typeET2_T3_PNS10_IS15_E10value_typeET4_jRbjT5_S1B_jjP12ihipStream_tbEUljE_EEESW_SX_SY_S15_S19_S1B_T6_T7_T9_mT8_S1D_bDpT10_ENKUlT_T0_E_clISt17integral_constantIbLb1EES1Q_EEDaS1L_S1M_EUlS1L_E_NS1_11comp_targetILNS1_3genE3ELNS1_11target_archE908ELNS1_3gpuE7ELNS1_3repE0EEENS1_30default_config_static_selectorELNS0_4arch9wavefront6targetE0EEEvSZ_,comdat
.Lfunc_end2028:
	.size	_ZN7rocprim17ROCPRIM_400000_NS6detail17trampoline_kernelINS0_13select_configILj256ELj13ELNS0_17block_load_methodE3ELS4_3ELS4_3ELNS0_20block_scan_algorithmE0ELj4294967295EEENS1_25partition_config_selectorILNS1_17partition_subalgoE3EjNS0_10empty_typeEbEEZZNS1_14partition_implILS8_3ELb0ES6_jNS0_17counting_iteratorIjlEEPS9_SE_NS0_5tupleIJPjSE_EEENSF_IJSE_SE_EEES9_SG_JZNS1_25segmented_radix_sort_implINS0_14default_configELb0EPK12hip_bfloat16PSL_PKlPlN2at6native12_GLOBAL__N_18offset_tEEE10hipError_tPvRmT1_PNSt15iterator_traitsISZ_E10value_typeET2_T3_PNS10_IS15_E10value_typeET4_jRbjT5_S1B_jjP12ihipStream_tbEUljE_EEESW_SX_SY_S15_S19_S1B_T6_T7_T9_mT8_S1D_bDpT10_ENKUlT_T0_E_clISt17integral_constantIbLb1EES1Q_EEDaS1L_S1M_EUlS1L_E_NS1_11comp_targetILNS1_3genE3ELNS1_11target_archE908ELNS1_3gpuE7ELNS1_3repE0EEENS1_30default_config_static_selectorELNS0_4arch9wavefront6targetE0EEEvSZ_, .Lfunc_end2028-_ZN7rocprim17ROCPRIM_400000_NS6detail17trampoline_kernelINS0_13select_configILj256ELj13ELNS0_17block_load_methodE3ELS4_3ELS4_3ELNS0_20block_scan_algorithmE0ELj4294967295EEENS1_25partition_config_selectorILNS1_17partition_subalgoE3EjNS0_10empty_typeEbEEZZNS1_14partition_implILS8_3ELb0ES6_jNS0_17counting_iteratorIjlEEPS9_SE_NS0_5tupleIJPjSE_EEENSF_IJSE_SE_EEES9_SG_JZNS1_25segmented_radix_sort_implINS0_14default_configELb0EPK12hip_bfloat16PSL_PKlPlN2at6native12_GLOBAL__N_18offset_tEEE10hipError_tPvRmT1_PNSt15iterator_traitsISZ_E10value_typeET2_T3_PNS10_IS15_E10value_typeET4_jRbjT5_S1B_jjP12ihipStream_tbEUljE_EEESW_SX_SY_S15_S19_S1B_T6_T7_T9_mT8_S1D_bDpT10_ENKUlT_T0_E_clISt17integral_constantIbLb1EES1Q_EEDaS1L_S1M_EUlS1L_E_NS1_11comp_targetILNS1_3genE3ELNS1_11target_archE908ELNS1_3gpuE7ELNS1_3repE0EEENS1_30default_config_static_selectorELNS0_4arch9wavefront6targetE0EEEvSZ_
                                        ; -- End function
	.set _ZN7rocprim17ROCPRIM_400000_NS6detail17trampoline_kernelINS0_13select_configILj256ELj13ELNS0_17block_load_methodE3ELS4_3ELS4_3ELNS0_20block_scan_algorithmE0ELj4294967295EEENS1_25partition_config_selectorILNS1_17partition_subalgoE3EjNS0_10empty_typeEbEEZZNS1_14partition_implILS8_3ELb0ES6_jNS0_17counting_iteratorIjlEEPS9_SE_NS0_5tupleIJPjSE_EEENSF_IJSE_SE_EEES9_SG_JZNS1_25segmented_radix_sort_implINS0_14default_configELb0EPK12hip_bfloat16PSL_PKlPlN2at6native12_GLOBAL__N_18offset_tEEE10hipError_tPvRmT1_PNSt15iterator_traitsISZ_E10value_typeET2_T3_PNS10_IS15_E10value_typeET4_jRbjT5_S1B_jjP12ihipStream_tbEUljE_EEESW_SX_SY_S15_S19_S1B_T6_T7_T9_mT8_S1D_bDpT10_ENKUlT_T0_E_clISt17integral_constantIbLb1EES1Q_EEDaS1L_S1M_EUlS1L_E_NS1_11comp_targetILNS1_3genE3ELNS1_11target_archE908ELNS1_3gpuE7ELNS1_3repE0EEENS1_30default_config_static_selectorELNS0_4arch9wavefront6targetE0EEEvSZ_.num_vgpr, 0
	.set _ZN7rocprim17ROCPRIM_400000_NS6detail17trampoline_kernelINS0_13select_configILj256ELj13ELNS0_17block_load_methodE3ELS4_3ELS4_3ELNS0_20block_scan_algorithmE0ELj4294967295EEENS1_25partition_config_selectorILNS1_17partition_subalgoE3EjNS0_10empty_typeEbEEZZNS1_14partition_implILS8_3ELb0ES6_jNS0_17counting_iteratorIjlEEPS9_SE_NS0_5tupleIJPjSE_EEENSF_IJSE_SE_EEES9_SG_JZNS1_25segmented_radix_sort_implINS0_14default_configELb0EPK12hip_bfloat16PSL_PKlPlN2at6native12_GLOBAL__N_18offset_tEEE10hipError_tPvRmT1_PNSt15iterator_traitsISZ_E10value_typeET2_T3_PNS10_IS15_E10value_typeET4_jRbjT5_S1B_jjP12ihipStream_tbEUljE_EEESW_SX_SY_S15_S19_S1B_T6_T7_T9_mT8_S1D_bDpT10_ENKUlT_T0_E_clISt17integral_constantIbLb1EES1Q_EEDaS1L_S1M_EUlS1L_E_NS1_11comp_targetILNS1_3genE3ELNS1_11target_archE908ELNS1_3gpuE7ELNS1_3repE0EEENS1_30default_config_static_selectorELNS0_4arch9wavefront6targetE0EEEvSZ_.num_agpr, 0
	.set _ZN7rocprim17ROCPRIM_400000_NS6detail17trampoline_kernelINS0_13select_configILj256ELj13ELNS0_17block_load_methodE3ELS4_3ELS4_3ELNS0_20block_scan_algorithmE0ELj4294967295EEENS1_25partition_config_selectorILNS1_17partition_subalgoE3EjNS0_10empty_typeEbEEZZNS1_14partition_implILS8_3ELb0ES6_jNS0_17counting_iteratorIjlEEPS9_SE_NS0_5tupleIJPjSE_EEENSF_IJSE_SE_EEES9_SG_JZNS1_25segmented_radix_sort_implINS0_14default_configELb0EPK12hip_bfloat16PSL_PKlPlN2at6native12_GLOBAL__N_18offset_tEEE10hipError_tPvRmT1_PNSt15iterator_traitsISZ_E10value_typeET2_T3_PNS10_IS15_E10value_typeET4_jRbjT5_S1B_jjP12ihipStream_tbEUljE_EEESW_SX_SY_S15_S19_S1B_T6_T7_T9_mT8_S1D_bDpT10_ENKUlT_T0_E_clISt17integral_constantIbLb1EES1Q_EEDaS1L_S1M_EUlS1L_E_NS1_11comp_targetILNS1_3genE3ELNS1_11target_archE908ELNS1_3gpuE7ELNS1_3repE0EEENS1_30default_config_static_selectorELNS0_4arch9wavefront6targetE0EEEvSZ_.numbered_sgpr, 0
	.set _ZN7rocprim17ROCPRIM_400000_NS6detail17trampoline_kernelINS0_13select_configILj256ELj13ELNS0_17block_load_methodE3ELS4_3ELS4_3ELNS0_20block_scan_algorithmE0ELj4294967295EEENS1_25partition_config_selectorILNS1_17partition_subalgoE3EjNS0_10empty_typeEbEEZZNS1_14partition_implILS8_3ELb0ES6_jNS0_17counting_iteratorIjlEEPS9_SE_NS0_5tupleIJPjSE_EEENSF_IJSE_SE_EEES9_SG_JZNS1_25segmented_radix_sort_implINS0_14default_configELb0EPK12hip_bfloat16PSL_PKlPlN2at6native12_GLOBAL__N_18offset_tEEE10hipError_tPvRmT1_PNSt15iterator_traitsISZ_E10value_typeET2_T3_PNS10_IS15_E10value_typeET4_jRbjT5_S1B_jjP12ihipStream_tbEUljE_EEESW_SX_SY_S15_S19_S1B_T6_T7_T9_mT8_S1D_bDpT10_ENKUlT_T0_E_clISt17integral_constantIbLb1EES1Q_EEDaS1L_S1M_EUlS1L_E_NS1_11comp_targetILNS1_3genE3ELNS1_11target_archE908ELNS1_3gpuE7ELNS1_3repE0EEENS1_30default_config_static_selectorELNS0_4arch9wavefront6targetE0EEEvSZ_.num_named_barrier, 0
	.set _ZN7rocprim17ROCPRIM_400000_NS6detail17trampoline_kernelINS0_13select_configILj256ELj13ELNS0_17block_load_methodE3ELS4_3ELS4_3ELNS0_20block_scan_algorithmE0ELj4294967295EEENS1_25partition_config_selectorILNS1_17partition_subalgoE3EjNS0_10empty_typeEbEEZZNS1_14partition_implILS8_3ELb0ES6_jNS0_17counting_iteratorIjlEEPS9_SE_NS0_5tupleIJPjSE_EEENSF_IJSE_SE_EEES9_SG_JZNS1_25segmented_radix_sort_implINS0_14default_configELb0EPK12hip_bfloat16PSL_PKlPlN2at6native12_GLOBAL__N_18offset_tEEE10hipError_tPvRmT1_PNSt15iterator_traitsISZ_E10value_typeET2_T3_PNS10_IS15_E10value_typeET4_jRbjT5_S1B_jjP12ihipStream_tbEUljE_EEESW_SX_SY_S15_S19_S1B_T6_T7_T9_mT8_S1D_bDpT10_ENKUlT_T0_E_clISt17integral_constantIbLb1EES1Q_EEDaS1L_S1M_EUlS1L_E_NS1_11comp_targetILNS1_3genE3ELNS1_11target_archE908ELNS1_3gpuE7ELNS1_3repE0EEENS1_30default_config_static_selectorELNS0_4arch9wavefront6targetE0EEEvSZ_.private_seg_size, 0
	.set _ZN7rocprim17ROCPRIM_400000_NS6detail17trampoline_kernelINS0_13select_configILj256ELj13ELNS0_17block_load_methodE3ELS4_3ELS4_3ELNS0_20block_scan_algorithmE0ELj4294967295EEENS1_25partition_config_selectorILNS1_17partition_subalgoE3EjNS0_10empty_typeEbEEZZNS1_14partition_implILS8_3ELb0ES6_jNS0_17counting_iteratorIjlEEPS9_SE_NS0_5tupleIJPjSE_EEENSF_IJSE_SE_EEES9_SG_JZNS1_25segmented_radix_sort_implINS0_14default_configELb0EPK12hip_bfloat16PSL_PKlPlN2at6native12_GLOBAL__N_18offset_tEEE10hipError_tPvRmT1_PNSt15iterator_traitsISZ_E10value_typeET2_T3_PNS10_IS15_E10value_typeET4_jRbjT5_S1B_jjP12ihipStream_tbEUljE_EEESW_SX_SY_S15_S19_S1B_T6_T7_T9_mT8_S1D_bDpT10_ENKUlT_T0_E_clISt17integral_constantIbLb1EES1Q_EEDaS1L_S1M_EUlS1L_E_NS1_11comp_targetILNS1_3genE3ELNS1_11target_archE908ELNS1_3gpuE7ELNS1_3repE0EEENS1_30default_config_static_selectorELNS0_4arch9wavefront6targetE0EEEvSZ_.uses_vcc, 0
	.set _ZN7rocprim17ROCPRIM_400000_NS6detail17trampoline_kernelINS0_13select_configILj256ELj13ELNS0_17block_load_methodE3ELS4_3ELS4_3ELNS0_20block_scan_algorithmE0ELj4294967295EEENS1_25partition_config_selectorILNS1_17partition_subalgoE3EjNS0_10empty_typeEbEEZZNS1_14partition_implILS8_3ELb0ES6_jNS0_17counting_iteratorIjlEEPS9_SE_NS0_5tupleIJPjSE_EEENSF_IJSE_SE_EEES9_SG_JZNS1_25segmented_radix_sort_implINS0_14default_configELb0EPK12hip_bfloat16PSL_PKlPlN2at6native12_GLOBAL__N_18offset_tEEE10hipError_tPvRmT1_PNSt15iterator_traitsISZ_E10value_typeET2_T3_PNS10_IS15_E10value_typeET4_jRbjT5_S1B_jjP12ihipStream_tbEUljE_EEESW_SX_SY_S15_S19_S1B_T6_T7_T9_mT8_S1D_bDpT10_ENKUlT_T0_E_clISt17integral_constantIbLb1EES1Q_EEDaS1L_S1M_EUlS1L_E_NS1_11comp_targetILNS1_3genE3ELNS1_11target_archE908ELNS1_3gpuE7ELNS1_3repE0EEENS1_30default_config_static_selectorELNS0_4arch9wavefront6targetE0EEEvSZ_.uses_flat_scratch, 0
	.set _ZN7rocprim17ROCPRIM_400000_NS6detail17trampoline_kernelINS0_13select_configILj256ELj13ELNS0_17block_load_methodE3ELS4_3ELS4_3ELNS0_20block_scan_algorithmE0ELj4294967295EEENS1_25partition_config_selectorILNS1_17partition_subalgoE3EjNS0_10empty_typeEbEEZZNS1_14partition_implILS8_3ELb0ES6_jNS0_17counting_iteratorIjlEEPS9_SE_NS0_5tupleIJPjSE_EEENSF_IJSE_SE_EEES9_SG_JZNS1_25segmented_radix_sort_implINS0_14default_configELb0EPK12hip_bfloat16PSL_PKlPlN2at6native12_GLOBAL__N_18offset_tEEE10hipError_tPvRmT1_PNSt15iterator_traitsISZ_E10value_typeET2_T3_PNS10_IS15_E10value_typeET4_jRbjT5_S1B_jjP12ihipStream_tbEUljE_EEESW_SX_SY_S15_S19_S1B_T6_T7_T9_mT8_S1D_bDpT10_ENKUlT_T0_E_clISt17integral_constantIbLb1EES1Q_EEDaS1L_S1M_EUlS1L_E_NS1_11comp_targetILNS1_3genE3ELNS1_11target_archE908ELNS1_3gpuE7ELNS1_3repE0EEENS1_30default_config_static_selectorELNS0_4arch9wavefront6targetE0EEEvSZ_.has_dyn_sized_stack, 0
	.set _ZN7rocprim17ROCPRIM_400000_NS6detail17trampoline_kernelINS0_13select_configILj256ELj13ELNS0_17block_load_methodE3ELS4_3ELS4_3ELNS0_20block_scan_algorithmE0ELj4294967295EEENS1_25partition_config_selectorILNS1_17partition_subalgoE3EjNS0_10empty_typeEbEEZZNS1_14partition_implILS8_3ELb0ES6_jNS0_17counting_iteratorIjlEEPS9_SE_NS0_5tupleIJPjSE_EEENSF_IJSE_SE_EEES9_SG_JZNS1_25segmented_radix_sort_implINS0_14default_configELb0EPK12hip_bfloat16PSL_PKlPlN2at6native12_GLOBAL__N_18offset_tEEE10hipError_tPvRmT1_PNSt15iterator_traitsISZ_E10value_typeET2_T3_PNS10_IS15_E10value_typeET4_jRbjT5_S1B_jjP12ihipStream_tbEUljE_EEESW_SX_SY_S15_S19_S1B_T6_T7_T9_mT8_S1D_bDpT10_ENKUlT_T0_E_clISt17integral_constantIbLb1EES1Q_EEDaS1L_S1M_EUlS1L_E_NS1_11comp_targetILNS1_3genE3ELNS1_11target_archE908ELNS1_3gpuE7ELNS1_3repE0EEENS1_30default_config_static_selectorELNS0_4arch9wavefront6targetE0EEEvSZ_.has_recursion, 0
	.set _ZN7rocprim17ROCPRIM_400000_NS6detail17trampoline_kernelINS0_13select_configILj256ELj13ELNS0_17block_load_methodE3ELS4_3ELS4_3ELNS0_20block_scan_algorithmE0ELj4294967295EEENS1_25partition_config_selectorILNS1_17partition_subalgoE3EjNS0_10empty_typeEbEEZZNS1_14partition_implILS8_3ELb0ES6_jNS0_17counting_iteratorIjlEEPS9_SE_NS0_5tupleIJPjSE_EEENSF_IJSE_SE_EEES9_SG_JZNS1_25segmented_radix_sort_implINS0_14default_configELb0EPK12hip_bfloat16PSL_PKlPlN2at6native12_GLOBAL__N_18offset_tEEE10hipError_tPvRmT1_PNSt15iterator_traitsISZ_E10value_typeET2_T3_PNS10_IS15_E10value_typeET4_jRbjT5_S1B_jjP12ihipStream_tbEUljE_EEESW_SX_SY_S15_S19_S1B_T6_T7_T9_mT8_S1D_bDpT10_ENKUlT_T0_E_clISt17integral_constantIbLb1EES1Q_EEDaS1L_S1M_EUlS1L_E_NS1_11comp_targetILNS1_3genE3ELNS1_11target_archE908ELNS1_3gpuE7ELNS1_3repE0EEENS1_30default_config_static_selectorELNS0_4arch9wavefront6targetE0EEEvSZ_.has_indirect_call, 0
	.section	.AMDGPU.csdata,"",@progbits
; Kernel info:
; codeLenInByte = 0
; TotalNumSgprs: 0
; NumVgprs: 0
; ScratchSize: 0
; MemoryBound: 0
; FloatMode: 240
; IeeeMode: 1
; LDSByteSize: 0 bytes/workgroup (compile time only)
; SGPRBlocks: 0
; VGPRBlocks: 0
; NumSGPRsForWavesPerEU: 1
; NumVGPRsForWavesPerEU: 1
; Occupancy: 16
; WaveLimiterHint : 0
; COMPUTE_PGM_RSRC2:SCRATCH_EN: 0
; COMPUTE_PGM_RSRC2:USER_SGPR: 2
; COMPUTE_PGM_RSRC2:TRAP_HANDLER: 0
; COMPUTE_PGM_RSRC2:TGID_X_EN: 1
; COMPUTE_PGM_RSRC2:TGID_Y_EN: 0
; COMPUTE_PGM_RSRC2:TGID_Z_EN: 0
; COMPUTE_PGM_RSRC2:TIDIG_COMP_CNT: 0
	.section	.text._ZN7rocprim17ROCPRIM_400000_NS6detail17trampoline_kernelINS0_13select_configILj256ELj13ELNS0_17block_load_methodE3ELS4_3ELS4_3ELNS0_20block_scan_algorithmE0ELj4294967295EEENS1_25partition_config_selectorILNS1_17partition_subalgoE3EjNS0_10empty_typeEbEEZZNS1_14partition_implILS8_3ELb0ES6_jNS0_17counting_iteratorIjlEEPS9_SE_NS0_5tupleIJPjSE_EEENSF_IJSE_SE_EEES9_SG_JZNS1_25segmented_radix_sort_implINS0_14default_configELb0EPK12hip_bfloat16PSL_PKlPlN2at6native12_GLOBAL__N_18offset_tEEE10hipError_tPvRmT1_PNSt15iterator_traitsISZ_E10value_typeET2_T3_PNS10_IS15_E10value_typeET4_jRbjT5_S1B_jjP12ihipStream_tbEUljE_EEESW_SX_SY_S15_S19_S1B_T6_T7_T9_mT8_S1D_bDpT10_ENKUlT_T0_E_clISt17integral_constantIbLb1EES1Q_EEDaS1L_S1M_EUlS1L_E_NS1_11comp_targetILNS1_3genE2ELNS1_11target_archE906ELNS1_3gpuE6ELNS1_3repE0EEENS1_30default_config_static_selectorELNS0_4arch9wavefront6targetE0EEEvSZ_,"axG",@progbits,_ZN7rocprim17ROCPRIM_400000_NS6detail17trampoline_kernelINS0_13select_configILj256ELj13ELNS0_17block_load_methodE3ELS4_3ELS4_3ELNS0_20block_scan_algorithmE0ELj4294967295EEENS1_25partition_config_selectorILNS1_17partition_subalgoE3EjNS0_10empty_typeEbEEZZNS1_14partition_implILS8_3ELb0ES6_jNS0_17counting_iteratorIjlEEPS9_SE_NS0_5tupleIJPjSE_EEENSF_IJSE_SE_EEES9_SG_JZNS1_25segmented_radix_sort_implINS0_14default_configELb0EPK12hip_bfloat16PSL_PKlPlN2at6native12_GLOBAL__N_18offset_tEEE10hipError_tPvRmT1_PNSt15iterator_traitsISZ_E10value_typeET2_T3_PNS10_IS15_E10value_typeET4_jRbjT5_S1B_jjP12ihipStream_tbEUljE_EEESW_SX_SY_S15_S19_S1B_T6_T7_T9_mT8_S1D_bDpT10_ENKUlT_T0_E_clISt17integral_constantIbLb1EES1Q_EEDaS1L_S1M_EUlS1L_E_NS1_11comp_targetILNS1_3genE2ELNS1_11target_archE906ELNS1_3gpuE6ELNS1_3repE0EEENS1_30default_config_static_selectorELNS0_4arch9wavefront6targetE0EEEvSZ_,comdat
	.globl	_ZN7rocprim17ROCPRIM_400000_NS6detail17trampoline_kernelINS0_13select_configILj256ELj13ELNS0_17block_load_methodE3ELS4_3ELS4_3ELNS0_20block_scan_algorithmE0ELj4294967295EEENS1_25partition_config_selectorILNS1_17partition_subalgoE3EjNS0_10empty_typeEbEEZZNS1_14partition_implILS8_3ELb0ES6_jNS0_17counting_iteratorIjlEEPS9_SE_NS0_5tupleIJPjSE_EEENSF_IJSE_SE_EEES9_SG_JZNS1_25segmented_radix_sort_implINS0_14default_configELb0EPK12hip_bfloat16PSL_PKlPlN2at6native12_GLOBAL__N_18offset_tEEE10hipError_tPvRmT1_PNSt15iterator_traitsISZ_E10value_typeET2_T3_PNS10_IS15_E10value_typeET4_jRbjT5_S1B_jjP12ihipStream_tbEUljE_EEESW_SX_SY_S15_S19_S1B_T6_T7_T9_mT8_S1D_bDpT10_ENKUlT_T0_E_clISt17integral_constantIbLb1EES1Q_EEDaS1L_S1M_EUlS1L_E_NS1_11comp_targetILNS1_3genE2ELNS1_11target_archE906ELNS1_3gpuE6ELNS1_3repE0EEENS1_30default_config_static_selectorELNS0_4arch9wavefront6targetE0EEEvSZ_ ; -- Begin function _ZN7rocprim17ROCPRIM_400000_NS6detail17trampoline_kernelINS0_13select_configILj256ELj13ELNS0_17block_load_methodE3ELS4_3ELS4_3ELNS0_20block_scan_algorithmE0ELj4294967295EEENS1_25partition_config_selectorILNS1_17partition_subalgoE3EjNS0_10empty_typeEbEEZZNS1_14partition_implILS8_3ELb0ES6_jNS0_17counting_iteratorIjlEEPS9_SE_NS0_5tupleIJPjSE_EEENSF_IJSE_SE_EEES9_SG_JZNS1_25segmented_radix_sort_implINS0_14default_configELb0EPK12hip_bfloat16PSL_PKlPlN2at6native12_GLOBAL__N_18offset_tEEE10hipError_tPvRmT1_PNSt15iterator_traitsISZ_E10value_typeET2_T3_PNS10_IS15_E10value_typeET4_jRbjT5_S1B_jjP12ihipStream_tbEUljE_EEESW_SX_SY_S15_S19_S1B_T6_T7_T9_mT8_S1D_bDpT10_ENKUlT_T0_E_clISt17integral_constantIbLb1EES1Q_EEDaS1L_S1M_EUlS1L_E_NS1_11comp_targetILNS1_3genE2ELNS1_11target_archE906ELNS1_3gpuE6ELNS1_3repE0EEENS1_30default_config_static_selectorELNS0_4arch9wavefront6targetE0EEEvSZ_
	.p2align	8
	.type	_ZN7rocprim17ROCPRIM_400000_NS6detail17trampoline_kernelINS0_13select_configILj256ELj13ELNS0_17block_load_methodE3ELS4_3ELS4_3ELNS0_20block_scan_algorithmE0ELj4294967295EEENS1_25partition_config_selectorILNS1_17partition_subalgoE3EjNS0_10empty_typeEbEEZZNS1_14partition_implILS8_3ELb0ES6_jNS0_17counting_iteratorIjlEEPS9_SE_NS0_5tupleIJPjSE_EEENSF_IJSE_SE_EEES9_SG_JZNS1_25segmented_radix_sort_implINS0_14default_configELb0EPK12hip_bfloat16PSL_PKlPlN2at6native12_GLOBAL__N_18offset_tEEE10hipError_tPvRmT1_PNSt15iterator_traitsISZ_E10value_typeET2_T3_PNS10_IS15_E10value_typeET4_jRbjT5_S1B_jjP12ihipStream_tbEUljE_EEESW_SX_SY_S15_S19_S1B_T6_T7_T9_mT8_S1D_bDpT10_ENKUlT_T0_E_clISt17integral_constantIbLb1EES1Q_EEDaS1L_S1M_EUlS1L_E_NS1_11comp_targetILNS1_3genE2ELNS1_11target_archE906ELNS1_3gpuE6ELNS1_3repE0EEENS1_30default_config_static_selectorELNS0_4arch9wavefront6targetE0EEEvSZ_,@function
_ZN7rocprim17ROCPRIM_400000_NS6detail17trampoline_kernelINS0_13select_configILj256ELj13ELNS0_17block_load_methodE3ELS4_3ELS4_3ELNS0_20block_scan_algorithmE0ELj4294967295EEENS1_25partition_config_selectorILNS1_17partition_subalgoE3EjNS0_10empty_typeEbEEZZNS1_14partition_implILS8_3ELb0ES6_jNS0_17counting_iteratorIjlEEPS9_SE_NS0_5tupleIJPjSE_EEENSF_IJSE_SE_EEES9_SG_JZNS1_25segmented_radix_sort_implINS0_14default_configELb0EPK12hip_bfloat16PSL_PKlPlN2at6native12_GLOBAL__N_18offset_tEEE10hipError_tPvRmT1_PNSt15iterator_traitsISZ_E10value_typeET2_T3_PNS10_IS15_E10value_typeET4_jRbjT5_S1B_jjP12ihipStream_tbEUljE_EEESW_SX_SY_S15_S19_S1B_T6_T7_T9_mT8_S1D_bDpT10_ENKUlT_T0_E_clISt17integral_constantIbLb1EES1Q_EEDaS1L_S1M_EUlS1L_E_NS1_11comp_targetILNS1_3genE2ELNS1_11target_archE906ELNS1_3gpuE6ELNS1_3repE0EEENS1_30default_config_static_selectorELNS0_4arch9wavefront6targetE0EEEvSZ_: ; @_ZN7rocprim17ROCPRIM_400000_NS6detail17trampoline_kernelINS0_13select_configILj256ELj13ELNS0_17block_load_methodE3ELS4_3ELS4_3ELNS0_20block_scan_algorithmE0ELj4294967295EEENS1_25partition_config_selectorILNS1_17partition_subalgoE3EjNS0_10empty_typeEbEEZZNS1_14partition_implILS8_3ELb0ES6_jNS0_17counting_iteratorIjlEEPS9_SE_NS0_5tupleIJPjSE_EEENSF_IJSE_SE_EEES9_SG_JZNS1_25segmented_radix_sort_implINS0_14default_configELb0EPK12hip_bfloat16PSL_PKlPlN2at6native12_GLOBAL__N_18offset_tEEE10hipError_tPvRmT1_PNSt15iterator_traitsISZ_E10value_typeET2_T3_PNS10_IS15_E10value_typeET4_jRbjT5_S1B_jjP12ihipStream_tbEUljE_EEESW_SX_SY_S15_S19_S1B_T6_T7_T9_mT8_S1D_bDpT10_ENKUlT_T0_E_clISt17integral_constantIbLb1EES1Q_EEDaS1L_S1M_EUlS1L_E_NS1_11comp_targetILNS1_3genE2ELNS1_11target_archE906ELNS1_3gpuE6ELNS1_3repE0EEENS1_30default_config_static_selectorELNS0_4arch9wavefront6targetE0EEEvSZ_
; %bb.0:
	.section	.rodata,"a",@progbits
	.p2align	6, 0x0
	.amdhsa_kernel _ZN7rocprim17ROCPRIM_400000_NS6detail17trampoline_kernelINS0_13select_configILj256ELj13ELNS0_17block_load_methodE3ELS4_3ELS4_3ELNS0_20block_scan_algorithmE0ELj4294967295EEENS1_25partition_config_selectorILNS1_17partition_subalgoE3EjNS0_10empty_typeEbEEZZNS1_14partition_implILS8_3ELb0ES6_jNS0_17counting_iteratorIjlEEPS9_SE_NS0_5tupleIJPjSE_EEENSF_IJSE_SE_EEES9_SG_JZNS1_25segmented_radix_sort_implINS0_14default_configELb0EPK12hip_bfloat16PSL_PKlPlN2at6native12_GLOBAL__N_18offset_tEEE10hipError_tPvRmT1_PNSt15iterator_traitsISZ_E10value_typeET2_T3_PNS10_IS15_E10value_typeET4_jRbjT5_S1B_jjP12ihipStream_tbEUljE_EEESW_SX_SY_S15_S19_S1B_T6_T7_T9_mT8_S1D_bDpT10_ENKUlT_T0_E_clISt17integral_constantIbLb1EES1Q_EEDaS1L_S1M_EUlS1L_E_NS1_11comp_targetILNS1_3genE2ELNS1_11target_archE906ELNS1_3gpuE6ELNS1_3repE0EEENS1_30default_config_static_selectorELNS0_4arch9wavefront6targetE0EEEvSZ_
		.amdhsa_group_segment_fixed_size 0
		.amdhsa_private_segment_fixed_size 0
		.amdhsa_kernarg_size 152
		.amdhsa_user_sgpr_count 2
		.amdhsa_user_sgpr_dispatch_ptr 0
		.amdhsa_user_sgpr_queue_ptr 0
		.amdhsa_user_sgpr_kernarg_segment_ptr 1
		.amdhsa_user_sgpr_dispatch_id 0
		.amdhsa_user_sgpr_private_segment_size 0
		.amdhsa_wavefront_size32 1
		.amdhsa_uses_dynamic_stack 0
		.amdhsa_enable_private_segment 0
		.amdhsa_system_sgpr_workgroup_id_x 1
		.amdhsa_system_sgpr_workgroup_id_y 0
		.amdhsa_system_sgpr_workgroup_id_z 0
		.amdhsa_system_sgpr_workgroup_info 0
		.amdhsa_system_vgpr_workitem_id 0
		.amdhsa_next_free_vgpr 1
		.amdhsa_next_free_sgpr 1
		.amdhsa_reserve_vcc 0
		.amdhsa_float_round_mode_32 0
		.amdhsa_float_round_mode_16_64 0
		.amdhsa_float_denorm_mode_32 3
		.amdhsa_float_denorm_mode_16_64 3
		.amdhsa_fp16_overflow 0
		.amdhsa_workgroup_processor_mode 1
		.amdhsa_memory_ordered 1
		.amdhsa_forward_progress 1
		.amdhsa_inst_pref_size 0
		.amdhsa_round_robin_scheduling 0
		.amdhsa_exception_fp_ieee_invalid_op 0
		.amdhsa_exception_fp_denorm_src 0
		.amdhsa_exception_fp_ieee_div_zero 0
		.amdhsa_exception_fp_ieee_overflow 0
		.amdhsa_exception_fp_ieee_underflow 0
		.amdhsa_exception_fp_ieee_inexact 0
		.amdhsa_exception_int_div_zero 0
	.end_amdhsa_kernel
	.section	.text._ZN7rocprim17ROCPRIM_400000_NS6detail17trampoline_kernelINS0_13select_configILj256ELj13ELNS0_17block_load_methodE3ELS4_3ELS4_3ELNS0_20block_scan_algorithmE0ELj4294967295EEENS1_25partition_config_selectorILNS1_17partition_subalgoE3EjNS0_10empty_typeEbEEZZNS1_14partition_implILS8_3ELb0ES6_jNS0_17counting_iteratorIjlEEPS9_SE_NS0_5tupleIJPjSE_EEENSF_IJSE_SE_EEES9_SG_JZNS1_25segmented_radix_sort_implINS0_14default_configELb0EPK12hip_bfloat16PSL_PKlPlN2at6native12_GLOBAL__N_18offset_tEEE10hipError_tPvRmT1_PNSt15iterator_traitsISZ_E10value_typeET2_T3_PNS10_IS15_E10value_typeET4_jRbjT5_S1B_jjP12ihipStream_tbEUljE_EEESW_SX_SY_S15_S19_S1B_T6_T7_T9_mT8_S1D_bDpT10_ENKUlT_T0_E_clISt17integral_constantIbLb1EES1Q_EEDaS1L_S1M_EUlS1L_E_NS1_11comp_targetILNS1_3genE2ELNS1_11target_archE906ELNS1_3gpuE6ELNS1_3repE0EEENS1_30default_config_static_selectorELNS0_4arch9wavefront6targetE0EEEvSZ_,"axG",@progbits,_ZN7rocprim17ROCPRIM_400000_NS6detail17trampoline_kernelINS0_13select_configILj256ELj13ELNS0_17block_load_methodE3ELS4_3ELS4_3ELNS0_20block_scan_algorithmE0ELj4294967295EEENS1_25partition_config_selectorILNS1_17partition_subalgoE3EjNS0_10empty_typeEbEEZZNS1_14partition_implILS8_3ELb0ES6_jNS0_17counting_iteratorIjlEEPS9_SE_NS0_5tupleIJPjSE_EEENSF_IJSE_SE_EEES9_SG_JZNS1_25segmented_radix_sort_implINS0_14default_configELb0EPK12hip_bfloat16PSL_PKlPlN2at6native12_GLOBAL__N_18offset_tEEE10hipError_tPvRmT1_PNSt15iterator_traitsISZ_E10value_typeET2_T3_PNS10_IS15_E10value_typeET4_jRbjT5_S1B_jjP12ihipStream_tbEUljE_EEESW_SX_SY_S15_S19_S1B_T6_T7_T9_mT8_S1D_bDpT10_ENKUlT_T0_E_clISt17integral_constantIbLb1EES1Q_EEDaS1L_S1M_EUlS1L_E_NS1_11comp_targetILNS1_3genE2ELNS1_11target_archE906ELNS1_3gpuE6ELNS1_3repE0EEENS1_30default_config_static_selectorELNS0_4arch9wavefront6targetE0EEEvSZ_,comdat
.Lfunc_end2029:
	.size	_ZN7rocprim17ROCPRIM_400000_NS6detail17trampoline_kernelINS0_13select_configILj256ELj13ELNS0_17block_load_methodE3ELS4_3ELS4_3ELNS0_20block_scan_algorithmE0ELj4294967295EEENS1_25partition_config_selectorILNS1_17partition_subalgoE3EjNS0_10empty_typeEbEEZZNS1_14partition_implILS8_3ELb0ES6_jNS0_17counting_iteratorIjlEEPS9_SE_NS0_5tupleIJPjSE_EEENSF_IJSE_SE_EEES9_SG_JZNS1_25segmented_radix_sort_implINS0_14default_configELb0EPK12hip_bfloat16PSL_PKlPlN2at6native12_GLOBAL__N_18offset_tEEE10hipError_tPvRmT1_PNSt15iterator_traitsISZ_E10value_typeET2_T3_PNS10_IS15_E10value_typeET4_jRbjT5_S1B_jjP12ihipStream_tbEUljE_EEESW_SX_SY_S15_S19_S1B_T6_T7_T9_mT8_S1D_bDpT10_ENKUlT_T0_E_clISt17integral_constantIbLb1EES1Q_EEDaS1L_S1M_EUlS1L_E_NS1_11comp_targetILNS1_3genE2ELNS1_11target_archE906ELNS1_3gpuE6ELNS1_3repE0EEENS1_30default_config_static_selectorELNS0_4arch9wavefront6targetE0EEEvSZ_, .Lfunc_end2029-_ZN7rocprim17ROCPRIM_400000_NS6detail17trampoline_kernelINS0_13select_configILj256ELj13ELNS0_17block_load_methodE3ELS4_3ELS4_3ELNS0_20block_scan_algorithmE0ELj4294967295EEENS1_25partition_config_selectorILNS1_17partition_subalgoE3EjNS0_10empty_typeEbEEZZNS1_14partition_implILS8_3ELb0ES6_jNS0_17counting_iteratorIjlEEPS9_SE_NS0_5tupleIJPjSE_EEENSF_IJSE_SE_EEES9_SG_JZNS1_25segmented_radix_sort_implINS0_14default_configELb0EPK12hip_bfloat16PSL_PKlPlN2at6native12_GLOBAL__N_18offset_tEEE10hipError_tPvRmT1_PNSt15iterator_traitsISZ_E10value_typeET2_T3_PNS10_IS15_E10value_typeET4_jRbjT5_S1B_jjP12ihipStream_tbEUljE_EEESW_SX_SY_S15_S19_S1B_T6_T7_T9_mT8_S1D_bDpT10_ENKUlT_T0_E_clISt17integral_constantIbLb1EES1Q_EEDaS1L_S1M_EUlS1L_E_NS1_11comp_targetILNS1_3genE2ELNS1_11target_archE906ELNS1_3gpuE6ELNS1_3repE0EEENS1_30default_config_static_selectorELNS0_4arch9wavefront6targetE0EEEvSZ_
                                        ; -- End function
	.set _ZN7rocprim17ROCPRIM_400000_NS6detail17trampoline_kernelINS0_13select_configILj256ELj13ELNS0_17block_load_methodE3ELS4_3ELS4_3ELNS0_20block_scan_algorithmE0ELj4294967295EEENS1_25partition_config_selectorILNS1_17partition_subalgoE3EjNS0_10empty_typeEbEEZZNS1_14partition_implILS8_3ELb0ES6_jNS0_17counting_iteratorIjlEEPS9_SE_NS0_5tupleIJPjSE_EEENSF_IJSE_SE_EEES9_SG_JZNS1_25segmented_radix_sort_implINS0_14default_configELb0EPK12hip_bfloat16PSL_PKlPlN2at6native12_GLOBAL__N_18offset_tEEE10hipError_tPvRmT1_PNSt15iterator_traitsISZ_E10value_typeET2_T3_PNS10_IS15_E10value_typeET4_jRbjT5_S1B_jjP12ihipStream_tbEUljE_EEESW_SX_SY_S15_S19_S1B_T6_T7_T9_mT8_S1D_bDpT10_ENKUlT_T0_E_clISt17integral_constantIbLb1EES1Q_EEDaS1L_S1M_EUlS1L_E_NS1_11comp_targetILNS1_3genE2ELNS1_11target_archE906ELNS1_3gpuE6ELNS1_3repE0EEENS1_30default_config_static_selectorELNS0_4arch9wavefront6targetE0EEEvSZ_.num_vgpr, 0
	.set _ZN7rocprim17ROCPRIM_400000_NS6detail17trampoline_kernelINS0_13select_configILj256ELj13ELNS0_17block_load_methodE3ELS4_3ELS4_3ELNS0_20block_scan_algorithmE0ELj4294967295EEENS1_25partition_config_selectorILNS1_17partition_subalgoE3EjNS0_10empty_typeEbEEZZNS1_14partition_implILS8_3ELb0ES6_jNS0_17counting_iteratorIjlEEPS9_SE_NS0_5tupleIJPjSE_EEENSF_IJSE_SE_EEES9_SG_JZNS1_25segmented_radix_sort_implINS0_14default_configELb0EPK12hip_bfloat16PSL_PKlPlN2at6native12_GLOBAL__N_18offset_tEEE10hipError_tPvRmT1_PNSt15iterator_traitsISZ_E10value_typeET2_T3_PNS10_IS15_E10value_typeET4_jRbjT5_S1B_jjP12ihipStream_tbEUljE_EEESW_SX_SY_S15_S19_S1B_T6_T7_T9_mT8_S1D_bDpT10_ENKUlT_T0_E_clISt17integral_constantIbLb1EES1Q_EEDaS1L_S1M_EUlS1L_E_NS1_11comp_targetILNS1_3genE2ELNS1_11target_archE906ELNS1_3gpuE6ELNS1_3repE0EEENS1_30default_config_static_selectorELNS0_4arch9wavefront6targetE0EEEvSZ_.num_agpr, 0
	.set _ZN7rocprim17ROCPRIM_400000_NS6detail17trampoline_kernelINS0_13select_configILj256ELj13ELNS0_17block_load_methodE3ELS4_3ELS4_3ELNS0_20block_scan_algorithmE0ELj4294967295EEENS1_25partition_config_selectorILNS1_17partition_subalgoE3EjNS0_10empty_typeEbEEZZNS1_14partition_implILS8_3ELb0ES6_jNS0_17counting_iteratorIjlEEPS9_SE_NS0_5tupleIJPjSE_EEENSF_IJSE_SE_EEES9_SG_JZNS1_25segmented_radix_sort_implINS0_14default_configELb0EPK12hip_bfloat16PSL_PKlPlN2at6native12_GLOBAL__N_18offset_tEEE10hipError_tPvRmT1_PNSt15iterator_traitsISZ_E10value_typeET2_T3_PNS10_IS15_E10value_typeET4_jRbjT5_S1B_jjP12ihipStream_tbEUljE_EEESW_SX_SY_S15_S19_S1B_T6_T7_T9_mT8_S1D_bDpT10_ENKUlT_T0_E_clISt17integral_constantIbLb1EES1Q_EEDaS1L_S1M_EUlS1L_E_NS1_11comp_targetILNS1_3genE2ELNS1_11target_archE906ELNS1_3gpuE6ELNS1_3repE0EEENS1_30default_config_static_selectorELNS0_4arch9wavefront6targetE0EEEvSZ_.numbered_sgpr, 0
	.set _ZN7rocprim17ROCPRIM_400000_NS6detail17trampoline_kernelINS0_13select_configILj256ELj13ELNS0_17block_load_methodE3ELS4_3ELS4_3ELNS0_20block_scan_algorithmE0ELj4294967295EEENS1_25partition_config_selectorILNS1_17partition_subalgoE3EjNS0_10empty_typeEbEEZZNS1_14partition_implILS8_3ELb0ES6_jNS0_17counting_iteratorIjlEEPS9_SE_NS0_5tupleIJPjSE_EEENSF_IJSE_SE_EEES9_SG_JZNS1_25segmented_radix_sort_implINS0_14default_configELb0EPK12hip_bfloat16PSL_PKlPlN2at6native12_GLOBAL__N_18offset_tEEE10hipError_tPvRmT1_PNSt15iterator_traitsISZ_E10value_typeET2_T3_PNS10_IS15_E10value_typeET4_jRbjT5_S1B_jjP12ihipStream_tbEUljE_EEESW_SX_SY_S15_S19_S1B_T6_T7_T9_mT8_S1D_bDpT10_ENKUlT_T0_E_clISt17integral_constantIbLb1EES1Q_EEDaS1L_S1M_EUlS1L_E_NS1_11comp_targetILNS1_3genE2ELNS1_11target_archE906ELNS1_3gpuE6ELNS1_3repE0EEENS1_30default_config_static_selectorELNS0_4arch9wavefront6targetE0EEEvSZ_.num_named_barrier, 0
	.set _ZN7rocprim17ROCPRIM_400000_NS6detail17trampoline_kernelINS0_13select_configILj256ELj13ELNS0_17block_load_methodE3ELS4_3ELS4_3ELNS0_20block_scan_algorithmE0ELj4294967295EEENS1_25partition_config_selectorILNS1_17partition_subalgoE3EjNS0_10empty_typeEbEEZZNS1_14partition_implILS8_3ELb0ES6_jNS0_17counting_iteratorIjlEEPS9_SE_NS0_5tupleIJPjSE_EEENSF_IJSE_SE_EEES9_SG_JZNS1_25segmented_radix_sort_implINS0_14default_configELb0EPK12hip_bfloat16PSL_PKlPlN2at6native12_GLOBAL__N_18offset_tEEE10hipError_tPvRmT1_PNSt15iterator_traitsISZ_E10value_typeET2_T3_PNS10_IS15_E10value_typeET4_jRbjT5_S1B_jjP12ihipStream_tbEUljE_EEESW_SX_SY_S15_S19_S1B_T6_T7_T9_mT8_S1D_bDpT10_ENKUlT_T0_E_clISt17integral_constantIbLb1EES1Q_EEDaS1L_S1M_EUlS1L_E_NS1_11comp_targetILNS1_3genE2ELNS1_11target_archE906ELNS1_3gpuE6ELNS1_3repE0EEENS1_30default_config_static_selectorELNS0_4arch9wavefront6targetE0EEEvSZ_.private_seg_size, 0
	.set _ZN7rocprim17ROCPRIM_400000_NS6detail17trampoline_kernelINS0_13select_configILj256ELj13ELNS0_17block_load_methodE3ELS4_3ELS4_3ELNS0_20block_scan_algorithmE0ELj4294967295EEENS1_25partition_config_selectorILNS1_17partition_subalgoE3EjNS0_10empty_typeEbEEZZNS1_14partition_implILS8_3ELb0ES6_jNS0_17counting_iteratorIjlEEPS9_SE_NS0_5tupleIJPjSE_EEENSF_IJSE_SE_EEES9_SG_JZNS1_25segmented_radix_sort_implINS0_14default_configELb0EPK12hip_bfloat16PSL_PKlPlN2at6native12_GLOBAL__N_18offset_tEEE10hipError_tPvRmT1_PNSt15iterator_traitsISZ_E10value_typeET2_T3_PNS10_IS15_E10value_typeET4_jRbjT5_S1B_jjP12ihipStream_tbEUljE_EEESW_SX_SY_S15_S19_S1B_T6_T7_T9_mT8_S1D_bDpT10_ENKUlT_T0_E_clISt17integral_constantIbLb1EES1Q_EEDaS1L_S1M_EUlS1L_E_NS1_11comp_targetILNS1_3genE2ELNS1_11target_archE906ELNS1_3gpuE6ELNS1_3repE0EEENS1_30default_config_static_selectorELNS0_4arch9wavefront6targetE0EEEvSZ_.uses_vcc, 0
	.set _ZN7rocprim17ROCPRIM_400000_NS6detail17trampoline_kernelINS0_13select_configILj256ELj13ELNS0_17block_load_methodE3ELS4_3ELS4_3ELNS0_20block_scan_algorithmE0ELj4294967295EEENS1_25partition_config_selectorILNS1_17partition_subalgoE3EjNS0_10empty_typeEbEEZZNS1_14partition_implILS8_3ELb0ES6_jNS0_17counting_iteratorIjlEEPS9_SE_NS0_5tupleIJPjSE_EEENSF_IJSE_SE_EEES9_SG_JZNS1_25segmented_radix_sort_implINS0_14default_configELb0EPK12hip_bfloat16PSL_PKlPlN2at6native12_GLOBAL__N_18offset_tEEE10hipError_tPvRmT1_PNSt15iterator_traitsISZ_E10value_typeET2_T3_PNS10_IS15_E10value_typeET4_jRbjT5_S1B_jjP12ihipStream_tbEUljE_EEESW_SX_SY_S15_S19_S1B_T6_T7_T9_mT8_S1D_bDpT10_ENKUlT_T0_E_clISt17integral_constantIbLb1EES1Q_EEDaS1L_S1M_EUlS1L_E_NS1_11comp_targetILNS1_3genE2ELNS1_11target_archE906ELNS1_3gpuE6ELNS1_3repE0EEENS1_30default_config_static_selectorELNS0_4arch9wavefront6targetE0EEEvSZ_.uses_flat_scratch, 0
	.set _ZN7rocprim17ROCPRIM_400000_NS6detail17trampoline_kernelINS0_13select_configILj256ELj13ELNS0_17block_load_methodE3ELS4_3ELS4_3ELNS0_20block_scan_algorithmE0ELj4294967295EEENS1_25partition_config_selectorILNS1_17partition_subalgoE3EjNS0_10empty_typeEbEEZZNS1_14partition_implILS8_3ELb0ES6_jNS0_17counting_iteratorIjlEEPS9_SE_NS0_5tupleIJPjSE_EEENSF_IJSE_SE_EEES9_SG_JZNS1_25segmented_radix_sort_implINS0_14default_configELb0EPK12hip_bfloat16PSL_PKlPlN2at6native12_GLOBAL__N_18offset_tEEE10hipError_tPvRmT1_PNSt15iterator_traitsISZ_E10value_typeET2_T3_PNS10_IS15_E10value_typeET4_jRbjT5_S1B_jjP12ihipStream_tbEUljE_EEESW_SX_SY_S15_S19_S1B_T6_T7_T9_mT8_S1D_bDpT10_ENKUlT_T0_E_clISt17integral_constantIbLb1EES1Q_EEDaS1L_S1M_EUlS1L_E_NS1_11comp_targetILNS1_3genE2ELNS1_11target_archE906ELNS1_3gpuE6ELNS1_3repE0EEENS1_30default_config_static_selectorELNS0_4arch9wavefront6targetE0EEEvSZ_.has_dyn_sized_stack, 0
	.set _ZN7rocprim17ROCPRIM_400000_NS6detail17trampoline_kernelINS0_13select_configILj256ELj13ELNS0_17block_load_methodE3ELS4_3ELS4_3ELNS0_20block_scan_algorithmE0ELj4294967295EEENS1_25partition_config_selectorILNS1_17partition_subalgoE3EjNS0_10empty_typeEbEEZZNS1_14partition_implILS8_3ELb0ES6_jNS0_17counting_iteratorIjlEEPS9_SE_NS0_5tupleIJPjSE_EEENSF_IJSE_SE_EEES9_SG_JZNS1_25segmented_radix_sort_implINS0_14default_configELb0EPK12hip_bfloat16PSL_PKlPlN2at6native12_GLOBAL__N_18offset_tEEE10hipError_tPvRmT1_PNSt15iterator_traitsISZ_E10value_typeET2_T3_PNS10_IS15_E10value_typeET4_jRbjT5_S1B_jjP12ihipStream_tbEUljE_EEESW_SX_SY_S15_S19_S1B_T6_T7_T9_mT8_S1D_bDpT10_ENKUlT_T0_E_clISt17integral_constantIbLb1EES1Q_EEDaS1L_S1M_EUlS1L_E_NS1_11comp_targetILNS1_3genE2ELNS1_11target_archE906ELNS1_3gpuE6ELNS1_3repE0EEENS1_30default_config_static_selectorELNS0_4arch9wavefront6targetE0EEEvSZ_.has_recursion, 0
	.set _ZN7rocprim17ROCPRIM_400000_NS6detail17trampoline_kernelINS0_13select_configILj256ELj13ELNS0_17block_load_methodE3ELS4_3ELS4_3ELNS0_20block_scan_algorithmE0ELj4294967295EEENS1_25partition_config_selectorILNS1_17partition_subalgoE3EjNS0_10empty_typeEbEEZZNS1_14partition_implILS8_3ELb0ES6_jNS0_17counting_iteratorIjlEEPS9_SE_NS0_5tupleIJPjSE_EEENSF_IJSE_SE_EEES9_SG_JZNS1_25segmented_radix_sort_implINS0_14default_configELb0EPK12hip_bfloat16PSL_PKlPlN2at6native12_GLOBAL__N_18offset_tEEE10hipError_tPvRmT1_PNSt15iterator_traitsISZ_E10value_typeET2_T3_PNS10_IS15_E10value_typeET4_jRbjT5_S1B_jjP12ihipStream_tbEUljE_EEESW_SX_SY_S15_S19_S1B_T6_T7_T9_mT8_S1D_bDpT10_ENKUlT_T0_E_clISt17integral_constantIbLb1EES1Q_EEDaS1L_S1M_EUlS1L_E_NS1_11comp_targetILNS1_3genE2ELNS1_11target_archE906ELNS1_3gpuE6ELNS1_3repE0EEENS1_30default_config_static_selectorELNS0_4arch9wavefront6targetE0EEEvSZ_.has_indirect_call, 0
	.section	.AMDGPU.csdata,"",@progbits
; Kernel info:
; codeLenInByte = 0
; TotalNumSgprs: 0
; NumVgprs: 0
; ScratchSize: 0
; MemoryBound: 0
; FloatMode: 240
; IeeeMode: 1
; LDSByteSize: 0 bytes/workgroup (compile time only)
; SGPRBlocks: 0
; VGPRBlocks: 0
; NumSGPRsForWavesPerEU: 1
; NumVGPRsForWavesPerEU: 1
; Occupancy: 16
; WaveLimiterHint : 0
; COMPUTE_PGM_RSRC2:SCRATCH_EN: 0
; COMPUTE_PGM_RSRC2:USER_SGPR: 2
; COMPUTE_PGM_RSRC2:TRAP_HANDLER: 0
; COMPUTE_PGM_RSRC2:TGID_X_EN: 1
; COMPUTE_PGM_RSRC2:TGID_Y_EN: 0
; COMPUTE_PGM_RSRC2:TGID_Z_EN: 0
; COMPUTE_PGM_RSRC2:TIDIG_COMP_CNT: 0
	.section	.text._ZN7rocprim17ROCPRIM_400000_NS6detail17trampoline_kernelINS0_13select_configILj256ELj13ELNS0_17block_load_methodE3ELS4_3ELS4_3ELNS0_20block_scan_algorithmE0ELj4294967295EEENS1_25partition_config_selectorILNS1_17partition_subalgoE3EjNS0_10empty_typeEbEEZZNS1_14partition_implILS8_3ELb0ES6_jNS0_17counting_iteratorIjlEEPS9_SE_NS0_5tupleIJPjSE_EEENSF_IJSE_SE_EEES9_SG_JZNS1_25segmented_radix_sort_implINS0_14default_configELb0EPK12hip_bfloat16PSL_PKlPlN2at6native12_GLOBAL__N_18offset_tEEE10hipError_tPvRmT1_PNSt15iterator_traitsISZ_E10value_typeET2_T3_PNS10_IS15_E10value_typeET4_jRbjT5_S1B_jjP12ihipStream_tbEUljE_EEESW_SX_SY_S15_S19_S1B_T6_T7_T9_mT8_S1D_bDpT10_ENKUlT_T0_E_clISt17integral_constantIbLb1EES1Q_EEDaS1L_S1M_EUlS1L_E_NS1_11comp_targetILNS1_3genE10ELNS1_11target_archE1200ELNS1_3gpuE4ELNS1_3repE0EEENS1_30default_config_static_selectorELNS0_4arch9wavefront6targetE0EEEvSZ_,"axG",@progbits,_ZN7rocprim17ROCPRIM_400000_NS6detail17trampoline_kernelINS0_13select_configILj256ELj13ELNS0_17block_load_methodE3ELS4_3ELS4_3ELNS0_20block_scan_algorithmE0ELj4294967295EEENS1_25partition_config_selectorILNS1_17partition_subalgoE3EjNS0_10empty_typeEbEEZZNS1_14partition_implILS8_3ELb0ES6_jNS0_17counting_iteratorIjlEEPS9_SE_NS0_5tupleIJPjSE_EEENSF_IJSE_SE_EEES9_SG_JZNS1_25segmented_radix_sort_implINS0_14default_configELb0EPK12hip_bfloat16PSL_PKlPlN2at6native12_GLOBAL__N_18offset_tEEE10hipError_tPvRmT1_PNSt15iterator_traitsISZ_E10value_typeET2_T3_PNS10_IS15_E10value_typeET4_jRbjT5_S1B_jjP12ihipStream_tbEUljE_EEESW_SX_SY_S15_S19_S1B_T6_T7_T9_mT8_S1D_bDpT10_ENKUlT_T0_E_clISt17integral_constantIbLb1EES1Q_EEDaS1L_S1M_EUlS1L_E_NS1_11comp_targetILNS1_3genE10ELNS1_11target_archE1200ELNS1_3gpuE4ELNS1_3repE0EEENS1_30default_config_static_selectorELNS0_4arch9wavefront6targetE0EEEvSZ_,comdat
	.globl	_ZN7rocprim17ROCPRIM_400000_NS6detail17trampoline_kernelINS0_13select_configILj256ELj13ELNS0_17block_load_methodE3ELS4_3ELS4_3ELNS0_20block_scan_algorithmE0ELj4294967295EEENS1_25partition_config_selectorILNS1_17partition_subalgoE3EjNS0_10empty_typeEbEEZZNS1_14partition_implILS8_3ELb0ES6_jNS0_17counting_iteratorIjlEEPS9_SE_NS0_5tupleIJPjSE_EEENSF_IJSE_SE_EEES9_SG_JZNS1_25segmented_radix_sort_implINS0_14default_configELb0EPK12hip_bfloat16PSL_PKlPlN2at6native12_GLOBAL__N_18offset_tEEE10hipError_tPvRmT1_PNSt15iterator_traitsISZ_E10value_typeET2_T3_PNS10_IS15_E10value_typeET4_jRbjT5_S1B_jjP12ihipStream_tbEUljE_EEESW_SX_SY_S15_S19_S1B_T6_T7_T9_mT8_S1D_bDpT10_ENKUlT_T0_E_clISt17integral_constantIbLb1EES1Q_EEDaS1L_S1M_EUlS1L_E_NS1_11comp_targetILNS1_3genE10ELNS1_11target_archE1200ELNS1_3gpuE4ELNS1_3repE0EEENS1_30default_config_static_selectorELNS0_4arch9wavefront6targetE0EEEvSZ_ ; -- Begin function _ZN7rocprim17ROCPRIM_400000_NS6detail17trampoline_kernelINS0_13select_configILj256ELj13ELNS0_17block_load_methodE3ELS4_3ELS4_3ELNS0_20block_scan_algorithmE0ELj4294967295EEENS1_25partition_config_selectorILNS1_17partition_subalgoE3EjNS0_10empty_typeEbEEZZNS1_14partition_implILS8_3ELb0ES6_jNS0_17counting_iteratorIjlEEPS9_SE_NS0_5tupleIJPjSE_EEENSF_IJSE_SE_EEES9_SG_JZNS1_25segmented_radix_sort_implINS0_14default_configELb0EPK12hip_bfloat16PSL_PKlPlN2at6native12_GLOBAL__N_18offset_tEEE10hipError_tPvRmT1_PNSt15iterator_traitsISZ_E10value_typeET2_T3_PNS10_IS15_E10value_typeET4_jRbjT5_S1B_jjP12ihipStream_tbEUljE_EEESW_SX_SY_S15_S19_S1B_T6_T7_T9_mT8_S1D_bDpT10_ENKUlT_T0_E_clISt17integral_constantIbLb1EES1Q_EEDaS1L_S1M_EUlS1L_E_NS1_11comp_targetILNS1_3genE10ELNS1_11target_archE1200ELNS1_3gpuE4ELNS1_3repE0EEENS1_30default_config_static_selectorELNS0_4arch9wavefront6targetE0EEEvSZ_
	.p2align	8
	.type	_ZN7rocprim17ROCPRIM_400000_NS6detail17trampoline_kernelINS0_13select_configILj256ELj13ELNS0_17block_load_methodE3ELS4_3ELS4_3ELNS0_20block_scan_algorithmE0ELj4294967295EEENS1_25partition_config_selectorILNS1_17partition_subalgoE3EjNS0_10empty_typeEbEEZZNS1_14partition_implILS8_3ELb0ES6_jNS0_17counting_iteratorIjlEEPS9_SE_NS0_5tupleIJPjSE_EEENSF_IJSE_SE_EEES9_SG_JZNS1_25segmented_radix_sort_implINS0_14default_configELb0EPK12hip_bfloat16PSL_PKlPlN2at6native12_GLOBAL__N_18offset_tEEE10hipError_tPvRmT1_PNSt15iterator_traitsISZ_E10value_typeET2_T3_PNS10_IS15_E10value_typeET4_jRbjT5_S1B_jjP12ihipStream_tbEUljE_EEESW_SX_SY_S15_S19_S1B_T6_T7_T9_mT8_S1D_bDpT10_ENKUlT_T0_E_clISt17integral_constantIbLb1EES1Q_EEDaS1L_S1M_EUlS1L_E_NS1_11comp_targetILNS1_3genE10ELNS1_11target_archE1200ELNS1_3gpuE4ELNS1_3repE0EEENS1_30default_config_static_selectorELNS0_4arch9wavefront6targetE0EEEvSZ_,@function
_ZN7rocprim17ROCPRIM_400000_NS6detail17trampoline_kernelINS0_13select_configILj256ELj13ELNS0_17block_load_methodE3ELS4_3ELS4_3ELNS0_20block_scan_algorithmE0ELj4294967295EEENS1_25partition_config_selectorILNS1_17partition_subalgoE3EjNS0_10empty_typeEbEEZZNS1_14partition_implILS8_3ELb0ES6_jNS0_17counting_iteratorIjlEEPS9_SE_NS0_5tupleIJPjSE_EEENSF_IJSE_SE_EEES9_SG_JZNS1_25segmented_radix_sort_implINS0_14default_configELb0EPK12hip_bfloat16PSL_PKlPlN2at6native12_GLOBAL__N_18offset_tEEE10hipError_tPvRmT1_PNSt15iterator_traitsISZ_E10value_typeET2_T3_PNS10_IS15_E10value_typeET4_jRbjT5_S1B_jjP12ihipStream_tbEUljE_EEESW_SX_SY_S15_S19_S1B_T6_T7_T9_mT8_S1D_bDpT10_ENKUlT_T0_E_clISt17integral_constantIbLb1EES1Q_EEDaS1L_S1M_EUlS1L_E_NS1_11comp_targetILNS1_3genE10ELNS1_11target_archE1200ELNS1_3gpuE4ELNS1_3repE0EEENS1_30default_config_static_selectorELNS0_4arch9wavefront6targetE0EEEvSZ_: ; @_ZN7rocprim17ROCPRIM_400000_NS6detail17trampoline_kernelINS0_13select_configILj256ELj13ELNS0_17block_load_methodE3ELS4_3ELS4_3ELNS0_20block_scan_algorithmE0ELj4294967295EEENS1_25partition_config_selectorILNS1_17partition_subalgoE3EjNS0_10empty_typeEbEEZZNS1_14partition_implILS8_3ELb0ES6_jNS0_17counting_iteratorIjlEEPS9_SE_NS0_5tupleIJPjSE_EEENSF_IJSE_SE_EEES9_SG_JZNS1_25segmented_radix_sort_implINS0_14default_configELb0EPK12hip_bfloat16PSL_PKlPlN2at6native12_GLOBAL__N_18offset_tEEE10hipError_tPvRmT1_PNSt15iterator_traitsISZ_E10value_typeET2_T3_PNS10_IS15_E10value_typeET4_jRbjT5_S1B_jjP12ihipStream_tbEUljE_EEESW_SX_SY_S15_S19_S1B_T6_T7_T9_mT8_S1D_bDpT10_ENKUlT_T0_E_clISt17integral_constantIbLb1EES1Q_EEDaS1L_S1M_EUlS1L_E_NS1_11comp_targetILNS1_3genE10ELNS1_11target_archE1200ELNS1_3gpuE4ELNS1_3repE0EEENS1_30default_config_static_selectorELNS0_4arch9wavefront6targetE0EEEvSZ_
; %bb.0:
	s_endpgm
	.section	.rodata,"a",@progbits
	.p2align	6, 0x0
	.amdhsa_kernel _ZN7rocprim17ROCPRIM_400000_NS6detail17trampoline_kernelINS0_13select_configILj256ELj13ELNS0_17block_load_methodE3ELS4_3ELS4_3ELNS0_20block_scan_algorithmE0ELj4294967295EEENS1_25partition_config_selectorILNS1_17partition_subalgoE3EjNS0_10empty_typeEbEEZZNS1_14partition_implILS8_3ELb0ES6_jNS0_17counting_iteratorIjlEEPS9_SE_NS0_5tupleIJPjSE_EEENSF_IJSE_SE_EEES9_SG_JZNS1_25segmented_radix_sort_implINS0_14default_configELb0EPK12hip_bfloat16PSL_PKlPlN2at6native12_GLOBAL__N_18offset_tEEE10hipError_tPvRmT1_PNSt15iterator_traitsISZ_E10value_typeET2_T3_PNS10_IS15_E10value_typeET4_jRbjT5_S1B_jjP12ihipStream_tbEUljE_EEESW_SX_SY_S15_S19_S1B_T6_T7_T9_mT8_S1D_bDpT10_ENKUlT_T0_E_clISt17integral_constantIbLb1EES1Q_EEDaS1L_S1M_EUlS1L_E_NS1_11comp_targetILNS1_3genE10ELNS1_11target_archE1200ELNS1_3gpuE4ELNS1_3repE0EEENS1_30default_config_static_selectorELNS0_4arch9wavefront6targetE0EEEvSZ_
		.amdhsa_group_segment_fixed_size 0
		.amdhsa_private_segment_fixed_size 0
		.amdhsa_kernarg_size 152
		.amdhsa_user_sgpr_count 2
		.amdhsa_user_sgpr_dispatch_ptr 0
		.amdhsa_user_sgpr_queue_ptr 0
		.amdhsa_user_sgpr_kernarg_segment_ptr 1
		.amdhsa_user_sgpr_dispatch_id 0
		.amdhsa_user_sgpr_private_segment_size 0
		.amdhsa_wavefront_size32 1
		.amdhsa_uses_dynamic_stack 0
		.amdhsa_enable_private_segment 0
		.amdhsa_system_sgpr_workgroup_id_x 1
		.amdhsa_system_sgpr_workgroup_id_y 0
		.amdhsa_system_sgpr_workgroup_id_z 0
		.amdhsa_system_sgpr_workgroup_info 0
		.amdhsa_system_vgpr_workitem_id 0
		.amdhsa_next_free_vgpr 1
		.amdhsa_next_free_sgpr 1
		.amdhsa_reserve_vcc 0
		.amdhsa_float_round_mode_32 0
		.amdhsa_float_round_mode_16_64 0
		.amdhsa_float_denorm_mode_32 3
		.amdhsa_float_denorm_mode_16_64 3
		.amdhsa_fp16_overflow 0
		.amdhsa_workgroup_processor_mode 1
		.amdhsa_memory_ordered 1
		.amdhsa_forward_progress 1
		.amdhsa_inst_pref_size 1
		.amdhsa_round_robin_scheduling 0
		.amdhsa_exception_fp_ieee_invalid_op 0
		.amdhsa_exception_fp_denorm_src 0
		.amdhsa_exception_fp_ieee_div_zero 0
		.amdhsa_exception_fp_ieee_overflow 0
		.amdhsa_exception_fp_ieee_underflow 0
		.amdhsa_exception_fp_ieee_inexact 0
		.amdhsa_exception_int_div_zero 0
	.end_amdhsa_kernel
	.section	.text._ZN7rocprim17ROCPRIM_400000_NS6detail17trampoline_kernelINS0_13select_configILj256ELj13ELNS0_17block_load_methodE3ELS4_3ELS4_3ELNS0_20block_scan_algorithmE0ELj4294967295EEENS1_25partition_config_selectorILNS1_17partition_subalgoE3EjNS0_10empty_typeEbEEZZNS1_14partition_implILS8_3ELb0ES6_jNS0_17counting_iteratorIjlEEPS9_SE_NS0_5tupleIJPjSE_EEENSF_IJSE_SE_EEES9_SG_JZNS1_25segmented_radix_sort_implINS0_14default_configELb0EPK12hip_bfloat16PSL_PKlPlN2at6native12_GLOBAL__N_18offset_tEEE10hipError_tPvRmT1_PNSt15iterator_traitsISZ_E10value_typeET2_T3_PNS10_IS15_E10value_typeET4_jRbjT5_S1B_jjP12ihipStream_tbEUljE_EEESW_SX_SY_S15_S19_S1B_T6_T7_T9_mT8_S1D_bDpT10_ENKUlT_T0_E_clISt17integral_constantIbLb1EES1Q_EEDaS1L_S1M_EUlS1L_E_NS1_11comp_targetILNS1_3genE10ELNS1_11target_archE1200ELNS1_3gpuE4ELNS1_3repE0EEENS1_30default_config_static_selectorELNS0_4arch9wavefront6targetE0EEEvSZ_,"axG",@progbits,_ZN7rocprim17ROCPRIM_400000_NS6detail17trampoline_kernelINS0_13select_configILj256ELj13ELNS0_17block_load_methodE3ELS4_3ELS4_3ELNS0_20block_scan_algorithmE0ELj4294967295EEENS1_25partition_config_selectorILNS1_17partition_subalgoE3EjNS0_10empty_typeEbEEZZNS1_14partition_implILS8_3ELb0ES6_jNS0_17counting_iteratorIjlEEPS9_SE_NS0_5tupleIJPjSE_EEENSF_IJSE_SE_EEES9_SG_JZNS1_25segmented_radix_sort_implINS0_14default_configELb0EPK12hip_bfloat16PSL_PKlPlN2at6native12_GLOBAL__N_18offset_tEEE10hipError_tPvRmT1_PNSt15iterator_traitsISZ_E10value_typeET2_T3_PNS10_IS15_E10value_typeET4_jRbjT5_S1B_jjP12ihipStream_tbEUljE_EEESW_SX_SY_S15_S19_S1B_T6_T7_T9_mT8_S1D_bDpT10_ENKUlT_T0_E_clISt17integral_constantIbLb1EES1Q_EEDaS1L_S1M_EUlS1L_E_NS1_11comp_targetILNS1_3genE10ELNS1_11target_archE1200ELNS1_3gpuE4ELNS1_3repE0EEENS1_30default_config_static_selectorELNS0_4arch9wavefront6targetE0EEEvSZ_,comdat
.Lfunc_end2030:
	.size	_ZN7rocprim17ROCPRIM_400000_NS6detail17trampoline_kernelINS0_13select_configILj256ELj13ELNS0_17block_load_methodE3ELS4_3ELS4_3ELNS0_20block_scan_algorithmE0ELj4294967295EEENS1_25partition_config_selectorILNS1_17partition_subalgoE3EjNS0_10empty_typeEbEEZZNS1_14partition_implILS8_3ELb0ES6_jNS0_17counting_iteratorIjlEEPS9_SE_NS0_5tupleIJPjSE_EEENSF_IJSE_SE_EEES9_SG_JZNS1_25segmented_radix_sort_implINS0_14default_configELb0EPK12hip_bfloat16PSL_PKlPlN2at6native12_GLOBAL__N_18offset_tEEE10hipError_tPvRmT1_PNSt15iterator_traitsISZ_E10value_typeET2_T3_PNS10_IS15_E10value_typeET4_jRbjT5_S1B_jjP12ihipStream_tbEUljE_EEESW_SX_SY_S15_S19_S1B_T6_T7_T9_mT8_S1D_bDpT10_ENKUlT_T0_E_clISt17integral_constantIbLb1EES1Q_EEDaS1L_S1M_EUlS1L_E_NS1_11comp_targetILNS1_3genE10ELNS1_11target_archE1200ELNS1_3gpuE4ELNS1_3repE0EEENS1_30default_config_static_selectorELNS0_4arch9wavefront6targetE0EEEvSZ_, .Lfunc_end2030-_ZN7rocprim17ROCPRIM_400000_NS6detail17trampoline_kernelINS0_13select_configILj256ELj13ELNS0_17block_load_methodE3ELS4_3ELS4_3ELNS0_20block_scan_algorithmE0ELj4294967295EEENS1_25partition_config_selectorILNS1_17partition_subalgoE3EjNS0_10empty_typeEbEEZZNS1_14partition_implILS8_3ELb0ES6_jNS0_17counting_iteratorIjlEEPS9_SE_NS0_5tupleIJPjSE_EEENSF_IJSE_SE_EEES9_SG_JZNS1_25segmented_radix_sort_implINS0_14default_configELb0EPK12hip_bfloat16PSL_PKlPlN2at6native12_GLOBAL__N_18offset_tEEE10hipError_tPvRmT1_PNSt15iterator_traitsISZ_E10value_typeET2_T3_PNS10_IS15_E10value_typeET4_jRbjT5_S1B_jjP12ihipStream_tbEUljE_EEESW_SX_SY_S15_S19_S1B_T6_T7_T9_mT8_S1D_bDpT10_ENKUlT_T0_E_clISt17integral_constantIbLb1EES1Q_EEDaS1L_S1M_EUlS1L_E_NS1_11comp_targetILNS1_3genE10ELNS1_11target_archE1200ELNS1_3gpuE4ELNS1_3repE0EEENS1_30default_config_static_selectorELNS0_4arch9wavefront6targetE0EEEvSZ_
                                        ; -- End function
	.set _ZN7rocprim17ROCPRIM_400000_NS6detail17trampoline_kernelINS0_13select_configILj256ELj13ELNS0_17block_load_methodE3ELS4_3ELS4_3ELNS0_20block_scan_algorithmE0ELj4294967295EEENS1_25partition_config_selectorILNS1_17partition_subalgoE3EjNS0_10empty_typeEbEEZZNS1_14partition_implILS8_3ELb0ES6_jNS0_17counting_iteratorIjlEEPS9_SE_NS0_5tupleIJPjSE_EEENSF_IJSE_SE_EEES9_SG_JZNS1_25segmented_radix_sort_implINS0_14default_configELb0EPK12hip_bfloat16PSL_PKlPlN2at6native12_GLOBAL__N_18offset_tEEE10hipError_tPvRmT1_PNSt15iterator_traitsISZ_E10value_typeET2_T3_PNS10_IS15_E10value_typeET4_jRbjT5_S1B_jjP12ihipStream_tbEUljE_EEESW_SX_SY_S15_S19_S1B_T6_T7_T9_mT8_S1D_bDpT10_ENKUlT_T0_E_clISt17integral_constantIbLb1EES1Q_EEDaS1L_S1M_EUlS1L_E_NS1_11comp_targetILNS1_3genE10ELNS1_11target_archE1200ELNS1_3gpuE4ELNS1_3repE0EEENS1_30default_config_static_selectorELNS0_4arch9wavefront6targetE0EEEvSZ_.num_vgpr, 0
	.set _ZN7rocprim17ROCPRIM_400000_NS6detail17trampoline_kernelINS0_13select_configILj256ELj13ELNS0_17block_load_methodE3ELS4_3ELS4_3ELNS0_20block_scan_algorithmE0ELj4294967295EEENS1_25partition_config_selectorILNS1_17partition_subalgoE3EjNS0_10empty_typeEbEEZZNS1_14partition_implILS8_3ELb0ES6_jNS0_17counting_iteratorIjlEEPS9_SE_NS0_5tupleIJPjSE_EEENSF_IJSE_SE_EEES9_SG_JZNS1_25segmented_radix_sort_implINS0_14default_configELb0EPK12hip_bfloat16PSL_PKlPlN2at6native12_GLOBAL__N_18offset_tEEE10hipError_tPvRmT1_PNSt15iterator_traitsISZ_E10value_typeET2_T3_PNS10_IS15_E10value_typeET4_jRbjT5_S1B_jjP12ihipStream_tbEUljE_EEESW_SX_SY_S15_S19_S1B_T6_T7_T9_mT8_S1D_bDpT10_ENKUlT_T0_E_clISt17integral_constantIbLb1EES1Q_EEDaS1L_S1M_EUlS1L_E_NS1_11comp_targetILNS1_3genE10ELNS1_11target_archE1200ELNS1_3gpuE4ELNS1_3repE0EEENS1_30default_config_static_selectorELNS0_4arch9wavefront6targetE0EEEvSZ_.num_agpr, 0
	.set _ZN7rocprim17ROCPRIM_400000_NS6detail17trampoline_kernelINS0_13select_configILj256ELj13ELNS0_17block_load_methodE3ELS4_3ELS4_3ELNS0_20block_scan_algorithmE0ELj4294967295EEENS1_25partition_config_selectorILNS1_17partition_subalgoE3EjNS0_10empty_typeEbEEZZNS1_14partition_implILS8_3ELb0ES6_jNS0_17counting_iteratorIjlEEPS9_SE_NS0_5tupleIJPjSE_EEENSF_IJSE_SE_EEES9_SG_JZNS1_25segmented_radix_sort_implINS0_14default_configELb0EPK12hip_bfloat16PSL_PKlPlN2at6native12_GLOBAL__N_18offset_tEEE10hipError_tPvRmT1_PNSt15iterator_traitsISZ_E10value_typeET2_T3_PNS10_IS15_E10value_typeET4_jRbjT5_S1B_jjP12ihipStream_tbEUljE_EEESW_SX_SY_S15_S19_S1B_T6_T7_T9_mT8_S1D_bDpT10_ENKUlT_T0_E_clISt17integral_constantIbLb1EES1Q_EEDaS1L_S1M_EUlS1L_E_NS1_11comp_targetILNS1_3genE10ELNS1_11target_archE1200ELNS1_3gpuE4ELNS1_3repE0EEENS1_30default_config_static_selectorELNS0_4arch9wavefront6targetE0EEEvSZ_.numbered_sgpr, 0
	.set _ZN7rocprim17ROCPRIM_400000_NS6detail17trampoline_kernelINS0_13select_configILj256ELj13ELNS0_17block_load_methodE3ELS4_3ELS4_3ELNS0_20block_scan_algorithmE0ELj4294967295EEENS1_25partition_config_selectorILNS1_17partition_subalgoE3EjNS0_10empty_typeEbEEZZNS1_14partition_implILS8_3ELb0ES6_jNS0_17counting_iteratorIjlEEPS9_SE_NS0_5tupleIJPjSE_EEENSF_IJSE_SE_EEES9_SG_JZNS1_25segmented_radix_sort_implINS0_14default_configELb0EPK12hip_bfloat16PSL_PKlPlN2at6native12_GLOBAL__N_18offset_tEEE10hipError_tPvRmT1_PNSt15iterator_traitsISZ_E10value_typeET2_T3_PNS10_IS15_E10value_typeET4_jRbjT5_S1B_jjP12ihipStream_tbEUljE_EEESW_SX_SY_S15_S19_S1B_T6_T7_T9_mT8_S1D_bDpT10_ENKUlT_T0_E_clISt17integral_constantIbLb1EES1Q_EEDaS1L_S1M_EUlS1L_E_NS1_11comp_targetILNS1_3genE10ELNS1_11target_archE1200ELNS1_3gpuE4ELNS1_3repE0EEENS1_30default_config_static_selectorELNS0_4arch9wavefront6targetE0EEEvSZ_.num_named_barrier, 0
	.set _ZN7rocprim17ROCPRIM_400000_NS6detail17trampoline_kernelINS0_13select_configILj256ELj13ELNS0_17block_load_methodE3ELS4_3ELS4_3ELNS0_20block_scan_algorithmE0ELj4294967295EEENS1_25partition_config_selectorILNS1_17partition_subalgoE3EjNS0_10empty_typeEbEEZZNS1_14partition_implILS8_3ELb0ES6_jNS0_17counting_iteratorIjlEEPS9_SE_NS0_5tupleIJPjSE_EEENSF_IJSE_SE_EEES9_SG_JZNS1_25segmented_radix_sort_implINS0_14default_configELb0EPK12hip_bfloat16PSL_PKlPlN2at6native12_GLOBAL__N_18offset_tEEE10hipError_tPvRmT1_PNSt15iterator_traitsISZ_E10value_typeET2_T3_PNS10_IS15_E10value_typeET4_jRbjT5_S1B_jjP12ihipStream_tbEUljE_EEESW_SX_SY_S15_S19_S1B_T6_T7_T9_mT8_S1D_bDpT10_ENKUlT_T0_E_clISt17integral_constantIbLb1EES1Q_EEDaS1L_S1M_EUlS1L_E_NS1_11comp_targetILNS1_3genE10ELNS1_11target_archE1200ELNS1_3gpuE4ELNS1_3repE0EEENS1_30default_config_static_selectorELNS0_4arch9wavefront6targetE0EEEvSZ_.private_seg_size, 0
	.set _ZN7rocprim17ROCPRIM_400000_NS6detail17trampoline_kernelINS0_13select_configILj256ELj13ELNS0_17block_load_methodE3ELS4_3ELS4_3ELNS0_20block_scan_algorithmE0ELj4294967295EEENS1_25partition_config_selectorILNS1_17partition_subalgoE3EjNS0_10empty_typeEbEEZZNS1_14partition_implILS8_3ELb0ES6_jNS0_17counting_iteratorIjlEEPS9_SE_NS0_5tupleIJPjSE_EEENSF_IJSE_SE_EEES9_SG_JZNS1_25segmented_radix_sort_implINS0_14default_configELb0EPK12hip_bfloat16PSL_PKlPlN2at6native12_GLOBAL__N_18offset_tEEE10hipError_tPvRmT1_PNSt15iterator_traitsISZ_E10value_typeET2_T3_PNS10_IS15_E10value_typeET4_jRbjT5_S1B_jjP12ihipStream_tbEUljE_EEESW_SX_SY_S15_S19_S1B_T6_T7_T9_mT8_S1D_bDpT10_ENKUlT_T0_E_clISt17integral_constantIbLb1EES1Q_EEDaS1L_S1M_EUlS1L_E_NS1_11comp_targetILNS1_3genE10ELNS1_11target_archE1200ELNS1_3gpuE4ELNS1_3repE0EEENS1_30default_config_static_selectorELNS0_4arch9wavefront6targetE0EEEvSZ_.uses_vcc, 0
	.set _ZN7rocprim17ROCPRIM_400000_NS6detail17trampoline_kernelINS0_13select_configILj256ELj13ELNS0_17block_load_methodE3ELS4_3ELS4_3ELNS0_20block_scan_algorithmE0ELj4294967295EEENS1_25partition_config_selectorILNS1_17partition_subalgoE3EjNS0_10empty_typeEbEEZZNS1_14partition_implILS8_3ELb0ES6_jNS0_17counting_iteratorIjlEEPS9_SE_NS0_5tupleIJPjSE_EEENSF_IJSE_SE_EEES9_SG_JZNS1_25segmented_radix_sort_implINS0_14default_configELb0EPK12hip_bfloat16PSL_PKlPlN2at6native12_GLOBAL__N_18offset_tEEE10hipError_tPvRmT1_PNSt15iterator_traitsISZ_E10value_typeET2_T3_PNS10_IS15_E10value_typeET4_jRbjT5_S1B_jjP12ihipStream_tbEUljE_EEESW_SX_SY_S15_S19_S1B_T6_T7_T9_mT8_S1D_bDpT10_ENKUlT_T0_E_clISt17integral_constantIbLb1EES1Q_EEDaS1L_S1M_EUlS1L_E_NS1_11comp_targetILNS1_3genE10ELNS1_11target_archE1200ELNS1_3gpuE4ELNS1_3repE0EEENS1_30default_config_static_selectorELNS0_4arch9wavefront6targetE0EEEvSZ_.uses_flat_scratch, 0
	.set _ZN7rocprim17ROCPRIM_400000_NS6detail17trampoline_kernelINS0_13select_configILj256ELj13ELNS0_17block_load_methodE3ELS4_3ELS4_3ELNS0_20block_scan_algorithmE0ELj4294967295EEENS1_25partition_config_selectorILNS1_17partition_subalgoE3EjNS0_10empty_typeEbEEZZNS1_14partition_implILS8_3ELb0ES6_jNS0_17counting_iteratorIjlEEPS9_SE_NS0_5tupleIJPjSE_EEENSF_IJSE_SE_EEES9_SG_JZNS1_25segmented_radix_sort_implINS0_14default_configELb0EPK12hip_bfloat16PSL_PKlPlN2at6native12_GLOBAL__N_18offset_tEEE10hipError_tPvRmT1_PNSt15iterator_traitsISZ_E10value_typeET2_T3_PNS10_IS15_E10value_typeET4_jRbjT5_S1B_jjP12ihipStream_tbEUljE_EEESW_SX_SY_S15_S19_S1B_T6_T7_T9_mT8_S1D_bDpT10_ENKUlT_T0_E_clISt17integral_constantIbLb1EES1Q_EEDaS1L_S1M_EUlS1L_E_NS1_11comp_targetILNS1_3genE10ELNS1_11target_archE1200ELNS1_3gpuE4ELNS1_3repE0EEENS1_30default_config_static_selectorELNS0_4arch9wavefront6targetE0EEEvSZ_.has_dyn_sized_stack, 0
	.set _ZN7rocprim17ROCPRIM_400000_NS6detail17trampoline_kernelINS0_13select_configILj256ELj13ELNS0_17block_load_methodE3ELS4_3ELS4_3ELNS0_20block_scan_algorithmE0ELj4294967295EEENS1_25partition_config_selectorILNS1_17partition_subalgoE3EjNS0_10empty_typeEbEEZZNS1_14partition_implILS8_3ELb0ES6_jNS0_17counting_iteratorIjlEEPS9_SE_NS0_5tupleIJPjSE_EEENSF_IJSE_SE_EEES9_SG_JZNS1_25segmented_radix_sort_implINS0_14default_configELb0EPK12hip_bfloat16PSL_PKlPlN2at6native12_GLOBAL__N_18offset_tEEE10hipError_tPvRmT1_PNSt15iterator_traitsISZ_E10value_typeET2_T3_PNS10_IS15_E10value_typeET4_jRbjT5_S1B_jjP12ihipStream_tbEUljE_EEESW_SX_SY_S15_S19_S1B_T6_T7_T9_mT8_S1D_bDpT10_ENKUlT_T0_E_clISt17integral_constantIbLb1EES1Q_EEDaS1L_S1M_EUlS1L_E_NS1_11comp_targetILNS1_3genE10ELNS1_11target_archE1200ELNS1_3gpuE4ELNS1_3repE0EEENS1_30default_config_static_selectorELNS0_4arch9wavefront6targetE0EEEvSZ_.has_recursion, 0
	.set _ZN7rocprim17ROCPRIM_400000_NS6detail17trampoline_kernelINS0_13select_configILj256ELj13ELNS0_17block_load_methodE3ELS4_3ELS4_3ELNS0_20block_scan_algorithmE0ELj4294967295EEENS1_25partition_config_selectorILNS1_17partition_subalgoE3EjNS0_10empty_typeEbEEZZNS1_14partition_implILS8_3ELb0ES6_jNS0_17counting_iteratorIjlEEPS9_SE_NS0_5tupleIJPjSE_EEENSF_IJSE_SE_EEES9_SG_JZNS1_25segmented_radix_sort_implINS0_14default_configELb0EPK12hip_bfloat16PSL_PKlPlN2at6native12_GLOBAL__N_18offset_tEEE10hipError_tPvRmT1_PNSt15iterator_traitsISZ_E10value_typeET2_T3_PNS10_IS15_E10value_typeET4_jRbjT5_S1B_jjP12ihipStream_tbEUljE_EEESW_SX_SY_S15_S19_S1B_T6_T7_T9_mT8_S1D_bDpT10_ENKUlT_T0_E_clISt17integral_constantIbLb1EES1Q_EEDaS1L_S1M_EUlS1L_E_NS1_11comp_targetILNS1_3genE10ELNS1_11target_archE1200ELNS1_3gpuE4ELNS1_3repE0EEENS1_30default_config_static_selectorELNS0_4arch9wavefront6targetE0EEEvSZ_.has_indirect_call, 0
	.section	.AMDGPU.csdata,"",@progbits
; Kernel info:
; codeLenInByte = 4
; TotalNumSgprs: 0
; NumVgprs: 0
; ScratchSize: 0
; MemoryBound: 0
; FloatMode: 240
; IeeeMode: 1
; LDSByteSize: 0 bytes/workgroup (compile time only)
; SGPRBlocks: 0
; VGPRBlocks: 0
; NumSGPRsForWavesPerEU: 1
; NumVGPRsForWavesPerEU: 1
; Occupancy: 16
; WaveLimiterHint : 0
; COMPUTE_PGM_RSRC2:SCRATCH_EN: 0
; COMPUTE_PGM_RSRC2:USER_SGPR: 2
; COMPUTE_PGM_RSRC2:TRAP_HANDLER: 0
; COMPUTE_PGM_RSRC2:TGID_X_EN: 1
; COMPUTE_PGM_RSRC2:TGID_Y_EN: 0
; COMPUTE_PGM_RSRC2:TGID_Z_EN: 0
; COMPUTE_PGM_RSRC2:TIDIG_COMP_CNT: 0
	.section	.text._ZN7rocprim17ROCPRIM_400000_NS6detail17trampoline_kernelINS0_13select_configILj256ELj13ELNS0_17block_load_methodE3ELS4_3ELS4_3ELNS0_20block_scan_algorithmE0ELj4294967295EEENS1_25partition_config_selectorILNS1_17partition_subalgoE3EjNS0_10empty_typeEbEEZZNS1_14partition_implILS8_3ELb0ES6_jNS0_17counting_iteratorIjlEEPS9_SE_NS0_5tupleIJPjSE_EEENSF_IJSE_SE_EEES9_SG_JZNS1_25segmented_radix_sort_implINS0_14default_configELb0EPK12hip_bfloat16PSL_PKlPlN2at6native12_GLOBAL__N_18offset_tEEE10hipError_tPvRmT1_PNSt15iterator_traitsISZ_E10value_typeET2_T3_PNS10_IS15_E10value_typeET4_jRbjT5_S1B_jjP12ihipStream_tbEUljE_EEESW_SX_SY_S15_S19_S1B_T6_T7_T9_mT8_S1D_bDpT10_ENKUlT_T0_E_clISt17integral_constantIbLb1EES1Q_EEDaS1L_S1M_EUlS1L_E_NS1_11comp_targetILNS1_3genE9ELNS1_11target_archE1100ELNS1_3gpuE3ELNS1_3repE0EEENS1_30default_config_static_selectorELNS0_4arch9wavefront6targetE0EEEvSZ_,"axG",@progbits,_ZN7rocprim17ROCPRIM_400000_NS6detail17trampoline_kernelINS0_13select_configILj256ELj13ELNS0_17block_load_methodE3ELS4_3ELS4_3ELNS0_20block_scan_algorithmE0ELj4294967295EEENS1_25partition_config_selectorILNS1_17partition_subalgoE3EjNS0_10empty_typeEbEEZZNS1_14partition_implILS8_3ELb0ES6_jNS0_17counting_iteratorIjlEEPS9_SE_NS0_5tupleIJPjSE_EEENSF_IJSE_SE_EEES9_SG_JZNS1_25segmented_radix_sort_implINS0_14default_configELb0EPK12hip_bfloat16PSL_PKlPlN2at6native12_GLOBAL__N_18offset_tEEE10hipError_tPvRmT1_PNSt15iterator_traitsISZ_E10value_typeET2_T3_PNS10_IS15_E10value_typeET4_jRbjT5_S1B_jjP12ihipStream_tbEUljE_EEESW_SX_SY_S15_S19_S1B_T6_T7_T9_mT8_S1D_bDpT10_ENKUlT_T0_E_clISt17integral_constantIbLb1EES1Q_EEDaS1L_S1M_EUlS1L_E_NS1_11comp_targetILNS1_3genE9ELNS1_11target_archE1100ELNS1_3gpuE3ELNS1_3repE0EEENS1_30default_config_static_selectorELNS0_4arch9wavefront6targetE0EEEvSZ_,comdat
	.globl	_ZN7rocprim17ROCPRIM_400000_NS6detail17trampoline_kernelINS0_13select_configILj256ELj13ELNS0_17block_load_methodE3ELS4_3ELS4_3ELNS0_20block_scan_algorithmE0ELj4294967295EEENS1_25partition_config_selectorILNS1_17partition_subalgoE3EjNS0_10empty_typeEbEEZZNS1_14partition_implILS8_3ELb0ES6_jNS0_17counting_iteratorIjlEEPS9_SE_NS0_5tupleIJPjSE_EEENSF_IJSE_SE_EEES9_SG_JZNS1_25segmented_radix_sort_implINS0_14default_configELb0EPK12hip_bfloat16PSL_PKlPlN2at6native12_GLOBAL__N_18offset_tEEE10hipError_tPvRmT1_PNSt15iterator_traitsISZ_E10value_typeET2_T3_PNS10_IS15_E10value_typeET4_jRbjT5_S1B_jjP12ihipStream_tbEUljE_EEESW_SX_SY_S15_S19_S1B_T6_T7_T9_mT8_S1D_bDpT10_ENKUlT_T0_E_clISt17integral_constantIbLb1EES1Q_EEDaS1L_S1M_EUlS1L_E_NS1_11comp_targetILNS1_3genE9ELNS1_11target_archE1100ELNS1_3gpuE3ELNS1_3repE0EEENS1_30default_config_static_selectorELNS0_4arch9wavefront6targetE0EEEvSZ_ ; -- Begin function _ZN7rocprim17ROCPRIM_400000_NS6detail17trampoline_kernelINS0_13select_configILj256ELj13ELNS0_17block_load_methodE3ELS4_3ELS4_3ELNS0_20block_scan_algorithmE0ELj4294967295EEENS1_25partition_config_selectorILNS1_17partition_subalgoE3EjNS0_10empty_typeEbEEZZNS1_14partition_implILS8_3ELb0ES6_jNS0_17counting_iteratorIjlEEPS9_SE_NS0_5tupleIJPjSE_EEENSF_IJSE_SE_EEES9_SG_JZNS1_25segmented_radix_sort_implINS0_14default_configELb0EPK12hip_bfloat16PSL_PKlPlN2at6native12_GLOBAL__N_18offset_tEEE10hipError_tPvRmT1_PNSt15iterator_traitsISZ_E10value_typeET2_T3_PNS10_IS15_E10value_typeET4_jRbjT5_S1B_jjP12ihipStream_tbEUljE_EEESW_SX_SY_S15_S19_S1B_T6_T7_T9_mT8_S1D_bDpT10_ENKUlT_T0_E_clISt17integral_constantIbLb1EES1Q_EEDaS1L_S1M_EUlS1L_E_NS1_11comp_targetILNS1_3genE9ELNS1_11target_archE1100ELNS1_3gpuE3ELNS1_3repE0EEENS1_30default_config_static_selectorELNS0_4arch9wavefront6targetE0EEEvSZ_
	.p2align	8
	.type	_ZN7rocprim17ROCPRIM_400000_NS6detail17trampoline_kernelINS0_13select_configILj256ELj13ELNS0_17block_load_methodE3ELS4_3ELS4_3ELNS0_20block_scan_algorithmE0ELj4294967295EEENS1_25partition_config_selectorILNS1_17partition_subalgoE3EjNS0_10empty_typeEbEEZZNS1_14partition_implILS8_3ELb0ES6_jNS0_17counting_iteratorIjlEEPS9_SE_NS0_5tupleIJPjSE_EEENSF_IJSE_SE_EEES9_SG_JZNS1_25segmented_radix_sort_implINS0_14default_configELb0EPK12hip_bfloat16PSL_PKlPlN2at6native12_GLOBAL__N_18offset_tEEE10hipError_tPvRmT1_PNSt15iterator_traitsISZ_E10value_typeET2_T3_PNS10_IS15_E10value_typeET4_jRbjT5_S1B_jjP12ihipStream_tbEUljE_EEESW_SX_SY_S15_S19_S1B_T6_T7_T9_mT8_S1D_bDpT10_ENKUlT_T0_E_clISt17integral_constantIbLb1EES1Q_EEDaS1L_S1M_EUlS1L_E_NS1_11comp_targetILNS1_3genE9ELNS1_11target_archE1100ELNS1_3gpuE3ELNS1_3repE0EEENS1_30default_config_static_selectorELNS0_4arch9wavefront6targetE0EEEvSZ_,@function
_ZN7rocprim17ROCPRIM_400000_NS6detail17trampoline_kernelINS0_13select_configILj256ELj13ELNS0_17block_load_methodE3ELS4_3ELS4_3ELNS0_20block_scan_algorithmE0ELj4294967295EEENS1_25partition_config_selectorILNS1_17partition_subalgoE3EjNS0_10empty_typeEbEEZZNS1_14partition_implILS8_3ELb0ES6_jNS0_17counting_iteratorIjlEEPS9_SE_NS0_5tupleIJPjSE_EEENSF_IJSE_SE_EEES9_SG_JZNS1_25segmented_radix_sort_implINS0_14default_configELb0EPK12hip_bfloat16PSL_PKlPlN2at6native12_GLOBAL__N_18offset_tEEE10hipError_tPvRmT1_PNSt15iterator_traitsISZ_E10value_typeET2_T3_PNS10_IS15_E10value_typeET4_jRbjT5_S1B_jjP12ihipStream_tbEUljE_EEESW_SX_SY_S15_S19_S1B_T6_T7_T9_mT8_S1D_bDpT10_ENKUlT_T0_E_clISt17integral_constantIbLb1EES1Q_EEDaS1L_S1M_EUlS1L_E_NS1_11comp_targetILNS1_3genE9ELNS1_11target_archE1100ELNS1_3gpuE3ELNS1_3repE0EEENS1_30default_config_static_selectorELNS0_4arch9wavefront6targetE0EEEvSZ_: ; @_ZN7rocprim17ROCPRIM_400000_NS6detail17trampoline_kernelINS0_13select_configILj256ELj13ELNS0_17block_load_methodE3ELS4_3ELS4_3ELNS0_20block_scan_algorithmE0ELj4294967295EEENS1_25partition_config_selectorILNS1_17partition_subalgoE3EjNS0_10empty_typeEbEEZZNS1_14partition_implILS8_3ELb0ES6_jNS0_17counting_iteratorIjlEEPS9_SE_NS0_5tupleIJPjSE_EEENSF_IJSE_SE_EEES9_SG_JZNS1_25segmented_radix_sort_implINS0_14default_configELb0EPK12hip_bfloat16PSL_PKlPlN2at6native12_GLOBAL__N_18offset_tEEE10hipError_tPvRmT1_PNSt15iterator_traitsISZ_E10value_typeET2_T3_PNS10_IS15_E10value_typeET4_jRbjT5_S1B_jjP12ihipStream_tbEUljE_EEESW_SX_SY_S15_S19_S1B_T6_T7_T9_mT8_S1D_bDpT10_ENKUlT_T0_E_clISt17integral_constantIbLb1EES1Q_EEDaS1L_S1M_EUlS1L_E_NS1_11comp_targetILNS1_3genE9ELNS1_11target_archE1100ELNS1_3gpuE3ELNS1_3repE0EEENS1_30default_config_static_selectorELNS0_4arch9wavefront6targetE0EEEvSZ_
; %bb.0:
	.section	.rodata,"a",@progbits
	.p2align	6, 0x0
	.amdhsa_kernel _ZN7rocprim17ROCPRIM_400000_NS6detail17trampoline_kernelINS0_13select_configILj256ELj13ELNS0_17block_load_methodE3ELS4_3ELS4_3ELNS0_20block_scan_algorithmE0ELj4294967295EEENS1_25partition_config_selectorILNS1_17partition_subalgoE3EjNS0_10empty_typeEbEEZZNS1_14partition_implILS8_3ELb0ES6_jNS0_17counting_iteratorIjlEEPS9_SE_NS0_5tupleIJPjSE_EEENSF_IJSE_SE_EEES9_SG_JZNS1_25segmented_radix_sort_implINS0_14default_configELb0EPK12hip_bfloat16PSL_PKlPlN2at6native12_GLOBAL__N_18offset_tEEE10hipError_tPvRmT1_PNSt15iterator_traitsISZ_E10value_typeET2_T3_PNS10_IS15_E10value_typeET4_jRbjT5_S1B_jjP12ihipStream_tbEUljE_EEESW_SX_SY_S15_S19_S1B_T6_T7_T9_mT8_S1D_bDpT10_ENKUlT_T0_E_clISt17integral_constantIbLb1EES1Q_EEDaS1L_S1M_EUlS1L_E_NS1_11comp_targetILNS1_3genE9ELNS1_11target_archE1100ELNS1_3gpuE3ELNS1_3repE0EEENS1_30default_config_static_selectorELNS0_4arch9wavefront6targetE0EEEvSZ_
		.amdhsa_group_segment_fixed_size 0
		.amdhsa_private_segment_fixed_size 0
		.amdhsa_kernarg_size 152
		.amdhsa_user_sgpr_count 2
		.amdhsa_user_sgpr_dispatch_ptr 0
		.amdhsa_user_sgpr_queue_ptr 0
		.amdhsa_user_sgpr_kernarg_segment_ptr 1
		.amdhsa_user_sgpr_dispatch_id 0
		.amdhsa_user_sgpr_private_segment_size 0
		.amdhsa_wavefront_size32 1
		.amdhsa_uses_dynamic_stack 0
		.amdhsa_enable_private_segment 0
		.amdhsa_system_sgpr_workgroup_id_x 1
		.amdhsa_system_sgpr_workgroup_id_y 0
		.amdhsa_system_sgpr_workgroup_id_z 0
		.amdhsa_system_sgpr_workgroup_info 0
		.amdhsa_system_vgpr_workitem_id 0
		.amdhsa_next_free_vgpr 1
		.amdhsa_next_free_sgpr 1
		.amdhsa_reserve_vcc 0
		.amdhsa_float_round_mode_32 0
		.amdhsa_float_round_mode_16_64 0
		.amdhsa_float_denorm_mode_32 3
		.amdhsa_float_denorm_mode_16_64 3
		.amdhsa_fp16_overflow 0
		.amdhsa_workgroup_processor_mode 1
		.amdhsa_memory_ordered 1
		.amdhsa_forward_progress 1
		.amdhsa_inst_pref_size 0
		.amdhsa_round_robin_scheduling 0
		.amdhsa_exception_fp_ieee_invalid_op 0
		.amdhsa_exception_fp_denorm_src 0
		.amdhsa_exception_fp_ieee_div_zero 0
		.amdhsa_exception_fp_ieee_overflow 0
		.amdhsa_exception_fp_ieee_underflow 0
		.amdhsa_exception_fp_ieee_inexact 0
		.amdhsa_exception_int_div_zero 0
	.end_amdhsa_kernel
	.section	.text._ZN7rocprim17ROCPRIM_400000_NS6detail17trampoline_kernelINS0_13select_configILj256ELj13ELNS0_17block_load_methodE3ELS4_3ELS4_3ELNS0_20block_scan_algorithmE0ELj4294967295EEENS1_25partition_config_selectorILNS1_17partition_subalgoE3EjNS0_10empty_typeEbEEZZNS1_14partition_implILS8_3ELb0ES6_jNS0_17counting_iteratorIjlEEPS9_SE_NS0_5tupleIJPjSE_EEENSF_IJSE_SE_EEES9_SG_JZNS1_25segmented_radix_sort_implINS0_14default_configELb0EPK12hip_bfloat16PSL_PKlPlN2at6native12_GLOBAL__N_18offset_tEEE10hipError_tPvRmT1_PNSt15iterator_traitsISZ_E10value_typeET2_T3_PNS10_IS15_E10value_typeET4_jRbjT5_S1B_jjP12ihipStream_tbEUljE_EEESW_SX_SY_S15_S19_S1B_T6_T7_T9_mT8_S1D_bDpT10_ENKUlT_T0_E_clISt17integral_constantIbLb1EES1Q_EEDaS1L_S1M_EUlS1L_E_NS1_11comp_targetILNS1_3genE9ELNS1_11target_archE1100ELNS1_3gpuE3ELNS1_3repE0EEENS1_30default_config_static_selectorELNS0_4arch9wavefront6targetE0EEEvSZ_,"axG",@progbits,_ZN7rocprim17ROCPRIM_400000_NS6detail17trampoline_kernelINS0_13select_configILj256ELj13ELNS0_17block_load_methodE3ELS4_3ELS4_3ELNS0_20block_scan_algorithmE0ELj4294967295EEENS1_25partition_config_selectorILNS1_17partition_subalgoE3EjNS0_10empty_typeEbEEZZNS1_14partition_implILS8_3ELb0ES6_jNS0_17counting_iteratorIjlEEPS9_SE_NS0_5tupleIJPjSE_EEENSF_IJSE_SE_EEES9_SG_JZNS1_25segmented_radix_sort_implINS0_14default_configELb0EPK12hip_bfloat16PSL_PKlPlN2at6native12_GLOBAL__N_18offset_tEEE10hipError_tPvRmT1_PNSt15iterator_traitsISZ_E10value_typeET2_T3_PNS10_IS15_E10value_typeET4_jRbjT5_S1B_jjP12ihipStream_tbEUljE_EEESW_SX_SY_S15_S19_S1B_T6_T7_T9_mT8_S1D_bDpT10_ENKUlT_T0_E_clISt17integral_constantIbLb1EES1Q_EEDaS1L_S1M_EUlS1L_E_NS1_11comp_targetILNS1_3genE9ELNS1_11target_archE1100ELNS1_3gpuE3ELNS1_3repE0EEENS1_30default_config_static_selectorELNS0_4arch9wavefront6targetE0EEEvSZ_,comdat
.Lfunc_end2031:
	.size	_ZN7rocprim17ROCPRIM_400000_NS6detail17trampoline_kernelINS0_13select_configILj256ELj13ELNS0_17block_load_methodE3ELS4_3ELS4_3ELNS0_20block_scan_algorithmE0ELj4294967295EEENS1_25partition_config_selectorILNS1_17partition_subalgoE3EjNS0_10empty_typeEbEEZZNS1_14partition_implILS8_3ELb0ES6_jNS0_17counting_iteratorIjlEEPS9_SE_NS0_5tupleIJPjSE_EEENSF_IJSE_SE_EEES9_SG_JZNS1_25segmented_radix_sort_implINS0_14default_configELb0EPK12hip_bfloat16PSL_PKlPlN2at6native12_GLOBAL__N_18offset_tEEE10hipError_tPvRmT1_PNSt15iterator_traitsISZ_E10value_typeET2_T3_PNS10_IS15_E10value_typeET4_jRbjT5_S1B_jjP12ihipStream_tbEUljE_EEESW_SX_SY_S15_S19_S1B_T6_T7_T9_mT8_S1D_bDpT10_ENKUlT_T0_E_clISt17integral_constantIbLb1EES1Q_EEDaS1L_S1M_EUlS1L_E_NS1_11comp_targetILNS1_3genE9ELNS1_11target_archE1100ELNS1_3gpuE3ELNS1_3repE0EEENS1_30default_config_static_selectorELNS0_4arch9wavefront6targetE0EEEvSZ_, .Lfunc_end2031-_ZN7rocprim17ROCPRIM_400000_NS6detail17trampoline_kernelINS0_13select_configILj256ELj13ELNS0_17block_load_methodE3ELS4_3ELS4_3ELNS0_20block_scan_algorithmE0ELj4294967295EEENS1_25partition_config_selectorILNS1_17partition_subalgoE3EjNS0_10empty_typeEbEEZZNS1_14partition_implILS8_3ELb0ES6_jNS0_17counting_iteratorIjlEEPS9_SE_NS0_5tupleIJPjSE_EEENSF_IJSE_SE_EEES9_SG_JZNS1_25segmented_radix_sort_implINS0_14default_configELb0EPK12hip_bfloat16PSL_PKlPlN2at6native12_GLOBAL__N_18offset_tEEE10hipError_tPvRmT1_PNSt15iterator_traitsISZ_E10value_typeET2_T3_PNS10_IS15_E10value_typeET4_jRbjT5_S1B_jjP12ihipStream_tbEUljE_EEESW_SX_SY_S15_S19_S1B_T6_T7_T9_mT8_S1D_bDpT10_ENKUlT_T0_E_clISt17integral_constantIbLb1EES1Q_EEDaS1L_S1M_EUlS1L_E_NS1_11comp_targetILNS1_3genE9ELNS1_11target_archE1100ELNS1_3gpuE3ELNS1_3repE0EEENS1_30default_config_static_selectorELNS0_4arch9wavefront6targetE0EEEvSZ_
                                        ; -- End function
	.set _ZN7rocprim17ROCPRIM_400000_NS6detail17trampoline_kernelINS0_13select_configILj256ELj13ELNS0_17block_load_methodE3ELS4_3ELS4_3ELNS0_20block_scan_algorithmE0ELj4294967295EEENS1_25partition_config_selectorILNS1_17partition_subalgoE3EjNS0_10empty_typeEbEEZZNS1_14partition_implILS8_3ELb0ES6_jNS0_17counting_iteratorIjlEEPS9_SE_NS0_5tupleIJPjSE_EEENSF_IJSE_SE_EEES9_SG_JZNS1_25segmented_radix_sort_implINS0_14default_configELb0EPK12hip_bfloat16PSL_PKlPlN2at6native12_GLOBAL__N_18offset_tEEE10hipError_tPvRmT1_PNSt15iterator_traitsISZ_E10value_typeET2_T3_PNS10_IS15_E10value_typeET4_jRbjT5_S1B_jjP12ihipStream_tbEUljE_EEESW_SX_SY_S15_S19_S1B_T6_T7_T9_mT8_S1D_bDpT10_ENKUlT_T0_E_clISt17integral_constantIbLb1EES1Q_EEDaS1L_S1M_EUlS1L_E_NS1_11comp_targetILNS1_3genE9ELNS1_11target_archE1100ELNS1_3gpuE3ELNS1_3repE0EEENS1_30default_config_static_selectorELNS0_4arch9wavefront6targetE0EEEvSZ_.num_vgpr, 0
	.set _ZN7rocprim17ROCPRIM_400000_NS6detail17trampoline_kernelINS0_13select_configILj256ELj13ELNS0_17block_load_methodE3ELS4_3ELS4_3ELNS0_20block_scan_algorithmE0ELj4294967295EEENS1_25partition_config_selectorILNS1_17partition_subalgoE3EjNS0_10empty_typeEbEEZZNS1_14partition_implILS8_3ELb0ES6_jNS0_17counting_iteratorIjlEEPS9_SE_NS0_5tupleIJPjSE_EEENSF_IJSE_SE_EEES9_SG_JZNS1_25segmented_radix_sort_implINS0_14default_configELb0EPK12hip_bfloat16PSL_PKlPlN2at6native12_GLOBAL__N_18offset_tEEE10hipError_tPvRmT1_PNSt15iterator_traitsISZ_E10value_typeET2_T3_PNS10_IS15_E10value_typeET4_jRbjT5_S1B_jjP12ihipStream_tbEUljE_EEESW_SX_SY_S15_S19_S1B_T6_T7_T9_mT8_S1D_bDpT10_ENKUlT_T0_E_clISt17integral_constantIbLb1EES1Q_EEDaS1L_S1M_EUlS1L_E_NS1_11comp_targetILNS1_3genE9ELNS1_11target_archE1100ELNS1_3gpuE3ELNS1_3repE0EEENS1_30default_config_static_selectorELNS0_4arch9wavefront6targetE0EEEvSZ_.num_agpr, 0
	.set _ZN7rocprim17ROCPRIM_400000_NS6detail17trampoline_kernelINS0_13select_configILj256ELj13ELNS0_17block_load_methodE3ELS4_3ELS4_3ELNS0_20block_scan_algorithmE0ELj4294967295EEENS1_25partition_config_selectorILNS1_17partition_subalgoE3EjNS0_10empty_typeEbEEZZNS1_14partition_implILS8_3ELb0ES6_jNS0_17counting_iteratorIjlEEPS9_SE_NS0_5tupleIJPjSE_EEENSF_IJSE_SE_EEES9_SG_JZNS1_25segmented_radix_sort_implINS0_14default_configELb0EPK12hip_bfloat16PSL_PKlPlN2at6native12_GLOBAL__N_18offset_tEEE10hipError_tPvRmT1_PNSt15iterator_traitsISZ_E10value_typeET2_T3_PNS10_IS15_E10value_typeET4_jRbjT5_S1B_jjP12ihipStream_tbEUljE_EEESW_SX_SY_S15_S19_S1B_T6_T7_T9_mT8_S1D_bDpT10_ENKUlT_T0_E_clISt17integral_constantIbLb1EES1Q_EEDaS1L_S1M_EUlS1L_E_NS1_11comp_targetILNS1_3genE9ELNS1_11target_archE1100ELNS1_3gpuE3ELNS1_3repE0EEENS1_30default_config_static_selectorELNS0_4arch9wavefront6targetE0EEEvSZ_.numbered_sgpr, 0
	.set _ZN7rocprim17ROCPRIM_400000_NS6detail17trampoline_kernelINS0_13select_configILj256ELj13ELNS0_17block_load_methodE3ELS4_3ELS4_3ELNS0_20block_scan_algorithmE0ELj4294967295EEENS1_25partition_config_selectorILNS1_17partition_subalgoE3EjNS0_10empty_typeEbEEZZNS1_14partition_implILS8_3ELb0ES6_jNS0_17counting_iteratorIjlEEPS9_SE_NS0_5tupleIJPjSE_EEENSF_IJSE_SE_EEES9_SG_JZNS1_25segmented_radix_sort_implINS0_14default_configELb0EPK12hip_bfloat16PSL_PKlPlN2at6native12_GLOBAL__N_18offset_tEEE10hipError_tPvRmT1_PNSt15iterator_traitsISZ_E10value_typeET2_T3_PNS10_IS15_E10value_typeET4_jRbjT5_S1B_jjP12ihipStream_tbEUljE_EEESW_SX_SY_S15_S19_S1B_T6_T7_T9_mT8_S1D_bDpT10_ENKUlT_T0_E_clISt17integral_constantIbLb1EES1Q_EEDaS1L_S1M_EUlS1L_E_NS1_11comp_targetILNS1_3genE9ELNS1_11target_archE1100ELNS1_3gpuE3ELNS1_3repE0EEENS1_30default_config_static_selectorELNS0_4arch9wavefront6targetE0EEEvSZ_.num_named_barrier, 0
	.set _ZN7rocprim17ROCPRIM_400000_NS6detail17trampoline_kernelINS0_13select_configILj256ELj13ELNS0_17block_load_methodE3ELS4_3ELS4_3ELNS0_20block_scan_algorithmE0ELj4294967295EEENS1_25partition_config_selectorILNS1_17partition_subalgoE3EjNS0_10empty_typeEbEEZZNS1_14partition_implILS8_3ELb0ES6_jNS0_17counting_iteratorIjlEEPS9_SE_NS0_5tupleIJPjSE_EEENSF_IJSE_SE_EEES9_SG_JZNS1_25segmented_radix_sort_implINS0_14default_configELb0EPK12hip_bfloat16PSL_PKlPlN2at6native12_GLOBAL__N_18offset_tEEE10hipError_tPvRmT1_PNSt15iterator_traitsISZ_E10value_typeET2_T3_PNS10_IS15_E10value_typeET4_jRbjT5_S1B_jjP12ihipStream_tbEUljE_EEESW_SX_SY_S15_S19_S1B_T6_T7_T9_mT8_S1D_bDpT10_ENKUlT_T0_E_clISt17integral_constantIbLb1EES1Q_EEDaS1L_S1M_EUlS1L_E_NS1_11comp_targetILNS1_3genE9ELNS1_11target_archE1100ELNS1_3gpuE3ELNS1_3repE0EEENS1_30default_config_static_selectorELNS0_4arch9wavefront6targetE0EEEvSZ_.private_seg_size, 0
	.set _ZN7rocprim17ROCPRIM_400000_NS6detail17trampoline_kernelINS0_13select_configILj256ELj13ELNS0_17block_load_methodE3ELS4_3ELS4_3ELNS0_20block_scan_algorithmE0ELj4294967295EEENS1_25partition_config_selectorILNS1_17partition_subalgoE3EjNS0_10empty_typeEbEEZZNS1_14partition_implILS8_3ELb0ES6_jNS0_17counting_iteratorIjlEEPS9_SE_NS0_5tupleIJPjSE_EEENSF_IJSE_SE_EEES9_SG_JZNS1_25segmented_radix_sort_implINS0_14default_configELb0EPK12hip_bfloat16PSL_PKlPlN2at6native12_GLOBAL__N_18offset_tEEE10hipError_tPvRmT1_PNSt15iterator_traitsISZ_E10value_typeET2_T3_PNS10_IS15_E10value_typeET4_jRbjT5_S1B_jjP12ihipStream_tbEUljE_EEESW_SX_SY_S15_S19_S1B_T6_T7_T9_mT8_S1D_bDpT10_ENKUlT_T0_E_clISt17integral_constantIbLb1EES1Q_EEDaS1L_S1M_EUlS1L_E_NS1_11comp_targetILNS1_3genE9ELNS1_11target_archE1100ELNS1_3gpuE3ELNS1_3repE0EEENS1_30default_config_static_selectorELNS0_4arch9wavefront6targetE0EEEvSZ_.uses_vcc, 0
	.set _ZN7rocprim17ROCPRIM_400000_NS6detail17trampoline_kernelINS0_13select_configILj256ELj13ELNS0_17block_load_methodE3ELS4_3ELS4_3ELNS0_20block_scan_algorithmE0ELj4294967295EEENS1_25partition_config_selectorILNS1_17partition_subalgoE3EjNS0_10empty_typeEbEEZZNS1_14partition_implILS8_3ELb0ES6_jNS0_17counting_iteratorIjlEEPS9_SE_NS0_5tupleIJPjSE_EEENSF_IJSE_SE_EEES9_SG_JZNS1_25segmented_radix_sort_implINS0_14default_configELb0EPK12hip_bfloat16PSL_PKlPlN2at6native12_GLOBAL__N_18offset_tEEE10hipError_tPvRmT1_PNSt15iterator_traitsISZ_E10value_typeET2_T3_PNS10_IS15_E10value_typeET4_jRbjT5_S1B_jjP12ihipStream_tbEUljE_EEESW_SX_SY_S15_S19_S1B_T6_T7_T9_mT8_S1D_bDpT10_ENKUlT_T0_E_clISt17integral_constantIbLb1EES1Q_EEDaS1L_S1M_EUlS1L_E_NS1_11comp_targetILNS1_3genE9ELNS1_11target_archE1100ELNS1_3gpuE3ELNS1_3repE0EEENS1_30default_config_static_selectorELNS0_4arch9wavefront6targetE0EEEvSZ_.uses_flat_scratch, 0
	.set _ZN7rocprim17ROCPRIM_400000_NS6detail17trampoline_kernelINS0_13select_configILj256ELj13ELNS0_17block_load_methodE3ELS4_3ELS4_3ELNS0_20block_scan_algorithmE0ELj4294967295EEENS1_25partition_config_selectorILNS1_17partition_subalgoE3EjNS0_10empty_typeEbEEZZNS1_14partition_implILS8_3ELb0ES6_jNS0_17counting_iteratorIjlEEPS9_SE_NS0_5tupleIJPjSE_EEENSF_IJSE_SE_EEES9_SG_JZNS1_25segmented_radix_sort_implINS0_14default_configELb0EPK12hip_bfloat16PSL_PKlPlN2at6native12_GLOBAL__N_18offset_tEEE10hipError_tPvRmT1_PNSt15iterator_traitsISZ_E10value_typeET2_T3_PNS10_IS15_E10value_typeET4_jRbjT5_S1B_jjP12ihipStream_tbEUljE_EEESW_SX_SY_S15_S19_S1B_T6_T7_T9_mT8_S1D_bDpT10_ENKUlT_T0_E_clISt17integral_constantIbLb1EES1Q_EEDaS1L_S1M_EUlS1L_E_NS1_11comp_targetILNS1_3genE9ELNS1_11target_archE1100ELNS1_3gpuE3ELNS1_3repE0EEENS1_30default_config_static_selectorELNS0_4arch9wavefront6targetE0EEEvSZ_.has_dyn_sized_stack, 0
	.set _ZN7rocprim17ROCPRIM_400000_NS6detail17trampoline_kernelINS0_13select_configILj256ELj13ELNS0_17block_load_methodE3ELS4_3ELS4_3ELNS0_20block_scan_algorithmE0ELj4294967295EEENS1_25partition_config_selectorILNS1_17partition_subalgoE3EjNS0_10empty_typeEbEEZZNS1_14partition_implILS8_3ELb0ES6_jNS0_17counting_iteratorIjlEEPS9_SE_NS0_5tupleIJPjSE_EEENSF_IJSE_SE_EEES9_SG_JZNS1_25segmented_radix_sort_implINS0_14default_configELb0EPK12hip_bfloat16PSL_PKlPlN2at6native12_GLOBAL__N_18offset_tEEE10hipError_tPvRmT1_PNSt15iterator_traitsISZ_E10value_typeET2_T3_PNS10_IS15_E10value_typeET4_jRbjT5_S1B_jjP12ihipStream_tbEUljE_EEESW_SX_SY_S15_S19_S1B_T6_T7_T9_mT8_S1D_bDpT10_ENKUlT_T0_E_clISt17integral_constantIbLb1EES1Q_EEDaS1L_S1M_EUlS1L_E_NS1_11comp_targetILNS1_3genE9ELNS1_11target_archE1100ELNS1_3gpuE3ELNS1_3repE0EEENS1_30default_config_static_selectorELNS0_4arch9wavefront6targetE0EEEvSZ_.has_recursion, 0
	.set _ZN7rocprim17ROCPRIM_400000_NS6detail17trampoline_kernelINS0_13select_configILj256ELj13ELNS0_17block_load_methodE3ELS4_3ELS4_3ELNS0_20block_scan_algorithmE0ELj4294967295EEENS1_25partition_config_selectorILNS1_17partition_subalgoE3EjNS0_10empty_typeEbEEZZNS1_14partition_implILS8_3ELb0ES6_jNS0_17counting_iteratorIjlEEPS9_SE_NS0_5tupleIJPjSE_EEENSF_IJSE_SE_EEES9_SG_JZNS1_25segmented_radix_sort_implINS0_14default_configELb0EPK12hip_bfloat16PSL_PKlPlN2at6native12_GLOBAL__N_18offset_tEEE10hipError_tPvRmT1_PNSt15iterator_traitsISZ_E10value_typeET2_T3_PNS10_IS15_E10value_typeET4_jRbjT5_S1B_jjP12ihipStream_tbEUljE_EEESW_SX_SY_S15_S19_S1B_T6_T7_T9_mT8_S1D_bDpT10_ENKUlT_T0_E_clISt17integral_constantIbLb1EES1Q_EEDaS1L_S1M_EUlS1L_E_NS1_11comp_targetILNS1_3genE9ELNS1_11target_archE1100ELNS1_3gpuE3ELNS1_3repE0EEENS1_30default_config_static_selectorELNS0_4arch9wavefront6targetE0EEEvSZ_.has_indirect_call, 0
	.section	.AMDGPU.csdata,"",@progbits
; Kernel info:
; codeLenInByte = 0
; TotalNumSgprs: 0
; NumVgprs: 0
; ScratchSize: 0
; MemoryBound: 0
; FloatMode: 240
; IeeeMode: 1
; LDSByteSize: 0 bytes/workgroup (compile time only)
; SGPRBlocks: 0
; VGPRBlocks: 0
; NumSGPRsForWavesPerEU: 1
; NumVGPRsForWavesPerEU: 1
; Occupancy: 16
; WaveLimiterHint : 0
; COMPUTE_PGM_RSRC2:SCRATCH_EN: 0
; COMPUTE_PGM_RSRC2:USER_SGPR: 2
; COMPUTE_PGM_RSRC2:TRAP_HANDLER: 0
; COMPUTE_PGM_RSRC2:TGID_X_EN: 1
; COMPUTE_PGM_RSRC2:TGID_Y_EN: 0
; COMPUTE_PGM_RSRC2:TGID_Z_EN: 0
; COMPUTE_PGM_RSRC2:TIDIG_COMP_CNT: 0
	.section	.text._ZN7rocprim17ROCPRIM_400000_NS6detail17trampoline_kernelINS0_13select_configILj256ELj13ELNS0_17block_load_methodE3ELS4_3ELS4_3ELNS0_20block_scan_algorithmE0ELj4294967295EEENS1_25partition_config_selectorILNS1_17partition_subalgoE3EjNS0_10empty_typeEbEEZZNS1_14partition_implILS8_3ELb0ES6_jNS0_17counting_iteratorIjlEEPS9_SE_NS0_5tupleIJPjSE_EEENSF_IJSE_SE_EEES9_SG_JZNS1_25segmented_radix_sort_implINS0_14default_configELb0EPK12hip_bfloat16PSL_PKlPlN2at6native12_GLOBAL__N_18offset_tEEE10hipError_tPvRmT1_PNSt15iterator_traitsISZ_E10value_typeET2_T3_PNS10_IS15_E10value_typeET4_jRbjT5_S1B_jjP12ihipStream_tbEUljE_EEESW_SX_SY_S15_S19_S1B_T6_T7_T9_mT8_S1D_bDpT10_ENKUlT_T0_E_clISt17integral_constantIbLb1EES1Q_EEDaS1L_S1M_EUlS1L_E_NS1_11comp_targetILNS1_3genE8ELNS1_11target_archE1030ELNS1_3gpuE2ELNS1_3repE0EEENS1_30default_config_static_selectorELNS0_4arch9wavefront6targetE0EEEvSZ_,"axG",@progbits,_ZN7rocprim17ROCPRIM_400000_NS6detail17trampoline_kernelINS0_13select_configILj256ELj13ELNS0_17block_load_methodE3ELS4_3ELS4_3ELNS0_20block_scan_algorithmE0ELj4294967295EEENS1_25partition_config_selectorILNS1_17partition_subalgoE3EjNS0_10empty_typeEbEEZZNS1_14partition_implILS8_3ELb0ES6_jNS0_17counting_iteratorIjlEEPS9_SE_NS0_5tupleIJPjSE_EEENSF_IJSE_SE_EEES9_SG_JZNS1_25segmented_radix_sort_implINS0_14default_configELb0EPK12hip_bfloat16PSL_PKlPlN2at6native12_GLOBAL__N_18offset_tEEE10hipError_tPvRmT1_PNSt15iterator_traitsISZ_E10value_typeET2_T3_PNS10_IS15_E10value_typeET4_jRbjT5_S1B_jjP12ihipStream_tbEUljE_EEESW_SX_SY_S15_S19_S1B_T6_T7_T9_mT8_S1D_bDpT10_ENKUlT_T0_E_clISt17integral_constantIbLb1EES1Q_EEDaS1L_S1M_EUlS1L_E_NS1_11comp_targetILNS1_3genE8ELNS1_11target_archE1030ELNS1_3gpuE2ELNS1_3repE0EEENS1_30default_config_static_selectorELNS0_4arch9wavefront6targetE0EEEvSZ_,comdat
	.globl	_ZN7rocprim17ROCPRIM_400000_NS6detail17trampoline_kernelINS0_13select_configILj256ELj13ELNS0_17block_load_methodE3ELS4_3ELS4_3ELNS0_20block_scan_algorithmE0ELj4294967295EEENS1_25partition_config_selectorILNS1_17partition_subalgoE3EjNS0_10empty_typeEbEEZZNS1_14partition_implILS8_3ELb0ES6_jNS0_17counting_iteratorIjlEEPS9_SE_NS0_5tupleIJPjSE_EEENSF_IJSE_SE_EEES9_SG_JZNS1_25segmented_radix_sort_implINS0_14default_configELb0EPK12hip_bfloat16PSL_PKlPlN2at6native12_GLOBAL__N_18offset_tEEE10hipError_tPvRmT1_PNSt15iterator_traitsISZ_E10value_typeET2_T3_PNS10_IS15_E10value_typeET4_jRbjT5_S1B_jjP12ihipStream_tbEUljE_EEESW_SX_SY_S15_S19_S1B_T6_T7_T9_mT8_S1D_bDpT10_ENKUlT_T0_E_clISt17integral_constantIbLb1EES1Q_EEDaS1L_S1M_EUlS1L_E_NS1_11comp_targetILNS1_3genE8ELNS1_11target_archE1030ELNS1_3gpuE2ELNS1_3repE0EEENS1_30default_config_static_selectorELNS0_4arch9wavefront6targetE0EEEvSZ_ ; -- Begin function _ZN7rocprim17ROCPRIM_400000_NS6detail17trampoline_kernelINS0_13select_configILj256ELj13ELNS0_17block_load_methodE3ELS4_3ELS4_3ELNS0_20block_scan_algorithmE0ELj4294967295EEENS1_25partition_config_selectorILNS1_17partition_subalgoE3EjNS0_10empty_typeEbEEZZNS1_14partition_implILS8_3ELb0ES6_jNS0_17counting_iteratorIjlEEPS9_SE_NS0_5tupleIJPjSE_EEENSF_IJSE_SE_EEES9_SG_JZNS1_25segmented_radix_sort_implINS0_14default_configELb0EPK12hip_bfloat16PSL_PKlPlN2at6native12_GLOBAL__N_18offset_tEEE10hipError_tPvRmT1_PNSt15iterator_traitsISZ_E10value_typeET2_T3_PNS10_IS15_E10value_typeET4_jRbjT5_S1B_jjP12ihipStream_tbEUljE_EEESW_SX_SY_S15_S19_S1B_T6_T7_T9_mT8_S1D_bDpT10_ENKUlT_T0_E_clISt17integral_constantIbLb1EES1Q_EEDaS1L_S1M_EUlS1L_E_NS1_11comp_targetILNS1_3genE8ELNS1_11target_archE1030ELNS1_3gpuE2ELNS1_3repE0EEENS1_30default_config_static_selectorELNS0_4arch9wavefront6targetE0EEEvSZ_
	.p2align	8
	.type	_ZN7rocprim17ROCPRIM_400000_NS6detail17trampoline_kernelINS0_13select_configILj256ELj13ELNS0_17block_load_methodE3ELS4_3ELS4_3ELNS0_20block_scan_algorithmE0ELj4294967295EEENS1_25partition_config_selectorILNS1_17partition_subalgoE3EjNS0_10empty_typeEbEEZZNS1_14partition_implILS8_3ELb0ES6_jNS0_17counting_iteratorIjlEEPS9_SE_NS0_5tupleIJPjSE_EEENSF_IJSE_SE_EEES9_SG_JZNS1_25segmented_radix_sort_implINS0_14default_configELb0EPK12hip_bfloat16PSL_PKlPlN2at6native12_GLOBAL__N_18offset_tEEE10hipError_tPvRmT1_PNSt15iterator_traitsISZ_E10value_typeET2_T3_PNS10_IS15_E10value_typeET4_jRbjT5_S1B_jjP12ihipStream_tbEUljE_EEESW_SX_SY_S15_S19_S1B_T6_T7_T9_mT8_S1D_bDpT10_ENKUlT_T0_E_clISt17integral_constantIbLb1EES1Q_EEDaS1L_S1M_EUlS1L_E_NS1_11comp_targetILNS1_3genE8ELNS1_11target_archE1030ELNS1_3gpuE2ELNS1_3repE0EEENS1_30default_config_static_selectorELNS0_4arch9wavefront6targetE0EEEvSZ_,@function
_ZN7rocprim17ROCPRIM_400000_NS6detail17trampoline_kernelINS0_13select_configILj256ELj13ELNS0_17block_load_methodE3ELS4_3ELS4_3ELNS0_20block_scan_algorithmE0ELj4294967295EEENS1_25partition_config_selectorILNS1_17partition_subalgoE3EjNS0_10empty_typeEbEEZZNS1_14partition_implILS8_3ELb0ES6_jNS0_17counting_iteratorIjlEEPS9_SE_NS0_5tupleIJPjSE_EEENSF_IJSE_SE_EEES9_SG_JZNS1_25segmented_radix_sort_implINS0_14default_configELb0EPK12hip_bfloat16PSL_PKlPlN2at6native12_GLOBAL__N_18offset_tEEE10hipError_tPvRmT1_PNSt15iterator_traitsISZ_E10value_typeET2_T3_PNS10_IS15_E10value_typeET4_jRbjT5_S1B_jjP12ihipStream_tbEUljE_EEESW_SX_SY_S15_S19_S1B_T6_T7_T9_mT8_S1D_bDpT10_ENKUlT_T0_E_clISt17integral_constantIbLb1EES1Q_EEDaS1L_S1M_EUlS1L_E_NS1_11comp_targetILNS1_3genE8ELNS1_11target_archE1030ELNS1_3gpuE2ELNS1_3repE0EEENS1_30default_config_static_selectorELNS0_4arch9wavefront6targetE0EEEvSZ_: ; @_ZN7rocprim17ROCPRIM_400000_NS6detail17trampoline_kernelINS0_13select_configILj256ELj13ELNS0_17block_load_methodE3ELS4_3ELS4_3ELNS0_20block_scan_algorithmE0ELj4294967295EEENS1_25partition_config_selectorILNS1_17partition_subalgoE3EjNS0_10empty_typeEbEEZZNS1_14partition_implILS8_3ELb0ES6_jNS0_17counting_iteratorIjlEEPS9_SE_NS0_5tupleIJPjSE_EEENSF_IJSE_SE_EEES9_SG_JZNS1_25segmented_radix_sort_implINS0_14default_configELb0EPK12hip_bfloat16PSL_PKlPlN2at6native12_GLOBAL__N_18offset_tEEE10hipError_tPvRmT1_PNSt15iterator_traitsISZ_E10value_typeET2_T3_PNS10_IS15_E10value_typeET4_jRbjT5_S1B_jjP12ihipStream_tbEUljE_EEESW_SX_SY_S15_S19_S1B_T6_T7_T9_mT8_S1D_bDpT10_ENKUlT_T0_E_clISt17integral_constantIbLb1EES1Q_EEDaS1L_S1M_EUlS1L_E_NS1_11comp_targetILNS1_3genE8ELNS1_11target_archE1030ELNS1_3gpuE2ELNS1_3repE0EEENS1_30default_config_static_selectorELNS0_4arch9wavefront6targetE0EEEvSZ_
; %bb.0:
	.section	.rodata,"a",@progbits
	.p2align	6, 0x0
	.amdhsa_kernel _ZN7rocprim17ROCPRIM_400000_NS6detail17trampoline_kernelINS0_13select_configILj256ELj13ELNS0_17block_load_methodE3ELS4_3ELS4_3ELNS0_20block_scan_algorithmE0ELj4294967295EEENS1_25partition_config_selectorILNS1_17partition_subalgoE3EjNS0_10empty_typeEbEEZZNS1_14partition_implILS8_3ELb0ES6_jNS0_17counting_iteratorIjlEEPS9_SE_NS0_5tupleIJPjSE_EEENSF_IJSE_SE_EEES9_SG_JZNS1_25segmented_radix_sort_implINS0_14default_configELb0EPK12hip_bfloat16PSL_PKlPlN2at6native12_GLOBAL__N_18offset_tEEE10hipError_tPvRmT1_PNSt15iterator_traitsISZ_E10value_typeET2_T3_PNS10_IS15_E10value_typeET4_jRbjT5_S1B_jjP12ihipStream_tbEUljE_EEESW_SX_SY_S15_S19_S1B_T6_T7_T9_mT8_S1D_bDpT10_ENKUlT_T0_E_clISt17integral_constantIbLb1EES1Q_EEDaS1L_S1M_EUlS1L_E_NS1_11comp_targetILNS1_3genE8ELNS1_11target_archE1030ELNS1_3gpuE2ELNS1_3repE0EEENS1_30default_config_static_selectorELNS0_4arch9wavefront6targetE0EEEvSZ_
		.amdhsa_group_segment_fixed_size 0
		.amdhsa_private_segment_fixed_size 0
		.amdhsa_kernarg_size 152
		.amdhsa_user_sgpr_count 2
		.amdhsa_user_sgpr_dispatch_ptr 0
		.amdhsa_user_sgpr_queue_ptr 0
		.amdhsa_user_sgpr_kernarg_segment_ptr 1
		.amdhsa_user_sgpr_dispatch_id 0
		.amdhsa_user_sgpr_private_segment_size 0
		.amdhsa_wavefront_size32 1
		.amdhsa_uses_dynamic_stack 0
		.amdhsa_enable_private_segment 0
		.amdhsa_system_sgpr_workgroup_id_x 1
		.amdhsa_system_sgpr_workgroup_id_y 0
		.amdhsa_system_sgpr_workgroup_id_z 0
		.amdhsa_system_sgpr_workgroup_info 0
		.amdhsa_system_vgpr_workitem_id 0
		.amdhsa_next_free_vgpr 1
		.amdhsa_next_free_sgpr 1
		.amdhsa_reserve_vcc 0
		.amdhsa_float_round_mode_32 0
		.amdhsa_float_round_mode_16_64 0
		.amdhsa_float_denorm_mode_32 3
		.amdhsa_float_denorm_mode_16_64 3
		.amdhsa_fp16_overflow 0
		.amdhsa_workgroup_processor_mode 1
		.amdhsa_memory_ordered 1
		.amdhsa_forward_progress 1
		.amdhsa_inst_pref_size 0
		.amdhsa_round_robin_scheduling 0
		.amdhsa_exception_fp_ieee_invalid_op 0
		.amdhsa_exception_fp_denorm_src 0
		.amdhsa_exception_fp_ieee_div_zero 0
		.amdhsa_exception_fp_ieee_overflow 0
		.amdhsa_exception_fp_ieee_underflow 0
		.amdhsa_exception_fp_ieee_inexact 0
		.amdhsa_exception_int_div_zero 0
	.end_amdhsa_kernel
	.section	.text._ZN7rocprim17ROCPRIM_400000_NS6detail17trampoline_kernelINS0_13select_configILj256ELj13ELNS0_17block_load_methodE3ELS4_3ELS4_3ELNS0_20block_scan_algorithmE0ELj4294967295EEENS1_25partition_config_selectorILNS1_17partition_subalgoE3EjNS0_10empty_typeEbEEZZNS1_14partition_implILS8_3ELb0ES6_jNS0_17counting_iteratorIjlEEPS9_SE_NS0_5tupleIJPjSE_EEENSF_IJSE_SE_EEES9_SG_JZNS1_25segmented_radix_sort_implINS0_14default_configELb0EPK12hip_bfloat16PSL_PKlPlN2at6native12_GLOBAL__N_18offset_tEEE10hipError_tPvRmT1_PNSt15iterator_traitsISZ_E10value_typeET2_T3_PNS10_IS15_E10value_typeET4_jRbjT5_S1B_jjP12ihipStream_tbEUljE_EEESW_SX_SY_S15_S19_S1B_T6_T7_T9_mT8_S1D_bDpT10_ENKUlT_T0_E_clISt17integral_constantIbLb1EES1Q_EEDaS1L_S1M_EUlS1L_E_NS1_11comp_targetILNS1_3genE8ELNS1_11target_archE1030ELNS1_3gpuE2ELNS1_3repE0EEENS1_30default_config_static_selectorELNS0_4arch9wavefront6targetE0EEEvSZ_,"axG",@progbits,_ZN7rocprim17ROCPRIM_400000_NS6detail17trampoline_kernelINS0_13select_configILj256ELj13ELNS0_17block_load_methodE3ELS4_3ELS4_3ELNS0_20block_scan_algorithmE0ELj4294967295EEENS1_25partition_config_selectorILNS1_17partition_subalgoE3EjNS0_10empty_typeEbEEZZNS1_14partition_implILS8_3ELb0ES6_jNS0_17counting_iteratorIjlEEPS9_SE_NS0_5tupleIJPjSE_EEENSF_IJSE_SE_EEES9_SG_JZNS1_25segmented_radix_sort_implINS0_14default_configELb0EPK12hip_bfloat16PSL_PKlPlN2at6native12_GLOBAL__N_18offset_tEEE10hipError_tPvRmT1_PNSt15iterator_traitsISZ_E10value_typeET2_T3_PNS10_IS15_E10value_typeET4_jRbjT5_S1B_jjP12ihipStream_tbEUljE_EEESW_SX_SY_S15_S19_S1B_T6_T7_T9_mT8_S1D_bDpT10_ENKUlT_T0_E_clISt17integral_constantIbLb1EES1Q_EEDaS1L_S1M_EUlS1L_E_NS1_11comp_targetILNS1_3genE8ELNS1_11target_archE1030ELNS1_3gpuE2ELNS1_3repE0EEENS1_30default_config_static_selectorELNS0_4arch9wavefront6targetE0EEEvSZ_,comdat
.Lfunc_end2032:
	.size	_ZN7rocprim17ROCPRIM_400000_NS6detail17trampoline_kernelINS0_13select_configILj256ELj13ELNS0_17block_load_methodE3ELS4_3ELS4_3ELNS0_20block_scan_algorithmE0ELj4294967295EEENS1_25partition_config_selectorILNS1_17partition_subalgoE3EjNS0_10empty_typeEbEEZZNS1_14partition_implILS8_3ELb0ES6_jNS0_17counting_iteratorIjlEEPS9_SE_NS0_5tupleIJPjSE_EEENSF_IJSE_SE_EEES9_SG_JZNS1_25segmented_radix_sort_implINS0_14default_configELb0EPK12hip_bfloat16PSL_PKlPlN2at6native12_GLOBAL__N_18offset_tEEE10hipError_tPvRmT1_PNSt15iterator_traitsISZ_E10value_typeET2_T3_PNS10_IS15_E10value_typeET4_jRbjT5_S1B_jjP12ihipStream_tbEUljE_EEESW_SX_SY_S15_S19_S1B_T6_T7_T9_mT8_S1D_bDpT10_ENKUlT_T0_E_clISt17integral_constantIbLb1EES1Q_EEDaS1L_S1M_EUlS1L_E_NS1_11comp_targetILNS1_3genE8ELNS1_11target_archE1030ELNS1_3gpuE2ELNS1_3repE0EEENS1_30default_config_static_selectorELNS0_4arch9wavefront6targetE0EEEvSZ_, .Lfunc_end2032-_ZN7rocprim17ROCPRIM_400000_NS6detail17trampoline_kernelINS0_13select_configILj256ELj13ELNS0_17block_load_methodE3ELS4_3ELS4_3ELNS0_20block_scan_algorithmE0ELj4294967295EEENS1_25partition_config_selectorILNS1_17partition_subalgoE3EjNS0_10empty_typeEbEEZZNS1_14partition_implILS8_3ELb0ES6_jNS0_17counting_iteratorIjlEEPS9_SE_NS0_5tupleIJPjSE_EEENSF_IJSE_SE_EEES9_SG_JZNS1_25segmented_radix_sort_implINS0_14default_configELb0EPK12hip_bfloat16PSL_PKlPlN2at6native12_GLOBAL__N_18offset_tEEE10hipError_tPvRmT1_PNSt15iterator_traitsISZ_E10value_typeET2_T3_PNS10_IS15_E10value_typeET4_jRbjT5_S1B_jjP12ihipStream_tbEUljE_EEESW_SX_SY_S15_S19_S1B_T6_T7_T9_mT8_S1D_bDpT10_ENKUlT_T0_E_clISt17integral_constantIbLb1EES1Q_EEDaS1L_S1M_EUlS1L_E_NS1_11comp_targetILNS1_3genE8ELNS1_11target_archE1030ELNS1_3gpuE2ELNS1_3repE0EEENS1_30default_config_static_selectorELNS0_4arch9wavefront6targetE0EEEvSZ_
                                        ; -- End function
	.set _ZN7rocprim17ROCPRIM_400000_NS6detail17trampoline_kernelINS0_13select_configILj256ELj13ELNS0_17block_load_methodE3ELS4_3ELS4_3ELNS0_20block_scan_algorithmE0ELj4294967295EEENS1_25partition_config_selectorILNS1_17partition_subalgoE3EjNS0_10empty_typeEbEEZZNS1_14partition_implILS8_3ELb0ES6_jNS0_17counting_iteratorIjlEEPS9_SE_NS0_5tupleIJPjSE_EEENSF_IJSE_SE_EEES9_SG_JZNS1_25segmented_radix_sort_implINS0_14default_configELb0EPK12hip_bfloat16PSL_PKlPlN2at6native12_GLOBAL__N_18offset_tEEE10hipError_tPvRmT1_PNSt15iterator_traitsISZ_E10value_typeET2_T3_PNS10_IS15_E10value_typeET4_jRbjT5_S1B_jjP12ihipStream_tbEUljE_EEESW_SX_SY_S15_S19_S1B_T6_T7_T9_mT8_S1D_bDpT10_ENKUlT_T0_E_clISt17integral_constantIbLb1EES1Q_EEDaS1L_S1M_EUlS1L_E_NS1_11comp_targetILNS1_3genE8ELNS1_11target_archE1030ELNS1_3gpuE2ELNS1_3repE0EEENS1_30default_config_static_selectorELNS0_4arch9wavefront6targetE0EEEvSZ_.num_vgpr, 0
	.set _ZN7rocprim17ROCPRIM_400000_NS6detail17trampoline_kernelINS0_13select_configILj256ELj13ELNS0_17block_load_methodE3ELS4_3ELS4_3ELNS0_20block_scan_algorithmE0ELj4294967295EEENS1_25partition_config_selectorILNS1_17partition_subalgoE3EjNS0_10empty_typeEbEEZZNS1_14partition_implILS8_3ELb0ES6_jNS0_17counting_iteratorIjlEEPS9_SE_NS0_5tupleIJPjSE_EEENSF_IJSE_SE_EEES9_SG_JZNS1_25segmented_radix_sort_implINS0_14default_configELb0EPK12hip_bfloat16PSL_PKlPlN2at6native12_GLOBAL__N_18offset_tEEE10hipError_tPvRmT1_PNSt15iterator_traitsISZ_E10value_typeET2_T3_PNS10_IS15_E10value_typeET4_jRbjT5_S1B_jjP12ihipStream_tbEUljE_EEESW_SX_SY_S15_S19_S1B_T6_T7_T9_mT8_S1D_bDpT10_ENKUlT_T0_E_clISt17integral_constantIbLb1EES1Q_EEDaS1L_S1M_EUlS1L_E_NS1_11comp_targetILNS1_3genE8ELNS1_11target_archE1030ELNS1_3gpuE2ELNS1_3repE0EEENS1_30default_config_static_selectorELNS0_4arch9wavefront6targetE0EEEvSZ_.num_agpr, 0
	.set _ZN7rocprim17ROCPRIM_400000_NS6detail17trampoline_kernelINS0_13select_configILj256ELj13ELNS0_17block_load_methodE3ELS4_3ELS4_3ELNS0_20block_scan_algorithmE0ELj4294967295EEENS1_25partition_config_selectorILNS1_17partition_subalgoE3EjNS0_10empty_typeEbEEZZNS1_14partition_implILS8_3ELb0ES6_jNS0_17counting_iteratorIjlEEPS9_SE_NS0_5tupleIJPjSE_EEENSF_IJSE_SE_EEES9_SG_JZNS1_25segmented_radix_sort_implINS0_14default_configELb0EPK12hip_bfloat16PSL_PKlPlN2at6native12_GLOBAL__N_18offset_tEEE10hipError_tPvRmT1_PNSt15iterator_traitsISZ_E10value_typeET2_T3_PNS10_IS15_E10value_typeET4_jRbjT5_S1B_jjP12ihipStream_tbEUljE_EEESW_SX_SY_S15_S19_S1B_T6_T7_T9_mT8_S1D_bDpT10_ENKUlT_T0_E_clISt17integral_constantIbLb1EES1Q_EEDaS1L_S1M_EUlS1L_E_NS1_11comp_targetILNS1_3genE8ELNS1_11target_archE1030ELNS1_3gpuE2ELNS1_3repE0EEENS1_30default_config_static_selectorELNS0_4arch9wavefront6targetE0EEEvSZ_.numbered_sgpr, 0
	.set _ZN7rocprim17ROCPRIM_400000_NS6detail17trampoline_kernelINS0_13select_configILj256ELj13ELNS0_17block_load_methodE3ELS4_3ELS4_3ELNS0_20block_scan_algorithmE0ELj4294967295EEENS1_25partition_config_selectorILNS1_17partition_subalgoE3EjNS0_10empty_typeEbEEZZNS1_14partition_implILS8_3ELb0ES6_jNS0_17counting_iteratorIjlEEPS9_SE_NS0_5tupleIJPjSE_EEENSF_IJSE_SE_EEES9_SG_JZNS1_25segmented_radix_sort_implINS0_14default_configELb0EPK12hip_bfloat16PSL_PKlPlN2at6native12_GLOBAL__N_18offset_tEEE10hipError_tPvRmT1_PNSt15iterator_traitsISZ_E10value_typeET2_T3_PNS10_IS15_E10value_typeET4_jRbjT5_S1B_jjP12ihipStream_tbEUljE_EEESW_SX_SY_S15_S19_S1B_T6_T7_T9_mT8_S1D_bDpT10_ENKUlT_T0_E_clISt17integral_constantIbLb1EES1Q_EEDaS1L_S1M_EUlS1L_E_NS1_11comp_targetILNS1_3genE8ELNS1_11target_archE1030ELNS1_3gpuE2ELNS1_3repE0EEENS1_30default_config_static_selectorELNS0_4arch9wavefront6targetE0EEEvSZ_.num_named_barrier, 0
	.set _ZN7rocprim17ROCPRIM_400000_NS6detail17trampoline_kernelINS0_13select_configILj256ELj13ELNS0_17block_load_methodE3ELS4_3ELS4_3ELNS0_20block_scan_algorithmE0ELj4294967295EEENS1_25partition_config_selectorILNS1_17partition_subalgoE3EjNS0_10empty_typeEbEEZZNS1_14partition_implILS8_3ELb0ES6_jNS0_17counting_iteratorIjlEEPS9_SE_NS0_5tupleIJPjSE_EEENSF_IJSE_SE_EEES9_SG_JZNS1_25segmented_radix_sort_implINS0_14default_configELb0EPK12hip_bfloat16PSL_PKlPlN2at6native12_GLOBAL__N_18offset_tEEE10hipError_tPvRmT1_PNSt15iterator_traitsISZ_E10value_typeET2_T3_PNS10_IS15_E10value_typeET4_jRbjT5_S1B_jjP12ihipStream_tbEUljE_EEESW_SX_SY_S15_S19_S1B_T6_T7_T9_mT8_S1D_bDpT10_ENKUlT_T0_E_clISt17integral_constantIbLb1EES1Q_EEDaS1L_S1M_EUlS1L_E_NS1_11comp_targetILNS1_3genE8ELNS1_11target_archE1030ELNS1_3gpuE2ELNS1_3repE0EEENS1_30default_config_static_selectorELNS0_4arch9wavefront6targetE0EEEvSZ_.private_seg_size, 0
	.set _ZN7rocprim17ROCPRIM_400000_NS6detail17trampoline_kernelINS0_13select_configILj256ELj13ELNS0_17block_load_methodE3ELS4_3ELS4_3ELNS0_20block_scan_algorithmE0ELj4294967295EEENS1_25partition_config_selectorILNS1_17partition_subalgoE3EjNS0_10empty_typeEbEEZZNS1_14partition_implILS8_3ELb0ES6_jNS0_17counting_iteratorIjlEEPS9_SE_NS0_5tupleIJPjSE_EEENSF_IJSE_SE_EEES9_SG_JZNS1_25segmented_radix_sort_implINS0_14default_configELb0EPK12hip_bfloat16PSL_PKlPlN2at6native12_GLOBAL__N_18offset_tEEE10hipError_tPvRmT1_PNSt15iterator_traitsISZ_E10value_typeET2_T3_PNS10_IS15_E10value_typeET4_jRbjT5_S1B_jjP12ihipStream_tbEUljE_EEESW_SX_SY_S15_S19_S1B_T6_T7_T9_mT8_S1D_bDpT10_ENKUlT_T0_E_clISt17integral_constantIbLb1EES1Q_EEDaS1L_S1M_EUlS1L_E_NS1_11comp_targetILNS1_3genE8ELNS1_11target_archE1030ELNS1_3gpuE2ELNS1_3repE0EEENS1_30default_config_static_selectorELNS0_4arch9wavefront6targetE0EEEvSZ_.uses_vcc, 0
	.set _ZN7rocprim17ROCPRIM_400000_NS6detail17trampoline_kernelINS0_13select_configILj256ELj13ELNS0_17block_load_methodE3ELS4_3ELS4_3ELNS0_20block_scan_algorithmE0ELj4294967295EEENS1_25partition_config_selectorILNS1_17partition_subalgoE3EjNS0_10empty_typeEbEEZZNS1_14partition_implILS8_3ELb0ES6_jNS0_17counting_iteratorIjlEEPS9_SE_NS0_5tupleIJPjSE_EEENSF_IJSE_SE_EEES9_SG_JZNS1_25segmented_radix_sort_implINS0_14default_configELb0EPK12hip_bfloat16PSL_PKlPlN2at6native12_GLOBAL__N_18offset_tEEE10hipError_tPvRmT1_PNSt15iterator_traitsISZ_E10value_typeET2_T3_PNS10_IS15_E10value_typeET4_jRbjT5_S1B_jjP12ihipStream_tbEUljE_EEESW_SX_SY_S15_S19_S1B_T6_T7_T9_mT8_S1D_bDpT10_ENKUlT_T0_E_clISt17integral_constantIbLb1EES1Q_EEDaS1L_S1M_EUlS1L_E_NS1_11comp_targetILNS1_3genE8ELNS1_11target_archE1030ELNS1_3gpuE2ELNS1_3repE0EEENS1_30default_config_static_selectorELNS0_4arch9wavefront6targetE0EEEvSZ_.uses_flat_scratch, 0
	.set _ZN7rocprim17ROCPRIM_400000_NS6detail17trampoline_kernelINS0_13select_configILj256ELj13ELNS0_17block_load_methodE3ELS4_3ELS4_3ELNS0_20block_scan_algorithmE0ELj4294967295EEENS1_25partition_config_selectorILNS1_17partition_subalgoE3EjNS0_10empty_typeEbEEZZNS1_14partition_implILS8_3ELb0ES6_jNS0_17counting_iteratorIjlEEPS9_SE_NS0_5tupleIJPjSE_EEENSF_IJSE_SE_EEES9_SG_JZNS1_25segmented_radix_sort_implINS0_14default_configELb0EPK12hip_bfloat16PSL_PKlPlN2at6native12_GLOBAL__N_18offset_tEEE10hipError_tPvRmT1_PNSt15iterator_traitsISZ_E10value_typeET2_T3_PNS10_IS15_E10value_typeET4_jRbjT5_S1B_jjP12ihipStream_tbEUljE_EEESW_SX_SY_S15_S19_S1B_T6_T7_T9_mT8_S1D_bDpT10_ENKUlT_T0_E_clISt17integral_constantIbLb1EES1Q_EEDaS1L_S1M_EUlS1L_E_NS1_11comp_targetILNS1_3genE8ELNS1_11target_archE1030ELNS1_3gpuE2ELNS1_3repE0EEENS1_30default_config_static_selectorELNS0_4arch9wavefront6targetE0EEEvSZ_.has_dyn_sized_stack, 0
	.set _ZN7rocprim17ROCPRIM_400000_NS6detail17trampoline_kernelINS0_13select_configILj256ELj13ELNS0_17block_load_methodE3ELS4_3ELS4_3ELNS0_20block_scan_algorithmE0ELj4294967295EEENS1_25partition_config_selectorILNS1_17partition_subalgoE3EjNS0_10empty_typeEbEEZZNS1_14partition_implILS8_3ELb0ES6_jNS0_17counting_iteratorIjlEEPS9_SE_NS0_5tupleIJPjSE_EEENSF_IJSE_SE_EEES9_SG_JZNS1_25segmented_radix_sort_implINS0_14default_configELb0EPK12hip_bfloat16PSL_PKlPlN2at6native12_GLOBAL__N_18offset_tEEE10hipError_tPvRmT1_PNSt15iterator_traitsISZ_E10value_typeET2_T3_PNS10_IS15_E10value_typeET4_jRbjT5_S1B_jjP12ihipStream_tbEUljE_EEESW_SX_SY_S15_S19_S1B_T6_T7_T9_mT8_S1D_bDpT10_ENKUlT_T0_E_clISt17integral_constantIbLb1EES1Q_EEDaS1L_S1M_EUlS1L_E_NS1_11comp_targetILNS1_3genE8ELNS1_11target_archE1030ELNS1_3gpuE2ELNS1_3repE0EEENS1_30default_config_static_selectorELNS0_4arch9wavefront6targetE0EEEvSZ_.has_recursion, 0
	.set _ZN7rocprim17ROCPRIM_400000_NS6detail17trampoline_kernelINS0_13select_configILj256ELj13ELNS0_17block_load_methodE3ELS4_3ELS4_3ELNS0_20block_scan_algorithmE0ELj4294967295EEENS1_25partition_config_selectorILNS1_17partition_subalgoE3EjNS0_10empty_typeEbEEZZNS1_14partition_implILS8_3ELb0ES6_jNS0_17counting_iteratorIjlEEPS9_SE_NS0_5tupleIJPjSE_EEENSF_IJSE_SE_EEES9_SG_JZNS1_25segmented_radix_sort_implINS0_14default_configELb0EPK12hip_bfloat16PSL_PKlPlN2at6native12_GLOBAL__N_18offset_tEEE10hipError_tPvRmT1_PNSt15iterator_traitsISZ_E10value_typeET2_T3_PNS10_IS15_E10value_typeET4_jRbjT5_S1B_jjP12ihipStream_tbEUljE_EEESW_SX_SY_S15_S19_S1B_T6_T7_T9_mT8_S1D_bDpT10_ENKUlT_T0_E_clISt17integral_constantIbLb1EES1Q_EEDaS1L_S1M_EUlS1L_E_NS1_11comp_targetILNS1_3genE8ELNS1_11target_archE1030ELNS1_3gpuE2ELNS1_3repE0EEENS1_30default_config_static_selectorELNS0_4arch9wavefront6targetE0EEEvSZ_.has_indirect_call, 0
	.section	.AMDGPU.csdata,"",@progbits
; Kernel info:
; codeLenInByte = 0
; TotalNumSgprs: 0
; NumVgprs: 0
; ScratchSize: 0
; MemoryBound: 0
; FloatMode: 240
; IeeeMode: 1
; LDSByteSize: 0 bytes/workgroup (compile time only)
; SGPRBlocks: 0
; VGPRBlocks: 0
; NumSGPRsForWavesPerEU: 1
; NumVGPRsForWavesPerEU: 1
; Occupancy: 16
; WaveLimiterHint : 0
; COMPUTE_PGM_RSRC2:SCRATCH_EN: 0
; COMPUTE_PGM_RSRC2:USER_SGPR: 2
; COMPUTE_PGM_RSRC2:TRAP_HANDLER: 0
; COMPUTE_PGM_RSRC2:TGID_X_EN: 1
; COMPUTE_PGM_RSRC2:TGID_Y_EN: 0
; COMPUTE_PGM_RSRC2:TGID_Z_EN: 0
; COMPUTE_PGM_RSRC2:TIDIG_COMP_CNT: 0
	.section	.text._ZN7rocprim17ROCPRIM_400000_NS6detail17trampoline_kernelINS0_13select_configILj256ELj13ELNS0_17block_load_methodE3ELS4_3ELS4_3ELNS0_20block_scan_algorithmE0ELj4294967295EEENS1_25partition_config_selectorILNS1_17partition_subalgoE3EjNS0_10empty_typeEbEEZZNS1_14partition_implILS8_3ELb0ES6_jNS0_17counting_iteratorIjlEEPS9_SE_NS0_5tupleIJPjSE_EEENSF_IJSE_SE_EEES9_SG_JZNS1_25segmented_radix_sort_implINS0_14default_configELb0EPK12hip_bfloat16PSL_PKlPlN2at6native12_GLOBAL__N_18offset_tEEE10hipError_tPvRmT1_PNSt15iterator_traitsISZ_E10value_typeET2_T3_PNS10_IS15_E10value_typeET4_jRbjT5_S1B_jjP12ihipStream_tbEUljE_EEESW_SX_SY_S15_S19_S1B_T6_T7_T9_mT8_S1D_bDpT10_ENKUlT_T0_E_clISt17integral_constantIbLb1EES1P_IbLb0EEEEDaS1L_S1M_EUlS1L_E_NS1_11comp_targetILNS1_3genE0ELNS1_11target_archE4294967295ELNS1_3gpuE0ELNS1_3repE0EEENS1_30default_config_static_selectorELNS0_4arch9wavefront6targetE0EEEvSZ_,"axG",@progbits,_ZN7rocprim17ROCPRIM_400000_NS6detail17trampoline_kernelINS0_13select_configILj256ELj13ELNS0_17block_load_methodE3ELS4_3ELS4_3ELNS0_20block_scan_algorithmE0ELj4294967295EEENS1_25partition_config_selectorILNS1_17partition_subalgoE3EjNS0_10empty_typeEbEEZZNS1_14partition_implILS8_3ELb0ES6_jNS0_17counting_iteratorIjlEEPS9_SE_NS0_5tupleIJPjSE_EEENSF_IJSE_SE_EEES9_SG_JZNS1_25segmented_radix_sort_implINS0_14default_configELb0EPK12hip_bfloat16PSL_PKlPlN2at6native12_GLOBAL__N_18offset_tEEE10hipError_tPvRmT1_PNSt15iterator_traitsISZ_E10value_typeET2_T3_PNS10_IS15_E10value_typeET4_jRbjT5_S1B_jjP12ihipStream_tbEUljE_EEESW_SX_SY_S15_S19_S1B_T6_T7_T9_mT8_S1D_bDpT10_ENKUlT_T0_E_clISt17integral_constantIbLb1EES1P_IbLb0EEEEDaS1L_S1M_EUlS1L_E_NS1_11comp_targetILNS1_3genE0ELNS1_11target_archE4294967295ELNS1_3gpuE0ELNS1_3repE0EEENS1_30default_config_static_selectorELNS0_4arch9wavefront6targetE0EEEvSZ_,comdat
	.globl	_ZN7rocprim17ROCPRIM_400000_NS6detail17trampoline_kernelINS0_13select_configILj256ELj13ELNS0_17block_load_methodE3ELS4_3ELS4_3ELNS0_20block_scan_algorithmE0ELj4294967295EEENS1_25partition_config_selectorILNS1_17partition_subalgoE3EjNS0_10empty_typeEbEEZZNS1_14partition_implILS8_3ELb0ES6_jNS0_17counting_iteratorIjlEEPS9_SE_NS0_5tupleIJPjSE_EEENSF_IJSE_SE_EEES9_SG_JZNS1_25segmented_radix_sort_implINS0_14default_configELb0EPK12hip_bfloat16PSL_PKlPlN2at6native12_GLOBAL__N_18offset_tEEE10hipError_tPvRmT1_PNSt15iterator_traitsISZ_E10value_typeET2_T3_PNS10_IS15_E10value_typeET4_jRbjT5_S1B_jjP12ihipStream_tbEUljE_EEESW_SX_SY_S15_S19_S1B_T6_T7_T9_mT8_S1D_bDpT10_ENKUlT_T0_E_clISt17integral_constantIbLb1EES1P_IbLb0EEEEDaS1L_S1M_EUlS1L_E_NS1_11comp_targetILNS1_3genE0ELNS1_11target_archE4294967295ELNS1_3gpuE0ELNS1_3repE0EEENS1_30default_config_static_selectorELNS0_4arch9wavefront6targetE0EEEvSZ_ ; -- Begin function _ZN7rocprim17ROCPRIM_400000_NS6detail17trampoline_kernelINS0_13select_configILj256ELj13ELNS0_17block_load_methodE3ELS4_3ELS4_3ELNS0_20block_scan_algorithmE0ELj4294967295EEENS1_25partition_config_selectorILNS1_17partition_subalgoE3EjNS0_10empty_typeEbEEZZNS1_14partition_implILS8_3ELb0ES6_jNS0_17counting_iteratorIjlEEPS9_SE_NS0_5tupleIJPjSE_EEENSF_IJSE_SE_EEES9_SG_JZNS1_25segmented_radix_sort_implINS0_14default_configELb0EPK12hip_bfloat16PSL_PKlPlN2at6native12_GLOBAL__N_18offset_tEEE10hipError_tPvRmT1_PNSt15iterator_traitsISZ_E10value_typeET2_T3_PNS10_IS15_E10value_typeET4_jRbjT5_S1B_jjP12ihipStream_tbEUljE_EEESW_SX_SY_S15_S19_S1B_T6_T7_T9_mT8_S1D_bDpT10_ENKUlT_T0_E_clISt17integral_constantIbLb1EES1P_IbLb0EEEEDaS1L_S1M_EUlS1L_E_NS1_11comp_targetILNS1_3genE0ELNS1_11target_archE4294967295ELNS1_3gpuE0ELNS1_3repE0EEENS1_30default_config_static_selectorELNS0_4arch9wavefront6targetE0EEEvSZ_
	.p2align	8
	.type	_ZN7rocprim17ROCPRIM_400000_NS6detail17trampoline_kernelINS0_13select_configILj256ELj13ELNS0_17block_load_methodE3ELS4_3ELS4_3ELNS0_20block_scan_algorithmE0ELj4294967295EEENS1_25partition_config_selectorILNS1_17partition_subalgoE3EjNS0_10empty_typeEbEEZZNS1_14partition_implILS8_3ELb0ES6_jNS0_17counting_iteratorIjlEEPS9_SE_NS0_5tupleIJPjSE_EEENSF_IJSE_SE_EEES9_SG_JZNS1_25segmented_radix_sort_implINS0_14default_configELb0EPK12hip_bfloat16PSL_PKlPlN2at6native12_GLOBAL__N_18offset_tEEE10hipError_tPvRmT1_PNSt15iterator_traitsISZ_E10value_typeET2_T3_PNS10_IS15_E10value_typeET4_jRbjT5_S1B_jjP12ihipStream_tbEUljE_EEESW_SX_SY_S15_S19_S1B_T6_T7_T9_mT8_S1D_bDpT10_ENKUlT_T0_E_clISt17integral_constantIbLb1EES1P_IbLb0EEEEDaS1L_S1M_EUlS1L_E_NS1_11comp_targetILNS1_3genE0ELNS1_11target_archE4294967295ELNS1_3gpuE0ELNS1_3repE0EEENS1_30default_config_static_selectorELNS0_4arch9wavefront6targetE0EEEvSZ_,@function
_ZN7rocprim17ROCPRIM_400000_NS6detail17trampoline_kernelINS0_13select_configILj256ELj13ELNS0_17block_load_methodE3ELS4_3ELS4_3ELNS0_20block_scan_algorithmE0ELj4294967295EEENS1_25partition_config_selectorILNS1_17partition_subalgoE3EjNS0_10empty_typeEbEEZZNS1_14partition_implILS8_3ELb0ES6_jNS0_17counting_iteratorIjlEEPS9_SE_NS0_5tupleIJPjSE_EEENSF_IJSE_SE_EEES9_SG_JZNS1_25segmented_radix_sort_implINS0_14default_configELb0EPK12hip_bfloat16PSL_PKlPlN2at6native12_GLOBAL__N_18offset_tEEE10hipError_tPvRmT1_PNSt15iterator_traitsISZ_E10value_typeET2_T3_PNS10_IS15_E10value_typeET4_jRbjT5_S1B_jjP12ihipStream_tbEUljE_EEESW_SX_SY_S15_S19_S1B_T6_T7_T9_mT8_S1D_bDpT10_ENKUlT_T0_E_clISt17integral_constantIbLb1EES1P_IbLb0EEEEDaS1L_S1M_EUlS1L_E_NS1_11comp_targetILNS1_3genE0ELNS1_11target_archE4294967295ELNS1_3gpuE0ELNS1_3repE0EEENS1_30default_config_static_selectorELNS0_4arch9wavefront6targetE0EEEvSZ_: ; @_ZN7rocprim17ROCPRIM_400000_NS6detail17trampoline_kernelINS0_13select_configILj256ELj13ELNS0_17block_load_methodE3ELS4_3ELS4_3ELNS0_20block_scan_algorithmE0ELj4294967295EEENS1_25partition_config_selectorILNS1_17partition_subalgoE3EjNS0_10empty_typeEbEEZZNS1_14partition_implILS8_3ELb0ES6_jNS0_17counting_iteratorIjlEEPS9_SE_NS0_5tupleIJPjSE_EEENSF_IJSE_SE_EEES9_SG_JZNS1_25segmented_radix_sort_implINS0_14default_configELb0EPK12hip_bfloat16PSL_PKlPlN2at6native12_GLOBAL__N_18offset_tEEE10hipError_tPvRmT1_PNSt15iterator_traitsISZ_E10value_typeET2_T3_PNS10_IS15_E10value_typeET4_jRbjT5_S1B_jjP12ihipStream_tbEUljE_EEESW_SX_SY_S15_S19_S1B_T6_T7_T9_mT8_S1D_bDpT10_ENKUlT_T0_E_clISt17integral_constantIbLb1EES1P_IbLb0EEEEDaS1L_S1M_EUlS1L_E_NS1_11comp_targetILNS1_3genE0ELNS1_11target_archE4294967295ELNS1_3gpuE0ELNS1_3repE0EEENS1_30default_config_static_selectorELNS0_4arch9wavefront6targetE0EEEvSZ_
; %bb.0:
	.section	.rodata,"a",@progbits
	.p2align	6, 0x0
	.amdhsa_kernel _ZN7rocprim17ROCPRIM_400000_NS6detail17trampoline_kernelINS0_13select_configILj256ELj13ELNS0_17block_load_methodE3ELS4_3ELS4_3ELNS0_20block_scan_algorithmE0ELj4294967295EEENS1_25partition_config_selectorILNS1_17partition_subalgoE3EjNS0_10empty_typeEbEEZZNS1_14partition_implILS8_3ELb0ES6_jNS0_17counting_iteratorIjlEEPS9_SE_NS0_5tupleIJPjSE_EEENSF_IJSE_SE_EEES9_SG_JZNS1_25segmented_radix_sort_implINS0_14default_configELb0EPK12hip_bfloat16PSL_PKlPlN2at6native12_GLOBAL__N_18offset_tEEE10hipError_tPvRmT1_PNSt15iterator_traitsISZ_E10value_typeET2_T3_PNS10_IS15_E10value_typeET4_jRbjT5_S1B_jjP12ihipStream_tbEUljE_EEESW_SX_SY_S15_S19_S1B_T6_T7_T9_mT8_S1D_bDpT10_ENKUlT_T0_E_clISt17integral_constantIbLb1EES1P_IbLb0EEEEDaS1L_S1M_EUlS1L_E_NS1_11comp_targetILNS1_3genE0ELNS1_11target_archE4294967295ELNS1_3gpuE0ELNS1_3repE0EEENS1_30default_config_static_selectorELNS0_4arch9wavefront6targetE0EEEvSZ_
		.amdhsa_group_segment_fixed_size 0
		.amdhsa_private_segment_fixed_size 0
		.amdhsa_kernarg_size 144
		.amdhsa_user_sgpr_count 2
		.amdhsa_user_sgpr_dispatch_ptr 0
		.amdhsa_user_sgpr_queue_ptr 0
		.amdhsa_user_sgpr_kernarg_segment_ptr 1
		.amdhsa_user_sgpr_dispatch_id 0
		.amdhsa_user_sgpr_private_segment_size 0
		.amdhsa_wavefront_size32 1
		.amdhsa_uses_dynamic_stack 0
		.amdhsa_enable_private_segment 0
		.amdhsa_system_sgpr_workgroup_id_x 1
		.amdhsa_system_sgpr_workgroup_id_y 0
		.amdhsa_system_sgpr_workgroup_id_z 0
		.amdhsa_system_sgpr_workgroup_info 0
		.amdhsa_system_vgpr_workitem_id 0
		.amdhsa_next_free_vgpr 1
		.amdhsa_next_free_sgpr 1
		.amdhsa_reserve_vcc 0
		.amdhsa_float_round_mode_32 0
		.amdhsa_float_round_mode_16_64 0
		.amdhsa_float_denorm_mode_32 3
		.amdhsa_float_denorm_mode_16_64 3
		.amdhsa_fp16_overflow 0
		.amdhsa_workgroup_processor_mode 1
		.amdhsa_memory_ordered 1
		.amdhsa_forward_progress 1
		.amdhsa_inst_pref_size 0
		.amdhsa_round_robin_scheduling 0
		.amdhsa_exception_fp_ieee_invalid_op 0
		.amdhsa_exception_fp_denorm_src 0
		.amdhsa_exception_fp_ieee_div_zero 0
		.amdhsa_exception_fp_ieee_overflow 0
		.amdhsa_exception_fp_ieee_underflow 0
		.amdhsa_exception_fp_ieee_inexact 0
		.amdhsa_exception_int_div_zero 0
	.end_amdhsa_kernel
	.section	.text._ZN7rocprim17ROCPRIM_400000_NS6detail17trampoline_kernelINS0_13select_configILj256ELj13ELNS0_17block_load_methodE3ELS4_3ELS4_3ELNS0_20block_scan_algorithmE0ELj4294967295EEENS1_25partition_config_selectorILNS1_17partition_subalgoE3EjNS0_10empty_typeEbEEZZNS1_14partition_implILS8_3ELb0ES6_jNS0_17counting_iteratorIjlEEPS9_SE_NS0_5tupleIJPjSE_EEENSF_IJSE_SE_EEES9_SG_JZNS1_25segmented_radix_sort_implINS0_14default_configELb0EPK12hip_bfloat16PSL_PKlPlN2at6native12_GLOBAL__N_18offset_tEEE10hipError_tPvRmT1_PNSt15iterator_traitsISZ_E10value_typeET2_T3_PNS10_IS15_E10value_typeET4_jRbjT5_S1B_jjP12ihipStream_tbEUljE_EEESW_SX_SY_S15_S19_S1B_T6_T7_T9_mT8_S1D_bDpT10_ENKUlT_T0_E_clISt17integral_constantIbLb1EES1P_IbLb0EEEEDaS1L_S1M_EUlS1L_E_NS1_11comp_targetILNS1_3genE0ELNS1_11target_archE4294967295ELNS1_3gpuE0ELNS1_3repE0EEENS1_30default_config_static_selectorELNS0_4arch9wavefront6targetE0EEEvSZ_,"axG",@progbits,_ZN7rocprim17ROCPRIM_400000_NS6detail17trampoline_kernelINS0_13select_configILj256ELj13ELNS0_17block_load_methodE3ELS4_3ELS4_3ELNS0_20block_scan_algorithmE0ELj4294967295EEENS1_25partition_config_selectorILNS1_17partition_subalgoE3EjNS0_10empty_typeEbEEZZNS1_14partition_implILS8_3ELb0ES6_jNS0_17counting_iteratorIjlEEPS9_SE_NS0_5tupleIJPjSE_EEENSF_IJSE_SE_EEES9_SG_JZNS1_25segmented_radix_sort_implINS0_14default_configELb0EPK12hip_bfloat16PSL_PKlPlN2at6native12_GLOBAL__N_18offset_tEEE10hipError_tPvRmT1_PNSt15iterator_traitsISZ_E10value_typeET2_T3_PNS10_IS15_E10value_typeET4_jRbjT5_S1B_jjP12ihipStream_tbEUljE_EEESW_SX_SY_S15_S19_S1B_T6_T7_T9_mT8_S1D_bDpT10_ENKUlT_T0_E_clISt17integral_constantIbLb1EES1P_IbLb0EEEEDaS1L_S1M_EUlS1L_E_NS1_11comp_targetILNS1_3genE0ELNS1_11target_archE4294967295ELNS1_3gpuE0ELNS1_3repE0EEENS1_30default_config_static_selectorELNS0_4arch9wavefront6targetE0EEEvSZ_,comdat
.Lfunc_end2033:
	.size	_ZN7rocprim17ROCPRIM_400000_NS6detail17trampoline_kernelINS0_13select_configILj256ELj13ELNS0_17block_load_methodE3ELS4_3ELS4_3ELNS0_20block_scan_algorithmE0ELj4294967295EEENS1_25partition_config_selectorILNS1_17partition_subalgoE3EjNS0_10empty_typeEbEEZZNS1_14partition_implILS8_3ELb0ES6_jNS0_17counting_iteratorIjlEEPS9_SE_NS0_5tupleIJPjSE_EEENSF_IJSE_SE_EEES9_SG_JZNS1_25segmented_radix_sort_implINS0_14default_configELb0EPK12hip_bfloat16PSL_PKlPlN2at6native12_GLOBAL__N_18offset_tEEE10hipError_tPvRmT1_PNSt15iterator_traitsISZ_E10value_typeET2_T3_PNS10_IS15_E10value_typeET4_jRbjT5_S1B_jjP12ihipStream_tbEUljE_EEESW_SX_SY_S15_S19_S1B_T6_T7_T9_mT8_S1D_bDpT10_ENKUlT_T0_E_clISt17integral_constantIbLb1EES1P_IbLb0EEEEDaS1L_S1M_EUlS1L_E_NS1_11comp_targetILNS1_3genE0ELNS1_11target_archE4294967295ELNS1_3gpuE0ELNS1_3repE0EEENS1_30default_config_static_selectorELNS0_4arch9wavefront6targetE0EEEvSZ_, .Lfunc_end2033-_ZN7rocprim17ROCPRIM_400000_NS6detail17trampoline_kernelINS0_13select_configILj256ELj13ELNS0_17block_load_methodE3ELS4_3ELS4_3ELNS0_20block_scan_algorithmE0ELj4294967295EEENS1_25partition_config_selectorILNS1_17partition_subalgoE3EjNS0_10empty_typeEbEEZZNS1_14partition_implILS8_3ELb0ES6_jNS0_17counting_iteratorIjlEEPS9_SE_NS0_5tupleIJPjSE_EEENSF_IJSE_SE_EEES9_SG_JZNS1_25segmented_radix_sort_implINS0_14default_configELb0EPK12hip_bfloat16PSL_PKlPlN2at6native12_GLOBAL__N_18offset_tEEE10hipError_tPvRmT1_PNSt15iterator_traitsISZ_E10value_typeET2_T3_PNS10_IS15_E10value_typeET4_jRbjT5_S1B_jjP12ihipStream_tbEUljE_EEESW_SX_SY_S15_S19_S1B_T6_T7_T9_mT8_S1D_bDpT10_ENKUlT_T0_E_clISt17integral_constantIbLb1EES1P_IbLb0EEEEDaS1L_S1M_EUlS1L_E_NS1_11comp_targetILNS1_3genE0ELNS1_11target_archE4294967295ELNS1_3gpuE0ELNS1_3repE0EEENS1_30default_config_static_selectorELNS0_4arch9wavefront6targetE0EEEvSZ_
                                        ; -- End function
	.set _ZN7rocprim17ROCPRIM_400000_NS6detail17trampoline_kernelINS0_13select_configILj256ELj13ELNS0_17block_load_methodE3ELS4_3ELS4_3ELNS0_20block_scan_algorithmE0ELj4294967295EEENS1_25partition_config_selectorILNS1_17partition_subalgoE3EjNS0_10empty_typeEbEEZZNS1_14partition_implILS8_3ELb0ES6_jNS0_17counting_iteratorIjlEEPS9_SE_NS0_5tupleIJPjSE_EEENSF_IJSE_SE_EEES9_SG_JZNS1_25segmented_radix_sort_implINS0_14default_configELb0EPK12hip_bfloat16PSL_PKlPlN2at6native12_GLOBAL__N_18offset_tEEE10hipError_tPvRmT1_PNSt15iterator_traitsISZ_E10value_typeET2_T3_PNS10_IS15_E10value_typeET4_jRbjT5_S1B_jjP12ihipStream_tbEUljE_EEESW_SX_SY_S15_S19_S1B_T6_T7_T9_mT8_S1D_bDpT10_ENKUlT_T0_E_clISt17integral_constantIbLb1EES1P_IbLb0EEEEDaS1L_S1M_EUlS1L_E_NS1_11comp_targetILNS1_3genE0ELNS1_11target_archE4294967295ELNS1_3gpuE0ELNS1_3repE0EEENS1_30default_config_static_selectorELNS0_4arch9wavefront6targetE0EEEvSZ_.num_vgpr, 0
	.set _ZN7rocprim17ROCPRIM_400000_NS6detail17trampoline_kernelINS0_13select_configILj256ELj13ELNS0_17block_load_methodE3ELS4_3ELS4_3ELNS0_20block_scan_algorithmE0ELj4294967295EEENS1_25partition_config_selectorILNS1_17partition_subalgoE3EjNS0_10empty_typeEbEEZZNS1_14partition_implILS8_3ELb0ES6_jNS0_17counting_iteratorIjlEEPS9_SE_NS0_5tupleIJPjSE_EEENSF_IJSE_SE_EEES9_SG_JZNS1_25segmented_radix_sort_implINS0_14default_configELb0EPK12hip_bfloat16PSL_PKlPlN2at6native12_GLOBAL__N_18offset_tEEE10hipError_tPvRmT1_PNSt15iterator_traitsISZ_E10value_typeET2_T3_PNS10_IS15_E10value_typeET4_jRbjT5_S1B_jjP12ihipStream_tbEUljE_EEESW_SX_SY_S15_S19_S1B_T6_T7_T9_mT8_S1D_bDpT10_ENKUlT_T0_E_clISt17integral_constantIbLb1EES1P_IbLb0EEEEDaS1L_S1M_EUlS1L_E_NS1_11comp_targetILNS1_3genE0ELNS1_11target_archE4294967295ELNS1_3gpuE0ELNS1_3repE0EEENS1_30default_config_static_selectorELNS0_4arch9wavefront6targetE0EEEvSZ_.num_agpr, 0
	.set _ZN7rocprim17ROCPRIM_400000_NS6detail17trampoline_kernelINS0_13select_configILj256ELj13ELNS0_17block_load_methodE3ELS4_3ELS4_3ELNS0_20block_scan_algorithmE0ELj4294967295EEENS1_25partition_config_selectorILNS1_17partition_subalgoE3EjNS0_10empty_typeEbEEZZNS1_14partition_implILS8_3ELb0ES6_jNS0_17counting_iteratorIjlEEPS9_SE_NS0_5tupleIJPjSE_EEENSF_IJSE_SE_EEES9_SG_JZNS1_25segmented_radix_sort_implINS0_14default_configELb0EPK12hip_bfloat16PSL_PKlPlN2at6native12_GLOBAL__N_18offset_tEEE10hipError_tPvRmT1_PNSt15iterator_traitsISZ_E10value_typeET2_T3_PNS10_IS15_E10value_typeET4_jRbjT5_S1B_jjP12ihipStream_tbEUljE_EEESW_SX_SY_S15_S19_S1B_T6_T7_T9_mT8_S1D_bDpT10_ENKUlT_T0_E_clISt17integral_constantIbLb1EES1P_IbLb0EEEEDaS1L_S1M_EUlS1L_E_NS1_11comp_targetILNS1_3genE0ELNS1_11target_archE4294967295ELNS1_3gpuE0ELNS1_3repE0EEENS1_30default_config_static_selectorELNS0_4arch9wavefront6targetE0EEEvSZ_.numbered_sgpr, 0
	.set _ZN7rocprim17ROCPRIM_400000_NS6detail17trampoline_kernelINS0_13select_configILj256ELj13ELNS0_17block_load_methodE3ELS4_3ELS4_3ELNS0_20block_scan_algorithmE0ELj4294967295EEENS1_25partition_config_selectorILNS1_17partition_subalgoE3EjNS0_10empty_typeEbEEZZNS1_14partition_implILS8_3ELb0ES6_jNS0_17counting_iteratorIjlEEPS9_SE_NS0_5tupleIJPjSE_EEENSF_IJSE_SE_EEES9_SG_JZNS1_25segmented_radix_sort_implINS0_14default_configELb0EPK12hip_bfloat16PSL_PKlPlN2at6native12_GLOBAL__N_18offset_tEEE10hipError_tPvRmT1_PNSt15iterator_traitsISZ_E10value_typeET2_T3_PNS10_IS15_E10value_typeET4_jRbjT5_S1B_jjP12ihipStream_tbEUljE_EEESW_SX_SY_S15_S19_S1B_T6_T7_T9_mT8_S1D_bDpT10_ENKUlT_T0_E_clISt17integral_constantIbLb1EES1P_IbLb0EEEEDaS1L_S1M_EUlS1L_E_NS1_11comp_targetILNS1_3genE0ELNS1_11target_archE4294967295ELNS1_3gpuE0ELNS1_3repE0EEENS1_30default_config_static_selectorELNS0_4arch9wavefront6targetE0EEEvSZ_.num_named_barrier, 0
	.set _ZN7rocprim17ROCPRIM_400000_NS6detail17trampoline_kernelINS0_13select_configILj256ELj13ELNS0_17block_load_methodE3ELS4_3ELS4_3ELNS0_20block_scan_algorithmE0ELj4294967295EEENS1_25partition_config_selectorILNS1_17partition_subalgoE3EjNS0_10empty_typeEbEEZZNS1_14partition_implILS8_3ELb0ES6_jNS0_17counting_iteratorIjlEEPS9_SE_NS0_5tupleIJPjSE_EEENSF_IJSE_SE_EEES9_SG_JZNS1_25segmented_radix_sort_implINS0_14default_configELb0EPK12hip_bfloat16PSL_PKlPlN2at6native12_GLOBAL__N_18offset_tEEE10hipError_tPvRmT1_PNSt15iterator_traitsISZ_E10value_typeET2_T3_PNS10_IS15_E10value_typeET4_jRbjT5_S1B_jjP12ihipStream_tbEUljE_EEESW_SX_SY_S15_S19_S1B_T6_T7_T9_mT8_S1D_bDpT10_ENKUlT_T0_E_clISt17integral_constantIbLb1EES1P_IbLb0EEEEDaS1L_S1M_EUlS1L_E_NS1_11comp_targetILNS1_3genE0ELNS1_11target_archE4294967295ELNS1_3gpuE0ELNS1_3repE0EEENS1_30default_config_static_selectorELNS0_4arch9wavefront6targetE0EEEvSZ_.private_seg_size, 0
	.set _ZN7rocprim17ROCPRIM_400000_NS6detail17trampoline_kernelINS0_13select_configILj256ELj13ELNS0_17block_load_methodE3ELS4_3ELS4_3ELNS0_20block_scan_algorithmE0ELj4294967295EEENS1_25partition_config_selectorILNS1_17partition_subalgoE3EjNS0_10empty_typeEbEEZZNS1_14partition_implILS8_3ELb0ES6_jNS0_17counting_iteratorIjlEEPS9_SE_NS0_5tupleIJPjSE_EEENSF_IJSE_SE_EEES9_SG_JZNS1_25segmented_radix_sort_implINS0_14default_configELb0EPK12hip_bfloat16PSL_PKlPlN2at6native12_GLOBAL__N_18offset_tEEE10hipError_tPvRmT1_PNSt15iterator_traitsISZ_E10value_typeET2_T3_PNS10_IS15_E10value_typeET4_jRbjT5_S1B_jjP12ihipStream_tbEUljE_EEESW_SX_SY_S15_S19_S1B_T6_T7_T9_mT8_S1D_bDpT10_ENKUlT_T0_E_clISt17integral_constantIbLb1EES1P_IbLb0EEEEDaS1L_S1M_EUlS1L_E_NS1_11comp_targetILNS1_3genE0ELNS1_11target_archE4294967295ELNS1_3gpuE0ELNS1_3repE0EEENS1_30default_config_static_selectorELNS0_4arch9wavefront6targetE0EEEvSZ_.uses_vcc, 0
	.set _ZN7rocprim17ROCPRIM_400000_NS6detail17trampoline_kernelINS0_13select_configILj256ELj13ELNS0_17block_load_methodE3ELS4_3ELS4_3ELNS0_20block_scan_algorithmE0ELj4294967295EEENS1_25partition_config_selectorILNS1_17partition_subalgoE3EjNS0_10empty_typeEbEEZZNS1_14partition_implILS8_3ELb0ES6_jNS0_17counting_iteratorIjlEEPS9_SE_NS0_5tupleIJPjSE_EEENSF_IJSE_SE_EEES9_SG_JZNS1_25segmented_radix_sort_implINS0_14default_configELb0EPK12hip_bfloat16PSL_PKlPlN2at6native12_GLOBAL__N_18offset_tEEE10hipError_tPvRmT1_PNSt15iterator_traitsISZ_E10value_typeET2_T3_PNS10_IS15_E10value_typeET4_jRbjT5_S1B_jjP12ihipStream_tbEUljE_EEESW_SX_SY_S15_S19_S1B_T6_T7_T9_mT8_S1D_bDpT10_ENKUlT_T0_E_clISt17integral_constantIbLb1EES1P_IbLb0EEEEDaS1L_S1M_EUlS1L_E_NS1_11comp_targetILNS1_3genE0ELNS1_11target_archE4294967295ELNS1_3gpuE0ELNS1_3repE0EEENS1_30default_config_static_selectorELNS0_4arch9wavefront6targetE0EEEvSZ_.uses_flat_scratch, 0
	.set _ZN7rocprim17ROCPRIM_400000_NS6detail17trampoline_kernelINS0_13select_configILj256ELj13ELNS0_17block_load_methodE3ELS4_3ELS4_3ELNS0_20block_scan_algorithmE0ELj4294967295EEENS1_25partition_config_selectorILNS1_17partition_subalgoE3EjNS0_10empty_typeEbEEZZNS1_14partition_implILS8_3ELb0ES6_jNS0_17counting_iteratorIjlEEPS9_SE_NS0_5tupleIJPjSE_EEENSF_IJSE_SE_EEES9_SG_JZNS1_25segmented_radix_sort_implINS0_14default_configELb0EPK12hip_bfloat16PSL_PKlPlN2at6native12_GLOBAL__N_18offset_tEEE10hipError_tPvRmT1_PNSt15iterator_traitsISZ_E10value_typeET2_T3_PNS10_IS15_E10value_typeET4_jRbjT5_S1B_jjP12ihipStream_tbEUljE_EEESW_SX_SY_S15_S19_S1B_T6_T7_T9_mT8_S1D_bDpT10_ENKUlT_T0_E_clISt17integral_constantIbLb1EES1P_IbLb0EEEEDaS1L_S1M_EUlS1L_E_NS1_11comp_targetILNS1_3genE0ELNS1_11target_archE4294967295ELNS1_3gpuE0ELNS1_3repE0EEENS1_30default_config_static_selectorELNS0_4arch9wavefront6targetE0EEEvSZ_.has_dyn_sized_stack, 0
	.set _ZN7rocprim17ROCPRIM_400000_NS6detail17trampoline_kernelINS0_13select_configILj256ELj13ELNS0_17block_load_methodE3ELS4_3ELS4_3ELNS0_20block_scan_algorithmE0ELj4294967295EEENS1_25partition_config_selectorILNS1_17partition_subalgoE3EjNS0_10empty_typeEbEEZZNS1_14partition_implILS8_3ELb0ES6_jNS0_17counting_iteratorIjlEEPS9_SE_NS0_5tupleIJPjSE_EEENSF_IJSE_SE_EEES9_SG_JZNS1_25segmented_radix_sort_implINS0_14default_configELb0EPK12hip_bfloat16PSL_PKlPlN2at6native12_GLOBAL__N_18offset_tEEE10hipError_tPvRmT1_PNSt15iterator_traitsISZ_E10value_typeET2_T3_PNS10_IS15_E10value_typeET4_jRbjT5_S1B_jjP12ihipStream_tbEUljE_EEESW_SX_SY_S15_S19_S1B_T6_T7_T9_mT8_S1D_bDpT10_ENKUlT_T0_E_clISt17integral_constantIbLb1EES1P_IbLb0EEEEDaS1L_S1M_EUlS1L_E_NS1_11comp_targetILNS1_3genE0ELNS1_11target_archE4294967295ELNS1_3gpuE0ELNS1_3repE0EEENS1_30default_config_static_selectorELNS0_4arch9wavefront6targetE0EEEvSZ_.has_recursion, 0
	.set _ZN7rocprim17ROCPRIM_400000_NS6detail17trampoline_kernelINS0_13select_configILj256ELj13ELNS0_17block_load_methodE3ELS4_3ELS4_3ELNS0_20block_scan_algorithmE0ELj4294967295EEENS1_25partition_config_selectorILNS1_17partition_subalgoE3EjNS0_10empty_typeEbEEZZNS1_14partition_implILS8_3ELb0ES6_jNS0_17counting_iteratorIjlEEPS9_SE_NS0_5tupleIJPjSE_EEENSF_IJSE_SE_EEES9_SG_JZNS1_25segmented_radix_sort_implINS0_14default_configELb0EPK12hip_bfloat16PSL_PKlPlN2at6native12_GLOBAL__N_18offset_tEEE10hipError_tPvRmT1_PNSt15iterator_traitsISZ_E10value_typeET2_T3_PNS10_IS15_E10value_typeET4_jRbjT5_S1B_jjP12ihipStream_tbEUljE_EEESW_SX_SY_S15_S19_S1B_T6_T7_T9_mT8_S1D_bDpT10_ENKUlT_T0_E_clISt17integral_constantIbLb1EES1P_IbLb0EEEEDaS1L_S1M_EUlS1L_E_NS1_11comp_targetILNS1_3genE0ELNS1_11target_archE4294967295ELNS1_3gpuE0ELNS1_3repE0EEENS1_30default_config_static_selectorELNS0_4arch9wavefront6targetE0EEEvSZ_.has_indirect_call, 0
	.section	.AMDGPU.csdata,"",@progbits
; Kernel info:
; codeLenInByte = 0
; TotalNumSgprs: 0
; NumVgprs: 0
; ScratchSize: 0
; MemoryBound: 0
; FloatMode: 240
; IeeeMode: 1
; LDSByteSize: 0 bytes/workgroup (compile time only)
; SGPRBlocks: 0
; VGPRBlocks: 0
; NumSGPRsForWavesPerEU: 1
; NumVGPRsForWavesPerEU: 1
; Occupancy: 16
; WaveLimiterHint : 0
; COMPUTE_PGM_RSRC2:SCRATCH_EN: 0
; COMPUTE_PGM_RSRC2:USER_SGPR: 2
; COMPUTE_PGM_RSRC2:TRAP_HANDLER: 0
; COMPUTE_PGM_RSRC2:TGID_X_EN: 1
; COMPUTE_PGM_RSRC2:TGID_Y_EN: 0
; COMPUTE_PGM_RSRC2:TGID_Z_EN: 0
; COMPUTE_PGM_RSRC2:TIDIG_COMP_CNT: 0
	.section	.text._ZN7rocprim17ROCPRIM_400000_NS6detail17trampoline_kernelINS0_13select_configILj256ELj13ELNS0_17block_load_methodE3ELS4_3ELS4_3ELNS0_20block_scan_algorithmE0ELj4294967295EEENS1_25partition_config_selectorILNS1_17partition_subalgoE3EjNS0_10empty_typeEbEEZZNS1_14partition_implILS8_3ELb0ES6_jNS0_17counting_iteratorIjlEEPS9_SE_NS0_5tupleIJPjSE_EEENSF_IJSE_SE_EEES9_SG_JZNS1_25segmented_radix_sort_implINS0_14default_configELb0EPK12hip_bfloat16PSL_PKlPlN2at6native12_GLOBAL__N_18offset_tEEE10hipError_tPvRmT1_PNSt15iterator_traitsISZ_E10value_typeET2_T3_PNS10_IS15_E10value_typeET4_jRbjT5_S1B_jjP12ihipStream_tbEUljE_EEESW_SX_SY_S15_S19_S1B_T6_T7_T9_mT8_S1D_bDpT10_ENKUlT_T0_E_clISt17integral_constantIbLb1EES1P_IbLb0EEEEDaS1L_S1M_EUlS1L_E_NS1_11comp_targetILNS1_3genE5ELNS1_11target_archE942ELNS1_3gpuE9ELNS1_3repE0EEENS1_30default_config_static_selectorELNS0_4arch9wavefront6targetE0EEEvSZ_,"axG",@progbits,_ZN7rocprim17ROCPRIM_400000_NS6detail17trampoline_kernelINS0_13select_configILj256ELj13ELNS0_17block_load_methodE3ELS4_3ELS4_3ELNS0_20block_scan_algorithmE0ELj4294967295EEENS1_25partition_config_selectorILNS1_17partition_subalgoE3EjNS0_10empty_typeEbEEZZNS1_14partition_implILS8_3ELb0ES6_jNS0_17counting_iteratorIjlEEPS9_SE_NS0_5tupleIJPjSE_EEENSF_IJSE_SE_EEES9_SG_JZNS1_25segmented_radix_sort_implINS0_14default_configELb0EPK12hip_bfloat16PSL_PKlPlN2at6native12_GLOBAL__N_18offset_tEEE10hipError_tPvRmT1_PNSt15iterator_traitsISZ_E10value_typeET2_T3_PNS10_IS15_E10value_typeET4_jRbjT5_S1B_jjP12ihipStream_tbEUljE_EEESW_SX_SY_S15_S19_S1B_T6_T7_T9_mT8_S1D_bDpT10_ENKUlT_T0_E_clISt17integral_constantIbLb1EES1P_IbLb0EEEEDaS1L_S1M_EUlS1L_E_NS1_11comp_targetILNS1_3genE5ELNS1_11target_archE942ELNS1_3gpuE9ELNS1_3repE0EEENS1_30default_config_static_selectorELNS0_4arch9wavefront6targetE0EEEvSZ_,comdat
	.globl	_ZN7rocprim17ROCPRIM_400000_NS6detail17trampoline_kernelINS0_13select_configILj256ELj13ELNS0_17block_load_methodE3ELS4_3ELS4_3ELNS0_20block_scan_algorithmE0ELj4294967295EEENS1_25partition_config_selectorILNS1_17partition_subalgoE3EjNS0_10empty_typeEbEEZZNS1_14partition_implILS8_3ELb0ES6_jNS0_17counting_iteratorIjlEEPS9_SE_NS0_5tupleIJPjSE_EEENSF_IJSE_SE_EEES9_SG_JZNS1_25segmented_radix_sort_implINS0_14default_configELb0EPK12hip_bfloat16PSL_PKlPlN2at6native12_GLOBAL__N_18offset_tEEE10hipError_tPvRmT1_PNSt15iterator_traitsISZ_E10value_typeET2_T3_PNS10_IS15_E10value_typeET4_jRbjT5_S1B_jjP12ihipStream_tbEUljE_EEESW_SX_SY_S15_S19_S1B_T6_T7_T9_mT8_S1D_bDpT10_ENKUlT_T0_E_clISt17integral_constantIbLb1EES1P_IbLb0EEEEDaS1L_S1M_EUlS1L_E_NS1_11comp_targetILNS1_3genE5ELNS1_11target_archE942ELNS1_3gpuE9ELNS1_3repE0EEENS1_30default_config_static_selectorELNS0_4arch9wavefront6targetE0EEEvSZ_ ; -- Begin function _ZN7rocprim17ROCPRIM_400000_NS6detail17trampoline_kernelINS0_13select_configILj256ELj13ELNS0_17block_load_methodE3ELS4_3ELS4_3ELNS0_20block_scan_algorithmE0ELj4294967295EEENS1_25partition_config_selectorILNS1_17partition_subalgoE3EjNS0_10empty_typeEbEEZZNS1_14partition_implILS8_3ELb0ES6_jNS0_17counting_iteratorIjlEEPS9_SE_NS0_5tupleIJPjSE_EEENSF_IJSE_SE_EEES9_SG_JZNS1_25segmented_radix_sort_implINS0_14default_configELb0EPK12hip_bfloat16PSL_PKlPlN2at6native12_GLOBAL__N_18offset_tEEE10hipError_tPvRmT1_PNSt15iterator_traitsISZ_E10value_typeET2_T3_PNS10_IS15_E10value_typeET4_jRbjT5_S1B_jjP12ihipStream_tbEUljE_EEESW_SX_SY_S15_S19_S1B_T6_T7_T9_mT8_S1D_bDpT10_ENKUlT_T0_E_clISt17integral_constantIbLb1EES1P_IbLb0EEEEDaS1L_S1M_EUlS1L_E_NS1_11comp_targetILNS1_3genE5ELNS1_11target_archE942ELNS1_3gpuE9ELNS1_3repE0EEENS1_30default_config_static_selectorELNS0_4arch9wavefront6targetE0EEEvSZ_
	.p2align	8
	.type	_ZN7rocprim17ROCPRIM_400000_NS6detail17trampoline_kernelINS0_13select_configILj256ELj13ELNS0_17block_load_methodE3ELS4_3ELS4_3ELNS0_20block_scan_algorithmE0ELj4294967295EEENS1_25partition_config_selectorILNS1_17partition_subalgoE3EjNS0_10empty_typeEbEEZZNS1_14partition_implILS8_3ELb0ES6_jNS0_17counting_iteratorIjlEEPS9_SE_NS0_5tupleIJPjSE_EEENSF_IJSE_SE_EEES9_SG_JZNS1_25segmented_radix_sort_implINS0_14default_configELb0EPK12hip_bfloat16PSL_PKlPlN2at6native12_GLOBAL__N_18offset_tEEE10hipError_tPvRmT1_PNSt15iterator_traitsISZ_E10value_typeET2_T3_PNS10_IS15_E10value_typeET4_jRbjT5_S1B_jjP12ihipStream_tbEUljE_EEESW_SX_SY_S15_S19_S1B_T6_T7_T9_mT8_S1D_bDpT10_ENKUlT_T0_E_clISt17integral_constantIbLb1EES1P_IbLb0EEEEDaS1L_S1M_EUlS1L_E_NS1_11comp_targetILNS1_3genE5ELNS1_11target_archE942ELNS1_3gpuE9ELNS1_3repE0EEENS1_30default_config_static_selectorELNS0_4arch9wavefront6targetE0EEEvSZ_,@function
_ZN7rocprim17ROCPRIM_400000_NS6detail17trampoline_kernelINS0_13select_configILj256ELj13ELNS0_17block_load_methodE3ELS4_3ELS4_3ELNS0_20block_scan_algorithmE0ELj4294967295EEENS1_25partition_config_selectorILNS1_17partition_subalgoE3EjNS0_10empty_typeEbEEZZNS1_14partition_implILS8_3ELb0ES6_jNS0_17counting_iteratorIjlEEPS9_SE_NS0_5tupleIJPjSE_EEENSF_IJSE_SE_EEES9_SG_JZNS1_25segmented_radix_sort_implINS0_14default_configELb0EPK12hip_bfloat16PSL_PKlPlN2at6native12_GLOBAL__N_18offset_tEEE10hipError_tPvRmT1_PNSt15iterator_traitsISZ_E10value_typeET2_T3_PNS10_IS15_E10value_typeET4_jRbjT5_S1B_jjP12ihipStream_tbEUljE_EEESW_SX_SY_S15_S19_S1B_T6_T7_T9_mT8_S1D_bDpT10_ENKUlT_T0_E_clISt17integral_constantIbLb1EES1P_IbLb0EEEEDaS1L_S1M_EUlS1L_E_NS1_11comp_targetILNS1_3genE5ELNS1_11target_archE942ELNS1_3gpuE9ELNS1_3repE0EEENS1_30default_config_static_selectorELNS0_4arch9wavefront6targetE0EEEvSZ_: ; @_ZN7rocprim17ROCPRIM_400000_NS6detail17trampoline_kernelINS0_13select_configILj256ELj13ELNS0_17block_load_methodE3ELS4_3ELS4_3ELNS0_20block_scan_algorithmE0ELj4294967295EEENS1_25partition_config_selectorILNS1_17partition_subalgoE3EjNS0_10empty_typeEbEEZZNS1_14partition_implILS8_3ELb0ES6_jNS0_17counting_iteratorIjlEEPS9_SE_NS0_5tupleIJPjSE_EEENSF_IJSE_SE_EEES9_SG_JZNS1_25segmented_radix_sort_implINS0_14default_configELb0EPK12hip_bfloat16PSL_PKlPlN2at6native12_GLOBAL__N_18offset_tEEE10hipError_tPvRmT1_PNSt15iterator_traitsISZ_E10value_typeET2_T3_PNS10_IS15_E10value_typeET4_jRbjT5_S1B_jjP12ihipStream_tbEUljE_EEESW_SX_SY_S15_S19_S1B_T6_T7_T9_mT8_S1D_bDpT10_ENKUlT_T0_E_clISt17integral_constantIbLb1EES1P_IbLb0EEEEDaS1L_S1M_EUlS1L_E_NS1_11comp_targetILNS1_3genE5ELNS1_11target_archE942ELNS1_3gpuE9ELNS1_3repE0EEENS1_30default_config_static_selectorELNS0_4arch9wavefront6targetE0EEEvSZ_
; %bb.0:
	.section	.rodata,"a",@progbits
	.p2align	6, 0x0
	.amdhsa_kernel _ZN7rocprim17ROCPRIM_400000_NS6detail17trampoline_kernelINS0_13select_configILj256ELj13ELNS0_17block_load_methodE3ELS4_3ELS4_3ELNS0_20block_scan_algorithmE0ELj4294967295EEENS1_25partition_config_selectorILNS1_17partition_subalgoE3EjNS0_10empty_typeEbEEZZNS1_14partition_implILS8_3ELb0ES6_jNS0_17counting_iteratorIjlEEPS9_SE_NS0_5tupleIJPjSE_EEENSF_IJSE_SE_EEES9_SG_JZNS1_25segmented_radix_sort_implINS0_14default_configELb0EPK12hip_bfloat16PSL_PKlPlN2at6native12_GLOBAL__N_18offset_tEEE10hipError_tPvRmT1_PNSt15iterator_traitsISZ_E10value_typeET2_T3_PNS10_IS15_E10value_typeET4_jRbjT5_S1B_jjP12ihipStream_tbEUljE_EEESW_SX_SY_S15_S19_S1B_T6_T7_T9_mT8_S1D_bDpT10_ENKUlT_T0_E_clISt17integral_constantIbLb1EES1P_IbLb0EEEEDaS1L_S1M_EUlS1L_E_NS1_11comp_targetILNS1_3genE5ELNS1_11target_archE942ELNS1_3gpuE9ELNS1_3repE0EEENS1_30default_config_static_selectorELNS0_4arch9wavefront6targetE0EEEvSZ_
		.amdhsa_group_segment_fixed_size 0
		.amdhsa_private_segment_fixed_size 0
		.amdhsa_kernarg_size 144
		.amdhsa_user_sgpr_count 2
		.amdhsa_user_sgpr_dispatch_ptr 0
		.amdhsa_user_sgpr_queue_ptr 0
		.amdhsa_user_sgpr_kernarg_segment_ptr 1
		.amdhsa_user_sgpr_dispatch_id 0
		.amdhsa_user_sgpr_private_segment_size 0
		.amdhsa_wavefront_size32 1
		.amdhsa_uses_dynamic_stack 0
		.amdhsa_enable_private_segment 0
		.amdhsa_system_sgpr_workgroup_id_x 1
		.amdhsa_system_sgpr_workgroup_id_y 0
		.amdhsa_system_sgpr_workgroup_id_z 0
		.amdhsa_system_sgpr_workgroup_info 0
		.amdhsa_system_vgpr_workitem_id 0
		.amdhsa_next_free_vgpr 1
		.amdhsa_next_free_sgpr 1
		.amdhsa_reserve_vcc 0
		.amdhsa_float_round_mode_32 0
		.amdhsa_float_round_mode_16_64 0
		.amdhsa_float_denorm_mode_32 3
		.amdhsa_float_denorm_mode_16_64 3
		.amdhsa_fp16_overflow 0
		.amdhsa_workgroup_processor_mode 1
		.amdhsa_memory_ordered 1
		.amdhsa_forward_progress 1
		.amdhsa_inst_pref_size 0
		.amdhsa_round_robin_scheduling 0
		.amdhsa_exception_fp_ieee_invalid_op 0
		.amdhsa_exception_fp_denorm_src 0
		.amdhsa_exception_fp_ieee_div_zero 0
		.amdhsa_exception_fp_ieee_overflow 0
		.amdhsa_exception_fp_ieee_underflow 0
		.amdhsa_exception_fp_ieee_inexact 0
		.amdhsa_exception_int_div_zero 0
	.end_amdhsa_kernel
	.section	.text._ZN7rocprim17ROCPRIM_400000_NS6detail17trampoline_kernelINS0_13select_configILj256ELj13ELNS0_17block_load_methodE3ELS4_3ELS4_3ELNS0_20block_scan_algorithmE0ELj4294967295EEENS1_25partition_config_selectorILNS1_17partition_subalgoE3EjNS0_10empty_typeEbEEZZNS1_14partition_implILS8_3ELb0ES6_jNS0_17counting_iteratorIjlEEPS9_SE_NS0_5tupleIJPjSE_EEENSF_IJSE_SE_EEES9_SG_JZNS1_25segmented_radix_sort_implINS0_14default_configELb0EPK12hip_bfloat16PSL_PKlPlN2at6native12_GLOBAL__N_18offset_tEEE10hipError_tPvRmT1_PNSt15iterator_traitsISZ_E10value_typeET2_T3_PNS10_IS15_E10value_typeET4_jRbjT5_S1B_jjP12ihipStream_tbEUljE_EEESW_SX_SY_S15_S19_S1B_T6_T7_T9_mT8_S1D_bDpT10_ENKUlT_T0_E_clISt17integral_constantIbLb1EES1P_IbLb0EEEEDaS1L_S1M_EUlS1L_E_NS1_11comp_targetILNS1_3genE5ELNS1_11target_archE942ELNS1_3gpuE9ELNS1_3repE0EEENS1_30default_config_static_selectorELNS0_4arch9wavefront6targetE0EEEvSZ_,"axG",@progbits,_ZN7rocprim17ROCPRIM_400000_NS6detail17trampoline_kernelINS0_13select_configILj256ELj13ELNS0_17block_load_methodE3ELS4_3ELS4_3ELNS0_20block_scan_algorithmE0ELj4294967295EEENS1_25partition_config_selectorILNS1_17partition_subalgoE3EjNS0_10empty_typeEbEEZZNS1_14partition_implILS8_3ELb0ES6_jNS0_17counting_iteratorIjlEEPS9_SE_NS0_5tupleIJPjSE_EEENSF_IJSE_SE_EEES9_SG_JZNS1_25segmented_radix_sort_implINS0_14default_configELb0EPK12hip_bfloat16PSL_PKlPlN2at6native12_GLOBAL__N_18offset_tEEE10hipError_tPvRmT1_PNSt15iterator_traitsISZ_E10value_typeET2_T3_PNS10_IS15_E10value_typeET4_jRbjT5_S1B_jjP12ihipStream_tbEUljE_EEESW_SX_SY_S15_S19_S1B_T6_T7_T9_mT8_S1D_bDpT10_ENKUlT_T0_E_clISt17integral_constantIbLb1EES1P_IbLb0EEEEDaS1L_S1M_EUlS1L_E_NS1_11comp_targetILNS1_3genE5ELNS1_11target_archE942ELNS1_3gpuE9ELNS1_3repE0EEENS1_30default_config_static_selectorELNS0_4arch9wavefront6targetE0EEEvSZ_,comdat
.Lfunc_end2034:
	.size	_ZN7rocprim17ROCPRIM_400000_NS6detail17trampoline_kernelINS0_13select_configILj256ELj13ELNS0_17block_load_methodE3ELS4_3ELS4_3ELNS0_20block_scan_algorithmE0ELj4294967295EEENS1_25partition_config_selectorILNS1_17partition_subalgoE3EjNS0_10empty_typeEbEEZZNS1_14partition_implILS8_3ELb0ES6_jNS0_17counting_iteratorIjlEEPS9_SE_NS0_5tupleIJPjSE_EEENSF_IJSE_SE_EEES9_SG_JZNS1_25segmented_radix_sort_implINS0_14default_configELb0EPK12hip_bfloat16PSL_PKlPlN2at6native12_GLOBAL__N_18offset_tEEE10hipError_tPvRmT1_PNSt15iterator_traitsISZ_E10value_typeET2_T3_PNS10_IS15_E10value_typeET4_jRbjT5_S1B_jjP12ihipStream_tbEUljE_EEESW_SX_SY_S15_S19_S1B_T6_T7_T9_mT8_S1D_bDpT10_ENKUlT_T0_E_clISt17integral_constantIbLb1EES1P_IbLb0EEEEDaS1L_S1M_EUlS1L_E_NS1_11comp_targetILNS1_3genE5ELNS1_11target_archE942ELNS1_3gpuE9ELNS1_3repE0EEENS1_30default_config_static_selectorELNS0_4arch9wavefront6targetE0EEEvSZ_, .Lfunc_end2034-_ZN7rocprim17ROCPRIM_400000_NS6detail17trampoline_kernelINS0_13select_configILj256ELj13ELNS0_17block_load_methodE3ELS4_3ELS4_3ELNS0_20block_scan_algorithmE0ELj4294967295EEENS1_25partition_config_selectorILNS1_17partition_subalgoE3EjNS0_10empty_typeEbEEZZNS1_14partition_implILS8_3ELb0ES6_jNS0_17counting_iteratorIjlEEPS9_SE_NS0_5tupleIJPjSE_EEENSF_IJSE_SE_EEES9_SG_JZNS1_25segmented_radix_sort_implINS0_14default_configELb0EPK12hip_bfloat16PSL_PKlPlN2at6native12_GLOBAL__N_18offset_tEEE10hipError_tPvRmT1_PNSt15iterator_traitsISZ_E10value_typeET2_T3_PNS10_IS15_E10value_typeET4_jRbjT5_S1B_jjP12ihipStream_tbEUljE_EEESW_SX_SY_S15_S19_S1B_T6_T7_T9_mT8_S1D_bDpT10_ENKUlT_T0_E_clISt17integral_constantIbLb1EES1P_IbLb0EEEEDaS1L_S1M_EUlS1L_E_NS1_11comp_targetILNS1_3genE5ELNS1_11target_archE942ELNS1_3gpuE9ELNS1_3repE0EEENS1_30default_config_static_selectorELNS0_4arch9wavefront6targetE0EEEvSZ_
                                        ; -- End function
	.set _ZN7rocprim17ROCPRIM_400000_NS6detail17trampoline_kernelINS0_13select_configILj256ELj13ELNS0_17block_load_methodE3ELS4_3ELS4_3ELNS0_20block_scan_algorithmE0ELj4294967295EEENS1_25partition_config_selectorILNS1_17partition_subalgoE3EjNS0_10empty_typeEbEEZZNS1_14partition_implILS8_3ELb0ES6_jNS0_17counting_iteratorIjlEEPS9_SE_NS0_5tupleIJPjSE_EEENSF_IJSE_SE_EEES9_SG_JZNS1_25segmented_radix_sort_implINS0_14default_configELb0EPK12hip_bfloat16PSL_PKlPlN2at6native12_GLOBAL__N_18offset_tEEE10hipError_tPvRmT1_PNSt15iterator_traitsISZ_E10value_typeET2_T3_PNS10_IS15_E10value_typeET4_jRbjT5_S1B_jjP12ihipStream_tbEUljE_EEESW_SX_SY_S15_S19_S1B_T6_T7_T9_mT8_S1D_bDpT10_ENKUlT_T0_E_clISt17integral_constantIbLb1EES1P_IbLb0EEEEDaS1L_S1M_EUlS1L_E_NS1_11comp_targetILNS1_3genE5ELNS1_11target_archE942ELNS1_3gpuE9ELNS1_3repE0EEENS1_30default_config_static_selectorELNS0_4arch9wavefront6targetE0EEEvSZ_.num_vgpr, 0
	.set _ZN7rocprim17ROCPRIM_400000_NS6detail17trampoline_kernelINS0_13select_configILj256ELj13ELNS0_17block_load_methodE3ELS4_3ELS4_3ELNS0_20block_scan_algorithmE0ELj4294967295EEENS1_25partition_config_selectorILNS1_17partition_subalgoE3EjNS0_10empty_typeEbEEZZNS1_14partition_implILS8_3ELb0ES6_jNS0_17counting_iteratorIjlEEPS9_SE_NS0_5tupleIJPjSE_EEENSF_IJSE_SE_EEES9_SG_JZNS1_25segmented_radix_sort_implINS0_14default_configELb0EPK12hip_bfloat16PSL_PKlPlN2at6native12_GLOBAL__N_18offset_tEEE10hipError_tPvRmT1_PNSt15iterator_traitsISZ_E10value_typeET2_T3_PNS10_IS15_E10value_typeET4_jRbjT5_S1B_jjP12ihipStream_tbEUljE_EEESW_SX_SY_S15_S19_S1B_T6_T7_T9_mT8_S1D_bDpT10_ENKUlT_T0_E_clISt17integral_constantIbLb1EES1P_IbLb0EEEEDaS1L_S1M_EUlS1L_E_NS1_11comp_targetILNS1_3genE5ELNS1_11target_archE942ELNS1_3gpuE9ELNS1_3repE0EEENS1_30default_config_static_selectorELNS0_4arch9wavefront6targetE0EEEvSZ_.num_agpr, 0
	.set _ZN7rocprim17ROCPRIM_400000_NS6detail17trampoline_kernelINS0_13select_configILj256ELj13ELNS0_17block_load_methodE3ELS4_3ELS4_3ELNS0_20block_scan_algorithmE0ELj4294967295EEENS1_25partition_config_selectorILNS1_17partition_subalgoE3EjNS0_10empty_typeEbEEZZNS1_14partition_implILS8_3ELb0ES6_jNS0_17counting_iteratorIjlEEPS9_SE_NS0_5tupleIJPjSE_EEENSF_IJSE_SE_EEES9_SG_JZNS1_25segmented_radix_sort_implINS0_14default_configELb0EPK12hip_bfloat16PSL_PKlPlN2at6native12_GLOBAL__N_18offset_tEEE10hipError_tPvRmT1_PNSt15iterator_traitsISZ_E10value_typeET2_T3_PNS10_IS15_E10value_typeET4_jRbjT5_S1B_jjP12ihipStream_tbEUljE_EEESW_SX_SY_S15_S19_S1B_T6_T7_T9_mT8_S1D_bDpT10_ENKUlT_T0_E_clISt17integral_constantIbLb1EES1P_IbLb0EEEEDaS1L_S1M_EUlS1L_E_NS1_11comp_targetILNS1_3genE5ELNS1_11target_archE942ELNS1_3gpuE9ELNS1_3repE0EEENS1_30default_config_static_selectorELNS0_4arch9wavefront6targetE0EEEvSZ_.numbered_sgpr, 0
	.set _ZN7rocprim17ROCPRIM_400000_NS6detail17trampoline_kernelINS0_13select_configILj256ELj13ELNS0_17block_load_methodE3ELS4_3ELS4_3ELNS0_20block_scan_algorithmE0ELj4294967295EEENS1_25partition_config_selectorILNS1_17partition_subalgoE3EjNS0_10empty_typeEbEEZZNS1_14partition_implILS8_3ELb0ES6_jNS0_17counting_iteratorIjlEEPS9_SE_NS0_5tupleIJPjSE_EEENSF_IJSE_SE_EEES9_SG_JZNS1_25segmented_radix_sort_implINS0_14default_configELb0EPK12hip_bfloat16PSL_PKlPlN2at6native12_GLOBAL__N_18offset_tEEE10hipError_tPvRmT1_PNSt15iterator_traitsISZ_E10value_typeET2_T3_PNS10_IS15_E10value_typeET4_jRbjT5_S1B_jjP12ihipStream_tbEUljE_EEESW_SX_SY_S15_S19_S1B_T6_T7_T9_mT8_S1D_bDpT10_ENKUlT_T0_E_clISt17integral_constantIbLb1EES1P_IbLb0EEEEDaS1L_S1M_EUlS1L_E_NS1_11comp_targetILNS1_3genE5ELNS1_11target_archE942ELNS1_3gpuE9ELNS1_3repE0EEENS1_30default_config_static_selectorELNS0_4arch9wavefront6targetE0EEEvSZ_.num_named_barrier, 0
	.set _ZN7rocprim17ROCPRIM_400000_NS6detail17trampoline_kernelINS0_13select_configILj256ELj13ELNS0_17block_load_methodE3ELS4_3ELS4_3ELNS0_20block_scan_algorithmE0ELj4294967295EEENS1_25partition_config_selectorILNS1_17partition_subalgoE3EjNS0_10empty_typeEbEEZZNS1_14partition_implILS8_3ELb0ES6_jNS0_17counting_iteratorIjlEEPS9_SE_NS0_5tupleIJPjSE_EEENSF_IJSE_SE_EEES9_SG_JZNS1_25segmented_radix_sort_implINS0_14default_configELb0EPK12hip_bfloat16PSL_PKlPlN2at6native12_GLOBAL__N_18offset_tEEE10hipError_tPvRmT1_PNSt15iterator_traitsISZ_E10value_typeET2_T3_PNS10_IS15_E10value_typeET4_jRbjT5_S1B_jjP12ihipStream_tbEUljE_EEESW_SX_SY_S15_S19_S1B_T6_T7_T9_mT8_S1D_bDpT10_ENKUlT_T0_E_clISt17integral_constantIbLb1EES1P_IbLb0EEEEDaS1L_S1M_EUlS1L_E_NS1_11comp_targetILNS1_3genE5ELNS1_11target_archE942ELNS1_3gpuE9ELNS1_3repE0EEENS1_30default_config_static_selectorELNS0_4arch9wavefront6targetE0EEEvSZ_.private_seg_size, 0
	.set _ZN7rocprim17ROCPRIM_400000_NS6detail17trampoline_kernelINS0_13select_configILj256ELj13ELNS0_17block_load_methodE3ELS4_3ELS4_3ELNS0_20block_scan_algorithmE0ELj4294967295EEENS1_25partition_config_selectorILNS1_17partition_subalgoE3EjNS0_10empty_typeEbEEZZNS1_14partition_implILS8_3ELb0ES6_jNS0_17counting_iteratorIjlEEPS9_SE_NS0_5tupleIJPjSE_EEENSF_IJSE_SE_EEES9_SG_JZNS1_25segmented_radix_sort_implINS0_14default_configELb0EPK12hip_bfloat16PSL_PKlPlN2at6native12_GLOBAL__N_18offset_tEEE10hipError_tPvRmT1_PNSt15iterator_traitsISZ_E10value_typeET2_T3_PNS10_IS15_E10value_typeET4_jRbjT5_S1B_jjP12ihipStream_tbEUljE_EEESW_SX_SY_S15_S19_S1B_T6_T7_T9_mT8_S1D_bDpT10_ENKUlT_T0_E_clISt17integral_constantIbLb1EES1P_IbLb0EEEEDaS1L_S1M_EUlS1L_E_NS1_11comp_targetILNS1_3genE5ELNS1_11target_archE942ELNS1_3gpuE9ELNS1_3repE0EEENS1_30default_config_static_selectorELNS0_4arch9wavefront6targetE0EEEvSZ_.uses_vcc, 0
	.set _ZN7rocprim17ROCPRIM_400000_NS6detail17trampoline_kernelINS0_13select_configILj256ELj13ELNS0_17block_load_methodE3ELS4_3ELS4_3ELNS0_20block_scan_algorithmE0ELj4294967295EEENS1_25partition_config_selectorILNS1_17partition_subalgoE3EjNS0_10empty_typeEbEEZZNS1_14partition_implILS8_3ELb0ES6_jNS0_17counting_iteratorIjlEEPS9_SE_NS0_5tupleIJPjSE_EEENSF_IJSE_SE_EEES9_SG_JZNS1_25segmented_radix_sort_implINS0_14default_configELb0EPK12hip_bfloat16PSL_PKlPlN2at6native12_GLOBAL__N_18offset_tEEE10hipError_tPvRmT1_PNSt15iterator_traitsISZ_E10value_typeET2_T3_PNS10_IS15_E10value_typeET4_jRbjT5_S1B_jjP12ihipStream_tbEUljE_EEESW_SX_SY_S15_S19_S1B_T6_T7_T9_mT8_S1D_bDpT10_ENKUlT_T0_E_clISt17integral_constantIbLb1EES1P_IbLb0EEEEDaS1L_S1M_EUlS1L_E_NS1_11comp_targetILNS1_3genE5ELNS1_11target_archE942ELNS1_3gpuE9ELNS1_3repE0EEENS1_30default_config_static_selectorELNS0_4arch9wavefront6targetE0EEEvSZ_.uses_flat_scratch, 0
	.set _ZN7rocprim17ROCPRIM_400000_NS6detail17trampoline_kernelINS0_13select_configILj256ELj13ELNS0_17block_load_methodE3ELS4_3ELS4_3ELNS0_20block_scan_algorithmE0ELj4294967295EEENS1_25partition_config_selectorILNS1_17partition_subalgoE3EjNS0_10empty_typeEbEEZZNS1_14partition_implILS8_3ELb0ES6_jNS0_17counting_iteratorIjlEEPS9_SE_NS0_5tupleIJPjSE_EEENSF_IJSE_SE_EEES9_SG_JZNS1_25segmented_radix_sort_implINS0_14default_configELb0EPK12hip_bfloat16PSL_PKlPlN2at6native12_GLOBAL__N_18offset_tEEE10hipError_tPvRmT1_PNSt15iterator_traitsISZ_E10value_typeET2_T3_PNS10_IS15_E10value_typeET4_jRbjT5_S1B_jjP12ihipStream_tbEUljE_EEESW_SX_SY_S15_S19_S1B_T6_T7_T9_mT8_S1D_bDpT10_ENKUlT_T0_E_clISt17integral_constantIbLb1EES1P_IbLb0EEEEDaS1L_S1M_EUlS1L_E_NS1_11comp_targetILNS1_3genE5ELNS1_11target_archE942ELNS1_3gpuE9ELNS1_3repE0EEENS1_30default_config_static_selectorELNS0_4arch9wavefront6targetE0EEEvSZ_.has_dyn_sized_stack, 0
	.set _ZN7rocprim17ROCPRIM_400000_NS6detail17trampoline_kernelINS0_13select_configILj256ELj13ELNS0_17block_load_methodE3ELS4_3ELS4_3ELNS0_20block_scan_algorithmE0ELj4294967295EEENS1_25partition_config_selectorILNS1_17partition_subalgoE3EjNS0_10empty_typeEbEEZZNS1_14partition_implILS8_3ELb0ES6_jNS0_17counting_iteratorIjlEEPS9_SE_NS0_5tupleIJPjSE_EEENSF_IJSE_SE_EEES9_SG_JZNS1_25segmented_radix_sort_implINS0_14default_configELb0EPK12hip_bfloat16PSL_PKlPlN2at6native12_GLOBAL__N_18offset_tEEE10hipError_tPvRmT1_PNSt15iterator_traitsISZ_E10value_typeET2_T3_PNS10_IS15_E10value_typeET4_jRbjT5_S1B_jjP12ihipStream_tbEUljE_EEESW_SX_SY_S15_S19_S1B_T6_T7_T9_mT8_S1D_bDpT10_ENKUlT_T0_E_clISt17integral_constantIbLb1EES1P_IbLb0EEEEDaS1L_S1M_EUlS1L_E_NS1_11comp_targetILNS1_3genE5ELNS1_11target_archE942ELNS1_3gpuE9ELNS1_3repE0EEENS1_30default_config_static_selectorELNS0_4arch9wavefront6targetE0EEEvSZ_.has_recursion, 0
	.set _ZN7rocprim17ROCPRIM_400000_NS6detail17trampoline_kernelINS0_13select_configILj256ELj13ELNS0_17block_load_methodE3ELS4_3ELS4_3ELNS0_20block_scan_algorithmE0ELj4294967295EEENS1_25partition_config_selectorILNS1_17partition_subalgoE3EjNS0_10empty_typeEbEEZZNS1_14partition_implILS8_3ELb0ES6_jNS0_17counting_iteratorIjlEEPS9_SE_NS0_5tupleIJPjSE_EEENSF_IJSE_SE_EEES9_SG_JZNS1_25segmented_radix_sort_implINS0_14default_configELb0EPK12hip_bfloat16PSL_PKlPlN2at6native12_GLOBAL__N_18offset_tEEE10hipError_tPvRmT1_PNSt15iterator_traitsISZ_E10value_typeET2_T3_PNS10_IS15_E10value_typeET4_jRbjT5_S1B_jjP12ihipStream_tbEUljE_EEESW_SX_SY_S15_S19_S1B_T6_T7_T9_mT8_S1D_bDpT10_ENKUlT_T0_E_clISt17integral_constantIbLb1EES1P_IbLb0EEEEDaS1L_S1M_EUlS1L_E_NS1_11comp_targetILNS1_3genE5ELNS1_11target_archE942ELNS1_3gpuE9ELNS1_3repE0EEENS1_30default_config_static_selectorELNS0_4arch9wavefront6targetE0EEEvSZ_.has_indirect_call, 0
	.section	.AMDGPU.csdata,"",@progbits
; Kernel info:
; codeLenInByte = 0
; TotalNumSgprs: 0
; NumVgprs: 0
; ScratchSize: 0
; MemoryBound: 0
; FloatMode: 240
; IeeeMode: 1
; LDSByteSize: 0 bytes/workgroup (compile time only)
; SGPRBlocks: 0
; VGPRBlocks: 0
; NumSGPRsForWavesPerEU: 1
; NumVGPRsForWavesPerEU: 1
; Occupancy: 16
; WaveLimiterHint : 0
; COMPUTE_PGM_RSRC2:SCRATCH_EN: 0
; COMPUTE_PGM_RSRC2:USER_SGPR: 2
; COMPUTE_PGM_RSRC2:TRAP_HANDLER: 0
; COMPUTE_PGM_RSRC2:TGID_X_EN: 1
; COMPUTE_PGM_RSRC2:TGID_Y_EN: 0
; COMPUTE_PGM_RSRC2:TGID_Z_EN: 0
; COMPUTE_PGM_RSRC2:TIDIG_COMP_CNT: 0
	.section	.text._ZN7rocprim17ROCPRIM_400000_NS6detail17trampoline_kernelINS0_13select_configILj256ELj13ELNS0_17block_load_methodE3ELS4_3ELS4_3ELNS0_20block_scan_algorithmE0ELj4294967295EEENS1_25partition_config_selectorILNS1_17partition_subalgoE3EjNS0_10empty_typeEbEEZZNS1_14partition_implILS8_3ELb0ES6_jNS0_17counting_iteratorIjlEEPS9_SE_NS0_5tupleIJPjSE_EEENSF_IJSE_SE_EEES9_SG_JZNS1_25segmented_radix_sort_implINS0_14default_configELb0EPK12hip_bfloat16PSL_PKlPlN2at6native12_GLOBAL__N_18offset_tEEE10hipError_tPvRmT1_PNSt15iterator_traitsISZ_E10value_typeET2_T3_PNS10_IS15_E10value_typeET4_jRbjT5_S1B_jjP12ihipStream_tbEUljE_EEESW_SX_SY_S15_S19_S1B_T6_T7_T9_mT8_S1D_bDpT10_ENKUlT_T0_E_clISt17integral_constantIbLb1EES1P_IbLb0EEEEDaS1L_S1M_EUlS1L_E_NS1_11comp_targetILNS1_3genE4ELNS1_11target_archE910ELNS1_3gpuE8ELNS1_3repE0EEENS1_30default_config_static_selectorELNS0_4arch9wavefront6targetE0EEEvSZ_,"axG",@progbits,_ZN7rocprim17ROCPRIM_400000_NS6detail17trampoline_kernelINS0_13select_configILj256ELj13ELNS0_17block_load_methodE3ELS4_3ELS4_3ELNS0_20block_scan_algorithmE0ELj4294967295EEENS1_25partition_config_selectorILNS1_17partition_subalgoE3EjNS0_10empty_typeEbEEZZNS1_14partition_implILS8_3ELb0ES6_jNS0_17counting_iteratorIjlEEPS9_SE_NS0_5tupleIJPjSE_EEENSF_IJSE_SE_EEES9_SG_JZNS1_25segmented_radix_sort_implINS0_14default_configELb0EPK12hip_bfloat16PSL_PKlPlN2at6native12_GLOBAL__N_18offset_tEEE10hipError_tPvRmT1_PNSt15iterator_traitsISZ_E10value_typeET2_T3_PNS10_IS15_E10value_typeET4_jRbjT5_S1B_jjP12ihipStream_tbEUljE_EEESW_SX_SY_S15_S19_S1B_T6_T7_T9_mT8_S1D_bDpT10_ENKUlT_T0_E_clISt17integral_constantIbLb1EES1P_IbLb0EEEEDaS1L_S1M_EUlS1L_E_NS1_11comp_targetILNS1_3genE4ELNS1_11target_archE910ELNS1_3gpuE8ELNS1_3repE0EEENS1_30default_config_static_selectorELNS0_4arch9wavefront6targetE0EEEvSZ_,comdat
	.globl	_ZN7rocprim17ROCPRIM_400000_NS6detail17trampoline_kernelINS0_13select_configILj256ELj13ELNS0_17block_load_methodE3ELS4_3ELS4_3ELNS0_20block_scan_algorithmE0ELj4294967295EEENS1_25partition_config_selectorILNS1_17partition_subalgoE3EjNS0_10empty_typeEbEEZZNS1_14partition_implILS8_3ELb0ES6_jNS0_17counting_iteratorIjlEEPS9_SE_NS0_5tupleIJPjSE_EEENSF_IJSE_SE_EEES9_SG_JZNS1_25segmented_radix_sort_implINS0_14default_configELb0EPK12hip_bfloat16PSL_PKlPlN2at6native12_GLOBAL__N_18offset_tEEE10hipError_tPvRmT1_PNSt15iterator_traitsISZ_E10value_typeET2_T3_PNS10_IS15_E10value_typeET4_jRbjT5_S1B_jjP12ihipStream_tbEUljE_EEESW_SX_SY_S15_S19_S1B_T6_T7_T9_mT8_S1D_bDpT10_ENKUlT_T0_E_clISt17integral_constantIbLb1EES1P_IbLb0EEEEDaS1L_S1M_EUlS1L_E_NS1_11comp_targetILNS1_3genE4ELNS1_11target_archE910ELNS1_3gpuE8ELNS1_3repE0EEENS1_30default_config_static_selectorELNS0_4arch9wavefront6targetE0EEEvSZ_ ; -- Begin function _ZN7rocprim17ROCPRIM_400000_NS6detail17trampoline_kernelINS0_13select_configILj256ELj13ELNS0_17block_load_methodE3ELS4_3ELS4_3ELNS0_20block_scan_algorithmE0ELj4294967295EEENS1_25partition_config_selectorILNS1_17partition_subalgoE3EjNS0_10empty_typeEbEEZZNS1_14partition_implILS8_3ELb0ES6_jNS0_17counting_iteratorIjlEEPS9_SE_NS0_5tupleIJPjSE_EEENSF_IJSE_SE_EEES9_SG_JZNS1_25segmented_radix_sort_implINS0_14default_configELb0EPK12hip_bfloat16PSL_PKlPlN2at6native12_GLOBAL__N_18offset_tEEE10hipError_tPvRmT1_PNSt15iterator_traitsISZ_E10value_typeET2_T3_PNS10_IS15_E10value_typeET4_jRbjT5_S1B_jjP12ihipStream_tbEUljE_EEESW_SX_SY_S15_S19_S1B_T6_T7_T9_mT8_S1D_bDpT10_ENKUlT_T0_E_clISt17integral_constantIbLb1EES1P_IbLb0EEEEDaS1L_S1M_EUlS1L_E_NS1_11comp_targetILNS1_3genE4ELNS1_11target_archE910ELNS1_3gpuE8ELNS1_3repE0EEENS1_30default_config_static_selectorELNS0_4arch9wavefront6targetE0EEEvSZ_
	.p2align	8
	.type	_ZN7rocprim17ROCPRIM_400000_NS6detail17trampoline_kernelINS0_13select_configILj256ELj13ELNS0_17block_load_methodE3ELS4_3ELS4_3ELNS0_20block_scan_algorithmE0ELj4294967295EEENS1_25partition_config_selectorILNS1_17partition_subalgoE3EjNS0_10empty_typeEbEEZZNS1_14partition_implILS8_3ELb0ES6_jNS0_17counting_iteratorIjlEEPS9_SE_NS0_5tupleIJPjSE_EEENSF_IJSE_SE_EEES9_SG_JZNS1_25segmented_radix_sort_implINS0_14default_configELb0EPK12hip_bfloat16PSL_PKlPlN2at6native12_GLOBAL__N_18offset_tEEE10hipError_tPvRmT1_PNSt15iterator_traitsISZ_E10value_typeET2_T3_PNS10_IS15_E10value_typeET4_jRbjT5_S1B_jjP12ihipStream_tbEUljE_EEESW_SX_SY_S15_S19_S1B_T6_T7_T9_mT8_S1D_bDpT10_ENKUlT_T0_E_clISt17integral_constantIbLb1EES1P_IbLb0EEEEDaS1L_S1M_EUlS1L_E_NS1_11comp_targetILNS1_3genE4ELNS1_11target_archE910ELNS1_3gpuE8ELNS1_3repE0EEENS1_30default_config_static_selectorELNS0_4arch9wavefront6targetE0EEEvSZ_,@function
_ZN7rocprim17ROCPRIM_400000_NS6detail17trampoline_kernelINS0_13select_configILj256ELj13ELNS0_17block_load_methodE3ELS4_3ELS4_3ELNS0_20block_scan_algorithmE0ELj4294967295EEENS1_25partition_config_selectorILNS1_17partition_subalgoE3EjNS0_10empty_typeEbEEZZNS1_14partition_implILS8_3ELb0ES6_jNS0_17counting_iteratorIjlEEPS9_SE_NS0_5tupleIJPjSE_EEENSF_IJSE_SE_EEES9_SG_JZNS1_25segmented_radix_sort_implINS0_14default_configELb0EPK12hip_bfloat16PSL_PKlPlN2at6native12_GLOBAL__N_18offset_tEEE10hipError_tPvRmT1_PNSt15iterator_traitsISZ_E10value_typeET2_T3_PNS10_IS15_E10value_typeET4_jRbjT5_S1B_jjP12ihipStream_tbEUljE_EEESW_SX_SY_S15_S19_S1B_T6_T7_T9_mT8_S1D_bDpT10_ENKUlT_T0_E_clISt17integral_constantIbLb1EES1P_IbLb0EEEEDaS1L_S1M_EUlS1L_E_NS1_11comp_targetILNS1_3genE4ELNS1_11target_archE910ELNS1_3gpuE8ELNS1_3repE0EEENS1_30default_config_static_selectorELNS0_4arch9wavefront6targetE0EEEvSZ_: ; @_ZN7rocprim17ROCPRIM_400000_NS6detail17trampoline_kernelINS0_13select_configILj256ELj13ELNS0_17block_load_methodE3ELS4_3ELS4_3ELNS0_20block_scan_algorithmE0ELj4294967295EEENS1_25partition_config_selectorILNS1_17partition_subalgoE3EjNS0_10empty_typeEbEEZZNS1_14partition_implILS8_3ELb0ES6_jNS0_17counting_iteratorIjlEEPS9_SE_NS0_5tupleIJPjSE_EEENSF_IJSE_SE_EEES9_SG_JZNS1_25segmented_radix_sort_implINS0_14default_configELb0EPK12hip_bfloat16PSL_PKlPlN2at6native12_GLOBAL__N_18offset_tEEE10hipError_tPvRmT1_PNSt15iterator_traitsISZ_E10value_typeET2_T3_PNS10_IS15_E10value_typeET4_jRbjT5_S1B_jjP12ihipStream_tbEUljE_EEESW_SX_SY_S15_S19_S1B_T6_T7_T9_mT8_S1D_bDpT10_ENKUlT_T0_E_clISt17integral_constantIbLb1EES1P_IbLb0EEEEDaS1L_S1M_EUlS1L_E_NS1_11comp_targetILNS1_3genE4ELNS1_11target_archE910ELNS1_3gpuE8ELNS1_3repE0EEENS1_30default_config_static_selectorELNS0_4arch9wavefront6targetE0EEEvSZ_
; %bb.0:
	.section	.rodata,"a",@progbits
	.p2align	6, 0x0
	.amdhsa_kernel _ZN7rocprim17ROCPRIM_400000_NS6detail17trampoline_kernelINS0_13select_configILj256ELj13ELNS0_17block_load_methodE3ELS4_3ELS4_3ELNS0_20block_scan_algorithmE0ELj4294967295EEENS1_25partition_config_selectorILNS1_17partition_subalgoE3EjNS0_10empty_typeEbEEZZNS1_14partition_implILS8_3ELb0ES6_jNS0_17counting_iteratorIjlEEPS9_SE_NS0_5tupleIJPjSE_EEENSF_IJSE_SE_EEES9_SG_JZNS1_25segmented_radix_sort_implINS0_14default_configELb0EPK12hip_bfloat16PSL_PKlPlN2at6native12_GLOBAL__N_18offset_tEEE10hipError_tPvRmT1_PNSt15iterator_traitsISZ_E10value_typeET2_T3_PNS10_IS15_E10value_typeET4_jRbjT5_S1B_jjP12ihipStream_tbEUljE_EEESW_SX_SY_S15_S19_S1B_T6_T7_T9_mT8_S1D_bDpT10_ENKUlT_T0_E_clISt17integral_constantIbLb1EES1P_IbLb0EEEEDaS1L_S1M_EUlS1L_E_NS1_11comp_targetILNS1_3genE4ELNS1_11target_archE910ELNS1_3gpuE8ELNS1_3repE0EEENS1_30default_config_static_selectorELNS0_4arch9wavefront6targetE0EEEvSZ_
		.amdhsa_group_segment_fixed_size 0
		.amdhsa_private_segment_fixed_size 0
		.amdhsa_kernarg_size 144
		.amdhsa_user_sgpr_count 2
		.amdhsa_user_sgpr_dispatch_ptr 0
		.amdhsa_user_sgpr_queue_ptr 0
		.amdhsa_user_sgpr_kernarg_segment_ptr 1
		.amdhsa_user_sgpr_dispatch_id 0
		.amdhsa_user_sgpr_private_segment_size 0
		.amdhsa_wavefront_size32 1
		.amdhsa_uses_dynamic_stack 0
		.amdhsa_enable_private_segment 0
		.amdhsa_system_sgpr_workgroup_id_x 1
		.amdhsa_system_sgpr_workgroup_id_y 0
		.amdhsa_system_sgpr_workgroup_id_z 0
		.amdhsa_system_sgpr_workgroup_info 0
		.amdhsa_system_vgpr_workitem_id 0
		.amdhsa_next_free_vgpr 1
		.amdhsa_next_free_sgpr 1
		.amdhsa_reserve_vcc 0
		.amdhsa_float_round_mode_32 0
		.amdhsa_float_round_mode_16_64 0
		.amdhsa_float_denorm_mode_32 3
		.amdhsa_float_denorm_mode_16_64 3
		.amdhsa_fp16_overflow 0
		.amdhsa_workgroup_processor_mode 1
		.amdhsa_memory_ordered 1
		.amdhsa_forward_progress 1
		.amdhsa_inst_pref_size 0
		.amdhsa_round_robin_scheduling 0
		.amdhsa_exception_fp_ieee_invalid_op 0
		.amdhsa_exception_fp_denorm_src 0
		.amdhsa_exception_fp_ieee_div_zero 0
		.amdhsa_exception_fp_ieee_overflow 0
		.amdhsa_exception_fp_ieee_underflow 0
		.amdhsa_exception_fp_ieee_inexact 0
		.amdhsa_exception_int_div_zero 0
	.end_amdhsa_kernel
	.section	.text._ZN7rocprim17ROCPRIM_400000_NS6detail17trampoline_kernelINS0_13select_configILj256ELj13ELNS0_17block_load_methodE3ELS4_3ELS4_3ELNS0_20block_scan_algorithmE0ELj4294967295EEENS1_25partition_config_selectorILNS1_17partition_subalgoE3EjNS0_10empty_typeEbEEZZNS1_14partition_implILS8_3ELb0ES6_jNS0_17counting_iteratorIjlEEPS9_SE_NS0_5tupleIJPjSE_EEENSF_IJSE_SE_EEES9_SG_JZNS1_25segmented_radix_sort_implINS0_14default_configELb0EPK12hip_bfloat16PSL_PKlPlN2at6native12_GLOBAL__N_18offset_tEEE10hipError_tPvRmT1_PNSt15iterator_traitsISZ_E10value_typeET2_T3_PNS10_IS15_E10value_typeET4_jRbjT5_S1B_jjP12ihipStream_tbEUljE_EEESW_SX_SY_S15_S19_S1B_T6_T7_T9_mT8_S1D_bDpT10_ENKUlT_T0_E_clISt17integral_constantIbLb1EES1P_IbLb0EEEEDaS1L_S1M_EUlS1L_E_NS1_11comp_targetILNS1_3genE4ELNS1_11target_archE910ELNS1_3gpuE8ELNS1_3repE0EEENS1_30default_config_static_selectorELNS0_4arch9wavefront6targetE0EEEvSZ_,"axG",@progbits,_ZN7rocprim17ROCPRIM_400000_NS6detail17trampoline_kernelINS0_13select_configILj256ELj13ELNS0_17block_load_methodE3ELS4_3ELS4_3ELNS0_20block_scan_algorithmE0ELj4294967295EEENS1_25partition_config_selectorILNS1_17partition_subalgoE3EjNS0_10empty_typeEbEEZZNS1_14partition_implILS8_3ELb0ES6_jNS0_17counting_iteratorIjlEEPS9_SE_NS0_5tupleIJPjSE_EEENSF_IJSE_SE_EEES9_SG_JZNS1_25segmented_radix_sort_implINS0_14default_configELb0EPK12hip_bfloat16PSL_PKlPlN2at6native12_GLOBAL__N_18offset_tEEE10hipError_tPvRmT1_PNSt15iterator_traitsISZ_E10value_typeET2_T3_PNS10_IS15_E10value_typeET4_jRbjT5_S1B_jjP12ihipStream_tbEUljE_EEESW_SX_SY_S15_S19_S1B_T6_T7_T9_mT8_S1D_bDpT10_ENKUlT_T0_E_clISt17integral_constantIbLb1EES1P_IbLb0EEEEDaS1L_S1M_EUlS1L_E_NS1_11comp_targetILNS1_3genE4ELNS1_11target_archE910ELNS1_3gpuE8ELNS1_3repE0EEENS1_30default_config_static_selectorELNS0_4arch9wavefront6targetE0EEEvSZ_,comdat
.Lfunc_end2035:
	.size	_ZN7rocprim17ROCPRIM_400000_NS6detail17trampoline_kernelINS0_13select_configILj256ELj13ELNS0_17block_load_methodE3ELS4_3ELS4_3ELNS0_20block_scan_algorithmE0ELj4294967295EEENS1_25partition_config_selectorILNS1_17partition_subalgoE3EjNS0_10empty_typeEbEEZZNS1_14partition_implILS8_3ELb0ES6_jNS0_17counting_iteratorIjlEEPS9_SE_NS0_5tupleIJPjSE_EEENSF_IJSE_SE_EEES9_SG_JZNS1_25segmented_radix_sort_implINS0_14default_configELb0EPK12hip_bfloat16PSL_PKlPlN2at6native12_GLOBAL__N_18offset_tEEE10hipError_tPvRmT1_PNSt15iterator_traitsISZ_E10value_typeET2_T3_PNS10_IS15_E10value_typeET4_jRbjT5_S1B_jjP12ihipStream_tbEUljE_EEESW_SX_SY_S15_S19_S1B_T6_T7_T9_mT8_S1D_bDpT10_ENKUlT_T0_E_clISt17integral_constantIbLb1EES1P_IbLb0EEEEDaS1L_S1M_EUlS1L_E_NS1_11comp_targetILNS1_3genE4ELNS1_11target_archE910ELNS1_3gpuE8ELNS1_3repE0EEENS1_30default_config_static_selectorELNS0_4arch9wavefront6targetE0EEEvSZ_, .Lfunc_end2035-_ZN7rocprim17ROCPRIM_400000_NS6detail17trampoline_kernelINS0_13select_configILj256ELj13ELNS0_17block_load_methodE3ELS4_3ELS4_3ELNS0_20block_scan_algorithmE0ELj4294967295EEENS1_25partition_config_selectorILNS1_17partition_subalgoE3EjNS0_10empty_typeEbEEZZNS1_14partition_implILS8_3ELb0ES6_jNS0_17counting_iteratorIjlEEPS9_SE_NS0_5tupleIJPjSE_EEENSF_IJSE_SE_EEES9_SG_JZNS1_25segmented_radix_sort_implINS0_14default_configELb0EPK12hip_bfloat16PSL_PKlPlN2at6native12_GLOBAL__N_18offset_tEEE10hipError_tPvRmT1_PNSt15iterator_traitsISZ_E10value_typeET2_T3_PNS10_IS15_E10value_typeET4_jRbjT5_S1B_jjP12ihipStream_tbEUljE_EEESW_SX_SY_S15_S19_S1B_T6_T7_T9_mT8_S1D_bDpT10_ENKUlT_T0_E_clISt17integral_constantIbLb1EES1P_IbLb0EEEEDaS1L_S1M_EUlS1L_E_NS1_11comp_targetILNS1_3genE4ELNS1_11target_archE910ELNS1_3gpuE8ELNS1_3repE0EEENS1_30default_config_static_selectorELNS0_4arch9wavefront6targetE0EEEvSZ_
                                        ; -- End function
	.set _ZN7rocprim17ROCPRIM_400000_NS6detail17trampoline_kernelINS0_13select_configILj256ELj13ELNS0_17block_load_methodE3ELS4_3ELS4_3ELNS0_20block_scan_algorithmE0ELj4294967295EEENS1_25partition_config_selectorILNS1_17partition_subalgoE3EjNS0_10empty_typeEbEEZZNS1_14partition_implILS8_3ELb0ES6_jNS0_17counting_iteratorIjlEEPS9_SE_NS0_5tupleIJPjSE_EEENSF_IJSE_SE_EEES9_SG_JZNS1_25segmented_radix_sort_implINS0_14default_configELb0EPK12hip_bfloat16PSL_PKlPlN2at6native12_GLOBAL__N_18offset_tEEE10hipError_tPvRmT1_PNSt15iterator_traitsISZ_E10value_typeET2_T3_PNS10_IS15_E10value_typeET4_jRbjT5_S1B_jjP12ihipStream_tbEUljE_EEESW_SX_SY_S15_S19_S1B_T6_T7_T9_mT8_S1D_bDpT10_ENKUlT_T0_E_clISt17integral_constantIbLb1EES1P_IbLb0EEEEDaS1L_S1M_EUlS1L_E_NS1_11comp_targetILNS1_3genE4ELNS1_11target_archE910ELNS1_3gpuE8ELNS1_3repE0EEENS1_30default_config_static_selectorELNS0_4arch9wavefront6targetE0EEEvSZ_.num_vgpr, 0
	.set _ZN7rocprim17ROCPRIM_400000_NS6detail17trampoline_kernelINS0_13select_configILj256ELj13ELNS0_17block_load_methodE3ELS4_3ELS4_3ELNS0_20block_scan_algorithmE0ELj4294967295EEENS1_25partition_config_selectorILNS1_17partition_subalgoE3EjNS0_10empty_typeEbEEZZNS1_14partition_implILS8_3ELb0ES6_jNS0_17counting_iteratorIjlEEPS9_SE_NS0_5tupleIJPjSE_EEENSF_IJSE_SE_EEES9_SG_JZNS1_25segmented_radix_sort_implINS0_14default_configELb0EPK12hip_bfloat16PSL_PKlPlN2at6native12_GLOBAL__N_18offset_tEEE10hipError_tPvRmT1_PNSt15iterator_traitsISZ_E10value_typeET2_T3_PNS10_IS15_E10value_typeET4_jRbjT5_S1B_jjP12ihipStream_tbEUljE_EEESW_SX_SY_S15_S19_S1B_T6_T7_T9_mT8_S1D_bDpT10_ENKUlT_T0_E_clISt17integral_constantIbLb1EES1P_IbLb0EEEEDaS1L_S1M_EUlS1L_E_NS1_11comp_targetILNS1_3genE4ELNS1_11target_archE910ELNS1_3gpuE8ELNS1_3repE0EEENS1_30default_config_static_selectorELNS0_4arch9wavefront6targetE0EEEvSZ_.num_agpr, 0
	.set _ZN7rocprim17ROCPRIM_400000_NS6detail17trampoline_kernelINS0_13select_configILj256ELj13ELNS0_17block_load_methodE3ELS4_3ELS4_3ELNS0_20block_scan_algorithmE0ELj4294967295EEENS1_25partition_config_selectorILNS1_17partition_subalgoE3EjNS0_10empty_typeEbEEZZNS1_14partition_implILS8_3ELb0ES6_jNS0_17counting_iteratorIjlEEPS9_SE_NS0_5tupleIJPjSE_EEENSF_IJSE_SE_EEES9_SG_JZNS1_25segmented_radix_sort_implINS0_14default_configELb0EPK12hip_bfloat16PSL_PKlPlN2at6native12_GLOBAL__N_18offset_tEEE10hipError_tPvRmT1_PNSt15iterator_traitsISZ_E10value_typeET2_T3_PNS10_IS15_E10value_typeET4_jRbjT5_S1B_jjP12ihipStream_tbEUljE_EEESW_SX_SY_S15_S19_S1B_T6_T7_T9_mT8_S1D_bDpT10_ENKUlT_T0_E_clISt17integral_constantIbLb1EES1P_IbLb0EEEEDaS1L_S1M_EUlS1L_E_NS1_11comp_targetILNS1_3genE4ELNS1_11target_archE910ELNS1_3gpuE8ELNS1_3repE0EEENS1_30default_config_static_selectorELNS0_4arch9wavefront6targetE0EEEvSZ_.numbered_sgpr, 0
	.set _ZN7rocprim17ROCPRIM_400000_NS6detail17trampoline_kernelINS0_13select_configILj256ELj13ELNS0_17block_load_methodE3ELS4_3ELS4_3ELNS0_20block_scan_algorithmE0ELj4294967295EEENS1_25partition_config_selectorILNS1_17partition_subalgoE3EjNS0_10empty_typeEbEEZZNS1_14partition_implILS8_3ELb0ES6_jNS0_17counting_iteratorIjlEEPS9_SE_NS0_5tupleIJPjSE_EEENSF_IJSE_SE_EEES9_SG_JZNS1_25segmented_radix_sort_implINS0_14default_configELb0EPK12hip_bfloat16PSL_PKlPlN2at6native12_GLOBAL__N_18offset_tEEE10hipError_tPvRmT1_PNSt15iterator_traitsISZ_E10value_typeET2_T3_PNS10_IS15_E10value_typeET4_jRbjT5_S1B_jjP12ihipStream_tbEUljE_EEESW_SX_SY_S15_S19_S1B_T6_T7_T9_mT8_S1D_bDpT10_ENKUlT_T0_E_clISt17integral_constantIbLb1EES1P_IbLb0EEEEDaS1L_S1M_EUlS1L_E_NS1_11comp_targetILNS1_3genE4ELNS1_11target_archE910ELNS1_3gpuE8ELNS1_3repE0EEENS1_30default_config_static_selectorELNS0_4arch9wavefront6targetE0EEEvSZ_.num_named_barrier, 0
	.set _ZN7rocprim17ROCPRIM_400000_NS6detail17trampoline_kernelINS0_13select_configILj256ELj13ELNS0_17block_load_methodE3ELS4_3ELS4_3ELNS0_20block_scan_algorithmE0ELj4294967295EEENS1_25partition_config_selectorILNS1_17partition_subalgoE3EjNS0_10empty_typeEbEEZZNS1_14partition_implILS8_3ELb0ES6_jNS0_17counting_iteratorIjlEEPS9_SE_NS0_5tupleIJPjSE_EEENSF_IJSE_SE_EEES9_SG_JZNS1_25segmented_radix_sort_implINS0_14default_configELb0EPK12hip_bfloat16PSL_PKlPlN2at6native12_GLOBAL__N_18offset_tEEE10hipError_tPvRmT1_PNSt15iterator_traitsISZ_E10value_typeET2_T3_PNS10_IS15_E10value_typeET4_jRbjT5_S1B_jjP12ihipStream_tbEUljE_EEESW_SX_SY_S15_S19_S1B_T6_T7_T9_mT8_S1D_bDpT10_ENKUlT_T0_E_clISt17integral_constantIbLb1EES1P_IbLb0EEEEDaS1L_S1M_EUlS1L_E_NS1_11comp_targetILNS1_3genE4ELNS1_11target_archE910ELNS1_3gpuE8ELNS1_3repE0EEENS1_30default_config_static_selectorELNS0_4arch9wavefront6targetE0EEEvSZ_.private_seg_size, 0
	.set _ZN7rocprim17ROCPRIM_400000_NS6detail17trampoline_kernelINS0_13select_configILj256ELj13ELNS0_17block_load_methodE3ELS4_3ELS4_3ELNS0_20block_scan_algorithmE0ELj4294967295EEENS1_25partition_config_selectorILNS1_17partition_subalgoE3EjNS0_10empty_typeEbEEZZNS1_14partition_implILS8_3ELb0ES6_jNS0_17counting_iteratorIjlEEPS9_SE_NS0_5tupleIJPjSE_EEENSF_IJSE_SE_EEES9_SG_JZNS1_25segmented_radix_sort_implINS0_14default_configELb0EPK12hip_bfloat16PSL_PKlPlN2at6native12_GLOBAL__N_18offset_tEEE10hipError_tPvRmT1_PNSt15iterator_traitsISZ_E10value_typeET2_T3_PNS10_IS15_E10value_typeET4_jRbjT5_S1B_jjP12ihipStream_tbEUljE_EEESW_SX_SY_S15_S19_S1B_T6_T7_T9_mT8_S1D_bDpT10_ENKUlT_T0_E_clISt17integral_constantIbLb1EES1P_IbLb0EEEEDaS1L_S1M_EUlS1L_E_NS1_11comp_targetILNS1_3genE4ELNS1_11target_archE910ELNS1_3gpuE8ELNS1_3repE0EEENS1_30default_config_static_selectorELNS0_4arch9wavefront6targetE0EEEvSZ_.uses_vcc, 0
	.set _ZN7rocprim17ROCPRIM_400000_NS6detail17trampoline_kernelINS0_13select_configILj256ELj13ELNS0_17block_load_methodE3ELS4_3ELS4_3ELNS0_20block_scan_algorithmE0ELj4294967295EEENS1_25partition_config_selectorILNS1_17partition_subalgoE3EjNS0_10empty_typeEbEEZZNS1_14partition_implILS8_3ELb0ES6_jNS0_17counting_iteratorIjlEEPS9_SE_NS0_5tupleIJPjSE_EEENSF_IJSE_SE_EEES9_SG_JZNS1_25segmented_radix_sort_implINS0_14default_configELb0EPK12hip_bfloat16PSL_PKlPlN2at6native12_GLOBAL__N_18offset_tEEE10hipError_tPvRmT1_PNSt15iterator_traitsISZ_E10value_typeET2_T3_PNS10_IS15_E10value_typeET4_jRbjT5_S1B_jjP12ihipStream_tbEUljE_EEESW_SX_SY_S15_S19_S1B_T6_T7_T9_mT8_S1D_bDpT10_ENKUlT_T0_E_clISt17integral_constantIbLb1EES1P_IbLb0EEEEDaS1L_S1M_EUlS1L_E_NS1_11comp_targetILNS1_3genE4ELNS1_11target_archE910ELNS1_3gpuE8ELNS1_3repE0EEENS1_30default_config_static_selectorELNS0_4arch9wavefront6targetE0EEEvSZ_.uses_flat_scratch, 0
	.set _ZN7rocprim17ROCPRIM_400000_NS6detail17trampoline_kernelINS0_13select_configILj256ELj13ELNS0_17block_load_methodE3ELS4_3ELS4_3ELNS0_20block_scan_algorithmE0ELj4294967295EEENS1_25partition_config_selectorILNS1_17partition_subalgoE3EjNS0_10empty_typeEbEEZZNS1_14partition_implILS8_3ELb0ES6_jNS0_17counting_iteratorIjlEEPS9_SE_NS0_5tupleIJPjSE_EEENSF_IJSE_SE_EEES9_SG_JZNS1_25segmented_radix_sort_implINS0_14default_configELb0EPK12hip_bfloat16PSL_PKlPlN2at6native12_GLOBAL__N_18offset_tEEE10hipError_tPvRmT1_PNSt15iterator_traitsISZ_E10value_typeET2_T3_PNS10_IS15_E10value_typeET4_jRbjT5_S1B_jjP12ihipStream_tbEUljE_EEESW_SX_SY_S15_S19_S1B_T6_T7_T9_mT8_S1D_bDpT10_ENKUlT_T0_E_clISt17integral_constantIbLb1EES1P_IbLb0EEEEDaS1L_S1M_EUlS1L_E_NS1_11comp_targetILNS1_3genE4ELNS1_11target_archE910ELNS1_3gpuE8ELNS1_3repE0EEENS1_30default_config_static_selectorELNS0_4arch9wavefront6targetE0EEEvSZ_.has_dyn_sized_stack, 0
	.set _ZN7rocprim17ROCPRIM_400000_NS6detail17trampoline_kernelINS0_13select_configILj256ELj13ELNS0_17block_load_methodE3ELS4_3ELS4_3ELNS0_20block_scan_algorithmE0ELj4294967295EEENS1_25partition_config_selectorILNS1_17partition_subalgoE3EjNS0_10empty_typeEbEEZZNS1_14partition_implILS8_3ELb0ES6_jNS0_17counting_iteratorIjlEEPS9_SE_NS0_5tupleIJPjSE_EEENSF_IJSE_SE_EEES9_SG_JZNS1_25segmented_radix_sort_implINS0_14default_configELb0EPK12hip_bfloat16PSL_PKlPlN2at6native12_GLOBAL__N_18offset_tEEE10hipError_tPvRmT1_PNSt15iterator_traitsISZ_E10value_typeET2_T3_PNS10_IS15_E10value_typeET4_jRbjT5_S1B_jjP12ihipStream_tbEUljE_EEESW_SX_SY_S15_S19_S1B_T6_T7_T9_mT8_S1D_bDpT10_ENKUlT_T0_E_clISt17integral_constantIbLb1EES1P_IbLb0EEEEDaS1L_S1M_EUlS1L_E_NS1_11comp_targetILNS1_3genE4ELNS1_11target_archE910ELNS1_3gpuE8ELNS1_3repE0EEENS1_30default_config_static_selectorELNS0_4arch9wavefront6targetE0EEEvSZ_.has_recursion, 0
	.set _ZN7rocprim17ROCPRIM_400000_NS6detail17trampoline_kernelINS0_13select_configILj256ELj13ELNS0_17block_load_methodE3ELS4_3ELS4_3ELNS0_20block_scan_algorithmE0ELj4294967295EEENS1_25partition_config_selectorILNS1_17partition_subalgoE3EjNS0_10empty_typeEbEEZZNS1_14partition_implILS8_3ELb0ES6_jNS0_17counting_iteratorIjlEEPS9_SE_NS0_5tupleIJPjSE_EEENSF_IJSE_SE_EEES9_SG_JZNS1_25segmented_radix_sort_implINS0_14default_configELb0EPK12hip_bfloat16PSL_PKlPlN2at6native12_GLOBAL__N_18offset_tEEE10hipError_tPvRmT1_PNSt15iterator_traitsISZ_E10value_typeET2_T3_PNS10_IS15_E10value_typeET4_jRbjT5_S1B_jjP12ihipStream_tbEUljE_EEESW_SX_SY_S15_S19_S1B_T6_T7_T9_mT8_S1D_bDpT10_ENKUlT_T0_E_clISt17integral_constantIbLb1EES1P_IbLb0EEEEDaS1L_S1M_EUlS1L_E_NS1_11comp_targetILNS1_3genE4ELNS1_11target_archE910ELNS1_3gpuE8ELNS1_3repE0EEENS1_30default_config_static_selectorELNS0_4arch9wavefront6targetE0EEEvSZ_.has_indirect_call, 0
	.section	.AMDGPU.csdata,"",@progbits
; Kernel info:
; codeLenInByte = 0
; TotalNumSgprs: 0
; NumVgprs: 0
; ScratchSize: 0
; MemoryBound: 0
; FloatMode: 240
; IeeeMode: 1
; LDSByteSize: 0 bytes/workgroup (compile time only)
; SGPRBlocks: 0
; VGPRBlocks: 0
; NumSGPRsForWavesPerEU: 1
; NumVGPRsForWavesPerEU: 1
; Occupancy: 16
; WaveLimiterHint : 0
; COMPUTE_PGM_RSRC2:SCRATCH_EN: 0
; COMPUTE_PGM_RSRC2:USER_SGPR: 2
; COMPUTE_PGM_RSRC2:TRAP_HANDLER: 0
; COMPUTE_PGM_RSRC2:TGID_X_EN: 1
; COMPUTE_PGM_RSRC2:TGID_Y_EN: 0
; COMPUTE_PGM_RSRC2:TGID_Z_EN: 0
; COMPUTE_PGM_RSRC2:TIDIG_COMP_CNT: 0
	.section	.text._ZN7rocprim17ROCPRIM_400000_NS6detail17trampoline_kernelINS0_13select_configILj256ELj13ELNS0_17block_load_methodE3ELS4_3ELS4_3ELNS0_20block_scan_algorithmE0ELj4294967295EEENS1_25partition_config_selectorILNS1_17partition_subalgoE3EjNS0_10empty_typeEbEEZZNS1_14partition_implILS8_3ELb0ES6_jNS0_17counting_iteratorIjlEEPS9_SE_NS0_5tupleIJPjSE_EEENSF_IJSE_SE_EEES9_SG_JZNS1_25segmented_radix_sort_implINS0_14default_configELb0EPK12hip_bfloat16PSL_PKlPlN2at6native12_GLOBAL__N_18offset_tEEE10hipError_tPvRmT1_PNSt15iterator_traitsISZ_E10value_typeET2_T3_PNS10_IS15_E10value_typeET4_jRbjT5_S1B_jjP12ihipStream_tbEUljE_EEESW_SX_SY_S15_S19_S1B_T6_T7_T9_mT8_S1D_bDpT10_ENKUlT_T0_E_clISt17integral_constantIbLb1EES1P_IbLb0EEEEDaS1L_S1M_EUlS1L_E_NS1_11comp_targetILNS1_3genE3ELNS1_11target_archE908ELNS1_3gpuE7ELNS1_3repE0EEENS1_30default_config_static_selectorELNS0_4arch9wavefront6targetE0EEEvSZ_,"axG",@progbits,_ZN7rocprim17ROCPRIM_400000_NS6detail17trampoline_kernelINS0_13select_configILj256ELj13ELNS0_17block_load_methodE3ELS4_3ELS4_3ELNS0_20block_scan_algorithmE0ELj4294967295EEENS1_25partition_config_selectorILNS1_17partition_subalgoE3EjNS0_10empty_typeEbEEZZNS1_14partition_implILS8_3ELb0ES6_jNS0_17counting_iteratorIjlEEPS9_SE_NS0_5tupleIJPjSE_EEENSF_IJSE_SE_EEES9_SG_JZNS1_25segmented_radix_sort_implINS0_14default_configELb0EPK12hip_bfloat16PSL_PKlPlN2at6native12_GLOBAL__N_18offset_tEEE10hipError_tPvRmT1_PNSt15iterator_traitsISZ_E10value_typeET2_T3_PNS10_IS15_E10value_typeET4_jRbjT5_S1B_jjP12ihipStream_tbEUljE_EEESW_SX_SY_S15_S19_S1B_T6_T7_T9_mT8_S1D_bDpT10_ENKUlT_T0_E_clISt17integral_constantIbLb1EES1P_IbLb0EEEEDaS1L_S1M_EUlS1L_E_NS1_11comp_targetILNS1_3genE3ELNS1_11target_archE908ELNS1_3gpuE7ELNS1_3repE0EEENS1_30default_config_static_selectorELNS0_4arch9wavefront6targetE0EEEvSZ_,comdat
	.globl	_ZN7rocprim17ROCPRIM_400000_NS6detail17trampoline_kernelINS0_13select_configILj256ELj13ELNS0_17block_load_methodE3ELS4_3ELS4_3ELNS0_20block_scan_algorithmE0ELj4294967295EEENS1_25partition_config_selectorILNS1_17partition_subalgoE3EjNS0_10empty_typeEbEEZZNS1_14partition_implILS8_3ELb0ES6_jNS0_17counting_iteratorIjlEEPS9_SE_NS0_5tupleIJPjSE_EEENSF_IJSE_SE_EEES9_SG_JZNS1_25segmented_radix_sort_implINS0_14default_configELb0EPK12hip_bfloat16PSL_PKlPlN2at6native12_GLOBAL__N_18offset_tEEE10hipError_tPvRmT1_PNSt15iterator_traitsISZ_E10value_typeET2_T3_PNS10_IS15_E10value_typeET4_jRbjT5_S1B_jjP12ihipStream_tbEUljE_EEESW_SX_SY_S15_S19_S1B_T6_T7_T9_mT8_S1D_bDpT10_ENKUlT_T0_E_clISt17integral_constantIbLb1EES1P_IbLb0EEEEDaS1L_S1M_EUlS1L_E_NS1_11comp_targetILNS1_3genE3ELNS1_11target_archE908ELNS1_3gpuE7ELNS1_3repE0EEENS1_30default_config_static_selectorELNS0_4arch9wavefront6targetE0EEEvSZ_ ; -- Begin function _ZN7rocprim17ROCPRIM_400000_NS6detail17trampoline_kernelINS0_13select_configILj256ELj13ELNS0_17block_load_methodE3ELS4_3ELS4_3ELNS0_20block_scan_algorithmE0ELj4294967295EEENS1_25partition_config_selectorILNS1_17partition_subalgoE3EjNS0_10empty_typeEbEEZZNS1_14partition_implILS8_3ELb0ES6_jNS0_17counting_iteratorIjlEEPS9_SE_NS0_5tupleIJPjSE_EEENSF_IJSE_SE_EEES9_SG_JZNS1_25segmented_radix_sort_implINS0_14default_configELb0EPK12hip_bfloat16PSL_PKlPlN2at6native12_GLOBAL__N_18offset_tEEE10hipError_tPvRmT1_PNSt15iterator_traitsISZ_E10value_typeET2_T3_PNS10_IS15_E10value_typeET4_jRbjT5_S1B_jjP12ihipStream_tbEUljE_EEESW_SX_SY_S15_S19_S1B_T6_T7_T9_mT8_S1D_bDpT10_ENKUlT_T0_E_clISt17integral_constantIbLb1EES1P_IbLb0EEEEDaS1L_S1M_EUlS1L_E_NS1_11comp_targetILNS1_3genE3ELNS1_11target_archE908ELNS1_3gpuE7ELNS1_3repE0EEENS1_30default_config_static_selectorELNS0_4arch9wavefront6targetE0EEEvSZ_
	.p2align	8
	.type	_ZN7rocprim17ROCPRIM_400000_NS6detail17trampoline_kernelINS0_13select_configILj256ELj13ELNS0_17block_load_methodE3ELS4_3ELS4_3ELNS0_20block_scan_algorithmE0ELj4294967295EEENS1_25partition_config_selectorILNS1_17partition_subalgoE3EjNS0_10empty_typeEbEEZZNS1_14partition_implILS8_3ELb0ES6_jNS0_17counting_iteratorIjlEEPS9_SE_NS0_5tupleIJPjSE_EEENSF_IJSE_SE_EEES9_SG_JZNS1_25segmented_radix_sort_implINS0_14default_configELb0EPK12hip_bfloat16PSL_PKlPlN2at6native12_GLOBAL__N_18offset_tEEE10hipError_tPvRmT1_PNSt15iterator_traitsISZ_E10value_typeET2_T3_PNS10_IS15_E10value_typeET4_jRbjT5_S1B_jjP12ihipStream_tbEUljE_EEESW_SX_SY_S15_S19_S1B_T6_T7_T9_mT8_S1D_bDpT10_ENKUlT_T0_E_clISt17integral_constantIbLb1EES1P_IbLb0EEEEDaS1L_S1M_EUlS1L_E_NS1_11comp_targetILNS1_3genE3ELNS1_11target_archE908ELNS1_3gpuE7ELNS1_3repE0EEENS1_30default_config_static_selectorELNS0_4arch9wavefront6targetE0EEEvSZ_,@function
_ZN7rocprim17ROCPRIM_400000_NS6detail17trampoline_kernelINS0_13select_configILj256ELj13ELNS0_17block_load_methodE3ELS4_3ELS4_3ELNS0_20block_scan_algorithmE0ELj4294967295EEENS1_25partition_config_selectorILNS1_17partition_subalgoE3EjNS0_10empty_typeEbEEZZNS1_14partition_implILS8_3ELb0ES6_jNS0_17counting_iteratorIjlEEPS9_SE_NS0_5tupleIJPjSE_EEENSF_IJSE_SE_EEES9_SG_JZNS1_25segmented_radix_sort_implINS0_14default_configELb0EPK12hip_bfloat16PSL_PKlPlN2at6native12_GLOBAL__N_18offset_tEEE10hipError_tPvRmT1_PNSt15iterator_traitsISZ_E10value_typeET2_T3_PNS10_IS15_E10value_typeET4_jRbjT5_S1B_jjP12ihipStream_tbEUljE_EEESW_SX_SY_S15_S19_S1B_T6_T7_T9_mT8_S1D_bDpT10_ENKUlT_T0_E_clISt17integral_constantIbLb1EES1P_IbLb0EEEEDaS1L_S1M_EUlS1L_E_NS1_11comp_targetILNS1_3genE3ELNS1_11target_archE908ELNS1_3gpuE7ELNS1_3repE0EEENS1_30default_config_static_selectorELNS0_4arch9wavefront6targetE0EEEvSZ_: ; @_ZN7rocprim17ROCPRIM_400000_NS6detail17trampoline_kernelINS0_13select_configILj256ELj13ELNS0_17block_load_methodE3ELS4_3ELS4_3ELNS0_20block_scan_algorithmE0ELj4294967295EEENS1_25partition_config_selectorILNS1_17partition_subalgoE3EjNS0_10empty_typeEbEEZZNS1_14partition_implILS8_3ELb0ES6_jNS0_17counting_iteratorIjlEEPS9_SE_NS0_5tupleIJPjSE_EEENSF_IJSE_SE_EEES9_SG_JZNS1_25segmented_radix_sort_implINS0_14default_configELb0EPK12hip_bfloat16PSL_PKlPlN2at6native12_GLOBAL__N_18offset_tEEE10hipError_tPvRmT1_PNSt15iterator_traitsISZ_E10value_typeET2_T3_PNS10_IS15_E10value_typeET4_jRbjT5_S1B_jjP12ihipStream_tbEUljE_EEESW_SX_SY_S15_S19_S1B_T6_T7_T9_mT8_S1D_bDpT10_ENKUlT_T0_E_clISt17integral_constantIbLb1EES1P_IbLb0EEEEDaS1L_S1M_EUlS1L_E_NS1_11comp_targetILNS1_3genE3ELNS1_11target_archE908ELNS1_3gpuE7ELNS1_3repE0EEENS1_30default_config_static_selectorELNS0_4arch9wavefront6targetE0EEEvSZ_
; %bb.0:
	.section	.rodata,"a",@progbits
	.p2align	6, 0x0
	.amdhsa_kernel _ZN7rocprim17ROCPRIM_400000_NS6detail17trampoline_kernelINS0_13select_configILj256ELj13ELNS0_17block_load_methodE3ELS4_3ELS4_3ELNS0_20block_scan_algorithmE0ELj4294967295EEENS1_25partition_config_selectorILNS1_17partition_subalgoE3EjNS0_10empty_typeEbEEZZNS1_14partition_implILS8_3ELb0ES6_jNS0_17counting_iteratorIjlEEPS9_SE_NS0_5tupleIJPjSE_EEENSF_IJSE_SE_EEES9_SG_JZNS1_25segmented_radix_sort_implINS0_14default_configELb0EPK12hip_bfloat16PSL_PKlPlN2at6native12_GLOBAL__N_18offset_tEEE10hipError_tPvRmT1_PNSt15iterator_traitsISZ_E10value_typeET2_T3_PNS10_IS15_E10value_typeET4_jRbjT5_S1B_jjP12ihipStream_tbEUljE_EEESW_SX_SY_S15_S19_S1B_T6_T7_T9_mT8_S1D_bDpT10_ENKUlT_T0_E_clISt17integral_constantIbLb1EES1P_IbLb0EEEEDaS1L_S1M_EUlS1L_E_NS1_11comp_targetILNS1_3genE3ELNS1_11target_archE908ELNS1_3gpuE7ELNS1_3repE0EEENS1_30default_config_static_selectorELNS0_4arch9wavefront6targetE0EEEvSZ_
		.amdhsa_group_segment_fixed_size 0
		.amdhsa_private_segment_fixed_size 0
		.amdhsa_kernarg_size 144
		.amdhsa_user_sgpr_count 2
		.amdhsa_user_sgpr_dispatch_ptr 0
		.amdhsa_user_sgpr_queue_ptr 0
		.amdhsa_user_sgpr_kernarg_segment_ptr 1
		.amdhsa_user_sgpr_dispatch_id 0
		.amdhsa_user_sgpr_private_segment_size 0
		.amdhsa_wavefront_size32 1
		.amdhsa_uses_dynamic_stack 0
		.amdhsa_enable_private_segment 0
		.amdhsa_system_sgpr_workgroup_id_x 1
		.amdhsa_system_sgpr_workgroup_id_y 0
		.amdhsa_system_sgpr_workgroup_id_z 0
		.amdhsa_system_sgpr_workgroup_info 0
		.amdhsa_system_vgpr_workitem_id 0
		.amdhsa_next_free_vgpr 1
		.amdhsa_next_free_sgpr 1
		.amdhsa_reserve_vcc 0
		.amdhsa_float_round_mode_32 0
		.amdhsa_float_round_mode_16_64 0
		.amdhsa_float_denorm_mode_32 3
		.amdhsa_float_denorm_mode_16_64 3
		.amdhsa_fp16_overflow 0
		.amdhsa_workgroup_processor_mode 1
		.amdhsa_memory_ordered 1
		.amdhsa_forward_progress 1
		.amdhsa_inst_pref_size 0
		.amdhsa_round_robin_scheduling 0
		.amdhsa_exception_fp_ieee_invalid_op 0
		.amdhsa_exception_fp_denorm_src 0
		.amdhsa_exception_fp_ieee_div_zero 0
		.amdhsa_exception_fp_ieee_overflow 0
		.amdhsa_exception_fp_ieee_underflow 0
		.amdhsa_exception_fp_ieee_inexact 0
		.amdhsa_exception_int_div_zero 0
	.end_amdhsa_kernel
	.section	.text._ZN7rocprim17ROCPRIM_400000_NS6detail17trampoline_kernelINS0_13select_configILj256ELj13ELNS0_17block_load_methodE3ELS4_3ELS4_3ELNS0_20block_scan_algorithmE0ELj4294967295EEENS1_25partition_config_selectorILNS1_17partition_subalgoE3EjNS0_10empty_typeEbEEZZNS1_14partition_implILS8_3ELb0ES6_jNS0_17counting_iteratorIjlEEPS9_SE_NS0_5tupleIJPjSE_EEENSF_IJSE_SE_EEES9_SG_JZNS1_25segmented_radix_sort_implINS0_14default_configELb0EPK12hip_bfloat16PSL_PKlPlN2at6native12_GLOBAL__N_18offset_tEEE10hipError_tPvRmT1_PNSt15iterator_traitsISZ_E10value_typeET2_T3_PNS10_IS15_E10value_typeET4_jRbjT5_S1B_jjP12ihipStream_tbEUljE_EEESW_SX_SY_S15_S19_S1B_T6_T7_T9_mT8_S1D_bDpT10_ENKUlT_T0_E_clISt17integral_constantIbLb1EES1P_IbLb0EEEEDaS1L_S1M_EUlS1L_E_NS1_11comp_targetILNS1_3genE3ELNS1_11target_archE908ELNS1_3gpuE7ELNS1_3repE0EEENS1_30default_config_static_selectorELNS0_4arch9wavefront6targetE0EEEvSZ_,"axG",@progbits,_ZN7rocprim17ROCPRIM_400000_NS6detail17trampoline_kernelINS0_13select_configILj256ELj13ELNS0_17block_load_methodE3ELS4_3ELS4_3ELNS0_20block_scan_algorithmE0ELj4294967295EEENS1_25partition_config_selectorILNS1_17partition_subalgoE3EjNS0_10empty_typeEbEEZZNS1_14partition_implILS8_3ELb0ES6_jNS0_17counting_iteratorIjlEEPS9_SE_NS0_5tupleIJPjSE_EEENSF_IJSE_SE_EEES9_SG_JZNS1_25segmented_radix_sort_implINS0_14default_configELb0EPK12hip_bfloat16PSL_PKlPlN2at6native12_GLOBAL__N_18offset_tEEE10hipError_tPvRmT1_PNSt15iterator_traitsISZ_E10value_typeET2_T3_PNS10_IS15_E10value_typeET4_jRbjT5_S1B_jjP12ihipStream_tbEUljE_EEESW_SX_SY_S15_S19_S1B_T6_T7_T9_mT8_S1D_bDpT10_ENKUlT_T0_E_clISt17integral_constantIbLb1EES1P_IbLb0EEEEDaS1L_S1M_EUlS1L_E_NS1_11comp_targetILNS1_3genE3ELNS1_11target_archE908ELNS1_3gpuE7ELNS1_3repE0EEENS1_30default_config_static_selectorELNS0_4arch9wavefront6targetE0EEEvSZ_,comdat
.Lfunc_end2036:
	.size	_ZN7rocprim17ROCPRIM_400000_NS6detail17trampoline_kernelINS0_13select_configILj256ELj13ELNS0_17block_load_methodE3ELS4_3ELS4_3ELNS0_20block_scan_algorithmE0ELj4294967295EEENS1_25partition_config_selectorILNS1_17partition_subalgoE3EjNS0_10empty_typeEbEEZZNS1_14partition_implILS8_3ELb0ES6_jNS0_17counting_iteratorIjlEEPS9_SE_NS0_5tupleIJPjSE_EEENSF_IJSE_SE_EEES9_SG_JZNS1_25segmented_radix_sort_implINS0_14default_configELb0EPK12hip_bfloat16PSL_PKlPlN2at6native12_GLOBAL__N_18offset_tEEE10hipError_tPvRmT1_PNSt15iterator_traitsISZ_E10value_typeET2_T3_PNS10_IS15_E10value_typeET4_jRbjT5_S1B_jjP12ihipStream_tbEUljE_EEESW_SX_SY_S15_S19_S1B_T6_T7_T9_mT8_S1D_bDpT10_ENKUlT_T0_E_clISt17integral_constantIbLb1EES1P_IbLb0EEEEDaS1L_S1M_EUlS1L_E_NS1_11comp_targetILNS1_3genE3ELNS1_11target_archE908ELNS1_3gpuE7ELNS1_3repE0EEENS1_30default_config_static_selectorELNS0_4arch9wavefront6targetE0EEEvSZ_, .Lfunc_end2036-_ZN7rocprim17ROCPRIM_400000_NS6detail17trampoline_kernelINS0_13select_configILj256ELj13ELNS0_17block_load_methodE3ELS4_3ELS4_3ELNS0_20block_scan_algorithmE0ELj4294967295EEENS1_25partition_config_selectorILNS1_17partition_subalgoE3EjNS0_10empty_typeEbEEZZNS1_14partition_implILS8_3ELb0ES6_jNS0_17counting_iteratorIjlEEPS9_SE_NS0_5tupleIJPjSE_EEENSF_IJSE_SE_EEES9_SG_JZNS1_25segmented_radix_sort_implINS0_14default_configELb0EPK12hip_bfloat16PSL_PKlPlN2at6native12_GLOBAL__N_18offset_tEEE10hipError_tPvRmT1_PNSt15iterator_traitsISZ_E10value_typeET2_T3_PNS10_IS15_E10value_typeET4_jRbjT5_S1B_jjP12ihipStream_tbEUljE_EEESW_SX_SY_S15_S19_S1B_T6_T7_T9_mT8_S1D_bDpT10_ENKUlT_T0_E_clISt17integral_constantIbLb1EES1P_IbLb0EEEEDaS1L_S1M_EUlS1L_E_NS1_11comp_targetILNS1_3genE3ELNS1_11target_archE908ELNS1_3gpuE7ELNS1_3repE0EEENS1_30default_config_static_selectorELNS0_4arch9wavefront6targetE0EEEvSZ_
                                        ; -- End function
	.set _ZN7rocprim17ROCPRIM_400000_NS6detail17trampoline_kernelINS0_13select_configILj256ELj13ELNS0_17block_load_methodE3ELS4_3ELS4_3ELNS0_20block_scan_algorithmE0ELj4294967295EEENS1_25partition_config_selectorILNS1_17partition_subalgoE3EjNS0_10empty_typeEbEEZZNS1_14partition_implILS8_3ELb0ES6_jNS0_17counting_iteratorIjlEEPS9_SE_NS0_5tupleIJPjSE_EEENSF_IJSE_SE_EEES9_SG_JZNS1_25segmented_radix_sort_implINS0_14default_configELb0EPK12hip_bfloat16PSL_PKlPlN2at6native12_GLOBAL__N_18offset_tEEE10hipError_tPvRmT1_PNSt15iterator_traitsISZ_E10value_typeET2_T3_PNS10_IS15_E10value_typeET4_jRbjT5_S1B_jjP12ihipStream_tbEUljE_EEESW_SX_SY_S15_S19_S1B_T6_T7_T9_mT8_S1D_bDpT10_ENKUlT_T0_E_clISt17integral_constantIbLb1EES1P_IbLb0EEEEDaS1L_S1M_EUlS1L_E_NS1_11comp_targetILNS1_3genE3ELNS1_11target_archE908ELNS1_3gpuE7ELNS1_3repE0EEENS1_30default_config_static_selectorELNS0_4arch9wavefront6targetE0EEEvSZ_.num_vgpr, 0
	.set _ZN7rocprim17ROCPRIM_400000_NS6detail17trampoline_kernelINS0_13select_configILj256ELj13ELNS0_17block_load_methodE3ELS4_3ELS4_3ELNS0_20block_scan_algorithmE0ELj4294967295EEENS1_25partition_config_selectorILNS1_17partition_subalgoE3EjNS0_10empty_typeEbEEZZNS1_14partition_implILS8_3ELb0ES6_jNS0_17counting_iteratorIjlEEPS9_SE_NS0_5tupleIJPjSE_EEENSF_IJSE_SE_EEES9_SG_JZNS1_25segmented_radix_sort_implINS0_14default_configELb0EPK12hip_bfloat16PSL_PKlPlN2at6native12_GLOBAL__N_18offset_tEEE10hipError_tPvRmT1_PNSt15iterator_traitsISZ_E10value_typeET2_T3_PNS10_IS15_E10value_typeET4_jRbjT5_S1B_jjP12ihipStream_tbEUljE_EEESW_SX_SY_S15_S19_S1B_T6_T7_T9_mT8_S1D_bDpT10_ENKUlT_T0_E_clISt17integral_constantIbLb1EES1P_IbLb0EEEEDaS1L_S1M_EUlS1L_E_NS1_11comp_targetILNS1_3genE3ELNS1_11target_archE908ELNS1_3gpuE7ELNS1_3repE0EEENS1_30default_config_static_selectorELNS0_4arch9wavefront6targetE0EEEvSZ_.num_agpr, 0
	.set _ZN7rocprim17ROCPRIM_400000_NS6detail17trampoline_kernelINS0_13select_configILj256ELj13ELNS0_17block_load_methodE3ELS4_3ELS4_3ELNS0_20block_scan_algorithmE0ELj4294967295EEENS1_25partition_config_selectorILNS1_17partition_subalgoE3EjNS0_10empty_typeEbEEZZNS1_14partition_implILS8_3ELb0ES6_jNS0_17counting_iteratorIjlEEPS9_SE_NS0_5tupleIJPjSE_EEENSF_IJSE_SE_EEES9_SG_JZNS1_25segmented_radix_sort_implINS0_14default_configELb0EPK12hip_bfloat16PSL_PKlPlN2at6native12_GLOBAL__N_18offset_tEEE10hipError_tPvRmT1_PNSt15iterator_traitsISZ_E10value_typeET2_T3_PNS10_IS15_E10value_typeET4_jRbjT5_S1B_jjP12ihipStream_tbEUljE_EEESW_SX_SY_S15_S19_S1B_T6_T7_T9_mT8_S1D_bDpT10_ENKUlT_T0_E_clISt17integral_constantIbLb1EES1P_IbLb0EEEEDaS1L_S1M_EUlS1L_E_NS1_11comp_targetILNS1_3genE3ELNS1_11target_archE908ELNS1_3gpuE7ELNS1_3repE0EEENS1_30default_config_static_selectorELNS0_4arch9wavefront6targetE0EEEvSZ_.numbered_sgpr, 0
	.set _ZN7rocprim17ROCPRIM_400000_NS6detail17trampoline_kernelINS0_13select_configILj256ELj13ELNS0_17block_load_methodE3ELS4_3ELS4_3ELNS0_20block_scan_algorithmE0ELj4294967295EEENS1_25partition_config_selectorILNS1_17partition_subalgoE3EjNS0_10empty_typeEbEEZZNS1_14partition_implILS8_3ELb0ES6_jNS0_17counting_iteratorIjlEEPS9_SE_NS0_5tupleIJPjSE_EEENSF_IJSE_SE_EEES9_SG_JZNS1_25segmented_radix_sort_implINS0_14default_configELb0EPK12hip_bfloat16PSL_PKlPlN2at6native12_GLOBAL__N_18offset_tEEE10hipError_tPvRmT1_PNSt15iterator_traitsISZ_E10value_typeET2_T3_PNS10_IS15_E10value_typeET4_jRbjT5_S1B_jjP12ihipStream_tbEUljE_EEESW_SX_SY_S15_S19_S1B_T6_T7_T9_mT8_S1D_bDpT10_ENKUlT_T0_E_clISt17integral_constantIbLb1EES1P_IbLb0EEEEDaS1L_S1M_EUlS1L_E_NS1_11comp_targetILNS1_3genE3ELNS1_11target_archE908ELNS1_3gpuE7ELNS1_3repE0EEENS1_30default_config_static_selectorELNS0_4arch9wavefront6targetE0EEEvSZ_.num_named_barrier, 0
	.set _ZN7rocprim17ROCPRIM_400000_NS6detail17trampoline_kernelINS0_13select_configILj256ELj13ELNS0_17block_load_methodE3ELS4_3ELS4_3ELNS0_20block_scan_algorithmE0ELj4294967295EEENS1_25partition_config_selectorILNS1_17partition_subalgoE3EjNS0_10empty_typeEbEEZZNS1_14partition_implILS8_3ELb0ES6_jNS0_17counting_iteratorIjlEEPS9_SE_NS0_5tupleIJPjSE_EEENSF_IJSE_SE_EEES9_SG_JZNS1_25segmented_radix_sort_implINS0_14default_configELb0EPK12hip_bfloat16PSL_PKlPlN2at6native12_GLOBAL__N_18offset_tEEE10hipError_tPvRmT1_PNSt15iterator_traitsISZ_E10value_typeET2_T3_PNS10_IS15_E10value_typeET4_jRbjT5_S1B_jjP12ihipStream_tbEUljE_EEESW_SX_SY_S15_S19_S1B_T6_T7_T9_mT8_S1D_bDpT10_ENKUlT_T0_E_clISt17integral_constantIbLb1EES1P_IbLb0EEEEDaS1L_S1M_EUlS1L_E_NS1_11comp_targetILNS1_3genE3ELNS1_11target_archE908ELNS1_3gpuE7ELNS1_3repE0EEENS1_30default_config_static_selectorELNS0_4arch9wavefront6targetE0EEEvSZ_.private_seg_size, 0
	.set _ZN7rocprim17ROCPRIM_400000_NS6detail17trampoline_kernelINS0_13select_configILj256ELj13ELNS0_17block_load_methodE3ELS4_3ELS4_3ELNS0_20block_scan_algorithmE0ELj4294967295EEENS1_25partition_config_selectorILNS1_17partition_subalgoE3EjNS0_10empty_typeEbEEZZNS1_14partition_implILS8_3ELb0ES6_jNS0_17counting_iteratorIjlEEPS9_SE_NS0_5tupleIJPjSE_EEENSF_IJSE_SE_EEES9_SG_JZNS1_25segmented_radix_sort_implINS0_14default_configELb0EPK12hip_bfloat16PSL_PKlPlN2at6native12_GLOBAL__N_18offset_tEEE10hipError_tPvRmT1_PNSt15iterator_traitsISZ_E10value_typeET2_T3_PNS10_IS15_E10value_typeET4_jRbjT5_S1B_jjP12ihipStream_tbEUljE_EEESW_SX_SY_S15_S19_S1B_T6_T7_T9_mT8_S1D_bDpT10_ENKUlT_T0_E_clISt17integral_constantIbLb1EES1P_IbLb0EEEEDaS1L_S1M_EUlS1L_E_NS1_11comp_targetILNS1_3genE3ELNS1_11target_archE908ELNS1_3gpuE7ELNS1_3repE0EEENS1_30default_config_static_selectorELNS0_4arch9wavefront6targetE0EEEvSZ_.uses_vcc, 0
	.set _ZN7rocprim17ROCPRIM_400000_NS6detail17trampoline_kernelINS0_13select_configILj256ELj13ELNS0_17block_load_methodE3ELS4_3ELS4_3ELNS0_20block_scan_algorithmE0ELj4294967295EEENS1_25partition_config_selectorILNS1_17partition_subalgoE3EjNS0_10empty_typeEbEEZZNS1_14partition_implILS8_3ELb0ES6_jNS0_17counting_iteratorIjlEEPS9_SE_NS0_5tupleIJPjSE_EEENSF_IJSE_SE_EEES9_SG_JZNS1_25segmented_radix_sort_implINS0_14default_configELb0EPK12hip_bfloat16PSL_PKlPlN2at6native12_GLOBAL__N_18offset_tEEE10hipError_tPvRmT1_PNSt15iterator_traitsISZ_E10value_typeET2_T3_PNS10_IS15_E10value_typeET4_jRbjT5_S1B_jjP12ihipStream_tbEUljE_EEESW_SX_SY_S15_S19_S1B_T6_T7_T9_mT8_S1D_bDpT10_ENKUlT_T0_E_clISt17integral_constantIbLb1EES1P_IbLb0EEEEDaS1L_S1M_EUlS1L_E_NS1_11comp_targetILNS1_3genE3ELNS1_11target_archE908ELNS1_3gpuE7ELNS1_3repE0EEENS1_30default_config_static_selectorELNS0_4arch9wavefront6targetE0EEEvSZ_.uses_flat_scratch, 0
	.set _ZN7rocprim17ROCPRIM_400000_NS6detail17trampoline_kernelINS0_13select_configILj256ELj13ELNS0_17block_load_methodE3ELS4_3ELS4_3ELNS0_20block_scan_algorithmE0ELj4294967295EEENS1_25partition_config_selectorILNS1_17partition_subalgoE3EjNS0_10empty_typeEbEEZZNS1_14partition_implILS8_3ELb0ES6_jNS0_17counting_iteratorIjlEEPS9_SE_NS0_5tupleIJPjSE_EEENSF_IJSE_SE_EEES9_SG_JZNS1_25segmented_radix_sort_implINS0_14default_configELb0EPK12hip_bfloat16PSL_PKlPlN2at6native12_GLOBAL__N_18offset_tEEE10hipError_tPvRmT1_PNSt15iterator_traitsISZ_E10value_typeET2_T3_PNS10_IS15_E10value_typeET4_jRbjT5_S1B_jjP12ihipStream_tbEUljE_EEESW_SX_SY_S15_S19_S1B_T6_T7_T9_mT8_S1D_bDpT10_ENKUlT_T0_E_clISt17integral_constantIbLb1EES1P_IbLb0EEEEDaS1L_S1M_EUlS1L_E_NS1_11comp_targetILNS1_3genE3ELNS1_11target_archE908ELNS1_3gpuE7ELNS1_3repE0EEENS1_30default_config_static_selectorELNS0_4arch9wavefront6targetE0EEEvSZ_.has_dyn_sized_stack, 0
	.set _ZN7rocprim17ROCPRIM_400000_NS6detail17trampoline_kernelINS0_13select_configILj256ELj13ELNS0_17block_load_methodE3ELS4_3ELS4_3ELNS0_20block_scan_algorithmE0ELj4294967295EEENS1_25partition_config_selectorILNS1_17partition_subalgoE3EjNS0_10empty_typeEbEEZZNS1_14partition_implILS8_3ELb0ES6_jNS0_17counting_iteratorIjlEEPS9_SE_NS0_5tupleIJPjSE_EEENSF_IJSE_SE_EEES9_SG_JZNS1_25segmented_radix_sort_implINS0_14default_configELb0EPK12hip_bfloat16PSL_PKlPlN2at6native12_GLOBAL__N_18offset_tEEE10hipError_tPvRmT1_PNSt15iterator_traitsISZ_E10value_typeET2_T3_PNS10_IS15_E10value_typeET4_jRbjT5_S1B_jjP12ihipStream_tbEUljE_EEESW_SX_SY_S15_S19_S1B_T6_T7_T9_mT8_S1D_bDpT10_ENKUlT_T0_E_clISt17integral_constantIbLb1EES1P_IbLb0EEEEDaS1L_S1M_EUlS1L_E_NS1_11comp_targetILNS1_3genE3ELNS1_11target_archE908ELNS1_3gpuE7ELNS1_3repE0EEENS1_30default_config_static_selectorELNS0_4arch9wavefront6targetE0EEEvSZ_.has_recursion, 0
	.set _ZN7rocprim17ROCPRIM_400000_NS6detail17trampoline_kernelINS0_13select_configILj256ELj13ELNS0_17block_load_methodE3ELS4_3ELS4_3ELNS0_20block_scan_algorithmE0ELj4294967295EEENS1_25partition_config_selectorILNS1_17partition_subalgoE3EjNS0_10empty_typeEbEEZZNS1_14partition_implILS8_3ELb0ES6_jNS0_17counting_iteratorIjlEEPS9_SE_NS0_5tupleIJPjSE_EEENSF_IJSE_SE_EEES9_SG_JZNS1_25segmented_radix_sort_implINS0_14default_configELb0EPK12hip_bfloat16PSL_PKlPlN2at6native12_GLOBAL__N_18offset_tEEE10hipError_tPvRmT1_PNSt15iterator_traitsISZ_E10value_typeET2_T3_PNS10_IS15_E10value_typeET4_jRbjT5_S1B_jjP12ihipStream_tbEUljE_EEESW_SX_SY_S15_S19_S1B_T6_T7_T9_mT8_S1D_bDpT10_ENKUlT_T0_E_clISt17integral_constantIbLb1EES1P_IbLb0EEEEDaS1L_S1M_EUlS1L_E_NS1_11comp_targetILNS1_3genE3ELNS1_11target_archE908ELNS1_3gpuE7ELNS1_3repE0EEENS1_30default_config_static_selectorELNS0_4arch9wavefront6targetE0EEEvSZ_.has_indirect_call, 0
	.section	.AMDGPU.csdata,"",@progbits
; Kernel info:
; codeLenInByte = 0
; TotalNumSgprs: 0
; NumVgprs: 0
; ScratchSize: 0
; MemoryBound: 0
; FloatMode: 240
; IeeeMode: 1
; LDSByteSize: 0 bytes/workgroup (compile time only)
; SGPRBlocks: 0
; VGPRBlocks: 0
; NumSGPRsForWavesPerEU: 1
; NumVGPRsForWavesPerEU: 1
; Occupancy: 16
; WaveLimiterHint : 0
; COMPUTE_PGM_RSRC2:SCRATCH_EN: 0
; COMPUTE_PGM_RSRC2:USER_SGPR: 2
; COMPUTE_PGM_RSRC2:TRAP_HANDLER: 0
; COMPUTE_PGM_RSRC2:TGID_X_EN: 1
; COMPUTE_PGM_RSRC2:TGID_Y_EN: 0
; COMPUTE_PGM_RSRC2:TGID_Z_EN: 0
; COMPUTE_PGM_RSRC2:TIDIG_COMP_CNT: 0
	.section	.text._ZN7rocprim17ROCPRIM_400000_NS6detail17trampoline_kernelINS0_13select_configILj256ELj13ELNS0_17block_load_methodE3ELS4_3ELS4_3ELNS0_20block_scan_algorithmE0ELj4294967295EEENS1_25partition_config_selectorILNS1_17partition_subalgoE3EjNS0_10empty_typeEbEEZZNS1_14partition_implILS8_3ELb0ES6_jNS0_17counting_iteratorIjlEEPS9_SE_NS0_5tupleIJPjSE_EEENSF_IJSE_SE_EEES9_SG_JZNS1_25segmented_radix_sort_implINS0_14default_configELb0EPK12hip_bfloat16PSL_PKlPlN2at6native12_GLOBAL__N_18offset_tEEE10hipError_tPvRmT1_PNSt15iterator_traitsISZ_E10value_typeET2_T3_PNS10_IS15_E10value_typeET4_jRbjT5_S1B_jjP12ihipStream_tbEUljE_EEESW_SX_SY_S15_S19_S1B_T6_T7_T9_mT8_S1D_bDpT10_ENKUlT_T0_E_clISt17integral_constantIbLb1EES1P_IbLb0EEEEDaS1L_S1M_EUlS1L_E_NS1_11comp_targetILNS1_3genE2ELNS1_11target_archE906ELNS1_3gpuE6ELNS1_3repE0EEENS1_30default_config_static_selectorELNS0_4arch9wavefront6targetE0EEEvSZ_,"axG",@progbits,_ZN7rocprim17ROCPRIM_400000_NS6detail17trampoline_kernelINS0_13select_configILj256ELj13ELNS0_17block_load_methodE3ELS4_3ELS4_3ELNS0_20block_scan_algorithmE0ELj4294967295EEENS1_25partition_config_selectorILNS1_17partition_subalgoE3EjNS0_10empty_typeEbEEZZNS1_14partition_implILS8_3ELb0ES6_jNS0_17counting_iteratorIjlEEPS9_SE_NS0_5tupleIJPjSE_EEENSF_IJSE_SE_EEES9_SG_JZNS1_25segmented_radix_sort_implINS0_14default_configELb0EPK12hip_bfloat16PSL_PKlPlN2at6native12_GLOBAL__N_18offset_tEEE10hipError_tPvRmT1_PNSt15iterator_traitsISZ_E10value_typeET2_T3_PNS10_IS15_E10value_typeET4_jRbjT5_S1B_jjP12ihipStream_tbEUljE_EEESW_SX_SY_S15_S19_S1B_T6_T7_T9_mT8_S1D_bDpT10_ENKUlT_T0_E_clISt17integral_constantIbLb1EES1P_IbLb0EEEEDaS1L_S1M_EUlS1L_E_NS1_11comp_targetILNS1_3genE2ELNS1_11target_archE906ELNS1_3gpuE6ELNS1_3repE0EEENS1_30default_config_static_selectorELNS0_4arch9wavefront6targetE0EEEvSZ_,comdat
	.globl	_ZN7rocprim17ROCPRIM_400000_NS6detail17trampoline_kernelINS0_13select_configILj256ELj13ELNS0_17block_load_methodE3ELS4_3ELS4_3ELNS0_20block_scan_algorithmE0ELj4294967295EEENS1_25partition_config_selectorILNS1_17partition_subalgoE3EjNS0_10empty_typeEbEEZZNS1_14partition_implILS8_3ELb0ES6_jNS0_17counting_iteratorIjlEEPS9_SE_NS0_5tupleIJPjSE_EEENSF_IJSE_SE_EEES9_SG_JZNS1_25segmented_radix_sort_implINS0_14default_configELb0EPK12hip_bfloat16PSL_PKlPlN2at6native12_GLOBAL__N_18offset_tEEE10hipError_tPvRmT1_PNSt15iterator_traitsISZ_E10value_typeET2_T3_PNS10_IS15_E10value_typeET4_jRbjT5_S1B_jjP12ihipStream_tbEUljE_EEESW_SX_SY_S15_S19_S1B_T6_T7_T9_mT8_S1D_bDpT10_ENKUlT_T0_E_clISt17integral_constantIbLb1EES1P_IbLb0EEEEDaS1L_S1M_EUlS1L_E_NS1_11comp_targetILNS1_3genE2ELNS1_11target_archE906ELNS1_3gpuE6ELNS1_3repE0EEENS1_30default_config_static_selectorELNS0_4arch9wavefront6targetE0EEEvSZ_ ; -- Begin function _ZN7rocprim17ROCPRIM_400000_NS6detail17trampoline_kernelINS0_13select_configILj256ELj13ELNS0_17block_load_methodE3ELS4_3ELS4_3ELNS0_20block_scan_algorithmE0ELj4294967295EEENS1_25partition_config_selectorILNS1_17partition_subalgoE3EjNS0_10empty_typeEbEEZZNS1_14partition_implILS8_3ELb0ES6_jNS0_17counting_iteratorIjlEEPS9_SE_NS0_5tupleIJPjSE_EEENSF_IJSE_SE_EEES9_SG_JZNS1_25segmented_radix_sort_implINS0_14default_configELb0EPK12hip_bfloat16PSL_PKlPlN2at6native12_GLOBAL__N_18offset_tEEE10hipError_tPvRmT1_PNSt15iterator_traitsISZ_E10value_typeET2_T3_PNS10_IS15_E10value_typeET4_jRbjT5_S1B_jjP12ihipStream_tbEUljE_EEESW_SX_SY_S15_S19_S1B_T6_T7_T9_mT8_S1D_bDpT10_ENKUlT_T0_E_clISt17integral_constantIbLb1EES1P_IbLb0EEEEDaS1L_S1M_EUlS1L_E_NS1_11comp_targetILNS1_3genE2ELNS1_11target_archE906ELNS1_3gpuE6ELNS1_3repE0EEENS1_30default_config_static_selectorELNS0_4arch9wavefront6targetE0EEEvSZ_
	.p2align	8
	.type	_ZN7rocprim17ROCPRIM_400000_NS6detail17trampoline_kernelINS0_13select_configILj256ELj13ELNS0_17block_load_methodE3ELS4_3ELS4_3ELNS0_20block_scan_algorithmE0ELj4294967295EEENS1_25partition_config_selectorILNS1_17partition_subalgoE3EjNS0_10empty_typeEbEEZZNS1_14partition_implILS8_3ELb0ES6_jNS0_17counting_iteratorIjlEEPS9_SE_NS0_5tupleIJPjSE_EEENSF_IJSE_SE_EEES9_SG_JZNS1_25segmented_radix_sort_implINS0_14default_configELb0EPK12hip_bfloat16PSL_PKlPlN2at6native12_GLOBAL__N_18offset_tEEE10hipError_tPvRmT1_PNSt15iterator_traitsISZ_E10value_typeET2_T3_PNS10_IS15_E10value_typeET4_jRbjT5_S1B_jjP12ihipStream_tbEUljE_EEESW_SX_SY_S15_S19_S1B_T6_T7_T9_mT8_S1D_bDpT10_ENKUlT_T0_E_clISt17integral_constantIbLb1EES1P_IbLb0EEEEDaS1L_S1M_EUlS1L_E_NS1_11comp_targetILNS1_3genE2ELNS1_11target_archE906ELNS1_3gpuE6ELNS1_3repE0EEENS1_30default_config_static_selectorELNS0_4arch9wavefront6targetE0EEEvSZ_,@function
_ZN7rocprim17ROCPRIM_400000_NS6detail17trampoline_kernelINS0_13select_configILj256ELj13ELNS0_17block_load_methodE3ELS4_3ELS4_3ELNS0_20block_scan_algorithmE0ELj4294967295EEENS1_25partition_config_selectorILNS1_17partition_subalgoE3EjNS0_10empty_typeEbEEZZNS1_14partition_implILS8_3ELb0ES6_jNS0_17counting_iteratorIjlEEPS9_SE_NS0_5tupleIJPjSE_EEENSF_IJSE_SE_EEES9_SG_JZNS1_25segmented_radix_sort_implINS0_14default_configELb0EPK12hip_bfloat16PSL_PKlPlN2at6native12_GLOBAL__N_18offset_tEEE10hipError_tPvRmT1_PNSt15iterator_traitsISZ_E10value_typeET2_T3_PNS10_IS15_E10value_typeET4_jRbjT5_S1B_jjP12ihipStream_tbEUljE_EEESW_SX_SY_S15_S19_S1B_T6_T7_T9_mT8_S1D_bDpT10_ENKUlT_T0_E_clISt17integral_constantIbLb1EES1P_IbLb0EEEEDaS1L_S1M_EUlS1L_E_NS1_11comp_targetILNS1_3genE2ELNS1_11target_archE906ELNS1_3gpuE6ELNS1_3repE0EEENS1_30default_config_static_selectorELNS0_4arch9wavefront6targetE0EEEvSZ_: ; @_ZN7rocprim17ROCPRIM_400000_NS6detail17trampoline_kernelINS0_13select_configILj256ELj13ELNS0_17block_load_methodE3ELS4_3ELS4_3ELNS0_20block_scan_algorithmE0ELj4294967295EEENS1_25partition_config_selectorILNS1_17partition_subalgoE3EjNS0_10empty_typeEbEEZZNS1_14partition_implILS8_3ELb0ES6_jNS0_17counting_iteratorIjlEEPS9_SE_NS0_5tupleIJPjSE_EEENSF_IJSE_SE_EEES9_SG_JZNS1_25segmented_radix_sort_implINS0_14default_configELb0EPK12hip_bfloat16PSL_PKlPlN2at6native12_GLOBAL__N_18offset_tEEE10hipError_tPvRmT1_PNSt15iterator_traitsISZ_E10value_typeET2_T3_PNS10_IS15_E10value_typeET4_jRbjT5_S1B_jjP12ihipStream_tbEUljE_EEESW_SX_SY_S15_S19_S1B_T6_T7_T9_mT8_S1D_bDpT10_ENKUlT_T0_E_clISt17integral_constantIbLb1EES1P_IbLb0EEEEDaS1L_S1M_EUlS1L_E_NS1_11comp_targetILNS1_3genE2ELNS1_11target_archE906ELNS1_3gpuE6ELNS1_3repE0EEENS1_30default_config_static_selectorELNS0_4arch9wavefront6targetE0EEEvSZ_
; %bb.0:
	.section	.rodata,"a",@progbits
	.p2align	6, 0x0
	.amdhsa_kernel _ZN7rocprim17ROCPRIM_400000_NS6detail17trampoline_kernelINS0_13select_configILj256ELj13ELNS0_17block_load_methodE3ELS4_3ELS4_3ELNS0_20block_scan_algorithmE0ELj4294967295EEENS1_25partition_config_selectorILNS1_17partition_subalgoE3EjNS0_10empty_typeEbEEZZNS1_14partition_implILS8_3ELb0ES6_jNS0_17counting_iteratorIjlEEPS9_SE_NS0_5tupleIJPjSE_EEENSF_IJSE_SE_EEES9_SG_JZNS1_25segmented_radix_sort_implINS0_14default_configELb0EPK12hip_bfloat16PSL_PKlPlN2at6native12_GLOBAL__N_18offset_tEEE10hipError_tPvRmT1_PNSt15iterator_traitsISZ_E10value_typeET2_T3_PNS10_IS15_E10value_typeET4_jRbjT5_S1B_jjP12ihipStream_tbEUljE_EEESW_SX_SY_S15_S19_S1B_T6_T7_T9_mT8_S1D_bDpT10_ENKUlT_T0_E_clISt17integral_constantIbLb1EES1P_IbLb0EEEEDaS1L_S1M_EUlS1L_E_NS1_11comp_targetILNS1_3genE2ELNS1_11target_archE906ELNS1_3gpuE6ELNS1_3repE0EEENS1_30default_config_static_selectorELNS0_4arch9wavefront6targetE0EEEvSZ_
		.amdhsa_group_segment_fixed_size 0
		.amdhsa_private_segment_fixed_size 0
		.amdhsa_kernarg_size 144
		.amdhsa_user_sgpr_count 2
		.amdhsa_user_sgpr_dispatch_ptr 0
		.amdhsa_user_sgpr_queue_ptr 0
		.amdhsa_user_sgpr_kernarg_segment_ptr 1
		.amdhsa_user_sgpr_dispatch_id 0
		.amdhsa_user_sgpr_private_segment_size 0
		.amdhsa_wavefront_size32 1
		.amdhsa_uses_dynamic_stack 0
		.amdhsa_enable_private_segment 0
		.amdhsa_system_sgpr_workgroup_id_x 1
		.amdhsa_system_sgpr_workgroup_id_y 0
		.amdhsa_system_sgpr_workgroup_id_z 0
		.amdhsa_system_sgpr_workgroup_info 0
		.amdhsa_system_vgpr_workitem_id 0
		.amdhsa_next_free_vgpr 1
		.amdhsa_next_free_sgpr 1
		.amdhsa_reserve_vcc 0
		.amdhsa_float_round_mode_32 0
		.amdhsa_float_round_mode_16_64 0
		.amdhsa_float_denorm_mode_32 3
		.amdhsa_float_denorm_mode_16_64 3
		.amdhsa_fp16_overflow 0
		.amdhsa_workgroup_processor_mode 1
		.amdhsa_memory_ordered 1
		.amdhsa_forward_progress 1
		.amdhsa_inst_pref_size 0
		.amdhsa_round_robin_scheduling 0
		.amdhsa_exception_fp_ieee_invalid_op 0
		.amdhsa_exception_fp_denorm_src 0
		.amdhsa_exception_fp_ieee_div_zero 0
		.amdhsa_exception_fp_ieee_overflow 0
		.amdhsa_exception_fp_ieee_underflow 0
		.amdhsa_exception_fp_ieee_inexact 0
		.amdhsa_exception_int_div_zero 0
	.end_amdhsa_kernel
	.section	.text._ZN7rocprim17ROCPRIM_400000_NS6detail17trampoline_kernelINS0_13select_configILj256ELj13ELNS0_17block_load_methodE3ELS4_3ELS4_3ELNS0_20block_scan_algorithmE0ELj4294967295EEENS1_25partition_config_selectorILNS1_17partition_subalgoE3EjNS0_10empty_typeEbEEZZNS1_14partition_implILS8_3ELb0ES6_jNS0_17counting_iteratorIjlEEPS9_SE_NS0_5tupleIJPjSE_EEENSF_IJSE_SE_EEES9_SG_JZNS1_25segmented_radix_sort_implINS0_14default_configELb0EPK12hip_bfloat16PSL_PKlPlN2at6native12_GLOBAL__N_18offset_tEEE10hipError_tPvRmT1_PNSt15iterator_traitsISZ_E10value_typeET2_T3_PNS10_IS15_E10value_typeET4_jRbjT5_S1B_jjP12ihipStream_tbEUljE_EEESW_SX_SY_S15_S19_S1B_T6_T7_T9_mT8_S1D_bDpT10_ENKUlT_T0_E_clISt17integral_constantIbLb1EES1P_IbLb0EEEEDaS1L_S1M_EUlS1L_E_NS1_11comp_targetILNS1_3genE2ELNS1_11target_archE906ELNS1_3gpuE6ELNS1_3repE0EEENS1_30default_config_static_selectorELNS0_4arch9wavefront6targetE0EEEvSZ_,"axG",@progbits,_ZN7rocprim17ROCPRIM_400000_NS6detail17trampoline_kernelINS0_13select_configILj256ELj13ELNS0_17block_load_methodE3ELS4_3ELS4_3ELNS0_20block_scan_algorithmE0ELj4294967295EEENS1_25partition_config_selectorILNS1_17partition_subalgoE3EjNS0_10empty_typeEbEEZZNS1_14partition_implILS8_3ELb0ES6_jNS0_17counting_iteratorIjlEEPS9_SE_NS0_5tupleIJPjSE_EEENSF_IJSE_SE_EEES9_SG_JZNS1_25segmented_radix_sort_implINS0_14default_configELb0EPK12hip_bfloat16PSL_PKlPlN2at6native12_GLOBAL__N_18offset_tEEE10hipError_tPvRmT1_PNSt15iterator_traitsISZ_E10value_typeET2_T3_PNS10_IS15_E10value_typeET4_jRbjT5_S1B_jjP12ihipStream_tbEUljE_EEESW_SX_SY_S15_S19_S1B_T6_T7_T9_mT8_S1D_bDpT10_ENKUlT_T0_E_clISt17integral_constantIbLb1EES1P_IbLb0EEEEDaS1L_S1M_EUlS1L_E_NS1_11comp_targetILNS1_3genE2ELNS1_11target_archE906ELNS1_3gpuE6ELNS1_3repE0EEENS1_30default_config_static_selectorELNS0_4arch9wavefront6targetE0EEEvSZ_,comdat
.Lfunc_end2037:
	.size	_ZN7rocprim17ROCPRIM_400000_NS6detail17trampoline_kernelINS0_13select_configILj256ELj13ELNS0_17block_load_methodE3ELS4_3ELS4_3ELNS0_20block_scan_algorithmE0ELj4294967295EEENS1_25partition_config_selectorILNS1_17partition_subalgoE3EjNS0_10empty_typeEbEEZZNS1_14partition_implILS8_3ELb0ES6_jNS0_17counting_iteratorIjlEEPS9_SE_NS0_5tupleIJPjSE_EEENSF_IJSE_SE_EEES9_SG_JZNS1_25segmented_radix_sort_implINS0_14default_configELb0EPK12hip_bfloat16PSL_PKlPlN2at6native12_GLOBAL__N_18offset_tEEE10hipError_tPvRmT1_PNSt15iterator_traitsISZ_E10value_typeET2_T3_PNS10_IS15_E10value_typeET4_jRbjT5_S1B_jjP12ihipStream_tbEUljE_EEESW_SX_SY_S15_S19_S1B_T6_T7_T9_mT8_S1D_bDpT10_ENKUlT_T0_E_clISt17integral_constantIbLb1EES1P_IbLb0EEEEDaS1L_S1M_EUlS1L_E_NS1_11comp_targetILNS1_3genE2ELNS1_11target_archE906ELNS1_3gpuE6ELNS1_3repE0EEENS1_30default_config_static_selectorELNS0_4arch9wavefront6targetE0EEEvSZ_, .Lfunc_end2037-_ZN7rocprim17ROCPRIM_400000_NS6detail17trampoline_kernelINS0_13select_configILj256ELj13ELNS0_17block_load_methodE3ELS4_3ELS4_3ELNS0_20block_scan_algorithmE0ELj4294967295EEENS1_25partition_config_selectorILNS1_17partition_subalgoE3EjNS0_10empty_typeEbEEZZNS1_14partition_implILS8_3ELb0ES6_jNS0_17counting_iteratorIjlEEPS9_SE_NS0_5tupleIJPjSE_EEENSF_IJSE_SE_EEES9_SG_JZNS1_25segmented_radix_sort_implINS0_14default_configELb0EPK12hip_bfloat16PSL_PKlPlN2at6native12_GLOBAL__N_18offset_tEEE10hipError_tPvRmT1_PNSt15iterator_traitsISZ_E10value_typeET2_T3_PNS10_IS15_E10value_typeET4_jRbjT5_S1B_jjP12ihipStream_tbEUljE_EEESW_SX_SY_S15_S19_S1B_T6_T7_T9_mT8_S1D_bDpT10_ENKUlT_T0_E_clISt17integral_constantIbLb1EES1P_IbLb0EEEEDaS1L_S1M_EUlS1L_E_NS1_11comp_targetILNS1_3genE2ELNS1_11target_archE906ELNS1_3gpuE6ELNS1_3repE0EEENS1_30default_config_static_selectorELNS0_4arch9wavefront6targetE0EEEvSZ_
                                        ; -- End function
	.set _ZN7rocprim17ROCPRIM_400000_NS6detail17trampoline_kernelINS0_13select_configILj256ELj13ELNS0_17block_load_methodE3ELS4_3ELS4_3ELNS0_20block_scan_algorithmE0ELj4294967295EEENS1_25partition_config_selectorILNS1_17partition_subalgoE3EjNS0_10empty_typeEbEEZZNS1_14partition_implILS8_3ELb0ES6_jNS0_17counting_iteratorIjlEEPS9_SE_NS0_5tupleIJPjSE_EEENSF_IJSE_SE_EEES9_SG_JZNS1_25segmented_radix_sort_implINS0_14default_configELb0EPK12hip_bfloat16PSL_PKlPlN2at6native12_GLOBAL__N_18offset_tEEE10hipError_tPvRmT1_PNSt15iterator_traitsISZ_E10value_typeET2_T3_PNS10_IS15_E10value_typeET4_jRbjT5_S1B_jjP12ihipStream_tbEUljE_EEESW_SX_SY_S15_S19_S1B_T6_T7_T9_mT8_S1D_bDpT10_ENKUlT_T0_E_clISt17integral_constantIbLb1EES1P_IbLb0EEEEDaS1L_S1M_EUlS1L_E_NS1_11comp_targetILNS1_3genE2ELNS1_11target_archE906ELNS1_3gpuE6ELNS1_3repE0EEENS1_30default_config_static_selectorELNS0_4arch9wavefront6targetE0EEEvSZ_.num_vgpr, 0
	.set _ZN7rocprim17ROCPRIM_400000_NS6detail17trampoline_kernelINS0_13select_configILj256ELj13ELNS0_17block_load_methodE3ELS4_3ELS4_3ELNS0_20block_scan_algorithmE0ELj4294967295EEENS1_25partition_config_selectorILNS1_17partition_subalgoE3EjNS0_10empty_typeEbEEZZNS1_14partition_implILS8_3ELb0ES6_jNS0_17counting_iteratorIjlEEPS9_SE_NS0_5tupleIJPjSE_EEENSF_IJSE_SE_EEES9_SG_JZNS1_25segmented_radix_sort_implINS0_14default_configELb0EPK12hip_bfloat16PSL_PKlPlN2at6native12_GLOBAL__N_18offset_tEEE10hipError_tPvRmT1_PNSt15iterator_traitsISZ_E10value_typeET2_T3_PNS10_IS15_E10value_typeET4_jRbjT5_S1B_jjP12ihipStream_tbEUljE_EEESW_SX_SY_S15_S19_S1B_T6_T7_T9_mT8_S1D_bDpT10_ENKUlT_T0_E_clISt17integral_constantIbLb1EES1P_IbLb0EEEEDaS1L_S1M_EUlS1L_E_NS1_11comp_targetILNS1_3genE2ELNS1_11target_archE906ELNS1_3gpuE6ELNS1_3repE0EEENS1_30default_config_static_selectorELNS0_4arch9wavefront6targetE0EEEvSZ_.num_agpr, 0
	.set _ZN7rocprim17ROCPRIM_400000_NS6detail17trampoline_kernelINS0_13select_configILj256ELj13ELNS0_17block_load_methodE3ELS4_3ELS4_3ELNS0_20block_scan_algorithmE0ELj4294967295EEENS1_25partition_config_selectorILNS1_17partition_subalgoE3EjNS0_10empty_typeEbEEZZNS1_14partition_implILS8_3ELb0ES6_jNS0_17counting_iteratorIjlEEPS9_SE_NS0_5tupleIJPjSE_EEENSF_IJSE_SE_EEES9_SG_JZNS1_25segmented_radix_sort_implINS0_14default_configELb0EPK12hip_bfloat16PSL_PKlPlN2at6native12_GLOBAL__N_18offset_tEEE10hipError_tPvRmT1_PNSt15iterator_traitsISZ_E10value_typeET2_T3_PNS10_IS15_E10value_typeET4_jRbjT5_S1B_jjP12ihipStream_tbEUljE_EEESW_SX_SY_S15_S19_S1B_T6_T7_T9_mT8_S1D_bDpT10_ENKUlT_T0_E_clISt17integral_constantIbLb1EES1P_IbLb0EEEEDaS1L_S1M_EUlS1L_E_NS1_11comp_targetILNS1_3genE2ELNS1_11target_archE906ELNS1_3gpuE6ELNS1_3repE0EEENS1_30default_config_static_selectorELNS0_4arch9wavefront6targetE0EEEvSZ_.numbered_sgpr, 0
	.set _ZN7rocprim17ROCPRIM_400000_NS6detail17trampoline_kernelINS0_13select_configILj256ELj13ELNS0_17block_load_methodE3ELS4_3ELS4_3ELNS0_20block_scan_algorithmE0ELj4294967295EEENS1_25partition_config_selectorILNS1_17partition_subalgoE3EjNS0_10empty_typeEbEEZZNS1_14partition_implILS8_3ELb0ES6_jNS0_17counting_iteratorIjlEEPS9_SE_NS0_5tupleIJPjSE_EEENSF_IJSE_SE_EEES9_SG_JZNS1_25segmented_radix_sort_implINS0_14default_configELb0EPK12hip_bfloat16PSL_PKlPlN2at6native12_GLOBAL__N_18offset_tEEE10hipError_tPvRmT1_PNSt15iterator_traitsISZ_E10value_typeET2_T3_PNS10_IS15_E10value_typeET4_jRbjT5_S1B_jjP12ihipStream_tbEUljE_EEESW_SX_SY_S15_S19_S1B_T6_T7_T9_mT8_S1D_bDpT10_ENKUlT_T0_E_clISt17integral_constantIbLb1EES1P_IbLb0EEEEDaS1L_S1M_EUlS1L_E_NS1_11comp_targetILNS1_3genE2ELNS1_11target_archE906ELNS1_3gpuE6ELNS1_3repE0EEENS1_30default_config_static_selectorELNS0_4arch9wavefront6targetE0EEEvSZ_.num_named_barrier, 0
	.set _ZN7rocprim17ROCPRIM_400000_NS6detail17trampoline_kernelINS0_13select_configILj256ELj13ELNS0_17block_load_methodE3ELS4_3ELS4_3ELNS0_20block_scan_algorithmE0ELj4294967295EEENS1_25partition_config_selectorILNS1_17partition_subalgoE3EjNS0_10empty_typeEbEEZZNS1_14partition_implILS8_3ELb0ES6_jNS0_17counting_iteratorIjlEEPS9_SE_NS0_5tupleIJPjSE_EEENSF_IJSE_SE_EEES9_SG_JZNS1_25segmented_radix_sort_implINS0_14default_configELb0EPK12hip_bfloat16PSL_PKlPlN2at6native12_GLOBAL__N_18offset_tEEE10hipError_tPvRmT1_PNSt15iterator_traitsISZ_E10value_typeET2_T3_PNS10_IS15_E10value_typeET4_jRbjT5_S1B_jjP12ihipStream_tbEUljE_EEESW_SX_SY_S15_S19_S1B_T6_T7_T9_mT8_S1D_bDpT10_ENKUlT_T0_E_clISt17integral_constantIbLb1EES1P_IbLb0EEEEDaS1L_S1M_EUlS1L_E_NS1_11comp_targetILNS1_3genE2ELNS1_11target_archE906ELNS1_3gpuE6ELNS1_3repE0EEENS1_30default_config_static_selectorELNS0_4arch9wavefront6targetE0EEEvSZ_.private_seg_size, 0
	.set _ZN7rocprim17ROCPRIM_400000_NS6detail17trampoline_kernelINS0_13select_configILj256ELj13ELNS0_17block_load_methodE3ELS4_3ELS4_3ELNS0_20block_scan_algorithmE0ELj4294967295EEENS1_25partition_config_selectorILNS1_17partition_subalgoE3EjNS0_10empty_typeEbEEZZNS1_14partition_implILS8_3ELb0ES6_jNS0_17counting_iteratorIjlEEPS9_SE_NS0_5tupleIJPjSE_EEENSF_IJSE_SE_EEES9_SG_JZNS1_25segmented_radix_sort_implINS0_14default_configELb0EPK12hip_bfloat16PSL_PKlPlN2at6native12_GLOBAL__N_18offset_tEEE10hipError_tPvRmT1_PNSt15iterator_traitsISZ_E10value_typeET2_T3_PNS10_IS15_E10value_typeET4_jRbjT5_S1B_jjP12ihipStream_tbEUljE_EEESW_SX_SY_S15_S19_S1B_T6_T7_T9_mT8_S1D_bDpT10_ENKUlT_T0_E_clISt17integral_constantIbLb1EES1P_IbLb0EEEEDaS1L_S1M_EUlS1L_E_NS1_11comp_targetILNS1_3genE2ELNS1_11target_archE906ELNS1_3gpuE6ELNS1_3repE0EEENS1_30default_config_static_selectorELNS0_4arch9wavefront6targetE0EEEvSZ_.uses_vcc, 0
	.set _ZN7rocprim17ROCPRIM_400000_NS6detail17trampoline_kernelINS0_13select_configILj256ELj13ELNS0_17block_load_methodE3ELS4_3ELS4_3ELNS0_20block_scan_algorithmE0ELj4294967295EEENS1_25partition_config_selectorILNS1_17partition_subalgoE3EjNS0_10empty_typeEbEEZZNS1_14partition_implILS8_3ELb0ES6_jNS0_17counting_iteratorIjlEEPS9_SE_NS0_5tupleIJPjSE_EEENSF_IJSE_SE_EEES9_SG_JZNS1_25segmented_radix_sort_implINS0_14default_configELb0EPK12hip_bfloat16PSL_PKlPlN2at6native12_GLOBAL__N_18offset_tEEE10hipError_tPvRmT1_PNSt15iterator_traitsISZ_E10value_typeET2_T3_PNS10_IS15_E10value_typeET4_jRbjT5_S1B_jjP12ihipStream_tbEUljE_EEESW_SX_SY_S15_S19_S1B_T6_T7_T9_mT8_S1D_bDpT10_ENKUlT_T0_E_clISt17integral_constantIbLb1EES1P_IbLb0EEEEDaS1L_S1M_EUlS1L_E_NS1_11comp_targetILNS1_3genE2ELNS1_11target_archE906ELNS1_3gpuE6ELNS1_3repE0EEENS1_30default_config_static_selectorELNS0_4arch9wavefront6targetE0EEEvSZ_.uses_flat_scratch, 0
	.set _ZN7rocprim17ROCPRIM_400000_NS6detail17trampoline_kernelINS0_13select_configILj256ELj13ELNS0_17block_load_methodE3ELS4_3ELS4_3ELNS0_20block_scan_algorithmE0ELj4294967295EEENS1_25partition_config_selectorILNS1_17partition_subalgoE3EjNS0_10empty_typeEbEEZZNS1_14partition_implILS8_3ELb0ES6_jNS0_17counting_iteratorIjlEEPS9_SE_NS0_5tupleIJPjSE_EEENSF_IJSE_SE_EEES9_SG_JZNS1_25segmented_radix_sort_implINS0_14default_configELb0EPK12hip_bfloat16PSL_PKlPlN2at6native12_GLOBAL__N_18offset_tEEE10hipError_tPvRmT1_PNSt15iterator_traitsISZ_E10value_typeET2_T3_PNS10_IS15_E10value_typeET4_jRbjT5_S1B_jjP12ihipStream_tbEUljE_EEESW_SX_SY_S15_S19_S1B_T6_T7_T9_mT8_S1D_bDpT10_ENKUlT_T0_E_clISt17integral_constantIbLb1EES1P_IbLb0EEEEDaS1L_S1M_EUlS1L_E_NS1_11comp_targetILNS1_3genE2ELNS1_11target_archE906ELNS1_3gpuE6ELNS1_3repE0EEENS1_30default_config_static_selectorELNS0_4arch9wavefront6targetE0EEEvSZ_.has_dyn_sized_stack, 0
	.set _ZN7rocprim17ROCPRIM_400000_NS6detail17trampoline_kernelINS0_13select_configILj256ELj13ELNS0_17block_load_methodE3ELS4_3ELS4_3ELNS0_20block_scan_algorithmE0ELj4294967295EEENS1_25partition_config_selectorILNS1_17partition_subalgoE3EjNS0_10empty_typeEbEEZZNS1_14partition_implILS8_3ELb0ES6_jNS0_17counting_iteratorIjlEEPS9_SE_NS0_5tupleIJPjSE_EEENSF_IJSE_SE_EEES9_SG_JZNS1_25segmented_radix_sort_implINS0_14default_configELb0EPK12hip_bfloat16PSL_PKlPlN2at6native12_GLOBAL__N_18offset_tEEE10hipError_tPvRmT1_PNSt15iterator_traitsISZ_E10value_typeET2_T3_PNS10_IS15_E10value_typeET4_jRbjT5_S1B_jjP12ihipStream_tbEUljE_EEESW_SX_SY_S15_S19_S1B_T6_T7_T9_mT8_S1D_bDpT10_ENKUlT_T0_E_clISt17integral_constantIbLb1EES1P_IbLb0EEEEDaS1L_S1M_EUlS1L_E_NS1_11comp_targetILNS1_3genE2ELNS1_11target_archE906ELNS1_3gpuE6ELNS1_3repE0EEENS1_30default_config_static_selectorELNS0_4arch9wavefront6targetE0EEEvSZ_.has_recursion, 0
	.set _ZN7rocprim17ROCPRIM_400000_NS6detail17trampoline_kernelINS0_13select_configILj256ELj13ELNS0_17block_load_methodE3ELS4_3ELS4_3ELNS0_20block_scan_algorithmE0ELj4294967295EEENS1_25partition_config_selectorILNS1_17partition_subalgoE3EjNS0_10empty_typeEbEEZZNS1_14partition_implILS8_3ELb0ES6_jNS0_17counting_iteratorIjlEEPS9_SE_NS0_5tupleIJPjSE_EEENSF_IJSE_SE_EEES9_SG_JZNS1_25segmented_radix_sort_implINS0_14default_configELb0EPK12hip_bfloat16PSL_PKlPlN2at6native12_GLOBAL__N_18offset_tEEE10hipError_tPvRmT1_PNSt15iterator_traitsISZ_E10value_typeET2_T3_PNS10_IS15_E10value_typeET4_jRbjT5_S1B_jjP12ihipStream_tbEUljE_EEESW_SX_SY_S15_S19_S1B_T6_T7_T9_mT8_S1D_bDpT10_ENKUlT_T0_E_clISt17integral_constantIbLb1EES1P_IbLb0EEEEDaS1L_S1M_EUlS1L_E_NS1_11comp_targetILNS1_3genE2ELNS1_11target_archE906ELNS1_3gpuE6ELNS1_3repE0EEENS1_30default_config_static_selectorELNS0_4arch9wavefront6targetE0EEEvSZ_.has_indirect_call, 0
	.section	.AMDGPU.csdata,"",@progbits
; Kernel info:
; codeLenInByte = 0
; TotalNumSgprs: 0
; NumVgprs: 0
; ScratchSize: 0
; MemoryBound: 0
; FloatMode: 240
; IeeeMode: 1
; LDSByteSize: 0 bytes/workgroup (compile time only)
; SGPRBlocks: 0
; VGPRBlocks: 0
; NumSGPRsForWavesPerEU: 1
; NumVGPRsForWavesPerEU: 1
; Occupancy: 16
; WaveLimiterHint : 0
; COMPUTE_PGM_RSRC2:SCRATCH_EN: 0
; COMPUTE_PGM_RSRC2:USER_SGPR: 2
; COMPUTE_PGM_RSRC2:TRAP_HANDLER: 0
; COMPUTE_PGM_RSRC2:TGID_X_EN: 1
; COMPUTE_PGM_RSRC2:TGID_Y_EN: 0
; COMPUTE_PGM_RSRC2:TGID_Z_EN: 0
; COMPUTE_PGM_RSRC2:TIDIG_COMP_CNT: 0
	.section	.text._ZN7rocprim17ROCPRIM_400000_NS6detail17trampoline_kernelINS0_13select_configILj256ELj13ELNS0_17block_load_methodE3ELS4_3ELS4_3ELNS0_20block_scan_algorithmE0ELj4294967295EEENS1_25partition_config_selectorILNS1_17partition_subalgoE3EjNS0_10empty_typeEbEEZZNS1_14partition_implILS8_3ELb0ES6_jNS0_17counting_iteratorIjlEEPS9_SE_NS0_5tupleIJPjSE_EEENSF_IJSE_SE_EEES9_SG_JZNS1_25segmented_radix_sort_implINS0_14default_configELb0EPK12hip_bfloat16PSL_PKlPlN2at6native12_GLOBAL__N_18offset_tEEE10hipError_tPvRmT1_PNSt15iterator_traitsISZ_E10value_typeET2_T3_PNS10_IS15_E10value_typeET4_jRbjT5_S1B_jjP12ihipStream_tbEUljE_EEESW_SX_SY_S15_S19_S1B_T6_T7_T9_mT8_S1D_bDpT10_ENKUlT_T0_E_clISt17integral_constantIbLb1EES1P_IbLb0EEEEDaS1L_S1M_EUlS1L_E_NS1_11comp_targetILNS1_3genE10ELNS1_11target_archE1200ELNS1_3gpuE4ELNS1_3repE0EEENS1_30default_config_static_selectorELNS0_4arch9wavefront6targetE0EEEvSZ_,"axG",@progbits,_ZN7rocprim17ROCPRIM_400000_NS6detail17trampoline_kernelINS0_13select_configILj256ELj13ELNS0_17block_load_methodE3ELS4_3ELS4_3ELNS0_20block_scan_algorithmE0ELj4294967295EEENS1_25partition_config_selectorILNS1_17partition_subalgoE3EjNS0_10empty_typeEbEEZZNS1_14partition_implILS8_3ELb0ES6_jNS0_17counting_iteratorIjlEEPS9_SE_NS0_5tupleIJPjSE_EEENSF_IJSE_SE_EEES9_SG_JZNS1_25segmented_radix_sort_implINS0_14default_configELb0EPK12hip_bfloat16PSL_PKlPlN2at6native12_GLOBAL__N_18offset_tEEE10hipError_tPvRmT1_PNSt15iterator_traitsISZ_E10value_typeET2_T3_PNS10_IS15_E10value_typeET4_jRbjT5_S1B_jjP12ihipStream_tbEUljE_EEESW_SX_SY_S15_S19_S1B_T6_T7_T9_mT8_S1D_bDpT10_ENKUlT_T0_E_clISt17integral_constantIbLb1EES1P_IbLb0EEEEDaS1L_S1M_EUlS1L_E_NS1_11comp_targetILNS1_3genE10ELNS1_11target_archE1200ELNS1_3gpuE4ELNS1_3repE0EEENS1_30default_config_static_selectorELNS0_4arch9wavefront6targetE0EEEvSZ_,comdat
	.globl	_ZN7rocprim17ROCPRIM_400000_NS6detail17trampoline_kernelINS0_13select_configILj256ELj13ELNS0_17block_load_methodE3ELS4_3ELS4_3ELNS0_20block_scan_algorithmE0ELj4294967295EEENS1_25partition_config_selectorILNS1_17partition_subalgoE3EjNS0_10empty_typeEbEEZZNS1_14partition_implILS8_3ELb0ES6_jNS0_17counting_iteratorIjlEEPS9_SE_NS0_5tupleIJPjSE_EEENSF_IJSE_SE_EEES9_SG_JZNS1_25segmented_radix_sort_implINS0_14default_configELb0EPK12hip_bfloat16PSL_PKlPlN2at6native12_GLOBAL__N_18offset_tEEE10hipError_tPvRmT1_PNSt15iterator_traitsISZ_E10value_typeET2_T3_PNS10_IS15_E10value_typeET4_jRbjT5_S1B_jjP12ihipStream_tbEUljE_EEESW_SX_SY_S15_S19_S1B_T6_T7_T9_mT8_S1D_bDpT10_ENKUlT_T0_E_clISt17integral_constantIbLb1EES1P_IbLb0EEEEDaS1L_S1M_EUlS1L_E_NS1_11comp_targetILNS1_3genE10ELNS1_11target_archE1200ELNS1_3gpuE4ELNS1_3repE0EEENS1_30default_config_static_selectorELNS0_4arch9wavefront6targetE0EEEvSZ_ ; -- Begin function _ZN7rocprim17ROCPRIM_400000_NS6detail17trampoline_kernelINS0_13select_configILj256ELj13ELNS0_17block_load_methodE3ELS4_3ELS4_3ELNS0_20block_scan_algorithmE0ELj4294967295EEENS1_25partition_config_selectorILNS1_17partition_subalgoE3EjNS0_10empty_typeEbEEZZNS1_14partition_implILS8_3ELb0ES6_jNS0_17counting_iteratorIjlEEPS9_SE_NS0_5tupleIJPjSE_EEENSF_IJSE_SE_EEES9_SG_JZNS1_25segmented_radix_sort_implINS0_14default_configELb0EPK12hip_bfloat16PSL_PKlPlN2at6native12_GLOBAL__N_18offset_tEEE10hipError_tPvRmT1_PNSt15iterator_traitsISZ_E10value_typeET2_T3_PNS10_IS15_E10value_typeET4_jRbjT5_S1B_jjP12ihipStream_tbEUljE_EEESW_SX_SY_S15_S19_S1B_T6_T7_T9_mT8_S1D_bDpT10_ENKUlT_T0_E_clISt17integral_constantIbLb1EES1P_IbLb0EEEEDaS1L_S1M_EUlS1L_E_NS1_11comp_targetILNS1_3genE10ELNS1_11target_archE1200ELNS1_3gpuE4ELNS1_3repE0EEENS1_30default_config_static_selectorELNS0_4arch9wavefront6targetE0EEEvSZ_
	.p2align	8
	.type	_ZN7rocprim17ROCPRIM_400000_NS6detail17trampoline_kernelINS0_13select_configILj256ELj13ELNS0_17block_load_methodE3ELS4_3ELS4_3ELNS0_20block_scan_algorithmE0ELj4294967295EEENS1_25partition_config_selectorILNS1_17partition_subalgoE3EjNS0_10empty_typeEbEEZZNS1_14partition_implILS8_3ELb0ES6_jNS0_17counting_iteratorIjlEEPS9_SE_NS0_5tupleIJPjSE_EEENSF_IJSE_SE_EEES9_SG_JZNS1_25segmented_radix_sort_implINS0_14default_configELb0EPK12hip_bfloat16PSL_PKlPlN2at6native12_GLOBAL__N_18offset_tEEE10hipError_tPvRmT1_PNSt15iterator_traitsISZ_E10value_typeET2_T3_PNS10_IS15_E10value_typeET4_jRbjT5_S1B_jjP12ihipStream_tbEUljE_EEESW_SX_SY_S15_S19_S1B_T6_T7_T9_mT8_S1D_bDpT10_ENKUlT_T0_E_clISt17integral_constantIbLb1EES1P_IbLb0EEEEDaS1L_S1M_EUlS1L_E_NS1_11comp_targetILNS1_3genE10ELNS1_11target_archE1200ELNS1_3gpuE4ELNS1_3repE0EEENS1_30default_config_static_selectorELNS0_4arch9wavefront6targetE0EEEvSZ_,@function
_ZN7rocprim17ROCPRIM_400000_NS6detail17trampoline_kernelINS0_13select_configILj256ELj13ELNS0_17block_load_methodE3ELS4_3ELS4_3ELNS0_20block_scan_algorithmE0ELj4294967295EEENS1_25partition_config_selectorILNS1_17partition_subalgoE3EjNS0_10empty_typeEbEEZZNS1_14partition_implILS8_3ELb0ES6_jNS0_17counting_iteratorIjlEEPS9_SE_NS0_5tupleIJPjSE_EEENSF_IJSE_SE_EEES9_SG_JZNS1_25segmented_radix_sort_implINS0_14default_configELb0EPK12hip_bfloat16PSL_PKlPlN2at6native12_GLOBAL__N_18offset_tEEE10hipError_tPvRmT1_PNSt15iterator_traitsISZ_E10value_typeET2_T3_PNS10_IS15_E10value_typeET4_jRbjT5_S1B_jjP12ihipStream_tbEUljE_EEESW_SX_SY_S15_S19_S1B_T6_T7_T9_mT8_S1D_bDpT10_ENKUlT_T0_E_clISt17integral_constantIbLb1EES1P_IbLb0EEEEDaS1L_S1M_EUlS1L_E_NS1_11comp_targetILNS1_3genE10ELNS1_11target_archE1200ELNS1_3gpuE4ELNS1_3repE0EEENS1_30default_config_static_selectorELNS0_4arch9wavefront6targetE0EEEvSZ_: ; @_ZN7rocprim17ROCPRIM_400000_NS6detail17trampoline_kernelINS0_13select_configILj256ELj13ELNS0_17block_load_methodE3ELS4_3ELS4_3ELNS0_20block_scan_algorithmE0ELj4294967295EEENS1_25partition_config_selectorILNS1_17partition_subalgoE3EjNS0_10empty_typeEbEEZZNS1_14partition_implILS8_3ELb0ES6_jNS0_17counting_iteratorIjlEEPS9_SE_NS0_5tupleIJPjSE_EEENSF_IJSE_SE_EEES9_SG_JZNS1_25segmented_radix_sort_implINS0_14default_configELb0EPK12hip_bfloat16PSL_PKlPlN2at6native12_GLOBAL__N_18offset_tEEE10hipError_tPvRmT1_PNSt15iterator_traitsISZ_E10value_typeET2_T3_PNS10_IS15_E10value_typeET4_jRbjT5_S1B_jjP12ihipStream_tbEUljE_EEESW_SX_SY_S15_S19_S1B_T6_T7_T9_mT8_S1D_bDpT10_ENKUlT_T0_E_clISt17integral_constantIbLb1EES1P_IbLb0EEEEDaS1L_S1M_EUlS1L_E_NS1_11comp_targetILNS1_3genE10ELNS1_11target_archE1200ELNS1_3gpuE4ELNS1_3repE0EEENS1_30default_config_static_selectorELNS0_4arch9wavefront6targetE0EEEvSZ_
; %bb.0:
	s_endpgm
	.section	.rodata,"a",@progbits
	.p2align	6, 0x0
	.amdhsa_kernel _ZN7rocprim17ROCPRIM_400000_NS6detail17trampoline_kernelINS0_13select_configILj256ELj13ELNS0_17block_load_methodE3ELS4_3ELS4_3ELNS0_20block_scan_algorithmE0ELj4294967295EEENS1_25partition_config_selectorILNS1_17partition_subalgoE3EjNS0_10empty_typeEbEEZZNS1_14partition_implILS8_3ELb0ES6_jNS0_17counting_iteratorIjlEEPS9_SE_NS0_5tupleIJPjSE_EEENSF_IJSE_SE_EEES9_SG_JZNS1_25segmented_radix_sort_implINS0_14default_configELb0EPK12hip_bfloat16PSL_PKlPlN2at6native12_GLOBAL__N_18offset_tEEE10hipError_tPvRmT1_PNSt15iterator_traitsISZ_E10value_typeET2_T3_PNS10_IS15_E10value_typeET4_jRbjT5_S1B_jjP12ihipStream_tbEUljE_EEESW_SX_SY_S15_S19_S1B_T6_T7_T9_mT8_S1D_bDpT10_ENKUlT_T0_E_clISt17integral_constantIbLb1EES1P_IbLb0EEEEDaS1L_S1M_EUlS1L_E_NS1_11comp_targetILNS1_3genE10ELNS1_11target_archE1200ELNS1_3gpuE4ELNS1_3repE0EEENS1_30default_config_static_selectorELNS0_4arch9wavefront6targetE0EEEvSZ_
		.amdhsa_group_segment_fixed_size 0
		.amdhsa_private_segment_fixed_size 0
		.amdhsa_kernarg_size 144
		.amdhsa_user_sgpr_count 2
		.amdhsa_user_sgpr_dispatch_ptr 0
		.amdhsa_user_sgpr_queue_ptr 0
		.amdhsa_user_sgpr_kernarg_segment_ptr 1
		.amdhsa_user_sgpr_dispatch_id 0
		.amdhsa_user_sgpr_private_segment_size 0
		.amdhsa_wavefront_size32 1
		.amdhsa_uses_dynamic_stack 0
		.amdhsa_enable_private_segment 0
		.amdhsa_system_sgpr_workgroup_id_x 1
		.amdhsa_system_sgpr_workgroup_id_y 0
		.amdhsa_system_sgpr_workgroup_id_z 0
		.amdhsa_system_sgpr_workgroup_info 0
		.amdhsa_system_vgpr_workitem_id 0
		.amdhsa_next_free_vgpr 1
		.amdhsa_next_free_sgpr 1
		.amdhsa_reserve_vcc 0
		.amdhsa_float_round_mode_32 0
		.amdhsa_float_round_mode_16_64 0
		.amdhsa_float_denorm_mode_32 3
		.amdhsa_float_denorm_mode_16_64 3
		.amdhsa_fp16_overflow 0
		.amdhsa_workgroup_processor_mode 1
		.amdhsa_memory_ordered 1
		.amdhsa_forward_progress 1
		.amdhsa_inst_pref_size 1
		.amdhsa_round_robin_scheduling 0
		.amdhsa_exception_fp_ieee_invalid_op 0
		.amdhsa_exception_fp_denorm_src 0
		.amdhsa_exception_fp_ieee_div_zero 0
		.amdhsa_exception_fp_ieee_overflow 0
		.amdhsa_exception_fp_ieee_underflow 0
		.amdhsa_exception_fp_ieee_inexact 0
		.amdhsa_exception_int_div_zero 0
	.end_amdhsa_kernel
	.section	.text._ZN7rocprim17ROCPRIM_400000_NS6detail17trampoline_kernelINS0_13select_configILj256ELj13ELNS0_17block_load_methodE3ELS4_3ELS4_3ELNS0_20block_scan_algorithmE0ELj4294967295EEENS1_25partition_config_selectorILNS1_17partition_subalgoE3EjNS0_10empty_typeEbEEZZNS1_14partition_implILS8_3ELb0ES6_jNS0_17counting_iteratorIjlEEPS9_SE_NS0_5tupleIJPjSE_EEENSF_IJSE_SE_EEES9_SG_JZNS1_25segmented_radix_sort_implINS0_14default_configELb0EPK12hip_bfloat16PSL_PKlPlN2at6native12_GLOBAL__N_18offset_tEEE10hipError_tPvRmT1_PNSt15iterator_traitsISZ_E10value_typeET2_T3_PNS10_IS15_E10value_typeET4_jRbjT5_S1B_jjP12ihipStream_tbEUljE_EEESW_SX_SY_S15_S19_S1B_T6_T7_T9_mT8_S1D_bDpT10_ENKUlT_T0_E_clISt17integral_constantIbLb1EES1P_IbLb0EEEEDaS1L_S1M_EUlS1L_E_NS1_11comp_targetILNS1_3genE10ELNS1_11target_archE1200ELNS1_3gpuE4ELNS1_3repE0EEENS1_30default_config_static_selectorELNS0_4arch9wavefront6targetE0EEEvSZ_,"axG",@progbits,_ZN7rocprim17ROCPRIM_400000_NS6detail17trampoline_kernelINS0_13select_configILj256ELj13ELNS0_17block_load_methodE3ELS4_3ELS4_3ELNS0_20block_scan_algorithmE0ELj4294967295EEENS1_25partition_config_selectorILNS1_17partition_subalgoE3EjNS0_10empty_typeEbEEZZNS1_14partition_implILS8_3ELb0ES6_jNS0_17counting_iteratorIjlEEPS9_SE_NS0_5tupleIJPjSE_EEENSF_IJSE_SE_EEES9_SG_JZNS1_25segmented_radix_sort_implINS0_14default_configELb0EPK12hip_bfloat16PSL_PKlPlN2at6native12_GLOBAL__N_18offset_tEEE10hipError_tPvRmT1_PNSt15iterator_traitsISZ_E10value_typeET2_T3_PNS10_IS15_E10value_typeET4_jRbjT5_S1B_jjP12ihipStream_tbEUljE_EEESW_SX_SY_S15_S19_S1B_T6_T7_T9_mT8_S1D_bDpT10_ENKUlT_T0_E_clISt17integral_constantIbLb1EES1P_IbLb0EEEEDaS1L_S1M_EUlS1L_E_NS1_11comp_targetILNS1_3genE10ELNS1_11target_archE1200ELNS1_3gpuE4ELNS1_3repE0EEENS1_30default_config_static_selectorELNS0_4arch9wavefront6targetE0EEEvSZ_,comdat
.Lfunc_end2038:
	.size	_ZN7rocprim17ROCPRIM_400000_NS6detail17trampoline_kernelINS0_13select_configILj256ELj13ELNS0_17block_load_methodE3ELS4_3ELS4_3ELNS0_20block_scan_algorithmE0ELj4294967295EEENS1_25partition_config_selectorILNS1_17partition_subalgoE3EjNS0_10empty_typeEbEEZZNS1_14partition_implILS8_3ELb0ES6_jNS0_17counting_iteratorIjlEEPS9_SE_NS0_5tupleIJPjSE_EEENSF_IJSE_SE_EEES9_SG_JZNS1_25segmented_radix_sort_implINS0_14default_configELb0EPK12hip_bfloat16PSL_PKlPlN2at6native12_GLOBAL__N_18offset_tEEE10hipError_tPvRmT1_PNSt15iterator_traitsISZ_E10value_typeET2_T3_PNS10_IS15_E10value_typeET4_jRbjT5_S1B_jjP12ihipStream_tbEUljE_EEESW_SX_SY_S15_S19_S1B_T6_T7_T9_mT8_S1D_bDpT10_ENKUlT_T0_E_clISt17integral_constantIbLb1EES1P_IbLb0EEEEDaS1L_S1M_EUlS1L_E_NS1_11comp_targetILNS1_3genE10ELNS1_11target_archE1200ELNS1_3gpuE4ELNS1_3repE0EEENS1_30default_config_static_selectorELNS0_4arch9wavefront6targetE0EEEvSZ_, .Lfunc_end2038-_ZN7rocprim17ROCPRIM_400000_NS6detail17trampoline_kernelINS0_13select_configILj256ELj13ELNS0_17block_load_methodE3ELS4_3ELS4_3ELNS0_20block_scan_algorithmE0ELj4294967295EEENS1_25partition_config_selectorILNS1_17partition_subalgoE3EjNS0_10empty_typeEbEEZZNS1_14partition_implILS8_3ELb0ES6_jNS0_17counting_iteratorIjlEEPS9_SE_NS0_5tupleIJPjSE_EEENSF_IJSE_SE_EEES9_SG_JZNS1_25segmented_radix_sort_implINS0_14default_configELb0EPK12hip_bfloat16PSL_PKlPlN2at6native12_GLOBAL__N_18offset_tEEE10hipError_tPvRmT1_PNSt15iterator_traitsISZ_E10value_typeET2_T3_PNS10_IS15_E10value_typeET4_jRbjT5_S1B_jjP12ihipStream_tbEUljE_EEESW_SX_SY_S15_S19_S1B_T6_T7_T9_mT8_S1D_bDpT10_ENKUlT_T0_E_clISt17integral_constantIbLb1EES1P_IbLb0EEEEDaS1L_S1M_EUlS1L_E_NS1_11comp_targetILNS1_3genE10ELNS1_11target_archE1200ELNS1_3gpuE4ELNS1_3repE0EEENS1_30default_config_static_selectorELNS0_4arch9wavefront6targetE0EEEvSZ_
                                        ; -- End function
	.set _ZN7rocprim17ROCPRIM_400000_NS6detail17trampoline_kernelINS0_13select_configILj256ELj13ELNS0_17block_load_methodE3ELS4_3ELS4_3ELNS0_20block_scan_algorithmE0ELj4294967295EEENS1_25partition_config_selectorILNS1_17partition_subalgoE3EjNS0_10empty_typeEbEEZZNS1_14partition_implILS8_3ELb0ES6_jNS0_17counting_iteratorIjlEEPS9_SE_NS0_5tupleIJPjSE_EEENSF_IJSE_SE_EEES9_SG_JZNS1_25segmented_radix_sort_implINS0_14default_configELb0EPK12hip_bfloat16PSL_PKlPlN2at6native12_GLOBAL__N_18offset_tEEE10hipError_tPvRmT1_PNSt15iterator_traitsISZ_E10value_typeET2_T3_PNS10_IS15_E10value_typeET4_jRbjT5_S1B_jjP12ihipStream_tbEUljE_EEESW_SX_SY_S15_S19_S1B_T6_T7_T9_mT8_S1D_bDpT10_ENKUlT_T0_E_clISt17integral_constantIbLb1EES1P_IbLb0EEEEDaS1L_S1M_EUlS1L_E_NS1_11comp_targetILNS1_3genE10ELNS1_11target_archE1200ELNS1_3gpuE4ELNS1_3repE0EEENS1_30default_config_static_selectorELNS0_4arch9wavefront6targetE0EEEvSZ_.num_vgpr, 0
	.set _ZN7rocprim17ROCPRIM_400000_NS6detail17trampoline_kernelINS0_13select_configILj256ELj13ELNS0_17block_load_methodE3ELS4_3ELS4_3ELNS0_20block_scan_algorithmE0ELj4294967295EEENS1_25partition_config_selectorILNS1_17partition_subalgoE3EjNS0_10empty_typeEbEEZZNS1_14partition_implILS8_3ELb0ES6_jNS0_17counting_iteratorIjlEEPS9_SE_NS0_5tupleIJPjSE_EEENSF_IJSE_SE_EEES9_SG_JZNS1_25segmented_radix_sort_implINS0_14default_configELb0EPK12hip_bfloat16PSL_PKlPlN2at6native12_GLOBAL__N_18offset_tEEE10hipError_tPvRmT1_PNSt15iterator_traitsISZ_E10value_typeET2_T3_PNS10_IS15_E10value_typeET4_jRbjT5_S1B_jjP12ihipStream_tbEUljE_EEESW_SX_SY_S15_S19_S1B_T6_T7_T9_mT8_S1D_bDpT10_ENKUlT_T0_E_clISt17integral_constantIbLb1EES1P_IbLb0EEEEDaS1L_S1M_EUlS1L_E_NS1_11comp_targetILNS1_3genE10ELNS1_11target_archE1200ELNS1_3gpuE4ELNS1_3repE0EEENS1_30default_config_static_selectorELNS0_4arch9wavefront6targetE0EEEvSZ_.num_agpr, 0
	.set _ZN7rocprim17ROCPRIM_400000_NS6detail17trampoline_kernelINS0_13select_configILj256ELj13ELNS0_17block_load_methodE3ELS4_3ELS4_3ELNS0_20block_scan_algorithmE0ELj4294967295EEENS1_25partition_config_selectorILNS1_17partition_subalgoE3EjNS0_10empty_typeEbEEZZNS1_14partition_implILS8_3ELb0ES6_jNS0_17counting_iteratorIjlEEPS9_SE_NS0_5tupleIJPjSE_EEENSF_IJSE_SE_EEES9_SG_JZNS1_25segmented_radix_sort_implINS0_14default_configELb0EPK12hip_bfloat16PSL_PKlPlN2at6native12_GLOBAL__N_18offset_tEEE10hipError_tPvRmT1_PNSt15iterator_traitsISZ_E10value_typeET2_T3_PNS10_IS15_E10value_typeET4_jRbjT5_S1B_jjP12ihipStream_tbEUljE_EEESW_SX_SY_S15_S19_S1B_T6_T7_T9_mT8_S1D_bDpT10_ENKUlT_T0_E_clISt17integral_constantIbLb1EES1P_IbLb0EEEEDaS1L_S1M_EUlS1L_E_NS1_11comp_targetILNS1_3genE10ELNS1_11target_archE1200ELNS1_3gpuE4ELNS1_3repE0EEENS1_30default_config_static_selectorELNS0_4arch9wavefront6targetE0EEEvSZ_.numbered_sgpr, 0
	.set _ZN7rocprim17ROCPRIM_400000_NS6detail17trampoline_kernelINS0_13select_configILj256ELj13ELNS0_17block_load_methodE3ELS4_3ELS4_3ELNS0_20block_scan_algorithmE0ELj4294967295EEENS1_25partition_config_selectorILNS1_17partition_subalgoE3EjNS0_10empty_typeEbEEZZNS1_14partition_implILS8_3ELb0ES6_jNS0_17counting_iteratorIjlEEPS9_SE_NS0_5tupleIJPjSE_EEENSF_IJSE_SE_EEES9_SG_JZNS1_25segmented_radix_sort_implINS0_14default_configELb0EPK12hip_bfloat16PSL_PKlPlN2at6native12_GLOBAL__N_18offset_tEEE10hipError_tPvRmT1_PNSt15iterator_traitsISZ_E10value_typeET2_T3_PNS10_IS15_E10value_typeET4_jRbjT5_S1B_jjP12ihipStream_tbEUljE_EEESW_SX_SY_S15_S19_S1B_T6_T7_T9_mT8_S1D_bDpT10_ENKUlT_T0_E_clISt17integral_constantIbLb1EES1P_IbLb0EEEEDaS1L_S1M_EUlS1L_E_NS1_11comp_targetILNS1_3genE10ELNS1_11target_archE1200ELNS1_3gpuE4ELNS1_3repE0EEENS1_30default_config_static_selectorELNS0_4arch9wavefront6targetE0EEEvSZ_.num_named_barrier, 0
	.set _ZN7rocprim17ROCPRIM_400000_NS6detail17trampoline_kernelINS0_13select_configILj256ELj13ELNS0_17block_load_methodE3ELS4_3ELS4_3ELNS0_20block_scan_algorithmE0ELj4294967295EEENS1_25partition_config_selectorILNS1_17partition_subalgoE3EjNS0_10empty_typeEbEEZZNS1_14partition_implILS8_3ELb0ES6_jNS0_17counting_iteratorIjlEEPS9_SE_NS0_5tupleIJPjSE_EEENSF_IJSE_SE_EEES9_SG_JZNS1_25segmented_radix_sort_implINS0_14default_configELb0EPK12hip_bfloat16PSL_PKlPlN2at6native12_GLOBAL__N_18offset_tEEE10hipError_tPvRmT1_PNSt15iterator_traitsISZ_E10value_typeET2_T3_PNS10_IS15_E10value_typeET4_jRbjT5_S1B_jjP12ihipStream_tbEUljE_EEESW_SX_SY_S15_S19_S1B_T6_T7_T9_mT8_S1D_bDpT10_ENKUlT_T0_E_clISt17integral_constantIbLb1EES1P_IbLb0EEEEDaS1L_S1M_EUlS1L_E_NS1_11comp_targetILNS1_3genE10ELNS1_11target_archE1200ELNS1_3gpuE4ELNS1_3repE0EEENS1_30default_config_static_selectorELNS0_4arch9wavefront6targetE0EEEvSZ_.private_seg_size, 0
	.set _ZN7rocprim17ROCPRIM_400000_NS6detail17trampoline_kernelINS0_13select_configILj256ELj13ELNS0_17block_load_methodE3ELS4_3ELS4_3ELNS0_20block_scan_algorithmE0ELj4294967295EEENS1_25partition_config_selectorILNS1_17partition_subalgoE3EjNS0_10empty_typeEbEEZZNS1_14partition_implILS8_3ELb0ES6_jNS0_17counting_iteratorIjlEEPS9_SE_NS0_5tupleIJPjSE_EEENSF_IJSE_SE_EEES9_SG_JZNS1_25segmented_radix_sort_implINS0_14default_configELb0EPK12hip_bfloat16PSL_PKlPlN2at6native12_GLOBAL__N_18offset_tEEE10hipError_tPvRmT1_PNSt15iterator_traitsISZ_E10value_typeET2_T3_PNS10_IS15_E10value_typeET4_jRbjT5_S1B_jjP12ihipStream_tbEUljE_EEESW_SX_SY_S15_S19_S1B_T6_T7_T9_mT8_S1D_bDpT10_ENKUlT_T0_E_clISt17integral_constantIbLb1EES1P_IbLb0EEEEDaS1L_S1M_EUlS1L_E_NS1_11comp_targetILNS1_3genE10ELNS1_11target_archE1200ELNS1_3gpuE4ELNS1_3repE0EEENS1_30default_config_static_selectorELNS0_4arch9wavefront6targetE0EEEvSZ_.uses_vcc, 0
	.set _ZN7rocprim17ROCPRIM_400000_NS6detail17trampoline_kernelINS0_13select_configILj256ELj13ELNS0_17block_load_methodE3ELS4_3ELS4_3ELNS0_20block_scan_algorithmE0ELj4294967295EEENS1_25partition_config_selectorILNS1_17partition_subalgoE3EjNS0_10empty_typeEbEEZZNS1_14partition_implILS8_3ELb0ES6_jNS0_17counting_iteratorIjlEEPS9_SE_NS0_5tupleIJPjSE_EEENSF_IJSE_SE_EEES9_SG_JZNS1_25segmented_radix_sort_implINS0_14default_configELb0EPK12hip_bfloat16PSL_PKlPlN2at6native12_GLOBAL__N_18offset_tEEE10hipError_tPvRmT1_PNSt15iterator_traitsISZ_E10value_typeET2_T3_PNS10_IS15_E10value_typeET4_jRbjT5_S1B_jjP12ihipStream_tbEUljE_EEESW_SX_SY_S15_S19_S1B_T6_T7_T9_mT8_S1D_bDpT10_ENKUlT_T0_E_clISt17integral_constantIbLb1EES1P_IbLb0EEEEDaS1L_S1M_EUlS1L_E_NS1_11comp_targetILNS1_3genE10ELNS1_11target_archE1200ELNS1_3gpuE4ELNS1_3repE0EEENS1_30default_config_static_selectorELNS0_4arch9wavefront6targetE0EEEvSZ_.uses_flat_scratch, 0
	.set _ZN7rocprim17ROCPRIM_400000_NS6detail17trampoline_kernelINS0_13select_configILj256ELj13ELNS0_17block_load_methodE3ELS4_3ELS4_3ELNS0_20block_scan_algorithmE0ELj4294967295EEENS1_25partition_config_selectorILNS1_17partition_subalgoE3EjNS0_10empty_typeEbEEZZNS1_14partition_implILS8_3ELb0ES6_jNS0_17counting_iteratorIjlEEPS9_SE_NS0_5tupleIJPjSE_EEENSF_IJSE_SE_EEES9_SG_JZNS1_25segmented_radix_sort_implINS0_14default_configELb0EPK12hip_bfloat16PSL_PKlPlN2at6native12_GLOBAL__N_18offset_tEEE10hipError_tPvRmT1_PNSt15iterator_traitsISZ_E10value_typeET2_T3_PNS10_IS15_E10value_typeET4_jRbjT5_S1B_jjP12ihipStream_tbEUljE_EEESW_SX_SY_S15_S19_S1B_T6_T7_T9_mT8_S1D_bDpT10_ENKUlT_T0_E_clISt17integral_constantIbLb1EES1P_IbLb0EEEEDaS1L_S1M_EUlS1L_E_NS1_11comp_targetILNS1_3genE10ELNS1_11target_archE1200ELNS1_3gpuE4ELNS1_3repE0EEENS1_30default_config_static_selectorELNS0_4arch9wavefront6targetE0EEEvSZ_.has_dyn_sized_stack, 0
	.set _ZN7rocprim17ROCPRIM_400000_NS6detail17trampoline_kernelINS0_13select_configILj256ELj13ELNS0_17block_load_methodE3ELS4_3ELS4_3ELNS0_20block_scan_algorithmE0ELj4294967295EEENS1_25partition_config_selectorILNS1_17partition_subalgoE3EjNS0_10empty_typeEbEEZZNS1_14partition_implILS8_3ELb0ES6_jNS0_17counting_iteratorIjlEEPS9_SE_NS0_5tupleIJPjSE_EEENSF_IJSE_SE_EEES9_SG_JZNS1_25segmented_radix_sort_implINS0_14default_configELb0EPK12hip_bfloat16PSL_PKlPlN2at6native12_GLOBAL__N_18offset_tEEE10hipError_tPvRmT1_PNSt15iterator_traitsISZ_E10value_typeET2_T3_PNS10_IS15_E10value_typeET4_jRbjT5_S1B_jjP12ihipStream_tbEUljE_EEESW_SX_SY_S15_S19_S1B_T6_T7_T9_mT8_S1D_bDpT10_ENKUlT_T0_E_clISt17integral_constantIbLb1EES1P_IbLb0EEEEDaS1L_S1M_EUlS1L_E_NS1_11comp_targetILNS1_3genE10ELNS1_11target_archE1200ELNS1_3gpuE4ELNS1_3repE0EEENS1_30default_config_static_selectorELNS0_4arch9wavefront6targetE0EEEvSZ_.has_recursion, 0
	.set _ZN7rocprim17ROCPRIM_400000_NS6detail17trampoline_kernelINS0_13select_configILj256ELj13ELNS0_17block_load_methodE3ELS4_3ELS4_3ELNS0_20block_scan_algorithmE0ELj4294967295EEENS1_25partition_config_selectorILNS1_17partition_subalgoE3EjNS0_10empty_typeEbEEZZNS1_14partition_implILS8_3ELb0ES6_jNS0_17counting_iteratorIjlEEPS9_SE_NS0_5tupleIJPjSE_EEENSF_IJSE_SE_EEES9_SG_JZNS1_25segmented_radix_sort_implINS0_14default_configELb0EPK12hip_bfloat16PSL_PKlPlN2at6native12_GLOBAL__N_18offset_tEEE10hipError_tPvRmT1_PNSt15iterator_traitsISZ_E10value_typeET2_T3_PNS10_IS15_E10value_typeET4_jRbjT5_S1B_jjP12ihipStream_tbEUljE_EEESW_SX_SY_S15_S19_S1B_T6_T7_T9_mT8_S1D_bDpT10_ENKUlT_T0_E_clISt17integral_constantIbLb1EES1P_IbLb0EEEEDaS1L_S1M_EUlS1L_E_NS1_11comp_targetILNS1_3genE10ELNS1_11target_archE1200ELNS1_3gpuE4ELNS1_3repE0EEENS1_30default_config_static_selectorELNS0_4arch9wavefront6targetE0EEEvSZ_.has_indirect_call, 0
	.section	.AMDGPU.csdata,"",@progbits
; Kernel info:
; codeLenInByte = 4
; TotalNumSgprs: 0
; NumVgprs: 0
; ScratchSize: 0
; MemoryBound: 0
; FloatMode: 240
; IeeeMode: 1
; LDSByteSize: 0 bytes/workgroup (compile time only)
; SGPRBlocks: 0
; VGPRBlocks: 0
; NumSGPRsForWavesPerEU: 1
; NumVGPRsForWavesPerEU: 1
; Occupancy: 16
; WaveLimiterHint : 0
; COMPUTE_PGM_RSRC2:SCRATCH_EN: 0
; COMPUTE_PGM_RSRC2:USER_SGPR: 2
; COMPUTE_PGM_RSRC2:TRAP_HANDLER: 0
; COMPUTE_PGM_RSRC2:TGID_X_EN: 1
; COMPUTE_PGM_RSRC2:TGID_Y_EN: 0
; COMPUTE_PGM_RSRC2:TGID_Z_EN: 0
; COMPUTE_PGM_RSRC2:TIDIG_COMP_CNT: 0
	.section	.text._ZN7rocprim17ROCPRIM_400000_NS6detail17trampoline_kernelINS0_13select_configILj256ELj13ELNS0_17block_load_methodE3ELS4_3ELS4_3ELNS0_20block_scan_algorithmE0ELj4294967295EEENS1_25partition_config_selectorILNS1_17partition_subalgoE3EjNS0_10empty_typeEbEEZZNS1_14partition_implILS8_3ELb0ES6_jNS0_17counting_iteratorIjlEEPS9_SE_NS0_5tupleIJPjSE_EEENSF_IJSE_SE_EEES9_SG_JZNS1_25segmented_radix_sort_implINS0_14default_configELb0EPK12hip_bfloat16PSL_PKlPlN2at6native12_GLOBAL__N_18offset_tEEE10hipError_tPvRmT1_PNSt15iterator_traitsISZ_E10value_typeET2_T3_PNS10_IS15_E10value_typeET4_jRbjT5_S1B_jjP12ihipStream_tbEUljE_EEESW_SX_SY_S15_S19_S1B_T6_T7_T9_mT8_S1D_bDpT10_ENKUlT_T0_E_clISt17integral_constantIbLb1EES1P_IbLb0EEEEDaS1L_S1M_EUlS1L_E_NS1_11comp_targetILNS1_3genE9ELNS1_11target_archE1100ELNS1_3gpuE3ELNS1_3repE0EEENS1_30default_config_static_selectorELNS0_4arch9wavefront6targetE0EEEvSZ_,"axG",@progbits,_ZN7rocprim17ROCPRIM_400000_NS6detail17trampoline_kernelINS0_13select_configILj256ELj13ELNS0_17block_load_methodE3ELS4_3ELS4_3ELNS0_20block_scan_algorithmE0ELj4294967295EEENS1_25partition_config_selectorILNS1_17partition_subalgoE3EjNS0_10empty_typeEbEEZZNS1_14partition_implILS8_3ELb0ES6_jNS0_17counting_iteratorIjlEEPS9_SE_NS0_5tupleIJPjSE_EEENSF_IJSE_SE_EEES9_SG_JZNS1_25segmented_radix_sort_implINS0_14default_configELb0EPK12hip_bfloat16PSL_PKlPlN2at6native12_GLOBAL__N_18offset_tEEE10hipError_tPvRmT1_PNSt15iterator_traitsISZ_E10value_typeET2_T3_PNS10_IS15_E10value_typeET4_jRbjT5_S1B_jjP12ihipStream_tbEUljE_EEESW_SX_SY_S15_S19_S1B_T6_T7_T9_mT8_S1D_bDpT10_ENKUlT_T0_E_clISt17integral_constantIbLb1EES1P_IbLb0EEEEDaS1L_S1M_EUlS1L_E_NS1_11comp_targetILNS1_3genE9ELNS1_11target_archE1100ELNS1_3gpuE3ELNS1_3repE0EEENS1_30default_config_static_selectorELNS0_4arch9wavefront6targetE0EEEvSZ_,comdat
	.globl	_ZN7rocprim17ROCPRIM_400000_NS6detail17trampoline_kernelINS0_13select_configILj256ELj13ELNS0_17block_load_methodE3ELS4_3ELS4_3ELNS0_20block_scan_algorithmE0ELj4294967295EEENS1_25partition_config_selectorILNS1_17partition_subalgoE3EjNS0_10empty_typeEbEEZZNS1_14partition_implILS8_3ELb0ES6_jNS0_17counting_iteratorIjlEEPS9_SE_NS0_5tupleIJPjSE_EEENSF_IJSE_SE_EEES9_SG_JZNS1_25segmented_radix_sort_implINS0_14default_configELb0EPK12hip_bfloat16PSL_PKlPlN2at6native12_GLOBAL__N_18offset_tEEE10hipError_tPvRmT1_PNSt15iterator_traitsISZ_E10value_typeET2_T3_PNS10_IS15_E10value_typeET4_jRbjT5_S1B_jjP12ihipStream_tbEUljE_EEESW_SX_SY_S15_S19_S1B_T6_T7_T9_mT8_S1D_bDpT10_ENKUlT_T0_E_clISt17integral_constantIbLb1EES1P_IbLb0EEEEDaS1L_S1M_EUlS1L_E_NS1_11comp_targetILNS1_3genE9ELNS1_11target_archE1100ELNS1_3gpuE3ELNS1_3repE0EEENS1_30default_config_static_selectorELNS0_4arch9wavefront6targetE0EEEvSZ_ ; -- Begin function _ZN7rocprim17ROCPRIM_400000_NS6detail17trampoline_kernelINS0_13select_configILj256ELj13ELNS0_17block_load_methodE3ELS4_3ELS4_3ELNS0_20block_scan_algorithmE0ELj4294967295EEENS1_25partition_config_selectorILNS1_17partition_subalgoE3EjNS0_10empty_typeEbEEZZNS1_14partition_implILS8_3ELb0ES6_jNS0_17counting_iteratorIjlEEPS9_SE_NS0_5tupleIJPjSE_EEENSF_IJSE_SE_EEES9_SG_JZNS1_25segmented_radix_sort_implINS0_14default_configELb0EPK12hip_bfloat16PSL_PKlPlN2at6native12_GLOBAL__N_18offset_tEEE10hipError_tPvRmT1_PNSt15iterator_traitsISZ_E10value_typeET2_T3_PNS10_IS15_E10value_typeET4_jRbjT5_S1B_jjP12ihipStream_tbEUljE_EEESW_SX_SY_S15_S19_S1B_T6_T7_T9_mT8_S1D_bDpT10_ENKUlT_T0_E_clISt17integral_constantIbLb1EES1P_IbLb0EEEEDaS1L_S1M_EUlS1L_E_NS1_11comp_targetILNS1_3genE9ELNS1_11target_archE1100ELNS1_3gpuE3ELNS1_3repE0EEENS1_30default_config_static_selectorELNS0_4arch9wavefront6targetE0EEEvSZ_
	.p2align	8
	.type	_ZN7rocprim17ROCPRIM_400000_NS6detail17trampoline_kernelINS0_13select_configILj256ELj13ELNS0_17block_load_methodE3ELS4_3ELS4_3ELNS0_20block_scan_algorithmE0ELj4294967295EEENS1_25partition_config_selectorILNS1_17partition_subalgoE3EjNS0_10empty_typeEbEEZZNS1_14partition_implILS8_3ELb0ES6_jNS0_17counting_iteratorIjlEEPS9_SE_NS0_5tupleIJPjSE_EEENSF_IJSE_SE_EEES9_SG_JZNS1_25segmented_radix_sort_implINS0_14default_configELb0EPK12hip_bfloat16PSL_PKlPlN2at6native12_GLOBAL__N_18offset_tEEE10hipError_tPvRmT1_PNSt15iterator_traitsISZ_E10value_typeET2_T3_PNS10_IS15_E10value_typeET4_jRbjT5_S1B_jjP12ihipStream_tbEUljE_EEESW_SX_SY_S15_S19_S1B_T6_T7_T9_mT8_S1D_bDpT10_ENKUlT_T0_E_clISt17integral_constantIbLb1EES1P_IbLb0EEEEDaS1L_S1M_EUlS1L_E_NS1_11comp_targetILNS1_3genE9ELNS1_11target_archE1100ELNS1_3gpuE3ELNS1_3repE0EEENS1_30default_config_static_selectorELNS0_4arch9wavefront6targetE0EEEvSZ_,@function
_ZN7rocprim17ROCPRIM_400000_NS6detail17trampoline_kernelINS0_13select_configILj256ELj13ELNS0_17block_load_methodE3ELS4_3ELS4_3ELNS0_20block_scan_algorithmE0ELj4294967295EEENS1_25partition_config_selectorILNS1_17partition_subalgoE3EjNS0_10empty_typeEbEEZZNS1_14partition_implILS8_3ELb0ES6_jNS0_17counting_iteratorIjlEEPS9_SE_NS0_5tupleIJPjSE_EEENSF_IJSE_SE_EEES9_SG_JZNS1_25segmented_radix_sort_implINS0_14default_configELb0EPK12hip_bfloat16PSL_PKlPlN2at6native12_GLOBAL__N_18offset_tEEE10hipError_tPvRmT1_PNSt15iterator_traitsISZ_E10value_typeET2_T3_PNS10_IS15_E10value_typeET4_jRbjT5_S1B_jjP12ihipStream_tbEUljE_EEESW_SX_SY_S15_S19_S1B_T6_T7_T9_mT8_S1D_bDpT10_ENKUlT_T0_E_clISt17integral_constantIbLb1EES1P_IbLb0EEEEDaS1L_S1M_EUlS1L_E_NS1_11comp_targetILNS1_3genE9ELNS1_11target_archE1100ELNS1_3gpuE3ELNS1_3repE0EEENS1_30default_config_static_selectorELNS0_4arch9wavefront6targetE0EEEvSZ_: ; @_ZN7rocprim17ROCPRIM_400000_NS6detail17trampoline_kernelINS0_13select_configILj256ELj13ELNS0_17block_load_methodE3ELS4_3ELS4_3ELNS0_20block_scan_algorithmE0ELj4294967295EEENS1_25partition_config_selectorILNS1_17partition_subalgoE3EjNS0_10empty_typeEbEEZZNS1_14partition_implILS8_3ELb0ES6_jNS0_17counting_iteratorIjlEEPS9_SE_NS0_5tupleIJPjSE_EEENSF_IJSE_SE_EEES9_SG_JZNS1_25segmented_radix_sort_implINS0_14default_configELb0EPK12hip_bfloat16PSL_PKlPlN2at6native12_GLOBAL__N_18offset_tEEE10hipError_tPvRmT1_PNSt15iterator_traitsISZ_E10value_typeET2_T3_PNS10_IS15_E10value_typeET4_jRbjT5_S1B_jjP12ihipStream_tbEUljE_EEESW_SX_SY_S15_S19_S1B_T6_T7_T9_mT8_S1D_bDpT10_ENKUlT_T0_E_clISt17integral_constantIbLb1EES1P_IbLb0EEEEDaS1L_S1M_EUlS1L_E_NS1_11comp_targetILNS1_3genE9ELNS1_11target_archE1100ELNS1_3gpuE3ELNS1_3repE0EEENS1_30default_config_static_selectorELNS0_4arch9wavefront6targetE0EEEvSZ_
; %bb.0:
	.section	.rodata,"a",@progbits
	.p2align	6, 0x0
	.amdhsa_kernel _ZN7rocprim17ROCPRIM_400000_NS6detail17trampoline_kernelINS0_13select_configILj256ELj13ELNS0_17block_load_methodE3ELS4_3ELS4_3ELNS0_20block_scan_algorithmE0ELj4294967295EEENS1_25partition_config_selectorILNS1_17partition_subalgoE3EjNS0_10empty_typeEbEEZZNS1_14partition_implILS8_3ELb0ES6_jNS0_17counting_iteratorIjlEEPS9_SE_NS0_5tupleIJPjSE_EEENSF_IJSE_SE_EEES9_SG_JZNS1_25segmented_radix_sort_implINS0_14default_configELb0EPK12hip_bfloat16PSL_PKlPlN2at6native12_GLOBAL__N_18offset_tEEE10hipError_tPvRmT1_PNSt15iterator_traitsISZ_E10value_typeET2_T3_PNS10_IS15_E10value_typeET4_jRbjT5_S1B_jjP12ihipStream_tbEUljE_EEESW_SX_SY_S15_S19_S1B_T6_T7_T9_mT8_S1D_bDpT10_ENKUlT_T0_E_clISt17integral_constantIbLb1EES1P_IbLb0EEEEDaS1L_S1M_EUlS1L_E_NS1_11comp_targetILNS1_3genE9ELNS1_11target_archE1100ELNS1_3gpuE3ELNS1_3repE0EEENS1_30default_config_static_selectorELNS0_4arch9wavefront6targetE0EEEvSZ_
		.amdhsa_group_segment_fixed_size 0
		.amdhsa_private_segment_fixed_size 0
		.amdhsa_kernarg_size 144
		.amdhsa_user_sgpr_count 2
		.amdhsa_user_sgpr_dispatch_ptr 0
		.amdhsa_user_sgpr_queue_ptr 0
		.amdhsa_user_sgpr_kernarg_segment_ptr 1
		.amdhsa_user_sgpr_dispatch_id 0
		.amdhsa_user_sgpr_private_segment_size 0
		.amdhsa_wavefront_size32 1
		.amdhsa_uses_dynamic_stack 0
		.amdhsa_enable_private_segment 0
		.amdhsa_system_sgpr_workgroup_id_x 1
		.amdhsa_system_sgpr_workgroup_id_y 0
		.amdhsa_system_sgpr_workgroup_id_z 0
		.amdhsa_system_sgpr_workgroup_info 0
		.amdhsa_system_vgpr_workitem_id 0
		.amdhsa_next_free_vgpr 1
		.amdhsa_next_free_sgpr 1
		.amdhsa_reserve_vcc 0
		.amdhsa_float_round_mode_32 0
		.amdhsa_float_round_mode_16_64 0
		.amdhsa_float_denorm_mode_32 3
		.amdhsa_float_denorm_mode_16_64 3
		.amdhsa_fp16_overflow 0
		.amdhsa_workgroup_processor_mode 1
		.amdhsa_memory_ordered 1
		.amdhsa_forward_progress 1
		.amdhsa_inst_pref_size 0
		.amdhsa_round_robin_scheduling 0
		.amdhsa_exception_fp_ieee_invalid_op 0
		.amdhsa_exception_fp_denorm_src 0
		.amdhsa_exception_fp_ieee_div_zero 0
		.amdhsa_exception_fp_ieee_overflow 0
		.amdhsa_exception_fp_ieee_underflow 0
		.amdhsa_exception_fp_ieee_inexact 0
		.amdhsa_exception_int_div_zero 0
	.end_amdhsa_kernel
	.section	.text._ZN7rocprim17ROCPRIM_400000_NS6detail17trampoline_kernelINS0_13select_configILj256ELj13ELNS0_17block_load_methodE3ELS4_3ELS4_3ELNS0_20block_scan_algorithmE0ELj4294967295EEENS1_25partition_config_selectorILNS1_17partition_subalgoE3EjNS0_10empty_typeEbEEZZNS1_14partition_implILS8_3ELb0ES6_jNS0_17counting_iteratorIjlEEPS9_SE_NS0_5tupleIJPjSE_EEENSF_IJSE_SE_EEES9_SG_JZNS1_25segmented_radix_sort_implINS0_14default_configELb0EPK12hip_bfloat16PSL_PKlPlN2at6native12_GLOBAL__N_18offset_tEEE10hipError_tPvRmT1_PNSt15iterator_traitsISZ_E10value_typeET2_T3_PNS10_IS15_E10value_typeET4_jRbjT5_S1B_jjP12ihipStream_tbEUljE_EEESW_SX_SY_S15_S19_S1B_T6_T7_T9_mT8_S1D_bDpT10_ENKUlT_T0_E_clISt17integral_constantIbLb1EES1P_IbLb0EEEEDaS1L_S1M_EUlS1L_E_NS1_11comp_targetILNS1_3genE9ELNS1_11target_archE1100ELNS1_3gpuE3ELNS1_3repE0EEENS1_30default_config_static_selectorELNS0_4arch9wavefront6targetE0EEEvSZ_,"axG",@progbits,_ZN7rocprim17ROCPRIM_400000_NS6detail17trampoline_kernelINS0_13select_configILj256ELj13ELNS0_17block_load_methodE3ELS4_3ELS4_3ELNS0_20block_scan_algorithmE0ELj4294967295EEENS1_25partition_config_selectorILNS1_17partition_subalgoE3EjNS0_10empty_typeEbEEZZNS1_14partition_implILS8_3ELb0ES6_jNS0_17counting_iteratorIjlEEPS9_SE_NS0_5tupleIJPjSE_EEENSF_IJSE_SE_EEES9_SG_JZNS1_25segmented_radix_sort_implINS0_14default_configELb0EPK12hip_bfloat16PSL_PKlPlN2at6native12_GLOBAL__N_18offset_tEEE10hipError_tPvRmT1_PNSt15iterator_traitsISZ_E10value_typeET2_T3_PNS10_IS15_E10value_typeET4_jRbjT5_S1B_jjP12ihipStream_tbEUljE_EEESW_SX_SY_S15_S19_S1B_T6_T7_T9_mT8_S1D_bDpT10_ENKUlT_T0_E_clISt17integral_constantIbLb1EES1P_IbLb0EEEEDaS1L_S1M_EUlS1L_E_NS1_11comp_targetILNS1_3genE9ELNS1_11target_archE1100ELNS1_3gpuE3ELNS1_3repE0EEENS1_30default_config_static_selectorELNS0_4arch9wavefront6targetE0EEEvSZ_,comdat
.Lfunc_end2039:
	.size	_ZN7rocprim17ROCPRIM_400000_NS6detail17trampoline_kernelINS0_13select_configILj256ELj13ELNS0_17block_load_methodE3ELS4_3ELS4_3ELNS0_20block_scan_algorithmE0ELj4294967295EEENS1_25partition_config_selectorILNS1_17partition_subalgoE3EjNS0_10empty_typeEbEEZZNS1_14partition_implILS8_3ELb0ES6_jNS0_17counting_iteratorIjlEEPS9_SE_NS0_5tupleIJPjSE_EEENSF_IJSE_SE_EEES9_SG_JZNS1_25segmented_radix_sort_implINS0_14default_configELb0EPK12hip_bfloat16PSL_PKlPlN2at6native12_GLOBAL__N_18offset_tEEE10hipError_tPvRmT1_PNSt15iterator_traitsISZ_E10value_typeET2_T3_PNS10_IS15_E10value_typeET4_jRbjT5_S1B_jjP12ihipStream_tbEUljE_EEESW_SX_SY_S15_S19_S1B_T6_T7_T9_mT8_S1D_bDpT10_ENKUlT_T0_E_clISt17integral_constantIbLb1EES1P_IbLb0EEEEDaS1L_S1M_EUlS1L_E_NS1_11comp_targetILNS1_3genE9ELNS1_11target_archE1100ELNS1_3gpuE3ELNS1_3repE0EEENS1_30default_config_static_selectorELNS0_4arch9wavefront6targetE0EEEvSZ_, .Lfunc_end2039-_ZN7rocprim17ROCPRIM_400000_NS6detail17trampoline_kernelINS0_13select_configILj256ELj13ELNS0_17block_load_methodE3ELS4_3ELS4_3ELNS0_20block_scan_algorithmE0ELj4294967295EEENS1_25partition_config_selectorILNS1_17partition_subalgoE3EjNS0_10empty_typeEbEEZZNS1_14partition_implILS8_3ELb0ES6_jNS0_17counting_iteratorIjlEEPS9_SE_NS0_5tupleIJPjSE_EEENSF_IJSE_SE_EEES9_SG_JZNS1_25segmented_radix_sort_implINS0_14default_configELb0EPK12hip_bfloat16PSL_PKlPlN2at6native12_GLOBAL__N_18offset_tEEE10hipError_tPvRmT1_PNSt15iterator_traitsISZ_E10value_typeET2_T3_PNS10_IS15_E10value_typeET4_jRbjT5_S1B_jjP12ihipStream_tbEUljE_EEESW_SX_SY_S15_S19_S1B_T6_T7_T9_mT8_S1D_bDpT10_ENKUlT_T0_E_clISt17integral_constantIbLb1EES1P_IbLb0EEEEDaS1L_S1M_EUlS1L_E_NS1_11comp_targetILNS1_3genE9ELNS1_11target_archE1100ELNS1_3gpuE3ELNS1_3repE0EEENS1_30default_config_static_selectorELNS0_4arch9wavefront6targetE0EEEvSZ_
                                        ; -- End function
	.set _ZN7rocprim17ROCPRIM_400000_NS6detail17trampoline_kernelINS0_13select_configILj256ELj13ELNS0_17block_load_methodE3ELS4_3ELS4_3ELNS0_20block_scan_algorithmE0ELj4294967295EEENS1_25partition_config_selectorILNS1_17partition_subalgoE3EjNS0_10empty_typeEbEEZZNS1_14partition_implILS8_3ELb0ES6_jNS0_17counting_iteratorIjlEEPS9_SE_NS0_5tupleIJPjSE_EEENSF_IJSE_SE_EEES9_SG_JZNS1_25segmented_radix_sort_implINS0_14default_configELb0EPK12hip_bfloat16PSL_PKlPlN2at6native12_GLOBAL__N_18offset_tEEE10hipError_tPvRmT1_PNSt15iterator_traitsISZ_E10value_typeET2_T3_PNS10_IS15_E10value_typeET4_jRbjT5_S1B_jjP12ihipStream_tbEUljE_EEESW_SX_SY_S15_S19_S1B_T6_T7_T9_mT8_S1D_bDpT10_ENKUlT_T0_E_clISt17integral_constantIbLb1EES1P_IbLb0EEEEDaS1L_S1M_EUlS1L_E_NS1_11comp_targetILNS1_3genE9ELNS1_11target_archE1100ELNS1_3gpuE3ELNS1_3repE0EEENS1_30default_config_static_selectorELNS0_4arch9wavefront6targetE0EEEvSZ_.num_vgpr, 0
	.set _ZN7rocprim17ROCPRIM_400000_NS6detail17trampoline_kernelINS0_13select_configILj256ELj13ELNS0_17block_load_methodE3ELS4_3ELS4_3ELNS0_20block_scan_algorithmE0ELj4294967295EEENS1_25partition_config_selectorILNS1_17partition_subalgoE3EjNS0_10empty_typeEbEEZZNS1_14partition_implILS8_3ELb0ES6_jNS0_17counting_iteratorIjlEEPS9_SE_NS0_5tupleIJPjSE_EEENSF_IJSE_SE_EEES9_SG_JZNS1_25segmented_radix_sort_implINS0_14default_configELb0EPK12hip_bfloat16PSL_PKlPlN2at6native12_GLOBAL__N_18offset_tEEE10hipError_tPvRmT1_PNSt15iterator_traitsISZ_E10value_typeET2_T3_PNS10_IS15_E10value_typeET4_jRbjT5_S1B_jjP12ihipStream_tbEUljE_EEESW_SX_SY_S15_S19_S1B_T6_T7_T9_mT8_S1D_bDpT10_ENKUlT_T0_E_clISt17integral_constantIbLb1EES1P_IbLb0EEEEDaS1L_S1M_EUlS1L_E_NS1_11comp_targetILNS1_3genE9ELNS1_11target_archE1100ELNS1_3gpuE3ELNS1_3repE0EEENS1_30default_config_static_selectorELNS0_4arch9wavefront6targetE0EEEvSZ_.num_agpr, 0
	.set _ZN7rocprim17ROCPRIM_400000_NS6detail17trampoline_kernelINS0_13select_configILj256ELj13ELNS0_17block_load_methodE3ELS4_3ELS4_3ELNS0_20block_scan_algorithmE0ELj4294967295EEENS1_25partition_config_selectorILNS1_17partition_subalgoE3EjNS0_10empty_typeEbEEZZNS1_14partition_implILS8_3ELb0ES6_jNS0_17counting_iteratorIjlEEPS9_SE_NS0_5tupleIJPjSE_EEENSF_IJSE_SE_EEES9_SG_JZNS1_25segmented_radix_sort_implINS0_14default_configELb0EPK12hip_bfloat16PSL_PKlPlN2at6native12_GLOBAL__N_18offset_tEEE10hipError_tPvRmT1_PNSt15iterator_traitsISZ_E10value_typeET2_T3_PNS10_IS15_E10value_typeET4_jRbjT5_S1B_jjP12ihipStream_tbEUljE_EEESW_SX_SY_S15_S19_S1B_T6_T7_T9_mT8_S1D_bDpT10_ENKUlT_T0_E_clISt17integral_constantIbLb1EES1P_IbLb0EEEEDaS1L_S1M_EUlS1L_E_NS1_11comp_targetILNS1_3genE9ELNS1_11target_archE1100ELNS1_3gpuE3ELNS1_3repE0EEENS1_30default_config_static_selectorELNS0_4arch9wavefront6targetE0EEEvSZ_.numbered_sgpr, 0
	.set _ZN7rocprim17ROCPRIM_400000_NS6detail17trampoline_kernelINS0_13select_configILj256ELj13ELNS0_17block_load_methodE3ELS4_3ELS4_3ELNS0_20block_scan_algorithmE0ELj4294967295EEENS1_25partition_config_selectorILNS1_17partition_subalgoE3EjNS0_10empty_typeEbEEZZNS1_14partition_implILS8_3ELb0ES6_jNS0_17counting_iteratorIjlEEPS9_SE_NS0_5tupleIJPjSE_EEENSF_IJSE_SE_EEES9_SG_JZNS1_25segmented_radix_sort_implINS0_14default_configELb0EPK12hip_bfloat16PSL_PKlPlN2at6native12_GLOBAL__N_18offset_tEEE10hipError_tPvRmT1_PNSt15iterator_traitsISZ_E10value_typeET2_T3_PNS10_IS15_E10value_typeET4_jRbjT5_S1B_jjP12ihipStream_tbEUljE_EEESW_SX_SY_S15_S19_S1B_T6_T7_T9_mT8_S1D_bDpT10_ENKUlT_T0_E_clISt17integral_constantIbLb1EES1P_IbLb0EEEEDaS1L_S1M_EUlS1L_E_NS1_11comp_targetILNS1_3genE9ELNS1_11target_archE1100ELNS1_3gpuE3ELNS1_3repE0EEENS1_30default_config_static_selectorELNS0_4arch9wavefront6targetE0EEEvSZ_.num_named_barrier, 0
	.set _ZN7rocprim17ROCPRIM_400000_NS6detail17trampoline_kernelINS0_13select_configILj256ELj13ELNS0_17block_load_methodE3ELS4_3ELS4_3ELNS0_20block_scan_algorithmE0ELj4294967295EEENS1_25partition_config_selectorILNS1_17partition_subalgoE3EjNS0_10empty_typeEbEEZZNS1_14partition_implILS8_3ELb0ES6_jNS0_17counting_iteratorIjlEEPS9_SE_NS0_5tupleIJPjSE_EEENSF_IJSE_SE_EEES9_SG_JZNS1_25segmented_radix_sort_implINS0_14default_configELb0EPK12hip_bfloat16PSL_PKlPlN2at6native12_GLOBAL__N_18offset_tEEE10hipError_tPvRmT1_PNSt15iterator_traitsISZ_E10value_typeET2_T3_PNS10_IS15_E10value_typeET4_jRbjT5_S1B_jjP12ihipStream_tbEUljE_EEESW_SX_SY_S15_S19_S1B_T6_T7_T9_mT8_S1D_bDpT10_ENKUlT_T0_E_clISt17integral_constantIbLb1EES1P_IbLb0EEEEDaS1L_S1M_EUlS1L_E_NS1_11comp_targetILNS1_3genE9ELNS1_11target_archE1100ELNS1_3gpuE3ELNS1_3repE0EEENS1_30default_config_static_selectorELNS0_4arch9wavefront6targetE0EEEvSZ_.private_seg_size, 0
	.set _ZN7rocprim17ROCPRIM_400000_NS6detail17trampoline_kernelINS0_13select_configILj256ELj13ELNS0_17block_load_methodE3ELS4_3ELS4_3ELNS0_20block_scan_algorithmE0ELj4294967295EEENS1_25partition_config_selectorILNS1_17partition_subalgoE3EjNS0_10empty_typeEbEEZZNS1_14partition_implILS8_3ELb0ES6_jNS0_17counting_iteratorIjlEEPS9_SE_NS0_5tupleIJPjSE_EEENSF_IJSE_SE_EEES9_SG_JZNS1_25segmented_radix_sort_implINS0_14default_configELb0EPK12hip_bfloat16PSL_PKlPlN2at6native12_GLOBAL__N_18offset_tEEE10hipError_tPvRmT1_PNSt15iterator_traitsISZ_E10value_typeET2_T3_PNS10_IS15_E10value_typeET4_jRbjT5_S1B_jjP12ihipStream_tbEUljE_EEESW_SX_SY_S15_S19_S1B_T6_T7_T9_mT8_S1D_bDpT10_ENKUlT_T0_E_clISt17integral_constantIbLb1EES1P_IbLb0EEEEDaS1L_S1M_EUlS1L_E_NS1_11comp_targetILNS1_3genE9ELNS1_11target_archE1100ELNS1_3gpuE3ELNS1_3repE0EEENS1_30default_config_static_selectorELNS0_4arch9wavefront6targetE0EEEvSZ_.uses_vcc, 0
	.set _ZN7rocprim17ROCPRIM_400000_NS6detail17trampoline_kernelINS0_13select_configILj256ELj13ELNS0_17block_load_methodE3ELS4_3ELS4_3ELNS0_20block_scan_algorithmE0ELj4294967295EEENS1_25partition_config_selectorILNS1_17partition_subalgoE3EjNS0_10empty_typeEbEEZZNS1_14partition_implILS8_3ELb0ES6_jNS0_17counting_iteratorIjlEEPS9_SE_NS0_5tupleIJPjSE_EEENSF_IJSE_SE_EEES9_SG_JZNS1_25segmented_radix_sort_implINS0_14default_configELb0EPK12hip_bfloat16PSL_PKlPlN2at6native12_GLOBAL__N_18offset_tEEE10hipError_tPvRmT1_PNSt15iterator_traitsISZ_E10value_typeET2_T3_PNS10_IS15_E10value_typeET4_jRbjT5_S1B_jjP12ihipStream_tbEUljE_EEESW_SX_SY_S15_S19_S1B_T6_T7_T9_mT8_S1D_bDpT10_ENKUlT_T0_E_clISt17integral_constantIbLb1EES1P_IbLb0EEEEDaS1L_S1M_EUlS1L_E_NS1_11comp_targetILNS1_3genE9ELNS1_11target_archE1100ELNS1_3gpuE3ELNS1_3repE0EEENS1_30default_config_static_selectorELNS0_4arch9wavefront6targetE0EEEvSZ_.uses_flat_scratch, 0
	.set _ZN7rocprim17ROCPRIM_400000_NS6detail17trampoline_kernelINS0_13select_configILj256ELj13ELNS0_17block_load_methodE3ELS4_3ELS4_3ELNS0_20block_scan_algorithmE0ELj4294967295EEENS1_25partition_config_selectorILNS1_17partition_subalgoE3EjNS0_10empty_typeEbEEZZNS1_14partition_implILS8_3ELb0ES6_jNS0_17counting_iteratorIjlEEPS9_SE_NS0_5tupleIJPjSE_EEENSF_IJSE_SE_EEES9_SG_JZNS1_25segmented_radix_sort_implINS0_14default_configELb0EPK12hip_bfloat16PSL_PKlPlN2at6native12_GLOBAL__N_18offset_tEEE10hipError_tPvRmT1_PNSt15iterator_traitsISZ_E10value_typeET2_T3_PNS10_IS15_E10value_typeET4_jRbjT5_S1B_jjP12ihipStream_tbEUljE_EEESW_SX_SY_S15_S19_S1B_T6_T7_T9_mT8_S1D_bDpT10_ENKUlT_T0_E_clISt17integral_constantIbLb1EES1P_IbLb0EEEEDaS1L_S1M_EUlS1L_E_NS1_11comp_targetILNS1_3genE9ELNS1_11target_archE1100ELNS1_3gpuE3ELNS1_3repE0EEENS1_30default_config_static_selectorELNS0_4arch9wavefront6targetE0EEEvSZ_.has_dyn_sized_stack, 0
	.set _ZN7rocprim17ROCPRIM_400000_NS6detail17trampoline_kernelINS0_13select_configILj256ELj13ELNS0_17block_load_methodE3ELS4_3ELS4_3ELNS0_20block_scan_algorithmE0ELj4294967295EEENS1_25partition_config_selectorILNS1_17partition_subalgoE3EjNS0_10empty_typeEbEEZZNS1_14partition_implILS8_3ELb0ES6_jNS0_17counting_iteratorIjlEEPS9_SE_NS0_5tupleIJPjSE_EEENSF_IJSE_SE_EEES9_SG_JZNS1_25segmented_radix_sort_implINS0_14default_configELb0EPK12hip_bfloat16PSL_PKlPlN2at6native12_GLOBAL__N_18offset_tEEE10hipError_tPvRmT1_PNSt15iterator_traitsISZ_E10value_typeET2_T3_PNS10_IS15_E10value_typeET4_jRbjT5_S1B_jjP12ihipStream_tbEUljE_EEESW_SX_SY_S15_S19_S1B_T6_T7_T9_mT8_S1D_bDpT10_ENKUlT_T0_E_clISt17integral_constantIbLb1EES1P_IbLb0EEEEDaS1L_S1M_EUlS1L_E_NS1_11comp_targetILNS1_3genE9ELNS1_11target_archE1100ELNS1_3gpuE3ELNS1_3repE0EEENS1_30default_config_static_selectorELNS0_4arch9wavefront6targetE0EEEvSZ_.has_recursion, 0
	.set _ZN7rocprim17ROCPRIM_400000_NS6detail17trampoline_kernelINS0_13select_configILj256ELj13ELNS0_17block_load_methodE3ELS4_3ELS4_3ELNS0_20block_scan_algorithmE0ELj4294967295EEENS1_25partition_config_selectorILNS1_17partition_subalgoE3EjNS0_10empty_typeEbEEZZNS1_14partition_implILS8_3ELb0ES6_jNS0_17counting_iteratorIjlEEPS9_SE_NS0_5tupleIJPjSE_EEENSF_IJSE_SE_EEES9_SG_JZNS1_25segmented_radix_sort_implINS0_14default_configELb0EPK12hip_bfloat16PSL_PKlPlN2at6native12_GLOBAL__N_18offset_tEEE10hipError_tPvRmT1_PNSt15iterator_traitsISZ_E10value_typeET2_T3_PNS10_IS15_E10value_typeET4_jRbjT5_S1B_jjP12ihipStream_tbEUljE_EEESW_SX_SY_S15_S19_S1B_T6_T7_T9_mT8_S1D_bDpT10_ENKUlT_T0_E_clISt17integral_constantIbLb1EES1P_IbLb0EEEEDaS1L_S1M_EUlS1L_E_NS1_11comp_targetILNS1_3genE9ELNS1_11target_archE1100ELNS1_3gpuE3ELNS1_3repE0EEENS1_30default_config_static_selectorELNS0_4arch9wavefront6targetE0EEEvSZ_.has_indirect_call, 0
	.section	.AMDGPU.csdata,"",@progbits
; Kernel info:
; codeLenInByte = 0
; TotalNumSgprs: 0
; NumVgprs: 0
; ScratchSize: 0
; MemoryBound: 0
; FloatMode: 240
; IeeeMode: 1
; LDSByteSize: 0 bytes/workgroup (compile time only)
; SGPRBlocks: 0
; VGPRBlocks: 0
; NumSGPRsForWavesPerEU: 1
; NumVGPRsForWavesPerEU: 1
; Occupancy: 16
; WaveLimiterHint : 0
; COMPUTE_PGM_RSRC2:SCRATCH_EN: 0
; COMPUTE_PGM_RSRC2:USER_SGPR: 2
; COMPUTE_PGM_RSRC2:TRAP_HANDLER: 0
; COMPUTE_PGM_RSRC2:TGID_X_EN: 1
; COMPUTE_PGM_RSRC2:TGID_Y_EN: 0
; COMPUTE_PGM_RSRC2:TGID_Z_EN: 0
; COMPUTE_PGM_RSRC2:TIDIG_COMP_CNT: 0
	.section	.text._ZN7rocprim17ROCPRIM_400000_NS6detail17trampoline_kernelINS0_13select_configILj256ELj13ELNS0_17block_load_methodE3ELS4_3ELS4_3ELNS0_20block_scan_algorithmE0ELj4294967295EEENS1_25partition_config_selectorILNS1_17partition_subalgoE3EjNS0_10empty_typeEbEEZZNS1_14partition_implILS8_3ELb0ES6_jNS0_17counting_iteratorIjlEEPS9_SE_NS0_5tupleIJPjSE_EEENSF_IJSE_SE_EEES9_SG_JZNS1_25segmented_radix_sort_implINS0_14default_configELb0EPK12hip_bfloat16PSL_PKlPlN2at6native12_GLOBAL__N_18offset_tEEE10hipError_tPvRmT1_PNSt15iterator_traitsISZ_E10value_typeET2_T3_PNS10_IS15_E10value_typeET4_jRbjT5_S1B_jjP12ihipStream_tbEUljE_EEESW_SX_SY_S15_S19_S1B_T6_T7_T9_mT8_S1D_bDpT10_ENKUlT_T0_E_clISt17integral_constantIbLb1EES1P_IbLb0EEEEDaS1L_S1M_EUlS1L_E_NS1_11comp_targetILNS1_3genE8ELNS1_11target_archE1030ELNS1_3gpuE2ELNS1_3repE0EEENS1_30default_config_static_selectorELNS0_4arch9wavefront6targetE0EEEvSZ_,"axG",@progbits,_ZN7rocprim17ROCPRIM_400000_NS6detail17trampoline_kernelINS0_13select_configILj256ELj13ELNS0_17block_load_methodE3ELS4_3ELS4_3ELNS0_20block_scan_algorithmE0ELj4294967295EEENS1_25partition_config_selectorILNS1_17partition_subalgoE3EjNS0_10empty_typeEbEEZZNS1_14partition_implILS8_3ELb0ES6_jNS0_17counting_iteratorIjlEEPS9_SE_NS0_5tupleIJPjSE_EEENSF_IJSE_SE_EEES9_SG_JZNS1_25segmented_radix_sort_implINS0_14default_configELb0EPK12hip_bfloat16PSL_PKlPlN2at6native12_GLOBAL__N_18offset_tEEE10hipError_tPvRmT1_PNSt15iterator_traitsISZ_E10value_typeET2_T3_PNS10_IS15_E10value_typeET4_jRbjT5_S1B_jjP12ihipStream_tbEUljE_EEESW_SX_SY_S15_S19_S1B_T6_T7_T9_mT8_S1D_bDpT10_ENKUlT_T0_E_clISt17integral_constantIbLb1EES1P_IbLb0EEEEDaS1L_S1M_EUlS1L_E_NS1_11comp_targetILNS1_3genE8ELNS1_11target_archE1030ELNS1_3gpuE2ELNS1_3repE0EEENS1_30default_config_static_selectorELNS0_4arch9wavefront6targetE0EEEvSZ_,comdat
	.globl	_ZN7rocprim17ROCPRIM_400000_NS6detail17trampoline_kernelINS0_13select_configILj256ELj13ELNS0_17block_load_methodE3ELS4_3ELS4_3ELNS0_20block_scan_algorithmE0ELj4294967295EEENS1_25partition_config_selectorILNS1_17partition_subalgoE3EjNS0_10empty_typeEbEEZZNS1_14partition_implILS8_3ELb0ES6_jNS0_17counting_iteratorIjlEEPS9_SE_NS0_5tupleIJPjSE_EEENSF_IJSE_SE_EEES9_SG_JZNS1_25segmented_radix_sort_implINS0_14default_configELb0EPK12hip_bfloat16PSL_PKlPlN2at6native12_GLOBAL__N_18offset_tEEE10hipError_tPvRmT1_PNSt15iterator_traitsISZ_E10value_typeET2_T3_PNS10_IS15_E10value_typeET4_jRbjT5_S1B_jjP12ihipStream_tbEUljE_EEESW_SX_SY_S15_S19_S1B_T6_T7_T9_mT8_S1D_bDpT10_ENKUlT_T0_E_clISt17integral_constantIbLb1EES1P_IbLb0EEEEDaS1L_S1M_EUlS1L_E_NS1_11comp_targetILNS1_3genE8ELNS1_11target_archE1030ELNS1_3gpuE2ELNS1_3repE0EEENS1_30default_config_static_selectorELNS0_4arch9wavefront6targetE0EEEvSZ_ ; -- Begin function _ZN7rocprim17ROCPRIM_400000_NS6detail17trampoline_kernelINS0_13select_configILj256ELj13ELNS0_17block_load_methodE3ELS4_3ELS4_3ELNS0_20block_scan_algorithmE0ELj4294967295EEENS1_25partition_config_selectorILNS1_17partition_subalgoE3EjNS0_10empty_typeEbEEZZNS1_14partition_implILS8_3ELb0ES6_jNS0_17counting_iteratorIjlEEPS9_SE_NS0_5tupleIJPjSE_EEENSF_IJSE_SE_EEES9_SG_JZNS1_25segmented_radix_sort_implINS0_14default_configELb0EPK12hip_bfloat16PSL_PKlPlN2at6native12_GLOBAL__N_18offset_tEEE10hipError_tPvRmT1_PNSt15iterator_traitsISZ_E10value_typeET2_T3_PNS10_IS15_E10value_typeET4_jRbjT5_S1B_jjP12ihipStream_tbEUljE_EEESW_SX_SY_S15_S19_S1B_T6_T7_T9_mT8_S1D_bDpT10_ENKUlT_T0_E_clISt17integral_constantIbLb1EES1P_IbLb0EEEEDaS1L_S1M_EUlS1L_E_NS1_11comp_targetILNS1_3genE8ELNS1_11target_archE1030ELNS1_3gpuE2ELNS1_3repE0EEENS1_30default_config_static_selectorELNS0_4arch9wavefront6targetE0EEEvSZ_
	.p2align	8
	.type	_ZN7rocprim17ROCPRIM_400000_NS6detail17trampoline_kernelINS0_13select_configILj256ELj13ELNS0_17block_load_methodE3ELS4_3ELS4_3ELNS0_20block_scan_algorithmE0ELj4294967295EEENS1_25partition_config_selectorILNS1_17partition_subalgoE3EjNS0_10empty_typeEbEEZZNS1_14partition_implILS8_3ELb0ES6_jNS0_17counting_iteratorIjlEEPS9_SE_NS0_5tupleIJPjSE_EEENSF_IJSE_SE_EEES9_SG_JZNS1_25segmented_radix_sort_implINS0_14default_configELb0EPK12hip_bfloat16PSL_PKlPlN2at6native12_GLOBAL__N_18offset_tEEE10hipError_tPvRmT1_PNSt15iterator_traitsISZ_E10value_typeET2_T3_PNS10_IS15_E10value_typeET4_jRbjT5_S1B_jjP12ihipStream_tbEUljE_EEESW_SX_SY_S15_S19_S1B_T6_T7_T9_mT8_S1D_bDpT10_ENKUlT_T0_E_clISt17integral_constantIbLb1EES1P_IbLb0EEEEDaS1L_S1M_EUlS1L_E_NS1_11comp_targetILNS1_3genE8ELNS1_11target_archE1030ELNS1_3gpuE2ELNS1_3repE0EEENS1_30default_config_static_selectorELNS0_4arch9wavefront6targetE0EEEvSZ_,@function
_ZN7rocprim17ROCPRIM_400000_NS6detail17trampoline_kernelINS0_13select_configILj256ELj13ELNS0_17block_load_methodE3ELS4_3ELS4_3ELNS0_20block_scan_algorithmE0ELj4294967295EEENS1_25partition_config_selectorILNS1_17partition_subalgoE3EjNS0_10empty_typeEbEEZZNS1_14partition_implILS8_3ELb0ES6_jNS0_17counting_iteratorIjlEEPS9_SE_NS0_5tupleIJPjSE_EEENSF_IJSE_SE_EEES9_SG_JZNS1_25segmented_radix_sort_implINS0_14default_configELb0EPK12hip_bfloat16PSL_PKlPlN2at6native12_GLOBAL__N_18offset_tEEE10hipError_tPvRmT1_PNSt15iterator_traitsISZ_E10value_typeET2_T3_PNS10_IS15_E10value_typeET4_jRbjT5_S1B_jjP12ihipStream_tbEUljE_EEESW_SX_SY_S15_S19_S1B_T6_T7_T9_mT8_S1D_bDpT10_ENKUlT_T0_E_clISt17integral_constantIbLb1EES1P_IbLb0EEEEDaS1L_S1M_EUlS1L_E_NS1_11comp_targetILNS1_3genE8ELNS1_11target_archE1030ELNS1_3gpuE2ELNS1_3repE0EEENS1_30default_config_static_selectorELNS0_4arch9wavefront6targetE0EEEvSZ_: ; @_ZN7rocprim17ROCPRIM_400000_NS6detail17trampoline_kernelINS0_13select_configILj256ELj13ELNS0_17block_load_methodE3ELS4_3ELS4_3ELNS0_20block_scan_algorithmE0ELj4294967295EEENS1_25partition_config_selectorILNS1_17partition_subalgoE3EjNS0_10empty_typeEbEEZZNS1_14partition_implILS8_3ELb0ES6_jNS0_17counting_iteratorIjlEEPS9_SE_NS0_5tupleIJPjSE_EEENSF_IJSE_SE_EEES9_SG_JZNS1_25segmented_radix_sort_implINS0_14default_configELb0EPK12hip_bfloat16PSL_PKlPlN2at6native12_GLOBAL__N_18offset_tEEE10hipError_tPvRmT1_PNSt15iterator_traitsISZ_E10value_typeET2_T3_PNS10_IS15_E10value_typeET4_jRbjT5_S1B_jjP12ihipStream_tbEUljE_EEESW_SX_SY_S15_S19_S1B_T6_T7_T9_mT8_S1D_bDpT10_ENKUlT_T0_E_clISt17integral_constantIbLb1EES1P_IbLb0EEEEDaS1L_S1M_EUlS1L_E_NS1_11comp_targetILNS1_3genE8ELNS1_11target_archE1030ELNS1_3gpuE2ELNS1_3repE0EEENS1_30default_config_static_selectorELNS0_4arch9wavefront6targetE0EEEvSZ_
; %bb.0:
	.section	.rodata,"a",@progbits
	.p2align	6, 0x0
	.amdhsa_kernel _ZN7rocprim17ROCPRIM_400000_NS6detail17trampoline_kernelINS0_13select_configILj256ELj13ELNS0_17block_load_methodE3ELS4_3ELS4_3ELNS0_20block_scan_algorithmE0ELj4294967295EEENS1_25partition_config_selectorILNS1_17partition_subalgoE3EjNS0_10empty_typeEbEEZZNS1_14partition_implILS8_3ELb0ES6_jNS0_17counting_iteratorIjlEEPS9_SE_NS0_5tupleIJPjSE_EEENSF_IJSE_SE_EEES9_SG_JZNS1_25segmented_radix_sort_implINS0_14default_configELb0EPK12hip_bfloat16PSL_PKlPlN2at6native12_GLOBAL__N_18offset_tEEE10hipError_tPvRmT1_PNSt15iterator_traitsISZ_E10value_typeET2_T3_PNS10_IS15_E10value_typeET4_jRbjT5_S1B_jjP12ihipStream_tbEUljE_EEESW_SX_SY_S15_S19_S1B_T6_T7_T9_mT8_S1D_bDpT10_ENKUlT_T0_E_clISt17integral_constantIbLb1EES1P_IbLb0EEEEDaS1L_S1M_EUlS1L_E_NS1_11comp_targetILNS1_3genE8ELNS1_11target_archE1030ELNS1_3gpuE2ELNS1_3repE0EEENS1_30default_config_static_selectorELNS0_4arch9wavefront6targetE0EEEvSZ_
		.amdhsa_group_segment_fixed_size 0
		.amdhsa_private_segment_fixed_size 0
		.amdhsa_kernarg_size 144
		.amdhsa_user_sgpr_count 2
		.amdhsa_user_sgpr_dispatch_ptr 0
		.amdhsa_user_sgpr_queue_ptr 0
		.amdhsa_user_sgpr_kernarg_segment_ptr 1
		.amdhsa_user_sgpr_dispatch_id 0
		.amdhsa_user_sgpr_private_segment_size 0
		.amdhsa_wavefront_size32 1
		.amdhsa_uses_dynamic_stack 0
		.amdhsa_enable_private_segment 0
		.amdhsa_system_sgpr_workgroup_id_x 1
		.amdhsa_system_sgpr_workgroup_id_y 0
		.amdhsa_system_sgpr_workgroup_id_z 0
		.amdhsa_system_sgpr_workgroup_info 0
		.amdhsa_system_vgpr_workitem_id 0
		.amdhsa_next_free_vgpr 1
		.amdhsa_next_free_sgpr 1
		.amdhsa_reserve_vcc 0
		.amdhsa_float_round_mode_32 0
		.amdhsa_float_round_mode_16_64 0
		.amdhsa_float_denorm_mode_32 3
		.amdhsa_float_denorm_mode_16_64 3
		.amdhsa_fp16_overflow 0
		.amdhsa_workgroup_processor_mode 1
		.amdhsa_memory_ordered 1
		.amdhsa_forward_progress 1
		.amdhsa_inst_pref_size 0
		.amdhsa_round_robin_scheduling 0
		.amdhsa_exception_fp_ieee_invalid_op 0
		.amdhsa_exception_fp_denorm_src 0
		.amdhsa_exception_fp_ieee_div_zero 0
		.amdhsa_exception_fp_ieee_overflow 0
		.amdhsa_exception_fp_ieee_underflow 0
		.amdhsa_exception_fp_ieee_inexact 0
		.amdhsa_exception_int_div_zero 0
	.end_amdhsa_kernel
	.section	.text._ZN7rocprim17ROCPRIM_400000_NS6detail17trampoline_kernelINS0_13select_configILj256ELj13ELNS0_17block_load_methodE3ELS4_3ELS4_3ELNS0_20block_scan_algorithmE0ELj4294967295EEENS1_25partition_config_selectorILNS1_17partition_subalgoE3EjNS0_10empty_typeEbEEZZNS1_14partition_implILS8_3ELb0ES6_jNS0_17counting_iteratorIjlEEPS9_SE_NS0_5tupleIJPjSE_EEENSF_IJSE_SE_EEES9_SG_JZNS1_25segmented_radix_sort_implINS0_14default_configELb0EPK12hip_bfloat16PSL_PKlPlN2at6native12_GLOBAL__N_18offset_tEEE10hipError_tPvRmT1_PNSt15iterator_traitsISZ_E10value_typeET2_T3_PNS10_IS15_E10value_typeET4_jRbjT5_S1B_jjP12ihipStream_tbEUljE_EEESW_SX_SY_S15_S19_S1B_T6_T7_T9_mT8_S1D_bDpT10_ENKUlT_T0_E_clISt17integral_constantIbLb1EES1P_IbLb0EEEEDaS1L_S1M_EUlS1L_E_NS1_11comp_targetILNS1_3genE8ELNS1_11target_archE1030ELNS1_3gpuE2ELNS1_3repE0EEENS1_30default_config_static_selectorELNS0_4arch9wavefront6targetE0EEEvSZ_,"axG",@progbits,_ZN7rocprim17ROCPRIM_400000_NS6detail17trampoline_kernelINS0_13select_configILj256ELj13ELNS0_17block_load_methodE3ELS4_3ELS4_3ELNS0_20block_scan_algorithmE0ELj4294967295EEENS1_25partition_config_selectorILNS1_17partition_subalgoE3EjNS0_10empty_typeEbEEZZNS1_14partition_implILS8_3ELb0ES6_jNS0_17counting_iteratorIjlEEPS9_SE_NS0_5tupleIJPjSE_EEENSF_IJSE_SE_EEES9_SG_JZNS1_25segmented_radix_sort_implINS0_14default_configELb0EPK12hip_bfloat16PSL_PKlPlN2at6native12_GLOBAL__N_18offset_tEEE10hipError_tPvRmT1_PNSt15iterator_traitsISZ_E10value_typeET2_T3_PNS10_IS15_E10value_typeET4_jRbjT5_S1B_jjP12ihipStream_tbEUljE_EEESW_SX_SY_S15_S19_S1B_T6_T7_T9_mT8_S1D_bDpT10_ENKUlT_T0_E_clISt17integral_constantIbLb1EES1P_IbLb0EEEEDaS1L_S1M_EUlS1L_E_NS1_11comp_targetILNS1_3genE8ELNS1_11target_archE1030ELNS1_3gpuE2ELNS1_3repE0EEENS1_30default_config_static_selectorELNS0_4arch9wavefront6targetE0EEEvSZ_,comdat
.Lfunc_end2040:
	.size	_ZN7rocprim17ROCPRIM_400000_NS6detail17trampoline_kernelINS0_13select_configILj256ELj13ELNS0_17block_load_methodE3ELS4_3ELS4_3ELNS0_20block_scan_algorithmE0ELj4294967295EEENS1_25partition_config_selectorILNS1_17partition_subalgoE3EjNS0_10empty_typeEbEEZZNS1_14partition_implILS8_3ELb0ES6_jNS0_17counting_iteratorIjlEEPS9_SE_NS0_5tupleIJPjSE_EEENSF_IJSE_SE_EEES9_SG_JZNS1_25segmented_radix_sort_implINS0_14default_configELb0EPK12hip_bfloat16PSL_PKlPlN2at6native12_GLOBAL__N_18offset_tEEE10hipError_tPvRmT1_PNSt15iterator_traitsISZ_E10value_typeET2_T3_PNS10_IS15_E10value_typeET4_jRbjT5_S1B_jjP12ihipStream_tbEUljE_EEESW_SX_SY_S15_S19_S1B_T6_T7_T9_mT8_S1D_bDpT10_ENKUlT_T0_E_clISt17integral_constantIbLb1EES1P_IbLb0EEEEDaS1L_S1M_EUlS1L_E_NS1_11comp_targetILNS1_3genE8ELNS1_11target_archE1030ELNS1_3gpuE2ELNS1_3repE0EEENS1_30default_config_static_selectorELNS0_4arch9wavefront6targetE0EEEvSZ_, .Lfunc_end2040-_ZN7rocprim17ROCPRIM_400000_NS6detail17trampoline_kernelINS0_13select_configILj256ELj13ELNS0_17block_load_methodE3ELS4_3ELS4_3ELNS0_20block_scan_algorithmE0ELj4294967295EEENS1_25partition_config_selectorILNS1_17partition_subalgoE3EjNS0_10empty_typeEbEEZZNS1_14partition_implILS8_3ELb0ES6_jNS0_17counting_iteratorIjlEEPS9_SE_NS0_5tupleIJPjSE_EEENSF_IJSE_SE_EEES9_SG_JZNS1_25segmented_radix_sort_implINS0_14default_configELb0EPK12hip_bfloat16PSL_PKlPlN2at6native12_GLOBAL__N_18offset_tEEE10hipError_tPvRmT1_PNSt15iterator_traitsISZ_E10value_typeET2_T3_PNS10_IS15_E10value_typeET4_jRbjT5_S1B_jjP12ihipStream_tbEUljE_EEESW_SX_SY_S15_S19_S1B_T6_T7_T9_mT8_S1D_bDpT10_ENKUlT_T0_E_clISt17integral_constantIbLb1EES1P_IbLb0EEEEDaS1L_S1M_EUlS1L_E_NS1_11comp_targetILNS1_3genE8ELNS1_11target_archE1030ELNS1_3gpuE2ELNS1_3repE0EEENS1_30default_config_static_selectorELNS0_4arch9wavefront6targetE0EEEvSZ_
                                        ; -- End function
	.set _ZN7rocprim17ROCPRIM_400000_NS6detail17trampoline_kernelINS0_13select_configILj256ELj13ELNS0_17block_load_methodE3ELS4_3ELS4_3ELNS0_20block_scan_algorithmE0ELj4294967295EEENS1_25partition_config_selectorILNS1_17partition_subalgoE3EjNS0_10empty_typeEbEEZZNS1_14partition_implILS8_3ELb0ES6_jNS0_17counting_iteratorIjlEEPS9_SE_NS0_5tupleIJPjSE_EEENSF_IJSE_SE_EEES9_SG_JZNS1_25segmented_radix_sort_implINS0_14default_configELb0EPK12hip_bfloat16PSL_PKlPlN2at6native12_GLOBAL__N_18offset_tEEE10hipError_tPvRmT1_PNSt15iterator_traitsISZ_E10value_typeET2_T3_PNS10_IS15_E10value_typeET4_jRbjT5_S1B_jjP12ihipStream_tbEUljE_EEESW_SX_SY_S15_S19_S1B_T6_T7_T9_mT8_S1D_bDpT10_ENKUlT_T0_E_clISt17integral_constantIbLb1EES1P_IbLb0EEEEDaS1L_S1M_EUlS1L_E_NS1_11comp_targetILNS1_3genE8ELNS1_11target_archE1030ELNS1_3gpuE2ELNS1_3repE0EEENS1_30default_config_static_selectorELNS0_4arch9wavefront6targetE0EEEvSZ_.num_vgpr, 0
	.set _ZN7rocprim17ROCPRIM_400000_NS6detail17trampoline_kernelINS0_13select_configILj256ELj13ELNS0_17block_load_methodE3ELS4_3ELS4_3ELNS0_20block_scan_algorithmE0ELj4294967295EEENS1_25partition_config_selectorILNS1_17partition_subalgoE3EjNS0_10empty_typeEbEEZZNS1_14partition_implILS8_3ELb0ES6_jNS0_17counting_iteratorIjlEEPS9_SE_NS0_5tupleIJPjSE_EEENSF_IJSE_SE_EEES9_SG_JZNS1_25segmented_radix_sort_implINS0_14default_configELb0EPK12hip_bfloat16PSL_PKlPlN2at6native12_GLOBAL__N_18offset_tEEE10hipError_tPvRmT1_PNSt15iterator_traitsISZ_E10value_typeET2_T3_PNS10_IS15_E10value_typeET4_jRbjT5_S1B_jjP12ihipStream_tbEUljE_EEESW_SX_SY_S15_S19_S1B_T6_T7_T9_mT8_S1D_bDpT10_ENKUlT_T0_E_clISt17integral_constantIbLb1EES1P_IbLb0EEEEDaS1L_S1M_EUlS1L_E_NS1_11comp_targetILNS1_3genE8ELNS1_11target_archE1030ELNS1_3gpuE2ELNS1_3repE0EEENS1_30default_config_static_selectorELNS0_4arch9wavefront6targetE0EEEvSZ_.num_agpr, 0
	.set _ZN7rocprim17ROCPRIM_400000_NS6detail17trampoline_kernelINS0_13select_configILj256ELj13ELNS0_17block_load_methodE3ELS4_3ELS4_3ELNS0_20block_scan_algorithmE0ELj4294967295EEENS1_25partition_config_selectorILNS1_17partition_subalgoE3EjNS0_10empty_typeEbEEZZNS1_14partition_implILS8_3ELb0ES6_jNS0_17counting_iteratorIjlEEPS9_SE_NS0_5tupleIJPjSE_EEENSF_IJSE_SE_EEES9_SG_JZNS1_25segmented_radix_sort_implINS0_14default_configELb0EPK12hip_bfloat16PSL_PKlPlN2at6native12_GLOBAL__N_18offset_tEEE10hipError_tPvRmT1_PNSt15iterator_traitsISZ_E10value_typeET2_T3_PNS10_IS15_E10value_typeET4_jRbjT5_S1B_jjP12ihipStream_tbEUljE_EEESW_SX_SY_S15_S19_S1B_T6_T7_T9_mT8_S1D_bDpT10_ENKUlT_T0_E_clISt17integral_constantIbLb1EES1P_IbLb0EEEEDaS1L_S1M_EUlS1L_E_NS1_11comp_targetILNS1_3genE8ELNS1_11target_archE1030ELNS1_3gpuE2ELNS1_3repE0EEENS1_30default_config_static_selectorELNS0_4arch9wavefront6targetE0EEEvSZ_.numbered_sgpr, 0
	.set _ZN7rocprim17ROCPRIM_400000_NS6detail17trampoline_kernelINS0_13select_configILj256ELj13ELNS0_17block_load_methodE3ELS4_3ELS4_3ELNS0_20block_scan_algorithmE0ELj4294967295EEENS1_25partition_config_selectorILNS1_17partition_subalgoE3EjNS0_10empty_typeEbEEZZNS1_14partition_implILS8_3ELb0ES6_jNS0_17counting_iteratorIjlEEPS9_SE_NS0_5tupleIJPjSE_EEENSF_IJSE_SE_EEES9_SG_JZNS1_25segmented_radix_sort_implINS0_14default_configELb0EPK12hip_bfloat16PSL_PKlPlN2at6native12_GLOBAL__N_18offset_tEEE10hipError_tPvRmT1_PNSt15iterator_traitsISZ_E10value_typeET2_T3_PNS10_IS15_E10value_typeET4_jRbjT5_S1B_jjP12ihipStream_tbEUljE_EEESW_SX_SY_S15_S19_S1B_T6_T7_T9_mT8_S1D_bDpT10_ENKUlT_T0_E_clISt17integral_constantIbLb1EES1P_IbLb0EEEEDaS1L_S1M_EUlS1L_E_NS1_11comp_targetILNS1_3genE8ELNS1_11target_archE1030ELNS1_3gpuE2ELNS1_3repE0EEENS1_30default_config_static_selectorELNS0_4arch9wavefront6targetE0EEEvSZ_.num_named_barrier, 0
	.set _ZN7rocprim17ROCPRIM_400000_NS6detail17trampoline_kernelINS0_13select_configILj256ELj13ELNS0_17block_load_methodE3ELS4_3ELS4_3ELNS0_20block_scan_algorithmE0ELj4294967295EEENS1_25partition_config_selectorILNS1_17partition_subalgoE3EjNS0_10empty_typeEbEEZZNS1_14partition_implILS8_3ELb0ES6_jNS0_17counting_iteratorIjlEEPS9_SE_NS0_5tupleIJPjSE_EEENSF_IJSE_SE_EEES9_SG_JZNS1_25segmented_radix_sort_implINS0_14default_configELb0EPK12hip_bfloat16PSL_PKlPlN2at6native12_GLOBAL__N_18offset_tEEE10hipError_tPvRmT1_PNSt15iterator_traitsISZ_E10value_typeET2_T3_PNS10_IS15_E10value_typeET4_jRbjT5_S1B_jjP12ihipStream_tbEUljE_EEESW_SX_SY_S15_S19_S1B_T6_T7_T9_mT8_S1D_bDpT10_ENKUlT_T0_E_clISt17integral_constantIbLb1EES1P_IbLb0EEEEDaS1L_S1M_EUlS1L_E_NS1_11comp_targetILNS1_3genE8ELNS1_11target_archE1030ELNS1_3gpuE2ELNS1_3repE0EEENS1_30default_config_static_selectorELNS0_4arch9wavefront6targetE0EEEvSZ_.private_seg_size, 0
	.set _ZN7rocprim17ROCPRIM_400000_NS6detail17trampoline_kernelINS0_13select_configILj256ELj13ELNS0_17block_load_methodE3ELS4_3ELS4_3ELNS0_20block_scan_algorithmE0ELj4294967295EEENS1_25partition_config_selectorILNS1_17partition_subalgoE3EjNS0_10empty_typeEbEEZZNS1_14partition_implILS8_3ELb0ES6_jNS0_17counting_iteratorIjlEEPS9_SE_NS0_5tupleIJPjSE_EEENSF_IJSE_SE_EEES9_SG_JZNS1_25segmented_radix_sort_implINS0_14default_configELb0EPK12hip_bfloat16PSL_PKlPlN2at6native12_GLOBAL__N_18offset_tEEE10hipError_tPvRmT1_PNSt15iterator_traitsISZ_E10value_typeET2_T3_PNS10_IS15_E10value_typeET4_jRbjT5_S1B_jjP12ihipStream_tbEUljE_EEESW_SX_SY_S15_S19_S1B_T6_T7_T9_mT8_S1D_bDpT10_ENKUlT_T0_E_clISt17integral_constantIbLb1EES1P_IbLb0EEEEDaS1L_S1M_EUlS1L_E_NS1_11comp_targetILNS1_3genE8ELNS1_11target_archE1030ELNS1_3gpuE2ELNS1_3repE0EEENS1_30default_config_static_selectorELNS0_4arch9wavefront6targetE0EEEvSZ_.uses_vcc, 0
	.set _ZN7rocprim17ROCPRIM_400000_NS6detail17trampoline_kernelINS0_13select_configILj256ELj13ELNS0_17block_load_methodE3ELS4_3ELS4_3ELNS0_20block_scan_algorithmE0ELj4294967295EEENS1_25partition_config_selectorILNS1_17partition_subalgoE3EjNS0_10empty_typeEbEEZZNS1_14partition_implILS8_3ELb0ES6_jNS0_17counting_iteratorIjlEEPS9_SE_NS0_5tupleIJPjSE_EEENSF_IJSE_SE_EEES9_SG_JZNS1_25segmented_radix_sort_implINS0_14default_configELb0EPK12hip_bfloat16PSL_PKlPlN2at6native12_GLOBAL__N_18offset_tEEE10hipError_tPvRmT1_PNSt15iterator_traitsISZ_E10value_typeET2_T3_PNS10_IS15_E10value_typeET4_jRbjT5_S1B_jjP12ihipStream_tbEUljE_EEESW_SX_SY_S15_S19_S1B_T6_T7_T9_mT8_S1D_bDpT10_ENKUlT_T0_E_clISt17integral_constantIbLb1EES1P_IbLb0EEEEDaS1L_S1M_EUlS1L_E_NS1_11comp_targetILNS1_3genE8ELNS1_11target_archE1030ELNS1_3gpuE2ELNS1_3repE0EEENS1_30default_config_static_selectorELNS0_4arch9wavefront6targetE0EEEvSZ_.uses_flat_scratch, 0
	.set _ZN7rocprim17ROCPRIM_400000_NS6detail17trampoline_kernelINS0_13select_configILj256ELj13ELNS0_17block_load_methodE3ELS4_3ELS4_3ELNS0_20block_scan_algorithmE0ELj4294967295EEENS1_25partition_config_selectorILNS1_17partition_subalgoE3EjNS0_10empty_typeEbEEZZNS1_14partition_implILS8_3ELb0ES6_jNS0_17counting_iteratorIjlEEPS9_SE_NS0_5tupleIJPjSE_EEENSF_IJSE_SE_EEES9_SG_JZNS1_25segmented_radix_sort_implINS0_14default_configELb0EPK12hip_bfloat16PSL_PKlPlN2at6native12_GLOBAL__N_18offset_tEEE10hipError_tPvRmT1_PNSt15iterator_traitsISZ_E10value_typeET2_T3_PNS10_IS15_E10value_typeET4_jRbjT5_S1B_jjP12ihipStream_tbEUljE_EEESW_SX_SY_S15_S19_S1B_T6_T7_T9_mT8_S1D_bDpT10_ENKUlT_T0_E_clISt17integral_constantIbLb1EES1P_IbLb0EEEEDaS1L_S1M_EUlS1L_E_NS1_11comp_targetILNS1_3genE8ELNS1_11target_archE1030ELNS1_3gpuE2ELNS1_3repE0EEENS1_30default_config_static_selectorELNS0_4arch9wavefront6targetE0EEEvSZ_.has_dyn_sized_stack, 0
	.set _ZN7rocprim17ROCPRIM_400000_NS6detail17trampoline_kernelINS0_13select_configILj256ELj13ELNS0_17block_load_methodE3ELS4_3ELS4_3ELNS0_20block_scan_algorithmE0ELj4294967295EEENS1_25partition_config_selectorILNS1_17partition_subalgoE3EjNS0_10empty_typeEbEEZZNS1_14partition_implILS8_3ELb0ES6_jNS0_17counting_iteratorIjlEEPS9_SE_NS0_5tupleIJPjSE_EEENSF_IJSE_SE_EEES9_SG_JZNS1_25segmented_radix_sort_implINS0_14default_configELb0EPK12hip_bfloat16PSL_PKlPlN2at6native12_GLOBAL__N_18offset_tEEE10hipError_tPvRmT1_PNSt15iterator_traitsISZ_E10value_typeET2_T3_PNS10_IS15_E10value_typeET4_jRbjT5_S1B_jjP12ihipStream_tbEUljE_EEESW_SX_SY_S15_S19_S1B_T6_T7_T9_mT8_S1D_bDpT10_ENKUlT_T0_E_clISt17integral_constantIbLb1EES1P_IbLb0EEEEDaS1L_S1M_EUlS1L_E_NS1_11comp_targetILNS1_3genE8ELNS1_11target_archE1030ELNS1_3gpuE2ELNS1_3repE0EEENS1_30default_config_static_selectorELNS0_4arch9wavefront6targetE0EEEvSZ_.has_recursion, 0
	.set _ZN7rocprim17ROCPRIM_400000_NS6detail17trampoline_kernelINS0_13select_configILj256ELj13ELNS0_17block_load_methodE3ELS4_3ELS4_3ELNS0_20block_scan_algorithmE0ELj4294967295EEENS1_25partition_config_selectorILNS1_17partition_subalgoE3EjNS0_10empty_typeEbEEZZNS1_14partition_implILS8_3ELb0ES6_jNS0_17counting_iteratorIjlEEPS9_SE_NS0_5tupleIJPjSE_EEENSF_IJSE_SE_EEES9_SG_JZNS1_25segmented_radix_sort_implINS0_14default_configELb0EPK12hip_bfloat16PSL_PKlPlN2at6native12_GLOBAL__N_18offset_tEEE10hipError_tPvRmT1_PNSt15iterator_traitsISZ_E10value_typeET2_T3_PNS10_IS15_E10value_typeET4_jRbjT5_S1B_jjP12ihipStream_tbEUljE_EEESW_SX_SY_S15_S19_S1B_T6_T7_T9_mT8_S1D_bDpT10_ENKUlT_T0_E_clISt17integral_constantIbLb1EES1P_IbLb0EEEEDaS1L_S1M_EUlS1L_E_NS1_11comp_targetILNS1_3genE8ELNS1_11target_archE1030ELNS1_3gpuE2ELNS1_3repE0EEENS1_30default_config_static_selectorELNS0_4arch9wavefront6targetE0EEEvSZ_.has_indirect_call, 0
	.section	.AMDGPU.csdata,"",@progbits
; Kernel info:
; codeLenInByte = 0
; TotalNumSgprs: 0
; NumVgprs: 0
; ScratchSize: 0
; MemoryBound: 0
; FloatMode: 240
; IeeeMode: 1
; LDSByteSize: 0 bytes/workgroup (compile time only)
; SGPRBlocks: 0
; VGPRBlocks: 0
; NumSGPRsForWavesPerEU: 1
; NumVGPRsForWavesPerEU: 1
; Occupancy: 16
; WaveLimiterHint : 0
; COMPUTE_PGM_RSRC2:SCRATCH_EN: 0
; COMPUTE_PGM_RSRC2:USER_SGPR: 2
; COMPUTE_PGM_RSRC2:TRAP_HANDLER: 0
; COMPUTE_PGM_RSRC2:TGID_X_EN: 1
; COMPUTE_PGM_RSRC2:TGID_Y_EN: 0
; COMPUTE_PGM_RSRC2:TGID_Z_EN: 0
; COMPUTE_PGM_RSRC2:TIDIG_COMP_CNT: 0
	.section	.text._ZN7rocprim17ROCPRIM_400000_NS6detail17trampoline_kernelINS0_13select_configILj256ELj13ELNS0_17block_load_methodE3ELS4_3ELS4_3ELNS0_20block_scan_algorithmE0ELj4294967295EEENS1_25partition_config_selectorILNS1_17partition_subalgoE3EjNS0_10empty_typeEbEEZZNS1_14partition_implILS8_3ELb0ES6_jNS0_17counting_iteratorIjlEEPS9_SE_NS0_5tupleIJPjSE_EEENSF_IJSE_SE_EEES9_SG_JZNS1_25segmented_radix_sort_implINS0_14default_configELb0EPK12hip_bfloat16PSL_PKlPlN2at6native12_GLOBAL__N_18offset_tEEE10hipError_tPvRmT1_PNSt15iterator_traitsISZ_E10value_typeET2_T3_PNS10_IS15_E10value_typeET4_jRbjT5_S1B_jjP12ihipStream_tbEUljE_EEESW_SX_SY_S15_S19_S1B_T6_T7_T9_mT8_S1D_bDpT10_ENKUlT_T0_E_clISt17integral_constantIbLb0EES1P_IbLb1EEEEDaS1L_S1M_EUlS1L_E_NS1_11comp_targetILNS1_3genE0ELNS1_11target_archE4294967295ELNS1_3gpuE0ELNS1_3repE0EEENS1_30default_config_static_selectorELNS0_4arch9wavefront6targetE0EEEvSZ_,"axG",@progbits,_ZN7rocprim17ROCPRIM_400000_NS6detail17trampoline_kernelINS0_13select_configILj256ELj13ELNS0_17block_load_methodE3ELS4_3ELS4_3ELNS0_20block_scan_algorithmE0ELj4294967295EEENS1_25partition_config_selectorILNS1_17partition_subalgoE3EjNS0_10empty_typeEbEEZZNS1_14partition_implILS8_3ELb0ES6_jNS0_17counting_iteratorIjlEEPS9_SE_NS0_5tupleIJPjSE_EEENSF_IJSE_SE_EEES9_SG_JZNS1_25segmented_radix_sort_implINS0_14default_configELb0EPK12hip_bfloat16PSL_PKlPlN2at6native12_GLOBAL__N_18offset_tEEE10hipError_tPvRmT1_PNSt15iterator_traitsISZ_E10value_typeET2_T3_PNS10_IS15_E10value_typeET4_jRbjT5_S1B_jjP12ihipStream_tbEUljE_EEESW_SX_SY_S15_S19_S1B_T6_T7_T9_mT8_S1D_bDpT10_ENKUlT_T0_E_clISt17integral_constantIbLb0EES1P_IbLb1EEEEDaS1L_S1M_EUlS1L_E_NS1_11comp_targetILNS1_3genE0ELNS1_11target_archE4294967295ELNS1_3gpuE0ELNS1_3repE0EEENS1_30default_config_static_selectorELNS0_4arch9wavefront6targetE0EEEvSZ_,comdat
	.globl	_ZN7rocprim17ROCPRIM_400000_NS6detail17trampoline_kernelINS0_13select_configILj256ELj13ELNS0_17block_load_methodE3ELS4_3ELS4_3ELNS0_20block_scan_algorithmE0ELj4294967295EEENS1_25partition_config_selectorILNS1_17partition_subalgoE3EjNS0_10empty_typeEbEEZZNS1_14partition_implILS8_3ELb0ES6_jNS0_17counting_iteratorIjlEEPS9_SE_NS0_5tupleIJPjSE_EEENSF_IJSE_SE_EEES9_SG_JZNS1_25segmented_radix_sort_implINS0_14default_configELb0EPK12hip_bfloat16PSL_PKlPlN2at6native12_GLOBAL__N_18offset_tEEE10hipError_tPvRmT1_PNSt15iterator_traitsISZ_E10value_typeET2_T3_PNS10_IS15_E10value_typeET4_jRbjT5_S1B_jjP12ihipStream_tbEUljE_EEESW_SX_SY_S15_S19_S1B_T6_T7_T9_mT8_S1D_bDpT10_ENKUlT_T0_E_clISt17integral_constantIbLb0EES1P_IbLb1EEEEDaS1L_S1M_EUlS1L_E_NS1_11comp_targetILNS1_3genE0ELNS1_11target_archE4294967295ELNS1_3gpuE0ELNS1_3repE0EEENS1_30default_config_static_selectorELNS0_4arch9wavefront6targetE0EEEvSZ_ ; -- Begin function _ZN7rocprim17ROCPRIM_400000_NS6detail17trampoline_kernelINS0_13select_configILj256ELj13ELNS0_17block_load_methodE3ELS4_3ELS4_3ELNS0_20block_scan_algorithmE0ELj4294967295EEENS1_25partition_config_selectorILNS1_17partition_subalgoE3EjNS0_10empty_typeEbEEZZNS1_14partition_implILS8_3ELb0ES6_jNS0_17counting_iteratorIjlEEPS9_SE_NS0_5tupleIJPjSE_EEENSF_IJSE_SE_EEES9_SG_JZNS1_25segmented_radix_sort_implINS0_14default_configELb0EPK12hip_bfloat16PSL_PKlPlN2at6native12_GLOBAL__N_18offset_tEEE10hipError_tPvRmT1_PNSt15iterator_traitsISZ_E10value_typeET2_T3_PNS10_IS15_E10value_typeET4_jRbjT5_S1B_jjP12ihipStream_tbEUljE_EEESW_SX_SY_S15_S19_S1B_T6_T7_T9_mT8_S1D_bDpT10_ENKUlT_T0_E_clISt17integral_constantIbLb0EES1P_IbLb1EEEEDaS1L_S1M_EUlS1L_E_NS1_11comp_targetILNS1_3genE0ELNS1_11target_archE4294967295ELNS1_3gpuE0ELNS1_3repE0EEENS1_30default_config_static_selectorELNS0_4arch9wavefront6targetE0EEEvSZ_
	.p2align	8
	.type	_ZN7rocprim17ROCPRIM_400000_NS6detail17trampoline_kernelINS0_13select_configILj256ELj13ELNS0_17block_load_methodE3ELS4_3ELS4_3ELNS0_20block_scan_algorithmE0ELj4294967295EEENS1_25partition_config_selectorILNS1_17partition_subalgoE3EjNS0_10empty_typeEbEEZZNS1_14partition_implILS8_3ELb0ES6_jNS0_17counting_iteratorIjlEEPS9_SE_NS0_5tupleIJPjSE_EEENSF_IJSE_SE_EEES9_SG_JZNS1_25segmented_radix_sort_implINS0_14default_configELb0EPK12hip_bfloat16PSL_PKlPlN2at6native12_GLOBAL__N_18offset_tEEE10hipError_tPvRmT1_PNSt15iterator_traitsISZ_E10value_typeET2_T3_PNS10_IS15_E10value_typeET4_jRbjT5_S1B_jjP12ihipStream_tbEUljE_EEESW_SX_SY_S15_S19_S1B_T6_T7_T9_mT8_S1D_bDpT10_ENKUlT_T0_E_clISt17integral_constantIbLb0EES1P_IbLb1EEEEDaS1L_S1M_EUlS1L_E_NS1_11comp_targetILNS1_3genE0ELNS1_11target_archE4294967295ELNS1_3gpuE0ELNS1_3repE0EEENS1_30default_config_static_selectorELNS0_4arch9wavefront6targetE0EEEvSZ_,@function
_ZN7rocprim17ROCPRIM_400000_NS6detail17trampoline_kernelINS0_13select_configILj256ELj13ELNS0_17block_load_methodE3ELS4_3ELS4_3ELNS0_20block_scan_algorithmE0ELj4294967295EEENS1_25partition_config_selectorILNS1_17partition_subalgoE3EjNS0_10empty_typeEbEEZZNS1_14partition_implILS8_3ELb0ES6_jNS0_17counting_iteratorIjlEEPS9_SE_NS0_5tupleIJPjSE_EEENSF_IJSE_SE_EEES9_SG_JZNS1_25segmented_radix_sort_implINS0_14default_configELb0EPK12hip_bfloat16PSL_PKlPlN2at6native12_GLOBAL__N_18offset_tEEE10hipError_tPvRmT1_PNSt15iterator_traitsISZ_E10value_typeET2_T3_PNS10_IS15_E10value_typeET4_jRbjT5_S1B_jjP12ihipStream_tbEUljE_EEESW_SX_SY_S15_S19_S1B_T6_T7_T9_mT8_S1D_bDpT10_ENKUlT_T0_E_clISt17integral_constantIbLb0EES1P_IbLb1EEEEDaS1L_S1M_EUlS1L_E_NS1_11comp_targetILNS1_3genE0ELNS1_11target_archE4294967295ELNS1_3gpuE0ELNS1_3repE0EEENS1_30default_config_static_selectorELNS0_4arch9wavefront6targetE0EEEvSZ_: ; @_ZN7rocprim17ROCPRIM_400000_NS6detail17trampoline_kernelINS0_13select_configILj256ELj13ELNS0_17block_load_methodE3ELS4_3ELS4_3ELNS0_20block_scan_algorithmE0ELj4294967295EEENS1_25partition_config_selectorILNS1_17partition_subalgoE3EjNS0_10empty_typeEbEEZZNS1_14partition_implILS8_3ELb0ES6_jNS0_17counting_iteratorIjlEEPS9_SE_NS0_5tupleIJPjSE_EEENSF_IJSE_SE_EEES9_SG_JZNS1_25segmented_radix_sort_implINS0_14default_configELb0EPK12hip_bfloat16PSL_PKlPlN2at6native12_GLOBAL__N_18offset_tEEE10hipError_tPvRmT1_PNSt15iterator_traitsISZ_E10value_typeET2_T3_PNS10_IS15_E10value_typeET4_jRbjT5_S1B_jjP12ihipStream_tbEUljE_EEESW_SX_SY_S15_S19_S1B_T6_T7_T9_mT8_S1D_bDpT10_ENKUlT_T0_E_clISt17integral_constantIbLb0EES1P_IbLb1EEEEDaS1L_S1M_EUlS1L_E_NS1_11comp_targetILNS1_3genE0ELNS1_11target_archE4294967295ELNS1_3gpuE0ELNS1_3repE0EEENS1_30default_config_static_selectorELNS0_4arch9wavefront6targetE0EEEvSZ_
; %bb.0:
	.section	.rodata,"a",@progbits
	.p2align	6, 0x0
	.amdhsa_kernel _ZN7rocprim17ROCPRIM_400000_NS6detail17trampoline_kernelINS0_13select_configILj256ELj13ELNS0_17block_load_methodE3ELS4_3ELS4_3ELNS0_20block_scan_algorithmE0ELj4294967295EEENS1_25partition_config_selectorILNS1_17partition_subalgoE3EjNS0_10empty_typeEbEEZZNS1_14partition_implILS8_3ELb0ES6_jNS0_17counting_iteratorIjlEEPS9_SE_NS0_5tupleIJPjSE_EEENSF_IJSE_SE_EEES9_SG_JZNS1_25segmented_radix_sort_implINS0_14default_configELb0EPK12hip_bfloat16PSL_PKlPlN2at6native12_GLOBAL__N_18offset_tEEE10hipError_tPvRmT1_PNSt15iterator_traitsISZ_E10value_typeET2_T3_PNS10_IS15_E10value_typeET4_jRbjT5_S1B_jjP12ihipStream_tbEUljE_EEESW_SX_SY_S15_S19_S1B_T6_T7_T9_mT8_S1D_bDpT10_ENKUlT_T0_E_clISt17integral_constantIbLb0EES1P_IbLb1EEEEDaS1L_S1M_EUlS1L_E_NS1_11comp_targetILNS1_3genE0ELNS1_11target_archE4294967295ELNS1_3gpuE0ELNS1_3repE0EEENS1_30default_config_static_selectorELNS0_4arch9wavefront6targetE0EEEvSZ_
		.amdhsa_group_segment_fixed_size 0
		.amdhsa_private_segment_fixed_size 0
		.amdhsa_kernarg_size 152
		.amdhsa_user_sgpr_count 2
		.amdhsa_user_sgpr_dispatch_ptr 0
		.amdhsa_user_sgpr_queue_ptr 0
		.amdhsa_user_sgpr_kernarg_segment_ptr 1
		.amdhsa_user_sgpr_dispatch_id 0
		.amdhsa_user_sgpr_private_segment_size 0
		.amdhsa_wavefront_size32 1
		.amdhsa_uses_dynamic_stack 0
		.amdhsa_enable_private_segment 0
		.amdhsa_system_sgpr_workgroup_id_x 1
		.amdhsa_system_sgpr_workgroup_id_y 0
		.amdhsa_system_sgpr_workgroup_id_z 0
		.amdhsa_system_sgpr_workgroup_info 0
		.amdhsa_system_vgpr_workitem_id 0
		.amdhsa_next_free_vgpr 1
		.amdhsa_next_free_sgpr 1
		.amdhsa_reserve_vcc 0
		.amdhsa_float_round_mode_32 0
		.amdhsa_float_round_mode_16_64 0
		.amdhsa_float_denorm_mode_32 3
		.amdhsa_float_denorm_mode_16_64 3
		.amdhsa_fp16_overflow 0
		.amdhsa_workgroup_processor_mode 1
		.amdhsa_memory_ordered 1
		.amdhsa_forward_progress 1
		.amdhsa_inst_pref_size 0
		.amdhsa_round_robin_scheduling 0
		.amdhsa_exception_fp_ieee_invalid_op 0
		.amdhsa_exception_fp_denorm_src 0
		.amdhsa_exception_fp_ieee_div_zero 0
		.amdhsa_exception_fp_ieee_overflow 0
		.amdhsa_exception_fp_ieee_underflow 0
		.amdhsa_exception_fp_ieee_inexact 0
		.amdhsa_exception_int_div_zero 0
	.end_amdhsa_kernel
	.section	.text._ZN7rocprim17ROCPRIM_400000_NS6detail17trampoline_kernelINS0_13select_configILj256ELj13ELNS0_17block_load_methodE3ELS4_3ELS4_3ELNS0_20block_scan_algorithmE0ELj4294967295EEENS1_25partition_config_selectorILNS1_17partition_subalgoE3EjNS0_10empty_typeEbEEZZNS1_14partition_implILS8_3ELb0ES6_jNS0_17counting_iteratorIjlEEPS9_SE_NS0_5tupleIJPjSE_EEENSF_IJSE_SE_EEES9_SG_JZNS1_25segmented_radix_sort_implINS0_14default_configELb0EPK12hip_bfloat16PSL_PKlPlN2at6native12_GLOBAL__N_18offset_tEEE10hipError_tPvRmT1_PNSt15iterator_traitsISZ_E10value_typeET2_T3_PNS10_IS15_E10value_typeET4_jRbjT5_S1B_jjP12ihipStream_tbEUljE_EEESW_SX_SY_S15_S19_S1B_T6_T7_T9_mT8_S1D_bDpT10_ENKUlT_T0_E_clISt17integral_constantIbLb0EES1P_IbLb1EEEEDaS1L_S1M_EUlS1L_E_NS1_11comp_targetILNS1_3genE0ELNS1_11target_archE4294967295ELNS1_3gpuE0ELNS1_3repE0EEENS1_30default_config_static_selectorELNS0_4arch9wavefront6targetE0EEEvSZ_,"axG",@progbits,_ZN7rocprim17ROCPRIM_400000_NS6detail17trampoline_kernelINS0_13select_configILj256ELj13ELNS0_17block_load_methodE3ELS4_3ELS4_3ELNS0_20block_scan_algorithmE0ELj4294967295EEENS1_25partition_config_selectorILNS1_17partition_subalgoE3EjNS0_10empty_typeEbEEZZNS1_14partition_implILS8_3ELb0ES6_jNS0_17counting_iteratorIjlEEPS9_SE_NS0_5tupleIJPjSE_EEENSF_IJSE_SE_EEES9_SG_JZNS1_25segmented_radix_sort_implINS0_14default_configELb0EPK12hip_bfloat16PSL_PKlPlN2at6native12_GLOBAL__N_18offset_tEEE10hipError_tPvRmT1_PNSt15iterator_traitsISZ_E10value_typeET2_T3_PNS10_IS15_E10value_typeET4_jRbjT5_S1B_jjP12ihipStream_tbEUljE_EEESW_SX_SY_S15_S19_S1B_T6_T7_T9_mT8_S1D_bDpT10_ENKUlT_T0_E_clISt17integral_constantIbLb0EES1P_IbLb1EEEEDaS1L_S1M_EUlS1L_E_NS1_11comp_targetILNS1_3genE0ELNS1_11target_archE4294967295ELNS1_3gpuE0ELNS1_3repE0EEENS1_30default_config_static_selectorELNS0_4arch9wavefront6targetE0EEEvSZ_,comdat
.Lfunc_end2041:
	.size	_ZN7rocprim17ROCPRIM_400000_NS6detail17trampoline_kernelINS0_13select_configILj256ELj13ELNS0_17block_load_methodE3ELS4_3ELS4_3ELNS0_20block_scan_algorithmE0ELj4294967295EEENS1_25partition_config_selectorILNS1_17partition_subalgoE3EjNS0_10empty_typeEbEEZZNS1_14partition_implILS8_3ELb0ES6_jNS0_17counting_iteratorIjlEEPS9_SE_NS0_5tupleIJPjSE_EEENSF_IJSE_SE_EEES9_SG_JZNS1_25segmented_radix_sort_implINS0_14default_configELb0EPK12hip_bfloat16PSL_PKlPlN2at6native12_GLOBAL__N_18offset_tEEE10hipError_tPvRmT1_PNSt15iterator_traitsISZ_E10value_typeET2_T3_PNS10_IS15_E10value_typeET4_jRbjT5_S1B_jjP12ihipStream_tbEUljE_EEESW_SX_SY_S15_S19_S1B_T6_T7_T9_mT8_S1D_bDpT10_ENKUlT_T0_E_clISt17integral_constantIbLb0EES1P_IbLb1EEEEDaS1L_S1M_EUlS1L_E_NS1_11comp_targetILNS1_3genE0ELNS1_11target_archE4294967295ELNS1_3gpuE0ELNS1_3repE0EEENS1_30default_config_static_selectorELNS0_4arch9wavefront6targetE0EEEvSZ_, .Lfunc_end2041-_ZN7rocprim17ROCPRIM_400000_NS6detail17trampoline_kernelINS0_13select_configILj256ELj13ELNS0_17block_load_methodE3ELS4_3ELS4_3ELNS0_20block_scan_algorithmE0ELj4294967295EEENS1_25partition_config_selectorILNS1_17partition_subalgoE3EjNS0_10empty_typeEbEEZZNS1_14partition_implILS8_3ELb0ES6_jNS0_17counting_iteratorIjlEEPS9_SE_NS0_5tupleIJPjSE_EEENSF_IJSE_SE_EEES9_SG_JZNS1_25segmented_radix_sort_implINS0_14default_configELb0EPK12hip_bfloat16PSL_PKlPlN2at6native12_GLOBAL__N_18offset_tEEE10hipError_tPvRmT1_PNSt15iterator_traitsISZ_E10value_typeET2_T3_PNS10_IS15_E10value_typeET4_jRbjT5_S1B_jjP12ihipStream_tbEUljE_EEESW_SX_SY_S15_S19_S1B_T6_T7_T9_mT8_S1D_bDpT10_ENKUlT_T0_E_clISt17integral_constantIbLb0EES1P_IbLb1EEEEDaS1L_S1M_EUlS1L_E_NS1_11comp_targetILNS1_3genE0ELNS1_11target_archE4294967295ELNS1_3gpuE0ELNS1_3repE0EEENS1_30default_config_static_selectorELNS0_4arch9wavefront6targetE0EEEvSZ_
                                        ; -- End function
	.set _ZN7rocprim17ROCPRIM_400000_NS6detail17trampoline_kernelINS0_13select_configILj256ELj13ELNS0_17block_load_methodE3ELS4_3ELS4_3ELNS0_20block_scan_algorithmE0ELj4294967295EEENS1_25partition_config_selectorILNS1_17partition_subalgoE3EjNS0_10empty_typeEbEEZZNS1_14partition_implILS8_3ELb0ES6_jNS0_17counting_iteratorIjlEEPS9_SE_NS0_5tupleIJPjSE_EEENSF_IJSE_SE_EEES9_SG_JZNS1_25segmented_radix_sort_implINS0_14default_configELb0EPK12hip_bfloat16PSL_PKlPlN2at6native12_GLOBAL__N_18offset_tEEE10hipError_tPvRmT1_PNSt15iterator_traitsISZ_E10value_typeET2_T3_PNS10_IS15_E10value_typeET4_jRbjT5_S1B_jjP12ihipStream_tbEUljE_EEESW_SX_SY_S15_S19_S1B_T6_T7_T9_mT8_S1D_bDpT10_ENKUlT_T0_E_clISt17integral_constantIbLb0EES1P_IbLb1EEEEDaS1L_S1M_EUlS1L_E_NS1_11comp_targetILNS1_3genE0ELNS1_11target_archE4294967295ELNS1_3gpuE0ELNS1_3repE0EEENS1_30default_config_static_selectorELNS0_4arch9wavefront6targetE0EEEvSZ_.num_vgpr, 0
	.set _ZN7rocprim17ROCPRIM_400000_NS6detail17trampoline_kernelINS0_13select_configILj256ELj13ELNS0_17block_load_methodE3ELS4_3ELS4_3ELNS0_20block_scan_algorithmE0ELj4294967295EEENS1_25partition_config_selectorILNS1_17partition_subalgoE3EjNS0_10empty_typeEbEEZZNS1_14partition_implILS8_3ELb0ES6_jNS0_17counting_iteratorIjlEEPS9_SE_NS0_5tupleIJPjSE_EEENSF_IJSE_SE_EEES9_SG_JZNS1_25segmented_radix_sort_implINS0_14default_configELb0EPK12hip_bfloat16PSL_PKlPlN2at6native12_GLOBAL__N_18offset_tEEE10hipError_tPvRmT1_PNSt15iterator_traitsISZ_E10value_typeET2_T3_PNS10_IS15_E10value_typeET4_jRbjT5_S1B_jjP12ihipStream_tbEUljE_EEESW_SX_SY_S15_S19_S1B_T6_T7_T9_mT8_S1D_bDpT10_ENKUlT_T0_E_clISt17integral_constantIbLb0EES1P_IbLb1EEEEDaS1L_S1M_EUlS1L_E_NS1_11comp_targetILNS1_3genE0ELNS1_11target_archE4294967295ELNS1_3gpuE0ELNS1_3repE0EEENS1_30default_config_static_selectorELNS0_4arch9wavefront6targetE0EEEvSZ_.num_agpr, 0
	.set _ZN7rocprim17ROCPRIM_400000_NS6detail17trampoline_kernelINS0_13select_configILj256ELj13ELNS0_17block_load_methodE3ELS4_3ELS4_3ELNS0_20block_scan_algorithmE0ELj4294967295EEENS1_25partition_config_selectorILNS1_17partition_subalgoE3EjNS0_10empty_typeEbEEZZNS1_14partition_implILS8_3ELb0ES6_jNS0_17counting_iteratorIjlEEPS9_SE_NS0_5tupleIJPjSE_EEENSF_IJSE_SE_EEES9_SG_JZNS1_25segmented_radix_sort_implINS0_14default_configELb0EPK12hip_bfloat16PSL_PKlPlN2at6native12_GLOBAL__N_18offset_tEEE10hipError_tPvRmT1_PNSt15iterator_traitsISZ_E10value_typeET2_T3_PNS10_IS15_E10value_typeET4_jRbjT5_S1B_jjP12ihipStream_tbEUljE_EEESW_SX_SY_S15_S19_S1B_T6_T7_T9_mT8_S1D_bDpT10_ENKUlT_T0_E_clISt17integral_constantIbLb0EES1P_IbLb1EEEEDaS1L_S1M_EUlS1L_E_NS1_11comp_targetILNS1_3genE0ELNS1_11target_archE4294967295ELNS1_3gpuE0ELNS1_3repE0EEENS1_30default_config_static_selectorELNS0_4arch9wavefront6targetE0EEEvSZ_.numbered_sgpr, 0
	.set _ZN7rocprim17ROCPRIM_400000_NS6detail17trampoline_kernelINS0_13select_configILj256ELj13ELNS0_17block_load_methodE3ELS4_3ELS4_3ELNS0_20block_scan_algorithmE0ELj4294967295EEENS1_25partition_config_selectorILNS1_17partition_subalgoE3EjNS0_10empty_typeEbEEZZNS1_14partition_implILS8_3ELb0ES6_jNS0_17counting_iteratorIjlEEPS9_SE_NS0_5tupleIJPjSE_EEENSF_IJSE_SE_EEES9_SG_JZNS1_25segmented_radix_sort_implINS0_14default_configELb0EPK12hip_bfloat16PSL_PKlPlN2at6native12_GLOBAL__N_18offset_tEEE10hipError_tPvRmT1_PNSt15iterator_traitsISZ_E10value_typeET2_T3_PNS10_IS15_E10value_typeET4_jRbjT5_S1B_jjP12ihipStream_tbEUljE_EEESW_SX_SY_S15_S19_S1B_T6_T7_T9_mT8_S1D_bDpT10_ENKUlT_T0_E_clISt17integral_constantIbLb0EES1P_IbLb1EEEEDaS1L_S1M_EUlS1L_E_NS1_11comp_targetILNS1_3genE0ELNS1_11target_archE4294967295ELNS1_3gpuE0ELNS1_3repE0EEENS1_30default_config_static_selectorELNS0_4arch9wavefront6targetE0EEEvSZ_.num_named_barrier, 0
	.set _ZN7rocprim17ROCPRIM_400000_NS6detail17trampoline_kernelINS0_13select_configILj256ELj13ELNS0_17block_load_methodE3ELS4_3ELS4_3ELNS0_20block_scan_algorithmE0ELj4294967295EEENS1_25partition_config_selectorILNS1_17partition_subalgoE3EjNS0_10empty_typeEbEEZZNS1_14partition_implILS8_3ELb0ES6_jNS0_17counting_iteratorIjlEEPS9_SE_NS0_5tupleIJPjSE_EEENSF_IJSE_SE_EEES9_SG_JZNS1_25segmented_radix_sort_implINS0_14default_configELb0EPK12hip_bfloat16PSL_PKlPlN2at6native12_GLOBAL__N_18offset_tEEE10hipError_tPvRmT1_PNSt15iterator_traitsISZ_E10value_typeET2_T3_PNS10_IS15_E10value_typeET4_jRbjT5_S1B_jjP12ihipStream_tbEUljE_EEESW_SX_SY_S15_S19_S1B_T6_T7_T9_mT8_S1D_bDpT10_ENKUlT_T0_E_clISt17integral_constantIbLb0EES1P_IbLb1EEEEDaS1L_S1M_EUlS1L_E_NS1_11comp_targetILNS1_3genE0ELNS1_11target_archE4294967295ELNS1_3gpuE0ELNS1_3repE0EEENS1_30default_config_static_selectorELNS0_4arch9wavefront6targetE0EEEvSZ_.private_seg_size, 0
	.set _ZN7rocprim17ROCPRIM_400000_NS6detail17trampoline_kernelINS0_13select_configILj256ELj13ELNS0_17block_load_methodE3ELS4_3ELS4_3ELNS0_20block_scan_algorithmE0ELj4294967295EEENS1_25partition_config_selectorILNS1_17partition_subalgoE3EjNS0_10empty_typeEbEEZZNS1_14partition_implILS8_3ELb0ES6_jNS0_17counting_iteratorIjlEEPS9_SE_NS0_5tupleIJPjSE_EEENSF_IJSE_SE_EEES9_SG_JZNS1_25segmented_radix_sort_implINS0_14default_configELb0EPK12hip_bfloat16PSL_PKlPlN2at6native12_GLOBAL__N_18offset_tEEE10hipError_tPvRmT1_PNSt15iterator_traitsISZ_E10value_typeET2_T3_PNS10_IS15_E10value_typeET4_jRbjT5_S1B_jjP12ihipStream_tbEUljE_EEESW_SX_SY_S15_S19_S1B_T6_T7_T9_mT8_S1D_bDpT10_ENKUlT_T0_E_clISt17integral_constantIbLb0EES1P_IbLb1EEEEDaS1L_S1M_EUlS1L_E_NS1_11comp_targetILNS1_3genE0ELNS1_11target_archE4294967295ELNS1_3gpuE0ELNS1_3repE0EEENS1_30default_config_static_selectorELNS0_4arch9wavefront6targetE0EEEvSZ_.uses_vcc, 0
	.set _ZN7rocprim17ROCPRIM_400000_NS6detail17trampoline_kernelINS0_13select_configILj256ELj13ELNS0_17block_load_methodE3ELS4_3ELS4_3ELNS0_20block_scan_algorithmE0ELj4294967295EEENS1_25partition_config_selectorILNS1_17partition_subalgoE3EjNS0_10empty_typeEbEEZZNS1_14partition_implILS8_3ELb0ES6_jNS0_17counting_iteratorIjlEEPS9_SE_NS0_5tupleIJPjSE_EEENSF_IJSE_SE_EEES9_SG_JZNS1_25segmented_radix_sort_implINS0_14default_configELb0EPK12hip_bfloat16PSL_PKlPlN2at6native12_GLOBAL__N_18offset_tEEE10hipError_tPvRmT1_PNSt15iterator_traitsISZ_E10value_typeET2_T3_PNS10_IS15_E10value_typeET4_jRbjT5_S1B_jjP12ihipStream_tbEUljE_EEESW_SX_SY_S15_S19_S1B_T6_T7_T9_mT8_S1D_bDpT10_ENKUlT_T0_E_clISt17integral_constantIbLb0EES1P_IbLb1EEEEDaS1L_S1M_EUlS1L_E_NS1_11comp_targetILNS1_3genE0ELNS1_11target_archE4294967295ELNS1_3gpuE0ELNS1_3repE0EEENS1_30default_config_static_selectorELNS0_4arch9wavefront6targetE0EEEvSZ_.uses_flat_scratch, 0
	.set _ZN7rocprim17ROCPRIM_400000_NS6detail17trampoline_kernelINS0_13select_configILj256ELj13ELNS0_17block_load_methodE3ELS4_3ELS4_3ELNS0_20block_scan_algorithmE0ELj4294967295EEENS1_25partition_config_selectorILNS1_17partition_subalgoE3EjNS0_10empty_typeEbEEZZNS1_14partition_implILS8_3ELb0ES6_jNS0_17counting_iteratorIjlEEPS9_SE_NS0_5tupleIJPjSE_EEENSF_IJSE_SE_EEES9_SG_JZNS1_25segmented_radix_sort_implINS0_14default_configELb0EPK12hip_bfloat16PSL_PKlPlN2at6native12_GLOBAL__N_18offset_tEEE10hipError_tPvRmT1_PNSt15iterator_traitsISZ_E10value_typeET2_T3_PNS10_IS15_E10value_typeET4_jRbjT5_S1B_jjP12ihipStream_tbEUljE_EEESW_SX_SY_S15_S19_S1B_T6_T7_T9_mT8_S1D_bDpT10_ENKUlT_T0_E_clISt17integral_constantIbLb0EES1P_IbLb1EEEEDaS1L_S1M_EUlS1L_E_NS1_11comp_targetILNS1_3genE0ELNS1_11target_archE4294967295ELNS1_3gpuE0ELNS1_3repE0EEENS1_30default_config_static_selectorELNS0_4arch9wavefront6targetE0EEEvSZ_.has_dyn_sized_stack, 0
	.set _ZN7rocprim17ROCPRIM_400000_NS6detail17trampoline_kernelINS0_13select_configILj256ELj13ELNS0_17block_load_methodE3ELS4_3ELS4_3ELNS0_20block_scan_algorithmE0ELj4294967295EEENS1_25partition_config_selectorILNS1_17partition_subalgoE3EjNS0_10empty_typeEbEEZZNS1_14partition_implILS8_3ELb0ES6_jNS0_17counting_iteratorIjlEEPS9_SE_NS0_5tupleIJPjSE_EEENSF_IJSE_SE_EEES9_SG_JZNS1_25segmented_radix_sort_implINS0_14default_configELb0EPK12hip_bfloat16PSL_PKlPlN2at6native12_GLOBAL__N_18offset_tEEE10hipError_tPvRmT1_PNSt15iterator_traitsISZ_E10value_typeET2_T3_PNS10_IS15_E10value_typeET4_jRbjT5_S1B_jjP12ihipStream_tbEUljE_EEESW_SX_SY_S15_S19_S1B_T6_T7_T9_mT8_S1D_bDpT10_ENKUlT_T0_E_clISt17integral_constantIbLb0EES1P_IbLb1EEEEDaS1L_S1M_EUlS1L_E_NS1_11comp_targetILNS1_3genE0ELNS1_11target_archE4294967295ELNS1_3gpuE0ELNS1_3repE0EEENS1_30default_config_static_selectorELNS0_4arch9wavefront6targetE0EEEvSZ_.has_recursion, 0
	.set _ZN7rocprim17ROCPRIM_400000_NS6detail17trampoline_kernelINS0_13select_configILj256ELj13ELNS0_17block_load_methodE3ELS4_3ELS4_3ELNS0_20block_scan_algorithmE0ELj4294967295EEENS1_25partition_config_selectorILNS1_17partition_subalgoE3EjNS0_10empty_typeEbEEZZNS1_14partition_implILS8_3ELb0ES6_jNS0_17counting_iteratorIjlEEPS9_SE_NS0_5tupleIJPjSE_EEENSF_IJSE_SE_EEES9_SG_JZNS1_25segmented_radix_sort_implINS0_14default_configELb0EPK12hip_bfloat16PSL_PKlPlN2at6native12_GLOBAL__N_18offset_tEEE10hipError_tPvRmT1_PNSt15iterator_traitsISZ_E10value_typeET2_T3_PNS10_IS15_E10value_typeET4_jRbjT5_S1B_jjP12ihipStream_tbEUljE_EEESW_SX_SY_S15_S19_S1B_T6_T7_T9_mT8_S1D_bDpT10_ENKUlT_T0_E_clISt17integral_constantIbLb0EES1P_IbLb1EEEEDaS1L_S1M_EUlS1L_E_NS1_11comp_targetILNS1_3genE0ELNS1_11target_archE4294967295ELNS1_3gpuE0ELNS1_3repE0EEENS1_30default_config_static_selectorELNS0_4arch9wavefront6targetE0EEEvSZ_.has_indirect_call, 0
	.section	.AMDGPU.csdata,"",@progbits
; Kernel info:
; codeLenInByte = 0
; TotalNumSgprs: 0
; NumVgprs: 0
; ScratchSize: 0
; MemoryBound: 0
; FloatMode: 240
; IeeeMode: 1
; LDSByteSize: 0 bytes/workgroup (compile time only)
; SGPRBlocks: 0
; VGPRBlocks: 0
; NumSGPRsForWavesPerEU: 1
; NumVGPRsForWavesPerEU: 1
; Occupancy: 16
; WaveLimiterHint : 0
; COMPUTE_PGM_RSRC2:SCRATCH_EN: 0
; COMPUTE_PGM_RSRC2:USER_SGPR: 2
; COMPUTE_PGM_RSRC2:TRAP_HANDLER: 0
; COMPUTE_PGM_RSRC2:TGID_X_EN: 1
; COMPUTE_PGM_RSRC2:TGID_Y_EN: 0
; COMPUTE_PGM_RSRC2:TGID_Z_EN: 0
; COMPUTE_PGM_RSRC2:TIDIG_COMP_CNT: 0
	.section	.text._ZN7rocprim17ROCPRIM_400000_NS6detail17trampoline_kernelINS0_13select_configILj256ELj13ELNS0_17block_load_methodE3ELS4_3ELS4_3ELNS0_20block_scan_algorithmE0ELj4294967295EEENS1_25partition_config_selectorILNS1_17partition_subalgoE3EjNS0_10empty_typeEbEEZZNS1_14partition_implILS8_3ELb0ES6_jNS0_17counting_iteratorIjlEEPS9_SE_NS0_5tupleIJPjSE_EEENSF_IJSE_SE_EEES9_SG_JZNS1_25segmented_radix_sort_implINS0_14default_configELb0EPK12hip_bfloat16PSL_PKlPlN2at6native12_GLOBAL__N_18offset_tEEE10hipError_tPvRmT1_PNSt15iterator_traitsISZ_E10value_typeET2_T3_PNS10_IS15_E10value_typeET4_jRbjT5_S1B_jjP12ihipStream_tbEUljE_EEESW_SX_SY_S15_S19_S1B_T6_T7_T9_mT8_S1D_bDpT10_ENKUlT_T0_E_clISt17integral_constantIbLb0EES1P_IbLb1EEEEDaS1L_S1M_EUlS1L_E_NS1_11comp_targetILNS1_3genE5ELNS1_11target_archE942ELNS1_3gpuE9ELNS1_3repE0EEENS1_30default_config_static_selectorELNS0_4arch9wavefront6targetE0EEEvSZ_,"axG",@progbits,_ZN7rocprim17ROCPRIM_400000_NS6detail17trampoline_kernelINS0_13select_configILj256ELj13ELNS0_17block_load_methodE3ELS4_3ELS4_3ELNS0_20block_scan_algorithmE0ELj4294967295EEENS1_25partition_config_selectorILNS1_17partition_subalgoE3EjNS0_10empty_typeEbEEZZNS1_14partition_implILS8_3ELb0ES6_jNS0_17counting_iteratorIjlEEPS9_SE_NS0_5tupleIJPjSE_EEENSF_IJSE_SE_EEES9_SG_JZNS1_25segmented_radix_sort_implINS0_14default_configELb0EPK12hip_bfloat16PSL_PKlPlN2at6native12_GLOBAL__N_18offset_tEEE10hipError_tPvRmT1_PNSt15iterator_traitsISZ_E10value_typeET2_T3_PNS10_IS15_E10value_typeET4_jRbjT5_S1B_jjP12ihipStream_tbEUljE_EEESW_SX_SY_S15_S19_S1B_T6_T7_T9_mT8_S1D_bDpT10_ENKUlT_T0_E_clISt17integral_constantIbLb0EES1P_IbLb1EEEEDaS1L_S1M_EUlS1L_E_NS1_11comp_targetILNS1_3genE5ELNS1_11target_archE942ELNS1_3gpuE9ELNS1_3repE0EEENS1_30default_config_static_selectorELNS0_4arch9wavefront6targetE0EEEvSZ_,comdat
	.globl	_ZN7rocprim17ROCPRIM_400000_NS6detail17trampoline_kernelINS0_13select_configILj256ELj13ELNS0_17block_load_methodE3ELS4_3ELS4_3ELNS0_20block_scan_algorithmE0ELj4294967295EEENS1_25partition_config_selectorILNS1_17partition_subalgoE3EjNS0_10empty_typeEbEEZZNS1_14partition_implILS8_3ELb0ES6_jNS0_17counting_iteratorIjlEEPS9_SE_NS0_5tupleIJPjSE_EEENSF_IJSE_SE_EEES9_SG_JZNS1_25segmented_radix_sort_implINS0_14default_configELb0EPK12hip_bfloat16PSL_PKlPlN2at6native12_GLOBAL__N_18offset_tEEE10hipError_tPvRmT1_PNSt15iterator_traitsISZ_E10value_typeET2_T3_PNS10_IS15_E10value_typeET4_jRbjT5_S1B_jjP12ihipStream_tbEUljE_EEESW_SX_SY_S15_S19_S1B_T6_T7_T9_mT8_S1D_bDpT10_ENKUlT_T0_E_clISt17integral_constantIbLb0EES1P_IbLb1EEEEDaS1L_S1M_EUlS1L_E_NS1_11comp_targetILNS1_3genE5ELNS1_11target_archE942ELNS1_3gpuE9ELNS1_3repE0EEENS1_30default_config_static_selectorELNS0_4arch9wavefront6targetE0EEEvSZ_ ; -- Begin function _ZN7rocprim17ROCPRIM_400000_NS6detail17trampoline_kernelINS0_13select_configILj256ELj13ELNS0_17block_load_methodE3ELS4_3ELS4_3ELNS0_20block_scan_algorithmE0ELj4294967295EEENS1_25partition_config_selectorILNS1_17partition_subalgoE3EjNS0_10empty_typeEbEEZZNS1_14partition_implILS8_3ELb0ES6_jNS0_17counting_iteratorIjlEEPS9_SE_NS0_5tupleIJPjSE_EEENSF_IJSE_SE_EEES9_SG_JZNS1_25segmented_radix_sort_implINS0_14default_configELb0EPK12hip_bfloat16PSL_PKlPlN2at6native12_GLOBAL__N_18offset_tEEE10hipError_tPvRmT1_PNSt15iterator_traitsISZ_E10value_typeET2_T3_PNS10_IS15_E10value_typeET4_jRbjT5_S1B_jjP12ihipStream_tbEUljE_EEESW_SX_SY_S15_S19_S1B_T6_T7_T9_mT8_S1D_bDpT10_ENKUlT_T0_E_clISt17integral_constantIbLb0EES1P_IbLb1EEEEDaS1L_S1M_EUlS1L_E_NS1_11comp_targetILNS1_3genE5ELNS1_11target_archE942ELNS1_3gpuE9ELNS1_3repE0EEENS1_30default_config_static_selectorELNS0_4arch9wavefront6targetE0EEEvSZ_
	.p2align	8
	.type	_ZN7rocprim17ROCPRIM_400000_NS6detail17trampoline_kernelINS0_13select_configILj256ELj13ELNS0_17block_load_methodE3ELS4_3ELS4_3ELNS0_20block_scan_algorithmE0ELj4294967295EEENS1_25partition_config_selectorILNS1_17partition_subalgoE3EjNS0_10empty_typeEbEEZZNS1_14partition_implILS8_3ELb0ES6_jNS0_17counting_iteratorIjlEEPS9_SE_NS0_5tupleIJPjSE_EEENSF_IJSE_SE_EEES9_SG_JZNS1_25segmented_radix_sort_implINS0_14default_configELb0EPK12hip_bfloat16PSL_PKlPlN2at6native12_GLOBAL__N_18offset_tEEE10hipError_tPvRmT1_PNSt15iterator_traitsISZ_E10value_typeET2_T3_PNS10_IS15_E10value_typeET4_jRbjT5_S1B_jjP12ihipStream_tbEUljE_EEESW_SX_SY_S15_S19_S1B_T6_T7_T9_mT8_S1D_bDpT10_ENKUlT_T0_E_clISt17integral_constantIbLb0EES1P_IbLb1EEEEDaS1L_S1M_EUlS1L_E_NS1_11comp_targetILNS1_3genE5ELNS1_11target_archE942ELNS1_3gpuE9ELNS1_3repE0EEENS1_30default_config_static_selectorELNS0_4arch9wavefront6targetE0EEEvSZ_,@function
_ZN7rocprim17ROCPRIM_400000_NS6detail17trampoline_kernelINS0_13select_configILj256ELj13ELNS0_17block_load_methodE3ELS4_3ELS4_3ELNS0_20block_scan_algorithmE0ELj4294967295EEENS1_25partition_config_selectorILNS1_17partition_subalgoE3EjNS0_10empty_typeEbEEZZNS1_14partition_implILS8_3ELb0ES6_jNS0_17counting_iteratorIjlEEPS9_SE_NS0_5tupleIJPjSE_EEENSF_IJSE_SE_EEES9_SG_JZNS1_25segmented_radix_sort_implINS0_14default_configELb0EPK12hip_bfloat16PSL_PKlPlN2at6native12_GLOBAL__N_18offset_tEEE10hipError_tPvRmT1_PNSt15iterator_traitsISZ_E10value_typeET2_T3_PNS10_IS15_E10value_typeET4_jRbjT5_S1B_jjP12ihipStream_tbEUljE_EEESW_SX_SY_S15_S19_S1B_T6_T7_T9_mT8_S1D_bDpT10_ENKUlT_T0_E_clISt17integral_constantIbLb0EES1P_IbLb1EEEEDaS1L_S1M_EUlS1L_E_NS1_11comp_targetILNS1_3genE5ELNS1_11target_archE942ELNS1_3gpuE9ELNS1_3repE0EEENS1_30default_config_static_selectorELNS0_4arch9wavefront6targetE0EEEvSZ_: ; @_ZN7rocprim17ROCPRIM_400000_NS6detail17trampoline_kernelINS0_13select_configILj256ELj13ELNS0_17block_load_methodE3ELS4_3ELS4_3ELNS0_20block_scan_algorithmE0ELj4294967295EEENS1_25partition_config_selectorILNS1_17partition_subalgoE3EjNS0_10empty_typeEbEEZZNS1_14partition_implILS8_3ELb0ES6_jNS0_17counting_iteratorIjlEEPS9_SE_NS0_5tupleIJPjSE_EEENSF_IJSE_SE_EEES9_SG_JZNS1_25segmented_radix_sort_implINS0_14default_configELb0EPK12hip_bfloat16PSL_PKlPlN2at6native12_GLOBAL__N_18offset_tEEE10hipError_tPvRmT1_PNSt15iterator_traitsISZ_E10value_typeET2_T3_PNS10_IS15_E10value_typeET4_jRbjT5_S1B_jjP12ihipStream_tbEUljE_EEESW_SX_SY_S15_S19_S1B_T6_T7_T9_mT8_S1D_bDpT10_ENKUlT_T0_E_clISt17integral_constantIbLb0EES1P_IbLb1EEEEDaS1L_S1M_EUlS1L_E_NS1_11comp_targetILNS1_3genE5ELNS1_11target_archE942ELNS1_3gpuE9ELNS1_3repE0EEENS1_30default_config_static_selectorELNS0_4arch9wavefront6targetE0EEEvSZ_
; %bb.0:
	.section	.rodata,"a",@progbits
	.p2align	6, 0x0
	.amdhsa_kernel _ZN7rocprim17ROCPRIM_400000_NS6detail17trampoline_kernelINS0_13select_configILj256ELj13ELNS0_17block_load_methodE3ELS4_3ELS4_3ELNS0_20block_scan_algorithmE0ELj4294967295EEENS1_25partition_config_selectorILNS1_17partition_subalgoE3EjNS0_10empty_typeEbEEZZNS1_14partition_implILS8_3ELb0ES6_jNS0_17counting_iteratorIjlEEPS9_SE_NS0_5tupleIJPjSE_EEENSF_IJSE_SE_EEES9_SG_JZNS1_25segmented_radix_sort_implINS0_14default_configELb0EPK12hip_bfloat16PSL_PKlPlN2at6native12_GLOBAL__N_18offset_tEEE10hipError_tPvRmT1_PNSt15iterator_traitsISZ_E10value_typeET2_T3_PNS10_IS15_E10value_typeET4_jRbjT5_S1B_jjP12ihipStream_tbEUljE_EEESW_SX_SY_S15_S19_S1B_T6_T7_T9_mT8_S1D_bDpT10_ENKUlT_T0_E_clISt17integral_constantIbLb0EES1P_IbLb1EEEEDaS1L_S1M_EUlS1L_E_NS1_11comp_targetILNS1_3genE5ELNS1_11target_archE942ELNS1_3gpuE9ELNS1_3repE0EEENS1_30default_config_static_selectorELNS0_4arch9wavefront6targetE0EEEvSZ_
		.amdhsa_group_segment_fixed_size 0
		.amdhsa_private_segment_fixed_size 0
		.amdhsa_kernarg_size 152
		.amdhsa_user_sgpr_count 2
		.amdhsa_user_sgpr_dispatch_ptr 0
		.amdhsa_user_sgpr_queue_ptr 0
		.amdhsa_user_sgpr_kernarg_segment_ptr 1
		.amdhsa_user_sgpr_dispatch_id 0
		.amdhsa_user_sgpr_private_segment_size 0
		.amdhsa_wavefront_size32 1
		.amdhsa_uses_dynamic_stack 0
		.amdhsa_enable_private_segment 0
		.amdhsa_system_sgpr_workgroup_id_x 1
		.amdhsa_system_sgpr_workgroup_id_y 0
		.amdhsa_system_sgpr_workgroup_id_z 0
		.amdhsa_system_sgpr_workgroup_info 0
		.amdhsa_system_vgpr_workitem_id 0
		.amdhsa_next_free_vgpr 1
		.amdhsa_next_free_sgpr 1
		.amdhsa_reserve_vcc 0
		.amdhsa_float_round_mode_32 0
		.amdhsa_float_round_mode_16_64 0
		.amdhsa_float_denorm_mode_32 3
		.amdhsa_float_denorm_mode_16_64 3
		.amdhsa_fp16_overflow 0
		.amdhsa_workgroup_processor_mode 1
		.amdhsa_memory_ordered 1
		.amdhsa_forward_progress 1
		.amdhsa_inst_pref_size 0
		.amdhsa_round_robin_scheduling 0
		.amdhsa_exception_fp_ieee_invalid_op 0
		.amdhsa_exception_fp_denorm_src 0
		.amdhsa_exception_fp_ieee_div_zero 0
		.amdhsa_exception_fp_ieee_overflow 0
		.amdhsa_exception_fp_ieee_underflow 0
		.amdhsa_exception_fp_ieee_inexact 0
		.amdhsa_exception_int_div_zero 0
	.end_amdhsa_kernel
	.section	.text._ZN7rocprim17ROCPRIM_400000_NS6detail17trampoline_kernelINS0_13select_configILj256ELj13ELNS0_17block_load_methodE3ELS4_3ELS4_3ELNS0_20block_scan_algorithmE0ELj4294967295EEENS1_25partition_config_selectorILNS1_17partition_subalgoE3EjNS0_10empty_typeEbEEZZNS1_14partition_implILS8_3ELb0ES6_jNS0_17counting_iteratorIjlEEPS9_SE_NS0_5tupleIJPjSE_EEENSF_IJSE_SE_EEES9_SG_JZNS1_25segmented_radix_sort_implINS0_14default_configELb0EPK12hip_bfloat16PSL_PKlPlN2at6native12_GLOBAL__N_18offset_tEEE10hipError_tPvRmT1_PNSt15iterator_traitsISZ_E10value_typeET2_T3_PNS10_IS15_E10value_typeET4_jRbjT5_S1B_jjP12ihipStream_tbEUljE_EEESW_SX_SY_S15_S19_S1B_T6_T7_T9_mT8_S1D_bDpT10_ENKUlT_T0_E_clISt17integral_constantIbLb0EES1P_IbLb1EEEEDaS1L_S1M_EUlS1L_E_NS1_11comp_targetILNS1_3genE5ELNS1_11target_archE942ELNS1_3gpuE9ELNS1_3repE0EEENS1_30default_config_static_selectorELNS0_4arch9wavefront6targetE0EEEvSZ_,"axG",@progbits,_ZN7rocprim17ROCPRIM_400000_NS6detail17trampoline_kernelINS0_13select_configILj256ELj13ELNS0_17block_load_methodE3ELS4_3ELS4_3ELNS0_20block_scan_algorithmE0ELj4294967295EEENS1_25partition_config_selectorILNS1_17partition_subalgoE3EjNS0_10empty_typeEbEEZZNS1_14partition_implILS8_3ELb0ES6_jNS0_17counting_iteratorIjlEEPS9_SE_NS0_5tupleIJPjSE_EEENSF_IJSE_SE_EEES9_SG_JZNS1_25segmented_radix_sort_implINS0_14default_configELb0EPK12hip_bfloat16PSL_PKlPlN2at6native12_GLOBAL__N_18offset_tEEE10hipError_tPvRmT1_PNSt15iterator_traitsISZ_E10value_typeET2_T3_PNS10_IS15_E10value_typeET4_jRbjT5_S1B_jjP12ihipStream_tbEUljE_EEESW_SX_SY_S15_S19_S1B_T6_T7_T9_mT8_S1D_bDpT10_ENKUlT_T0_E_clISt17integral_constantIbLb0EES1P_IbLb1EEEEDaS1L_S1M_EUlS1L_E_NS1_11comp_targetILNS1_3genE5ELNS1_11target_archE942ELNS1_3gpuE9ELNS1_3repE0EEENS1_30default_config_static_selectorELNS0_4arch9wavefront6targetE0EEEvSZ_,comdat
.Lfunc_end2042:
	.size	_ZN7rocprim17ROCPRIM_400000_NS6detail17trampoline_kernelINS0_13select_configILj256ELj13ELNS0_17block_load_methodE3ELS4_3ELS4_3ELNS0_20block_scan_algorithmE0ELj4294967295EEENS1_25partition_config_selectorILNS1_17partition_subalgoE3EjNS0_10empty_typeEbEEZZNS1_14partition_implILS8_3ELb0ES6_jNS0_17counting_iteratorIjlEEPS9_SE_NS0_5tupleIJPjSE_EEENSF_IJSE_SE_EEES9_SG_JZNS1_25segmented_radix_sort_implINS0_14default_configELb0EPK12hip_bfloat16PSL_PKlPlN2at6native12_GLOBAL__N_18offset_tEEE10hipError_tPvRmT1_PNSt15iterator_traitsISZ_E10value_typeET2_T3_PNS10_IS15_E10value_typeET4_jRbjT5_S1B_jjP12ihipStream_tbEUljE_EEESW_SX_SY_S15_S19_S1B_T6_T7_T9_mT8_S1D_bDpT10_ENKUlT_T0_E_clISt17integral_constantIbLb0EES1P_IbLb1EEEEDaS1L_S1M_EUlS1L_E_NS1_11comp_targetILNS1_3genE5ELNS1_11target_archE942ELNS1_3gpuE9ELNS1_3repE0EEENS1_30default_config_static_selectorELNS0_4arch9wavefront6targetE0EEEvSZ_, .Lfunc_end2042-_ZN7rocprim17ROCPRIM_400000_NS6detail17trampoline_kernelINS0_13select_configILj256ELj13ELNS0_17block_load_methodE3ELS4_3ELS4_3ELNS0_20block_scan_algorithmE0ELj4294967295EEENS1_25partition_config_selectorILNS1_17partition_subalgoE3EjNS0_10empty_typeEbEEZZNS1_14partition_implILS8_3ELb0ES6_jNS0_17counting_iteratorIjlEEPS9_SE_NS0_5tupleIJPjSE_EEENSF_IJSE_SE_EEES9_SG_JZNS1_25segmented_radix_sort_implINS0_14default_configELb0EPK12hip_bfloat16PSL_PKlPlN2at6native12_GLOBAL__N_18offset_tEEE10hipError_tPvRmT1_PNSt15iterator_traitsISZ_E10value_typeET2_T3_PNS10_IS15_E10value_typeET4_jRbjT5_S1B_jjP12ihipStream_tbEUljE_EEESW_SX_SY_S15_S19_S1B_T6_T7_T9_mT8_S1D_bDpT10_ENKUlT_T0_E_clISt17integral_constantIbLb0EES1P_IbLb1EEEEDaS1L_S1M_EUlS1L_E_NS1_11comp_targetILNS1_3genE5ELNS1_11target_archE942ELNS1_3gpuE9ELNS1_3repE0EEENS1_30default_config_static_selectorELNS0_4arch9wavefront6targetE0EEEvSZ_
                                        ; -- End function
	.set _ZN7rocprim17ROCPRIM_400000_NS6detail17trampoline_kernelINS0_13select_configILj256ELj13ELNS0_17block_load_methodE3ELS4_3ELS4_3ELNS0_20block_scan_algorithmE0ELj4294967295EEENS1_25partition_config_selectorILNS1_17partition_subalgoE3EjNS0_10empty_typeEbEEZZNS1_14partition_implILS8_3ELb0ES6_jNS0_17counting_iteratorIjlEEPS9_SE_NS0_5tupleIJPjSE_EEENSF_IJSE_SE_EEES9_SG_JZNS1_25segmented_radix_sort_implINS0_14default_configELb0EPK12hip_bfloat16PSL_PKlPlN2at6native12_GLOBAL__N_18offset_tEEE10hipError_tPvRmT1_PNSt15iterator_traitsISZ_E10value_typeET2_T3_PNS10_IS15_E10value_typeET4_jRbjT5_S1B_jjP12ihipStream_tbEUljE_EEESW_SX_SY_S15_S19_S1B_T6_T7_T9_mT8_S1D_bDpT10_ENKUlT_T0_E_clISt17integral_constantIbLb0EES1P_IbLb1EEEEDaS1L_S1M_EUlS1L_E_NS1_11comp_targetILNS1_3genE5ELNS1_11target_archE942ELNS1_3gpuE9ELNS1_3repE0EEENS1_30default_config_static_selectorELNS0_4arch9wavefront6targetE0EEEvSZ_.num_vgpr, 0
	.set _ZN7rocprim17ROCPRIM_400000_NS6detail17trampoline_kernelINS0_13select_configILj256ELj13ELNS0_17block_load_methodE3ELS4_3ELS4_3ELNS0_20block_scan_algorithmE0ELj4294967295EEENS1_25partition_config_selectorILNS1_17partition_subalgoE3EjNS0_10empty_typeEbEEZZNS1_14partition_implILS8_3ELb0ES6_jNS0_17counting_iteratorIjlEEPS9_SE_NS0_5tupleIJPjSE_EEENSF_IJSE_SE_EEES9_SG_JZNS1_25segmented_radix_sort_implINS0_14default_configELb0EPK12hip_bfloat16PSL_PKlPlN2at6native12_GLOBAL__N_18offset_tEEE10hipError_tPvRmT1_PNSt15iterator_traitsISZ_E10value_typeET2_T3_PNS10_IS15_E10value_typeET4_jRbjT5_S1B_jjP12ihipStream_tbEUljE_EEESW_SX_SY_S15_S19_S1B_T6_T7_T9_mT8_S1D_bDpT10_ENKUlT_T0_E_clISt17integral_constantIbLb0EES1P_IbLb1EEEEDaS1L_S1M_EUlS1L_E_NS1_11comp_targetILNS1_3genE5ELNS1_11target_archE942ELNS1_3gpuE9ELNS1_3repE0EEENS1_30default_config_static_selectorELNS0_4arch9wavefront6targetE0EEEvSZ_.num_agpr, 0
	.set _ZN7rocprim17ROCPRIM_400000_NS6detail17trampoline_kernelINS0_13select_configILj256ELj13ELNS0_17block_load_methodE3ELS4_3ELS4_3ELNS0_20block_scan_algorithmE0ELj4294967295EEENS1_25partition_config_selectorILNS1_17partition_subalgoE3EjNS0_10empty_typeEbEEZZNS1_14partition_implILS8_3ELb0ES6_jNS0_17counting_iteratorIjlEEPS9_SE_NS0_5tupleIJPjSE_EEENSF_IJSE_SE_EEES9_SG_JZNS1_25segmented_radix_sort_implINS0_14default_configELb0EPK12hip_bfloat16PSL_PKlPlN2at6native12_GLOBAL__N_18offset_tEEE10hipError_tPvRmT1_PNSt15iterator_traitsISZ_E10value_typeET2_T3_PNS10_IS15_E10value_typeET4_jRbjT5_S1B_jjP12ihipStream_tbEUljE_EEESW_SX_SY_S15_S19_S1B_T6_T7_T9_mT8_S1D_bDpT10_ENKUlT_T0_E_clISt17integral_constantIbLb0EES1P_IbLb1EEEEDaS1L_S1M_EUlS1L_E_NS1_11comp_targetILNS1_3genE5ELNS1_11target_archE942ELNS1_3gpuE9ELNS1_3repE0EEENS1_30default_config_static_selectorELNS0_4arch9wavefront6targetE0EEEvSZ_.numbered_sgpr, 0
	.set _ZN7rocprim17ROCPRIM_400000_NS6detail17trampoline_kernelINS0_13select_configILj256ELj13ELNS0_17block_load_methodE3ELS4_3ELS4_3ELNS0_20block_scan_algorithmE0ELj4294967295EEENS1_25partition_config_selectorILNS1_17partition_subalgoE3EjNS0_10empty_typeEbEEZZNS1_14partition_implILS8_3ELb0ES6_jNS0_17counting_iteratorIjlEEPS9_SE_NS0_5tupleIJPjSE_EEENSF_IJSE_SE_EEES9_SG_JZNS1_25segmented_radix_sort_implINS0_14default_configELb0EPK12hip_bfloat16PSL_PKlPlN2at6native12_GLOBAL__N_18offset_tEEE10hipError_tPvRmT1_PNSt15iterator_traitsISZ_E10value_typeET2_T3_PNS10_IS15_E10value_typeET4_jRbjT5_S1B_jjP12ihipStream_tbEUljE_EEESW_SX_SY_S15_S19_S1B_T6_T7_T9_mT8_S1D_bDpT10_ENKUlT_T0_E_clISt17integral_constantIbLb0EES1P_IbLb1EEEEDaS1L_S1M_EUlS1L_E_NS1_11comp_targetILNS1_3genE5ELNS1_11target_archE942ELNS1_3gpuE9ELNS1_3repE0EEENS1_30default_config_static_selectorELNS0_4arch9wavefront6targetE0EEEvSZ_.num_named_barrier, 0
	.set _ZN7rocprim17ROCPRIM_400000_NS6detail17trampoline_kernelINS0_13select_configILj256ELj13ELNS0_17block_load_methodE3ELS4_3ELS4_3ELNS0_20block_scan_algorithmE0ELj4294967295EEENS1_25partition_config_selectorILNS1_17partition_subalgoE3EjNS0_10empty_typeEbEEZZNS1_14partition_implILS8_3ELb0ES6_jNS0_17counting_iteratorIjlEEPS9_SE_NS0_5tupleIJPjSE_EEENSF_IJSE_SE_EEES9_SG_JZNS1_25segmented_radix_sort_implINS0_14default_configELb0EPK12hip_bfloat16PSL_PKlPlN2at6native12_GLOBAL__N_18offset_tEEE10hipError_tPvRmT1_PNSt15iterator_traitsISZ_E10value_typeET2_T3_PNS10_IS15_E10value_typeET4_jRbjT5_S1B_jjP12ihipStream_tbEUljE_EEESW_SX_SY_S15_S19_S1B_T6_T7_T9_mT8_S1D_bDpT10_ENKUlT_T0_E_clISt17integral_constantIbLb0EES1P_IbLb1EEEEDaS1L_S1M_EUlS1L_E_NS1_11comp_targetILNS1_3genE5ELNS1_11target_archE942ELNS1_3gpuE9ELNS1_3repE0EEENS1_30default_config_static_selectorELNS0_4arch9wavefront6targetE0EEEvSZ_.private_seg_size, 0
	.set _ZN7rocprim17ROCPRIM_400000_NS6detail17trampoline_kernelINS0_13select_configILj256ELj13ELNS0_17block_load_methodE3ELS4_3ELS4_3ELNS0_20block_scan_algorithmE0ELj4294967295EEENS1_25partition_config_selectorILNS1_17partition_subalgoE3EjNS0_10empty_typeEbEEZZNS1_14partition_implILS8_3ELb0ES6_jNS0_17counting_iteratorIjlEEPS9_SE_NS0_5tupleIJPjSE_EEENSF_IJSE_SE_EEES9_SG_JZNS1_25segmented_radix_sort_implINS0_14default_configELb0EPK12hip_bfloat16PSL_PKlPlN2at6native12_GLOBAL__N_18offset_tEEE10hipError_tPvRmT1_PNSt15iterator_traitsISZ_E10value_typeET2_T3_PNS10_IS15_E10value_typeET4_jRbjT5_S1B_jjP12ihipStream_tbEUljE_EEESW_SX_SY_S15_S19_S1B_T6_T7_T9_mT8_S1D_bDpT10_ENKUlT_T0_E_clISt17integral_constantIbLb0EES1P_IbLb1EEEEDaS1L_S1M_EUlS1L_E_NS1_11comp_targetILNS1_3genE5ELNS1_11target_archE942ELNS1_3gpuE9ELNS1_3repE0EEENS1_30default_config_static_selectorELNS0_4arch9wavefront6targetE0EEEvSZ_.uses_vcc, 0
	.set _ZN7rocprim17ROCPRIM_400000_NS6detail17trampoline_kernelINS0_13select_configILj256ELj13ELNS0_17block_load_methodE3ELS4_3ELS4_3ELNS0_20block_scan_algorithmE0ELj4294967295EEENS1_25partition_config_selectorILNS1_17partition_subalgoE3EjNS0_10empty_typeEbEEZZNS1_14partition_implILS8_3ELb0ES6_jNS0_17counting_iteratorIjlEEPS9_SE_NS0_5tupleIJPjSE_EEENSF_IJSE_SE_EEES9_SG_JZNS1_25segmented_radix_sort_implINS0_14default_configELb0EPK12hip_bfloat16PSL_PKlPlN2at6native12_GLOBAL__N_18offset_tEEE10hipError_tPvRmT1_PNSt15iterator_traitsISZ_E10value_typeET2_T3_PNS10_IS15_E10value_typeET4_jRbjT5_S1B_jjP12ihipStream_tbEUljE_EEESW_SX_SY_S15_S19_S1B_T6_T7_T9_mT8_S1D_bDpT10_ENKUlT_T0_E_clISt17integral_constantIbLb0EES1P_IbLb1EEEEDaS1L_S1M_EUlS1L_E_NS1_11comp_targetILNS1_3genE5ELNS1_11target_archE942ELNS1_3gpuE9ELNS1_3repE0EEENS1_30default_config_static_selectorELNS0_4arch9wavefront6targetE0EEEvSZ_.uses_flat_scratch, 0
	.set _ZN7rocprim17ROCPRIM_400000_NS6detail17trampoline_kernelINS0_13select_configILj256ELj13ELNS0_17block_load_methodE3ELS4_3ELS4_3ELNS0_20block_scan_algorithmE0ELj4294967295EEENS1_25partition_config_selectorILNS1_17partition_subalgoE3EjNS0_10empty_typeEbEEZZNS1_14partition_implILS8_3ELb0ES6_jNS0_17counting_iteratorIjlEEPS9_SE_NS0_5tupleIJPjSE_EEENSF_IJSE_SE_EEES9_SG_JZNS1_25segmented_radix_sort_implINS0_14default_configELb0EPK12hip_bfloat16PSL_PKlPlN2at6native12_GLOBAL__N_18offset_tEEE10hipError_tPvRmT1_PNSt15iterator_traitsISZ_E10value_typeET2_T3_PNS10_IS15_E10value_typeET4_jRbjT5_S1B_jjP12ihipStream_tbEUljE_EEESW_SX_SY_S15_S19_S1B_T6_T7_T9_mT8_S1D_bDpT10_ENKUlT_T0_E_clISt17integral_constantIbLb0EES1P_IbLb1EEEEDaS1L_S1M_EUlS1L_E_NS1_11comp_targetILNS1_3genE5ELNS1_11target_archE942ELNS1_3gpuE9ELNS1_3repE0EEENS1_30default_config_static_selectorELNS0_4arch9wavefront6targetE0EEEvSZ_.has_dyn_sized_stack, 0
	.set _ZN7rocprim17ROCPRIM_400000_NS6detail17trampoline_kernelINS0_13select_configILj256ELj13ELNS0_17block_load_methodE3ELS4_3ELS4_3ELNS0_20block_scan_algorithmE0ELj4294967295EEENS1_25partition_config_selectorILNS1_17partition_subalgoE3EjNS0_10empty_typeEbEEZZNS1_14partition_implILS8_3ELb0ES6_jNS0_17counting_iteratorIjlEEPS9_SE_NS0_5tupleIJPjSE_EEENSF_IJSE_SE_EEES9_SG_JZNS1_25segmented_radix_sort_implINS0_14default_configELb0EPK12hip_bfloat16PSL_PKlPlN2at6native12_GLOBAL__N_18offset_tEEE10hipError_tPvRmT1_PNSt15iterator_traitsISZ_E10value_typeET2_T3_PNS10_IS15_E10value_typeET4_jRbjT5_S1B_jjP12ihipStream_tbEUljE_EEESW_SX_SY_S15_S19_S1B_T6_T7_T9_mT8_S1D_bDpT10_ENKUlT_T0_E_clISt17integral_constantIbLb0EES1P_IbLb1EEEEDaS1L_S1M_EUlS1L_E_NS1_11comp_targetILNS1_3genE5ELNS1_11target_archE942ELNS1_3gpuE9ELNS1_3repE0EEENS1_30default_config_static_selectorELNS0_4arch9wavefront6targetE0EEEvSZ_.has_recursion, 0
	.set _ZN7rocprim17ROCPRIM_400000_NS6detail17trampoline_kernelINS0_13select_configILj256ELj13ELNS0_17block_load_methodE3ELS4_3ELS4_3ELNS0_20block_scan_algorithmE0ELj4294967295EEENS1_25partition_config_selectorILNS1_17partition_subalgoE3EjNS0_10empty_typeEbEEZZNS1_14partition_implILS8_3ELb0ES6_jNS0_17counting_iteratorIjlEEPS9_SE_NS0_5tupleIJPjSE_EEENSF_IJSE_SE_EEES9_SG_JZNS1_25segmented_radix_sort_implINS0_14default_configELb0EPK12hip_bfloat16PSL_PKlPlN2at6native12_GLOBAL__N_18offset_tEEE10hipError_tPvRmT1_PNSt15iterator_traitsISZ_E10value_typeET2_T3_PNS10_IS15_E10value_typeET4_jRbjT5_S1B_jjP12ihipStream_tbEUljE_EEESW_SX_SY_S15_S19_S1B_T6_T7_T9_mT8_S1D_bDpT10_ENKUlT_T0_E_clISt17integral_constantIbLb0EES1P_IbLb1EEEEDaS1L_S1M_EUlS1L_E_NS1_11comp_targetILNS1_3genE5ELNS1_11target_archE942ELNS1_3gpuE9ELNS1_3repE0EEENS1_30default_config_static_selectorELNS0_4arch9wavefront6targetE0EEEvSZ_.has_indirect_call, 0
	.section	.AMDGPU.csdata,"",@progbits
; Kernel info:
; codeLenInByte = 0
; TotalNumSgprs: 0
; NumVgprs: 0
; ScratchSize: 0
; MemoryBound: 0
; FloatMode: 240
; IeeeMode: 1
; LDSByteSize: 0 bytes/workgroup (compile time only)
; SGPRBlocks: 0
; VGPRBlocks: 0
; NumSGPRsForWavesPerEU: 1
; NumVGPRsForWavesPerEU: 1
; Occupancy: 16
; WaveLimiterHint : 0
; COMPUTE_PGM_RSRC2:SCRATCH_EN: 0
; COMPUTE_PGM_RSRC2:USER_SGPR: 2
; COMPUTE_PGM_RSRC2:TRAP_HANDLER: 0
; COMPUTE_PGM_RSRC2:TGID_X_EN: 1
; COMPUTE_PGM_RSRC2:TGID_Y_EN: 0
; COMPUTE_PGM_RSRC2:TGID_Z_EN: 0
; COMPUTE_PGM_RSRC2:TIDIG_COMP_CNT: 0
	.section	.text._ZN7rocprim17ROCPRIM_400000_NS6detail17trampoline_kernelINS0_13select_configILj256ELj13ELNS0_17block_load_methodE3ELS4_3ELS4_3ELNS0_20block_scan_algorithmE0ELj4294967295EEENS1_25partition_config_selectorILNS1_17partition_subalgoE3EjNS0_10empty_typeEbEEZZNS1_14partition_implILS8_3ELb0ES6_jNS0_17counting_iteratorIjlEEPS9_SE_NS0_5tupleIJPjSE_EEENSF_IJSE_SE_EEES9_SG_JZNS1_25segmented_radix_sort_implINS0_14default_configELb0EPK12hip_bfloat16PSL_PKlPlN2at6native12_GLOBAL__N_18offset_tEEE10hipError_tPvRmT1_PNSt15iterator_traitsISZ_E10value_typeET2_T3_PNS10_IS15_E10value_typeET4_jRbjT5_S1B_jjP12ihipStream_tbEUljE_EEESW_SX_SY_S15_S19_S1B_T6_T7_T9_mT8_S1D_bDpT10_ENKUlT_T0_E_clISt17integral_constantIbLb0EES1P_IbLb1EEEEDaS1L_S1M_EUlS1L_E_NS1_11comp_targetILNS1_3genE4ELNS1_11target_archE910ELNS1_3gpuE8ELNS1_3repE0EEENS1_30default_config_static_selectorELNS0_4arch9wavefront6targetE0EEEvSZ_,"axG",@progbits,_ZN7rocprim17ROCPRIM_400000_NS6detail17trampoline_kernelINS0_13select_configILj256ELj13ELNS0_17block_load_methodE3ELS4_3ELS4_3ELNS0_20block_scan_algorithmE0ELj4294967295EEENS1_25partition_config_selectorILNS1_17partition_subalgoE3EjNS0_10empty_typeEbEEZZNS1_14partition_implILS8_3ELb0ES6_jNS0_17counting_iteratorIjlEEPS9_SE_NS0_5tupleIJPjSE_EEENSF_IJSE_SE_EEES9_SG_JZNS1_25segmented_radix_sort_implINS0_14default_configELb0EPK12hip_bfloat16PSL_PKlPlN2at6native12_GLOBAL__N_18offset_tEEE10hipError_tPvRmT1_PNSt15iterator_traitsISZ_E10value_typeET2_T3_PNS10_IS15_E10value_typeET4_jRbjT5_S1B_jjP12ihipStream_tbEUljE_EEESW_SX_SY_S15_S19_S1B_T6_T7_T9_mT8_S1D_bDpT10_ENKUlT_T0_E_clISt17integral_constantIbLb0EES1P_IbLb1EEEEDaS1L_S1M_EUlS1L_E_NS1_11comp_targetILNS1_3genE4ELNS1_11target_archE910ELNS1_3gpuE8ELNS1_3repE0EEENS1_30default_config_static_selectorELNS0_4arch9wavefront6targetE0EEEvSZ_,comdat
	.globl	_ZN7rocprim17ROCPRIM_400000_NS6detail17trampoline_kernelINS0_13select_configILj256ELj13ELNS0_17block_load_methodE3ELS4_3ELS4_3ELNS0_20block_scan_algorithmE0ELj4294967295EEENS1_25partition_config_selectorILNS1_17partition_subalgoE3EjNS0_10empty_typeEbEEZZNS1_14partition_implILS8_3ELb0ES6_jNS0_17counting_iteratorIjlEEPS9_SE_NS0_5tupleIJPjSE_EEENSF_IJSE_SE_EEES9_SG_JZNS1_25segmented_radix_sort_implINS0_14default_configELb0EPK12hip_bfloat16PSL_PKlPlN2at6native12_GLOBAL__N_18offset_tEEE10hipError_tPvRmT1_PNSt15iterator_traitsISZ_E10value_typeET2_T3_PNS10_IS15_E10value_typeET4_jRbjT5_S1B_jjP12ihipStream_tbEUljE_EEESW_SX_SY_S15_S19_S1B_T6_T7_T9_mT8_S1D_bDpT10_ENKUlT_T0_E_clISt17integral_constantIbLb0EES1P_IbLb1EEEEDaS1L_S1M_EUlS1L_E_NS1_11comp_targetILNS1_3genE4ELNS1_11target_archE910ELNS1_3gpuE8ELNS1_3repE0EEENS1_30default_config_static_selectorELNS0_4arch9wavefront6targetE0EEEvSZ_ ; -- Begin function _ZN7rocprim17ROCPRIM_400000_NS6detail17trampoline_kernelINS0_13select_configILj256ELj13ELNS0_17block_load_methodE3ELS4_3ELS4_3ELNS0_20block_scan_algorithmE0ELj4294967295EEENS1_25partition_config_selectorILNS1_17partition_subalgoE3EjNS0_10empty_typeEbEEZZNS1_14partition_implILS8_3ELb0ES6_jNS0_17counting_iteratorIjlEEPS9_SE_NS0_5tupleIJPjSE_EEENSF_IJSE_SE_EEES9_SG_JZNS1_25segmented_radix_sort_implINS0_14default_configELb0EPK12hip_bfloat16PSL_PKlPlN2at6native12_GLOBAL__N_18offset_tEEE10hipError_tPvRmT1_PNSt15iterator_traitsISZ_E10value_typeET2_T3_PNS10_IS15_E10value_typeET4_jRbjT5_S1B_jjP12ihipStream_tbEUljE_EEESW_SX_SY_S15_S19_S1B_T6_T7_T9_mT8_S1D_bDpT10_ENKUlT_T0_E_clISt17integral_constantIbLb0EES1P_IbLb1EEEEDaS1L_S1M_EUlS1L_E_NS1_11comp_targetILNS1_3genE4ELNS1_11target_archE910ELNS1_3gpuE8ELNS1_3repE0EEENS1_30default_config_static_selectorELNS0_4arch9wavefront6targetE0EEEvSZ_
	.p2align	8
	.type	_ZN7rocprim17ROCPRIM_400000_NS6detail17trampoline_kernelINS0_13select_configILj256ELj13ELNS0_17block_load_methodE3ELS4_3ELS4_3ELNS0_20block_scan_algorithmE0ELj4294967295EEENS1_25partition_config_selectorILNS1_17partition_subalgoE3EjNS0_10empty_typeEbEEZZNS1_14partition_implILS8_3ELb0ES6_jNS0_17counting_iteratorIjlEEPS9_SE_NS0_5tupleIJPjSE_EEENSF_IJSE_SE_EEES9_SG_JZNS1_25segmented_radix_sort_implINS0_14default_configELb0EPK12hip_bfloat16PSL_PKlPlN2at6native12_GLOBAL__N_18offset_tEEE10hipError_tPvRmT1_PNSt15iterator_traitsISZ_E10value_typeET2_T3_PNS10_IS15_E10value_typeET4_jRbjT5_S1B_jjP12ihipStream_tbEUljE_EEESW_SX_SY_S15_S19_S1B_T6_T7_T9_mT8_S1D_bDpT10_ENKUlT_T0_E_clISt17integral_constantIbLb0EES1P_IbLb1EEEEDaS1L_S1M_EUlS1L_E_NS1_11comp_targetILNS1_3genE4ELNS1_11target_archE910ELNS1_3gpuE8ELNS1_3repE0EEENS1_30default_config_static_selectorELNS0_4arch9wavefront6targetE0EEEvSZ_,@function
_ZN7rocprim17ROCPRIM_400000_NS6detail17trampoline_kernelINS0_13select_configILj256ELj13ELNS0_17block_load_methodE3ELS4_3ELS4_3ELNS0_20block_scan_algorithmE0ELj4294967295EEENS1_25partition_config_selectorILNS1_17partition_subalgoE3EjNS0_10empty_typeEbEEZZNS1_14partition_implILS8_3ELb0ES6_jNS0_17counting_iteratorIjlEEPS9_SE_NS0_5tupleIJPjSE_EEENSF_IJSE_SE_EEES9_SG_JZNS1_25segmented_radix_sort_implINS0_14default_configELb0EPK12hip_bfloat16PSL_PKlPlN2at6native12_GLOBAL__N_18offset_tEEE10hipError_tPvRmT1_PNSt15iterator_traitsISZ_E10value_typeET2_T3_PNS10_IS15_E10value_typeET4_jRbjT5_S1B_jjP12ihipStream_tbEUljE_EEESW_SX_SY_S15_S19_S1B_T6_T7_T9_mT8_S1D_bDpT10_ENKUlT_T0_E_clISt17integral_constantIbLb0EES1P_IbLb1EEEEDaS1L_S1M_EUlS1L_E_NS1_11comp_targetILNS1_3genE4ELNS1_11target_archE910ELNS1_3gpuE8ELNS1_3repE0EEENS1_30default_config_static_selectorELNS0_4arch9wavefront6targetE0EEEvSZ_: ; @_ZN7rocprim17ROCPRIM_400000_NS6detail17trampoline_kernelINS0_13select_configILj256ELj13ELNS0_17block_load_methodE3ELS4_3ELS4_3ELNS0_20block_scan_algorithmE0ELj4294967295EEENS1_25partition_config_selectorILNS1_17partition_subalgoE3EjNS0_10empty_typeEbEEZZNS1_14partition_implILS8_3ELb0ES6_jNS0_17counting_iteratorIjlEEPS9_SE_NS0_5tupleIJPjSE_EEENSF_IJSE_SE_EEES9_SG_JZNS1_25segmented_radix_sort_implINS0_14default_configELb0EPK12hip_bfloat16PSL_PKlPlN2at6native12_GLOBAL__N_18offset_tEEE10hipError_tPvRmT1_PNSt15iterator_traitsISZ_E10value_typeET2_T3_PNS10_IS15_E10value_typeET4_jRbjT5_S1B_jjP12ihipStream_tbEUljE_EEESW_SX_SY_S15_S19_S1B_T6_T7_T9_mT8_S1D_bDpT10_ENKUlT_T0_E_clISt17integral_constantIbLb0EES1P_IbLb1EEEEDaS1L_S1M_EUlS1L_E_NS1_11comp_targetILNS1_3genE4ELNS1_11target_archE910ELNS1_3gpuE8ELNS1_3repE0EEENS1_30default_config_static_selectorELNS0_4arch9wavefront6targetE0EEEvSZ_
; %bb.0:
	.section	.rodata,"a",@progbits
	.p2align	6, 0x0
	.amdhsa_kernel _ZN7rocprim17ROCPRIM_400000_NS6detail17trampoline_kernelINS0_13select_configILj256ELj13ELNS0_17block_load_methodE3ELS4_3ELS4_3ELNS0_20block_scan_algorithmE0ELj4294967295EEENS1_25partition_config_selectorILNS1_17partition_subalgoE3EjNS0_10empty_typeEbEEZZNS1_14partition_implILS8_3ELb0ES6_jNS0_17counting_iteratorIjlEEPS9_SE_NS0_5tupleIJPjSE_EEENSF_IJSE_SE_EEES9_SG_JZNS1_25segmented_radix_sort_implINS0_14default_configELb0EPK12hip_bfloat16PSL_PKlPlN2at6native12_GLOBAL__N_18offset_tEEE10hipError_tPvRmT1_PNSt15iterator_traitsISZ_E10value_typeET2_T3_PNS10_IS15_E10value_typeET4_jRbjT5_S1B_jjP12ihipStream_tbEUljE_EEESW_SX_SY_S15_S19_S1B_T6_T7_T9_mT8_S1D_bDpT10_ENKUlT_T0_E_clISt17integral_constantIbLb0EES1P_IbLb1EEEEDaS1L_S1M_EUlS1L_E_NS1_11comp_targetILNS1_3genE4ELNS1_11target_archE910ELNS1_3gpuE8ELNS1_3repE0EEENS1_30default_config_static_selectorELNS0_4arch9wavefront6targetE0EEEvSZ_
		.amdhsa_group_segment_fixed_size 0
		.amdhsa_private_segment_fixed_size 0
		.amdhsa_kernarg_size 152
		.amdhsa_user_sgpr_count 2
		.amdhsa_user_sgpr_dispatch_ptr 0
		.amdhsa_user_sgpr_queue_ptr 0
		.amdhsa_user_sgpr_kernarg_segment_ptr 1
		.amdhsa_user_sgpr_dispatch_id 0
		.amdhsa_user_sgpr_private_segment_size 0
		.amdhsa_wavefront_size32 1
		.amdhsa_uses_dynamic_stack 0
		.amdhsa_enable_private_segment 0
		.amdhsa_system_sgpr_workgroup_id_x 1
		.amdhsa_system_sgpr_workgroup_id_y 0
		.amdhsa_system_sgpr_workgroup_id_z 0
		.amdhsa_system_sgpr_workgroup_info 0
		.amdhsa_system_vgpr_workitem_id 0
		.amdhsa_next_free_vgpr 1
		.amdhsa_next_free_sgpr 1
		.amdhsa_reserve_vcc 0
		.amdhsa_float_round_mode_32 0
		.amdhsa_float_round_mode_16_64 0
		.amdhsa_float_denorm_mode_32 3
		.amdhsa_float_denorm_mode_16_64 3
		.amdhsa_fp16_overflow 0
		.amdhsa_workgroup_processor_mode 1
		.amdhsa_memory_ordered 1
		.amdhsa_forward_progress 1
		.amdhsa_inst_pref_size 0
		.amdhsa_round_robin_scheduling 0
		.amdhsa_exception_fp_ieee_invalid_op 0
		.amdhsa_exception_fp_denorm_src 0
		.amdhsa_exception_fp_ieee_div_zero 0
		.amdhsa_exception_fp_ieee_overflow 0
		.amdhsa_exception_fp_ieee_underflow 0
		.amdhsa_exception_fp_ieee_inexact 0
		.amdhsa_exception_int_div_zero 0
	.end_amdhsa_kernel
	.section	.text._ZN7rocprim17ROCPRIM_400000_NS6detail17trampoline_kernelINS0_13select_configILj256ELj13ELNS0_17block_load_methodE3ELS4_3ELS4_3ELNS0_20block_scan_algorithmE0ELj4294967295EEENS1_25partition_config_selectorILNS1_17partition_subalgoE3EjNS0_10empty_typeEbEEZZNS1_14partition_implILS8_3ELb0ES6_jNS0_17counting_iteratorIjlEEPS9_SE_NS0_5tupleIJPjSE_EEENSF_IJSE_SE_EEES9_SG_JZNS1_25segmented_radix_sort_implINS0_14default_configELb0EPK12hip_bfloat16PSL_PKlPlN2at6native12_GLOBAL__N_18offset_tEEE10hipError_tPvRmT1_PNSt15iterator_traitsISZ_E10value_typeET2_T3_PNS10_IS15_E10value_typeET4_jRbjT5_S1B_jjP12ihipStream_tbEUljE_EEESW_SX_SY_S15_S19_S1B_T6_T7_T9_mT8_S1D_bDpT10_ENKUlT_T0_E_clISt17integral_constantIbLb0EES1P_IbLb1EEEEDaS1L_S1M_EUlS1L_E_NS1_11comp_targetILNS1_3genE4ELNS1_11target_archE910ELNS1_3gpuE8ELNS1_3repE0EEENS1_30default_config_static_selectorELNS0_4arch9wavefront6targetE0EEEvSZ_,"axG",@progbits,_ZN7rocprim17ROCPRIM_400000_NS6detail17trampoline_kernelINS0_13select_configILj256ELj13ELNS0_17block_load_methodE3ELS4_3ELS4_3ELNS0_20block_scan_algorithmE0ELj4294967295EEENS1_25partition_config_selectorILNS1_17partition_subalgoE3EjNS0_10empty_typeEbEEZZNS1_14partition_implILS8_3ELb0ES6_jNS0_17counting_iteratorIjlEEPS9_SE_NS0_5tupleIJPjSE_EEENSF_IJSE_SE_EEES9_SG_JZNS1_25segmented_radix_sort_implINS0_14default_configELb0EPK12hip_bfloat16PSL_PKlPlN2at6native12_GLOBAL__N_18offset_tEEE10hipError_tPvRmT1_PNSt15iterator_traitsISZ_E10value_typeET2_T3_PNS10_IS15_E10value_typeET4_jRbjT5_S1B_jjP12ihipStream_tbEUljE_EEESW_SX_SY_S15_S19_S1B_T6_T7_T9_mT8_S1D_bDpT10_ENKUlT_T0_E_clISt17integral_constantIbLb0EES1P_IbLb1EEEEDaS1L_S1M_EUlS1L_E_NS1_11comp_targetILNS1_3genE4ELNS1_11target_archE910ELNS1_3gpuE8ELNS1_3repE0EEENS1_30default_config_static_selectorELNS0_4arch9wavefront6targetE0EEEvSZ_,comdat
.Lfunc_end2043:
	.size	_ZN7rocprim17ROCPRIM_400000_NS6detail17trampoline_kernelINS0_13select_configILj256ELj13ELNS0_17block_load_methodE3ELS4_3ELS4_3ELNS0_20block_scan_algorithmE0ELj4294967295EEENS1_25partition_config_selectorILNS1_17partition_subalgoE3EjNS0_10empty_typeEbEEZZNS1_14partition_implILS8_3ELb0ES6_jNS0_17counting_iteratorIjlEEPS9_SE_NS0_5tupleIJPjSE_EEENSF_IJSE_SE_EEES9_SG_JZNS1_25segmented_radix_sort_implINS0_14default_configELb0EPK12hip_bfloat16PSL_PKlPlN2at6native12_GLOBAL__N_18offset_tEEE10hipError_tPvRmT1_PNSt15iterator_traitsISZ_E10value_typeET2_T3_PNS10_IS15_E10value_typeET4_jRbjT5_S1B_jjP12ihipStream_tbEUljE_EEESW_SX_SY_S15_S19_S1B_T6_T7_T9_mT8_S1D_bDpT10_ENKUlT_T0_E_clISt17integral_constantIbLb0EES1P_IbLb1EEEEDaS1L_S1M_EUlS1L_E_NS1_11comp_targetILNS1_3genE4ELNS1_11target_archE910ELNS1_3gpuE8ELNS1_3repE0EEENS1_30default_config_static_selectorELNS0_4arch9wavefront6targetE0EEEvSZ_, .Lfunc_end2043-_ZN7rocprim17ROCPRIM_400000_NS6detail17trampoline_kernelINS0_13select_configILj256ELj13ELNS0_17block_load_methodE3ELS4_3ELS4_3ELNS0_20block_scan_algorithmE0ELj4294967295EEENS1_25partition_config_selectorILNS1_17partition_subalgoE3EjNS0_10empty_typeEbEEZZNS1_14partition_implILS8_3ELb0ES6_jNS0_17counting_iteratorIjlEEPS9_SE_NS0_5tupleIJPjSE_EEENSF_IJSE_SE_EEES9_SG_JZNS1_25segmented_radix_sort_implINS0_14default_configELb0EPK12hip_bfloat16PSL_PKlPlN2at6native12_GLOBAL__N_18offset_tEEE10hipError_tPvRmT1_PNSt15iterator_traitsISZ_E10value_typeET2_T3_PNS10_IS15_E10value_typeET4_jRbjT5_S1B_jjP12ihipStream_tbEUljE_EEESW_SX_SY_S15_S19_S1B_T6_T7_T9_mT8_S1D_bDpT10_ENKUlT_T0_E_clISt17integral_constantIbLb0EES1P_IbLb1EEEEDaS1L_S1M_EUlS1L_E_NS1_11comp_targetILNS1_3genE4ELNS1_11target_archE910ELNS1_3gpuE8ELNS1_3repE0EEENS1_30default_config_static_selectorELNS0_4arch9wavefront6targetE0EEEvSZ_
                                        ; -- End function
	.set _ZN7rocprim17ROCPRIM_400000_NS6detail17trampoline_kernelINS0_13select_configILj256ELj13ELNS0_17block_load_methodE3ELS4_3ELS4_3ELNS0_20block_scan_algorithmE0ELj4294967295EEENS1_25partition_config_selectorILNS1_17partition_subalgoE3EjNS0_10empty_typeEbEEZZNS1_14partition_implILS8_3ELb0ES6_jNS0_17counting_iteratorIjlEEPS9_SE_NS0_5tupleIJPjSE_EEENSF_IJSE_SE_EEES9_SG_JZNS1_25segmented_radix_sort_implINS0_14default_configELb0EPK12hip_bfloat16PSL_PKlPlN2at6native12_GLOBAL__N_18offset_tEEE10hipError_tPvRmT1_PNSt15iterator_traitsISZ_E10value_typeET2_T3_PNS10_IS15_E10value_typeET4_jRbjT5_S1B_jjP12ihipStream_tbEUljE_EEESW_SX_SY_S15_S19_S1B_T6_T7_T9_mT8_S1D_bDpT10_ENKUlT_T0_E_clISt17integral_constantIbLb0EES1P_IbLb1EEEEDaS1L_S1M_EUlS1L_E_NS1_11comp_targetILNS1_3genE4ELNS1_11target_archE910ELNS1_3gpuE8ELNS1_3repE0EEENS1_30default_config_static_selectorELNS0_4arch9wavefront6targetE0EEEvSZ_.num_vgpr, 0
	.set _ZN7rocprim17ROCPRIM_400000_NS6detail17trampoline_kernelINS0_13select_configILj256ELj13ELNS0_17block_load_methodE3ELS4_3ELS4_3ELNS0_20block_scan_algorithmE0ELj4294967295EEENS1_25partition_config_selectorILNS1_17partition_subalgoE3EjNS0_10empty_typeEbEEZZNS1_14partition_implILS8_3ELb0ES6_jNS0_17counting_iteratorIjlEEPS9_SE_NS0_5tupleIJPjSE_EEENSF_IJSE_SE_EEES9_SG_JZNS1_25segmented_radix_sort_implINS0_14default_configELb0EPK12hip_bfloat16PSL_PKlPlN2at6native12_GLOBAL__N_18offset_tEEE10hipError_tPvRmT1_PNSt15iterator_traitsISZ_E10value_typeET2_T3_PNS10_IS15_E10value_typeET4_jRbjT5_S1B_jjP12ihipStream_tbEUljE_EEESW_SX_SY_S15_S19_S1B_T6_T7_T9_mT8_S1D_bDpT10_ENKUlT_T0_E_clISt17integral_constantIbLb0EES1P_IbLb1EEEEDaS1L_S1M_EUlS1L_E_NS1_11comp_targetILNS1_3genE4ELNS1_11target_archE910ELNS1_3gpuE8ELNS1_3repE0EEENS1_30default_config_static_selectorELNS0_4arch9wavefront6targetE0EEEvSZ_.num_agpr, 0
	.set _ZN7rocprim17ROCPRIM_400000_NS6detail17trampoline_kernelINS0_13select_configILj256ELj13ELNS0_17block_load_methodE3ELS4_3ELS4_3ELNS0_20block_scan_algorithmE0ELj4294967295EEENS1_25partition_config_selectorILNS1_17partition_subalgoE3EjNS0_10empty_typeEbEEZZNS1_14partition_implILS8_3ELb0ES6_jNS0_17counting_iteratorIjlEEPS9_SE_NS0_5tupleIJPjSE_EEENSF_IJSE_SE_EEES9_SG_JZNS1_25segmented_radix_sort_implINS0_14default_configELb0EPK12hip_bfloat16PSL_PKlPlN2at6native12_GLOBAL__N_18offset_tEEE10hipError_tPvRmT1_PNSt15iterator_traitsISZ_E10value_typeET2_T3_PNS10_IS15_E10value_typeET4_jRbjT5_S1B_jjP12ihipStream_tbEUljE_EEESW_SX_SY_S15_S19_S1B_T6_T7_T9_mT8_S1D_bDpT10_ENKUlT_T0_E_clISt17integral_constantIbLb0EES1P_IbLb1EEEEDaS1L_S1M_EUlS1L_E_NS1_11comp_targetILNS1_3genE4ELNS1_11target_archE910ELNS1_3gpuE8ELNS1_3repE0EEENS1_30default_config_static_selectorELNS0_4arch9wavefront6targetE0EEEvSZ_.numbered_sgpr, 0
	.set _ZN7rocprim17ROCPRIM_400000_NS6detail17trampoline_kernelINS0_13select_configILj256ELj13ELNS0_17block_load_methodE3ELS4_3ELS4_3ELNS0_20block_scan_algorithmE0ELj4294967295EEENS1_25partition_config_selectorILNS1_17partition_subalgoE3EjNS0_10empty_typeEbEEZZNS1_14partition_implILS8_3ELb0ES6_jNS0_17counting_iteratorIjlEEPS9_SE_NS0_5tupleIJPjSE_EEENSF_IJSE_SE_EEES9_SG_JZNS1_25segmented_radix_sort_implINS0_14default_configELb0EPK12hip_bfloat16PSL_PKlPlN2at6native12_GLOBAL__N_18offset_tEEE10hipError_tPvRmT1_PNSt15iterator_traitsISZ_E10value_typeET2_T3_PNS10_IS15_E10value_typeET4_jRbjT5_S1B_jjP12ihipStream_tbEUljE_EEESW_SX_SY_S15_S19_S1B_T6_T7_T9_mT8_S1D_bDpT10_ENKUlT_T0_E_clISt17integral_constantIbLb0EES1P_IbLb1EEEEDaS1L_S1M_EUlS1L_E_NS1_11comp_targetILNS1_3genE4ELNS1_11target_archE910ELNS1_3gpuE8ELNS1_3repE0EEENS1_30default_config_static_selectorELNS0_4arch9wavefront6targetE0EEEvSZ_.num_named_barrier, 0
	.set _ZN7rocprim17ROCPRIM_400000_NS6detail17trampoline_kernelINS0_13select_configILj256ELj13ELNS0_17block_load_methodE3ELS4_3ELS4_3ELNS0_20block_scan_algorithmE0ELj4294967295EEENS1_25partition_config_selectorILNS1_17partition_subalgoE3EjNS0_10empty_typeEbEEZZNS1_14partition_implILS8_3ELb0ES6_jNS0_17counting_iteratorIjlEEPS9_SE_NS0_5tupleIJPjSE_EEENSF_IJSE_SE_EEES9_SG_JZNS1_25segmented_radix_sort_implINS0_14default_configELb0EPK12hip_bfloat16PSL_PKlPlN2at6native12_GLOBAL__N_18offset_tEEE10hipError_tPvRmT1_PNSt15iterator_traitsISZ_E10value_typeET2_T3_PNS10_IS15_E10value_typeET4_jRbjT5_S1B_jjP12ihipStream_tbEUljE_EEESW_SX_SY_S15_S19_S1B_T6_T7_T9_mT8_S1D_bDpT10_ENKUlT_T0_E_clISt17integral_constantIbLb0EES1P_IbLb1EEEEDaS1L_S1M_EUlS1L_E_NS1_11comp_targetILNS1_3genE4ELNS1_11target_archE910ELNS1_3gpuE8ELNS1_3repE0EEENS1_30default_config_static_selectorELNS0_4arch9wavefront6targetE0EEEvSZ_.private_seg_size, 0
	.set _ZN7rocprim17ROCPRIM_400000_NS6detail17trampoline_kernelINS0_13select_configILj256ELj13ELNS0_17block_load_methodE3ELS4_3ELS4_3ELNS0_20block_scan_algorithmE0ELj4294967295EEENS1_25partition_config_selectorILNS1_17partition_subalgoE3EjNS0_10empty_typeEbEEZZNS1_14partition_implILS8_3ELb0ES6_jNS0_17counting_iteratorIjlEEPS9_SE_NS0_5tupleIJPjSE_EEENSF_IJSE_SE_EEES9_SG_JZNS1_25segmented_radix_sort_implINS0_14default_configELb0EPK12hip_bfloat16PSL_PKlPlN2at6native12_GLOBAL__N_18offset_tEEE10hipError_tPvRmT1_PNSt15iterator_traitsISZ_E10value_typeET2_T3_PNS10_IS15_E10value_typeET4_jRbjT5_S1B_jjP12ihipStream_tbEUljE_EEESW_SX_SY_S15_S19_S1B_T6_T7_T9_mT8_S1D_bDpT10_ENKUlT_T0_E_clISt17integral_constantIbLb0EES1P_IbLb1EEEEDaS1L_S1M_EUlS1L_E_NS1_11comp_targetILNS1_3genE4ELNS1_11target_archE910ELNS1_3gpuE8ELNS1_3repE0EEENS1_30default_config_static_selectorELNS0_4arch9wavefront6targetE0EEEvSZ_.uses_vcc, 0
	.set _ZN7rocprim17ROCPRIM_400000_NS6detail17trampoline_kernelINS0_13select_configILj256ELj13ELNS0_17block_load_methodE3ELS4_3ELS4_3ELNS0_20block_scan_algorithmE0ELj4294967295EEENS1_25partition_config_selectorILNS1_17partition_subalgoE3EjNS0_10empty_typeEbEEZZNS1_14partition_implILS8_3ELb0ES6_jNS0_17counting_iteratorIjlEEPS9_SE_NS0_5tupleIJPjSE_EEENSF_IJSE_SE_EEES9_SG_JZNS1_25segmented_radix_sort_implINS0_14default_configELb0EPK12hip_bfloat16PSL_PKlPlN2at6native12_GLOBAL__N_18offset_tEEE10hipError_tPvRmT1_PNSt15iterator_traitsISZ_E10value_typeET2_T3_PNS10_IS15_E10value_typeET4_jRbjT5_S1B_jjP12ihipStream_tbEUljE_EEESW_SX_SY_S15_S19_S1B_T6_T7_T9_mT8_S1D_bDpT10_ENKUlT_T0_E_clISt17integral_constantIbLb0EES1P_IbLb1EEEEDaS1L_S1M_EUlS1L_E_NS1_11comp_targetILNS1_3genE4ELNS1_11target_archE910ELNS1_3gpuE8ELNS1_3repE0EEENS1_30default_config_static_selectorELNS0_4arch9wavefront6targetE0EEEvSZ_.uses_flat_scratch, 0
	.set _ZN7rocprim17ROCPRIM_400000_NS6detail17trampoline_kernelINS0_13select_configILj256ELj13ELNS0_17block_load_methodE3ELS4_3ELS4_3ELNS0_20block_scan_algorithmE0ELj4294967295EEENS1_25partition_config_selectorILNS1_17partition_subalgoE3EjNS0_10empty_typeEbEEZZNS1_14partition_implILS8_3ELb0ES6_jNS0_17counting_iteratorIjlEEPS9_SE_NS0_5tupleIJPjSE_EEENSF_IJSE_SE_EEES9_SG_JZNS1_25segmented_radix_sort_implINS0_14default_configELb0EPK12hip_bfloat16PSL_PKlPlN2at6native12_GLOBAL__N_18offset_tEEE10hipError_tPvRmT1_PNSt15iterator_traitsISZ_E10value_typeET2_T3_PNS10_IS15_E10value_typeET4_jRbjT5_S1B_jjP12ihipStream_tbEUljE_EEESW_SX_SY_S15_S19_S1B_T6_T7_T9_mT8_S1D_bDpT10_ENKUlT_T0_E_clISt17integral_constantIbLb0EES1P_IbLb1EEEEDaS1L_S1M_EUlS1L_E_NS1_11comp_targetILNS1_3genE4ELNS1_11target_archE910ELNS1_3gpuE8ELNS1_3repE0EEENS1_30default_config_static_selectorELNS0_4arch9wavefront6targetE0EEEvSZ_.has_dyn_sized_stack, 0
	.set _ZN7rocprim17ROCPRIM_400000_NS6detail17trampoline_kernelINS0_13select_configILj256ELj13ELNS0_17block_load_methodE3ELS4_3ELS4_3ELNS0_20block_scan_algorithmE0ELj4294967295EEENS1_25partition_config_selectorILNS1_17partition_subalgoE3EjNS0_10empty_typeEbEEZZNS1_14partition_implILS8_3ELb0ES6_jNS0_17counting_iteratorIjlEEPS9_SE_NS0_5tupleIJPjSE_EEENSF_IJSE_SE_EEES9_SG_JZNS1_25segmented_radix_sort_implINS0_14default_configELb0EPK12hip_bfloat16PSL_PKlPlN2at6native12_GLOBAL__N_18offset_tEEE10hipError_tPvRmT1_PNSt15iterator_traitsISZ_E10value_typeET2_T3_PNS10_IS15_E10value_typeET4_jRbjT5_S1B_jjP12ihipStream_tbEUljE_EEESW_SX_SY_S15_S19_S1B_T6_T7_T9_mT8_S1D_bDpT10_ENKUlT_T0_E_clISt17integral_constantIbLb0EES1P_IbLb1EEEEDaS1L_S1M_EUlS1L_E_NS1_11comp_targetILNS1_3genE4ELNS1_11target_archE910ELNS1_3gpuE8ELNS1_3repE0EEENS1_30default_config_static_selectorELNS0_4arch9wavefront6targetE0EEEvSZ_.has_recursion, 0
	.set _ZN7rocprim17ROCPRIM_400000_NS6detail17trampoline_kernelINS0_13select_configILj256ELj13ELNS0_17block_load_methodE3ELS4_3ELS4_3ELNS0_20block_scan_algorithmE0ELj4294967295EEENS1_25partition_config_selectorILNS1_17partition_subalgoE3EjNS0_10empty_typeEbEEZZNS1_14partition_implILS8_3ELb0ES6_jNS0_17counting_iteratorIjlEEPS9_SE_NS0_5tupleIJPjSE_EEENSF_IJSE_SE_EEES9_SG_JZNS1_25segmented_radix_sort_implINS0_14default_configELb0EPK12hip_bfloat16PSL_PKlPlN2at6native12_GLOBAL__N_18offset_tEEE10hipError_tPvRmT1_PNSt15iterator_traitsISZ_E10value_typeET2_T3_PNS10_IS15_E10value_typeET4_jRbjT5_S1B_jjP12ihipStream_tbEUljE_EEESW_SX_SY_S15_S19_S1B_T6_T7_T9_mT8_S1D_bDpT10_ENKUlT_T0_E_clISt17integral_constantIbLb0EES1P_IbLb1EEEEDaS1L_S1M_EUlS1L_E_NS1_11comp_targetILNS1_3genE4ELNS1_11target_archE910ELNS1_3gpuE8ELNS1_3repE0EEENS1_30default_config_static_selectorELNS0_4arch9wavefront6targetE0EEEvSZ_.has_indirect_call, 0
	.section	.AMDGPU.csdata,"",@progbits
; Kernel info:
; codeLenInByte = 0
; TotalNumSgprs: 0
; NumVgprs: 0
; ScratchSize: 0
; MemoryBound: 0
; FloatMode: 240
; IeeeMode: 1
; LDSByteSize: 0 bytes/workgroup (compile time only)
; SGPRBlocks: 0
; VGPRBlocks: 0
; NumSGPRsForWavesPerEU: 1
; NumVGPRsForWavesPerEU: 1
; Occupancy: 16
; WaveLimiterHint : 0
; COMPUTE_PGM_RSRC2:SCRATCH_EN: 0
; COMPUTE_PGM_RSRC2:USER_SGPR: 2
; COMPUTE_PGM_RSRC2:TRAP_HANDLER: 0
; COMPUTE_PGM_RSRC2:TGID_X_EN: 1
; COMPUTE_PGM_RSRC2:TGID_Y_EN: 0
; COMPUTE_PGM_RSRC2:TGID_Z_EN: 0
; COMPUTE_PGM_RSRC2:TIDIG_COMP_CNT: 0
	.section	.text._ZN7rocprim17ROCPRIM_400000_NS6detail17trampoline_kernelINS0_13select_configILj256ELj13ELNS0_17block_load_methodE3ELS4_3ELS4_3ELNS0_20block_scan_algorithmE0ELj4294967295EEENS1_25partition_config_selectorILNS1_17partition_subalgoE3EjNS0_10empty_typeEbEEZZNS1_14partition_implILS8_3ELb0ES6_jNS0_17counting_iteratorIjlEEPS9_SE_NS0_5tupleIJPjSE_EEENSF_IJSE_SE_EEES9_SG_JZNS1_25segmented_radix_sort_implINS0_14default_configELb0EPK12hip_bfloat16PSL_PKlPlN2at6native12_GLOBAL__N_18offset_tEEE10hipError_tPvRmT1_PNSt15iterator_traitsISZ_E10value_typeET2_T3_PNS10_IS15_E10value_typeET4_jRbjT5_S1B_jjP12ihipStream_tbEUljE_EEESW_SX_SY_S15_S19_S1B_T6_T7_T9_mT8_S1D_bDpT10_ENKUlT_T0_E_clISt17integral_constantIbLb0EES1P_IbLb1EEEEDaS1L_S1M_EUlS1L_E_NS1_11comp_targetILNS1_3genE3ELNS1_11target_archE908ELNS1_3gpuE7ELNS1_3repE0EEENS1_30default_config_static_selectorELNS0_4arch9wavefront6targetE0EEEvSZ_,"axG",@progbits,_ZN7rocprim17ROCPRIM_400000_NS6detail17trampoline_kernelINS0_13select_configILj256ELj13ELNS0_17block_load_methodE3ELS4_3ELS4_3ELNS0_20block_scan_algorithmE0ELj4294967295EEENS1_25partition_config_selectorILNS1_17partition_subalgoE3EjNS0_10empty_typeEbEEZZNS1_14partition_implILS8_3ELb0ES6_jNS0_17counting_iteratorIjlEEPS9_SE_NS0_5tupleIJPjSE_EEENSF_IJSE_SE_EEES9_SG_JZNS1_25segmented_radix_sort_implINS0_14default_configELb0EPK12hip_bfloat16PSL_PKlPlN2at6native12_GLOBAL__N_18offset_tEEE10hipError_tPvRmT1_PNSt15iterator_traitsISZ_E10value_typeET2_T3_PNS10_IS15_E10value_typeET4_jRbjT5_S1B_jjP12ihipStream_tbEUljE_EEESW_SX_SY_S15_S19_S1B_T6_T7_T9_mT8_S1D_bDpT10_ENKUlT_T0_E_clISt17integral_constantIbLb0EES1P_IbLb1EEEEDaS1L_S1M_EUlS1L_E_NS1_11comp_targetILNS1_3genE3ELNS1_11target_archE908ELNS1_3gpuE7ELNS1_3repE0EEENS1_30default_config_static_selectorELNS0_4arch9wavefront6targetE0EEEvSZ_,comdat
	.globl	_ZN7rocprim17ROCPRIM_400000_NS6detail17trampoline_kernelINS0_13select_configILj256ELj13ELNS0_17block_load_methodE3ELS4_3ELS4_3ELNS0_20block_scan_algorithmE0ELj4294967295EEENS1_25partition_config_selectorILNS1_17partition_subalgoE3EjNS0_10empty_typeEbEEZZNS1_14partition_implILS8_3ELb0ES6_jNS0_17counting_iteratorIjlEEPS9_SE_NS0_5tupleIJPjSE_EEENSF_IJSE_SE_EEES9_SG_JZNS1_25segmented_radix_sort_implINS0_14default_configELb0EPK12hip_bfloat16PSL_PKlPlN2at6native12_GLOBAL__N_18offset_tEEE10hipError_tPvRmT1_PNSt15iterator_traitsISZ_E10value_typeET2_T3_PNS10_IS15_E10value_typeET4_jRbjT5_S1B_jjP12ihipStream_tbEUljE_EEESW_SX_SY_S15_S19_S1B_T6_T7_T9_mT8_S1D_bDpT10_ENKUlT_T0_E_clISt17integral_constantIbLb0EES1P_IbLb1EEEEDaS1L_S1M_EUlS1L_E_NS1_11comp_targetILNS1_3genE3ELNS1_11target_archE908ELNS1_3gpuE7ELNS1_3repE0EEENS1_30default_config_static_selectorELNS0_4arch9wavefront6targetE0EEEvSZ_ ; -- Begin function _ZN7rocprim17ROCPRIM_400000_NS6detail17trampoline_kernelINS0_13select_configILj256ELj13ELNS0_17block_load_methodE3ELS4_3ELS4_3ELNS0_20block_scan_algorithmE0ELj4294967295EEENS1_25partition_config_selectorILNS1_17partition_subalgoE3EjNS0_10empty_typeEbEEZZNS1_14partition_implILS8_3ELb0ES6_jNS0_17counting_iteratorIjlEEPS9_SE_NS0_5tupleIJPjSE_EEENSF_IJSE_SE_EEES9_SG_JZNS1_25segmented_radix_sort_implINS0_14default_configELb0EPK12hip_bfloat16PSL_PKlPlN2at6native12_GLOBAL__N_18offset_tEEE10hipError_tPvRmT1_PNSt15iterator_traitsISZ_E10value_typeET2_T3_PNS10_IS15_E10value_typeET4_jRbjT5_S1B_jjP12ihipStream_tbEUljE_EEESW_SX_SY_S15_S19_S1B_T6_T7_T9_mT8_S1D_bDpT10_ENKUlT_T0_E_clISt17integral_constantIbLb0EES1P_IbLb1EEEEDaS1L_S1M_EUlS1L_E_NS1_11comp_targetILNS1_3genE3ELNS1_11target_archE908ELNS1_3gpuE7ELNS1_3repE0EEENS1_30default_config_static_selectorELNS0_4arch9wavefront6targetE0EEEvSZ_
	.p2align	8
	.type	_ZN7rocprim17ROCPRIM_400000_NS6detail17trampoline_kernelINS0_13select_configILj256ELj13ELNS0_17block_load_methodE3ELS4_3ELS4_3ELNS0_20block_scan_algorithmE0ELj4294967295EEENS1_25partition_config_selectorILNS1_17partition_subalgoE3EjNS0_10empty_typeEbEEZZNS1_14partition_implILS8_3ELb0ES6_jNS0_17counting_iteratorIjlEEPS9_SE_NS0_5tupleIJPjSE_EEENSF_IJSE_SE_EEES9_SG_JZNS1_25segmented_radix_sort_implINS0_14default_configELb0EPK12hip_bfloat16PSL_PKlPlN2at6native12_GLOBAL__N_18offset_tEEE10hipError_tPvRmT1_PNSt15iterator_traitsISZ_E10value_typeET2_T3_PNS10_IS15_E10value_typeET4_jRbjT5_S1B_jjP12ihipStream_tbEUljE_EEESW_SX_SY_S15_S19_S1B_T6_T7_T9_mT8_S1D_bDpT10_ENKUlT_T0_E_clISt17integral_constantIbLb0EES1P_IbLb1EEEEDaS1L_S1M_EUlS1L_E_NS1_11comp_targetILNS1_3genE3ELNS1_11target_archE908ELNS1_3gpuE7ELNS1_3repE0EEENS1_30default_config_static_selectorELNS0_4arch9wavefront6targetE0EEEvSZ_,@function
_ZN7rocprim17ROCPRIM_400000_NS6detail17trampoline_kernelINS0_13select_configILj256ELj13ELNS0_17block_load_methodE3ELS4_3ELS4_3ELNS0_20block_scan_algorithmE0ELj4294967295EEENS1_25partition_config_selectorILNS1_17partition_subalgoE3EjNS0_10empty_typeEbEEZZNS1_14partition_implILS8_3ELb0ES6_jNS0_17counting_iteratorIjlEEPS9_SE_NS0_5tupleIJPjSE_EEENSF_IJSE_SE_EEES9_SG_JZNS1_25segmented_radix_sort_implINS0_14default_configELb0EPK12hip_bfloat16PSL_PKlPlN2at6native12_GLOBAL__N_18offset_tEEE10hipError_tPvRmT1_PNSt15iterator_traitsISZ_E10value_typeET2_T3_PNS10_IS15_E10value_typeET4_jRbjT5_S1B_jjP12ihipStream_tbEUljE_EEESW_SX_SY_S15_S19_S1B_T6_T7_T9_mT8_S1D_bDpT10_ENKUlT_T0_E_clISt17integral_constantIbLb0EES1P_IbLb1EEEEDaS1L_S1M_EUlS1L_E_NS1_11comp_targetILNS1_3genE3ELNS1_11target_archE908ELNS1_3gpuE7ELNS1_3repE0EEENS1_30default_config_static_selectorELNS0_4arch9wavefront6targetE0EEEvSZ_: ; @_ZN7rocprim17ROCPRIM_400000_NS6detail17trampoline_kernelINS0_13select_configILj256ELj13ELNS0_17block_load_methodE3ELS4_3ELS4_3ELNS0_20block_scan_algorithmE0ELj4294967295EEENS1_25partition_config_selectorILNS1_17partition_subalgoE3EjNS0_10empty_typeEbEEZZNS1_14partition_implILS8_3ELb0ES6_jNS0_17counting_iteratorIjlEEPS9_SE_NS0_5tupleIJPjSE_EEENSF_IJSE_SE_EEES9_SG_JZNS1_25segmented_radix_sort_implINS0_14default_configELb0EPK12hip_bfloat16PSL_PKlPlN2at6native12_GLOBAL__N_18offset_tEEE10hipError_tPvRmT1_PNSt15iterator_traitsISZ_E10value_typeET2_T3_PNS10_IS15_E10value_typeET4_jRbjT5_S1B_jjP12ihipStream_tbEUljE_EEESW_SX_SY_S15_S19_S1B_T6_T7_T9_mT8_S1D_bDpT10_ENKUlT_T0_E_clISt17integral_constantIbLb0EES1P_IbLb1EEEEDaS1L_S1M_EUlS1L_E_NS1_11comp_targetILNS1_3genE3ELNS1_11target_archE908ELNS1_3gpuE7ELNS1_3repE0EEENS1_30default_config_static_selectorELNS0_4arch9wavefront6targetE0EEEvSZ_
; %bb.0:
	.section	.rodata,"a",@progbits
	.p2align	6, 0x0
	.amdhsa_kernel _ZN7rocprim17ROCPRIM_400000_NS6detail17trampoline_kernelINS0_13select_configILj256ELj13ELNS0_17block_load_methodE3ELS4_3ELS4_3ELNS0_20block_scan_algorithmE0ELj4294967295EEENS1_25partition_config_selectorILNS1_17partition_subalgoE3EjNS0_10empty_typeEbEEZZNS1_14partition_implILS8_3ELb0ES6_jNS0_17counting_iteratorIjlEEPS9_SE_NS0_5tupleIJPjSE_EEENSF_IJSE_SE_EEES9_SG_JZNS1_25segmented_radix_sort_implINS0_14default_configELb0EPK12hip_bfloat16PSL_PKlPlN2at6native12_GLOBAL__N_18offset_tEEE10hipError_tPvRmT1_PNSt15iterator_traitsISZ_E10value_typeET2_T3_PNS10_IS15_E10value_typeET4_jRbjT5_S1B_jjP12ihipStream_tbEUljE_EEESW_SX_SY_S15_S19_S1B_T6_T7_T9_mT8_S1D_bDpT10_ENKUlT_T0_E_clISt17integral_constantIbLb0EES1P_IbLb1EEEEDaS1L_S1M_EUlS1L_E_NS1_11comp_targetILNS1_3genE3ELNS1_11target_archE908ELNS1_3gpuE7ELNS1_3repE0EEENS1_30default_config_static_selectorELNS0_4arch9wavefront6targetE0EEEvSZ_
		.amdhsa_group_segment_fixed_size 0
		.amdhsa_private_segment_fixed_size 0
		.amdhsa_kernarg_size 152
		.amdhsa_user_sgpr_count 2
		.amdhsa_user_sgpr_dispatch_ptr 0
		.amdhsa_user_sgpr_queue_ptr 0
		.amdhsa_user_sgpr_kernarg_segment_ptr 1
		.amdhsa_user_sgpr_dispatch_id 0
		.amdhsa_user_sgpr_private_segment_size 0
		.amdhsa_wavefront_size32 1
		.amdhsa_uses_dynamic_stack 0
		.amdhsa_enable_private_segment 0
		.amdhsa_system_sgpr_workgroup_id_x 1
		.amdhsa_system_sgpr_workgroup_id_y 0
		.amdhsa_system_sgpr_workgroup_id_z 0
		.amdhsa_system_sgpr_workgroup_info 0
		.amdhsa_system_vgpr_workitem_id 0
		.amdhsa_next_free_vgpr 1
		.amdhsa_next_free_sgpr 1
		.amdhsa_reserve_vcc 0
		.amdhsa_float_round_mode_32 0
		.amdhsa_float_round_mode_16_64 0
		.amdhsa_float_denorm_mode_32 3
		.amdhsa_float_denorm_mode_16_64 3
		.amdhsa_fp16_overflow 0
		.amdhsa_workgroup_processor_mode 1
		.amdhsa_memory_ordered 1
		.amdhsa_forward_progress 1
		.amdhsa_inst_pref_size 0
		.amdhsa_round_robin_scheduling 0
		.amdhsa_exception_fp_ieee_invalid_op 0
		.amdhsa_exception_fp_denorm_src 0
		.amdhsa_exception_fp_ieee_div_zero 0
		.amdhsa_exception_fp_ieee_overflow 0
		.amdhsa_exception_fp_ieee_underflow 0
		.amdhsa_exception_fp_ieee_inexact 0
		.amdhsa_exception_int_div_zero 0
	.end_amdhsa_kernel
	.section	.text._ZN7rocprim17ROCPRIM_400000_NS6detail17trampoline_kernelINS0_13select_configILj256ELj13ELNS0_17block_load_methodE3ELS4_3ELS4_3ELNS0_20block_scan_algorithmE0ELj4294967295EEENS1_25partition_config_selectorILNS1_17partition_subalgoE3EjNS0_10empty_typeEbEEZZNS1_14partition_implILS8_3ELb0ES6_jNS0_17counting_iteratorIjlEEPS9_SE_NS0_5tupleIJPjSE_EEENSF_IJSE_SE_EEES9_SG_JZNS1_25segmented_radix_sort_implINS0_14default_configELb0EPK12hip_bfloat16PSL_PKlPlN2at6native12_GLOBAL__N_18offset_tEEE10hipError_tPvRmT1_PNSt15iterator_traitsISZ_E10value_typeET2_T3_PNS10_IS15_E10value_typeET4_jRbjT5_S1B_jjP12ihipStream_tbEUljE_EEESW_SX_SY_S15_S19_S1B_T6_T7_T9_mT8_S1D_bDpT10_ENKUlT_T0_E_clISt17integral_constantIbLb0EES1P_IbLb1EEEEDaS1L_S1M_EUlS1L_E_NS1_11comp_targetILNS1_3genE3ELNS1_11target_archE908ELNS1_3gpuE7ELNS1_3repE0EEENS1_30default_config_static_selectorELNS0_4arch9wavefront6targetE0EEEvSZ_,"axG",@progbits,_ZN7rocprim17ROCPRIM_400000_NS6detail17trampoline_kernelINS0_13select_configILj256ELj13ELNS0_17block_load_methodE3ELS4_3ELS4_3ELNS0_20block_scan_algorithmE0ELj4294967295EEENS1_25partition_config_selectorILNS1_17partition_subalgoE3EjNS0_10empty_typeEbEEZZNS1_14partition_implILS8_3ELb0ES6_jNS0_17counting_iteratorIjlEEPS9_SE_NS0_5tupleIJPjSE_EEENSF_IJSE_SE_EEES9_SG_JZNS1_25segmented_radix_sort_implINS0_14default_configELb0EPK12hip_bfloat16PSL_PKlPlN2at6native12_GLOBAL__N_18offset_tEEE10hipError_tPvRmT1_PNSt15iterator_traitsISZ_E10value_typeET2_T3_PNS10_IS15_E10value_typeET4_jRbjT5_S1B_jjP12ihipStream_tbEUljE_EEESW_SX_SY_S15_S19_S1B_T6_T7_T9_mT8_S1D_bDpT10_ENKUlT_T0_E_clISt17integral_constantIbLb0EES1P_IbLb1EEEEDaS1L_S1M_EUlS1L_E_NS1_11comp_targetILNS1_3genE3ELNS1_11target_archE908ELNS1_3gpuE7ELNS1_3repE0EEENS1_30default_config_static_selectorELNS0_4arch9wavefront6targetE0EEEvSZ_,comdat
.Lfunc_end2044:
	.size	_ZN7rocprim17ROCPRIM_400000_NS6detail17trampoline_kernelINS0_13select_configILj256ELj13ELNS0_17block_load_methodE3ELS4_3ELS4_3ELNS0_20block_scan_algorithmE0ELj4294967295EEENS1_25partition_config_selectorILNS1_17partition_subalgoE3EjNS0_10empty_typeEbEEZZNS1_14partition_implILS8_3ELb0ES6_jNS0_17counting_iteratorIjlEEPS9_SE_NS0_5tupleIJPjSE_EEENSF_IJSE_SE_EEES9_SG_JZNS1_25segmented_radix_sort_implINS0_14default_configELb0EPK12hip_bfloat16PSL_PKlPlN2at6native12_GLOBAL__N_18offset_tEEE10hipError_tPvRmT1_PNSt15iterator_traitsISZ_E10value_typeET2_T3_PNS10_IS15_E10value_typeET4_jRbjT5_S1B_jjP12ihipStream_tbEUljE_EEESW_SX_SY_S15_S19_S1B_T6_T7_T9_mT8_S1D_bDpT10_ENKUlT_T0_E_clISt17integral_constantIbLb0EES1P_IbLb1EEEEDaS1L_S1M_EUlS1L_E_NS1_11comp_targetILNS1_3genE3ELNS1_11target_archE908ELNS1_3gpuE7ELNS1_3repE0EEENS1_30default_config_static_selectorELNS0_4arch9wavefront6targetE0EEEvSZ_, .Lfunc_end2044-_ZN7rocprim17ROCPRIM_400000_NS6detail17trampoline_kernelINS0_13select_configILj256ELj13ELNS0_17block_load_methodE3ELS4_3ELS4_3ELNS0_20block_scan_algorithmE0ELj4294967295EEENS1_25partition_config_selectorILNS1_17partition_subalgoE3EjNS0_10empty_typeEbEEZZNS1_14partition_implILS8_3ELb0ES6_jNS0_17counting_iteratorIjlEEPS9_SE_NS0_5tupleIJPjSE_EEENSF_IJSE_SE_EEES9_SG_JZNS1_25segmented_radix_sort_implINS0_14default_configELb0EPK12hip_bfloat16PSL_PKlPlN2at6native12_GLOBAL__N_18offset_tEEE10hipError_tPvRmT1_PNSt15iterator_traitsISZ_E10value_typeET2_T3_PNS10_IS15_E10value_typeET4_jRbjT5_S1B_jjP12ihipStream_tbEUljE_EEESW_SX_SY_S15_S19_S1B_T6_T7_T9_mT8_S1D_bDpT10_ENKUlT_T0_E_clISt17integral_constantIbLb0EES1P_IbLb1EEEEDaS1L_S1M_EUlS1L_E_NS1_11comp_targetILNS1_3genE3ELNS1_11target_archE908ELNS1_3gpuE7ELNS1_3repE0EEENS1_30default_config_static_selectorELNS0_4arch9wavefront6targetE0EEEvSZ_
                                        ; -- End function
	.set _ZN7rocprim17ROCPRIM_400000_NS6detail17trampoline_kernelINS0_13select_configILj256ELj13ELNS0_17block_load_methodE3ELS4_3ELS4_3ELNS0_20block_scan_algorithmE0ELj4294967295EEENS1_25partition_config_selectorILNS1_17partition_subalgoE3EjNS0_10empty_typeEbEEZZNS1_14partition_implILS8_3ELb0ES6_jNS0_17counting_iteratorIjlEEPS9_SE_NS0_5tupleIJPjSE_EEENSF_IJSE_SE_EEES9_SG_JZNS1_25segmented_radix_sort_implINS0_14default_configELb0EPK12hip_bfloat16PSL_PKlPlN2at6native12_GLOBAL__N_18offset_tEEE10hipError_tPvRmT1_PNSt15iterator_traitsISZ_E10value_typeET2_T3_PNS10_IS15_E10value_typeET4_jRbjT5_S1B_jjP12ihipStream_tbEUljE_EEESW_SX_SY_S15_S19_S1B_T6_T7_T9_mT8_S1D_bDpT10_ENKUlT_T0_E_clISt17integral_constantIbLb0EES1P_IbLb1EEEEDaS1L_S1M_EUlS1L_E_NS1_11comp_targetILNS1_3genE3ELNS1_11target_archE908ELNS1_3gpuE7ELNS1_3repE0EEENS1_30default_config_static_selectorELNS0_4arch9wavefront6targetE0EEEvSZ_.num_vgpr, 0
	.set _ZN7rocprim17ROCPRIM_400000_NS6detail17trampoline_kernelINS0_13select_configILj256ELj13ELNS0_17block_load_methodE3ELS4_3ELS4_3ELNS0_20block_scan_algorithmE0ELj4294967295EEENS1_25partition_config_selectorILNS1_17partition_subalgoE3EjNS0_10empty_typeEbEEZZNS1_14partition_implILS8_3ELb0ES6_jNS0_17counting_iteratorIjlEEPS9_SE_NS0_5tupleIJPjSE_EEENSF_IJSE_SE_EEES9_SG_JZNS1_25segmented_radix_sort_implINS0_14default_configELb0EPK12hip_bfloat16PSL_PKlPlN2at6native12_GLOBAL__N_18offset_tEEE10hipError_tPvRmT1_PNSt15iterator_traitsISZ_E10value_typeET2_T3_PNS10_IS15_E10value_typeET4_jRbjT5_S1B_jjP12ihipStream_tbEUljE_EEESW_SX_SY_S15_S19_S1B_T6_T7_T9_mT8_S1D_bDpT10_ENKUlT_T0_E_clISt17integral_constantIbLb0EES1P_IbLb1EEEEDaS1L_S1M_EUlS1L_E_NS1_11comp_targetILNS1_3genE3ELNS1_11target_archE908ELNS1_3gpuE7ELNS1_3repE0EEENS1_30default_config_static_selectorELNS0_4arch9wavefront6targetE0EEEvSZ_.num_agpr, 0
	.set _ZN7rocprim17ROCPRIM_400000_NS6detail17trampoline_kernelINS0_13select_configILj256ELj13ELNS0_17block_load_methodE3ELS4_3ELS4_3ELNS0_20block_scan_algorithmE0ELj4294967295EEENS1_25partition_config_selectorILNS1_17partition_subalgoE3EjNS0_10empty_typeEbEEZZNS1_14partition_implILS8_3ELb0ES6_jNS0_17counting_iteratorIjlEEPS9_SE_NS0_5tupleIJPjSE_EEENSF_IJSE_SE_EEES9_SG_JZNS1_25segmented_radix_sort_implINS0_14default_configELb0EPK12hip_bfloat16PSL_PKlPlN2at6native12_GLOBAL__N_18offset_tEEE10hipError_tPvRmT1_PNSt15iterator_traitsISZ_E10value_typeET2_T3_PNS10_IS15_E10value_typeET4_jRbjT5_S1B_jjP12ihipStream_tbEUljE_EEESW_SX_SY_S15_S19_S1B_T6_T7_T9_mT8_S1D_bDpT10_ENKUlT_T0_E_clISt17integral_constantIbLb0EES1P_IbLb1EEEEDaS1L_S1M_EUlS1L_E_NS1_11comp_targetILNS1_3genE3ELNS1_11target_archE908ELNS1_3gpuE7ELNS1_3repE0EEENS1_30default_config_static_selectorELNS0_4arch9wavefront6targetE0EEEvSZ_.numbered_sgpr, 0
	.set _ZN7rocprim17ROCPRIM_400000_NS6detail17trampoline_kernelINS0_13select_configILj256ELj13ELNS0_17block_load_methodE3ELS4_3ELS4_3ELNS0_20block_scan_algorithmE0ELj4294967295EEENS1_25partition_config_selectorILNS1_17partition_subalgoE3EjNS0_10empty_typeEbEEZZNS1_14partition_implILS8_3ELb0ES6_jNS0_17counting_iteratorIjlEEPS9_SE_NS0_5tupleIJPjSE_EEENSF_IJSE_SE_EEES9_SG_JZNS1_25segmented_radix_sort_implINS0_14default_configELb0EPK12hip_bfloat16PSL_PKlPlN2at6native12_GLOBAL__N_18offset_tEEE10hipError_tPvRmT1_PNSt15iterator_traitsISZ_E10value_typeET2_T3_PNS10_IS15_E10value_typeET4_jRbjT5_S1B_jjP12ihipStream_tbEUljE_EEESW_SX_SY_S15_S19_S1B_T6_T7_T9_mT8_S1D_bDpT10_ENKUlT_T0_E_clISt17integral_constantIbLb0EES1P_IbLb1EEEEDaS1L_S1M_EUlS1L_E_NS1_11comp_targetILNS1_3genE3ELNS1_11target_archE908ELNS1_3gpuE7ELNS1_3repE0EEENS1_30default_config_static_selectorELNS0_4arch9wavefront6targetE0EEEvSZ_.num_named_barrier, 0
	.set _ZN7rocprim17ROCPRIM_400000_NS6detail17trampoline_kernelINS0_13select_configILj256ELj13ELNS0_17block_load_methodE3ELS4_3ELS4_3ELNS0_20block_scan_algorithmE0ELj4294967295EEENS1_25partition_config_selectorILNS1_17partition_subalgoE3EjNS0_10empty_typeEbEEZZNS1_14partition_implILS8_3ELb0ES6_jNS0_17counting_iteratorIjlEEPS9_SE_NS0_5tupleIJPjSE_EEENSF_IJSE_SE_EEES9_SG_JZNS1_25segmented_radix_sort_implINS0_14default_configELb0EPK12hip_bfloat16PSL_PKlPlN2at6native12_GLOBAL__N_18offset_tEEE10hipError_tPvRmT1_PNSt15iterator_traitsISZ_E10value_typeET2_T3_PNS10_IS15_E10value_typeET4_jRbjT5_S1B_jjP12ihipStream_tbEUljE_EEESW_SX_SY_S15_S19_S1B_T6_T7_T9_mT8_S1D_bDpT10_ENKUlT_T0_E_clISt17integral_constantIbLb0EES1P_IbLb1EEEEDaS1L_S1M_EUlS1L_E_NS1_11comp_targetILNS1_3genE3ELNS1_11target_archE908ELNS1_3gpuE7ELNS1_3repE0EEENS1_30default_config_static_selectorELNS0_4arch9wavefront6targetE0EEEvSZ_.private_seg_size, 0
	.set _ZN7rocprim17ROCPRIM_400000_NS6detail17trampoline_kernelINS0_13select_configILj256ELj13ELNS0_17block_load_methodE3ELS4_3ELS4_3ELNS0_20block_scan_algorithmE0ELj4294967295EEENS1_25partition_config_selectorILNS1_17partition_subalgoE3EjNS0_10empty_typeEbEEZZNS1_14partition_implILS8_3ELb0ES6_jNS0_17counting_iteratorIjlEEPS9_SE_NS0_5tupleIJPjSE_EEENSF_IJSE_SE_EEES9_SG_JZNS1_25segmented_radix_sort_implINS0_14default_configELb0EPK12hip_bfloat16PSL_PKlPlN2at6native12_GLOBAL__N_18offset_tEEE10hipError_tPvRmT1_PNSt15iterator_traitsISZ_E10value_typeET2_T3_PNS10_IS15_E10value_typeET4_jRbjT5_S1B_jjP12ihipStream_tbEUljE_EEESW_SX_SY_S15_S19_S1B_T6_T7_T9_mT8_S1D_bDpT10_ENKUlT_T0_E_clISt17integral_constantIbLb0EES1P_IbLb1EEEEDaS1L_S1M_EUlS1L_E_NS1_11comp_targetILNS1_3genE3ELNS1_11target_archE908ELNS1_3gpuE7ELNS1_3repE0EEENS1_30default_config_static_selectorELNS0_4arch9wavefront6targetE0EEEvSZ_.uses_vcc, 0
	.set _ZN7rocprim17ROCPRIM_400000_NS6detail17trampoline_kernelINS0_13select_configILj256ELj13ELNS0_17block_load_methodE3ELS4_3ELS4_3ELNS0_20block_scan_algorithmE0ELj4294967295EEENS1_25partition_config_selectorILNS1_17partition_subalgoE3EjNS0_10empty_typeEbEEZZNS1_14partition_implILS8_3ELb0ES6_jNS0_17counting_iteratorIjlEEPS9_SE_NS0_5tupleIJPjSE_EEENSF_IJSE_SE_EEES9_SG_JZNS1_25segmented_radix_sort_implINS0_14default_configELb0EPK12hip_bfloat16PSL_PKlPlN2at6native12_GLOBAL__N_18offset_tEEE10hipError_tPvRmT1_PNSt15iterator_traitsISZ_E10value_typeET2_T3_PNS10_IS15_E10value_typeET4_jRbjT5_S1B_jjP12ihipStream_tbEUljE_EEESW_SX_SY_S15_S19_S1B_T6_T7_T9_mT8_S1D_bDpT10_ENKUlT_T0_E_clISt17integral_constantIbLb0EES1P_IbLb1EEEEDaS1L_S1M_EUlS1L_E_NS1_11comp_targetILNS1_3genE3ELNS1_11target_archE908ELNS1_3gpuE7ELNS1_3repE0EEENS1_30default_config_static_selectorELNS0_4arch9wavefront6targetE0EEEvSZ_.uses_flat_scratch, 0
	.set _ZN7rocprim17ROCPRIM_400000_NS6detail17trampoline_kernelINS0_13select_configILj256ELj13ELNS0_17block_load_methodE3ELS4_3ELS4_3ELNS0_20block_scan_algorithmE0ELj4294967295EEENS1_25partition_config_selectorILNS1_17partition_subalgoE3EjNS0_10empty_typeEbEEZZNS1_14partition_implILS8_3ELb0ES6_jNS0_17counting_iteratorIjlEEPS9_SE_NS0_5tupleIJPjSE_EEENSF_IJSE_SE_EEES9_SG_JZNS1_25segmented_radix_sort_implINS0_14default_configELb0EPK12hip_bfloat16PSL_PKlPlN2at6native12_GLOBAL__N_18offset_tEEE10hipError_tPvRmT1_PNSt15iterator_traitsISZ_E10value_typeET2_T3_PNS10_IS15_E10value_typeET4_jRbjT5_S1B_jjP12ihipStream_tbEUljE_EEESW_SX_SY_S15_S19_S1B_T6_T7_T9_mT8_S1D_bDpT10_ENKUlT_T0_E_clISt17integral_constantIbLb0EES1P_IbLb1EEEEDaS1L_S1M_EUlS1L_E_NS1_11comp_targetILNS1_3genE3ELNS1_11target_archE908ELNS1_3gpuE7ELNS1_3repE0EEENS1_30default_config_static_selectorELNS0_4arch9wavefront6targetE0EEEvSZ_.has_dyn_sized_stack, 0
	.set _ZN7rocprim17ROCPRIM_400000_NS6detail17trampoline_kernelINS0_13select_configILj256ELj13ELNS0_17block_load_methodE3ELS4_3ELS4_3ELNS0_20block_scan_algorithmE0ELj4294967295EEENS1_25partition_config_selectorILNS1_17partition_subalgoE3EjNS0_10empty_typeEbEEZZNS1_14partition_implILS8_3ELb0ES6_jNS0_17counting_iteratorIjlEEPS9_SE_NS0_5tupleIJPjSE_EEENSF_IJSE_SE_EEES9_SG_JZNS1_25segmented_radix_sort_implINS0_14default_configELb0EPK12hip_bfloat16PSL_PKlPlN2at6native12_GLOBAL__N_18offset_tEEE10hipError_tPvRmT1_PNSt15iterator_traitsISZ_E10value_typeET2_T3_PNS10_IS15_E10value_typeET4_jRbjT5_S1B_jjP12ihipStream_tbEUljE_EEESW_SX_SY_S15_S19_S1B_T6_T7_T9_mT8_S1D_bDpT10_ENKUlT_T0_E_clISt17integral_constantIbLb0EES1P_IbLb1EEEEDaS1L_S1M_EUlS1L_E_NS1_11comp_targetILNS1_3genE3ELNS1_11target_archE908ELNS1_3gpuE7ELNS1_3repE0EEENS1_30default_config_static_selectorELNS0_4arch9wavefront6targetE0EEEvSZ_.has_recursion, 0
	.set _ZN7rocprim17ROCPRIM_400000_NS6detail17trampoline_kernelINS0_13select_configILj256ELj13ELNS0_17block_load_methodE3ELS4_3ELS4_3ELNS0_20block_scan_algorithmE0ELj4294967295EEENS1_25partition_config_selectorILNS1_17partition_subalgoE3EjNS0_10empty_typeEbEEZZNS1_14partition_implILS8_3ELb0ES6_jNS0_17counting_iteratorIjlEEPS9_SE_NS0_5tupleIJPjSE_EEENSF_IJSE_SE_EEES9_SG_JZNS1_25segmented_radix_sort_implINS0_14default_configELb0EPK12hip_bfloat16PSL_PKlPlN2at6native12_GLOBAL__N_18offset_tEEE10hipError_tPvRmT1_PNSt15iterator_traitsISZ_E10value_typeET2_T3_PNS10_IS15_E10value_typeET4_jRbjT5_S1B_jjP12ihipStream_tbEUljE_EEESW_SX_SY_S15_S19_S1B_T6_T7_T9_mT8_S1D_bDpT10_ENKUlT_T0_E_clISt17integral_constantIbLb0EES1P_IbLb1EEEEDaS1L_S1M_EUlS1L_E_NS1_11comp_targetILNS1_3genE3ELNS1_11target_archE908ELNS1_3gpuE7ELNS1_3repE0EEENS1_30default_config_static_selectorELNS0_4arch9wavefront6targetE0EEEvSZ_.has_indirect_call, 0
	.section	.AMDGPU.csdata,"",@progbits
; Kernel info:
; codeLenInByte = 0
; TotalNumSgprs: 0
; NumVgprs: 0
; ScratchSize: 0
; MemoryBound: 0
; FloatMode: 240
; IeeeMode: 1
; LDSByteSize: 0 bytes/workgroup (compile time only)
; SGPRBlocks: 0
; VGPRBlocks: 0
; NumSGPRsForWavesPerEU: 1
; NumVGPRsForWavesPerEU: 1
; Occupancy: 16
; WaveLimiterHint : 0
; COMPUTE_PGM_RSRC2:SCRATCH_EN: 0
; COMPUTE_PGM_RSRC2:USER_SGPR: 2
; COMPUTE_PGM_RSRC2:TRAP_HANDLER: 0
; COMPUTE_PGM_RSRC2:TGID_X_EN: 1
; COMPUTE_PGM_RSRC2:TGID_Y_EN: 0
; COMPUTE_PGM_RSRC2:TGID_Z_EN: 0
; COMPUTE_PGM_RSRC2:TIDIG_COMP_CNT: 0
	.section	.text._ZN7rocprim17ROCPRIM_400000_NS6detail17trampoline_kernelINS0_13select_configILj256ELj13ELNS0_17block_load_methodE3ELS4_3ELS4_3ELNS0_20block_scan_algorithmE0ELj4294967295EEENS1_25partition_config_selectorILNS1_17partition_subalgoE3EjNS0_10empty_typeEbEEZZNS1_14partition_implILS8_3ELb0ES6_jNS0_17counting_iteratorIjlEEPS9_SE_NS0_5tupleIJPjSE_EEENSF_IJSE_SE_EEES9_SG_JZNS1_25segmented_radix_sort_implINS0_14default_configELb0EPK12hip_bfloat16PSL_PKlPlN2at6native12_GLOBAL__N_18offset_tEEE10hipError_tPvRmT1_PNSt15iterator_traitsISZ_E10value_typeET2_T3_PNS10_IS15_E10value_typeET4_jRbjT5_S1B_jjP12ihipStream_tbEUljE_EEESW_SX_SY_S15_S19_S1B_T6_T7_T9_mT8_S1D_bDpT10_ENKUlT_T0_E_clISt17integral_constantIbLb0EES1P_IbLb1EEEEDaS1L_S1M_EUlS1L_E_NS1_11comp_targetILNS1_3genE2ELNS1_11target_archE906ELNS1_3gpuE6ELNS1_3repE0EEENS1_30default_config_static_selectorELNS0_4arch9wavefront6targetE0EEEvSZ_,"axG",@progbits,_ZN7rocprim17ROCPRIM_400000_NS6detail17trampoline_kernelINS0_13select_configILj256ELj13ELNS0_17block_load_methodE3ELS4_3ELS4_3ELNS0_20block_scan_algorithmE0ELj4294967295EEENS1_25partition_config_selectorILNS1_17partition_subalgoE3EjNS0_10empty_typeEbEEZZNS1_14partition_implILS8_3ELb0ES6_jNS0_17counting_iteratorIjlEEPS9_SE_NS0_5tupleIJPjSE_EEENSF_IJSE_SE_EEES9_SG_JZNS1_25segmented_radix_sort_implINS0_14default_configELb0EPK12hip_bfloat16PSL_PKlPlN2at6native12_GLOBAL__N_18offset_tEEE10hipError_tPvRmT1_PNSt15iterator_traitsISZ_E10value_typeET2_T3_PNS10_IS15_E10value_typeET4_jRbjT5_S1B_jjP12ihipStream_tbEUljE_EEESW_SX_SY_S15_S19_S1B_T6_T7_T9_mT8_S1D_bDpT10_ENKUlT_T0_E_clISt17integral_constantIbLb0EES1P_IbLb1EEEEDaS1L_S1M_EUlS1L_E_NS1_11comp_targetILNS1_3genE2ELNS1_11target_archE906ELNS1_3gpuE6ELNS1_3repE0EEENS1_30default_config_static_selectorELNS0_4arch9wavefront6targetE0EEEvSZ_,comdat
	.globl	_ZN7rocprim17ROCPRIM_400000_NS6detail17trampoline_kernelINS0_13select_configILj256ELj13ELNS0_17block_load_methodE3ELS4_3ELS4_3ELNS0_20block_scan_algorithmE0ELj4294967295EEENS1_25partition_config_selectorILNS1_17partition_subalgoE3EjNS0_10empty_typeEbEEZZNS1_14partition_implILS8_3ELb0ES6_jNS0_17counting_iteratorIjlEEPS9_SE_NS0_5tupleIJPjSE_EEENSF_IJSE_SE_EEES9_SG_JZNS1_25segmented_radix_sort_implINS0_14default_configELb0EPK12hip_bfloat16PSL_PKlPlN2at6native12_GLOBAL__N_18offset_tEEE10hipError_tPvRmT1_PNSt15iterator_traitsISZ_E10value_typeET2_T3_PNS10_IS15_E10value_typeET4_jRbjT5_S1B_jjP12ihipStream_tbEUljE_EEESW_SX_SY_S15_S19_S1B_T6_T7_T9_mT8_S1D_bDpT10_ENKUlT_T0_E_clISt17integral_constantIbLb0EES1P_IbLb1EEEEDaS1L_S1M_EUlS1L_E_NS1_11comp_targetILNS1_3genE2ELNS1_11target_archE906ELNS1_3gpuE6ELNS1_3repE0EEENS1_30default_config_static_selectorELNS0_4arch9wavefront6targetE0EEEvSZ_ ; -- Begin function _ZN7rocprim17ROCPRIM_400000_NS6detail17trampoline_kernelINS0_13select_configILj256ELj13ELNS0_17block_load_methodE3ELS4_3ELS4_3ELNS0_20block_scan_algorithmE0ELj4294967295EEENS1_25partition_config_selectorILNS1_17partition_subalgoE3EjNS0_10empty_typeEbEEZZNS1_14partition_implILS8_3ELb0ES6_jNS0_17counting_iteratorIjlEEPS9_SE_NS0_5tupleIJPjSE_EEENSF_IJSE_SE_EEES9_SG_JZNS1_25segmented_radix_sort_implINS0_14default_configELb0EPK12hip_bfloat16PSL_PKlPlN2at6native12_GLOBAL__N_18offset_tEEE10hipError_tPvRmT1_PNSt15iterator_traitsISZ_E10value_typeET2_T3_PNS10_IS15_E10value_typeET4_jRbjT5_S1B_jjP12ihipStream_tbEUljE_EEESW_SX_SY_S15_S19_S1B_T6_T7_T9_mT8_S1D_bDpT10_ENKUlT_T0_E_clISt17integral_constantIbLb0EES1P_IbLb1EEEEDaS1L_S1M_EUlS1L_E_NS1_11comp_targetILNS1_3genE2ELNS1_11target_archE906ELNS1_3gpuE6ELNS1_3repE0EEENS1_30default_config_static_selectorELNS0_4arch9wavefront6targetE0EEEvSZ_
	.p2align	8
	.type	_ZN7rocprim17ROCPRIM_400000_NS6detail17trampoline_kernelINS0_13select_configILj256ELj13ELNS0_17block_load_methodE3ELS4_3ELS4_3ELNS0_20block_scan_algorithmE0ELj4294967295EEENS1_25partition_config_selectorILNS1_17partition_subalgoE3EjNS0_10empty_typeEbEEZZNS1_14partition_implILS8_3ELb0ES6_jNS0_17counting_iteratorIjlEEPS9_SE_NS0_5tupleIJPjSE_EEENSF_IJSE_SE_EEES9_SG_JZNS1_25segmented_radix_sort_implINS0_14default_configELb0EPK12hip_bfloat16PSL_PKlPlN2at6native12_GLOBAL__N_18offset_tEEE10hipError_tPvRmT1_PNSt15iterator_traitsISZ_E10value_typeET2_T3_PNS10_IS15_E10value_typeET4_jRbjT5_S1B_jjP12ihipStream_tbEUljE_EEESW_SX_SY_S15_S19_S1B_T6_T7_T9_mT8_S1D_bDpT10_ENKUlT_T0_E_clISt17integral_constantIbLb0EES1P_IbLb1EEEEDaS1L_S1M_EUlS1L_E_NS1_11comp_targetILNS1_3genE2ELNS1_11target_archE906ELNS1_3gpuE6ELNS1_3repE0EEENS1_30default_config_static_selectorELNS0_4arch9wavefront6targetE0EEEvSZ_,@function
_ZN7rocprim17ROCPRIM_400000_NS6detail17trampoline_kernelINS0_13select_configILj256ELj13ELNS0_17block_load_methodE3ELS4_3ELS4_3ELNS0_20block_scan_algorithmE0ELj4294967295EEENS1_25partition_config_selectorILNS1_17partition_subalgoE3EjNS0_10empty_typeEbEEZZNS1_14partition_implILS8_3ELb0ES6_jNS0_17counting_iteratorIjlEEPS9_SE_NS0_5tupleIJPjSE_EEENSF_IJSE_SE_EEES9_SG_JZNS1_25segmented_radix_sort_implINS0_14default_configELb0EPK12hip_bfloat16PSL_PKlPlN2at6native12_GLOBAL__N_18offset_tEEE10hipError_tPvRmT1_PNSt15iterator_traitsISZ_E10value_typeET2_T3_PNS10_IS15_E10value_typeET4_jRbjT5_S1B_jjP12ihipStream_tbEUljE_EEESW_SX_SY_S15_S19_S1B_T6_T7_T9_mT8_S1D_bDpT10_ENKUlT_T0_E_clISt17integral_constantIbLb0EES1P_IbLb1EEEEDaS1L_S1M_EUlS1L_E_NS1_11comp_targetILNS1_3genE2ELNS1_11target_archE906ELNS1_3gpuE6ELNS1_3repE0EEENS1_30default_config_static_selectorELNS0_4arch9wavefront6targetE0EEEvSZ_: ; @_ZN7rocprim17ROCPRIM_400000_NS6detail17trampoline_kernelINS0_13select_configILj256ELj13ELNS0_17block_load_methodE3ELS4_3ELS4_3ELNS0_20block_scan_algorithmE0ELj4294967295EEENS1_25partition_config_selectorILNS1_17partition_subalgoE3EjNS0_10empty_typeEbEEZZNS1_14partition_implILS8_3ELb0ES6_jNS0_17counting_iteratorIjlEEPS9_SE_NS0_5tupleIJPjSE_EEENSF_IJSE_SE_EEES9_SG_JZNS1_25segmented_radix_sort_implINS0_14default_configELb0EPK12hip_bfloat16PSL_PKlPlN2at6native12_GLOBAL__N_18offset_tEEE10hipError_tPvRmT1_PNSt15iterator_traitsISZ_E10value_typeET2_T3_PNS10_IS15_E10value_typeET4_jRbjT5_S1B_jjP12ihipStream_tbEUljE_EEESW_SX_SY_S15_S19_S1B_T6_T7_T9_mT8_S1D_bDpT10_ENKUlT_T0_E_clISt17integral_constantIbLb0EES1P_IbLb1EEEEDaS1L_S1M_EUlS1L_E_NS1_11comp_targetILNS1_3genE2ELNS1_11target_archE906ELNS1_3gpuE6ELNS1_3repE0EEENS1_30default_config_static_selectorELNS0_4arch9wavefront6targetE0EEEvSZ_
; %bb.0:
	.section	.rodata,"a",@progbits
	.p2align	6, 0x0
	.amdhsa_kernel _ZN7rocprim17ROCPRIM_400000_NS6detail17trampoline_kernelINS0_13select_configILj256ELj13ELNS0_17block_load_methodE3ELS4_3ELS4_3ELNS0_20block_scan_algorithmE0ELj4294967295EEENS1_25partition_config_selectorILNS1_17partition_subalgoE3EjNS0_10empty_typeEbEEZZNS1_14partition_implILS8_3ELb0ES6_jNS0_17counting_iteratorIjlEEPS9_SE_NS0_5tupleIJPjSE_EEENSF_IJSE_SE_EEES9_SG_JZNS1_25segmented_radix_sort_implINS0_14default_configELb0EPK12hip_bfloat16PSL_PKlPlN2at6native12_GLOBAL__N_18offset_tEEE10hipError_tPvRmT1_PNSt15iterator_traitsISZ_E10value_typeET2_T3_PNS10_IS15_E10value_typeET4_jRbjT5_S1B_jjP12ihipStream_tbEUljE_EEESW_SX_SY_S15_S19_S1B_T6_T7_T9_mT8_S1D_bDpT10_ENKUlT_T0_E_clISt17integral_constantIbLb0EES1P_IbLb1EEEEDaS1L_S1M_EUlS1L_E_NS1_11comp_targetILNS1_3genE2ELNS1_11target_archE906ELNS1_3gpuE6ELNS1_3repE0EEENS1_30default_config_static_selectorELNS0_4arch9wavefront6targetE0EEEvSZ_
		.amdhsa_group_segment_fixed_size 0
		.amdhsa_private_segment_fixed_size 0
		.amdhsa_kernarg_size 152
		.amdhsa_user_sgpr_count 2
		.amdhsa_user_sgpr_dispatch_ptr 0
		.amdhsa_user_sgpr_queue_ptr 0
		.amdhsa_user_sgpr_kernarg_segment_ptr 1
		.amdhsa_user_sgpr_dispatch_id 0
		.amdhsa_user_sgpr_private_segment_size 0
		.amdhsa_wavefront_size32 1
		.amdhsa_uses_dynamic_stack 0
		.amdhsa_enable_private_segment 0
		.amdhsa_system_sgpr_workgroup_id_x 1
		.amdhsa_system_sgpr_workgroup_id_y 0
		.amdhsa_system_sgpr_workgroup_id_z 0
		.amdhsa_system_sgpr_workgroup_info 0
		.amdhsa_system_vgpr_workitem_id 0
		.amdhsa_next_free_vgpr 1
		.amdhsa_next_free_sgpr 1
		.amdhsa_reserve_vcc 0
		.amdhsa_float_round_mode_32 0
		.amdhsa_float_round_mode_16_64 0
		.amdhsa_float_denorm_mode_32 3
		.amdhsa_float_denorm_mode_16_64 3
		.amdhsa_fp16_overflow 0
		.amdhsa_workgroup_processor_mode 1
		.amdhsa_memory_ordered 1
		.amdhsa_forward_progress 1
		.amdhsa_inst_pref_size 0
		.amdhsa_round_robin_scheduling 0
		.amdhsa_exception_fp_ieee_invalid_op 0
		.amdhsa_exception_fp_denorm_src 0
		.amdhsa_exception_fp_ieee_div_zero 0
		.amdhsa_exception_fp_ieee_overflow 0
		.amdhsa_exception_fp_ieee_underflow 0
		.amdhsa_exception_fp_ieee_inexact 0
		.amdhsa_exception_int_div_zero 0
	.end_amdhsa_kernel
	.section	.text._ZN7rocprim17ROCPRIM_400000_NS6detail17trampoline_kernelINS0_13select_configILj256ELj13ELNS0_17block_load_methodE3ELS4_3ELS4_3ELNS0_20block_scan_algorithmE0ELj4294967295EEENS1_25partition_config_selectorILNS1_17partition_subalgoE3EjNS0_10empty_typeEbEEZZNS1_14partition_implILS8_3ELb0ES6_jNS0_17counting_iteratorIjlEEPS9_SE_NS0_5tupleIJPjSE_EEENSF_IJSE_SE_EEES9_SG_JZNS1_25segmented_radix_sort_implINS0_14default_configELb0EPK12hip_bfloat16PSL_PKlPlN2at6native12_GLOBAL__N_18offset_tEEE10hipError_tPvRmT1_PNSt15iterator_traitsISZ_E10value_typeET2_T3_PNS10_IS15_E10value_typeET4_jRbjT5_S1B_jjP12ihipStream_tbEUljE_EEESW_SX_SY_S15_S19_S1B_T6_T7_T9_mT8_S1D_bDpT10_ENKUlT_T0_E_clISt17integral_constantIbLb0EES1P_IbLb1EEEEDaS1L_S1M_EUlS1L_E_NS1_11comp_targetILNS1_3genE2ELNS1_11target_archE906ELNS1_3gpuE6ELNS1_3repE0EEENS1_30default_config_static_selectorELNS0_4arch9wavefront6targetE0EEEvSZ_,"axG",@progbits,_ZN7rocprim17ROCPRIM_400000_NS6detail17trampoline_kernelINS0_13select_configILj256ELj13ELNS0_17block_load_methodE3ELS4_3ELS4_3ELNS0_20block_scan_algorithmE0ELj4294967295EEENS1_25partition_config_selectorILNS1_17partition_subalgoE3EjNS0_10empty_typeEbEEZZNS1_14partition_implILS8_3ELb0ES6_jNS0_17counting_iteratorIjlEEPS9_SE_NS0_5tupleIJPjSE_EEENSF_IJSE_SE_EEES9_SG_JZNS1_25segmented_radix_sort_implINS0_14default_configELb0EPK12hip_bfloat16PSL_PKlPlN2at6native12_GLOBAL__N_18offset_tEEE10hipError_tPvRmT1_PNSt15iterator_traitsISZ_E10value_typeET2_T3_PNS10_IS15_E10value_typeET4_jRbjT5_S1B_jjP12ihipStream_tbEUljE_EEESW_SX_SY_S15_S19_S1B_T6_T7_T9_mT8_S1D_bDpT10_ENKUlT_T0_E_clISt17integral_constantIbLb0EES1P_IbLb1EEEEDaS1L_S1M_EUlS1L_E_NS1_11comp_targetILNS1_3genE2ELNS1_11target_archE906ELNS1_3gpuE6ELNS1_3repE0EEENS1_30default_config_static_selectorELNS0_4arch9wavefront6targetE0EEEvSZ_,comdat
.Lfunc_end2045:
	.size	_ZN7rocprim17ROCPRIM_400000_NS6detail17trampoline_kernelINS0_13select_configILj256ELj13ELNS0_17block_load_methodE3ELS4_3ELS4_3ELNS0_20block_scan_algorithmE0ELj4294967295EEENS1_25partition_config_selectorILNS1_17partition_subalgoE3EjNS0_10empty_typeEbEEZZNS1_14partition_implILS8_3ELb0ES6_jNS0_17counting_iteratorIjlEEPS9_SE_NS0_5tupleIJPjSE_EEENSF_IJSE_SE_EEES9_SG_JZNS1_25segmented_radix_sort_implINS0_14default_configELb0EPK12hip_bfloat16PSL_PKlPlN2at6native12_GLOBAL__N_18offset_tEEE10hipError_tPvRmT1_PNSt15iterator_traitsISZ_E10value_typeET2_T3_PNS10_IS15_E10value_typeET4_jRbjT5_S1B_jjP12ihipStream_tbEUljE_EEESW_SX_SY_S15_S19_S1B_T6_T7_T9_mT8_S1D_bDpT10_ENKUlT_T0_E_clISt17integral_constantIbLb0EES1P_IbLb1EEEEDaS1L_S1M_EUlS1L_E_NS1_11comp_targetILNS1_3genE2ELNS1_11target_archE906ELNS1_3gpuE6ELNS1_3repE0EEENS1_30default_config_static_selectorELNS0_4arch9wavefront6targetE0EEEvSZ_, .Lfunc_end2045-_ZN7rocprim17ROCPRIM_400000_NS6detail17trampoline_kernelINS0_13select_configILj256ELj13ELNS0_17block_load_methodE3ELS4_3ELS4_3ELNS0_20block_scan_algorithmE0ELj4294967295EEENS1_25partition_config_selectorILNS1_17partition_subalgoE3EjNS0_10empty_typeEbEEZZNS1_14partition_implILS8_3ELb0ES6_jNS0_17counting_iteratorIjlEEPS9_SE_NS0_5tupleIJPjSE_EEENSF_IJSE_SE_EEES9_SG_JZNS1_25segmented_radix_sort_implINS0_14default_configELb0EPK12hip_bfloat16PSL_PKlPlN2at6native12_GLOBAL__N_18offset_tEEE10hipError_tPvRmT1_PNSt15iterator_traitsISZ_E10value_typeET2_T3_PNS10_IS15_E10value_typeET4_jRbjT5_S1B_jjP12ihipStream_tbEUljE_EEESW_SX_SY_S15_S19_S1B_T6_T7_T9_mT8_S1D_bDpT10_ENKUlT_T0_E_clISt17integral_constantIbLb0EES1P_IbLb1EEEEDaS1L_S1M_EUlS1L_E_NS1_11comp_targetILNS1_3genE2ELNS1_11target_archE906ELNS1_3gpuE6ELNS1_3repE0EEENS1_30default_config_static_selectorELNS0_4arch9wavefront6targetE0EEEvSZ_
                                        ; -- End function
	.set _ZN7rocprim17ROCPRIM_400000_NS6detail17trampoline_kernelINS0_13select_configILj256ELj13ELNS0_17block_load_methodE3ELS4_3ELS4_3ELNS0_20block_scan_algorithmE0ELj4294967295EEENS1_25partition_config_selectorILNS1_17partition_subalgoE3EjNS0_10empty_typeEbEEZZNS1_14partition_implILS8_3ELb0ES6_jNS0_17counting_iteratorIjlEEPS9_SE_NS0_5tupleIJPjSE_EEENSF_IJSE_SE_EEES9_SG_JZNS1_25segmented_radix_sort_implINS0_14default_configELb0EPK12hip_bfloat16PSL_PKlPlN2at6native12_GLOBAL__N_18offset_tEEE10hipError_tPvRmT1_PNSt15iterator_traitsISZ_E10value_typeET2_T3_PNS10_IS15_E10value_typeET4_jRbjT5_S1B_jjP12ihipStream_tbEUljE_EEESW_SX_SY_S15_S19_S1B_T6_T7_T9_mT8_S1D_bDpT10_ENKUlT_T0_E_clISt17integral_constantIbLb0EES1P_IbLb1EEEEDaS1L_S1M_EUlS1L_E_NS1_11comp_targetILNS1_3genE2ELNS1_11target_archE906ELNS1_3gpuE6ELNS1_3repE0EEENS1_30default_config_static_selectorELNS0_4arch9wavefront6targetE0EEEvSZ_.num_vgpr, 0
	.set _ZN7rocprim17ROCPRIM_400000_NS6detail17trampoline_kernelINS0_13select_configILj256ELj13ELNS0_17block_load_methodE3ELS4_3ELS4_3ELNS0_20block_scan_algorithmE0ELj4294967295EEENS1_25partition_config_selectorILNS1_17partition_subalgoE3EjNS0_10empty_typeEbEEZZNS1_14partition_implILS8_3ELb0ES6_jNS0_17counting_iteratorIjlEEPS9_SE_NS0_5tupleIJPjSE_EEENSF_IJSE_SE_EEES9_SG_JZNS1_25segmented_radix_sort_implINS0_14default_configELb0EPK12hip_bfloat16PSL_PKlPlN2at6native12_GLOBAL__N_18offset_tEEE10hipError_tPvRmT1_PNSt15iterator_traitsISZ_E10value_typeET2_T3_PNS10_IS15_E10value_typeET4_jRbjT5_S1B_jjP12ihipStream_tbEUljE_EEESW_SX_SY_S15_S19_S1B_T6_T7_T9_mT8_S1D_bDpT10_ENKUlT_T0_E_clISt17integral_constantIbLb0EES1P_IbLb1EEEEDaS1L_S1M_EUlS1L_E_NS1_11comp_targetILNS1_3genE2ELNS1_11target_archE906ELNS1_3gpuE6ELNS1_3repE0EEENS1_30default_config_static_selectorELNS0_4arch9wavefront6targetE0EEEvSZ_.num_agpr, 0
	.set _ZN7rocprim17ROCPRIM_400000_NS6detail17trampoline_kernelINS0_13select_configILj256ELj13ELNS0_17block_load_methodE3ELS4_3ELS4_3ELNS0_20block_scan_algorithmE0ELj4294967295EEENS1_25partition_config_selectorILNS1_17partition_subalgoE3EjNS0_10empty_typeEbEEZZNS1_14partition_implILS8_3ELb0ES6_jNS0_17counting_iteratorIjlEEPS9_SE_NS0_5tupleIJPjSE_EEENSF_IJSE_SE_EEES9_SG_JZNS1_25segmented_radix_sort_implINS0_14default_configELb0EPK12hip_bfloat16PSL_PKlPlN2at6native12_GLOBAL__N_18offset_tEEE10hipError_tPvRmT1_PNSt15iterator_traitsISZ_E10value_typeET2_T3_PNS10_IS15_E10value_typeET4_jRbjT5_S1B_jjP12ihipStream_tbEUljE_EEESW_SX_SY_S15_S19_S1B_T6_T7_T9_mT8_S1D_bDpT10_ENKUlT_T0_E_clISt17integral_constantIbLb0EES1P_IbLb1EEEEDaS1L_S1M_EUlS1L_E_NS1_11comp_targetILNS1_3genE2ELNS1_11target_archE906ELNS1_3gpuE6ELNS1_3repE0EEENS1_30default_config_static_selectorELNS0_4arch9wavefront6targetE0EEEvSZ_.numbered_sgpr, 0
	.set _ZN7rocprim17ROCPRIM_400000_NS6detail17trampoline_kernelINS0_13select_configILj256ELj13ELNS0_17block_load_methodE3ELS4_3ELS4_3ELNS0_20block_scan_algorithmE0ELj4294967295EEENS1_25partition_config_selectorILNS1_17partition_subalgoE3EjNS0_10empty_typeEbEEZZNS1_14partition_implILS8_3ELb0ES6_jNS0_17counting_iteratorIjlEEPS9_SE_NS0_5tupleIJPjSE_EEENSF_IJSE_SE_EEES9_SG_JZNS1_25segmented_radix_sort_implINS0_14default_configELb0EPK12hip_bfloat16PSL_PKlPlN2at6native12_GLOBAL__N_18offset_tEEE10hipError_tPvRmT1_PNSt15iterator_traitsISZ_E10value_typeET2_T3_PNS10_IS15_E10value_typeET4_jRbjT5_S1B_jjP12ihipStream_tbEUljE_EEESW_SX_SY_S15_S19_S1B_T6_T7_T9_mT8_S1D_bDpT10_ENKUlT_T0_E_clISt17integral_constantIbLb0EES1P_IbLb1EEEEDaS1L_S1M_EUlS1L_E_NS1_11comp_targetILNS1_3genE2ELNS1_11target_archE906ELNS1_3gpuE6ELNS1_3repE0EEENS1_30default_config_static_selectorELNS0_4arch9wavefront6targetE0EEEvSZ_.num_named_barrier, 0
	.set _ZN7rocprim17ROCPRIM_400000_NS6detail17trampoline_kernelINS0_13select_configILj256ELj13ELNS0_17block_load_methodE3ELS4_3ELS4_3ELNS0_20block_scan_algorithmE0ELj4294967295EEENS1_25partition_config_selectorILNS1_17partition_subalgoE3EjNS0_10empty_typeEbEEZZNS1_14partition_implILS8_3ELb0ES6_jNS0_17counting_iteratorIjlEEPS9_SE_NS0_5tupleIJPjSE_EEENSF_IJSE_SE_EEES9_SG_JZNS1_25segmented_radix_sort_implINS0_14default_configELb0EPK12hip_bfloat16PSL_PKlPlN2at6native12_GLOBAL__N_18offset_tEEE10hipError_tPvRmT1_PNSt15iterator_traitsISZ_E10value_typeET2_T3_PNS10_IS15_E10value_typeET4_jRbjT5_S1B_jjP12ihipStream_tbEUljE_EEESW_SX_SY_S15_S19_S1B_T6_T7_T9_mT8_S1D_bDpT10_ENKUlT_T0_E_clISt17integral_constantIbLb0EES1P_IbLb1EEEEDaS1L_S1M_EUlS1L_E_NS1_11comp_targetILNS1_3genE2ELNS1_11target_archE906ELNS1_3gpuE6ELNS1_3repE0EEENS1_30default_config_static_selectorELNS0_4arch9wavefront6targetE0EEEvSZ_.private_seg_size, 0
	.set _ZN7rocprim17ROCPRIM_400000_NS6detail17trampoline_kernelINS0_13select_configILj256ELj13ELNS0_17block_load_methodE3ELS4_3ELS4_3ELNS0_20block_scan_algorithmE0ELj4294967295EEENS1_25partition_config_selectorILNS1_17partition_subalgoE3EjNS0_10empty_typeEbEEZZNS1_14partition_implILS8_3ELb0ES6_jNS0_17counting_iteratorIjlEEPS9_SE_NS0_5tupleIJPjSE_EEENSF_IJSE_SE_EEES9_SG_JZNS1_25segmented_radix_sort_implINS0_14default_configELb0EPK12hip_bfloat16PSL_PKlPlN2at6native12_GLOBAL__N_18offset_tEEE10hipError_tPvRmT1_PNSt15iterator_traitsISZ_E10value_typeET2_T3_PNS10_IS15_E10value_typeET4_jRbjT5_S1B_jjP12ihipStream_tbEUljE_EEESW_SX_SY_S15_S19_S1B_T6_T7_T9_mT8_S1D_bDpT10_ENKUlT_T0_E_clISt17integral_constantIbLb0EES1P_IbLb1EEEEDaS1L_S1M_EUlS1L_E_NS1_11comp_targetILNS1_3genE2ELNS1_11target_archE906ELNS1_3gpuE6ELNS1_3repE0EEENS1_30default_config_static_selectorELNS0_4arch9wavefront6targetE0EEEvSZ_.uses_vcc, 0
	.set _ZN7rocprim17ROCPRIM_400000_NS6detail17trampoline_kernelINS0_13select_configILj256ELj13ELNS0_17block_load_methodE3ELS4_3ELS4_3ELNS0_20block_scan_algorithmE0ELj4294967295EEENS1_25partition_config_selectorILNS1_17partition_subalgoE3EjNS0_10empty_typeEbEEZZNS1_14partition_implILS8_3ELb0ES6_jNS0_17counting_iteratorIjlEEPS9_SE_NS0_5tupleIJPjSE_EEENSF_IJSE_SE_EEES9_SG_JZNS1_25segmented_radix_sort_implINS0_14default_configELb0EPK12hip_bfloat16PSL_PKlPlN2at6native12_GLOBAL__N_18offset_tEEE10hipError_tPvRmT1_PNSt15iterator_traitsISZ_E10value_typeET2_T3_PNS10_IS15_E10value_typeET4_jRbjT5_S1B_jjP12ihipStream_tbEUljE_EEESW_SX_SY_S15_S19_S1B_T6_T7_T9_mT8_S1D_bDpT10_ENKUlT_T0_E_clISt17integral_constantIbLb0EES1P_IbLb1EEEEDaS1L_S1M_EUlS1L_E_NS1_11comp_targetILNS1_3genE2ELNS1_11target_archE906ELNS1_3gpuE6ELNS1_3repE0EEENS1_30default_config_static_selectorELNS0_4arch9wavefront6targetE0EEEvSZ_.uses_flat_scratch, 0
	.set _ZN7rocprim17ROCPRIM_400000_NS6detail17trampoline_kernelINS0_13select_configILj256ELj13ELNS0_17block_load_methodE3ELS4_3ELS4_3ELNS0_20block_scan_algorithmE0ELj4294967295EEENS1_25partition_config_selectorILNS1_17partition_subalgoE3EjNS0_10empty_typeEbEEZZNS1_14partition_implILS8_3ELb0ES6_jNS0_17counting_iteratorIjlEEPS9_SE_NS0_5tupleIJPjSE_EEENSF_IJSE_SE_EEES9_SG_JZNS1_25segmented_radix_sort_implINS0_14default_configELb0EPK12hip_bfloat16PSL_PKlPlN2at6native12_GLOBAL__N_18offset_tEEE10hipError_tPvRmT1_PNSt15iterator_traitsISZ_E10value_typeET2_T3_PNS10_IS15_E10value_typeET4_jRbjT5_S1B_jjP12ihipStream_tbEUljE_EEESW_SX_SY_S15_S19_S1B_T6_T7_T9_mT8_S1D_bDpT10_ENKUlT_T0_E_clISt17integral_constantIbLb0EES1P_IbLb1EEEEDaS1L_S1M_EUlS1L_E_NS1_11comp_targetILNS1_3genE2ELNS1_11target_archE906ELNS1_3gpuE6ELNS1_3repE0EEENS1_30default_config_static_selectorELNS0_4arch9wavefront6targetE0EEEvSZ_.has_dyn_sized_stack, 0
	.set _ZN7rocprim17ROCPRIM_400000_NS6detail17trampoline_kernelINS0_13select_configILj256ELj13ELNS0_17block_load_methodE3ELS4_3ELS4_3ELNS0_20block_scan_algorithmE0ELj4294967295EEENS1_25partition_config_selectorILNS1_17partition_subalgoE3EjNS0_10empty_typeEbEEZZNS1_14partition_implILS8_3ELb0ES6_jNS0_17counting_iteratorIjlEEPS9_SE_NS0_5tupleIJPjSE_EEENSF_IJSE_SE_EEES9_SG_JZNS1_25segmented_radix_sort_implINS0_14default_configELb0EPK12hip_bfloat16PSL_PKlPlN2at6native12_GLOBAL__N_18offset_tEEE10hipError_tPvRmT1_PNSt15iterator_traitsISZ_E10value_typeET2_T3_PNS10_IS15_E10value_typeET4_jRbjT5_S1B_jjP12ihipStream_tbEUljE_EEESW_SX_SY_S15_S19_S1B_T6_T7_T9_mT8_S1D_bDpT10_ENKUlT_T0_E_clISt17integral_constantIbLb0EES1P_IbLb1EEEEDaS1L_S1M_EUlS1L_E_NS1_11comp_targetILNS1_3genE2ELNS1_11target_archE906ELNS1_3gpuE6ELNS1_3repE0EEENS1_30default_config_static_selectorELNS0_4arch9wavefront6targetE0EEEvSZ_.has_recursion, 0
	.set _ZN7rocprim17ROCPRIM_400000_NS6detail17trampoline_kernelINS0_13select_configILj256ELj13ELNS0_17block_load_methodE3ELS4_3ELS4_3ELNS0_20block_scan_algorithmE0ELj4294967295EEENS1_25partition_config_selectorILNS1_17partition_subalgoE3EjNS0_10empty_typeEbEEZZNS1_14partition_implILS8_3ELb0ES6_jNS0_17counting_iteratorIjlEEPS9_SE_NS0_5tupleIJPjSE_EEENSF_IJSE_SE_EEES9_SG_JZNS1_25segmented_radix_sort_implINS0_14default_configELb0EPK12hip_bfloat16PSL_PKlPlN2at6native12_GLOBAL__N_18offset_tEEE10hipError_tPvRmT1_PNSt15iterator_traitsISZ_E10value_typeET2_T3_PNS10_IS15_E10value_typeET4_jRbjT5_S1B_jjP12ihipStream_tbEUljE_EEESW_SX_SY_S15_S19_S1B_T6_T7_T9_mT8_S1D_bDpT10_ENKUlT_T0_E_clISt17integral_constantIbLb0EES1P_IbLb1EEEEDaS1L_S1M_EUlS1L_E_NS1_11comp_targetILNS1_3genE2ELNS1_11target_archE906ELNS1_3gpuE6ELNS1_3repE0EEENS1_30default_config_static_selectorELNS0_4arch9wavefront6targetE0EEEvSZ_.has_indirect_call, 0
	.section	.AMDGPU.csdata,"",@progbits
; Kernel info:
; codeLenInByte = 0
; TotalNumSgprs: 0
; NumVgprs: 0
; ScratchSize: 0
; MemoryBound: 0
; FloatMode: 240
; IeeeMode: 1
; LDSByteSize: 0 bytes/workgroup (compile time only)
; SGPRBlocks: 0
; VGPRBlocks: 0
; NumSGPRsForWavesPerEU: 1
; NumVGPRsForWavesPerEU: 1
; Occupancy: 16
; WaveLimiterHint : 0
; COMPUTE_PGM_RSRC2:SCRATCH_EN: 0
; COMPUTE_PGM_RSRC2:USER_SGPR: 2
; COMPUTE_PGM_RSRC2:TRAP_HANDLER: 0
; COMPUTE_PGM_RSRC2:TGID_X_EN: 1
; COMPUTE_PGM_RSRC2:TGID_Y_EN: 0
; COMPUTE_PGM_RSRC2:TGID_Z_EN: 0
; COMPUTE_PGM_RSRC2:TIDIG_COMP_CNT: 0
	.section	.text._ZN7rocprim17ROCPRIM_400000_NS6detail17trampoline_kernelINS0_13select_configILj256ELj13ELNS0_17block_load_methodE3ELS4_3ELS4_3ELNS0_20block_scan_algorithmE0ELj4294967295EEENS1_25partition_config_selectorILNS1_17partition_subalgoE3EjNS0_10empty_typeEbEEZZNS1_14partition_implILS8_3ELb0ES6_jNS0_17counting_iteratorIjlEEPS9_SE_NS0_5tupleIJPjSE_EEENSF_IJSE_SE_EEES9_SG_JZNS1_25segmented_radix_sort_implINS0_14default_configELb0EPK12hip_bfloat16PSL_PKlPlN2at6native12_GLOBAL__N_18offset_tEEE10hipError_tPvRmT1_PNSt15iterator_traitsISZ_E10value_typeET2_T3_PNS10_IS15_E10value_typeET4_jRbjT5_S1B_jjP12ihipStream_tbEUljE_EEESW_SX_SY_S15_S19_S1B_T6_T7_T9_mT8_S1D_bDpT10_ENKUlT_T0_E_clISt17integral_constantIbLb0EES1P_IbLb1EEEEDaS1L_S1M_EUlS1L_E_NS1_11comp_targetILNS1_3genE10ELNS1_11target_archE1200ELNS1_3gpuE4ELNS1_3repE0EEENS1_30default_config_static_selectorELNS0_4arch9wavefront6targetE0EEEvSZ_,"axG",@progbits,_ZN7rocprim17ROCPRIM_400000_NS6detail17trampoline_kernelINS0_13select_configILj256ELj13ELNS0_17block_load_methodE3ELS4_3ELS4_3ELNS0_20block_scan_algorithmE0ELj4294967295EEENS1_25partition_config_selectorILNS1_17partition_subalgoE3EjNS0_10empty_typeEbEEZZNS1_14partition_implILS8_3ELb0ES6_jNS0_17counting_iteratorIjlEEPS9_SE_NS0_5tupleIJPjSE_EEENSF_IJSE_SE_EEES9_SG_JZNS1_25segmented_radix_sort_implINS0_14default_configELb0EPK12hip_bfloat16PSL_PKlPlN2at6native12_GLOBAL__N_18offset_tEEE10hipError_tPvRmT1_PNSt15iterator_traitsISZ_E10value_typeET2_T3_PNS10_IS15_E10value_typeET4_jRbjT5_S1B_jjP12ihipStream_tbEUljE_EEESW_SX_SY_S15_S19_S1B_T6_T7_T9_mT8_S1D_bDpT10_ENKUlT_T0_E_clISt17integral_constantIbLb0EES1P_IbLb1EEEEDaS1L_S1M_EUlS1L_E_NS1_11comp_targetILNS1_3genE10ELNS1_11target_archE1200ELNS1_3gpuE4ELNS1_3repE0EEENS1_30default_config_static_selectorELNS0_4arch9wavefront6targetE0EEEvSZ_,comdat
	.globl	_ZN7rocprim17ROCPRIM_400000_NS6detail17trampoline_kernelINS0_13select_configILj256ELj13ELNS0_17block_load_methodE3ELS4_3ELS4_3ELNS0_20block_scan_algorithmE0ELj4294967295EEENS1_25partition_config_selectorILNS1_17partition_subalgoE3EjNS0_10empty_typeEbEEZZNS1_14partition_implILS8_3ELb0ES6_jNS0_17counting_iteratorIjlEEPS9_SE_NS0_5tupleIJPjSE_EEENSF_IJSE_SE_EEES9_SG_JZNS1_25segmented_radix_sort_implINS0_14default_configELb0EPK12hip_bfloat16PSL_PKlPlN2at6native12_GLOBAL__N_18offset_tEEE10hipError_tPvRmT1_PNSt15iterator_traitsISZ_E10value_typeET2_T3_PNS10_IS15_E10value_typeET4_jRbjT5_S1B_jjP12ihipStream_tbEUljE_EEESW_SX_SY_S15_S19_S1B_T6_T7_T9_mT8_S1D_bDpT10_ENKUlT_T0_E_clISt17integral_constantIbLb0EES1P_IbLb1EEEEDaS1L_S1M_EUlS1L_E_NS1_11comp_targetILNS1_3genE10ELNS1_11target_archE1200ELNS1_3gpuE4ELNS1_3repE0EEENS1_30default_config_static_selectorELNS0_4arch9wavefront6targetE0EEEvSZ_ ; -- Begin function _ZN7rocprim17ROCPRIM_400000_NS6detail17trampoline_kernelINS0_13select_configILj256ELj13ELNS0_17block_load_methodE3ELS4_3ELS4_3ELNS0_20block_scan_algorithmE0ELj4294967295EEENS1_25partition_config_selectorILNS1_17partition_subalgoE3EjNS0_10empty_typeEbEEZZNS1_14partition_implILS8_3ELb0ES6_jNS0_17counting_iteratorIjlEEPS9_SE_NS0_5tupleIJPjSE_EEENSF_IJSE_SE_EEES9_SG_JZNS1_25segmented_radix_sort_implINS0_14default_configELb0EPK12hip_bfloat16PSL_PKlPlN2at6native12_GLOBAL__N_18offset_tEEE10hipError_tPvRmT1_PNSt15iterator_traitsISZ_E10value_typeET2_T3_PNS10_IS15_E10value_typeET4_jRbjT5_S1B_jjP12ihipStream_tbEUljE_EEESW_SX_SY_S15_S19_S1B_T6_T7_T9_mT8_S1D_bDpT10_ENKUlT_T0_E_clISt17integral_constantIbLb0EES1P_IbLb1EEEEDaS1L_S1M_EUlS1L_E_NS1_11comp_targetILNS1_3genE10ELNS1_11target_archE1200ELNS1_3gpuE4ELNS1_3repE0EEENS1_30default_config_static_selectorELNS0_4arch9wavefront6targetE0EEEvSZ_
	.p2align	8
	.type	_ZN7rocprim17ROCPRIM_400000_NS6detail17trampoline_kernelINS0_13select_configILj256ELj13ELNS0_17block_load_methodE3ELS4_3ELS4_3ELNS0_20block_scan_algorithmE0ELj4294967295EEENS1_25partition_config_selectorILNS1_17partition_subalgoE3EjNS0_10empty_typeEbEEZZNS1_14partition_implILS8_3ELb0ES6_jNS0_17counting_iteratorIjlEEPS9_SE_NS0_5tupleIJPjSE_EEENSF_IJSE_SE_EEES9_SG_JZNS1_25segmented_radix_sort_implINS0_14default_configELb0EPK12hip_bfloat16PSL_PKlPlN2at6native12_GLOBAL__N_18offset_tEEE10hipError_tPvRmT1_PNSt15iterator_traitsISZ_E10value_typeET2_T3_PNS10_IS15_E10value_typeET4_jRbjT5_S1B_jjP12ihipStream_tbEUljE_EEESW_SX_SY_S15_S19_S1B_T6_T7_T9_mT8_S1D_bDpT10_ENKUlT_T0_E_clISt17integral_constantIbLb0EES1P_IbLb1EEEEDaS1L_S1M_EUlS1L_E_NS1_11comp_targetILNS1_3genE10ELNS1_11target_archE1200ELNS1_3gpuE4ELNS1_3repE0EEENS1_30default_config_static_selectorELNS0_4arch9wavefront6targetE0EEEvSZ_,@function
_ZN7rocprim17ROCPRIM_400000_NS6detail17trampoline_kernelINS0_13select_configILj256ELj13ELNS0_17block_load_methodE3ELS4_3ELS4_3ELNS0_20block_scan_algorithmE0ELj4294967295EEENS1_25partition_config_selectorILNS1_17partition_subalgoE3EjNS0_10empty_typeEbEEZZNS1_14partition_implILS8_3ELb0ES6_jNS0_17counting_iteratorIjlEEPS9_SE_NS0_5tupleIJPjSE_EEENSF_IJSE_SE_EEES9_SG_JZNS1_25segmented_radix_sort_implINS0_14default_configELb0EPK12hip_bfloat16PSL_PKlPlN2at6native12_GLOBAL__N_18offset_tEEE10hipError_tPvRmT1_PNSt15iterator_traitsISZ_E10value_typeET2_T3_PNS10_IS15_E10value_typeET4_jRbjT5_S1B_jjP12ihipStream_tbEUljE_EEESW_SX_SY_S15_S19_S1B_T6_T7_T9_mT8_S1D_bDpT10_ENKUlT_T0_E_clISt17integral_constantIbLb0EES1P_IbLb1EEEEDaS1L_S1M_EUlS1L_E_NS1_11comp_targetILNS1_3genE10ELNS1_11target_archE1200ELNS1_3gpuE4ELNS1_3repE0EEENS1_30default_config_static_selectorELNS0_4arch9wavefront6targetE0EEEvSZ_: ; @_ZN7rocprim17ROCPRIM_400000_NS6detail17trampoline_kernelINS0_13select_configILj256ELj13ELNS0_17block_load_methodE3ELS4_3ELS4_3ELNS0_20block_scan_algorithmE0ELj4294967295EEENS1_25partition_config_selectorILNS1_17partition_subalgoE3EjNS0_10empty_typeEbEEZZNS1_14partition_implILS8_3ELb0ES6_jNS0_17counting_iteratorIjlEEPS9_SE_NS0_5tupleIJPjSE_EEENSF_IJSE_SE_EEES9_SG_JZNS1_25segmented_radix_sort_implINS0_14default_configELb0EPK12hip_bfloat16PSL_PKlPlN2at6native12_GLOBAL__N_18offset_tEEE10hipError_tPvRmT1_PNSt15iterator_traitsISZ_E10value_typeET2_T3_PNS10_IS15_E10value_typeET4_jRbjT5_S1B_jjP12ihipStream_tbEUljE_EEESW_SX_SY_S15_S19_S1B_T6_T7_T9_mT8_S1D_bDpT10_ENKUlT_T0_E_clISt17integral_constantIbLb0EES1P_IbLb1EEEEDaS1L_S1M_EUlS1L_E_NS1_11comp_targetILNS1_3genE10ELNS1_11target_archE1200ELNS1_3gpuE4ELNS1_3repE0EEENS1_30default_config_static_selectorELNS0_4arch9wavefront6targetE0EEEvSZ_
; %bb.0:
	s_clause 0x6
	s_load_b64 s[16:17], s[0:1], 0x10
	s_load_b64 s[10:11], s[0:1], 0x28
	;; [unrolled: 1-line block ×3, first 2 shown]
	s_load_b128 s[12:15], s[0:1], 0x48
	s_load_b32 s3, s[0:1], 0x90
	s_load_b64 s[20:21], s[0:1], 0x68
	s_load_b128 s[4:7], s[0:1], 0x80
	v_cmp_eq_u32_e64 s2, 0, v0
	s_and_saveexec_b32 s8, s2
	s_cbranch_execz .LBB2046_4
; %bb.1:
	s_mov_b32 s22, exec_lo
	s_mov_b32 s9, exec_lo
	v_mbcnt_lo_u32_b32 v1, s22, 0
                                        ; implicit-def: $vgpr2
	s_delay_alu instid0(VALU_DEP_1)
	v_cmpx_eq_u32_e32 0, v1
	s_cbranch_execz .LBB2046_3
; %bb.2:
	s_load_b64 s[24:25], s[0:1], 0x78
	s_bcnt1_i32_b32 s22, s22
	s_wait_alu 0xfffe
	v_dual_mov_b32 v2, 0 :: v_dual_mov_b32 v3, s22
	s_wait_kmcnt 0x0
	global_atomic_add_u32 v2, v2, v3, s[24:25] th:TH_ATOMIC_RETURN scope:SCOPE_DEV
.LBB2046_3:
	s_or_b32 exec_lo, exec_lo, s9
	s_wait_loadcnt 0x0
	v_readfirstlane_b32 s9, v2
	s_delay_alu instid0(VALU_DEP_1)
	v_dual_mov_b32 v2, 0 :: v_dual_add_nc_u32 v1, s9, v1
	ds_store_b32 v2, v1
.LBB2046_4:
	s_or_b32 exec_lo, exec_lo, s8
	v_mov_b32_e32 v1, 0
	s_clause 0x1
	s_load_b32 s8, s[0:1], 0x8
	s_load_b32 s0, s[0:1], 0x70
	s_wait_dscnt 0x0
	s_barrier_signal -1
	s_barrier_wait -1
	global_inv scope:SCOPE_SE
	ds_load_b32 v2, v1
	s_wait_loadcnt_dscnt 0x0
	s_barrier_signal -1
	s_barrier_wait -1
	global_inv scope:SCOPE_SE
	s_wait_kmcnt 0x0
	global_load_b64 v[17:18], v1, s[14:15]
	s_mov_b32 s1, 0
	v_lshlrev_b32_e32 v45, 2, v0
	s_mov_b32 s23, -1
	s_add_co_i32 s8, s8, s16
	s_add_co_i32 s9, s0, -1
	s_mulk_i32 s0, 0xd00
	s_delay_alu instid0(SALU_CYCLE_1)
	s_add_co_i32 s14, s0, s16
	s_add_nc_u64 s[0:1], s[16:17], s[0:1]
	v_readfirstlane_b32 s15, v2
	v_cmp_gt_u64_e64 s0, s[18:19], s[0:1]
	s_sub_co_i32 s22, s18, s14
	s_wait_alu 0xfffe
	v_cmp_ne_u32_e32 vcc_lo, s9, v2
	s_addk_co_i32 s22, 0xd00
	s_cmp_eq_u32 s15, s9
	s_mul_i32 s14, s15, 0xd00
	s_cselect_b32 s9, -1, 0
	s_or_b32 s1, s0, vcc_lo
	s_wait_alu 0xfffe
	s_and_b32 vcc_lo, exec_lo, s1
	s_cbranch_vccz .LBB2046_6
; %bb.5:
	v_add3_u32 v1, s14, s8, v0
	s_mov_b32 s23, 0
	s_delay_alu instid0(VALU_DEP_1)
	v_add_nc_u32_e32 v2, 0x100, v1
	v_add_nc_u32_e32 v3, 0x200, v1
	;; [unrolled: 1-line block ×12, first 2 shown]
	ds_store_2addr_stride64_b32 v45, v1, v2 offset1:4
	ds_store_2addr_stride64_b32 v45, v3, v4 offset0:8 offset1:12
	ds_store_2addr_stride64_b32 v45, v5, v6 offset0:16 offset1:20
	;; [unrolled: 1-line block ×5, first 2 shown]
	ds_store_b32 v45, v13 offset:12288
	s_wait_loadcnt_dscnt 0x0
	s_barrier_signal -1
	s_barrier_wait -1
.LBB2046_6:
	v_cmp_gt_u32_e64 s0, s22, v0
	v_or_b32_e32 v44, 0x100, v0
	v_or_b32_e32 v43, 0x200, v0
	;; [unrolled: 1-line block ×12, first 2 shown]
	s_wait_alu 0xfffe
	s_and_not1_b32 vcc_lo, exec_lo, s23
	s_cbranch_vccnz .LBB2046_8
; %bb.7:
	s_add_co_i32 s8, s14, s8
	v_cmp_gt_u32_e32 vcc_lo, s22, v44
	s_wait_alu 0xfffe
	v_add_nc_u32_e32 v13, s8, v33
	v_add_nc_u32_e32 v12, s8, v34
	;; [unrolled: 1-line block ×12, first 2 shown]
	s_delay_alu instid0(VALU_DEP_1) | instskip(SKIP_1) | instid1(VALU_DEP_2)
	v_dual_cndmask_b32 v2, 0, v2 :: v_dual_add_nc_u32 v1, s8, v0
	v_cmp_gt_u32_e32 vcc_lo, s22, v43
	v_cndmask_b32_e64 v1, 0, v1, s0
	s_wait_alu 0xfffd
	v_cndmask_b32_e32 v3, 0, v3, vcc_lo
	v_cmp_gt_u32_e32 vcc_lo, s22, v42
	s_wait_alu 0xfffd
	v_cndmask_b32_e32 v4, 0, v4, vcc_lo
	v_cmp_gt_u32_e32 vcc_lo, s22, v41
	;; [unrolled: 3-line block ×10, first 2 shown]
	s_wait_alu 0xfffd
	v_cndmask_b32_e32 v13, 0, v13, vcc_lo
	ds_store_2addr_stride64_b32 v45, v1, v2 offset1:4
	ds_store_2addr_stride64_b32 v45, v3, v4 offset0:8 offset1:12
	ds_store_2addr_stride64_b32 v45, v5, v6 offset0:16 offset1:20
	;; [unrolled: 1-line block ×5, first 2 shown]
	ds_store_b32 v45, v13 offset:12288
	s_wait_loadcnt_dscnt 0x0
	s_barrier_signal -1
	s_barrier_wait -1
.LBB2046_8:
	v_mul_u32_u24_e32 v48, 13, v0
	s_wait_loadcnt 0x0
	global_inv scope:SCOPE_SE
	v_cndmask_b32_e64 v46, 0, 1, s1
	s_and_not1_b32 vcc_lo, exec_lo, s1
	v_lshlrev_b32_e32 v1, 2, v48
	ds_load_2addr_b32 v[29:30], v1 offset0:2 offset1:3
	ds_load_2addr_b32 v[25:26], v1 offset0:6 offset1:7
	;; [unrolled: 1-line block ×3, first 2 shown]
	ds_load_2addr_b32 v[31:32], v1 offset1:1
	ds_load_2addr_b32 v[21:22], v1 offset0:10 offset1:11
	ds_load_b32 v47, v1 offset:48
	ds_load_2addr_b32 v[23:24], v1 offset0:8 offset1:9
	s_wait_loadcnt_dscnt 0x0
	s_barrier_signal -1
	s_barrier_wait -1
	global_inv scope:SCOPE_SE
	s_wait_alu 0xfffe
	s_cbranch_vccnz .LBB2046_10
; %bb.9:
	v_add_nc_u32_e32 v1, s5, v30
	v_add_nc_u32_e32 v2, s7, v30
	;; [unrolled: 1-line block ×5, first 2 shown]
	v_mul_lo_u32 v1, v1, s4
	v_mul_lo_u32 v2, v2, s6
	v_add_nc_u32_e32 v8, s7, v29
	v_add_nc_u32_e32 v3, s5, v32
	;; [unrolled: 1-line block ×3, first 2 shown]
	v_mul_lo_u32 v5, v5, s4
	v_mul_lo_u32 v4, v4, s4
	v_add_nc_u32_e32 v9, s5, v27
	v_mul_lo_u32 v3, v3, s4
	v_sub_nc_u32_e32 v1, v1, v2
	v_mul_lo_u32 v2, v7, s6
	v_mul_lo_u32 v7, v8, s6
	;; [unrolled: 1-line block ×3, first 2 shown]
	v_add_nc_u32_e32 v8, s5, v28
	v_add_nc_u32_e32 v10, s7, v27
	v_mul_lo_u32 v9, v9, s4
	v_cmp_lt_u32_e32 vcc_lo, s3, v1
	v_add_nc_u32_e32 v14, s7, v22
	v_sub_nc_u32_e32 v2, v4, v2
	v_sub_nc_u32_e32 v4, v5, v7
	v_add_nc_u32_e32 v5, s7, v28
	v_sub_nc_u32_e32 v3, v3, v6
	v_add_nc_u32_e32 v6, s5, v26
	v_add_nc_u32_e32 v7, s7, v26
	v_mul_lo_u32 v8, v8, s4
	v_mul_lo_u32 v5, v5, s6
	v_mul_lo_u32 v10, v10, s6
	v_mul_lo_u32 v6, v6, s4
	v_mul_lo_u32 v7, v7, s6
	s_wait_alu 0xfffd
	v_cndmask_b32_e64 v1, 0, 1, vcc_lo
	v_cmp_lt_u32_e32 vcc_lo, s3, v3
	v_mul_lo_u32 v14, v14, s6
	v_add_nc_u32_e32 v15, s7, v24
	v_sub_nc_u32_e32 v5, v8, v5
	v_add_nc_u32_e32 v8, s7, v25
	s_wait_alu 0xfffd
	v_cndmask_b32_e64 v3, 0, 1, vcc_lo
	v_sub_nc_u32_e32 v6, v6, v7
	v_mul_lo_u32 v15, v15, s6
	v_cmp_lt_u32_e32 vcc_lo, s3, v5
	v_mul_lo_u32 v7, v8, s6
	v_sub_nc_u32_e32 v8, v9, v10
	v_add_nc_u32_e32 v9, s5, v22
	v_add_nc_u32_e32 v10, s5, v24
	s_wait_alu 0xfffd
	v_cndmask_b32_e64 v5, 0, 1, vcc_lo
	v_cmp_lt_u32_e32 vcc_lo, s3, v6
	v_add_nc_u32_e32 v11, s5, v25
	v_mul_lo_u32 v9, v9, s4
	v_mul_lo_u32 v10, v10, s4
	v_add_nc_u32_e32 v12, s5, v23
	s_wait_alu 0xfffd
	v_cndmask_b32_e64 v6, 0, 1, vcc_lo
	v_mul_lo_u32 v11, v11, s4
	v_add_nc_u32_e32 v16, s7, v23
	v_lshlrev_b16 v3, 8, v3
	v_add_nc_u32_e32 v13, s5, v21
	v_sub_nc_u32_e32 v9, v9, v14
	v_sub_nc_u32_e32 v10, v10, v15
	v_add_nc_u32_e32 v19, s7, v21
	v_mul_lo_u32 v12, v12, s4
	v_mul_lo_u32 v16, v16, s6
	v_cmp_lt_u32_e32 vcc_lo, s3, v9
	v_sub_nc_u32_e32 v7, v11, v7
	v_lshrrev_b32_e32 v3, 8, v3
	v_mul_lo_u32 v11, v13, s4
	v_mul_lo_u32 v13, v19, s6
	s_wait_alu 0xfffd
	v_cndmask_b32_e64 v9, 0, 1, vcc_lo
	v_cmp_lt_u32_e32 vcc_lo, s3, v2
	v_sub_nc_u32_e32 v12, v12, v16
	v_lshlrev_b16 v3, 8, v3
	v_lshlrev_b16 v1, 8, v1
	;; [unrolled: 1-line block ×3, first 2 shown]
	s_wait_alu 0xfffd
	v_cndmask_b32_e64 v2, 0, 1, vcc_lo
	v_cmp_lt_u32_e32 vcc_lo, s3, v10
	v_sub_nc_u32_e32 v11, v11, v13
	v_add_nc_u32_e32 v14, s5, v47
	v_add_nc_u32_e32 v15, s7, v47
	v_or_b32_e32 v2, v2, v3
	s_wait_alu 0xfffd
	v_cndmask_b32_e64 v10, 0, 1, vcc_lo
	v_cmp_lt_u32_e32 vcc_lo, s3, v4
	v_lshlrev_b16 v3, 8, v9
	v_lshrrev_b32_e32 v5, 8, v5
	v_lshrrev_b32_e32 v1, 8, v1
	v_lshlrev_b16 v9, 8, v10
	s_wait_alu 0xfffd
	v_cndmask_b32_e64 v4, 0, 1, vcc_lo
	v_cmp_lt_u32_e32 vcc_lo, s3, v8
	v_lshrrev_b32_e32 v3, 8, v3
	v_mul_lo_u32 v14, v14, s4
	v_lshrrev_b32_e32 v9, 8, v9
	v_mul_lo_u32 v15, v15, s6
	s_wait_alu 0xfffd
	v_cndmask_b32_e64 v8, 0, 1, vcc_lo
	v_cmp_lt_u32_e32 vcc_lo, s3, v7
	v_lshlrev_b16 v6, 8, v6
	v_lshlrev_b16 v1, 8, v1
	;; [unrolled: 1-line block ×4, first 2 shown]
	s_wait_alu 0xfffd
	v_cndmask_b32_e64 v7, 0, 1, vcc_lo
	v_cmp_lt_u32_e32 vcc_lo, s3, v12
	v_lshlrev_b16 v3, 8, v3
	v_sub_nc_u32_e32 v10, v14, v15
	v_or_b32_e32 v1, v4, v1
	v_or_b32_e32 v4, v8, v5
	s_wait_alu 0xfffd
	v_cndmask_b32_e64 v12, 0, 1, vcc_lo
	v_cmp_lt_u32_e32 vcc_lo, s3, v11
	v_or_b32_e32 v5, v7, v6
	v_and_b32_e32 v2, 0xffff, v2
	v_lshlrev_b32_e32 v1, 16, v1
	v_or_b32_e32 v6, v12, v9
	s_wait_alu 0xfffd
	v_cndmask_b32_e64 v11, 0, 1, vcc_lo
	v_and_b32_e32 v4, 0xffff, v4
	v_lshlrev_b32_e32 v5, 16, v5
	v_cmp_lt_u32_e32 vcc_lo, s3, v10
	v_and_b32_e32 v6, 0xffff, v6
	v_or_b32_e32 v3, v11, v3
	v_or_b32_e32 v54, v2, v1
	;; [unrolled: 1-line block ×3, first 2 shown]
	s_wait_alu 0xfffd
	v_cndmask_b32_e64 v49, 0, 1, vcc_lo
	v_lshlrev_b32_e32 v3, 16, v3
	s_delay_alu instid0(VALU_DEP_1)
	v_or_b32_e32 v50, v6, v3
	s_cbranch_execz .LBB2046_11
	s_branch .LBB2046_38
.LBB2046_10:
                                        ; implicit-def: $vgpr49
                                        ; implicit-def: $vgpr50
                                        ; implicit-def: $vgpr52
                                        ; implicit-def: $vgpr54
.LBB2046_11:
	v_dual_mov_b32 v2, 0 :: v_dual_mov_b32 v1, 0
	s_mov_b32 s0, exec_lo
	v_cmpx_gt_u32_e64 s22, v48
	s_cbranch_execz .LBB2046_13
; %bb.12:
	v_add_nc_u32_e32 v1, s5, v31
	v_add_nc_u32_e32 v3, s7, v31
	s_delay_alu instid0(VALU_DEP_2) | instskip(NEXT) | instid1(VALU_DEP_2)
	v_mul_lo_u32 v1, v1, s4
	v_mul_lo_u32 v3, v3, s6
	s_delay_alu instid0(VALU_DEP_1) | instskip(NEXT) | instid1(VALU_DEP_1)
	v_sub_nc_u32_e32 v1, v1, v3
	v_cmp_lt_u32_e32 vcc_lo, s3, v1
	s_wait_alu 0xfffd
	v_cndmask_b32_e64 v1, 0, 1, vcc_lo
.LBB2046_13:
	s_wait_alu 0xfffe
	s_or_b32 exec_lo, exec_lo, s0
	v_add_nc_u32_e32 v3, 1, v48
	s_mov_b32 s0, exec_lo
	s_delay_alu instid0(VALU_DEP_1)
	v_cmpx_gt_u32_e64 s22, v3
	s_cbranch_execz .LBB2046_15
; %bb.14:
	v_add_nc_u32_e32 v2, s5, v32
	v_add_nc_u32_e32 v3, s7, v32
	s_delay_alu instid0(VALU_DEP_2) | instskip(NEXT) | instid1(VALU_DEP_2)
	v_mul_lo_u32 v2, v2, s4
	v_mul_lo_u32 v3, v3, s6
	s_delay_alu instid0(VALU_DEP_1) | instskip(NEXT) | instid1(VALU_DEP_1)
	v_sub_nc_u32_e32 v2, v2, v3
	v_cmp_lt_u32_e32 vcc_lo, s3, v2
	s_wait_alu 0xfffd
	v_cndmask_b32_e64 v2, 0, 1, vcc_lo
.LBB2046_15:
	s_wait_alu 0xfffe
	s_or_b32 exec_lo, exec_lo, s0
	v_dual_mov_b32 v4, 0 :: v_dual_add_nc_u32 v3, 2, v48
	s_delay_alu instid0(VALU_DEP_1)
	v_cmp_gt_u32_e32 vcc_lo, s22, v3
	v_mov_b32_e32 v3, 0
	s_and_saveexec_b32 s0, vcc_lo
	s_cbranch_execz .LBB2046_17
; %bb.16:
	v_add_nc_u32_e32 v3, s5, v29
	v_add_nc_u32_e32 v5, s7, v29
	s_delay_alu instid0(VALU_DEP_2) | instskip(NEXT) | instid1(VALU_DEP_2)
	v_mul_lo_u32 v3, v3, s4
	v_mul_lo_u32 v5, v5, s6
	s_delay_alu instid0(VALU_DEP_1) | instskip(NEXT) | instid1(VALU_DEP_1)
	v_sub_nc_u32_e32 v3, v3, v5
	v_cmp_lt_u32_e32 vcc_lo, s3, v3
	s_wait_alu 0xfffd
	v_cndmask_b32_e64 v3, 0, 1, vcc_lo
.LBB2046_17:
	s_wait_alu 0xfffe
	s_or_b32 exec_lo, exec_lo, s0
	v_add_nc_u32_e32 v5, 3, v48
	s_mov_b32 s0, exec_lo
	s_delay_alu instid0(VALU_DEP_1)
	v_cmpx_gt_u32_e64 s22, v5
	s_cbranch_execz .LBB2046_19
; %bb.18:
	v_add_nc_u32_e32 v4, s5, v30
	v_add_nc_u32_e32 v5, s7, v30
	s_delay_alu instid0(VALU_DEP_2) | instskip(NEXT) | instid1(VALU_DEP_2)
	v_mul_lo_u32 v4, v4, s4
	v_mul_lo_u32 v5, v5, s6
	s_delay_alu instid0(VALU_DEP_1) | instskip(NEXT) | instid1(VALU_DEP_1)
	v_sub_nc_u32_e32 v4, v4, v5
	v_cmp_lt_u32_e32 vcc_lo, s3, v4
	s_wait_alu 0xfffd
	v_cndmask_b32_e64 v4, 0, 1, vcc_lo
.LBB2046_19:
	s_wait_alu 0xfffe
	s_or_b32 exec_lo, exec_lo, s0
	v_dual_mov_b32 v6, 0 :: v_dual_add_nc_u32 v5, 4, v48
	s_delay_alu instid0(VALU_DEP_1)
	v_cmp_gt_u32_e32 vcc_lo, s22, v5
	v_mov_b32_e32 v5, 0
	s_and_saveexec_b32 s0, vcc_lo
	;; [unrolled: 39-line block ×5, first 2 shown]
	s_cbranch_execz .LBB2046_33
; %bb.32:
	v_add_nc_u32_e32 v11, s5, v21
	v_add_nc_u32_e32 v13, s7, v21
	s_delay_alu instid0(VALU_DEP_2) | instskip(NEXT) | instid1(VALU_DEP_2)
	v_mul_lo_u32 v11, v11, s4
	v_mul_lo_u32 v13, v13, s6
	s_delay_alu instid0(VALU_DEP_1) | instskip(NEXT) | instid1(VALU_DEP_1)
	v_sub_nc_u32_e32 v11, v11, v13
	v_cmp_lt_u32_e32 vcc_lo, s3, v11
	s_wait_alu 0xfffd
	v_cndmask_b32_e64 v11, 0, 1, vcc_lo
.LBB2046_33:
	s_wait_alu 0xfffe
	s_or_b32 exec_lo, exec_lo, s0
	v_add_nc_u32_e32 v13, 11, v48
	s_mov_b32 s0, exec_lo
	s_delay_alu instid0(VALU_DEP_1)
	v_cmpx_gt_u32_e64 s22, v13
	s_cbranch_execz .LBB2046_35
; %bb.34:
	v_add_nc_u32_e32 v12, s5, v22
	v_add_nc_u32_e32 v13, s7, v22
	s_delay_alu instid0(VALU_DEP_2) | instskip(NEXT) | instid1(VALU_DEP_2)
	v_mul_lo_u32 v12, v12, s4
	v_mul_lo_u32 v13, v13, s6
	s_delay_alu instid0(VALU_DEP_1) | instskip(NEXT) | instid1(VALU_DEP_1)
	v_sub_nc_u32_e32 v12, v12, v13
	v_cmp_lt_u32_e32 vcc_lo, s3, v12
	s_wait_alu 0xfffd
	v_cndmask_b32_e64 v12, 0, 1, vcc_lo
.LBB2046_35:
	s_wait_alu 0xfffe
	s_or_b32 exec_lo, exec_lo, s0
	v_add_nc_u32_e32 v13, 12, v48
	v_mov_b32_e32 v49, 0
	s_mov_b32 s0, exec_lo
	s_delay_alu instid0(VALU_DEP_2)
	v_cmpx_gt_u32_e64 s22, v13
	s_cbranch_execz .LBB2046_37
; %bb.36:
	v_add_nc_u32_e32 v13, s5, v47
	v_add_nc_u32_e32 v14, s7, v47
	s_delay_alu instid0(VALU_DEP_2) | instskip(NEXT) | instid1(VALU_DEP_2)
	v_mul_lo_u32 v13, v13, s4
	v_mul_lo_u32 v14, v14, s6
	s_delay_alu instid0(VALU_DEP_1) | instskip(NEXT) | instid1(VALU_DEP_1)
	v_sub_nc_u32_e32 v13, v13, v14
	v_cmp_lt_u32_e32 vcc_lo, s3, v13
	s_wait_alu 0xfffd
	v_cndmask_b32_e64 v49, 0, 1, vcc_lo
.LBB2046_37:
	s_wait_alu 0xfffe
	s_or_b32 exec_lo, exec_lo, s0
	v_lshlrev_b16 v2, 8, v2
	v_lshlrev_b16 v4, 8, v4
	;; [unrolled: 1-line block ×5, first 2 shown]
	v_or_b32_e32 v1, v1, v2
	v_lshlrev_b16 v2, 8, v12
	v_or_b32_e32 v3, v3, v4
	v_or_b32_e32 v4, v5, v6
	;; [unrolled: 1-line block ×5, first 2 shown]
	v_and_b32_e32 v1, 0xffff, v1
	v_lshlrev_b32_e32 v3, 16, v3
	v_and_b32_e32 v4, 0xffff, v4
	v_lshlrev_b32_e32 v5, 16, v5
	;; [unrolled: 2-line block ×3, first 2 shown]
	v_or_b32_e32 v54, v1, v3
	s_delay_alu instid0(VALU_DEP_4) | instskip(NEXT) | instid1(VALU_DEP_3)
	v_or_b32_e32 v52, v4, v5
	v_or_b32_e32 v50, v6, v2
.LBB2046_38:
	s_delay_alu instid0(VALU_DEP_3)
	v_and_b32_e32 v56, 0xff, v54
	v_bfe_u32 v57, v54, 8, 8
	v_bfe_u32 v58, v54, 16, 8
	v_lshrrev_b32_e32 v55, 24, v54
	v_and_b32_e32 v59, 0xff, v52
	v_bfe_u32 v60, v52, 8, 8
	v_bfe_u32 v61, v52, 16, 8
	v_add3_u32 v1, v57, v56, v58
	v_lshrrev_b32_e32 v53, 24, v52
	v_and_b32_e32 v62, 0xff, v50
	v_bfe_u32 v63, v50, 8, 8
	v_mbcnt_lo_u32_b32 v65, -1, 0
	v_add3_u32 v1, v1, v55, v59
	v_bfe_u32 v64, v50, 16, 8
	v_lshrrev_b32_e32 v51, 24, v50
	v_and_b32_e32 v2, 0xff, v49
	v_and_b32_e32 v3, 15, v65
	v_add3_u32 v1, v1, v60, v61
	v_or_b32_e32 v4, 31, v0
	v_and_b32_e32 v5, 16, v65
	v_lshrrev_b32_e32 v66, 5, v0
	v_cmp_eq_u32_e64 s6, 0, v3
	v_add3_u32 v1, v1, v53, v62
	v_cmp_lt_u32_e64 s5, 1, v3
	v_cmp_lt_u32_e64 s4, 3, v3
	;; [unrolled: 1-line block ×3, first 2 shown]
	v_cmp_eq_u32_e64 s1, 0, v5
	v_add3_u32 v1, v1, v63, v64
	v_cmp_eq_u32_e64 s0, v0, v4
	s_cmp_lg_u32 s15, 0
	s_mov_b32 s7, -1
	v_add3_u32 v67, v1, v51, v2
	s_cbranch_scc0 .LBB2046_59
; %bb.39:
	s_delay_alu instid0(VALU_DEP_1) | instskip(NEXT) | instid1(VALU_DEP_1)
	v_mov_b32_dpp v1, v67 row_shr:1 row_mask:0xf bank_mask:0xf
	v_cndmask_b32_e64 v1, v1, 0, s6
	s_delay_alu instid0(VALU_DEP_1) | instskip(NEXT) | instid1(VALU_DEP_1)
	v_add_nc_u32_e32 v1, v1, v67
	v_mov_b32_dpp v2, v1 row_shr:2 row_mask:0xf bank_mask:0xf
	s_delay_alu instid0(VALU_DEP_1) | instskip(NEXT) | instid1(VALU_DEP_1)
	v_cndmask_b32_e64 v2, 0, v2, s5
	v_add_nc_u32_e32 v1, v1, v2
	s_delay_alu instid0(VALU_DEP_1) | instskip(NEXT) | instid1(VALU_DEP_1)
	v_mov_b32_dpp v2, v1 row_shr:4 row_mask:0xf bank_mask:0xf
	v_cndmask_b32_e64 v2, 0, v2, s4
	s_delay_alu instid0(VALU_DEP_1) | instskip(NEXT) | instid1(VALU_DEP_1)
	v_add_nc_u32_e32 v1, v1, v2
	v_mov_b32_dpp v2, v1 row_shr:8 row_mask:0xf bank_mask:0xf
	s_delay_alu instid0(VALU_DEP_1) | instskip(NEXT) | instid1(VALU_DEP_1)
	v_cndmask_b32_e64 v2, 0, v2, s3
	v_add_nc_u32_e32 v1, v1, v2
	ds_swizzle_b32 v2, v1 offset:swizzle(BROADCAST,32,15)
	s_wait_dscnt 0x0
	v_cndmask_b32_e64 v2, v2, 0, s1
	s_delay_alu instid0(VALU_DEP_1)
	v_add_nc_u32_e32 v1, v1, v2
	s_and_saveexec_b32 s7, s0
; %bb.40:
	v_lshlrev_b32_e32 v2, 2, v66
	ds_store_b32 v2, v1
; %bb.41:
	s_wait_alu 0xfffe
	s_or_b32 exec_lo, exec_lo, s7
	s_delay_alu instid0(SALU_CYCLE_1)
	s_mov_b32 s7, exec_lo
	s_wait_loadcnt_dscnt 0x0
	s_barrier_signal -1
	s_barrier_wait -1
	global_inv scope:SCOPE_SE
	v_cmpx_gt_u32_e32 8, v0
	s_cbranch_execz .LBB2046_43
; %bb.42:
	ds_load_b32 v2, v45
	s_wait_dscnt 0x0
	v_mov_b32_dpp v4, v2 row_shr:1 row_mask:0xf bank_mask:0xf
	v_and_b32_e32 v3, 7, v65
	s_delay_alu instid0(VALU_DEP_1) | instskip(SKIP_1) | instid1(VALU_DEP_3)
	v_cmp_ne_u32_e32 vcc_lo, 0, v3
	s_wait_alu 0xfffd
	v_cndmask_b32_e32 v4, 0, v4, vcc_lo
	v_cmp_lt_u32_e32 vcc_lo, 1, v3
	s_delay_alu instid0(VALU_DEP_2) | instskip(NEXT) | instid1(VALU_DEP_1)
	v_add_nc_u32_e32 v2, v4, v2
	v_mov_b32_dpp v4, v2 row_shr:2 row_mask:0xf bank_mask:0xf
	s_wait_alu 0xfffd
	s_delay_alu instid0(VALU_DEP_1) | instskip(SKIP_1) | instid1(VALU_DEP_2)
	v_cndmask_b32_e32 v4, 0, v4, vcc_lo
	v_cmp_lt_u32_e32 vcc_lo, 3, v3
	v_add_nc_u32_e32 v2, v2, v4
	s_delay_alu instid0(VALU_DEP_1) | instskip(SKIP_1) | instid1(VALU_DEP_1)
	v_mov_b32_dpp v4, v2 row_shr:4 row_mask:0xf bank_mask:0xf
	s_wait_alu 0xfffd
	v_cndmask_b32_e32 v3, 0, v4, vcc_lo
	s_delay_alu instid0(VALU_DEP_1)
	v_add_nc_u32_e32 v2, v2, v3
	ds_store_b32 v45, v2
.LBB2046_43:
	s_wait_alu 0xfffe
	s_or_b32 exec_lo, exec_lo, s7
	s_delay_alu instid0(SALU_CYCLE_1)
	s_mov_b32 s8, exec_lo
	v_cmp_gt_u32_e32 vcc_lo, 32, v0
	s_wait_loadcnt_dscnt 0x0
	s_barrier_signal -1
	s_barrier_wait -1
	global_inv scope:SCOPE_SE
                                        ; implicit-def: $vgpr9
	v_cmpx_lt_u32_e32 31, v0
	s_cbranch_execz .LBB2046_45
; %bb.44:
	v_lshl_add_u32 v2, v66, 2, -4
	ds_load_b32 v9, v2
	s_wait_dscnt 0x0
	v_add_nc_u32_e32 v1, v9, v1
.LBB2046_45:
	s_wait_alu 0xfffe
	s_or_b32 exec_lo, exec_lo, s8
	v_sub_co_u32 v2, s7, v65, 1
	s_delay_alu instid0(VALU_DEP_1) | instskip(SKIP_1) | instid1(VALU_DEP_1)
	v_cmp_gt_i32_e64 s8, 0, v2
	s_wait_alu 0xf1ff
	v_cndmask_b32_e64 v2, v2, v65, s8
	s_delay_alu instid0(VALU_DEP_1)
	v_lshlrev_b32_e32 v2, 2, v2
	ds_bpermute_b32 v10, v2, v1
	s_and_saveexec_b32 s8, vcc_lo
	s_cbranch_execz .LBB2046_64
; %bb.46:
	v_mov_b32_e32 v5, 0
	ds_load_b32 v1, v5 offset:28
	s_and_saveexec_b32 s23, s7
	s_cbranch_execz .LBB2046_48
; %bb.47:
	s_add_co_i32 s24, s15, 32
	s_mov_b32 s25, 0
	v_mov_b32_e32 v2, 1
	s_lshl_b64 s[24:25], s[24:25], 3
	s_delay_alu instid0(SALU_CYCLE_1)
	s_add_nc_u64 s[24:25], s[20:21], s[24:25]
	s_wait_dscnt 0x0
	global_store_b64 v5, v[1:2], s[24:25] scope:SCOPE_DEV
.LBB2046_48:
	s_wait_alu 0xfffe
	s_or_b32 exec_lo, exec_lo, s23
	v_xad_u32 v3, v65, -1, s15
	s_mov_b32 s24, 0
	s_mov_b32 s23, exec_lo
	s_delay_alu instid0(VALU_DEP_1) | instskip(NEXT) | instid1(VALU_DEP_1)
	v_add_nc_u32_e32 v4, 32, v3
	v_lshlrev_b64_e32 v[4:5], 3, v[4:5]
	s_delay_alu instid0(VALU_DEP_1) | instskip(SKIP_1) | instid1(VALU_DEP_2)
	v_add_co_u32 v7, vcc_lo, s20, v4
	s_wait_alu 0xfffd
	v_add_co_ci_u32_e64 v8, null, s21, v5, vcc_lo
	global_load_b64 v[5:6], v[7:8], off scope:SCOPE_DEV
	s_wait_loadcnt 0x0
	v_and_b32_e32 v2, 0xff, v6
	s_delay_alu instid0(VALU_DEP_1)
	v_cmpx_eq_u16_e32 0, v2
	s_cbranch_execz .LBB2046_51
.LBB2046_49:                            ; =>This Inner Loop Header: Depth=1
	global_load_b64 v[5:6], v[7:8], off scope:SCOPE_DEV
	s_wait_loadcnt 0x0
	v_and_b32_e32 v2, 0xff, v6
	s_delay_alu instid0(VALU_DEP_1) | instskip(SKIP_1) | instid1(SALU_CYCLE_1)
	v_cmp_ne_u16_e32 vcc_lo, 0, v2
	s_or_b32 s24, vcc_lo, s24
	s_and_not1_b32 exec_lo, exec_lo, s24
	s_cbranch_execnz .LBB2046_49
; %bb.50:
	s_or_b32 exec_lo, exec_lo, s24
.LBB2046_51:
	s_wait_alu 0xfffe
	s_or_b32 exec_lo, exec_lo, s23
	v_cmp_ne_u32_e32 vcc_lo, 31, v65
	v_lshlrev_b32_e64 v12, v65, -1
	v_add_nc_u32_e32 v14, 2, v65
	v_add_nc_u32_e32 v16, 4, v65
	;; [unrolled: 1-line block ×3, first 2 shown]
	s_wait_alu 0xfffd
	v_add_co_ci_u32_e64 v2, null, 0, v65, vcc_lo
	v_lshl_or_b32 v68, v65, 2, 64
	v_add_nc_u32_e32 v69, 16, v65
	s_delay_alu instid0(VALU_DEP_3)
	v_lshlrev_b32_e32 v11, 2, v2
	v_and_b32_e32 v2, 0xff, v6
	ds_bpermute_b32 v4, v11, v5
	v_cmp_eq_u16_e32 vcc_lo, 2, v2
	s_wait_alu 0xfffd
	v_and_or_b32 v2, vcc_lo, v12, 0x80000000
	v_cmp_gt_u32_e32 vcc_lo, 30, v65
	s_delay_alu instid0(VALU_DEP_2) | instskip(SKIP_2) | instid1(VALU_DEP_2)
	v_ctz_i32_b32_e32 v2, v2
	s_wait_alu 0xfffd
	v_cndmask_b32_e64 v7, 0, 2, vcc_lo
	v_cmp_lt_u32_e32 vcc_lo, v65, v2
	s_delay_alu instid0(VALU_DEP_2) | instskip(SKIP_4) | instid1(VALU_DEP_2)
	v_add_lshl_u32 v13, v7, v65, 2
	s_wait_dscnt 0x0
	s_wait_alu 0xfffd
	v_cndmask_b32_e32 v4, 0, v4, vcc_lo
	v_cmp_gt_u32_e32 vcc_lo, 28, v65
	v_add_nc_u32_e32 v4, v4, v5
	s_wait_alu 0xfffd
	v_cndmask_b32_e64 v7, 0, 4, vcc_lo
	v_cmp_le_u32_e32 vcc_lo, v14, v2
	ds_bpermute_b32 v5, v13, v4
	v_add_lshl_u32 v15, v7, v65, 2
	s_wait_dscnt 0x0
	s_wait_alu 0xfffd
	v_cndmask_b32_e32 v5, 0, v5, vcc_lo
	v_cmp_gt_u32_e32 vcc_lo, 24, v65
	s_delay_alu instid0(VALU_DEP_2)
	v_add_nc_u32_e32 v4, v4, v5
	s_wait_alu 0xfffd
	v_cndmask_b32_e64 v7, 0, 8, vcc_lo
	v_cmp_le_u32_e32 vcc_lo, v16, v2
	ds_bpermute_b32 v5, v15, v4
	v_add_lshl_u32 v19, v7, v65, 2
	s_wait_dscnt 0x0
	s_wait_alu 0xfffd
	v_cndmask_b32_e32 v5, 0, v5, vcc_lo
	v_cmp_le_u32_e32 vcc_lo, v20, v2
	s_delay_alu instid0(VALU_DEP_2)
	v_add_nc_u32_e32 v4, v4, v5
	ds_bpermute_b32 v5, v19, v4
	s_wait_dscnt 0x0
	s_wait_alu 0xfffd
	v_cndmask_b32_e32 v5, 0, v5, vcc_lo
	v_cmp_le_u32_e32 vcc_lo, v69, v2
	s_delay_alu instid0(VALU_DEP_2) | instskip(SKIP_4) | instid1(VALU_DEP_1)
	v_add_nc_u32_e32 v4, v4, v5
	ds_bpermute_b32 v5, v68, v4
	s_wait_dscnt 0x0
	s_wait_alu 0xfffd
	v_cndmask_b32_e32 v2, 0, v5, vcc_lo
	v_dual_mov_b32 v4, 0 :: v_dual_add_nc_u32 v5, v4, v2
	s_branch .LBB2046_55
.LBB2046_52:                            ;   in Loop: Header=BB2046_55 Depth=1
	s_or_b32 exec_lo, exec_lo, s24
.LBB2046_53:                            ;   in Loop: Header=BB2046_55 Depth=1
	s_wait_alu 0xfffe
	s_or_b32 exec_lo, exec_lo, s23
	ds_bpermute_b32 v8, v11, v5
	v_and_b32_e32 v7, 0xff, v6
	v_subrev_nc_u32_e32 v3, 32, v3
	s_mov_b32 s23, 0
	s_delay_alu instid0(VALU_DEP_2) | instskip(SKIP_2) | instid1(VALU_DEP_1)
	v_cmp_eq_u16_e32 vcc_lo, 2, v7
	s_wait_alu 0xfffd
	v_and_or_b32 v7, vcc_lo, v12, 0x80000000
	v_ctz_i32_b32_e32 v7, v7
	s_delay_alu instid0(VALU_DEP_1) | instskip(SKIP_4) | instid1(VALU_DEP_2)
	v_cmp_lt_u32_e32 vcc_lo, v65, v7
	s_wait_dscnt 0x0
	s_wait_alu 0xfffd
	v_cndmask_b32_e32 v8, 0, v8, vcc_lo
	v_cmp_le_u32_e32 vcc_lo, v14, v7
	v_add_nc_u32_e32 v5, v8, v5
	ds_bpermute_b32 v8, v13, v5
	s_wait_dscnt 0x0
	s_wait_alu 0xfffd
	v_cndmask_b32_e32 v8, 0, v8, vcc_lo
	v_cmp_le_u32_e32 vcc_lo, v16, v7
	s_delay_alu instid0(VALU_DEP_2)
	v_add_nc_u32_e32 v5, v5, v8
	ds_bpermute_b32 v8, v15, v5
	s_wait_dscnt 0x0
	s_wait_alu 0xfffd
	v_cndmask_b32_e32 v8, 0, v8, vcc_lo
	v_cmp_le_u32_e32 vcc_lo, v20, v7
	s_delay_alu instid0(VALU_DEP_2)
	v_add_nc_u32_e32 v5, v5, v8
	ds_bpermute_b32 v8, v19, v5
	s_wait_dscnt 0x0
	s_wait_alu 0xfffd
	v_cndmask_b32_e32 v8, 0, v8, vcc_lo
	v_cmp_le_u32_e32 vcc_lo, v69, v7
	s_delay_alu instid0(VALU_DEP_2) | instskip(SKIP_4) | instid1(VALU_DEP_1)
	v_add_nc_u32_e32 v5, v5, v8
	ds_bpermute_b32 v8, v68, v5
	s_wait_dscnt 0x0
	s_wait_alu 0xfffd
	v_cndmask_b32_e32 v7, 0, v8, vcc_lo
	v_add3_u32 v5, v7, v2, v5
.LBB2046_54:                            ;   in Loop: Header=BB2046_55 Depth=1
	s_wait_alu 0xfffe
	s_and_b32 vcc_lo, exec_lo, s23
	s_wait_alu 0xfffe
	s_cbranch_vccnz .LBB2046_60
.LBB2046_55:                            ; =>This Loop Header: Depth=1
                                        ;     Child Loop BB2046_58 Depth 2
	v_and_b32_e32 v2, 0xff, v6
	s_mov_b32 s23, -1
                                        ; implicit-def: $vgpr6
	s_delay_alu instid0(VALU_DEP_1)
	v_cmp_ne_u16_e32 vcc_lo, 2, v2
	v_mov_b32_e32 v2, v5
                                        ; implicit-def: $vgpr5
	s_cmp_lg_u32 vcc_lo, exec_lo
	s_cbranch_scc1 .LBB2046_54
; %bb.56:                               ;   in Loop: Header=BB2046_55 Depth=1
	v_lshlrev_b64_e32 v[5:6], 3, v[3:4]
	s_mov_b32 s23, exec_lo
	s_delay_alu instid0(VALU_DEP_1) | instskip(SKIP_1) | instid1(VALU_DEP_2)
	v_add_co_u32 v7, vcc_lo, s20, v5
	s_wait_alu 0xfffd
	v_add_co_ci_u32_e64 v8, null, s21, v6, vcc_lo
	global_load_b64 v[5:6], v[7:8], off scope:SCOPE_DEV
	s_wait_loadcnt 0x0
	v_and_b32_e32 v70, 0xff, v6
	s_delay_alu instid0(VALU_DEP_1)
	v_cmpx_eq_u16_e32 0, v70
	s_cbranch_execz .LBB2046_53
; %bb.57:                               ;   in Loop: Header=BB2046_55 Depth=1
	s_mov_b32 s24, 0
.LBB2046_58:                            ;   Parent Loop BB2046_55 Depth=1
                                        ; =>  This Inner Loop Header: Depth=2
	global_load_b64 v[5:6], v[7:8], off scope:SCOPE_DEV
	s_wait_loadcnt 0x0
	v_and_b32_e32 v70, 0xff, v6
	s_delay_alu instid0(VALU_DEP_1) | instskip(SKIP_1) | instid1(SALU_CYCLE_1)
	v_cmp_ne_u16_e32 vcc_lo, 0, v70
	s_or_b32 s24, vcc_lo, s24
	s_and_not1_b32 exec_lo, exec_lo, s24
	s_cbranch_execnz .LBB2046_58
	s_branch .LBB2046_52
.LBB2046_59:
                                        ; implicit-def: $vgpr20
                                        ; implicit-def: $vgpr1_vgpr2_vgpr3_vgpr4_vgpr5_vgpr6_vgpr7_vgpr8_vgpr9_vgpr10_vgpr11_vgpr12_vgpr13_vgpr14_vgpr15_vgpr16
	s_wait_alu 0xfffe
	s_and_b32 vcc_lo, exec_lo, s7
	s_wait_alu 0xfffe
	s_cbranch_vccnz .LBB2046_65
	s_branch .LBB2046_74
.LBB2046_60:
	s_and_saveexec_b32 s23, s7
	s_cbranch_execz .LBB2046_62
; %bb.61:
	s_add_co_i32 s24, s15, 32
	s_mov_b32 s25, 0
	v_dual_mov_b32 v4, 2 :: v_dual_add_nc_u32 v3, v2, v1
	v_mov_b32_e32 v5, 0
	s_lshl_b64 s[24:25], s[24:25], 3
	s_delay_alu instid0(SALU_CYCLE_1)
	s_add_nc_u64 s[24:25], s[20:21], s[24:25]
	global_store_b64 v5, v[3:4], s[24:25] scope:SCOPE_DEV
	ds_store_b64 v5, v[1:2] offset:13312
.LBB2046_62:
	s_wait_alu 0xfffe
	s_or_b32 exec_lo, exec_lo, s23
	s_delay_alu instid0(SALU_CYCLE_1)
	s_and_b32 exec_lo, exec_lo, s2
; %bb.63:
	v_mov_b32_e32 v1, 0
	ds_store_b32 v1, v2 offset:28
.LBB2046_64:
	s_wait_alu 0xfffe
	s_or_b32 exec_lo, exec_lo, s8
	v_mov_b32_e32 v11, 0
	s_wait_storecnt 0x0
	s_wait_loadcnt_dscnt 0x0
	s_barrier_signal -1
	s_barrier_wait -1
	global_inv scope:SCOPE_SE
	ds_load_b32 v1, v11 offset:28
	v_cndmask_b32_e64 v2, v10, v9, s7
	s_wait_loadcnt_dscnt 0x0
	s_barrier_signal -1
	s_barrier_wait -1
	global_inv scope:SCOPE_SE
	v_cndmask_b32_e64 v2, v2, 0, s2
	s_delay_alu instid0(VALU_DEP_1) | instskip(NEXT) | instid1(VALU_DEP_1)
	v_add_nc_u32_e32 v1, v1, v2
	v_add_nc_u32_e32 v2, v1, v56
	ds_load_b64 v[19:20], v11 offset:13312
	v_add_nc_u32_e32 v3, v2, v57
	s_delay_alu instid0(VALU_DEP_1) | instskip(NEXT) | instid1(VALU_DEP_1)
	v_add_nc_u32_e32 v4, v3, v58
	v_add_nc_u32_e32 v5, v4, v55
	s_delay_alu instid0(VALU_DEP_1) | instskip(NEXT) | instid1(VALU_DEP_1)
	v_add_nc_u32_e32 v6, v5, v59
	v_add_nc_u32_e32 v7, v6, v60
	s_delay_alu instid0(VALU_DEP_1) | instskip(NEXT) | instid1(VALU_DEP_1)
	v_add_nc_u32_e32 v8, v7, v61
	v_add_nc_u32_e32 v9, v8, v53
	s_delay_alu instid0(VALU_DEP_1) | instskip(NEXT) | instid1(VALU_DEP_1)
	v_add_nc_u32_e32 v10, v9, v62
	v_add_nc_u32_e32 v11, v10, v63
	s_delay_alu instid0(VALU_DEP_1) | instskip(NEXT) | instid1(VALU_DEP_1)
	v_add_nc_u32_e32 v12, v11, v64
	v_add_nc_u32_e32 v13, v12, v51
	s_branch .LBB2046_74
.LBB2046_65:
	v_mov_b32_dpp v1, v67 row_shr:1 row_mask:0xf bank_mask:0xf
	s_delay_alu instid0(VALU_DEP_1) | instskip(NEXT) | instid1(VALU_DEP_1)
	v_cndmask_b32_e64 v1, v1, 0, s6
	v_add_nc_u32_e32 v1, v1, v67
	s_delay_alu instid0(VALU_DEP_1) | instskip(NEXT) | instid1(VALU_DEP_1)
	v_mov_b32_dpp v2, v1 row_shr:2 row_mask:0xf bank_mask:0xf
	v_cndmask_b32_e64 v2, 0, v2, s5
	s_delay_alu instid0(VALU_DEP_1) | instskip(NEXT) | instid1(VALU_DEP_1)
	v_add_nc_u32_e32 v1, v1, v2
	v_mov_b32_dpp v2, v1 row_shr:4 row_mask:0xf bank_mask:0xf
	s_delay_alu instid0(VALU_DEP_1) | instskip(NEXT) | instid1(VALU_DEP_1)
	v_cndmask_b32_e64 v2, 0, v2, s4
	v_add_nc_u32_e32 v1, v1, v2
	s_delay_alu instid0(VALU_DEP_1) | instskip(NEXT) | instid1(VALU_DEP_1)
	v_mov_b32_dpp v2, v1 row_shr:8 row_mask:0xf bank_mask:0xf
	v_cndmask_b32_e64 v2, 0, v2, s3
	s_delay_alu instid0(VALU_DEP_1) | instskip(SKIP_3) | instid1(VALU_DEP_1)
	v_add_nc_u32_e32 v1, v1, v2
	ds_swizzle_b32 v2, v1 offset:swizzle(BROADCAST,32,15)
	s_wait_dscnt 0x0
	v_cndmask_b32_e64 v2, v2, 0, s1
	v_add_nc_u32_e32 v1, v1, v2
	s_and_saveexec_b32 s1, s0
; %bb.66:
	v_lshlrev_b32_e32 v2, 2, v66
	ds_store_b32 v2, v1
; %bb.67:
	s_wait_alu 0xfffe
	s_or_b32 exec_lo, exec_lo, s1
	s_delay_alu instid0(SALU_CYCLE_1)
	s_mov_b32 s0, exec_lo
	s_wait_loadcnt_dscnt 0x0
	s_barrier_signal -1
	s_barrier_wait -1
	global_inv scope:SCOPE_SE
	v_cmpx_gt_u32_e32 8, v0
	s_cbranch_execz .LBB2046_69
; %bb.68:
	ds_load_b32 v2, v45
	s_wait_dscnt 0x0
	v_mov_b32_dpp v4, v2 row_shr:1 row_mask:0xf bank_mask:0xf
	v_and_b32_e32 v3, 7, v65
	s_delay_alu instid0(VALU_DEP_1) | instskip(SKIP_1) | instid1(VALU_DEP_3)
	v_cmp_ne_u32_e32 vcc_lo, 0, v3
	s_wait_alu 0xfffd
	v_cndmask_b32_e32 v4, 0, v4, vcc_lo
	v_cmp_lt_u32_e32 vcc_lo, 1, v3
	s_delay_alu instid0(VALU_DEP_2) | instskip(NEXT) | instid1(VALU_DEP_1)
	v_add_nc_u32_e32 v2, v4, v2
	v_mov_b32_dpp v4, v2 row_shr:2 row_mask:0xf bank_mask:0xf
	s_wait_alu 0xfffd
	s_delay_alu instid0(VALU_DEP_1) | instskip(SKIP_1) | instid1(VALU_DEP_2)
	v_cndmask_b32_e32 v4, 0, v4, vcc_lo
	v_cmp_lt_u32_e32 vcc_lo, 3, v3
	v_add_nc_u32_e32 v2, v2, v4
	s_delay_alu instid0(VALU_DEP_1) | instskip(SKIP_1) | instid1(VALU_DEP_1)
	v_mov_b32_dpp v4, v2 row_shr:4 row_mask:0xf bank_mask:0xf
	s_wait_alu 0xfffd
	v_cndmask_b32_e32 v3, 0, v4, vcc_lo
	s_delay_alu instid0(VALU_DEP_1)
	v_add_nc_u32_e32 v2, v2, v3
	ds_store_b32 v45, v2
.LBB2046_69:
	s_wait_alu 0xfffe
	s_or_b32 exec_lo, exec_lo, s0
	v_dual_mov_b32 v3, 0 :: v_dual_mov_b32 v2, 0
	s_mov_b32 s0, exec_lo
	s_wait_loadcnt_dscnt 0x0
	s_barrier_signal -1
	s_barrier_wait -1
	global_inv scope:SCOPE_SE
	v_cmpx_lt_u32_e32 31, v0
; %bb.70:
	v_lshl_add_u32 v2, v66, 2, -4
	ds_load_b32 v2, v2
; %bb.71:
	s_wait_alu 0xfffe
	s_or_b32 exec_lo, exec_lo, s0
	v_sub_co_u32 v4, vcc_lo, v65, 1
	s_wait_dscnt 0x0
	v_add_nc_u32_e32 v1, v2, v1
	ds_load_b32 v19, v3 offset:28
	v_cmp_gt_i32_e64 s0, 0, v4
	s_wait_alu 0xf1ff
	s_delay_alu instid0(VALU_DEP_1) | instskip(NEXT) | instid1(VALU_DEP_1)
	v_cndmask_b32_e64 v4, v4, v65, s0
	v_lshlrev_b32_e32 v4, 2, v4
	ds_bpermute_b32 v1, v4, v1
	s_and_saveexec_b32 s0, s2
	s_cbranch_execz .LBB2046_73
; %bb.72:
	v_dual_mov_b32 v3, 0 :: v_dual_mov_b32 v20, 2
	s_wait_dscnt 0x1
	global_store_b64 v3, v[19:20], s[20:21] offset:256 scope:SCOPE_DEV
.LBB2046_73:
	s_wait_alu 0xfffe
	s_or_b32 exec_lo, exec_lo, s0
	s_wait_dscnt 0x0
	s_wait_alu 0xfffd
	v_cndmask_b32_e32 v1, v1, v2, vcc_lo
	s_wait_loadcnt 0x0
	s_wait_storecnt 0x0
	s_barrier_signal -1
	s_barrier_wait -1
	global_inv scope:SCOPE_SE
	v_cndmask_b32_e64 v1, v1, 0, s2
	v_mov_b32_e32 v20, 0
	s_delay_alu instid0(VALU_DEP_2) | instskip(NEXT) | instid1(VALU_DEP_1)
	v_add_nc_u32_e32 v2, v1, v56
	v_add_nc_u32_e32 v3, v2, v57
	s_delay_alu instid0(VALU_DEP_1) | instskip(NEXT) | instid1(VALU_DEP_1)
	v_add_nc_u32_e32 v4, v3, v58
	v_add_nc_u32_e32 v5, v4, v55
	s_delay_alu instid0(VALU_DEP_1) | instskip(NEXT) | instid1(VALU_DEP_1)
	;; [unrolled: 3-line block ×5, first 2 shown]
	v_add_nc_u32_e32 v12, v11, v64
	v_add_nc_u32_e32 v13, v12, v51
.LBB2046_74:
	s_wait_dscnt 0x0
	v_sub_nc_u32_e32 v1, v1, v20
	v_sub_nc_u32_e32 v2, v2, v20
	v_add_nc_u32_e32 v48, v19, v48
	v_lshrrev_b32_e32 v58, 8, v54
	v_lshrrev_b32_e32 v57, 16, v54
	v_sub_nc_u32_e32 v4, v4, v20
	v_sub_nc_u32_e32 v3, v3, v20
	;; [unrolled: 1-line block ×3, first 2 shown]
	v_and_b32_e32 v54, 1, v54
	v_and_b32_e32 v58, 1, v58
	;; [unrolled: 1-line block ×3, first 2 shown]
	v_lshrrev_b32_e32 v56, 8, v52
	v_lshrrev_b32_e32 v16, 16, v52
	v_cmp_eq_u32_e32 vcc_lo, 1, v54
	v_and_b32_e32 v54, 1, v57
	v_sub_nc_u32_e32 v57, v48, v2
	v_lshrrev_b32_e32 v15, 8, v50
	v_lshrrev_b32_e32 v14, 16, v50
	s_wait_alu 0xfffd
	v_cndmask_b32_e32 v1, v59, v1, vcc_lo
	v_cmp_eq_u32_e32 vcc_lo, 1, v58
	v_add_nc_u32_e32 v57, 1, v57
	s_delay_alu instid0(VALU_DEP_3)
	v_lshlrev_b32_e32 v1, 2, v1
	ds_store_b32 v1, v31
	s_wait_alu 0xfffd
	v_cndmask_b32_e32 v1, v57, v2, vcc_lo
	v_sub_nc_u32_e32 v59, v48, v3
	v_sub_nc_u32_e32 v60, v48, v4
	v_cmp_eq_u32_e32 vcc_lo, 1, v54
	s_delay_alu instid0(VALU_DEP_4) | instskip(NEXT) | instid1(VALU_DEP_4)
	v_lshlrev_b32_e32 v1, 2, v1
	v_add_nc_u32_e32 v59, 2, v59
	s_delay_alu instid0(VALU_DEP_4)
	v_add_nc_u32_e32 v60, 3, v60
	ds_store_b32 v1, v32
	s_wait_alu 0xfffd
	v_cndmask_b32_e32 v2, v59, v3, vcc_lo
	v_cmp_eq_u32_e32 vcc_lo, 1, v55
	s_wait_alu 0xfffd
	s_delay_alu instid0(VALU_DEP_2) | instskip(SKIP_2) | instid1(VALU_DEP_3)
	v_dual_cndmask_b32 v3, v60, v4 :: v_dual_lshlrev_b32 v2, 2, v2
	v_sub_nc_u32_e32 v4, v5, v20
	v_sub_nc_u32_e32 v5, v6, v20
	v_lshlrev_b32_e32 v3, 2, v3
	s_delay_alu instid0(VALU_DEP_3) | instskip(NEXT) | instid1(VALU_DEP_3)
	v_sub_nc_u32_e32 v1, v48, v4
	v_sub_nc_u32_e32 v6, v48, v5
	ds_store_b32 v2, v29
	ds_store_b32 v3, v30
	v_and_b32_e32 v2, 1, v52
	v_add_nc_u32_e32 v1, 4, v1
	v_add_nc_u32_e32 v3, 5, v6
	v_sub_nc_u32_e32 v6, v7, v20
	v_and_b32_e32 v7, 1, v56
	v_cmp_eq_u32_e32 vcc_lo, 1, v2
	v_sub_nc_u32_e32 v2, v8, v20
	s_wait_alu 0xfffd
	v_dual_cndmask_b32 v1, v1, v4 :: v_dual_and_b32 v8, 1, v53
	v_sub_nc_u32_e32 v4, v48, v6
	v_cmp_eq_u32_e32 vcc_lo, 1, v7
	v_and_b32_e32 v7, 1, v16
	s_delay_alu instid0(VALU_DEP_4)
	v_lshlrev_b32_e32 v1, 2, v1
	s_wait_alu 0xfffd
	v_dual_cndmask_b32 v3, v3, v5 :: v_dual_add_nc_u32 v4, 6, v4
	v_sub_nc_u32_e32 v5, v48, v2
	v_cmp_eq_u32_e32 vcc_lo, 1, v7
	v_sub_nc_u32_e32 v7, v13, v20
	s_delay_alu instid0(VALU_DEP_4)
	v_lshlrev_b32_e32 v3, 2, v3
	s_wait_alu 0xfffd
	v_dual_cndmask_b32 v4, v4, v6 :: v_dual_add_nc_u32 v5, 7, v5
	v_cmp_eq_u32_e32 vcc_lo, 1, v8
	v_sub_nc_u32_e32 v6, v9, v20
	ds_store_b32 v1, v27
	ds_store_b32 v3, v28
	s_wait_alu 0xfffd
	v_dual_cndmask_b32 v2, v5, v2 :: v_dual_lshlrev_b32 v3, 2, v4
	v_sub_nc_u32_e32 v1, v48, v6
	v_and_b32_e32 v5, 1, v50
	v_sub_nc_u32_e32 v4, v10, v20
	v_and_b32_e32 v10, 1, v51
	v_lshlrev_b32_e32 v2, 2, v2
	v_add_nc_u32_e32 v1, 8, v1
	ds_store_b32 v3, v25
	ds_store_b32 v2, v26
	v_cmp_eq_u32_e32 vcc_lo, 1, v5
	v_sub_nc_u32_e32 v3, v11, v20
	v_sub_nc_u32_e32 v2, v48, v4
	v_sub_nc_u32_e32 v5, v12, v20
	v_and_b32_e32 v11, 1, v49
	s_wait_alu 0xfffd
	v_dual_cndmask_b32 v1, v1, v6 :: v_dual_and_b32 v6, 1, v15
	v_sub_nc_u32_e32 v8, v48, v3
	v_add_nc_u32_e32 v2, 9, v2
	v_sub_nc_u32_e32 v9, v48, v5
	s_delay_alu instid0(VALU_DEP_4)
	v_lshlrev_b32_e32 v1, 2, v1
	v_cmp_eq_u32_e32 vcc_lo, 1, v6
	v_add_nc_u32_e32 v6, 10, v8
	v_and_b32_e32 v8, 1, v14
	v_add_nc_u32_e32 v9, 11, v9
	v_add_co_u32 v15, s0, v17, v20
	s_wait_alu 0xfffd
	v_cndmask_b32_e32 v2, v2, v4, vcc_lo
	v_cmp_eq_u32_e32 vcc_lo, 1, v8
	v_sub_nc_u32_e32 v4, v48, v7
	s_wait_alu 0xf1ff
	v_add_co_ci_u32_e64 v16, null, 0, v18, s0
	s_wait_alu 0xfffd
	v_dual_cndmask_b32 v3, v6, v3 :: v_dual_lshlrev_b32 v2, 2, v2
	v_cmp_eq_u32_e32 vcc_lo, 1, v10
	v_add_nc_u32_e32 v4, 12, v4
	s_delay_alu instid0(VALU_DEP_3) | instskip(SKIP_4) | instid1(VALU_DEP_2)
	v_lshlrev_b32_e32 v3, 2, v3
	s_wait_alu 0xfffd
	v_cndmask_b32_e32 v5, v9, v5, vcc_lo
	v_cmp_eq_u32_e32 vcc_lo, 1, v11
	s_wait_alu 0xfffd
	v_dual_cndmask_b32 v4, v4, v7 :: v_dual_lshlrev_b32 v5, 2, v5
	v_cmp_ne_u32_e32 vcc_lo, 1, v46
	s_delay_alu instid0(VALU_DEP_2)
	v_lshlrev_b32_e32 v4, 2, v4
	ds_store_b32 v1, v23
	ds_store_b32 v2, v24
	;; [unrolled: 1-line block ×5, first 2 shown]
	s_wait_loadcnt_dscnt 0x0
	s_barrier_signal -1
	s_barrier_wait -1
	global_inv scope:SCOPE_SE
	ds_load_2addr_stride64_b32 v[11:12], v45 offset1:4
	ds_load_2addr_stride64_b32 v[9:10], v45 offset0:8 offset1:12
	ds_load_2addr_stride64_b32 v[7:8], v45 offset0:16 offset1:20
	;; [unrolled: 1-line block ×5, first 2 shown]
	ds_load_b32 v21, v45 offset:12288
	s_cbranch_vccnz .LBB2046_131
; %bb.75:
	s_mov_b32 s15, 0
	v_sub_co_u32 v13, vcc_lo, v15, s16
	s_wait_alu 0xfffe
	s_sub_nc_u64 s[0:1], s[18:19], s[14:15]
	s_wait_alu 0xfffd
	v_subrev_co_ci_u32_e64 v14, null, s17, v16, vcc_lo
	s_wait_alu 0xfffe
	v_add_co_u32 v17, s0, s0, v19
	s_wait_alu 0xf1ff
	v_add_co_ci_u32_e64 v18, null, s1, 0, s0
	s_mov_b32 s0, exec_lo
	v_add_co_u32 v17, vcc_lo, v17, v13
	s_wait_alu 0xfffd
	v_add_co_ci_u32_e64 v18, null, v18, v14, vcc_lo
                                        ; implicit-def: $vgpr13_vgpr14
	v_cmpx_ge_u32_e64 v0, v19
	s_wait_alu 0xfffe
	s_xor_b32 s0, exec_lo, s0
; %bb.76:
	v_not_b32_e32 v13, v0
	s_delay_alu instid0(VALU_DEP_1) | instskip(SKIP_2) | instid1(VALU_DEP_2)
	v_ashrrev_i32_e32 v14, 31, v13
	v_add_co_u32 v13, vcc_lo, v17, v13
	s_wait_alu 0xfffd
	v_add_co_ci_u32_e64 v14, null, v18, v14, vcc_lo
; %bb.77:
	s_wait_alu 0xfffe
	s_and_not1_saveexec_b32 s0, s0
; %bb.78:
	v_add_co_u32 v13, vcc_lo, v15, v0
	s_wait_alu 0xfffd
	v_add_co_ci_u32_e64 v14, null, 0, v16, vcc_lo
; %bb.79:
	s_wait_alu 0xfffe
	s_or_b32 exec_lo, exec_lo, s0
	s_delay_alu instid0(VALU_DEP_1) | instskip(SKIP_1) | instid1(VALU_DEP_1)
	v_lshlrev_b64_e32 v[13:14], 2, v[13:14]
	s_mov_b32 s0, exec_lo
	v_add_co_u32 v13, vcc_lo, s10, v13
	s_wait_alu 0xfffd
	s_delay_alu instid0(VALU_DEP_2)
	v_add_co_ci_u32_e64 v14, null, s11, v14, vcc_lo
	s_wait_dscnt 0x6
	global_store_b32 v[13:14], v11, off
                                        ; implicit-def: $vgpr13_vgpr14
	v_cmpx_ge_u32_e64 v44, v19
	s_wait_alu 0xfffe
	s_xor_b32 s0, exec_lo, s0
; %bb.80:
	v_xor_b32_e32 v13, 0xfffffeff, v0
	s_delay_alu instid0(VALU_DEP_1) | instskip(SKIP_2) | instid1(VALU_DEP_2)
	v_ashrrev_i32_e32 v14, 31, v13
	v_add_co_u32 v13, vcc_lo, v17, v13
	s_wait_alu 0xfffd
	v_add_co_ci_u32_e64 v14, null, v18, v14, vcc_lo
; %bb.81:
	s_wait_alu 0xfffe
	s_and_not1_saveexec_b32 s0, s0
; %bb.82:
	v_add_co_u32 v13, vcc_lo, v15, v44
	s_wait_alu 0xfffd
	v_add_co_ci_u32_e64 v14, null, 0, v16, vcc_lo
; %bb.83:
	s_wait_alu 0xfffe
	s_or_b32 exec_lo, exec_lo, s0
	s_delay_alu instid0(VALU_DEP_1) | instskip(SKIP_1) | instid1(VALU_DEP_1)
	v_lshlrev_b64_e32 v[13:14], 2, v[13:14]
	s_mov_b32 s0, exec_lo
	v_add_co_u32 v13, vcc_lo, s10, v13
	s_wait_alu 0xfffd
	s_delay_alu instid0(VALU_DEP_2)
	v_add_co_ci_u32_e64 v14, null, s11, v14, vcc_lo
	global_store_b32 v[13:14], v12, off
                                        ; implicit-def: $vgpr13_vgpr14
	v_cmpx_ge_u32_e64 v43, v19
	s_wait_alu 0xfffe
	s_xor_b32 s0, exec_lo, s0
; %bb.84:
	v_xor_b32_e32 v13, 0xfffffdff, v0
	s_delay_alu instid0(VALU_DEP_1) | instskip(SKIP_2) | instid1(VALU_DEP_2)
	v_ashrrev_i32_e32 v14, 31, v13
	v_add_co_u32 v13, vcc_lo, v17, v13
	s_wait_alu 0xfffd
	v_add_co_ci_u32_e64 v14, null, v18, v14, vcc_lo
; %bb.85:
	s_wait_alu 0xfffe
	s_and_not1_saveexec_b32 s0, s0
; %bb.86:
	v_add_co_u32 v13, vcc_lo, v15, v43
	s_wait_alu 0xfffd
	v_add_co_ci_u32_e64 v14, null, 0, v16, vcc_lo
; %bb.87:
	s_wait_alu 0xfffe
	s_or_b32 exec_lo, exec_lo, s0
	s_delay_alu instid0(VALU_DEP_1) | instskip(SKIP_1) | instid1(VALU_DEP_1)
	v_lshlrev_b64_e32 v[13:14], 2, v[13:14]
	s_mov_b32 s0, exec_lo
	v_add_co_u32 v13, vcc_lo, s10, v13
	s_wait_alu 0xfffd
	s_delay_alu instid0(VALU_DEP_2)
	v_add_co_ci_u32_e64 v14, null, s11, v14, vcc_lo
	s_wait_dscnt 0x5
	global_store_b32 v[13:14], v9, off
                                        ; implicit-def: $vgpr13_vgpr14
	v_cmpx_ge_u32_e64 v42, v19
	s_wait_alu 0xfffe
	s_xor_b32 s0, exec_lo, s0
; %bb.88:
	v_xor_b32_e32 v13, 0xfffffcff, v0
	s_delay_alu instid0(VALU_DEP_1) | instskip(SKIP_2) | instid1(VALU_DEP_2)
	v_ashrrev_i32_e32 v14, 31, v13
	v_add_co_u32 v13, vcc_lo, v17, v13
	s_wait_alu 0xfffd
	v_add_co_ci_u32_e64 v14, null, v18, v14, vcc_lo
; %bb.89:
	s_wait_alu 0xfffe
	s_and_not1_saveexec_b32 s0, s0
; %bb.90:
	v_add_co_u32 v13, vcc_lo, v15, v42
	s_wait_alu 0xfffd
	v_add_co_ci_u32_e64 v14, null, 0, v16, vcc_lo
; %bb.91:
	s_wait_alu 0xfffe
	s_or_b32 exec_lo, exec_lo, s0
	s_delay_alu instid0(VALU_DEP_1) | instskip(SKIP_1) | instid1(VALU_DEP_1)
	v_lshlrev_b64_e32 v[13:14], 2, v[13:14]
	s_mov_b32 s0, exec_lo
	v_add_co_u32 v13, vcc_lo, s10, v13
	s_wait_alu 0xfffd
	s_delay_alu instid0(VALU_DEP_2)
	v_add_co_ci_u32_e64 v14, null, s11, v14, vcc_lo
	global_store_b32 v[13:14], v10, off
                                        ; implicit-def: $vgpr13_vgpr14
	v_cmpx_ge_u32_e64 v41, v19
	s_wait_alu 0xfffe
	s_xor_b32 s0, exec_lo, s0
; %bb.92:
	v_xor_b32_e32 v13, 0xfffffbff, v0
	;; [unrolled: 59-line block ×6, first 2 shown]
	s_delay_alu instid0(VALU_DEP_1) | instskip(SKIP_2) | instid1(VALU_DEP_2)
	v_ashrrev_i32_e32 v14, 31, v13
	v_add_co_u32 v13, vcc_lo, v17, v13
	s_wait_alu 0xfffd
	v_add_co_ci_u32_e64 v14, null, v18, v14, vcc_lo
; %bb.125:
	s_wait_alu 0xfffe
	s_and_not1_saveexec_b32 s0, s0
; %bb.126:
	v_add_co_u32 v13, vcc_lo, v15, v33
	s_wait_alu 0xfffd
	v_add_co_ci_u32_e64 v14, null, 0, v16, vcc_lo
; %bb.127:
	s_wait_alu 0xfffe
	s_or_b32 exec_lo, exec_lo, s0
	s_mov_b32 s0, -1
.LBB2046_128:
	s_wait_alu 0xfffe
	s_and_saveexec_b32 s1, s0
	s_cbranch_execz .LBB2046_211
.LBB2046_129:
	s_wait_dscnt 0x1
	v_lshlrev_b64_e32 v[0:1], 2, v[13:14]
	s_delay_alu instid0(VALU_DEP_1) | instskip(SKIP_1) | instid1(VALU_DEP_2)
	v_add_co_u32 v0, vcc_lo, s10, v0
	s_wait_alu 0xfffd
	v_add_co_ci_u32_e64 v1, null, s11, v1, vcc_lo
	s_wait_dscnt 0x0
	global_store_b32 v[0:1], v21, off
	s_wait_alu 0xfffe
	s_or_b32 exec_lo, exec_lo, s1
	s_and_b32 s0, s2, s9
	s_wait_alu 0xfffe
	s_and_saveexec_b32 s1, s0
	s_cbranch_execnz .LBB2046_212
.LBB2046_130:
	s_endpgm
.LBB2046_131:
	s_mov_b32 s0, 0
                                        ; implicit-def: $vgpr13_vgpr14
	s_cbranch_execz .LBB2046_128
; %bb.132:
	s_mov_b32 s15, 0
	s_wait_alu 0xfffe
	s_add_nc_u64 s[4:5], s[16:17], s[14:15]
	s_wait_alu 0xfffe
	s_sub_nc_u64 s[4:5], s[18:19], s[4:5]
	s_wait_alu 0xfffe
	v_add_co_u32 v13, s1, s4, v19
	s_wait_alu 0xf1ff
	v_add_co_ci_u32_e64 v14, null, s5, 0, s1
	s_mov_b32 s1, exec_lo
	v_add_co_u32 v17, vcc_lo, v13, v15
	s_wait_alu 0xfffd
	v_add_co_ci_u32_e64 v18, null, v14, v16, vcc_lo
	v_cmpx_gt_u32_e64 s22, v0
	s_cbranch_execz .LBB2046_168
; %bb.133:
	s_mov_b32 s3, exec_lo
                                        ; implicit-def: $vgpr13_vgpr14
	v_cmpx_ge_u32_e64 v0, v19
	s_wait_alu 0xfffe
	s_xor_b32 s3, exec_lo, s3
; %bb.134:
	v_not_b32_e32 v13, v0
	s_delay_alu instid0(VALU_DEP_1) | instskip(SKIP_2) | instid1(VALU_DEP_2)
	v_ashrrev_i32_e32 v14, 31, v13
	v_add_co_u32 v13, vcc_lo, v17, v13
	s_wait_alu 0xfffd
	v_add_co_ci_u32_e64 v14, null, v18, v14, vcc_lo
; %bb.135:
	s_wait_alu 0xfffe
	s_and_not1_saveexec_b32 s3, s3
; %bb.136:
	v_add_co_u32 v13, vcc_lo, v15, v0
	s_wait_alu 0xfffd
	v_add_co_ci_u32_e64 v14, null, 0, v16, vcc_lo
; %bb.137:
	s_wait_alu 0xfffe
	s_or_b32 exec_lo, exec_lo, s3
	s_delay_alu instid0(VALU_DEP_1) | instskip(NEXT) | instid1(VALU_DEP_1)
	v_lshlrev_b64_e32 v[13:14], 2, v[13:14]
	v_add_co_u32 v13, vcc_lo, s10, v13
	s_wait_alu 0xfffd
	s_delay_alu instid0(VALU_DEP_2) | instskip(SKIP_3) | instid1(SALU_CYCLE_1)
	v_add_co_ci_u32_e64 v14, null, s11, v14, vcc_lo
	s_wait_dscnt 0x6
	global_store_b32 v[13:14], v11, off
	s_or_b32 exec_lo, exec_lo, s1
	s_mov_b32 s1, exec_lo
	v_cmpx_gt_u32_e64 s22, v44
	s_cbranch_execnz .LBB2046_169
.LBB2046_138:
	s_wait_alu 0xfffe
	s_or_b32 exec_lo, exec_lo, s1
	s_delay_alu instid0(SALU_CYCLE_1)
	s_mov_b32 s1, exec_lo
	v_cmpx_gt_u32_e64 s22, v43
	s_cbranch_execz .LBB2046_174
.LBB2046_139:
	s_mov_b32 s3, exec_lo
                                        ; implicit-def: $vgpr11_vgpr12
	v_cmpx_ge_u32_e64 v43, v19
	s_wait_alu 0xfffe
	s_xor_b32 s3, exec_lo, s3
	s_cbranch_execz .LBB2046_141
; %bb.140:
	s_wait_dscnt 0x6
	v_xor_b32_e32 v11, 0xfffffdff, v0
                                        ; implicit-def: $vgpr43
	s_delay_alu instid0(VALU_DEP_1) | instskip(SKIP_2) | instid1(VALU_DEP_2)
	v_ashrrev_i32_e32 v12, 31, v11
	v_add_co_u32 v11, vcc_lo, v17, v11
	s_wait_alu 0xfffd
	v_add_co_ci_u32_e64 v12, null, v18, v12, vcc_lo
.LBB2046_141:
	s_wait_alu 0xfffe
	s_and_not1_saveexec_b32 s3, s3
	s_cbranch_execz .LBB2046_143
; %bb.142:
	s_wait_dscnt 0x6
	v_add_co_u32 v11, vcc_lo, v15, v43
	s_wait_alu 0xfffd
	v_add_co_ci_u32_e64 v12, null, 0, v16, vcc_lo
.LBB2046_143:
	s_wait_alu 0xfffe
	s_or_b32 exec_lo, exec_lo, s3
	s_wait_dscnt 0x6
	s_delay_alu instid0(VALU_DEP_1) | instskip(NEXT) | instid1(VALU_DEP_1)
	v_lshlrev_b64_e32 v[11:12], 2, v[11:12]
	v_add_co_u32 v11, vcc_lo, s10, v11
	s_wait_alu 0xfffd
	s_delay_alu instid0(VALU_DEP_2) | instskip(SKIP_3) | instid1(SALU_CYCLE_1)
	v_add_co_ci_u32_e64 v12, null, s11, v12, vcc_lo
	s_wait_dscnt 0x5
	global_store_b32 v[11:12], v9, off
	s_or_b32 exec_lo, exec_lo, s1
	s_mov_b32 s1, exec_lo
	v_cmpx_gt_u32_e64 s22, v42
	s_cbranch_execnz .LBB2046_175
.LBB2046_144:
	s_wait_alu 0xfffe
	s_or_b32 exec_lo, exec_lo, s1
	s_delay_alu instid0(SALU_CYCLE_1)
	s_mov_b32 s1, exec_lo
	v_cmpx_gt_u32_e64 s22, v41
	s_cbranch_execz .LBB2046_180
.LBB2046_145:
	s_mov_b32 s3, exec_lo
                                        ; implicit-def: $vgpr9_vgpr10
	v_cmpx_ge_u32_e64 v41, v19
	s_wait_alu 0xfffe
	s_xor_b32 s3, exec_lo, s3
	s_cbranch_execz .LBB2046_147
; %bb.146:
	s_wait_dscnt 0x5
	v_xor_b32_e32 v9, 0xfffffbff, v0
                                        ; implicit-def: $vgpr41
	s_delay_alu instid0(VALU_DEP_1) | instskip(SKIP_2) | instid1(VALU_DEP_2)
	v_ashrrev_i32_e32 v10, 31, v9
	v_add_co_u32 v9, vcc_lo, v17, v9
	s_wait_alu 0xfffd
	v_add_co_ci_u32_e64 v10, null, v18, v10, vcc_lo
.LBB2046_147:
	s_wait_alu 0xfffe
	s_and_not1_saveexec_b32 s3, s3
	s_cbranch_execz .LBB2046_149
; %bb.148:
	s_wait_dscnt 0x5
	v_add_co_u32 v9, vcc_lo, v15, v41
	s_wait_alu 0xfffd
	v_add_co_ci_u32_e64 v10, null, 0, v16, vcc_lo
.LBB2046_149:
	s_wait_alu 0xfffe
	s_or_b32 exec_lo, exec_lo, s3
	s_wait_dscnt 0x5
	s_delay_alu instid0(VALU_DEP_1) | instskip(NEXT) | instid1(VALU_DEP_1)
	v_lshlrev_b64_e32 v[9:10], 2, v[9:10]
	v_add_co_u32 v9, vcc_lo, s10, v9
	s_wait_alu 0xfffd
	s_delay_alu instid0(VALU_DEP_2) | instskip(SKIP_3) | instid1(SALU_CYCLE_1)
	v_add_co_ci_u32_e64 v10, null, s11, v10, vcc_lo
	s_wait_dscnt 0x4
	global_store_b32 v[9:10], v7, off
	s_or_b32 exec_lo, exec_lo, s1
	s_mov_b32 s1, exec_lo
	v_cmpx_gt_u32_e64 s22, v40
	s_cbranch_execnz .LBB2046_181
.LBB2046_150:
	s_wait_alu 0xfffe
	s_or_b32 exec_lo, exec_lo, s1
	s_delay_alu instid0(SALU_CYCLE_1)
	s_mov_b32 s1, exec_lo
	v_cmpx_gt_u32_e64 s22, v39
	s_cbranch_execz .LBB2046_186
.LBB2046_151:
	s_mov_b32 s3, exec_lo
                                        ; implicit-def: $vgpr7_vgpr8
	v_cmpx_ge_u32_e64 v39, v19
	s_wait_alu 0xfffe
	s_xor_b32 s3, exec_lo, s3
	s_cbranch_execz .LBB2046_153
; %bb.152:
	s_wait_dscnt 0x4
	v_xor_b32_e32 v7, 0xfffff9ff, v0
                                        ; implicit-def: $vgpr39
	s_delay_alu instid0(VALU_DEP_1) | instskip(SKIP_2) | instid1(VALU_DEP_2)
	v_ashrrev_i32_e32 v8, 31, v7
	v_add_co_u32 v7, vcc_lo, v17, v7
	s_wait_alu 0xfffd
	v_add_co_ci_u32_e64 v8, null, v18, v8, vcc_lo
.LBB2046_153:
	s_wait_alu 0xfffe
	s_and_not1_saveexec_b32 s3, s3
	s_cbranch_execz .LBB2046_155
; %bb.154:
	s_wait_dscnt 0x4
	v_add_co_u32 v7, vcc_lo, v15, v39
	s_wait_alu 0xfffd
	v_add_co_ci_u32_e64 v8, null, 0, v16, vcc_lo
.LBB2046_155:
	s_wait_alu 0xfffe
	s_or_b32 exec_lo, exec_lo, s3
	s_wait_dscnt 0x4
	s_delay_alu instid0(VALU_DEP_1) | instskip(NEXT) | instid1(VALU_DEP_1)
	v_lshlrev_b64_e32 v[7:8], 2, v[7:8]
	v_add_co_u32 v7, vcc_lo, s10, v7
	s_wait_alu 0xfffd
	s_delay_alu instid0(VALU_DEP_2) | instskip(SKIP_3) | instid1(SALU_CYCLE_1)
	v_add_co_ci_u32_e64 v8, null, s11, v8, vcc_lo
	s_wait_dscnt 0x3
	global_store_b32 v[7:8], v5, off
	s_or_b32 exec_lo, exec_lo, s1
	s_mov_b32 s1, exec_lo
	v_cmpx_gt_u32_e64 s22, v38
	s_cbranch_execnz .LBB2046_187
.LBB2046_156:
	s_wait_alu 0xfffe
	s_or_b32 exec_lo, exec_lo, s1
	s_delay_alu instid0(SALU_CYCLE_1)
	s_mov_b32 s1, exec_lo
	v_cmpx_gt_u32_e64 s22, v37
	s_cbranch_execz .LBB2046_192
.LBB2046_157:
	s_mov_b32 s3, exec_lo
                                        ; implicit-def: $vgpr5_vgpr6
	v_cmpx_ge_u32_e64 v37, v19
	s_wait_alu 0xfffe
	s_xor_b32 s3, exec_lo, s3
	s_cbranch_execz .LBB2046_159
; %bb.158:
	s_wait_dscnt 0x3
	v_xor_b32_e32 v5, 0xfffff7ff, v0
                                        ; implicit-def: $vgpr37
	s_delay_alu instid0(VALU_DEP_1) | instskip(SKIP_2) | instid1(VALU_DEP_2)
	v_ashrrev_i32_e32 v6, 31, v5
	v_add_co_u32 v5, vcc_lo, v17, v5
	s_wait_alu 0xfffd
	v_add_co_ci_u32_e64 v6, null, v18, v6, vcc_lo
.LBB2046_159:
	s_wait_alu 0xfffe
	s_and_not1_saveexec_b32 s3, s3
	s_cbranch_execz .LBB2046_161
; %bb.160:
	s_wait_dscnt 0x3
	v_add_co_u32 v5, vcc_lo, v15, v37
	s_wait_alu 0xfffd
	v_add_co_ci_u32_e64 v6, null, 0, v16, vcc_lo
.LBB2046_161:
	s_wait_alu 0xfffe
	s_or_b32 exec_lo, exec_lo, s3
	s_wait_dscnt 0x3
	s_delay_alu instid0(VALU_DEP_1) | instskip(NEXT) | instid1(VALU_DEP_1)
	v_lshlrev_b64_e32 v[5:6], 2, v[5:6]
	v_add_co_u32 v5, vcc_lo, s10, v5
	s_wait_alu 0xfffd
	s_delay_alu instid0(VALU_DEP_2) | instskip(SKIP_3) | instid1(SALU_CYCLE_1)
	v_add_co_ci_u32_e64 v6, null, s11, v6, vcc_lo
	s_wait_dscnt 0x2
	global_store_b32 v[5:6], v3, off
	s_or_b32 exec_lo, exec_lo, s1
	s_mov_b32 s1, exec_lo
	v_cmpx_gt_u32_e64 s22, v36
	s_cbranch_execnz .LBB2046_193
.LBB2046_162:
	s_wait_alu 0xfffe
	s_or_b32 exec_lo, exec_lo, s1
	s_delay_alu instid0(SALU_CYCLE_1)
	s_mov_b32 s1, exec_lo
	v_cmpx_gt_u32_e64 s22, v35
	s_cbranch_execz .LBB2046_198
.LBB2046_163:
	s_mov_b32 s3, exec_lo
                                        ; implicit-def: $vgpr3_vgpr4
	v_cmpx_ge_u32_e64 v35, v19
	s_wait_alu 0xfffe
	s_xor_b32 s3, exec_lo, s3
	s_cbranch_execz .LBB2046_165
; %bb.164:
	s_wait_dscnt 0x2
	v_xor_b32_e32 v3, 0xfffff5ff, v0
                                        ; implicit-def: $vgpr35
	s_delay_alu instid0(VALU_DEP_1) | instskip(SKIP_2) | instid1(VALU_DEP_2)
	v_ashrrev_i32_e32 v4, 31, v3
	v_add_co_u32 v3, vcc_lo, v17, v3
	s_wait_alu 0xfffd
	v_add_co_ci_u32_e64 v4, null, v18, v4, vcc_lo
.LBB2046_165:
	s_wait_alu 0xfffe
	s_and_not1_saveexec_b32 s3, s3
	s_cbranch_execz .LBB2046_167
; %bb.166:
	s_wait_dscnt 0x2
	v_add_co_u32 v3, vcc_lo, v15, v35
	s_wait_alu 0xfffd
	v_add_co_ci_u32_e64 v4, null, 0, v16, vcc_lo
.LBB2046_167:
	s_wait_alu 0xfffe
	s_or_b32 exec_lo, exec_lo, s3
	s_wait_dscnt 0x2
	s_delay_alu instid0(VALU_DEP_1) | instskip(NEXT) | instid1(VALU_DEP_1)
	v_lshlrev_b64_e32 v[3:4], 2, v[3:4]
	v_add_co_u32 v3, vcc_lo, s10, v3
	s_wait_alu 0xfffd
	s_delay_alu instid0(VALU_DEP_2) | instskip(SKIP_3) | instid1(SALU_CYCLE_1)
	v_add_co_ci_u32_e64 v4, null, s11, v4, vcc_lo
	s_wait_dscnt 0x1
	global_store_b32 v[3:4], v1, off
	s_or_b32 exec_lo, exec_lo, s1
	s_mov_b32 s1, exec_lo
	v_cmpx_gt_u32_e64 s22, v34
	s_cbranch_execz .LBB2046_204
	s_branch .LBB2046_199
.LBB2046_168:
	s_wait_alu 0xfffe
	s_or_b32 exec_lo, exec_lo, s1
	s_delay_alu instid0(SALU_CYCLE_1)
	s_mov_b32 s1, exec_lo
	v_cmpx_gt_u32_e64 s22, v44
	s_cbranch_execz .LBB2046_138
.LBB2046_169:
	s_mov_b32 s3, exec_lo
                                        ; implicit-def: $vgpr13_vgpr14
	v_cmpx_ge_u32_e64 v44, v19
	s_wait_alu 0xfffe
	s_xor_b32 s3, exec_lo, s3
	s_cbranch_execz .LBB2046_171
; %bb.170:
	s_wait_dscnt 0x6
	v_xor_b32_e32 v11, 0xfffffeff, v0
                                        ; implicit-def: $vgpr44
	s_delay_alu instid0(VALU_DEP_1) | instskip(SKIP_2) | instid1(VALU_DEP_2)
	v_ashrrev_i32_e32 v14, 31, v11
	v_add_co_u32 v13, vcc_lo, v17, v11
	s_wait_alu 0xfffd
	v_add_co_ci_u32_e64 v14, null, v18, v14, vcc_lo
.LBB2046_171:
	s_wait_alu 0xfffe
	s_and_not1_saveexec_b32 s3, s3
; %bb.172:
	v_add_co_u32 v13, vcc_lo, v15, v44
	s_wait_alu 0xfffd
	v_add_co_ci_u32_e64 v14, null, 0, v16, vcc_lo
; %bb.173:
	s_wait_alu 0xfffe
	s_or_b32 exec_lo, exec_lo, s3
	s_delay_alu instid0(VALU_DEP_1) | instskip(NEXT) | instid1(VALU_DEP_1)
	v_lshlrev_b64_e32 v[13:14], 2, v[13:14]
	v_add_co_u32 v13, vcc_lo, s10, v13
	s_wait_alu 0xfffd
	s_delay_alu instid0(VALU_DEP_2) | instskip(SKIP_3) | instid1(SALU_CYCLE_1)
	v_add_co_ci_u32_e64 v14, null, s11, v14, vcc_lo
	s_wait_dscnt 0x6
	global_store_b32 v[13:14], v12, off
	s_or_b32 exec_lo, exec_lo, s1
	s_mov_b32 s1, exec_lo
	v_cmpx_gt_u32_e64 s22, v43
	s_cbranch_execnz .LBB2046_139
.LBB2046_174:
	s_wait_alu 0xfffe
	s_or_b32 exec_lo, exec_lo, s1
	s_delay_alu instid0(SALU_CYCLE_1)
	s_mov_b32 s1, exec_lo
	v_cmpx_gt_u32_e64 s22, v42
	s_cbranch_execz .LBB2046_144
.LBB2046_175:
	s_mov_b32 s3, exec_lo
                                        ; implicit-def: $vgpr11_vgpr12
	v_cmpx_ge_u32_e64 v42, v19
	s_wait_alu 0xfffe
	s_xor_b32 s3, exec_lo, s3
	s_cbranch_execz .LBB2046_177
; %bb.176:
	s_wait_dscnt 0x5
	v_xor_b32_e32 v9, 0xfffffcff, v0
                                        ; implicit-def: $vgpr42
	s_delay_alu instid0(VALU_DEP_1) | instskip(SKIP_2) | instid1(VALU_DEP_2)
	v_ashrrev_i32_e32 v12, 31, v9
	v_add_co_u32 v11, vcc_lo, v17, v9
	s_wait_alu 0xfffd
	v_add_co_ci_u32_e64 v12, null, v18, v12, vcc_lo
.LBB2046_177:
	s_wait_alu 0xfffe
	s_and_not1_saveexec_b32 s3, s3
	s_cbranch_execz .LBB2046_179
; %bb.178:
	s_wait_dscnt 0x6
	v_add_co_u32 v11, vcc_lo, v15, v42
	s_wait_alu 0xfffd
	v_add_co_ci_u32_e64 v12, null, 0, v16, vcc_lo
.LBB2046_179:
	s_wait_alu 0xfffe
	s_or_b32 exec_lo, exec_lo, s3
	s_wait_dscnt 0x6
	s_delay_alu instid0(VALU_DEP_1) | instskip(NEXT) | instid1(VALU_DEP_1)
	v_lshlrev_b64_e32 v[11:12], 2, v[11:12]
	v_add_co_u32 v11, vcc_lo, s10, v11
	s_wait_alu 0xfffd
	s_delay_alu instid0(VALU_DEP_2) | instskip(SKIP_3) | instid1(SALU_CYCLE_1)
	v_add_co_ci_u32_e64 v12, null, s11, v12, vcc_lo
	s_wait_dscnt 0x5
	global_store_b32 v[11:12], v10, off
	s_or_b32 exec_lo, exec_lo, s1
	s_mov_b32 s1, exec_lo
	v_cmpx_gt_u32_e64 s22, v41
	s_cbranch_execnz .LBB2046_145
.LBB2046_180:
	s_wait_alu 0xfffe
	s_or_b32 exec_lo, exec_lo, s1
	s_delay_alu instid0(SALU_CYCLE_1)
	s_mov_b32 s1, exec_lo
	v_cmpx_gt_u32_e64 s22, v40
	s_cbranch_execz .LBB2046_150
.LBB2046_181:
	s_mov_b32 s3, exec_lo
                                        ; implicit-def: $vgpr9_vgpr10
	v_cmpx_ge_u32_e64 v40, v19
	s_wait_alu 0xfffe
	s_xor_b32 s3, exec_lo, s3
	s_cbranch_execz .LBB2046_183
; %bb.182:
	s_wait_dscnt 0x4
	v_xor_b32_e32 v7, 0xfffffaff, v0
                                        ; implicit-def: $vgpr40
	s_delay_alu instid0(VALU_DEP_1) | instskip(SKIP_2) | instid1(VALU_DEP_2)
	v_ashrrev_i32_e32 v10, 31, v7
	v_add_co_u32 v9, vcc_lo, v17, v7
	s_wait_alu 0xfffd
	v_add_co_ci_u32_e64 v10, null, v18, v10, vcc_lo
.LBB2046_183:
	s_wait_alu 0xfffe
	s_and_not1_saveexec_b32 s3, s3
	s_cbranch_execz .LBB2046_185
; %bb.184:
	s_wait_dscnt 0x5
	v_add_co_u32 v9, vcc_lo, v15, v40
	s_wait_alu 0xfffd
	v_add_co_ci_u32_e64 v10, null, 0, v16, vcc_lo
.LBB2046_185:
	s_wait_alu 0xfffe
	s_or_b32 exec_lo, exec_lo, s3
	s_wait_dscnt 0x5
	s_delay_alu instid0(VALU_DEP_1) | instskip(NEXT) | instid1(VALU_DEP_1)
	v_lshlrev_b64_e32 v[9:10], 2, v[9:10]
	v_add_co_u32 v9, vcc_lo, s10, v9
	s_wait_alu 0xfffd
	s_delay_alu instid0(VALU_DEP_2) | instskip(SKIP_3) | instid1(SALU_CYCLE_1)
	v_add_co_ci_u32_e64 v10, null, s11, v10, vcc_lo
	s_wait_dscnt 0x4
	global_store_b32 v[9:10], v8, off
	s_or_b32 exec_lo, exec_lo, s1
	s_mov_b32 s1, exec_lo
	v_cmpx_gt_u32_e64 s22, v39
	s_cbranch_execnz .LBB2046_151
.LBB2046_186:
	s_wait_alu 0xfffe
	s_or_b32 exec_lo, exec_lo, s1
	s_delay_alu instid0(SALU_CYCLE_1)
	s_mov_b32 s1, exec_lo
	v_cmpx_gt_u32_e64 s22, v38
	s_cbranch_execz .LBB2046_156
.LBB2046_187:
	s_mov_b32 s3, exec_lo
                                        ; implicit-def: $vgpr7_vgpr8
	v_cmpx_ge_u32_e64 v38, v19
	s_wait_alu 0xfffe
	s_xor_b32 s3, exec_lo, s3
	s_cbranch_execz .LBB2046_189
; %bb.188:
	s_wait_dscnt 0x3
	v_xor_b32_e32 v5, 0xfffff8ff, v0
                                        ; implicit-def: $vgpr38
	s_delay_alu instid0(VALU_DEP_1) | instskip(SKIP_2) | instid1(VALU_DEP_2)
	v_ashrrev_i32_e32 v8, 31, v5
	v_add_co_u32 v7, vcc_lo, v17, v5
	s_wait_alu 0xfffd
	v_add_co_ci_u32_e64 v8, null, v18, v8, vcc_lo
.LBB2046_189:
	s_wait_alu 0xfffe
	s_and_not1_saveexec_b32 s3, s3
	s_cbranch_execz .LBB2046_191
; %bb.190:
	s_wait_dscnt 0x4
	v_add_co_u32 v7, vcc_lo, v15, v38
	s_wait_alu 0xfffd
	v_add_co_ci_u32_e64 v8, null, 0, v16, vcc_lo
.LBB2046_191:
	s_wait_alu 0xfffe
	s_or_b32 exec_lo, exec_lo, s3
	s_wait_dscnt 0x4
	s_delay_alu instid0(VALU_DEP_1) | instskip(NEXT) | instid1(VALU_DEP_1)
	v_lshlrev_b64_e32 v[7:8], 2, v[7:8]
	v_add_co_u32 v7, vcc_lo, s10, v7
	s_wait_alu 0xfffd
	s_delay_alu instid0(VALU_DEP_2) | instskip(SKIP_3) | instid1(SALU_CYCLE_1)
	v_add_co_ci_u32_e64 v8, null, s11, v8, vcc_lo
	s_wait_dscnt 0x3
	global_store_b32 v[7:8], v6, off
	s_or_b32 exec_lo, exec_lo, s1
	s_mov_b32 s1, exec_lo
	v_cmpx_gt_u32_e64 s22, v37
	s_cbranch_execnz .LBB2046_157
.LBB2046_192:
	s_wait_alu 0xfffe
	s_or_b32 exec_lo, exec_lo, s1
	s_delay_alu instid0(SALU_CYCLE_1)
	s_mov_b32 s1, exec_lo
	v_cmpx_gt_u32_e64 s22, v36
	s_cbranch_execz .LBB2046_162
.LBB2046_193:
	s_mov_b32 s3, exec_lo
                                        ; implicit-def: $vgpr5_vgpr6
	v_cmpx_ge_u32_e64 v36, v19
	s_wait_alu 0xfffe
	s_xor_b32 s3, exec_lo, s3
	s_cbranch_execz .LBB2046_195
; %bb.194:
	s_wait_dscnt 0x2
	v_xor_b32_e32 v3, 0xfffff6ff, v0
                                        ; implicit-def: $vgpr36
	s_delay_alu instid0(VALU_DEP_1) | instskip(SKIP_2) | instid1(VALU_DEP_2)
	v_ashrrev_i32_e32 v6, 31, v3
	v_add_co_u32 v5, vcc_lo, v17, v3
	s_wait_alu 0xfffd
	v_add_co_ci_u32_e64 v6, null, v18, v6, vcc_lo
.LBB2046_195:
	s_wait_alu 0xfffe
	s_and_not1_saveexec_b32 s3, s3
	s_cbranch_execz .LBB2046_197
; %bb.196:
	s_wait_dscnt 0x3
	v_add_co_u32 v5, vcc_lo, v15, v36
	s_wait_alu 0xfffd
	v_add_co_ci_u32_e64 v6, null, 0, v16, vcc_lo
.LBB2046_197:
	s_wait_alu 0xfffe
	s_or_b32 exec_lo, exec_lo, s3
	s_wait_dscnt 0x3
	s_delay_alu instid0(VALU_DEP_1) | instskip(NEXT) | instid1(VALU_DEP_1)
	v_lshlrev_b64_e32 v[5:6], 2, v[5:6]
	v_add_co_u32 v5, vcc_lo, s10, v5
	s_wait_alu 0xfffd
	s_delay_alu instid0(VALU_DEP_2) | instskip(SKIP_3) | instid1(SALU_CYCLE_1)
	v_add_co_ci_u32_e64 v6, null, s11, v6, vcc_lo
	s_wait_dscnt 0x2
	global_store_b32 v[5:6], v4, off
	s_or_b32 exec_lo, exec_lo, s1
	s_mov_b32 s1, exec_lo
	v_cmpx_gt_u32_e64 s22, v35
	s_cbranch_execnz .LBB2046_163
.LBB2046_198:
	s_wait_alu 0xfffe
	s_or_b32 exec_lo, exec_lo, s1
	s_delay_alu instid0(SALU_CYCLE_1)
	s_mov_b32 s1, exec_lo
	v_cmpx_gt_u32_e64 s22, v34
	s_cbranch_execz .LBB2046_204
.LBB2046_199:
	s_mov_b32 s3, exec_lo
                                        ; implicit-def: $vgpr3_vgpr4
	v_cmpx_ge_u32_e64 v34, v19
	s_wait_alu 0xfffe
	s_xor_b32 s3, exec_lo, s3
	s_cbranch_execz .LBB2046_201
; %bb.200:
	s_wait_dscnt 0x1
	v_xor_b32_e32 v1, 0xfffff4ff, v0
                                        ; implicit-def: $vgpr34
	s_delay_alu instid0(VALU_DEP_1) | instskip(SKIP_2) | instid1(VALU_DEP_2)
	v_ashrrev_i32_e32 v4, 31, v1
	v_add_co_u32 v3, vcc_lo, v17, v1
	s_wait_alu 0xfffd
	v_add_co_ci_u32_e64 v4, null, v18, v4, vcc_lo
.LBB2046_201:
	s_wait_alu 0xfffe
	s_and_not1_saveexec_b32 s3, s3
	s_cbranch_execz .LBB2046_203
; %bb.202:
	s_wait_dscnt 0x2
	v_add_co_u32 v3, vcc_lo, v15, v34
	s_wait_alu 0xfffd
	v_add_co_ci_u32_e64 v4, null, 0, v16, vcc_lo
.LBB2046_203:
	s_wait_alu 0xfffe
	s_or_b32 exec_lo, exec_lo, s3
	s_wait_dscnt 0x2
	s_delay_alu instid0(VALU_DEP_1) | instskip(NEXT) | instid1(VALU_DEP_1)
	v_lshlrev_b64_e32 v[3:4], 2, v[3:4]
	v_add_co_u32 v3, vcc_lo, s10, v3
	s_wait_alu 0xfffd
	s_delay_alu instid0(VALU_DEP_2)
	v_add_co_ci_u32_e64 v4, null, s11, v4, vcc_lo
	s_wait_dscnt 0x1
	global_store_b32 v[3:4], v2, off
.LBB2046_204:
	s_wait_alu 0xfffe
	s_or_b32 exec_lo, exec_lo, s1
	s_delay_alu instid0(SALU_CYCLE_1)
	s_mov_b32 s1, exec_lo
                                        ; implicit-def: $vgpr13_vgpr14
	v_cmpx_gt_u32_e64 s22, v33
	s_cbranch_execz .LBB2046_210
; %bb.205:
	s_mov_b32 s3, exec_lo
                                        ; implicit-def: $vgpr13_vgpr14
	v_cmpx_ge_u32_e64 v33, v19
	s_wait_alu 0xfffe
	s_xor_b32 s3, exec_lo, s3
	s_cbranch_execz .LBB2046_207
; %bb.206:
	v_xor_b32_e32 v0, 0xfffff3ff, v0
                                        ; implicit-def: $vgpr33
	s_wait_dscnt 0x1
	s_delay_alu instid0(VALU_DEP_1) | instskip(SKIP_2) | instid1(VALU_DEP_2)
	v_ashrrev_i32_e32 v1, 31, v0
	v_add_co_u32 v13, vcc_lo, v17, v0
	s_wait_alu 0xfffd
	v_add_co_ci_u32_e64 v14, null, v18, v1, vcc_lo
.LBB2046_207:
	s_wait_alu 0xfffe
	s_and_not1_saveexec_b32 s3, s3
; %bb.208:
	v_add_co_u32 v13, vcc_lo, v15, v33
	s_wait_alu 0xfffd
	v_add_co_ci_u32_e64 v14, null, 0, v16, vcc_lo
; %bb.209:
	s_wait_alu 0xfffe
	s_or_b32 exec_lo, exec_lo, s3
	s_delay_alu instid0(SALU_CYCLE_1)
	s_or_b32 s0, s0, exec_lo
.LBB2046_210:
	s_wait_alu 0xfffe
	s_or_b32 exec_lo, exec_lo, s1
	s_and_saveexec_b32 s1, s0
	s_cbranch_execnz .LBB2046_129
.LBB2046_211:
	s_wait_alu 0xfffe
	s_or_b32 exec_lo, exec_lo, s1
	s_and_b32 s0, s2, s9
	s_wait_alu 0xfffe
	s_and_saveexec_b32 s1, s0
	s_cbranch_execz .LBB2046_130
.LBB2046_212:
	v_add_co_u32 v0, vcc_lo, v15, v19
	s_wait_dscnt 0x1
	v_mov_b32_e32 v2, 0
	s_wait_alu 0xfffd
	v_add_co_ci_u32_e64 v1, null, 0, v16, vcc_lo
	global_store_b64 v2, v[0:1], s[12:13]
	s_endpgm
	.section	.rodata,"a",@progbits
	.p2align	6, 0x0
	.amdhsa_kernel _ZN7rocprim17ROCPRIM_400000_NS6detail17trampoline_kernelINS0_13select_configILj256ELj13ELNS0_17block_load_methodE3ELS4_3ELS4_3ELNS0_20block_scan_algorithmE0ELj4294967295EEENS1_25partition_config_selectorILNS1_17partition_subalgoE3EjNS0_10empty_typeEbEEZZNS1_14partition_implILS8_3ELb0ES6_jNS0_17counting_iteratorIjlEEPS9_SE_NS0_5tupleIJPjSE_EEENSF_IJSE_SE_EEES9_SG_JZNS1_25segmented_radix_sort_implINS0_14default_configELb0EPK12hip_bfloat16PSL_PKlPlN2at6native12_GLOBAL__N_18offset_tEEE10hipError_tPvRmT1_PNSt15iterator_traitsISZ_E10value_typeET2_T3_PNS10_IS15_E10value_typeET4_jRbjT5_S1B_jjP12ihipStream_tbEUljE_EEESW_SX_SY_S15_S19_S1B_T6_T7_T9_mT8_S1D_bDpT10_ENKUlT_T0_E_clISt17integral_constantIbLb0EES1P_IbLb1EEEEDaS1L_S1M_EUlS1L_E_NS1_11comp_targetILNS1_3genE10ELNS1_11target_archE1200ELNS1_3gpuE4ELNS1_3repE0EEENS1_30default_config_static_selectorELNS0_4arch9wavefront6targetE0EEEvSZ_
		.amdhsa_group_segment_fixed_size 13320
		.amdhsa_private_segment_fixed_size 0
		.amdhsa_kernarg_size 152
		.amdhsa_user_sgpr_count 2
		.amdhsa_user_sgpr_dispatch_ptr 0
		.amdhsa_user_sgpr_queue_ptr 0
		.amdhsa_user_sgpr_kernarg_segment_ptr 1
		.amdhsa_user_sgpr_dispatch_id 0
		.amdhsa_user_sgpr_private_segment_size 0
		.amdhsa_wavefront_size32 1
		.amdhsa_uses_dynamic_stack 0
		.amdhsa_enable_private_segment 0
		.amdhsa_system_sgpr_workgroup_id_x 1
		.amdhsa_system_sgpr_workgroup_id_y 0
		.amdhsa_system_sgpr_workgroup_id_z 0
		.amdhsa_system_sgpr_workgroup_info 0
		.amdhsa_system_vgpr_workitem_id 0
		.amdhsa_next_free_vgpr 71
		.amdhsa_next_free_sgpr 26
		.amdhsa_reserve_vcc 1
		.amdhsa_float_round_mode_32 0
		.amdhsa_float_round_mode_16_64 0
		.amdhsa_float_denorm_mode_32 3
		.amdhsa_float_denorm_mode_16_64 3
		.amdhsa_fp16_overflow 0
		.amdhsa_workgroup_processor_mode 1
		.amdhsa_memory_ordered 1
		.amdhsa_forward_progress 1
		.amdhsa_inst_pref_size 86
		.amdhsa_round_robin_scheduling 0
		.amdhsa_exception_fp_ieee_invalid_op 0
		.amdhsa_exception_fp_denorm_src 0
		.amdhsa_exception_fp_ieee_div_zero 0
		.amdhsa_exception_fp_ieee_overflow 0
		.amdhsa_exception_fp_ieee_underflow 0
		.amdhsa_exception_fp_ieee_inexact 0
		.amdhsa_exception_int_div_zero 0
	.end_amdhsa_kernel
	.section	.text._ZN7rocprim17ROCPRIM_400000_NS6detail17trampoline_kernelINS0_13select_configILj256ELj13ELNS0_17block_load_methodE3ELS4_3ELS4_3ELNS0_20block_scan_algorithmE0ELj4294967295EEENS1_25partition_config_selectorILNS1_17partition_subalgoE3EjNS0_10empty_typeEbEEZZNS1_14partition_implILS8_3ELb0ES6_jNS0_17counting_iteratorIjlEEPS9_SE_NS0_5tupleIJPjSE_EEENSF_IJSE_SE_EEES9_SG_JZNS1_25segmented_radix_sort_implINS0_14default_configELb0EPK12hip_bfloat16PSL_PKlPlN2at6native12_GLOBAL__N_18offset_tEEE10hipError_tPvRmT1_PNSt15iterator_traitsISZ_E10value_typeET2_T3_PNS10_IS15_E10value_typeET4_jRbjT5_S1B_jjP12ihipStream_tbEUljE_EEESW_SX_SY_S15_S19_S1B_T6_T7_T9_mT8_S1D_bDpT10_ENKUlT_T0_E_clISt17integral_constantIbLb0EES1P_IbLb1EEEEDaS1L_S1M_EUlS1L_E_NS1_11comp_targetILNS1_3genE10ELNS1_11target_archE1200ELNS1_3gpuE4ELNS1_3repE0EEENS1_30default_config_static_selectorELNS0_4arch9wavefront6targetE0EEEvSZ_,"axG",@progbits,_ZN7rocprim17ROCPRIM_400000_NS6detail17trampoline_kernelINS0_13select_configILj256ELj13ELNS0_17block_load_methodE3ELS4_3ELS4_3ELNS0_20block_scan_algorithmE0ELj4294967295EEENS1_25partition_config_selectorILNS1_17partition_subalgoE3EjNS0_10empty_typeEbEEZZNS1_14partition_implILS8_3ELb0ES6_jNS0_17counting_iteratorIjlEEPS9_SE_NS0_5tupleIJPjSE_EEENSF_IJSE_SE_EEES9_SG_JZNS1_25segmented_radix_sort_implINS0_14default_configELb0EPK12hip_bfloat16PSL_PKlPlN2at6native12_GLOBAL__N_18offset_tEEE10hipError_tPvRmT1_PNSt15iterator_traitsISZ_E10value_typeET2_T3_PNS10_IS15_E10value_typeET4_jRbjT5_S1B_jjP12ihipStream_tbEUljE_EEESW_SX_SY_S15_S19_S1B_T6_T7_T9_mT8_S1D_bDpT10_ENKUlT_T0_E_clISt17integral_constantIbLb0EES1P_IbLb1EEEEDaS1L_S1M_EUlS1L_E_NS1_11comp_targetILNS1_3genE10ELNS1_11target_archE1200ELNS1_3gpuE4ELNS1_3repE0EEENS1_30default_config_static_selectorELNS0_4arch9wavefront6targetE0EEEvSZ_,comdat
.Lfunc_end2046:
	.size	_ZN7rocprim17ROCPRIM_400000_NS6detail17trampoline_kernelINS0_13select_configILj256ELj13ELNS0_17block_load_methodE3ELS4_3ELS4_3ELNS0_20block_scan_algorithmE0ELj4294967295EEENS1_25partition_config_selectorILNS1_17partition_subalgoE3EjNS0_10empty_typeEbEEZZNS1_14partition_implILS8_3ELb0ES6_jNS0_17counting_iteratorIjlEEPS9_SE_NS0_5tupleIJPjSE_EEENSF_IJSE_SE_EEES9_SG_JZNS1_25segmented_radix_sort_implINS0_14default_configELb0EPK12hip_bfloat16PSL_PKlPlN2at6native12_GLOBAL__N_18offset_tEEE10hipError_tPvRmT1_PNSt15iterator_traitsISZ_E10value_typeET2_T3_PNS10_IS15_E10value_typeET4_jRbjT5_S1B_jjP12ihipStream_tbEUljE_EEESW_SX_SY_S15_S19_S1B_T6_T7_T9_mT8_S1D_bDpT10_ENKUlT_T0_E_clISt17integral_constantIbLb0EES1P_IbLb1EEEEDaS1L_S1M_EUlS1L_E_NS1_11comp_targetILNS1_3genE10ELNS1_11target_archE1200ELNS1_3gpuE4ELNS1_3repE0EEENS1_30default_config_static_selectorELNS0_4arch9wavefront6targetE0EEEvSZ_, .Lfunc_end2046-_ZN7rocprim17ROCPRIM_400000_NS6detail17trampoline_kernelINS0_13select_configILj256ELj13ELNS0_17block_load_methodE3ELS4_3ELS4_3ELNS0_20block_scan_algorithmE0ELj4294967295EEENS1_25partition_config_selectorILNS1_17partition_subalgoE3EjNS0_10empty_typeEbEEZZNS1_14partition_implILS8_3ELb0ES6_jNS0_17counting_iteratorIjlEEPS9_SE_NS0_5tupleIJPjSE_EEENSF_IJSE_SE_EEES9_SG_JZNS1_25segmented_radix_sort_implINS0_14default_configELb0EPK12hip_bfloat16PSL_PKlPlN2at6native12_GLOBAL__N_18offset_tEEE10hipError_tPvRmT1_PNSt15iterator_traitsISZ_E10value_typeET2_T3_PNS10_IS15_E10value_typeET4_jRbjT5_S1B_jjP12ihipStream_tbEUljE_EEESW_SX_SY_S15_S19_S1B_T6_T7_T9_mT8_S1D_bDpT10_ENKUlT_T0_E_clISt17integral_constantIbLb0EES1P_IbLb1EEEEDaS1L_S1M_EUlS1L_E_NS1_11comp_targetILNS1_3genE10ELNS1_11target_archE1200ELNS1_3gpuE4ELNS1_3repE0EEENS1_30default_config_static_selectorELNS0_4arch9wavefront6targetE0EEEvSZ_
                                        ; -- End function
	.set _ZN7rocprim17ROCPRIM_400000_NS6detail17trampoline_kernelINS0_13select_configILj256ELj13ELNS0_17block_load_methodE3ELS4_3ELS4_3ELNS0_20block_scan_algorithmE0ELj4294967295EEENS1_25partition_config_selectorILNS1_17partition_subalgoE3EjNS0_10empty_typeEbEEZZNS1_14partition_implILS8_3ELb0ES6_jNS0_17counting_iteratorIjlEEPS9_SE_NS0_5tupleIJPjSE_EEENSF_IJSE_SE_EEES9_SG_JZNS1_25segmented_radix_sort_implINS0_14default_configELb0EPK12hip_bfloat16PSL_PKlPlN2at6native12_GLOBAL__N_18offset_tEEE10hipError_tPvRmT1_PNSt15iterator_traitsISZ_E10value_typeET2_T3_PNS10_IS15_E10value_typeET4_jRbjT5_S1B_jjP12ihipStream_tbEUljE_EEESW_SX_SY_S15_S19_S1B_T6_T7_T9_mT8_S1D_bDpT10_ENKUlT_T0_E_clISt17integral_constantIbLb0EES1P_IbLb1EEEEDaS1L_S1M_EUlS1L_E_NS1_11comp_targetILNS1_3genE10ELNS1_11target_archE1200ELNS1_3gpuE4ELNS1_3repE0EEENS1_30default_config_static_selectorELNS0_4arch9wavefront6targetE0EEEvSZ_.num_vgpr, 71
	.set _ZN7rocprim17ROCPRIM_400000_NS6detail17trampoline_kernelINS0_13select_configILj256ELj13ELNS0_17block_load_methodE3ELS4_3ELS4_3ELNS0_20block_scan_algorithmE0ELj4294967295EEENS1_25partition_config_selectorILNS1_17partition_subalgoE3EjNS0_10empty_typeEbEEZZNS1_14partition_implILS8_3ELb0ES6_jNS0_17counting_iteratorIjlEEPS9_SE_NS0_5tupleIJPjSE_EEENSF_IJSE_SE_EEES9_SG_JZNS1_25segmented_radix_sort_implINS0_14default_configELb0EPK12hip_bfloat16PSL_PKlPlN2at6native12_GLOBAL__N_18offset_tEEE10hipError_tPvRmT1_PNSt15iterator_traitsISZ_E10value_typeET2_T3_PNS10_IS15_E10value_typeET4_jRbjT5_S1B_jjP12ihipStream_tbEUljE_EEESW_SX_SY_S15_S19_S1B_T6_T7_T9_mT8_S1D_bDpT10_ENKUlT_T0_E_clISt17integral_constantIbLb0EES1P_IbLb1EEEEDaS1L_S1M_EUlS1L_E_NS1_11comp_targetILNS1_3genE10ELNS1_11target_archE1200ELNS1_3gpuE4ELNS1_3repE0EEENS1_30default_config_static_selectorELNS0_4arch9wavefront6targetE0EEEvSZ_.num_agpr, 0
	.set _ZN7rocprim17ROCPRIM_400000_NS6detail17trampoline_kernelINS0_13select_configILj256ELj13ELNS0_17block_load_methodE3ELS4_3ELS4_3ELNS0_20block_scan_algorithmE0ELj4294967295EEENS1_25partition_config_selectorILNS1_17partition_subalgoE3EjNS0_10empty_typeEbEEZZNS1_14partition_implILS8_3ELb0ES6_jNS0_17counting_iteratorIjlEEPS9_SE_NS0_5tupleIJPjSE_EEENSF_IJSE_SE_EEES9_SG_JZNS1_25segmented_radix_sort_implINS0_14default_configELb0EPK12hip_bfloat16PSL_PKlPlN2at6native12_GLOBAL__N_18offset_tEEE10hipError_tPvRmT1_PNSt15iterator_traitsISZ_E10value_typeET2_T3_PNS10_IS15_E10value_typeET4_jRbjT5_S1B_jjP12ihipStream_tbEUljE_EEESW_SX_SY_S15_S19_S1B_T6_T7_T9_mT8_S1D_bDpT10_ENKUlT_T0_E_clISt17integral_constantIbLb0EES1P_IbLb1EEEEDaS1L_S1M_EUlS1L_E_NS1_11comp_targetILNS1_3genE10ELNS1_11target_archE1200ELNS1_3gpuE4ELNS1_3repE0EEENS1_30default_config_static_selectorELNS0_4arch9wavefront6targetE0EEEvSZ_.numbered_sgpr, 26
	.set _ZN7rocprim17ROCPRIM_400000_NS6detail17trampoline_kernelINS0_13select_configILj256ELj13ELNS0_17block_load_methodE3ELS4_3ELS4_3ELNS0_20block_scan_algorithmE0ELj4294967295EEENS1_25partition_config_selectorILNS1_17partition_subalgoE3EjNS0_10empty_typeEbEEZZNS1_14partition_implILS8_3ELb0ES6_jNS0_17counting_iteratorIjlEEPS9_SE_NS0_5tupleIJPjSE_EEENSF_IJSE_SE_EEES9_SG_JZNS1_25segmented_radix_sort_implINS0_14default_configELb0EPK12hip_bfloat16PSL_PKlPlN2at6native12_GLOBAL__N_18offset_tEEE10hipError_tPvRmT1_PNSt15iterator_traitsISZ_E10value_typeET2_T3_PNS10_IS15_E10value_typeET4_jRbjT5_S1B_jjP12ihipStream_tbEUljE_EEESW_SX_SY_S15_S19_S1B_T6_T7_T9_mT8_S1D_bDpT10_ENKUlT_T0_E_clISt17integral_constantIbLb0EES1P_IbLb1EEEEDaS1L_S1M_EUlS1L_E_NS1_11comp_targetILNS1_3genE10ELNS1_11target_archE1200ELNS1_3gpuE4ELNS1_3repE0EEENS1_30default_config_static_selectorELNS0_4arch9wavefront6targetE0EEEvSZ_.num_named_barrier, 0
	.set _ZN7rocprim17ROCPRIM_400000_NS6detail17trampoline_kernelINS0_13select_configILj256ELj13ELNS0_17block_load_methodE3ELS4_3ELS4_3ELNS0_20block_scan_algorithmE0ELj4294967295EEENS1_25partition_config_selectorILNS1_17partition_subalgoE3EjNS0_10empty_typeEbEEZZNS1_14partition_implILS8_3ELb0ES6_jNS0_17counting_iteratorIjlEEPS9_SE_NS0_5tupleIJPjSE_EEENSF_IJSE_SE_EEES9_SG_JZNS1_25segmented_radix_sort_implINS0_14default_configELb0EPK12hip_bfloat16PSL_PKlPlN2at6native12_GLOBAL__N_18offset_tEEE10hipError_tPvRmT1_PNSt15iterator_traitsISZ_E10value_typeET2_T3_PNS10_IS15_E10value_typeET4_jRbjT5_S1B_jjP12ihipStream_tbEUljE_EEESW_SX_SY_S15_S19_S1B_T6_T7_T9_mT8_S1D_bDpT10_ENKUlT_T0_E_clISt17integral_constantIbLb0EES1P_IbLb1EEEEDaS1L_S1M_EUlS1L_E_NS1_11comp_targetILNS1_3genE10ELNS1_11target_archE1200ELNS1_3gpuE4ELNS1_3repE0EEENS1_30default_config_static_selectorELNS0_4arch9wavefront6targetE0EEEvSZ_.private_seg_size, 0
	.set _ZN7rocprim17ROCPRIM_400000_NS6detail17trampoline_kernelINS0_13select_configILj256ELj13ELNS0_17block_load_methodE3ELS4_3ELS4_3ELNS0_20block_scan_algorithmE0ELj4294967295EEENS1_25partition_config_selectorILNS1_17partition_subalgoE3EjNS0_10empty_typeEbEEZZNS1_14partition_implILS8_3ELb0ES6_jNS0_17counting_iteratorIjlEEPS9_SE_NS0_5tupleIJPjSE_EEENSF_IJSE_SE_EEES9_SG_JZNS1_25segmented_radix_sort_implINS0_14default_configELb0EPK12hip_bfloat16PSL_PKlPlN2at6native12_GLOBAL__N_18offset_tEEE10hipError_tPvRmT1_PNSt15iterator_traitsISZ_E10value_typeET2_T3_PNS10_IS15_E10value_typeET4_jRbjT5_S1B_jjP12ihipStream_tbEUljE_EEESW_SX_SY_S15_S19_S1B_T6_T7_T9_mT8_S1D_bDpT10_ENKUlT_T0_E_clISt17integral_constantIbLb0EES1P_IbLb1EEEEDaS1L_S1M_EUlS1L_E_NS1_11comp_targetILNS1_3genE10ELNS1_11target_archE1200ELNS1_3gpuE4ELNS1_3repE0EEENS1_30default_config_static_selectorELNS0_4arch9wavefront6targetE0EEEvSZ_.uses_vcc, 1
	.set _ZN7rocprim17ROCPRIM_400000_NS6detail17trampoline_kernelINS0_13select_configILj256ELj13ELNS0_17block_load_methodE3ELS4_3ELS4_3ELNS0_20block_scan_algorithmE0ELj4294967295EEENS1_25partition_config_selectorILNS1_17partition_subalgoE3EjNS0_10empty_typeEbEEZZNS1_14partition_implILS8_3ELb0ES6_jNS0_17counting_iteratorIjlEEPS9_SE_NS0_5tupleIJPjSE_EEENSF_IJSE_SE_EEES9_SG_JZNS1_25segmented_radix_sort_implINS0_14default_configELb0EPK12hip_bfloat16PSL_PKlPlN2at6native12_GLOBAL__N_18offset_tEEE10hipError_tPvRmT1_PNSt15iterator_traitsISZ_E10value_typeET2_T3_PNS10_IS15_E10value_typeET4_jRbjT5_S1B_jjP12ihipStream_tbEUljE_EEESW_SX_SY_S15_S19_S1B_T6_T7_T9_mT8_S1D_bDpT10_ENKUlT_T0_E_clISt17integral_constantIbLb0EES1P_IbLb1EEEEDaS1L_S1M_EUlS1L_E_NS1_11comp_targetILNS1_3genE10ELNS1_11target_archE1200ELNS1_3gpuE4ELNS1_3repE0EEENS1_30default_config_static_selectorELNS0_4arch9wavefront6targetE0EEEvSZ_.uses_flat_scratch, 0
	.set _ZN7rocprim17ROCPRIM_400000_NS6detail17trampoline_kernelINS0_13select_configILj256ELj13ELNS0_17block_load_methodE3ELS4_3ELS4_3ELNS0_20block_scan_algorithmE0ELj4294967295EEENS1_25partition_config_selectorILNS1_17partition_subalgoE3EjNS0_10empty_typeEbEEZZNS1_14partition_implILS8_3ELb0ES6_jNS0_17counting_iteratorIjlEEPS9_SE_NS0_5tupleIJPjSE_EEENSF_IJSE_SE_EEES9_SG_JZNS1_25segmented_radix_sort_implINS0_14default_configELb0EPK12hip_bfloat16PSL_PKlPlN2at6native12_GLOBAL__N_18offset_tEEE10hipError_tPvRmT1_PNSt15iterator_traitsISZ_E10value_typeET2_T3_PNS10_IS15_E10value_typeET4_jRbjT5_S1B_jjP12ihipStream_tbEUljE_EEESW_SX_SY_S15_S19_S1B_T6_T7_T9_mT8_S1D_bDpT10_ENKUlT_T0_E_clISt17integral_constantIbLb0EES1P_IbLb1EEEEDaS1L_S1M_EUlS1L_E_NS1_11comp_targetILNS1_3genE10ELNS1_11target_archE1200ELNS1_3gpuE4ELNS1_3repE0EEENS1_30default_config_static_selectorELNS0_4arch9wavefront6targetE0EEEvSZ_.has_dyn_sized_stack, 0
	.set _ZN7rocprim17ROCPRIM_400000_NS6detail17trampoline_kernelINS0_13select_configILj256ELj13ELNS0_17block_load_methodE3ELS4_3ELS4_3ELNS0_20block_scan_algorithmE0ELj4294967295EEENS1_25partition_config_selectorILNS1_17partition_subalgoE3EjNS0_10empty_typeEbEEZZNS1_14partition_implILS8_3ELb0ES6_jNS0_17counting_iteratorIjlEEPS9_SE_NS0_5tupleIJPjSE_EEENSF_IJSE_SE_EEES9_SG_JZNS1_25segmented_radix_sort_implINS0_14default_configELb0EPK12hip_bfloat16PSL_PKlPlN2at6native12_GLOBAL__N_18offset_tEEE10hipError_tPvRmT1_PNSt15iterator_traitsISZ_E10value_typeET2_T3_PNS10_IS15_E10value_typeET4_jRbjT5_S1B_jjP12ihipStream_tbEUljE_EEESW_SX_SY_S15_S19_S1B_T6_T7_T9_mT8_S1D_bDpT10_ENKUlT_T0_E_clISt17integral_constantIbLb0EES1P_IbLb1EEEEDaS1L_S1M_EUlS1L_E_NS1_11comp_targetILNS1_3genE10ELNS1_11target_archE1200ELNS1_3gpuE4ELNS1_3repE0EEENS1_30default_config_static_selectorELNS0_4arch9wavefront6targetE0EEEvSZ_.has_recursion, 0
	.set _ZN7rocprim17ROCPRIM_400000_NS6detail17trampoline_kernelINS0_13select_configILj256ELj13ELNS0_17block_load_methodE3ELS4_3ELS4_3ELNS0_20block_scan_algorithmE0ELj4294967295EEENS1_25partition_config_selectorILNS1_17partition_subalgoE3EjNS0_10empty_typeEbEEZZNS1_14partition_implILS8_3ELb0ES6_jNS0_17counting_iteratorIjlEEPS9_SE_NS0_5tupleIJPjSE_EEENSF_IJSE_SE_EEES9_SG_JZNS1_25segmented_radix_sort_implINS0_14default_configELb0EPK12hip_bfloat16PSL_PKlPlN2at6native12_GLOBAL__N_18offset_tEEE10hipError_tPvRmT1_PNSt15iterator_traitsISZ_E10value_typeET2_T3_PNS10_IS15_E10value_typeET4_jRbjT5_S1B_jjP12ihipStream_tbEUljE_EEESW_SX_SY_S15_S19_S1B_T6_T7_T9_mT8_S1D_bDpT10_ENKUlT_T0_E_clISt17integral_constantIbLb0EES1P_IbLb1EEEEDaS1L_S1M_EUlS1L_E_NS1_11comp_targetILNS1_3genE10ELNS1_11target_archE1200ELNS1_3gpuE4ELNS1_3repE0EEENS1_30default_config_static_selectorELNS0_4arch9wavefront6targetE0EEEvSZ_.has_indirect_call, 0
	.section	.AMDGPU.csdata,"",@progbits
; Kernel info:
; codeLenInByte = 10900
; TotalNumSgprs: 28
; NumVgprs: 71
; ScratchSize: 0
; MemoryBound: 0
; FloatMode: 240
; IeeeMode: 1
; LDSByteSize: 13320 bytes/workgroup (compile time only)
; SGPRBlocks: 0
; VGPRBlocks: 8
; NumSGPRsForWavesPerEU: 28
; NumVGPRsForWavesPerEU: 71
; Occupancy: 16
; WaveLimiterHint : 0
; COMPUTE_PGM_RSRC2:SCRATCH_EN: 0
; COMPUTE_PGM_RSRC2:USER_SGPR: 2
; COMPUTE_PGM_RSRC2:TRAP_HANDLER: 0
; COMPUTE_PGM_RSRC2:TGID_X_EN: 1
; COMPUTE_PGM_RSRC2:TGID_Y_EN: 0
; COMPUTE_PGM_RSRC2:TGID_Z_EN: 0
; COMPUTE_PGM_RSRC2:TIDIG_COMP_CNT: 0
	.section	.text._ZN7rocprim17ROCPRIM_400000_NS6detail17trampoline_kernelINS0_13select_configILj256ELj13ELNS0_17block_load_methodE3ELS4_3ELS4_3ELNS0_20block_scan_algorithmE0ELj4294967295EEENS1_25partition_config_selectorILNS1_17partition_subalgoE3EjNS0_10empty_typeEbEEZZNS1_14partition_implILS8_3ELb0ES6_jNS0_17counting_iteratorIjlEEPS9_SE_NS0_5tupleIJPjSE_EEENSF_IJSE_SE_EEES9_SG_JZNS1_25segmented_radix_sort_implINS0_14default_configELb0EPK12hip_bfloat16PSL_PKlPlN2at6native12_GLOBAL__N_18offset_tEEE10hipError_tPvRmT1_PNSt15iterator_traitsISZ_E10value_typeET2_T3_PNS10_IS15_E10value_typeET4_jRbjT5_S1B_jjP12ihipStream_tbEUljE_EEESW_SX_SY_S15_S19_S1B_T6_T7_T9_mT8_S1D_bDpT10_ENKUlT_T0_E_clISt17integral_constantIbLb0EES1P_IbLb1EEEEDaS1L_S1M_EUlS1L_E_NS1_11comp_targetILNS1_3genE9ELNS1_11target_archE1100ELNS1_3gpuE3ELNS1_3repE0EEENS1_30default_config_static_selectorELNS0_4arch9wavefront6targetE0EEEvSZ_,"axG",@progbits,_ZN7rocprim17ROCPRIM_400000_NS6detail17trampoline_kernelINS0_13select_configILj256ELj13ELNS0_17block_load_methodE3ELS4_3ELS4_3ELNS0_20block_scan_algorithmE0ELj4294967295EEENS1_25partition_config_selectorILNS1_17partition_subalgoE3EjNS0_10empty_typeEbEEZZNS1_14partition_implILS8_3ELb0ES6_jNS0_17counting_iteratorIjlEEPS9_SE_NS0_5tupleIJPjSE_EEENSF_IJSE_SE_EEES9_SG_JZNS1_25segmented_radix_sort_implINS0_14default_configELb0EPK12hip_bfloat16PSL_PKlPlN2at6native12_GLOBAL__N_18offset_tEEE10hipError_tPvRmT1_PNSt15iterator_traitsISZ_E10value_typeET2_T3_PNS10_IS15_E10value_typeET4_jRbjT5_S1B_jjP12ihipStream_tbEUljE_EEESW_SX_SY_S15_S19_S1B_T6_T7_T9_mT8_S1D_bDpT10_ENKUlT_T0_E_clISt17integral_constantIbLb0EES1P_IbLb1EEEEDaS1L_S1M_EUlS1L_E_NS1_11comp_targetILNS1_3genE9ELNS1_11target_archE1100ELNS1_3gpuE3ELNS1_3repE0EEENS1_30default_config_static_selectorELNS0_4arch9wavefront6targetE0EEEvSZ_,comdat
	.globl	_ZN7rocprim17ROCPRIM_400000_NS6detail17trampoline_kernelINS0_13select_configILj256ELj13ELNS0_17block_load_methodE3ELS4_3ELS4_3ELNS0_20block_scan_algorithmE0ELj4294967295EEENS1_25partition_config_selectorILNS1_17partition_subalgoE3EjNS0_10empty_typeEbEEZZNS1_14partition_implILS8_3ELb0ES6_jNS0_17counting_iteratorIjlEEPS9_SE_NS0_5tupleIJPjSE_EEENSF_IJSE_SE_EEES9_SG_JZNS1_25segmented_radix_sort_implINS0_14default_configELb0EPK12hip_bfloat16PSL_PKlPlN2at6native12_GLOBAL__N_18offset_tEEE10hipError_tPvRmT1_PNSt15iterator_traitsISZ_E10value_typeET2_T3_PNS10_IS15_E10value_typeET4_jRbjT5_S1B_jjP12ihipStream_tbEUljE_EEESW_SX_SY_S15_S19_S1B_T6_T7_T9_mT8_S1D_bDpT10_ENKUlT_T0_E_clISt17integral_constantIbLb0EES1P_IbLb1EEEEDaS1L_S1M_EUlS1L_E_NS1_11comp_targetILNS1_3genE9ELNS1_11target_archE1100ELNS1_3gpuE3ELNS1_3repE0EEENS1_30default_config_static_selectorELNS0_4arch9wavefront6targetE0EEEvSZ_ ; -- Begin function _ZN7rocprim17ROCPRIM_400000_NS6detail17trampoline_kernelINS0_13select_configILj256ELj13ELNS0_17block_load_methodE3ELS4_3ELS4_3ELNS0_20block_scan_algorithmE0ELj4294967295EEENS1_25partition_config_selectorILNS1_17partition_subalgoE3EjNS0_10empty_typeEbEEZZNS1_14partition_implILS8_3ELb0ES6_jNS0_17counting_iteratorIjlEEPS9_SE_NS0_5tupleIJPjSE_EEENSF_IJSE_SE_EEES9_SG_JZNS1_25segmented_radix_sort_implINS0_14default_configELb0EPK12hip_bfloat16PSL_PKlPlN2at6native12_GLOBAL__N_18offset_tEEE10hipError_tPvRmT1_PNSt15iterator_traitsISZ_E10value_typeET2_T3_PNS10_IS15_E10value_typeET4_jRbjT5_S1B_jjP12ihipStream_tbEUljE_EEESW_SX_SY_S15_S19_S1B_T6_T7_T9_mT8_S1D_bDpT10_ENKUlT_T0_E_clISt17integral_constantIbLb0EES1P_IbLb1EEEEDaS1L_S1M_EUlS1L_E_NS1_11comp_targetILNS1_3genE9ELNS1_11target_archE1100ELNS1_3gpuE3ELNS1_3repE0EEENS1_30default_config_static_selectorELNS0_4arch9wavefront6targetE0EEEvSZ_
	.p2align	8
	.type	_ZN7rocprim17ROCPRIM_400000_NS6detail17trampoline_kernelINS0_13select_configILj256ELj13ELNS0_17block_load_methodE3ELS4_3ELS4_3ELNS0_20block_scan_algorithmE0ELj4294967295EEENS1_25partition_config_selectorILNS1_17partition_subalgoE3EjNS0_10empty_typeEbEEZZNS1_14partition_implILS8_3ELb0ES6_jNS0_17counting_iteratorIjlEEPS9_SE_NS0_5tupleIJPjSE_EEENSF_IJSE_SE_EEES9_SG_JZNS1_25segmented_radix_sort_implINS0_14default_configELb0EPK12hip_bfloat16PSL_PKlPlN2at6native12_GLOBAL__N_18offset_tEEE10hipError_tPvRmT1_PNSt15iterator_traitsISZ_E10value_typeET2_T3_PNS10_IS15_E10value_typeET4_jRbjT5_S1B_jjP12ihipStream_tbEUljE_EEESW_SX_SY_S15_S19_S1B_T6_T7_T9_mT8_S1D_bDpT10_ENKUlT_T0_E_clISt17integral_constantIbLb0EES1P_IbLb1EEEEDaS1L_S1M_EUlS1L_E_NS1_11comp_targetILNS1_3genE9ELNS1_11target_archE1100ELNS1_3gpuE3ELNS1_3repE0EEENS1_30default_config_static_selectorELNS0_4arch9wavefront6targetE0EEEvSZ_,@function
_ZN7rocprim17ROCPRIM_400000_NS6detail17trampoline_kernelINS0_13select_configILj256ELj13ELNS0_17block_load_methodE3ELS4_3ELS4_3ELNS0_20block_scan_algorithmE0ELj4294967295EEENS1_25partition_config_selectorILNS1_17partition_subalgoE3EjNS0_10empty_typeEbEEZZNS1_14partition_implILS8_3ELb0ES6_jNS0_17counting_iteratorIjlEEPS9_SE_NS0_5tupleIJPjSE_EEENSF_IJSE_SE_EEES9_SG_JZNS1_25segmented_radix_sort_implINS0_14default_configELb0EPK12hip_bfloat16PSL_PKlPlN2at6native12_GLOBAL__N_18offset_tEEE10hipError_tPvRmT1_PNSt15iterator_traitsISZ_E10value_typeET2_T3_PNS10_IS15_E10value_typeET4_jRbjT5_S1B_jjP12ihipStream_tbEUljE_EEESW_SX_SY_S15_S19_S1B_T6_T7_T9_mT8_S1D_bDpT10_ENKUlT_T0_E_clISt17integral_constantIbLb0EES1P_IbLb1EEEEDaS1L_S1M_EUlS1L_E_NS1_11comp_targetILNS1_3genE9ELNS1_11target_archE1100ELNS1_3gpuE3ELNS1_3repE0EEENS1_30default_config_static_selectorELNS0_4arch9wavefront6targetE0EEEvSZ_: ; @_ZN7rocprim17ROCPRIM_400000_NS6detail17trampoline_kernelINS0_13select_configILj256ELj13ELNS0_17block_load_methodE3ELS4_3ELS4_3ELNS0_20block_scan_algorithmE0ELj4294967295EEENS1_25partition_config_selectorILNS1_17partition_subalgoE3EjNS0_10empty_typeEbEEZZNS1_14partition_implILS8_3ELb0ES6_jNS0_17counting_iteratorIjlEEPS9_SE_NS0_5tupleIJPjSE_EEENSF_IJSE_SE_EEES9_SG_JZNS1_25segmented_radix_sort_implINS0_14default_configELb0EPK12hip_bfloat16PSL_PKlPlN2at6native12_GLOBAL__N_18offset_tEEE10hipError_tPvRmT1_PNSt15iterator_traitsISZ_E10value_typeET2_T3_PNS10_IS15_E10value_typeET4_jRbjT5_S1B_jjP12ihipStream_tbEUljE_EEESW_SX_SY_S15_S19_S1B_T6_T7_T9_mT8_S1D_bDpT10_ENKUlT_T0_E_clISt17integral_constantIbLb0EES1P_IbLb1EEEEDaS1L_S1M_EUlS1L_E_NS1_11comp_targetILNS1_3genE9ELNS1_11target_archE1100ELNS1_3gpuE3ELNS1_3repE0EEENS1_30default_config_static_selectorELNS0_4arch9wavefront6targetE0EEEvSZ_
; %bb.0:
	.section	.rodata,"a",@progbits
	.p2align	6, 0x0
	.amdhsa_kernel _ZN7rocprim17ROCPRIM_400000_NS6detail17trampoline_kernelINS0_13select_configILj256ELj13ELNS0_17block_load_methodE3ELS4_3ELS4_3ELNS0_20block_scan_algorithmE0ELj4294967295EEENS1_25partition_config_selectorILNS1_17partition_subalgoE3EjNS0_10empty_typeEbEEZZNS1_14partition_implILS8_3ELb0ES6_jNS0_17counting_iteratorIjlEEPS9_SE_NS0_5tupleIJPjSE_EEENSF_IJSE_SE_EEES9_SG_JZNS1_25segmented_radix_sort_implINS0_14default_configELb0EPK12hip_bfloat16PSL_PKlPlN2at6native12_GLOBAL__N_18offset_tEEE10hipError_tPvRmT1_PNSt15iterator_traitsISZ_E10value_typeET2_T3_PNS10_IS15_E10value_typeET4_jRbjT5_S1B_jjP12ihipStream_tbEUljE_EEESW_SX_SY_S15_S19_S1B_T6_T7_T9_mT8_S1D_bDpT10_ENKUlT_T0_E_clISt17integral_constantIbLb0EES1P_IbLb1EEEEDaS1L_S1M_EUlS1L_E_NS1_11comp_targetILNS1_3genE9ELNS1_11target_archE1100ELNS1_3gpuE3ELNS1_3repE0EEENS1_30default_config_static_selectorELNS0_4arch9wavefront6targetE0EEEvSZ_
		.amdhsa_group_segment_fixed_size 0
		.amdhsa_private_segment_fixed_size 0
		.amdhsa_kernarg_size 152
		.amdhsa_user_sgpr_count 2
		.amdhsa_user_sgpr_dispatch_ptr 0
		.amdhsa_user_sgpr_queue_ptr 0
		.amdhsa_user_sgpr_kernarg_segment_ptr 1
		.amdhsa_user_sgpr_dispatch_id 0
		.amdhsa_user_sgpr_private_segment_size 0
		.amdhsa_wavefront_size32 1
		.amdhsa_uses_dynamic_stack 0
		.amdhsa_enable_private_segment 0
		.amdhsa_system_sgpr_workgroup_id_x 1
		.amdhsa_system_sgpr_workgroup_id_y 0
		.amdhsa_system_sgpr_workgroup_id_z 0
		.amdhsa_system_sgpr_workgroup_info 0
		.amdhsa_system_vgpr_workitem_id 0
		.amdhsa_next_free_vgpr 1
		.amdhsa_next_free_sgpr 1
		.amdhsa_reserve_vcc 0
		.amdhsa_float_round_mode_32 0
		.amdhsa_float_round_mode_16_64 0
		.amdhsa_float_denorm_mode_32 3
		.amdhsa_float_denorm_mode_16_64 3
		.amdhsa_fp16_overflow 0
		.amdhsa_workgroup_processor_mode 1
		.amdhsa_memory_ordered 1
		.amdhsa_forward_progress 1
		.amdhsa_inst_pref_size 0
		.amdhsa_round_robin_scheduling 0
		.amdhsa_exception_fp_ieee_invalid_op 0
		.amdhsa_exception_fp_denorm_src 0
		.amdhsa_exception_fp_ieee_div_zero 0
		.amdhsa_exception_fp_ieee_overflow 0
		.amdhsa_exception_fp_ieee_underflow 0
		.amdhsa_exception_fp_ieee_inexact 0
		.amdhsa_exception_int_div_zero 0
	.end_amdhsa_kernel
	.section	.text._ZN7rocprim17ROCPRIM_400000_NS6detail17trampoline_kernelINS0_13select_configILj256ELj13ELNS0_17block_load_methodE3ELS4_3ELS4_3ELNS0_20block_scan_algorithmE0ELj4294967295EEENS1_25partition_config_selectorILNS1_17partition_subalgoE3EjNS0_10empty_typeEbEEZZNS1_14partition_implILS8_3ELb0ES6_jNS0_17counting_iteratorIjlEEPS9_SE_NS0_5tupleIJPjSE_EEENSF_IJSE_SE_EEES9_SG_JZNS1_25segmented_radix_sort_implINS0_14default_configELb0EPK12hip_bfloat16PSL_PKlPlN2at6native12_GLOBAL__N_18offset_tEEE10hipError_tPvRmT1_PNSt15iterator_traitsISZ_E10value_typeET2_T3_PNS10_IS15_E10value_typeET4_jRbjT5_S1B_jjP12ihipStream_tbEUljE_EEESW_SX_SY_S15_S19_S1B_T6_T7_T9_mT8_S1D_bDpT10_ENKUlT_T0_E_clISt17integral_constantIbLb0EES1P_IbLb1EEEEDaS1L_S1M_EUlS1L_E_NS1_11comp_targetILNS1_3genE9ELNS1_11target_archE1100ELNS1_3gpuE3ELNS1_3repE0EEENS1_30default_config_static_selectorELNS0_4arch9wavefront6targetE0EEEvSZ_,"axG",@progbits,_ZN7rocprim17ROCPRIM_400000_NS6detail17trampoline_kernelINS0_13select_configILj256ELj13ELNS0_17block_load_methodE3ELS4_3ELS4_3ELNS0_20block_scan_algorithmE0ELj4294967295EEENS1_25partition_config_selectorILNS1_17partition_subalgoE3EjNS0_10empty_typeEbEEZZNS1_14partition_implILS8_3ELb0ES6_jNS0_17counting_iteratorIjlEEPS9_SE_NS0_5tupleIJPjSE_EEENSF_IJSE_SE_EEES9_SG_JZNS1_25segmented_radix_sort_implINS0_14default_configELb0EPK12hip_bfloat16PSL_PKlPlN2at6native12_GLOBAL__N_18offset_tEEE10hipError_tPvRmT1_PNSt15iterator_traitsISZ_E10value_typeET2_T3_PNS10_IS15_E10value_typeET4_jRbjT5_S1B_jjP12ihipStream_tbEUljE_EEESW_SX_SY_S15_S19_S1B_T6_T7_T9_mT8_S1D_bDpT10_ENKUlT_T0_E_clISt17integral_constantIbLb0EES1P_IbLb1EEEEDaS1L_S1M_EUlS1L_E_NS1_11comp_targetILNS1_3genE9ELNS1_11target_archE1100ELNS1_3gpuE3ELNS1_3repE0EEENS1_30default_config_static_selectorELNS0_4arch9wavefront6targetE0EEEvSZ_,comdat
.Lfunc_end2047:
	.size	_ZN7rocprim17ROCPRIM_400000_NS6detail17trampoline_kernelINS0_13select_configILj256ELj13ELNS0_17block_load_methodE3ELS4_3ELS4_3ELNS0_20block_scan_algorithmE0ELj4294967295EEENS1_25partition_config_selectorILNS1_17partition_subalgoE3EjNS0_10empty_typeEbEEZZNS1_14partition_implILS8_3ELb0ES6_jNS0_17counting_iteratorIjlEEPS9_SE_NS0_5tupleIJPjSE_EEENSF_IJSE_SE_EEES9_SG_JZNS1_25segmented_radix_sort_implINS0_14default_configELb0EPK12hip_bfloat16PSL_PKlPlN2at6native12_GLOBAL__N_18offset_tEEE10hipError_tPvRmT1_PNSt15iterator_traitsISZ_E10value_typeET2_T3_PNS10_IS15_E10value_typeET4_jRbjT5_S1B_jjP12ihipStream_tbEUljE_EEESW_SX_SY_S15_S19_S1B_T6_T7_T9_mT8_S1D_bDpT10_ENKUlT_T0_E_clISt17integral_constantIbLb0EES1P_IbLb1EEEEDaS1L_S1M_EUlS1L_E_NS1_11comp_targetILNS1_3genE9ELNS1_11target_archE1100ELNS1_3gpuE3ELNS1_3repE0EEENS1_30default_config_static_selectorELNS0_4arch9wavefront6targetE0EEEvSZ_, .Lfunc_end2047-_ZN7rocprim17ROCPRIM_400000_NS6detail17trampoline_kernelINS0_13select_configILj256ELj13ELNS0_17block_load_methodE3ELS4_3ELS4_3ELNS0_20block_scan_algorithmE0ELj4294967295EEENS1_25partition_config_selectorILNS1_17partition_subalgoE3EjNS0_10empty_typeEbEEZZNS1_14partition_implILS8_3ELb0ES6_jNS0_17counting_iteratorIjlEEPS9_SE_NS0_5tupleIJPjSE_EEENSF_IJSE_SE_EEES9_SG_JZNS1_25segmented_radix_sort_implINS0_14default_configELb0EPK12hip_bfloat16PSL_PKlPlN2at6native12_GLOBAL__N_18offset_tEEE10hipError_tPvRmT1_PNSt15iterator_traitsISZ_E10value_typeET2_T3_PNS10_IS15_E10value_typeET4_jRbjT5_S1B_jjP12ihipStream_tbEUljE_EEESW_SX_SY_S15_S19_S1B_T6_T7_T9_mT8_S1D_bDpT10_ENKUlT_T0_E_clISt17integral_constantIbLb0EES1P_IbLb1EEEEDaS1L_S1M_EUlS1L_E_NS1_11comp_targetILNS1_3genE9ELNS1_11target_archE1100ELNS1_3gpuE3ELNS1_3repE0EEENS1_30default_config_static_selectorELNS0_4arch9wavefront6targetE0EEEvSZ_
                                        ; -- End function
	.set _ZN7rocprim17ROCPRIM_400000_NS6detail17trampoline_kernelINS0_13select_configILj256ELj13ELNS0_17block_load_methodE3ELS4_3ELS4_3ELNS0_20block_scan_algorithmE0ELj4294967295EEENS1_25partition_config_selectorILNS1_17partition_subalgoE3EjNS0_10empty_typeEbEEZZNS1_14partition_implILS8_3ELb0ES6_jNS0_17counting_iteratorIjlEEPS9_SE_NS0_5tupleIJPjSE_EEENSF_IJSE_SE_EEES9_SG_JZNS1_25segmented_radix_sort_implINS0_14default_configELb0EPK12hip_bfloat16PSL_PKlPlN2at6native12_GLOBAL__N_18offset_tEEE10hipError_tPvRmT1_PNSt15iterator_traitsISZ_E10value_typeET2_T3_PNS10_IS15_E10value_typeET4_jRbjT5_S1B_jjP12ihipStream_tbEUljE_EEESW_SX_SY_S15_S19_S1B_T6_T7_T9_mT8_S1D_bDpT10_ENKUlT_T0_E_clISt17integral_constantIbLb0EES1P_IbLb1EEEEDaS1L_S1M_EUlS1L_E_NS1_11comp_targetILNS1_3genE9ELNS1_11target_archE1100ELNS1_3gpuE3ELNS1_3repE0EEENS1_30default_config_static_selectorELNS0_4arch9wavefront6targetE0EEEvSZ_.num_vgpr, 0
	.set _ZN7rocprim17ROCPRIM_400000_NS6detail17trampoline_kernelINS0_13select_configILj256ELj13ELNS0_17block_load_methodE3ELS4_3ELS4_3ELNS0_20block_scan_algorithmE0ELj4294967295EEENS1_25partition_config_selectorILNS1_17partition_subalgoE3EjNS0_10empty_typeEbEEZZNS1_14partition_implILS8_3ELb0ES6_jNS0_17counting_iteratorIjlEEPS9_SE_NS0_5tupleIJPjSE_EEENSF_IJSE_SE_EEES9_SG_JZNS1_25segmented_radix_sort_implINS0_14default_configELb0EPK12hip_bfloat16PSL_PKlPlN2at6native12_GLOBAL__N_18offset_tEEE10hipError_tPvRmT1_PNSt15iterator_traitsISZ_E10value_typeET2_T3_PNS10_IS15_E10value_typeET4_jRbjT5_S1B_jjP12ihipStream_tbEUljE_EEESW_SX_SY_S15_S19_S1B_T6_T7_T9_mT8_S1D_bDpT10_ENKUlT_T0_E_clISt17integral_constantIbLb0EES1P_IbLb1EEEEDaS1L_S1M_EUlS1L_E_NS1_11comp_targetILNS1_3genE9ELNS1_11target_archE1100ELNS1_3gpuE3ELNS1_3repE0EEENS1_30default_config_static_selectorELNS0_4arch9wavefront6targetE0EEEvSZ_.num_agpr, 0
	.set _ZN7rocprim17ROCPRIM_400000_NS6detail17trampoline_kernelINS0_13select_configILj256ELj13ELNS0_17block_load_methodE3ELS4_3ELS4_3ELNS0_20block_scan_algorithmE0ELj4294967295EEENS1_25partition_config_selectorILNS1_17partition_subalgoE3EjNS0_10empty_typeEbEEZZNS1_14partition_implILS8_3ELb0ES6_jNS0_17counting_iteratorIjlEEPS9_SE_NS0_5tupleIJPjSE_EEENSF_IJSE_SE_EEES9_SG_JZNS1_25segmented_radix_sort_implINS0_14default_configELb0EPK12hip_bfloat16PSL_PKlPlN2at6native12_GLOBAL__N_18offset_tEEE10hipError_tPvRmT1_PNSt15iterator_traitsISZ_E10value_typeET2_T3_PNS10_IS15_E10value_typeET4_jRbjT5_S1B_jjP12ihipStream_tbEUljE_EEESW_SX_SY_S15_S19_S1B_T6_T7_T9_mT8_S1D_bDpT10_ENKUlT_T0_E_clISt17integral_constantIbLb0EES1P_IbLb1EEEEDaS1L_S1M_EUlS1L_E_NS1_11comp_targetILNS1_3genE9ELNS1_11target_archE1100ELNS1_3gpuE3ELNS1_3repE0EEENS1_30default_config_static_selectorELNS0_4arch9wavefront6targetE0EEEvSZ_.numbered_sgpr, 0
	.set _ZN7rocprim17ROCPRIM_400000_NS6detail17trampoline_kernelINS0_13select_configILj256ELj13ELNS0_17block_load_methodE3ELS4_3ELS4_3ELNS0_20block_scan_algorithmE0ELj4294967295EEENS1_25partition_config_selectorILNS1_17partition_subalgoE3EjNS0_10empty_typeEbEEZZNS1_14partition_implILS8_3ELb0ES6_jNS0_17counting_iteratorIjlEEPS9_SE_NS0_5tupleIJPjSE_EEENSF_IJSE_SE_EEES9_SG_JZNS1_25segmented_radix_sort_implINS0_14default_configELb0EPK12hip_bfloat16PSL_PKlPlN2at6native12_GLOBAL__N_18offset_tEEE10hipError_tPvRmT1_PNSt15iterator_traitsISZ_E10value_typeET2_T3_PNS10_IS15_E10value_typeET4_jRbjT5_S1B_jjP12ihipStream_tbEUljE_EEESW_SX_SY_S15_S19_S1B_T6_T7_T9_mT8_S1D_bDpT10_ENKUlT_T0_E_clISt17integral_constantIbLb0EES1P_IbLb1EEEEDaS1L_S1M_EUlS1L_E_NS1_11comp_targetILNS1_3genE9ELNS1_11target_archE1100ELNS1_3gpuE3ELNS1_3repE0EEENS1_30default_config_static_selectorELNS0_4arch9wavefront6targetE0EEEvSZ_.num_named_barrier, 0
	.set _ZN7rocprim17ROCPRIM_400000_NS6detail17trampoline_kernelINS0_13select_configILj256ELj13ELNS0_17block_load_methodE3ELS4_3ELS4_3ELNS0_20block_scan_algorithmE0ELj4294967295EEENS1_25partition_config_selectorILNS1_17partition_subalgoE3EjNS0_10empty_typeEbEEZZNS1_14partition_implILS8_3ELb0ES6_jNS0_17counting_iteratorIjlEEPS9_SE_NS0_5tupleIJPjSE_EEENSF_IJSE_SE_EEES9_SG_JZNS1_25segmented_radix_sort_implINS0_14default_configELb0EPK12hip_bfloat16PSL_PKlPlN2at6native12_GLOBAL__N_18offset_tEEE10hipError_tPvRmT1_PNSt15iterator_traitsISZ_E10value_typeET2_T3_PNS10_IS15_E10value_typeET4_jRbjT5_S1B_jjP12ihipStream_tbEUljE_EEESW_SX_SY_S15_S19_S1B_T6_T7_T9_mT8_S1D_bDpT10_ENKUlT_T0_E_clISt17integral_constantIbLb0EES1P_IbLb1EEEEDaS1L_S1M_EUlS1L_E_NS1_11comp_targetILNS1_3genE9ELNS1_11target_archE1100ELNS1_3gpuE3ELNS1_3repE0EEENS1_30default_config_static_selectorELNS0_4arch9wavefront6targetE0EEEvSZ_.private_seg_size, 0
	.set _ZN7rocprim17ROCPRIM_400000_NS6detail17trampoline_kernelINS0_13select_configILj256ELj13ELNS0_17block_load_methodE3ELS4_3ELS4_3ELNS0_20block_scan_algorithmE0ELj4294967295EEENS1_25partition_config_selectorILNS1_17partition_subalgoE3EjNS0_10empty_typeEbEEZZNS1_14partition_implILS8_3ELb0ES6_jNS0_17counting_iteratorIjlEEPS9_SE_NS0_5tupleIJPjSE_EEENSF_IJSE_SE_EEES9_SG_JZNS1_25segmented_radix_sort_implINS0_14default_configELb0EPK12hip_bfloat16PSL_PKlPlN2at6native12_GLOBAL__N_18offset_tEEE10hipError_tPvRmT1_PNSt15iterator_traitsISZ_E10value_typeET2_T3_PNS10_IS15_E10value_typeET4_jRbjT5_S1B_jjP12ihipStream_tbEUljE_EEESW_SX_SY_S15_S19_S1B_T6_T7_T9_mT8_S1D_bDpT10_ENKUlT_T0_E_clISt17integral_constantIbLb0EES1P_IbLb1EEEEDaS1L_S1M_EUlS1L_E_NS1_11comp_targetILNS1_3genE9ELNS1_11target_archE1100ELNS1_3gpuE3ELNS1_3repE0EEENS1_30default_config_static_selectorELNS0_4arch9wavefront6targetE0EEEvSZ_.uses_vcc, 0
	.set _ZN7rocprim17ROCPRIM_400000_NS6detail17trampoline_kernelINS0_13select_configILj256ELj13ELNS0_17block_load_methodE3ELS4_3ELS4_3ELNS0_20block_scan_algorithmE0ELj4294967295EEENS1_25partition_config_selectorILNS1_17partition_subalgoE3EjNS0_10empty_typeEbEEZZNS1_14partition_implILS8_3ELb0ES6_jNS0_17counting_iteratorIjlEEPS9_SE_NS0_5tupleIJPjSE_EEENSF_IJSE_SE_EEES9_SG_JZNS1_25segmented_radix_sort_implINS0_14default_configELb0EPK12hip_bfloat16PSL_PKlPlN2at6native12_GLOBAL__N_18offset_tEEE10hipError_tPvRmT1_PNSt15iterator_traitsISZ_E10value_typeET2_T3_PNS10_IS15_E10value_typeET4_jRbjT5_S1B_jjP12ihipStream_tbEUljE_EEESW_SX_SY_S15_S19_S1B_T6_T7_T9_mT8_S1D_bDpT10_ENKUlT_T0_E_clISt17integral_constantIbLb0EES1P_IbLb1EEEEDaS1L_S1M_EUlS1L_E_NS1_11comp_targetILNS1_3genE9ELNS1_11target_archE1100ELNS1_3gpuE3ELNS1_3repE0EEENS1_30default_config_static_selectorELNS0_4arch9wavefront6targetE0EEEvSZ_.uses_flat_scratch, 0
	.set _ZN7rocprim17ROCPRIM_400000_NS6detail17trampoline_kernelINS0_13select_configILj256ELj13ELNS0_17block_load_methodE3ELS4_3ELS4_3ELNS0_20block_scan_algorithmE0ELj4294967295EEENS1_25partition_config_selectorILNS1_17partition_subalgoE3EjNS0_10empty_typeEbEEZZNS1_14partition_implILS8_3ELb0ES6_jNS0_17counting_iteratorIjlEEPS9_SE_NS0_5tupleIJPjSE_EEENSF_IJSE_SE_EEES9_SG_JZNS1_25segmented_radix_sort_implINS0_14default_configELb0EPK12hip_bfloat16PSL_PKlPlN2at6native12_GLOBAL__N_18offset_tEEE10hipError_tPvRmT1_PNSt15iterator_traitsISZ_E10value_typeET2_T3_PNS10_IS15_E10value_typeET4_jRbjT5_S1B_jjP12ihipStream_tbEUljE_EEESW_SX_SY_S15_S19_S1B_T6_T7_T9_mT8_S1D_bDpT10_ENKUlT_T0_E_clISt17integral_constantIbLb0EES1P_IbLb1EEEEDaS1L_S1M_EUlS1L_E_NS1_11comp_targetILNS1_3genE9ELNS1_11target_archE1100ELNS1_3gpuE3ELNS1_3repE0EEENS1_30default_config_static_selectorELNS0_4arch9wavefront6targetE0EEEvSZ_.has_dyn_sized_stack, 0
	.set _ZN7rocprim17ROCPRIM_400000_NS6detail17trampoline_kernelINS0_13select_configILj256ELj13ELNS0_17block_load_methodE3ELS4_3ELS4_3ELNS0_20block_scan_algorithmE0ELj4294967295EEENS1_25partition_config_selectorILNS1_17partition_subalgoE3EjNS0_10empty_typeEbEEZZNS1_14partition_implILS8_3ELb0ES6_jNS0_17counting_iteratorIjlEEPS9_SE_NS0_5tupleIJPjSE_EEENSF_IJSE_SE_EEES9_SG_JZNS1_25segmented_radix_sort_implINS0_14default_configELb0EPK12hip_bfloat16PSL_PKlPlN2at6native12_GLOBAL__N_18offset_tEEE10hipError_tPvRmT1_PNSt15iterator_traitsISZ_E10value_typeET2_T3_PNS10_IS15_E10value_typeET4_jRbjT5_S1B_jjP12ihipStream_tbEUljE_EEESW_SX_SY_S15_S19_S1B_T6_T7_T9_mT8_S1D_bDpT10_ENKUlT_T0_E_clISt17integral_constantIbLb0EES1P_IbLb1EEEEDaS1L_S1M_EUlS1L_E_NS1_11comp_targetILNS1_3genE9ELNS1_11target_archE1100ELNS1_3gpuE3ELNS1_3repE0EEENS1_30default_config_static_selectorELNS0_4arch9wavefront6targetE0EEEvSZ_.has_recursion, 0
	.set _ZN7rocprim17ROCPRIM_400000_NS6detail17trampoline_kernelINS0_13select_configILj256ELj13ELNS0_17block_load_methodE3ELS4_3ELS4_3ELNS0_20block_scan_algorithmE0ELj4294967295EEENS1_25partition_config_selectorILNS1_17partition_subalgoE3EjNS0_10empty_typeEbEEZZNS1_14partition_implILS8_3ELb0ES6_jNS0_17counting_iteratorIjlEEPS9_SE_NS0_5tupleIJPjSE_EEENSF_IJSE_SE_EEES9_SG_JZNS1_25segmented_radix_sort_implINS0_14default_configELb0EPK12hip_bfloat16PSL_PKlPlN2at6native12_GLOBAL__N_18offset_tEEE10hipError_tPvRmT1_PNSt15iterator_traitsISZ_E10value_typeET2_T3_PNS10_IS15_E10value_typeET4_jRbjT5_S1B_jjP12ihipStream_tbEUljE_EEESW_SX_SY_S15_S19_S1B_T6_T7_T9_mT8_S1D_bDpT10_ENKUlT_T0_E_clISt17integral_constantIbLb0EES1P_IbLb1EEEEDaS1L_S1M_EUlS1L_E_NS1_11comp_targetILNS1_3genE9ELNS1_11target_archE1100ELNS1_3gpuE3ELNS1_3repE0EEENS1_30default_config_static_selectorELNS0_4arch9wavefront6targetE0EEEvSZ_.has_indirect_call, 0
	.section	.AMDGPU.csdata,"",@progbits
; Kernel info:
; codeLenInByte = 0
; TotalNumSgprs: 0
; NumVgprs: 0
; ScratchSize: 0
; MemoryBound: 0
; FloatMode: 240
; IeeeMode: 1
; LDSByteSize: 0 bytes/workgroup (compile time only)
; SGPRBlocks: 0
; VGPRBlocks: 0
; NumSGPRsForWavesPerEU: 1
; NumVGPRsForWavesPerEU: 1
; Occupancy: 16
; WaveLimiterHint : 0
; COMPUTE_PGM_RSRC2:SCRATCH_EN: 0
; COMPUTE_PGM_RSRC2:USER_SGPR: 2
; COMPUTE_PGM_RSRC2:TRAP_HANDLER: 0
; COMPUTE_PGM_RSRC2:TGID_X_EN: 1
; COMPUTE_PGM_RSRC2:TGID_Y_EN: 0
; COMPUTE_PGM_RSRC2:TGID_Z_EN: 0
; COMPUTE_PGM_RSRC2:TIDIG_COMP_CNT: 0
	.section	.text._ZN7rocprim17ROCPRIM_400000_NS6detail17trampoline_kernelINS0_13select_configILj256ELj13ELNS0_17block_load_methodE3ELS4_3ELS4_3ELNS0_20block_scan_algorithmE0ELj4294967295EEENS1_25partition_config_selectorILNS1_17partition_subalgoE3EjNS0_10empty_typeEbEEZZNS1_14partition_implILS8_3ELb0ES6_jNS0_17counting_iteratorIjlEEPS9_SE_NS0_5tupleIJPjSE_EEENSF_IJSE_SE_EEES9_SG_JZNS1_25segmented_radix_sort_implINS0_14default_configELb0EPK12hip_bfloat16PSL_PKlPlN2at6native12_GLOBAL__N_18offset_tEEE10hipError_tPvRmT1_PNSt15iterator_traitsISZ_E10value_typeET2_T3_PNS10_IS15_E10value_typeET4_jRbjT5_S1B_jjP12ihipStream_tbEUljE_EEESW_SX_SY_S15_S19_S1B_T6_T7_T9_mT8_S1D_bDpT10_ENKUlT_T0_E_clISt17integral_constantIbLb0EES1P_IbLb1EEEEDaS1L_S1M_EUlS1L_E_NS1_11comp_targetILNS1_3genE8ELNS1_11target_archE1030ELNS1_3gpuE2ELNS1_3repE0EEENS1_30default_config_static_selectorELNS0_4arch9wavefront6targetE0EEEvSZ_,"axG",@progbits,_ZN7rocprim17ROCPRIM_400000_NS6detail17trampoline_kernelINS0_13select_configILj256ELj13ELNS0_17block_load_methodE3ELS4_3ELS4_3ELNS0_20block_scan_algorithmE0ELj4294967295EEENS1_25partition_config_selectorILNS1_17partition_subalgoE3EjNS0_10empty_typeEbEEZZNS1_14partition_implILS8_3ELb0ES6_jNS0_17counting_iteratorIjlEEPS9_SE_NS0_5tupleIJPjSE_EEENSF_IJSE_SE_EEES9_SG_JZNS1_25segmented_radix_sort_implINS0_14default_configELb0EPK12hip_bfloat16PSL_PKlPlN2at6native12_GLOBAL__N_18offset_tEEE10hipError_tPvRmT1_PNSt15iterator_traitsISZ_E10value_typeET2_T3_PNS10_IS15_E10value_typeET4_jRbjT5_S1B_jjP12ihipStream_tbEUljE_EEESW_SX_SY_S15_S19_S1B_T6_T7_T9_mT8_S1D_bDpT10_ENKUlT_T0_E_clISt17integral_constantIbLb0EES1P_IbLb1EEEEDaS1L_S1M_EUlS1L_E_NS1_11comp_targetILNS1_3genE8ELNS1_11target_archE1030ELNS1_3gpuE2ELNS1_3repE0EEENS1_30default_config_static_selectorELNS0_4arch9wavefront6targetE0EEEvSZ_,comdat
	.globl	_ZN7rocprim17ROCPRIM_400000_NS6detail17trampoline_kernelINS0_13select_configILj256ELj13ELNS0_17block_load_methodE3ELS4_3ELS4_3ELNS0_20block_scan_algorithmE0ELj4294967295EEENS1_25partition_config_selectorILNS1_17partition_subalgoE3EjNS0_10empty_typeEbEEZZNS1_14partition_implILS8_3ELb0ES6_jNS0_17counting_iteratorIjlEEPS9_SE_NS0_5tupleIJPjSE_EEENSF_IJSE_SE_EEES9_SG_JZNS1_25segmented_radix_sort_implINS0_14default_configELb0EPK12hip_bfloat16PSL_PKlPlN2at6native12_GLOBAL__N_18offset_tEEE10hipError_tPvRmT1_PNSt15iterator_traitsISZ_E10value_typeET2_T3_PNS10_IS15_E10value_typeET4_jRbjT5_S1B_jjP12ihipStream_tbEUljE_EEESW_SX_SY_S15_S19_S1B_T6_T7_T9_mT8_S1D_bDpT10_ENKUlT_T0_E_clISt17integral_constantIbLb0EES1P_IbLb1EEEEDaS1L_S1M_EUlS1L_E_NS1_11comp_targetILNS1_3genE8ELNS1_11target_archE1030ELNS1_3gpuE2ELNS1_3repE0EEENS1_30default_config_static_selectorELNS0_4arch9wavefront6targetE0EEEvSZ_ ; -- Begin function _ZN7rocprim17ROCPRIM_400000_NS6detail17trampoline_kernelINS0_13select_configILj256ELj13ELNS0_17block_load_methodE3ELS4_3ELS4_3ELNS0_20block_scan_algorithmE0ELj4294967295EEENS1_25partition_config_selectorILNS1_17partition_subalgoE3EjNS0_10empty_typeEbEEZZNS1_14partition_implILS8_3ELb0ES6_jNS0_17counting_iteratorIjlEEPS9_SE_NS0_5tupleIJPjSE_EEENSF_IJSE_SE_EEES9_SG_JZNS1_25segmented_radix_sort_implINS0_14default_configELb0EPK12hip_bfloat16PSL_PKlPlN2at6native12_GLOBAL__N_18offset_tEEE10hipError_tPvRmT1_PNSt15iterator_traitsISZ_E10value_typeET2_T3_PNS10_IS15_E10value_typeET4_jRbjT5_S1B_jjP12ihipStream_tbEUljE_EEESW_SX_SY_S15_S19_S1B_T6_T7_T9_mT8_S1D_bDpT10_ENKUlT_T0_E_clISt17integral_constantIbLb0EES1P_IbLb1EEEEDaS1L_S1M_EUlS1L_E_NS1_11comp_targetILNS1_3genE8ELNS1_11target_archE1030ELNS1_3gpuE2ELNS1_3repE0EEENS1_30default_config_static_selectorELNS0_4arch9wavefront6targetE0EEEvSZ_
	.p2align	8
	.type	_ZN7rocprim17ROCPRIM_400000_NS6detail17trampoline_kernelINS0_13select_configILj256ELj13ELNS0_17block_load_methodE3ELS4_3ELS4_3ELNS0_20block_scan_algorithmE0ELj4294967295EEENS1_25partition_config_selectorILNS1_17partition_subalgoE3EjNS0_10empty_typeEbEEZZNS1_14partition_implILS8_3ELb0ES6_jNS0_17counting_iteratorIjlEEPS9_SE_NS0_5tupleIJPjSE_EEENSF_IJSE_SE_EEES9_SG_JZNS1_25segmented_radix_sort_implINS0_14default_configELb0EPK12hip_bfloat16PSL_PKlPlN2at6native12_GLOBAL__N_18offset_tEEE10hipError_tPvRmT1_PNSt15iterator_traitsISZ_E10value_typeET2_T3_PNS10_IS15_E10value_typeET4_jRbjT5_S1B_jjP12ihipStream_tbEUljE_EEESW_SX_SY_S15_S19_S1B_T6_T7_T9_mT8_S1D_bDpT10_ENKUlT_T0_E_clISt17integral_constantIbLb0EES1P_IbLb1EEEEDaS1L_S1M_EUlS1L_E_NS1_11comp_targetILNS1_3genE8ELNS1_11target_archE1030ELNS1_3gpuE2ELNS1_3repE0EEENS1_30default_config_static_selectorELNS0_4arch9wavefront6targetE0EEEvSZ_,@function
_ZN7rocprim17ROCPRIM_400000_NS6detail17trampoline_kernelINS0_13select_configILj256ELj13ELNS0_17block_load_methodE3ELS4_3ELS4_3ELNS0_20block_scan_algorithmE0ELj4294967295EEENS1_25partition_config_selectorILNS1_17partition_subalgoE3EjNS0_10empty_typeEbEEZZNS1_14partition_implILS8_3ELb0ES6_jNS0_17counting_iteratorIjlEEPS9_SE_NS0_5tupleIJPjSE_EEENSF_IJSE_SE_EEES9_SG_JZNS1_25segmented_radix_sort_implINS0_14default_configELb0EPK12hip_bfloat16PSL_PKlPlN2at6native12_GLOBAL__N_18offset_tEEE10hipError_tPvRmT1_PNSt15iterator_traitsISZ_E10value_typeET2_T3_PNS10_IS15_E10value_typeET4_jRbjT5_S1B_jjP12ihipStream_tbEUljE_EEESW_SX_SY_S15_S19_S1B_T6_T7_T9_mT8_S1D_bDpT10_ENKUlT_T0_E_clISt17integral_constantIbLb0EES1P_IbLb1EEEEDaS1L_S1M_EUlS1L_E_NS1_11comp_targetILNS1_3genE8ELNS1_11target_archE1030ELNS1_3gpuE2ELNS1_3repE0EEENS1_30default_config_static_selectorELNS0_4arch9wavefront6targetE0EEEvSZ_: ; @_ZN7rocprim17ROCPRIM_400000_NS6detail17trampoline_kernelINS0_13select_configILj256ELj13ELNS0_17block_load_methodE3ELS4_3ELS4_3ELNS0_20block_scan_algorithmE0ELj4294967295EEENS1_25partition_config_selectorILNS1_17partition_subalgoE3EjNS0_10empty_typeEbEEZZNS1_14partition_implILS8_3ELb0ES6_jNS0_17counting_iteratorIjlEEPS9_SE_NS0_5tupleIJPjSE_EEENSF_IJSE_SE_EEES9_SG_JZNS1_25segmented_radix_sort_implINS0_14default_configELb0EPK12hip_bfloat16PSL_PKlPlN2at6native12_GLOBAL__N_18offset_tEEE10hipError_tPvRmT1_PNSt15iterator_traitsISZ_E10value_typeET2_T3_PNS10_IS15_E10value_typeET4_jRbjT5_S1B_jjP12ihipStream_tbEUljE_EEESW_SX_SY_S15_S19_S1B_T6_T7_T9_mT8_S1D_bDpT10_ENKUlT_T0_E_clISt17integral_constantIbLb0EES1P_IbLb1EEEEDaS1L_S1M_EUlS1L_E_NS1_11comp_targetILNS1_3genE8ELNS1_11target_archE1030ELNS1_3gpuE2ELNS1_3repE0EEENS1_30default_config_static_selectorELNS0_4arch9wavefront6targetE0EEEvSZ_
; %bb.0:
	.section	.rodata,"a",@progbits
	.p2align	6, 0x0
	.amdhsa_kernel _ZN7rocprim17ROCPRIM_400000_NS6detail17trampoline_kernelINS0_13select_configILj256ELj13ELNS0_17block_load_methodE3ELS4_3ELS4_3ELNS0_20block_scan_algorithmE0ELj4294967295EEENS1_25partition_config_selectorILNS1_17partition_subalgoE3EjNS0_10empty_typeEbEEZZNS1_14partition_implILS8_3ELb0ES6_jNS0_17counting_iteratorIjlEEPS9_SE_NS0_5tupleIJPjSE_EEENSF_IJSE_SE_EEES9_SG_JZNS1_25segmented_radix_sort_implINS0_14default_configELb0EPK12hip_bfloat16PSL_PKlPlN2at6native12_GLOBAL__N_18offset_tEEE10hipError_tPvRmT1_PNSt15iterator_traitsISZ_E10value_typeET2_T3_PNS10_IS15_E10value_typeET4_jRbjT5_S1B_jjP12ihipStream_tbEUljE_EEESW_SX_SY_S15_S19_S1B_T6_T7_T9_mT8_S1D_bDpT10_ENKUlT_T0_E_clISt17integral_constantIbLb0EES1P_IbLb1EEEEDaS1L_S1M_EUlS1L_E_NS1_11comp_targetILNS1_3genE8ELNS1_11target_archE1030ELNS1_3gpuE2ELNS1_3repE0EEENS1_30default_config_static_selectorELNS0_4arch9wavefront6targetE0EEEvSZ_
		.amdhsa_group_segment_fixed_size 0
		.amdhsa_private_segment_fixed_size 0
		.amdhsa_kernarg_size 152
		.amdhsa_user_sgpr_count 2
		.amdhsa_user_sgpr_dispatch_ptr 0
		.amdhsa_user_sgpr_queue_ptr 0
		.amdhsa_user_sgpr_kernarg_segment_ptr 1
		.amdhsa_user_sgpr_dispatch_id 0
		.amdhsa_user_sgpr_private_segment_size 0
		.amdhsa_wavefront_size32 1
		.amdhsa_uses_dynamic_stack 0
		.amdhsa_enable_private_segment 0
		.amdhsa_system_sgpr_workgroup_id_x 1
		.amdhsa_system_sgpr_workgroup_id_y 0
		.amdhsa_system_sgpr_workgroup_id_z 0
		.amdhsa_system_sgpr_workgroup_info 0
		.amdhsa_system_vgpr_workitem_id 0
		.amdhsa_next_free_vgpr 1
		.amdhsa_next_free_sgpr 1
		.amdhsa_reserve_vcc 0
		.amdhsa_float_round_mode_32 0
		.amdhsa_float_round_mode_16_64 0
		.amdhsa_float_denorm_mode_32 3
		.amdhsa_float_denorm_mode_16_64 3
		.amdhsa_fp16_overflow 0
		.amdhsa_workgroup_processor_mode 1
		.amdhsa_memory_ordered 1
		.amdhsa_forward_progress 1
		.amdhsa_inst_pref_size 0
		.amdhsa_round_robin_scheduling 0
		.amdhsa_exception_fp_ieee_invalid_op 0
		.amdhsa_exception_fp_denorm_src 0
		.amdhsa_exception_fp_ieee_div_zero 0
		.amdhsa_exception_fp_ieee_overflow 0
		.amdhsa_exception_fp_ieee_underflow 0
		.amdhsa_exception_fp_ieee_inexact 0
		.amdhsa_exception_int_div_zero 0
	.end_amdhsa_kernel
	.section	.text._ZN7rocprim17ROCPRIM_400000_NS6detail17trampoline_kernelINS0_13select_configILj256ELj13ELNS0_17block_load_methodE3ELS4_3ELS4_3ELNS0_20block_scan_algorithmE0ELj4294967295EEENS1_25partition_config_selectorILNS1_17partition_subalgoE3EjNS0_10empty_typeEbEEZZNS1_14partition_implILS8_3ELb0ES6_jNS0_17counting_iteratorIjlEEPS9_SE_NS0_5tupleIJPjSE_EEENSF_IJSE_SE_EEES9_SG_JZNS1_25segmented_radix_sort_implINS0_14default_configELb0EPK12hip_bfloat16PSL_PKlPlN2at6native12_GLOBAL__N_18offset_tEEE10hipError_tPvRmT1_PNSt15iterator_traitsISZ_E10value_typeET2_T3_PNS10_IS15_E10value_typeET4_jRbjT5_S1B_jjP12ihipStream_tbEUljE_EEESW_SX_SY_S15_S19_S1B_T6_T7_T9_mT8_S1D_bDpT10_ENKUlT_T0_E_clISt17integral_constantIbLb0EES1P_IbLb1EEEEDaS1L_S1M_EUlS1L_E_NS1_11comp_targetILNS1_3genE8ELNS1_11target_archE1030ELNS1_3gpuE2ELNS1_3repE0EEENS1_30default_config_static_selectorELNS0_4arch9wavefront6targetE0EEEvSZ_,"axG",@progbits,_ZN7rocprim17ROCPRIM_400000_NS6detail17trampoline_kernelINS0_13select_configILj256ELj13ELNS0_17block_load_methodE3ELS4_3ELS4_3ELNS0_20block_scan_algorithmE0ELj4294967295EEENS1_25partition_config_selectorILNS1_17partition_subalgoE3EjNS0_10empty_typeEbEEZZNS1_14partition_implILS8_3ELb0ES6_jNS0_17counting_iteratorIjlEEPS9_SE_NS0_5tupleIJPjSE_EEENSF_IJSE_SE_EEES9_SG_JZNS1_25segmented_radix_sort_implINS0_14default_configELb0EPK12hip_bfloat16PSL_PKlPlN2at6native12_GLOBAL__N_18offset_tEEE10hipError_tPvRmT1_PNSt15iterator_traitsISZ_E10value_typeET2_T3_PNS10_IS15_E10value_typeET4_jRbjT5_S1B_jjP12ihipStream_tbEUljE_EEESW_SX_SY_S15_S19_S1B_T6_T7_T9_mT8_S1D_bDpT10_ENKUlT_T0_E_clISt17integral_constantIbLb0EES1P_IbLb1EEEEDaS1L_S1M_EUlS1L_E_NS1_11comp_targetILNS1_3genE8ELNS1_11target_archE1030ELNS1_3gpuE2ELNS1_3repE0EEENS1_30default_config_static_selectorELNS0_4arch9wavefront6targetE0EEEvSZ_,comdat
.Lfunc_end2048:
	.size	_ZN7rocprim17ROCPRIM_400000_NS6detail17trampoline_kernelINS0_13select_configILj256ELj13ELNS0_17block_load_methodE3ELS4_3ELS4_3ELNS0_20block_scan_algorithmE0ELj4294967295EEENS1_25partition_config_selectorILNS1_17partition_subalgoE3EjNS0_10empty_typeEbEEZZNS1_14partition_implILS8_3ELb0ES6_jNS0_17counting_iteratorIjlEEPS9_SE_NS0_5tupleIJPjSE_EEENSF_IJSE_SE_EEES9_SG_JZNS1_25segmented_radix_sort_implINS0_14default_configELb0EPK12hip_bfloat16PSL_PKlPlN2at6native12_GLOBAL__N_18offset_tEEE10hipError_tPvRmT1_PNSt15iterator_traitsISZ_E10value_typeET2_T3_PNS10_IS15_E10value_typeET4_jRbjT5_S1B_jjP12ihipStream_tbEUljE_EEESW_SX_SY_S15_S19_S1B_T6_T7_T9_mT8_S1D_bDpT10_ENKUlT_T0_E_clISt17integral_constantIbLb0EES1P_IbLb1EEEEDaS1L_S1M_EUlS1L_E_NS1_11comp_targetILNS1_3genE8ELNS1_11target_archE1030ELNS1_3gpuE2ELNS1_3repE0EEENS1_30default_config_static_selectorELNS0_4arch9wavefront6targetE0EEEvSZ_, .Lfunc_end2048-_ZN7rocprim17ROCPRIM_400000_NS6detail17trampoline_kernelINS0_13select_configILj256ELj13ELNS0_17block_load_methodE3ELS4_3ELS4_3ELNS0_20block_scan_algorithmE0ELj4294967295EEENS1_25partition_config_selectorILNS1_17partition_subalgoE3EjNS0_10empty_typeEbEEZZNS1_14partition_implILS8_3ELb0ES6_jNS0_17counting_iteratorIjlEEPS9_SE_NS0_5tupleIJPjSE_EEENSF_IJSE_SE_EEES9_SG_JZNS1_25segmented_radix_sort_implINS0_14default_configELb0EPK12hip_bfloat16PSL_PKlPlN2at6native12_GLOBAL__N_18offset_tEEE10hipError_tPvRmT1_PNSt15iterator_traitsISZ_E10value_typeET2_T3_PNS10_IS15_E10value_typeET4_jRbjT5_S1B_jjP12ihipStream_tbEUljE_EEESW_SX_SY_S15_S19_S1B_T6_T7_T9_mT8_S1D_bDpT10_ENKUlT_T0_E_clISt17integral_constantIbLb0EES1P_IbLb1EEEEDaS1L_S1M_EUlS1L_E_NS1_11comp_targetILNS1_3genE8ELNS1_11target_archE1030ELNS1_3gpuE2ELNS1_3repE0EEENS1_30default_config_static_selectorELNS0_4arch9wavefront6targetE0EEEvSZ_
                                        ; -- End function
	.set _ZN7rocprim17ROCPRIM_400000_NS6detail17trampoline_kernelINS0_13select_configILj256ELj13ELNS0_17block_load_methodE3ELS4_3ELS4_3ELNS0_20block_scan_algorithmE0ELj4294967295EEENS1_25partition_config_selectorILNS1_17partition_subalgoE3EjNS0_10empty_typeEbEEZZNS1_14partition_implILS8_3ELb0ES6_jNS0_17counting_iteratorIjlEEPS9_SE_NS0_5tupleIJPjSE_EEENSF_IJSE_SE_EEES9_SG_JZNS1_25segmented_radix_sort_implINS0_14default_configELb0EPK12hip_bfloat16PSL_PKlPlN2at6native12_GLOBAL__N_18offset_tEEE10hipError_tPvRmT1_PNSt15iterator_traitsISZ_E10value_typeET2_T3_PNS10_IS15_E10value_typeET4_jRbjT5_S1B_jjP12ihipStream_tbEUljE_EEESW_SX_SY_S15_S19_S1B_T6_T7_T9_mT8_S1D_bDpT10_ENKUlT_T0_E_clISt17integral_constantIbLb0EES1P_IbLb1EEEEDaS1L_S1M_EUlS1L_E_NS1_11comp_targetILNS1_3genE8ELNS1_11target_archE1030ELNS1_3gpuE2ELNS1_3repE0EEENS1_30default_config_static_selectorELNS0_4arch9wavefront6targetE0EEEvSZ_.num_vgpr, 0
	.set _ZN7rocprim17ROCPRIM_400000_NS6detail17trampoline_kernelINS0_13select_configILj256ELj13ELNS0_17block_load_methodE3ELS4_3ELS4_3ELNS0_20block_scan_algorithmE0ELj4294967295EEENS1_25partition_config_selectorILNS1_17partition_subalgoE3EjNS0_10empty_typeEbEEZZNS1_14partition_implILS8_3ELb0ES6_jNS0_17counting_iteratorIjlEEPS9_SE_NS0_5tupleIJPjSE_EEENSF_IJSE_SE_EEES9_SG_JZNS1_25segmented_radix_sort_implINS0_14default_configELb0EPK12hip_bfloat16PSL_PKlPlN2at6native12_GLOBAL__N_18offset_tEEE10hipError_tPvRmT1_PNSt15iterator_traitsISZ_E10value_typeET2_T3_PNS10_IS15_E10value_typeET4_jRbjT5_S1B_jjP12ihipStream_tbEUljE_EEESW_SX_SY_S15_S19_S1B_T6_T7_T9_mT8_S1D_bDpT10_ENKUlT_T0_E_clISt17integral_constantIbLb0EES1P_IbLb1EEEEDaS1L_S1M_EUlS1L_E_NS1_11comp_targetILNS1_3genE8ELNS1_11target_archE1030ELNS1_3gpuE2ELNS1_3repE0EEENS1_30default_config_static_selectorELNS0_4arch9wavefront6targetE0EEEvSZ_.num_agpr, 0
	.set _ZN7rocprim17ROCPRIM_400000_NS6detail17trampoline_kernelINS0_13select_configILj256ELj13ELNS0_17block_load_methodE3ELS4_3ELS4_3ELNS0_20block_scan_algorithmE0ELj4294967295EEENS1_25partition_config_selectorILNS1_17partition_subalgoE3EjNS0_10empty_typeEbEEZZNS1_14partition_implILS8_3ELb0ES6_jNS0_17counting_iteratorIjlEEPS9_SE_NS0_5tupleIJPjSE_EEENSF_IJSE_SE_EEES9_SG_JZNS1_25segmented_radix_sort_implINS0_14default_configELb0EPK12hip_bfloat16PSL_PKlPlN2at6native12_GLOBAL__N_18offset_tEEE10hipError_tPvRmT1_PNSt15iterator_traitsISZ_E10value_typeET2_T3_PNS10_IS15_E10value_typeET4_jRbjT5_S1B_jjP12ihipStream_tbEUljE_EEESW_SX_SY_S15_S19_S1B_T6_T7_T9_mT8_S1D_bDpT10_ENKUlT_T0_E_clISt17integral_constantIbLb0EES1P_IbLb1EEEEDaS1L_S1M_EUlS1L_E_NS1_11comp_targetILNS1_3genE8ELNS1_11target_archE1030ELNS1_3gpuE2ELNS1_3repE0EEENS1_30default_config_static_selectorELNS0_4arch9wavefront6targetE0EEEvSZ_.numbered_sgpr, 0
	.set _ZN7rocprim17ROCPRIM_400000_NS6detail17trampoline_kernelINS0_13select_configILj256ELj13ELNS0_17block_load_methodE3ELS4_3ELS4_3ELNS0_20block_scan_algorithmE0ELj4294967295EEENS1_25partition_config_selectorILNS1_17partition_subalgoE3EjNS0_10empty_typeEbEEZZNS1_14partition_implILS8_3ELb0ES6_jNS0_17counting_iteratorIjlEEPS9_SE_NS0_5tupleIJPjSE_EEENSF_IJSE_SE_EEES9_SG_JZNS1_25segmented_radix_sort_implINS0_14default_configELb0EPK12hip_bfloat16PSL_PKlPlN2at6native12_GLOBAL__N_18offset_tEEE10hipError_tPvRmT1_PNSt15iterator_traitsISZ_E10value_typeET2_T3_PNS10_IS15_E10value_typeET4_jRbjT5_S1B_jjP12ihipStream_tbEUljE_EEESW_SX_SY_S15_S19_S1B_T6_T7_T9_mT8_S1D_bDpT10_ENKUlT_T0_E_clISt17integral_constantIbLb0EES1P_IbLb1EEEEDaS1L_S1M_EUlS1L_E_NS1_11comp_targetILNS1_3genE8ELNS1_11target_archE1030ELNS1_3gpuE2ELNS1_3repE0EEENS1_30default_config_static_selectorELNS0_4arch9wavefront6targetE0EEEvSZ_.num_named_barrier, 0
	.set _ZN7rocprim17ROCPRIM_400000_NS6detail17trampoline_kernelINS0_13select_configILj256ELj13ELNS0_17block_load_methodE3ELS4_3ELS4_3ELNS0_20block_scan_algorithmE0ELj4294967295EEENS1_25partition_config_selectorILNS1_17partition_subalgoE3EjNS0_10empty_typeEbEEZZNS1_14partition_implILS8_3ELb0ES6_jNS0_17counting_iteratorIjlEEPS9_SE_NS0_5tupleIJPjSE_EEENSF_IJSE_SE_EEES9_SG_JZNS1_25segmented_radix_sort_implINS0_14default_configELb0EPK12hip_bfloat16PSL_PKlPlN2at6native12_GLOBAL__N_18offset_tEEE10hipError_tPvRmT1_PNSt15iterator_traitsISZ_E10value_typeET2_T3_PNS10_IS15_E10value_typeET4_jRbjT5_S1B_jjP12ihipStream_tbEUljE_EEESW_SX_SY_S15_S19_S1B_T6_T7_T9_mT8_S1D_bDpT10_ENKUlT_T0_E_clISt17integral_constantIbLb0EES1P_IbLb1EEEEDaS1L_S1M_EUlS1L_E_NS1_11comp_targetILNS1_3genE8ELNS1_11target_archE1030ELNS1_3gpuE2ELNS1_3repE0EEENS1_30default_config_static_selectorELNS0_4arch9wavefront6targetE0EEEvSZ_.private_seg_size, 0
	.set _ZN7rocprim17ROCPRIM_400000_NS6detail17trampoline_kernelINS0_13select_configILj256ELj13ELNS0_17block_load_methodE3ELS4_3ELS4_3ELNS0_20block_scan_algorithmE0ELj4294967295EEENS1_25partition_config_selectorILNS1_17partition_subalgoE3EjNS0_10empty_typeEbEEZZNS1_14partition_implILS8_3ELb0ES6_jNS0_17counting_iteratorIjlEEPS9_SE_NS0_5tupleIJPjSE_EEENSF_IJSE_SE_EEES9_SG_JZNS1_25segmented_radix_sort_implINS0_14default_configELb0EPK12hip_bfloat16PSL_PKlPlN2at6native12_GLOBAL__N_18offset_tEEE10hipError_tPvRmT1_PNSt15iterator_traitsISZ_E10value_typeET2_T3_PNS10_IS15_E10value_typeET4_jRbjT5_S1B_jjP12ihipStream_tbEUljE_EEESW_SX_SY_S15_S19_S1B_T6_T7_T9_mT8_S1D_bDpT10_ENKUlT_T0_E_clISt17integral_constantIbLb0EES1P_IbLb1EEEEDaS1L_S1M_EUlS1L_E_NS1_11comp_targetILNS1_3genE8ELNS1_11target_archE1030ELNS1_3gpuE2ELNS1_3repE0EEENS1_30default_config_static_selectorELNS0_4arch9wavefront6targetE0EEEvSZ_.uses_vcc, 0
	.set _ZN7rocprim17ROCPRIM_400000_NS6detail17trampoline_kernelINS0_13select_configILj256ELj13ELNS0_17block_load_methodE3ELS4_3ELS4_3ELNS0_20block_scan_algorithmE0ELj4294967295EEENS1_25partition_config_selectorILNS1_17partition_subalgoE3EjNS0_10empty_typeEbEEZZNS1_14partition_implILS8_3ELb0ES6_jNS0_17counting_iteratorIjlEEPS9_SE_NS0_5tupleIJPjSE_EEENSF_IJSE_SE_EEES9_SG_JZNS1_25segmented_radix_sort_implINS0_14default_configELb0EPK12hip_bfloat16PSL_PKlPlN2at6native12_GLOBAL__N_18offset_tEEE10hipError_tPvRmT1_PNSt15iterator_traitsISZ_E10value_typeET2_T3_PNS10_IS15_E10value_typeET4_jRbjT5_S1B_jjP12ihipStream_tbEUljE_EEESW_SX_SY_S15_S19_S1B_T6_T7_T9_mT8_S1D_bDpT10_ENKUlT_T0_E_clISt17integral_constantIbLb0EES1P_IbLb1EEEEDaS1L_S1M_EUlS1L_E_NS1_11comp_targetILNS1_3genE8ELNS1_11target_archE1030ELNS1_3gpuE2ELNS1_3repE0EEENS1_30default_config_static_selectorELNS0_4arch9wavefront6targetE0EEEvSZ_.uses_flat_scratch, 0
	.set _ZN7rocprim17ROCPRIM_400000_NS6detail17trampoline_kernelINS0_13select_configILj256ELj13ELNS0_17block_load_methodE3ELS4_3ELS4_3ELNS0_20block_scan_algorithmE0ELj4294967295EEENS1_25partition_config_selectorILNS1_17partition_subalgoE3EjNS0_10empty_typeEbEEZZNS1_14partition_implILS8_3ELb0ES6_jNS0_17counting_iteratorIjlEEPS9_SE_NS0_5tupleIJPjSE_EEENSF_IJSE_SE_EEES9_SG_JZNS1_25segmented_radix_sort_implINS0_14default_configELb0EPK12hip_bfloat16PSL_PKlPlN2at6native12_GLOBAL__N_18offset_tEEE10hipError_tPvRmT1_PNSt15iterator_traitsISZ_E10value_typeET2_T3_PNS10_IS15_E10value_typeET4_jRbjT5_S1B_jjP12ihipStream_tbEUljE_EEESW_SX_SY_S15_S19_S1B_T6_T7_T9_mT8_S1D_bDpT10_ENKUlT_T0_E_clISt17integral_constantIbLb0EES1P_IbLb1EEEEDaS1L_S1M_EUlS1L_E_NS1_11comp_targetILNS1_3genE8ELNS1_11target_archE1030ELNS1_3gpuE2ELNS1_3repE0EEENS1_30default_config_static_selectorELNS0_4arch9wavefront6targetE0EEEvSZ_.has_dyn_sized_stack, 0
	.set _ZN7rocprim17ROCPRIM_400000_NS6detail17trampoline_kernelINS0_13select_configILj256ELj13ELNS0_17block_load_methodE3ELS4_3ELS4_3ELNS0_20block_scan_algorithmE0ELj4294967295EEENS1_25partition_config_selectorILNS1_17partition_subalgoE3EjNS0_10empty_typeEbEEZZNS1_14partition_implILS8_3ELb0ES6_jNS0_17counting_iteratorIjlEEPS9_SE_NS0_5tupleIJPjSE_EEENSF_IJSE_SE_EEES9_SG_JZNS1_25segmented_radix_sort_implINS0_14default_configELb0EPK12hip_bfloat16PSL_PKlPlN2at6native12_GLOBAL__N_18offset_tEEE10hipError_tPvRmT1_PNSt15iterator_traitsISZ_E10value_typeET2_T3_PNS10_IS15_E10value_typeET4_jRbjT5_S1B_jjP12ihipStream_tbEUljE_EEESW_SX_SY_S15_S19_S1B_T6_T7_T9_mT8_S1D_bDpT10_ENKUlT_T0_E_clISt17integral_constantIbLb0EES1P_IbLb1EEEEDaS1L_S1M_EUlS1L_E_NS1_11comp_targetILNS1_3genE8ELNS1_11target_archE1030ELNS1_3gpuE2ELNS1_3repE0EEENS1_30default_config_static_selectorELNS0_4arch9wavefront6targetE0EEEvSZ_.has_recursion, 0
	.set _ZN7rocprim17ROCPRIM_400000_NS6detail17trampoline_kernelINS0_13select_configILj256ELj13ELNS0_17block_load_methodE3ELS4_3ELS4_3ELNS0_20block_scan_algorithmE0ELj4294967295EEENS1_25partition_config_selectorILNS1_17partition_subalgoE3EjNS0_10empty_typeEbEEZZNS1_14partition_implILS8_3ELb0ES6_jNS0_17counting_iteratorIjlEEPS9_SE_NS0_5tupleIJPjSE_EEENSF_IJSE_SE_EEES9_SG_JZNS1_25segmented_radix_sort_implINS0_14default_configELb0EPK12hip_bfloat16PSL_PKlPlN2at6native12_GLOBAL__N_18offset_tEEE10hipError_tPvRmT1_PNSt15iterator_traitsISZ_E10value_typeET2_T3_PNS10_IS15_E10value_typeET4_jRbjT5_S1B_jjP12ihipStream_tbEUljE_EEESW_SX_SY_S15_S19_S1B_T6_T7_T9_mT8_S1D_bDpT10_ENKUlT_T0_E_clISt17integral_constantIbLb0EES1P_IbLb1EEEEDaS1L_S1M_EUlS1L_E_NS1_11comp_targetILNS1_3genE8ELNS1_11target_archE1030ELNS1_3gpuE2ELNS1_3repE0EEENS1_30default_config_static_selectorELNS0_4arch9wavefront6targetE0EEEvSZ_.has_indirect_call, 0
	.section	.AMDGPU.csdata,"",@progbits
; Kernel info:
; codeLenInByte = 0
; TotalNumSgprs: 0
; NumVgprs: 0
; ScratchSize: 0
; MemoryBound: 0
; FloatMode: 240
; IeeeMode: 1
; LDSByteSize: 0 bytes/workgroup (compile time only)
; SGPRBlocks: 0
; VGPRBlocks: 0
; NumSGPRsForWavesPerEU: 1
; NumVGPRsForWavesPerEU: 1
; Occupancy: 16
; WaveLimiterHint : 0
; COMPUTE_PGM_RSRC2:SCRATCH_EN: 0
; COMPUTE_PGM_RSRC2:USER_SGPR: 2
; COMPUTE_PGM_RSRC2:TRAP_HANDLER: 0
; COMPUTE_PGM_RSRC2:TGID_X_EN: 1
; COMPUTE_PGM_RSRC2:TGID_Y_EN: 0
; COMPUTE_PGM_RSRC2:TGID_Z_EN: 0
; COMPUTE_PGM_RSRC2:TIDIG_COMP_CNT: 0
	.section	.text._ZN7rocprim17ROCPRIM_400000_NS6detail17trampoline_kernelINS0_14default_configENS1_36segmented_radix_sort_config_selectorI12hip_bfloat16lEEZNS1_25segmented_radix_sort_implIS3_Lb0EPKS5_PS5_PKlPlN2at6native12_GLOBAL__N_18offset_tEEE10hipError_tPvRmT1_PNSt15iterator_traitsISL_E10value_typeET2_T3_PNSM_ISR_E10value_typeET4_jRbjT5_SX_jjP12ihipStream_tbEUlT_E_NS1_11comp_targetILNS1_3genE0ELNS1_11target_archE4294967295ELNS1_3gpuE0ELNS1_3repE0EEENS1_30default_config_static_selectorELNS0_4arch9wavefront6targetE0EEEvSL_,"axG",@progbits,_ZN7rocprim17ROCPRIM_400000_NS6detail17trampoline_kernelINS0_14default_configENS1_36segmented_radix_sort_config_selectorI12hip_bfloat16lEEZNS1_25segmented_radix_sort_implIS3_Lb0EPKS5_PS5_PKlPlN2at6native12_GLOBAL__N_18offset_tEEE10hipError_tPvRmT1_PNSt15iterator_traitsISL_E10value_typeET2_T3_PNSM_ISR_E10value_typeET4_jRbjT5_SX_jjP12ihipStream_tbEUlT_E_NS1_11comp_targetILNS1_3genE0ELNS1_11target_archE4294967295ELNS1_3gpuE0ELNS1_3repE0EEENS1_30default_config_static_selectorELNS0_4arch9wavefront6targetE0EEEvSL_,comdat
	.globl	_ZN7rocprim17ROCPRIM_400000_NS6detail17trampoline_kernelINS0_14default_configENS1_36segmented_radix_sort_config_selectorI12hip_bfloat16lEEZNS1_25segmented_radix_sort_implIS3_Lb0EPKS5_PS5_PKlPlN2at6native12_GLOBAL__N_18offset_tEEE10hipError_tPvRmT1_PNSt15iterator_traitsISL_E10value_typeET2_T3_PNSM_ISR_E10value_typeET4_jRbjT5_SX_jjP12ihipStream_tbEUlT_E_NS1_11comp_targetILNS1_3genE0ELNS1_11target_archE4294967295ELNS1_3gpuE0ELNS1_3repE0EEENS1_30default_config_static_selectorELNS0_4arch9wavefront6targetE0EEEvSL_ ; -- Begin function _ZN7rocprim17ROCPRIM_400000_NS6detail17trampoline_kernelINS0_14default_configENS1_36segmented_radix_sort_config_selectorI12hip_bfloat16lEEZNS1_25segmented_radix_sort_implIS3_Lb0EPKS5_PS5_PKlPlN2at6native12_GLOBAL__N_18offset_tEEE10hipError_tPvRmT1_PNSt15iterator_traitsISL_E10value_typeET2_T3_PNSM_ISR_E10value_typeET4_jRbjT5_SX_jjP12ihipStream_tbEUlT_E_NS1_11comp_targetILNS1_3genE0ELNS1_11target_archE4294967295ELNS1_3gpuE0ELNS1_3repE0EEENS1_30default_config_static_selectorELNS0_4arch9wavefront6targetE0EEEvSL_
	.p2align	8
	.type	_ZN7rocprim17ROCPRIM_400000_NS6detail17trampoline_kernelINS0_14default_configENS1_36segmented_radix_sort_config_selectorI12hip_bfloat16lEEZNS1_25segmented_radix_sort_implIS3_Lb0EPKS5_PS5_PKlPlN2at6native12_GLOBAL__N_18offset_tEEE10hipError_tPvRmT1_PNSt15iterator_traitsISL_E10value_typeET2_T3_PNSM_ISR_E10value_typeET4_jRbjT5_SX_jjP12ihipStream_tbEUlT_E_NS1_11comp_targetILNS1_3genE0ELNS1_11target_archE4294967295ELNS1_3gpuE0ELNS1_3repE0EEENS1_30default_config_static_selectorELNS0_4arch9wavefront6targetE0EEEvSL_,@function
_ZN7rocprim17ROCPRIM_400000_NS6detail17trampoline_kernelINS0_14default_configENS1_36segmented_radix_sort_config_selectorI12hip_bfloat16lEEZNS1_25segmented_radix_sort_implIS3_Lb0EPKS5_PS5_PKlPlN2at6native12_GLOBAL__N_18offset_tEEE10hipError_tPvRmT1_PNSt15iterator_traitsISL_E10value_typeET2_T3_PNSM_ISR_E10value_typeET4_jRbjT5_SX_jjP12ihipStream_tbEUlT_E_NS1_11comp_targetILNS1_3genE0ELNS1_11target_archE4294967295ELNS1_3gpuE0ELNS1_3repE0EEENS1_30default_config_static_selectorELNS0_4arch9wavefront6targetE0EEEvSL_: ; @_ZN7rocprim17ROCPRIM_400000_NS6detail17trampoline_kernelINS0_14default_configENS1_36segmented_radix_sort_config_selectorI12hip_bfloat16lEEZNS1_25segmented_radix_sort_implIS3_Lb0EPKS5_PS5_PKlPlN2at6native12_GLOBAL__N_18offset_tEEE10hipError_tPvRmT1_PNSt15iterator_traitsISL_E10value_typeET2_T3_PNSM_ISR_E10value_typeET4_jRbjT5_SX_jjP12ihipStream_tbEUlT_E_NS1_11comp_targetILNS1_3genE0ELNS1_11target_archE4294967295ELNS1_3gpuE0ELNS1_3repE0EEENS1_30default_config_static_selectorELNS0_4arch9wavefront6targetE0EEEvSL_
; %bb.0:
	.section	.rodata,"a",@progbits
	.p2align	6, 0x0
	.amdhsa_kernel _ZN7rocprim17ROCPRIM_400000_NS6detail17trampoline_kernelINS0_14default_configENS1_36segmented_radix_sort_config_selectorI12hip_bfloat16lEEZNS1_25segmented_radix_sort_implIS3_Lb0EPKS5_PS5_PKlPlN2at6native12_GLOBAL__N_18offset_tEEE10hipError_tPvRmT1_PNSt15iterator_traitsISL_E10value_typeET2_T3_PNSM_ISR_E10value_typeET4_jRbjT5_SX_jjP12ihipStream_tbEUlT_E_NS1_11comp_targetILNS1_3genE0ELNS1_11target_archE4294967295ELNS1_3gpuE0ELNS1_3repE0EEENS1_30default_config_static_selectorELNS0_4arch9wavefront6targetE0EEEvSL_
		.amdhsa_group_segment_fixed_size 0
		.amdhsa_private_segment_fixed_size 0
		.amdhsa_kernarg_size 96
		.amdhsa_user_sgpr_count 2
		.amdhsa_user_sgpr_dispatch_ptr 0
		.amdhsa_user_sgpr_queue_ptr 0
		.amdhsa_user_sgpr_kernarg_segment_ptr 1
		.amdhsa_user_sgpr_dispatch_id 0
		.amdhsa_user_sgpr_private_segment_size 0
		.amdhsa_wavefront_size32 1
		.amdhsa_uses_dynamic_stack 0
		.amdhsa_enable_private_segment 0
		.amdhsa_system_sgpr_workgroup_id_x 1
		.amdhsa_system_sgpr_workgroup_id_y 0
		.amdhsa_system_sgpr_workgroup_id_z 0
		.amdhsa_system_sgpr_workgroup_info 0
		.amdhsa_system_vgpr_workitem_id 0
		.amdhsa_next_free_vgpr 1
		.amdhsa_next_free_sgpr 1
		.amdhsa_reserve_vcc 0
		.amdhsa_float_round_mode_32 0
		.amdhsa_float_round_mode_16_64 0
		.amdhsa_float_denorm_mode_32 3
		.amdhsa_float_denorm_mode_16_64 3
		.amdhsa_fp16_overflow 0
		.amdhsa_workgroup_processor_mode 1
		.amdhsa_memory_ordered 1
		.amdhsa_forward_progress 1
		.amdhsa_inst_pref_size 0
		.amdhsa_round_robin_scheduling 0
		.amdhsa_exception_fp_ieee_invalid_op 0
		.amdhsa_exception_fp_denorm_src 0
		.amdhsa_exception_fp_ieee_div_zero 0
		.amdhsa_exception_fp_ieee_overflow 0
		.amdhsa_exception_fp_ieee_underflow 0
		.amdhsa_exception_fp_ieee_inexact 0
		.amdhsa_exception_int_div_zero 0
	.end_amdhsa_kernel
	.section	.text._ZN7rocprim17ROCPRIM_400000_NS6detail17trampoline_kernelINS0_14default_configENS1_36segmented_radix_sort_config_selectorI12hip_bfloat16lEEZNS1_25segmented_radix_sort_implIS3_Lb0EPKS5_PS5_PKlPlN2at6native12_GLOBAL__N_18offset_tEEE10hipError_tPvRmT1_PNSt15iterator_traitsISL_E10value_typeET2_T3_PNSM_ISR_E10value_typeET4_jRbjT5_SX_jjP12ihipStream_tbEUlT_E_NS1_11comp_targetILNS1_3genE0ELNS1_11target_archE4294967295ELNS1_3gpuE0ELNS1_3repE0EEENS1_30default_config_static_selectorELNS0_4arch9wavefront6targetE0EEEvSL_,"axG",@progbits,_ZN7rocprim17ROCPRIM_400000_NS6detail17trampoline_kernelINS0_14default_configENS1_36segmented_radix_sort_config_selectorI12hip_bfloat16lEEZNS1_25segmented_radix_sort_implIS3_Lb0EPKS5_PS5_PKlPlN2at6native12_GLOBAL__N_18offset_tEEE10hipError_tPvRmT1_PNSt15iterator_traitsISL_E10value_typeET2_T3_PNSM_ISR_E10value_typeET4_jRbjT5_SX_jjP12ihipStream_tbEUlT_E_NS1_11comp_targetILNS1_3genE0ELNS1_11target_archE4294967295ELNS1_3gpuE0ELNS1_3repE0EEENS1_30default_config_static_selectorELNS0_4arch9wavefront6targetE0EEEvSL_,comdat
.Lfunc_end2049:
	.size	_ZN7rocprim17ROCPRIM_400000_NS6detail17trampoline_kernelINS0_14default_configENS1_36segmented_radix_sort_config_selectorI12hip_bfloat16lEEZNS1_25segmented_radix_sort_implIS3_Lb0EPKS5_PS5_PKlPlN2at6native12_GLOBAL__N_18offset_tEEE10hipError_tPvRmT1_PNSt15iterator_traitsISL_E10value_typeET2_T3_PNSM_ISR_E10value_typeET4_jRbjT5_SX_jjP12ihipStream_tbEUlT_E_NS1_11comp_targetILNS1_3genE0ELNS1_11target_archE4294967295ELNS1_3gpuE0ELNS1_3repE0EEENS1_30default_config_static_selectorELNS0_4arch9wavefront6targetE0EEEvSL_, .Lfunc_end2049-_ZN7rocprim17ROCPRIM_400000_NS6detail17trampoline_kernelINS0_14default_configENS1_36segmented_radix_sort_config_selectorI12hip_bfloat16lEEZNS1_25segmented_radix_sort_implIS3_Lb0EPKS5_PS5_PKlPlN2at6native12_GLOBAL__N_18offset_tEEE10hipError_tPvRmT1_PNSt15iterator_traitsISL_E10value_typeET2_T3_PNSM_ISR_E10value_typeET4_jRbjT5_SX_jjP12ihipStream_tbEUlT_E_NS1_11comp_targetILNS1_3genE0ELNS1_11target_archE4294967295ELNS1_3gpuE0ELNS1_3repE0EEENS1_30default_config_static_selectorELNS0_4arch9wavefront6targetE0EEEvSL_
                                        ; -- End function
	.set _ZN7rocprim17ROCPRIM_400000_NS6detail17trampoline_kernelINS0_14default_configENS1_36segmented_radix_sort_config_selectorI12hip_bfloat16lEEZNS1_25segmented_radix_sort_implIS3_Lb0EPKS5_PS5_PKlPlN2at6native12_GLOBAL__N_18offset_tEEE10hipError_tPvRmT1_PNSt15iterator_traitsISL_E10value_typeET2_T3_PNSM_ISR_E10value_typeET4_jRbjT5_SX_jjP12ihipStream_tbEUlT_E_NS1_11comp_targetILNS1_3genE0ELNS1_11target_archE4294967295ELNS1_3gpuE0ELNS1_3repE0EEENS1_30default_config_static_selectorELNS0_4arch9wavefront6targetE0EEEvSL_.num_vgpr, 0
	.set _ZN7rocprim17ROCPRIM_400000_NS6detail17trampoline_kernelINS0_14default_configENS1_36segmented_radix_sort_config_selectorI12hip_bfloat16lEEZNS1_25segmented_radix_sort_implIS3_Lb0EPKS5_PS5_PKlPlN2at6native12_GLOBAL__N_18offset_tEEE10hipError_tPvRmT1_PNSt15iterator_traitsISL_E10value_typeET2_T3_PNSM_ISR_E10value_typeET4_jRbjT5_SX_jjP12ihipStream_tbEUlT_E_NS1_11comp_targetILNS1_3genE0ELNS1_11target_archE4294967295ELNS1_3gpuE0ELNS1_3repE0EEENS1_30default_config_static_selectorELNS0_4arch9wavefront6targetE0EEEvSL_.num_agpr, 0
	.set _ZN7rocprim17ROCPRIM_400000_NS6detail17trampoline_kernelINS0_14default_configENS1_36segmented_radix_sort_config_selectorI12hip_bfloat16lEEZNS1_25segmented_radix_sort_implIS3_Lb0EPKS5_PS5_PKlPlN2at6native12_GLOBAL__N_18offset_tEEE10hipError_tPvRmT1_PNSt15iterator_traitsISL_E10value_typeET2_T3_PNSM_ISR_E10value_typeET4_jRbjT5_SX_jjP12ihipStream_tbEUlT_E_NS1_11comp_targetILNS1_3genE0ELNS1_11target_archE4294967295ELNS1_3gpuE0ELNS1_3repE0EEENS1_30default_config_static_selectorELNS0_4arch9wavefront6targetE0EEEvSL_.numbered_sgpr, 0
	.set _ZN7rocprim17ROCPRIM_400000_NS6detail17trampoline_kernelINS0_14default_configENS1_36segmented_radix_sort_config_selectorI12hip_bfloat16lEEZNS1_25segmented_radix_sort_implIS3_Lb0EPKS5_PS5_PKlPlN2at6native12_GLOBAL__N_18offset_tEEE10hipError_tPvRmT1_PNSt15iterator_traitsISL_E10value_typeET2_T3_PNSM_ISR_E10value_typeET4_jRbjT5_SX_jjP12ihipStream_tbEUlT_E_NS1_11comp_targetILNS1_3genE0ELNS1_11target_archE4294967295ELNS1_3gpuE0ELNS1_3repE0EEENS1_30default_config_static_selectorELNS0_4arch9wavefront6targetE0EEEvSL_.num_named_barrier, 0
	.set _ZN7rocprim17ROCPRIM_400000_NS6detail17trampoline_kernelINS0_14default_configENS1_36segmented_radix_sort_config_selectorI12hip_bfloat16lEEZNS1_25segmented_radix_sort_implIS3_Lb0EPKS5_PS5_PKlPlN2at6native12_GLOBAL__N_18offset_tEEE10hipError_tPvRmT1_PNSt15iterator_traitsISL_E10value_typeET2_T3_PNSM_ISR_E10value_typeET4_jRbjT5_SX_jjP12ihipStream_tbEUlT_E_NS1_11comp_targetILNS1_3genE0ELNS1_11target_archE4294967295ELNS1_3gpuE0ELNS1_3repE0EEENS1_30default_config_static_selectorELNS0_4arch9wavefront6targetE0EEEvSL_.private_seg_size, 0
	.set _ZN7rocprim17ROCPRIM_400000_NS6detail17trampoline_kernelINS0_14default_configENS1_36segmented_radix_sort_config_selectorI12hip_bfloat16lEEZNS1_25segmented_radix_sort_implIS3_Lb0EPKS5_PS5_PKlPlN2at6native12_GLOBAL__N_18offset_tEEE10hipError_tPvRmT1_PNSt15iterator_traitsISL_E10value_typeET2_T3_PNSM_ISR_E10value_typeET4_jRbjT5_SX_jjP12ihipStream_tbEUlT_E_NS1_11comp_targetILNS1_3genE0ELNS1_11target_archE4294967295ELNS1_3gpuE0ELNS1_3repE0EEENS1_30default_config_static_selectorELNS0_4arch9wavefront6targetE0EEEvSL_.uses_vcc, 0
	.set _ZN7rocprim17ROCPRIM_400000_NS6detail17trampoline_kernelINS0_14default_configENS1_36segmented_radix_sort_config_selectorI12hip_bfloat16lEEZNS1_25segmented_radix_sort_implIS3_Lb0EPKS5_PS5_PKlPlN2at6native12_GLOBAL__N_18offset_tEEE10hipError_tPvRmT1_PNSt15iterator_traitsISL_E10value_typeET2_T3_PNSM_ISR_E10value_typeET4_jRbjT5_SX_jjP12ihipStream_tbEUlT_E_NS1_11comp_targetILNS1_3genE0ELNS1_11target_archE4294967295ELNS1_3gpuE0ELNS1_3repE0EEENS1_30default_config_static_selectorELNS0_4arch9wavefront6targetE0EEEvSL_.uses_flat_scratch, 0
	.set _ZN7rocprim17ROCPRIM_400000_NS6detail17trampoline_kernelINS0_14default_configENS1_36segmented_radix_sort_config_selectorI12hip_bfloat16lEEZNS1_25segmented_radix_sort_implIS3_Lb0EPKS5_PS5_PKlPlN2at6native12_GLOBAL__N_18offset_tEEE10hipError_tPvRmT1_PNSt15iterator_traitsISL_E10value_typeET2_T3_PNSM_ISR_E10value_typeET4_jRbjT5_SX_jjP12ihipStream_tbEUlT_E_NS1_11comp_targetILNS1_3genE0ELNS1_11target_archE4294967295ELNS1_3gpuE0ELNS1_3repE0EEENS1_30default_config_static_selectorELNS0_4arch9wavefront6targetE0EEEvSL_.has_dyn_sized_stack, 0
	.set _ZN7rocprim17ROCPRIM_400000_NS6detail17trampoline_kernelINS0_14default_configENS1_36segmented_radix_sort_config_selectorI12hip_bfloat16lEEZNS1_25segmented_radix_sort_implIS3_Lb0EPKS5_PS5_PKlPlN2at6native12_GLOBAL__N_18offset_tEEE10hipError_tPvRmT1_PNSt15iterator_traitsISL_E10value_typeET2_T3_PNSM_ISR_E10value_typeET4_jRbjT5_SX_jjP12ihipStream_tbEUlT_E_NS1_11comp_targetILNS1_3genE0ELNS1_11target_archE4294967295ELNS1_3gpuE0ELNS1_3repE0EEENS1_30default_config_static_selectorELNS0_4arch9wavefront6targetE0EEEvSL_.has_recursion, 0
	.set _ZN7rocprim17ROCPRIM_400000_NS6detail17trampoline_kernelINS0_14default_configENS1_36segmented_radix_sort_config_selectorI12hip_bfloat16lEEZNS1_25segmented_radix_sort_implIS3_Lb0EPKS5_PS5_PKlPlN2at6native12_GLOBAL__N_18offset_tEEE10hipError_tPvRmT1_PNSt15iterator_traitsISL_E10value_typeET2_T3_PNSM_ISR_E10value_typeET4_jRbjT5_SX_jjP12ihipStream_tbEUlT_E_NS1_11comp_targetILNS1_3genE0ELNS1_11target_archE4294967295ELNS1_3gpuE0ELNS1_3repE0EEENS1_30default_config_static_selectorELNS0_4arch9wavefront6targetE0EEEvSL_.has_indirect_call, 0
	.section	.AMDGPU.csdata,"",@progbits
; Kernel info:
; codeLenInByte = 0
; TotalNumSgprs: 0
; NumVgprs: 0
; ScratchSize: 0
; MemoryBound: 0
; FloatMode: 240
; IeeeMode: 1
; LDSByteSize: 0 bytes/workgroup (compile time only)
; SGPRBlocks: 0
; VGPRBlocks: 0
; NumSGPRsForWavesPerEU: 1
; NumVGPRsForWavesPerEU: 1
; Occupancy: 16
; WaveLimiterHint : 0
; COMPUTE_PGM_RSRC2:SCRATCH_EN: 0
; COMPUTE_PGM_RSRC2:USER_SGPR: 2
; COMPUTE_PGM_RSRC2:TRAP_HANDLER: 0
; COMPUTE_PGM_RSRC2:TGID_X_EN: 1
; COMPUTE_PGM_RSRC2:TGID_Y_EN: 0
; COMPUTE_PGM_RSRC2:TGID_Z_EN: 0
; COMPUTE_PGM_RSRC2:TIDIG_COMP_CNT: 0
	.section	.text._ZN7rocprim17ROCPRIM_400000_NS6detail17trampoline_kernelINS0_14default_configENS1_36segmented_radix_sort_config_selectorI12hip_bfloat16lEEZNS1_25segmented_radix_sort_implIS3_Lb0EPKS5_PS5_PKlPlN2at6native12_GLOBAL__N_18offset_tEEE10hipError_tPvRmT1_PNSt15iterator_traitsISL_E10value_typeET2_T3_PNSM_ISR_E10value_typeET4_jRbjT5_SX_jjP12ihipStream_tbEUlT_E_NS1_11comp_targetILNS1_3genE5ELNS1_11target_archE942ELNS1_3gpuE9ELNS1_3repE0EEENS1_30default_config_static_selectorELNS0_4arch9wavefront6targetE0EEEvSL_,"axG",@progbits,_ZN7rocprim17ROCPRIM_400000_NS6detail17trampoline_kernelINS0_14default_configENS1_36segmented_radix_sort_config_selectorI12hip_bfloat16lEEZNS1_25segmented_radix_sort_implIS3_Lb0EPKS5_PS5_PKlPlN2at6native12_GLOBAL__N_18offset_tEEE10hipError_tPvRmT1_PNSt15iterator_traitsISL_E10value_typeET2_T3_PNSM_ISR_E10value_typeET4_jRbjT5_SX_jjP12ihipStream_tbEUlT_E_NS1_11comp_targetILNS1_3genE5ELNS1_11target_archE942ELNS1_3gpuE9ELNS1_3repE0EEENS1_30default_config_static_selectorELNS0_4arch9wavefront6targetE0EEEvSL_,comdat
	.globl	_ZN7rocprim17ROCPRIM_400000_NS6detail17trampoline_kernelINS0_14default_configENS1_36segmented_radix_sort_config_selectorI12hip_bfloat16lEEZNS1_25segmented_radix_sort_implIS3_Lb0EPKS5_PS5_PKlPlN2at6native12_GLOBAL__N_18offset_tEEE10hipError_tPvRmT1_PNSt15iterator_traitsISL_E10value_typeET2_T3_PNSM_ISR_E10value_typeET4_jRbjT5_SX_jjP12ihipStream_tbEUlT_E_NS1_11comp_targetILNS1_3genE5ELNS1_11target_archE942ELNS1_3gpuE9ELNS1_3repE0EEENS1_30default_config_static_selectorELNS0_4arch9wavefront6targetE0EEEvSL_ ; -- Begin function _ZN7rocprim17ROCPRIM_400000_NS6detail17trampoline_kernelINS0_14default_configENS1_36segmented_radix_sort_config_selectorI12hip_bfloat16lEEZNS1_25segmented_radix_sort_implIS3_Lb0EPKS5_PS5_PKlPlN2at6native12_GLOBAL__N_18offset_tEEE10hipError_tPvRmT1_PNSt15iterator_traitsISL_E10value_typeET2_T3_PNSM_ISR_E10value_typeET4_jRbjT5_SX_jjP12ihipStream_tbEUlT_E_NS1_11comp_targetILNS1_3genE5ELNS1_11target_archE942ELNS1_3gpuE9ELNS1_3repE0EEENS1_30default_config_static_selectorELNS0_4arch9wavefront6targetE0EEEvSL_
	.p2align	8
	.type	_ZN7rocprim17ROCPRIM_400000_NS6detail17trampoline_kernelINS0_14default_configENS1_36segmented_radix_sort_config_selectorI12hip_bfloat16lEEZNS1_25segmented_radix_sort_implIS3_Lb0EPKS5_PS5_PKlPlN2at6native12_GLOBAL__N_18offset_tEEE10hipError_tPvRmT1_PNSt15iterator_traitsISL_E10value_typeET2_T3_PNSM_ISR_E10value_typeET4_jRbjT5_SX_jjP12ihipStream_tbEUlT_E_NS1_11comp_targetILNS1_3genE5ELNS1_11target_archE942ELNS1_3gpuE9ELNS1_3repE0EEENS1_30default_config_static_selectorELNS0_4arch9wavefront6targetE0EEEvSL_,@function
_ZN7rocprim17ROCPRIM_400000_NS6detail17trampoline_kernelINS0_14default_configENS1_36segmented_radix_sort_config_selectorI12hip_bfloat16lEEZNS1_25segmented_radix_sort_implIS3_Lb0EPKS5_PS5_PKlPlN2at6native12_GLOBAL__N_18offset_tEEE10hipError_tPvRmT1_PNSt15iterator_traitsISL_E10value_typeET2_T3_PNSM_ISR_E10value_typeET4_jRbjT5_SX_jjP12ihipStream_tbEUlT_E_NS1_11comp_targetILNS1_3genE5ELNS1_11target_archE942ELNS1_3gpuE9ELNS1_3repE0EEENS1_30default_config_static_selectorELNS0_4arch9wavefront6targetE0EEEvSL_: ; @_ZN7rocprim17ROCPRIM_400000_NS6detail17trampoline_kernelINS0_14default_configENS1_36segmented_radix_sort_config_selectorI12hip_bfloat16lEEZNS1_25segmented_radix_sort_implIS3_Lb0EPKS5_PS5_PKlPlN2at6native12_GLOBAL__N_18offset_tEEE10hipError_tPvRmT1_PNSt15iterator_traitsISL_E10value_typeET2_T3_PNSM_ISR_E10value_typeET4_jRbjT5_SX_jjP12ihipStream_tbEUlT_E_NS1_11comp_targetILNS1_3genE5ELNS1_11target_archE942ELNS1_3gpuE9ELNS1_3repE0EEENS1_30default_config_static_selectorELNS0_4arch9wavefront6targetE0EEEvSL_
; %bb.0:
	.section	.rodata,"a",@progbits
	.p2align	6, 0x0
	.amdhsa_kernel _ZN7rocprim17ROCPRIM_400000_NS6detail17trampoline_kernelINS0_14default_configENS1_36segmented_radix_sort_config_selectorI12hip_bfloat16lEEZNS1_25segmented_radix_sort_implIS3_Lb0EPKS5_PS5_PKlPlN2at6native12_GLOBAL__N_18offset_tEEE10hipError_tPvRmT1_PNSt15iterator_traitsISL_E10value_typeET2_T3_PNSM_ISR_E10value_typeET4_jRbjT5_SX_jjP12ihipStream_tbEUlT_E_NS1_11comp_targetILNS1_3genE5ELNS1_11target_archE942ELNS1_3gpuE9ELNS1_3repE0EEENS1_30default_config_static_selectorELNS0_4arch9wavefront6targetE0EEEvSL_
		.amdhsa_group_segment_fixed_size 0
		.amdhsa_private_segment_fixed_size 0
		.amdhsa_kernarg_size 96
		.amdhsa_user_sgpr_count 2
		.amdhsa_user_sgpr_dispatch_ptr 0
		.amdhsa_user_sgpr_queue_ptr 0
		.amdhsa_user_sgpr_kernarg_segment_ptr 1
		.amdhsa_user_sgpr_dispatch_id 0
		.amdhsa_user_sgpr_private_segment_size 0
		.amdhsa_wavefront_size32 1
		.amdhsa_uses_dynamic_stack 0
		.amdhsa_enable_private_segment 0
		.amdhsa_system_sgpr_workgroup_id_x 1
		.amdhsa_system_sgpr_workgroup_id_y 0
		.amdhsa_system_sgpr_workgroup_id_z 0
		.amdhsa_system_sgpr_workgroup_info 0
		.amdhsa_system_vgpr_workitem_id 0
		.amdhsa_next_free_vgpr 1
		.amdhsa_next_free_sgpr 1
		.amdhsa_reserve_vcc 0
		.amdhsa_float_round_mode_32 0
		.amdhsa_float_round_mode_16_64 0
		.amdhsa_float_denorm_mode_32 3
		.amdhsa_float_denorm_mode_16_64 3
		.amdhsa_fp16_overflow 0
		.amdhsa_workgroup_processor_mode 1
		.amdhsa_memory_ordered 1
		.amdhsa_forward_progress 1
		.amdhsa_inst_pref_size 0
		.amdhsa_round_robin_scheduling 0
		.amdhsa_exception_fp_ieee_invalid_op 0
		.amdhsa_exception_fp_denorm_src 0
		.amdhsa_exception_fp_ieee_div_zero 0
		.amdhsa_exception_fp_ieee_overflow 0
		.amdhsa_exception_fp_ieee_underflow 0
		.amdhsa_exception_fp_ieee_inexact 0
		.amdhsa_exception_int_div_zero 0
	.end_amdhsa_kernel
	.section	.text._ZN7rocprim17ROCPRIM_400000_NS6detail17trampoline_kernelINS0_14default_configENS1_36segmented_radix_sort_config_selectorI12hip_bfloat16lEEZNS1_25segmented_radix_sort_implIS3_Lb0EPKS5_PS5_PKlPlN2at6native12_GLOBAL__N_18offset_tEEE10hipError_tPvRmT1_PNSt15iterator_traitsISL_E10value_typeET2_T3_PNSM_ISR_E10value_typeET4_jRbjT5_SX_jjP12ihipStream_tbEUlT_E_NS1_11comp_targetILNS1_3genE5ELNS1_11target_archE942ELNS1_3gpuE9ELNS1_3repE0EEENS1_30default_config_static_selectorELNS0_4arch9wavefront6targetE0EEEvSL_,"axG",@progbits,_ZN7rocprim17ROCPRIM_400000_NS6detail17trampoline_kernelINS0_14default_configENS1_36segmented_radix_sort_config_selectorI12hip_bfloat16lEEZNS1_25segmented_radix_sort_implIS3_Lb0EPKS5_PS5_PKlPlN2at6native12_GLOBAL__N_18offset_tEEE10hipError_tPvRmT1_PNSt15iterator_traitsISL_E10value_typeET2_T3_PNSM_ISR_E10value_typeET4_jRbjT5_SX_jjP12ihipStream_tbEUlT_E_NS1_11comp_targetILNS1_3genE5ELNS1_11target_archE942ELNS1_3gpuE9ELNS1_3repE0EEENS1_30default_config_static_selectorELNS0_4arch9wavefront6targetE0EEEvSL_,comdat
.Lfunc_end2050:
	.size	_ZN7rocprim17ROCPRIM_400000_NS6detail17trampoline_kernelINS0_14default_configENS1_36segmented_radix_sort_config_selectorI12hip_bfloat16lEEZNS1_25segmented_radix_sort_implIS3_Lb0EPKS5_PS5_PKlPlN2at6native12_GLOBAL__N_18offset_tEEE10hipError_tPvRmT1_PNSt15iterator_traitsISL_E10value_typeET2_T3_PNSM_ISR_E10value_typeET4_jRbjT5_SX_jjP12ihipStream_tbEUlT_E_NS1_11comp_targetILNS1_3genE5ELNS1_11target_archE942ELNS1_3gpuE9ELNS1_3repE0EEENS1_30default_config_static_selectorELNS0_4arch9wavefront6targetE0EEEvSL_, .Lfunc_end2050-_ZN7rocprim17ROCPRIM_400000_NS6detail17trampoline_kernelINS0_14default_configENS1_36segmented_radix_sort_config_selectorI12hip_bfloat16lEEZNS1_25segmented_radix_sort_implIS3_Lb0EPKS5_PS5_PKlPlN2at6native12_GLOBAL__N_18offset_tEEE10hipError_tPvRmT1_PNSt15iterator_traitsISL_E10value_typeET2_T3_PNSM_ISR_E10value_typeET4_jRbjT5_SX_jjP12ihipStream_tbEUlT_E_NS1_11comp_targetILNS1_3genE5ELNS1_11target_archE942ELNS1_3gpuE9ELNS1_3repE0EEENS1_30default_config_static_selectorELNS0_4arch9wavefront6targetE0EEEvSL_
                                        ; -- End function
	.set _ZN7rocprim17ROCPRIM_400000_NS6detail17trampoline_kernelINS0_14default_configENS1_36segmented_radix_sort_config_selectorI12hip_bfloat16lEEZNS1_25segmented_radix_sort_implIS3_Lb0EPKS5_PS5_PKlPlN2at6native12_GLOBAL__N_18offset_tEEE10hipError_tPvRmT1_PNSt15iterator_traitsISL_E10value_typeET2_T3_PNSM_ISR_E10value_typeET4_jRbjT5_SX_jjP12ihipStream_tbEUlT_E_NS1_11comp_targetILNS1_3genE5ELNS1_11target_archE942ELNS1_3gpuE9ELNS1_3repE0EEENS1_30default_config_static_selectorELNS0_4arch9wavefront6targetE0EEEvSL_.num_vgpr, 0
	.set _ZN7rocprim17ROCPRIM_400000_NS6detail17trampoline_kernelINS0_14default_configENS1_36segmented_radix_sort_config_selectorI12hip_bfloat16lEEZNS1_25segmented_radix_sort_implIS3_Lb0EPKS5_PS5_PKlPlN2at6native12_GLOBAL__N_18offset_tEEE10hipError_tPvRmT1_PNSt15iterator_traitsISL_E10value_typeET2_T3_PNSM_ISR_E10value_typeET4_jRbjT5_SX_jjP12ihipStream_tbEUlT_E_NS1_11comp_targetILNS1_3genE5ELNS1_11target_archE942ELNS1_3gpuE9ELNS1_3repE0EEENS1_30default_config_static_selectorELNS0_4arch9wavefront6targetE0EEEvSL_.num_agpr, 0
	.set _ZN7rocprim17ROCPRIM_400000_NS6detail17trampoline_kernelINS0_14default_configENS1_36segmented_radix_sort_config_selectorI12hip_bfloat16lEEZNS1_25segmented_radix_sort_implIS3_Lb0EPKS5_PS5_PKlPlN2at6native12_GLOBAL__N_18offset_tEEE10hipError_tPvRmT1_PNSt15iterator_traitsISL_E10value_typeET2_T3_PNSM_ISR_E10value_typeET4_jRbjT5_SX_jjP12ihipStream_tbEUlT_E_NS1_11comp_targetILNS1_3genE5ELNS1_11target_archE942ELNS1_3gpuE9ELNS1_3repE0EEENS1_30default_config_static_selectorELNS0_4arch9wavefront6targetE0EEEvSL_.numbered_sgpr, 0
	.set _ZN7rocprim17ROCPRIM_400000_NS6detail17trampoline_kernelINS0_14default_configENS1_36segmented_radix_sort_config_selectorI12hip_bfloat16lEEZNS1_25segmented_radix_sort_implIS3_Lb0EPKS5_PS5_PKlPlN2at6native12_GLOBAL__N_18offset_tEEE10hipError_tPvRmT1_PNSt15iterator_traitsISL_E10value_typeET2_T3_PNSM_ISR_E10value_typeET4_jRbjT5_SX_jjP12ihipStream_tbEUlT_E_NS1_11comp_targetILNS1_3genE5ELNS1_11target_archE942ELNS1_3gpuE9ELNS1_3repE0EEENS1_30default_config_static_selectorELNS0_4arch9wavefront6targetE0EEEvSL_.num_named_barrier, 0
	.set _ZN7rocprim17ROCPRIM_400000_NS6detail17trampoline_kernelINS0_14default_configENS1_36segmented_radix_sort_config_selectorI12hip_bfloat16lEEZNS1_25segmented_radix_sort_implIS3_Lb0EPKS5_PS5_PKlPlN2at6native12_GLOBAL__N_18offset_tEEE10hipError_tPvRmT1_PNSt15iterator_traitsISL_E10value_typeET2_T3_PNSM_ISR_E10value_typeET4_jRbjT5_SX_jjP12ihipStream_tbEUlT_E_NS1_11comp_targetILNS1_3genE5ELNS1_11target_archE942ELNS1_3gpuE9ELNS1_3repE0EEENS1_30default_config_static_selectorELNS0_4arch9wavefront6targetE0EEEvSL_.private_seg_size, 0
	.set _ZN7rocprim17ROCPRIM_400000_NS6detail17trampoline_kernelINS0_14default_configENS1_36segmented_radix_sort_config_selectorI12hip_bfloat16lEEZNS1_25segmented_radix_sort_implIS3_Lb0EPKS5_PS5_PKlPlN2at6native12_GLOBAL__N_18offset_tEEE10hipError_tPvRmT1_PNSt15iterator_traitsISL_E10value_typeET2_T3_PNSM_ISR_E10value_typeET4_jRbjT5_SX_jjP12ihipStream_tbEUlT_E_NS1_11comp_targetILNS1_3genE5ELNS1_11target_archE942ELNS1_3gpuE9ELNS1_3repE0EEENS1_30default_config_static_selectorELNS0_4arch9wavefront6targetE0EEEvSL_.uses_vcc, 0
	.set _ZN7rocprim17ROCPRIM_400000_NS6detail17trampoline_kernelINS0_14default_configENS1_36segmented_radix_sort_config_selectorI12hip_bfloat16lEEZNS1_25segmented_radix_sort_implIS3_Lb0EPKS5_PS5_PKlPlN2at6native12_GLOBAL__N_18offset_tEEE10hipError_tPvRmT1_PNSt15iterator_traitsISL_E10value_typeET2_T3_PNSM_ISR_E10value_typeET4_jRbjT5_SX_jjP12ihipStream_tbEUlT_E_NS1_11comp_targetILNS1_3genE5ELNS1_11target_archE942ELNS1_3gpuE9ELNS1_3repE0EEENS1_30default_config_static_selectorELNS0_4arch9wavefront6targetE0EEEvSL_.uses_flat_scratch, 0
	.set _ZN7rocprim17ROCPRIM_400000_NS6detail17trampoline_kernelINS0_14default_configENS1_36segmented_radix_sort_config_selectorI12hip_bfloat16lEEZNS1_25segmented_radix_sort_implIS3_Lb0EPKS5_PS5_PKlPlN2at6native12_GLOBAL__N_18offset_tEEE10hipError_tPvRmT1_PNSt15iterator_traitsISL_E10value_typeET2_T3_PNSM_ISR_E10value_typeET4_jRbjT5_SX_jjP12ihipStream_tbEUlT_E_NS1_11comp_targetILNS1_3genE5ELNS1_11target_archE942ELNS1_3gpuE9ELNS1_3repE0EEENS1_30default_config_static_selectorELNS0_4arch9wavefront6targetE0EEEvSL_.has_dyn_sized_stack, 0
	.set _ZN7rocprim17ROCPRIM_400000_NS6detail17trampoline_kernelINS0_14default_configENS1_36segmented_radix_sort_config_selectorI12hip_bfloat16lEEZNS1_25segmented_radix_sort_implIS3_Lb0EPKS5_PS5_PKlPlN2at6native12_GLOBAL__N_18offset_tEEE10hipError_tPvRmT1_PNSt15iterator_traitsISL_E10value_typeET2_T3_PNSM_ISR_E10value_typeET4_jRbjT5_SX_jjP12ihipStream_tbEUlT_E_NS1_11comp_targetILNS1_3genE5ELNS1_11target_archE942ELNS1_3gpuE9ELNS1_3repE0EEENS1_30default_config_static_selectorELNS0_4arch9wavefront6targetE0EEEvSL_.has_recursion, 0
	.set _ZN7rocprim17ROCPRIM_400000_NS6detail17trampoline_kernelINS0_14default_configENS1_36segmented_radix_sort_config_selectorI12hip_bfloat16lEEZNS1_25segmented_radix_sort_implIS3_Lb0EPKS5_PS5_PKlPlN2at6native12_GLOBAL__N_18offset_tEEE10hipError_tPvRmT1_PNSt15iterator_traitsISL_E10value_typeET2_T3_PNSM_ISR_E10value_typeET4_jRbjT5_SX_jjP12ihipStream_tbEUlT_E_NS1_11comp_targetILNS1_3genE5ELNS1_11target_archE942ELNS1_3gpuE9ELNS1_3repE0EEENS1_30default_config_static_selectorELNS0_4arch9wavefront6targetE0EEEvSL_.has_indirect_call, 0
	.section	.AMDGPU.csdata,"",@progbits
; Kernel info:
; codeLenInByte = 0
; TotalNumSgprs: 0
; NumVgprs: 0
; ScratchSize: 0
; MemoryBound: 0
; FloatMode: 240
; IeeeMode: 1
; LDSByteSize: 0 bytes/workgroup (compile time only)
; SGPRBlocks: 0
; VGPRBlocks: 0
; NumSGPRsForWavesPerEU: 1
; NumVGPRsForWavesPerEU: 1
; Occupancy: 16
; WaveLimiterHint : 0
; COMPUTE_PGM_RSRC2:SCRATCH_EN: 0
; COMPUTE_PGM_RSRC2:USER_SGPR: 2
; COMPUTE_PGM_RSRC2:TRAP_HANDLER: 0
; COMPUTE_PGM_RSRC2:TGID_X_EN: 1
; COMPUTE_PGM_RSRC2:TGID_Y_EN: 0
; COMPUTE_PGM_RSRC2:TGID_Z_EN: 0
; COMPUTE_PGM_RSRC2:TIDIG_COMP_CNT: 0
	.section	.text._ZN7rocprim17ROCPRIM_400000_NS6detail17trampoline_kernelINS0_14default_configENS1_36segmented_radix_sort_config_selectorI12hip_bfloat16lEEZNS1_25segmented_radix_sort_implIS3_Lb0EPKS5_PS5_PKlPlN2at6native12_GLOBAL__N_18offset_tEEE10hipError_tPvRmT1_PNSt15iterator_traitsISL_E10value_typeET2_T3_PNSM_ISR_E10value_typeET4_jRbjT5_SX_jjP12ihipStream_tbEUlT_E_NS1_11comp_targetILNS1_3genE4ELNS1_11target_archE910ELNS1_3gpuE8ELNS1_3repE0EEENS1_30default_config_static_selectorELNS0_4arch9wavefront6targetE0EEEvSL_,"axG",@progbits,_ZN7rocprim17ROCPRIM_400000_NS6detail17trampoline_kernelINS0_14default_configENS1_36segmented_radix_sort_config_selectorI12hip_bfloat16lEEZNS1_25segmented_radix_sort_implIS3_Lb0EPKS5_PS5_PKlPlN2at6native12_GLOBAL__N_18offset_tEEE10hipError_tPvRmT1_PNSt15iterator_traitsISL_E10value_typeET2_T3_PNSM_ISR_E10value_typeET4_jRbjT5_SX_jjP12ihipStream_tbEUlT_E_NS1_11comp_targetILNS1_3genE4ELNS1_11target_archE910ELNS1_3gpuE8ELNS1_3repE0EEENS1_30default_config_static_selectorELNS0_4arch9wavefront6targetE0EEEvSL_,comdat
	.globl	_ZN7rocprim17ROCPRIM_400000_NS6detail17trampoline_kernelINS0_14default_configENS1_36segmented_radix_sort_config_selectorI12hip_bfloat16lEEZNS1_25segmented_radix_sort_implIS3_Lb0EPKS5_PS5_PKlPlN2at6native12_GLOBAL__N_18offset_tEEE10hipError_tPvRmT1_PNSt15iterator_traitsISL_E10value_typeET2_T3_PNSM_ISR_E10value_typeET4_jRbjT5_SX_jjP12ihipStream_tbEUlT_E_NS1_11comp_targetILNS1_3genE4ELNS1_11target_archE910ELNS1_3gpuE8ELNS1_3repE0EEENS1_30default_config_static_selectorELNS0_4arch9wavefront6targetE0EEEvSL_ ; -- Begin function _ZN7rocprim17ROCPRIM_400000_NS6detail17trampoline_kernelINS0_14default_configENS1_36segmented_radix_sort_config_selectorI12hip_bfloat16lEEZNS1_25segmented_radix_sort_implIS3_Lb0EPKS5_PS5_PKlPlN2at6native12_GLOBAL__N_18offset_tEEE10hipError_tPvRmT1_PNSt15iterator_traitsISL_E10value_typeET2_T3_PNSM_ISR_E10value_typeET4_jRbjT5_SX_jjP12ihipStream_tbEUlT_E_NS1_11comp_targetILNS1_3genE4ELNS1_11target_archE910ELNS1_3gpuE8ELNS1_3repE0EEENS1_30default_config_static_selectorELNS0_4arch9wavefront6targetE0EEEvSL_
	.p2align	8
	.type	_ZN7rocprim17ROCPRIM_400000_NS6detail17trampoline_kernelINS0_14default_configENS1_36segmented_radix_sort_config_selectorI12hip_bfloat16lEEZNS1_25segmented_radix_sort_implIS3_Lb0EPKS5_PS5_PKlPlN2at6native12_GLOBAL__N_18offset_tEEE10hipError_tPvRmT1_PNSt15iterator_traitsISL_E10value_typeET2_T3_PNSM_ISR_E10value_typeET4_jRbjT5_SX_jjP12ihipStream_tbEUlT_E_NS1_11comp_targetILNS1_3genE4ELNS1_11target_archE910ELNS1_3gpuE8ELNS1_3repE0EEENS1_30default_config_static_selectorELNS0_4arch9wavefront6targetE0EEEvSL_,@function
_ZN7rocprim17ROCPRIM_400000_NS6detail17trampoline_kernelINS0_14default_configENS1_36segmented_radix_sort_config_selectorI12hip_bfloat16lEEZNS1_25segmented_radix_sort_implIS3_Lb0EPKS5_PS5_PKlPlN2at6native12_GLOBAL__N_18offset_tEEE10hipError_tPvRmT1_PNSt15iterator_traitsISL_E10value_typeET2_T3_PNSM_ISR_E10value_typeET4_jRbjT5_SX_jjP12ihipStream_tbEUlT_E_NS1_11comp_targetILNS1_3genE4ELNS1_11target_archE910ELNS1_3gpuE8ELNS1_3repE0EEENS1_30default_config_static_selectorELNS0_4arch9wavefront6targetE0EEEvSL_: ; @_ZN7rocprim17ROCPRIM_400000_NS6detail17trampoline_kernelINS0_14default_configENS1_36segmented_radix_sort_config_selectorI12hip_bfloat16lEEZNS1_25segmented_radix_sort_implIS3_Lb0EPKS5_PS5_PKlPlN2at6native12_GLOBAL__N_18offset_tEEE10hipError_tPvRmT1_PNSt15iterator_traitsISL_E10value_typeET2_T3_PNSM_ISR_E10value_typeET4_jRbjT5_SX_jjP12ihipStream_tbEUlT_E_NS1_11comp_targetILNS1_3genE4ELNS1_11target_archE910ELNS1_3gpuE8ELNS1_3repE0EEENS1_30default_config_static_selectorELNS0_4arch9wavefront6targetE0EEEvSL_
; %bb.0:
	.section	.rodata,"a",@progbits
	.p2align	6, 0x0
	.amdhsa_kernel _ZN7rocprim17ROCPRIM_400000_NS6detail17trampoline_kernelINS0_14default_configENS1_36segmented_radix_sort_config_selectorI12hip_bfloat16lEEZNS1_25segmented_radix_sort_implIS3_Lb0EPKS5_PS5_PKlPlN2at6native12_GLOBAL__N_18offset_tEEE10hipError_tPvRmT1_PNSt15iterator_traitsISL_E10value_typeET2_T3_PNSM_ISR_E10value_typeET4_jRbjT5_SX_jjP12ihipStream_tbEUlT_E_NS1_11comp_targetILNS1_3genE4ELNS1_11target_archE910ELNS1_3gpuE8ELNS1_3repE0EEENS1_30default_config_static_selectorELNS0_4arch9wavefront6targetE0EEEvSL_
		.amdhsa_group_segment_fixed_size 0
		.amdhsa_private_segment_fixed_size 0
		.amdhsa_kernarg_size 96
		.amdhsa_user_sgpr_count 2
		.amdhsa_user_sgpr_dispatch_ptr 0
		.amdhsa_user_sgpr_queue_ptr 0
		.amdhsa_user_sgpr_kernarg_segment_ptr 1
		.amdhsa_user_sgpr_dispatch_id 0
		.amdhsa_user_sgpr_private_segment_size 0
		.amdhsa_wavefront_size32 1
		.amdhsa_uses_dynamic_stack 0
		.amdhsa_enable_private_segment 0
		.amdhsa_system_sgpr_workgroup_id_x 1
		.amdhsa_system_sgpr_workgroup_id_y 0
		.amdhsa_system_sgpr_workgroup_id_z 0
		.amdhsa_system_sgpr_workgroup_info 0
		.amdhsa_system_vgpr_workitem_id 0
		.amdhsa_next_free_vgpr 1
		.amdhsa_next_free_sgpr 1
		.amdhsa_reserve_vcc 0
		.amdhsa_float_round_mode_32 0
		.amdhsa_float_round_mode_16_64 0
		.amdhsa_float_denorm_mode_32 3
		.amdhsa_float_denorm_mode_16_64 3
		.amdhsa_fp16_overflow 0
		.amdhsa_workgroup_processor_mode 1
		.amdhsa_memory_ordered 1
		.amdhsa_forward_progress 1
		.amdhsa_inst_pref_size 0
		.amdhsa_round_robin_scheduling 0
		.amdhsa_exception_fp_ieee_invalid_op 0
		.amdhsa_exception_fp_denorm_src 0
		.amdhsa_exception_fp_ieee_div_zero 0
		.amdhsa_exception_fp_ieee_overflow 0
		.amdhsa_exception_fp_ieee_underflow 0
		.amdhsa_exception_fp_ieee_inexact 0
		.amdhsa_exception_int_div_zero 0
	.end_amdhsa_kernel
	.section	.text._ZN7rocprim17ROCPRIM_400000_NS6detail17trampoline_kernelINS0_14default_configENS1_36segmented_radix_sort_config_selectorI12hip_bfloat16lEEZNS1_25segmented_radix_sort_implIS3_Lb0EPKS5_PS5_PKlPlN2at6native12_GLOBAL__N_18offset_tEEE10hipError_tPvRmT1_PNSt15iterator_traitsISL_E10value_typeET2_T3_PNSM_ISR_E10value_typeET4_jRbjT5_SX_jjP12ihipStream_tbEUlT_E_NS1_11comp_targetILNS1_3genE4ELNS1_11target_archE910ELNS1_3gpuE8ELNS1_3repE0EEENS1_30default_config_static_selectorELNS0_4arch9wavefront6targetE0EEEvSL_,"axG",@progbits,_ZN7rocprim17ROCPRIM_400000_NS6detail17trampoline_kernelINS0_14default_configENS1_36segmented_radix_sort_config_selectorI12hip_bfloat16lEEZNS1_25segmented_radix_sort_implIS3_Lb0EPKS5_PS5_PKlPlN2at6native12_GLOBAL__N_18offset_tEEE10hipError_tPvRmT1_PNSt15iterator_traitsISL_E10value_typeET2_T3_PNSM_ISR_E10value_typeET4_jRbjT5_SX_jjP12ihipStream_tbEUlT_E_NS1_11comp_targetILNS1_3genE4ELNS1_11target_archE910ELNS1_3gpuE8ELNS1_3repE0EEENS1_30default_config_static_selectorELNS0_4arch9wavefront6targetE0EEEvSL_,comdat
.Lfunc_end2051:
	.size	_ZN7rocprim17ROCPRIM_400000_NS6detail17trampoline_kernelINS0_14default_configENS1_36segmented_radix_sort_config_selectorI12hip_bfloat16lEEZNS1_25segmented_radix_sort_implIS3_Lb0EPKS5_PS5_PKlPlN2at6native12_GLOBAL__N_18offset_tEEE10hipError_tPvRmT1_PNSt15iterator_traitsISL_E10value_typeET2_T3_PNSM_ISR_E10value_typeET4_jRbjT5_SX_jjP12ihipStream_tbEUlT_E_NS1_11comp_targetILNS1_3genE4ELNS1_11target_archE910ELNS1_3gpuE8ELNS1_3repE0EEENS1_30default_config_static_selectorELNS0_4arch9wavefront6targetE0EEEvSL_, .Lfunc_end2051-_ZN7rocprim17ROCPRIM_400000_NS6detail17trampoline_kernelINS0_14default_configENS1_36segmented_radix_sort_config_selectorI12hip_bfloat16lEEZNS1_25segmented_radix_sort_implIS3_Lb0EPKS5_PS5_PKlPlN2at6native12_GLOBAL__N_18offset_tEEE10hipError_tPvRmT1_PNSt15iterator_traitsISL_E10value_typeET2_T3_PNSM_ISR_E10value_typeET4_jRbjT5_SX_jjP12ihipStream_tbEUlT_E_NS1_11comp_targetILNS1_3genE4ELNS1_11target_archE910ELNS1_3gpuE8ELNS1_3repE0EEENS1_30default_config_static_selectorELNS0_4arch9wavefront6targetE0EEEvSL_
                                        ; -- End function
	.set _ZN7rocprim17ROCPRIM_400000_NS6detail17trampoline_kernelINS0_14default_configENS1_36segmented_radix_sort_config_selectorI12hip_bfloat16lEEZNS1_25segmented_radix_sort_implIS3_Lb0EPKS5_PS5_PKlPlN2at6native12_GLOBAL__N_18offset_tEEE10hipError_tPvRmT1_PNSt15iterator_traitsISL_E10value_typeET2_T3_PNSM_ISR_E10value_typeET4_jRbjT5_SX_jjP12ihipStream_tbEUlT_E_NS1_11comp_targetILNS1_3genE4ELNS1_11target_archE910ELNS1_3gpuE8ELNS1_3repE0EEENS1_30default_config_static_selectorELNS0_4arch9wavefront6targetE0EEEvSL_.num_vgpr, 0
	.set _ZN7rocprim17ROCPRIM_400000_NS6detail17trampoline_kernelINS0_14default_configENS1_36segmented_radix_sort_config_selectorI12hip_bfloat16lEEZNS1_25segmented_radix_sort_implIS3_Lb0EPKS5_PS5_PKlPlN2at6native12_GLOBAL__N_18offset_tEEE10hipError_tPvRmT1_PNSt15iterator_traitsISL_E10value_typeET2_T3_PNSM_ISR_E10value_typeET4_jRbjT5_SX_jjP12ihipStream_tbEUlT_E_NS1_11comp_targetILNS1_3genE4ELNS1_11target_archE910ELNS1_3gpuE8ELNS1_3repE0EEENS1_30default_config_static_selectorELNS0_4arch9wavefront6targetE0EEEvSL_.num_agpr, 0
	.set _ZN7rocprim17ROCPRIM_400000_NS6detail17trampoline_kernelINS0_14default_configENS1_36segmented_radix_sort_config_selectorI12hip_bfloat16lEEZNS1_25segmented_radix_sort_implIS3_Lb0EPKS5_PS5_PKlPlN2at6native12_GLOBAL__N_18offset_tEEE10hipError_tPvRmT1_PNSt15iterator_traitsISL_E10value_typeET2_T3_PNSM_ISR_E10value_typeET4_jRbjT5_SX_jjP12ihipStream_tbEUlT_E_NS1_11comp_targetILNS1_3genE4ELNS1_11target_archE910ELNS1_3gpuE8ELNS1_3repE0EEENS1_30default_config_static_selectorELNS0_4arch9wavefront6targetE0EEEvSL_.numbered_sgpr, 0
	.set _ZN7rocprim17ROCPRIM_400000_NS6detail17trampoline_kernelINS0_14default_configENS1_36segmented_radix_sort_config_selectorI12hip_bfloat16lEEZNS1_25segmented_radix_sort_implIS3_Lb0EPKS5_PS5_PKlPlN2at6native12_GLOBAL__N_18offset_tEEE10hipError_tPvRmT1_PNSt15iterator_traitsISL_E10value_typeET2_T3_PNSM_ISR_E10value_typeET4_jRbjT5_SX_jjP12ihipStream_tbEUlT_E_NS1_11comp_targetILNS1_3genE4ELNS1_11target_archE910ELNS1_3gpuE8ELNS1_3repE0EEENS1_30default_config_static_selectorELNS0_4arch9wavefront6targetE0EEEvSL_.num_named_barrier, 0
	.set _ZN7rocprim17ROCPRIM_400000_NS6detail17trampoline_kernelINS0_14default_configENS1_36segmented_radix_sort_config_selectorI12hip_bfloat16lEEZNS1_25segmented_radix_sort_implIS3_Lb0EPKS5_PS5_PKlPlN2at6native12_GLOBAL__N_18offset_tEEE10hipError_tPvRmT1_PNSt15iterator_traitsISL_E10value_typeET2_T3_PNSM_ISR_E10value_typeET4_jRbjT5_SX_jjP12ihipStream_tbEUlT_E_NS1_11comp_targetILNS1_3genE4ELNS1_11target_archE910ELNS1_3gpuE8ELNS1_3repE0EEENS1_30default_config_static_selectorELNS0_4arch9wavefront6targetE0EEEvSL_.private_seg_size, 0
	.set _ZN7rocprim17ROCPRIM_400000_NS6detail17trampoline_kernelINS0_14default_configENS1_36segmented_radix_sort_config_selectorI12hip_bfloat16lEEZNS1_25segmented_radix_sort_implIS3_Lb0EPKS5_PS5_PKlPlN2at6native12_GLOBAL__N_18offset_tEEE10hipError_tPvRmT1_PNSt15iterator_traitsISL_E10value_typeET2_T3_PNSM_ISR_E10value_typeET4_jRbjT5_SX_jjP12ihipStream_tbEUlT_E_NS1_11comp_targetILNS1_3genE4ELNS1_11target_archE910ELNS1_3gpuE8ELNS1_3repE0EEENS1_30default_config_static_selectorELNS0_4arch9wavefront6targetE0EEEvSL_.uses_vcc, 0
	.set _ZN7rocprim17ROCPRIM_400000_NS6detail17trampoline_kernelINS0_14default_configENS1_36segmented_radix_sort_config_selectorI12hip_bfloat16lEEZNS1_25segmented_radix_sort_implIS3_Lb0EPKS5_PS5_PKlPlN2at6native12_GLOBAL__N_18offset_tEEE10hipError_tPvRmT1_PNSt15iterator_traitsISL_E10value_typeET2_T3_PNSM_ISR_E10value_typeET4_jRbjT5_SX_jjP12ihipStream_tbEUlT_E_NS1_11comp_targetILNS1_3genE4ELNS1_11target_archE910ELNS1_3gpuE8ELNS1_3repE0EEENS1_30default_config_static_selectorELNS0_4arch9wavefront6targetE0EEEvSL_.uses_flat_scratch, 0
	.set _ZN7rocprim17ROCPRIM_400000_NS6detail17trampoline_kernelINS0_14default_configENS1_36segmented_radix_sort_config_selectorI12hip_bfloat16lEEZNS1_25segmented_radix_sort_implIS3_Lb0EPKS5_PS5_PKlPlN2at6native12_GLOBAL__N_18offset_tEEE10hipError_tPvRmT1_PNSt15iterator_traitsISL_E10value_typeET2_T3_PNSM_ISR_E10value_typeET4_jRbjT5_SX_jjP12ihipStream_tbEUlT_E_NS1_11comp_targetILNS1_3genE4ELNS1_11target_archE910ELNS1_3gpuE8ELNS1_3repE0EEENS1_30default_config_static_selectorELNS0_4arch9wavefront6targetE0EEEvSL_.has_dyn_sized_stack, 0
	.set _ZN7rocprim17ROCPRIM_400000_NS6detail17trampoline_kernelINS0_14default_configENS1_36segmented_radix_sort_config_selectorI12hip_bfloat16lEEZNS1_25segmented_radix_sort_implIS3_Lb0EPKS5_PS5_PKlPlN2at6native12_GLOBAL__N_18offset_tEEE10hipError_tPvRmT1_PNSt15iterator_traitsISL_E10value_typeET2_T3_PNSM_ISR_E10value_typeET4_jRbjT5_SX_jjP12ihipStream_tbEUlT_E_NS1_11comp_targetILNS1_3genE4ELNS1_11target_archE910ELNS1_3gpuE8ELNS1_3repE0EEENS1_30default_config_static_selectorELNS0_4arch9wavefront6targetE0EEEvSL_.has_recursion, 0
	.set _ZN7rocprim17ROCPRIM_400000_NS6detail17trampoline_kernelINS0_14default_configENS1_36segmented_radix_sort_config_selectorI12hip_bfloat16lEEZNS1_25segmented_radix_sort_implIS3_Lb0EPKS5_PS5_PKlPlN2at6native12_GLOBAL__N_18offset_tEEE10hipError_tPvRmT1_PNSt15iterator_traitsISL_E10value_typeET2_T3_PNSM_ISR_E10value_typeET4_jRbjT5_SX_jjP12ihipStream_tbEUlT_E_NS1_11comp_targetILNS1_3genE4ELNS1_11target_archE910ELNS1_3gpuE8ELNS1_3repE0EEENS1_30default_config_static_selectorELNS0_4arch9wavefront6targetE0EEEvSL_.has_indirect_call, 0
	.section	.AMDGPU.csdata,"",@progbits
; Kernel info:
; codeLenInByte = 0
; TotalNumSgprs: 0
; NumVgprs: 0
; ScratchSize: 0
; MemoryBound: 0
; FloatMode: 240
; IeeeMode: 1
; LDSByteSize: 0 bytes/workgroup (compile time only)
; SGPRBlocks: 0
; VGPRBlocks: 0
; NumSGPRsForWavesPerEU: 1
; NumVGPRsForWavesPerEU: 1
; Occupancy: 16
; WaveLimiterHint : 0
; COMPUTE_PGM_RSRC2:SCRATCH_EN: 0
; COMPUTE_PGM_RSRC2:USER_SGPR: 2
; COMPUTE_PGM_RSRC2:TRAP_HANDLER: 0
; COMPUTE_PGM_RSRC2:TGID_X_EN: 1
; COMPUTE_PGM_RSRC2:TGID_Y_EN: 0
; COMPUTE_PGM_RSRC2:TGID_Z_EN: 0
; COMPUTE_PGM_RSRC2:TIDIG_COMP_CNT: 0
	.section	.text._ZN7rocprim17ROCPRIM_400000_NS6detail17trampoline_kernelINS0_14default_configENS1_36segmented_radix_sort_config_selectorI12hip_bfloat16lEEZNS1_25segmented_radix_sort_implIS3_Lb0EPKS5_PS5_PKlPlN2at6native12_GLOBAL__N_18offset_tEEE10hipError_tPvRmT1_PNSt15iterator_traitsISL_E10value_typeET2_T3_PNSM_ISR_E10value_typeET4_jRbjT5_SX_jjP12ihipStream_tbEUlT_E_NS1_11comp_targetILNS1_3genE3ELNS1_11target_archE908ELNS1_3gpuE7ELNS1_3repE0EEENS1_30default_config_static_selectorELNS0_4arch9wavefront6targetE0EEEvSL_,"axG",@progbits,_ZN7rocprim17ROCPRIM_400000_NS6detail17trampoline_kernelINS0_14default_configENS1_36segmented_radix_sort_config_selectorI12hip_bfloat16lEEZNS1_25segmented_radix_sort_implIS3_Lb0EPKS5_PS5_PKlPlN2at6native12_GLOBAL__N_18offset_tEEE10hipError_tPvRmT1_PNSt15iterator_traitsISL_E10value_typeET2_T3_PNSM_ISR_E10value_typeET4_jRbjT5_SX_jjP12ihipStream_tbEUlT_E_NS1_11comp_targetILNS1_3genE3ELNS1_11target_archE908ELNS1_3gpuE7ELNS1_3repE0EEENS1_30default_config_static_selectorELNS0_4arch9wavefront6targetE0EEEvSL_,comdat
	.globl	_ZN7rocprim17ROCPRIM_400000_NS6detail17trampoline_kernelINS0_14default_configENS1_36segmented_radix_sort_config_selectorI12hip_bfloat16lEEZNS1_25segmented_radix_sort_implIS3_Lb0EPKS5_PS5_PKlPlN2at6native12_GLOBAL__N_18offset_tEEE10hipError_tPvRmT1_PNSt15iterator_traitsISL_E10value_typeET2_T3_PNSM_ISR_E10value_typeET4_jRbjT5_SX_jjP12ihipStream_tbEUlT_E_NS1_11comp_targetILNS1_3genE3ELNS1_11target_archE908ELNS1_3gpuE7ELNS1_3repE0EEENS1_30default_config_static_selectorELNS0_4arch9wavefront6targetE0EEEvSL_ ; -- Begin function _ZN7rocprim17ROCPRIM_400000_NS6detail17trampoline_kernelINS0_14default_configENS1_36segmented_radix_sort_config_selectorI12hip_bfloat16lEEZNS1_25segmented_radix_sort_implIS3_Lb0EPKS5_PS5_PKlPlN2at6native12_GLOBAL__N_18offset_tEEE10hipError_tPvRmT1_PNSt15iterator_traitsISL_E10value_typeET2_T3_PNSM_ISR_E10value_typeET4_jRbjT5_SX_jjP12ihipStream_tbEUlT_E_NS1_11comp_targetILNS1_3genE3ELNS1_11target_archE908ELNS1_3gpuE7ELNS1_3repE0EEENS1_30default_config_static_selectorELNS0_4arch9wavefront6targetE0EEEvSL_
	.p2align	8
	.type	_ZN7rocprim17ROCPRIM_400000_NS6detail17trampoline_kernelINS0_14default_configENS1_36segmented_radix_sort_config_selectorI12hip_bfloat16lEEZNS1_25segmented_radix_sort_implIS3_Lb0EPKS5_PS5_PKlPlN2at6native12_GLOBAL__N_18offset_tEEE10hipError_tPvRmT1_PNSt15iterator_traitsISL_E10value_typeET2_T3_PNSM_ISR_E10value_typeET4_jRbjT5_SX_jjP12ihipStream_tbEUlT_E_NS1_11comp_targetILNS1_3genE3ELNS1_11target_archE908ELNS1_3gpuE7ELNS1_3repE0EEENS1_30default_config_static_selectorELNS0_4arch9wavefront6targetE0EEEvSL_,@function
_ZN7rocprim17ROCPRIM_400000_NS6detail17trampoline_kernelINS0_14default_configENS1_36segmented_radix_sort_config_selectorI12hip_bfloat16lEEZNS1_25segmented_radix_sort_implIS3_Lb0EPKS5_PS5_PKlPlN2at6native12_GLOBAL__N_18offset_tEEE10hipError_tPvRmT1_PNSt15iterator_traitsISL_E10value_typeET2_T3_PNSM_ISR_E10value_typeET4_jRbjT5_SX_jjP12ihipStream_tbEUlT_E_NS1_11comp_targetILNS1_3genE3ELNS1_11target_archE908ELNS1_3gpuE7ELNS1_3repE0EEENS1_30default_config_static_selectorELNS0_4arch9wavefront6targetE0EEEvSL_: ; @_ZN7rocprim17ROCPRIM_400000_NS6detail17trampoline_kernelINS0_14default_configENS1_36segmented_radix_sort_config_selectorI12hip_bfloat16lEEZNS1_25segmented_radix_sort_implIS3_Lb0EPKS5_PS5_PKlPlN2at6native12_GLOBAL__N_18offset_tEEE10hipError_tPvRmT1_PNSt15iterator_traitsISL_E10value_typeET2_T3_PNSM_ISR_E10value_typeET4_jRbjT5_SX_jjP12ihipStream_tbEUlT_E_NS1_11comp_targetILNS1_3genE3ELNS1_11target_archE908ELNS1_3gpuE7ELNS1_3repE0EEENS1_30default_config_static_selectorELNS0_4arch9wavefront6targetE0EEEvSL_
; %bb.0:
	.section	.rodata,"a",@progbits
	.p2align	6, 0x0
	.amdhsa_kernel _ZN7rocprim17ROCPRIM_400000_NS6detail17trampoline_kernelINS0_14default_configENS1_36segmented_radix_sort_config_selectorI12hip_bfloat16lEEZNS1_25segmented_radix_sort_implIS3_Lb0EPKS5_PS5_PKlPlN2at6native12_GLOBAL__N_18offset_tEEE10hipError_tPvRmT1_PNSt15iterator_traitsISL_E10value_typeET2_T3_PNSM_ISR_E10value_typeET4_jRbjT5_SX_jjP12ihipStream_tbEUlT_E_NS1_11comp_targetILNS1_3genE3ELNS1_11target_archE908ELNS1_3gpuE7ELNS1_3repE0EEENS1_30default_config_static_selectorELNS0_4arch9wavefront6targetE0EEEvSL_
		.amdhsa_group_segment_fixed_size 0
		.amdhsa_private_segment_fixed_size 0
		.amdhsa_kernarg_size 96
		.amdhsa_user_sgpr_count 2
		.amdhsa_user_sgpr_dispatch_ptr 0
		.amdhsa_user_sgpr_queue_ptr 0
		.amdhsa_user_sgpr_kernarg_segment_ptr 1
		.amdhsa_user_sgpr_dispatch_id 0
		.amdhsa_user_sgpr_private_segment_size 0
		.amdhsa_wavefront_size32 1
		.amdhsa_uses_dynamic_stack 0
		.amdhsa_enable_private_segment 0
		.amdhsa_system_sgpr_workgroup_id_x 1
		.amdhsa_system_sgpr_workgroup_id_y 0
		.amdhsa_system_sgpr_workgroup_id_z 0
		.amdhsa_system_sgpr_workgroup_info 0
		.amdhsa_system_vgpr_workitem_id 0
		.amdhsa_next_free_vgpr 1
		.amdhsa_next_free_sgpr 1
		.amdhsa_reserve_vcc 0
		.amdhsa_float_round_mode_32 0
		.amdhsa_float_round_mode_16_64 0
		.amdhsa_float_denorm_mode_32 3
		.amdhsa_float_denorm_mode_16_64 3
		.amdhsa_fp16_overflow 0
		.amdhsa_workgroup_processor_mode 1
		.amdhsa_memory_ordered 1
		.amdhsa_forward_progress 1
		.amdhsa_inst_pref_size 0
		.amdhsa_round_robin_scheduling 0
		.amdhsa_exception_fp_ieee_invalid_op 0
		.amdhsa_exception_fp_denorm_src 0
		.amdhsa_exception_fp_ieee_div_zero 0
		.amdhsa_exception_fp_ieee_overflow 0
		.amdhsa_exception_fp_ieee_underflow 0
		.amdhsa_exception_fp_ieee_inexact 0
		.amdhsa_exception_int_div_zero 0
	.end_amdhsa_kernel
	.section	.text._ZN7rocprim17ROCPRIM_400000_NS6detail17trampoline_kernelINS0_14default_configENS1_36segmented_radix_sort_config_selectorI12hip_bfloat16lEEZNS1_25segmented_radix_sort_implIS3_Lb0EPKS5_PS5_PKlPlN2at6native12_GLOBAL__N_18offset_tEEE10hipError_tPvRmT1_PNSt15iterator_traitsISL_E10value_typeET2_T3_PNSM_ISR_E10value_typeET4_jRbjT5_SX_jjP12ihipStream_tbEUlT_E_NS1_11comp_targetILNS1_3genE3ELNS1_11target_archE908ELNS1_3gpuE7ELNS1_3repE0EEENS1_30default_config_static_selectorELNS0_4arch9wavefront6targetE0EEEvSL_,"axG",@progbits,_ZN7rocprim17ROCPRIM_400000_NS6detail17trampoline_kernelINS0_14default_configENS1_36segmented_radix_sort_config_selectorI12hip_bfloat16lEEZNS1_25segmented_radix_sort_implIS3_Lb0EPKS5_PS5_PKlPlN2at6native12_GLOBAL__N_18offset_tEEE10hipError_tPvRmT1_PNSt15iterator_traitsISL_E10value_typeET2_T3_PNSM_ISR_E10value_typeET4_jRbjT5_SX_jjP12ihipStream_tbEUlT_E_NS1_11comp_targetILNS1_3genE3ELNS1_11target_archE908ELNS1_3gpuE7ELNS1_3repE0EEENS1_30default_config_static_selectorELNS0_4arch9wavefront6targetE0EEEvSL_,comdat
.Lfunc_end2052:
	.size	_ZN7rocprim17ROCPRIM_400000_NS6detail17trampoline_kernelINS0_14default_configENS1_36segmented_radix_sort_config_selectorI12hip_bfloat16lEEZNS1_25segmented_radix_sort_implIS3_Lb0EPKS5_PS5_PKlPlN2at6native12_GLOBAL__N_18offset_tEEE10hipError_tPvRmT1_PNSt15iterator_traitsISL_E10value_typeET2_T3_PNSM_ISR_E10value_typeET4_jRbjT5_SX_jjP12ihipStream_tbEUlT_E_NS1_11comp_targetILNS1_3genE3ELNS1_11target_archE908ELNS1_3gpuE7ELNS1_3repE0EEENS1_30default_config_static_selectorELNS0_4arch9wavefront6targetE0EEEvSL_, .Lfunc_end2052-_ZN7rocprim17ROCPRIM_400000_NS6detail17trampoline_kernelINS0_14default_configENS1_36segmented_radix_sort_config_selectorI12hip_bfloat16lEEZNS1_25segmented_radix_sort_implIS3_Lb0EPKS5_PS5_PKlPlN2at6native12_GLOBAL__N_18offset_tEEE10hipError_tPvRmT1_PNSt15iterator_traitsISL_E10value_typeET2_T3_PNSM_ISR_E10value_typeET4_jRbjT5_SX_jjP12ihipStream_tbEUlT_E_NS1_11comp_targetILNS1_3genE3ELNS1_11target_archE908ELNS1_3gpuE7ELNS1_3repE0EEENS1_30default_config_static_selectorELNS0_4arch9wavefront6targetE0EEEvSL_
                                        ; -- End function
	.set _ZN7rocprim17ROCPRIM_400000_NS6detail17trampoline_kernelINS0_14default_configENS1_36segmented_radix_sort_config_selectorI12hip_bfloat16lEEZNS1_25segmented_radix_sort_implIS3_Lb0EPKS5_PS5_PKlPlN2at6native12_GLOBAL__N_18offset_tEEE10hipError_tPvRmT1_PNSt15iterator_traitsISL_E10value_typeET2_T3_PNSM_ISR_E10value_typeET4_jRbjT5_SX_jjP12ihipStream_tbEUlT_E_NS1_11comp_targetILNS1_3genE3ELNS1_11target_archE908ELNS1_3gpuE7ELNS1_3repE0EEENS1_30default_config_static_selectorELNS0_4arch9wavefront6targetE0EEEvSL_.num_vgpr, 0
	.set _ZN7rocprim17ROCPRIM_400000_NS6detail17trampoline_kernelINS0_14default_configENS1_36segmented_radix_sort_config_selectorI12hip_bfloat16lEEZNS1_25segmented_radix_sort_implIS3_Lb0EPKS5_PS5_PKlPlN2at6native12_GLOBAL__N_18offset_tEEE10hipError_tPvRmT1_PNSt15iterator_traitsISL_E10value_typeET2_T3_PNSM_ISR_E10value_typeET4_jRbjT5_SX_jjP12ihipStream_tbEUlT_E_NS1_11comp_targetILNS1_3genE3ELNS1_11target_archE908ELNS1_3gpuE7ELNS1_3repE0EEENS1_30default_config_static_selectorELNS0_4arch9wavefront6targetE0EEEvSL_.num_agpr, 0
	.set _ZN7rocprim17ROCPRIM_400000_NS6detail17trampoline_kernelINS0_14default_configENS1_36segmented_radix_sort_config_selectorI12hip_bfloat16lEEZNS1_25segmented_radix_sort_implIS3_Lb0EPKS5_PS5_PKlPlN2at6native12_GLOBAL__N_18offset_tEEE10hipError_tPvRmT1_PNSt15iterator_traitsISL_E10value_typeET2_T3_PNSM_ISR_E10value_typeET4_jRbjT5_SX_jjP12ihipStream_tbEUlT_E_NS1_11comp_targetILNS1_3genE3ELNS1_11target_archE908ELNS1_3gpuE7ELNS1_3repE0EEENS1_30default_config_static_selectorELNS0_4arch9wavefront6targetE0EEEvSL_.numbered_sgpr, 0
	.set _ZN7rocprim17ROCPRIM_400000_NS6detail17trampoline_kernelINS0_14default_configENS1_36segmented_radix_sort_config_selectorI12hip_bfloat16lEEZNS1_25segmented_radix_sort_implIS3_Lb0EPKS5_PS5_PKlPlN2at6native12_GLOBAL__N_18offset_tEEE10hipError_tPvRmT1_PNSt15iterator_traitsISL_E10value_typeET2_T3_PNSM_ISR_E10value_typeET4_jRbjT5_SX_jjP12ihipStream_tbEUlT_E_NS1_11comp_targetILNS1_3genE3ELNS1_11target_archE908ELNS1_3gpuE7ELNS1_3repE0EEENS1_30default_config_static_selectorELNS0_4arch9wavefront6targetE0EEEvSL_.num_named_barrier, 0
	.set _ZN7rocprim17ROCPRIM_400000_NS6detail17trampoline_kernelINS0_14default_configENS1_36segmented_radix_sort_config_selectorI12hip_bfloat16lEEZNS1_25segmented_radix_sort_implIS3_Lb0EPKS5_PS5_PKlPlN2at6native12_GLOBAL__N_18offset_tEEE10hipError_tPvRmT1_PNSt15iterator_traitsISL_E10value_typeET2_T3_PNSM_ISR_E10value_typeET4_jRbjT5_SX_jjP12ihipStream_tbEUlT_E_NS1_11comp_targetILNS1_3genE3ELNS1_11target_archE908ELNS1_3gpuE7ELNS1_3repE0EEENS1_30default_config_static_selectorELNS0_4arch9wavefront6targetE0EEEvSL_.private_seg_size, 0
	.set _ZN7rocprim17ROCPRIM_400000_NS6detail17trampoline_kernelINS0_14default_configENS1_36segmented_radix_sort_config_selectorI12hip_bfloat16lEEZNS1_25segmented_radix_sort_implIS3_Lb0EPKS5_PS5_PKlPlN2at6native12_GLOBAL__N_18offset_tEEE10hipError_tPvRmT1_PNSt15iterator_traitsISL_E10value_typeET2_T3_PNSM_ISR_E10value_typeET4_jRbjT5_SX_jjP12ihipStream_tbEUlT_E_NS1_11comp_targetILNS1_3genE3ELNS1_11target_archE908ELNS1_3gpuE7ELNS1_3repE0EEENS1_30default_config_static_selectorELNS0_4arch9wavefront6targetE0EEEvSL_.uses_vcc, 0
	.set _ZN7rocprim17ROCPRIM_400000_NS6detail17trampoline_kernelINS0_14default_configENS1_36segmented_radix_sort_config_selectorI12hip_bfloat16lEEZNS1_25segmented_radix_sort_implIS3_Lb0EPKS5_PS5_PKlPlN2at6native12_GLOBAL__N_18offset_tEEE10hipError_tPvRmT1_PNSt15iterator_traitsISL_E10value_typeET2_T3_PNSM_ISR_E10value_typeET4_jRbjT5_SX_jjP12ihipStream_tbEUlT_E_NS1_11comp_targetILNS1_3genE3ELNS1_11target_archE908ELNS1_3gpuE7ELNS1_3repE0EEENS1_30default_config_static_selectorELNS0_4arch9wavefront6targetE0EEEvSL_.uses_flat_scratch, 0
	.set _ZN7rocprim17ROCPRIM_400000_NS6detail17trampoline_kernelINS0_14default_configENS1_36segmented_radix_sort_config_selectorI12hip_bfloat16lEEZNS1_25segmented_radix_sort_implIS3_Lb0EPKS5_PS5_PKlPlN2at6native12_GLOBAL__N_18offset_tEEE10hipError_tPvRmT1_PNSt15iterator_traitsISL_E10value_typeET2_T3_PNSM_ISR_E10value_typeET4_jRbjT5_SX_jjP12ihipStream_tbEUlT_E_NS1_11comp_targetILNS1_3genE3ELNS1_11target_archE908ELNS1_3gpuE7ELNS1_3repE0EEENS1_30default_config_static_selectorELNS0_4arch9wavefront6targetE0EEEvSL_.has_dyn_sized_stack, 0
	.set _ZN7rocprim17ROCPRIM_400000_NS6detail17trampoline_kernelINS0_14default_configENS1_36segmented_radix_sort_config_selectorI12hip_bfloat16lEEZNS1_25segmented_radix_sort_implIS3_Lb0EPKS5_PS5_PKlPlN2at6native12_GLOBAL__N_18offset_tEEE10hipError_tPvRmT1_PNSt15iterator_traitsISL_E10value_typeET2_T3_PNSM_ISR_E10value_typeET4_jRbjT5_SX_jjP12ihipStream_tbEUlT_E_NS1_11comp_targetILNS1_3genE3ELNS1_11target_archE908ELNS1_3gpuE7ELNS1_3repE0EEENS1_30default_config_static_selectorELNS0_4arch9wavefront6targetE0EEEvSL_.has_recursion, 0
	.set _ZN7rocprim17ROCPRIM_400000_NS6detail17trampoline_kernelINS0_14default_configENS1_36segmented_radix_sort_config_selectorI12hip_bfloat16lEEZNS1_25segmented_radix_sort_implIS3_Lb0EPKS5_PS5_PKlPlN2at6native12_GLOBAL__N_18offset_tEEE10hipError_tPvRmT1_PNSt15iterator_traitsISL_E10value_typeET2_T3_PNSM_ISR_E10value_typeET4_jRbjT5_SX_jjP12ihipStream_tbEUlT_E_NS1_11comp_targetILNS1_3genE3ELNS1_11target_archE908ELNS1_3gpuE7ELNS1_3repE0EEENS1_30default_config_static_selectorELNS0_4arch9wavefront6targetE0EEEvSL_.has_indirect_call, 0
	.section	.AMDGPU.csdata,"",@progbits
; Kernel info:
; codeLenInByte = 0
; TotalNumSgprs: 0
; NumVgprs: 0
; ScratchSize: 0
; MemoryBound: 0
; FloatMode: 240
; IeeeMode: 1
; LDSByteSize: 0 bytes/workgroup (compile time only)
; SGPRBlocks: 0
; VGPRBlocks: 0
; NumSGPRsForWavesPerEU: 1
; NumVGPRsForWavesPerEU: 1
; Occupancy: 16
; WaveLimiterHint : 0
; COMPUTE_PGM_RSRC2:SCRATCH_EN: 0
; COMPUTE_PGM_RSRC2:USER_SGPR: 2
; COMPUTE_PGM_RSRC2:TRAP_HANDLER: 0
; COMPUTE_PGM_RSRC2:TGID_X_EN: 1
; COMPUTE_PGM_RSRC2:TGID_Y_EN: 0
; COMPUTE_PGM_RSRC2:TGID_Z_EN: 0
; COMPUTE_PGM_RSRC2:TIDIG_COMP_CNT: 0
	.section	.text._ZN7rocprim17ROCPRIM_400000_NS6detail17trampoline_kernelINS0_14default_configENS1_36segmented_radix_sort_config_selectorI12hip_bfloat16lEEZNS1_25segmented_radix_sort_implIS3_Lb0EPKS5_PS5_PKlPlN2at6native12_GLOBAL__N_18offset_tEEE10hipError_tPvRmT1_PNSt15iterator_traitsISL_E10value_typeET2_T3_PNSM_ISR_E10value_typeET4_jRbjT5_SX_jjP12ihipStream_tbEUlT_E_NS1_11comp_targetILNS1_3genE2ELNS1_11target_archE906ELNS1_3gpuE6ELNS1_3repE0EEENS1_30default_config_static_selectorELNS0_4arch9wavefront6targetE0EEEvSL_,"axG",@progbits,_ZN7rocprim17ROCPRIM_400000_NS6detail17trampoline_kernelINS0_14default_configENS1_36segmented_radix_sort_config_selectorI12hip_bfloat16lEEZNS1_25segmented_radix_sort_implIS3_Lb0EPKS5_PS5_PKlPlN2at6native12_GLOBAL__N_18offset_tEEE10hipError_tPvRmT1_PNSt15iterator_traitsISL_E10value_typeET2_T3_PNSM_ISR_E10value_typeET4_jRbjT5_SX_jjP12ihipStream_tbEUlT_E_NS1_11comp_targetILNS1_3genE2ELNS1_11target_archE906ELNS1_3gpuE6ELNS1_3repE0EEENS1_30default_config_static_selectorELNS0_4arch9wavefront6targetE0EEEvSL_,comdat
	.globl	_ZN7rocprim17ROCPRIM_400000_NS6detail17trampoline_kernelINS0_14default_configENS1_36segmented_radix_sort_config_selectorI12hip_bfloat16lEEZNS1_25segmented_radix_sort_implIS3_Lb0EPKS5_PS5_PKlPlN2at6native12_GLOBAL__N_18offset_tEEE10hipError_tPvRmT1_PNSt15iterator_traitsISL_E10value_typeET2_T3_PNSM_ISR_E10value_typeET4_jRbjT5_SX_jjP12ihipStream_tbEUlT_E_NS1_11comp_targetILNS1_3genE2ELNS1_11target_archE906ELNS1_3gpuE6ELNS1_3repE0EEENS1_30default_config_static_selectorELNS0_4arch9wavefront6targetE0EEEvSL_ ; -- Begin function _ZN7rocprim17ROCPRIM_400000_NS6detail17trampoline_kernelINS0_14default_configENS1_36segmented_radix_sort_config_selectorI12hip_bfloat16lEEZNS1_25segmented_radix_sort_implIS3_Lb0EPKS5_PS5_PKlPlN2at6native12_GLOBAL__N_18offset_tEEE10hipError_tPvRmT1_PNSt15iterator_traitsISL_E10value_typeET2_T3_PNSM_ISR_E10value_typeET4_jRbjT5_SX_jjP12ihipStream_tbEUlT_E_NS1_11comp_targetILNS1_3genE2ELNS1_11target_archE906ELNS1_3gpuE6ELNS1_3repE0EEENS1_30default_config_static_selectorELNS0_4arch9wavefront6targetE0EEEvSL_
	.p2align	8
	.type	_ZN7rocprim17ROCPRIM_400000_NS6detail17trampoline_kernelINS0_14default_configENS1_36segmented_radix_sort_config_selectorI12hip_bfloat16lEEZNS1_25segmented_radix_sort_implIS3_Lb0EPKS5_PS5_PKlPlN2at6native12_GLOBAL__N_18offset_tEEE10hipError_tPvRmT1_PNSt15iterator_traitsISL_E10value_typeET2_T3_PNSM_ISR_E10value_typeET4_jRbjT5_SX_jjP12ihipStream_tbEUlT_E_NS1_11comp_targetILNS1_3genE2ELNS1_11target_archE906ELNS1_3gpuE6ELNS1_3repE0EEENS1_30default_config_static_selectorELNS0_4arch9wavefront6targetE0EEEvSL_,@function
_ZN7rocprim17ROCPRIM_400000_NS6detail17trampoline_kernelINS0_14default_configENS1_36segmented_radix_sort_config_selectorI12hip_bfloat16lEEZNS1_25segmented_radix_sort_implIS3_Lb0EPKS5_PS5_PKlPlN2at6native12_GLOBAL__N_18offset_tEEE10hipError_tPvRmT1_PNSt15iterator_traitsISL_E10value_typeET2_T3_PNSM_ISR_E10value_typeET4_jRbjT5_SX_jjP12ihipStream_tbEUlT_E_NS1_11comp_targetILNS1_3genE2ELNS1_11target_archE906ELNS1_3gpuE6ELNS1_3repE0EEENS1_30default_config_static_selectorELNS0_4arch9wavefront6targetE0EEEvSL_: ; @_ZN7rocprim17ROCPRIM_400000_NS6detail17trampoline_kernelINS0_14default_configENS1_36segmented_radix_sort_config_selectorI12hip_bfloat16lEEZNS1_25segmented_radix_sort_implIS3_Lb0EPKS5_PS5_PKlPlN2at6native12_GLOBAL__N_18offset_tEEE10hipError_tPvRmT1_PNSt15iterator_traitsISL_E10value_typeET2_T3_PNSM_ISR_E10value_typeET4_jRbjT5_SX_jjP12ihipStream_tbEUlT_E_NS1_11comp_targetILNS1_3genE2ELNS1_11target_archE906ELNS1_3gpuE6ELNS1_3repE0EEENS1_30default_config_static_selectorELNS0_4arch9wavefront6targetE0EEEvSL_
; %bb.0:
	.section	.rodata,"a",@progbits
	.p2align	6, 0x0
	.amdhsa_kernel _ZN7rocprim17ROCPRIM_400000_NS6detail17trampoline_kernelINS0_14default_configENS1_36segmented_radix_sort_config_selectorI12hip_bfloat16lEEZNS1_25segmented_radix_sort_implIS3_Lb0EPKS5_PS5_PKlPlN2at6native12_GLOBAL__N_18offset_tEEE10hipError_tPvRmT1_PNSt15iterator_traitsISL_E10value_typeET2_T3_PNSM_ISR_E10value_typeET4_jRbjT5_SX_jjP12ihipStream_tbEUlT_E_NS1_11comp_targetILNS1_3genE2ELNS1_11target_archE906ELNS1_3gpuE6ELNS1_3repE0EEENS1_30default_config_static_selectorELNS0_4arch9wavefront6targetE0EEEvSL_
		.amdhsa_group_segment_fixed_size 0
		.amdhsa_private_segment_fixed_size 0
		.amdhsa_kernarg_size 96
		.amdhsa_user_sgpr_count 2
		.amdhsa_user_sgpr_dispatch_ptr 0
		.amdhsa_user_sgpr_queue_ptr 0
		.amdhsa_user_sgpr_kernarg_segment_ptr 1
		.amdhsa_user_sgpr_dispatch_id 0
		.amdhsa_user_sgpr_private_segment_size 0
		.amdhsa_wavefront_size32 1
		.amdhsa_uses_dynamic_stack 0
		.amdhsa_enable_private_segment 0
		.amdhsa_system_sgpr_workgroup_id_x 1
		.amdhsa_system_sgpr_workgroup_id_y 0
		.amdhsa_system_sgpr_workgroup_id_z 0
		.amdhsa_system_sgpr_workgroup_info 0
		.amdhsa_system_vgpr_workitem_id 0
		.amdhsa_next_free_vgpr 1
		.amdhsa_next_free_sgpr 1
		.amdhsa_reserve_vcc 0
		.amdhsa_float_round_mode_32 0
		.amdhsa_float_round_mode_16_64 0
		.amdhsa_float_denorm_mode_32 3
		.amdhsa_float_denorm_mode_16_64 3
		.amdhsa_fp16_overflow 0
		.amdhsa_workgroup_processor_mode 1
		.amdhsa_memory_ordered 1
		.amdhsa_forward_progress 1
		.amdhsa_inst_pref_size 0
		.amdhsa_round_robin_scheduling 0
		.amdhsa_exception_fp_ieee_invalid_op 0
		.amdhsa_exception_fp_denorm_src 0
		.amdhsa_exception_fp_ieee_div_zero 0
		.amdhsa_exception_fp_ieee_overflow 0
		.amdhsa_exception_fp_ieee_underflow 0
		.amdhsa_exception_fp_ieee_inexact 0
		.amdhsa_exception_int_div_zero 0
	.end_amdhsa_kernel
	.section	.text._ZN7rocprim17ROCPRIM_400000_NS6detail17trampoline_kernelINS0_14default_configENS1_36segmented_radix_sort_config_selectorI12hip_bfloat16lEEZNS1_25segmented_radix_sort_implIS3_Lb0EPKS5_PS5_PKlPlN2at6native12_GLOBAL__N_18offset_tEEE10hipError_tPvRmT1_PNSt15iterator_traitsISL_E10value_typeET2_T3_PNSM_ISR_E10value_typeET4_jRbjT5_SX_jjP12ihipStream_tbEUlT_E_NS1_11comp_targetILNS1_3genE2ELNS1_11target_archE906ELNS1_3gpuE6ELNS1_3repE0EEENS1_30default_config_static_selectorELNS0_4arch9wavefront6targetE0EEEvSL_,"axG",@progbits,_ZN7rocprim17ROCPRIM_400000_NS6detail17trampoline_kernelINS0_14default_configENS1_36segmented_radix_sort_config_selectorI12hip_bfloat16lEEZNS1_25segmented_radix_sort_implIS3_Lb0EPKS5_PS5_PKlPlN2at6native12_GLOBAL__N_18offset_tEEE10hipError_tPvRmT1_PNSt15iterator_traitsISL_E10value_typeET2_T3_PNSM_ISR_E10value_typeET4_jRbjT5_SX_jjP12ihipStream_tbEUlT_E_NS1_11comp_targetILNS1_3genE2ELNS1_11target_archE906ELNS1_3gpuE6ELNS1_3repE0EEENS1_30default_config_static_selectorELNS0_4arch9wavefront6targetE0EEEvSL_,comdat
.Lfunc_end2053:
	.size	_ZN7rocprim17ROCPRIM_400000_NS6detail17trampoline_kernelINS0_14default_configENS1_36segmented_radix_sort_config_selectorI12hip_bfloat16lEEZNS1_25segmented_radix_sort_implIS3_Lb0EPKS5_PS5_PKlPlN2at6native12_GLOBAL__N_18offset_tEEE10hipError_tPvRmT1_PNSt15iterator_traitsISL_E10value_typeET2_T3_PNSM_ISR_E10value_typeET4_jRbjT5_SX_jjP12ihipStream_tbEUlT_E_NS1_11comp_targetILNS1_3genE2ELNS1_11target_archE906ELNS1_3gpuE6ELNS1_3repE0EEENS1_30default_config_static_selectorELNS0_4arch9wavefront6targetE0EEEvSL_, .Lfunc_end2053-_ZN7rocprim17ROCPRIM_400000_NS6detail17trampoline_kernelINS0_14default_configENS1_36segmented_radix_sort_config_selectorI12hip_bfloat16lEEZNS1_25segmented_radix_sort_implIS3_Lb0EPKS5_PS5_PKlPlN2at6native12_GLOBAL__N_18offset_tEEE10hipError_tPvRmT1_PNSt15iterator_traitsISL_E10value_typeET2_T3_PNSM_ISR_E10value_typeET4_jRbjT5_SX_jjP12ihipStream_tbEUlT_E_NS1_11comp_targetILNS1_3genE2ELNS1_11target_archE906ELNS1_3gpuE6ELNS1_3repE0EEENS1_30default_config_static_selectorELNS0_4arch9wavefront6targetE0EEEvSL_
                                        ; -- End function
	.set _ZN7rocprim17ROCPRIM_400000_NS6detail17trampoline_kernelINS0_14default_configENS1_36segmented_radix_sort_config_selectorI12hip_bfloat16lEEZNS1_25segmented_radix_sort_implIS3_Lb0EPKS5_PS5_PKlPlN2at6native12_GLOBAL__N_18offset_tEEE10hipError_tPvRmT1_PNSt15iterator_traitsISL_E10value_typeET2_T3_PNSM_ISR_E10value_typeET4_jRbjT5_SX_jjP12ihipStream_tbEUlT_E_NS1_11comp_targetILNS1_3genE2ELNS1_11target_archE906ELNS1_3gpuE6ELNS1_3repE0EEENS1_30default_config_static_selectorELNS0_4arch9wavefront6targetE0EEEvSL_.num_vgpr, 0
	.set _ZN7rocprim17ROCPRIM_400000_NS6detail17trampoline_kernelINS0_14default_configENS1_36segmented_radix_sort_config_selectorI12hip_bfloat16lEEZNS1_25segmented_radix_sort_implIS3_Lb0EPKS5_PS5_PKlPlN2at6native12_GLOBAL__N_18offset_tEEE10hipError_tPvRmT1_PNSt15iterator_traitsISL_E10value_typeET2_T3_PNSM_ISR_E10value_typeET4_jRbjT5_SX_jjP12ihipStream_tbEUlT_E_NS1_11comp_targetILNS1_3genE2ELNS1_11target_archE906ELNS1_3gpuE6ELNS1_3repE0EEENS1_30default_config_static_selectorELNS0_4arch9wavefront6targetE0EEEvSL_.num_agpr, 0
	.set _ZN7rocprim17ROCPRIM_400000_NS6detail17trampoline_kernelINS0_14default_configENS1_36segmented_radix_sort_config_selectorI12hip_bfloat16lEEZNS1_25segmented_radix_sort_implIS3_Lb0EPKS5_PS5_PKlPlN2at6native12_GLOBAL__N_18offset_tEEE10hipError_tPvRmT1_PNSt15iterator_traitsISL_E10value_typeET2_T3_PNSM_ISR_E10value_typeET4_jRbjT5_SX_jjP12ihipStream_tbEUlT_E_NS1_11comp_targetILNS1_3genE2ELNS1_11target_archE906ELNS1_3gpuE6ELNS1_3repE0EEENS1_30default_config_static_selectorELNS0_4arch9wavefront6targetE0EEEvSL_.numbered_sgpr, 0
	.set _ZN7rocprim17ROCPRIM_400000_NS6detail17trampoline_kernelINS0_14default_configENS1_36segmented_radix_sort_config_selectorI12hip_bfloat16lEEZNS1_25segmented_radix_sort_implIS3_Lb0EPKS5_PS5_PKlPlN2at6native12_GLOBAL__N_18offset_tEEE10hipError_tPvRmT1_PNSt15iterator_traitsISL_E10value_typeET2_T3_PNSM_ISR_E10value_typeET4_jRbjT5_SX_jjP12ihipStream_tbEUlT_E_NS1_11comp_targetILNS1_3genE2ELNS1_11target_archE906ELNS1_3gpuE6ELNS1_3repE0EEENS1_30default_config_static_selectorELNS0_4arch9wavefront6targetE0EEEvSL_.num_named_barrier, 0
	.set _ZN7rocprim17ROCPRIM_400000_NS6detail17trampoline_kernelINS0_14default_configENS1_36segmented_radix_sort_config_selectorI12hip_bfloat16lEEZNS1_25segmented_radix_sort_implIS3_Lb0EPKS5_PS5_PKlPlN2at6native12_GLOBAL__N_18offset_tEEE10hipError_tPvRmT1_PNSt15iterator_traitsISL_E10value_typeET2_T3_PNSM_ISR_E10value_typeET4_jRbjT5_SX_jjP12ihipStream_tbEUlT_E_NS1_11comp_targetILNS1_3genE2ELNS1_11target_archE906ELNS1_3gpuE6ELNS1_3repE0EEENS1_30default_config_static_selectorELNS0_4arch9wavefront6targetE0EEEvSL_.private_seg_size, 0
	.set _ZN7rocprim17ROCPRIM_400000_NS6detail17trampoline_kernelINS0_14default_configENS1_36segmented_radix_sort_config_selectorI12hip_bfloat16lEEZNS1_25segmented_radix_sort_implIS3_Lb0EPKS5_PS5_PKlPlN2at6native12_GLOBAL__N_18offset_tEEE10hipError_tPvRmT1_PNSt15iterator_traitsISL_E10value_typeET2_T3_PNSM_ISR_E10value_typeET4_jRbjT5_SX_jjP12ihipStream_tbEUlT_E_NS1_11comp_targetILNS1_3genE2ELNS1_11target_archE906ELNS1_3gpuE6ELNS1_3repE0EEENS1_30default_config_static_selectorELNS0_4arch9wavefront6targetE0EEEvSL_.uses_vcc, 0
	.set _ZN7rocprim17ROCPRIM_400000_NS6detail17trampoline_kernelINS0_14default_configENS1_36segmented_radix_sort_config_selectorI12hip_bfloat16lEEZNS1_25segmented_radix_sort_implIS3_Lb0EPKS5_PS5_PKlPlN2at6native12_GLOBAL__N_18offset_tEEE10hipError_tPvRmT1_PNSt15iterator_traitsISL_E10value_typeET2_T3_PNSM_ISR_E10value_typeET4_jRbjT5_SX_jjP12ihipStream_tbEUlT_E_NS1_11comp_targetILNS1_3genE2ELNS1_11target_archE906ELNS1_3gpuE6ELNS1_3repE0EEENS1_30default_config_static_selectorELNS0_4arch9wavefront6targetE0EEEvSL_.uses_flat_scratch, 0
	.set _ZN7rocprim17ROCPRIM_400000_NS6detail17trampoline_kernelINS0_14default_configENS1_36segmented_radix_sort_config_selectorI12hip_bfloat16lEEZNS1_25segmented_radix_sort_implIS3_Lb0EPKS5_PS5_PKlPlN2at6native12_GLOBAL__N_18offset_tEEE10hipError_tPvRmT1_PNSt15iterator_traitsISL_E10value_typeET2_T3_PNSM_ISR_E10value_typeET4_jRbjT5_SX_jjP12ihipStream_tbEUlT_E_NS1_11comp_targetILNS1_3genE2ELNS1_11target_archE906ELNS1_3gpuE6ELNS1_3repE0EEENS1_30default_config_static_selectorELNS0_4arch9wavefront6targetE0EEEvSL_.has_dyn_sized_stack, 0
	.set _ZN7rocprim17ROCPRIM_400000_NS6detail17trampoline_kernelINS0_14default_configENS1_36segmented_radix_sort_config_selectorI12hip_bfloat16lEEZNS1_25segmented_radix_sort_implIS3_Lb0EPKS5_PS5_PKlPlN2at6native12_GLOBAL__N_18offset_tEEE10hipError_tPvRmT1_PNSt15iterator_traitsISL_E10value_typeET2_T3_PNSM_ISR_E10value_typeET4_jRbjT5_SX_jjP12ihipStream_tbEUlT_E_NS1_11comp_targetILNS1_3genE2ELNS1_11target_archE906ELNS1_3gpuE6ELNS1_3repE0EEENS1_30default_config_static_selectorELNS0_4arch9wavefront6targetE0EEEvSL_.has_recursion, 0
	.set _ZN7rocprim17ROCPRIM_400000_NS6detail17trampoline_kernelINS0_14default_configENS1_36segmented_radix_sort_config_selectorI12hip_bfloat16lEEZNS1_25segmented_radix_sort_implIS3_Lb0EPKS5_PS5_PKlPlN2at6native12_GLOBAL__N_18offset_tEEE10hipError_tPvRmT1_PNSt15iterator_traitsISL_E10value_typeET2_T3_PNSM_ISR_E10value_typeET4_jRbjT5_SX_jjP12ihipStream_tbEUlT_E_NS1_11comp_targetILNS1_3genE2ELNS1_11target_archE906ELNS1_3gpuE6ELNS1_3repE0EEENS1_30default_config_static_selectorELNS0_4arch9wavefront6targetE0EEEvSL_.has_indirect_call, 0
	.section	.AMDGPU.csdata,"",@progbits
; Kernel info:
; codeLenInByte = 0
; TotalNumSgprs: 0
; NumVgprs: 0
; ScratchSize: 0
; MemoryBound: 0
; FloatMode: 240
; IeeeMode: 1
; LDSByteSize: 0 bytes/workgroup (compile time only)
; SGPRBlocks: 0
; VGPRBlocks: 0
; NumSGPRsForWavesPerEU: 1
; NumVGPRsForWavesPerEU: 1
; Occupancy: 16
; WaveLimiterHint : 0
; COMPUTE_PGM_RSRC2:SCRATCH_EN: 0
; COMPUTE_PGM_RSRC2:USER_SGPR: 2
; COMPUTE_PGM_RSRC2:TRAP_HANDLER: 0
; COMPUTE_PGM_RSRC2:TGID_X_EN: 1
; COMPUTE_PGM_RSRC2:TGID_Y_EN: 0
; COMPUTE_PGM_RSRC2:TGID_Z_EN: 0
; COMPUTE_PGM_RSRC2:TIDIG_COMP_CNT: 0
	.text
	.p2align	2                               ; -- Begin function _ZN7rocprim17ROCPRIM_400000_NS6detail40segmented_radix_sort_single_block_helperI12hip_bfloat16lLj256ELj8ELb0EE4sortIPKS3_PS3_PKlPlEEbT_T0_T1_T2_jjjjRNS4_12storage_typeE
	.type	_ZN7rocprim17ROCPRIM_400000_NS6detail40segmented_radix_sort_single_block_helperI12hip_bfloat16lLj256ELj8ELb0EE4sortIPKS3_PS3_PKlPlEEbT_T0_T1_T2_jjjjRNS4_12storage_typeE,@function
_ZN7rocprim17ROCPRIM_400000_NS6detail40segmented_radix_sort_single_block_helperI12hip_bfloat16lLj256ELj8ELb0EE4sortIPKS3_PS3_PKlPlEEbT_T0_T1_T2_jjjjRNS4_12storage_typeE: ; @_ZN7rocprim17ROCPRIM_400000_NS6detail40segmented_radix_sort_single_block_helperI12hip_bfloat16lLj256ELj8ELb0EE4sortIPKS3_PS3_PKlPlEEbT_T0_T1_T2_jjjjRNS4_12storage_typeE
; %bb.0:
	s_wait_loadcnt_dscnt 0x0
	s_wait_expcnt 0x0
	s_wait_samplecnt 0x0
	s_wait_bvhcnt 0x0
	s_wait_kmcnt 0x0
	v_sub_nc_u32_e32 v128, v9, v8
	s_mov_b32 s16, exec_lo
	s_delay_alu instid0(VALU_DEP_1)
	v_cmpx_gt_u32_e32 0x801, v128
	s_cbranch_execz .LBB2054_199
; %bb.1:
	v_bfe_u32 v9, v31, 10, 10
	v_bfe_u32 v14, v31, 20, 10
	v_and_b32_e32 v30, 0x3ff, v31
	v_mbcnt_lo_u32_b32 v66, -1, 0
	s_mov_b32 s0, exec_lo
	v_cmpx_lt_u32_e32 0x400, v128
	s_wait_alu 0xfffe
	s_xor_b32 s17, exec_lo, s0
	s_cbranch_execz .LBB2054_79
; %bb.2:
	s_load_b64 s[0:1], s[8:9], 0x0
	s_and_b32 s2, ttmp7, 0xffff
	s_mov_b32 s3, 0
	v_dual_mov_b32 v16, 0x7fff :: v_dual_lshlrev_b32 v17, 1, v66
	s_wait_kmcnt 0x0
	s_wait_alu 0xfffe
	s_cmp_lt_u32 s2, s1
	s_cselect_b32 s2, 14, 20
	s_cmp_lt_u32 ttmp9, s0
	s_wait_alu 0xfffe
	s_add_nc_u64 s[4:5], s[8:9], s[2:3]
	s_cselect_b32 s2, 12, 18
	s_load_u16 s4, s[4:5], 0x0
	s_add_nc_u64 s[0:1], s[8:9], s[2:3]
	s_load_u16 s0, s[0:1], 0x0
	s_wait_kmcnt 0x0
	v_mad_u32_u24 v9, v14, s4, v9
	s_delay_alu instid0(VALU_DEP_1) | instskip(NEXT) | instid1(VALU_DEP_1)
	v_mad_co_u64_u32 v[24:25], null, v9, s0, v[30:31]
	v_dual_mov_b32 v9, 0 :: v_dual_lshlrev_b32 v14, 3, v24
	s_delay_alu instid0(VALU_DEP_1) | instskip(NEXT) | instid1(VALU_DEP_2)
	v_lshlrev_b64_e32 v[26:27], 1, v[8:9]
	v_dual_mov_b32 v15, v9 :: v_dual_and_b32 v14, 0xffffff00, v14
	s_delay_alu instid0(VALU_DEP_2) | instskip(SKIP_1) | instid1(VALU_DEP_3)
	v_add_co_u32 v18, vcc_lo, v0, v26
	s_wait_alu 0xfffd
	v_add_co_ci_u32_e64 v19, null, v1, v27, vcc_lo
	s_delay_alu instid0(VALU_DEP_3) | instskip(NEXT) | instid1(VALU_DEP_3)
	v_lshlrev_b64_e32 v[0:1], 1, v[14:15]
	v_add_co_u32 v17, vcc_lo, v18, v17
	v_or_b32_e32 v25, v14, v66
	s_wait_alu 0xfffd
	v_add_co_ci_u32_e64 v18, null, 0, v19, vcc_lo
	s_delay_alu instid0(VALU_DEP_3) | instskip(NEXT) | instid1(VALU_DEP_3)
	v_add_co_u32 v0, s0, v17, v0
	v_cmp_lt_u32_e32 vcc_lo, v25, v128
	s_wait_alu 0xf1ff
	s_delay_alu instid0(VALU_DEP_3)
	v_add_co_ci_u32_e64 v1, null, v18, v1, s0
	v_mov_b32_e32 v17, 0x7fff
	s_and_saveexec_b32 s0, vcc_lo
	s_cbranch_execz .LBB2054_4
; %bb.3:
	flat_load_u16 v17, v[0:1]
.LBB2054_4:
	s_wait_alu 0xfffe
	s_or_b32 exec_lo, exec_lo, s0
	v_or_b32_e32 v18, 32, v25
	s_delay_alu instid0(VALU_DEP_1)
	v_cmp_lt_u32_e64 s0, v18, v128
	s_and_saveexec_b32 s1, s0
	s_cbranch_execz .LBB2054_6
; %bb.5:
	flat_load_u16 v16, v[0:1] offset:64
.LBB2054_6:
	s_wait_alu 0xfffe
	s_or_b32 exec_lo, exec_lo, s1
	v_or_b32_e32 v19, 64, v25
	v_mov_b32_e32 v18, 0x7fff
	s_delay_alu instid0(VALU_DEP_2)
	v_cmp_lt_u32_e64 s1, v19, v128
	v_mov_b32_e32 v19, 0x7fff
	s_and_saveexec_b32 s2, s1
	s_cbranch_execz .LBB2054_8
; %bb.7:
	flat_load_u16 v19, v[0:1] offset:128
.LBB2054_8:
	s_wait_alu 0xfffe
	s_or_b32 exec_lo, exec_lo, s2
	v_or_b32_e32 v20, 0x60, v25
	s_delay_alu instid0(VALU_DEP_1)
	v_cmp_lt_u32_e64 s2, v20, v128
	s_and_saveexec_b32 s3, s2
	s_cbranch_execz .LBB2054_10
; %bb.9:
	flat_load_u16 v18, v[0:1] offset:192
.LBB2054_10:
	s_wait_alu 0xfffe
	s_or_b32 exec_lo, exec_lo, s3
	v_or_b32_e32 v21, 0x80, v25
	v_mov_b32_e32 v20, 0x7fff
	s_delay_alu instid0(VALU_DEP_2)
	v_cmp_lt_u32_e64 s3, v21, v128
	v_mov_b32_e32 v21, 0x7fff
	s_and_saveexec_b32 s4, s3
	s_cbranch_execz .LBB2054_12
; %bb.11:
	flat_load_u16 v21, v[0:1] offset:256
.LBB2054_12:
	;; [unrolled: 22-line block ×3, first 2 shown]
	s_wait_alu 0xfffe
	s_or_b32 exec_lo, exec_lo, s6
	v_or_b32_e32 v25, 0xe0, v25
	s_delay_alu instid0(VALU_DEP_1)
	v_cmp_lt_u32_e64 s6, v25, v128
	s_and_saveexec_b32 s7, s6
	s_cbranch_execz .LBB2054_18
; %bb.17:
	flat_load_u16 v22, v[0:1] offset:448
.LBB2054_18:
	s_wait_alu 0xfffe
	s_or_b32 exec_lo, exec_lo, s7
	v_lshlrev_b64_e32 v[0:1], 3, v[8:9]
	v_lshlrev_b32_e32 v8, 3, v66
                                        ; implicit-def: $vgpr33_vgpr34
	s_delay_alu instid0(VALU_DEP_2) | instskip(SKIP_1) | instid1(VALU_DEP_3)
	v_add_co_u32 v9, s7, v4, v0
	s_wait_alu 0xf1ff
	v_add_co_ci_u32_e64 v25, null, v5, v1, s7
	v_lshlrev_b64_e32 v[4:5], 3, v[14:15]
	s_delay_alu instid0(VALU_DEP_3) | instskip(SKIP_1) | instid1(VALU_DEP_3)
	v_add_co_u32 v8, s7, v9, v8
	s_wait_alu 0xf1ff
	v_add_co_ci_u32_e64 v9, null, 0, v25, s7
	s_delay_alu instid0(VALU_DEP_2) | instskip(SKIP_1) | instid1(VALU_DEP_2)
	v_add_co_u32 v4, s7, v8, v4
	s_wait_alu 0xf1ff
	v_add_co_ci_u32_e64 v5, null, v9, v5, s7
	s_and_saveexec_b32 s7, vcc_lo
	s_cbranch_execnz .LBB2054_112
; %bb.19:
	s_wait_alu 0xfffe
	s_or_b32 exec_lo, exec_lo, s7
                                        ; implicit-def: $vgpr35_vgpr36
	s_and_saveexec_b32 s7, s0
	s_cbranch_execnz .LBB2054_113
.LBB2054_20:
	s_wait_alu 0xfffe
	s_or_b32 exec_lo, exec_lo, s7
                                        ; implicit-def: $vgpr37_vgpr38
	s_and_saveexec_b32 s0, s1
	s_cbranch_execnz .LBB2054_114
.LBB2054_21:
	s_wait_alu 0xfffe
	s_or_b32 exec_lo, exec_lo, s0
                                        ; implicit-def: $vgpr48_vgpr49
	s_and_saveexec_b32 s0, s2
	s_cbranch_execnz .LBB2054_115
.LBB2054_22:
	s_wait_alu 0xfffe
	s_or_b32 exec_lo, exec_lo, s0
                                        ; implicit-def: $vgpr50_vgpr51
	s_and_saveexec_b32 s0, s3
	s_cbranch_execnz .LBB2054_116
.LBB2054_23:
	s_wait_alu 0xfffe
	s_or_b32 exec_lo, exec_lo, s0
                                        ; implicit-def: $vgpr52_vgpr53
	s_and_saveexec_b32 s0, s4
	s_cbranch_execnz .LBB2054_117
.LBB2054_24:
	s_wait_alu 0xfffe
	s_or_b32 exec_lo, exec_lo, s0
                                        ; implicit-def: $vgpr54_vgpr55
	s_and_saveexec_b32 s0, s5
	s_cbranch_execnz .LBB2054_118
.LBB2054_25:
	s_wait_alu 0xfffe
	s_or_b32 exec_lo, exec_lo, s0
                                        ; implicit-def: $vgpr64_vgpr65
	s_and_saveexec_b32 s0, s6
	s_cbranch_execz .LBB2054_27
.LBB2054_26:
	flat_load_b64 v[64:65], v[4:5] offset:1792
.LBB2054_27:
	s_wait_alu 0xfffe
	s_or_b32 exec_lo, exec_lo, s0
	s_wait_loadcnt_dscnt 0x0
	v_cmp_lt_i16_e32 vcc_lo, -1, v17
	s_getpc_b64 s[0:1]
	s_wait_alu 0xfffe
	s_sext_i32_i16 s1, s1
	s_add_co_u32 s0, s0, _ZN7rocprim17ROCPRIM_400000_NS16block_radix_sortI12hip_bfloat16Lj256ELj8ElLj1ELj1ELj8ELNS0_26block_radix_rank_algorithmE2ELNS0_18block_padding_hintE2ELNS0_4arch9wavefront6targetE0EE19radix_bits_per_passE@rel32@lo+12
	s_wait_alu 0xfffe
	s_add_co_ci_u32 s1, s1, _ZN7rocprim17ROCPRIM_400000_NS16block_radix_sortI12hip_bfloat16Lj256ELj8ElLj1ELj1ELj8ELNS0_26block_radix_rank_algorithmE2ELNS0_18block_padding_hintE2ELNS0_4arch9wavefront6targetE0EE19radix_bits_per_passE@rel32@hi+24
	v_lshrrev_b32_e32 v135, 5, v24
	s_load_b32 s18, s[0:1], 0x0
	v_cmp_gt_u32_e64 s6, 8, v30
	v_cndmask_b32_e64 v4, -1, 0xffff8000, vcc_lo
	v_cmp_lt_i16_e32 vcc_lo, -1, v16
	v_cmp_lt_u32_e64 s7, 31, v30
	v_cmp_eq_u32_e64 s10, 0, v30
	v_lshl_add_u32 v146, v30, 2, v12
	v_xor_b32_e32 v197, v4, v17
	s_wait_alu 0xfffd
	v_cndmask_b32_e64 v5, -1, 0xffff8000, vcc_lo
	v_cmp_lt_i16_e32 vcc_lo, -1, v19
	v_sub_nc_u32_e32 v180, v11, v10
	s_mov_b32 s19, 0
	s_wait_storecnt 0x0
	v_xor_b32_e32 v69, v5, v16
	s_wait_alu 0xfffd
	v_cndmask_b32_e64 v8, -1, 0xffff8000, vcc_lo
	v_cmp_lt_i16_e32 vcc_lo, -1, v18
	s_barrier_signal -1
	s_barrier_wait -1
	global_inv scope:SCOPE_SE
	v_xor_b32_e32 v71, v8, v19
	s_wait_alu 0xfffd
	v_cndmask_b32_e64 v9, -1, 0xffff8000, vcc_lo
	v_cmp_lt_i16_e32 vcc_lo, -1, v21
	s_delay_alu instid0(VALU_DEP_2) | instskip(SKIP_4) | instid1(VALU_DEP_3)
	v_xor_b32_e32 v81, v9, v18
	s_wait_alu 0xfffd
	v_cndmask_b32_e64 v14, -1, 0xffff8000, vcc_lo
	v_cmp_lt_i16_e32 vcc_lo, -1, v20
	v_and_b32_e32 v9, 16, v66
	v_xor_b32_e32 v83, v14, v21
	s_wait_alu 0xfffd
	v_cndmask_b32_e64 v4, -1, 0xffff8000, vcc_lo
	v_cmp_lt_i16_e32 vcc_lo, -1, v23
	v_sub_co_u32 v14, s2, v66, 1
	v_cmp_eq_u32_e64 s4, 0, v9
	s_delay_alu instid0(VALU_DEP_4)
	v_xor_b32_e32 v85, v4, v20
	s_wait_alu 0xfffd
	v_cndmask_b32_e64 v5, -1, 0xffff8000, vcc_lo
	v_cmp_lt_i16_e32 vcc_lo, -1, v22
	v_lshl_add_u32 v4, v30, 5, v12
	v_cmp_gt_i32_e64 s5, 0, v14
	s_delay_alu instid0(VALU_DEP_4)
	v_xor_b32_e32 v87, v5, v23
	s_wait_alu 0xfffd
	v_cndmask_b32_e64 v8, -1, 0xffff8000, vcc_lo
	v_add_nc_u32_e32 v25, 32, v4
	v_add_nc_u32_e32 v39, 36, v4
	;; [unrolled: 1-line block ×8, first 2 shown]
	v_and_b32_e32 v4, 0x3e0, v30
	v_xor_b32_e32 v67, v8, v22
	v_and_b32_e32 v8, 15, v66
	v_lshlrev_b32_e32 v5, 3, v30
	s_wait_alu 0xf1ff
	v_cndmask_b32_e64 v9, v14, v66, s5
	v_min_u32_e32 v4, 0xe0, v4
	v_cmp_eq_u32_e32 vcc_lo, 0, v8
	v_cmp_lt_u32_e64 s0, 1, v8
	v_cmp_lt_u32_e64 s1, 3, v8
	;; [unrolled: 1-line block ×3, first 2 shown]
	v_or_b32_e32 v4, 31, v4
	v_lshrrev_b32_e32 v8, 3, v30
	v_lshlrev_b32_e32 v144, 2, v9
	v_and_or_b32 v9, 0x1f00, v5, v66
	v_mov_b32_e32 v5, 0
	v_cmp_eq_u32_e64 s5, v30, v4
	v_and_b32_e32 v4, 0x7c, v8
	v_and_b32_e32 v8, 7, v66
	v_lshl_add_u32 v147, v9, 1, v12
	s_delay_alu instid0(VALU_DEP_3) | instskip(SKIP_1) | instid1(VALU_DEP_4)
	v_add_nc_u32_e32 v145, v12, v4
	v_mul_u32_u24_e32 v4, 6, v9
	v_cmp_eq_u32_e64 s11, 0, v8
	v_cmp_lt_u32_e64 s12, 1, v8
	v_cmp_lt_u32_e64 s13, 3, v8
	v_add_nc_u32_e32 v148, -4, v145
	v_add_nc_u32_e32 v160, v147, v4
	v_add_nc_u32_e32 v149, 64, v147
	;; [unrolled: 1-line block ×15, first 2 shown]
	s_branch .LBB2054_29
.LBB2054_28:                            ;   in Loop: Header=BB2054_29 Depth=1
	s_wait_alu 0xfffe
	s_or_b32 exec_lo, exec_lo, s15
	s_delay_alu instid0(SALU_CYCLE_1)
	s_and_b32 s14, exec_lo, s20
	s_wait_alu 0xfffe
	s_or_b32 s19, s14, s19
	s_wait_alu 0xfffe
	s_and_not1_b32 exec_lo, exec_lo, s19
	s_cbranch_execz .LBB2054_53
.LBB2054_29:                            ; =>This Inner Loop Header: Depth=1
	v_mov_b32_e32 v181, v197
	v_dual_mov_b32 v31, v33 :: v_dual_mov_b32 v22, v35
	v_mov_b32_e32 v32, v34
	s_wait_kmcnt 0x0
	v_min_u32_e32 v4, s18, v180
	v_cmp_ne_u16_e64 s14, 0x7fff, v181
	v_dual_mov_b32 v23, v36 :: v_dual_mov_b32 v20, v37
	v_dual_mov_b32 v14, v50 :: v_dual_mov_b32 v15, v51
	s_wait_alu 0xf1ff
	s_delay_alu instid0(VALU_DEP_3) | instskip(SKIP_3) | instid1(VALU_DEP_4)
	v_cndmask_b32_e64 v8, 0xffff8000, v181, s14
	v_mov_b32_e32 v21, v38
	v_lshlrev_b32_e64 v4, v4, -1
	v_dual_mov_b32 v28, v48 :: v_dual_mov_b32 v29, v49
	v_and_b32_e32 v16, 0xffff, v8
	v_dual_mov_b32 v8, v52 :: v_dual_mov_b32 v9, v53
	s_delay_alu instid0(VALU_DEP_4) | instskip(SKIP_1) | instid1(VALU_DEP_4)
	v_not_b32_e32 v36, v4
	v_dual_mov_b32 v18, v54 :: v_dual_mov_b32 v19, v55
	v_lshrrev_b32_e32 v4, v10, v16
	v_dual_mov_b32 v16, v64 :: v_dual_mov_b32 v17, v65
	v_dual_mov_b32 v183, v69 :: v_dual_mov_b32 v182, v71
	s_delay_alu instid0(VALU_DEP_3) | instskip(SKIP_2) | instid1(VALU_DEP_3)
	v_dual_mov_b32 v195, v81 :: v_dual_and_b32 v4, v4, v36
	v_mov_b32_e32 v192, v87
	v_dual_mov_b32 v194, v83 :: v_dual_mov_b32 v193, v85
	v_and_b32_e32 v33, 1, v4
	v_lshlrev_b32_e32 v34, 30, v4
	v_dual_mov_b32 v196, v67 :: v_dual_lshlrev_b32 v35, 29, v4
	v_lshlrev_b32_e32 v37, 28, v4
	s_delay_alu instid0(VALU_DEP_4)
	v_add_co_u32 v33, s14, v33, -1
	s_wait_alu 0xf1ff
	v_cndmask_b32_e64 v38, 0, 1, s14
	v_not_b32_e32 v51, v34
	v_cmp_gt_i32_e64 s15, 0, v34
	v_not_b32_e32 v34, v35
	v_lshlrev_b32_e32 v48, 27, v4
	v_cmp_ne_u32_e64 s14, 0, v38
	v_ashrrev_i32_e32 v51, 31, v51
	v_lshlrev_b32_e32 v49, 26, v4
	v_ashrrev_i32_e32 v34, 31, v34
	v_lshlrev_b32_e32 v50, 25, v4
	s_wait_alu 0xf1ff
	v_xor_b32_e32 v33, s14, v33
	v_cmp_gt_i32_e64 s14, 0, v35
	v_not_b32_e32 v35, v37
	v_xor_b32_e32 v51, s15, v51
	v_cmp_gt_i32_e64 s15, 0, v37
	v_and_b32_e32 v33, exec_lo, v33
	v_not_b32_e32 v37, v48
	v_ashrrev_i32_e32 v35, 31, v35
	s_wait_alu 0xf1ff
	v_xor_b32_e32 v34, s14, v34
	v_cmp_gt_i32_e64 s14, 0, v48
	v_and_b32_e32 v33, v33, v51
	v_not_b32_e32 v48, v49
	v_ashrrev_i32_e32 v37, 31, v37
	v_xor_b32_e32 v35, s15, v35
	v_lshlrev_b32_e32 v38, 24, v4
	v_and_b32_e32 v33, v33, v34
	v_cmp_gt_i32_e64 s15, 0, v49
	v_not_b32_e32 v34, v50
	v_ashrrev_i32_e32 v48, 31, v48
	s_wait_alu 0xf1ff
	v_xor_b32_e32 v37, s14, v37
	v_and_b32_e32 v33, v33, v35
	v_cmp_gt_i32_e64 s14, 0, v50
	v_not_b32_e32 v35, v38
	v_ashrrev_i32_e32 v34, 31, v34
	v_xor_b32_e32 v48, s15, v48
	v_and_b32_e32 v33, v33, v37
	v_cmp_gt_i32_e64 s15, 0, v38
	v_ashrrev_i32_e32 v35, 31, v35
	s_wait_alu 0xf1ff
	v_xor_b32_e32 v34, s14, v34
	v_lshlrev_b32_e32 v4, 3, v4
	v_and_b32_e32 v33, v33, v48
	ds_store_b32 v25, v5
	ds_store_b32 v39, v5
	;; [unrolled: 1-line block ×3, first 2 shown]
	v_xor_b32_e32 v35, s15, v35
	ds_store_b32 v130, v5
	ds_store_b32 v131, v5
	;; [unrolled: 1-line block ×3, first 2 shown]
	v_and_b32_e32 v33, v33, v34
	ds_store_b32 v133, v5
	ds_store_b32 v134, v5
	s_wait_loadcnt_dscnt 0x0
	s_barrier_signal -1
	s_barrier_wait -1
	v_and_b32_e32 v34, v33, v35
	v_add_lshl_u32 v33, v4, v135, 2
	global_inv scope:SCOPE_SE
	; wave barrier
	v_mbcnt_lo_u32_b32 v4, v34, 0
	v_add_co_u32 v33, null, v12, v33
	v_cmp_ne_u32_e64 s15, 0, v34
	s_delay_alu instid0(VALU_DEP_3) | instskip(NEXT) | instid1(VALU_DEP_3)
	v_cmp_eq_u32_e64 s14, 0, v4
	v_add_co_u32 v33, null, v33, 32
	s_and_b32 s15, s15, s14
	s_wait_alu 0xfffe
	s_and_saveexec_b32 s14, s15
; %bb.30:                               ;   in Loop: Header=BB2054_29 Depth=1
	v_bcnt_u32_b32 v34, v34, 0
	ds_store_b32 v33, v34
; %bb.31:                               ;   in Loop: Header=BB2054_29 Depth=1
	s_wait_alu 0xfffe
	s_or_b32 exec_lo, exec_lo, s14
	v_cmp_ne_u16_e64 s14, 0x7fff, v183
	; wave barrier
	s_wait_alu 0xf1ff
	s_delay_alu instid0(VALU_DEP_1) | instskip(NEXT) | instid1(VALU_DEP_1)
	v_cndmask_b32_e64 v34, 0xffff8000, v183, s14
	v_and_b32_e32 v34, 0xffff, v34
	s_delay_alu instid0(VALU_DEP_1) | instskip(NEXT) | instid1(VALU_DEP_1)
	v_lshrrev_b32_e32 v34, v10, v34
	v_and_b32_e32 v34, v34, v36
	s_delay_alu instid0(VALU_DEP_1)
	v_and_b32_e32 v35, 1, v34
	v_lshlrev_b32_e32 v37, 30, v34
	v_lshlrev_b32_e32 v38, 29, v34
	;; [unrolled: 1-line block ×4, first 2 shown]
	v_add_co_u32 v35, s14, v35, -1
	s_wait_alu 0xf1ff
	v_cndmask_b32_e64 v49, 0, 1, s14
	v_not_b32_e32 v53, v37
	v_cmp_gt_i32_e64 s15, 0, v37
	v_not_b32_e32 v37, v38
	v_lshlrev_b32_e32 v51, 26, v34
	v_cmp_ne_u32_e64 s14, 0, v49
	v_ashrrev_i32_e32 v53, 31, v53
	v_lshlrev_b32_e32 v52, 25, v34
	v_ashrrev_i32_e32 v37, 31, v37
	v_lshlrev_b32_e32 v49, 24, v34
	s_wait_alu 0xf1ff
	v_xor_b32_e32 v35, s14, v35
	v_cmp_gt_i32_e64 s14, 0, v38
	v_not_b32_e32 v38, v48
	v_xor_b32_e32 v53, s15, v53
	v_cmp_gt_i32_e64 s15, 0, v48
	v_and_b32_e32 v35, exec_lo, v35
	v_not_b32_e32 v48, v50
	v_ashrrev_i32_e32 v38, 31, v38
	s_wait_alu 0xf1ff
	v_xor_b32_e32 v37, s14, v37
	v_cmp_gt_i32_e64 s14, 0, v50
	v_and_b32_e32 v35, v35, v53
	v_not_b32_e32 v50, v51
	v_ashrrev_i32_e32 v48, 31, v48
	v_xor_b32_e32 v38, s15, v38
	v_cmp_gt_i32_e64 s15, 0, v51
	v_and_b32_e32 v35, v35, v37
	v_not_b32_e32 v37, v52
	v_ashrrev_i32_e32 v50, 31, v50
	s_wait_alu 0xf1ff
	v_xor_b32_e32 v48, s14, v48
	v_cmp_gt_i32_e64 s14, 0, v52
	v_and_b32_e32 v35, v35, v38
	v_not_b32_e32 v38, v49
	v_ashrrev_i32_e32 v37, 31, v37
	v_xor_b32_e32 v50, s15, v50
	v_lshl_add_u32 v34, v34, 3, v135
	v_and_b32_e32 v35, v35, v48
	v_cmp_gt_i32_e64 s15, 0, v49
	v_ashrrev_i32_e32 v38, 31, v38
	s_wait_alu 0xf1ff
	v_xor_b32_e32 v37, s14, v37
	v_lshl_add_u32 v48, v34, 2, v12
	v_and_b32_e32 v35, v35, v50
	v_xor_b32_e32 v38, s15, v38
	ds_load_b32 v34, v48 offset:32
	v_and_b32_e32 v35, v35, v37
	v_add_nc_u32_e32 v37, 32, v48
	; wave barrier
	s_delay_alu instid0(VALU_DEP_2) | instskip(NEXT) | instid1(VALU_DEP_1)
	v_and_b32_e32 v38, v35, v38
	v_mbcnt_lo_u32_b32 v35, v38, 0
	v_cmp_ne_u32_e64 s15, 0, v38
	s_delay_alu instid0(VALU_DEP_2)
	v_cmp_eq_u32_e64 s14, 0, v35
	s_and_b32 s15, s15, s14
	s_wait_alu 0xfffe
	s_and_saveexec_b32 s14, s15
	s_cbranch_execz .LBB2054_33
; %bb.32:                               ;   in Loop: Header=BB2054_29 Depth=1
	s_wait_dscnt 0x0
	v_bcnt_u32_b32 v38, v38, v34
	ds_store_b32 v37, v38
.LBB2054_33:                            ;   in Loop: Header=BB2054_29 Depth=1
	s_wait_alu 0xfffe
	s_or_b32 exec_lo, exec_lo, s14
	v_cmp_ne_u16_e64 s14, 0x7fff, v182
	; wave barrier
	s_wait_alu 0xf1ff
	s_delay_alu instid0(VALU_DEP_1) | instskip(NEXT) | instid1(VALU_DEP_1)
	v_cndmask_b32_e64 v38, 0xffff8000, v182, s14
	v_and_b32_e32 v38, 0xffff, v38
	s_delay_alu instid0(VALU_DEP_1) | instskip(NEXT) | instid1(VALU_DEP_1)
	v_lshrrev_b32_e32 v38, v10, v38
	v_and_b32_e32 v38, v38, v36
	s_delay_alu instid0(VALU_DEP_1)
	v_and_b32_e32 v48, 1, v38
	v_lshlrev_b32_e32 v49, 30, v38
	v_lshlrev_b32_e32 v50, 29, v38
	;; [unrolled: 1-line block ×4, first 2 shown]
	v_add_co_u32 v48, s14, v48, -1
	s_wait_alu 0xf1ff
	v_cndmask_b32_e64 v52, 0, 1, s14
	v_not_b32_e32 v64, v49
	v_cmp_gt_i32_e64 s15, 0, v49
	v_not_b32_e32 v49, v50
	v_lshlrev_b32_e32 v54, 26, v38
	v_cmp_ne_u32_e64 s14, 0, v52
	v_ashrrev_i32_e32 v64, 31, v64
	v_lshlrev_b32_e32 v55, 25, v38
	v_ashrrev_i32_e32 v49, 31, v49
	v_lshlrev_b32_e32 v52, 24, v38
	s_wait_alu 0xf1ff
	v_xor_b32_e32 v48, s14, v48
	v_cmp_gt_i32_e64 s14, 0, v50
	v_not_b32_e32 v50, v51
	v_xor_b32_e32 v64, s15, v64
	v_cmp_gt_i32_e64 s15, 0, v51
	v_and_b32_e32 v48, exec_lo, v48
	v_not_b32_e32 v51, v53
	v_ashrrev_i32_e32 v50, 31, v50
	s_wait_alu 0xf1ff
	v_xor_b32_e32 v49, s14, v49
	v_cmp_gt_i32_e64 s14, 0, v53
	v_and_b32_e32 v48, v48, v64
	v_not_b32_e32 v53, v54
	v_ashrrev_i32_e32 v51, 31, v51
	v_xor_b32_e32 v50, s15, v50
	v_cmp_gt_i32_e64 s15, 0, v54
	v_and_b32_e32 v48, v48, v49
	v_not_b32_e32 v49, v55
	v_ashrrev_i32_e32 v53, 31, v53
	s_wait_alu 0xf1ff
	v_xor_b32_e32 v51, s14, v51
	v_cmp_gt_i32_e64 s14, 0, v55
	v_and_b32_e32 v48, v48, v50
	v_not_b32_e32 v50, v52
	v_ashrrev_i32_e32 v49, 31, v49
	v_xor_b32_e32 v53, s15, v53
	v_lshl_add_u32 v38, v38, 3, v135
	v_and_b32_e32 v48, v48, v51
	v_cmp_gt_i32_e64 s15, 0, v52
	v_ashrrev_i32_e32 v50, 31, v50
	s_wait_alu 0xf1ff
	v_xor_b32_e32 v49, s14, v49
	v_lshl_add_u32 v51, v38, 2, v12
	v_and_b32_e32 v48, v48, v53
	v_xor_b32_e32 v50, s15, v50
	ds_load_b32 v38, v51 offset:32
	v_and_b32_e32 v48, v48, v49
	v_add_nc_u32_e32 v49, 32, v51
	; wave barrier
	s_delay_alu instid0(VALU_DEP_2) | instskip(NEXT) | instid1(VALU_DEP_1)
	v_and_b32_e32 v50, v48, v50
	v_mbcnt_lo_u32_b32 v48, v50, 0
	v_cmp_ne_u32_e64 s15, 0, v50
	s_delay_alu instid0(VALU_DEP_2)
	v_cmp_eq_u32_e64 s14, 0, v48
	s_and_b32 s15, s15, s14
	s_wait_alu 0xfffe
	s_and_saveexec_b32 s14, s15
	s_cbranch_execz .LBB2054_35
; %bb.34:                               ;   in Loop: Header=BB2054_29 Depth=1
	s_wait_dscnt 0x0
	v_bcnt_u32_b32 v50, v50, v38
	ds_store_b32 v49, v50
.LBB2054_35:                            ;   in Loop: Header=BB2054_29 Depth=1
	s_wait_alu 0xfffe
	s_or_b32 exec_lo, exec_lo, s14
	v_cmp_ne_u16_e64 s14, 0x7fff, v195
	; wave barrier
	s_wait_alu 0xf1ff
	s_delay_alu instid0(VALU_DEP_1) | instskip(NEXT) | instid1(VALU_DEP_1)
	v_cndmask_b32_e64 v50, 0xffff8000, v195, s14
	v_and_b32_e32 v50, 0xffff, v50
	s_delay_alu instid0(VALU_DEP_1) | instskip(NEXT) | instid1(VALU_DEP_1)
	v_lshrrev_b32_e32 v50, v10, v50
	v_and_b32_e32 v50, v50, v36
	s_delay_alu instid0(VALU_DEP_1)
	v_and_b32_e32 v51, 1, v50
	v_lshlrev_b32_e32 v52, 30, v50
	v_lshlrev_b32_e32 v53, 29, v50
	;; [unrolled: 1-line block ×4, first 2 shown]
	v_add_co_u32 v51, s14, v51, -1
	s_wait_alu 0xf1ff
	v_cndmask_b32_e64 v55, 0, 1, s14
	v_not_b32_e32 v67, v52
	v_cmp_gt_i32_e64 s15, 0, v52
	v_not_b32_e32 v52, v53
	v_lshlrev_b32_e32 v65, 26, v50
	v_cmp_ne_u32_e64 s14, 0, v55
	v_ashrrev_i32_e32 v67, 31, v67
	v_lshlrev_b32_e32 v66, 25, v50
	v_ashrrev_i32_e32 v52, 31, v52
	v_lshlrev_b32_e32 v55, 24, v50
	s_wait_alu 0xf1ff
	v_xor_b32_e32 v51, s14, v51
	v_cmp_gt_i32_e64 s14, 0, v53
	v_not_b32_e32 v53, v54
	v_xor_b32_e32 v67, s15, v67
	v_cmp_gt_i32_e64 s15, 0, v54
	v_and_b32_e32 v51, exec_lo, v51
	v_not_b32_e32 v54, v64
	v_ashrrev_i32_e32 v53, 31, v53
	s_wait_alu 0xf1ff
	v_xor_b32_e32 v52, s14, v52
	v_cmp_gt_i32_e64 s14, 0, v64
	v_and_b32_e32 v51, v51, v67
	v_not_b32_e32 v64, v65
	v_ashrrev_i32_e32 v54, 31, v54
	v_xor_b32_e32 v53, s15, v53
	v_cmp_gt_i32_e64 s15, 0, v65
	v_and_b32_e32 v51, v51, v52
	v_not_b32_e32 v52, v66
	v_ashrrev_i32_e32 v64, 31, v64
	s_wait_alu 0xf1ff
	v_xor_b32_e32 v54, s14, v54
	v_cmp_gt_i32_e64 s14, 0, v66
	v_and_b32_e32 v51, v51, v53
	v_not_b32_e32 v53, v55
	v_ashrrev_i32_e32 v52, 31, v52
	v_xor_b32_e32 v64, s15, v64
	v_lshl_add_u32 v50, v50, 3, v135
	v_and_b32_e32 v51, v51, v54
	v_cmp_gt_i32_e64 s15, 0, v55
	v_ashrrev_i32_e32 v53, 31, v53
	s_wait_alu 0xf1ff
	v_xor_b32_e32 v52, s14, v52
	v_lshl_add_u32 v54, v50, 2, v12
	v_and_b32_e32 v51, v51, v64
	v_xor_b32_e32 v53, s15, v53
	ds_load_b32 v50, v54 offset:32
	v_and_b32_e32 v51, v51, v52
	v_add_nc_u32_e32 v52, 32, v54
	; wave barrier
	s_delay_alu instid0(VALU_DEP_2) | instskip(NEXT) | instid1(VALU_DEP_1)
	v_and_b32_e32 v53, v51, v53
	v_mbcnt_lo_u32_b32 v51, v53, 0
	v_cmp_ne_u32_e64 s15, 0, v53
	s_delay_alu instid0(VALU_DEP_2)
	v_cmp_eq_u32_e64 s14, 0, v51
	s_and_b32 s15, s15, s14
	s_wait_alu 0xfffe
	s_and_saveexec_b32 s14, s15
	s_cbranch_execz .LBB2054_37
; %bb.36:                               ;   in Loop: Header=BB2054_29 Depth=1
	s_wait_dscnt 0x0
	v_bcnt_u32_b32 v53, v53, v50
	ds_store_b32 v52, v53
.LBB2054_37:                            ;   in Loop: Header=BB2054_29 Depth=1
	s_wait_alu 0xfffe
	s_or_b32 exec_lo, exec_lo, s14
	v_cmp_ne_u16_e64 s14, 0x7fff, v194
	; wave barrier
	s_wait_alu 0xf1ff
	s_delay_alu instid0(VALU_DEP_1) | instskip(NEXT) | instid1(VALU_DEP_1)
	v_cndmask_b32_e64 v53, 0xffff8000, v194, s14
	v_and_b32_e32 v53, 0xffff, v53
	s_delay_alu instid0(VALU_DEP_1) | instskip(NEXT) | instid1(VALU_DEP_1)
	v_lshrrev_b32_e32 v53, v10, v53
	v_and_b32_e32 v53, v53, v36
	s_delay_alu instid0(VALU_DEP_1)
	v_and_b32_e32 v54, 1, v53
	v_lshlrev_b32_e32 v55, 30, v53
	v_lshlrev_b32_e32 v64, 29, v53
	;; [unrolled: 1-line block ×4, first 2 shown]
	v_add_co_u32 v54, s14, v54, -1
	s_wait_alu 0xf1ff
	v_cndmask_b32_e64 v66, 0, 1, s14
	v_not_b32_e32 v70, v55
	v_cmp_gt_i32_e64 s15, 0, v55
	v_not_b32_e32 v55, v64
	v_lshlrev_b32_e32 v68, 26, v53
	v_cmp_ne_u32_e64 s14, 0, v66
	v_ashrrev_i32_e32 v70, 31, v70
	v_lshlrev_b32_e32 v69, 25, v53
	v_ashrrev_i32_e32 v55, 31, v55
	v_lshlrev_b32_e32 v66, 24, v53
	s_wait_alu 0xf1ff
	v_xor_b32_e32 v54, s14, v54
	v_cmp_gt_i32_e64 s14, 0, v64
	v_not_b32_e32 v64, v65
	v_xor_b32_e32 v70, s15, v70
	v_cmp_gt_i32_e64 s15, 0, v65
	v_and_b32_e32 v54, exec_lo, v54
	v_not_b32_e32 v65, v67
	v_ashrrev_i32_e32 v64, 31, v64
	s_wait_alu 0xf1ff
	v_xor_b32_e32 v55, s14, v55
	v_cmp_gt_i32_e64 s14, 0, v67
	v_and_b32_e32 v54, v54, v70
	v_not_b32_e32 v67, v68
	v_ashrrev_i32_e32 v65, 31, v65
	v_xor_b32_e32 v64, s15, v64
	v_cmp_gt_i32_e64 s15, 0, v68
	v_and_b32_e32 v54, v54, v55
	v_not_b32_e32 v55, v69
	v_ashrrev_i32_e32 v67, 31, v67
	s_wait_alu 0xf1ff
	v_xor_b32_e32 v65, s14, v65
	v_cmp_gt_i32_e64 s14, 0, v69
	v_and_b32_e32 v54, v54, v64
	v_not_b32_e32 v64, v66
	v_ashrrev_i32_e32 v55, 31, v55
	v_xor_b32_e32 v67, s15, v67
	v_lshl_add_u32 v53, v53, 3, v135
	v_and_b32_e32 v54, v54, v65
	v_cmp_gt_i32_e64 s15, 0, v66
	v_ashrrev_i32_e32 v64, 31, v64
	s_wait_alu 0xf1ff
	v_xor_b32_e32 v55, s14, v55
	v_lshl_add_u32 v65, v53, 2, v12
	v_and_b32_e32 v54, v54, v67
	v_xor_b32_e32 v64, s15, v64
	ds_load_b32 v53, v65 offset:32
	v_and_b32_e32 v54, v54, v55
	v_add_nc_u32_e32 v55, 32, v65
	; wave barrier
	s_delay_alu instid0(VALU_DEP_2) | instskip(NEXT) | instid1(VALU_DEP_1)
	v_and_b32_e32 v64, v54, v64
	v_mbcnt_lo_u32_b32 v54, v64, 0
	v_cmp_ne_u32_e64 s15, 0, v64
	s_delay_alu instid0(VALU_DEP_2)
	v_cmp_eq_u32_e64 s14, 0, v54
	s_and_b32 s15, s15, s14
	s_wait_alu 0xfffe
	s_and_saveexec_b32 s14, s15
	s_cbranch_execz .LBB2054_39
; %bb.38:                               ;   in Loop: Header=BB2054_29 Depth=1
	s_wait_dscnt 0x0
	v_bcnt_u32_b32 v64, v64, v53
	ds_store_b32 v55, v64
.LBB2054_39:                            ;   in Loop: Header=BB2054_29 Depth=1
	s_wait_alu 0xfffe
	s_or_b32 exec_lo, exec_lo, s14
	v_cmp_ne_u16_e64 s14, 0x7fff, v193
	; wave barrier
	s_wait_alu 0xf1ff
	s_delay_alu instid0(VALU_DEP_1) | instskip(NEXT) | instid1(VALU_DEP_1)
	v_cndmask_b32_e64 v64, 0xffff8000, v193, s14
	v_and_b32_e32 v64, 0xffff, v64
	s_delay_alu instid0(VALU_DEP_1) | instskip(NEXT) | instid1(VALU_DEP_1)
	v_lshrrev_b32_e32 v64, v10, v64
	v_and_b32_e32 v64, v64, v36
	s_delay_alu instid0(VALU_DEP_1)
	v_and_b32_e32 v65, 1, v64
	v_lshlrev_b32_e32 v66, 30, v64
	v_lshlrev_b32_e32 v67, 29, v64
	;; [unrolled: 1-line block ×4, first 2 shown]
	v_add_co_u32 v65, s14, v65, -1
	s_wait_alu 0xf1ff
	v_cndmask_b32_e64 v69, 0, 1, s14
	v_not_b32_e32 v81, v66
	v_cmp_gt_i32_e64 s15, 0, v66
	v_not_b32_e32 v66, v67
	v_lshlrev_b32_e32 v71, 26, v64
	v_cmp_ne_u32_e64 s14, 0, v69
	v_ashrrev_i32_e32 v81, 31, v81
	v_lshlrev_b32_e32 v80, 25, v64
	v_ashrrev_i32_e32 v66, 31, v66
	v_lshlrev_b32_e32 v69, 24, v64
	s_wait_alu 0xf1ff
	v_xor_b32_e32 v65, s14, v65
	v_cmp_gt_i32_e64 s14, 0, v67
	v_not_b32_e32 v67, v68
	v_xor_b32_e32 v81, s15, v81
	v_cmp_gt_i32_e64 s15, 0, v68
	v_and_b32_e32 v65, exec_lo, v65
	v_not_b32_e32 v68, v70
	v_ashrrev_i32_e32 v67, 31, v67
	s_wait_alu 0xf1ff
	v_xor_b32_e32 v66, s14, v66
	v_cmp_gt_i32_e64 s14, 0, v70
	v_and_b32_e32 v65, v65, v81
	v_not_b32_e32 v70, v71
	v_ashrrev_i32_e32 v68, 31, v68
	v_xor_b32_e32 v67, s15, v67
	v_cmp_gt_i32_e64 s15, 0, v71
	v_and_b32_e32 v65, v65, v66
	v_not_b32_e32 v66, v80
	v_ashrrev_i32_e32 v70, 31, v70
	s_wait_alu 0xf1ff
	v_xor_b32_e32 v68, s14, v68
	v_cmp_gt_i32_e64 s14, 0, v80
	v_and_b32_e32 v65, v65, v67
	v_not_b32_e32 v67, v69
	v_ashrrev_i32_e32 v66, 31, v66
	v_xor_b32_e32 v70, s15, v70
	v_lshl_add_u32 v64, v64, 3, v135
	v_and_b32_e32 v65, v65, v68
	v_cmp_gt_i32_e64 s15, 0, v69
	v_ashrrev_i32_e32 v67, 31, v67
	s_wait_alu 0xf1ff
	v_xor_b32_e32 v66, s14, v66
	v_lshl_add_u32 v68, v64, 2, v12
	v_and_b32_e32 v65, v65, v70
	v_xor_b32_e32 v67, s15, v67
	ds_load_b32 v64, v68 offset:32
	v_and_b32_e32 v65, v65, v66
	v_add_nc_u32_e32 v66, 32, v68
	; wave barrier
	s_delay_alu instid0(VALU_DEP_2) | instskip(NEXT) | instid1(VALU_DEP_1)
	v_and_b32_e32 v67, v65, v67
	v_mbcnt_lo_u32_b32 v65, v67, 0
	v_cmp_ne_u32_e64 s15, 0, v67
	s_delay_alu instid0(VALU_DEP_2)
	v_cmp_eq_u32_e64 s14, 0, v65
	s_and_b32 s15, s15, s14
	s_wait_alu 0xfffe
	s_and_saveexec_b32 s14, s15
	s_cbranch_execz .LBB2054_41
; %bb.40:                               ;   in Loop: Header=BB2054_29 Depth=1
	s_wait_dscnt 0x0
	v_bcnt_u32_b32 v67, v67, v64
	ds_store_b32 v66, v67
.LBB2054_41:                            ;   in Loop: Header=BB2054_29 Depth=1
	s_wait_alu 0xfffe
	s_or_b32 exec_lo, exec_lo, s14
	v_cmp_ne_u16_e64 s14, 0x7fff, v192
	; wave barrier
	s_wait_alu 0xf1ff
	s_delay_alu instid0(VALU_DEP_1) | instskip(NEXT) | instid1(VALU_DEP_1)
	v_cndmask_b32_e64 v67, 0xffff8000, v192, s14
	v_and_b32_e32 v67, 0xffff, v67
	s_delay_alu instid0(VALU_DEP_1) | instskip(NEXT) | instid1(VALU_DEP_1)
	v_lshrrev_b32_e32 v67, v10, v67
	v_and_b32_e32 v67, v67, v36
	s_delay_alu instid0(VALU_DEP_1)
	v_and_b32_e32 v68, 1, v67
	v_lshlrev_b32_e32 v69, 30, v67
	v_lshlrev_b32_e32 v70, 29, v67
	;; [unrolled: 1-line block ×4, first 2 shown]
	v_add_co_u32 v68, s14, v68, -1
	s_wait_alu 0xf1ff
	v_cndmask_b32_e64 v80, 0, 1, s14
	v_not_b32_e32 v84, v69
	v_cmp_gt_i32_e64 s15, 0, v69
	v_not_b32_e32 v69, v70
	v_lshlrev_b32_e32 v82, 26, v67
	v_cmp_ne_u32_e64 s14, 0, v80
	v_ashrrev_i32_e32 v84, 31, v84
	v_lshlrev_b32_e32 v83, 25, v67
	v_ashrrev_i32_e32 v69, 31, v69
	v_lshlrev_b32_e32 v80, 24, v67
	s_wait_alu 0xf1ff
	v_xor_b32_e32 v68, s14, v68
	v_cmp_gt_i32_e64 s14, 0, v70
	v_not_b32_e32 v70, v71
	v_xor_b32_e32 v84, s15, v84
	v_cmp_gt_i32_e64 s15, 0, v71
	v_and_b32_e32 v68, exec_lo, v68
	v_not_b32_e32 v71, v81
	v_ashrrev_i32_e32 v70, 31, v70
	s_wait_alu 0xf1ff
	v_xor_b32_e32 v69, s14, v69
	v_cmp_gt_i32_e64 s14, 0, v81
	v_and_b32_e32 v68, v68, v84
	v_not_b32_e32 v81, v82
	v_ashrrev_i32_e32 v71, 31, v71
	v_xor_b32_e32 v70, s15, v70
	v_cmp_gt_i32_e64 s15, 0, v82
	v_and_b32_e32 v68, v68, v69
	v_not_b32_e32 v69, v83
	v_ashrrev_i32_e32 v81, 31, v81
	s_wait_alu 0xf1ff
	v_xor_b32_e32 v71, s14, v71
	v_cmp_gt_i32_e64 s14, 0, v83
	v_and_b32_e32 v68, v68, v70
	v_not_b32_e32 v70, v80
	v_ashrrev_i32_e32 v69, 31, v69
	v_xor_b32_e32 v81, s15, v81
	v_lshl_add_u32 v67, v67, 3, v135
	v_and_b32_e32 v68, v68, v71
	v_cmp_gt_i32_e64 s15, 0, v80
	v_ashrrev_i32_e32 v70, 31, v70
	s_wait_alu 0xf1ff
	v_xor_b32_e32 v69, s14, v69
	v_lshl_add_u32 v67, v67, 2, v12
	v_and_b32_e32 v68, v68, v81
	v_xor_b32_e32 v70, s15, v70
	ds_load_b32 v84, v67 offset:32
	v_and_b32_e32 v68, v68, v69
	v_add_nc_u32_e32 v67, 32, v67
	; wave barrier
	s_delay_alu instid0(VALU_DEP_2) | instskip(NEXT) | instid1(VALU_DEP_1)
	v_and_b32_e32 v68, v68, v70
	v_mbcnt_lo_u32_b32 v86, v68, 0
	v_cmp_ne_u32_e64 s15, 0, v68
	s_delay_alu instid0(VALU_DEP_2)
	v_cmp_eq_u32_e64 s14, 0, v86
	s_and_b32 s15, s15, s14
	s_wait_alu 0xfffe
	s_and_saveexec_b32 s14, s15
	s_cbranch_execz .LBB2054_43
; %bb.42:                               ;   in Loop: Header=BB2054_29 Depth=1
	s_wait_dscnt 0x0
	v_bcnt_u32_b32 v68, v68, v84
	ds_store_b32 v67, v68
.LBB2054_43:                            ;   in Loop: Header=BB2054_29 Depth=1
	s_wait_alu 0xfffe
	s_or_b32 exec_lo, exec_lo, s14
	v_cmp_ne_u16_e64 s14, 0x7fff, v196
	; wave barrier
	s_wait_alu 0xf1ff
	s_delay_alu instid0(VALU_DEP_1) | instskip(NEXT) | instid1(VALU_DEP_1)
	v_cndmask_b32_e64 v68, 0xffff8000, v196, s14
	v_and_b32_e32 v68, 0xffff, v68
	s_delay_alu instid0(VALU_DEP_1) | instskip(NEXT) | instid1(VALU_DEP_1)
	v_lshrrev_b32_e32 v68, v10, v68
	v_and_b32_e32 v36, v68, v36
	s_delay_alu instid0(VALU_DEP_1)
	v_and_b32_e32 v68, 1, v36
	v_lshlrev_b32_e32 v69, 30, v36
	v_lshlrev_b32_e32 v70, 29, v36
	;; [unrolled: 1-line block ×4, first 2 shown]
	v_add_co_u32 v68, s14, v68, -1
	s_wait_alu 0xf1ff
	v_cndmask_b32_e64 v80, 0, 1, s14
	v_not_b32_e32 v85, v69
	v_cmp_gt_i32_e64 s15, 0, v69
	v_not_b32_e32 v69, v70
	v_lshlrev_b32_e32 v82, 26, v36
	v_cmp_ne_u32_e64 s14, 0, v80
	v_ashrrev_i32_e32 v85, 31, v85
	v_lshlrev_b32_e32 v83, 25, v36
	v_ashrrev_i32_e32 v69, 31, v69
	v_lshlrev_b32_e32 v80, 24, v36
	s_wait_alu 0xf1ff
	v_xor_b32_e32 v68, s14, v68
	v_cmp_gt_i32_e64 s14, 0, v70
	v_not_b32_e32 v70, v71
	v_xor_b32_e32 v85, s15, v85
	v_cmp_gt_i32_e64 s15, 0, v71
	v_and_b32_e32 v68, exec_lo, v68
	v_not_b32_e32 v71, v81
	v_ashrrev_i32_e32 v70, 31, v70
	s_wait_alu 0xf1ff
	v_xor_b32_e32 v69, s14, v69
	v_cmp_gt_i32_e64 s14, 0, v81
	v_and_b32_e32 v68, v68, v85
	v_not_b32_e32 v81, v82
	v_ashrrev_i32_e32 v71, 31, v71
	v_xor_b32_e32 v70, s15, v70
	v_cmp_gt_i32_e64 s15, 0, v82
	v_and_b32_e32 v68, v68, v69
	v_not_b32_e32 v69, v83
	v_ashrrev_i32_e32 v81, 31, v81
	s_wait_alu 0xf1ff
	v_xor_b32_e32 v71, s14, v71
	v_cmp_gt_i32_e64 s14, 0, v83
	v_and_b32_e32 v68, v68, v70
	v_not_b32_e32 v70, v80
	v_ashrrev_i32_e32 v69, 31, v69
	v_xor_b32_e32 v81, s15, v81
	v_lshl_add_u32 v36, v36, 3, v135
	v_and_b32_e32 v68, v68, v71
	v_cmp_gt_i32_e64 s15, 0, v80
	v_ashrrev_i32_e32 v70, 31, v70
	s_wait_alu 0xf1ff
	v_xor_b32_e32 v69, s14, v69
	v_lshl_add_u32 v71, v36, 2, v12
	v_and_b32_e32 v68, v68, v81
	v_xor_b32_e32 v70, s15, v70
	ds_load_b32 v36, v71 offset:32
	v_and_b32_e32 v68, v68, v69
	; wave barrier
	s_delay_alu instid0(VALU_DEP_1) | instskip(SKIP_1) | instid1(VALU_DEP_2)
	v_and_b32_e32 v69, v68, v70
	v_add_nc_u32_e32 v68, 32, v71
	v_mbcnt_lo_u32_b32 v96, v69, 0
	v_cmp_ne_u32_e64 s15, 0, v69
	s_delay_alu instid0(VALU_DEP_2)
	v_cmp_eq_u32_e64 s14, 0, v96
	s_and_b32 s15, s15, s14
	s_wait_alu 0xfffe
	s_and_saveexec_b32 s14, s15
	s_cbranch_execz .LBB2054_45
; %bb.44:                               ;   in Loop: Header=BB2054_29 Depth=1
	s_wait_dscnt 0x0
	v_bcnt_u32_b32 v69, v69, v36
	ds_store_b32 v68, v69
.LBB2054_45:                            ;   in Loop: Header=BB2054_29 Depth=1
	s_wait_alu 0xfffe
	s_or_b32 exec_lo, exec_lo, s14
	; wave barrier
	s_wait_loadcnt_dscnt 0x0
	s_barrier_signal -1
	s_barrier_wait -1
	global_inv scope:SCOPE_SE
	ds_load_b32 v70, v25
	ds_load_b32 v71, v39
	;; [unrolled: 1-line block ×8, first 2 shown]
	s_wait_dscnt 0x6
	v_add_nc_u32_e32 v87, v71, v70
	s_wait_dscnt 0x4
	s_delay_alu instid0(VALU_DEP_1) | instskip(SKIP_1) | instid1(VALU_DEP_1)
	v_add3_u32 v87, v87, v80, v81
	s_wait_dscnt 0x2
	v_add3_u32 v87, v87, v82, v83
	s_wait_dscnt 0x0
	s_delay_alu instid0(VALU_DEP_1) | instskip(NEXT) | instid1(VALU_DEP_1)
	v_add3_u32 v85, v87, v69, v85
	v_mov_b32_dpp v87, v85 row_shr:1 row_mask:0xf bank_mask:0xf
	s_wait_alu 0xfffd
	s_delay_alu instid0(VALU_DEP_1) | instskip(NEXT) | instid1(VALU_DEP_1)
	v_cndmask_b32_e64 v87, v87, 0, vcc_lo
	v_add_nc_u32_e32 v85, v87, v85
	s_delay_alu instid0(VALU_DEP_1) | instskip(NEXT) | instid1(VALU_DEP_1)
	v_mov_b32_dpp v87, v85 row_shr:2 row_mask:0xf bank_mask:0xf
	v_cndmask_b32_e64 v87, 0, v87, s0
	s_delay_alu instid0(VALU_DEP_1) | instskip(NEXT) | instid1(VALU_DEP_1)
	v_add_nc_u32_e32 v85, v85, v87
	v_mov_b32_dpp v87, v85 row_shr:4 row_mask:0xf bank_mask:0xf
	s_delay_alu instid0(VALU_DEP_1) | instskip(NEXT) | instid1(VALU_DEP_1)
	v_cndmask_b32_e64 v87, 0, v87, s1
	v_add_nc_u32_e32 v85, v85, v87
	s_delay_alu instid0(VALU_DEP_1) | instskip(NEXT) | instid1(VALU_DEP_1)
	v_mov_b32_dpp v87, v85 row_shr:8 row_mask:0xf bank_mask:0xf
	v_cndmask_b32_e64 v87, 0, v87, s3
	s_delay_alu instid0(VALU_DEP_1) | instskip(SKIP_3) | instid1(VALU_DEP_1)
	v_add_nc_u32_e32 v85, v85, v87
	ds_swizzle_b32 v87, v85 offset:swizzle(BROADCAST,32,15)
	s_wait_dscnt 0x0
	v_cndmask_b32_e64 v87, v87, 0, s4
	v_add_nc_u32_e32 v85, v85, v87
	s_and_saveexec_b32 s14, s5
; %bb.46:                               ;   in Loop: Header=BB2054_29 Depth=1
	ds_store_b32 v145, v85
; %bb.47:                               ;   in Loop: Header=BB2054_29 Depth=1
	s_wait_alu 0xfffe
	s_or_b32 exec_lo, exec_lo, s14
	s_wait_loadcnt_dscnt 0x0
	s_barrier_signal -1
	s_barrier_wait -1
	global_inv scope:SCOPE_SE
	s_and_saveexec_b32 s14, s6
	s_cbranch_execz .LBB2054_49
; %bb.48:                               ;   in Loop: Header=BB2054_29 Depth=1
	ds_load_b32 v87, v146
	s_wait_dscnt 0x0
	v_mov_b32_dpp v97, v87 row_shr:1 row_mask:0xf bank_mask:0xf
	s_delay_alu instid0(VALU_DEP_1) | instskip(NEXT) | instid1(VALU_DEP_1)
	v_cndmask_b32_e64 v97, v97, 0, s11
	v_add_nc_u32_e32 v87, v97, v87
	s_delay_alu instid0(VALU_DEP_1) | instskip(NEXT) | instid1(VALU_DEP_1)
	v_mov_b32_dpp v97, v87 row_shr:2 row_mask:0xf bank_mask:0xf
	v_cndmask_b32_e64 v97, 0, v97, s12
	s_delay_alu instid0(VALU_DEP_1) | instskip(NEXT) | instid1(VALU_DEP_1)
	v_add_nc_u32_e32 v87, v87, v97
	v_mov_b32_dpp v97, v87 row_shr:4 row_mask:0xf bank_mask:0xf
	s_delay_alu instid0(VALU_DEP_1) | instskip(NEXT) | instid1(VALU_DEP_1)
	v_cndmask_b32_e64 v97, 0, v97, s13
	v_add_nc_u32_e32 v87, v87, v97
	ds_store_b32 v146, v87
.LBB2054_49:                            ;   in Loop: Header=BB2054_29 Depth=1
	s_wait_alu 0xfffe
	s_or_b32 exec_lo, exec_lo, s14
	v_mov_b32_e32 v87, 0
	s_wait_loadcnt_dscnt 0x0
	s_barrier_signal -1
	s_barrier_wait -1
	global_inv scope:SCOPE_SE
	s_and_saveexec_b32 s14, s7
; %bb.50:                               ;   in Loop: Header=BB2054_29 Depth=1
	ds_load_b32 v87, v148
; %bb.51:                               ;   in Loop: Header=BB2054_29 Depth=1
	s_wait_alu 0xfffe
	s_or_b32 exec_lo, exec_lo, s14
	s_wait_dscnt 0x0
	v_add_nc_u32_e32 v85, v87, v85
	v_add_nc_u32_e32 v10, 8, v10
	s_mov_b32 s20, -1
                                        ; implicit-def: $vgpr197
	ds_bpermute_b32 v85, v144, v85
	s_wait_dscnt 0x0
	v_cndmask_b32_e64 v85, v85, v87, s2
	v_mov_b32_e32 v87, v5
	s_delay_alu instid0(VALU_DEP_2) | instskip(NEXT) | instid1(VALU_DEP_1)
	v_cndmask_b32_e64 v85, v85, 0, s10
	v_add_nc_u32_e32 v70, v85, v70
	s_delay_alu instid0(VALU_DEP_1)
	v_add_nc_u32_e32 v71, v70, v71
	ds_store_b32 v25, v85
	ds_store_b32 v39, v70
	;; [unrolled: 1-line block ×3, first 2 shown]
	v_dual_mov_b32 v85, v5 :: v_dual_add_nc_u32 v80, v71, v80
	v_mov_b32_e32 v71, v5
	s_delay_alu instid0(VALU_DEP_2) | instskip(NEXT) | instid1(VALU_DEP_1)
	v_add_nc_u32_e32 v81, v80, v81
	v_add_nc_u32_e32 v82, v81, v82
	s_delay_alu instid0(VALU_DEP_1) | instskip(NEXT) | instid1(VALU_DEP_1)
	v_add_nc_u32_e32 v83, v82, v83
	v_add_nc_u32_e32 v69, v83, v69
	ds_store_b32 v130, v80
	ds_store_b32 v131, v81
	;; [unrolled: 1-line block ×5, first 2 shown]
	s_wait_loadcnt_dscnt 0x0
	s_barrier_signal -1
	s_barrier_wait -1
	global_inv scope:SCOPE_SE
	ds_load_b32 v33, v33
	ds_load_b32 v37, v37
	;; [unrolled: 1-line block ×8, first 2 shown]
	v_mov_b32_e32 v67, v5
	v_mov_b32_e32 v69, v5
	;; [unrolled: 1-line block ×4, first 2 shown]
	v_cmp_lt_u32_e64 s14, v10, v11
	s_wait_loadcnt_dscnt 0x0
	v_add_nc_u32_e32 v4, v33, v4
	v_add3_u32 v66, v35, v34, v37
	v_add3_u32 v68, v48, v38, v49
	;; [unrolled: 1-line block ×4, first 2 shown]
	v_lshlrev_b64_e32 v[33:34], 1, v[4:5]
	v_add3_u32 v84, v86, v84, v97
	v_add3_u32 v86, v96, v36, v98
	v_lshlrev_b64_e32 v[35:36], 1, v[66:67]
	v_lshlrev_b64_e32 v[37:38], 1, v[68:69]
	v_add3_u32 v82, v65, v64, v82
	v_lshlrev_b64_e32 v[48:49], 1, v[70:71]
	v_add_co_u32 v118, s15, v12, v33
	v_lshlrev_b64_e32 v[50:51], 1, v[80:81]
	s_wait_alu 0xf1ff
	v_add_co_ci_u32_e64 v119, null, v13, v34, s15
	v_add_co_u32 v96, s15, v12, v35
	v_lshlrev_b64_e32 v[52:53], 1, v[82:83]
	s_wait_alu 0xf1ff
	v_add_co_ci_u32_e64 v97, null, v13, v36, s15
	;; [unrolled: 4-line block ×4, first 2 shown]
	v_add_co_u32 v102, s15, v12, v50
	s_wait_alu 0xf1ff
	v_add_co_ci_u32_e64 v103, null, v13, v51, s15
	v_add_co_u32 v112, s15, v12, v52
	s_wait_alu 0xf1ff
	v_add_co_ci_u32_e64 v113, null, v13, v53, s15
	;; [unrolled: 3-line block ×4, first 2 shown]
                                        ; implicit-def: $vgpr33_vgpr34
                                        ; implicit-def: $vgpr35_vgpr36
                                        ; implicit-def: $vgpr37_vgpr38
                                        ; implicit-def: $vgpr48_vgpr49
                                        ; implicit-def: $vgpr50_vgpr51
                                        ; implicit-def: $vgpr52_vgpr53
                                        ; implicit-def: $vgpr54_vgpr55
                                        ; implicit-def: $vgpr64_vgpr65
                                        ; implicit-def: $vgpr69
                                        ; implicit-def: $vgpr71
                                        ; implicit-def: $vgpr81
                                        ; implicit-def: $vgpr83
                                        ; implicit-def: $vgpr85
                                        ; implicit-def: $vgpr87
                                        ; implicit-def: $vgpr67
	s_and_saveexec_b32 s15, s14
	s_cbranch_execz .LBB2054_28
; %bb.52:                               ;   in Loop: Header=BB2054_29 Depth=1
	v_mad_co_u64_u32 v[33:34], null, v4, 6, v[118:119]
	v_mad_co_u64_u32 v[34:35], null, v66, 6, v[96:97]
	;; [unrolled: 1-line block ×8, first 2 shown]
	s_barrier_signal -1
	s_barrier_wait -1
	global_inv scope:SCOPE_SE
	ds_store_b16 v118, v181
	ds_store_b16 v96, v183
	;; [unrolled: 1-line block ×8, first 2 shown]
	s_wait_loadcnt_dscnt 0x0
	s_barrier_signal -1
	s_barrier_wait -1
	global_inv scope:SCOPE_SE
	ds_load_u16 v197, v147
	ds_load_u16 v69, v149
	;; [unrolled: 1-line block ×8, first 2 shown]
	s_wait_loadcnt_dscnt 0x0
	s_barrier_signal -1
	s_barrier_wait -1
	global_inv scope:SCOPE_SE
	ds_store_b64 v33, v[31:32]
	ds_store_b64 v34, v[22:23]
	;; [unrolled: 1-line block ×8, first 2 shown]
	s_wait_loadcnt_dscnt 0x0
	s_barrier_signal -1
	s_barrier_wait -1
	global_inv scope:SCOPE_SE
	ds_load_b64 v[33:34], v160
	ds_load_b64 v[35:36], v165
	;; [unrolled: 1-line block ×8, first 2 shown]
	v_add_nc_u32_e32 v180, -8, v180
	s_xor_b32 s20, exec_lo, -1
	s_wait_loadcnt_dscnt 0x0
	s_barrier_signal -1
	s_barrier_wait -1
	global_inv scope:SCOPE_SE
	s_branch .LBB2054_28
.LBB2054_53:
	s_or_b32 exec_lo, exec_lo, s19
	v_mad_co_u64_u32 v[10:11], null, v4, 6, v[118:119]
	v_lshl_add_u32 v25, v30, 1, v12
	s_barrier_signal -1
	s_barrier_wait -1
	s_wait_loadcnt 0x0
	global_inv scope:SCOPE_SE
	ds_store_b16 v118, v181
	ds_store_b16 v96, v183
	;; [unrolled: 1-line block ×8, first 2 shown]
	s_wait_loadcnt_dscnt 0x0
	s_barrier_signal -1
	s_barrier_wait -1
	global_inv scope:SCOPE_SE
	ds_load_u16 v38, v25
	ds_load_u16 v37, v25 offset:512
	ds_load_u16 v36, v25 offset:1024
	;; [unrolled: 1-line block ×7, first 2 shown]
	s_wait_loadcnt_dscnt 0x0
	s_barrier_signal -1
	s_barrier_wait -1
	global_inv scope:SCOPE_SE
	ds_store_b64 v10, v[31:32]
	v_mad_co_u64_u32 v[10:11], null, v66, 6, v[96:97]
	v_mad_co_u64_u32 v[11:12], null, v68, 6, v[98:99]
	;; [unrolled: 1-line block ×7, first 2 shown]
	ds_store_b64 v10, v[22:23]
	ds_store_b64 v11, v[20:21]
	;; [unrolled: 1-line block ×3, first 2 shown]
	v_mul_u32_u24_e32 v10, 6, v30
	ds_store_b64 v31, v[14:15]
	ds_store_b64 v48, v[8:9]
	;; [unrolled: 1-line block ×4, first 2 shown]
	s_wait_loadcnt_dscnt 0x0
	s_barrier_signal -1
	v_dual_mov_b32 v25, 0 :: v_dual_add_nc_u32 v8, v25, v10
	s_barrier_wait -1
	global_inv scope:SCOPE_SE
	ds_load_2addr_stride64_b64 v[20:23], v8 offset1:4
	ds_load_2addr_stride64_b64 v[16:19], v8 offset0:8 offset1:12
	ds_load_2addr_stride64_b64 v[12:15], v8 offset0:16 offset1:20
	;; [unrolled: 1-line block ×3, first 2 shown]
	v_lshlrev_b64_e32 v[28:29], 1, v[24:25]
	v_add_co_u32 v2, vcc_lo, v2, v26
	s_wait_alu 0xfffd
	v_add_co_ci_u32_e64 v3, null, v3, v27, vcc_lo
	s_wait_loadcnt_dscnt 0x0
	s_delay_alu instid0(VALU_DEP_2) | instskip(SKIP_1) | instid1(VALU_DEP_2)
	v_add_co_u32 v2, vcc_lo, v2, v28
	s_wait_alu 0xfffd
	v_add_co_ci_u32_e64 v3, null, v3, v29, vcc_lo
	v_cmp_lt_u32_e32 vcc_lo, v24, v128
	s_barrier_signal -1
	s_barrier_wait -1
	global_inv scope:SCOPE_SE
	s_and_saveexec_b32 s1, vcc_lo
	s_cbranch_execz .LBB2054_55
; %bb.54:
	v_cmp_lt_i16_e64 s0, -1, v38
	s_wait_alu 0xf1ff
	s_delay_alu instid0(VALU_DEP_1) | instskip(NEXT) | instid1(VALU_DEP_1)
	v_cndmask_b32_e64 v26, 0xffff8000, -1, s0
	v_xor_b32_e32 v26, v26, v38
	flat_store_b16 v[2:3], v26
.LBB2054_55:
	s_wait_alu 0xfffe
	s_or_b32 exec_lo, exec_lo, s1
	v_add_nc_u32_e32 v26, 0x100, v24
	s_delay_alu instid0(VALU_DEP_1)
	v_cmp_lt_u32_e64 s0, v26, v128
	s_and_saveexec_b32 s2, s0
	s_cbranch_execz .LBB2054_57
; %bb.56:
	v_cmp_lt_i16_e64 s1, -1, v37
	s_wait_alu 0xf1ff
	s_delay_alu instid0(VALU_DEP_1) | instskip(NEXT) | instid1(VALU_DEP_1)
	v_cndmask_b32_e64 v26, 0xffff8000, -1, s1
	v_xor_b32_e32 v26, v26, v37
	flat_store_b16 v[2:3], v26 offset:512
.LBB2054_57:
	s_wait_alu 0xfffe
	s_or_b32 exec_lo, exec_lo, s2
	v_add_nc_u32_e32 v26, 0x200, v24
	s_delay_alu instid0(VALU_DEP_1)
	v_cmp_lt_u32_e64 s1, v26, v128
	s_and_saveexec_b32 s3, s1
	s_cbranch_execz .LBB2054_59
; %bb.58:
	v_cmp_lt_i16_e64 s2, -1, v36
	s_wait_alu 0xf1ff
	s_delay_alu instid0(VALU_DEP_1) | instskip(NEXT) | instid1(VALU_DEP_1)
	v_cndmask_b32_e64 v26, 0xffff8000, -1, s2
	v_xor_b32_e32 v26, v26, v36
	flat_store_b16 v[2:3], v26 offset:1024
.LBB2054_59:
	;; [unrolled: 15-line block ×7, first 2 shown]
	s_wait_alu 0xfffe
	s_or_b32 exec_lo, exec_lo, s10
	v_lshlrev_b64_e32 v[2:3], 3, v[24:25]
	v_add_co_u32 v0, s7, v6, v0
	s_wait_alu 0xf1ff
	v_add_co_ci_u32_e64 v1, null, v7, v1, s7
	s_delay_alu instid0(VALU_DEP_2) | instskip(SKIP_1) | instid1(VALU_DEP_2)
	v_add_co_u32 v0, s7, v0, v2
	s_wait_alu 0xf1ff
	v_add_co_ci_u32_e64 v1, null, v1, v3, s7
	s_and_saveexec_b32 s7, vcc_lo
	s_cbranch_execnz .LBB2054_119
; %bb.70:
	s_wait_alu 0xfffe
	s_or_b32 exec_lo, exec_lo, s7
	s_and_saveexec_b32 s7, s0
	s_cbranch_execnz .LBB2054_120
.LBB2054_71:
	s_wait_alu 0xfffe
	s_or_b32 exec_lo, exec_lo, s7
	s_and_saveexec_b32 s0, s1
	s_cbranch_execnz .LBB2054_121
.LBB2054_72:
	s_wait_alu 0xfffe
	s_or_b32 exec_lo, exec_lo, s0
	s_and_saveexec_b32 s0, s2
	s_cbranch_execnz .LBB2054_122
.LBB2054_73:
	s_wait_alu 0xfffe
	s_or_b32 exec_lo, exec_lo, s0
	s_and_saveexec_b32 s0, s3
	s_cbranch_execnz .LBB2054_123
.LBB2054_74:
	s_wait_alu 0xfffe
	s_or_b32 exec_lo, exec_lo, s0
	s_and_saveexec_b32 s0, s4
	s_cbranch_execnz .LBB2054_124
.LBB2054_75:
	s_wait_alu 0xfffe
	s_or_b32 exec_lo, exec_lo, s0
	s_and_saveexec_b32 s0, s5
	s_cbranch_execnz .LBB2054_125
.LBB2054_76:
	s_wait_alu 0xfffe
	s_or_b32 exec_lo, exec_lo, s0
	s_and_saveexec_b32 s0, s6
	s_cbranch_execz .LBB2054_78
.LBB2054_77:
	flat_store_b64 v[0:1], v[10:11] offset:14336
.LBB2054_78:
	s_wait_alu 0xfffe
	s_or_b32 exec_lo, exec_lo, s0
                                        ; implicit-def: $vgpr128
                                        ; implicit-def: $vgpr0
                                        ; implicit-def: $vgpr1
                                        ; implicit-def: $vgpr2
                                        ; implicit-def: $vgpr3
                                        ; implicit-def: $vgpr4
                                        ; implicit-def: $vgpr5
                                        ; implicit-def: $vgpr6
                                        ; implicit-def: $vgpr7
                                        ; implicit-def: $vgpr8
                                        ; implicit-def: $vgpr10
                                        ; implicit-def: $vgpr11
                                        ; implicit-def: $vgpr12
                                        ; implicit-def: $vgpr13
                                        ; implicit-def: $vgpr9
                                        ; implicit-def: $vgpr14
                                        ; implicit-def: $vgpr30
                                        ; implicit-def: $vgpr66
.LBB2054_79:
	s_wait_alu 0xfffe
	s_and_not1_saveexec_b32 s0, s17
	s_cbranch_execz .LBB2054_199
; %bb.80:
	s_mov_b32 s0, exec_lo
	v_cmpx_lt_u32_e32 0x200, v128
	s_wait_alu 0xfffe
	s_xor_b32 s17, exec_lo, s0
	s_cbranch_execz .LBB2054_140
; %bb.81:
	s_load_b64 s[0:1], s[8:9], 0x0
	s_and_b32 s2, ttmp7, 0xffff
	s_mov_b32 s3, 0
	v_dual_mov_b32 v16, 0x7fff :: v_dual_lshlrev_b32 v17, 1, v66
	s_wait_kmcnt 0x0
	s_wait_alu 0xfffe
	s_cmp_lt_u32 s2, s1
	s_cselect_b32 s2, 14, 20
	s_cmp_lt_u32 ttmp9, s0
	s_wait_alu 0xfffe
	s_add_nc_u64 s[4:5], s[8:9], s[2:3]
	s_cselect_b32 s2, 12, 18
	s_load_u16 s4, s[4:5], 0x0
	s_add_nc_u64 s[0:1], s[8:9], s[2:3]
	s_load_u16 s0, s[0:1], 0x0
	s_wait_kmcnt 0x0
	v_mad_u32_u24 v9, v14, s4, v9
	s_delay_alu instid0(VALU_DEP_1) | instskip(NEXT) | instid1(VALU_DEP_1)
	v_mad_co_u64_u32 v[31:32], null, v9, s0, v[30:31]
	v_dual_mov_b32 v9, 0 :: v_dual_lshlrev_b32 v14, 2, v31
	s_delay_alu instid0(VALU_DEP_1) | instskip(NEXT) | instid1(VALU_DEP_2)
	v_lshlrev_b64_e32 v[33:34], 1, v[8:9]
	v_dual_mov_b32 v15, v9 :: v_dual_and_b32 v14, 0xffffff80, v14
	s_delay_alu instid0(VALU_DEP_2) | instskip(SKIP_1) | instid1(VALU_DEP_3)
	v_add_co_u32 v18, vcc_lo, v0, v33
	s_wait_alu 0xfffd
	v_add_co_ci_u32_e64 v19, null, v1, v34, vcc_lo
	s_delay_alu instid0(VALU_DEP_3) | instskip(NEXT) | instid1(VALU_DEP_3)
	v_lshlrev_b64_e32 v[0:1], 1, v[14:15]
	v_add_co_u32 v17, vcc_lo, v18, v17
	v_or_b32_e32 v20, v14, v66
	s_wait_alu 0xfffd
	v_add_co_ci_u32_e64 v18, null, 0, v19, vcc_lo
	s_delay_alu instid0(VALU_DEP_3) | instskip(NEXT) | instid1(VALU_DEP_3)
	v_add_co_u32 v0, vcc_lo, v17, v0
	v_cmp_lt_u32_e64 s2, v20, v128
	s_wait_alu 0xfffd
	s_delay_alu instid0(VALU_DEP_3) | instskip(SKIP_1) | instid1(VALU_DEP_3)
	v_add_co_ci_u32_e64 v1, null, v18, v1, vcc_lo
	v_mov_b32_e32 v17, 0x7fff
	s_and_saveexec_b32 s0, s2
	s_cbranch_execz .LBB2054_83
; %bb.82:
	flat_load_u16 v17, v[0:1]
.LBB2054_83:
	s_wait_alu 0xfffe
	s_or_b32 exec_lo, exec_lo, s0
	v_or_b32_e32 v18, 32, v20
	s_delay_alu instid0(VALU_DEP_1)
	v_cmp_lt_u32_e64 s0, v18, v128
	s_and_saveexec_b32 s1, s0
	s_cbranch_execz .LBB2054_85
; %bb.84:
	flat_load_u16 v16, v[0:1] offset:64
.LBB2054_85:
	s_wait_alu 0xfffe
	s_or_b32 exec_lo, exec_lo, s1
	v_or_b32_e32 v19, 64, v20
	v_mov_b32_e32 v18, 0x7fff
	s_delay_alu instid0(VALU_DEP_2)
	v_cmp_lt_u32_e64 s1, v19, v128
	v_mov_b32_e32 v19, 0x7fff
	s_and_saveexec_b32 s3, s1
	s_cbranch_execz .LBB2054_87
; %bb.86:
	flat_load_u16 v19, v[0:1] offset:128
.LBB2054_87:
	s_wait_alu 0xfffe
	s_or_b32 exec_lo, exec_lo, s3
	v_or_b32_e32 v20, 0x60, v20
	s_delay_alu instid0(VALU_DEP_1)
	v_cmp_lt_u32_e32 vcc_lo, v20, v128
	s_and_saveexec_b32 s3, vcc_lo
	s_cbranch_execz .LBB2054_89
; %bb.88:
	flat_load_u16 v18, v[0:1] offset:192
.LBB2054_89:
	s_wait_alu 0xfffe
	s_or_b32 exec_lo, exec_lo, s3
	v_lshlrev_b64_e32 v[0:1], 3, v[8:9]
	v_mov_b32_e32 v22, 0
	s_delay_alu instid0(VALU_DEP_1) | instskip(NEXT) | instid1(VALU_DEP_3)
	v_dual_mov_b32 v23, v22 :: v_dual_lshlrev_b32 v8, 3, v66
	v_add_co_u32 v9, s3, v4, v0
	s_wait_alu 0xf1ff
	s_delay_alu instid0(VALU_DEP_4) | instskip(SKIP_1) | instid1(VALU_DEP_3)
	v_add_co_ci_u32_e64 v20, null, v5, v1, s3
	v_lshlrev_b64_e32 v[4:5], 3, v[14:15]
	v_add_co_u32 v8, s3, v9, v8
	s_wait_alu 0xf1ff
	s_delay_alu instid0(VALU_DEP_3) | instskip(SKIP_1) | instid1(VALU_DEP_3)
	v_add_co_ci_u32_e64 v9, null, 0, v20, s3
	v_dual_mov_b32 v24, v22 :: v_dual_mov_b32 v25, v22
	v_add_co_u32 v4, s3, v8, v4
	s_wait_alu 0xf1ff
	s_delay_alu instid0(VALU_DEP_3)
	v_add_co_ci_u32_e64 v5, null, v9, v5, s3
	v_dual_mov_b32 v26, v22 :: v_dual_mov_b32 v27, v22
	v_dual_mov_b32 v28, v22 :: v_dual_mov_b32 v29, v22
	s_and_saveexec_b32 s3, s2
	s_cbranch_execnz .LBB2054_164
; %bb.90:
	s_wait_alu 0xfffe
	s_or_b32 exec_lo, exec_lo, s3
	s_and_saveexec_b32 s2, s0
	s_cbranch_execnz .LBB2054_165
.LBB2054_91:
	s_wait_alu 0xfffe
	s_or_b32 exec_lo, exec_lo, s2
	s_and_saveexec_b32 s0, s1
	s_cbranch_execnz .LBB2054_166
.LBB2054_92:
	s_wait_alu 0xfffe
	s_or_b32 exec_lo, exec_lo, s0
	s_and_saveexec_b32 s0, vcc_lo
	s_cbranch_execz .LBB2054_94
.LBB2054_93:
	flat_load_b64 v[28:29], v[4:5] offset:768
.LBB2054_94:
	s_wait_alu 0xfffe
	s_or_b32 exec_lo, exec_lo, s0
	s_wait_loadcnt_dscnt 0x0
	v_cmp_lt_i16_e32 vcc_lo, -1, v17
	v_lshl_add_u32 v14, v30, 5, v12
	s_getpc_b64 s[0:1]
	s_wait_alu 0xfffe
	s_sext_i32_i16 s1, s1
	s_add_co_u32 s0, s0, _ZN7rocprim17ROCPRIM_400000_NS16block_radix_sortI12hip_bfloat16Lj256ELj4ElLj1ELj1ELj8ELNS0_26block_radix_rank_algorithmE2ELNS0_18block_padding_hintE2ELNS0_4arch9wavefront6targetE0EE19radix_bits_per_passE@rel32@lo+12
	s_wait_alu 0xfffe
	s_add_co_ci_u32 s1, s1, _ZN7rocprim17ROCPRIM_400000_NS16block_radix_sortI12hip_bfloat16Lj256ELj4ElLj1ELj1ELj8ELNS0_26block_radix_rank_algorithmE2ELNS0_18block_padding_hintE2ELNS0_4arch9wavefront6targetE0EE19radix_bits_per_passE@rel32@hi+24
	v_lshrrev_b32_e32 v70, 5, v31
	s_load_b32 s18, s[0:1], 0x0
	v_cndmask_b32_e64 v4, -1, 0xffff8000, vcc_lo
	v_cmp_lt_i16_e32 vcc_lo, -1, v16
	v_add_nc_u32_e32 v32, 32, v14
	v_add_nc_u32_e32 v54, 36, v14
	;; [unrolled: 1-line block ×3, first 2 shown]
	v_xor_b32_e32 v9, v4, v17
	s_wait_alu 0xfffd
	v_cndmask_b32_e64 v5, -1, 0xffff8000, vcc_lo
	v_cmp_lt_i16_e32 vcc_lo, -1, v19
	v_add_nc_u32_e32 v64, 44, v14
	v_add_nc_u32_e32 v65, 48, v14
	;; [unrolled: 1-line block ×4, first 2 shown]
	s_wait_alu 0xfffd
	v_cndmask_b32_e64 v4, -1, 0xffff8000, vcc_lo
	v_cmp_lt_i16_e32 vcc_lo, -1, v18
	v_add_nc_u32_e32 v69, 60, v14
	v_sub_co_u32 v14, s2, v66, 1
	s_delay_alu instid0(VALU_DEP_4)
	v_xor_b32_e32 v112, v4, v19
	v_and_b32_e32 v4, 0x3e0, v30
	s_wait_alu 0xfffd
	v_cndmask_b32_e64 v8, -1, 0xffff8000, vcc_lo
	v_xor_b32_e32 v103, v5, v16
	v_and_b32_e32 v5, 15, v66
	v_cmp_gt_i32_e64 s6, 0, v14
	v_min_u32_e32 v4, 0xe0, v4
	v_xor_b32_e32 v36, v8, v18
	v_and_b32_e32 v8, 16, v66
	v_cmp_eq_u32_e32 vcc_lo, 0, v5
	v_cmp_lt_u32_e64 s0, 1, v5
	v_or_b32_e32 v4, 31, v4
	v_cmp_lt_u32_e64 s1, 3, v5
	v_cmp_eq_u32_e64 s4, 0, v8
	v_lshlrev_b32_e32 v8, 2, v30
	v_cmp_lt_u32_e64 s3, 7, v5
	v_cmp_eq_u32_e64 s5, v30, v4
	v_lshrrev_b32_e32 v4, 3, v30
	s_wait_alu 0xf1ff
	v_cndmask_b32_e64 v5, v14, v66, s6
	v_and_or_b32 v14, 0xf80, v8, v66
	v_cmp_gt_u32_e64 s6, 8, v30
	v_cmp_lt_u32_e64 s7, 31, v30
	v_and_b32_e32 v4, 0x7c, v4
	v_lshlrev_b32_e32 v71, 2, v5
	v_cmp_eq_u32_e64 s10, 0, v30
	v_mov_b32_e32 v5, 0
	v_add_nc_u32_e32 v81, v12, v8
	v_add_nc_u32_e32 v80, v12, v4
	v_and_b32_e32 v4, 7, v66
	v_lshl_add_u32 v66, v14, 1, v12
	v_mul_u32_u24_e32 v14, 6, v14
	v_sub_nc_u32_e32 v98, v11, v10
	v_add_nc_u32_e32 v83, -4, v80
	v_cmp_eq_u32_e64 s11, 0, v4
	v_cmp_lt_u32_e64 s12, 1, v4
	v_add_nc_u32_e32 v82, v66, v14
	v_cmp_lt_u32_e64 s13, 3, v4
	v_add_nc_u32_e32 v84, 64, v66
	v_add_nc_u32_e32 v85, 0x80, v66
	;; [unrolled: 1-line block ×6, first 2 shown]
	s_mov_b32 s19, 0
	s_wait_storecnt 0x0
	s_barrier_signal -1
	s_barrier_wait -1
	global_inv scope:SCOPE_SE
	s_branch .LBB2054_96
.LBB2054_95:                            ;   in Loop: Header=BB2054_96 Depth=1
	s_wait_alu 0xfffe
	s_or_b32 exec_lo, exec_lo, s15
	s_delay_alu instid0(SALU_CYCLE_1)
	s_and_b32 s14, exec_lo, s20
	s_wait_alu 0xfffe
	s_or_b32 s19, s14, s19
	s_wait_alu 0xfffe
	s_and_not1_b32 exec_lo, exec_lo, s19
	s_cbranch_execz .LBB2054_126
.LBB2054_96:                            ; =>This Inner Loop Header: Depth=1
	v_mov_b32_e32 v99, v9
	s_wait_kmcnt 0x0
	v_min_u32_e32 v4, s18, v98
	v_dual_mov_b32 v14, v22 :: v_dual_mov_b32 v17, v25
	v_dual_mov_b32 v16, v24 :: v_dual_mov_b32 v19, v27
	v_cmp_ne_u16_e64 s14, 0x7fff, v99
	s_delay_alu instid0(VALU_DEP_4)
	v_lshlrev_b32_e64 v4, v4, -1
	v_dual_mov_b32 v18, v26 :: v_dual_mov_b32 v21, v29
	v_dual_mov_b32 v20, v28 :: v_dual_mov_b32 v101, v103
	s_wait_alu 0xf1ff
	v_cndmask_b32_e64 v8, 0xffff8000, v99, s14
	v_not_b32_e32 v9, v4
	ds_store_b32 v32, v5
	ds_store_b32 v54, v5
	;; [unrolled: 1-line block ×6, first 2 shown]
	v_and_b32_e32 v8, 0xffff, v8
	ds_store_b32 v68, v5
	ds_store_b32 v69, v5
	s_wait_loadcnt_dscnt 0x0
	s_barrier_signal -1
	s_barrier_wait -1
	v_lshrrev_b32_e32 v4, v10, v8
	global_inv scope:SCOPE_SE
	v_mov_b32_e32 v15, v23
	; wave barrier
	v_and_b32_e32 v4, v4, v9
	v_mov_b32_e32 v100, v112
	s_delay_alu instid0(VALU_DEP_2)
	v_dual_mov_b32 v102, v36 :: v_dual_lshlrev_b32 v27, 26, v4
	v_and_b32_e32 v8, 1, v4
	v_lshlrev_b32_e32 v22, 30, v4
	v_lshlrev_b32_e32 v23, 29, v4
	;; [unrolled: 1-line block ×4, first 2 shown]
	v_add_co_u32 v8, s14, v8, -1
	s_wait_alu 0xf1ff
	v_cndmask_b32_e64 v25, 0, 1, s14
	v_not_b32_e32 v29, v22
	v_cmp_gt_i32_e64 s15, 0, v22
	v_not_b32_e32 v22, v23
	v_lshlrev_b32_e32 v28, 25, v4
	v_cmp_ne_u32_e64 s14, 0, v25
	v_ashrrev_i32_e32 v29, 31, v29
	v_lshlrev_b32_e32 v25, 24, v4
	v_ashrrev_i32_e32 v22, 31, v22
	v_lshlrev_b32_e32 v4, 3, v4
	s_wait_alu 0xf1ff
	v_xor_b32_e32 v8, s14, v8
	v_cmp_gt_i32_e64 s14, 0, v23
	v_not_b32_e32 v23, v24
	v_xor_b32_e32 v29, s15, v29
	v_cmp_gt_i32_e64 s15, 0, v24
	v_and_b32_e32 v8, exec_lo, v8
	v_not_b32_e32 v24, v26
	v_ashrrev_i32_e32 v23, 31, v23
	s_wait_alu 0xf1ff
	v_xor_b32_e32 v22, s14, v22
	v_cmp_gt_i32_e64 s14, 0, v26
	v_and_b32_e32 v8, v8, v29
	v_not_b32_e32 v26, v27
	v_ashrrev_i32_e32 v24, 31, v24
	v_xor_b32_e32 v23, s15, v23
	v_cmp_gt_i32_e64 s15, 0, v27
	v_and_b32_e32 v8, v8, v22
	v_not_b32_e32 v22, v28
	v_ashrrev_i32_e32 v26, 31, v26
	s_wait_alu 0xf1ff
	v_xor_b32_e32 v24, s14, v24
	v_cmp_gt_i32_e64 s14, 0, v28
	v_and_b32_e32 v8, v8, v23
	v_not_b32_e32 v23, v25
	v_ashrrev_i32_e32 v22, 31, v22
	v_xor_b32_e32 v26, s15, v26
	v_cmp_gt_i32_e64 s15, 0, v25
	v_and_b32_e32 v8, v8, v24
	v_ashrrev_i32_e32 v23, 31, v23
	s_wait_alu 0xf1ff
	v_xor_b32_e32 v22, s14, v22
	s_delay_alu instid0(VALU_DEP_3) | instskip(NEXT) | instid1(VALU_DEP_3)
	v_and_b32_e32 v8, v8, v26
	v_xor_b32_e32 v23, s15, v23
	s_delay_alu instid0(VALU_DEP_2) | instskip(NEXT) | instid1(VALU_DEP_1)
	v_and_b32_e32 v8, v8, v22
	v_and_b32_e32 v22, v8, v23
	v_add_lshl_u32 v8, v4, v70, 2
	s_delay_alu instid0(VALU_DEP_2) | instskip(NEXT) | instid1(VALU_DEP_2)
	v_mbcnt_lo_u32_b32 v4, v22, 0
	v_add_co_u32 v8, null, v12, v8
	v_cmp_ne_u32_e64 s15, 0, v22
	s_delay_alu instid0(VALU_DEP_3) | instskip(NEXT) | instid1(VALU_DEP_3)
	v_cmp_eq_u32_e64 s14, 0, v4
	v_add_co_u32 v8, null, v8, 32
	s_and_b32 s15, s15, s14
	s_wait_alu 0xfffe
	s_and_saveexec_b32 s14, s15
; %bb.97:                               ;   in Loop: Header=BB2054_96 Depth=1
	v_bcnt_u32_b32 v22, v22, 0
	ds_store_b32 v8, v22
; %bb.98:                               ;   in Loop: Header=BB2054_96 Depth=1
	s_wait_alu 0xfffe
	s_or_b32 exec_lo, exec_lo, s14
	v_cmp_ne_u16_e64 s14, 0x7fff, v101
	; wave barrier
	s_wait_alu 0xf1ff
	s_delay_alu instid0(VALU_DEP_1) | instskip(NEXT) | instid1(VALU_DEP_1)
	v_cndmask_b32_e64 v22, 0xffff8000, v101, s14
	v_and_b32_e32 v22, 0xffff, v22
	s_delay_alu instid0(VALU_DEP_1) | instskip(NEXT) | instid1(VALU_DEP_1)
	v_lshrrev_b32_e32 v22, v10, v22
	v_and_b32_e32 v22, v22, v9
	s_delay_alu instid0(VALU_DEP_1)
	v_and_b32_e32 v23, 1, v22
	v_lshlrev_b32_e32 v24, 30, v22
	v_lshlrev_b32_e32 v25, 29, v22
	;; [unrolled: 1-line block ×4, first 2 shown]
	v_add_co_u32 v23, s14, v23, -1
	s_wait_alu 0xf1ff
	v_cndmask_b32_e64 v27, 0, 1, s14
	v_not_b32_e32 v36, v24
	v_cmp_gt_i32_e64 s15, 0, v24
	v_not_b32_e32 v24, v25
	v_lshlrev_b32_e32 v29, 26, v22
	v_cmp_ne_u32_e64 s14, 0, v27
	v_ashrrev_i32_e32 v36, 31, v36
	v_lshlrev_b32_e32 v35, 25, v22
	v_ashrrev_i32_e32 v24, 31, v24
	v_lshlrev_b32_e32 v27, 24, v22
	s_wait_alu 0xf1ff
	v_xor_b32_e32 v23, s14, v23
	v_cmp_gt_i32_e64 s14, 0, v25
	v_not_b32_e32 v25, v26
	v_xor_b32_e32 v36, s15, v36
	v_cmp_gt_i32_e64 s15, 0, v26
	v_and_b32_e32 v23, exec_lo, v23
	v_not_b32_e32 v26, v28
	v_ashrrev_i32_e32 v25, 31, v25
	s_wait_alu 0xf1ff
	v_xor_b32_e32 v24, s14, v24
	v_cmp_gt_i32_e64 s14, 0, v28
	v_and_b32_e32 v23, v23, v36
	v_not_b32_e32 v28, v29
	v_ashrrev_i32_e32 v26, 31, v26
	v_xor_b32_e32 v25, s15, v25
	v_cmp_gt_i32_e64 s15, 0, v29
	v_and_b32_e32 v23, v23, v24
	v_not_b32_e32 v24, v35
	v_ashrrev_i32_e32 v28, 31, v28
	s_wait_alu 0xf1ff
	v_xor_b32_e32 v26, s14, v26
	v_cmp_gt_i32_e64 s14, 0, v35
	v_and_b32_e32 v23, v23, v25
	v_not_b32_e32 v25, v27
	v_ashrrev_i32_e32 v24, 31, v24
	v_xor_b32_e32 v28, s15, v28
	v_lshl_add_u32 v22, v22, 3, v70
	v_and_b32_e32 v23, v23, v26
	v_cmp_gt_i32_e64 s15, 0, v27
	v_ashrrev_i32_e32 v25, 31, v25
	s_wait_alu 0xf1ff
	v_xor_b32_e32 v24, s14, v24
	v_lshl_add_u32 v26, v22, 2, v12
	v_and_b32_e32 v23, v23, v28
	v_xor_b32_e32 v25, s15, v25
	ds_load_b32 v22, v26 offset:32
	v_and_b32_e32 v23, v23, v24
	v_add_nc_u32_e32 v24, 32, v26
	; wave barrier
	s_delay_alu instid0(VALU_DEP_2) | instskip(NEXT) | instid1(VALU_DEP_1)
	v_and_b32_e32 v25, v23, v25
	v_mbcnt_lo_u32_b32 v23, v25, 0
	v_cmp_ne_u32_e64 s15, 0, v25
	s_delay_alu instid0(VALU_DEP_2)
	v_cmp_eq_u32_e64 s14, 0, v23
	s_and_b32 s15, s15, s14
	s_wait_alu 0xfffe
	s_and_saveexec_b32 s14, s15
	s_cbranch_execz .LBB2054_100
; %bb.99:                               ;   in Loop: Header=BB2054_96 Depth=1
	s_wait_dscnt 0x0
	v_bcnt_u32_b32 v25, v25, v22
	ds_store_b32 v24, v25
.LBB2054_100:                           ;   in Loop: Header=BB2054_96 Depth=1
	s_wait_alu 0xfffe
	s_or_b32 exec_lo, exec_lo, s14
	v_cmp_ne_u16_e64 s14, 0x7fff, v100
	; wave barrier
	s_wait_alu 0xf1ff
	s_delay_alu instid0(VALU_DEP_1) | instskip(NEXT) | instid1(VALU_DEP_1)
	v_cndmask_b32_e64 v25, 0xffff8000, v100, s14
	v_and_b32_e32 v25, 0xffff, v25
	s_delay_alu instid0(VALU_DEP_1) | instskip(NEXT) | instid1(VALU_DEP_1)
	v_lshrrev_b32_e32 v25, v10, v25
	v_and_b32_e32 v25, v25, v9
	s_delay_alu instid0(VALU_DEP_1)
	v_and_b32_e32 v26, 1, v25
	v_lshlrev_b32_e32 v27, 30, v25
	v_lshlrev_b32_e32 v28, 29, v25
	v_lshlrev_b32_e32 v29, 28, v25
	v_lshlrev_b32_e32 v36, 27, v25
	v_add_co_u32 v26, s14, v26, -1
	s_wait_alu 0xf1ff
	v_cndmask_b32_e64 v35, 0, 1, s14
	v_not_b32_e32 v39, v27
	v_cmp_gt_i32_e64 s15, 0, v27
	v_not_b32_e32 v27, v28
	v_lshlrev_b32_e32 v37, 26, v25
	v_cmp_ne_u32_e64 s14, 0, v35
	v_ashrrev_i32_e32 v39, 31, v39
	v_lshlrev_b32_e32 v38, 25, v25
	v_ashrrev_i32_e32 v27, 31, v27
	v_lshlrev_b32_e32 v35, 24, v25
	s_wait_alu 0xf1ff
	v_xor_b32_e32 v26, s14, v26
	v_cmp_gt_i32_e64 s14, 0, v28
	v_not_b32_e32 v28, v29
	v_xor_b32_e32 v39, s15, v39
	v_cmp_gt_i32_e64 s15, 0, v29
	v_and_b32_e32 v26, exec_lo, v26
	v_not_b32_e32 v29, v36
	v_ashrrev_i32_e32 v28, 31, v28
	s_wait_alu 0xf1ff
	v_xor_b32_e32 v27, s14, v27
	v_cmp_gt_i32_e64 s14, 0, v36
	v_and_b32_e32 v26, v26, v39
	v_not_b32_e32 v36, v37
	v_ashrrev_i32_e32 v29, 31, v29
	v_xor_b32_e32 v28, s15, v28
	v_cmp_gt_i32_e64 s15, 0, v37
	v_and_b32_e32 v26, v26, v27
	v_not_b32_e32 v27, v38
	v_ashrrev_i32_e32 v36, 31, v36
	s_wait_alu 0xf1ff
	v_xor_b32_e32 v29, s14, v29
	v_cmp_gt_i32_e64 s14, 0, v38
	v_and_b32_e32 v26, v26, v28
	v_not_b32_e32 v28, v35
	v_ashrrev_i32_e32 v27, 31, v27
	v_xor_b32_e32 v36, s15, v36
	v_lshl_add_u32 v25, v25, 3, v70
	v_and_b32_e32 v26, v26, v29
	v_cmp_gt_i32_e64 s15, 0, v35
	v_ashrrev_i32_e32 v28, 31, v28
	s_wait_alu 0xf1ff
	v_xor_b32_e32 v27, s14, v27
	v_lshl_add_u32 v29, v25, 2, v12
	v_and_b32_e32 v26, v26, v36
	v_xor_b32_e32 v28, s15, v28
	ds_load_b32 v25, v29 offset:32
	v_and_b32_e32 v26, v26, v27
	v_add_nc_u32_e32 v27, 32, v29
	; wave barrier
	s_delay_alu instid0(VALU_DEP_2) | instskip(NEXT) | instid1(VALU_DEP_1)
	v_and_b32_e32 v28, v26, v28
	v_mbcnt_lo_u32_b32 v26, v28, 0
	v_cmp_ne_u32_e64 s15, 0, v28
	s_delay_alu instid0(VALU_DEP_2)
	v_cmp_eq_u32_e64 s14, 0, v26
	s_and_b32 s15, s15, s14
	s_wait_alu 0xfffe
	s_and_saveexec_b32 s14, s15
	s_cbranch_execz .LBB2054_102
; %bb.101:                              ;   in Loop: Header=BB2054_96 Depth=1
	s_wait_dscnt 0x0
	v_bcnt_u32_b32 v28, v28, v25
	ds_store_b32 v27, v28
.LBB2054_102:                           ;   in Loop: Header=BB2054_96 Depth=1
	s_wait_alu 0xfffe
	s_or_b32 exec_lo, exec_lo, s14
	v_cmp_ne_u16_e64 s14, 0x7fff, v102
	; wave barrier
	s_wait_alu 0xf1ff
	s_delay_alu instid0(VALU_DEP_1) | instskip(NEXT) | instid1(VALU_DEP_1)
	v_cndmask_b32_e64 v28, 0xffff8000, v102, s14
	v_and_b32_e32 v28, 0xffff, v28
	s_delay_alu instid0(VALU_DEP_1) | instskip(NEXT) | instid1(VALU_DEP_1)
	v_lshrrev_b32_e32 v28, v10, v28
	v_and_b32_e32 v9, v28, v9
	s_delay_alu instid0(VALU_DEP_1)
	v_and_b32_e32 v28, 1, v9
	v_lshlrev_b32_e32 v29, 30, v9
	v_lshlrev_b32_e32 v35, 29, v9
	;; [unrolled: 1-line block ×4, first 2 shown]
	v_add_co_u32 v28, s14, v28, -1
	s_wait_alu 0xf1ff
	v_cndmask_b32_e64 v37, 0, 1, s14
	v_not_b32_e32 v49, v29
	v_cmp_gt_i32_e64 s15, 0, v29
	v_not_b32_e32 v29, v35
	v_lshlrev_b32_e32 v39, 26, v9
	v_cmp_ne_u32_e64 s14, 0, v37
	v_ashrrev_i32_e32 v49, 31, v49
	v_lshlrev_b32_e32 v48, 25, v9
	v_ashrrev_i32_e32 v29, 31, v29
	v_lshlrev_b32_e32 v37, 24, v9
	s_wait_alu 0xf1ff
	v_xor_b32_e32 v28, s14, v28
	v_cmp_gt_i32_e64 s14, 0, v35
	v_not_b32_e32 v35, v36
	v_xor_b32_e32 v49, s15, v49
	v_cmp_gt_i32_e64 s15, 0, v36
	v_and_b32_e32 v28, exec_lo, v28
	v_not_b32_e32 v36, v38
	v_ashrrev_i32_e32 v35, 31, v35
	s_wait_alu 0xf1ff
	v_xor_b32_e32 v29, s14, v29
	v_cmp_gt_i32_e64 s14, 0, v38
	v_and_b32_e32 v28, v28, v49
	v_not_b32_e32 v38, v39
	v_ashrrev_i32_e32 v36, 31, v36
	v_xor_b32_e32 v35, s15, v35
	v_cmp_gt_i32_e64 s15, 0, v39
	v_and_b32_e32 v28, v28, v29
	v_not_b32_e32 v29, v48
	v_ashrrev_i32_e32 v38, 31, v38
	s_wait_alu 0xf1ff
	v_xor_b32_e32 v36, s14, v36
	v_cmp_gt_i32_e64 s14, 0, v48
	v_and_b32_e32 v28, v28, v35
	v_not_b32_e32 v35, v37
	v_ashrrev_i32_e32 v29, 31, v29
	v_xor_b32_e32 v38, s15, v38
	v_lshl_add_u32 v9, v9, 3, v70
	v_and_b32_e32 v28, v28, v36
	v_cmp_gt_i32_e64 s15, 0, v37
	v_ashrrev_i32_e32 v35, 31, v35
	s_wait_alu 0xf1ff
	v_xor_b32_e32 v29, s14, v29
	v_lshl_add_u32 v9, v9, 2, v12
	v_and_b32_e32 v28, v28, v38
	v_xor_b32_e32 v35, s15, v35
	s_delay_alu instid0(VALU_DEP_2) | instskip(SKIP_3) | instid1(VALU_DEP_1)
	v_and_b32_e32 v29, v28, v29
	ds_load_b32 v28, v9 offset:32
	v_add_nc_u32_e32 v9, 32, v9
	; wave barrier
	v_and_b32_e32 v35, v29, v35
	v_mbcnt_lo_u32_b32 v29, v35, 0
	v_cmp_ne_u32_e64 s15, 0, v35
	s_delay_alu instid0(VALU_DEP_2)
	v_cmp_eq_u32_e64 s14, 0, v29
	s_and_b32 s15, s15, s14
	s_wait_alu 0xfffe
	s_and_saveexec_b32 s14, s15
	s_cbranch_execz .LBB2054_104
; %bb.103:                              ;   in Loop: Header=BB2054_96 Depth=1
	s_wait_dscnt 0x0
	v_bcnt_u32_b32 v35, v35, v28
	ds_store_b32 v9, v35
.LBB2054_104:                           ;   in Loop: Header=BB2054_96 Depth=1
	s_wait_alu 0xfffe
	s_or_b32 exec_lo, exec_lo, s14
	; wave barrier
	s_wait_loadcnt_dscnt 0x0
	s_barrier_signal -1
	s_barrier_wait -1
	global_inv scope:SCOPE_SE
	ds_load_b32 v36, v32
	ds_load_b32 v37, v54
	;; [unrolled: 1-line block ×8, first 2 shown]
	s_wait_dscnt 0x6
	v_add_nc_u32_e32 v51, v37, v36
	s_wait_dscnt 0x4
	s_delay_alu instid0(VALU_DEP_1) | instskip(SKIP_1) | instid1(VALU_DEP_1)
	v_add3_u32 v51, v51, v38, v39
	s_wait_dscnt 0x2
	v_add3_u32 v51, v51, v48, v49
	s_wait_dscnt 0x0
	s_delay_alu instid0(VALU_DEP_1) | instskip(NEXT) | instid1(VALU_DEP_1)
	v_add3_u32 v50, v51, v35, v50
	v_mov_b32_dpp v51, v50 row_shr:1 row_mask:0xf bank_mask:0xf
	s_wait_alu 0xfffd
	s_delay_alu instid0(VALU_DEP_1) | instskip(NEXT) | instid1(VALU_DEP_1)
	v_cndmask_b32_e64 v51, v51, 0, vcc_lo
	v_add_nc_u32_e32 v50, v51, v50
	s_delay_alu instid0(VALU_DEP_1) | instskip(NEXT) | instid1(VALU_DEP_1)
	v_mov_b32_dpp v51, v50 row_shr:2 row_mask:0xf bank_mask:0xf
	v_cndmask_b32_e64 v51, 0, v51, s0
	s_delay_alu instid0(VALU_DEP_1) | instskip(NEXT) | instid1(VALU_DEP_1)
	v_add_nc_u32_e32 v50, v50, v51
	v_mov_b32_dpp v51, v50 row_shr:4 row_mask:0xf bank_mask:0xf
	s_delay_alu instid0(VALU_DEP_1) | instskip(NEXT) | instid1(VALU_DEP_1)
	v_cndmask_b32_e64 v51, 0, v51, s1
	v_add_nc_u32_e32 v50, v50, v51
	s_delay_alu instid0(VALU_DEP_1) | instskip(NEXT) | instid1(VALU_DEP_1)
	v_mov_b32_dpp v51, v50 row_shr:8 row_mask:0xf bank_mask:0xf
	v_cndmask_b32_e64 v51, 0, v51, s3
	s_delay_alu instid0(VALU_DEP_1) | instskip(SKIP_3) | instid1(VALU_DEP_1)
	v_add_nc_u32_e32 v50, v50, v51
	ds_swizzle_b32 v51, v50 offset:swizzle(BROADCAST,32,15)
	s_wait_dscnt 0x0
	v_cndmask_b32_e64 v51, v51, 0, s4
	v_add_nc_u32_e32 v50, v50, v51
	s_and_saveexec_b32 s14, s5
; %bb.105:                              ;   in Loop: Header=BB2054_96 Depth=1
	ds_store_b32 v80, v50
; %bb.106:                              ;   in Loop: Header=BB2054_96 Depth=1
	s_wait_alu 0xfffe
	s_or_b32 exec_lo, exec_lo, s14
	s_wait_loadcnt_dscnt 0x0
	s_barrier_signal -1
	s_barrier_wait -1
	global_inv scope:SCOPE_SE
	s_and_saveexec_b32 s14, s6
	s_cbranch_execz .LBB2054_108
; %bb.107:                              ;   in Loop: Header=BB2054_96 Depth=1
	ds_load_b32 v51, v81
	s_wait_dscnt 0x0
	v_mov_b32_dpp v52, v51 row_shr:1 row_mask:0xf bank_mask:0xf
	s_delay_alu instid0(VALU_DEP_1) | instskip(NEXT) | instid1(VALU_DEP_1)
	v_cndmask_b32_e64 v52, v52, 0, s11
	v_add_nc_u32_e32 v51, v52, v51
	s_delay_alu instid0(VALU_DEP_1) | instskip(NEXT) | instid1(VALU_DEP_1)
	v_mov_b32_dpp v52, v51 row_shr:2 row_mask:0xf bank_mask:0xf
	v_cndmask_b32_e64 v52, 0, v52, s12
	s_delay_alu instid0(VALU_DEP_1) | instskip(NEXT) | instid1(VALU_DEP_1)
	v_add_nc_u32_e32 v51, v51, v52
	v_mov_b32_dpp v52, v51 row_shr:4 row_mask:0xf bank_mask:0xf
	s_delay_alu instid0(VALU_DEP_1) | instskip(NEXT) | instid1(VALU_DEP_1)
	v_cndmask_b32_e64 v52, 0, v52, s13
	v_add_nc_u32_e32 v51, v51, v52
	ds_store_b32 v81, v51
.LBB2054_108:                           ;   in Loop: Header=BB2054_96 Depth=1
	s_wait_alu 0xfffe
	s_or_b32 exec_lo, exec_lo, s14
	v_mov_b32_e32 v51, 0
	s_wait_loadcnt_dscnt 0x0
	s_barrier_signal -1
	s_barrier_wait -1
	global_inv scope:SCOPE_SE
	s_and_saveexec_b32 s14, s7
; %bb.109:                              ;   in Loop: Header=BB2054_96 Depth=1
	ds_load_b32 v51, v83
; %bb.110:                              ;   in Loop: Header=BB2054_96 Depth=1
	s_wait_alu 0xfffe
	s_or_b32 exec_lo, exec_lo, s14
	s_wait_dscnt 0x0
	v_add_nc_u32_e32 v50, v51, v50
	v_add_nc_u32_e32 v10, 8, v10
	s_mov_b32 s20, -1
                                        ; implicit-def: $vgpr103
                                        ; implicit-def: $vgpr112
	ds_bpermute_b32 v50, v71, v50
	s_wait_dscnt 0x0
	v_cndmask_b32_e64 v50, v50, v51, s2
	s_delay_alu instid0(VALU_DEP_1) | instskip(NEXT) | instid1(VALU_DEP_1)
	v_cndmask_b32_e64 v50, v50, 0, s10
	v_add_nc_u32_e32 v36, v50, v36
	s_delay_alu instid0(VALU_DEP_1)
	v_add_nc_u32_e32 v37, v36, v37
	ds_store_b32 v32, v50
	ds_store_b32 v54, v36
	;; [unrolled: 1-line block ×3, first 2 shown]
	v_mov_b32_e32 v36, v5
	v_add_nc_u32_e32 v38, v37, v38
	s_delay_alu instid0(VALU_DEP_1) | instskip(NEXT) | instid1(VALU_DEP_1)
	v_add_nc_u32_e32 v39, v38, v39
	v_add_nc_u32_e32 v48, v39, v48
	s_delay_alu instid0(VALU_DEP_1) | instskip(NEXT) | instid1(VALU_DEP_1)
	v_add_nc_u32_e32 v49, v48, v49
	v_add_nc_u32_e32 v35, v49, v35
	ds_store_b32 v64, v38
	ds_store_b32 v65, v39
	;; [unrolled: 1-line block ×5, first 2 shown]
	s_wait_loadcnt_dscnt 0x0
	s_barrier_signal -1
	s_barrier_wait -1
	global_inv scope:SCOPE_SE
	ds_load_b32 v8, v8
	ds_load_b32 v24, v24
	;; [unrolled: 1-line block ×4, first 2 shown]
	v_dual_mov_b32 v9, v5 :: v_dual_mov_b32 v38, v5
	s_wait_loadcnt_dscnt 0x0
	v_add_nc_u32_e32 v4, v8, v4
	v_add3_u32 v8, v23, v22, v24
	v_add3_u32 v35, v26, v25, v27
	;; [unrolled: 1-line block ×3, first 2 shown]
	s_delay_alu instid0(VALU_DEP_4) | instskip(NEXT) | instid1(VALU_DEP_4)
	v_lshlrev_b64_e32 v[22:23], 1, v[4:5]
	v_lshlrev_b64_e32 v[24:25], 1, v[8:9]
	s_delay_alu instid0(VALU_DEP_4) | instskip(NEXT) | instid1(VALU_DEP_4)
	v_lshlrev_b64_e32 v[26:27], 1, v[35:36]
	v_lshlrev_b64_e32 v[28:29], 1, v[37:38]
                                        ; implicit-def: $vgpr9
                                        ; implicit-def: $vgpr36
	s_delay_alu instid0(VALU_DEP_4)
	v_add_co_u32 v52, s15, v12, v22
	s_wait_alu 0xf1ff
	v_add_co_ci_u32_e64 v53, null, v13, v23, s15
	v_add_co_u32 v50, s15, v12, v24
	s_wait_alu 0xf1ff
	v_add_co_ci_u32_e64 v51, null, v13, v25, s15
	;; [unrolled: 3-line block ×4, first 2 shown]
	s_mov_b32 s15, exec_lo
                                        ; implicit-def: $vgpr22_vgpr23_vgpr24_vgpr25_vgpr26_vgpr27_vgpr28_vgpr29
	v_cmpx_lt_u32_e64 v10, v11
	s_cbranch_execz .LBB2054_95
; %bb.111:                              ;   in Loop: Header=BB2054_96 Depth=1
	v_mad_co_u64_u32 v[22:23], null, v4, 6, v[52:53]
	v_mad_co_u64_u32 v[23:24], null, v8, 6, v[50:51]
	;; [unrolled: 1-line block ×4, first 2 shown]
	s_barrier_signal -1
	s_barrier_wait -1
	global_inv scope:SCOPE_SE
	ds_store_b16 v52, v99
	ds_store_b16 v50, v101
	;; [unrolled: 1-line block ×4, first 2 shown]
	s_wait_loadcnt_dscnt 0x0
	s_barrier_signal -1
	s_barrier_wait -1
	global_inv scope:SCOPE_SE
	ds_load_u16 v9, v66
	ds_load_u16 v103, v84
	;; [unrolled: 1-line block ×4, first 2 shown]
	s_wait_loadcnt_dscnt 0x0
	s_barrier_signal -1
	s_barrier_wait -1
	global_inv scope:SCOPE_SE
	ds_store_b64 v22, v[14:15]
	ds_store_b64 v23, v[16:17]
	ds_store_b64 v24, v[18:19]
	ds_store_b64 v25, v[20:21]
	s_wait_loadcnt_dscnt 0x0
	s_barrier_signal -1
	s_barrier_wait -1
	global_inv scope:SCOPE_SE
	ds_load_b64 v[22:23], v82
	ds_load_b64 v[24:25], v87
	ds_load_b64 v[26:27], v96
	ds_load_b64 v[28:29], v97
	v_add_nc_u32_e32 v98, -8, v98
	s_xor_b32 s20, exec_lo, -1
	s_wait_loadcnt_dscnt 0x0
	s_barrier_signal -1
	s_barrier_wait -1
	global_inv scope:SCOPE_SE
	s_branch .LBB2054_95
.LBB2054_112:
	flat_load_b64 v[33:34], v[4:5]
	s_wait_alu 0xfffe
	s_or_b32 exec_lo, exec_lo, s7
                                        ; implicit-def: $vgpr35_vgpr36
	s_and_saveexec_b32 s7, s0
	s_cbranch_execz .LBB2054_20
.LBB2054_113:
	flat_load_b64 v[35:36], v[4:5] offset:256
	s_wait_alu 0xfffe
	s_or_b32 exec_lo, exec_lo, s7
                                        ; implicit-def: $vgpr37_vgpr38
	s_and_saveexec_b32 s0, s1
	s_cbranch_execz .LBB2054_21
.LBB2054_114:
	flat_load_b64 v[37:38], v[4:5] offset:512
	s_wait_alu 0xfffe
	s_or_b32 exec_lo, exec_lo, s0
                                        ; implicit-def: $vgpr48_vgpr49
	s_and_saveexec_b32 s0, s2
	s_cbranch_execz .LBB2054_22
.LBB2054_115:
	flat_load_b64 v[48:49], v[4:5] offset:768
	s_wait_alu 0xfffe
	s_or_b32 exec_lo, exec_lo, s0
                                        ; implicit-def: $vgpr50_vgpr51
	s_and_saveexec_b32 s0, s3
	s_cbranch_execz .LBB2054_23
.LBB2054_116:
	flat_load_b64 v[50:51], v[4:5] offset:1024
	s_wait_alu 0xfffe
	s_or_b32 exec_lo, exec_lo, s0
                                        ; implicit-def: $vgpr52_vgpr53
	s_and_saveexec_b32 s0, s4
	s_cbranch_execz .LBB2054_24
.LBB2054_117:
	flat_load_b64 v[52:53], v[4:5] offset:1280
	s_wait_alu 0xfffe
	s_or_b32 exec_lo, exec_lo, s0
                                        ; implicit-def: $vgpr54_vgpr55
	s_and_saveexec_b32 s0, s5
	s_cbranch_execz .LBB2054_25
.LBB2054_118:
	flat_load_b64 v[54:55], v[4:5] offset:1536
	s_wait_alu 0xfffe
	s_or_b32 exec_lo, exec_lo, s0
                                        ; implicit-def: $vgpr64_vgpr65
	s_and_saveexec_b32 s0, s6
	s_cbranch_execnz .LBB2054_26
	s_branch .LBB2054_27
.LBB2054_119:
	flat_store_b64 v[0:1], v[20:21]
	s_wait_alu 0xfffe
	s_or_b32 exec_lo, exec_lo, s7
	s_and_saveexec_b32 s7, s0
	s_cbranch_execz .LBB2054_71
.LBB2054_120:
	flat_store_b64 v[0:1], v[22:23] offset:2048
	s_wait_alu 0xfffe
	s_or_b32 exec_lo, exec_lo, s7
	s_and_saveexec_b32 s0, s1
	s_cbranch_execz .LBB2054_72
.LBB2054_121:
	flat_store_b64 v[0:1], v[16:17] offset:4096
	s_wait_alu 0xfffe
	s_or_b32 exec_lo, exec_lo, s0
	s_and_saveexec_b32 s0, s2
	s_cbranch_execz .LBB2054_73
.LBB2054_122:
	flat_store_b64 v[0:1], v[18:19] offset:6144
	s_wait_alu 0xfffe
	s_or_b32 exec_lo, exec_lo, s0
	s_and_saveexec_b32 s0, s3
	s_cbranch_execz .LBB2054_74
.LBB2054_123:
	flat_store_b64 v[0:1], v[12:13] offset:8192
	s_wait_alu 0xfffe
	s_or_b32 exec_lo, exec_lo, s0
	s_and_saveexec_b32 s0, s4
	s_cbranch_execz .LBB2054_75
.LBB2054_124:
	flat_store_b64 v[0:1], v[14:15] offset:10240
	s_wait_alu 0xfffe
	s_or_b32 exec_lo, exec_lo, s0
	s_and_saveexec_b32 s0, s5
	s_cbranch_execz .LBB2054_76
.LBB2054_125:
	flat_store_b64 v[0:1], v[8:9] offset:12288
	s_wait_alu 0xfffe
	s_or_b32 exec_lo, exec_lo, s0
	s_and_saveexec_b32 s0, s6
	s_cbranch_execnz .LBB2054_77
	s_branch .LBB2054_78
.LBB2054_126:
	s_or_b32 exec_lo, exec_lo, s19
	v_lshl_add_u32 v25, v30, 1, v12
	v_mad_co_u64_u32 v[9:10], null, v4, 6, v[52:53]
	v_mul_u32_u24_e32 v4, 6, v30
	v_mad_co_u64_u32 v[10:11], null, v8, 6, v[50:51]
	v_mad_co_u64_u32 v[11:12], null, v35, 6, v[48:49]
	;; [unrolled: 1-line block ×3, first 2 shown]
	s_delay_alu instid0(VALU_DEP_4)
	v_add_nc_u32_e32 v4, v25, v4
	s_barrier_signal -1
	s_barrier_wait -1
	s_wait_loadcnt 0x0
	global_inv scope:SCOPE_SE
	ds_store_b16 v52, v99
	ds_store_b16 v50, v101
	;; [unrolled: 1-line block ×4, first 2 shown]
	s_wait_loadcnt_dscnt 0x0
	s_barrier_signal -1
	s_barrier_wait -1
	global_inv scope:SCOPE_SE
	ds_load_u16 v24, v25
	ds_load_u16 v23, v25 offset:512
	ds_load_u16 v22, v25 offset:1024
	ds_load_u16 v5, v25 offset:1536
	s_wait_loadcnt_dscnt 0x0
	s_barrier_signal -1
	s_barrier_wait -1
	global_inv scope:SCOPE_SE
	ds_store_b64 v9, v[14:15]
	ds_store_b64 v10, v[16:17]
	;; [unrolled: 1-line block ×4, first 2 shown]
	s_wait_loadcnt_dscnt 0x0
	s_barrier_signal -1
	s_barrier_wait -1
	global_inv scope:SCOPE_SE
	ds_load_2addr_stride64_b64 v[12:15], v4 offset1:4
	ds_load_2addr_stride64_b64 v[8:11], v4 offset0:8 offset1:12
	v_mov_b32_e32 v32, 0
	v_add_co_u32 v2, vcc_lo, v2, v33
	s_wait_alu 0xfffd
	v_add_co_ci_u32_e64 v3, null, v3, v34, vcc_lo
	s_delay_alu instid0(VALU_DEP_3)
	v_lshlrev_b64_e32 v[16:17], 1, v[31:32]
	s_wait_loadcnt_dscnt 0x0
	s_barrier_signal -1
	s_barrier_wait -1
	global_inv scope:SCOPE_SE
	v_add_co_u32 v2, vcc_lo, v2, v16
	s_wait_alu 0xfffd
	v_add_co_ci_u32_e64 v3, null, v3, v17, vcc_lo
	v_cmp_lt_u32_e32 vcc_lo, v31, v128
	s_and_saveexec_b32 s1, vcc_lo
	s_cbranch_execz .LBB2054_128
; %bb.127:
	v_cmp_lt_i16_e64 s0, -1, v24
	s_wait_alu 0xf1ff
	s_delay_alu instid0(VALU_DEP_1) | instskip(NEXT) | instid1(VALU_DEP_1)
	v_cndmask_b32_e64 v4, 0xffff8000, -1, s0
	v_xor_b32_e32 v4, v4, v24
	flat_store_b16 v[2:3], v4
.LBB2054_128:
	s_wait_alu 0xfffe
	s_or_b32 exec_lo, exec_lo, s1
	v_add_nc_u32_e32 v4, 0x100, v31
	s_delay_alu instid0(VALU_DEP_1)
	v_cmp_lt_u32_e64 s0, v4, v128
	s_and_saveexec_b32 s2, s0
	s_cbranch_execz .LBB2054_130
; %bb.129:
	v_cmp_lt_i16_e64 s1, -1, v23
	s_wait_alu 0xf1ff
	s_delay_alu instid0(VALU_DEP_1) | instskip(NEXT) | instid1(VALU_DEP_1)
	v_cndmask_b32_e64 v4, 0xffff8000, -1, s1
	v_xor_b32_e32 v4, v4, v23
	flat_store_b16 v[2:3], v4 offset:512
.LBB2054_130:
	s_wait_alu 0xfffe
	s_or_b32 exec_lo, exec_lo, s2
	v_add_nc_u32_e32 v4, 0x200, v31
	s_delay_alu instid0(VALU_DEP_1)
	v_cmp_lt_u32_e64 s1, v4, v128
	s_and_saveexec_b32 s3, s1
	s_cbranch_execz .LBB2054_132
; %bb.131:
	v_cmp_lt_i16_e64 s2, -1, v22
	s_wait_alu 0xf1ff
	s_delay_alu instid0(VALU_DEP_1) | instskip(NEXT) | instid1(VALU_DEP_1)
	v_cndmask_b32_e64 v4, 0xffff8000, -1, s2
	v_xor_b32_e32 v4, v4, v22
	flat_store_b16 v[2:3], v4 offset:1024
.LBB2054_132:
	s_wait_alu 0xfffe
	s_or_b32 exec_lo, exec_lo, s3
	v_add_nc_u32_e32 v4, 0x300, v31
	s_delay_alu instid0(VALU_DEP_1)
	v_cmp_lt_u32_e64 s2, v4, v128
	s_and_saveexec_b32 s4, s2
	s_cbranch_execz .LBB2054_134
; %bb.133:
	v_cmp_lt_i16_e64 s3, -1, v5
	s_wait_alu 0xf1ff
	s_delay_alu instid0(VALU_DEP_1) | instskip(NEXT) | instid1(VALU_DEP_1)
	v_cndmask_b32_e64 v4, 0xffff8000, -1, s3
	v_xor_b32_e32 v4, v4, v5
	flat_store_b16 v[2:3], v4 offset:1536
.LBB2054_134:
	s_wait_alu 0xfffe
	s_or_b32 exec_lo, exec_lo, s4
	v_lshlrev_b64_e32 v[2:3], 3, v[31:32]
	v_add_co_u32 v0, s3, v6, v0
	s_wait_alu 0xf1ff
	v_add_co_ci_u32_e64 v1, null, v7, v1, s3
	s_delay_alu instid0(VALU_DEP_2) | instskip(SKIP_1) | instid1(VALU_DEP_2)
	v_add_co_u32 v0, s3, v0, v2
	s_wait_alu 0xf1ff
	v_add_co_ci_u32_e64 v1, null, v1, v3, s3
	s_and_saveexec_b32 s3, vcc_lo
	s_cbranch_execnz .LBB2054_167
; %bb.135:
	s_wait_alu 0xfffe
	s_or_b32 exec_lo, exec_lo, s3
	s_and_saveexec_b32 s3, s0
	s_cbranch_execnz .LBB2054_168
.LBB2054_136:
	s_wait_alu 0xfffe
	s_or_b32 exec_lo, exec_lo, s3
	s_and_saveexec_b32 s0, s1
	s_cbranch_execnz .LBB2054_169
.LBB2054_137:
	s_wait_alu 0xfffe
	s_or_b32 exec_lo, exec_lo, s0
	s_and_saveexec_b32 s0, s2
	s_cbranch_execz .LBB2054_139
.LBB2054_138:
	flat_store_b64 v[0:1], v[10:11] offset:6144
.LBB2054_139:
	s_wait_alu 0xfffe
	s_or_b32 exec_lo, exec_lo, s0
                                        ; implicit-def: $vgpr128
                                        ; implicit-def: $vgpr0
                                        ; implicit-def: $vgpr1
                                        ; implicit-def: $vgpr2
                                        ; implicit-def: $vgpr3
                                        ; implicit-def: $vgpr4
                                        ; implicit-def: $vgpr5
                                        ; implicit-def: $vgpr6
                                        ; implicit-def: $vgpr7
                                        ; implicit-def: $vgpr8
                                        ; implicit-def: $vgpr10
                                        ; implicit-def: $vgpr11
                                        ; implicit-def: $vgpr12
                                        ; implicit-def: $vgpr13
                                        ; implicit-def: $vgpr9
                                        ; implicit-def: $vgpr14
                                        ; implicit-def: $vgpr30
                                        ; implicit-def: $vgpr66
.LBB2054_140:
	s_wait_alu 0xfffe
	s_and_not1_saveexec_b32 s0, s17
	s_cbranch_execz .LBB2054_199
; %bb.141:
	s_load_b64 s[0:1], s[8:9], 0x0
	s_and_b32 s2, ttmp7, 0xffff
	s_mov_b32 s3, 0
	s_wait_kmcnt 0x0
	s_wait_alu 0xfffe
	s_cmp_lt_u32 s2, s1
	s_cselect_b32 s2, 14, 20
	s_cmp_lt_u32 ttmp9, s0
	s_wait_alu 0xfffe
	s_add_nc_u64 s[4:5], s[8:9], s[2:3]
	s_cselect_b32 s2, 12, 18
	s_load_u16 s4, s[4:5], 0x0
	s_add_nc_u64 s[0:1], s[8:9], s[2:3]
	s_load_u16 s0, s[0:1], 0x0
	s_wait_kmcnt 0x0
	v_mad_u32_u24 v14, v14, s4, v9
	v_mov_b32_e32 v9, 0
	s_delay_alu instid0(VALU_DEP_2) | instskip(NEXT) | instid1(VALU_DEP_2)
	v_mad_co_u64_u32 v[14:15], null, v14, s0, v[30:31]
	v_lshlrev_b64_e32 v[16:17], 1, v[8:9]
	s_mov_b32 s0, exec_lo
	v_cmpx_lt_u32_e32 0x100, v128
	s_wait_alu 0xfffe
	s_xor_b32 s14, exec_lo, s0
	s_cbranch_execz .LBB2054_179
; %bb.142:
	s_delay_alu instid0(VALU_DEP_3) | instskip(SKIP_1) | instid1(VALU_DEP_2)
	v_dual_mov_b32 v24, 0x7fff :: v_dual_lshlrev_b32 v15, 1, v14
	v_dual_mov_b32 v19, v9 :: v_dual_lshlrev_b32 v20, 1, v66
	v_and_b32_e32 v18, 0xffffffc0, v15
	v_add_co_u32 v15, vcc_lo, v0, v16
	s_wait_alu 0xfffd
	v_add_co_ci_u32_e64 v21, null, v1, v17, vcc_lo
	s_delay_alu instid0(VALU_DEP_3) | instskip(NEXT) | instid1(VALU_DEP_3)
	v_lshlrev_b64_e32 v[0:1], 1, v[18:19]
	v_add_co_u32 v15, vcc_lo, v15, v20
	s_wait_alu 0xfffd
	s_delay_alu instid0(VALU_DEP_3) | instskip(SKIP_1) | instid1(VALU_DEP_3)
	v_add_co_ci_u32_e64 v21, null, 0, v21, vcc_lo
	v_or_b32_e32 v20, v66, v18
	v_add_co_u32 v0, vcc_lo, v15, v0
	s_wait_alu 0xfffd
	s_delay_alu instid0(VALU_DEP_3) | instskip(NEXT) | instid1(VALU_DEP_3)
	v_add_co_ci_u32_e64 v1, null, v21, v1, vcc_lo
	v_cmp_lt_u32_e32 vcc_lo, v20, v128
	v_mov_b32_e32 v15, 0x7fff
	s_and_saveexec_b32 s0, vcc_lo
	s_cbranch_execz .LBB2054_144
; %bb.143:
	flat_load_u16 v24, v[0:1]
.LBB2054_144:
	s_wait_alu 0xfffe
	s_or_b32 exec_lo, exec_lo, s0
	v_or_b32_e32 v20, 32, v20
	s_delay_alu instid0(VALU_DEP_1)
	v_cmp_lt_u32_e64 s0, v20, v128
	s_and_saveexec_b32 s1, s0
	s_cbranch_execz .LBB2054_146
; %bb.145:
	flat_load_u16 v15, v[0:1] offset:64
.LBB2054_146:
	s_wait_alu 0xfffe
	s_or_b32 exec_lo, exec_lo, s1
	v_lshlrev_b64_e32 v[0:1], 3, v[8:9]
	v_lshlrev_b32_e32 v22, 3, v66
	v_lshlrev_b64_e32 v[8:9], 3, v[18:19]
	v_mov_b32_e32 v20, 0
	v_mov_b32_e32 v21, 0
	v_add_co_u32 v4, s1, v4, v0
	s_wait_alu 0xf1ff
	v_add_co_ci_u32_e64 v5, null, v5, v1, s1
	s_delay_alu instid0(VALU_DEP_2) | instskip(SKIP_1) | instid1(VALU_DEP_2)
	v_add_co_u32 v4, s1, v4, v22
	s_wait_alu 0xf1ff
	v_add_co_ci_u32_e64 v5, null, 0, v5, s1
	v_mov_b32_e32 v22, 0
	s_delay_alu instid0(VALU_DEP_3)
	v_add_co_u32 v4, s1, v4, v8
	v_mov_b32_e32 v23, 0
	s_wait_alu 0xf1ff
	v_add_co_ci_u32_e64 v5, null, v5, v9, s1
	s_and_saveexec_b32 s1, vcc_lo
	s_cbranch_execz .LBB2054_148
; %bb.147:
	flat_load_b64 v[22:23], v[4:5]
.LBB2054_148:
	s_wait_alu 0xfffe
	s_or_b32 exec_lo, exec_lo, s1
	s_and_saveexec_b32 s1, s0
	s_cbranch_execz .LBB2054_150
; %bb.149:
	flat_load_b64 v[20:21], v[4:5] offset:256
.LBB2054_150:
	s_wait_alu 0xfffe
	s_or_b32 exec_lo, exec_lo, s1
	s_wait_loadcnt_dscnt 0x0
	v_cmp_lt_i16_e32 vcc_lo, -1, v24
	v_lshl_add_u32 v8, v30, 5, v12
	v_sub_co_u32 v9, s2, v66, 1
	s_getpc_b64 s[0:1]
	s_wait_alu 0xfffe
	s_sext_i32_i16 s1, s1
	s_add_co_u32 s0, s0, _ZN7rocprim17ROCPRIM_400000_NS16block_radix_sortI12hip_bfloat16Lj256ELj2ElLj1ELj1ELj8ELNS0_26block_radix_rank_algorithmE2ELNS0_18block_padding_hintE2ELNS0_4arch9wavefront6targetE0EE19radix_bits_per_passE@rel32@lo+12
	s_wait_alu 0xfffe
	s_add_co_ci_u32 s1, s1, _ZN7rocprim17ROCPRIM_400000_NS16block_radix_sortI12hip_bfloat16Lj256ELj2ElLj1ELj1ELj8ELNS0_26block_radix_rank_algorithmE2ELNS0_18block_padding_hintE2ELNS0_4arch9wavefront6targetE0EE19radix_bits_per_passE@rel32@hi+24
	s_wait_alu 0xfffd
	v_cndmask_b32_e64 v4, -1, 0xffff8000, vcc_lo
	v_cmp_lt_i16_e32 vcc_lo, -1, v15
	v_add_nc_u32_e32 v29, 36, v8
	v_add_nc_u32_e32 v31, 40, v8
	;; [unrolled: 1-line block ×3, first 2 shown]
	v_xor_b32_e32 v67, v4, v24
	v_and_b32_e32 v4, 0x3e0, v30
	s_wait_alu 0xfffd
	v_cndmask_b32_e64 v5, -1, 0xffff8000, vcc_lo
	v_add_nc_u32_e32 v33, 48, v8
	v_add_nc_u32_e32 v34, 52, v8
	;; [unrolled: 1-line block ×3, first 2 shown]
	v_min_u32_e32 v4, 0xe0, v4
	v_xor_b32_e32 v65, v5, v15
	v_add_nc_u32_e32 v15, 32, v8
	v_and_b32_e32 v5, 15, v66
	v_add_nc_u32_e32 v36, 60, v8
	v_or_b32_e32 v4, 31, v4
	v_and_b32_e32 v8, 16, v66
	v_cmp_gt_i32_e64 s6, 0, v9
	s_load_b32 s15, s[0:1], 0x0
	v_cmp_eq_u32_e32 vcc_lo, 0, v5
	v_cmp_eq_u32_e64 s5, v30, v4
	v_lshlrev_b32_e32 v4, 1, v30
	v_cmp_lt_u32_e64 s0, 1, v5
	v_cmp_lt_u32_e64 s1, 3, v5
	;; [unrolled: 1-line block ×3, first 2 shown]
	v_cmp_eq_u32_e64 s4, 0, v8
	v_cndmask_b32_e64 v5, v9, v66, s6
	v_lshrrev_b32_e32 v8, 3, v30
	v_and_or_b32 v4, 0x7c0, v4, v66
	v_lshrrev_b32_e32 v37, 5, v14
	v_cmp_gt_u32_e64 s6, 8, v30
	v_lshlrev_b32_e32 v38, 2, v5
	v_and_b32_e32 v5, 0x7c, v8
	v_lshl_add_u32 v39, v4, 1, v12
	v_mul_u32_u24_e32 v4, 6, v4
	v_and_b32_e32 v8, 7, v66
	v_cmp_lt_u32_e64 s7, 31, v30
	v_add_nc_u32_e32 v48, v12, v5
	v_cmp_eq_u32_e64 s8, 0, v30
	v_dual_mov_b32 v5, 0 :: v_dual_add_nc_u32 v50, v39, v4
	v_lshl_add_u32 v49, v30, 2, v12
	v_cmp_eq_u32_e64 s9, 0, v8
	v_cmp_lt_u32_e64 s10, 1, v8
	v_cmp_lt_u32_e64 s11, 3, v8
	v_add_nc_u32_e32 v51, -4, v48
	v_add_nc_u32_e32 v52, 64, v39
	v_add_nc_u32_e32 v53, 0x100, v50
	v_sub_nc_u32_e32 v54, v11, v10
	s_mov_b32 s17, 0
	s_wait_storecnt 0x0
	s_barrier_signal -1
	s_barrier_wait -1
	global_inv scope:SCOPE_SE
	s_branch .LBB2054_152
.LBB2054_151:                           ;   in Loop: Header=BB2054_152 Depth=1
	s_wait_alu 0xfffe
	s_or_b32 exec_lo, exec_lo, s13
	s_delay_alu instid0(SALU_CYCLE_1)
	s_and_b32 s12, exec_lo, s18
	s_wait_alu 0xfffe
	s_or_b32 s17, s12, s17
	s_wait_alu 0xfffe
	s_and_not1_b32 exec_lo, exec_lo, s17
	s_cbranch_execz .LBB2054_170
.LBB2054_152:                           ; =>This Inner Loop Header: Depth=1
	v_mov_b32_e32 v55, v67
	s_wait_kmcnt 0x0
	v_min_u32_e32 v4, s15, v54
	ds_store_b32 v15, v5
	ds_store_b32 v29, v5
	;; [unrolled: 1-line block ×6, first 2 shown]
	v_cmp_ne_u16_e64 s12, 0x7fff, v55
	v_lshlrev_b32_e64 v4, v4, -1
	ds_store_b32 v35, v5
	ds_store_b32 v36, v5
	s_wait_loadcnt_dscnt 0x0
	s_barrier_signal -1
	s_wait_alu 0xf1ff
	v_cndmask_b32_e64 v8, 0xffff8000, v55, s12
	v_not_b32_e32 v24, v4
	s_barrier_wait -1
	global_inv scope:SCOPE_SE
	v_and_b32_e32 v8, 0xffff, v8
	; wave barrier
	s_delay_alu instid0(VALU_DEP_1) | instskip(SKIP_1) | instid1(VALU_DEP_2)
	v_lshrrev_b32_e32 v4, v10, v8
	v_dual_mov_b32 v8, v20 :: v_dual_mov_b32 v9, v21
	v_and_b32_e32 v4, v4, v24
	v_dual_mov_b32 v18, v22 :: v_dual_mov_b32 v19, v23
	s_delay_alu instid0(VALU_DEP_2)
	v_and_b32_e32 v20, 1, v4
	v_lshlrev_b32_e32 v21, 30, v4
	v_lshlrev_b32_e32 v22, 29, v4
	;; [unrolled: 1-line block ×4, first 2 shown]
	v_add_co_u32 v20, s12, v20, -1
	s_wait_alu 0xf1ff
	v_cndmask_b32_e64 v25, 0, 1, s12
	v_not_b32_e32 v64, v21
	v_cmp_gt_i32_e64 s13, 0, v21
	v_not_b32_e32 v21, v22
	v_lshlrev_b32_e32 v27, 26, v4
	v_cmp_ne_u32_e64 s12, 0, v25
	v_ashrrev_i32_e32 v64, 31, v64
	v_lshlrev_b32_e32 v28, 25, v4
	v_ashrrev_i32_e32 v21, 31, v21
	v_lshlrev_b32_e32 v25, 24, v4
	s_wait_alu 0xf1ff
	v_xor_b32_e32 v20, s12, v20
	v_xor_b32_e32 v64, s13, v64
	v_cmp_gt_i32_e64 s12, 0, v22
	v_lshlrev_b32_e32 v4, 3, v4
	s_delay_alu instid0(VALU_DEP_4) | instskip(SKIP_1) | instid1(VALU_DEP_3)
	v_and_b32_e32 v20, exec_lo, v20
	s_wait_alu 0xf1ff
	v_xor_b32_e32 v21, s12, v21
	v_cmp_gt_i32_e64 s12, 0, v26
	s_delay_alu instid0(VALU_DEP_3)
	v_and_b32_e32 v20, v20, v64
	v_mov_b32_e32 v64, v65
	v_not_b32_e32 v22, v23
	v_cmp_gt_i32_e64 s13, 0, v23
	v_not_b32_e32 v23, v26
	v_not_b32_e32 v26, v27
	v_and_b32_e32 v20, v20, v21
	v_ashrrev_i32_e32 v22, 31, v22
	v_not_b32_e32 v21, v28
	v_ashrrev_i32_e32 v23, 31, v23
	v_ashrrev_i32_e32 v26, 31, v26
	s_wait_alu 0xf1ff
	v_xor_b32_e32 v22, s13, v22
	v_cmp_gt_i32_e64 s13, 0, v27
	v_xor_b32_e32 v23, s12, v23
	v_cmp_gt_i32_e64 s12, 0, v28
	v_ashrrev_i32_e32 v21, 31, v21
	v_and_b32_e32 v20, v20, v22
	v_not_b32_e32 v22, v25
	s_wait_alu 0xf1ff
	v_xor_b32_e32 v26, s13, v26
	v_cmp_gt_i32_e64 s13, 0, v25
	v_xor_b32_e32 v21, s12, v21
	v_and_b32_e32 v20, v20, v23
	v_ashrrev_i32_e32 v22, 31, v22
	s_delay_alu instid0(VALU_DEP_2) | instskip(SKIP_1) | instid1(VALU_DEP_2)
	v_and_b32_e32 v20, v20, v26
	s_wait_alu 0xf1ff
	v_xor_b32_e32 v22, s13, v22
	s_delay_alu instid0(VALU_DEP_2) | instskip(NEXT) | instid1(VALU_DEP_1)
	v_and_b32_e32 v20, v20, v21
	v_and_b32_e32 v21, v20, v22
	v_add_lshl_u32 v20, v4, v37, 2
	s_delay_alu instid0(VALU_DEP_2) | instskip(NEXT) | instid1(VALU_DEP_2)
	v_mbcnt_lo_u32_b32 v4, v21, 0
	v_add_co_u32 v20, null, v12, v20
	v_cmp_ne_u32_e64 s13, 0, v21
	s_delay_alu instid0(VALU_DEP_3) | instskip(NEXT) | instid1(VALU_DEP_3)
	v_cmp_eq_u32_e64 s12, 0, v4
	v_add_co_u32 v20, null, v20, 32
	s_and_b32 s13, s13, s12
	s_wait_alu 0xfffe
	s_and_saveexec_b32 s12, s13
; %bb.153:                              ;   in Loop: Header=BB2054_152 Depth=1
	v_bcnt_u32_b32 v21, v21, 0
	ds_store_b32 v20, v21
; %bb.154:                              ;   in Loop: Header=BB2054_152 Depth=1
	s_wait_alu 0xfffe
	s_or_b32 exec_lo, exec_lo, s12
	v_cmp_ne_u16_e64 s12, 0x7fff, v64
	; wave barrier
	s_wait_alu 0xf1ff
	s_delay_alu instid0(VALU_DEP_1) | instskip(NEXT) | instid1(VALU_DEP_1)
	v_cndmask_b32_e64 v21, 0xffff8000, v64, s12
	v_and_b32_e32 v21, 0xffff, v21
	s_delay_alu instid0(VALU_DEP_1) | instskip(NEXT) | instid1(VALU_DEP_1)
	v_lshrrev_b32_e32 v21, v10, v21
	v_and_b32_e32 v21, v21, v24
	s_delay_alu instid0(VALU_DEP_1)
	v_and_b32_e32 v22, 1, v21
	v_lshlrev_b32_e32 v23, 30, v21
	v_lshlrev_b32_e32 v24, 29, v21
	;; [unrolled: 1-line block ×4, first 2 shown]
	v_add_co_u32 v22, s12, v22, -1
	s_wait_alu 0xf1ff
	v_cndmask_b32_e64 v26, 0, 1, s12
	v_not_b32_e32 v66, v23
	v_cmp_gt_i32_e64 s13, 0, v23
	v_not_b32_e32 v23, v24
	v_lshlrev_b32_e32 v28, 26, v21
	v_cmp_ne_u32_e64 s12, 0, v26
	v_ashrrev_i32_e32 v66, 31, v66
	v_lshlrev_b32_e32 v65, 25, v21
	v_ashrrev_i32_e32 v23, 31, v23
	v_lshlrev_b32_e32 v26, 24, v21
	s_wait_alu 0xf1ff
	v_xor_b32_e32 v22, s12, v22
	v_cmp_gt_i32_e64 s12, 0, v24
	v_not_b32_e32 v24, v25
	v_xor_b32_e32 v66, s13, v66
	v_cmp_gt_i32_e64 s13, 0, v25
	v_and_b32_e32 v22, exec_lo, v22
	v_not_b32_e32 v25, v27
	v_ashrrev_i32_e32 v24, 31, v24
	s_wait_alu 0xf1ff
	v_xor_b32_e32 v23, s12, v23
	v_cmp_gt_i32_e64 s12, 0, v27
	v_and_b32_e32 v22, v22, v66
	v_not_b32_e32 v27, v28
	v_ashrrev_i32_e32 v25, 31, v25
	v_xor_b32_e32 v24, s13, v24
	v_cmp_gt_i32_e64 s13, 0, v28
	v_and_b32_e32 v22, v22, v23
	v_not_b32_e32 v23, v65
	v_ashrrev_i32_e32 v27, 31, v27
	s_wait_alu 0xf1ff
	v_xor_b32_e32 v25, s12, v25
	v_cmp_gt_i32_e64 s12, 0, v65
	v_and_b32_e32 v22, v22, v24
	v_not_b32_e32 v24, v26
	v_ashrrev_i32_e32 v23, 31, v23
	v_xor_b32_e32 v27, s13, v27
	v_lshl_add_u32 v21, v21, 3, v37
	v_and_b32_e32 v22, v22, v25
	v_cmp_gt_i32_e64 s13, 0, v26
	v_ashrrev_i32_e32 v24, 31, v24
	s_wait_alu 0xf1ff
	v_xor_b32_e32 v23, s12, v23
	v_lshl_add_u32 v25, v21, 2, v12
	v_and_b32_e32 v22, v22, v27
	v_xor_b32_e32 v24, s13, v24
	ds_load_b32 v21, v25 offset:32
	v_and_b32_e32 v22, v22, v23
	v_add_nc_u32_e32 v23, 32, v25
	; wave barrier
	s_delay_alu instid0(VALU_DEP_2) | instskip(NEXT) | instid1(VALU_DEP_1)
	v_and_b32_e32 v24, v22, v24
	v_mbcnt_lo_u32_b32 v22, v24, 0
	v_cmp_ne_u32_e64 s13, 0, v24
	s_delay_alu instid0(VALU_DEP_2)
	v_cmp_eq_u32_e64 s12, 0, v22
	s_and_b32 s13, s13, s12
	s_wait_alu 0xfffe
	s_and_saveexec_b32 s12, s13
	s_cbranch_execz .LBB2054_156
; %bb.155:                              ;   in Loop: Header=BB2054_152 Depth=1
	s_wait_dscnt 0x0
	v_bcnt_u32_b32 v24, v24, v21
	ds_store_b32 v23, v24
.LBB2054_156:                           ;   in Loop: Header=BB2054_152 Depth=1
	s_wait_alu 0xfffe
	s_or_b32 exec_lo, exec_lo, s12
	; wave barrier
	s_wait_loadcnt_dscnt 0x0
	s_barrier_signal -1
	s_barrier_wait -1
	global_inv scope:SCOPE_SE
	ds_load_b32 v25, v15
	ds_load_b32 v26, v29
	;; [unrolled: 1-line block ×8, first 2 shown]
	s_wait_dscnt 0x6
	v_add_nc_u32_e32 v68, v26, v25
	s_wait_dscnt 0x4
	s_delay_alu instid0(VALU_DEP_1) | instskip(SKIP_1) | instid1(VALU_DEP_1)
	v_add3_u32 v68, v68, v27, v28
	s_wait_dscnt 0x2
	v_add3_u32 v68, v68, v65, v66
	s_wait_dscnt 0x0
	s_delay_alu instid0(VALU_DEP_1) | instskip(NEXT) | instid1(VALU_DEP_1)
	v_add3_u32 v67, v68, v24, v67
	v_mov_b32_dpp v68, v67 row_shr:1 row_mask:0xf bank_mask:0xf
	s_wait_alu 0xfffd
	s_delay_alu instid0(VALU_DEP_1) | instskip(NEXT) | instid1(VALU_DEP_1)
	v_cndmask_b32_e64 v68, v68, 0, vcc_lo
	v_add_nc_u32_e32 v67, v68, v67
	s_delay_alu instid0(VALU_DEP_1) | instskip(NEXT) | instid1(VALU_DEP_1)
	v_mov_b32_dpp v68, v67 row_shr:2 row_mask:0xf bank_mask:0xf
	v_cndmask_b32_e64 v68, 0, v68, s0
	s_delay_alu instid0(VALU_DEP_1) | instskip(NEXT) | instid1(VALU_DEP_1)
	v_add_nc_u32_e32 v67, v67, v68
	v_mov_b32_dpp v68, v67 row_shr:4 row_mask:0xf bank_mask:0xf
	s_delay_alu instid0(VALU_DEP_1) | instskip(NEXT) | instid1(VALU_DEP_1)
	v_cndmask_b32_e64 v68, 0, v68, s1
	v_add_nc_u32_e32 v67, v67, v68
	s_delay_alu instid0(VALU_DEP_1) | instskip(NEXT) | instid1(VALU_DEP_1)
	v_mov_b32_dpp v68, v67 row_shr:8 row_mask:0xf bank_mask:0xf
	v_cndmask_b32_e64 v68, 0, v68, s3
	s_delay_alu instid0(VALU_DEP_1) | instskip(SKIP_3) | instid1(VALU_DEP_1)
	v_add_nc_u32_e32 v67, v67, v68
	ds_swizzle_b32 v68, v67 offset:swizzle(BROADCAST,32,15)
	s_wait_dscnt 0x0
	v_cndmask_b32_e64 v68, v68, 0, s4
	v_add_nc_u32_e32 v67, v67, v68
	s_and_saveexec_b32 s12, s5
; %bb.157:                              ;   in Loop: Header=BB2054_152 Depth=1
	ds_store_b32 v48, v67
; %bb.158:                              ;   in Loop: Header=BB2054_152 Depth=1
	s_wait_alu 0xfffe
	s_or_b32 exec_lo, exec_lo, s12
	s_wait_loadcnt_dscnt 0x0
	s_barrier_signal -1
	s_barrier_wait -1
	global_inv scope:SCOPE_SE
	s_and_saveexec_b32 s12, s6
	s_cbranch_execz .LBB2054_160
; %bb.159:                              ;   in Loop: Header=BB2054_152 Depth=1
	ds_load_b32 v68, v49
	s_wait_dscnt 0x0
	v_mov_b32_dpp v69, v68 row_shr:1 row_mask:0xf bank_mask:0xf
	s_delay_alu instid0(VALU_DEP_1) | instskip(NEXT) | instid1(VALU_DEP_1)
	v_cndmask_b32_e64 v69, v69, 0, s9
	v_add_nc_u32_e32 v68, v69, v68
	s_delay_alu instid0(VALU_DEP_1) | instskip(NEXT) | instid1(VALU_DEP_1)
	v_mov_b32_dpp v69, v68 row_shr:2 row_mask:0xf bank_mask:0xf
	v_cndmask_b32_e64 v69, 0, v69, s10
	s_delay_alu instid0(VALU_DEP_1) | instskip(NEXT) | instid1(VALU_DEP_1)
	v_add_nc_u32_e32 v68, v68, v69
	v_mov_b32_dpp v69, v68 row_shr:4 row_mask:0xf bank_mask:0xf
	s_delay_alu instid0(VALU_DEP_1) | instskip(NEXT) | instid1(VALU_DEP_1)
	v_cndmask_b32_e64 v69, 0, v69, s11
	v_add_nc_u32_e32 v68, v68, v69
	ds_store_b32 v49, v68
.LBB2054_160:                           ;   in Loop: Header=BB2054_152 Depth=1
	s_wait_alu 0xfffe
	s_or_b32 exec_lo, exec_lo, s12
	v_mov_b32_e32 v68, 0
	s_wait_loadcnt_dscnt 0x0
	s_barrier_signal -1
	s_barrier_wait -1
	global_inv scope:SCOPE_SE
	s_and_saveexec_b32 s12, s7
; %bb.161:                              ;   in Loop: Header=BB2054_152 Depth=1
	ds_load_b32 v68, v51
; %bb.162:                              ;   in Loop: Header=BB2054_152 Depth=1
	s_wait_alu 0xfffe
	s_or_b32 exec_lo, exec_lo, s12
	s_wait_dscnt 0x0
	v_add_nc_u32_e32 v67, v68, v67
	v_add_nc_u32_e32 v10, 8, v10
	s_mov_b32 s18, -1
	ds_bpermute_b32 v67, v38, v67
	s_wait_dscnt 0x0
	v_cndmask_b32_e64 v67, v67, v68, s2
	s_delay_alu instid0(VALU_DEP_1) | instskip(NEXT) | instid1(VALU_DEP_1)
	v_cndmask_b32_e64 v67, v67, 0, s8
	v_add_nc_u32_e32 v25, v67, v25
	s_delay_alu instid0(VALU_DEP_1)
	v_add_nc_u32_e32 v26, v25, v26
	ds_store_b32 v15, v67
	ds_store_b32 v29, v25
	;; [unrolled: 1-line block ×3, first 2 shown]
                                        ; implicit-def: $vgpr67
	v_mov_b32_e32 v25, v5
	v_add_nc_u32_e32 v27, v26, v27
	s_delay_alu instid0(VALU_DEP_1) | instskip(NEXT) | instid1(VALU_DEP_1)
	v_add_nc_u32_e32 v28, v27, v28
	v_add_nc_u32_e32 v65, v28, v65
	s_delay_alu instid0(VALU_DEP_1) | instskip(NEXT) | instid1(VALU_DEP_1)
	v_add_nc_u32_e32 v66, v65, v66
	v_add_nc_u32_e32 v24, v66, v24
	ds_store_b32 v32, v27
	ds_store_b32 v33, v28
	;; [unrolled: 1-line block ×5, first 2 shown]
	s_wait_loadcnt_dscnt 0x0
	s_barrier_signal -1
	s_barrier_wait -1
	global_inv scope:SCOPE_SE
	ds_load_b32 v20, v20
	ds_load_b32 v23, v23
                                        ; implicit-def: $vgpr65
	s_wait_loadcnt_dscnt 0x0
	v_add_nc_u32_e32 v4, v20, v4
	v_add3_u32 v24, v22, v21, v23
	s_delay_alu instid0(VALU_DEP_2) | instskip(NEXT) | instid1(VALU_DEP_2)
	v_lshlrev_b64_e32 v[20:21], 1, v[4:5]
	v_lshlrev_b64_e32 v[22:23], 1, v[24:25]
	s_delay_alu instid0(VALU_DEP_2) | instskip(SKIP_1) | instid1(VALU_DEP_3)
	v_add_co_u32 v25, s13, v12, v20
	s_wait_alu 0xf1ff
	v_add_co_ci_u32_e64 v26, null, v13, v21, s13
	s_delay_alu instid0(VALU_DEP_3)
	v_add_co_u32 v27, s13, v12, v22
	s_wait_alu 0xf1ff
	v_add_co_ci_u32_e64 v28, null, v13, v23, s13
	s_mov_b32 s13, exec_lo
                                        ; implicit-def: $vgpr20_vgpr21
                                        ; implicit-def: $vgpr22_vgpr23
	v_cmpx_lt_u32_e64 v10, v11
	s_cbranch_execz .LBB2054_151
; %bb.163:                              ;   in Loop: Header=BB2054_152 Depth=1
	v_mad_co_u64_u32 v[20:21], null, v4, 6, v[25:26]
	v_mad_co_u64_u32 v[21:22], null, v24, 6, v[27:28]
	s_barrier_signal -1
	s_barrier_wait -1
	global_inv scope:SCOPE_SE
	ds_store_b16 v25, v55
	ds_store_b16 v27, v64
	s_wait_loadcnt_dscnt 0x0
	s_barrier_signal -1
	s_barrier_wait -1
	global_inv scope:SCOPE_SE
	ds_load_u16 v67, v39
	ds_load_u16 v65, v52
	s_wait_loadcnt_dscnt 0x0
	s_barrier_signal -1
	s_barrier_wait -1
	global_inv scope:SCOPE_SE
	ds_store_b64 v20, v[18:19]
	ds_store_b64 v21, v[8:9]
	s_wait_loadcnt_dscnt 0x0
	s_barrier_signal -1
	s_barrier_wait -1
	global_inv scope:SCOPE_SE
	ds_load_b64 v[22:23], v50
	ds_load_b64 v[20:21], v53
	v_add_nc_u32_e32 v54, -8, v54
	s_xor_b32 s18, exec_lo, -1
	s_wait_loadcnt_dscnt 0x0
	s_barrier_signal -1
	s_barrier_wait -1
	global_inv scope:SCOPE_SE
	s_branch .LBB2054_151
.LBB2054_164:
	flat_load_b64 v[48:49], v[4:5]
	v_dual_mov_b32 v50, v22 :: v_dual_mov_b32 v51, v22
	v_dual_mov_b32 v52, v22 :: v_dual_mov_b32 v53, v22
	;; [unrolled: 1-line block ×3, first 2 shown]
	s_wait_loadcnt_dscnt 0x0
	v_dual_mov_b32 v22, v48 :: v_dual_mov_b32 v23, v49
	v_dual_mov_b32 v24, v50 :: v_dual_mov_b32 v25, v51
	v_dual_mov_b32 v26, v52 :: v_dual_mov_b32 v27, v53
	v_dual_mov_b32 v28, v54 :: v_dual_mov_b32 v29, v55
	s_wait_alu 0xfffe
	s_or_b32 exec_lo, exec_lo, s3
	s_and_saveexec_b32 s2, s0
	s_cbranch_execz .LBB2054_91
.LBB2054_165:
	flat_load_b64 v[24:25], v[4:5] offset:256
	s_wait_alu 0xfffe
	s_or_b32 exec_lo, exec_lo, s2
	s_and_saveexec_b32 s0, s1
	s_cbranch_execz .LBB2054_92
.LBB2054_166:
	flat_load_b64 v[26:27], v[4:5] offset:512
	s_wait_alu 0xfffe
	s_or_b32 exec_lo, exec_lo, s0
	s_and_saveexec_b32 s0, vcc_lo
	s_cbranch_execnz .LBB2054_93
	s_branch .LBB2054_94
.LBB2054_167:
	flat_store_b64 v[0:1], v[12:13]
	s_wait_alu 0xfffe
	s_or_b32 exec_lo, exec_lo, s3
	s_and_saveexec_b32 s3, s0
	s_cbranch_execz .LBB2054_136
.LBB2054_168:
	flat_store_b64 v[0:1], v[14:15] offset:2048
	s_wait_alu 0xfffe
	s_or_b32 exec_lo, exec_lo, s3
	s_and_saveexec_b32 s0, s1
	s_cbranch_execz .LBB2054_137
.LBB2054_169:
	flat_store_b64 v[0:1], v[8:9] offset:4096
	s_wait_alu 0xfffe
	s_or_b32 exec_lo, exec_lo, s0
	s_and_saveexec_b32 s0, s2
	s_cbranch_execnz .LBB2054_138
	s_branch .LBB2054_139
.LBB2054_170:
	s_or_b32 exec_lo, exec_lo, s17
	v_mad_co_u64_u32 v[10:11], null, v4, 6, v[25:26]
	v_lshl_add_u32 v13, v30, 1, v12
	v_mad_co_u64_u32 v[11:12], null, v24, 6, v[27:28]
	v_mul_u32_u24_e32 v12, 6, v30
	s_barrier_signal -1
	s_barrier_wait -1
	s_wait_loadcnt 0x0
	global_inv scope:SCOPE_SE
	ds_store_b16 v25, v55
	ds_store_b16 v27, v64
	s_wait_loadcnt_dscnt 0x0
	s_barrier_signal -1
	s_barrier_wait -1
	global_inv scope:SCOPE_SE
	ds_load_u16 v5, v13
	ds_load_u16 v4, v13 offset:512
	s_wait_loadcnt_dscnt 0x0
	s_barrier_signal -1
	s_barrier_wait -1
	global_inv scope:SCOPE_SE
	ds_store_b64 v10, v[18:19]
	ds_store_b64 v11, v[8:9]
	v_dual_mov_b32 v15, 0 :: v_dual_add_nc_u32 v8, v13, v12
	s_wait_loadcnt_dscnt 0x0
	s_barrier_signal -1
	s_barrier_wait -1
	global_inv scope:SCOPE_SE
	ds_load_2addr_stride64_b64 v[8:11], v8 offset1:4
	v_lshlrev_b64_e32 v[12:13], 1, v[14:15]
	v_add_co_u32 v2, vcc_lo, v2, v16
	s_wait_alu 0xfffd
	v_add_co_ci_u32_e64 v3, null, v3, v17, vcc_lo
	s_wait_loadcnt_dscnt 0x0
	s_delay_alu instid0(VALU_DEP_2) | instskip(SKIP_1) | instid1(VALU_DEP_2)
	v_add_co_u32 v2, vcc_lo, v2, v12
	s_wait_alu 0xfffd
	v_add_co_ci_u32_e64 v3, null, v3, v13, vcc_lo
	v_cmp_lt_u32_e32 vcc_lo, v14, v128
	s_barrier_signal -1
	s_barrier_wait -1
	global_inv scope:SCOPE_SE
	s_and_saveexec_b32 s1, vcc_lo
	s_cbranch_execz .LBB2054_172
; %bb.171:
	v_cmp_lt_i16_e64 s0, -1, v5
	s_wait_alu 0xf1ff
	s_delay_alu instid0(VALU_DEP_1) | instskip(NEXT) | instid1(VALU_DEP_1)
	v_cndmask_b32_e64 v12, 0xffff8000, -1, s0
	v_xor_b32_e32 v5, v12, v5
	flat_store_b16 v[2:3], v5
.LBB2054_172:
	s_wait_alu 0xfffe
	s_or_b32 exec_lo, exec_lo, s1
	v_add_nc_u32_e32 v5, 0x100, v14
	s_delay_alu instid0(VALU_DEP_1)
	v_cmp_lt_u32_e64 s0, v5, v128
	s_and_saveexec_b32 s2, s0
	s_cbranch_execz .LBB2054_174
; %bb.173:
	v_cmp_lt_i16_e64 s1, -1, v4
	s_wait_alu 0xf1ff
	s_delay_alu instid0(VALU_DEP_1) | instskip(NEXT) | instid1(VALU_DEP_1)
	v_cndmask_b32_e64 v5, 0xffff8000, -1, s1
	v_xor_b32_e32 v4, v5, v4
	flat_store_b16 v[2:3], v4 offset:512
.LBB2054_174:
	s_wait_alu 0xfffe
	s_or_b32 exec_lo, exec_lo, s2
	v_lshlrev_b64_e32 v[2:3], 3, v[14:15]
	v_add_co_u32 v0, s1, v6, v0
	s_wait_alu 0xf1ff
	v_add_co_ci_u32_e64 v1, null, v7, v1, s1
	s_delay_alu instid0(VALU_DEP_2) | instskip(SKIP_1) | instid1(VALU_DEP_2)
	v_add_co_u32 v0, s1, v0, v2
	s_wait_alu 0xf1ff
	v_add_co_ci_u32_e64 v1, null, v1, v3, s1
	s_and_saveexec_b32 s1, vcc_lo
	s_cbranch_execz .LBB2054_176
; %bb.175:
	flat_store_b64 v[0:1], v[8:9]
.LBB2054_176:
	s_wait_alu 0xfffe
	s_or_b32 exec_lo, exec_lo, s1
	s_and_saveexec_b32 s1, s0
	s_cbranch_execz .LBB2054_178
; %bb.177:
	flat_store_b64 v[0:1], v[10:11] offset:2048
.LBB2054_178:
	s_wait_alu 0xfffe
	s_or_b32 exec_lo, exec_lo, s1
                                        ; implicit-def: $vgpr14_vgpr15
                                        ; implicit-def: $vgpr8_vgpr9
                                        ; implicit-def: $vgpr16_vgpr17
                                        ; implicit-def: $vgpr128
                                        ; implicit-def: $vgpr0
                                        ; implicit-def: $vgpr1
                                        ; implicit-def: $vgpr2
                                        ; implicit-def: $vgpr3
                                        ; implicit-def: $vgpr4
                                        ; implicit-def: $vgpr5
                                        ; implicit-def: $vgpr6
                                        ; implicit-def: $vgpr7
                                        ; implicit-def: $vgpr10
                                        ; implicit-def: $vgpr11
                                        ; implicit-def: $vgpr12
                                        ; implicit-def: $vgpr13
                                        ; implicit-def: $vgpr30
                                        ; implicit-def: $vgpr66
.LBB2054_179:
	s_wait_alu 0xfffe
	s_and_not1_saveexec_b32 s0, s14
	s_cbranch_execz .LBB2054_199
; %bb.180:
	v_and_b32_e32 v20, 0xffffffe0, v14
	s_delay_alu instid0(VALU_DEP_1) | instskip(NEXT) | instid1(VALU_DEP_1)
	v_or_b32_e32 v15, v66, v20
	v_cmp_lt_u32_e32 vcc_lo, v15, v128
	v_mov_b32_e32 v15, 0x7fff
	s_and_saveexec_b32 s1, vcc_lo
	s_cbranch_execz .LBB2054_182
; %bb.181:
	v_mov_b32_e32 v21, 0
	v_lshlrev_b32_e32 v15, 1, v66
	v_add_co_u32 v18, s0, v0, v16
	s_wait_alu 0xf1fe
	v_add_co_ci_u32_e64 v19, null, v1, v17, s0
	v_lshlrev_b64_e32 v[0:1], 1, v[20:21]
	s_delay_alu instid0(VALU_DEP_3) | instskip(SKIP_1) | instid1(VALU_DEP_3)
	v_add_co_u32 v15, s0, v18, v15
	s_wait_alu 0xf1ff
	v_add_co_ci_u32_e64 v18, null, 0, v19, s0
	s_delay_alu instid0(VALU_DEP_2) | instskip(SKIP_1) | instid1(VALU_DEP_2)
	v_add_co_u32 v0, s0, v15, v0
	s_wait_alu 0xf1ff
	v_add_co_ci_u32_e64 v1, null, v18, v1, s0
	flat_load_u16 v15, v[0:1]
.LBB2054_182:
	s_wait_alu 0xfffe
	s_or_b32 exec_lo, exec_lo, s1
	v_lshlrev_b64_e32 v[0:1], 3, v[8:9]
                                        ; implicit-def: $vgpr18_vgpr19
	s_and_saveexec_b32 s0, vcc_lo
	s_cbranch_execz .LBB2054_184
; %bb.183:
	v_dual_mov_b32 v21, 0 :: v_dual_lshlrev_b32 v8, 3, v66
	s_delay_alu instid0(VALU_DEP_2) | instskip(SKIP_2) | instid1(VALU_DEP_3)
	v_add_co_u32 v9, vcc_lo, v4, v0
	s_wait_alu 0xfffd
	v_add_co_ci_u32_e64 v18, null, v5, v1, vcc_lo
	v_lshlrev_b64_e32 v[4:5], 3, v[20:21]
	s_delay_alu instid0(VALU_DEP_3) | instskip(SKIP_1) | instid1(VALU_DEP_3)
	v_add_co_u32 v8, vcc_lo, v9, v8
	s_wait_alu 0xfffd
	v_add_co_ci_u32_e64 v9, null, 0, v18, vcc_lo
	s_delay_alu instid0(VALU_DEP_2) | instskip(SKIP_1) | instid1(VALU_DEP_2)
	v_add_co_u32 v4, vcc_lo, v8, v4
	s_wait_alu 0xfffd
	v_add_co_ci_u32_e64 v5, null, v9, v5, vcc_lo
	flat_load_b64 v[18:19], v[4:5]
.LBB2054_184:
	s_wait_alu 0xfffe
	s_or_b32 exec_lo, exec_lo, s0
	s_wait_loadcnt_dscnt 0x0
	v_cmp_lt_i16_e32 vcc_lo, -1, v15
	v_lshl_add_u32 v5, v30, 5, v12
	v_sub_co_u32 v20, s2, v66, 1
	s_getpc_b64 s[0:1]
	s_wait_alu 0xfffe
	s_sext_i32_i16 s1, s1
	s_add_co_u32 s0, s0, _ZN7rocprim17ROCPRIM_400000_NS16block_radix_sortI12hip_bfloat16Lj256ELj1ElLj1ELj1ELj8ELNS0_26block_radix_rank_algorithmE2ELNS0_18block_padding_hintE2ELNS0_4arch9wavefront6targetE0EE19radix_bits_per_passE@rel32@lo+12
	s_wait_alu 0xfffe
	s_add_co_ci_u32 s1, s1, _ZN7rocprim17ROCPRIM_400000_NS16block_radix_sortI12hip_bfloat16Lj256ELj1ElLj1ELj1ELj8ELNS0_26block_radix_rank_algorithmE2ELNS0_18block_padding_hintE2ELNS0_4arch9wavefront6targetE0EE19radix_bits_per_passE@rel32@hi+24
	s_wait_alu 0xfffd
	v_cndmask_b32_e64 v4, -1, 0xffff8000, vcc_lo
	v_add_nc_u32_e32 v22, 36, v5
	v_add_nc_u32_e32 v23, 40, v5
	;; [unrolled: 1-line block ×4, first 2 shown]
	v_xor_b32_e32 v39, v4, v15
	v_add_nc_u32_e32 v15, 32, v5
	v_add_nc_u32_e32 v26, 52, v5
	;; [unrolled: 1-line block ×4, first 2 shown]
	v_and_b32_e32 v5, 0x3e0, v30
	v_and_b32_e32 v4, 15, v66
	s_load_b32 s14, s[0:1], 0x0
	v_and_b32_e32 v9, 16, v66
	v_cmp_gt_i32_e64 s5, 0, v20
	v_min_u32_e32 v8, 0xe0, v5
	v_cmp_eq_u32_e32 vcc_lo, 0, v4
	v_cmp_lt_u32_e64 s0, 1, v4
	v_cmp_lt_u32_e64 s1, 3, v4
	;; [unrolled: 1-line block ×3, first 2 shown]
	v_or_b32_e32 v4, 31, v8
	v_lshrrev_b32_e32 v8, 3, v30
	v_cmp_eq_u32_e64 s4, 0, v9
	s_wait_alu 0xf1ff
	v_cndmask_b32_e64 v9, v20, v66, s5
	v_lshrrev_b32_e32 v29, 5, v14
	v_cmp_eq_u32_e64 s5, v30, v4
	v_and_b32_e32 v4, 0x7c, v8
	v_or_b32_e32 v8, v66, v5
	v_cmp_gt_u32_e64 s6, 8, v30
	v_cmp_lt_u32_e64 s7, 31, v30
	v_lshlrev_b32_e32 v31, 2, v9
	v_add_nc_u32_e32 v32, v12, v4
	v_and_b32_e32 v4, 7, v66
	v_lshl_add_u32 v34, v8, 1, v12
	v_mul_u32_u24_e32 v8, 6, v8
	v_cmp_eq_u32_e64 s8, 0, v30
	v_mov_b32_e32 v5, 0
	v_lshl_add_u32 v33, v30, 2, v12
	v_cmp_eq_u32_e64 s9, 0, v4
	v_cmp_lt_u32_e64 s10, 1, v4
	v_cmp_lt_u32_e64 s11, 3, v4
	v_add_nc_u32_e32 v35, -4, v32
	v_add_nc_u32_e32 v36, v34, v8
	v_sub_nc_u32_e32 v37, v11, v10
	s_mov_b32 s15, 0
	s_wait_storecnt 0x0
	s_barrier_signal -1
	s_barrier_wait -1
	global_inv scope:SCOPE_SE
	s_branch .LBB2054_186
.LBB2054_185:                           ;   in Loop: Header=BB2054_186 Depth=1
	s_wait_alu 0xfffe
	s_or_b32 exec_lo, exec_lo, s13
	s_delay_alu instid0(SALU_CYCLE_1)
	s_and_b32 s12, exec_lo, s17
	s_wait_alu 0xfffe
	s_or_b32 s15, s12, s15
	s_wait_alu 0xfffe
	s_and_not1_b32 exec_lo, exec_lo, s15
	s_cbranch_execz .LBB2054_196
.LBB2054_186:                           ; =>This Inner Loop Header: Depth=1
	v_mov_b32_e32 v38, v39
	s_wait_kmcnt 0x0
	v_min_u32_e32 v8, s14, v37
	ds_store_b32 v15, v5
	ds_store_b32 v22, v5
	;; [unrolled: 1-line block ×6, first 2 shown]
	v_cmp_ne_u16_e64 s12, 0x7fff, v38
	ds_store_b32 v27, v5
	ds_store_b32 v28, v5
	s_wait_loadcnt_dscnt 0x0
	s_barrier_signal -1
	s_barrier_wait -1
	s_wait_alu 0xf1ff
	v_cndmask_b32_e64 v4, 0xffff8000, v38, s12
	global_inv scope:SCOPE_SE
	; wave barrier
	v_and_b32_e32 v4, 0xffff, v4
	s_delay_alu instid0(VALU_DEP_1) | instskip(NEXT) | instid1(VALU_DEP_1)
	v_lshrrev_b32_e32 v4, v10, v4
	v_bfe_u32 v4, v4, 0, v8
	s_delay_alu instid0(VALU_DEP_1)
	v_and_b32_e32 v8, 1, v4
	v_lshlrev_b32_e32 v9, 30, v4
	v_lshlrev_b32_e32 v20, 29, v4
	;; [unrolled: 1-line block ×4, first 2 shown]
	v_add_co_u32 v8, s12, v8, -1
	s_wait_alu 0xf1ff
	v_cndmask_b32_e64 v39, 0, 1, s12
	v_not_b32_e32 v51, v9
	v_cmp_gt_i32_e64 s13, 0, v9
	v_not_b32_e32 v9, v20
	v_lshlrev_b32_e32 v49, 26, v4
	v_cmp_ne_u32_e64 s12, 0, v39
	v_ashrrev_i32_e32 v51, 31, v51
	v_lshlrev_b32_e32 v50, 25, v4
	v_ashrrev_i32_e32 v9, 31, v9
	v_lshlrev_b32_e32 v39, 24, v4
	s_wait_alu 0xf1ff
	v_xor_b32_e32 v8, s12, v8
	v_cmp_gt_i32_e64 s12, 0, v20
	v_not_b32_e32 v20, v21
	v_xor_b32_e32 v51, s13, v51
	v_cmp_gt_i32_e64 s13, 0, v21
	v_and_b32_e32 v8, exec_lo, v8
	v_not_b32_e32 v21, v48
	v_ashrrev_i32_e32 v20, 31, v20
	s_wait_alu 0xf1ff
	v_xor_b32_e32 v9, s12, v9
	v_cmp_gt_i32_e64 s12, 0, v48
	v_and_b32_e32 v8, v8, v51
	v_not_b32_e32 v48, v49
	v_ashrrev_i32_e32 v21, 31, v21
	v_xor_b32_e32 v20, s13, v20
	v_cmp_gt_i32_e64 s13, 0, v49
	v_and_b32_e32 v8, v8, v9
	v_not_b32_e32 v9, v50
	v_ashrrev_i32_e32 v48, 31, v48
	s_wait_alu 0xf1ff
	v_xor_b32_e32 v21, s12, v21
	v_cmp_gt_i32_e64 s12, 0, v50
	v_and_b32_e32 v8, v8, v20
	v_not_b32_e32 v20, v39
	v_ashrrev_i32_e32 v49, 31, v9
	v_xor_b32_e32 v48, s13, v48
	v_cmp_gt_i32_e64 s13, 0, v39
	v_dual_mov_b32 v8, v18 :: v_dual_and_b32 v21, v8, v21
	v_mov_b32_e32 v9, v19
	v_ashrrev_i32_e32 v18, 31, v20
	s_wait_alu 0xf1ff
	v_xor_b32_e32 v19, s12, v49
	v_and_b32_e32 v20, v21, v48
	v_lshlrev_b32_e32 v4, 3, v4
	v_xor_b32_e32 v18, s13, v18
	s_delay_alu instid0(VALU_DEP_3) | instskip(NEXT) | instid1(VALU_DEP_1)
	v_and_b32_e32 v19, v20, v19
	v_and_b32_e32 v19, v19, v18
	s_delay_alu instid0(VALU_DEP_4) | instskip(NEXT) | instid1(VALU_DEP_2)
	v_add_lshl_u32 v18, v4, v29, 2
	v_mbcnt_lo_u32_b32 v4, v19, 0
	s_delay_alu instid0(VALU_DEP_2) | instskip(SKIP_1) | instid1(VALU_DEP_3)
	v_add_co_u32 v18, null, v12, v18
	v_cmp_ne_u32_e64 s13, 0, v19
	v_cmp_eq_u32_e64 s12, 0, v4
	s_delay_alu instid0(VALU_DEP_3)
	v_add_co_u32 v18, null, v18, 32
	s_and_b32 s13, s13, s12
	s_wait_alu 0xfffe
	s_and_saveexec_b32 s12, s13
; %bb.187:                              ;   in Loop: Header=BB2054_186 Depth=1
	v_bcnt_u32_b32 v19, v19, 0
	ds_store_b32 v18, v19
; %bb.188:                              ;   in Loop: Header=BB2054_186 Depth=1
	s_wait_alu 0xfffe
	s_or_b32 exec_lo, exec_lo, s12
	; wave barrier
	s_wait_loadcnt_dscnt 0x0
	s_barrier_signal -1
	s_barrier_wait -1
	global_inv scope:SCOPE_SE
	ds_load_b32 v20, v15
	ds_load_b32 v21, v22
	;; [unrolled: 1-line block ×8, first 2 shown]
	s_wait_dscnt 0x6
	v_add_nc_u32_e32 v52, v21, v20
	s_wait_dscnt 0x4
	s_delay_alu instid0(VALU_DEP_1) | instskip(SKIP_1) | instid1(VALU_DEP_1)
	v_add3_u32 v52, v52, v39, v48
	s_wait_dscnt 0x2
	v_add3_u32 v52, v52, v49, v50
	s_wait_dscnt 0x0
	s_delay_alu instid0(VALU_DEP_1) | instskip(NEXT) | instid1(VALU_DEP_1)
	v_add3_u32 v51, v52, v19, v51
	v_mov_b32_dpp v52, v51 row_shr:1 row_mask:0xf bank_mask:0xf
	s_wait_alu 0xfffd
	s_delay_alu instid0(VALU_DEP_1) | instskip(NEXT) | instid1(VALU_DEP_1)
	v_cndmask_b32_e64 v52, v52, 0, vcc_lo
	v_add_nc_u32_e32 v51, v52, v51
	s_delay_alu instid0(VALU_DEP_1) | instskip(NEXT) | instid1(VALU_DEP_1)
	v_mov_b32_dpp v52, v51 row_shr:2 row_mask:0xf bank_mask:0xf
	v_cndmask_b32_e64 v52, 0, v52, s0
	s_delay_alu instid0(VALU_DEP_1) | instskip(NEXT) | instid1(VALU_DEP_1)
	v_add_nc_u32_e32 v51, v51, v52
	v_mov_b32_dpp v52, v51 row_shr:4 row_mask:0xf bank_mask:0xf
	s_delay_alu instid0(VALU_DEP_1) | instskip(NEXT) | instid1(VALU_DEP_1)
	v_cndmask_b32_e64 v52, 0, v52, s1
	v_add_nc_u32_e32 v51, v51, v52
	s_delay_alu instid0(VALU_DEP_1) | instskip(NEXT) | instid1(VALU_DEP_1)
	v_mov_b32_dpp v52, v51 row_shr:8 row_mask:0xf bank_mask:0xf
	v_cndmask_b32_e64 v52, 0, v52, s3
	s_delay_alu instid0(VALU_DEP_1) | instskip(SKIP_3) | instid1(VALU_DEP_1)
	v_add_nc_u32_e32 v51, v51, v52
	ds_swizzle_b32 v52, v51 offset:swizzle(BROADCAST,32,15)
	s_wait_dscnt 0x0
	v_cndmask_b32_e64 v52, v52, 0, s4
	v_add_nc_u32_e32 v51, v51, v52
	s_and_saveexec_b32 s12, s5
; %bb.189:                              ;   in Loop: Header=BB2054_186 Depth=1
	ds_store_b32 v32, v51
; %bb.190:                              ;   in Loop: Header=BB2054_186 Depth=1
	s_wait_alu 0xfffe
	s_or_b32 exec_lo, exec_lo, s12
	s_wait_loadcnt_dscnt 0x0
	s_barrier_signal -1
	s_barrier_wait -1
	global_inv scope:SCOPE_SE
	s_and_saveexec_b32 s12, s6
	s_cbranch_execz .LBB2054_192
; %bb.191:                              ;   in Loop: Header=BB2054_186 Depth=1
	ds_load_b32 v52, v33
	s_wait_dscnt 0x0
	v_mov_b32_dpp v53, v52 row_shr:1 row_mask:0xf bank_mask:0xf
	s_delay_alu instid0(VALU_DEP_1) | instskip(NEXT) | instid1(VALU_DEP_1)
	v_cndmask_b32_e64 v53, v53, 0, s9
	v_add_nc_u32_e32 v52, v53, v52
	s_delay_alu instid0(VALU_DEP_1) | instskip(NEXT) | instid1(VALU_DEP_1)
	v_mov_b32_dpp v53, v52 row_shr:2 row_mask:0xf bank_mask:0xf
	v_cndmask_b32_e64 v53, 0, v53, s10
	s_delay_alu instid0(VALU_DEP_1) | instskip(NEXT) | instid1(VALU_DEP_1)
	v_add_nc_u32_e32 v52, v52, v53
	v_mov_b32_dpp v53, v52 row_shr:4 row_mask:0xf bank_mask:0xf
	s_delay_alu instid0(VALU_DEP_1) | instskip(NEXT) | instid1(VALU_DEP_1)
	v_cndmask_b32_e64 v53, 0, v53, s11
	v_add_nc_u32_e32 v52, v52, v53
	ds_store_b32 v33, v52
.LBB2054_192:                           ;   in Loop: Header=BB2054_186 Depth=1
	s_wait_alu 0xfffe
	s_or_b32 exec_lo, exec_lo, s12
	v_mov_b32_e32 v52, 0
	s_wait_loadcnt_dscnt 0x0
	s_barrier_signal -1
	s_barrier_wait -1
	global_inv scope:SCOPE_SE
	s_and_saveexec_b32 s12, s7
; %bb.193:                              ;   in Loop: Header=BB2054_186 Depth=1
	ds_load_b32 v52, v35
; %bb.194:                              ;   in Loop: Header=BB2054_186 Depth=1
	s_wait_alu 0xfffe
	s_or_b32 exec_lo, exec_lo, s12
	s_wait_dscnt 0x0
	v_add_nc_u32_e32 v51, v52, v51
	v_add_nc_u32_e32 v10, 8, v10
	s_mov_b32 s17, -1
	ds_bpermute_b32 v51, v31, v51
	s_wait_dscnt 0x0
	v_cndmask_b32_e64 v51, v51, v52, s2
	s_delay_alu instid0(VALU_DEP_1) | instskip(NEXT) | instid1(VALU_DEP_1)
	v_cndmask_b32_e64 v51, v51, 0, s8
	v_add_nc_u32_e32 v20, v51, v20
	s_delay_alu instid0(VALU_DEP_1) | instskip(SKIP_4) | instid1(VALU_DEP_1)
	v_add_nc_u32_e32 v21, v20, v21
	ds_store_b32 v15, v51
	ds_store_b32 v22, v20
	;; [unrolled: 1-line block ×3, first 2 shown]
	v_add_nc_u32_e32 v39, v21, v39
	v_add_nc_u32_e32 v48, v39, v48
	s_delay_alu instid0(VALU_DEP_1) | instskip(NEXT) | instid1(VALU_DEP_1)
	v_add_nc_u32_e32 v49, v48, v49
	v_add_nc_u32_e32 v50, v49, v50
	s_delay_alu instid0(VALU_DEP_1)
	v_add_nc_u32_e32 v19, v50, v19
	ds_store_b32 v24, v39
	ds_store_b32 v25, v48
	;; [unrolled: 1-line block ×5, first 2 shown]
	s_wait_loadcnt_dscnt 0x0
	s_barrier_signal -1
	s_barrier_wait -1
	global_inv scope:SCOPE_SE
	ds_load_b32 v18, v18
                                        ; implicit-def: $vgpr39
	s_wait_loadcnt_dscnt 0x0
	v_add_nc_u32_e32 v4, v18, v4
	s_delay_alu instid0(VALU_DEP_1) | instskip(NEXT) | instid1(VALU_DEP_1)
	v_lshlrev_b64_e32 v[18:19], 1, v[4:5]
	v_add_co_u32 v20, s13, v12, v18
	s_wait_alu 0xf1ff
	s_delay_alu instid0(VALU_DEP_2)
	v_add_co_ci_u32_e64 v21, null, v13, v19, s13
	s_mov_b32 s13, exec_lo
                                        ; implicit-def: $vgpr18_vgpr19
	v_cmpx_lt_u32_e64 v10, v11
	s_cbranch_execz .LBB2054_185
; %bb.195:                              ;   in Loop: Header=BB2054_186 Depth=1
	v_mad_co_u64_u32 v[18:19], null, v4, 6, v[20:21]
	s_barrier_signal -1
	s_barrier_wait -1
	global_inv scope:SCOPE_SE
	ds_store_b16 v20, v38
	s_wait_loadcnt_dscnt 0x0
	s_barrier_signal -1
	s_barrier_wait -1
	global_inv scope:SCOPE_SE
	ds_load_u16 v39, v34
	s_wait_loadcnt_dscnt 0x0
	s_barrier_signal -1
	s_barrier_wait -1
	global_inv scope:SCOPE_SE
	ds_store_b64 v18, v[8:9]
	s_wait_loadcnt_dscnt 0x0
	s_barrier_signal -1
	s_barrier_wait -1
	global_inv scope:SCOPE_SE
	ds_load_b64 v[18:19], v36
	v_add_nc_u32_e32 v37, -8, v37
	s_xor_b32 s17, exec_lo, -1
	s_wait_loadcnt_dscnt 0x0
	s_barrier_signal -1
	s_barrier_wait -1
	global_inv scope:SCOPE_SE
	s_branch .LBB2054_185
.LBB2054_196:
	s_or_b32 exec_lo, exec_lo, s15
	v_mad_co_u64_u32 v[4:5], null, v4, 6, v[20:21]
	v_lshl_add_u32 v11, v30, 1, v12
	v_mul_u32_u24_e32 v5, 6, v30
	s_barrier_signal -1
	s_barrier_wait -1
	s_wait_loadcnt 0x0
	global_inv scope:SCOPE_SE
	ds_store_b16 v20, v38
	s_wait_loadcnt_dscnt 0x0
	s_barrier_signal -1
	s_barrier_wait -1
	global_inv scope:SCOPE_SE
	ds_load_u16 v10, v11
	s_wait_loadcnt_dscnt 0x0
	s_barrier_signal -1
	s_barrier_wait -1
	global_inv scope:SCOPE_SE
	ds_store_b64 v4, v[8:9]
	v_add_nc_u32_e32 v4, v11, v5
	s_wait_loadcnt_dscnt 0x0
	s_barrier_signal -1
	s_barrier_wait -1
	global_inv scope:SCOPE_SE
	ds_load_b64 v[4:5], v4
	s_mov_b32 s0, exec_lo
	s_wait_loadcnt_dscnt 0x0
	s_barrier_signal -1
	s_barrier_wait -1
	global_inv scope:SCOPE_SE
	v_cmpx_lt_u32_e64 v14, v128
	s_cbranch_execz .LBB2054_198
; %bb.197:
	v_add_co_u32 v8, vcc_lo, v6, v0
	v_mov_b32_e32 v15, 0
	s_wait_alu 0xfffd
	v_add_co_ci_u32_e64 v9, null, v7, v1, vcc_lo
	v_cmp_lt_i16_e32 vcc_lo, -1, v10
	s_delay_alu instid0(VALU_DEP_3)
	v_lshlrev_b64_e32 v[6:7], 1, v[14:15]
	v_lshlrev_b64_e32 v[0:1], 3, v[14:15]
	s_wait_alu 0xfffd
	v_cndmask_b32_e64 v11, 0xffff8000, -1, vcc_lo
	v_add_co_u32 v2, vcc_lo, v2, v16
	s_wait_alu 0xfffd
	v_add_co_ci_u32_e64 v3, null, v3, v17, vcc_lo
	s_delay_alu instid0(VALU_DEP_3) | instskip(NEXT) | instid1(VALU_DEP_3)
	v_xor_b32_e32 v10, v11, v10
	v_add_co_u32 v2, vcc_lo, v2, v6
	s_wait_alu 0xfffd
	s_delay_alu instid0(VALU_DEP_3)
	v_add_co_ci_u32_e64 v3, null, v3, v7, vcc_lo
	v_add_co_u32 v0, vcc_lo, v8, v0
	s_wait_alu 0xfffd
	v_add_co_ci_u32_e64 v1, null, v9, v1, vcc_lo
	flat_store_b16 v[2:3], v10
	flat_store_b64 v[0:1], v[4:5]
.LBB2054_198:
	s_wait_alu 0xfffe
	s_or_b32 exec_lo, exec_lo, s0
.LBB2054_199:
	s_wait_alu 0xfffe
	s_or_b32 exec_lo, exec_lo, s16
	s_wait_loadcnt_dscnt 0x0
	s_setpc_b64 s[30:31]
.Lfunc_end2054:
	.size	_ZN7rocprim17ROCPRIM_400000_NS6detail40segmented_radix_sort_single_block_helperI12hip_bfloat16lLj256ELj8ELb0EE4sortIPKS3_PS3_PKlPlEEbT_T0_T1_T2_jjjjRNS4_12storage_typeE, .Lfunc_end2054-_ZN7rocprim17ROCPRIM_400000_NS6detail40segmented_radix_sort_single_block_helperI12hip_bfloat16lLj256ELj8ELb0EE4sortIPKS3_PS3_PKlPlEEbT_T0_T1_T2_jjjjRNS4_12storage_typeE
                                        ; -- End function
	.set .L_ZN7rocprim17ROCPRIM_400000_NS6detail40segmented_radix_sort_single_block_helperI12hip_bfloat16lLj256ELj8ELb0EE4sortIPKS3_PS3_PKlPlEEbT_T0_T1_T2_jjjjRNS4_12storage_typeE.num_vgpr, 198
	.set .L_ZN7rocprim17ROCPRIM_400000_NS6detail40segmented_radix_sort_single_block_helperI12hip_bfloat16lLj256ELj8ELb0EE4sortIPKS3_PS3_PKlPlEEbT_T0_T1_T2_jjjjRNS4_12storage_typeE.num_agpr, 0
	.set .L_ZN7rocprim17ROCPRIM_400000_NS6detail40segmented_radix_sort_single_block_helperI12hip_bfloat16lLj256ELj8ELb0EE4sortIPKS3_PS3_PKlPlEEbT_T0_T1_T2_jjjjRNS4_12storage_typeE.numbered_sgpr, 32
	.set .L_ZN7rocprim17ROCPRIM_400000_NS6detail40segmented_radix_sort_single_block_helperI12hip_bfloat16lLj256ELj8ELb0EE4sortIPKS3_PS3_PKlPlEEbT_T0_T1_T2_jjjjRNS4_12storage_typeE.num_named_barrier, 0
	.set .L_ZN7rocprim17ROCPRIM_400000_NS6detail40segmented_radix_sort_single_block_helperI12hip_bfloat16lLj256ELj8ELb0EE4sortIPKS3_PS3_PKlPlEEbT_T0_T1_T2_jjjjRNS4_12storage_typeE.private_seg_size, 0
	.set .L_ZN7rocprim17ROCPRIM_400000_NS6detail40segmented_radix_sort_single_block_helperI12hip_bfloat16lLj256ELj8ELb0EE4sortIPKS3_PS3_PKlPlEEbT_T0_T1_T2_jjjjRNS4_12storage_typeE.uses_vcc, 1
	.set .L_ZN7rocprim17ROCPRIM_400000_NS6detail40segmented_radix_sort_single_block_helperI12hip_bfloat16lLj256ELj8ELb0EE4sortIPKS3_PS3_PKlPlEEbT_T0_T1_T2_jjjjRNS4_12storage_typeE.uses_flat_scratch, 0
	.set .L_ZN7rocprim17ROCPRIM_400000_NS6detail40segmented_radix_sort_single_block_helperI12hip_bfloat16lLj256ELj8ELb0EE4sortIPKS3_PS3_PKlPlEEbT_T0_T1_T2_jjjjRNS4_12storage_typeE.has_dyn_sized_stack, 0
	.set .L_ZN7rocprim17ROCPRIM_400000_NS6detail40segmented_radix_sort_single_block_helperI12hip_bfloat16lLj256ELj8ELb0EE4sortIPKS3_PS3_PKlPlEEbT_T0_T1_T2_jjjjRNS4_12storage_typeE.has_recursion, 0
	.set .L_ZN7rocprim17ROCPRIM_400000_NS6detail40segmented_radix_sort_single_block_helperI12hip_bfloat16lLj256ELj8ELb0EE4sortIPKS3_PS3_PKlPlEEbT_T0_T1_T2_jjjjRNS4_12storage_typeE.has_indirect_call, 0
	.section	.AMDGPU.csdata,"",@progbits
; Function info:
; codeLenInByte = 19208
; TotalNumSgprs: 34
; NumVgprs: 198
; ScratchSize: 0
; MemoryBound: 1
	.section	.text._ZN7rocprim17ROCPRIM_400000_NS6detail17trampoline_kernelINS0_14default_configENS1_36segmented_radix_sort_config_selectorI12hip_bfloat16lEEZNS1_25segmented_radix_sort_implIS3_Lb0EPKS5_PS5_PKlPlN2at6native12_GLOBAL__N_18offset_tEEE10hipError_tPvRmT1_PNSt15iterator_traitsISL_E10value_typeET2_T3_PNSM_ISR_E10value_typeET4_jRbjT5_SX_jjP12ihipStream_tbEUlT_E_NS1_11comp_targetILNS1_3genE10ELNS1_11target_archE1201ELNS1_3gpuE5ELNS1_3repE0EEENS1_30default_config_static_selectorELNS0_4arch9wavefront6targetE0EEEvSL_,"axG",@progbits,_ZN7rocprim17ROCPRIM_400000_NS6detail17trampoline_kernelINS0_14default_configENS1_36segmented_radix_sort_config_selectorI12hip_bfloat16lEEZNS1_25segmented_radix_sort_implIS3_Lb0EPKS5_PS5_PKlPlN2at6native12_GLOBAL__N_18offset_tEEE10hipError_tPvRmT1_PNSt15iterator_traitsISL_E10value_typeET2_T3_PNSM_ISR_E10value_typeET4_jRbjT5_SX_jjP12ihipStream_tbEUlT_E_NS1_11comp_targetILNS1_3genE10ELNS1_11target_archE1201ELNS1_3gpuE5ELNS1_3repE0EEENS1_30default_config_static_selectorELNS0_4arch9wavefront6targetE0EEEvSL_,comdat
	.globl	_ZN7rocprim17ROCPRIM_400000_NS6detail17trampoline_kernelINS0_14default_configENS1_36segmented_radix_sort_config_selectorI12hip_bfloat16lEEZNS1_25segmented_radix_sort_implIS3_Lb0EPKS5_PS5_PKlPlN2at6native12_GLOBAL__N_18offset_tEEE10hipError_tPvRmT1_PNSt15iterator_traitsISL_E10value_typeET2_T3_PNSM_ISR_E10value_typeET4_jRbjT5_SX_jjP12ihipStream_tbEUlT_E_NS1_11comp_targetILNS1_3genE10ELNS1_11target_archE1201ELNS1_3gpuE5ELNS1_3repE0EEENS1_30default_config_static_selectorELNS0_4arch9wavefront6targetE0EEEvSL_ ; -- Begin function _ZN7rocprim17ROCPRIM_400000_NS6detail17trampoline_kernelINS0_14default_configENS1_36segmented_radix_sort_config_selectorI12hip_bfloat16lEEZNS1_25segmented_radix_sort_implIS3_Lb0EPKS5_PS5_PKlPlN2at6native12_GLOBAL__N_18offset_tEEE10hipError_tPvRmT1_PNSt15iterator_traitsISL_E10value_typeET2_T3_PNSM_ISR_E10value_typeET4_jRbjT5_SX_jjP12ihipStream_tbEUlT_E_NS1_11comp_targetILNS1_3genE10ELNS1_11target_archE1201ELNS1_3gpuE5ELNS1_3repE0EEENS1_30default_config_static_selectorELNS0_4arch9wavefront6targetE0EEEvSL_
	.p2align	8
	.type	_ZN7rocprim17ROCPRIM_400000_NS6detail17trampoline_kernelINS0_14default_configENS1_36segmented_radix_sort_config_selectorI12hip_bfloat16lEEZNS1_25segmented_radix_sort_implIS3_Lb0EPKS5_PS5_PKlPlN2at6native12_GLOBAL__N_18offset_tEEE10hipError_tPvRmT1_PNSt15iterator_traitsISL_E10value_typeET2_T3_PNSM_ISR_E10value_typeET4_jRbjT5_SX_jjP12ihipStream_tbEUlT_E_NS1_11comp_targetILNS1_3genE10ELNS1_11target_archE1201ELNS1_3gpuE5ELNS1_3repE0EEENS1_30default_config_static_selectorELNS0_4arch9wavefront6targetE0EEEvSL_,@function
_ZN7rocprim17ROCPRIM_400000_NS6detail17trampoline_kernelINS0_14default_configENS1_36segmented_radix_sort_config_selectorI12hip_bfloat16lEEZNS1_25segmented_radix_sort_implIS3_Lb0EPKS5_PS5_PKlPlN2at6native12_GLOBAL__N_18offset_tEEE10hipError_tPvRmT1_PNSt15iterator_traitsISL_E10value_typeET2_T3_PNSM_ISR_E10value_typeET4_jRbjT5_SX_jjP12ihipStream_tbEUlT_E_NS1_11comp_targetILNS1_3genE10ELNS1_11target_archE1201ELNS1_3gpuE5ELNS1_3repE0EEENS1_30default_config_static_selectorELNS0_4arch9wavefront6targetE0EEEvSL_: ; @_ZN7rocprim17ROCPRIM_400000_NS6detail17trampoline_kernelINS0_14default_configENS1_36segmented_radix_sort_config_selectorI12hip_bfloat16lEEZNS1_25segmented_radix_sort_implIS3_Lb0EPKS5_PS5_PKlPlN2at6native12_GLOBAL__N_18offset_tEEE10hipError_tPvRmT1_PNSt15iterator_traitsISL_E10value_typeET2_T3_PNSM_ISR_E10value_typeET4_jRbjT5_SX_jjP12ihipStream_tbEUlT_E_NS1_11comp_targetILNS1_3genE10ELNS1_11target_archE1201ELNS1_3gpuE5ELNS1_3repE0EEENS1_30default_config_static_selectorELNS0_4arch9wavefront6targetE0EEEvSL_
; %bb.0:
	s_clause 0x1
	s_load_b64 s[8:9], s[0:1], 0x38
	s_load_b128 s[4:7], s[0:1], 0x40
	s_mov_b32 s2, ttmp9
	s_mov_b32 s3, 0
	s_mov_b32 s32, 0
	s_lshl_b64 s[2:3], s[2:3], 2
	s_wait_kmcnt 0x0
	s_add_nc_u64 s[2:3], s[8:9], s[2:3]
	s_load_b32 s2, s[2:3], 0x0
	s_wait_kmcnt 0x0
	s_add_co_i32 s33, s2, s5
	s_add_co_i32 s34, s2, s7
	s_mul_i32 s33, s33, s4
	s_mul_i32 s34, s34, s6
	s_delay_alu instid0(SALU_CYCLE_1)
	s_cmp_le_u32 s34, s33
	s_cbranch_scc1 .LBB2055_670
; %bb.1:
	s_clause 0x3
	s_load_b32 s2, s[0:1], 0x30
	s_load_b128 s[24:27], s[0:1], 0x20
	s_load_b96 s[44:46], s[0:1], 0x50
	s_load_b256 s[36:43], s[0:1], 0x0
	s_wait_kmcnt 0x0
	s_bitcmp1_b32 s2, 0
	s_mov_b32 s2, -1
	s_cselect_b32 s35, -1, 0
	s_sub_co_i32 s47, s34, s33
	s_delay_alu instid0(SALU_CYCLE_1)
	s_cmp_lt_u32 s47, 0x801
	s_cbranch_scc0 .LBB2055_7
; %bb.2:
	v_cndmask_b32_e64 v1, 0, 1, s35
	s_and_b32 s2, s44, 1
	s_delay_alu instid0(VALU_DEP_1) | instid1(SALU_CYCLE_1)
	v_cmp_ne_u32_e32 vcc_lo, s2, v1
	s_mov_b32 s2, -1
	s_cbranch_vccnz .LBB2055_4
; %bb.3:
	s_mov_b64 s[2:3], src_shared_base
	v_dual_mov_b32 v31, v0 :: v_dual_mov_b32 v40, v0
	v_dual_mov_b32 v0, s36 :: v_dual_mov_b32 v1, s37
	;; [unrolled: 1-line block ×7, first 2 shown]
	s_wait_alu 0xfffe
	v_dual_mov_b32 v12, 0 :: v_dual_mov_b32 v13, s3
	s_add_nc_u64 s[8:9], s[0:1], 0x60
	s_getpc_b64 s[4:5]
	s_sext_i32_i16 s5, s5
	s_add_co_u32 s4, s4, _ZN7rocprim17ROCPRIM_400000_NS6detail40segmented_radix_sort_single_block_helperI12hip_bfloat16lLj256ELj8ELb0EE4sortIPKS3_PS3_PKlPlEEbT_T0_T1_T2_jjjjRNS4_12storage_typeE@rel32@lo+8
	s_add_co_ci_u32 s5, s5, _ZN7rocprim17ROCPRIM_400000_NS6detail40segmented_radix_sort_single_block_helperI12hip_bfloat16lLj256ELj8ELb0EE4sortIPKS3_PS3_PKlPlEEbT_T0_T1_T2_jjjjRNS4_12storage_typeE@rel32@hi+16
	s_mov_b64 s[22:23], s[0:1]
	s_swappc_b64 s[30:31], s[4:5]
	v_mov_b32_e32 v0, v40
	s_mov_b64 s[0:1], s[22:23]
	s_mov_b32 s2, 0
.LBB2055_4:
	s_wait_alu 0xfffe
	s_and_not1_b32 vcc_lo, exec_lo, s2
	s_wait_alu 0xfffe
	s_cbranch_vccnz .LBB2055_6
; %bb.5:
	s_mov_b64 s[2:3], src_shared_base
	v_dual_mov_b32 v31, v0 :: v_dual_mov_b32 v40, v0
	v_dual_mov_b32 v0, s36 :: v_dual_mov_b32 v1, s37
	;; [unrolled: 1-line block ×7, first 2 shown]
	s_wait_alu 0xfffe
	v_dual_mov_b32 v12, 0 :: v_dual_mov_b32 v13, s3
	s_add_nc_u64 s[8:9], s[0:1], 0x60
	s_getpc_b64 s[4:5]
	s_wait_alu 0xfffe
	s_sext_i32_i16 s5, s5
	s_add_co_u32 s4, s4, _ZN7rocprim17ROCPRIM_400000_NS6detail40segmented_radix_sort_single_block_helperI12hip_bfloat16lLj256ELj8ELb0EE4sortIPKS3_PS3_PKlPlEEbT_T0_T1_T2_jjjjRNS4_12storage_typeE@rel32@lo+12
	s_wait_alu 0xfffe
	s_add_co_ci_u32 s5, s5, _ZN7rocprim17ROCPRIM_400000_NS6detail40segmented_radix_sort_single_block_helperI12hip_bfloat16lLj256ELj8ELb0EE4sortIPKS3_PS3_PKlPlEEbT_T0_T1_T2_jjjjRNS4_12storage_typeE@rel32@hi+24
	s_mov_b64 s[22:23], s[0:1]
	s_wait_alu 0xfffe
	s_swappc_b64 s[30:31], s[4:5]
	v_mov_b32_e32 v0, v40
	s_mov_b64 s[0:1], s[22:23]
.LBB2055_6:
	s_mov_b32 s2, 0
.LBB2055_7:
	s_wait_alu 0xfffe
	s_and_not1_b32 vcc_lo, exec_lo, s2
	s_wait_alu 0xfffe
	s_cbranch_vccnz .LBB2055_670
; %bb.8:
	s_cmp_ge_u32 s45, s46
	s_cbranch_scc1 .LBB2055_670
; %bb.9:
	v_dual_mov_b32 v62, 1 :: v_dual_and_b32 v1, 0x3ff, v0
	v_dual_mov_b32 v3, 0 :: v_dual_and_b32 v2, 3, v0
	v_lshrrev_b32_e32 v5, 3, v0
	s_delay_alu instid0(VALU_DEP_3)
	v_lshlrev_b32_e32 v28, 2, v1
	v_or_b32_e32 v6, 31, v1
	v_lshlrev_b32_e32 v4, 1, v1
	v_lshlrev_b32_e32 v39, 2, v2
	;; [unrolled: 1-line block ×3, first 2 shown]
	v_mad_u32_u24 v40, v1, 12, v28
	v_and_b32_e32 v38, 28, v5
	v_lshlrev_b32_e32 v5, 5, v1
	v_cmp_eq_u32_e64 s3, v1, v6
	v_and_b32_e32 v2, 0x700, v2
	v_mad_u32_u24 v43, v1, 20, v40
	v_mbcnt_lo_u32_b32 v59, -1, 0
	v_add_co_u32 v32, s2, s40, v4
	s_delay_alu instid0(VALU_DEP_4) | instskip(NEXT) | instid1(VALU_DEP_4)
	v_lshlrev_b32_e32 v6, 1, v2
	v_sub_nc_u32_e32 v46, v43, v5
	v_lshlrev_b32_e32 v5, 3, v2
	v_lshlrev_b32_e32 v69, 3, v59
	;; [unrolled: 1-line block ×3, first 2 shown]
	v_or_b32_e32 v66, v59, v2
	v_or_b32_e32 v29, 0x100, v1
	v_add_co_u32 v7, s8, s26, v5
	s_wait_alu 0xf1ff
	v_add_co_ci_u32_e64 v8, null, s27, 0, s8
	v_add_co_u32 v9, s8, s40, v6
	s_wait_alu 0xf1ff
	v_add_co_ci_u32_e64 v10, null, s41, 0, s8
	;; [unrolled: 3-line block ×6, first 2 shown]
	v_add_co_u32 v57, s8, s42, v5
	v_add_co_u32 v83, vcc_lo, v7, v69
	s_wait_alu 0xf1ff
	v_add_co_ci_u32_e64 v58, null, s43, 0, s8
	v_add_co_u32 v60, s8, s36, v6
	s_wait_alu 0xfffd
	v_add_co_ci_u32_e64 v84, null, 0, v8, vcc_lo
	v_add_co_u32 v85, vcc_lo, v9, v77
	v_or_b32_e32 v30, 0x200, v1
	v_or_b32_e32 v31, 0x300, v1
	v_add_co_ci_u32_e64 v33, null, s41, 0, s2
	v_or_b32_e32 v34, 0x400, v1
	v_or_b32_e32 v35, 0x500, v1
	;; [unrolled: 1-line block ×4, first 2 shown]
	v_cmp_gt_u32_e64 s2, 0x100, v1
	v_or_b32_e32 v41, 0x4400, v38
	v_cmp_gt_u32_e64 s4, 8, v1
	v_add_nc_u32_e32 v42, 0x4400, v28
	v_cmp_lt_u32_e64 s5, 31, v1
	v_add_nc_u32_e32 v44, 0x43fc, v38
	v_bfe_u32 v45, v0, 20, 10
	v_bfe_u32 v0, v0, 10, 10
	v_cmp_eq_u32_e64 s6, 0, v1
	v_cmp_ne_u32_e64 s7, 0xff, v1
	v_sub_nc_u32_e32 v47, v46, v4
	v_mul_u32_u24_e32 v48, 6, v1
	s_wait_alu 0xf1ff
	v_add_co_ci_u32_e64 v61, null, s37, 0, s8
	v_and_b32_e32 v63, 15, v59
	v_bfe_i32 v64, v59, 4, 1
	v_and_b32_e32 v65, 16, v59
	v_and_b32_e32 v67, 7, v59
	v_sub_co_u32 v68, s8, v59, 1
	v_or_b32_e32 v70, 32, v66
	v_or_b32_e32 v71, 64, v66
	;; [unrolled: 1-line block ×7, first 2 shown]
	v_add_nc_u32_e32 v78, 0x420, v43
	v_add_nc_u32_e32 v79, 0x428, v43
	;; [unrolled: 1-line block ×4, first 2 shown]
	v_lshlrev_b32_e32 v82, 1, v1
	s_wait_alu 0xfffd
	v_add_co_ci_u32_e64 v86, null, 0, v10, vcc_lo
	s_add_nc_u64 s[28:29], s[0:1], 0x60
	s_mov_b32 s31, 0
	s_mov_b32 s23, s45
	s_branch .LBB2055_12
.LBB2055_10:                            ;   in Loop: Header=BB2055_12 Depth=1
	s_wait_loadcnt_dscnt 0x0
	s_barrier_signal -1
	s_barrier_wait -1
.LBB2055_11:                            ;   in Loop: Header=BB2055_12 Depth=1
	s_add_co_i32 s23, s23, 8
	global_inv scope:SCOPE_SE
	s_wait_alu 0xfffe
	s_cmp_ge_u32 s23, s46
	s_cbranch_scc1 .LBB2055_670
.LBB2055_12:                            ; =>This Loop Header: Depth=1
                                        ;     Child Loop BB2055_16 Depth 2
                                        ;     Child Loop BB2055_64 Depth 2
	;; [unrolled: 1-line block ×8, first 2 shown]
	s_wait_alu 0xfffe
	s_sub_co_i32 s0, s46, s23
	s_xor_b32 s35, s35, -1
	s_wait_alu 0xfffe
	s_min_u32 s0, s0, 8
	ds_store_2addr_stride64_b32 v28, v3, v3 offset1:4
	s_wait_alu 0xfffe
	s_lshl_b32 s0, -1, s0
	ds_store_2addr_stride64_b32 v28, v3, v3 offset0:8 offset1:12
	s_wait_alu 0xfffe
	s_not_b32 s42, s0
	s_cmp_lg_u32 s23, s45
	s_mov_b32 s0, -1
	s_wait_storecnt_dscnt 0x0
	s_cbranch_scc0 .LBB2055_342
; %bb.13:                               ;   in Loop: Header=BB2055_12 Depth=1
	s_and_b32 vcc_lo, exec_lo, s35
	s_wait_alu 0xfffe
	s_cbranch_vccz .LBB2055_177
; %bb.14:                               ;   in Loop: Header=BB2055_12 Depth=1
	s_mov_b32 s9, s47
	s_mov_b32 s30, s33
	s_barrier_signal -1
	s_barrier_wait -1
	global_inv scope:SCOPE_SE
                                        ; implicit-def: $vgpr2
                                        ; implicit-def: $vgpr4
                                        ; implicit-def: $vgpr5
                                        ; implicit-def: $vgpr6
                                        ; implicit-def: $vgpr7
                                        ; implicit-def: $vgpr8
                                        ; implicit-def: $vgpr9
                                        ; implicit-def: $vgpr10
	s_branch .LBB2055_16
.LBB2055_15:                            ;   in Loop: Header=BB2055_16 Depth=2
	s_wait_alu 0xfffe
	s_or_b32 exec_lo, exec_lo, s0
	s_addk_co_i32 s9, 0xf800
	s_cmp_ge_u32 s10, s34
	s_mov_b32 s30, s10
	s_cbranch_scc1 .LBB2055_52
.LBB2055_16:                            ;   Parent Loop BB2055_12 Depth=1
                                        ; =>  This Inner Loop Header: Depth=2
	s_wait_alu 0xfffe
	s_add_co_i32 s10, s30, 0x800
	s_mov_b32 s0, -1
	s_wait_alu 0xfffe
	s_cmp_gt_u32 s10, s34
                                        ; implicit-def: $vgpr11
                                        ; implicit-def: $vgpr12
                                        ; implicit-def: $vgpr13
                                        ; implicit-def: $vgpr14
                                        ; implicit-def: $vgpr15
                                        ; implicit-def: $vgpr16
                                        ; implicit-def: $vgpr17
                                        ; implicit-def: $vgpr18
	s_cbranch_scc1 .LBB2055_18
; %bb.17:                               ;   in Loop: Header=BB2055_16 Depth=2
	s_lshl_b64 s[0:1], s[30:31], 1
	s_wait_alu 0xfffe
	v_add_co_u32 v18, vcc_lo, v32, s0
	s_wait_alu 0xfffd
	v_add_co_ci_u32_e64 v19, null, s1, v33, vcc_lo
	s_mov_b32 s0, 0
	s_clause 0x7
	global_load_u16 v11, v[18:19], off
	global_load_u16 v12, v[18:19], off offset:512
	global_load_u16 v13, v[18:19], off offset:1024
	;; [unrolled: 1-line block ×7, first 2 shown]
.LBB2055_18:                            ;   in Loop: Header=BB2055_16 Depth=2
	s_wait_alu 0xfffe
	s_and_not1_b32 vcc_lo, exec_lo, s0
	s_movk_i32 s0, 0x800
	s_wait_alu 0xfffe
	s_cbranch_vccnz .LBB2055_29
; %bb.19:                               ;   in Loop: Header=BB2055_16 Depth=2
	s_lshl_b64 s[0:1], s[30:31], 1
	s_mov_b32 s11, exec_lo
	s_wait_alu 0xfffe
	s_add_nc_u64 s[0:1], s[40:41], s[0:1]
	v_cmpx_gt_u32_e64 s9, v1
	s_cbranch_execnz .LBB2055_45
; %bb.20:                               ;   in Loop: Header=BB2055_16 Depth=2
	s_or_b32 exec_lo, exec_lo, s11
	s_delay_alu instid0(SALU_CYCLE_1)
	s_mov_b32 s11, exec_lo
	v_cmpx_gt_u32_e64 s9, v29
	s_cbranch_execnz .LBB2055_46
.LBB2055_21:                            ;   in Loop: Header=BB2055_16 Depth=2
	s_wait_alu 0xfffe
	s_or_b32 exec_lo, exec_lo, s11
	s_delay_alu instid0(SALU_CYCLE_1)
	s_mov_b32 s11, exec_lo
	v_cmpx_gt_u32_e64 s9, v30
	s_cbranch_execnz .LBB2055_47
.LBB2055_22:                            ;   in Loop: Header=BB2055_16 Depth=2
	s_wait_alu 0xfffe
	s_or_b32 exec_lo, exec_lo, s11
	s_delay_alu instid0(SALU_CYCLE_1)
	s_mov_b32 s11, exec_lo
	v_cmpx_gt_u32_e64 s9, v31
	s_cbranch_execnz .LBB2055_48
.LBB2055_23:                            ;   in Loop: Header=BB2055_16 Depth=2
	s_wait_alu 0xfffe
	s_or_b32 exec_lo, exec_lo, s11
	s_delay_alu instid0(SALU_CYCLE_1)
	s_mov_b32 s11, exec_lo
	v_cmpx_gt_u32_e64 s9, v34
	s_cbranch_execnz .LBB2055_49
.LBB2055_24:                            ;   in Loop: Header=BB2055_16 Depth=2
	s_wait_alu 0xfffe
	s_or_b32 exec_lo, exec_lo, s11
	s_delay_alu instid0(SALU_CYCLE_1)
	s_mov_b32 s11, exec_lo
	v_cmpx_gt_u32_e64 s9, v35
	s_cbranch_execnz .LBB2055_50
.LBB2055_25:                            ;   in Loop: Header=BB2055_16 Depth=2
	s_wait_alu 0xfffe
	s_or_b32 exec_lo, exec_lo, s11
	s_delay_alu instid0(SALU_CYCLE_1)
	s_mov_b32 s11, exec_lo
	v_cmpx_gt_u32_e64 s9, v36
	s_cbranch_execnz .LBB2055_51
.LBB2055_26:                            ;   in Loop: Header=BB2055_16 Depth=2
	s_wait_alu 0xfffe
	s_or_b32 exec_lo, exec_lo, s11
	s_delay_alu instid0(SALU_CYCLE_1)
	s_mov_b32 s11, exec_lo
	v_cmpx_gt_u32_e64 s9, v37
	s_cbranch_execz .LBB2055_28
.LBB2055_27:                            ;   in Loop: Header=BB2055_16 Depth=2
	global_load_u16 v2, v82, s[0:1] offset:3584
.LBB2055_28:                            ;   in Loop: Header=BB2055_16 Depth=2
	s_wait_alu 0xfffe
	s_or_b32 exec_lo, exec_lo, s11
	s_wait_loadcnt 0x0
	v_dual_mov_b32 v11, v10 :: v_dual_mov_b32 v12, v9
	v_dual_mov_b32 v13, v8 :: v_dual_mov_b32 v14, v7
	;; [unrolled: 1-line block ×4, first 2 shown]
	s_mov_b32 s0, s9
.LBB2055_29:                            ;   in Loop: Header=BB2055_16 Depth=2
	s_wait_loadcnt 0x0
	s_delay_alu instid0(VALU_DEP_1) | instskip(NEXT) | instid1(VALU_DEP_2)
	v_dual_mov_b32 v2, v18 :: v_dual_mov_b32 v5, v16
	v_dual_mov_b32 v4, v17 :: v_dual_mov_b32 v7, v14
	;; [unrolled: 1-line block ×3, first 2 shown]
	v_mov_b32_e32 v8, v13
	v_mov_b32_e32 v10, v11
	s_mov_b32 s1, exec_lo
	s_wait_alu 0xfffe
	v_cmpx_gt_u32_e64 s0, v1
	s_cbranch_execnz .LBB2055_37
; %bb.30:                               ;   in Loop: Header=BB2055_16 Depth=2
	s_or_b32 exec_lo, exec_lo, s1
	s_delay_alu instid0(SALU_CYCLE_1)
	s_mov_b32 s1, exec_lo
	v_cmpx_gt_u32_e64 s0, v29
	s_cbranch_execnz .LBB2055_38
.LBB2055_31:                            ;   in Loop: Header=BB2055_16 Depth=2
	s_wait_alu 0xfffe
	s_or_b32 exec_lo, exec_lo, s1
	s_delay_alu instid0(SALU_CYCLE_1)
	s_mov_b32 s1, exec_lo
	v_cmpx_gt_u32_e64 s0, v30
	s_cbranch_execnz .LBB2055_39
.LBB2055_32:                            ;   in Loop: Header=BB2055_16 Depth=2
	s_wait_alu 0xfffe
	s_or_b32 exec_lo, exec_lo, s1
	s_delay_alu instid0(SALU_CYCLE_1)
	s_mov_b32 s1, exec_lo
	v_cmpx_gt_u32_e64 s0, v31
	s_cbranch_execnz .LBB2055_40
.LBB2055_33:                            ;   in Loop: Header=BB2055_16 Depth=2
	s_wait_alu 0xfffe
	s_or_b32 exec_lo, exec_lo, s1
	s_delay_alu instid0(SALU_CYCLE_1)
	s_mov_b32 s1, exec_lo
	v_cmpx_gt_u32_e64 s0, v34
	s_cbranch_execnz .LBB2055_41
.LBB2055_34:                            ;   in Loop: Header=BB2055_16 Depth=2
	s_wait_alu 0xfffe
	s_or_b32 exec_lo, exec_lo, s1
	s_delay_alu instid0(SALU_CYCLE_1)
	s_mov_b32 s1, exec_lo
	v_cmpx_gt_u32_e64 s0, v35
	s_cbranch_execnz .LBB2055_42
.LBB2055_35:                            ;   in Loop: Header=BB2055_16 Depth=2
	s_wait_alu 0xfffe
	s_or_b32 exec_lo, exec_lo, s1
	s_delay_alu instid0(SALU_CYCLE_1)
	s_mov_b32 s1, exec_lo
	v_cmpx_gt_u32_e64 s0, v36
	s_cbranch_execnz .LBB2055_43
.LBB2055_36:                            ;   in Loop: Header=BB2055_16 Depth=2
	s_wait_alu 0xfffe
	s_or_b32 exec_lo, exec_lo, s1
	v_cmp_gt_u32_e32 vcc_lo, s0, v37
	s_and_saveexec_b32 s0, vcc_lo
	s_cbranch_execz .LBB2055_15
	s_branch .LBB2055_44
.LBB2055_37:                            ;   in Loop: Header=BB2055_16 Depth=2
	v_cmp_lt_i16_e32 vcc_lo, -1, v10
	s_wait_alu 0xfffd
	v_cndmask_b32_e64 v11, -1, 0xffff8000, vcc_lo
	s_delay_alu instid0(VALU_DEP_1) | instskip(NEXT) | instid1(VALU_DEP_1)
	v_xor_b32_e32 v11, v11, v10
	v_cmp_ne_u16_e32 vcc_lo, 0x7fff, v11
	s_wait_alu 0xfffd
	v_cndmask_b32_e32 v11, 0xffff8000, v11, vcc_lo
	s_delay_alu instid0(VALU_DEP_1) | instskip(NEXT) | instid1(VALU_DEP_1)
	v_and_b32_e32 v11, 0xffff, v11
	v_lshrrev_b32_e32 v11, s23, v11
	s_delay_alu instid0(VALU_DEP_1) | instskip(NEXT) | instid1(VALU_DEP_1)
	v_and_b32_e32 v11, s42, v11
	v_lshl_or_b32 v11, v11, 4, v39
	ds_add_u32 v11, v62
	s_or_b32 exec_lo, exec_lo, s1
	s_delay_alu instid0(SALU_CYCLE_1)
	s_mov_b32 s1, exec_lo
	v_cmpx_gt_u32_e64 s0, v29
	s_cbranch_execz .LBB2055_31
.LBB2055_38:                            ;   in Loop: Header=BB2055_16 Depth=2
	v_cmp_lt_i16_e32 vcc_lo, -1, v9
	s_wait_alu 0xfffd
	v_cndmask_b32_e64 v11, -1, 0xffff8000, vcc_lo
	s_delay_alu instid0(VALU_DEP_1) | instskip(NEXT) | instid1(VALU_DEP_1)
	v_xor_b32_e32 v11, v11, v9
	v_cmp_ne_u16_e32 vcc_lo, 0x7fff, v11
	s_wait_alu 0xfffd
	v_cndmask_b32_e32 v11, 0xffff8000, v11, vcc_lo
	s_delay_alu instid0(VALU_DEP_1) | instskip(NEXT) | instid1(VALU_DEP_1)
	v_and_b32_e32 v11, 0xffff, v11
	v_lshrrev_b32_e32 v11, s23, v11
	s_delay_alu instid0(VALU_DEP_1) | instskip(NEXT) | instid1(VALU_DEP_1)
	v_and_b32_e32 v11, s42, v11
	v_lshl_or_b32 v11, v11, 4, v39
	ds_add_u32 v11, v62
	s_wait_alu 0xfffe
	s_or_b32 exec_lo, exec_lo, s1
	s_delay_alu instid0(SALU_CYCLE_1)
	s_mov_b32 s1, exec_lo
	v_cmpx_gt_u32_e64 s0, v30
	s_cbranch_execz .LBB2055_32
.LBB2055_39:                            ;   in Loop: Header=BB2055_16 Depth=2
	v_cmp_lt_i16_e32 vcc_lo, -1, v8
	s_wait_alu 0xfffd
	v_cndmask_b32_e64 v11, -1, 0xffff8000, vcc_lo
	s_delay_alu instid0(VALU_DEP_1) | instskip(NEXT) | instid1(VALU_DEP_1)
	v_xor_b32_e32 v11, v11, v8
	v_cmp_ne_u16_e32 vcc_lo, 0x7fff, v11
	s_wait_alu 0xfffd
	v_cndmask_b32_e32 v11, 0xffff8000, v11, vcc_lo
	s_delay_alu instid0(VALU_DEP_1) | instskip(NEXT) | instid1(VALU_DEP_1)
	v_and_b32_e32 v11, 0xffff, v11
	v_lshrrev_b32_e32 v11, s23, v11
	s_delay_alu instid0(VALU_DEP_1) | instskip(NEXT) | instid1(VALU_DEP_1)
	v_and_b32_e32 v11, s42, v11
	v_lshl_or_b32 v11, v11, 4, v39
	ds_add_u32 v11, v62
	s_wait_alu 0xfffe
	s_or_b32 exec_lo, exec_lo, s1
	s_delay_alu instid0(SALU_CYCLE_1)
	s_mov_b32 s1, exec_lo
	v_cmpx_gt_u32_e64 s0, v31
	s_cbranch_execz .LBB2055_33
.LBB2055_40:                            ;   in Loop: Header=BB2055_16 Depth=2
	v_cmp_lt_i16_e32 vcc_lo, -1, v7
	s_wait_alu 0xfffd
	v_cndmask_b32_e64 v11, -1, 0xffff8000, vcc_lo
	s_delay_alu instid0(VALU_DEP_1) | instskip(NEXT) | instid1(VALU_DEP_1)
	v_xor_b32_e32 v11, v11, v7
	v_cmp_ne_u16_e32 vcc_lo, 0x7fff, v11
	s_wait_alu 0xfffd
	v_cndmask_b32_e32 v11, 0xffff8000, v11, vcc_lo
	s_delay_alu instid0(VALU_DEP_1) | instskip(NEXT) | instid1(VALU_DEP_1)
	v_and_b32_e32 v11, 0xffff, v11
	v_lshrrev_b32_e32 v11, s23, v11
	s_delay_alu instid0(VALU_DEP_1) | instskip(NEXT) | instid1(VALU_DEP_1)
	v_and_b32_e32 v11, s42, v11
	v_lshl_or_b32 v11, v11, 4, v39
	ds_add_u32 v11, v62
	s_wait_alu 0xfffe
	s_or_b32 exec_lo, exec_lo, s1
	s_delay_alu instid0(SALU_CYCLE_1)
	s_mov_b32 s1, exec_lo
	v_cmpx_gt_u32_e64 s0, v34
	s_cbranch_execz .LBB2055_34
.LBB2055_41:                            ;   in Loop: Header=BB2055_16 Depth=2
	v_cmp_lt_i16_e32 vcc_lo, -1, v6
	s_wait_alu 0xfffd
	v_cndmask_b32_e64 v11, -1, 0xffff8000, vcc_lo
	s_delay_alu instid0(VALU_DEP_1) | instskip(NEXT) | instid1(VALU_DEP_1)
	v_xor_b32_e32 v11, v11, v6
	v_cmp_ne_u16_e32 vcc_lo, 0x7fff, v11
	s_wait_alu 0xfffd
	v_cndmask_b32_e32 v11, 0xffff8000, v11, vcc_lo
	s_delay_alu instid0(VALU_DEP_1) | instskip(NEXT) | instid1(VALU_DEP_1)
	v_and_b32_e32 v11, 0xffff, v11
	v_lshrrev_b32_e32 v11, s23, v11
	s_delay_alu instid0(VALU_DEP_1) | instskip(NEXT) | instid1(VALU_DEP_1)
	v_and_b32_e32 v11, s42, v11
	v_lshl_or_b32 v11, v11, 4, v39
	ds_add_u32 v11, v62
	s_wait_alu 0xfffe
	s_or_b32 exec_lo, exec_lo, s1
	s_delay_alu instid0(SALU_CYCLE_1)
	s_mov_b32 s1, exec_lo
	v_cmpx_gt_u32_e64 s0, v35
	s_cbranch_execz .LBB2055_35
.LBB2055_42:                            ;   in Loop: Header=BB2055_16 Depth=2
	v_cmp_lt_i16_e32 vcc_lo, -1, v5
	s_wait_alu 0xfffd
	v_cndmask_b32_e64 v11, -1, 0xffff8000, vcc_lo
	s_delay_alu instid0(VALU_DEP_1) | instskip(NEXT) | instid1(VALU_DEP_1)
	v_xor_b32_e32 v11, v11, v5
	v_cmp_ne_u16_e32 vcc_lo, 0x7fff, v11
	s_wait_alu 0xfffd
	v_cndmask_b32_e32 v11, 0xffff8000, v11, vcc_lo
	s_delay_alu instid0(VALU_DEP_1) | instskip(NEXT) | instid1(VALU_DEP_1)
	v_and_b32_e32 v11, 0xffff, v11
	v_lshrrev_b32_e32 v11, s23, v11
	s_delay_alu instid0(VALU_DEP_1) | instskip(NEXT) | instid1(VALU_DEP_1)
	v_and_b32_e32 v11, s42, v11
	v_lshl_or_b32 v11, v11, 4, v39
	ds_add_u32 v11, v62
	s_wait_alu 0xfffe
	s_or_b32 exec_lo, exec_lo, s1
	s_delay_alu instid0(SALU_CYCLE_1)
	s_mov_b32 s1, exec_lo
	v_cmpx_gt_u32_e64 s0, v36
	s_cbranch_execz .LBB2055_36
.LBB2055_43:                            ;   in Loop: Header=BB2055_16 Depth=2
	v_cmp_lt_i16_e32 vcc_lo, -1, v4
	s_wait_alu 0xfffd
	v_cndmask_b32_e64 v11, -1, 0xffff8000, vcc_lo
	s_delay_alu instid0(VALU_DEP_1) | instskip(NEXT) | instid1(VALU_DEP_1)
	v_xor_b32_e32 v11, v11, v4
	v_cmp_ne_u16_e32 vcc_lo, 0x7fff, v11
	s_wait_alu 0xfffd
	v_cndmask_b32_e32 v11, 0xffff8000, v11, vcc_lo
	s_delay_alu instid0(VALU_DEP_1) | instskip(NEXT) | instid1(VALU_DEP_1)
	v_and_b32_e32 v11, 0xffff, v11
	v_lshrrev_b32_e32 v11, s23, v11
	s_delay_alu instid0(VALU_DEP_1) | instskip(NEXT) | instid1(VALU_DEP_1)
	v_and_b32_e32 v11, s42, v11
	v_lshl_or_b32 v11, v11, 4, v39
	ds_add_u32 v11, v62
	s_wait_alu 0xfffe
	s_or_b32 exec_lo, exec_lo, s1
	v_cmp_gt_u32_e32 vcc_lo, s0, v37
	s_and_saveexec_b32 s0, vcc_lo
	s_cbranch_execz .LBB2055_15
.LBB2055_44:                            ;   in Loop: Header=BB2055_16 Depth=2
	v_cmp_lt_i16_e32 vcc_lo, -1, v2
	s_wait_alu 0xfffd
	v_cndmask_b32_e64 v11, -1, 0xffff8000, vcc_lo
	s_delay_alu instid0(VALU_DEP_1) | instskip(NEXT) | instid1(VALU_DEP_1)
	v_xor_b32_e32 v11, v11, v2
	v_cmp_ne_u16_e32 vcc_lo, 0x7fff, v11
	s_wait_alu 0xfffd
	v_cndmask_b32_e32 v11, 0xffff8000, v11, vcc_lo
	s_delay_alu instid0(VALU_DEP_1) | instskip(NEXT) | instid1(VALU_DEP_1)
	v_and_b32_e32 v11, 0xffff, v11
	v_lshrrev_b32_e32 v11, s23, v11
	s_delay_alu instid0(VALU_DEP_1) | instskip(NEXT) | instid1(VALU_DEP_1)
	v_and_b32_e32 v11, s42, v11
	v_lshl_or_b32 v11, v11, 4, v39
	ds_add_u32 v11, v62
	s_branch .LBB2055_15
.LBB2055_45:                            ;   in Loop: Header=BB2055_16 Depth=2
	global_load_u16 v10, v82, s[0:1]
	s_or_b32 exec_lo, exec_lo, s11
	s_delay_alu instid0(SALU_CYCLE_1)
	s_mov_b32 s11, exec_lo
	v_cmpx_gt_u32_e64 s9, v29
	s_cbranch_execz .LBB2055_21
.LBB2055_46:                            ;   in Loop: Header=BB2055_16 Depth=2
	global_load_u16 v9, v82, s[0:1] offset:512
	s_wait_alu 0xfffe
	s_or_b32 exec_lo, exec_lo, s11
	s_delay_alu instid0(SALU_CYCLE_1)
	s_mov_b32 s11, exec_lo
	v_cmpx_gt_u32_e64 s9, v30
	s_cbranch_execz .LBB2055_22
.LBB2055_47:                            ;   in Loop: Header=BB2055_16 Depth=2
	global_load_u16 v8, v82, s[0:1] offset:1024
	s_wait_alu 0xfffe
	s_or_b32 exec_lo, exec_lo, s11
	s_delay_alu instid0(SALU_CYCLE_1)
	s_mov_b32 s11, exec_lo
	v_cmpx_gt_u32_e64 s9, v31
	s_cbranch_execz .LBB2055_23
.LBB2055_48:                            ;   in Loop: Header=BB2055_16 Depth=2
	global_load_u16 v7, v82, s[0:1] offset:1536
	s_wait_alu 0xfffe
	s_or_b32 exec_lo, exec_lo, s11
	s_delay_alu instid0(SALU_CYCLE_1)
	s_mov_b32 s11, exec_lo
	v_cmpx_gt_u32_e64 s9, v34
	s_cbranch_execz .LBB2055_24
.LBB2055_49:                            ;   in Loop: Header=BB2055_16 Depth=2
	global_load_u16 v6, v82, s[0:1] offset:2048
	s_wait_alu 0xfffe
	s_or_b32 exec_lo, exec_lo, s11
	s_delay_alu instid0(SALU_CYCLE_1)
	s_mov_b32 s11, exec_lo
	v_cmpx_gt_u32_e64 s9, v35
	s_cbranch_execz .LBB2055_25
.LBB2055_50:                            ;   in Loop: Header=BB2055_16 Depth=2
	global_load_u16 v5, v82, s[0:1] offset:2560
	s_wait_alu 0xfffe
	s_or_b32 exec_lo, exec_lo, s11
	s_delay_alu instid0(SALU_CYCLE_1)
	s_mov_b32 s11, exec_lo
	v_cmpx_gt_u32_e64 s9, v36
	s_cbranch_execz .LBB2055_26
.LBB2055_51:                            ;   in Loop: Header=BB2055_16 Depth=2
	global_load_u16 v4, v82, s[0:1] offset:3072
	s_wait_alu 0xfffe
	s_or_b32 exec_lo, exec_lo, s11
	s_delay_alu instid0(SALU_CYCLE_1)
	s_mov_b32 s11, exec_lo
	v_cmpx_gt_u32_e64 s9, v37
	s_cbranch_execnz .LBB2055_27
	s_branch .LBB2055_28
.LBB2055_52:                            ;   in Loop: Header=BB2055_12 Depth=1
	v_mov_b32_e32 v2, 0
	s_wait_dscnt 0x0
	s_barrier_signal -1
	s_barrier_wait -1
	global_inv scope:SCOPE_SE
	s_and_saveexec_b32 s0, s2
	s_cbranch_execz .LBB2055_54
; %bb.53:                               ;   in Loop: Header=BB2055_12 Depth=1
	ds_load_2addr_b64 v[4:7], v40 offset1:1
	s_wait_dscnt 0x0
	v_add_nc_u32_e32 v2, v5, v4
	s_delay_alu instid0(VALU_DEP_1)
	v_add3_u32 v2, v2, v6, v7
.LBB2055_54:                            ;   in Loop: Header=BB2055_12 Depth=1
	s_wait_alu 0xfffe
	s_or_b32 exec_lo, exec_lo, s0
	s_delay_alu instid0(VALU_DEP_1)
	v_mov_b32_dpp v4, v2 row_shr:1 row_mask:0xf bank_mask:0xf
	v_cmp_eq_u32_e64 s0, 0, v63
	v_cmp_lt_u32_e64 s1, 1, v63
	v_cmp_lt_u32_e64 s9, 3, v63
	;; [unrolled: 1-line block ×3, first 2 shown]
	v_cmp_eq_u32_e64 s11, 0, v65
	s_wait_alu 0xf1ff
	v_cndmask_b32_e64 v4, v4, 0, s0
	s_delay_alu instid0(VALU_DEP_1) | instskip(NEXT) | instid1(VALU_DEP_1)
	v_add_nc_u32_e32 v2, v4, v2
	v_mov_b32_dpp v4, v2 row_shr:2 row_mask:0xf bank_mask:0xf
	s_delay_alu instid0(VALU_DEP_1) | instskip(NEXT) | instid1(VALU_DEP_1)
	v_cndmask_b32_e64 v4, 0, v4, s1
	v_add_nc_u32_e32 v2, v2, v4
	s_delay_alu instid0(VALU_DEP_1) | instskip(NEXT) | instid1(VALU_DEP_1)
	v_mov_b32_dpp v4, v2 row_shr:4 row_mask:0xf bank_mask:0xf
	v_cndmask_b32_e64 v4, 0, v4, s9
	s_delay_alu instid0(VALU_DEP_1) | instskip(NEXT) | instid1(VALU_DEP_1)
	v_add_nc_u32_e32 v2, v2, v4
	v_mov_b32_dpp v4, v2 row_shr:8 row_mask:0xf bank_mask:0xf
	s_delay_alu instid0(VALU_DEP_1) | instskip(NEXT) | instid1(VALU_DEP_1)
	v_cndmask_b32_e64 v4, 0, v4, s10
	v_add_nc_u32_e32 v2, v2, v4
	ds_swizzle_b32 v4, v2 offset:swizzle(BROADCAST,32,15)
	s_wait_dscnt 0x0
	v_and_b32_e32 v4, v64, v4
	s_delay_alu instid0(VALU_DEP_1)
	v_add_nc_u32_e32 v2, v2, v4
	s_and_saveexec_b32 s12, s3
; %bb.55:                               ;   in Loop: Header=BB2055_12 Depth=1
	ds_store_b32 v41, v2
; %bb.56:                               ;   in Loop: Header=BB2055_12 Depth=1
	s_wait_alu 0xfffe
	s_or_b32 exec_lo, exec_lo, s12
	s_wait_loadcnt_dscnt 0x0
	s_barrier_signal -1
	s_barrier_wait -1
	global_inv scope:SCOPE_SE
	s_and_saveexec_b32 s12, s4
	s_cbranch_execz .LBB2055_58
; %bb.57:                               ;   in Loop: Header=BB2055_12 Depth=1
	ds_load_b32 v4, v42
	v_cmp_ne_u32_e32 vcc_lo, 0, v67
	s_wait_dscnt 0x0
	v_mov_b32_dpp v5, v4 row_shr:1 row_mask:0xf bank_mask:0xf
	s_wait_alu 0xfffd
	s_delay_alu instid0(VALU_DEP_1) | instskip(SKIP_1) | instid1(VALU_DEP_2)
	v_cndmask_b32_e32 v5, 0, v5, vcc_lo
	v_cmp_lt_u32_e32 vcc_lo, 1, v67
	v_add_nc_u32_e32 v4, v5, v4
	s_delay_alu instid0(VALU_DEP_1) | instskip(SKIP_1) | instid1(VALU_DEP_1)
	v_mov_b32_dpp v5, v4 row_shr:2 row_mask:0xf bank_mask:0xf
	s_wait_alu 0xfffd
	v_cndmask_b32_e32 v5, 0, v5, vcc_lo
	v_cmp_lt_u32_e32 vcc_lo, 3, v67
	s_delay_alu instid0(VALU_DEP_2) | instskip(NEXT) | instid1(VALU_DEP_1)
	v_add_nc_u32_e32 v4, v4, v5
	v_mov_b32_dpp v5, v4 row_shr:4 row_mask:0xf bank_mask:0xf
	s_wait_alu 0xfffd
	s_delay_alu instid0(VALU_DEP_1) | instskip(NEXT) | instid1(VALU_DEP_1)
	v_cndmask_b32_e32 v5, 0, v5, vcc_lo
	v_add_nc_u32_e32 v4, v4, v5
	ds_store_b32 v42, v4
.LBB2055_58:                            ;   in Loop: Header=BB2055_12 Depth=1
	s_wait_alu 0xfffe
	s_or_b32 exec_lo, exec_lo, s12
	v_mov_b32_e32 v4, 0
	s_wait_loadcnt_dscnt 0x0
	s_barrier_signal -1
	s_barrier_wait -1
	global_inv scope:SCOPE_SE
	s_and_saveexec_b32 s12, s5
; %bb.59:                               ;   in Loop: Header=BB2055_12 Depth=1
	ds_load_b32 v4, v44
; %bb.60:                               ;   in Loop: Header=BB2055_12 Depth=1
	s_wait_alu 0xfffe
	s_or_b32 exec_lo, exec_lo, s12
	v_cmp_gt_i32_e32 vcc_lo, 0, v68
	s_wait_dscnt 0x0
	v_add_nc_u32_e32 v2, v4, v2
	s_wait_loadcnt 0x0
	s_barrier_signal -1
	s_barrier_wait -1
	s_wait_alu 0xfffd
	v_cndmask_b32_e32 v5, v68, v59, vcc_lo
	global_inv scope:SCOPE_SE
	v_lshlrev_b32_e32 v87, 2, v5
	ds_bpermute_b32 v2, v87, v2
	s_and_saveexec_b32 s12, s2
	s_cbranch_execz .LBB2055_62
; %bb.61:                               ;   in Loop: Header=BB2055_12 Depth=1
	s_wait_dscnt 0x0
	v_cndmask_b32_e64 v2, v2, v4, s8
	s_delay_alu instid0(VALU_DEP_1)
	v_add_nc_u32_e32 v2, s33, v2
	ds_store_b32 v28, v2
.LBB2055_62:                            ;   in Loop: Header=BB2055_12 Depth=1
	s_wait_alu 0xfffe
	s_or_b32 exec_lo, exec_lo, s12
	s_clause 0x1
	s_load_b32 s12, s[28:29], 0x4
	s_load_b32 s14, s[28:29], 0xc
	s_mov_b32 s43, s47
                                        ; implicit-def: $vgpr6_vgpr7
                                        ; implicit-def: $vgpr8_vgpr9
                                        ; implicit-def: $vgpr10_vgpr11
                                        ; implicit-def: $vgpr12_vgpr13
                                        ; implicit-def: $vgpr14_vgpr15
                                        ; implicit-def: $vgpr16_vgpr17
                                        ; implicit-def: $vgpr18_vgpr19
                                        ; implicit-def: $vgpr89
                                        ; implicit-def: $vgpr90
                                        ; implicit-def: $vgpr91
                                        ; implicit-def: $vgpr92
                                        ; implicit-def: $vgpr93
                                        ; implicit-def: $vgpr94
                                        ; implicit-def: $vgpr95
                                        ; implicit-def: $vgpr96
	s_wait_kmcnt 0x0
	s_cmp_lt_u32 ttmp7, s12
	s_cselect_b32 s30, 14, 20
	s_wait_alu 0xfffe
	s_add_nc_u64 s[12:13], s[28:29], s[30:31]
	s_mov_b32 s30, s33
	s_load_u16 s12, s[12:13], 0x0
	v_cmp_lt_u32_e64 s13, 1, v67
	s_wait_dscnt 0x0
	s_wait_kmcnt 0x0
	v_mad_u32_u24 v2, v45, s12, v0
	s_and_b32 s12, s14, 0xffff
	v_cmp_lt_u32_e64 s14, 3, v67
	s_wait_alu 0xfffe
	s_delay_alu instid0(VALU_DEP_2) | instskip(SKIP_1) | instid1(VALU_DEP_2)
	v_mad_co_u64_u32 v[4:5], null, v2, s12, v[1:2]
	v_cmp_eq_u32_e64 s12, 0, v67
	v_lshrrev_b32_e32 v2, 3, v4
                                        ; implicit-def: $vgpr4_vgpr5
	s_delay_alu instid0(VALU_DEP_1)
	v_and_b32_e32 v88, 0x1ffffffc, v2
	s_branch .LBB2055_64
.LBB2055_63:                            ;   in Loop: Header=BB2055_64 Depth=2
	s_wait_alu 0xfffe
	s_or_b32 exec_lo, exec_lo, s15
	s_addk_co_i32 s43, 0xf800
	s_cmp_lt_u32 s44, s34
	s_mov_b32 s30, s44
	s_cbranch_scc0 .LBB2055_176
.LBB2055_64:                            ;   Parent Loop BB2055_12 Depth=1
                                        ; =>  This Inner Loop Header: Depth=2
	s_wait_alu 0xfffe
	s_add_co_i32 s44, s30, 0x800
	s_wait_alu 0xfffe
	s_cmp_gt_u32 s44, s34
	s_cbranch_scc1 .LBB2055_66
; %bb.65:                               ;   in Loop: Header=BB2055_64 Depth=2
	s_lshl_b64 s[16:17], s[30:31], 1
	s_mov_b32 s15, -1
	s_wait_alu 0xfffe
	v_add_co_u32 v20, vcc_lo, v85, s16
	s_wait_alu 0xfffd
	v_add_co_ci_u32_e64 v21, null, s17, v86, vcc_lo
	s_clause 0x6
	global_load_u16 v2, v[20:21], off
	global_load_u16 v27, v[20:21], off offset:64
	global_load_u16 v26, v[20:21], off offset:128
	global_load_u16 v25, v[20:21], off offset:192
	global_load_u16 v24, v[20:21], off offset:256
	global_load_u16 v23, v[20:21], off offset:320
	global_load_u16 v22, v[20:21], off offset:384
	s_movk_i32 s16, 0x800
	s_cbranch_execz .LBB2055_67
	s_branch .LBB2055_82
.LBB2055_66:                            ;   in Loop: Header=BB2055_64 Depth=2
	s_mov_b32 s15, 0
                                        ; implicit-def: $vgpr2
                                        ; implicit-def: $vgpr27
                                        ; implicit-def: $vgpr26
                                        ; implicit-def: $vgpr25
                                        ; implicit-def: $vgpr24
                                        ; implicit-def: $vgpr23
                                        ; implicit-def: $vgpr22
	s_movk_i32 s16, 0x800
.LBB2055_67:                            ;   in Loop: Header=BB2055_64 Depth=2
	s_lshl_b64 s[16:17], s[30:31], 1
	s_wait_loadcnt 0x5
	v_dual_mov_b32 v27, 0x7fff :: v_dual_mov_b32 v2, 0x7fff
	s_wait_alu 0xfffe
	v_add_co_u32 v20, vcc_lo, v85, s16
	s_wait_alu 0xfffd
	v_add_co_ci_u32_e64 v21, null, s17, v86, vcc_lo
	s_mov_b32 s15, exec_lo
	v_cmpx_gt_u32_e64 s43, v66
	s_cbranch_execz .LBB2055_69
; %bb.68:                               ;   in Loop: Header=BB2055_64 Depth=2
	global_load_u16 v2, v[20:21], off
.LBB2055_69:                            ;   in Loop: Header=BB2055_64 Depth=2
	s_wait_alu 0xfffe
	s_or_b32 exec_lo, exec_lo, s15
	s_delay_alu instid0(SALU_CYCLE_1)
	s_mov_b32 s15, exec_lo
	v_cmpx_gt_u32_e64 s43, v70
	s_cbranch_execz .LBB2055_71
; %bb.70:                               ;   in Loop: Header=BB2055_64 Depth=2
	global_load_u16 v27, v[20:21], off offset:64
.LBB2055_71:                            ;   in Loop: Header=BB2055_64 Depth=2
	s_wait_alu 0xfffe
	s_or_b32 exec_lo, exec_lo, s15
	s_wait_loadcnt 0x3
	v_dual_mov_b32 v25, 0x7fff :: v_dual_mov_b32 v26, 0x7fff
	s_mov_b32 s15, exec_lo
	v_cmpx_gt_u32_e64 s43, v71
	s_cbranch_execz .LBB2055_73
; %bb.72:                               ;   in Loop: Header=BB2055_64 Depth=2
	global_load_u16 v26, v[20:21], off offset:128
.LBB2055_73:                            ;   in Loop: Header=BB2055_64 Depth=2
	s_wait_alu 0xfffe
	s_or_b32 exec_lo, exec_lo, s15
	s_delay_alu instid0(SALU_CYCLE_1)
	s_mov_b32 s15, exec_lo
	v_cmpx_gt_u32_e64 s43, v72
	s_cbranch_execz .LBB2055_75
; %bb.74:                               ;   in Loop: Header=BB2055_64 Depth=2
	global_load_u16 v25, v[20:21], off offset:192
.LBB2055_75:                            ;   in Loop: Header=BB2055_64 Depth=2
	s_wait_alu 0xfffe
	s_or_b32 exec_lo, exec_lo, s15
	s_wait_loadcnt 0x1
	v_dual_mov_b32 v23, 0x7fff :: v_dual_mov_b32 v24, 0x7fff
	s_mov_b32 s15, exec_lo
	v_cmpx_gt_u32_e64 s43, v73
	s_cbranch_execz .LBB2055_77
; %bb.76:                               ;   in Loop: Header=BB2055_64 Depth=2
	global_load_u16 v24, v[20:21], off offset:256
.LBB2055_77:                            ;   in Loop: Header=BB2055_64 Depth=2
	s_wait_alu 0xfffe
	s_or_b32 exec_lo, exec_lo, s15
	s_delay_alu instid0(SALU_CYCLE_1)
	s_mov_b32 s15, exec_lo
	v_cmpx_gt_u32_e64 s43, v74
	s_cbranch_execz .LBB2055_79
; %bb.78:                               ;   in Loop: Header=BB2055_64 Depth=2
	global_load_u16 v23, v[20:21], off offset:320
.LBB2055_79:                            ;   in Loop: Header=BB2055_64 Depth=2
	s_wait_alu 0xfffe
	s_or_b32 exec_lo, exec_lo, s15
	s_wait_loadcnt 0x0
	v_mov_b32_e32 v22, 0x7fff
	s_mov_b32 s15, exec_lo
	v_cmpx_gt_u32_e64 s43, v75
	s_cbranch_execz .LBB2055_81
; %bb.80:                               ;   in Loop: Header=BB2055_64 Depth=2
	global_load_u16 v22, v[20:21], off offset:384
.LBB2055_81:                            ;   in Loop: Header=BB2055_64 Depth=2
	s_wait_alu 0xfffe
	s_or_b32 exec_lo, exec_lo, s15
	v_cmp_gt_u32_e64 s15, s43, v76
	s_sub_co_i32 s16, s34, s30
.LBB2055_82:                            ;   in Loop: Header=BB2055_64 Depth=2
	v_dual_mov_b32 v20, 0x7fff :: v_dual_mov_b32 v97, s43
	s_and_saveexec_b32 s17, s15
	s_cbranch_execz .LBB2055_84
; %bb.83:                               ;   in Loop: Header=BB2055_64 Depth=2
	s_lshl_b64 s[18:19], s[30:31], 1
	s_wait_alu 0xfffe
	v_mov_b32_e32 v97, s16
	v_add_co_u32 v20, vcc_lo, v85, s18
	s_wait_alu 0xfffd
	v_add_co_ci_u32_e64 v21, null, s19, v86, vcc_lo
	global_load_u16 v20, v[20:21], off offset:448
.LBB2055_84:                            ;   in Loop: Header=BB2055_64 Depth=2
	s_wait_alu 0xfffe
	s_or_b32 exec_lo, exec_lo, s17
	s_wait_loadcnt 0x6
	v_cmp_lt_i16_e32 vcc_lo, -1, v2
	ds_store_2addr_b32 v81, v3, v3 offset1:1
	ds_store_2addr_b32 v78, v3, v3 offset1:1
	;; [unrolled: 1-line block ×4, first 2 shown]
	ds_store_b32 v43, v3 offset:1088
	s_wait_loadcnt_dscnt 0x0
	s_barrier_signal -1
	s_wait_alu 0xfffd
	v_cndmask_b32_e64 v21, -1, 0xffff8000, vcc_lo
	s_barrier_wait -1
	global_inv scope:SCOPE_SE
	; wave barrier
	v_xor_b32_e32 v2, v21, v2
	s_delay_alu instid0(VALU_DEP_1) | instskip(SKIP_2) | instid1(VALU_DEP_1)
	v_cmp_ne_u16_e32 vcc_lo, 0x7fff, v2
	s_wait_alu 0xfffd
	v_cndmask_b32_e32 v21, 0xffff8000, v2, vcc_lo
	v_and_b32_e32 v21, 0xffff, v21
	s_delay_alu instid0(VALU_DEP_1) | instskip(NEXT) | instid1(VALU_DEP_1)
	v_lshrrev_b32_e32 v21, s23, v21
	v_and_b32_e32 v99, s42, v21
	s_delay_alu instid0(VALU_DEP_1)
	v_and_b32_e32 v21, 1, v99
	v_lshlrev_b32_e32 v98, 30, v99
	v_lshlrev_b32_e32 v100, 29, v99
	;; [unrolled: 1-line block ×4, first 2 shown]
	v_add_co_u32 v21, s15, v21, -1
	s_wait_alu 0xf1ff
	v_cndmask_b32_e64 v102, 0, 1, s15
	v_not_b32_e32 v106, v98
	v_cmp_gt_i32_e64 s15, 0, v98
	v_not_b32_e32 v98, v100
	v_lshlrev_b32_e32 v104, 26, v99
	v_cmp_ne_u32_e32 vcc_lo, 0, v102
	v_ashrrev_i32_e32 v106, 31, v106
	v_lshlrev_b32_e32 v105, 25, v99
	v_ashrrev_i32_e32 v98, 31, v98
	v_lshlrev_b32_e32 v102, 24, v99
	s_wait_alu 0xfffd
	v_xor_b32_e32 v21, vcc_lo, v21
	v_cmp_gt_i32_e32 vcc_lo, 0, v100
	v_not_b32_e32 v100, v101
	s_wait_alu 0xf1ff
	v_xor_b32_e32 v106, s15, v106
	v_cmp_gt_i32_e64 s15, 0, v101
	v_and_b32_e32 v21, exec_lo, v21
	v_not_b32_e32 v101, v103
	v_ashrrev_i32_e32 v100, 31, v100
	s_wait_alu 0xfffd
	v_xor_b32_e32 v98, vcc_lo, v98
	v_cmp_gt_i32_e32 vcc_lo, 0, v103
	v_and_b32_e32 v21, v21, v106
	v_not_b32_e32 v103, v104
	v_ashrrev_i32_e32 v101, 31, v101
	s_wait_alu 0xf1ff
	v_xor_b32_e32 v100, s15, v100
	v_cmp_gt_i32_e64 s15, 0, v104
	v_and_b32_e32 v21, v21, v98
	v_not_b32_e32 v98, v105
	v_ashrrev_i32_e32 v103, 31, v103
	s_wait_alu 0xfffd
	v_xor_b32_e32 v101, vcc_lo, v101
	v_cmp_gt_i32_e32 vcc_lo, 0, v105
	v_and_b32_e32 v21, v21, v100
	v_not_b32_e32 v100, v102
	v_ashrrev_i32_e32 v98, 31, v98
	s_wait_alu 0xf1ff
	v_xor_b32_e32 v103, s15, v103
	v_cmp_gt_i32_e64 s15, 0, v102
	v_and_b32_e32 v21, v21, v101
	v_ashrrev_i32_e32 v100, 31, v100
	s_wait_alu 0xfffd
	v_xor_b32_e32 v98, vcc_lo, v98
	v_mul_u32_u24_e32 v99, 36, v99
	v_and_b32_e32 v21, v21, v103
	s_wait_alu 0xf1ff
	v_xor_b32_e32 v100, s15, v100
	s_delay_alu instid0(VALU_DEP_2) | instskip(NEXT) | instid1(VALU_DEP_1)
	v_and_b32_e32 v21, v21, v98
	v_and_b32_e32 v21, v21, v100
	v_add_nc_u32_e32 v100, v88, v99
	s_delay_alu instid0(VALU_DEP_2) | instskip(SKIP_1) | instid1(VALU_DEP_2)
	v_mbcnt_lo_u32_b32 v98, v21, 0
	v_cmp_ne_u32_e64 s15, 0, v21
	v_cmp_eq_u32_e32 vcc_lo, 0, v98
	s_and_b32 s16, s15, vcc_lo
	s_wait_alu 0xfffe
	s_and_saveexec_b32 s15, s16
; %bb.85:                               ;   in Loop: Header=BB2055_64 Depth=2
	v_bcnt_u32_b32 v21, v21, 0
	ds_store_b32 v100, v21 offset:1056
; %bb.86:                               ;   in Loop: Header=BB2055_64 Depth=2
	s_wait_alu 0xfffe
	s_or_b32 exec_lo, exec_lo, s15
	v_cmp_lt_i16_e32 vcc_lo, -1, v27
	; wave barrier
	s_wait_alu 0xfffd
	v_cndmask_b32_e64 v21, -1, 0xffff8000, vcc_lo
	s_delay_alu instid0(VALU_DEP_1) | instskip(NEXT) | instid1(VALU_DEP_1)
	v_xor_b32_e32 v99, v21, v27
	v_cmp_ne_u16_e32 vcc_lo, 0x7fff, v99
	s_wait_alu 0xfffd
	v_cndmask_b32_e32 v21, 0xffff8000, v99, vcc_lo
	s_delay_alu instid0(VALU_DEP_1) | instskip(NEXT) | instid1(VALU_DEP_1)
	v_and_b32_e32 v21, 0xffff, v21
	v_lshrrev_b32_e32 v21, s23, v21
	s_delay_alu instid0(VALU_DEP_1) | instskip(NEXT) | instid1(VALU_DEP_1)
	v_and_b32_e32 v27, s42, v21
	v_and_b32_e32 v21, 1, v27
	v_lshlrev_b32_e32 v101, 30, v27
	v_lshlrev_b32_e32 v102, 29, v27
	;; [unrolled: 1-line block ×4, first 2 shown]
	v_add_co_u32 v21, s15, v21, -1
	s_wait_alu 0xf1ff
	v_cndmask_b32_e64 v104, 0, 1, s15
	v_not_b32_e32 v108, v101
	v_cmp_gt_i32_e64 s15, 0, v101
	v_not_b32_e32 v101, v102
	v_lshlrev_b32_e32 v106, 26, v27
	v_cmp_ne_u32_e32 vcc_lo, 0, v104
	v_ashrrev_i32_e32 v108, 31, v108
	v_lshlrev_b32_e32 v107, 25, v27
	v_ashrrev_i32_e32 v101, 31, v101
	v_lshlrev_b32_e32 v104, 24, v27
	s_wait_alu 0xfffd
	v_xor_b32_e32 v21, vcc_lo, v21
	v_cmp_gt_i32_e32 vcc_lo, 0, v102
	v_not_b32_e32 v102, v103
	s_wait_alu 0xf1ff
	v_xor_b32_e32 v108, s15, v108
	v_cmp_gt_i32_e64 s15, 0, v103
	v_and_b32_e32 v21, exec_lo, v21
	v_not_b32_e32 v103, v105
	v_ashrrev_i32_e32 v102, 31, v102
	s_wait_alu 0xfffd
	v_xor_b32_e32 v101, vcc_lo, v101
	v_cmp_gt_i32_e32 vcc_lo, 0, v105
	v_and_b32_e32 v21, v21, v108
	v_not_b32_e32 v105, v106
	v_ashrrev_i32_e32 v103, 31, v103
	s_wait_alu 0xf1ff
	v_xor_b32_e32 v102, s15, v102
	v_cmp_gt_i32_e64 s15, 0, v106
	v_and_b32_e32 v21, v21, v101
	v_not_b32_e32 v101, v107
	v_ashrrev_i32_e32 v105, 31, v105
	s_wait_alu 0xfffd
	v_xor_b32_e32 v103, vcc_lo, v103
	v_cmp_gt_i32_e32 vcc_lo, 0, v107
	v_and_b32_e32 v21, v21, v102
	v_not_b32_e32 v102, v104
	v_ashrrev_i32_e32 v101, 31, v101
	s_wait_alu 0xf1ff
	v_xor_b32_e32 v105, s15, v105
	v_cmp_gt_i32_e64 s15, 0, v104
	v_and_b32_e32 v21, v21, v103
	v_ashrrev_i32_e32 v102, 31, v102
	s_wait_alu 0xfffd
	v_xor_b32_e32 v101, vcc_lo, v101
	v_mad_u32_u24 v103, v27, 36, v88
	v_mul_u32_u24_e32 v27, 36, v27
	v_and_b32_e32 v21, v21, v105
	s_wait_alu 0xf1ff
	v_xor_b32_e32 v102, s15, v102
	s_delay_alu instid0(VALU_DEP_3) | instskip(NEXT) | instid1(VALU_DEP_3)
	v_add_nc_u32_e32 v104, v88, v27
	v_and_b32_e32 v21, v21, v101
	ds_load_b32 v101, v103 offset:1056
	; wave barrier
	v_and_b32_e32 v21, v21, v102
	s_delay_alu instid0(VALU_DEP_1) | instskip(SKIP_1) | instid1(VALU_DEP_2)
	v_mbcnt_lo_u32_b32 v102, v21, 0
	v_cmp_ne_u32_e64 s15, 0, v21
	v_cmp_eq_u32_e32 vcc_lo, 0, v102
	s_and_b32 s16, s15, vcc_lo
	s_wait_alu 0xfffe
	s_and_saveexec_b32 s15, s16
	s_cbranch_execz .LBB2055_88
; %bb.87:                               ;   in Loop: Header=BB2055_64 Depth=2
	s_wait_dscnt 0x0
	v_bcnt_u32_b32 v21, v21, v101
	ds_store_b32 v104, v21 offset:1056
.LBB2055_88:                            ;   in Loop: Header=BB2055_64 Depth=2
	s_wait_alu 0xfffe
	s_or_b32 exec_lo, exec_lo, s15
	v_cmp_lt_i16_e32 vcc_lo, -1, v26
	; wave barrier
	s_wait_alu 0xfffd
	v_cndmask_b32_e64 v21, -1, 0xffff8000, vcc_lo
	s_delay_alu instid0(VALU_DEP_1) | instskip(NEXT) | instid1(VALU_DEP_1)
	v_xor_b32_e32 v103, v21, v26
	v_cmp_ne_u16_e32 vcc_lo, 0x7fff, v103
	s_wait_alu 0xfffd
	v_cndmask_b32_e32 v21, 0xffff8000, v103, vcc_lo
	s_delay_alu instid0(VALU_DEP_1) | instskip(NEXT) | instid1(VALU_DEP_1)
	v_and_b32_e32 v21, 0xffff, v21
	v_lshrrev_b32_e32 v21, s23, v21
	s_delay_alu instid0(VALU_DEP_1) | instskip(NEXT) | instid1(VALU_DEP_1)
	v_and_b32_e32 v26, s42, v21
	v_and_b32_e32 v21, 1, v26
	v_lshlrev_b32_e32 v27, 30, v26
	v_lshlrev_b32_e32 v105, 29, v26
	;; [unrolled: 1-line block ×4, first 2 shown]
	v_add_co_u32 v21, s15, v21, -1
	s_wait_alu 0xf1ff
	v_cndmask_b32_e64 v107, 0, 1, s15
	v_not_b32_e32 v111, v27
	v_cmp_gt_i32_e64 s15, 0, v27
	v_not_b32_e32 v27, v105
	v_lshlrev_b32_e32 v109, 26, v26
	v_cmp_ne_u32_e32 vcc_lo, 0, v107
	v_ashrrev_i32_e32 v111, 31, v111
	v_lshlrev_b32_e32 v110, 25, v26
	v_ashrrev_i32_e32 v27, 31, v27
	v_lshlrev_b32_e32 v107, 24, v26
	s_wait_alu 0xfffd
	v_xor_b32_e32 v21, vcc_lo, v21
	v_cmp_gt_i32_e32 vcc_lo, 0, v105
	v_not_b32_e32 v105, v106
	s_wait_alu 0xf1ff
	v_xor_b32_e32 v111, s15, v111
	v_cmp_gt_i32_e64 s15, 0, v106
	v_and_b32_e32 v21, exec_lo, v21
	v_not_b32_e32 v106, v108
	v_ashrrev_i32_e32 v105, 31, v105
	s_wait_alu 0xfffd
	v_xor_b32_e32 v27, vcc_lo, v27
	v_cmp_gt_i32_e32 vcc_lo, 0, v108
	v_and_b32_e32 v21, v21, v111
	v_not_b32_e32 v108, v109
	v_ashrrev_i32_e32 v106, 31, v106
	s_wait_alu 0xf1ff
	v_xor_b32_e32 v105, s15, v105
	v_cmp_gt_i32_e64 s15, 0, v109
	v_and_b32_e32 v21, v21, v27
	v_not_b32_e32 v27, v110
	v_ashrrev_i32_e32 v108, 31, v108
	s_wait_alu 0xfffd
	v_xor_b32_e32 v106, vcc_lo, v106
	v_cmp_gt_i32_e32 vcc_lo, 0, v110
	v_and_b32_e32 v21, v21, v105
	v_not_b32_e32 v105, v107
	v_ashrrev_i32_e32 v27, 31, v27
	s_wait_alu 0xf1ff
	v_xor_b32_e32 v108, s15, v108
	v_cmp_gt_i32_e64 s15, 0, v107
	v_and_b32_e32 v21, v21, v106
	v_ashrrev_i32_e32 v105, 31, v105
	s_wait_alu 0xfffd
	v_xor_b32_e32 v27, vcc_lo, v27
	v_mad_u32_u24 v106, v26, 36, v88
	v_mul_u32_u24_e32 v26, 36, v26
	v_and_b32_e32 v21, v21, v108
	s_wait_alu 0xf1ff
	v_xor_b32_e32 v107, s15, v105
	ds_load_b32 v105, v106 offset:1056
	v_add_nc_u32_e32 v108, v88, v26
	v_and_b32_e32 v21, v21, v27
	; wave barrier
	s_delay_alu instid0(VALU_DEP_1) | instskip(NEXT) | instid1(VALU_DEP_1)
	v_and_b32_e32 v21, v21, v107
	v_mbcnt_lo_u32_b32 v107, v21, 0
	v_cmp_ne_u32_e64 s15, 0, v21
	s_delay_alu instid0(VALU_DEP_2)
	v_cmp_eq_u32_e32 vcc_lo, 0, v107
	s_and_b32 s16, s15, vcc_lo
	s_wait_alu 0xfffe
	s_and_saveexec_b32 s15, s16
	s_cbranch_execz .LBB2055_90
; %bb.89:                               ;   in Loop: Header=BB2055_64 Depth=2
	s_wait_dscnt 0x0
	v_bcnt_u32_b32 v21, v21, v105
	ds_store_b32 v108, v21 offset:1056
.LBB2055_90:                            ;   in Loop: Header=BB2055_64 Depth=2
	s_wait_alu 0xfffe
	s_or_b32 exec_lo, exec_lo, s15
	v_cmp_lt_i16_e32 vcc_lo, -1, v25
	; wave barrier
	s_wait_alu 0xfffd
	v_cndmask_b32_e64 v21, -1, 0xffff8000, vcc_lo
	s_delay_alu instid0(VALU_DEP_1) | instskip(NEXT) | instid1(VALU_DEP_1)
	v_xor_b32_e32 v106, v21, v25
	v_cmp_ne_u16_e32 vcc_lo, 0x7fff, v106
	s_wait_alu 0xfffd
	v_cndmask_b32_e32 v21, 0xffff8000, v106, vcc_lo
	s_delay_alu instid0(VALU_DEP_1) | instskip(NEXT) | instid1(VALU_DEP_1)
	v_and_b32_e32 v21, 0xffff, v21
	v_lshrrev_b32_e32 v21, s23, v21
	s_delay_alu instid0(VALU_DEP_1) | instskip(NEXT) | instid1(VALU_DEP_1)
	v_and_b32_e32 v25, s42, v21
	v_and_b32_e32 v21, 1, v25
	v_lshlrev_b32_e32 v26, 30, v25
	v_lshlrev_b32_e32 v27, 29, v25
	;; [unrolled: 1-line block ×4, first 2 shown]
	v_add_co_u32 v21, s15, v21, -1
	s_wait_alu 0xf1ff
	v_cndmask_b32_e64 v110, 0, 1, s15
	v_not_b32_e32 v114, v26
	v_cmp_gt_i32_e64 s15, 0, v26
	v_not_b32_e32 v26, v27
	v_lshlrev_b32_e32 v112, 26, v25
	v_cmp_ne_u32_e32 vcc_lo, 0, v110
	v_ashrrev_i32_e32 v114, 31, v114
	v_lshlrev_b32_e32 v113, 25, v25
	v_ashrrev_i32_e32 v26, 31, v26
	v_lshlrev_b32_e32 v110, 24, v25
	s_wait_alu 0xfffd
	v_xor_b32_e32 v21, vcc_lo, v21
	v_cmp_gt_i32_e32 vcc_lo, 0, v27
	v_not_b32_e32 v27, v109
	s_wait_alu 0xf1ff
	v_xor_b32_e32 v114, s15, v114
	v_cmp_gt_i32_e64 s15, 0, v109
	v_and_b32_e32 v21, exec_lo, v21
	v_not_b32_e32 v109, v111
	v_ashrrev_i32_e32 v27, 31, v27
	s_wait_alu 0xfffd
	v_xor_b32_e32 v26, vcc_lo, v26
	v_cmp_gt_i32_e32 vcc_lo, 0, v111
	v_and_b32_e32 v21, v21, v114
	v_not_b32_e32 v111, v112
	v_ashrrev_i32_e32 v109, 31, v109
	s_wait_alu 0xf1ff
	v_xor_b32_e32 v27, s15, v27
	v_cmp_gt_i32_e64 s15, 0, v112
	v_and_b32_e32 v21, v21, v26
	v_not_b32_e32 v26, v113
	v_ashrrev_i32_e32 v111, 31, v111
	s_wait_alu 0xfffd
	v_xor_b32_e32 v109, vcc_lo, v109
	v_cmp_gt_i32_e32 vcc_lo, 0, v113
	v_and_b32_e32 v21, v21, v27
	v_not_b32_e32 v27, v110
	v_ashrrev_i32_e32 v26, 31, v26
	s_wait_alu 0xf1ff
	v_xor_b32_e32 v111, s15, v111
	v_cmp_gt_i32_e64 s15, 0, v110
	v_and_b32_e32 v21, v21, v109
	v_ashrrev_i32_e32 v27, 31, v27
	s_wait_alu 0xfffd
	v_xor_b32_e32 v26, vcc_lo, v26
	v_mad_u32_u24 v109, v25, 36, v88
	v_mul_u32_u24_e32 v25, 36, v25
	v_and_b32_e32 v21, v21, v111
	s_wait_alu 0xf1ff
	v_xor_b32_e32 v27, s15, v27
	ds_load_b32 v109, v109 offset:1056
	v_add_nc_u32_e32 v112, v88, v25
	v_and_b32_e32 v21, v21, v26
	; wave barrier
	s_delay_alu instid0(VALU_DEP_1) | instskip(NEXT) | instid1(VALU_DEP_1)
	v_and_b32_e32 v21, v21, v27
	v_mbcnt_lo_u32_b32 v111, v21, 0
	v_cmp_ne_u32_e64 s15, 0, v21
	s_delay_alu instid0(VALU_DEP_2)
	v_cmp_eq_u32_e32 vcc_lo, 0, v111
	s_and_b32 s16, s15, vcc_lo
	s_wait_alu 0xfffe
	s_and_saveexec_b32 s15, s16
	s_cbranch_execz .LBB2055_92
; %bb.91:                               ;   in Loop: Header=BB2055_64 Depth=2
	s_wait_dscnt 0x0
	v_bcnt_u32_b32 v21, v21, v109
	ds_store_b32 v112, v21 offset:1056
.LBB2055_92:                            ;   in Loop: Header=BB2055_64 Depth=2
	s_wait_alu 0xfffe
	s_or_b32 exec_lo, exec_lo, s15
	v_cmp_lt_i16_e32 vcc_lo, -1, v24
	; wave barrier
	s_wait_alu 0xfffd
	v_cndmask_b32_e64 v21, -1, 0xffff8000, vcc_lo
	s_delay_alu instid0(VALU_DEP_1) | instskip(NEXT) | instid1(VALU_DEP_1)
	v_xor_b32_e32 v110, v21, v24
	v_cmp_ne_u16_e32 vcc_lo, 0x7fff, v110
	s_wait_alu 0xfffd
	v_cndmask_b32_e32 v21, 0xffff8000, v110, vcc_lo
	s_delay_alu instid0(VALU_DEP_1) | instskip(NEXT) | instid1(VALU_DEP_1)
	v_and_b32_e32 v21, 0xffff, v21
	v_lshrrev_b32_e32 v21, s23, v21
	s_delay_alu instid0(VALU_DEP_1) | instskip(NEXT) | instid1(VALU_DEP_1)
	v_and_b32_e32 v24, s42, v21
	v_and_b32_e32 v21, 1, v24
	v_lshlrev_b32_e32 v25, 30, v24
	v_lshlrev_b32_e32 v26, 29, v24
	;; [unrolled: 1-line block ×4, first 2 shown]
	v_add_co_u32 v21, s15, v21, -1
	s_wait_alu 0xf1ff
	v_cndmask_b32_e64 v113, 0, 1, s15
	v_not_b32_e32 v117, v25
	v_cmp_gt_i32_e64 s15, 0, v25
	v_not_b32_e32 v25, v26
	v_lshlrev_b32_e32 v115, 26, v24
	v_cmp_ne_u32_e32 vcc_lo, 0, v113
	v_ashrrev_i32_e32 v117, 31, v117
	v_lshlrev_b32_e32 v116, 25, v24
	v_ashrrev_i32_e32 v25, 31, v25
	v_lshlrev_b32_e32 v113, 24, v24
	s_wait_alu 0xfffd
	v_xor_b32_e32 v21, vcc_lo, v21
	v_cmp_gt_i32_e32 vcc_lo, 0, v26
	v_not_b32_e32 v26, v27
	s_wait_alu 0xf1ff
	v_xor_b32_e32 v117, s15, v117
	v_cmp_gt_i32_e64 s15, 0, v27
	v_and_b32_e32 v21, exec_lo, v21
	v_not_b32_e32 v27, v114
	v_ashrrev_i32_e32 v26, 31, v26
	s_wait_alu 0xfffd
	v_xor_b32_e32 v25, vcc_lo, v25
	v_cmp_gt_i32_e32 vcc_lo, 0, v114
	v_and_b32_e32 v21, v21, v117
	v_not_b32_e32 v114, v115
	v_ashrrev_i32_e32 v27, 31, v27
	s_wait_alu 0xf1ff
	v_xor_b32_e32 v26, s15, v26
	v_cmp_gt_i32_e64 s15, 0, v115
	v_and_b32_e32 v21, v21, v25
	v_not_b32_e32 v25, v116
	v_ashrrev_i32_e32 v114, 31, v114
	s_wait_alu 0xfffd
	v_xor_b32_e32 v27, vcc_lo, v27
	v_cmp_gt_i32_e32 vcc_lo, 0, v116
	v_and_b32_e32 v21, v21, v26
	v_not_b32_e32 v26, v113
	v_ashrrev_i32_e32 v25, 31, v25
	s_wait_alu 0xf1ff
	v_xor_b32_e32 v114, s15, v114
	v_cmp_gt_i32_e64 s15, 0, v113
	v_and_b32_e32 v21, v21, v27
	v_ashrrev_i32_e32 v26, 31, v26
	s_wait_alu 0xfffd
	v_xor_b32_e32 v25, vcc_lo, v25
	v_mad_u32_u24 v27, v24, 36, v88
	v_mul_u32_u24_e32 v24, 36, v24
	v_and_b32_e32 v21, v21, v114
	s_wait_alu 0xf1ff
	v_xor_b32_e32 v26, s15, v26
	ds_load_b32 v113, v27 offset:1056
	v_add_nc_u32_e32 v116, v88, v24
	v_and_b32_e32 v21, v21, v25
	; wave barrier
	s_delay_alu instid0(VALU_DEP_1) | instskip(NEXT) | instid1(VALU_DEP_1)
	v_and_b32_e32 v21, v21, v26
	v_mbcnt_lo_u32_b32 v115, v21, 0
	v_cmp_ne_u32_e64 s15, 0, v21
	s_delay_alu instid0(VALU_DEP_2)
	v_cmp_eq_u32_e32 vcc_lo, 0, v115
	s_and_b32 s16, s15, vcc_lo
	s_wait_alu 0xfffe
	s_and_saveexec_b32 s15, s16
	s_cbranch_execz .LBB2055_94
; %bb.93:                               ;   in Loop: Header=BB2055_64 Depth=2
	s_wait_dscnt 0x0
	v_bcnt_u32_b32 v21, v21, v113
	ds_store_b32 v116, v21 offset:1056
.LBB2055_94:                            ;   in Loop: Header=BB2055_64 Depth=2
	s_wait_alu 0xfffe
	s_or_b32 exec_lo, exec_lo, s15
	v_cmp_lt_i16_e32 vcc_lo, -1, v23
	; wave barrier
	s_wait_alu 0xfffd
	v_cndmask_b32_e64 v21, -1, 0xffff8000, vcc_lo
	s_delay_alu instid0(VALU_DEP_1) | instskip(NEXT) | instid1(VALU_DEP_1)
	v_xor_b32_e32 v114, v21, v23
	v_cmp_ne_u16_e32 vcc_lo, 0x7fff, v114
	s_wait_alu 0xfffd
	v_cndmask_b32_e32 v21, 0xffff8000, v114, vcc_lo
	s_delay_alu instid0(VALU_DEP_1) | instskip(NEXT) | instid1(VALU_DEP_1)
	v_and_b32_e32 v21, 0xffff, v21
	v_lshrrev_b32_e32 v21, s23, v21
	s_delay_alu instid0(VALU_DEP_1) | instskip(NEXT) | instid1(VALU_DEP_1)
	v_and_b32_e32 v23, s42, v21
	v_and_b32_e32 v21, 1, v23
	v_lshlrev_b32_e32 v24, 30, v23
	v_lshlrev_b32_e32 v25, 29, v23
	;; [unrolled: 1-line block ×4, first 2 shown]
	v_add_co_u32 v21, s15, v21, -1
	s_wait_alu 0xf1ff
	v_cndmask_b32_e64 v27, 0, 1, s15
	v_not_b32_e32 v120, v24
	v_cmp_gt_i32_e64 s15, 0, v24
	v_not_b32_e32 v24, v25
	v_lshlrev_b32_e32 v118, 26, v23
	v_cmp_ne_u32_e32 vcc_lo, 0, v27
	v_ashrrev_i32_e32 v120, 31, v120
	v_lshlrev_b32_e32 v119, 25, v23
	v_ashrrev_i32_e32 v24, 31, v24
	v_lshlrev_b32_e32 v27, 24, v23
	s_wait_alu 0xfffd
	v_xor_b32_e32 v21, vcc_lo, v21
	v_cmp_gt_i32_e32 vcc_lo, 0, v25
	v_not_b32_e32 v25, v26
	s_wait_alu 0xf1ff
	v_xor_b32_e32 v120, s15, v120
	v_cmp_gt_i32_e64 s15, 0, v26
	v_and_b32_e32 v21, exec_lo, v21
	v_not_b32_e32 v26, v117
	v_ashrrev_i32_e32 v25, 31, v25
	s_wait_alu 0xfffd
	v_xor_b32_e32 v24, vcc_lo, v24
	v_cmp_gt_i32_e32 vcc_lo, 0, v117
	v_and_b32_e32 v21, v21, v120
	v_not_b32_e32 v117, v118
	v_ashrrev_i32_e32 v26, 31, v26
	s_wait_alu 0xf1ff
	v_xor_b32_e32 v25, s15, v25
	v_cmp_gt_i32_e64 s15, 0, v118
	v_and_b32_e32 v21, v21, v24
	v_not_b32_e32 v24, v119
	v_ashrrev_i32_e32 v117, 31, v117
	s_wait_alu 0xfffd
	v_xor_b32_e32 v26, vcc_lo, v26
	v_cmp_gt_i32_e32 vcc_lo, 0, v119
	v_and_b32_e32 v21, v21, v25
	v_not_b32_e32 v25, v27
	v_ashrrev_i32_e32 v24, 31, v24
	s_wait_alu 0xf1ff
	v_xor_b32_e32 v117, s15, v117
	v_cmp_gt_i32_e64 s15, 0, v27
	v_and_b32_e32 v21, v21, v26
	v_ashrrev_i32_e32 v25, 31, v25
	s_wait_alu 0xfffd
	v_xor_b32_e32 v24, vcc_lo, v24
	v_mad_u32_u24 v26, v23, 36, v88
	v_mul_u32_u24_e32 v23, 36, v23
	v_and_b32_e32 v21, v21, v117
	s_wait_alu 0xf1ff
	v_xor_b32_e32 v25, s15, v25
	ds_load_b32 v117, v26 offset:1056
	v_add_nc_u32_e32 v120, v88, v23
	v_and_b32_e32 v21, v21, v24
	; wave barrier
	s_delay_alu instid0(VALU_DEP_1) | instskip(NEXT) | instid1(VALU_DEP_1)
	v_and_b32_e32 v21, v21, v25
	v_mbcnt_lo_u32_b32 v119, v21, 0
	v_cmp_ne_u32_e64 s15, 0, v21
	s_delay_alu instid0(VALU_DEP_2)
	v_cmp_eq_u32_e32 vcc_lo, 0, v119
	s_and_b32 s16, s15, vcc_lo
	s_wait_alu 0xfffe
	s_and_saveexec_b32 s15, s16
	s_cbranch_execz .LBB2055_96
; %bb.95:                               ;   in Loop: Header=BB2055_64 Depth=2
	s_wait_dscnt 0x0
	v_bcnt_u32_b32 v21, v21, v117
	ds_store_b32 v120, v21 offset:1056
.LBB2055_96:                            ;   in Loop: Header=BB2055_64 Depth=2
	s_wait_alu 0xfffe
	s_or_b32 exec_lo, exec_lo, s15
	v_cmp_lt_i16_e32 vcc_lo, -1, v22
	; wave barrier
	s_wait_alu 0xfffd
	v_cndmask_b32_e64 v21, -1, 0xffff8000, vcc_lo
	s_delay_alu instid0(VALU_DEP_1) | instskip(NEXT) | instid1(VALU_DEP_1)
	v_xor_b32_e32 v118, v21, v22
	v_cmp_ne_u16_e32 vcc_lo, 0x7fff, v118
	s_wait_alu 0xfffd
	v_cndmask_b32_e32 v21, 0xffff8000, v118, vcc_lo
	s_delay_alu instid0(VALU_DEP_1) | instskip(NEXT) | instid1(VALU_DEP_1)
	v_and_b32_e32 v21, 0xffff, v21
	v_lshrrev_b32_e32 v21, s23, v21
	s_delay_alu instid0(VALU_DEP_1) | instskip(NEXT) | instid1(VALU_DEP_1)
	v_and_b32_e32 v22, s42, v21
	v_and_b32_e32 v21, 1, v22
	v_lshlrev_b32_e32 v23, 30, v22
	v_lshlrev_b32_e32 v24, 29, v22
	;; [unrolled: 1-line block ×4, first 2 shown]
	v_add_co_u32 v21, s15, v21, -1
	s_wait_alu 0xf1ff
	v_cndmask_b32_e64 v26, 0, 1, s15
	v_not_b32_e32 v123, v23
	v_cmp_gt_i32_e64 s15, 0, v23
	v_not_b32_e32 v23, v24
	v_lshlrev_b32_e32 v121, 26, v22
	v_cmp_ne_u32_e32 vcc_lo, 0, v26
	v_ashrrev_i32_e32 v123, 31, v123
	v_lshlrev_b32_e32 v122, 25, v22
	v_ashrrev_i32_e32 v23, 31, v23
	v_lshlrev_b32_e32 v26, 24, v22
	s_wait_alu 0xfffd
	v_xor_b32_e32 v21, vcc_lo, v21
	v_cmp_gt_i32_e32 vcc_lo, 0, v24
	v_not_b32_e32 v24, v25
	s_wait_alu 0xf1ff
	v_xor_b32_e32 v123, s15, v123
	v_cmp_gt_i32_e64 s15, 0, v25
	v_and_b32_e32 v21, exec_lo, v21
	v_not_b32_e32 v25, v27
	v_ashrrev_i32_e32 v24, 31, v24
	s_wait_alu 0xfffd
	v_xor_b32_e32 v23, vcc_lo, v23
	v_cmp_gt_i32_e32 vcc_lo, 0, v27
	v_and_b32_e32 v21, v21, v123
	v_not_b32_e32 v27, v121
	v_ashrrev_i32_e32 v25, 31, v25
	s_wait_alu 0xf1ff
	v_xor_b32_e32 v24, s15, v24
	v_cmp_gt_i32_e64 s15, 0, v121
	v_and_b32_e32 v21, v21, v23
	v_not_b32_e32 v23, v122
	v_ashrrev_i32_e32 v27, 31, v27
	s_wait_alu 0xfffd
	v_xor_b32_e32 v25, vcc_lo, v25
	v_cmp_gt_i32_e32 vcc_lo, 0, v122
	v_and_b32_e32 v21, v21, v24
	v_not_b32_e32 v24, v26
	v_ashrrev_i32_e32 v23, 31, v23
	s_wait_alu 0xf1ff
	v_xor_b32_e32 v27, s15, v27
	v_cmp_gt_i32_e64 s15, 0, v26
	v_and_b32_e32 v21, v21, v25
	v_ashrrev_i32_e32 v24, 31, v24
	s_wait_alu 0xfffd
	v_xor_b32_e32 v23, vcc_lo, v23
	v_mad_u32_u24 v25, v22, 36, v88
	v_mul_u32_u24_e32 v22, 36, v22
	v_and_b32_e32 v21, v21, v27
	s_wait_alu 0xf1ff
	v_xor_b32_e32 v24, s15, v24
	ds_load_b32 v121, v25 offset:1056
	v_add_nc_u32_e32 v124, v88, v22
	v_and_b32_e32 v21, v21, v23
	; wave barrier
	s_delay_alu instid0(VALU_DEP_1) | instskip(NEXT) | instid1(VALU_DEP_1)
	v_and_b32_e32 v21, v21, v24
	v_mbcnt_lo_u32_b32 v122, v21, 0
	v_cmp_ne_u32_e64 s15, 0, v21
	s_delay_alu instid0(VALU_DEP_2)
	v_cmp_eq_u32_e32 vcc_lo, 0, v122
	s_and_b32 s16, s15, vcc_lo
	s_wait_alu 0xfffe
	s_and_saveexec_b32 s15, s16
	s_cbranch_execz .LBB2055_98
; %bb.97:                               ;   in Loop: Header=BB2055_64 Depth=2
	s_wait_dscnt 0x0
	v_bcnt_u32_b32 v21, v21, v121
	ds_store_b32 v124, v21 offset:1056
.LBB2055_98:                            ;   in Loop: Header=BB2055_64 Depth=2
	s_wait_alu 0xfffe
	s_or_b32 exec_lo, exec_lo, s15
	v_cmp_lt_i16_e32 vcc_lo, -1, v20
	; wave barrier
	s_wait_alu 0xfffd
	v_cndmask_b32_e64 v21, -1, 0xffff8000, vcc_lo
	s_delay_alu instid0(VALU_DEP_1) | instskip(NEXT) | instid1(VALU_DEP_1)
	v_xor_b32_e32 v123, v21, v20
	v_cmp_ne_u16_e32 vcc_lo, 0x7fff, v123
	s_wait_alu 0xfffd
	v_cndmask_b32_e32 v20, 0xffff8000, v123, vcc_lo
	s_delay_alu instid0(VALU_DEP_1) | instskip(NEXT) | instid1(VALU_DEP_1)
	v_and_b32_e32 v20, 0xffff, v20
	v_lshrrev_b32_e32 v20, s23, v20
	s_delay_alu instid0(VALU_DEP_1) | instskip(NEXT) | instid1(VALU_DEP_1)
	v_and_b32_e32 v21, s42, v20
	v_and_b32_e32 v20, 1, v21
	v_lshlrev_b32_e32 v22, 30, v21
	v_lshlrev_b32_e32 v23, 29, v21
	;; [unrolled: 1-line block ×4, first 2 shown]
	v_add_co_u32 v20, s15, v20, -1
	s_wait_alu 0xf1ff
	v_cndmask_b32_e64 v25, 0, 1, s15
	v_not_b32_e32 v126, v22
	v_cmp_gt_i32_e64 s15, 0, v22
	v_not_b32_e32 v22, v23
	v_lshlrev_b32_e32 v27, 26, v21
	v_cmp_ne_u32_e32 vcc_lo, 0, v25
	v_ashrrev_i32_e32 v126, 31, v126
	v_lshlrev_b32_e32 v125, 25, v21
	v_ashrrev_i32_e32 v22, 31, v22
	v_lshlrev_b32_e32 v25, 24, v21
	s_wait_alu 0xfffd
	v_xor_b32_e32 v20, vcc_lo, v20
	v_cmp_gt_i32_e32 vcc_lo, 0, v23
	v_not_b32_e32 v23, v24
	s_wait_alu 0xf1ff
	v_xor_b32_e32 v126, s15, v126
	v_cmp_gt_i32_e64 s15, 0, v24
	v_and_b32_e32 v20, exec_lo, v20
	v_not_b32_e32 v24, v26
	v_ashrrev_i32_e32 v23, 31, v23
	s_wait_alu 0xfffd
	v_xor_b32_e32 v22, vcc_lo, v22
	v_cmp_gt_i32_e32 vcc_lo, 0, v26
	v_and_b32_e32 v20, v20, v126
	v_not_b32_e32 v26, v27
	v_ashrrev_i32_e32 v24, 31, v24
	s_wait_alu 0xf1ff
	v_xor_b32_e32 v23, s15, v23
	v_cmp_gt_i32_e64 s15, 0, v27
	v_and_b32_e32 v20, v20, v22
	v_not_b32_e32 v22, v125
	v_ashrrev_i32_e32 v26, 31, v26
	s_wait_alu 0xfffd
	v_xor_b32_e32 v24, vcc_lo, v24
	v_cmp_gt_i32_e32 vcc_lo, 0, v125
	v_and_b32_e32 v20, v20, v23
	v_not_b32_e32 v23, v25
	v_ashrrev_i32_e32 v22, 31, v22
	s_wait_alu 0xf1ff
	v_xor_b32_e32 v26, s15, v26
	v_cmp_gt_i32_e64 s15, 0, v25
	v_and_b32_e32 v20, v20, v24
	v_ashrrev_i32_e32 v23, 31, v23
	s_wait_alu 0xfffd
	v_xor_b32_e32 v22, vcc_lo, v22
	v_mad_u32_u24 v24, v21, 36, v88
	v_mul_u32_u24_e32 v21, 36, v21
	v_and_b32_e32 v20, v20, v26
	s_wait_alu 0xf1ff
	v_xor_b32_e32 v23, s15, v23
	ds_load_b32 v125, v24 offset:1056
	v_add_nc_u32_e32 v127, v88, v21
	v_and_b32_e32 v20, v20, v22
	; wave barrier
	s_delay_alu instid0(VALU_DEP_1) | instskip(NEXT) | instid1(VALU_DEP_1)
	v_and_b32_e32 v20, v20, v23
	v_mbcnt_lo_u32_b32 v126, v20, 0
	v_cmp_ne_u32_e64 s15, 0, v20
	s_delay_alu instid0(VALU_DEP_2)
	v_cmp_eq_u32_e32 vcc_lo, 0, v126
	s_and_b32 s16, s15, vcc_lo
	s_wait_alu 0xfffe
	s_and_saveexec_b32 s15, s16
	s_cbranch_execz .LBB2055_100
; %bb.99:                               ;   in Loop: Header=BB2055_64 Depth=2
	s_wait_dscnt 0x0
	v_bcnt_u32_b32 v20, v20, v125
	ds_store_b32 v127, v20 offset:1056
.LBB2055_100:                           ;   in Loop: Header=BB2055_64 Depth=2
	s_wait_alu 0xfffe
	s_or_b32 exec_lo, exec_lo, s15
	; wave barrier
	s_wait_loadcnt_dscnt 0x0
	s_barrier_signal -1
	s_barrier_wait -1
	global_inv scope:SCOPE_SE
	ds_load_2addr_b32 v[26:27], v78 offset1:1
	ds_load_2addr_b32 v[24:25], v79 offset1:1
	;; [unrolled: 1-line block ×4, first 2 shown]
	ds_load_b32 v128, v43 offset:1088
	s_wait_dscnt 0x3
	v_add3_u32 v129, v27, v26, v24
	s_wait_dscnt 0x2
	s_delay_alu instid0(VALU_DEP_1) | instskip(SKIP_1) | instid1(VALU_DEP_1)
	v_add3_u32 v129, v129, v25, v22
	s_wait_dscnt 0x1
	v_add3_u32 v129, v129, v23, v20
	s_wait_dscnt 0x0
	s_delay_alu instid0(VALU_DEP_1) | instskip(NEXT) | instid1(VALU_DEP_1)
	v_add3_u32 v128, v129, v21, v128
	v_mov_b32_dpp v129, v128 row_shr:1 row_mask:0xf bank_mask:0xf
	s_delay_alu instid0(VALU_DEP_1) | instskip(NEXT) | instid1(VALU_DEP_1)
	v_cndmask_b32_e64 v129, v129, 0, s0
	v_add_nc_u32_e32 v128, v129, v128
	s_delay_alu instid0(VALU_DEP_1) | instskip(NEXT) | instid1(VALU_DEP_1)
	v_mov_b32_dpp v129, v128 row_shr:2 row_mask:0xf bank_mask:0xf
	v_cndmask_b32_e64 v129, 0, v129, s1
	s_delay_alu instid0(VALU_DEP_1) | instskip(NEXT) | instid1(VALU_DEP_1)
	v_add_nc_u32_e32 v128, v128, v129
	v_mov_b32_dpp v129, v128 row_shr:4 row_mask:0xf bank_mask:0xf
	s_delay_alu instid0(VALU_DEP_1) | instskip(NEXT) | instid1(VALU_DEP_1)
	v_cndmask_b32_e64 v129, 0, v129, s9
	v_add_nc_u32_e32 v128, v128, v129
	s_delay_alu instid0(VALU_DEP_1) | instskip(NEXT) | instid1(VALU_DEP_1)
	v_mov_b32_dpp v129, v128 row_shr:8 row_mask:0xf bank_mask:0xf
	v_cndmask_b32_e64 v129, 0, v129, s10
	s_delay_alu instid0(VALU_DEP_1) | instskip(SKIP_3) | instid1(VALU_DEP_1)
	v_add_nc_u32_e32 v128, v128, v129
	ds_swizzle_b32 v129, v128 offset:swizzle(BROADCAST,32,15)
	s_wait_dscnt 0x0
	v_cndmask_b32_e64 v129, v129, 0, s11
	v_add_nc_u32_e32 v128, v128, v129
	s_and_saveexec_b32 s15, s3
; %bb.101:                              ;   in Loop: Header=BB2055_64 Depth=2
	ds_store_b32 v38, v128 offset:1024
; %bb.102:                              ;   in Loop: Header=BB2055_64 Depth=2
	s_wait_alu 0xfffe
	s_or_b32 exec_lo, exec_lo, s15
	s_wait_loadcnt_dscnt 0x0
	s_barrier_signal -1
	s_barrier_wait -1
	global_inv scope:SCOPE_SE
	s_and_saveexec_b32 s15, s4
	s_cbranch_execz .LBB2055_104
; %bb.103:                              ;   in Loop: Header=BB2055_64 Depth=2
	ds_load_b32 v129, v46 offset:1024
	s_wait_dscnt 0x0
	v_mov_b32_dpp v130, v129 row_shr:1 row_mask:0xf bank_mask:0xf
	s_delay_alu instid0(VALU_DEP_1) | instskip(NEXT) | instid1(VALU_DEP_1)
	v_cndmask_b32_e64 v130, v130, 0, s12
	v_add_nc_u32_e32 v129, v130, v129
	s_delay_alu instid0(VALU_DEP_1) | instskip(NEXT) | instid1(VALU_DEP_1)
	v_mov_b32_dpp v130, v129 row_shr:2 row_mask:0xf bank_mask:0xf
	v_cndmask_b32_e64 v130, 0, v130, s13
	s_delay_alu instid0(VALU_DEP_1) | instskip(NEXT) | instid1(VALU_DEP_1)
	v_add_nc_u32_e32 v129, v129, v130
	v_mov_b32_dpp v130, v129 row_shr:4 row_mask:0xf bank_mask:0xf
	s_delay_alu instid0(VALU_DEP_1) | instskip(NEXT) | instid1(VALU_DEP_1)
	v_cndmask_b32_e64 v130, 0, v130, s14
	v_add_nc_u32_e32 v129, v129, v130
	ds_store_b32 v46, v129 offset:1024
.LBB2055_104:                           ;   in Loop: Header=BB2055_64 Depth=2
	s_wait_alu 0xfffe
	s_or_b32 exec_lo, exec_lo, s15
	v_mov_b32_e32 v129, 0
	s_wait_loadcnt_dscnt 0x0
	s_barrier_signal -1
	s_barrier_wait -1
	global_inv scope:SCOPE_SE
	s_and_saveexec_b32 s15, s5
; %bb.105:                              ;   in Loop: Header=BB2055_64 Depth=2
	ds_load_b32 v129, v38 offset:1020
; %bb.106:                              ;   in Loop: Header=BB2055_64 Depth=2
	s_wait_alu 0xfffe
	s_or_b32 exec_lo, exec_lo, s15
	s_wait_dscnt 0x0
	v_add_nc_u32_e32 v128, v129, v128
	ds_bpermute_b32 v128, v87, v128
	s_wait_dscnt 0x0
	v_cndmask_b32_e64 v128, v128, v129, s8
	s_delay_alu instid0(VALU_DEP_1) | instskip(NEXT) | instid1(VALU_DEP_1)
	v_cndmask_b32_e64 v128, v128, 0, s6
	v_add_nc_u32_e32 v26, v128, v26
	s_delay_alu instid0(VALU_DEP_1) | instskip(NEXT) | instid1(VALU_DEP_1)
	v_add_nc_u32_e32 v27, v26, v27
	v_add_nc_u32_e32 v24, v27, v24
	s_delay_alu instid0(VALU_DEP_1) | instskip(NEXT) | instid1(VALU_DEP_1)
	v_add_nc_u32_e32 v25, v24, v25
	;; [unrolled: 3-line block ×3, first 2 shown]
	v_add_nc_u32_e32 v20, v23, v20
	s_delay_alu instid0(VALU_DEP_1)
	v_add_nc_u32_e32 v21, v20, v21
	ds_store_2addr_b32 v81, v23, v20 offset1:1
	ds_store_2addr_b32 v78, v128, v26 offset1:1
	;; [unrolled: 1-line block ×4, first 2 shown]
	ds_store_b32 v43, v21 offset:1088
	s_wait_loadcnt_dscnt 0x0
	s_barrier_signal -1
	s_barrier_wait -1
	global_inv scope:SCOPE_SE
	ds_load_b32 v23, v100 offset:1056
	ds_load_b32 v24, v104 offset:1056
	;; [unrolled: 1-line block ×9, first 2 shown]
	v_mov_b32_e32 v22, 0x800
	s_and_saveexec_b32 s15, s7
; %bb.107:                              ;   in Loop: Header=BB2055_64 Depth=2
	ds_load_b32 v22, v43 offset:1092
; %bb.108:                              ;   in Loop: Header=BB2055_64 Depth=2
	s_wait_alu 0xfffe
	s_or_b32 exec_lo, exec_lo, s15
	s_wait_loadcnt_dscnt 0x0
	s_barrier_signal -1
	s_barrier_wait -1
	global_inv scope:SCOPE_SE
	s_and_saveexec_b32 s15, s2
	s_cbranch_execz .LBB2055_110
; %bb.109:                              ;   in Loop: Header=BB2055_64 Depth=2
	ds_load_b32 v104, v28
	s_wait_dscnt 0x0
	v_sub_nc_u32_e32 v100, v104, v100
	ds_store_b32 v28, v100
.LBB2055_110:                           ;   in Loop: Header=BB2055_64 Depth=2
	s_wait_alu 0xfffe
	s_or_b32 exec_lo, exec_lo, s15
	v_add_nc_u32_e32 v104, v23, v98
	v_add3_u32 v100, v102, v101, v24
	v_add3_u32 v98, v107, v105, v25
	;; [unrolled: 1-line block ×4, first 2 shown]
	v_lshlrev_b32_e32 v101, 1, v104
	v_lshlrev_b32_e32 v102, 1, v100
	v_add3_u32 v23, v119, v117, v108
	v_lshlrev_b32_e32 v105, 1, v98
	v_add3_u32 v27, v122, v121, v20
	v_add3_u32 v26, v126, v125, v21
	ds_store_b16 v101, v2 offset:1024
	ds_store_b16 v102, v99 offset:1024
	;; [unrolled: 1-line block ×3, first 2 shown]
	v_lshlrev_b32_e32 v2, 1, v25
	v_cmp_lt_u32_e32 vcc_lo, v1, v97
	v_lshlrev_b32_e32 v20, 1, v24
	v_lshlrev_b32_e32 v21, 1, v23
	v_lshlrev_b32_e32 v99, 1, v27
	v_lshlrev_b32_e32 v101, 1, v26
	ds_store_b16 v2, v106 offset:1024
	ds_store_b16 v20, v110 offset:1024
	;; [unrolled: 1-line block ×5, first 2 shown]
	s_wait_loadcnt_dscnt 0x0
	s_barrier_signal -1
	s_barrier_wait -1
	global_inv scope:SCOPE_SE
	s_and_saveexec_b32 s16, vcc_lo
	s_cbranch_execnz .LBB2055_147
; %bb.111:                              ;   in Loop: Header=BB2055_64 Depth=2
	s_wait_alu 0xfffe
	s_or_b32 exec_lo, exec_lo, s16
	v_cmp_lt_u32_e64 s15, v29, v97
	s_and_saveexec_b32 s17, s15
	s_cbranch_execnz .LBB2055_148
.LBB2055_112:                           ;   in Loop: Header=BB2055_64 Depth=2
	s_wait_alu 0xfffe
	s_or_b32 exec_lo, exec_lo, s17
	v_cmp_lt_u32_e64 s16, v30, v97
	s_and_saveexec_b32 s18, s16
	s_cbranch_execnz .LBB2055_149
.LBB2055_113:                           ;   in Loop: Header=BB2055_64 Depth=2
	s_wait_alu 0xfffe
	s_or_b32 exec_lo, exec_lo, s18
	v_cmp_lt_u32_e64 s17, v31, v97
	s_and_saveexec_b32 s19, s17
	s_cbranch_execnz .LBB2055_150
.LBB2055_114:                           ;   in Loop: Header=BB2055_64 Depth=2
	s_wait_alu 0xfffe
	s_or_b32 exec_lo, exec_lo, s19
	v_cmp_lt_u32_e64 s18, v34, v97
	s_and_saveexec_b32 s20, s18
	s_cbranch_execnz .LBB2055_151
.LBB2055_115:                           ;   in Loop: Header=BB2055_64 Depth=2
	s_wait_alu 0xfffe
	s_or_b32 exec_lo, exec_lo, s20
	v_cmp_lt_u32_e64 s19, v35, v97
	s_and_saveexec_b32 s21, s19
	s_cbranch_execnz .LBB2055_152
.LBB2055_116:                           ;   in Loop: Header=BB2055_64 Depth=2
	s_wait_alu 0xfffe
	s_or_b32 exec_lo, exec_lo, s21
	v_cmp_lt_u32_e64 s20, v36, v97
	s_and_saveexec_b32 s22, s20
	s_cbranch_execnz .LBB2055_153
.LBB2055_117:                           ;   in Loop: Header=BB2055_64 Depth=2
	s_wait_alu 0xfffe
	s_or_b32 exec_lo, exec_lo, s22
	v_cmp_lt_u32_e64 s21, v37, v97
	s_and_saveexec_b32 s48, s21
	s_cbranch_execz .LBB2055_119
.LBB2055_118:                           ;   in Loop: Header=BB2055_64 Depth=2
	ds_load_u16 v99, v47 offset:4608
	s_wait_dscnt 0x0
	v_cmp_ne_u16_e64 s22, 0x7fff, v99
	s_wait_alu 0xf1ff
	s_delay_alu instid0(VALU_DEP_1) | instskip(SKIP_1) | instid1(VALU_DEP_2)
	v_cndmask_b32_e64 v2, 0xffff8000, v99, s22
	v_cmp_lt_i16_e64 s22, -1, v99
	v_and_b32_e32 v2, 0xffff, v2
	s_wait_alu 0xf1ff
	s_delay_alu instid0(VALU_DEP_2) | instskip(NEXT) | instid1(VALU_DEP_2)
	v_cndmask_b32_e64 v101, 0xffff8000, -1, s22
	v_lshrrev_b32_e32 v2, s23, v2
	s_delay_alu instid0(VALU_DEP_1) | instskip(NEXT) | instid1(VALU_DEP_1)
	v_and_b32_e32 v2, s42, v2
	v_lshlrev_b32_e32 v2, 2, v2
	ds_load_b32 v2, v2
	s_wait_dscnt 0x0
	v_add_nc_u32_e32 v2, v2, v37
	s_delay_alu instid0(VALU_DEP_1) | instskip(SKIP_1) | instid1(VALU_DEP_2)
	v_lshlrev_b64_e32 v[20:21], 1, v[2:3]
	v_xor_b32_e32 v2, v101, v99
	v_add_co_u32 v20, s22, s38, v20
	s_wait_alu 0xf1ff
	s_delay_alu instid0(VALU_DEP_3)
	v_add_co_ci_u32_e64 v21, null, s39, v21, s22
	global_store_b16 v[20:21], v2, off
.LBB2055_119:                           ;   in Loop: Header=BB2055_64 Depth=2
	s_wait_alu 0xfffe
	s_or_b32 exec_lo, exec_lo, s48
	s_lshl_b64 s[48:49], s[30:31], 3
	s_wait_alu 0xfffe
	v_add_co_u32 v20, s22, v83, s48
	s_wait_alu 0xf1ff
	v_add_co_ci_u32_e64 v21, null, s49, v84, s22
	v_cmp_lt_u32_e64 s22, v66, v97
	s_and_saveexec_b32 s30, s22
	s_wait_alu 0xfffe
	s_xor_b32 s22, exec_lo, s30
	s_cbranch_execnz .LBB2055_154
; %bb.120:                              ;   in Loop: Header=BB2055_64 Depth=2
	s_wait_alu 0xfffe
	s_or_b32 exec_lo, exec_lo, s22
	s_delay_alu instid0(SALU_CYCLE_1)
	s_mov_b32 s30, exec_lo
	v_cmpx_lt_u32_e64 v70, v97
	s_cbranch_execnz .LBB2055_155
.LBB2055_121:                           ;   in Loop: Header=BB2055_64 Depth=2
	s_wait_alu 0xfffe
	s_or_b32 exec_lo, exec_lo, s30
	s_delay_alu instid0(SALU_CYCLE_1)
	s_mov_b32 s30, exec_lo
	v_cmpx_lt_u32_e64 v71, v97
	s_cbranch_execnz .LBB2055_156
.LBB2055_122:                           ;   in Loop: Header=BB2055_64 Depth=2
	s_wait_alu 0xfffe
	s_or_b32 exec_lo, exec_lo, s30
	s_delay_alu instid0(SALU_CYCLE_1)
	s_mov_b32 s30, exec_lo
	v_cmpx_lt_u32_e64 v72, v97
	s_cbranch_execnz .LBB2055_157
.LBB2055_123:                           ;   in Loop: Header=BB2055_64 Depth=2
	s_wait_alu 0xfffe
	s_or_b32 exec_lo, exec_lo, s30
	s_delay_alu instid0(SALU_CYCLE_1)
	s_mov_b32 s30, exec_lo
	v_cmpx_lt_u32_e64 v73, v97
	s_cbranch_execnz .LBB2055_158
.LBB2055_124:                           ;   in Loop: Header=BB2055_64 Depth=2
	s_wait_alu 0xfffe
	s_or_b32 exec_lo, exec_lo, s30
	s_delay_alu instid0(SALU_CYCLE_1)
	s_mov_b32 s30, exec_lo
	v_cmpx_lt_u32_e64 v74, v97
	s_cbranch_execnz .LBB2055_159
.LBB2055_125:                           ;   in Loop: Header=BB2055_64 Depth=2
	s_wait_alu 0xfffe
	s_or_b32 exec_lo, exec_lo, s30
	s_delay_alu instid0(SALU_CYCLE_1)
	s_mov_b32 s30, exec_lo
	v_cmpx_lt_u32_e64 v75, v97
	s_cbranch_execnz .LBB2055_160
.LBB2055_126:                           ;   in Loop: Header=BB2055_64 Depth=2
	s_wait_alu 0xfffe
	s_or_b32 exec_lo, exec_lo, s30
	s_delay_alu instid0(SALU_CYCLE_1)
	s_mov_b32 s30, exec_lo
	v_cmpx_lt_u32_e64 v76, v97
	s_cbranch_execnz .LBB2055_161
.LBB2055_127:                           ;   in Loop: Header=BB2055_64 Depth=2
	s_wait_alu 0xfffe
	s_or_b32 exec_lo, exec_lo, s30
	s_and_saveexec_b32 s30, vcc_lo
	s_cbranch_execnz .LBB2055_162
.LBB2055_128:                           ;   in Loop: Header=BB2055_64 Depth=2
	s_wait_alu 0xfffe
	s_or_b32 exec_lo, exec_lo, s30
	s_and_saveexec_b32 s30, s15
	s_cbranch_execnz .LBB2055_163
.LBB2055_129:                           ;   in Loop: Header=BB2055_64 Depth=2
	s_wait_alu 0xfffe
	s_or_b32 exec_lo, exec_lo, s30
	s_and_saveexec_b32 s30, s16
	s_cbranch_execnz .LBB2055_164
.LBB2055_130:                           ;   in Loop: Header=BB2055_64 Depth=2
	s_wait_alu 0xfffe
	s_or_b32 exec_lo, exec_lo, s30
	s_and_saveexec_b32 s30, s17
	s_cbranch_execnz .LBB2055_165
.LBB2055_131:                           ;   in Loop: Header=BB2055_64 Depth=2
	s_wait_alu 0xfffe
	s_or_b32 exec_lo, exec_lo, s30
	s_and_saveexec_b32 s30, s18
	s_cbranch_execnz .LBB2055_166
.LBB2055_132:                           ;   in Loop: Header=BB2055_64 Depth=2
	s_wait_alu 0xfffe
	s_or_b32 exec_lo, exec_lo, s30
	s_and_saveexec_b32 s30, s19
	s_cbranch_execnz .LBB2055_167
.LBB2055_133:                           ;   in Loop: Header=BB2055_64 Depth=2
	s_wait_alu 0xfffe
	s_or_b32 exec_lo, exec_lo, s30
	s_and_saveexec_b32 s30, s20
	s_cbranch_execnz .LBB2055_168
.LBB2055_134:                           ;   in Loop: Header=BB2055_64 Depth=2
	s_wait_alu 0xfffe
	s_or_b32 exec_lo, exec_lo, s30
	s_and_saveexec_b32 s30, s21
	s_cbranch_execz .LBB2055_136
.LBB2055_135:                           ;   in Loop: Header=BB2055_64 Depth=2
	ds_load_u16 v2, v47 offset:4608
	s_wait_dscnt 0x0
	v_cmp_ne_u16_e64 s22, 0x7fff, v2
	s_wait_alu 0xf1ff
	s_delay_alu instid0(VALU_DEP_1) | instskip(NEXT) | instid1(VALU_DEP_1)
	v_cndmask_b32_e64 v2, 0xffff8000, v2, s22
	v_and_b32_e32 v2, 0xffff, v2
	s_delay_alu instid0(VALU_DEP_1) | instskip(NEXT) | instid1(VALU_DEP_1)
	v_lshrrev_b32_e32 v2, s23, v2
	v_and_b32_e32 v89, s42, v2
.LBB2055_136:                           ;   in Loop: Header=BB2055_64 Depth=2
	s_wait_alu 0xfffe
	s_or_b32 exec_lo, exec_lo, s30
	v_lshlrev_b32_e32 v2, 3, v104
	v_lshlrev_b32_e32 v20, 3, v100
	;; [unrolled: 1-line block ×3, first 2 shown]
	s_wait_loadcnt 0x0
	s_wait_storecnt 0x0
	s_barrier_signal -1
	s_barrier_wait -1
	global_inv scope:SCOPE_SE
	ds_store_b64 v2, v[18:19] offset:1024
	ds_store_b64 v20, v[16:17] offset:1024
	;; [unrolled: 1-line block ×3, first 2 shown]
	v_lshlrev_b32_e32 v2, 3, v25
	v_lshlrev_b32_e32 v20, 3, v24
	v_lshlrev_b32_e32 v21, 3, v23
	v_lshlrev_b32_e32 v23, 3, v27
	v_lshlrev_b32_e32 v24, 3, v26
	ds_store_b64 v2, v[12:13] offset:1024
	ds_store_b64 v20, v[10:11] offset:1024
	;; [unrolled: 1-line block ×5, first 2 shown]
	s_wait_loadcnt_dscnt 0x0
	s_barrier_signal -1
	s_barrier_wait -1
	global_inv scope:SCOPE_SE
	s_and_saveexec_b32 s22, vcc_lo
	s_cbranch_execnz .LBB2055_169
; %bb.137:                              ;   in Loop: Header=BB2055_64 Depth=2
	s_wait_alu 0xfffe
	s_or_b32 exec_lo, exec_lo, s22
	s_and_saveexec_b32 s22, s15
	s_cbranch_execnz .LBB2055_170
.LBB2055_138:                           ;   in Loop: Header=BB2055_64 Depth=2
	s_wait_alu 0xfffe
	s_or_b32 exec_lo, exec_lo, s22
	s_and_saveexec_b32 s15, s16
	s_cbranch_execnz .LBB2055_171
.LBB2055_139:                           ;   in Loop: Header=BB2055_64 Depth=2
	s_wait_alu 0xfffe
	s_or_b32 exec_lo, exec_lo, s15
	s_and_saveexec_b32 s15, s17
	s_cbranch_execnz .LBB2055_172
.LBB2055_140:                           ;   in Loop: Header=BB2055_64 Depth=2
	s_wait_alu 0xfffe
	s_or_b32 exec_lo, exec_lo, s15
	s_and_saveexec_b32 s15, s18
	s_cbranch_execnz .LBB2055_173
.LBB2055_141:                           ;   in Loop: Header=BB2055_64 Depth=2
	s_wait_alu 0xfffe
	s_or_b32 exec_lo, exec_lo, s15
	s_and_saveexec_b32 s15, s19
	s_cbranch_execnz .LBB2055_174
.LBB2055_142:                           ;   in Loop: Header=BB2055_64 Depth=2
	s_wait_alu 0xfffe
	s_or_b32 exec_lo, exec_lo, s15
	s_and_saveexec_b32 s15, s20
	s_cbranch_execnz .LBB2055_175
.LBB2055_143:                           ;   in Loop: Header=BB2055_64 Depth=2
	s_wait_alu 0xfffe
	s_or_b32 exec_lo, exec_lo, s15
	s_and_saveexec_b32 s15, s21
	s_cbranch_execz .LBB2055_145
.LBB2055_144:                           ;   in Loop: Header=BB2055_64 Depth=2
	v_lshlrev_b32_e32 v2, 2, v89
	v_add_nc_u32_e32 v20, v47, v48
	ds_load_b32 v2, v2
	ds_load_b64 v[20:21], v20 offset:15360
	s_wait_dscnt 0x1
	v_add_nc_u32_e32 v2, v2, v37
	s_delay_alu instid0(VALU_DEP_1) | instskip(NEXT) | instid1(VALU_DEP_1)
	v_lshlrev_b64_e32 v[23:24], 3, v[2:3]
	v_add_co_u32 v23, vcc_lo, s24, v23
	s_wait_alu 0xfffd
	s_delay_alu instid0(VALU_DEP_2)
	v_add_co_ci_u32_e64 v24, null, s25, v24, vcc_lo
	s_wait_dscnt 0x0
	global_store_b64 v[23:24], v[20:21], off
.LBB2055_145:                           ;   in Loop: Header=BB2055_64 Depth=2
	s_wait_alu 0xfffe
	s_or_b32 exec_lo, exec_lo, s15
	s_wait_loadcnt 0x0
	s_wait_storecnt 0x0
	s_barrier_signal -1
	s_barrier_wait -1
	global_inv scope:SCOPE_SE
	s_and_saveexec_b32 s15, s2
	s_cbranch_execz .LBB2055_63
; %bb.146:                              ;   in Loop: Header=BB2055_64 Depth=2
	ds_load_b32 v2, v28
	s_wait_dscnt 0x0
	v_add_nc_u32_e32 v2, v2, v22
	ds_store_b32 v28, v2
	s_branch .LBB2055_63
.LBB2055_147:                           ;   in Loop: Header=BB2055_64 Depth=2
	ds_load_u16 v99, v47 offset:1024
	s_wait_dscnt 0x0
	v_cmp_ne_u16_e64 s15, 0x7fff, v99
	s_wait_alu 0xf1ff
	s_delay_alu instid0(VALU_DEP_1) | instskip(SKIP_1) | instid1(VALU_DEP_2)
	v_cndmask_b32_e64 v2, 0xffff8000, v99, s15
	v_cmp_lt_i16_e64 s15, -1, v99
	v_and_b32_e32 v2, 0xffff, v2
	s_wait_alu 0xf1ff
	s_delay_alu instid0(VALU_DEP_2) | instskip(NEXT) | instid1(VALU_DEP_2)
	v_cndmask_b32_e64 v101, 0xffff8000, -1, s15
	v_lshrrev_b32_e32 v2, s23, v2
	s_delay_alu instid0(VALU_DEP_1) | instskip(NEXT) | instid1(VALU_DEP_1)
	v_and_b32_e32 v2, s42, v2
	v_lshlrev_b32_e32 v2, 2, v2
	ds_load_b32 v2, v2
	s_wait_dscnt 0x0
	v_add_nc_u32_e32 v2, v2, v1
	s_delay_alu instid0(VALU_DEP_1) | instskip(SKIP_1) | instid1(VALU_DEP_2)
	v_lshlrev_b64_e32 v[20:21], 1, v[2:3]
	v_xor_b32_e32 v2, v101, v99
	v_add_co_u32 v20, s15, s38, v20
	s_wait_alu 0xf1ff
	s_delay_alu instid0(VALU_DEP_3)
	v_add_co_ci_u32_e64 v21, null, s39, v21, s15
	global_store_b16 v[20:21], v2, off
	s_wait_alu 0xfffe
	s_or_b32 exec_lo, exec_lo, s16
	v_cmp_lt_u32_e64 s15, v29, v97
	s_and_saveexec_b32 s17, s15
	s_cbranch_execz .LBB2055_112
.LBB2055_148:                           ;   in Loop: Header=BB2055_64 Depth=2
	ds_load_u16 v99, v47 offset:1536
	s_wait_dscnt 0x0
	v_cmp_ne_u16_e64 s16, 0x7fff, v99
	s_wait_alu 0xf1ff
	s_delay_alu instid0(VALU_DEP_1) | instskip(SKIP_1) | instid1(VALU_DEP_2)
	v_cndmask_b32_e64 v2, 0xffff8000, v99, s16
	v_cmp_lt_i16_e64 s16, -1, v99
	v_and_b32_e32 v2, 0xffff, v2
	s_wait_alu 0xf1ff
	s_delay_alu instid0(VALU_DEP_2) | instskip(NEXT) | instid1(VALU_DEP_2)
	v_cndmask_b32_e64 v101, 0xffff8000, -1, s16
	v_lshrrev_b32_e32 v2, s23, v2
	s_delay_alu instid0(VALU_DEP_1) | instskip(NEXT) | instid1(VALU_DEP_1)
	v_and_b32_e32 v2, s42, v2
	v_lshlrev_b32_e32 v2, 2, v2
	ds_load_b32 v2, v2
	s_wait_dscnt 0x0
	v_add_nc_u32_e32 v2, v2, v29
	s_delay_alu instid0(VALU_DEP_1) | instskip(SKIP_1) | instid1(VALU_DEP_2)
	v_lshlrev_b64_e32 v[20:21], 1, v[2:3]
	v_xor_b32_e32 v2, v101, v99
	v_add_co_u32 v20, s16, s38, v20
	s_wait_alu 0xf1ff
	s_delay_alu instid0(VALU_DEP_3)
	v_add_co_ci_u32_e64 v21, null, s39, v21, s16
	global_store_b16 v[20:21], v2, off
	s_wait_alu 0xfffe
	s_or_b32 exec_lo, exec_lo, s17
	v_cmp_lt_u32_e64 s16, v30, v97
	s_and_saveexec_b32 s18, s16
	s_cbranch_execz .LBB2055_113
.LBB2055_149:                           ;   in Loop: Header=BB2055_64 Depth=2
	ds_load_u16 v99, v47 offset:2048
	s_wait_dscnt 0x0
	v_cmp_ne_u16_e64 s17, 0x7fff, v99
	s_wait_alu 0xf1ff
	s_delay_alu instid0(VALU_DEP_1) | instskip(SKIP_1) | instid1(VALU_DEP_2)
	v_cndmask_b32_e64 v2, 0xffff8000, v99, s17
	v_cmp_lt_i16_e64 s17, -1, v99
	v_and_b32_e32 v2, 0xffff, v2
	s_wait_alu 0xf1ff
	s_delay_alu instid0(VALU_DEP_2) | instskip(NEXT) | instid1(VALU_DEP_2)
	v_cndmask_b32_e64 v101, 0xffff8000, -1, s17
	v_lshrrev_b32_e32 v2, s23, v2
	s_delay_alu instid0(VALU_DEP_1) | instskip(NEXT) | instid1(VALU_DEP_1)
	v_and_b32_e32 v2, s42, v2
	v_lshlrev_b32_e32 v2, 2, v2
	ds_load_b32 v2, v2
	s_wait_dscnt 0x0
	v_add_nc_u32_e32 v2, v2, v30
	s_delay_alu instid0(VALU_DEP_1) | instskip(SKIP_1) | instid1(VALU_DEP_2)
	v_lshlrev_b64_e32 v[20:21], 1, v[2:3]
	v_xor_b32_e32 v2, v101, v99
	v_add_co_u32 v20, s17, s38, v20
	s_wait_alu 0xf1ff
	s_delay_alu instid0(VALU_DEP_3)
	v_add_co_ci_u32_e64 v21, null, s39, v21, s17
	global_store_b16 v[20:21], v2, off
	s_wait_alu 0xfffe
	s_or_b32 exec_lo, exec_lo, s18
	v_cmp_lt_u32_e64 s17, v31, v97
	s_and_saveexec_b32 s19, s17
	s_cbranch_execz .LBB2055_114
.LBB2055_150:                           ;   in Loop: Header=BB2055_64 Depth=2
	ds_load_u16 v99, v47 offset:2560
	s_wait_dscnt 0x0
	v_cmp_ne_u16_e64 s18, 0x7fff, v99
	s_wait_alu 0xf1ff
	s_delay_alu instid0(VALU_DEP_1) | instskip(SKIP_1) | instid1(VALU_DEP_2)
	v_cndmask_b32_e64 v2, 0xffff8000, v99, s18
	v_cmp_lt_i16_e64 s18, -1, v99
	v_and_b32_e32 v2, 0xffff, v2
	s_wait_alu 0xf1ff
	s_delay_alu instid0(VALU_DEP_2) | instskip(NEXT) | instid1(VALU_DEP_2)
	v_cndmask_b32_e64 v101, 0xffff8000, -1, s18
	v_lshrrev_b32_e32 v2, s23, v2
	s_delay_alu instid0(VALU_DEP_1) | instskip(NEXT) | instid1(VALU_DEP_1)
	v_and_b32_e32 v2, s42, v2
	v_lshlrev_b32_e32 v2, 2, v2
	ds_load_b32 v2, v2
	s_wait_dscnt 0x0
	v_add_nc_u32_e32 v2, v2, v31
	s_delay_alu instid0(VALU_DEP_1) | instskip(SKIP_1) | instid1(VALU_DEP_2)
	v_lshlrev_b64_e32 v[20:21], 1, v[2:3]
	v_xor_b32_e32 v2, v101, v99
	v_add_co_u32 v20, s18, s38, v20
	s_wait_alu 0xf1ff
	s_delay_alu instid0(VALU_DEP_3)
	v_add_co_ci_u32_e64 v21, null, s39, v21, s18
	global_store_b16 v[20:21], v2, off
	s_wait_alu 0xfffe
	s_or_b32 exec_lo, exec_lo, s19
	v_cmp_lt_u32_e64 s18, v34, v97
	s_and_saveexec_b32 s20, s18
	s_cbranch_execz .LBB2055_115
.LBB2055_151:                           ;   in Loop: Header=BB2055_64 Depth=2
	ds_load_u16 v99, v47 offset:3072
	s_wait_dscnt 0x0
	v_cmp_ne_u16_e64 s19, 0x7fff, v99
	s_wait_alu 0xf1ff
	s_delay_alu instid0(VALU_DEP_1) | instskip(SKIP_1) | instid1(VALU_DEP_2)
	v_cndmask_b32_e64 v2, 0xffff8000, v99, s19
	v_cmp_lt_i16_e64 s19, -1, v99
	v_and_b32_e32 v2, 0xffff, v2
	s_wait_alu 0xf1ff
	s_delay_alu instid0(VALU_DEP_2) | instskip(NEXT) | instid1(VALU_DEP_2)
	v_cndmask_b32_e64 v101, 0xffff8000, -1, s19
	v_lshrrev_b32_e32 v2, s23, v2
	s_delay_alu instid0(VALU_DEP_1) | instskip(NEXT) | instid1(VALU_DEP_1)
	v_and_b32_e32 v2, s42, v2
	v_lshlrev_b32_e32 v2, 2, v2
	ds_load_b32 v2, v2
	s_wait_dscnt 0x0
	v_add_nc_u32_e32 v2, v2, v34
	s_delay_alu instid0(VALU_DEP_1) | instskip(SKIP_1) | instid1(VALU_DEP_2)
	v_lshlrev_b64_e32 v[20:21], 1, v[2:3]
	v_xor_b32_e32 v2, v101, v99
	v_add_co_u32 v20, s19, s38, v20
	s_wait_alu 0xf1ff
	s_delay_alu instid0(VALU_DEP_3)
	v_add_co_ci_u32_e64 v21, null, s39, v21, s19
	global_store_b16 v[20:21], v2, off
	s_wait_alu 0xfffe
	s_or_b32 exec_lo, exec_lo, s20
	v_cmp_lt_u32_e64 s19, v35, v97
	s_and_saveexec_b32 s21, s19
	s_cbranch_execz .LBB2055_116
.LBB2055_152:                           ;   in Loop: Header=BB2055_64 Depth=2
	ds_load_u16 v99, v47 offset:3584
	s_wait_dscnt 0x0
	v_cmp_ne_u16_e64 s20, 0x7fff, v99
	s_wait_alu 0xf1ff
	s_delay_alu instid0(VALU_DEP_1) | instskip(SKIP_1) | instid1(VALU_DEP_2)
	v_cndmask_b32_e64 v2, 0xffff8000, v99, s20
	v_cmp_lt_i16_e64 s20, -1, v99
	v_and_b32_e32 v2, 0xffff, v2
	s_wait_alu 0xf1ff
	s_delay_alu instid0(VALU_DEP_2) | instskip(NEXT) | instid1(VALU_DEP_2)
	v_cndmask_b32_e64 v101, 0xffff8000, -1, s20
	v_lshrrev_b32_e32 v2, s23, v2
	s_delay_alu instid0(VALU_DEP_1) | instskip(NEXT) | instid1(VALU_DEP_1)
	v_and_b32_e32 v2, s42, v2
	v_lshlrev_b32_e32 v2, 2, v2
	ds_load_b32 v2, v2
	s_wait_dscnt 0x0
	v_add_nc_u32_e32 v2, v2, v35
	s_delay_alu instid0(VALU_DEP_1) | instskip(SKIP_1) | instid1(VALU_DEP_2)
	v_lshlrev_b64_e32 v[20:21], 1, v[2:3]
	v_xor_b32_e32 v2, v101, v99
	v_add_co_u32 v20, s20, s38, v20
	s_wait_alu 0xf1ff
	s_delay_alu instid0(VALU_DEP_3)
	v_add_co_ci_u32_e64 v21, null, s39, v21, s20
	global_store_b16 v[20:21], v2, off
	s_wait_alu 0xfffe
	s_or_b32 exec_lo, exec_lo, s21
	v_cmp_lt_u32_e64 s20, v36, v97
	s_and_saveexec_b32 s22, s20
	s_cbranch_execz .LBB2055_117
.LBB2055_153:                           ;   in Loop: Header=BB2055_64 Depth=2
	ds_load_u16 v99, v47 offset:4096
	s_wait_dscnt 0x0
	v_cmp_ne_u16_e64 s21, 0x7fff, v99
	s_wait_alu 0xf1ff
	s_delay_alu instid0(VALU_DEP_1) | instskip(SKIP_1) | instid1(VALU_DEP_2)
	v_cndmask_b32_e64 v2, 0xffff8000, v99, s21
	v_cmp_lt_i16_e64 s21, -1, v99
	v_and_b32_e32 v2, 0xffff, v2
	s_wait_alu 0xf1ff
	s_delay_alu instid0(VALU_DEP_2) | instskip(NEXT) | instid1(VALU_DEP_2)
	v_cndmask_b32_e64 v101, 0xffff8000, -1, s21
	v_lshrrev_b32_e32 v2, s23, v2
	s_delay_alu instid0(VALU_DEP_1) | instskip(NEXT) | instid1(VALU_DEP_1)
	v_and_b32_e32 v2, s42, v2
	v_lshlrev_b32_e32 v2, 2, v2
	ds_load_b32 v2, v2
	s_wait_dscnt 0x0
	v_add_nc_u32_e32 v2, v2, v36
	s_delay_alu instid0(VALU_DEP_1) | instskip(SKIP_1) | instid1(VALU_DEP_2)
	v_lshlrev_b64_e32 v[20:21], 1, v[2:3]
	v_xor_b32_e32 v2, v101, v99
	v_add_co_u32 v20, s21, s38, v20
	s_wait_alu 0xf1ff
	s_delay_alu instid0(VALU_DEP_3)
	v_add_co_ci_u32_e64 v21, null, s39, v21, s21
	global_store_b16 v[20:21], v2, off
	s_wait_alu 0xfffe
	s_or_b32 exec_lo, exec_lo, s22
	v_cmp_lt_u32_e64 s21, v37, v97
	s_and_saveexec_b32 s48, s21
	s_cbranch_execnz .LBB2055_118
	s_branch .LBB2055_119
.LBB2055_154:                           ;   in Loop: Header=BB2055_64 Depth=2
	global_load_b64 v[18:19], v[20:21], off
	s_wait_alu 0xfffe
	s_or_b32 exec_lo, exec_lo, s22
	s_delay_alu instid0(SALU_CYCLE_1)
	s_mov_b32 s30, exec_lo
	v_cmpx_lt_u32_e64 v70, v97
	s_cbranch_execz .LBB2055_121
.LBB2055_155:                           ;   in Loop: Header=BB2055_64 Depth=2
	global_load_b64 v[16:17], v[20:21], off offset:256
	s_wait_alu 0xfffe
	s_or_b32 exec_lo, exec_lo, s30
	s_delay_alu instid0(SALU_CYCLE_1)
	s_mov_b32 s30, exec_lo
	v_cmpx_lt_u32_e64 v71, v97
	s_cbranch_execz .LBB2055_122
.LBB2055_156:                           ;   in Loop: Header=BB2055_64 Depth=2
	global_load_b64 v[14:15], v[20:21], off offset:512
	s_wait_alu 0xfffe
	s_or_b32 exec_lo, exec_lo, s30
	s_delay_alu instid0(SALU_CYCLE_1)
	s_mov_b32 s30, exec_lo
	v_cmpx_lt_u32_e64 v72, v97
	s_cbranch_execz .LBB2055_123
.LBB2055_157:                           ;   in Loop: Header=BB2055_64 Depth=2
	global_load_b64 v[12:13], v[20:21], off offset:768
	s_wait_alu 0xfffe
	s_or_b32 exec_lo, exec_lo, s30
	s_delay_alu instid0(SALU_CYCLE_1)
	s_mov_b32 s30, exec_lo
	v_cmpx_lt_u32_e64 v73, v97
	s_cbranch_execz .LBB2055_124
.LBB2055_158:                           ;   in Loop: Header=BB2055_64 Depth=2
	global_load_b64 v[10:11], v[20:21], off offset:1024
	s_wait_alu 0xfffe
	s_or_b32 exec_lo, exec_lo, s30
	s_delay_alu instid0(SALU_CYCLE_1)
	s_mov_b32 s30, exec_lo
	v_cmpx_lt_u32_e64 v74, v97
	s_cbranch_execz .LBB2055_125
.LBB2055_159:                           ;   in Loop: Header=BB2055_64 Depth=2
	global_load_b64 v[8:9], v[20:21], off offset:1280
	s_wait_alu 0xfffe
	s_or_b32 exec_lo, exec_lo, s30
	s_delay_alu instid0(SALU_CYCLE_1)
	s_mov_b32 s30, exec_lo
	v_cmpx_lt_u32_e64 v75, v97
	s_cbranch_execz .LBB2055_126
.LBB2055_160:                           ;   in Loop: Header=BB2055_64 Depth=2
	global_load_b64 v[6:7], v[20:21], off offset:1536
	s_wait_alu 0xfffe
	s_or_b32 exec_lo, exec_lo, s30
	s_delay_alu instid0(SALU_CYCLE_1)
	s_mov_b32 s30, exec_lo
	v_cmpx_lt_u32_e64 v76, v97
	s_cbranch_execz .LBB2055_127
.LBB2055_161:                           ;   in Loop: Header=BB2055_64 Depth=2
	global_load_b64 v[4:5], v[20:21], off offset:1792
	s_wait_alu 0xfffe
	s_or_b32 exec_lo, exec_lo, s30
	s_and_saveexec_b32 s30, vcc_lo
	s_cbranch_execz .LBB2055_128
.LBB2055_162:                           ;   in Loop: Header=BB2055_64 Depth=2
	ds_load_u16 v2, v47 offset:1024
	s_wait_dscnt 0x0
	v_cmp_ne_u16_e64 s22, 0x7fff, v2
	s_wait_alu 0xf1ff
	s_delay_alu instid0(VALU_DEP_1) | instskip(NEXT) | instid1(VALU_DEP_1)
	v_cndmask_b32_e64 v2, 0xffff8000, v2, s22
	v_and_b32_e32 v2, 0xffff, v2
	s_delay_alu instid0(VALU_DEP_1) | instskip(NEXT) | instid1(VALU_DEP_1)
	v_lshrrev_b32_e32 v2, s23, v2
	v_and_b32_e32 v96, s42, v2
	s_wait_alu 0xfffe
	s_or_b32 exec_lo, exec_lo, s30
	s_and_saveexec_b32 s30, s15
	s_cbranch_execz .LBB2055_129
.LBB2055_163:                           ;   in Loop: Header=BB2055_64 Depth=2
	ds_load_u16 v2, v47 offset:1536
	s_wait_dscnt 0x0
	v_cmp_ne_u16_e64 s22, 0x7fff, v2
	s_wait_alu 0xf1ff
	s_delay_alu instid0(VALU_DEP_1) | instskip(NEXT) | instid1(VALU_DEP_1)
	v_cndmask_b32_e64 v2, 0xffff8000, v2, s22
	v_and_b32_e32 v2, 0xffff, v2
	s_delay_alu instid0(VALU_DEP_1) | instskip(NEXT) | instid1(VALU_DEP_1)
	v_lshrrev_b32_e32 v2, s23, v2
	v_and_b32_e32 v95, s42, v2
	s_wait_alu 0xfffe
	s_or_b32 exec_lo, exec_lo, s30
	s_and_saveexec_b32 s30, s16
	s_cbranch_execz .LBB2055_130
.LBB2055_164:                           ;   in Loop: Header=BB2055_64 Depth=2
	ds_load_u16 v2, v47 offset:2048
	s_wait_dscnt 0x0
	v_cmp_ne_u16_e64 s22, 0x7fff, v2
	s_wait_alu 0xf1ff
	s_delay_alu instid0(VALU_DEP_1) | instskip(NEXT) | instid1(VALU_DEP_1)
	v_cndmask_b32_e64 v2, 0xffff8000, v2, s22
	v_and_b32_e32 v2, 0xffff, v2
	s_delay_alu instid0(VALU_DEP_1) | instskip(NEXT) | instid1(VALU_DEP_1)
	v_lshrrev_b32_e32 v2, s23, v2
	v_and_b32_e32 v94, s42, v2
	s_wait_alu 0xfffe
	s_or_b32 exec_lo, exec_lo, s30
	s_and_saveexec_b32 s30, s17
	s_cbranch_execz .LBB2055_131
.LBB2055_165:                           ;   in Loop: Header=BB2055_64 Depth=2
	ds_load_u16 v2, v47 offset:2560
	s_wait_dscnt 0x0
	v_cmp_ne_u16_e64 s22, 0x7fff, v2
	s_wait_alu 0xf1ff
	s_delay_alu instid0(VALU_DEP_1) | instskip(NEXT) | instid1(VALU_DEP_1)
	v_cndmask_b32_e64 v2, 0xffff8000, v2, s22
	v_and_b32_e32 v2, 0xffff, v2
	s_delay_alu instid0(VALU_DEP_1) | instskip(NEXT) | instid1(VALU_DEP_1)
	v_lshrrev_b32_e32 v2, s23, v2
	v_and_b32_e32 v93, s42, v2
	s_wait_alu 0xfffe
	s_or_b32 exec_lo, exec_lo, s30
	s_and_saveexec_b32 s30, s18
	s_cbranch_execz .LBB2055_132
.LBB2055_166:                           ;   in Loop: Header=BB2055_64 Depth=2
	ds_load_u16 v2, v47 offset:3072
	s_wait_dscnt 0x0
	v_cmp_ne_u16_e64 s22, 0x7fff, v2
	s_wait_alu 0xf1ff
	s_delay_alu instid0(VALU_DEP_1) | instskip(NEXT) | instid1(VALU_DEP_1)
	v_cndmask_b32_e64 v2, 0xffff8000, v2, s22
	v_and_b32_e32 v2, 0xffff, v2
	s_delay_alu instid0(VALU_DEP_1) | instskip(NEXT) | instid1(VALU_DEP_1)
	v_lshrrev_b32_e32 v2, s23, v2
	v_and_b32_e32 v92, s42, v2
	s_wait_alu 0xfffe
	s_or_b32 exec_lo, exec_lo, s30
	s_and_saveexec_b32 s30, s19
	s_cbranch_execz .LBB2055_133
.LBB2055_167:                           ;   in Loop: Header=BB2055_64 Depth=2
	ds_load_u16 v2, v47 offset:3584
	s_wait_dscnt 0x0
	v_cmp_ne_u16_e64 s22, 0x7fff, v2
	s_wait_alu 0xf1ff
	s_delay_alu instid0(VALU_DEP_1) | instskip(NEXT) | instid1(VALU_DEP_1)
	v_cndmask_b32_e64 v2, 0xffff8000, v2, s22
	v_and_b32_e32 v2, 0xffff, v2
	s_delay_alu instid0(VALU_DEP_1) | instskip(NEXT) | instid1(VALU_DEP_1)
	v_lshrrev_b32_e32 v2, s23, v2
	v_and_b32_e32 v91, s42, v2
	s_wait_alu 0xfffe
	s_or_b32 exec_lo, exec_lo, s30
	s_and_saveexec_b32 s30, s20
	s_cbranch_execz .LBB2055_134
.LBB2055_168:                           ;   in Loop: Header=BB2055_64 Depth=2
	ds_load_u16 v2, v47 offset:4096
	s_wait_dscnt 0x0
	v_cmp_ne_u16_e64 s22, 0x7fff, v2
	s_wait_alu 0xf1ff
	s_delay_alu instid0(VALU_DEP_1) | instskip(NEXT) | instid1(VALU_DEP_1)
	v_cndmask_b32_e64 v2, 0xffff8000, v2, s22
	v_and_b32_e32 v2, 0xffff, v2
	s_delay_alu instid0(VALU_DEP_1) | instskip(NEXT) | instid1(VALU_DEP_1)
	v_lshrrev_b32_e32 v2, s23, v2
	v_and_b32_e32 v90, s42, v2
	s_wait_alu 0xfffe
	s_or_b32 exec_lo, exec_lo, s30
	s_and_saveexec_b32 s30, s21
	s_cbranch_execnz .LBB2055_135
	s_branch .LBB2055_136
.LBB2055_169:                           ;   in Loop: Header=BB2055_64 Depth=2
	v_lshlrev_b32_e32 v2, 2, v96
	v_add_nc_u32_e32 v20, v47, v48
	ds_load_b32 v2, v2
	ds_load_b64 v[20:21], v20 offset:1024
	s_wait_dscnt 0x1
	v_add_nc_u32_e32 v2, v2, v1
	s_delay_alu instid0(VALU_DEP_1) | instskip(NEXT) | instid1(VALU_DEP_1)
	v_lshlrev_b64_e32 v[23:24], 3, v[2:3]
	v_add_co_u32 v23, vcc_lo, s24, v23
	s_wait_alu 0xfffd
	s_delay_alu instid0(VALU_DEP_2)
	v_add_co_ci_u32_e64 v24, null, s25, v24, vcc_lo
	s_wait_dscnt 0x0
	global_store_b64 v[23:24], v[20:21], off
	s_wait_alu 0xfffe
	s_or_b32 exec_lo, exec_lo, s22
	s_and_saveexec_b32 s22, s15
	s_cbranch_execz .LBB2055_138
.LBB2055_170:                           ;   in Loop: Header=BB2055_64 Depth=2
	v_lshlrev_b32_e32 v2, 2, v95
	v_add_nc_u32_e32 v20, v47, v48
	ds_load_b32 v2, v2
	ds_load_b64 v[20:21], v20 offset:3072
	s_wait_dscnt 0x1
	v_add_nc_u32_e32 v2, v2, v29
	s_delay_alu instid0(VALU_DEP_1) | instskip(NEXT) | instid1(VALU_DEP_1)
	v_lshlrev_b64_e32 v[23:24], 3, v[2:3]
	v_add_co_u32 v23, vcc_lo, s24, v23
	s_wait_alu 0xfffd
	s_delay_alu instid0(VALU_DEP_2)
	v_add_co_ci_u32_e64 v24, null, s25, v24, vcc_lo
	s_wait_dscnt 0x0
	global_store_b64 v[23:24], v[20:21], off
	s_wait_alu 0xfffe
	s_or_b32 exec_lo, exec_lo, s22
	s_and_saveexec_b32 s15, s16
	s_cbranch_execz .LBB2055_139
.LBB2055_171:                           ;   in Loop: Header=BB2055_64 Depth=2
	v_lshlrev_b32_e32 v2, 2, v94
	v_add_nc_u32_e32 v20, v47, v48
	ds_load_b32 v2, v2
	ds_load_b64 v[20:21], v20 offset:5120
	s_wait_dscnt 0x1
	v_add_nc_u32_e32 v2, v2, v30
	s_delay_alu instid0(VALU_DEP_1) | instskip(NEXT) | instid1(VALU_DEP_1)
	v_lshlrev_b64_e32 v[23:24], 3, v[2:3]
	v_add_co_u32 v23, vcc_lo, s24, v23
	s_wait_alu 0xfffd
	s_delay_alu instid0(VALU_DEP_2)
	v_add_co_ci_u32_e64 v24, null, s25, v24, vcc_lo
	s_wait_dscnt 0x0
	global_store_b64 v[23:24], v[20:21], off
	s_wait_alu 0xfffe
	s_or_b32 exec_lo, exec_lo, s15
	s_and_saveexec_b32 s15, s17
	s_cbranch_execz .LBB2055_140
.LBB2055_172:                           ;   in Loop: Header=BB2055_64 Depth=2
	v_lshlrev_b32_e32 v2, 2, v93
	v_add_nc_u32_e32 v20, v47, v48
	ds_load_b32 v2, v2
	ds_load_b64 v[20:21], v20 offset:7168
	s_wait_dscnt 0x1
	v_add_nc_u32_e32 v2, v2, v31
	s_delay_alu instid0(VALU_DEP_1) | instskip(NEXT) | instid1(VALU_DEP_1)
	v_lshlrev_b64_e32 v[23:24], 3, v[2:3]
	v_add_co_u32 v23, vcc_lo, s24, v23
	s_wait_alu 0xfffd
	s_delay_alu instid0(VALU_DEP_2)
	v_add_co_ci_u32_e64 v24, null, s25, v24, vcc_lo
	s_wait_dscnt 0x0
	global_store_b64 v[23:24], v[20:21], off
	s_wait_alu 0xfffe
	s_or_b32 exec_lo, exec_lo, s15
	s_and_saveexec_b32 s15, s18
	s_cbranch_execz .LBB2055_141
.LBB2055_173:                           ;   in Loop: Header=BB2055_64 Depth=2
	v_lshlrev_b32_e32 v2, 2, v92
	v_add_nc_u32_e32 v20, v47, v48
	ds_load_b32 v2, v2
	ds_load_b64 v[20:21], v20 offset:9216
	s_wait_dscnt 0x1
	v_add_nc_u32_e32 v2, v2, v34
	s_delay_alu instid0(VALU_DEP_1) | instskip(NEXT) | instid1(VALU_DEP_1)
	v_lshlrev_b64_e32 v[23:24], 3, v[2:3]
	v_add_co_u32 v23, vcc_lo, s24, v23
	s_wait_alu 0xfffd
	s_delay_alu instid0(VALU_DEP_2)
	v_add_co_ci_u32_e64 v24, null, s25, v24, vcc_lo
	s_wait_dscnt 0x0
	global_store_b64 v[23:24], v[20:21], off
	s_wait_alu 0xfffe
	s_or_b32 exec_lo, exec_lo, s15
	s_and_saveexec_b32 s15, s19
	s_cbranch_execz .LBB2055_142
.LBB2055_174:                           ;   in Loop: Header=BB2055_64 Depth=2
	v_lshlrev_b32_e32 v2, 2, v91
	v_add_nc_u32_e32 v20, v47, v48
	ds_load_b32 v2, v2
	ds_load_b64 v[20:21], v20 offset:11264
	s_wait_dscnt 0x1
	v_add_nc_u32_e32 v2, v2, v35
	s_delay_alu instid0(VALU_DEP_1) | instskip(NEXT) | instid1(VALU_DEP_1)
	v_lshlrev_b64_e32 v[23:24], 3, v[2:3]
	v_add_co_u32 v23, vcc_lo, s24, v23
	s_wait_alu 0xfffd
	s_delay_alu instid0(VALU_DEP_2)
	v_add_co_ci_u32_e64 v24, null, s25, v24, vcc_lo
	s_wait_dscnt 0x0
	global_store_b64 v[23:24], v[20:21], off
	s_wait_alu 0xfffe
	s_or_b32 exec_lo, exec_lo, s15
	s_and_saveexec_b32 s15, s20
	s_cbranch_execz .LBB2055_143
.LBB2055_175:                           ;   in Loop: Header=BB2055_64 Depth=2
	v_lshlrev_b32_e32 v2, 2, v90
	v_add_nc_u32_e32 v20, v47, v48
	ds_load_b32 v2, v2
	ds_load_b64 v[20:21], v20 offset:13312
	s_wait_dscnt 0x1
	v_add_nc_u32_e32 v2, v2, v36
	s_delay_alu instid0(VALU_DEP_1) | instskip(NEXT) | instid1(VALU_DEP_1)
	v_lshlrev_b64_e32 v[23:24], 3, v[2:3]
	v_add_co_u32 v23, vcc_lo, s24, v23
	s_wait_alu 0xfffd
	s_delay_alu instid0(VALU_DEP_2)
	v_add_co_ci_u32_e64 v24, null, s25, v24, vcc_lo
	s_wait_dscnt 0x0
	global_store_b64 v[23:24], v[20:21], off
	s_wait_alu 0xfffe
	s_or_b32 exec_lo, exec_lo, s15
	s_and_saveexec_b32 s15, s21
	s_cbranch_execnz .LBB2055_144
	s_branch .LBB2055_145
.LBB2055_176:                           ;   in Loop: Header=BB2055_12 Depth=1
	s_wait_loadcnt_dscnt 0x0
	s_barrier_signal -1
	s_mov_b32 s0, 0
	s_barrier_wait -1
.LBB2055_177:                           ;   in Loop: Header=BB2055_12 Depth=1
	s_wait_alu 0xfffe
	s_and_b32 vcc_lo, exec_lo, s0
	s_wait_alu 0xfffe
	s_cbranch_vccz .LBB2055_341
; %bb.178:                              ;   in Loop: Header=BB2055_12 Depth=1
	s_mov_b32 s9, s47
	s_mov_b32 s30, s33
	s_barrier_signal -1
	s_barrier_wait -1
	global_inv scope:SCOPE_SE
                                        ; implicit-def: $vgpr2
                                        ; implicit-def: $vgpr4
                                        ; implicit-def: $vgpr5
                                        ; implicit-def: $vgpr6
                                        ; implicit-def: $vgpr7
                                        ; implicit-def: $vgpr8
                                        ; implicit-def: $vgpr9
                                        ; implicit-def: $vgpr10
	s_branch .LBB2055_180
.LBB2055_179:                           ;   in Loop: Header=BB2055_180 Depth=2
	s_wait_alu 0xfffe
	s_or_b32 exec_lo, exec_lo, s0
	s_addk_co_i32 s9, 0xf800
	s_cmp_ge_u32 s10, s34
	s_mov_b32 s30, s10
	s_cbranch_scc1 .LBB2055_216
.LBB2055_180:                           ;   Parent Loop BB2055_12 Depth=1
                                        ; =>  This Inner Loop Header: Depth=2
	s_wait_alu 0xfffe
	s_add_co_i32 s10, s30, 0x800
	s_mov_b32 s0, -1
	s_wait_alu 0xfffe
	s_cmp_gt_u32 s10, s34
                                        ; implicit-def: $vgpr11
                                        ; implicit-def: $vgpr12
                                        ; implicit-def: $vgpr13
                                        ; implicit-def: $vgpr14
                                        ; implicit-def: $vgpr15
                                        ; implicit-def: $vgpr16
                                        ; implicit-def: $vgpr17
                                        ; implicit-def: $vgpr18
	s_cbranch_scc1 .LBB2055_182
; %bb.181:                              ;   in Loop: Header=BB2055_180 Depth=2
	s_lshl_b64 s[0:1], s[30:31], 1
	s_wait_alu 0xfffe
	v_add_co_u32 v18, vcc_lo, v49, s0
	s_wait_alu 0xfffd
	v_add_co_ci_u32_e64 v19, null, s1, v50, vcc_lo
	s_mov_b32 s0, 0
	s_clause 0x7
	global_load_u16 v11, v[18:19], off
	global_load_u16 v12, v[18:19], off offset:512
	global_load_u16 v13, v[18:19], off offset:1024
	;; [unrolled: 1-line block ×7, first 2 shown]
.LBB2055_182:                           ;   in Loop: Header=BB2055_180 Depth=2
	s_wait_alu 0xfffe
	s_and_not1_b32 vcc_lo, exec_lo, s0
	s_movk_i32 s0, 0x800
	s_wait_alu 0xfffe
	s_cbranch_vccnz .LBB2055_193
; %bb.183:                              ;   in Loop: Header=BB2055_180 Depth=2
	s_lshl_b64 s[0:1], s[30:31], 1
	s_mov_b32 s11, exec_lo
	s_wait_alu 0xfffe
	s_add_nc_u64 s[0:1], s[38:39], s[0:1]
	v_cmpx_gt_u32_e64 s9, v1
	s_cbranch_execnz .LBB2055_209
; %bb.184:                              ;   in Loop: Header=BB2055_180 Depth=2
	s_or_b32 exec_lo, exec_lo, s11
	s_delay_alu instid0(SALU_CYCLE_1)
	s_mov_b32 s11, exec_lo
	v_cmpx_gt_u32_e64 s9, v29
	s_cbranch_execnz .LBB2055_210
.LBB2055_185:                           ;   in Loop: Header=BB2055_180 Depth=2
	s_wait_alu 0xfffe
	s_or_b32 exec_lo, exec_lo, s11
	s_delay_alu instid0(SALU_CYCLE_1)
	s_mov_b32 s11, exec_lo
	v_cmpx_gt_u32_e64 s9, v30
	s_cbranch_execnz .LBB2055_211
.LBB2055_186:                           ;   in Loop: Header=BB2055_180 Depth=2
	s_wait_alu 0xfffe
	s_or_b32 exec_lo, exec_lo, s11
	s_delay_alu instid0(SALU_CYCLE_1)
	s_mov_b32 s11, exec_lo
	v_cmpx_gt_u32_e64 s9, v31
	s_cbranch_execnz .LBB2055_212
.LBB2055_187:                           ;   in Loop: Header=BB2055_180 Depth=2
	s_wait_alu 0xfffe
	s_or_b32 exec_lo, exec_lo, s11
	s_delay_alu instid0(SALU_CYCLE_1)
	s_mov_b32 s11, exec_lo
	v_cmpx_gt_u32_e64 s9, v34
	s_cbranch_execnz .LBB2055_213
.LBB2055_188:                           ;   in Loop: Header=BB2055_180 Depth=2
	s_wait_alu 0xfffe
	s_or_b32 exec_lo, exec_lo, s11
	s_delay_alu instid0(SALU_CYCLE_1)
	s_mov_b32 s11, exec_lo
	v_cmpx_gt_u32_e64 s9, v35
	s_cbranch_execnz .LBB2055_214
.LBB2055_189:                           ;   in Loop: Header=BB2055_180 Depth=2
	s_wait_alu 0xfffe
	s_or_b32 exec_lo, exec_lo, s11
	s_delay_alu instid0(SALU_CYCLE_1)
	s_mov_b32 s11, exec_lo
	v_cmpx_gt_u32_e64 s9, v36
	s_cbranch_execnz .LBB2055_215
.LBB2055_190:                           ;   in Loop: Header=BB2055_180 Depth=2
	s_wait_alu 0xfffe
	s_or_b32 exec_lo, exec_lo, s11
	s_delay_alu instid0(SALU_CYCLE_1)
	s_mov_b32 s11, exec_lo
	v_cmpx_gt_u32_e64 s9, v37
	s_cbranch_execz .LBB2055_192
.LBB2055_191:                           ;   in Loop: Header=BB2055_180 Depth=2
	global_load_u16 v2, v82, s[0:1] offset:3584
.LBB2055_192:                           ;   in Loop: Header=BB2055_180 Depth=2
	s_wait_alu 0xfffe
	s_or_b32 exec_lo, exec_lo, s11
	s_wait_loadcnt 0x0
	v_dual_mov_b32 v11, v10 :: v_dual_mov_b32 v12, v9
	v_dual_mov_b32 v13, v8 :: v_dual_mov_b32 v14, v7
	;; [unrolled: 1-line block ×4, first 2 shown]
	s_mov_b32 s0, s9
.LBB2055_193:                           ;   in Loop: Header=BB2055_180 Depth=2
	s_wait_loadcnt 0x0
	s_delay_alu instid0(VALU_DEP_1) | instskip(NEXT) | instid1(VALU_DEP_2)
	v_dual_mov_b32 v2, v18 :: v_dual_mov_b32 v5, v16
	v_dual_mov_b32 v4, v17 :: v_dual_mov_b32 v7, v14
	;; [unrolled: 1-line block ×3, first 2 shown]
	v_mov_b32_e32 v8, v13
	v_mov_b32_e32 v10, v11
	s_mov_b32 s1, exec_lo
	s_wait_alu 0xfffe
	v_cmpx_gt_u32_e64 s0, v1
	s_cbranch_execnz .LBB2055_201
; %bb.194:                              ;   in Loop: Header=BB2055_180 Depth=2
	s_or_b32 exec_lo, exec_lo, s1
	s_delay_alu instid0(SALU_CYCLE_1)
	s_mov_b32 s1, exec_lo
	v_cmpx_gt_u32_e64 s0, v29
	s_cbranch_execnz .LBB2055_202
.LBB2055_195:                           ;   in Loop: Header=BB2055_180 Depth=2
	s_wait_alu 0xfffe
	s_or_b32 exec_lo, exec_lo, s1
	s_delay_alu instid0(SALU_CYCLE_1)
	s_mov_b32 s1, exec_lo
	v_cmpx_gt_u32_e64 s0, v30
	s_cbranch_execnz .LBB2055_203
.LBB2055_196:                           ;   in Loop: Header=BB2055_180 Depth=2
	s_wait_alu 0xfffe
	s_or_b32 exec_lo, exec_lo, s1
	s_delay_alu instid0(SALU_CYCLE_1)
	s_mov_b32 s1, exec_lo
	v_cmpx_gt_u32_e64 s0, v31
	s_cbranch_execnz .LBB2055_204
.LBB2055_197:                           ;   in Loop: Header=BB2055_180 Depth=2
	s_wait_alu 0xfffe
	s_or_b32 exec_lo, exec_lo, s1
	s_delay_alu instid0(SALU_CYCLE_1)
	s_mov_b32 s1, exec_lo
	v_cmpx_gt_u32_e64 s0, v34
	s_cbranch_execnz .LBB2055_205
.LBB2055_198:                           ;   in Loop: Header=BB2055_180 Depth=2
	s_wait_alu 0xfffe
	s_or_b32 exec_lo, exec_lo, s1
	s_delay_alu instid0(SALU_CYCLE_1)
	s_mov_b32 s1, exec_lo
	v_cmpx_gt_u32_e64 s0, v35
	s_cbranch_execnz .LBB2055_206
.LBB2055_199:                           ;   in Loop: Header=BB2055_180 Depth=2
	s_wait_alu 0xfffe
	s_or_b32 exec_lo, exec_lo, s1
	s_delay_alu instid0(SALU_CYCLE_1)
	s_mov_b32 s1, exec_lo
	v_cmpx_gt_u32_e64 s0, v36
	s_cbranch_execnz .LBB2055_207
.LBB2055_200:                           ;   in Loop: Header=BB2055_180 Depth=2
	s_wait_alu 0xfffe
	s_or_b32 exec_lo, exec_lo, s1
	v_cmp_gt_u32_e32 vcc_lo, s0, v37
	s_and_saveexec_b32 s0, vcc_lo
	s_cbranch_execz .LBB2055_179
	s_branch .LBB2055_208
.LBB2055_201:                           ;   in Loop: Header=BB2055_180 Depth=2
	v_cmp_lt_i16_e32 vcc_lo, -1, v10
	s_wait_alu 0xfffd
	v_cndmask_b32_e64 v11, -1, 0xffff8000, vcc_lo
	s_delay_alu instid0(VALU_DEP_1) | instskip(NEXT) | instid1(VALU_DEP_1)
	v_xor_b32_e32 v11, v11, v10
	v_cmp_ne_u16_e32 vcc_lo, 0x7fff, v11
	s_wait_alu 0xfffd
	v_cndmask_b32_e32 v11, 0xffff8000, v11, vcc_lo
	s_delay_alu instid0(VALU_DEP_1) | instskip(NEXT) | instid1(VALU_DEP_1)
	v_and_b32_e32 v11, 0xffff, v11
	v_lshrrev_b32_e32 v11, s23, v11
	s_delay_alu instid0(VALU_DEP_1) | instskip(NEXT) | instid1(VALU_DEP_1)
	v_and_b32_e32 v11, s42, v11
	v_lshl_or_b32 v11, v11, 4, v39
	ds_add_u32 v11, v62
	s_or_b32 exec_lo, exec_lo, s1
	s_delay_alu instid0(SALU_CYCLE_1)
	s_mov_b32 s1, exec_lo
	v_cmpx_gt_u32_e64 s0, v29
	s_cbranch_execz .LBB2055_195
.LBB2055_202:                           ;   in Loop: Header=BB2055_180 Depth=2
	v_cmp_lt_i16_e32 vcc_lo, -1, v9
	s_wait_alu 0xfffd
	v_cndmask_b32_e64 v11, -1, 0xffff8000, vcc_lo
	s_delay_alu instid0(VALU_DEP_1) | instskip(NEXT) | instid1(VALU_DEP_1)
	v_xor_b32_e32 v11, v11, v9
	v_cmp_ne_u16_e32 vcc_lo, 0x7fff, v11
	s_wait_alu 0xfffd
	v_cndmask_b32_e32 v11, 0xffff8000, v11, vcc_lo
	s_delay_alu instid0(VALU_DEP_1) | instskip(NEXT) | instid1(VALU_DEP_1)
	v_and_b32_e32 v11, 0xffff, v11
	v_lshrrev_b32_e32 v11, s23, v11
	s_delay_alu instid0(VALU_DEP_1) | instskip(NEXT) | instid1(VALU_DEP_1)
	v_and_b32_e32 v11, s42, v11
	v_lshl_or_b32 v11, v11, 4, v39
	ds_add_u32 v11, v62
	s_wait_alu 0xfffe
	s_or_b32 exec_lo, exec_lo, s1
	s_delay_alu instid0(SALU_CYCLE_1)
	s_mov_b32 s1, exec_lo
	v_cmpx_gt_u32_e64 s0, v30
	s_cbranch_execz .LBB2055_196
.LBB2055_203:                           ;   in Loop: Header=BB2055_180 Depth=2
	v_cmp_lt_i16_e32 vcc_lo, -1, v8
	s_wait_alu 0xfffd
	v_cndmask_b32_e64 v11, -1, 0xffff8000, vcc_lo
	s_delay_alu instid0(VALU_DEP_1) | instskip(NEXT) | instid1(VALU_DEP_1)
	v_xor_b32_e32 v11, v11, v8
	v_cmp_ne_u16_e32 vcc_lo, 0x7fff, v11
	s_wait_alu 0xfffd
	v_cndmask_b32_e32 v11, 0xffff8000, v11, vcc_lo
	s_delay_alu instid0(VALU_DEP_1) | instskip(NEXT) | instid1(VALU_DEP_1)
	v_and_b32_e32 v11, 0xffff, v11
	v_lshrrev_b32_e32 v11, s23, v11
	s_delay_alu instid0(VALU_DEP_1) | instskip(NEXT) | instid1(VALU_DEP_1)
	v_and_b32_e32 v11, s42, v11
	v_lshl_or_b32 v11, v11, 4, v39
	ds_add_u32 v11, v62
	s_wait_alu 0xfffe
	s_or_b32 exec_lo, exec_lo, s1
	s_delay_alu instid0(SALU_CYCLE_1)
	s_mov_b32 s1, exec_lo
	v_cmpx_gt_u32_e64 s0, v31
	s_cbranch_execz .LBB2055_197
.LBB2055_204:                           ;   in Loop: Header=BB2055_180 Depth=2
	v_cmp_lt_i16_e32 vcc_lo, -1, v7
	s_wait_alu 0xfffd
	v_cndmask_b32_e64 v11, -1, 0xffff8000, vcc_lo
	s_delay_alu instid0(VALU_DEP_1) | instskip(NEXT) | instid1(VALU_DEP_1)
	v_xor_b32_e32 v11, v11, v7
	v_cmp_ne_u16_e32 vcc_lo, 0x7fff, v11
	s_wait_alu 0xfffd
	v_cndmask_b32_e32 v11, 0xffff8000, v11, vcc_lo
	s_delay_alu instid0(VALU_DEP_1) | instskip(NEXT) | instid1(VALU_DEP_1)
	v_and_b32_e32 v11, 0xffff, v11
	v_lshrrev_b32_e32 v11, s23, v11
	s_delay_alu instid0(VALU_DEP_1) | instskip(NEXT) | instid1(VALU_DEP_1)
	v_and_b32_e32 v11, s42, v11
	v_lshl_or_b32 v11, v11, 4, v39
	ds_add_u32 v11, v62
	s_wait_alu 0xfffe
	s_or_b32 exec_lo, exec_lo, s1
	s_delay_alu instid0(SALU_CYCLE_1)
	s_mov_b32 s1, exec_lo
	v_cmpx_gt_u32_e64 s0, v34
	s_cbranch_execz .LBB2055_198
.LBB2055_205:                           ;   in Loop: Header=BB2055_180 Depth=2
	v_cmp_lt_i16_e32 vcc_lo, -1, v6
	s_wait_alu 0xfffd
	v_cndmask_b32_e64 v11, -1, 0xffff8000, vcc_lo
	s_delay_alu instid0(VALU_DEP_1) | instskip(NEXT) | instid1(VALU_DEP_1)
	v_xor_b32_e32 v11, v11, v6
	v_cmp_ne_u16_e32 vcc_lo, 0x7fff, v11
	s_wait_alu 0xfffd
	v_cndmask_b32_e32 v11, 0xffff8000, v11, vcc_lo
	s_delay_alu instid0(VALU_DEP_1) | instskip(NEXT) | instid1(VALU_DEP_1)
	v_and_b32_e32 v11, 0xffff, v11
	v_lshrrev_b32_e32 v11, s23, v11
	s_delay_alu instid0(VALU_DEP_1) | instskip(NEXT) | instid1(VALU_DEP_1)
	v_and_b32_e32 v11, s42, v11
	v_lshl_or_b32 v11, v11, 4, v39
	ds_add_u32 v11, v62
	s_wait_alu 0xfffe
	s_or_b32 exec_lo, exec_lo, s1
	s_delay_alu instid0(SALU_CYCLE_1)
	s_mov_b32 s1, exec_lo
	v_cmpx_gt_u32_e64 s0, v35
	s_cbranch_execz .LBB2055_199
.LBB2055_206:                           ;   in Loop: Header=BB2055_180 Depth=2
	v_cmp_lt_i16_e32 vcc_lo, -1, v5
	s_wait_alu 0xfffd
	v_cndmask_b32_e64 v11, -1, 0xffff8000, vcc_lo
	s_delay_alu instid0(VALU_DEP_1) | instskip(NEXT) | instid1(VALU_DEP_1)
	v_xor_b32_e32 v11, v11, v5
	v_cmp_ne_u16_e32 vcc_lo, 0x7fff, v11
	s_wait_alu 0xfffd
	v_cndmask_b32_e32 v11, 0xffff8000, v11, vcc_lo
	s_delay_alu instid0(VALU_DEP_1) | instskip(NEXT) | instid1(VALU_DEP_1)
	v_and_b32_e32 v11, 0xffff, v11
	v_lshrrev_b32_e32 v11, s23, v11
	s_delay_alu instid0(VALU_DEP_1) | instskip(NEXT) | instid1(VALU_DEP_1)
	v_and_b32_e32 v11, s42, v11
	v_lshl_or_b32 v11, v11, 4, v39
	ds_add_u32 v11, v62
	s_wait_alu 0xfffe
	s_or_b32 exec_lo, exec_lo, s1
	s_delay_alu instid0(SALU_CYCLE_1)
	s_mov_b32 s1, exec_lo
	v_cmpx_gt_u32_e64 s0, v36
	s_cbranch_execz .LBB2055_200
.LBB2055_207:                           ;   in Loop: Header=BB2055_180 Depth=2
	v_cmp_lt_i16_e32 vcc_lo, -1, v4
	s_wait_alu 0xfffd
	v_cndmask_b32_e64 v11, -1, 0xffff8000, vcc_lo
	s_delay_alu instid0(VALU_DEP_1) | instskip(NEXT) | instid1(VALU_DEP_1)
	v_xor_b32_e32 v11, v11, v4
	v_cmp_ne_u16_e32 vcc_lo, 0x7fff, v11
	s_wait_alu 0xfffd
	v_cndmask_b32_e32 v11, 0xffff8000, v11, vcc_lo
	s_delay_alu instid0(VALU_DEP_1) | instskip(NEXT) | instid1(VALU_DEP_1)
	v_and_b32_e32 v11, 0xffff, v11
	v_lshrrev_b32_e32 v11, s23, v11
	s_delay_alu instid0(VALU_DEP_1) | instskip(NEXT) | instid1(VALU_DEP_1)
	v_and_b32_e32 v11, s42, v11
	v_lshl_or_b32 v11, v11, 4, v39
	ds_add_u32 v11, v62
	s_wait_alu 0xfffe
	s_or_b32 exec_lo, exec_lo, s1
	v_cmp_gt_u32_e32 vcc_lo, s0, v37
	s_and_saveexec_b32 s0, vcc_lo
	s_cbranch_execz .LBB2055_179
.LBB2055_208:                           ;   in Loop: Header=BB2055_180 Depth=2
	v_cmp_lt_i16_e32 vcc_lo, -1, v2
	s_wait_alu 0xfffd
	v_cndmask_b32_e64 v11, -1, 0xffff8000, vcc_lo
	s_delay_alu instid0(VALU_DEP_1) | instskip(NEXT) | instid1(VALU_DEP_1)
	v_xor_b32_e32 v11, v11, v2
	v_cmp_ne_u16_e32 vcc_lo, 0x7fff, v11
	s_wait_alu 0xfffd
	v_cndmask_b32_e32 v11, 0xffff8000, v11, vcc_lo
	s_delay_alu instid0(VALU_DEP_1) | instskip(NEXT) | instid1(VALU_DEP_1)
	v_and_b32_e32 v11, 0xffff, v11
	v_lshrrev_b32_e32 v11, s23, v11
	s_delay_alu instid0(VALU_DEP_1) | instskip(NEXT) | instid1(VALU_DEP_1)
	v_and_b32_e32 v11, s42, v11
	v_lshl_or_b32 v11, v11, 4, v39
	ds_add_u32 v11, v62
	s_branch .LBB2055_179
.LBB2055_209:                           ;   in Loop: Header=BB2055_180 Depth=2
	global_load_u16 v10, v82, s[0:1]
	s_or_b32 exec_lo, exec_lo, s11
	s_delay_alu instid0(SALU_CYCLE_1)
	s_mov_b32 s11, exec_lo
	v_cmpx_gt_u32_e64 s9, v29
	s_cbranch_execz .LBB2055_185
.LBB2055_210:                           ;   in Loop: Header=BB2055_180 Depth=2
	global_load_u16 v9, v82, s[0:1] offset:512
	s_wait_alu 0xfffe
	s_or_b32 exec_lo, exec_lo, s11
	s_delay_alu instid0(SALU_CYCLE_1)
	s_mov_b32 s11, exec_lo
	v_cmpx_gt_u32_e64 s9, v30
	s_cbranch_execz .LBB2055_186
.LBB2055_211:                           ;   in Loop: Header=BB2055_180 Depth=2
	global_load_u16 v8, v82, s[0:1] offset:1024
	s_wait_alu 0xfffe
	s_or_b32 exec_lo, exec_lo, s11
	s_delay_alu instid0(SALU_CYCLE_1)
	s_mov_b32 s11, exec_lo
	v_cmpx_gt_u32_e64 s9, v31
	s_cbranch_execz .LBB2055_187
.LBB2055_212:                           ;   in Loop: Header=BB2055_180 Depth=2
	global_load_u16 v7, v82, s[0:1] offset:1536
	s_wait_alu 0xfffe
	s_or_b32 exec_lo, exec_lo, s11
	s_delay_alu instid0(SALU_CYCLE_1)
	s_mov_b32 s11, exec_lo
	v_cmpx_gt_u32_e64 s9, v34
	s_cbranch_execz .LBB2055_188
.LBB2055_213:                           ;   in Loop: Header=BB2055_180 Depth=2
	global_load_u16 v6, v82, s[0:1] offset:2048
	s_wait_alu 0xfffe
	s_or_b32 exec_lo, exec_lo, s11
	s_delay_alu instid0(SALU_CYCLE_1)
	s_mov_b32 s11, exec_lo
	v_cmpx_gt_u32_e64 s9, v35
	s_cbranch_execz .LBB2055_189
.LBB2055_214:                           ;   in Loop: Header=BB2055_180 Depth=2
	global_load_u16 v5, v82, s[0:1] offset:2560
	s_wait_alu 0xfffe
	s_or_b32 exec_lo, exec_lo, s11
	s_delay_alu instid0(SALU_CYCLE_1)
	s_mov_b32 s11, exec_lo
	v_cmpx_gt_u32_e64 s9, v36
	s_cbranch_execz .LBB2055_190
.LBB2055_215:                           ;   in Loop: Header=BB2055_180 Depth=2
	global_load_u16 v4, v82, s[0:1] offset:3072
	s_wait_alu 0xfffe
	s_or_b32 exec_lo, exec_lo, s11
	s_delay_alu instid0(SALU_CYCLE_1)
	s_mov_b32 s11, exec_lo
	v_cmpx_gt_u32_e64 s9, v37
	s_cbranch_execnz .LBB2055_191
	s_branch .LBB2055_192
.LBB2055_216:                           ;   in Loop: Header=BB2055_12 Depth=1
	v_mov_b32_e32 v2, 0
	s_wait_dscnt 0x0
	s_barrier_signal -1
	s_barrier_wait -1
	global_inv scope:SCOPE_SE
	s_and_saveexec_b32 s0, s2
	s_cbranch_execz .LBB2055_218
; %bb.217:                              ;   in Loop: Header=BB2055_12 Depth=1
	ds_load_2addr_b64 v[4:7], v40 offset1:1
	s_wait_dscnt 0x0
	v_add_nc_u32_e32 v2, v5, v4
	s_delay_alu instid0(VALU_DEP_1)
	v_add3_u32 v2, v2, v6, v7
.LBB2055_218:                           ;   in Loop: Header=BB2055_12 Depth=1
	s_wait_alu 0xfffe
	s_or_b32 exec_lo, exec_lo, s0
	s_delay_alu instid0(VALU_DEP_1)
	v_mov_b32_dpp v4, v2 row_shr:1 row_mask:0xf bank_mask:0xf
	v_cmp_eq_u32_e64 s0, 0, v63
	v_cmp_lt_u32_e64 s1, 1, v63
	v_cmp_lt_u32_e64 s9, 3, v63
	;; [unrolled: 1-line block ×3, first 2 shown]
	v_cmp_eq_u32_e64 s11, 0, v65
	s_wait_alu 0xf1ff
	v_cndmask_b32_e64 v4, v4, 0, s0
	s_delay_alu instid0(VALU_DEP_1) | instskip(NEXT) | instid1(VALU_DEP_1)
	v_add_nc_u32_e32 v2, v4, v2
	v_mov_b32_dpp v4, v2 row_shr:2 row_mask:0xf bank_mask:0xf
	s_delay_alu instid0(VALU_DEP_1) | instskip(NEXT) | instid1(VALU_DEP_1)
	v_cndmask_b32_e64 v4, 0, v4, s1
	v_add_nc_u32_e32 v2, v2, v4
	s_delay_alu instid0(VALU_DEP_1) | instskip(NEXT) | instid1(VALU_DEP_1)
	v_mov_b32_dpp v4, v2 row_shr:4 row_mask:0xf bank_mask:0xf
	v_cndmask_b32_e64 v4, 0, v4, s9
	s_delay_alu instid0(VALU_DEP_1) | instskip(NEXT) | instid1(VALU_DEP_1)
	v_add_nc_u32_e32 v2, v2, v4
	v_mov_b32_dpp v4, v2 row_shr:8 row_mask:0xf bank_mask:0xf
	s_delay_alu instid0(VALU_DEP_1) | instskip(NEXT) | instid1(VALU_DEP_1)
	v_cndmask_b32_e64 v4, 0, v4, s10
	v_add_nc_u32_e32 v2, v2, v4
	ds_swizzle_b32 v4, v2 offset:swizzle(BROADCAST,32,15)
	s_wait_dscnt 0x0
	v_and_b32_e32 v4, v64, v4
	s_delay_alu instid0(VALU_DEP_1)
	v_add_nc_u32_e32 v2, v2, v4
	s_and_saveexec_b32 s12, s3
; %bb.219:                              ;   in Loop: Header=BB2055_12 Depth=1
	ds_store_b32 v41, v2
; %bb.220:                              ;   in Loop: Header=BB2055_12 Depth=1
	s_wait_alu 0xfffe
	s_or_b32 exec_lo, exec_lo, s12
	s_wait_loadcnt_dscnt 0x0
	s_barrier_signal -1
	s_barrier_wait -1
	global_inv scope:SCOPE_SE
	s_and_saveexec_b32 s12, s4
	s_cbranch_execz .LBB2055_222
; %bb.221:                              ;   in Loop: Header=BB2055_12 Depth=1
	ds_load_b32 v4, v42
	v_cmp_ne_u32_e32 vcc_lo, 0, v67
	s_wait_dscnt 0x0
	v_mov_b32_dpp v5, v4 row_shr:1 row_mask:0xf bank_mask:0xf
	s_wait_alu 0xfffd
	s_delay_alu instid0(VALU_DEP_1) | instskip(SKIP_1) | instid1(VALU_DEP_2)
	v_cndmask_b32_e32 v5, 0, v5, vcc_lo
	v_cmp_lt_u32_e32 vcc_lo, 1, v67
	v_add_nc_u32_e32 v4, v5, v4
	s_delay_alu instid0(VALU_DEP_1) | instskip(SKIP_1) | instid1(VALU_DEP_1)
	v_mov_b32_dpp v5, v4 row_shr:2 row_mask:0xf bank_mask:0xf
	s_wait_alu 0xfffd
	v_cndmask_b32_e32 v5, 0, v5, vcc_lo
	v_cmp_lt_u32_e32 vcc_lo, 3, v67
	s_delay_alu instid0(VALU_DEP_2) | instskip(NEXT) | instid1(VALU_DEP_1)
	v_add_nc_u32_e32 v4, v4, v5
	v_mov_b32_dpp v5, v4 row_shr:4 row_mask:0xf bank_mask:0xf
	s_wait_alu 0xfffd
	s_delay_alu instid0(VALU_DEP_1) | instskip(NEXT) | instid1(VALU_DEP_1)
	v_cndmask_b32_e32 v5, 0, v5, vcc_lo
	v_add_nc_u32_e32 v4, v4, v5
	ds_store_b32 v42, v4
.LBB2055_222:                           ;   in Loop: Header=BB2055_12 Depth=1
	s_wait_alu 0xfffe
	s_or_b32 exec_lo, exec_lo, s12
	v_mov_b32_e32 v4, 0
	s_wait_loadcnt_dscnt 0x0
	s_barrier_signal -1
	s_barrier_wait -1
	global_inv scope:SCOPE_SE
	s_and_saveexec_b32 s12, s5
; %bb.223:                              ;   in Loop: Header=BB2055_12 Depth=1
	ds_load_b32 v4, v44
; %bb.224:                              ;   in Loop: Header=BB2055_12 Depth=1
	s_wait_alu 0xfffe
	s_or_b32 exec_lo, exec_lo, s12
	v_cmp_gt_i32_e32 vcc_lo, 0, v68
	s_wait_dscnt 0x0
	v_add_nc_u32_e32 v2, v4, v2
	s_wait_loadcnt 0x0
	s_barrier_signal -1
	s_barrier_wait -1
	s_wait_alu 0xfffd
	v_cndmask_b32_e32 v5, v68, v59, vcc_lo
	global_inv scope:SCOPE_SE
	v_lshlrev_b32_e32 v87, 2, v5
	ds_bpermute_b32 v2, v87, v2
	s_and_saveexec_b32 s12, s2
	s_cbranch_execz .LBB2055_226
; %bb.225:                              ;   in Loop: Header=BB2055_12 Depth=1
	s_wait_dscnt 0x0
	v_cndmask_b32_e64 v2, v2, v4, s8
	s_delay_alu instid0(VALU_DEP_1)
	v_add_nc_u32_e32 v2, s33, v2
	ds_store_b32 v28, v2
.LBB2055_226:                           ;   in Loop: Header=BB2055_12 Depth=1
	s_wait_alu 0xfffe
	s_or_b32 exec_lo, exec_lo, s12
	s_load_b64 s[12:13], s[28:29], 0x0
	v_add_co_u32 v88, vcc_lo, v51, v69
	s_wait_alu 0xfffd
	v_add_co_ci_u32_e64 v89, null, 0, v52, vcc_lo
	v_add_co_u32 v90, vcc_lo, v53, v77
	s_wait_alu 0xfffd
	v_add_co_ci_u32_e64 v91, null, 0, v54, vcc_lo
	s_mov_b32 s43, s47
                                        ; implicit-def: $vgpr6_vgpr7
                                        ; implicit-def: $vgpr8_vgpr9
                                        ; implicit-def: $vgpr10_vgpr11
                                        ; implicit-def: $vgpr12_vgpr13
                                        ; implicit-def: $vgpr14_vgpr15
                                        ; implicit-def: $vgpr16_vgpr17
                                        ; implicit-def: $vgpr18_vgpr19
                                        ; implicit-def: $vgpr93
                                        ; implicit-def: $vgpr94
                                        ; implicit-def: $vgpr95
                                        ; implicit-def: $vgpr96
                                        ; implicit-def: $vgpr97
                                        ; implicit-def: $vgpr98
                                        ; implicit-def: $vgpr99
                                        ; implicit-def: $vgpr100
	s_wait_kmcnt 0x0
	s_cmp_lt_u32 ttmp7, s13
	s_cselect_b32 s30, 14, 20
	s_cmp_lt_u32 ttmp9, s12
	s_wait_alu 0xfffe
	s_add_nc_u64 s[14:15], s[28:29], s[30:31]
	s_cselect_b32 s30, 12, 18
	s_load_u16 s14, s[14:15], 0x0
	s_add_nc_u64 s[12:13], s[28:29], s[30:31]
	s_mov_b32 s30, s33
	s_load_u16 s12, s[12:13], 0x0
	v_cmp_lt_u32_e64 s13, 1, v67
	s_wait_dscnt 0x0
	s_wait_kmcnt 0x0
	v_mad_u32_u24 v2, v45, s14, v0
	v_cmp_lt_u32_e64 s14, 3, v67
	s_delay_alu instid0(VALU_DEP_2) | instskip(SKIP_1) | instid1(VALU_DEP_2)
	v_mad_co_u64_u32 v[4:5], null, v2, s12, v[1:2]
	v_cmp_eq_u32_e64 s12, 0, v67
	v_lshrrev_b32_e32 v2, 3, v4
                                        ; implicit-def: $vgpr4_vgpr5
	s_delay_alu instid0(VALU_DEP_1)
	v_and_b32_e32 v92, 0x1ffffffc, v2
	s_branch .LBB2055_228
.LBB2055_227:                           ;   in Loop: Header=BB2055_228 Depth=2
	s_wait_alu 0xfffe
	s_or_b32 exec_lo, exec_lo, s15
	s_addk_co_i32 s43, 0xf800
	s_cmp_lt_u32 s44, s34
	s_mov_b32 s30, s44
	s_cbranch_scc0 .LBB2055_340
.LBB2055_228:                           ;   Parent Loop BB2055_12 Depth=1
                                        ; =>  This Inner Loop Header: Depth=2
	s_wait_alu 0xfffe
	s_add_co_i32 s44, s30, 0x800
	s_wait_alu 0xfffe
	s_cmp_gt_u32 s44, s34
	s_cbranch_scc1 .LBB2055_230
; %bb.229:                              ;   in Loop: Header=BB2055_228 Depth=2
	s_lshl_b64 s[16:17], s[30:31], 1
	s_mov_b32 s15, -1
	s_wait_alu 0xfffe
	v_add_co_u32 v20, vcc_lo, v90, s16
	s_wait_alu 0xfffd
	v_add_co_ci_u32_e64 v21, null, s17, v91, vcc_lo
	s_clause 0x6
	global_load_u16 v2, v[20:21], off
	global_load_u16 v27, v[20:21], off offset:64
	global_load_u16 v26, v[20:21], off offset:128
	;; [unrolled: 1-line block ×6, first 2 shown]
	s_movk_i32 s16, 0x800
	s_cbranch_execz .LBB2055_231
	s_branch .LBB2055_246
.LBB2055_230:                           ;   in Loop: Header=BB2055_228 Depth=2
	s_mov_b32 s15, 0
                                        ; implicit-def: $vgpr2
                                        ; implicit-def: $vgpr27
                                        ; implicit-def: $vgpr26
                                        ; implicit-def: $vgpr25
                                        ; implicit-def: $vgpr24
                                        ; implicit-def: $vgpr23
                                        ; implicit-def: $vgpr22
	s_movk_i32 s16, 0x800
.LBB2055_231:                           ;   in Loop: Header=BB2055_228 Depth=2
	s_lshl_b64 s[16:17], s[30:31], 1
	s_wait_loadcnt 0x5
	v_dual_mov_b32 v27, 0x7fff :: v_dual_mov_b32 v2, 0x7fff
	s_wait_alu 0xfffe
	v_add_co_u32 v20, vcc_lo, v90, s16
	s_wait_alu 0xfffd
	v_add_co_ci_u32_e64 v21, null, s17, v91, vcc_lo
	s_mov_b32 s15, exec_lo
	v_cmpx_gt_u32_e64 s43, v66
	s_cbranch_execz .LBB2055_233
; %bb.232:                              ;   in Loop: Header=BB2055_228 Depth=2
	global_load_u16 v2, v[20:21], off
.LBB2055_233:                           ;   in Loop: Header=BB2055_228 Depth=2
	s_wait_alu 0xfffe
	s_or_b32 exec_lo, exec_lo, s15
	s_delay_alu instid0(SALU_CYCLE_1)
	s_mov_b32 s15, exec_lo
	v_cmpx_gt_u32_e64 s43, v70
	s_cbranch_execz .LBB2055_235
; %bb.234:                              ;   in Loop: Header=BB2055_228 Depth=2
	global_load_u16 v27, v[20:21], off offset:64
.LBB2055_235:                           ;   in Loop: Header=BB2055_228 Depth=2
	s_wait_alu 0xfffe
	s_or_b32 exec_lo, exec_lo, s15
	s_wait_loadcnt 0x3
	v_dual_mov_b32 v25, 0x7fff :: v_dual_mov_b32 v26, 0x7fff
	s_mov_b32 s15, exec_lo
	v_cmpx_gt_u32_e64 s43, v71
	s_cbranch_execz .LBB2055_237
; %bb.236:                              ;   in Loop: Header=BB2055_228 Depth=2
	global_load_u16 v26, v[20:21], off offset:128
.LBB2055_237:                           ;   in Loop: Header=BB2055_228 Depth=2
	s_wait_alu 0xfffe
	s_or_b32 exec_lo, exec_lo, s15
	s_delay_alu instid0(SALU_CYCLE_1)
	s_mov_b32 s15, exec_lo
	v_cmpx_gt_u32_e64 s43, v72
	s_cbranch_execz .LBB2055_239
; %bb.238:                              ;   in Loop: Header=BB2055_228 Depth=2
	global_load_u16 v25, v[20:21], off offset:192
.LBB2055_239:                           ;   in Loop: Header=BB2055_228 Depth=2
	s_wait_alu 0xfffe
	s_or_b32 exec_lo, exec_lo, s15
	s_wait_loadcnt 0x1
	v_dual_mov_b32 v23, 0x7fff :: v_dual_mov_b32 v24, 0x7fff
	s_mov_b32 s15, exec_lo
	v_cmpx_gt_u32_e64 s43, v73
	s_cbranch_execz .LBB2055_241
; %bb.240:                              ;   in Loop: Header=BB2055_228 Depth=2
	global_load_u16 v24, v[20:21], off offset:256
.LBB2055_241:                           ;   in Loop: Header=BB2055_228 Depth=2
	s_wait_alu 0xfffe
	s_or_b32 exec_lo, exec_lo, s15
	s_delay_alu instid0(SALU_CYCLE_1)
	s_mov_b32 s15, exec_lo
	v_cmpx_gt_u32_e64 s43, v74
	s_cbranch_execz .LBB2055_243
; %bb.242:                              ;   in Loop: Header=BB2055_228 Depth=2
	global_load_u16 v23, v[20:21], off offset:320
.LBB2055_243:                           ;   in Loop: Header=BB2055_228 Depth=2
	s_wait_alu 0xfffe
	s_or_b32 exec_lo, exec_lo, s15
	s_wait_loadcnt 0x0
	v_mov_b32_e32 v22, 0x7fff
	s_mov_b32 s15, exec_lo
	v_cmpx_gt_u32_e64 s43, v75
	s_cbranch_execz .LBB2055_245
; %bb.244:                              ;   in Loop: Header=BB2055_228 Depth=2
	global_load_u16 v22, v[20:21], off offset:384
.LBB2055_245:                           ;   in Loop: Header=BB2055_228 Depth=2
	s_wait_alu 0xfffe
	s_or_b32 exec_lo, exec_lo, s15
	v_cmp_gt_u32_e64 s15, s43, v76
	s_sub_co_i32 s16, s34, s30
.LBB2055_246:                           ;   in Loop: Header=BB2055_228 Depth=2
	v_dual_mov_b32 v20, 0x7fff :: v_dual_mov_b32 v101, s43
	s_and_saveexec_b32 s17, s15
	s_cbranch_execz .LBB2055_248
; %bb.247:                              ;   in Loop: Header=BB2055_228 Depth=2
	s_lshl_b64 s[18:19], s[30:31], 1
	s_wait_alu 0xfffe
	v_mov_b32_e32 v101, s16
	v_add_co_u32 v20, vcc_lo, v90, s18
	s_wait_alu 0xfffd
	v_add_co_ci_u32_e64 v21, null, s19, v91, vcc_lo
	global_load_u16 v20, v[20:21], off offset:448
.LBB2055_248:                           ;   in Loop: Header=BB2055_228 Depth=2
	s_wait_alu 0xfffe
	s_or_b32 exec_lo, exec_lo, s17
	s_wait_loadcnt 0x6
	v_cmp_lt_i16_e32 vcc_lo, -1, v2
	ds_store_2addr_b32 v81, v3, v3 offset1:1
	ds_store_2addr_b32 v78, v3, v3 offset1:1
	;; [unrolled: 1-line block ×4, first 2 shown]
	ds_store_b32 v43, v3 offset:1088
	s_wait_loadcnt_dscnt 0x0
	s_barrier_signal -1
	s_wait_alu 0xfffd
	v_cndmask_b32_e64 v21, -1, 0xffff8000, vcc_lo
	s_barrier_wait -1
	global_inv scope:SCOPE_SE
	; wave barrier
	v_xor_b32_e32 v2, v21, v2
	s_delay_alu instid0(VALU_DEP_1) | instskip(SKIP_2) | instid1(VALU_DEP_1)
	v_cmp_ne_u16_e32 vcc_lo, 0x7fff, v2
	s_wait_alu 0xfffd
	v_cndmask_b32_e32 v21, 0xffff8000, v2, vcc_lo
	v_and_b32_e32 v21, 0xffff, v21
	s_delay_alu instid0(VALU_DEP_1) | instskip(NEXT) | instid1(VALU_DEP_1)
	v_lshrrev_b32_e32 v21, s23, v21
	v_and_b32_e32 v103, s42, v21
	s_delay_alu instid0(VALU_DEP_1)
	v_and_b32_e32 v21, 1, v103
	v_lshlrev_b32_e32 v102, 30, v103
	v_lshlrev_b32_e32 v104, 29, v103
	;; [unrolled: 1-line block ×4, first 2 shown]
	v_add_co_u32 v21, s15, v21, -1
	s_wait_alu 0xf1ff
	v_cndmask_b32_e64 v106, 0, 1, s15
	v_not_b32_e32 v110, v102
	v_cmp_gt_i32_e64 s15, 0, v102
	v_not_b32_e32 v102, v104
	v_lshlrev_b32_e32 v108, 26, v103
	v_cmp_ne_u32_e32 vcc_lo, 0, v106
	v_ashrrev_i32_e32 v110, 31, v110
	v_lshlrev_b32_e32 v109, 25, v103
	v_ashrrev_i32_e32 v102, 31, v102
	v_lshlrev_b32_e32 v106, 24, v103
	s_wait_alu 0xfffd
	v_xor_b32_e32 v21, vcc_lo, v21
	v_cmp_gt_i32_e32 vcc_lo, 0, v104
	v_not_b32_e32 v104, v105
	s_wait_alu 0xf1ff
	v_xor_b32_e32 v110, s15, v110
	v_cmp_gt_i32_e64 s15, 0, v105
	v_and_b32_e32 v21, exec_lo, v21
	v_not_b32_e32 v105, v107
	v_ashrrev_i32_e32 v104, 31, v104
	s_wait_alu 0xfffd
	v_xor_b32_e32 v102, vcc_lo, v102
	v_cmp_gt_i32_e32 vcc_lo, 0, v107
	v_and_b32_e32 v21, v21, v110
	v_not_b32_e32 v107, v108
	v_ashrrev_i32_e32 v105, 31, v105
	s_wait_alu 0xf1ff
	v_xor_b32_e32 v104, s15, v104
	v_cmp_gt_i32_e64 s15, 0, v108
	v_and_b32_e32 v21, v21, v102
	v_not_b32_e32 v102, v109
	v_ashrrev_i32_e32 v107, 31, v107
	s_wait_alu 0xfffd
	v_xor_b32_e32 v105, vcc_lo, v105
	v_cmp_gt_i32_e32 vcc_lo, 0, v109
	v_and_b32_e32 v21, v21, v104
	v_not_b32_e32 v104, v106
	v_ashrrev_i32_e32 v102, 31, v102
	s_wait_alu 0xf1ff
	v_xor_b32_e32 v107, s15, v107
	v_cmp_gt_i32_e64 s15, 0, v106
	v_and_b32_e32 v21, v21, v105
	v_ashrrev_i32_e32 v104, 31, v104
	s_wait_alu 0xfffd
	v_xor_b32_e32 v102, vcc_lo, v102
	v_mul_u32_u24_e32 v103, 36, v103
	v_and_b32_e32 v21, v21, v107
	s_wait_alu 0xf1ff
	v_xor_b32_e32 v104, s15, v104
	s_delay_alu instid0(VALU_DEP_2) | instskip(NEXT) | instid1(VALU_DEP_1)
	v_and_b32_e32 v21, v21, v102
	v_and_b32_e32 v21, v21, v104
	v_add_nc_u32_e32 v104, v92, v103
	s_delay_alu instid0(VALU_DEP_2) | instskip(SKIP_1) | instid1(VALU_DEP_2)
	v_mbcnt_lo_u32_b32 v102, v21, 0
	v_cmp_ne_u32_e64 s15, 0, v21
	v_cmp_eq_u32_e32 vcc_lo, 0, v102
	s_and_b32 s16, s15, vcc_lo
	s_wait_alu 0xfffe
	s_and_saveexec_b32 s15, s16
; %bb.249:                              ;   in Loop: Header=BB2055_228 Depth=2
	v_bcnt_u32_b32 v21, v21, 0
	ds_store_b32 v104, v21 offset:1056
; %bb.250:                              ;   in Loop: Header=BB2055_228 Depth=2
	s_wait_alu 0xfffe
	s_or_b32 exec_lo, exec_lo, s15
	v_cmp_lt_i16_e32 vcc_lo, -1, v27
	; wave barrier
	s_wait_alu 0xfffd
	v_cndmask_b32_e64 v21, -1, 0xffff8000, vcc_lo
	s_delay_alu instid0(VALU_DEP_1) | instskip(NEXT) | instid1(VALU_DEP_1)
	v_xor_b32_e32 v103, v21, v27
	v_cmp_ne_u16_e32 vcc_lo, 0x7fff, v103
	s_wait_alu 0xfffd
	v_cndmask_b32_e32 v21, 0xffff8000, v103, vcc_lo
	s_delay_alu instid0(VALU_DEP_1) | instskip(NEXT) | instid1(VALU_DEP_1)
	v_and_b32_e32 v21, 0xffff, v21
	v_lshrrev_b32_e32 v21, s23, v21
	s_delay_alu instid0(VALU_DEP_1) | instskip(NEXT) | instid1(VALU_DEP_1)
	v_and_b32_e32 v27, s42, v21
	v_and_b32_e32 v21, 1, v27
	v_lshlrev_b32_e32 v105, 30, v27
	v_lshlrev_b32_e32 v106, 29, v27
	;; [unrolled: 1-line block ×4, first 2 shown]
	v_add_co_u32 v21, s15, v21, -1
	s_wait_alu 0xf1ff
	v_cndmask_b32_e64 v108, 0, 1, s15
	v_not_b32_e32 v112, v105
	v_cmp_gt_i32_e64 s15, 0, v105
	v_not_b32_e32 v105, v106
	v_lshlrev_b32_e32 v110, 26, v27
	v_cmp_ne_u32_e32 vcc_lo, 0, v108
	v_ashrrev_i32_e32 v112, 31, v112
	v_lshlrev_b32_e32 v111, 25, v27
	v_ashrrev_i32_e32 v105, 31, v105
	v_lshlrev_b32_e32 v108, 24, v27
	s_wait_alu 0xfffd
	v_xor_b32_e32 v21, vcc_lo, v21
	v_cmp_gt_i32_e32 vcc_lo, 0, v106
	v_not_b32_e32 v106, v107
	s_wait_alu 0xf1ff
	v_xor_b32_e32 v112, s15, v112
	v_cmp_gt_i32_e64 s15, 0, v107
	v_and_b32_e32 v21, exec_lo, v21
	v_not_b32_e32 v107, v109
	v_ashrrev_i32_e32 v106, 31, v106
	s_wait_alu 0xfffd
	v_xor_b32_e32 v105, vcc_lo, v105
	v_cmp_gt_i32_e32 vcc_lo, 0, v109
	v_and_b32_e32 v21, v21, v112
	v_not_b32_e32 v109, v110
	v_ashrrev_i32_e32 v107, 31, v107
	s_wait_alu 0xf1ff
	v_xor_b32_e32 v106, s15, v106
	v_cmp_gt_i32_e64 s15, 0, v110
	v_and_b32_e32 v21, v21, v105
	v_not_b32_e32 v105, v111
	v_ashrrev_i32_e32 v109, 31, v109
	s_wait_alu 0xfffd
	v_xor_b32_e32 v107, vcc_lo, v107
	v_cmp_gt_i32_e32 vcc_lo, 0, v111
	v_and_b32_e32 v21, v21, v106
	v_not_b32_e32 v106, v108
	v_ashrrev_i32_e32 v105, 31, v105
	s_wait_alu 0xf1ff
	v_xor_b32_e32 v109, s15, v109
	v_cmp_gt_i32_e64 s15, 0, v108
	v_and_b32_e32 v21, v21, v107
	v_ashrrev_i32_e32 v106, 31, v106
	s_wait_alu 0xfffd
	v_xor_b32_e32 v105, vcc_lo, v105
	v_mad_u32_u24 v107, v27, 36, v92
	v_mul_u32_u24_e32 v27, 36, v27
	v_and_b32_e32 v21, v21, v109
	s_wait_alu 0xf1ff
	v_xor_b32_e32 v106, s15, v106
	s_delay_alu instid0(VALU_DEP_3) | instskip(NEXT) | instid1(VALU_DEP_3)
	v_add_nc_u32_e32 v108, v92, v27
	v_and_b32_e32 v21, v21, v105
	ds_load_b32 v105, v107 offset:1056
	; wave barrier
	v_and_b32_e32 v21, v21, v106
	s_delay_alu instid0(VALU_DEP_1) | instskip(SKIP_1) | instid1(VALU_DEP_2)
	v_mbcnt_lo_u32_b32 v106, v21, 0
	v_cmp_ne_u32_e64 s15, 0, v21
	v_cmp_eq_u32_e32 vcc_lo, 0, v106
	s_and_b32 s16, s15, vcc_lo
	s_wait_alu 0xfffe
	s_and_saveexec_b32 s15, s16
	s_cbranch_execz .LBB2055_252
; %bb.251:                              ;   in Loop: Header=BB2055_228 Depth=2
	s_wait_dscnt 0x0
	v_bcnt_u32_b32 v21, v21, v105
	ds_store_b32 v108, v21 offset:1056
.LBB2055_252:                           ;   in Loop: Header=BB2055_228 Depth=2
	s_wait_alu 0xfffe
	s_or_b32 exec_lo, exec_lo, s15
	v_cmp_lt_i16_e32 vcc_lo, -1, v26
	; wave barrier
	s_wait_alu 0xfffd
	v_cndmask_b32_e64 v21, -1, 0xffff8000, vcc_lo
	s_delay_alu instid0(VALU_DEP_1) | instskip(NEXT) | instid1(VALU_DEP_1)
	v_xor_b32_e32 v107, v21, v26
	v_cmp_ne_u16_e32 vcc_lo, 0x7fff, v107
	s_wait_alu 0xfffd
	v_cndmask_b32_e32 v21, 0xffff8000, v107, vcc_lo
	s_delay_alu instid0(VALU_DEP_1) | instskip(NEXT) | instid1(VALU_DEP_1)
	v_and_b32_e32 v21, 0xffff, v21
	v_lshrrev_b32_e32 v21, s23, v21
	s_delay_alu instid0(VALU_DEP_1) | instskip(NEXT) | instid1(VALU_DEP_1)
	v_and_b32_e32 v26, s42, v21
	v_and_b32_e32 v21, 1, v26
	v_lshlrev_b32_e32 v27, 30, v26
	v_lshlrev_b32_e32 v109, 29, v26
	;; [unrolled: 1-line block ×4, first 2 shown]
	v_add_co_u32 v21, s15, v21, -1
	s_wait_alu 0xf1ff
	v_cndmask_b32_e64 v111, 0, 1, s15
	v_not_b32_e32 v115, v27
	v_cmp_gt_i32_e64 s15, 0, v27
	v_not_b32_e32 v27, v109
	v_lshlrev_b32_e32 v113, 26, v26
	v_cmp_ne_u32_e32 vcc_lo, 0, v111
	v_ashrrev_i32_e32 v115, 31, v115
	v_lshlrev_b32_e32 v114, 25, v26
	v_ashrrev_i32_e32 v27, 31, v27
	v_lshlrev_b32_e32 v111, 24, v26
	s_wait_alu 0xfffd
	v_xor_b32_e32 v21, vcc_lo, v21
	v_cmp_gt_i32_e32 vcc_lo, 0, v109
	v_not_b32_e32 v109, v110
	s_wait_alu 0xf1ff
	v_xor_b32_e32 v115, s15, v115
	v_cmp_gt_i32_e64 s15, 0, v110
	v_and_b32_e32 v21, exec_lo, v21
	v_not_b32_e32 v110, v112
	v_ashrrev_i32_e32 v109, 31, v109
	s_wait_alu 0xfffd
	v_xor_b32_e32 v27, vcc_lo, v27
	v_cmp_gt_i32_e32 vcc_lo, 0, v112
	v_and_b32_e32 v21, v21, v115
	v_not_b32_e32 v112, v113
	v_ashrrev_i32_e32 v110, 31, v110
	s_wait_alu 0xf1ff
	v_xor_b32_e32 v109, s15, v109
	v_cmp_gt_i32_e64 s15, 0, v113
	v_and_b32_e32 v21, v21, v27
	v_not_b32_e32 v27, v114
	v_ashrrev_i32_e32 v112, 31, v112
	s_wait_alu 0xfffd
	v_xor_b32_e32 v110, vcc_lo, v110
	v_cmp_gt_i32_e32 vcc_lo, 0, v114
	v_and_b32_e32 v21, v21, v109
	v_not_b32_e32 v109, v111
	v_ashrrev_i32_e32 v27, 31, v27
	s_wait_alu 0xf1ff
	v_xor_b32_e32 v112, s15, v112
	v_cmp_gt_i32_e64 s15, 0, v111
	v_and_b32_e32 v21, v21, v110
	v_ashrrev_i32_e32 v109, 31, v109
	s_wait_alu 0xfffd
	v_xor_b32_e32 v27, vcc_lo, v27
	v_mad_u32_u24 v110, v26, 36, v92
	v_mul_u32_u24_e32 v26, 36, v26
	v_and_b32_e32 v21, v21, v112
	s_wait_alu 0xf1ff
	v_xor_b32_e32 v111, s15, v109
	ds_load_b32 v109, v110 offset:1056
	v_add_nc_u32_e32 v112, v92, v26
	v_and_b32_e32 v21, v21, v27
	; wave barrier
	s_delay_alu instid0(VALU_DEP_1) | instskip(NEXT) | instid1(VALU_DEP_1)
	v_and_b32_e32 v21, v21, v111
	v_mbcnt_lo_u32_b32 v111, v21, 0
	v_cmp_ne_u32_e64 s15, 0, v21
	s_delay_alu instid0(VALU_DEP_2)
	v_cmp_eq_u32_e32 vcc_lo, 0, v111
	s_and_b32 s16, s15, vcc_lo
	s_wait_alu 0xfffe
	s_and_saveexec_b32 s15, s16
	s_cbranch_execz .LBB2055_254
; %bb.253:                              ;   in Loop: Header=BB2055_228 Depth=2
	s_wait_dscnt 0x0
	v_bcnt_u32_b32 v21, v21, v109
	ds_store_b32 v112, v21 offset:1056
.LBB2055_254:                           ;   in Loop: Header=BB2055_228 Depth=2
	s_wait_alu 0xfffe
	s_or_b32 exec_lo, exec_lo, s15
	v_cmp_lt_i16_e32 vcc_lo, -1, v25
	; wave barrier
	s_wait_alu 0xfffd
	v_cndmask_b32_e64 v21, -1, 0xffff8000, vcc_lo
	s_delay_alu instid0(VALU_DEP_1) | instskip(NEXT) | instid1(VALU_DEP_1)
	v_xor_b32_e32 v110, v21, v25
	v_cmp_ne_u16_e32 vcc_lo, 0x7fff, v110
	s_wait_alu 0xfffd
	v_cndmask_b32_e32 v21, 0xffff8000, v110, vcc_lo
	s_delay_alu instid0(VALU_DEP_1) | instskip(NEXT) | instid1(VALU_DEP_1)
	v_and_b32_e32 v21, 0xffff, v21
	v_lshrrev_b32_e32 v21, s23, v21
	s_delay_alu instid0(VALU_DEP_1) | instskip(NEXT) | instid1(VALU_DEP_1)
	v_and_b32_e32 v25, s42, v21
	v_and_b32_e32 v21, 1, v25
	v_lshlrev_b32_e32 v26, 30, v25
	v_lshlrev_b32_e32 v27, 29, v25
	v_lshlrev_b32_e32 v113, 28, v25
	v_lshlrev_b32_e32 v115, 27, v25
	v_add_co_u32 v21, s15, v21, -1
	s_wait_alu 0xf1ff
	v_cndmask_b32_e64 v114, 0, 1, s15
	v_not_b32_e32 v118, v26
	v_cmp_gt_i32_e64 s15, 0, v26
	v_not_b32_e32 v26, v27
	v_lshlrev_b32_e32 v116, 26, v25
	v_cmp_ne_u32_e32 vcc_lo, 0, v114
	v_ashrrev_i32_e32 v118, 31, v118
	v_lshlrev_b32_e32 v117, 25, v25
	v_ashrrev_i32_e32 v26, 31, v26
	v_lshlrev_b32_e32 v114, 24, v25
	s_wait_alu 0xfffd
	v_xor_b32_e32 v21, vcc_lo, v21
	v_cmp_gt_i32_e32 vcc_lo, 0, v27
	v_not_b32_e32 v27, v113
	s_wait_alu 0xf1ff
	v_xor_b32_e32 v118, s15, v118
	v_cmp_gt_i32_e64 s15, 0, v113
	v_and_b32_e32 v21, exec_lo, v21
	v_not_b32_e32 v113, v115
	v_ashrrev_i32_e32 v27, 31, v27
	s_wait_alu 0xfffd
	v_xor_b32_e32 v26, vcc_lo, v26
	v_cmp_gt_i32_e32 vcc_lo, 0, v115
	v_and_b32_e32 v21, v21, v118
	v_not_b32_e32 v115, v116
	v_ashrrev_i32_e32 v113, 31, v113
	s_wait_alu 0xf1ff
	v_xor_b32_e32 v27, s15, v27
	v_cmp_gt_i32_e64 s15, 0, v116
	v_and_b32_e32 v21, v21, v26
	v_not_b32_e32 v26, v117
	v_ashrrev_i32_e32 v115, 31, v115
	s_wait_alu 0xfffd
	v_xor_b32_e32 v113, vcc_lo, v113
	v_cmp_gt_i32_e32 vcc_lo, 0, v117
	v_and_b32_e32 v21, v21, v27
	v_not_b32_e32 v27, v114
	v_ashrrev_i32_e32 v26, 31, v26
	s_wait_alu 0xf1ff
	v_xor_b32_e32 v115, s15, v115
	v_cmp_gt_i32_e64 s15, 0, v114
	v_and_b32_e32 v21, v21, v113
	v_ashrrev_i32_e32 v27, 31, v27
	s_wait_alu 0xfffd
	v_xor_b32_e32 v26, vcc_lo, v26
	v_mad_u32_u24 v113, v25, 36, v92
	v_mul_u32_u24_e32 v25, 36, v25
	v_and_b32_e32 v21, v21, v115
	s_wait_alu 0xf1ff
	v_xor_b32_e32 v27, s15, v27
	ds_load_b32 v113, v113 offset:1056
	v_add_nc_u32_e32 v116, v92, v25
	v_and_b32_e32 v21, v21, v26
	; wave barrier
	s_delay_alu instid0(VALU_DEP_1) | instskip(NEXT) | instid1(VALU_DEP_1)
	v_and_b32_e32 v21, v21, v27
	v_mbcnt_lo_u32_b32 v115, v21, 0
	v_cmp_ne_u32_e64 s15, 0, v21
	s_delay_alu instid0(VALU_DEP_2)
	v_cmp_eq_u32_e32 vcc_lo, 0, v115
	s_and_b32 s16, s15, vcc_lo
	s_wait_alu 0xfffe
	s_and_saveexec_b32 s15, s16
	s_cbranch_execz .LBB2055_256
; %bb.255:                              ;   in Loop: Header=BB2055_228 Depth=2
	s_wait_dscnt 0x0
	v_bcnt_u32_b32 v21, v21, v113
	ds_store_b32 v116, v21 offset:1056
.LBB2055_256:                           ;   in Loop: Header=BB2055_228 Depth=2
	s_wait_alu 0xfffe
	s_or_b32 exec_lo, exec_lo, s15
	v_cmp_lt_i16_e32 vcc_lo, -1, v24
	; wave barrier
	s_wait_alu 0xfffd
	v_cndmask_b32_e64 v21, -1, 0xffff8000, vcc_lo
	s_delay_alu instid0(VALU_DEP_1) | instskip(NEXT) | instid1(VALU_DEP_1)
	v_xor_b32_e32 v114, v21, v24
	v_cmp_ne_u16_e32 vcc_lo, 0x7fff, v114
	s_wait_alu 0xfffd
	v_cndmask_b32_e32 v21, 0xffff8000, v114, vcc_lo
	s_delay_alu instid0(VALU_DEP_1) | instskip(NEXT) | instid1(VALU_DEP_1)
	v_and_b32_e32 v21, 0xffff, v21
	v_lshrrev_b32_e32 v21, s23, v21
	s_delay_alu instid0(VALU_DEP_1) | instskip(NEXT) | instid1(VALU_DEP_1)
	v_and_b32_e32 v24, s42, v21
	v_and_b32_e32 v21, 1, v24
	v_lshlrev_b32_e32 v25, 30, v24
	v_lshlrev_b32_e32 v26, 29, v24
	;; [unrolled: 1-line block ×4, first 2 shown]
	v_add_co_u32 v21, s15, v21, -1
	s_wait_alu 0xf1ff
	v_cndmask_b32_e64 v117, 0, 1, s15
	v_not_b32_e32 v121, v25
	v_cmp_gt_i32_e64 s15, 0, v25
	v_not_b32_e32 v25, v26
	v_lshlrev_b32_e32 v119, 26, v24
	v_cmp_ne_u32_e32 vcc_lo, 0, v117
	v_ashrrev_i32_e32 v121, 31, v121
	v_lshlrev_b32_e32 v120, 25, v24
	v_ashrrev_i32_e32 v25, 31, v25
	v_lshlrev_b32_e32 v117, 24, v24
	s_wait_alu 0xfffd
	v_xor_b32_e32 v21, vcc_lo, v21
	v_cmp_gt_i32_e32 vcc_lo, 0, v26
	v_not_b32_e32 v26, v27
	s_wait_alu 0xf1ff
	v_xor_b32_e32 v121, s15, v121
	v_cmp_gt_i32_e64 s15, 0, v27
	v_and_b32_e32 v21, exec_lo, v21
	v_not_b32_e32 v27, v118
	v_ashrrev_i32_e32 v26, 31, v26
	s_wait_alu 0xfffd
	v_xor_b32_e32 v25, vcc_lo, v25
	v_cmp_gt_i32_e32 vcc_lo, 0, v118
	v_and_b32_e32 v21, v21, v121
	v_not_b32_e32 v118, v119
	v_ashrrev_i32_e32 v27, 31, v27
	s_wait_alu 0xf1ff
	v_xor_b32_e32 v26, s15, v26
	v_cmp_gt_i32_e64 s15, 0, v119
	v_and_b32_e32 v21, v21, v25
	v_not_b32_e32 v25, v120
	v_ashrrev_i32_e32 v118, 31, v118
	s_wait_alu 0xfffd
	v_xor_b32_e32 v27, vcc_lo, v27
	v_cmp_gt_i32_e32 vcc_lo, 0, v120
	v_and_b32_e32 v21, v21, v26
	v_not_b32_e32 v26, v117
	v_ashrrev_i32_e32 v25, 31, v25
	s_wait_alu 0xf1ff
	v_xor_b32_e32 v118, s15, v118
	v_cmp_gt_i32_e64 s15, 0, v117
	v_and_b32_e32 v21, v21, v27
	v_ashrrev_i32_e32 v26, 31, v26
	s_wait_alu 0xfffd
	v_xor_b32_e32 v25, vcc_lo, v25
	v_mad_u32_u24 v27, v24, 36, v92
	v_mul_u32_u24_e32 v24, 36, v24
	v_and_b32_e32 v21, v21, v118
	s_wait_alu 0xf1ff
	v_xor_b32_e32 v26, s15, v26
	ds_load_b32 v117, v27 offset:1056
	v_add_nc_u32_e32 v120, v92, v24
	v_and_b32_e32 v21, v21, v25
	; wave barrier
	s_delay_alu instid0(VALU_DEP_1) | instskip(NEXT) | instid1(VALU_DEP_1)
	v_and_b32_e32 v21, v21, v26
	v_mbcnt_lo_u32_b32 v119, v21, 0
	v_cmp_ne_u32_e64 s15, 0, v21
	s_delay_alu instid0(VALU_DEP_2)
	v_cmp_eq_u32_e32 vcc_lo, 0, v119
	s_and_b32 s16, s15, vcc_lo
	s_wait_alu 0xfffe
	s_and_saveexec_b32 s15, s16
	s_cbranch_execz .LBB2055_258
; %bb.257:                              ;   in Loop: Header=BB2055_228 Depth=2
	s_wait_dscnt 0x0
	v_bcnt_u32_b32 v21, v21, v117
	ds_store_b32 v120, v21 offset:1056
.LBB2055_258:                           ;   in Loop: Header=BB2055_228 Depth=2
	s_wait_alu 0xfffe
	s_or_b32 exec_lo, exec_lo, s15
	v_cmp_lt_i16_e32 vcc_lo, -1, v23
	; wave barrier
	s_wait_alu 0xfffd
	v_cndmask_b32_e64 v21, -1, 0xffff8000, vcc_lo
	s_delay_alu instid0(VALU_DEP_1) | instskip(NEXT) | instid1(VALU_DEP_1)
	v_xor_b32_e32 v118, v21, v23
	v_cmp_ne_u16_e32 vcc_lo, 0x7fff, v118
	s_wait_alu 0xfffd
	v_cndmask_b32_e32 v21, 0xffff8000, v118, vcc_lo
	s_delay_alu instid0(VALU_DEP_1) | instskip(NEXT) | instid1(VALU_DEP_1)
	v_and_b32_e32 v21, 0xffff, v21
	v_lshrrev_b32_e32 v21, s23, v21
	s_delay_alu instid0(VALU_DEP_1) | instskip(NEXT) | instid1(VALU_DEP_1)
	v_and_b32_e32 v23, s42, v21
	v_and_b32_e32 v21, 1, v23
	v_lshlrev_b32_e32 v24, 30, v23
	v_lshlrev_b32_e32 v25, 29, v23
	;; [unrolled: 1-line block ×4, first 2 shown]
	v_add_co_u32 v21, s15, v21, -1
	s_wait_alu 0xf1ff
	v_cndmask_b32_e64 v27, 0, 1, s15
	v_not_b32_e32 v124, v24
	v_cmp_gt_i32_e64 s15, 0, v24
	v_not_b32_e32 v24, v25
	v_lshlrev_b32_e32 v122, 26, v23
	v_cmp_ne_u32_e32 vcc_lo, 0, v27
	v_ashrrev_i32_e32 v124, 31, v124
	v_lshlrev_b32_e32 v123, 25, v23
	v_ashrrev_i32_e32 v24, 31, v24
	v_lshlrev_b32_e32 v27, 24, v23
	s_wait_alu 0xfffd
	v_xor_b32_e32 v21, vcc_lo, v21
	v_cmp_gt_i32_e32 vcc_lo, 0, v25
	v_not_b32_e32 v25, v26
	s_wait_alu 0xf1ff
	v_xor_b32_e32 v124, s15, v124
	v_cmp_gt_i32_e64 s15, 0, v26
	v_and_b32_e32 v21, exec_lo, v21
	v_not_b32_e32 v26, v121
	v_ashrrev_i32_e32 v25, 31, v25
	s_wait_alu 0xfffd
	v_xor_b32_e32 v24, vcc_lo, v24
	v_cmp_gt_i32_e32 vcc_lo, 0, v121
	v_and_b32_e32 v21, v21, v124
	v_not_b32_e32 v121, v122
	v_ashrrev_i32_e32 v26, 31, v26
	s_wait_alu 0xf1ff
	v_xor_b32_e32 v25, s15, v25
	v_cmp_gt_i32_e64 s15, 0, v122
	v_and_b32_e32 v21, v21, v24
	v_not_b32_e32 v24, v123
	v_ashrrev_i32_e32 v121, 31, v121
	s_wait_alu 0xfffd
	v_xor_b32_e32 v26, vcc_lo, v26
	v_cmp_gt_i32_e32 vcc_lo, 0, v123
	v_and_b32_e32 v21, v21, v25
	v_not_b32_e32 v25, v27
	v_ashrrev_i32_e32 v24, 31, v24
	s_wait_alu 0xf1ff
	v_xor_b32_e32 v121, s15, v121
	v_cmp_gt_i32_e64 s15, 0, v27
	v_and_b32_e32 v21, v21, v26
	v_ashrrev_i32_e32 v25, 31, v25
	s_wait_alu 0xfffd
	v_xor_b32_e32 v24, vcc_lo, v24
	v_mad_u32_u24 v26, v23, 36, v92
	v_mul_u32_u24_e32 v23, 36, v23
	v_and_b32_e32 v21, v21, v121
	s_wait_alu 0xf1ff
	v_xor_b32_e32 v25, s15, v25
	ds_load_b32 v121, v26 offset:1056
	v_add_nc_u32_e32 v124, v92, v23
	v_and_b32_e32 v21, v21, v24
	; wave barrier
	s_delay_alu instid0(VALU_DEP_1) | instskip(NEXT) | instid1(VALU_DEP_1)
	v_and_b32_e32 v21, v21, v25
	v_mbcnt_lo_u32_b32 v123, v21, 0
	v_cmp_ne_u32_e64 s15, 0, v21
	s_delay_alu instid0(VALU_DEP_2)
	v_cmp_eq_u32_e32 vcc_lo, 0, v123
	s_and_b32 s16, s15, vcc_lo
	s_wait_alu 0xfffe
	s_and_saveexec_b32 s15, s16
	s_cbranch_execz .LBB2055_260
; %bb.259:                              ;   in Loop: Header=BB2055_228 Depth=2
	s_wait_dscnt 0x0
	v_bcnt_u32_b32 v21, v21, v121
	ds_store_b32 v124, v21 offset:1056
.LBB2055_260:                           ;   in Loop: Header=BB2055_228 Depth=2
	s_wait_alu 0xfffe
	s_or_b32 exec_lo, exec_lo, s15
	v_cmp_lt_i16_e32 vcc_lo, -1, v22
	; wave barrier
	s_wait_alu 0xfffd
	v_cndmask_b32_e64 v21, -1, 0xffff8000, vcc_lo
	s_delay_alu instid0(VALU_DEP_1) | instskip(NEXT) | instid1(VALU_DEP_1)
	v_xor_b32_e32 v122, v21, v22
	v_cmp_ne_u16_e32 vcc_lo, 0x7fff, v122
	s_wait_alu 0xfffd
	v_cndmask_b32_e32 v21, 0xffff8000, v122, vcc_lo
	s_delay_alu instid0(VALU_DEP_1) | instskip(NEXT) | instid1(VALU_DEP_1)
	v_and_b32_e32 v21, 0xffff, v21
	v_lshrrev_b32_e32 v21, s23, v21
	s_delay_alu instid0(VALU_DEP_1) | instskip(NEXT) | instid1(VALU_DEP_1)
	v_and_b32_e32 v22, s42, v21
	v_and_b32_e32 v21, 1, v22
	v_lshlrev_b32_e32 v23, 30, v22
	v_lshlrev_b32_e32 v24, 29, v22
	;; [unrolled: 1-line block ×4, first 2 shown]
	v_add_co_u32 v21, s15, v21, -1
	s_wait_alu 0xf1ff
	v_cndmask_b32_e64 v26, 0, 1, s15
	v_not_b32_e32 v127, v23
	v_cmp_gt_i32_e64 s15, 0, v23
	v_not_b32_e32 v23, v24
	v_lshlrev_b32_e32 v125, 26, v22
	v_cmp_ne_u32_e32 vcc_lo, 0, v26
	v_ashrrev_i32_e32 v127, 31, v127
	v_lshlrev_b32_e32 v126, 25, v22
	v_ashrrev_i32_e32 v23, 31, v23
	v_lshlrev_b32_e32 v26, 24, v22
	s_wait_alu 0xfffd
	v_xor_b32_e32 v21, vcc_lo, v21
	v_cmp_gt_i32_e32 vcc_lo, 0, v24
	v_not_b32_e32 v24, v25
	s_wait_alu 0xf1ff
	v_xor_b32_e32 v127, s15, v127
	v_cmp_gt_i32_e64 s15, 0, v25
	v_and_b32_e32 v21, exec_lo, v21
	v_not_b32_e32 v25, v27
	v_ashrrev_i32_e32 v24, 31, v24
	s_wait_alu 0xfffd
	v_xor_b32_e32 v23, vcc_lo, v23
	v_cmp_gt_i32_e32 vcc_lo, 0, v27
	v_and_b32_e32 v21, v21, v127
	v_not_b32_e32 v27, v125
	v_ashrrev_i32_e32 v25, 31, v25
	s_wait_alu 0xf1ff
	v_xor_b32_e32 v24, s15, v24
	v_cmp_gt_i32_e64 s15, 0, v125
	v_and_b32_e32 v21, v21, v23
	v_not_b32_e32 v23, v126
	v_ashrrev_i32_e32 v27, 31, v27
	s_wait_alu 0xfffd
	v_xor_b32_e32 v25, vcc_lo, v25
	v_cmp_gt_i32_e32 vcc_lo, 0, v126
	v_and_b32_e32 v21, v21, v24
	v_not_b32_e32 v24, v26
	v_ashrrev_i32_e32 v23, 31, v23
	s_wait_alu 0xf1ff
	v_xor_b32_e32 v27, s15, v27
	v_cmp_gt_i32_e64 s15, 0, v26
	v_and_b32_e32 v21, v21, v25
	v_ashrrev_i32_e32 v24, 31, v24
	s_wait_alu 0xfffd
	v_xor_b32_e32 v23, vcc_lo, v23
	v_mad_u32_u24 v25, v22, 36, v92
	v_mul_u32_u24_e32 v22, 36, v22
	v_and_b32_e32 v21, v21, v27
	s_wait_alu 0xf1ff
	v_xor_b32_e32 v24, s15, v24
	ds_load_b32 v125, v25 offset:1056
	v_add_nc_u32_e32 v128, v92, v22
	v_and_b32_e32 v21, v21, v23
	; wave barrier
	s_delay_alu instid0(VALU_DEP_1) | instskip(NEXT) | instid1(VALU_DEP_1)
	v_and_b32_e32 v21, v21, v24
	v_mbcnt_lo_u32_b32 v126, v21, 0
	v_cmp_ne_u32_e64 s15, 0, v21
	s_delay_alu instid0(VALU_DEP_2)
	v_cmp_eq_u32_e32 vcc_lo, 0, v126
	s_and_b32 s16, s15, vcc_lo
	s_wait_alu 0xfffe
	s_and_saveexec_b32 s15, s16
	s_cbranch_execz .LBB2055_262
; %bb.261:                              ;   in Loop: Header=BB2055_228 Depth=2
	s_wait_dscnt 0x0
	v_bcnt_u32_b32 v21, v21, v125
	ds_store_b32 v128, v21 offset:1056
.LBB2055_262:                           ;   in Loop: Header=BB2055_228 Depth=2
	s_wait_alu 0xfffe
	s_or_b32 exec_lo, exec_lo, s15
	v_cmp_lt_i16_e32 vcc_lo, -1, v20
	; wave barrier
	s_wait_alu 0xfffd
	v_cndmask_b32_e64 v21, -1, 0xffff8000, vcc_lo
	s_delay_alu instid0(VALU_DEP_1) | instskip(NEXT) | instid1(VALU_DEP_1)
	v_xor_b32_e32 v127, v21, v20
	v_cmp_ne_u16_e32 vcc_lo, 0x7fff, v127
	s_wait_alu 0xfffd
	v_cndmask_b32_e32 v20, 0xffff8000, v127, vcc_lo
	s_delay_alu instid0(VALU_DEP_1) | instskip(NEXT) | instid1(VALU_DEP_1)
	v_and_b32_e32 v20, 0xffff, v20
	v_lshrrev_b32_e32 v20, s23, v20
	s_delay_alu instid0(VALU_DEP_1) | instskip(NEXT) | instid1(VALU_DEP_1)
	v_and_b32_e32 v21, s42, v20
	v_and_b32_e32 v20, 1, v21
	v_lshlrev_b32_e32 v22, 30, v21
	v_lshlrev_b32_e32 v23, 29, v21
	;; [unrolled: 1-line block ×4, first 2 shown]
	v_add_co_u32 v20, s15, v20, -1
	s_wait_alu 0xf1ff
	v_cndmask_b32_e64 v25, 0, 1, s15
	v_not_b32_e32 v130, v22
	v_cmp_gt_i32_e64 s15, 0, v22
	v_not_b32_e32 v22, v23
	v_lshlrev_b32_e32 v27, 26, v21
	v_cmp_ne_u32_e32 vcc_lo, 0, v25
	v_ashrrev_i32_e32 v130, 31, v130
	v_lshlrev_b32_e32 v129, 25, v21
	v_ashrrev_i32_e32 v22, 31, v22
	v_lshlrev_b32_e32 v25, 24, v21
	s_wait_alu 0xfffd
	v_xor_b32_e32 v20, vcc_lo, v20
	v_cmp_gt_i32_e32 vcc_lo, 0, v23
	v_not_b32_e32 v23, v24
	s_wait_alu 0xf1ff
	v_xor_b32_e32 v130, s15, v130
	v_cmp_gt_i32_e64 s15, 0, v24
	v_and_b32_e32 v20, exec_lo, v20
	v_not_b32_e32 v24, v26
	v_ashrrev_i32_e32 v23, 31, v23
	s_wait_alu 0xfffd
	v_xor_b32_e32 v22, vcc_lo, v22
	v_cmp_gt_i32_e32 vcc_lo, 0, v26
	v_and_b32_e32 v20, v20, v130
	v_not_b32_e32 v26, v27
	v_ashrrev_i32_e32 v24, 31, v24
	s_wait_alu 0xf1ff
	v_xor_b32_e32 v23, s15, v23
	v_cmp_gt_i32_e64 s15, 0, v27
	v_and_b32_e32 v20, v20, v22
	v_not_b32_e32 v22, v129
	v_ashrrev_i32_e32 v26, 31, v26
	s_wait_alu 0xfffd
	v_xor_b32_e32 v24, vcc_lo, v24
	v_cmp_gt_i32_e32 vcc_lo, 0, v129
	v_and_b32_e32 v20, v20, v23
	v_not_b32_e32 v23, v25
	v_ashrrev_i32_e32 v22, 31, v22
	s_wait_alu 0xf1ff
	v_xor_b32_e32 v26, s15, v26
	v_cmp_gt_i32_e64 s15, 0, v25
	v_and_b32_e32 v20, v20, v24
	v_ashrrev_i32_e32 v23, 31, v23
	s_wait_alu 0xfffd
	v_xor_b32_e32 v22, vcc_lo, v22
	v_mad_u32_u24 v24, v21, 36, v92
	v_mul_u32_u24_e32 v21, 36, v21
	v_and_b32_e32 v20, v20, v26
	s_wait_alu 0xf1ff
	v_xor_b32_e32 v23, s15, v23
	ds_load_b32 v129, v24 offset:1056
	v_add_nc_u32_e32 v131, v92, v21
	v_and_b32_e32 v20, v20, v22
	; wave barrier
	s_delay_alu instid0(VALU_DEP_1) | instskip(NEXT) | instid1(VALU_DEP_1)
	v_and_b32_e32 v20, v20, v23
	v_mbcnt_lo_u32_b32 v130, v20, 0
	v_cmp_ne_u32_e64 s15, 0, v20
	s_delay_alu instid0(VALU_DEP_2)
	v_cmp_eq_u32_e32 vcc_lo, 0, v130
	s_and_b32 s16, s15, vcc_lo
	s_wait_alu 0xfffe
	s_and_saveexec_b32 s15, s16
	s_cbranch_execz .LBB2055_264
; %bb.263:                              ;   in Loop: Header=BB2055_228 Depth=2
	s_wait_dscnt 0x0
	v_bcnt_u32_b32 v20, v20, v129
	ds_store_b32 v131, v20 offset:1056
.LBB2055_264:                           ;   in Loop: Header=BB2055_228 Depth=2
	s_wait_alu 0xfffe
	s_or_b32 exec_lo, exec_lo, s15
	; wave barrier
	s_wait_loadcnt_dscnt 0x0
	s_barrier_signal -1
	s_barrier_wait -1
	global_inv scope:SCOPE_SE
	ds_load_2addr_b32 v[26:27], v78 offset1:1
	ds_load_2addr_b32 v[24:25], v79 offset1:1
	;; [unrolled: 1-line block ×4, first 2 shown]
	ds_load_b32 v132, v43 offset:1088
	s_wait_dscnt 0x3
	v_add3_u32 v133, v27, v26, v24
	s_wait_dscnt 0x2
	s_delay_alu instid0(VALU_DEP_1) | instskip(SKIP_1) | instid1(VALU_DEP_1)
	v_add3_u32 v133, v133, v25, v22
	s_wait_dscnt 0x1
	v_add3_u32 v133, v133, v23, v20
	s_wait_dscnt 0x0
	s_delay_alu instid0(VALU_DEP_1) | instskip(NEXT) | instid1(VALU_DEP_1)
	v_add3_u32 v132, v133, v21, v132
	v_mov_b32_dpp v133, v132 row_shr:1 row_mask:0xf bank_mask:0xf
	s_delay_alu instid0(VALU_DEP_1) | instskip(NEXT) | instid1(VALU_DEP_1)
	v_cndmask_b32_e64 v133, v133, 0, s0
	v_add_nc_u32_e32 v132, v133, v132
	s_delay_alu instid0(VALU_DEP_1) | instskip(NEXT) | instid1(VALU_DEP_1)
	v_mov_b32_dpp v133, v132 row_shr:2 row_mask:0xf bank_mask:0xf
	v_cndmask_b32_e64 v133, 0, v133, s1
	s_delay_alu instid0(VALU_DEP_1) | instskip(NEXT) | instid1(VALU_DEP_1)
	v_add_nc_u32_e32 v132, v132, v133
	v_mov_b32_dpp v133, v132 row_shr:4 row_mask:0xf bank_mask:0xf
	s_delay_alu instid0(VALU_DEP_1) | instskip(NEXT) | instid1(VALU_DEP_1)
	v_cndmask_b32_e64 v133, 0, v133, s9
	v_add_nc_u32_e32 v132, v132, v133
	s_delay_alu instid0(VALU_DEP_1) | instskip(NEXT) | instid1(VALU_DEP_1)
	v_mov_b32_dpp v133, v132 row_shr:8 row_mask:0xf bank_mask:0xf
	v_cndmask_b32_e64 v133, 0, v133, s10
	s_delay_alu instid0(VALU_DEP_1) | instskip(SKIP_3) | instid1(VALU_DEP_1)
	v_add_nc_u32_e32 v132, v132, v133
	ds_swizzle_b32 v133, v132 offset:swizzle(BROADCAST,32,15)
	s_wait_dscnt 0x0
	v_cndmask_b32_e64 v133, v133, 0, s11
	v_add_nc_u32_e32 v132, v132, v133
	s_and_saveexec_b32 s15, s3
; %bb.265:                              ;   in Loop: Header=BB2055_228 Depth=2
	ds_store_b32 v38, v132 offset:1024
; %bb.266:                              ;   in Loop: Header=BB2055_228 Depth=2
	s_wait_alu 0xfffe
	s_or_b32 exec_lo, exec_lo, s15
	s_wait_loadcnt_dscnt 0x0
	s_barrier_signal -1
	s_barrier_wait -1
	global_inv scope:SCOPE_SE
	s_and_saveexec_b32 s15, s4
	s_cbranch_execz .LBB2055_268
; %bb.267:                              ;   in Loop: Header=BB2055_228 Depth=2
	ds_load_b32 v133, v46 offset:1024
	s_wait_dscnt 0x0
	v_mov_b32_dpp v134, v133 row_shr:1 row_mask:0xf bank_mask:0xf
	s_delay_alu instid0(VALU_DEP_1) | instskip(NEXT) | instid1(VALU_DEP_1)
	v_cndmask_b32_e64 v134, v134, 0, s12
	v_add_nc_u32_e32 v133, v134, v133
	s_delay_alu instid0(VALU_DEP_1) | instskip(NEXT) | instid1(VALU_DEP_1)
	v_mov_b32_dpp v134, v133 row_shr:2 row_mask:0xf bank_mask:0xf
	v_cndmask_b32_e64 v134, 0, v134, s13
	s_delay_alu instid0(VALU_DEP_1) | instskip(NEXT) | instid1(VALU_DEP_1)
	v_add_nc_u32_e32 v133, v133, v134
	v_mov_b32_dpp v134, v133 row_shr:4 row_mask:0xf bank_mask:0xf
	s_delay_alu instid0(VALU_DEP_1) | instskip(NEXT) | instid1(VALU_DEP_1)
	v_cndmask_b32_e64 v134, 0, v134, s14
	v_add_nc_u32_e32 v133, v133, v134
	ds_store_b32 v46, v133 offset:1024
.LBB2055_268:                           ;   in Loop: Header=BB2055_228 Depth=2
	s_wait_alu 0xfffe
	s_or_b32 exec_lo, exec_lo, s15
	v_mov_b32_e32 v133, 0
	s_wait_loadcnt_dscnt 0x0
	s_barrier_signal -1
	s_barrier_wait -1
	global_inv scope:SCOPE_SE
	s_and_saveexec_b32 s15, s5
; %bb.269:                              ;   in Loop: Header=BB2055_228 Depth=2
	ds_load_b32 v133, v38 offset:1020
; %bb.270:                              ;   in Loop: Header=BB2055_228 Depth=2
	s_wait_alu 0xfffe
	s_or_b32 exec_lo, exec_lo, s15
	s_wait_dscnt 0x0
	v_add_nc_u32_e32 v132, v133, v132
	ds_bpermute_b32 v132, v87, v132
	s_wait_dscnt 0x0
	v_cndmask_b32_e64 v132, v132, v133, s8
	s_delay_alu instid0(VALU_DEP_1) | instskip(NEXT) | instid1(VALU_DEP_1)
	v_cndmask_b32_e64 v132, v132, 0, s6
	v_add_nc_u32_e32 v26, v132, v26
	s_delay_alu instid0(VALU_DEP_1) | instskip(NEXT) | instid1(VALU_DEP_1)
	v_add_nc_u32_e32 v27, v26, v27
	v_add_nc_u32_e32 v24, v27, v24
	s_delay_alu instid0(VALU_DEP_1) | instskip(NEXT) | instid1(VALU_DEP_1)
	v_add_nc_u32_e32 v25, v24, v25
	;; [unrolled: 3-line block ×3, first 2 shown]
	v_add_nc_u32_e32 v20, v23, v20
	s_delay_alu instid0(VALU_DEP_1)
	v_add_nc_u32_e32 v21, v20, v21
	ds_store_2addr_b32 v81, v23, v20 offset1:1
	ds_store_2addr_b32 v78, v132, v26 offset1:1
	;; [unrolled: 1-line block ×4, first 2 shown]
	ds_store_b32 v43, v21 offset:1088
	s_wait_loadcnt_dscnt 0x0
	s_barrier_signal -1
	s_barrier_wait -1
	global_inv scope:SCOPE_SE
	ds_load_b32 v23, v104 offset:1056
	ds_load_b32 v24, v108 offset:1056
	;; [unrolled: 1-line block ×9, first 2 shown]
	v_mov_b32_e32 v22, 0x800
	s_and_saveexec_b32 s15, s7
; %bb.271:                              ;   in Loop: Header=BB2055_228 Depth=2
	ds_load_b32 v22, v43 offset:1092
; %bb.272:                              ;   in Loop: Header=BB2055_228 Depth=2
	s_wait_alu 0xfffe
	s_or_b32 exec_lo, exec_lo, s15
	s_wait_loadcnt_dscnt 0x0
	s_barrier_signal -1
	s_barrier_wait -1
	global_inv scope:SCOPE_SE
	s_and_saveexec_b32 s15, s2
	s_cbranch_execz .LBB2055_274
; %bb.273:                              ;   in Loop: Header=BB2055_228 Depth=2
	ds_load_b32 v108, v28
	s_wait_dscnt 0x0
	v_sub_nc_u32_e32 v104, v108, v104
	ds_store_b32 v28, v104
.LBB2055_274:                           ;   in Loop: Header=BB2055_228 Depth=2
	s_wait_alu 0xfffe
	s_or_b32 exec_lo, exec_lo, s15
	v_add_nc_u32_e32 v108, v23, v102
	v_add3_u32 v104, v106, v105, v24
	v_add3_u32 v102, v111, v109, v25
	v_add3_u32 v25, v115, v113, v26
	v_add3_u32 v24, v119, v117, v27
	v_lshlrev_b32_e32 v105, 1, v108
	v_lshlrev_b32_e32 v106, 1, v104
	v_add3_u32 v23, v123, v121, v112
	v_lshlrev_b32_e32 v109, 1, v102
	v_add3_u32 v27, v126, v125, v20
	v_add3_u32 v26, v130, v129, v21
	ds_store_b16 v105, v2 offset:1024
	ds_store_b16 v106, v103 offset:1024
	;; [unrolled: 1-line block ×3, first 2 shown]
	v_lshlrev_b32_e32 v2, 1, v25
	v_cmp_lt_u32_e32 vcc_lo, v1, v101
	v_lshlrev_b32_e32 v20, 1, v24
	v_lshlrev_b32_e32 v21, 1, v23
	;; [unrolled: 1-line block ×4, first 2 shown]
	ds_store_b16 v2, v110 offset:1024
	ds_store_b16 v20, v114 offset:1024
	;; [unrolled: 1-line block ×5, first 2 shown]
	s_wait_loadcnt_dscnt 0x0
	s_barrier_signal -1
	s_barrier_wait -1
	global_inv scope:SCOPE_SE
	s_and_saveexec_b32 s16, vcc_lo
	s_cbranch_execnz .LBB2055_311
; %bb.275:                              ;   in Loop: Header=BB2055_228 Depth=2
	s_wait_alu 0xfffe
	s_or_b32 exec_lo, exec_lo, s16
	v_cmp_lt_u32_e64 s15, v29, v101
	s_and_saveexec_b32 s17, s15
	s_cbranch_execnz .LBB2055_312
.LBB2055_276:                           ;   in Loop: Header=BB2055_228 Depth=2
	s_wait_alu 0xfffe
	s_or_b32 exec_lo, exec_lo, s17
	v_cmp_lt_u32_e64 s16, v30, v101
	s_and_saveexec_b32 s18, s16
	s_cbranch_execnz .LBB2055_313
.LBB2055_277:                           ;   in Loop: Header=BB2055_228 Depth=2
	s_wait_alu 0xfffe
	s_or_b32 exec_lo, exec_lo, s18
	v_cmp_lt_u32_e64 s17, v31, v101
	s_and_saveexec_b32 s19, s17
	s_cbranch_execnz .LBB2055_314
.LBB2055_278:                           ;   in Loop: Header=BB2055_228 Depth=2
	s_wait_alu 0xfffe
	s_or_b32 exec_lo, exec_lo, s19
	v_cmp_lt_u32_e64 s18, v34, v101
	s_and_saveexec_b32 s20, s18
	s_cbranch_execnz .LBB2055_315
.LBB2055_279:                           ;   in Loop: Header=BB2055_228 Depth=2
	s_wait_alu 0xfffe
	s_or_b32 exec_lo, exec_lo, s20
	v_cmp_lt_u32_e64 s19, v35, v101
	s_and_saveexec_b32 s21, s19
	s_cbranch_execnz .LBB2055_316
.LBB2055_280:                           ;   in Loop: Header=BB2055_228 Depth=2
	s_wait_alu 0xfffe
	s_or_b32 exec_lo, exec_lo, s21
	v_cmp_lt_u32_e64 s20, v36, v101
	s_and_saveexec_b32 s22, s20
	s_cbranch_execnz .LBB2055_317
.LBB2055_281:                           ;   in Loop: Header=BB2055_228 Depth=2
	s_wait_alu 0xfffe
	s_or_b32 exec_lo, exec_lo, s22
	v_cmp_lt_u32_e64 s21, v37, v101
	s_and_saveexec_b32 s48, s21
	s_cbranch_execz .LBB2055_283
.LBB2055_282:                           ;   in Loop: Header=BB2055_228 Depth=2
	ds_load_u16 v103, v47 offset:4608
	s_wait_dscnt 0x0
	v_cmp_ne_u16_e64 s22, 0x7fff, v103
	s_wait_alu 0xf1ff
	s_delay_alu instid0(VALU_DEP_1) | instskip(SKIP_1) | instid1(VALU_DEP_2)
	v_cndmask_b32_e64 v2, 0xffff8000, v103, s22
	v_cmp_lt_i16_e64 s22, -1, v103
	v_and_b32_e32 v2, 0xffff, v2
	s_wait_alu 0xf1ff
	s_delay_alu instid0(VALU_DEP_2) | instskip(NEXT) | instid1(VALU_DEP_2)
	v_cndmask_b32_e64 v105, 0xffff8000, -1, s22
	v_lshrrev_b32_e32 v2, s23, v2
	s_delay_alu instid0(VALU_DEP_1) | instskip(NEXT) | instid1(VALU_DEP_1)
	v_and_b32_e32 v2, s42, v2
	v_lshlrev_b32_e32 v2, 2, v2
	ds_load_b32 v2, v2
	s_wait_dscnt 0x0
	v_add_nc_u32_e32 v2, v2, v37
	s_delay_alu instid0(VALU_DEP_1) | instskip(SKIP_1) | instid1(VALU_DEP_2)
	v_lshlrev_b64_e32 v[20:21], 1, v[2:3]
	v_xor_b32_e32 v2, v105, v103
	v_add_co_u32 v20, s22, s40, v20
	s_wait_alu 0xf1ff
	s_delay_alu instid0(VALU_DEP_3)
	v_add_co_ci_u32_e64 v21, null, s41, v21, s22
	global_store_b16 v[20:21], v2, off
.LBB2055_283:                           ;   in Loop: Header=BB2055_228 Depth=2
	s_wait_alu 0xfffe
	s_or_b32 exec_lo, exec_lo, s48
	s_lshl_b64 s[48:49], s[30:31], 3
	s_wait_alu 0xfffe
	v_add_co_u32 v20, s22, v88, s48
	s_wait_alu 0xf1ff
	v_add_co_ci_u32_e64 v21, null, s49, v89, s22
	v_cmp_lt_u32_e64 s22, v66, v101
	s_and_saveexec_b32 s30, s22
	s_wait_alu 0xfffe
	s_xor_b32 s22, exec_lo, s30
	s_cbranch_execnz .LBB2055_318
; %bb.284:                              ;   in Loop: Header=BB2055_228 Depth=2
	s_wait_alu 0xfffe
	s_or_b32 exec_lo, exec_lo, s22
	s_delay_alu instid0(SALU_CYCLE_1)
	s_mov_b32 s30, exec_lo
	v_cmpx_lt_u32_e64 v70, v101
	s_cbranch_execnz .LBB2055_319
.LBB2055_285:                           ;   in Loop: Header=BB2055_228 Depth=2
	s_wait_alu 0xfffe
	s_or_b32 exec_lo, exec_lo, s30
	s_delay_alu instid0(SALU_CYCLE_1)
	s_mov_b32 s30, exec_lo
	v_cmpx_lt_u32_e64 v71, v101
	s_cbranch_execnz .LBB2055_320
.LBB2055_286:                           ;   in Loop: Header=BB2055_228 Depth=2
	s_wait_alu 0xfffe
	s_or_b32 exec_lo, exec_lo, s30
	s_delay_alu instid0(SALU_CYCLE_1)
	s_mov_b32 s30, exec_lo
	v_cmpx_lt_u32_e64 v72, v101
	s_cbranch_execnz .LBB2055_321
.LBB2055_287:                           ;   in Loop: Header=BB2055_228 Depth=2
	s_wait_alu 0xfffe
	s_or_b32 exec_lo, exec_lo, s30
	s_delay_alu instid0(SALU_CYCLE_1)
	s_mov_b32 s30, exec_lo
	v_cmpx_lt_u32_e64 v73, v101
	s_cbranch_execnz .LBB2055_322
.LBB2055_288:                           ;   in Loop: Header=BB2055_228 Depth=2
	s_wait_alu 0xfffe
	s_or_b32 exec_lo, exec_lo, s30
	s_delay_alu instid0(SALU_CYCLE_1)
	s_mov_b32 s30, exec_lo
	v_cmpx_lt_u32_e64 v74, v101
	s_cbranch_execnz .LBB2055_323
.LBB2055_289:                           ;   in Loop: Header=BB2055_228 Depth=2
	s_wait_alu 0xfffe
	s_or_b32 exec_lo, exec_lo, s30
	s_delay_alu instid0(SALU_CYCLE_1)
	s_mov_b32 s30, exec_lo
	v_cmpx_lt_u32_e64 v75, v101
	s_cbranch_execnz .LBB2055_324
.LBB2055_290:                           ;   in Loop: Header=BB2055_228 Depth=2
	s_wait_alu 0xfffe
	s_or_b32 exec_lo, exec_lo, s30
	s_delay_alu instid0(SALU_CYCLE_1)
	s_mov_b32 s30, exec_lo
	v_cmpx_lt_u32_e64 v76, v101
	s_cbranch_execnz .LBB2055_325
.LBB2055_291:                           ;   in Loop: Header=BB2055_228 Depth=2
	s_wait_alu 0xfffe
	s_or_b32 exec_lo, exec_lo, s30
	s_and_saveexec_b32 s30, vcc_lo
	s_cbranch_execnz .LBB2055_326
.LBB2055_292:                           ;   in Loop: Header=BB2055_228 Depth=2
	s_wait_alu 0xfffe
	s_or_b32 exec_lo, exec_lo, s30
	s_and_saveexec_b32 s30, s15
	s_cbranch_execnz .LBB2055_327
.LBB2055_293:                           ;   in Loop: Header=BB2055_228 Depth=2
	s_wait_alu 0xfffe
	s_or_b32 exec_lo, exec_lo, s30
	s_and_saveexec_b32 s30, s16
	s_cbranch_execnz .LBB2055_328
.LBB2055_294:                           ;   in Loop: Header=BB2055_228 Depth=2
	s_wait_alu 0xfffe
	s_or_b32 exec_lo, exec_lo, s30
	s_and_saveexec_b32 s30, s17
	s_cbranch_execnz .LBB2055_329
.LBB2055_295:                           ;   in Loop: Header=BB2055_228 Depth=2
	s_wait_alu 0xfffe
	s_or_b32 exec_lo, exec_lo, s30
	s_and_saveexec_b32 s30, s18
	s_cbranch_execnz .LBB2055_330
.LBB2055_296:                           ;   in Loop: Header=BB2055_228 Depth=2
	s_wait_alu 0xfffe
	s_or_b32 exec_lo, exec_lo, s30
	s_and_saveexec_b32 s30, s19
	s_cbranch_execnz .LBB2055_331
.LBB2055_297:                           ;   in Loop: Header=BB2055_228 Depth=2
	s_wait_alu 0xfffe
	s_or_b32 exec_lo, exec_lo, s30
	s_and_saveexec_b32 s30, s20
	s_cbranch_execnz .LBB2055_332
.LBB2055_298:                           ;   in Loop: Header=BB2055_228 Depth=2
	s_wait_alu 0xfffe
	s_or_b32 exec_lo, exec_lo, s30
	s_and_saveexec_b32 s30, s21
	s_cbranch_execz .LBB2055_300
.LBB2055_299:                           ;   in Loop: Header=BB2055_228 Depth=2
	ds_load_u16 v2, v47 offset:4608
	s_wait_dscnt 0x0
	v_cmp_ne_u16_e64 s22, 0x7fff, v2
	s_wait_alu 0xf1ff
	s_delay_alu instid0(VALU_DEP_1) | instskip(NEXT) | instid1(VALU_DEP_1)
	v_cndmask_b32_e64 v2, 0xffff8000, v2, s22
	v_and_b32_e32 v2, 0xffff, v2
	s_delay_alu instid0(VALU_DEP_1) | instskip(NEXT) | instid1(VALU_DEP_1)
	v_lshrrev_b32_e32 v2, s23, v2
	v_and_b32_e32 v93, s42, v2
.LBB2055_300:                           ;   in Loop: Header=BB2055_228 Depth=2
	s_wait_alu 0xfffe
	s_or_b32 exec_lo, exec_lo, s30
	v_lshlrev_b32_e32 v2, 3, v108
	v_lshlrev_b32_e32 v20, 3, v104
	v_lshlrev_b32_e32 v21, 3, v102
	s_wait_loadcnt 0x0
	s_wait_storecnt 0x0
	s_barrier_signal -1
	s_barrier_wait -1
	global_inv scope:SCOPE_SE
	ds_store_b64 v2, v[18:19] offset:1024
	ds_store_b64 v20, v[16:17] offset:1024
	ds_store_b64 v21, v[14:15] offset:1024
	v_lshlrev_b32_e32 v2, 3, v25
	v_lshlrev_b32_e32 v20, 3, v24
	;; [unrolled: 1-line block ×5, first 2 shown]
	ds_store_b64 v2, v[12:13] offset:1024
	ds_store_b64 v20, v[10:11] offset:1024
	;; [unrolled: 1-line block ×5, first 2 shown]
	s_wait_loadcnt_dscnt 0x0
	s_barrier_signal -1
	s_barrier_wait -1
	global_inv scope:SCOPE_SE
	s_and_saveexec_b32 s22, vcc_lo
	s_cbranch_execnz .LBB2055_333
; %bb.301:                              ;   in Loop: Header=BB2055_228 Depth=2
	s_wait_alu 0xfffe
	s_or_b32 exec_lo, exec_lo, s22
	s_and_saveexec_b32 s22, s15
	s_cbranch_execnz .LBB2055_334
.LBB2055_302:                           ;   in Loop: Header=BB2055_228 Depth=2
	s_wait_alu 0xfffe
	s_or_b32 exec_lo, exec_lo, s22
	s_and_saveexec_b32 s15, s16
	s_cbranch_execnz .LBB2055_335
.LBB2055_303:                           ;   in Loop: Header=BB2055_228 Depth=2
	s_wait_alu 0xfffe
	s_or_b32 exec_lo, exec_lo, s15
	s_and_saveexec_b32 s15, s17
	s_cbranch_execnz .LBB2055_336
.LBB2055_304:                           ;   in Loop: Header=BB2055_228 Depth=2
	s_wait_alu 0xfffe
	s_or_b32 exec_lo, exec_lo, s15
	s_and_saveexec_b32 s15, s18
	s_cbranch_execnz .LBB2055_337
.LBB2055_305:                           ;   in Loop: Header=BB2055_228 Depth=2
	s_wait_alu 0xfffe
	s_or_b32 exec_lo, exec_lo, s15
	s_and_saveexec_b32 s15, s19
	s_cbranch_execnz .LBB2055_338
.LBB2055_306:                           ;   in Loop: Header=BB2055_228 Depth=2
	s_wait_alu 0xfffe
	s_or_b32 exec_lo, exec_lo, s15
	s_and_saveexec_b32 s15, s20
	s_cbranch_execnz .LBB2055_339
.LBB2055_307:                           ;   in Loop: Header=BB2055_228 Depth=2
	s_wait_alu 0xfffe
	s_or_b32 exec_lo, exec_lo, s15
	s_and_saveexec_b32 s15, s21
	s_cbranch_execz .LBB2055_309
.LBB2055_308:                           ;   in Loop: Header=BB2055_228 Depth=2
	v_lshlrev_b32_e32 v2, 2, v93
	v_add_nc_u32_e32 v20, v47, v48
	ds_load_b32 v2, v2
	ds_load_b64 v[20:21], v20 offset:15360
	s_wait_dscnt 0x1
	v_add_nc_u32_e32 v2, v2, v37
	s_delay_alu instid0(VALU_DEP_1) | instskip(NEXT) | instid1(VALU_DEP_1)
	v_lshlrev_b64_e32 v[23:24], 3, v[2:3]
	v_add_co_u32 v23, vcc_lo, s26, v23
	s_wait_alu 0xfffd
	s_delay_alu instid0(VALU_DEP_2)
	v_add_co_ci_u32_e64 v24, null, s27, v24, vcc_lo
	s_wait_dscnt 0x0
	global_store_b64 v[23:24], v[20:21], off
.LBB2055_309:                           ;   in Loop: Header=BB2055_228 Depth=2
	s_wait_alu 0xfffe
	s_or_b32 exec_lo, exec_lo, s15
	s_wait_loadcnt 0x0
	s_wait_storecnt 0x0
	s_barrier_signal -1
	s_barrier_wait -1
	global_inv scope:SCOPE_SE
	s_and_saveexec_b32 s15, s2
	s_cbranch_execz .LBB2055_227
; %bb.310:                              ;   in Loop: Header=BB2055_228 Depth=2
	ds_load_b32 v2, v28
	s_wait_dscnt 0x0
	v_add_nc_u32_e32 v2, v2, v22
	ds_store_b32 v28, v2
	s_branch .LBB2055_227
.LBB2055_311:                           ;   in Loop: Header=BB2055_228 Depth=2
	ds_load_u16 v103, v47 offset:1024
	s_wait_dscnt 0x0
	v_cmp_ne_u16_e64 s15, 0x7fff, v103
	s_wait_alu 0xf1ff
	s_delay_alu instid0(VALU_DEP_1) | instskip(SKIP_1) | instid1(VALU_DEP_2)
	v_cndmask_b32_e64 v2, 0xffff8000, v103, s15
	v_cmp_lt_i16_e64 s15, -1, v103
	v_and_b32_e32 v2, 0xffff, v2
	s_wait_alu 0xf1ff
	s_delay_alu instid0(VALU_DEP_2) | instskip(NEXT) | instid1(VALU_DEP_2)
	v_cndmask_b32_e64 v105, 0xffff8000, -1, s15
	v_lshrrev_b32_e32 v2, s23, v2
	s_delay_alu instid0(VALU_DEP_1) | instskip(NEXT) | instid1(VALU_DEP_1)
	v_and_b32_e32 v2, s42, v2
	v_lshlrev_b32_e32 v2, 2, v2
	ds_load_b32 v2, v2
	s_wait_dscnt 0x0
	v_add_nc_u32_e32 v2, v2, v1
	s_delay_alu instid0(VALU_DEP_1) | instskip(SKIP_1) | instid1(VALU_DEP_2)
	v_lshlrev_b64_e32 v[20:21], 1, v[2:3]
	v_xor_b32_e32 v2, v105, v103
	v_add_co_u32 v20, s15, s40, v20
	s_wait_alu 0xf1ff
	s_delay_alu instid0(VALU_DEP_3)
	v_add_co_ci_u32_e64 v21, null, s41, v21, s15
	global_store_b16 v[20:21], v2, off
	s_wait_alu 0xfffe
	s_or_b32 exec_lo, exec_lo, s16
	v_cmp_lt_u32_e64 s15, v29, v101
	s_and_saveexec_b32 s17, s15
	s_cbranch_execz .LBB2055_276
.LBB2055_312:                           ;   in Loop: Header=BB2055_228 Depth=2
	ds_load_u16 v103, v47 offset:1536
	s_wait_dscnt 0x0
	v_cmp_ne_u16_e64 s16, 0x7fff, v103
	s_wait_alu 0xf1ff
	s_delay_alu instid0(VALU_DEP_1) | instskip(SKIP_1) | instid1(VALU_DEP_2)
	v_cndmask_b32_e64 v2, 0xffff8000, v103, s16
	v_cmp_lt_i16_e64 s16, -1, v103
	v_and_b32_e32 v2, 0xffff, v2
	s_wait_alu 0xf1ff
	s_delay_alu instid0(VALU_DEP_2) | instskip(NEXT) | instid1(VALU_DEP_2)
	v_cndmask_b32_e64 v105, 0xffff8000, -1, s16
	v_lshrrev_b32_e32 v2, s23, v2
	s_delay_alu instid0(VALU_DEP_1) | instskip(NEXT) | instid1(VALU_DEP_1)
	v_and_b32_e32 v2, s42, v2
	v_lshlrev_b32_e32 v2, 2, v2
	ds_load_b32 v2, v2
	s_wait_dscnt 0x0
	v_add_nc_u32_e32 v2, v2, v29
	s_delay_alu instid0(VALU_DEP_1) | instskip(SKIP_1) | instid1(VALU_DEP_2)
	v_lshlrev_b64_e32 v[20:21], 1, v[2:3]
	v_xor_b32_e32 v2, v105, v103
	v_add_co_u32 v20, s16, s40, v20
	s_wait_alu 0xf1ff
	s_delay_alu instid0(VALU_DEP_3)
	v_add_co_ci_u32_e64 v21, null, s41, v21, s16
	global_store_b16 v[20:21], v2, off
	s_wait_alu 0xfffe
	s_or_b32 exec_lo, exec_lo, s17
	v_cmp_lt_u32_e64 s16, v30, v101
	s_and_saveexec_b32 s18, s16
	s_cbranch_execz .LBB2055_277
.LBB2055_313:                           ;   in Loop: Header=BB2055_228 Depth=2
	ds_load_u16 v103, v47 offset:2048
	s_wait_dscnt 0x0
	v_cmp_ne_u16_e64 s17, 0x7fff, v103
	s_wait_alu 0xf1ff
	s_delay_alu instid0(VALU_DEP_1) | instskip(SKIP_1) | instid1(VALU_DEP_2)
	v_cndmask_b32_e64 v2, 0xffff8000, v103, s17
	v_cmp_lt_i16_e64 s17, -1, v103
	v_and_b32_e32 v2, 0xffff, v2
	s_wait_alu 0xf1ff
	s_delay_alu instid0(VALU_DEP_2) | instskip(NEXT) | instid1(VALU_DEP_2)
	v_cndmask_b32_e64 v105, 0xffff8000, -1, s17
	v_lshrrev_b32_e32 v2, s23, v2
	s_delay_alu instid0(VALU_DEP_1) | instskip(NEXT) | instid1(VALU_DEP_1)
	v_and_b32_e32 v2, s42, v2
	v_lshlrev_b32_e32 v2, 2, v2
	ds_load_b32 v2, v2
	s_wait_dscnt 0x0
	v_add_nc_u32_e32 v2, v2, v30
	s_delay_alu instid0(VALU_DEP_1) | instskip(SKIP_1) | instid1(VALU_DEP_2)
	v_lshlrev_b64_e32 v[20:21], 1, v[2:3]
	v_xor_b32_e32 v2, v105, v103
	v_add_co_u32 v20, s17, s40, v20
	s_wait_alu 0xf1ff
	s_delay_alu instid0(VALU_DEP_3)
	v_add_co_ci_u32_e64 v21, null, s41, v21, s17
	global_store_b16 v[20:21], v2, off
	s_wait_alu 0xfffe
	s_or_b32 exec_lo, exec_lo, s18
	v_cmp_lt_u32_e64 s17, v31, v101
	s_and_saveexec_b32 s19, s17
	s_cbranch_execz .LBB2055_278
.LBB2055_314:                           ;   in Loop: Header=BB2055_228 Depth=2
	ds_load_u16 v103, v47 offset:2560
	s_wait_dscnt 0x0
	v_cmp_ne_u16_e64 s18, 0x7fff, v103
	s_wait_alu 0xf1ff
	s_delay_alu instid0(VALU_DEP_1) | instskip(SKIP_1) | instid1(VALU_DEP_2)
	v_cndmask_b32_e64 v2, 0xffff8000, v103, s18
	v_cmp_lt_i16_e64 s18, -1, v103
	v_and_b32_e32 v2, 0xffff, v2
	s_wait_alu 0xf1ff
	s_delay_alu instid0(VALU_DEP_2) | instskip(NEXT) | instid1(VALU_DEP_2)
	v_cndmask_b32_e64 v105, 0xffff8000, -1, s18
	v_lshrrev_b32_e32 v2, s23, v2
	s_delay_alu instid0(VALU_DEP_1) | instskip(NEXT) | instid1(VALU_DEP_1)
	v_and_b32_e32 v2, s42, v2
	v_lshlrev_b32_e32 v2, 2, v2
	ds_load_b32 v2, v2
	s_wait_dscnt 0x0
	v_add_nc_u32_e32 v2, v2, v31
	s_delay_alu instid0(VALU_DEP_1) | instskip(SKIP_1) | instid1(VALU_DEP_2)
	v_lshlrev_b64_e32 v[20:21], 1, v[2:3]
	v_xor_b32_e32 v2, v105, v103
	v_add_co_u32 v20, s18, s40, v20
	s_wait_alu 0xf1ff
	s_delay_alu instid0(VALU_DEP_3)
	v_add_co_ci_u32_e64 v21, null, s41, v21, s18
	global_store_b16 v[20:21], v2, off
	s_wait_alu 0xfffe
	s_or_b32 exec_lo, exec_lo, s19
	v_cmp_lt_u32_e64 s18, v34, v101
	s_and_saveexec_b32 s20, s18
	s_cbranch_execz .LBB2055_279
.LBB2055_315:                           ;   in Loop: Header=BB2055_228 Depth=2
	ds_load_u16 v103, v47 offset:3072
	s_wait_dscnt 0x0
	v_cmp_ne_u16_e64 s19, 0x7fff, v103
	s_wait_alu 0xf1ff
	s_delay_alu instid0(VALU_DEP_1) | instskip(SKIP_1) | instid1(VALU_DEP_2)
	v_cndmask_b32_e64 v2, 0xffff8000, v103, s19
	v_cmp_lt_i16_e64 s19, -1, v103
	v_and_b32_e32 v2, 0xffff, v2
	s_wait_alu 0xf1ff
	s_delay_alu instid0(VALU_DEP_2) | instskip(NEXT) | instid1(VALU_DEP_2)
	v_cndmask_b32_e64 v105, 0xffff8000, -1, s19
	v_lshrrev_b32_e32 v2, s23, v2
	s_delay_alu instid0(VALU_DEP_1) | instskip(NEXT) | instid1(VALU_DEP_1)
	v_and_b32_e32 v2, s42, v2
	v_lshlrev_b32_e32 v2, 2, v2
	ds_load_b32 v2, v2
	s_wait_dscnt 0x0
	v_add_nc_u32_e32 v2, v2, v34
	s_delay_alu instid0(VALU_DEP_1) | instskip(SKIP_1) | instid1(VALU_DEP_2)
	v_lshlrev_b64_e32 v[20:21], 1, v[2:3]
	v_xor_b32_e32 v2, v105, v103
	v_add_co_u32 v20, s19, s40, v20
	s_wait_alu 0xf1ff
	s_delay_alu instid0(VALU_DEP_3)
	v_add_co_ci_u32_e64 v21, null, s41, v21, s19
	global_store_b16 v[20:21], v2, off
	s_wait_alu 0xfffe
	s_or_b32 exec_lo, exec_lo, s20
	v_cmp_lt_u32_e64 s19, v35, v101
	s_and_saveexec_b32 s21, s19
	s_cbranch_execz .LBB2055_280
.LBB2055_316:                           ;   in Loop: Header=BB2055_228 Depth=2
	ds_load_u16 v103, v47 offset:3584
	s_wait_dscnt 0x0
	v_cmp_ne_u16_e64 s20, 0x7fff, v103
	s_wait_alu 0xf1ff
	s_delay_alu instid0(VALU_DEP_1) | instskip(SKIP_1) | instid1(VALU_DEP_2)
	v_cndmask_b32_e64 v2, 0xffff8000, v103, s20
	v_cmp_lt_i16_e64 s20, -1, v103
	v_and_b32_e32 v2, 0xffff, v2
	s_wait_alu 0xf1ff
	s_delay_alu instid0(VALU_DEP_2) | instskip(NEXT) | instid1(VALU_DEP_2)
	v_cndmask_b32_e64 v105, 0xffff8000, -1, s20
	v_lshrrev_b32_e32 v2, s23, v2
	s_delay_alu instid0(VALU_DEP_1) | instskip(NEXT) | instid1(VALU_DEP_1)
	v_and_b32_e32 v2, s42, v2
	v_lshlrev_b32_e32 v2, 2, v2
	ds_load_b32 v2, v2
	s_wait_dscnt 0x0
	v_add_nc_u32_e32 v2, v2, v35
	s_delay_alu instid0(VALU_DEP_1) | instskip(SKIP_1) | instid1(VALU_DEP_2)
	v_lshlrev_b64_e32 v[20:21], 1, v[2:3]
	v_xor_b32_e32 v2, v105, v103
	v_add_co_u32 v20, s20, s40, v20
	s_wait_alu 0xf1ff
	s_delay_alu instid0(VALU_DEP_3)
	v_add_co_ci_u32_e64 v21, null, s41, v21, s20
	global_store_b16 v[20:21], v2, off
	s_wait_alu 0xfffe
	s_or_b32 exec_lo, exec_lo, s21
	v_cmp_lt_u32_e64 s20, v36, v101
	s_and_saveexec_b32 s22, s20
	s_cbranch_execz .LBB2055_281
.LBB2055_317:                           ;   in Loop: Header=BB2055_228 Depth=2
	ds_load_u16 v103, v47 offset:4096
	s_wait_dscnt 0x0
	v_cmp_ne_u16_e64 s21, 0x7fff, v103
	s_wait_alu 0xf1ff
	s_delay_alu instid0(VALU_DEP_1) | instskip(SKIP_1) | instid1(VALU_DEP_2)
	v_cndmask_b32_e64 v2, 0xffff8000, v103, s21
	v_cmp_lt_i16_e64 s21, -1, v103
	v_and_b32_e32 v2, 0xffff, v2
	s_wait_alu 0xf1ff
	s_delay_alu instid0(VALU_DEP_2) | instskip(NEXT) | instid1(VALU_DEP_2)
	v_cndmask_b32_e64 v105, 0xffff8000, -1, s21
	v_lshrrev_b32_e32 v2, s23, v2
	s_delay_alu instid0(VALU_DEP_1) | instskip(NEXT) | instid1(VALU_DEP_1)
	v_and_b32_e32 v2, s42, v2
	v_lshlrev_b32_e32 v2, 2, v2
	ds_load_b32 v2, v2
	s_wait_dscnt 0x0
	v_add_nc_u32_e32 v2, v2, v36
	s_delay_alu instid0(VALU_DEP_1) | instskip(SKIP_1) | instid1(VALU_DEP_2)
	v_lshlrev_b64_e32 v[20:21], 1, v[2:3]
	v_xor_b32_e32 v2, v105, v103
	v_add_co_u32 v20, s21, s40, v20
	s_wait_alu 0xf1ff
	s_delay_alu instid0(VALU_DEP_3)
	v_add_co_ci_u32_e64 v21, null, s41, v21, s21
	global_store_b16 v[20:21], v2, off
	s_wait_alu 0xfffe
	s_or_b32 exec_lo, exec_lo, s22
	v_cmp_lt_u32_e64 s21, v37, v101
	s_and_saveexec_b32 s48, s21
	s_cbranch_execnz .LBB2055_282
	s_branch .LBB2055_283
.LBB2055_318:                           ;   in Loop: Header=BB2055_228 Depth=2
	global_load_b64 v[18:19], v[20:21], off
	s_wait_alu 0xfffe
	s_or_b32 exec_lo, exec_lo, s22
	s_delay_alu instid0(SALU_CYCLE_1)
	s_mov_b32 s30, exec_lo
	v_cmpx_lt_u32_e64 v70, v101
	s_cbranch_execz .LBB2055_285
.LBB2055_319:                           ;   in Loop: Header=BB2055_228 Depth=2
	global_load_b64 v[16:17], v[20:21], off offset:256
	s_wait_alu 0xfffe
	s_or_b32 exec_lo, exec_lo, s30
	s_delay_alu instid0(SALU_CYCLE_1)
	s_mov_b32 s30, exec_lo
	v_cmpx_lt_u32_e64 v71, v101
	s_cbranch_execz .LBB2055_286
.LBB2055_320:                           ;   in Loop: Header=BB2055_228 Depth=2
	global_load_b64 v[14:15], v[20:21], off offset:512
	s_wait_alu 0xfffe
	s_or_b32 exec_lo, exec_lo, s30
	s_delay_alu instid0(SALU_CYCLE_1)
	s_mov_b32 s30, exec_lo
	v_cmpx_lt_u32_e64 v72, v101
	s_cbranch_execz .LBB2055_287
.LBB2055_321:                           ;   in Loop: Header=BB2055_228 Depth=2
	global_load_b64 v[12:13], v[20:21], off offset:768
	s_wait_alu 0xfffe
	s_or_b32 exec_lo, exec_lo, s30
	s_delay_alu instid0(SALU_CYCLE_1)
	s_mov_b32 s30, exec_lo
	v_cmpx_lt_u32_e64 v73, v101
	s_cbranch_execz .LBB2055_288
.LBB2055_322:                           ;   in Loop: Header=BB2055_228 Depth=2
	global_load_b64 v[10:11], v[20:21], off offset:1024
	s_wait_alu 0xfffe
	s_or_b32 exec_lo, exec_lo, s30
	s_delay_alu instid0(SALU_CYCLE_1)
	s_mov_b32 s30, exec_lo
	v_cmpx_lt_u32_e64 v74, v101
	s_cbranch_execz .LBB2055_289
.LBB2055_323:                           ;   in Loop: Header=BB2055_228 Depth=2
	global_load_b64 v[8:9], v[20:21], off offset:1280
	s_wait_alu 0xfffe
	s_or_b32 exec_lo, exec_lo, s30
	s_delay_alu instid0(SALU_CYCLE_1)
	s_mov_b32 s30, exec_lo
	v_cmpx_lt_u32_e64 v75, v101
	s_cbranch_execz .LBB2055_290
.LBB2055_324:                           ;   in Loop: Header=BB2055_228 Depth=2
	global_load_b64 v[6:7], v[20:21], off offset:1536
	s_wait_alu 0xfffe
	s_or_b32 exec_lo, exec_lo, s30
	s_delay_alu instid0(SALU_CYCLE_1)
	s_mov_b32 s30, exec_lo
	v_cmpx_lt_u32_e64 v76, v101
	s_cbranch_execz .LBB2055_291
.LBB2055_325:                           ;   in Loop: Header=BB2055_228 Depth=2
	global_load_b64 v[4:5], v[20:21], off offset:1792
	s_wait_alu 0xfffe
	s_or_b32 exec_lo, exec_lo, s30
	s_and_saveexec_b32 s30, vcc_lo
	s_cbranch_execz .LBB2055_292
.LBB2055_326:                           ;   in Loop: Header=BB2055_228 Depth=2
	ds_load_u16 v2, v47 offset:1024
	s_wait_dscnt 0x0
	v_cmp_ne_u16_e64 s22, 0x7fff, v2
	s_wait_alu 0xf1ff
	s_delay_alu instid0(VALU_DEP_1) | instskip(NEXT) | instid1(VALU_DEP_1)
	v_cndmask_b32_e64 v2, 0xffff8000, v2, s22
	v_and_b32_e32 v2, 0xffff, v2
	s_delay_alu instid0(VALU_DEP_1) | instskip(NEXT) | instid1(VALU_DEP_1)
	v_lshrrev_b32_e32 v2, s23, v2
	v_and_b32_e32 v100, s42, v2
	s_wait_alu 0xfffe
	s_or_b32 exec_lo, exec_lo, s30
	s_and_saveexec_b32 s30, s15
	s_cbranch_execz .LBB2055_293
.LBB2055_327:                           ;   in Loop: Header=BB2055_228 Depth=2
	ds_load_u16 v2, v47 offset:1536
	s_wait_dscnt 0x0
	v_cmp_ne_u16_e64 s22, 0x7fff, v2
	s_wait_alu 0xf1ff
	s_delay_alu instid0(VALU_DEP_1) | instskip(NEXT) | instid1(VALU_DEP_1)
	v_cndmask_b32_e64 v2, 0xffff8000, v2, s22
	v_and_b32_e32 v2, 0xffff, v2
	s_delay_alu instid0(VALU_DEP_1) | instskip(NEXT) | instid1(VALU_DEP_1)
	v_lshrrev_b32_e32 v2, s23, v2
	v_and_b32_e32 v99, s42, v2
	s_wait_alu 0xfffe
	s_or_b32 exec_lo, exec_lo, s30
	s_and_saveexec_b32 s30, s16
	s_cbranch_execz .LBB2055_294
.LBB2055_328:                           ;   in Loop: Header=BB2055_228 Depth=2
	ds_load_u16 v2, v47 offset:2048
	s_wait_dscnt 0x0
	v_cmp_ne_u16_e64 s22, 0x7fff, v2
	s_wait_alu 0xf1ff
	s_delay_alu instid0(VALU_DEP_1) | instskip(NEXT) | instid1(VALU_DEP_1)
	v_cndmask_b32_e64 v2, 0xffff8000, v2, s22
	v_and_b32_e32 v2, 0xffff, v2
	s_delay_alu instid0(VALU_DEP_1) | instskip(NEXT) | instid1(VALU_DEP_1)
	v_lshrrev_b32_e32 v2, s23, v2
	v_and_b32_e32 v98, s42, v2
	s_wait_alu 0xfffe
	s_or_b32 exec_lo, exec_lo, s30
	s_and_saveexec_b32 s30, s17
	s_cbranch_execz .LBB2055_295
.LBB2055_329:                           ;   in Loop: Header=BB2055_228 Depth=2
	ds_load_u16 v2, v47 offset:2560
	s_wait_dscnt 0x0
	v_cmp_ne_u16_e64 s22, 0x7fff, v2
	s_wait_alu 0xf1ff
	s_delay_alu instid0(VALU_DEP_1) | instskip(NEXT) | instid1(VALU_DEP_1)
	v_cndmask_b32_e64 v2, 0xffff8000, v2, s22
	v_and_b32_e32 v2, 0xffff, v2
	s_delay_alu instid0(VALU_DEP_1) | instskip(NEXT) | instid1(VALU_DEP_1)
	v_lshrrev_b32_e32 v2, s23, v2
	v_and_b32_e32 v97, s42, v2
	s_wait_alu 0xfffe
	s_or_b32 exec_lo, exec_lo, s30
	s_and_saveexec_b32 s30, s18
	s_cbranch_execz .LBB2055_296
.LBB2055_330:                           ;   in Loop: Header=BB2055_228 Depth=2
	ds_load_u16 v2, v47 offset:3072
	s_wait_dscnt 0x0
	v_cmp_ne_u16_e64 s22, 0x7fff, v2
	s_wait_alu 0xf1ff
	s_delay_alu instid0(VALU_DEP_1) | instskip(NEXT) | instid1(VALU_DEP_1)
	v_cndmask_b32_e64 v2, 0xffff8000, v2, s22
	v_and_b32_e32 v2, 0xffff, v2
	s_delay_alu instid0(VALU_DEP_1) | instskip(NEXT) | instid1(VALU_DEP_1)
	v_lshrrev_b32_e32 v2, s23, v2
	v_and_b32_e32 v96, s42, v2
	s_wait_alu 0xfffe
	s_or_b32 exec_lo, exec_lo, s30
	s_and_saveexec_b32 s30, s19
	s_cbranch_execz .LBB2055_297
.LBB2055_331:                           ;   in Loop: Header=BB2055_228 Depth=2
	ds_load_u16 v2, v47 offset:3584
	s_wait_dscnt 0x0
	v_cmp_ne_u16_e64 s22, 0x7fff, v2
	s_wait_alu 0xf1ff
	s_delay_alu instid0(VALU_DEP_1) | instskip(NEXT) | instid1(VALU_DEP_1)
	v_cndmask_b32_e64 v2, 0xffff8000, v2, s22
	v_and_b32_e32 v2, 0xffff, v2
	s_delay_alu instid0(VALU_DEP_1) | instskip(NEXT) | instid1(VALU_DEP_1)
	v_lshrrev_b32_e32 v2, s23, v2
	v_and_b32_e32 v95, s42, v2
	s_wait_alu 0xfffe
	s_or_b32 exec_lo, exec_lo, s30
	s_and_saveexec_b32 s30, s20
	s_cbranch_execz .LBB2055_298
.LBB2055_332:                           ;   in Loop: Header=BB2055_228 Depth=2
	ds_load_u16 v2, v47 offset:4096
	s_wait_dscnt 0x0
	v_cmp_ne_u16_e64 s22, 0x7fff, v2
	s_wait_alu 0xf1ff
	s_delay_alu instid0(VALU_DEP_1) | instskip(NEXT) | instid1(VALU_DEP_1)
	v_cndmask_b32_e64 v2, 0xffff8000, v2, s22
	v_and_b32_e32 v2, 0xffff, v2
	s_delay_alu instid0(VALU_DEP_1) | instskip(NEXT) | instid1(VALU_DEP_1)
	v_lshrrev_b32_e32 v2, s23, v2
	v_and_b32_e32 v94, s42, v2
	s_wait_alu 0xfffe
	s_or_b32 exec_lo, exec_lo, s30
	s_and_saveexec_b32 s30, s21
	s_cbranch_execnz .LBB2055_299
	s_branch .LBB2055_300
.LBB2055_333:                           ;   in Loop: Header=BB2055_228 Depth=2
	v_lshlrev_b32_e32 v2, 2, v100
	v_add_nc_u32_e32 v20, v47, v48
	ds_load_b32 v2, v2
	ds_load_b64 v[20:21], v20 offset:1024
	s_wait_dscnt 0x1
	v_add_nc_u32_e32 v2, v2, v1
	s_delay_alu instid0(VALU_DEP_1) | instskip(NEXT) | instid1(VALU_DEP_1)
	v_lshlrev_b64_e32 v[23:24], 3, v[2:3]
	v_add_co_u32 v23, vcc_lo, s26, v23
	s_wait_alu 0xfffd
	s_delay_alu instid0(VALU_DEP_2)
	v_add_co_ci_u32_e64 v24, null, s27, v24, vcc_lo
	s_wait_dscnt 0x0
	global_store_b64 v[23:24], v[20:21], off
	s_wait_alu 0xfffe
	s_or_b32 exec_lo, exec_lo, s22
	s_and_saveexec_b32 s22, s15
	s_cbranch_execz .LBB2055_302
.LBB2055_334:                           ;   in Loop: Header=BB2055_228 Depth=2
	v_lshlrev_b32_e32 v2, 2, v99
	v_add_nc_u32_e32 v20, v47, v48
	ds_load_b32 v2, v2
	ds_load_b64 v[20:21], v20 offset:3072
	s_wait_dscnt 0x1
	v_add_nc_u32_e32 v2, v2, v29
	s_delay_alu instid0(VALU_DEP_1) | instskip(NEXT) | instid1(VALU_DEP_1)
	v_lshlrev_b64_e32 v[23:24], 3, v[2:3]
	v_add_co_u32 v23, vcc_lo, s26, v23
	s_wait_alu 0xfffd
	s_delay_alu instid0(VALU_DEP_2)
	v_add_co_ci_u32_e64 v24, null, s27, v24, vcc_lo
	s_wait_dscnt 0x0
	global_store_b64 v[23:24], v[20:21], off
	s_wait_alu 0xfffe
	s_or_b32 exec_lo, exec_lo, s22
	s_and_saveexec_b32 s15, s16
	s_cbranch_execz .LBB2055_303
.LBB2055_335:                           ;   in Loop: Header=BB2055_228 Depth=2
	v_lshlrev_b32_e32 v2, 2, v98
	v_add_nc_u32_e32 v20, v47, v48
	ds_load_b32 v2, v2
	ds_load_b64 v[20:21], v20 offset:5120
	s_wait_dscnt 0x1
	v_add_nc_u32_e32 v2, v2, v30
	s_delay_alu instid0(VALU_DEP_1) | instskip(NEXT) | instid1(VALU_DEP_1)
	v_lshlrev_b64_e32 v[23:24], 3, v[2:3]
	v_add_co_u32 v23, vcc_lo, s26, v23
	s_wait_alu 0xfffd
	s_delay_alu instid0(VALU_DEP_2)
	v_add_co_ci_u32_e64 v24, null, s27, v24, vcc_lo
	s_wait_dscnt 0x0
	global_store_b64 v[23:24], v[20:21], off
	s_wait_alu 0xfffe
	s_or_b32 exec_lo, exec_lo, s15
	s_and_saveexec_b32 s15, s17
	s_cbranch_execz .LBB2055_304
.LBB2055_336:                           ;   in Loop: Header=BB2055_228 Depth=2
	v_lshlrev_b32_e32 v2, 2, v97
	v_add_nc_u32_e32 v20, v47, v48
	ds_load_b32 v2, v2
	ds_load_b64 v[20:21], v20 offset:7168
	s_wait_dscnt 0x1
	v_add_nc_u32_e32 v2, v2, v31
	s_delay_alu instid0(VALU_DEP_1) | instskip(NEXT) | instid1(VALU_DEP_1)
	v_lshlrev_b64_e32 v[23:24], 3, v[2:3]
	v_add_co_u32 v23, vcc_lo, s26, v23
	s_wait_alu 0xfffd
	s_delay_alu instid0(VALU_DEP_2)
	v_add_co_ci_u32_e64 v24, null, s27, v24, vcc_lo
	s_wait_dscnt 0x0
	global_store_b64 v[23:24], v[20:21], off
	s_wait_alu 0xfffe
	s_or_b32 exec_lo, exec_lo, s15
	s_and_saveexec_b32 s15, s18
	s_cbranch_execz .LBB2055_305
.LBB2055_337:                           ;   in Loop: Header=BB2055_228 Depth=2
	v_lshlrev_b32_e32 v2, 2, v96
	v_add_nc_u32_e32 v20, v47, v48
	ds_load_b32 v2, v2
	ds_load_b64 v[20:21], v20 offset:9216
	s_wait_dscnt 0x1
	v_add_nc_u32_e32 v2, v2, v34
	s_delay_alu instid0(VALU_DEP_1) | instskip(NEXT) | instid1(VALU_DEP_1)
	v_lshlrev_b64_e32 v[23:24], 3, v[2:3]
	v_add_co_u32 v23, vcc_lo, s26, v23
	s_wait_alu 0xfffd
	s_delay_alu instid0(VALU_DEP_2)
	v_add_co_ci_u32_e64 v24, null, s27, v24, vcc_lo
	s_wait_dscnt 0x0
	global_store_b64 v[23:24], v[20:21], off
	s_wait_alu 0xfffe
	s_or_b32 exec_lo, exec_lo, s15
	s_and_saveexec_b32 s15, s19
	s_cbranch_execz .LBB2055_306
.LBB2055_338:                           ;   in Loop: Header=BB2055_228 Depth=2
	v_lshlrev_b32_e32 v2, 2, v95
	v_add_nc_u32_e32 v20, v47, v48
	ds_load_b32 v2, v2
	ds_load_b64 v[20:21], v20 offset:11264
	s_wait_dscnt 0x1
	v_add_nc_u32_e32 v2, v2, v35
	s_delay_alu instid0(VALU_DEP_1) | instskip(NEXT) | instid1(VALU_DEP_1)
	v_lshlrev_b64_e32 v[23:24], 3, v[2:3]
	v_add_co_u32 v23, vcc_lo, s26, v23
	s_wait_alu 0xfffd
	s_delay_alu instid0(VALU_DEP_2)
	v_add_co_ci_u32_e64 v24, null, s27, v24, vcc_lo
	s_wait_dscnt 0x0
	global_store_b64 v[23:24], v[20:21], off
	s_wait_alu 0xfffe
	s_or_b32 exec_lo, exec_lo, s15
	s_and_saveexec_b32 s15, s20
	s_cbranch_execz .LBB2055_307
.LBB2055_339:                           ;   in Loop: Header=BB2055_228 Depth=2
	v_lshlrev_b32_e32 v2, 2, v94
	v_add_nc_u32_e32 v20, v47, v48
	ds_load_b32 v2, v2
	ds_load_b64 v[20:21], v20 offset:13312
	s_wait_dscnt 0x1
	v_add_nc_u32_e32 v2, v2, v36
	s_delay_alu instid0(VALU_DEP_1) | instskip(NEXT) | instid1(VALU_DEP_1)
	v_lshlrev_b64_e32 v[23:24], 3, v[2:3]
	v_add_co_u32 v23, vcc_lo, s26, v23
	s_wait_alu 0xfffd
	s_delay_alu instid0(VALU_DEP_2)
	v_add_co_ci_u32_e64 v24, null, s27, v24, vcc_lo
	s_wait_dscnt 0x0
	global_store_b64 v[23:24], v[20:21], off
	s_wait_alu 0xfffe
	s_or_b32 exec_lo, exec_lo, s15
	s_and_saveexec_b32 s15, s21
	s_cbranch_execnz .LBB2055_308
	s_branch .LBB2055_309
.LBB2055_340:                           ;   in Loop: Header=BB2055_12 Depth=1
	s_wait_loadcnt_dscnt 0x0
	s_barrier_signal -1
	s_barrier_wait -1
.LBB2055_341:                           ;   in Loop: Header=BB2055_12 Depth=1
	s_mov_b32 s0, 0
.LBB2055_342:                           ;   in Loop: Header=BB2055_12 Depth=1
	s_wait_alu 0xfffe
	s_and_not1_b32 vcc_lo, exec_lo, s0
	s_wait_alu 0xfffe
	s_cbranch_vccnz .LBB2055_11
; %bb.343:                              ;   in Loop: Header=BB2055_12 Depth=1
	s_and_b32 vcc_lo, exec_lo, s35
	s_mov_b32 s0, -1
	s_wait_alu 0xfffe
	s_cbranch_vccz .LBB2055_507
; %bb.344:                              ;   in Loop: Header=BB2055_12 Depth=1
	s_mov_b32 s9, s47
	s_mov_b32 s30, s33
	s_barrier_signal -1
	s_barrier_wait -1
	global_inv scope:SCOPE_SE
                                        ; implicit-def: $vgpr2
                                        ; implicit-def: $vgpr4
                                        ; implicit-def: $vgpr5
                                        ; implicit-def: $vgpr6
                                        ; implicit-def: $vgpr7
                                        ; implicit-def: $vgpr8
                                        ; implicit-def: $vgpr9
                                        ; implicit-def: $vgpr10
	s_branch .LBB2055_346
.LBB2055_345:                           ;   in Loop: Header=BB2055_346 Depth=2
	s_wait_alu 0xfffe
	s_or_b32 exec_lo, exec_lo, s0
	s_addk_co_i32 s9, 0xf800
	s_cmp_ge_u32 s10, s34
	s_mov_b32 s30, s10
	s_cbranch_scc1 .LBB2055_382
.LBB2055_346:                           ;   Parent Loop BB2055_12 Depth=1
                                        ; =>  This Inner Loop Header: Depth=2
	s_wait_alu 0xfffe
	s_add_co_i32 s10, s30, 0x800
	s_mov_b32 s0, -1
	s_wait_alu 0xfffe
	s_cmp_gt_u32 s10, s34
                                        ; implicit-def: $vgpr11
                                        ; implicit-def: $vgpr12
                                        ; implicit-def: $vgpr13
                                        ; implicit-def: $vgpr14
                                        ; implicit-def: $vgpr15
                                        ; implicit-def: $vgpr16
                                        ; implicit-def: $vgpr17
                                        ; implicit-def: $vgpr18
	s_cbranch_scc1 .LBB2055_348
; %bb.347:                              ;   in Loop: Header=BB2055_346 Depth=2
	s_lshl_b64 s[0:1], s[30:31], 1
	s_wait_alu 0xfffe
	v_add_co_u32 v18, vcc_lo, v55, s0
	s_wait_alu 0xfffd
	v_add_co_ci_u32_e64 v19, null, s1, v56, vcc_lo
	s_mov_b32 s0, 0
	s_clause 0x7
	global_load_u16 v11, v[18:19], off
	global_load_u16 v12, v[18:19], off offset:512
	global_load_u16 v13, v[18:19], off offset:1024
	global_load_u16 v14, v[18:19], off offset:1536
	global_load_u16 v15, v[18:19], off offset:2048
	global_load_u16 v16, v[18:19], off offset:2560
	global_load_u16 v17, v[18:19], off offset:3072
	global_load_u16 v18, v[18:19], off offset:3584
.LBB2055_348:                           ;   in Loop: Header=BB2055_346 Depth=2
	s_wait_alu 0xfffe
	s_and_not1_b32 vcc_lo, exec_lo, s0
	s_movk_i32 s0, 0x800
	s_wait_alu 0xfffe
	s_cbranch_vccnz .LBB2055_359
; %bb.349:                              ;   in Loop: Header=BB2055_346 Depth=2
	s_lshl_b64 s[0:1], s[30:31], 1
	s_mov_b32 s11, exec_lo
	s_wait_alu 0xfffe
	s_add_nc_u64 s[0:1], s[36:37], s[0:1]
	v_cmpx_gt_u32_e64 s9, v1
	s_cbranch_execnz .LBB2055_375
; %bb.350:                              ;   in Loop: Header=BB2055_346 Depth=2
	s_or_b32 exec_lo, exec_lo, s11
	s_delay_alu instid0(SALU_CYCLE_1)
	s_mov_b32 s11, exec_lo
	v_cmpx_gt_u32_e64 s9, v29
	s_cbranch_execnz .LBB2055_376
.LBB2055_351:                           ;   in Loop: Header=BB2055_346 Depth=2
	s_wait_alu 0xfffe
	s_or_b32 exec_lo, exec_lo, s11
	s_delay_alu instid0(SALU_CYCLE_1)
	s_mov_b32 s11, exec_lo
	v_cmpx_gt_u32_e64 s9, v30
	s_cbranch_execnz .LBB2055_377
.LBB2055_352:                           ;   in Loop: Header=BB2055_346 Depth=2
	s_wait_alu 0xfffe
	s_or_b32 exec_lo, exec_lo, s11
	s_delay_alu instid0(SALU_CYCLE_1)
	s_mov_b32 s11, exec_lo
	v_cmpx_gt_u32_e64 s9, v31
	s_cbranch_execnz .LBB2055_378
.LBB2055_353:                           ;   in Loop: Header=BB2055_346 Depth=2
	s_wait_alu 0xfffe
	s_or_b32 exec_lo, exec_lo, s11
	s_delay_alu instid0(SALU_CYCLE_1)
	s_mov_b32 s11, exec_lo
	v_cmpx_gt_u32_e64 s9, v34
	s_cbranch_execnz .LBB2055_379
.LBB2055_354:                           ;   in Loop: Header=BB2055_346 Depth=2
	s_wait_alu 0xfffe
	s_or_b32 exec_lo, exec_lo, s11
	s_delay_alu instid0(SALU_CYCLE_1)
	s_mov_b32 s11, exec_lo
	v_cmpx_gt_u32_e64 s9, v35
	s_cbranch_execnz .LBB2055_380
.LBB2055_355:                           ;   in Loop: Header=BB2055_346 Depth=2
	s_wait_alu 0xfffe
	s_or_b32 exec_lo, exec_lo, s11
	s_delay_alu instid0(SALU_CYCLE_1)
	s_mov_b32 s11, exec_lo
	v_cmpx_gt_u32_e64 s9, v36
	s_cbranch_execnz .LBB2055_381
.LBB2055_356:                           ;   in Loop: Header=BB2055_346 Depth=2
	s_wait_alu 0xfffe
	s_or_b32 exec_lo, exec_lo, s11
	s_delay_alu instid0(SALU_CYCLE_1)
	s_mov_b32 s11, exec_lo
	v_cmpx_gt_u32_e64 s9, v37
	s_cbranch_execz .LBB2055_358
.LBB2055_357:                           ;   in Loop: Header=BB2055_346 Depth=2
	global_load_u16 v2, v82, s[0:1] offset:3584
.LBB2055_358:                           ;   in Loop: Header=BB2055_346 Depth=2
	s_wait_alu 0xfffe
	s_or_b32 exec_lo, exec_lo, s11
	s_wait_loadcnt 0x0
	v_dual_mov_b32 v11, v10 :: v_dual_mov_b32 v12, v9
	v_dual_mov_b32 v13, v8 :: v_dual_mov_b32 v14, v7
	;; [unrolled: 1-line block ×4, first 2 shown]
	s_mov_b32 s0, s9
.LBB2055_359:                           ;   in Loop: Header=BB2055_346 Depth=2
	s_wait_loadcnt 0x0
	s_delay_alu instid0(VALU_DEP_1) | instskip(NEXT) | instid1(VALU_DEP_2)
	v_dual_mov_b32 v2, v18 :: v_dual_mov_b32 v5, v16
	v_dual_mov_b32 v4, v17 :: v_dual_mov_b32 v7, v14
	;; [unrolled: 1-line block ×3, first 2 shown]
	v_mov_b32_e32 v8, v13
	v_mov_b32_e32 v10, v11
	s_mov_b32 s1, exec_lo
	s_wait_alu 0xfffe
	v_cmpx_gt_u32_e64 s0, v1
	s_cbranch_execnz .LBB2055_367
; %bb.360:                              ;   in Loop: Header=BB2055_346 Depth=2
	s_or_b32 exec_lo, exec_lo, s1
	s_delay_alu instid0(SALU_CYCLE_1)
	s_mov_b32 s1, exec_lo
	v_cmpx_gt_u32_e64 s0, v29
	s_cbranch_execnz .LBB2055_368
.LBB2055_361:                           ;   in Loop: Header=BB2055_346 Depth=2
	s_wait_alu 0xfffe
	s_or_b32 exec_lo, exec_lo, s1
	s_delay_alu instid0(SALU_CYCLE_1)
	s_mov_b32 s1, exec_lo
	v_cmpx_gt_u32_e64 s0, v30
	s_cbranch_execnz .LBB2055_369
.LBB2055_362:                           ;   in Loop: Header=BB2055_346 Depth=2
	s_wait_alu 0xfffe
	s_or_b32 exec_lo, exec_lo, s1
	s_delay_alu instid0(SALU_CYCLE_1)
	s_mov_b32 s1, exec_lo
	v_cmpx_gt_u32_e64 s0, v31
	s_cbranch_execnz .LBB2055_370
.LBB2055_363:                           ;   in Loop: Header=BB2055_346 Depth=2
	s_wait_alu 0xfffe
	s_or_b32 exec_lo, exec_lo, s1
	s_delay_alu instid0(SALU_CYCLE_1)
	s_mov_b32 s1, exec_lo
	v_cmpx_gt_u32_e64 s0, v34
	s_cbranch_execnz .LBB2055_371
.LBB2055_364:                           ;   in Loop: Header=BB2055_346 Depth=2
	s_wait_alu 0xfffe
	s_or_b32 exec_lo, exec_lo, s1
	s_delay_alu instid0(SALU_CYCLE_1)
	s_mov_b32 s1, exec_lo
	v_cmpx_gt_u32_e64 s0, v35
	s_cbranch_execnz .LBB2055_372
.LBB2055_365:                           ;   in Loop: Header=BB2055_346 Depth=2
	s_wait_alu 0xfffe
	s_or_b32 exec_lo, exec_lo, s1
	s_delay_alu instid0(SALU_CYCLE_1)
	s_mov_b32 s1, exec_lo
	v_cmpx_gt_u32_e64 s0, v36
	s_cbranch_execnz .LBB2055_373
.LBB2055_366:                           ;   in Loop: Header=BB2055_346 Depth=2
	s_wait_alu 0xfffe
	s_or_b32 exec_lo, exec_lo, s1
	v_cmp_gt_u32_e32 vcc_lo, s0, v37
	s_and_saveexec_b32 s0, vcc_lo
	s_cbranch_execz .LBB2055_345
	s_branch .LBB2055_374
.LBB2055_367:                           ;   in Loop: Header=BB2055_346 Depth=2
	v_cmp_lt_i16_e32 vcc_lo, -1, v10
	s_wait_alu 0xfffd
	v_cndmask_b32_e64 v11, -1, 0xffff8000, vcc_lo
	s_delay_alu instid0(VALU_DEP_1) | instskip(NEXT) | instid1(VALU_DEP_1)
	v_xor_b32_e32 v11, v11, v10
	v_cmp_ne_u16_e32 vcc_lo, 0x7fff, v11
	s_wait_alu 0xfffd
	v_cndmask_b32_e32 v11, 0xffff8000, v11, vcc_lo
	s_delay_alu instid0(VALU_DEP_1) | instskip(NEXT) | instid1(VALU_DEP_1)
	v_and_b32_e32 v11, 0xffff, v11
	v_lshrrev_b32_e32 v11, s45, v11
	s_delay_alu instid0(VALU_DEP_1) | instskip(NEXT) | instid1(VALU_DEP_1)
	v_and_b32_e32 v11, s42, v11
	v_lshl_or_b32 v11, v11, 4, v39
	ds_add_u32 v11, v62
	s_or_b32 exec_lo, exec_lo, s1
	s_delay_alu instid0(SALU_CYCLE_1)
	s_mov_b32 s1, exec_lo
	v_cmpx_gt_u32_e64 s0, v29
	s_cbranch_execz .LBB2055_361
.LBB2055_368:                           ;   in Loop: Header=BB2055_346 Depth=2
	v_cmp_lt_i16_e32 vcc_lo, -1, v9
	s_wait_alu 0xfffd
	v_cndmask_b32_e64 v11, -1, 0xffff8000, vcc_lo
	s_delay_alu instid0(VALU_DEP_1) | instskip(NEXT) | instid1(VALU_DEP_1)
	v_xor_b32_e32 v11, v11, v9
	v_cmp_ne_u16_e32 vcc_lo, 0x7fff, v11
	s_wait_alu 0xfffd
	v_cndmask_b32_e32 v11, 0xffff8000, v11, vcc_lo
	s_delay_alu instid0(VALU_DEP_1) | instskip(NEXT) | instid1(VALU_DEP_1)
	v_and_b32_e32 v11, 0xffff, v11
	v_lshrrev_b32_e32 v11, s45, v11
	s_delay_alu instid0(VALU_DEP_1) | instskip(NEXT) | instid1(VALU_DEP_1)
	v_and_b32_e32 v11, s42, v11
	v_lshl_or_b32 v11, v11, 4, v39
	ds_add_u32 v11, v62
	s_wait_alu 0xfffe
	s_or_b32 exec_lo, exec_lo, s1
	s_delay_alu instid0(SALU_CYCLE_1)
	s_mov_b32 s1, exec_lo
	v_cmpx_gt_u32_e64 s0, v30
	s_cbranch_execz .LBB2055_362
.LBB2055_369:                           ;   in Loop: Header=BB2055_346 Depth=2
	v_cmp_lt_i16_e32 vcc_lo, -1, v8
	s_wait_alu 0xfffd
	v_cndmask_b32_e64 v11, -1, 0xffff8000, vcc_lo
	s_delay_alu instid0(VALU_DEP_1) | instskip(NEXT) | instid1(VALU_DEP_1)
	v_xor_b32_e32 v11, v11, v8
	v_cmp_ne_u16_e32 vcc_lo, 0x7fff, v11
	s_wait_alu 0xfffd
	v_cndmask_b32_e32 v11, 0xffff8000, v11, vcc_lo
	s_delay_alu instid0(VALU_DEP_1) | instskip(NEXT) | instid1(VALU_DEP_1)
	v_and_b32_e32 v11, 0xffff, v11
	v_lshrrev_b32_e32 v11, s45, v11
	s_delay_alu instid0(VALU_DEP_1) | instskip(NEXT) | instid1(VALU_DEP_1)
	v_and_b32_e32 v11, s42, v11
	v_lshl_or_b32 v11, v11, 4, v39
	ds_add_u32 v11, v62
	s_wait_alu 0xfffe
	s_or_b32 exec_lo, exec_lo, s1
	s_delay_alu instid0(SALU_CYCLE_1)
	s_mov_b32 s1, exec_lo
	v_cmpx_gt_u32_e64 s0, v31
	s_cbranch_execz .LBB2055_363
.LBB2055_370:                           ;   in Loop: Header=BB2055_346 Depth=2
	v_cmp_lt_i16_e32 vcc_lo, -1, v7
	s_wait_alu 0xfffd
	v_cndmask_b32_e64 v11, -1, 0xffff8000, vcc_lo
	s_delay_alu instid0(VALU_DEP_1) | instskip(NEXT) | instid1(VALU_DEP_1)
	v_xor_b32_e32 v11, v11, v7
	v_cmp_ne_u16_e32 vcc_lo, 0x7fff, v11
	s_wait_alu 0xfffd
	v_cndmask_b32_e32 v11, 0xffff8000, v11, vcc_lo
	s_delay_alu instid0(VALU_DEP_1) | instskip(NEXT) | instid1(VALU_DEP_1)
	v_and_b32_e32 v11, 0xffff, v11
	v_lshrrev_b32_e32 v11, s45, v11
	s_delay_alu instid0(VALU_DEP_1) | instskip(NEXT) | instid1(VALU_DEP_1)
	v_and_b32_e32 v11, s42, v11
	v_lshl_or_b32 v11, v11, 4, v39
	ds_add_u32 v11, v62
	s_wait_alu 0xfffe
	s_or_b32 exec_lo, exec_lo, s1
	s_delay_alu instid0(SALU_CYCLE_1)
	s_mov_b32 s1, exec_lo
	v_cmpx_gt_u32_e64 s0, v34
	s_cbranch_execz .LBB2055_364
.LBB2055_371:                           ;   in Loop: Header=BB2055_346 Depth=2
	v_cmp_lt_i16_e32 vcc_lo, -1, v6
	s_wait_alu 0xfffd
	v_cndmask_b32_e64 v11, -1, 0xffff8000, vcc_lo
	s_delay_alu instid0(VALU_DEP_1) | instskip(NEXT) | instid1(VALU_DEP_1)
	v_xor_b32_e32 v11, v11, v6
	v_cmp_ne_u16_e32 vcc_lo, 0x7fff, v11
	s_wait_alu 0xfffd
	v_cndmask_b32_e32 v11, 0xffff8000, v11, vcc_lo
	s_delay_alu instid0(VALU_DEP_1) | instskip(NEXT) | instid1(VALU_DEP_1)
	v_and_b32_e32 v11, 0xffff, v11
	v_lshrrev_b32_e32 v11, s45, v11
	s_delay_alu instid0(VALU_DEP_1) | instskip(NEXT) | instid1(VALU_DEP_1)
	v_and_b32_e32 v11, s42, v11
	v_lshl_or_b32 v11, v11, 4, v39
	ds_add_u32 v11, v62
	s_wait_alu 0xfffe
	s_or_b32 exec_lo, exec_lo, s1
	s_delay_alu instid0(SALU_CYCLE_1)
	s_mov_b32 s1, exec_lo
	v_cmpx_gt_u32_e64 s0, v35
	s_cbranch_execz .LBB2055_365
.LBB2055_372:                           ;   in Loop: Header=BB2055_346 Depth=2
	v_cmp_lt_i16_e32 vcc_lo, -1, v5
	s_wait_alu 0xfffd
	v_cndmask_b32_e64 v11, -1, 0xffff8000, vcc_lo
	s_delay_alu instid0(VALU_DEP_1) | instskip(NEXT) | instid1(VALU_DEP_1)
	v_xor_b32_e32 v11, v11, v5
	v_cmp_ne_u16_e32 vcc_lo, 0x7fff, v11
	s_wait_alu 0xfffd
	v_cndmask_b32_e32 v11, 0xffff8000, v11, vcc_lo
	s_delay_alu instid0(VALU_DEP_1) | instskip(NEXT) | instid1(VALU_DEP_1)
	v_and_b32_e32 v11, 0xffff, v11
	v_lshrrev_b32_e32 v11, s45, v11
	s_delay_alu instid0(VALU_DEP_1) | instskip(NEXT) | instid1(VALU_DEP_1)
	v_and_b32_e32 v11, s42, v11
	v_lshl_or_b32 v11, v11, 4, v39
	ds_add_u32 v11, v62
	s_wait_alu 0xfffe
	s_or_b32 exec_lo, exec_lo, s1
	s_delay_alu instid0(SALU_CYCLE_1)
	s_mov_b32 s1, exec_lo
	v_cmpx_gt_u32_e64 s0, v36
	s_cbranch_execz .LBB2055_366
.LBB2055_373:                           ;   in Loop: Header=BB2055_346 Depth=2
	v_cmp_lt_i16_e32 vcc_lo, -1, v4
	s_wait_alu 0xfffd
	v_cndmask_b32_e64 v11, -1, 0xffff8000, vcc_lo
	s_delay_alu instid0(VALU_DEP_1) | instskip(NEXT) | instid1(VALU_DEP_1)
	v_xor_b32_e32 v11, v11, v4
	v_cmp_ne_u16_e32 vcc_lo, 0x7fff, v11
	s_wait_alu 0xfffd
	v_cndmask_b32_e32 v11, 0xffff8000, v11, vcc_lo
	s_delay_alu instid0(VALU_DEP_1) | instskip(NEXT) | instid1(VALU_DEP_1)
	v_and_b32_e32 v11, 0xffff, v11
	v_lshrrev_b32_e32 v11, s45, v11
	s_delay_alu instid0(VALU_DEP_1) | instskip(NEXT) | instid1(VALU_DEP_1)
	v_and_b32_e32 v11, s42, v11
	v_lshl_or_b32 v11, v11, 4, v39
	ds_add_u32 v11, v62
	s_wait_alu 0xfffe
	s_or_b32 exec_lo, exec_lo, s1
	v_cmp_gt_u32_e32 vcc_lo, s0, v37
	s_and_saveexec_b32 s0, vcc_lo
	s_cbranch_execz .LBB2055_345
.LBB2055_374:                           ;   in Loop: Header=BB2055_346 Depth=2
	v_cmp_lt_i16_e32 vcc_lo, -1, v2
	s_wait_alu 0xfffd
	v_cndmask_b32_e64 v11, -1, 0xffff8000, vcc_lo
	s_delay_alu instid0(VALU_DEP_1) | instskip(NEXT) | instid1(VALU_DEP_1)
	v_xor_b32_e32 v11, v11, v2
	v_cmp_ne_u16_e32 vcc_lo, 0x7fff, v11
	s_wait_alu 0xfffd
	v_cndmask_b32_e32 v11, 0xffff8000, v11, vcc_lo
	s_delay_alu instid0(VALU_DEP_1) | instskip(NEXT) | instid1(VALU_DEP_1)
	v_and_b32_e32 v11, 0xffff, v11
	v_lshrrev_b32_e32 v11, s45, v11
	s_delay_alu instid0(VALU_DEP_1) | instskip(NEXT) | instid1(VALU_DEP_1)
	v_and_b32_e32 v11, s42, v11
	v_lshl_or_b32 v11, v11, 4, v39
	ds_add_u32 v11, v62
	s_branch .LBB2055_345
.LBB2055_375:                           ;   in Loop: Header=BB2055_346 Depth=2
	global_load_u16 v10, v82, s[0:1]
	s_or_b32 exec_lo, exec_lo, s11
	s_delay_alu instid0(SALU_CYCLE_1)
	s_mov_b32 s11, exec_lo
	v_cmpx_gt_u32_e64 s9, v29
	s_cbranch_execz .LBB2055_351
.LBB2055_376:                           ;   in Loop: Header=BB2055_346 Depth=2
	global_load_u16 v9, v82, s[0:1] offset:512
	s_wait_alu 0xfffe
	s_or_b32 exec_lo, exec_lo, s11
	s_delay_alu instid0(SALU_CYCLE_1)
	s_mov_b32 s11, exec_lo
	v_cmpx_gt_u32_e64 s9, v30
	s_cbranch_execz .LBB2055_352
.LBB2055_377:                           ;   in Loop: Header=BB2055_346 Depth=2
	global_load_u16 v8, v82, s[0:1] offset:1024
	s_wait_alu 0xfffe
	s_or_b32 exec_lo, exec_lo, s11
	s_delay_alu instid0(SALU_CYCLE_1)
	s_mov_b32 s11, exec_lo
	v_cmpx_gt_u32_e64 s9, v31
	s_cbranch_execz .LBB2055_353
.LBB2055_378:                           ;   in Loop: Header=BB2055_346 Depth=2
	global_load_u16 v7, v82, s[0:1] offset:1536
	s_wait_alu 0xfffe
	s_or_b32 exec_lo, exec_lo, s11
	s_delay_alu instid0(SALU_CYCLE_1)
	s_mov_b32 s11, exec_lo
	v_cmpx_gt_u32_e64 s9, v34
	s_cbranch_execz .LBB2055_354
.LBB2055_379:                           ;   in Loop: Header=BB2055_346 Depth=2
	global_load_u16 v6, v82, s[0:1] offset:2048
	s_wait_alu 0xfffe
	s_or_b32 exec_lo, exec_lo, s11
	s_delay_alu instid0(SALU_CYCLE_1)
	s_mov_b32 s11, exec_lo
	v_cmpx_gt_u32_e64 s9, v35
	s_cbranch_execz .LBB2055_355
.LBB2055_380:                           ;   in Loop: Header=BB2055_346 Depth=2
	global_load_u16 v5, v82, s[0:1] offset:2560
	s_wait_alu 0xfffe
	s_or_b32 exec_lo, exec_lo, s11
	s_delay_alu instid0(SALU_CYCLE_1)
	s_mov_b32 s11, exec_lo
	v_cmpx_gt_u32_e64 s9, v36
	s_cbranch_execz .LBB2055_356
.LBB2055_381:                           ;   in Loop: Header=BB2055_346 Depth=2
	global_load_u16 v4, v82, s[0:1] offset:3072
	s_wait_alu 0xfffe
	s_or_b32 exec_lo, exec_lo, s11
	s_delay_alu instid0(SALU_CYCLE_1)
	s_mov_b32 s11, exec_lo
	v_cmpx_gt_u32_e64 s9, v37
	s_cbranch_execnz .LBB2055_357
	s_branch .LBB2055_358
.LBB2055_382:                           ;   in Loop: Header=BB2055_12 Depth=1
	v_mov_b32_e32 v2, 0
	s_wait_dscnt 0x0
	s_barrier_signal -1
	s_barrier_wait -1
	global_inv scope:SCOPE_SE
	s_and_saveexec_b32 s0, s2
	s_cbranch_execz .LBB2055_384
; %bb.383:                              ;   in Loop: Header=BB2055_12 Depth=1
	ds_load_2addr_b64 v[4:7], v40 offset1:1
	s_wait_dscnt 0x0
	v_add_nc_u32_e32 v2, v5, v4
	s_delay_alu instid0(VALU_DEP_1)
	v_add3_u32 v2, v2, v6, v7
.LBB2055_384:                           ;   in Loop: Header=BB2055_12 Depth=1
	s_wait_alu 0xfffe
	s_or_b32 exec_lo, exec_lo, s0
	s_delay_alu instid0(VALU_DEP_1)
	v_mov_b32_dpp v4, v2 row_shr:1 row_mask:0xf bank_mask:0xf
	v_cmp_eq_u32_e64 s0, 0, v63
	v_cmp_lt_u32_e64 s1, 1, v63
	v_cmp_lt_u32_e64 s9, 3, v63
	;; [unrolled: 1-line block ×3, first 2 shown]
	v_cmp_eq_u32_e64 s11, 0, v65
	s_wait_alu 0xf1ff
	v_cndmask_b32_e64 v4, v4, 0, s0
	s_delay_alu instid0(VALU_DEP_1) | instskip(NEXT) | instid1(VALU_DEP_1)
	v_add_nc_u32_e32 v2, v4, v2
	v_mov_b32_dpp v4, v2 row_shr:2 row_mask:0xf bank_mask:0xf
	s_delay_alu instid0(VALU_DEP_1) | instskip(NEXT) | instid1(VALU_DEP_1)
	v_cndmask_b32_e64 v4, 0, v4, s1
	v_add_nc_u32_e32 v2, v2, v4
	s_delay_alu instid0(VALU_DEP_1) | instskip(NEXT) | instid1(VALU_DEP_1)
	v_mov_b32_dpp v4, v2 row_shr:4 row_mask:0xf bank_mask:0xf
	v_cndmask_b32_e64 v4, 0, v4, s9
	s_delay_alu instid0(VALU_DEP_1) | instskip(NEXT) | instid1(VALU_DEP_1)
	v_add_nc_u32_e32 v2, v2, v4
	v_mov_b32_dpp v4, v2 row_shr:8 row_mask:0xf bank_mask:0xf
	s_delay_alu instid0(VALU_DEP_1) | instskip(NEXT) | instid1(VALU_DEP_1)
	v_cndmask_b32_e64 v4, 0, v4, s10
	v_add_nc_u32_e32 v2, v2, v4
	ds_swizzle_b32 v4, v2 offset:swizzle(BROADCAST,32,15)
	s_wait_dscnt 0x0
	v_and_b32_e32 v4, v64, v4
	s_delay_alu instid0(VALU_DEP_1)
	v_add_nc_u32_e32 v2, v2, v4
	s_and_saveexec_b32 s12, s3
; %bb.385:                              ;   in Loop: Header=BB2055_12 Depth=1
	ds_store_b32 v41, v2
; %bb.386:                              ;   in Loop: Header=BB2055_12 Depth=1
	s_wait_alu 0xfffe
	s_or_b32 exec_lo, exec_lo, s12
	s_wait_loadcnt_dscnt 0x0
	s_barrier_signal -1
	s_barrier_wait -1
	global_inv scope:SCOPE_SE
	s_and_saveexec_b32 s12, s4
	s_cbranch_execz .LBB2055_388
; %bb.387:                              ;   in Loop: Header=BB2055_12 Depth=1
	ds_load_b32 v4, v42
	v_cmp_ne_u32_e32 vcc_lo, 0, v67
	s_wait_dscnt 0x0
	v_mov_b32_dpp v5, v4 row_shr:1 row_mask:0xf bank_mask:0xf
	s_wait_alu 0xfffd
	s_delay_alu instid0(VALU_DEP_1) | instskip(SKIP_1) | instid1(VALU_DEP_2)
	v_cndmask_b32_e32 v5, 0, v5, vcc_lo
	v_cmp_lt_u32_e32 vcc_lo, 1, v67
	v_add_nc_u32_e32 v4, v5, v4
	s_delay_alu instid0(VALU_DEP_1) | instskip(SKIP_1) | instid1(VALU_DEP_1)
	v_mov_b32_dpp v5, v4 row_shr:2 row_mask:0xf bank_mask:0xf
	s_wait_alu 0xfffd
	v_cndmask_b32_e32 v5, 0, v5, vcc_lo
	v_cmp_lt_u32_e32 vcc_lo, 3, v67
	s_delay_alu instid0(VALU_DEP_2) | instskip(NEXT) | instid1(VALU_DEP_1)
	v_add_nc_u32_e32 v4, v4, v5
	v_mov_b32_dpp v5, v4 row_shr:4 row_mask:0xf bank_mask:0xf
	s_wait_alu 0xfffd
	s_delay_alu instid0(VALU_DEP_1) | instskip(NEXT) | instid1(VALU_DEP_1)
	v_cndmask_b32_e32 v5, 0, v5, vcc_lo
	v_add_nc_u32_e32 v4, v4, v5
	ds_store_b32 v42, v4
.LBB2055_388:                           ;   in Loop: Header=BB2055_12 Depth=1
	s_wait_alu 0xfffe
	s_or_b32 exec_lo, exec_lo, s12
	v_mov_b32_e32 v4, 0
	s_wait_loadcnt_dscnt 0x0
	s_barrier_signal -1
	s_barrier_wait -1
	global_inv scope:SCOPE_SE
	s_and_saveexec_b32 s12, s5
; %bb.389:                              ;   in Loop: Header=BB2055_12 Depth=1
	ds_load_b32 v4, v44
; %bb.390:                              ;   in Loop: Header=BB2055_12 Depth=1
	s_wait_alu 0xfffe
	s_or_b32 exec_lo, exec_lo, s12
	v_cmp_gt_i32_e32 vcc_lo, 0, v68
	s_wait_dscnt 0x0
	v_add_nc_u32_e32 v2, v4, v2
	s_wait_loadcnt 0x0
	s_barrier_signal -1
	s_barrier_wait -1
	s_wait_alu 0xfffd
	v_cndmask_b32_e32 v5, v68, v59, vcc_lo
	global_inv scope:SCOPE_SE
	v_lshlrev_b32_e32 v87, 2, v5
	ds_bpermute_b32 v2, v87, v2
	s_and_saveexec_b32 s12, s2
	s_cbranch_execz .LBB2055_392
; %bb.391:                              ;   in Loop: Header=BB2055_12 Depth=1
	s_wait_dscnt 0x0
	v_cndmask_b32_e64 v2, v2, v4, s8
	s_delay_alu instid0(VALU_DEP_1)
	v_add_nc_u32_e32 v2, s33, v2
	ds_store_b32 v28, v2
.LBB2055_392:                           ;   in Loop: Header=BB2055_12 Depth=1
	s_wait_alu 0xfffe
	s_or_b32 exec_lo, exec_lo, s12
	s_load_b64 s[12:13], s[28:29], 0x0
	v_add_co_u32 v88, vcc_lo, v57, v69
	s_wait_alu 0xfffd
	v_add_co_ci_u32_e64 v89, null, 0, v58, vcc_lo
	v_add_co_u32 v90, vcc_lo, v60, v77
	s_wait_alu 0xfffd
	v_add_co_ci_u32_e64 v91, null, 0, v61, vcc_lo
	s_mov_b32 s43, s47
                                        ; implicit-def: $vgpr6_vgpr7
                                        ; implicit-def: $vgpr8_vgpr9
                                        ; implicit-def: $vgpr10_vgpr11
                                        ; implicit-def: $vgpr12_vgpr13
                                        ; implicit-def: $vgpr14_vgpr15
                                        ; implicit-def: $vgpr16_vgpr17
                                        ; implicit-def: $vgpr18_vgpr19
                                        ; implicit-def: $vgpr93
                                        ; implicit-def: $vgpr94
                                        ; implicit-def: $vgpr95
                                        ; implicit-def: $vgpr96
                                        ; implicit-def: $vgpr97
                                        ; implicit-def: $vgpr98
                                        ; implicit-def: $vgpr99
                                        ; implicit-def: $vgpr100
	s_wait_kmcnt 0x0
	s_cmp_lt_u32 ttmp7, s13
	s_cselect_b32 s30, 14, 20
	s_cmp_lt_u32 ttmp9, s12
	s_wait_alu 0xfffe
	s_add_nc_u64 s[14:15], s[28:29], s[30:31]
	s_cselect_b32 s30, 12, 18
	s_load_u16 s14, s[14:15], 0x0
	s_add_nc_u64 s[12:13], s[28:29], s[30:31]
	s_mov_b32 s30, s33
	s_load_u16 s12, s[12:13], 0x0
	v_cmp_lt_u32_e64 s13, 1, v67
	s_wait_dscnt 0x0
	s_wait_kmcnt 0x0
	v_mad_u32_u24 v2, v45, s14, v0
	v_cmp_lt_u32_e64 s14, 3, v67
	s_delay_alu instid0(VALU_DEP_2) | instskip(SKIP_1) | instid1(VALU_DEP_2)
	v_mad_co_u64_u32 v[4:5], null, v2, s12, v[1:2]
	v_cmp_eq_u32_e64 s12, 0, v67
	v_lshrrev_b32_e32 v2, 3, v4
                                        ; implicit-def: $vgpr4_vgpr5
	s_delay_alu instid0(VALU_DEP_1)
	v_and_b32_e32 v92, 0x1ffffffc, v2
	s_branch .LBB2055_394
.LBB2055_393:                           ;   in Loop: Header=BB2055_394 Depth=2
	s_wait_alu 0xfffe
	s_or_b32 exec_lo, exec_lo, s15
	s_addk_co_i32 s43, 0xf800
	s_cmp_lt_u32 s44, s34
	s_mov_b32 s30, s44
	s_cbranch_scc0 .LBB2055_506
.LBB2055_394:                           ;   Parent Loop BB2055_12 Depth=1
                                        ; =>  This Inner Loop Header: Depth=2
	s_wait_alu 0xfffe
	s_add_co_i32 s44, s30, 0x800
	s_wait_alu 0xfffe
	s_cmp_gt_u32 s44, s34
	s_cbranch_scc1 .LBB2055_396
; %bb.395:                              ;   in Loop: Header=BB2055_394 Depth=2
	s_lshl_b64 s[16:17], s[30:31], 1
	s_mov_b32 s15, -1
	s_wait_alu 0xfffe
	v_add_co_u32 v20, vcc_lo, v90, s16
	s_wait_alu 0xfffd
	v_add_co_ci_u32_e64 v21, null, s17, v91, vcc_lo
	s_clause 0x6
	global_load_u16 v2, v[20:21], off
	global_load_u16 v27, v[20:21], off offset:64
	global_load_u16 v26, v[20:21], off offset:128
	;; [unrolled: 1-line block ×6, first 2 shown]
	s_movk_i32 s16, 0x800
	s_cbranch_execz .LBB2055_397
	s_branch .LBB2055_412
.LBB2055_396:                           ;   in Loop: Header=BB2055_394 Depth=2
	s_mov_b32 s15, 0
                                        ; implicit-def: $vgpr2
                                        ; implicit-def: $vgpr27
                                        ; implicit-def: $vgpr26
                                        ; implicit-def: $vgpr25
                                        ; implicit-def: $vgpr24
                                        ; implicit-def: $vgpr23
                                        ; implicit-def: $vgpr22
	s_movk_i32 s16, 0x800
.LBB2055_397:                           ;   in Loop: Header=BB2055_394 Depth=2
	s_lshl_b64 s[16:17], s[30:31], 1
	s_wait_loadcnt 0x5
	v_dual_mov_b32 v27, 0x7fff :: v_dual_mov_b32 v2, 0x7fff
	s_wait_alu 0xfffe
	v_add_co_u32 v20, vcc_lo, v90, s16
	s_wait_alu 0xfffd
	v_add_co_ci_u32_e64 v21, null, s17, v91, vcc_lo
	s_mov_b32 s15, exec_lo
	v_cmpx_gt_u32_e64 s43, v66
	s_cbranch_execz .LBB2055_399
; %bb.398:                              ;   in Loop: Header=BB2055_394 Depth=2
	global_load_u16 v2, v[20:21], off
.LBB2055_399:                           ;   in Loop: Header=BB2055_394 Depth=2
	s_wait_alu 0xfffe
	s_or_b32 exec_lo, exec_lo, s15
	s_delay_alu instid0(SALU_CYCLE_1)
	s_mov_b32 s15, exec_lo
	v_cmpx_gt_u32_e64 s43, v70
	s_cbranch_execz .LBB2055_401
; %bb.400:                              ;   in Loop: Header=BB2055_394 Depth=2
	global_load_u16 v27, v[20:21], off offset:64
.LBB2055_401:                           ;   in Loop: Header=BB2055_394 Depth=2
	s_wait_alu 0xfffe
	s_or_b32 exec_lo, exec_lo, s15
	s_wait_loadcnt 0x3
	v_dual_mov_b32 v25, 0x7fff :: v_dual_mov_b32 v26, 0x7fff
	s_mov_b32 s15, exec_lo
	v_cmpx_gt_u32_e64 s43, v71
	s_cbranch_execz .LBB2055_403
; %bb.402:                              ;   in Loop: Header=BB2055_394 Depth=2
	global_load_u16 v26, v[20:21], off offset:128
.LBB2055_403:                           ;   in Loop: Header=BB2055_394 Depth=2
	s_wait_alu 0xfffe
	s_or_b32 exec_lo, exec_lo, s15
	s_delay_alu instid0(SALU_CYCLE_1)
	s_mov_b32 s15, exec_lo
	v_cmpx_gt_u32_e64 s43, v72
	s_cbranch_execz .LBB2055_405
; %bb.404:                              ;   in Loop: Header=BB2055_394 Depth=2
	global_load_u16 v25, v[20:21], off offset:192
.LBB2055_405:                           ;   in Loop: Header=BB2055_394 Depth=2
	s_wait_alu 0xfffe
	s_or_b32 exec_lo, exec_lo, s15
	s_wait_loadcnt 0x1
	v_dual_mov_b32 v23, 0x7fff :: v_dual_mov_b32 v24, 0x7fff
	s_mov_b32 s15, exec_lo
	v_cmpx_gt_u32_e64 s43, v73
	s_cbranch_execz .LBB2055_407
; %bb.406:                              ;   in Loop: Header=BB2055_394 Depth=2
	global_load_u16 v24, v[20:21], off offset:256
.LBB2055_407:                           ;   in Loop: Header=BB2055_394 Depth=2
	s_wait_alu 0xfffe
	s_or_b32 exec_lo, exec_lo, s15
	s_delay_alu instid0(SALU_CYCLE_1)
	s_mov_b32 s15, exec_lo
	v_cmpx_gt_u32_e64 s43, v74
	s_cbranch_execz .LBB2055_409
; %bb.408:                              ;   in Loop: Header=BB2055_394 Depth=2
	global_load_u16 v23, v[20:21], off offset:320
.LBB2055_409:                           ;   in Loop: Header=BB2055_394 Depth=2
	s_wait_alu 0xfffe
	s_or_b32 exec_lo, exec_lo, s15
	s_wait_loadcnt 0x0
	v_mov_b32_e32 v22, 0x7fff
	s_mov_b32 s15, exec_lo
	v_cmpx_gt_u32_e64 s43, v75
	s_cbranch_execz .LBB2055_411
; %bb.410:                              ;   in Loop: Header=BB2055_394 Depth=2
	global_load_u16 v22, v[20:21], off offset:384
.LBB2055_411:                           ;   in Loop: Header=BB2055_394 Depth=2
	s_wait_alu 0xfffe
	s_or_b32 exec_lo, exec_lo, s15
	v_cmp_gt_u32_e64 s15, s43, v76
	s_sub_co_i32 s16, s34, s30
.LBB2055_412:                           ;   in Loop: Header=BB2055_394 Depth=2
	v_dual_mov_b32 v20, 0x7fff :: v_dual_mov_b32 v101, s43
	s_and_saveexec_b32 s17, s15
	s_cbranch_execz .LBB2055_414
; %bb.413:                              ;   in Loop: Header=BB2055_394 Depth=2
	s_lshl_b64 s[18:19], s[30:31], 1
	s_wait_alu 0xfffe
	v_mov_b32_e32 v101, s16
	v_add_co_u32 v20, vcc_lo, v90, s18
	s_wait_alu 0xfffd
	v_add_co_ci_u32_e64 v21, null, s19, v91, vcc_lo
	global_load_u16 v20, v[20:21], off offset:448
.LBB2055_414:                           ;   in Loop: Header=BB2055_394 Depth=2
	s_wait_alu 0xfffe
	s_or_b32 exec_lo, exec_lo, s17
	s_wait_loadcnt 0x6
	v_cmp_lt_i16_e32 vcc_lo, -1, v2
	ds_store_2addr_b32 v81, v3, v3 offset1:1
	ds_store_2addr_b32 v78, v3, v3 offset1:1
	;; [unrolled: 1-line block ×4, first 2 shown]
	ds_store_b32 v43, v3 offset:1088
	s_wait_loadcnt_dscnt 0x0
	s_barrier_signal -1
	s_wait_alu 0xfffd
	v_cndmask_b32_e64 v21, -1, 0xffff8000, vcc_lo
	s_barrier_wait -1
	global_inv scope:SCOPE_SE
	; wave barrier
	v_xor_b32_e32 v2, v21, v2
	s_delay_alu instid0(VALU_DEP_1) | instskip(SKIP_2) | instid1(VALU_DEP_1)
	v_cmp_ne_u16_e32 vcc_lo, 0x7fff, v2
	s_wait_alu 0xfffd
	v_cndmask_b32_e32 v21, 0xffff8000, v2, vcc_lo
	v_and_b32_e32 v21, 0xffff, v21
	s_delay_alu instid0(VALU_DEP_1) | instskip(NEXT) | instid1(VALU_DEP_1)
	v_lshrrev_b32_e32 v21, s45, v21
	v_and_b32_e32 v103, s42, v21
	s_delay_alu instid0(VALU_DEP_1)
	v_and_b32_e32 v21, 1, v103
	v_lshlrev_b32_e32 v102, 30, v103
	v_lshlrev_b32_e32 v104, 29, v103
	;; [unrolled: 1-line block ×4, first 2 shown]
	v_add_co_u32 v21, s15, v21, -1
	s_wait_alu 0xf1ff
	v_cndmask_b32_e64 v106, 0, 1, s15
	v_not_b32_e32 v110, v102
	v_cmp_gt_i32_e64 s15, 0, v102
	v_not_b32_e32 v102, v104
	v_lshlrev_b32_e32 v108, 26, v103
	v_cmp_ne_u32_e32 vcc_lo, 0, v106
	v_ashrrev_i32_e32 v110, 31, v110
	v_lshlrev_b32_e32 v109, 25, v103
	v_ashrrev_i32_e32 v102, 31, v102
	v_lshlrev_b32_e32 v106, 24, v103
	s_wait_alu 0xfffd
	v_xor_b32_e32 v21, vcc_lo, v21
	v_cmp_gt_i32_e32 vcc_lo, 0, v104
	v_not_b32_e32 v104, v105
	s_wait_alu 0xf1ff
	v_xor_b32_e32 v110, s15, v110
	v_cmp_gt_i32_e64 s15, 0, v105
	v_and_b32_e32 v21, exec_lo, v21
	v_not_b32_e32 v105, v107
	v_ashrrev_i32_e32 v104, 31, v104
	s_wait_alu 0xfffd
	v_xor_b32_e32 v102, vcc_lo, v102
	v_cmp_gt_i32_e32 vcc_lo, 0, v107
	v_and_b32_e32 v21, v21, v110
	v_not_b32_e32 v107, v108
	v_ashrrev_i32_e32 v105, 31, v105
	s_wait_alu 0xf1ff
	v_xor_b32_e32 v104, s15, v104
	v_cmp_gt_i32_e64 s15, 0, v108
	v_and_b32_e32 v21, v21, v102
	v_not_b32_e32 v102, v109
	v_ashrrev_i32_e32 v107, 31, v107
	s_wait_alu 0xfffd
	v_xor_b32_e32 v105, vcc_lo, v105
	v_cmp_gt_i32_e32 vcc_lo, 0, v109
	v_and_b32_e32 v21, v21, v104
	v_not_b32_e32 v104, v106
	v_ashrrev_i32_e32 v102, 31, v102
	s_wait_alu 0xf1ff
	v_xor_b32_e32 v107, s15, v107
	v_cmp_gt_i32_e64 s15, 0, v106
	v_and_b32_e32 v21, v21, v105
	v_ashrrev_i32_e32 v104, 31, v104
	s_wait_alu 0xfffd
	v_xor_b32_e32 v102, vcc_lo, v102
	v_mul_u32_u24_e32 v103, 36, v103
	v_and_b32_e32 v21, v21, v107
	s_wait_alu 0xf1ff
	v_xor_b32_e32 v104, s15, v104
	s_delay_alu instid0(VALU_DEP_2) | instskip(NEXT) | instid1(VALU_DEP_1)
	v_and_b32_e32 v21, v21, v102
	v_and_b32_e32 v21, v21, v104
	v_add_nc_u32_e32 v104, v92, v103
	s_delay_alu instid0(VALU_DEP_2) | instskip(SKIP_1) | instid1(VALU_DEP_2)
	v_mbcnt_lo_u32_b32 v102, v21, 0
	v_cmp_ne_u32_e64 s15, 0, v21
	v_cmp_eq_u32_e32 vcc_lo, 0, v102
	s_and_b32 s16, s15, vcc_lo
	s_wait_alu 0xfffe
	s_and_saveexec_b32 s15, s16
; %bb.415:                              ;   in Loop: Header=BB2055_394 Depth=2
	v_bcnt_u32_b32 v21, v21, 0
	ds_store_b32 v104, v21 offset:1056
; %bb.416:                              ;   in Loop: Header=BB2055_394 Depth=2
	s_wait_alu 0xfffe
	s_or_b32 exec_lo, exec_lo, s15
	v_cmp_lt_i16_e32 vcc_lo, -1, v27
	; wave barrier
	s_wait_alu 0xfffd
	v_cndmask_b32_e64 v21, -1, 0xffff8000, vcc_lo
	s_delay_alu instid0(VALU_DEP_1) | instskip(NEXT) | instid1(VALU_DEP_1)
	v_xor_b32_e32 v103, v21, v27
	v_cmp_ne_u16_e32 vcc_lo, 0x7fff, v103
	s_wait_alu 0xfffd
	v_cndmask_b32_e32 v21, 0xffff8000, v103, vcc_lo
	s_delay_alu instid0(VALU_DEP_1) | instskip(NEXT) | instid1(VALU_DEP_1)
	v_and_b32_e32 v21, 0xffff, v21
	v_lshrrev_b32_e32 v21, s45, v21
	s_delay_alu instid0(VALU_DEP_1) | instskip(NEXT) | instid1(VALU_DEP_1)
	v_and_b32_e32 v27, s42, v21
	v_and_b32_e32 v21, 1, v27
	v_lshlrev_b32_e32 v105, 30, v27
	v_lshlrev_b32_e32 v106, 29, v27
	;; [unrolled: 1-line block ×4, first 2 shown]
	v_add_co_u32 v21, s15, v21, -1
	s_wait_alu 0xf1ff
	v_cndmask_b32_e64 v108, 0, 1, s15
	v_not_b32_e32 v112, v105
	v_cmp_gt_i32_e64 s15, 0, v105
	v_not_b32_e32 v105, v106
	v_lshlrev_b32_e32 v110, 26, v27
	v_cmp_ne_u32_e32 vcc_lo, 0, v108
	v_ashrrev_i32_e32 v112, 31, v112
	v_lshlrev_b32_e32 v111, 25, v27
	v_ashrrev_i32_e32 v105, 31, v105
	v_lshlrev_b32_e32 v108, 24, v27
	s_wait_alu 0xfffd
	v_xor_b32_e32 v21, vcc_lo, v21
	v_cmp_gt_i32_e32 vcc_lo, 0, v106
	v_not_b32_e32 v106, v107
	s_wait_alu 0xf1ff
	v_xor_b32_e32 v112, s15, v112
	v_cmp_gt_i32_e64 s15, 0, v107
	v_and_b32_e32 v21, exec_lo, v21
	v_not_b32_e32 v107, v109
	v_ashrrev_i32_e32 v106, 31, v106
	s_wait_alu 0xfffd
	v_xor_b32_e32 v105, vcc_lo, v105
	v_cmp_gt_i32_e32 vcc_lo, 0, v109
	v_and_b32_e32 v21, v21, v112
	v_not_b32_e32 v109, v110
	v_ashrrev_i32_e32 v107, 31, v107
	s_wait_alu 0xf1ff
	v_xor_b32_e32 v106, s15, v106
	v_cmp_gt_i32_e64 s15, 0, v110
	v_and_b32_e32 v21, v21, v105
	v_not_b32_e32 v105, v111
	v_ashrrev_i32_e32 v109, 31, v109
	s_wait_alu 0xfffd
	v_xor_b32_e32 v107, vcc_lo, v107
	v_cmp_gt_i32_e32 vcc_lo, 0, v111
	v_and_b32_e32 v21, v21, v106
	v_not_b32_e32 v106, v108
	v_ashrrev_i32_e32 v105, 31, v105
	s_wait_alu 0xf1ff
	v_xor_b32_e32 v109, s15, v109
	v_cmp_gt_i32_e64 s15, 0, v108
	v_and_b32_e32 v21, v21, v107
	v_ashrrev_i32_e32 v106, 31, v106
	s_wait_alu 0xfffd
	v_xor_b32_e32 v105, vcc_lo, v105
	v_mad_u32_u24 v107, v27, 36, v92
	v_mul_u32_u24_e32 v27, 36, v27
	v_and_b32_e32 v21, v21, v109
	s_wait_alu 0xf1ff
	v_xor_b32_e32 v106, s15, v106
	s_delay_alu instid0(VALU_DEP_3) | instskip(NEXT) | instid1(VALU_DEP_3)
	v_add_nc_u32_e32 v108, v92, v27
	v_and_b32_e32 v21, v21, v105
	ds_load_b32 v105, v107 offset:1056
	; wave barrier
	v_and_b32_e32 v21, v21, v106
	s_delay_alu instid0(VALU_DEP_1) | instskip(SKIP_1) | instid1(VALU_DEP_2)
	v_mbcnt_lo_u32_b32 v106, v21, 0
	v_cmp_ne_u32_e64 s15, 0, v21
	v_cmp_eq_u32_e32 vcc_lo, 0, v106
	s_and_b32 s16, s15, vcc_lo
	s_wait_alu 0xfffe
	s_and_saveexec_b32 s15, s16
	s_cbranch_execz .LBB2055_418
; %bb.417:                              ;   in Loop: Header=BB2055_394 Depth=2
	s_wait_dscnt 0x0
	v_bcnt_u32_b32 v21, v21, v105
	ds_store_b32 v108, v21 offset:1056
.LBB2055_418:                           ;   in Loop: Header=BB2055_394 Depth=2
	s_wait_alu 0xfffe
	s_or_b32 exec_lo, exec_lo, s15
	v_cmp_lt_i16_e32 vcc_lo, -1, v26
	; wave barrier
	s_wait_alu 0xfffd
	v_cndmask_b32_e64 v21, -1, 0xffff8000, vcc_lo
	s_delay_alu instid0(VALU_DEP_1) | instskip(NEXT) | instid1(VALU_DEP_1)
	v_xor_b32_e32 v107, v21, v26
	v_cmp_ne_u16_e32 vcc_lo, 0x7fff, v107
	s_wait_alu 0xfffd
	v_cndmask_b32_e32 v21, 0xffff8000, v107, vcc_lo
	s_delay_alu instid0(VALU_DEP_1) | instskip(NEXT) | instid1(VALU_DEP_1)
	v_and_b32_e32 v21, 0xffff, v21
	v_lshrrev_b32_e32 v21, s45, v21
	s_delay_alu instid0(VALU_DEP_1) | instskip(NEXT) | instid1(VALU_DEP_1)
	v_and_b32_e32 v26, s42, v21
	v_and_b32_e32 v21, 1, v26
	v_lshlrev_b32_e32 v27, 30, v26
	v_lshlrev_b32_e32 v109, 29, v26
	;; [unrolled: 1-line block ×4, first 2 shown]
	v_add_co_u32 v21, s15, v21, -1
	s_wait_alu 0xf1ff
	v_cndmask_b32_e64 v111, 0, 1, s15
	v_not_b32_e32 v115, v27
	v_cmp_gt_i32_e64 s15, 0, v27
	v_not_b32_e32 v27, v109
	v_lshlrev_b32_e32 v113, 26, v26
	v_cmp_ne_u32_e32 vcc_lo, 0, v111
	v_ashrrev_i32_e32 v115, 31, v115
	v_lshlrev_b32_e32 v114, 25, v26
	v_ashrrev_i32_e32 v27, 31, v27
	v_lshlrev_b32_e32 v111, 24, v26
	s_wait_alu 0xfffd
	v_xor_b32_e32 v21, vcc_lo, v21
	v_cmp_gt_i32_e32 vcc_lo, 0, v109
	v_not_b32_e32 v109, v110
	s_wait_alu 0xf1ff
	v_xor_b32_e32 v115, s15, v115
	v_cmp_gt_i32_e64 s15, 0, v110
	v_and_b32_e32 v21, exec_lo, v21
	v_not_b32_e32 v110, v112
	v_ashrrev_i32_e32 v109, 31, v109
	s_wait_alu 0xfffd
	v_xor_b32_e32 v27, vcc_lo, v27
	v_cmp_gt_i32_e32 vcc_lo, 0, v112
	v_and_b32_e32 v21, v21, v115
	v_not_b32_e32 v112, v113
	v_ashrrev_i32_e32 v110, 31, v110
	s_wait_alu 0xf1ff
	v_xor_b32_e32 v109, s15, v109
	v_cmp_gt_i32_e64 s15, 0, v113
	v_and_b32_e32 v21, v21, v27
	v_not_b32_e32 v27, v114
	v_ashrrev_i32_e32 v112, 31, v112
	s_wait_alu 0xfffd
	v_xor_b32_e32 v110, vcc_lo, v110
	v_cmp_gt_i32_e32 vcc_lo, 0, v114
	v_and_b32_e32 v21, v21, v109
	v_not_b32_e32 v109, v111
	v_ashrrev_i32_e32 v27, 31, v27
	s_wait_alu 0xf1ff
	v_xor_b32_e32 v112, s15, v112
	v_cmp_gt_i32_e64 s15, 0, v111
	v_and_b32_e32 v21, v21, v110
	v_ashrrev_i32_e32 v109, 31, v109
	s_wait_alu 0xfffd
	v_xor_b32_e32 v27, vcc_lo, v27
	v_mad_u32_u24 v110, v26, 36, v92
	v_mul_u32_u24_e32 v26, 36, v26
	v_and_b32_e32 v21, v21, v112
	s_wait_alu 0xf1ff
	v_xor_b32_e32 v111, s15, v109
	ds_load_b32 v109, v110 offset:1056
	v_add_nc_u32_e32 v112, v92, v26
	v_and_b32_e32 v21, v21, v27
	; wave barrier
	s_delay_alu instid0(VALU_DEP_1) | instskip(NEXT) | instid1(VALU_DEP_1)
	v_and_b32_e32 v21, v21, v111
	v_mbcnt_lo_u32_b32 v111, v21, 0
	v_cmp_ne_u32_e64 s15, 0, v21
	s_delay_alu instid0(VALU_DEP_2)
	v_cmp_eq_u32_e32 vcc_lo, 0, v111
	s_and_b32 s16, s15, vcc_lo
	s_wait_alu 0xfffe
	s_and_saveexec_b32 s15, s16
	s_cbranch_execz .LBB2055_420
; %bb.419:                              ;   in Loop: Header=BB2055_394 Depth=2
	s_wait_dscnt 0x0
	v_bcnt_u32_b32 v21, v21, v109
	ds_store_b32 v112, v21 offset:1056
.LBB2055_420:                           ;   in Loop: Header=BB2055_394 Depth=2
	s_wait_alu 0xfffe
	s_or_b32 exec_lo, exec_lo, s15
	v_cmp_lt_i16_e32 vcc_lo, -1, v25
	; wave barrier
	s_wait_alu 0xfffd
	v_cndmask_b32_e64 v21, -1, 0xffff8000, vcc_lo
	s_delay_alu instid0(VALU_DEP_1) | instskip(NEXT) | instid1(VALU_DEP_1)
	v_xor_b32_e32 v110, v21, v25
	v_cmp_ne_u16_e32 vcc_lo, 0x7fff, v110
	s_wait_alu 0xfffd
	v_cndmask_b32_e32 v21, 0xffff8000, v110, vcc_lo
	s_delay_alu instid0(VALU_DEP_1) | instskip(NEXT) | instid1(VALU_DEP_1)
	v_and_b32_e32 v21, 0xffff, v21
	v_lshrrev_b32_e32 v21, s45, v21
	s_delay_alu instid0(VALU_DEP_1) | instskip(NEXT) | instid1(VALU_DEP_1)
	v_and_b32_e32 v25, s42, v21
	v_and_b32_e32 v21, 1, v25
	v_lshlrev_b32_e32 v26, 30, v25
	v_lshlrev_b32_e32 v27, 29, v25
	;; [unrolled: 1-line block ×4, first 2 shown]
	v_add_co_u32 v21, s15, v21, -1
	s_wait_alu 0xf1ff
	v_cndmask_b32_e64 v114, 0, 1, s15
	v_not_b32_e32 v118, v26
	v_cmp_gt_i32_e64 s15, 0, v26
	v_not_b32_e32 v26, v27
	v_lshlrev_b32_e32 v116, 26, v25
	v_cmp_ne_u32_e32 vcc_lo, 0, v114
	v_ashrrev_i32_e32 v118, 31, v118
	v_lshlrev_b32_e32 v117, 25, v25
	v_ashrrev_i32_e32 v26, 31, v26
	v_lshlrev_b32_e32 v114, 24, v25
	s_wait_alu 0xfffd
	v_xor_b32_e32 v21, vcc_lo, v21
	v_cmp_gt_i32_e32 vcc_lo, 0, v27
	v_not_b32_e32 v27, v113
	s_wait_alu 0xf1ff
	v_xor_b32_e32 v118, s15, v118
	v_cmp_gt_i32_e64 s15, 0, v113
	v_and_b32_e32 v21, exec_lo, v21
	v_not_b32_e32 v113, v115
	v_ashrrev_i32_e32 v27, 31, v27
	s_wait_alu 0xfffd
	v_xor_b32_e32 v26, vcc_lo, v26
	v_cmp_gt_i32_e32 vcc_lo, 0, v115
	v_and_b32_e32 v21, v21, v118
	v_not_b32_e32 v115, v116
	v_ashrrev_i32_e32 v113, 31, v113
	s_wait_alu 0xf1ff
	v_xor_b32_e32 v27, s15, v27
	v_cmp_gt_i32_e64 s15, 0, v116
	v_and_b32_e32 v21, v21, v26
	v_not_b32_e32 v26, v117
	v_ashrrev_i32_e32 v115, 31, v115
	s_wait_alu 0xfffd
	v_xor_b32_e32 v113, vcc_lo, v113
	v_cmp_gt_i32_e32 vcc_lo, 0, v117
	v_and_b32_e32 v21, v21, v27
	v_not_b32_e32 v27, v114
	v_ashrrev_i32_e32 v26, 31, v26
	s_wait_alu 0xf1ff
	v_xor_b32_e32 v115, s15, v115
	v_cmp_gt_i32_e64 s15, 0, v114
	v_and_b32_e32 v21, v21, v113
	v_ashrrev_i32_e32 v27, 31, v27
	s_wait_alu 0xfffd
	v_xor_b32_e32 v26, vcc_lo, v26
	v_mad_u32_u24 v113, v25, 36, v92
	v_mul_u32_u24_e32 v25, 36, v25
	v_and_b32_e32 v21, v21, v115
	s_wait_alu 0xf1ff
	v_xor_b32_e32 v27, s15, v27
	ds_load_b32 v113, v113 offset:1056
	v_add_nc_u32_e32 v116, v92, v25
	v_and_b32_e32 v21, v21, v26
	; wave barrier
	s_delay_alu instid0(VALU_DEP_1) | instskip(NEXT) | instid1(VALU_DEP_1)
	v_and_b32_e32 v21, v21, v27
	v_mbcnt_lo_u32_b32 v115, v21, 0
	v_cmp_ne_u32_e64 s15, 0, v21
	s_delay_alu instid0(VALU_DEP_2)
	v_cmp_eq_u32_e32 vcc_lo, 0, v115
	s_and_b32 s16, s15, vcc_lo
	s_wait_alu 0xfffe
	s_and_saveexec_b32 s15, s16
	s_cbranch_execz .LBB2055_422
; %bb.421:                              ;   in Loop: Header=BB2055_394 Depth=2
	s_wait_dscnt 0x0
	v_bcnt_u32_b32 v21, v21, v113
	ds_store_b32 v116, v21 offset:1056
.LBB2055_422:                           ;   in Loop: Header=BB2055_394 Depth=2
	s_wait_alu 0xfffe
	s_or_b32 exec_lo, exec_lo, s15
	v_cmp_lt_i16_e32 vcc_lo, -1, v24
	; wave barrier
	s_wait_alu 0xfffd
	v_cndmask_b32_e64 v21, -1, 0xffff8000, vcc_lo
	s_delay_alu instid0(VALU_DEP_1) | instskip(NEXT) | instid1(VALU_DEP_1)
	v_xor_b32_e32 v114, v21, v24
	v_cmp_ne_u16_e32 vcc_lo, 0x7fff, v114
	s_wait_alu 0xfffd
	v_cndmask_b32_e32 v21, 0xffff8000, v114, vcc_lo
	s_delay_alu instid0(VALU_DEP_1) | instskip(NEXT) | instid1(VALU_DEP_1)
	v_and_b32_e32 v21, 0xffff, v21
	v_lshrrev_b32_e32 v21, s45, v21
	s_delay_alu instid0(VALU_DEP_1) | instskip(NEXT) | instid1(VALU_DEP_1)
	v_and_b32_e32 v24, s42, v21
	v_and_b32_e32 v21, 1, v24
	v_lshlrev_b32_e32 v25, 30, v24
	v_lshlrev_b32_e32 v26, 29, v24
	;; [unrolled: 1-line block ×4, first 2 shown]
	v_add_co_u32 v21, s15, v21, -1
	s_wait_alu 0xf1ff
	v_cndmask_b32_e64 v117, 0, 1, s15
	v_not_b32_e32 v121, v25
	v_cmp_gt_i32_e64 s15, 0, v25
	v_not_b32_e32 v25, v26
	v_lshlrev_b32_e32 v119, 26, v24
	v_cmp_ne_u32_e32 vcc_lo, 0, v117
	v_ashrrev_i32_e32 v121, 31, v121
	v_lshlrev_b32_e32 v120, 25, v24
	v_ashrrev_i32_e32 v25, 31, v25
	v_lshlrev_b32_e32 v117, 24, v24
	s_wait_alu 0xfffd
	v_xor_b32_e32 v21, vcc_lo, v21
	v_cmp_gt_i32_e32 vcc_lo, 0, v26
	v_not_b32_e32 v26, v27
	s_wait_alu 0xf1ff
	v_xor_b32_e32 v121, s15, v121
	v_cmp_gt_i32_e64 s15, 0, v27
	v_and_b32_e32 v21, exec_lo, v21
	v_not_b32_e32 v27, v118
	v_ashrrev_i32_e32 v26, 31, v26
	s_wait_alu 0xfffd
	v_xor_b32_e32 v25, vcc_lo, v25
	v_cmp_gt_i32_e32 vcc_lo, 0, v118
	v_and_b32_e32 v21, v21, v121
	v_not_b32_e32 v118, v119
	v_ashrrev_i32_e32 v27, 31, v27
	s_wait_alu 0xf1ff
	v_xor_b32_e32 v26, s15, v26
	v_cmp_gt_i32_e64 s15, 0, v119
	v_and_b32_e32 v21, v21, v25
	v_not_b32_e32 v25, v120
	v_ashrrev_i32_e32 v118, 31, v118
	s_wait_alu 0xfffd
	v_xor_b32_e32 v27, vcc_lo, v27
	v_cmp_gt_i32_e32 vcc_lo, 0, v120
	v_and_b32_e32 v21, v21, v26
	v_not_b32_e32 v26, v117
	v_ashrrev_i32_e32 v25, 31, v25
	s_wait_alu 0xf1ff
	v_xor_b32_e32 v118, s15, v118
	v_cmp_gt_i32_e64 s15, 0, v117
	v_and_b32_e32 v21, v21, v27
	v_ashrrev_i32_e32 v26, 31, v26
	s_wait_alu 0xfffd
	v_xor_b32_e32 v25, vcc_lo, v25
	v_mad_u32_u24 v27, v24, 36, v92
	v_mul_u32_u24_e32 v24, 36, v24
	v_and_b32_e32 v21, v21, v118
	s_wait_alu 0xf1ff
	v_xor_b32_e32 v26, s15, v26
	ds_load_b32 v117, v27 offset:1056
	v_add_nc_u32_e32 v120, v92, v24
	v_and_b32_e32 v21, v21, v25
	; wave barrier
	s_delay_alu instid0(VALU_DEP_1) | instskip(NEXT) | instid1(VALU_DEP_1)
	v_and_b32_e32 v21, v21, v26
	v_mbcnt_lo_u32_b32 v119, v21, 0
	v_cmp_ne_u32_e64 s15, 0, v21
	s_delay_alu instid0(VALU_DEP_2)
	v_cmp_eq_u32_e32 vcc_lo, 0, v119
	s_and_b32 s16, s15, vcc_lo
	s_wait_alu 0xfffe
	s_and_saveexec_b32 s15, s16
	s_cbranch_execz .LBB2055_424
; %bb.423:                              ;   in Loop: Header=BB2055_394 Depth=2
	s_wait_dscnt 0x0
	v_bcnt_u32_b32 v21, v21, v117
	ds_store_b32 v120, v21 offset:1056
.LBB2055_424:                           ;   in Loop: Header=BB2055_394 Depth=2
	s_wait_alu 0xfffe
	s_or_b32 exec_lo, exec_lo, s15
	v_cmp_lt_i16_e32 vcc_lo, -1, v23
	; wave barrier
	s_wait_alu 0xfffd
	v_cndmask_b32_e64 v21, -1, 0xffff8000, vcc_lo
	s_delay_alu instid0(VALU_DEP_1) | instskip(NEXT) | instid1(VALU_DEP_1)
	v_xor_b32_e32 v118, v21, v23
	v_cmp_ne_u16_e32 vcc_lo, 0x7fff, v118
	s_wait_alu 0xfffd
	v_cndmask_b32_e32 v21, 0xffff8000, v118, vcc_lo
	s_delay_alu instid0(VALU_DEP_1) | instskip(NEXT) | instid1(VALU_DEP_1)
	v_and_b32_e32 v21, 0xffff, v21
	v_lshrrev_b32_e32 v21, s45, v21
	s_delay_alu instid0(VALU_DEP_1) | instskip(NEXT) | instid1(VALU_DEP_1)
	v_and_b32_e32 v23, s42, v21
	v_and_b32_e32 v21, 1, v23
	v_lshlrev_b32_e32 v24, 30, v23
	v_lshlrev_b32_e32 v25, 29, v23
	v_lshlrev_b32_e32 v26, 28, v23
	v_lshlrev_b32_e32 v121, 27, v23
	v_add_co_u32 v21, s15, v21, -1
	s_wait_alu 0xf1ff
	v_cndmask_b32_e64 v27, 0, 1, s15
	v_not_b32_e32 v124, v24
	v_cmp_gt_i32_e64 s15, 0, v24
	v_not_b32_e32 v24, v25
	v_lshlrev_b32_e32 v122, 26, v23
	v_cmp_ne_u32_e32 vcc_lo, 0, v27
	v_ashrrev_i32_e32 v124, 31, v124
	v_lshlrev_b32_e32 v123, 25, v23
	v_ashrrev_i32_e32 v24, 31, v24
	v_lshlrev_b32_e32 v27, 24, v23
	s_wait_alu 0xfffd
	v_xor_b32_e32 v21, vcc_lo, v21
	v_cmp_gt_i32_e32 vcc_lo, 0, v25
	v_not_b32_e32 v25, v26
	s_wait_alu 0xf1ff
	v_xor_b32_e32 v124, s15, v124
	v_cmp_gt_i32_e64 s15, 0, v26
	v_and_b32_e32 v21, exec_lo, v21
	v_not_b32_e32 v26, v121
	v_ashrrev_i32_e32 v25, 31, v25
	s_wait_alu 0xfffd
	v_xor_b32_e32 v24, vcc_lo, v24
	v_cmp_gt_i32_e32 vcc_lo, 0, v121
	v_and_b32_e32 v21, v21, v124
	v_not_b32_e32 v121, v122
	v_ashrrev_i32_e32 v26, 31, v26
	s_wait_alu 0xf1ff
	v_xor_b32_e32 v25, s15, v25
	v_cmp_gt_i32_e64 s15, 0, v122
	v_and_b32_e32 v21, v21, v24
	v_not_b32_e32 v24, v123
	v_ashrrev_i32_e32 v121, 31, v121
	s_wait_alu 0xfffd
	v_xor_b32_e32 v26, vcc_lo, v26
	v_cmp_gt_i32_e32 vcc_lo, 0, v123
	v_and_b32_e32 v21, v21, v25
	v_not_b32_e32 v25, v27
	v_ashrrev_i32_e32 v24, 31, v24
	s_wait_alu 0xf1ff
	v_xor_b32_e32 v121, s15, v121
	v_cmp_gt_i32_e64 s15, 0, v27
	v_and_b32_e32 v21, v21, v26
	v_ashrrev_i32_e32 v25, 31, v25
	s_wait_alu 0xfffd
	v_xor_b32_e32 v24, vcc_lo, v24
	v_mad_u32_u24 v26, v23, 36, v92
	v_mul_u32_u24_e32 v23, 36, v23
	v_and_b32_e32 v21, v21, v121
	s_wait_alu 0xf1ff
	v_xor_b32_e32 v25, s15, v25
	ds_load_b32 v121, v26 offset:1056
	v_add_nc_u32_e32 v124, v92, v23
	v_and_b32_e32 v21, v21, v24
	; wave barrier
	s_delay_alu instid0(VALU_DEP_1) | instskip(NEXT) | instid1(VALU_DEP_1)
	v_and_b32_e32 v21, v21, v25
	v_mbcnt_lo_u32_b32 v123, v21, 0
	v_cmp_ne_u32_e64 s15, 0, v21
	s_delay_alu instid0(VALU_DEP_2)
	v_cmp_eq_u32_e32 vcc_lo, 0, v123
	s_and_b32 s16, s15, vcc_lo
	s_wait_alu 0xfffe
	s_and_saveexec_b32 s15, s16
	s_cbranch_execz .LBB2055_426
; %bb.425:                              ;   in Loop: Header=BB2055_394 Depth=2
	s_wait_dscnt 0x0
	v_bcnt_u32_b32 v21, v21, v121
	ds_store_b32 v124, v21 offset:1056
.LBB2055_426:                           ;   in Loop: Header=BB2055_394 Depth=2
	s_wait_alu 0xfffe
	s_or_b32 exec_lo, exec_lo, s15
	v_cmp_lt_i16_e32 vcc_lo, -1, v22
	; wave barrier
	s_wait_alu 0xfffd
	v_cndmask_b32_e64 v21, -1, 0xffff8000, vcc_lo
	s_delay_alu instid0(VALU_DEP_1) | instskip(NEXT) | instid1(VALU_DEP_1)
	v_xor_b32_e32 v122, v21, v22
	v_cmp_ne_u16_e32 vcc_lo, 0x7fff, v122
	s_wait_alu 0xfffd
	v_cndmask_b32_e32 v21, 0xffff8000, v122, vcc_lo
	s_delay_alu instid0(VALU_DEP_1) | instskip(NEXT) | instid1(VALU_DEP_1)
	v_and_b32_e32 v21, 0xffff, v21
	v_lshrrev_b32_e32 v21, s45, v21
	s_delay_alu instid0(VALU_DEP_1) | instskip(NEXT) | instid1(VALU_DEP_1)
	v_and_b32_e32 v22, s42, v21
	v_and_b32_e32 v21, 1, v22
	v_lshlrev_b32_e32 v23, 30, v22
	v_lshlrev_b32_e32 v24, 29, v22
	;; [unrolled: 1-line block ×4, first 2 shown]
	v_add_co_u32 v21, s15, v21, -1
	s_wait_alu 0xf1ff
	v_cndmask_b32_e64 v26, 0, 1, s15
	v_not_b32_e32 v127, v23
	v_cmp_gt_i32_e64 s15, 0, v23
	v_not_b32_e32 v23, v24
	v_lshlrev_b32_e32 v125, 26, v22
	v_cmp_ne_u32_e32 vcc_lo, 0, v26
	v_ashrrev_i32_e32 v127, 31, v127
	v_lshlrev_b32_e32 v126, 25, v22
	v_ashrrev_i32_e32 v23, 31, v23
	v_lshlrev_b32_e32 v26, 24, v22
	s_wait_alu 0xfffd
	v_xor_b32_e32 v21, vcc_lo, v21
	v_cmp_gt_i32_e32 vcc_lo, 0, v24
	v_not_b32_e32 v24, v25
	s_wait_alu 0xf1ff
	v_xor_b32_e32 v127, s15, v127
	v_cmp_gt_i32_e64 s15, 0, v25
	v_and_b32_e32 v21, exec_lo, v21
	v_not_b32_e32 v25, v27
	v_ashrrev_i32_e32 v24, 31, v24
	s_wait_alu 0xfffd
	v_xor_b32_e32 v23, vcc_lo, v23
	v_cmp_gt_i32_e32 vcc_lo, 0, v27
	v_and_b32_e32 v21, v21, v127
	v_not_b32_e32 v27, v125
	v_ashrrev_i32_e32 v25, 31, v25
	s_wait_alu 0xf1ff
	v_xor_b32_e32 v24, s15, v24
	v_cmp_gt_i32_e64 s15, 0, v125
	v_and_b32_e32 v21, v21, v23
	v_not_b32_e32 v23, v126
	v_ashrrev_i32_e32 v27, 31, v27
	s_wait_alu 0xfffd
	v_xor_b32_e32 v25, vcc_lo, v25
	v_cmp_gt_i32_e32 vcc_lo, 0, v126
	v_and_b32_e32 v21, v21, v24
	v_not_b32_e32 v24, v26
	v_ashrrev_i32_e32 v23, 31, v23
	s_wait_alu 0xf1ff
	v_xor_b32_e32 v27, s15, v27
	v_cmp_gt_i32_e64 s15, 0, v26
	v_and_b32_e32 v21, v21, v25
	v_ashrrev_i32_e32 v24, 31, v24
	s_wait_alu 0xfffd
	v_xor_b32_e32 v23, vcc_lo, v23
	v_mad_u32_u24 v25, v22, 36, v92
	v_mul_u32_u24_e32 v22, 36, v22
	v_and_b32_e32 v21, v21, v27
	s_wait_alu 0xf1ff
	v_xor_b32_e32 v24, s15, v24
	ds_load_b32 v125, v25 offset:1056
	v_add_nc_u32_e32 v128, v92, v22
	v_and_b32_e32 v21, v21, v23
	; wave barrier
	s_delay_alu instid0(VALU_DEP_1) | instskip(NEXT) | instid1(VALU_DEP_1)
	v_and_b32_e32 v21, v21, v24
	v_mbcnt_lo_u32_b32 v126, v21, 0
	v_cmp_ne_u32_e64 s15, 0, v21
	s_delay_alu instid0(VALU_DEP_2)
	v_cmp_eq_u32_e32 vcc_lo, 0, v126
	s_and_b32 s16, s15, vcc_lo
	s_wait_alu 0xfffe
	s_and_saveexec_b32 s15, s16
	s_cbranch_execz .LBB2055_428
; %bb.427:                              ;   in Loop: Header=BB2055_394 Depth=2
	s_wait_dscnt 0x0
	v_bcnt_u32_b32 v21, v21, v125
	ds_store_b32 v128, v21 offset:1056
.LBB2055_428:                           ;   in Loop: Header=BB2055_394 Depth=2
	s_wait_alu 0xfffe
	s_or_b32 exec_lo, exec_lo, s15
	v_cmp_lt_i16_e32 vcc_lo, -1, v20
	; wave barrier
	s_wait_alu 0xfffd
	v_cndmask_b32_e64 v21, -1, 0xffff8000, vcc_lo
	s_delay_alu instid0(VALU_DEP_1) | instskip(NEXT) | instid1(VALU_DEP_1)
	v_xor_b32_e32 v127, v21, v20
	v_cmp_ne_u16_e32 vcc_lo, 0x7fff, v127
	s_wait_alu 0xfffd
	v_cndmask_b32_e32 v20, 0xffff8000, v127, vcc_lo
	s_delay_alu instid0(VALU_DEP_1) | instskip(NEXT) | instid1(VALU_DEP_1)
	v_and_b32_e32 v20, 0xffff, v20
	v_lshrrev_b32_e32 v20, s45, v20
	s_delay_alu instid0(VALU_DEP_1) | instskip(NEXT) | instid1(VALU_DEP_1)
	v_and_b32_e32 v21, s42, v20
	v_and_b32_e32 v20, 1, v21
	v_lshlrev_b32_e32 v22, 30, v21
	v_lshlrev_b32_e32 v23, 29, v21
	;; [unrolled: 1-line block ×4, first 2 shown]
	v_add_co_u32 v20, s15, v20, -1
	s_wait_alu 0xf1ff
	v_cndmask_b32_e64 v25, 0, 1, s15
	v_not_b32_e32 v130, v22
	v_cmp_gt_i32_e64 s15, 0, v22
	v_not_b32_e32 v22, v23
	v_lshlrev_b32_e32 v27, 26, v21
	v_cmp_ne_u32_e32 vcc_lo, 0, v25
	v_ashrrev_i32_e32 v130, 31, v130
	v_lshlrev_b32_e32 v129, 25, v21
	v_ashrrev_i32_e32 v22, 31, v22
	v_lshlrev_b32_e32 v25, 24, v21
	s_wait_alu 0xfffd
	v_xor_b32_e32 v20, vcc_lo, v20
	v_cmp_gt_i32_e32 vcc_lo, 0, v23
	v_not_b32_e32 v23, v24
	s_wait_alu 0xf1ff
	v_xor_b32_e32 v130, s15, v130
	v_cmp_gt_i32_e64 s15, 0, v24
	v_and_b32_e32 v20, exec_lo, v20
	v_not_b32_e32 v24, v26
	v_ashrrev_i32_e32 v23, 31, v23
	s_wait_alu 0xfffd
	v_xor_b32_e32 v22, vcc_lo, v22
	v_cmp_gt_i32_e32 vcc_lo, 0, v26
	v_and_b32_e32 v20, v20, v130
	v_not_b32_e32 v26, v27
	v_ashrrev_i32_e32 v24, 31, v24
	s_wait_alu 0xf1ff
	v_xor_b32_e32 v23, s15, v23
	v_cmp_gt_i32_e64 s15, 0, v27
	v_and_b32_e32 v20, v20, v22
	v_not_b32_e32 v22, v129
	v_ashrrev_i32_e32 v26, 31, v26
	s_wait_alu 0xfffd
	v_xor_b32_e32 v24, vcc_lo, v24
	v_cmp_gt_i32_e32 vcc_lo, 0, v129
	v_and_b32_e32 v20, v20, v23
	v_not_b32_e32 v23, v25
	v_ashrrev_i32_e32 v22, 31, v22
	s_wait_alu 0xf1ff
	v_xor_b32_e32 v26, s15, v26
	v_cmp_gt_i32_e64 s15, 0, v25
	v_and_b32_e32 v20, v20, v24
	v_ashrrev_i32_e32 v23, 31, v23
	s_wait_alu 0xfffd
	v_xor_b32_e32 v22, vcc_lo, v22
	v_mad_u32_u24 v24, v21, 36, v92
	v_mul_u32_u24_e32 v21, 36, v21
	v_and_b32_e32 v20, v20, v26
	s_wait_alu 0xf1ff
	v_xor_b32_e32 v23, s15, v23
	ds_load_b32 v129, v24 offset:1056
	v_add_nc_u32_e32 v131, v92, v21
	v_and_b32_e32 v20, v20, v22
	; wave barrier
	s_delay_alu instid0(VALU_DEP_1) | instskip(NEXT) | instid1(VALU_DEP_1)
	v_and_b32_e32 v20, v20, v23
	v_mbcnt_lo_u32_b32 v130, v20, 0
	v_cmp_ne_u32_e64 s15, 0, v20
	s_delay_alu instid0(VALU_DEP_2)
	v_cmp_eq_u32_e32 vcc_lo, 0, v130
	s_and_b32 s16, s15, vcc_lo
	s_wait_alu 0xfffe
	s_and_saveexec_b32 s15, s16
	s_cbranch_execz .LBB2055_430
; %bb.429:                              ;   in Loop: Header=BB2055_394 Depth=2
	s_wait_dscnt 0x0
	v_bcnt_u32_b32 v20, v20, v129
	ds_store_b32 v131, v20 offset:1056
.LBB2055_430:                           ;   in Loop: Header=BB2055_394 Depth=2
	s_wait_alu 0xfffe
	s_or_b32 exec_lo, exec_lo, s15
	; wave barrier
	s_wait_loadcnt_dscnt 0x0
	s_barrier_signal -1
	s_barrier_wait -1
	global_inv scope:SCOPE_SE
	ds_load_2addr_b32 v[26:27], v78 offset1:1
	ds_load_2addr_b32 v[24:25], v79 offset1:1
	;; [unrolled: 1-line block ×4, first 2 shown]
	ds_load_b32 v132, v43 offset:1088
	s_wait_dscnt 0x3
	v_add3_u32 v133, v27, v26, v24
	s_wait_dscnt 0x2
	s_delay_alu instid0(VALU_DEP_1) | instskip(SKIP_1) | instid1(VALU_DEP_1)
	v_add3_u32 v133, v133, v25, v22
	s_wait_dscnt 0x1
	v_add3_u32 v133, v133, v23, v20
	s_wait_dscnt 0x0
	s_delay_alu instid0(VALU_DEP_1) | instskip(NEXT) | instid1(VALU_DEP_1)
	v_add3_u32 v132, v133, v21, v132
	v_mov_b32_dpp v133, v132 row_shr:1 row_mask:0xf bank_mask:0xf
	s_delay_alu instid0(VALU_DEP_1) | instskip(NEXT) | instid1(VALU_DEP_1)
	v_cndmask_b32_e64 v133, v133, 0, s0
	v_add_nc_u32_e32 v132, v133, v132
	s_delay_alu instid0(VALU_DEP_1) | instskip(NEXT) | instid1(VALU_DEP_1)
	v_mov_b32_dpp v133, v132 row_shr:2 row_mask:0xf bank_mask:0xf
	v_cndmask_b32_e64 v133, 0, v133, s1
	s_delay_alu instid0(VALU_DEP_1) | instskip(NEXT) | instid1(VALU_DEP_1)
	v_add_nc_u32_e32 v132, v132, v133
	v_mov_b32_dpp v133, v132 row_shr:4 row_mask:0xf bank_mask:0xf
	s_delay_alu instid0(VALU_DEP_1) | instskip(NEXT) | instid1(VALU_DEP_1)
	v_cndmask_b32_e64 v133, 0, v133, s9
	v_add_nc_u32_e32 v132, v132, v133
	s_delay_alu instid0(VALU_DEP_1) | instskip(NEXT) | instid1(VALU_DEP_1)
	v_mov_b32_dpp v133, v132 row_shr:8 row_mask:0xf bank_mask:0xf
	v_cndmask_b32_e64 v133, 0, v133, s10
	s_delay_alu instid0(VALU_DEP_1) | instskip(SKIP_3) | instid1(VALU_DEP_1)
	v_add_nc_u32_e32 v132, v132, v133
	ds_swizzle_b32 v133, v132 offset:swizzle(BROADCAST,32,15)
	s_wait_dscnt 0x0
	v_cndmask_b32_e64 v133, v133, 0, s11
	v_add_nc_u32_e32 v132, v132, v133
	s_and_saveexec_b32 s15, s3
; %bb.431:                              ;   in Loop: Header=BB2055_394 Depth=2
	ds_store_b32 v38, v132 offset:1024
; %bb.432:                              ;   in Loop: Header=BB2055_394 Depth=2
	s_wait_alu 0xfffe
	s_or_b32 exec_lo, exec_lo, s15
	s_wait_loadcnt_dscnt 0x0
	s_barrier_signal -1
	s_barrier_wait -1
	global_inv scope:SCOPE_SE
	s_and_saveexec_b32 s15, s4
	s_cbranch_execz .LBB2055_434
; %bb.433:                              ;   in Loop: Header=BB2055_394 Depth=2
	ds_load_b32 v133, v46 offset:1024
	s_wait_dscnt 0x0
	v_mov_b32_dpp v134, v133 row_shr:1 row_mask:0xf bank_mask:0xf
	s_delay_alu instid0(VALU_DEP_1) | instskip(NEXT) | instid1(VALU_DEP_1)
	v_cndmask_b32_e64 v134, v134, 0, s12
	v_add_nc_u32_e32 v133, v134, v133
	s_delay_alu instid0(VALU_DEP_1) | instskip(NEXT) | instid1(VALU_DEP_1)
	v_mov_b32_dpp v134, v133 row_shr:2 row_mask:0xf bank_mask:0xf
	v_cndmask_b32_e64 v134, 0, v134, s13
	s_delay_alu instid0(VALU_DEP_1) | instskip(NEXT) | instid1(VALU_DEP_1)
	v_add_nc_u32_e32 v133, v133, v134
	v_mov_b32_dpp v134, v133 row_shr:4 row_mask:0xf bank_mask:0xf
	s_delay_alu instid0(VALU_DEP_1) | instskip(NEXT) | instid1(VALU_DEP_1)
	v_cndmask_b32_e64 v134, 0, v134, s14
	v_add_nc_u32_e32 v133, v133, v134
	ds_store_b32 v46, v133 offset:1024
.LBB2055_434:                           ;   in Loop: Header=BB2055_394 Depth=2
	s_wait_alu 0xfffe
	s_or_b32 exec_lo, exec_lo, s15
	v_mov_b32_e32 v133, 0
	s_wait_loadcnt_dscnt 0x0
	s_barrier_signal -1
	s_barrier_wait -1
	global_inv scope:SCOPE_SE
	s_and_saveexec_b32 s15, s5
; %bb.435:                              ;   in Loop: Header=BB2055_394 Depth=2
	ds_load_b32 v133, v38 offset:1020
; %bb.436:                              ;   in Loop: Header=BB2055_394 Depth=2
	s_wait_alu 0xfffe
	s_or_b32 exec_lo, exec_lo, s15
	s_wait_dscnt 0x0
	v_add_nc_u32_e32 v132, v133, v132
	ds_bpermute_b32 v132, v87, v132
	s_wait_dscnt 0x0
	v_cndmask_b32_e64 v132, v132, v133, s8
	s_delay_alu instid0(VALU_DEP_1) | instskip(NEXT) | instid1(VALU_DEP_1)
	v_cndmask_b32_e64 v132, v132, 0, s6
	v_add_nc_u32_e32 v26, v132, v26
	s_delay_alu instid0(VALU_DEP_1) | instskip(NEXT) | instid1(VALU_DEP_1)
	v_add_nc_u32_e32 v27, v26, v27
	v_add_nc_u32_e32 v24, v27, v24
	s_delay_alu instid0(VALU_DEP_1) | instskip(NEXT) | instid1(VALU_DEP_1)
	v_add_nc_u32_e32 v25, v24, v25
	;; [unrolled: 3-line block ×3, first 2 shown]
	v_add_nc_u32_e32 v20, v23, v20
	s_delay_alu instid0(VALU_DEP_1)
	v_add_nc_u32_e32 v21, v20, v21
	ds_store_2addr_b32 v81, v23, v20 offset1:1
	ds_store_2addr_b32 v78, v132, v26 offset1:1
	;; [unrolled: 1-line block ×4, first 2 shown]
	ds_store_b32 v43, v21 offset:1088
	s_wait_loadcnt_dscnt 0x0
	s_barrier_signal -1
	s_barrier_wait -1
	global_inv scope:SCOPE_SE
	ds_load_b32 v23, v104 offset:1056
	ds_load_b32 v24, v108 offset:1056
	ds_load_b32 v25, v112 offset:1056
	ds_load_b32 v26, v116 offset:1056
	ds_load_b32 v27, v120 offset:1056
	ds_load_b32 v112, v124 offset:1056
	ds_load_b32 v20, v128 offset:1056
	ds_load_b32 v21, v131 offset:1056
	ds_load_b32 v104, v43 offset:1056
	v_mov_b32_e32 v22, 0x800
	s_and_saveexec_b32 s15, s7
; %bb.437:                              ;   in Loop: Header=BB2055_394 Depth=2
	ds_load_b32 v22, v43 offset:1092
; %bb.438:                              ;   in Loop: Header=BB2055_394 Depth=2
	s_wait_alu 0xfffe
	s_or_b32 exec_lo, exec_lo, s15
	s_wait_loadcnt_dscnt 0x0
	s_barrier_signal -1
	s_barrier_wait -1
	global_inv scope:SCOPE_SE
	s_and_saveexec_b32 s15, s2
	s_cbranch_execz .LBB2055_440
; %bb.439:                              ;   in Loop: Header=BB2055_394 Depth=2
	ds_load_b32 v108, v28
	s_wait_dscnt 0x0
	v_sub_nc_u32_e32 v104, v108, v104
	ds_store_b32 v28, v104
.LBB2055_440:                           ;   in Loop: Header=BB2055_394 Depth=2
	s_wait_alu 0xfffe
	s_or_b32 exec_lo, exec_lo, s15
	v_add_nc_u32_e32 v108, v23, v102
	v_add3_u32 v104, v106, v105, v24
	v_add3_u32 v102, v111, v109, v25
	;; [unrolled: 1-line block ×4, first 2 shown]
	v_lshlrev_b32_e32 v105, 1, v108
	v_lshlrev_b32_e32 v106, 1, v104
	v_add3_u32 v23, v123, v121, v112
	v_lshlrev_b32_e32 v109, 1, v102
	v_add3_u32 v27, v126, v125, v20
	v_add3_u32 v26, v130, v129, v21
	ds_store_b16 v105, v2 offset:1024
	ds_store_b16 v106, v103 offset:1024
	;; [unrolled: 1-line block ×3, first 2 shown]
	v_lshlrev_b32_e32 v2, 1, v25
	v_cmp_lt_u32_e32 vcc_lo, v1, v101
	v_lshlrev_b32_e32 v20, 1, v24
	v_lshlrev_b32_e32 v21, 1, v23
	;; [unrolled: 1-line block ×4, first 2 shown]
	ds_store_b16 v2, v110 offset:1024
	ds_store_b16 v20, v114 offset:1024
	;; [unrolled: 1-line block ×5, first 2 shown]
	s_wait_loadcnt_dscnt 0x0
	s_barrier_signal -1
	s_barrier_wait -1
	global_inv scope:SCOPE_SE
	s_and_saveexec_b32 s16, vcc_lo
	s_cbranch_execnz .LBB2055_477
; %bb.441:                              ;   in Loop: Header=BB2055_394 Depth=2
	s_wait_alu 0xfffe
	s_or_b32 exec_lo, exec_lo, s16
	v_cmp_lt_u32_e64 s15, v29, v101
	s_and_saveexec_b32 s17, s15
	s_cbranch_execnz .LBB2055_478
.LBB2055_442:                           ;   in Loop: Header=BB2055_394 Depth=2
	s_wait_alu 0xfffe
	s_or_b32 exec_lo, exec_lo, s17
	v_cmp_lt_u32_e64 s16, v30, v101
	s_and_saveexec_b32 s18, s16
	s_cbranch_execnz .LBB2055_479
.LBB2055_443:                           ;   in Loop: Header=BB2055_394 Depth=2
	s_wait_alu 0xfffe
	s_or_b32 exec_lo, exec_lo, s18
	v_cmp_lt_u32_e64 s17, v31, v101
	s_and_saveexec_b32 s19, s17
	s_cbranch_execnz .LBB2055_480
.LBB2055_444:                           ;   in Loop: Header=BB2055_394 Depth=2
	s_wait_alu 0xfffe
	s_or_b32 exec_lo, exec_lo, s19
	v_cmp_lt_u32_e64 s18, v34, v101
	s_and_saveexec_b32 s20, s18
	s_cbranch_execnz .LBB2055_481
.LBB2055_445:                           ;   in Loop: Header=BB2055_394 Depth=2
	s_wait_alu 0xfffe
	s_or_b32 exec_lo, exec_lo, s20
	v_cmp_lt_u32_e64 s19, v35, v101
	s_and_saveexec_b32 s21, s19
	s_cbranch_execnz .LBB2055_482
.LBB2055_446:                           ;   in Loop: Header=BB2055_394 Depth=2
	s_wait_alu 0xfffe
	s_or_b32 exec_lo, exec_lo, s21
	v_cmp_lt_u32_e64 s20, v36, v101
	s_and_saveexec_b32 s22, s20
	s_cbranch_execnz .LBB2055_483
.LBB2055_447:                           ;   in Loop: Header=BB2055_394 Depth=2
	s_wait_alu 0xfffe
	s_or_b32 exec_lo, exec_lo, s22
	v_cmp_lt_u32_e64 s21, v37, v101
	s_and_saveexec_b32 s48, s21
	s_cbranch_execz .LBB2055_449
.LBB2055_448:                           ;   in Loop: Header=BB2055_394 Depth=2
	ds_load_u16 v103, v47 offset:4608
	s_wait_dscnt 0x0
	v_cmp_ne_u16_e64 s22, 0x7fff, v103
	s_wait_alu 0xf1ff
	s_delay_alu instid0(VALU_DEP_1) | instskip(SKIP_1) | instid1(VALU_DEP_2)
	v_cndmask_b32_e64 v2, 0xffff8000, v103, s22
	v_cmp_lt_i16_e64 s22, -1, v103
	v_and_b32_e32 v2, 0xffff, v2
	s_wait_alu 0xf1ff
	s_delay_alu instid0(VALU_DEP_2) | instskip(NEXT) | instid1(VALU_DEP_2)
	v_cndmask_b32_e64 v105, 0xffff8000, -1, s22
	v_lshrrev_b32_e32 v2, s45, v2
	s_delay_alu instid0(VALU_DEP_1) | instskip(NEXT) | instid1(VALU_DEP_1)
	v_and_b32_e32 v2, s42, v2
	v_lshlrev_b32_e32 v2, 2, v2
	ds_load_b32 v2, v2
	s_wait_dscnt 0x0
	v_add_nc_u32_e32 v2, v2, v37
	s_delay_alu instid0(VALU_DEP_1) | instskip(SKIP_1) | instid1(VALU_DEP_2)
	v_lshlrev_b64_e32 v[20:21], 1, v[2:3]
	v_xor_b32_e32 v2, v105, v103
	v_add_co_u32 v20, s22, s38, v20
	s_wait_alu 0xf1ff
	s_delay_alu instid0(VALU_DEP_3)
	v_add_co_ci_u32_e64 v21, null, s39, v21, s22
	global_store_b16 v[20:21], v2, off
.LBB2055_449:                           ;   in Loop: Header=BB2055_394 Depth=2
	s_wait_alu 0xfffe
	s_or_b32 exec_lo, exec_lo, s48
	s_lshl_b64 s[48:49], s[30:31], 3
	s_wait_alu 0xfffe
	v_add_co_u32 v20, s22, v88, s48
	s_wait_alu 0xf1ff
	v_add_co_ci_u32_e64 v21, null, s49, v89, s22
	v_cmp_lt_u32_e64 s22, v66, v101
	s_and_saveexec_b32 s30, s22
	s_wait_alu 0xfffe
	s_xor_b32 s22, exec_lo, s30
	s_cbranch_execnz .LBB2055_484
; %bb.450:                              ;   in Loop: Header=BB2055_394 Depth=2
	s_wait_alu 0xfffe
	s_or_b32 exec_lo, exec_lo, s22
	s_delay_alu instid0(SALU_CYCLE_1)
	s_mov_b32 s30, exec_lo
	v_cmpx_lt_u32_e64 v70, v101
	s_cbranch_execnz .LBB2055_485
.LBB2055_451:                           ;   in Loop: Header=BB2055_394 Depth=2
	s_wait_alu 0xfffe
	s_or_b32 exec_lo, exec_lo, s30
	s_delay_alu instid0(SALU_CYCLE_1)
	s_mov_b32 s30, exec_lo
	v_cmpx_lt_u32_e64 v71, v101
	s_cbranch_execnz .LBB2055_486
.LBB2055_452:                           ;   in Loop: Header=BB2055_394 Depth=2
	s_wait_alu 0xfffe
	s_or_b32 exec_lo, exec_lo, s30
	s_delay_alu instid0(SALU_CYCLE_1)
	s_mov_b32 s30, exec_lo
	v_cmpx_lt_u32_e64 v72, v101
	s_cbranch_execnz .LBB2055_487
.LBB2055_453:                           ;   in Loop: Header=BB2055_394 Depth=2
	s_wait_alu 0xfffe
	s_or_b32 exec_lo, exec_lo, s30
	s_delay_alu instid0(SALU_CYCLE_1)
	s_mov_b32 s30, exec_lo
	v_cmpx_lt_u32_e64 v73, v101
	s_cbranch_execnz .LBB2055_488
.LBB2055_454:                           ;   in Loop: Header=BB2055_394 Depth=2
	s_wait_alu 0xfffe
	s_or_b32 exec_lo, exec_lo, s30
	s_delay_alu instid0(SALU_CYCLE_1)
	s_mov_b32 s30, exec_lo
	v_cmpx_lt_u32_e64 v74, v101
	s_cbranch_execnz .LBB2055_489
.LBB2055_455:                           ;   in Loop: Header=BB2055_394 Depth=2
	s_wait_alu 0xfffe
	s_or_b32 exec_lo, exec_lo, s30
	s_delay_alu instid0(SALU_CYCLE_1)
	s_mov_b32 s30, exec_lo
	v_cmpx_lt_u32_e64 v75, v101
	s_cbranch_execnz .LBB2055_490
.LBB2055_456:                           ;   in Loop: Header=BB2055_394 Depth=2
	s_wait_alu 0xfffe
	s_or_b32 exec_lo, exec_lo, s30
	s_delay_alu instid0(SALU_CYCLE_1)
	s_mov_b32 s30, exec_lo
	v_cmpx_lt_u32_e64 v76, v101
	s_cbranch_execnz .LBB2055_491
.LBB2055_457:                           ;   in Loop: Header=BB2055_394 Depth=2
	s_wait_alu 0xfffe
	s_or_b32 exec_lo, exec_lo, s30
	s_and_saveexec_b32 s30, vcc_lo
	s_cbranch_execnz .LBB2055_492
.LBB2055_458:                           ;   in Loop: Header=BB2055_394 Depth=2
	s_wait_alu 0xfffe
	s_or_b32 exec_lo, exec_lo, s30
	s_and_saveexec_b32 s30, s15
	s_cbranch_execnz .LBB2055_493
.LBB2055_459:                           ;   in Loop: Header=BB2055_394 Depth=2
	s_wait_alu 0xfffe
	s_or_b32 exec_lo, exec_lo, s30
	s_and_saveexec_b32 s30, s16
	s_cbranch_execnz .LBB2055_494
.LBB2055_460:                           ;   in Loop: Header=BB2055_394 Depth=2
	s_wait_alu 0xfffe
	s_or_b32 exec_lo, exec_lo, s30
	s_and_saveexec_b32 s30, s17
	s_cbranch_execnz .LBB2055_495
.LBB2055_461:                           ;   in Loop: Header=BB2055_394 Depth=2
	s_wait_alu 0xfffe
	s_or_b32 exec_lo, exec_lo, s30
	s_and_saveexec_b32 s30, s18
	s_cbranch_execnz .LBB2055_496
.LBB2055_462:                           ;   in Loop: Header=BB2055_394 Depth=2
	s_wait_alu 0xfffe
	s_or_b32 exec_lo, exec_lo, s30
	s_and_saveexec_b32 s30, s19
	s_cbranch_execnz .LBB2055_497
.LBB2055_463:                           ;   in Loop: Header=BB2055_394 Depth=2
	s_wait_alu 0xfffe
	s_or_b32 exec_lo, exec_lo, s30
	s_and_saveexec_b32 s30, s20
	s_cbranch_execnz .LBB2055_498
.LBB2055_464:                           ;   in Loop: Header=BB2055_394 Depth=2
	s_wait_alu 0xfffe
	s_or_b32 exec_lo, exec_lo, s30
	s_and_saveexec_b32 s30, s21
	s_cbranch_execz .LBB2055_466
.LBB2055_465:                           ;   in Loop: Header=BB2055_394 Depth=2
	ds_load_u16 v2, v47 offset:4608
	s_wait_dscnt 0x0
	v_cmp_ne_u16_e64 s22, 0x7fff, v2
	s_wait_alu 0xf1ff
	s_delay_alu instid0(VALU_DEP_1) | instskip(NEXT) | instid1(VALU_DEP_1)
	v_cndmask_b32_e64 v2, 0xffff8000, v2, s22
	v_and_b32_e32 v2, 0xffff, v2
	s_delay_alu instid0(VALU_DEP_1) | instskip(NEXT) | instid1(VALU_DEP_1)
	v_lshrrev_b32_e32 v2, s45, v2
	v_and_b32_e32 v93, s42, v2
.LBB2055_466:                           ;   in Loop: Header=BB2055_394 Depth=2
	s_wait_alu 0xfffe
	s_or_b32 exec_lo, exec_lo, s30
	v_lshlrev_b32_e32 v2, 3, v108
	v_lshlrev_b32_e32 v20, 3, v104
	;; [unrolled: 1-line block ×3, first 2 shown]
	s_wait_loadcnt 0x0
	s_wait_storecnt 0x0
	s_barrier_signal -1
	s_barrier_wait -1
	global_inv scope:SCOPE_SE
	ds_store_b64 v2, v[18:19] offset:1024
	ds_store_b64 v20, v[16:17] offset:1024
	;; [unrolled: 1-line block ×3, first 2 shown]
	v_lshlrev_b32_e32 v2, 3, v25
	v_lshlrev_b32_e32 v20, 3, v24
	;; [unrolled: 1-line block ×5, first 2 shown]
	ds_store_b64 v2, v[12:13] offset:1024
	ds_store_b64 v20, v[10:11] offset:1024
	ds_store_b64 v21, v[8:9] offset:1024
	ds_store_b64 v23, v[6:7] offset:1024
	ds_store_b64 v24, v[4:5] offset:1024
	s_wait_loadcnt_dscnt 0x0
	s_barrier_signal -1
	s_barrier_wait -1
	global_inv scope:SCOPE_SE
	s_and_saveexec_b32 s22, vcc_lo
	s_cbranch_execnz .LBB2055_499
; %bb.467:                              ;   in Loop: Header=BB2055_394 Depth=2
	s_wait_alu 0xfffe
	s_or_b32 exec_lo, exec_lo, s22
	s_and_saveexec_b32 s22, s15
	s_cbranch_execnz .LBB2055_500
.LBB2055_468:                           ;   in Loop: Header=BB2055_394 Depth=2
	s_wait_alu 0xfffe
	s_or_b32 exec_lo, exec_lo, s22
	s_and_saveexec_b32 s15, s16
	s_cbranch_execnz .LBB2055_501
.LBB2055_469:                           ;   in Loop: Header=BB2055_394 Depth=2
	s_wait_alu 0xfffe
	s_or_b32 exec_lo, exec_lo, s15
	s_and_saveexec_b32 s15, s17
	s_cbranch_execnz .LBB2055_502
.LBB2055_470:                           ;   in Loop: Header=BB2055_394 Depth=2
	s_wait_alu 0xfffe
	s_or_b32 exec_lo, exec_lo, s15
	s_and_saveexec_b32 s15, s18
	s_cbranch_execnz .LBB2055_503
.LBB2055_471:                           ;   in Loop: Header=BB2055_394 Depth=2
	s_wait_alu 0xfffe
	s_or_b32 exec_lo, exec_lo, s15
	s_and_saveexec_b32 s15, s19
	s_cbranch_execnz .LBB2055_504
.LBB2055_472:                           ;   in Loop: Header=BB2055_394 Depth=2
	s_wait_alu 0xfffe
	s_or_b32 exec_lo, exec_lo, s15
	s_and_saveexec_b32 s15, s20
	s_cbranch_execnz .LBB2055_505
.LBB2055_473:                           ;   in Loop: Header=BB2055_394 Depth=2
	s_wait_alu 0xfffe
	s_or_b32 exec_lo, exec_lo, s15
	s_and_saveexec_b32 s15, s21
	s_cbranch_execz .LBB2055_475
.LBB2055_474:                           ;   in Loop: Header=BB2055_394 Depth=2
	v_lshlrev_b32_e32 v2, 2, v93
	v_add_nc_u32_e32 v20, v47, v48
	ds_load_b32 v2, v2
	ds_load_b64 v[20:21], v20 offset:15360
	s_wait_dscnt 0x1
	v_add_nc_u32_e32 v2, v2, v37
	s_delay_alu instid0(VALU_DEP_1) | instskip(NEXT) | instid1(VALU_DEP_1)
	v_lshlrev_b64_e32 v[23:24], 3, v[2:3]
	v_add_co_u32 v23, vcc_lo, s24, v23
	s_wait_alu 0xfffd
	s_delay_alu instid0(VALU_DEP_2)
	v_add_co_ci_u32_e64 v24, null, s25, v24, vcc_lo
	s_wait_dscnt 0x0
	global_store_b64 v[23:24], v[20:21], off
.LBB2055_475:                           ;   in Loop: Header=BB2055_394 Depth=2
	s_wait_alu 0xfffe
	s_or_b32 exec_lo, exec_lo, s15
	s_wait_loadcnt 0x0
	s_wait_storecnt 0x0
	s_barrier_signal -1
	s_barrier_wait -1
	global_inv scope:SCOPE_SE
	s_and_saveexec_b32 s15, s2
	s_cbranch_execz .LBB2055_393
; %bb.476:                              ;   in Loop: Header=BB2055_394 Depth=2
	ds_load_b32 v2, v28
	s_wait_dscnt 0x0
	v_add_nc_u32_e32 v2, v2, v22
	ds_store_b32 v28, v2
	s_branch .LBB2055_393
.LBB2055_477:                           ;   in Loop: Header=BB2055_394 Depth=2
	ds_load_u16 v103, v47 offset:1024
	s_wait_dscnt 0x0
	v_cmp_ne_u16_e64 s15, 0x7fff, v103
	s_wait_alu 0xf1ff
	s_delay_alu instid0(VALU_DEP_1) | instskip(SKIP_1) | instid1(VALU_DEP_2)
	v_cndmask_b32_e64 v2, 0xffff8000, v103, s15
	v_cmp_lt_i16_e64 s15, -1, v103
	v_and_b32_e32 v2, 0xffff, v2
	s_wait_alu 0xf1ff
	s_delay_alu instid0(VALU_DEP_2) | instskip(NEXT) | instid1(VALU_DEP_2)
	v_cndmask_b32_e64 v105, 0xffff8000, -1, s15
	v_lshrrev_b32_e32 v2, s45, v2
	s_delay_alu instid0(VALU_DEP_1) | instskip(NEXT) | instid1(VALU_DEP_1)
	v_and_b32_e32 v2, s42, v2
	v_lshlrev_b32_e32 v2, 2, v2
	ds_load_b32 v2, v2
	s_wait_dscnt 0x0
	v_add_nc_u32_e32 v2, v2, v1
	s_delay_alu instid0(VALU_DEP_1) | instskip(SKIP_1) | instid1(VALU_DEP_2)
	v_lshlrev_b64_e32 v[20:21], 1, v[2:3]
	v_xor_b32_e32 v2, v105, v103
	v_add_co_u32 v20, s15, s38, v20
	s_wait_alu 0xf1ff
	s_delay_alu instid0(VALU_DEP_3)
	v_add_co_ci_u32_e64 v21, null, s39, v21, s15
	global_store_b16 v[20:21], v2, off
	s_wait_alu 0xfffe
	s_or_b32 exec_lo, exec_lo, s16
	v_cmp_lt_u32_e64 s15, v29, v101
	s_and_saveexec_b32 s17, s15
	s_cbranch_execz .LBB2055_442
.LBB2055_478:                           ;   in Loop: Header=BB2055_394 Depth=2
	ds_load_u16 v103, v47 offset:1536
	s_wait_dscnt 0x0
	v_cmp_ne_u16_e64 s16, 0x7fff, v103
	s_wait_alu 0xf1ff
	s_delay_alu instid0(VALU_DEP_1) | instskip(SKIP_1) | instid1(VALU_DEP_2)
	v_cndmask_b32_e64 v2, 0xffff8000, v103, s16
	v_cmp_lt_i16_e64 s16, -1, v103
	v_and_b32_e32 v2, 0xffff, v2
	s_wait_alu 0xf1ff
	s_delay_alu instid0(VALU_DEP_2) | instskip(NEXT) | instid1(VALU_DEP_2)
	v_cndmask_b32_e64 v105, 0xffff8000, -1, s16
	v_lshrrev_b32_e32 v2, s45, v2
	s_delay_alu instid0(VALU_DEP_1) | instskip(NEXT) | instid1(VALU_DEP_1)
	v_and_b32_e32 v2, s42, v2
	v_lshlrev_b32_e32 v2, 2, v2
	ds_load_b32 v2, v2
	s_wait_dscnt 0x0
	v_add_nc_u32_e32 v2, v2, v29
	s_delay_alu instid0(VALU_DEP_1) | instskip(SKIP_1) | instid1(VALU_DEP_2)
	v_lshlrev_b64_e32 v[20:21], 1, v[2:3]
	v_xor_b32_e32 v2, v105, v103
	v_add_co_u32 v20, s16, s38, v20
	s_wait_alu 0xf1ff
	s_delay_alu instid0(VALU_DEP_3)
	v_add_co_ci_u32_e64 v21, null, s39, v21, s16
	global_store_b16 v[20:21], v2, off
	s_wait_alu 0xfffe
	s_or_b32 exec_lo, exec_lo, s17
	v_cmp_lt_u32_e64 s16, v30, v101
	s_and_saveexec_b32 s18, s16
	s_cbranch_execz .LBB2055_443
.LBB2055_479:                           ;   in Loop: Header=BB2055_394 Depth=2
	ds_load_u16 v103, v47 offset:2048
	s_wait_dscnt 0x0
	v_cmp_ne_u16_e64 s17, 0x7fff, v103
	s_wait_alu 0xf1ff
	s_delay_alu instid0(VALU_DEP_1) | instskip(SKIP_1) | instid1(VALU_DEP_2)
	v_cndmask_b32_e64 v2, 0xffff8000, v103, s17
	v_cmp_lt_i16_e64 s17, -1, v103
	v_and_b32_e32 v2, 0xffff, v2
	s_wait_alu 0xf1ff
	s_delay_alu instid0(VALU_DEP_2) | instskip(NEXT) | instid1(VALU_DEP_2)
	v_cndmask_b32_e64 v105, 0xffff8000, -1, s17
	v_lshrrev_b32_e32 v2, s45, v2
	s_delay_alu instid0(VALU_DEP_1) | instskip(NEXT) | instid1(VALU_DEP_1)
	v_and_b32_e32 v2, s42, v2
	v_lshlrev_b32_e32 v2, 2, v2
	ds_load_b32 v2, v2
	s_wait_dscnt 0x0
	v_add_nc_u32_e32 v2, v2, v30
	s_delay_alu instid0(VALU_DEP_1) | instskip(SKIP_1) | instid1(VALU_DEP_2)
	v_lshlrev_b64_e32 v[20:21], 1, v[2:3]
	v_xor_b32_e32 v2, v105, v103
	v_add_co_u32 v20, s17, s38, v20
	s_wait_alu 0xf1ff
	s_delay_alu instid0(VALU_DEP_3)
	v_add_co_ci_u32_e64 v21, null, s39, v21, s17
	global_store_b16 v[20:21], v2, off
	s_wait_alu 0xfffe
	s_or_b32 exec_lo, exec_lo, s18
	v_cmp_lt_u32_e64 s17, v31, v101
	s_and_saveexec_b32 s19, s17
	s_cbranch_execz .LBB2055_444
.LBB2055_480:                           ;   in Loop: Header=BB2055_394 Depth=2
	ds_load_u16 v103, v47 offset:2560
	s_wait_dscnt 0x0
	v_cmp_ne_u16_e64 s18, 0x7fff, v103
	s_wait_alu 0xf1ff
	s_delay_alu instid0(VALU_DEP_1) | instskip(SKIP_1) | instid1(VALU_DEP_2)
	v_cndmask_b32_e64 v2, 0xffff8000, v103, s18
	v_cmp_lt_i16_e64 s18, -1, v103
	v_and_b32_e32 v2, 0xffff, v2
	s_wait_alu 0xf1ff
	s_delay_alu instid0(VALU_DEP_2) | instskip(NEXT) | instid1(VALU_DEP_2)
	v_cndmask_b32_e64 v105, 0xffff8000, -1, s18
	v_lshrrev_b32_e32 v2, s45, v2
	s_delay_alu instid0(VALU_DEP_1) | instskip(NEXT) | instid1(VALU_DEP_1)
	v_and_b32_e32 v2, s42, v2
	v_lshlrev_b32_e32 v2, 2, v2
	ds_load_b32 v2, v2
	s_wait_dscnt 0x0
	v_add_nc_u32_e32 v2, v2, v31
	s_delay_alu instid0(VALU_DEP_1) | instskip(SKIP_1) | instid1(VALU_DEP_2)
	v_lshlrev_b64_e32 v[20:21], 1, v[2:3]
	v_xor_b32_e32 v2, v105, v103
	v_add_co_u32 v20, s18, s38, v20
	s_wait_alu 0xf1ff
	s_delay_alu instid0(VALU_DEP_3)
	v_add_co_ci_u32_e64 v21, null, s39, v21, s18
	global_store_b16 v[20:21], v2, off
	s_wait_alu 0xfffe
	s_or_b32 exec_lo, exec_lo, s19
	v_cmp_lt_u32_e64 s18, v34, v101
	s_and_saveexec_b32 s20, s18
	s_cbranch_execz .LBB2055_445
.LBB2055_481:                           ;   in Loop: Header=BB2055_394 Depth=2
	ds_load_u16 v103, v47 offset:3072
	s_wait_dscnt 0x0
	v_cmp_ne_u16_e64 s19, 0x7fff, v103
	s_wait_alu 0xf1ff
	s_delay_alu instid0(VALU_DEP_1) | instskip(SKIP_1) | instid1(VALU_DEP_2)
	v_cndmask_b32_e64 v2, 0xffff8000, v103, s19
	v_cmp_lt_i16_e64 s19, -1, v103
	v_and_b32_e32 v2, 0xffff, v2
	s_wait_alu 0xf1ff
	s_delay_alu instid0(VALU_DEP_2) | instskip(NEXT) | instid1(VALU_DEP_2)
	v_cndmask_b32_e64 v105, 0xffff8000, -1, s19
	v_lshrrev_b32_e32 v2, s45, v2
	s_delay_alu instid0(VALU_DEP_1) | instskip(NEXT) | instid1(VALU_DEP_1)
	v_and_b32_e32 v2, s42, v2
	v_lshlrev_b32_e32 v2, 2, v2
	ds_load_b32 v2, v2
	s_wait_dscnt 0x0
	v_add_nc_u32_e32 v2, v2, v34
	s_delay_alu instid0(VALU_DEP_1) | instskip(SKIP_1) | instid1(VALU_DEP_2)
	v_lshlrev_b64_e32 v[20:21], 1, v[2:3]
	v_xor_b32_e32 v2, v105, v103
	v_add_co_u32 v20, s19, s38, v20
	s_wait_alu 0xf1ff
	s_delay_alu instid0(VALU_DEP_3)
	v_add_co_ci_u32_e64 v21, null, s39, v21, s19
	global_store_b16 v[20:21], v2, off
	s_wait_alu 0xfffe
	s_or_b32 exec_lo, exec_lo, s20
	v_cmp_lt_u32_e64 s19, v35, v101
	s_and_saveexec_b32 s21, s19
	s_cbranch_execz .LBB2055_446
.LBB2055_482:                           ;   in Loop: Header=BB2055_394 Depth=2
	ds_load_u16 v103, v47 offset:3584
	s_wait_dscnt 0x0
	v_cmp_ne_u16_e64 s20, 0x7fff, v103
	s_wait_alu 0xf1ff
	s_delay_alu instid0(VALU_DEP_1) | instskip(SKIP_1) | instid1(VALU_DEP_2)
	v_cndmask_b32_e64 v2, 0xffff8000, v103, s20
	v_cmp_lt_i16_e64 s20, -1, v103
	v_and_b32_e32 v2, 0xffff, v2
	s_wait_alu 0xf1ff
	s_delay_alu instid0(VALU_DEP_2) | instskip(NEXT) | instid1(VALU_DEP_2)
	v_cndmask_b32_e64 v105, 0xffff8000, -1, s20
	v_lshrrev_b32_e32 v2, s45, v2
	s_delay_alu instid0(VALU_DEP_1) | instskip(NEXT) | instid1(VALU_DEP_1)
	v_and_b32_e32 v2, s42, v2
	v_lshlrev_b32_e32 v2, 2, v2
	ds_load_b32 v2, v2
	s_wait_dscnt 0x0
	v_add_nc_u32_e32 v2, v2, v35
	s_delay_alu instid0(VALU_DEP_1) | instskip(SKIP_1) | instid1(VALU_DEP_2)
	v_lshlrev_b64_e32 v[20:21], 1, v[2:3]
	v_xor_b32_e32 v2, v105, v103
	v_add_co_u32 v20, s20, s38, v20
	s_wait_alu 0xf1ff
	s_delay_alu instid0(VALU_DEP_3)
	v_add_co_ci_u32_e64 v21, null, s39, v21, s20
	global_store_b16 v[20:21], v2, off
	s_wait_alu 0xfffe
	s_or_b32 exec_lo, exec_lo, s21
	v_cmp_lt_u32_e64 s20, v36, v101
	s_and_saveexec_b32 s22, s20
	s_cbranch_execz .LBB2055_447
.LBB2055_483:                           ;   in Loop: Header=BB2055_394 Depth=2
	ds_load_u16 v103, v47 offset:4096
	s_wait_dscnt 0x0
	v_cmp_ne_u16_e64 s21, 0x7fff, v103
	s_wait_alu 0xf1ff
	s_delay_alu instid0(VALU_DEP_1) | instskip(SKIP_1) | instid1(VALU_DEP_2)
	v_cndmask_b32_e64 v2, 0xffff8000, v103, s21
	v_cmp_lt_i16_e64 s21, -1, v103
	v_and_b32_e32 v2, 0xffff, v2
	s_wait_alu 0xf1ff
	s_delay_alu instid0(VALU_DEP_2) | instskip(NEXT) | instid1(VALU_DEP_2)
	v_cndmask_b32_e64 v105, 0xffff8000, -1, s21
	v_lshrrev_b32_e32 v2, s45, v2
	s_delay_alu instid0(VALU_DEP_1) | instskip(NEXT) | instid1(VALU_DEP_1)
	v_and_b32_e32 v2, s42, v2
	v_lshlrev_b32_e32 v2, 2, v2
	ds_load_b32 v2, v2
	s_wait_dscnt 0x0
	v_add_nc_u32_e32 v2, v2, v36
	s_delay_alu instid0(VALU_DEP_1) | instskip(SKIP_1) | instid1(VALU_DEP_2)
	v_lshlrev_b64_e32 v[20:21], 1, v[2:3]
	v_xor_b32_e32 v2, v105, v103
	v_add_co_u32 v20, s21, s38, v20
	s_wait_alu 0xf1ff
	s_delay_alu instid0(VALU_DEP_3)
	v_add_co_ci_u32_e64 v21, null, s39, v21, s21
	global_store_b16 v[20:21], v2, off
	s_wait_alu 0xfffe
	s_or_b32 exec_lo, exec_lo, s22
	v_cmp_lt_u32_e64 s21, v37, v101
	s_and_saveexec_b32 s48, s21
	s_cbranch_execnz .LBB2055_448
	s_branch .LBB2055_449
.LBB2055_484:                           ;   in Loop: Header=BB2055_394 Depth=2
	global_load_b64 v[18:19], v[20:21], off
	s_wait_alu 0xfffe
	s_or_b32 exec_lo, exec_lo, s22
	s_delay_alu instid0(SALU_CYCLE_1)
	s_mov_b32 s30, exec_lo
	v_cmpx_lt_u32_e64 v70, v101
	s_cbranch_execz .LBB2055_451
.LBB2055_485:                           ;   in Loop: Header=BB2055_394 Depth=2
	global_load_b64 v[16:17], v[20:21], off offset:256
	s_wait_alu 0xfffe
	s_or_b32 exec_lo, exec_lo, s30
	s_delay_alu instid0(SALU_CYCLE_1)
	s_mov_b32 s30, exec_lo
	v_cmpx_lt_u32_e64 v71, v101
	s_cbranch_execz .LBB2055_452
.LBB2055_486:                           ;   in Loop: Header=BB2055_394 Depth=2
	global_load_b64 v[14:15], v[20:21], off offset:512
	s_wait_alu 0xfffe
	s_or_b32 exec_lo, exec_lo, s30
	s_delay_alu instid0(SALU_CYCLE_1)
	s_mov_b32 s30, exec_lo
	v_cmpx_lt_u32_e64 v72, v101
	s_cbranch_execz .LBB2055_453
.LBB2055_487:                           ;   in Loop: Header=BB2055_394 Depth=2
	global_load_b64 v[12:13], v[20:21], off offset:768
	s_wait_alu 0xfffe
	s_or_b32 exec_lo, exec_lo, s30
	s_delay_alu instid0(SALU_CYCLE_1)
	s_mov_b32 s30, exec_lo
	v_cmpx_lt_u32_e64 v73, v101
	s_cbranch_execz .LBB2055_454
.LBB2055_488:                           ;   in Loop: Header=BB2055_394 Depth=2
	global_load_b64 v[10:11], v[20:21], off offset:1024
	s_wait_alu 0xfffe
	s_or_b32 exec_lo, exec_lo, s30
	s_delay_alu instid0(SALU_CYCLE_1)
	s_mov_b32 s30, exec_lo
	v_cmpx_lt_u32_e64 v74, v101
	s_cbranch_execz .LBB2055_455
.LBB2055_489:                           ;   in Loop: Header=BB2055_394 Depth=2
	global_load_b64 v[8:9], v[20:21], off offset:1280
	s_wait_alu 0xfffe
	s_or_b32 exec_lo, exec_lo, s30
	s_delay_alu instid0(SALU_CYCLE_1)
	s_mov_b32 s30, exec_lo
	v_cmpx_lt_u32_e64 v75, v101
	s_cbranch_execz .LBB2055_456
.LBB2055_490:                           ;   in Loop: Header=BB2055_394 Depth=2
	global_load_b64 v[6:7], v[20:21], off offset:1536
	s_wait_alu 0xfffe
	s_or_b32 exec_lo, exec_lo, s30
	s_delay_alu instid0(SALU_CYCLE_1)
	s_mov_b32 s30, exec_lo
	v_cmpx_lt_u32_e64 v76, v101
	s_cbranch_execz .LBB2055_457
.LBB2055_491:                           ;   in Loop: Header=BB2055_394 Depth=2
	global_load_b64 v[4:5], v[20:21], off offset:1792
	s_wait_alu 0xfffe
	s_or_b32 exec_lo, exec_lo, s30
	s_and_saveexec_b32 s30, vcc_lo
	s_cbranch_execz .LBB2055_458
.LBB2055_492:                           ;   in Loop: Header=BB2055_394 Depth=2
	ds_load_u16 v2, v47 offset:1024
	s_wait_dscnt 0x0
	v_cmp_ne_u16_e64 s22, 0x7fff, v2
	s_wait_alu 0xf1ff
	s_delay_alu instid0(VALU_DEP_1) | instskip(NEXT) | instid1(VALU_DEP_1)
	v_cndmask_b32_e64 v2, 0xffff8000, v2, s22
	v_and_b32_e32 v2, 0xffff, v2
	s_delay_alu instid0(VALU_DEP_1) | instskip(NEXT) | instid1(VALU_DEP_1)
	v_lshrrev_b32_e32 v2, s45, v2
	v_and_b32_e32 v100, s42, v2
	s_wait_alu 0xfffe
	s_or_b32 exec_lo, exec_lo, s30
	s_and_saveexec_b32 s30, s15
	s_cbranch_execz .LBB2055_459
.LBB2055_493:                           ;   in Loop: Header=BB2055_394 Depth=2
	ds_load_u16 v2, v47 offset:1536
	s_wait_dscnt 0x0
	v_cmp_ne_u16_e64 s22, 0x7fff, v2
	s_wait_alu 0xf1ff
	s_delay_alu instid0(VALU_DEP_1) | instskip(NEXT) | instid1(VALU_DEP_1)
	v_cndmask_b32_e64 v2, 0xffff8000, v2, s22
	v_and_b32_e32 v2, 0xffff, v2
	s_delay_alu instid0(VALU_DEP_1) | instskip(NEXT) | instid1(VALU_DEP_1)
	v_lshrrev_b32_e32 v2, s45, v2
	v_and_b32_e32 v99, s42, v2
	s_wait_alu 0xfffe
	s_or_b32 exec_lo, exec_lo, s30
	s_and_saveexec_b32 s30, s16
	s_cbranch_execz .LBB2055_460
.LBB2055_494:                           ;   in Loop: Header=BB2055_394 Depth=2
	ds_load_u16 v2, v47 offset:2048
	s_wait_dscnt 0x0
	v_cmp_ne_u16_e64 s22, 0x7fff, v2
	s_wait_alu 0xf1ff
	s_delay_alu instid0(VALU_DEP_1) | instskip(NEXT) | instid1(VALU_DEP_1)
	v_cndmask_b32_e64 v2, 0xffff8000, v2, s22
	v_and_b32_e32 v2, 0xffff, v2
	s_delay_alu instid0(VALU_DEP_1) | instskip(NEXT) | instid1(VALU_DEP_1)
	v_lshrrev_b32_e32 v2, s45, v2
	v_and_b32_e32 v98, s42, v2
	s_wait_alu 0xfffe
	s_or_b32 exec_lo, exec_lo, s30
	s_and_saveexec_b32 s30, s17
	s_cbranch_execz .LBB2055_461
.LBB2055_495:                           ;   in Loop: Header=BB2055_394 Depth=2
	ds_load_u16 v2, v47 offset:2560
	s_wait_dscnt 0x0
	v_cmp_ne_u16_e64 s22, 0x7fff, v2
	s_wait_alu 0xf1ff
	s_delay_alu instid0(VALU_DEP_1) | instskip(NEXT) | instid1(VALU_DEP_1)
	v_cndmask_b32_e64 v2, 0xffff8000, v2, s22
	v_and_b32_e32 v2, 0xffff, v2
	s_delay_alu instid0(VALU_DEP_1) | instskip(NEXT) | instid1(VALU_DEP_1)
	v_lshrrev_b32_e32 v2, s45, v2
	v_and_b32_e32 v97, s42, v2
	s_wait_alu 0xfffe
	s_or_b32 exec_lo, exec_lo, s30
	s_and_saveexec_b32 s30, s18
	s_cbranch_execz .LBB2055_462
.LBB2055_496:                           ;   in Loop: Header=BB2055_394 Depth=2
	ds_load_u16 v2, v47 offset:3072
	s_wait_dscnt 0x0
	v_cmp_ne_u16_e64 s22, 0x7fff, v2
	s_wait_alu 0xf1ff
	s_delay_alu instid0(VALU_DEP_1) | instskip(NEXT) | instid1(VALU_DEP_1)
	v_cndmask_b32_e64 v2, 0xffff8000, v2, s22
	v_and_b32_e32 v2, 0xffff, v2
	s_delay_alu instid0(VALU_DEP_1) | instskip(NEXT) | instid1(VALU_DEP_1)
	v_lshrrev_b32_e32 v2, s45, v2
	v_and_b32_e32 v96, s42, v2
	s_wait_alu 0xfffe
	s_or_b32 exec_lo, exec_lo, s30
	s_and_saveexec_b32 s30, s19
	s_cbranch_execz .LBB2055_463
.LBB2055_497:                           ;   in Loop: Header=BB2055_394 Depth=2
	ds_load_u16 v2, v47 offset:3584
	s_wait_dscnt 0x0
	v_cmp_ne_u16_e64 s22, 0x7fff, v2
	s_wait_alu 0xf1ff
	s_delay_alu instid0(VALU_DEP_1) | instskip(NEXT) | instid1(VALU_DEP_1)
	v_cndmask_b32_e64 v2, 0xffff8000, v2, s22
	v_and_b32_e32 v2, 0xffff, v2
	s_delay_alu instid0(VALU_DEP_1) | instskip(NEXT) | instid1(VALU_DEP_1)
	v_lshrrev_b32_e32 v2, s45, v2
	v_and_b32_e32 v95, s42, v2
	s_wait_alu 0xfffe
	s_or_b32 exec_lo, exec_lo, s30
	s_and_saveexec_b32 s30, s20
	s_cbranch_execz .LBB2055_464
.LBB2055_498:                           ;   in Loop: Header=BB2055_394 Depth=2
	ds_load_u16 v2, v47 offset:4096
	s_wait_dscnt 0x0
	v_cmp_ne_u16_e64 s22, 0x7fff, v2
	s_wait_alu 0xf1ff
	s_delay_alu instid0(VALU_DEP_1) | instskip(NEXT) | instid1(VALU_DEP_1)
	v_cndmask_b32_e64 v2, 0xffff8000, v2, s22
	v_and_b32_e32 v2, 0xffff, v2
	s_delay_alu instid0(VALU_DEP_1) | instskip(NEXT) | instid1(VALU_DEP_1)
	v_lshrrev_b32_e32 v2, s45, v2
	v_and_b32_e32 v94, s42, v2
	s_wait_alu 0xfffe
	s_or_b32 exec_lo, exec_lo, s30
	s_and_saveexec_b32 s30, s21
	s_cbranch_execnz .LBB2055_465
	s_branch .LBB2055_466
.LBB2055_499:                           ;   in Loop: Header=BB2055_394 Depth=2
	v_lshlrev_b32_e32 v2, 2, v100
	v_add_nc_u32_e32 v20, v47, v48
	ds_load_b32 v2, v2
	ds_load_b64 v[20:21], v20 offset:1024
	s_wait_dscnt 0x1
	v_add_nc_u32_e32 v2, v2, v1
	s_delay_alu instid0(VALU_DEP_1) | instskip(NEXT) | instid1(VALU_DEP_1)
	v_lshlrev_b64_e32 v[23:24], 3, v[2:3]
	v_add_co_u32 v23, vcc_lo, s24, v23
	s_wait_alu 0xfffd
	s_delay_alu instid0(VALU_DEP_2)
	v_add_co_ci_u32_e64 v24, null, s25, v24, vcc_lo
	s_wait_dscnt 0x0
	global_store_b64 v[23:24], v[20:21], off
	s_wait_alu 0xfffe
	s_or_b32 exec_lo, exec_lo, s22
	s_and_saveexec_b32 s22, s15
	s_cbranch_execz .LBB2055_468
.LBB2055_500:                           ;   in Loop: Header=BB2055_394 Depth=2
	v_lshlrev_b32_e32 v2, 2, v99
	v_add_nc_u32_e32 v20, v47, v48
	ds_load_b32 v2, v2
	ds_load_b64 v[20:21], v20 offset:3072
	s_wait_dscnt 0x1
	v_add_nc_u32_e32 v2, v2, v29
	s_delay_alu instid0(VALU_DEP_1) | instskip(NEXT) | instid1(VALU_DEP_1)
	v_lshlrev_b64_e32 v[23:24], 3, v[2:3]
	v_add_co_u32 v23, vcc_lo, s24, v23
	s_wait_alu 0xfffd
	s_delay_alu instid0(VALU_DEP_2)
	v_add_co_ci_u32_e64 v24, null, s25, v24, vcc_lo
	s_wait_dscnt 0x0
	global_store_b64 v[23:24], v[20:21], off
	s_wait_alu 0xfffe
	s_or_b32 exec_lo, exec_lo, s22
	s_and_saveexec_b32 s15, s16
	s_cbranch_execz .LBB2055_469
.LBB2055_501:                           ;   in Loop: Header=BB2055_394 Depth=2
	v_lshlrev_b32_e32 v2, 2, v98
	v_add_nc_u32_e32 v20, v47, v48
	ds_load_b32 v2, v2
	ds_load_b64 v[20:21], v20 offset:5120
	s_wait_dscnt 0x1
	v_add_nc_u32_e32 v2, v2, v30
	s_delay_alu instid0(VALU_DEP_1) | instskip(NEXT) | instid1(VALU_DEP_1)
	v_lshlrev_b64_e32 v[23:24], 3, v[2:3]
	v_add_co_u32 v23, vcc_lo, s24, v23
	s_wait_alu 0xfffd
	s_delay_alu instid0(VALU_DEP_2)
	v_add_co_ci_u32_e64 v24, null, s25, v24, vcc_lo
	s_wait_dscnt 0x0
	global_store_b64 v[23:24], v[20:21], off
	s_wait_alu 0xfffe
	s_or_b32 exec_lo, exec_lo, s15
	s_and_saveexec_b32 s15, s17
	s_cbranch_execz .LBB2055_470
.LBB2055_502:                           ;   in Loop: Header=BB2055_394 Depth=2
	v_lshlrev_b32_e32 v2, 2, v97
	v_add_nc_u32_e32 v20, v47, v48
	ds_load_b32 v2, v2
	ds_load_b64 v[20:21], v20 offset:7168
	s_wait_dscnt 0x1
	v_add_nc_u32_e32 v2, v2, v31
	s_delay_alu instid0(VALU_DEP_1) | instskip(NEXT) | instid1(VALU_DEP_1)
	v_lshlrev_b64_e32 v[23:24], 3, v[2:3]
	v_add_co_u32 v23, vcc_lo, s24, v23
	s_wait_alu 0xfffd
	s_delay_alu instid0(VALU_DEP_2)
	v_add_co_ci_u32_e64 v24, null, s25, v24, vcc_lo
	s_wait_dscnt 0x0
	global_store_b64 v[23:24], v[20:21], off
	s_wait_alu 0xfffe
	s_or_b32 exec_lo, exec_lo, s15
	s_and_saveexec_b32 s15, s18
	s_cbranch_execz .LBB2055_471
.LBB2055_503:                           ;   in Loop: Header=BB2055_394 Depth=2
	v_lshlrev_b32_e32 v2, 2, v96
	v_add_nc_u32_e32 v20, v47, v48
	ds_load_b32 v2, v2
	ds_load_b64 v[20:21], v20 offset:9216
	s_wait_dscnt 0x1
	v_add_nc_u32_e32 v2, v2, v34
	s_delay_alu instid0(VALU_DEP_1) | instskip(NEXT) | instid1(VALU_DEP_1)
	v_lshlrev_b64_e32 v[23:24], 3, v[2:3]
	v_add_co_u32 v23, vcc_lo, s24, v23
	s_wait_alu 0xfffd
	s_delay_alu instid0(VALU_DEP_2)
	v_add_co_ci_u32_e64 v24, null, s25, v24, vcc_lo
	s_wait_dscnt 0x0
	global_store_b64 v[23:24], v[20:21], off
	s_wait_alu 0xfffe
	s_or_b32 exec_lo, exec_lo, s15
	s_and_saveexec_b32 s15, s19
	s_cbranch_execz .LBB2055_472
.LBB2055_504:                           ;   in Loop: Header=BB2055_394 Depth=2
	v_lshlrev_b32_e32 v2, 2, v95
	v_add_nc_u32_e32 v20, v47, v48
	ds_load_b32 v2, v2
	ds_load_b64 v[20:21], v20 offset:11264
	s_wait_dscnt 0x1
	v_add_nc_u32_e32 v2, v2, v35
	s_delay_alu instid0(VALU_DEP_1) | instskip(NEXT) | instid1(VALU_DEP_1)
	v_lshlrev_b64_e32 v[23:24], 3, v[2:3]
	v_add_co_u32 v23, vcc_lo, s24, v23
	s_wait_alu 0xfffd
	s_delay_alu instid0(VALU_DEP_2)
	v_add_co_ci_u32_e64 v24, null, s25, v24, vcc_lo
	s_wait_dscnt 0x0
	global_store_b64 v[23:24], v[20:21], off
	s_wait_alu 0xfffe
	s_or_b32 exec_lo, exec_lo, s15
	s_and_saveexec_b32 s15, s20
	s_cbranch_execz .LBB2055_473
.LBB2055_505:                           ;   in Loop: Header=BB2055_394 Depth=2
	v_lshlrev_b32_e32 v2, 2, v94
	v_add_nc_u32_e32 v20, v47, v48
	ds_load_b32 v2, v2
	ds_load_b64 v[20:21], v20 offset:13312
	s_wait_dscnt 0x1
	v_add_nc_u32_e32 v2, v2, v36
	s_delay_alu instid0(VALU_DEP_1) | instskip(NEXT) | instid1(VALU_DEP_1)
	v_lshlrev_b64_e32 v[23:24], 3, v[2:3]
	v_add_co_u32 v23, vcc_lo, s24, v23
	s_wait_alu 0xfffd
	s_delay_alu instid0(VALU_DEP_2)
	v_add_co_ci_u32_e64 v24, null, s25, v24, vcc_lo
	s_wait_dscnt 0x0
	global_store_b64 v[23:24], v[20:21], off
	s_wait_alu 0xfffe
	s_or_b32 exec_lo, exec_lo, s15
	s_and_saveexec_b32 s15, s21
	s_cbranch_execnz .LBB2055_474
	s_branch .LBB2055_475
.LBB2055_506:                           ;   in Loop: Header=BB2055_12 Depth=1
	s_wait_loadcnt_dscnt 0x0
	s_barrier_signal -1
	s_mov_b32 s0, 0
	s_barrier_wait -1
.LBB2055_507:                           ;   in Loop: Header=BB2055_12 Depth=1
	s_wait_alu 0xfffe
	s_and_b32 vcc_lo, exec_lo, s0
	s_wait_alu 0xfffe
	s_cbranch_vccz .LBB2055_11
; %bb.508:                              ;   in Loop: Header=BB2055_12 Depth=1
	s_mov_b32 s9, s47
	s_mov_b32 s30, s33
	s_barrier_signal -1
	s_barrier_wait -1
	global_inv scope:SCOPE_SE
                                        ; implicit-def: $vgpr2
                                        ; implicit-def: $vgpr4
                                        ; implicit-def: $vgpr5
                                        ; implicit-def: $vgpr6
                                        ; implicit-def: $vgpr7
                                        ; implicit-def: $vgpr8
                                        ; implicit-def: $vgpr9
                                        ; implicit-def: $vgpr10
	s_branch .LBB2055_510
.LBB2055_509:                           ;   in Loop: Header=BB2055_510 Depth=2
	s_wait_alu 0xfffe
	s_or_b32 exec_lo, exec_lo, s0
	s_addk_co_i32 s9, 0xf800
	s_cmp_ge_u32 s10, s34
	s_mov_b32 s30, s10
	s_cbranch_scc1 .LBB2055_546
.LBB2055_510:                           ;   Parent Loop BB2055_12 Depth=1
                                        ; =>  This Inner Loop Header: Depth=2
	s_wait_alu 0xfffe
	s_add_co_i32 s10, s30, 0x800
	s_mov_b32 s0, -1
	s_wait_alu 0xfffe
	s_cmp_gt_u32 s10, s34
                                        ; implicit-def: $vgpr11
                                        ; implicit-def: $vgpr12
                                        ; implicit-def: $vgpr13
                                        ; implicit-def: $vgpr14
                                        ; implicit-def: $vgpr15
                                        ; implicit-def: $vgpr16
                                        ; implicit-def: $vgpr17
                                        ; implicit-def: $vgpr18
	s_cbranch_scc1 .LBB2055_512
; %bb.511:                              ;   in Loop: Header=BB2055_510 Depth=2
	s_lshl_b64 s[0:1], s[30:31], 1
	s_wait_alu 0xfffe
	v_add_co_u32 v18, vcc_lo, v55, s0
	s_wait_alu 0xfffd
	v_add_co_ci_u32_e64 v19, null, s1, v56, vcc_lo
	s_mov_b32 s0, 0
	s_clause 0x7
	global_load_u16 v11, v[18:19], off
	global_load_u16 v12, v[18:19], off offset:512
	global_load_u16 v13, v[18:19], off offset:1024
	;; [unrolled: 1-line block ×7, first 2 shown]
.LBB2055_512:                           ;   in Loop: Header=BB2055_510 Depth=2
	s_wait_alu 0xfffe
	s_and_not1_b32 vcc_lo, exec_lo, s0
	s_movk_i32 s0, 0x800
	s_wait_alu 0xfffe
	s_cbranch_vccnz .LBB2055_523
; %bb.513:                              ;   in Loop: Header=BB2055_510 Depth=2
	s_lshl_b64 s[0:1], s[30:31], 1
	s_mov_b32 s11, exec_lo
	s_wait_alu 0xfffe
	s_add_nc_u64 s[0:1], s[36:37], s[0:1]
	v_cmpx_gt_u32_e64 s9, v1
	s_cbranch_execnz .LBB2055_539
; %bb.514:                              ;   in Loop: Header=BB2055_510 Depth=2
	s_or_b32 exec_lo, exec_lo, s11
	s_delay_alu instid0(SALU_CYCLE_1)
	s_mov_b32 s11, exec_lo
	v_cmpx_gt_u32_e64 s9, v29
	s_cbranch_execnz .LBB2055_540
.LBB2055_515:                           ;   in Loop: Header=BB2055_510 Depth=2
	s_wait_alu 0xfffe
	s_or_b32 exec_lo, exec_lo, s11
	s_delay_alu instid0(SALU_CYCLE_1)
	s_mov_b32 s11, exec_lo
	v_cmpx_gt_u32_e64 s9, v30
	s_cbranch_execnz .LBB2055_541
.LBB2055_516:                           ;   in Loop: Header=BB2055_510 Depth=2
	s_wait_alu 0xfffe
	s_or_b32 exec_lo, exec_lo, s11
	s_delay_alu instid0(SALU_CYCLE_1)
	s_mov_b32 s11, exec_lo
	v_cmpx_gt_u32_e64 s9, v31
	s_cbranch_execnz .LBB2055_542
.LBB2055_517:                           ;   in Loop: Header=BB2055_510 Depth=2
	s_wait_alu 0xfffe
	s_or_b32 exec_lo, exec_lo, s11
	s_delay_alu instid0(SALU_CYCLE_1)
	s_mov_b32 s11, exec_lo
	v_cmpx_gt_u32_e64 s9, v34
	s_cbranch_execnz .LBB2055_543
.LBB2055_518:                           ;   in Loop: Header=BB2055_510 Depth=2
	s_wait_alu 0xfffe
	s_or_b32 exec_lo, exec_lo, s11
	s_delay_alu instid0(SALU_CYCLE_1)
	s_mov_b32 s11, exec_lo
	v_cmpx_gt_u32_e64 s9, v35
	s_cbranch_execnz .LBB2055_544
.LBB2055_519:                           ;   in Loop: Header=BB2055_510 Depth=2
	s_wait_alu 0xfffe
	s_or_b32 exec_lo, exec_lo, s11
	s_delay_alu instid0(SALU_CYCLE_1)
	s_mov_b32 s11, exec_lo
	v_cmpx_gt_u32_e64 s9, v36
	s_cbranch_execnz .LBB2055_545
.LBB2055_520:                           ;   in Loop: Header=BB2055_510 Depth=2
	s_wait_alu 0xfffe
	s_or_b32 exec_lo, exec_lo, s11
	s_delay_alu instid0(SALU_CYCLE_1)
	s_mov_b32 s11, exec_lo
	v_cmpx_gt_u32_e64 s9, v37
	s_cbranch_execz .LBB2055_522
.LBB2055_521:                           ;   in Loop: Header=BB2055_510 Depth=2
	global_load_u16 v2, v82, s[0:1] offset:3584
.LBB2055_522:                           ;   in Loop: Header=BB2055_510 Depth=2
	s_wait_alu 0xfffe
	s_or_b32 exec_lo, exec_lo, s11
	s_wait_loadcnt 0x0
	v_dual_mov_b32 v11, v10 :: v_dual_mov_b32 v12, v9
	v_dual_mov_b32 v13, v8 :: v_dual_mov_b32 v14, v7
	;; [unrolled: 1-line block ×4, first 2 shown]
	s_mov_b32 s0, s9
.LBB2055_523:                           ;   in Loop: Header=BB2055_510 Depth=2
	s_wait_loadcnt 0x0
	s_delay_alu instid0(VALU_DEP_1) | instskip(NEXT) | instid1(VALU_DEP_2)
	v_dual_mov_b32 v2, v18 :: v_dual_mov_b32 v5, v16
	v_dual_mov_b32 v4, v17 :: v_dual_mov_b32 v7, v14
	;; [unrolled: 1-line block ×3, first 2 shown]
	v_mov_b32_e32 v8, v13
	v_mov_b32_e32 v10, v11
	s_mov_b32 s1, exec_lo
	s_wait_alu 0xfffe
	v_cmpx_gt_u32_e64 s0, v1
	s_cbranch_execnz .LBB2055_531
; %bb.524:                              ;   in Loop: Header=BB2055_510 Depth=2
	s_or_b32 exec_lo, exec_lo, s1
	s_delay_alu instid0(SALU_CYCLE_1)
	s_mov_b32 s1, exec_lo
	v_cmpx_gt_u32_e64 s0, v29
	s_cbranch_execnz .LBB2055_532
.LBB2055_525:                           ;   in Loop: Header=BB2055_510 Depth=2
	s_wait_alu 0xfffe
	s_or_b32 exec_lo, exec_lo, s1
	s_delay_alu instid0(SALU_CYCLE_1)
	s_mov_b32 s1, exec_lo
	v_cmpx_gt_u32_e64 s0, v30
	s_cbranch_execnz .LBB2055_533
.LBB2055_526:                           ;   in Loop: Header=BB2055_510 Depth=2
	s_wait_alu 0xfffe
	s_or_b32 exec_lo, exec_lo, s1
	s_delay_alu instid0(SALU_CYCLE_1)
	s_mov_b32 s1, exec_lo
	v_cmpx_gt_u32_e64 s0, v31
	s_cbranch_execnz .LBB2055_534
.LBB2055_527:                           ;   in Loop: Header=BB2055_510 Depth=2
	s_wait_alu 0xfffe
	s_or_b32 exec_lo, exec_lo, s1
	s_delay_alu instid0(SALU_CYCLE_1)
	s_mov_b32 s1, exec_lo
	v_cmpx_gt_u32_e64 s0, v34
	s_cbranch_execnz .LBB2055_535
.LBB2055_528:                           ;   in Loop: Header=BB2055_510 Depth=2
	s_wait_alu 0xfffe
	s_or_b32 exec_lo, exec_lo, s1
	s_delay_alu instid0(SALU_CYCLE_1)
	s_mov_b32 s1, exec_lo
	v_cmpx_gt_u32_e64 s0, v35
	s_cbranch_execnz .LBB2055_536
.LBB2055_529:                           ;   in Loop: Header=BB2055_510 Depth=2
	s_wait_alu 0xfffe
	s_or_b32 exec_lo, exec_lo, s1
	s_delay_alu instid0(SALU_CYCLE_1)
	s_mov_b32 s1, exec_lo
	v_cmpx_gt_u32_e64 s0, v36
	s_cbranch_execnz .LBB2055_537
.LBB2055_530:                           ;   in Loop: Header=BB2055_510 Depth=2
	s_wait_alu 0xfffe
	s_or_b32 exec_lo, exec_lo, s1
	v_cmp_gt_u32_e32 vcc_lo, s0, v37
	s_and_saveexec_b32 s0, vcc_lo
	s_cbranch_execz .LBB2055_509
	s_branch .LBB2055_538
.LBB2055_531:                           ;   in Loop: Header=BB2055_510 Depth=2
	v_cmp_lt_i16_e32 vcc_lo, -1, v10
	s_wait_alu 0xfffd
	v_cndmask_b32_e64 v11, -1, 0xffff8000, vcc_lo
	s_delay_alu instid0(VALU_DEP_1) | instskip(NEXT) | instid1(VALU_DEP_1)
	v_xor_b32_e32 v11, v11, v10
	v_cmp_ne_u16_e32 vcc_lo, 0x7fff, v11
	s_wait_alu 0xfffd
	v_cndmask_b32_e32 v11, 0xffff8000, v11, vcc_lo
	s_delay_alu instid0(VALU_DEP_1) | instskip(NEXT) | instid1(VALU_DEP_1)
	v_and_b32_e32 v11, 0xffff, v11
	v_lshrrev_b32_e32 v11, s45, v11
	s_delay_alu instid0(VALU_DEP_1) | instskip(NEXT) | instid1(VALU_DEP_1)
	v_and_b32_e32 v11, s42, v11
	v_lshl_or_b32 v11, v11, 4, v39
	ds_add_u32 v11, v62
	s_or_b32 exec_lo, exec_lo, s1
	s_delay_alu instid0(SALU_CYCLE_1)
	s_mov_b32 s1, exec_lo
	v_cmpx_gt_u32_e64 s0, v29
	s_cbranch_execz .LBB2055_525
.LBB2055_532:                           ;   in Loop: Header=BB2055_510 Depth=2
	v_cmp_lt_i16_e32 vcc_lo, -1, v9
	s_wait_alu 0xfffd
	v_cndmask_b32_e64 v11, -1, 0xffff8000, vcc_lo
	s_delay_alu instid0(VALU_DEP_1) | instskip(NEXT) | instid1(VALU_DEP_1)
	v_xor_b32_e32 v11, v11, v9
	v_cmp_ne_u16_e32 vcc_lo, 0x7fff, v11
	s_wait_alu 0xfffd
	v_cndmask_b32_e32 v11, 0xffff8000, v11, vcc_lo
	s_delay_alu instid0(VALU_DEP_1) | instskip(NEXT) | instid1(VALU_DEP_1)
	v_and_b32_e32 v11, 0xffff, v11
	v_lshrrev_b32_e32 v11, s45, v11
	s_delay_alu instid0(VALU_DEP_1) | instskip(NEXT) | instid1(VALU_DEP_1)
	v_and_b32_e32 v11, s42, v11
	v_lshl_or_b32 v11, v11, 4, v39
	ds_add_u32 v11, v62
	s_wait_alu 0xfffe
	s_or_b32 exec_lo, exec_lo, s1
	s_delay_alu instid0(SALU_CYCLE_1)
	s_mov_b32 s1, exec_lo
	v_cmpx_gt_u32_e64 s0, v30
	s_cbranch_execz .LBB2055_526
.LBB2055_533:                           ;   in Loop: Header=BB2055_510 Depth=2
	v_cmp_lt_i16_e32 vcc_lo, -1, v8
	s_wait_alu 0xfffd
	v_cndmask_b32_e64 v11, -1, 0xffff8000, vcc_lo
	s_delay_alu instid0(VALU_DEP_1) | instskip(NEXT) | instid1(VALU_DEP_1)
	v_xor_b32_e32 v11, v11, v8
	v_cmp_ne_u16_e32 vcc_lo, 0x7fff, v11
	s_wait_alu 0xfffd
	v_cndmask_b32_e32 v11, 0xffff8000, v11, vcc_lo
	s_delay_alu instid0(VALU_DEP_1) | instskip(NEXT) | instid1(VALU_DEP_1)
	v_and_b32_e32 v11, 0xffff, v11
	v_lshrrev_b32_e32 v11, s45, v11
	s_delay_alu instid0(VALU_DEP_1) | instskip(NEXT) | instid1(VALU_DEP_1)
	v_and_b32_e32 v11, s42, v11
	v_lshl_or_b32 v11, v11, 4, v39
	ds_add_u32 v11, v62
	s_wait_alu 0xfffe
	s_or_b32 exec_lo, exec_lo, s1
	s_delay_alu instid0(SALU_CYCLE_1)
	s_mov_b32 s1, exec_lo
	v_cmpx_gt_u32_e64 s0, v31
	s_cbranch_execz .LBB2055_527
.LBB2055_534:                           ;   in Loop: Header=BB2055_510 Depth=2
	v_cmp_lt_i16_e32 vcc_lo, -1, v7
	s_wait_alu 0xfffd
	v_cndmask_b32_e64 v11, -1, 0xffff8000, vcc_lo
	s_delay_alu instid0(VALU_DEP_1) | instskip(NEXT) | instid1(VALU_DEP_1)
	v_xor_b32_e32 v11, v11, v7
	v_cmp_ne_u16_e32 vcc_lo, 0x7fff, v11
	s_wait_alu 0xfffd
	v_cndmask_b32_e32 v11, 0xffff8000, v11, vcc_lo
	s_delay_alu instid0(VALU_DEP_1) | instskip(NEXT) | instid1(VALU_DEP_1)
	v_and_b32_e32 v11, 0xffff, v11
	v_lshrrev_b32_e32 v11, s45, v11
	s_delay_alu instid0(VALU_DEP_1) | instskip(NEXT) | instid1(VALU_DEP_1)
	v_and_b32_e32 v11, s42, v11
	v_lshl_or_b32 v11, v11, 4, v39
	ds_add_u32 v11, v62
	s_wait_alu 0xfffe
	s_or_b32 exec_lo, exec_lo, s1
	s_delay_alu instid0(SALU_CYCLE_1)
	s_mov_b32 s1, exec_lo
	v_cmpx_gt_u32_e64 s0, v34
	s_cbranch_execz .LBB2055_528
.LBB2055_535:                           ;   in Loop: Header=BB2055_510 Depth=2
	v_cmp_lt_i16_e32 vcc_lo, -1, v6
	s_wait_alu 0xfffd
	v_cndmask_b32_e64 v11, -1, 0xffff8000, vcc_lo
	s_delay_alu instid0(VALU_DEP_1) | instskip(NEXT) | instid1(VALU_DEP_1)
	v_xor_b32_e32 v11, v11, v6
	v_cmp_ne_u16_e32 vcc_lo, 0x7fff, v11
	s_wait_alu 0xfffd
	v_cndmask_b32_e32 v11, 0xffff8000, v11, vcc_lo
	s_delay_alu instid0(VALU_DEP_1) | instskip(NEXT) | instid1(VALU_DEP_1)
	v_and_b32_e32 v11, 0xffff, v11
	v_lshrrev_b32_e32 v11, s45, v11
	s_delay_alu instid0(VALU_DEP_1) | instskip(NEXT) | instid1(VALU_DEP_1)
	v_and_b32_e32 v11, s42, v11
	v_lshl_or_b32 v11, v11, 4, v39
	ds_add_u32 v11, v62
	s_wait_alu 0xfffe
	s_or_b32 exec_lo, exec_lo, s1
	s_delay_alu instid0(SALU_CYCLE_1)
	s_mov_b32 s1, exec_lo
	v_cmpx_gt_u32_e64 s0, v35
	s_cbranch_execz .LBB2055_529
.LBB2055_536:                           ;   in Loop: Header=BB2055_510 Depth=2
	v_cmp_lt_i16_e32 vcc_lo, -1, v5
	s_wait_alu 0xfffd
	v_cndmask_b32_e64 v11, -1, 0xffff8000, vcc_lo
	s_delay_alu instid0(VALU_DEP_1) | instskip(NEXT) | instid1(VALU_DEP_1)
	v_xor_b32_e32 v11, v11, v5
	v_cmp_ne_u16_e32 vcc_lo, 0x7fff, v11
	s_wait_alu 0xfffd
	v_cndmask_b32_e32 v11, 0xffff8000, v11, vcc_lo
	s_delay_alu instid0(VALU_DEP_1) | instskip(NEXT) | instid1(VALU_DEP_1)
	v_and_b32_e32 v11, 0xffff, v11
	v_lshrrev_b32_e32 v11, s45, v11
	s_delay_alu instid0(VALU_DEP_1) | instskip(NEXT) | instid1(VALU_DEP_1)
	v_and_b32_e32 v11, s42, v11
	v_lshl_or_b32 v11, v11, 4, v39
	ds_add_u32 v11, v62
	s_wait_alu 0xfffe
	s_or_b32 exec_lo, exec_lo, s1
	s_delay_alu instid0(SALU_CYCLE_1)
	s_mov_b32 s1, exec_lo
	v_cmpx_gt_u32_e64 s0, v36
	s_cbranch_execz .LBB2055_530
.LBB2055_537:                           ;   in Loop: Header=BB2055_510 Depth=2
	v_cmp_lt_i16_e32 vcc_lo, -1, v4
	s_wait_alu 0xfffd
	v_cndmask_b32_e64 v11, -1, 0xffff8000, vcc_lo
	s_delay_alu instid0(VALU_DEP_1) | instskip(NEXT) | instid1(VALU_DEP_1)
	v_xor_b32_e32 v11, v11, v4
	v_cmp_ne_u16_e32 vcc_lo, 0x7fff, v11
	s_wait_alu 0xfffd
	v_cndmask_b32_e32 v11, 0xffff8000, v11, vcc_lo
	s_delay_alu instid0(VALU_DEP_1) | instskip(NEXT) | instid1(VALU_DEP_1)
	v_and_b32_e32 v11, 0xffff, v11
	v_lshrrev_b32_e32 v11, s45, v11
	s_delay_alu instid0(VALU_DEP_1) | instskip(NEXT) | instid1(VALU_DEP_1)
	v_and_b32_e32 v11, s42, v11
	v_lshl_or_b32 v11, v11, 4, v39
	ds_add_u32 v11, v62
	s_wait_alu 0xfffe
	s_or_b32 exec_lo, exec_lo, s1
	v_cmp_gt_u32_e32 vcc_lo, s0, v37
	s_and_saveexec_b32 s0, vcc_lo
	s_cbranch_execz .LBB2055_509
.LBB2055_538:                           ;   in Loop: Header=BB2055_510 Depth=2
	v_cmp_lt_i16_e32 vcc_lo, -1, v2
	s_wait_alu 0xfffd
	v_cndmask_b32_e64 v11, -1, 0xffff8000, vcc_lo
	s_delay_alu instid0(VALU_DEP_1) | instskip(NEXT) | instid1(VALU_DEP_1)
	v_xor_b32_e32 v11, v11, v2
	v_cmp_ne_u16_e32 vcc_lo, 0x7fff, v11
	s_wait_alu 0xfffd
	v_cndmask_b32_e32 v11, 0xffff8000, v11, vcc_lo
	s_delay_alu instid0(VALU_DEP_1) | instskip(NEXT) | instid1(VALU_DEP_1)
	v_and_b32_e32 v11, 0xffff, v11
	v_lshrrev_b32_e32 v11, s45, v11
	s_delay_alu instid0(VALU_DEP_1) | instskip(NEXT) | instid1(VALU_DEP_1)
	v_and_b32_e32 v11, s42, v11
	v_lshl_or_b32 v11, v11, 4, v39
	ds_add_u32 v11, v62
	s_branch .LBB2055_509
.LBB2055_539:                           ;   in Loop: Header=BB2055_510 Depth=2
	global_load_u16 v10, v82, s[0:1]
	s_or_b32 exec_lo, exec_lo, s11
	s_delay_alu instid0(SALU_CYCLE_1)
	s_mov_b32 s11, exec_lo
	v_cmpx_gt_u32_e64 s9, v29
	s_cbranch_execz .LBB2055_515
.LBB2055_540:                           ;   in Loop: Header=BB2055_510 Depth=2
	global_load_u16 v9, v82, s[0:1] offset:512
	s_wait_alu 0xfffe
	s_or_b32 exec_lo, exec_lo, s11
	s_delay_alu instid0(SALU_CYCLE_1)
	s_mov_b32 s11, exec_lo
	v_cmpx_gt_u32_e64 s9, v30
	s_cbranch_execz .LBB2055_516
.LBB2055_541:                           ;   in Loop: Header=BB2055_510 Depth=2
	global_load_u16 v8, v82, s[0:1] offset:1024
	s_wait_alu 0xfffe
	s_or_b32 exec_lo, exec_lo, s11
	s_delay_alu instid0(SALU_CYCLE_1)
	s_mov_b32 s11, exec_lo
	v_cmpx_gt_u32_e64 s9, v31
	s_cbranch_execz .LBB2055_517
.LBB2055_542:                           ;   in Loop: Header=BB2055_510 Depth=2
	global_load_u16 v7, v82, s[0:1] offset:1536
	s_wait_alu 0xfffe
	s_or_b32 exec_lo, exec_lo, s11
	s_delay_alu instid0(SALU_CYCLE_1)
	s_mov_b32 s11, exec_lo
	v_cmpx_gt_u32_e64 s9, v34
	s_cbranch_execz .LBB2055_518
.LBB2055_543:                           ;   in Loop: Header=BB2055_510 Depth=2
	global_load_u16 v6, v82, s[0:1] offset:2048
	s_wait_alu 0xfffe
	s_or_b32 exec_lo, exec_lo, s11
	s_delay_alu instid0(SALU_CYCLE_1)
	s_mov_b32 s11, exec_lo
	v_cmpx_gt_u32_e64 s9, v35
	s_cbranch_execz .LBB2055_519
.LBB2055_544:                           ;   in Loop: Header=BB2055_510 Depth=2
	global_load_u16 v5, v82, s[0:1] offset:2560
	s_wait_alu 0xfffe
	s_or_b32 exec_lo, exec_lo, s11
	s_delay_alu instid0(SALU_CYCLE_1)
	s_mov_b32 s11, exec_lo
	v_cmpx_gt_u32_e64 s9, v36
	s_cbranch_execz .LBB2055_520
.LBB2055_545:                           ;   in Loop: Header=BB2055_510 Depth=2
	global_load_u16 v4, v82, s[0:1] offset:3072
	s_wait_alu 0xfffe
	s_or_b32 exec_lo, exec_lo, s11
	s_delay_alu instid0(SALU_CYCLE_1)
	s_mov_b32 s11, exec_lo
	v_cmpx_gt_u32_e64 s9, v37
	s_cbranch_execnz .LBB2055_521
	s_branch .LBB2055_522
.LBB2055_546:                           ;   in Loop: Header=BB2055_12 Depth=1
	v_mov_b32_e32 v2, 0
	s_wait_dscnt 0x0
	s_barrier_signal -1
	s_barrier_wait -1
	global_inv scope:SCOPE_SE
	s_and_saveexec_b32 s0, s2
	s_cbranch_execz .LBB2055_548
; %bb.547:                              ;   in Loop: Header=BB2055_12 Depth=1
	ds_load_2addr_b64 v[4:7], v40 offset1:1
	s_wait_dscnt 0x0
	v_add_nc_u32_e32 v2, v5, v4
	s_delay_alu instid0(VALU_DEP_1)
	v_add3_u32 v2, v2, v6, v7
.LBB2055_548:                           ;   in Loop: Header=BB2055_12 Depth=1
	s_wait_alu 0xfffe
	s_or_b32 exec_lo, exec_lo, s0
	s_delay_alu instid0(VALU_DEP_1)
	v_mov_b32_dpp v4, v2 row_shr:1 row_mask:0xf bank_mask:0xf
	v_cmp_eq_u32_e64 s0, 0, v63
	v_cmp_lt_u32_e64 s1, 1, v63
	v_cmp_lt_u32_e64 s9, 3, v63
	;; [unrolled: 1-line block ×3, first 2 shown]
	v_cmp_eq_u32_e64 s11, 0, v65
	s_wait_alu 0xf1ff
	v_cndmask_b32_e64 v4, v4, 0, s0
	s_delay_alu instid0(VALU_DEP_1) | instskip(NEXT) | instid1(VALU_DEP_1)
	v_add_nc_u32_e32 v2, v4, v2
	v_mov_b32_dpp v4, v2 row_shr:2 row_mask:0xf bank_mask:0xf
	s_delay_alu instid0(VALU_DEP_1) | instskip(NEXT) | instid1(VALU_DEP_1)
	v_cndmask_b32_e64 v4, 0, v4, s1
	v_add_nc_u32_e32 v2, v2, v4
	s_delay_alu instid0(VALU_DEP_1) | instskip(NEXT) | instid1(VALU_DEP_1)
	v_mov_b32_dpp v4, v2 row_shr:4 row_mask:0xf bank_mask:0xf
	v_cndmask_b32_e64 v4, 0, v4, s9
	s_delay_alu instid0(VALU_DEP_1) | instskip(NEXT) | instid1(VALU_DEP_1)
	v_add_nc_u32_e32 v2, v2, v4
	v_mov_b32_dpp v4, v2 row_shr:8 row_mask:0xf bank_mask:0xf
	s_delay_alu instid0(VALU_DEP_1) | instskip(NEXT) | instid1(VALU_DEP_1)
	v_cndmask_b32_e64 v4, 0, v4, s10
	v_add_nc_u32_e32 v2, v2, v4
	ds_swizzle_b32 v4, v2 offset:swizzle(BROADCAST,32,15)
	s_wait_dscnt 0x0
	v_and_b32_e32 v4, v64, v4
	s_delay_alu instid0(VALU_DEP_1)
	v_add_nc_u32_e32 v2, v2, v4
	s_and_saveexec_b32 s12, s3
; %bb.549:                              ;   in Loop: Header=BB2055_12 Depth=1
	ds_store_b32 v41, v2
; %bb.550:                              ;   in Loop: Header=BB2055_12 Depth=1
	s_wait_alu 0xfffe
	s_or_b32 exec_lo, exec_lo, s12
	s_wait_loadcnt_dscnt 0x0
	s_barrier_signal -1
	s_barrier_wait -1
	global_inv scope:SCOPE_SE
	s_and_saveexec_b32 s12, s4
	s_cbranch_execz .LBB2055_552
; %bb.551:                              ;   in Loop: Header=BB2055_12 Depth=1
	ds_load_b32 v4, v42
	v_cmp_ne_u32_e32 vcc_lo, 0, v67
	s_wait_dscnt 0x0
	v_mov_b32_dpp v5, v4 row_shr:1 row_mask:0xf bank_mask:0xf
	s_wait_alu 0xfffd
	s_delay_alu instid0(VALU_DEP_1) | instskip(SKIP_1) | instid1(VALU_DEP_2)
	v_cndmask_b32_e32 v5, 0, v5, vcc_lo
	v_cmp_lt_u32_e32 vcc_lo, 1, v67
	v_add_nc_u32_e32 v4, v5, v4
	s_delay_alu instid0(VALU_DEP_1) | instskip(SKIP_1) | instid1(VALU_DEP_1)
	v_mov_b32_dpp v5, v4 row_shr:2 row_mask:0xf bank_mask:0xf
	s_wait_alu 0xfffd
	v_cndmask_b32_e32 v5, 0, v5, vcc_lo
	v_cmp_lt_u32_e32 vcc_lo, 3, v67
	s_delay_alu instid0(VALU_DEP_2) | instskip(NEXT) | instid1(VALU_DEP_1)
	v_add_nc_u32_e32 v4, v4, v5
	v_mov_b32_dpp v5, v4 row_shr:4 row_mask:0xf bank_mask:0xf
	s_wait_alu 0xfffd
	s_delay_alu instid0(VALU_DEP_1) | instskip(NEXT) | instid1(VALU_DEP_1)
	v_cndmask_b32_e32 v5, 0, v5, vcc_lo
	v_add_nc_u32_e32 v4, v4, v5
	ds_store_b32 v42, v4
.LBB2055_552:                           ;   in Loop: Header=BB2055_12 Depth=1
	s_wait_alu 0xfffe
	s_or_b32 exec_lo, exec_lo, s12
	v_mov_b32_e32 v4, 0
	s_wait_loadcnt_dscnt 0x0
	s_barrier_signal -1
	s_barrier_wait -1
	global_inv scope:SCOPE_SE
	s_and_saveexec_b32 s12, s5
; %bb.553:                              ;   in Loop: Header=BB2055_12 Depth=1
	ds_load_b32 v4, v44
; %bb.554:                              ;   in Loop: Header=BB2055_12 Depth=1
	s_wait_alu 0xfffe
	s_or_b32 exec_lo, exec_lo, s12
	v_cmp_gt_i32_e32 vcc_lo, 0, v68
	s_wait_dscnt 0x0
	v_add_nc_u32_e32 v2, v4, v2
	s_wait_loadcnt 0x0
	s_barrier_signal -1
	s_barrier_wait -1
	s_wait_alu 0xfffd
	v_cndmask_b32_e32 v5, v68, v59, vcc_lo
	global_inv scope:SCOPE_SE
	v_lshlrev_b32_e32 v87, 2, v5
	ds_bpermute_b32 v2, v87, v2
	s_and_saveexec_b32 s12, s2
	s_cbranch_execz .LBB2055_556
; %bb.555:                              ;   in Loop: Header=BB2055_12 Depth=1
	s_wait_dscnt 0x0
	v_cndmask_b32_e64 v2, v2, v4, s8
	s_delay_alu instid0(VALU_DEP_1)
	v_add_nc_u32_e32 v2, s33, v2
	ds_store_b32 v28, v2
.LBB2055_556:                           ;   in Loop: Header=BB2055_12 Depth=1
	s_wait_alu 0xfffe
	s_or_b32 exec_lo, exec_lo, s12
	s_load_b64 s[12:13], s[28:29], 0x0
	v_add_co_u32 v88, vcc_lo, v57, v69
	s_wait_alu 0xfffd
	v_add_co_ci_u32_e64 v89, null, 0, v58, vcc_lo
	v_add_co_u32 v90, vcc_lo, v60, v77
	s_wait_alu 0xfffd
	v_add_co_ci_u32_e64 v91, null, 0, v61, vcc_lo
	s_mov_b32 s43, s47
                                        ; implicit-def: $vgpr6_vgpr7
                                        ; implicit-def: $vgpr8_vgpr9
                                        ; implicit-def: $vgpr10_vgpr11
                                        ; implicit-def: $vgpr12_vgpr13
                                        ; implicit-def: $vgpr14_vgpr15
                                        ; implicit-def: $vgpr16_vgpr17
                                        ; implicit-def: $vgpr18_vgpr19
                                        ; implicit-def: $vgpr93
                                        ; implicit-def: $vgpr94
                                        ; implicit-def: $vgpr95
                                        ; implicit-def: $vgpr96
                                        ; implicit-def: $vgpr97
                                        ; implicit-def: $vgpr98
                                        ; implicit-def: $vgpr99
                                        ; implicit-def: $vgpr100
	s_wait_kmcnt 0x0
	s_cmp_lt_u32 ttmp7, s13
	s_cselect_b32 s30, 14, 20
	s_cmp_lt_u32 ttmp9, s12
	s_wait_alu 0xfffe
	s_add_nc_u64 s[14:15], s[28:29], s[30:31]
	s_cselect_b32 s30, 12, 18
	s_load_u16 s14, s[14:15], 0x0
	s_add_nc_u64 s[12:13], s[28:29], s[30:31]
	s_mov_b32 s30, s33
	s_load_u16 s12, s[12:13], 0x0
	v_cmp_lt_u32_e64 s13, 1, v67
	s_wait_dscnt 0x0
	s_wait_kmcnt 0x0
	v_mad_u32_u24 v2, v45, s14, v0
	v_cmp_lt_u32_e64 s14, 3, v67
	s_delay_alu instid0(VALU_DEP_2) | instskip(SKIP_1) | instid1(VALU_DEP_2)
	v_mad_co_u64_u32 v[4:5], null, v2, s12, v[1:2]
	v_cmp_eq_u32_e64 s12, 0, v67
	v_lshrrev_b32_e32 v2, 3, v4
                                        ; implicit-def: $vgpr4_vgpr5
	s_delay_alu instid0(VALU_DEP_1)
	v_and_b32_e32 v92, 0x1ffffffc, v2
	s_branch .LBB2055_558
.LBB2055_557:                           ;   in Loop: Header=BB2055_558 Depth=2
	s_wait_alu 0xfffe
	s_or_b32 exec_lo, exec_lo, s15
	s_addk_co_i32 s43, 0xf800
	s_cmp_lt_u32 s44, s34
	s_mov_b32 s30, s44
	s_cbranch_scc0 .LBB2055_10
.LBB2055_558:                           ;   Parent Loop BB2055_12 Depth=1
                                        ; =>  This Inner Loop Header: Depth=2
	s_wait_alu 0xfffe
	s_add_co_i32 s44, s30, 0x800
	s_wait_alu 0xfffe
	s_cmp_gt_u32 s44, s34
	s_cbranch_scc1 .LBB2055_560
; %bb.559:                              ;   in Loop: Header=BB2055_558 Depth=2
	s_lshl_b64 s[16:17], s[30:31], 1
	s_mov_b32 s15, -1
	s_wait_alu 0xfffe
	v_add_co_u32 v20, vcc_lo, v90, s16
	s_wait_alu 0xfffd
	v_add_co_ci_u32_e64 v21, null, s17, v91, vcc_lo
	s_clause 0x6
	global_load_u16 v2, v[20:21], off
	global_load_u16 v27, v[20:21], off offset:64
	global_load_u16 v26, v[20:21], off offset:128
	;; [unrolled: 1-line block ×6, first 2 shown]
	s_movk_i32 s16, 0x800
	s_cbranch_execz .LBB2055_561
	s_branch .LBB2055_576
.LBB2055_560:                           ;   in Loop: Header=BB2055_558 Depth=2
	s_mov_b32 s15, 0
                                        ; implicit-def: $vgpr2
                                        ; implicit-def: $vgpr27
                                        ; implicit-def: $vgpr26
                                        ; implicit-def: $vgpr25
                                        ; implicit-def: $vgpr24
                                        ; implicit-def: $vgpr23
                                        ; implicit-def: $vgpr22
	s_movk_i32 s16, 0x800
.LBB2055_561:                           ;   in Loop: Header=BB2055_558 Depth=2
	s_lshl_b64 s[16:17], s[30:31], 1
	s_wait_loadcnt 0x5
	v_dual_mov_b32 v27, 0x7fff :: v_dual_mov_b32 v2, 0x7fff
	s_wait_alu 0xfffe
	v_add_co_u32 v20, vcc_lo, v90, s16
	s_wait_alu 0xfffd
	v_add_co_ci_u32_e64 v21, null, s17, v91, vcc_lo
	s_mov_b32 s15, exec_lo
	v_cmpx_gt_u32_e64 s43, v66
	s_cbranch_execz .LBB2055_563
; %bb.562:                              ;   in Loop: Header=BB2055_558 Depth=2
	global_load_u16 v2, v[20:21], off
.LBB2055_563:                           ;   in Loop: Header=BB2055_558 Depth=2
	s_wait_alu 0xfffe
	s_or_b32 exec_lo, exec_lo, s15
	s_delay_alu instid0(SALU_CYCLE_1)
	s_mov_b32 s15, exec_lo
	v_cmpx_gt_u32_e64 s43, v70
	s_cbranch_execz .LBB2055_565
; %bb.564:                              ;   in Loop: Header=BB2055_558 Depth=2
	global_load_u16 v27, v[20:21], off offset:64
.LBB2055_565:                           ;   in Loop: Header=BB2055_558 Depth=2
	s_wait_alu 0xfffe
	s_or_b32 exec_lo, exec_lo, s15
	s_wait_loadcnt 0x3
	v_dual_mov_b32 v25, 0x7fff :: v_dual_mov_b32 v26, 0x7fff
	s_mov_b32 s15, exec_lo
	v_cmpx_gt_u32_e64 s43, v71
	s_cbranch_execz .LBB2055_567
; %bb.566:                              ;   in Loop: Header=BB2055_558 Depth=2
	global_load_u16 v26, v[20:21], off offset:128
.LBB2055_567:                           ;   in Loop: Header=BB2055_558 Depth=2
	s_wait_alu 0xfffe
	s_or_b32 exec_lo, exec_lo, s15
	s_delay_alu instid0(SALU_CYCLE_1)
	s_mov_b32 s15, exec_lo
	v_cmpx_gt_u32_e64 s43, v72
	s_cbranch_execz .LBB2055_569
; %bb.568:                              ;   in Loop: Header=BB2055_558 Depth=2
	global_load_u16 v25, v[20:21], off offset:192
.LBB2055_569:                           ;   in Loop: Header=BB2055_558 Depth=2
	s_wait_alu 0xfffe
	s_or_b32 exec_lo, exec_lo, s15
	s_wait_loadcnt 0x1
	v_dual_mov_b32 v23, 0x7fff :: v_dual_mov_b32 v24, 0x7fff
	s_mov_b32 s15, exec_lo
	v_cmpx_gt_u32_e64 s43, v73
	s_cbranch_execz .LBB2055_571
; %bb.570:                              ;   in Loop: Header=BB2055_558 Depth=2
	global_load_u16 v24, v[20:21], off offset:256
.LBB2055_571:                           ;   in Loop: Header=BB2055_558 Depth=2
	s_wait_alu 0xfffe
	s_or_b32 exec_lo, exec_lo, s15
	s_delay_alu instid0(SALU_CYCLE_1)
	s_mov_b32 s15, exec_lo
	v_cmpx_gt_u32_e64 s43, v74
	s_cbranch_execz .LBB2055_573
; %bb.572:                              ;   in Loop: Header=BB2055_558 Depth=2
	global_load_u16 v23, v[20:21], off offset:320
.LBB2055_573:                           ;   in Loop: Header=BB2055_558 Depth=2
	s_wait_alu 0xfffe
	s_or_b32 exec_lo, exec_lo, s15
	s_wait_loadcnt 0x0
	v_mov_b32_e32 v22, 0x7fff
	s_mov_b32 s15, exec_lo
	v_cmpx_gt_u32_e64 s43, v75
	s_cbranch_execz .LBB2055_575
; %bb.574:                              ;   in Loop: Header=BB2055_558 Depth=2
	global_load_u16 v22, v[20:21], off offset:384
.LBB2055_575:                           ;   in Loop: Header=BB2055_558 Depth=2
	s_wait_alu 0xfffe
	s_or_b32 exec_lo, exec_lo, s15
	v_cmp_gt_u32_e64 s15, s43, v76
	s_sub_co_i32 s16, s34, s30
.LBB2055_576:                           ;   in Loop: Header=BB2055_558 Depth=2
	v_dual_mov_b32 v20, 0x7fff :: v_dual_mov_b32 v101, s43
	s_and_saveexec_b32 s17, s15
	s_cbranch_execz .LBB2055_578
; %bb.577:                              ;   in Loop: Header=BB2055_558 Depth=2
	s_lshl_b64 s[18:19], s[30:31], 1
	s_wait_alu 0xfffe
	v_mov_b32_e32 v101, s16
	v_add_co_u32 v20, vcc_lo, v90, s18
	s_wait_alu 0xfffd
	v_add_co_ci_u32_e64 v21, null, s19, v91, vcc_lo
	global_load_u16 v20, v[20:21], off offset:448
.LBB2055_578:                           ;   in Loop: Header=BB2055_558 Depth=2
	s_wait_alu 0xfffe
	s_or_b32 exec_lo, exec_lo, s17
	s_wait_loadcnt 0x6
	v_cmp_lt_i16_e32 vcc_lo, -1, v2
	ds_store_2addr_b32 v81, v3, v3 offset1:1
	ds_store_2addr_b32 v78, v3, v3 offset1:1
	;; [unrolled: 1-line block ×4, first 2 shown]
	ds_store_b32 v43, v3 offset:1088
	s_wait_loadcnt_dscnt 0x0
	s_barrier_signal -1
	s_wait_alu 0xfffd
	v_cndmask_b32_e64 v21, -1, 0xffff8000, vcc_lo
	s_barrier_wait -1
	global_inv scope:SCOPE_SE
	; wave barrier
	v_xor_b32_e32 v2, v21, v2
	s_delay_alu instid0(VALU_DEP_1) | instskip(SKIP_2) | instid1(VALU_DEP_1)
	v_cmp_ne_u16_e32 vcc_lo, 0x7fff, v2
	s_wait_alu 0xfffd
	v_cndmask_b32_e32 v21, 0xffff8000, v2, vcc_lo
	v_and_b32_e32 v21, 0xffff, v21
	s_delay_alu instid0(VALU_DEP_1) | instskip(NEXT) | instid1(VALU_DEP_1)
	v_lshrrev_b32_e32 v21, s45, v21
	v_and_b32_e32 v103, s42, v21
	s_delay_alu instid0(VALU_DEP_1)
	v_and_b32_e32 v21, 1, v103
	v_lshlrev_b32_e32 v102, 30, v103
	v_lshlrev_b32_e32 v104, 29, v103
	v_lshlrev_b32_e32 v105, 28, v103
	v_lshlrev_b32_e32 v107, 27, v103
	v_add_co_u32 v21, s15, v21, -1
	s_wait_alu 0xf1ff
	v_cndmask_b32_e64 v106, 0, 1, s15
	v_not_b32_e32 v110, v102
	v_cmp_gt_i32_e64 s15, 0, v102
	v_not_b32_e32 v102, v104
	v_lshlrev_b32_e32 v108, 26, v103
	v_cmp_ne_u32_e32 vcc_lo, 0, v106
	v_ashrrev_i32_e32 v110, 31, v110
	v_lshlrev_b32_e32 v109, 25, v103
	v_ashrrev_i32_e32 v102, 31, v102
	v_lshlrev_b32_e32 v106, 24, v103
	s_wait_alu 0xfffd
	v_xor_b32_e32 v21, vcc_lo, v21
	v_cmp_gt_i32_e32 vcc_lo, 0, v104
	v_not_b32_e32 v104, v105
	s_wait_alu 0xf1ff
	v_xor_b32_e32 v110, s15, v110
	v_cmp_gt_i32_e64 s15, 0, v105
	v_and_b32_e32 v21, exec_lo, v21
	v_not_b32_e32 v105, v107
	v_ashrrev_i32_e32 v104, 31, v104
	s_wait_alu 0xfffd
	v_xor_b32_e32 v102, vcc_lo, v102
	v_cmp_gt_i32_e32 vcc_lo, 0, v107
	v_and_b32_e32 v21, v21, v110
	v_not_b32_e32 v107, v108
	v_ashrrev_i32_e32 v105, 31, v105
	s_wait_alu 0xf1ff
	v_xor_b32_e32 v104, s15, v104
	v_cmp_gt_i32_e64 s15, 0, v108
	v_and_b32_e32 v21, v21, v102
	v_not_b32_e32 v102, v109
	v_ashrrev_i32_e32 v107, 31, v107
	s_wait_alu 0xfffd
	v_xor_b32_e32 v105, vcc_lo, v105
	v_cmp_gt_i32_e32 vcc_lo, 0, v109
	v_and_b32_e32 v21, v21, v104
	v_not_b32_e32 v104, v106
	v_ashrrev_i32_e32 v102, 31, v102
	s_wait_alu 0xf1ff
	v_xor_b32_e32 v107, s15, v107
	v_cmp_gt_i32_e64 s15, 0, v106
	v_and_b32_e32 v21, v21, v105
	v_ashrrev_i32_e32 v104, 31, v104
	s_wait_alu 0xfffd
	v_xor_b32_e32 v102, vcc_lo, v102
	v_mul_u32_u24_e32 v103, 36, v103
	v_and_b32_e32 v21, v21, v107
	s_wait_alu 0xf1ff
	v_xor_b32_e32 v104, s15, v104
	s_delay_alu instid0(VALU_DEP_2) | instskip(NEXT) | instid1(VALU_DEP_1)
	v_and_b32_e32 v21, v21, v102
	v_and_b32_e32 v21, v21, v104
	v_add_nc_u32_e32 v104, v92, v103
	s_delay_alu instid0(VALU_DEP_2) | instskip(SKIP_1) | instid1(VALU_DEP_2)
	v_mbcnt_lo_u32_b32 v102, v21, 0
	v_cmp_ne_u32_e64 s15, 0, v21
	v_cmp_eq_u32_e32 vcc_lo, 0, v102
	s_and_b32 s16, s15, vcc_lo
	s_wait_alu 0xfffe
	s_and_saveexec_b32 s15, s16
; %bb.579:                              ;   in Loop: Header=BB2055_558 Depth=2
	v_bcnt_u32_b32 v21, v21, 0
	ds_store_b32 v104, v21 offset:1056
; %bb.580:                              ;   in Loop: Header=BB2055_558 Depth=2
	s_wait_alu 0xfffe
	s_or_b32 exec_lo, exec_lo, s15
	v_cmp_lt_i16_e32 vcc_lo, -1, v27
	; wave barrier
	s_wait_alu 0xfffd
	v_cndmask_b32_e64 v21, -1, 0xffff8000, vcc_lo
	s_delay_alu instid0(VALU_DEP_1) | instskip(NEXT) | instid1(VALU_DEP_1)
	v_xor_b32_e32 v103, v21, v27
	v_cmp_ne_u16_e32 vcc_lo, 0x7fff, v103
	s_wait_alu 0xfffd
	v_cndmask_b32_e32 v21, 0xffff8000, v103, vcc_lo
	s_delay_alu instid0(VALU_DEP_1) | instskip(NEXT) | instid1(VALU_DEP_1)
	v_and_b32_e32 v21, 0xffff, v21
	v_lshrrev_b32_e32 v21, s45, v21
	s_delay_alu instid0(VALU_DEP_1) | instskip(NEXT) | instid1(VALU_DEP_1)
	v_and_b32_e32 v27, s42, v21
	v_and_b32_e32 v21, 1, v27
	v_lshlrev_b32_e32 v105, 30, v27
	v_lshlrev_b32_e32 v106, 29, v27
	;; [unrolled: 1-line block ×4, first 2 shown]
	v_add_co_u32 v21, s15, v21, -1
	s_wait_alu 0xf1ff
	v_cndmask_b32_e64 v108, 0, 1, s15
	v_not_b32_e32 v112, v105
	v_cmp_gt_i32_e64 s15, 0, v105
	v_not_b32_e32 v105, v106
	v_lshlrev_b32_e32 v110, 26, v27
	v_cmp_ne_u32_e32 vcc_lo, 0, v108
	v_ashrrev_i32_e32 v112, 31, v112
	v_lshlrev_b32_e32 v111, 25, v27
	v_ashrrev_i32_e32 v105, 31, v105
	v_lshlrev_b32_e32 v108, 24, v27
	s_wait_alu 0xfffd
	v_xor_b32_e32 v21, vcc_lo, v21
	v_cmp_gt_i32_e32 vcc_lo, 0, v106
	v_not_b32_e32 v106, v107
	s_wait_alu 0xf1ff
	v_xor_b32_e32 v112, s15, v112
	v_cmp_gt_i32_e64 s15, 0, v107
	v_and_b32_e32 v21, exec_lo, v21
	v_not_b32_e32 v107, v109
	v_ashrrev_i32_e32 v106, 31, v106
	s_wait_alu 0xfffd
	v_xor_b32_e32 v105, vcc_lo, v105
	v_cmp_gt_i32_e32 vcc_lo, 0, v109
	v_and_b32_e32 v21, v21, v112
	v_not_b32_e32 v109, v110
	v_ashrrev_i32_e32 v107, 31, v107
	s_wait_alu 0xf1ff
	v_xor_b32_e32 v106, s15, v106
	v_cmp_gt_i32_e64 s15, 0, v110
	v_and_b32_e32 v21, v21, v105
	v_not_b32_e32 v105, v111
	v_ashrrev_i32_e32 v109, 31, v109
	s_wait_alu 0xfffd
	v_xor_b32_e32 v107, vcc_lo, v107
	v_cmp_gt_i32_e32 vcc_lo, 0, v111
	v_and_b32_e32 v21, v21, v106
	v_not_b32_e32 v106, v108
	v_ashrrev_i32_e32 v105, 31, v105
	s_wait_alu 0xf1ff
	v_xor_b32_e32 v109, s15, v109
	v_cmp_gt_i32_e64 s15, 0, v108
	v_and_b32_e32 v21, v21, v107
	v_ashrrev_i32_e32 v106, 31, v106
	s_wait_alu 0xfffd
	v_xor_b32_e32 v105, vcc_lo, v105
	v_mad_u32_u24 v107, v27, 36, v92
	v_mul_u32_u24_e32 v27, 36, v27
	v_and_b32_e32 v21, v21, v109
	s_wait_alu 0xf1ff
	v_xor_b32_e32 v106, s15, v106
	s_delay_alu instid0(VALU_DEP_3) | instskip(NEXT) | instid1(VALU_DEP_3)
	v_add_nc_u32_e32 v108, v92, v27
	v_and_b32_e32 v21, v21, v105
	ds_load_b32 v105, v107 offset:1056
	; wave barrier
	v_and_b32_e32 v21, v21, v106
	s_delay_alu instid0(VALU_DEP_1) | instskip(SKIP_1) | instid1(VALU_DEP_2)
	v_mbcnt_lo_u32_b32 v106, v21, 0
	v_cmp_ne_u32_e64 s15, 0, v21
	v_cmp_eq_u32_e32 vcc_lo, 0, v106
	s_and_b32 s16, s15, vcc_lo
	s_wait_alu 0xfffe
	s_and_saveexec_b32 s15, s16
	s_cbranch_execz .LBB2055_582
; %bb.581:                              ;   in Loop: Header=BB2055_558 Depth=2
	s_wait_dscnt 0x0
	v_bcnt_u32_b32 v21, v21, v105
	ds_store_b32 v108, v21 offset:1056
.LBB2055_582:                           ;   in Loop: Header=BB2055_558 Depth=2
	s_wait_alu 0xfffe
	s_or_b32 exec_lo, exec_lo, s15
	v_cmp_lt_i16_e32 vcc_lo, -1, v26
	; wave barrier
	s_wait_alu 0xfffd
	v_cndmask_b32_e64 v21, -1, 0xffff8000, vcc_lo
	s_delay_alu instid0(VALU_DEP_1) | instskip(NEXT) | instid1(VALU_DEP_1)
	v_xor_b32_e32 v107, v21, v26
	v_cmp_ne_u16_e32 vcc_lo, 0x7fff, v107
	s_wait_alu 0xfffd
	v_cndmask_b32_e32 v21, 0xffff8000, v107, vcc_lo
	s_delay_alu instid0(VALU_DEP_1) | instskip(NEXT) | instid1(VALU_DEP_1)
	v_and_b32_e32 v21, 0xffff, v21
	v_lshrrev_b32_e32 v21, s45, v21
	s_delay_alu instid0(VALU_DEP_1) | instskip(NEXT) | instid1(VALU_DEP_1)
	v_and_b32_e32 v26, s42, v21
	v_and_b32_e32 v21, 1, v26
	v_lshlrev_b32_e32 v27, 30, v26
	v_lshlrev_b32_e32 v109, 29, v26
	;; [unrolled: 1-line block ×4, first 2 shown]
	v_add_co_u32 v21, s15, v21, -1
	s_wait_alu 0xf1ff
	v_cndmask_b32_e64 v111, 0, 1, s15
	v_not_b32_e32 v115, v27
	v_cmp_gt_i32_e64 s15, 0, v27
	v_not_b32_e32 v27, v109
	v_lshlrev_b32_e32 v113, 26, v26
	v_cmp_ne_u32_e32 vcc_lo, 0, v111
	v_ashrrev_i32_e32 v115, 31, v115
	v_lshlrev_b32_e32 v114, 25, v26
	v_ashrrev_i32_e32 v27, 31, v27
	v_lshlrev_b32_e32 v111, 24, v26
	s_wait_alu 0xfffd
	v_xor_b32_e32 v21, vcc_lo, v21
	v_cmp_gt_i32_e32 vcc_lo, 0, v109
	v_not_b32_e32 v109, v110
	s_wait_alu 0xf1ff
	v_xor_b32_e32 v115, s15, v115
	v_cmp_gt_i32_e64 s15, 0, v110
	v_and_b32_e32 v21, exec_lo, v21
	v_not_b32_e32 v110, v112
	v_ashrrev_i32_e32 v109, 31, v109
	s_wait_alu 0xfffd
	v_xor_b32_e32 v27, vcc_lo, v27
	v_cmp_gt_i32_e32 vcc_lo, 0, v112
	v_and_b32_e32 v21, v21, v115
	v_not_b32_e32 v112, v113
	v_ashrrev_i32_e32 v110, 31, v110
	s_wait_alu 0xf1ff
	v_xor_b32_e32 v109, s15, v109
	v_cmp_gt_i32_e64 s15, 0, v113
	v_and_b32_e32 v21, v21, v27
	v_not_b32_e32 v27, v114
	v_ashrrev_i32_e32 v112, 31, v112
	s_wait_alu 0xfffd
	v_xor_b32_e32 v110, vcc_lo, v110
	v_cmp_gt_i32_e32 vcc_lo, 0, v114
	v_and_b32_e32 v21, v21, v109
	v_not_b32_e32 v109, v111
	v_ashrrev_i32_e32 v27, 31, v27
	s_wait_alu 0xf1ff
	v_xor_b32_e32 v112, s15, v112
	v_cmp_gt_i32_e64 s15, 0, v111
	v_and_b32_e32 v21, v21, v110
	v_ashrrev_i32_e32 v109, 31, v109
	s_wait_alu 0xfffd
	v_xor_b32_e32 v27, vcc_lo, v27
	v_mad_u32_u24 v110, v26, 36, v92
	v_mul_u32_u24_e32 v26, 36, v26
	v_and_b32_e32 v21, v21, v112
	s_wait_alu 0xf1ff
	v_xor_b32_e32 v111, s15, v109
	ds_load_b32 v109, v110 offset:1056
	v_add_nc_u32_e32 v112, v92, v26
	v_and_b32_e32 v21, v21, v27
	; wave barrier
	s_delay_alu instid0(VALU_DEP_1) | instskip(NEXT) | instid1(VALU_DEP_1)
	v_and_b32_e32 v21, v21, v111
	v_mbcnt_lo_u32_b32 v111, v21, 0
	v_cmp_ne_u32_e64 s15, 0, v21
	s_delay_alu instid0(VALU_DEP_2)
	v_cmp_eq_u32_e32 vcc_lo, 0, v111
	s_and_b32 s16, s15, vcc_lo
	s_wait_alu 0xfffe
	s_and_saveexec_b32 s15, s16
	s_cbranch_execz .LBB2055_584
; %bb.583:                              ;   in Loop: Header=BB2055_558 Depth=2
	s_wait_dscnt 0x0
	v_bcnt_u32_b32 v21, v21, v109
	ds_store_b32 v112, v21 offset:1056
.LBB2055_584:                           ;   in Loop: Header=BB2055_558 Depth=2
	s_wait_alu 0xfffe
	s_or_b32 exec_lo, exec_lo, s15
	v_cmp_lt_i16_e32 vcc_lo, -1, v25
	; wave barrier
	s_wait_alu 0xfffd
	v_cndmask_b32_e64 v21, -1, 0xffff8000, vcc_lo
	s_delay_alu instid0(VALU_DEP_1) | instskip(NEXT) | instid1(VALU_DEP_1)
	v_xor_b32_e32 v110, v21, v25
	v_cmp_ne_u16_e32 vcc_lo, 0x7fff, v110
	s_wait_alu 0xfffd
	v_cndmask_b32_e32 v21, 0xffff8000, v110, vcc_lo
	s_delay_alu instid0(VALU_DEP_1) | instskip(NEXT) | instid1(VALU_DEP_1)
	v_and_b32_e32 v21, 0xffff, v21
	v_lshrrev_b32_e32 v21, s45, v21
	s_delay_alu instid0(VALU_DEP_1) | instskip(NEXT) | instid1(VALU_DEP_1)
	v_and_b32_e32 v25, s42, v21
	v_and_b32_e32 v21, 1, v25
	v_lshlrev_b32_e32 v26, 30, v25
	v_lshlrev_b32_e32 v27, 29, v25
	v_lshlrev_b32_e32 v113, 28, v25
	v_lshlrev_b32_e32 v115, 27, v25
	v_add_co_u32 v21, s15, v21, -1
	s_wait_alu 0xf1ff
	v_cndmask_b32_e64 v114, 0, 1, s15
	v_not_b32_e32 v118, v26
	v_cmp_gt_i32_e64 s15, 0, v26
	v_not_b32_e32 v26, v27
	v_lshlrev_b32_e32 v116, 26, v25
	v_cmp_ne_u32_e32 vcc_lo, 0, v114
	v_ashrrev_i32_e32 v118, 31, v118
	v_lshlrev_b32_e32 v117, 25, v25
	v_ashrrev_i32_e32 v26, 31, v26
	v_lshlrev_b32_e32 v114, 24, v25
	s_wait_alu 0xfffd
	v_xor_b32_e32 v21, vcc_lo, v21
	v_cmp_gt_i32_e32 vcc_lo, 0, v27
	v_not_b32_e32 v27, v113
	s_wait_alu 0xf1ff
	v_xor_b32_e32 v118, s15, v118
	v_cmp_gt_i32_e64 s15, 0, v113
	v_and_b32_e32 v21, exec_lo, v21
	v_not_b32_e32 v113, v115
	v_ashrrev_i32_e32 v27, 31, v27
	s_wait_alu 0xfffd
	v_xor_b32_e32 v26, vcc_lo, v26
	v_cmp_gt_i32_e32 vcc_lo, 0, v115
	v_and_b32_e32 v21, v21, v118
	v_not_b32_e32 v115, v116
	v_ashrrev_i32_e32 v113, 31, v113
	s_wait_alu 0xf1ff
	v_xor_b32_e32 v27, s15, v27
	v_cmp_gt_i32_e64 s15, 0, v116
	v_and_b32_e32 v21, v21, v26
	v_not_b32_e32 v26, v117
	v_ashrrev_i32_e32 v115, 31, v115
	s_wait_alu 0xfffd
	v_xor_b32_e32 v113, vcc_lo, v113
	v_cmp_gt_i32_e32 vcc_lo, 0, v117
	v_and_b32_e32 v21, v21, v27
	v_not_b32_e32 v27, v114
	v_ashrrev_i32_e32 v26, 31, v26
	s_wait_alu 0xf1ff
	v_xor_b32_e32 v115, s15, v115
	v_cmp_gt_i32_e64 s15, 0, v114
	v_and_b32_e32 v21, v21, v113
	v_ashrrev_i32_e32 v27, 31, v27
	s_wait_alu 0xfffd
	v_xor_b32_e32 v26, vcc_lo, v26
	v_mad_u32_u24 v113, v25, 36, v92
	v_mul_u32_u24_e32 v25, 36, v25
	v_and_b32_e32 v21, v21, v115
	s_wait_alu 0xf1ff
	v_xor_b32_e32 v27, s15, v27
	ds_load_b32 v113, v113 offset:1056
	v_add_nc_u32_e32 v116, v92, v25
	v_and_b32_e32 v21, v21, v26
	; wave barrier
	s_delay_alu instid0(VALU_DEP_1) | instskip(NEXT) | instid1(VALU_DEP_1)
	v_and_b32_e32 v21, v21, v27
	v_mbcnt_lo_u32_b32 v115, v21, 0
	v_cmp_ne_u32_e64 s15, 0, v21
	s_delay_alu instid0(VALU_DEP_2)
	v_cmp_eq_u32_e32 vcc_lo, 0, v115
	s_and_b32 s16, s15, vcc_lo
	s_wait_alu 0xfffe
	s_and_saveexec_b32 s15, s16
	s_cbranch_execz .LBB2055_586
; %bb.585:                              ;   in Loop: Header=BB2055_558 Depth=2
	s_wait_dscnt 0x0
	v_bcnt_u32_b32 v21, v21, v113
	ds_store_b32 v116, v21 offset:1056
.LBB2055_586:                           ;   in Loop: Header=BB2055_558 Depth=2
	s_wait_alu 0xfffe
	s_or_b32 exec_lo, exec_lo, s15
	v_cmp_lt_i16_e32 vcc_lo, -1, v24
	; wave barrier
	s_wait_alu 0xfffd
	v_cndmask_b32_e64 v21, -1, 0xffff8000, vcc_lo
	s_delay_alu instid0(VALU_DEP_1) | instskip(NEXT) | instid1(VALU_DEP_1)
	v_xor_b32_e32 v114, v21, v24
	v_cmp_ne_u16_e32 vcc_lo, 0x7fff, v114
	s_wait_alu 0xfffd
	v_cndmask_b32_e32 v21, 0xffff8000, v114, vcc_lo
	s_delay_alu instid0(VALU_DEP_1) | instskip(NEXT) | instid1(VALU_DEP_1)
	v_and_b32_e32 v21, 0xffff, v21
	v_lshrrev_b32_e32 v21, s45, v21
	s_delay_alu instid0(VALU_DEP_1) | instskip(NEXT) | instid1(VALU_DEP_1)
	v_and_b32_e32 v24, s42, v21
	v_and_b32_e32 v21, 1, v24
	v_lshlrev_b32_e32 v25, 30, v24
	v_lshlrev_b32_e32 v26, 29, v24
	;; [unrolled: 1-line block ×4, first 2 shown]
	v_add_co_u32 v21, s15, v21, -1
	s_wait_alu 0xf1ff
	v_cndmask_b32_e64 v117, 0, 1, s15
	v_not_b32_e32 v121, v25
	v_cmp_gt_i32_e64 s15, 0, v25
	v_not_b32_e32 v25, v26
	v_lshlrev_b32_e32 v119, 26, v24
	v_cmp_ne_u32_e32 vcc_lo, 0, v117
	v_ashrrev_i32_e32 v121, 31, v121
	v_lshlrev_b32_e32 v120, 25, v24
	v_ashrrev_i32_e32 v25, 31, v25
	v_lshlrev_b32_e32 v117, 24, v24
	s_wait_alu 0xfffd
	v_xor_b32_e32 v21, vcc_lo, v21
	v_cmp_gt_i32_e32 vcc_lo, 0, v26
	v_not_b32_e32 v26, v27
	s_wait_alu 0xf1ff
	v_xor_b32_e32 v121, s15, v121
	v_cmp_gt_i32_e64 s15, 0, v27
	v_and_b32_e32 v21, exec_lo, v21
	v_not_b32_e32 v27, v118
	v_ashrrev_i32_e32 v26, 31, v26
	s_wait_alu 0xfffd
	v_xor_b32_e32 v25, vcc_lo, v25
	v_cmp_gt_i32_e32 vcc_lo, 0, v118
	v_and_b32_e32 v21, v21, v121
	v_not_b32_e32 v118, v119
	v_ashrrev_i32_e32 v27, 31, v27
	s_wait_alu 0xf1ff
	v_xor_b32_e32 v26, s15, v26
	v_cmp_gt_i32_e64 s15, 0, v119
	v_and_b32_e32 v21, v21, v25
	v_not_b32_e32 v25, v120
	v_ashrrev_i32_e32 v118, 31, v118
	s_wait_alu 0xfffd
	v_xor_b32_e32 v27, vcc_lo, v27
	v_cmp_gt_i32_e32 vcc_lo, 0, v120
	v_and_b32_e32 v21, v21, v26
	v_not_b32_e32 v26, v117
	v_ashrrev_i32_e32 v25, 31, v25
	s_wait_alu 0xf1ff
	v_xor_b32_e32 v118, s15, v118
	v_cmp_gt_i32_e64 s15, 0, v117
	v_and_b32_e32 v21, v21, v27
	v_ashrrev_i32_e32 v26, 31, v26
	s_wait_alu 0xfffd
	v_xor_b32_e32 v25, vcc_lo, v25
	v_mad_u32_u24 v27, v24, 36, v92
	v_mul_u32_u24_e32 v24, 36, v24
	v_and_b32_e32 v21, v21, v118
	s_wait_alu 0xf1ff
	v_xor_b32_e32 v26, s15, v26
	ds_load_b32 v117, v27 offset:1056
	v_add_nc_u32_e32 v120, v92, v24
	v_and_b32_e32 v21, v21, v25
	; wave barrier
	s_delay_alu instid0(VALU_DEP_1) | instskip(NEXT) | instid1(VALU_DEP_1)
	v_and_b32_e32 v21, v21, v26
	v_mbcnt_lo_u32_b32 v119, v21, 0
	v_cmp_ne_u32_e64 s15, 0, v21
	s_delay_alu instid0(VALU_DEP_2)
	v_cmp_eq_u32_e32 vcc_lo, 0, v119
	s_and_b32 s16, s15, vcc_lo
	s_wait_alu 0xfffe
	s_and_saveexec_b32 s15, s16
	s_cbranch_execz .LBB2055_588
; %bb.587:                              ;   in Loop: Header=BB2055_558 Depth=2
	s_wait_dscnt 0x0
	v_bcnt_u32_b32 v21, v21, v117
	ds_store_b32 v120, v21 offset:1056
.LBB2055_588:                           ;   in Loop: Header=BB2055_558 Depth=2
	s_wait_alu 0xfffe
	s_or_b32 exec_lo, exec_lo, s15
	v_cmp_lt_i16_e32 vcc_lo, -1, v23
	; wave barrier
	s_wait_alu 0xfffd
	v_cndmask_b32_e64 v21, -1, 0xffff8000, vcc_lo
	s_delay_alu instid0(VALU_DEP_1) | instskip(NEXT) | instid1(VALU_DEP_1)
	v_xor_b32_e32 v118, v21, v23
	v_cmp_ne_u16_e32 vcc_lo, 0x7fff, v118
	s_wait_alu 0xfffd
	v_cndmask_b32_e32 v21, 0xffff8000, v118, vcc_lo
	s_delay_alu instid0(VALU_DEP_1) | instskip(NEXT) | instid1(VALU_DEP_1)
	v_and_b32_e32 v21, 0xffff, v21
	v_lshrrev_b32_e32 v21, s45, v21
	s_delay_alu instid0(VALU_DEP_1) | instskip(NEXT) | instid1(VALU_DEP_1)
	v_and_b32_e32 v23, s42, v21
	v_and_b32_e32 v21, 1, v23
	v_lshlrev_b32_e32 v24, 30, v23
	v_lshlrev_b32_e32 v25, 29, v23
	;; [unrolled: 1-line block ×4, first 2 shown]
	v_add_co_u32 v21, s15, v21, -1
	s_wait_alu 0xf1ff
	v_cndmask_b32_e64 v27, 0, 1, s15
	v_not_b32_e32 v124, v24
	v_cmp_gt_i32_e64 s15, 0, v24
	v_not_b32_e32 v24, v25
	v_lshlrev_b32_e32 v122, 26, v23
	v_cmp_ne_u32_e32 vcc_lo, 0, v27
	v_ashrrev_i32_e32 v124, 31, v124
	v_lshlrev_b32_e32 v123, 25, v23
	v_ashrrev_i32_e32 v24, 31, v24
	v_lshlrev_b32_e32 v27, 24, v23
	s_wait_alu 0xfffd
	v_xor_b32_e32 v21, vcc_lo, v21
	v_cmp_gt_i32_e32 vcc_lo, 0, v25
	v_not_b32_e32 v25, v26
	s_wait_alu 0xf1ff
	v_xor_b32_e32 v124, s15, v124
	v_cmp_gt_i32_e64 s15, 0, v26
	v_and_b32_e32 v21, exec_lo, v21
	v_not_b32_e32 v26, v121
	v_ashrrev_i32_e32 v25, 31, v25
	s_wait_alu 0xfffd
	v_xor_b32_e32 v24, vcc_lo, v24
	v_cmp_gt_i32_e32 vcc_lo, 0, v121
	v_and_b32_e32 v21, v21, v124
	v_not_b32_e32 v121, v122
	v_ashrrev_i32_e32 v26, 31, v26
	s_wait_alu 0xf1ff
	v_xor_b32_e32 v25, s15, v25
	v_cmp_gt_i32_e64 s15, 0, v122
	v_and_b32_e32 v21, v21, v24
	v_not_b32_e32 v24, v123
	v_ashrrev_i32_e32 v121, 31, v121
	s_wait_alu 0xfffd
	v_xor_b32_e32 v26, vcc_lo, v26
	v_cmp_gt_i32_e32 vcc_lo, 0, v123
	v_and_b32_e32 v21, v21, v25
	v_not_b32_e32 v25, v27
	v_ashrrev_i32_e32 v24, 31, v24
	s_wait_alu 0xf1ff
	v_xor_b32_e32 v121, s15, v121
	v_cmp_gt_i32_e64 s15, 0, v27
	v_and_b32_e32 v21, v21, v26
	v_ashrrev_i32_e32 v25, 31, v25
	s_wait_alu 0xfffd
	v_xor_b32_e32 v24, vcc_lo, v24
	v_mad_u32_u24 v26, v23, 36, v92
	v_mul_u32_u24_e32 v23, 36, v23
	v_and_b32_e32 v21, v21, v121
	s_wait_alu 0xf1ff
	v_xor_b32_e32 v25, s15, v25
	ds_load_b32 v121, v26 offset:1056
	v_add_nc_u32_e32 v124, v92, v23
	v_and_b32_e32 v21, v21, v24
	; wave barrier
	s_delay_alu instid0(VALU_DEP_1) | instskip(NEXT) | instid1(VALU_DEP_1)
	v_and_b32_e32 v21, v21, v25
	v_mbcnt_lo_u32_b32 v123, v21, 0
	v_cmp_ne_u32_e64 s15, 0, v21
	s_delay_alu instid0(VALU_DEP_2)
	v_cmp_eq_u32_e32 vcc_lo, 0, v123
	s_and_b32 s16, s15, vcc_lo
	s_wait_alu 0xfffe
	s_and_saveexec_b32 s15, s16
	s_cbranch_execz .LBB2055_590
; %bb.589:                              ;   in Loop: Header=BB2055_558 Depth=2
	s_wait_dscnt 0x0
	v_bcnt_u32_b32 v21, v21, v121
	ds_store_b32 v124, v21 offset:1056
.LBB2055_590:                           ;   in Loop: Header=BB2055_558 Depth=2
	s_wait_alu 0xfffe
	s_or_b32 exec_lo, exec_lo, s15
	v_cmp_lt_i16_e32 vcc_lo, -1, v22
	; wave barrier
	s_wait_alu 0xfffd
	v_cndmask_b32_e64 v21, -1, 0xffff8000, vcc_lo
	s_delay_alu instid0(VALU_DEP_1) | instskip(NEXT) | instid1(VALU_DEP_1)
	v_xor_b32_e32 v122, v21, v22
	v_cmp_ne_u16_e32 vcc_lo, 0x7fff, v122
	s_wait_alu 0xfffd
	v_cndmask_b32_e32 v21, 0xffff8000, v122, vcc_lo
	s_delay_alu instid0(VALU_DEP_1) | instskip(NEXT) | instid1(VALU_DEP_1)
	v_and_b32_e32 v21, 0xffff, v21
	v_lshrrev_b32_e32 v21, s45, v21
	s_delay_alu instid0(VALU_DEP_1) | instskip(NEXT) | instid1(VALU_DEP_1)
	v_and_b32_e32 v22, s42, v21
	v_and_b32_e32 v21, 1, v22
	v_lshlrev_b32_e32 v23, 30, v22
	v_lshlrev_b32_e32 v24, 29, v22
	v_lshlrev_b32_e32 v25, 28, v22
	v_lshlrev_b32_e32 v27, 27, v22
	v_add_co_u32 v21, s15, v21, -1
	s_wait_alu 0xf1ff
	v_cndmask_b32_e64 v26, 0, 1, s15
	v_not_b32_e32 v127, v23
	v_cmp_gt_i32_e64 s15, 0, v23
	v_not_b32_e32 v23, v24
	v_lshlrev_b32_e32 v125, 26, v22
	v_cmp_ne_u32_e32 vcc_lo, 0, v26
	v_ashrrev_i32_e32 v127, 31, v127
	v_lshlrev_b32_e32 v126, 25, v22
	v_ashrrev_i32_e32 v23, 31, v23
	v_lshlrev_b32_e32 v26, 24, v22
	s_wait_alu 0xfffd
	v_xor_b32_e32 v21, vcc_lo, v21
	v_cmp_gt_i32_e32 vcc_lo, 0, v24
	v_not_b32_e32 v24, v25
	s_wait_alu 0xf1ff
	v_xor_b32_e32 v127, s15, v127
	v_cmp_gt_i32_e64 s15, 0, v25
	v_and_b32_e32 v21, exec_lo, v21
	v_not_b32_e32 v25, v27
	v_ashrrev_i32_e32 v24, 31, v24
	s_wait_alu 0xfffd
	v_xor_b32_e32 v23, vcc_lo, v23
	v_cmp_gt_i32_e32 vcc_lo, 0, v27
	v_and_b32_e32 v21, v21, v127
	v_not_b32_e32 v27, v125
	v_ashrrev_i32_e32 v25, 31, v25
	s_wait_alu 0xf1ff
	v_xor_b32_e32 v24, s15, v24
	v_cmp_gt_i32_e64 s15, 0, v125
	v_and_b32_e32 v21, v21, v23
	v_not_b32_e32 v23, v126
	v_ashrrev_i32_e32 v27, 31, v27
	s_wait_alu 0xfffd
	v_xor_b32_e32 v25, vcc_lo, v25
	v_cmp_gt_i32_e32 vcc_lo, 0, v126
	v_and_b32_e32 v21, v21, v24
	v_not_b32_e32 v24, v26
	v_ashrrev_i32_e32 v23, 31, v23
	s_wait_alu 0xf1ff
	v_xor_b32_e32 v27, s15, v27
	v_cmp_gt_i32_e64 s15, 0, v26
	v_and_b32_e32 v21, v21, v25
	v_ashrrev_i32_e32 v24, 31, v24
	s_wait_alu 0xfffd
	v_xor_b32_e32 v23, vcc_lo, v23
	v_mad_u32_u24 v25, v22, 36, v92
	v_mul_u32_u24_e32 v22, 36, v22
	v_and_b32_e32 v21, v21, v27
	s_wait_alu 0xf1ff
	v_xor_b32_e32 v24, s15, v24
	ds_load_b32 v125, v25 offset:1056
	v_add_nc_u32_e32 v128, v92, v22
	v_and_b32_e32 v21, v21, v23
	; wave barrier
	s_delay_alu instid0(VALU_DEP_1) | instskip(NEXT) | instid1(VALU_DEP_1)
	v_and_b32_e32 v21, v21, v24
	v_mbcnt_lo_u32_b32 v126, v21, 0
	v_cmp_ne_u32_e64 s15, 0, v21
	s_delay_alu instid0(VALU_DEP_2)
	v_cmp_eq_u32_e32 vcc_lo, 0, v126
	s_and_b32 s16, s15, vcc_lo
	s_wait_alu 0xfffe
	s_and_saveexec_b32 s15, s16
	s_cbranch_execz .LBB2055_592
; %bb.591:                              ;   in Loop: Header=BB2055_558 Depth=2
	s_wait_dscnt 0x0
	v_bcnt_u32_b32 v21, v21, v125
	ds_store_b32 v128, v21 offset:1056
.LBB2055_592:                           ;   in Loop: Header=BB2055_558 Depth=2
	s_wait_alu 0xfffe
	s_or_b32 exec_lo, exec_lo, s15
	v_cmp_lt_i16_e32 vcc_lo, -1, v20
	; wave barrier
	s_wait_alu 0xfffd
	v_cndmask_b32_e64 v21, -1, 0xffff8000, vcc_lo
	s_delay_alu instid0(VALU_DEP_1) | instskip(NEXT) | instid1(VALU_DEP_1)
	v_xor_b32_e32 v127, v21, v20
	v_cmp_ne_u16_e32 vcc_lo, 0x7fff, v127
	s_wait_alu 0xfffd
	v_cndmask_b32_e32 v20, 0xffff8000, v127, vcc_lo
	s_delay_alu instid0(VALU_DEP_1) | instskip(NEXT) | instid1(VALU_DEP_1)
	v_and_b32_e32 v20, 0xffff, v20
	v_lshrrev_b32_e32 v20, s45, v20
	s_delay_alu instid0(VALU_DEP_1) | instskip(NEXT) | instid1(VALU_DEP_1)
	v_and_b32_e32 v21, s42, v20
	v_and_b32_e32 v20, 1, v21
	v_lshlrev_b32_e32 v22, 30, v21
	v_lshlrev_b32_e32 v23, 29, v21
	;; [unrolled: 1-line block ×4, first 2 shown]
	v_add_co_u32 v20, s15, v20, -1
	s_wait_alu 0xf1ff
	v_cndmask_b32_e64 v25, 0, 1, s15
	v_not_b32_e32 v130, v22
	v_cmp_gt_i32_e64 s15, 0, v22
	v_not_b32_e32 v22, v23
	v_lshlrev_b32_e32 v27, 26, v21
	v_cmp_ne_u32_e32 vcc_lo, 0, v25
	v_ashrrev_i32_e32 v130, 31, v130
	v_lshlrev_b32_e32 v129, 25, v21
	v_ashrrev_i32_e32 v22, 31, v22
	v_lshlrev_b32_e32 v25, 24, v21
	s_wait_alu 0xfffd
	v_xor_b32_e32 v20, vcc_lo, v20
	v_cmp_gt_i32_e32 vcc_lo, 0, v23
	v_not_b32_e32 v23, v24
	s_wait_alu 0xf1ff
	v_xor_b32_e32 v130, s15, v130
	v_cmp_gt_i32_e64 s15, 0, v24
	v_and_b32_e32 v20, exec_lo, v20
	v_not_b32_e32 v24, v26
	v_ashrrev_i32_e32 v23, 31, v23
	s_wait_alu 0xfffd
	v_xor_b32_e32 v22, vcc_lo, v22
	v_cmp_gt_i32_e32 vcc_lo, 0, v26
	v_and_b32_e32 v20, v20, v130
	v_not_b32_e32 v26, v27
	v_ashrrev_i32_e32 v24, 31, v24
	s_wait_alu 0xf1ff
	v_xor_b32_e32 v23, s15, v23
	v_cmp_gt_i32_e64 s15, 0, v27
	v_and_b32_e32 v20, v20, v22
	v_not_b32_e32 v22, v129
	v_ashrrev_i32_e32 v26, 31, v26
	s_wait_alu 0xfffd
	v_xor_b32_e32 v24, vcc_lo, v24
	v_cmp_gt_i32_e32 vcc_lo, 0, v129
	v_and_b32_e32 v20, v20, v23
	v_not_b32_e32 v23, v25
	v_ashrrev_i32_e32 v22, 31, v22
	s_wait_alu 0xf1ff
	v_xor_b32_e32 v26, s15, v26
	v_cmp_gt_i32_e64 s15, 0, v25
	v_and_b32_e32 v20, v20, v24
	v_ashrrev_i32_e32 v23, 31, v23
	s_wait_alu 0xfffd
	v_xor_b32_e32 v22, vcc_lo, v22
	v_mad_u32_u24 v24, v21, 36, v92
	v_mul_u32_u24_e32 v21, 36, v21
	v_and_b32_e32 v20, v20, v26
	s_wait_alu 0xf1ff
	v_xor_b32_e32 v23, s15, v23
	ds_load_b32 v129, v24 offset:1056
	v_add_nc_u32_e32 v131, v92, v21
	v_and_b32_e32 v20, v20, v22
	; wave barrier
	s_delay_alu instid0(VALU_DEP_1) | instskip(NEXT) | instid1(VALU_DEP_1)
	v_and_b32_e32 v20, v20, v23
	v_mbcnt_lo_u32_b32 v130, v20, 0
	v_cmp_ne_u32_e64 s15, 0, v20
	s_delay_alu instid0(VALU_DEP_2)
	v_cmp_eq_u32_e32 vcc_lo, 0, v130
	s_and_b32 s16, s15, vcc_lo
	s_wait_alu 0xfffe
	s_and_saveexec_b32 s15, s16
	s_cbranch_execz .LBB2055_594
; %bb.593:                              ;   in Loop: Header=BB2055_558 Depth=2
	s_wait_dscnt 0x0
	v_bcnt_u32_b32 v20, v20, v129
	ds_store_b32 v131, v20 offset:1056
.LBB2055_594:                           ;   in Loop: Header=BB2055_558 Depth=2
	s_wait_alu 0xfffe
	s_or_b32 exec_lo, exec_lo, s15
	; wave barrier
	s_wait_loadcnt_dscnt 0x0
	s_barrier_signal -1
	s_barrier_wait -1
	global_inv scope:SCOPE_SE
	ds_load_2addr_b32 v[26:27], v78 offset1:1
	ds_load_2addr_b32 v[24:25], v79 offset1:1
	;; [unrolled: 1-line block ×4, first 2 shown]
	ds_load_b32 v132, v43 offset:1088
	s_wait_dscnt 0x3
	v_add3_u32 v133, v27, v26, v24
	s_wait_dscnt 0x2
	s_delay_alu instid0(VALU_DEP_1) | instskip(SKIP_1) | instid1(VALU_DEP_1)
	v_add3_u32 v133, v133, v25, v22
	s_wait_dscnt 0x1
	v_add3_u32 v133, v133, v23, v20
	s_wait_dscnt 0x0
	s_delay_alu instid0(VALU_DEP_1) | instskip(NEXT) | instid1(VALU_DEP_1)
	v_add3_u32 v132, v133, v21, v132
	v_mov_b32_dpp v133, v132 row_shr:1 row_mask:0xf bank_mask:0xf
	s_delay_alu instid0(VALU_DEP_1) | instskip(NEXT) | instid1(VALU_DEP_1)
	v_cndmask_b32_e64 v133, v133, 0, s0
	v_add_nc_u32_e32 v132, v133, v132
	s_delay_alu instid0(VALU_DEP_1) | instskip(NEXT) | instid1(VALU_DEP_1)
	v_mov_b32_dpp v133, v132 row_shr:2 row_mask:0xf bank_mask:0xf
	v_cndmask_b32_e64 v133, 0, v133, s1
	s_delay_alu instid0(VALU_DEP_1) | instskip(NEXT) | instid1(VALU_DEP_1)
	v_add_nc_u32_e32 v132, v132, v133
	v_mov_b32_dpp v133, v132 row_shr:4 row_mask:0xf bank_mask:0xf
	s_delay_alu instid0(VALU_DEP_1) | instskip(NEXT) | instid1(VALU_DEP_1)
	v_cndmask_b32_e64 v133, 0, v133, s9
	v_add_nc_u32_e32 v132, v132, v133
	s_delay_alu instid0(VALU_DEP_1) | instskip(NEXT) | instid1(VALU_DEP_1)
	v_mov_b32_dpp v133, v132 row_shr:8 row_mask:0xf bank_mask:0xf
	v_cndmask_b32_e64 v133, 0, v133, s10
	s_delay_alu instid0(VALU_DEP_1) | instskip(SKIP_3) | instid1(VALU_DEP_1)
	v_add_nc_u32_e32 v132, v132, v133
	ds_swizzle_b32 v133, v132 offset:swizzle(BROADCAST,32,15)
	s_wait_dscnt 0x0
	v_cndmask_b32_e64 v133, v133, 0, s11
	v_add_nc_u32_e32 v132, v132, v133
	s_and_saveexec_b32 s15, s3
; %bb.595:                              ;   in Loop: Header=BB2055_558 Depth=2
	ds_store_b32 v38, v132 offset:1024
; %bb.596:                              ;   in Loop: Header=BB2055_558 Depth=2
	s_wait_alu 0xfffe
	s_or_b32 exec_lo, exec_lo, s15
	s_wait_loadcnt_dscnt 0x0
	s_barrier_signal -1
	s_barrier_wait -1
	global_inv scope:SCOPE_SE
	s_and_saveexec_b32 s15, s4
	s_cbranch_execz .LBB2055_598
; %bb.597:                              ;   in Loop: Header=BB2055_558 Depth=2
	ds_load_b32 v133, v46 offset:1024
	s_wait_dscnt 0x0
	v_mov_b32_dpp v134, v133 row_shr:1 row_mask:0xf bank_mask:0xf
	s_delay_alu instid0(VALU_DEP_1) | instskip(NEXT) | instid1(VALU_DEP_1)
	v_cndmask_b32_e64 v134, v134, 0, s12
	v_add_nc_u32_e32 v133, v134, v133
	s_delay_alu instid0(VALU_DEP_1) | instskip(NEXT) | instid1(VALU_DEP_1)
	v_mov_b32_dpp v134, v133 row_shr:2 row_mask:0xf bank_mask:0xf
	v_cndmask_b32_e64 v134, 0, v134, s13
	s_delay_alu instid0(VALU_DEP_1) | instskip(NEXT) | instid1(VALU_DEP_1)
	v_add_nc_u32_e32 v133, v133, v134
	v_mov_b32_dpp v134, v133 row_shr:4 row_mask:0xf bank_mask:0xf
	s_delay_alu instid0(VALU_DEP_1) | instskip(NEXT) | instid1(VALU_DEP_1)
	v_cndmask_b32_e64 v134, 0, v134, s14
	v_add_nc_u32_e32 v133, v133, v134
	ds_store_b32 v46, v133 offset:1024
.LBB2055_598:                           ;   in Loop: Header=BB2055_558 Depth=2
	s_wait_alu 0xfffe
	s_or_b32 exec_lo, exec_lo, s15
	v_mov_b32_e32 v133, 0
	s_wait_loadcnt_dscnt 0x0
	s_barrier_signal -1
	s_barrier_wait -1
	global_inv scope:SCOPE_SE
	s_and_saveexec_b32 s15, s5
; %bb.599:                              ;   in Loop: Header=BB2055_558 Depth=2
	ds_load_b32 v133, v38 offset:1020
; %bb.600:                              ;   in Loop: Header=BB2055_558 Depth=2
	s_wait_alu 0xfffe
	s_or_b32 exec_lo, exec_lo, s15
	s_wait_dscnt 0x0
	v_add_nc_u32_e32 v132, v133, v132
	ds_bpermute_b32 v132, v87, v132
	s_wait_dscnt 0x0
	v_cndmask_b32_e64 v132, v132, v133, s8
	s_delay_alu instid0(VALU_DEP_1) | instskip(NEXT) | instid1(VALU_DEP_1)
	v_cndmask_b32_e64 v132, v132, 0, s6
	v_add_nc_u32_e32 v26, v132, v26
	s_delay_alu instid0(VALU_DEP_1) | instskip(NEXT) | instid1(VALU_DEP_1)
	v_add_nc_u32_e32 v27, v26, v27
	v_add_nc_u32_e32 v24, v27, v24
	s_delay_alu instid0(VALU_DEP_1) | instskip(NEXT) | instid1(VALU_DEP_1)
	v_add_nc_u32_e32 v25, v24, v25
	;; [unrolled: 3-line block ×3, first 2 shown]
	v_add_nc_u32_e32 v20, v23, v20
	s_delay_alu instid0(VALU_DEP_1)
	v_add_nc_u32_e32 v21, v20, v21
	ds_store_2addr_b32 v81, v23, v20 offset1:1
	ds_store_2addr_b32 v78, v132, v26 offset1:1
	;; [unrolled: 1-line block ×4, first 2 shown]
	ds_store_b32 v43, v21 offset:1088
	s_wait_loadcnt_dscnt 0x0
	s_barrier_signal -1
	s_barrier_wait -1
	global_inv scope:SCOPE_SE
	ds_load_b32 v23, v104 offset:1056
	ds_load_b32 v24, v108 offset:1056
	;; [unrolled: 1-line block ×9, first 2 shown]
	v_mov_b32_e32 v22, 0x800
	s_and_saveexec_b32 s15, s7
; %bb.601:                              ;   in Loop: Header=BB2055_558 Depth=2
	ds_load_b32 v22, v43 offset:1092
; %bb.602:                              ;   in Loop: Header=BB2055_558 Depth=2
	s_wait_alu 0xfffe
	s_or_b32 exec_lo, exec_lo, s15
	s_wait_loadcnt_dscnt 0x0
	s_barrier_signal -1
	s_barrier_wait -1
	global_inv scope:SCOPE_SE
	s_and_saveexec_b32 s15, s2
	s_cbranch_execz .LBB2055_604
; %bb.603:                              ;   in Loop: Header=BB2055_558 Depth=2
	ds_load_b32 v108, v28
	s_wait_dscnt 0x0
	v_sub_nc_u32_e32 v104, v108, v104
	ds_store_b32 v28, v104
.LBB2055_604:                           ;   in Loop: Header=BB2055_558 Depth=2
	s_wait_alu 0xfffe
	s_or_b32 exec_lo, exec_lo, s15
	v_add_nc_u32_e32 v108, v23, v102
	v_add3_u32 v104, v106, v105, v24
	v_add3_u32 v102, v111, v109, v25
	;; [unrolled: 1-line block ×4, first 2 shown]
	v_lshlrev_b32_e32 v105, 1, v108
	v_lshlrev_b32_e32 v106, 1, v104
	v_add3_u32 v23, v123, v121, v112
	v_lshlrev_b32_e32 v109, 1, v102
	v_add3_u32 v27, v126, v125, v20
	v_add3_u32 v26, v130, v129, v21
	ds_store_b16 v105, v2 offset:1024
	ds_store_b16 v106, v103 offset:1024
	;; [unrolled: 1-line block ×3, first 2 shown]
	v_lshlrev_b32_e32 v2, 1, v25
	v_cmp_lt_u32_e32 vcc_lo, v1, v101
	v_lshlrev_b32_e32 v20, 1, v24
	v_lshlrev_b32_e32 v21, 1, v23
	;; [unrolled: 1-line block ×4, first 2 shown]
	ds_store_b16 v2, v110 offset:1024
	ds_store_b16 v20, v114 offset:1024
	;; [unrolled: 1-line block ×5, first 2 shown]
	s_wait_loadcnt_dscnt 0x0
	s_barrier_signal -1
	s_barrier_wait -1
	global_inv scope:SCOPE_SE
	s_and_saveexec_b32 s16, vcc_lo
	s_cbranch_execnz .LBB2055_641
; %bb.605:                              ;   in Loop: Header=BB2055_558 Depth=2
	s_wait_alu 0xfffe
	s_or_b32 exec_lo, exec_lo, s16
	v_cmp_lt_u32_e64 s15, v29, v101
	s_and_saveexec_b32 s17, s15
	s_cbranch_execnz .LBB2055_642
.LBB2055_606:                           ;   in Loop: Header=BB2055_558 Depth=2
	s_wait_alu 0xfffe
	s_or_b32 exec_lo, exec_lo, s17
	v_cmp_lt_u32_e64 s16, v30, v101
	s_and_saveexec_b32 s18, s16
	s_cbranch_execnz .LBB2055_643
.LBB2055_607:                           ;   in Loop: Header=BB2055_558 Depth=2
	s_wait_alu 0xfffe
	s_or_b32 exec_lo, exec_lo, s18
	v_cmp_lt_u32_e64 s17, v31, v101
	s_and_saveexec_b32 s19, s17
	s_cbranch_execnz .LBB2055_644
.LBB2055_608:                           ;   in Loop: Header=BB2055_558 Depth=2
	s_wait_alu 0xfffe
	s_or_b32 exec_lo, exec_lo, s19
	v_cmp_lt_u32_e64 s18, v34, v101
	s_and_saveexec_b32 s20, s18
	s_cbranch_execnz .LBB2055_645
.LBB2055_609:                           ;   in Loop: Header=BB2055_558 Depth=2
	s_wait_alu 0xfffe
	s_or_b32 exec_lo, exec_lo, s20
	v_cmp_lt_u32_e64 s19, v35, v101
	s_and_saveexec_b32 s21, s19
	s_cbranch_execnz .LBB2055_646
.LBB2055_610:                           ;   in Loop: Header=BB2055_558 Depth=2
	s_wait_alu 0xfffe
	s_or_b32 exec_lo, exec_lo, s21
	v_cmp_lt_u32_e64 s20, v36, v101
	s_and_saveexec_b32 s22, s20
	s_cbranch_execnz .LBB2055_647
.LBB2055_611:                           ;   in Loop: Header=BB2055_558 Depth=2
	s_wait_alu 0xfffe
	s_or_b32 exec_lo, exec_lo, s22
	v_cmp_lt_u32_e64 s21, v37, v101
	s_and_saveexec_b32 s48, s21
	s_cbranch_execz .LBB2055_613
.LBB2055_612:                           ;   in Loop: Header=BB2055_558 Depth=2
	ds_load_u16 v103, v47 offset:4608
	s_wait_dscnt 0x0
	v_cmp_ne_u16_e64 s22, 0x7fff, v103
	s_wait_alu 0xf1ff
	s_delay_alu instid0(VALU_DEP_1) | instskip(SKIP_1) | instid1(VALU_DEP_2)
	v_cndmask_b32_e64 v2, 0xffff8000, v103, s22
	v_cmp_lt_i16_e64 s22, -1, v103
	v_and_b32_e32 v2, 0xffff, v2
	s_wait_alu 0xf1ff
	s_delay_alu instid0(VALU_DEP_2) | instskip(NEXT) | instid1(VALU_DEP_2)
	v_cndmask_b32_e64 v105, 0xffff8000, -1, s22
	v_lshrrev_b32_e32 v2, s45, v2
	s_delay_alu instid0(VALU_DEP_1) | instskip(NEXT) | instid1(VALU_DEP_1)
	v_and_b32_e32 v2, s42, v2
	v_lshlrev_b32_e32 v2, 2, v2
	ds_load_b32 v2, v2
	s_wait_dscnt 0x0
	v_add_nc_u32_e32 v2, v2, v37
	s_delay_alu instid0(VALU_DEP_1) | instskip(SKIP_1) | instid1(VALU_DEP_2)
	v_lshlrev_b64_e32 v[20:21], 1, v[2:3]
	v_xor_b32_e32 v2, v105, v103
	v_add_co_u32 v20, s22, s40, v20
	s_wait_alu 0xf1ff
	s_delay_alu instid0(VALU_DEP_3)
	v_add_co_ci_u32_e64 v21, null, s41, v21, s22
	global_store_b16 v[20:21], v2, off
.LBB2055_613:                           ;   in Loop: Header=BB2055_558 Depth=2
	s_wait_alu 0xfffe
	s_or_b32 exec_lo, exec_lo, s48
	s_lshl_b64 s[48:49], s[30:31], 3
	s_wait_alu 0xfffe
	v_add_co_u32 v20, s22, v88, s48
	s_wait_alu 0xf1ff
	v_add_co_ci_u32_e64 v21, null, s49, v89, s22
	v_cmp_lt_u32_e64 s22, v66, v101
	s_and_saveexec_b32 s30, s22
	s_wait_alu 0xfffe
	s_xor_b32 s22, exec_lo, s30
	s_cbranch_execnz .LBB2055_648
; %bb.614:                              ;   in Loop: Header=BB2055_558 Depth=2
	s_wait_alu 0xfffe
	s_or_b32 exec_lo, exec_lo, s22
	s_delay_alu instid0(SALU_CYCLE_1)
	s_mov_b32 s30, exec_lo
	v_cmpx_lt_u32_e64 v70, v101
	s_cbranch_execnz .LBB2055_649
.LBB2055_615:                           ;   in Loop: Header=BB2055_558 Depth=2
	s_wait_alu 0xfffe
	s_or_b32 exec_lo, exec_lo, s30
	s_delay_alu instid0(SALU_CYCLE_1)
	s_mov_b32 s30, exec_lo
	v_cmpx_lt_u32_e64 v71, v101
	s_cbranch_execnz .LBB2055_650
.LBB2055_616:                           ;   in Loop: Header=BB2055_558 Depth=2
	s_wait_alu 0xfffe
	s_or_b32 exec_lo, exec_lo, s30
	s_delay_alu instid0(SALU_CYCLE_1)
	s_mov_b32 s30, exec_lo
	v_cmpx_lt_u32_e64 v72, v101
	s_cbranch_execnz .LBB2055_651
.LBB2055_617:                           ;   in Loop: Header=BB2055_558 Depth=2
	s_wait_alu 0xfffe
	s_or_b32 exec_lo, exec_lo, s30
	s_delay_alu instid0(SALU_CYCLE_1)
	s_mov_b32 s30, exec_lo
	v_cmpx_lt_u32_e64 v73, v101
	s_cbranch_execnz .LBB2055_652
.LBB2055_618:                           ;   in Loop: Header=BB2055_558 Depth=2
	s_wait_alu 0xfffe
	s_or_b32 exec_lo, exec_lo, s30
	s_delay_alu instid0(SALU_CYCLE_1)
	s_mov_b32 s30, exec_lo
	v_cmpx_lt_u32_e64 v74, v101
	s_cbranch_execnz .LBB2055_653
.LBB2055_619:                           ;   in Loop: Header=BB2055_558 Depth=2
	s_wait_alu 0xfffe
	s_or_b32 exec_lo, exec_lo, s30
	s_delay_alu instid0(SALU_CYCLE_1)
	s_mov_b32 s30, exec_lo
	v_cmpx_lt_u32_e64 v75, v101
	s_cbranch_execnz .LBB2055_654
.LBB2055_620:                           ;   in Loop: Header=BB2055_558 Depth=2
	s_wait_alu 0xfffe
	s_or_b32 exec_lo, exec_lo, s30
	s_delay_alu instid0(SALU_CYCLE_1)
	s_mov_b32 s30, exec_lo
	v_cmpx_lt_u32_e64 v76, v101
	s_cbranch_execnz .LBB2055_655
.LBB2055_621:                           ;   in Loop: Header=BB2055_558 Depth=2
	s_wait_alu 0xfffe
	s_or_b32 exec_lo, exec_lo, s30
	s_and_saveexec_b32 s30, vcc_lo
	s_cbranch_execnz .LBB2055_656
.LBB2055_622:                           ;   in Loop: Header=BB2055_558 Depth=2
	s_wait_alu 0xfffe
	s_or_b32 exec_lo, exec_lo, s30
	s_and_saveexec_b32 s30, s15
	s_cbranch_execnz .LBB2055_657
.LBB2055_623:                           ;   in Loop: Header=BB2055_558 Depth=2
	s_wait_alu 0xfffe
	s_or_b32 exec_lo, exec_lo, s30
	s_and_saveexec_b32 s30, s16
	s_cbranch_execnz .LBB2055_658
.LBB2055_624:                           ;   in Loop: Header=BB2055_558 Depth=2
	s_wait_alu 0xfffe
	s_or_b32 exec_lo, exec_lo, s30
	s_and_saveexec_b32 s30, s17
	s_cbranch_execnz .LBB2055_659
.LBB2055_625:                           ;   in Loop: Header=BB2055_558 Depth=2
	s_wait_alu 0xfffe
	s_or_b32 exec_lo, exec_lo, s30
	s_and_saveexec_b32 s30, s18
	s_cbranch_execnz .LBB2055_660
.LBB2055_626:                           ;   in Loop: Header=BB2055_558 Depth=2
	s_wait_alu 0xfffe
	s_or_b32 exec_lo, exec_lo, s30
	s_and_saveexec_b32 s30, s19
	s_cbranch_execnz .LBB2055_661
.LBB2055_627:                           ;   in Loop: Header=BB2055_558 Depth=2
	s_wait_alu 0xfffe
	s_or_b32 exec_lo, exec_lo, s30
	s_and_saveexec_b32 s30, s20
	s_cbranch_execnz .LBB2055_662
.LBB2055_628:                           ;   in Loop: Header=BB2055_558 Depth=2
	s_wait_alu 0xfffe
	s_or_b32 exec_lo, exec_lo, s30
	s_and_saveexec_b32 s30, s21
	s_cbranch_execz .LBB2055_630
.LBB2055_629:                           ;   in Loop: Header=BB2055_558 Depth=2
	ds_load_u16 v2, v47 offset:4608
	s_wait_dscnt 0x0
	v_cmp_ne_u16_e64 s22, 0x7fff, v2
	s_wait_alu 0xf1ff
	s_delay_alu instid0(VALU_DEP_1) | instskip(NEXT) | instid1(VALU_DEP_1)
	v_cndmask_b32_e64 v2, 0xffff8000, v2, s22
	v_and_b32_e32 v2, 0xffff, v2
	s_delay_alu instid0(VALU_DEP_1) | instskip(NEXT) | instid1(VALU_DEP_1)
	v_lshrrev_b32_e32 v2, s45, v2
	v_and_b32_e32 v93, s42, v2
.LBB2055_630:                           ;   in Loop: Header=BB2055_558 Depth=2
	s_wait_alu 0xfffe
	s_or_b32 exec_lo, exec_lo, s30
	v_lshlrev_b32_e32 v2, 3, v108
	v_lshlrev_b32_e32 v20, 3, v104
	;; [unrolled: 1-line block ×3, first 2 shown]
	s_wait_loadcnt 0x0
	s_wait_storecnt 0x0
	s_barrier_signal -1
	s_barrier_wait -1
	global_inv scope:SCOPE_SE
	ds_store_b64 v2, v[18:19] offset:1024
	ds_store_b64 v20, v[16:17] offset:1024
	;; [unrolled: 1-line block ×3, first 2 shown]
	v_lshlrev_b32_e32 v2, 3, v25
	v_lshlrev_b32_e32 v20, 3, v24
	;; [unrolled: 1-line block ×5, first 2 shown]
	ds_store_b64 v2, v[12:13] offset:1024
	ds_store_b64 v20, v[10:11] offset:1024
	;; [unrolled: 1-line block ×5, first 2 shown]
	v_add_nc_u32_e32 v20, v47, v48
	s_wait_loadcnt_dscnt 0x0
	s_barrier_signal -1
	s_barrier_wait -1
	global_inv scope:SCOPE_SE
	s_and_saveexec_b32 s22, vcc_lo
	s_cbranch_execnz .LBB2055_663
; %bb.631:                              ;   in Loop: Header=BB2055_558 Depth=2
	s_wait_alu 0xfffe
	s_or_b32 exec_lo, exec_lo, s22
	s_and_saveexec_b32 s22, s15
	s_cbranch_execnz .LBB2055_664
.LBB2055_632:                           ;   in Loop: Header=BB2055_558 Depth=2
	s_wait_alu 0xfffe
	s_or_b32 exec_lo, exec_lo, s22
	s_and_saveexec_b32 s15, s16
	s_cbranch_execnz .LBB2055_665
.LBB2055_633:                           ;   in Loop: Header=BB2055_558 Depth=2
	s_wait_alu 0xfffe
	s_or_b32 exec_lo, exec_lo, s15
	s_and_saveexec_b32 s15, s17
	s_cbranch_execnz .LBB2055_666
.LBB2055_634:                           ;   in Loop: Header=BB2055_558 Depth=2
	s_wait_alu 0xfffe
	s_or_b32 exec_lo, exec_lo, s15
	s_and_saveexec_b32 s15, s18
	s_cbranch_execnz .LBB2055_667
.LBB2055_635:                           ;   in Loop: Header=BB2055_558 Depth=2
	s_wait_alu 0xfffe
	s_or_b32 exec_lo, exec_lo, s15
	s_and_saveexec_b32 s15, s19
	s_cbranch_execnz .LBB2055_668
.LBB2055_636:                           ;   in Loop: Header=BB2055_558 Depth=2
	s_wait_alu 0xfffe
	s_or_b32 exec_lo, exec_lo, s15
	s_and_saveexec_b32 s15, s20
	s_cbranch_execnz .LBB2055_669
.LBB2055_637:                           ;   in Loop: Header=BB2055_558 Depth=2
	s_wait_alu 0xfffe
	s_or_b32 exec_lo, exec_lo, s15
	s_and_saveexec_b32 s15, s21
	s_cbranch_execz .LBB2055_639
.LBB2055_638:                           ;   in Loop: Header=BB2055_558 Depth=2
	v_lshlrev_b32_e32 v2, 2, v93
	ds_load_b32 v2, v2
	ds_load_b64 v[20:21], v20 offset:15360
	s_wait_dscnt 0x1
	v_add_nc_u32_e32 v2, v2, v37
	s_delay_alu instid0(VALU_DEP_1) | instskip(NEXT) | instid1(VALU_DEP_1)
	v_lshlrev_b64_e32 v[23:24], 3, v[2:3]
	v_add_co_u32 v23, vcc_lo, s26, v23
	s_wait_alu 0xfffd
	s_delay_alu instid0(VALU_DEP_2)
	v_add_co_ci_u32_e64 v24, null, s27, v24, vcc_lo
	s_wait_dscnt 0x0
	global_store_b64 v[23:24], v[20:21], off
.LBB2055_639:                           ;   in Loop: Header=BB2055_558 Depth=2
	s_wait_alu 0xfffe
	s_or_b32 exec_lo, exec_lo, s15
	s_wait_loadcnt 0x0
	s_wait_storecnt 0x0
	s_barrier_signal -1
	s_barrier_wait -1
	global_inv scope:SCOPE_SE
	s_and_saveexec_b32 s15, s2
	s_cbranch_execz .LBB2055_557
; %bb.640:                              ;   in Loop: Header=BB2055_558 Depth=2
	ds_load_b32 v2, v28
	s_wait_dscnt 0x0
	v_add_nc_u32_e32 v2, v2, v22
	ds_store_b32 v28, v2
	s_branch .LBB2055_557
.LBB2055_641:                           ;   in Loop: Header=BB2055_558 Depth=2
	ds_load_u16 v103, v47 offset:1024
	s_wait_dscnt 0x0
	v_cmp_ne_u16_e64 s15, 0x7fff, v103
	s_wait_alu 0xf1ff
	s_delay_alu instid0(VALU_DEP_1) | instskip(SKIP_1) | instid1(VALU_DEP_2)
	v_cndmask_b32_e64 v2, 0xffff8000, v103, s15
	v_cmp_lt_i16_e64 s15, -1, v103
	v_and_b32_e32 v2, 0xffff, v2
	s_wait_alu 0xf1ff
	s_delay_alu instid0(VALU_DEP_2) | instskip(NEXT) | instid1(VALU_DEP_2)
	v_cndmask_b32_e64 v105, 0xffff8000, -1, s15
	v_lshrrev_b32_e32 v2, s45, v2
	s_delay_alu instid0(VALU_DEP_1) | instskip(NEXT) | instid1(VALU_DEP_1)
	v_and_b32_e32 v2, s42, v2
	v_lshlrev_b32_e32 v2, 2, v2
	ds_load_b32 v2, v2
	s_wait_dscnt 0x0
	v_add_nc_u32_e32 v2, v2, v1
	s_delay_alu instid0(VALU_DEP_1) | instskip(SKIP_1) | instid1(VALU_DEP_2)
	v_lshlrev_b64_e32 v[20:21], 1, v[2:3]
	v_xor_b32_e32 v2, v105, v103
	v_add_co_u32 v20, s15, s40, v20
	s_wait_alu 0xf1ff
	s_delay_alu instid0(VALU_DEP_3)
	v_add_co_ci_u32_e64 v21, null, s41, v21, s15
	global_store_b16 v[20:21], v2, off
	s_wait_alu 0xfffe
	s_or_b32 exec_lo, exec_lo, s16
	v_cmp_lt_u32_e64 s15, v29, v101
	s_and_saveexec_b32 s17, s15
	s_cbranch_execz .LBB2055_606
.LBB2055_642:                           ;   in Loop: Header=BB2055_558 Depth=2
	ds_load_u16 v103, v47 offset:1536
	s_wait_dscnt 0x0
	v_cmp_ne_u16_e64 s16, 0x7fff, v103
	s_wait_alu 0xf1ff
	s_delay_alu instid0(VALU_DEP_1) | instskip(SKIP_1) | instid1(VALU_DEP_2)
	v_cndmask_b32_e64 v2, 0xffff8000, v103, s16
	v_cmp_lt_i16_e64 s16, -1, v103
	v_and_b32_e32 v2, 0xffff, v2
	s_wait_alu 0xf1ff
	s_delay_alu instid0(VALU_DEP_2) | instskip(NEXT) | instid1(VALU_DEP_2)
	v_cndmask_b32_e64 v105, 0xffff8000, -1, s16
	v_lshrrev_b32_e32 v2, s45, v2
	s_delay_alu instid0(VALU_DEP_1) | instskip(NEXT) | instid1(VALU_DEP_1)
	v_and_b32_e32 v2, s42, v2
	v_lshlrev_b32_e32 v2, 2, v2
	ds_load_b32 v2, v2
	s_wait_dscnt 0x0
	v_add_nc_u32_e32 v2, v2, v29
	s_delay_alu instid0(VALU_DEP_1) | instskip(SKIP_1) | instid1(VALU_DEP_2)
	v_lshlrev_b64_e32 v[20:21], 1, v[2:3]
	v_xor_b32_e32 v2, v105, v103
	v_add_co_u32 v20, s16, s40, v20
	s_wait_alu 0xf1ff
	s_delay_alu instid0(VALU_DEP_3)
	v_add_co_ci_u32_e64 v21, null, s41, v21, s16
	global_store_b16 v[20:21], v2, off
	s_wait_alu 0xfffe
	s_or_b32 exec_lo, exec_lo, s17
	v_cmp_lt_u32_e64 s16, v30, v101
	s_and_saveexec_b32 s18, s16
	s_cbranch_execz .LBB2055_607
.LBB2055_643:                           ;   in Loop: Header=BB2055_558 Depth=2
	ds_load_u16 v103, v47 offset:2048
	s_wait_dscnt 0x0
	v_cmp_ne_u16_e64 s17, 0x7fff, v103
	s_wait_alu 0xf1ff
	s_delay_alu instid0(VALU_DEP_1) | instskip(SKIP_1) | instid1(VALU_DEP_2)
	v_cndmask_b32_e64 v2, 0xffff8000, v103, s17
	v_cmp_lt_i16_e64 s17, -1, v103
	v_and_b32_e32 v2, 0xffff, v2
	s_wait_alu 0xf1ff
	s_delay_alu instid0(VALU_DEP_2) | instskip(NEXT) | instid1(VALU_DEP_2)
	v_cndmask_b32_e64 v105, 0xffff8000, -1, s17
	v_lshrrev_b32_e32 v2, s45, v2
	s_delay_alu instid0(VALU_DEP_1) | instskip(NEXT) | instid1(VALU_DEP_1)
	v_and_b32_e32 v2, s42, v2
	v_lshlrev_b32_e32 v2, 2, v2
	ds_load_b32 v2, v2
	s_wait_dscnt 0x0
	v_add_nc_u32_e32 v2, v2, v30
	s_delay_alu instid0(VALU_DEP_1) | instskip(SKIP_1) | instid1(VALU_DEP_2)
	v_lshlrev_b64_e32 v[20:21], 1, v[2:3]
	v_xor_b32_e32 v2, v105, v103
	v_add_co_u32 v20, s17, s40, v20
	s_wait_alu 0xf1ff
	s_delay_alu instid0(VALU_DEP_3)
	v_add_co_ci_u32_e64 v21, null, s41, v21, s17
	global_store_b16 v[20:21], v2, off
	s_wait_alu 0xfffe
	s_or_b32 exec_lo, exec_lo, s18
	v_cmp_lt_u32_e64 s17, v31, v101
	s_and_saveexec_b32 s19, s17
	s_cbranch_execz .LBB2055_608
.LBB2055_644:                           ;   in Loop: Header=BB2055_558 Depth=2
	ds_load_u16 v103, v47 offset:2560
	s_wait_dscnt 0x0
	v_cmp_ne_u16_e64 s18, 0x7fff, v103
	s_wait_alu 0xf1ff
	s_delay_alu instid0(VALU_DEP_1) | instskip(SKIP_1) | instid1(VALU_DEP_2)
	v_cndmask_b32_e64 v2, 0xffff8000, v103, s18
	v_cmp_lt_i16_e64 s18, -1, v103
	v_and_b32_e32 v2, 0xffff, v2
	s_wait_alu 0xf1ff
	s_delay_alu instid0(VALU_DEP_2) | instskip(NEXT) | instid1(VALU_DEP_2)
	v_cndmask_b32_e64 v105, 0xffff8000, -1, s18
	v_lshrrev_b32_e32 v2, s45, v2
	s_delay_alu instid0(VALU_DEP_1) | instskip(NEXT) | instid1(VALU_DEP_1)
	v_and_b32_e32 v2, s42, v2
	v_lshlrev_b32_e32 v2, 2, v2
	ds_load_b32 v2, v2
	s_wait_dscnt 0x0
	v_add_nc_u32_e32 v2, v2, v31
	s_delay_alu instid0(VALU_DEP_1) | instskip(SKIP_1) | instid1(VALU_DEP_2)
	v_lshlrev_b64_e32 v[20:21], 1, v[2:3]
	v_xor_b32_e32 v2, v105, v103
	v_add_co_u32 v20, s18, s40, v20
	s_wait_alu 0xf1ff
	s_delay_alu instid0(VALU_DEP_3)
	v_add_co_ci_u32_e64 v21, null, s41, v21, s18
	global_store_b16 v[20:21], v2, off
	s_wait_alu 0xfffe
	s_or_b32 exec_lo, exec_lo, s19
	v_cmp_lt_u32_e64 s18, v34, v101
	s_and_saveexec_b32 s20, s18
	s_cbranch_execz .LBB2055_609
.LBB2055_645:                           ;   in Loop: Header=BB2055_558 Depth=2
	ds_load_u16 v103, v47 offset:3072
	s_wait_dscnt 0x0
	v_cmp_ne_u16_e64 s19, 0x7fff, v103
	s_wait_alu 0xf1ff
	s_delay_alu instid0(VALU_DEP_1) | instskip(SKIP_1) | instid1(VALU_DEP_2)
	v_cndmask_b32_e64 v2, 0xffff8000, v103, s19
	v_cmp_lt_i16_e64 s19, -1, v103
	v_and_b32_e32 v2, 0xffff, v2
	s_wait_alu 0xf1ff
	s_delay_alu instid0(VALU_DEP_2) | instskip(NEXT) | instid1(VALU_DEP_2)
	v_cndmask_b32_e64 v105, 0xffff8000, -1, s19
	v_lshrrev_b32_e32 v2, s45, v2
	s_delay_alu instid0(VALU_DEP_1) | instskip(NEXT) | instid1(VALU_DEP_1)
	v_and_b32_e32 v2, s42, v2
	v_lshlrev_b32_e32 v2, 2, v2
	ds_load_b32 v2, v2
	s_wait_dscnt 0x0
	v_add_nc_u32_e32 v2, v2, v34
	s_delay_alu instid0(VALU_DEP_1) | instskip(SKIP_1) | instid1(VALU_DEP_2)
	v_lshlrev_b64_e32 v[20:21], 1, v[2:3]
	v_xor_b32_e32 v2, v105, v103
	v_add_co_u32 v20, s19, s40, v20
	s_wait_alu 0xf1ff
	s_delay_alu instid0(VALU_DEP_3)
	v_add_co_ci_u32_e64 v21, null, s41, v21, s19
	global_store_b16 v[20:21], v2, off
	s_wait_alu 0xfffe
	s_or_b32 exec_lo, exec_lo, s20
	v_cmp_lt_u32_e64 s19, v35, v101
	s_and_saveexec_b32 s21, s19
	s_cbranch_execz .LBB2055_610
.LBB2055_646:                           ;   in Loop: Header=BB2055_558 Depth=2
	ds_load_u16 v103, v47 offset:3584
	s_wait_dscnt 0x0
	v_cmp_ne_u16_e64 s20, 0x7fff, v103
	s_wait_alu 0xf1ff
	s_delay_alu instid0(VALU_DEP_1) | instskip(SKIP_1) | instid1(VALU_DEP_2)
	v_cndmask_b32_e64 v2, 0xffff8000, v103, s20
	v_cmp_lt_i16_e64 s20, -1, v103
	v_and_b32_e32 v2, 0xffff, v2
	s_wait_alu 0xf1ff
	s_delay_alu instid0(VALU_DEP_2) | instskip(NEXT) | instid1(VALU_DEP_2)
	v_cndmask_b32_e64 v105, 0xffff8000, -1, s20
	v_lshrrev_b32_e32 v2, s45, v2
	s_delay_alu instid0(VALU_DEP_1) | instskip(NEXT) | instid1(VALU_DEP_1)
	v_and_b32_e32 v2, s42, v2
	v_lshlrev_b32_e32 v2, 2, v2
	ds_load_b32 v2, v2
	s_wait_dscnt 0x0
	v_add_nc_u32_e32 v2, v2, v35
	s_delay_alu instid0(VALU_DEP_1) | instskip(SKIP_1) | instid1(VALU_DEP_2)
	v_lshlrev_b64_e32 v[20:21], 1, v[2:3]
	v_xor_b32_e32 v2, v105, v103
	v_add_co_u32 v20, s20, s40, v20
	s_wait_alu 0xf1ff
	s_delay_alu instid0(VALU_DEP_3)
	v_add_co_ci_u32_e64 v21, null, s41, v21, s20
	global_store_b16 v[20:21], v2, off
	s_wait_alu 0xfffe
	s_or_b32 exec_lo, exec_lo, s21
	v_cmp_lt_u32_e64 s20, v36, v101
	s_and_saveexec_b32 s22, s20
	s_cbranch_execz .LBB2055_611
.LBB2055_647:                           ;   in Loop: Header=BB2055_558 Depth=2
	ds_load_u16 v103, v47 offset:4096
	s_wait_dscnt 0x0
	v_cmp_ne_u16_e64 s21, 0x7fff, v103
	s_wait_alu 0xf1ff
	s_delay_alu instid0(VALU_DEP_1) | instskip(SKIP_1) | instid1(VALU_DEP_2)
	v_cndmask_b32_e64 v2, 0xffff8000, v103, s21
	v_cmp_lt_i16_e64 s21, -1, v103
	v_and_b32_e32 v2, 0xffff, v2
	s_wait_alu 0xf1ff
	s_delay_alu instid0(VALU_DEP_2) | instskip(NEXT) | instid1(VALU_DEP_2)
	v_cndmask_b32_e64 v105, 0xffff8000, -1, s21
	v_lshrrev_b32_e32 v2, s45, v2
	s_delay_alu instid0(VALU_DEP_1) | instskip(NEXT) | instid1(VALU_DEP_1)
	v_and_b32_e32 v2, s42, v2
	v_lshlrev_b32_e32 v2, 2, v2
	ds_load_b32 v2, v2
	s_wait_dscnt 0x0
	v_add_nc_u32_e32 v2, v2, v36
	s_delay_alu instid0(VALU_DEP_1) | instskip(SKIP_1) | instid1(VALU_DEP_2)
	v_lshlrev_b64_e32 v[20:21], 1, v[2:3]
	v_xor_b32_e32 v2, v105, v103
	v_add_co_u32 v20, s21, s40, v20
	s_wait_alu 0xf1ff
	s_delay_alu instid0(VALU_DEP_3)
	v_add_co_ci_u32_e64 v21, null, s41, v21, s21
	global_store_b16 v[20:21], v2, off
	s_wait_alu 0xfffe
	s_or_b32 exec_lo, exec_lo, s22
	v_cmp_lt_u32_e64 s21, v37, v101
	s_and_saveexec_b32 s48, s21
	s_cbranch_execnz .LBB2055_612
	s_branch .LBB2055_613
.LBB2055_648:                           ;   in Loop: Header=BB2055_558 Depth=2
	global_load_b64 v[18:19], v[20:21], off
	s_wait_alu 0xfffe
	s_or_b32 exec_lo, exec_lo, s22
	s_delay_alu instid0(SALU_CYCLE_1)
	s_mov_b32 s30, exec_lo
	v_cmpx_lt_u32_e64 v70, v101
	s_cbranch_execz .LBB2055_615
.LBB2055_649:                           ;   in Loop: Header=BB2055_558 Depth=2
	global_load_b64 v[16:17], v[20:21], off offset:256
	s_wait_alu 0xfffe
	s_or_b32 exec_lo, exec_lo, s30
	s_delay_alu instid0(SALU_CYCLE_1)
	s_mov_b32 s30, exec_lo
	v_cmpx_lt_u32_e64 v71, v101
	s_cbranch_execz .LBB2055_616
.LBB2055_650:                           ;   in Loop: Header=BB2055_558 Depth=2
	global_load_b64 v[14:15], v[20:21], off offset:512
	s_wait_alu 0xfffe
	s_or_b32 exec_lo, exec_lo, s30
	s_delay_alu instid0(SALU_CYCLE_1)
	s_mov_b32 s30, exec_lo
	v_cmpx_lt_u32_e64 v72, v101
	s_cbranch_execz .LBB2055_617
.LBB2055_651:                           ;   in Loop: Header=BB2055_558 Depth=2
	global_load_b64 v[12:13], v[20:21], off offset:768
	s_wait_alu 0xfffe
	s_or_b32 exec_lo, exec_lo, s30
	s_delay_alu instid0(SALU_CYCLE_1)
	s_mov_b32 s30, exec_lo
	v_cmpx_lt_u32_e64 v73, v101
	s_cbranch_execz .LBB2055_618
.LBB2055_652:                           ;   in Loop: Header=BB2055_558 Depth=2
	global_load_b64 v[10:11], v[20:21], off offset:1024
	s_wait_alu 0xfffe
	s_or_b32 exec_lo, exec_lo, s30
	s_delay_alu instid0(SALU_CYCLE_1)
	s_mov_b32 s30, exec_lo
	v_cmpx_lt_u32_e64 v74, v101
	s_cbranch_execz .LBB2055_619
.LBB2055_653:                           ;   in Loop: Header=BB2055_558 Depth=2
	global_load_b64 v[8:9], v[20:21], off offset:1280
	s_wait_alu 0xfffe
	s_or_b32 exec_lo, exec_lo, s30
	s_delay_alu instid0(SALU_CYCLE_1)
	s_mov_b32 s30, exec_lo
	v_cmpx_lt_u32_e64 v75, v101
	s_cbranch_execz .LBB2055_620
.LBB2055_654:                           ;   in Loop: Header=BB2055_558 Depth=2
	global_load_b64 v[6:7], v[20:21], off offset:1536
	s_wait_alu 0xfffe
	s_or_b32 exec_lo, exec_lo, s30
	s_delay_alu instid0(SALU_CYCLE_1)
	s_mov_b32 s30, exec_lo
	v_cmpx_lt_u32_e64 v76, v101
	s_cbranch_execz .LBB2055_621
.LBB2055_655:                           ;   in Loop: Header=BB2055_558 Depth=2
	global_load_b64 v[4:5], v[20:21], off offset:1792
	s_wait_alu 0xfffe
	s_or_b32 exec_lo, exec_lo, s30
	s_and_saveexec_b32 s30, vcc_lo
	s_cbranch_execz .LBB2055_622
.LBB2055_656:                           ;   in Loop: Header=BB2055_558 Depth=2
	ds_load_u16 v2, v47 offset:1024
	s_wait_dscnt 0x0
	v_cmp_ne_u16_e64 s22, 0x7fff, v2
	s_wait_alu 0xf1ff
	s_delay_alu instid0(VALU_DEP_1) | instskip(NEXT) | instid1(VALU_DEP_1)
	v_cndmask_b32_e64 v2, 0xffff8000, v2, s22
	v_and_b32_e32 v2, 0xffff, v2
	s_delay_alu instid0(VALU_DEP_1) | instskip(NEXT) | instid1(VALU_DEP_1)
	v_lshrrev_b32_e32 v2, s45, v2
	v_and_b32_e32 v100, s42, v2
	s_wait_alu 0xfffe
	s_or_b32 exec_lo, exec_lo, s30
	s_and_saveexec_b32 s30, s15
	s_cbranch_execz .LBB2055_623
.LBB2055_657:                           ;   in Loop: Header=BB2055_558 Depth=2
	ds_load_u16 v2, v47 offset:1536
	s_wait_dscnt 0x0
	v_cmp_ne_u16_e64 s22, 0x7fff, v2
	s_wait_alu 0xf1ff
	s_delay_alu instid0(VALU_DEP_1) | instskip(NEXT) | instid1(VALU_DEP_1)
	v_cndmask_b32_e64 v2, 0xffff8000, v2, s22
	v_and_b32_e32 v2, 0xffff, v2
	s_delay_alu instid0(VALU_DEP_1) | instskip(NEXT) | instid1(VALU_DEP_1)
	v_lshrrev_b32_e32 v2, s45, v2
	v_and_b32_e32 v99, s42, v2
	s_wait_alu 0xfffe
	s_or_b32 exec_lo, exec_lo, s30
	s_and_saveexec_b32 s30, s16
	s_cbranch_execz .LBB2055_624
.LBB2055_658:                           ;   in Loop: Header=BB2055_558 Depth=2
	ds_load_u16 v2, v47 offset:2048
	s_wait_dscnt 0x0
	v_cmp_ne_u16_e64 s22, 0x7fff, v2
	s_wait_alu 0xf1ff
	s_delay_alu instid0(VALU_DEP_1) | instskip(NEXT) | instid1(VALU_DEP_1)
	v_cndmask_b32_e64 v2, 0xffff8000, v2, s22
	v_and_b32_e32 v2, 0xffff, v2
	s_delay_alu instid0(VALU_DEP_1) | instskip(NEXT) | instid1(VALU_DEP_1)
	v_lshrrev_b32_e32 v2, s45, v2
	v_and_b32_e32 v98, s42, v2
	s_wait_alu 0xfffe
	s_or_b32 exec_lo, exec_lo, s30
	s_and_saveexec_b32 s30, s17
	s_cbranch_execz .LBB2055_625
.LBB2055_659:                           ;   in Loop: Header=BB2055_558 Depth=2
	ds_load_u16 v2, v47 offset:2560
	s_wait_dscnt 0x0
	v_cmp_ne_u16_e64 s22, 0x7fff, v2
	s_wait_alu 0xf1ff
	s_delay_alu instid0(VALU_DEP_1) | instskip(NEXT) | instid1(VALU_DEP_1)
	v_cndmask_b32_e64 v2, 0xffff8000, v2, s22
	v_and_b32_e32 v2, 0xffff, v2
	s_delay_alu instid0(VALU_DEP_1) | instskip(NEXT) | instid1(VALU_DEP_1)
	v_lshrrev_b32_e32 v2, s45, v2
	v_and_b32_e32 v97, s42, v2
	s_wait_alu 0xfffe
	s_or_b32 exec_lo, exec_lo, s30
	s_and_saveexec_b32 s30, s18
	s_cbranch_execz .LBB2055_626
.LBB2055_660:                           ;   in Loop: Header=BB2055_558 Depth=2
	ds_load_u16 v2, v47 offset:3072
	s_wait_dscnt 0x0
	v_cmp_ne_u16_e64 s22, 0x7fff, v2
	s_wait_alu 0xf1ff
	s_delay_alu instid0(VALU_DEP_1) | instskip(NEXT) | instid1(VALU_DEP_1)
	v_cndmask_b32_e64 v2, 0xffff8000, v2, s22
	v_and_b32_e32 v2, 0xffff, v2
	s_delay_alu instid0(VALU_DEP_1) | instskip(NEXT) | instid1(VALU_DEP_1)
	v_lshrrev_b32_e32 v2, s45, v2
	v_and_b32_e32 v96, s42, v2
	s_wait_alu 0xfffe
	s_or_b32 exec_lo, exec_lo, s30
	s_and_saveexec_b32 s30, s19
	s_cbranch_execz .LBB2055_627
.LBB2055_661:                           ;   in Loop: Header=BB2055_558 Depth=2
	ds_load_u16 v2, v47 offset:3584
	s_wait_dscnt 0x0
	v_cmp_ne_u16_e64 s22, 0x7fff, v2
	s_wait_alu 0xf1ff
	s_delay_alu instid0(VALU_DEP_1) | instskip(NEXT) | instid1(VALU_DEP_1)
	v_cndmask_b32_e64 v2, 0xffff8000, v2, s22
	v_and_b32_e32 v2, 0xffff, v2
	s_delay_alu instid0(VALU_DEP_1) | instskip(NEXT) | instid1(VALU_DEP_1)
	v_lshrrev_b32_e32 v2, s45, v2
	v_and_b32_e32 v95, s42, v2
	s_wait_alu 0xfffe
	s_or_b32 exec_lo, exec_lo, s30
	s_and_saveexec_b32 s30, s20
	s_cbranch_execz .LBB2055_628
.LBB2055_662:                           ;   in Loop: Header=BB2055_558 Depth=2
	ds_load_u16 v2, v47 offset:4096
	s_wait_dscnt 0x0
	v_cmp_ne_u16_e64 s22, 0x7fff, v2
	s_wait_alu 0xf1ff
	s_delay_alu instid0(VALU_DEP_1) | instskip(NEXT) | instid1(VALU_DEP_1)
	v_cndmask_b32_e64 v2, 0xffff8000, v2, s22
	v_and_b32_e32 v2, 0xffff, v2
	s_delay_alu instid0(VALU_DEP_1) | instskip(NEXT) | instid1(VALU_DEP_1)
	v_lshrrev_b32_e32 v2, s45, v2
	v_and_b32_e32 v94, s42, v2
	s_wait_alu 0xfffe
	s_or_b32 exec_lo, exec_lo, s30
	s_and_saveexec_b32 s30, s21
	s_cbranch_execnz .LBB2055_629
	s_branch .LBB2055_630
.LBB2055_663:                           ;   in Loop: Header=BB2055_558 Depth=2
	v_lshlrev_b32_e32 v2, 2, v100
	ds_load_b32 v2, v2
	ds_load_b64 v[23:24], v20 offset:1024
	s_wait_dscnt 0x1
	v_add_nc_u32_e32 v2, v2, v1
	s_delay_alu instid0(VALU_DEP_1) | instskip(NEXT) | instid1(VALU_DEP_1)
	v_lshlrev_b64_e32 v[25:26], 3, v[2:3]
	v_add_co_u32 v25, vcc_lo, s26, v25
	s_wait_alu 0xfffd
	s_delay_alu instid0(VALU_DEP_2)
	v_add_co_ci_u32_e64 v26, null, s27, v26, vcc_lo
	s_wait_dscnt 0x0
	global_store_b64 v[25:26], v[23:24], off
	s_wait_alu 0xfffe
	s_or_b32 exec_lo, exec_lo, s22
	s_and_saveexec_b32 s22, s15
	s_cbranch_execz .LBB2055_632
.LBB2055_664:                           ;   in Loop: Header=BB2055_558 Depth=2
	v_lshlrev_b32_e32 v2, 2, v99
	ds_load_b32 v2, v2
	ds_load_b64 v[23:24], v20 offset:3072
	s_wait_dscnt 0x1
	v_add_nc_u32_e32 v2, v2, v29
	s_delay_alu instid0(VALU_DEP_1) | instskip(NEXT) | instid1(VALU_DEP_1)
	v_lshlrev_b64_e32 v[25:26], 3, v[2:3]
	v_add_co_u32 v25, vcc_lo, s26, v25
	s_wait_alu 0xfffd
	s_delay_alu instid0(VALU_DEP_2)
	v_add_co_ci_u32_e64 v26, null, s27, v26, vcc_lo
	s_wait_dscnt 0x0
	global_store_b64 v[25:26], v[23:24], off
	s_wait_alu 0xfffe
	s_or_b32 exec_lo, exec_lo, s22
	s_and_saveexec_b32 s15, s16
	s_cbranch_execz .LBB2055_633
.LBB2055_665:                           ;   in Loop: Header=BB2055_558 Depth=2
	v_lshlrev_b32_e32 v2, 2, v98
	ds_load_b32 v2, v2
	ds_load_b64 v[23:24], v20 offset:5120
	s_wait_dscnt 0x1
	v_add_nc_u32_e32 v2, v2, v30
	s_delay_alu instid0(VALU_DEP_1) | instskip(NEXT) | instid1(VALU_DEP_1)
	v_lshlrev_b64_e32 v[25:26], 3, v[2:3]
	v_add_co_u32 v25, vcc_lo, s26, v25
	s_wait_alu 0xfffd
	s_delay_alu instid0(VALU_DEP_2)
	v_add_co_ci_u32_e64 v26, null, s27, v26, vcc_lo
	s_wait_dscnt 0x0
	global_store_b64 v[25:26], v[23:24], off
	s_wait_alu 0xfffe
	s_or_b32 exec_lo, exec_lo, s15
	s_and_saveexec_b32 s15, s17
	s_cbranch_execz .LBB2055_634
.LBB2055_666:                           ;   in Loop: Header=BB2055_558 Depth=2
	v_lshlrev_b32_e32 v2, 2, v97
	ds_load_b32 v2, v2
	ds_load_b64 v[23:24], v20 offset:7168
	s_wait_dscnt 0x1
	v_add_nc_u32_e32 v2, v2, v31
	s_delay_alu instid0(VALU_DEP_1) | instskip(NEXT) | instid1(VALU_DEP_1)
	v_lshlrev_b64_e32 v[25:26], 3, v[2:3]
	v_add_co_u32 v25, vcc_lo, s26, v25
	s_wait_alu 0xfffd
	s_delay_alu instid0(VALU_DEP_2)
	v_add_co_ci_u32_e64 v26, null, s27, v26, vcc_lo
	s_wait_dscnt 0x0
	global_store_b64 v[25:26], v[23:24], off
	s_wait_alu 0xfffe
	s_or_b32 exec_lo, exec_lo, s15
	s_and_saveexec_b32 s15, s18
	s_cbranch_execz .LBB2055_635
.LBB2055_667:                           ;   in Loop: Header=BB2055_558 Depth=2
	v_lshlrev_b32_e32 v2, 2, v96
	ds_load_b32 v2, v2
	ds_load_b64 v[23:24], v20 offset:9216
	s_wait_dscnt 0x1
	v_add_nc_u32_e32 v2, v2, v34
	s_delay_alu instid0(VALU_DEP_1) | instskip(NEXT) | instid1(VALU_DEP_1)
	v_lshlrev_b64_e32 v[25:26], 3, v[2:3]
	v_add_co_u32 v25, vcc_lo, s26, v25
	s_wait_alu 0xfffd
	s_delay_alu instid0(VALU_DEP_2)
	v_add_co_ci_u32_e64 v26, null, s27, v26, vcc_lo
	s_wait_dscnt 0x0
	global_store_b64 v[25:26], v[23:24], off
	s_wait_alu 0xfffe
	s_or_b32 exec_lo, exec_lo, s15
	s_and_saveexec_b32 s15, s19
	s_cbranch_execz .LBB2055_636
.LBB2055_668:                           ;   in Loop: Header=BB2055_558 Depth=2
	v_lshlrev_b32_e32 v2, 2, v95
	ds_load_b32 v2, v2
	ds_load_b64 v[23:24], v20 offset:11264
	s_wait_dscnt 0x1
	v_add_nc_u32_e32 v2, v2, v35
	s_delay_alu instid0(VALU_DEP_1) | instskip(NEXT) | instid1(VALU_DEP_1)
	v_lshlrev_b64_e32 v[25:26], 3, v[2:3]
	v_add_co_u32 v25, vcc_lo, s26, v25
	s_wait_alu 0xfffd
	s_delay_alu instid0(VALU_DEP_2)
	v_add_co_ci_u32_e64 v26, null, s27, v26, vcc_lo
	s_wait_dscnt 0x0
	global_store_b64 v[25:26], v[23:24], off
	s_wait_alu 0xfffe
	s_or_b32 exec_lo, exec_lo, s15
	s_and_saveexec_b32 s15, s20
	s_cbranch_execz .LBB2055_637
.LBB2055_669:                           ;   in Loop: Header=BB2055_558 Depth=2
	v_lshlrev_b32_e32 v2, 2, v94
	ds_load_b32 v2, v2
	ds_load_b64 v[23:24], v20 offset:13312
	s_wait_dscnt 0x1
	v_add_nc_u32_e32 v2, v2, v36
	s_delay_alu instid0(VALU_DEP_1) | instskip(NEXT) | instid1(VALU_DEP_1)
	v_lshlrev_b64_e32 v[25:26], 3, v[2:3]
	v_add_co_u32 v25, vcc_lo, s26, v25
	s_wait_alu 0xfffd
	s_delay_alu instid0(VALU_DEP_2)
	v_add_co_ci_u32_e64 v26, null, s27, v26, vcc_lo
	s_wait_dscnt 0x0
	global_store_b64 v[25:26], v[23:24], off
	s_wait_alu 0xfffe
	s_or_b32 exec_lo, exec_lo, s15
	s_and_saveexec_b32 s15, s21
	s_cbranch_execnz .LBB2055_638
	s_branch .LBB2055_639
.LBB2055_670:
	s_endpgm
	.section	.rodata,"a",@progbits
	.p2align	6, 0x0
	.amdhsa_kernel _ZN7rocprim17ROCPRIM_400000_NS6detail17trampoline_kernelINS0_14default_configENS1_36segmented_radix_sort_config_selectorI12hip_bfloat16lEEZNS1_25segmented_radix_sort_implIS3_Lb0EPKS5_PS5_PKlPlN2at6native12_GLOBAL__N_18offset_tEEE10hipError_tPvRmT1_PNSt15iterator_traitsISL_E10value_typeET2_T3_PNSM_ISR_E10value_typeET4_jRbjT5_SX_jjP12ihipStream_tbEUlT_E_NS1_11comp_targetILNS1_3genE10ELNS1_11target_archE1201ELNS1_3gpuE5ELNS1_3repE0EEENS1_30default_config_static_selectorELNS0_4arch9wavefront6targetE0EEEvSL_
		.amdhsa_group_segment_fixed_size 17440
		.amdhsa_private_segment_fixed_size 0
		.amdhsa_kernarg_size 352
		.amdhsa_user_sgpr_count 2
		.amdhsa_user_sgpr_dispatch_ptr 0
		.amdhsa_user_sgpr_queue_ptr 0
		.amdhsa_user_sgpr_kernarg_segment_ptr 1
		.amdhsa_user_sgpr_dispatch_id 0
		.amdhsa_user_sgpr_private_segment_size 0
		.amdhsa_wavefront_size32 1
		.amdhsa_uses_dynamic_stack 0
		.amdhsa_enable_private_segment 0
		.amdhsa_system_sgpr_workgroup_id_x 1
		.amdhsa_system_sgpr_workgroup_id_y 1
		.amdhsa_system_sgpr_workgroup_id_z 0
		.amdhsa_system_sgpr_workgroup_info 0
		.amdhsa_system_vgpr_workitem_id 2
		.amdhsa_next_free_vgpr 198
		.amdhsa_next_free_sgpr 50
		.amdhsa_reserve_vcc 1
		.amdhsa_float_round_mode_32 0
		.amdhsa_float_round_mode_16_64 0
		.amdhsa_float_denorm_mode_32 3
		.amdhsa_float_denorm_mode_16_64 3
		.amdhsa_fp16_overflow 0
		.amdhsa_workgroup_processor_mode 1
		.amdhsa_memory_ordered 1
		.amdhsa_forward_progress 1
		.amdhsa_inst_pref_size 255
		.amdhsa_round_robin_scheduling 0
		.amdhsa_exception_fp_ieee_invalid_op 0
		.amdhsa_exception_fp_denorm_src 0
		.amdhsa_exception_fp_ieee_div_zero 0
		.amdhsa_exception_fp_ieee_overflow 0
		.amdhsa_exception_fp_ieee_underflow 0
		.amdhsa_exception_fp_ieee_inexact 0
		.amdhsa_exception_int_div_zero 0
	.end_amdhsa_kernel
	.section	.text._ZN7rocprim17ROCPRIM_400000_NS6detail17trampoline_kernelINS0_14default_configENS1_36segmented_radix_sort_config_selectorI12hip_bfloat16lEEZNS1_25segmented_radix_sort_implIS3_Lb0EPKS5_PS5_PKlPlN2at6native12_GLOBAL__N_18offset_tEEE10hipError_tPvRmT1_PNSt15iterator_traitsISL_E10value_typeET2_T3_PNSM_ISR_E10value_typeET4_jRbjT5_SX_jjP12ihipStream_tbEUlT_E_NS1_11comp_targetILNS1_3genE10ELNS1_11target_archE1201ELNS1_3gpuE5ELNS1_3repE0EEENS1_30default_config_static_selectorELNS0_4arch9wavefront6targetE0EEEvSL_,"axG",@progbits,_ZN7rocprim17ROCPRIM_400000_NS6detail17trampoline_kernelINS0_14default_configENS1_36segmented_radix_sort_config_selectorI12hip_bfloat16lEEZNS1_25segmented_radix_sort_implIS3_Lb0EPKS5_PS5_PKlPlN2at6native12_GLOBAL__N_18offset_tEEE10hipError_tPvRmT1_PNSt15iterator_traitsISL_E10value_typeET2_T3_PNSM_ISR_E10value_typeET4_jRbjT5_SX_jjP12ihipStream_tbEUlT_E_NS1_11comp_targetILNS1_3genE10ELNS1_11target_archE1201ELNS1_3gpuE5ELNS1_3repE0EEENS1_30default_config_static_selectorELNS0_4arch9wavefront6targetE0EEEvSL_,comdat
.Lfunc_end2055:
	.size	_ZN7rocprim17ROCPRIM_400000_NS6detail17trampoline_kernelINS0_14default_configENS1_36segmented_radix_sort_config_selectorI12hip_bfloat16lEEZNS1_25segmented_radix_sort_implIS3_Lb0EPKS5_PS5_PKlPlN2at6native12_GLOBAL__N_18offset_tEEE10hipError_tPvRmT1_PNSt15iterator_traitsISL_E10value_typeET2_T3_PNSM_ISR_E10value_typeET4_jRbjT5_SX_jjP12ihipStream_tbEUlT_E_NS1_11comp_targetILNS1_3genE10ELNS1_11target_archE1201ELNS1_3gpuE5ELNS1_3repE0EEENS1_30default_config_static_selectorELNS0_4arch9wavefront6targetE0EEEvSL_, .Lfunc_end2055-_ZN7rocprim17ROCPRIM_400000_NS6detail17trampoline_kernelINS0_14default_configENS1_36segmented_radix_sort_config_selectorI12hip_bfloat16lEEZNS1_25segmented_radix_sort_implIS3_Lb0EPKS5_PS5_PKlPlN2at6native12_GLOBAL__N_18offset_tEEE10hipError_tPvRmT1_PNSt15iterator_traitsISL_E10value_typeET2_T3_PNSM_ISR_E10value_typeET4_jRbjT5_SX_jjP12ihipStream_tbEUlT_E_NS1_11comp_targetILNS1_3genE10ELNS1_11target_archE1201ELNS1_3gpuE5ELNS1_3repE0EEENS1_30default_config_static_selectorELNS0_4arch9wavefront6targetE0EEEvSL_
                                        ; -- End function
	.set _ZN7rocprim17ROCPRIM_400000_NS6detail17trampoline_kernelINS0_14default_configENS1_36segmented_radix_sort_config_selectorI12hip_bfloat16lEEZNS1_25segmented_radix_sort_implIS3_Lb0EPKS5_PS5_PKlPlN2at6native12_GLOBAL__N_18offset_tEEE10hipError_tPvRmT1_PNSt15iterator_traitsISL_E10value_typeET2_T3_PNSM_ISR_E10value_typeET4_jRbjT5_SX_jjP12ihipStream_tbEUlT_E_NS1_11comp_targetILNS1_3genE10ELNS1_11target_archE1201ELNS1_3gpuE5ELNS1_3repE0EEENS1_30default_config_static_selectorELNS0_4arch9wavefront6targetE0EEEvSL_.num_vgpr, max(135, .L_ZN7rocprim17ROCPRIM_400000_NS6detail40segmented_radix_sort_single_block_helperI12hip_bfloat16lLj256ELj8ELb0EE4sortIPKS3_PS3_PKlPlEEbT_T0_T1_T2_jjjjRNS4_12storage_typeE.num_vgpr)
	.set _ZN7rocprim17ROCPRIM_400000_NS6detail17trampoline_kernelINS0_14default_configENS1_36segmented_radix_sort_config_selectorI12hip_bfloat16lEEZNS1_25segmented_radix_sort_implIS3_Lb0EPKS5_PS5_PKlPlN2at6native12_GLOBAL__N_18offset_tEEE10hipError_tPvRmT1_PNSt15iterator_traitsISL_E10value_typeET2_T3_PNSM_ISR_E10value_typeET4_jRbjT5_SX_jjP12ihipStream_tbEUlT_E_NS1_11comp_targetILNS1_3genE10ELNS1_11target_archE1201ELNS1_3gpuE5ELNS1_3repE0EEENS1_30default_config_static_selectorELNS0_4arch9wavefront6targetE0EEEvSL_.num_agpr, max(0, .L_ZN7rocprim17ROCPRIM_400000_NS6detail40segmented_radix_sort_single_block_helperI12hip_bfloat16lLj256ELj8ELb0EE4sortIPKS3_PS3_PKlPlEEbT_T0_T1_T2_jjjjRNS4_12storage_typeE.num_agpr)
	.set _ZN7rocprim17ROCPRIM_400000_NS6detail17trampoline_kernelINS0_14default_configENS1_36segmented_radix_sort_config_selectorI12hip_bfloat16lEEZNS1_25segmented_radix_sort_implIS3_Lb0EPKS5_PS5_PKlPlN2at6native12_GLOBAL__N_18offset_tEEE10hipError_tPvRmT1_PNSt15iterator_traitsISL_E10value_typeET2_T3_PNSM_ISR_E10value_typeET4_jRbjT5_SX_jjP12ihipStream_tbEUlT_E_NS1_11comp_targetILNS1_3genE10ELNS1_11target_archE1201ELNS1_3gpuE5ELNS1_3repE0EEENS1_30default_config_static_selectorELNS0_4arch9wavefront6targetE0EEEvSL_.numbered_sgpr, max(50, .L_ZN7rocprim17ROCPRIM_400000_NS6detail40segmented_radix_sort_single_block_helperI12hip_bfloat16lLj256ELj8ELb0EE4sortIPKS3_PS3_PKlPlEEbT_T0_T1_T2_jjjjRNS4_12storage_typeE.numbered_sgpr)
	.set _ZN7rocprim17ROCPRIM_400000_NS6detail17trampoline_kernelINS0_14default_configENS1_36segmented_radix_sort_config_selectorI12hip_bfloat16lEEZNS1_25segmented_radix_sort_implIS3_Lb0EPKS5_PS5_PKlPlN2at6native12_GLOBAL__N_18offset_tEEE10hipError_tPvRmT1_PNSt15iterator_traitsISL_E10value_typeET2_T3_PNSM_ISR_E10value_typeET4_jRbjT5_SX_jjP12ihipStream_tbEUlT_E_NS1_11comp_targetILNS1_3genE10ELNS1_11target_archE1201ELNS1_3gpuE5ELNS1_3repE0EEENS1_30default_config_static_selectorELNS0_4arch9wavefront6targetE0EEEvSL_.num_named_barrier, max(0, .L_ZN7rocprim17ROCPRIM_400000_NS6detail40segmented_radix_sort_single_block_helperI12hip_bfloat16lLj256ELj8ELb0EE4sortIPKS3_PS3_PKlPlEEbT_T0_T1_T2_jjjjRNS4_12storage_typeE.num_named_barrier)
	.set _ZN7rocprim17ROCPRIM_400000_NS6detail17trampoline_kernelINS0_14default_configENS1_36segmented_radix_sort_config_selectorI12hip_bfloat16lEEZNS1_25segmented_radix_sort_implIS3_Lb0EPKS5_PS5_PKlPlN2at6native12_GLOBAL__N_18offset_tEEE10hipError_tPvRmT1_PNSt15iterator_traitsISL_E10value_typeET2_T3_PNSM_ISR_E10value_typeET4_jRbjT5_SX_jjP12ihipStream_tbEUlT_E_NS1_11comp_targetILNS1_3genE10ELNS1_11target_archE1201ELNS1_3gpuE5ELNS1_3repE0EEENS1_30default_config_static_selectorELNS0_4arch9wavefront6targetE0EEEvSL_.private_seg_size, 0+max(.L_ZN7rocprim17ROCPRIM_400000_NS6detail40segmented_radix_sort_single_block_helperI12hip_bfloat16lLj256ELj8ELb0EE4sortIPKS3_PS3_PKlPlEEbT_T0_T1_T2_jjjjRNS4_12storage_typeE.private_seg_size)
	.set _ZN7rocprim17ROCPRIM_400000_NS6detail17trampoline_kernelINS0_14default_configENS1_36segmented_radix_sort_config_selectorI12hip_bfloat16lEEZNS1_25segmented_radix_sort_implIS3_Lb0EPKS5_PS5_PKlPlN2at6native12_GLOBAL__N_18offset_tEEE10hipError_tPvRmT1_PNSt15iterator_traitsISL_E10value_typeET2_T3_PNSM_ISR_E10value_typeET4_jRbjT5_SX_jjP12ihipStream_tbEUlT_E_NS1_11comp_targetILNS1_3genE10ELNS1_11target_archE1201ELNS1_3gpuE5ELNS1_3repE0EEENS1_30default_config_static_selectorELNS0_4arch9wavefront6targetE0EEEvSL_.uses_vcc, or(1, .L_ZN7rocprim17ROCPRIM_400000_NS6detail40segmented_radix_sort_single_block_helperI12hip_bfloat16lLj256ELj8ELb0EE4sortIPKS3_PS3_PKlPlEEbT_T0_T1_T2_jjjjRNS4_12storage_typeE.uses_vcc)
	.set _ZN7rocprim17ROCPRIM_400000_NS6detail17trampoline_kernelINS0_14default_configENS1_36segmented_radix_sort_config_selectorI12hip_bfloat16lEEZNS1_25segmented_radix_sort_implIS3_Lb0EPKS5_PS5_PKlPlN2at6native12_GLOBAL__N_18offset_tEEE10hipError_tPvRmT1_PNSt15iterator_traitsISL_E10value_typeET2_T3_PNSM_ISR_E10value_typeET4_jRbjT5_SX_jjP12ihipStream_tbEUlT_E_NS1_11comp_targetILNS1_3genE10ELNS1_11target_archE1201ELNS1_3gpuE5ELNS1_3repE0EEENS1_30default_config_static_selectorELNS0_4arch9wavefront6targetE0EEEvSL_.uses_flat_scratch, or(0, .L_ZN7rocprim17ROCPRIM_400000_NS6detail40segmented_radix_sort_single_block_helperI12hip_bfloat16lLj256ELj8ELb0EE4sortIPKS3_PS3_PKlPlEEbT_T0_T1_T2_jjjjRNS4_12storage_typeE.uses_flat_scratch)
	.set _ZN7rocprim17ROCPRIM_400000_NS6detail17trampoline_kernelINS0_14default_configENS1_36segmented_radix_sort_config_selectorI12hip_bfloat16lEEZNS1_25segmented_radix_sort_implIS3_Lb0EPKS5_PS5_PKlPlN2at6native12_GLOBAL__N_18offset_tEEE10hipError_tPvRmT1_PNSt15iterator_traitsISL_E10value_typeET2_T3_PNSM_ISR_E10value_typeET4_jRbjT5_SX_jjP12ihipStream_tbEUlT_E_NS1_11comp_targetILNS1_3genE10ELNS1_11target_archE1201ELNS1_3gpuE5ELNS1_3repE0EEENS1_30default_config_static_selectorELNS0_4arch9wavefront6targetE0EEEvSL_.has_dyn_sized_stack, or(0, .L_ZN7rocprim17ROCPRIM_400000_NS6detail40segmented_radix_sort_single_block_helperI12hip_bfloat16lLj256ELj8ELb0EE4sortIPKS3_PS3_PKlPlEEbT_T0_T1_T2_jjjjRNS4_12storage_typeE.has_dyn_sized_stack)
	.set _ZN7rocprim17ROCPRIM_400000_NS6detail17trampoline_kernelINS0_14default_configENS1_36segmented_radix_sort_config_selectorI12hip_bfloat16lEEZNS1_25segmented_radix_sort_implIS3_Lb0EPKS5_PS5_PKlPlN2at6native12_GLOBAL__N_18offset_tEEE10hipError_tPvRmT1_PNSt15iterator_traitsISL_E10value_typeET2_T3_PNSM_ISR_E10value_typeET4_jRbjT5_SX_jjP12ihipStream_tbEUlT_E_NS1_11comp_targetILNS1_3genE10ELNS1_11target_archE1201ELNS1_3gpuE5ELNS1_3repE0EEENS1_30default_config_static_selectorELNS0_4arch9wavefront6targetE0EEEvSL_.has_recursion, or(0, .L_ZN7rocprim17ROCPRIM_400000_NS6detail40segmented_radix_sort_single_block_helperI12hip_bfloat16lLj256ELj8ELb0EE4sortIPKS3_PS3_PKlPlEEbT_T0_T1_T2_jjjjRNS4_12storage_typeE.has_recursion)
	.set _ZN7rocprim17ROCPRIM_400000_NS6detail17trampoline_kernelINS0_14default_configENS1_36segmented_radix_sort_config_selectorI12hip_bfloat16lEEZNS1_25segmented_radix_sort_implIS3_Lb0EPKS5_PS5_PKlPlN2at6native12_GLOBAL__N_18offset_tEEE10hipError_tPvRmT1_PNSt15iterator_traitsISL_E10value_typeET2_T3_PNSM_ISR_E10value_typeET4_jRbjT5_SX_jjP12ihipStream_tbEUlT_E_NS1_11comp_targetILNS1_3genE10ELNS1_11target_archE1201ELNS1_3gpuE5ELNS1_3repE0EEENS1_30default_config_static_selectorELNS0_4arch9wavefront6targetE0EEEvSL_.has_indirect_call, or(0, .L_ZN7rocprim17ROCPRIM_400000_NS6detail40segmented_radix_sort_single_block_helperI12hip_bfloat16lLj256ELj8ELb0EE4sortIPKS3_PS3_PKlPlEEbT_T0_T1_T2_jjjjRNS4_12storage_typeE.has_indirect_call)
	.section	.AMDGPU.csdata,"",@progbits
; Kernel info:
; codeLenInByte = 48096
; TotalNumSgprs: 52
; NumVgprs: 198
; ScratchSize: 0
; MemoryBound: 0
; FloatMode: 240
; IeeeMode: 1
; LDSByteSize: 17440 bytes/workgroup (compile time only)
; SGPRBlocks: 0
; VGPRBlocks: 24
; NumSGPRsForWavesPerEU: 52
; NumVGPRsForWavesPerEU: 198
; Occupancy: 7
; WaveLimiterHint : 1
; COMPUTE_PGM_RSRC2:SCRATCH_EN: 0
; COMPUTE_PGM_RSRC2:USER_SGPR: 2
; COMPUTE_PGM_RSRC2:TRAP_HANDLER: 0
; COMPUTE_PGM_RSRC2:TGID_X_EN: 1
; COMPUTE_PGM_RSRC2:TGID_Y_EN: 1
; COMPUTE_PGM_RSRC2:TGID_Z_EN: 0
; COMPUTE_PGM_RSRC2:TIDIG_COMP_CNT: 2
	.section	.text._ZN7rocprim17ROCPRIM_400000_NS6detail17trampoline_kernelINS0_14default_configENS1_36segmented_radix_sort_config_selectorI12hip_bfloat16lEEZNS1_25segmented_radix_sort_implIS3_Lb0EPKS5_PS5_PKlPlN2at6native12_GLOBAL__N_18offset_tEEE10hipError_tPvRmT1_PNSt15iterator_traitsISL_E10value_typeET2_T3_PNSM_ISR_E10value_typeET4_jRbjT5_SX_jjP12ihipStream_tbEUlT_E_NS1_11comp_targetILNS1_3genE10ELNS1_11target_archE1200ELNS1_3gpuE4ELNS1_3repE0EEENS1_30default_config_static_selectorELNS0_4arch9wavefront6targetE0EEEvSL_,"axG",@progbits,_ZN7rocprim17ROCPRIM_400000_NS6detail17trampoline_kernelINS0_14default_configENS1_36segmented_radix_sort_config_selectorI12hip_bfloat16lEEZNS1_25segmented_radix_sort_implIS3_Lb0EPKS5_PS5_PKlPlN2at6native12_GLOBAL__N_18offset_tEEE10hipError_tPvRmT1_PNSt15iterator_traitsISL_E10value_typeET2_T3_PNSM_ISR_E10value_typeET4_jRbjT5_SX_jjP12ihipStream_tbEUlT_E_NS1_11comp_targetILNS1_3genE10ELNS1_11target_archE1200ELNS1_3gpuE4ELNS1_3repE0EEENS1_30default_config_static_selectorELNS0_4arch9wavefront6targetE0EEEvSL_,comdat
	.globl	_ZN7rocprim17ROCPRIM_400000_NS6detail17trampoline_kernelINS0_14default_configENS1_36segmented_radix_sort_config_selectorI12hip_bfloat16lEEZNS1_25segmented_radix_sort_implIS3_Lb0EPKS5_PS5_PKlPlN2at6native12_GLOBAL__N_18offset_tEEE10hipError_tPvRmT1_PNSt15iterator_traitsISL_E10value_typeET2_T3_PNSM_ISR_E10value_typeET4_jRbjT5_SX_jjP12ihipStream_tbEUlT_E_NS1_11comp_targetILNS1_3genE10ELNS1_11target_archE1200ELNS1_3gpuE4ELNS1_3repE0EEENS1_30default_config_static_selectorELNS0_4arch9wavefront6targetE0EEEvSL_ ; -- Begin function _ZN7rocprim17ROCPRIM_400000_NS6detail17trampoline_kernelINS0_14default_configENS1_36segmented_radix_sort_config_selectorI12hip_bfloat16lEEZNS1_25segmented_radix_sort_implIS3_Lb0EPKS5_PS5_PKlPlN2at6native12_GLOBAL__N_18offset_tEEE10hipError_tPvRmT1_PNSt15iterator_traitsISL_E10value_typeET2_T3_PNSM_ISR_E10value_typeET4_jRbjT5_SX_jjP12ihipStream_tbEUlT_E_NS1_11comp_targetILNS1_3genE10ELNS1_11target_archE1200ELNS1_3gpuE4ELNS1_3repE0EEENS1_30default_config_static_selectorELNS0_4arch9wavefront6targetE0EEEvSL_
	.p2align	8
	.type	_ZN7rocprim17ROCPRIM_400000_NS6detail17trampoline_kernelINS0_14default_configENS1_36segmented_radix_sort_config_selectorI12hip_bfloat16lEEZNS1_25segmented_radix_sort_implIS3_Lb0EPKS5_PS5_PKlPlN2at6native12_GLOBAL__N_18offset_tEEE10hipError_tPvRmT1_PNSt15iterator_traitsISL_E10value_typeET2_T3_PNSM_ISR_E10value_typeET4_jRbjT5_SX_jjP12ihipStream_tbEUlT_E_NS1_11comp_targetILNS1_3genE10ELNS1_11target_archE1200ELNS1_3gpuE4ELNS1_3repE0EEENS1_30default_config_static_selectorELNS0_4arch9wavefront6targetE0EEEvSL_,@function
_ZN7rocprim17ROCPRIM_400000_NS6detail17trampoline_kernelINS0_14default_configENS1_36segmented_radix_sort_config_selectorI12hip_bfloat16lEEZNS1_25segmented_radix_sort_implIS3_Lb0EPKS5_PS5_PKlPlN2at6native12_GLOBAL__N_18offset_tEEE10hipError_tPvRmT1_PNSt15iterator_traitsISL_E10value_typeET2_T3_PNSM_ISR_E10value_typeET4_jRbjT5_SX_jjP12ihipStream_tbEUlT_E_NS1_11comp_targetILNS1_3genE10ELNS1_11target_archE1200ELNS1_3gpuE4ELNS1_3repE0EEENS1_30default_config_static_selectorELNS0_4arch9wavefront6targetE0EEEvSL_: ; @_ZN7rocprim17ROCPRIM_400000_NS6detail17trampoline_kernelINS0_14default_configENS1_36segmented_radix_sort_config_selectorI12hip_bfloat16lEEZNS1_25segmented_radix_sort_implIS3_Lb0EPKS5_PS5_PKlPlN2at6native12_GLOBAL__N_18offset_tEEE10hipError_tPvRmT1_PNSt15iterator_traitsISL_E10value_typeET2_T3_PNSM_ISR_E10value_typeET4_jRbjT5_SX_jjP12ihipStream_tbEUlT_E_NS1_11comp_targetILNS1_3genE10ELNS1_11target_archE1200ELNS1_3gpuE4ELNS1_3repE0EEENS1_30default_config_static_selectorELNS0_4arch9wavefront6targetE0EEEvSL_
; %bb.0:
	.section	.rodata,"a",@progbits
	.p2align	6, 0x0
	.amdhsa_kernel _ZN7rocprim17ROCPRIM_400000_NS6detail17trampoline_kernelINS0_14default_configENS1_36segmented_radix_sort_config_selectorI12hip_bfloat16lEEZNS1_25segmented_radix_sort_implIS3_Lb0EPKS5_PS5_PKlPlN2at6native12_GLOBAL__N_18offset_tEEE10hipError_tPvRmT1_PNSt15iterator_traitsISL_E10value_typeET2_T3_PNSM_ISR_E10value_typeET4_jRbjT5_SX_jjP12ihipStream_tbEUlT_E_NS1_11comp_targetILNS1_3genE10ELNS1_11target_archE1200ELNS1_3gpuE4ELNS1_3repE0EEENS1_30default_config_static_selectorELNS0_4arch9wavefront6targetE0EEEvSL_
		.amdhsa_group_segment_fixed_size 0
		.amdhsa_private_segment_fixed_size 0
		.amdhsa_kernarg_size 96
		.amdhsa_user_sgpr_count 2
		.amdhsa_user_sgpr_dispatch_ptr 0
		.amdhsa_user_sgpr_queue_ptr 0
		.amdhsa_user_sgpr_kernarg_segment_ptr 1
		.amdhsa_user_sgpr_dispatch_id 0
		.amdhsa_user_sgpr_private_segment_size 0
		.amdhsa_wavefront_size32 1
		.amdhsa_uses_dynamic_stack 0
		.amdhsa_enable_private_segment 0
		.amdhsa_system_sgpr_workgroup_id_x 1
		.amdhsa_system_sgpr_workgroup_id_y 0
		.amdhsa_system_sgpr_workgroup_id_z 0
		.amdhsa_system_sgpr_workgroup_info 0
		.amdhsa_system_vgpr_workitem_id 0
		.amdhsa_next_free_vgpr 1
		.amdhsa_next_free_sgpr 1
		.amdhsa_reserve_vcc 0
		.amdhsa_float_round_mode_32 0
		.amdhsa_float_round_mode_16_64 0
		.amdhsa_float_denorm_mode_32 3
		.amdhsa_float_denorm_mode_16_64 3
		.amdhsa_fp16_overflow 0
		.amdhsa_workgroup_processor_mode 1
		.amdhsa_memory_ordered 1
		.amdhsa_forward_progress 1
		.amdhsa_inst_pref_size 0
		.amdhsa_round_robin_scheduling 0
		.amdhsa_exception_fp_ieee_invalid_op 0
		.amdhsa_exception_fp_denorm_src 0
		.amdhsa_exception_fp_ieee_div_zero 0
		.amdhsa_exception_fp_ieee_overflow 0
		.amdhsa_exception_fp_ieee_underflow 0
		.amdhsa_exception_fp_ieee_inexact 0
		.amdhsa_exception_int_div_zero 0
	.end_amdhsa_kernel
	.section	.text._ZN7rocprim17ROCPRIM_400000_NS6detail17trampoline_kernelINS0_14default_configENS1_36segmented_radix_sort_config_selectorI12hip_bfloat16lEEZNS1_25segmented_radix_sort_implIS3_Lb0EPKS5_PS5_PKlPlN2at6native12_GLOBAL__N_18offset_tEEE10hipError_tPvRmT1_PNSt15iterator_traitsISL_E10value_typeET2_T3_PNSM_ISR_E10value_typeET4_jRbjT5_SX_jjP12ihipStream_tbEUlT_E_NS1_11comp_targetILNS1_3genE10ELNS1_11target_archE1200ELNS1_3gpuE4ELNS1_3repE0EEENS1_30default_config_static_selectorELNS0_4arch9wavefront6targetE0EEEvSL_,"axG",@progbits,_ZN7rocprim17ROCPRIM_400000_NS6detail17trampoline_kernelINS0_14default_configENS1_36segmented_radix_sort_config_selectorI12hip_bfloat16lEEZNS1_25segmented_radix_sort_implIS3_Lb0EPKS5_PS5_PKlPlN2at6native12_GLOBAL__N_18offset_tEEE10hipError_tPvRmT1_PNSt15iterator_traitsISL_E10value_typeET2_T3_PNSM_ISR_E10value_typeET4_jRbjT5_SX_jjP12ihipStream_tbEUlT_E_NS1_11comp_targetILNS1_3genE10ELNS1_11target_archE1200ELNS1_3gpuE4ELNS1_3repE0EEENS1_30default_config_static_selectorELNS0_4arch9wavefront6targetE0EEEvSL_,comdat
.Lfunc_end2056:
	.size	_ZN7rocprim17ROCPRIM_400000_NS6detail17trampoline_kernelINS0_14default_configENS1_36segmented_radix_sort_config_selectorI12hip_bfloat16lEEZNS1_25segmented_radix_sort_implIS3_Lb0EPKS5_PS5_PKlPlN2at6native12_GLOBAL__N_18offset_tEEE10hipError_tPvRmT1_PNSt15iterator_traitsISL_E10value_typeET2_T3_PNSM_ISR_E10value_typeET4_jRbjT5_SX_jjP12ihipStream_tbEUlT_E_NS1_11comp_targetILNS1_3genE10ELNS1_11target_archE1200ELNS1_3gpuE4ELNS1_3repE0EEENS1_30default_config_static_selectorELNS0_4arch9wavefront6targetE0EEEvSL_, .Lfunc_end2056-_ZN7rocprim17ROCPRIM_400000_NS6detail17trampoline_kernelINS0_14default_configENS1_36segmented_radix_sort_config_selectorI12hip_bfloat16lEEZNS1_25segmented_radix_sort_implIS3_Lb0EPKS5_PS5_PKlPlN2at6native12_GLOBAL__N_18offset_tEEE10hipError_tPvRmT1_PNSt15iterator_traitsISL_E10value_typeET2_T3_PNSM_ISR_E10value_typeET4_jRbjT5_SX_jjP12ihipStream_tbEUlT_E_NS1_11comp_targetILNS1_3genE10ELNS1_11target_archE1200ELNS1_3gpuE4ELNS1_3repE0EEENS1_30default_config_static_selectorELNS0_4arch9wavefront6targetE0EEEvSL_
                                        ; -- End function
	.set _ZN7rocprim17ROCPRIM_400000_NS6detail17trampoline_kernelINS0_14default_configENS1_36segmented_radix_sort_config_selectorI12hip_bfloat16lEEZNS1_25segmented_radix_sort_implIS3_Lb0EPKS5_PS5_PKlPlN2at6native12_GLOBAL__N_18offset_tEEE10hipError_tPvRmT1_PNSt15iterator_traitsISL_E10value_typeET2_T3_PNSM_ISR_E10value_typeET4_jRbjT5_SX_jjP12ihipStream_tbEUlT_E_NS1_11comp_targetILNS1_3genE10ELNS1_11target_archE1200ELNS1_3gpuE4ELNS1_3repE0EEENS1_30default_config_static_selectorELNS0_4arch9wavefront6targetE0EEEvSL_.num_vgpr, 0
	.set _ZN7rocprim17ROCPRIM_400000_NS6detail17trampoline_kernelINS0_14default_configENS1_36segmented_radix_sort_config_selectorI12hip_bfloat16lEEZNS1_25segmented_radix_sort_implIS3_Lb0EPKS5_PS5_PKlPlN2at6native12_GLOBAL__N_18offset_tEEE10hipError_tPvRmT1_PNSt15iterator_traitsISL_E10value_typeET2_T3_PNSM_ISR_E10value_typeET4_jRbjT5_SX_jjP12ihipStream_tbEUlT_E_NS1_11comp_targetILNS1_3genE10ELNS1_11target_archE1200ELNS1_3gpuE4ELNS1_3repE0EEENS1_30default_config_static_selectorELNS0_4arch9wavefront6targetE0EEEvSL_.num_agpr, 0
	.set _ZN7rocprim17ROCPRIM_400000_NS6detail17trampoline_kernelINS0_14default_configENS1_36segmented_radix_sort_config_selectorI12hip_bfloat16lEEZNS1_25segmented_radix_sort_implIS3_Lb0EPKS5_PS5_PKlPlN2at6native12_GLOBAL__N_18offset_tEEE10hipError_tPvRmT1_PNSt15iterator_traitsISL_E10value_typeET2_T3_PNSM_ISR_E10value_typeET4_jRbjT5_SX_jjP12ihipStream_tbEUlT_E_NS1_11comp_targetILNS1_3genE10ELNS1_11target_archE1200ELNS1_3gpuE4ELNS1_3repE0EEENS1_30default_config_static_selectorELNS0_4arch9wavefront6targetE0EEEvSL_.numbered_sgpr, 0
	.set _ZN7rocprim17ROCPRIM_400000_NS6detail17trampoline_kernelINS0_14default_configENS1_36segmented_radix_sort_config_selectorI12hip_bfloat16lEEZNS1_25segmented_radix_sort_implIS3_Lb0EPKS5_PS5_PKlPlN2at6native12_GLOBAL__N_18offset_tEEE10hipError_tPvRmT1_PNSt15iterator_traitsISL_E10value_typeET2_T3_PNSM_ISR_E10value_typeET4_jRbjT5_SX_jjP12ihipStream_tbEUlT_E_NS1_11comp_targetILNS1_3genE10ELNS1_11target_archE1200ELNS1_3gpuE4ELNS1_3repE0EEENS1_30default_config_static_selectorELNS0_4arch9wavefront6targetE0EEEvSL_.num_named_barrier, 0
	.set _ZN7rocprim17ROCPRIM_400000_NS6detail17trampoline_kernelINS0_14default_configENS1_36segmented_radix_sort_config_selectorI12hip_bfloat16lEEZNS1_25segmented_radix_sort_implIS3_Lb0EPKS5_PS5_PKlPlN2at6native12_GLOBAL__N_18offset_tEEE10hipError_tPvRmT1_PNSt15iterator_traitsISL_E10value_typeET2_T3_PNSM_ISR_E10value_typeET4_jRbjT5_SX_jjP12ihipStream_tbEUlT_E_NS1_11comp_targetILNS1_3genE10ELNS1_11target_archE1200ELNS1_3gpuE4ELNS1_3repE0EEENS1_30default_config_static_selectorELNS0_4arch9wavefront6targetE0EEEvSL_.private_seg_size, 0
	.set _ZN7rocprim17ROCPRIM_400000_NS6detail17trampoline_kernelINS0_14default_configENS1_36segmented_radix_sort_config_selectorI12hip_bfloat16lEEZNS1_25segmented_radix_sort_implIS3_Lb0EPKS5_PS5_PKlPlN2at6native12_GLOBAL__N_18offset_tEEE10hipError_tPvRmT1_PNSt15iterator_traitsISL_E10value_typeET2_T3_PNSM_ISR_E10value_typeET4_jRbjT5_SX_jjP12ihipStream_tbEUlT_E_NS1_11comp_targetILNS1_3genE10ELNS1_11target_archE1200ELNS1_3gpuE4ELNS1_3repE0EEENS1_30default_config_static_selectorELNS0_4arch9wavefront6targetE0EEEvSL_.uses_vcc, 0
	.set _ZN7rocprim17ROCPRIM_400000_NS6detail17trampoline_kernelINS0_14default_configENS1_36segmented_radix_sort_config_selectorI12hip_bfloat16lEEZNS1_25segmented_radix_sort_implIS3_Lb0EPKS5_PS5_PKlPlN2at6native12_GLOBAL__N_18offset_tEEE10hipError_tPvRmT1_PNSt15iterator_traitsISL_E10value_typeET2_T3_PNSM_ISR_E10value_typeET4_jRbjT5_SX_jjP12ihipStream_tbEUlT_E_NS1_11comp_targetILNS1_3genE10ELNS1_11target_archE1200ELNS1_3gpuE4ELNS1_3repE0EEENS1_30default_config_static_selectorELNS0_4arch9wavefront6targetE0EEEvSL_.uses_flat_scratch, 0
	.set _ZN7rocprim17ROCPRIM_400000_NS6detail17trampoline_kernelINS0_14default_configENS1_36segmented_radix_sort_config_selectorI12hip_bfloat16lEEZNS1_25segmented_radix_sort_implIS3_Lb0EPKS5_PS5_PKlPlN2at6native12_GLOBAL__N_18offset_tEEE10hipError_tPvRmT1_PNSt15iterator_traitsISL_E10value_typeET2_T3_PNSM_ISR_E10value_typeET4_jRbjT5_SX_jjP12ihipStream_tbEUlT_E_NS1_11comp_targetILNS1_3genE10ELNS1_11target_archE1200ELNS1_3gpuE4ELNS1_3repE0EEENS1_30default_config_static_selectorELNS0_4arch9wavefront6targetE0EEEvSL_.has_dyn_sized_stack, 0
	.set _ZN7rocprim17ROCPRIM_400000_NS6detail17trampoline_kernelINS0_14default_configENS1_36segmented_radix_sort_config_selectorI12hip_bfloat16lEEZNS1_25segmented_radix_sort_implIS3_Lb0EPKS5_PS5_PKlPlN2at6native12_GLOBAL__N_18offset_tEEE10hipError_tPvRmT1_PNSt15iterator_traitsISL_E10value_typeET2_T3_PNSM_ISR_E10value_typeET4_jRbjT5_SX_jjP12ihipStream_tbEUlT_E_NS1_11comp_targetILNS1_3genE10ELNS1_11target_archE1200ELNS1_3gpuE4ELNS1_3repE0EEENS1_30default_config_static_selectorELNS0_4arch9wavefront6targetE0EEEvSL_.has_recursion, 0
	.set _ZN7rocprim17ROCPRIM_400000_NS6detail17trampoline_kernelINS0_14default_configENS1_36segmented_radix_sort_config_selectorI12hip_bfloat16lEEZNS1_25segmented_radix_sort_implIS3_Lb0EPKS5_PS5_PKlPlN2at6native12_GLOBAL__N_18offset_tEEE10hipError_tPvRmT1_PNSt15iterator_traitsISL_E10value_typeET2_T3_PNSM_ISR_E10value_typeET4_jRbjT5_SX_jjP12ihipStream_tbEUlT_E_NS1_11comp_targetILNS1_3genE10ELNS1_11target_archE1200ELNS1_3gpuE4ELNS1_3repE0EEENS1_30default_config_static_selectorELNS0_4arch9wavefront6targetE0EEEvSL_.has_indirect_call, 0
	.section	.AMDGPU.csdata,"",@progbits
; Kernel info:
; codeLenInByte = 0
; TotalNumSgprs: 0
; NumVgprs: 0
; ScratchSize: 0
; MemoryBound: 0
; FloatMode: 240
; IeeeMode: 1
; LDSByteSize: 0 bytes/workgroup (compile time only)
; SGPRBlocks: 0
; VGPRBlocks: 0
; NumSGPRsForWavesPerEU: 1
; NumVGPRsForWavesPerEU: 1
; Occupancy: 16
; WaveLimiterHint : 0
; COMPUTE_PGM_RSRC2:SCRATCH_EN: 0
; COMPUTE_PGM_RSRC2:USER_SGPR: 2
; COMPUTE_PGM_RSRC2:TRAP_HANDLER: 0
; COMPUTE_PGM_RSRC2:TGID_X_EN: 1
; COMPUTE_PGM_RSRC2:TGID_Y_EN: 0
; COMPUTE_PGM_RSRC2:TGID_Z_EN: 0
; COMPUTE_PGM_RSRC2:TIDIG_COMP_CNT: 0
	.section	.text._ZN7rocprim17ROCPRIM_400000_NS6detail17trampoline_kernelINS0_14default_configENS1_36segmented_radix_sort_config_selectorI12hip_bfloat16lEEZNS1_25segmented_radix_sort_implIS3_Lb0EPKS5_PS5_PKlPlN2at6native12_GLOBAL__N_18offset_tEEE10hipError_tPvRmT1_PNSt15iterator_traitsISL_E10value_typeET2_T3_PNSM_ISR_E10value_typeET4_jRbjT5_SX_jjP12ihipStream_tbEUlT_E_NS1_11comp_targetILNS1_3genE9ELNS1_11target_archE1100ELNS1_3gpuE3ELNS1_3repE0EEENS1_30default_config_static_selectorELNS0_4arch9wavefront6targetE0EEEvSL_,"axG",@progbits,_ZN7rocprim17ROCPRIM_400000_NS6detail17trampoline_kernelINS0_14default_configENS1_36segmented_radix_sort_config_selectorI12hip_bfloat16lEEZNS1_25segmented_radix_sort_implIS3_Lb0EPKS5_PS5_PKlPlN2at6native12_GLOBAL__N_18offset_tEEE10hipError_tPvRmT1_PNSt15iterator_traitsISL_E10value_typeET2_T3_PNSM_ISR_E10value_typeET4_jRbjT5_SX_jjP12ihipStream_tbEUlT_E_NS1_11comp_targetILNS1_3genE9ELNS1_11target_archE1100ELNS1_3gpuE3ELNS1_3repE0EEENS1_30default_config_static_selectorELNS0_4arch9wavefront6targetE0EEEvSL_,comdat
	.globl	_ZN7rocprim17ROCPRIM_400000_NS6detail17trampoline_kernelINS0_14default_configENS1_36segmented_radix_sort_config_selectorI12hip_bfloat16lEEZNS1_25segmented_radix_sort_implIS3_Lb0EPKS5_PS5_PKlPlN2at6native12_GLOBAL__N_18offset_tEEE10hipError_tPvRmT1_PNSt15iterator_traitsISL_E10value_typeET2_T3_PNSM_ISR_E10value_typeET4_jRbjT5_SX_jjP12ihipStream_tbEUlT_E_NS1_11comp_targetILNS1_3genE9ELNS1_11target_archE1100ELNS1_3gpuE3ELNS1_3repE0EEENS1_30default_config_static_selectorELNS0_4arch9wavefront6targetE0EEEvSL_ ; -- Begin function _ZN7rocprim17ROCPRIM_400000_NS6detail17trampoline_kernelINS0_14default_configENS1_36segmented_radix_sort_config_selectorI12hip_bfloat16lEEZNS1_25segmented_radix_sort_implIS3_Lb0EPKS5_PS5_PKlPlN2at6native12_GLOBAL__N_18offset_tEEE10hipError_tPvRmT1_PNSt15iterator_traitsISL_E10value_typeET2_T3_PNSM_ISR_E10value_typeET4_jRbjT5_SX_jjP12ihipStream_tbEUlT_E_NS1_11comp_targetILNS1_3genE9ELNS1_11target_archE1100ELNS1_3gpuE3ELNS1_3repE0EEENS1_30default_config_static_selectorELNS0_4arch9wavefront6targetE0EEEvSL_
	.p2align	8
	.type	_ZN7rocprim17ROCPRIM_400000_NS6detail17trampoline_kernelINS0_14default_configENS1_36segmented_radix_sort_config_selectorI12hip_bfloat16lEEZNS1_25segmented_radix_sort_implIS3_Lb0EPKS5_PS5_PKlPlN2at6native12_GLOBAL__N_18offset_tEEE10hipError_tPvRmT1_PNSt15iterator_traitsISL_E10value_typeET2_T3_PNSM_ISR_E10value_typeET4_jRbjT5_SX_jjP12ihipStream_tbEUlT_E_NS1_11comp_targetILNS1_3genE9ELNS1_11target_archE1100ELNS1_3gpuE3ELNS1_3repE0EEENS1_30default_config_static_selectorELNS0_4arch9wavefront6targetE0EEEvSL_,@function
_ZN7rocprim17ROCPRIM_400000_NS6detail17trampoline_kernelINS0_14default_configENS1_36segmented_radix_sort_config_selectorI12hip_bfloat16lEEZNS1_25segmented_radix_sort_implIS3_Lb0EPKS5_PS5_PKlPlN2at6native12_GLOBAL__N_18offset_tEEE10hipError_tPvRmT1_PNSt15iterator_traitsISL_E10value_typeET2_T3_PNSM_ISR_E10value_typeET4_jRbjT5_SX_jjP12ihipStream_tbEUlT_E_NS1_11comp_targetILNS1_3genE9ELNS1_11target_archE1100ELNS1_3gpuE3ELNS1_3repE0EEENS1_30default_config_static_selectorELNS0_4arch9wavefront6targetE0EEEvSL_: ; @_ZN7rocprim17ROCPRIM_400000_NS6detail17trampoline_kernelINS0_14default_configENS1_36segmented_radix_sort_config_selectorI12hip_bfloat16lEEZNS1_25segmented_radix_sort_implIS3_Lb0EPKS5_PS5_PKlPlN2at6native12_GLOBAL__N_18offset_tEEE10hipError_tPvRmT1_PNSt15iterator_traitsISL_E10value_typeET2_T3_PNSM_ISR_E10value_typeET4_jRbjT5_SX_jjP12ihipStream_tbEUlT_E_NS1_11comp_targetILNS1_3genE9ELNS1_11target_archE1100ELNS1_3gpuE3ELNS1_3repE0EEENS1_30default_config_static_selectorELNS0_4arch9wavefront6targetE0EEEvSL_
; %bb.0:
	.section	.rodata,"a",@progbits
	.p2align	6, 0x0
	.amdhsa_kernel _ZN7rocprim17ROCPRIM_400000_NS6detail17trampoline_kernelINS0_14default_configENS1_36segmented_radix_sort_config_selectorI12hip_bfloat16lEEZNS1_25segmented_radix_sort_implIS3_Lb0EPKS5_PS5_PKlPlN2at6native12_GLOBAL__N_18offset_tEEE10hipError_tPvRmT1_PNSt15iterator_traitsISL_E10value_typeET2_T3_PNSM_ISR_E10value_typeET4_jRbjT5_SX_jjP12ihipStream_tbEUlT_E_NS1_11comp_targetILNS1_3genE9ELNS1_11target_archE1100ELNS1_3gpuE3ELNS1_3repE0EEENS1_30default_config_static_selectorELNS0_4arch9wavefront6targetE0EEEvSL_
		.amdhsa_group_segment_fixed_size 0
		.amdhsa_private_segment_fixed_size 0
		.amdhsa_kernarg_size 96
		.amdhsa_user_sgpr_count 2
		.amdhsa_user_sgpr_dispatch_ptr 0
		.amdhsa_user_sgpr_queue_ptr 0
		.amdhsa_user_sgpr_kernarg_segment_ptr 1
		.amdhsa_user_sgpr_dispatch_id 0
		.amdhsa_user_sgpr_private_segment_size 0
		.amdhsa_wavefront_size32 1
		.amdhsa_uses_dynamic_stack 0
		.amdhsa_enable_private_segment 0
		.amdhsa_system_sgpr_workgroup_id_x 1
		.amdhsa_system_sgpr_workgroup_id_y 0
		.amdhsa_system_sgpr_workgroup_id_z 0
		.amdhsa_system_sgpr_workgroup_info 0
		.amdhsa_system_vgpr_workitem_id 0
		.amdhsa_next_free_vgpr 1
		.amdhsa_next_free_sgpr 1
		.amdhsa_reserve_vcc 0
		.amdhsa_float_round_mode_32 0
		.amdhsa_float_round_mode_16_64 0
		.amdhsa_float_denorm_mode_32 3
		.amdhsa_float_denorm_mode_16_64 3
		.amdhsa_fp16_overflow 0
		.amdhsa_workgroup_processor_mode 1
		.amdhsa_memory_ordered 1
		.amdhsa_forward_progress 1
		.amdhsa_inst_pref_size 0
		.amdhsa_round_robin_scheduling 0
		.amdhsa_exception_fp_ieee_invalid_op 0
		.amdhsa_exception_fp_denorm_src 0
		.amdhsa_exception_fp_ieee_div_zero 0
		.amdhsa_exception_fp_ieee_overflow 0
		.amdhsa_exception_fp_ieee_underflow 0
		.amdhsa_exception_fp_ieee_inexact 0
		.amdhsa_exception_int_div_zero 0
	.end_amdhsa_kernel
	.section	.text._ZN7rocprim17ROCPRIM_400000_NS6detail17trampoline_kernelINS0_14default_configENS1_36segmented_radix_sort_config_selectorI12hip_bfloat16lEEZNS1_25segmented_radix_sort_implIS3_Lb0EPKS5_PS5_PKlPlN2at6native12_GLOBAL__N_18offset_tEEE10hipError_tPvRmT1_PNSt15iterator_traitsISL_E10value_typeET2_T3_PNSM_ISR_E10value_typeET4_jRbjT5_SX_jjP12ihipStream_tbEUlT_E_NS1_11comp_targetILNS1_3genE9ELNS1_11target_archE1100ELNS1_3gpuE3ELNS1_3repE0EEENS1_30default_config_static_selectorELNS0_4arch9wavefront6targetE0EEEvSL_,"axG",@progbits,_ZN7rocprim17ROCPRIM_400000_NS6detail17trampoline_kernelINS0_14default_configENS1_36segmented_radix_sort_config_selectorI12hip_bfloat16lEEZNS1_25segmented_radix_sort_implIS3_Lb0EPKS5_PS5_PKlPlN2at6native12_GLOBAL__N_18offset_tEEE10hipError_tPvRmT1_PNSt15iterator_traitsISL_E10value_typeET2_T3_PNSM_ISR_E10value_typeET4_jRbjT5_SX_jjP12ihipStream_tbEUlT_E_NS1_11comp_targetILNS1_3genE9ELNS1_11target_archE1100ELNS1_3gpuE3ELNS1_3repE0EEENS1_30default_config_static_selectorELNS0_4arch9wavefront6targetE0EEEvSL_,comdat
.Lfunc_end2057:
	.size	_ZN7rocprim17ROCPRIM_400000_NS6detail17trampoline_kernelINS0_14default_configENS1_36segmented_radix_sort_config_selectorI12hip_bfloat16lEEZNS1_25segmented_radix_sort_implIS3_Lb0EPKS5_PS5_PKlPlN2at6native12_GLOBAL__N_18offset_tEEE10hipError_tPvRmT1_PNSt15iterator_traitsISL_E10value_typeET2_T3_PNSM_ISR_E10value_typeET4_jRbjT5_SX_jjP12ihipStream_tbEUlT_E_NS1_11comp_targetILNS1_3genE9ELNS1_11target_archE1100ELNS1_3gpuE3ELNS1_3repE0EEENS1_30default_config_static_selectorELNS0_4arch9wavefront6targetE0EEEvSL_, .Lfunc_end2057-_ZN7rocprim17ROCPRIM_400000_NS6detail17trampoline_kernelINS0_14default_configENS1_36segmented_radix_sort_config_selectorI12hip_bfloat16lEEZNS1_25segmented_radix_sort_implIS3_Lb0EPKS5_PS5_PKlPlN2at6native12_GLOBAL__N_18offset_tEEE10hipError_tPvRmT1_PNSt15iterator_traitsISL_E10value_typeET2_T3_PNSM_ISR_E10value_typeET4_jRbjT5_SX_jjP12ihipStream_tbEUlT_E_NS1_11comp_targetILNS1_3genE9ELNS1_11target_archE1100ELNS1_3gpuE3ELNS1_3repE0EEENS1_30default_config_static_selectorELNS0_4arch9wavefront6targetE0EEEvSL_
                                        ; -- End function
	.set _ZN7rocprim17ROCPRIM_400000_NS6detail17trampoline_kernelINS0_14default_configENS1_36segmented_radix_sort_config_selectorI12hip_bfloat16lEEZNS1_25segmented_radix_sort_implIS3_Lb0EPKS5_PS5_PKlPlN2at6native12_GLOBAL__N_18offset_tEEE10hipError_tPvRmT1_PNSt15iterator_traitsISL_E10value_typeET2_T3_PNSM_ISR_E10value_typeET4_jRbjT5_SX_jjP12ihipStream_tbEUlT_E_NS1_11comp_targetILNS1_3genE9ELNS1_11target_archE1100ELNS1_3gpuE3ELNS1_3repE0EEENS1_30default_config_static_selectorELNS0_4arch9wavefront6targetE0EEEvSL_.num_vgpr, 0
	.set _ZN7rocprim17ROCPRIM_400000_NS6detail17trampoline_kernelINS0_14default_configENS1_36segmented_radix_sort_config_selectorI12hip_bfloat16lEEZNS1_25segmented_radix_sort_implIS3_Lb0EPKS5_PS5_PKlPlN2at6native12_GLOBAL__N_18offset_tEEE10hipError_tPvRmT1_PNSt15iterator_traitsISL_E10value_typeET2_T3_PNSM_ISR_E10value_typeET4_jRbjT5_SX_jjP12ihipStream_tbEUlT_E_NS1_11comp_targetILNS1_3genE9ELNS1_11target_archE1100ELNS1_3gpuE3ELNS1_3repE0EEENS1_30default_config_static_selectorELNS0_4arch9wavefront6targetE0EEEvSL_.num_agpr, 0
	.set _ZN7rocprim17ROCPRIM_400000_NS6detail17trampoline_kernelINS0_14default_configENS1_36segmented_radix_sort_config_selectorI12hip_bfloat16lEEZNS1_25segmented_radix_sort_implIS3_Lb0EPKS5_PS5_PKlPlN2at6native12_GLOBAL__N_18offset_tEEE10hipError_tPvRmT1_PNSt15iterator_traitsISL_E10value_typeET2_T3_PNSM_ISR_E10value_typeET4_jRbjT5_SX_jjP12ihipStream_tbEUlT_E_NS1_11comp_targetILNS1_3genE9ELNS1_11target_archE1100ELNS1_3gpuE3ELNS1_3repE0EEENS1_30default_config_static_selectorELNS0_4arch9wavefront6targetE0EEEvSL_.numbered_sgpr, 0
	.set _ZN7rocprim17ROCPRIM_400000_NS6detail17trampoline_kernelINS0_14default_configENS1_36segmented_radix_sort_config_selectorI12hip_bfloat16lEEZNS1_25segmented_radix_sort_implIS3_Lb0EPKS5_PS5_PKlPlN2at6native12_GLOBAL__N_18offset_tEEE10hipError_tPvRmT1_PNSt15iterator_traitsISL_E10value_typeET2_T3_PNSM_ISR_E10value_typeET4_jRbjT5_SX_jjP12ihipStream_tbEUlT_E_NS1_11comp_targetILNS1_3genE9ELNS1_11target_archE1100ELNS1_3gpuE3ELNS1_3repE0EEENS1_30default_config_static_selectorELNS0_4arch9wavefront6targetE0EEEvSL_.num_named_barrier, 0
	.set _ZN7rocprim17ROCPRIM_400000_NS6detail17trampoline_kernelINS0_14default_configENS1_36segmented_radix_sort_config_selectorI12hip_bfloat16lEEZNS1_25segmented_radix_sort_implIS3_Lb0EPKS5_PS5_PKlPlN2at6native12_GLOBAL__N_18offset_tEEE10hipError_tPvRmT1_PNSt15iterator_traitsISL_E10value_typeET2_T3_PNSM_ISR_E10value_typeET4_jRbjT5_SX_jjP12ihipStream_tbEUlT_E_NS1_11comp_targetILNS1_3genE9ELNS1_11target_archE1100ELNS1_3gpuE3ELNS1_3repE0EEENS1_30default_config_static_selectorELNS0_4arch9wavefront6targetE0EEEvSL_.private_seg_size, 0
	.set _ZN7rocprim17ROCPRIM_400000_NS6detail17trampoline_kernelINS0_14default_configENS1_36segmented_radix_sort_config_selectorI12hip_bfloat16lEEZNS1_25segmented_radix_sort_implIS3_Lb0EPKS5_PS5_PKlPlN2at6native12_GLOBAL__N_18offset_tEEE10hipError_tPvRmT1_PNSt15iterator_traitsISL_E10value_typeET2_T3_PNSM_ISR_E10value_typeET4_jRbjT5_SX_jjP12ihipStream_tbEUlT_E_NS1_11comp_targetILNS1_3genE9ELNS1_11target_archE1100ELNS1_3gpuE3ELNS1_3repE0EEENS1_30default_config_static_selectorELNS0_4arch9wavefront6targetE0EEEvSL_.uses_vcc, 0
	.set _ZN7rocprim17ROCPRIM_400000_NS6detail17trampoline_kernelINS0_14default_configENS1_36segmented_radix_sort_config_selectorI12hip_bfloat16lEEZNS1_25segmented_radix_sort_implIS3_Lb0EPKS5_PS5_PKlPlN2at6native12_GLOBAL__N_18offset_tEEE10hipError_tPvRmT1_PNSt15iterator_traitsISL_E10value_typeET2_T3_PNSM_ISR_E10value_typeET4_jRbjT5_SX_jjP12ihipStream_tbEUlT_E_NS1_11comp_targetILNS1_3genE9ELNS1_11target_archE1100ELNS1_3gpuE3ELNS1_3repE0EEENS1_30default_config_static_selectorELNS0_4arch9wavefront6targetE0EEEvSL_.uses_flat_scratch, 0
	.set _ZN7rocprim17ROCPRIM_400000_NS6detail17trampoline_kernelINS0_14default_configENS1_36segmented_radix_sort_config_selectorI12hip_bfloat16lEEZNS1_25segmented_radix_sort_implIS3_Lb0EPKS5_PS5_PKlPlN2at6native12_GLOBAL__N_18offset_tEEE10hipError_tPvRmT1_PNSt15iterator_traitsISL_E10value_typeET2_T3_PNSM_ISR_E10value_typeET4_jRbjT5_SX_jjP12ihipStream_tbEUlT_E_NS1_11comp_targetILNS1_3genE9ELNS1_11target_archE1100ELNS1_3gpuE3ELNS1_3repE0EEENS1_30default_config_static_selectorELNS0_4arch9wavefront6targetE0EEEvSL_.has_dyn_sized_stack, 0
	.set _ZN7rocprim17ROCPRIM_400000_NS6detail17trampoline_kernelINS0_14default_configENS1_36segmented_radix_sort_config_selectorI12hip_bfloat16lEEZNS1_25segmented_radix_sort_implIS3_Lb0EPKS5_PS5_PKlPlN2at6native12_GLOBAL__N_18offset_tEEE10hipError_tPvRmT1_PNSt15iterator_traitsISL_E10value_typeET2_T3_PNSM_ISR_E10value_typeET4_jRbjT5_SX_jjP12ihipStream_tbEUlT_E_NS1_11comp_targetILNS1_3genE9ELNS1_11target_archE1100ELNS1_3gpuE3ELNS1_3repE0EEENS1_30default_config_static_selectorELNS0_4arch9wavefront6targetE0EEEvSL_.has_recursion, 0
	.set _ZN7rocprim17ROCPRIM_400000_NS6detail17trampoline_kernelINS0_14default_configENS1_36segmented_radix_sort_config_selectorI12hip_bfloat16lEEZNS1_25segmented_radix_sort_implIS3_Lb0EPKS5_PS5_PKlPlN2at6native12_GLOBAL__N_18offset_tEEE10hipError_tPvRmT1_PNSt15iterator_traitsISL_E10value_typeET2_T3_PNSM_ISR_E10value_typeET4_jRbjT5_SX_jjP12ihipStream_tbEUlT_E_NS1_11comp_targetILNS1_3genE9ELNS1_11target_archE1100ELNS1_3gpuE3ELNS1_3repE0EEENS1_30default_config_static_selectorELNS0_4arch9wavefront6targetE0EEEvSL_.has_indirect_call, 0
	.section	.AMDGPU.csdata,"",@progbits
; Kernel info:
; codeLenInByte = 0
; TotalNumSgprs: 0
; NumVgprs: 0
; ScratchSize: 0
; MemoryBound: 0
; FloatMode: 240
; IeeeMode: 1
; LDSByteSize: 0 bytes/workgroup (compile time only)
; SGPRBlocks: 0
; VGPRBlocks: 0
; NumSGPRsForWavesPerEU: 1
; NumVGPRsForWavesPerEU: 1
; Occupancy: 16
; WaveLimiterHint : 0
; COMPUTE_PGM_RSRC2:SCRATCH_EN: 0
; COMPUTE_PGM_RSRC2:USER_SGPR: 2
; COMPUTE_PGM_RSRC2:TRAP_HANDLER: 0
; COMPUTE_PGM_RSRC2:TGID_X_EN: 1
; COMPUTE_PGM_RSRC2:TGID_Y_EN: 0
; COMPUTE_PGM_RSRC2:TGID_Z_EN: 0
; COMPUTE_PGM_RSRC2:TIDIG_COMP_CNT: 0
	.section	.text._ZN7rocprim17ROCPRIM_400000_NS6detail17trampoline_kernelINS0_14default_configENS1_36segmented_radix_sort_config_selectorI12hip_bfloat16lEEZNS1_25segmented_radix_sort_implIS3_Lb0EPKS5_PS5_PKlPlN2at6native12_GLOBAL__N_18offset_tEEE10hipError_tPvRmT1_PNSt15iterator_traitsISL_E10value_typeET2_T3_PNSM_ISR_E10value_typeET4_jRbjT5_SX_jjP12ihipStream_tbEUlT_E_NS1_11comp_targetILNS1_3genE8ELNS1_11target_archE1030ELNS1_3gpuE2ELNS1_3repE0EEENS1_30default_config_static_selectorELNS0_4arch9wavefront6targetE0EEEvSL_,"axG",@progbits,_ZN7rocprim17ROCPRIM_400000_NS6detail17trampoline_kernelINS0_14default_configENS1_36segmented_radix_sort_config_selectorI12hip_bfloat16lEEZNS1_25segmented_radix_sort_implIS3_Lb0EPKS5_PS5_PKlPlN2at6native12_GLOBAL__N_18offset_tEEE10hipError_tPvRmT1_PNSt15iterator_traitsISL_E10value_typeET2_T3_PNSM_ISR_E10value_typeET4_jRbjT5_SX_jjP12ihipStream_tbEUlT_E_NS1_11comp_targetILNS1_3genE8ELNS1_11target_archE1030ELNS1_3gpuE2ELNS1_3repE0EEENS1_30default_config_static_selectorELNS0_4arch9wavefront6targetE0EEEvSL_,comdat
	.globl	_ZN7rocprim17ROCPRIM_400000_NS6detail17trampoline_kernelINS0_14default_configENS1_36segmented_radix_sort_config_selectorI12hip_bfloat16lEEZNS1_25segmented_radix_sort_implIS3_Lb0EPKS5_PS5_PKlPlN2at6native12_GLOBAL__N_18offset_tEEE10hipError_tPvRmT1_PNSt15iterator_traitsISL_E10value_typeET2_T3_PNSM_ISR_E10value_typeET4_jRbjT5_SX_jjP12ihipStream_tbEUlT_E_NS1_11comp_targetILNS1_3genE8ELNS1_11target_archE1030ELNS1_3gpuE2ELNS1_3repE0EEENS1_30default_config_static_selectorELNS0_4arch9wavefront6targetE0EEEvSL_ ; -- Begin function _ZN7rocprim17ROCPRIM_400000_NS6detail17trampoline_kernelINS0_14default_configENS1_36segmented_radix_sort_config_selectorI12hip_bfloat16lEEZNS1_25segmented_radix_sort_implIS3_Lb0EPKS5_PS5_PKlPlN2at6native12_GLOBAL__N_18offset_tEEE10hipError_tPvRmT1_PNSt15iterator_traitsISL_E10value_typeET2_T3_PNSM_ISR_E10value_typeET4_jRbjT5_SX_jjP12ihipStream_tbEUlT_E_NS1_11comp_targetILNS1_3genE8ELNS1_11target_archE1030ELNS1_3gpuE2ELNS1_3repE0EEENS1_30default_config_static_selectorELNS0_4arch9wavefront6targetE0EEEvSL_
	.p2align	8
	.type	_ZN7rocprim17ROCPRIM_400000_NS6detail17trampoline_kernelINS0_14default_configENS1_36segmented_radix_sort_config_selectorI12hip_bfloat16lEEZNS1_25segmented_radix_sort_implIS3_Lb0EPKS5_PS5_PKlPlN2at6native12_GLOBAL__N_18offset_tEEE10hipError_tPvRmT1_PNSt15iterator_traitsISL_E10value_typeET2_T3_PNSM_ISR_E10value_typeET4_jRbjT5_SX_jjP12ihipStream_tbEUlT_E_NS1_11comp_targetILNS1_3genE8ELNS1_11target_archE1030ELNS1_3gpuE2ELNS1_3repE0EEENS1_30default_config_static_selectorELNS0_4arch9wavefront6targetE0EEEvSL_,@function
_ZN7rocprim17ROCPRIM_400000_NS6detail17trampoline_kernelINS0_14default_configENS1_36segmented_radix_sort_config_selectorI12hip_bfloat16lEEZNS1_25segmented_radix_sort_implIS3_Lb0EPKS5_PS5_PKlPlN2at6native12_GLOBAL__N_18offset_tEEE10hipError_tPvRmT1_PNSt15iterator_traitsISL_E10value_typeET2_T3_PNSM_ISR_E10value_typeET4_jRbjT5_SX_jjP12ihipStream_tbEUlT_E_NS1_11comp_targetILNS1_3genE8ELNS1_11target_archE1030ELNS1_3gpuE2ELNS1_3repE0EEENS1_30default_config_static_selectorELNS0_4arch9wavefront6targetE0EEEvSL_: ; @_ZN7rocprim17ROCPRIM_400000_NS6detail17trampoline_kernelINS0_14default_configENS1_36segmented_radix_sort_config_selectorI12hip_bfloat16lEEZNS1_25segmented_radix_sort_implIS3_Lb0EPKS5_PS5_PKlPlN2at6native12_GLOBAL__N_18offset_tEEE10hipError_tPvRmT1_PNSt15iterator_traitsISL_E10value_typeET2_T3_PNSM_ISR_E10value_typeET4_jRbjT5_SX_jjP12ihipStream_tbEUlT_E_NS1_11comp_targetILNS1_3genE8ELNS1_11target_archE1030ELNS1_3gpuE2ELNS1_3repE0EEENS1_30default_config_static_selectorELNS0_4arch9wavefront6targetE0EEEvSL_
; %bb.0:
	.section	.rodata,"a",@progbits
	.p2align	6, 0x0
	.amdhsa_kernel _ZN7rocprim17ROCPRIM_400000_NS6detail17trampoline_kernelINS0_14default_configENS1_36segmented_radix_sort_config_selectorI12hip_bfloat16lEEZNS1_25segmented_radix_sort_implIS3_Lb0EPKS5_PS5_PKlPlN2at6native12_GLOBAL__N_18offset_tEEE10hipError_tPvRmT1_PNSt15iterator_traitsISL_E10value_typeET2_T3_PNSM_ISR_E10value_typeET4_jRbjT5_SX_jjP12ihipStream_tbEUlT_E_NS1_11comp_targetILNS1_3genE8ELNS1_11target_archE1030ELNS1_3gpuE2ELNS1_3repE0EEENS1_30default_config_static_selectorELNS0_4arch9wavefront6targetE0EEEvSL_
		.amdhsa_group_segment_fixed_size 0
		.amdhsa_private_segment_fixed_size 0
		.amdhsa_kernarg_size 96
		.amdhsa_user_sgpr_count 2
		.amdhsa_user_sgpr_dispatch_ptr 0
		.amdhsa_user_sgpr_queue_ptr 0
		.amdhsa_user_sgpr_kernarg_segment_ptr 1
		.amdhsa_user_sgpr_dispatch_id 0
		.amdhsa_user_sgpr_private_segment_size 0
		.amdhsa_wavefront_size32 1
		.amdhsa_uses_dynamic_stack 0
		.amdhsa_enable_private_segment 0
		.amdhsa_system_sgpr_workgroup_id_x 1
		.amdhsa_system_sgpr_workgroup_id_y 0
		.amdhsa_system_sgpr_workgroup_id_z 0
		.amdhsa_system_sgpr_workgroup_info 0
		.amdhsa_system_vgpr_workitem_id 0
		.amdhsa_next_free_vgpr 1
		.amdhsa_next_free_sgpr 1
		.amdhsa_reserve_vcc 0
		.amdhsa_float_round_mode_32 0
		.amdhsa_float_round_mode_16_64 0
		.amdhsa_float_denorm_mode_32 3
		.amdhsa_float_denorm_mode_16_64 3
		.amdhsa_fp16_overflow 0
		.amdhsa_workgroup_processor_mode 1
		.amdhsa_memory_ordered 1
		.amdhsa_forward_progress 1
		.amdhsa_inst_pref_size 0
		.amdhsa_round_robin_scheduling 0
		.amdhsa_exception_fp_ieee_invalid_op 0
		.amdhsa_exception_fp_denorm_src 0
		.amdhsa_exception_fp_ieee_div_zero 0
		.amdhsa_exception_fp_ieee_overflow 0
		.amdhsa_exception_fp_ieee_underflow 0
		.amdhsa_exception_fp_ieee_inexact 0
		.amdhsa_exception_int_div_zero 0
	.end_amdhsa_kernel
	.section	.text._ZN7rocprim17ROCPRIM_400000_NS6detail17trampoline_kernelINS0_14default_configENS1_36segmented_radix_sort_config_selectorI12hip_bfloat16lEEZNS1_25segmented_radix_sort_implIS3_Lb0EPKS5_PS5_PKlPlN2at6native12_GLOBAL__N_18offset_tEEE10hipError_tPvRmT1_PNSt15iterator_traitsISL_E10value_typeET2_T3_PNSM_ISR_E10value_typeET4_jRbjT5_SX_jjP12ihipStream_tbEUlT_E_NS1_11comp_targetILNS1_3genE8ELNS1_11target_archE1030ELNS1_3gpuE2ELNS1_3repE0EEENS1_30default_config_static_selectorELNS0_4arch9wavefront6targetE0EEEvSL_,"axG",@progbits,_ZN7rocprim17ROCPRIM_400000_NS6detail17trampoline_kernelINS0_14default_configENS1_36segmented_radix_sort_config_selectorI12hip_bfloat16lEEZNS1_25segmented_radix_sort_implIS3_Lb0EPKS5_PS5_PKlPlN2at6native12_GLOBAL__N_18offset_tEEE10hipError_tPvRmT1_PNSt15iterator_traitsISL_E10value_typeET2_T3_PNSM_ISR_E10value_typeET4_jRbjT5_SX_jjP12ihipStream_tbEUlT_E_NS1_11comp_targetILNS1_3genE8ELNS1_11target_archE1030ELNS1_3gpuE2ELNS1_3repE0EEENS1_30default_config_static_selectorELNS0_4arch9wavefront6targetE0EEEvSL_,comdat
.Lfunc_end2058:
	.size	_ZN7rocprim17ROCPRIM_400000_NS6detail17trampoline_kernelINS0_14default_configENS1_36segmented_radix_sort_config_selectorI12hip_bfloat16lEEZNS1_25segmented_radix_sort_implIS3_Lb0EPKS5_PS5_PKlPlN2at6native12_GLOBAL__N_18offset_tEEE10hipError_tPvRmT1_PNSt15iterator_traitsISL_E10value_typeET2_T3_PNSM_ISR_E10value_typeET4_jRbjT5_SX_jjP12ihipStream_tbEUlT_E_NS1_11comp_targetILNS1_3genE8ELNS1_11target_archE1030ELNS1_3gpuE2ELNS1_3repE0EEENS1_30default_config_static_selectorELNS0_4arch9wavefront6targetE0EEEvSL_, .Lfunc_end2058-_ZN7rocprim17ROCPRIM_400000_NS6detail17trampoline_kernelINS0_14default_configENS1_36segmented_radix_sort_config_selectorI12hip_bfloat16lEEZNS1_25segmented_radix_sort_implIS3_Lb0EPKS5_PS5_PKlPlN2at6native12_GLOBAL__N_18offset_tEEE10hipError_tPvRmT1_PNSt15iterator_traitsISL_E10value_typeET2_T3_PNSM_ISR_E10value_typeET4_jRbjT5_SX_jjP12ihipStream_tbEUlT_E_NS1_11comp_targetILNS1_3genE8ELNS1_11target_archE1030ELNS1_3gpuE2ELNS1_3repE0EEENS1_30default_config_static_selectorELNS0_4arch9wavefront6targetE0EEEvSL_
                                        ; -- End function
	.set _ZN7rocprim17ROCPRIM_400000_NS6detail17trampoline_kernelINS0_14default_configENS1_36segmented_radix_sort_config_selectorI12hip_bfloat16lEEZNS1_25segmented_radix_sort_implIS3_Lb0EPKS5_PS5_PKlPlN2at6native12_GLOBAL__N_18offset_tEEE10hipError_tPvRmT1_PNSt15iterator_traitsISL_E10value_typeET2_T3_PNSM_ISR_E10value_typeET4_jRbjT5_SX_jjP12ihipStream_tbEUlT_E_NS1_11comp_targetILNS1_3genE8ELNS1_11target_archE1030ELNS1_3gpuE2ELNS1_3repE0EEENS1_30default_config_static_selectorELNS0_4arch9wavefront6targetE0EEEvSL_.num_vgpr, 0
	.set _ZN7rocprim17ROCPRIM_400000_NS6detail17trampoline_kernelINS0_14default_configENS1_36segmented_radix_sort_config_selectorI12hip_bfloat16lEEZNS1_25segmented_radix_sort_implIS3_Lb0EPKS5_PS5_PKlPlN2at6native12_GLOBAL__N_18offset_tEEE10hipError_tPvRmT1_PNSt15iterator_traitsISL_E10value_typeET2_T3_PNSM_ISR_E10value_typeET4_jRbjT5_SX_jjP12ihipStream_tbEUlT_E_NS1_11comp_targetILNS1_3genE8ELNS1_11target_archE1030ELNS1_3gpuE2ELNS1_3repE0EEENS1_30default_config_static_selectorELNS0_4arch9wavefront6targetE0EEEvSL_.num_agpr, 0
	.set _ZN7rocprim17ROCPRIM_400000_NS6detail17trampoline_kernelINS0_14default_configENS1_36segmented_radix_sort_config_selectorI12hip_bfloat16lEEZNS1_25segmented_radix_sort_implIS3_Lb0EPKS5_PS5_PKlPlN2at6native12_GLOBAL__N_18offset_tEEE10hipError_tPvRmT1_PNSt15iterator_traitsISL_E10value_typeET2_T3_PNSM_ISR_E10value_typeET4_jRbjT5_SX_jjP12ihipStream_tbEUlT_E_NS1_11comp_targetILNS1_3genE8ELNS1_11target_archE1030ELNS1_3gpuE2ELNS1_3repE0EEENS1_30default_config_static_selectorELNS0_4arch9wavefront6targetE0EEEvSL_.numbered_sgpr, 0
	.set _ZN7rocprim17ROCPRIM_400000_NS6detail17trampoline_kernelINS0_14default_configENS1_36segmented_radix_sort_config_selectorI12hip_bfloat16lEEZNS1_25segmented_radix_sort_implIS3_Lb0EPKS5_PS5_PKlPlN2at6native12_GLOBAL__N_18offset_tEEE10hipError_tPvRmT1_PNSt15iterator_traitsISL_E10value_typeET2_T3_PNSM_ISR_E10value_typeET4_jRbjT5_SX_jjP12ihipStream_tbEUlT_E_NS1_11comp_targetILNS1_3genE8ELNS1_11target_archE1030ELNS1_3gpuE2ELNS1_3repE0EEENS1_30default_config_static_selectorELNS0_4arch9wavefront6targetE0EEEvSL_.num_named_barrier, 0
	.set _ZN7rocprim17ROCPRIM_400000_NS6detail17trampoline_kernelINS0_14default_configENS1_36segmented_radix_sort_config_selectorI12hip_bfloat16lEEZNS1_25segmented_radix_sort_implIS3_Lb0EPKS5_PS5_PKlPlN2at6native12_GLOBAL__N_18offset_tEEE10hipError_tPvRmT1_PNSt15iterator_traitsISL_E10value_typeET2_T3_PNSM_ISR_E10value_typeET4_jRbjT5_SX_jjP12ihipStream_tbEUlT_E_NS1_11comp_targetILNS1_3genE8ELNS1_11target_archE1030ELNS1_3gpuE2ELNS1_3repE0EEENS1_30default_config_static_selectorELNS0_4arch9wavefront6targetE0EEEvSL_.private_seg_size, 0
	.set _ZN7rocprim17ROCPRIM_400000_NS6detail17trampoline_kernelINS0_14default_configENS1_36segmented_radix_sort_config_selectorI12hip_bfloat16lEEZNS1_25segmented_radix_sort_implIS3_Lb0EPKS5_PS5_PKlPlN2at6native12_GLOBAL__N_18offset_tEEE10hipError_tPvRmT1_PNSt15iterator_traitsISL_E10value_typeET2_T3_PNSM_ISR_E10value_typeET4_jRbjT5_SX_jjP12ihipStream_tbEUlT_E_NS1_11comp_targetILNS1_3genE8ELNS1_11target_archE1030ELNS1_3gpuE2ELNS1_3repE0EEENS1_30default_config_static_selectorELNS0_4arch9wavefront6targetE0EEEvSL_.uses_vcc, 0
	.set _ZN7rocprim17ROCPRIM_400000_NS6detail17trampoline_kernelINS0_14default_configENS1_36segmented_radix_sort_config_selectorI12hip_bfloat16lEEZNS1_25segmented_radix_sort_implIS3_Lb0EPKS5_PS5_PKlPlN2at6native12_GLOBAL__N_18offset_tEEE10hipError_tPvRmT1_PNSt15iterator_traitsISL_E10value_typeET2_T3_PNSM_ISR_E10value_typeET4_jRbjT5_SX_jjP12ihipStream_tbEUlT_E_NS1_11comp_targetILNS1_3genE8ELNS1_11target_archE1030ELNS1_3gpuE2ELNS1_3repE0EEENS1_30default_config_static_selectorELNS0_4arch9wavefront6targetE0EEEvSL_.uses_flat_scratch, 0
	.set _ZN7rocprim17ROCPRIM_400000_NS6detail17trampoline_kernelINS0_14default_configENS1_36segmented_radix_sort_config_selectorI12hip_bfloat16lEEZNS1_25segmented_radix_sort_implIS3_Lb0EPKS5_PS5_PKlPlN2at6native12_GLOBAL__N_18offset_tEEE10hipError_tPvRmT1_PNSt15iterator_traitsISL_E10value_typeET2_T3_PNSM_ISR_E10value_typeET4_jRbjT5_SX_jjP12ihipStream_tbEUlT_E_NS1_11comp_targetILNS1_3genE8ELNS1_11target_archE1030ELNS1_3gpuE2ELNS1_3repE0EEENS1_30default_config_static_selectorELNS0_4arch9wavefront6targetE0EEEvSL_.has_dyn_sized_stack, 0
	.set _ZN7rocprim17ROCPRIM_400000_NS6detail17trampoline_kernelINS0_14default_configENS1_36segmented_radix_sort_config_selectorI12hip_bfloat16lEEZNS1_25segmented_radix_sort_implIS3_Lb0EPKS5_PS5_PKlPlN2at6native12_GLOBAL__N_18offset_tEEE10hipError_tPvRmT1_PNSt15iterator_traitsISL_E10value_typeET2_T3_PNSM_ISR_E10value_typeET4_jRbjT5_SX_jjP12ihipStream_tbEUlT_E_NS1_11comp_targetILNS1_3genE8ELNS1_11target_archE1030ELNS1_3gpuE2ELNS1_3repE0EEENS1_30default_config_static_selectorELNS0_4arch9wavefront6targetE0EEEvSL_.has_recursion, 0
	.set _ZN7rocprim17ROCPRIM_400000_NS6detail17trampoline_kernelINS0_14default_configENS1_36segmented_radix_sort_config_selectorI12hip_bfloat16lEEZNS1_25segmented_radix_sort_implIS3_Lb0EPKS5_PS5_PKlPlN2at6native12_GLOBAL__N_18offset_tEEE10hipError_tPvRmT1_PNSt15iterator_traitsISL_E10value_typeET2_T3_PNSM_ISR_E10value_typeET4_jRbjT5_SX_jjP12ihipStream_tbEUlT_E_NS1_11comp_targetILNS1_3genE8ELNS1_11target_archE1030ELNS1_3gpuE2ELNS1_3repE0EEENS1_30default_config_static_selectorELNS0_4arch9wavefront6targetE0EEEvSL_.has_indirect_call, 0
	.section	.AMDGPU.csdata,"",@progbits
; Kernel info:
; codeLenInByte = 0
; TotalNumSgprs: 0
; NumVgprs: 0
; ScratchSize: 0
; MemoryBound: 0
; FloatMode: 240
; IeeeMode: 1
; LDSByteSize: 0 bytes/workgroup (compile time only)
; SGPRBlocks: 0
; VGPRBlocks: 0
; NumSGPRsForWavesPerEU: 1
; NumVGPRsForWavesPerEU: 1
; Occupancy: 16
; WaveLimiterHint : 0
; COMPUTE_PGM_RSRC2:SCRATCH_EN: 0
; COMPUTE_PGM_RSRC2:USER_SGPR: 2
; COMPUTE_PGM_RSRC2:TRAP_HANDLER: 0
; COMPUTE_PGM_RSRC2:TGID_X_EN: 1
; COMPUTE_PGM_RSRC2:TGID_Y_EN: 0
; COMPUTE_PGM_RSRC2:TGID_Z_EN: 0
; COMPUTE_PGM_RSRC2:TIDIG_COMP_CNT: 0
	.section	.text._ZN7rocprim17ROCPRIM_400000_NS6detail17trampoline_kernelINS0_14default_configENS1_36segmented_radix_sort_config_selectorI12hip_bfloat16lEEZNS1_25segmented_radix_sort_implIS3_Lb0EPKS5_PS5_PKlPlN2at6native12_GLOBAL__N_18offset_tEEE10hipError_tPvRmT1_PNSt15iterator_traitsISL_E10value_typeET2_T3_PNSM_ISR_E10value_typeET4_jRbjT5_SX_jjP12ihipStream_tbEUlT_E0_NS1_11comp_targetILNS1_3genE0ELNS1_11target_archE4294967295ELNS1_3gpuE0ELNS1_3repE0EEENS1_60segmented_radix_sort_warp_sort_medium_config_static_selectorELNS0_4arch9wavefront6targetE0EEEvSL_,"axG",@progbits,_ZN7rocprim17ROCPRIM_400000_NS6detail17trampoline_kernelINS0_14default_configENS1_36segmented_radix_sort_config_selectorI12hip_bfloat16lEEZNS1_25segmented_radix_sort_implIS3_Lb0EPKS5_PS5_PKlPlN2at6native12_GLOBAL__N_18offset_tEEE10hipError_tPvRmT1_PNSt15iterator_traitsISL_E10value_typeET2_T3_PNSM_ISR_E10value_typeET4_jRbjT5_SX_jjP12ihipStream_tbEUlT_E0_NS1_11comp_targetILNS1_3genE0ELNS1_11target_archE4294967295ELNS1_3gpuE0ELNS1_3repE0EEENS1_60segmented_radix_sort_warp_sort_medium_config_static_selectorELNS0_4arch9wavefront6targetE0EEEvSL_,comdat
	.globl	_ZN7rocprim17ROCPRIM_400000_NS6detail17trampoline_kernelINS0_14default_configENS1_36segmented_radix_sort_config_selectorI12hip_bfloat16lEEZNS1_25segmented_radix_sort_implIS3_Lb0EPKS5_PS5_PKlPlN2at6native12_GLOBAL__N_18offset_tEEE10hipError_tPvRmT1_PNSt15iterator_traitsISL_E10value_typeET2_T3_PNSM_ISR_E10value_typeET4_jRbjT5_SX_jjP12ihipStream_tbEUlT_E0_NS1_11comp_targetILNS1_3genE0ELNS1_11target_archE4294967295ELNS1_3gpuE0ELNS1_3repE0EEENS1_60segmented_radix_sort_warp_sort_medium_config_static_selectorELNS0_4arch9wavefront6targetE0EEEvSL_ ; -- Begin function _ZN7rocprim17ROCPRIM_400000_NS6detail17trampoline_kernelINS0_14default_configENS1_36segmented_radix_sort_config_selectorI12hip_bfloat16lEEZNS1_25segmented_radix_sort_implIS3_Lb0EPKS5_PS5_PKlPlN2at6native12_GLOBAL__N_18offset_tEEE10hipError_tPvRmT1_PNSt15iterator_traitsISL_E10value_typeET2_T3_PNSM_ISR_E10value_typeET4_jRbjT5_SX_jjP12ihipStream_tbEUlT_E0_NS1_11comp_targetILNS1_3genE0ELNS1_11target_archE4294967295ELNS1_3gpuE0ELNS1_3repE0EEENS1_60segmented_radix_sort_warp_sort_medium_config_static_selectorELNS0_4arch9wavefront6targetE0EEEvSL_
	.p2align	8
	.type	_ZN7rocprim17ROCPRIM_400000_NS6detail17trampoline_kernelINS0_14default_configENS1_36segmented_radix_sort_config_selectorI12hip_bfloat16lEEZNS1_25segmented_radix_sort_implIS3_Lb0EPKS5_PS5_PKlPlN2at6native12_GLOBAL__N_18offset_tEEE10hipError_tPvRmT1_PNSt15iterator_traitsISL_E10value_typeET2_T3_PNSM_ISR_E10value_typeET4_jRbjT5_SX_jjP12ihipStream_tbEUlT_E0_NS1_11comp_targetILNS1_3genE0ELNS1_11target_archE4294967295ELNS1_3gpuE0ELNS1_3repE0EEENS1_60segmented_radix_sort_warp_sort_medium_config_static_selectorELNS0_4arch9wavefront6targetE0EEEvSL_,@function
_ZN7rocprim17ROCPRIM_400000_NS6detail17trampoline_kernelINS0_14default_configENS1_36segmented_radix_sort_config_selectorI12hip_bfloat16lEEZNS1_25segmented_radix_sort_implIS3_Lb0EPKS5_PS5_PKlPlN2at6native12_GLOBAL__N_18offset_tEEE10hipError_tPvRmT1_PNSt15iterator_traitsISL_E10value_typeET2_T3_PNSM_ISR_E10value_typeET4_jRbjT5_SX_jjP12ihipStream_tbEUlT_E0_NS1_11comp_targetILNS1_3genE0ELNS1_11target_archE4294967295ELNS1_3gpuE0ELNS1_3repE0EEENS1_60segmented_radix_sort_warp_sort_medium_config_static_selectorELNS0_4arch9wavefront6targetE0EEEvSL_: ; @_ZN7rocprim17ROCPRIM_400000_NS6detail17trampoline_kernelINS0_14default_configENS1_36segmented_radix_sort_config_selectorI12hip_bfloat16lEEZNS1_25segmented_radix_sort_implIS3_Lb0EPKS5_PS5_PKlPlN2at6native12_GLOBAL__N_18offset_tEEE10hipError_tPvRmT1_PNSt15iterator_traitsISL_E10value_typeET2_T3_PNSM_ISR_E10value_typeET4_jRbjT5_SX_jjP12ihipStream_tbEUlT_E0_NS1_11comp_targetILNS1_3genE0ELNS1_11target_archE4294967295ELNS1_3gpuE0ELNS1_3repE0EEENS1_60segmented_radix_sort_warp_sort_medium_config_static_selectorELNS0_4arch9wavefront6targetE0EEEvSL_
; %bb.0:
	.section	.rodata,"a",@progbits
	.p2align	6, 0x0
	.amdhsa_kernel _ZN7rocprim17ROCPRIM_400000_NS6detail17trampoline_kernelINS0_14default_configENS1_36segmented_radix_sort_config_selectorI12hip_bfloat16lEEZNS1_25segmented_radix_sort_implIS3_Lb0EPKS5_PS5_PKlPlN2at6native12_GLOBAL__N_18offset_tEEE10hipError_tPvRmT1_PNSt15iterator_traitsISL_E10value_typeET2_T3_PNSM_ISR_E10value_typeET4_jRbjT5_SX_jjP12ihipStream_tbEUlT_E0_NS1_11comp_targetILNS1_3genE0ELNS1_11target_archE4294967295ELNS1_3gpuE0ELNS1_3repE0EEENS1_60segmented_radix_sort_warp_sort_medium_config_static_selectorELNS0_4arch9wavefront6targetE0EEEvSL_
		.amdhsa_group_segment_fixed_size 0
		.amdhsa_private_segment_fixed_size 0
		.amdhsa_kernarg_size 88
		.amdhsa_user_sgpr_count 2
		.amdhsa_user_sgpr_dispatch_ptr 0
		.amdhsa_user_sgpr_queue_ptr 0
		.amdhsa_user_sgpr_kernarg_segment_ptr 1
		.amdhsa_user_sgpr_dispatch_id 0
		.amdhsa_user_sgpr_private_segment_size 0
		.amdhsa_wavefront_size32 1
		.amdhsa_uses_dynamic_stack 0
		.amdhsa_enable_private_segment 0
		.amdhsa_system_sgpr_workgroup_id_x 1
		.amdhsa_system_sgpr_workgroup_id_y 0
		.amdhsa_system_sgpr_workgroup_id_z 0
		.amdhsa_system_sgpr_workgroup_info 0
		.amdhsa_system_vgpr_workitem_id 0
		.amdhsa_next_free_vgpr 1
		.amdhsa_next_free_sgpr 1
		.amdhsa_reserve_vcc 0
		.amdhsa_float_round_mode_32 0
		.amdhsa_float_round_mode_16_64 0
		.amdhsa_float_denorm_mode_32 3
		.amdhsa_float_denorm_mode_16_64 3
		.amdhsa_fp16_overflow 0
		.amdhsa_workgroup_processor_mode 1
		.amdhsa_memory_ordered 1
		.amdhsa_forward_progress 1
		.amdhsa_inst_pref_size 0
		.amdhsa_round_robin_scheduling 0
		.amdhsa_exception_fp_ieee_invalid_op 0
		.amdhsa_exception_fp_denorm_src 0
		.amdhsa_exception_fp_ieee_div_zero 0
		.amdhsa_exception_fp_ieee_overflow 0
		.amdhsa_exception_fp_ieee_underflow 0
		.amdhsa_exception_fp_ieee_inexact 0
		.amdhsa_exception_int_div_zero 0
	.end_amdhsa_kernel
	.section	.text._ZN7rocprim17ROCPRIM_400000_NS6detail17trampoline_kernelINS0_14default_configENS1_36segmented_radix_sort_config_selectorI12hip_bfloat16lEEZNS1_25segmented_radix_sort_implIS3_Lb0EPKS5_PS5_PKlPlN2at6native12_GLOBAL__N_18offset_tEEE10hipError_tPvRmT1_PNSt15iterator_traitsISL_E10value_typeET2_T3_PNSM_ISR_E10value_typeET4_jRbjT5_SX_jjP12ihipStream_tbEUlT_E0_NS1_11comp_targetILNS1_3genE0ELNS1_11target_archE4294967295ELNS1_3gpuE0ELNS1_3repE0EEENS1_60segmented_radix_sort_warp_sort_medium_config_static_selectorELNS0_4arch9wavefront6targetE0EEEvSL_,"axG",@progbits,_ZN7rocprim17ROCPRIM_400000_NS6detail17trampoline_kernelINS0_14default_configENS1_36segmented_radix_sort_config_selectorI12hip_bfloat16lEEZNS1_25segmented_radix_sort_implIS3_Lb0EPKS5_PS5_PKlPlN2at6native12_GLOBAL__N_18offset_tEEE10hipError_tPvRmT1_PNSt15iterator_traitsISL_E10value_typeET2_T3_PNSM_ISR_E10value_typeET4_jRbjT5_SX_jjP12ihipStream_tbEUlT_E0_NS1_11comp_targetILNS1_3genE0ELNS1_11target_archE4294967295ELNS1_3gpuE0ELNS1_3repE0EEENS1_60segmented_radix_sort_warp_sort_medium_config_static_selectorELNS0_4arch9wavefront6targetE0EEEvSL_,comdat
.Lfunc_end2059:
	.size	_ZN7rocprim17ROCPRIM_400000_NS6detail17trampoline_kernelINS0_14default_configENS1_36segmented_radix_sort_config_selectorI12hip_bfloat16lEEZNS1_25segmented_radix_sort_implIS3_Lb0EPKS5_PS5_PKlPlN2at6native12_GLOBAL__N_18offset_tEEE10hipError_tPvRmT1_PNSt15iterator_traitsISL_E10value_typeET2_T3_PNSM_ISR_E10value_typeET4_jRbjT5_SX_jjP12ihipStream_tbEUlT_E0_NS1_11comp_targetILNS1_3genE0ELNS1_11target_archE4294967295ELNS1_3gpuE0ELNS1_3repE0EEENS1_60segmented_radix_sort_warp_sort_medium_config_static_selectorELNS0_4arch9wavefront6targetE0EEEvSL_, .Lfunc_end2059-_ZN7rocprim17ROCPRIM_400000_NS6detail17trampoline_kernelINS0_14default_configENS1_36segmented_radix_sort_config_selectorI12hip_bfloat16lEEZNS1_25segmented_radix_sort_implIS3_Lb0EPKS5_PS5_PKlPlN2at6native12_GLOBAL__N_18offset_tEEE10hipError_tPvRmT1_PNSt15iterator_traitsISL_E10value_typeET2_T3_PNSM_ISR_E10value_typeET4_jRbjT5_SX_jjP12ihipStream_tbEUlT_E0_NS1_11comp_targetILNS1_3genE0ELNS1_11target_archE4294967295ELNS1_3gpuE0ELNS1_3repE0EEENS1_60segmented_radix_sort_warp_sort_medium_config_static_selectorELNS0_4arch9wavefront6targetE0EEEvSL_
                                        ; -- End function
	.set _ZN7rocprim17ROCPRIM_400000_NS6detail17trampoline_kernelINS0_14default_configENS1_36segmented_radix_sort_config_selectorI12hip_bfloat16lEEZNS1_25segmented_radix_sort_implIS3_Lb0EPKS5_PS5_PKlPlN2at6native12_GLOBAL__N_18offset_tEEE10hipError_tPvRmT1_PNSt15iterator_traitsISL_E10value_typeET2_T3_PNSM_ISR_E10value_typeET4_jRbjT5_SX_jjP12ihipStream_tbEUlT_E0_NS1_11comp_targetILNS1_3genE0ELNS1_11target_archE4294967295ELNS1_3gpuE0ELNS1_3repE0EEENS1_60segmented_radix_sort_warp_sort_medium_config_static_selectorELNS0_4arch9wavefront6targetE0EEEvSL_.num_vgpr, 0
	.set _ZN7rocprim17ROCPRIM_400000_NS6detail17trampoline_kernelINS0_14default_configENS1_36segmented_radix_sort_config_selectorI12hip_bfloat16lEEZNS1_25segmented_radix_sort_implIS3_Lb0EPKS5_PS5_PKlPlN2at6native12_GLOBAL__N_18offset_tEEE10hipError_tPvRmT1_PNSt15iterator_traitsISL_E10value_typeET2_T3_PNSM_ISR_E10value_typeET4_jRbjT5_SX_jjP12ihipStream_tbEUlT_E0_NS1_11comp_targetILNS1_3genE0ELNS1_11target_archE4294967295ELNS1_3gpuE0ELNS1_3repE0EEENS1_60segmented_radix_sort_warp_sort_medium_config_static_selectorELNS0_4arch9wavefront6targetE0EEEvSL_.num_agpr, 0
	.set _ZN7rocprim17ROCPRIM_400000_NS6detail17trampoline_kernelINS0_14default_configENS1_36segmented_radix_sort_config_selectorI12hip_bfloat16lEEZNS1_25segmented_radix_sort_implIS3_Lb0EPKS5_PS5_PKlPlN2at6native12_GLOBAL__N_18offset_tEEE10hipError_tPvRmT1_PNSt15iterator_traitsISL_E10value_typeET2_T3_PNSM_ISR_E10value_typeET4_jRbjT5_SX_jjP12ihipStream_tbEUlT_E0_NS1_11comp_targetILNS1_3genE0ELNS1_11target_archE4294967295ELNS1_3gpuE0ELNS1_3repE0EEENS1_60segmented_radix_sort_warp_sort_medium_config_static_selectorELNS0_4arch9wavefront6targetE0EEEvSL_.numbered_sgpr, 0
	.set _ZN7rocprim17ROCPRIM_400000_NS6detail17trampoline_kernelINS0_14default_configENS1_36segmented_radix_sort_config_selectorI12hip_bfloat16lEEZNS1_25segmented_radix_sort_implIS3_Lb0EPKS5_PS5_PKlPlN2at6native12_GLOBAL__N_18offset_tEEE10hipError_tPvRmT1_PNSt15iterator_traitsISL_E10value_typeET2_T3_PNSM_ISR_E10value_typeET4_jRbjT5_SX_jjP12ihipStream_tbEUlT_E0_NS1_11comp_targetILNS1_3genE0ELNS1_11target_archE4294967295ELNS1_3gpuE0ELNS1_3repE0EEENS1_60segmented_radix_sort_warp_sort_medium_config_static_selectorELNS0_4arch9wavefront6targetE0EEEvSL_.num_named_barrier, 0
	.set _ZN7rocprim17ROCPRIM_400000_NS6detail17trampoline_kernelINS0_14default_configENS1_36segmented_radix_sort_config_selectorI12hip_bfloat16lEEZNS1_25segmented_radix_sort_implIS3_Lb0EPKS5_PS5_PKlPlN2at6native12_GLOBAL__N_18offset_tEEE10hipError_tPvRmT1_PNSt15iterator_traitsISL_E10value_typeET2_T3_PNSM_ISR_E10value_typeET4_jRbjT5_SX_jjP12ihipStream_tbEUlT_E0_NS1_11comp_targetILNS1_3genE0ELNS1_11target_archE4294967295ELNS1_3gpuE0ELNS1_3repE0EEENS1_60segmented_radix_sort_warp_sort_medium_config_static_selectorELNS0_4arch9wavefront6targetE0EEEvSL_.private_seg_size, 0
	.set _ZN7rocprim17ROCPRIM_400000_NS6detail17trampoline_kernelINS0_14default_configENS1_36segmented_radix_sort_config_selectorI12hip_bfloat16lEEZNS1_25segmented_radix_sort_implIS3_Lb0EPKS5_PS5_PKlPlN2at6native12_GLOBAL__N_18offset_tEEE10hipError_tPvRmT1_PNSt15iterator_traitsISL_E10value_typeET2_T3_PNSM_ISR_E10value_typeET4_jRbjT5_SX_jjP12ihipStream_tbEUlT_E0_NS1_11comp_targetILNS1_3genE0ELNS1_11target_archE4294967295ELNS1_3gpuE0ELNS1_3repE0EEENS1_60segmented_radix_sort_warp_sort_medium_config_static_selectorELNS0_4arch9wavefront6targetE0EEEvSL_.uses_vcc, 0
	.set _ZN7rocprim17ROCPRIM_400000_NS6detail17trampoline_kernelINS0_14default_configENS1_36segmented_radix_sort_config_selectorI12hip_bfloat16lEEZNS1_25segmented_radix_sort_implIS3_Lb0EPKS5_PS5_PKlPlN2at6native12_GLOBAL__N_18offset_tEEE10hipError_tPvRmT1_PNSt15iterator_traitsISL_E10value_typeET2_T3_PNSM_ISR_E10value_typeET4_jRbjT5_SX_jjP12ihipStream_tbEUlT_E0_NS1_11comp_targetILNS1_3genE0ELNS1_11target_archE4294967295ELNS1_3gpuE0ELNS1_3repE0EEENS1_60segmented_radix_sort_warp_sort_medium_config_static_selectorELNS0_4arch9wavefront6targetE0EEEvSL_.uses_flat_scratch, 0
	.set _ZN7rocprim17ROCPRIM_400000_NS6detail17trampoline_kernelINS0_14default_configENS1_36segmented_radix_sort_config_selectorI12hip_bfloat16lEEZNS1_25segmented_radix_sort_implIS3_Lb0EPKS5_PS5_PKlPlN2at6native12_GLOBAL__N_18offset_tEEE10hipError_tPvRmT1_PNSt15iterator_traitsISL_E10value_typeET2_T3_PNSM_ISR_E10value_typeET4_jRbjT5_SX_jjP12ihipStream_tbEUlT_E0_NS1_11comp_targetILNS1_3genE0ELNS1_11target_archE4294967295ELNS1_3gpuE0ELNS1_3repE0EEENS1_60segmented_radix_sort_warp_sort_medium_config_static_selectorELNS0_4arch9wavefront6targetE0EEEvSL_.has_dyn_sized_stack, 0
	.set _ZN7rocprim17ROCPRIM_400000_NS6detail17trampoline_kernelINS0_14default_configENS1_36segmented_radix_sort_config_selectorI12hip_bfloat16lEEZNS1_25segmented_radix_sort_implIS3_Lb0EPKS5_PS5_PKlPlN2at6native12_GLOBAL__N_18offset_tEEE10hipError_tPvRmT1_PNSt15iterator_traitsISL_E10value_typeET2_T3_PNSM_ISR_E10value_typeET4_jRbjT5_SX_jjP12ihipStream_tbEUlT_E0_NS1_11comp_targetILNS1_3genE0ELNS1_11target_archE4294967295ELNS1_3gpuE0ELNS1_3repE0EEENS1_60segmented_radix_sort_warp_sort_medium_config_static_selectorELNS0_4arch9wavefront6targetE0EEEvSL_.has_recursion, 0
	.set _ZN7rocprim17ROCPRIM_400000_NS6detail17trampoline_kernelINS0_14default_configENS1_36segmented_radix_sort_config_selectorI12hip_bfloat16lEEZNS1_25segmented_radix_sort_implIS3_Lb0EPKS5_PS5_PKlPlN2at6native12_GLOBAL__N_18offset_tEEE10hipError_tPvRmT1_PNSt15iterator_traitsISL_E10value_typeET2_T3_PNSM_ISR_E10value_typeET4_jRbjT5_SX_jjP12ihipStream_tbEUlT_E0_NS1_11comp_targetILNS1_3genE0ELNS1_11target_archE4294967295ELNS1_3gpuE0ELNS1_3repE0EEENS1_60segmented_radix_sort_warp_sort_medium_config_static_selectorELNS0_4arch9wavefront6targetE0EEEvSL_.has_indirect_call, 0
	.section	.AMDGPU.csdata,"",@progbits
; Kernel info:
; codeLenInByte = 0
; TotalNumSgprs: 0
; NumVgprs: 0
; ScratchSize: 0
; MemoryBound: 0
; FloatMode: 240
; IeeeMode: 1
; LDSByteSize: 0 bytes/workgroup (compile time only)
; SGPRBlocks: 0
; VGPRBlocks: 0
; NumSGPRsForWavesPerEU: 1
; NumVGPRsForWavesPerEU: 1
; Occupancy: 16
; WaveLimiterHint : 0
; COMPUTE_PGM_RSRC2:SCRATCH_EN: 0
; COMPUTE_PGM_RSRC2:USER_SGPR: 2
; COMPUTE_PGM_RSRC2:TRAP_HANDLER: 0
; COMPUTE_PGM_RSRC2:TGID_X_EN: 1
; COMPUTE_PGM_RSRC2:TGID_Y_EN: 0
; COMPUTE_PGM_RSRC2:TGID_Z_EN: 0
; COMPUTE_PGM_RSRC2:TIDIG_COMP_CNT: 0
	.section	.text._ZN7rocprim17ROCPRIM_400000_NS6detail17trampoline_kernelINS0_14default_configENS1_36segmented_radix_sort_config_selectorI12hip_bfloat16lEEZNS1_25segmented_radix_sort_implIS3_Lb0EPKS5_PS5_PKlPlN2at6native12_GLOBAL__N_18offset_tEEE10hipError_tPvRmT1_PNSt15iterator_traitsISL_E10value_typeET2_T3_PNSM_ISR_E10value_typeET4_jRbjT5_SX_jjP12ihipStream_tbEUlT_E0_NS1_11comp_targetILNS1_3genE5ELNS1_11target_archE942ELNS1_3gpuE9ELNS1_3repE0EEENS1_60segmented_radix_sort_warp_sort_medium_config_static_selectorELNS0_4arch9wavefront6targetE0EEEvSL_,"axG",@progbits,_ZN7rocprim17ROCPRIM_400000_NS6detail17trampoline_kernelINS0_14default_configENS1_36segmented_radix_sort_config_selectorI12hip_bfloat16lEEZNS1_25segmented_radix_sort_implIS3_Lb0EPKS5_PS5_PKlPlN2at6native12_GLOBAL__N_18offset_tEEE10hipError_tPvRmT1_PNSt15iterator_traitsISL_E10value_typeET2_T3_PNSM_ISR_E10value_typeET4_jRbjT5_SX_jjP12ihipStream_tbEUlT_E0_NS1_11comp_targetILNS1_3genE5ELNS1_11target_archE942ELNS1_3gpuE9ELNS1_3repE0EEENS1_60segmented_radix_sort_warp_sort_medium_config_static_selectorELNS0_4arch9wavefront6targetE0EEEvSL_,comdat
	.globl	_ZN7rocprim17ROCPRIM_400000_NS6detail17trampoline_kernelINS0_14default_configENS1_36segmented_radix_sort_config_selectorI12hip_bfloat16lEEZNS1_25segmented_radix_sort_implIS3_Lb0EPKS5_PS5_PKlPlN2at6native12_GLOBAL__N_18offset_tEEE10hipError_tPvRmT1_PNSt15iterator_traitsISL_E10value_typeET2_T3_PNSM_ISR_E10value_typeET4_jRbjT5_SX_jjP12ihipStream_tbEUlT_E0_NS1_11comp_targetILNS1_3genE5ELNS1_11target_archE942ELNS1_3gpuE9ELNS1_3repE0EEENS1_60segmented_radix_sort_warp_sort_medium_config_static_selectorELNS0_4arch9wavefront6targetE0EEEvSL_ ; -- Begin function _ZN7rocprim17ROCPRIM_400000_NS6detail17trampoline_kernelINS0_14default_configENS1_36segmented_radix_sort_config_selectorI12hip_bfloat16lEEZNS1_25segmented_radix_sort_implIS3_Lb0EPKS5_PS5_PKlPlN2at6native12_GLOBAL__N_18offset_tEEE10hipError_tPvRmT1_PNSt15iterator_traitsISL_E10value_typeET2_T3_PNSM_ISR_E10value_typeET4_jRbjT5_SX_jjP12ihipStream_tbEUlT_E0_NS1_11comp_targetILNS1_3genE5ELNS1_11target_archE942ELNS1_3gpuE9ELNS1_3repE0EEENS1_60segmented_radix_sort_warp_sort_medium_config_static_selectorELNS0_4arch9wavefront6targetE0EEEvSL_
	.p2align	8
	.type	_ZN7rocprim17ROCPRIM_400000_NS6detail17trampoline_kernelINS0_14default_configENS1_36segmented_radix_sort_config_selectorI12hip_bfloat16lEEZNS1_25segmented_radix_sort_implIS3_Lb0EPKS5_PS5_PKlPlN2at6native12_GLOBAL__N_18offset_tEEE10hipError_tPvRmT1_PNSt15iterator_traitsISL_E10value_typeET2_T3_PNSM_ISR_E10value_typeET4_jRbjT5_SX_jjP12ihipStream_tbEUlT_E0_NS1_11comp_targetILNS1_3genE5ELNS1_11target_archE942ELNS1_3gpuE9ELNS1_3repE0EEENS1_60segmented_radix_sort_warp_sort_medium_config_static_selectorELNS0_4arch9wavefront6targetE0EEEvSL_,@function
_ZN7rocprim17ROCPRIM_400000_NS6detail17trampoline_kernelINS0_14default_configENS1_36segmented_radix_sort_config_selectorI12hip_bfloat16lEEZNS1_25segmented_radix_sort_implIS3_Lb0EPKS5_PS5_PKlPlN2at6native12_GLOBAL__N_18offset_tEEE10hipError_tPvRmT1_PNSt15iterator_traitsISL_E10value_typeET2_T3_PNSM_ISR_E10value_typeET4_jRbjT5_SX_jjP12ihipStream_tbEUlT_E0_NS1_11comp_targetILNS1_3genE5ELNS1_11target_archE942ELNS1_3gpuE9ELNS1_3repE0EEENS1_60segmented_radix_sort_warp_sort_medium_config_static_selectorELNS0_4arch9wavefront6targetE0EEEvSL_: ; @_ZN7rocprim17ROCPRIM_400000_NS6detail17trampoline_kernelINS0_14default_configENS1_36segmented_radix_sort_config_selectorI12hip_bfloat16lEEZNS1_25segmented_radix_sort_implIS3_Lb0EPKS5_PS5_PKlPlN2at6native12_GLOBAL__N_18offset_tEEE10hipError_tPvRmT1_PNSt15iterator_traitsISL_E10value_typeET2_T3_PNSM_ISR_E10value_typeET4_jRbjT5_SX_jjP12ihipStream_tbEUlT_E0_NS1_11comp_targetILNS1_3genE5ELNS1_11target_archE942ELNS1_3gpuE9ELNS1_3repE0EEENS1_60segmented_radix_sort_warp_sort_medium_config_static_selectorELNS0_4arch9wavefront6targetE0EEEvSL_
; %bb.0:
	.section	.rodata,"a",@progbits
	.p2align	6, 0x0
	.amdhsa_kernel _ZN7rocprim17ROCPRIM_400000_NS6detail17trampoline_kernelINS0_14default_configENS1_36segmented_radix_sort_config_selectorI12hip_bfloat16lEEZNS1_25segmented_radix_sort_implIS3_Lb0EPKS5_PS5_PKlPlN2at6native12_GLOBAL__N_18offset_tEEE10hipError_tPvRmT1_PNSt15iterator_traitsISL_E10value_typeET2_T3_PNSM_ISR_E10value_typeET4_jRbjT5_SX_jjP12ihipStream_tbEUlT_E0_NS1_11comp_targetILNS1_3genE5ELNS1_11target_archE942ELNS1_3gpuE9ELNS1_3repE0EEENS1_60segmented_radix_sort_warp_sort_medium_config_static_selectorELNS0_4arch9wavefront6targetE0EEEvSL_
		.amdhsa_group_segment_fixed_size 0
		.amdhsa_private_segment_fixed_size 0
		.amdhsa_kernarg_size 88
		.amdhsa_user_sgpr_count 2
		.amdhsa_user_sgpr_dispatch_ptr 0
		.amdhsa_user_sgpr_queue_ptr 0
		.amdhsa_user_sgpr_kernarg_segment_ptr 1
		.amdhsa_user_sgpr_dispatch_id 0
		.amdhsa_user_sgpr_private_segment_size 0
		.amdhsa_wavefront_size32 1
		.amdhsa_uses_dynamic_stack 0
		.amdhsa_enable_private_segment 0
		.amdhsa_system_sgpr_workgroup_id_x 1
		.amdhsa_system_sgpr_workgroup_id_y 0
		.amdhsa_system_sgpr_workgroup_id_z 0
		.amdhsa_system_sgpr_workgroup_info 0
		.amdhsa_system_vgpr_workitem_id 0
		.amdhsa_next_free_vgpr 1
		.amdhsa_next_free_sgpr 1
		.amdhsa_reserve_vcc 0
		.amdhsa_float_round_mode_32 0
		.amdhsa_float_round_mode_16_64 0
		.amdhsa_float_denorm_mode_32 3
		.amdhsa_float_denorm_mode_16_64 3
		.amdhsa_fp16_overflow 0
		.amdhsa_workgroup_processor_mode 1
		.amdhsa_memory_ordered 1
		.amdhsa_forward_progress 1
		.amdhsa_inst_pref_size 0
		.amdhsa_round_robin_scheduling 0
		.amdhsa_exception_fp_ieee_invalid_op 0
		.amdhsa_exception_fp_denorm_src 0
		.amdhsa_exception_fp_ieee_div_zero 0
		.amdhsa_exception_fp_ieee_overflow 0
		.amdhsa_exception_fp_ieee_underflow 0
		.amdhsa_exception_fp_ieee_inexact 0
		.amdhsa_exception_int_div_zero 0
	.end_amdhsa_kernel
	.section	.text._ZN7rocprim17ROCPRIM_400000_NS6detail17trampoline_kernelINS0_14default_configENS1_36segmented_radix_sort_config_selectorI12hip_bfloat16lEEZNS1_25segmented_radix_sort_implIS3_Lb0EPKS5_PS5_PKlPlN2at6native12_GLOBAL__N_18offset_tEEE10hipError_tPvRmT1_PNSt15iterator_traitsISL_E10value_typeET2_T3_PNSM_ISR_E10value_typeET4_jRbjT5_SX_jjP12ihipStream_tbEUlT_E0_NS1_11comp_targetILNS1_3genE5ELNS1_11target_archE942ELNS1_3gpuE9ELNS1_3repE0EEENS1_60segmented_radix_sort_warp_sort_medium_config_static_selectorELNS0_4arch9wavefront6targetE0EEEvSL_,"axG",@progbits,_ZN7rocprim17ROCPRIM_400000_NS6detail17trampoline_kernelINS0_14default_configENS1_36segmented_radix_sort_config_selectorI12hip_bfloat16lEEZNS1_25segmented_radix_sort_implIS3_Lb0EPKS5_PS5_PKlPlN2at6native12_GLOBAL__N_18offset_tEEE10hipError_tPvRmT1_PNSt15iterator_traitsISL_E10value_typeET2_T3_PNSM_ISR_E10value_typeET4_jRbjT5_SX_jjP12ihipStream_tbEUlT_E0_NS1_11comp_targetILNS1_3genE5ELNS1_11target_archE942ELNS1_3gpuE9ELNS1_3repE0EEENS1_60segmented_radix_sort_warp_sort_medium_config_static_selectorELNS0_4arch9wavefront6targetE0EEEvSL_,comdat
.Lfunc_end2060:
	.size	_ZN7rocprim17ROCPRIM_400000_NS6detail17trampoline_kernelINS0_14default_configENS1_36segmented_radix_sort_config_selectorI12hip_bfloat16lEEZNS1_25segmented_radix_sort_implIS3_Lb0EPKS5_PS5_PKlPlN2at6native12_GLOBAL__N_18offset_tEEE10hipError_tPvRmT1_PNSt15iterator_traitsISL_E10value_typeET2_T3_PNSM_ISR_E10value_typeET4_jRbjT5_SX_jjP12ihipStream_tbEUlT_E0_NS1_11comp_targetILNS1_3genE5ELNS1_11target_archE942ELNS1_3gpuE9ELNS1_3repE0EEENS1_60segmented_radix_sort_warp_sort_medium_config_static_selectorELNS0_4arch9wavefront6targetE0EEEvSL_, .Lfunc_end2060-_ZN7rocprim17ROCPRIM_400000_NS6detail17trampoline_kernelINS0_14default_configENS1_36segmented_radix_sort_config_selectorI12hip_bfloat16lEEZNS1_25segmented_radix_sort_implIS3_Lb0EPKS5_PS5_PKlPlN2at6native12_GLOBAL__N_18offset_tEEE10hipError_tPvRmT1_PNSt15iterator_traitsISL_E10value_typeET2_T3_PNSM_ISR_E10value_typeET4_jRbjT5_SX_jjP12ihipStream_tbEUlT_E0_NS1_11comp_targetILNS1_3genE5ELNS1_11target_archE942ELNS1_3gpuE9ELNS1_3repE0EEENS1_60segmented_radix_sort_warp_sort_medium_config_static_selectorELNS0_4arch9wavefront6targetE0EEEvSL_
                                        ; -- End function
	.set _ZN7rocprim17ROCPRIM_400000_NS6detail17trampoline_kernelINS0_14default_configENS1_36segmented_radix_sort_config_selectorI12hip_bfloat16lEEZNS1_25segmented_radix_sort_implIS3_Lb0EPKS5_PS5_PKlPlN2at6native12_GLOBAL__N_18offset_tEEE10hipError_tPvRmT1_PNSt15iterator_traitsISL_E10value_typeET2_T3_PNSM_ISR_E10value_typeET4_jRbjT5_SX_jjP12ihipStream_tbEUlT_E0_NS1_11comp_targetILNS1_3genE5ELNS1_11target_archE942ELNS1_3gpuE9ELNS1_3repE0EEENS1_60segmented_radix_sort_warp_sort_medium_config_static_selectorELNS0_4arch9wavefront6targetE0EEEvSL_.num_vgpr, 0
	.set _ZN7rocprim17ROCPRIM_400000_NS6detail17trampoline_kernelINS0_14default_configENS1_36segmented_radix_sort_config_selectorI12hip_bfloat16lEEZNS1_25segmented_radix_sort_implIS3_Lb0EPKS5_PS5_PKlPlN2at6native12_GLOBAL__N_18offset_tEEE10hipError_tPvRmT1_PNSt15iterator_traitsISL_E10value_typeET2_T3_PNSM_ISR_E10value_typeET4_jRbjT5_SX_jjP12ihipStream_tbEUlT_E0_NS1_11comp_targetILNS1_3genE5ELNS1_11target_archE942ELNS1_3gpuE9ELNS1_3repE0EEENS1_60segmented_radix_sort_warp_sort_medium_config_static_selectorELNS0_4arch9wavefront6targetE0EEEvSL_.num_agpr, 0
	.set _ZN7rocprim17ROCPRIM_400000_NS6detail17trampoline_kernelINS0_14default_configENS1_36segmented_radix_sort_config_selectorI12hip_bfloat16lEEZNS1_25segmented_radix_sort_implIS3_Lb0EPKS5_PS5_PKlPlN2at6native12_GLOBAL__N_18offset_tEEE10hipError_tPvRmT1_PNSt15iterator_traitsISL_E10value_typeET2_T3_PNSM_ISR_E10value_typeET4_jRbjT5_SX_jjP12ihipStream_tbEUlT_E0_NS1_11comp_targetILNS1_3genE5ELNS1_11target_archE942ELNS1_3gpuE9ELNS1_3repE0EEENS1_60segmented_radix_sort_warp_sort_medium_config_static_selectorELNS0_4arch9wavefront6targetE0EEEvSL_.numbered_sgpr, 0
	.set _ZN7rocprim17ROCPRIM_400000_NS6detail17trampoline_kernelINS0_14default_configENS1_36segmented_radix_sort_config_selectorI12hip_bfloat16lEEZNS1_25segmented_radix_sort_implIS3_Lb0EPKS5_PS5_PKlPlN2at6native12_GLOBAL__N_18offset_tEEE10hipError_tPvRmT1_PNSt15iterator_traitsISL_E10value_typeET2_T3_PNSM_ISR_E10value_typeET4_jRbjT5_SX_jjP12ihipStream_tbEUlT_E0_NS1_11comp_targetILNS1_3genE5ELNS1_11target_archE942ELNS1_3gpuE9ELNS1_3repE0EEENS1_60segmented_radix_sort_warp_sort_medium_config_static_selectorELNS0_4arch9wavefront6targetE0EEEvSL_.num_named_barrier, 0
	.set _ZN7rocprim17ROCPRIM_400000_NS6detail17trampoline_kernelINS0_14default_configENS1_36segmented_radix_sort_config_selectorI12hip_bfloat16lEEZNS1_25segmented_radix_sort_implIS3_Lb0EPKS5_PS5_PKlPlN2at6native12_GLOBAL__N_18offset_tEEE10hipError_tPvRmT1_PNSt15iterator_traitsISL_E10value_typeET2_T3_PNSM_ISR_E10value_typeET4_jRbjT5_SX_jjP12ihipStream_tbEUlT_E0_NS1_11comp_targetILNS1_3genE5ELNS1_11target_archE942ELNS1_3gpuE9ELNS1_3repE0EEENS1_60segmented_radix_sort_warp_sort_medium_config_static_selectorELNS0_4arch9wavefront6targetE0EEEvSL_.private_seg_size, 0
	.set _ZN7rocprim17ROCPRIM_400000_NS6detail17trampoline_kernelINS0_14default_configENS1_36segmented_radix_sort_config_selectorI12hip_bfloat16lEEZNS1_25segmented_radix_sort_implIS3_Lb0EPKS5_PS5_PKlPlN2at6native12_GLOBAL__N_18offset_tEEE10hipError_tPvRmT1_PNSt15iterator_traitsISL_E10value_typeET2_T3_PNSM_ISR_E10value_typeET4_jRbjT5_SX_jjP12ihipStream_tbEUlT_E0_NS1_11comp_targetILNS1_3genE5ELNS1_11target_archE942ELNS1_3gpuE9ELNS1_3repE0EEENS1_60segmented_radix_sort_warp_sort_medium_config_static_selectorELNS0_4arch9wavefront6targetE0EEEvSL_.uses_vcc, 0
	.set _ZN7rocprim17ROCPRIM_400000_NS6detail17trampoline_kernelINS0_14default_configENS1_36segmented_radix_sort_config_selectorI12hip_bfloat16lEEZNS1_25segmented_radix_sort_implIS3_Lb0EPKS5_PS5_PKlPlN2at6native12_GLOBAL__N_18offset_tEEE10hipError_tPvRmT1_PNSt15iterator_traitsISL_E10value_typeET2_T3_PNSM_ISR_E10value_typeET4_jRbjT5_SX_jjP12ihipStream_tbEUlT_E0_NS1_11comp_targetILNS1_3genE5ELNS1_11target_archE942ELNS1_3gpuE9ELNS1_3repE0EEENS1_60segmented_radix_sort_warp_sort_medium_config_static_selectorELNS0_4arch9wavefront6targetE0EEEvSL_.uses_flat_scratch, 0
	.set _ZN7rocprim17ROCPRIM_400000_NS6detail17trampoline_kernelINS0_14default_configENS1_36segmented_radix_sort_config_selectorI12hip_bfloat16lEEZNS1_25segmented_radix_sort_implIS3_Lb0EPKS5_PS5_PKlPlN2at6native12_GLOBAL__N_18offset_tEEE10hipError_tPvRmT1_PNSt15iterator_traitsISL_E10value_typeET2_T3_PNSM_ISR_E10value_typeET4_jRbjT5_SX_jjP12ihipStream_tbEUlT_E0_NS1_11comp_targetILNS1_3genE5ELNS1_11target_archE942ELNS1_3gpuE9ELNS1_3repE0EEENS1_60segmented_radix_sort_warp_sort_medium_config_static_selectorELNS0_4arch9wavefront6targetE0EEEvSL_.has_dyn_sized_stack, 0
	.set _ZN7rocprim17ROCPRIM_400000_NS6detail17trampoline_kernelINS0_14default_configENS1_36segmented_radix_sort_config_selectorI12hip_bfloat16lEEZNS1_25segmented_radix_sort_implIS3_Lb0EPKS5_PS5_PKlPlN2at6native12_GLOBAL__N_18offset_tEEE10hipError_tPvRmT1_PNSt15iterator_traitsISL_E10value_typeET2_T3_PNSM_ISR_E10value_typeET4_jRbjT5_SX_jjP12ihipStream_tbEUlT_E0_NS1_11comp_targetILNS1_3genE5ELNS1_11target_archE942ELNS1_3gpuE9ELNS1_3repE0EEENS1_60segmented_radix_sort_warp_sort_medium_config_static_selectorELNS0_4arch9wavefront6targetE0EEEvSL_.has_recursion, 0
	.set _ZN7rocprim17ROCPRIM_400000_NS6detail17trampoline_kernelINS0_14default_configENS1_36segmented_radix_sort_config_selectorI12hip_bfloat16lEEZNS1_25segmented_radix_sort_implIS3_Lb0EPKS5_PS5_PKlPlN2at6native12_GLOBAL__N_18offset_tEEE10hipError_tPvRmT1_PNSt15iterator_traitsISL_E10value_typeET2_T3_PNSM_ISR_E10value_typeET4_jRbjT5_SX_jjP12ihipStream_tbEUlT_E0_NS1_11comp_targetILNS1_3genE5ELNS1_11target_archE942ELNS1_3gpuE9ELNS1_3repE0EEENS1_60segmented_radix_sort_warp_sort_medium_config_static_selectorELNS0_4arch9wavefront6targetE0EEEvSL_.has_indirect_call, 0
	.section	.AMDGPU.csdata,"",@progbits
; Kernel info:
; codeLenInByte = 0
; TotalNumSgprs: 0
; NumVgprs: 0
; ScratchSize: 0
; MemoryBound: 0
; FloatMode: 240
; IeeeMode: 1
; LDSByteSize: 0 bytes/workgroup (compile time only)
; SGPRBlocks: 0
; VGPRBlocks: 0
; NumSGPRsForWavesPerEU: 1
; NumVGPRsForWavesPerEU: 1
; Occupancy: 16
; WaveLimiterHint : 0
; COMPUTE_PGM_RSRC2:SCRATCH_EN: 0
; COMPUTE_PGM_RSRC2:USER_SGPR: 2
; COMPUTE_PGM_RSRC2:TRAP_HANDLER: 0
; COMPUTE_PGM_RSRC2:TGID_X_EN: 1
; COMPUTE_PGM_RSRC2:TGID_Y_EN: 0
; COMPUTE_PGM_RSRC2:TGID_Z_EN: 0
; COMPUTE_PGM_RSRC2:TIDIG_COMP_CNT: 0
	.section	.text._ZN7rocprim17ROCPRIM_400000_NS6detail17trampoline_kernelINS0_14default_configENS1_36segmented_radix_sort_config_selectorI12hip_bfloat16lEEZNS1_25segmented_radix_sort_implIS3_Lb0EPKS5_PS5_PKlPlN2at6native12_GLOBAL__N_18offset_tEEE10hipError_tPvRmT1_PNSt15iterator_traitsISL_E10value_typeET2_T3_PNSM_ISR_E10value_typeET4_jRbjT5_SX_jjP12ihipStream_tbEUlT_E0_NS1_11comp_targetILNS1_3genE4ELNS1_11target_archE910ELNS1_3gpuE8ELNS1_3repE0EEENS1_60segmented_radix_sort_warp_sort_medium_config_static_selectorELNS0_4arch9wavefront6targetE0EEEvSL_,"axG",@progbits,_ZN7rocprim17ROCPRIM_400000_NS6detail17trampoline_kernelINS0_14default_configENS1_36segmented_radix_sort_config_selectorI12hip_bfloat16lEEZNS1_25segmented_radix_sort_implIS3_Lb0EPKS5_PS5_PKlPlN2at6native12_GLOBAL__N_18offset_tEEE10hipError_tPvRmT1_PNSt15iterator_traitsISL_E10value_typeET2_T3_PNSM_ISR_E10value_typeET4_jRbjT5_SX_jjP12ihipStream_tbEUlT_E0_NS1_11comp_targetILNS1_3genE4ELNS1_11target_archE910ELNS1_3gpuE8ELNS1_3repE0EEENS1_60segmented_radix_sort_warp_sort_medium_config_static_selectorELNS0_4arch9wavefront6targetE0EEEvSL_,comdat
	.globl	_ZN7rocprim17ROCPRIM_400000_NS6detail17trampoline_kernelINS0_14default_configENS1_36segmented_radix_sort_config_selectorI12hip_bfloat16lEEZNS1_25segmented_radix_sort_implIS3_Lb0EPKS5_PS5_PKlPlN2at6native12_GLOBAL__N_18offset_tEEE10hipError_tPvRmT1_PNSt15iterator_traitsISL_E10value_typeET2_T3_PNSM_ISR_E10value_typeET4_jRbjT5_SX_jjP12ihipStream_tbEUlT_E0_NS1_11comp_targetILNS1_3genE4ELNS1_11target_archE910ELNS1_3gpuE8ELNS1_3repE0EEENS1_60segmented_radix_sort_warp_sort_medium_config_static_selectorELNS0_4arch9wavefront6targetE0EEEvSL_ ; -- Begin function _ZN7rocprim17ROCPRIM_400000_NS6detail17trampoline_kernelINS0_14default_configENS1_36segmented_radix_sort_config_selectorI12hip_bfloat16lEEZNS1_25segmented_radix_sort_implIS3_Lb0EPKS5_PS5_PKlPlN2at6native12_GLOBAL__N_18offset_tEEE10hipError_tPvRmT1_PNSt15iterator_traitsISL_E10value_typeET2_T3_PNSM_ISR_E10value_typeET4_jRbjT5_SX_jjP12ihipStream_tbEUlT_E0_NS1_11comp_targetILNS1_3genE4ELNS1_11target_archE910ELNS1_3gpuE8ELNS1_3repE0EEENS1_60segmented_radix_sort_warp_sort_medium_config_static_selectorELNS0_4arch9wavefront6targetE0EEEvSL_
	.p2align	8
	.type	_ZN7rocprim17ROCPRIM_400000_NS6detail17trampoline_kernelINS0_14default_configENS1_36segmented_radix_sort_config_selectorI12hip_bfloat16lEEZNS1_25segmented_radix_sort_implIS3_Lb0EPKS5_PS5_PKlPlN2at6native12_GLOBAL__N_18offset_tEEE10hipError_tPvRmT1_PNSt15iterator_traitsISL_E10value_typeET2_T3_PNSM_ISR_E10value_typeET4_jRbjT5_SX_jjP12ihipStream_tbEUlT_E0_NS1_11comp_targetILNS1_3genE4ELNS1_11target_archE910ELNS1_3gpuE8ELNS1_3repE0EEENS1_60segmented_radix_sort_warp_sort_medium_config_static_selectorELNS0_4arch9wavefront6targetE0EEEvSL_,@function
_ZN7rocprim17ROCPRIM_400000_NS6detail17trampoline_kernelINS0_14default_configENS1_36segmented_radix_sort_config_selectorI12hip_bfloat16lEEZNS1_25segmented_radix_sort_implIS3_Lb0EPKS5_PS5_PKlPlN2at6native12_GLOBAL__N_18offset_tEEE10hipError_tPvRmT1_PNSt15iterator_traitsISL_E10value_typeET2_T3_PNSM_ISR_E10value_typeET4_jRbjT5_SX_jjP12ihipStream_tbEUlT_E0_NS1_11comp_targetILNS1_3genE4ELNS1_11target_archE910ELNS1_3gpuE8ELNS1_3repE0EEENS1_60segmented_radix_sort_warp_sort_medium_config_static_selectorELNS0_4arch9wavefront6targetE0EEEvSL_: ; @_ZN7rocprim17ROCPRIM_400000_NS6detail17trampoline_kernelINS0_14default_configENS1_36segmented_radix_sort_config_selectorI12hip_bfloat16lEEZNS1_25segmented_radix_sort_implIS3_Lb0EPKS5_PS5_PKlPlN2at6native12_GLOBAL__N_18offset_tEEE10hipError_tPvRmT1_PNSt15iterator_traitsISL_E10value_typeET2_T3_PNSM_ISR_E10value_typeET4_jRbjT5_SX_jjP12ihipStream_tbEUlT_E0_NS1_11comp_targetILNS1_3genE4ELNS1_11target_archE910ELNS1_3gpuE8ELNS1_3repE0EEENS1_60segmented_radix_sort_warp_sort_medium_config_static_selectorELNS0_4arch9wavefront6targetE0EEEvSL_
; %bb.0:
	.section	.rodata,"a",@progbits
	.p2align	6, 0x0
	.amdhsa_kernel _ZN7rocprim17ROCPRIM_400000_NS6detail17trampoline_kernelINS0_14default_configENS1_36segmented_radix_sort_config_selectorI12hip_bfloat16lEEZNS1_25segmented_radix_sort_implIS3_Lb0EPKS5_PS5_PKlPlN2at6native12_GLOBAL__N_18offset_tEEE10hipError_tPvRmT1_PNSt15iterator_traitsISL_E10value_typeET2_T3_PNSM_ISR_E10value_typeET4_jRbjT5_SX_jjP12ihipStream_tbEUlT_E0_NS1_11comp_targetILNS1_3genE4ELNS1_11target_archE910ELNS1_3gpuE8ELNS1_3repE0EEENS1_60segmented_radix_sort_warp_sort_medium_config_static_selectorELNS0_4arch9wavefront6targetE0EEEvSL_
		.amdhsa_group_segment_fixed_size 0
		.amdhsa_private_segment_fixed_size 0
		.amdhsa_kernarg_size 88
		.amdhsa_user_sgpr_count 2
		.amdhsa_user_sgpr_dispatch_ptr 0
		.amdhsa_user_sgpr_queue_ptr 0
		.amdhsa_user_sgpr_kernarg_segment_ptr 1
		.amdhsa_user_sgpr_dispatch_id 0
		.amdhsa_user_sgpr_private_segment_size 0
		.amdhsa_wavefront_size32 1
		.amdhsa_uses_dynamic_stack 0
		.amdhsa_enable_private_segment 0
		.amdhsa_system_sgpr_workgroup_id_x 1
		.amdhsa_system_sgpr_workgroup_id_y 0
		.amdhsa_system_sgpr_workgroup_id_z 0
		.amdhsa_system_sgpr_workgroup_info 0
		.amdhsa_system_vgpr_workitem_id 0
		.amdhsa_next_free_vgpr 1
		.amdhsa_next_free_sgpr 1
		.amdhsa_reserve_vcc 0
		.amdhsa_float_round_mode_32 0
		.amdhsa_float_round_mode_16_64 0
		.amdhsa_float_denorm_mode_32 3
		.amdhsa_float_denorm_mode_16_64 3
		.amdhsa_fp16_overflow 0
		.amdhsa_workgroup_processor_mode 1
		.amdhsa_memory_ordered 1
		.amdhsa_forward_progress 1
		.amdhsa_inst_pref_size 0
		.amdhsa_round_robin_scheduling 0
		.amdhsa_exception_fp_ieee_invalid_op 0
		.amdhsa_exception_fp_denorm_src 0
		.amdhsa_exception_fp_ieee_div_zero 0
		.amdhsa_exception_fp_ieee_overflow 0
		.amdhsa_exception_fp_ieee_underflow 0
		.amdhsa_exception_fp_ieee_inexact 0
		.amdhsa_exception_int_div_zero 0
	.end_amdhsa_kernel
	.section	.text._ZN7rocprim17ROCPRIM_400000_NS6detail17trampoline_kernelINS0_14default_configENS1_36segmented_radix_sort_config_selectorI12hip_bfloat16lEEZNS1_25segmented_radix_sort_implIS3_Lb0EPKS5_PS5_PKlPlN2at6native12_GLOBAL__N_18offset_tEEE10hipError_tPvRmT1_PNSt15iterator_traitsISL_E10value_typeET2_T3_PNSM_ISR_E10value_typeET4_jRbjT5_SX_jjP12ihipStream_tbEUlT_E0_NS1_11comp_targetILNS1_3genE4ELNS1_11target_archE910ELNS1_3gpuE8ELNS1_3repE0EEENS1_60segmented_radix_sort_warp_sort_medium_config_static_selectorELNS0_4arch9wavefront6targetE0EEEvSL_,"axG",@progbits,_ZN7rocprim17ROCPRIM_400000_NS6detail17trampoline_kernelINS0_14default_configENS1_36segmented_radix_sort_config_selectorI12hip_bfloat16lEEZNS1_25segmented_radix_sort_implIS3_Lb0EPKS5_PS5_PKlPlN2at6native12_GLOBAL__N_18offset_tEEE10hipError_tPvRmT1_PNSt15iterator_traitsISL_E10value_typeET2_T3_PNSM_ISR_E10value_typeET4_jRbjT5_SX_jjP12ihipStream_tbEUlT_E0_NS1_11comp_targetILNS1_3genE4ELNS1_11target_archE910ELNS1_3gpuE8ELNS1_3repE0EEENS1_60segmented_radix_sort_warp_sort_medium_config_static_selectorELNS0_4arch9wavefront6targetE0EEEvSL_,comdat
.Lfunc_end2061:
	.size	_ZN7rocprim17ROCPRIM_400000_NS6detail17trampoline_kernelINS0_14default_configENS1_36segmented_radix_sort_config_selectorI12hip_bfloat16lEEZNS1_25segmented_radix_sort_implIS3_Lb0EPKS5_PS5_PKlPlN2at6native12_GLOBAL__N_18offset_tEEE10hipError_tPvRmT1_PNSt15iterator_traitsISL_E10value_typeET2_T3_PNSM_ISR_E10value_typeET4_jRbjT5_SX_jjP12ihipStream_tbEUlT_E0_NS1_11comp_targetILNS1_3genE4ELNS1_11target_archE910ELNS1_3gpuE8ELNS1_3repE0EEENS1_60segmented_radix_sort_warp_sort_medium_config_static_selectorELNS0_4arch9wavefront6targetE0EEEvSL_, .Lfunc_end2061-_ZN7rocprim17ROCPRIM_400000_NS6detail17trampoline_kernelINS0_14default_configENS1_36segmented_radix_sort_config_selectorI12hip_bfloat16lEEZNS1_25segmented_radix_sort_implIS3_Lb0EPKS5_PS5_PKlPlN2at6native12_GLOBAL__N_18offset_tEEE10hipError_tPvRmT1_PNSt15iterator_traitsISL_E10value_typeET2_T3_PNSM_ISR_E10value_typeET4_jRbjT5_SX_jjP12ihipStream_tbEUlT_E0_NS1_11comp_targetILNS1_3genE4ELNS1_11target_archE910ELNS1_3gpuE8ELNS1_3repE0EEENS1_60segmented_radix_sort_warp_sort_medium_config_static_selectorELNS0_4arch9wavefront6targetE0EEEvSL_
                                        ; -- End function
	.set _ZN7rocprim17ROCPRIM_400000_NS6detail17trampoline_kernelINS0_14default_configENS1_36segmented_radix_sort_config_selectorI12hip_bfloat16lEEZNS1_25segmented_radix_sort_implIS3_Lb0EPKS5_PS5_PKlPlN2at6native12_GLOBAL__N_18offset_tEEE10hipError_tPvRmT1_PNSt15iterator_traitsISL_E10value_typeET2_T3_PNSM_ISR_E10value_typeET4_jRbjT5_SX_jjP12ihipStream_tbEUlT_E0_NS1_11comp_targetILNS1_3genE4ELNS1_11target_archE910ELNS1_3gpuE8ELNS1_3repE0EEENS1_60segmented_radix_sort_warp_sort_medium_config_static_selectorELNS0_4arch9wavefront6targetE0EEEvSL_.num_vgpr, 0
	.set _ZN7rocprim17ROCPRIM_400000_NS6detail17trampoline_kernelINS0_14default_configENS1_36segmented_radix_sort_config_selectorI12hip_bfloat16lEEZNS1_25segmented_radix_sort_implIS3_Lb0EPKS5_PS5_PKlPlN2at6native12_GLOBAL__N_18offset_tEEE10hipError_tPvRmT1_PNSt15iterator_traitsISL_E10value_typeET2_T3_PNSM_ISR_E10value_typeET4_jRbjT5_SX_jjP12ihipStream_tbEUlT_E0_NS1_11comp_targetILNS1_3genE4ELNS1_11target_archE910ELNS1_3gpuE8ELNS1_3repE0EEENS1_60segmented_radix_sort_warp_sort_medium_config_static_selectorELNS0_4arch9wavefront6targetE0EEEvSL_.num_agpr, 0
	.set _ZN7rocprim17ROCPRIM_400000_NS6detail17trampoline_kernelINS0_14default_configENS1_36segmented_radix_sort_config_selectorI12hip_bfloat16lEEZNS1_25segmented_radix_sort_implIS3_Lb0EPKS5_PS5_PKlPlN2at6native12_GLOBAL__N_18offset_tEEE10hipError_tPvRmT1_PNSt15iterator_traitsISL_E10value_typeET2_T3_PNSM_ISR_E10value_typeET4_jRbjT5_SX_jjP12ihipStream_tbEUlT_E0_NS1_11comp_targetILNS1_3genE4ELNS1_11target_archE910ELNS1_3gpuE8ELNS1_3repE0EEENS1_60segmented_radix_sort_warp_sort_medium_config_static_selectorELNS0_4arch9wavefront6targetE0EEEvSL_.numbered_sgpr, 0
	.set _ZN7rocprim17ROCPRIM_400000_NS6detail17trampoline_kernelINS0_14default_configENS1_36segmented_radix_sort_config_selectorI12hip_bfloat16lEEZNS1_25segmented_radix_sort_implIS3_Lb0EPKS5_PS5_PKlPlN2at6native12_GLOBAL__N_18offset_tEEE10hipError_tPvRmT1_PNSt15iterator_traitsISL_E10value_typeET2_T3_PNSM_ISR_E10value_typeET4_jRbjT5_SX_jjP12ihipStream_tbEUlT_E0_NS1_11comp_targetILNS1_3genE4ELNS1_11target_archE910ELNS1_3gpuE8ELNS1_3repE0EEENS1_60segmented_radix_sort_warp_sort_medium_config_static_selectorELNS0_4arch9wavefront6targetE0EEEvSL_.num_named_barrier, 0
	.set _ZN7rocprim17ROCPRIM_400000_NS6detail17trampoline_kernelINS0_14default_configENS1_36segmented_radix_sort_config_selectorI12hip_bfloat16lEEZNS1_25segmented_radix_sort_implIS3_Lb0EPKS5_PS5_PKlPlN2at6native12_GLOBAL__N_18offset_tEEE10hipError_tPvRmT1_PNSt15iterator_traitsISL_E10value_typeET2_T3_PNSM_ISR_E10value_typeET4_jRbjT5_SX_jjP12ihipStream_tbEUlT_E0_NS1_11comp_targetILNS1_3genE4ELNS1_11target_archE910ELNS1_3gpuE8ELNS1_3repE0EEENS1_60segmented_radix_sort_warp_sort_medium_config_static_selectorELNS0_4arch9wavefront6targetE0EEEvSL_.private_seg_size, 0
	.set _ZN7rocprim17ROCPRIM_400000_NS6detail17trampoline_kernelINS0_14default_configENS1_36segmented_radix_sort_config_selectorI12hip_bfloat16lEEZNS1_25segmented_radix_sort_implIS3_Lb0EPKS5_PS5_PKlPlN2at6native12_GLOBAL__N_18offset_tEEE10hipError_tPvRmT1_PNSt15iterator_traitsISL_E10value_typeET2_T3_PNSM_ISR_E10value_typeET4_jRbjT5_SX_jjP12ihipStream_tbEUlT_E0_NS1_11comp_targetILNS1_3genE4ELNS1_11target_archE910ELNS1_3gpuE8ELNS1_3repE0EEENS1_60segmented_radix_sort_warp_sort_medium_config_static_selectorELNS0_4arch9wavefront6targetE0EEEvSL_.uses_vcc, 0
	.set _ZN7rocprim17ROCPRIM_400000_NS6detail17trampoline_kernelINS0_14default_configENS1_36segmented_radix_sort_config_selectorI12hip_bfloat16lEEZNS1_25segmented_radix_sort_implIS3_Lb0EPKS5_PS5_PKlPlN2at6native12_GLOBAL__N_18offset_tEEE10hipError_tPvRmT1_PNSt15iterator_traitsISL_E10value_typeET2_T3_PNSM_ISR_E10value_typeET4_jRbjT5_SX_jjP12ihipStream_tbEUlT_E0_NS1_11comp_targetILNS1_3genE4ELNS1_11target_archE910ELNS1_3gpuE8ELNS1_3repE0EEENS1_60segmented_radix_sort_warp_sort_medium_config_static_selectorELNS0_4arch9wavefront6targetE0EEEvSL_.uses_flat_scratch, 0
	.set _ZN7rocprim17ROCPRIM_400000_NS6detail17trampoline_kernelINS0_14default_configENS1_36segmented_radix_sort_config_selectorI12hip_bfloat16lEEZNS1_25segmented_radix_sort_implIS3_Lb0EPKS5_PS5_PKlPlN2at6native12_GLOBAL__N_18offset_tEEE10hipError_tPvRmT1_PNSt15iterator_traitsISL_E10value_typeET2_T3_PNSM_ISR_E10value_typeET4_jRbjT5_SX_jjP12ihipStream_tbEUlT_E0_NS1_11comp_targetILNS1_3genE4ELNS1_11target_archE910ELNS1_3gpuE8ELNS1_3repE0EEENS1_60segmented_radix_sort_warp_sort_medium_config_static_selectorELNS0_4arch9wavefront6targetE0EEEvSL_.has_dyn_sized_stack, 0
	.set _ZN7rocprim17ROCPRIM_400000_NS6detail17trampoline_kernelINS0_14default_configENS1_36segmented_radix_sort_config_selectorI12hip_bfloat16lEEZNS1_25segmented_radix_sort_implIS3_Lb0EPKS5_PS5_PKlPlN2at6native12_GLOBAL__N_18offset_tEEE10hipError_tPvRmT1_PNSt15iterator_traitsISL_E10value_typeET2_T3_PNSM_ISR_E10value_typeET4_jRbjT5_SX_jjP12ihipStream_tbEUlT_E0_NS1_11comp_targetILNS1_3genE4ELNS1_11target_archE910ELNS1_3gpuE8ELNS1_3repE0EEENS1_60segmented_radix_sort_warp_sort_medium_config_static_selectorELNS0_4arch9wavefront6targetE0EEEvSL_.has_recursion, 0
	.set _ZN7rocprim17ROCPRIM_400000_NS6detail17trampoline_kernelINS0_14default_configENS1_36segmented_radix_sort_config_selectorI12hip_bfloat16lEEZNS1_25segmented_radix_sort_implIS3_Lb0EPKS5_PS5_PKlPlN2at6native12_GLOBAL__N_18offset_tEEE10hipError_tPvRmT1_PNSt15iterator_traitsISL_E10value_typeET2_T3_PNSM_ISR_E10value_typeET4_jRbjT5_SX_jjP12ihipStream_tbEUlT_E0_NS1_11comp_targetILNS1_3genE4ELNS1_11target_archE910ELNS1_3gpuE8ELNS1_3repE0EEENS1_60segmented_radix_sort_warp_sort_medium_config_static_selectorELNS0_4arch9wavefront6targetE0EEEvSL_.has_indirect_call, 0
	.section	.AMDGPU.csdata,"",@progbits
; Kernel info:
; codeLenInByte = 0
; TotalNumSgprs: 0
; NumVgprs: 0
; ScratchSize: 0
; MemoryBound: 0
; FloatMode: 240
; IeeeMode: 1
; LDSByteSize: 0 bytes/workgroup (compile time only)
; SGPRBlocks: 0
; VGPRBlocks: 0
; NumSGPRsForWavesPerEU: 1
; NumVGPRsForWavesPerEU: 1
; Occupancy: 16
; WaveLimiterHint : 0
; COMPUTE_PGM_RSRC2:SCRATCH_EN: 0
; COMPUTE_PGM_RSRC2:USER_SGPR: 2
; COMPUTE_PGM_RSRC2:TRAP_HANDLER: 0
; COMPUTE_PGM_RSRC2:TGID_X_EN: 1
; COMPUTE_PGM_RSRC2:TGID_Y_EN: 0
; COMPUTE_PGM_RSRC2:TGID_Z_EN: 0
; COMPUTE_PGM_RSRC2:TIDIG_COMP_CNT: 0
	.section	.text._ZN7rocprim17ROCPRIM_400000_NS6detail17trampoline_kernelINS0_14default_configENS1_36segmented_radix_sort_config_selectorI12hip_bfloat16lEEZNS1_25segmented_radix_sort_implIS3_Lb0EPKS5_PS5_PKlPlN2at6native12_GLOBAL__N_18offset_tEEE10hipError_tPvRmT1_PNSt15iterator_traitsISL_E10value_typeET2_T3_PNSM_ISR_E10value_typeET4_jRbjT5_SX_jjP12ihipStream_tbEUlT_E0_NS1_11comp_targetILNS1_3genE3ELNS1_11target_archE908ELNS1_3gpuE7ELNS1_3repE0EEENS1_60segmented_radix_sort_warp_sort_medium_config_static_selectorELNS0_4arch9wavefront6targetE0EEEvSL_,"axG",@progbits,_ZN7rocprim17ROCPRIM_400000_NS6detail17trampoline_kernelINS0_14default_configENS1_36segmented_radix_sort_config_selectorI12hip_bfloat16lEEZNS1_25segmented_radix_sort_implIS3_Lb0EPKS5_PS5_PKlPlN2at6native12_GLOBAL__N_18offset_tEEE10hipError_tPvRmT1_PNSt15iterator_traitsISL_E10value_typeET2_T3_PNSM_ISR_E10value_typeET4_jRbjT5_SX_jjP12ihipStream_tbEUlT_E0_NS1_11comp_targetILNS1_3genE3ELNS1_11target_archE908ELNS1_3gpuE7ELNS1_3repE0EEENS1_60segmented_radix_sort_warp_sort_medium_config_static_selectorELNS0_4arch9wavefront6targetE0EEEvSL_,comdat
	.globl	_ZN7rocprim17ROCPRIM_400000_NS6detail17trampoline_kernelINS0_14default_configENS1_36segmented_radix_sort_config_selectorI12hip_bfloat16lEEZNS1_25segmented_radix_sort_implIS3_Lb0EPKS5_PS5_PKlPlN2at6native12_GLOBAL__N_18offset_tEEE10hipError_tPvRmT1_PNSt15iterator_traitsISL_E10value_typeET2_T3_PNSM_ISR_E10value_typeET4_jRbjT5_SX_jjP12ihipStream_tbEUlT_E0_NS1_11comp_targetILNS1_3genE3ELNS1_11target_archE908ELNS1_3gpuE7ELNS1_3repE0EEENS1_60segmented_radix_sort_warp_sort_medium_config_static_selectorELNS0_4arch9wavefront6targetE0EEEvSL_ ; -- Begin function _ZN7rocprim17ROCPRIM_400000_NS6detail17trampoline_kernelINS0_14default_configENS1_36segmented_radix_sort_config_selectorI12hip_bfloat16lEEZNS1_25segmented_radix_sort_implIS3_Lb0EPKS5_PS5_PKlPlN2at6native12_GLOBAL__N_18offset_tEEE10hipError_tPvRmT1_PNSt15iterator_traitsISL_E10value_typeET2_T3_PNSM_ISR_E10value_typeET4_jRbjT5_SX_jjP12ihipStream_tbEUlT_E0_NS1_11comp_targetILNS1_3genE3ELNS1_11target_archE908ELNS1_3gpuE7ELNS1_3repE0EEENS1_60segmented_radix_sort_warp_sort_medium_config_static_selectorELNS0_4arch9wavefront6targetE0EEEvSL_
	.p2align	8
	.type	_ZN7rocprim17ROCPRIM_400000_NS6detail17trampoline_kernelINS0_14default_configENS1_36segmented_radix_sort_config_selectorI12hip_bfloat16lEEZNS1_25segmented_radix_sort_implIS3_Lb0EPKS5_PS5_PKlPlN2at6native12_GLOBAL__N_18offset_tEEE10hipError_tPvRmT1_PNSt15iterator_traitsISL_E10value_typeET2_T3_PNSM_ISR_E10value_typeET4_jRbjT5_SX_jjP12ihipStream_tbEUlT_E0_NS1_11comp_targetILNS1_3genE3ELNS1_11target_archE908ELNS1_3gpuE7ELNS1_3repE0EEENS1_60segmented_radix_sort_warp_sort_medium_config_static_selectorELNS0_4arch9wavefront6targetE0EEEvSL_,@function
_ZN7rocprim17ROCPRIM_400000_NS6detail17trampoline_kernelINS0_14default_configENS1_36segmented_radix_sort_config_selectorI12hip_bfloat16lEEZNS1_25segmented_radix_sort_implIS3_Lb0EPKS5_PS5_PKlPlN2at6native12_GLOBAL__N_18offset_tEEE10hipError_tPvRmT1_PNSt15iterator_traitsISL_E10value_typeET2_T3_PNSM_ISR_E10value_typeET4_jRbjT5_SX_jjP12ihipStream_tbEUlT_E0_NS1_11comp_targetILNS1_3genE3ELNS1_11target_archE908ELNS1_3gpuE7ELNS1_3repE0EEENS1_60segmented_radix_sort_warp_sort_medium_config_static_selectorELNS0_4arch9wavefront6targetE0EEEvSL_: ; @_ZN7rocprim17ROCPRIM_400000_NS6detail17trampoline_kernelINS0_14default_configENS1_36segmented_radix_sort_config_selectorI12hip_bfloat16lEEZNS1_25segmented_radix_sort_implIS3_Lb0EPKS5_PS5_PKlPlN2at6native12_GLOBAL__N_18offset_tEEE10hipError_tPvRmT1_PNSt15iterator_traitsISL_E10value_typeET2_T3_PNSM_ISR_E10value_typeET4_jRbjT5_SX_jjP12ihipStream_tbEUlT_E0_NS1_11comp_targetILNS1_3genE3ELNS1_11target_archE908ELNS1_3gpuE7ELNS1_3repE0EEENS1_60segmented_radix_sort_warp_sort_medium_config_static_selectorELNS0_4arch9wavefront6targetE0EEEvSL_
; %bb.0:
	.section	.rodata,"a",@progbits
	.p2align	6, 0x0
	.amdhsa_kernel _ZN7rocprim17ROCPRIM_400000_NS6detail17trampoline_kernelINS0_14default_configENS1_36segmented_radix_sort_config_selectorI12hip_bfloat16lEEZNS1_25segmented_radix_sort_implIS3_Lb0EPKS5_PS5_PKlPlN2at6native12_GLOBAL__N_18offset_tEEE10hipError_tPvRmT1_PNSt15iterator_traitsISL_E10value_typeET2_T3_PNSM_ISR_E10value_typeET4_jRbjT5_SX_jjP12ihipStream_tbEUlT_E0_NS1_11comp_targetILNS1_3genE3ELNS1_11target_archE908ELNS1_3gpuE7ELNS1_3repE0EEENS1_60segmented_radix_sort_warp_sort_medium_config_static_selectorELNS0_4arch9wavefront6targetE0EEEvSL_
		.amdhsa_group_segment_fixed_size 0
		.amdhsa_private_segment_fixed_size 0
		.amdhsa_kernarg_size 88
		.amdhsa_user_sgpr_count 2
		.amdhsa_user_sgpr_dispatch_ptr 0
		.amdhsa_user_sgpr_queue_ptr 0
		.amdhsa_user_sgpr_kernarg_segment_ptr 1
		.amdhsa_user_sgpr_dispatch_id 0
		.amdhsa_user_sgpr_private_segment_size 0
		.amdhsa_wavefront_size32 1
		.amdhsa_uses_dynamic_stack 0
		.amdhsa_enable_private_segment 0
		.amdhsa_system_sgpr_workgroup_id_x 1
		.amdhsa_system_sgpr_workgroup_id_y 0
		.amdhsa_system_sgpr_workgroup_id_z 0
		.amdhsa_system_sgpr_workgroup_info 0
		.amdhsa_system_vgpr_workitem_id 0
		.amdhsa_next_free_vgpr 1
		.amdhsa_next_free_sgpr 1
		.amdhsa_reserve_vcc 0
		.amdhsa_float_round_mode_32 0
		.amdhsa_float_round_mode_16_64 0
		.amdhsa_float_denorm_mode_32 3
		.amdhsa_float_denorm_mode_16_64 3
		.amdhsa_fp16_overflow 0
		.amdhsa_workgroup_processor_mode 1
		.amdhsa_memory_ordered 1
		.amdhsa_forward_progress 1
		.amdhsa_inst_pref_size 0
		.amdhsa_round_robin_scheduling 0
		.amdhsa_exception_fp_ieee_invalid_op 0
		.amdhsa_exception_fp_denorm_src 0
		.amdhsa_exception_fp_ieee_div_zero 0
		.amdhsa_exception_fp_ieee_overflow 0
		.amdhsa_exception_fp_ieee_underflow 0
		.amdhsa_exception_fp_ieee_inexact 0
		.amdhsa_exception_int_div_zero 0
	.end_amdhsa_kernel
	.section	.text._ZN7rocprim17ROCPRIM_400000_NS6detail17trampoline_kernelINS0_14default_configENS1_36segmented_radix_sort_config_selectorI12hip_bfloat16lEEZNS1_25segmented_radix_sort_implIS3_Lb0EPKS5_PS5_PKlPlN2at6native12_GLOBAL__N_18offset_tEEE10hipError_tPvRmT1_PNSt15iterator_traitsISL_E10value_typeET2_T3_PNSM_ISR_E10value_typeET4_jRbjT5_SX_jjP12ihipStream_tbEUlT_E0_NS1_11comp_targetILNS1_3genE3ELNS1_11target_archE908ELNS1_3gpuE7ELNS1_3repE0EEENS1_60segmented_radix_sort_warp_sort_medium_config_static_selectorELNS0_4arch9wavefront6targetE0EEEvSL_,"axG",@progbits,_ZN7rocprim17ROCPRIM_400000_NS6detail17trampoline_kernelINS0_14default_configENS1_36segmented_radix_sort_config_selectorI12hip_bfloat16lEEZNS1_25segmented_radix_sort_implIS3_Lb0EPKS5_PS5_PKlPlN2at6native12_GLOBAL__N_18offset_tEEE10hipError_tPvRmT1_PNSt15iterator_traitsISL_E10value_typeET2_T3_PNSM_ISR_E10value_typeET4_jRbjT5_SX_jjP12ihipStream_tbEUlT_E0_NS1_11comp_targetILNS1_3genE3ELNS1_11target_archE908ELNS1_3gpuE7ELNS1_3repE0EEENS1_60segmented_radix_sort_warp_sort_medium_config_static_selectorELNS0_4arch9wavefront6targetE0EEEvSL_,comdat
.Lfunc_end2062:
	.size	_ZN7rocprim17ROCPRIM_400000_NS6detail17trampoline_kernelINS0_14default_configENS1_36segmented_radix_sort_config_selectorI12hip_bfloat16lEEZNS1_25segmented_radix_sort_implIS3_Lb0EPKS5_PS5_PKlPlN2at6native12_GLOBAL__N_18offset_tEEE10hipError_tPvRmT1_PNSt15iterator_traitsISL_E10value_typeET2_T3_PNSM_ISR_E10value_typeET4_jRbjT5_SX_jjP12ihipStream_tbEUlT_E0_NS1_11comp_targetILNS1_3genE3ELNS1_11target_archE908ELNS1_3gpuE7ELNS1_3repE0EEENS1_60segmented_radix_sort_warp_sort_medium_config_static_selectorELNS0_4arch9wavefront6targetE0EEEvSL_, .Lfunc_end2062-_ZN7rocprim17ROCPRIM_400000_NS6detail17trampoline_kernelINS0_14default_configENS1_36segmented_radix_sort_config_selectorI12hip_bfloat16lEEZNS1_25segmented_radix_sort_implIS3_Lb0EPKS5_PS5_PKlPlN2at6native12_GLOBAL__N_18offset_tEEE10hipError_tPvRmT1_PNSt15iterator_traitsISL_E10value_typeET2_T3_PNSM_ISR_E10value_typeET4_jRbjT5_SX_jjP12ihipStream_tbEUlT_E0_NS1_11comp_targetILNS1_3genE3ELNS1_11target_archE908ELNS1_3gpuE7ELNS1_3repE0EEENS1_60segmented_radix_sort_warp_sort_medium_config_static_selectorELNS0_4arch9wavefront6targetE0EEEvSL_
                                        ; -- End function
	.set _ZN7rocprim17ROCPRIM_400000_NS6detail17trampoline_kernelINS0_14default_configENS1_36segmented_radix_sort_config_selectorI12hip_bfloat16lEEZNS1_25segmented_radix_sort_implIS3_Lb0EPKS5_PS5_PKlPlN2at6native12_GLOBAL__N_18offset_tEEE10hipError_tPvRmT1_PNSt15iterator_traitsISL_E10value_typeET2_T3_PNSM_ISR_E10value_typeET4_jRbjT5_SX_jjP12ihipStream_tbEUlT_E0_NS1_11comp_targetILNS1_3genE3ELNS1_11target_archE908ELNS1_3gpuE7ELNS1_3repE0EEENS1_60segmented_radix_sort_warp_sort_medium_config_static_selectorELNS0_4arch9wavefront6targetE0EEEvSL_.num_vgpr, 0
	.set _ZN7rocprim17ROCPRIM_400000_NS6detail17trampoline_kernelINS0_14default_configENS1_36segmented_radix_sort_config_selectorI12hip_bfloat16lEEZNS1_25segmented_radix_sort_implIS3_Lb0EPKS5_PS5_PKlPlN2at6native12_GLOBAL__N_18offset_tEEE10hipError_tPvRmT1_PNSt15iterator_traitsISL_E10value_typeET2_T3_PNSM_ISR_E10value_typeET4_jRbjT5_SX_jjP12ihipStream_tbEUlT_E0_NS1_11comp_targetILNS1_3genE3ELNS1_11target_archE908ELNS1_3gpuE7ELNS1_3repE0EEENS1_60segmented_radix_sort_warp_sort_medium_config_static_selectorELNS0_4arch9wavefront6targetE0EEEvSL_.num_agpr, 0
	.set _ZN7rocprim17ROCPRIM_400000_NS6detail17trampoline_kernelINS0_14default_configENS1_36segmented_radix_sort_config_selectorI12hip_bfloat16lEEZNS1_25segmented_radix_sort_implIS3_Lb0EPKS5_PS5_PKlPlN2at6native12_GLOBAL__N_18offset_tEEE10hipError_tPvRmT1_PNSt15iterator_traitsISL_E10value_typeET2_T3_PNSM_ISR_E10value_typeET4_jRbjT5_SX_jjP12ihipStream_tbEUlT_E0_NS1_11comp_targetILNS1_3genE3ELNS1_11target_archE908ELNS1_3gpuE7ELNS1_3repE0EEENS1_60segmented_radix_sort_warp_sort_medium_config_static_selectorELNS0_4arch9wavefront6targetE0EEEvSL_.numbered_sgpr, 0
	.set _ZN7rocprim17ROCPRIM_400000_NS6detail17trampoline_kernelINS0_14default_configENS1_36segmented_radix_sort_config_selectorI12hip_bfloat16lEEZNS1_25segmented_radix_sort_implIS3_Lb0EPKS5_PS5_PKlPlN2at6native12_GLOBAL__N_18offset_tEEE10hipError_tPvRmT1_PNSt15iterator_traitsISL_E10value_typeET2_T3_PNSM_ISR_E10value_typeET4_jRbjT5_SX_jjP12ihipStream_tbEUlT_E0_NS1_11comp_targetILNS1_3genE3ELNS1_11target_archE908ELNS1_3gpuE7ELNS1_3repE0EEENS1_60segmented_radix_sort_warp_sort_medium_config_static_selectorELNS0_4arch9wavefront6targetE0EEEvSL_.num_named_barrier, 0
	.set _ZN7rocprim17ROCPRIM_400000_NS6detail17trampoline_kernelINS0_14default_configENS1_36segmented_radix_sort_config_selectorI12hip_bfloat16lEEZNS1_25segmented_radix_sort_implIS3_Lb0EPKS5_PS5_PKlPlN2at6native12_GLOBAL__N_18offset_tEEE10hipError_tPvRmT1_PNSt15iterator_traitsISL_E10value_typeET2_T3_PNSM_ISR_E10value_typeET4_jRbjT5_SX_jjP12ihipStream_tbEUlT_E0_NS1_11comp_targetILNS1_3genE3ELNS1_11target_archE908ELNS1_3gpuE7ELNS1_3repE0EEENS1_60segmented_radix_sort_warp_sort_medium_config_static_selectorELNS0_4arch9wavefront6targetE0EEEvSL_.private_seg_size, 0
	.set _ZN7rocprim17ROCPRIM_400000_NS6detail17trampoline_kernelINS0_14default_configENS1_36segmented_radix_sort_config_selectorI12hip_bfloat16lEEZNS1_25segmented_radix_sort_implIS3_Lb0EPKS5_PS5_PKlPlN2at6native12_GLOBAL__N_18offset_tEEE10hipError_tPvRmT1_PNSt15iterator_traitsISL_E10value_typeET2_T3_PNSM_ISR_E10value_typeET4_jRbjT5_SX_jjP12ihipStream_tbEUlT_E0_NS1_11comp_targetILNS1_3genE3ELNS1_11target_archE908ELNS1_3gpuE7ELNS1_3repE0EEENS1_60segmented_radix_sort_warp_sort_medium_config_static_selectorELNS0_4arch9wavefront6targetE0EEEvSL_.uses_vcc, 0
	.set _ZN7rocprim17ROCPRIM_400000_NS6detail17trampoline_kernelINS0_14default_configENS1_36segmented_radix_sort_config_selectorI12hip_bfloat16lEEZNS1_25segmented_radix_sort_implIS3_Lb0EPKS5_PS5_PKlPlN2at6native12_GLOBAL__N_18offset_tEEE10hipError_tPvRmT1_PNSt15iterator_traitsISL_E10value_typeET2_T3_PNSM_ISR_E10value_typeET4_jRbjT5_SX_jjP12ihipStream_tbEUlT_E0_NS1_11comp_targetILNS1_3genE3ELNS1_11target_archE908ELNS1_3gpuE7ELNS1_3repE0EEENS1_60segmented_radix_sort_warp_sort_medium_config_static_selectorELNS0_4arch9wavefront6targetE0EEEvSL_.uses_flat_scratch, 0
	.set _ZN7rocprim17ROCPRIM_400000_NS6detail17trampoline_kernelINS0_14default_configENS1_36segmented_radix_sort_config_selectorI12hip_bfloat16lEEZNS1_25segmented_radix_sort_implIS3_Lb0EPKS5_PS5_PKlPlN2at6native12_GLOBAL__N_18offset_tEEE10hipError_tPvRmT1_PNSt15iterator_traitsISL_E10value_typeET2_T3_PNSM_ISR_E10value_typeET4_jRbjT5_SX_jjP12ihipStream_tbEUlT_E0_NS1_11comp_targetILNS1_3genE3ELNS1_11target_archE908ELNS1_3gpuE7ELNS1_3repE0EEENS1_60segmented_radix_sort_warp_sort_medium_config_static_selectorELNS0_4arch9wavefront6targetE0EEEvSL_.has_dyn_sized_stack, 0
	.set _ZN7rocprim17ROCPRIM_400000_NS6detail17trampoline_kernelINS0_14default_configENS1_36segmented_radix_sort_config_selectorI12hip_bfloat16lEEZNS1_25segmented_radix_sort_implIS3_Lb0EPKS5_PS5_PKlPlN2at6native12_GLOBAL__N_18offset_tEEE10hipError_tPvRmT1_PNSt15iterator_traitsISL_E10value_typeET2_T3_PNSM_ISR_E10value_typeET4_jRbjT5_SX_jjP12ihipStream_tbEUlT_E0_NS1_11comp_targetILNS1_3genE3ELNS1_11target_archE908ELNS1_3gpuE7ELNS1_3repE0EEENS1_60segmented_radix_sort_warp_sort_medium_config_static_selectorELNS0_4arch9wavefront6targetE0EEEvSL_.has_recursion, 0
	.set _ZN7rocprim17ROCPRIM_400000_NS6detail17trampoline_kernelINS0_14default_configENS1_36segmented_radix_sort_config_selectorI12hip_bfloat16lEEZNS1_25segmented_radix_sort_implIS3_Lb0EPKS5_PS5_PKlPlN2at6native12_GLOBAL__N_18offset_tEEE10hipError_tPvRmT1_PNSt15iterator_traitsISL_E10value_typeET2_T3_PNSM_ISR_E10value_typeET4_jRbjT5_SX_jjP12ihipStream_tbEUlT_E0_NS1_11comp_targetILNS1_3genE3ELNS1_11target_archE908ELNS1_3gpuE7ELNS1_3repE0EEENS1_60segmented_radix_sort_warp_sort_medium_config_static_selectorELNS0_4arch9wavefront6targetE0EEEvSL_.has_indirect_call, 0
	.section	.AMDGPU.csdata,"",@progbits
; Kernel info:
; codeLenInByte = 0
; TotalNumSgprs: 0
; NumVgprs: 0
; ScratchSize: 0
; MemoryBound: 0
; FloatMode: 240
; IeeeMode: 1
; LDSByteSize: 0 bytes/workgroup (compile time only)
; SGPRBlocks: 0
; VGPRBlocks: 0
; NumSGPRsForWavesPerEU: 1
; NumVGPRsForWavesPerEU: 1
; Occupancy: 16
; WaveLimiterHint : 0
; COMPUTE_PGM_RSRC2:SCRATCH_EN: 0
; COMPUTE_PGM_RSRC2:USER_SGPR: 2
; COMPUTE_PGM_RSRC2:TRAP_HANDLER: 0
; COMPUTE_PGM_RSRC2:TGID_X_EN: 1
; COMPUTE_PGM_RSRC2:TGID_Y_EN: 0
; COMPUTE_PGM_RSRC2:TGID_Z_EN: 0
; COMPUTE_PGM_RSRC2:TIDIG_COMP_CNT: 0
	.section	.text._ZN7rocprim17ROCPRIM_400000_NS6detail17trampoline_kernelINS0_14default_configENS1_36segmented_radix_sort_config_selectorI12hip_bfloat16lEEZNS1_25segmented_radix_sort_implIS3_Lb0EPKS5_PS5_PKlPlN2at6native12_GLOBAL__N_18offset_tEEE10hipError_tPvRmT1_PNSt15iterator_traitsISL_E10value_typeET2_T3_PNSM_ISR_E10value_typeET4_jRbjT5_SX_jjP12ihipStream_tbEUlT_E0_NS1_11comp_targetILNS1_3genE2ELNS1_11target_archE906ELNS1_3gpuE6ELNS1_3repE0EEENS1_60segmented_radix_sort_warp_sort_medium_config_static_selectorELNS0_4arch9wavefront6targetE0EEEvSL_,"axG",@progbits,_ZN7rocprim17ROCPRIM_400000_NS6detail17trampoline_kernelINS0_14default_configENS1_36segmented_radix_sort_config_selectorI12hip_bfloat16lEEZNS1_25segmented_radix_sort_implIS3_Lb0EPKS5_PS5_PKlPlN2at6native12_GLOBAL__N_18offset_tEEE10hipError_tPvRmT1_PNSt15iterator_traitsISL_E10value_typeET2_T3_PNSM_ISR_E10value_typeET4_jRbjT5_SX_jjP12ihipStream_tbEUlT_E0_NS1_11comp_targetILNS1_3genE2ELNS1_11target_archE906ELNS1_3gpuE6ELNS1_3repE0EEENS1_60segmented_radix_sort_warp_sort_medium_config_static_selectorELNS0_4arch9wavefront6targetE0EEEvSL_,comdat
	.globl	_ZN7rocprim17ROCPRIM_400000_NS6detail17trampoline_kernelINS0_14default_configENS1_36segmented_radix_sort_config_selectorI12hip_bfloat16lEEZNS1_25segmented_radix_sort_implIS3_Lb0EPKS5_PS5_PKlPlN2at6native12_GLOBAL__N_18offset_tEEE10hipError_tPvRmT1_PNSt15iterator_traitsISL_E10value_typeET2_T3_PNSM_ISR_E10value_typeET4_jRbjT5_SX_jjP12ihipStream_tbEUlT_E0_NS1_11comp_targetILNS1_3genE2ELNS1_11target_archE906ELNS1_3gpuE6ELNS1_3repE0EEENS1_60segmented_radix_sort_warp_sort_medium_config_static_selectorELNS0_4arch9wavefront6targetE0EEEvSL_ ; -- Begin function _ZN7rocprim17ROCPRIM_400000_NS6detail17trampoline_kernelINS0_14default_configENS1_36segmented_radix_sort_config_selectorI12hip_bfloat16lEEZNS1_25segmented_radix_sort_implIS3_Lb0EPKS5_PS5_PKlPlN2at6native12_GLOBAL__N_18offset_tEEE10hipError_tPvRmT1_PNSt15iterator_traitsISL_E10value_typeET2_T3_PNSM_ISR_E10value_typeET4_jRbjT5_SX_jjP12ihipStream_tbEUlT_E0_NS1_11comp_targetILNS1_3genE2ELNS1_11target_archE906ELNS1_3gpuE6ELNS1_3repE0EEENS1_60segmented_radix_sort_warp_sort_medium_config_static_selectorELNS0_4arch9wavefront6targetE0EEEvSL_
	.p2align	8
	.type	_ZN7rocprim17ROCPRIM_400000_NS6detail17trampoline_kernelINS0_14default_configENS1_36segmented_radix_sort_config_selectorI12hip_bfloat16lEEZNS1_25segmented_radix_sort_implIS3_Lb0EPKS5_PS5_PKlPlN2at6native12_GLOBAL__N_18offset_tEEE10hipError_tPvRmT1_PNSt15iterator_traitsISL_E10value_typeET2_T3_PNSM_ISR_E10value_typeET4_jRbjT5_SX_jjP12ihipStream_tbEUlT_E0_NS1_11comp_targetILNS1_3genE2ELNS1_11target_archE906ELNS1_3gpuE6ELNS1_3repE0EEENS1_60segmented_radix_sort_warp_sort_medium_config_static_selectorELNS0_4arch9wavefront6targetE0EEEvSL_,@function
_ZN7rocprim17ROCPRIM_400000_NS6detail17trampoline_kernelINS0_14default_configENS1_36segmented_radix_sort_config_selectorI12hip_bfloat16lEEZNS1_25segmented_radix_sort_implIS3_Lb0EPKS5_PS5_PKlPlN2at6native12_GLOBAL__N_18offset_tEEE10hipError_tPvRmT1_PNSt15iterator_traitsISL_E10value_typeET2_T3_PNSM_ISR_E10value_typeET4_jRbjT5_SX_jjP12ihipStream_tbEUlT_E0_NS1_11comp_targetILNS1_3genE2ELNS1_11target_archE906ELNS1_3gpuE6ELNS1_3repE0EEENS1_60segmented_radix_sort_warp_sort_medium_config_static_selectorELNS0_4arch9wavefront6targetE0EEEvSL_: ; @_ZN7rocprim17ROCPRIM_400000_NS6detail17trampoline_kernelINS0_14default_configENS1_36segmented_radix_sort_config_selectorI12hip_bfloat16lEEZNS1_25segmented_radix_sort_implIS3_Lb0EPKS5_PS5_PKlPlN2at6native12_GLOBAL__N_18offset_tEEE10hipError_tPvRmT1_PNSt15iterator_traitsISL_E10value_typeET2_T3_PNSM_ISR_E10value_typeET4_jRbjT5_SX_jjP12ihipStream_tbEUlT_E0_NS1_11comp_targetILNS1_3genE2ELNS1_11target_archE906ELNS1_3gpuE6ELNS1_3repE0EEENS1_60segmented_radix_sort_warp_sort_medium_config_static_selectorELNS0_4arch9wavefront6targetE0EEEvSL_
; %bb.0:
	.section	.rodata,"a",@progbits
	.p2align	6, 0x0
	.amdhsa_kernel _ZN7rocprim17ROCPRIM_400000_NS6detail17trampoline_kernelINS0_14default_configENS1_36segmented_radix_sort_config_selectorI12hip_bfloat16lEEZNS1_25segmented_radix_sort_implIS3_Lb0EPKS5_PS5_PKlPlN2at6native12_GLOBAL__N_18offset_tEEE10hipError_tPvRmT1_PNSt15iterator_traitsISL_E10value_typeET2_T3_PNSM_ISR_E10value_typeET4_jRbjT5_SX_jjP12ihipStream_tbEUlT_E0_NS1_11comp_targetILNS1_3genE2ELNS1_11target_archE906ELNS1_3gpuE6ELNS1_3repE0EEENS1_60segmented_radix_sort_warp_sort_medium_config_static_selectorELNS0_4arch9wavefront6targetE0EEEvSL_
		.amdhsa_group_segment_fixed_size 0
		.amdhsa_private_segment_fixed_size 0
		.amdhsa_kernarg_size 88
		.amdhsa_user_sgpr_count 2
		.amdhsa_user_sgpr_dispatch_ptr 0
		.amdhsa_user_sgpr_queue_ptr 0
		.amdhsa_user_sgpr_kernarg_segment_ptr 1
		.amdhsa_user_sgpr_dispatch_id 0
		.amdhsa_user_sgpr_private_segment_size 0
		.amdhsa_wavefront_size32 1
		.amdhsa_uses_dynamic_stack 0
		.amdhsa_enable_private_segment 0
		.amdhsa_system_sgpr_workgroup_id_x 1
		.amdhsa_system_sgpr_workgroup_id_y 0
		.amdhsa_system_sgpr_workgroup_id_z 0
		.amdhsa_system_sgpr_workgroup_info 0
		.amdhsa_system_vgpr_workitem_id 0
		.amdhsa_next_free_vgpr 1
		.amdhsa_next_free_sgpr 1
		.amdhsa_reserve_vcc 0
		.amdhsa_float_round_mode_32 0
		.amdhsa_float_round_mode_16_64 0
		.amdhsa_float_denorm_mode_32 3
		.amdhsa_float_denorm_mode_16_64 3
		.amdhsa_fp16_overflow 0
		.amdhsa_workgroup_processor_mode 1
		.amdhsa_memory_ordered 1
		.amdhsa_forward_progress 1
		.amdhsa_inst_pref_size 0
		.amdhsa_round_robin_scheduling 0
		.amdhsa_exception_fp_ieee_invalid_op 0
		.amdhsa_exception_fp_denorm_src 0
		.amdhsa_exception_fp_ieee_div_zero 0
		.amdhsa_exception_fp_ieee_overflow 0
		.amdhsa_exception_fp_ieee_underflow 0
		.amdhsa_exception_fp_ieee_inexact 0
		.amdhsa_exception_int_div_zero 0
	.end_amdhsa_kernel
	.section	.text._ZN7rocprim17ROCPRIM_400000_NS6detail17trampoline_kernelINS0_14default_configENS1_36segmented_radix_sort_config_selectorI12hip_bfloat16lEEZNS1_25segmented_radix_sort_implIS3_Lb0EPKS5_PS5_PKlPlN2at6native12_GLOBAL__N_18offset_tEEE10hipError_tPvRmT1_PNSt15iterator_traitsISL_E10value_typeET2_T3_PNSM_ISR_E10value_typeET4_jRbjT5_SX_jjP12ihipStream_tbEUlT_E0_NS1_11comp_targetILNS1_3genE2ELNS1_11target_archE906ELNS1_3gpuE6ELNS1_3repE0EEENS1_60segmented_radix_sort_warp_sort_medium_config_static_selectorELNS0_4arch9wavefront6targetE0EEEvSL_,"axG",@progbits,_ZN7rocprim17ROCPRIM_400000_NS6detail17trampoline_kernelINS0_14default_configENS1_36segmented_radix_sort_config_selectorI12hip_bfloat16lEEZNS1_25segmented_radix_sort_implIS3_Lb0EPKS5_PS5_PKlPlN2at6native12_GLOBAL__N_18offset_tEEE10hipError_tPvRmT1_PNSt15iterator_traitsISL_E10value_typeET2_T3_PNSM_ISR_E10value_typeET4_jRbjT5_SX_jjP12ihipStream_tbEUlT_E0_NS1_11comp_targetILNS1_3genE2ELNS1_11target_archE906ELNS1_3gpuE6ELNS1_3repE0EEENS1_60segmented_radix_sort_warp_sort_medium_config_static_selectorELNS0_4arch9wavefront6targetE0EEEvSL_,comdat
.Lfunc_end2063:
	.size	_ZN7rocprim17ROCPRIM_400000_NS6detail17trampoline_kernelINS0_14default_configENS1_36segmented_radix_sort_config_selectorI12hip_bfloat16lEEZNS1_25segmented_radix_sort_implIS3_Lb0EPKS5_PS5_PKlPlN2at6native12_GLOBAL__N_18offset_tEEE10hipError_tPvRmT1_PNSt15iterator_traitsISL_E10value_typeET2_T3_PNSM_ISR_E10value_typeET4_jRbjT5_SX_jjP12ihipStream_tbEUlT_E0_NS1_11comp_targetILNS1_3genE2ELNS1_11target_archE906ELNS1_3gpuE6ELNS1_3repE0EEENS1_60segmented_radix_sort_warp_sort_medium_config_static_selectorELNS0_4arch9wavefront6targetE0EEEvSL_, .Lfunc_end2063-_ZN7rocprim17ROCPRIM_400000_NS6detail17trampoline_kernelINS0_14default_configENS1_36segmented_radix_sort_config_selectorI12hip_bfloat16lEEZNS1_25segmented_radix_sort_implIS3_Lb0EPKS5_PS5_PKlPlN2at6native12_GLOBAL__N_18offset_tEEE10hipError_tPvRmT1_PNSt15iterator_traitsISL_E10value_typeET2_T3_PNSM_ISR_E10value_typeET4_jRbjT5_SX_jjP12ihipStream_tbEUlT_E0_NS1_11comp_targetILNS1_3genE2ELNS1_11target_archE906ELNS1_3gpuE6ELNS1_3repE0EEENS1_60segmented_radix_sort_warp_sort_medium_config_static_selectorELNS0_4arch9wavefront6targetE0EEEvSL_
                                        ; -- End function
	.set _ZN7rocprim17ROCPRIM_400000_NS6detail17trampoline_kernelINS0_14default_configENS1_36segmented_radix_sort_config_selectorI12hip_bfloat16lEEZNS1_25segmented_radix_sort_implIS3_Lb0EPKS5_PS5_PKlPlN2at6native12_GLOBAL__N_18offset_tEEE10hipError_tPvRmT1_PNSt15iterator_traitsISL_E10value_typeET2_T3_PNSM_ISR_E10value_typeET4_jRbjT5_SX_jjP12ihipStream_tbEUlT_E0_NS1_11comp_targetILNS1_3genE2ELNS1_11target_archE906ELNS1_3gpuE6ELNS1_3repE0EEENS1_60segmented_radix_sort_warp_sort_medium_config_static_selectorELNS0_4arch9wavefront6targetE0EEEvSL_.num_vgpr, 0
	.set _ZN7rocprim17ROCPRIM_400000_NS6detail17trampoline_kernelINS0_14default_configENS1_36segmented_radix_sort_config_selectorI12hip_bfloat16lEEZNS1_25segmented_radix_sort_implIS3_Lb0EPKS5_PS5_PKlPlN2at6native12_GLOBAL__N_18offset_tEEE10hipError_tPvRmT1_PNSt15iterator_traitsISL_E10value_typeET2_T3_PNSM_ISR_E10value_typeET4_jRbjT5_SX_jjP12ihipStream_tbEUlT_E0_NS1_11comp_targetILNS1_3genE2ELNS1_11target_archE906ELNS1_3gpuE6ELNS1_3repE0EEENS1_60segmented_radix_sort_warp_sort_medium_config_static_selectorELNS0_4arch9wavefront6targetE0EEEvSL_.num_agpr, 0
	.set _ZN7rocprim17ROCPRIM_400000_NS6detail17trampoline_kernelINS0_14default_configENS1_36segmented_radix_sort_config_selectorI12hip_bfloat16lEEZNS1_25segmented_radix_sort_implIS3_Lb0EPKS5_PS5_PKlPlN2at6native12_GLOBAL__N_18offset_tEEE10hipError_tPvRmT1_PNSt15iterator_traitsISL_E10value_typeET2_T3_PNSM_ISR_E10value_typeET4_jRbjT5_SX_jjP12ihipStream_tbEUlT_E0_NS1_11comp_targetILNS1_3genE2ELNS1_11target_archE906ELNS1_3gpuE6ELNS1_3repE0EEENS1_60segmented_radix_sort_warp_sort_medium_config_static_selectorELNS0_4arch9wavefront6targetE0EEEvSL_.numbered_sgpr, 0
	.set _ZN7rocprim17ROCPRIM_400000_NS6detail17trampoline_kernelINS0_14default_configENS1_36segmented_radix_sort_config_selectorI12hip_bfloat16lEEZNS1_25segmented_radix_sort_implIS3_Lb0EPKS5_PS5_PKlPlN2at6native12_GLOBAL__N_18offset_tEEE10hipError_tPvRmT1_PNSt15iterator_traitsISL_E10value_typeET2_T3_PNSM_ISR_E10value_typeET4_jRbjT5_SX_jjP12ihipStream_tbEUlT_E0_NS1_11comp_targetILNS1_3genE2ELNS1_11target_archE906ELNS1_3gpuE6ELNS1_3repE0EEENS1_60segmented_radix_sort_warp_sort_medium_config_static_selectorELNS0_4arch9wavefront6targetE0EEEvSL_.num_named_barrier, 0
	.set _ZN7rocprim17ROCPRIM_400000_NS6detail17trampoline_kernelINS0_14default_configENS1_36segmented_radix_sort_config_selectorI12hip_bfloat16lEEZNS1_25segmented_radix_sort_implIS3_Lb0EPKS5_PS5_PKlPlN2at6native12_GLOBAL__N_18offset_tEEE10hipError_tPvRmT1_PNSt15iterator_traitsISL_E10value_typeET2_T3_PNSM_ISR_E10value_typeET4_jRbjT5_SX_jjP12ihipStream_tbEUlT_E0_NS1_11comp_targetILNS1_3genE2ELNS1_11target_archE906ELNS1_3gpuE6ELNS1_3repE0EEENS1_60segmented_radix_sort_warp_sort_medium_config_static_selectorELNS0_4arch9wavefront6targetE0EEEvSL_.private_seg_size, 0
	.set _ZN7rocprim17ROCPRIM_400000_NS6detail17trampoline_kernelINS0_14default_configENS1_36segmented_radix_sort_config_selectorI12hip_bfloat16lEEZNS1_25segmented_radix_sort_implIS3_Lb0EPKS5_PS5_PKlPlN2at6native12_GLOBAL__N_18offset_tEEE10hipError_tPvRmT1_PNSt15iterator_traitsISL_E10value_typeET2_T3_PNSM_ISR_E10value_typeET4_jRbjT5_SX_jjP12ihipStream_tbEUlT_E0_NS1_11comp_targetILNS1_3genE2ELNS1_11target_archE906ELNS1_3gpuE6ELNS1_3repE0EEENS1_60segmented_radix_sort_warp_sort_medium_config_static_selectorELNS0_4arch9wavefront6targetE0EEEvSL_.uses_vcc, 0
	.set _ZN7rocprim17ROCPRIM_400000_NS6detail17trampoline_kernelINS0_14default_configENS1_36segmented_radix_sort_config_selectorI12hip_bfloat16lEEZNS1_25segmented_radix_sort_implIS3_Lb0EPKS5_PS5_PKlPlN2at6native12_GLOBAL__N_18offset_tEEE10hipError_tPvRmT1_PNSt15iterator_traitsISL_E10value_typeET2_T3_PNSM_ISR_E10value_typeET4_jRbjT5_SX_jjP12ihipStream_tbEUlT_E0_NS1_11comp_targetILNS1_3genE2ELNS1_11target_archE906ELNS1_3gpuE6ELNS1_3repE0EEENS1_60segmented_radix_sort_warp_sort_medium_config_static_selectorELNS0_4arch9wavefront6targetE0EEEvSL_.uses_flat_scratch, 0
	.set _ZN7rocprim17ROCPRIM_400000_NS6detail17trampoline_kernelINS0_14default_configENS1_36segmented_radix_sort_config_selectorI12hip_bfloat16lEEZNS1_25segmented_radix_sort_implIS3_Lb0EPKS5_PS5_PKlPlN2at6native12_GLOBAL__N_18offset_tEEE10hipError_tPvRmT1_PNSt15iterator_traitsISL_E10value_typeET2_T3_PNSM_ISR_E10value_typeET4_jRbjT5_SX_jjP12ihipStream_tbEUlT_E0_NS1_11comp_targetILNS1_3genE2ELNS1_11target_archE906ELNS1_3gpuE6ELNS1_3repE0EEENS1_60segmented_radix_sort_warp_sort_medium_config_static_selectorELNS0_4arch9wavefront6targetE0EEEvSL_.has_dyn_sized_stack, 0
	.set _ZN7rocprim17ROCPRIM_400000_NS6detail17trampoline_kernelINS0_14default_configENS1_36segmented_radix_sort_config_selectorI12hip_bfloat16lEEZNS1_25segmented_radix_sort_implIS3_Lb0EPKS5_PS5_PKlPlN2at6native12_GLOBAL__N_18offset_tEEE10hipError_tPvRmT1_PNSt15iterator_traitsISL_E10value_typeET2_T3_PNSM_ISR_E10value_typeET4_jRbjT5_SX_jjP12ihipStream_tbEUlT_E0_NS1_11comp_targetILNS1_3genE2ELNS1_11target_archE906ELNS1_3gpuE6ELNS1_3repE0EEENS1_60segmented_radix_sort_warp_sort_medium_config_static_selectorELNS0_4arch9wavefront6targetE0EEEvSL_.has_recursion, 0
	.set _ZN7rocprim17ROCPRIM_400000_NS6detail17trampoline_kernelINS0_14default_configENS1_36segmented_radix_sort_config_selectorI12hip_bfloat16lEEZNS1_25segmented_radix_sort_implIS3_Lb0EPKS5_PS5_PKlPlN2at6native12_GLOBAL__N_18offset_tEEE10hipError_tPvRmT1_PNSt15iterator_traitsISL_E10value_typeET2_T3_PNSM_ISR_E10value_typeET4_jRbjT5_SX_jjP12ihipStream_tbEUlT_E0_NS1_11comp_targetILNS1_3genE2ELNS1_11target_archE906ELNS1_3gpuE6ELNS1_3repE0EEENS1_60segmented_radix_sort_warp_sort_medium_config_static_selectorELNS0_4arch9wavefront6targetE0EEEvSL_.has_indirect_call, 0
	.section	.AMDGPU.csdata,"",@progbits
; Kernel info:
; codeLenInByte = 0
; TotalNumSgprs: 0
; NumVgprs: 0
; ScratchSize: 0
; MemoryBound: 0
; FloatMode: 240
; IeeeMode: 1
; LDSByteSize: 0 bytes/workgroup (compile time only)
; SGPRBlocks: 0
; VGPRBlocks: 0
; NumSGPRsForWavesPerEU: 1
; NumVGPRsForWavesPerEU: 1
; Occupancy: 16
; WaveLimiterHint : 0
; COMPUTE_PGM_RSRC2:SCRATCH_EN: 0
; COMPUTE_PGM_RSRC2:USER_SGPR: 2
; COMPUTE_PGM_RSRC2:TRAP_HANDLER: 0
; COMPUTE_PGM_RSRC2:TGID_X_EN: 1
; COMPUTE_PGM_RSRC2:TGID_Y_EN: 0
; COMPUTE_PGM_RSRC2:TGID_Z_EN: 0
; COMPUTE_PGM_RSRC2:TIDIG_COMP_CNT: 0
	.text
	.p2align	2                               ; -- Begin function _ZN7rocprim17ROCPRIM_400000_NS6detail26segmented_warp_sort_helperINS1_20WarpSortHelperConfigILj16ELj8ELj256EEE12hip_bfloat16lLi256ELb0EvE4sortIPKS5_PS5_PKlPlEEvT_T0_T1_T2_jjjjRNS6_12storage_typeE
	.type	_ZN7rocprim17ROCPRIM_400000_NS6detail26segmented_warp_sort_helperINS1_20WarpSortHelperConfigILj16ELj8ELj256EEE12hip_bfloat16lLi256ELb0EvE4sortIPKS5_PS5_PKlPlEEvT_T0_T1_T2_jjjjRNS6_12storage_typeE,@function
_ZN7rocprim17ROCPRIM_400000_NS6detail26segmented_warp_sort_helperINS1_20WarpSortHelperConfigILj16ELj8ELj256EEE12hip_bfloat16lLi256ELb0EvE4sortIPKS5_PS5_PKlPlEEvT_T0_T1_T2_jjjjRNS6_12storage_typeE: ; @_ZN7rocprim17ROCPRIM_400000_NS6detail26segmented_warp_sort_helperINS1_20WarpSortHelperConfigILj16ELj8ELj256EEE12hip_bfloat16lLi256ELb0EvE4sortIPKS5_PS5_PKlPlEEvT_T0_T1_T2_jjjjRNS6_12storage_typeE
; %bb.0:
	s_wait_loadcnt_dscnt 0x0
	s_wait_expcnt 0x0
	s_wait_samplecnt 0x0
	s_wait_bvhcnt 0x0
	s_wait_kmcnt 0x0
	v_mov_b32_e32 v10, v9
	v_mbcnt_lo_u32_b32 v9, -1, 0
	v_dual_mov_b32 v37, 0x7fff :: v_dual_mov_b32 v48, 0x7fff
	s_delay_alu instid0(VALU_DEP_2) | instskip(NEXT) | instid1(VALU_DEP_4)
	v_dual_mov_b32 v9, 0 :: v_dual_lshlrev_b32 v36, 3, v9
	v_sub_nc_u32_e32 v10, v10, v8
	s_delay_alu instid0(VALU_DEP_2) | instskip(NEXT) | instid1(VALU_DEP_3)
	v_and_b32_e32 v35, 0x78, v36
	v_lshlrev_b64_e32 v[11:12], 1, v[8:9]
	s_delay_alu instid0(VALU_DEP_2) | instskip(NEXT) | instid1(VALU_DEP_2)
	v_lshlrev_b32_e32 v33, 1, v35
	v_add_co_u32 v0, vcc_lo, v0, v11
	s_wait_alu 0xfffd
	s_delay_alu instid0(VALU_DEP_3) | instskip(NEXT) | instid1(VALU_DEP_2)
	v_add_co_ci_u32_e64 v1, null, v1, v12, vcc_lo
	v_add_co_u32 v0, vcc_lo, v0, v33
	s_wait_alu 0xfffd
	s_delay_alu instid0(VALU_DEP_2)
	v_add_co_ci_u32_e64 v1, null, 0, v1, vcc_lo
	v_cmp_lt_u32_e32 vcc_lo, v35, v10
	s_and_saveexec_b32 s0, vcc_lo
	s_cbranch_execz .LBB2064_2
; %bb.1:
	flat_load_u16 v37, v[0:1]
.LBB2064_2:
	s_wait_alu 0xfffe
	s_or_b32 exec_lo, exec_lo, s0
	v_or_b32_e32 v13, 1, v35
	s_delay_alu instid0(VALU_DEP_1)
	v_cmp_lt_u32_e64 s0, v13, v10
	s_and_saveexec_b32 s1, s0
	s_cbranch_execz .LBB2064_4
; %bb.3:
	flat_load_u16 v48, v[0:1] offset:2
.LBB2064_4:
	s_wait_alu 0xfffe
	s_or_b32 exec_lo, exec_lo, s1
	v_or_b32_e32 v13, 2, v35
	v_dual_mov_b32 v51, 0x7fff :: v_dual_mov_b32 v32, 0x7fff
	s_delay_alu instid0(VALU_DEP_2)
	v_cmp_lt_u32_e64 s1, v13, v10
	s_and_saveexec_b32 s2, s1
	s_cbranch_execz .LBB2064_6
; %bb.5:
	flat_load_u16 v32, v[0:1] offset:4
.LBB2064_6:
	s_wait_alu 0xfffe
	s_or_b32 exec_lo, exec_lo, s2
	v_or_b32_e32 v13, 3, v35
	s_delay_alu instid0(VALU_DEP_1)
	v_cmp_lt_u32_e64 s2, v13, v10
	s_and_saveexec_b32 s3, s2
	s_cbranch_execz .LBB2064_8
; %bb.7:
	flat_load_u16 v51, v[0:1] offset:6
.LBB2064_8:
	s_wait_alu 0xfffe
	s_or_b32 exec_lo, exec_lo, s3
	v_or_b32_e32 v13, 4, v35
	v_mov_b32_e32 v39, 0x7fff
	v_mov_b32_e32 v49, 0x7fff
	s_delay_alu instid0(VALU_DEP_3)
	v_cmp_lt_u32_e64 s3, v13, v10
	s_and_saveexec_b32 s4, s3
	s_cbranch_execz .LBB2064_10
; %bb.9:
	flat_load_u16 v49, v[0:1] offset:8
.LBB2064_10:
	s_wait_alu 0xfffe
	s_or_b32 exec_lo, exec_lo, s4
	v_or_b32_e32 v13, 5, v35
	s_delay_alu instid0(VALU_DEP_1)
	v_cmp_lt_u32_e64 s4, v13, v10
	s_and_saveexec_b32 s5, s4
	s_cbranch_execz .LBB2064_12
; %bb.11:
	flat_load_u16 v39, v[0:1] offset:10
.LBB2064_12:
	s_wait_alu 0xfffe
	s_or_b32 exec_lo, exec_lo, s5
	v_or_b32_e32 v13, 6, v35
	v_mov_b32_e32 v38, 0x7fff
	v_mov_b32_e32 v50, 0x7fff
	s_delay_alu instid0(VALU_DEP_3)
	v_cmp_lt_u32_e64 s5, v13, v10
	s_and_saveexec_b32 s6, s5
	s_cbranch_execz .LBB2064_14
; %bb.13:
	flat_load_u16 v50, v[0:1] offset:12
.LBB2064_14:
	s_wait_alu 0xfffe
	s_or_b32 exec_lo, exec_lo, s6
	v_or_b32_e32 v13, 7, v35
	s_delay_alu instid0(VALU_DEP_1)
	v_cmp_lt_u32_e64 s6, v13, v10
	s_and_saveexec_b32 s7, s6
	s_cbranch_execz .LBB2064_16
; %bb.15:
	flat_load_u16 v38, v[0:1] offset:14
.LBB2064_16:
	s_wait_alu 0xfffe
	s_or_b32 exec_lo, exec_lo, s7
	v_lshlrev_b64_e32 v[0:1], 3, v[8:9]
	v_lshlrev_b32_e32 v34, 3, v35
	; wave barrier
	s_delay_alu instid0(VALU_DEP_2) | instskip(SKIP_1) | instid1(VALU_DEP_3)
	v_add_co_u32 v4, s7, v4, v0
	s_wait_alu 0xf1ff
	v_add_co_ci_u32_e64 v5, null, v5, v1, s7
	s_delay_alu instid0(VALU_DEP_2) | instskip(SKIP_1) | instid1(VALU_DEP_2)
	v_add_co_u32 v13, s7, v4, v34
	s_wait_alu 0xf1ff
	v_add_co_ci_u32_e64 v14, null, 0, v5, s7
                                        ; implicit-def: $vgpr4_vgpr5
	s_and_saveexec_b32 s7, vcc_lo
	s_cbranch_execnz .LBB2064_318
; %bb.17:
	s_wait_alu 0xfffe
	s_or_b32 exec_lo, exec_lo, s7
	s_and_saveexec_b32 s7, s0
                                        ; implicit-def: $vgpr8_vgpr9
	s_cbranch_execnz .LBB2064_319
.LBB2064_18:
	s_wait_alu 0xfffe
	s_or_b32 exec_lo, exec_lo, s7
                                        ; implicit-def: $vgpr15_vgpr16
	s_and_saveexec_b32 s7, s1
	s_cbranch_execnz .LBB2064_320
.LBB2064_19:
	s_wait_alu 0xfffe
	s_or_b32 exec_lo, exec_lo, s7
	s_and_saveexec_b32 s7, s2
                                        ; implicit-def: $vgpr17_vgpr18
	s_cbranch_execnz .LBB2064_321
.LBB2064_20:
	s_wait_alu 0xfffe
	s_or_b32 exec_lo, exec_lo, s7
                                        ; implicit-def: $vgpr19_vgpr20
	s_and_saveexec_b32 s7, s3
	s_cbranch_execnz .LBB2064_322
.LBB2064_21:
	s_wait_alu 0xfffe
	s_or_b32 exec_lo, exec_lo, s7
	s_and_saveexec_b32 s7, s4
                                        ; implicit-def: $vgpr23_vgpr24
	s_cbranch_execnz .LBB2064_323
.LBB2064_22:
	s_wait_alu 0xfffe
	s_or_b32 exec_lo, exec_lo, s7
                                        ; implicit-def: $vgpr21_vgpr22
	s_and_saveexec_b32 s7, s5
	s_cbranch_execnz .LBB2064_324
.LBB2064_23:
	s_wait_alu 0xfffe
	s_or_b32 exec_lo, exec_lo, s7
	s_and_saveexec_b32 s7, s6
                                        ; implicit-def: $vgpr25_vgpr26
	s_cbranch_execz .LBB2064_25
.LBB2064_24:
	flat_load_b64 v[25:26], v[13:14] offset:56
.LBB2064_25:
	s_wait_alu 0xfffe
	s_or_b32 exec_lo, exec_lo, s7
	; wave barrier
	s_load_b64 s[10:11], s[8:9], 0x0
	s_and_b32 s7, ttmp7, 0xffff
	s_mov_b32 s13, 0
	v_bfe_u32 v10, v31, 10, 10
	v_bfe_u32 v13, v31, 20, 10
	s_wait_kmcnt 0x0
	s_wait_alu 0xfffe
	s_cmp_lt_u32 s7, s11
	s_cselect_b32 s12, 14, 20
	s_cmp_lt_u32 ttmp9, s10
	s_wait_alu 0xfffe
	s_add_nc_u64 s[14:15], s[8:9], s[12:13]
	s_cselect_b32 s12, 12, 18
	s_load_u16 s7, s[14:15], 0x0
	s_add_nc_u64 s[8:9], s[8:9], s[12:13]
	s_load_u16 s8, s[8:9], 0x0
	s_wait_kmcnt 0x0
	v_mad_u32_u24 v10, v13, s7, v10
	v_and_b32_e32 v13, 0x3ff, v31
	s_delay_alu instid0(VALU_DEP_2) | instskip(SKIP_1) | instid1(VALU_DEP_1)
	v_mul_lo_u32 v10, v10, s8
	s_mov_b32 s8, exec_lo
	v_add_lshl_u32 v10, v10, v13, 3
	s_delay_alu instid0(VALU_DEP_1)
	v_cmpx_gt_u32_e32 0x800, v10
	s_cbranch_execz .LBB2064_307
; %bb.26:
	s_wait_loadcnt_dscnt 0x0
	v_lshlrev_b32_e32 v13, 16, v37
	s_delay_alu instid0(VALU_DEP_1) | instskip(NEXT) | instid1(VALU_DEP_1)
	v_add_f32_e32 v14, 0, v13
	v_and_b32_e32 v13, 0x7f800000, v14
	s_delay_alu instid0(VALU_DEP_1)
	v_cmp_ne_u32_e64 s7, 0x7f800000, v13
                                        ; implicit-def: $vgpr13
	s_and_saveexec_b32 s9, s7
	s_wait_alu 0xfffe
	s_xor_b32 s7, exec_lo, s9
; %bb.27:
	v_bfe_u32 v13, v14, 16, 1
	s_delay_alu instid0(VALU_DEP_1)
	v_add3_u32 v13, v14, v13, 0x7fff
                                        ; implicit-def: $vgpr14
; %bb.28:
	s_wait_alu 0xfffe
	s_and_not1_saveexec_b32 s9, s7
; %bb.29:
	v_and_b32_e32 v13, 0xffff, v14
	v_or_b32_e32 v27, 0x10000, v14
	s_delay_alu instid0(VALU_DEP_2) | instskip(SKIP_1) | instid1(VALU_DEP_1)
	v_cmp_eq_u32_e64 s7, 0, v13
	s_wait_alu 0xf1ff
	v_cndmask_b32_e64 v13, v27, v14, s7
; %bb.30:
	s_wait_alu 0xfffe
	s_or_b32 exec_lo, exec_lo, s9
	v_lshlrev_b32_e32 v14, 16, v48
	s_delay_alu instid0(VALU_DEP_1) | instskip(NEXT) | instid1(VALU_DEP_1)
	v_add_f32_e32 v27, 0, v14
	v_and_b32_e32 v14, 0x7f800000, v27
	s_delay_alu instid0(VALU_DEP_1)
	v_cmp_ne_u32_e64 s7, 0x7f800000, v14
                                        ; implicit-def: $vgpr14
	s_and_saveexec_b32 s9, s7
	s_wait_alu 0xfffe
	s_xor_b32 s7, exec_lo, s9
; %bb.31:
	v_bfe_u32 v14, v27, 16, 1
	s_delay_alu instid0(VALU_DEP_1)
	v_add3_u32 v14, v27, v14, 0x7fff
                                        ; implicit-def: $vgpr27
; %bb.32:
	s_wait_alu 0xfffe
	s_and_not1_saveexec_b32 s9, s7
; %bb.33:
	v_and_b32_e32 v14, 0xffff, v27
	v_or_b32_e32 v28, 0x10000, v27
	s_delay_alu instid0(VALU_DEP_2) | instskip(SKIP_1) | instid1(VALU_DEP_1)
	v_cmp_eq_u32_e64 s7, 0, v14
	s_wait_alu 0xf1ff
	v_cndmask_b32_e64 v14, v28, v27, s7
; %bb.34:
	s_wait_alu 0xfffe
	s_or_b32 exec_lo, exec_lo, s9
	v_cmp_lt_i32_e64 s7, -1, v13
	s_delay_alu instid0(VALU_DEP_2)
	v_perm_b32 v13, v14, v13, 0x7060302
	v_mov_b32_e32 v52, v48
	s_mov_b32 s9, exec_lo
	s_wait_alu 0xf1ff
	v_cndmask_b32_e64 v27, -1, 0xffff8000, s7
	v_cmp_lt_i32_e64 s7, -1, v14
	s_wait_alu 0xf1ff
	s_delay_alu instid0(VALU_DEP_1) | instskip(NEXT) | instid1(VALU_DEP_1)
	v_cndmask_b32_e64 v28, -1, 0xffff8000, s7
	v_perm_b32 v14, v28, v27, 0x5040100
	v_dual_mov_b32 v28, v9 :: v_dual_mov_b32 v27, v8
	s_delay_alu instid0(VALU_DEP_2) | instskip(NEXT) | instid1(VALU_DEP_1)
	v_xor_b32_e32 v13, v14, v13
	v_lshrrev_b32_e32 v14, 16, v13
	s_delay_alu instid0(VALU_DEP_1)
	v_cmpx_gt_u16_e64 v13, v14
; %bb.35:
	v_dual_mov_b32 v52, v37 :: v_dual_mov_b32 v37, v48
	v_dual_mov_b32 v28, v5 :: v_dual_mov_b32 v27, v4
	;; [unrolled: 1-line block ×3, first 2 shown]
; %bb.36:
	s_wait_alu 0xfffe
	s_or_b32 exec_lo, exec_lo, s9
	v_lshlrev_b32_e32 v8, 16, v32
	s_delay_alu instid0(VALU_DEP_1) | instskip(NEXT) | instid1(VALU_DEP_1)
	v_add_f32_e32 v9, 0, v8
	v_and_b32_e32 v8, 0x7f800000, v9
	s_delay_alu instid0(VALU_DEP_1)
	v_cmp_ne_u32_e64 s7, 0x7f800000, v8
                                        ; implicit-def: $vgpr8
	s_and_saveexec_b32 s9, s7
	s_wait_alu 0xfffe
	s_xor_b32 s7, exec_lo, s9
; %bb.37:
	v_bfe_u32 v8, v9, 16, 1
	s_delay_alu instid0(VALU_DEP_1)
	v_add3_u32 v8, v9, v8, 0x7fff
                                        ; implicit-def: $vgpr9
; %bb.38:
	s_wait_alu 0xfffe
	s_and_not1_saveexec_b32 s9, s7
; %bb.39:
	v_and_b32_e32 v8, 0xffff, v9
	v_or_b32_e32 v13, 0x10000, v9
	s_delay_alu instid0(VALU_DEP_2) | instskip(SKIP_1) | instid1(VALU_DEP_1)
	v_cmp_eq_u32_e64 s7, 0, v8
	s_wait_alu 0xf1ff
	v_cndmask_b32_e64 v8, v13, v9, s7
; %bb.40:
	s_wait_alu 0xfffe
	s_or_b32 exec_lo, exec_lo, s9
	v_lshlrev_b32_e32 v9, 16, v51
	s_delay_alu instid0(VALU_DEP_1) | instskip(NEXT) | instid1(VALU_DEP_1)
	v_add_f32_e32 v13, 0, v9
	v_and_b32_e32 v9, 0x7f800000, v13
	s_delay_alu instid0(VALU_DEP_1)
	v_cmp_ne_u32_e64 s7, 0x7f800000, v9
                                        ; implicit-def: $vgpr9
	s_and_saveexec_b32 s9, s7
	s_wait_alu 0xfffe
	s_xor_b32 s7, exec_lo, s9
; %bb.41:
	v_bfe_u32 v9, v13, 16, 1
	s_delay_alu instid0(VALU_DEP_1)
	v_add3_u32 v9, v13, v9, 0x7fff
                                        ; implicit-def: $vgpr13
; %bb.42:
	s_wait_alu 0xfffe
	s_and_not1_saveexec_b32 s9, s7
; %bb.43:
	v_and_b32_e32 v9, 0xffff, v13
	v_or_b32_e32 v14, 0x10000, v13
	s_delay_alu instid0(VALU_DEP_2) | instskip(SKIP_1) | instid1(VALU_DEP_1)
	v_cmp_eq_u32_e64 s7, 0, v9
	s_wait_alu 0xf1ff
	v_cndmask_b32_e64 v9, v14, v13, s7
; %bb.44:
	s_wait_alu 0xfffe
	s_or_b32 exec_lo, exec_lo, s9
	v_cmp_lt_i32_e64 s7, -1, v8
	s_delay_alu instid0(VALU_DEP_2)
	v_perm_b32 v8, v9, v8, 0x7060302
	v_dual_mov_b32 v31, v51 :: v_dual_mov_b32 v30, v18
	v_mov_b32_e32 v29, v17
	s_wait_alu 0xf1ff
	v_cndmask_b32_e64 v13, -1, 0xffff8000, s7
	v_cmp_lt_i32_e64 s7, -1, v9
	s_mov_b32 s9, exec_lo
	s_wait_alu 0xf1ff
	v_cndmask_b32_e64 v14, -1, 0xffff8000, s7
	s_delay_alu instid0(VALU_DEP_1) | instskip(NEXT) | instid1(VALU_DEP_1)
	v_perm_b32 v9, v14, v13, 0x5040100
	v_xor_b32_e32 v8, v9, v8
	s_delay_alu instid0(VALU_DEP_1) | instskip(NEXT) | instid1(VALU_DEP_1)
	v_lshrrev_b32_e32 v9, 16, v8
	v_cmpx_gt_u16_e64 v8, v9
; %bb.45:
	v_dual_mov_b32 v31, v32 :: v_dual_mov_b32 v32, v51
	v_dual_mov_b32 v30, v16 :: v_dual_mov_b32 v29, v15
	;; [unrolled: 1-line block ×3, first 2 shown]
; %bb.46:
	s_wait_alu 0xfffe
	s_or_b32 exec_lo, exec_lo, s9
	v_lshlrev_b32_e32 v8, 16, v49
	s_delay_alu instid0(VALU_DEP_1) | instskip(NEXT) | instid1(VALU_DEP_1)
	v_add_f32_e32 v9, 0, v8
	v_and_b32_e32 v8, 0x7f800000, v9
	s_delay_alu instid0(VALU_DEP_1)
	v_cmp_ne_u32_e64 s7, 0x7f800000, v8
                                        ; implicit-def: $vgpr8
	s_and_saveexec_b32 s9, s7
	s_wait_alu 0xfffe
	s_xor_b32 s7, exec_lo, s9
; %bb.47:
	v_bfe_u32 v8, v9, 16, 1
	s_delay_alu instid0(VALU_DEP_1)
	v_add3_u32 v8, v9, v8, 0x7fff
                                        ; implicit-def: $vgpr9
; %bb.48:
	s_wait_alu 0xfffe
	s_and_not1_saveexec_b32 s9, s7
; %bb.49:
	v_and_b32_e32 v8, 0xffff, v9
	v_or_b32_e32 v13, 0x10000, v9
	s_delay_alu instid0(VALU_DEP_2) | instskip(SKIP_1) | instid1(VALU_DEP_1)
	v_cmp_eq_u32_e64 s7, 0, v8
	s_wait_alu 0xf1ff
	v_cndmask_b32_e64 v8, v13, v9, s7
; %bb.50:
	s_wait_alu 0xfffe
	s_or_b32 exec_lo, exec_lo, s9
	v_lshlrev_b32_e32 v9, 16, v39
	s_delay_alu instid0(VALU_DEP_1) | instskip(NEXT) | instid1(VALU_DEP_1)
	v_add_f32_e32 v13, 0, v9
	v_and_b32_e32 v9, 0x7f800000, v13
	s_delay_alu instid0(VALU_DEP_1)
	v_cmp_ne_u32_e64 s7, 0x7f800000, v9
                                        ; implicit-def: $vgpr9
	s_and_saveexec_b32 s9, s7
	s_wait_alu 0xfffe
	s_xor_b32 s7, exec_lo, s9
; %bb.51:
	v_bfe_u32 v9, v13, 16, 1
	s_delay_alu instid0(VALU_DEP_1)
	v_add3_u32 v9, v13, v9, 0x7fff
                                        ; implicit-def: $vgpr13
; %bb.52:
	s_wait_alu 0xfffe
	s_and_not1_saveexec_b32 s9, s7
; %bb.53:
	v_and_b32_e32 v9, 0xffff, v13
	v_or_b32_e32 v14, 0x10000, v13
	s_delay_alu instid0(VALU_DEP_2) | instskip(SKIP_1) | instid1(VALU_DEP_1)
	v_cmp_eq_u32_e64 s7, 0, v9
	s_wait_alu 0xf1ff
	v_cndmask_b32_e64 v9, v14, v13, s7
; %bb.54:
	s_wait_alu 0xfffe
	s_or_b32 exec_lo, exec_lo, s9
	v_cmp_lt_i32_e64 s7, -1, v8
	s_delay_alu instid0(VALU_DEP_2)
	v_perm_b32 v8, v9, v8, 0x7060302
	v_mov_b32_e32 v51, v49
	s_mov_b32 s9, exec_lo
	s_wait_alu 0xf1ff
	v_cndmask_b32_e64 v13, -1, 0xffff8000, s7
	v_cmp_lt_i32_e64 s7, -1, v9
	s_wait_alu 0xf1ff
	s_delay_alu instid0(VALU_DEP_1) | instskip(NEXT) | instid1(VALU_DEP_1)
	v_cndmask_b32_e64 v14, -1, 0xffff8000, s7
	v_perm_b32 v9, v14, v13, 0x5040100
	s_delay_alu instid0(VALU_DEP_1) | instskip(SKIP_1) | instid1(VALU_DEP_2)
	v_xor_b32_e32 v13, v9, v8
	v_dual_mov_b32 v8, v23 :: v_dual_mov_b32 v9, v24
	v_lshrrev_b32_e32 v14, 16, v13
	s_delay_alu instid0(VALU_DEP_1)
	v_cmpx_gt_u16_e64 v13, v14
; %bb.55:
	v_dual_mov_b32 v8, v19 :: v_dual_mov_b32 v9, v20
	v_dual_mov_b32 v19, v23 :: v_dual_mov_b32 v20, v24
	v_mov_b32_e32 v51, v39
	v_mov_b32_e32 v39, v49
; %bb.56:
	s_wait_alu 0xfffe
	s_or_b32 exec_lo, exec_lo, s9
	v_lshlrev_b32_e32 v13, 16, v50
	s_delay_alu instid0(VALU_DEP_1) | instskip(NEXT) | instid1(VALU_DEP_1)
	v_add_f32_e32 v14, 0, v13
	v_and_b32_e32 v13, 0x7f800000, v14
	s_delay_alu instid0(VALU_DEP_1)
	v_cmp_ne_u32_e64 s7, 0x7f800000, v13
                                        ; implicit-def: $vgpr13
	s_and_saveexec_b32 s9, s7
	s_wait_alu 0xfffe
	s_xor_b32 s7, exec_lo, s9
; %bb.57:
	v_bfe_u32 v13, v14, 16, 1
	s_delay_alu instid0(VALU_DEP_1)
	v_add3_u32 v13, v14, v13, 0x7fff
                                        ; implicit-def: $vgpr14
; %bb.58:
	s_wait_alu 0xfffe
	s_and_not1_saveexec_b32 s9, s7
; %bb.59:
	v_and_b32_e32 v13, 0xffff, v14
	v_or_b32_e32 v17, 0x10000, v14
	s_delay_alu instid0(VALU_DEP_2) | instskip(SKIP_1) | instid1(VALU_DEP_1)
	v_cmp_eq_u32_e64 s7, 0, v13
	s_wait_alu 0xf1ff
	v_cndmask_b32_e64 v13, v17, v14, s7
; %bb.60:
	s_wait_alu 0xfffe
	s_or_b32 exec_lo, exec_lo, s9
	v_lshlrev_b32_e32 v14, 16, v38
	s_delay_alu instid0(VALU_DEP_1) | instskip(NEXT) | instid1(VALU_DEP_1)
	v_add_f32_e32 v17, 0, v14
	v_and_b32_e32 v14, 0x7f800000, v17
	s_delay_alu instid0(VALU_DEP_1)
	v_cmp_ne_u32_e64 s7, 0x7f800000, v14
                                        ; implicit-def: $vgpr14
	s_and_saveexec_b32 s9, s7
	s_wait_alu 0xfffe
	s_xor_b32 s7, exec_lo, s9
; %bb.61:
	v_bfe_u32 v14, v17, 16, 1
	s_delay_alu instid0(VALU_DEP_1)
	v_add3_u32 v14, v17, v14, 0x7fff
                                        ; implicit-def: $vgpr17
; %bb.62:
	s_wait_alu 0xfffe
	s_and_not1_saveexec_b32 s9, s7
; %bb.63:
	v_and_b32_e32 v14, 0xffff, v17
	v_or_b32_e32 v18, 0x10000, v17
	s_delay_alu instid0(VALU_DEP_2) | instskip(SKIP_1) | instid1(VALU_DEP_1)
	v_cmp_eq_u32_e64 s7, 0, v14
	s_wait_alu 0xf1ff
	v_cndmask_b32_e64 v14, v18, v17, s7
; %bb.64:
	s_wait_alu 0xfffe
	s_or_b32 exec_lo, exec_lo, s9
	v_cmp_lt_i32_e64 s7, -1, v13
	s_delay_alu instid0(VALU_DEP_2)
	v_perm_b32 v13, v14, v13, 0x7060302
	v_mov_b32_e32 v49, v50
	s_mov_b32 s9, exec_lo
	s_wait_alu 0xf1ff
	v_cndmask_b32_e64 v17, -1, 0xffff8000, s7
	v_cmp_lt_i32_e64 s7, -1, v14
	s_wait_alu 0xf1ff
	s_delay_alu instid0(VALU_DEP_1) | instskip(NEXT) | instid1(VALU_DEP_1)
	v_cndmask_b32_e64 v18, -1, 0xffff8000, s7
	v_perm_b32 v14, v18, v17, 0x5040100
	s_delay_alu instid0(VALU_DEP_1) | instskip(SKIP_1) | instid1(VALU_DEP_2)
	v_xor_b32_e32 v17, v14, v13
	v_dual_mov_b32 v13, v25 :: v_dual_mov_b32 v14, v26
	v_lshrrev_b32_e32 v18, 16, v17
	s_delay_alu instid0(VALU_DEP_1)
	v_cmpx_gt_u16_e64 v17, v18
; %bb.65:
	v_dual_mov_b32 v13, v21 :: v_dual_mov_b32 v14, v22
	v_dual_mov_b32 v21, v25 :: v_dual_mov_b32 v22, v26
	;; [unrolled: 1-line block ×3, first 2 shown]
; %bb.66:
	s_wait_alu 0xfffe
	s_or_b32 exec_lo, exec_lo, s9
	v_lshlrev_b32_e32 v17, 16, v52
	s_delay_alu instid0(VALU_DEP_1) | instskip(NEXT) | instid1(VALU_DEP_1)
	v_add_f32_e32 v18, 0, v17
	v_and_b32_e32 v17, 0x7f800000, v18
	s_delay_alu instid0(VALU_DEP_1)
	v_cmp_ne_u32_e64 s7, 0x7f800000, v17
                                        ; implicit-def: $vgpr17
	s_and_saveexec_b32 s9, s7
	s_wait_alu 0xfffe
	s_xor_b32 s7, exec_lo, s9
; %bb.67:
	v_bfe_u32 v17, v18, 16, 1
	s_delay_alu instid0(VALU_DEP_1)
	v_add3_u32 v17, v18, v17, 0x7fff
                                        ; implicit-def: $vgpr18
; %bb.68:
	s_wait_alu 0xfffe
	s_and_not1_saveexec_b32 s9, s7
; %bb.69:
	v_and_b32_e32 v17, 0xffff, v18
	v_or_b32_e32 v23, 0x10000, v18
	s_delay_alu instid0(VALU_DEP_2) | instskip(SKIP_1) | instid1(VALU_DEP_1)
	v_cmp_eq_u32_e64 s7, 0, v17
	s_wait_alu 0xf1ff
	v_cndmask_b32_e64 v17, v23, v18, s7
; %bb.70:
	s_wait_alu 0xfffe
	s_or_b32 exec_lo, exec_lo, s9
	v_lshlrev_b32_e32 v18, 16, v32
	s_delay_alu instid0(VALU_DEP_1) | instskip(NEXT) | instid1(VALU_DEP_1)
	v_add_f32_e32 v23, 0, v18
	v_and_b32_e32 v18, 0x7f800000, v23
	s_delay_alu instid0(VALU_DEP_1)
	v_cmp_ne_u32_e64 s7, 0x7f800000, v18
                                        ; implicit-def: $vgpr18
	s_and_saveexec_b32 s9, s7
	s_wait_alu 0xfffe
	s_xor_b32 s7, exec_lo, s9
; %bb.71:
	v_bfe_u32 v18, v23, 16, 1
	s_delay_alu instid0(VALU_DEP_1)
	v_add3_u32 v18, v23, v18, 0x7fff
                                        ; implicit-def: $vgpr23
; %bb.72:
	s_wait_alu 0xfffe
	s_and_not1_saveexec_b32 s9, s7
; %bb.73:
	v_and_b32_e32 v18, 0xffff, v23
	v_or_b32_e32 v24, 0x10000, v23
	s_delay_alu instid0(VALU_DEP_2) | instskip(SKIP_1) | instid1(VALU_DEP_1)
	v_cmp_eq_u32_e64 s7, 0, v18
	s_wait_alu 0xf1ff
	v_cndmask_b32_e64 v18, v24, v23, s7
; %bb.74:
	s_wait_alu 0xfffe
	s_or_b32 exec_lo, exec_lo, s9
	v_cmp_lt_i32_e64 s7, -1, v17
	s_delay_alu instid0(VALU_DEP_2)
	v_perm_b32 v17, v18, v17, 0x7060302
	v_mov_b32_e32 v26, v16
	v_dual_mov_b32 v48, v32 :: v_dual_mov_b32 v25, v15
	s_wait_alu 0xf1ff
	v_cndmask_b32_e64 v23, -1, 0xffff8000, s7
	v_cmp_lt_i32_e64 s7, -1, v18
	s_mov_b32 s9, exec_lo
	s_wait_alu 0xf1ff
	v_cndmask_b32_e64 v24, -1, 0xffff8000, s7
	s_delay_alu instid0(VALU_DEP_1) | instskip(NEXT) | instid1(VALU_DEP_1)
	v_perm_b32 v18, v24, v23, 0x5040100
	v_xor_b32_e32 v17, v18, v17
	s_delay_alu instid0(VALU_DEP_1) | instskip(NEXT) | instid1(VALU_DEP_1)
	v_lshrrev_b32_e32 v18, 16, v17
	v_cmpx_gt_u16_e64 v17, v18
; %bb.75:
	v_dual_mov_b32 v48, v52 :: v_dual_mov_b32 v25, v27
	v_mov_b32_e32 v26, v28
	v_mov_b32_e32 v28, v16
	v_dual_mov_b32 v52, v32 :: v_dual_mov_b32 v27, v15
; %bb.76:
	s_wait_alu 0xfffe
	s_or_b32 exec_lo, exec_lo, s9
	v_lshlrev_b32_e32 v15, 16, v31
	s_delay_alu instid0(VALU_DEP_1) | instskip(NEXT) | instid1(VALU_DEP_1)
	v_add_f32_e32 v16, 0, v15
	v_and_b32_e32 v15, 0x7f800000, v16
	s_delay_alu instid0(VALU_DEP_1)
	v_cmp_ne_u32_e64 s7, 0x7f800000, v15
                                        ; implicit-def: $vgpr15
	s_and_saveexec_b32 s9, s7
	s_wait_alu 0xfffe
	s_xor_b32 s7, exec_lo, s9
; %bb.77:
	v_bfe_u32 v15, v16, 16, 1
	s_delay_alu instid0(VALU_DEP_1)
	v_add3_u32 v15, v16, v15, 0x7fff
                                        ; implicit-def: $vgpr16
; %bb.78:
	s_wait_alu 0xfffe
	s_and_not1_saveexec_b32 s9, s7
; %bb.79:
	v_and_b32_e32 v15, 0xffff, v16
	v_or_b32_e32 v17, 0x10000, v16
	s_delay_alu instid0(VALU_DEP_2) | instskip(SKIP_1) | instid1(VALU_DEP_1)
	v_cmp_eq_u32_e64 s7, 0, v15
	s_wait_alu 0xf1ff
	v_cndmask_b32_e64 v15, v17, v16, s7
; %bb.80:
	s_wait_alu 0xfffe
	s_or_b32 exec_lo, exec_lo, s9
	v_lshlrev_b32_e32 v16, 16, v51
	s_delay_alu instid0(VALU_DEP_1) | instskip(NEXT) | instid1(VALU_DEP_1)
	v_add_f32_e32 v17, 0, v16
	v_and_b32_e32 v16, 0x7f800000, v17
	s_delay_alu instid0(VALU_DEP_1)
	v_cmp_ne_u32_e64 s7, 0x7f800000, v16
                                        ; implicit-def: $vgpr16
	s_and_saveexec_b32 s9, s7
	s_wait_alu 0xfffe
	s_xor_b32 s7, exec_lo, s9
; %bb.81:
	v_bfe_u32 v16, v17, 16, 1
	s_delay_alu instid0(VALU_DEP_1)
	v_add3_u32 v16, v17, v16, 0x7fff
                                        ; implicit-def: $vgpr17
; %bb.82:
	s_wait_alu 0xfffe
	s_and_not1_saveexec_b32 s9, s7
; %bb.83:
	v_and_b32_e32 v16, 0xffff, v17
	v_or_b32_e32 v18, 0x10000, v17
	s_delay_alu instid0(VALU_DEP_2) | instskip(SKIP_1) | instid1(VALU_DEP_1)
	v_cmp_eq_u32_e64 s7, 0, v16
	s_wait_alu 0xf1ff
	v_cndmask_b32_e64 v16, v18, v17, s7
; %bb.84:
	s_wait_alu 0xfffe
	s_or_b32 exec_lo, exec_lo, s9
	v_cmp_lt_i32_e64 s7, -1, v15
	s_delay_alu instid0(VALU_DEP_2)
	v_perm_b32 v15, v16, v15, 0x7060302
	s_mov_b32 s9, exec_lo
	v_dual_mov_b32 v24, v20 :: v_dual_mov_b32 v23, v19
	s_wait_alu 0xf1ff
	v_cndmask_b32_e64 v17, -1, 0xffff8000, s7
	v_cmp_lt_i32_e64 s7, -1, v16
	s_wait_alu 0xf1ff
	s_delay_alu instid0(VALU_DEP_1) | instskip(NEXT) | instid1(VALU_DEP_1)
	v_cndmask_b32_e64 v18, -1, 0xffff8000, s7
	v_perm_b32 v16, v18, v17, 0x5040100
	v_mov_b32_e32 v17, v31
	s_delay_alu instid0(VALU_DEP_2) | instskip(NEXT) | instid1(VALU_DEP_1)
	v_xor_b32_e32 v15, v16, v15
	v_lshrrev_b32_e32 v16, 16, v15
	s_delay_alu instid0(VALU_DEP_1)
	v_cmpx_gt_u16_e64 v15, v16
; %bb.85:
	v_mov_b32_e32 v23, v29
	v_dual_mov_b32 v17, v51 :: v_dual_mov_b32 v24, v30
	v_dual_mov_b32 v30, v20 :: v_dual_mov_b32 v29, v19
	v_mov_b32_e32 v51, v31
; %bb.86:
	s_wait_alu 0xfffe
	s_or_b32 exec_lo, exec_lo, s9
	v_lshlrev_b32_e32 v15, 16, v39
	s_delay_alu instid0(VALU_DEP_1) | instskip(NEXT) | instid1(VALU_DEP_1)
	v_add_f32_e32 v16, 0, v15
	v_and_b32_e32 v15, 0x7f800000, v16
	s_delay_alu instid0(VALU_DEP_1)
	v_cmp_ne_u32_e64 s7, 0x7f800000, v15
                                        ; implicit-def: $vgpr15
	s_and_saveexec_b32 s9, s7
	s_wait_alu 0xfffe
	s_xor_b32 s7, exec_lo, s9
; %bb.87:
	v_bfe_u32 v15, v16, 16, 1
	s_delay_alu instid0(VALU_DEP_1)
	v_add3_u32 v15, v16, v15, 0x7fff
                                        ; implicit-def: $vgpr16
; %bb.88:
	s_wait_alu 0xfffe
	s_and_not1_saveexec_b32 s9, s7
; %bb.89:
	v_and_b32_e32 v15, 0xffff, v16
	v_or_b32_e32 v18, 0x10000, v16
	s_delay_alu instid0(VALU_DEP_2) | instskip(SKIP_1) | instid1(VALU_DEP_1)
	v_cmp_eq_u32_e64 s7, 0, v15
	s_wait_alu 0xf1ff
	v_cndmask_b32_e64 v15, v18, v16, s7
; %bb.90:
	s_wait_alu 0xfffe
	s_or_b32 exec_lo, exec_lo, s9
	v_lshlrev_b32_e32 v16, 16, v49
	s_delay_alu instid0(VALU_DEP_1) | instskip(NEXT) | instid1(VALU_DEP_1)
	v_add_f32_e32 v18, 0, v16
	v_and_b32_e32 v16, 0x7f800000, v18
	s_delay_alu instid0(VALU_DEP_1)
	v_cmp_ne_u32_e64 s7, 0x7f800000, v16
                                        ; implicit-def: $vgpr16
	s_and_saveexec_b32 s9, s7
	s_wait_alu 0xfffe
	s_xor_b32 s7, exec_lo, s9
; %bb.91:
	v_bfe_u32 v16, v18, 16, 1
	s_delay_alu instid0(VALU_DEP_1)
	v_add3_u32 v16, v18, v16, 0x7fff
                                        ; implicit-def: $vgpr18
; %bb.92:
	s_wait_alu 0xfffe
	s_and_not1_saveexec_b32 s9, s7
; %bb.93:
	v_and_b32_e32 v16, 0xffff, v18
	v_or_b32_e32 v19, 0x10000, v18
	s_delay_alu instid0(VALU_DEP_2) | instskip(SKIP_1) | instid1(VALU_DEP_1)
	v_cmp_eq_u32_e64 s7, 0, v16
	s_wait_alu 0xf1ff
	v_cndmask_b32_e64 v16, v19, v18, s7
; %bb.94:
	s_wait_alu 0xfffe
	s_or_b32 exec_lo, exec_lo, s9
	v_cmp_lt_i32_e64 s7, -1, v15
	s_delay_alu instid0(VALU_DEP_2)
	v_perm_b32 v15, v16, v15, 0x7060302
	v_mov_b32_e32 v50, v39
	s_mov_b32 s9, exec_lo
	s_wait_alu 0xf1ff
	v_cndmask_b32_e64 v18, -1, 0xffff8000, s7
	v_cmp_lt_i32_e64 s7, -1, v16
	s_wait_alu 0xf1ff
	s_delay_alu instid0(VALU_DEP_1) | instskip(NEXT) | instid1(VALU_DEP_1)
	v_cndmask_b32_e64 v19, -1, 0xffff8000, s7
	v_perm_b32 v16, v19, v18, 0x5040100
	s_delay_alu instid0(VALU_DEP_1) | instskip(SKIP_1) | instid1(VALU_DEP_2)
	v_xor_b32_e32 v18, v16, v15
	v_dual_mov_b32 v15, v21 :: v_dual_mov_b32 v16, v22
	v_lshrrev_b32_e32 v19, 16, v18
	s_delay_alu instid0(VALU_DEP_1)
	v_cmpx_gt_u16_e64 v18, v19
; %bb.95:
	v_dual_mov_b32 v16, v9 :: v_dual_mov_b32 v15, v8
	v_dual_mov_b32 v8, v21 :: v_dual_mov_b32 v9, v22
	;; [unrolled: 1-line block ×3, first 2 shown]
; %bb.96:
	s_wait_alu 0xfffe
	s_or_b32 exec_lo, exec_lo, s9
	v_lshlrev_b32_e32 v18, 16, v37
	s_delay_alu instid0(VALU_DEP_1) | instskip(NEXT) | instid1(VALU_DEP_1)
	v_add_f32_e32 v19, 0, v18
	v_and_b32_e32 v18, 0x7f800000, v19
	s_delay_alu instid0(VALU_DEP_1)
	v_cmp_ne_u32_e64 s7, 0x7f800000, v18
                                        ; implicit-def: $vgpr18
	s_and_saveexec_b32 s9, s7
	s_wait_alu 0xfffe
	s_xor_b32 s7, exec_lo, s9
; %bb.97:
	v_bfe_u32 v18, v19, 16, 1
	s_delay_alu instid0(VALU_DEP_1)
	v_add3_u32 v18, v19, v18, 0x7fff
                                        ; implicit-def: $vgpr19
; %bb.98:
	s_wait_alu 0xfffe
	s_and_not1_saveexec_b32 s9, s7
; %bb.99:
	v_and_b32_e32 v18, 0xffff, v19
	v_or_b32_e32 v20, 0x10000, v19
	s_delay_alu instid0(VALU_DEP_2) | instskip(SKIP_1) | instid1(VALU_DEP_1)
	v_cmp_eq_u32_e64 s7, 0, v18
	s_wait_alu 0xf1ff
	v_cndmask_b32_e64 v18, v20, v19, s7
; %bb.100:
	s_wait_alu 0xfffe
	s_or_b32 exec_lo, exec_lo, s9
	v_lshlrev_b32_e32 v19, 16, v52
	s_delay_alu instid0(VALU_DEP_1) | instskip(NEXT) | instid1(VALU_DEP_1)
	v_add_f32_e32 v20, 0, v19
	v_and_b32_e32 v19, 0x7f800000, v20
	s_delay_alu instid0(VALU_DEP_1)
	v_cmp_ne_u32_e64 s7, 0x7f800000, v19
                                        ; implicit-def: $vgpr19
	s_and_saveexec_b32 s9, s7
	s_wait_alu 0xfffe
	s_xor_b32 s7, exec_lo, s9
; %bb.101:
	v_bfe_u32 v19, v20, 16, 1
	s_delay_alu instid0(VALU_DEP_1)
	v_add3_u32 v19, v20, v19, 0x7fff
                                        ; implicit-def: $vgpr20
; %bb.102:
	s_wait_alu 0xfffe
	s_and_not1_saveexec_b32 s9, s7
; %bb.103:
	v_and_b32_e32 v19, 0xffff, v20
	v_or_b32_e32 v21, 0x10000, v20
	s_delay_alu instid0(VALU_DEP_2) | instskip(SKIP_1) | instid1(VALU_DEP_1)
	v_cmp_eq_u32_e64 s7, 0, v19
	s_wait_alu 0xf1ff
	v_cndmask_b32_e64 v19, v21, v20, s7
; %bb.104:
	s_wait_alu 0xfffe
	s_or_b32 exec_lo, exec_lo, s9
	v_cmp_lt_i32_e64 s7, -1, v18
	s_delay_alu instid0(VALU_DEP_2)
	v_perm_b32 v18, v19, v18, 0x7060302
	v_dual_mov_b32 v39, v52 :: v_dual_mov_b32 v32, v28
	v_mov_b32_e32 v31, v27
	s_wait_alu 0xf1ff
	v_cndmask_b32_e64 v20, -1, 0xffff8000, s7
	v_cmp_lt_i32_e64 s7, -1, v19
	s_mov_b32 s9, exec_lo
	s_wait_alu 0xf1ff
	v_cndmask_b32_e64 v21, -1, 0xffff8000, s7
	s_delay_alu instid0(VALU_DEP_1) | instskip(NEXT) | instid1(VALU_DEP_1)
	v_perm_b32 v19, v21, v20, 0x5040100
	v_xor_b32_e32 v18, v19, v18
	s_delay_alu instid0(VALU_DEP_1) | instskip(NEXT) | instid1(VALU_DEP_1)
	v_lshrrev_b32_e32 v19, 16, v18
	v_cmpx_gt_u16_e64 v18, v19
; %bb.105:
	v_dual_mov_b32 v39, v37 :: v_dual_mov_b32 v32, v5
	v_mov_b32_e32 v37, v52
	v_dual_mov_b32 v31, v4 :: v_dual_mov_b32 v4, v27
	v_mov_b32_e32 v5, v28
; %bb.106:
	s_wait_alu 0xfffe
	s_or_b32 exec_lo, exec_lo, s9
	v_lshlrev_b32_e32 v18, 16, v48
	s_delay_alu instid0(VALU_DEP_1) | instskip(NEXT) | instid1(VALU_DEP_1)
	v_add_f32_e32 v19, 0, v18
	v_and_b32_e32 v18, 0x7f800000, v19
	s_delay_alu instid0(VALU_DEP_1)
	v_cmp_ne_u32_e64 s7, 0x7f800000, v18
                                        ; implicit-def: $vgpr18
	s_and_saveexec_b32 s9, s7
	s_wait_alu 0xfffe
	s_xor_b32 s7, exec_lo, s9
; %bb.107:
	v_bfe_u32 v18, v19, 16, 1
	s_delay_alu instid0(VALU_DEP_1)
	v_add3_u32 v18, v19, v18, 0x7fff
                                        ; implicit-def: $vgpr19
; %bb.108:
	s_wait_alu 0xfffe
	s_and_not1_saveexec_b32 s9, s7
; %bb.109:
	v_and_b32_e32 v18, 0xffff, v19
	v_or_b32_e32 v20, 0x10000, v19
	s_delay_alu instid0(VALU_DEP_2) | instskip(SKIP_1) | instid1(VALU_DEP_1)
	v_cmp_eq_u32_e64 s7, 0, v18
	s_wait_alu 0xf1ff
	v_cndmask_b32_e64 v18, v20, v19, s7
; %bb.110:
	s_wait_alu 0xfffe
	s_or_b32 exec_lo, exec_lo, s9
	v_lshlrev_b32_e32 v19, 16, v17
	s_delay_alu instid0(VALU_DEP_1) | instskip(NEXT) | instid1(VALU_DEP_1)
	v_add_f32_e32 v20, 0, v19
	v_and_b32_e32 v19, 0x7f800000, v20
	s_delay_alu instid0(VALU_DEP_1)
	v_cmp_ne_u32_e64 s7, 0x7f800000, v19
                                        ; implicit-def: $vgpr19
	s_and_saveexec_b32 s9, s7
	s_wait_alu 0xfffe
	s_xor_b32 s7, exec_lo, s9
; %bb.111:
	v_bfe_u32 v19, v20, 16, 1
	s_delay_alu instid0(VALU_DEP_1)
	v_add3_u32 v19, v20, v19, 0x7fff
                                        ; implicit-def: $vgpr20
; %bb.112:
	s_wait_alu 0xfffe
	s_and_not1_saveexec_b32 s9, s7
; %bb.113:
	v_and_b32_e32 v19, 0xffff, v20
	v_or_b32_e32 v21, 0x10000, v20
	s_delay_alu instid0(VALU_DEP_2) | instskip(SKIP_1) | instid1(VALU_DEP_1)
	v_cmp_eq_u32_e64 s7, 0, v19
	s_wait_alu 0xf1ff
	v_cndmask_b32_e64 v19, v21, v20, s7
; %bb.114:
	s_wait_alu 0xfffe
	s_or_b32 exec_lo, exec_lo, s9
	v_cmp_lt_i32_e64 s7, -1, v18
	s_delay_alu instid0(VALU_DEP_2)
	v_perm_b32 v18, v19, v18, 0x7060302
	v_mov_b32_e32 v27, v29
	s_mov_b32 s9, exec_lo
	v_mov_b32_e32 v28, v30
	s_wait_alu 0xf1ff
	v_cndmask_b32_e64 v20, -1, 0xffff8000, s7
	v_cmp_lt_i32_e64 s7, -1, v19
	s_wait_alu 0xf1ff
	s_delay_alu instid0(VALU_DEP_1) | instskip(NEXT) | instid1(VALU_DEP_1)
	v_cndmask_b32_e64 v21, -1, 0xffff8000, s7
	v_perm_b32 v19, v21, v20, 0x5040100
	s_delay_alu instid0(VALU_DEP_1) | instskip(SKIP_1) | instid1(VALU_DEP_2)
	v_xor_b32_e32 v18, v19, v18
	v_mov_b32_e32 v19, v17
	v_lshrrev_b32_e32 v20, 16, v18
	s_delay_alu instid0(VALU_DEP_1)
	v_cmpx_gt_u16_e64 v18, v20
; %bb.115:
	v_dual_mov_b32 v19, v48 :: v_dual_mov_b32 v48, v17
	v_dual_mov_b32 v28, v26 :: v_dual_mov_b32 v27, v25
	;; [unrolled: 1-line block ×3, first 2 shown]
; %bb.116:
	s_wait_alu 0xfffe
	s_or_b32 exec_lo, exec_lo, s9
	v_lshlrev_b32_e32 v17, 16, v51
	s_delay_alu instid0(VALU_DEP_1) | instskip(NEXT) | instid1(VALU_DEP_1)
	v_add_f32_e32 v18, 0, v17
	v_and_b32_e32 v17, 0x7f800000, v18
	s_delay_alu instid0(VALU_DEP_1)
	v_cmp_ne_u32_e64 s7, 0x7f800000, v17
                                        ; implicit-def: $vgpr17
	s_and_saveexec_b32 s9, s7
	s_wait_alu 0xfffe
	s_xor_b32 s7, exec_lo, s9
; %bb.117:
	v_bfe_u32 v17, v18, 16, 1
	s_delay_alu instid0(VALU_DEP_1)
	v_add3_u32 v17, v18, v17, 0x7fff
                                        ; implicit-def: $vgpr18
; %bb.118:
	s_wait_alu 0xfffe
	s_and_not1_saveexec_b32 s9, s7
; %bb.119:
	v_and_b32_e32 v17, 0xffff, v18
	v_or_b32_e32 v20, 0x10000, v18
	s_delay_alu instid0(VALU_DEP_2) | instskip(SKIP_1) | instid1(VALU_DEP_1)
	v_cmp_eq_u32_e64 s7, 0, v17
	s_wait_alu 0xf1ff
	v_cndmask_b32_e64 v17, v20, v18, s7
; %bb.120:
	s_wait_alu 0xfffe
	s_or_b32 exec_lo, exec_lo, s9
	v_lshlrev_b32_e32 v18, 16, v50
	s_delay_alu instid0(VALU_DEP_1) | instskip(NEXT) | instid1(VALU_DEP_1)
	v_add_f32_e32 v20, 0, v18
	v_and_b32_e32 v18, 0x7f800000, v20
	s_delay_alu instid0(VALU_DEP_1)
	v_cmp_ne_u32_e64 s7, 0x7f800000, v18
                                        ; implicit-def: $vgpr18
	s_and_saveexec_b32 s9, s7
	s_wait_alu 0xfffe
	s_xor_b32 s7, exec_lo, s9
; %bb.121:
	v_bfe_u32 v18, v20, 16, 1
	s_delay_alu instid0(VALU_DEP_1)
	v_add3_u32 v18, v20, v18, 0x7fff
                                        ; implicit-def: $vgpr20
; %bb.122:
	s_wait_alu 0xfffe
	s_and_not1_saveexec_b32 s9, s7
; %bb.123:
	v_and_b32_e32 v18, 0xffff, v20
	v_or_b32_e32 v21, 0x10000, v20
	s_delay_alu instid0(VALU_DEP_2) | instskip(SKIP_1) | instid1(VALU_DEP_1)
	v_cmp_eq_u32_e64 s7, 0, v18
	s_wait_alu 0xf1ff
	v_cndmask_b32_e64 v18, v21, v20, s7
; %bb.124:
	s_wait_alu 0xfffe
	s_or_b32 exec_lo, exec_lo, s9
	v_cmp_lt_i32_e64 s7, -1, v17
	s_delay_alu instid0(VALU_DEP_2)
	v_perm_b32 v17, v18, v17, 0x7060302
	v_mov_b32_e32 v52, v51
	s_mov_b32 s9, exec_lo
	s_wait_alu 0xf1ff
	v_cndmask_b32_e64 v20, -1, 0xffff8000, s7
	v_cmp_lt_i32_e64 s7, -1, v18
	s_wait_alu 0xf1ff
	s_delay_alu instid0(VALU_DEP_1) | instskip(NEXT) | instid1(VALU_DEP_1)
	v_cndmask_b32_e64 v21, -1, 0xffff8000, s7
	v_perm_b32 v18, v21, v20, 0x5040100
	s_delay_alu instid0(VALU_DEP_1) | instskip(SKIP_1) | instid1(VALU_DEP_2)
	v_xor_b32_e32 v20, v18, v17
	v_dual_mov_b32 v18, v9 :: v_dual_mov_b32 v17, v8
	v_lshrrev_b32_e32 v21, 16, v20
	s_delay_alu instid0(VALU_DEP_1)
	v_cmpx_gt_u16_e64 v20, v21
; %bb.125:
	v_dual_mov_b32 v17, v23 :: v_dual_mov_b32 v18, v24
	v_dual_mov_b32 v24, v9 :: v_dual_mov_b32 v23, v8
	v_mov_b32_e32 v52, v50
	v_mov_b32_e32 v50, v51
; %bb.126:
	s_wait_alu 0xfffe
	s_or_b32 exec_lo, exec_lo, s9
	v_lshlrev_b32_e32 v8, 16, v49
	s_delay_alu instid0(VALU_DEP_1) | instskip(NEXT) | instid1(VALU_DEP_1)
	v_add_f32_e32 v9, 0, v8
	v_and_b32_e32 v8, 0x7f800000, v9
	s_delay_alu instid0(VALU_DEP_1)
	v_cmp_ne_u32_e64 s7, 0x7f800000, v8
                                        ; implicit-def: $vgpr8
	s_and_saveexec_b32 s9, s7
	s_wait_alu 0xfffe
	s_xor_b32 s7, exec_lo, s9
; %bb.127:
	v_bfe_u32 v8, v9, 16, 1
	s_delay_alu instid0(VALU_DEP_1)
	v_add3_u32 v8, v9, v8, 0x7fff
                                        ; implicit-def: $vgpr9
; %bb.128:
	s_wait_alu 0xfffe
	s_and_not1_saveexec_b32 s9, s7
; %bb.129:
	v_and_b32_e32 v8, 0xffff, v9
	v_or_b32_e32 v20, 0x10000, v9
	s_delay_alu instid0(VALU_DEP_2) | instskip(SKIP_1) | instid1(VALU_DEP_1)
	v_cmp_eq_u32_e64 s7, 0, v8
	s_wait_alu 0xf1ff
	v_cndmask_b32_e64 v8, v20, v9, s7
; %bb.130:
	s_wait_alu 0xfffe
	s_or_b32 exec_lo, exec_lo, s9
	v_lshlrev_b32_e32 v9, 16, v38
	s_delay_alu instid0(VALU_DEP_1) | instskip(NEXT) | instid1(VALU_DEP_1)
	v_add_f32_e32 v20, 0, v9
	v_and_b32_e32 v9, 0x7f800000, v20
	s_delay_alu instid0(VALU_DEP_1)
	v_cmp_ne_u32_e64 s7, 0x7f800000, v9
                                        ; implicit-def: $vgpr9
	s_and_saveexec_b32 s9, s7
	s_wait_alu 0xfffe
	s_xor_b32 s7, exec_lo, s9
; %bb.131:
	v_bfe_u32 v9, v20, 16, 1
	s_delay_alu instid0(VALU_DEP_1)
	v_add3_u32 v9, v20, v9, 0x7fff
                                        ; implicit-def: $vgpr20
; %bb.132:
	s_wait_alu 0xfffe
	s_and_not1_saveexec_b32 s9, s7
; %bb.133:
	v_and_b32_e32 v9, 0xffff, v20
	v_or_b32_e32 v21, 0x10000, v20
	s_delay_alu instid0(VALU_DEP_2) | instskip(SKIP_1) | instid1(VALU_DEP_1)
	v_cmp_eq_u32_e64 s7, 0, v9
	s_wait_alu 0xf1ff
	v_cndmask_b32_e64 v9, v21, v20, s7
; %bb.134:
	s_wait_alu 0xfffe
	s_or_b32 exec_lo, exec_lo, s9
	v_cmp_lt_i32_e64 s7, -1, v8
	s_delay_alu instid0(VALU_DEP_2)
	v_perm_b32 v8, v9, v8, 0x7060302
	v_mov_b32_e32 v51, v49
	s_mov_b32 s9, exec_lo
	s_wait_alu 0xf1ff
	v_cndmask_b32_e64 v20, -1, 0xffff8000, s7
	v_cmp_lt_i32_e64 s7, -1, v9
	s_wait_alu 0xf1ff
	s_delay_alu instid0(VALU_DEP_1) | instskip(NEXT) | instid1(VALU_DEP_1)
	v_cndmask_b32_e64 v21, -1, 0xffff8000, s7
	v_perm_b32 v9, v21, v20, 0x5040100
	s_delay_alu instid0(VALU_DEP_1) | instskip(SKIP_1) | instid1(VALU_DEP_2)
	v_xor_b32_e32 v20, v9, v8
	v_dual_mov_b32 v8, v13 :: v_dual_mov_b32 v9, v14
	v_lshrrev_b32_e32 v21, 16, v20
	s_delay_alu instid0(VALU_DEP_1)
	v_cmpx_gt_u16_e64 v20, v21
; %bb.135:
	v_dual_mov_b32 v8, v15 :: v_dual_mov_b32 v9, v16
	v_dual_mov_b32 v16, v14 :: v_dual_mov_b32 v15, v13
	;; [unrolled: 1-line block ×3, first 2 shown]
; %bb.136:
	s_wait_alu 0xfffe
	s_or_b32 exec_lo, exec_lo, s9
	v_lshlrev_b32_e32 v13, 16, v39
	s_delay_alu instid0(VALU_DEP_1) | instskip(NEXT) | instid1(VALU_DEP_1)
	v_add_f32_e32 v14, 0, v13
	v_and_b32_e32 v13, 0x7f800000, v14
	s_delay_alu instid0(VALU_DEP_1)
	v_cmp_ne_u32_e64 s7, 0x7f800000, v13
                                        ; implicit-def: $vgpr13
	s_and_saveexec_b32 s9, s7
	s_wait_alu 0xfffe
	s_xor_b32 s7, exec_lo, s9
; %bb.137:
	v_bfe_u32 v13, v14, 16, 1
	s_delay_alu instid0(VALU_DEP_1)
	v_add3_u32 v13, v14, v13, 0x7fff
                                        ; implicit-def: $vgpr14
; %bb.138:
	s_wait_alu 0xfffe
	s_and_not1_saveexec_b32 s9, s7
; %bb.139:
	v_and_b32_e32 v13, 0xffff, v14
	v_or_b32_e32 v20, 0x10000, v14
	s_delay_alu instid0(VALU_DEP_2) | instskip(SKIP_1) | instid1(VALU_DEP_1)
	v_cmp_eq_u32_e64 s7, 0, v13
	s_wait_alu 0xf1ff
	v_cndmask_b32_e64 v13, v20, v14, s7
; %bb.140:
	s_wait_alu 0xfffe
	s_or_b32 exec_lo, exec_lo, s9
	v_lshlrev_b32_e32 v14, 16, v48
	s_delay_alu instid0(VALU_DEP_1) | instskip(NEXT) | instid1(VALU_DEP_1)
	v_add_f32_e32 v20, 0, v14
	v_and_b32_e32 v14, 0x7f800000, v20
	s_delay_alu instid0(VALU_DEP_1)
	v_cmp_ne_u32_e64 s7, 0x7f800000, v14
                                        ; implicit-def: $vgpr14
	s_and_saveexec_b32 s9, s7
	s_wait_alu 0xfffe
	s_xor_b32 s7, exec_lo, s9
; %bb.141:
	v_bfe_u32 v14, v20, 16, 1
	s_delay_alu instid0(VALU_DEP_1)
	v_add3_u32 v14, v20, v14, 0x7fff
                                        ; implicit-def: $vgpr20
; %bb.142:
	s_wait_alu 0xfffe
	s_and_not1_saveexec_b32 s9, s7
; %bb.143:
	v_and_b32_e32 v14, 0xffff, v20
	v_or_b32_e32 v21, 0x10000, v20
	s_delay_alu instid0(VALU_DEP_2) | instskip(SKIP_1) | instid1(VALU_DEP_1)
	v_cmp_eq_u32_e64 s7, 0, v14
	s_wait_alu 0xf1ff
	v_cndmask_b32_e64 v14, v21, v20, s7
; %bb.144:
	s_wait_alu 0xfffe
	s_or_b32 exec_lo, exec_lo, s9
	v_cmp_lt_i32_e64 s7, -1, v13
	s_delay_alu instid0(VALU_DEP_2)
	v_perm_b32 v13, v14, v13, 0x7060302
	v_dual_mov_b32 v49, v48 :: v_dual_mov_b32 v30, v26
	v_mov_b32_e32 v29, v25
	s_wait_alu 0xf1ff
	v_cndmask_b32_e64 v20, -1, 0xffff8000, s7
	v_cmp_lt_i32_e64 s7, -1, v14
	s_mov_b32 s9, exec_lo
	s_wait_alu 0xf1ff
	v_cndmask_b32_e64 v21, -1, 0xffff8000, s7
	s_delay_alu instid0(VALU_DEP_1) | instskip(NEXT) | instid1(VALU_DEP_1)
	v_perm_b32 v14, v21, v20, 0x5040100
	v_xor_b32_e32 v13, v14, v13
	s_delay_alu instid0(VALU_DEP_1) | instskip(NEXT) | instid1(VALU_DEP_1)
	v_lshrrev_b32_e32 v14, 16, v13
	v_cmpx_gt_u16_e64 v13, v14
; %bb.145:
	v_mov_b32_e32 v29, v31
	v_dual_mov_b32 v49, v39 :: v_dual_mov_b32 v30, v32
	v_dual_mov_b32 v39, v48 :: v_dual_mov_b32 v32, v26
	v_mov_b32_e32 v31, v25
; %bb.146:
	s_wait_alu 0xfffe
	s_or_b32 exec_lo, exec_lo, s9
	v_lshlrev_b32_e32 v13, 16, v19
	s_delay_alu instid0(VALU_DEP_1) | instskip(NEXT) | instid1(VALU_DEP_1)
	v_add_f32_e32 v14, 0, v13
	v_and_b32_e32 v13, 0x7f800000, v14
	s_delay_alu instid0(VALU_DEP_1)
	v_cmp_ne_u32_e64 s7, 0x7f800000, v13
                                        ; implicit-def: $vgpr13
	s_and_saveexec_b32 s9, s7
	s_wait_alu 0xfffe
	s_xor_b32 s7, exec_lo, s9
; %bb.147:
	v_bfe_u32 v13, v14, 16, 1
	s_delay_alu instid0(VALU_DEP_1)
	v_add3_u32 v13, v14, v13, 0x7fff
                                        ; implicit-def: $vgpr14
; %bb.148:
	s_wait_alu 0xfffe
	s_and_not1_saveexec_b32 s9, s7
; %bb.149:
	v_and_b32_e32 v13, 0xffff, v14
	v_or_b32_e32 v20, 0x10000, v14
	s_delay_alu instid0(VALU_DEP_2) | instskip(SKIP_1) | instid1(VALU_DEP_1)
	v_cmp_eq_u32_e64 s7, 0, v13
	s_wait_alu 0xf1ff
	v_cndmask_b32_e64 v13, v20, v14, s7
; %bb.150:
	s_wait_alu 0xfffe
	s_or_b32 exec_lo, exec_lo, s9
	v_lshlrev_b32_e32 v14, 16, v52
	s_delay_alu instid0(VALU_DEP_1) | instskip(NEXT) | instid1(VALU_DEP_1)
	v_add_f32_e32 v20, 0, v14
	v_and_b32_e32 v14, 0x7f800000, v20
	s_delay_alu instid0(VALU_DEP_1)
	v_cmp_ne_u32_e64 s7, 0x7f800000, v14
                                        ; implicit-def: $vgpr14
	s_and_saveexec_b32 s9, s7
	s_wait_alu 0xfffe
	s_xor_b32 s7, exec_lo, s9
; %bb.151:
	v_bfe_u32 v14, v20, 16, 1
	s_delay_alu instid0(VALU_DEP_1)
	v_add3_u32 v14, v20, v14, 0x7fff
                                        ; implicit-def: $vgpr20
; %bb.152:
	s_wait_alu 0xfffe
	s_and_not1_saveexec_b32 s9, s7
; %bb.153:
	v_and_b32_e32 v14, 0xffff, v20
	v_or_b32_e32 v21, 0x10000, v20
	s_delay_alu instid0(VALU_DEP_2) | instskip(SKIP_1) | instid1(VALU_DEP_1)
	v_cmp_eq_u32_e64 s7, 0, v14
	s_wait_alu 0xf1ff
	v_cndmask_b32_e64 v14, v21, v20, s7
; %bb.154:
	s_wait_alu 0xfffe
	s_or_b32 exec_lo, exec_lo, s9
	v_cmp_lt_i32_e64 s7, -1, v13
	s_delay_alu instid0(VALU_DEP_2)
	v_perm_b32 v13, v14, v13, 0x7060302
	s_mov_b32 s9, exec_lo
	s_wait_alu 0xf1ff
	v_cndmask_b32_e64 v20, -1, 0xffff8000, s7
	v_cmp_lt_i32_e64 s7, -1, v14
	s_wait_alu 0xf1ff
	s_delay_alu instid0(VALU_DEP_1) | instskip(NEXT) | instid1(VALU_DEP_1)
	v_cndmask_b32_e64 v21, -1, 0xffff8000, s7
	v_perm_b32 v14, v21, v20, 0x5040100
	v_dual_mov_b32 v21, v23 :: v_dual_mov_b32 v22, v24
	s_delay_alu instid0(VALU_DEP_2) | instskip(SKIP_1) | instid1(VALU_DEP_2)
	v_xor_b32_e32 v14, v14, v13
	v_mov_b32_e32 v13, v19
	v_lshrrev_b32_e32 v20, 16, v14
	s_delay_alu instid0(VALU_DEP_1)
	v_cmpx_gt_u16_e64 v14, v20
; %bb.155:
	v_mov_b32_e32 v21, v27
	v_dual_mov_b32 v13, v52 :: v_dual_mov_b32 v22, v28
	v_dual_mov_b32 v28, v24 :: v_dual_mov_b32 v27, v23
	v_mov_b32_e32 v52, v19
; %bb.156:
	s_wait_alu 0xfffe
	s_or_b32 exec_lo, exec_lo, s9
	v_lshlrev_b32_e32 v14, 16, v50
	s_delay_alu instid0(VALU_DEP_1) | instskip(NEXT) | instid1(VALU_DEP_1)
	v_add_f32_e32 v19, 0, v14
	v_and_b32_e32 v14, 0x7f800000, v19
	s_delay_alu instid0(VALU_DEP_1)
	v_cmp_ne_u32_e64 s7, 0x7f800000, v14
                                        ; implicit-def: $vgpr14
	s_and_saveexec_b32 s9, s7
	s_wait_alu 0xfffe
	s_xor_b32 s7, exec_lo, s9
; %bb.157:
	v_bfe_u32 v14, v19, 16, 1
	s_delay_alu instid0(VALU_DEP_1)
	v_add3_u32 v14, v19, v14, 0x7fff
                                        ; implicit-def: $vgpr19
; %bb.158:
	s_wait_alu 0xfffe
	s_and_not1_saveexec_b32 s9, s7
; %bb.159:
	v_and_b32_e32 v14, 0xffff, v19
	v_or_b32_e32 v20, 0x10000, v19
	s_delay_alu instid0(VALU_DEP_2) | instskip(SKIP_1) | instid1(VALU_DEP_1)
	v_cmp_eq_u32_e64 s7, 0, v14
	s_wait_alu 0xf1ff
	v_cndmask_b32_e64 v14, v20, v19, s7
; %bb.160:
	s_wait_alu 0xfffe
	s_or_b32 exec_lo, exec_lo, s9
	v_lshlrev_b32_e32 v19, 16, v51
	s_delay_alu instid0(VALU_DEP_1) | instskip(NEXT) | instid1(VALU_DEP_1)
	v_add_f32_e32 v20, 0, v19
	v_and_b32_e32 v19, 0x7f800000, v20
	s_delay_alu instid0(VALU_DEP_1)
	v_cmp_ne_u32_e64 s7, 0x7f800000, v19
                                        ; implicit-def: $vgpr19
	s_and_saveexec_b32 s9, s7
	s_wait_alu 0xfffe
	s_xor_b32 s7, exec_lo, s9
; %bb.161:
	v_bfe_u32 v19, v20, 16, 1
	s_delay_alu instid0(VALU_DEP_1)
	v_add3_u32 v19, v20, v19, 0x7fff
                                        ; implicit-def: $vgpr20
; %bb.162:
	s_wait_alu 0xfffe
	s_and_not1_saveexec_b32 s9, s7
; %bb.163:
	v_and_b32_e32 v19, 0xffff, v20
	v_or_b32_e32 v23, 0x10000, v20
	s_delay_alu instid0(VALU_DEP_2) | instskip(SKIP_1) | instid1(VALU_DEP_1)
	v_cmp_eq_u32_e64 s7, 0, v19
	s_wait_alu 0xf1ff
	v_cndmask_b32_e64 v19, v23, v20, s7
; %bb.164:
	s_wait_alu 0xfffe
	s_or_b32 exec_lo, exec_lo, s9
	v_cmp_lt_i32_e64 s7, -1, v14
	s_delay_alu instid0(VALU_DEP_2)
	v_perm_b32 v14, v19, v14, 0x7060302
	v_mov_b32_e32 v48, v50
	s_mov_b32 s9, exec_lo
	s_wait_alu 0xf1ff
	v_cndmask_b32_e64 v20, -1, 0xffff8000, s7
	v_cmp_lt_i32_e64 s7, -1, v19
	s_wait_alu 0xf1ff
	s_delay_alu instid0(VALU_DEP_1) | instskip(NEXT) | instid1(VALU_DEP_1)
	v_cndmask_b32_e64 v23, -1, 0xffff8000, s7
	v_perm_b32 v19, v23, v20, 0x5040100
	s_delay_alu instid0(VALU_DEP_1) | instskip(SKIP_1) | instid1(VALU_DEP_2)
	v_xor_b32_e32 v14, v19, v14
	v_dual_mov_b32 v20, v16 :: v_dual_mov_b32 v19, v15
	v_lshrrev_b32_e32 v23, 16, v14
	s_delay_alu instid0(VALU_DEP_1)
	v_cmpx_gt_u16_e64 v14, v23
; %bb.165:
	v_dual_mov_b32 v20, v18 :: v_dual_mov_b32 v19, v17
	v_dual_mov_b32 v18, v16 :: v_dual_mov_b32 v17, v15
	;; [unrolled: 1-line block ×3, first 2 shown]
; %bb.166:
	s_wait_alu 0xfffe
	s_or_b32 exec_lo, exec_lo, s9
	v_lshlrev_b32_e32 v14, 16, v37
	s_delay_alu instid0(VALU_DEP_1) | instskip(NEXT) | instid1(VALU_DEP_1)
	v_add_f32_e32 v15, 0, v14
	v_and_b32_e32 v14, 0x7f800000, v15
	s_delay_alu instid0(VALU_DEP_1)
	v_cmp_ne_u32_e64 s7, 0x7f800000, v14
                                        ; implicit-def: $vgpr14
	s_and_saveexec_b32 s9, s7
	s_wait_alu 0xfffe
	s_xor_b32 s7, exec_lo, s9
; %bb.167:
	v_bfe_u32 v14, v15, 16, 1
	s_delay_alu instid0(VALU_DEP_1)
	v_add3_u32 v14, v15, v14, 0x7fff
                                        ; implicit-def: $vgpr15
; %bb.168:
	s_wait_alu 0xfffe
	s_and_not1_saveexec_b32 s9, s7
; %bb.169:
	v_and_b32_e32 v14, 0xffff, v15
	v_or_b32_e32 v16, 0x10000, v15
	s_delay_alu instid0(VALU_DEP_2) | instskip(SKIP_1) | instid1(VALU_DEP_1)
	v_cmp_eq_u32_e64 s7, 0, v14
	s_wait_alu 0xf1ff
	v_cndmask_b32_e64 v14, v16, v15, s7
; %bb.170:
	s_wait_alu 0xfffe
	s_or_b32 exec_lo, exec_lo, s9
	v_lshlrev_b32_e32 v15, 16, v39
	s_delay_alu instid0(VALU_DEP_1) | instskip(NEXT) | instid1(VALU_DEP_1)
	v_add_f32_e32 v16, 0, v15
	v_and_b32_e32 v15, 0x7f800000, v16
	s_delay_alu instid0(VALU_DEP_1)
	v_cmp_ne_u32_e64 s7, 0x7f800000, v15
                                        ; implicit-def: $vgpr15
	s_and_saveexec_b32 s9, s7
	s_wait_alu 0xfffe
	s_xor_b32 s7, exec_lo, s9
; %bb.171:
	v_bfe_u32 v15, v16, 16, 1
	s_delay_alu instid0(VALU_DEP_1)
	v_add3_u32 v15, v16, v15, 0x7fff
                                        ; implicit-def: $vgpr16
; %bb.172:
	s_wait_alu 0xfffe
	s_and_not1_saveexec_b32 s9, s7
; %bb.173:
	v_and_b32_e32 v15, 0xffff, v16
	v_or_b32_e32 v23, 0x10000, v16
	s_delay_alu instid0(VALU_DEP_2) | instskip(SKIP_1) | instid1(VALU_DEP_1)
	v_cmp_eq_u32_e64 s7, 0, v15
	s_wait_alu 0xf1ff
	v_cndmask_b32_e64 v15, v23, v16, s7
; %bb.174:
	s_wait_alu 0xfffe
	s_or_b32 exec_lo, exec_lo, s9
	v_cmp_lt_i32_e64 s7, -1, v14
	s_delay_alu instid0(VALU_DEP_2)
	v_perm_b32 v14, v15, v14, 0x7060302
	v_dual_mov_b32 v50, v39 :: v_dual_mov_b32 v25, v31
	v_mov_b32_e32 v26, v32
	s_wait_alu 0xf1ff
	v_cndmask_b32_e64 v16, -1, 0xffff8000, s7
	v_cmp_lt_i32_e64 s7, -1, v15
	s_mov_b32 s9, exec_lo
	s_wait_alu 0xf1ff
	v_cndmask_b32_e64 v23, -1, 0xffff8000, s7
	s_delay_alu instid0(VALU_DEP_1) | instskip(NEXT) | instid1(VALU_DEP_1)
	v_perm_b32 v15, v23, v16, 0x5040100
	v_xor_b32_e32 v14, v15, v14
	s_delay_alu instid0(VALU_DEP_1) | instskip(NEXT) | instid1(VALU_DEP_1)
	v_lshrrev_b32_e32 v15, 16, v14
	v_cmpx_gt_u16_e64 v14, v15
; %bb.175:
	v_dual_mov_b32 v50, v37 :: v_dual_mov_b32 v37, v39
	v_dual_mov_b32 v26, v5 :: v_dual_mov_b32 v25, v4
	;; [unrolled: 1-line block ×3, first 2 shown]
; %bb.176:
	s_wait_alu 0xfffe
	s_or_b32 exec_lo, exec_lo, s9
	v_lshlrev_b32_e32 v14, 16, v49
	s_delay_alu instid0(VALU_DEP_1) | instskip(NEXT) | instid1(VALU_DEP_1)
	v_add_f32_e32 v15, 0, v14
	v_and_b32_e32 v14, 0x7f800000, v15
	s_delay_alu instid0(VALU_DEP_1)
	v_cmp_ne_u32_e64 s7, 0x7f800000, v14
                                        ; implicit-def: $vgpr14
	s_and_saveexec_b32 s9, s7
	s_wait_alu 0xfffe
	s_xor_b32 s7, exec_lo, s9
; %bb.177:
	v_bfe_u32 v14, v15, 16, 1
	s_delay_alu instid0(VALU_DEP_1)
	v_add3_u32 v14, v15, v14, 0x7fff
                                        ; implicit-def: $vgpr15
; %bb.178:
	s_wait_alu 0xfffe
	s_and_not1_saveexec_b32 s9, s7
; %bb.179:
	v_and_b32_e32 v14, 0xffff, v15
	v_or_b32_e32 v16, 0x10000, v15
	s_delay_alu instid0(VALU_DEP_2) | instskip(SKIP_1) | instid1(VALU_DEP_1)
	v_cmp_eq_u32_e64 s7, 0, v14
	s_wait_alu 0xf1ff
	v_cndmask_b32_e64 v14, v16, v15, s7
; %bb.180:
	s_wait_alu 0xfffe
	s_or_b32 exec_lo, exec_lo, s9
	v_lshlrev_b32_e32 v15, 16, v13
	s_delay_alu instid0(VALU_DEP_1) | instskip(NEXT) | instid1(VALU_DEP_1)
	v_add_f32_e32 v16, 0, v15
	v_and_b32_e32 v15, 0x7f800000, v16
	s_delay_alu instid0(VALU_DEP_1)
	v_cmp_ne_u32_e64 s7, 0x7f800000, v15
                                        ; implicit-def: $vgpr15
	s_and_saveexec_b32 s9, s7
	s_wait_alu 0xfffe
	s_xor_b32 s7, exec_lo, s9
; %bb.181:
	v_bfe_u32 v15, v16, 16, 1
	s_delay_alu instid0(VALU_DEP_1)
	v_add3_u32 v15, v16, v15, 0x7fff
                                        ; implicit-def: $vgpr16
; %bb.182:
	s_wait_alu 0xfffe
	s_and_not1_saveexec_b32 s9, s7
; %bb.183:
	v_and_b32_e32 v15, 0xffff, v16
	v_or_b32_e32 v23, 0x10000, v16
	s_delay_alu instid0(VALU_DEP_2) | instskip(SKIP_1) | instid1(VALU_DEP_1)
	v_cmp_eq_u32_e64 s7, 0, v15
	s_wait_alu 0xf1ff
	v_cndmask_b32_e64 v15, v23, v16, s7
; %bb.184:
	s_wait_alu 0xfffe
	s_or_b32 exec_lo, exec_lo, s9
	v_cmp_lt_i32_e64 s7, -1, v14
	s_delay_alu instid0(VALU_DEP_2)
	v_perm_b32 v14, v15, v14, 0x7060302
	v_dual_mov_b32 v39, v13 :: v_dual_mov_b32 v32, v28
	v_mov_b32_e32 v31, v27
	s_wait_alu 0xf1ff
	v_cndmask_b32_e64 v16, -1, 0xffff8000, s7
	v_cmp_lt_i32_e64 s7, -1, v15
	s_mov_b32 s9, exec_lo
	s_wait_alu 0xf1ff
	v_cndmask_b32_e64 v23, -1, 0xffff8000, s7
	s_delay_alu instid0(VALU_DEP_1) | instskip(NEXT) | instid1(VALU_DEP_1)
	v_perm_b32 v15, v23, v16, 0x5040100
	v_xor_b32_e32 v14, v15, v14
	s_delay_alu instid0(VALU_DEP_1) | instskip(NEXT) | instid1(VALU_DEP_1)
	v_lshrrev_b32_e32 v15, 16, v14
	v_cmpx_gt_u16_e64 v14, v15
; %bb.185:
	v_dual_mov_b32 v39, v49 :: v_dual_mov_b32 v32, v30
	v_mov_b32_e32 v49, v13
	v_dual_mov_b32 v31, v29 :: v_dual_mov_b32 v30, v28
	v_mov_b32_e32 v29, v27
; %bb.186:
	s_wait_alu 0xfffe
	s_or_b32 exec_lo, exec_lo, s9
	v_lshlrev_b32_e32 v13, 16, v52
	s_delay_alu instid0(VALU_DEP_1) | instskip(NEXT) | instid1(VALU_DEP_1)
	v_add_f32_e32 v14, 0, v13
	v_and_b32_e32 v13, 0x7f800000, v14
	s_delay_alu instid0(VALU_DEP_1)
	v_cmp_ne_u32_e64 s7, 0x7f800000, v13
                                        ; implicit-def: $vgpr13
	s_and_saveexec_b32 s9, s7
	s_wait_alu 0xfffe
	s_xor_b32 s7, exec_lo, s9
; %bb.187:
	v_bfe_u32 v13, v14, 16, 1
	s_delay_alu instid0(VALU_DEP_1)
	v_add3_u32 v13, v14, v13, 0x7fff
                                        ; implicit-def: $vgpr14
; %bb.188:
	s_wait_alu 0xfffe
	s_and_not1_saveexec_b32 s9, s7
; %bb.189:
	v_and_b32_e32 v13, 0xffff, v14
	v_or_b32_e32 v15, 0x10000, v14
	s_delay_alu instid0(VALU_DEP_2) | instskip(SKIP_1) | instid1(VALU_DEP_1)
	v_cmp_eq_u32_e64 s7, 0, v13
	s_wait_alu 0xf1ff
	v_cndmask_b32_e64 v13, v15, v14, s7
; %bb.190:
	s_wait_alu 0xfffe
	s_or_b32 exec_lo, exec_lo, s9
	v_lshlrev_b32_e32 v14, 16, v48
	s_delay_alu instid0(VALU_DEP_1) | instskip(NEXT) | instid1(VALU_DEP_1)
	v_add_f32_e32 v15, 0, v14
	v_and_b32_e32 v14, 0x7f800000, v15
	s_delay_alu instid0(VALU_DEP_1)
	v_cmp_ne_u32_e64 s7, 0x7f800000, v14
                                        ; implicit-def: $vgpr14
	s_and_saveexec_b32 s9, s7
	s_wait_alu 0xfffe
	s_xor_b32 s7, exec_lo, s9
; %bb.191:
	v_bfe_u32 v14, v15, 16, 1
	s_delay_alu instid0(VALU_DEP_1)
	v_add3_u32 v14, v15, v14, 0x7fff
                                        ; implicit-def: $vgpr15
; %bb.192:
	s_wait_alu 0xfffe
	s_and_not1_saveexec_b32 s9, s7
; %bb.193:
	v_and_b32_e32 v14, 0xffff, v15
	v_or_b32_e32 v16, 0x10000, v15
	s_delay_alu instid0(VALU_DEP_2) | instskip(SKIP_1) | instid1(VALU_DEP_1)
	v_cmp_eq_u32_e64 s7, 0, v14
	s_wait_alu 0xf1ff
	v_cndmask_b32_e64 v14, v16, v15, s7
; %bb.194:
	s_wait_alu 0xfffe
	s_or_b32 exec_lo, exec_lo, s9
	v_cmp_lt_i32_e64 s7, -1, v13
	s_delay_alu instid0(VALU_DEP_2)
	v_perm_b32 v13, v14, v13, 0x7060302
	v_mov_b32_e32 v53, v52
	s_mov_b32 s9, exec_lo
	s_wait_alu 0xf1ff
	v_cndmask_b32_e64 v15, -1, 0xffff8000, s7
	v_cmp_lt_i32_e64 s7, -1, v14
	s_wait_alu 0xf1ff
	s_delay_alu instid0(VALU_DEP_1) | instskip(NEXT) | instid1(VALU_DEP_1)
	v_cndmask_b32_e64 v16, -1, 0xffff8000, s7
	v_perm_b32 v14, v16, v15, 0x5040100
	v_dual_mov_b32 v15, v17 :: v_dual_mov_b32 v16, v18
	s_delay_alu instid0(VALU_DEP_2) | instskip(NEXT) | instid1(VALU_DEP_1)
	v_xor_b32_e32 v13, v14, v13
	v_lshrrev_b32_e32 v14, 16, v13
	s_delay_alu instid0(VALU_DEP_1)
	v_cmpx_gt_u16_e64 v13, v14
; %bb.195:
	v_dual_mov_b32 v15, v21 :: v_dual_mov_b32 v16, v22
	v_dual_mov_b32 v22, v18 :: v_dual_mov_b32 v21, v17
	v_dual_mov_b32 v53, v48 :: v_dual_mov_b32 v48, v52
; %bb.196:
	s_wait_alu 0xfffe
	s_or_b32 exec_lo, exec_lo, s9
	v_lshlrev_b32_e32 v13, 16, v51
	s_delay_alu instid0(VALU_DEP_1) | instskip(NEXT) | instid1(VALU_DEP_1)
	v_add_f32_e32 v14, 0, v13
	v_and_b32_e32 v13, 0x7f800000, v14
	s_delay_alu instid0(VALU_DEP_1)
	v_cmp_ne_u32_e64 s7, 0x7f800000, v13
                                        ; implicit-def: $vgpr13
	s_and_saveexec_b32 s9, s7
	s_wait_alu 0xfffe
	s_xor_b32 s7, exec_lo, s9
; %bb.197:
	v_bfe_u32 v13, v14, 16, 1
	s_delay_alu instid0(VALU_DEP_1)
	v_add3_u32 v13, v14, v13, 0x7fff
                                        ; implicit-def: $vgpr14
; %bb.198:
	s_wait_alu 0xfffe
	s_and_not1_saveexec_b32 s9, s7
; %bb.199:
	v_and_b32_e32 v13, 0xffff, v14
	v_or_b32_e32 v17, 0x10000, v14
	s_delay_alu instid0(VALU_DEP_2) | instskip(SKIP_1) | instid1(VALU_DEP_1)
	v_cmp_eq_u32_e64 s7, 0, v13
	s_wait_alu 0xf1ff
	v_cndmask_b32_e64 v13, v17, v14, s7
; %bb.200:
	s_wait_alu 0xfffe
	s_or_b32 exec_lo, exec_lo, s9
	v_lshlrev_b32_e32 v14, 16, v38
	s_delay_alu instid0(VALU_DEP_1) | instskip(NEXT) | instid1(VALU_DEP_1)
	v_add_f32_e32 v17, 0, v14
	v_and_b32_e32 v14, 0x7f800000, v17
	s_delay_alu instid0(VALU_DEP_1)
	v_cmp_ne_u32_e64 s7, 0x7f800000, v14
                                        ; implicit-def: $vgpr14
	s_and_saveexec_b32 s9, s7
	s_wait_alu 0xfffe
	s_xor_b32 s7, exec_lo, s9
; %bb.201:
	v_bfe_u32 v14, v17, 16, 1
	s_delay_alu instid0(VALU_DEP_1)
	v_add3_u32 v14, v17, v14, 0x7fff
                                        ; implicit-def: $vgpr17
; %bb.202:
	s_wait_alu 0xfffe
	s_and_not1_saveexec_b32 s9, s7
; %bb.203:
	v_and_b32_e32 v14, 0xffff, v17
	v_or_b32_e32 v18, 0x10000, v17
	s_delay_alu instid0(VALU_DEP_2) | instskip(SKIP_1) | instid1(VALU_DEP_1)
	v_cmp_eq_u32_e64 s7, 0, v14
	s_wait_alu 0xf1ff
	v_cndmask_b32_e64 v14, v18, v17, s7
; %bb.204:
	s_wait_alu 0xfffe
	s_or_b32 exec_lo, exec_lo, s9
	v_cmp_lt_i32_e64 s7, -1, v13
	s_delay_alu instid0(VALU_DEP_2)
	v_perm_b32 v13, v14, v13, 0x7060302
	v_mov_b32_e32 v52, v51
	s_mov_b32 s9, exec_lo
	s_wait_alu 0xf1ff
	v_cndmask_b32_e64 v17, -1, 0xffff8000, s7
	v_cmp_lt_i32_e64 s7, -1, v14
	s_wait_alu 0xf1ff
	s_delay_alu instid0(VALU_DEP_1) | instskip(NEXT) | instid1(VALU_DEP_1)
	v_cndmask_b32_e64 v18, -1, 0xffff8000, s7
	v_perm_b32 v14, v18, v17, 0x5040100
	s_delay_alu instid0(VALU_DEP_1) | instskip(SKIP_1) | instid1(VALU_DEP_2)
	v_xor_b32_e32 v17, v14, v13
	v_dual_mov_b32 v14, v9 :: v_dual_mov_b32 v13, v8
	v_lshrrev_b32_e32 v18, 16, v17
	s_delay_alu instid0(VALU_DEP_1)
	v_cmpx_gt_u16_e64 v17, v18
; %bb.205:
	v_dual_mov_b32 v13, v19 :: v_dual_mov_b32 v14, v20
	v_dual_mov_b32 v20, v9 :: v_dual_mov_b32 v19, v8
	v_mov_b32_e32 v52, v38
	v_mov_b32_e32 v38, v51
; %bb.206:
	s_wait_alu 0xfffe
	s_or_b32 exec_lo, exec_lo, s9
	v_lshlrev_b32_e32 v8, 16, v50
	s_delay_alu instid0(VALU_DEP_1) | instskip(NEXT) | instid1(VALU_DEP_1)
	v_add_f32_e32 v9, 0, v8
	v_and_b32_e32 v8, 0x7f800000, v9
	s_delay_alu instid0(VALU_DEP_1)
	v_cmp_ne_u32_e64 s7, 0x7f800000, v8
                                        ; implicit-def: $vgpr8
	s_and_saveexec_b32 s9, s7
	s_wait_alu 0xfffe
	s_xor_b32 s7, exec_lo, s9
; %bb.207:
	v_bfe_u32 v8, v9, 16, 1
	s_delay_alu instid0(VALU_DEP_1)
	v_add3_u32 v8, v9, v8, 0x7fff
                                        ; implicit-def: $vgpr9
; %bb.208:
	s_wait_alu 0xfffe
	s_and_not1_saveexec_b32 s9, s7
; %bb.209:
	v_and_b32_e32 v8, 0xffff, v9
	v_or_b32_e32 v17, 0x10000, v9
	s_delay_alu instid0(VALU_DEP_2) | instskip(SKIP_1) | instid1(VALU_DEP_1)
	v_cmp_eq_u32_e64 s7, 0, v8
	s_wait_alu 0xf1ff
	v_cndmask_b32_e64 v8, v17, v9, s7
; %bb.210:
	s_wait_alu 0xfffe
	s_or_b32 exec_lo, exec_lo, s9
	v_lshlrev_b32_e32 v9, 16, v49
	s_delay_alu instid0(VALU_DEP_1) | instskip(NEXT) | instid1(VALU_DEP_1)
	v_add_f32_e32 v17, 0, v9
	v_and_b32_e32 v9, 0x7f800000, v17
	s_delay_alu instid0(VALU_DEP_1)
	v_cmp_ne_u32_e64 s7, 0x7f800000, v9
                                        ; implicit-def: $vgpr9
	s_and_saveexec_b32 s9, s7
	s_wait_alu 0xfffe
	s_xor_b32 s7, exec_lo, s9
; %bb.211:
	v_bfe_u32 v9, v17, 16, 1
	s_delay_alu instid0(VALU_DEP_1)
	v_add3_u32 v9, v17, v9, 0x7fff
                                        ; implicit-def: $vgpr17
; %bb.212:
	s_wait_alu 0xfffe
	s_and_not1_saveexec_b32 s9, s7
; %bb.213:
	v_and_b32_e32 v9, 0xffff, v17
	v_or_b32_e32 v18, 0x10000, v17
	s_delay_alu instid0(VALU_DEP_2) | instskip(SKIP_1) | instid1(VALU_DEP_1)
	v_cmp_eq_u32_e64 s7, 0, v9
	s_wait_alu 0xf1ff
	v_cndmask_b32_e64 v9, v18, v17, s7
; %bb.214:
	s_wait_alu 0xfffe
	s_or_b32 exec_lo, exec_lo, s9
	v_cmp_lt_i32_e64 s7, -1, v8
	s_delay_alu instid0(VALU_DEP_2)
	v_perm_b32 v8, v9, v8, 0x7060302
	v_mov_b32_e32 v27, v29
	v_dual_mov_b32 v51, v49 :: v_dual_mov_b32 v28, v30
	s_wait_alu 0xf1ff
	v_cndmask_b32_e64 v17, -1, 0xffff8000, s7
	v_cmp_lt_i32_e64 s7, -1, v9
	s_mov_b32 s9, exec_lo
	s_wait_alu 0xf1ff
	v_cndmask_b32_e64 v18, -1, 0xffff8000, s7
	s_delay_alu instid0(VALU_DEP_1) | instskip(NEXT) | instid1(VALU_DEP_1)
	v_perm_b32 v9, v18, v17, 0x5040100
	v_xor_b32_e32 v8, v9, v8
	s_delay_alu instid0(VALU_DEP_1) | instskip(NEXT) | instid1(VALU_DEP_1)
	v_lshrrev_b32_e32 v9, 16, v8
	v_cmpx_gt_u16_e64 v8, v9
; %bb.215:
	v_dual_mov_b32 v51, v50 :: v_dual_mov_b32 v50, v49
	v_dual_mov_b32 v28, v26 :: v_dual_mov_b32 v27, v25
	v_dual_mov_b32 v25, v29 :: v_dual_mov_b32 v26, v30
; %bb.216:
	s_wait_alu 0xfffe
	s_or_b32 exec_lo, exec_lo, s9
	v_lshlrev_b32_e32 v8, 16, v39
	s_delay_alu instid0(VALU_DEP_1) | instskip(NEXT) | instid1(VALU_DEP_1)
	v_add_f32_e32 v9, 0, v8
	v_and_b32_e32 v8, 0x7f800000, v9
	s_delay_alu instid0(VALU_DEP_1)
	v_cmp_ne_u32_e64 s7, 0x7f800000, v8
                                        ; implicit-def: $vgpr8
	s_and_saveexec_b32 s9, s7
	s_wait_alu 0xfffe
	s_xor_b32 s7, exec_lo, s9
; %bb.217:
	v_bfe_u32 v8, v9, 16, 1
	s_delay_alu instid0(VALU_DEP_1)
	v_add3_u32 v8, v9, v8, 0x7fff
                                        ; implicit-def: $vgpr9
; %bb.218:
	s_wait_alu 0xfffe
	s_and_not1_saveexec_b32 s9, s7
; %bb.219:
	v_and_b32_e32 v8, 0xffff, v9
	v_or_b32_e32 v17, 0x10000, v9
	s_delay_alu instid0(VALU_DEP_2) | instskip(SKIP_1) | instid1(VALU_DEP_1)
	v_cmp_eq_u32_e64 s7, 0, v8
	s_wait_alu 0xf1ff
	v_cndmask_b32_e64 v8, v17, v9, s7
; %bb.220:
	s_wait_alu 0xfffe
	s_or_b32 exec_lo, exec_lo, s9
	v_lshlrev_b32_e32 v9, 16, v53
	s_delay_alu instid0(VALU_DEP_1) | instskip(NEXT) | instid1(VALU_DEP_1)
	v_add_f32_e32 v17, 0, v9
	v_and_b32_e32 v9, 0x7f800000, v17
	s_delay_alu instid0(VALU_DEP_1)
	v_cmp_ne_u32_e64 s7, 0x7f800000, v9
                                        ; implicit-def: $vgpr9
	s_and_saveexec_b32 s9, s7
	s_wait_alu 0xfffe
	s_xor_b32 s7, exec_lo, s9
; %bb.221:
	v_bfe_u32 v9, v17, 16, 1
	s_delay_alu instid0(VALU_DEP_1)
	v_add3_u32 v9, v17, v9, 0x7fff
                                        ; implicit-def: $vgpr17
; %bb.222:
	s_wait_alu 0xfffe
	s_and_not1_saveexec_b32 s9, s7
; %bb.223:
	v_and_b32_e32 v9, 0xffff, v17
	v_or_b32_e32 v18, 0x10000, v17
	s_delay_alu instid0(VALU_DEP_2) | instskip(SKIP_1) | instid1(VALU_DEP_1)
	v_cmp_eq_u32_e64 s7, 0, v9
	s_wait_alu 0xf1ff
	v_cndmask_b32_e64 v9, v18, v17, s7
; %bb.224:
	s_wait_alu 0xfffe
	s_or_b32 exec_lo, exec_lo, s9
	v_cmp_lt_i32_e64 s7, -1, v8
	s_delay_alu instid0(VALU_DEP_2)
	v_perm_b32 v8, v9, v8, 0x7060302
	v_dual_mov_b32 v29, v39 :: v_dual_mov_b32 v24, v22
	v_mov_b32_e32 v23, v21
	s_wait_alu 0xf1ff
	v_cndmask_b32_e64 v17, -1, 0xffff8000, s7
	v_cmp_lt_i32_e64 s7, -1, v9
	s_mov_b32 s9, exec_lo
	s_wait_alu 0xf1ff
	v_cndmask_b32_e64 v18, -1, 0xffff8000, s7
	s_delay_alu instid0(VALU_DEP_1) | instskip(NEXT) | instid1(VALU_DEP_1)
	v_perm_b32 v9, v18, v17, 0x5040100
	v_xor_b32_e32 v8, v9, v8
	s_delay_alu instid0(VALU_DEP_1) | instskip(NEXT) | instid1(VALU_DEP_1)
	v_lshrrev_b32_e32 v9, 16, v8
	v_cmpx_gt_u16_e64 v8, v9
; %bb.225:
	v_mov_b32_e32 v23, v31
	v_dual_mov_b32 v29, v53 :: v_dual_mov_b32 v24, v32
	v_dual_mov_b32 v32, v22 :: v_dual_mov_b32 v31, v21
	v_mov_b32_e32 v53, v39
; %bb.226:
	s_wait_alu 0xfffe
	s_or_b32 exec_lo, exec_lo, s9
	v_lshlrev_b32_e32 v8, 16, v48
	s_delay_alu instid0(VALU_DEP_1) | instskip(NEXT) | instid1(VALU_DEP_1)
	v_add_f32_e32 v9, 0, v8
	v_and_b32_e32 v8, 0x7f800000, v9
	s_delay_alu instid0(VALU_DEP_1)
	v_cmp_ne_u32_e64 s7, 0x7f800000, v8
                                        ; implicit-def: $vgpr8
	s_and_saveexec_b32 s9, s7
	s_wait_alu 0xfffe
	s_xor_b32 s7, exec_lo, s9
; %bb.227:
	v_bfe_u32 v8, v9, 16, 1
	s_delay_alu instid0(VALU_DEP_1)
	v_add3_u32 v8, v9, v8, 0x7fff
                                        ; implicit-def: $vgpr9
; %bb.228:
	s_wait_alu 0xfffe
	s_and_not1_saveexec_b32 s9, s7
; %bb.229:
	v_and_b32_e32 v8, 0xffff, v9
	v_or_b32_e32 v17, 0x10000, v9
	s_delay_alu instid0(VALU_DEP_2) | instskip(SKIP_1) | instid1(VALU_DEP_1)
	v_cmp_eq_u32_e64 s7, 0, v8
	s_wait_alu 0xf1ff
	v_cndmask_b32_e64 v8, v17, v9, s7
; %bb.230:
	s_wait_alu 0xfffe
	s_or_b32 exec_lo, exec_lo, s9
	v_lshlrev_b32_e32 v9, 16, v52
	s_delay_alu instid0(VALU_DEP_1) | instskip(NEXT) | instid1(VALU_DEP_1)
	v_add_f32_e32 v17, 0, v9
	v_and_b32_e32 v9, 0x7f800000, v17
	s_delay_alu instid0(VALU_DEP_1)
	v_cmp_ne_u32_e64 s7, 0x7f800000, v9
                                        ; implicit-def: $vgpr9
	s_and_saveexec_b32 s9, s7
	s_wait_alu 0xfffe
	s_xor_b32 s7, exec_lo, s9
; %bb.231:
	v_bfe_u32 v9, v17, 16, 1
	s_delay_alu instid0(VALU_DEP_1)
	v_add3_u32 v9, v17, v9, 0x7fff
                                        ; implicit-def: $vgpr17
; %bb.232:
	s_wait_alu 0xfffe
	s_and_not1_saveexec_b32 s9, s7
; %bb.233:
	v_and_b32_e32 v9, 0xffff, v17
	v_or_b32_e32 v18, 0x10000, v17
	s_delay_alu instid0(VALU_DEP_2) | instskip(SKIP_1) | instid1(VALU_DEP_1)
	v_cmp_eq_u32_e64 s7, 0, v9
	s_wait_alu 0xf1ff
	v_cndmask_b32_e64 v9, v18, v17, s7
; %bb.234:
	s_wait_alu 0xfffe
	s_or_b32 exec_lo, exec_lo, s9
	v_cmp_lt_i32_e64 s7, -1, v8
	s_delay_alu instid0(VALU_DEP_2)
	v_perm_b32 v8, v9, v8, 0x7060302
	v_dual_mov_b32 v22, v20 :: v_dual_mov_b32 v21, v19
	v_mov_b32_e32 v39, v48
	s_wait_alu 0xf1ff
	v_cndmask_b32_e64 v17, -1, 0xffff8000, s7
	v_cmp_lt_i32_e64 s7, -1, v9
	s_mov_b32 s9, exec_lo
	s_wait_alu 0xf1ff
	v_cndmask_b32_e64 v18, -1, 0xffff8000, s7
	s_delay_alu instid0(VALU_DEP_1) | instskip(NEXT) | instid1(VALU_DEP_1)
	v_perm_b32 v9, v18, v17, 0x5040100
	v_xor_b32_e32 v8, v9, v8
	s_delay_alu instid0(VALU_DEP_1) | instskip(NEXT) | instid1(VALU_DEP_1)
	v_lshrrev_b32_e32 v9, 16, v8
	v_cmpx_gt_u16_e64 v8, v9
; %bb.235:
	v_dual_mov_b32 v22, v16 :: v_dual_mov_b32 v21, v15
	v_dual_mov_b32 v15, v19 :: v_dual_mov_b32 v16, v20
	;; [unrolled: 1-line block ×3, first 2 shown]
; %bb.236:
	s_wait_alu 0xfffe
	s_or_b32 exec_lo, exec_lo, s9
	v_lshlrev_b32_e32 v8, 16, v37
	s_delay_alu instid0(VALU_DEP_1) | instskip(NEXT) | instid1(VALU_DEP_1)
	v_add_f32_e32 v9, 0, v8
	v_and_b32_e32 v8, 0x7f800000, v9
	s_delay_alu instid0(VALU_DEP_1)
	v_cmp_ne_u32_e64 s7, 0x7f800000, v8
                                        ; implicit-def: $vgpr8
	s_and_saveexec_b32 s9, s7
	s_wait_alu 0xfffe
	s_xor_b32 s7, exec_lo, s9
; %bb.237:
	v_bfe_u32 v8, v9, 16, 1
	s_delay_alu instid0(VALU_DEP_1)
	v_add3_u32 v8, v9, v8, 0x7fff
                                        ; implicit-def: $vgpr9
; %bb.238:
	s_wait_alu 0xfffe
	s_and_not1_saveexec_b32 s9, s7
; %bb.239:
	v_and_b32_e32 v8, 0xffff, v9
	v_or_b32_e32 v17, 0x10000, v9
	s_delay_alu instid0(VALU_DEP_2) | instskip(SKIP_1) | instid1(VALU_DEP_1)
	v_cmp_eq_u32_e64 s7, 0, v8
	s_wait_alu 0xf1ff
	v_cndmask_b32_e64 v8, v17, v9, s7
; %bb.240:
	s_wait_alu 0xfffe
	s_or_b32 exec_lo, exec_lo, s9
	v_lshlrev_b32_e32 v9, 16, v50
	s_delay_alu instid0(VALU_DEP_1) | instskip(NEXT) | instid1(VALU_DEP_1)
	v_add_f32_e32 v17, 0, v9
	v_and_b32_e32 v9, 0x7f800000, v17
	s_delay_alu instid0(VALU_DEP_1)
	v_cmp_ne_u32_e64 s7, 0x7f800000, v9
                                        ; implicit-def: $vgpr9
	s_and_saveexec_b32 s9, s7
	s_wait_alu 0xfffe
	s_xor_b32 s7, exec_lo, s9
; %bb.241:
	v_bfe_u32 v9, v17, 16, 1
	s_delay_alu instid0(VALU_DEP_1)
	v_add3_u32 v9, v17, v9, 0x7fff
                                        ; implicit-def: $vgpr17
; %bb.242:
	s_wait_alu 0xfffe
	s_and_not1_saveexec_b32 s9, s7
; %bb.243:
	v_and_b32_e32 v9, 0xffff, v17
	v_or_b32_e32 v18, 0x10000, v17
	s_delay_alu instid0(VALU_DEP_2) | instskip(SKIP_1) | instid1(VALU_DEP_1)
	v_cmp_eq_u32_e64 s7, 0, v9
	s_wait_alu 0xf1ff
	v_cndmask_b32_e64 v9, v18, v17, s7
; %bb.244:
	s_wait_alu 0xfffe
	s_or_b32 exec_lo, exec_lo, s9
	v_cmp_lt_i32_e64 s7, -1, v8
	s_delay_alu instid0(VALU_DEP_2) | instskip(SKIP_2) | instid1(VALU_DEP_3)
	v_perm_b32 v8, v9, v8, 0x7060302
	v_mov_b32_e32 v48, v50
	s_wait_alu 0xf1ff
	v_cndmask_b32_e64 v17, -1, 0xffff8000, s7
	v_cmp_lt_i32_e64 s7, -1, v9
	s_wait_alu 0xf1ff
	s_delay_alu instid0(VALU_DEP_1) | instskip(NEXT) | instid1(VALU_DEP_1)
	v_cndmask_b32_e64 v18, -1, 0xffff8000, s7
	v_perm_b32 v9, v18, v17, 0x5040100
	s_delay_alu instid0(VALU_DEP_1) | instskip(NEXT) | instid1(VALU_DEP_1)
	v_xor_b32_e32 v8, v9, v8
	v_lshrrev_b32_e32 v9, 16, v8
	s_delay_alu instid0(VALU_DEP_1)
	v_cmp_gt_u16_e64 s7, v8, v9
	v_dual_mov_b32 v8, v25 :: v_dual_mov_b32 v9, v26
	s_and_saveexec_b32 s9, s7
; %bb.245:
	v_dual_mov_b32 v48, v37 :: v_dual_mov_b32 v37, v50
	v_dual_mov_b32 v9, v5 :: v_dual_mov_b32 v8, v4
	;; [unrolled: 1-line block ×3, first 2 shown]
; %bb.246:
	s_wait_alu 0xfffe
	s_or_b32 exec_lo, exec_lo, s9
	v_lshlrev_b32_e32 v17, 16, v51
	s_delay_alu instid0(VALU_DEP_1) | instskip(NEXT) | instid1(VALU_DEP_1)
	v_add_f32_e32 v18, 0, v17
	v_and_b32_e32 v17, 0x7f800000, v18
	s_delay_alu instid0(VALU_DEP_1)
	v_cmp_ne_u32_e64 s7, 0x7f800000, v17
                                        ; implicit-def: $vgpr17
	s_and_saveexec_b32 s9, s7
	s_wait_alu 0xfffe
	s_xor_b32 s7, exec_lo, s9
; %bb.247:
	v_bfe_u32 v17, v18, 16, 1
	s_delay_alu instid0(VALU_DEP_1)
	v_add3_u32 v17, v18, v17, 0x7fff
                                        ; implicit-def: $vgpr18
; %bb.248:
	s_wait_alu 0xfffe
	s_and_not1_saveexec_b32 s9, s7
; %bb.249:
	v_and_b32_e32 v17, 0xffff, v18
	v_or_b32_e32 v19, 0x10000, v18
	s_delay_alu instid0(VALU_DEP_2) | instskip(SKIP_1) | instid1(VALU_DEP_1)
	v_cmp_eq_u32_e64 s7, 0, v17
	s_wait_alu 0xf1ff
	v_cndmask_b32_e64 v17, v19, v18, s7
; %bb.250:
	s_wait_alu 0xfffe
	s_or_b32 exec_lo, exec_lo, s9
	v_lshlrev_b32_e32 v18, 16, v29
	s_delay_alu instid0(VALU_DEP_1) | instskip(NEXT) | instid1(VALU_DEP_1)
	v_add_f32_e32 v19, 0, v18
	v_and_b32_e32 v18, 0x7f800000, v19
	s_delay_alu instid0(VALU_DEP_1)
	v_cmp_ne_u32_e64 s7, 0x7f800000, v18
                                        ; implicit-def: $vgpr18
	s_and_saveexec_b32 s9, s7
	s_wait_alu 0xfffe
	s_xor_b32 s7, exec_lo, s9
; %bb.251:
	v_bfe_u32 v18, v19, 16, 1
	s_delay_alu instid0(VALU_DEP_1)
	v_add3_u32 v18, v19, v18, 0x7fff
                                        ; implicit-def: $vgpr19
; %bb.252:
	s_wait_alu 0xfffe
	s_and_not1_saveexec_b32 s9, s7
; %bb.253:
	v_and_b32_e32 v18, 0xffff, v19
	v_or_b32_e32 v20, 0x10000, v19
	s_delay_alu instid0(VALU_DEP_2) | instskip(SKIP_1) | instid1(VALU_DEP_1)
	v_cmp_eq_u32_e64 s7, 0, v18
	s_wait_alu 0xf1ff
	v_cndmask_b32_e64 v18, v20, v19, s7
; %bb.254:
	s_wait_alu 0xfffe
	s_or_b32 exec_lo, exec_lo, s9
	v_cmp_lt_i32_e64 s7, -1, v17
	s_delay_alu instid0(VALU_DEP_2) | instskip(SKIP_2) | instid1(VALU_DEP_3)
	v_perm_b32 v17, v18, v17, 0x7060302
	v_mov_b32_e32 v50, v29
	s_wait_alu 0xf1ff
	v_cndmask_b32_e64 v19, -1, 0xffff8000, s7
	v_cmp_lt_i32_e64 s7, -1, v18
	s_wait_alu 0xf1ff
	s_delay_alu instid0(VALU_DEP_1) | instskip(NEXT) | instid1(VALU_DEP_1)
	v_cndmask_b32_e64 v20, -1, 0xffff8000, s7
	v_perm_b32 v18, v20, v19, 0x5040100
	s_delay_alu instid0(VALU_DEP_1) | instskip(NEXT) | instid1(VALU_DEP_1)
	v_xor_b32_e32 v17, v18, v17
	v_lshrrev_b32_e32 v18, 16, v17
	s_delay_alu instid0(VALU_DEP_1)
	v_cmp_gt_u16_e64 s7, v17, v18
	v_dual_mov_b32 v17, v31 :: v_dual_mov_b32 v18, v32
	s_and_saveexec_b32 s9, s7
; %bb.255:
	v_dual_mov_b32 v50, v51 :: v_dual_mov_b32 v51, v29
	v_dual_mov_b32 v17, v27 :: v_dual_mov_b32 v18, v28
	;; [unrolled: 1-line block ×3, first 2 shown]
; %bb.256:
	s_wait_alu 0xfffe
	s_or_b32 exec_lo, exec_lo, s9
	v_lshlrev_b32_e32 v19, 16, v53
	s_delay_alu instid0(VALU_DEP_1) | instskip(NEXT) | instid1(VALU_DEP_1)
	v_add_f32_e32 v20, 0, v19
	v_and_b32_e32 v19, 0x7f800000, v20
	s_delay_alu instid0(VALU_DEP_1)
	v_cmp_ne_u32_e64 s7, 0x7f800000, v19
                                        ; implicit-def: $vgpr19
	s_and_saveexec_b32 s9, s7
	s_wait_alu 0xfffe
	s_xor_b32 s7, exec_lo, s9
; %bb.257:
	v_bfe_u32 v19, v20, 16, 1
	s_delay_alu instid0(VALU_DEP_1)
	v_add3_u32 v19, v20, v19, 0x7fff
                                        ; implicit-def: $vgpr20
; %bb.258:
	s_wait_alu 0xfffe
	s_and_not1_saveexec_b32 s9, s7
; %bb.259:
	v_and_b32_e32 v19, 0xffff, v20
	v_or_b32_e32 v25, 0x10000, v20
	s_delay_alu instid0(VALU_DEP_2) | instskip(SKIP_1) | instid1(VALU_DEP_1)
	v_cmp_eq_u32_e64 s7, 0, v19
	s_wait_alu 0xf1ff
	v_cndmask_b32_e64 v19, v25, v20, s7
; %bb.260:
	s_wait_alu 0xfffe
	s_or_b32 exec_lo, exec_lo, s9
	v_lshlrev_b32_e32 v20, 16, v39
	s_delay_alu instid0(VALU_DEP_1) | instskip(NEXT) | instid1(VALU_DEP_1)
	v_add_f32_e32 v25, 0, v20
	v_and_b32_e32 v20, 0x7f800000, v25
	s_delay_alu instid0(VALU_DEP_1)
	v_cmp_ne_u32_e64 s7, 0x7f800000, v20
                                        ; implicit-def: $vgpr20
	s_and_saveexec_b32 s9, s7
	s_wait_alu 0xfffe
	s_xor_b32 s7, exec_lo, s9
; %bb.261:
	v_bfe_u32 v20, v25, 16, 1
	s_delay_alu instid0(VALU_DEP_1)
	v_add3_u32 v20, v25, v20, 0x7fff
                                        ; implicit-def: $vgpr25
; %bb.262:
	s_wait_alu 0xfffe
	s_and_not1_saveexec_b32 s9, s7
; %bb.263:
	v_and_b32_e32 v20, 0xffff, v25
	v_or_b32_e32 v26, 0x10000, v25
	s_delay_alu instid0(VALU_DEP_2) | instskip(SKIP_1) | instid1(VALU_DEP_1)
	v_cmp_eq_u32_e64 s7, 0, v20
	s_wait_alu 0xf1ff
	v_cndmask_b32_e64 v20, v26, v25, s7
; %bb.264:
	s_wait_alu 0xfffe
	s_or_b32 exec_lo, exec_lo, s9
	v_cmp_lt_i32_e64 s7, -1, v19
	s_delay_alu instid0(VALU_DEP_2)
	v_perm_b32 v19, v20, v19, 0x7060302
	v_dual_mov_b32 v30, v16 :: v_dual_mov_b32 v29, v15
	v_mov_b32_e32 v49, v53
	s_wait_alu 0xf1ff
	v_cndmask_b32_e64 v25, -1, 0xffff8000, s7
	v_cmp_lt_i32_e64 s7, -1, v20
	s_mov_b32 s9, exec_lo
	s_wait_alu 0xf1ff
	v_cndmask_b32_e64 v26, -1, 0xffff8000, s7
	s_delay_alu instid0(VALU_DEP_1) | instskip(NEXT) | instid1(VALU_DEP_1)
	v_perm_b32 v20, v26, v25, 0x5040100
	v_xor_b32_e32 v19, v20, v19
	s_delay_alu instid0(VALU_DEP_1) | instskip(NEXT) | instid1(VALU_DEP_1)
	v_lshrrev_b32_e32 v20, 16, v19
	v_cmpx_gt_u16_e64 v19, v20
; %bb.265:
	v_dual_mov_b32 v30, v24 :: v_dual_mov_b32 v29, v23
	v_dual_mov_b32 v24, v16 :: v_dual_mov_b32 v23, v15
	v_mov_b32_e32 v49, v39
	v_mov_b32_e32 v39, v53
; %bb.266:
	s_wait_alu 0xfffe
	s_or_b32 exec_lo, exec_lo, s9
	v_lshlrev_b32_e32 v15, 16, v52
	s_delay_alu instid0(VALU_DEP_1) | instskip(NEXT) | instid1(VALU_DEP_1)
	v_add_f32_e32 v16, 0, v15
	v_and_b32_e32 v15, 0x7f800000, v16
	s_delay_alu instid0(VALU_DEP_1)
	v_cmp_ne_u32_e64 s7, 0x7f800000, v15
                                        ; implicit-def: $vgpr15
	s_and_saveexec_b32 s9, s7
	s_wait_alu 0xfffe
	s_xor_b32 s7, exec_lo, s9
; %bb.267:
	v_bfe_u32 v15, v16, 16, 1
	s_delay_alu instid0(VALU_DEP_1)
	v_add3_u32 v15, v16, v15, 0x7fff
                                        ; implicit-def: $vgpr16
; %bb.268:
	s_wait_alu 0xfffe
	s_and_not1_saveexec_b32 s9, s7
; %bb.269:
	v_and_b32_e32 v15, 0xffff, v16
	v_or_b32_e32 v19, 0x10000, v16
	s_delay_alu instid0(VALU_DEP_2) | instskip(SKIP_1) | instid1(VALU_DEP_1)
	v_cmp_eq_u32_e64 s7, 0, v15
	s_wait_alu 0xf1ff
	v_cndmask_b32_e64 v15, v19, v16, s7
; %bb.270:
	s_wait_alu 0xfffe
	s_or_b32 exec_lo, exec_lo, s9
	v_lshlrev_b32_e32 v16, 16, v38
	s_delay_alu instid0(VALU_DEP_1) | instskip(NEXT) | instid1(VALU_DEP_1)
	v_add_f32_e32 v19, 0, v16
	v_and_b32_e32 v16, 0x7f800000, v19
	s_delay_alu instid0(VALU_DEP_1)
	v_cmp_ne_u32_e64 s7, 0x7f800000, v16
                                        ; implicit-def: $vgpr16
	s_and_saveexec_b32 s9, s7
	s_wait_alu 0xfffe
	s_xor_b32 s7, exec_lo, s9
; %bb.271:
	v_bfe_u32 v16, v19, 16, 1
	s_delay_alu instid0(VALU_DEP_1)
	v_add3_u32 v16, v19, v16, 0x7fff
                                        ; implicit-def: $vgpr19
; %bb.272:
	s_wait_alu 0xfffe
	s_and_not1_saveexec_b32 s9, s7
; %bb.273:
	v_and_b32_e32 v16, 0xffff, v19
	v_or_b32_e32 v20, 0x10000, v19
	s_delay_alu instid0(VALU_DEP_2) | instskip(SKIP_1) | instid1(VALU_DEP_1)
	v_cmp_eq_u32_e64 s7, 0, v16
	s_wait_alu 0xf1ff
	v_cndmask_b32_e64 v16, v20, v19, s7
; %bb.274:
	s_wait_alu 0xfffe
	s_or_b32 exec_lo, exec_lo, s9
	v_cmp_lt_i32_e64 s7, -1, v15
	s_delay_alu instid0(VALU_DEP_2)
	v_perm_b32 v15, v16, v15, 0x7060302
	v_dual_mov_b32 v26, v14 :: v_dual_mov_b32 v25, v13
	v_mov_b32_e32 v31, v52
	s_wait_alu 0xf1ff
	v_cndmask_b32_e64 v19, -1, 0xffff8000, s7
	v_cmp_lt_i32_e64 s7, -1, v16
	s_mov_b32 s9, exec_lo
	s_wait_alu 0xf1ff
	v_cndmask_b32_e64 v20, -1, 0xffff8000, s7
	s_delay_alu instid0(VALU_DEP_1) | instskip(NEXT) | instid1(VALU_DEP_1)
	v_perm_b32 v16, v20, v19, 0x5040100
	v_xor_b32_e32 v15, v16, v15
	s_delay_alu instid0(VALU_DEP_1) | instskip(NEXT) | instid1(VALU_DEP_1)
	v_lshrrev_b32_e32 v16, 16, v15
	v_cmpx_gt_u16_e64 v15, v16
; %bb.275:
	v_dual_mov_b32 v26, v22 :: v_dual_mov_b32 v25, v21
	v_dual_mov_b32 v22, v14 :: v_dual_mov_b32 v21, v13
	;; [unrolled: 1-line block ×3, first 2 shown]
; %bb.276:
	s_wait_alu 0xfffe
	s_or_b32 exec_lo, exec_lo, s9
	v_lshlrev_b32_e32 v13, 16, v48
	s_delay_alu instid0(VALU_DEP_1) | instskip(NEXT) | instid1(VALU_DEP_1)
	v_add_f32_e32 v14, 0, v13
	v_and_b32_e32 v13, 0x7f800000, v14
	s_delay_alu instid0(VALU_DEP_1)
	v_cmp_ne_u32_e64 s7, 0x7f800000, v13
                                        ; implicit-def: $vgpr13
	s_and_saveexec_b32 s9, s7
	s_wait_alu 0xfffe
	s_xor_b32 s7, exec_lo, s9
; %bb.277:
	v_bfe_u32 v13, v14, 16, 1
	s_delay_alu instid0(VALU_DEP_1)
	v_add3_u32 v13, v14, v13, 0x7fff
                                        ; implicit-def: $vgpr14
; %bb.278:
	s_wait_alu 0xfffe
	s_and_not1_saveexec_b32 s9, s7
; %bb.279:
	v_and_b32_e32 v13, 0xffff, v14
	v_or_b32_e32 v15, 0x10000, v14
	s_delay_alu instid0(VALU_DEP_2) | instskip(SKIP_1) | instid1(VALU_DEP_1)
	v_cmp_eq_u32_e64 s7, 0, v13
	s_wait_alu 0xf1ff
	v_cndmask_b32_e64 v13, v15, v14, s7
; %bb.280:
	s_wait_alu 0xfffe
	s_or_b32 exec_lo, exec_lo, s9
	v_lshlrev_b32_e32 v14, 16, v51
	s_delay_alu instid0(VALU_DEP_1) | instskip(NEXT) | instid1(VALU_DEP_1)
	v_add_f32_e32 v15, 0, v14
	v_and_b32_e32 v14, 0x7f800000, v15
	s_delay_alu instid0(VALU_DEP_1)
	v_cmp_ne_u32_e64 s7, 0x7f800000, v14
                                        ; implicit-def: $vgpr14
	s_and_saveexec_b32 s9, s7
	s_wait_alu 0xfffe
	s_xor_b32 s7, exec_lo, s9
; %bb.281:
	v_bfe_u32 v14, v15, 16, 1
	s_delay_alu instid0(VALU_DEP_1)
	v_add3_u32 v14, v15, v14, 0x7fff
                                        ; implicit-def: $vgpr15
; %bb.282:
	s_wait_alu 0xfffe
	s_and_not1_saveexec_b32 s9, s7
; %bb.283:
	v_and_b32_e32 v14, 0xffff, v15
	v_or_b32_e32 v16, 0x10000, v15
	s_delay_alu instid0(VALU_DEP_2) | instskip(SKIP_1) | instid1(VALU_DEP_1)
	v_cmp_eq_u32_e64 s7, 0, v14
	s_wait_alu 0xf1ff
	v_cndmask_b32_e64 v14, v16, v15, s7
; %bb.284:
	s_wait_alu 0xfffe
	s_or_b32 exec_lo, exec_lo, s9
	v_cmp_lt_i32_e64 s7, -1, v13
	s_delay_alu instid0(VALU_DEP_2)
	v_perm_b32 v13, v14, v13, 0x7060302
	v_mov_b32_e32 v32, v51
	s_mov_b32 s9, exec_lo
	s_wait_alu 0xf1ff
	v_cndmask_b32_e64 v15, -1, 0xffff8000, s7
	v_cmp_lt_i32_e64 s7, -1, v14
	s_wait_alu 0xf1ff
	s_delay_alu instid0(VALU_DEP_1) | instskip(NEXT) | instid1(VALU_DEP_1)
	v_cndmask_b32_e64 v16, -1, 0xffff8000, s7
	v_perm_b32 v14, v16, v15, 0x5040100
	v_dual_mov_b32 v15, v27 :: v_dual_mov_b32 v16, v28
	s_delay_alu instid0(VALU_DEP_2) | instskip(NEXT) | instid1(VALU_DEP_1)
	v_xor_b32_e32 v13, v14, v13
	v_lshrrev_b32_e32 v14, 16, v13
	s_delay_alu instid0(VALU_DEP_1)
	v_cmpx_gt_u16_e64 v13, v14
; %bb.285:
	v_mov_b32_e32 v16, v9
	v_dual_mov_b32 v32, v48 :: v_dual_mov_b32 v15, v8
	v_mov_b32_e32 v8, v27
	v_dual_mov_b32 v48, v51 :: v_dual_mov_b32 v9, v28
; %bb.286:
	s_wait_alu 0xfffe
	s_or_b32 exec_lo, exec_lo, s9
	v_lshlrev_b32_e32 v13, 16, v50
	s_delay_alu instid0(VALU_DEP_1) | instskip(NEXT) | instid1(VALU_DEP_1)
	v_add_f32_e32 v14, 0, v13
	v_and_b32_e32 v13, 0x7f800000, v14
	s_delay_alu instid0(VALU_DEP_1)
	v_cmp_ne_u32_e64 s7, 0x7f800000, v13
                                        ; implicit-def: $vgpr13
	s_and_saveexec_b32 s9, s7
	s_wait_alu 0xfffe
	s_xor_b32 s7, exec_lo, s9
; %bb.287:
	v_bfe_u32 v13, v14, 16, 1
	s_delay_alu instid0(VALU_DEP_1)
	v_add3_u32 v13, v14, v13, 0x7fff
                                        ; implicit-def: $vgpr14
; %bb.288:
	s_wait_alu 0xfffe
	s_and_not1_saveexec_b32 s9, s7
; %bb.289:
	v_and_b32_e32 v13, 0xffff, v14
	v_or_b32_e32 v19, 0x10000, v14
	s_delay_alu instid0(VALU_DEP_2) | instskip(SKIP_1) | instid1(VALU_DEP_1)
	v_cmp_eq_u32_e64 s7, 0, v13
	s_wait_alu 0xf1ff
	v_cndmask_b32_e64 v13, v19, v14, s7
; %bb.290:
	s_wait_alu 0xfffe
	s_or_b32 exec_lo, exec_lo, s9
	v_lshlrev_b32_e32 v14, 16, v49
	s_delay_alu instid0(VALU_DEP_1) | instskip(NEXT) | instid1(VALU_DEP_1)
	v_add_f32_e32 v19, 0, v14
	v_and_b32_e32 v14, 0x7f800000, v19
	s_delay_alu instid0(VALU_DEP_1)
	v_cmp_ne_u32_e64 s7, 0x7f800000, v14
                                        ; implicit-def: $vgpr14
	s_and_saveexec_b32 s9, s7
	s_wait_alu 0xfffe
	s_xor_b32 s7, exec_lo, s9
; %bb.291:
	v_bfe_u32 v14, v19, 16, 1
	s_delay_alu instid0(VALU_DEP_1)
	v_add3_u32 v14, v19, v14, 0x7fff
                                        ; implicit-def: $vgpr19
; %bb.292:
	s_wait_alu 0xfffe
	s_and_not1_saveexec_b32 s9, s7
; %bb.293:
	v_and_b32_e32 v14, 0xffff, v19
	v_or_b32_e32 v20, 0x10000, v19
	s_delay_alu instid0(VALU_DEP_2) | instskip(SKIP_1) | instid1(VALU_DEP_1)
	v_cmp_eq_u32_e64 s7, 0, v14
	s_wait_alu 0xf1ff
	v_cndmask_b32_e64 v14, v20, v19, s7
; %bb.294:
	s_wait_alu 0xfffe
	s_or_b32 exec_lo, exec_lo, s9
	v_cmp_lt_i32_e64 s7, -1, v13
	s_delay_alu instid0(VALU_DEP_2)
	v_perm_b32 v13, v14, v13, 0x7060302
	v_mov_b32_e32 v51, v50
	s_mov_b32 s9, exec_lo
	s_wait_alu 0xf1ff
	v_cndmask_b32_e64 v19, -1, 0xffff8000, s7
	v_cmp_lt_i32_e64 s7, -1, v14
	s_wait_alu 0xf1ff
	s_delay_alu instid0(VALU_DEP_1) | instskip(NEXT) | instid1(VALU_DEP_1)
	v_cndmask_b32_e64 v20, -1, 0xffff8000, s7
	v_perm_b32 v14, v20, v19, 0x5040100
	v_dual_mov_b32 v19, v23 :: v_dual_mov_b32 v20, v24
	s_delay_alu instid0(VALU_DEP_2) | instskip(NEXT) | instid1(VALU_DEP_1)
	v_xor_b32_e32 v13, v14, v13
	v_lshrrev_b32_e32 v14, 16, v13
	s_delay_alu instid0(VALU_DEP_1)
	v_cmpx_gt_u16_e64 v13, v14
; %bb.295:
	v_dual_mov_b32 v51, v49 :: v_dual_mov_b32 v20, v18
	v_mov_b32_e32 v19, v17
	v_dual_mov_b32 v17, v23 :: v_dual_mov_b32 v18, v24
	v_mov_b32_e32 v49, v50
; %bb.296:
	s_wait_alu 0xfffe
	s_or_b32 exec_lo, exec_lo, s9
	v_lshlrev_b32_e32 v13, 16, v39
	s_delay_alu instid0(VALU_DEP_1) | instskip(NEXT) | instid1(VALU_DEP_1)
	v_add_f32_e32 v14, 0, v13
	v_and_b32_e32 v13, 0x7f800000, v14
	s_delay_alu instid0(VALU_DEP_1)
	v_cmp_ne_u32_e64 s7, 0x7f800000, v13
                                        ; implicit-def: $vgpr13
	s_and_saveexec_b32 s9, s7
	s_wait_alu 0xfffe
	s_xor_b32 s7, exec_lo, s9
; %bb.297:
	v_bfe_u32 v13, v14, 16, 1
	s_delay_alu instid0(VALU_DEP_1)
	v_add3_u32 v13, v14, v13, 0x7fff
                                        ; implicit-def: $vgpr14
; %bb.298:
	s_wait_alu 0xfffe
	s_and_not1_saveexec_b32 s9, s7
; %bb.299:
	v_and_b32_e32 v13, 0xffff, v14
	v_or_b32_e32 v23, 0x10000, v14
	s_delay_alu instid0(VALU_DEP_2) | instskip(SKIP_1) | instid1(VALU_DEP_1)
	v_cmp_eq_u32_e64 s7, 0, v13
	s_wait_alu 0xf1ff
	v_cndmask_b32_e64 v13, v23, v14, s7
; %bb.300:
	s_wait_alu 0xfffe
	s_or_b32 exec_lo, exec_lo, s9
	v_lshlrev_b32_e32 v14, 16, v31
	s_delay_alu instid0(VALU_DEP_1) | instskip(NEXT) | instid1(VALU_DEP_1)
	v_add_f32_e32 v23, 0, v14
	v_and_b32_e32 v14, 0x7f800000, v23
	s_delay_alu instid0(VALU_DEP_1)
	v_cmp_ne_u32_e64 s7, 0x7f800000, v14
                                        ; implicit-def: $vgpr14
	s_and_saveexec_b32 s9, s7
	s_wait_alu 0xfffe
	s_xor_b32 s7, exec_lo, s9
; %bb.301:
	v_bfe_u32 v14, v23, 16, 1
	s_delay_alu instid0(VALU_DEP_1)
	v_add3_u32 v14, v23, v14, 0x7fff
                                        ; implicit-def: $vgpr23
; %bb.302:
	s_wait_alu 0xfffe
	s_and_not1_saveexec_b32 s9, s7
; %bb.303:
	v_and_b32_e32 v14, 0xffff, v23
	v_or_b32_e32 v24, 0x10000, v23
	s_delay_alu instid0(VALU_DEP_2) | instskip(SKIP_1) | instid1(VALU_DEP_1)
	v_cmp_eq_u32_e64 s7, 0, v14
	s_wait_alu 0xf1ff
	v_cndmask_b32_e64 v14, v24, v23, s7
; %bb.304:
	s_wait_alu 0xfffe
	s_or_b32 exec_lo, exec_lo, s9
	v_cmp_lt_i32_e64 s7, -1, v13
	s_delay_alu instid0(VALU_DEP_2)
	v_perm_b32 v13, v14, v13, 0x7060302
	v_mov_b32_e32 v50, v31
	s_mov_b32 s9, exec_lo
	s_wait_alu 0xf1ff
	v_cndmask_b32_e64 v23, -1, 0xffff8000, s7
	v_cmp_lt_i32_e64 s7, -1, v14
	s_wait_alu 0xf1ff
	s_delay_alu instid0(VALU_DEP_1) | instskip(NEXT) | instid1(VALU_DEP_1)
	v_cndmask_b32_e64 v24, -1, 0xffff8000, s7
	v_perm_b32 v14, v24, v23, 0x5040100
	v_dual_mov_b32 v23, v29 :: v_dual_mov_b32 v24, v30
	s_delay_alu instid0(VALU_DEP_2) | instskip(NEXT) | instid1(VALU_DEP_1)
	v_xor_b32_e32 v13, v14, v13
	v_lshrrev_b32_e32 v14, 16, v13
	s_delay_alu instid0(VALU_DEP_1)
	v_cmpx_gt_u16_e64 v13, v14
; %bb.305:
	v_dual_mov_b32 v50, v39 :: v_dual_mov_b32 v39, v31
	v_dual_mov_b32 v24, v22 :: v_dual_mov_b32 v23, v21
	v_dual_mov_b32 v21, v29 :: v_dual_mov_b32 v22, v30
; %bb.306:
	s_wait_alu 0xfffe
	s_or_b32 exec_lo, exec_lo, s9
.LBB2064_307:
	s_wait_alu 0xfffe
	s_or_b32 exec_lo, exec_lo, s8
	v_and_b32_e32 v13, 0xffffff00, v10
	v_or_b32_e32 v14, 8, v36
	v_and_b32_e32 v28, 8, v36
	v_and_b32_e32 v64, 0xf0, v36
	s_wait_loadcnt_dscnt 0x0
	v_perm_b32 v68, v38, v50, 0x5040100
	v_sub_nc_u32_e64 v27, 0x800, v13 clamp
	v_lshlrev_b32_e32 v10, 1, v13
	v_perm_b32 v67, v39, v49, 0x5040100
	v_perm_b32 v70, v51, v32, 0x5040100
	;; [unrolled: 1-line block ×3, first 2 shown]
	v_min_u32_e32 v52, v27, v14
	v_mad_co_u64_u32 v[13:14], null, v13, 6, v[10:11]
	v_min_u32_e32 v65, v27, v28
	v_lshl_or_b32 v54, v64, 1, v10
	s_delay_alu instid0(VALU_DEP_4) | instskip(SKIP_3) | instid1(VALU_DEP_3)
	v_add_nc_u32_e32 v14, 8, v52
	v_sub_nc_u32_e32 v28, v52, v64
	s_mov_b32 s8, exec_lo
	v_lshl_add_u32 v71, v36, 3, v13
	v_min_u32_e32 v53, v27, v14
	v_lshl_or_b32 v14, v36, 1, v10
	v_min_u32_e32 v66, v65, v28
	s_delay_alu instid0(VALU_DEP_4) | instskip(NEXT) | instid1(VALU_DEP_4)
	v_add_nc_u32_e32 v30, 0x1010, v71
	v_sub_nc_u32_e32 v29, v53, v52
	v_add_nc_u32_e32 v31, 0x1020, v71
	v_add_nc_u32_e32 v28, 0x1030, v71
	s_delay_alu instid0(VALU_DEP_3)
	v_sub_nc_u32_e64 v55, v65, v29 clamp
	v_add_nc_u32_e32 v29, 0x1000, v71
	ds_store_2addr_b64 v30, v[15:16], v[17:18] offset1:1
	ds_store_2addr_b64 v31, v[19:20], v[23:24] offset1:1
	;; [unrolled: 1-line block ×5, first 2 shown]
	; wave barrier
	v_cmpx_lt_u32_e64 v55, v66
	s_cbranch_execz .LBB2064_326
; %bb.308:
	v_lshlrev_b32_e32 v67, 1, v52
	v_lshlrev_b32_e32 v68, 1, v65
	s_mov_b32 s9, 0
	s_delay_alu instid0(VALU_DEP_1)
	v_add3_u32 v67, v10, v67, v68
	s_branch .LBB2064_310
.LBB2064_309:                           ;   in Loop: Header=BB2064_310 Depth=1
	s_wait_alu 0xfffe
	s_or_b32 exec_lo, exec_lo, s10
	v_cmp_lt_i32_e64 s7, -1, v69
	v_lshrrev_b32_e32 v71, 16, v69
	v_lshrrev_b32_e32 v80, 16, v70
	s_wait_alu 0xf1ff
	s_delay_alu instid0(VALU_DEP_3) | instskip(SKIP_1) | instid1(VALU_DEP_2)
	v_cndmask_b32_e64 v69, -1, 0xffff8000, s7
	v_cmp_lt_i32_e64 s7, -1, v70
	v_xor_b32_e32 v69, v69, v71
	s_wait_alu 0xf1ff
	s_delay_alu instid0(VALU_DEP_2) | instskip(SKIP_1) | instid1(VALU_DEP_2)
	v_cndmask_b32_e64 v70, -1, 0xffff8000, s7
	v_add_nc_u32_e32 v71, 1, v68
	v_xor_b32_e32 v70, v70, v80
	s_delay_alu instid0(VALU_DEP_1) | instskip(SKIP_1) | instid1(VALU_DEP_1)
	v_cmp_gt_u16_e64 s7, v69, v70
	s_wait_alu 0xf1ff
	v_cndmask_b32_e64 v66, v66, v68, s7
	v_cndmask_b32_e64 v55, v71, v55, s7
	s_delay_alu instid0(VALU_DEP_1)
	v_cmp_ge_u32_e64 s7, v55, v66
	s_or_b32 s9, s7, s9
	s_wait_alu 0xfffe
	s_and_not1_b32 exec_lo, exec_lo, s9
	s_cbranch_execz .LBB2064_325
.LBB2064_310:                           ; =>This Inner Loop Header: Depth=1
	v_add_nc_u32_e32 v68, v66, v55
	s_delay_alu instid0(VALU_DEP_1) | instskip(SKIP_1) | instid1(VALU_DEP_2)
	v_and_b32_e32 v69, -2, v68
	v_lshrrev_b32_e32 v68, 1, v68
	v_add_nc_u32_e32 v69, v54, v69
	s_delay_alu instid0(VALU_DEP_2)
	v_not_b32_e32 v70, v68
	ds_load_u16 v69, v69
	v_lshl_add_u32 v70, v70, 1, v67
	ds_load_u16 v70, v70
	s_wait_dscnt 0x1
	v_lshlrev_b32_e32 v69, 16, v69
	s_delay_alu instid0(VALU_DEP_1) | instskip(NEXT) | instid1(VALU_DEP_1)
	v_add_f32_e32 v71, 0, v69
	v_and_b32_e32 v69, 0x7f800000, v71
	s_delay_alu instid0(VALU_DEP_1)
	v_cmp_ne_u32_e64 s7, 0x7f800000, v69
                                        ; implicit-def: $vgpr69
	s_and_saveexec_b32 s10, s7
	s_wait_alu 0xfffe
	s_xor_b32 s7, exec_lo, s10
; %bb.311:                              ;   in Loop: Header=BB2064_310 Depth=1
	v_bfe_u32 v69, v71, 16, 1
	s_delay_alu instid0(VALU_DEP_1)
	v_add3_u32 v69, v71, v69, 0x7fff
                                        ; implicit-def: $vgpr71
; %bb.312:                              ;   in Loop: Header=BB2064_310 Depth=1
	s_wait_alu 0xfffe
	s_and_not1_saveexec_b32 s10, s7
; %bb.313:                              ;   in Loop: Header=BB2064_310 Depth=1
	v_and_b32_e32 v69, 0xffff, v71
	v_or_b32_e32 v80, 0x10000, v71
	s_delay_alu instid0(VALU_DEP_2) | instskip(SKIP_1) | instid1(VALU_DEP_1)
	v_cmp_eq_u32_e64 s7, 0, v69
	s_wait_alu 0xf1ff
	v_cndmask_b32_e64 v69, v80, v71, s7
; %bb.314:                              ;   in Loop: Header=BB2064_310 Depth=1
	s_wait_alu 0xfffe
	s_or_b32 exec_lo, exec_lo, s10
	s_wait_dscnt 0x0
	v_lshlrev_b32_e32 v70, 16, v70
	s_delay_alu instid0(VALU_DEP_1) | instskip(NEXT) | instid1(VALU_DEP_1)
	v_add_f32_e32 v71, 0, v70
	v_and_b32_e32 v70, 0x7f800000, v71
	s_delay_alu instid0(VALU_DEP_1)
	v_cmp_ne_u32_e64 s7, 0x7f800000, v70
                                        ; implicit-def: $vgpr70
	s_and_saveexec_b32 s10, s7
	s_wait_alu 0xfffe
	s_xor_b32 s7, exec_lo, s10
; %bb.315:                              ;   in Loop: Header=BB2064_310 Depth=1
	v_bfe_u32 v70, v71, 16, 1
	s_delay_alu instid0(VALU_DEP_1)
	v_add3_u32 v70, v71, v70, 0x7fff
                                        ; implicit-def: $vgpr71
; %bb.316:                              ;   in Loop: Header=BB2064_310 Depth=1
	s_wait_alu 0xfffe
	s_and_not1_saveexec_b32 s10, s7
	s_cbranch_execz .LBB2064_309
; %bb.317:                              ;   in Loop: Header=BB2064_310 Depth=1
	v_and_b32_e32 v70, 0xffff, v71
	v_or_b32_e32 v80, 0x10000, v71
	s_delay_alu instid0(VALU_DEP_2) | instskip(SKIP_1) | instid1(VALU_DEP_1)
	v_cmp_eq_u32_e64 s7, 0, v70
	s_wait_alu 0xf1ff
	v_cndmask_b32_e64 v70, v80, v71, s7
	s_branch .LBB2064_309
.LBB2064_318:
	flat_load_b64 v[4:5], v[13:14]
	s_wait_alu 0xfffe
	s_or_b32 exec_lo, exec_lo, s7
	s_and_saveexec_b32 s7, s0
                                        ; implicit-def: $vgpr8_vgpr9
	s_cbranch_execz .LBB2064_18
.LBB2064_319:
	flat_load_b64 v[8:9], v[13:14] offset:8
	s_wait_alu 0xfffe
	s_or_b32 exec_lo, exec_lo, s7
                                        ; implicit-def: $vgpr15_vgpr16
	s_and_saveexec_b32 s7, s1
	s_cbranch_execz .LBB2064_19
.LBB2064_320:
	flat_load_b64 v[15:16], v[13:14] offset:16
	s_wait_alu 0xfffe
	s_or_b32 exec_lo, exec_lo, s7
	s_and_saveexec_b32 s7, s2
                                        ; implicit-def: $vgpr17_vgpr18
	s_cbranch_execz .LBB2064_20
.LBB2064_321:
	flat_load_b64 v[17:18], v[13:14] offset:24
	s_wait_alu 0xfffe
	s_or_b32 exec_lo, exec_lo, s7
                                        ; implicit-def: $vgpr19_vgpr20
	s_and_saveexec_b32 s7, s3
	s_cbranch_execz .LBB2064_21
.LBB2064_322:
	flat_load_b64 v[19:20], v[13:14] offset:32
	s_wait_alu 0xfffe
	s_or_b32 exec_lo, exec_lo, s7
	s_and_saveexec_b32 s7, s4
                                        ; implicit-def: $vgpr23_vgpr24
	s_cbranch_execz .LBB2064_22
.LBB2064_323:
	flat_load_b64 v[23:24], v[13:14] offset:40
	s_wait_alu 0xfffe
	s_or_b32 exec_lo, exec_lo, s7
                                        ; implicit-def: $vgpr21_vgpr22
	s_and_saveexec_b32 s7, s5
	s_cbranch_execz .LBB2064_23
.LBB2064_324:
	flat_load_b64 v[21:22], v[13:14] offset:48
	s_wait_alu 0xfffe
	s_or_b32 exec_lo, exec_lo, s7
	s_and_saveexec_b32 s7, s6
                                        ; implicit-def: $vgpr25_vgpr26
	s_cbranch_execnz .LBB2064_24
	s_branch .LBB2064_25
.LBB2064_325:
	s_or_b32 exec_lo, exec_lo, s9
.LBB2064_326:
	s_wait_alu 0xfffe
	s_or_b32 exec_lo, exec_lo, s8
	v_add_nc_u32_e32 v65, v52, v65
	v_add_nc_u32_e32 v64, v55, v64
	s_delay_alu instid0(VALU_DEP_2) | instskip(NEXT) | instid1(VALU_DEP_2)
	v_sub_nc_u32_e32 v65, v65, v55
	v_cmp_le_u32_e64 s7, v64, v52
	s_delay_alu instid0(VALU_DEP_2)
	v_cmp_le_u32_e64 s8, v65, v53
	s_or_b32 s7, s7, s8
	s_wait_alu 0xfffe
	s_and_saveexec_b32 s9, s7
	s_cbranch_execz .LBB2064_426
; %bb.327:
	v_cmp_ge_u32_e64 s7, v64, v52
	s_mov_b32 s10, exec_lo
                                        ; implicit-def: $vgpr37
	v_cmpx_lt_u32_e64 v64, v52
; %bb.328:
	v_lshl_add_u32 v4, v55, 1, v54
	ds_load_u16 v37, v4
; %bb.329:
	s_wait_alu 0xfffe
	s_or_b32 exec_lo, exec_lo, s10
	v_cmp_ge_u32_e64 s10, v65, v53
	s_mov_b32 s11, exec_lo
                                        ; implicit-def: $vgpr38
	v_cmpx_lt_u32_e64 v65, v53
; %bb.330:
	v_lshl_add_u32 v4, v65, 1, v10
	ds_load_u16 v38, v4
; %bb.331:
	s_wait_alu 0xfffe
	s_or_b32 exec_lo, exec_lo, s11
	s_nor_b32 s7, s7, s10
	s_wait_alu 0xfffe
	s_and_saveexec_b32 s8, s7
	s_cbranch_execz .LBB2064_341
; %bb.332:
	s_wait_dscnt 0x0
	v_lshlrev_b32_e32 v4, 16, v37
	s_delay_alu instid0(VALU_DEP_1) | instskip(NEXT) | instid1(VALU_DEP_1)
	v_add_f32_e32 v5, 0, v4
	v_and_b32_e32 v4, 0x7f800000, v5
	s_delay_alu instid0(VALU_DEP_1)
	v_cmp_ne_u32_e64 s7, 0x7f800000, v4
                                        ; implicit-def: $vgpr4
	s_and_saveexec_b32 s11, s7
	s_wait_alu 0xfffe
	s_xor_b32 s7, exec_lo, s11
; %bb.333:
	v_bfe_u32 v4, v5, 16, 1
	s_delay_alu instid0(VALU_DEP_1)
	v_add3_u32 v4, v5, v4, 0x7fff
                                        ; implicit-def: $vgpr5
; %bb.334:
	s_wait_alu 0xfffe
	s_and_not1_saveexec_b32 s11, s7
; %bb.335:
	v_and_b32_e32 v4, 0xffff, v5
	v_or_b32_e32 v8, 0x10000, v5
	s_delay_alu instid0(VALU_DEP_2) | instskip(SKIP_1) | instid1(VALU_DEP_1)
	v_cmp_eq_u32_e64 s7, 0, v4
	s_wait_alu 0xf1ff
	v_cndmask_b32_e64 v4, v8, v5, s7
; %bb.336:
	s_wait_alu 0xfffe
	s_or_b32 exec_lo, exec_lo, s11
	v_lshlrev_b32_e32 v5, 16, v38
	s_delay_alu instid0(VALU_DEP_1) | instskip(NEXT) | instid1(VALU_DEP_1)
	v_add_f32_e32 v8, 0, v5
	v_and_b32_e32 v5, 0x7f800000, v8
	s_delay_alu instid0(VALU_DEP_1)
	v_cmp_ne_u32_e64 s7, 0x7f800000, v5
                                        ; implicit-def: $vgpr5
	s_and_saveexec_b32 s11, s7
	s_wait_alu 0xfffe
	s_xor_b32 s7, exec_lo, s11
; %bb.337:
	v_bfe_u32 v5, v8, 16, 1
	s_delay_alu instid0(VALU_DEP_1)
	v_add3_u32 v5, v8, v5, 0x7fff
                                        ; implicit-def: $vgpr8
; %bb.338:
	s_wait_alu 0xfffe
	s_and_not1_saveexec_b32 s11, s7
; %bb.339:
	v_and_b32_e32 v5, 0xffff, v8
	v_or_b32_e32 v9, 0x10000, v8
	s_delay_alu instid0(VALU_DEP_2) | instskip(SKIP_1) | instid1(VALU_DEP_1)
	v_cmp_eq_u32_e64 s7, 0, v5
	s_wait_alu 0xf1ff
	v_cndmask_b32_e64 v5, v9, v8, s7
; %bb.340:
	s_wait_alu 0xfffe
	s_or_b32 exec_lo, exec_lo, s11
	v_cmp_lt_i32_e64 s7, -1, v4
	s_delay_alu instid0(VALU_DEP_2) | instskip(SKIP_4) | instid1(VALU_DEP_1)
	v_perm_b32 v4, v5, v4, 0x7060302
	s_and_not1_b32 s10, s10, exec_lo
	v_cndmask_b32_e64 v8, -1, 0xffff8000, s7
	v_cmp_lt_i32_e64 s7, -1, v5
	s_wait_alu 0xf1ff
	v_cndmask_b32_e64 v9, -1, 0xffff8000, s7
	s_delay_alu instid0(VALU_DEP_1) | instskip(NEXT) | instid1(VALU_DEP_1)
	v_perm_b32 v5, v9, v8, 0x5040100
	v_xor_b32_e32 v4, v5, v4
	s_delay_alu instid0(VALU_DEP_1) | instskip(NEXT) | instid1(VALU_DEP_1)
	v_lshrrev_b32_e32 v5, 16, v4
	v_cmp_le_u16_e64 s7, v4, v5
	s_and_b32 s7, s7, exec_lo
	s_wait_alu 0xfffe
	s_or_b32 s10, s10, s7
.LBB2064_341:
	s_wait_alu 0xfffe
	s_or_b32 exec_lo, exec_lo, s8
	v_cndmask_b32_e64 v4, v65, v64, s10
	v_cndmask_b32_e64 v5, v53, v52, s10
	s_mov_b32 s11, -1
	s_mov_b32 s8, -1
	s_mov_b32 s12, exec_lo
	v_add_nc_u32_e32 v8, 1, v4
	v_add_nc_u32_e32 v5, -1, v5
	v_lshl_add_u32 v4, v4, 3, v13
	s_delay_alu instid0(VALU_DEP_3) | instskip(NEXT) | instid1(VALU_DEP_3)
	v_cndmask_b32_e64 v15, v8, v65, s10
	v_min_u32_e32 v5, v8, v5
	v_cndmask_b32_e64 v16, v64, v8, s10
	s_delay_alu instid0(VALU_DEP_2)
	v_lshl_add_u32 v5, v5, 1, v10
	ds_load_u16 v9, v5
	ds_load_b64 v[4:5], v4 offset:4096
	s_wait_dscnt 0x1
	v_cndmask_b32_e64 v48, v9, v38, s10
	v_cndmask_b32_e64 v54, v37, v9, s10
	v_cmpx_lt_u32_e64 v15, v53
	s_cbranch_execz .LBB2064_353
; %bb.342:
	s_mov_b32 s13, 0
	s_mov_b32 s8, exec_lo
	v_cmpx_lt_u32_e64 v16, v52
	s_cbranch_execz .LBB2064_352
; %bb.343:
	v_lshlrev_b32_e32 v8, 16, v54
	s_delay_alu instid0(VALU_DEP_1) | instskip(NEXT) | instid1(VALU_DEP_1)
	v_add_f32_e32 v9, 0, v8
	v_and_b32_e32 v8, 0x7f800000, v9
	s_delay_alu instid0(VALU_DEP_1)
	v_cmp_ne_u32_e64 s7, 0x7f800000, v8
                                        ; implicit-def: $vgpr8
	s_and_saveexec_b32 s13, s7
	s_wait_alu 0xfffe
	s_xor_b32 s7, exec_lo, s13
; %bb.344:
	v_bfe_u32 v8, v9, 16, 1
	s_delay_alu instid0(VALU_DEP_1)
	v_add3_u32 v8, v9, v8, 0x7fff
                                        ; implicit-def: $vgpr9
; %bb.345:
	s_wait_alu 0xfffe
	s_and_not1_saveexec_b32 s13, s7
; %bb.346:
	v_and_b32_e32 v8, 0xffff, v9
	v_or_b32_e32 v17, 0x10000, v9
	s_delay_alu instid0(VALU_DEP_2) | instskip(SKIP_1) | instid1(VALU_DEP_1)
	v_cmp_eq_u32_e64 s7, 0, v8
	s_wait_alu 0xf1ff
	v_cndmask_b32_e64 v8, v17, v9, s7
; %bb.347:
	s_wait_alu 0xfffe
	s_or_b32 exec_lo, exec_lo, s13
	v_lshlrev_b32_e32 v9, 16, v48
	s_delay_alu instid0(VALU_DEP_1) | instskip(NEXT) | instid1(VALU_DEP_1)
	v_add_f32_e32 v17, 0, v9
	v_and_b32_e32 v9, 0x7f800000, v17
	s_delay_alu instid0(VALU_DEP_1)
	v_cmp_ne_u32_e64 s7, 0x7f800000, v9
                                        ; implicit-def: $vgpr9
	s_and_saveexec_b32 s13, s7
	s_wait_alu 0xfffe
	s_xor_b32 s7, exec_lo, s13
; %bb.348:
	v_bfe_u32 v9, v17, 16, 1
	s_delay_alu instid0(VALU_DEP_1)
	v_add3_u32 v9, v17, v9, 0x7fff
                                        ; implicit-def: $vgpr17
; %bb.349:
	s_wait_alu 0xfffe
	s_and_not1_saveexec_b32 s13, s7
; %bb.350:
	v_and_b32_e32 v9, 0xffff, v17
	v_or_b32_e32 v18, 0x10000, v17
	s_delay_alu instid0(VALU_DEP_2) | instskip(SKIP_1) | instid1(VALU_DEP_1)
	v_cmp_eq_u32_e64 s7, 0, v9
	s_wait_alu 0xf1ff
	v_cndmask_b32_e64 v9, v18, v17, s7
; %bb.351:
	s_wait_alu 0xfffe
	s_or_b32 exec_lo, exec_lo, s13
	v_cmp_lt_i32_e64 s7, -1, v8
	s_delay_alu instid0(VALU_DEP_2) | instskip(SKIP_1) | instid1(VALU_DEP_2)
	v_perm_b32 v8, v9, v8, 0x7060302
	s_wait_alu 0xf1ff
	v_cndmask_b32_e64 v17, -1, 0xffff8000, s7
	v_cmp_lt_i32_e64 s7, -1, v9
	s_wait_alu 0xf1ff
	s_delay_alu instid0(VALU_DEP_1) | instskip(NEXT) | instid1(VALU_DEP_1)
	v_cndmask_b32_e64 v18, -1, 0xffff8000, s7
	v_perm_b32 v9, v18, v17, 0x5040100
	s_delay_alu instid0(VALU_DEP_1) | instskip(NEXT) | instid1(VALU_DEP_1)
	v_xor_b32_e32 v8, v9, v8
	v_lshrrev_b32_e32 v9, 16, v8
	s_delay_alu instid0(VALU_DEP_1)
	v_cmp_le_u16_e64 s7, v8, v9
	s_and_b32 s13, s7, exec_lo
.LBB2064_352:
	s_wait_alu 0xfffe
	s_or_b32 exec_lo, exec_lo, s8
	s_delay_alu instid0(SALU_CYCLE_1)
	s_or_not1_b32 s8, s13, exec_lo
.LBB2064_353:
	s_wait_alu 0xfffe
	s_or_b32 exec_lo, exec_lo, s12
	v_cndmask_b32_e64 v8, v15, v16, s8
	v_cndmask_b32_e64 v9, v53, v52, s8
	s_mov_b32 s12, exec_lo
	s_delay_alu instid0(VALU_DEP_2) | instskip(NEXT) | instid1(VALU_DEP_2)
	v_add_nc_u32_e32 v18, 1, v8
	v_add_nc_u32_e32 v9, -1, v9
	v_lshl_add_u32 v8, v8, 3, v13
	s_delay_alu instid0(VALU_DEP_3) | instskip(NEXT) | instid1(VALU_DEP_3)
	v_cndmask_b32_e64 v17, v18, v15, s8
	v_min_u32_e32 v9, v18, v9
	v_cndmask_b32_e64 v18, v16, v18, s8
	s_delay_alu instid0(VALU_DEP_2)
	v_lshl_add_u32 v9, v9, 1, v10
	ds_load_u16 v19, v9
	ds_load_b64 v[8:9], v8 offset:4096
	s_wait_dscnt 0x1
	v_cndmask_b32_e64 v32, v19, v48, s8
	v_cndmask_b32_e64 v55, v54, v19, s8
	v_cmpx_lt_u32_e64 v17, v53
	s_cbranch_execz .LBB2064_365
; %bb.354:
	s_mov_b32 s13, 0
	s_mov_b32 s11, exec_lo
	v_cmpx_lt_u32_e64 v18, v52
	s_cbranch_execz .LBB2064_364
; %bb.355:
	v_lshlrev_b32_e32 v15, 16, v55
	s_delay_alu instid0(VALU_DEP_1) | instskip(NEXT) | instid1(VALU_DEP_1)
	v_add_f32_e32 v16, 0, v15
	v_and_b32_e32 v15, 0x7f800000, v16
	s_delay_alu instid0(VALU_DEP_1)
	v_cmp_ne_u32_e64 s7, 0x7f800000, v15
                                        ; implicit-def: $vgpr15
	s_and_saveexec_b32 s13, s7
	s_wait_alu 0xfffe
	s_xor_b32 s7, exec_lo, s13
; %bb.356:
	v_bfe_u32 v15, v16, 16, 1
	s_delay_alu instid0(VALU_DEP_1)
	v_add3_u32 v15, v16, v15, 0x7fff
                                        ; implicit-def: $vgpr16
; %bb.357:
	s_wait_alu 0xfffe
	s_and_not1_saveexec_b32 s13, s7
; %bb.358:
	v_and_b32_e32 v15, 0xffff, v16
	v_or_b32_e32 v19, 0x10000, v16
	s_delay_alu instid0(VALU_DEP_2) | instskip(SKIP_1) | instid1(VALU_DEP_1)
	v_cmp_eq_u32_e64 s7, 0, v15
	s_wait_alu 0xf1ff
	v_cndmask_b32_e64 v15, v19, v16, s7
; %bb.359:
	s_wait_alu 0xfffe
	s_or_b32 exec_lo, exec_lo, s13
	v_lshlrev_b32_e32 v16, 16, v32
	s_delay_alu instid0(VALU_DEP_1) | instskip(NEXT) | instid1(VALU_DEP_1)
	v_add_f32_e32 v19, 0, v16
	v_and_b32_e32 v16, 0x7f800000, v19
	s_delay_alu instid0(VALU_DEP_1)
	v_cmp_ne_u32_e64 s7, 0x7f800000, v16
                                        ; implicit-def: $vgpr16
	s_and_saveexec_b32 s13, s7
	s_wait_alu 0xfffe
	s_xor_b32 s7, exec_lo, s13
; %bb.360:
	v_bfe_u32 v16, v19, 16, 1
	s_delay_alu instid0(VALU_DEP_1)
	v_add3_u32 v16, v19, v16, 0x7fff
                                        ; implicit-def: $vgpr19
; %bb.361:
	s_wait_alu 0xfffe
	s_and_not1_saveexec_b32 s13, s7
; %bb.362:
	v_and_b32_e32 v16, 0xffff, v19
	v_or_b32_e32 v20, 0x10000, v19
	s_delay_alu instid0(VALU_DEP_2) | instskip(SKIP_1) | instid1(VALU_DEP_1)
	v_cmp_eq_u32_e64 s7, 0, v16
	s_wait_alu 0xf1ff
	v_cndmask_b32_e64 v16, v20, v19, s7
; %bb.363:
	s_wait_alu 0xfffe
	s_or_b32 exec_lo, exec_lo, s13
	v_cmp_lt_i32_e64 s7, -1, v15
	s_delay_alu instid0(VALU_DEP_2) | instskip(SKIP_1) | instid1(VALU_DEP_2)
	v_perm_b32 v15, v16, v15, 0x7060302
	s_wait_alu 0xf1ff
	v_cndmask_b32_e64 v19, -1, 0xffff8000, s7
	v_cmp_lt_i32_e64 s7, -1, v16
	s_wait_alu 0xf1ff
	s_delay_alu instid0(VALU_DEP_1) | instskip(NEXT) | instid1(VALU_DEP_1)
	v_cndmask_b32_e64 v20, -1, 0xffff8000, s7
	v_perm_b32 v16, v20, v19, 0x5040100
	s_delay_alu instid0(VALU_DEP_1) | instskip(NEXT) | instid1(VALU_DEP_1)
	v_xor_b32_e32 v15, v16, v15
	v_lshrrev_b32_e32 v16, 16, v15
	s_delay_alu instid0(VALU_DEP_1)
	v_cmp_le_u16_e64 s7, v15, v16
	s_and_b32 s13, s7, exec_lo
.LBB2064_364:
	s_wait_alu 0xfffe
	s_or_b32 exec_lo, exec_lo, s11
	s_delay_alu instid0(SALU_CYCLE_1)
	s_or_not1_b32 s11, s13, exec_lo
.LBB2064_365:
	s_wait_alu 0xfffe
	s_or_b32 exec_lo, exec_lo, s12
	v_cndmask_b32_e64 v15, v17, v18, s11
	v_cndmask_b32_e64 v16, v53, v52, s11
	s_mov_b32 s13, -1
	s_mov_b32 s12, -1
	s_mov_b32 s14, exec_lo
	v_add_nc_u32_e32 v20, 1, v15
	v_add_nc_u32_e32 v16, -1, v16
	v_lshl_add_u32 v15, v15, 3, v13
	s_delay_alu instid0(VALU_DEP_3) | instskip(NEXT) | instid1(VALU_DEP_3)
	v_cndmask_b32_e64 v19, v20, v17, s11
	v_min_u32_e32 v16, v20, v16
	v_cndmask_b32_e64 v20, v18, v20, s11
	s_delay_alu instid0(VALU_DEP_2)
	v_lshl_add_u32 v16, v16, 1, v10
	ds_load_u16 v21, v16
	ds_load_b64 v[15:16], v15 offset:4096
	s_wait_dscnt 0x1
	v_cndmask_b32_e64 v51, v21, v32, s11
	v_cndmask_b32_e64 v64, v55, v21, s11
	v_cmpx_lt_u32_e64 v19, v53
	s_cbranch_execz .LBB2064_377
; %bb.366:
	s_mov_b32 s15, 0
	s_mov_b32 s12, exec_lo
	v_cmpx_lt_u32_e64 v20, v52
	s_cbranch_execz .LBB2064_376
; %bb.367:
	v_lshlrev_b32_e32 v17, 16, v64
	s_delay_alu instid0(VALU_DEP_1) | instskip(NEXT) | instid1(VALU_DEP_1)
	v_add_f32_e32 v18, 0, v17
	v_and_b32_e32 v17, 0x7f800000, v18
	s_delay_alu instid0(VALU_DEP_1)
	v_cmp_ne_u32_e64 s7, 0x7f800000, v17
                                        ; implicit-def: $vgpr17
	s_and_saveexec_b32 s15, s7
	s_wait_alu 0xfffe
	s_xor_b32 s7, exec_lo, s15
; %bb.368:
	v_bfe_u32 v17, v18, 16, 1
	s_delay_alu instid0(VALU_DEP_1)
	v_add3_u32 v17, v18, v17, 0x7fff
                                        ; implicit-def: $vgpr18
; %bb.369:
	s_wait_alu 0xfffe
	s_and_not1_saveexec_b32 s15, s7
; %bb.370:
	v_and_b32_e32 v17, 0xffff, v18
	v_or_b32_e32 v21, 0x10000, v18
	s_delay_alu instid0(VALU_DEP_2) | instskip(SKIP_1) | instid1(VALU_DEP_1)
	v_cmp_eq_u32_e64 s7, 0, v17
	s_wait_alu 0xf1ff
	v_cndmask_b32_e64 v17, v21, v18, s7
; %bb.371:
	s_wait_alu 0xfffe
	s_or_b32 exec_lo, exec_lo, s15
	v_lshlrev_b32_e32 v18, 16, v51
	s_delay_alu instid0(VALU_DEP_1) | instskip(NEXT) | instid1(VALU_DEP_1)
	v_add_f32_e32 v21, 0, v18
	v_and_b32_e32 v18, 0x7f800000, v21
	s_delay_alu instid0(VALU_DEP_1)
	v_cmp_ne_u32_e64 s7, 0x7f800000, v18
                                        ; implicit-def: $vgpr18
	s_and_saveexec_b32 s15, s7
	s_wait_alu 0xfffe
	s_xor_b32 s7, exec_lo, s15
; %bb.372:
	v_bfe_u32 v18, v21, 16, 1
	s_delay_alu instid0(VALU_DEP_1)
	v_add3_u32 v18, v21, v18, 0x7fff
                                        ; implicit-def: $vgpr21
; %bb.373:
	s_wait_alu 0xfffe
	s_and_not1_saveexec_b32 s15, s7
; %bb.374:
	v_and_b32_e32 v18, 0xffff, v21
	v_or_b32_e32 v22, 0x10000, v21
	s_delay_alu instid0(VALU_DEP_2) | instskip(SKIP_1) | instid1(VALU_DEP_1)
	v_cmp_eq_u32_e64 s7, 0, v18
	s_wait_alu 0xf1ff
	v_cndmask_b32_e64 v18, v22, v21, s7
; %bb.375:
	s_wait_alu 0xfffe
	s_or_b32 exec_lo, exec_lo, s15
	v_cmp_lt_i32_e64 s7, -1, v17
	s_delay_alu instid0(VALU_DEP_2) | instskip(SKIP_1) | instid1(VALU_DEP_2)
	v_perm_b32 v17, v18, v17, 0x7060302
	s_wait_alu 0xf1ff
	v_cndmask_b32_e64 v21, -1, 0xffff8000, s7
	v_cmp_lt_i32_e64 s7, -1, v18
	s_wait_alu 0xf1ff
	s_delay_alu instid0(VALU_DEP_1) | instskip(NEXT) | instid1(VALU_DEP_1)
	v_cndmask_b32_e64 v22, -1, 0xffff8000, s7
	v_perm_b32 v18, v22, v21, 0x5040100
	s_delay_alu instid0(VALU_DEP_1) | instskip(NEXT) | instid1(VALU_DEP_1)
	v_xor_b32_e32 v17, v18, v17
	v_lshrrev_b32_e32 v18, 16, v17
	s_delay_alu instid0(VALU_DEP_1)
	v_cmp_le_u16_e64 s7, v17, v18
	s_and_b32 s15, s7, exec_lo
.LBB2064_376:
	s_wait_alu 0xfffe
	s_or_b32 exec_lo, exec_lo, s12
	s_delay_alu instid0(SALU_CYCLE_1)
	s_or_not1_b32 s12, s15, exec_lo
.LBB2064_377:
	s_wait_alu 0xfffe
	s_or_b32 exec_lo, exec_lo, s14
	v_cndmask_b32_e64 v17, v19, v20, s12
	v_cndmask_b32_e64 v18, v53, v52, s12
	s_mov_b32 s14, exec_lo
	s_delay_alu instid0(VALU_DEP_2) | instskip(NEXT) | instid1(VALU_DEP_2)
	v_add_nc_u32_e32 v22, 1, v17
	v_add_nc_u32_e32 v18, -1, v18
	v_lshl_add_u32 v17, v17, 3, v13
	s_delay_alu instid0(VALU_DEP_3) | instskip(NEXT) | instid1(VALU_DEP_3)
	v_cndmask_b32_e64 v21, v22, v19, s12
	v_min_u32_e32 v18, v22, v18
	v_cndmask_b32_e64 v22, v20, v22, s12
	s_delay_alu instid0(VALU_DEP_2)
	v_lshl_add_u32 v18, v18, 1, v10
	ds_load_u16 v23, v18
	ds_load_b64 v[17:18], v17 offset:4096
	s_wait_dscnt 0x1
	v_cndmask_b32_e64 v49, v23, v51, s12
	v_cndmask_b32_e64 v65, v64, v23, s12
	v_cmpx_lt_u32_e64 v21, v53
	s_cbranch_execz .LBB2064_389
; %bb.378:
	s_mov_b32 s15, 0
	s_mov_b32 s13, exec_lo
	v_cmpx_lt_u32_e64 v22, v52
	s_cbranch_execz .LBB2064_388
; %bb.379:
	v_lshlrev_b32_e32 v19, 16, v65
	s_delay_alu instid0(VALU_DEP_1) | instskip(NEXT) | instid1(VALU_DEP_1)
	v_add_f32_e32 v20, 0, v19
	v_and_b32_e32 v19, 0x7f800000, v20
	s_delay_alu instid0(VALU_DEP_1)
	v_cmp_ne_u32_e64 s7, 0x7f800000, v19
                                        ; implicit-def: $vgpr19
	s_and_saveexec_b32 s15, s7
	s_wait_alu 0xfffe
	s_xor_b32 s7, exec_lo, s15
; %bb.380:
	v_bfe_u32 v19, v20, 16, 1
	s_delay_alu instid0(VALU_DEP_1)
	v_add3_u32 v19, v20, v19, 0x7fff
                                        ; implicit-def: $vgpr20
; %bb.381:
	s_wait_alu 0xfffe
	s_and_not1_saveexec_b32 s15, s7
; %bb.382:
	v_and_b32_e32 v19, 0xffff, v20
	v_or_b32_e32 v23, 0x10000, v20
	s_delay_alu instid0(VALU_DEP_2) | instskip(SKIP_1) | instid1(VALU_DEP_1)
	v_cmp_eq_u32_e64 s7, 0, v19
	s_wait_alu 0xf1ff
	v_cndmask_b32_e64 v19, v23, v20, s7
; %bb.383:
	s_wait_alu 0xfffe
	s_or_b32 exec_lo, exec_lo, s15
	v_lshlrev_b32_e32 v20, 16, v49
	s_delay_alu instid0(VALU_DEP_1) | instskip(NEXT) | instid1(VALU_DEP_1)
	v_add_f32_e32 v23, 0, v20
	v_and_b32_e32 v20, 0x7f800000, v23
	s_delay_alu instid0(VALU_DEP_1)
	v_cmp_ne_u32_e64 s7, 0x7f800000, v20
                                        ; implicit-def: $vgpr20
	s_and_saveexec_b32 s15, s7
	s_wait_alu 0xfffe
	s_xor_b32 s7, exec_lo, s15
; %bb.384:
	v_bfe_u32 v20, v23, 16, 1
	s_delay_alu instid0(VALU_DEP_1)
	v_add3_u32 v20, v23, v20, 0x7fff
                                        ; implicit-def: $vgpr23
; %bb.385:
	s_wait_alu 0xfffe
	s_and_not1_saveexec_b32 s15, s7
; %bb.386:
	v_and_b32_e32 v20, 0xffff, v23
	v_or_b32_e32 v24, 0x10000, v23
	s_delay_alu instid0(VALU_DEP_2) | instskip(SKIP_1) | instid1(VALU_DEP_1)
	v_cmp_eq_u32_e64 s7, 0, v20
	s_wait_alu 0xf1ff
	v_cndmask_b32_e64 v20, v24, v23, s7
; %bb.387:
	s_wait_alu 0xfffe
	s_or_b32 exec_lo, exec_lo, s15
	v_cmp_lt_i32_e64 s7, -1, v19
	s_delay_alu instid0(VALU_DEP_2) | instskip(SKIP_1) | instid1(VALU_DEP_2)
	v_perm_b32 v19, v20, v19, 0x7060302
	s_wait_alu 0xf1ff
	v_cndmask_b32_e64 v23, -1, 0xffff8000, s7
	v_cmp_lt_i32_e64 s7, -1, v20
	s_wait_alu 0xf1ff
	s_delay_alu instid0(VALU_DEP_1) | instskip(NEXT) | instid1(VALU_DEP_1)
	v_cndmask_b32_e64 v24, -1, 0xffff8000, s7
	v_perm_b32 v20, v24, v23, 0x5040100
	s_delay_alu instid0(VALU_DEP_1) | instskip(NEXT) | instid1(VALU_DEP_1)
	v_xor_b32_e32 v19, v20, v19
	v_lshrrev_b32_e32 v20, 16, v19
	s_delay_alu instid0(VALU_DEP_1)
	v_cmp_le_u16_e64 s7, v19, v20
	s_and_b32 s15, s7, exec_lo
.LBB2064_388:
	s_wait_alu 0xfffe
	s_or_b32 exec_lo, exec_lo, s13
	s_delay_alu instid0(SALU_CYCLE_1)
	s_or_not1_b32 s13, s15, exec_lo
.LBB2064_389:
	s_wait_alu 0xfffe
	s_or_b32 exec_lo, exec_lo, s14
	v_cndmask_b32_e64 v19, v21, v22, s13
	v_cndmask_b32_e64 v20, v53, v52, s13
	s_mov_b32 s15, -1
	s_mov_b32 s14, -1
	s_mov_b32 s16, exec_lo
	v_add_nc_u32_e32 v23, 1, v19
	v_add_nc_u32_e32 v20, -1, v20
	v_lshl_add_u32 v19, v19, 3, v13
	s_delay_alu instid0(VALU_DEP_3) | instskip(NEXT) | instid1(VALU_DEP_3)
	v_cndmask_b32_e64 v21, v23, v21, s13
	v_min_u32_e32 v20, v23, v20
	v_cndmask_b32_e64 v22, v22, v23, s13
	s_delay_alu instid0(VALU_DEP_2)
	v_lshl_add_u32 v20, v20, 1, v10
	ds_load_u16 v24, v20
	ds_load_b64 v[19:20], v19 offset:4096
	s_wait_dscnt 0x1
	v_cndmask_b32_e64 v39, v24, v49, s13
	v_cndmask_b32_e64 v66, v65, v24, s13
	v_cmpx_lt_u32_e64 v21, v53
	s_cbranch_execz .LBB2064_401
; %bb.390:
	s_mov_b32 s17, 0
	s_mov_b32 s14, exec_lo
	v_cmpx_lt_u32_e64 v22, v52
	s_cbranch_execz .LBB2064_400
; %bb.391:
	v_lshlrev_b32_e32 v23, 16, v66
	s_delay_alu instid0(VALU_DEP_1) | instskip(NEXT) | instid1(VALU_DEP_1)
	v_add_f32_e32 v24, 0, v23
	v_and_b32_e32 v23, 0x7f800000, v24
	s_delay_alu instid0(VALU_DEP_1)
	v_cmp_ne_u32_e64 s7, 0x7f800000, v23
                                        ; implicit-def: $vgpr23
	s_and_saveexec_b32 s17, s7
	s_wait_alu 0xfffe
	s_xor_b32 s7, exec_lo, s17
; %bb.392:
	v_bfe_u32 v23, v24, 16, 1
	s_delay_alu instid0(VALU_DEP_1)
	v_add3_u32 v23, v24, v23, 0x7fff
                                        ; implicit-def: $vgpr24
; %bb.393:
	s_wait_alu 0xfffe
	s_and_not1_saveexec_b32 s17, s7
; %bb.394:
	v_and_b32_e32 v23, 0xffff, v24
	v_or_b32_e32 v25, 0x10000, v24
	s_delay_alu instid0(VALU_DEP_2) | instskip(SKIP_1) | instid1(VALU_DEP_1)
	v_cmp_eq_u32_e64 s7, 0, v23
	s_wait_alu 0xf1ff
	v_cndmask_b32_e64 v23, v25, v24, s7
; %bb.395:
	s_wait_alu 0xfffe
	s_or_b32 exec_lo, exec_lo, s17
	v_lshlrev_b32_e32 v24, 16, v39
	s_delay_alu instid0(VALU_DEP_1) | instskip(NEXT) | instid1(VALU_DEP_1)
	v_add_f32_e32 v25, 0, v24
	v_and_b32_e32 v24, 0x7f800000, v25
	s_delay_alu instid0(VALU_DEP_1)
	v_cmp_ne_u32_e64 s7, 0x7f800000, v24
                                        ; implicit-def: $vgpr24
	s_and_saveexec_b32 s17, s7
	s_wait_alu 0xfffe
	s_xor_b32 s7, exec_lo, s17
; %bb.396:
	v_bfe_u32 v24, v25, 16, 1
	s_delay_alu instid0(VALU_DEP_1)
	v_add3_u32 v24, v25, v24, 0x7fff
                                        ; implicit-def: $vgpr25
; %bb.397:
	s_wait_alu 0xfffe
	s_and_not1_saveexec_b32 s17, s7
; %bb.398:
	v_and_b32_e32 v24, 0xffff, v25
	v_or_b32_e32 v26, 0x10000, v25
	s_delay_alu instid0(VALU_DEP_2) | instskip(SKIP_1) | instid1(VALU_DEP_1)
	v_cmp_eq_u32_e64 s7, 0, v24
	s_wait_alu 0xf1ff
	v_cndmask_b32_e64 v24, v26, v25, s7
; %bb.399:
	s_wait_alu 0xfffe
	s_or_b32 exec_lo, exec_lo, s17
	v_cmp_lt_i32_e64 s7, -1, v23
	s_delay_alu instid0(VALU_DEP_2) | instskip(SKIP_1) | instid1(VALU_DEP_2)
	v_perm_b32 v23, v24, v23, 0x7060302
	s_wait_alu 0xf1ff
	v_cndmask_b32_e64 v25, -1, 0xffff8000, s7
	v_cmp_lt_i32_e64 s7, -1, v24
	s_wait_alu 0xf1ff
	s_delay_alu instid0(VALU_DEP_1) | instskip(NEXT) | instid1(VALU_DEP_1)
	v_cndmask_b32_e64 v26, -1, 0xffff8000, s7
	v_perm_b32 v24, v26, v25, 0x5040100
	s_delay_alu instid0(VALU_DEP_1) | instskip(NEXT) | instid1(VALU_DEP_1)
	v_xor_b32_e32 v23, v24, v23
	v_lshrrev_b32_e32 v24, 16, v23
	s_delay_alu instid0(VALU_DEP_1)
	v_cmp_le_u16_e64 s7, v23, v24
	s_and_b32 s17, s7, exec_lo
.LBB2064_400:
	s_wait_alu 0xfffe
	s_or_b32 exec_lo, exec_lo, s14
	s_delay_alu instid0(SALU_CYCLE_1)
	s_or_not1_b32 s14, s17, exec_lo
.LBB2064_401:
	s_wait_alu 0xfffe
	s_or_b32 exec_lo, exec_lo, s16
	v_cndmask_b32_e64 v23, v21, v22, s14
	v_cndmask_b32_e64 v24, v53, v52, s14
	s_mov_b32 s16, exec_lo
	s_delay_alu instid0(VALU_DEP_2) | instskip(NEXT) | instid1(VALU_DEP_2)
	v_add_nc_u32_e32 v26, 1, v23
	v_add_nc_u32_e32 v24, -1, v24
	v_lshl_add_u32 v23, v23, 3, v13
	s_delay_alu instid0(VALU_DEP_3) | instskip(NEXT) | instid1(VALU_DEP_3)
	v_cndmask_b32_e64 v25, v26, v21, s14
	v_min_u32_e32 v24, v26, v24
	v_cndmask_b32_e64 v26, v22, v26, s14
	s_delay_alu instid0(VALU_DEP_2)
	v_lshl_add_u32 v24, v24, 1, v10
	ds_load_u16 v67, v24
	ds_load_b64 v[23:24], v23 offset:4096
	s_wait_dscnt 0x1
	v_cndmask_b32_e64 v50, v67, v39, s14
	v_cndmask_b32_e64 v67, v66, v67, s14
	v_cmpx_lt_u32_e64 v25, v53
	s_cbranch_execz .LBB2064_413
; %bb.402:
	s_mov_b32 s17, 0
	s_mov_b32 s15, exec_lo
	v_cmpx_lt_u32_e64 v26, v52
	s_cbranch_execz .LBB2064_412
; %bb.403:
	v_lshlrev_b32_e32 v21, 16, v67
	s_delay_alu instid0(VALU_DEP_1) | instskip(NEXT) | instid1(VALU_DEP_1)
	v_add_f32_e32 v22, 0, v21
	v_and_b32_e32 v21, 0x7f800000, v22
	s_delay_alu instid0(VALU_DEP_1)
	v_cmp_ne_u32_e64 s7, 0x7f800000, v21
                                        ; implicit-def: $vgpr21
	s_and_saveexec_b32 s17, s7
	s_wait_alu 0xfffe
	s_xor_b32 s7, exec_lo, s17
; %bb.404:
	v_bfe_u32 v21, v22, 16, 1
	s_delay_alu instid0(VALU_DEP_1)
	v_add3_u32 v21, v22, v21, 0x7fff
                                        ; implicit-def: $vgpr22
; %bb.405:
	s_wait_alu 0xfffe
	s_and_not1_saveexec_b32 s17, s7
; %bb.406:
	v_and_b32_e32 v21, 0xffff, v22
	v_or_b32_e32 v68, 0x10000, v22
	s_delay_alu instid0(VALU_DEP_2) | instskip(SKIP_1) | instid1(VALU_DEP_1)
	v_cmp_eq_u32_e64 s7, 0, v21
	s_wait_alu 0xf1ff
	v_cndmask_b32_e64 v21, v68, v22, s7
; %bb.407:
	s_wait_alu 0xfffe
	s_or_b32 exec_lo, exec_lo, s17
	v_lshlrev_b32_e32 v22, 16, v50
	s_delay_alu instid0(VALU_DEP_1) | instskip(NEXT) | instid1(VALU_DEP_1)
	v_add_f32_e32 v68, 0, v22
	v_and_b32_e32 v22, 0x7f800000, v68
	s_delay_alu instid0(VALU_DEP_1)
	v_cmp_ne_u32_e64 s7, 0x7f800000, v22
                                        ; implicit-def: $vgpr22
	s_and_saveexec_b32 s17, s7
	s_wait_alu 0xfffe
	s_xor_b32 s7, exec_lo, s17
; %bb.408:
	v_bfe_u32 v22, v68, 16, 1
	s_delay_alu instid0(VALU_DEP_1)
	v_add3_u32 v22, v68, v22, 0x7fff
                                        ; implicit-def: $vgpr68
; %bb.409:
	s_wait_alu 0xfffe
	s_and_not1_saveexec_b32 s17, s7
; %bb.410:
	v_and_b32_e32 v22, 0xffff, v68
	v_or_b32_e32 v69, 0x10000, v68
	s_delay_alu instid0(VALU_DEP_2) | instskip(SKIP_1) | instid1(VALU_DEP_1)
	v_cmp_eq_u32_e64 s7, 0, v22
	s_wait_alu 0xf1ff
	v_cndmask_b32_e64 v22, v69, v68, s7
; %bb.411:
	s_wait_alu 0xfffe
	s_or_b32 exec_lo, exec_lo, s17
	v_cmp_lt_i32_e64 s7, -1, v21
	s_delay_alu instid0(VALU_DEP_2) | instskip(SKIP_1) | instid1(VALU_DEP_2)
	v_perm_b32 v21, v22, v21, 0x7060302
	s_wait_alu 0xf1ff
	v_cndmask_b32_e64 v68, -1, 0xffff8000, s7
	v_cmp_lt_i32_e64 s7, -1, v22
	s_wait_alu 0xf1ff
	s_delay_alu instid0(VALU_DEP_1) | instskip(NEXT) | instid1(VALU_DEP_1)
	v_cndmask_b32_e64 v69, -1, 0xffff8000, s7
	v_perm_b32 v22, v69, v68, 0x5040100
	s_delay_alu instid0(VALU_DEP_1) | instskip(NEXT) | instid1(VALU_DEP_1)
	v_xor_b32_e32 v21, v22, v21
	v_lshrrev_b32_e32 v22, 16, v21
	s_delay_alu instid0(VALU_DEP_1)
	v_cmp_le_u16_e64 s7, v21, v22
	s_and_b32 s17, s7, exec_lo
.LBB2064_412:
	s_wait_alu 0xfffe
	s_or_b32 exec_lo, exec_lo, s15
	s_delay_alu instid0(SALU_CYCLE_1)
	s_or_not1_b32 s15, s17, exec_lo
.LBB2064_413:
	s_wait_alu 0xfffe
	s_or_b32 exec_lo, exec_lo, s16
	v_cndmask_b32_e64 v21, v25, v26, s15
	v_cndmask_b32_e64 v22, v53, v52, s15
	s_mov_b32 s17, -1
	s_mov_b32 s16, exec_lo
	s_delay_alu instid0(VALU_DEP_2) | instskip(NEXT) | instid1(VALU_DEP_2)
	v_add_nc_u32_e32 v68, 1, v21
	v_add_nc_u32_e32 v22, -1, v22
	v_lshl_add_u32 v21, v21, 3, v13
	s_delay_alu instid0(VALU_DEP_3) | instskip(NEXT) | instid1(VALU_DEP_3)
	v_cndmask_b32_e64 v25, v68, v25, s15
	v_min_u32_e32 v22, v68, v22
	v_cndmask_b32_e64 v26, v26, v68, s15
	s_delay_alu instid0(VALU_DEP_2)
	v_lshl_add_u32 v22, v22, 1, v10
	ds_load_u16 v69, v22
	ds_load_b64 v[21:22], v21 offset:4096
	s_wait_dscnt 0x1
	v_cndmask_b32_e64 v68, v69, v50, s15
	v_cndmask_b32_e64 v69, v67, v69, s15
	v_cmpx_lt_u32_e64 v25, v53
	s_cbranch_execz .LBB2064_425
; %bb.414:
	s_mov_b32 s18, 0
	s_mov_b32 s17, exec_lo
	v_cmpx_lt_u32_e64 v26, v52
	s_cbranch_execz .LBB2064_424
; %bb.415:
	v_lshlrev_b32_e32 v52, 16, v69
	s_delay_alu instid0(VALU_DEP_1) | instskip(NEXT) | instid1(VALU_DEP_1)
	v_add_f32_e32 v53, 0, v52
	v_and_b32_e32 v52, 0x7f800000, v53
	s_delay_alu instid0(VALU_DEP_1)
	v_cmp_ne_u32_e64 s7, 0x7f800000, v52
                                        ; implicit-def: $vgpr52
	s_and_saveexec_b32 s18, s7
	s_wait_alu 0xfffe
	s_xor_b32 s7, exec_lo, s18
; %bb.416:
	v_bfe_u32 v52, v53, 16, 1
	s_delay_alu instid0(VALU_DEP_1)
	v_add3_u32 v52, v53, v52, 0x7fff
                                        ; implicit-def: $vgpr53
; %bb.417:
	s_wait_alu 0xfffe
	s_and_not1_saveexec_b32 s18, s7
; %bb.418:
	v_and_b32_e32 v52, 0xffff, v53
	v_or_b32_e32 v70, 0x10000, v53
	s_delay_alu instid0(VALU_DEP_2) | instskip(SKIP_1) | instid1(VALU_DEP_1)
	v_cmp_eq_u32_e64 s7, 0, v52
	s_wait_alu 0xf1ff
	v_cndmask_b32_e64 v52, v70, v53, s7
; %bb.419:
	s_wait_alu 0xfffe
	s_or_b32 exec_lo, exec_lo, s18
	v_lshlrev_b32_e32 v53, 16, v68
	s_delay_alu instid0(VALU_DEP_1) | instskip(NEXT) | instid1(VALU_DEP_1)
	v_add_f32_e32 v70, 0, v53
	v_and_b32_e32 v53, 0x7f800000, v70
	s_delay_alu instid0(VALU_DEP_1)
	v_cmp_ne_u32_e64 s7, 0x7f800000, v53
                                        ; implicit-def: $vgpr53
	s_and_saveexec_b32 s18, s7
	s_wait_alu 0xfffe
	s_xor_b32 s7, exec_lo, s18
; %bb.420:
	v_bfe_u32 v53, v70, 16, 1
	s_delay_alu instid0(VALU_DEP_1)
	v_add3_u32 v53, v70, v53, 0x7fff
                                        ; implicit-def: $vgpr70
; %bb.421:
	s_wait_alu 0xfffe
	s_and_not1_saveexec_b32 s18, s7
; %bb.422:
	v_and_b32_e32 v53, 0xffff, v70
	v_or_b32_e32 v71, 0x10000, v70
	s_delay_alu instid0(VALU_DEP_2) | instskip(SKIP_1) | instid1(VALU_DEP_1)
	v_cmp_eq_u32_e64 s7, 0, v53
	s_wait_alu 0xf1ff
	v_cndmask_b32_e64 v53, v71, v70, s7
; %bb.423:
	s_wait_alu 0xfffe
	s_or_b32 exec_lo, exec_lo, s18
	v_cmp_lt_i32_e64 s7, -1, v52
	s_delay_alu instid0(VALU_DEP_2) | instskip(SKIP_1) | instid1(VALU_DEP_2)
	v_perm_b32 v52, v53, v52, 0x7060302
	s_wait_alu 0xf1ff
	v_cndmask_b32_e64 v70, -1, 0xffff8000, s7
	v_cmp_lt_i32_e64 s7, -1, v53
	s_wait_alu 0xf1ff
	s_delay_alu instid0(VALU_DEP_1) | instskip(NEXT) | instid1(VALU_DEP_1)
	v_cndmask_b32_e64 v71, -1, 0xffff8000, s7
	v_perm_b32 v53, v71, v70, 0x5040100
	s_delay_alu instid0(VALU_DEP_1) | instskip(NEXT) | instid1(VALU_DEP_1)
	v_xor_b32_e32 v52, v53, v52
	v_lshrrev_b32_e32 v53, 16, v52
	s_delay_alu instid0(VALU_DEP_1)
	v_cmp_le_u16_e64 s7, v52, v53
	s_and_b32 s18, s7, exec_lo
.LBB2064_424:
	s_wait_alu 0xfffe
	s_or_b32 exec_lo, exec_lo, s17
	s_delay_alu instid0(SALU_CYCLE_1)
	s_or_not1_b32 s17, s18, exec_lo
.LBB2064_425:
	s_wait_alu 0xfffe
	s_or_b32 exec_lo, exec_lo, s16
	v_cndmask_b32_e64 v25, v25, v26, s17
	v_cndmask_b32_e64 v50, v50, v67, s15
	;; [unrolled: 1-line block ×5, first 2 shown]
	v_lshl_add_u32 v25, v25, 3, v13
	v_cndmask_b32_e64 v32, v32, v55, s11
	v_cndmask_b32_e64 v48, v48, v54, s8
	;; [unrolled: 1-line block ×4, first 2 shown]
	ds_load_b64 v[25:26], v25 offset:4096
.LBB2064_426:
	s_wait_alu 0xfffe
	s_or_b32 exec_lo, exec_lo, s9
	v_and_b32_e32 v64, 0xe0, v36
	v_and_b32_e32 v54, 24, v36
	v_perm_b32 v68, v38, v50, 0x5040100
	v_perm_b32 v67, v39, v49, 0x5040100
	v_perm_b32 v70, v51, v32, 0x5040100
	v_or_b32_e32 v52, 16, v64
	v_min_u32_e32 v65, v27, v54
	v_perm_b32 v69, v48, v37, 0x5040100
	s_mov_b32 s8, exec_lo
	s_delay_alu instid0(VALU_DEP_3)
	v_min_u32_e32 v52, v27, v52
	; wave barrier
	ds_store_2addr_b64 v30, v[15:16], v[17:18] offset1:1
	ds_store_2addr_b64 v31, v[19:20], v[23:24] offset1:1
	;; [unrolled: 1-line block ×4, first 2 shown]
	s_wait_dscnt 0x4
	ds_store_2addr_b64 v28, v[21:22], v[25:26] offset1:1
	v_add_nc_u32_e32 v53, 16, v52
	v_sub_nc_u32_e32 v54, v52, v64
	; wave barrier
	s_delay_alu instid0(VALU_DEP_2) | instskip(NEXT) | instid1(VALU_DEP_2)
	v_min_u32_e32 v53, v27, v53
	v_min_u32_e32 v66, v65, v54
	s_delay_alu instid0(VALU_DEP_2) | instskip(NEXT) | instid1(VALU_DEP_1)
	v_sub_nc_u32_e32 v55, v53, v52
	v_sub_nc_u32_e64 v54, v65, v55 clamp
	v_lshl_add_u32 v55, v64, 1, v10
	s_delay_alu instid0(VALU_DEP_2)
	v_cmpx_lt_u32_e64 v54, v66
	s_cbranch_execz .LBB2064_438
; %bb.427:
	v_lshlrev_b32_e32 v67, 1, v52
	v_lshlrev_b32_e32 v68, 1, v65
	s_mov_b32 s9, 0
	s_delay_alu instid0(VALU_DEP_1)
	v_add3_u32 v67, v10, v67, v68
	s_branch .LBB2064_429
.LBB2064_428:                           ;   in Loop: Header=BB2064_429 Depth=1
	s_wait_alu 0xfffe
	s_or_b32 exec_lo, exec_lo, s10
	v_cmp_lt_i32_e64 s7, -1, v69
	v_lshrrev_b32_e32 v71, 16, v69
	v_lshrrev_b32_e32 v80, 16, v70
	s_wait_alu 0xf1ff
	s_delay_alu instid0(VALU_DEP_3) | instskip(SKIP_1) | instid1(VALU_DEP_2)
	v_cndmask_b32_e64 v69, -1, 0xffff8000, s7
	v_cmp_lt_i32_e64 s7, -1, v70
	v_xor_b32_e32 v69, v69, v71
	s_wait_alu 0xf1ff
	s_delay_alu instid0(VALU_DEP_2) | instskip(SKIP_1) | instid1(VALU_DEP_2)
	v_cndmask_b32_e64 v70, -1, 0xffff8000, s7
	v_add_nc_u32_e32 v71, 1, v68
	v_xor_b32_e32 v70, v70, v80
	s_delay_alu instid0(VALU_DEP_1) | instskip(SKIP_1) | instid1(VALU_DEP_1)
	v_cmp_gt_u16_e64 s7, v69, v70
	s_wait_alu 0xf1ff
	v_cndmask_b32_e64 v66, v66, v68, s7
	v_cndmask_b32_e64 v54, v71, v54, s7
	s_delay_alu instid0(VALU_DEP_1)
	v_cmp_ge_u32_e64 s7, v54, v66
	s_or_b32 s9, s7, s9
	s_wait_alu 0xfffe
	s_and_not1_b32 exec_lo, exec_lo, s9
	s_cbranch_execz .LBB2064_437
.LBB2064_429:                           ; =>This Inner Loop Header: Depth=1
	v_add_nc_u32_e32 v68, v66, v54
	s_delay_alu instid0(VALU_DEP_1) | instskip(SKIP_1) | instid1(VALU_DEP_2)
	v_and_b32_e32 v69, -2, v68
	v_lshrrev_b32_e32 v68, 1, v68
	v_add_nc_u32_e32 v69, v55, v69
	s_delay_alu instid0(VALU_DEP_2)
	v_not_b32_e32 v70, v68
	ds_load_u16 v69, v69
	v_lshl_add_u32 v70, v70, 1, v67
	ds_load_u16 v70, v70
	s_wait_dscnt 0x1
	v_lshlrev_b32_e32 v69, 16, v69
	s_delay_alu instid0(VALU_DEP_1) | instskip(NEXT) | instid1(VALU_DEP_1)
	v_add_f32_e32 v71, 0, v69
	v_and_b32_e32 v69, 0x7f800000, v71
	s_delay_alu instid0(VALU_DEP_1)
	v_cmp_ne_u32_e64 s7, 0x7f800000, v69
                                        ; implicit-def: $vgpr69
	s_and_saveexec_b32 s10, s7
	s_wait_alu 0xfffe
	s_xor_b32 s7, exec_lo, s10
; %bb.430:                              ;   in Loop: Header=BB2064_429 Depth=1
	v_bfe_u32 v69, v71, 16, 1
	s_delay_alu instid0(VALU_DEP_1)
	v_add3_u32 v69, v71, v69, 0x7fff
                                        ; implicit-def: $vgpr71
; %bb.431:                              ;   in Loop: Header=BB2064_429 Depth=1
	s_wait_alu 0xfffe
	s_and_not1_saveexec_b32 s10, s7
; %bb.432:                              ;   in Loop: Header=BB2064_429 Depth=1
	v_and_b32_e32 v69, 0xffff, v71
	v_or_b32_e32 v80, 0x10000, v71
	s_delay_alu instid0(VALU_DEP_2) | instskip(SKIP_1) | instid1(VALU_DEP_1)
	v_cmp_eq_u32_e64 s7, 0, v69
	s_wait_alu 0xf1ff
	v_cndmask_b32_e64 v69, v80, v71, s7
; %bb.433:                              ;   in Loop: Header=BB2064_429 Depth=1
	s_wait_alu 0xfffe
	s_or_b32 exec_lo, exec_lo, s10
	s_wait_dscnt 0x0
	v_lshlrev_b32_e32 v70, 16, v70
	s_delay_alu instid0(VALU_DEP_1) | instskip(NEXT) | instid1(VALU_DEP_1)
	v_add_f32_e32 v71, 0, v70
	v_and_b32_e32 v70, 0x7f800000, v71
	s_delay_alu instid0(VALU_DEP_1)
	v_cmp_ne_u32_e64 s7, 0x7f800000, v70
                                        ; implicit-def: $vgpr70
	s_and_saveexec_b32 s10, s7
	s_wait_alu 0xfffe
	s_xor_b32 s7, exec_lo, s10
; %bb.434:                              ;   in Loop: Header=BB2064_429 Depth=1
	v_bfe_u32 v70, v71, 16, 1
	s_delay_alu instid0(VALU_DEP_1)
	v_add3_u32 v70, v71, v70, 0x7fff
                                        ; implicit-def: $vgpr71
; %bb.435:                              ;   in Loop: Header=BB2064_429 Depth=1
	s_wait_alu 0xfffe
	s_and_not1_saveexec_b32 s10, s7
	s_cbranch_execz .LBB2064_428
; %bb.436:                              ;   in Loop: Header=BB2064_429 Depth=1
	v_and_b32_e32 v70, 0xffff, v71
	v_or_b32_e32 v80, 0x10000, v71
	s_delay_alu instid0(VALU_DEP_2) | instskip(SKIP_1) | instid1(VALU_DEP_1)
	v_cmp_eq_u32_e64 s7, 0, v70
	s_wait_alu 0xf1ff
	v_cndmask_b32_e64 v70, v80, v71, s7
	s_branch .LBB2064_428
.LBB2064_437:
	s_or_b32 exec_lo, exec_lo, s9
.LBB2064_438:
	s_wait_alu 0xfffe
	s_or_b32 exec_lo, exec_lo, s8
	v_add_nc_u32_e32 v65, v52, v65
	v_add_nc_u32_e32 v64, v54, v64
	s_delay_alu instid0(VALU_DEP_2) | instskip(NEXT) | instid1(VALU_DEP_2)
	v_sub_nc_u32_e32 v65, v65, v54
	v_cmp_le_u32_e64 s7, v64, v52
	s_delay_alu instid0(VALU_DEP_2)
	v_cmp_le_u32_e64 s8, v65, v53
	s_or_b32 s7, s7, s8
	s_wait_alu 0xfffe
	s_and_saveexec_b32 s9, s7
	s_cbranch_execz .LBB2064_538
; %bb.439:
	v_cmp_ge_u32_e64 s7, v64, v52
	s_mov_b32 s10, exec_lo
                                        ; implicit-def: $vgpr37
	v_cmpx_lt_u32_e64 v64, v52
; %bb.440:
	v_lshl_add_u32 v4, v54, 1, v55
	ds_load_u16 v37, v4
; %bb.441:
	s_wait_alu 0xfffe
	s_or_b32 exec_lo, exec_lo, s10
	v_cmp_ge_u32_e64 s10, v65, v53
	s_mov_b32 s11, exec_lo
                                        ; implicit-def: $vgpr38
	v_cmpx_lt_u32_e64 v65, v53
; %bb.442:
	v_lshl_add_u32 v4, v65, 1, v10
	ds_load_u16 v38, v4
; %bb.443:
	s_wait_alu 0xfffe
	s_or_b32 exec_lo, exec_lo, s11
	s_nor_b32 s7, s7, s10
	s_wait_alu 0xfffe
	s_and_saveexec_b32 s8, s7
	s_cbranch_execz .LBB2064_453
; %bb.444:
	s_wait_dscnt 0x0
	v_lshlrev_b32_e32 v4, 16, v37
	s_delay_alu instid0(VALU_DEP_1) | instskip(NEXT) | instid1(VALU_DEP_1)
	v_add_f32_e32 v5, 0, v4
	v_and_b32_e32 v4, 0x7f800000, v5
	s_delay_alu instid0(VALU_DEP_1)
	v_cmp_ne_u32_e64 s7, 0x7f800000, v4
                                        ; implicit-def: $vgpr4
	s_and_saveexec_b32 s11, s7
	s_wait_alu 0xfffe
	s_xor_b32 s7, exec_lo, s11
; %bb.445:
	v_bfe_u32 v4, v5, 16, 1
	s_delay_alu instid0(VALU_DEP_1)
	v_add3_u32 v4, v5, v4, 0x7fff
                                        ; implicit-def: $vgpr5
; %bb.446:
	s_wait_alu 0xfffe
	s_and_not1_saveexec_b32 s11, s7
; %bb.447:
	v_and_b32_e32 v4, 0xffff, v5
	v_or_b32_e32 v8, 0x10000, v5
	s_delay_alu instid0(VALU_DEP_2) | instskip(SKIP_1) | instid1(VALU_DEP_1)
	v_cmp_eq_u32_e64 s7, 0, v4
	s_wait_alu 0xf1ff
	v_cndmask_b32_e64 v4, v8, v5, s7
; %bb.448:
	s_wait_alu 0xfffe
	s_or_b32 exec_lo, exec_lo, s11
	v_lshlrev_b32_e32 v5, 16, v38
	s_delay_alu instid0(VALU_DEP_1) | instskip(NEXT) | instid1(VALU_DEP_1)
	v_add_f32_e32 v8, 0, v5
	v_and_b32_e32 v5, 0x7f800000, v8
	s_delay_alu instid0(VALU_DEP_1)
	v_cmp_ne_u32_e64 s7, 0x7f800000, v5
                                        ; implicit-def: $vgpr5
	s_and_saveexec_b32 s11, s7
	s_wait_alu 0xfffe
	s_xor_b32 s7, exec_lo, s11
; %bb.449:
	v_bfe_u32 v5, v8, 16, 1
	s_delay_alu instid0(VALU_DEP_1)
	v_add3_u32 v5, v8, v5, 0x7fff
                                        ; implicit-def: $vgpr8
; %bb.450:
	s_wait_alu 0xfffe
	s_and_not1_saveexec_b32 s11, s7
; %bb.451:
	v_and_b32_e32 v5, 0xffff, v8
	v_or_b32_e32 v9, 0x10000, v8
	s_delay_alu instid0(VALU_DEP_2) | instskip(SKIP_1) | instid1(VALU_DEP_1)
	v_cmp_eq_u32_e64 s7, 0, v5
	s_wait_alu 0xf1ff
	v_cndmask_b32_e64 v5, v9, v8, s7
; %bb.452:
	s_wait_alu 0xfffe
	s_or_b32 exec_lo, exec_lo, s11
	v_cmp_lt_i32_e64 s7, -1, v4
	s_delay_alu instid0(VALU_DEP_2) | instskip(SKIP_4) | instid1(VALU_DEP_1)
	v_perm_b32 v4, v5, v4, 0x7060302
	s_and_not1_b32 s10, s10, exec_lo
	v_cndmask_b32_e64 v8, -1, 0xffff8000, s7
	v_cmp_lt_i32_e64 s7, -1, v5
	s_wait_alu 0xf1ff
	v_cndmask_b32_e64 v9, -1, 0xffff8000, s7
	s_delay_alu instid0(VALU_DEP_1) | instskip(NEXT) | instid1(VALU_DEP_1)
	v_perm_b32 v5, v9, v8, 0x5040100
	v_xor_b32_e32 v4, v5, v4
	s_delay_alu instid0(VALU_DEP_1) | instskip(NEXT) | instid1(VALU_DEP_1)
	v_lshrrev_b32_e32 v5, 16, v4
	v_cmp_le_u16_e64 s7, v4, v5
	s_and_b32 s7, s7, exec_lo
	s_wait_alu 0xfffe
	s_or_b32 s10, s10, s7
.LBB2064_453:
	s_wait_alu 0xfffe
	s_or_b32 exec_lo, exec_lo, s8
	v_cndmask_b32_e64 v4, v65, v64, s10
	v_cndmask_b32_e64 v5, v53, v52, s10
	s_mov_b32 s11, -1
	s_mov_b32 s8, -1
	s_mov_b32 s12, exec_lo
	v_add_nc_u32_e32 v8, 1, v4
	v_add_nc_u32_e32 v5, -1, v5
	v_lshl_add_u32 v4, v4, 3, v13
	s_delay_alu instid0(VALU_DEP_3) | instskip(NEXT) | instid1(VALU_DEP_3)
	v_cndmask_b32_e64 v15, v8, v65, s10
	v_min_u32_e32 v5, v8, v5
	v_cndmask_b32_e64 v16, v64, v8, s10
	s_delay_alu instid0(VALU_DEP_2)
	v_lshl_add_u32 v5, v5, 1, v10
	ds_load_u16 v9, v5
	ds_load_b64 v[4:5], v4 offset:4096
	s_wait_dscnt 0x1
	v_cndmask_b32_e64 v48, v9, v38, s10
	v_cndmask_b32_e64 v54, v37, v9, s10
	v_cmpx_lt_u32_e64 v15, v53
	s_cbranch_execz .LBB2064_465
; %bb.454:
	s_mov_b32 s13, 0
	s_mov_b32 s8, exec_lo
	v_cmpx_lt_u32_e64 v16, v52
	s_cbranch_execz .LBB2064_464
; %bb.455:
	v_lshlrev_b32_e32 v8, 16, v54
	s_delay_alu instid0(VALU_DEP_1) | instskip(NEXT) | instid1(VALU_DEP_1)
	v_add_f32_e32 v9, 0, v8
	v_and_b32_e32 v8, 0x7f800000, v9
	s_delay_alu instid0(VALU_DEP_1)
	v_cmp_ne_u32_e64 s7, 0x7f800000, v8
                                        ; implicit-def: $vgpr8
	s_and_saveexec_b32 s13, s7
	s_wait_alu 0xfffe
	s_xor_b32 s7, exec_lo, s13
; %bb.456:
	v_bfe_u32 v8, v9, 16, 1
	s_delay_alu instid0(VALU_DEP_1)
	v_add3_u32 v8, v9, v8, 0x7fff
                                        ; implicit-def: $vgpr9
; %bb.457:
	s_wait_alu 0xfffe
	s_and_not1_saveexec_b32 s13, s7
; %bb.458:
	v_and_b32_e32 v8, 0xffff, v9
	v_or_b32_e32 v17, 0x10000, v9
	s_delay_alu instid0(VALU_DEP_2) | instskip(SKIP_1) | instid1(VALU_DEP_1)
	v_cmp_eq_u32_e64 s7, 0, v8
	s_wait_alu 0xf1ff
	v_cndmask_b32_e64 v8, v17, v9, s7
; %bb.459:
	s_wait_alu 0xfffe
	s_or_b32 exec_lo, exec_lo, s13
	v_lshlrev_b32_e32 v9, 16, v48
	s_delay_alu instid0(VALU_DEP_1) | instskip(NEXT) | instid1(VALU_DEP_1)
	v_add_f32_e32 v17, 0, v9
	v_and_b32_e32 v9, 0x7f800000, v17
	s_delay_alu instid0(VALU_DEP_1)
	v_cmp_ne_u32_e64 s7, 0x7f800000, v9
                                        ; implicit-def: $vgpr9
	s_and_saveexec_b32 s13, s7
	s_wait_alu 0xfffe
	s_xor_b32 s7, exec_lo, s13
; %bb.460:
	v_bfe_u32 v9, v17, 16, 1
	s_delay_alu instid0(VALU_DEP_1)
	v_add3_u32 v9, v17, v9, 0x7fff
                                        ; implicit-def: $vgpr17
; %bb.461:
	s_wait_alu 0xfffe
	s_and_not1_saveexec_b32 s13, s7
; %bb.462:
	v_and_b32_e32 v9, 0xffff, v17
	v_or_b32_e32 v18, 0x10000, v17
	s_delay_alu instid0(VALU_DEP_2) | instskip(SKIP_1) | instid1(VALU_DEP_1)
	v_cmp_eq_u32_e64 s7, 0, v9
	s_wait_alu 0xf1ff
	v_cndmask_b32_e64 v9, v18, v17, s7
; %bb.463:
	s_wait_alu 0xfffe
	s_or_b32 exec_lo, exec_lo, s13
	v_cmp_lt_i32_e64 s7, -1, v8
	s_delay_alu instid0(VALU_DEP_2) | instskip(SKIP_1) | instid1(VALU_DEP_2)
	v_perm_b32 v8, v9, v8, 0x7060302
	s_wait_alu 0xf1ff
	v_cndmask_b32_e64 v17, -1, 0xffff8000, s7
	v_cmp_lt_i32_e64 s7, -1, v9
	s_wait_alu 0xf1ff
	s_delay_alu instid0(VALU_DEP_1) | instskip(NEXT) | instid1(VALU_DEP_1)
	v_cndmask_b32_e64 v18, -1, 0xffff8000, s7
	v_perm_b32 v9, v18, v17, 0x5040100
	s_delay_alu instid0(VALU_DEP_1) | instskip(NEXT) | instid1(VALU_DEP_1)
	v_xor_b32_e32 v8, v9, v8
	v_lshrrev_b32_e32 v9, 16, v8
	s_delay_alu instid0(VALU_DEP_1)
	v_cmp_le_u16_e64 s7, v8, v9
	s_and_b32 s13, s7, exec_lo
.LBB2064_464:
	s_wait_alu 0xfffe
	s_or_b32 exec_lo, exec_lo, s8
	s_delay_alu instid0(SALU_CYCLE_1)
	s_or_not1_b32 s8, s13, exec_lo
.LBB2064_465:
	s_wait_alu 0xfffe
	s_or_b32 exec_lo, exec_lo, s12
	v_cndmask_b32_e64 v8, v15, v16, s8
	v_cndmask_b32_e64 v9, v53, v52, s8
	s_mov_b32 s12, exec_lo
	s_delay_alu instid0(VALU_DEP_2) | instskip(NEXT) | instid1(VALU_DEP_2)
	v_add_nc_u32_e32 v18, 1, v8
	v_add_nc_u32_e32 v9, -1, v9
	v_lshl_add_u32 v8, v8, 3, v13
	s_delay_alu instid0(VALU_DEP_3) | instskip(NEXT) | instid1(VALU_DEP_3)
	v_cndmask_b32_e64 v17, v18, v15, s8
	v_min_u32_e32 v9, v18, v9
	v_cndmask_b32_e64 v18, v16, v18, s8
	s_delay_alu instid0(VALU_DEP_2)
	v_lshl_add_u32 v9, v9, 1, v10
	ds_load_u16 v19, v9
	ds_load_b64 v[8:9], v8 offset:4096
	s_wait_dscnt 0x1
	v_cndmask_b32_e64 v32, v19, v48, s8
	v_cndmask_b32_e64 v55, v54, v19, s8
	v_cmpx_lt_u32_e64 v17, v53
	s_cbranch_execz .LBB2064_477
; %bb.466:
	s_mov_b32 s13, 0
	s_mov_b32 s11, exec_lo
	v_cmpx_lt_u32_e64 v18, v52
	s_cbranch_execz .LBB2064_476
; %bb.467:
	v_lshlrev_b32_e32 v15, 16, v55
	s_delay_alu instid0(VALU_DEP_1) | instskip(NEXT) | instid1(VALU_DEP_1)
	v_add_f32_e32 v16, 0, v15
	v_and_b32_e32 v15, 0x7f800000, v16
	s_delay_alu instid0(VALU_DEP_1)
	v_cmp_ne_u32_e64 s7, 0x7f800000, v15
                                        ; implicit-def: $vgpr15
	s_and_saveexec_b32 s13, s7
	s_wait_alu 0xfffe
	s_xor_b32 s7, exec_lo, s13
; %bb.468:
	v_bfe_u32 v15, v16, 16, 1
	s_delay_alu instid0(VALU_DEP_1)
	v_add3_u32 v15, v16, v15, 0x7fff
                                        ; implicit-def: $vgpr16
; %bb.469:
	s_wait_alu 0xfffe
	s_and_not1_saveexec_b32 s13, s7
; %bb.470:
	v_and_b32_e32 v15, 0xffff, v16
	v_or_b32_e32 v19, 0x10000, v16
	s_delay_alu instid0(VALU_DEP_2) | instskip(SKIP_1) | instid1(VALU_DEP_1)
	v_cmp_eq_u32_e64 s7, 0, v15
	s_wait_alu 0xf1ff
	v_cndmask_b32_e64 v15, v19, v16, s7
; %bb.471:
	s_wait_alu 0xfffe
	s_or_b32 exec_lo, exec_lo, s13
	v_lshlrev_b32_e32 v16, 16, v32
	s_delay_alu instid0(VALU_DEP_1) | instskip(NEXT) | instid1(VALU_DEP_1)
	v_add_f32_e32 v19, 0, v16
	v_and_b32_e32 v16, 0x7f800000, v19
	s_delay_alu instid0(VALU_DEP_1)
	v_cmp_ne_u32_e64 s7, 0x7f800000, v16
                                        ; implicit-def: $vgpr16
	s_and_saveexec_b32 s13, s7
	s_wait_alu 0xfffe
	s_xor_b32 s7, exec_lo, s13
; %bb.472:
	v_bfe_u32 v16, v19, 16, 1
	s_delay_alu instid0(VALU_DEP_1)
	v_add3_u32 v16, v19, v16, 0x7fff
                                        ; implicit-def: $vgpr19
; %bb.473:
	s_wait_alu 0xfffe
	s_and_not1_saveexec_b32 s13, s7
; %bb.474:
	v_and_b32_e32 v16, 0xffff, v19
	v_or_b32_e32 v20, 0x10000, v19
	s_delay_alu instid0(VALU_DEP_2) | instskip(SKIP_1) | instid1(VALU_DEP_1)
	v_cmp_eq_u32_e64 s7, 0, v16
	s_wait_alu 0xf1ff
	v_cndmask_b32_e64 v16, v20, v19, s7
; %bb.475:
	s_wait_alu 0xfffe
	s_or_b32 exec_lo, exec_lo, s13
	v_cmp_lt_i32_e64 s7, -1, v15
	s_delay_alu instid0(VALU_DEP_2) | instskip(SKIP_1) | instid1(VALU_DEP_2)
	v_perm_b32 v15, v16, v15, 0x7060302
	s_wait_alu 0xf1ff
	v_cndmask_b32_e64 v19, -1, 0xffff8000, s7
	v_cmp_lt_i32_e64 s7, -1, v16
	s_wait_alu 0xf1ff
	s_delay_alu instid0(VALU_DEP_1) | instskip(NEXT) | instid1(VALU_DEP_1)
	v_cndmask_b32_e64 v20, -1, 0xffff8000, s7
	v_perm_b32 v16, v20, v19, 0x5040100
	s_delay_alu instid0(VALU_DEP_1) | instskip(NEXT) | instid1(VALU_DEP_1)
	v_xor_b32_e32 v15, v16, v15
	v_lshrrev_b32_e32 v16, 16, v15
	s_delay_alu instid0(VALU_DEP_1)
	v_cmp_le_u16_e64 s7, v15, v16
	s_and_b32 s13, s7, exec_lo
.LBB2064_476:
	s_wait_alu 0xfffe
	s_or_b32 exec_lo, exec_lo, s11
	s_delay_alu instid0(SALU_CYCLE_1)
	s_or_not1_b32 s11, s13, exec_lo
.LBB2064_477:
	s_wait_alu 0xfffe
	s_or_b32 exec_lo, exec_lo, s12
	v_cndmask_b32_e64 v15, v17, v18, s11
	v_cndmask_b32_e64 v16, v53, v52, s11
	s_mov_b32 s13, -1
	s_mov_b32 s12, -1
	s_mov_b32 s14, exec_lo
	v_add_nc_u32_e32 v20, 1, v15
	v_add_nc_u32_e32 v16, -1, v16
	v_lshl_add_u32 v15, v15, 3, v13
	s_delay_alu instid0(VALU_DEP_3) | instskip(NEXT) | instid1(VALU_DEP_3)
	v_cndmask_b32_e64 v19, v20, v17, s11
	v_min_u32_e32 v16, v20, v16
	v_cndmask_b32_e64 v20, v18, v20, s11
	s_delay_alu instid0(VALU_DEP_2)
	v_lshl_add_u32 v16, v16, 1, v10
	ds_load_u16 v21, v16
	ds_load_b64 v[15:16], v15 offset:4096
	s_wait_dscnt 0x1
	v_cndmask_b32_e64 v51, v21, v32, s11
	v_cndmask_b32_e64 v64, v55, v21, s11
	v_cmpx_lt_u32_e64 v19, v53
	s_cbranch_execz .LBB2064_489
; %bb.478:
	s_mov_b32 s15, 0
	s_mov_b32 s12, exec_lo
	v_cmpx_lt_u32_e64 v20, v52
	s_cbranch_execz .LBB2064_488
; %bb.479:
	v_lshlrev_b32_e32 v17, 16, v64
	s_delay_alu instid0(VALU_DEP_1) | instskip(NEXT) | instid1(VALU_DEP_1)
	v_add_f32_e32 v18, 0, v17
	v_and_b32_e32 v17, 0x7f800000, v18
	s_delay_alu instid0(VALU_DEP_1)
	v_cmp_ne_u32_e64 s7, 0x7f800000, v17
                                        ; implicit-def: $vgpr17
	s_and_saveexec_b32 s15, s7
	s_wait_alu 0xfffe
	s_xor_b32 s7, exec_lo, s15
; %bb.480:
	v_bfe_u32 v17, v18, 16, 1
	s_delay_alu instid0(VALU_DEP_1)
	v_add3_u32 v17, v18, v17, 0x7fff
                                        ; implicit-def: $vgpr18
; %bb.481:
	s_wait_alu 0xfffe
	s_and_not1_saveexec_b32 s15, s7
; %bb.482:
	v_and_b32_e32 v17, 0xffff, v18
	v_or_b32_e32 v21, 0x10000, v18
	s_delay_alu instid0(VALU_DEP_2) | instskip(SKIP_1) | instid1(VALU_DEP_1)
	v_cmp_eq_u32_e64 s7, 0, v17
	s_wait_alu 0xf1ff
	v_cndmask_b32_e64 v17, v21, v18, s7
; %bb.483:
	s_wait_alu 0xfffe
	s_or_b32 exec_lo, exec_lo, s15
	v_lshlrev_b32_e32 v18, 16, v51
	s_delay_alu instid0(VALU_DEP_1) | instskip(NEXT) | instid1(VALU_DEP_1)
	v_add_f32_e32 v21, 0, v18
	v_and_b32_e32 v18, 0x7f800000, v21
	s_delay_alu instid0(VALU_DEP_1)
	v_cmp_ne_u32_e64 s7, 0x7f800000, v18
                                        ; implicit-def: $vgpr18
	s_and_saveexec_b32 s15, s7
	s_wait_alu 0xfffe
	s_xor_b32 s7, exec_lo, s15
; %bb.484:
	v_bfe_u32 v18, v21, 16, 1
	s_delay_alu instid0(VALU_DEP_1)
	v_add3_u32 v18, v21, v18, 0x7fff
                                        ; implicit-def: $vgpr21
; %bb.485:
	s_wait_alu 0xfffe
	s_and_not1_saveexec_b32 s15, s7
; %bb.486:
	v_and_b32_e32 v18, 0xffff, v21
	v_or_b32_e32 v22, 0x10000, v21
	s_delay_alu instid0(VALU_DEP_2) | instskip(SKIP_1) | instid1(VALU_DEP_1)
	v_cmp_eq_u32_e64 s7, 0, v18
	s_wait_alu 0xf1ff
	v_cndmask_b32_e64 v18, v22, v21, s7
; %bb.487:
	s_wait_alu 0xfffe
	s_or_b32 exec_lo, exec_lo, s15
	v_cmp_lt_i32_e64 s7, -1, v17
	s_delay_alu instid0(VALU_DEP_2) | instskip(SKIP_1) | instid1(VALU_DEP_2)
	v_perm_b32 v17, v18, v17, 0x7060302
	s_wait_alu 0xf1ff
	v_cndmask_b32_e64 v21, -1, 0xffff8000, s7
	v_cmp_lt_i32_e64 s7, -1, v18
	s_wait_alu 0xf1ff
	s_delay_alu instid0(VALU_DEP_1) | instskip(NEXT) | instid1(VALU_DEP_1)
	v_cndmask_b32_e64 v22, -1, 0xffff8000, s7
	v_perm_b32 v18, v22, v21, 0x5040100
	s_delay_alu instid0(VALU_DEP_1) | instskip(NEXT) | instid1(VALU_DEP_1)
	v_xor_b32_e32 v17, v18, v17
	v_lshrrev_b32_e32 v18, 16, v17
	s_delay_alu instid0(VALU_DEP_1)
	v_cmp_le_u16_e64 s7, v17, v18
	s_and_b32 s15, s7, exec_lo
.LBB2064_488:
	s_wait_alu 0xfffe
	s_or_b32 exec_lo, exec_lo, s12
	s_delay_alu instid0(SALU_CYCLE_1)
	s_or_not1_b32 s12, s15, exec_lo
.LBB2064_489:
	s_wait_alu 0xfffe
	s_or_b32 exec_lo, exec_lo, s14
	v_cndmask_b32_e64 v17, v19, v20, s12
	v_cndmask_b32_e64 v18, v53, v52, s12
	s_mov_b32 s14, exec_lo
	s_delay_alu instid0(VALU_DEP_2) | instskip(NEXT) | instid1(VALU_DEP_2)
	v_add_nc_u32_e32 v22, 1, v17
	v_add_nc_u32_e32 v18, -1, v18
	v_lshl_add_u32 v17, v17, 3, v13
	s_delay_alu instid0(VALU_DEP_3) | instskip(NEXT) | instid1(VALU_DEP_3)
	v_cndmask_b32_e64 v21, v22, v19, s12
	v_min_u32_e32 v18, v22, v18
	v_cndmask_b32_e64 v22, v20, v22, s12
	s_delay_alu instid0(VALU_DEP_2)
	v_lshl_add_u32 v18, v18, 1, v10
	ds_load_u16 v23, v18
	ds_load_b64 v[17:18], v17 offset:4096
	s_wait_dscnt 0x1
	v_cndmask_b32_e64 v49, v23, v51, s12
	v_cndmask_b32_e64 v65, v64, v23, s12
	v_cmpx_lt_u32_e64 v21, v53
	s_cbranch_execz .LBB2064_501
; %bb.490:
	s_mov_b32 s15, 0
	s_mov_b32 s13, exec_lo
	v_cmpx_lt_u32_e64 v22, v52
	s_cbranch_execz .LBB2064_500
; %bb.491:
	v_lshlrev_b32_e32 v19, 16, v65
	s_delay_alu instid0(VALU_DEP_1) | instskip(NEXT) | instid1(VALU_DEP_1)
	v_add_f32_e32 v20, 0, v19
	v_and_b32_e32 v19, 0x7f800000, v20
	s_delay_alu instid0(VALU_DEP_1)
	v_cmp_ne_u32_e64 s7, 0x7f800000, v19
                                        ; implicit-def: $vgpr19
	s_and_saveexec_b32 s15, s7
	s_wait_alu 0xfffe
	s_xor_b32 s7, exec_lo, s15
; %bb.492:
	v_bfe_u32 v19, v20, 16, 1
	s_delay_alu instid0(VALU_DEP_1)
	v_add3_u32 v19, v20, v19, 0x7fff
                                        ; implicit-def: $vgpr20
; %bb.493:
	s_wait_alu 0xfffe
	s_and_not1_saveexec_b32 s15, s7
; %bb.494:
	v_and_b32_e32 v19, 0xffff, v20
	v_or_b32_e32 v23, 0x10000, v20
	s_delay_alu instid0(VALU_DEP_2) | instskip(SKIP_1) | instid1(VALU_DEP_1)
	v_cmp_eq_u32_e64 s7, 0, v19
	s_wait_alu 0xf1ff
	v_cndmask_b32_e64 v19, v23, v20, s7
; %bb.495:
	s_wait_alu 0xfffe
	s_or_b32 exec_lo, exec_lo, s15
	v_lshlrev_b32_e32 v20, 16, v49
	s_delay_alu instid0(VALU_DEP_1) | instskip(NEXT) | instid1(VALU_DEP_1)
	v_add_f32_e32 v23, 0, v20
	v_and_b32_e32 v20, 0x7f800000, v23
	s_delay_alu instid0(VALU_DEP_1)
	v_cmp_ne_u32_e64 s7, 0x7f800000, v20
                                        ; implicit-def: $vgpr20
	s_and_saveexec_b32 s15, s7
	s_wait_alu 0xfffe
	s_xor_b32 s7, exec_lo, s15
; %bb.496:
	v_bfe_u32 v20, v23, 16, 1
	s_delay_alu instid0(VALU_DEP_1)
	v_add3_u32 v20, v23, v20, 0x7fff
                                        ; implicit-def: $vgpr23
; %bb.497:
	s_wait_alu 0xfffe
	s_and_not1_saveexec_b32 s15, s7
; %bb.498:
	v_and_b32_e32 v20, 0xffff, v23
	v_or_b32_e32 v24, 0x10000, v23
	s_delay_alu instid0(VALU_DEP_2) | instskip(SKIP_1) | instid1(VALU_DEP_1)
	v_cmp_eq_u32_e64 s7, 0, v20
	s_wait_alu 0xf1ff
	v_cndmask_b32_e64 v20, v24, v23, s7
; %bb.499:
	s_wait_alu 0xfffe
	s_or_b32 exec_lo, exec_lo, s15
	v_cmp_lt_i32_e64 s7, -1, v19
	s_delay_alu instid0(VALU_DEP_2) | instskip(SKIP_1) | instid1(VALU_DEP_2)
	v_perm_b32 v19, v20, v19, 0x7060302
	s_wait_alu 0xf1ff
	v_cndmask_b32_e64 v23, -1, 0xffff8000, s7
	v_cmp_lt_i32_e64 s7, -1, v20
	s_wait_alu 0xf1ff
	s_delay_alu instid0(VALU_DEP_1) | instskip(NEXT) | instid1(VALU_DEP_1)
	v_cndmask_b32_e64 v24, -1, 0xffff8000, s7
	v_perm_b32 v20, v24, v23, 0x5040100
	s_delay_alu instid0(VALU_DEP_1) | instskip(NEXT) | instid1(VALU_DEP_1)
	v_xor_b32_e32 v19, v20, v19
	v_lshrrev_b32_e32 v20, 16, v19
	s_delay_alu instid0(VALU_DEP_1)
	v_cmp_le_u16_e64 s7, v19, v20
	s_and_b32 s15, s7, exec_lo
.LBB2064_500:
	s_wait_alu 0xfffe
	s_or_b32 exec_lo, exec_lo, s13
	s_delay_alu instid0(SALU_CYCLE_1)
	s_or_not1_b32 s13, s15, exec_lo
.LBB2064_501:
	s_wait_alu 0xfffe
	s_or_b32 exec_lo, exec_lo, s14
	v_cndmask_b32_e64 v19, v21, v22, s13
	v_cndmask_b32_e64 v20, v53, v52, s13
	s_mov_b32 s15, -1
	s_mov_b32 s14, -1
	s_mov_b32 s16, exec_lo
	v_add_nc_u32_e32 v23, 1, v19
	v_add_nc_u32_e32 v20, -1, v20
	v_lshl_add_u32 v19, v19, 3, v13
	s_delay_alu instid0(VALU_DEP_3) | instskip(NEXT) | instid1(VALU_DEP_3)
	v_cndmask_b32_e64 v21, v23, v21, s13
	v_min_u32_e32 v20, v23, v20
	v_cndmask_b32_e64 v22, v22, v23, s13
	s_delay_alu instid0(VALU_DEP_2)
	v_lshl_add_u32 v20, v20, 1, v10
	ds_load_u16 v24, v20
	ds_load_b64 v[19:20], v19 offset:4096
	s_wait_dscnt 0x1
	v_cndmask_b32_e64 v39, v24, v49, s13
	v_cndmask_b32_e64 v66, v65, v24, s13
	v_cmpx_lt_u32_e64 v21, v53
	s_cbranch_execz .LBB2064_513
; %bb.502:
	s_mov_b32 s17, 0
	s_mov_b32 s14, exec_lo
	v_cmpx_lt_u32_e64 v22, v52
	s_cbranch_execz .LBB2064_512
; %bb.503:
	v_lshlrev_b32_e32 v23, 16, v66
	s_delay_alu instid0(VALU_DEP_1) | instskip(NEXT) | instid1(VALU_DEP_1)
	v_add_f32_e32 v24, 0, v23
	v_and_b32_e32 v23, 0x7f800000, v24
	s_delay_alu instid0(VALU_DEP_1)
	v_cmp_ne_u32_e64 s7, 0x7f800000, v23
                                        ; implicit-def: $vgpr23
	s_and_saveexec_b32 s17, s7
	s_wait_alu 0xfffe
	s_xor_b32 s7, exec_lo, s17
; %bb.504:
	v_bfe_u32 v23, v24, 16, 1
	s_delay_alu instid0(VALU_DEP_1)
	v_add3_u32 v23, v24, v23, 0x7fff
                                        ; implicit-def: $vgpr24
; %bb.505:
	s_wait_alu 0xfffe
	s_and_not1_saveexec_b32 s17, s7
; %bb.506:
	v_and_b32_e32 v23, 0xffff, v24
	v_or_b32_e32 v25, 0x10000, v24
	s_delay_alu instid0(VALU_DEP_2) | instskip(SKIP_1) | instid1(VALU_DEP_1)
	v_cmp_eq_u32_e64 s7, 0, v23
	s_wait_alu 0xf1ff
	v_cndmask_b32_e64 v23, v25, v24, s7
; %bb.507:
	s_wait_alu 0xfffe
	s_or_b32 exec_lo, exec_lo, s17
	v_lshlrev_b32_e32 v24, 16, v39
	s_delay_alu instid0(VALU_DEP_1) | instskip(NEXT) | instid1(VALU_DEP_1)
	v_add_f32_e32 v25, 0, v24
	v_and_b32_e32 v24, 0x7f800000, v25
	s_delay_alu instid0(VALU_DEP_1)
	v_cmp_ne_u32_e64 s7, 0x7f800000, v24
                                        ; implicit-def: $vgpr24
	s_and_saveexec_b32 s17, s7
	s_wait_alu 0xfffe
	s_xor_b32 s7, exec_lo, s17
; %bb.508:
	v_bfe_u32 v24, v25, 16, 1
	s_delay_alu instid0(VALU_DEP_1)
	v_add3_u32 v24, v25, v24, 0x7fff
                                        ; implicit-def: $vgpr25
; %bb.509:
	s_wait_alu 0xfffe
	s_and_not1_saveexec_b32 s17, s7
; %bb.510:
	v_and_b32_e32 v24, 0xffff, v25
	v_or_b32_e32 v26, 0x10000, v25
	s_delay_alu instid0(VALU_DEP_2) | instskip(SKIP_1) | instid1(VALU_DEP_1)
	v_cmp_eq_u32_e64 s7, 0, v24
	s_wait_alu 0xf1ff
	v_cndmask_b32_e64 v24, v26, v25, s7
; %bb.511:
	s_wait_alu 0xfffe
	s_or_b32 exec_lo, exec_lo, s17
	v_cmp_lt_i32_e64 s7, -1, v23
	s_delay_alu instid0(VALU_DEP_2) | instskip(SKIP_1) | instid1(VALU_DEP_2)
	v_perm_b32 v23, v24, v23, 0x7060302
	s_wait_alu 0xf1ff
	v_cndmask_b32_e64 v25, -1, 0xffff8000, s7
	v_cmp_lt_i32_e64 s7, -1, v24
	s_wait_alu 0xf1ff
	s_delay_alu instid0(VALU_DEP_1) | instskip(NEXT) | instid1(VALU_DEP_1)
	v_cndmask_b32_e64 v26, -1, 0xffff8000, s7
	v_perm_b32 v24, v26, v25, 0x5040100
	s_delay_alu instid0(VALU_DEP_1) | instskip(NEXT) | instid1(VALU_DEP_1)
	v_xor_b32_e32 v23, v24, v23
	v_lshrrev_b32_e32 v24, 16, v23
	s_delay_alu instid0(VALU_DEP_1)
	v_cmp_le_u16_e64 s7, v23, v24
	s_and_b32 s17, s7, exec_lo
.LBB2064_512:
	s_wait_alu 0xfffe
	s_or_b32 exec_lo, exec_lo, s14
	s_delay_alu instid0(SALU_CYCLE_1)
	s_or_not1_b32 s14, s17, exec_lo
.LBB2064_513:
	s_wait_alu 0xfffe
	s_or_b32 exec_lo, exec_lo, s16
	v_cndmask_b32_e64 v23, v21, v22, s14
	v_cndmask_b32_e64 v24, v53, v52, s14
	s_mov_b32 s16, exec_lo
	s_delay_alu instid0(VALU_DEP_2) | instskip(NEXT) | instid1(VALU_DEP_2)
	v_add_nc_u32_e32 v26, 1, v23
	v_add_nc_u32_e32 v24, -1, v24
	v_lshl_add_u32 v23, v23, 3, v13
	s_delay_alu instid0(VALU_DEP_3) | instskip(NEXT) | instid1(VALU_DEP_3)
	v_cndmask_b32_e64 v25, v26, v21, s14
	v_min_u32_e32 v24, v26, v24
	v_cndmask_b32_e64 v26, v22, v26, s14
	s_delay_alu instid0(VALU_DEP_2)
	v_lshl_add_u32 v24, v24, 1, v10
	ds_load_u16 v67, v24
	ds_load_b64 v[23:24], v23 offset:4096
	s_wait_dscnt 0x1
	v_cndmask_b32_e64 v50, v67, v39, s14
	v_cndmask_b32_e64 v67, v66, v67, s14
	v_cmpx_lt_u32_e64 v25, v53
	s_cbranch_execz .LBB2064_525
; %bb.514:
	s_mov_b32 s17, 0
	s_mov_b32 s15, exec_lo
	v_cmpx_lt_u32_e64 v26, v52
	s_cbranch_execz .LBB2064_524
; %bb.515:
	v_lshlrev_b32_e32 v21, 16, v67
	s_delay_alu instid0(VALU_DEP_1) | instskip(NEXT) | instid1(VALU_DEP_1)
	v_add_f32_e32 v22, 0, v21
	v_and_b32_e32 v21, 0x7f800000, v22
	s_delay_alu instid0(VALU_DEP_1)
	v_cmp_ne_u32_e64 s7, 0x7f800000, v21
                                        ; implicit-def: $vgpr21
	s_and_saveexec_b32 s17, s7
	s_wait_alu 0xfffe
	s_xor_b32 s7, exec_lo, s17
; %bb.516:
	v_bfe_u32 v21, v22, 16, 1
	s_delay_alu instid0(VALU_DEP_1)
	v_add3_u32 v21, v22, v21, 0x7fff
                                        ; implicit-def: $vgpr22
; %bb.517:
	s_wait_alu 0xfffe
	s_and_not1_saveexec_b32 s17, s7
; %bb.518:
	v_and_b32_e32 v21, 0xffff, v22
	v_or_b32_e32 v68, 0x10000, v22
	s_delay_alu instid0(VALU_DEP_2) | instskip(SKIP_1) | instid1(VALU_DEP_1)
	v_cmp_eq_u32_e64 s7, 0, v21
	s_wait_alu 0xf1ff
	v_cndmask_b32_e64 v21, v68, v22, s7
; %bb.519:
	s_wait_alu 0xfffe
	s_or_b32 exec_lo, exec_lo, s17
	v_lshlrev_b32_e32 v22, 16, v50
	s_delay_alu instid0(VALU_DEP_1) | instskip(NEXT) | instid1(VALU_DEP_1)
	v_add_f32_e32 v68, 0, v22
	v_and_b32_e32 v22, 0x7f800000, v68
	s_delay_alu instid0(VALU_DEP_1)
	v_cmp_ne_u32_e64 s7, 0x7f800000, v22
                                        ; implicit-def: $vgpr22
	s_and_saveexec_b32 s17, s7
	s_wait_alu 0xfffe
	s_xor_b32 s7, exec_lo, s17
; %bb.520:
	v_bfe_u32 v22, v68, 16, 1
	s_delay_alu instid0(VALU_DEP_1)
	v_add3_u32 v22, v68, v22, 0x7fff
                                        ; implicit-def: $vgpr68
; %bb.521:
	s_wait_alu 0xfffe
	s_and_not1_saveexec_b32 s17, s7
; %bb.522:
	v_and_b32_e32 v22, 0xffff, v68
	v_or_b32_e32 v69, 0x10000, v68
	s_delay_alu instid0(VALU_DEP_2) | instskip(SKIP_1) | instid1(VALU_DEP_1)
	v_cmp_eq_u32_e64 s7, 0, v22
	s_wait_alu 0xf1ff
	v_cndmask_b32_e64 v22, v69, v68, s7
; %bb.523:
	s_wait_alu 0xfffe
	s_or_b32 exec_lo, exec_lo, s17
	v_cmp_lt_i32_e64 s7, -1, v21
	s_delay_alu instid0(VALU_DEP_2) | instskip(SKIP_1) | instid1(VALU_DEP_2)
	v_perm_b32 v21, v22, v21, 0x7060302
	s_wait_alu 0xf1ff
	v_cndmask_b32_e64 v68, -1, 0xffff8000, s7
	v_cmp_lt_i32_e64 s7, -1, v22
	s_wait_alu 0xf1ff
	s_delay_alu instid0(VALU_DEP_1) | instskip(NEXT) | instid1(VALU_DEP_1)
	v_cndmask_b32_e64 v69, -1, 0xffff8000, s7
	v_perm_b32 v22, v69, v68, 0x5040100
	s_delay_alu instid0(VALU_DEP_1) | instskip(NEXT) | instid1(VALU_DEP_1)
	v_xor_b32_e32 v21, v22, v21
	v_lshrrev_b32_e32 v22, 16, v21
	s_delay_alu instid0(VALU_DEP_1)
	v_cmp_le_u16_e64 s7, v21, v22
	s_and_b32 s17, s7, exec_lo
.LBB2064_524:
	s_wait_alu 0xfffe
	s_or_b32 exec_lo, exec_lo, s15
	s_delay_alu instid0(SALU_CYCLE_1)
	s_or_not1_b32 s15, s17, exec_lo
.LBB2064_525:
	s_wait_alu 0xfffe
	s_or_b32 exec_lo, exec_lo, s16
	v_cndmask_b32_e64 v21, v25, v26, s15
	v_cndmask_b32_e64 v22, v53, v52, s15
	s_mov_b32 s17, -1
	s_mov_b32 s16, exec_lo
	s_delay_alu instid0(VALU_DEP_2) | instskip(NEXT) | instid1(VALU_DEP_2)
	v_add_nc_u32_e32 v68, 1, v21
	v_add_nc_u32_e32 v22, -1, v22
	v_lshl_add_u32 v21, v21, 3, v13
	s_delay_alu instid0(VALU_DEP_3) | instskip(NEXT) | instid1(VALU_DEP_3)
	v_cndmask_b32_e64 v25, v68, v25, s15
	v_min_u32_e32 v22, v68, v22
	v_cndmask_b32_e64 v26, v26, v68, s15
	s_delay_alu instid0(VALU_DEP_2)
	v_lshl_add_u32 v22, v22, 1, v10
	ds_load_u16 v69, v22
	ds_load_b64 v[21:22], v21 offset:4096
	s_wait_dscnt 0x1
	v_cndmask_b32_e64 v68, v69, v50, s15
	v_cndmask_b32_e64 v69, v67, v69, s15
	v_cmpx_lt_u32_e64 v25, v53
	s_cbranch_execz .LBB2064_537
; %bb.526:
	s_mov_b32 s18, 0
	s_mov_b32 s17, exec_lo
	v_cmpx_lt_u32_e64 v26, v52
	s_cbranch_execz .LBB2064_536
; %bb.527:
	v_lshlrev_b32_e32 v52, 16, v69
	s_delay_alu instid0(VALU_DEP_1) | instskip(NEXT) | instid1(VALU_DEP_1)
	v_add_f32_e32 v53, 0, v52
	v_and_b32_e32 v52, 0x7f800000, v53
	s_delay_alu instid0(VALU_DEP_1)
	v_cmp_ne_u32_e64 s7, 0x7f800000, v52
                                        ; implicit-def: $vgpr52
	s_and_saveexec_b32 s18, s7
	s_wait_alu 0xfffe
	s_xor_b32 s7, exec_lo, s18
; %bb.528:
	v_bfe_u32 v52, v53, 16, 1
	s_delay_alu instid0(VALU_DEP_1)
	v_add3_u32 v52, v53, v52, 0x7fff
                                        ; implicit-def: $vgpr53
; %bb.529:
	s_wait_alu 0xfffe
	s_and_not1_saveexec_b32 s18, s7
; %bb.530:
	v_and_b32_e32 v52, 0xffff, v53
	v_or_b32_e32 v70, 0x10000, v53
	s_delay_alu instid0(VALU_DEP_2) | instskip(SKIP_1) | instid1(VALU_DEP_1)
	v_cmp_eq_u32_e64 s7, 0, v52
	s_wait_alu 0xf1ff
	v_cndmask_b32_e64 v52, v70, v53, s7
; %bb.531:
	s_wait_alu 0xfffe
	s_or_b32 exec_lo, exec_lo, s18
	v_lshlrev_b32_e32 v53, 16, v68
	s_delay_alu instid0(VALU_DEP_1) | instskip(NEXT) | instid1(VALU_DEP_1)
	v_add_f32_e32 v70, 0, v53
	v_and_b32_e32 v53, 0x7f800000, v70
	s_delay_alu instid0(VALU_DEP_1)
	v_cmp_ne_u32_e64 s7, 0x7f800000, v53
                                        ; implicit-def: $vgpr53
	s_and_saveexec_b32 s18, s7
	s_wait_alu 0xfffe
	s_xor_b32 s7, exec_lo, s18
; %bb.532:
	v_bfe_u32 v53, v70, 16, 1
	s_delay_alu instid0(VALU_DEP_1)
	v_add3_u32 v53, v70, v53, 0x7fff
                                        ; implicit-def: $vgpr70
; %bb.533:
	s_wait_alu 0xfffe
	s_and_not1_saveexec_b32 s18, s7
; %bb.534:
	v_and_b32_e32 v53, 0xffff, v70
	v_or_b32_e32 v71, 0x10000, v70
	s_delay_alu instid0(VALU_DEP_2) | instskip(SKIP_1) | instid1(VALU_DEP_1)
	v_cmp_eq_u32_e64 s7, 0, v53
	s_wait_alu 0xf1ff
	v_cndmask_b32_e64 v53, v71, v70, s7
; %bb.535:
	s_wait_alu 0xfffe
	s_or_b32 exec_lo, exec_lo, s18
	v_cmp_lt_i32_e64 s7, -1, v52
	s_delay_alu instid0(VALU_DEP_2) | instskip(SKIP_1) | instid1(VALU_DEP_2)
	v_perm_b32 v52, v53, v52, 0x7060302
	s_wait_alu 0xf1ff
	v_cndmask_b32_e64 v70, -1, 0xffff8000, s7
	v_cmp_lt_i32_e64 s7, -1, v53
	s_wait_alu 0xf1ff
	s_delay_alu instid0(VALU_DEP_1) | instskip(NEXT) | instid1(VALU_DEP_1)
	v_cndmask_b32_e64 v71, -1, 0xffff8000, s7
	v_perm_b32 v53, v71, v70, 0x5040100
	s_delay_alu instid0(VALU_DEP_1) | instskip(NEXT) | instid1(VALU_DEP_1)
	v_xor_b32_e32 v52, v53, v52
	v_lshrrev_b32_e32 v53, 16, v52
	s_delay_alu instid0(VALU_DEP_1)
	v_cmp_le_u16_e64 s7, v52, v53
	s_and_b32 s18, s7, exec_lo
.LBB2064_536:
	s_wait_alu 0xfffe
	s_or_b32 exec_lo, exec_lo, s17
	s_delay_alu instid0(SALU_CYCLE_1)
	s_or_not1_b32 s17, s18, exec_lo
.LBB2064_537:
	s_wait_alu 0xfffe
	s_or_b32 exec_lo, exec_lo, s16
	v_cndmask_b32_e64 v25, v25, v26, s17
	v_cndmask_b32_e64 v50, v50, v67, s15
	;; [unrolled: 1-line block ×5, first 2 shown]
	v_lshl_add_u32 v25, v25, 3, v13
	v_cndmask_b32_e64 v32, v32, v55, s11
	v_cndmask_b32_e64 v48, v48, v54, s8
	;; [unrolled: 1-line block ×4, first 2 shown]
	ds_load_b64 v[25:26], v25 offset:4096
.LBB2064_538:
	s_wait_alu 0xfffe
	s_or_b32 exec_lo, exec_lo, s9
	v_and_b32_e32 v64, 0xc0, v36
	v_and_b32_e32 v54, 56, v36
	v_perm_b32 v68, v38, v50, 0x5040100
	v_perm_b32 v67, v39, v49, 0x5040100
	;; [unrolled: 1-line block ×3, first 2 shown]
	v_or_b32_e32 v52, 32, v64
	v_min_u32_e32 v65, v27, v54
	v_perm_b32 v69, v48, v37, 0x5040100
	s_mov_b32 s8, exec_lo
	s_delay_alu instid0(VALU_DEP_3)
	v_min_u32_e32 v52, v27, v52
	; wave barrier
	ds_store_2addr_b64 v30, v[15:16], v[17:18] offset1:1
	ds_store_2addr_b64 v31, v[19:20], v[23:24] offset1:1
	;; [unrolled: 1-line block ×4, first 2 shown]
	s_wait_dscnt 0x4
	ds_store_2addr_b64 v28, v[21:22], v[25:26] offset1:1
	v_add_nc_u32_e32 v53, 32, v52
	v_sub_nc_u32_e32 v54, v52, v64
	; wave barrier
	s_delay_alu instid0(VALU_DEP_2) | instskip(NEXT) | instid1(VALU_DEP_2)
	v_min_u32_e32 v53, v27, v53
	v_min_u32_e32 v66, v65, v54
	s_delay_alu instid0(VALU_DEP_2) | instskip(NEXT) | instid1(VALU_DEP_1)
	v_sub_nc_u32_e32 v55, v53, v52
	v_sub_nc_u32_e64 v54, v65, v55 clamp
	v_lshl_add_u32 v55, v64, 1, v10
	s_delay_alu instid0(VALU_DEP_2)
	v_cmpx_lt_u32_e64 v54, v66
	s_cbranch_execz .LBB2064_550
; %bb.539:
	v_lshlrev_b32_e32 v67, 1, v52
	v_lshlrev_b32_e32 v68, 1, v65
	s_mov_b32 s9, 0
	s_delay_alu instid0(VALU_DEP_1)
	v_add3_u32 v67, v10, v67, v68
	s_branch .LBB2064_541
.LBB2064_540:                           ;   in Loop: Header=BB2064_541 Depth=1
	s_wait_alu 0xfffe
	s_or_b32 exec_lo, exec_lo, s10
	v_cmp_lt_i32_e64 s7, -1, v69
	v_lshrrev_b32_e32 v71, 16, v69
	v_lshrrev_b32_e32 v80, 16, v70
	s_wait_alu 0xf1ff
	s_delay_alu instid0(VALU_DEP_3) | instskip(SKIP_1) | instid1(VALU_DEP_2)
	v_cndmask_b32_e64 v69, -1, 0xffff8000, s7
	v_cmp_lt_i32_e64 s7, -1, v70
	v_xor_b32_e32 v69, v69, v71
	s_wait_alu 0xf1ff
	s_delay_alu instid0(VALU_DEP_2) | instskip(SKIP_1) | instid1(VALU_DEP_2)
	v_cndmask_b32_e64 v70, -1, 0xffff8000, s7
	v_add_nc_u32_e32 v71, 1, v68
	v_xor_b32_e32 v70, v70, v80
	s_delay_alu instid0(VALU_DEP_1) | instskip(SKIP_1) | instid1(VALU_DEP_1)
	v_cmp_gt_u16_e64 s7, v69, v70
	s_wait_alu 0xf1ff
	v_cndmask_b32_e64 v66, v66, v68, s7
	v_cndmask_b32_e64 v54, v71, v54, s7
	s_delay_alu instid0(VALU_DEP_1)
	v_cmp_ge_u32_e64 s7, v54, v66
	s_or_b32 s9, s7, s9
	s_wait_alu 0xfffe
	s_and_not1_b32 exec_lo, exec_lo, s9
	s_cbranch_execz .LBB2064_549
.LBB2064_541:                           ; =>This Inner Loop Header: Depth=1
	v_add_nc_u32_e32 v68, v66, v54
	s_delay_alu instid0(VALU_DEP_1) | instskip(SKIP_1) | instid1(VALU_DEP_2)
	v_and_b32_e32 v69, -2, v68
	v_lshrrev_b32_e32 v68, 1, v68
	v_add_nc_u32_e32 v69, v55, v69
	s_delay_alu instid0(VALU_DEP_2)
	v_not_b32_e32 v70, v68
	ds_load_u16 v69, v69
	v_lshl_add_u32 v70, v70, 1, v67
	ds_load_u16 v70, v70
	s_wait_dscnt 0x1
	v_lshlrev_b32_e32 v69, 16, v69
	s_delay_alu instid0(VALU_DEP_1) | instskip(NEXT) | instid1(VALU_DEP_1)
	v_add_f32_e32 v71, 0, v69
	v_and_b32_e32 v69, 0x7f800000, v71
	s_delay_alu instid0(VALU_DEP_1)
	v_cmp_ne_u32_e64 s7, 0x7f800000, v69
                                        ; implicit-def: $vgpr69
	s_and_saveexec_b32 s10, s7
	s_wait_alu 0xfffe
	s_xor_b32 s7, exec_lo, s10
; %bb.542:                              ;   in Loop: Header=BB2064_541 Depth=1
	v_bfe_u32 v69, v71, 16, 1
	s_delay_alu instid0(VALU_DEP_1)
	v_add3_u32 v69, v71, v69, 0x7fff
                                        ; implicit-def: $vgpr71
; %bb.543:                              ;   in Loop: Header=BB2064_541 Depth=1
	s_wait_alu 0xfffe
	s_and_not1_saveexec_b32 s10, s7
; %bb.544:                              ;   in Loop: Header=BB2064_541 Depth=1
	v_and_b32_e32 v69, 0xffff, v71
	v_or_b32_e32 v80, 0x10000, v71
	s_delay_alu instid0(VALU_DEP_2) | instskip(SKIP_1) | instid1(VALU_DEP_1)
	v_cmp_eq_u32_e64 s7, 0, v69
	s_wait_alu 0xf1ff
	v_cndmask_b32_e64 v69, v80, v71, s7
; %bb.545:                              ;   in Loop: Header=BB2064_541 Depth=1
	s_wait_alu 0xfffe
	s_or_b32 exec_lo, exec_lo, s10
	s_wait_dscnt 0x0
	v_lshlrev_b32_e32 v70, 16, v70
	s_delay_alu instid0(VALU_DEP_1) | instskip(NEXT) | instid1(VALU_DEP_1)
	v_add_f32_e32 v71, 0, v70
	v_and_b32_e32 v70, 0x7f800000, v71
	s_delay_alu instid0(VALU_DEP_1)
	v_cmp_ne_u32_e64 s7, 0x7f800000, v70
                                        ; implicit-def: $vgpr70
	s_and_saveexec_b32 s10, s7
	s_wait_alu 0xfffe
	s_xor_b32 s7, exec_lo, s10
; %bb.546:                              ;   in Loop: Header=BB2064_541 Depth=1
	v_bfe_u32 v70, v71, 16, 1
	s_delay_alu instid0(VALU_DEP_1)
	v_add3_u32 v70, v71, v70, 0x7fff
                                        ; implicit-def: $vgpr71
; %bb.547:                              ;   in Loop: Header=BB2064_541 Depth=1
	s_wait_alu 0xfffe
	s_and_not1_saveexec_b32 s10, s7
	s_cbranch_execz .LBB2064_540
; %bb.548:                              ;   in Loop: Header=BB2064_541 Depth=1
	v_and_b32_e32 v70, 0xffff, v71
	v_or_b32_e32 v80, 0x10000, v71
	s_delay_alu instid0(VALU_DEP_2) | instskip(SKIP_1) | instid1(VALU_DEP_1)
	v_cmp_eq_u32_e64 s7, 0, v70
	s_wait_alu 0xf1ff
	v_cndmask_b32_e64 v70, v80, v71, s7
	s_branch .LBB2064_540
.LBB2064_549:
	s_or_b32 exec_lo, exec_lo, s9
.LBB2064_550:
	s_wait_alu 0xfffe
	s_or_b32 exec_lo, exec_lo, s8
	v_add_nc_u32_e32 v65, v52, v65
	v_add_nc_u32_e32 v64, v54, v64
	s_delay_alu instid0(VALU_DEP_2) | instskip(NEXT) | instid1(VALU_DEP_2)
	v_sub_nc_u32_e32 v65, v65, v54
	v_cmp_le_u32_e64 s7, v64, v52
	s_delay_alu instid0(VALU_DEP_2)
	v_cmp_le_u32_e64 s8, v65, v53
	s_or_b32 s7, s7, s8
	s_wait_alu 0xfffe
	s_and_saveexec_b32 s9, s7
	s_cbranch_execz .LBB2064_650
; %bb.551:
	v_cmp_ge_u32_e64 s7, v64, v52
	s_mov_b32 s10, exec_lo
                                        ; implicit-def: $vgpr37
	v_cmpx_lt_u32_e64 v64, v52
; %bb.552:
	v_lshl_add_u32 v4, v54, 1, v55
	ds_load_u16 v37, v4
; %bb.553:
	s_wait_alu 0xfffe
	s_or_b32 exec_lo, exec_lo, s10
	v_cmp_ge_u32_e64 s10, v65, v53
	s_mov_b32 s11, exec_lo
                                        ; implicit-def: $vgpr38
	v_cmpx_lt_u32_e64 v65, v53
; %bb.554:
	v_lshl_add_u32 v4, v65, 1, v10
	ds_load_u16 v38, v4
; %bb.555:
	s_wait_alu 0xfffe
	s_or_b32 exec_lo, exec_lo, s11
	s_nor_b32 s7, s7, s10
	s_wait_alu 0xfffe
	s_and_saveexec_b32 s8, s7
	s_cbranch_execz .LBB2064_565
; %bb.556:
	s_wait_dscnt 0x0
	v_lshlrev_b32_e32 v4, 16, v37
	s_delay_alu instid0(VALU_DEP_1) | instskip(NEXT) | instid1(VALU_DEP_1)
	v_add_f32_e32 v5, 0, v4
	v_and_b32_e32 v4, 0x7f800000, v5
	s_delay_alu instid0(VALU_DEP_1)
	v_cmp_ne_u32_e64 s7, 0x7f800000, v4
                                        ; implicit-def: $vgpr4
	s_and_saveexec_b32 s11, s7
	s_wait_alu 0xfffe
	s_xor_b32 s7, exec_lo, s11
; %bb.557:
	v_bfe_u32 v4, v5, 16, 1
	s_delay_alu instid0(VALU_DEP_1)
	v_add3_u32 v4, v5, v4, 0x7fff
                                        ; implicit-def: $vgpr5
; %bb.558:
	s_wait_alu 0xfffe
	s_and_not1_saveexec_b32 s11, s7
; %bb.559:
	v_and_b32_e32 v4, 0xffff, v5
	v_or_b32_e32 v8, 0x10000, v5
	s_delay_alu instid0(VALU_DEP_2) | instskip(SKIP_1) | instid1(VALU_DEP_1)
	v_cmp_eq_u32_e64 s7, 0, v4
	s_wait_alu 0xf1ff
	v_cndmask_b32_e64 v4, v8, v5, s7
; %bb.560:
	s_wait_alu 0xfffe
	s_or_b32 exec_lo, exec_lo, s11
	v_lshlrev_b32_e32 v5, 16, v38
	s_delay_alu instid0(VALU_DEP_1) | instskip(NEXT) | instid1(VALU_DEP_1)
	v_add_f32_e32 v8, 0, v5
	v_and_b32_e32 v5, 0x7f800000, v8
	s_delay_alu instid0(VALU_DEP_1)
	v_cmp_ne_u32_e64 s7, 0x7f800000, v5
                                        ; implicit-def: $vgpr5
	s_and_saveexec_b32 s11, s7
	s_wait_alu 0xfffe
	s_xor_b32 s7, exec_lo, s11
; %bb.561:
	v_bfe_u32 v5, v8, 16, 1
	s_delay_alu instid0(VALU_DEP_1)
	v_add3_u32 v5, v8, v5, 0x7fff
                                        ; implicit-def: $vgpr8
; %bb.562:
	s_wait_alu 0xfffe
	s_and_not1_saveexec_b32 s11, s7
; %bb.563:
	v_and_b32_e32 v5, 0xffff, v8
	v_or_b32_e32 v9, 0x10000, v8
	s_delay_alu instid0(VALU_DEP_2) | instskip(SKIP_1) | instid1(VALU_DEP_1)
	v_cmp_eq_u32_e64 s7, 0, v5
	s_wait_alu 0xf1ff
	v_cndmask_b32_e64 v5, v9, v8, s7
; %bb.564:
	s_wait_alu 0xfffe
	s_or_b32 exec_lo, exec_lo, s11
	v_cmp_lt_i32_e64 s7, -1, v4
	s_delay_alu instid0(VALU_DEP_2) | instskip(SKIP_4) | instid1(VALU_DEP_1)
	v_perm_b32 v4, v5, v4, 0x7060302
	s_and_not1_b32 s10, s10, exec_lo
	v_cndmask_b32_e64 v8, -1, 0xffff8000, s7
	v_cmp_lt_i32_e64 s7, -1, v5
	s_wait_alu 0xf1ff
	v_cndmask_b32_e64 v9, -1, 0xffff8000, s7
	s_delay_alu instid0(VALU_DEP_1) | instskip(NEXT) | instid1(VALU_DEP_1)
	v_perm_b32 v5, v9, v8, 0x5040100
	v_xor_b32_e32 v4, v5, v4
	s_delay_alu instid0(VALU_DEP_1) | instskip(NEXT) | instid1(VALU_DEP_1)
	v_lshrrev_b32_e32 v5, 16, v4
	v_cmp_le_u16_e64 s7, v4, v5
	s_and_b32 s7, s7, exec_lo
	s_wait_alu 0xfffe
	s_or_b32 s10, s10, s7
.LBB2064_565:
	s_wait_alu 0xfffe
	s_or_b32 exec_lo, exec_lo, s8
	v_cndmask_b32_e64 v4, v65, v64, s10
	v_cndmask_b32_e64 v5, v53, v52, s10
	s_mov_b32 s11, -1
	s_mov_b32 s8, -1
	s_mov_b32 s12, exec_lo
	v_add_nc_u32_e32 v8, 1, v4
	v_add_nc_u32_e32 v5, -1, v5
	v_lshl_add_u32 v4, v4, 3, v13
	s_delay_alu instid0(VALU_DEP_3) | instskip(NEXT) | instid1(VALU_DEP_3)
	v_cndmask_b32_e64 v15, v8, v65, s10
	v_min_u32_e32 v5, v8, v5
	v_cndmask_b32_e64 v16, v64, v8, s10
	s_delay_alu instid0(VALU_DEP_2)
	v_lshl_add_u32 v5, v5, 1, v10
	ds_load_u16 v9, v5
	ds_load_b64 v[4:5], v4 offset:4096
	s_wait_dscnt 0x1
	v_cndmask_b32_e64 v48, v9, v38, s10
	v_cndmask_b32_e64 v54, v37, v9, s10
	v_cmpx_lt_u32_e64 v15, v53
	s_cbranch_execz .LBB2064_577
; %bb.566:
	s_mov_b32 s13, 0
	s_mov_b32 s8, exec_lo
	v_cmpx_lt_u32_e64 v16, v52
	s_cbranch_execz .LBB2064_576
; %bb.567:
	v_lshlrev_b32_e32 v8, 16, v54
	s_delay_alu instid0(VALU_DEP_1) | instskip(NEXT) | instid1(VALU_DEP_1)
	v_add_f32_e32 v9, 0, v8
	v_and_b32_e32 v8, 0x7f800000, v9
	s_delay_alu instid0(VALU_DEP_1)
	v_cmp_ne_u32_e64 s7, 0x7f800000, v8
                                        ; implicit-def: $vgpr8
	s_and_saveexec_b32 s13, s7
	s_wait_alu 0xfffe
	s_xor_b32 s7, exec_lo, s13
; %bb.568:
	v_bfe_u32 v8, v9, 16, 1
	s_delay_alu instid0(VALU_DEP_1)
	v_add3_u32 v8, v9, v8, 0x7fff
                                        ; implicit-def: $vgpr9
; %bb.569:
	s_wait_alu 0xfffe
	s_and_not1_saveexec_b32 s13, s7
; %bb.570:
	v_and_b32_e32 v8, 0xffff, v9
	v_or_b32_e32 v17, 0x10000, v9
	s_delay_alu instid0(VALU_DEP_2) | instskip(SKIP_1) | instid1(VALU_DEP_1)
	v_cmp_eq_u32_e64 s7, 0, v8
	s_wait_alu 0xf1ff
	v_cndmask_b32_e64 v8, v17, v9, s7
; %bb.571:
	s_wait_alu 0xfffe
	s_or_b32 exec_lo, exec_lo, s13
	v_lshlrev_b32_e32 v9, 16, v48
	s_delay_alu instid0(VALU_DEP_1) | instskip(NEXT) | instid1(VALU_DEP_1)
	v_add_f32_e32 v17, 0, v9
	v_and_b32_e32 v9, 0x7f800000, v17
	s_delay_alu instid0(VALU_DEP_1)
	v_cmp_ne_u32_e64 s7, 0x7f800000, v9
                                        ; implicit-def: $vgpr9
	s_and_saveexec_b32 s13, s7
	s_wait_alu 0xfffe
	s_xor_b32 s7, exec_lo, s13
; %bb.572:
	v_bfe_u32 v9, v17, 16, 1
	s_delay_alu instid0(VALU_DEP_1)
	v_add3_u32 v9, v17, v9, 0x7fff
                                        ; implicit-def: $vgpr17
; %bb.573:
	s_wait_alu 0xfffe
	s_and_not1_saveexec_b32 s13, s7
; %bb.574:
	v_and_b32_e32 v9, 0xffff, v17
	v_or_b32_e32 v18, 0x10000, v17
	s_delay_alu instid0(VALU_DEP_2) | instskip(SKIP_1) | instid1(VALU_DEP_1)
	v_cmp_eq_u32_e64 s7, 0, v9
	s_wait_alu 0xf1ff
	v_cndmask_b32_e64 v9, v18, v17, s7
; %bb.575:
	s_wait_alu 0xfffe
	s_or_b32 exec_lo, exec_lo, s13
	v_cmp_lt_i32_e64 s7, -1, v8
	s_delay_alu instid0(VALU_DEP_2) | instskip(SKIP_1) | instid1(VALU_DEP_2)
	v_perm_b32 v8, v9, v8, 0x7060302
	s_wait_alu 0xf1ff
	v_cndmask_b32_e64 v17, -1, 0xffff8000, s7
	v_cmp_lt_i32_e64 s7, -1, v9
	s_wait_alu 0xf1ff
	s_delay_alu instid0(VALU_DEP_1) | instskip(NEXT) | instid1(VALU_DEP_1)
	v_cndmask_b32_e64 v18, -1, 0xffff8000, s7
	v_perm_b32 v9, v18, v17, 0x5040100
	s_delay_alu instid0(VALU_DEP_1) | instskip(NEXT) | instid1(VALU_DEP_1)
	v_xor_b32_e32 v8, v9, v8
	v_lshrrev_b32_e32 v9, 16, v8
	s_delay_alu instid0(VALU_DEP_1)
	v_cmp_le_u16_e64 s7, v8, v9
	s_and_b32 s13, s7, exec_lo
.LBB2064_576:
	s_wait_alu 0xfffe
	s_or_b32 exec_lo, exec_lo, s8
	s_delay_alu instid0(SALU_CYCLE_1)
	s_or_not1_b32 s8, s13, exec_lo
.LBB2064_577:
	s_wait_alu 0xfffe
	s_or_b32 exec_lo, exec_lo, s12
	v_cndmask_b32_e64 v8, v15, v16, s8
	v_cndmask_b32_e64 v9, v53, v52, s8
	s_mov_b32 s12, exec_lo
	s_delay_alu instid0(VALU_DEP_2) | instskip(NEXT) | instid1(VALU_DEP_2)
	v_add_nc_u32_e32 v18, 1, v8
	v_add_nc_u32_e32 v9, -1, v9
	v_lshl_add_u32 v8, v8, 3, v13
	s_delay_alu instid0(VALU_DEP_3) | instskip(NEXT) | instid1(VALU_DEP_3)
	v_cndmask_b32_e64 v17, v18, v15, s8
	v_min_u32_e32 v9, v18, v9
	v_cndmask_b32_e64 v18, v16, v18, s8
	s_delay_alu instid0(VALU_DEP_2)
	v_lshl_add_u32 v9, v9, 1, v10
	ds_load_u16 v19, v9
	ds_load_b64 v[8:9], v8 offset:4096
	s_wait_dscnt 0x1
	v_cndmask_b32_e64 v32, v19, v48, s8
	v_cndmask_b32_e64 v55, v54, v19, s8
	v_cmpx_lt_u32_e64 v17, v53
	s_cbranch_execz .LBB2064_589
; %bb.578:
	s_mov_b32 s13, 0
	s_mov_b32 s11, exec_lo
	v_cmpx_lt_u32_e64 v18, v52
	s_cbranch_execz .LBB2064_588
; %bb.579:
	v_lshlrev_b32_e32 v15, 16, v55
	s_delay_alu instid0(VALU_DEP_1) | instskip(NEXT) | instid1(VALU_DEP_1)
	v_add_f32_e32 v16, 0, v15
	v_and_b32_e32 v15, 0x7f800000, v16
	s_delay_alu instid0(VALU_DEP_1)
	v_cmp_ne_u32_e64 s7, 0x7f800000, v15
                                        ; implicit-def: $vgpr15
	s_and_saveexec_b32 s13, s7
	s_wait_alu 0xfffe
	s_xor_b32 s7, exec_lo, s13
; %bb.580:
	v_bfe_u32 v15, v16, 16, 1
	s_delay_alu instid0(VALU_DEP_1)
	v_add3_u32 v15, v16, v15, 0x7fff
                                        ; implicit-def: $vgpr16
; %bb.581:
	s_wait_alu 0xfffe
	s_and_not1_saveexec_b32 s13, s7
; %bb.582:
	v_and_b32_e32 v15, 0xffff, v16
	v_or_b32_e32 v19, 0x10000, v16
	s_delay_alu instid0(VALU_DEP_2) | instskip(SKIP_1) | instid1(VALU_DEP_1)
	v_cmp_eq_u32_e64 s7, 0, v15
	s_wait_alu 0xf1ff
	v_cndmask_b32_e64 v15, v19, v16, s7
; %bb.583:
	s_wait_alu 0xfffe
	s_or_b32 exec_lo, exec_lo, s13
	v_lshlrev_b32_e32 v16, 16, v32
	s_delay_alu instid0(VALU_DEP_1) | instskip(NEXT) | instid1(VALU_DEP_1)
	v_add_f32_e32 v19, 0, v16
	v_and_b32_e32 v16, 0x7f800000, v19
	s_delay_alu instid0(VALU_DEP_1)
	v_cmp_ne_u32_e64 s7, 0x7f800000, v16
                                        ; implicit-def: $vgpr16
	s_and_saveexec_b32 s13, s7
	s_wait_alu 0xfffe
	s_xor_b32 s7, exec_lo, s13
; %bb.584:
	v_bfe_u32 v16, v19, 16, 1
	s_delay_alu instid0(VALU_DEP_1)
	v_add3_u32 v16, v19, v16, 0x7fff
                                        ; implicit-def: $vgpr19
; %bb.585:
	s_wait_alu 0xfffe
	s_and_not1_saveexec_b32 s13, s7
; %bb.586:
	v_and_b32_e32 v16, 0xffff, v19
	v_or_b32_e32 v20, 0x10000, v19
	s_delay_alu instid0(VALU_DEP_2) | instskip(SKIP_1) | instid1(VALU_DEP_1)
	v_cmp_eq_u32_e64 s7, 0, v16
	s_wait_alu 0xf1ff
	v_cndmask_b32_e64 v16, v20, v19, s7
; %bb.587:
	s_wait_alu 0xfffe
	s_or_b32 exec_lo, exec_lo, s13
	v_cmp_lt_i32_e64 s7, -1, v15
	s_delay_alu instid0(VALU_DEP_2) | instskip(SKIP_1) | instid1(VALU_DEP_2)
	v_perm_b32 v15, v16, v15, 0x7060302
	s_wait_alu 0xf1ff
	v_cndmask_b32_e64 v19, -1, 0xffff8000, s7
	v_cmp_lt_i32_e64 s7, -1, v16
	s_wait_alu 0xf1ff
	s_delay_alu instid0(VALU_DEP_1) | instskip(NEXT) | instid1(VALU_DEP_1)
	v_cndmask_b32_e64 v20, -1, 0xffff8000, s7
	v_perm_b32 v16, v20, v19, 0x5040100
	s_delay_alu instid0(VALU_DEP_1) | instskip(NEXT) | instid1(VALU_DEP_1)
	v_xor_b32_e32 v15, v16, v15
	v_lshrrev_b32_e32 v16, 16, v15
	s_delay_alu instid0(VALU_DEP_1)
	v_cmp_le_u16_e64 s7, v15, v16
	s_and_b32 s13, s7, exec_lo
.LBB2064_588:
	s_wait_alu 0xfffe
	s_or_b32 exec_lo, exec_lo, s11
	s_delay_alu instid0(SALU_CYCLE_1)
	s_or_not1_b32 s11, s13, exec_lo
.LBB2064_589:
	s_wait_alu 0xfffe
	s_or_b32 exec_lo, exec_lo, s12
	v_cndmask_b32_e64 v15, v17, v18, s11
	v_cndmask_b32_e64 v16, v53, v52, s11
	s_mov_b32 s13, -1
	s_mov_b32 s12, -1
	s_mov_b32 s14, exec_lo
	v_add_nc_u32_e32 v20, 1, v15
	v_add_nc_u32_e32 v16, -1, v16
	v_lshl_add_u32 v15, v15, 3, v13
	s_delay_alu instid0(VALU_DEP_3) | instskip(NEXT) | instid1(VALU_DEP_3)
	v_cndmask_b32_e64 v19, v20, v17, s11
	v_min_u32_e32 v16, v20, v16
	v_cndmask_b32_e64 v20, v18, v20, s11
	s_delay_alu instid0(VALU_DEP_2)
	v_lshl_add_u32 v16, v16, 1, v10
	ds_load_u16 v21, v16
	ds_load_b64 v[15:16], v15 offset:4096
	s_wait_dscnt 0x1
	v_cndmask_b32_e64 v51, v21, v32, s11
	v_cndmask_b32_e64 v64, v55, v21, s11
	v_cmpx_lt_u32_e64 v19, v53
	s_cbranch_execz .LBB2064_601
; %bb.590:
	s_mov_b32 s15, 0
	s_mov_b32 s12, exec_lo
	v_cmpx_lt_u32_e64 v20, v52
	s_cbranch_execz .LBB2064_600
; %bb.591:
	v_lshlrev_b32_e32 v17, 16, v64
	s_delay_alu instid0(VALU_DEP_1) | instskip(NEXT) | instid1(VALU_DEP_1)
	v_add_f32_e32 v18, 0, v17
	v_and_b32_e32 v17, 0x7f800000, v18
	s_delay_alu instid0(VALU_DEP_1)
	v_cmp_ne_u32_e64 s7, 0x7f800000, v17
                                        ; implicit-def: $vgpr17
	s_and_saveexec_b32 s15, s7
	s_wait_alu 0xfffe
	s_xor_b32 s7, exec_lo, s15
; %bb.592:
	v_bfe_u32 v17, v18, 16, 1
	s_delay_alu instid0(VALU_DEP_1)
	v_add3_u32 v17, v18, v17, 0x7fff
                                        ; implicit-def: $vgpr18
; %bb.593:
	s_wait_alu 0xfffe
	s_and_not1_saveexec_b32 s15, s7
; %bb.594:
	v_and_b32_e32 v17, 0xffff, v18
	v_or_b32_e32 v21, 0x10000, v18
	s_delay_alu instid0(VALU_DEP_2) | instskip(SKIP_1) | instid1(VALU_DEP_1)
	v_cmp_eq_u32_e64 s7, 0, v17
	s_wait_alu 0xf1ff
	v_cndmask_b32_e64 v17, v21, v18, s7
; %bb.595:
	s_wait_alu 0xfffe
	s_or_b32 exec_lo, exec_lo, s15
	v_lshlrev_b32_e32 v18, 16, v51
	s_delay_alu instid0(VALU_DEP_1) | instskip(NEXT) | instid1(VALU_DEP_1)
	v_add_f32_e32 v21, 0, v18
	v_and_b32_e32 v18, 0x7f800000, v21
	s_delay_alu instid0(VALU_DEP_1)
	v_cmp_ne_u32_e64 s7, 0x7f800000, v18
                                        ; implicit-def: $vgpr18
	s_and_saveexec_b32 s15, s7
	s_wait_alu 0xfffe
	s_xor_b32 s7, exec_lo, s15
; %bb.596:
	v_bfe_u32 v18, v21, 16, 1
	s_delay_alu instid0(VALU_DEP_1)
	v_add3_u32 v18, v21, v18, 0x7fff
                                        ; implicit-def: $vgpr21
; %bb.597:
	s_wait_alu 0xfffe
	s_and_not1_saveexec_b32 s15, s7
; %bb.598:
	v_and_b32_e32 v18, 0xffff, v21
	v_or_b32_e32 v22, 0x10000, v21
	s_delay_alu instid0(VALU_DEP_2) | instskip(SKIP_1) | instid1(VALU_DEP_1)
	v_cmp_eq_u32_e64 s7, 0, v18
	s_wait_alu 0xf1ff
	v_cndmask_b32_e64 v18, v22, v21, s7
; %bb.599:
	s_wait_alu 0xfffe
	s_or_b32 exec_lo, exec_lo, s15
	v_cmp_lt_i32_e64 s7, -1, v17
	s_delay_alu instid0(VALU_DEP_2) | instskip(SKIP_1) | instid1(VALU_DEP_2)
	v_perm_b32 v17, v18, v17, 0x7060302
	s_wait_alu 0xf1ff
	v_cndmask_b32_e64 v21, -1, 0xffff8000, s7
	v_cmp_lt_i32_e64 s7, -1, v18
	s_wait_alu 0xf1ff
	s_delay_alu instid0(VALU_DEP_1) | instskip(NEXT) | instid1(VALU_DEP_1)
	v_cndmask_b32_e64 v22, -1, 0xffff8000, s7
	v_perm_b32 v18, v22, v21, 0x5040100
	s_delay_alu instid0(VALU_DEP_1) | instskip(NEXT) | instid1(VALU_DEP_1)
	v_xor_b32_e32 v17, v18, v17
	v_lshrrev_b32_e32 v18, 16, v17
	s_delay_alu instid0(VALU_DEP_1)
	v_cmp_le_u16_e64 s7, v17, v18
	s_and_b32 s15, s7, exec_lo
.LBB2064_600:
	s_wait_alu 0xfffe
	s_or_b32 exec_lo, exec_lo, s12
	s_delay_alu instid0(SALU_CYCLE_1)
	s_or_not1_b32 s12, s15, exec_lo
.LBB2064_601:
	s_wait_alu 0xfffe
	s_or_b32 exec_lo, exec_lo, s14
	v_cndmask_b32_e64 v17, v19, v20, s12
	v_cndmask_b32_e64 v18, v53, v52, s12
	s_mov_b32 s14, exec_lo
	s_delay_alu instid0(VALU_DEP_2) | instskip(NEXT) | instid1(VALU_DEP_2)
	v_add_nc_u32_e32 v22, 1, v17
	v_add_nc_u32_e32 v18, -1, v18
	v_lshl_add_u32 v17, v17, 3, v13
	s_delay_alu instid0(VALU_DEP_3) | instskip(NEXT) | instid1(VALU_DEP_3)
	v_cndmask_b32_e64 v21, v22, v19, s12
	v_min_u32_e32 v18, v22, v18
	v_cndmask_b32_e64 v22, v20, v22, s12
	s_delay_alu instid0(VALU_DEP_2)
	v_lshl_add_u32 v18, v18, 1, v10
	ds_load_u16 v23, v18
	ds_load_b64 v[17:18], v17 offset:4096
	s_wait_dscnt 0x1
	v_cndmask_b32_e64 v49, v23, v51, s12
	v_cndmask_b32_e64 v65, v64, v23, s12
	v_cmpx_lt_u32_e64 v21, v53
	s_cbranch_execz .LBB2064_613
; %bb.602:
	s_mov_b32 s15, 0
	s_mov_b32 s13, exec_lo
	v_cmpx_lt_u32_e64 v22, v52
	s_cbranch_execz .LBB2064_612
; %bb.603:
	v_lshlrev_b32_e32 v19, 16, v65
	s_delay_alu instid0(VALU_DEP_1) | instskip(NEXT) | instid1(VALU_DEP_1)
	v_add_f32_e32 v20, 0, v19
	v_and_b32_e32 v19, 0x7f800000, v20
	s_delay_alu instid0(VALU_DEP_1)
	v_cmp_ne_u32_e64 s7, 0x7f800000, v19
                                        ; implicit-def: $vgpr19
	s_and_saveexec_b32 s15, s7
	s_wait_alu 0xfffe
	s_xor_b32 s7, exec_lo, s15
; %bb.604:
	v_bfe_u32 v19, v20, 16, 1
	s_delay_alu instid0(VALU_DEP_1)
	v_add3_u32 v19, v20, v19, 0x7fff
                                        ; implicit-def: $vgpr20
; %bb.605:
	s_wait_alu 0xfffe
	s_and_not1_saveexec_b32 s15, s7
; %bb.606:
	v_and_b32_e32 v19, 0xffff, v20
	v_or_b32_e32 v23, 0x10000, v20
	s_delay_alu instid0(VALU_DEP_2) | instskip(SKIP_1) | instid1(VALU_DEP_1)
	v_cmp_eq_u32_e64 s7, 0, v19
	s_wait_alu 0xf1ff
	v_cndmask_b32_e64 v19, v23, v20, s7
; %bb.607:
	s_wait_alu 0xfffe
	s_or_b32 exec_lo, exec_lo, s15
	v_lshlrev_b32_e32 v20, 16, v49
	s_delay_alu instid0(VALU_DEP_1) | instskip(NEXT) | instid1(VALU_DEP_1)
	v_add_f32_e32 v23, 0, v20
	v_and_b32_e32 v20, 0x7f800000, v23
	s_delay_alu instid0(VALU_DEP_1)
	v_cmp_ne_u32_e64 s7, 0x7f800000, v20
                                        ; implicit-def: $vgpr20
	s_and_saveexec_b32 s15, s7
	s_wait_alu 0xfffe
	s_xor_b32 s7, exec_lo, s15
; %bb.608:
	v_bfe_u32 v20, v23, 16, 1
	s_delay_alu instid0(VALU_DEP_1)
	v_add3_u32 v20, v23, v20, 0x7fff
                                        ; implicit-def: $vgpr23
; %bb.609:
	s_wait_alu 0xfffe
	s_and_not1_saveexec_b32 s15, s7
; %bb.610:
	v_and_b32_e32 v20, 0xffff, v23
	v_or_b32_e32 v24, 0x10000, v23
	s_delay_alu instid0(VALU_DEP_2) | instskip(SKIP_1) | instid1(VALU_DEP_1)
	v_cmp_eq_u32_e64 s7, 0, v20
	s_wait_alu 0xf1ff
	v_cndmask_b32_e64 v20, v24, v23, s7
; %bb.611:
	s_wait_alu 0xfffe
	s_or_b32 exec_lo, exec_lo, s15
	v_cmp_lt_i32_e64 s7, -1, v19
	s_delay_alu instid0(VALU_DEP_2) | instskip(SKIP_1) | instid1(VALU_DEP_2)
	v_perm_b32 v19, v20, v19, 0x7060302
	s_wait_alu 0xf1ff
	v_cndmask_b32_e64 v23, -1, 0xffff8000, s7
	v_cmp_lt_i32_e64 s7, -1, v20
	s_wait_alu 0xf1ff
	s_delay_alu instid0(VALU_DEP_1) | instskip(NEXT) | instid1(VALU_DEP_1)
	v_cndmask_b32_e64 v24, -1, 0xffff8000, s7
	v_perm_b32 v20, v24, v23, 0x5040100
	s_delay_alu instid0(VALU_DEP_1) | instskip(NEXT) | instid1(VALU_DEP_1)
	v_xor_b32_e32 v19, v20, v19
	v_lshrrev_b32_e32 v20, 16, v19
	s_delay_alu instid0(VALU_DEP_1)
	v_cmp_le_u16_e64 s7, v19, v20
	s_and_b32 s15, s7, exec_lo
.LBB2064_612:
	s_wait_alu 0xfffe
	s_or_b32 exec_lo, exec_lo, s13
	s_delay_alu instid0(SALU_CYCLE_1)
	s_or_not1_b32 s13, s15, exec_lo
.LBB2064_613:
	s_wait_alu 0xfffe
	s_or_b32 exec_lo, exec_lo, s14
	v_cndmask_b32_e64 v19, v21, v22, s13
	v_cndmask_b32_e64 v20, v53, v52, s13
	s_mov_b32 s15, -1
	s_mov_b32 s14, -1
	s_mov_b32 s16, exec_lo
	v_add_nc_u32_e32 v23, 1, v19
	v_add_nc_u32_e32 v20, -1, v20
	v_lshl_add_u32 v19, v19, 3, v13
	s_delay_alu instid0(VALU_DEP_3) | instskip(NEXT) | instid1(VALU_DEP_3)
	v_cndmask_b32_e64 v21, v23, v21, s13
	v_min_u32_e32 v20, v23, v20
	v_cndmask_b32_e64 v22, v22, v23, s13
	s_delay_alu instid0(VALU_DEP_2)
	v_lshl_add_u32 v20, v20, 1, v10
	ds_load_u16 v24, v20
	ds_load_b64 v[19:20], v19 offset:4096
	s_wait_dscnt 0x1
	v_cndmask_b32_e64 v39, v24, v49, s13
	v_cndmask_b32_e64 v66, v65, v24, s13
	v_cmpx_lt_u32_e64 v21, v53
	s_cbranch_execz .LBB2064_625
; %bb.614:
	s_mov_b32 s17, 0
	s_mov_b32 s14, exec_lo
	v_cmpx_lt_u32_e64 v22, v52
	s_cbranch_execz .LBB2064_624
; %bb.615:
	v_lshlrev_b32_e32 v23, 16, v66
	s_delay_alu instid0(VALU_DEP_1) | instskip(NEXT) | instid1(VALU_DEP_1)
	v_add_f32_e32 v24, 0, v23
	v_and_b32_e32 v23, 0x7f800000, v24
	s_delay_alu instid0(VALU_DEP_1)
	v_cmp_ne_u32_e64 s7, 0x7f800000, v23
                                        ; implicit-def: $vgpr23
	s_and_saveexec_b32 s17, s7
	s_wait_alu 0xfffe
	s_xor_b32 s7, exec_lo, s17
; %bb.616:
	v_bfe_u32 v23, v24, 16, 1
	s_delay_alu instid0(VALU_DEP_1)
	v_add3_u32 v23, v24, v23, 0x7fff
                                        ; implicit-def: $vgpr24
; %bb.617:
	s_wait_alu 0xfffe
	s_and_not1_saveexec_b32 s17, s7
; %bb.618:
	v_and_b32_e32 v23, 0xffff, v24
	v_or_b32_e32 v25, 0x10000, v24
	s_delay_alu instid0(VALU_DEP_2) | instskip(SKIP_1) | instid1(VALU_DEP_1)
	v_cmp_eq_u32_e64 s7, 0, v23
	s_wait_alu 0xf1ff
	v_cndmask_b32_e64 v23, v25, v24, s7
; %bb.619:
	s_wait_alu 0xfffe
	s_or_b32 exec_lo, exec_lo, s17
	v_lshlrev_b32_e32 v24, 16, v39
	s_delay_alu instid0(VALU_DEP_1) | instskip(NEXT) | instid1(VALU_DEP_1)
	v_add_f32_e32 v25, 0, v24
	v_and_b32_e32 v24, 0x7f800000, v25
	s_delay_alu instid0(VALU_DEP_1)
	v_cmp_ne_u32_e64 s7, 0x7f800000, v24
                                        ; implicit-def: $vgpr24
	s_and_saveexec_b32 s17, s7
	s_wait_alu 0xfffe
	s_xor_b32 s7, exec_lo, s17
; %bb.620:
	v_bfe_u32 v24, v25, 16, 1
	s_delay_alu instid0(VALU_DEP_1)
	v_add3_u32 v24, v25, v24, 0x7fff
                                        ; implicit-def: $vgpr25
; %bb.621:
	s_wait_alu 0xfffe
	s_and_not1_saveexec_b32 s17, s7
; %bb.622:
	v_and_b32_e32 v24, 0xffff, v25
	v_or_b32_e32 v26, 0x10000, v25
	s_delay_alu instid0(VALU_DEP_2) | instskip(SKIP_1) | instid1(VALU_DEP_1)
	v_cmp_eq_u32_e64 s7, 0, v24
	s_wait_alu 0xf1ff
	v_cndmask_b32_e64 v24, v26, v25, s7
; %bb.623:
	s_wait_alu 0xfffe
	s_or_b32 exec_lo, exec_lo, s17
	v_cmp_lt_i32_e64 s7, -1, v23
	s_delay_alu instid0(VALU_DEP_2) | instskip(SKIP_1) | instid1(VALU_DEP_2)
	v_perm_b32 v23, v24, v23, 0x7060302
	s_wait_alu 0xf1ff
	v_cndmask_b32_e64 v25, -1, 0xffff8000, s7
	v_cmp_lt_i32_e64 s7, -1, v24
	s_wait_alu 0xf1ff
	s_delay_alu instid0(VALU_DEP_1) | instskip(NEXT) | instid1(VALU_DEP_1)
	v_cndmask_b32_e64 v26, -1, 0xffff8000, s7
	v_perm_b32 v24, v26, v25, 0x5040100
	s_delay_alu instid0(VALU_DEP_1) | instskip(NEXT) | instid1(VALU_DEP_1)
	v_xor_b32_e32 v23, v24, v23
	v_lshrrev_b32_e32 v24, 16, v23
	s_delay_alu instid0(VALU_DEP_1)
	v_cmp_le_u16_e64 s7, v23, v24
	s_and_b32 s17, s7, exec_lo
.LBB2064_624:
	s_wait_alu 0xfffe
	s_or_b32 exec_lo, exec_lo, s14
	s_delay_alu instid0(SALU_CYCLE_1)
	s_or_not1_b32 s14, s17, exec_lo
.LBB2064_625:
	s_wait_alu 0xfffe
	s_or_b32 exec_lo, exec_lo, s16
	v_cndmask_b32_e64 v23, v21, v22, s14
	v_cndmask_b32_e64 v24, v53, v52, s14
	s_mov_b32 s16, exec_lo
	s_delay_alu instid0(VALU_DEP_2) | instskip(NEXT) | instid1(VALU_DEP_2)
	v_add_nc_u32_e32 v26, 1, v23
	v_add_nc_u32_e32 v24, -1, v24
	v_lshl_add_u32 v23, v23, 3, v13
	s_delay_alu instid0(VALU_DEP_3) | instskip(NEXT) | instid1(VALU_DEP_3)
	v_cndmask_b32_e64 v25, v26, v21, s14
	v_min_u32_e32 v24, v26, v24
	v_cndmask_b32_e64 v26, v22, v26, s14
	s_delay_alu instid0(VALU_DEP_2)
	v_lshl_add_u32 v24, v24, 1, v10
	ds_load_u16 v67, v24
	ds_load_b64 v[23:24], v23 offset:4096
	s_wait_dscnt 0x1
	v_cndmask_b32_e64 v50, v67, v39, s14
	v_cndmask_b32_e64 v67, v66, v67, s14
	v_cmpx_lt_u32_e64 v25, v53
	s_cbranch_execz .LBB2064_637
; %bb.626:
	s_mov_b32 s17, 0
	s_mov_b32 s15, exec_lo
	v_cmpx_lt_u32_e64 v26, v52
	s_cbranch_execz .LBB2064_636
; %bb.627:
	v_lshlrev_b32_e32 v21, 16, v67
	s_delay_alu instid0(VALU_DEP_1) | instskip(NEXT) | instid1(VALU_DEP_1)
	v_add_f32_e32 v22, 0, v21
	v_and_b32_e32 v21, 0x7f800000, v22
	s_delay_alu instid0(VALU_DEP_1)
	v_cmp_ne_u32_e64 s7, 0x7f800000, v21
                                        ; implicit-def: $vgpr21
	s_and_saveexec_b32 s17, s7
	s_wait_alu 0xfffe
	s_xor_b32 s7, exec_lo, s17
; %bb.628:
	v_bfe_u32 v21, v22, 16, 1
	s_delay_alu instid0(VALU_DEP_1)
	v_add3_u32 v21, v22, v21, 0x7fff
                                        ; implicit-def: $vgpr22
; %bb.629:
	s_wait_alu 0xfffe
	s_and_not1_saveexec_b32 s17, s7
; %bb.630:
	v_and_b32_e32 v21, 0xffff, v22
	v_or_b32_e32 v68, 0x10000, v22
	s_delay_alu instid0(VALU_DEP_2) | instskip(SKIP_1) | instid1(VALU_DEP_1)
	v_cmp_eq_u32_e64 s7, 0, v21
	s_wait_alu 0xf1ff
	v_cndmask_b32_e64 v21, v68, v22, s7
; %bb.631:
	s_wait_alu 0xfffe
	s_or_b32 exec_lo, exec_lo, s17
	v_lshlrev_b32_e32 v22, 16, v50
	s_delay_alu instid0(VALU_DEP_1) | instskip(NEXT) | instid1(VALU_DEP_1)
	v_add_f32_e32 v68, 0, v22
	v_and_b32_e32 v22, 0x7f800000, v68
	s_delay_alu instid0(VALU_DEP_1)
	v_cmp_ne_u32_e64 s7, 0x7f800000, v22
                                        ; implicit-def: $vgpr22
	s_and_saveexec_b32 s17, s7
	s_wait_alu 0xfffe
	s_xor_b32 s7, exec_lo, s17
; %bb.632:
	v_bfe_u32 v22, v68, 16, 1
	s_delay_alu instid0(VALU_DEP_1)
	v_add3_u32 v22, v68, v22, 0x7fff
                                        ; implicit-def: $vgpr68
; %bb.633:
	s_wait_alu 0xfffe
	s_and_not1_saveexec_b32 s17, s7
; %bb.634:
	v_and_b32_e32 v22, 0xffff, v68
	v_or_b32_e32 v69, 0x10000, v68
	s_delay_alu instid0(VALU_DEP_2) | instskip(SKIP_1) | instid1(VALU_DEP_1)
	v_cmp_eq_u32_e64 s7, 0, v22
	s_wait_alu 0xf1ff
	v_cndmask_b32_e64 v22, v69, v68, s7
; %bb.635:
	s_wait_alu 0xfffe
	s_or_b32 exec_lo, exec_lo, s17
	v_cmp_lt_i32_e64 s7, -1, v21
	s_delay_alu instid0(VALU_DEP_2) | instskip(SKIP_1) | instid1(VALU_DEP_2)
	v_perm_b32 v21, v22, v21, 0x7060302
	s_wait_alu 0xf1ff
	v_cndmask_b32_e64 v68, -1, 0xffff8000, s7
	v_cmp_lt_i32_e64 s7, -1, v22
	s_wait_alu 0xf1ff
	s_delay_alu instid0(VALU_DEP_1) | instskip(NEXT) | instid1(VALU_DEP_1)
	v_cndmask_b32_e64 v69, -1, 0xffff8000, s7
	v_perm_b32 v22, v69, v68, 0x5040100
	s_delay_alu instid0(VALU_DEP_1) | instskip(NEXT) | instid1(VALU_DEP_1)
	v_xor_b32_e32 v21, v22, v21
	v_lshrrev_b32_e32 v22, 16, v21
	s_delay_alu instid0(VALU_DEP_1)
	v_cmp_le_u16_e64 s7, v21, v22
	s_and_b32 s17, s7, exec_lo
.LBB2064_636:
	s_wait_alu 0xfffe
	s_or_b32 exec_lo, exec_lo, s15
	s_delay_alu instid0(SALU_CYCLE_1)
	s_or_not1_b32 s15, s17, exec_lo
.LBB2064_637:
	s_wait_alu 0xfffe
	s_or_b32 exec_lo, exec_lo, s16
	v_cndmask_b32_e64 v21, v25, v26, s15
	v_cndmask_b32_e64 v22, v53, v52, s15
	s_mov_b32 s17, -1
	s_mov_b32 s16, exec_lo
	s_delay_alu instid0(VALU_DEP_2) | instskip(NEXT) | instid1(VALU_DEP_2)
	v_add_nc_u32_e32 v68, 1, v21
	v_add_nc_u32_e32 v22, -1, v22
	v_lshl_add_u32 v21, v21, 3, v13
	s_delay_alu instid0(VALU_DEP_3) | instskip(NEXT) | instid1(VALU_DEP_3)
	v_cndmask_b32_e64 v25, v68, v25, s15
	v_min_u32_e32 v22, v68, v22
	v_cndmask_b32_e64 v26, v26, v68, s15
	s_delay_alu instid0(VALU_DEP_2)
	v_lshl_add_u32 v22, v22, 1, v10
	ds_load_u16 v69, v22
	ds_load_b64 v[21:22], v21 offset:4096
	s_wait_dscnt 0x1
	v_cndmask_b32_e64 v68, v69, v50, s15
	v_cndmask_b32_e64 v69, v67, v69, s15
	v_cmpx_lt_u32_e64 v25, v53
	s_cbranch_execz .LBB2064_649
; %bb.638:
	s_mov_b32 s18, 0
	s_mov_b32 s17, exec_lo
	v_cmpx_lt_u32_e64 v26, v52
	s_cbranch_execz .LBB2064_648
; %bb.639:
	v_lshlrev_b32_e32 v52, 16, v69
	s_delay_alu instid0(VALU_DEP_1) | instskip(NEXT) | instid1(VALU_DEP_1)
	v_add_f32_e32 v53, 0, v52
	v_and_b32_e32 v52, 0x7f800000, v53
	s_delay_alu instid0(VALU_DEP_1)
	v_cmp_ne_u32_e64 s7, 0x7f800000, v52
                                        ; implicit-def: $vgpr52
	s_and_saveexec_b32 s18, s7
	s_wait_alu 0xfffe
	s_xor_b32 s7, exec_lo, s18
; %bb.640:
	v_bfe_u32 v52, v53, 16, 1
	s_delay_alu instid0(VALU_DEP_1)
	v_add3_u32 v52, v53, v52, 0x7fff
                                        ; implicit-def: $vgpr53
; %bb.641:
	s_wait_alu 0xfffe
	s_and_not1_saveexec_b32 s18, s7
; %bb.642:
	v_and_b32_e32 v52, 0xffff, v53
	v_or_b32_e32 v70, 0x10000, v53
	s_delay_alu instid0(VALU_DEP_2) | instskip(SKIP_1) | instid1(VALU_DEP_1)
	v_cmp_eq_u32_e64 s7, 0, v52
	s_wait_alu 0xf1ff
	v_cndmask_b32_e64 v52, v70, v53, s7
; %bb.643:
	s_wait_alu 0xfffe
	s_or_b32 exec_lo, exec_lo, s18
	v_lshlrev_b32_e32 v53, 16, v68
	s_delay_alu instid0(VALU_DEP_1) | instskip(NEXT) | instid1(VALU_DEP_1)
	v_add_f32_e32 v70, 0, v53
	v_and_b32_e32 v53, 0x7f800000, v70
	s_delay_alu instid0(VALU_DEP_1)
	v_cmp_ne_u32_e64 s7, 0x7f800000, v53
                                        ; implicit-def: $vgpr53
	s_and_saveexec_b32 s18, s7
	s_wait_alu 0xfffe
	s_xor_b32 s7, exec_lo, s18
; %bb.644:
	v_bfe_u32 v53, v70, 16, 1
	s_delay_alu instid0(VALU_DEP_1)
	v_add3_u32 v53, v70, v53, 0x7fff
                                        ; implicit-def: $vgpr70
; %bb.645:
	s_wait_alu 0xfffe
	s_and_not1_saveexec_b32 s18, s7
; %bb.646:
	v_and_b32_e32 v53, 0xffff, v70
	v_or_b32_e32 v71, 0x10000, v70
	s_delay_alu instid0(VALU_DEP_2) | instskip(SKIP_1) | instid1(VALU_DEP_1)
	v_cmp_eq_u32_e64 s7, 0, v53
	s_wait_alu 0xf1ff
	v_cndmask_b32_e64 v53, v71, v70, s7
; %bb.647:
	s_wait_alu 0xfffe
	s_or_b32 exec_lo, exec_lo, s18
	v_cmp_lt_i32_e64 s7, -1, v52
	s_delay_alu instid0(VALU_DEP_2) | instskip(SKIP_1) | instid1(VALU_DEP_2)
	v_perm_b32 v52, v53, v52, 0x7060302
	s_wait_alu 0xf1ff
	v_cndmask_b32_e64 v70, -1, 0xffff8000, s7
	v_cmp_lt_i32_e64 s7, -1, v53
	s_wait_alu 0xf1ff
	s_delay_alu instid0(VALU_DEP_1) | instskip(NEXT) | instid1(VALU_DEP_1)
	v_cndmask_b32_e64 v71, -1, 0xffff8000, s7
	v_perm_b32 v53, v71, v70, 0x5040100
	s_delay_alu instid0(VALU_DEP_1) | instskip(NEXT) | instid1(VALU_DEP_1)
	v_xor_b32_e32 v52, v53, v52
	v_lshrrev_b32_e32 v53, 16, v52
	s_delay_alu instid0(VALU_DEP_1)
	v_cmp_le_u16_e64 s7, v52, v53
	s_and_b32 s18, s7, exec_lo
.LBB2064_648:
	s_wait_alu 0xfffe
	s_or_b32 exec_lo, exec_lo, s17
	s_delay_alu instid0(SALU_CYCLE_1)
	s_or_not1_b32 s17, s18, exec_lo
.LBB2064_649:
	s_wait_alu 0xfffe
	s_or_b32 exec_lo, exec_lo, s16
	v_cndmask_b32_e64 v25, v25, v26, s17
	v_cndmask_b32_e64 v50, v50, v67, s15
	;; [unrolled: 1-line block ×5, first 2 shown]
	v_lshl_add_u32 v25, v25, 3, v13
	v_cndmask_b32_e64 v32, v32, v55, s11
	v_cndmask_b32_e64 v48, v48, v54, s8
	;; [unrolled: 1-line block ×4, first 2 shown]
	ds_load_b64 v[25:26], v25 offset:4096
.LBB2064_650:
	s_wait_alu 0xfffe
	s_or_b32 exec_lo, exec_lo, s9
	v_and_b32_e32 v53, 0x80, v36
	v_min_u32_e32 v35, v27, v35
	; wave barrier
	ds_store_2addr_b64 v30, v[15:16], v[17:18] offset1:1
	ds_store_2addr_b64 v31, v[19:20], v[23:24] offset1:1
	v_or_b32_e32 v36, 64, v53
	v_lshl_add_u32 v30, v53, 1, v10
	v_perm_b32 v65, v38, v50, 0x5040100
	v_perm_b32 v64, v39, v49, 0x5040100
	;; [unrolled: 1-line block ×3, first 2 shown]
	v_min_u32_e32 v36, v27, v36
	v_perm_b32 v66, v48, v37, 0x5040100
	s_mov_b32 s8, exec_lo
	ds_store_2addr_b64 v29, v[4:5], v[8:9] offset1:1
	ds_store_2addr_b64 v14, v[66:67], v[64:65] offset1:1
	s_wait_dscnt 0x4
	ds_store_2addr_b64 v28, v[21:22], v[25:26] offset1:1
	v_add_nc_u32_e32 v52, 64, v36
	; wave barrier
	s_delay_alu instid0(VALU_DEP_1) | instskip(SKIP_1) | instid1(VALU_DEP_2)
	v_min_u32_e32 v52, v27, v52
	v_sub_nc_u32_e32 v27, v36, v53
	v_sub_nc_u32_e32 v55, v52, v36
	s_delay_alu instid0(VALU_DEP_2) | instskip(NEXT) | instid1(VALU_DEP_2)
	v_min_u32_e32 v54, v35, v27
	v_sub_nc_u32_e64 v27, v35, v55 clamp
	s_delay_alu instid0(VALU_DEP_1)
	v_cmpx_lt_u32_e64 v27, v54
	s_cbranch_execz .LBB2064_662
; %bb.651:
	v_lshlrev_b32_e32 v14, 1, v36
	v_lshlrev_b32_e32 v28, 1, v35
	s_mov_b32 s9, 0
	s_delay_alu instid0(VALU_DEP_1)
	v_add3_u32 v14, v10, v14, v28
	s_branch .LBB2064_653
.LBB2064_652:                           ;   in Loop: Header=BB2064_653 Depth=1
	s_wait_alu 0xfffe
	s_or_b32 exec_lo, exec_lo, s10
	v_cmp_lt_i32_e64 s7, -1, v29
	v_lshrrev_b32_e32 v55, 16, v29
	v_lshrrev_b32_e32 v64, 16, v31
	s_wait_alu 0xf1ff
	s_delay_alu instid0(VALU_DEP_3) | instskip(SKIP_1) | instid1(VALU_DEP_2)
	v_cndmask_b32_e64 v29, -1, 0xffff8000, s7
	v_cmp_lt_i32_e64 s7, -1, v31
	v_xor_b32_e32 v29, v29, v55
	s_wait_alu 0xf1ff
	s_delay_alu instid0(VALU_DEP_2) | instskip(SKIP_1) | instid1(VALU_DEP_2)
	v_cndmask_b32_e64 v31, -1, 0xffff8000, s7
	v_add_nc_u32_e32 v55, 1, v28
	v_xor_b32_e32 v31, v31, v64
	s_delay_alu instid0(VALU_DEP_1) | instskip(SKIP_1) | instid1(VALU_DEP_1)
	v_cmp_gt_u16_e64 s7, v29, v31
	s_wait_alu 0xf1ff
	v_cndmask_b32_e64 v54, v54, v28, s7
	v_cndmask_b32_e64 v27, v55, v27, s7
	s_delay_alu instid0(VALU_DEP_1)
	v_cmp_ge_u32_e64 s7, v27, v54
	s_or_b32 s9, s7, s9
	s_wait_alu 0xfffe
	s_and_not1_b32 exec_lo, exec_lo, s9
	s_cbranch_execz .LBB2064_661
.LBB2064_653:                           ; =>This Inner Loop Header: Depth=1
	v_add_nc_u32_e32 v28, v54, v27
	s_delay_alu instid0(VALU_DEP_1) | instskip(SKIP_1) | instid1(VALU_DEP_2)
	v_and_b32_e32 v29, -2, v28
	v_lshrrev_b32_e32 v28, 1, v28
	v_add_nc_u32_e32 v29, v30, v29
	s_delay_alu instid0(VALU_DEP_2)
	v_not_b32_e32 v31, v28
	ds_load_u16 v29, v29
	v_lshl_add_u32 v31, v31, 1, v14
	ds_load_u16 v31, v31
	s_wait_dscnt 0x1
	v_lshlrev_b32_e32 v29, 16, v29
	s_delay_alu instid0(VALU_DEP_1) | instskip(NEXT) | instid1(VALU_DEP_1)
	v_add_f32_e32 v55, 0, v29
	v_and_b32_e32 v29, 0x7f800000, v55
	s_delay_alu instid0(VALU_DEP_1)
	v_cmp_ne_u32_e64 s7, 0x7f800000, v29
                                        ; implicit-def: $vgpr29
	s_and_saveexec_b32 s10, s7
	s_wait_alu 0xfffe
	s_xor_b32 s7, exec_lo, s10
; %bb.654:                              ;   in Loop: Header=BB2064_653 Depth=1
	v_bfe_u32 v29, v55, 16, 1
	s_delay_alu instid0(VALU_DEP_1)
	v_add3_u32 v29, v55, v29, 0x7fff
                                        ; implicit-def: $vgpr55
; %bb.655:                              ;   in Loop: Header=BB2064_653 Depth=1
	s_wait_alu 0xfffe
	s_and_not1_saveexec_b32 s10, s7
; %bb.656:                              ;   in Loop: Header=BB2064_653 Depth=1
	v_and_b32_e32 v29, 0xffff, v55
	v_or_b32_e32 v64, 0x10000, v55
	s_delay_alu instid0(VALU_DEP_2) | instskip(SKIP_1) | instid1(VALU_DEP_1)
	v_cmp_eq_u32_e64 s7, 0, v29
	s_wait_alu 0xf1ff
	v_cndmask_b32_e64 v29, v64, v55, s7
; %bb.657:                              ;   in Loop: Header=BB2064_653 Depth=1
	s_wait_alu 0xfffe
	s_or_b32 exec_lo, exec_lo, s10
	s_wait_dscnt 0x0
	v_lshlrev_b32_e32 v31, 16, v31
	s_delay_alu instid0(VALU_DEP_1) | instskip(NEXT) | instid1(VALU_DEP_1)
	v_add_f32_e32 v55, 0, v31
	v_and_b32_e32 v31, 0x7f800000, v55
	s_delay_alu instid0(VALU_DEP_1)
	v_cmp_ne_u32_e64 s7, 0x7f800000, v31
                                        ; implicit-def: $vgpr31
	s_and_saveexec_b32 s10, s7
	s_wait_alu 0xfffe
	s_xor_b32 s7, exec_lo, s10
; %bb.658:                              ;   in Loop: Header=BB2064_653 Depth=1
	v_bfe_u32 v31, v55, 16, 1
	s_delay_alu instid0(VALU_DEP_1)
	v_add3_u32 v31, v55, v31, 0x7fff
                                        ; implicit-def: $vgpr55
; %bb.659:                              ;   in Loop: Header=BB2064_653 Depth=1
	s_wait_alu 0xfffe
	s_and_not1_saveexec_b32 s10, s7
	s_cbranch_execz .LBB2064_652
; %bb.660:                              ;   in Loop: Header=BB2064_653 Depth=1
	v_and_b32_e32 v31, 0xffff, v55
	v_or_b32_e32 v64, 0x10000, v55
	s_delay_alu instid0(VALU_DEP_2) | instskip(SKIP_1) | instid1(VALU_DEP_1)
	v_cmp_eq_u32_e64 s7, 0, v31
	s_wait_alu 0xf1ff
	v_cndmask_b32_e64 v31, v64, v55, s7
	s_branch .LBB2064_652
.LBB2064_661:
	s_or_b32 exec_lo, exec_lo, s9
.LBB2064_662:
	s_wait_alu 0xfffe
	s_or_b32 exec_lo, exec_lo, s8
	v_add_nc_u32_e32 v14, v36, v35
	v_add_nc_u32_e32 v28, v27, v53
	s_delay_alu instid0(VALU_DEP_2) | instskip(NEXT) | instid1(VALU_DEP_2)
	v_sub_nc_u32_e32 v29, v14, v27
	v_cmp_le_u32_e64 s7, v28, v36
	s_delay_alu instid0(VALU_DEP_2)
	v_cmp_le_u32_e64 s8, v29, v52
	s_or_b32 s7, s7, s8
	s_wait_alu 0xfffe
	s_and_saveexec_b32 s9, s7
	s_cbranch_execz .LBB2064_762
; %bb.663:
	v_cmp_ge_u32_e64 s7, v28, v36
	s_mov_b32 s10, exec_lo
                                        ; implicit-def: $vgpr14
	v_cmpx_lt_u32_e64 v28, v36
; %bb.664:
	v_lshl_add_u32 v4, v27, 1, v30
	ds_load_u16 v14, v4
; %bb.665:
	s_wait_alu 0xfffe
	s_or_b32 exec_lo, exec_lo, s10
	v_cmp_ge_u32_e64 s10, v29, v52
	s_mov_b32 s11, exec_lo
                                        ; implicit-def: $vgpr27
	v_cmpx_lt_u32_e64 v29, v52
; %bb.666:
	v_lshl_add_u32 v4, v29, 1, v10
	ds_load_u16 v27, v4
; %bb.667:
	s_wait_alu 0xfffe
	s_or_b32 exec_lo, exec_lo, s11
	s_nor_b32 s7, s7, s10
	s_wait_alu 0xfffe
	s_and_saveexec_b32 s8, s7
	s_cbranch_execz .LBB2064_677
; %bb.668:
	s_wait_dscnt 0x0
	v_lshlrev_b32_e32 v4, 16, v14
	s_delay_alu instid0(VALU_DEP_1) | instskip(NEXT) | instid1(VALU_DEP_1)
	v_add_f32_e32 v5, 0, v4
	v_and_b32_e32 v4, 0x7f800000, v5
	s_delay_alu instid0(VALU_DEP_1)
	v_cmp_ne_u32_e64 s7, 0x7f800000, v4
                                        ; implicit-def: $vgpr4
	s_and_saveexec_b32 s11, s7
	s_wait_alu 0xfffe
	s_xor_b32 s7, exec_lo, s11
; %bb.669:
	v_bfe_u32 v4, v5, 16, 1
	s_delay_alu instid0(VALU_DEP_1)
	v_add3_u32 v4, v5, v4, 0x7fff
                                        ; implicit-def: $vgpr5
; %bb.670:
	s_wait_alu 0xfffe
	s_and_not1_saveexec_b32 s11, s7
; %bb.671:
	v_and_b32_e32 v4, 0xffff, v5
	v_or_b32_e32 v8, 0x10000, v5
	s_delay_alu instid0(VALU_DEP_2) | instskip(SKIP_1) | instid1(VALU_DEP_1)
	v_cmp_eq_u32_e64 s7, 0, v4
	s_wait_alu 0xf1ff
	v_cndmask_b32_e64 v4, v8, v5, s7
; %bb.672:
	s_wait_alu 0xfffe
	s_or_b32 exec_lo, exec_lo, s11
	v_lshlrev_b32_e32 v5, 16, v27
	s_delay_alu instid0(VALU_DEP_1) | instskip(NEXT) | instid1(VALU_DEP_1)
	v_add_f32_e32 v8, 0, v5
	v_and_b32_e32 v5, 0x7f800000, v8
	s_delay_alu instid0(VALU_DEP_1)
	v_cmp_ne_u32_e64 s7, 0x7f800000, v5
                                        ; implicit-def: $vgpr5
	s_and_saveexec_b32 s11, s7
	s_wait_alu 0xfffe
	s_xor_b32 s7, exec_lo, s11
; %bb.673:
	v_bfe_u32 v5, v8, 16, 1
	s_delay_alu instid0(VALU_DEP_1)
	v_add3_u32 v5, v8, v5, 0x7fff
                                        ; implicit-def: $vgpr8
; %bb.674:
	s_wait_alu 0xfffe
	s_and_not1_saveexec_b32 s11, s7
; %bb.675:
	v_and_b32_e32 v5, 0xffff, v8
	v_or_b32_e32 v9, 0x10000, v8
	s_delay_alu instid0(VALU_DEP_2) | instskip(SKIP_1) | instid1(VALU_DEP_1)
	v_cmp_eq_u32_e64 s7, 0, v5
	s_wait_alu 0xf1ff
	v_cndmask_b32_e64 v5, v9, v8, s7
; %bb.676:
	s_wait_alu 0xfffe
	s_or_b32 exec_lo, exec_lo, s11
	v_cmp_lt_i32_e64 s7, -1, v4
	s_delay_alu instid0(VALU_DEP_2) | instskip(SKIP_4) | instid1(VALU_DEP_1)
	v_perm_b32 v4, v5, v4, 0x7060302
	s_and_not1_b32 s10, s10, exec_lo
	v_cndmask_b32_e64 v8, -1, 0xffff8000, s7
	v_cmp_lt_i32_e64 s7, -1, v5
	s_wait_alu 0xf1ff
	v_cndmask_b32_e64 v9, -1, 0xffff8000, s7
	s_delay_alu instid0(VALU_DEP_1) | instskip(NEXT) | instid1(VALU_DEP_1)
	v_perm_b32 v5, v9, v8, 0x5040100
	v_xor_b32_e32 v4, v5, v4
	s_delay_alu instid0(VALU_DEP_1) | instskip(NEXT) | instid1(VALU_DEP_1)
	v_lshrrev_b32_e32 v5, 16, v4
	v_cmp_le_u16_e64 s7, v4, v5
	s_and_b32 s7, s7, exec_lo
	s_wait_alu 0xfffe
	s_or_b32 s10, s10, s7
.LBB2064_677:
	s_wait_alu 0xfffe
	s_or_b32 exec_lo, exec_lo, s8
	v_cndmask_b32_e64 v4, v29, v28, s10
	v_cndmask_b32_e64 v5, v52, v36, s10
	s_mov_b32 s11, -1
	s_mov_b32 s8, -1
	s_mov_b32 s12, exec_lo
	v_add_nc_u32_e32 v8, 1, v4
	v_add_nc_u32_e32 v5, -1, v5
	v_lshl_add_u32 v4, v4, 3, v13
	s_delay_alu instid0(VALU_DEP_3) | instskip(NEXT) | instid1(VALU_DEP_3)
	v_cndmask_b32_e64 v15, v8, v29, s10
	v_min_u32_e32 v5, v8, v5
	v_cndmask_b32_e64 v16, v28, v8, s10
	s_delay_alu instid0(VALU_DEP_2)
	v_lshl_add_u32 v5, v5, 1, v10
	ds_load_u16 v9, v5
	ds_load_b64 v[4:5], v4 offset:4096
	s_wait_dscnt 0x1
	v_cndmask_b32_e64 v28, v9, v27, s10
	v_cndmask_b32_e64 v29, v14, v9, s10
	v_cmpx_lt_u32_e64 v15, v52
	s_cbranch_execz .LBB2064_689
; %bb.678:
	s_mov_b32 s13, 0
	s_mov_b32 s8, exec_lo
	v_cmpx_lt_u32_e64 v16, v36
	s_cbranch_execz .LBB2064_688
; %bb.679:
	v_lshlrev_b32_e32 v8, 16, v29
	s_delay_alu instid0(VALU_DEP_1) | instskip(NEXT) | instid1(VALU_DEP_1)
	v_add_f32_e32 v9, 0, v8
	v_and_b32_e32 v8, 0x7f800000, v9
	s_delay_alu instid0(VALU_DEP_1)
	v_cmp_ne_u32_e64 s7, 0x7f800000, v8
                                        ; implicit-def: $vgpr8
	s_and_saveexec_b32 s13, s7
	s_wait_alu 0xfffe
	s_xor_b32 s7, exec_lo, s13
; %bb.680:
	v_bfe_u32 v8, v9, 16, 1
	s_delay_alu instid0(VALU_DEP_1)
	v_add3_u32 v8, v9, v8, 0x7fff
                                        ; implicit-def: $vgpr9
; %bb.681:
	s_wait_alu 0xfffe
	s_and_not1_saveexec_b32 s13, s7
; %bb.682:
	v_and_b32_e32 v8, 0xffff, v9
	v_or_b32_e32 v17, 0x10000, v9
	s_delay_alu instid0(VALU_DEP_2) | instskip(SKIP_1) | instid1(VALU_DEP_1)
	v_cmp_eq_u32_e64 s7, 0, v8
	s_wait_alu 0xf1ff
	v_cndmask_b32_e64 v8, v17, v9, s7
; %bb.683:
	s_wait_alu 0xfffe
	s_or_b32 exec_lo, exec_lo, s13
	v_lshlrev_b32_e32 v9, 16, v28
	s_delay_alu instid0(VALU_DEP_1) | instskip(NEXT) | instid1(VALU_DEP_1)
	v_add_f32_e32 v17, 0, v9
	v_and_b32_e32 v9, 0x7f800000, v17
	s_delay_alu instid0(VALU_DEP_1)
	v_cmp_ne_u32_e64 s7, 0x7f800000, v9
                                        ; implicit-def: $vgpr9
	s_and_saveexec_b32 s13, s7
	s_wait_alu 0xfffe
	s_xor_b32 s7, exec_lo, s13
; %bb.684:
	v_bfe_u32 v9, v17, 16, 1
	s_delay_alu instid0(VALU_DEP_1)
	v_add3_u32 v9, v17, v9, 0x7fff
                                        ; implicit-def: $vgpr17
; %bb.685:
	s_wait_alu 0xfffe
	s_and_not1_saveexec_b32 s13, s7
; %bb.686:
	v_and_b32_e32 v9, 0xffff, v17
	v_or_b32_e32 v18, 0x10000, v17
	s_delay_alu instid0(VALU_DEP_2) | instskip(SKIP_1) | instid1(VALU_DEP_1)
	v_cmp_eq_u32_e64 s7, 0, v9
	s_wait_alu 0xf1ff
	v_cndmask_b32_e64 v9, v18, v17, s7
; %bb.687:
	s_wait_alu 0xfffe
	s_or_b32 exec_lo, exec_lo, s13
	v_cmp_lt_i32_e64 s7, -1, v8
	s_delay_alu instid0(VALU_DEP_2) | instskip(SKIP_1) | instid1(VALU_DEP_2)
	v_perm_b32 v8, v9, v8, 0x7060302
	s_wait_alu 0xf1ff
	v_cndmask_b32_e64 v17, -1, 0xffff8000, s7
	v_cmp_lt_i32_e64 s7, -1, v9
	s_wait_alu 0xf1ff
	s_delay_alu instid0(VALU_DEP_1) | instskip(NEXT) | instid1(VALU_DEP_1)
	v_cndmask_b32_e64 v18, -1, 0xffff8000, s7
	v_perm_b32 v9, v18, v17, 0x5040100
	s_delay_alu instid0(VALU_DEP_1) | instskip(NEXT) | instid1(VALU_DEP_1)
	v_xor_b32_e32 v8, v9, v8
	v_lshrrev_b32_e32 v9, 16, v8
	s_delay_alu instid0(VALU_DEP_1)
	v_cmp_le_u16_e64 s7, v8, v9
	s_and_b32 s13, s7, exec_lo
.LBB2064_688:
	s_wait_alu 0xfffe
	s_or_b32 exec_lo, exec_lo, s8
	s_delay_alu instid0(SALU_CYCLE_1)
	s_or_not1_b32 s8, s13, exec_lo
.LBB2064_689:
	s_wait_alu 0xfffe
	s_or_b32 exec_lo, exec_lo, s12
	v_cndmask_b32_e64 v8, v15, v16, s8
	v_cndmask_b32_e64 v9, v52, v36, s8
	s_mov_b32 s12, exec_lo
	s_delay_alu instid0(VALU_DEP_2) | instskip(NEXT) | instid1(VALU_DEP_2)
	v_add_nc_u32_e32 v18, 1, v8
	v_add_nc_u32_e32 v9, -1, v9
	v_lshl_add_u32 v8, v8, 3, v13
	s_delay_alu instid0(VALU_DEP_3) | instskip(NEXT) | instid1(VALU_DEP_3)
	v_cndmask_b32_e64 v17, v18, v15, s8
	v_min_u32_e32 v9, v18, v9
	v_cndmask_b32_e64 v18, v16, v18, s8
	s_delay_alu instid0(VALU_DEP_2)
	v_lshl_add_u32 v9, v9, 1, v10
	ds_load_u16 v19, v9
	ds_load_b64 v[8:9], v8 offset:4096
	s_wait_dscnt 0x1
	v_cndmask_b32_e64 v30, v19, v28, s8
	v_cndmask_b32_e64 v31, v29, v19, s8
	v_cmpx_lt_u32_e64 v17, v52
	s_cbranch_execz .LBB2064_701
; %bb.690:
	s_mov_b32 s13, 0
	s_mov_b32 s11, exec_lo
	v_cmpx_lt_u32_e64 v18, v36
	s_cbranch_execz .LBB2064_700
; %bb.691:
	v_lshlrev_b32_e32 v15, 16, v31
	s_delay_alu instid0(VALU_DEP_1) | instskip(NEXT) | instid1(VALU_DEP_1)
	v_add_f32_e32 v16, 0, v15
	v_and_b32_e32 v15, 0x7f800000, v16
	s_delay_alu instid0(VALU_DEP_1)
	v_cmp_ne_u32_e64 s7, 0x7f800000, v15
                                        ; implicit-def: $vgpr15
	s_and_saveexec_b32 s13, s7
	s_wait_alu 0xfffe
	s_xor_b32 s7, exec_lo, s13
; %bb.692:
	v_bfe_u32 v15, v16, 16, 1
	s_delay_alu instid0(VALU_DEP_1)
	v_add3_u32 v15, v16, v15, 0x7fff
                                        ; implicit-def: $vgpr16
; %bb.693:
	s_wait_alu 0xfffe
	s_and_not1_saveexec_b32 s13, s7
; %bb.694:
	v_and_b32_e32 v15, 0xffff, v16
	v_or_b32_e32 v19, 0x10000, v16
	s_delay_alu instid0(VALU_DEP_2) | instskip(SKIP_1) | instid1(VALU_DEP_1)
	v_cmp_eq_u32_e64 s7, 0, v15
	s_wait_alu 0xf1ff
	v_cndmask_b32_e64 v15, v19, v16, s7
; %bb.695:
	s_wait_alu 0xfffe
	s_or_b32 exec_lo, exec_lo, s13
	v_lshlrev_b32_e32 v16, 16, v30
	s_delay_alu instid0(VALU_DEP_1) | instskip(NEXT) | instid1(VALU_DEP_1)
	v_add_f32_e32 v19, 0, v16
	v_and_b32_e32 v16, 0x7f800000, v19
	s_delay_alu instid0(VALU_DEP_1)
	v_cmp_ne_u32_e64 s7, 0x7f800000, v16
                                        ; implicit-def: $vgpr16
	s_and_saveexec_b32 s13, s7
	s_wait_alu 0xfffe
	s_xor_b32 s7, exec_lo, s13
; %bb.696:
	v_bfe_u32 v16, v19, 16, 1
	s_delay_alu instid0(VALU_DEP_1)
	v_add3_u32 v16, v19, v16, 0x7fff
                                        ; implicit-def: $vgpr19
; %bb.697:
	s_wait_alu 0xfffe
	s_and_not1_saveexec_b32 s13, s7
; %bb.698:
	v_and_b32_e32 v16, 0xffff, v19
	v_or_b32_e32 v20, 0x10000, v19
	s_delay_alu instid0(VALU_DEP_2) | instskip(SKIP_1) | instid1(VALU_DEP_1)
	v_cmp_eq_u32_e64 s7, 0, v16
	s_wait_alu 0xf1ff
	v_cndmask_b32_e64 v16, v20, v19, s7
; %bb.699:
	s_wait_alu 0xfffe
	s_or_b32 exec_lo, exec_lo, s13
	v_cmp_lt_i32_e64 s7, -1, v15
	s_delay_alu instid0(VALU_DEP_2) | instskip(SKIP_1) | instid1(VALU_DEP_2)
	v_perm_b32 v15, v16, v15, 0x7060302
	s_wait_alu 0xf1ff
	v_cndmask_b32_e64 v19, -1, 0xffff8000, s7
	v_cmp_lt_i32_e64 s7, -1, v16
	s_wait_alu 0xf1ff
	s_delay_alu instid0(VALU_DEP_1) | instskip(NEXT) | instid1(VALU_DEP_1)
	v_cndmask_b32_e64 v20, -1, 0xffff8000, s7
	v_perm_b32 v16, v20, v19, 0x5040100
	s_delay_alu instid0(VALU_DEP_1) | instskip(NEXT) | instid1(VALU_DEP_1)
	v_xor_b32_e32 v15, v16, v15
	v_lshrrev_b32_e32 v16, 16, v15
	s_delay_alu instid0(VALU_DEP_1)
	v_cmp_le_u16_e64 s7, v15, v16
	s_and_b32 s13, s7, exec_lo
.LBB2064_700:
	s_wait_alu 0xfffe
	s_or_b32 exec_lo, exec_lo, s11
	s_delay_alu instid0(SALU_CYCLE_1)
	s_or_not1_b32 s11, s13, exec_lo
.LBB2064_701:
	s_wait_alu 0xfffe
	s_or_b32 exec_lo, exec_lo, s12
	v_cndmask_b32_e64 v15, v17, v18, s11
	v_cndmask_b32_e64 v16, v52, v36, s11
	s_mov_b32 s13, -1
	s_mov_b32 s12, -1
	s_mov_b32 s14, exec_lo
	v_add_nc_u32_e32 v20, 1, v15
	v_add_nc_u32_e32 v16, -1, v16
	v_lshl_add_u32 v15, v15, 3, v13
	s_delay_alu instid0(VALU_DEP_3) | instskip(NEXT) | instid1(VALU_DEP_3)
	v_cndmask_b32_e64 v19, v20, v17, s11
	v_min_u32_e32 v16, v20, v16
	v_cndmask_b32_e64 v20, v18, v20, s11
	s_delay_alu instid0(VALU_DEP_2)
	v_lshl_add_u32 v16, v16, 1, v10
	ds_load_u16 v21, v16
	ds_load_b64 v[15:16], v15 offset:4096
	s_wait_dscnt 0x1
	v_cndmask_b32_e64 v32, v21, v30, s11
	v_cndmask_b32_e64 v35, v31, v21, s11
	v_cmpx_lt_u32_e64 v19, v52
	s_cbranch_execz .LBB2064_713
; %bb.702:
	s_mov_b32 s15, 0
	s_mov_b32 s12, exec_lo
	v_cmpx_lt_u32_e64 v20, v36
	s_cbranch_execz .LBB2064_712
; %bb.703:
	v_lshlrev_b32_e32 v17, 16, v35
	s_delay_alu instid0(VALU_DEP_1) | instskip(NEXT) | instid1(VALU_DEP_1)
	v_add_f32_e32 v18, 0, v17
	v_and_b32_e32 v17, 0x7f800000, v18
	s_delay_alu instid0(VALU_DEP_1)
	v_cmp_ne_u32_e64 s7, 0x7f800000, v17
                                        ; implicit-def: $vgpr17
	s_and_saveexec_b32 s15, s7
	s_wait_alu 0xfffe
	s_xor_b32 s7, exec_lo, s15
; %bb.704:
	v_bfe_u32 v17, v18, 16, 1
	s_delay_alu instid0(VALU_DEP_1)
	v_add3_u32 v17, v18, v17, 0x7fff
                                        ; implicit-def: $vgpr18
; %bb.705:
	s_wait_alu 0xfffe
	s_and_not1_saveexec_b32 s15, s7
; %bb.706:
	v_and_b32_e32 v17, 0xffff, v18
	v_or_b32_e32 v21, 0x10000, v18
	s_delay_alu instid0(VALU_DEP_2) | instskip(SKIP_1) | instid1(VALU_DEP_1)
	v_cmp_eq_u32_e64 s7, 0, v17
	s_wait_alu 0xf1ff
	v_cndmask_b32_e64 v17, v21, v18, s7
; %bb.707:
	s_wait_alu 0xfffe
	s_or_b32 exec_lo, exec_lo, s15
	v_lshlrev_b32_e32 v18, 16, v32
	s_delay_alu instid0(VALU_DEP_1) | instskip(NEXT) | instid1(VALU_DEP_1)
	v_add_f32_e32 v21, 0, v18
	v_and_b32_e32 v18, 0x7f800000, v21
	s_delay_alu instid0(VALU_DEP_1)
	v_cmp_ne_u32_e64 s7, 0x7f800000, v18
                                        ; implicit-def: $vgpr18
	s_and_saveexec_b32 s15, s7
	s_wait_alu 0xfffe
	s_xor_b32 s7, exec_lo, s15
; %bb.708:
	v_bfe_u32 v18, v21, 16, 1
	s_delay_alu instid0(VALU_DEP_1)
	v_add3_u32 v18, v21, v18, 0x7fff
                                        ; implicit-def: $vgpr21
; %bb.709:
	s_wait_alu 0xfffe
	s_and_not1_saveexec_b32 s15, s7
; %bb.710:
	v_and_b32_e32 v18, 0xffff, v21
	v_or_b32_e32 v22, 0x10000, v21
	s_delay_alu instid0(VALU_DEP_2) | instskip(SKIP_1) | instid1(VALU_DEP_1)
	v_cmp_eq_u32_e64 s7, 0, v18
	s_wait_alu 0xf1ff
	v_cndmask_b32_e64 v18, v22, v21, s7
; %bb.711:
	s_wait_alu 0xfffe
	s_or_b32 exec_lo, exec_lo, s15
	v_cmp_lt_i32_e64 s7, -1, v17
	s_delay_alu instid0(VALU_DEP_2) | instskip(SKIP_1) | instid1(VALU_DEP_2)
	v_perm_b32 v17, v18, v17, 0x7060302
	s_wait_alu 0xf1ff
	v_cndmask_b32_e64 v21, -1, 0xffff8000, s7
	v_cmp_lt_i32_e64 s7, -1, v18
	s_wait_alu 0xf1ff
	s_delay_alu instid0(VALU_DEP_1) | instskip(NEXT) | instid1(VALU_DEP_1)
	v_cndmask_b32_e64 v22, -1, 0xffff8000, s7
	v_perm_b32 v18, v22, v21, 0x5040100
	s_delay_alu instid0(VALU_DEP_1) | instskip(NEXT) | instid1(VALU_DEP_1)
	v_xor_b32_e32 v17, v18, v17
	v_lshrrev_b32_e32 v18, 16, v17
	s_delay_alu instid0(VALU_DEP_1)
	v_cmp_le_u16_e64 s7, v17, v18
	s_and_b32 s15, s7, exec_lo
.LBB2064_712:
	s_wait_alu 0xfffe
	s_or_b32 exec_lo, exec_lo, s12
	s_delay_alu instid0(SALU_CYCLE_1)
	s_or_not1_b32 s12, s15, exec_lo
.LBB2064_713:
	s_wait_alu 0xfffe
	s_or_b32 exec_lo, exec_lo, s14
	v_cndmask_b32_e64 v17, v19, v20, s12
	v_cndmask_b32_e64 v18, v52, v36, s12
	s_mov_b32 s14, exec_lo
	s_delay_alu instid0(VALU_DEP_2) | instskip(NEXT) | instid1(VALU_DEP_2)
	v_add_nc_u32_e32 v22, 1, v17
	v_add_nc_u32_e32 v18, -1, v18
	v_lshl_add_u32 v17, v17, 3, v13
	s_delay_alu instid0(VALU_DEP_3) | instskip(NEXT) | instid1(VALU_DEP_3)
	v_cndmask_b32_e64 v21, v22, v19, s12
	v_min_u32_e32 v18, v22, v18
	v_cndmask_b32_e64 v22, v20, v22, s12
	s_delay_alu instid0(VALU_DEP_2)
	v_lshl_add_u32 v18, v18, 1, v10
	ds_load_u16 v23, v18
	ds_load_b64 v[17:18], v17 offset:4096
	s_wait_dscnt 0x1
	v_cndmask_b32_e64 v37, v23, v32, s12
	v_cndmask_b32_e64 v38, v35, v23, s12
	v_cmpx_lt_u32_e64 v21, v52
	s_cbranch_execz .LBB2064_725
; %bb.714:
	s_mov_b32 s15, 0
	s_mov_b32 s13, exec_lo
	v_cmpx_lt_u32_e64 v22, v36
	s_cbranch_execz .LBB2064_724
; %bb.715:
	v_lshlrev_b32_e32 v19, 16, v38
	s_delay_alu instid0(VALU_DEP_1) | instskip(NEXT) | instid1(VALU_DEP_1)
	v_add_f32_e32 v20, 0, v19
	v_and_b32_e32 v19, 0x7f800000, v20
	s_delay_alu instid0(VALU_DEP_1)
	v_cmp_ne_u32_e64 s7, 0x7f800000, v19
                                        ; implicit-def: $vgpr19
	s_and_saveexec_b32 s15, s7
	s_wait_alu 0xfffe
	s_xor_b32 s7, exec_lo, s15
; %bb.716:
	v_bfe_u32 v19, v20, 16, 1
	s_delay_alu instid0(VALU_DEP_1)
	v_add3_u32 v19, v20, v19, 0x7fff
                                        ; implicit-def: $vgpr20
; %bb.717:
	s_wait_alu 0xfffe
	s_and_not1_saveexec_b32 s15, s7
; %bb.718:
	v_and_b32_e32 v19, 0xffff, v20
	v_or_b32_e32 v23, 0x10000, v20
	s_delay_alu instid0(VALU_DEP_2) | instskip(SKIP_1) | instid1(VALU_DEP_1)
	v_cmp_eq_u32_e64 s7, 0, v19
	s_wait_alu 0xf1ff
	v_cndmask_b32_e64 v19, v23, v20, s7
; %bb.719:
	s_wait_alu 0xfffe
	s_or_b32 exec_lo, exec_lo, s15
	v_lshlrev_b32_e32 v20, 16, v37
	s_delay_alu instid0(VALU_DEP_1) | instskip(NEXT) | instid1(VALU_DEP_1)
	v_add_f32_e32 v23, 0, v20
	v_and_b32_e32 v20, 0x7f800000, v23
	s_delay_alu instid0(VALU_DEP_1)
	v_cmp_ne_u32_e64 s7, 0x7f800000, v20
                                        ; implicit-def: $vgpr20
	s_and_saveexec_b32 s15, s7
	s_wait_alu 0xfffe
	s_xor_b32 s7, exec_lo, s15
; %bb.720:
	v_bfe_u32 v20, v23, 16, 1
	s_delay_alu instid0(VALU_DEP_1)
	v_add3_u32 v20, v23, v20, 0x7fff
                                        ; implicit-def: $vgpr23
; %bb.721:
	s_wait_alu 0xfffe
	s_and_not1_saveexec_b32 s15, s7
; %bb.722:
	v_and_b32_e32 v20, 0xffff, v23
	v_or_b32_e32 v24, 0x10000, v23
	s_delay_alu instid0(VALU_DEP_2) | instskip(SKIP_1) | instid1(VALU_DEP_1)
	v_cmp_eq_u32_e64 s7, 0, v20
	s_wait_alu 0xf1ff
	v_cndmask_b32_e64 v20, v24, v23, s7
; %bb.723:
	s_wait_alu 0xfffe
	s_or_b32 exec_lo, exec_lo, s15
	v_cmp_lt_i32_e64 s7, -1, v19
	s_delay_alu instid0(VALU_DEP_2) | instskip(SKIP_1) | instid1(VALU_DEP_2)
	v_perm_b32 v19, v20, v19, 0x7060302
	s_wait_alu 0xf1ff
	v_cndmask_b32_e64 v23, -1, 0xffff8000, s7
	v_cmp_lt_i32_e64 s7, -1, v20
	s_wait_alu 0xf1ff
	s_delay_alu instid0(VALU_DEP_1) | instskip(NEXT) | instid1(VALU_DEP_1)
	v_cndmask_b32_e64 v24, -1, 0xffff8000, s7
	v_perm_b32 v20, v24, v23, 0x5040100
	s_delay_alu instid0(VALU_DEP_1) | instskip(NEXT) | instid1(VALU_DEP_1)
	v_xor_b32_e32 v19, v20, v19
	v_lshrrev_b32_e32 v20, 16, v19
	s_delay_alu instid0(VALU_DEP_1)
	v_cmp_le_u16_e64 s7, v19, v20
	s_and_b32 s15, s7, exec_lo
.LBB2064_724:
	s_wait_alu 0xfffe
	s_or_b32 exec_lo, exec_lo, s13
	s_delay_alu instid0(SALU_CYCLE_1)
	s_or_not1_b32 s13, s15, exec_lo
.LBB2064_725:
	s_wait_alu 0xfffe
	s_or_b32 exec_lo, exec_lo, s14
	v_cndmask_b32_e64 v19, v21, v22, s13
	v_cndmask_b32_e64 v20, v52, v36, s13
	s_mov_b32 s15, -1
	s_mov_b32 s14, -1
	s_mov_b32 s16, exec_lo
	v_add_nc_u32_e32 v23, 1, v19
	v_add_nc_u32_e32 v20, -1, v20
	v_lshl_add_u32 v19, v19, 3, v13
	s_delay_alu instid0(VALU_DEP_3) | instskip(NEXT) | instid1(VALU_DEP_3)
	v_cndmask_b32_e64 v21, v23, v21, s13
	v_min_u32_e32 v20, v23, v20
	v_cndmask_b32_e64 v22, v22, v23, s13
	s_delay_alu instid0(VALU_DEP_2)
	v_lshl_add_u32 v20, v20, 1, v10
	ds_load_u16 v24, v20
	ds_load_b64 v[19:20], v19 offset:4096
	s_wait_dscnt 0x1
	v_cndmask_b32_e64 v39, v24, v37, s13
	v_cndmask_b32_e64 v48, v38, v24, s13
	v_cmpx_lt_u32_e64 v21, v52
	s_cbranch_execz .LBB2064_737
; %bb.726:
	s_mov_b32 s17, 0
	s_mov_b32 s14, exec_lo
	v_cmpx_lt_u32_e64 v22, v36
	s_cbranch_execz .LBB2064_736
; %bb.727:
	v_lshlrev_b32_e32 v23, 16, v48
	s_delay_alu instid0(VALU_DEP_1) | instskip(NEXT) | instid1(VALU_DEP_1)
	v_add_f32_e32 v24, 0, v23
	v_and_b32_e32 v23, 0x7f800000, v24
	s_delay_alu instid0(VALU_DEP_1)
	v_cmp_ne_u32_e64 s7, 0x7f800000, v23
                                        ; implicit-def: $vgpr23
	s_and_saveexec_b32 s17, s7
	s_wait_alu 0xfffe
	s_xor_b32 s7, exec_lo, s17
; %bb.728:
	v_bfe_u32 v23, v24, 16, 1
	s_delay_alu instid0(VALU_DEP_1)
	v_add3_u32 v23, v24, v23, 0x7fff
                                        ; implicit-def: $vgpr24
; %bb.729:
	s_wait_alu 0xfffe
	s_and_not1_saveexec_b32 s17, s7
; %bb.730:
	v_and_b32_e32 v23, 0xffff, v24
	v_or_b32_e32 v25, 0x10000, v24
	s_delay_alu instid0(VALU_DEP_2) | instskip(SKIP_1) | instid1(VALU_DEP_1)
	v_cmp_eq_u32_e64 s7, 0, v23
	s_wait_alu 0xf1ff
	v_cndmask_b32_e64 v23, v25, v24, s7
; %bb.731:
	s_wait_alu 0xfffe
	s_or_b32 exec_lo, exec_lo, s17
	v_lshlrev_b32_e32 v24, 16, v39
	s_delay_alu instid0(VALU_DEP_1) | instskip(NEXT) | instid1(VALU_DEP_1)
	v_add_f32_e32 v25, 0, v24
	v_and_b32_e32 v24, 0x7f800000, v25
	s_delay_alu instid0(VALU_DEP_1)
	v_cmp_ne_u32_e64 s7, 0x7f800000, v24
                                        ; implicit-def: $vgpr24
	s_and_saveexec_b32 s17, s7
	s_wait_alu 0xfffe
	s_xor_b32 s7, exec_lo, s17
; %bb.732:
	v_bfe_u32 v24, v25, 16, 1
	s_delay_alu instid0(VALU_DEP_1)
	v_add3_u32 v24, v25, v24, 0x7fff
                                        ; implicit-def: $vgpr25
; %bb.733:
	s_wait_alu 0xfffe
	s_and_not1_saveexec_b32 s17, s7
; %bb.734:
	v_and_b32_e32 v24, 0xffff, v25
	v_or_b32_e32 v26, 0x10000, v25
	s_delay_alu instid0(VALU_DEP_2) | instskip(SKIP_1) | instid1(VALU_DEP_1)
	v_cmp_eq_u32_e64 s7, 0, v24
	s_wait_alu 0xf1ff
	v_cndmask_b32_e64 v24, v26, v25, s7
; %bb.735:
	s_wait_alu 0xfffe
	s_or_b32 exec_lo, exec_lo, s17
	v_cmp_lt_i32_e64 s7, -1, v23
	s_delay_alu instid0(VALU_DEP_2) | instskip(SKIP_1) | instid1(VALU_DEP_2)
	v_perm_b32 v23, v24, v23, 0x7060302
	s_wait_alu 0xf1ff
	v_cndmask_b32_e64 v25, -1, 0xffff8000, s7
	v_cmp_lt_i32_e64 s7, -1, v24
	s_wait_alu 0xf1ff
	s_delay_alu instid0(VALU_DEP_1) | instskip(NEXT) | instid1(VALU_DEP_1)
	v_cndmask_b32_e64 v26, -1, 0xffff8000, s7
	v_perm_b32 v24, v26, v25, 0x5040100
	s_delay_alu instid0(VALU_DEP_1) | instskip(NEXT) | instid1(VALU_DEP_1)
	v_xor_b32_e32 v23, v24, v23
	v_lshrrev_b32_e32 v24, 16, v23
	s_delay_alu instid0(VALU_DEP_1)
	v_cmp_le_u16_e64 s7, v23, v24
	s_and_b32 s17, s7, exec_lo
.LBB2064_736:
	s_wait_alu 0xfffe
	s_or_b32 exec_lo, exec_lo, s14
	s_delay_alu instid0(SALU_CYCLE_1)
	s_or_not1_b32 s14, s17, exec_lo
.LBB2064_737:
	s_wait_alu 0xfffe
	s_or_b32 exec_lo, exec_lo, s16
	v_cndmask_b32_e64 v23, v21, v22, s14
	v_cndmask_b32_e64 v24, v52, v36, s14
	s_mov_b32 s16, exec_lo
	s_delay_alu instid0(VALU_DEP_2) | instskip(NEXT) | instid1(VALU_DEP_2)
	v_add_nc_u32_e32 v26, 1, v23
	v_add_nc_u32_e32 v24, -1, v24
	v_lshl_add_u32 v23, v23, 3, v13
	s_delay_alu instid0(VALU_DEP_3) | instskip(NEXT) | instid1(VALU_DEP_3)
	v_cndmask_b32_e64 v25, v26, v21, s14
	v_min_u32_e32 v24, v26, v24
	v_cndmask_b32_e64 v26, v22, v26, s14
	s_delay_alu instid0(VALU_DEP_2)
	v_lshl_add_u32 v24, v24, 1, v10
	ds_load_u16 v50, v24
	ds_load_b64 v[23:24], v23 offset:4096
	s_wait_dscnt 0x1
	v_cndmask_b32_e64 v49, v50, v39, s14
	v_cndmask_b32_e64 v50, v48, v50, s14
	v_cmpx_lt_u32_e64 v25, v52
	s_cbranch_execz .LBB2064_749
; %bb.738:
	s_mov_b32 s17, 0
	s_mov_b32 s15, exec_lo
	v_cmpx_lt_u32_e64 v26, v36
	s_cbranch_execz .LBB2064_748
; %bb.739:
	v_lshlrev_b32_e32 v21, 16, v50
	s_delay_alu instid0(VALU_DEP_1) | instskip(NEXT) | instid1(VALU_DEP_1)
	v_add_f32_e32 v22, 0, v21
	v_and_b32_e32 v21, 0x7f800000, v22
	s_delay_alu instid0(VALU_DEP_1)
	v_cmp_ne_u32_e64 s7, 0x7f800000, v21
                                        ; implicit-def: $vgpr21
	s_and_saveexec_b32 s17, s7
	s_wait_alu 0xfffe
	s_xor_b32 s7, exec_lo, s17
; %bb.740:
	v_bfe_u32 v21, v22, 16, 1
	s_delay_alu instid0(VALU_DEP_1)
	v_add3_u32 v21, v22, v21, 0x7fff
                                        ; implicit-def: $vgpr22
; %bb.741:
	s_wait_alu 0xfffe
	s_and_not1_saveexec_b32 s17, s7
; %bb.742:
	v_and_b32_e32 v21, 0xffff, v22
	v_or_b32_e32 v51, 0x10000, v22
	s_delay_alu instid0(VALU_DEP_2) | instskip(SKIP_1) | instid1(VALU_DEP_1)
	v_cmp_eq_u32_e64 s7, 0, v21
	s_wait_alu 0xf1ff
	v_cndmask_b32_e64 v21, v51, v22, s7
; %bb.743:
	s_wait_alu 0xfffe
	s_or_b32 exec_lo, exec_lo, s17
	v_lshlrev_b32_e32 v22, 16, v49
	s_delay_alu instid0(VALU_DEP_1) | instskip(NEXT) | instid1(VALU_DEP_1)
	v_add_f32_e32 v51, 0, v22
	v_and_b32_e32 v22, 0x7f800000, v51
	s_delay_alu instid0(VALU_DEP_1)
	v_cmp_ne_u32_e64 s7, 0x7f800000, v22
                                        ; implicit-def: $vgpr22
	s_and_saveexec_b32 s17, s7
	s_wait_alu 0xfffe
	s_xor_b32 s7, exec_lo, s17
; %bb.744:
	v_bfe_u32 v22, v51, 16, 1
	s_delay_alu instid0(VALU_DEP_1)
	v_add3_u32 v22, v51, v22, 0x7fff
                                        ; implicit-def: $vgpr51
; %bb.745:
	s_wait_alu 0xfffe
	s_and_not1_saveexec_b32 s17, s7
; %bb.746:
	v_and_b32_e32 v22, 0xffff, v51
	v_or_b32_e32 v53, 0x10000, v51
	s_delay_alu instid0(VALU_DEP_2) | instskip(SKIP_1) | instid1(VALU_DEP_1)
	v_cmp_eq_u32_e64 s7, 0, v22
	s_wait_alu 0xf1ff
	v_cndmask_b32_e64 v22, v53, v51, s7
; %bb.747:
	s_wait_alu 0xfffe
	s_or_b32 exec_lo, exec_lo, s17
	v_cmp_lt_i32_e64 s7, -1, v21
	s_delay_alu instid0(VALU_DEP_2) | instskip(SKIP_1) | instid1(VALU_DEP_2)
	v_perm_b32 v21, v22, v21, 0x7060302
	s_wait_alu 0xf1ff
	v_cndmask_b32_e64 v51, -1, 0xffff8000, s7
	v_cmp_lt_i32_e64 s7, -1, v22
	s_wait_alu 0xf1ff
	s_delay_alu instid0(VALU_DEP_1) | instskip(NEXT) | instid1(VALU_DEP_1)
	v_cndmask_b32_e64 v53, -1, 0xffff8000, s7
	v_perm_b32 v22, v53, v51, 0x5040100
	s_delay_alu instid0(VALU_DEP_1) | instskip(NEXT) | instid1(VALU_DEP_1)
	v_xor_b32_e32 v21, v22, v21
	v_lshrrev_b32_e32 v22, 16, v21
	s_delay_alu instid0(VALU_DEP_1)
	v_cmp_le_u16_e64 s7, v21, v22
	s_and_b32 s17, s7, exec_lo
.LBB2064_748:
	s_wait_alu 0xfffe
	s_or_b32 exec_lo, exec_lo, s15
	s_delay_alu instid0(SALU_CYCLE_1)
	s_or_not1_b32 s15, s17, exec_lo
.LBB2064_749:
	s_wait_alu 0xfffe
	s_or_b32 exec_lo, exec_lo, s16
	v_cndmask_b32_e64 v21, v25, v26, s15
	v_cndmask_b32_e64 v22, v52, v36, s15
	s_mov_b32 s17, -1
	s_mov_b32 s16, exec_lo
	s_delay_alu instid0(VALU_DEP_2) | instskip(NEXT) | instid1(VALU_DEP_2)
	v_add_nc_u32_e32 v51, 1, v21
	v_add_nc_u32_e32 v22, -1, v22
	s_delay_alu instid0(VALU_DEP_2) | instskip(NEXT) | instid1(VALU_DEP_2)
	v_cndmask_b32_e64 v25, v51, v25, s15
	v_min_u32_e32 v22, v51, v22
	v_cndmask_b32_e64 v26, v26, v51, s15
	s_delay_alu instid0(VALU_DEP_2)
	v_lshl_add_u32 v10, v22, 1, v10
	ds_load_u16 v53, v10
	v_lshl_add_u32 v10, v21, 3, v13
	ds_load_b64 v[21:22], v10 offset:4096
	s_wait_dscnt 0x1
	v_cndmask_b32_e64 v10, v53, v49, s15
	v_cndmask_b32_e64 v53, v50, v53, s15
	v_cmpx_lt_u32_e64 v25, v52
	s_cbranch_execz .LBB2064_761
; %bb.750:
	s_mov_b32 s18, 0
	s_mov_b32 s17, exec_lo
	v_cmpx_lt_u32_e64 v26, v36
	s_cbranch_execz .LBB2064_760
; %bb.751:
	v_lshlrev_b32_e32 v36, 16, v53
	s_delay_alu instid0(VALU_DEP_1) | instskip(NEXT) | instid1(VALU_DEP_1)
	v_add_f32_e32 v51, 0, v36
	v_and_b32_e32 v36, 0x7f800000, v51
	s_delay_alu instid0(VALU_DEP_1)
	v_cmp_ne_u32_e64 s7, 0x7f800000, v36
                                        ; implicit-def: $vgpr36
	s_and_saveexec_b32 s18, s7
	s_wait_alu 0xfffe
	s_xor_b32 s7, exec_lo, s18
; %bb.752:
	v_bfe_u32 v36, v51, 16, 1
	s_delay_alu instid0(VALU_DEP_1)
	v_add3_u32 v36, v51, v36, 0x7fff
                                        ; implicit-def: $vgpr51
; %bb.753:
	s_wait_alu 0xfffe
	s_and_not1_saveexec_b32 s18, s7
; %bb.754:
	v_and_b32_e32 v36, 0xffff, v51
	v_or_b32_e32 v52, 0x10000, v51
	s_delay_alu instid0(VALU_DEP_2) | instskip(SKIP_1) | instid1(VALU_DEP_1)
	v_cmp_eq_u32_e64 s7, 0, v36
	s_wait_alu 0xf1ff
	v_cndmask_b32_e64 v36, v52, v51, s7
; %bb.755:
	s_wait_alu 0xfffe
	s_or_b32 exec_lo, exec_lo, s18
	v_lshlrev_b32_e32 v51, 16, v10
	s_delay_alu instid0(VALU_DEP_1) | instskip(NEXT) | instid1(VALU_DEP_1)
	v_add_f32_e32 v52, 0, v51
	v_and_b32_e32 v51, 0x7f800000, v52
	s_delay_alu instid0(VALU_DEP_1)
	v_cmp_ne_u32_e64 s7, 0x7f800000, v51
                                        ; implicit-def: $vgpr51
	s_and_saveexec_b32 s18, s7
	s_wait_alu 0xfffe
	s_xor_b32 s7, exec_lo, s18
; %bb.756:
	v_bfe_u32 v51, v52, 16, 1
	s_delay_alu instid0(VALU_DEP_1)
	v_add3_u32 v51, v52, v51, 0x7fff
                                        ; implicit-def: $vgpr52
; %bb.757:
	s_wait_alu 0xfffe
	s_and_not1_saveexec_b32 s18, s7
; %bb.758:
	v_and_b32_e32 v51, 0xffff, v52
	v_or_b32_e32 v54, 0x10000, v52
	s_delay_alu instid0(VALU_DEP_2) | instskip(SKIP_1) | instid1(VALU_DEP_1)
	v_cmp_eq_u32_e64 s7, 0, v51
	s_wait_alu 0xf1ff
	v_cndmask_b32_e64 v51, v54, v52, s7
; %bb.759:
	s_wait_alu 0xfffe
	s_or_b32 exec_lo, exec_lo, s18
	v_cmp_lt_i32_e64 s7, -1, v36
	s_delay_alu instid0(VALU_DEP_2) | instskip(SKIP_1) | instid1(VALU_DEP_2)
	v_perm_b32 v36, v51, v36, 0x7060302
	s_wait_alu 0xf1ff
	v_cndmask_b32_e64 v52, -1, 0xffff8000, s7
	v_cmp_lt_i32_e64 s7, -1, v51
	s_wait_alu 0xf1ff
	s_delay_alu instid0(VALU_DEP_1) | instskip(NEXT) | instid1(VALU_DEP_1)
	v_cndmask_b32_e64 v54, -1, 0xffff8000, s7
	v_perm_b32 v51, v54, v52, 0x5040100
	s_delay_alu instid0(VALU_DEP_1) | instskip(NEXT) | instid1(VALU_DEP_1)
	v_xor_b32_e32 v36, v51, v36
	v_lshrrev_b32_e32 v51, 16, v36
	s_delay_alu instid0(VALU_DEP_1)
	v_cmp_le_u16_e64 s7, v36, v51
	s_and_b32 s18, s7, exec_lo
.LBB2064_760:
	s_wait_alu 0xfffe
	s_or_b32 exec_lo, exec_lo, s17
	s_delay_alu instid0(SALU_CYCLE_1)
	s_or_not1_b32 s17, s18, exec_lo
.LBB2064_761:
	s_wait_alu 0xfffe
	s_or_b32 exec_lo, exec_lo, s16
	v_cndmask_b32_e64 v25, v25, v26, s17
	v_cndmask_b32_e64 v50, v49, v50, s15
	;; [unrolled: 1-line block ×5, first 2 shown]
	v_lshl_add_u32 v13, v25, 3, v13
	v_cndmask_b32_e64 v32, v30, v31, s11
	v_cndmask_b32_e64 v48, v28, v29, s8
	;; [unrolled: 1-line block ×4, first 2 shown]
	ds_load_b64 v[25:26], v13 offset:4096
.LBB2064_762:
	s_wait_alu 0xfffe
	s_or_b32 exec_lo, exec_lo, s9
	v_add_co_u32 v2, s7, v2, v11
	s_wait_alu 0xf1ff
	v_add_co_ci_u32_e64 v3, null, v3, v12, s7
	s_delay_alu instid0(VALU_DEP_2) | instskip(SKIP_1) | instid1(VALU_DEP_2)
	v_add_co_u32 v2, s7, v2, v33
	s_wait_alu 0xf1ff
	v_add_co_ci_u32_e64 v3, null, 0, v3, s7
	; wave barrier
	s_wait_storecnt_dscnt 0x0
	s_barrier_signal -1
	s_barrier_wait -1
	global_inv scope:SCOPE_SE
	; wave barrier
	s_and_saveexec_b32 s7, vcc_lo
	s_cbranch_execnz .LBB2064_780
; %bb.763:
	s_wait_alu 0xfffe
	s_or_b32 exec_lo, exec_lo, s7
	s_and_saveexec_b32 s7, s0
	s_cbranch_execnz .LBB2064_781
.LBB2064_764:
	s_wait_alu 0xfffe
	s_or_b32 exec_lo, exec_lo, s7
	s_and_saveexec_b32 s7, s1
	s_cbranch_execnz .LBB2064_782
.LBB2064_765:
	s_wait_alu 0xfffe
	s_or_b32 exec_lo, exec_lo, s7
	s_and_saveexec_b32 s7, s2
	s_cbranch_execnz .LBB2064_783
.LBB2064_766:
	s_wait_alu 0xfffe
	s_or_b32 exec_lo, exec_lo, s7
	s_and_saveexec_b32 s7, s3
	s_cbranch_execnz .LBB2064_784
.LBB2064_767:
	s_wait_alu 0xfffe
	s_or_b32 exec_lo, exec_lo, s7
	s_and_saveexec_b32 s7, s4
	s_cbranch_execnz .LBB2064_785
.LBB2064_768:
	s_wait_alu 0xfffe
	s_or_b32 exec_lo, exec_lo, s7
	s_and_saveexec_b32 s7, s5
	s_cbranch_execnz .LBB2064_786
.LBB2064_769:
	s_wait_alu 0xfffe
	s_or_b32 exec_lo, exec_lo, s7
	s_and_saveexec_b32 s7, s6
	s_cbranch_execz .LBB2064_771
.LBB2064_770:
	flat_store_b16 v[2:3], v38 offset:14
.LBB2064_771:
	s_wait_alu 0xfffe
	s_or_b32 exec_lo, exec_lo, s7
	v_add_co_u32 v0, s7, v6, v0
	s_wait_alu 0xf1ff
	v_add_co_ci_u32_e64 v1, null, v7, v1, s7
	s_delay_alu instid0(VALU_DEP_2) | instskip(SKIP_1) | instid1(VALU_DEP_2)
	v_add_co_u32 v0, s7, v0, v34
	s_wait_alu 0xf1ff
	v_add_co_ci_u32_e64 v1, null, 0, v1, s7
	; wave barrier
	s_and_saveexec_b32 s7, vcc_lo
	s_cbranch_execnz .LBB2064_787
; %bb.772:
	s_wait_alu 0xfffe
	s_or_b32 exec_lo, exec_lo, s7
	s_and_saveexec_b32 s7, s0
	s_cbranch_execnz .LBB2064_788
.LBB2064_773:
	s_wait_alu 0xfffe
	s_or_b32 exec_lo, exec_lo, s7
	s_and_saveexec_b32 s0, s1
	s_cbranch_execnz .LBB2064_789
.LBB2064_774:
	s_wait_alu 0xfffe
	s_or_b32 exec_lo, exec_lo, s0
	s_and_saveexec_b32 s0, s2
	s_cbranch_execnz .LBB2064_790
.LBB2064_775:
	s_wait_alu 0xfffe
	s_or_b32 exec_lo, exec_lo, s0
	s_and_saveexec_b32 s0, s3
	s_cbranch_execnz .LBB2064_791
.LBB2064_776:
	s_wait_alu 0xfffe
	s_or_b32 exec_lo, exec_lo, s0
	s_and_saveexec_b32 s0, s4
	s_cbranch_execnz .LBB2064_792
.LBB2064_777:
	s_wait_alu 0xfffe
	s_or_b32 exec_lo, exec_lo, s0
	s_and_saveexec_b32 s0, s5
	s_cbranch_execnz .LBB2064_793
.LBB2064_778:
	s_wait_alu 0xfffe
	s_or_b32 exec_lo, exec_lo, s0
	s_and_saveexec_b32 s0, s6
	s_cbranch_execnz .LBB2064_794
.LBB2064_779:
	s_wait_alu 0xfffe
	s_or_b32 exec_lo, exec_lo, s0
	s_wait_loadcnt_dscnt 0x0
	s_setpc_b64 s[30:31]
.LBB2064_780:
	flat_store_b16 v[2:3], v37
	s_wait_alu 0xfffe
	s_or_b32 exec_lo, exec_lo, s7
	s_and_saveexec_b32 s7, s0
	s_cbranch_execz .LBB2064_764
.LBB2064_781:
	flat_store_b16 v[2:3], v48 offset:2
	s_wait_alu 0xfffe
	s_or_b32 exec_lo, exec_lo, s7
	s_and_saveexec_b32 s7, s1
	s_cbranch_execz .LBB2064_765
.LBB2064_782:
	flat_store_b16 v[2:3], v32 offset:4
	s_wait_alu 0xfffe
	s_or_b32 exec_lo, exec_lo, s7
	s_and_saveexec_b32 s7, s2
	s_cbranch_execz .LBB2064_766
.LBB2064_783:
	flat_store_b16 v[2:3], v51 offset:6
	s_wait_alu 0xfffe
	s_or_b32 exec_lo, exec_lo, s7
	s_and_saveexec_b32 s7, s3
	s_cbranch_execz .LBB2064_767
.LBB2064_784:
	flat_store_b16 v[2:3], v49 offset:8
	s_wait_alu 0xfffe
	s_or_b32 exec_lo, exec_lo, s7
	s_and_saveexec_b32 s7, s4
	s_cbranch_execz .LBB2064_768
.LBB2064_785:
	flat_store_b16 v[2:3], v39 offset:10
	s_wait_alu 0xfffe
	s_or_b32 exec_lo, exec_lo, s7
	s_and_saveexec_b32 s7, s5
	s_cbranch_execz .LBB2064_769
.LBB2064_786:
	flat_store_b16 v[2:3], v50 offset:12
	s_wait_alu 0xfffe
	s_or_b32 exec_lo, exec_lo, s7
	s_and_saveexec_b32 s7, s6
	s_cbranch_execnz .LBB2064_770
	s_branch .LBB2064_771
.LBB2064_787:
	flat_store_b64 v[0:1], v[4:5]
	s_wait_alu 0xfffe
	s_or_b32 exec_lo, exec_lo, s7
	s_and_saveexec_b32 s7, s0
	s_cbranch_execz .LBB2064_773
.LBB2064_788:
	flat_store_b64 v[0:1], v[8:9] offset:8
	s_wait_alu 0xfffe
	s_or_b32 exec_lo, exec_lo, s7
	s_and_saveexec_b32 s0, s1
	s_cbranch_execz .LBB2064_774
.LBB2064_789:
	flat_store_b64 v[0:1], v[15:16] offset:16
	s_wait_alu 0xfffe
	s_or_b32 exec_lo, exec_lo, s0
	s_and_saveexec_b32 s0, s2
	s_cbranch_execz .LBB2064_775
.LBB2064_790:
	flat_store_b64 v[0:1], v[17:18] offset:24
	s_wait_alu 0xfffe
	s_or_b32 exec_lo, exec_lo, s0
	s_and_saveexec_b32 s0, s3
	s_cbranch_execz .LBB2064_776
.LBB2064_791:
	flat_store_b64 v[0:1], v[19:20] offset:32
	s_wait_alu 0xfffe
	s_or_b32 exec_lo, exec_lo, s0
	s_and_saveexec_b32 s0, s4
	s_cbranch_execz .LBB2064_777
.LBB2064_792:
	flat_store_b64 v[0:1], v[23:24] offset:40
	s_wait_alu 0xfffe
	s_or_b32 exec_lo, exec_lo, s0
	s_and_saveexec_b32 s0, s5
	s_cbranch_execz .LBB2064_778
.LBB2064_793:
	flat_store_b64 v[0:1], v[21:22] offset:48
	s_wait_alu 0xfffe
	s_or_b32 exec_lo, exec_lo, s0
	s_and_saveexec_b32 s0, s6
	s_cbranch_execz .LBB2064_779
.LBB2064_794:
	flat_store_b64 v[0:1], v[25:26] offset:56
	s_wait_alu 0xfffe
	s_or_b32 exec_lo, exec_lo, s0
	s_wait_loadcnt_dscnt 0x0
	s_setpc_b64 s[30:31]
.Lfunc_end2064:
	.size	_ZN7rocprim17ROCPRIM_400000_NS6detail26segmented_warp_sort_helperINS1_20WarpSortHelperConfigILj16ELj8ELj256EEE12hip_bfloat16lLi256ELb0EvE4sortIPKS5_PS5_PKlPlEEvT_T0_T1_T2_jjjjRNS6_12storage_typeE, .Lfunc_end2064-_ZN7rocprim17ROCPRIM_400000_NS6detail26segmented_warp_sort_helperINS1_20WarpSortHelperConfigILj16ELj8ELj256EEE12hip_bfloat16lLi256ELb0EvE4sortIPKS5_PS5_PKlPlEEvT_T0_T1_T2_jjjjRNS6_12storage_typeE
                                        ; -- End function
	.set .L_ZN7rocprim17ROCPRIM_400000_NS6detail26segmented_warp_sort_helperINS1_20WarpSortHelperConfigILj16ELj8ELj256EEE12hip_bfloat16lLi256ELb0EvE4sortIPKS5_PS5_PKlPlEEvT_T0_T1_T2_jjjjRNS6_12storage_typeE.num_vgpr, 81
	.set .L_ZN7rocprim17ROCPRIM_400000_NS6detail26segmented_warp_sort_helperINS1_20WarpSortHelperConfigILj16ELj8ELj256EEE12hip_bfloat16lLi256ELb0EvE4sortIPKS5_PS5_PKlPlEEvT_T0_T1_T2_jjjjRNS6_12storage_typeE.num_agpr, 0
	.set .L_ZN7rocprim17ROCPRIM_400000_NS6detail26segmented_warp_sort_helperINS1_20WarpSortHelperConfigILj16ELj8ELj256EEE12hip_bfloat16lLi256ELb0EvE4sortIPKS5_PS5_PKlPlEEvT_T0_T1_T2_jjjjRNS6_12storage_typeE.numbered_sgpr, 32
	.set .L_ZN7rocprim17ROCPRIM_400000_NS6detail26segmented_warp_sort_helperINS1_20WarpSortHelperConfigILj16ELj8ELj256EEE12hip_bfloat16lLi256ELb0EvE4sortIPKS5_PS5_PKlPlEEvT_T0_T1_T2_jjjjRNS6_12storage_typeE.num_named_barrier, 0
	.set .L_ZN7rocprim17ROCPRIM_400000_NS6detail26segmented_warp_sort_helperINS1_20WarpSortHelperConfigILj16ELj8ELj256EEE12hip_bfloat16lLi256ELb0EvE4sortIPKS5_PS5_PKlPlEEvT_T0_T1_T2_jjjjRNS6_12storage_typeE.private_seg_size, 0
	.set .L_ZN7rocprim17ROCPRIM_400000_NS6detail26segmented_warp_sort_helperINS1_20WarpSortHelperConfigILj16ELj8ELj256EEE12hip_bfloat16lLi256ELb0EvE4sortIPKS5_PS5_PKlPlEEvT_T0_T1_T2_jjjjRNS6_12storage_typeE.uses_vcc, 1
	.set .L_ZN7rocprim17ROCPRIM_400000_NS6detail26segmented_warp_sort_helperINS1_20WarpSortHelperConfigILj16ELj8ELj256EEE12hip_bfloat16lLi256ELb0EvE4sortIPKS5_PS5_PKlPlEEvT_T0_T1_T2_jjjjRNS6_12storage_typeE.uses_flat_scratch, 0
	.set .L_ZN7rocprim17ROCPRIM_400000_NS6detail26segmented_warp_sort_helperINS1_20WarpSortHelperConfigILj16ELj8ELj256EEE12hip_bfloat16lLi256ELb0EvE4sortIPKS5_PS5_PKlPlEEvT_T0_T1_T2_jjjjRNS6_12storage_typeE.has_dyn_sized_stack, 0
	.set .L_ZN7rocprim17ROCPRIM_400000_NS6detail26segmented_warp_sort_helperINS1_20WarpSortHelperConfigILj16ELj8ELj256EEE12hip_bfloat16lLi256ELb0EvE4sortIPKS5_PS5_PKlPlEEvT_T0_T1_T2_jjjjRNS6_12storage_typeE.has_recursion, 0
	.set .L_ZN7rocprim17ROCPRIM_400000_NS6detail26segmented_warp_sort_helperINS1_20WarpSortHelperConfigILj16ELj8ELj256EEE12hip_bfloat16lLi256ELb0EvE4sortIPKS5_PS5_PKlPlEEvT_T0_T1_T2_jjjjRNS6_12storage_typeE.has_indirect_call, 0
	.section	.AMDGPU.csdata,"",@progbits
; Function info:
; codeLenInByte = 33556
; TotalNumSgprs: 34
; NumVgprs: 81
; ScratchSize: 0
; MemoryBound: 0
	.section	.text._ZN7rocprim17ROCPRIM_400000_NS6detail17trampoline_kernelINS0_14default_configENS1_36segmented_radix_sort_config_selectorI12hip_bfloat16lEEZNS1_25segmented_radix_sort_implIS3_Lb0EPKS5_PS5_PKlPlN2at6native12_GLOBAL__N_18offset_tEEE10hipError_tPvRmT1_PNSt15iterator_traitsISL_E10value_typeET2_T3_PNSM_ISR_E10value_typeET4_jRbjT5_SX_jjP12ihipStream_tbEUlT_E0_NS1_11comp_targetILNS1_3genE10ELNS1_11target_archE1201ELNS1_3gpuE5ELNS1_3repE0EEENS1_60segmented_radix_sort_warp_sort_medium_config_static_selectorELNS0_4arch9wavefront6targetE0EEEvSL_,"axG",@progbits,_ZN7rocprim17ROCPRIM_400000_NS6detail17trampoline_kernelINS0_14default_configENS1_36segmented_radix_sort_config_selectorI12hip_bfloat16lEEZNS1_25segmented_radix_sort_implIS3_Lb0EPKS5_PS5_PKlPlN2at6native12_GLOBAL__N_18offset_tEEE10hipError_tPvRmT1_PNSt15iterator_traitsISL_E10value_typeET2_T3_PNSM_ISR_E10value_typeET4_jRbjT5_SX_jjP12ihipStream_tbEUlT_E0_NS1_11comp_targetILNS1_3genE10ELNS1_11target_archE1201ELNS1_3gpuE5ELNS1_3repE0EEENS1_60segmented_radix_sort_warp_sort_medium_config_static_selectorELNS0_4arch9wavefront6targetE0EEEvSL_,comdat
	.globl	_ZN7rocprim17ROCPRIM_400000_NS6detail17trampoline_kernelINS0_14default_configENS1_36segmented_radix_sort_config_selectorI12hip_bfloat16lEEZNS1_25segmented_radix_sort_implIS3_Lb0EPKS5_PS5_PKlPlN2at6native12_GLOBAL__N_18offset_tEEE10hipError_tPvRmT1_PNSt15iterator_traitsISL_E10value_typeET2_T3_PNSM_ISR_E10value_typeET4_jRbjT5_SX_jjP12ihipStream_tbEUlT_E0_NS1_11comp_targetILNS1_3genE10ELNS1_11target_archE1201ELNS1_3gpuE5ELNS1_3repE0EEENS1_60segmented_radix_sort_warp_sort_medium_config_static_selectorELNS0_4arch9wavefront6targetE0EEEvSL_ ; -- Begin function _ZN7rocprim17ROCPRIM_400000_NS6detail17trampoline_kernelINS0_14default_configENS1_36segmented_radix_sort_config_selectorI12hip_bfloat16lEEZNS1_25segmented_radix_sort_implIS3_Lb0EPKS5_PS5_PKlPlN2at6native12_GLOBAL__N_18offset_tEEE10hipError_tPvRmT1_PNSt15iterator_traitsISL_E10value_typeET2_T3_PNSM_ISR_E10value_typeET4_jRbjT5_SX_jjP12ihipStream_tbEUlT_E0_NS1_11comp_targetILNS1_3genE10ELNS1_11target_archE1201ELNS1_3gpuE5ELNS1_3repE0EEENS1_60segmented_radix_sort_warp_sort_medium_config_static_selectorELNS0_4arch9wavefront6targetE0EEEvSL_
	.p2align	8
	.type	_ZN7rocprim17ROCPRIM_400000_NS6detail17trampoline_kernelINS0_14default_configENS1_36segmented_radix_sort_config_selectorI12hip_bfloat16lEEZNS1_25segmented_radix_sort_implIS3_Lb0EPKS5_PS5_PKlPlN2at6native12_GLOBAL__N_18offset_tEEE10hipError_tPvRmT1_PNSt15iterator_traitsISL_E10value_typeET2_T3_PNSM_ISR_E10value_typeET4_jRbjT5_SX_jjP12ihipStream_tbEUlT_E0_NS1_11comp_targetILNS1_3genE10ELNS1_11target_archE1201ELNS1_3gpuE5ELNS1_3repE0EEENS1_60segmented_radix_sort_warp_sort_medium_config_static_selectorELNS0_4arch9wavefront6targetE0EEEvSL_,@function
_ZN7rocprim17ROCPRIM_400000_NS6detail17trampoline_kernelINS0_14default_configENS1_36segmented_radix_sort_config_selectorI12hip_bfloat16lEEZNS1_25segmented_radix_sort_implIS3_Lb0EPKS5_PS5_PKlPlN2at6native12_GLOBAL__N_18offset_tEEE10hipError_tPvRmT1_PNSt15iterator_traitsISL_E10value_typeET2_T3_PNSM_ISR_E10value_typeET4_jRbjT5_SX_jjP12ihipStream_tbEUlT_E0_NS1_11comp_targetILNS1_3genE10ELNS1_11target_archE1201ELNS1_3gpuE5ELNS1_3repE0EEENS1_60segmented_radix_sort_warp_sort_medium_config_static_selectorELNS0_4arch9wavefront6targetE0EEEvSL_: ; @_ZN7rocprim17ROCPRIM_400000_NS6detail17trampoline_kernelINS0_14default_configENS1_36segmented_radix_sort_config_selectorI12hip_bfloat16lEEZNS1_25segmented_radix_sort_implIS3_Lb0EPKS5_PS5_PKlPlN2at6native12_GLOBAL__N_18offset_tEEE10hipError_tPvRmT1_PNSt15iterator_traitsISL_E10value_typeET2_T3_PNSM_ISR_E10value_typeET4_jRbjT5_SX_jjP12ihipStream_tbEUlT_E0_NS1_11comp_targetILNS1_3genE10ELNS1_11target_archE1201ELNS1_3gpuE5ELNS1_3repE0EEENS1_60segmented_radix_sort_warp_sort_medium_config_static_selectorELNS0_4arch9wavefront6targetE0EEEvSL_
; %bb.0:
	s_load_b32 s2, s[0:1], 0x64
	v_bfe_u32 v1, v0, 10, 10
	v_bfe_u32 v2, v0, 20, 10
	s_mov_b32 s32, 0
	s_wait_kmcnt 0x0
	s_lshr_b32 s3, s2, 16
	s_and_b32 s2, s2, 0xffff
	v_mad_u32_u24 v2, v2, s3, v1
	v_and_b32_e32 v1, 0x3ff, v0
	s_load_b32 s3, s[0:1], 0x34
	s_delay_alu instid0(VALU_DEP_1) | instskip(SKIP_2) | instid1(VALU_DEP_1)
	v_mad_co_u64_u32 v[1:2], null, v2, s2, v[1:2]
	s_mov_b32 s2, exec_lo
	v_lshrrev_b32_e32 v1, 4, v1
	v_lshl_add_u32 v1, ttmp9, 4, v1
	s_wait_kmcnt 0x0
	s_delay_alu instid0(VALU_DEP_1)
	v_cmpx_gt_u32_e64 s3, v1
	s_cbranch_execz .LBB2065_6
; %bb.1:
	s_clause 0x1
	s_load_b64 s[2:3], s[0:1], 0x38
	s_load_b128 s[4:7], s[0:1], 0x40
	v_mov_b32_e32 v2, 0
	s_delay_alu instid0(VALU_DEP_1) | instskip(SKIP_1) | instid1(VALU_DEP_1)
	v_lshlrev_b64_e32 v[1:2], 2, v[1:2]
	s_wait_kmcnt 0x0
	v_add_co_u32 v1, vcc_lo, s2, v1
	s_delay_alu instid0(VALU_DEP_1) | instskip(SKIP_4) | instid1(VALU_DEP_2)
	v_add_co_ci_u32_e64 v2, null, s3, v2, vcc_lo
	global_load_b32 v1, v[1:2], off
	s_wait_loadcnt 0x0
	v_add_nc_u32_e32 v2, s5, v1
	v_add_nc_u32_e32 v1, s7, v1
	v_mul_lo_u32 v40, v2, s4
	s_delay_alu instid0(VALU_DEP_2) | instskip(NEXT) | instid1(VALU_DEP_1)
	v_mul_lo_u32 v41, v1, s6
	v_cmp_gt_u32_e32 vcc_lo, v41, v40
	s_and_b32 exec_lo, exec_lo, vcc_lo
	s_cbranch_execz .LBB2065_6
; %bb.2:
	s_clause 0x2
	s_load_b32 s2, s[0:1], 0x30
	s_load_b128 s[24:27], s[0:1], 0x20
	s_load_b256 s[36:43], s[0:1], 0x0
	s_add_nc_u64 s[20:21], s[0:1], 0x58
	s_wait_kmcnt 0x0
	s_bitcmp0_b32 s2, 0
	s_mov_b32 s2, -1
	s_cbranch_scc0 .LBB2065_4
; %bb.3:
	v_dual_mov_b32 v31, v0 :: v_dual_mov_b32 v42, v0
	v_dual_mov_b32 v0, s36 :: v_dual_mov_b32 v1, s37
	;; [unrolled: 1-line block ×6, first 2 shown]
	s_getpc_b64 s[0:1]
	s_wait_alu 0xfffe
	s_sext_i32_i16 s1, s1
	s_add_co_u32 s0, s0, _ZN7rocprim17ROCPRIM_400000_NS6detail26segmented_warp_sort_helperINS1_20WarpSortHelperConfigILj16ELj8ELj256EEE12hip_bfloat16lLi256ELb0EvE4sortIPKS5_PS5_PKlPlEEvT_T0_T1_T2_jjjjRNS6_12storage_typeE@rel32@lo+12
	s_wait_alu 0xfffe
	s_add_co_ci_u32 s1, s1, _ZN7rocprim17ROCPRIM_400000_NS6detail26segmented_warp_sort_helperINS1_20WarpSortHelperConfigILj16ELj8ELj256EEE12hip_bfloat16lLi256ELb0EvE4sortIPKS5_PS5_PKlPlEEvT_T0_T1_T2_jjjjRNS6_12storage_typeE@rel32@hi+24
	s_mov_b64 s[8:9], s[20:21]
	s_wait_alu 0xfffe
	s_swappc_b64 s[30:31], s[0:1]
	v_mov_b32_e32 v0, v42
	s_mov_b32 s2, 0
.LBB2065_4:
	s_wait_alu 0xfffe
	s_and_not1_b32 vcc_lo, exec_lo, s2
	s_wait_alu 0xfffe
	s_cbranch_vccnz .LBB2065_6
; %bb.5:
	v_dual_mov_b32 v31, v0 :: v_dual_mov_b32 v0, s36
	v_dual_mov_b32 v1, s37 :: v_dual_mov_b32 v2, s40
	;; [unrolled: 1-line block ×5, first 2 shown]
	v_mov_b32_e32 v9, v41
	s_getpc_b64 s[0:1]
	s_wait_alu 0xfffe
	s_sext_i32_i16 s1, s1
	s_add_co_u32 s0, s0, _ZN7rocprim17ROCPRIM_400000_NS6detail26segmented_warp_sort_helperINS1_20WarpSortHelperConfigILj16ELj8ELj256EEE12hip_bfloat16lLi256ELb0EvE4sortIPKS5_PS5_PKlPlEEvT_T0_T1_T2_jjjjRNS6_12storage_typeE@rel32@lo+12
	s_wait_alu 0xfffe
	s_add_co_ci_u32 s1, s1, _ZN7rocprim17ROCPRIM_400000_NS6detail26segmented_warp_sort_helperINS1_20WarpSortHelperConfigILj16ELj8ELj256EEE12hip_bfloat16lLi256ELb0EvE4sortIPKS5_PS5_PKlPlEEvT_T0_T1_T2_jjjjRNS6_12storage_typeE@rel32@hi+24
	s_mov_b64 s[8:9], s[20:21]
	s_wait_alu 0xfffe
	s_swappc_b64 s[30:31], s[0:1]
.LBB2065_6:
	s_endpgm
	.section	.rodata,"a",@progbits
	.p2align	6, 0x0
	.amdhsa_kernel _ZN7rocprim17ROCPRIM_400000_NS6detail17trampoline_kernelINS0_14default_configENS1_36segmented_radix_sort_config_selectorI12hip_bfloat16lEEZNS1_25segmented_radix_sort_implIS3_Lb0EPKS5_PS5_PKlPlN2at6native12_GLOBAL__N_18offset_tEEE10hipError_tPvRmT1_PNSt15iterator_traitsISL_E10value_typeET2_T3_PNSM_ISR_E10value_typeET4_jRbjT5_SX_jjP12ihipStream_tbEUlT_E0_NS1_11comp_targetILNS1_3genE10ELNS1_11target_archE1201ELNS1_3gpuE5ELNS1_3repE0EEENS1_60segmented_radix_sort_warp_sort_medium_config_static_selectorELNS0_4arch9wavefront6targetE0EEEvSL_
		.amdhsa_group_segment_fixed_size 20480
		.amdhsa_private_segment_fixed_size 0
		.amdhsa_kernarg_size 344
		.amdhsa_user_sgpr_count 2
		.amdhsa_user_sgpr_dispatch_ptr 0
		.amdhsa_user_sgpr_queue_ptr 0
		.amdhsa_user_sgpr_kernarg_segment_ptr 1
		.amdhsa_user_sgpr_dispatch_id 0
		.amdhsa_user_sgpr_private_segment_size 0
		.amdhsa_wavefront_size32 1
		.amdhsa_uses_dynamic_stack 0
		.amdhsa_enable_private_segment 0
		.amdhsa_system_sgpr_workgroup_id_x 1
		.amdhsa_system_sgpr_workgroup_id_y 1
		.amdhsa_system_sgpr_workgroup_id_z 0
		.amdhsa_system_sgpr_workgroup_info 0
		.amdhsa_system_vgpr_workitem_id 2
		.amdhsa_next_free_vgpr 97
		.amdhsa_next_free_sgpr 44
		.amdhsa_reserve_vcc 1
		.amdhsa_float_round_mode_32 0
		.amdhsa_float_round_mode_16_64 0
		.amdhsa_float_denorm_mode_32 3
		.amdhsa_float_denorm_mode_16_64 3
		.amdhsa_fp16_overflow 0
		.amdhsa_workgroup_processor_mode 1
		.amdhsa_memory_ordered 1
		.amdhsa_forward_progress 1
		.amdhsa_inst_pref_size 4
		.amdhsa_round_robin_scheduling 0
		.amdhsa_exception_fp_ieee_invalid_op 0
		.amdhsa_exception_fp_denorm_src 0
		.amdhsa_exception_fp_ieee_div_zero 0
		.amdhsa_exception_fp_ieee_overflow 0
		.amdhsa_exception_fp_ieee_underflow 0
		.amdhsa_exception_fp_ieee_inexact 0
		.amdhsa_exception_int_div_zero 0
	.end_amdhsa_kernel
	.section	.text._ZN7rocprim17ROCPRIM_400000_NS6detail17trampoline_kernelINS0_14default_configENS1_36segmented_radix_sort_config_selectorI12hip_bfloat16lEEZNS1_25segmented_radix_sort_implIS3_Lb0EPKS5_PS5_PKlPlN2at6native12_GLOBAL__N_18offset_tEEE10hipError_tPvRmT1_PNSt15iterator_traitsISL_E10value_typeET2_T3_PNSM_ISR_E10value_typeET4_jRbjT5_SX_jjP12ihipStream_tbEUlT_E0_NS1_11comp_targetILNS1_3genE10ELNS1_11target_archE1201ELNS1_3gpuE5ELNS1_3repE0EEENS1_60segmented_radix_sort_warp_sort_medium_config_static_selectorELNS0_4arch9wavefront6targetE0EEEvSL_,"axG",@progbits,_ZN7rocprim17ROCPRIM_400000_NS6detail17trampoline_kernelINS0_14default_configENS1_36segmented_radix_sort_config_selectorI12hip_bfloat16lEEZNS1_25segmented_radix_sort_implIS3_Lb0EPKS5_PS5_PKlPlN2at6native12_GLOBAL__N_18offset_tEEE10hipError_tPvRmT1_PNSt15iterator_traitsISL_E10value_typeET2_T3_PNSM_ISR_E10value_typeET4_jRbjT5_SX_jjP12ihipStream_tbEUlT_E0_NS1_11comp_targetILNS1_3genE10ELNS1_11target_archE1201ELNS1_3gpuE5ELNS1_3repE0EEENS1_60segmented_radix_sort_warp_sort_medium_config_static_selectorELNS0_4arch9wavefront6targetE0EEEvSL_,comdat
.Lfunc_end2065:
	.size	_ZN7rocprim17ROCPRIM_400000_NS6detail17trampoline_kernelINS0_14default_configENS1_36segmented_radix_sort_config_selectorI12hip_bfloat16lEEZNS1_25segmented_radix_sort_implIS3_Lb0EPKS5_PS5_PKlPlN2at6native12_GLOBAL__N_18offset_tEEE10hipError_tPvRmT1_PNSt15iterator_traitsISL_E10value_typeET2_T3_PNSM_ISR_E10value_typeET4_jRbjT5_SX_jjP12ihipStream_tbEUlT_E0_NS1_11comp_targetILNS1_3genE10ELNS1_11target_archE1201ELNS1_3gpuE5ELNS1_3repE0EEENS1_60segmented_radix_sort_warp_sort_medium_config_static_selectorELNS0_4arch9wavefront6targetE0EEEvSL_, .Lfunc_end2065-_ZN7rocprim17ROCPRIM_400000_NS6detail17trampoline_kernelINS0_14default_configENS1_36segmented_radix_sort_config_selectorI12hip_bfloat16lEEZNS1_25segmented_radix_sort_implIS3_Lb0EPKS5_PS5_PKlPlN2at6native12_GLOBAL__N_18offset_tEEE10hipError_tPvRmT1_PNSt15iterator_traitsISL_E10value_typeET2_T3_PNSM_ISR_E10value_typeET4_jRbjT5_SX_jjP12ihipStream_tbEUlT_E0_NS1_11comp_targetILNS1_3genE10ELNS1_11target_archE1201ELNS1_3gpuE5ELNS1_3repE0EEENS1_60segmented_radix_sort_warp_sort_medium_config_static_selectorELNS0_4arch9wavefront6targetE0EEEvSL_
                                        ; -- End function
	.set _ZN7rocprim17ROCPRIM_400000_NS6detail17trampoline_kernelINS0_14default_configENS1_36segmented_radix_sort_config_selectorI12hip_bfloat16lEEZNS1_25segmented_radix_sort_implIS3_Lb0EPKS5_PS5_PKlPlN2at6native12_GLOBAL__N_18offset_tEEE10hipError_tPvRmT1_PNSt15iterator_traitsISL_E10value_typeET2_T3_PNSM_ISR_E10value_typeET4_jRbjT5_SX_jjP12ihipStream_tbEUlT_E0_NS1_11comp_targetILNS1_3genE10ELNS1_11target_archE1201ELNS1_3gpuE5ELNS1_3repE0EEENS1_60segmented_radix_sort_warp_sort_medium_config_static_selectorELNS0_4arch9wavefront6targetE0EEEvSL_.num_vgpr, max(43, .L_ZN7rocprim17ROCPRIM_400000_NS6detail26segmented_warp_sort_helperINS1_20WarpSortHelperConfigILj16ELj8ELj256EEE12hip_bfloat16lLi256ELb0EvE4sortIPKS5_PS5_PKlPlEEvT_T0_T1_T2_jjjjRNS6_12storage_typeE.num_vgpr)
	.set _ZN7rocprim17ROCPRIM_400000_NS6detail17trampoline_kernelINS0_14default_configENS1_36segmented_radix_sort_config_selectorI12hip_bfloat16lEEZNS1_25segmented_radix_sort_implIS3_Lb0EPKS5_PS5_PKlPlN2at6native12_GLOBAL__N_18offset_tEEE10hipError_tPvRmT1_PNSt15iterator_traitsISL_E10value_typeET2_T3_PNSM_ISR_E10value_typeET4_jRbjT5_SX_jjP12ihipStream_tbEUlT_E0_NS1_11comp_targetILNS1_3genE10ELNS1_11target_archE1201ELNS1_3gpuE5ELNS1_3repE0EEENS1_60segmented_radix_sort_warp_sort_medium_config_static_selectorELNS0_4arch9wavefront6targetE0EEEvSL_.num_agpr, max(0, .L_ZN7rocprim17ROCPRIM_400000_NS6detail26segmented_warp_sort_helperINS1_20WarpSortHelperConfigILj16ELj8ELj256EEE12hip_bfloat16lLi256ELb0EvE4sortIPKS5_PS5_PKlPlEEvT_T0_T1_T2_jjjjRNS6_12storage_typeE.num_agpr)
	.set _ZN7rocprim17ROCPRIM_400000_NS6detail17trampoline_kernelINS0_14default_configENS1_36segmented_radix_sort_config_selectorI12hip_bfloat16lEEZNS1_25segmented_radix_sort_implIS3_Lb0EPKS5_PS5_PKlPlN2at6native12_GLOBAL__N_18offset_tEEE10hipError_tPvRmT1_PNSt15iterator_traitsISL_E10value_typeET2_T3_PNSM_ISR_E10value_typeET4_jRbjT5_SX_jjP12ihipStream_tbEUlT_E0_NS1_11comp_targetILNS1_3genE10ELNS1_11target_archE1201ELNS1_3gpuE5ELNS1_3repE0EEENS1_60segmented_radix_sort_warp_sort_medium_config_static_selectorELNS0_4arch9wavefront6targetE0EEEvSL_.numbered_sgpr, max(44, .L_ZN7rocprim17ROCPRIM_400000_NS6detail26segmented_warp_sort_helperINS1_20WarpSortHelperConfigILj16ELj8ELj256EEE12hip_bfloat16lLi256ELb0EvE4sortIPKS5_PS5_PKlPlEEvT_T0_T1_T2_jjjjRNS6_12storage_typeE.numbered_sgpr)
	.set _ZN7rocprim17ROCPRIM_400000_NS6detail17trampoline_kernelINS0_14default_configENS1_36segmented_radix_sort_config_selectorI12hip_bfloat16lEEZNS1_25segmented_radix_sort_implIS3_Lb0EPKS5_PS5_PKlPlN2at6native12_GLOBAL__N_18offset_tEEE10hipError_tPvRmT1_PNSt15iterator_traitsISL_E10value_typeET2_T3_PNSM_ISR_E10value_typeET4_jRbjT5_SX_jjP12ihipStream_tbEUlT_E0_NS1_11comp_targetILNS1_3genE10ELNS1_11target_archE1201ELNS1_3gpuE5ELNS1_3repE0EEENS1_60segmented_radix_sort_warp_sort_medium_config_static_selectorELNS0_4arch9wavefront6targetE0EEEvSL_.num_named_barrier, max(0, .L_ZN7rocprim17ROCPRIM_400000_NS6detail26segmented_warp_sort_helperINS1_20WarpSortHelperConfigILj16ELj8ELj256EEE12hip_bfloat16lLi256ELb0EvE4sortIPKS5_PS5_PKlPlEEvT_T0_T1_T2_jjjjRNS6_12storage_typeE.num_named_barrier)
	.set _ZN7rocprim17ROCPRIM_400000_NS6detail17trampoline_kernelINS0_14default_configENS1_36segmented_radix_sort_config_selectorI12hip_bfloat16lEEZNS1_25segmented_radix_sort_implIS3_Lb0EPKS5_PS5_PKlPlN2at6native12_GLOBAL__N_18offset_tEEE10hipError_tPvRmT1_PNSt15iterator_traitsISL_E10value_typeET2_T3_PNSM_ISR_E10value_typeET4_jRbjT5_SX_jjP12ihipStream_tbEUlT_E0_NS1_11comp_targetILNS1_3genE10ELNS1_11target_archE1201ELNS1_3gpuE5ELNS1_3repE0EEENS1_60segmented_radix_sort_warp_sort_medium_config_static_selectorELNS0_4arch9wavefront6targetE0EEEvSL_.private_seg_size, 0+max(.L_ZN7rocprim17ROCPRIM_400000_NS6detail26segmented_warp_sort_helperINS1_20WarpSortHelperConfigILj16ELj8ELj256EEE12hip_bfloat16lLi256ELb0EvE4sortIPKS5_PS5_PKlPlEEvT_T0_T1_T2_jjjjRNS6_12storage_typeE.private_seg_size)
	.set _ZN7rocprim17ROCPRIM_400000_NS6detail17trampoline_kernelINS0_14default_configENS1_36segmented_radix_sort_config_selectorI12hip_bfloat16lEEZNS1_25segmented_radix_sort_implIS3_Lb0EPKS5_PS5_PKlPlN2at6native12_GLOBAL__N_18offset_tEEE10hipError_tPvRmT1_PNSt15iterator_traitsISL_E10value_typeET2_T3_PNSM_ISR_E10value_typeET4_jRbjT5_SX_jjP12ihipStream_tbEUlT_E0_NS1_11comp_targetILNS1_3genE10ELNS1_11target_archE1201ELNS1_3gpuE5ELNS1_3repE0EEENS1_60segmented_radix_sort_warp_sort_medium_config_static_selectorELNS0_4arch9wavefront6targetE0EEEvSL_.uses_vcc, or(1, .L_ZN7rocprim17ROCPRIM_400000_NS6detail26segmented_warp_sort_helperINS1_20WarpSortHelperConfigILj16ELj8ELj256EEE12hip_bfloat16lLi256ELb0EvE4sortIPKS5_PS5_PKlPlEEvT_T0_T1_T2_jjjjRNS6_12storage_typeE.uses_vcc)
	.set _ZN7rocprim17ROCPRIM_400000_NS6detail17trampoline_kernelINS0_14default_configENS1_36segmented_radix_sort_config_selectorI12hip_bfloat16lEEZNS1_25segmented_radix_sort_implIS3_Lb0EPKS5_PS5_PKlPlN2at6native12_GLOBAL__N_18offset_tEEE10hipError_tPvRmT1_PNSt15iterator_traitsISL_E10value_typeET2_T3_PNSM_ISR_E10value_typeET4_jRbjT5_SX_jjP12ihipStream_tbEUlT_E0_NS1_11comp_targetILNS1_3genE10ELNS1_11target_archE1201ELNS1_3gpuE5ELNS1_3repE0EEENS1_60segmented_radix_sort_warp_sort_medium_config_static_selectorELNS0_4arch9wavefront6targetE0EEEvSL_.uses_flat_scratch, or(0, .L_ZN7rocprim17ROCPRIM_400000_NS6detail26segmented_warp_sort_helperINS1_20WarpSortHelperConfigILj16ELj8ELj256EEE12hip_bfloat16lLi256ELb0EvE4sortIPKS5_PS5_PKlPlEEvT_T0_T1_T2_jjjjRNS6_12storage_typeE.uses_flat_scratch)
	.set _ZN7rocprim17ROCPRIM_400000_NS6detail17trampoline_kernelINS0_14default_configENS1_36segmented_radix_sort_config_selectorI12hip_bfloat16lEEZNS1_25segmented_radix_sort_implIS3_Lb0EPKS5_PS5_PKlPlN2at6native12_GLOBAL__N_18offset_tEEE10hipError_tPvRmT1_PNSt15iterator_traitsISL_E10value_typeET2_T3_PNSM_ISR_E10value_typeET4_jRbjT5_SX_jjP12ihipStream_tbEUlT_E0_NS1_11comp_targetILNS1_3genE10ELNS1_11target_archE1201ELNS1_3gpuE5ELNS1_3repE0EEENS1_60segmented_radix_sort_warp_sort_medium_config_static_selectorELNS0_4arch9wavefront6targetE0EEEvSL_.has_dyn_sized_stack, or(0, .L_ZN7rocprim17ROCPRIM_400000_NS6detail26segmented_warp_sort_helperINS1_20WarpSortHelperConfigILj16ELj8ELj256EEE12hip_bfloat16lLi256ELb0EvE4sortIPKS5_PS5_PKlPlEEvT_T0_T1_T2_jjjjRNS6_12storage_typeE.has_dyn_sized_stack)
	.set _ZN7rocprim17ROCPRIM_400000_NS6detail17trampoline_kernelINS0_14default_configENS1_36segmented_radix_sort_config_selectorI12hip_bfloat16lEEZNS1_25segmented_radix_sort_implIS3_Lb0EPKS5_PS5_PKlPlN2at6native12_GLOBAL__N_18offset_tEEE10hipError_tPvRmT1_PNSt15iterator_traitsISL_E10value_typeET2_T3_PNSM_ISR_E10value_typeET4_jRbjT5_SX_jjP12ihipStream_tbEUlT_E0_NS1_11comp_targetILNS1_3genE10ELNS1_11target_archE1201ELNS1_3gpuE5ELNS1_3repE0EEENS1_60segmented_radix_sort_warp_sort_medium_config_static_selectorELNS0_4arch9wavefront6targetE0EEEvSL_.has_recursion, or(0, .L_ZN7rocprim17ROCPRIM_400000_NS6detail26segmented_warp_sort_helperINS1_20WarpSortHelperConfigILj16ELj8ELj256EEE12hip_bfloat16lLi256ELb0EvE4sortIPKS5_PS5_PKlPlEEvT_T0_T1_T2_jjjjRNS6_12storage_typeE.has_recursion)
	.set _ZN7rocprim17ROCPRIM_400000_NS6detail17trampoline_kernelINS0_14default_configENS1_36segmented_radix_sort_config_selectorI12hip_bfloat16lEEZNS1_25segmented_radix_sort_implIS3_Lb0EPKS5_PS5_PKlPlN2at6native12_GLOBAL__N_18offset_tEEE10hipError_tPvRmT1_PNSt15iterator_traitsISL_E10value_typeET2_T3_PNSM_ISR_E10value_typeET4_jRbjT5_SX_jjP12ihipStream_tbEUlT_E0_NS1_11comp_targetILNS1_3genE10ELNS1_11target_archE1201ELNS1_3gpuE5ELNS1_3repE0EEENS1_60segmented_radix_sort_warp_sort_medium_config_static_selectorELNS0_4arch9wavefront6targetE0EEEvSL_.has_indirect_call, or(0, .L_ZN7rocprim17ROCPRIM_400000_NS6detail26segmented_warp_sort_helperINS1_20WarpSortHelperConfigILj16ELj8ELj256EEE12hip_bfloat16lLi256ELb0EvE4sortIPKS5_PS5_PKlPlEEvT_T0_T1_T2_jjjjRNS6_12storage_typeE.has_indirect_call)
	.section	.AMDGPU.csdata,"",@progbits
; Kernel info:
; codeLenInByte = 488
; TotalNumSgprs: 46
; NumVgprs: 81
; ScratchSize: 0
; MemoryBound: 0
; FloatMode: 240
; IeeeMode: 1
; LDSByteSize: 20480 bytes/workgroup (compile time only)
; SGPRBlocks: 0
; VGPRBlocks: 12
; NumSGPRsForWavesPerEU: 46
; NumVGPRsForWavesPerEU: 97
; Occupancy: 12
; WaveLimiterHint : 0
; COMPUTE_PGM_RSRC2:SCRATCH_EN: 0
; COMPUTE_PGM_RSRC2:USER_SGPR: 2
; COMPUTE_PGM_RSRC2:TRAP_HANDLER: 0
; COMPUTE_PGM_RSRC2:TGID_X_EN: 1
; COMPUTE_PGM_RSRC2:TGID_Y_EN: 1
; COMPUTE_PGM_RSRC2:TGID_Z_EN: 0
; COMPUTE_PGM_RSRC2:TIDIG_COMP_CNT: 2
	.section	.text._ZN7rocprim17ROCPRIM_400000_NS6detail17trampoline_kernelINS0_14default_configENS1_36segmented_radix_sort_config_selectorI12hip_bfloat16lEEZNS1_25segmented_radix_sort_implIS3_Lb0EPKS5_PS5_PKlPlN2at6native12_GLOBAL__N_18offset_tEEE10hipError_tPvRmT1_PNSt15iterator_traitsISL_E10value_typeET2_T3_PNSM_ISR_E10value_typeET4_jRbjT5_SX_jjP12ihipStream_tbEUlT_E0_NS1_11comp_targetILNS1_3genE10ELNS1_11target_archE1200ELNS1_3gpuE4ELNS1_3repE0EEENS1_60segmented_radix_sort_warp_sort_medium_config_static_selectorELNS0_4arch9wavefront6targetE0EEEvSL_,"axG",@progbits,_ZN7rocprim17ROCPRIM_400000_NS6detail17trampoline_kernelINS0_14default_configENS1_36segmented_radix_sort_config_selectorI12hip_bfloat16lEEZNS1_25segmented_radix_sort_implIS3_Lb0EPKS5_PS5_PKlPlN2at6native12_GLOBAL__N_18offset_tEEE10hipError_tPvRmT1_PNSt15iterator_traitsISL_E10value_typeET2_T3_PNSM_ISR_E10value_typeET4_jRbjT5_SX_jjP12ihipStream_tbEUlT_E0_NS1_11comp_targetILNS1_3genE10ELNS1_11target_archE1200ELNS1_3gpuE4ELNS1_3repE0EEENS1_60segmented_radix_sort_warp_sort_medium_config_static_selectorELNS0_4arch9wavefront6targetE0EEEvSL_,comdat
	.globl	_ZN7rocprim17ROCPRIM_400000_NS6detail17trampoline_kernelINS0_14default_configENS1_36segmented_radix_sort_config_selectorI12hip_bfloat16lEEZNS1_25segmented_radix_sort_implIS3_Lb0EPKS5_PS5_PKlPlN2at6native12_GLOBAL__N_18offset_tEEE10hipError_tPvRmT1_PNSt15iterator_traitsISL_E10value_typeET2_T3_PNSM_ISR_E10value_typeET4_jRbjT5_SX_jjP12ihipStream_tbEUlT_E0_NS1_11comp_targetILNS1_3genE10ELNS1_11target_archE1200ELNS1_3gpuE4ELNS1_3repE0EEENS1_60segmented_radix_sort_warp_sort_medium_config_static_selectorELNS0_4arch9wavefront6targetE0EEEvSL_ ; -- Begin function _ZN7rocprim17ROCPRIM_400000_NS6detail17trampoline_kernelINS0_14default_configENS1_36segmented_radix_sort_config_selectorI12hip_bfloat16lEEZNS1_25segmented_radix_sort_implIS3_Lb0EPKS5_PS5_PKlPlN2at6native12_GLOBAL__N_18offset_tEEE10hipError_tPvRmT1_PNSt15iterator_traitsISL_E10value_typeET2_T3_PNSM_ISR_E10value_typeET4_jRbjT5_SX_jjP12ihipStream_tbEUlT_E0_NS1_11comp_targetILNS1_3genE10ELNS1_11target_archE1200ELNS1_3gpuE4ELNS1_3repE0EEENS1_60segmented_radix_sort_warp_sort_medium_config_static_selectorELNS0_4arch9wavefront6targetE0EEEvSL_
	.p2align	8
	.type	_ZN7rocprim17ROCPRIM_400000_NS6detail17trampoline_kernelINS0_14default_configENS1_36segmented_radix_sort_config_selectorI12hip_bfloat16lEEZNS1_25segmented_radix_sort_implIS3_Lb0EPKS5_PS5_PKlPlN2at6native12_GLOBAL__N_18offset_tEEE10hipError_tPvRmT1_PNSt15iterator_traitsISL_E10value_typeET2_T3_PNSM_ISR_E10value_typeET4_jRbjT5_SX_jjP12ihipStream_tbEUlT_E0_NS1_11comp_targetILNS1_3genE10ELNS1_11target_archE1200ELNS1_3gpuE4ELNS1_3repE0EEENS1_60segmented_radix_sort_warp_sort_medium_config_static_selectorELNS0_4arch9wavefront6targetE0EEEvSL_,@function
_ZN7rocprim17ROCPRIM_400000_NS6detail17trampoline_kernelINS0_14default_configENS1_36segmented_radix_sort_config_selectorI12hip_bfloat16lEEZNS1_25segmented_radix_sort_implIS3_Lb0EPKS5_PS5_PKlPlN2at6native12_GLOBAL__N_18offset_tEEE10hipError_tPvRmT1_PNSt15iterator_traitsISL_E10value_typeET2_T3_PNSM_ISR_E10value_typeET4_jRbjT5_SX_jjP12ihipStream_tbEUlT_E0_NS1_11comp_targetILNS1_3genE10ELNS1_11target_archE1200ELNS1_3gpuE4ELNS1_3repE0EEENS1_60segmented_radix_sort_warp_sort_medium_config_static_selectorELNS0_4arch9wavefront6targetE0EEEvSL_: ; @_ZN7rocprim17ROCPRIM_400000_NS6detail17trampoline_kernelINS0_14default_configENS1_36segmented_radix_sort_config_selectorI12hip_bfloat16lEEZNS1_25segmented_radix_sort_implIS3_Lb0EPKS5_PS5_PKlPlN2at6native12_GLOBAL__N_18offset_tEEE10hipError_tPvRmT1_PNSt15iterator_traitsISL_E10value_typeET2_T3_PNSM_ISR_E10value_typeET4_jRbjT5_SX_jjP12ihipStream_tbEUlT_E0_NS1_11comp_targetILNS1_3genE10ELNS1_11target_archE1200ELNS1_3gpuE4ELNS1_3repE0EEENS1_60segmented_radix_sort_warp_sort_medium_config_static_selectorELNS0_4arch9wavefront6targetE0EEEvSL_
; %bb.0:
	.section	.rodata,"a",@progbits
	.p2align	6, 0x0
	.amdhsa_kernel _ZN7rocprim17ROCPRIM_400000_NS6detail17trampoline_kernelINS0_14default_configENS1_36segmented_radix_sort_config_selectorI12hip_bfloat16lEEZNS1_25segmented_radix_sort_implIS3_Lb0EPKS5_PS5_PKlPlN2at6native12_GLOBAL__N_18offset_tEEE10hipError_tPvRmT1_PNSt15iterator_traitsISL_E10value_typeET2_T3_PNSM_ISR_E10value_typeET4_jRbjT5_SX_jjP12ihipStream_tbEUlT_E0_NS1_11comp_targetILNS1_3genE10ELNS1_11target_archE1200ELNS1_3gpuE4ELNS1_3repE0EEENS1_60segmented_radix_sort_warp_sort_medium_config_static_selectorELNS0_4arch9wavefront6targetE0EEEvSL_
		.amdhsa_group_segment_fixed_size 0
		.amdhsa_private_segment_fixed_size 0
		.amdhsa_kernarg_size 88
		.amdhsa_user_sgpr_count 2
		.amdhsa_user_sgpr_dispatch_ptr 0
		.amdhsa_user_sgpr_queue_ptr 0
		.amdhsa_user_sgpr_kernarg_segment_ptr 1
		.amdhsa_user_sgpr_dispatch_id 0
		.amdhsa_user_sgpr_private_segment_size 0
		.amdhsa_wavefront_size32 1
		.amdhsa_uses_dynamic_stack 0
		.amdhsa_enable_private_segment 0
		.amdhsa_system_sgpr_workgroup_id_x 1
		.amdhsa_system_sgpr_workgroup_id_y 0
		.amdhsa_system_sgpr_workgroup_id_z 0
		.amdhsa_system_sgpr_workgroup_info 0
		.amdhsa_system_vgpr_workitem_id 0
		.amdhsa_next_free_vgpr 1
		.amdhsa_next_free_sgpr 1
		.amdhsa_reserve_vcc 0
		.amdhsa_float_round_mode_32 0
		.amdhsa_float_round_mode_16_64 0
		.amdhsa_float_denorm_mode_32 3
		.amdhsa_float_denorm_mode_16_64 3
		.amdhsa_fp16_overflow 0
		.amdhsa_workgroup_processor_mode 1
		.amdhsa_memory_ordered 1
		.amdhsa_forward_progress 1
		.amdhsa_inst_pref_size 0
		.amdhsa_round_robin_scheduling 0
		.amdhsa_exception_fp_ieee_invalid_op 0
		.amdhsa_exception_fp_denorm_src 0
		.amdhsa_exception_fp_ieee_div_zero 0
		.amdhsa_exception_fp_ieee_overflow 0
		.amdhsa_exception_fp_ieee_underflow 0
		.amdhsa_exception_fp_ieee_inexact 0
		.amdhsa_exception_int_div_zero 0
	.end_amdhsa_kernel
	.section	.text._ZN7rocprim17ROCPRIM_400000_NS6detail17trampoline_kernelINS0_14default_configENS1_36segmented_radix_sort_config_selectorI12hip_bfloat16lEEZNS1_25segmented_radix_sort_implIS3_Lb0EPKS5_PS5_PKlPlN2at6native12_GLOBAL__N_18offset_tEEE10hipError_tPvRmT1_PNSt15iterator_traitsISL_E10value_typeET2_T3_PNSM_ISR_E10value_typeET4_jRbjT5_SX_jjP12ihipStream_tbEUlT_E0_NS1_11comp_targetILNS1_3genE10ELNS1_11target_archE1200ELNS1_3gpuE4ELNS1_3repE0EEENS1_60segmented_radix_sort_warp_sort_medium_config_static_selectorELNS0_4arch9wavefront6targetE0EEEvSL_,"axG",@progbits,_ZN7rocprim17ROCPRIM_400000_NS6detail17trampoline_kernelINS0_14default_configENS1_36segmented_radix_sort_config_selectorI12hip_bfloat16lEEZNS1_25segmented_radix_sort_implIS3_Lb0EPKS5_PS5_PKlPlN2at6native12_GLOBAL__N_18offset_tEEE10hipError_tPvRmT1_PNSt15iterator_traitsISL_E10value_typeET2_T3_PNSM_ISR_E10value_typeET4_jRbjT5_SX_jjP12ihipStream_tbEUlT_E0_NS1_11comp_targetILNS1_3genE10ELNS1_11target_archE1200ELNS1_3gpuE4ELNS1_3repE0EEENS1_60segmented_radix_sort_warp_sort_medium_config_static_selectorELNS0_4arch9wavefront6targetE0EEEvSL_,comdat
.Lfunc_end2066:
	.size	_ZN7rocprim17ROCPRIM_400000_NS6detail17trampoline_kernelINS0_14default_configENS1_36segmented_radix_sort_config_selectorI12hip_bfloat16lEEZNS1_25segmented_radix_sort_implIS3_Lb0EPKS5_PS5_PKlPlN2at6native12_GLOBAL__N_18offset_tEEE10hipError_tPvRmT1_PNSt15iterator_traitsISL_E10value_typeET2_T3_PNSM_ISR_E10value_typeET4_jRbjT5_SX_jjP12ihipStream_tbEUlT_E0_NS1_11comp_targetILNS1_3genE10ELNS1_11target_archE1200ELNS1_3gpuE4ELNS1_3repE0EEENS1_60segmented_radix_sort_warp_sort_medium_config_static_selectorELNS0_4arch9wavefront6targetE0EEEvSL_, .Lfunc_end2066-_ZN7rocprim17ROCPRIM_400000_NS6detail17trampoline_kernelINS0_14default_configENS1_36segmented_radix_sort_config_selectorI12hip_bfloat16lEEZNS1_25segmented_radix_sort_implIS3_Lb0EPKS5_PS5_PKlPlN2at6native12_GLOBAL__N_18offset_tEEE10hipError_tPvRmT1_PNSt15iterator_traitsISL_E10value_typeET2_T3_PNSM_ISR_E10value_typeET4_jRbjT5_SX_jjP12ihipStream_tbEUlT_E0_NS1_11comp_targetILNS1_3genE10ELNS1_11target_archE1200ELNS1_3gpuE4ELNS1_3repE0EEENS1_60segmented_radix_sort_warp_sort_medium_config_static_selectorELNS0_4arch9wavefront6targetE0EEEvSL_
                                        ; -- End function
	.set _ZN7rocprim17ROCPRIM_400000_NS6detail17trampoline_kernelINS0_14default_configENS1_36segmented_radix_sort_config_selectorI12hip_bfloat16lEEZNS1_25segmented_radix_sort_implIS3_Lb0EPKS5_PS5_PKlPlN2at6native12_GLOBAL__N_18offset_tEEE10hipError_tPvRmT1_PNSt15iterator_traitsISL_E10value_typeET2_T3_PNSM_ISR_E10value_typeET4_jRbjT5_SX_jjP12ihipStream_tbEUlT_E0_NS1_11comp_targetILNS1_3genE10ELNS1_11target_archE1200ELNS1_3gpuE4ELNS1_3repE0EEENS1_60segmented_radix_sort_warp_sort_medium_config_static_selectorELNS0_4arch9wavefront6targetE0EEEvSL_.num_vgpr, 0
	.set _ZN7rocprim17ROCPRIM_400000_NS6detail17trampoline_kernelINS0_14default_configENS1_36segmented_radix_sort_config_selectorI12hip_bfloat16lEEZNS1_25segmented_radix_sort_implIS3_Lb0EPKS5_PS5_PKlPlN2at6native12_GLOBAL__N_18offset_tEEE10hipError_tPvRmT1_PNSt15iterator_traitsISL_E10value_typeET2_T3_PNSM_ISR_E10value_typeET4_jRbjT5_SX_jjP12ihipStream_tbEUlT_E0_NS1_11comp_targetILNS1_3genE10ELNS1_11target_archE1200ELNS1_3gpuE4ELNS1_3repE0EEENS1_60segmented_radix_sort_warp_sort_medium_config_static_selectorELNS0_4arch9wavefront6targetE0EEEvSL_.num_agpr, 0
	.set _ZN7rocprim17ROCPRIM_400000_NS6detail17trampoline_kernelINS0_14default_configENS1_36segmented_radix_sort_config_selectorI12hip_bfloat16lEEZNS1_25segmented_radix_sort_implIS3_Lb0EPKS5_PS5_PKlPlN2at6native12_GLOBAL__N_18offset_tEEE10hipError_tPvRmT1_PNSt15iterator_traitsISL_E10value_typeET2_T3_PNSM_ISR_E10value_typeET4_jRbjT5_SX_jjP12ihipStream_tbEUlT_E0_NS1_11comp_targetILNS1_3genE10ELNS1_11target_archE1200ELNS1_3gpuE4ELNS1_3repE0EEENS1_60segmented_radix_sort_warp_sort_medium_config_static_selectorELNS0_4arch9wavefront6targetE0EEEvSL_.numbered_sgpr, 0
	.set _ZN7rocprim17ROCPRIM_400000_NS6detail17trampoline_kernelINS0_14default_configENS1_36segmented_radix_sort_config_selectorI12hip_bfloat16lEEZNS1_25segmented_radix_sort_implIS3_Lb0EPKS5_PS5_PKlPlN2at6native12_GLOBAL__N_18offset_tEEE10hipError_tPvRmT1_PNSt15iterator_traitsISL_E10value_typeET2_T3_PNSM_ISR_E10value_typeET4_jRbjT5_SX_jjP12ihipStream_tbEUlT_E0_NS1_11comp_targetILNS1_3genE10ELNS1_11target_archE1200ELNS1_3gpuE4ELNS1_3repE0EEENS1_60segmented_radix_sort_warp_sort_medium_config_static_selectorELNS0_4arch9wavefront6targetE0EEEvSL_.num_named_barrier, 0
	.set _ZN7rocprim17ROCPRIM_400000_NS6detail17trampoline_kernelINS0_14default_configENS1_36segmented_radix_sort_config_selectorI12hip_bfloat16lEEZNS1_25segmented_radix_sort_implIS3_Lb0EPKS5_PS5_PKlPlN2at6native12_GLOBAL__N_18offset_tEEE10hipError_tPvRmT1_PNSt15iterator_traitsISL_E10value_typeET2_T3_PNSM_ISR_E10value_typeET4_jRbjT5_SX_jjP12ihipStream_tbEUlT_E0_NS1_11comp_targetILNS1_3genE10ELNS1_11target_archE1200ELNS1_3gpuE4ELNS1_3repE0EEENS1_60segmented_radix_sort_warp_sort_medium_config_static_selectorELNS0_4arch9wavefront6targetE0EEEvSL_.private_seg_size, 0
	.set _ZN7rocprim17ROCPRIM_400000_NS6detail17trampoline_kernelINS0_14default_configENS1_36segmented_radix_sort_config_selectorI12hip_bfloat16lEEZNS1_25segmented_radix_sort_implIS3_Lb0EPKS5_PS5_PKlPlN2at6native12_GLOBAL__N_18offset_tEEE10hipError_tPvRmT1_PNSt15iterator_traitsISL_E10value_typeET2_T3_PNSM_ISR_E10value_typeET4_jRbjT5_SX_jjP12ihipStream_tbEUlT_E0_NS1_11comp_targetILNS1_3genE10ELNS1_11target_archE1200ELNS1_3gpuE4ELNS1_3repE0EEENS1_60segmented_radix_sort_warp_sort_medium_config_static_selectorELNS0_4arch9wavefront6targetE0EEEvSL_.uses_vcc, 0
	.set _ZN7rocprim17ROCPRIM_400000_NS6detail17trampoline_kernelINS0_14default_configENS1_36segmented_radix_sort_config_selectorI12hip_bfloat16lEEZNS1_25segmented_radix_sort_implIS3_Lb0EPKS5_PS5_PKlPlN2at6native12_GLOBAL__N_18offset_tEEE10hipError_tPvRmT1_PNSt15iterator_traitsISL_E10value_typeET2_T3_PNSM_ISR_E10value_typeET4_jRbjT5_SX_jjP12ihipStream_tbEUlT_E0_NS1_11comp_targetILNS1_3genE10ELNS1_11target_archE1200ELNS1_3gpuE4ELNS1_3repE0EEENS1_60segmented_radix_sort_warp_sort_medium_config_static_selectorELNS0_4arch9wavefront6targetE0EEEvSL_.uses_flat_scratch, 0
	.set _ZN7rocprim17ROCPRIM_400000_NS6detail17trampoline_kernelINS0_14default_configENS1_36segmented_radix_sort_config_selectorI12hip_bfloat16lEEZNS1_25segmented_radix_sort_implIS3_Lb0EPKS5_PS5_PKlPlN2at6native12_GLOBAL__N_18offset_tEEE10hipError_tPvRmT1_PNSt15iterator_traitsISL_E10value_typeET2_T3_PNSM_ISR_E10value_typeET4_jRbjT5_SX_jjP12ihipStream_tbEUlT_E0_NS1_11comp_targetILNS1_3genE10ELNS1_11target_archE1200ELNS1_3gpuE4ELNS1_3repE0EEENS1_60segmented_radix_sort_warp_sort_medium_config_static_selectorELNS0_4arch9wavefront6targetE0EEEvSL_.has_dyn_sized_stack, 0
	.set _ZN7rocprim17ROCPRIM_400000_NS6detail17trampoline_kernelINS0_14default_configENS1_36segmented_radix_sort_config_selectorI12hip_bfloat16lEEZNS1_25segmented_radix_sort_implIS3_Lb0EPKS5_PS5_PKlPlN2at6native12_GLOBAL__N_18offset_tEEE10hipError_tPvRmT1_PNSt15iterator_traitsISL_E10value_typeET2_T3_PNSM_ISR_E10value_typeET4_jRbjT5_SX_jjP12ihipStream_tbEUlT_E0_NS1_11comp_targetILNS1_3genE10ELNS1_11target_archE1200ELNS1_3gpuE4ELNS1_3repE0EEENS1_60segmented_radix_sort_warp_sort_medium_config_static_selectorELNS0_4arch9wavefront6targetE0EEEvSL_.has_recursion, 0
	.set _ZN7rocprim17ROCPRIM_400000_NS6detail17trampoline_kernelINS0_14default_configENS1_36segmented_radix_sort_config_selectorI12hip_bfloat16lEEZNS1_25segmented_radix_sort_implIS3_Lb0EPKS5_PS5_PKlPlN2at6native12_GLOBAL__N_18offset_tEEE10hipError_tPvRmT1_PNSt15iterator_traitsISL_E10value_typeET2_T3_PNSM_ISR_E10value_typeET4_jRbjT5_SX_jjP12ihipStream_tbEUlT_E0_NS1_11comp_targetILNS1_3genE10ELNS1_11target_archE1200ELNS1_3gpuE4ELNS1_3repE0EEENS1_60segmented_radix_sort_warp_sort_medium_config_static_selectorELNS0_4arch9wavefront6targetE0EEEvSL_.has_indirect_call, 0
	.section	.AMDGPU.csdata,"",@progbits
; Kernel info:
; codeLenInByte = 0
; TotalNumSgprs: 0
; NumVgprs: 0
; ScratchSize: 0
; MemoryBound: 0
; FloatMode: 240
; IeeeMode: 1
; LDSByteSize: 0 bytes/workgroup (compile time only)
; SGPRBlocks: 0
; VGPRBlocks: 0
; NumSGPRsForWavesPerEU: 1
; NumVGPRsForWavesPerEU: 1
; Occupancy: 16
; WaveLimiterHint : 0
; COMPUTE_PGM_RSRC2:SCRATCH_EN: 0
; COMPUTE_PGM_RSRC2:USER_SGPR: 2
; COMPUTE_PGM_RSRC2:TRAP_HANDLER: 0
; COMPUTE_PGM_RSRC2:TGID_X_EN: 1
; COMPUTE_PGM_RSRC2:TGID_Y_EN: 0
; COMPUTE_PGM_RSRC2:TGID_Z_EN: 0
; COMPUTE_PGM_RSRC2:TIDIG_COMP_CNT: 0
	.section	.text._ZN7rocprim17ROCPRIM_400000_NS6detail17trampoline_kernelINS0_14default_configENS1_36segmented_radix_sort_config_selectorI12hip_bfloat16lEEZNS1_25segmented_radix_sort_implIS3_Lb0EPKS5_PS5_PKlPlN2at6native12_GLOBAL__N_18offset_tEEE10hipError_tPvRmT1_PNSt15iterator_traitsISL_E10value_typeET2_T3_PNSM_ISR_E10value_typeET4_jRbjT5_SX_jjP12ihipStream_tbEUlT_E0_NS1_11comp_targetILNS1_3genE9ELNS1_11target_archE1100ELNS1_3gpuE3ELNS1_3repE0EEENS1_60segmented_radix_sort_warp_sort_medium_config_static_selectorELNS0_4arch9wavefront6targetE0EEEvSL_,"axG",@progbits,_ZN7rocprim17ROCPRIM_400000_NS6detail17trampoline_kernelINS0_14default_configENS1_36segmented_radix_sort_config_selectorI12hip_bfloat16lEEZNS1_25segmented_radix_sort_implIS3_Lb0EPKS5_PS5_PKlPlN2at6native12_GLOBAL__N_18offset_tEEE10hipError_tPvRmT1_PNSt15iterator_traitsISL_E10value_typeET2_T3_PNSM_ISR_E10value_typeET4_jRbjT5_SX_jjP12ihipStream_tbEUlT_E0_NS1_11comp_targetILNS1_3genE9ELNS1_11target_archE1100ELNS1_3gpuE3ELNS1_3repE0EEENS1_60segmented_radix_sort_warp_sort_medium_config_static_selectorELNS0_4arch9wavefront6targetE0EEEvSL_,comdat
	.globl	_ZN7rocprim17ROCPRIM_400000_NS6detail17trampoline_kernelINS0_14default_configENS1_36segmented_radix_sort_config_selectorI12hip_bfloat16lEEZNS1_25segmented_radix_sort_implIS3_Lb0EPKS5_PS5_PKlPlN2at6native12_GLOBAL__N_18offset_tEEE10hipError_tPvRmT1_PNSt15iterator_traitsISL_E10value_typeET2_T3_PNSM_ISR_E10value_typeET4_jRbjT5_SX_jjP12ihipStream_tbEUlT_E0_NS1_11comp_targetILNS1_3genE9ELNS1_11target_archE1100ELNS1_3gpuE3ELNS1_3repE0EEENS1_60segmented_radix_sort_warp_sort_medium_config_static_selectorELNS0_4arch9wavefront6targetE0EEEvSL_ ; -- Begin function _ZN7rocprim17ROCPRIM_400000_NS6detail17trampoline_kernelINS0_14default_configENS1_36segmented_radix_sort_config_selectorI12hip_bfloat16lEEZNS1_25segmented_radix_sort_implIS3_Lb0EPKS5_PS5_PKlPlN2at6native12_GLOBAL__N_18offset_tEEE10hipError_tPvRmT1_PNSt15iterator_traitsISL_E10value_typeET2_T3_PNSM_ISR_E10value_typeET4_jRbjT5_SX_jjP12ihipStream_tbEUlT_E0_NS1_11comp_targetILNS1_3genE9ELNS1_11target_archE1100ELNS1_3gpuE3ELNS1_3repE0EEENS1_60segmented_radix_sort_warp_sort_medium_config_static_selectorELNS0_4arch9wavefront6targetE0EEEvSL_
	.p2align	8
	.type	_ZN7rocprim17ROCPRIM_400000_NS6detail17trampoline_kernelINS0_14default_configENS1_36segmented_radix_sort_config_selectorI12hip_bfloat16lEEZNS1_25segmented_radix_sort_implIS3_Lb0EPKS5_PS5_PKlPlN2at6native12_GLOBAL__N_18offset_tEEE10hipError_tPvRmT1_PNSt15iterator_traitsISL_E10value_typeET2_T3_PNSM_ISR_E10value_typeET4_jRbjT5_SX_jjP12ihipStream_tbEUlT_E0_NS1_11comp_targetILNS1_3genE9ELNS1_11target_archE1100ELNS1_3gpuE3ELNS1_3repE0EEENS1_60segmented_radix_sort_warp_sort_medium_config_static_selectorELNS0_4arch9wavefront6targetE0EEEvSL_,@function
_ZN7rocprim17ROCPRIM_400000_NS6detail17trampoline_kernelINS0_14default_configENS1_36segmented_radix_sort_config_selectorI12hip_bfloat16lEEZNS1_25segmented_radix_sort_implIS3_Lb0EPKS5_PS5_PKlPlN2at6native12_GLOBAL__N_18offset_tEEE10hipError_tPvRmT1_PNSt15iterator_traitsISL_E10value_typeET2_T3_PNSM_ISR_E10value_typeET4_jRbjT5_SX_jjP12ihipStream_tbEUlT_E0_NS1_11comp_targetILNS1_3genE9ELNS1_11target_archE1100ELNS1_3gpuE3ELNS1_3repE0EEENS1_60segmented_radix_sort_warp_sort_medium_config_static_selectorELNS0_4arch9wavefront6targetE0EEEvSL_: ; @_ZN7rocprim17ROCPRIM_400000_NS6detail17trampoline_kernelINS0_14default_configENS1_36segmented_radix_sort_config_selectorI12hip_bfloat16lEEZNS1_25segmented_radix_sort_implIS3_Lb0EPKS5_PS5_PKlPlN2at6native12_GLOBAL__N_18offset_tEEE10hipError_tPvRmT1_PNSt15iterator_traitsISL_E10value_typeET2_T3_PNSM_ISR_E10value_typeET4_jRbjT5_SX_jjP12ihipStream_tbEUlT_E0_NS1_11comp_targetILNS1_3genE9ELNS1_11target_archE1100ELNS1_3gpuE3ELNS1_3repE0EEENS1_60segmented_radix_sort_warp_sort_medium_config_static_selectorELNS0_4arch9wavefront6targetE0EEEvSL_
; %bb.0:
	.section	.rodata,"a",@progbits
	.p2align	6, 0x0
	.amdhsa_kernel _ZN7rocprim17ROCPRIM_400000_NS6detail17trampoline_kernelINS0_14default_configENS1_36segmented_radix_sort_config_selectorI12hip_bfloat16lEEZNS1_25segmented_radix_sort_implIS3_Lb0EPKS5_PS5_PKlPlN2at6native12_GLOBAL__N_18offset_tEEE10hipError_tPvRmT1_PNSt15iterator_traitsISL_E10value_typeET2_T3_PNSM_ISR_E10value_typeET4_jRbjT5_SX_jjP12ihipStream_tbEUlT_E0_NS1_11comp_targetILNS1_3genE9ELNS1_11target_archE1100ELNS1_3gpuE3ELNS1_3repE0EEENS1_60segmented_radix_sort_warp_sort_medium_config_static_selectorELNS0_4arch9wavefront6targetE0EEEvSL_
		.amdhsa_group_segment_fixed_size 0
		.amdhsa_private_segment_fixed_size 0
		.amdhsa_kernarg_size 88
		.amdhsa_user_sgpr_count 2
		.amdhsa_user_sgpr_dispatch_ptr 0
		.amdhsa_user_sgpr_queue_ptr 0
		.amdhsa_user_sgpr_kernarg_segment_ptr 1
		.amdhsa_user_sgpr_dispatch_id 0
		.amdhsa_user_sgpr_private_segment_size 0
		.amdhsa_wavefront_size32 1
		.amdhsa_uses_dynamic_stack 0
		.amdhsa_enable_private_segment 0
		.amdhsa_system_sgpr_workgroup_id_x 1
		.amdhsa_system_sgpr_workgroup_id_y 0
		.amdhsa_system_sgpr_workgroup_id_z 0
		.amdhsa_system_sgpr_workgroup_info 0
		.amdhsa_system_vgpr_workitem_id 0
		.amdhsa_next_free_vgpr 1
		.amdhsa_next_free_sgpr 1
		.amdhsa_reserve_vcc 0
		.amdhsa_float_round_mode_32 0
		.amdhsa_float_round_mode_16_64 0
		.amdhsa_float_denorm_mode_32 3
		.amdhsa_float_denorm_mode_16_64 3
		.amdhsa_fp16_overflow 0
		.amdhsa_workgroup_processor_mode 1
		.amdhsa_memory_ordered 1
		.amdhsa_forward_progress 1
		.amdhsa_inst_pref_size 0
		.amdhsa_round_robin_scheduling 0
		.amdhsa_exception_fp_ieee_invalid_op 0
		.amdhsa_exception_fp_denorm_src 0
		.amdhsa_exception_fp_ieee_div_zero 0
		.amdhsa_exception_fp_ieee_overflow 0
		.amdhsa_exception_fp_ieee_underflow 0
		.amdhsa_exception_fp_ieee_inexact 0
		.amdhsa_exception_int_div_zero 0
	.end_amdhsa_kernel
	.section	.text._ZN7rocprim17ROCPRIM_400000_NS6detail17trampoline_kernelINS0_14default_configENS1_36segmented_radix_sort_config_selectorI12hip_bfloat16lEEZNS1_25segmented_radix_sort_implIS3_Lb0EPKS5_PS5_PKlPlN2at6native12_GLOBAL__N_18offset_tEEE10hipError_tPvRmT1_PNSt15iterator_traitsISL_E10value_typeET2_T3_PNSM_ISR_E10value_typeET4_jRbjT5_SX_jjP12ihipStream_tbEUlT_E0_NS1_11comp_targetILNS1_3genE9ELNS1_11target_archE1100ELNS1_3gpuE3ELNS1_3repE0EEENS1_60segmented_radix_sort_warp_sort_medium_config_static_selectorELNS0_4arch9wavefront6targetE0EEEvSL_,"axG",@progbits,_ZN7rocprim17ROCPRIM_400000_NS6detail17trampoline_kernelINS0_14default_configENS1_36segmented_radix_sort_config_selectorI12hip_bfloat16lEEZNS1_25segmented_radix_sort_implIS3_Lb0EPKS5_PS5_PKlPlN2at6native12_GLOBAL__N_18offset_tEEE10hipError_tPvRmT1_PNSt15iterator_traitsISL_E10value_typeET2_T3_PNSM_ISR_E10value_typeET4_jRbjT5_SX_jjP12ihipStream_tbEUlT_E0_NS1_11comp_targetILNS1_3genE9ELNS1_11target_archE1100ELNS1_3gpuE3ELNS1_3repE0EEENS1_60segmented_radix_sort_warp_sort_medium_config_static_selectorELNS0_4arch9wavefront6targetE0EEEvSL_,comdat
.Lfunc_end2067:
	.size	_ZN7rocprim17ROCPRIM_400000_NS6detail17trampoline_kernelINS0_14default_configENS1_36segmented_radix_sort_config_selectorI12hip_bfloat16lEEZNS1_25segmented_radix_sort_implIS3_Lb0EPKS5_PS5_PKlPlN2at6native12_GLOBAL__N_18offset_tEEE10hipError_tPvRmT1_PNSt15iterator_traitsISL_E10value_typeET2_T3_PNSM_ISR_E10value_typeET4_jRbjT5_SX_jjP12ihipStream_tbEUlT_E0_NS1_11comp_targetILNS1_3genE9ELNS1_11target_archE1100ELNS1_3gpuE3ELNS1_3repE0EEENS1_60segmented_radix_sort_warp_sort_medium_config_static_selectorELNS0_4arch9wavefront6targetE0EEEvSL_, .Lfunc_end2067-_ZN7rocprim17ROCPRIM_400000_NS6detail17trampoline_kernelINS0_14default_configENS1_36segmented_radix_sort_config_selectorI12hip_bfloat16lEEZNS1_25segmented_radix_sort_implIS3_Lb0EPKS5_PS5_PKlPlN2at6native12_GLOBAL__N_18offset_tEEE10hipError_tPvRmT1_PNSt15iterator_traitsISL_E10value_typeET2_T3_PNSM_ISR_E10value_typeET4_jRbjT5_SX_jjP12ihipStream_tbEUlT_E0_NS1_11comp_targetILNS1_3genE9ELNS1_11target_archE1100ELNS1_3gpuE3ELNS1_3repE0EEENS1_60segmented_radix_sort_warp_sort_medium_config_static_selectorELNS0_4arch9wavefront6targetE0EEEvSL_
                                        ; -- End function
	.set _ZN7rocprim17ROCPRIM_400000_NS6detail17trampoline_kernelINS0_14default_configENS1_36segmented_radix_sort_config_selectorI12hip_bfloat16lEEZNS1_25segmented_radix_sort_implIS3_Lb0EPKS5_PS5_PKlPlN2at6native12_GLOBAL__N_18offset_tEEE10hipError_tPvRmT1_PNSt15iterator_traitsISL_E10value_typeET2_T3_PNSM_ISR_E10value_typeET4_jRbjT5_SX_jjP12ihipStream_tbEUlT_E0_NS1_11comp_targetILNS1_3genE9ELNS1_11target_archE1100ELNS1_3gpuE3ELNS1_3repE0EEENS1_60segmented_radix_sort_warp_sort_medium_config_static_selectorELNS0_4arch9wavefront6targetE0EEEvSL_.num_vgpr, 0
	.set _ZN7rocprim17ROCPRIM_400000_NS6detail17trampoline_kernelINS0_14default_configENS1_36segmented_radix_sort_config_selectorI12hip_bfloat16lEEZNS1_25segmented_radix_sort_implIS3_Lb0EPKS5_PS5_PKlPlN2at6native12_GLOBAL__N_18offset_tEEE10hipError_tPvRmT1_PNSt15iterator_traitsISL_E10value_typeET2_T3_PNSM_ISR_E10value_typeET4_jRbjT5_SX_jjP12ihipStream_tbEUlT_E0_NS1_11comp_targetILNS1_3genE9ELNS1_11target_archE1100ELNS1_3gpuE3ELNS1_3repE0EEENS1_60segmented_radix_sort_warp_sort_medium_config_static_selectorELNS0_4arch9wavefront6targetE0EEEvSL_.num_agpr, 0
	.set _ZN7rocprim17ROCPRIM_400000_NS6detail17trampoline_kernelINS0_14default_configENS1_36segmented_radix_sort_config_selectorI12hip_bfloat16lEEZNS1_25segmented_radix_sort_implIS3_Lb0EPKS5_PS5_PKlPlN2at6native12_GLOBAL__N_18offset_tEEE10hipError_tPvRmT1_PNSt15iterator_traitsISL_E10value_typeET2_T3_PNSM_ISR_E10value_typeET4_jRbjT5_SX_jjP12ihipStream_tbEUlT_E0_NS1_11comp_targetILNS1_3genE9ELNS1_11target_archE1100ELNS1_3gpuE3ELNS1_3repE0EEENS1_60segmented_radix_sort_warp_sort_medium_config_static_selectorELNS0_4arch9wavefront6targetE0EEEvSL_.numbered_sgpr, 0
	.set _ZN7rocprim17ROCPRIM_400000_NS6detail17trampoline_kernelINS0_14default_configENS1_36segmented_radix_sort_config_selectorI12hip_bfloat16lEEZNS1_25segmented_radix_sort_implIS3_Lb0EPKS5_PS5_PKlPlN2at6native12_GLOBAL__N_18offset_tEEE10hipError_tPvRmT1_PNSt15iterator_traitsISL_E10value_typeET2_T3_PNSM_ISR_E10value_typeET4_jRbjT5_SX_jjP12ihipStream_tbEUlT_E0_NS1_11comp_targetILNS1_3genE9ELNS1_11target_archE1100ELNS1_3gpuE3ELNS1_3repE0EEENS1_60segmented_radix_sort_warp_sort_medium_config_static_selectorELNS0_4arch9wavefront6targetE0EEEvSL_.num_named_barrier, 0
	.set _ZN7rocprim17ROCPRIM_400000_NS6detail17trampoline_kernelINS0_14default_configENS1_36segmented_radix_sort_config_selectorI12hip_bfloat16lEEZNS1_25segmented_radix_sort_implIS3_Lb0EPKS5_PS5_PKlPlN2at6native12_GLOBAL__N_18offset_tEEE10hipError_tPvRmT1_PNSt15iterator_traitsISL_E10value_typeET2_T3_PNSM_ISR_E10value_typeET4_jRbjT5_SX_jjP12ihipStream_tbEUlT_E0_NS1_11comp_targetILNS1_3genE9ELNS1_11target_archE1100ELNS1_3gpuE3ELNS1_3repE0EEENS1_60segmented_radix_sort_warp_sort_medium_config_static_selectorELNS0_4arch9wavefront6targetE0EEEvSL_.private_seg_size, 0
	.set _ZN7rocprim17ROCPRIM_400000_NS6detail17trampoline_kernelINS0_14default_configENS1_36segmented_radix_sort_config_selectorI12hip_bfloat16lEEZNS1_25segmented_radix_sort_implIS3_Lb0EPKS5_PS5_PKlPlN2at6native12_GLOBAL__N_18offset_tEEE10hipError_tPvRmT1_PNSt15iterator_traitsISL_E10value_typeET2_T3_PNSM_ISR_E10value_typeET4_jRbjT5_SX_jjP12ihipStream_tbEUlT_E0_NS1_11comp_targetILNS1_3genE9ELNS1_11target_archE1100ELNS1_3gpuE3ELNS1_3repE0EEENS1_60segmented_radix_sort_warp_sort_medium_config_static_selectorELNS0_4arch9wavefront6targetE0EEEvSL_.uses_vcc, 0
	.set _ZN7rocprim17ROCPRIM_400000_NS6detail17trampoline_kernelINS0_14default_configENS1_36segmented_radix_sort_config_selectorI12hip_bfloat16lEEZNS1_25segmented_radix_sort_implIS3_Lb0EPKS5_PS5_PKlPlN2at6native12_GLOBAL__N_18offset_tEEE10hipError_tPvRmT1_PNSt15iterator_traitsISL_E10value_typeET2_T3_PNSM_ISR_E10value_typeET4_jRbjT5_SX_jjP12ihipStream_tbEUlT_E0_NS1_11comp_targetILNS1_3genE9ELNS1_11target_archE1100ELNS1_3gpuE3ELNS1_3repE0EEENS1_60segmented_radix_sort_warp_sort_medium_config_static_selectorELNS0_4arch9wavefront6targetE0EEEvSL_.uses_flat_scratch, 0
	.set _ZN7rocprim17ROCPRIM_400000_NS6detail17trampoline_kernelINS0_14default_configENS1_36segmented_radix_sort_config_selectorI12hip_bfloat16lEEZNS1_25segmented_radix_sort_implIS3_Lb0EPKS5_PS5_PKlPlN2at6native12_GLOBAL__N_18offset_tEEE10hipError_tPvRmT1_PNSt15iterator_traitsISL_E10value_typeET2_T3_PNSM_ISR_E10value_typeET4_jRbjT5_SX_jjP12ihipStream_tbEUlT_E0_NS1_11comp_targetILNS1_3genE9ELNS1_11target_archE1100ELNS1_3gpuE3ELNS1_3repE0EEENS1_60segmented_radix_sort_warp_sort_medium_config_static_selectorELNS0_4arch9wavefront6targetE0EEEvSL_.has_dyn_sized_stack, 0
	.set _ZN7rocprim17ROCPRIM_400000_NS6detail17trampoline_kernelINS0_14default_configENS1_36segmented_radix_sort_config_selectorI12hip_bfloat16lEEZNS1_25segmented_radix_sort_implIS3_Lb0EPKS5_PS5_PKlPlN2at6native12_GLOBAL__N_18offset_tEEE10hipError_tPvRmT1_PNSt15iterator_traitsISL_E10value_typeET2_T3_PNSM_ISR_E10value_typeET4_jRbjT5_SX_jjP12ihipStream_tbEUlT_E0_NS1_11comp_targetILNS1_3genE9ELNS1_11target_archE1100ELNS1_3gpuE3ELNS1_3repE0EEENS1_60segmented_radix_sort_warp_sort_medium_config_static_selectorELNS0_4arch9wavefront6targetE0EEEvSL_.has_recursion, 0
	.set _ZN7rocprim17ROCPRIM_400000_NS6detail17trampoline_kernelINS0_14default_configENS1_36segmented_radix_sort_config_selectorI12hip_bfloat16lEEZNS1_25segmented_radix_sort_implIS3_Lb0EPKS5_PS5_PKlPlN2at6native12_GLOBAL__N_18offset_tEEE10hipError_tPvRmT1_PNSt15iterator_traitsISL_E10value_typeET2_T3_PNSM_ISR_E10value_typeET4_jRbjT5_SX_jjP12ihipStream_tbEUlT_E0_NS1_11comp_targetILNS1_3genE9ELNS1_11target_archE1100ELNS1_3gpuE3ELNS1_3repE0EEENS1_60segmented_radix_sort_warp_sort_medium_config_static_selectorELNS0_4arch9wavefront6targetE0EEEvSL_.has_indirect_call, 0
	.section	.AMDGPU.csdata,"",@progbits
; Kernel info:
; codeLenInByte = 0
; TotalNumSgprs: 0
; NumVgprs: 0
; ScratchSize: 0
; MemoryBound: 0
; FloatMode: 240
; IeeeMode: 1
; LDSByteSize: 0 bytes/workgroup (compile time only)
; SGPRBlocks: 0
; VGPRBlocks: 0
; NumSGPRsForWavesPerEU: 1
; NumVGPRsForWavesPerEU: 1
; Occupancy: 16
; WaveLimiterHint : 0
; COMPUTE_PGM_RSRC2:SCRATCH_EN: 0
; COMPUTE_PGM_RSRC2:USER_SGPR: 2
; COMPUTE_PGM_RSRC2:TRAP_HANDLER: 0
; COMPUTE_PGM_RSRC2:TGID_X_EN: 1
; COMPUTE_PGM_RSRC2:TGID_Y_EN: 0
; COMPUTE_PGM_RSRC2:TGID_Z_EN: 0
; COMPUTE_PGM_RSRC2:TIDIG_COMP_CNT: 0
	.section	.text._ZN7rocprim17ROCPRIM_400000_NS6detail17trampoline_kernelINS0_14default_configENS1_36segmented_radix_sort_config_selectorI12hip_bfloat16lEEZNS1_25segmented_radix_sort_implIS3_Lb0EPKS5_PS5_PKlPlN2at6native12_GLOBAL__N_18offset_tEEE10hipError_tPvRmT1_PNSt15iterator_traitsISL_E10value_typeET2_T3_PNSM_ISR_E10value_typeET4_jRbjT5_SX_jjP12ihipStream_tbEUlT_E0_NS1_11comp_targetILNS1_3genE8ELNS1_11target_archE1030ELNS1_3gpuE2ELNS1_3repE0EEENS1_60segmented_radix_sort_warp_sort_medium_config_static_selectorELNS0_4arch9wavefront6targetE0EEEvSL_,"axG",@progbits,_ZN7rocprim17ROCPRIM_400000_NS6detail17trampoline_kernelINS0_14default_configENS1_36segmented_radix_sort_config_selectorI12hip_bfloat16lEEZNS1_25segmented_radix_sort_implIS3_Lb0EPKS5_PS5_PKlPlN2at6native12_GLOBAL__N_18offset_tEEE10hipError_tPvRmT1_PNSt15iterator_traitsISL_E10value_typeET2_T3_PNSM_ISR_E10value_typeET4_jRbjT5_SX_jjP12ihipStream_tbEUlT_E0_NS1_11comp_targetILNS1_3genE8ELNS1_11target_archE1030ELNS1_3gpuE2ELNS1_3repE0EEENS1_60segmented_radix_sort_warp_sort_medium_config_static_selectorELNS0_4arch9wavefront6targetE0EEEvSL_,comdat
	.globl	_ZN7rocprim17ROCPRIM_400000_NS6detail17trampoline_kernelINS0_14default_configENS1_36segmented_radix_sort_config_selectorI12hip_bfloat16lEEZNS1_25segmented_radix_sort_implIS3_Lb0EPKS5_PS5_PKlPlN2at6native12_GLOBAL__N_18offset_tEEE10hipError_tPvRmT1_PNSt15iterator_traitsISL_E10value_typeET2_T3_PNSM_ISR_E10value_typeET4_jRbjT5_SX_jjP12ihipStream_tbEUlT_E0_NS1_11comp_targetILNS1_3genE8ELNS1_11target_archE1030ELNS1_3gpuE2ELNS1_3repE0EEENS1_60segmented_radix_sort_warp_sort_medium_config_static_selectorELNS0_4arch9wavefront6targetE0EEEvSL_ ; -- Begin function _ZN7rocprim17ROCPRIM_400000_NS6detail17trampoline_kernelINS0_14default_configENS1_36segmented_radix_sort_config_selectorI12hip_bfloat16lEEZNS1_25segmented_radix_sort_implIS3_Lb0EPKS5_PS5_PKlPlN2at6native12_GLOBAL__N_18offset_tEEE10hipError_tPvRmT1_PNSt15iterator_traitsISL_E10value_typeET2_T3_PNSM_ISR_E10value_typeET4_jRbjT5_SX_jjP12ihipStream_tbEUlT_E0_NS1_11comp_targetILNS1_3genE8ELNS1_11target_archE1030ELNS1_3gpuE2ELNS1_3repE0EEENS1_60segmented_radix_sort_warp_sort_medium_config_static_selectorELNS0_4arch9wavefront6targetE0EEEvSL_
	.p2align	8
	.type	_ZN7rocprim17ROCPRIM_400000_NS6detail17trampoline_kernelINS0_14default_configENS1_36segmented_radix_sort_config_selectorI12hip_bfloat16lEEZNS1_25segmented_radix_sort_implIS3_Lb0EPKS5_PS5_PKlPlN2at6native12_GLOBAL__N_18offset_tEEE10hipError_tPvRmT1_PNSt15iterator_traitsISL_E10value_typeET2_T3_PNSM_ISR_E10value_typeET4_jRbjT5_SX_jjP12ihipStream_tbEUlT_E0_NS1_11comp_targetILNS1_3genE8ELNS1_11target_archE1030ELNS1_3gpuE2ELNS1_3repE0EEENS1_60segmented_radix_sort_warp_sort_medium_config_static_selectorELNS0_4arch9wavefront6targetE0EEEvSL_,@function
_ZN7rocprim17ROCPRIM_400000_NS6detail17trampoline_kernelINS0_14default_configENS1_36segmented_radix_sort_config_selectorI12hip_bfloat16lEEZNS1_25segmented_radix_sort_implIS3_Lb0EPKS5_PS5_PKlPlN2at6native12_GLOBAL__N_18offset_tEEE10hipError_tPvRmT1_PNSt15iterator_traitsISL_E10value_typeET2_T3_PNSM_ISR_E10value_typeET4_jRbjT5_SX_jjP12ihipStream_tbEUlT_E0_NS1_11comp_targetILNS1_3genE8ELNS1_11target_archE1030ELNS1_3gpuE2ELNS1_3repE0EEENS1_60segmented_radix_sort_warp_sort_medium_config_static_selectorELNS0_4arch9wavefront6targetE0EEEvSL_: ; @_ZN7rocprim17ROCPRIM_400000_NS6detail17trampoline_kernelINS0_14default_configENS1_36segmented_radix_sort_config_selectorI12hip_bfloat16lEEZNS1_25segmented_radix_sort_implIS3_Lb0EPKS5_PS5_PKlPlN2at6native12_GLOBAL__N_18offset_tEEE10hipError_tPvRmT1_PNSt15iterator_traitsISL_E10value_typeET2_T3_PNSM_ISR_E10value_typeET4_jRbjT5_SX_jjP12ihipStream_tbEUlT_E0_NS1_11comp_targetILNS1_3genE8ELNS1_11target_archE1030ELNS1_3gpuE2ELNS1_3repE0EEENS1_60segmented_radix_sort_warp_sort_medium_config_static_selectorELNS0_4arch9wavefront6targetE0EEEvSL_
; %bb.0:
	.section	.rodata,"a",@progbits
	.p2align	6, 0x0
	.amdhsa_kernel _ZN7rocprim17ROCPRIM_400000_NS6detail17trampoline_kernelINS0_14default_configENS1_36segmented_radix_sort_config_selectorI12hip_bfloat16lEEZNS1_25segmented_radix_sort_implIS3_Lb0EPKS5_PS5_PKlPlN2at6native12_GLOBAL__N_18offset_tEEE10hipError_tPvRmT1_PNSt15iterator_traitsISL_E10value_typeET2_T3_PNSM_ISR_E10value_typeET4_jRbjT5_SX_jjP12ihipStream_tbEUlT_E0_NS1_11comp_targetILNS1_3genE8ELNS1_11target_archE1030ELNS1_3gpuE2ELNS1_3repE0EEENS1_60segmented_radix_sort_warp_sort_medium_config_static_selectorELNS0_4arch9wavefront6targetE0EEEvSL_
		.amdhsa_group_segment_fixed_size 0
		.amdhsa_private_segment_fixed_size 0
		.amdhsa_kernarg_size 88
		.amdhsa_user_sgpr_count 2
		.amdhsa_user_sgpr_dispatch_ptr 0
		.amdhsa_user_sgpr_queue_ptr 0
		.amdhsa_user_sgpr_kernarg_segment_ptr 1
		.amdhsa_user_sgpr_dispatch_id 0
		.amdhsa_user_sgpr_private_segment_size 0
		.amdhsa_wavefront_size32 1
		.amdhsa_uses_dynamic_stack 0
		.amdhsa_enable_private_segment 0
		.amdhsa_system_sgpr_workgroup_id_x 1
		.amdhsa_system_sgpr_workgroup_id_y 0
		.amdhsa_system_sgpr_workgroup_id_z 0
		.amdhsa_system_sgpr_workgroup_info 0
		.amdhsa_system_vgpr_workitem_id 0
		.amdhsa_next_free_vgpr 1
		.amdhsa_next_free_sgpr 1
		.amdhsa_reserve_vcc 0
		.amdhsa_float_round_mode_32 0
		.amdhsa_float_round_mode_16_64 0
		.amdhsa_float_denorm_mode_32 3
		.amdhsa_float_denorm_mode_16_64 3
		.amdhsa_fp16_overflow 0
		.amdhsa_workgroup_processor_mode 1
		.amdhsa_memory_ordered 1
		.amdhsa_forward_progress 1
		.amdhsa_inst_pref_size 0
		.amdhsa_round_robin_scheduling 0
		.amdhsa_exception_fp_ieee_invalid_op 0
		.amdhsa_exception_fp_denorm_src 0
		.amdhsa_exception_fp_ieee_div_zero 0
		.amdhsa_exception_fp_ieee_overflow 0
		.amdhsa_exception_fp_ieee_underflow 0
		.amdhsa_exception_fp_ieee_inexact 0
		.amdhsa_exception_int_div_zero 0
	.end_amdhsa_kernel
	.section	.text._ZN7rocprim17ROCPRIM_400000_NS6detail17trampoline_kernelINS0_14default_configENS1_36segmented_radix_sort_config_selectorI12hip_bfloat16lEEZNS1_25segmented_radix_sort_implIS3_Lb0EPKS5_PS5_PKlPlN2at6native12_GLOBAL__N_18offset_tEEE10hipError_tPvRmT1_PNSt15iterator_traitsISL_E10value_typeET2_T3_PNSM_ISR_E10value_typeET4_jRbjT5_SX_jjP12ihipStream_tbEUlT_E0_NS1_11comp_targetILNS1_3genE8ELNS1_11target_archE1030ELNS1_3gpuE2ELNS1_3repE0EEENS1_60segmented_radix_sort_warp_sort_medium_config_static_selectorELNS0_4arch9wavefront6targetE0EEEvSL_,"axG",@progbits,_ZN7rocprim17ROCPRIM_400000_NS6detail17trampoline_kernelINS0_14default_configENS1_36segmented_radix_sort_config_selectorI12hip_bfloat16lEEZNS1_25segmented_radix_sort_implIS3_Lb0EPKS5_PS5_PKlPlN2at6native12_GLOBAL__N_18offset_tEEE10hipError_tPvRmT1_PNSt15iterator_traitsISL_E10value_typeET2_T3_PNSM_ISR_E10value_typeET4_jRbjT5_SX_jjP12ihipStream_tbEUlT_E0_NS1_11comp_targetILNS1_3genE8ELNS1_11target_archE1030ELNS1_3gpuE2ELNS1_3repE0EEENS1_60segmented_radix_sort_warp_sort_medium_config_static_selectorELNS0_4arch9wavefront6targetE0EEEvSL_,comdat
.Lfunc_end2068:
	.size	_ZN7rocprim17ROCPRIM_400000_NS6detail17trampoline_kernelINS0_14default_configENS1_36segmented_radix_sort_config_selectorI12hip_bfloat16lEEZNS1_25segmented_radix_sort_implIS3_Lb0EPKS5_PS5_PKlPlN2at6native12_GLOBAL__N_18offset_tEEE10hipError_tPvRmT1_PNSt15iterator_traitsISL_E10value_typeET2_T3_PNSM_ISR_E10value_typeET4_jRbjT5_SX_jjP12ihipStream_tbEUlT_E0_NS1_11comp_targetILNS1_3genE8ELNS1_11target_archE1030ELNS1_3gpuE2ELNS1_3repE0EEENS1_60segmented_radix_sort_warp_sort_medium_config_static_selectorELNS0_4arch9wavefront6targetE0EEEvSL_, .Lfunc_end2068-_ZN7rocprim17ROCPRIM_400000_NS6detail17trampoline_kernelINS0_14default_configENS1_36segmented_radix_sort_config_selectorI12hip_bfloat16lEEZNS1_25segmented_radix_sort_implIS3_Lb0EPKS5_PS5_PKlPlN2at6native12_GLOBAL__N_18offset_tEEE10hipError_tPvRmT1_PNSt15iterator_traitsISL_E10value_typeET2_T3_PNSM_ISR_E10value_typeET4_jRbjT5_SX_jjP12ihipStream_tbEUlT_E0_NS1_11comp_targetILNS1_3genE8ELNS1_11target_archE1030ELNS1_3gpuE2ELNS1_3repE0EEENS1_60segmented_radix_sort_warp_sort_medium_config_static_selectorELNS0_4arch9wavefront6targetE0EEEvSL_
                                        ; -- End function
	.set _ZN7rocprim17ROCPRIM_400000_NS6detail17trampoline_kernelINS0_14default_configENS1_36segmented_radix_sort_config_selectorI12hip_bfloat16lEEZNS1_25segmented_radix_sort_implIS3_Lb0EPKS5_PS5_PKlPlN2at6native12_GLOBAL__N_18offset_tEEE10hipError_tPvRmT1_PNSt15iterator_traitsISL_E10value_typeET2_T3_PNSM_ISR_E10value_typeET4_jRbjT5_SX_jjP12ihipStream_tbEUlT_E0_NS1_11comp_targetILNS1_3genE8ELNS1_11target_archE1030ELNS1_3gpuE2ELNS1_3repE0EEENS1_60segmented_radix_sort_warp_sort_medium_config_static_selectorELNS0_4arch9wavefront6targetE0EEEvSL_.num_vgpr, 0
	.set _ZN7rocprim17ROCPRIM_400000_NS6detail17trampoline_kernelINS0_14default_configENS1_36segmented_radix_sort_config_selectorI12hip_bfloat16lEEZNS1_25segmented_radix_sort_implIS3_Lb0EPKS5_PS5_PKlPlN2at6native12_GLOBAL__N_18offset_tEEE10hipError_tPvRmT1_PNSt15iterator_traitsISL_E10value_typeET2_T3_PNSM_ISR_E10value_typeET4_jRbjT5_SX_jjP12ihipStream_tbEUlT_E0_NS1_11comp_targetILNS1_3genE8ELNS1_11target_archE1030ELNS1_3gpuE2ELNS1_3repE0EEENS1_60segmented_radix_sort_warp_sort_medium_config_static_selectorELNS0_4arch9wavefront6targetE0EEEvSL_.num_agpr, 0
	.set _ZN7rocprim17ROCPRIM_400000_NS6detail17trampoline_kernelINS0_14default_configENS1_36segmented_radix_sort_config_selectorI12hip_bfloat16lEEZNS1_25segmented_radix_sort_implIS3_Lb0EPKS5_PS5_PKlPlN2at6native12_GLOBAL__N_18offset_tEEE10hipError_tPvRmT1_PNSt15iterator_traitsISL_E10value_typeET2_T3_PNSM_ISR_E10value_typeET4_jRbjT5_SX_jjP12ihipStream_tbEUlT_E0_NS1_11comp_targetILNS1_3genE8ELNS1_11target_archE1030ELNS1_3gpuE2ELNS1_3repE0EEENS1_60segmented_radix_sort_warp_sort_medium_config_static_selectorELNS0_4arch9wavefront6targetE0EEEvSL_.numbered_sgpr, 0
	.set _ZN7rocprim17ROCPRIM_400000_NS6detail17trampoline_kernelINS0_14default_configENS1_36segmented_radix_sort_config_selectorI12hip_bfloat16lEEZNS1_25segmented_radix_sort_implIS3_Lb0EPKS5_PS5_PKlPlN2at6native12_GLOBAL__N_18offset_tEEE10hipError_tPvRmT1_PNSt15iterator_traitsISL_E10value_typeET2_T3_PNSM_ISR_E10value_typeET4_jRbjT5_SX_jjP12ihipStream_tbEUlT_E0_NS1_11comp_targetILNS1_3genE8ELNS1_11target_archE1030ELNS1_3gpuE2ELNS1_3repE0EEENS1_60segmented_radix_sort_warp_sort_medium_config_static_selectorELNS0_4arch9wavefront6targetE0EEEvSL_.num_named_barrier, 0
	.set _ZN7rocprim17ROCPRIM_400000_NS6detail17trampoline_kernelINS0_14default_configENS1_36segmented_radix_sort_config_selectorI12hip_bfloat16lEEZNS1_25segmented_radix_sort_implIS3_Lb0EPKS5_PS5_PKlPlN2at6native12_GLOBAL__N_18offset_tEEE10hipError_tPvRmT1_PNSt15iterator_traitsISL_E10value_typeET2_T3_PNSM_ISR_E10value_typeET4_jRbjT5_SX_jjP12ihipStream_tbEUlT_E0_NS1_11comp_targetILNS1_3genE8ELNS1_11target_archE1030ELNS1_3gpuE2ELNS1_3repE0EEENS1_60segmented_radix_sort_warp_sort_medium_config_static_selectorELNS0_4arch9wavefront6targetE0EEEvSL_.private_seg_size, 0
	.set _ZN7rocprim17ROCPRIM_400000_NS6detail17trampoline_kernelINS0_14default_configENS1_36segmented_radix_sort_config_selectorI12hip_bfloat16lEEZNS1_25segmented_radix_sort_implIS3_Lb0EPKS5_PS5_PKlPlN2at6native12_GLOBAL__N_18offset_tEEE10hipError_tPvRmT1_PNSt15iterator_traitsISL_E10value_typeET2_T3_PNSM_ISR_E10value_typeET4_jRbjT5_SX_jjP12ihipStream_tbEUlT_E0_NS1_11comp_targetILNS1_3genE8ELNS1_11target_archE1030ELNS1_3gpuE2ELNS1_3repE0EEENS1_60segmented_radix_sort_warp_sort_medium_config_static_selectorELNS0_4arch9wavefront6targetE0EEEvSL_.uses_vcc, 0
	.set _ZN7rocprim17ROCPRIM_400000_NS6detail17trampoline_kernelINS0_14default_configENS1_36segmented_radix_sort_config_selectorI12hip_bfloat16lEEZNS1_25segmented_radix_sort_implIS3_Lb0EPKS5_PS5_PKlPlN2at6native12_GLOBAL__N_18offset_tEEE10hipError_tPvRmT1_PNSt15iterator_traitsISL_E10value_typeET2_T3_PNSM_ISR_E10value_typeET4_jRbjT5_SX_jjP12ihipStream_tbEUlT_E0_NS1_11comp_targetILNS1_3genE8ELNS1_11target_archE1030ELNS1_3gpuE2ELNS1_3repE0EEENS1_60segmented_radix_sort_warp_sort_medium_config_static_selectorELNS0_4arch9wavefront6targetE0EEEvSL_.uses_flat_scratch, 0
	.set _ZN7rocprim17ROCPRIM_400000_NS6detail17trampoline_kernelINS0_14default_configENS1_36segmented_radix_sort_config_selectorI12hip_bfloat16lEEZNS1_25segmented_radix_sort_implIS3_Lb0EPKS5_PS5_PKlPlN2at6native12_GLOBAL__N_18offset_tEEE10hipError_tPvRmT1_PNSt15iterator_traitsISL_E10value_typeET2_T3_PNSM_ISR_E10value_typeET4_jRbjT5_SX_jjP12ihipStream_tbEUlT_E0_NS1_11comp_targetILNS1_3genE8ELNS1_11target_archE1030ELNS1_3gpuE2ELNS1_3repE0EEENS1_60segmented_radix_sort_warp_sort_medium_config_static_selectorELNS0_4arch9wavefront6targetE0EEEvSL_.has_dyn_sized_stack, 0
	.set _ZN7rocprim17ROCPRIM_400000_NS6detail17trampoline_kernelINS0_14default_configENS1_36segmented_radix_sort_config_selectorI12hip_bfloat16lEEZNS1_25segmented_radix_sort_implIS3_Lb0EPKS5_PS5_PKlPlN2at6native12_GLOBAL__N_18offset_tEEE10hipError_tPvRmT1_PNSt15iterator_traitsISL_E10value_typeET2_T3_PNSM_ISR_E10value_typeET4_jRbjT5_SX_jjP12ihipStream_tbEUlT_E0_NS1_11comp_targetILNS1_3genE8ELNS1_11target_archE1030ELNS1_3gpuE2ELNS1_3repE0EEENS1_60segmented_radix_sort_warp_sort_medium_config_static_selectorELNS0_4arch9wavefront6targetE0EEEvSL_.has_recursion, 0
	.set _ZN7rocprim17ROCPRIM_400000_NS6detail17trampoline_kernelINS0_14default_configENS1_36segmented_radix_sort_config_selectorI12hip_bfloat16lEEZNS1_25segmented_radix_sort_implIS3_Lb0EPKS5_PS5_PKlPlN2at6native12_GLOBAL__N_18offset_tEEE10hipError_tPvRmT1_PNSt15iterator_traitsISL_E10value_typeET2_T3_PNSM_ISR_E10value_typeET4_jRbjT5_SX_jjP12ihipStream_tbEUlT_E0_NS1_11comp_targetILNS1_3genE8ELNS1_11target_archE1030ELNS1_3gpuE2ELNS1_3repE0EEENS1_60segmented_radix_sort_warp_sort_medium_config_static_selectorELNS0_4arch9wavefront6targetE0EEEvSL_.has_indirect_call, 0
	.section	.AMDGPU.csdata,"",@progbits
; Kernel info:
; codeLenInByte = 0
; TotalNumSgprs: 0
; NumVgprs: 0
; ScratchSize: 0
; MemoryBound: 0
; FloatMode: 240
; IeeeMode: 1
; LDSByteSize: 0 bytes/workgroup (compile time only)
; SGPRBlocks: 0
; VGPRBlocks: 0
; NumSGPRsForWavesPerEU: 1
; NumVGPRsForWavesPerEU: 1
; Occupancy: 16
; WaveLimiterHint : 0
; COMPUTE_PGM_RSRC2:SCRATCH_EN: 0
; COMPUTE_PGM_RSRC2:USER_SGPR: 2
; COMPUTE_PGM_RSRC2:TRAP_HANDLER: 0
; COMPUTE_PGM_RSRC2:TGID_X_EN: 1
; COMPUTE_PGM_RSRC2:TGID_Y_EN: 0
; COMPUTE_PGM_RSRC2:TGID_Z_EN: 0
; COMPUTE_PGM_RSRC2:TIDIG_COMP_CNT: 0
	.section	.text._ZN7rocprim17ROCPRIM_400000_NS6detail17trampoline_kernelINS0_14default_configENS1_36segmented_radix_sort_config_selectorI12hip_bfloat16lEEZNS1_25segmented_radix_sort_implIS3_Lb0EPKS5_PS5_PKlPlN2at6native12_GLOBAL__N_18offset_tEEE10hipError_tPvRmT1_PNSt15iterator_traitsISL_E10value_typeET2_T3_PNSM_ISR_E10value_typeET4_jRbjT5_SX_jjP12ihipStream_tbEUlT_E1_NS1_11comp_targetILNS1_3genE0ELNS1_11target_archE4294967295ELNS1_3gpuE0ELNS1_3repE0EEENS1_59segmented_radix_sort_warp_sort_small_config_static_selectorELNS0_4arch9wavefront6targetE0EEEvSL_,"axG",@progbits,_ZN7rocprim17ROCPRIM_400000_NS6detail17trampoline_kernelINS0_14default_configENS1_36segmented_radix_sort_config_selectorI12hip_bfloat16lEEZNS1_25segmented_radix_sort_implIS3_Lb0EPKS5_PS5_PKlPlN2at6native12_GLOBAL__N_18offset_tEEE10hipError_tPvRmT1_PNSt15iterator_traitsISL_E10value_typeET2_T3_PNSM_ISR_E10value_typeET4_jRbjT5_SX_jjP12ihipStream_tbEUlT_E1_NS1_11comp_targetILNS1_3genE0ELNS1_11target_archE4294967295ELNS1_3gpuE0ELNS1_3repE0EEENS1_59segmented_radix_sort_warp_sort_small_config_static_selectorELNS0_4arch9wavefront6targetE0EEEvSL_,comdat
	.globl	_ZN7rocprim17ROCPRIM_400000_NS6detail17trampoline_kernelINS0_14default_configENS1_36segmented_radix_sort_config_selectorI12hip_bfloat16lEEZNS1_25segmented_radix_sort_implIS3_Lb0EPKS5_PS5_PKlPlN2at6native12_GLOBAL__N_18offset_tEEE10hipError_tPvRmT1_PNSt15iterator_traitsISL_E10value_typeET2_T3_PNSM_ISR_E10value_typeET4_jRbjT5_SX_jjP12ihipStream_tbEUlT_E1_NS1_11comp_targetILNS1_3genE0ELNS1_11target_archE4294967295ELNS1_3gpuE0ELNS1_3repE0EEENS1_59segmented_radix_sort_warp_sort_small_config_static_selectorELNS0_4arch9wavefront6targetE0EEEvSL_ ; -- Begin function _ZN7rocprim17ROCPRIM_400000_NS6detail17trampoline_kernelINS0_14default_configENS1_36segmented_radix_sort_config_selectorI12hip_bfloat16lEEZNS1_25segmented_radix_sort_implIS3_Lb0EPKS5_PS5_PKlPlN2at6native12_GLOBAL__N_18offset_tEEE10hipError_tPvRmT1_PNSt15iterator_traitsISL_E10value_typeET2_T3_PNSM_ISR_E10value_typeET4_jRbjT5_SX_jjP12ihipStream_tbEUlT_E1_NS1_11comp_targetILNS1_3genE0ELNS1_11target_archE4294967295ELNS1_3gpuE0ELNS1_3repE0EEENS1_59segmented_radix_sort_warp_sort_small_config_static_selectorELNS0_4arch9wavefront6targetE0EEEvSL_
	.p2align	8
	.type	_ZN7rocprim17ROCPRIM_400000_NS6detail17trampoline_kernelINS0_14default_configENS1_36segmented_radix_sort_config_selectorI12hip_bfloat16lEEZNS1_25segmented_radix_sort_implIS3_Lb0EPKS5_PS5_PKlPlN2at6native12_GLOBAL__N_18offset_tEEE10hipError_tPvRmT1_PNSt15iterator_traitsISL_E10value_typeET2_T3_PNSM_ISR_E10value_typeET4_jRbjT5_SX_jjP12ihipStream_tbEUlT_E1_NS1_11comp_targetILNS1_3genE0ELNS1_11target_archE4294967295ELNS1_3gpuE0ELNS1_3repE0EEENS1_59segmented_radix_sort_warp_sort_small_config_static_selectorELNS0_4arch9wavefront6targetE0EEEvSL_,@function
_ZN7rocprim17ROCPRIM_400000_NS6detail17trampoline_kernelINS0_14default_configENS1_36segmented_radix_sort_config_selectorI12hip_bfloat16lEEZNS1_25segmented_radix_sort_implIS3_Lb0EPKS5_PS5_PKlPlN2at6native12_GLOBAL__N_18offset_tEEE10hipError_tPvRmT1_PNSt15iterator_traitsISL_E10value_typeET2_T3_PNSM_ISR_E10value_typeET4_jRbjT5_SX_jjP12ihipStream_tbEUlT_E1_NS1_11comp_targetILNS1_3genE0ELNS1_11target_archE4294967295ELNS1_3gpuE0ELNS1_3repE0EEENS1_59segmented_radix_sort_warp_sort_small_config_static_selectorELNS0_4arch9wavefront6targetE0EEEvSL_: ; @_ZN7rocprim17ROCPRIM_400000_NS6detail17trampoline_kernelINS0_14default_configENS1_36segmented_radix_sort_config_selectorI12hip_bfloat16lEEZNS1_25segmented_radix_sort_implIS3_Lb0EPKS5_PS5_PKlPlN2at6native12_GLOBAL__N_18offset_tEEE10hipError_tPvRmT1_PNSt15iterator_traitsISL_E10value_typeET2_T3_PNSM_ISR_E10value_typeET4_jRbjT5_SX_jjP12ihipStream_tbEUlT_E1_NS1_11comp_targetILNS1_3genE0ELNS1_11target_archE4294967295ELNS1_3gpuE0ELNS1_3repE0EEENS1_59segmented_radix_sort_warp_sort_small_config_static_selectorELNS0_4arch9wavefront6targetE0EEEvSL_
; %bb.0:
	.section	.rodata,"a",@progbits
	.p2align	6, 0x0
	.amdhsa_kernel _ZN7rocprim17ROCPRIM_400000_NS6detail17trampoline_kernelINS0_14default_configENS1_36segmented_radix_sort_config_selectorI12hip_bfloat16lEEZNS1_25segmented_radix_sort_implIS3_Lb0EPKS5_PS5_PKlPlN2at6native12_GLOBAL__N_18offset_tEEE10hipError_tPvRmT1_PNSt15iterator_traitsISL_E10value_typeET2_T3_PNSM_ISR_E10value_typeET4_jRbjT5_SX_jjP12ihipStream_tbEUlT_E1_NS1_11comp_targetILNS1_3genE0ELNS1_11target_archE4294967295ELNS1_3gpuE0ELNS1_3repE0EEENS1_59segmented_radix_sort_warp_sort_small_config_static_selectorELNS0_4arch9wavefront6targetE0EEEvSL_
		.amdhsa_group_segment_fixed_size 0
		.amdhsa_private_segment_fixed_size 0
		.amdhsa_kernarg_size 88
		.amdhsa_user_sgpr_count 2
		.amdhsa_user_sgpr_dispatch_ptr 0
		.amdhsa_user_sgpr_queue_ptr 0
		.amdhsa_user_sgpr_kernarg_segment_ptr 1
		.amdhsa_user_sgpr_dispatch_id 0
		.amdhsa_user_sgpr_private_segment_size 0
		.amdhsa_wavefront_size32 1
		.amdhsa_uses_dynamic_stack 0
		.amdhsa_enable_private_segment 0
		.amdhsa_system_sgpr_workgroup_id_x 1
		.amdhsa_system_sgpr_workgroup_id_y 0
		.amdhsa_system_sgpr_workgroup_id_z 0
		.amdhsa_system_sgpr_workgroup_info 0
		.amdhsa_system_vgpr_workitem_id 0
		.amdhsa_next_free_vgpr 1
		.amdhsa_next_free_sgpr 1
		.amdhsa_reserve_vcc 0
		.amdhsa_float_round_mode_32 0
		.amdhsa_float_round_mode_16_64 0
		.amdhsa_float_denorm_mode_32 3
		.amdhsa_float_denorm_mode_16_64 3
		.amdhsa_fp16_overflow 0
		.amdhsa_workgroup_processor_mode 1
		.amdhsa_memory_ordered 1
		.amdhsa_forward_progress 1
		.amdhsa_inst_pref_size 0
		.amdhsa_round_robin_scheduling 0
		.amdhsa_exception_fp_ieee_invalid_op 0
		.amdhsa_exception_fp_denorm_src 0
		.amdhsa_exception_fp_ieee_div_zero 0
		.amdhsa_exception_fp_ieee_overflow 0
		.amdhsa_exception_fp_ieee_underflow 0
		.amdhsa_exception_fp_ieee_inexact 0
		.amdhsa_exception_int_div_zero 0
	.end_amdhsa_kernel
	.section	.text._ZN7rocprim17ROCPRIM_400000_NS6detail17trampoline_kernelINS0_14default_configENS1_36segmented_radix_sort_config_selectorI12hip_bfloat16lEEZNS1_25segmented_radix_sort_implIS3_Lb0EPKS5_PS5_PKlPlN2at6native12_GLOBAL__N_18offset_tEEE10hipError_tPvRmT1_PNSt15iterator_traitsISL_E10value_typeET2_T3_PNSM_ISR_E10value_typeET4_jRbjT5_SX_jjP12ihipStream_tbEUlT_E1_NS1_11comp_targetILNS1_3genE0ELNS1_11target_archE4294967295ELNS1_3gpuE0ELNS1_3repE0EEENS1_59segmented_radix_sort_warp_sort_small_config_static_selectorELNS0_4arch9wavefront6targetE0EEEvSL_,"axG",@progbits,_ZN7rocprim17ROCPRIM_400000_NS6detail17trampoline_kernelINS0_14default_configENS1_36segmented_radix_sort_config_selectorI12hip_bfloat16lEEZNS1_25segmented_radix_sort_implIS3_Lb0EPKS5_PS5_PKlPlN2at6native12_GLOBAL__N_18offset_tEEE10hipError_tPvRmT1_PNSt15iterator_traitsISL_E10value_typeET2_T3_PNSM_ISR_E10value_typeET4_jRbjT5_SX_jjP12ihipStream_tbEUlT_E1_NS1_11comp_targetILNS1_3genE0ELNS1_11target_archE4294967295ELNS1_3gpuE0ELNS1_3repE0EEENS1_59segmented_radix_sort_warp_sort_small_config_static_selectorELNS0_4arch9wavefront6targetE0EEEvSL_,comdat
.Lfunc_end2069:
	.size	_ZN7rocprim17ROCPRIM_400000_NS6detail17trampoline_kernelINS0_14default_configENS1_36segmented_radix_sort_config_selectorI12hip_bfloat16lEEZNS1_25segmented_radix_sort_implIS3_Lb0EPKS5_PS5_PKlPlN2at6native12_GLOBAL__N_18offset_tEEE10hipError_tPvRmT1_PNSt15iterator_traitsISL_E10value_typeET2_T3_PNSM_ISR_E10value_typeET4_jRbjT5_SX_jjP12ihipStream_tbEUlT_E1_NS1_11comp_targetILNS1_3genE0ELNS1_11target_archE4294967295ELNS1_3gpuE0ELNS1_3repE0EEENS1_59segmented_radix_sort_warp_sort_small_config_static_selectorELNS0_4arch9wavefront6targetE0EEEvSL_, .Lfunc_end2069-_ZN7rocprim17ROCPRIM_400000_NS6detail17trampoline_kernelINS0_14default_configENS1_36segmented_radix_sort_config_selectorI12hip_bfloat16lEEZNS1_25segmented_radix_sort_implIS3_Lb0EPKS5_PS5_PKlPlN2at6native12_GLOBAL__N_18offset_tEEE10hipError_tPvRmT1_PNSt15iterator_traitsISL_E10value_typeET2_T3_PNSM_ISR_E10value_typeET4_jRbjT5_SX_jjP12ihipStream_tbEUlT_E1_NS1_11comp_targetILNS1_3genE0ELNS1_11target_archE4294967295ELNS1_3gpuE0ELNS1_3repE0EEENS1_59segmented_radix_sort_warp_sort_small_config_static_selectorELNS0_4arch9wavefront6targetE0EEEvSL_
                                        ; -- End function
	.set _ZN7rocprim17ROCPRIM_400000_NS6detail17trampoline_kernelINS0_14default_configENS1_36segmented_radix_sort_config_selectorI12hip_bfloat16lEEZNS1_25segmented_radix_sort_implIS3_Lb0EPKS5_PS5_PKlPlN2at6native12_GLOBAL__N_18offset_tEEE10hipError_tPvRmT1_PNSt15iterator_traitsISL_E10value_typeET2_T3_PNSM_ISR_E10value_typeET4_jRbjT5_SX_jjP12ihipStream_tbEUlT_E1_NS1_11comp_targetILNS1_3genE0ELNS1_11target_archE4294967295ELNS1_3gpuE0ELNS1_3repE0EEENS1_59segmented_radix_sort_warp_sort_small_config_static_selectorELNS0_4arch9wavefront6targetE0EEEvSL_.num_vgpr, 0
	.set _ZN7rocprim17ROCPRIM_400000_NS6detail17trampoline_kernelINS0_14default_configENS1_36segmented_radix_sort_config_selectorI12hip_bfloat16lEEZNS1_25segmented_radix_sort_implIS3_Lb0EPKS5_PS5_PKlPlN2at6native12_GLOBAL__N_18offset_tEEE10hipError_tPvRmT1_PNSt15iterator_traitsISL_E10value_typeET2_T3_PNSM_ISR_E10value_typeET4_jRbjT5_SX_jjP12ihipStream_tbEUlT_E1_NS1_11comp_targetILNS1_3genE0ELNS1_11target_archE4294967295ELNS1_3gpuE0ELNS1_3repE0EEENS1_59segmented_radix_sort_warp_sort_small_config_static_selectorELNS0_4arch9wavefront6targetE0EEEvSL_.num_agpr, 0
	.set _ZN7rocprim17ROCPRIM_400000_NS6detail17trampoline_kernelINS0_14default_configENS1_36segmented_radix_sort_config_selectorI12hip_bfloat16lEEZNS1_25segmented_radix_sort_implIS3_Lb0EPKS5_PS5_PKlPlN2at6native12_GLOBAL__N_18offset_tEEE10hipError_tPvRmT1_PNSt15iterator_traitsISL_E10value_typeET2_T3_PNSM_ISR_E10value_typeET4_jRbjT5_SX_jjP12ihipStream_tbEUlT_E1_NS1_11comp_targetILNS1_3genE0ELNS1_11target_archE4294967295ELNS1_3gpuE0ELNS1_3repE0EEENS1_59segmented_radix_sort_warp_sort_small_config_static_selectorELNS0_4arch9wavefront6targetE0EEEvSL_.numbered_sgpr, 0
	.set _ZN7rocprim17ROCPRIM_400000_NS6detail17trampoline_kernelINS0_14default_configENS1_36segmented_radix_sort_config_selectorI12hip_bfloat16lEEZNS1_25segmented_radix_sort_implIS3_Lb0EPKS5_PS5_PKlPlN2at6native12_GLOBAL__N_18offset_tEEE10hipError_tPvRmT1_PNSt15iterator_traitsISL_E10value_typeET2_T3_PNSM_ISR_E10value_typeET4_jRbjT5_SX_jjP12ihipStream_tbEUlT_E1_NS1_11comp_targetILNS1_3genE0ELNS1_11target_archE4294967295ELNS1_3gpuE0ELNS1_3repE0EEENS1_59segmented_radix_sort_warp_sort_small_config_static_selectorELNS0_4arch9wavefront6targetE0EEEvSL_.num_named_barrier, 0
	.set _ZN7rocprim17ROCPRIM_400000_NS6detail17trampoline_kernelINS0_14default_configENS1_36segmented_radix_sort_config_selectorI12hip_bfloat16lEEZNS1_25segmented_radix_sort_implIS3_Lb0EPKS5_PS5_PKlPlN2at6native12_GLOBAL__N_18offset_tEEE10hipError_tPvRmT1_PNSt15iterator_traitsISL_E10value_typeET2_T3_PNSM_ISR_E10value_typeET4_jRbjT5_SX_jjP12ihipStream_tbEUlT_E1_NS1_11comp_targetILNS1_3genE0ELNS1_11target_archE4294967295ELNS1_3gpuE0ELNS1_3repE0EEENS1_59segmented_radix_sort_warp_sort_small_config_static_selectorELNS0_4arch9wavefront6targetE0EEEvSL_.private_seg_size, 0
	.set _ZN7rocprim17ROCPRIM_400000_NS6detail17trampoline_kernelINS0_14default_configENS1_36segmented_radix_sort_config_selectorI12hip_bfloat16lEEZNS1_25segmented_radix_sort_implIS3_Lb0EPKS5_PS5_PKlPlN2at6native12_GLOBAL__N_18offset_tEEE10hipError_tPvRmT1_PNSt15iterator_traitsISL_E10value_typeET2_T3_PNSM_ISR_E10value_typeET4_jRbjT5_SX_jjP12ihipStream_tbEUlT_E1_NS1_11comp_targetILNS1_3genE0ELNS1_11target_archE4294967295ELNS1_3gpuE0ELNS1_3repE0EEENS1_59segmented_radix_sort_warp_sort_small_config_static_selectorELNS0_4arch9wavefront6targetE0EEEvSL_.uses_vcc, 0
	.set _ZN7rocprim17ROCPRIM_400000_NS6detail17trampoline_kernelINS0_14default_configENS1_36segmented_radix_sort_config_selectorI12hip_bfloat16lEEZNS1_25segmented_radix_sort_implIS3_Lb0EPKS5_PS5_PKlPlN2at6native12_GLOBAL__N_18offset_tEEE10hipError_tPvRmT1_PNSt15iterator_traitsISL_E10value_typeET2_T3_PNSM_ISR_E10value_typeET4_jRbjT5_SX_jjP12ihipStream_tbEUlT_E1_NS1_11comp_targetILNS1_3genE0ELNS1_11target_archE4294967295ELNS1_3gpuE0ELNS1_3repE0EEENS1_59segmented_radix_sort_warp_sort_small_config_static_selectorELNS0_4arch9wavefront6targetE0EEEvSL_.uses_flat_scratch, 0
	.set _ZN7rocprim17ROCPRIM_400000_NS6detail17trampoline_kernelINS0_14default_configENS1_36segmented_radix_sort_config_selectorI12hip_bfloat16lEEZNS1_25segmented_radix_sort_implIS3_Lb0EPKS5_PS5_PKlPlN2at6native12_GLOBAL__N_18offset_tEEE10hipError_tPvRmT1_PNSt15iterator_traitsISL_E10value_typeET2_T3_PNSM_ISR_E10value_typeET4_jRbjT5_SX_jjP12ihipStream_tbEUlT_E1_NS1_11comp_targetILNS1_3genE0ELNS1_11target_archE4294967295ELNS1_3gpuE0ELNS1_3repE0EEENS1_59segmented_radix_sort_warp_sort_small_config_static_selectorELNS0_4arch9wavefront6targetE0EEEvSL_.has_dyn_sized_stack, 0
	.set _ZN7rocprim17ROCPRIM_400000_NS6detail17trampoline_kernelINS0_14default_configENS1_36segmented_radix_sort_config_selectorI12hip_bfloat16lEEZNS1_25segmented_radix_sort_implIS3_Lb0EPKS5_PS5_PKlPlN2at6native12_GLOBAL__N_18offset_tEEE10hipError_tPvRmT1_PNSt15iterator_traitsISL_E10value_typeET2_T3_PNSM_ISR_E10value_typeET4_jRbjT5_SX_jjP12ihipStream_tbEUlT_E1_NS1_11comp_targetILNS1_3genE0ELNS1_11target_archE4294967295ELNS1_3gpuE0ELNS1_3repE0EEENS1_59segmented_radix_sort_warp_sort_small_config_static_selectorELNS0_4arch9wavefront6targetE0EEEvSL_.has_recursion, 0
	.set _ZN7rocprim17ROCPRIM_400000_NS6detail17trampoline_kernelINS0_14default_configENS1_36segmented_radix_sort_config_selectorI12hip_bfloat16lEEZNS1_25segmented_radix_sort_implIS3_Lb0EPKS5_PS5_PKlPlN2at6native12_GLOBAL__N_18offset_tEEE10hipError_tPvRmT1_PNSt15iterator_traitsISL_E10value_typeET2_T3_PNSM_ISR_E10value_typeET4_jRbjT5_SX_jjP12ihipStream_tbEUlT_E1_NS1_11comp_targetILNS1_3genE0ELNS1_11target_archE4294967295ELNS1_3gpuE0ELNS1_3repE0EEENS1_59segmented_radix_sort_warp_sort_small_config_static_selectorELNS0_4arch9wavefront6targetE0EEEvSL_.has_indirect_call, 0
	.section	.AMDGPU.csdata,"",@progbits
; Kernel info:
; codeLenInByte = 0
; TotalNumSgprs: 0
; NumVgprs: 0
; ScratchSize: 0
; MemoryBound: 0
; FloatMode: 240
; IeeeMode: 1
; LDSByteSize: 0 bytes/workgroup (compile time only)
; SGPRBlocks: 0
; VGPRBlocks: 0
; NumSGPRsForWavesPerEU: 1
; NumVGPRsForWavesPerEU: 1
; Occupancy: 16
; WaveLimiterHint : 0
; COMPUTE_PGM_RSRC2:SCRATCH_EN: 0
; COMPUTE_PGM_RSRC2:USER_SGPR: 2
; COMPUTE_PGM_RSRC2:TRAP_HANDLER: 0
; COMPUTE_PGM_RSRC2:TGID_X_EN: 1
; COMPUTE_PGM_RSRC2:TGID_Y_EN: 0
; COMPUTE_PGM_RSRC2:TGID_Z_EN: 0
; COMPUTE_PGM_RSRC2:TIDIG_COMP_CNT: 0
	.section	.text._ZN7rocprim17ROCPRIM_400000_NS6detail17trampoline_kernelINS0_14default_configENS1_36segmented_radix_sort_config_selectorI12hip_bfloat16lEEZNS1_25segmented_radix_sort_implIS3_Lb0EPKS5_PS5_PKlPlN2at6native12_GLOBAL__N_18offset_tEEE10hipError_tPvRmT1_PNSt15iterator_traitsISL_E10value_typeET2_T3_PNSM_ISR_E10value_typeET4_jRbjT5_SX_jjP12ihipStream_tbEUlT_E1_NS1_11comp_targetILNS1_3genE5ELNS1_11target_archE942ELNS1_3gpuE9ELNS1_3repE0EEENS1_59segmented_radix_sort_warp_sort_small_config_static_selectorELNS0_4arch9wavefront6targetE0EEEvSL_,"axG",@progbits,_ZN7rocprim17ROCPRIM_400000_NS6detail17trampoline_kernelINS0_14default_configENS1_36segmented_radix_sort_config_selectorI12hip_bfloat16lEEZNS1_25segmented_radix_sort_implIS3_Lb0EPKS5_PS5_PKlPlN2at6native12_GLOBAL__N_18offset_tEEE10hipError_tPvRmT1_PNSt15iterator_traitsISL_E10value_typeET2_T3_PNSM_ISR_E10value_typeET4_jRbjT5_SX_jjP12ihipStream_tbEUlT_E1_NS1_11comp_targetILNS1_3genE5ELNS1_11target_archE942ELNS1_3gpuE9ELNS1_3repE0EEENS1_59segmented_radix_sort_warp_sort_small_config_static_selectorELNS0_4arch9wavefront6targetE0EEEvSL_,comdat
	.globl	_ZN7rocprim17ROCPRIM_400000_NS6detail17trampoline_kernelINS0_14default_configENS1_36segmented_radix_sort_config_selectorI12hip_bfloat16lEEZNS1_25segmented_radix_sort_implIS3_Lb0EPKS5_PS5_PKlPlN2at6native12_GLOBAL__N_18offset_tEEE10hipError_tPvRmT1_PNSt15iterator_traitsISL_E10value_typeET2_T3_PNSM_ISR_E10value_typeET4_jRbjT5_SX_jjP12ihipStream_tbEUlT_E1_NS1_11comp_targetILNS1_3genE5ELNS1_11target_archE942ELNS1_3gpuE9ELNS1_3repE0EEENS1_59segmented_radix_sort_warp_sort_small_config_static_selectorELNS0_4arch9wavefront6targetE0EEEvSL_ ; -- Begin function _ZN7rocprim17ROCPRIM_400000_NS6detail17trampoline_kernelINS0_14default_configENS1_36segmented_radix_sort_config_selectorI12hip_bfloat16lEEZNS1_25segmented_radix_sort_implIS3_Lb0EPKS5_PS5_PKlPlN2at6native12_GLOBAL__N_18offset_tEEE10hipError_tPvRmT1_PNSt15iterator_traitsISL_E10value_typeET2_T3_PNSM_ISR_E10value_typeET4_jRbjT5_SX_jjP12ihipStream_tbEUlT_E1_NS1_11comp_targetILNS1_3genE5ELNS1_11target_archE942ELNS1_3gpuE9ELNS1_3repE0EEENS1_59segmented_radix_sort_warp_sort_small_config_static_selectorELNS0_4arch9wavefront6targetE0EEEvSL_
	.p2align	8
	.type	_ZN7rocprim17ROCPRIM_400000_NS6detail17trampoline_kernelINS0_14default_configENS1_36segmented_radix_sort_config_selectorI12hip_bfloat16lEEZNS1_25segmented_radix_sort_implIS3_Lb0EPKS5_PS5_PKlPlN2at6native12_GLOBAL__N_18offset_tEEE10hipError_tPvRmT1_PNSt15iterator_traitsISL_E10value_typeET2_T3_PNSM_ISR_E10value_typeET4_jRbjT5_SX_jjP12ihipStream_tbEUlT_E1_NS1_11comp_targetILNS1_3genE5ELNS1_11target_archE942ELNS1_3gpuE9ELNS1_3repE0EEENS1_59segmented_radix_sort_warp_sort_small_config_static_selectorELNS0_4arch9wavefront6targetE0EEEvSL_,@function
_ZN7rocprim17ROCPRIM_400000_NS6detail17trampoline_kernelINS0_14default_configENS1_36segmented_radix_sort_config_selectorI12hip_bfloat16lEEZNS1_25segmented_radix_sort_implIS3_Lb0EPKS5_PS5_PKlPlN2at6native12_GLOBAL__N_18offset_tEEE10hipError_tPvRmT1_PNSt15iterator_traitsISL_E10value_typeET2_T3_PNSM_ISR_E10value_typeET4_jRbjT5_SX_jjP12ihipStream_tbEUlT_E1_NS1_11comp_targetILNS1_3genE5ELNS1_11target_archE942ELNS1_3gpuE9ELNS1_3repE0EEENS1_59segmented_radix_sort_warp_sort_small_config_static_selectorELNS0_4arch9wavefront6targetE0EEEvSL_: ; @_ZN7rocprim17ROCPRIM_400000_NS6detail17trampoline_kernelINS0_14default_configENS1_36segmented_radix_sort_config_selectorI12hip_bfloat16lEEZNS1_25segmented_radix_sort_implIS3_Lb0EPKS5_PS5_PKlPlN2at6native12_GLOBAL__N_18offset_tEEE10hipError_tPvRmT1_PNSt15iterator_traitsISL_E10value_typeET2_T3_PNSM_ISR_E10value_typeET4_jRbjT5_SX_jjP12ihipStream_tbEUlT_E1_NS1_11comp_targetILNS1_3genE5ELNS1_11target_archE942ELNS1_3gpuE9ELNS1_3repE0EEENS1_59segmented_radix_sort_warp_sort_small_config_static_selectorELNS0_4arch9wavefront6targetE0EEEvSL_
; %bb.0:
	.section	.rodata,"a",@progbits
	.p2align	6, 0x0
	.amdhsa_kernel _ZN7rocprim17ROCPRIM_400000_NS6detail17trampoline_kernelINS0_14default_configENS1_36segmented_radix_sort_config_selectorI12hip_bfloat16lEEZNS1_25segmented_radix_sort_implIS3_Lb0EPKS5_PS5_PKlPlN2at6native12_GLOBAL__N_18offset_tEEE10hipError_tPvRmT1_PNSt15iterator_traitsISL_E10value_typeET2_T3_PNSM_ISR_E10value_typeET4_jRbjT5_SX_jjP12ihipStream_tbEUlT_E1_NS1_11comp_targetILNS1_3genE5ELNS1_11target_archE942ELNS1_3gpuE9ELNS1_3repE0EEENS1_59segmented_radix_sort_warp_sort_small_config_static_selectorELNS0_4arch9wavefront6targetE0EEEvSL_
		.amdhsa_group_segment_fixed_size 0
		.amdhsa_private_segment_fixed_size 0
		.amdhsa_kernarg_size 88
		.amdhsa_user_sgpr_count 2
		.amdhsa_user_sgpr_dispatch_ptr 0
		.amdhsa_user_sgpr_queue_ptr 0
		.amdhsa_user_sgpr_kernarg_segment_ptr 1
		.amdhsa_user_sgpr_dispatch_id 0
		.amdhsa_user_sgpr_private_segment_size 0
		.amdhsa_wavefront_size32 1
		.amdhsa_uses_dynamic_stack 0
		.amdhsa_enable_private_segment 0
		.amdhsa_system_sgpr_workgroup_id_x 1
		.amdhsa_system_sgpr_workgroup_id_y 0
		.amdhsa_system_sgpr_workgroup_id_z 0
		.amdhsa_system_sgpr_workgroup_info 0
		.amdhsa_system_vgpr_workitem_id 0
		.amdhsa_next_free_vgpr 1
		.amdhsa_next_free_sgpr 1
		.amdhsa_reserve_vcc 0
		.amdhsa_float_round_mode_32 0
		.amdhsa_float_round_mode_16_64 0
		.amdhsa_float_denorm_mode_32 3
		.amdhsa_float_denorm_mode_16_64 3
		.amdhsa_fp16_overflow 0
		.amdhsa_workgroup_processor_mode 1
		.amdhsa_memory_ordered 1
		.amdhsa_forward_progress 1
		.amdhsa_inst_pref_size 0
		.amdhsa_round_robin_scheduling 0
		.amdhsa_exception_fp_ieee_invalid_op 0
		.amdhsa_exception_fp_denorm_src 0
		.amdhsa_exception_fp_ieee_div_zero 0
		.amdhsa_exception_fp_ieee_overflow 0
		.amdhsa_exception_fp_ieee_underflow 0
		.amdhsa_exception_fp_ieee_inexact 0
		.amdhsa_exception_int_div_zero 0
	.end_amdhsa_kernel
	.section	.text._ZN7rocprim17ROCPRIM_400000_NS6detail17trampoline_kernelINS0_14default_configENS1_36segmented_radix_sort_config_selectorI12hip_bfloat16lEEZNS1_25segmented_radix_sort_implIS3_Lb0EPKS5_PS5_PKlPlN2at6native12_GLOBAL__N_18offset_tEEE10hipError_tPvRmT1_PNSt15iterator_traitsISL_E10value_typeET2_T3_PNSM_ISR_E10value_typeET4_jRbjT5_SX_jjP12ihipStream_tbEUlT_E1_NS1_11comp_targetILNS1_3genE5ELNS1_11target_archE942ELNS1_3gpuE9ELNS1_3repE0EEENS1_59segmented_radix_sort_warp_sort_small_config_static_selectorELNS0_4arch9wavefront6targetE0EEEvSL_,"axG",@progbits,_ZN7rocprim17ROCPRIM_400000_NS6detail17trampoline_kernelINS0_14default_configENS1_36segmented_radix_sort_config_selectorI12hip_bfloat16lEEZNS1_25segmented_radix_sort_implIS3_Lb0EPKS5_PS5_PKlPlN2at6native12_GLOBAL__N_18offset_tEEE10hipError_tPvRmT1_PNSt15iterator_traitsISL_E10value_typeET2_T3_PNSM_ISR_E10value_typeET4_jRbjT5_SX_jjP12ihipStream_tbEUlT_E1_NS1_11comp_targetILNS1_3genE5ELNS1_11target_archE942ELNS1_3gpuE9ELNS1_3repE0EEENS1_59segmented_radix_sort_warp_sort_small_config_static_selectorELNS0_4arch9wavefront6targetE0EEEvSL_,comdat
.Lfunc_end2070:
	.size	_ZN7rocprim17ROCPRIM_400000_NS6detail17trampoline_kernelINS0_14default_configENS1_36segmented_radix_sort_config_selectorI12hip_bfloat16lEEZNS1_25segmented_radix_sort_implIS3_Lb0EPKS5_PS5_PKlPlN2at6native12_GLOBAL__N_18offset_tEEE10hipError_tPvRmT1_PNSt15iterator_traitsISL_E10value_typeET2_T3_PNSM_ISR_E10value_typeET4_jRbjT5_SX_jjP12ihipStream_tbEUlT_E1_NS1_11comp_targetILNS1_3genE5ELNS1_11target_archE942ELNS1_3gpuE9ELNS1_3repE0EEENS1_59segmented_radix_sort_warp_sort_small_config_static_selectorELNS0_4arch9wavefront6targetE0EEEvSL_, .Lfunc_end2070-_ZN7rocprim17ROCPRIM_400000_NS6detail17trampoline_kernelINS0_14default_configENS1_36segmented_radix_sort_config_selectorI12hip_bfloat16lEEZNS1_25segmented_radix_sort_implIS3_Lb0EPKS5_PS5_PKlPlN2at6native12_GLOBAL__N_18offset_tEEE10hipError_tPvRmT1_PNSt15iterator_traitsISL_E10value_typeET2_T3_PNSM_ISR_E10value_typeET4_jRbjT5_SX_jjP12ihipStream_tbEUlT_E1_NS1_11comp_targetILNS1_3genE5ELNS1_11target_archE942ELNS1_3gpuE9ELNS1_3repE0EEENS1_59segmented_radix_sort_warp_sort_small_config_static_selectorELNS0_4arch9wavefront6targetE0EEEvSL_
                                        ; -- End function
	.set _ZN7rocprim17ROCPRIM_400000_NS6detail17trampoline_kernelINS0_14default_configENS1_36segmented_radix_sort_config_selectorI12hip_bfloat16lEEZNS1_25segmented_radix_sort_implIS3_Lb0EPKS5_PS5_PKlPlN2at6native12_GLOBAL__N_18offset_tEEE10hipError_tPvRmT1_PNSt15iterator_traitsISL_E10value_typeET2_T3_PNSM_ISR_E10value_typeET4_jRbjT5_SX_jjP12ihipStream_tbEUlT_E1_NS1_11comp_targetILNS1_3genE5ELNS1_11target_archE942ELNS1_3gpuE9ELNS1_3repE0EEENS1_59segmented_radix_sort_warp_sort_small_config_static_selectorELNS0_4arch9wavefront6targetE0EEEvSL_.num_vgpr, 0
	.set _ZN7rocprim17ROCPRIM_400000_NS6detail17trampoline_kernelINS0_14default_configENS1_36segmented_radix_sort_config_selectorI12hip_bfloat16lEEZNS1_25segmented_radix_sort_implIS3_Lb0EPKS5_PS5_PKlPlN2at6native12_GLOBAL__N_18offset_tEEE10hipError_tPvRmT1_PNSt15iterator_traitsISL_E10value_typeET2_T3_PNSM_ISR_E10value_typeET4_jRbjT5_SX_jjP12ihipStream_tbEUlT_E1_NS1_11comp_targetILNS1_3genE5ELNS1_11target_archE942ELNS1_3gpuE9ELNS1_3repE0EEENS1_59segmented_radix_sort_warp_sort_small_config_static_selectorELNS0_4arch9wavefront6targetE0EEEvSL_.num_agpr, 0
	.set _ZN7rocprim17ROCPRIM_400000_NS6detail17trampoline_kernelINS0_14default_configENS1_36segmented_radix_sort_config_selectorI12hip_bfloat16lEEZNS1_25segmented_radix_sort_implIS3_Lb0EPKS5_PS5_PKlPlN2at6native12_GLOBAL__N_18offset_tEEE10hipError_tPvRmT1_PNSt15iterator_traitsISL_E10value_typeET2_T3_PNSM_ISR_E10value_typeET4_jRbjT5_SX_jjP12ihipStream_tbEUlT_E1_NS1_11comp_targetILNS1_3genE5ELNS1_11target_archE942ELNS1_3gpuE9ELNS1_3repE0EEENS1_59segmented_radix_sort_warp_sort_small_config_static_selectorELNS0_4arch9wavefront6targetE0EEEvSL_.numbered_sgpr, 0
	.set _ZN7rocprim17ROCPRIM_400000_NS6detail17trampoline_kernelINS0_14default_configENS1_36segmented_radix_sort_config_selectorI12hip_bfloat16lEEZNS1_25segmented_radix_sort_implIS3_Lb0EPKS5_PS5_PKlPlN2at6native12_GLOBAL__N_18offset_tEEE10hipError_tPvRmT1_PNSt15iterator_traitsISL_E10value_typeET2_T3_PNSM_ISR_E10value_typeET4_jRbjT5_SX_jjP12ihipStream_tbEUlT_E1_NS1_11comp_targetILNS1_3genE5ELNS1_11target_archE942ELNS1_3gpuE9ELNS1_3repE0EEENS1_59segmented_radix_sort_warp_sort_small_config_static_selectorELNS0_4arch9wavefront6targetE0EEEvSL_.num_named_barrier, 0
	.set _ZN7rocprim17ROCPRIM_400000_NS6detail17trampoline_kernelINS0_14default_configENS1_36segmented_radix_sort_config_selectorI12hip_bfloat16lEEZNS1_25segmented_radix_sort_implIS3_Lb0EPKS5_PS5_PKlPlN2at6native12_GLOBAL__N_18offset_tEEE10hipError_tPvRmT1_PNSt15iterator_traitsISL_E10value_typeET2_T3_PNSM_ISR_E10value_typeET4_jRbjT5_SX_jjP12ihipStream_tbEUlT_E1_NS1_11comp_targetILNS1_3genE5ELNS1_11target_archE942ELNS1_3gpuE9ELNS1_3repE0EEENS1_59segmented_radix_sort_warp_sort_small_config_static_selectorELNS0_4arch9wavefront6targetE0EEEvSL_.private_seg_size, 0
	.set _ZN7rocprim17ROCPRIM_400000_NS6detail17trampoline_kernelINS0_14default_configENS1_36segmented_radix_sort_config_selectorI12hip_bfloat16lEEZNS1_25segmented_radix_sort_implIS3_Lb0EPKS5_PS5_PKlPlN2at6native12_GLOBAL__N_18offset_tEEE10hipError_tPvRmT1_PNSt15iterator_traitsISL_E10value_typeET2_T3_PNSM_ISR_E10value_typeET4_jRbjT5_SX_jjP12ihipStream_tbEUlT_E1_NS1_11comp_targetILNS1_3genE5ELNS1_11target_archE942ELNS1_3gpuE9ELNS1_3repE0EEENS1_59segmented_radix_sort_warp_sort_small_config_static_selectorELNS0_4arch9wavefront6targetE0EEEvSL_.uses_vcc, 0
	.set _ZN7rocprim17ROCPRIM_400000_NS6detail17trampoline_kernelINS0_14default_configENS1_36segmented_radix_sort_config_selectorI12hip_bfloat16lEEZNS1_25segmented_radix_sort_implIS3_Lb0EPKS5_PS5_PKlPlN2at6native12_GLOBAL__N_18offset_tEEE10hipError_tPvRmT1_PNSt15iterator_traitsISL_E10value_typeET2_T3_PNSM_ISR_E10value_typeET4_jRbjT5_SX_jjP12ihipStream_tbEUlT_E1_NS1_11comp_targetILNS1_3genE5ELNS1_11target_archE942ELNS1_3gpuE9ELNS1_3repE0EEENS1_59segmented_radix_sort_warp_sort_small_config_static_selectorELNS0_4arch9wavefront6targetE0EEEvSL_.uses_flat_scratch, 0
	.set _ZN7rocprim17ROCPRIM_400000_NS6detail17trampoline_kernelINS0_14default_configENS1_36segmented_radix_sort_config_selectorI12hip_bfloat16lEEZNS1_25segmented_radix_sort_implIS3_Lb0EPKS5_PS5_PKlPlN2at6native12_GLOBAL__N_18offset_tEEE10hipError_tPvRmT1_PNSt15iterator_traitsISL_E10value_typeET2_T3_PNSM_ISR_E10value_typeET4_jRbjT5_SX_jjP12ihipStream_tbEUlT_E1_NS1_11comp_targetILNS1_3genE5ELNS1_11target_archE942ELNS1_3gpuE9ELNS1_3repE0EEENS1_59segmented_radix_sort_warp_sort_small_config_static_selectorELNS0_4arch9wavefront6targetE0EEEvSL_.has_dyn_sized_stack, 0
	.set _ZN7rocprim17ROCPRIM_400000_NS6detail17trampoline_kernelINS0_14default_configENS1_36segmented_radix_sort_config_selectorI12hip_bfloat16lEEZNS1_25segmented_radix_sort_implIS3_Lb0EPKS5_PS5_PKlPlN2at6native12_GLOBAL__N_18offset_tEEE10hipError_tPvRmT1_PNSt15iterator_traitsISL_E10value_typeET2_T3_PNSM_ISR_E10value_typeET4_jRbjT5_SX_jjP12ihipStream_tbEUlT_E1_NS1_11comp_targetILNS1_3genE5ELNS1_11target_archE942ELNS1_3gpuE9ELNS1_3repE0EEENS1_59segmented_radix_sort_warp_sort_small_config_static_selectorELNS0_4arch9wavefront6targetE0EEEvSL_.has_recursion, 0
	.set _ZN7rocprim17ROCPRIM_400000_NS6detail17trampoline_kernelINS0_14default_configENS1_36segmented_radix_sort_config_selectorI12hip_bfloat16lEEZNS1_25segmented_radix_sort_implIS3_Lb0EPKS5_PS5_PKlPlN2at6native12_GLOBAL__N_18offset_tEEE10hipError_tPvRmT1_PNSt15iterator_traitsISL_E10value_typeET2_T3_PNSM_ISR_E10value_typeET4_jRbjT5_SX_jjP12ihipStream_tbEUlT_E1_NS1_11comp_targetILNS1_3genE5ELNS1_11target_archE942ELNS1_3gpuE9ELNS1_3repE0EEENS1_59segmented_radix_sort_warp_sort_small_config_static_selectorELNS0_4arch9wavefront6targetE0EEEvSL_.has_indirect_call, 0
	.section	.AMDGPU.csdata,"",@progbits
; Kernel info:
; codeLenInByte = 0
; TotalNumSgprs: 0
; NumVgprs: 0
; ScratchSize: 0
; MemoryBound: 0
; FloatMode: 240
; IeeeMode: 1
; LDSByteSize: 0 bytes/workgroup (compile time only)
; SGPRBlocks: 0
; VGPRBlocks: 0
; NumSGPRsForWavesPerEU: 1
; NumVGPRsForWavesPerEU: 1
; Occupancy: 16
; WaveLimiterHint : 0
; COMPUTE_PGM_RSRC2:SCRATCH_EN: 0
; COMPUTE_PGM_RSRC2:USER_SGPR: 2
; COMPUTE_PGM_RSRC2:TRAP_HANDLER: 0
; COMPUTE_PGM_RSRC2:TGID_X_EN: 1
; COMPUTE_PGM_RSRC2:TGID_Y_EN: 0
; COMPUTE_PGM_RSRC2:TGID_Z_EN: 0
; COMPUTE_PGM_RSRC2:TIDIG_COMP_CNT: 0
	.section	.text._ZN7rocprim17ROCPRIM_400000_NS6detail17trampoline_kernelINS0_14default_configENS1_36segmented_radix_sort_config_selectorI12hip_bfloat16lEEZNS1_25segmented_radix_sort_implIS3_Lb0EPKS5_PS5_PKlPlN2at6native12_GLOBAL__N_18offset_tEEE10hipError_tPvRmT1_PNSt15iterator_traitsISL_E10value_typeET2_T3_PNSM_ISR_E10value_typeET4_jRbjT5_SX_jjP12ihipStream_tbEUlT_E1_NS1_11comp_targetILNS1_3genE4ELNS1_11target_archE910ELNS1_3gpuE8ELNS1_3repE0EEENS1_59segmented_radix_sort_warp_sort_small_config_static_selectorELNS0_4arch9wavefront6targetE0EEEvSL_,"axG",@progbits,_ZN7rocprim17ROCPRIM_400000_NS6detail17trampoline_kernelINS0_14default_configENS1_36segmented_radix_sort_config_selectorI12hip_bfloat16lEEZNS1_25segmented_radix_sort_implIS3_Lb0EPKS5_PS5_PKlPlN2at6native12_GLOBAL__N_18offset_tEEE10hipError_tPvRmT1_PNSt15iterator_traitsISL_E10value_typeET2_T3_PNSM_ISR_E10value_typeET4_jRbjT5_SX_jjP12ihipStream_tbEUlT_E1_NS1_11comp_targetILNS1_3genE4ELNS1_11target_archE910ELNS1_3gpuE8ELNS1_3repE0EEENS1_59segmented_radix_sort_warp_sort_small_config_static_selectorELNS0_4arch9wavefront6targetE0EEEvSL_,comdat
	.globl	_ZN7rocprim17ROCPRIM_400000_NS6detail17trampoline_kernelINS0_14default_configENS1_36segmented_radix_sort_config_selectorI12hip_bfloat16lEEZNS1_25segmented_radix_sort_implIS3_Lb0EPKS5_PS5_PKlPlN2at6native12_GLOBAL__N_18offset_tEEE10hipError_tPvRmT1_PNSt15iterator_traitsISL_E10value_typeET2_T3_PNSM_ISR_E10value_typeET4_jRbjT5_SX_jjP12ihipStream_tbEUlT_E1_NS1_11comp_targetILNS1_3genE4ELNS1_11target_archE910ELNS1_3gpuE8ELNS1_3repE0EEENS1_59segmented_radix_sort_warp_sort_small_config_static_selectorELNS0_4arch9wavefront6targetE0EEEvSL_ ; -- Begin function _ZN7rocprim17ROCPRIM_400000_NS6detail17trampoline_kernelINS0_14default_configENS1_36segmented_radix_sort_config_selectorI12hip_bfloat16lEEZNS1_25segmented_radix_sort_implIS3_Lb0EPKS5_PS5_PKlPlN2at6native12_GLOBAL__N_18offset_tEEE10hipError_tPvRmT1_PNSt15iterator_traitsISL_E10value_typeET2_T3_PNSM_ISR_E10value_typeET4_jRbjT5_SX_jjP12ihipStream_tbEUlT_E1_NS1_11comp_targetILNS1_3genE4ELNS1_11target_archE910ELNS1_3gpuE8ELNS1_3repE0EEENS1_59segmented_radix_sort_warp_sort_small_config_static_selectorELNS0_4arch9wavefront6targetE0EEEvSL_
	.p2align	8
	.type	_ZN7rocprim17ROCPRIM_400000_NS6detail17trampoline_kernelINS0_14default_configENS1_36segmented_radix_sort_config_selectorI12hip_bfloat16lEEZNS1_25segmented_radix_sort_implIS3_Lb0EPKS5_PS5_PKlPlN2at6native12_GLOBAL__N_18offset_tEEE10hipError_tPvRmT1_PNSt15iterator_traitsISL_E10value_typeET2_T3_PNSM_ISR_E10value_typeET4_jRbjT5_SX_jjP12ihipStream_tbEUlT_E1_NS1_11comp_targetILNS1_3genE4ELNS1_11target_archE910ELNS1_3gpuE8ELNS1_3repE0EEENS1_59segmented_radix_sort_warp_sort_small_config_static_selectorELNS0_4arch9wavefront6targetE0EEEvSL_,@function
_ZN7rocprim17ROCPRIM_400000_NS6detail17trampoline_kernelINS0_14default_configENS1_36segmented_radix_sort_config_selectorI12hip_bfloat16lEEZNS1_25segmented_radix_sort_implIS3_Lb0EPKS5_PS5_PKlPlN2at6native12_GLOBAL__N_18offset_tEEE10hipError_tPvRmT1_PNSt15iterator_traitsISL_E10value_typeET2_T3_PNSM_ISR_E10value_typeET4_jRbjT5_SX_jjP12ihipStream_tbEUlT_E1_NS1_11comp_targetILNS1_3genE4ELNS1_11target_archE910ELNS1_3gpuE8ELNS1_3repE0EEENS1_59segmented_radix_sort_warp_sort_small_config_static_selectorELNS0_4arch9wavefront6targetE0EEEvSL_: ; @_ZN7rocprim17ROCPRIM_400000_NS6detail17trampoline_kernelINS0_14default_configENS1_36segmented_radix_sort_config_selectorI12hip_bfloat16lEEZNS1_25segmented_radix_sort_implIS3_Lb0EPKS5_PS5_PKlPlN2at6native12_GLOBAL__N_18offset_tEEE10hipError_tPvRmT1_PNSt15iterator_traitsISL_E10value_typeET2_T3_PNSM_ISR_E10value_typeET4_jRbjT5_SX_jjP12ihipStream_tbEUlT_E1_NS1_11comp_targetILNS1_3genE4ELNS1_11target_archE910ELNS1_3gpuE8ELNS1_3repE0EEENS1_59segmented_radix_sort_warp_sort_small_config_static_selectorELNS0_4arch9wavefront6targetE0EEEvSL_
; %bb.0:
	.section	.rodata,"a",@progbits
	.p2align	6, 0x0
	.amdhsa_kernel _ZN7rocprim17ROCPRIM_400000_NS6detail17trampoline_kernelINS0_14default_configENS1_36segmented_radix_sort_config_selectorI12hip_bfloat16lEEZNS1_25segmented_radix_sort_implIS3_Lb0EPKS5_PS5_PKlPlN2at6native12_GLOBAL__N_18offset_tEEE10hipError_tPvRmT1_PNSt15iterator_traitsISL_E10value_typeET2_T3_PNSM_ISR_E10value_typeET4_jRbjT5_SX_jjP12ihipStream_tbEUlT_E1_NS1_11comp_targetILNS1_3genE4ELNS1_11target_archE910ELNS1_3gpuE8ELNS1_3repE0EEENS1_59segmented_radix_sort_warp_sort_small_config_static_selectorELNS0_4arch9wavefront6targetE0EEEvSL_
		.amdhsa_group_segment_fixed_size 0
		.amdhsa_private_segment_fixed_size 0
		.amdhsa_kernarg_size 88
		.amdhsa_user_sgpr_count 2
		.amdhsa_user_sgpr_dispatch_ptr 0
		.amdhsa_user_sgpr_queue_ptr 0
		.amdhsa_user_sgpr_kernarg_segment_ptr 1
		.amdhsa_user_sgpr_dispatch_id 0
		.amdhsa_user_sgpr_private_segment_size 0
		.amdhsa_wavefront_size32 1
		.amdhsa_uses_dynamic_stack 0
		.amdhsa_enable_private_segment 0
		.amdhsa_system_sgpr_workgroup_id_x 1
		.amdhsa_system_sgpr_workgroup_id_y 0
		.amdhsa_system_sgpr_workgroup_id_z 0
		.amdhsa_system_sgpr_workgroup_info 0
		.amdhsa_system_vgpr_workitem_id 0
		.amdhsa_next_free_vgpr 1
		.amdhsa_next_free_sgpr 1
		.amdhsa_reserve_vcc 0
		.amdhsa_float_round_mode_32 0
		.amdhsa_float_round_mode_16_64 0
		.amdhsa_float_denorm_mode_32 3
		.amdhsa_float_denorm_mode_16_64 3
		.amdhsa_fp16_overflow 0
		.amdhsa_workgroup_processor_mode 1
		.amdhsa_memory_ordered 1
		.amdhsa_forward_progress 1
		.amdhsa_inst_pref_size 0
		.amdhsa_round_robin_scheduling 0
		.amdhsa_exception_fp_ieee_invalid_op 0
		.amdhsa_exception_fp_denorm_src 0
		.amdhsa_exception_fp_ieee_div_zero 0
		.amdhsa_exception_fp_ieee_overflow 0
		.amdhsa_exception_fp_ieee_underflow 0
		.amdhsa_exception_fp_ieee_inexact 0
		.amdhsa_exception_int_div_zero 0
	.end_amdhsa_kernel
	.section	.text._ZN7rocprim17ROCPRIM_400000_NS6detail17trampoline_kernelINS0_14default_configENS1_36segmented_radix_sort_config_selectorI12hip_bfloat16lEEZNS1_25segmented_radix_sort_implIS3_Lb0EPKS5_PS5_PKlPlN2at6native12_GLOBAL__N_18offset_tEEE10hipError_tPvRmT1_PNSt15iterator_traitsISL_E10value_typeET2_T3_PNSM_ISR_E10value_typeET4_jRbjT5_SX_jjP12ihipStream_tbEUlT_E1_NS1_11comp_targetILNS1_3genE4ELNS1_11target_archE910ELNS1_3gpuE8ELNS1_3repE0EEENS1_59segmented_radix_sort_warp_sort_small_config_static_selectorELNS0_4arch9wavefront6targetE0EEEvSL_,"axG",@progbits,_ZN7rocprim17ROCPRIM_400000_NS6detail17trampoline_kernelINS0_14default_configENS1_36segmented_radix_sort_config_selectorI12hip_bfloat16lEEZNS1_25segmented_radix_sort_implIS3_Lb0EPKS5_PS5_PKlPlN2at6native12_GLOBAL__N_18offset_tEEE10hipError_tPvRmT1_PNSt15iterator_traitsISL_E10value_typeET2_T3_PNSM_ISR_E10value_typeET4_jRbjT5_SX_jjP12ihipStream_tbEUlT_E1_NS1_11comp_targetILNS1_3genE4ELNS1_11target_archE910ELNS1_3gpuE8ELNS1_3repE0EEENS1_59segmented_radix_sort_warp_sort_small_config_static_selectorELNS0_4arch9wavefront6targetE0EEEvSL_,comdat
.Lfunc_end2071:
	.size	_ZN7rocprim17ROCPRIM_400000_NS6detail17trampoline_kernelINS0_14default_configENS1_36segmented_radix_sort_config_selectorI12hip_bfloat16lEEZNS1_25segmented_radix_sort_implIS3_Lb0EPKS5_PS5_PKlPlN2at6native12_GLOBAL__N_18offset_tEEE10hipError_tPvRmT1_PNSt15iterator_traitsISL_E10value_typeET2_T3_PNSM_ISR_E10value_typeET4_jRbjT5_SX_jjP12ihipStream_tbEUlT_E1_NS1_11comp_targetILNS1_3genE4ELNS1_11target_archE910ELNS1_3gpuE8ELNS1_3repE0EEENS1_59segmented_radix_sort_warp_sort_small_config_static_selectorELNS0_4arch9wavefront6targetE0EEEvSL_, .Lfunc_end2071-_ZN7rocprim17ROCPRIM_400000_NS6detail17trampoline_kernelINS0_14default_configENS1_36segmented_radix_sort_config_selectorI12hip_bfloat16lEEZNS1_25segmented_radix_sort_implIS3_Lb0EPKS5_PS5_PKlPlN2at6native12_GLOBAL__N_18offset_tEEE10hipError_tPvRmT1_PNSt15iterator_traitsISL_E10value_typeET2_T3_PNSM_ISR_E10value_typeET4_jRbjT5_SX_jjP12ihipStream_tbEUlT_E1_NS1_11comp_targetILNS1_3genE4ELNS1_11target_archE910ELNS1_3gpuE8ELNS1_3repE0EEENS1_59segmented_radix_sort_warp_sort_small_config_static_selectorELNS0_4arch9wavefront6targetE0EEEvSL_
                                        ; -- End function
	.set _ZN7rocprim17ROCPRIM_400000_NS6detail17trampoline_kernelINS0_14default_configENS1_36segmented_radix_sort_config_selectorI12hip_bfloat16lEEZNS1_25segmented_radix_sort_implIS3_Lb0EPKS5_PS5_PKlPlN2at6native12_GLOBAL__N_18offset_tEEE10hipError_tPvRmT1_PNSt15iterator_traitsISL_E10value_typeET2_T3_PNSM_ISR_E10value_typeET4_jRbjT5_SX_jjP12ihipStream_tbEUlT_E1_NS1_11comp_targetILNS1_3genE4ELNS1_11target_archE910ELNS1_3gpuE8ELNS1_3repE0EEENS1_59segmented_radix_sort_warp_sort_small_config_static_selectorELNS0_4arch9wavefront6targetE0EEEvSL_.num_vgpr, 0
	.set _ZN7rocprim17ROCPRIM_400000_NS6detail17trampoline_kernelINS0_14default_configENS1_36segmented_radix_sort_config_selectorI12hip_bfloat16lEEZNS1_25segmented_radix_sort_implIS3_Lb0EPKS5_PS5_PKlPlN2at6native12_GLOBAL__N_18offset_tEEE10hipError_tPvRmT1_PNSt15iterator_traitsISL_E10value_typeET2_T3_PNSM_ISR_E10value_typeET4_jRbjT5_SX_jjP12ihipStream_tbEUlT_E1_NS1_11comp_targetILNS1_3genE4ELNS1_11target_archE910ELNS1_3gpuE8ELNS1_3repE0EEENS1_59segmented_radix_sort_warp_sort_small_config_static_selectorELNS0_4arch9wavefront6targetE0EEEvSL_.num_agpr, 0
	.set _ZN7rocprim17ROCPRIM_400000_NS6detail17trampoline_kernelINS0_14default_configENS1_36segmented_radix_sort_config_selectorI12hip_bfloat16lEEZNS1_25segmented_radix_sort_implIS3_Lb0EPKS5_PS5_PKlPlN2at6native12_GLOBAL__N_18offset_tEEE10hipError_tPvRmT1_PNSt15iterator_traitsISL_E10value_typeET2_T3_PNSM_ISR_E10value_typeET4_jRbjT5_SX_jjP12ihipStream_tbEUlT_E1_NS1_11comp_targetILNS1_3genE4ELNS1_11target_archE910ELNS1_3gpuE8ELNS1_3repE0EEENS1_59segmented_radix_sort_warp_sort_small_config_static_selectorELNS0_4arch9wavefront6targetE0EEEvSL_.numbered_sgpr, 0
	.set _ZN7rocprim17ROCPRIM_400000_NS6detail17trampoline_kernelINS0_14default_configENS1_36segmented_radix_sort_config_selectorI12hip_bfloat16lEEZNS1_25segmented_radix_sort_implIS3_Lb0EPKS5_PS5_PKlPlN2at6native12_GLOBAL__N_18offset_tEEE10hipError_tPvRmT1_PNSt15iterator_traitsISL_E10value_typeET2_T3_PNSM_ISR_E10value_typeET4_jRbjT5_SX_jjP12ihipStream_tbEUlT_E1_NS1_11comp_targetILNS1_3genE4ELNS1_11target_archE910ELNS1_3gpuE8ELNS1_3repE0EEENS1_59segmented_radix_sort_warp_sort_small_config_static_selectorELNS0_4arch9wavefront6targetE0EEEvSL_.num_named_barrier, 0
	.set _ZN7rocprim17ROCPRIM_400000_NS6detail17trampoline_kernelINS0_14default_configENS1_36segmented_radix_sort_config_selectorI12hip_bfloat16lEEZNS1_25segmented_radix_sort_implIS3_Lb0EPKS5_PS5_PKlPlN2at6native12_GLOBAL__N_18offset_tEEE10hipError_tPvRmT1_PNSt15iterator_traitsISL_E10value_typeET2_T3_PNSM_ISR_E10value_typeET4_jRbjT5_SX_jjP12ihipStream_tbEUlT_E1_NS1_11comp_targetILNS1_3genE4ELNS1_11target_archE910ELNS1_3gpuE8ELNS1_3repE0EEENS1_59segmented_radix_sort_warp_sort_small_config_static_selectorELNS0_4arch9wavefront6targetE0EEEvSL_.private_seg_size, 0
	.set _ZN7rocprim17ROCPRIM_400000_NS6detail17trampoline_kernelINS0_14default_configENS1_36segmented_radix_sort_config_selectorI12hip_bfloat16lEEZNS1_25segmented_radix_sort_implIS3_Lb0EPKS5_PS5_PKlPlN2at6native12_GLOBAL__N_18offset_tEEE10hipError_tPvRmT1_PNSt15iterator_traitsISL_E10value_typeET2_T3_PNSM_ISR_E10value_typeET4_jRbjT5_SX_jjP12ihipStream_tbEUlT_E1_NS1_11comp_targetILNS1_3genE4ELNS1_11target_archE910ELNS1_3gpuE8ELNS1_3repE0EEENS1_59segmented_radix_sort_warp_sort_small_config_static_selectorELNS0_4arch9wavefront6targetE0EEEvSL_.uses_vcc, 0
	.set _ZN7rocprim17ROCPRIM_400000_NS6detail17trampoline_kernelINS0_14default_configENS1_36segmented_radix_sort_config_selectorI12hip_bfloat16lEEZNS1_25segmented_radix_sort_implIS3_Lb0EPKS5_PS5_PKlPlN2at6native12_GLOBAL__N_18offset_tEEE10hipError_tPvRmT1_PNSt15iterator_traitsISL_E10value_typeET2_T3_PNSM_ISR_E10value_typeET4_jRbjT5_SX_jjP12ihipStream_tbEUlT_E1_NS1_11comp_targetILNS1_3genE4ELNS1_11target_archE910ELNS1_3gpuE8ELNS1_3repE0EEENS1_59segmented_radix_sort_warp_sort_small_config_static_selectorELNS0_4arch9wavefront6targetE0EEEvSL_.uses_flat_scratch, 0
	.set _ZN7rocprim17ROCPRIM_400000_NS6detail17trampoline_kernelINS0_14default_configENS1_36segmented_radix_sort_config_selectorI12hip_bfloat16lEEZNS1_25segmented_radix_sort_implIS3_Lb0EPKS5_PS5_PKlPlN2at6native12_GLOBAL__N_18offset_tEEE10hipError_tPvRmT1_PNSt15iterator_traitsISL_E10value_typeET2_T3_PNSM_ISR_E10value_typeET4_jRbjT5_SX_jjP12ihipStream_tbEUlT_E1_NS1_11comp_targetILNS1_3genE4ELNS1_11target_archE910ELNS1_3gpuE8ELNS1_3repE0EEENS1_59segmented_radix_sort_warp_sort_small_config_static_selectorELNS0_4arch9wavefront6targetE0EEEvSL_.has_dyn_sized_stack, 0
	.set _ZN7rocprim17ROCPRIM_400000_NS6detail17trampoline_kernelINS0_14default_configENS1_36segmented_radix_sort_config_selectorI12hip_bfloat16lEEZNS1_25segmented_radix_sort_implIS3_Lb0EPKS5_PS5_PKlPlN2at6native12_GLOBAL__N_18offset_tEEE10hipError_tPvRmT1_PNSt15iterator_traitsISL_E10value_typeET2_T3_PNSM_ISR_E10value_typeET4_jRbjT5_SX_jjP12ihipStream_tbEUlT_E1_NS1_11comp_targetILNS1_3genE4ELNS1_11target_archE910ELNS1_3gpuE8ELNS1_3repE0EEENS1_59segmented_radix_sort_warp_sort_small_config_static_selectorELNS0_4arch9wavefront6targetE0EEEvSL_.has_recursion, 0
	.set _ZN7rocprim17ROCPRIM_400000_NS6detail17trampoline_kernelINS0_14default_configENS1_36segmented_radix_sort_config_selectorI12hip_bfloat16lEEZNS1_25segmented_radix_sort_implIS3_Lb0EPKS5_PS5_PKlPlN2at6native12_GLOBAL__N_18offset_tEEE10hipError_tPvRmT1_PNSt15iterator_traitsISL_E10value_typeET2_T3_PNSM_ISR_E10value_typeET4_jRbjT5_SX_jjP12ihipStream_tbEUlT_E1_NS1_11comp_targetILNS1_3genE4ELNS1_11target_archE910ELNS1_3gpuE8ELNS1_3repE0EEENS1_59segmented_radix_sort_warp_sort_small_config_static_selectorELNS0_4arch9wavefront6targetE0EEEvSL_.has_indirect_call, 0
	.section	.AMDGPU.csdata,"",@progbits
; Kernel info:
; codeLenInByte = 0
; TotalNumSgprs: 0
; NumVgprs: 0
; ScratchSize: 0
; MemoryBound: 0
; FloatMode: 240
; IeeeMode: 1
; LDSByteSize: 0 bytes/workgroup (compile time only)
; SGPRBlocks: 0
; VGPRBlocks: 0
; NumSGPRsForWavesPerEU: 1
; NumVGPRsForWavesPerEU: 1
; Occupancy: 16
; WaveLimiterHint : 0
; COMPUTE_PGM_RSRC2:SCRATCH_EN: 0
; COMPUTE_PGM_RSRC2:USER_SGPR: 2
; COMPUTE_PGM_RSRC2:TRAP_HANDLER: 0
; COMPUTE_PGM_RSRC2:TGID_X_EN: 1
; COMPUTE_PGM_RSRC2:TGID_Y_EN: 0
; COMPUTE_PGM_RSRC2:TGID_Z_EN: 0
; COMPUTE_PGM_RSRC2:TIDIG_COMP_CNT: 0
	.section	.text._ZN7rocprim17ROCPRIM_400000_NS6detail17trampoline_kernelINS0_14default_configENS1_36segmented_radix_sort_config_selectorI12hip_bfloat16lEEZNS1_25segmented_radix_sort_implIS3_Lb0EPKS5_PS5_PKlPlN2at6native12_GLOBAL__N_18offset_tEEE10hipError_tPvRmT1_PNSt15iterator_traitsISL_E10value_typeET2_T3_PNSM_ISR_E10value_typeET4_jRbjT5_SX_jjP12ihipStream_tbEUlT_E1_NS1_11comp_targetILNS1_3genE3ELNS1_11target_archE908ELNS1_3gpuE7ELNS1_3repE0EEENS1_59segmented_radix_sort_warp_sort_small_config_static_selectorELNS0_4arch9wavefront6targetE0EEEvSL_,"axG",@progbits,_ZN7rocprim17ROCPRIM_400000_NS6detail17trampoline_kernelINS0_14default_configENS1_36segmented_radix_sort_config_selectorI12hip_bfloat16lEEZNS1_25segmented_radix_sort_implIS3_Lb0EPKS5_PS5_PKlPlN2at6native12_GLOBAL__N_18offset_tEEE10hipError_tPvRmT1_PNSt15iterator_traitsISL_E10value_typeET2_T3_PNSM_ISR_E10value_typeET4_jRbjT5_SX_jjP12ihipStream_tbEUlT_E1_NS1_11comp_targetILNS1_3genE3ELNS1_11target_archE908ELNS1_3gpuE7ELNS1_3repE0EEENS1_59segmented_radix_sort_warp_sort_small_config_static_selectorELNS0_4arch9wavefront6targetE0EEEvSL_,comdat
	.globl	_ZN7rocprim17ROCPRIM_400000_NS6detail17trampoline_kernelINS0_14default_configENS1_36segmented_radix_sort_config_selectorI12hip_bfloat16lEEZNS1_25segmented_radix_sort_implIS3_Lb0EPKS5_PS5_PKlPlN2at6native12_GLOBAL__N_18offset_tEEE10hipError_tPvRmT1_PNSt15iterator_traitsISL_E10value_typeET2_T3_PNSM_ISR_E10value_typeET4_jRbjT5_SX_jjP12ihipStream_tbEUlT_E1_NS1_11comp_targetILNS1_3genE3ELNS1_11target_archE908ELNS1_3gpuE7ELNS1_3repE0EEENS1_59segmented_radix_sort_warp_sort_small_config_static_selectorELNS0_4arch9wavefront6targetE0EEEvSL_ ; -- Begin function _ZN7rocprim17ROCPRIM_400000_NS6detail17trampoline_kernelINS0_14default_configENS1_36segmented_radix_sort_config_selectorI12hip_bfloat16lEEZNS1_25segmented_radix_sort_implIS3_Lb0EPKS5_PS5_PKlPlN2at6native12_GLOBAL__N_18offset_tEEE10hipError_tPvRmT1_PNSt15iterator_traitsISL_E10value_typeET2_T3_PNSM_ISR_E10value_typeET4_jRbjT5_SX_jjP12ihipStream_tbEUlT_E1_NS1_11comp_targetILNS1_3genE3ELNS1_11target_archE908ELNS1_3gpuE7ELNS1_3repE0EEENS1_59segmented_radix_sort_warp_sort_small_config_static_selectorELNS0_4arch9wavefront6targetE0EEEvSL_
	.p2align	8
	.type	_ZN7rocprim17ROCPRIM_400000_NS6detail17trampoline_kernelINS0_14default_configENS1_36segmented_radix_sort_config_selectorI12hip_bfloat16lEEZNS1_25segmented_radix_sort_implIS3_Lb0EPKS5_PS5_PKlPlN2at6native12_GLOBAL__N_18offset_tEEE10hipError_tPvRmT1_PNSt15iterator_traitsISL_E10value_typeET2_T3_PNSM_ISR_E10value_typeET4_jRbjT5_SX_jjP12ihipStream_tbEUlT_E1_NS1_11comp_targetILNS1_3genE3ELNS1_11target_archE908ELNS1_3gpuE7ELNS1_3repE0EEENS1_59segmented_radix_sort_warp_sort_small_config_static_selectorELNS0_4arch9wavefront6targetE0EEEvSL_,@function
_ZN7rocprim17ROCPRIM_400000_NS6detail17trampoline_kernelINS0_14default_configENS1_36segmented_radix_sort_config_selectorI12hip_bfloat16lEEZNS1_25segmented_radix_sort_implIS3_Lb0EPKS5_PS5_PKlPlN2at6native12_GLOBAL__N_18offset_tEEE10hipError_tPvRmT1_PNSt15iterator_traitsISL_E10value_typeET2_T3_PNSM_ISR_E10value_typeET4_jRbjT5_SX_jjP12ihipStream_tbEUlT_E1_NS1_11comp_targetILNS1_3genE3ELNS1_11target_archE908ELNS1_3gpuE7ELNS1_3repE0EEENS1_59segmented_radix_sort_warp_sort_small_config_static_selectorELNS0_4arch9wavefront6targetE0EEEvSL_: ; @_ZN7rocprim17ROCPRIM_400000_NS6detail17trampoline_kernelINS0_14default_configENS1_36segmented_radix_sort_config_selectorI12hip_bfloat16lEEZNS1_25segmented_radix_sort_implIS3_Lb0EPKS5_PS5_PKlPlN2at6native12_GLOBAL__N_18offset_tEEE10hipError_tPvRmT1_PNSt15iterator_traitsISL_E10value_typeET2_T3_PNSM_ISR_E10value_typeET4_jRbjT5_SX_jjP12ihipStream_tbEUlT_E1_NS1_11comp_targetILNS1_3genE3ELNS1_11target_archE908ELNS1_3gpuE7ELNS1_3repE0EEENS1_59segmented_radix_sort_warp_sort_small_config_static_selectorELNS0_4arch9wavefront6targetE0EEEvSL_
; %bb.0:
	.section	.rodata,"a",@progbits
	.p2align	6, 0x0
	.amdhsa_kernel _ZN7rocprim17ROCPRIM_400000_NS6detail17trampoline_kernelINS0_14default_configENS1_36segmented_radix_sort_config_selectorI12hip_bfloat16lEEZNS1_25segmented_radix_sort_implIS3_Lb0EPKS5_PS5_PKlPlN2at6native12_GLOBAL__N_18offset_tEEE10hipError_tPvRmT1_PNSt15iterator_traitsISL_E10value_typeET2_T3_PNSM_ISR_E10value_typeET4_jRbjT5_SX_jjP12ihipStream_tbEUlT_E1_NS1_11comp_targetILNS1_3genE3ELNS1_11target_archE908ELNS1_3gpuE7ELNS1_3repE0EEENS1_59segmented_radix_sort_warp_sort_small_config_static_selectorELNS0_4arch9wavefront6targetE0EEEvSL_
		.amdhsa_group_segment_fixed_size 0
		.amdhsa_private_segment_fixed_size 0
		.amdhsa_kernarg_size 88
		.amdhsa_user_sgpr_count 2
		.amdhsa_user_sgpr_dispatch_ptr 0
		.amdhsa_user_sgpr_queue_ptr 0
		.amdhsa_user_sgpr_kernarg_segment_ptr 1
		.amdhsa_user_sgpr_dispatch_id 0
		.amdhsa_user_sgpr_private_segment_size 0
		.amdhsa_wavefront_size32 1
		.amdhsa_uses_dynamic_stack 0
		.amdhsa_enable_private_segment 0
		.amdhsa_system_sgpr_workgroup_id_x 1
		.amdhsa_system_sgpr_workgroup_id_y 0
		.amdhsa_system_sgpr_workgroup_id_z 0
		.amdhsa_system_sgpr_workgroup_info 0
		.amdhsa_system_vgpr_workitem_id 0
		.amdhsa_next_free_vgpr 1
		.amdhsa_next_free_sgpr 1
		.amdhsa_reserve_vcc 0
		.amdhsa_float_round_mode_32 0
		.amdhsa_float_round_mode_16_64 0
		.amdhsa_float_denorm_mode_32 3
		.amdhsa_float_denorm_mode_16_64 3
		.amdhsa_fp16_overflow 0
		.amdhsa_workgroup_processor_mode 1
		.amdhsa_memory_ordered 1
		.amdhsa_forward_progress 1
		.amdhsa_inst_pref_size 0
		.amdhsa_round_robin_scheduling 0
		.amdhsa_exception_fp_ieee_invalid_op 0
		.amdhsa_exception_fp_denorm_src 0
		.amdhsa_exception_fp_ieee_div_zero 0
		.amdhsa_exception_fp_ieee_overflow 0
		.amdhsa_exception_fp_ieee_underflow 0
		.amdhsa_exception_fp_ieee_inexact 0
		.amdhsa_exception_int_div_zero 0
	.end_amdhsa_kernel
	.section	.text._ZN7rocprim17ROCPRIM_400000_NS6detail17trampoline_kernelINS0_14default_configENS1_36segmented_radix_sort_config_selectorI12hip_bfloat16lEEZNS1_25segmented_radix_sort_implIS3_Lb0EPKS5_PS5_PKlPlN2at6native12_GLOBAL__N_18offset_tEEE10hipError_tPvRmT1_PNSt15iterator_traitsISL_E10value_typeET2_T3_PNSM_ISR_E10value_typeET4_jRbjT5_SX_jjP12ihipStream_tbEUlT_E1_NS1_11comp_targetILNS1_3genE3ELNS1_11target_archE908ELNS1_3gpuE7ELNS1_3repE0EEENS1_59segmented_radix_sort_warp_sort_small_config_static_selectorELNS0_4arch9wavefront6targetE0EEEvSL_,"axG",@progbits,_ZN7rocprim17ROCPRIM_400000_NS6detail17trampoline_kernelINS0_14default_configENS1_36segmented_radix_sort_config_selectorI12hip_bfloat16lEEZNS1_25segmented_radix_sort_implIS3_Lb0EPKS5_PS5_PKlPlN2at6native12_GLOBAL__N_18offset_tEEE10hipError_tPvRmT1_PNSt15iterator_traitsISL_E10value_typeET2_T3_PNSM_ISR_E10value_typeET4_jRbjT5_SX_jjP12ihipStream_tbEUlT_E1_NS1_11comp_targetILNS1_3genE3ELNS1_11target_archE908ELNS1_3gpuE7ELNS1_3repE0EEENS1_59segmented_radix_sort_warp_sort_small_config_static_selectorELNS0_4arch9wavefront6targetE0EEEvSL_,comdat
.Lfunc_end2072:
	.size	_ZN7rocprim17ROCPRIM_400000_NS6detail17trampoline_kernelINS0_14default_configENS1_36segmented_radix_sort_config_selectorI12hip_bfloat16lEEZNS1_25segmented_radix_sort_implIS3_Lb0EPKS5_PS5_PKlPlN2at6native12_GLOBAL__N_18offset_tEEE10hipError_tPvRmT1_PNSt15iterator_traitsISL_E10value_typeET2_T3_PNSM_ISR_E10value_typeET4_jRbjT5_SX_jjP12ihipStream_tbEUlT_E1_NS1_11comp_targetILNS1_3genE3ELNS1_11target_archE908ELNS1_3gpuE7ELNS1_3repE0EEENS1_59segmented_radix_sort_warp_sort_small_config_static_selectorELNS0_4arch9wavefront6targetE0EEEvSL_, .Lfunc_end2072-_ZN7rocprim17ROCPRIM_400000_NS6detail17trampoline_kernelINS0_14default_configENS1_36segmented_radix_sort_config_selectorI12hip_bfloat16lEEZNS1_25segmented_radix_sort_implIS3_Lb0EPKS5_PS5_PKlPlN2at6native12_GLOBAL__N_18offset_tEEE10hipError_tPvRmT1_PNSt15iterator_traitsISL_E10value_typeET2_T3_PNSM_ISR_E10value_typeET4_jRbjT5_SX_jjP12ihipStream_tbEUlT_E1_NS1_11comp_targetILNS1_3genE3ELNS1_11target_archE908ELNS1_3gpuE7ELNS1_3repE0EEENS1_59segmented_radix_sort_warp_sort_small_config_static_selectorELNS0_4arch9wavefront6targetE0EEEvSL_
                                        ; -- End function
	.set _ZN7rocprim17ROCPRIM_400000_NS6detail17trampoline_kernelINS0_14default_configENS1_36segmented_radix_sort_config_selectorI12hip_bfloat16lEEZNS1_25segmented_radix_sort_implIS3_Lb0EPKS5_PS5_PKlPlN2at6native12_GLOBAL__N_18offset_tEEE10hipError_tPvRmT1_PNSt15iterator_traitsISL_E10value_typeET2_T3_PNSM_ISR_E10value_typeET4_jRbjT5_SX_jjP12ihipStream_tbEUlT_E1_NS1_11comp_targetILNS1_3genE3ELNS1_11target_archE908ELNS1_3gpuE7ELNS1_3repE0EEENS1_59segmented_radix_sort_warp_sort_small_config_static_selectorELNS0_4arch9wavefront6targetE0EEEvSL_.num_vgpr, 0
	.set _ZN7rocprim17ROCPRIM_400000_NS6detail17trampoline_kernelINS0_14default_configENS1_36segmented_radix_sort_config_selectorI12hip_bfloat16lEEZNS1_25segmented_radix_sort_implIS3_Lb0EPKS5_PS5_PKlPlN2at6native12_GLOBAL__N_18offset_tEEE10hipError_tPvRmT1_PNSt15iterator_traitsISL_E10value_typeET2_T3_PNSM_ISR_E10value_typeET4_jRbjT5_SX_jjP12ihipStream_tbEUlT_E1_NS1_11comp_targetILNS1_3genE3ELNS1_11target_archE908ELNS1_3gpuE7ELNS1_3repE0EEENS1_59segmented_radix_sort_warp_sort_small_config_static_selectorELNS0_4arch9wavefront6targetE0EEEvSL_.num_agpr, 0
	.set _ZN7rocprim17ROCPRIM_400000_NS6detail17trampoline_kernelINS0_14default_configENS1_36segmented_radix_sort_config_selectorI12hip_bfloat16lEEZNS1_25segmented_radix_sort_implIS3_Lb0EPKS5_PS5_PKlPlN2at6native12_GLOBAL__N_18offset_tEEE10hipError_tPvRmT1_PNSt15iterator_traitsISL_E10value_typeET2_T3_PNSM_ISR_E10value_typeET4_jRbjT5_SX_jjP12ihipStream_tbEUlT_E1_NS1_11comp_targetILNS1_3genE3ELNS1_11target_archE908ELNS1_3gpuE7ELNS1_3repE0EEENS1_59segmented_radix_sort_warp_sort_small_config_static_selectorELNS0_4arch9wavefront6targetE0EEEvSL_.numbered_sgpr, 0
	.set _ZN7rocprim17ROCPRIM_400000_NS6detail17trampoline_kernelINS0_14default_configENS1_36segmented_radix_sort_config_selectorI12hip_bfloat16lEEZNS1_25segmented_radix_sort_implIS3_Lb0EPKS5_PS5_PKlPlN2at6native12_GLOBAL__N_18offset_tEEE10hipError_tPvRmT1_PNSt15iterator_traitsISL_E10value_typeET2_T3_PNSM_ISR_E10value_typeET4_jRbjT5_SX_jjP12ihipStream_tbEUlT_E1_NS1_11comp_targetILNS1_3genE3ELNS1_11target_archE908ELNS1_3gpuE7ELNS1_3repE0EEENS1_59segmented_radix_sort_warp_sort_small_config_static_selectorELNS0_4arch9wavefront6targetE0EEEvSL_.num_named_barrier, 0
	.set _ZN7rocprim17ROCPRIM_400000_NS6detail17trampoline_kernelINS0_14default_configENS1_36segmented_radix_sort_config_selectorI12hip_bfloat16lEEZNS1_25segmented_radix_sort_implIS3_Lb0EPKS5_PS5_PKlPlN2at6native12_GLOBAL__N_18offset_tEEE10hipError_tPvRmT1_PNSt15iterator_traitsISL_E10value_typeET2_T3_PNSM_ISR_E10value_typeET4_jRbjT5_SX_jjP12ihipStream_tbEUlT_E1_NS1_11comp_targetILNS1_3genE3ELNS1_11target_archE908ELNS1_3gpuE7ELNS1_3repE0EEENS1_59segmented_radix_sort_warp_sort_small_config_static_selectorELNS0_4arch9wavefront6targetE0EEEvSL_.private_seg_size, 0
	.set _ZN7rocprim17ROCPRIM_400000_NS6detail17trampoline_kernelINS0_14default_configENS1_36segmented_radix_sort_config_selectorI12hip_bfloat16lEEZNS1_25segmented_radix_sort_implIS3_Lb0EPKS5_PS5_PKlPlN2at6native12_GLOBAL__N_18offset_tEEE10hipError_tPvRmT1_PNSt15iterator_traitsISL_E10value_typeET2_T3_PNSM_ISR_E10value_typeET4_jRbjT5_SX_jjP12ihipStream_tbEUlT_E1_NS1_11comp_targetILNS1_3genE3ELNS1_11target_archE908ELNS1_3gpuE7ELNS1_3repE0EEENS1_59segmented_radix_sort_warp_sort_small_config_static_selectorELNS0_4arch9wavefront6targetE0EEEvSL_.uses_vcc, 0
	.set _ZN7rocprim17ROCPRIM_400000_NS6detail17trampoline_kernelINS0_14default_configENS1_36segmented_radix_sort_config_selectorI12hip_bfloat16lEEZNS1_25segmented_radix_sort_implIS3_Lb0EPKS5_PS5_PKlPlN2at6native12_GLOBAL__N_18offset_tEEE10hipError_tPvRmT1_PNSt15iterator_traitsISL_E10value_typeET2_T3_PNSM_ISR_E10value_typeET4_jRbjT5_SX_jjP12ihipStream_tbEUlT_E1_NS1_11comp_targetILNS1_3genE3ELNS1_11target_archE908ELNS1_3gpuE7ELNS1_3repE0EEENS1_59segmented_radix_sort_warp_sort_small_config_static_selectorELNS0_4arch9wavefront6targetE0EEEvSL_.uses_flat_scratch, 0
	.set _ZN7rocprim17ROCPRIM_400000_NS6detail17trampoline_kernelINS0_14default_configENS1_36segmented_radix_sort_config_selectorI12hip_bfloat16lEEZNS1_25segmented_radix_sort_implIS3_Lb0EPKS5_PS5_PKlPlN2at6native12_GLOBAL__N_18offset_tEEE10hipError_tPvRmT1_PNSt15iterator_traitsISL_E10value_typeET2_T3_PNSM_ISR_E10value_typeET4_jRbjT5_SX_jjP12ihipStream_tbEUlT_E1_NS1_11comp_targetILNS1_3genE3ELNS1_11target_archE908ELNS1_3gpuE7ELNS1_3repE0EEENS1_59segmented_radix_sort_warp_sort_small_config_static_selectorELNS0_4arch9wavefront6targetE0EEEvSL_.has_dyn_sized_stack, 0
	.set _ZN7rocprim17ROCPRIM_400000_NS6detail17trampoline_kernelINS0_14default_configENS1_36segmented_radix_sort_config_selectorI12hip_bfloat16lEEZNS1_25segmented_radix_sort_implIS3_Lb0EPKS5_PS5_PKlPlN2at6native12_GLOBAL__N_18offset_tEEE10hipError_tPvRmT1_PNSt15iterator_traitsISL_E10value_typeET2_T3_PNSM_ISR_E10value_typeET4_jRbjT5_SX_jjP12ihipStream_tbEUlT_E1_NS1_11comp_targetILNS1_3genE3ELNS1_11target_archE908ELNS1_3gpuE7ELNS1_3repE0EEENS1_59segmented_radix_sort_warp_sort_small_config_static_selectorELNS0_4arch9wavefront6targetE0EEEvSL_.has_recursion, 0
	.set _ZN7rocprim17ROCPRIM_400000_NS6detail17trampoline_kernelINS0_14default_configENS1_36segmented_radix_sort_config_selectorI12hip_bfloat16lEEZNS1_25segmented_radix_sort_implIS3_Lb0EPKS5_PS5_PKlPlN2at6native12_GLOBAL__N_18offset_tEEE10hipError_tPvRmT1_PNSt15iterator_traitsISL_E10value_typeET2_T3_PNSM_ISR_E10value_typeET4_jRbjT5_SX_jjP12ihipStream_tbEUlT_E1_NS1_11comp_targetILNS1_3genE3ELNS1_11target_archE908ELNS1_3gpuE7ELNS1_3repE0EEENS1_59segmented_radix_sort_warp_sort_small_config_static_selectorELNS0_4arch9wavefront6targetE0EEEvSL_.has_indirect_call, 0
	.section	.AMDGPU.csdata,"",@progbits
; Kernel info:
; codeLenInByte = 0
; TotalNumSgprs: 0
; NumVgprs: 0
; ScratchSize: 0
; MemoryBound: 0
; FloatMode: 240
; IeeeMode: 1
; LDSByteSize: 0 bytes/workgroup (compile time only)
; SGPRBlocks: 0
; VGPRBlocks: 0
; NumSGPRsForWavesPerEU: 1
; NumVGPRsForWavesPerEU: 1
; Occupancy: 16
; WaveLimiterHint : 0
; COMPUTE_PGM_RSRC2:SCRATCH_EN: 0
; COMPUTE_PGM_RSRC2:USER_SGPR: 2
; COMPUTE_PGM_RSRC2:TRAP_HANDLER: 0
; COMPUTE_PGM_RSRC2:TGID_X_EN: 1
; COMPUTE_PGM_RSRC2:TGID_Y_EN: 0
; COMPUTE_PGM_RSRC2:TGID_Z_EN: 0
; COMPUTE_PGM_RSRC2:TIDIG_COMP_CNT: 0
	.section	.text._ZN7rocprim17ROCPRIM_400000_NS6detail17trampoline_kernelINS0_14default_configENS1_36segmented_radix_sort_config_selectorI12hip_bfloat16lEEZNS1_25segmented_radix_sort_implIS3_Lb0EPKS5_PS5_PKlPlN2at6native12_GLOBAL__N_18offset_tEEE10hipError_tPvRmT1_PNSt15iterator_traitsISL_E10value_typeET2_T3_PNSM_ISR_E10value_typeET4_jRbjT5_SX_jjP12ihipStream_tbEUlT_E1_NS1_11comp_targetILNS1_3genE2ELNS1_11target_archE906ELNS1_3gpuE6ELNS1_3repE0EEENS1_59segmented_radix_sort_warp_sort_small_config_static_selectorELNS0_4arch9wavefront6targetE0EEEvSL_,"axG",@progbits,_ZN7rocprim17ROCPRIM_400000_NS6detail17trampoline_kernelINS0_14default_configENS1_36segmented_radix_sort_config_selectorI12hip_bfloat16lEEZNS1_25segmented_radix_sort_implIS3_Lb0EPKS5_PS5_PKlPlN2at6native12_GLOBAL__N_18offset_tEEE10hipError_tPvRmT1_PNSt15iterator_traitsISL_E10value_typeET2_T3_PNSM_ISR_E10value_typeET4_jRbjT5_SX_jjP12ihipStream_tbEUlT_E1_NS1_11comp_targetILNS1_3genE2ELNS1_11target_archE906ELNS1_3gpuE6ELNS1_3repE0EEENS1_59segmented_radix_sort_warp_sort_small_config_static_selectorELNS0_4arch9wavefront6targetE0EEEvSL_,comdat
	.globl	_ZN7rocprim17ROCPRIM_400000_NS6detail17trampoline_kernelINS0_14default_configENS1_36segmented_radix_sort_config_selectorI12hip_bfloat16lEEZNS1_25segmented_radix_sort_implIS3_Lb0EPKS5_PS5_PKlPlN2at6native12_GLOBAL__N_18offset_tEEE10hipError_tPvRmT1_PNSt15iterator_traitsISL_E10value_typeET2_T3_PNSM_ISR_E10value_typeET4_jRbjT5_SX_jjP12ihipStream_tbEUlT_E1_NS1_11comp_targetILNS1_3genE2ELNS1_11target_archE906ELNS1_3gpuE6ELNS1_3repE0EEENS1_59segmented_radix_sort_warp_sort_small_config_static_selectorELNS0_4arch9wavefront6targetE0EEEvSL_ ; -- Begin function _ZN7rocprim17ROCPRIM_400000_NS6detail17trampoline_kernelINS0_14default_configENS1_36segmented_radix_sort_config_selectorI12hip_bfloat16lEEZNS1_25segmented_radix_sort_implIS3_Lb0EPKS5_PS5_PKlPlN2at6native12_GLOBAL__N_18offset_tEEE10hipError_tPvRmT1_PNSt15iterator_traitsISL_E10value_typeET2_T3_PNSM_ISR_E10value_typeET4_jRbjT5_SX_jjP12ihipStream_tbEUlT_E1_NS1_11comp_targetILNS1_3genE2ELNS1_11target_archE906ELNS1_3gpuE6ELNS1_3repE0EEENS1_59segmented_radix_sort_warp_sort_small_config_static_selectorELNS0_4arch9wavefront6targetE0EEEvSL_
	.p2align	8
	.type	_ZN7rocprim17ROCPRIM_400000_NS6detail17trampoline_kernelINS0_14default_configENS1_36segmented_radix_sort_config_selectorI12hip_bfloat16lEEZNS1_25segmented_radix_sort_implIS3_Lb0EPKS5_PS5_PKlPlN2at6native12_GLOBAL__N_18offset_tEEE10hipError_tPvRmT1_PNSt15iterator_traitsISL_E10value_typeET2_T3_PNSM_ISR_E10value_typeET4_jRbjT5_SX_jjP12ihipStream_tbEUlT_E1_NS1_11comp_targetILNS1_3genE2ELNS1_11target_archE906ELNS1_3gpuE6ELNS1_3repE0EEENS1_59segmented_radix_sort_warp_sort_small_config_static_selectorELNS0_4arch9wavefront6targetE0EEEvSL_,@function
_ZN7rocprim17ROCPRIM_400000_NS6detail17trampoline_kernelINS0_14default_configENS1_36segmented_radix_sort_config_selectorI12hip_bfloat16lEEZNS1_25segmented_radix_sort_implIS3_Lb0EPKS5_PS5_PKlPlN2at6native12_GLOBAL__N_18offset_tEEE10hipError_tPvRmT1_PNSt15iterator_traitsISL_E10value_typeET2_T3_PNSM_ISR_E10value_typeET4_jRbjT5_SX_jjP12ihipStream_tbEUlT_E1_NS1_11comp_targetILNS1_3genE2ELNS1_11target_archE906ELNS1_3gpuE6ELNS1_3repE0EEENS1_59segmented_radix_sort_warp_sort_small_config_static_selectorELNS0_4arch9wavefront6targetE0EEEvSL_: ; @_ZN7rocprim17ROCPRIM_400000_NS6detail17trampoline_kernelINS0_14default_configENS1_36segmented_radix_sort_config_selectorI12hip_bfloat16lEEZNS1_25segmented_radix_sort_implIS3_Lb0EPKS5_PS5_PKlPlN2at6native12_GLOBAL__N_18offset_tEEE10hipError_tPvRmT1_PNSt15iterator_traitsISL_E10value_typeET2_T3_PNSM_ISR_E10value_typeET4_jRbjT5_SX_jjP12ihipStream_tbEUlT_E1_NS1_11comp_targetILNS1_3genE2ELNS1_11target_archE906ELNS1_3gpuE6ELNS1_3repE0EEENS1_59segmented_radix_sort_warp_sort_small_config_static_selectorELNS0_4arch9wavefront6targetE0EEEvSL_
; %bb.0:
	.section	.rodata,"a",@progbits
	.p2align	6, 0x0
	.amdhsa_kernel _ZN7rocprim17ROCPRIM_400000_NS6detail17trampoline_kernelINS0_14default_configENS1_36segmented_radix_sort_config_selectorI12hip_bfloat16lEEZNS1_25segmented_radix_sort_implIS3_Lb0EPKS5_PS5_PKlPlN2at6native12_GLOBAL__N_18offset_tEEE10hipError_tPvRmT1_PNSt15iterator_traitsISL_E10value_typeET2_T3_PNSM_ISR_E10value_typeET4_jRbjT5_SX_jjP12ihipStream_tbEUlT_E1_NS1_11comp_targetILNS1_3genE2ELNS1_11target_archE906ELNS1_3gpuE6ELNS1_3repE0EEENS1_59segmented_radix_sort_warp_sort_small_config_static_selectorELNS0_4arch9wavefront6targetE0EEEvSL_
		.amdhsa_group_segment_fixed_size 0
		.amdhsa_private_segment_fixed_size 0
		.amdhsa_kernarg_size 88
		.amdhsa_user_sgpr_count 2
		.amdhsa_user_sgpr_dispatch_ptr 0
		.amdhsa_user_sgpr_queue_ptr 0
		.amdhsa_user_sgpr_kernarg_segment_ptr 1
		.amdhsa_user_sgpr_dispatch_id 0
		.amdhsa_user_sgpr_private_segment_size 0
		.amdhsa_wavefront_size32 1
		.amdhsa_uses_dynamic_stack 0
		.amdhsa_enable_private_segment 0
		.amdhsa_system_sgpr_workgroup_id_x 1
		.amdhsa_system_sgpr_workgroup_id_y 0
		.amdhsa_system_sgpr_workgroup_id_z 0
		.amdhsa_system_sgpr_workgroup_info 0
		.amdhsa_system_vgpr_workitem_id 0
		.amdhsa_next_free_vgpr 1
		.amdhsa_next_free_sgpr 1
		.amdhsa_reserve_vcc 0
		.amdhsa_float_round_mode_32 0
		.amdhsa_float_round_mode_16_64 0
		.amdhsa_float_denorm_mode_32 3
		.amdhsa_float_denorm_mode_16_64 3
		.amdhsa_fp16_overflow 0
		.amdhsa_workgroup_processor_mode 1
		.amdhsa_memory_ordered 1
		.amdhsa_forward_progress 1
		.amdhsa_inst_pref_size 0
		.amdhsa_round_robin_scheduling 0
		.amdhsa_exception_fp_ieee_invalid_op 0
		.amdhsa_exception_fp_denorm_src 0
		.amdhsa_exception_fp_ieee_div_zero 0
		.amdhsa_exception_fp_ieee_overflow 0
		.amdhsa_exception_fp_ieee_underflow 0
		.amdhsa_exception_fp_ieee_inexact 0
		.amdhsa_exception_int_div_zero 0
	.end_amdhsa_kernel
	.section	.text._ZN7rocprim17ROCPRIM_400000_NS6detail17trampoline_kernelINS0_14default_configENS1_36segmented_radix_sort_config_selectorI12hip_bfloat16lEEZNS1_25segmented_radix_sort_implIS3_Lb0EPKS5_PS5_PKlPlN2at6native12_GLOBAL__N_18offset_tEEE10hipError_tPvRmT1_PNSt15iterator_traitsISL_E10value_typeET2_T3_PNSM_ISR_E10value_typeET4_jRbjT5_SX_jjP12ihipStream_tbEUlT_E1_NS1_11comp_targetILNS1_3genE2ELNS1_11target_archE906ELNS1_3gpuE6ELNS1_3repE0EEENS1_59segmented_radix_sort_warp_sort_small_config_static_selectorELNS0_4arch9wavefront6targetE0EEEvSL_,"axG",@progbits,_ZN7rocprim17ROCPRIM_400000_NS6detail17trampoline_kernelINS0_14default_configENS1_36segmented_radix_sort_config_selectorI12hip_bfloat16lEEZNS1_25segmented_radix_sort_implIS3_Lb0EPKS5_PS5_PKlPlN2at6native12_GLOBAL__N_18offset_tEEE10hipError_tPvRmT1_PNSt15iterator_traitsISL_E10value_typeET2_T3_PNSM_ISR_E10value_typeET4_jRbjT5_SX_jjP12ihipStream_tbEUlT_E1_NS1_11comp_targetILNS1_3genE2ELNS1_11target_archE906ELNS1_3gpuE6ELNS1_3repE0EEENS1_59segmented_radix_sort_warp_sort_small_config_static_selectorELNS0_4arch9wavefront6targetE0EEEvSL_,comdat
.Lfunc_end2073:
	.size	_ZN7rocprim17ROCPRIM_400000_NS6detail17trampoline_kernelINS0_14default_configENS1_36segmented_radix_sort_config_selectorI12hip_bfloat16lEEZNS1_25segmented_radix_sort_implIS3_Lb0EPKS5_PS5_PKlPlN2at6native12_GLOBAL__N_18offset_tEEE10hipError_tPvRmT1_PNSt15iterator_traitsISL_E10value_typeET2_T3_PNSM_ISR_E10value_typeET4_jRbjT5_SX_jjP12ihipStream_tbEUlT_E1_NS1_11comp_targetILNS1_3genE2ELNS1_11target_archE906ELNS1_3gpuE6ELNS1_3repE0EEENS1_59segmented_radix_sort_warp_sort_small_config_static_selectorELNS0_4arch9wavefront6targetE0EEEvSL_, .Lfunc_end2073-_ZN7rocprim17ROCPRIM_400000_NS6detail17trampoline_kernelINS0_14default_configENS1_36segmented_radix_sort_config_selectorI12hip_bfloat16lEEZNS1_25segmented_radix_sort_implIS3_Lb0EPKS5_PS5_PKlPlN2at6native12_GLOBAL__N_18offset_tEEE10hipError_tPvRmT1_PNSt15iterator_traitsISL_E10value_typeET2_T3_PNSM_ISR_E10value_typeET4_jRbjT5_SX_jjP12ihipStream_tbEUlT_E1_NS1_11comp_targetILNS1_3genE2ELNS1_11target_archE906ELNS1_3gpuE6ELNS1_3repE0EEENS1_59segmented_radix_sort_warp_sort_small_config_static_selectorELNS0_4arch9wavefront6targetE0EEEvSL_
                                        ; -- End function
	.set _ZN7rocprim17ROCPRIM_400000_NS6detail17trampoline_kernelINS0_14default_configENS1_36segmented_radix_sort_config_selectorI12hip_bfloat16lEEZNS1_25segmented_radix_sort_implIS3_Lb0EPKS5_PS5_PKlPlN2at6native12_GLOBAL__N_18offset_tEEE10hipError_tPvRmT1_PNSt15iterator_traitsISL_E10value_typeET2_T3_PNSM_ISR_E10value_typeET4_jRbjT5_SX_jjP12ihipStream_tbEUlT_E1_NS1_11comp_targetILNS1_3genE2ELNS1_11target_archE906ELNS1_3gpuE6ELNS1_3repE0EEENS1_59segmented_radix_sort_warp_sort_small_config_static_selectorELNS0_4arch9wavefront6targetE0EEEvSL_.num_vgpr, 0
	.set _ZN7rocprim17ROCPRIM_400000_NS6detail17trampoline_kernelINS0_14default_configENS1_36segmented_radix_sort_config_selectorI12hip_bfloat16lEEZNS1_25segmented_radix_sort_implIS3_Lb0EPKS5_PS5_PKlPlN2at6native12_GLOBAL__N_18offset_tEEE10hipError_tPvRmT1_PNSt15iterator_traitsISL_E10value_typeET2_T3_PNSM_ISR_E10value_typeET4_jRbjT5_SX_jjP12ihipStream_tbEUlT_E1_NS1_11comp_targetILNS1_3genE2ELNS1_11target_archE906ELNS1_3gpuE6ELNS1_3repE0EEENS1_59segmented_radix_sort_warp_sort_small_config_static_selectorELNS0_4arch9wavefront6targetE0EEEvSL_.num_agpr, 0
	.set _ZN7rocprim17ROCPRIM_400000_NS6detail17trampoline_kernelINS0_14default_configENS1_36segmented_radix_sort_config_selectorI12hip_bfloat16lEEZNS1_25segmented_radix_sort_implIS3_Lb0EPKS5_PS5_PKlPlN2at6native12_GLOBAL__N_18offset_tEEE10hipError_tPvRmT1_PNSt15iterator_traitsISL_E10value_typeET2_T3_PNSM_ISR_E10value_typeET4_jRbjT5_SX_jjP12ihipStream_tbEUlT_E1_NS1_11comp_targetILNS1_3genE2ELNS1_11target_archE906ELNS1_3gpuE6ELNS1_3repE0EEENS1_59segmented_radix_sort_warp_sort_small_config_static_selectorELNS0_4arch9wavefront6targetE0EEEvSL_.numbered_sgpr, 0
	.set _ZN7rocprim17ROCPRIM_400000_NS6detail17trampoline_kernelINS0_14default_configENS1_36segmented_radix_sort_config_selectorI12hip_bfloat16lEEZNS1_25segmented_radix_sort_implIS3_Lb0EPKS5_PS5_PKlPlN2at6native12_GLOBAL__N_18offset_tEEE10hipError_tPvRmT1_PNSt15iterator_traitsISL_E10value_typeET2_T3_PNSM_ISR_E10value_typeET4_jRbjT5_SX_jjP12ihipStream_tbEUlT_E1_NS1_11comp_targetILNS1_3genE2ELNS1_11target_archE906ELNS1_3gpuE6ELNS1_3repE0EEENS1_59segmented_radix_sort_warp_sort_small_config_static_selectorELNS0_4arch9wavefront6targetE0EEEvSL_.num_named_barrier, 0
	.set _ZN7rocprim17ROCPRIM_400000_NS6detail17trampoline_kernelINS0_14default_configENS1_36segmented_radix_sort_config_selectorI12hip_bfloat16lEEZNS1_25segmented_radix_sort_implIS3_Lb0EPKS5_PS5_PKlPlN2at6native12_GLOBAL__N_18offset_tEEE10hipError_tPvRmT1_PNSt15iterator_traitsISL_E10value_typeET2_T3_PNSM_ISR_E10value_typeET4_jRbjT5_SX_jjP12ihipStream_tbEUlT_E1_NS1_11comp_targetILNS1_3genE2ELNS1_11target_archE906ELNS1_3gpuE6ELNS1_3repE0EEENS1_59segmented_radix_sort_warp_sort_small_config_static_selectorELNS0_4arch9wavefront6targetE0EEEvSL_.private_seg_size, 0
	.set _ZN7rocprim17ROCPRIM_400000_NS6detail17trampoline_kernelINS0_14default_configENS1_36segmented_radix_sort_config_selectorI12hip_bfloat16lEEZNS1_25segmented_radix_sort_implIS3_Lb0EPKS5_PS5_PKlPlN2at6native12_GLOBAL__N_18offset_tEEE10hipError_tPvRmT1_PNSt15iterator_traitsISL_E10value_typeET2_T3_PNSM_ISR_E10value_typeET4_jRbjT5_SX_jjP12ihipStream_tbEUlT_E1_NS1_11comp_targetILNS1_3genE2ELNS1_11target_archE906ELNS1_3gpuE6ELNS1_3repE0EEENS1_59segmented_radix_sort_warp_sort_small_config_static_selectorELNS0_4arch9wavefront6targetE0EEEvSL_.uses_vcc, 0
	.set _ZN7rocprim17ROCPRIM_400000_NS6detail17trampoline_kernelINS0_14default_configENS1_36segmented_radix_sort_config_selectorI12hip_bfloat16lEEZNS1_25segmented_radix_sort_implIS3_Lb0EPKS5_PS5_PKlPlN2at6native12_GLOBAL__N_18offset_tEEE10hipError_tPvRmT1_PNSt15iterator_traitsISL_E10value_typeET2_T3_PNSM_ISR_E10value_typeET4_jRbjT5_SX_jjP12ihipStream_tbEUlT_E1_NS1_11comp_targetILNS1_3genE2ELNS1_11target_archE906ELNS1_3gpuE6ELNS1_3repE0EEENS1_59segmented_radix_sort_warp_sort_small_config_static_selectorELNS0_4arch9wavefront6targetE0EEEvSL_.uses_flat_scratch, 0
	.set _ZN7rocprim17ROCPRIM_400000_NS6detail17trampoline_kernelINS0_14default_configENS1_36segmented_radix_sort_config_selectorI12hip_bfloat16lEEZNS1_25segmented_radix_sort_implIS3_Lb0EPKS5_PS5_PKlPlN2at6native12_GLOBAL__N_18offset_tEEE10hipError_tPvRmT1_PNSt15iterator_traitsISL_E10value_typeET2_T3_PNSM_ISR_E10value_typeET4_jRbjT5_SX_jjP12ihipStream_tbEUlT_E1_NS1_11comp_targetILNS1_3genE2ELNS1_11target_archE906ELNS1_3gpuE6ELNS1_3repE0EEENS1_59segmented_radix_sort_warp_sort_small_config_static_selectorELNS0_4arch9wavefront6targetE0EEEvSL_.has_dyn_sized_stack, 0
	.set _ZN7rocprim17ROCPRIM_400000_NS6detail17trampoline_kernelINS0_14default_configENS1_36segmented_radix_sort_config_selectorI12hip_bfloat16lEEZNS1_25segmented_radix_sort_implIS3_Lb0EPKS5_PS5_PKlPlN2at6native12_GLOBAL__N_18offset_tEEE10hipError_tPvRmT1_PNSt15iterator_traitsISL_E10value_typeET2_T3_PNSM_ISR_E10value_typeET4_jRbjT5_SX_jjP12ihipStream_tbEUlT_E1_NS1_11comp_targetILNS1_3genE2ELNS1_11target_archE906ELNS1_3gpuE6ELNS1_3repE0EEENS1_59segmented_radix_sort_warp_sort_small_config_static_selectorELNS0_4arch9wavefront6targetE0EEEvSL_.has_recursion, 0
	.set _ZN7rocprim17ROCPRIM_400000_NS6detail17trampoline_kernelINS0_14default_configENS1_36segmented_radix_sort_config_selectorI12hip_bfloat16lEEZNS1_25segmented_radix_sort_implIS3_Lb0EPKS5_PS5_PKlPlN2at6native12_GLOBAL__N_18offset_tEEE10hipError_tPvRmT1_PNSt15iterator_traitsISL_E10value_typeET2_T3_PNSM_ISR_E10value_typeET4_jRbjT5_SX_jjP12ihipStream_tbEUlT_E1_NS1_11comp_targetILNS1_3genE2ELNS1_11target_archE906ELNS1_3gpuE6ELNS1_3repE0EEENS1_59segmented_radix_sort_warp_sort_small_config_static_selectorELNS0_4arch9wavefront6targetE0EEEvSL_.has_indirect_call, 0
	.section	.AMDGPU.csdata,"",@progbits
; Kernel info:
; codeLenInByte = 0
; TotalNumSgprs: 0
; NumVgprs: 0
; ScratchSize: 0
; MemoryBound: 0
; FloatMode: 240
; IeeeMode: 1
; LDSByteSize: 0 bytes/workgroup (compile time only)
; SGPRBlocks: 0
; VGPRBlocks: 0
; NumSGPRsForWavesPerEU: 1
; NumVGPRsForWavesPerEU: 1
; Occupancy: 16
; WaveLimiterHint : 0
; COMPUTE_PGM_RSRC2:SCRATCH_EN: 0
; COMPUTE_PGM_RSRC2:USER_SGPR: 2
; COMPUTE_PGM_RSRC2:TRAP_HANDLER: 0
; COMPUTE_PGM_RSRC2:TGID_X_EN: 1
; COMPUTE_PGM_RSRC2:TGID_Y_EN: 0
; COMPUTE_PGM_RSRC2:TGID_Z_EN: 0
; COMPUTE_PGM_RSRC2:TIDIG_COMP_CNT: 0
	.text
	.p2align	2                               ; -- Begin function _ZN7rocprim17ROCPRIM_400000_NS6detail26segmented_warp_sort_helperINS1_20WarpSortHelperConfigILj8ELj4ELj256EEE12hip_bfloat16lLi256ELb0EvE4sortIPKS5_PS5_PKlPlEEvT_T0_T1_T2_jjjjRNS6_12storage_typeE
	.type	_ZN7rocprim17ROCPRIM_400000_NS6detail26segmented_warp_sort_helperINS1_20WarpSortHelperConfigILj8ELj4ELj256EEE12hip_bfloat16lLi256ELb0EvE4sortIPKS5_PS5_PKlPlEEvT_T0_T1_T2_jjjjRNS6_12storage_typeE,@function
_ZN7rocprim17ROCPRIM_400000_NS6detail26segmented_warp_sort_helperINS1_20WarpSortHelperConfigILj8ELj4ELj256EEE12hip_bfloat16lLi256ELb0EvE4sortIPKS5_PS5_PKlPlEEvT_T0_T1_T2_jjjjRNS6_12storage_typeE: ; @_ZN7rocprim17ROCPRIM_400000_NS6detail26segmented_warp_sort_helperINS1_20WarpSortHelperConfigILj8ELj4ELj256EEE12hip_bfloat16lLi256ELb0EvE4sortIPKS5_PS5_PKlPlEEvT_T0_T1_T2_jjjjRNS6_12storage_typeE
; %bb.0:
	s_wait_loadcnt_dscnt 0x0
	s_wait_expcnt 0x0
	s_wait_samplecnt 0x0
	s_wait_bvhcnt 0x0
	s_wait_kmcnt 0x0
	v_mov_b32_e32 v12, v9
	v_mbcnt_lo_u32_b32 v9, -1, 0
	v_dual_mov_b32 v32, 0x7fff :: v_dual_mov_b32 v35, 0x7fff
	s_delay_alu instid0(VALU_DEP_2) | instskip(SKIP_2) | instid1(VALU_DEP_3)
	v_lshlrev_b32_e32 v25, 2, v9
	v_mov_b32_e32 v9, 0
	v_sub_nc_u32_e32 v12, v12, v8
	v_and_b32_e32 v24, 28, v25
	s_delay_alu instid0(VALU_DEP_3) | instskip(NEXT) | instid1(VALU_DEP_2)
	v_lshlrev_b64_e32 v[20:21], 1, v[8:9]
	v_lshlrev_b32_e32 v22, 1, v24
	s_delay_alu instid0(VALU_DEP_2) | instskip(SKIP_1) | instid1(VALU_DEP_3)
	v_add_co_u32 v0, vcc_lo, v0, v20
	s_wait_alu 0xfffd
	v_add_co_ci_u32_e64 v1, null, v1, v21, vcc_lo
	s_delay_alu instid0(VALU_DEP_2) | instskip(SKIP_1) | instid1(VALU_DEP_2)
	v_add_co_u32 v0, vcc_lo, v0, v22
	s_wait_alu 0xfffd
	v_add_co_ci_u32_e64 v1, null, 0, v1, vcc_lo
	v_cmp_lt_u32_e32 vcc_lo, v24, v12
	s_and_saveexec_b32 s0, vcc_lo
	s_cbranch_execz .LBB2074_2
; %bb.1:
	flat_load_u16 v35, v[0:1]
.LBB2074_2:
	s_wait_alu 0xfffe
	s_or_b32 exec_lo, exec_lo, s0
	v_or_b32_e32 v13, 1, v24
	s_delay_alu instid0(VALU_DEP_1)
	v_cmp_lt_u32_e64 s0, v13, v12
	s_and_saveexec_b32 s1, s0
	s_cbranch_execz .LBB2074_4
; %bb.3:
	flat_load_u16 v32, v[0:1] offset:2
.LBB2074_4:
	s_wait_alu 0xfffe
	s_or_b32 exec_lo, exec_lo, s1
	v_or_b32_e32 v13, 2, v24
	v_dual_mov_b32 v34, 0x7fff :: v_dual_mov_b32 v33, 0x7fff
	s_delay_alu instid0(VALU_DEP_2)
	v_cmp_lt_u32_e64 s1, v13, v12
	s_and_saveexec_b32 s2, s1
	s_cbranch_execz .LBB2074_6
; %bb.5:
	flat_load_u16 v33, v[0:1] offset:4
.LBB2074_6:
	s_wait_alu 0xfffe
	s_or_b32 exec_lo, exec_lo, s2
	v_or_b32_e32 v13, 3, v24
	s_delay_alu instid0(VALU_DEP_1)
	v_cmp_lt_u32_e64 s2, v13, v12
	s_and_saveexec_b32 s3, s2
	s_cbranch_execz .LBB2074_8
; %bb.7:
	flat_load_u16 v34, v[0:1] offset:6
.LBB2074_8:
	s_wait_alu 0xfffe
	s_or_b32 exec_lo, exec_lo, s3
	v_lshlrev_b64_e32 v[0:1], 3, v[8:9]
	v_dual_mov_b32 v12, 0 :: v_dual_lshlrev_b32 v23, 3, v24
	; wave barrier
	s_delay_alu instid0(VALU_DEP_2) | instskip(SKIP_1) | instid1(VALU_DEP_3)
	v_add_co_u32 v4, s3, v4, v0
	s_wait_alu 0xf1ff
	v_add_co_ci_u32_e64 v5, null, v5, v1, s3
	s_delay_alu instid0(VALU_DEP_3) | instskip(NEXT) | instid1(VALU_DEP_3)
	v_dual_mov_b32 v13, v12 :: v_dual_mov_b32 v14, v12
	v_add_co_u32 v4, s3, v4, v23
	s_wait_alu 0xf1ff
	s_delay_alu instid0(VALU_DEP_3)
	v_add_co_ci_u32_e64 v5, null, 0, v5, s3
	v_dual_mov_b32 v15, v12 :: v_dual_mov_b32 v16, v12
	v_dual_mov_b32 v17, v12 :: v_dual_mov_b32 v18, v12
	v_mov_b32_e32 v19, v12
	s_and_saveexec_b32 s3, vcc_lo
	s_cbranch_execnz .LBB2074_76
; %bb.9:
	s_wait_alu 0xfffe
	s_or_b32 exec_lo, exec_lo, s3
	s_and_saveexec_b32 s3, s0
	s_cbranch_execnz .LBB2074_77
.LBB2074_10:
	s_wait_alu 0xfffe
	s_or_b32 exec_lo, exec_lo, s3
	s_and_saveexec_b32 s3, s1
	s_cbranch_execnz .LBB2074_78
.LBB2074_11:
	s_wait_alu 0xfffe
	s_or_b32 exec_lo, exec_lo, s3
	s_and_saveexec_b32 s3, s2
	s_cbranch_execz .LBB2074_13
.LBB2074_12:
	flat_load_b64 v[18:19], v[4:5] offset:24
.LBB2074_13:
	s_wait_alu 0xfffe
	s_or_b32 exec_lo, exec_lo, s3
	; wave barrier
	s_load_b64 s[4:5], s[8:9], 0x0
	s_and_b32 s3, ttmp7, 0xffff
	s_mov_b32 s7, 0
	v_bfe_u32 v4, v31, 10, 10
	v_bfe_u32 v5, v31, 20, 10
	s_wait_kmcnt 0x0
	s_wait_alu 0xfffe
	s_cmp_lt_u32 s3, s5
	s_cselect_b32 s6, 14, 20
	s_cmp_lt_u32 ttmp9, s4
	s_wait_alu 0xfffe
	s_add_nc_u64 s[10:11], s[8:9], s[6:7]
	s_cselect_b32 s6, 12, 18
	s_load_u16 s3, s[10:11], 0x0
	s_add_nc_u64 s[4:5], s[8:9], s[6:7]
	s_mov_b32 s9, exec_lo
	s_load_u16 s4, s[4:5], 0x0
	s_wait_kmcnt 0x0
	v_mad_u32_u24 v4, v5, s3, v4
	v_and_b32_e32 v5, 0x3ff, v31
	s_delay_alu instid0(VALU_DEP_2) | instskip(NEXT) | instid1(VALU_DEP_1)
	v_mul_lo_u32 v4, v4, s4
	v_add_lshl_u32 v4, v4, v5, 2
	s_delay_alu instid0(VALU_DEP_1)
	v_cmpx_gt_u32_e32 0x400, v4
	s_cbranch_execz .LBB2074_65
; %bb.14:
	s_wait_loadcnt_dscnt 0x0
	v_lshlrev_b32_e32 v5, 16, v35
	s_delay_alu instid0(VALU_DEP_1) | instskip(NEXT) | instid1(VALU_DEP_1)
	v_add_f32_e32 v8, 0, v5
	v_and_b32_e32 v5, 0x7f800000, v8
	s_delay_alu instid0(VALU_DEP_1)
	v_cmp_ne_u32_e64 s3, 0x7f800000, v5
                                        ; implicit-def: $vgpr5
	s_and_saveexec_b32 s4, s3
	s_wait_alu 0xfffe
	s_xor_b32 s3, exec_lo, s4
; %bb.15:
	v_bfe_u32 v5, v8, 16, 1
	s_delay_alu instid0(VALU_DEP_1)
	v_add3_u32 v5, v8, v5, 0x7fff
                                        ; implicit-def: $vgpr8
; %bb.16:
	s_wait_alu 0xfffe
	s_and_not1_saveexec_b32 s4, s3
; %bb.17:
	v_and_b32_e32 v5, 0xffff, v8
	v_or_b32_e32 v9, 0x10000, v8
	s_delay_alu instid0(VALU_DEP_2) | instskip(SKIP_1) | instid1(VALU_DEP_1)
	v_cmp_eq_u32_e64 s3, 0, v5
	s_wait_alu 0xf1ff
	v_cndmask_b32_e64 v5, v9, v8, s3
; %bb.18:
	s_wait_alu 0xfffe
	s_or_b32 exec_lo, exec_lo, s4
	v_lshlrev_b32_e32 v8, 16, v32
	s_delay_alu instid0(VALU_DEP_1) | instskip(NEXT) | instid1(VALU_DEP_1)
	v_add_f32_e32 v9, 0, v8
	v_and_b32_e32 v8, 0x7f800000, v9
	s_delay_alu instid0(VALU_DEP_1)
	v_cmp_ne_u32_e64 s3, 0x7f800000, v8
                                        ; implicit-def: $vgpr8
	s_and_saveexec_b32 s4, s3
	s_wait_alu 0xfffe
	s_xor_b32 s3, exec_lo, s4
; %bb.19:
	v_bfe_u32 v8, v9, 16, 1
	s_delay_alu instid0(VALU_DEP_1)
	v_add3_u32 v8, v9, v8, 0x7fff
                                        ; implicit-def: $vgpr9
; %bb.20:
	s_wait_alu 0xfffe
	s_and_not1_saveexec_b32 s4, s3
; %bb.21:
	v_and_b32_e32 v8, 0xffff, v9
	v_or_b32_e32 v26, 0x10000, v9
	s_delay_alu instid0(VALU_DEP_2) | instskip(SKIP_1) | instid1(VALU_DEP_1)
	v_cmp_eq_u32_e64 s3, 0, v8
	s_wait_alu 0xf1ff
	v_cndmask_b32_e64 v8, v26, v9, s3
; %bb.22:
	s_wait_alu 0xfffe
	s_or_b32 exec_lo, exec_lo, s4
	v_lshlrev_b32_e32 v9, 16, v33
	s_delay_alu instid0(VALU_DEP_1) | instskip(NEXT) | instid1(VALU_DEP_1)
	v_add_f32_e32 v9, 0, v9
	v_and_b32_e32 v26, 0x7f800000, v9
	s_delay_alu instid0(VALU_DEP_1)
	v_cmp_ne_u32_e64 s3, 0x7f800000, v26
                                        ; implicit-def: $vgpr26
	s_and_saveexec_b32 s4, s3
	s_wait_alu 0xfffe
	s_xor_b32 s3, exec_lo, s4
; %bb.23:
	v_bfe_u32 v26, v9, 16, 1
	s_delay_alu instid0(VALU_DEP_1)
	v_add3_u32 v26, v9, v26, 0x7fff
                                        ; implicit-def: $vgpr9
; %bb.24:
	s_wait_alu 0xfffe
	s_and_not1_saveexec_b32 s4, s3
; %bb.25:
	v_and_b32_e32 v26, 0xffff, v9
	v_or_b32_e32 v27, 0x10000, v9
	s_delay_alu instid0(VALU_DEP_2) | instskip(SKIP_1) | instid1(VALU_DEP_1)
	v_cmp_eq_u32_e64 s3, 0, v26
	s_wait_alu 0xf1ff
	v_cndmask_b32_e64 v26, v27, v9, s3
; %bb.26:
	s_wait_alu 0xfffe
	s_or_b32 exec_lo, exec_lo, s4
	v_lshlrev_b32_e32 v9, 16, v34
	s_delay_alu instid0(VALU_DEP_1) | instskip(NEXT) | instid1(VALU_DEP_1)
	v_add_f32_e32 v9, 0, v9
	v_and_b32_e32 v27, 0x7f800000, v9
	s_delay_alu instid0(VALU_DEP_1)
	v_cmp_ne_u32_e64 s3, 0x7f800000, v27
                                        ; implicit-def: $vgpr27
	s_and_saveexec_b32 s4, s3
	s_wait_alu 0xfffe
	s_xor_b32 s3, exec_lo, s4
; %bb.27:
	v_bfe_u32 v27, v9, 16, 1
	s_delay_alu instid0(VALU_DEP_1)
	v_add3_u32 v27, v9, v27, 0x7fff
                                        ; implicit-def: $vgpr9
; %bb.28:
	s_wait_alu 0xfffe
	s_and_not1_saveexec_b32 s4, s3
; %bb.29:
	v_and_b32_e32 v27, 0xffff, v9
	v_or_b32_e32 v28, 0x10000, v9
	s_delay_alu instid0(VALU_DEP_2) | instskip(SKIP_1) | instid1(VALU_DEP_1)
	v_cmp_eq_u32_e64 s3, 0, v27
	s_wait_alu 0xf1ff
	v_cndmask_b32_e64 v27, v28, v9, s3
; %bb.30:
	s_wait_alu 0xfffe
	s_or_b32 exec_lo, exec_lo, s4
	v_cmp_lt_i32_e64 s3, -1, v5
	v_perm_b32 v5, v8, v5, 0x7060302
	s_wait_alu 0xf1ff
	s_delay_alu instid0(VALU_DEP_2) | instskip(SKIP_2) | instid1(VALU_DEP_1)
	v_cndmask_b32_e64 v9, -1, 0xffff8000, s3
	v_cmp_lt_i32_e64 s3, -1, v8
	s_wait_alu 0xf1ff
	v_cndmask_b32_e64 v28, -1, 0xffff8000, s3
	s_delay_alu instid0(VALU_DEP_1) | instskip(NEXT) | instid1(VALU_DEP_1)
	v_perm_b32 v8, v28, v9, 0x5040100
	v_xor_b32_e32 v5, v8, v5
	s_delay_alu instid0(VALU_DEP_1) | instskip(NEXT) | instid1(VALU_DEP_1)
	v_lshrrev_b32_e32 v8, 16, v5
	v_cmp_gt_u16_e64 s3, v5, v8
	s_wait_alu 0xf1ff
	s_delay_alu instid0(VALU_DEP_1) | instskip(NEXT) | instid1(VALU_DEP_1)
	v_cndmask_b32_e64 v9, v32, v35, s3
	v_lshlrev_b32_e32 v5, 16, v9
	s_delay_alu instid0(VALU_DEP_1) | instskip(NEXT) | instid1(VALU_DEP_1)
	v_add_f32_e32 v5, 0, v5
	v_and_b32_e32 v8, 0x7f800000, v5
	s_delay_alu instid0(VALU_DEP_1)
	v_cmp_ne_u32_e64 s4, 0x7f800000, v8
                                        ; implicit-def: $vgpr8
	s_and_saveexec_b32 s5, s4
	s_wait_alu 0xfffe
	s_xor_b32 s4, exec_lo, s5
; %bb.31:
	v_bfe_u32 v8, v5, 16, 1
	s_delay_alu instid0(VALU_DEP_1)
	v_add3_u32 v8, v5, v8, 0x7fff
                                        ; implicit-def: $vgpr5
; %bb.32:
	s_wait_alu 0xfffe
	s_and_not1_saveexec_b32 s5, s4
; %bb.33:
	v_and_b32_e32 v8, 0xffff, v5
	v_or_b32_e32 v28, 0x10000, v5
	s_delay_alu instid0(VALU_DEP_2) | instskip(SKIP_1) | instid1(VALU_DEP_1)
	v_cmp_eq_u32_e64 s4, 0, v8
	s_wait_alu 0xf1ff
	v_cndmask_b32_e64 v8, v28, v5, s4
; %bb.34:
	s_wait_alu 0xfffe
	s_or_b32 exec_lo, exec_lo, s5
	v_cmp_lt_i32_e64 s4, -1, v26
	v_perm_b32 v26, v27, v26, 0x7060302
	s_wait_alu 0xf1ff
	s_delay_alu instid0(VALU_DEP_2) | instskip(SKIP_2) | instid1(VALU_DEP_1)
	v_cndmask_b32_e64 v5, -1, 0xffff8000, s4
	v_cmp_lt_i32_e64 s4, -1, v27
	s_wait_alu 0xf1ff
	v_cndmask_b32_e64 v28, -1, 0xffff8000, s4
	s_delay_alu instid0(VALU_DEP_1) | instskip(NEXT) | instid1(VALU_DEP_1)
	v_perm_b32 v5, v28, v5, 0x5040100
                                        ; implicit-def: $vgpr28
	v_xor_b32_e32 v5, v5, v26
	s_delay_alu instid0(VALU_DEP_1) | instskip(NEXT) | instid1(VALU_DEP_1)
	v_lshrrev_b32_e32 v26, 16, v5
	v_cmp_gt_u16_e64 s4, v5, v26
	s_wait_alu 0xf1ff
	s_delay_alu instid0(VALU_DEP_1) | instskip(NEXT) | instid1(VALU_DEP_1)
	v_cndmask_b32_e64 v26, v33, v34, s4
	v_lshlrev_b32_e32 v5, 16, v26
	s_delay_alu instid0(VALU_DEP_1) | instskip(NEXT) | instid1(VALU_DEP_1)
	v_add_f32_e32 v5, 0, v5
	v_and_b32_e32 v27, 0x7f800000, v5
	s_delay_alu instid0(VALU_DEP_1)
	v_cmp_ne_u32_e64 s5, 0x7f800000, v27
	s_and_saveexec_b32 s6, s5
	s_wait_alu 0xfffe
	s_xor_b32 s5, exec_lo, s6
; %bb.35:
	v_bfe_u32 v27, v5, 16, 1
	s_delay_alu instid0(VALU_DEP_1)
	v_add3_u32 v28, v5, v27, 0x7fff
                                        ; implicit-def: $vgpr5
; %bb.36:
	s_wait_alu 0xfffe
	s_and_not1_saveexec_b32 s6, s5
; %bb.37:
	v_and_b32_e32 v27, 0xffff, v5
	v_or_b32_e32 v28, 0x10000, v5
	s_delay_alu instid0(VALU_DEP_2) | instskip(SKIP_1) | instid1(VALU_DEP_1)
	v_cmp_eq_u32_e64 s5, 0, v27
	s_wait_alu 0xf1ff
	v_cndmask_b32_e64 v28, v28, v5, s5
; %bb.38:
	s_wait_alu 0xfffe
	s_or_b32 exec_lo, exec_lo, s6
	v_cndmask_b32_e64 v5, v35, v32, s3
	s_delay_alu instid0(VALU_DEP_1) | instskip(NEXT) | instid1(VALU_DEP_1)
	v_lshlrev_b32_e32 v27, 16, v5
	v_add_f32_e32 v29, 0, v27
	s_delay_alu instid0(VALU_DEP_1) | instskip(NEXT) | instid1(VALU_DEP_1)
	v_and_b32_e32 v27, 0x7f800000, v29
	v_cmp_ne_u32_e64 s5, 0x7f800000, v27
                                        ; implicit-def: $vgpr27
	s_and_saveexec_b32 s6, s5
	s_wait_alu 0xfffe
	s_xor_b32 s5, exec_lo, s6
; %bb.39:
	v_bfe_u32 v27, v29, 16, 1
	s_delay_alu instid0(VALU_DEP_1)
	v_add3_u32 v27, v29, v27, 0x7fff
                                        ; implicit-def: $vgpr29
; %bb.40:
	s_wait_alu 0xfffe
	s_and_not1_saveexec_b32 s6, s5
; %bb.41:
	v_and_b32_e32 v27, 0xffff, v29
	v_or_b32_e32 v30, 0x10000, v29
	s_delay_alu instid0(VALU_DEP_2) | instskip(SKIP_1) | instid1(VALU_DEP_1)
	v_cmp_eq_u32_e64 s5, 0, v27
	s_wait_alu 0xf1ff
	v_cndmask_b32_e64 v27, v30, v29, s5
; %bb.42:
	s_wait_alu 0xfffe
	s_or_b32 exec_lo, exec_lo, s6
	v_cmp_lt_i32_e64 s5, -1, v8
	v_perm_b32 v8, v28, v8, 0x7060302
	s_wait_alu 0xf1ff
	s_delay_alu instid0(VALU_DEP_2) | instskip(SKIP_2) | instid1(VALU_DEP_1)
	v_cndmask_b32_e64 v29, -1, 0xffff8000, s5
	v_cmp_lt_i32_e64 s5, -1, v28
	s_wait_alu 0xf1ff
	v_cndmask_b32_e64 v30, -1, 0xffff8000, s5
	s_delay_alu instid0(VALU_DEP_1) | instskip(NEXT) | instid1(VALU_DEP_1)
	v_perm_b32 v28, v30, v29, 0x5040100
	v_xor_b32_e32 v8, v28, v8
	s_delay_alu instid0(VALU_DEP_1) | instskip(NEXT) | instid1(VALU_DEP_1)
	v_lshrrev_b32_e32 v28, 16, v8
	v_cmp_gt_u16_e64 s5, v8, v28
	s_wait_alu 0xf1ff
	s_delay_alu instid0(VALU_DEP_1) | instskip(NEXT) | instid1(VALU_DEP_1)
	v_cndmask_b32_e64 v8, v9, v26, s5
	v_lshlrev_b32_e32 v28, 16, v8
	s_delay_alu instid0(VALU_DEP_1) | instskip(NEXT) | instid1(VALU_DEP_1)
	v_add_f32_e32 v28, 0, v28
	v_and_b32_e32 v29, 0x7f800000, v28
	s_delay_alu instid0(VALU_DEP_1)
	v_cmp_ne_u32_e64 s6, 0x7f800000, v29
                                        ; implicit-def: $vgpr29
	s_and_saveexec_b32 s7, s6
	s_wait_alu 0xfffe
	s_xor_b32 s6, exec_lo, s7
; %bb.43:
	v_bfe_u32 v29, v28, 16, 1
	s_delay_alu instid0(VALU_DEP_1)
	v_add3_u32 v29, v28, v29, 0x7fff
                                        ; implicit-def: $vgpr28
; %bb.44:
	s_wait_alu 0xfffe
	s_and_not1_saveexec_b32 s7, s6
; %bb.45:
	v_and_b32_e32 v29, 0xffff, v28
	v_or_b32_e32 v30, 0x10000, v28
	s_delay_alu instid0(VALU_DEP_2) | instskip(SKIP_1) | instid1(VALU_DEP_1)
	v_cmp_eq_u32_e64 s6, 0, v29
	s_wait_alu 0xf1ff
	v_cndmask_b32_e64 v29, v30, v28, s6
; %bb.46:
	s_wait_alu 0xfffe
	s_or_b32 exec_lo, exec_lo, s7
	v_cndmask_b32_e64 v9, v26, v9, s5
	s_delay_alu instid0(VALU_DEP_1) | instskip(NEXT) | instid1(VALU_DEP_1)
	v_lshlrev_b32_e32 v26, 16, v9
	v_add_f32_e32 v26, 0, v26
	s_delay_alu instid0(VALU_DEP_1) | instskip(NEXT) | instid1(VALU_DEP_1)
	v_and_b32_e32 v28, 0x7f800000, v26
	v_cmp_ne_u32_e64 s6, 0x7f800000, v28
                                        ; implicit-def: $vgpr28
	s_and_saveexec_b32 s7, s6
	s_wait_alu 0xfffe
	s_xor_b32 s6, exec_lo, s7
; %bb.47:
	v_bfe_u32 v28, v26, 16, 1
	s_delay_alu instid0(VALU_DEP_1)
	v_add3_u32 v28, v26, v28, 0x7fff
                                        ; implicit-def: $vgpr26
; %bb.48:
	s_wait_alu 0xfffe
	s_and_not1_saveexec_b32 s7, s6
; %bb.49:
	v_and_b32_e32 v28, 0xffff, v26
	v_or_b32_e32 v30, 0x10000, v26
	s_delay_alu instid0(VALU_DEP_2) | instskip(SKIP_1) | instid1(VALU_DEP_1)
	v_cmp_eq_u32_e64 s6, 0, v28
	s_wait_alu 0xf1ff
	v_cndmask_b32_e64 v28, v30, v26, s6
; %bb.50:
	s_wait_alu 0xfffe
	s_or_b32 exec_lo, exec_lo, s7
	v_cndmask_b32_e64 v26, v34, v33, s4
	s_delay_alu instid0(VALU_DEP_1) | instskip(NEXT) | instid1(VALU_DEP_1)
	v_lshlrev_b32_e32 v30, 16, v26
	v_add_f32_e32 v31, 0, v30
	s_delay_alu instid0(VALU_DEP_1) | instskip(NEXT) | instid1(VALU_DEP_1)
	v_and_b32_e32 v30, 0x7f800000, v31
	v_cmp_ne_u32_e64 s6, 0x7f800000, v30
                                        ; implicit-def: $vgpr30
	s_and_saveexec_b32 s7, s6
	s_wait_alu 0xfffe
	s_xor_b32 s6, exec_lo, s7
; %bb.51:
	v_bfe_u32 v30, v31, 16, 1
	s_delay_alu instid0(VALU_DEP_1)
	v_add3_u32 v30, v31, v30, 0x7fff
                                        ; implicit-def: $vgpr31
; %bb.52:
	s_wait_alu 0xfffe
	s_and_not1_saveexec_b32 s7, s6
; %bb.53:
	v_and_b32_e32 v30, 0xffff, v31
	v_or_b32_e32 v32, 0x10000, v31
	s_delay_alu instid0(VALU_DEP_2) | instskip(SKIP_1) | instid1(VALU_DEP_1)
	v_cmp_eq_u32_e64 s6, 0, v30
	s_wait_alu 0xf1ff
	v_cndmask_b32_e64 v30, v32, v31, s6
; %bb.54:
	s_wait_alu 0xfffe
	s_or_b32 exec_lo, exec_lo, s7
	v_cmp_lt_i32_e64 s6, -1, v27
	v_perm_b32 v27, v29, v27, 0x7060302
	s_wait_alu 0xf1ff
	s_delay_alu instid0(VALU_DEP_2) | instskip(SKIP_2) | instid1(VALU_DEP_1)
	v_cndmask_b32_e64 v31, -1, 0xffff8000, s6
	v_cmp_lt_i32_e64 s6, -1, v29
	s_wait_alu 0xf1ff
	v_cndmask_b32_e64 v32, -1, 0xffff8000, s6
	s_delay_alu instid0(VALU_DEP_1) | instskip(NEXT) | instid1(VALU_DEP_1)
	v_perm_b32 v29, v32, v31, 0x5040100
	v_xor_b32_e32 v27, v29, v27
	s_delay_alu instid0(VALU_DEP_1) | instskip(NEXT) | instid1(VALU_DEP_1)
	v_lshrrev_b32_e32 v29, 16, v27
	v_cmp_gt_u16_e64 s6, v27, v29
	s_wait_alu 0xf1ff
	s_delay_alu instid0(VALU_DEP_1) | instskip(NEXT) | instid1(VALU_DEP_1)
	v_cndmask_b32_e64 v32, v8, v5, s6
	v_lshlrev_b32_e32 v27, 16, v32
	s_delay_alu instid0(VALU_DEP_1) | instskip(NEXT) | instid1(VALU_DEP_1)
	v_add_f32_e32 v27, 0, v27
	v_and_b32_e32 v29, 0x7f800000, v27
	s_delay_alu instid0(VALU_DEP_1)
	v_cmp_ne_u32_e64 s7, 0x7f800000, v29
                                        ; implicit-def: $vgpr29
	s_and_saveexec_b32 s8, s7
	s_wait_alu 0xfffe
	s_xor_b32 s7, exec_lo, s8
; %bb.55:
	v_bfe_u32 v29, v27, 16, 1
	s_delay_alu instid0(VALU_DEP_1)
	v_add3_u32 v29, v27, v29, 0x7fff
                                        ; implicit-def: $vgpr27
; %bb.56:
	s_wait_alu 0xfffe
	s_and_not1_saveexec_b32 s8, s7
; %bb.57:
	v_and_b32_e32 v29, 0xffff, v27
	v_or_b32_e32 v31, 0x10000, v27
	s_delay_alu instid0(VALU_DEP_2) | instskip(SKIP_1) | instid1(VALU_DEP_1)
	v_cmp_eq_u32_e64 s7, 0, v29
	s_wait_alu 0xf1ff
	v_cndmask_b32_e64 v29, v31, v27, s7
; %bb.58:
	s_wait_alu 0xfffe
	s_or_b32 exec_lo, exec_lo, s8
	v_cmp_lt_i32_e64 s7, -1, v28
	v_perm_b32 v28, v30, v28, 0x7060302
	s_wait_alu 0xf1ff
	s_delay_alu instid0(VALU_DEP_2) | instskip(SKIP_2) | instid1(VALU_DEP_1)
	v_cndmask_b32_e64 v27, -1, 0xffff8000, s7
	v_cmp_lt_i32_e64 s7, -1, v30
	s_wait_alu 0xf1ff
	v_cndmask_b32_e64 v31, -1, 0xffff8000, s7
	s_delay_alu instid0(VALU_DEP_1) | instskip(NEXT) | instid1(VALU_DEP_1)
	v_perm_b32 v27, v31, v27, 0x5040100
	v_xor_b32_e32 v27, v27, v28
	s_delay_alu instid0(VALU_DEP_1) | instskip(NEXT) | instid1(VALU_DEP_1)
	v_lshrrev_b32_e32 v28, 16, v27
	v_cmp_gt_u16_e64 s7, v27, v28
	s_wait_alu 0xf1ff
	s_delay_alu instid0(VALU_DEP_1) | instskip(NEXT) | instid1(VALU_DEP_1)
	v_cndmask_b32_e64 v27, v9, v26, s7
	v_lshlrev_b32_e32 v28, 16, v27
	s_delay_alu instid0(VALU_DEP_1) | instskip(NEXT) | instid1(VALU_DEP_1)
	v_add_f32_e32 v30, 0, v28
	v_and_b32_e32 v28, 0x7f800000, v30
	s_delay_alu instid0(VALU_DEP_1)
	v_cmp_ne_u32_e64 s8, 0x7f800000, v28
                                        ; implicit-def: $vgpr28
	s_and_saveexec_b32 s10, s8
	s_wait_alu 0xfffe
	s_xor_b32 s8, exec_lo, s10
; %bb.59:
	v_bfe_u32 v28, v30, 16, 1
	s_delay_alu instid0(VALU_DEP_1)
	v_add3_u32 v28, v30, v28, 0x7fff
                                        ; implicit-def: $vgpr30
; %bb.60:
	s_wait_alu 0xfffe
	s_and_not1_saveexec_b32 s10, s8
; %bb.61:
	v_and_b32_e32 v28, 0xffff, v30
	v_or_b32_e32 v31, 0x10000, v30
	s_delay_alu instid0(VALU_DEP_2) | instskip(SKIP_1) | instid1(VALU_DEP_1)
	v_cmp_eq_u32_e64 s8, 0, v28
	s_wait_alu 0xf1ff
	v_cndmask_b32_e64 v28, v31, v30, s8
; %bb.62:
	s_wait_alu 0xfffe
	s_or_b32 exec_lo, exec_lo, s10
	v_cndmask_b32_e64 v30, v12, v14, s3
	v_cndmask_b32_e64 v31, v13, v15, s3
	;; [unrolled: 1-line block ×4, first 2 shown]
	v_cmp_lt_i32_e64 s3, -1, v29
	v_cndmask_b32_e64 v33, v18, v16, s4
	v_cndmask_b32_e64 v34, v17, v19, s4
	;; [unrolled: 1-line block ×3, first 2 shown]
	v_perm_b32 v18, v28, v29, 0x7060302
	s_wait_alu 0xf1ff
	v_cndmask_b32_e64 v14, -1, 0xffff8000, s3
	v_cmp_lt_i32_e64 s3, -1, v28
	v_cndmask_b32_e64 v17, v19, v17, s4
	v_cndmask_b32_e64 v19, v13, v34, s5
	;; [unrolled: 1-line block ×4, first 2 shown]
	s_wait_alu 0xf1ff
	v_cndmask_b32_e64 v15, -1, 0xffff8000, s3
	v_cndmask_b32_e64 v29, v34, v13, s5
	v_cndmask_b32_e64 v13, v31, v19, s6
	;; [unrolled: 1-line block ×3, first 2 shown]
	s_mov_b32 s4, exec_lo
	v_perm_b32 v14, v15, v14, 0x5040100
	v_cndmask_b32_e64 v15, v19, v31, s6
	v_cndmask_b32_e64 v19, v17, v29, s7
	v_cndmask_b32_e64 v17, v29, v17, s7
	s_delay_alu instid0(VALU_DEP_4)
	v_xor_b32_e32 v34, v14, v18
	v_cndmask_b32_e64 v14, v28, v30, s6
	v_cndmask_b32_e64 v18, v33, v16, s7
	;; [unrolled: 1-line block ×3, first 2 shown]
	v_mov_b32_e32 v33, v27
	v_lshrrev_b32_e32 v28, 16, v34
	s_delay_alu instid0(VALU_DEP_1)
	v_cmpx_gt_u16_e64 v34, v28
	s_cbranch_execz .LBB2074_64
; %bb.63:
	v_dual_mov_b32 v48, v12 :: v_dual_mov_b32 v49, v13
	v_dual_mov_b32 v50, v16 :: v_dual_mov_b32 v51, v17
	;; [unrolled: 1-line block ×4, first 2 shown]
	s_delay_alu instid0(VALU_DEP_4) | instskip(NEXT) | instid1(VALU_DEP_4)
	v_dual_mov_b32 v12, v48 :: v_dual_mov_b32 v13, v49
	v_dual_mov_b32 v14, v50 :: v_dual_mov_b32 v15, v51
	s_delay_alu instid0(VALU_DEP_4) | instskip(NEXT) | instid1(VALU_DEP_4)
	v_dual_mov_b32 v16, v52 :: v_dual_mov_b32 v17, v53
	v_dual_mov_b32 v18, v54 :: v_dual_mov_b32 v19, v55
	v_dual_mov_b32 v33, v32 :: v_dual_mov_b32 v32, v27
.LBB2074_64:
	s_wait_alu 0xfffe
	s_or_b32 exec_lo, exec_lo, s4
	v_cndmask_b32_e64 v34, v26, v9, s7
	v_cndmask_b32_e64 v35, v5, v8, s6
.LBB2074_65:
	s_or_b32 exec_lo, exec_lo, s9
	v_dual_mov_b32 v5, 0 :: v_dual_and_b32 v4, 0xffffff80, v4
	v_or_b32_e32 v27, 4, v25
	v_and_b32_e32 v37, 0x78, v25
	s_mov_b32 s4, exec_lo
	s_delay_alu instid0(VALU_DEP_3) | instskip(SKIP_1) | instid1(VALU_DEP_2)
	v_sub_nc_u32_e64 v26, 0x400, v4 clamp
	v_lshlrev_b64_e32 v[8:9], 1, v[4:5]
	v_min_u32_e32 v31, v26, v27
	s_delay_alu instid0(VALU_DEP_2) | instskip(SKIP_1) | instid1(VALU_DEP_3)
	v_add_co_u32 v8, s3, v10, v8
	s_wait_alu 0xf1ff
	v_add_co_ci_u32_e64 v9, null, v11, v9, s3
	s_delay_alu instid0(VALU_DEP_3) | instskip(NEXT) | instid1(VALU_DEP_2)
	v_add_nc_u32_e32 v10, 4, v31
	v_mad_co_u64_u32 v[4:5], null, v4, 6, v[8:9]
	v_and_b32_e32 v5, 4, v25
	s_delay_alu instid0(VALU_DEP_3) | instskip(NEXT) | instid1(VALU_DEP_2)
	v_min_u32_e32 v36, v26, v10
	v_min_u32_e32 v38, v26, v5
	v_sub_nc_u32_e32 v5, v31, v37
	v_lshl_add_u32 v30, v25, 3, v4
	s_delay_alu instid0(VALU_DEP_4) | instskip(NEXT) | instid1(VALU_DEP_3)
	v_sub_nc_u32_e32 v10, v36, v31
	v_min_u32_e32 v9, v38, v5
	s_delay_alu instid0(VALU_DEP_3) | instskip(NEXT) | instid1(VALU_DEP_3)
	v_add_nc_u32_e32 v11, 0x800, v30
	v_sub_nc_u32_e64 v39, v38, v10 clamp
	v_lshl_add_u32 v5, v25, 1, v8
	s_wait_loadcnt_dscnt 0x0
	ds_store_2addr_b64 v11, v[12:13], v[14:15] offset1:1
	ds_store_b16 v5, v35
	ds_store_b16 v5, v32 offset:2
	ds_store_b16 v5, v33 offset:4
	;; [unrolled: 1-line block ×3, first 2 shown]
	ds_store_2addr_b64 v11, v[16:17], v[18:19] offset0:2 offset1:3
	; wave barrier
	v_cmpx_lt_u32_e64 v39, v9
	s_cbranch_execz .LBB2074_80
; %bb.66:
	v_lshlrev_b32_e32 v10, 1, v37
	v_lshlrev_b32_e32 v11, 1, v31
	s_mov_b32 s5, 0
	s_delay_alu instid0(VALU_DEP_2) | instskip(NEXT) | instid1(VALU_DEP_2)
	v_add_co_u32 v10, null, v8, v10
	v_add_co_u32 v11, null, v8, v11
	s_branch .LBB2074_68
.LBB2074_67:                            ;   in Loop: Header=BB2074_68 Depth=1
	s_wait_alu 0xfffe
	s_or_b32 exec_lo, exec_lo, s6
	v_cmp_lt_i32_e64 s3, -1, v28
	v_lshrrev_b32_e32 v48, 16, v28
	v_lshrrev_b32_e32 v49, 16, v29
	s_wait_alu 0xf1ff
	s_delay_alu instid0(VALU_DEP_3) | instskip(SKIP_1) | instid1(VALU_DEP_2)
	v_cndmask_b32_e64 v28, -1, 0xffff8000, s3
	v_cmp_lt_i32_e64 s3, -1, v29
	v_xor_b32_e32 v28, v28, v48
	s_wait_alu 0xf1ff
	s_delay_alu instid0(VALU_DEP_2) | instskip(SKIP_1) | instid1(VALU_DEP_2)
	v_cndmask_b32_e64 v29, -1, 0xffff8000, s3
	v_add_nc_u32_e32 v48, 1, v27
	v_xor_b32_e32 v29, v29, v49
	s_delay_alu instid0(VALU_DEP_1) | instskip(SKIP_1) | instid1(VALU_DEP_1)
	v_cmp_gt_u16_e64 s3, v28, v29
	s_wait_alu 0xf1ff
	v_cndmask_b32_e64 v9, v9, v27, s3
	v_cndmask_b32_e64 v39, v48, v39, s3
	s_delay_alu instid0(VALU_DEP_1)
	v_cmp_ge_u32_e64 s3, v39, v9
	s_or_b32 s5, s3, s5
	s_wait_alu 0xfffe
	s_and_not1_b32 exec_lo, exec_lo, s5
	s_cbranch_execz .LBB2074_79
.LBB2074_68:                            ; =>This Inner Loop Header: Depth=1
	v_add_nc_u32_e32 v27, v9, v39
	s_delay_alu instid0(VALU_DEP_1) | instskip(NEXT) | instid1(VALU_DEP_1)
	v_and_b32_e32 v28, -2, v27
	v_add_nc_u32_e32 v28, v10, v28
	ds_load_u16 v28, v28
	s_wait_dscnt 0x0
	v_lshlrev_b32_e32 v28, 16, v28
	s_delay_alu instid0(VALU_DEP_1) | instskip(SKIP_1) | instid1(VALU_DEP_2)
	v_add_f32_e32 v48, 0, v28
	v_lshrrev_b32_e32 v27, 1, v27
	v_and_b32_e32 v28, 0x7f800000, v48
	s_delay_alu instid0(VALU_DEP_2) | instskip(NEXT) | instid1(VALU_DEP_2)
	v_xad_u32 v29, v27, -1, v38
	v_cmp_ne_u32_e64 s3, 0x7f800000, v28
	s_delay_alu instid0(VALU_DEP_2)
	v_lshl_add_u32 v29, v29, 1, v11
                                        ; implicit-def: $vgpr28
	ds_load_u16 v29, v29
	s_and_saveexec_b32 s6, s3
	s_wait_alu 0xfffe
	s_xor_b32 s3, exec_lo, s6
; %bb.69:                               ;   in Loop: Header=BB2074_68 Depth=1
	v_bfe_u32 v28, v48, 16, 1
	s_delay_alu instid0(VALU_DEP_1)
	v_add3_u32 v28, v48, v28, 0x7fff
                                        ; implicit-def: $vgpr48
; %bb.70:                               ;   in Loop: Header=BB2074_68 Depth=1
	s_wait_alu 0xfffe
	s_and_not1_saveexec_b32 s6, s3
; %bb.71:                               ;   in Loop: Header=BB2074_68 Depth=1
	v_and_b32_e32 v28, 0xffff, v48
	v_or_b32_e32 v49, 0x10000, v48
	s_delay_alu instid0(VALU_DEP_2) | instskip(SKIP_1) | instid1(VALU_DEP_1)
	v_cmp_eq_u32_e64 s3, 0, v28
	s_wait_alu 0xf1ff
	v_cndmask_b32_e64 v28, v49, v48, s3
; %bb.72:                               ;   in Loop: Header=BB2074_68 Depth=1
	s_wait_alu 0xfffe
	s_or_b32 exec_lo, exec_lo, s6
	s_wait_dscnt 0x0
	v_lshlrev_b32_e32 v29, 16, v29
	s_delay_alu instid0(VALU_DEP_1) | instskip(NEXT) | instid1(VALU_DEP_1)
	v_add_f32_e32 v48, 0, v29
	v_and_b32_e32 v29, 0x7f800000, v48
	s_delay_alu instid0(VALU_DEP_1)
	v_cmp_ne_u32_e64 s3, 0x7f800000, v29
                                        ; implicit-def: $vgpr29
	s_and_saveexec_b32 s6, s3
	s_wait_alu 0xfffe
	s_xor_b32 s3, exec_lo, s6
; %bb.73:                               ;   in Loop: Header=BB2074_68 Depth=1
	v_bfe_u32 v29, v48, 16, 1
	s_delay_alu instid0(VALU_DEP_1)
	v_add3_u32 v29, v48, v29, 0x7fff
                                        ; implicit-def: $vgpr48
; %bb.74:                               ;   in Loop: Header=BB2074_68 Depth=1
	s_wait_alu 0xfffe
	s_and_not1_saveexec_b32 s6, s3
	s_cbranch_execz .LBB2074_67
; %bb.75:                               ;   in Loop: Header=BB2074_68 Depth=1
	v_and_b32_e32 v29, 0xffff, v48
	v_or_b32_e32 v49, 0x10000, v48
	s_delay_alu instid0(VALU_DEP_2) | instskip(SKIP_1) | instid1(VALU_DEP_1)
	v_cmp_eq_u32_e64 s3, 0, v29
	s_wait_alu 0xf1ff
	v_cndmask_b32_e64 v29, v49, v48, s3
	s_branch .LBB2074_67
.LBB2074_76:
	flat_load_b64 v[48:49], v[4:5]
	v_dual_mov_b32 v50, v12 :: v_dual_mov_b32 v51, v12
	v_dual_mov_b32 v52, v12 :: v_dual_mov_b32 v53, v12
	;; [unrolled: 1-line block ×3, first 2 shown]
	s_wait_loadcnt_dscnt 0x0
	v_dual_mov_b32 v12, v48 :: v_dual_mov_b32 v13, v49
	v_dual_mov_b32 v14, v50 :: v_dual_mov_b32 v15, v51
	;; [unrolled: 1-line block ×4, first 2 shown]
	s_wait_alu 0xfffe
	s_or_b32 exec_lo, exec_lo, s3
	s_and_saveexec_b32 s3, s0
	s_cbranch_execz .LBB2074_10
.LBB2074_77:
	flat_load_b64 v[14:15], v[4:5] offset:8
	s_wait_alu 0xfffe
	s_or_b32 exec_lo, exec_lo, s3
	s_and_saveexec_b32 s3, s1
	s_cbranch_execz .LBB2074_11
.LBB2074_78:
	flat_load_b64 v[16:17], v[4:5] offset:16
	s_wait_alu 0xfffe
	s_or_b32 exec_lo, exec_lo, s3
	s_and_saveexec_b32 s3, s2
	s_cbranch_execnz .LBB2074_12
	s_branch .LBB2074_13
.LBB2074_79:
	s_or_b32 exec_lo, exec_lo, s5
.LBB2074_80:
	s_wait_alu 0xfffe
	s_or_b32 exec_lo, exec_lo, s4
	v_add_nc_u32_e32 v38, v31, v38
	v_add_nc_u32_e32 v37, v39, v37
	;; [unrolled: 1-line block ×5, first 2 shown]
	v_sub_nc_u32_e32 v38, v38, v39
	v_cmp_le_u32_e64 s3, v37, v31
	v_add_nc_u32_e32 v11, 4, v5
	v_add_nc_u32_e32 v29, 0x810, v30
	;; [unrolled: 1-line block ×3, first 2 shown]
	v_cmp_le_u32_e64 s4, v38, v36
	v_add_nc_u32_e32 v30, 0x818, v30
	s_or_b32 s3, s3, s4
	s_wait_alu 0xfffe
	s_and_saveexec_b32 s5, s3
	s_cbranch_execz .LBB2074_132
; %bb.81:
	v_cmp_ge_u32_e64 s3, v37, v31
	s_mov_b32 s6, exec_lo
                                        ; implicit-def: $vgpr34
	v_cmpx_lt_u32_e64 v37, v31
; %bb.82:
	v_lshl_add_u32 v12, v37, 1, v8
	ds_load_u16 v34, v12
; %bb.83:
	s_wait_alu 0xfffe
	s_or_b32 exec_lo, exec_lo, s6
	v_cmp_ge_u32_e64 s6, v38, v36
	s_mov_b32 s7, exec_lo
                                        ; implicit-def: $vgpr35
	v_cmpx_lt_u32_e64 v38, v36
; %bb.84:
	v_lshl_add_u32 v12, v38, 1, v8
	ds_load_u16 v35, v12
; %bb.85:
	s_wait_alu 0xfffe
	s_or_b32 exec_lo, exec_lo, s7
	s_nor_b32 s3, s3, s6
	s_wait_alu 0xfffe
	s_and_saveexec_b32 s4, s3
	s_cbranch_execz .LBB2074_95
; %bb.86:
	s_wait_dscnt 0x0
	v_lshlrev_b32_e32 v12, 16, v34
	s_delay_alu instid0(VALU_DEP_1) | instskip(NEXT) | instid1(VALU_DEP_1)
	v_add_f32_e32 v13, 0, v12
	v_and_b32_e32 v12, 0x7f800000, v13
	s_delay_alu instid0(VALU_DEP_1)
	v_cmp_ne_u32_e64 s3, 0x7f800000, v12
                                        ; implicit-def: $vgpr12
	s_and_saveexec_b32 s7, s3
	s_wait_alu 0xfffe
	s_xor_b32 s3, exec_lo, s7
; %bb.87:
	v_bfe_u32 v12, v13, 16, 1
	s_delay_alu instid0(VALU_DEP_1)
	v_add3_u32 v12, v13, v12, 0x7fff
                                        ; implicit-def: $vgpr13
; %bb.88:
	s_wait_alu 0xfffe
	s_and_not1_saveexec_b32 s7, s3
; %bb.89:
	v_and_b32_e32 v12, 0xffff, v13
	v_or_b32_e32 v14, 0x10000, v13
	s_delay_alu instid0(VALU_DEP_2) | instskip(SKIP_1) | instid1(VALU_DEP_1)
	v_cmp_eq_u32_e64 s3, 0, v12
	s_wait_alu 0xf1ff
	v_cndmask_b32_e64 v12, v14, v13, s3
; %bb.90:
	s_wait_alu 0xfffe
	s_or_b32 exec_lo, exec_lo, s7
	v_lshlrev_b32_e32 v13, 16, v35
	s_delay_alu instid0(VALU_DEP_1) | instskip(NEXT) | instid1(VALU_DEP_1)
	v_add_f32_e32 v14, 0, v13
	v_and_b32_e32 v13, 0x7f800000, v14
	s_delay_alu instid0(VALU_DEP_1)
	v_cmp_ne_u32_e64 s3, 0x7f800000, v13
                                        ; implicit-def: $vgpr13
	s_and_saveexec_b32 s7, s3
	s_wait_alu 0xfffe
	s_xor_b32 s3, exec_lo, s7
; %bb.91:
	v_bfe_u32 v13, v14, 16, 1
	s_delay_alu instid0(VALU_DEP_1)
	v_add3_u32 v13, v14, v13, 0x7fff
                                        ; implicit-def: $vgpr14
; %bb.92:
	s_wait_alu 0xfffe
	s_and_not1_saveexec_b32 s7, s3
; %bb.93:
	v_and_b32_e32 v13, 0xffff, v14
	v_or_b32_e32 v15, 0x10000, v14
	s_delay_alu instid0(VALU_DEP_2) | instskip(SKIP_1) | instid1(VALU_DEP_1)
	v_cmp_eq_u32_e64 s3, 0, v13
	s_wait_alu 0xf1ff
	v_cndmask_b32_e64 v13, v15, v14, s3
; %bb.94:
	s_wait_alu 0xfffe
	s_or_b32 exec_lo, exec_lo, s7
	v_cmp_lt_i32_e64 s3, -1, v12
	s_delay_alu instid0(VALU_DEP_2) | instskip(SKIP_4) | instid1(VALU_DEP_1)
	v_perm_b32 v12, v13, v12, 0x7060302
	s_and_not1_b32 s6, s6, exec_lo
	v_cndmask_b32_e64 v14, -1, 0xffff8000, s3
	v_cmp_lt_i32_e64 s3, -1, v13
	s_wait_alu 0xf1ff
	v_cndmask_b32_e64 v15, -1, 0xffff8000, s3
	s_delay_alu instid0(VALU_DEP_1) | instskip(NEXT) | instid1(VALU_DEP_1)
	v_perm_b32 v13, v15, v14, 0x5040100
	v_xor_b32_e32 v12, v13, v12
	s_delay_alu instid0(VALU_DEP_1) | instskip(NEXT) | instid1(VALU_DEP_1)
	v_lshrrev_b32_e32 v13, 16, v12
	v_cmp_le_u16_e64 s3, v12, v13
	s_and_b32 s3, s3, exec_lo
	s_wait_alu 0xfffe
	s_or_b32 s6, s6, s3
.LBB2074_95:
	s_wait_alu 0xfffe
	s_or_b32 exec_lo, exec_lo, s4
	v_cndmask_b32_e64 v12, v38, v37, s6
	v_cndmask_b32_e64 v13, v36, v31, s6
	s_mov_b32 s7, -1
	s_mov_b32 s4, -1
	s_mov_b32 s8, exec_lo
	v_add_nc_u32_e32 v14, 1, v12
	v_add_nc_u32_e32 v13, -1, v13
	v_lshl_add_u32 v12, v12, 3, v4
	s_delay_alu instid0(VALU_DEP_3) | instskip(NEXT) | instid1(VALU_DEP_3)
	v_cndmask_b32_e64 v16, v14, v38, s6
	v_min_u32_e32 v13, v14, v13
	v_cndmask_b32_e64 v17, v37, v14, s6
	s_delay_alu instid0(VALU_DEP_2)
	v_lshl_add_u32 v13, v13, 1, v8
	ds_load_u16 v15, v13
	ds_load_b64 v[12:13], v12 offset:2048
	s_wait_dscnt 0x1
	v_cndmask_b32_e64 v32, v15, v35, s6
	v_cndmask_b32_e64 v37, v34, v15, s6
	v_cmpx_lt_u32_e64 v16, v36
	s_cbranch_execz .LBB2074_107
; %bb.96:
	s_mov_b32 s9, 0
	s_mov_b32 s4, exec_lo
	v_cmpx_lt_u32_e64 v17, v31
	s_cbranch_execz .LBB2074_106
; %bb.97:
	v_lshlrev_b32_e32 v14, 16, v37
	s_delay_alu instid0(VALU_DEP_1) | instskip(NEXT) | instid1(VALU_DEP_1)
	v_add_f32_e32 v15, 0, v14
	v_and_b32_e32 v14, 0x7f800000, v15
	s_delay_alu instid0(VALU_DEP_1)
	v_cmp_ne_u32_e64 s3, 0x7f800000, v14
                                        ; implicit-def: $vgpr14
	s_and_saveexec_b32 s9, s3
	s_wait_alu 0xfffe
	s_xor_b32 s3, exec_lo, s9
; %bb.98:
	v_bfe_u32 v14, v15, 16, 1
	s_delay_alu instid0(VALU_DEP_1)
	v_add3_u32 v14, v15, v14, 0x7fff
                                        ; implicit-def: $vgpr15
; %bb.99:
	s_wait_alu 0xfffe
	s_and_not1_saveexec_b32 s9, s3
; %bb.100:
	v_and_b32_e32 v14, 0xffff, v15
	v_or_b32_e32 v18, 0x10000, v15
	s_delay_alu instid0(VALU_DEP_2) | instskip(SKIP_1) | instid1(VALU_DEP_1)
	v_cmp_eq_u32_e64 s3, 0, v14
	s_wait_alu 0xf1ff
	v_cndmask_b32_e64 v14, v18, v15, s3
; %bb.101:
	s_wait_alu 0xfffe
	s_or_b32 exec_lo, exec_lo, s9
	v_lshlrev_b32_e32 v15, 16, v32
	s_delay_alu instid0(VALU_DEP_1) | instskip(NEXT) | instid1(VALU_DEP_1)
	v_add_f32_e32 v18, 0, v15
	v_and_b32_e32 v15, 0x7f800000, v18
	s_delay_alu instid0(VALU_DEP_1)
	v_cmp_ne_u32_e64 s3, 0x7f800000, v15
                                        ; implicit-def: $vgpr15
	s_and_saveexec_b32 s9, s3
	s_wait_alu 0xfffe
	s_xor_b32 s3, exec_lo, s9
; %bb.102:
	v_bfe_u32 v15, v18, 16, 1
	s_delay_alu instid0(VALU_DEP_1)
	v_add3_u32 v15, v18, v15, 0x7fff
                                        ; implicit-def: $vgpr18
; %bb.103:
	s_wait_alu 0xfffe
	s_and_not1_saveexec_b32 s9, s3
; %bb.104:
	v_and_b32_e32 v15, 0xffff, v18
	v_or_b32_e32 v19, 0x10000, v18
	s_delay_alu instid0(VALU_DEP_2) | instskip(SKIP_1) | instid1(VALU_DEP_1)
	v_cmp_eq_u32_e64 s3, 0, v15
	s_wait_alu 0xf1ff
	v_cndmask_b32_e64 v15, v19, v18, s3
; %bb.105:
	s_wait_alu 0xfffe
	s_or_b32 exec_lo, exec_lo, s9
	v_cmp_lt_i32_e64 s3, -1, v14
	s_delay_alu instid0(VALU_DEP_2) | instskip(SKIP_1) | instid1(VALU_DEP_2)
	v_perm_b32 v14, v15, v14, 0x7060302
	s_wait_alu 0xf1ff
	v_cndmask_b32_e64 v18, -1, 0xffff8000, s3
	v_cmp_lt_i32_e64 s3, -1, v15
	s_wait_alu 0xf1ff
	s_delay_alu instid0(VALU_DEP_1) | instskip(NEXT) | instid1(VALU_DEP_1)
	v_cndmask_b32_e64 v19, -1, 0xffff8000, s3
	v_perm_b32 v15, v19, v18, 0x5040100
	s_delay_alu instid0(VALU_DEP_1) | instskip(NEXT) | instid1(VALU_DEP_1)
	v_xor_b32_e32 v14, v15, v14
	v_lshrrev_b32_e32 v15, 16, v14
	s_delay_alu instid0(VALU_DEP_1)
	v_cmp_le_u16_e64 s3, v14, v15
	s_and_b32 s9, s3, exec_lo
.LBB2074_106:
	s_wait_alu 0xfffe
	s_or_b32 exec_lo, exec_lo, s4
	s_delay_alu instid0(SALU_CYCLE_1)
	s_or_not1_b32 s4, s9, exec_lo
.LBB2074_107:
	s_wait_alu 0xfffe
	s_or_b32 exec_lo, exec_lo, s8
	v_cndmask_b32_e64 v14, v16, v17, s4
	v_cndmask_b32_e64 v15, v36, v31, s4
	s_mov_b32 s8, exec_lo
	s_delay_alu instid0(VALU_DEP_2) | instskip(NEXT) | instid1(VALU_DEP_2)
	v_add_nc_u32_e32 v19, 1, v14
	v_add_nc_u32_e32 v15, -1, v15
	v_lshl_add_u32 v14, v14, 3, v4
	s_delay_alu instid0(VALU_DEP_3) | instskip(NEXT) | instid1(VALU_DEP_3)
	v_cndmask_b32_e64 v18, v19, v16, s4
	v_min_u32_e32 v15, v19, v15
	v_cndmask_b32_e64 v19, v17, v19, s4
	s_delay_alu instid0(VALU_DEP_2)
	v_lshl_add_u32 v15, v15, 1, v8
	ds_load_u16 v38, v15
	ds_load_b64 v[14:15], v14 offset:2048
	s_wait_dscnt 0x1
	v_cndmask_b32_e64 v33, v38, v32, s4
	v_cndmask_b32_e64 v38, v37, v38, s4
	v_cmpx_lt_u32_e64 v18, v36
	s_cbranch_execz .LBB2074_119
; %bb.108:
	s_mov_b32 s9, 0
	s_mov_b32 s7, exec_lo
	v_cmpx_lt_u32_e64 v19, v31
	s_cbranch_execz .LBB2074_118
; %bb.109:
	v_lshlrev_b32_e32 v16, 16, v38
	s_delay_alu instid0(VALU_DEP_1) | instskip(NEXT) | instid1(VALU_DEP_1)
	v_add_f32_e32 v17, 0, v16
	v_and_b32_e32 v16, 0x7f800000, v17
	s_delay_alu instid0(VALU_DEP_1)
	v_cmp_ne_u32_e64 s3, 0x7f800000, v16
                                        ; implicit-def: $vgpr16
	s_and_saveexec_b32 s9, s3
	s_wait_alu 0xfffe
	s_xor_b32 s3, exec_lo, s9
; %bb.110:
	v_bfe_u32 v16, v17, 16, 1
	s_delay_alu instid0(VALU_DEP_1)
	v_add3_u32 v16, v17, v16, 0x7fff
                                        ; implicit-def: $vgpr17
; %bb.111:
	s_wait_alu 0xfffe
	s_and_not1_saveexec_b32 s9, s3
; %bb.112:
	v_and_b32_e32 v16, 0xffff, v17
	v_or_b32_e32 v39, 0x10000, v17
	s_delay_alu instid0(VALU_DEP_2) | instskip(SKIP_1) | instid1(VALU_DEP_1)
	v_cmp_eq_u32_e64 s3, 0, v16
	s_wait_alu 0xf1ff
	v_cndmask_b32_e64 v16, v39, v17, s3
; %bb.113:
	s_wait_alu 0xfffe
	s_or_b32 exec_lo, exec_lo, s9
	v_lshlrev_b32_e32 v17, 16, v33
	s_delay_alu instid0(VALU_DEP_1) | instskip(NEXT) | instid1(VALU_DEP_1)
	v_add_f32_e32 v39, 0, v17
	v_and_b32_e32 v17, 0x7f800000, v39
	s_delay_alu instid0(VALU_DEP_1)
	v_cmp_ne_u32_e64 s3, 0x7f800000, v17
                                        ; implicit-def: $vgpr17
	s_and_saveexec_b32 s9, s3
	s_wait_alu 0xfffe
	s_xor_b32 s3, exec_lo, s9
; %bb.114:
	v_bfe_u32 v17, v39, 16, 1
	s_delay_alu instid0(VALU_DEP_1)
	v_add3_u32 v17, v39, v17, 0x7fff
                                        ; implicit-def: $vgpr39
; %bb.115:
	s_wait_alu 0xfffe
	s_and_not1_saveexec_b32 s9, s3
; %bb.116:
	v_and_b32_e32 v17, 0xffff, v39
	v_or_b32_e32 v48, 0x10000, v39
	s_delay_alu instid0(VALU_DEP_2) | instskip(SKIP_1) | instid1(VALU_DEP_1)
	v_cmp_eq_u32_e64 s3, 0, v17
	s_wait_alu 0xf1ff
	v_cndmask_b32_e64 v17, v48, v39, s3
; %bb.117:
	s_wait_alu 0xfffe
	s_or_b32 exec_lo, exec_lo, s9
	v_cmp_lt_i32_e64 s3, -1, v16
	s_delay_alu instid0(VALU_DEP_2) | instskip(SKIP_1) | instid1(VALU_DEP_2)
	v_perm_b32 v16, v17, v16, 0x7060302
	s_wait_alu 0xf1ff
	v_cndmask_b32_e64 v39, -1, 0xffff8000, s3
	v_cmp_lt_i32_e64 s3, -1, v17
	s_wait_alu 0xf1ff
	s_delay_alu instid0(VALU_DEP_1) | instskip(NEXT) | instid1(VALU_DEP_1)
	v_cndmask_b32_e64 v48, -1, 0xffff8000, s3
	v_perm_b32 v17, v48, v39, 0x5040100
	s_delay_alu instid0(VALU_DEP_1) | instskip(NEXT) | instid1(VALU_DEP_1)
	v_xor_b32_e32 v16, v17, v16
	v_lshrrev_b32_e32 v17, 16, v16
	s_delay_alu instid0(VALU_DEP_1)
	v_cmp_le_u16_e64 s3, v16, v17
	s_and_b32 s9, s3, exec_lo
.LBB2074_118:
	s_wait_alu 0xfffe
	s_or_b32 exec_lo, exec_lo, s7
	s_delay_alu instid0(SALU_CYCLE_1)
	s_or_not1_b32 s7, s9, exec_lo
.LBB2074_119:
	s_wait_alu 0xfffe
	s_or_b32 exec_lo, exec_lo, s8
	v_cndmask_b32_e64 v16, v18, v19, s7
	v_cndmask_b32_e64 v17, v36, v31, s7
	s_mov_b32 s9, -1
	s_mov_b32 s8, exec_lo
	s_delay_alu instid0(VALU_DEP_2) | instskip(NEXT) | instid1(VALU_DEP_2)
	v_add_nc_u32_e32 v39, 1, v16
	v_add_nc_u32_e32 v17, -1, v17
	v_lshl_add_u32 v16, v16, 3, v4
	s_delay_alu instid0(VALU_DEP_3) | instskip(NEXT) | instid1(VALU_DEP_3)
	v_cndmask_b32_e64 v18, v39, v18, s7
	v_min_u32_e32 v17, v39, v17
	v_cndmask_b32_e64 v19, v19, v39, s7
	s_delay_alu instid0(VALU_DEP_2)
	v_lshl_add_u32 v17, v17, 1, v8
	ds_load_u16 v48, v17
	ds_load_b64 v[16:17], v16 offset:2048
	s_wait_dscnt 0x1
	v_cndmask_b32_e64 v39, v48, v33, s7
	v_cndmask_b32_e64 v48, v38, v48, s7
	v_cmpx_lt_u32_e64 v18, v36
	s_cbranch_execz .LBB2074_131
; %bb.120:
	s_mov_b32 s10, 0
	s_mov_b32 s9, exec_lo
	v_cmpx_lt_u32_e64 v19, v31
	s_cbranch_execz .LBB2074_130
; %bb.121:
	v_lshlrev_b32_e32 v31, 16, v48
	s_delay_alu instid0(VALU_DEP_1) | instskip(NEXT) | instid1(VALU_DEP_1)
	v_add_f32_e32 v36, 0, v31
	v_and_b32_e32 v31, 0x7f800000, v36
	s_delay_alu instid0(VALU_DEP_1)
	v_cmp_ne_u32_e64 s3, 0x7f800000, v31
                                        ; implicit-def: $vgpr31
	s_and_saveexec_b32 s10, s3
	s_wait_alu 0xfffe
	s_xor_b32 s3, exec_lo, s10
; %bb.122:
	v_bfe_u32 v31, v36, 16, 1
	s_delay_alu instid0(VALU_DEP_1)
	v_add3_u32 v31, v36, v31, 0x7fff
                                        ; implicit-def: $vgpr36
; %bb.123:
	s_wait_alu 0xfffe
	s_and_not1_saveexec_b32 s10, s3
; %bb.124:
	v_and_b32_e32 v31, 0xffff, v36
	v_or_b32_e32 v49, 0x10000, v36
	s_delay_alu instid0(VALU_DEP_2) | instskip(SKIP_1) | instid1(VALU_DEP_1)
	v_cmp_eq_u32_e64 s3, 0, v31
	s_wait_alu 0xf1ff
	v_cndmask_b32_e64 v31, v49, v36, s3
; %bb.125:
	s_wait_alu 0xfffe
	s_or_b32 exec_lo, exec_lo, s10
	v_lshlrev_b32_e32 v36, 16, v39
	s_delay_alu instid0(VALU_DEP_1) | instskip(NEXT) | instid1(VALU_DEP_1)
	v_add_f32_e32 v49, 0, v36
	v_and_b32_e32 v36, 0x7f800000, v49
	s_delay_alu instid0(VALU_DEP_1)
	v_cmp_ne_u32_e64 s3, 0x7f800000, v36
                                        ; implicit-def: $vgpr36
	s_and_saveexec_b32 s10, s3
	s_wait_alu 0xfffe
	s_xor_b32 s3, exec_lo, s10
; %bb.126:
	v_bfe_u32 v36, v49, 16, 1
	s_delay_alu instid0(VALU_DEP_1)
	v_add3_u32 v36, v49, v36, 0x7fff
                                        ; implicit-def: $vgpr49
; %bb.127:
	s_wait_alu 0xfffe
	s_and_not1_saveexec_b32 s10, s3
; %bb.128:
	v_and_b32_e32 v36, 0xffff, v49
	v_or_b32_e32 v50, 0x10000, v49
	s_delay_alu instid0(VALU_DEP_2) | instskip(SKIP_1) | instid1(VALU_DEP_1)
	v_cmp_eq_u32_e64 s3, 0, v36
	s_wait_alu 0xf1ff
	v_cndmask_b32_e64 v36, v50, v49, s3
; %bb.129:
	s_wait_alu 0xfffe
	s_or_b32 exec_lo, exec_lo, s10
	v_cmp_lt_i32_e64 s3, -1, v31
	s_delay_alu instid0(VALU_DEP_2) | instskip(SKIP_1) | instid1(VALU_DEP_2)
	v_perm_b32 v31, v36, v31, 0x7060302
	s_wait_alu 0xf1ff
	v_cndmask_b32_e64 v49, -1, 0xffff8000, s3
	v_cmp_lt_i32_e64 s3, -1, v36
	s_wait_alu 0xf1ff
	s_delay_alu instid0(VALU_DEP_1) | instskip(NEXT) | instid1(VALU_DEP_1)
	v_cndmask_b32_e64 v50, -1, 0xffff8000, s3
	v_perm_b32 v36, v50, v49, 0x5040100
	s_delay_alu instid0(VALU_DEP_1) | instskip(NEXT) | instid1(VALU_DEP_1)
	v_xor_b32_e32 v31, v36, v31
	v_lshrrev_b32_e32 v36, 16, v31
	s_delay_alu instid0(VALU_DEP_1)
	v_cmp_le_u16_e64 s3, v31, v36
	s_and_b32 s10, s3, exec_lo
.LBB2074_130:
	s_wait_alu 0xfffe
	s_or_b32 exec_lo, exec_lo, s9
	s_delay_alu instid0(SALU_CYCLE_1)
	s_or_not1_b32 s9, s10, exec_lo
.LBB2074_131:
	s_wait_alu 0xfffe
	s_or_b32 exec_lo, exec_lo, s8
	v_cndmask_b32_e64 v18, v18, v19, s9
	v_cndmask_b32_e64 v33, v33, v38, s7
	;; [unrolled: 1-line block ×5, first 2 shown]
	v_lshl_add_u32 v18, v18, 3, v4
	ds_load_b64 v[18:19], v18 offset:2048
.LBB2074_132:
	s_wait_alu 0xfffe
	s_or_b32 exec_lo, exec_lo, s5
	v_and_b32_e32 v37, 0x70, v25
	v_and_b32_e32 v38, 12, v25
	s_mov_b32 s4, exec_lo
	; wave barrier
	s_delay_alu instid0(VALU_DEP_2) | instskip(NEXT) | instid1(VALU_DEP_2)
	v_or_b32_e32 v31, 8, v37
	v_min_u32_e32 v38, v26, v38
	ds_store_b16 v5, v35
	ds_store_b64 v28, v[12:13]
	ds_store_b16 v9, v32
	ds_store_b64 v10, v[14:15]
	ds_store_b16 v11, v33
	s_wait_dscnt 0x6
	ds_store_b64 v29, v[16:17]
	ds_store_b16 v27, v34
	s_wait_dscnt 0x7
	ds_store_b64 v30, v[18:19]
	v_min_u32_e32 v31, v26, v31
	; wave barrier
	s_delay_alu instid0(VALU_DEP_1) | instskip(SKIP_1) | instid1(VALU_DEP_2)
	v_add_nc_u32_e32 v36, 8, v31
	v_sub_nc_u32_e32 v48, v31, v37
	v_min_u32_e32 v36, v26, v36
	s_delay_alu instid0(VALU_DEP_2) | instskip(NEXT) | instid1(VALU_DEP_2)
	v_min_u32_e32 v48, v38, v48
	v_sub_nc_u32_e32 v39, v36, v31
	s_delay_alu instid0(VALU_DEP_1) | instskip(NEXT) | instid1(VALU_DEP_1)
	v_sub_nc_u32_e64 v39, v38, v39 clamp
	v_cmpx_lt_u32_e64 v39, v48
	s_cbranch_execz .LBB2074_144
; %bb.133:
	v_lshlrev_b32_e32 v49, 1, v37
	v_lshlrev_b32_e32 v50, 1, v31
	s_mov_b32 s5, 0
	s_delay_alu instid0(VALU_DEP_2) | instskip(NEXT) | instid1(VALU_DEP_2)
	v_add_co_u32 v49, null, v8, v49
	v_add_co_u32 v50, null, v8, v50
	s_branch .LBB2074_135
.LBB2074_134:                           ;   in Loop: Header=BB2074_135 Depth=1
	s_wait_alu 0xfffe
	s_or_b32 exec_lo, exec_lo, s6
	v_cmp_lt_i32_e64 s3, -1, v52
	v_lshrrev_b32_e32 v54, 16, v52
	v_lshrrev_b32_e32 v55, 16, v53
	s_wait_alu 0xf1ff
	s_delay_alu instid0(VALU_DEP_3) | instskip(SKIP_1) | instid1(VALU_DEP_2)
	v_cndmask_b32_e64 v52, -1, 0xffff8000, s3
	v_cmp_lt_i32_e64 s3, -1, v53
	v_xor_b32_e32 v52, v52, v54
	s_wait_alu 0xf1ff
	s_delay_alu instid0(VALU_DEP_2) | instskip(SKIP_1) | instid1(VALU_DEP_2)
	v_cndmask_b32_e64 v53, -1, 0xffff8000, s3
	v_add_nc_u32_e32 v54, 1, v51
	v_xor_b32_e32 v53, v53, v55
	s_delay_alu instid0(VALU_DEP_1) | instskip(SKIP_1) | instid1(VALU_DEP_1)
	v_cmp_gt_u16_e64 s3, v52, v53
	s_wait_alu 0xf1ff
	v_cndmask_b32_e64 v48, v48, v51, s3
	v_cndmask_b32_e64 v39, v54, v39, s3
	s_delay_alu instid0(VALU_DEP_1)
	v_cmp_ge_u32_e64 s3, v39, v48
	s_or_b32 s5, s3, s5
	s_wait_alu 0xfffe
	s_and_not1_b32 exec_lo, exec_lo, s5
	s_cbranch_execz .LBB2074_143
.LBB2074_135:                           ; =>This Inner Loop Header: Depth=1
	v_add_nc_u32_e32 v51, v48, v39
	s_delay_alu instid0(VALU_DEP_1) | instskip(NEXT) | instid1(VALU_DEP_1)
	v_and_b32_e32 v52, -2, v51
	v_add_nc_u32_e32 v52, v49, v52
	ds_load_u16 v52, v52
	s_wait_dscnt 0x0
	v_lshlrev_b32_e32 v52, 16, v52
	s_delay_alu instid0(VALU_DEP_1) | instskip(SKIP_1) | instid1(VALU_DEP_2)
	v_add_f32_e32 v54, 0, v52
	v_lshrrev_b32_e32 v51, 1, v51
	v_and_b32_e32 v52, 0x7f800000, v54
	s_delay_alu instid0(VALU_DEP_2) | instskip(NEXT) | instid1(VALU_DEP_2)
	v_xad_u32 v53, v51, -1, v38
	v_cmp_ne_u32_e64 s3, 0x7f800000, v52
	s_delay_alu instid0(VALU_DEP_2)
	v_lshl_add_u32 v53, v53, 1, v50
                                        ; implicit-def: $vgpr52
	ds_load_u16 v53, v53
	s_and_saveexec_b32 s6, s3
	s_wait_alu 0xfffe
	s_xor_b32 s3, exec_lo, s6
; %bb.136:                              ;   in Loop: Header=BB2074_135 Depth=1
	v_bfe_u32 v52, v54, 16, 1
	s_delay_alu instid0(VALU_DEP_1)
	v_add3_u32 v52, v54, v52, 0x7fff
                                        ; implicit-def: $vgpr54
; %bb.137:                              ;   in Loop: Header=BB2074_135 Depth=1
	s_wait_alu 0xfffe
	s_and_not1_saveexec_b32 s6, s3
; %bb.138:                              ;   in Loop: Header=BB2074_135 Depth=1
	v_and_b32_e32 v52, 0xffff, v54
	v_or_b32_e32 v55, 0x10000, v54
	s_delay_alu instid0(VALU_DEP_2) | instskip(SKIP_1) | instid1(VALU_DEP_1)
	v_cmp_eq_u32_e64 s3, 0, v52
	s_wait_alu 0xf1ff
	v_cndmask_b32_e64 v52, v55, v54, s3
; %bb.139:                              ;   in Loop: Header=BB2074_135 Depth=1
	s_wait_alu 0xfffe
	s_or_b32 exec_lo, exec_lo, s6
	s_wait_dscnt 0x0
	v_lshlrev_b32_e32 v53, 16, v53
	s_delay_alu instid0(VALU_DEP_1) | instskip(NEXT) | instid1(VALU_DEP_1)
	v_add_f32_e32 v54, 0, v53
	v_and_b32_e32 v53, 0x7f800000, v54
	s_delay_alu instid0(VALU_DEP_1)
	v_cmp_ne_u32_e64 s3, 0x7f800000, v53
                                        ; implicit-def: $vgpr53
	s_and_saveexec_b32 s6, s3
	s_wait_alu 0xfffe
	s_xor_b32 s3, exec_lo, s6
; %bb.140:                              ;   in Loop: Header=BB2074_135 Depth=1
	v_bfe_u32 v53, v54, 16, 1
	s_delay_alu instid0(VALU_DEP_1)
	v_add3_u32 v53, v54, v53, 0x7fff
                                        ; implicit-def: $vgpr54
; %bb.141:                              ;   in Loop: Header=BB2074_135 Depth=1
	s_wait_alu 0xfffe
	s_and_not1_saveexec_b32 s6, s3
	s_cbranch_execz .LBB2074_134
; %bb.142:                              ;   in Loop: Header=BB2074_135 Depth=1
	v_and_b32_e32 v53, 0xffff, v54
	v_or_b32_e32 v55, 0x10000, v54
	s_delay_alu instid0(VALU_DEP_2) | instskip(SKIP_1) | instid1(VALU_DEP_1)
	v_cmp_eq_u32_e64 s3, 0, v53
	s_wait_alu 0xf1ff
	v_cndmask_b32_e64 v53, v55, v54, s3
	s_branch .LBB2074_134
.LBB2074_143:
	s_or_b32 exec_lo, exec_lo, s5
.LBB2074_144:
	s_wait_alu 0xfffe
	s_or_b32 exec_lo, exec_lo, s4
	v_add_nc_u32_e32 v38, v31, v38
	v_add_nc_u32_e32 v37, v39, v37
	s_delay_alu instid0(VALU_DEP_2) | instskip(NEXT) | instid1(VALU_DEP_2)
	v_sub_nc_u32_e32 v38, v38, v39
	v_cmp_le_u32_e64 s3, v37, v31
	s_delay_alu instid0(VALU_DEP_2)
	v_cmp_le_u32_e64 s4, v38, v36
	s_or_b32 s3, s3, s4
	s_wait_alu 0xfffe
	s_and_saveexec_b32 s5, s3
	s_cbranch_execz .LBB2074_196
; %bb.145:
	v_cmp_ge_u32_e64 s3, v37, v31
	s_mov_b32 s6, exec_lo
                                        ; implicit-def: $vgpr34
	v_cmpx_lt_u32_e64 v37, v31
; %bb.146:
	v_lshl_add_u32 v12, v37, 1, v8
	ds_load_u16 v34, v12
; %bb.147:
	s_wait_alu 0xfffe
	s_or_b32 exec_lo, exec_lo, s6
	v_cmp_ge_u32_e64 s6, v38, v36
	s_mov_b32 s7, exec_lo
                                        ; implicit-def: $vgpr35
	v_cmpx_lt_u32_e64 v38, v36
; %bb.148:
	v_lshl_add_u32 v12, v38, 1, v8
	ds_load_u16 v35, v12
; %bb.149:
	s_wait_alu 0xfffe
	s_or_b32 exec_lo, exec_lo, s7
	s_nor_b32 s3, s3, s6
	s_wait_alu 0xfffe
	s_and_saveexec_b32 s4, s3
	s_cbranch_execz .LBB2074_159
; %bb.150:
	s_wait_dscnt 0x0
	v_lshlrev_b32_e32 v12, 16, v34
	s_delay_alu instid0(VALU_DEP_1) | instskip(NEXT) | instid1(VALU_DEP_1)
	v_add_f32_e32 v13, 0, v12
	v_and_b32_e32 v12, 0x7f800000, v13
	s_delay_alu instid0(VALU_DEP_1)
	v_cmp_ne_u32_e64 s3, 0x7f800000, v12
                                        ; implicit-def: $vgpr12
	s_and_saveexec_b32 s7, s3
	s_wait_alu 0xfffe
	s_xor_b32 s3, exec_lo, s7
; %bb.151:
	v_bfe_u32 v12, v13, 16, 1
	s_delay_alu instid0(VALU_DEP_1)
	v_add3_u32 v12, v13, v12, 0x7fff
                                        ; implicit-def: $vgpr13
; %bb.152:
	s_wait_alu 0xfffe
	s_and_not1_saveexec_b32 s7, s3
; %bb.153:
	v_and_b32_e32 v12, 0xffff, v13
	v_or_b32_e32 v14, 0x10000, v13
	s_delay_alu instid0(VALU_DEP_2) | instskip(SKIP_1) | instid1(VALU_DEP_1)
	v_cmp_eq_u32_e64 s3, 0, v12
	s_wait_alu 0xf1ff
	v_cndmask_b32_e64 v12, v14, v13, s3
; %bb.154:
	s_wait_alu 0xfffe
	s_or_b32 exec_lo, exec_lo, s7
	v_lshlrev_b32_e32 v13, 16, v35
	s_delay_alu instid0(VALU_DEP_1) | instskip(NEXT) | instid1(VALU_DEP_1)
	v_add_f32_e32 v14, 0, v13
	v_and_b32_e32 v13, 0x7f800000, v14
	s_delay_alu instid0(VALU_DEP_1)
	v_cmp_ne_u32_e64 s3, 0x7f800000, v13
                                        ; implicit-def: $vgpr13
	s_and_saveexec_b32 s7, s3
	s_wait_alu 0xfffe
	s_xor_b32 s3, exec_lo, s7
; %bb.155:
	v_bfe_u32 v13, v14, 16, 1
	s_delay_alu instid0(VALU_DEP_1)
	v_add3_u32 v13, v14, v13, 0x7fff
                                        ; implicit-def: $vgpr14
; %bb.156:
	s_wait_alu 0xfffe
	s_and_not1_saveexec_b32 s7, s3
; %bb.157:
	v_and_b32_e32 v13, 0xffff, v14
	v_or_b32_e32 v15, 0x10000, v14
	s_delay_alu instid0(VALU_DEP_2) | instskip(SKIP_1) | instid1(VALU_DEP_1)
	v_cmp_eq_u32_e64 s3, 0, v13
	s_wait_alu 0xf1ff
	v_cndmask_b32_e64 v13, v15, v14, s3
; %bb.158:
	s_wait_alu 0xfffe
	s_or_b32 exec_lo, exec_lo, s7
	v_cmp_lt_i32_e64 s3, -1, v12
	s_delay_alu instid0(VALU_DEP_2) | instskip(SKIP_4) | instid1(VALU_DEP_1)
	v_perm_b32 v12, v13, v12, 0x7060302
	s_and_not1_b32 s6, s6, exec_lo
	v_cndmask_b32_e64 v14, -1, 0xffff8000, s3
	v_cmp_lt_i32_e64 s3, -1, v13
	s_wait_alu 0xf1ff
	v_cndmask_b32_e64 v15, -1, 0xffff8000, s3
	s_delay_alu instid0(VALU_DEP_1) | instskip(NEXT) | instid1(VALU_DEP_1)
	v_perm_b32 v13, v15, v14, 0x5040100
	v_xor_b32_e32 v12, v13, v12
	s_delay_alu instid0(VALU_DEP_1) | instskip(NEXT) | instid1(VALU_DEP_1)
	v_lshrrev_b32_e32 v13, 16, v12
	v_cmp_le_u16_e64 s3, v12, v13
	s_and_b32 s3, s3, exec_lo
	s_wait_alu 0xfffe
	s_or_b32 s6, s6, s3
.LBB2074_159:
	s_wait_alu 0xfffe
	s_or_b32 exec_lo, exec_lo, s4
	v_cndmask_b32_e64 v12, v38, v37, s6
	v_cndmask_b32_e64 v13, v36, v31, s6
	s_mov_b32 s7, -1
	s_mov_b32 s4, -1
	s_mov_b32 s8, exec_lo
	v_add_nc_u32_e32 v14, 1, v12
	v_add_nc_u32_e32 v13, -1, v13
	v_lshl_add_u32 v12, v12, 3, v4
	s_delay_alu instid0(VALU_DEP_3) | instskip(NEXT) | instid1(VALU_DEP_3)
	v_cndmask_b32_e64 v16, v14, v38, s6
	v_min_u32_e32 v13, v14, v13
	v_cndmask_b32_e64 v17, v37, v14, s6
	s_delay_alu instid0(VALU_DEP_2)
	v_lshl_add_u32 v13, v13, 1, v8
	ds_load_u16 v15, v13
	ds_load_b64 v[12:13], v12 offset:2048
	s_wait_dscnt 0x1
	v_cndmask_b32_e64 v32, v15, v35, s6
	v_cndmask_b32_e64 v37, v34, v15, s6
	v_cmpx_lt_u32_e64 v16, v36
	s_cbranch_execz .LBB2074_171
; %bb.160:
	s_mov_b32 s9, 0
	s_mov_b32 s4, exec_lo
	v_cmpx_lt_u32_e64 v17, v31
	s_cbranch_execz .LBB2074_170
; %bb.161:
	v_lshlrev_b32_e32 v14, 16, v37
	s_delay_alu instid0(VALU_DEP_1) | instskip(NEXT) | instid1(VALU_DEP_1)
	v_add_f32_e32 v15, 0, v14
	v_and_b32_e32 v14, 0x7f800000, v15
	s_delay_alu instid0(VALU_DEP_1)
	v_cmp_ne_u32_e64 s3, 0x7f800000, v14
                                        ; implicit-def: $vgpr14
	s_and_saveexec_b32 s9, s3
	s_wait_alu 0xfffe
	s_xor_b32 s3, exec_lo, s9
; %bb.162:
	v_bfe_u32 v14, v15, 16, 1
	s_delay_alu instid0(VALU_DEP_1)
	v_add3_u32 v14, v15, v14, 0x7fff
                                        ; implicit-def: $vgpr15
; %bb.163:
	s_wait_alu 0xfffe
	s_and_not1_saveexec_b32 s9, s3
; %bb.164:
	v_and_b32_e32 v14, 0xffff, v15
	v_or_b32_e32 v18, 0x10000, v15
	s_delay_alu instid0(VALU_DEP_2) | instskip(SKIP_1) | instid1(VALU_DEP_1)
	v_cmp_eq_u32_e64 s3, 0, v14
	s_wait_alu 0xf1ff
	v_cndmask_b32_e64 v14, v18, v15, s3
; %bb.165:
	s_wait_alu 0xfffe
	s_or_b32 exec_lo, exec_lo, s9
	v_lshlrev_b32_e32 v15, 16, v32
	s_delay_alu instid0(VALU_DEP_1) | instskip(NEXT) | instid1(VALU_DEP_1)
	v_add_f32_e32 v18, 0, v15
	v_and_b32_e32 v15, 0x7f800000, v18
	s_delay_alu instid0(VALU_DEP_1)
	v_cmp_ne_u32_e64 s3, 0x7f800000, v15
                                        ; implicit-def: $vgpr15
	s_and_saveexec_b32 s9, s3
	s_wait_alu 0xfffe
	s_xor_b32 s3, exec_lo, s9
; %bb.166:
	v_bfe_u32 v15, v18, 16, 1
	s_delay_alu instid0(VALU_DEP_1)
	v_add3_u32 v15, v18, v15, 0x7fff
                                        ; implicit-def: $vgpr18
; %bb.167:
	s_wait_alu 0xfffe
	s_and_not1_saveexec_b32 s9, s3
; %bb.168:
	v_and_b32_e32 v15, 0xffff, v18
	v_or_b32_e32 v19, 0x10000, v18
	s_delay_alu instid0(VALU_DEP_2) | instskip(SKIP_1) | instid1(VALU_DEP_1)
	v_cmp_eq_u32_e64 s3, 0, v15
	s_wait_alu 0xf1ff
	v_cndmask_b32_e64 v15, v19, v18, s3
; %bb.169:
	s_wait_alu 0xfffe
	s_or_b32 exec_lo, exec_lo, s9
	v_cmp_lt_i32_e64 s3, -1, v14
	s_delay_alu instid0(VALU_DEP_2) | instskip(SKIP_1) | instid1(VALU_DEP_2)
	v_perm_b32 v14, v15, v14, 0x7060302
	s_wait_alu 0xf1ff
	v_cndmask_b32_e64 v18, -1, 0xffff8000, s3
	v_cmp_lt_i32_e64 s3, -1, v15
	s_wait_alu 0xf1ff
	s_delay_alu instid0(VALU_DEP_1) | instskip(NEXT) | instid1(VALU_DEP_1)
	v_cndmask_b32_e64 v19, -1, 0xffff8000, s3
	v_perm_b32 v15, v19, v18, 0x5040100
	s_delay_alu instid0(VALU_DEP_1) | instskip(NEXT) | instid1(VALU_DEP_1)
	v_xor_b32_e32 v14, v15, v14
	v_lshrrev_b32_e32 v15, 16, v14
	s_delay_alu instid0(VALU_DEP_1)
	v_cmp_le_u16_e64 s3, v14, v15
	s_and_b32 s9, s3, exec_lo
.LBB2074_170:
	s_wait_alu 0xfffe
	s_or_b32 exec_lo, exec_lo, s4
	s_delay_alu instid0(SALU_CYCLE_1)
	s_or_not1_b32 s4, s9, exec_lo
.LBB2074_171:
	s_wait_alu 0xfffe
	s_or_b32 exec_lo, exec_lo, s8
	v_cndmask_b32_e64 v14, v16, v17, s4
	v_cndmask_b32_e64 v15, v36, v31, s4
	s_mov_b32 s8, exec_lo
	s_delay_alu instid0(VALU_DEP_2) | instskip(NEXT) | instid1(VALU_DEP_2)
	v_add_nc_u32_e32 v19, 1, v14
	v_add_nc_u32_e32 v15, -1, v15
	v_lshl_add_u32 v14, v14, 3, v4
	s_delay_alu instid0(VALU_DEP_3) | instskip(NEXT) | instid1(VALU_DEP_3)
	v_cndmask_b32_e64 v18, v19, v16, s4
	v_min_u32_e32 v15, v19, v15
	v_cndmask_b32_e64 v19, v17, v19, s4
	s_delay_alu instid0(VALU_DEP_2)
	v_lshl_add_u32 v15, v15, 1, v8
	ds_load_u16 v38, v15
	ds_load_b64 v[14:15], v14 offset:2048
	s_wait_dscnt 0x1
	v_cndmask_b32_e64 v33, v38, v32, s4
	v_cndmask_b32_e64 v38, v37, v38, s4
	v_cmpx_lt_u32_e64 v18, v36
	s_cbranch_execz .LBB2074_183
; %bb.172:
	s_mov_b32 s9, 0
	s_mov_b32 s7, exec_lo
	v_cmpx_lt_u32_e64 v19, v31
	s_cbranch_execz .LBB2074_182
; %bb.173:
	v_lshlrev_b32_e32 v16, 16, v38
	s_delay_alu instid0(VALU_DEP_1) | instskip(NEXT) | instid1(VALU_DEP_1)
	v_add_f32_e32 v17, 0, v16
	v_and_b32_e32 v16, 0x7f800000, v17
	s_delay_alu instid0(VALU_DEP_1)
	v_cmp_ne_u32_e64 s3, 0x7f800000, v16
                                        ; implicit-def: $vgpr16
	s_and_saveexec_b32 s9, s3
	s_wait_alu 0xfffe
	s_xor_b32 s3, exec_lo, s9
; %bb.174:
	v_bfe_u32 v16, v17, 16, 1
	s_delay_alu instid0(VALU_DEP_1)
	v_add3_u32 v16, v17, v16, 0x7fff
                                        ; implicit-def: $vgpr17
; %bb.175:
	s_wait_alu 0xfffe
	s_and_not1_saveexec_b32 s9, s3
; %bb.176:
	v_and_b32_e32 v16, 0xffff, v17
	v_or_b32_e32 v39, 0x10000, v17
	s_delay_alu instid0(VALU_DEP_2) | instskip(SKIP_1) | instid1(VALU_DEP_1)
	v_cmp_eq_u32_e64 s3, 0, v16
	s_wait_alu 0xf1ff
	v_cndmask_b32_e64 v16, v39, v17, s3
; %bb.177:
	s_wait_alu 0xfffe
	s_or_b32 exec_lo, exec_lo, s9
	v_lshlrev_b32_e32 v17, 16, v33
	s_delay_alu instid0(VALU_DEP_1) | instskip(NEXT) | instid1(VALU_DEP_1)
	v_add_f32_e32 v39, 0, v17
	v_and_b32_e32 v17, 0x7f800000, v39
	s_delay_alu instid0(VALU_DEP_1)
	v_cmp_ne_u32_e64 s3, 0x7f800000, v17
                                        ; implicit-def: $vgpr17
	s_and_saveexec_b32 s9, s3
	s_wait_alu 0xfffe
	s_xor_b32 s3, exec_lo, s9
; %bb.178:
	v_bfe_u32 v17, v39, 16, 1
	s_delay_alu instid0(VALU_DEP_1)
	v_add3_u32 v17, v39, v17, 0x7fff
                                        ; implicit-def: $vgpr39
; %bb.179:
	s_wait_alu 0xfffe
	s_and_not1_saveexec_b32 s9, s3
; %bb.180:
	v_and_b32_e32 v17, 0xffff, v39
	v_or_b32_e32 v48, 0x10000, v39
	s_delay_alu instid0(VALU_DEP_2) | instskip(SKIP_1) | instid1(VALU_DEP_1)
	v_cmp_eq_u32_e64 s3, 0, v17
	s_wait_alu 0xf1ff
	v_cndmask_b32_e64 v17, v48, v39, s3
; %bb.181:
	s_wait_alu 0xfffe
	s_or_b32 exec_lo, exec_lo, s9
	v_cmp_lt_i32_e64 s3, -1, v16
	s_delay_alu instid0(VALU_DEP_2) | instskip(SKIP_1) | instid1(VALU_DEP_2)
	v_perm_b32 v16, v17, v16, 0x7060302
	s_wait_alu 0xf1ff
	v_cndmask_b32_e64 v39, -1, 0xffff8000, s3
	v_cmp_lt_i32_e64 s3, -1, v17
	s_wait_alu 0xf1ff
	s_delay_alu instid0(VALU_DEP_1) | instskip(NEXT) | instid1(VALU_DEP_1)
	v_cndmask_b32_e64 v48, -1, 0xffff8000, s3
	v_perm_b32 v17, v48, v39, 0x5040100
	s_delay_alu instid0(VALU_DEP_1) | instskip(NEXT) | instid1(VALU_DEP_1)
	v_xor_b32_e32 v16, v17, v16
	v_lshrrev_b32_e32 v17, 16, v16
	s_delay_alu instid0(VALU_DEP_1)
	v_cmp_le_u16_e64 s3, v16, v17
	s_and_b32 s9, s3, exec_lo
.LBB2074_182:
	s_wait_alu 0xfffe
	s_or_b32 exec_lo, exec_lo, s7
	s_delay_alu instid0(SALU_CYCLE_1)
	s_or_not1_b32 s7, s9, exec_lo
.LBB2074_183:
	s_wait_alu 0xfffe
	s_or_b32 exec_lo, exec_lo, s8
	v_cndmask_b32_e64 v16, v18, v19, s7
	v_cndmask_b32_e64 v17, v36, v31, s7
	s_mov_b32 s9, -1
	s_mov_b32 s8, exec_lo
	s_delay_alu instid0(VALU_DEP_2) | instskip(NEXT) | instid1(VALU_DEP_2)
	v_add_nc_u32_e32 v39, 1, v16
	v_add_nc_u32_e32 v17, -1, v17
	v_lshl_add_u32 v16, v16, 3, v4
	s_delay_alu instid0(VALU_DEP_3) | instskip(NEXT) | instid1(VALU_DEP_3)
	v_cndmask_b32_e64 v18, v39, v18, s7
	v_min_u32_e32 v17, v39, v17
	v_cndmask_b32_e64 v19, v19, v39, s7
	s_delay_alu instid0(VALU_DEP_2)
	v_lshl_add_u32 v17, v17, 1, v8
	ds_load_u16 v48, v17
	ds_load_b64 v[16:17], v16 offset:2048
	s_wait_dscnt 0x1
	v_cndmask_b32_e64 v39, v48, v33, s7
	v_cndmask_b32_e64 v48, v38, v48, s7
	v_cmpx_lt_u32_e64 v18, v36
	s_cbranch_execz .LBB2074_195
; %bb.184:
	s_mov_b32 s10, 0
	s_mov_b32 s9, exec_lo
	v_cmpx_lt_u32_e64 v19, v31
	s_cbranch_execz .LBB2074_194
; %bb.185:
	v_lshlrev_b32_e32 v31, 16, v48
	s_delay_alu instid0(VALU_DEP_1) | instskip(NEXT) | instid1(VALU_DEP_1)
	v_add_f32_e32 v36, 0, v31
	v_and_b32_e32 v31, 0x7f800000, v36
	s_delay_alu instid0(VALU_DEP_1)
	v_cmp_ne_u32_e64 s3, 0x7f800000, v31
                                        ; implicit-def: $vgpr31
	s_and_saveexec_b32 s10, s3
	s_wait_alu 0xfffe
	s_xor_b32 s3, exec_lo, s10
; %bb.186:
	v_bfe_u32 v31, v36, 16, 1
	s_delay_alu instid0(VALU_DEP_1)
	v_add3_u32 v31, v36, v31, 0x7fff
                                        ; implicit-def: $vgpr36
; %bb.187:
	s_wait_alu 0xfffe
	s_and_not1_saveexec_b32 s10, s3
; %bb.188:
	v_and_b32_e32 v31, 0xffff, v36
	v_or_b32_e32 v49, 0x10000, v36
	s_delay_alu instid0(VALU_DEP_2) | instskip(SKIP_1) | instid1(VALU_DEP_1)
	v_cmp_eq_u32_e64 s3, 0, v31
	s_wait_alu 0xf1ff
	v_cndmask_b32_e64 v31, v49, v36, s3
; %bb.189:
	s_wait_alu 0xfffe
	s_or_b32 exec_lo, exec_lo, s10
	v_lshlrev_b32_e32 v36, 16, v39
	s_delay_alu instid0(VALU_DEP_1) | instskip(NEXT) | instid1(VALU_DEP_1)
	v_add_f32_e32 v49, 0, v36
	v_and_b32_e32 v36, 0x7f800000, v49
	s_delay_alu instid0(VALU_DEP_1)
	v_cmp_ne_u32_e64 s3, 0x7f800000, v36
                                        ; implicit-def: $vgpr36
	s_and_saveexec_b32 s10, s3
	s_wait_alu 0xfffe
	s_xor_b32 s3, exec_lo, s10
; %bb.190:
	v_bfe_u32 v36, v49, 16, 1
	s_delay_alu instid0(VALU_DEP_1)
	v_add3_u32 v36, v49, v36, 0x7fff
                                        ; implicit-def: $vgpr49
; %bb.191:
	s_wait_alu 0xfffe
	s_and_not1_saveexec_b32 s10, s3
; %bb.192:
	v_and_b32_e32 v36, 0xffff, v49
	v_or_b32_e32 v50, 0x10000, v49
	s_delay_alu instid0(VALU_DEP_2) | instskip(SKIP_1) | instid1(VALU_DEP_1)
	v_cmp_eq_u32_e64 s3, 0, v36
	s_wait_alu 0xf1ff
	v_cndmask_b32_e64 v36, v50, v49, s3
; %bb.193:
	s_wait_alu 0xfffe
	s_or_b32 exec_lo, exec_lo, s10
	v_cmp_lt_i32_e64 s3, -1, v31
	s_delay_alu instid0(VALU_DEP_2) | instskip(SKIP_1) | instid1(VALU_DEP_2)
	v_perm_b32 v31, v36, v31, 0x7060302
	s_wait_alu 0xf1ff
	v_cndmask_b32_e64 v49, -1, 0xffff8000, s3
	v_cmp_lt_i32_e64 s3, -1, v36
	s_wait_alu 0xf1ff
	s_delay_alu instid0(VALU_DEP_1) | instskip(NEXT) | instid1(VALU_DEP_1)
	v_cndmask_b32_e64 v50, -1, 0xffff8000, s3
	v_perm_b32 v36, v50, v49, 0x5040100
	s_delay_alu instid0(VALU_DEP_1) | instskip(NEXT) | instid1(VALU_DEP_1)
	v_xor_b32_e32 v31, v36, v31
	v_lshrrev_b32_e32 v36, 16, v31
	s_delay_alu instid0(VALU_DEP_1)
	v_cmp_le_u16_e64 s3, v31, v36
	s_and_b32 s10, s3, exec_lo
.LBB2074_194:
	s_wait_alu 0xfffe
	s_or_b32 exec_lo, exec_lo, s9
	s_delay_alu instid0(SALU_CYCLE_1)
	s_or_not1_b32 s9, s10, exec_lo
.LBB2074_195:
	s_wait_alu 0xfffe
	s_or_b32 exec_lo, exec_lo, s8
	v_cndmask_b32_e64 v18, v18, v19, s9
	v_cndmask_b32_e64 v33, v33, v38, s7
	;; [unrolled: 1-line block ×5, first 2 shown]
	v_lshl_add_u32 v18, v18, 3, v4
	ds_load_b64 v[18:19], v18 offset:2048
.LBB2074_196:
	s_wait_alu 0xfffe
	s_or_b32 exec_lo, exec_lo, s5
	v_and_b32_e32 v36, 0x60, v25
	v_min_u32_e32 v24, v26, v24
	; wave barrier
	ds_store_b16 v5, v35
	ds_store_b64 v28, v[12:13]
	v_or_b32_e32 v25, 16, v36
	s_mov_b32 s4, exec_lo
	ds_store_b16 v9, v32
	ds_store_b64 v10, v[14:15]
	ds_store_b16 v11, v33
	s_wait_dscnt 0x6
	ds_store_b64 v29, v[16:17]
	ds_store_b16 v27, v34
	s_wait_dscnt 0x7
	ds_store_b64 v30, v[18:19]
	; wave barrier
	v_min_u32_e32 v25, v26, v25
	s_delay_alu instid0(VALU_DEP_1) | instskip(SKIP_1) | instid1(VALU_DEP_2)
	v_add_nc_u32_e32 v31, 16, v25
	v_sub_nc_u32_e32 v37, v25, v36
	v_min_u32_e32 v31, v26, v31
	s_delay_alu instid0(VALU_DEP_1) | instskip(NEXT) | instid1(VALU_DEP_1)
	v_sub_nc_u32_e32 v26, v31, v25
	v_sub_nc_u32_e64 v5, v24, v26 clamp
	s_delay_alu instid0(VALU_DEP_4) | instskip(NEXT) | instid1(VALU_DEP_1)
	v_min_u32_e32 v26, v24, v37
	v_cmpx_lt_u32_e64 v5, v26
	s_cbranch_execz .LBB2074_208
; %bb.197:
	v_lshlrev_b32_e32 v9, 1, v36
	v_lshlrev_b32_e32 v10, 1, v25
	s_mov_b32 s5, 0
	s_delay_alu instid0(VALU_DEP_2) | instskip(NEXT) | instid1(VALU_DEP_2)
	v_add_co_u32 v9, null, v8, v9
	v_add_co_u32 v10, null, v8, v10
	s_branch .LBB2074_199
.LBB2074_198:                           ;   in Loop: Header=BB2074_199 Depth=1
	s_wait_alu 0xfffe
	s_or_b32 exec_lo, exec_lo, s6
	v_cmp_lt_i32_e64 s3, -1, v27
	v_lshrrev_b32_e32 v29, 16, v27
	v_lshrrev_b32_e32 v30, 16, v28
	s_wait_alu 0xf1ff
	s_delay_alu instid0(VALU_DEP_3) | instskip(SKIP_1) | instid1(VALU_DEP_2)
	v_cndmask_b32_e64 v27, -1, 0xffff8000, s3
	v_cmp_lt_i32_e64 s3, -1, v28
	v_xor_b32_e32 v27, v27, v29
	s_wait_alu 0xf1ff
	s_delay_alu instid0(VALU_DEP_2) | instskip(SKIP_1) | instid1(VALU_DEP_2)
	v_cndmask_b32_e64 v28, -1, 0xffff8000, s3
	v_add_nc_u32_e32 v29, 1, v11
	v_xor_b32_e32 v28, v28, v30
	s_delay_alu instid0(VALU_DEP_1) | instskip(SKIP_1) | instid1(VALU_DEP_1)
	v_cmp_gt_u16_e64 s3, v27, v28
	s_wait_alu 0xf1ff
	v_cndmask_b32_e64 v26, v26, v11, s3
	v_cndmask_b32_e64 v5, v29, v5, s3
	s_delay_alu instid0(VALU_DEP_1)
	v_cmp_ge_u32_e64 s3, v5, v26
	s_or_b32 s5, s3, s5
	s_wait_alu 0xfffe
	s_and_not1_b32 exec_lo, exec_lo, s5
	s_cbranch_execz .LBB2074_207
.LBB2074_199:                           ; =>This Inner Loop Header: Depth=1
	v_add_nc_u32_e32 v11, v26, v5
	s_delay_alu instid0(VALU_DEP_1) | instskip(SKIP_1) | instid1(VALU_DEP_2)
	v_and_b32_e32 v27, -2, v11
	v_lshrrev_b32_e32 v11, 1, v11
	v_add_nc_u32_e32 v27, v9, v27
	s_delay_alu instid0(VALU_DEP_2)
	v_xad_u32 v28, v11, -1, v24
	ds_load_u16 v27, v27
	v_lshl_add_u32 v28, v28, 1, v10
	ds_load_u16 v28, v28
	s_wait_dscnt 0x1
	v_lshlrev_b32_e32 v27, 16, v27
	s_delay_alu instid0(VALU_DEP_1) | instskip(NEXT) | instid1(VALU_DEP_1)
	v_add_f32_e32 v29, 0, v27
	v_and_b32_e32 v27, 0x7f800000, v29
	s_delay_alu instid0(VALU_DEP_1)
	v_cmp_ne_u32_e64 s3, 0x7f800000, v27
                                        ; implicit-def: $vgpr27
	s_and_saveexec_b32 s6, s3
	s_wait_alu 0xfffe
	s_xor_b32 s3, exec_lo, s6
; %bb.200:                              ;   in Loop: Header=BB2074_199 Depth=1
	v_bfe_u32 v27, v29, 16, 1
	s_delay_alu instid0(VALU_DEP_1)
	v_add3_u32 v27, v29, v27, 0x7fff
                                        ; implicit-def: $vgpr29
; %bb.201:                              ;   in Loop: Header=BB2074_199 Depth=1
	s_wait_alu 0xfffe
	s_and_not1_saveexec_b32 s6, s3
; %bb.202:                              ;   in Loop: Header=BB2074_199 Depth=1
	v_and_b32_e32 v27, 0xffff, v29
	v_or_b32_e32 v30, 0x10000, v29
	s_delay_alu instid0(VALU_DEP_2) | instskip(SKIP_1) | instid1(VALU_DEP_1)
	v_cmp_eq_u32_e64 s3, 0, v27
	s_wait_alu 0xf1ff
	v_cndmask_b32_e64 v27, v30, v29, s3
; %bb.203:                              ;   in Loop: Header=BB2074_199 Depth=1
	s_wait_alu 0xfffe
	s_or_b32 exec_lo, exec_lo, s6
	s_wait_dscnt 0x0
	v_lshlrev_b32_e32 v28, 16, v28
	s_delay_alu instid0(VALU_DEP_1) | instskip(NEXT) | instid1(VALU_DEP_1)
	v_add_f32_e32 v29, 0, v28
	v_and_b32_e32 v28, 0x7f800000, v29
	s_delay_alu instid0(VALU_DEP_1)
	v_cmp_ne_u32_e64 s3, 0x7f800000, v28
                                        ; implicit-def: $vgpr28
	s_and_saveexec_b32 s6, s3
	s_wait_alu 0xfffe
	s_xor_b32 s3, exec_lo, s6
; %bb.204:                              ;   in Loop: Header=BB2074_199 Depth=1
	v_bfe_u32 v28, v29, 16, 1
	s_delay_alu instid0(VALU_DEP_1)
	v_add3_u32 v28, v29, v28, 0x7fff
                                        ; implicit-def: $vgpr29
; %bb.205:                              ;   in Loop: Header=BB2074_199 Depth=1
	s_wait_alu 0xfffe
	s_and_not1_saveexec_b32 s6, s3
	s_cbranch_execz .LBB2074_198
; %bb.206:                              ;   in Loop: Header=BB2074_199 Depth=1
	v_and_b32_e32 v28, 0xffff, v29
	v_or_b32_e32 v30, 0x10000, v29
	s_delay_alu instid0(VALU_DEP_2) | instskip(SKIP_1) | instid1(VALU_DEP_1)
	v_cmp_eq_u32_e64 s3, 0, v28
	s_wait_alu 0xf1ff
	v_cndmask_b32_e64 v28, v30, v29, s3
	s_branch .LBB2074_198
.LBB2074_207:
	s_or_b32 exec_lo, exec_lo, s5
.LBB2074_208:
	s_wait_alu 0xfffe
	s_or_b32 exec_lo, exec_lo, s4
	v_add_nc_u32_e32 v9, v25, v24
	v_add_nc_u32_e32 v10, v5, v36
	s_delay_alu instid0(VALU_DEP_2) | instskip(NEXT) | instid1(VALU_DEP_2)
	v_sub_nc_u32_e32 v11, v9, v5
	v_cmp_le_u32_e64 s3, v10, v25
	s_delay_alu instid0(VALU_DEP_2)
	v_cmp_le_u32_e64 s4, v11, v31
	s_or_b32 s3, s3, s4
	s_wait_alu 0xfffe
	s_and_saveexec_b32 s5, s3
	s_cbranch_execz .LBB2074_260
; %bb.209:
	v_cmp_ge_u32_e64 s3, v10, v25
	s_mov_b32 s6, exec_lo
                                        ; implicit-def: $vgpr5
	v_cmpx_lt_u32_e64 v10, v25
; %bb.210:
	v_lshl_add_u32 v5, v10, 1, v8
	ds_load_u16 v5, v5
; %bb.211:
	s_wait_alu 0xfffe
	s_or_b32 exec_lo, exec_lo, s6
	v_cmp_ge_u32_e64 s6, v11, v31
	s_mov_b32 s7, exec_lo
                                        ; implicit-def: $vgpr9
	v_cmpx_lt_u32_e64 v11, v31
; %bb.212:
	v_lshl_add_u32 v9, v11, 1, v8
	ds_load_u16 v9, v9
; %bb.213:
	s_wait_alu 0xfffe
	s_or_b32 exec_lo, exec_lo, s7
	s_nor_b32 s3, s3, s6
	s_wait_alu 0xfffe
	s_and_saveexec_b32 s4, s3
	s_cbranch_execz .LBB2074_223
; %bb.214:
	s_wait_dscnt 0x0
	v_lshlrev_b32_e32 v12, 16, v5
	s_delay_alu instid0(VALU_DEP_1) | instskip(NEXT) | instid1(VALU_DEP_1)
	v_add_f32_e32 v13, 0, v12
	v_and_b32_e32 v12, 0x7f800000, v13
	s_delay_alu instid0(VALU_DEP_1)
	v_cmp_ne_u32_e64 s3, 0x7f800000, v12
                                        ; implicit-def: $vgpr12
	s_and_saveexec_b32 s7, s3
	s_wait_alu 0xfffe
	s_xor_b32 s3, exec_lo, s7
; %bb.215:
	v_bfe_u32 v12, v13, 16, 1
	s_delay_alu instid0(VALU_DEP_1)
	v_add3_u32 v12, v13, v12, 0x7fff
                                        ; implicit-def: $vgpr13
; %bb.216:
	s_wait_alu 0xfffe
	s_and_not1_saveexec_b32 s7, s3
; %bb.217:
	v_and_b32_e32 v12, 0xffff, v13
	v_or_b32_e32 v14, 0x10000, v13
	s_delay_alu instid0(VALU_DEP_2) | instskip(SKIP_1) | instid1(VALU_DEP_1)
	v_cmp_eq_u32_e64 s3, 0, v12
	s_wait_alu 0xf1ff
	v_cndmask_b32_e64 v12, v14, v13, s3
; %bb.218:
	s_wait_alu 0xfffe
	s_or_b32 exec_lo, exec_lo, s7
	v_lshlrev_b32_e32 v13, 16, v9
	s_delay_alu instid0(VALU_DEP_1) | instskip(NEXT) | instid1(VALU_DEP_1)
	v_add_f32_e32 v14, 0, v13
	v_and_b32_e32 v13, 0x7f800000, v14
	s_delay_alu instid0(VALU_DEP_1)
	v_cmp_ne_u32_e64 s3, 0x7f800000, v13
                                        ; implicit-def: $vgpr13
	s_and_saveexec_b32 s7, s3
	s_wait_alu 0xfffe
	s_xor_b32 s3, exec_lo, s7
; %bb.219:
	v_bfe_u32 v13, v14, 16, 1
	s_delay_alu instid0(VALU_DEP_1)
	v_add3_u32 v13, v14, v13, 0x7fff
                                        ; implicit-def: $vgpr14
; %bb.220:
	s_wait_alu 0xfffe
	s_and_not1_saveexec_b32 s7, s3
; %bb.221:
	v_and_b32_e32 v13, 0xffff, v14
	v_or_b32_e32 v15, 0x10000, v14
	s_delay_alu instid0(VALU_DEP_2) | instskip(SKIP_1) | instid1(VALU_DEP_1)
	v_cmp_eq_u32_e64 s3, 0, v13
	s_wait_alu 0xf1ff
	v_cndmask_b32_e64 v13, v15, v14, s3
; %bb.222:
	s_wait_alu 0xfffe
	s_or_b32 exec_lo, exec_lo, s7
	v_cmp_lt_i32_e64 s3, -1, v12
	s_delay_alu instid0(VALU_DEP_2) | instskip(SKIP_4) | instid1(VALU_DEP_1)
	v_perm_b32 v12, v13, v12, 0x7060302
	s_and_not1_b32 s6, s6, exec_lo
	v_cndmask_b32_e64 v14, -1, 0xffff8000, s3
	v_cmp_lt_i32_e64 s3, -1, v13
	s_wait_alu 0xf1ff
	v_cndmask_b32_e64 v15, -1, 0xffff8000, s3
	s_delay_alu instid0(VALU_DEP_1) | instskip(NEXT) | instid1(VALU_DEP_1)
	v_perm_b32 v13, v15, v14, 0x5040100
	v_xor_b32_e32 v12, v13, v12
	s_delay_alu instid0(VALU_DEP_1) | instskip(NEXT) | instid1(VALU_DEP_1)
	v_lshrrev_b32_e32 v13, 16, v12
	v_cmp_le_u16_e64 s3, v12, v13
	s_and_b32 s3, s3, exec_lo
	s_wait_alu 0xfffe
	s_or_b32 s6, s6, s3
.LBB2074_223:
	s_wait_alu 0xfffe
	s_or_b32 exec_lo, exec_lo, s4
	v_cndmask_b32_e64 v12, v11, v10, s6
	v_cndmask_b32_e64 v13, v31, v25, s6
	s_mov_b32 s7, -1
	s_mov_b32 s4, -1
	s_mov_b32 s8, exec_lo
	v_add_nc_u32_e32 v14, 1, v12
	v_add_nc_u32_e32 v13, -1, v13
	v_lshl_add_u32 v12, v12, 3, v4
	s_delay_alu instid0(VALU_DEP_3) | instskip(NEXT) | instid1(VALU_DEP_3)
	v_cndmask_b32_e64 v16, v14, v11, s6
	v_min_u32_e32 v13, v14, v13
	v_cndmask_b32_e64 v17, v10, v14, s6
	s_delay_alu instid0(VALU_DEP_2)
	v_lshl_add_u32 v13, v13, 1, v8
	ds_load_u16 v15, v13
	ds_load_b64 v[12:13], v12 offset:2048
	s_wait_dscnt 0x1
	v_cndmask_b32_e64 v10, v15, v9, s6
	v_cndmask_b32_e64 v11, v5, v15, s6
	v_cmpx_lt_u32_e64 v16, v31
	s_cbranch_execz .LBB2074_235
; %bb.224:
	s_mov_b32 s9, 0
	s_mov_b32 s4, exec_lo
	v_cmpx_lt_u32_e64 v17, v25
	s_cbranch_execz .LBB2074_234
; %bb.225:
	v_lshlrev_b32_e32 v14, 16, v11
	s_delay_alu instid0(VALU_DEP_1) | instskip(NEXT) | instid1(VALU_DEP_1)
	v_add_f32_e32 v15, 0, v14
	v_and_b32_e32 v14, 0x7f800000, v15
	s_delay_alu instid0(VALU_DEP_1)
	v_cmp_ne_u32_e64 s3, 0x7f800000, v14
                                        ; implicit-def: $vgpr14
	s_and_saveexec_b32 s9, s3
	s_wait_alu 0xfffe
	s_xor_b32 s3, exec_lo, s9
; %bb.226:
	v_bfe_u32 v14, v15, 16, 1
	s_delay_alu instid0(VALU_DEP_1)
	v_add3_u32 v14, v15, v14, 0x7fff
                                        ; implicit-def: $vgpr15
; %bb.227:
	s_wait_alu 0xfffe
	s_and_not1_saveexec_b32 s9, s3
; %bb.228:
	v_and_b32_e32 v14, 0xffff, v15
	v_or_b32_e32 v18, 0x10000, v15
	s_delay_alu instid0(VALU_DEP_2) | instskip(SKIP_1) | instid1(VALU_DEP_1)
	v_cmp_eq_u32_e64 s3, 0, v14
	s_wait_alu 0xf1ff
	v_cndmask_b32_e64 v14, v18, v15, s3
; %bb.229:
	s_wait_alu 0xfffe
	s_or_b32 exec_lo, exec_lo, s9
	v_lshlrev_b32_e32 v15, 16, v10
	s_delay_alu instid0(VALU_DEP_1) | instskip(NEXT) | instid1(VALU_DEP_1)
	v_add_f32_e32 v18, 0, v15
	v_and_b32_e32 v15, 0x7f800000, v18
	s_delay_alu instid0(VALU_DEP_1)
	v_cmp_ne_u32_e64 s3, 0x7f800000, v15
                                        ; implicit-def: $vgpr15
	s_and_saveexec_b32 s9, s3
	s_wait_alu 0xfffe
	s_xor_b32 s3, exec_lo, s9
; %bb.230:
	v_bfe_u32 v15, v18, 16, 1
	s_delay_alu instid0(VALU_DEP_1)
	v_add3_u32 v15, v18, v15, 0x7fff
                                        ; implicit-def: $vgpr18
; %bb.231:
	s_wait_alu 0xfffe
	s_and_not1_saveexec_b32 s9, s3
; %bb.232:
	v_and_b32_e32 v15, 0xffff, v18
	v_or_b32_e32 v19, 0x10000, v18
	s_delay_alu instid0(VALU_DEP_2) | instskip(SKIP_1) | instid1(VALU_DEP_1)
	v_cmp_eq_u32_e64 s3, 0, v15
	s_wait_alu 0xf1ff
	v_cndmask_b32_e64 v15, v19, v18, s3
; %bb.233:
	s_wait_alu 0xfffe
	s_or_b32 exec_lo, exec_lo, s9
	v_cmp_lt_i32_e64 s3, -1, v14
	s_delay_alu instid0(VALU_DEP_2) | instskip(SKIP_1) | instid1(VALU_DEP_2)
	v_perm_b32 v14, v15, v14, 0x7060302
	s_wait_alu 0xf1ff
	v_cndmask_b32_e64 v18, -1, 0xffff8000, s3
	v_cmp_lt_i32_e64 s3, -1, v15
	s_wait_alu 0xf1ff
	s_delay_alu instid0(VALU_DEP_1) | instskip(NEXT) | instid1(VALU_DEP_1)
	v_cndmask_b32_e64 v19, -1, 0xffff8000, s3
	v_perm_b32 v15, v19, v18, 0x5040100
	s_delay_alu instid0(VALU_DEP_1) | instskip(NEXT) | instid1(VALU_DEP_1)
	v_xor_b32_e32 v14, v15, v14
	v_lshrrev_b32_e32 v15, 16, v14
	s_delay_alu instid0(VALU_DEP_1)
	v_cmp_le_u16_e64 s3, v14, v15
	s_and_b32 s9, s3, exec_lo
.LBB2074_234:
	s_wait_alu 0xfffe
	s_or_b32 exec_lo, exec_lo, s4
	s_delay_alu instid0(SALU_CYCLE_1)
	s_or_not1_b32 s4, s9, exec_lo
.LBB2074_235:
	s_wait_alu 0xfffe
	s_or_b32 exec_lo, exec_lo, s8
	v_cndmask_b32_e64 v14, v16, v17, s4
	v_cndmask_b32_e64 v15, v31, v25, s4
	s_mov_b32 s8, exec_lo
	s_delay_alu instid0(VALU_DEP_2) | instskip(NEXT) | instid1(VALU_DEP_2)
	v_add_nc_u32_e32 v19, 1, v14
	v_add_nc_u32_e32 v15, -1, v15
	v_lshl_add_u32 v14, v14, 3, v4
	s_delay_alu instid0(VALU_DEP_3) | instskip(NEXT) | instid1(VALU_DEP_3)
	v_cndmask_b32_e64 v18, v19, v16, s4
	v_min_u32_e32 v15, v19, v15
	v_cndmask_b32_e64 v19, v17, v19, s4
	s_delay_alu instid0(VALU_DEP_2)
	v_lshl_add_u32 v15, v15, 1, v8
	ds_load_u16 v26, v15
	ds_load_b64 v[14:15], v14 offset:2048
	s_wait_dscnt 0x1
	v_cndmask_b32_e64 v24, v26, v10, s4
	v_cndmask_b32_e64 v26, v11, v26, s4
	v_cmpx_lt_u32_e64 v18, v31
	s_cbranch_execz .LBB2074_247
; %bb.236:
	s_mov_b32 s9, 0
	s_mov_b32 s7, exec_lo
	v_cmpx_lt_u32_e64 v19, v25
	s_cbranch_execz .LBB2074_246
; %bb.237:
	v_lshlrev_b32_e32 v16, 16, v26
	s_delay_alu instid0(VALU_DEP_1) | instskip(NEXT) | instid1(VALU_DEP_1)
	v_add_f32_e32 v17, 0, v16
	v_and_b32_e32 v16, 0x7f800000, v17
	s_delay_alu instid0(VALU_DEP_1)
	v_cmp_ne_u32_e64 s3, 0x7f800000, v16
                                        ; implicit-def: $vgpr16
	s_and_saveexec_b32 s9, s3
	s_wait_alu 0xfffe
	s_xor_b32 s3, exec_lo, s9
; %bb.238:
	v_bfe_u32 v16, v17, 16, 1
	s_delay_alu instid0(VALU_DEP_1)
	v_add3_u32 v16, v17, v16, 0x7fff
                                        ; implicit-def: $vgpr17
; %bb.239:
	s_wait_alu 0xfffe
	s_and_not1_saveexec_b32 s9, s3
; %bb.240:
	v_and_b32_e32 v16, 0xffff, v17
	v_or_b32_e32 v27, 0x10000, v17
	s_delay_alu instid0(VALU_DEP_2) | instskip(SKIP_1) | instid1(VALU_DEP_1)
	v_cmp_eq_u32_e64 s3, 0, v16
	s_wait_alu 0xf1ff
	v_cndmask_b32_e64 v16, v27, v17, s3
; %bb.241:
	s_wait_alu 0xfffe
	s_or_b32 exec_lo, exec_lo, s9
	v_lshlrev_b32_e32 v17, 16, v24
	s_delay_alu instid0(VALU_DEP_1) | instskip(NEXT) | instid1(VALU_DEP_1)
	v_add_f32_e32 v27, 0, v17
	v_and_b32_e32 v17, 0x7f800000, v27
	s_delay_alu instid0(VALU_DEP_1)
	v_cmp_ne_u32_e64 s3, 0x7f800000, v17
                                        ; implicit-def: $vgpr17
	s_and_saveexec_b32 s9, s3
	s_wait_alu 0xfffe
	s_xor_b32 s3, exec_lo, s9
; %bb.242:
	v_bfe_u32 v17, v27, 16, 1
	s_delay_alu instid0(VALU_DEP_1)
	v_add3_u32 v17, v27, v17, 0x7fff
                                        ; implicit-def: $vgpr27
; %bb.243:
	s_wait_alu 0xfffe
	s_and_not1_saveexec_b32 s9, s3
; %bb.244:
	v_and_b32_e32 v17, 0xffff, v27
	v_or_b32_e32 v28, 0x10000, v27
	s_delay_alu instid0(VALU_DEP_2) | instskip(SKIP_1) | instid1(VALU_DEP_1)
	v_cmp_eq_u32_e64 s3, 0, v17
	s_wait_alu 0xf1ff
	v_cndmask_b32_e64 v17, v28, v27, s3
; %bb.245:
	s_wait_alu 0xfffe
	s_or_b32 exec_lo, exec_lo, s9
	v_cmp_lt_i32_e64 s3, -1, v16
	s_delay_alu instid0(VALU_DEP_2) | instskip(SKIP_1) | instid1(VALU_DEP_2)
	v_perm_b32 v16, v17, v16, 0x7060302
	s_wait_alu 0xf1ff
	v_cndmask_b32_e64 v27, -1, 0xffff8000, s3
	v_cmp_lt_i32_e64 s3, -1, v17
	s_wait_alu 0xf1ff
	s_delay_alu instid0(VALU_DEP_1) | instskip(NEXT) | instid1(VALU_DEP_1)
	v_cndmask_b32_e64 v28, -1, 0xffff8000, s3
	v_perm_b32 v17, v28, v27, 0x5040100
	s_delay_alu instid0(VALU_DEP_1) | instskip(NEXT) | instid1(VALU_DEP_1)
	v_xor_b32_e32 v16, v17, v16
	v_lshrrev_b32_e32 v17, 16, v16
	s_delay_alu instid0(VALU_DEP_1)
	v_cmp_le_u16_e64 s3, v16, v17
	s_and_b32 s9, s3, exec_lo
.LBB2074_246:
	s_wait_alu 0xfffe
	s_or_b32 exec_lo, exec_lo, s7
	s_delay_alu instid0(SALU_CYCLE_1)
	s_or_not1_b32 s7, s9, exec_lo
.LBB2074_247:
	s_wait_alu 0xfffe
	s_or_b32 exec_lo, exec_lo, s8
	v_cndmask_b32_e64 v16, v18, v19, s7
	v_cndmask_b32_e64 v17, v31, v25, s7
	s_mov_b32 s9, -1
	s_mov_b32 s8, exec_lo
	s_delay_alu instid0(VALU_DEP_2) | instskip(NEXT) | instid1(VALU_DEP_2)
	v_add_nc_u32_e32 v27, 1, v16
	v_add_nc_u32_e32 v17, -1, v17
	s_delay_alu instid0(VALU_DEP_2) | instskip(NEXT) | instid1(VALU_DEP_2)
	v_cndmask_b32_e64 v18, v27, v18, s7
	v_min_u32_e32 v17, v27, v17
	v_cndmask_b32_e64 v19, v19, v27, s7
	s_delay_alu instid0(VALU_DEP_2)
	v_lshl_add_u32 v8, v17, 1, v8
	ds_load_u16 v28, v8
	v_lshl_add_u32 v8, v16, 3, v4
	ds_load_b64 v[16:17], v8 offset:2048
	s_wait_dscnt 0x1
	v_cndmask_b32_e64 v8, v28, v24, s7
	v_cndmask_b32_e64 v27, v26, v28, s7
	v_cmpx_lt_u32_e64 v18, v31
	s_cbranch_execz .LBB2074_259
; %bb.248:
	s_mov_b32 s10, 0
	s_mov_b32 s9, exec_lo
	v_cmpx_lt_u32_e64 v19, v25
	s_cbranch_execz .LBB2074_258
; %bb.249:
	v_lshlrev_b32_e32 v25, 16, v27
	s_delay_alu instid0(VALU_DEP_1) | instskip(NEXT) | instid1(VALU_DEP_1)
	v_add_f32_e32 v28, 0, v25
	v_and_b32_e32 v25, 0x7f800000, v28
	s_delay_alu instid0(VALU_DEP_1)
	v_cmp_ne_u32_e64 s3, 0x7f800000, v25
                                        ; implicit-def: $vgpr25
	s_and_saveexec_b32 s10, s3
	s_wait_alu 0xfffe
	s_xor_b32 s3, exec_lo, s10
; %bb.250:
	v_bfe_u32 v25, v28, 16, 1
	s_delay_alu instid0(VALU_DEP_1)
	v_add3_u32 v25, v28, v25, 0x7fff
                                        ; implicit-def: $vgpr28
; %bb.251:
	s_wait_alu 0xfffe
	s_and_not1_saveexec_b32 s10, s3
; %bb.252:
	v_and_b32_e32 v25, 0xffff, v28
	v_or_b32_e32 v29, 0x10000, v28
	s_delay_alu instid0(VALU_DEP_2) | instskip(SKIP_1) | instid1(VALU_DEP_1)
	v_cmp_eq_u32_e64 s3, 0, v25
	s_wait_alu 0xf1ff
	v_cndmask_b32_e64 v25, v29, v28, s3
; %bb.253:
	s_wait_alu 0xfffe
	s_or_b32 exec_lo, exec_lo, s10
	v_lshlrev_b32_e32 v28, 16, v8
	s_delay_alu instid0(VALU_DEP_1) | instskip(NEXT) | instid1(VALU_DEP_1)
	v_add_f32_e32 v29, 0, v28
	v_and_b32_e32 v28, 0x7f800000, v29
	s_delay_alu instid0(VALU_DEP_1)
	v_cmp_ne_u32_e64 s3, 0x7f800000, v28
                                        ; implicit-def: $vgpr28
	s_and_saveexec_b32 s10, s3
	s_wait_alu 0xfffe
	s_xor_b32 s3, exec_lo, s10
; %bb.254:
	v_bfe_u32 v28, v29, 16, 1
	s_delay_alu instid0(VALU_DEP_1)
	v_add3_u32 v28, v29, v28, 0x7fff
                                        ; implicit-def: $vgpr29
; %bb.255:
	s_wait_alu 0xfffe
	s_and_not1_saveexec_b32 s10, s3
; %bb.256:
	v_and_b32_e32 v28, 0xffff, v29
	v_or_b32_e32 v30, 0x10000, v29
	s_delay_alu instid0(VALU_DEP_2) | instskip(SKIP_1) | instid1(VALU_DEP_1)
	v_cmp_eq_u32_e64 s3, 0, v28
	s_wait_alu 0xf1ff
	v_cndmask_b32_e64 v28, v30, v29, s3
; %bb.257:
	s_wait_alu 0xfffe
	s_or_b32 exec_lo, exec_lo, s10
	v_cmp_lt_i32_e64 s3, -1, v25
	s_delay_alu instid0(VALU_DEP_2) | instskip(SKIP_1) | instid1(VALU_DEP_2)
	v_perm_b32 v25, v28, v25, 0x7060302
	s_wait_alu 0xf1ff
	v_cndmask_b32_e64 v29, -1, 0xffff8000, s3
	v_cmp_lt_i32_e64 s3, -1, v28
	s_wait_alu 0xf1ff
	s_delay_alu instid0(VALU_DEP_1) | instskip(NEXT) | instid1(VALU_DEP_1)
	v_cndmask_b32_e64 v30, -1, 0xffff8000, s3
	v_perm_b32 v28, v30, v29, 0x5040100
	s_delay_alu instid0(VALU_DEP_1) | instskip(NEXT) | instid1(VALU_DEP_1)
	v_xor_b32_e32 v25, v28, v25
	v_lshrrev_b32_e32 v28, 16, v25
	s_delay_alu instid0(VALU_DEP_1)
	v_cmp_le_u16_e64 s3, v25, v28
	s_and_b32 s10, s3, exec_lo
.LBB2074_258:
	s_wait_alu 0xfffe
	s_or_b32 exec_lo, exec_lo, s9
	s_delay_alu instid0(SALU_CYCLE_1)
	s_or_not1_b32 s9, s10, exec_lo
.LBB2074_259:
	s_wait_alu 0xfffe
	s_or_b32 exec_lo, exec_lo, s8
	v_cndmask_b32_e64 v18, v18, v19, s9
	v_cndmask_b32_e64 v33, v24, v26, s7
	;; [unrolled: 1-line block ×5, first 2 shown]
	v_lshl_add_u32 v4, v18, 3, v4
	ds_load_b64 v[18:19], v4 offset:2048
.LBB2074_260:
	s_wait_alu 0xfffe
	s_or_b32 exec_lo, exec_lo, s5
	v_add_co_u32 v2, s3, v2, v20
	s_wait_alu 0xf1ff
	v_add_co_ci_u32_e64 v3, null, v3, v21, s3
	s_delay_alu instid0(VALU_DEP_2) | instskip(SKIP_1) | instid1(VALU_DEP_2)
	v_add_co_u32 v2, s3, v2, v22
	s_wait_alu 0xf1ff
	v_add_co_ci_u32_e64 v3, null, 0, v3, s3
	; wave barrier
	s_wait_storecnt_dscnt 0x0
	s_barrier_signal -1
	s_barrier_wait -1
	global_inv scope:SCOPE_SE
	; wave barrier
	s_and_saveexec_b32 s3, vcc_lo
	s_cbranch_execnz .LBB2074_270
; %bb.261:
	s_wait_alu 0xfffe
	s_or_b32 exec_lo, exec_lo, s3
	s_and_saveexec_b32 s3, s0
	s_cbranch_execnz .LBB2074_271
.LBB2074_262:
	s_wait_alu 0xfffe
	s_or_b32 exec_lo, exec_lo, s3
	s_and_saveexec_b32 s3, s1
	s_cbranch_execnz .LBB2074_272
.LBB2074_263:
	s_wait_alu 0xfffe
	s_or_b32 exec_lo, exec_lo, s3
	s_and_saveexec_b32 s3, s2
	s_cbranch_execz .LBB2074_265
.LBB2074_264:
	flat_store_b16 v[2:3], v34 offset:6
.LBB2074_265:
	s_wait_alu 0xfffe
	s_or_b32 exec_lo, exec_lo, s3
	v_add_co_u32 v0, s3, v6, v0
	s_wait_alu 0xf1ff
	v_add_co_ci_u32_e64 v1, null, v7, v1, s3
	s_delay_alu instid0(VALU_DEP_2) | instskip(SKIP_1) | instid1(VALU_DEP_2)
	v_add_co_u32 v0, s3, v0, v23
	s_wait_alu 0xf1ff
	v_add_co_ci_u32_e64 v1, null, 0, v1, s3
	; wave barrier
	s_and_saveexec_b32 s3, vcc_lo
	s_cbranch_execnz .LBB2074_273
; %bb.266:
	s_wait_alu 0xfffe
	s_or_b32 exec_lo, exec_lo, s3
	s_and_saveexec_b32 s3, s0
	s_cbranch_execnz .LBB2074_274
.LBB2074_267:
	s_wait_alu 0xfffe
	s_or_b32 exec_lo, exec_lo, s3
	s_and_saveexec_b32 s0, s1
	s_cbranch_execnz .LBB2074_275
.LBB2074_268:
	s_wait_alu 0xfffe
	s_or_b32 exec_lo, exec_lo, s0
	s_and_saveexec_b32 s0, s2
	s_cbranch_execnz .LBB2074_276
.LBB2074_269:
	s_wait_alu 0xfffe
	s_or_b32 exec_lo, exec_lo, s0
	s_wait_loadcnt_dscnt 0x0
	s_setpc_b64 s[30:31]
.LBB2074_270:
	flat_store_b16 v[2:3], v35
	s_wait_alu 0xfffe
	s_or_b32 exec_lo, exec_lo, s3
	s_and_saveexec_b32 s3, s0
	s_cbranch_execz .LBB2074_262
.LBB2074_271:
	flat_store_b16 v[2:3], v32 offset:2
	s_wait_alu 0xfffe
	s_or_b32 exec_lo, exec_lo, s3
	s_and_saveexec_b32 s3, s1
	s_cbranch_execz .LBB2074_263
.LBB2074_272:
	flat_store_b16 v[2:3], v33 offset:4
	s_wait_alu 0xfffe
	s_or_b32 exec_lo, exec_lo, s3
	s_and_saveexec_b32 s3, s2
	s_cbranch_execnz .LBB2074_264
	s_branch .LBB2074_265
.LBB2074_273:
	flat_store_b64 v[0:1], v[12:13]
	s_wait_alu 0xfffe
	s_or_b32 exec_lo, exec_lo, s3
	s_and_saveexec_b32 s3, s0
	s_cbranch_execz .LBB2074_267
.LBB2074_274:
	flat_store_b64 v[0:1], v[14:15] offset:8
	s_wait_alu 0xfffe
	s_or_b32 exec_lo, exec_lo, s3
	s_and_saveexec_b32 s0, s1
	s_cbranch_execz .LBB2074_268
.LBB2074_275:
	flat_store_b64 v[0:1], v[16:17] offset:16
	s_wait_alu 0xfffe
	s_or_b32 exec_lo, exec_lo, s0
	s_and_saveexec_b32 s0, s2
	s_cbranch_execz .LBB2074_269
.LBB2074_276:
	flat_store_b64 v[0:1], v[18:19] offset:24
	s_wait_alu 0xfffe
	s_or_b32 exec_lo, exec_lo, s0
	s_wait_loadcnt_dscnt 0x0
	s_setpc_b64 s[30:31]
.Lfunc_end2074:
	.size	_ZN7rocprim17ROCPRIM_400000_NS6detail26segmented_warp_sort_helperINS1_20WarpSortHelperConfigILj8ELj4ELj256EEE12hip_bfloat16lLi256ELb0EvE4sortIPKS5_PS5_PKlPlEEvT_T0_T1_T2_jjjjRNS6_12storage_typeE, .Lfunc_end2074-_ZN7rocprim17ROCPRIM_400000_NS6detail26segmented_warp_sort_helperINS1_20WarpSortHelperConfigILj8ELj4ELj256EEE12hip_bfloat16lLi256ELb0EvE4sortIPKS5_PS5_PKlPlEEvT_T0_T1_T2_jjjjRNS6_12storage_typeE
                                        ; -- End function
	.set .L_ZN7rocprim17ROCPRIM_400000_NS6detail26segmented_warp_sort_helperINS1_20WarpSortHelperConfigILj8ELj4ELj256EEE12hip_bfloat16lLi256ELb0EvE4sortIPKS5_PS5_PKlPlEEvT_T0_T1_T2_jjjjRNS6_12storage_typeE.num_vgpr, 56
	.set .L_ZN7rocprim17ROCPRIM_400000_NS6detail26segmented_warp_sort_helperINS1_20WarpSortHelperConfigILj8ELj4ELj256EEE12hip_bfloat16lLi256ELb0EvE4sortIPKS5_PS5_PKlPlEEvT_T0_T1_T2_jjjjRNS6_12storage_typeE.num_agpr, 0
	.set .L_ZN7rocprim17ROCPRIM_400000_NS6detail26segmented_warp_sort_helperINS1_20WarpSortHelperConfigILj8ELj4ELj256EEE12hip_bfloat16lLi256ELb0EvE4sortIPKS5_PS5_PKlPlEEvT_T0_T1_T2_jjjjRNS6_12storage_typeE.numbered_sgpr, 32
	.set .L_ZN7rocprim17ROCPRIM_400000_NS6detail26segmented_warp_sort_helperINS1_20WarpSortHelperConfigILj8ELj4ELj256EEE12hip_bfloat16lLi256ELb0EvE4sortIPKS5_PS5_PKlPlEEvT_T0_T1_T2_jjjjRNS6_12storage_typeE.num_named_barrier, 0
	.set .L_ZN7rocprim17ROCPRIM_400000_NS6detail26segmented_warp_sort_helperINS1_20WarpSortHelperConfigILj8ELj4ELj256EEE12hip_bfloat16lLi256ELb0EvE4sortIPKS5_PS5_PKlPlEEvT_T0_T1_T2_jjjjRNS6_12storage_typeE.private_seg_size, 0
	.set .L_ZN7rocprim17ROCPRIM_400000_NS6detail26segmented_warp_sort_helperINS1_20WarpSortHelperConfigILj8ELj4ELj256EEE12hip_bfloat16lLi256ELb0EvE4sortIPKS5_PS5_PKlPlEEvT_T0_T1_T2_jjjjRNS6_12storage_typeE.uses_vcc, 1
	.set .L_ZN7rocprim17ROCPRIM_400000_NS6detail26segmented_warp_sort_helperINS1_20WarpSortHelperConfigILj8ELj4ELj256EEE12hip_bfloat16lLi256ELb0EvE4sortIPKS5_PS5_PKlPlEEvT_T0_T1_T2_jjjjRNS6_12storage_typeE.uses_flat_scratch, 0
	.set .L_ZN7rocprim17ROCPRIM_400000_NS6detail26segmented_warp_sort_helperINS1_20WarpSortHelperConfigILj8ELj4ELj256EEE12hip_bfloat16lLi256ELb0EvE4sortIPKS5_PS5_PKlPlEEvT_T0_T1_T2_jjjjRNS6_12storage_typeE.has_dyn_sized_stack, 0
	.set .L_ZN7rocprim17ROCPRIM_400000_NS6detail26segmented_warp_sort_helperINS1_20WarpSortHelperConfigILj8ELj4ELj256EEE12hip_bfloat16lLi256ELb0EvE4sortIPKS5_PS5_PKlPlEEvT_T0_T1_T2_jjjjRNS6_12storage_typeE.has_recursion, 0
	.set .L_ZN7rocprim17ROCPRIM_400000_NS6detail26segmented_warp_sort_helperINS1_20WarpSortHelperConfigILj8ELj4ELj256EEE12hip_bfloat16lLi256ELb0EvE4sortIPKS5_PS5_PKlPlEEvT_T0_T1_T2_jjjjRNS6_12storage_typeE.has_indirect_call, 0
	.section	.AMDGPU.csdata,"",@progbits
; Function info:
; codeLenInByte = 12456
; TotalNumSgprs: 34
; NumVgprs: 56
; ScratchSize: 0
; MemoryBound: 1
	.section	.text._ZN7rocprim17ROCPRIM_400000_NS6detail17trampoline_kernelINS0_14default_configENS1_36segmented_radix_sort_config_selectorI12hip_bfloat16lEEZNS1_25segmented_radix_sort_implIS3_Lb0EPKS5_PS5_PKlPlN2at6native12_GLOBAL__N_18offset_tEEE10hipError_tPvRmT1_PNSt15iterator_traitsISL_E10value_typeET2_T3_PNSM_ISR_E10value_typeET4_jRbjT5_SX_jjP12ihipStream_tbEUlT_E1_NS1_11comp_targetILNS1_3genE10ELNS1_11target_archE1201ELNS1_3gpuE5ELNS1_3repE0EEENS1_59segmented_radix_sort_warp_sort_small_config_static_selectorELNS0_4arch9wavefront6targetE0EEEvSL_,"axG",@progbits,_ZN7rocprim17ROCPRIM_400000_NS6detail17trampoline_kernelINS0_14default_configENS1_36segmented_radix_sort_config_selectorI12hip_bfloat16lEEZNS1_25segmented_radix_sort_implIS3_Lb0EPKS5_PS5_PKlPlN2at6native12_GLOBAL__N_18offset_tEEE10hipError_tPvRmT1_PNSt15iterator_traitsISL_E10value_typeET2_T3_PNSM_ISR_E10value_typeET4_jRbjT5_SX_jjP12ihipStream_tbEUlT_E1_NS1_11comp_targetILNS1_3genE10ELNS1_11target_archE1201ELNS1_3gpuE5ELNS1_3repE0EEENS1_59segmented_radix_sort_warp_sort_small_config_static_selectorELNS0_4arch9wavefront6targetE0EEEvSL_,comdat
	.globl	_ZN7rocprim17ROCPRIM_400000_NS6detail17trampoline_kernelINS0_14default_configENS1_36segmented_radix_sort_config_selectorI12hip_bfloat16lEEZNS1_25segmented_radix_sort_implIS3_Lb0EPKS5_PS5_PKlPlN2at6native12_GLOBAL__N_18offset_tEEE10hipError_tPvRmT1_PNSt15iterator_traitsISL_E10value_typeET2_T3_PNSM_ISR_E10value_typeET4_jRbjT5_SX_jjP12ihipStream_tbEUlT_E1_NS1_11comp_targetILNS1_3genE10ELNS1_11target_archE1201ELNS1_3gpuE5ELNS1_3repE0EEENS1_59segmented_radix_sort_warp_sort_small_config_static_selectorELNS0_4arch9wavefront6targetE0EEEvSL_ ; -- Begin function _ZN7rocprim17ROCPRIM_400000_NS6detail17trampoline_kernelINS0_14default_configENS1_36segmented_radix_sort_config_selectorI12hip_bfloat16lEEZNS1_25segmented_radix_sort_implIS3_Lb0EPKS5_PS5_PKlPlN2at6native12_GLOBAL__N_18offset_tEEE10hipError_tPvRmT1_PNSt15iterator_traitsISL_E10value_typeET2_T3_PNSM_ISR_E10value_typeET4_jRbjT5_SX_jjP12ihipStream_tbEUlT_E1_NS1_11comp_targetILNS1_3genE10ELNS1_11target_archE1201ELNS1_3gpuE5ELNS1_3repE0EEENS1_59segmented_radix_sort_warp_sort_small_config_static_selectorELNS0_4arch9wavefront6targetE0EEEvSL_
	.p2align	8
	.type	_ZN7rocprim17ROCPRIM_400000_NS6detail17trampoline_kernelINS0_14default_configENS1_36segmented_radix_sort_config_selectorI12hip_bfloat16lEEZNS1_25segmented_radix_sort_implIS3_Lb0EPKS5_PS5_PKlPlN2at6native12_GLOBAL__N_18offset_tEEE10hipError_tPvRmT1_PNSt15iterator_traitsISL_E10value_typeET2_T3_PNSM_ISR_E10value_typeET4_jRbjT5_SX_jjP12ihipStream_tbEUlT_E1_NS1_11comp_targetILNS1_3genE10ELNS1_11target_archE1201ELNS1_3gpuE5ELNS1_3repE0EEENS1_59segmented_radix_sort_warp_sort_small_config_static_selectorELNS0_4arch9wavefront6targetE0EEEvSL_,@function
_ZN7rocprim17ROCPRIM_400000_NS6detail17trampoline_kernelINS0_14default_configENS1_36segmented_radix_sort_config_selectorI12hip_bfloat16lEEZNS1_25segmented_radix_sort_implIS3_Lb0EPKS5_PS5_PKlPlN2at6native12_GLOBAL__N_18offset_tEEE10hipError_tPvRmT1_PNSt15iterator_traitsISL_E10value_typeET2_T3_PNSM_ISR_E10value_typeET4_jRbjT5_SX_jjP12ihipStream_tbEUlT_E1_NS1_11comp_targetILNS1_3genE10ELNS1_11target_archE1201ELNS1_3gpuE5ELNS1_3repE0EEENS1_59segmented_radix_sort_warp_sort_small_config_static_selectorELNS0_4arch9wavefront6targetE0EEEvSL_: ; @_ZN7rocprim17ROCPRIM_400000_NS6detail17trampoline_kernelINS0_14default_configENS1_36segmented_radix_sort_config_selectorI12hip_bfloat16lEEZNS1_25segmented_radix_sort_implIS3_Lb0EPKS5_PS5_PKlPlN2at6native12_GLOBAL__N_18offset_tEEE10hipError_tPvRmT1_PNSt15iterator_traitsISL_E10value_typeET2_T3_PNSM_ISR_E10value_typeET4_jRbjT5_SX_jjP12ihipStream_tbEUlT_E1_NS1_11comp_targetILNS1_3genE10ELNS1_11target_archE1201ELNS1_3gpuE5ELNS1_3repE0EEENS1_59segmented_radix_sort_warp_sort_small_config_static_selectorELNS0_4arch9wavefront6targetE0EEEvSL_
; %bb.0:
	s_load_b32 s2, s[0:1], 0x64
	v_bfe_u32 v1, v0, 10, 10
	v_bfe_u32 v2, v0, 20, 10
	s_mov_b32 s32, 0
	s_wait_kmcnt 0x0
	s_lshr_b32 s3, s2, 16
	s_and_b32 s2, s2, 0xffff
	v_mad_u32_u24 v2, v2, s3, v1
	v_and_b32_e32 v1, 0x3ff, v0
	s_load_b32 s3, s[0:1], 0x34
	s_delay_alu instid0(VALU_DEP_1) | instskip(SKIP_2) | instid1(VALU_DEP_1)
	v_mad_co_u64_u32 v[1:2], null, v2, s2, v[1:2]
	s_mov_b32 s2, exec_lo
	v_lshrrev_b32_e32 v1, 3, v1
	v_lshl_add_u32 v1, ttmp9, 5, v1
	s_wait_kmcnt 0x0
	s_delay_alu instid0(VALU_DEP_1)
	v_cmpx_gt_u32_e64 s3, v1
	s_cbranch_execz .LBB2075_6
; %bb.1:
	s_clause 0x1
	s_load_b64 s[2:3], s[0:1], 0x38
	s_load_b128 s[4:7], s[0:1], 0x40
	v_mov_b32_e32 v2, 0
	s_delay_alu instid0(VALU_DEP_1) | instskip(SKIP_1) | instid1(VALU_DEP_1)
	v_lshlrev_b64_e32 v[1:2], 2, v[1:2]
	s_wait_kmcnt 0x0
	v_sub_co_u32 v1, vcc_lo, s2, v1
	s_delay_alu instid0(VALU_DEP_1) | instskip(SKIP_4) | instid1(VALU_DEP_2)
	v_sub_co_ci_u32_e64 v2, null, s3, v2, vcc_lo
	global_load_b32 v1, v[1:2], off offset:-4
	s_wait_loadcnt 0x0
	v_add_nc_u32_e32 v2, s5, v1
	v_add_nc_u32_e32 v1, s7, v1
	v_mul_lo_u32 v40, v2, s4
	s_delay_alu instid0(VALU_DEP_2) | instskip(NEXT) | instid1(VALU_DEP_1)
	v_mul_lo_u32 v41, v1, s6
	v_cmp_gt_u32_e32 vcc_lo, v41, v40
	s_and_b32 exec_lo, exec_lo, vcc_lo
	s_cbranch_execz .LBB2075_6
; %bb.2:
	s_clause 0x2
	s_load_b32 s2, s[0:1], 0x30
	s_load_b128 s[24:27], s[0:1], 0x20
	s_load_b256 s[16:23], s[0:1], 0x0
	s_add_nc_u64 s[12:13], s[0:1], 0x58
	s_wait_kmcnt 0x0
	s_bitcmp0_b32 s2, 0
	s_mov_b32 s2, -1
	s_cbranch_scc0 .LBB2075_4
; %bb.3:
	s_mov_b64 s[0:1], src_shared_base
	v_dual_mov_b32 v31, v0 :: v_dual_mov_b32 v42, v0
	v_dual_mov_b32 v0, s16 :: v_dual_mov_b32 v1, s17
	;; [unrolled: 1-line block ×6, first 2 shown]
	s_wait_alu 0xfffe
	v_dual_mov_b32 v10, 0 :: v_dual_mov_b32 v11, s1
	s_getpc_b64 s[2:3]
	s_wait_alu 0xfffe
	s_sext_i32_i16 s3, s3
	s_add_co_u32 s2, s2, _ZN7rocprim17ROCPRIM_400000_NS6detail26segmented_warp_sort_helperINS1_20WarpSortHelperConfigILj8ELj4ELj256EEE12hip_bfloat16lLi256ELb0EvE4sortIPKS5_PS5_PKlPlEEvT_T0_T1_T2_jjjjRNS6_12storage_typeE@rel32@lo+12
	s_wait_alu 0xfffe
	s_add_co_ci_u32 s3, s3, _ZN7rocprim17ROCPRIM_400000_NS6detail26segmented_warp_sort_helperINS1_20WarpSortHelperConfigILj8ELj4ELj256EEE12hip_bfloat16lLi256ELb0EvE4sortIPKS5_PS5_PKlPlEEvT_T0_T1_T2_jjjjRNS6_12storage_typeE@rel32@hi+24
	s_mov_b64 s[8:9], s[12:13]
	s_wait_alu 0xfffe
	s_swappc_b64 s[30:31], s[2:3]
	v_mov_b32_e32 v0, v42
	s_mov_b32 s2, 0
.LBB2075_4:
	s_wait_alu 0xfffe
	s_and_not1_b32 vcc_lo, exec_lo, s2
	s_wait_alu 0xfffe
	s_cbranch_vccnz .LBB2075_6
; %bb.5:
	s_mov_b64 s[0:1], src_shared_base
	v_dual_mov_b32 v31, v0 :: v_dual_mov_b32 v0, s16
	v_dual_mov_b32 v1, s17 :: v_dual_mov_b32 v2, s20
	;; [unrolled: 1-line block ×6, first 2 shown]
	s_wait_alu 0xfffe
	v_mov_b32_e32 v11, s1
	s_getpc_b64 s[2:3]
	s_wait_alu 0xfffe
	s_sext_i32_i16 s3, s3
	s_add_co_u32 s2, s2, _ZN7rocprim17ROCPRIM_400000_NS6detail26segmented_warp_sort_helperINS1_20WarpSortHelperConfigILj8ELj4ELj256EEE12hip_bfloat16lLi256ELb0EvE4sortIPKS5_PS5_PKlPlEEvT_T0_T1_T2_jjjjRNS6_12storage_typeE@rel32@lo+12
	s_wait_alu 0xfffe
	s_add_co_ci_u32 s3, s3, _ZN7rocprim17ROCPRIM_400000_NS6detail26segmented_warp_sort_helperINS1_20WarpSortHelperConfigILj8ELj4ELj256EEE12hip_bfloat16lLi256ELb0EvE4sortIPKS5_PS5_PKlPlEEvT_T0_T1_T2_jjjjRNS6_12storage_typeE@rel32@hi+24
	s_mov_b64 s[8:9], s[12:13]
	s_wait_alu 0xfffe
	s_swappc_b64 s[30:31], s[2:3]
.LBB2075_6:
	s_endpgm
	.section	.rodata,"a",@progbits
	.p2align	6, 0x0
	.amdhsa_kernel _ZN7rocprim17ROCPRIM_400000_NS6detail17trampoline_kernelINS0_14default_configENS1_36segmented_radix_sort_config_selectorI12hip_bfloat16lEEZNS1_25segmented_radix_sort_implIS3_Lb0EPKS5_PS5_PKlPlN2at6native12_GLOBAL__N_18offset_tEEE10hipError_tPvRmT1_PNSt15iterator_traitsISL_E10value_typeET2_T3_PNSM_ISR_E10value_typeET4_jRbjT5_SX_jjP12ihipStream_tbEUlT_E1_NS1_11comp_targetILNS1_3genE10ELNS1_11target_archE1201ELNS1_3gpuE5ELNS1_3repE0EEENS1_59segmented_radix_sort_warp_sort_small_config_static_selectorELNS0_4arch9wavefront6targetE0EEEvSL_
		.amdhsa_group_segment_fixed_size 10240
		.amdhsa_private_segment_fixed_size 0
		.amdhsa_kernarg_size 344
		.amdhsa_user_sgpr_count 2
		.amdhsa_user_sgpr_dispatch_ptr 0
		.amdhsa_user_sgpr_queue_ptr 0
		.amdhsa_user_sgpr_kernarg_segment_ptr 1
		.amdhsa_user_sgpr_dispatch_id 0
		.amdhsa_user_sgpr_private_segment_size 0
		.amdhsa_wavefront_size32 1
		.amdhsa_uses_dynamic_stack 0
		.amdhsa_enable_private_segment 0
		.amdhsa_system_sgpr_workgroup_id_x 1
		.amdhsa_system_sgpr_workgroup_id_y 1
		.amdhsa_system_sgpr_workgroup_id_z 0
		.amdhsa_system_sgpr_workgroup_info 0
		.amdhsa_system_vgpr_workitem_id 2
		.amdhsa_next_free_vgpr 56
		.amdhsa_next_free_sgpr 33
		.amdhsa_reserve_vcc 1
		.amdhsa_float_round_mode_32 0
		.amdhsa_float_round_mode_16_64 0
		.amdhsa_float_denorm_mode_32 3
		.amdhsa_float_denorm_mode_16_64 3
		.amdhsa_fp16_overflow 0
		.amdhsa_workgroup_processor_mode 1
		.amdhsa_memory_ordered 1
		.amdhsa_forward_progress 1
		.amdhsa_inst_pref_size 5
		.amdhsa_round_robin_scheduling 0
		.amdhsa_exception_fp_ieee_invalid_op 0
		.amdhsa_exception_fp_denorm_src 0
		.amdhsa_exception_fp_ieee_div_zero 0
		.amdhsa_exception_fp_ieee_overflow 0
		.amdhsa_exception_fp_ieee_underflow 0
		.amdhsa_exception_fp_ieee_inexact 0
		.amdhsa_exception_int_div_zero 0
	.end_amdhsa_kernel
	.section	.text._ZN7rocprim17ROCPRIM_400000_NS6detail17trampoline_kernelINS0_14default_configENS1_36segmented_radix_sort_config_selectorI12hip_bfloat16lEEZNS1_25segmented_radix_sort_implIS3_Lb0EPKS5_PS5_PKlPlN2at6native12_GLOBAL__N_18offset_tEEE10hipError_tPvRmT1_PNSt15iterator_traitsISL_E10value_typeET2_T3_PNSM_ISR_E10value_typeET4_jRbjT5_SX_jjP12ihipStream_tbEUlT_E1_NS1_11comp_targetILNS1_3genE10ELNS1_11target_archE1201ELNS1_3gpuE5ELNS1_3repE0EEENS1_59segmented_radix_sort_warp_sort_small_config_static_selectorELNS0_4arch9wavefront6targetE0EEEvSL_,"axG",@progbits,_ZN7rocprim17ROCPRIM_400000_NS6detail17trampoline_kernelINS0_14default_configENS1_36segmented_radix_sort_config_selectorI12hip_bfloat16lEEZNS1_25segmented_radix_sort_implIS3_Lb0EPKS5_PS5_PKlPlN2at6native12_GLOBAL__N_18offset_tEEE10hipError_tPvRmT1_PNSt15iterator_traitsISL_E10value_typeET2_T3_PNSM_ISR_E10value_typeET4_jRbjT5_SX_jjP12ihipStream_tbEUlT_E1_NS1_11comp_targetILNS1_3genE10ELNS1_11target_archE1201ELNS1_3gpuE5ELNS1_3repE0EEENS1_59segmented_radix_sort_warp_sort_small_config_static_selectorELNS0_4arch9wavefront6targetE0EEEvSL_,comdat
.Lfunc_end2075:
	.size	_ZN7rocprim17ROCPRIM_400000_NS6detail17trampoline_kernelINS0_14default_configENS1_36segmented_radix_sort_config_selectorI12hip_bfloat16lEEZNS1_25segmented_radix_sort_implIS3_Lb0EPKS5_PS5_PKlPlN2at6native12_GLOBAL__N_18offset_tEEE10hipError_tPvRmT1_PNSt15iterator_traitsISL_E10value_typeET2_T3_PNSM_ISR_E10value_typeET4_jRbjT5_SX_jjP12ihipStream_tbEUlT_E1_NS1_11comp_targetILNS1_3genE10ELNS1_11target_archE1201ELNS1_3gpuE5ELNS1_3repE0EEENS1_59segmented_radix_sort_warp_sort_small_config_static_selectorELNS0_4arch9wavefront6targetE0EEEvSL_, .Lfunc_end2075-_ZN7rocprim17ROCPRIM_400000_NS6detail17trampoline_kernelINS0_14default_configENS1_36segmented_radix_sort_config_selectorI12hip_bfloat16lEEZNS1_25segmented_radix_sort_implIS3_Lb0EPKS5_PS5_PKlPlN2at6native12_GLOBAL__N_18offset_tEEE10hipError_tPvRmT1_PNSt15iterator_traitsISL_E10value_typeET2_T3_PNSM_ISR_E10value_typeET4_jRbjT5_SX_jjP12ihipStream_tbEUlT_E1_NS1_11comp_targetILNS1_3genE10ELNS1_11target_archE1201ELNS1_3gpuE5ELNS1_3repE0EEENS1_59segmented_radix_sort_warp_sort_small_config_static_selectorELNS0_4arch9wavefront6targetE0EEEvSL_
                                        ; -- End function
	.set _ZN7rocprim17ROCPRIM_400000_NS6detail17trampoline_kernelINS0_14default_configENS1_36segmented_radix_sort_config_selectorI12hip_bfloat16lEEZNS1_25segmented_radix_sort_implIS3_Lb0EPKS5_PS5_PKlPlN2at6native12_GLOBAL__N_18offset_tEEE10hipError_tPvRmT1_PNSt15iterator_traitsISL_E10value_typeET2_T3_PNSM_ISR_E10value_typeET4_jRbjT5_SX_jjP12ihipStream_tbEUlT_E1_NS1_11comp_targetILNS1_3genE10ELNS1_11target_archE1201ELNS1_3gpuE5ELNS1_3repE0EEENS1_59segmented_radix_sort_warp_sort_small_config_static_selectorELNS0_4arch9wavefront6targetE0EEEvSL_.num_vgpr, max(43, .L_ZN7rocprim17ROCPRIM_400000_NS6detail26segmented_warp_sort_helperINS1_20WarpSortHelperConfigILj8ELj4ELj256EEE12hip_bfloat16lLi256ELb0EvE4sortIPKS5_PS5_PKlPlEEvT_T0_T1_T2_jjjjRNS6_12storage_typeE.num_vgpr)
	.set _ZN7rocprim17ROCPRIM_400000_NS6detail17trampoline_kernelINS0_14default_configENS1_36segmented_radix_sort_config_selectorI12hip_bfloat16lEEZNS1_25segmented_radix_sort_implIS3_Lb0EPKS5_PS5_PKlPlN2at6native12_GLOBAL__N_18offset_tEEE10hipError_tPvRmT1_PNSt15iterator_traitsISL_E10value_typeET2_T3_PNSM_ISR_E10value_typeET4_jRbjT5_SX_jjP12ihipStream_tbEUlT_E1_NS1_11comp_targetILNS1_3genE10ELNS1_11target_archE1201ELNS1_3gpuE5ELNS1_3repE0EEENS1_59segmented_radix_sort_warp_sort_small_config_static_selectorELNS0_4arch9wavefront6targetE0EEEvSL_.num_agpr, max(0, .L_ZN7rocprim17ROCPRIM_400000_NS6detail26segmented_warp_sort_helperINS1_20WarpSortHelperConfigILj8ELj4ELj256EEE12hip_bfloat16lLi256ELb0EvE4sortIPKS5_PS5_PKlPlEEvT_T0_T1_T2_jjjjRNS6_12storage_typeE.num_agpr)
	.set _ZN7rocprim17ROCPRIM_400000_NS6detail17trampoline_kernelINS0_14default_configENS1_36segmented_radix_sort_config_selectorI12hip_bfloat16lEEZNS1_25segmented_radix_sort_implIS3_Lb0EPKS5_PS5_PKlPlN2at6native12_GLOBAL__N_18offset_tEEE10hipError_tPvRmT1_PNSt15iterator_traitsISL_E10value_typeET2_T3_PNSM_ISR_E10value_typeET4_jRbjT5_SX_jjP12ihipStream_tbEUlT_E1_NS1_11comp_targetILNS1_3genE10ELNS1_11target_archE1201ELNS1_3gpuE5ELNS1_3repE0EEENS1_59segmented_radix_sort_warp_sort_small_config_static_selectorELNS0_4arch9wavefront6targetE0EEEvSL_.numbered_sgpr, max(33, .L_ZN7rocprim17ROCPRIM_400000_NS6detail26segmented_warp_sort_helperINS1_20WarpSortHelperConfigILj8ELj4ELj256EEE12hip_bfloat16lLi256ELb0EvE4sortIPKS5_PS5_PKlPlEEvT_T0_T1_T2_jjjjRNS6_12storage_typeE.numbered_sgpr)
	.set _ZN7rocprim17ROCPRIM_400000_NS6detail17trampoline_kernelINS0_14default_configENS1_36segmented_radix_sort_config_selectorI12hip_bfloat16lEEZNS1_25segmented_radix_sort_implIS3_Lb0EPKS5_PS5_PKlPlN2at6native12_GLOBAL__N_18offset_tEEE10hipError_tPvRmT1_PNSt15iterator_traitsISL_E10value_typeET2_T3_PNSM_ISR_E10value_typeET4_jRbjT5_SX_jjP12ihipStream_tbEUlT_E1_NS1_11comp_targetILNS1_3genE10ELNS1_11target_archE1201ELNS1_3gpuE5ELNS1_3repE0EEENS1_59segmented_radix_sort_warp_sort_small_config_static_selectorELNS0_4arch9wavefront6targetE0EEEvSL_.num_named_barrier, max(0, .L_ZN7rocprim17ROCPRIM_400000_NS6detail26segmented_warp_sort_helperINS1_20WarpSortHelperConfigILj8ELj4ELj256EEE12hip_bfloat16lLi256ELb0EvE4sortIPKS5_PS5_PKlPlEEvT_T0_T1_T2_jjjjRNS6_12storage_typeE.num_named_barrier)
	.set _ZN7rocprim17ROCPRIM_400000_NS6detail17trampoline_kernelINS0_14default_configENS1_36segmented_radix_sort_config_selectorI12hip_bfloat16lEEZNS1_25segmented_radix_sort_implIS3_Lb0EPKS5_PS5_PKlPlN2at6native12_GLOBAL__N_18offset_tEEE10hipError_tPvRmT1_PNSt15iterator_traitsISL_E10value_typeET2_T3_PNSM_ISR_E10value_typeET4_jRbjT5_SX_jjP12ihipStream_tbEUlT_E1_NS1_11comp_targetILNS1_3genE10ELNS1_11target_archE1201ELNS1_3gpuE5ELNS1_3repE0EEENS1_59segmented_radix_sort_warp_sort_small_config_static_selectorELNS0_4arch9wavefront6targetE0EEEvSL_.private_seg_size, 0+max(.L_ZN7rocprim17ROCPRIM_400000_NS6detail26segmented_warp_sort_helperINS1_20WarpSortHelperConfigILj8ELj4ELj256EEE12hip_bfloat16lLi256ELb0EvE4sortIPKS5_PS5_PKlPlEEvT_T0_T1_T2_jjjjRNS6_12storage_typeE.private_seg_size)
	.set _ZN7rocprim17ROCPRIM_400000_NS6detail17trampoline_kernelINS0_14default_configENS1_36segmented_radix_sort_config_selectorI12hip_bfloat16lEEZNS1_25segmented_radix_sort_implIS3_Lb0EPKS5_PS5_PKlPlN2at6native12_GLOBAL__N_18offset_tEEE10hipError_tPvRmT1_PNSt15iterator_traitsISL_E10value_typeET2_T3_PNSM_ISR_E10value_typeET4_jRbjT5_SX_jjP12ihipStream_tbEUlT_E1_NS1_11comp_targetILNS1_3genE10ELNS1_11target_archE1201ELNS1_3gpuE5ELNS1_3repE0EEENS1_59segmented_radix_sort_warp_sort_small_config_static_selectorELNS0_4arch9wavefront6targetE0EEEvSL_.uses_vcc, or(1, .L_ZN7rocprim17ROCPRIM_400000_NS6detail26segmented_warp_sort_helperINS1_20WarpSortHelperConfigILj8ELj4ELj256EEE12hip_bfloat16lLi256ELb0EvE4sortIPKS5_PS5_PKlPlEEvT_T0_T1_T2_jjjjRNS6_12storage_typeE.uses_vcc)
	.set _ZN7rocprim17ROCPRIM_400000_NS6detail17trampoline_kernelINS0_14default_configENS1_36segmented_radix_sort_config_selectorI12hip_bfloat16lEEZNS1_25segmented_radix_sort_implIS3_Lb0EPKS5_PS5_PKlPlN2at6native12_GLOBAL__N_18offset_tEEE10hipError_tPvRmT1_PNSt15iterator_traitsISL_E10value_typeET2_T3_PNSM_ISR_E10value_typeET4_jRbjT5_SX_jjP12ihipStream_tbEUlT_E1_NS1_11comp_targetILNS1_3genE10ELNS1_11target_archE1201ELNS1_3gpuE5ELNS1_3repE0EEENS1_59segmented_radix_sort_warp_sort_small_config_static_selectorELNS0_4arch9wavefront6targetE0EEEvSL_.uses_flat_scratch, or(0, .L_ZN7rocprim17ROCPRIM_400000_NS6detail26segmented_warp_sort_helperINS1_20WarpSortHelperConfigILj8ELj4ELj256EEE12hip_bfloat16lLi256ELb0EvE4sortIPKS5_PS5_PKlPlEEvT_T0_T1_T2_jjjjRNS6_12storage_typeE.uses_flat_scratch)
	.set _ZN7rocprim17ROCPRIM_400000_NS6detail17trampoline_kernelINS0_14default_configENS1_36segmented_radix_sort_config_selectorI12hip_bfloat16lEEZNS1_25segmented_radix_sort_implIS3_Lb0EPKS5_PS5_PKlPlN2at6native12_GLOBAL__N_18offset_tEEE10hipError_tPvRmT1_PNSt15iterator_traitsISL_E10value_typeET2_T3_PNSM_ISR_E10value_typeET4_jRbjT5_SX_jjP12ihipStream_tbEUlT_E1_NS1_11comp_targetILNS1_3genE10ELNS1_11target_archE1201ELNS1_3gpuE5ELNS1_3repE0EEENS1_59segmented_radix_sort_warp_sort_small_config_static_selectorELNS0_4arch9wavefront6targetE0EEEvSL_.has_dyn_sized_stack, or(0, .L_ZN7rocprim17ROCPRIM_400000_NS6detail26segmented_warp_sort_helperINS1_20WarpSortHelperConfigILj8ELj4ELj256EEE12hip_bfloat16lLi256ELb0EvE4sortIPKS5_PS5_PKlPlEEvT_T0_T1_T2_jjjjRNS6_12storage_typeE.has_dyn_sized_stack)
	.set _ZN7rocprim17ROCPRIM_400000_NS6detail17trampoline_kernelINS0_14default_configENS1_36segmented_radix_sort_config_selectorI12hip_bfloat16lEEZNS1_25segmented_radix_sort_implIS3_Lb0EPKS5_PS5_PKlPlN2at6native12_GLOBAL__N_18offset_tEEE10hipError_tPvRmT1_PNSt15iterator_traitsISL_E10value_typeET2_T3_PNSM_ISR_E10value_typeET4_jRbjT5_SX_jjP12ihipStream_tbEUlT_E1_NS1_11comp_targetILNS1_3genE10ELNS1_11target_archE1201ELNS1_3gpuE5ELNS1_3repE0EEENS1_59segmented_radix_sort_warp_sort_small_config_static_selectorELNS0_4arch9wavefront6targetE0EEEvSL_.has_recursion, or(0, .L_ZN7rocprim17ROCPRIM_400000_NS6detail26segmented_warp_sort_helperINS1_20WarpSortHelperConfigILj8ELj4ELj256EEE12hip_bfloat16lLi256ELb0EvE4sortIPKS5_PS5_PKlPlEEvT_T0_T1_T2_jjjjRNS6_12storage_typeE.has_recursion)
	.set _ZN7rocprim17ROCPRIM_400000_NS6detail17trampoline_kernelINS0_14default_configENS1_36segmented_radix_sort_config_selectorI12hip_bfloat16lEEZNS1_25segmented_radix_sort_implIS3_Lb0EPKS5_PS5_PKlPlN2at6native12_GLOBAL__N_18offset_tEEE10hipError_tPvRmT1_PNSt15iterator_traitsISL_E10value_typeET2_T3_PNSM_ISR_E10value_typeET4_jRbjT5_SX_jjP12ihipStream_tbEUlT_E1_NS1_11comp_targetILNS1_3genE10ELNS1_11target_archE1201ELNS1_3gpuE5ELNS1_3repE0EEENS1_59segmented_radix_sort_warp_sort_small_config_static_selectorELNS0_4arch9wavefront6targetE0EEEvSL_.has_indirect_call, or(0, .L_ZN7rocprim17ROCPRIM_400000_NS6detail26segmented_warp_sort_helperINS1_20WarpSortHelperConfigILj8ELj4ELj256EEE12hip_bfloat16lLi256ELb0EvE4sortIPKS5_PS5_PKlPlEEvT_T0_T1_T2_jjjjRNS6_12storage_typeE.has_indirect_call)
	.section	.AMDGPU.csdata,"",@progbits
; Kernel info:
; codeLenInByte = 520
; TotalNumSgprs: 35
; NumVgprs: 56
; ScratchSize: 0
; MemoryBound: 0
; FloatMode: 240
; IeeeMode: 1
; LDSByteSize: 10240 bytes/workgroup (compile time only)
; SGPRBlocks: 0
; VGPRBlocks: 6
; NumSGPRsForWavesPerEU: 35
; NumVGPRsForWavesPerEU: 56
; Occupancy: 16
; WaveLimiterHint : 0
; COMPUTE_PGM_RSRC2:SCRATCH_EN: 0
; COMPUTE_PGM_RSRC2:USER_SGPR: 2
; COMPUTE_PGM_RSRC2:TRAP_HANDLER: 0
; COMPUTE_PGM_RSRC2:TGID_X_EN: 1
; COMPUTE_PGM_RSRC2:TGID_Y_EN: 1
; COMPUTE_PGM_RSRC2:TGID_Z_EN: 0
; COMPUTE_PGM_RSRC2:TIDIG_COMP_CNT: 2
	.section	.text._ZN7rocprim17ROCPRIM_400000_NS6detail17trampoline_kernelINS0_14default_configENS1_36segmented_radix_sort_config_selectorI12hip_bfloat16lEEZNS1_25segmented_radix_sort_implIS3_Lb0EPKS5_PS5_PKlPlN2at6native12_GLOBAL__N_18offset_tEEE10hipError_tPvRmT1_PNSt15iterator_traitsISL_E10value_typeET2_T3_PNSM_ISR_E10value_typeET4_jRbjT5_SX_jjP12ihipStream_tbEUlT_E1_NS1_11comp_targetILNS1_3genE10ELNS1_11target_archE1200ELNS1_3gpuE4ELNS1_3repE0EEENS1_59segmented_radix_sort_warp_sort_small_config_static_selectorELNS0_4arch9wavefront6targetE0EEEvSL_,"axG",@progbits,_ZN7rocprim17ROCPRIM_400000_NS6detail17trampoline_kernelINS0_14default_configENS1_36segmented_radix_sort_config_selectorI12hip_bfloat16lEEZNS1_25segmented_radix_sort_implIS3_Lb0EPKS5_PS5_PKlPlN2at6native12_GLOBAL__N_18offset_tEEE10hipError_tPvRmT1_PNSt15iterator_traitsISL_E10value_typeET2_T3_PNSM_ISR_E10value_typeET4_jRbjT5_SX_jjP12ihipStream_tbEUlT_E1_NS1_11comp_targetILNS1_3genE10ELNS1_11target_archE1200ELNS1_3gpuE4ELNS1_3repE0EEENS1_59segmented_radix_sort_warp_sort_small_config_static_selectorELNS0_4arch9wavefront6targetE0EEEvSL_,comdat
	.globl	_ZN7rocprim17ROCPRIM_400000_NS6detail17trampoline_kernelINS0_14default_configENS1_36segmented_radix_sort_config_selectorI12hip_bfloat16lEEZNS1_25segmented_radix_sort_implIS3_Lb0EPKS5_PS5_PKlPlN2at6native12_GLOBAL__N_18offset_tEEE10hipError_tPvRmT1_PNSt15iterator_traitsISL_E10value_typeET2_T3_PNSM_ISR_E10value_typeET4_jRbjT5_SX_jjP12ihipStream_tbEUlT_E1_NS1_11comp_targetILNS1_3genE10ELNS1_11target_archE1200ELNS1_3gpuE4ELNS1_3repE0EEENS1_59segmented_radix_sort_warp_sort_small_config_static_selectorELNS0_4arch9wavefront6targetE0EEEvSL_ ; -- Begin function _ZN7rocprim17ROCPRIM_400000_NS6detail17trampoline_kernelINS0_14default_configENS1_36segmented_radix_sort_config_selectorI12hip_bfloat16lEEZNS1_25segmented_radix_sort_implIS3_Lb0EPKS5_PS5_PKlPlN2at6native12_GLOBAL__N_18offset_tEEE10hipError_tPvRmT1_PNSt15iterator_traitsISL_E10value_typeET2_T3_PNSM_ISR_E10value_typeET4_jRbjT5_SX_jjP12ihipStream_tbEUlT_E1_NS1_11comp_targetILNS1_3genE10ELNS1_11target_archE1200ELNS1_3gpuE4ELNS1_3repE0EEENS1_59segmented_radix_sort_warp_sort_small_config_static_selectorELNS0_4arch9wavefront6targetE0EEEvSL_
	.p2align	8
	.type	_ZN7rocprim17ROCPRIM_400000_NS6detail17trampoline_kernelINS0_14default_configENS1_36segmented_radix_sort_config_selectorI12hip_bfloat16lEEZNS1_25segmented_radix_sort_implIS3_Lb0EPKS5_PS5_PKlPlN2at6native12_GLOBAL__N_18offset_tEEE10hipError_tPvRmT1_PNSt15iterator_traitsISL_E10value_typeET2_T3_PNSM_ISR_E10value_typeET4_jRbjT5_SX_jjP12ihipStream_tbEUlT_E1_NS1_11comp_targetILNS1_3genE10ELNS1_11target_archE1200ELNS1_3gpuE4ELNS1_3repE0EEENS1_59segmented_radix_sort_warp_sort_small_config_static_selectorELNS0_4arch9wavefront6targetE0EEEvSL_,@function
_ZN7rocprim17ROCPRIM_400000_NS6detail17trampoline_kernelINS0_14default_configENS1_36segmented_radix_sort_config_selectorI12hip_bfloat16lEEZNS1_25segmented_radix_sort_implIS3_Lb0EPKS5_PS5_PKlPlN2at6native12_GLOBAL__N_18offset_tEEE10hipError_tPvRmT1_PNSt15iterator_traitsISL_E10value_typeET2_T3_PNSM_ISR_E10value_typeET4_jRbjT5_SX_jjP12ihipStream_tbEUlT_E1_NS1_11comp_targetILNS1_3genE10ELNS1_11target_archE1200ELNS1_3gpuE4ELNS1_3repE0EEENS1_59segmented_radix_sort_warp_sort_small_config_static_selectorELNS0_4arch9wavefront6targetE0EEEvSL_: ; @_ZN7rocprim17ROCPRIM_400000_NS6detail17trampoline_kernelINS0_14default_configENS1_36segmented_radix_sort_config_selectorI12hip_bfloat16lEEZNS1_25segmented_radix_sort_implIS3_Lb0EPKS5_PS5_PKlPlN2at6native12_GLOBAL__N_18offset_tEEE10hipError_tPvRmT1_PNSt15iterator_traitsISL_E10value_typeET2_T3_PNSM_ISR_E10value_typeET4_jRbjT5_SX_jjP12ihipStream_tbEUlT_E1_NS1_11comp_targetILNS1_3genE10ELNS1_11target_archE1200ELNS1_3gpuE4ELNS1_3repE0EEENS1_59segmented_radix_sort_warp_sort_small_config_static_selectorELNS0_4arch9wavefront6targetE0EEEvSL_
; %bb.0:
	.section	.rodata,"a",@progbits
	.p2align	6, 0x0
	.amdhsa_kernel _ZN7rocprim17ROCPRIM_400000_NS6detail17trampoline_kernelINS0_14default_configENS1_36segmented_radix_sort_config_selectorI12hip_bfloat16lEEZNS1_25segmented_radix_sort_implIS3_Lb0EPKS5_PS5_PKlPlN2at6native12_GLOBAL__N_18offset_tEEE10hipError_tPvRmT1_PNSt15iterator_traitsISL_E10value_typeET2_T3_PNSM_ISR_E10value_typeET4_jRbjT5_SX_jjP12ihipStream_tbEUlT_E1_NS1_11comp_targetILNS1_3genE10ELNS1_11target_archE1200ELNS1_3gpuE4ELNS1_3repE0EEENS1_59segmented_radix_sort_warp_sort_small_config_static_selectorELNS0_4arch9wavefront6targetE0EEEvSL_
		.amdhsa_group_segment_fixed_size 0
		.amdhsa_private_segment_fixed_size 0
		.amdhsa_kernarg_size 88
		.amdhsa_user_sgpr_count 2
		.amdhsa_user_sgpr_dispatch_ptr 0
		.amdhsa_user_sgpr_queue_ptr 0
		.amdhsa_user_sgpr_kernarg_segment_ptr 1
		.amdhsa_user_sgpr_dispatch_id 0
		.amdhsa_user_sgpr_private_segment_size 0
		.amdhsa_wavefront_size32 1
		.amdhsa_uses_dynamic_stack 0
		.amdhsa_enable_private_segment 0
		.amdhsa_system_sgpr_workgroup_id_x 1
		.amdhsa_system_sgpr_workgroup_id_y 0
		.amdhsa_system_sgpr_workgroup_id_z 0
		.amdhsa_system_sgpr_workgroup_info 0
		.amdhsa_system_vgpr_workitem_id 0
		.amdhsa_next_free_vgpr 1
		.amdhsa_next_free_sgpr 1
		.amdhsa_reserve_vcc 0
		.amdhsa_float_round_mode_32 0
		.amdhsa_float_round_mode_16_64 0
		.amdhsa_float_denorm_mode_32 3
		.amdhsa_float_denorm_mode_16_64 3
		.amdhsa_fp16_overflow 0
		.amdhsa_workgroup_processor_mode 1
		.amdhsa_memory_ordered 1
		.amdhsa_forward_progress 1
		.amdhsa_inst_pref_size 0
		.amdhsa_round_robin_scheduling 0
		.amdhsa_exception_fp_ieee_invalid_op 0
		.amdhsa_exception_fp_denorm_src 0
		.amdhsa_exception_fp_ieee_div_zero 0
		.amdhsa_exception_fp_ieee_overflow 0
		.amdhsa_exception_fp_ieee_underflow 0
		.amdhsa_exception_fp_ieee_inexact 0
		.amdhsa_exception_int_div_zero 0
	.end_amdhsa_kernel
	.section	.text._ZN7rocprim17ROCPRIM_400000_NS6detail17trampoline_kernelINS0_14default_configENS1_36segmented_radix_sort_config_selectorI12hip_bfloat16lEEZNS1_25segmented_radix_sort_implIS3_Lb0EPKS5_PS5_PKlPlN2at6native12_GLOBAL__N_18offset_tEEE10hipError_tPvRmT1_PNSt15iterator_traitsISL_E10value_typeET2_T3_PNSM_ISR_E10value_typeET4_jRbjT5_SX_jjP12ihipStream_tbEUlT_E1_NS1_11comp_targetILNS1_3genE10ELNS1_11target_archE1200ELNS1_3gpuE4ELNS1_3repE0EEENS1_59segmented_radix_sort_warp_sort_small_config_static_selectorELNS0_4arch9wavefront6targetE0EEEvSL_,"axG",@progbits,_ZN7rocprim17ROCPRIM_400000_NS6detail17trampoline_kernelINS0_14default_configENS1_36segmented_radix_sort_config_selectorI12hip_bfloat16lEEZNS1_25segmented_radix_sort_implIS3_Lb0EPKS5_PS5_PKlPlN2at6native12_GLOBAL__N_18offset_tEEE10hipError_tPvRmT1_PNSt15iterator_traitsISL_E10value_typeET2_T3_PNSM_ISR_E10value_typeET4_jRbjT5_SX_jjP12ihipStream_tbEUlT_E1_NS1_11comp_targetILNS1_3genE10ELNS1_11target_archE1200ELNS1_3gpuE4ELNS1_3repE0EEENS1_59segmented_radix_sort_warp_sort_small_config_static_selectorELNS0_4arch9wavefront6targetE0EEEvSL_,comdat
.Lfunc_end2076:
	.size	_ZN7rocprim17ROCPRIM_400000_NS6detail17trampoline_kernelINS0_14default_configENS1_36segmented_radix_sort_config_selectorI12hip_bfloat16lEEZNS1_25segmented_radix_sort_implIS3_Lb0EPKS5_PS5_PKlPlN2at6native12_GLOBAL__N_18offset_tEEE10hipError_tPvRmT1_PNSt15iterator_traitsISL_E10value_typeET2_T3_PNSM_ISR_E10value_typeET4_jRbjT5_SX_jjP12ihipStream_tbEUlT_E1_NS1_11comp_targetILNS1_3genE10ELNS1_11target_archE1200ELNS1_3gpuE4ELNS1_3repE0EEENS1_59segmented_radix_sort_warp_sort_small_config_static_selectorELNS0_4arch9wavefront6targetE0EEEvSL_, .Lfunc_end2076-_ZN7rocprim17ROCPRIM_400000_NS6detail17trampoline_kernelINS0_14default_configENS1_36segmented_radix_sort_config_selectorI12hip_bfloat16lEEZNS1_25segmented_radix_sort_implIS3_Lb0EPKS5_PS5_PKlPlN2at6native12_GLOBAL__N_18offset_tEEE10hipError_tPvRmT1_PNSt15iterator_traitsISL_E10value_typeET2_T3_PNSM_ISR_E10value_typeET4_jRbjT5_SX_jjP12ihipStream_tbEUlT_E1_NS1_11comp_targetILNS1_3genE10ELNS1_11target_archE1200ELNS1_3gpuE4ELNS1_3repE0EEENS1_59segmented_radix_sort_warp_sort_small_config_static_selectorELNS0_4arch9wavefront6targetE0EEEvSL_
                                        ; -- End function
	.set _ZN7rocprim17ROCPRIM_400000_NS6detail17trampoline_kernelINS0_14default_configENS1_36segmented_radix_sort_config_selectorI12hip_bfloat16lEEZNS1_25segmented_radix_sort_implIS3_Lb0EPKS5_PS5_PKlPlN2at6native12_GLOBAL__N_18offset_tEEE10hipError_tPvRmT1_PNSt15iterator_traitsISL_E10value_typeET2_T3_PNSM_ISR_E10value_typeET4_jRbjT5_SX_jjP12ihipStream_tbEUlT_E1_NS1_11comp_targetILNS1_3genE10ELNS1_11target_archE1200ELNS1_3gpuE4ELNS1_3repE0EEENS1_59segmented_radix_sort_warp_sort_small_config_static_selectorELNS0_4arch9wavefront6targetE0EEEvSL_.num_vgpr, 0
	.set _ZN7rocprim17ROCPRIM_400000_NS6detail17trampoline_kernelINS0_14default_configENS1_36segmented_radix_sort_config_selectorI12hip_bfloat16lEEZNS1_25segmented_radix_sort_implIS3_Lb0EPKS5_PS5_PKlPlN2at6native12_GLOBAL__N_18offset_tEEE10hipError_tPvRmT1_PNSt15iterator_traitsISL_E10value_typeET2_T3_PNSM_ISR_E10value_typeET4_jRbjT5_SX_jjP12ihipStream_tbEUlT_E1_NS1_11comp_targetILNS1_3genE10ELNS1_11target_archE1200ELNS1_3gpuE4ELNS1_3repE0EEENS1_59segmented_radix_sort_warp_sort_small_config_static_selectorELNS0_4arch9wavefront6targetE0EEEvSL_.num_agpr, 0
	.set _ZN7rocprim17ROCPRIM_400000_NS6detail17trampoline_kernelINS0_14default_configENS1_36segmented_radix_sort_config_selectorI12hip_bfloat16lEEZNS1_25segmented_radix_sort_implIS3_Lb0EPKS5_PS5_PKlPlN2at6native12_GLOBAL__N_18offset_tEEE10hipError_tPvRmT1_PNSt15iterator_traitsISL_E10value_typeET2_T3_PNSM_ISR_E10value_typeET4_jRbjT5_SX_jjP12ihipStream_tbEUlT_E1_NS1_11comp_targetILNS1_3genE10ELNS1_11target_archE1200ELNS1_3gpuE4ELNS1_3repE0EEENS1_59segmented_radix_sort_warp_sort_small_config_static_selectorELNS0_4arch9wavefront6targetE0EEEvSL_.numbered_sgpr, 0
	.set _ZN7rocprim17ROCPRIM_400000_NS6detail17trampoline_kernelINS0_14default_configENS1_36segmented_radix_sort_config_selectorI12hip_bfloat16lEEZNS1_25segmented_radix_sort_implIS3_Lb0EPKS5_PS5_PKlPlN2at6native12_GLOBAL__N_18offset_tEEE10hipError_tPvRmT1_PNSt15iterator_traitsISL_E10value_typeET2_T3_PNSM_ISR_E10value_typeET4_jRbjT5_SX_jjP12ihipStream_tbEUlT_E1_NS1_11comp_targetILNS1_3genE10ELNS1_11target_archE1200ELNS1_3gpuE4ELNS1_3repE0EEENS1_59segmented_radix_sort_warp_sort_small_config_static_selectorELNS0_4arch9wavefront6targetE0EEEvSL_.num_named_barrier, 0
	.set _ZN7rocprim17ROCPRIM_400000_NS6detail17trampoline_kernelINS0_14default_configENS1_36segmented_radix_sort_config_selectorI12hip_bfloat16lEEZNS1_25segmented_radix_sort_implIS3_Lb0EPKS5_PS5_PKlPlN2at6native12_GLOBAL__N_18offset_tEEE10hipError_tPvRmT1_PNSt15iterator_traitsISL_E10value_typeET2_T3_PNSM_ISR_E10value_typeET4_jRbjT5_SX_jjP12ihipStream_tbEUlT_E1_NS1_11comp_targetILNS1_3genE10ELNS1_11target_archE1200ELNS1_3gpuE4ELNS1_3repE0EEENS1_59segmented_radix_sort_warp_sort_small_config_static_selectorELNS0_4arch9wavefront6targetE0EEEvSL_.private_seg_size, 0
	.set _ZN7rocprim17ROCPRIM_400000_NS6detail17trampoline_kernelINS0_14default_configENS1_36segmented_radix_sort_config_selectorI12hip_bfloat16lEEZNS1_25segmented_radix_sort_implIS3_Lb0EPKS5_PS5_PKlPlN2at6native12_GLOBAL__N_18offset_tEEE10hipError_tPvRmT1_PNSt15iterator_traitsISL_E10value_typeET2_T3_PNSM_ISR_E10value_typeET4_jRbjT5_SX_jjP12ihipStream_tbEUlT_E1_NS1_11comp_targetILNS1_3genE10ELNS1_11target_archE1200ELNS1_3gpuE4ELNS1_3repE0EEENS1_59segmented_radix_sort_warp_sort_small_config_static_selectorELNS0_4arch9wavefront6targetE0EEEvSL_.uses_vcc, 0
	.set _ZN7rocprim17ROCPRIM_400000_NS6detail17trampoline_kernelINS0_14default_configENS1_36segmented_radix_sort_config_selectorI12hip_bfloat16lEEZNS1_25segmented_radix_sort_implIS3_Lb0EPKS5_PS5_PKlPlN2at6native12_GLOBAL__N_18offset_tEEE10hipError_tPvRmT1_PNSt15iterator_traitsISL_E10value_typeET2_T3_PNSM_ISR_E10value_typeET4_jRbjT5_SX_jjP12ihipStream_tbEUlT_E1_NS1_11comp_targetILNS1_3genE10ELNS1_11target_archE1200ELNS1_3gpuE4ELNS1_3repE0EEENS1_59segmented_radix_sort_warp_sort_small_config_static_selectorELNS0_4arch9wavefront6targetE0EEEvSL_.uses_flat_scratch, 0
	.set _ZN7rocprim17ROCPRIM_400000_NS6detail17trampoline_kernelINS0_14default_configENS1_36segmented_radix_sort_config_selectorI12hip_bfloat16lEEZNS1_25segmented_radix_sort_implIS3_Lb0EPKS5_PS5_PKlPlN2at6native12_GLOBAL__N_18offset_tEEE10hipError_tPvRmT1_PNSt15iterator_traitsISL_E10value_typeET2_T3_PNSM_ISR_E10value_typeET4_jRbjT5_SX_jjP12ihipStream_tbEUlT_E1_NS1_11comp_targetILNS1_3genE10ELNS1_11target_archE1200ELNS1_3gpuE4ELNS1_3repE0EEENS1_59segmented_radix_sort_warp_sort_small_config_static_selectorELNS0_4arch9wavefront6targetE0EEEvSL_.has_dyn_sized_stack, 0
	.set _ZN7rocprim17ROCPRIM_400000_NS6detail17trampoline_kernelINS0_14default_configENS1_36segmented_radix_sort_config_selectorI12hip_bfloat16lEEZNS1_25segmented_radix_sort_implIS3_Lb0EPKS5_PS5_PKlPlN2at6native12_GLOBAL__N_18offset_tEEE10hipError_tPvRmT1_PNSt15iterator_traitsISL_E10value_typeET2_T3_PNSM_ISR_E10value_typeET4_jRbjT5_SX_jjP12ihipStream_tbEUlT_E1_NS1_11comp_targetILNS1_3genE10ELNS1_11target_archE1200ELNS1_3gpuE4ELNS1_3repE0EEENS1_59segmented_radix_sort_warp_sort_small_config_static_selectorELNS0_4arch9wavefront6targetE0EEEvSL_.has_recursion, 0
	.set _ZN7rocprim17ROCPRIM_400000_NS6detail17trampoline_kernelINS0_14default_configENS1_36segmented_radix_sort_config_selectorI12hip_bfloat16lEEZNS1_25segmented_radix_sort_implIS3_Lb0EPKS5_PS5_PKlPlN2at6native12_GLOBAL__N_18offset_tEEE10hipError_tPvRmT1_PNSt15iterator_traitsISL_E10value_typeET2_T3_PNSM_ISR_E10value_typeET4_jRbjT5_SX_jjP12ihipStream_tbEUlT_E1_NS1_11comp_targetILNS1_3genE10ELNS1_11target_archE1200ELNS1_3gpuE4ELNS1_3repE0EEENS1_59segmented_radix_sort_warp_sort_small_config_static_selectorELNS0_4arch9wavefront6targetE0EEEvSL_.has_indirect_call, 0
	.section	.AMDGPU.csdata,"",@progbits
; Kernel info:
; codeLenInByte = 0
; TotalNumSgprs: 0
; NumVgprs: 0
; ScratchSize: 0
; MemoryBound: 0
; FloatMode: 240
; IeeeMode: 1
; LDSByteSize: 0 bytes/workgroup (compile time only)
; SGPRBlocks: 0
; VGPRBlocks: 0
; NumSGPRsForWavesPerEU: 1
; NumVGPRsForWavesPerEU: 1
; Occupancy: 16
; WaveLimiterHint : 0
; COMPUTE_PGM_RSRC2:SCRATCH_EN: 0
; COMPUTE_PGM_RSRC2:USER_SGPR: 2
; COMPUTE_PGM_RSRC2:TRAP_HANDLER: 0
; COMPUTE_PGM_RSRC2:TGID_X_EN: 1
; COMPUTE_PGM_RSRC2:TGID_Y_EN: 0
; COMPUTE_PGM_RSRC2:TGID_Z_EN: 0
; COMPUTE_PGM_RSRC2:TIDIG_COMP_CNT: 0
	.section	.text._ZN7rocprim17ROCPRIM_400000_NS6detail17trampoline_kernelINS0_14default_configENS1_36segmented_radix_sort_config_selectorI12hip_bfloat16lEEZNS1_25segmented_radix_sort_implIS3_Lb0EPKS5_PS5_PKlPlN2at6native12_GLOBAL__N_18offset_tEEE10hipError_tPvRmT1_PNSt15iterator_traitsISL_E10value_typeET2_T3_PNSM_ISR_E10value_typeET4_jRbjT5_SX_jjP12ihipStream_tbEUlT_E1_NS1_11comp_targetILNS1_3genE9ELNS1_11target_archE1100ELNS1_3gpuE3ELNS1_3repE0EEENS1_59segmented_radix_sort_warp_sort_small_config_static_selectorELNS0_4arch9wavefront6targetE0EEEvSL_,"axG",@progbits,_ZN7rocprim17ROCPRIM_400000_NS6detail17trampoline_kernelINS0_14default_configENS1_36segmented_radix_sort_config_selectorI12hip_bfloat16lEEZNS1_25segmented_radix_sort_implIS3_Lb0EPKS5_PS5_PKlPlN2at6native12_GLOBAL__N_18offset_tEEE10hipError_tPvRmT1_PNSt15iterator_traitsISL_E10value_typeET2_T3_PNSM_ISR_E10value_typeET4_jRbjT5_SX_jjP12ihipStream_tbEUlT_E1_NS1_11comp_targetILNS1_3genE9ELNS1_11target_archE1100ELNS1_3gpuE3ELNS1_3repE0EEENS1_59segmented_radix_sort_warp_sort_small_config_static_selectorELNS0_4arch9wavefront6targetE0EEEvSL_,comdat
	.globl	_ZN7rocprim17ROCPRIM_400000_NS6detail17trampoline_kernelINS0_14default_configENS1_36segmented_radix_sort_config_selectorI12hip_bfloat16lEEZNS1_25segmented_radix_sort_implIS3_Lb0EPKS5_PS5_PKlPlN2at6native12_GLOBAL__N_18offset_tEEE10hipError_tPvRmT1_PNSt15iterator_traitsISL_E10value_typeET2_T3_PNSM_ISR_E10value_typeET4_jRbjT5_SX_jjP12ihipStream_tbEUlT_E1_NS1_11comp_targetILNS1_3genE9ELNS1_11target_archE1100ELNS1_3gpuE3ELNS1_3repE0EEENS1_59segmented_radix_sort_warp_sort_small_config_static_selectorELNS0_4arch9wavefront6targetE0EEEvSL_ ; -- Begin function _ZN7rocprim17ROCPRIM_400000_NS6detail17trampoline_kernelINS0_14default_configENS1_36segmented_radix_sort_config_selectorI12hip_bfloat16lEEZNS1_25segmented_radix_sort_implIS3_Lb0EPKS5_PS5_PKlPlN2at6native12_GLOBAL__N_18offset_tEEE10hipError_tPvRmT1_PNSt15iterator_traitsISL_E10value_typeET2_T3_PNSM_ISR_E10value_typeET4_jRbjT5_SX_jjP12ihipStream_tbEUlT_E1_NS1_11comp_targetILNS1_3genE9ELNS1_11target_archE1100ELNS1_3gpuE3ELNS1_3repE0EEENS1_59segmented_radix_sort_warp_sort_small_config_static_selectorELNS0_4arch9wavefront6targetE0EEEvSL_
	.p2align	8
	.type	_ZN7rocprim17ROCPRIM_400000_NS6detail17trampoline_kernelINS0_14default_configENS1_36segmented_radix_sort_config_selectorI12hip_bfloat16lEEZNS1_25segmented_radix_sort_implIS3_Lb0EPKS5_PS5_PKlPlN2at6native12_GLOBAL__N_18offset_tEEE10hipError_tPvRmT1_PNSt15iterator_traitsISL_E10value_typeET2_T3_PNSM_ISR_E10value_typeET4_jRbjT5_SX_jjP12ihipStream_tbEUlT_E1_NS1_11comp_targetILNS1_3genE9ELNS1_11target_archE1100ELNS1_3gpuE3ELNS1_3repE0EEENS1_59segmented_radix_sort_warp_sort_small_config_static_selectorELNS0_4arch9wavefront6targetE0EEEvSL_,@function
_ZN7rocprim17ROCPRIM_400000_NS6detail17trampoline_kernelINS0_14default_configENS1_36segmented_radix_sort_config_selectorI12hip_bfloat16lEEZNS1_25segmented_radix_sort_implIS3_Lb0EPKS5_PS5_PKlPlN2at6native12_GLOBAL__N_18offset_tEEE10hipError_tPvRmT1_PNSt15iterator_traitsISL_E10value_typeET2_T3_PNSM_ISR_E10value_typeET4_jRbjT5_SX_jjP12ihipStream_tbEUlT_E1_NS1_11comp_targetILNS1_3genE9ELNS1_11target_archE1100ELNS1_3gpuE3ELNS1_3repE0EEENS1_59segmented_radix_sort_warp_sort_small_config_static_selectorELNS0_4arch9wavefront6targetE0EEEvSL_: ; @_ZN7rocprim17ROCPRIM_400000_NS6detail17trampoline_kernelINS0_14default_configENS1_36segmented_radix_sort_config_selectorI12hip_bfloat16lEEZNS1_25segmented_radix_sort_implIS3_Lb0EPKS5_PS5_PKlPlN2at6native12_GLOBAL__N_18offset_tEEE10hipError_tPvRmT1_PNSt15iterator_traitsISL_E10value_typeET2_T3_PNSM_ISR_E10value_typeET4_jRbjT5_SX_jjP12ihipStream_tbEUlT_E1_NS1_11comp_targetILNS1_3genE9ELNS1_11target_archE1100ELNS1_3gpuE3ELNS1_3repE0EEENS1_59segmented_radix_sort_warp_sort_small_config_static_selectorELNS0_4arch9wavefront6targetE0EEEvSL_
; %bb.0:
	.section	.rodata,"a",@progbits
	.p2align	6, 0x0
	.amdhsa_kernel _ZN7rocprim17ROCPRIM_400000_NS6detail17trampoline_kernelINS0_14default_configENS1_36segmented_radix_sort_config_selectorI12hip_bfloat16lEEZNS1_25segmented_radix_sort_implIS3_Lb0EPKS5_PS5_PKlPlN2at6native12_GLOBAL__N_18offset_tEEE10hipError_tPvRmT1_PNSt15iterator_traitsISL_E10value_typeET2_T3_PNSM_ISR_E10value_typeET4_jRbjT5_SX_jjP12ihipStream_tbEUlT_E1_NS1_11comp_targetILNS1_3genE9ELNS1_11target_archE1100ELNS1_3gpuE3ELNS1_3repE0EEENS1_59segmented_radix_sort_warp_sort_small_config_static_selectorELNS0_4arch9wavefront6targetE0EEEvSL_
		.amdhsa_group_segment_fixed_size 0
		.amdhsa_private_segment_fixed_size 0
		.amdhsa_kernarg_size 88
		.amdhsa_user_sgpr_count 2
		.amdhsa_user_sgpr_dispatch_ptr 0
		.amdhsa_user_sgpr_queue_ptr 0
		.amdhsa_user_sgpr_kernarg_segment_ptr 1
		.amdhsa_user_sgpr_dispatch_id 0
		.amdhsa_user_sgpr_private_segment_size 0
		.amdhsa_wavefront_size32 1
		.amdhsa_uses_dynamic_stack 0
		.amdhsa_enable_private_segment 0
		.amdhsa_system_sgpr_workgroup_id_x 1
		.amdhsa_system_sgpr_workgroup_id_y 0
		.amdhsa_system_sgpr_workgroup_id_z 0
		.amdhsa_system_sgpr_workgroup_info 0
		.amdhsa_system_vgpr_workitem_id 0
		.amdhsa_next_free_vgpr 1
		.amdhsa_next_free_sgpr 1
		.amdhsa_reserve_vcc 0
		.amdhsa_float_round_mode_32 0
		.amdhsa_float_round_mode_16_64 0
		.amdhsa_float_denorm_mode_32 3
		.amdhsa_float_denorm_mode_16_64 3
		.amdhsa_fp16_overflow 0
		.amdhsa_workgroup_processor_mode 1
		.amdhsa_memory_ordered 1
		.amdhsa_forward_progress 1
		.amdhsa_inst_pref_size 0
		.amdhsa_round_robin_scheduling 0
		.amdhsa_exception_fp_ieee_invalid_op 0
		.amdhsa_exception_fp_denorm_src 0
		.amdhsa_exception_fp_ieee_div_zero 0
		.amdhsa_exception_fp_ieee_overflow 0
		.amdhsa_exception_fp_ieee_underflow 0
		.amdhsa_exception_fp_ieee_inexact 0
		.amdhsa_exception_int_div_zero 0
	.end_amdhsa_kernel
	.section	.text._ZN7rocprim17ROCPRIM_400000_NS6detail17trampoline_kernelINS0_14default_configENS1_36segmented_radix_sort_config_selectorI12hip_bfloat16lEEZNS1_25segmented_radix_sort_implIS3_Lb0EPKS5_PS5_PKlPlN2at6native12_GLOBAL__N_18offset_tEEE10hipError_tPvRmT1_PNSt15iterator_traitsISL_E10value_typeET2_T3_PNSM_ISR_E10value_typeET4_jRbjT5_SX_jjP12ihipStream_tbEUlT_E1_NS1_11comp_targetILNS1_3genE9ELNS1_11target_archE1100ELNS1_3gpuE3ELNS1_3repE0EEENS1_59segmented_radix_sort_warp_sort_small_config_static_selectorELNS0_4arch9wavefront6targetE0EEEvSL_,"axG",@progbits,_ZN7rocprim17ROCPRIM_400000_NS6detail17trampoline_kernelINS0_14default_configENS1_36segmented_radix_sort_config_selectorI12hip_bfloat16lEEZNS1_25segmented_radix_sort_implIS3_Lb0EPKS5_PS5_PKlPlN2at6native12_GLOBAL__N_18offset_tEEE10hipError_tPvRmT1_PNSt15iterator_traitsISL_E10value_typeET2_T3_PNSM_ISR_E10value_typeET4_jRbjT5_SX_jjP12ihipStream_tbEUlT_E1_NS1_11comp_targetILNS1_3genE9ELNS1_11target_archE1100ELNS1_3gpuE3ELNS1_3repE0EEENS1_59segmented_radix_sort_warp_sort_small_config_static_selectorELNS0_4arch9wavefront6targetE0EEEvSL_,comdat
.Lfunc_end2077:
	.size	_ZN7rocprim17ROCPRIM_400000_NS6detail17trampoline_kernelINS0_14default_configENS1_36segmented_radix_sort_config_selectorI12hip_bfloat16lEEZNS1_25segmented_radix_sort_implIS3_Lb0EPKS5_PS5_PKlPlN2at6native12_GLOBAL__N_18offset_tEEE10hipError_tPvRmT1_PNSt15iterator_traitsISL_E10value_typeET2_T3_PNSM_ISR_E10value_typeET4_jRbjT5_SX_jjP12ihipStream_tbEUlT_E1_NS1_11comp_targetILNS1_3genE9ELNS1_11target_archE1100ELNS1_3gpuE3ELNS1_3repE0EEENS1_59segmented_radix_sort_warp_sort_small_config_static_selectorELNS0_4arch9wavefront6targetE0EEEvSL_, .Lfunc_end2077-_ZN7rocprim17ROCPRIM_400000_NS6detail17trampoline_kernelINS0_14default_configENS1_36segmented_radix_sort_config_selectorI12hip_bfloat16lEEZNS1_25segmented_radix_sort_implIS3_Lb0EPKS5_PS5_PKlPlN2at6native12_GLOBAL__N_18offset_tEEE10hipError_tPvRmT1_PNSt15iterator_traitsISL_E10value_typeET2_T3_PNSM_ISR_E10value_typeET4_jRbjT5_SX_jjP12ihipStream_tbEUlT_E1_NS1_11comp_targetILNS1_3genE9ELNS1_11target_archE1100ELNS1_3gpuE3ELNS1_3repE0EEENS1_59segmented_radix_sort_warp_sort_small_config_static_selectorELNS0_4arch9wavefront6targetE0EEEvSL_
                                        ; -- End function
	.set _ZN7rocprim17ROCPRIM_400000_NS6detail17trampoline_kernelINS0_14default_configENS1_36segmented_radix_sort_config_selectorI12hip_bfloat16lEEZNS1_25segmented_radix_sort_implIS3_Lb0EPKS5_PS5_PKlPlN2at6native12_GLOBAL__N_18offset_tEEE10hipError_tPvRmT1_PNSt15iterator_traitsISL_E10value_typeET2_T3_PNSM_ISR_E10value_typeET4_jRbjT5_SX_jjP12ihipStream_tbEUlT_E1_NS1_11comp_targetILNS1_3genE9ELNS1_11target_archE1100ELNS1_3gpuE3ELNS1_3repE0EEENS1_59segmented_radix_sort_warp_sort_small_config_static_selectorELNS0_4arch9wavefront6targetE0EEEvSL_.num_vgpr, 0
	.set _ZN7rocprim17ROCPRIM_400000_NS6detail17trampoline_kernelINS0_14default_configENS1_36segmented_radix_sort_config_selectorI12hip_bfloat16lEEZNS1_25segmented_radix_sort_implIS3_Lb0EPKS5_PS5_PKlPlN2at6native12_GLOBAL__N_18offset_tEEE10hipError_tPvRmT1_PNSt15iterator_traitsISL_E10value_typeET2_T3_PNSM_ISR_E10value_typeET4_jRbjT5_SX_jjP12ihipStream_tbEUlT_E1_NS1_11comp_targetILNS1_3genE9ELNS1_11target_archE1100ELNS1_3gpuE3ELNS1_3repE0EEENS1_59segmented_radix_sort_warp_sort_small_config_static_selectorELNS0_4arch9wavefront6targetE0EEEvSL_.num_agpr, 0
	.set _ZN7rocprim17ROCPRIM_400000_NS6detail17trampoline_kernelINS0_14default_configENS1_36segmented_radix_sort_config_selectorI12hip_bfloat16lEEZNS1_25segmented_radix_sort_implIS3_Lb0EPKS5_PS5_PKlPlN2at6native12_GLOBAL__N_18offset_tEEE10hipError_tPvRmT1_PNSt15iterator_traitsISL_E10value_typeET2_T3_PNSM_ISR_E10value_typeET4_jRbjT5_SX_jjP12ihipStream_tbEUlT_E1_NS1_11comp_targetILNS1_3genE9ELNS1_11target_archE1100ELNS1_3gpuE3ELNS1_3repE0EEENS1_59segmented_radix_sort_warp_sort_small_config_static_selectorELNS0_4arch9wavefront6targetE0EEEvSL_.numbered_sgpr, 0
	.set _ZN7rocprim17ROCPRIM_400000_NS6detail17trampoline_kernelINS0_14default_configENS1_36segmented_radix_sort_config_selectorI12hip_bfloat16lEEZNS1_25segmented_radix_sort_implIS3_Lb0EPKS5_PS5_PKlPlN2at6native12_GLOBAL__N_18offset_tEEE10hipError_tPvRmT1_PNSt15iterator_traitsISL_E10value_typeET2_T3_PNSM_ISR_E10value_typeET4_jRbjT5_SX_jjP12ihipStream_tbEUlT_E1_NS1_11comp_targetILNS1_3genE9ELNS1_11target_archE1100ELNS1_3gpuE3ELNS1_3repE0EEENS1_59segmented_radix_sort_warp_sort_small_config_static_selectorELNS0_4arch9wavefront6targetE0EEEvSL_.num_named_barrier, 0
	.set _ZN7rocprim17ROCPRIM_400000_NS6detail17trampoline_kernelINS0_14default_configENS1_36segmented_radix_sort_config_selectorI12hip_bfloat16lEEZNS1_25segmented_radix_sort_implIS3_Lb0EPKS5_PS5_PKlPlN2at6native12_GLOBAL__N_18offset_tEEE10hipError_tPvRmT1_PNSt15iterator_traitsISL_E10value_typeET2_T3_PNSM_ISR_E10value_typeET4_jRbjT5_SX_jjP12ihipStream_tbEUlT_E1_NS1_11comp_targetILNS1_3genE9ELNS1_11target_archE1100ELNS1_3gpuE3ELNS1_3repE0EEENS1_59segmented_radix_sort_warp_sort_small_config_static_selectorELNS0_4arch9wavefront6targetE0EEEvSL_.private_seg_size, 0
	.set _ZN7rocprim17ROCPRIM_400000_NS6detail17trampoline_kernelINS0_14default_configENS1_36segmented_radix_sort_config_selectorI12hip_bfloat16lEEZNS1_25segmented_radix_sort_implIS3_Lb0EPKS5_PS5_PKlPlN2at6native12_GLOBAL__N_18offset_tEEE10hipError_tPvRmT1_PNSt15iterator_traitsISL_E10value_typeET2_T3_PNSM_ISR_E10value_typeET4_jRbjT5_SX_jjP12ihipStream_tbEUlT_E1_NS1_11comp_targetILNS1_3genE9ELNS1_11target_archE1100ELNS1_3gpuE3ELNS1_3repE0EEENS1_59segmented_radix_sort_warp_sort_small_config_static_selectorELNS0_4arch9wavefront6targetE0EEEvSL_.uses_vcc, 0
	.set _ZN7rocprim17ROCPRIM_400000_NS6detail17trampoline_kernelINS0_14default_configENS1_36segmented_radix_sort_config_selectorI12hip_bfloat16lEEZNS1_25segmented_radix_sort_implIS3_Lb0EPKS5_PS5_PKlPlN2at6native12_GLOBAL__N_18offset_tEEE10hipError_tPvRmT1_PNSt15iterator_traitsISL_E10value_typeET2_T3_PNSM_ISR_E10value_typeET4_jRbjT5_SX_jjP12ihipStream_tbEUlT_E1_NS1_11comp_targetILNS1_3genE9ELNS1_11target_archE1100ELNS1_3gpuE3ELNS1_3repE0EEENS1_59segmented_radix_sort_warp_sort_small_config_static_selectorELNS0_4arch9wavefront6targetE0EEEvSL_.uses_flat_scratch, 0
	.set _ZN7rocprim17ROCPRIM_400000_NS6detail17trampoline_kernelINS0_14default_configENS1_36segmented_radix_sort_config_selectorI12hip_bfloat16lEEZNS1_25segmented_radix_sort_implIS3_Lb0EPKS5_PS5_PKlPlN2at6native12_GLOBAL__N_18offset_tEEE10hipError_tPvRmT1_PNSt15iterator_traitsISL_E10value_typeET2_T3_PNSM_ISR_E10value_typeET4_jRbjT5_SX_jjP12ihipStream_tbEUlT_E1_NS1_11comp_targetILNS1_3genE9ELNS1_11target_archE1100ELNS1_3gpuE3ELNS1_3repE0EEENS1_59segmented_radix_sort_warp_sort_small_config_static_selectorELNS0_4arch9wavefront6targetE0EEEvSL_.has_dyn_sized_stack, 0
	.set _ZN7rocprim17ROCPRIM_400000_NS6detail17trampoline_kernelINS0_14default_configENS1_36segmented_radix_sort_config_selectorI12hip_bfloat16lEEZNS1_25segmented_radix_sort_implIS3_Lb0EPKS5_PS5_PKlPlN2at6native12_GLOBAL__N_18offset_tEEE10hipError_tPvRmT1_PNSt15iterator_traitsISL_E10value_typeET2_T3_PNSM_ISR_E10value_typeET4_jRbjT5_SX_jjP12ihipStream_tbEUlT_E1_NS1_11comp_targetILNS1_3genE9ELNS1_11target_archE1100ELNS1_3gpuE3ELNS1_3repE0EEENS1_59segmented_radix_sort_warp_sort_small_config_static_selectorELNS0_4arch9wavefront6targetE0EEEvSL_.has_recursion, 0
	.set _ZN7rocprim17ROCPRIM_400000_NS6detail17trampoline_kernelINS0_14default_configENS1_36segmented_radix_sort_config_selectorI12hip_bfloat16lEEZNS1_25segmented_radix_sort_implIS3_Lb0EPKS5_PS5_PKlPlN2at6native12_GLOBAL__N_18offset_tEEE10hipError_tPvRmT1_PNSt15iterator_traitsISL_E10value_typeET2_T3_PNSM_ISR_E10value_typeET4_jRbjT5_SX_jjP12ihipStream_tbEUlT_E1_NS1_11comp_targetILNS1_3genE9ELNS1_11target_archE1100ELNS1_3gpuE3ELNS1_3repE0EEENS1_59segmented_radix_sort_warp_sort_small_config_static_selectorELNS0_4arch9wavefront6targetE0EEEvSL_.has_indirect_call, 0
	.section	.AMDGPU.csdata,"",@progbits
; Kernel info:
; codeLenInByte = 0
; TotalNumSgprs: 0
; NumVgprs: 0
; ScratchSize: 0
; MemoryBound: 0
; FloatMode: 240
; IeeeMode: 1
; LDSByteSize: 0 bytes/workgroup (compile time only)
; SGPRBlocks: 0
; VGPRBlocks: 0
; NumSGPRsForWavesPerEU: 1
; NumVGPRsForWavesPerEU: 1
; Occupancy: 16
; WaveLimiterHint : 0
; COMPUTE_PGM_RSRC2:SCRATCH_EN: 0
; COMPUTE_PGM_RSRC2:USER_SGPR: 2
; COMPUTE_PGM_RSRC2:TRAP_HANDLER: 0
; COMPUTE_PGM_RSRC2:TGID_X_EN: 1
; COMPUTE_PGM_RSRC2:TGID_Y_EN: 0
; COMPUTE_PGM_RSRC2:TGID_Z_EN: 0
; COMPUTE_PGM_RSRC2:TIDIG_COMP_CNT: 0
	.section	.text._ZN7rocprim17ROCPRIM_400000_NS6detail17trampoline_kernelINS0_14default_configENS1_36segmented_radix_sort_config_selectorI12hip_bfloat16lEEZNS1_25segmented_radix_sort_implIS3_Lb0EPKS5_PS5_PKlPlN2at6native12_GLOBAL__N_18offset_tEEE10hipError_tPvRmT1_PNSt15iterator_traitsISL_E10value_typeET2_T3_PNSM_ISR_E10value_typeET4_jRbjT5_SX_jjP12ihipStream_tbEUlT_E1_NS1_11comp_targetILNS1_3genE8ELNS1_11target_archE1030ELNS1_3gpuE2ELNS1_3repE0EEENS1_59segmented_radix_sort_warp_sort_small_config_static_selectorELNS0_4arch9wavefront6targetE0EEEvSL_,"axG",@progbits,_ZN7rocprim17ROCPRIM_400000_NS6detail17trampoline_kernelINS0_14default_configENS1_36segmented_radix_sort_config_selectorI12hip_bfloat16lEEZNS1_25segmented_radix_sort_implIS3_Lb0EPKS5_PS5_PKlPlN2at6native12_GLOBAL__N_18offset_tEEE10hipError_tPvRmT1_PNSt15iterator_traitsISL_E10value_typeET2_T3_PNSM_ISR_E10value_typeET4_jRbjT5_SX_jjP12ihipStream_tbEUlT_E1_NS1_11comp_targetILNS1_3genE8ELNS1_11target_archE1030ELNS1_3gpuE2ELNS1_3repE0EEENS1_59segmented_radix_sort_warp_sort_small_config_static_selectorELNS0_4arch9wavefront6targetE0EEEvSL_,comdat
	.globl	_ZN7rocprim17ROCPRIM_400000_NS6detail17trampoline_kernelINS0_14default_configENS1_36segmented_radix_sort_config_selectorI12hip_bfloat16lEEZNS1_25segmented_radix_sort_implIS3_Lb0EPKS5_PS5_PKlPlN2at6native12_GLOBAL__N_18offset_tEEE10hipError_tPvRmT1_PNSt15iterator_traitsISL_E10value_typeET2_T3_PNSM_ISR_E10value_typeET4_jRbjT5_SX_jjP12ihipStream_tbEUlT_E1_NS1_11comp_targetILNS1_3genE8ELNS1_11target_archE1030ELNS1_3gpuE2ELNS1_3repE0EEENS1_59segmented_radix_sort_warp_sort_small_config_static_selectorELNS0_4arch9wavefront6targetE0EEEvSL_ ; -- Begin function _ZN7rocprim17ROCPRIM_400000_NS6detail17trampoline_kernelINS0_14default_configENS1_36segmented_radix_sort_config_selectorI12hip_bfloat16lEEZNS1_25segmented_radix_sort_implIS3_Lb0EPKS5_PS5_PKlPlN2at6native12_GLOBAL__N_18offset_tEEE10hipError_tPvRmT1_PNSt15iterator_traitsISL_E10value_typeET2_T3_PNSM_ISR_E10value_typeET4_jRbjT5_SX_jjP12ihipStream_tbEUlT_E1_NS1_11comp_targetILNS1_3genE8ELNS1_11target_archE1030ELNS1_3gpuE2ELNS1_3repE0EEENS1_59segmented_radix_sort_warp_sort_small_config_static_selectorELNS0_4arch9wavefront6targetE0EEEvSL_
	.p2align	8
	.type	_ZN7rocprim17ROCPRIM_400000_NS6detail17trampoline_kernelINS0_14default_configENS1_36segmented_radix_sort_config_selectorI12hip_bfloat16lEEZNS1_25segmented_radix_sort_implIS3_Lb0EPKS5_PS5_PKlPlN2at6native12_GLOBAL__N_18offset_tEEE10hipError_tPvRmT1_PNSt15iterator_traitsISL_E10value_typeET2_T3_PNSM_ISR_E10value_typeET4_jRbjT5_SX_jjP12ihipStream_tbEUlT_E1_NS1_11comp_targetILNS1_3genE8ELNS1_11target_archE1030ELNS1_3gpuE2ELNS1_3repE0EEENS1_59segmented_radix_sort_warp_sort_small_config_static_selectorELNS0_4arch9wavefront6targetE0EEEvSL_,@function
_ZN7rocprim17ROCPRIM_400000_NS6detail17trampoline_kernelINS0_14default_configENS1_36segmented_radix_sort_config_selectorI12hip_bfloat16lEEZNS1_25segmented_radix_sort_implIS3_Lb0EPKS5_PS5_PKlPlN2at6native12_GLOBAL__N_18offset_tEEE10hipError_tPvRmT1_PNSt15iterator_traitsISL_E10value_typeET2_T3_PNSM_ISR_E10value_typeET4_jRbjT5_SX_jjP12ihipStream_tbEUlT_E1_NS1_11comp_targetILNS1_3genE8ELNS1_11target_archE1030ELNS1_3gpuE2ELNS1_3repE0EEENS1_59segmented_radix_sort_warp_sort_small_config_static_selectorELNS0_4arch9wavefront6targetE0EEEvSL_: ; @_ZN7rocprim17ROCPRIM_400000_NS6detail17trampoline_kernelINS0_14default_configENS1_36segmented_radix_sort_config_selectorI12hip_bfloat16lEEZNS1_25segmented_radix_sort_implIS3_Lb0EPKS5_PS5_PKlPlN2at6native12_GLOBAL__N_18offset_tEEE10hipError_tPvRmT1_PNSt15iterator_traitsISL_E10value_typeET2_T3_PNSM_ISR_E10value_typeET4_jRbjT5_SX_jjP12ihipStream_tbEUlT_E1_NS1_11comp_targetILNS1_3genE8ELNS1_11target_archE1030ELNS1_3gpuE2ELNS1_3repE0EEENS1_59segmented_radix_sort_warp_sort_small_config_static_selectorELNS0_4arch9wavefront6targetE0EEEvSL_
; %bb.0:
	.section	.rodata,"a",@progbits
	.p2align	6, 0x0
	.amdhsa_kernel _ZN7rocprim17ROCPRIM_400000_NS6detail17trampoline_kernelINS0_14default_configENS1_36segmented_radix_sort_config_selectorI12hip_bfloat16lEEZNS1_25segmented_radix_sort_implIS3_Lb0EPKS5_PS5_PKlPlN2at6native12_GLOBAL__N_18offset_tEEE10hipError_tPvRmT1_PNSt15iterator_traitsISL_E10value_typeET2_T3_PNSM_ISR_E10value_typeET4_jRbjT5_SX_jjP12ihipStream_tbEUlT_E1_NS1_11comp_targetILNS1_3genE8ELNS1_11target_archE1030ELNS1_3gpuE2ELNS1_3repE0EEENS1_59segmented_radix_sort_warp_sort_small_config_static_selectorELNS0_4arch9wavefront6targetE0EEEvSL_
		.amdhsa_group_segment_fixed_size 0
		.amdhsa_private_segment_fixed_size 0
		.amdhsa_kernarg_size 88
		.amdhsa_user_sgpr_count 2
		.amdhsa_user_sgpr_dispatch_ptr 0
		.amdhsa_user_sgpr_queue_ptr 0
		.amdhsa_user_sgpr_kernarg_segment_ptr 1
		.amdhsa_user_sgpr_dispatch_id 0
		.amdhsa_user_sgpr_private_segment_size 0
		.amdhsa_wavefront_size32 1
		.amdhsa_uses_dynamic_stack 0
		.amdhsa_enable_private_segment 0
		.amdhsa_system_sgpr_workgroup_id_x 1
		.amdhsa_system_sgpr_workgroup_id_y 0
		.amdhsa_system_sgpr_workgroup_id_z 0
		.amdhsa_system_sgpr_workgroup_info 0
		.amdhsa_system_vgpr_workitem_id 0
		.amdhsa_next_free_vgpr 1
		.amdhsa_next_free_sgpr 1
		.amdhsa_reserve_vcc 0
		.amdhsa_float_round_mode_32 0
		.amdhsa_float_round_mode_16_64 0
		.amdhsa_float_denorm_mode_32 3
		.amdhsa_float_denorm_mode_16_64 3
		.amdhsa_fp16_overflow 0
		.amdhsa_workgroup_processor_mode 1
		.amdhsa_memory_ordered 1
		.amdhsa_forward_progress 1
		.amdhsa_inst_pref_size 0
		.amdhsa_round_robin_scheduling 0
		.amdhsa_exception_fp_ieee_invalid_op 0
		.amdhsa_exception_fp_denorm_src 0
		.amdhsa_exception_fp_ieee_div_zero 0
		.amdhsa_exception_fp_ieee_overflow 0
		.amdhsa_exception_fp_ieee_underflow 0
		.amdhsa_exception_fp_ieee_inexact 0
		.amdhsa_exception_int_div_zero 0
	.end_amdhsa_kernel
	.section	.text._ZN7rocprim17ROCPRIM_400000_NS6detail17trampoline_kernelINS0_14default_configENS1_36segmented_radix_sort_config_selectorI12hip_bfloat16lEEZNS1_25segmented_radix_sort_implIS3_Lb0EPKS5_PS5_PKlPlN2at6native12_GLOBAL__N_18offset_tEEE10hipError_tPvRmT1_PNSt15iterator_traitsISL_E10value_typeET2_T3_PNSM_ISR_E10value_typeET4_jRbjT5_SX_jjP12ihipStream_tbEUlT_E1_NS1_11comp_targetILNS1_3genE8ELNS1_11target_archE1030ELNS1_3gpuE2ELNS1_3repE0EEENS1_59segmented_radix_sort_warp_sort_small_config_static_selectorELNS0_4arch9wavefront6targetE0EEEvSL_,"axG",@progbits,_ZN7rocprim17ROCPRIM_400000_NS6detail17trampoline_kernelINS0_14default_configENS1_36segmented_radix_sort_config_selectorI12hip_bfloat16lEEZNS1_25segmented_radix_sort_implIS3_Lb0EPKS5_PS5_PKlPlN2at6native12_GLOBAL__N_18offset_tEEE10hipError_tPvRmT1_PNSt15iterator_traitsISL_E10value_typeET2_T3_PNSM_ISR_E10value_typeET4_jRbjT5_SX_jjP12ihipStream_tbEUlT_E1_NS1_11comp_targetILNS1_3genE8ELNS1_11target_archE1030ELNS1_3gpuE2ELNS1_3repE0EEENS1_59segmented_radix_sort_warp_sort_small_config_static_selectorELNS0_4arch9wavefront6targetE0EEEvSL_,comdat
.Lfunc_end2078:
	.size	_ZN7rocprim17ROCPRIM_400000_NS6detail17trampoline_kernelINS0_14default_configENS1_36segmented_radix_sort_config_selectorI12hip_bfloat16lEEZNS1_25segmented_radix_sort_implIS3_Lb0EPKS5_PS5_PKlPlN2at6native12_GLOBAL__N_18offset_tEEE10hipError_tPvRmT1_PNSt15iterator_traitsISL_E10value_typeET2_T3_PNSM_ISR_E10value_typeET4_jRbjT5_SX_jjP12ihipStream_tbEUlT_E1_NS1_11comp_targetILNS1_3genE8ELNS1_11target_archE1030ELNS1_3gpuE2ELNS1_3repE0EEENS1_59segmented_radix_sort_warp_sort_small_config_static_selectorELNS0_4arch9wavefront6targetE0EEEvSL_, .Lfunc_end2078-_ZN7rocprim17ROCPRIM_400000_NS6detail17trampoline_kernelINS0_14default_configENS1_36segmented_radix_sort_config_selectorI12hip_bfloat16lEEZNS1_25segmented_radix_sort_implIS3_Lb0EPKS5_PS5_PKlPlN2at6native12_GLOBAL__N_18offset_tEEE10hipError_tPvRmT1_PNSt15iterator_traitsISL_E10value_typeET2_T3_PNSM_ISR_E10value_typeET4_jRbjT5_SX_jjP12ihipStream_tbEUlT_E1_NS1_11comp_targetILNS1_3genE8ELNS1_11target_archE1030ELNS1_3gpuE2ELNS1_3repE0EEENS1_59segmented_radix_sort_warp_sort_small_config_static_selectorELNS0_4arch9wavefront6targetE0EEEvSL_
                                        ; -- End function
	.set _ZN7rocprim17ROCPRIM_400000_NS6detail17trampoline_kernelINS0_14default_configENS1_36segmented_radix_sort_config_selectorI12hip_bfloat16lEEZNS1_25segmented_radix_sort_implIS3_Lb0EPKS5_PS5_PKlPlN2at6native12_GLOBAL__N_18offset_tEEE10hipError_tPvRmT1_PNSt15iterator_traitsISL_E10value_typeET2_T3_PNSM_ISR_E10value_typeET4_jRbjT5_SX_jjP12ihipStream_tbEUlT_E1_NS1_11comp_targetILNS1_3genE8ELNS1_11target_archE1030ELNS1_3gpuE2ELNS1_3repE0EEENS1_59segmented_radix_sort_warp_sort_small_config_static_selectorELNS0_4arch9wavefront6targetE0EEEvSL_.num_vgpr, 0
	.set _ZN7rocprim17ROCPRIM_400000_NS6detail17trampoline_kernelINS0_14default_configENS1_36segmented_radix_sort_config_selectorI12hip_bfloat16lEEZNS1_25segmented_radix_sort_implIS3_Lb0EPKS5_PS5_PKlPlN2at6native12_GLOBAL__N_18offset_tEEE10hipError_tPvRmT1_PNSt15iterator_traitsISL_E10value_typeET2_T3_PNSM_ISR_E10value_typeET4_jRbjT5_SX_jjP12ihipStream_tbEUlT_E1_NS1_11comp_targetILNS1_3genE8ELNS1_11target_archE1030ELNS1_3gpuE2ELNS1_3repE0EEENS1_59segmented_radix_sort_warp_sort_small_config_static_selectorELNS0_4arch9wavefront6targetE0EEEvSL_.num_agpr, 0
	.set _ZN7rocprim17ROCPRIM_400000_NS6detail17trampoline_kernelINS0_14default_configENS1_36segmented_radix_sort_config_selectorI12hip_bfloat16lEEZNS1_25segmented_radix_sort_implIS3_Lb0EPKS5_PS5_PKlPlN2at6native12_GLOBAL__N_18offset_tEEE10hipError_tPvRmT1_PNSt15iterator_traitsISL_E10value_typeET2_T3_PNSM_ISR_E10value_typeET4_jRbjT5_SX_jjP12ihipStream_tbEUlT_E1_NS1_11comp_targetILNS1_3genE8ELNS1_11target_archE1030ELNS1_3gpuE2ELNS1_3repE0EEENS1_59segmented_radix_sort_warp_sort_small_config_static_selectorELNS0_4arch9wavefront6targetE0EEEvSL_.numbered_sgpr, 0
	.set _ZN7rocprim17ROCPRIM_400000_NS6detail17trampoline_kernelINS0_14default_configENS1_36segmented_radix_sort_config_selectorI12hip_bfloat16lEEZNS1_25segmented_radix_sort_implIS3_Lb0EPKS5_PS5_PKlPlN2at6native12_GLOBAL__N_18offset_tEEE10hipError_tPvRmT1_PNSt15iterator_traitsISL_E10value_typeET2_T3_PNSM_ISR_E10value_typeET4_jRbjT5_SX_jjP12ihipStream_tbEUlT_E1_NS1_11comp_targetILNS1_3genE8ELNS1_11target_archE1030ELNS1_3gpuE2ELNS1_3repE0EEENS1_59segmented_radix_sort_warp_sort_small_config_static_selectorELNS0_4arch9wavefront6targetE0EEEvSL_.num_named_barrier, 0
	.set _ZN7rocprim17ROCPRIM_400000_NS6detail17trampoline_kernelINS0_14default_configENS1_36segmented_radix_sort_config_selectorI12hip_bfloat16lEEZNS1_25segmented_radix_sort_implIS3_Lb0EPKS5_PS5_PKlPlN2at6native12_GLOBAL__N_18offset_tEEE10hipError_tPvRmT1_PNSt15iterator_traitsISL_E10value_typeET2_T3_PNSM_ISR_E10value_typeET4_jRbjT5_SX_jjP12ihipStream_tbEUlT_E1_NS1_11comp_targetILNS1_3genE8ELNS1_11target_archE1030ELNS1_3gpuE2ELNS1_3repE0EEENS1_59segmented_radix_sort_warp_sort_small_config_static_selectorELNS0_4arch9wavefront6targetE0EEEvSL_.private_seg_size, 0
	.set _ZN7rocprim17ROCPRIM_400000_NS6detail17trampoline_kernelINS0_14default_configENS1_36segmented_radix_sort_config_selectorI12hip_bfloat16lEEZNS1_25segmented_radix_sort_implIS3_Lb0EPKS5_PS5_PKlPlN2at6native12_GLOBAL__N_18offset_tEEE10hipError_tPvRmT1_PNSt15iterator_traitsISL_E10value_typeET2_T3_PNSM_ISR_E10value_typeET4_jRbjT5_SX_jjP12ihipStream_tbEUlT_E1_NS1_11comp_targetILNS1_3genE8ELNS1_11target_archE1030ELNS1_3gpuE2ELNS1_3repE0EEENS1_59segmented_radix_sort_warp_sort_small_config_static_selectorELNS0_4arch9wavefront6targetE0EEEvSL_.uses_vcc, 0
	.set _ZN7rocprim17ROCPRIM_400000_NS6detail17trampoline_kernelINS0_14default_configENS1_36segmented_radix_sort_config_selectorI12hip_bfloat16lEEZNS1_25segmented_radix_sort_implIS3_Lb0EPKS5_PS5_PKlPlN2at6native12_GLOBAL__N_18offset_tEEE10hipError_tPvRmT1_PNSt15iterator_traitsISL_E10value_typeET2_T3_PNSM_ISR_E10value_typeET4_jRbjT5_SX_jjP12ihipStream_tbEUlT_E1_NS1_11comp_targetILNS1_3genE8ELNS1_11target_archE1030ELNS1_3gpuE2ELNS1_3repE0EEENS1_59segmented_radix_sort_warp_sort_small_config_static_selectorELNS0_4arch9wavefront6targetE0EEEvSL_.uses_flat_scratch, 0
	.set _ZN7rocprim17ROCPRIM_400000_NS6detail17trampoline_kernelINS0_14default_configENS1_36segmented_radix_sort_config_selectorI12hip_bfloat16lEEZNS1_25segmented_radix_sort_implIS3_Lb0EPKS5_PS5_PKlPlN2at6native12_GLOBAL__N_18offset_tEEE10hipError_tPvRmT1_PNSt15iterator_traitsISL_E10value_typeET2_T3_PNSM_ISR_E10value_typeET4_jRbjT5_SX_jjP12ihipStream_tbEUlT_E1_NS1_11comp_targetILNS1_3genE8ELNS1_11target_archE1030ELNS1_3gpuE2ELNS1_3repE0EEENS1_59segmented_radix_sort_warp_sort_small_config_static_selectorELNS0_4arch9wavefront6targetE0EEEvSL_.has_dyn_sized_stack, 0
	.set _ZN7rocprim17ROCPRIM_400000_NS6detail17trampoline_kernelINS0_14default_configENS1_36segmented_radix_sort_config_selectorI12hip_bfloat16lEEZNS1_25segmented_radix_sort_implIS3_Lb0EPKS5_PS5_PKlPlN2at6native12_GLOBAL__N_18offset_tEEE10hipError_tPvRmT1_PNSt15iterator_traitsISL_E10value_typeET2_T3_PNSM_ISR_E10value_typeET4_jRbjT5_SX_jjP12ihipStream_tbEUlT_E1_NS1_11comp_targetILNS1_3genE8ELNS1_11target_archE1030ELNS1_3gpuE2ELNS1_3repE0EEENS1_59segmented_radix_sort_warp_sort_small_config_static_selectorELNS0_4arch9wavefront6targetE0EEEvSL_.has_recursion, 0
	.set _ZN7rocprim17ROCPRIM_400000_NS6detail17trampoline_kernelINS0_14default_configENS1_36segmented_radix_sort_config_selectorI12hip_bfloat16lEEZNS1_25segmented_radix_sort_implIS3_Lb0EPKS5_PS5_PKlPlN2at6native12_GLOBAL__N_18offset_tEEE10hipError_tPvRmT1_PNSt15iterator_traitsISL_E10value_typeET2_T3_PNSM_ISR_E10value_typeET4_jRbjT5_SX_jjP12ihipStream_tbEUlT_E1_NS1_11comp_targetILNS1_3genE8ELNS1_11target_archE1030ELNS1_3gpuE2ELNS1_3repE0EEENS1_59segmented_radix_sort_warp_sort_small_config_static_selectorELNS0_4arch9wavefront6targetE0EEEvSL_.has_indirect_call, 0
	.section	.AMDGPU.csdata,"",@progbits
; Kernel info:
; codeLenInByte = 0
; TotalNumSgprs: 0
; NumVgprs: 0
; ScratchSize: 0
; MemoryBound: 0
; FloatMode: 240
; IeeeMode: 1
; LDSByteSize: 0 bytes/workgroup (compile time only)
; SGPRBlocks: 0
; VGPRBlocks: 0
; NumSGPRsForWavesPerEU: 1
; NumVGPRsForWavesPerEU: 1
; Occupancy: 16
; WaveLimiterHint : 0
; COMPUTE_PGM_RSRC2:SCRATCH_EN: 0
; COMPUTE_PGM_RSRC2:USER_SGPR: 2
; COMPUTE_PGM_RSRC2:TRAP_HANDLER: 0
; COMPUTE_PGM_RSRC2:TGID_X_EN: 1
; COMPUTE_PGM_RSRC2:TGID_Y_EN: 0
; COMPUTE_PGM_RSRC2:TGID_Z_EN: 0
; COMPUTE_PGM_RSRC2:TIDIG_COMP_CNT: 0
	.section	.text._ZN7rocprim17ROCPRIM_400000_NS6detail17trampoline_kernelINS0_14default_configENS1_36segmented_radix_sort_config_selectorI12hip_bfloat16lEEZNS1_25segmented_radix_sort_implIS3_Lb0EPKS5_PS5_PKlPlN2at6native12_GLOBAL__N_18offset_tEEE10hipError_tPvRmT1_PNSt15iterator_traitsISL_E10value_typeET2_T3_PNSM_ISR_E10value_typeET4_jRbjT5_SX_jjP12ihipStream_tbEUlT_E2_NS1_11comp_targetILNS1_3genE0ELNS1_11target_archE4294967295ELNS1_3gpuE0ELNS1_3repE0EEENS1_30default_config_static_selectorELNS0_4arch9wavefront6targetE0EEEvSL_,"axG",@progbits,_ZN7rocprim17ROCPRIM_400000_NS6detail17trampoline_kernelINS0_14default_configENS1_36segmented_radix_sort_config_selectorI12hip_bfloat16lEEZNS1_25segmented_radix_sort_implIS3_Lb0EPKS5_PS5_PKlPlN2at6native12_GLOBAL__N_18offset_tEEE10hipError_tPvRmT1_PNSt15iterator_traitsISL_E10value_typeET2_T3_PNSM_ISR_E10value_typeET4_jRbjT5_SX_jjP12ihipStream_tbEUlT_E2_NS1_11comp_targetILNS1_3genE0ELNS1_11target_archE4294967295ELNS1_3gpuE0ELNS1_3repE0EEENS1_30default_config_static_selectorELNS0_4arch9wavefront6targetE0EEEvSL_,comdat
	.globl	_ZN7rocprim17ROCPRIM_400000_NS6detail17trampoline_kernelINS0_14default_configENS1_36segmented_radix_sort_config_selectorI12hip_bfloat16lEEZNS1_25segmented_radix_sort_implIS3_Lb0EPKS5_PS5_PKlPlN2at6native12_GLOBAL__N_18offset_tEEE10hipError_tPvRmT1_PNSt15iterator_traitsISL_E10value_typeET2_T3_PNSM_ISR_E10value_typeET4_jRbjT5_SX_jjP12ihipStream_tbEUlT_E2_NS1_11comp_targetILNS1_3genE0ELNS1_11target_archE4294967295ELNS1_3gpuE0ELNS1_3repE0EEENS1_30default_config_static_selectorELNS0_4arch9wavefront6targetE0EEEvSL_ ; -- Begin function _ZN7rocprim17ROCPRIM_400000_NS6detail17trampoline_kernelINS0_14default_configENS1_36segmented_radix_sort_config_selectorI12hip_bfloat16lEEZNS1_25segmented_radix_sort_implIS3_Lb0EPKS5_PS5_PKlPlN2at6native12_GLOBAL__N_18offset_tEEE10hipError_tPvRmT1_PNSt15iterator_traitsISL_E10value_typeET2_T3_PNSM_ISR_E10value_typeET4_jRbjT5_SX_jjP12ihipStream_tbEUlT_E2_NS1_11comp_targetILNS1_3genE0ELNS1_11target_archE4294967295ELNS1_3gpuE0ELNS1_3repE0EEENS1_30default_config_static_selectorELNS0_4arch9wavefront6targetE0EEEvSL_
	.p2align	8
	.type	_ZN7rocprim17ROCPRIM_400000_NS6detail17trampoline_kernelINS0_14default_configENS1_36segmented_radix_sort_config_selectorI12hip_bfloat16lEEZNS1_25segmented_radix_sort_implIS3_Lb0EPKS5_PS5_PKlPlN2at6native12_GLOBAL__N_18offset_tEEE10hipError_tPvRmT1_PNSt15iterator_traitsISL_E10value_typeET2_T3_PNSM_ISR_E10value_typeET4_jRbjT5_SX_jjP12ihipStream_tbEUlT_E2_NS1_11comp_targetILNS1_3genE0ELNS1_11target_archE4294967295ELNS1_3gpuE0ELNS1_3repE0EEENS1_30default_config_static_selectorELNS0_4arch9wavefront6targetE0EEEvSL_,@function
_ZN7rocprim17ROCPRIM_400000_NS6detail17trampoline_kernelINS0_14default_configENS1_36segmented_radix_sort_config_selectorI12hip_bfloat16lEEZNS1_25segmented_radix_sort_implIS3_Lb0EPKS5_PS5_PKlPlN2at6native12_GLOBAL__N_18offset_tEEE10hipError_tPvRmT1_PNSt15iterator_traitsISL_E10value_typeET2_T3_PNSM_ISR_E10value_typeET4_jRbjT5_SX_jjP12ihipStream_tbEUlT_E2_NS1_11comp_targetILNS1_3genE0ELNS1_11target_archE4294967295ELNS1_3gpuE0ELNS1_3repE0EEENS1_30default_config_static_selectorELNS0_4arch9wavefront6targetE0EEEvSL_: ; @_ZN7rocprim17ROCPRIM_400000_NS6detail17trampoline_kernelINS0_14default_configENS1_36segmented_radix_sort_config_selectorI12hip_bfloat16lEEZNS1_25segmented_radix_sort_implIS3_Lb0EPKS5_PS5_PKlPlN2at6native12_GLOBAL__N_18offset_tEEE10hipError_tPvRmT1_PNSt15iterator_traitsISL_E10value_typeET2_T3_PNSM_ISR_E10value_typeET4_jRbjT5_SX_jjP12ihipStream_tbEUlT_E2_NS1_11comp_targetILNS1_3genE0ELNS1_11target_archE4294967295ELNS1_3gpuE0ELNS1_3repE0EEENS1_30default_config_static_selectorELNS0_4arch9wavefront6targetE0EEEvSL_
; %bb.0:
	.section	.rodata,"a",@progbits
	.p2align	6, 0x0
	.amdhsa_kernel _ZN7rocprim17ROCPRIM_400000_NS6detail17trampoline_kernelINS0_14default_configENS1_36segmented_radix_sort_config_selectorI12hip_bfloat16lEEZNS1_25segmented_radix_sort_implIS3_Lb0EPKS5_PS5_PKlPlN2at6native12_GLOBAL__N_18offset_tEEE10hipError_tPvRmT1_PNSt15iterator_traitsISL_E10value_typeET2_T3_PNSM_ISR_E10value_typeET4_jRbjT5_SX_jjP12ihipStream_tbEUlT_E2_NS1_11comp_targetILNS1_3genE0ELNS1_11target_archE4294967295ELNS1_3gpuE0ELNS1_3repE0EEENS1_30default_config_static_selectorELNS0_4arch9wavefront6targetE0EEEvSL_
		.amdhsa_group_segment_fixed_size 0
		.amdhsa_private_segment_fixed_size 0
		.amdhsa_kernarg_size 80
		.amdhsa_user_sgpr_count 2
		.amdhsa_user_sgpr_dispatch_ptr 0
		.amdhsa_user_sgpr_queue_ptr 0
		.amdhsa_user_sgpr_kernarg_segment_ptr 1
		.amdhsa_user_sgpr_dispatch_id 0
		.amdhsa_user_sgpr_private_segment_size 0
		.amdhsa_wavefront_size32 1
		.amdhsa_uses_dynamic_stack 0
		.amdhsa_enable_private_segment 0
		.amdhsa_system_sgpr_workgroup_id_x 1
		.amdhsa_system_sgpr_workgroup_id_y 0
		.amdhsa_system_sgpr_workgroup_id_z 0
		.amdhsa_system_sgpr_workgroup_info 0
		.amdhsa_system_vgpr_workitem_id 0
		.amdhsa_next_free_vgpr 1
		.amdhsa_next_free_sgpr 1
		.amdhsa_reserve_vcc 0
		.amdhsa_float_round_mode_32 0
		.amdhsa_float_round_mode_16_64 0
		.amdhsa_float_denorm_mode_32 3
		.amdhsa_float_denorm_mode_16_64 3
		.amdhsa_fp16_overflow 0
		.amdhsa_workgroup_processor_mode 1
		.amdhsa_memory_ordered 1
		.amdhsa_forward_progress 1
		.amdhsa_inst_pref_size 0
		.amdhsa_round_robin_scheduling 0
		.amdhsa_exception_fp_ieee_invalid_op 0
		.amdhsa_exception_fp_denorm_src 0
		.amdhsa_exception_fp_ieee_div_zero 0
		.amdhsa_exception_fp_ieee_overflow 0
		.amdhsa_exception_fp_ieee_underflow 0
		.amdhsa_exception_fp_ieee_inexact 0
		.amdhsa_exception_int_div_zero 0
	.end_amdhsa_kernel
	.section	.text._ZN7rocprim17ROCPRIM_400000_NS6detail17trampoline_kernelINS0_14default_configENS1_36segmented_radix_sort_config_selectorI12hip_bfloat16lEEZNS1_25segmented_radix_sort_implIS3_Lb0EPKS5_PS5_PKlPlN2at6native12_GLOBAL__N_18offset_tEEE10hipError_tPvRmT1_PNSt15iterator_traitsISL_E10value_typeET2_T3_PNSM_ISR_E10value_typeET4_jRbjT5_SX_jjP12ihipStream_tbEUlT_E2_NS1_11comp_targetILNS1_3genE0ELNS1_11target_archE4294967295ELNS1_3gpuE0ELNS1_3repE0EEENS1_30default_config_static_selectorELNS0_4arch9wavefront6targetE0EEEvSL_,"axG",@progbits,_ZN7rocprim17ROCPRIM_400000_NS6detail17trampoline_kernelINS0_14default_configENS1_36segmented_radix_sort_config_selectorI12hip_bfloat16lEEZNS1_25segmented_radix_sort_implIS3_Lb0EPKS5_PS5_PKlPlN2at6native12_GLOBAL__N_18offset_tEEE10hipError_tPvRmT1_PNSt15iterator_traitsISL_E10value_typeET2_T3_PNSM_ISR_E10value_typeET4_jRbjT5_SX_jjP12ihipStream_tbEUlT_E2_NS1_11comp_targetILNS1_3genE0ELNS1_11target_archE4294967295ELNS1_3gpuE0ELNS1_3repE0EEENS1_30default_config_static_selectorELNS0_4arch9wavefront6targetE0EEEvSL_,comdat
.Lfunc_end2079:
	.size	_ZN7rocprim17ROCPRIM_400000_NS6detail17trampoline_kernelINS0_14default_configENS1_36segmented_radix_sort_config_selectorI12hip_bfloat16lEEZNS1_25segmented_radix_sort_implIS3_Lb0EPKS5_PS5_PKlPlN2at6native12_GLOBAL__N_18offset_tEEE10hipError_tPvRmT1_PNSt15iterator_traitsISL_E10value_typeET2_T3_PNSM_ISR_E10value_typeET4_jRbjT5_SX_jjP12ihipStream_tbEUlT_E2_NS1_11comp_targetILNS1_3genE0ELNS1_11target_archE4294967295ELNS1_3gpuE0ELNS1_3repE0EEENS1_30default_config_static_selectorELNS0_4arch9wavefront6targetE0EEEvSL_, .Lfunc_end2079-_ZN7rocprim17ROCPRIM_400000_NS6detail17trampoline_kernelINS0_14default_configENS1_36segmented_radix_sort_config_selectorI12hip_bfloat16lEEZNS1_25segmented_radix_sort_implIS3_Lb0EPKS5_PS5_PKlPlN2at6native12_GLOBAL__N_18offset_tEEE10hipError_tPvRmT1_PNSt15iterator_traitsISL_E10value_typeET2_T3_PNSM_ISR_E10value_typeET4_jRbjT5_SX_jjP12ihipStream_tbEUlT_E2_NS1_11comp_targetILNS1_3genE0ELNS1_11target_archE4294967295ELNS1_3gpuE0ELNS1_3repE0EEENS1_30default_config_static_selectorELNS0_4arch9wavefront6targetE0EEEvSL_
                                        ; -- End function
	.set _ZN7rocprim17ROCPRIM_400000_NS6detail17trampoline_kernelINS0_14default_configENS1_36segmented_radix_sort_config_selectorI12hip_bfloat16lEEZNS1_25segmented_radix_sort_implIS3_Lb0EPKS5_PS5_PKlPlN2at6native12_GLOBAL__N_18offset_tEEE10hipError_tPvRmT1_PNSt15iterator_traitsISL_E10value_typeET2_T3_PNSM_ISR_E10value_typeET4_jRbjT5_SX_jjP12ihipStream_tbEUlT_E2_NS1_11comp_targetILNS1_3genE0ELNS1_11target_archE4294967295ELNS1_3gpuE0ELNS1_3repE0EEENS1_30default_config_static_selectorELNS0_4arch9wavefront6targetE0EEEvSL_.num_vgpr, 0
	.set _ZN7rocprim17ROCPRIM_400000_NS6detail17trampoline_kernelINS0_14default_configENS1_36segmented_radix_sort_config_selectorI12hip_bfloat16lEEZNS1_25segmented_radix_sort_implIS3_Lb0EPKS5_PS5_PKlPlN2at6native12_GLOBAL__N_18offset_tEEE10hipError_tPvRmT1_PNSt15iterator_traitsISL_E10value_typeET2_T3_PNSM_ISR_E10value_typeET4_jRbjT5_SX_jjP12ihipStream_tbEUlT_E2_NS1_11comp_targetILNS1_3genE0ELNS1_11target_archE4294967295ELNS1_3gpuE0ELNS1_3repE0EEENS1_30default_config_static_selectorELNS0_4arch9wavefront6targetE0EEEvSL_.num_agpr, 0
	.set _ZN7rocprim17ROCPRIM_400000_NS6detail17trampoline_kernelINS0_14default_configENS1_36segmented_radix_sort_config_selectorI12hip_bfloat16lEEZNS1_25segmented_radix_sort_implIS3_Lb0EPKS5_PS5_PKlPlN2at6native12_GLOBAL__N_18offset_tEEE10hipError_tPvRmT1_PNSt15iterator_traitsISL_E10value_typeET2_T3_PNSM_ISR_E10value_typeET4_jRbjT5_SX_jjP12ihipStream_tbEUlT_E2_NS1_11comp_targetILNS1_3genE0ELNS1_11target_archE4294967295ELNS1_3gpuE0ELNS1_3repE0EEENS1_30default_config_static_selectorELNS0_4arch9wavefront6targetE0EEEvSL_.numbered_sgpr, 0
	.set _ZN7rocprim17ROCPRIM_400000_NS6detail17trampoline_kernelINS0_14default_configENS1_36segmented_radix_sort_config_selectorI12hip_bfloat16lEEZNS1_25segmented_radix_sort_implIS3_Lb0EPKS5_PS5_PKlPlN2at6native12_GLOBAL__N_18offset_tEEE10hipError_tPvRmT1_PNSt15iterator_traitsISL_E10value_typeET2_T3_PNSM_ISR_E10value_typeET4_jRbjT5_SX_jjP12ihipStream_tbEUlT_E2_NS1_11comp_targetILNS1_3genE0ELNS1_11target_archE4294967295ELNS1_3gpuE0ELNS1_3repE0EEENS1_30default_config_static_selectorELNS0_4arch9wavefront6targetE0EEEvSL_.num_named_barrier, 0
	.set _ZN7rocprim17ROCPRIM_400000_NS6detail17trampoline_kernelINS0_14default_configENS1_36segmented_radix_sort_config_selectorI12hip_bfloat16lEEZNS1_25segmented_radix_sort_implIS3_Lb0EPKS5_PS5_PKlPlN2at6native12_GLOBAL__N_18offset_tEEE10hipError_tPvRmT1_PNSt15iterator_traitsISL_E10value_typeET2_T3_PNSM_ISR_E10value_typeET4_jRbjT5_SX_jjP12ihipStream_tbEUlT_E2_NS1_11comp_targetILNS1_3genE0ELNS1_11target_archE4294967295ELNS1_3gpuE0ELNS1_3repE0EEENS1_30default_config_static_selectorELNS0_4arch9wavefront6targetE0EEEvSL_.private_seg_size, 0
	.set _ZN7rocprim17ROCPRIM_400000_NS6detail17trampoline_kernelINS0_14default_configENS1_36segmented_radix_sort_config_selectorI12hip_bfloat16lEEZNS1_25segmented_radix_sort_implIS3_Lb0EPKS5_PS5_PKlPlN2at6native12_GLOBAL__N_18offset_tEEE10hipError_tPvRmT1_PNSt15iterator_traitsISL_E10value_typeET2_T3_PNSM_ISR_E10value_typeET4_jRbjT5_SX_jjP12ihipStream_tbEUlT_E2_NS1_11comp_targetILNS1_3genE0ELNS1_11target_archE4294967295ELNS1_3gpuE0ELNS1_3repE0EEENS1_30default_config_static_selectorELNS0_4arch9wavefront6targetE0EEEvSL_.uses_vcc, 0
	.set _ZN7rocprim17ROCPRIM_400000_NS6detail17trampoline_kernelINS0_14default_configENS1_36segmented_radix_sort_config_selectorI12hip_bfloat16lEEZNS1_25segmented_radix_sort_implIS3_Lb0EPKS5_PS5_PKlPlN2at6native12_GLOBAL__N_18offset_tEEE10hipError_tPvRmT1_PNSt15iterator_traitsISL_E10value_typeET2_T3_PNSM_ISR_E10value_typeET4_jRbjT5_SX_jjP12ihipStream_tbEUlT_E2_NS1_11comp_targetILNS1_3genE0ELNS1_11target_archE4294967295ELNS1_3gpuE0ELNS1_3repE0EEENS1_30default_config_static_selectorELNS0_4arch9wavefront6targetE0EEEvSL_.uses_flat_scratch, 0
	.set _ZN7rocprim17ROCPRIM_400000_NS6detail17trampoline_kernelINS0_14default_configENS1_36segmented_radix_sort_config_selectorI12hip_bfloat16lEEZNS1_25segmented_radix_sort_implIS3_Lb0EPKS5_PS5_PKlPlN2at6native12_GLOBAL__N_18offset_tEEE10hipError_tPvRmT1_PNSt15iterator_traitsISL_E10value_typeET2_T3_PNSM_ISR_E10value_typeET4_jRbjT5_SX_jjP12ihipStream_tbEUlT_E2_NS1_11comp_targetILNS1_3genE0ELNS1_11target_archE4294967295ELNS1_3gpuE0ELNS1_3repE0EEENS1_30default_config_static_selectorELNS0_4arch9wavefront6targetE0EEEvSL_.has_dyn_sized_stack, 0
	.set _ZN7rocprim17ROCPRIM_400000_NS6detail17trampoline_kernelINS0_14default_configENS1_36segmented_radix_sort_config_selectorI12hip_bfloat16lEEZNS1_25segmented_radix_sort_implIS3_Lb0EPKS5_PS5_PKlPlN2at6native12_GLOBAL__N_18offset_tEEE10hipError_tPvRmT1_PNSt15iterator_traitsISL_E10value_typeET2_T3_PNSM_ISR_E10value_typeET4_jRbjT5_SX_jjP12ihipStream_tbEUlT_E2_NS1_11comp_targetILNS1_3genE0ELNS1_11target_archE4294967295ELNS1_3gpuE0ELNS1_3repE0EEENS1_30default_config_static_selectorELNS0_4arch9wavefront6targetE0EEEvSL_.has_recursion, 0
	.set _ZN7rocprim17ROCPRIM_400000_NS6detail17trampoline_kernelINS0_14default_configENS1_36segmented_radix_sort_config_selectorI12hip_bfloat16lEEZNS1_25segmented_radix_sort_implIS3_Lb0EPKS5_PS5_PKlPlN2at6native12_GLOBAL__N_18offset_tEEE10hipError_tPvRmT1_PNSt15iterator_traitsISL_E10value_typeET2_T3_PNSM_ISR_E10value_typeET4_jRbjT5_SX_jjP12ihipStream_tbEUlT_E2_NS1_11comp_targetILNS1_3genE0ELNS1_11target_archE4294967295ELNS1_3gpuE0ELNS1_3repE0EEENS1_30default_config_static_selectorELNS0_4arch9wavefront6targetE0EEEvSL_.has_indirect_call, 0
	.section	.AMDGPU.csdata,"",@progbits
; Kernel info:
; codeLenInByte = 0
; TotalNumSgprs: 0
; NumVgprs: 0
; ScratchSize: 0
; MemoryBound: 0
; FloatMode: 240
; IeeeMode: 1
; LDSByteSize: 0 bytes/workgroup (compile time only)
; SGPRBlocks: 0
; VGPRBlocks: 0
; NumSGPRsForWavesPerEU: 1
; NumVGPRsForWavesPerEU: 1
; Occupancy: 16
; WaveLimiterHint : 0
; COMPUTE_PGM_RSRC2:SCRATCH_EN: 0
; COMPUTE_PGM_RSRC2:USER_SGPR: 2
; COMPUTE_PGM_RSRC2:TRAP_HANDLER: 0
; COMPUTE_PGM_RSRC2:TGID_X_EN: 1
; COMPUTE_PGM_RSRC2:TGID_Y_EN: 0
; COMPUTE_PGM_RSRC2:TGID_Z_EN: 0
; COMPUTE_PGM_RSRC2:TIDIG_COMP_CNT: 0
	.section	.text._ZN7rocprim17ROCPRIM_400000_NS6detail17trampoline_kernelINS0_14default_configENS1_36segmented_radix_sort_config_selectorI12hip_bfloat16lEEZNS1_25segmented_radix_sort_implIS3_Lb0EPKS5_PS5_PKlPlN2at6native12_GLOBAL__N_18offset_tEEE10hipError_tPvRmT1_PNSt15iterator_traitsISL_E10value_typeET2_T3_PNSM_ISR_E10value_typeET4_jRbjT5_SX_jjP12ihipStream_tbEUlT_E2_NS1_11comp_targetILNS1_3genE5ELNS1_11target_archE942ELNS1_3gpuE9ELNS1_3repE0EEENS1_30default_config_static_selectorELNS0_4arch9wavefront6targetE0EEEvSL_,"axG",@progbits,_ZN7rocprim17ROCPRIM_400000_NS6detail17trampoline_kernelINS0_14default_configENS1_36segmented_radix_sort_config_selectorI12hip_bfloat16lEEZNS1_25segmented_radix_sort_implIS3_Lb0EPKS5_PS5_PKlPlN2at6native12_GLOBAL__N_18offset_tEEE10hipError_tPvRmT1_PNSt15iterator_traitsISL_E10value_typeET2_T3_PNSM_ISR_E10value_typeET4_jRbjT5_SX_jjP12ihipStream_tbEUlT_E2_NS1_11comp_targetILNS1_3genE5ELNS1_11target_archE942ELNS1_3gpuE9ELNS1_3repE0EEENS1_30default_config_static_selectorELNS0_4arch9wavefront6targetE0EEEvSL_,comdat
	.globl	_ZN7rocprim17ROCPRIM_400000_NS6detail17trampoline_kernelINS0_14default_configENS1_36segmented_radix_sort_config_selectorI12hip_bfloat16lEEZNS1_25segmented_radix_sort_implIS3_Lb0EPKS5_PS5_PKlPlN2at6native12_GLOBAL__N_18offset_tEEE10hipError_tPvRmT1_PNSt15iterator_traitsISL_E10value_typeET2_T3_PNSM_ISR_E10value_typeET4_jRbjT5_SX_jjP12ihipStream_tbEUlT_E2_NS1_11comp_targetILNS1_3genE5ELNS1_11target_archE942ELNS1_3gpuE9ELNS1_3repE0EEENS1_30default_config_static_selectorELNS0_4arch9wavefront6targetE0EEEvSL_ ; -- Begin function _ZN7rocprim17ROCPRIM_400000_NS6detail17trampoline_kernelINS0_14default_configENS1_36segmented_radix_sort_config_selectorI12hip_bfloat16lEEZNS1_25segmented_radix_sort_implIS3_Lb0EPKS5_PS5_PKlPlN2at6native12_GLOBAL__N_18offset_tEEE10hipError_tPvRmT1_PNSt15iterator_traitsISL_E10value_typeET2_T3_PNSM_ISR_E10value_typeET4_jRbjT5_SX_jjP12ihipStream_tbEUlT_E2_NS1_11comp_targetILNS1_3genE5ELNS1_11target_archE942ELNS1_3gpuE9ELNS1_3repE0EEENS1_30default_config_static_selectorELNS0_4arch9wavefront6targetE0EEEvSL_
	.p2align	8
	.type	_ZN7rocprim17ROCPRIM_400000_NS6detail17trampoline_kernelINS0_14default_configENS1_36segmented_radix_sort_config_selectorI12hip_bfloat16lEEZNS1_25segmented_radix_sort_implIS3_Lb0EPKS5_PS5_PKlPlN2at6native12_GLOBAL__N_18offset_tEEE10hipError_tPvRmT1_PNSt15iterator_traitsISL_E10value_typeET2_T3_PNSM_ISR_E10value_typeET4_jRbjT5_SX_jjP12ihipStream_tbEUlT_E2_NS1_11comp_targetILNS1_3genE5ELNS1_11target_archE942ELNS1_3gpuE9ELNS1_3repE0EEENS1_30default_config_static_selectorELNS0_4arch9wavefront6targetE0EEEvSL_,@function
_ZN7rocprim17ROCPRIM_400000_NS6detail17trampoline_kernelINS0_14default_configENS1_36segmented_radix_sort_config_selectorI12hip_bfloat16lEEZNS1_25segmented_radix_sort_implIS3_Lb0EPKS5_PS5_PKlPlN2at6native12_GLOBAL__N_18offset_tEEE10hipError_tPvRmT1_PNSt15iterator_traitsISL_E10value_typeET2_T3_PNSM_ISR_E10value_typeET4_jRbjT5_SX_jjP12ihipStream_tbEUlT_E2_NS1_11comp_targetILNS1_3genE5ELNS1_11target_archE942ELNS1_3gpuE9ELNS1_3repE0EEENS1_30default_config_static_selectorELNS0_4arch9wavefront6targetE0EEEvSL_: ; @_ZN7rocprim17ROCPRIM_400000_NS6detail17trampoline_kernelINS0_14default_configENS1_36segmented_radix_sort_config_selectorI12hip_bfloat16lEEZNS1_25segmented_radix_sort_implIS3_Lb0EPKS5_PS5_PKlPlN2at6native12_GLOBAL__N_18offset_tEEE10hipError_tPvRmT1_PNSt15iterator_traitsISL_E10value_typeET2_T3_PNSM_ISR_E10value_typeET4_jRbjT5_SX_jjP12ihipStream_tbEUlT_E2_NS1_11comp_targetILNS1_3genE5ELNS1_11target_archE942ELNS1_3gpuE9ELNS1_3repE0EEENS1_30default_config_static_selectorELNS0_4arch9wavefront6targetE0EEEvSL_
; %bb.0:
	.section	.rodata,"a",@progbits
	.p2align	6, 0x0
	.amdhsa_kernel _ZN7rocprim17ROCPRIM_400000_NS6detail17trampoline_kernelINS0_14default_configENS1_36segmented_radix_sort_config_selectorI12hip_bfloat16lEEZNS1_25segmented_radix_sort_implIS3_Lb0EPKS5_PS5_PKlPlN2at6native12_GLOBAL__N_18offset_tEEE10hipError_tPvRmT1_PNSt15iterator_traitsISL_E10value_typeET2_T3_PNSM_ISR_E10value_typeET4_jRbjT5_SX_jjP12ihipStream_tbEUlT_E2_NS1_11comp_targetILNS1_3genE5ELNS1_11target_archE942ELNS1_3gpuE9ELNS1_3repE0EEENS1_30default_config_static_selectorELNS0_4arch9wavefront6targetE0EEEvSL_
		.amdhsa_group_segment_fixed_size 0
		.amdhsa_private_segment_fixed_size 0
		.amdhsa_kernarg_size 80
		.amdhsa_user_sgpr_count 2
		.amdhsa_user_sgpr_dispatch_ptr 0
		.amdhsa_user_sgpr_queue_ptr 0
		.amdhsa_user_sgpr_kernarg_segment_ptr 1
		.amdhsa_user_sgpr_dispatch_id 0
		.amdhsa_user_sgpr_private_segment_size 0
		.amdhsa_wavefront_size32 1
		.amdhsa_uses_dynamic_stack 0
		.amdhsa_enable_private_segment 0
		.amdhsa_system_sgpr_workgroup_id_x 1
		.amdhsa_system_sgpr_workgroup_id_y 0
		.amdhsa_system_sgpr_workgroup_id_z 0
		.amdhsa_system_sgpr_workgroup_info 0
		.amdhsa_system_vgpr_workitem_id 0
		.amdhsa_next_free_vgpr 1
		.amdhsa_next_free_sgpr 1
		.amdhsa_reserve_vcc 0
		.amdhsa_float_round_mode_32 0
		.amdhsa_float_round_mode_16_64 0
		.amdhsa_float_denorm_mode_32 3
		.amdhsa_float_denorm_mode_16_64 3
		.amdhsa_fp16_overflow 0
		.amdhsa_workgroup_processor_mode 1
		.amdhsa_memory_ordered 1
		.amdhsa_forward_progress 1
		.amdhsa_inst_pref_size 0
		.amdhsa_round_robin_scheduling 0
		.amdhsa_exception_fp_ieee_invalid_op 0
		.amdhsa_exception_fp_denorm_src 0
		.amdhsa_exception_fp_ieee_div_zero 0
		.amdhsa_exception_fp_ieee_overflow 0
		.amdhsa_exception_fp_ieee_underflow 0
		.amdhsa_exception_fp_ieee_inexact 0
		.amdhsa_exception_int_div_zero 0
	.end_amdhsa_kernel
	.section	.text._ZN7rocprim17ROCPRIM_400000_NS6detail17trampoline_kernelINS0_14default_configENS1_36segmented_radix_sort_config_selectorI12hip_bfloat16lEEZNS1_25segmented_radix_sort_implIS3_Lb0EPKS5_PS5_PKlPlN2at6native12_GLOBAL__N_18offset_tEEE10hipError_tPvRmT1_PNSt15iterator_traitsISL_E10value_typeET2_T3_PNSM_ISR_E10value_typeET4_jRbjT5_SX_jjP12ihipStream_tbEUlT_E2_NS1_11comp_targetILNS1_3genE5ELNS1_11target_archE942ELNS1_3gpuE9ELNS1_3repE0EEENS1_30default_config_static_selectorELNS0_4arch9wavefront6targetE0EEEvSL_,"axG",@progbits,_ZN7rocprim17ROCPRIM_400000_NS6detail17trampoline_kernelINS0_14default_configENS1_36segmented_radix_sort_config_selectorI12hip_bfloat16lEEZNS1_25segmented_radix_sort_implIS3_Lb0EPKS5_PS5_PKlPlN2at6native12_GLOBAL__N_18offset_tEEE10hipError_tPvRmT1_PNSt15iterator_traitsISL_E10value_typeET2_T3_PNSM_ISR_E10value_typeET4_jRbjT5_SX_jjP12ihipStream_tbEUlT_E2_NS1_11comp_targetILNS1_3genE5ELNS1_11target_archE942ELNS1_3gpuE9ELNS1_3repE0EEENS1_30default_config_static_selectorELNS0_4arch9wavefront6targetE0EEEvSL_,comdat
.Lfunc_end2080:
	.size	_ZN7rocprim17ROCPRIM_400000_NS6detail17trampoline_kernelINS0_14default_configENS1_36segmented_radix_sort_config_selectorI12hip_bfloat16lEEZNS1_25segmented_radix_sort_implIS3_Lb0EPKS5_PS5_PKlPlN2at6native12_GLOBAL__N_18offset_tEEE10hipError_tPvRmT1_PNSt15iterator_traitsISL_E10value_typeET2_T3_PNSM_ISR_E10value_typeET4_jRbjT5_SX_jjP12ihipStream_tbEUlT_E2_NS1_11comp_targetILNS1_3genE5ELNS1_11target_archE942ELNS1_3gpuE9ELNS1_3repE0EEENS1_30default_config_static_selectorELNS0_4arch9wavefront6targetE0EEEvSL_, .Lfunc_end2080-_ZN7rocprim17ROCPRIM_400000_NS6detail17trampoline_kernelINS0_14default_configENS1_36segmented_radix_sort_config_selectorI12hip_bfloat16lEEZNS1_25segmented_radix_sort_implIS3_Lb0EPKS5_PS5_PKlPlN2at6native12_GLOBAL__N_18offset_tEEE10hipError_tPvRmT1_PNSt15iterator_traitsISL_E10value_typeET2_T3_PNSM_ISR_E10value_typeET4_jRbjT5_SX_jjP12ihipStream_tbEUlT_E2_NS1_11comp_targetILNS1_3genE5ELNS1_11target_archE942ELNS1_3gpuE9ELNS1_3repE0EEENS1_30default_config_static_selectorELNS0_4arch9wavefront6targetE0EEEvSL_
                                        ; -- End function
	.set _ZN7rocprim17ROCPRIM_400000_NS6detail17trampoline_kernelINS0_14default_configENS1_36segmented_radix_sort_config_selectorI12hip_bfloat16lEEZNS1_25segmented_radix_sort_implIS3_Lb0EPKS5_PS5_PKlPlN2at6native12_GLOBAL__N_18offset_tEEE10hipError_tPvRmT1_PNSt15iterator_traitsISL_E10value_typeET2_T3_PNSM_ISR_E10value_typeET4_jRbjT5_SX_jjP12ihipStream_tbEUlT_E2_NS1_11comp_targetILNS1_3genE5ELNS1_11target_archE942ELNS1_3gpuE9ELNS1_3repE0EEENS1_30default_config_static_selectorELNS0_4arch9wavefront6targetE0EEEvSL_.num_vgpr, 0
	.set _ZN7rocprim17ROCPRIM_400000_NS6detail17trampoline_kernelINS0_14default_configENS1_36segmented_radix_sort_config_selectorI12hip_bfloat16lEEZNS1_25segmented_radix_sort_implIS3_Lb0EPKS5_PS5_PKlPlN2at6native12_GLOBAL__N_18offset_tEEE10hipError_tPvRmT1_PNSt15iterator_traitsISL_E10value_typeET2_T3_PNSM_ISR_E10value_typeET4_jRbjT5_SX_jjP12ihipStream_tbEUlT_E2_NS1_11comp_targetILNS1_3genE5ELNS1_11target_archE942ELNS1_3gpuE9ELNS1_3repE0EEENS1_30default_config_static_selectorELNS0_4arch9wavefront6targetE0EEEvSL_.num_agpr, 0
	.set _ZN7rocprim17ROCPRIM_400000_NS6detail17trampoline_kernelINS0_14default_configENS1_36segmented_radix_sort_config_selectorI12hip_bfloat16lEEZNS1_25segmented_radix_sort_implIS3_Lb0EPKS5_PS5_PKlPlN2at6native12_GLOBAL__N_18offset_tEEE10hipError_tPvRmT1_PNSt15iterator_traitsISL_E10value_typeET2_T3_PNSM_ISR_E10value_typeET4_jRbjT5_SX_jjP12ihipStream_tbEUlT_E2_NS1_11comp_targetILNS1_3genE5ELNS1_11target_archE942ELNS1_3gpuE9ELNS1_3repE0EEENS1_30default_config_static_selectorELNS0_4arch9wavefront6targetE0EEEvSL_.numbered_sgpr, 0
	.set _ZN7rocprim17ROCPRIM_400000_NS6detail17trampoline_kernelINS0_14default_configENS1_36segmented_radix_sort_config_selectorI12hip_bfloat16lEEZNS1_25segmented_radix_sort_implIS3_Lb0EPKS5_PS5_PKlPlN2at6native12_GLOBAL__N_18offset_tEEE10hipError_tPvRmT1_PNSt15iterator_traitsISL_E10value_typeET2_T3_PNSM_ISR_E10value_typeET4_jRbjT5_SX_jjP12ihipStream_tbEUlT_E2_NS1_11comp_targetILNS1_3genE5ELNS1_11target_archE942ELNS1_3gpuE9ELNS1_3repE0EEENS1_30default_config_static_selectorELNS0_4arch9wavefront6targetE0EEEvSL_.num_named_barrier, 0
	.set _ZN7rocprim17ROCPRIM_400000_NS6detail17trampoline_kernelINS0_14default_configENS1_36segmented_radix_sort_config_selectorI12hip_bfloat16lEEZNS1_25segmented_radix_sort_implIS3_Lb0EPKS5_PS5_PKlPlN2at6native12_GLOBAL__N_18offset_tEEE10hipError_tPvRmT1_PNSt15iterator_traitsISL_E10value_typeET2_T3_PNSM_ISR_E10value_typeET4_jRbjT5_SX_jjP12ihipStream_tbEUlT_E2_NS1_11comp_targetILNS1_3genE5ELNS1_11target_archE942ELNS1_3gpuE9ELNS1_3repE0EEENS1_30default_config_static_selectorELNS0_4arch9wavefront6targetE0EEEvSL_.private_seg_size, 0
	.set _ZN7rocprim17ROCPRIM_400000_NS6detail17trampoline_kernelINS0_14default_configENS1_36segmented_radix_sort_config_selectorI12hip_bfloat16lEEZNS1_25segmented_radix_sort_implIS3_Lb0EPKS5_PS5_PKlPlN2at6native12_GLOBAL__N_18offset_tEEE10hipError_tPvRmT1_PNSt15iterator_traitsISL_E10value_typeET2_T3_PNSM_ISR_E10value_typeET4_jRbjT5_SX_jjP12ihipStream_tbEUlT_E2_NS1_11comp_targetILNS1_3genE5ELNS1_11target_archE942ELNS1_3gpuE9ELNS1_3repE0EEENS1_30default_config_static_selectorELNS0_4arch9wavefront6targetE0EEEvSL_.uses_vcc, 0
	.set _ZN7rocprim17ROCPRIM_400000_NS6detail17trampoline_kernelINS0_14default_configENS1_36segmented_radix_sort_config_selectorI12hip_bfloat16lEEZNS1_25segmented_radix_sort_implIS3_Lb0EPKS5_PS5_PKlPlN2at6native12_GLOBAL__N_18offset_tEEE10hipError_tPvRmT1_PNSt15iterator_traitsISL_E10value_typeET2_T3_PNSM_ISR_E10value_typeET4_jRbjT5_SX_jjP12ihipStream_tbEUlT_E2_NS1_11comp_targetILNS1_3genE5ELNS1_11target_archE942ELNS1_3gpuE9ELNS1_3repE0EEENS1_30default_config_static_selectorELNS0_4arch9wavefront6targetE0EEEvSL_.uses_flat_scratch, 0
	.set _ZN7rocprim17ROCPRIM_400000_NS6detail17trampoline_kernelINS0_14default_configENS1_36segmented_radix_sort_config_selectorI12hip_bfloat16lEEZNS1_25segmented_radix_sort_implIS3_Lb0EPKS5_PS5_PKlPlN2at6native12_GLOBAL__N_18offset_tEEE10hipError_tPvRmT1_PNSt15iterator_traitsISL_E10value_typeET2_T3_PNSM_ISR_E10value_typeET4_jRbjT5_SX_jjP12ihipStream_tbEUlT_E2_NS1_11comp_targetILNS1_3genE5ELNS1_11target_archE942ELNS1_3gpuE9ELNS1_3repE0EEENS1_30default_config_static_selectorELNS0_4arch9wavefront6targetE0EEEvSL_.has_dyn_sized_stack, 0
	.set _ZN7rocprim17ROCPRIM_400000_NS6detail17trampoline_kernelINS0_14default_configENS1_36segmented_radix_sort_config_selectorI12hip_bfloat16lEEZNS1_25segmented_radix_sort_implIS3_Lb0EPKS5_PS5_PKlPlN2at6native12_GLOBAL__N_18offset_tEEE10hipError_tPvRmT1_PNSt15iterator_traitsISL_E10value_typeET2_T3_PNSM_ISR_E10value_typeET4_jRbjT5_SX_jjP12ihipStream_tbEUlT_E2_NS1_11comp_targetILNS1_3genE5ELNS1_11target_archE942ELNS1_3gpuE9ELNS1_3repE0EEENS1_30default_config_static_selectorELNS0_4arch9wavefront6targetE0EEEvSL_.has_recursion, 0
	.set _ZN7rocprim17ROCPRIM_400000_NS6detail17trampoline_kernelINS0_14default_configENS1_36segmented_radix_sort_config_selectorI12hip_bfloat16lEEZNS1_25segmented_radix_sort_implIS3_Lb0EPKS5_PS5_PKlPlN2at6native12_GLOBAL__N_18offset_tEEE10hipError_tPvRmT1_PNSt15iterator_traitsISL_E10value_typeET2_T3_PNSM_ISR_E10value_typeET4_jRbjT5_SX_jjP12ihipStream_tbEUlT_E2_NS1_11comp_targetILNS1_3genE5ELNS1_11target_archE942ELNS1_3gpuE9ELNS1_3repE0EEENS1_30default_config_static_selectorELNS0_4arch9wavefront6targetE0EEEvSL_.has_indirect_call, 0
	.section	.AMDGPU.csdata,"",@progbits
; Kernel info:
; codeLenInByte = 0
; TotalNumSgprs: 0
; NumVgprs: 0
; ScratchSize: 0
; MemoryBound: 0
; FloatMode: 240
; IeeeMode: 1
; LDSByteSize: 0 bytes/workgroup (compile time only)
; SGPRBlocks: 0
; VGPRBlocks: 0
; NumSGPRsForWavesPerEU: 1
; NumVGPRsForWavesPerEU: 1
; Occupancy: 16
; WaveLimiterHint : 0
; COMPUTE_PGM_RSRC2:SCRATCH_EN: 0
; COMPUTE_PGM_RSRC2:USER_SGPR: 2
; COMPUTE_PGM_RSRC2:TRAP_HANDLER: 0
; COMPUTE_PGM_RSRC2:TGID_X_EN: 1
; COMPUTE_PGM_RSRC2:TGID_Y_EN: 0
; COMPUTE_PGM_RSRC2:TGID_Z_EN: 0
; COMPUTE_PGM_RSRC2:TIDIG_COMP_CNT: 0
	.section	.text._ZN7rocprim17ROCPRIM_400000_NS6detail17trampoline_kernelINS0_14default_configENS1_36segmented_radix_sort_config_selectorI12hip_bfloat16lEEZNS1_25segmented_radix_sort_implIS3_Lb0EPKS5_PS5_PKlPlN2at6native12_GLOBAL__N_18offset_tEEE10hipError_tPvRmT1_PNSt15iterator_traitsISL_E10value_typeET2_T3_PNSM_ISR_E10value_typeET4_jRbjT5_SX_jjP12ihipStream_tbEUlT_E2_NS1_11comp_targetILNS1_3genE4ELNS1_11target_archE910ELNS1_3gpuE8ELNS1_3repE0EEENS1_30default_config_static_selectorELNS0_4arch9wavefront6targetE0EEEvSL_,"axG",@progbits,_ZN7rocprim17ROCPRIM_400000_NS6detail17trampoline_kernelINS0_14default_configENS1_36segmented_radix_sort_config_selectorI12hip_bfloat16lEEZNS1_25segmented_radix_sort_implIS3_Lb0EPKS5_PS5_PKlPlN2at6native12_GLOBAL__N_18offset_tEEE10hipError_tPvRmT1_PNSt15iterator_traitsISL_E10value_typeET2_T3_PNSM_ISR_E10value_typeET4_jRbjT5_SX_jjP12ihipStream_tbEUlT_E2_NS1_11comp_targetILNS1_3genE4ELNS1_11target_archE910ELNS1_3gpuE8ELNS1_3repE0EEENS1_30default_config_static_selectorELNS0_4arch9wavefront6targetE0EEEvSL_,comdat
	.globl	_ZN7rocprim17ROCPRIM_400000_NS6detail17trampoline_kernelINS0_14default_configENS1_36segmented_radix_sort_config_selectorI12hip_bfloat16lEEZNS1_25segmented_radix_sort_implIS3_Lb0EPKS5_PS5_PKlPlN2at6native12_GLOBAL__N_18offset_tEEE10hipError_tPvRmT1_PNSt15iterator_traitsISL_E10value_typeET2_T3_PNSM_ISR_E10value_typeET4_jRbjT5_SX_jjP12ihipStream_tbEUlT_E2_NS1_11comp_targetILNS1_3genE4ELNS1_11target_archE910ELNS1_3gpuE8ELNS1_3repE0EEENS1_30default_config_static_selectorELNS0_4arch9wavefront6targetE0EEEvSL_ ; -- Begin function _ZN7rocprim17ROCPRIM_400000_NS6detail17trampoline_kernelINS0_14default_configENS1_36segmented_radix_sort_config_selectorI12hip_bfloat16lEEZNS1_25segmented_radix_sort_implIS3_Lb0EPKS5_PS5_PKlPlN2at6native12_GLOBAL__N_18offset_tEEE10hipError_tPvRmT1_PNSt15iterator_traitsISL_E10value_typeET2_T3_PNSM_ISR_E10value_typeET4_jRbjT5_SX_jjP12ihipStream_tbEUlT_E2_NS1_11comp_targetILNS1_3genE4ELNS1_11target_archE910ELNS1_3gpuE8ELNS1_3repE0EEENS1_30default_config_static_selectorELNS0_4arch9wavefront6targetE0EEEvSL_
	.p2align	8
	.type	_ZN7rocprim17ROCPRIM_400000_NS6detail17trampoline_kernelINS0_14default_configENS1_36segmented_radix_sort_config_selectorI12hip_bfloat16lEEZNS1_25segmented_radix_sort_implIS3_Lb0EPKS5_PS5_PKlPlN2at6native12_GLOBAL__N_18offset_tEEE10hipError_tPvRmT1_PNSt15iterator_traitsISL_E10value_typeET2_T3_PNSM_ISR_E10value_typeET4_jRbjT5_SX_jjP12ihipStream_tbEUlT_E2_NS1_11comp_targetILNS1_3genE4ELNS1_11target_archE910ELNS1_3gpuE8ELNS1_3repE0EEENS1_30default_config_static_selectorELNS0_4arch9wavefront6targetE0EEEvSL_,@function
_ZN7rocprim17ROCPRIM_400000_NS6detail17trampoline_kernelINS0_14default_configENS1_36segmented_radix_sort_config_selectorI12hip_bfloat16lEEZNS1_25segmented_radix_sort_implIS3_Lb0EPKS5_PS5_PKlPlN2at6native12_GLOBAL__N_18offset_tEEE10hipError_tPvRmT1_PNSt15iterator_traitsISL_E10value_typeET2_T3_PNSM_ISR_E10value_typeET4_jRbjT5_SX_jjP12ihipStream_tbEUlT_E2_NS1_11comp_targetILNS1_3genE4ELNS1_11target_archE910ELNS1_3gpuE8ELNS1_3repE0EEENS1_30default_config_static_selectorELNS0_4arch9wavefront6targetE0EEEvSL_: ; @_ZN7rocprim17ROCPRIM_400000_NS6detail17trampoline_kernelINS0_14default_configENS1_36segmented_radix_sort_config_selectorI12hip_bfloat16lEEZNS1_25segmented_radix_sort_implIS3_Lb0EPKS5_PS5_PKlPlN2at6native12_GLOBAL__N_18offset_tEEE10hipError_tPvRmT1_PNSt15iterator_traitsISL_E10value_typeET2_T3_PNSM_ISR_E10value_typeET4_jRbjT5_SX_jjP12ihipStream_tbEUlT_E2_NS1_11comp_targetILNS1_3genE4ELNS1_11target_archE910ELNS1_3gpuE8ELNS1_3repE0EEENS1_30default_config_static_selectorELNS0_4arch9wavefront6targetE0EEEvSL_
; %bb.0:
	.section	.rodata,"a",@progbits
	.p2align	6, 0x0
	.amdhsa_kernel _ZN7rocprim17ROCPRIM_400000_NS6detail17trampoline_kernelINS0_14default_configENS1_36segmented_radix_sort_config_selectorI12hip_bfloat16lEEZNS1_25segmented_radix_sort_implIS3_Lb0EPKS5_PS5_PKlPlN2at6native12_GLOBAL__N_18offset_tEEE10hipError_tPvRmT1_PNSt15iterator_traitsISL_E10value_typeET2_T3_PNSM_ISR_E10value_typeET4_jRbjT5_SX_jjP12ihipStream_tbEUlT_E2_NS1_11comp_targetILNS1_3genE4ELNS1_11target_archE910ELNS1_3gpuE8ELNS1_3repE0EEENS1_30default_config_static_selectorELNS0_4arch9wavefront6targetE0EEEvSL_
		.amdhsa_group_segment_fixed_size 0
		.amdhsa_private_segment_fixed_size 0
		.amdhsa_kernarg_size 80
		.amdhsa_user_sgpr_count 2
		.amdhsa_user_sgpr_dispatch_ptr 0
		.amdhsa_user_sgpr_queue_ptr 0
		.amdhsa_user_sgpr_kernarg_segment_ptr 1
		.amdhsa_user_sgpr_dispatch_id 0
		.amdhsa_user_sgpr_private_segment_size 0
		.amdhsa_wavefront_size32 1
		.amdhsa_uses_dynamic_stack 0
		.amdhsa_enable_private_segment 0
		.amdhsa_system_sgpr_workgroup_id_x 1
		.amdhsa_system_sgpr_workgroup_id_y 0
		.amdhsa_system_sgpr_workgroup_id_z 0
		.amdhsa_system_sgpr_workgroup_info 0
		.amdhsa_system_vgpr_workitem_id 0
		.amdhsa_next_free_vgpr 1
		.amdhsa_next_free_sgpr 1
		.amdhsa_reserve_vcc 0
		.amdhsa_float_round_mode_32 0
		.amdhsa_float_round_mode_16_64 0
		.amdhsa_float_denorm_mode_32 3
		.amdhsa_float_denorm_mode_16_64 3
		.amdhsa_fp16_overflow 0
		.amdhsa_workgroup_processor_mode 1
		.amdhsa_memory_ordered 1
		.amdhsa_forward_progress 1
		.amdhsa_inst_pref_size 0
		.amdhsa_round_robin_scheduling 0
		.amdhsa_exception_fp_ieee_invalid_op 0
		.amdhsa_exception_fp_denorm_src 0
		.amdhsa_exception_fp_ieee_div_zero 0
		.amdhsa_exception_fp_ieee_overflow 0
		.amdhsa_exception_fp_ieee_underflow 0
		.amdhsa_exception_fp_ieee_inexact 0
		.amdhsa_exception_int_div_zero 0
	.end_amdhsa_kernel
	.section	.text._ZN7rocprim17ROCPRIM_400000_NS6detail17trampoline_kernelINS0_14default_configENS1_36segmented_radix_sort_config_selectorI12hip_bfloat16lEEZNS1_25segmented_radix_sort_implIS3_Lb0EPKS5_PS5_PKlPlN2at6native12_GLOBAL__N_18offset_tEEE10hipError_tPvRmT1_PNSt15iterator_traitsISL_E10value_typeET2_T3_PNSM_ISR_E10value_typeET4_jRbjT5_SX_jjP12ihipStream_tbEUlT_E2_NS1_11comp_targetILNS1_3genE4ELNS1_11target_archE910ELNS1_3gpuE8ELNS1_3repE0EEENS1_30default_config_static_selectorELNS0_4arch9wavefront6targetE0EEEvSL_,"axG",@progbits,_ZN7rocprim17ROCPRIM_400000_NS6detail17trampoline_kernelINS0_14default_configENS1_36segmented_radix_sort_config_selectorI12hip_bfloat16lEEZNS1_25segmented_radix_sort_implIS3_Lb0EPKS5_PS5_PKlPlN2at6native12_GLOBAL__N_18offset_tEEE10hipError_tPvRmT1_PNSt15iterator_traitsISL_E10value_typeET2_T3_PNSM_ISR_E10value_typeET4_jRbjT5_SX_jjP12ihipStream_tbEUlT_E2_NS1_11comp_targetILNS1_3genE4ELNS1_11target_archE910ELNS1_3gpuE8ELNS1_3repE0EEENS1_30default_config_static_selectorELNS0_4arch9wavefront6targetE0EEEvSL_,comdat
.Lfunc_end2081:
	.size	_ZN7rocprim17ROCPRIM_400000_NS6detail17trampoline_kernelINS0_14default_configENS1_36segmented_radix_sort_config_selectorI12hip_bfloat16lEEZNS1_25segmented_radix_sort_implIS3_Lb0EPKS5_PS5_PKlPlN2at6native12_GLOBAL__N_18offset_tEEE10hipError_tPvRmT1_PNSt15iterator_traitsISL_E10value_typeET2_T3_PNSM_ISR_E10value_typeET4_jRbjT5_SX_jjP12ihipStream_tbEUlT_E2_NS1_11comp_targetILNS1_3genE4ELNS1_11target_archE910ELNS1_3gpuE8ELNS1_3repE0EEENS1_30default_config_static_selectorELNS0_4arch9wavefront6targetE0EEEvSL_, .Lfunc_end2081-_ZN7rocprim17ROCPRIM_400000_NS6detail17trampoline_kernelINS0_14default_configENS1_36segmented_radix_sort_config_selectorI12hip_bfloat16lEEZNS1_25segmented_radix_sort_implIS3_Lb0EPKS5_PS5_PKlPlN2at6native12_GLOBAL__N_18offset_tEEE10hipError_tPvRmT1_PNSt15iterator_traitsISL_E10value_typeET2_T3_PNSM_ISR_E10value_typeET4_jRbjT5_SX_jjP12ihipStream_tbEUlT_E2_NS1_11comp_targetILNS1_3genE4ELNS1_11target_archE910ELNS1_3gpuE8ELNS1_3repE0EEENS1_30default_config_static_selectorELNS0_4arch9wavefront6targetE0EEEvSL_
                                        ; -- End function
	.set _ZN7rocprim17ROCPRIM_400000_NS6detail17trampoline_kernelINS0_14default_configENS1_36segmented_radix_sort_config_selectorI12hip_bfloat16lEEZNS1_25segmented_radix_sort_implIS3_Lb0EPKS5_PS5_PKlPlN2at6native12_GLOBAL__N_18offset_tEEE10hipError_tPvRmT1_PNSt15iterator_traitsISL_E10value_typeET2_T3_PNSM_ISR_E10value_typeET4_jRbjT5_SX_jjP12ihipStream_tbEUlT_E2_NS1_11comp_targetILNS1_3genE4ELNS1_11target_archE910ELNS1_3gpuE8ELNS1_3repE0EEENS1_30default_config_static_selectorELNS0_4arch9wavefront6targetE0EEEvSL_.num_vgpr, 0
	.set _ZN7rocprim17ROCPRIM_400000_NS6detail17trampoline_kernelINS0_14default_configENS1_36segmented_radix_sort_config_selectorI12hip_bfloat16lEEZNS1_25segmented_radix_sort_implIS3_Lb0EPKS5_PS5_PKlPlN2at6native12_GLOBAL__N_18offset_tEEE10hipError_tPvRmT1_PNSt15iterator_traitsISL_E10value_typeET2_T3_PNSM_ISR_E10value_typeET4_jRbjT5_SX_jjP12ihipStream_tbEUlT_E2_NS1_11comp_targetILNS1_3genE4ELNS1_11target_archE910ELNS1_3gpuE8ELNS1_3repE0EEENS1_30default_config_static_selectorELNS0_4arch9wavefront6targetE0EEEvSL_.num_agpr, 0
	.set _ZN7rocprim17ROCPRIM_400000_NS6detail17trampoline_kernelINS0_14default_configENS1_36segmented_radix_sort_config_selectorI12hip_bfloat16lEEZNS1_25segmented_radix_sort_implIS3_Lb0EPKS5_PS5_PKlPlN2at6native12_GLOBAL__N_18offset_tEEE10hipError_tPvRmT1_PNSt15iterator_traitsISL_E10value_typeET2_T3_PNSM_ISR_E10value_typeET4_jRbjT5_SX_jjP12ihipStream_tbEUlT_E2_NS1_11comp_targetILNS1_3genE4ELNS1_11target_archE910ELNS1_3gpuE8ELNS1_3repE0EEENS1_30default_config_static_selectorELNS0_4arch9wavefront6targetE0EEEvSL_.numbered_sgpr, 0
	.set _ZN7rocprim17ROCPRIM_400000_NS6detail17trampoline_kernelINS0_14default_configENS1_36segmented_radix_sort_config_selectorI12hip_bfloat16lEEZNS1_25segmented_radix_sort_implIS3_Lb0EPKS5_PS5_PKlPlN2at6native12_GLOBAL__N_18offset_tEEE10hipError_tPvRmT1_PNSt15iterator_traitsISL_E10value_typeET2_T3_PNSM_ISR_E10value_typeET4_jRbjT5_SX_jjP12ihipStream_tbEUlT_E2_NS1_11comp_targetILNS1_3genE4ELNS1_11target_archE910ELNS1_3gpuE8ELNS1_3repE0EEENS1_30default_config_static_selectorELNS0_4arch9wavefront6targetE0EEEvSL_.num_named_barrier, 0
	.set _ZN7rocprim17ROCPRIM_400000_NS6detail17trampoline_kernelINS0_14default_configENS1_36segmented_radix_sort_config_selectorI12hip_bfloat16lEEZNS1_25segmented_radix_sort_implIS3_Lb0EPKS5_PS5_PKlPlN2at6native12_GLOBAL__N_18offset_tEEE10hipError_tPvRmT1_PNSt15iterator_traitsISL_E10value_typeET2_T3_PNSM_ISR_E10value_typeET4_jRbjT5_SX_jjP12ihipStream_tbEUlT_E2_NS1_11comp_targetILNS1_3genE4ELNS1_11target_archE910ELNS1_3gpuE8ELNS1_3repE0EEENS1_30default_config_static_selectorELNS0_4arch9wavefront6targetE0EEEvSL_.private_seg_size, 0
	.set _ZN7rocprim17ROCPRIM_400000_NS6detail17trampoline_kernelINS0_14default_configENS1_36segmented_radix_sort_config_selectorI12hip_bfloat16lEEZNS1_25segmented_radix_sort_implIS3_Lb0EPKS5_PS5_PKlPlN2at6native12_GLOBAL__N_18offset_tEEE10hipError_tPvRmT1_PNSt15iterator_traitsISL_E10value_typeET2_T3_PNSM_ISR_E10value_typeET4_jRbjT5_SX_jjP12ihipStream_tbEUlT_E2_NS1_11comp_targetILNS1_3genE4ELNS1_11target_archE910ELNS1_3gpuE8ELNS1_3repE0EEENS1_30default_config_static_selectorELNS0_4arch9wavefront6targetE0EEEvSL_.uses_vcc, 0
	.set _ZN7rocprim17ROCPRIM_400000_NS6detail17trampoline_kernelINS0_14default_configENS1_36segmented_radix_sort_config_selectorI12hip_bfloat16lEEZNS1_25segmented_radix_sort_implIS3_Lb0EPKS5_PS5_PKlPlN2at6native12_GLOBAL__N_18offset_tEEE10hipError_tPvRmT1_PNSt15iterator_traitsISL_E10value_typeET2_T3_PNSM_ISR_E10value_typeET4_jRbjT5_SX_jjP12ihipStream_tbEUlT_E2_NS1_11comp_targetILNS1_3genE4ELNS1_11target_archE910ELNS1_3gpuE8ELNS1_3repE0EEENS1_30default_config_static_selectorELNS0_4arch9wavefront6targetE0EEEvSL_.uses_flat_scratch, 0
	.set _ZN7rocprim17ROCPRIM_400000_NS6detail17trampoline_kernelINS0_14default_configENS1_36segmented_radix_sort_config_selectorI12hip_bfloat16lEEZNS1_25segmented_radix_sort_implIS3_Lb0EPKS5_PS5_PKlPlN2at6native12_GLOBAL__N_18offset_tEEE10hipError_tPvRmT1_PNSt15iterator_traitsISL_E10value_typeET2_T3_PNSM_ISR_E10value_typeET4_jRbjT5_SX_jjP12ihipStream_tbEUlT_E2_NS1_11comp_targetILNS1_3genE4ELNS1_11target_archE910ELNS1_3gpuE8ELNS1_3repE0EEENS1_30default_config_static_selectorELNS0_4arch9wavefront6targetE0EEEvSL_.has_dyn_sized_stack, 0
	.set _ZN7rocprim17ROCPRIM_400000_NS6detail17trampoline_kernelINS0_14default_configENS1_36segmented_radix_sort_config_selectorI12hip_bfloat16lEEZNS1_25segmented_radix_sort_implIS3_Lb0EPKS5_PS5_PKlPlN2at6native12_GLOBAL__N_18offset_tEEE10hipError_tPvRmT1_PNSt15iterator_traitsISL_E10value_typeET2_T3_PNSM_ISR_E10value_typeET4_jRbjT5_SX_jjP12ihipStream_tbEUlT_E2_NS1_11comp_targetILNS1_3genE4ELNS1_11target_archE910ELNS1_3gpuE8ELNS1_3repE0EEENS1_30default_config_static_selectorELNS0_4arch9wavefront6targetE0EEEvSL_.has_recursion, 0
	.set _ZN7rocprim17ROCPRIM_400000_NS6detail17trampoline_kernelINS0_14default_configENS1_36segmented_radix_sort_config_selectorI12hip_bfloat16lEEZNS1_25segmented_radix_sort_implIS3_Lb0EPKS5_PS5_PKlPlN2at6native12_GLOBAL__N_18offset_tEEE10hipError_tPvRmT1_PNSt15iterator_traitsISL_E10value_typeET2_T3_PNSM_ISR_E10value_typeET4_jRbjT5_SX_jjP12ihipStream_tbEUlT_E2_NS1_11comp_targetILNS1_3genE4ELNS1_11target_archE910ELNS1_3gpuE8ELNS1_3repE0EEENS1_30default_config_static_selectorELNS0_4arch9wavefront6targetE0EEEvSL_.has_indirect_call, 0
	.section	.AMDGPU.csdata,"",@progbits
; Kernel info:
; codeLenInByte = 0
; TotalNumSgprs: 0
; NumVgprs: 0
; ScratchSize: 0
; MemoryBound: 0
; FloatMode: 240
; IeeeMode: 1
; LDSByteSize: 0 bytes/workgroup (compile time only)
; SGPRBlocks: 0
; VGPRBlocks: 0
; NumSGPRsForWavesPerEU: 1
; NumVGPRsForWavesPerEU: 1
; Occupancy: 16
; WaveLimiterHint : 0
; COMPUTE_PGM_RSRC2:SCRATCH_EN: 0
; COMPUTE_PGM_RSRC2:USER_SGPR: 2
; COMPUTE_PGM_RSRC2:TRAP_HANDLER: 0
; COMPUTE_PGM_RSRC2:TGID_X_EN: 1
; COMPUTE_PGM_RSRC2:TGID_Y_EN: 0
; COMPUTE_PGM_RSRC2:TGID_Z_EN: 0
; COMPUTE_PGM_RSRC2:TIDIG_COMP_CNT: 0
	.section	.text._ZN7rocprim17ROCPRIM_400000_NS6detail17trampoline_kernelINS0_14default_configENS1_36segmented_radix_sort_config_selectorI12hip_bfloat16lEEZNS1_25segmented_radix_sort_implIS3_Lb0EPKS5_PS5_PKlPlN2at6native12_GLOBAL__N_18offset_tEEE10hipError_tPvRmT1_PNSt15iterator_traitsISL_E10value_typeET2_T3_PNSM_ISR_E10value_typeET4_jRbjT5_SX_jjP12ihipStream_tbEUlT_E2_NS1_11comp_targetILNS1_3genE3ELNS1_11target_archE908ELNS1_3gpuE7ELNS1_3repE0EEENS1_30default_config_static_selectorELNS0_4arch9wavefront6targetE0EEEvSL_,"axG",@progbits,_ZN7rocprim17ROCPRIM_400000_NS6detail17trampoline_kernelINS0_14default_configENS1_36segmented_radix_sort_config_selectorI12hip_bfloat16lEEZNS1_25segmented_radix_sort_implIS3_Lb0EPKS5_PS5_PKlPlN2at6native12_GLOBAL__N_18offset_tEEE10hipError_tPvRmT1_PNSt15iterator_traitsISL_E10value_typeET2_T3_PNSM_ISR_E10value_typeET4_jRbjT5_SX_jjP12ihipStream_tbEUlT_E2_NS1_11comp_targetILNS1_3genE3ELNS1_11target_archE908ELNS1_3gpuE7ELNS1_3repE0EEENS1_30default_config_static_selectorELNS0_4arch9wavefront6targetE0EEEvSL_,comdat
	.globl	_ZN7rocprim17ROCPRIM_400000_NS6detail17trampoline_kernelINS0_14default_configENS1_36segmented_radix_sort_config_selectorI12hip_bfloat16lEEZNS1_25segmented_radix_sort_implIS3_Lb0EPKS5_PS5_PKlPlN2at6native12_GLOBAL__N_18offset_tEEE10hipError_tPvRmT1_PNSt15iterator_traitsISL_E10value_typeET2_T3_PNSM_ISR_E10value_typeET4_jRbjT5_SX_jjP12ihipStream_tbEUlT_E2_NS1_11comp_targetILNS1_3genE3ELNS1_11target_archE908ELNS1_3gpuE7ELNS1_3repE0EEENS1_30default_config_static_selectorELNS0_4arch9wavefront6targetE0EEEvSL_ ; -- Begin function _ZN7rocprim17ROCPRIM_400000_NS6detail17trampoline_kernelINS0_14default_configENS1_36segmented_radix_sort_config_selectorI12hip_bfloat16lEEZNS1_25segmented_radix_sort_implIS3_Lb0EPKS5_PS5_PKlPlN2at6native12_GLOBAL__N_18offset_tEEE10hipError_tPvRmT1_PNSt15iterator_traitsISL_E10value_typeET2_T3_PNSM_ISR_E10value_typeET4_jRbjT5_SX_jjP12ihipStream_tbEUlT_E2_NS1_11comp_targetILNS1_3genE3ELNS1_11target_archE908ELNS1_3gpuE7ELNS1_3repE0EEENS1_30default_config_static_selectorELNS0_4arch9wavefront6targetE0EEEvSL_
	.p2align	8
	.type	_ZN7rocprim17ROCPRIM_400000_NS6detail17trampoline_kernelINS0_14default_configENS1_36segmented_radix_sort_config_selectorI12hip_bfloat16lEEZNS1_25segmented_radix_sort_implIS3_Lb0EPKS5_PS5_PKlPlN2at6native12_GLOBAL__N_18offset_tEEE10hipError_tPvRmT1_PNSt15iterator_traitsISL_E10value_typeET2_T3_PNSM_ISR_E10value_typeET4_jRbjT5_SX_jjP12ihipStream_tbEUlT_E2_NS1_11comp_targetILNS1_3genE3ELNS1_11target_archE908ELNS1_3gpuE7ELNS1_3repE0EEENS1_30default_config_static_selectorELNS0_4arch9wavefront6targetE0EEEvSL_,@function
_ZN7rocprim17ROCPRIM_400000_NS6detail17trampoline_kernelINS0_14default_configENS1_36segmented_radix_sort_config_selectorI12hip_bfloat16lEEZNS1_25segmented_radix_sort_implIS3_Lb0EPKS5_PS5_PKlPlN2at6native12_GLOBAL__N_18offset_tEEE10hipError_tPvRmT1_PNSt15iterator_traitsISL_E10value_typeET2_T3_PNSM_ISR_E10value_typeET4_jRbjT5_SX_jjP12ihipStream_tbEUlT_E2_NS1_11comp_targetILNS1_3genE3ELNS1_11target_archE908ELNS1_3gpuE7ELNS1_3repE0EEENS1_30default_config_static_selectorELNS0_4arch9wavefront6targetE0EEEvSL_: ; @_ZN7rocprim17ROCPRIM_400000_NS6detail17trampoline_kernelINS0_14default_configENS1_36segmented_radix_sort_config_selectorI12hip_bfloat16lEEZNS1_25segmented_radix_sort_implIS3_Lb0EPKS5_PS5_PKlPlN2at6native12_GLOBAL__N_18offset_tEEE10hipError_tPvRmT1_PNSt15iterator_traitsISL_E10value_typeET2_T3_PNSM_ISR_E10value_typeET4_jRbjT5_SX_jjP12ihipStream_tbEUlT_E2_NS1_11comp_targetILNS1_3genE3ELNS1_11target_archE908ELNS1_3gpuE7ELNS1_3repE0EEENS1_30default_config_static_selectorELNS0_4arch9wavefront6targetE0EEEvSL_
; %bb.0:
	.section	.rodata,"a",@progbits
	.p2align	6, 0x0
	.amdhsa_kernel _ZN7rocprim17ROCPRIM_400000_NS6detail17trampoline_kernelINS0_14default_configENS1_36segmented_radix_sort_config_selectorI12hip_bfloat16lEEZNS1_25segmented_radix_sort_implIS3_Lb0EPKS5_PS5_PKlPlN2at6native12_GLOBAL__N_18offset_tEEE10hipError_tPvRmT1_PNSt15iterator_traitsISL_E10value_typeET2_T3_PNSM_ISR_E10value_typeET4_jRbjT5_SX_jjP12ihipStream_tbEUlT_E2_NS1_11comp_targetILNS1_3genE3ELNS1_11target_archE908ELNS1_3gpuE7ELNS1_3repE0EEENS1_30default_config_static_selectorELNS0_4arch9wavefront6targetE0EEEvSL_
		.amdhsa_group_segment_fixed_size 0
		.amdhsa_private_segment_fixed_size 0
		.amdhsa_kernarg_size 80
		.amdhsa_user_sgpr_count 2
		.amdhsa_user_sgpr_dispatch_ptr 0
		.amdhsa_user_sgpr_queue_ptr 0
		.amdhsa_user_sgpr_kernarg_segment_ptr 1
		.amdhsa_user_sgpr_dispatch_id 0
		.amdhsa_user_sgpr_private_segment_size 0
		.amdhsa_wavefront_size32 1
		.amdhsa_uses_dynamic_stack 0
		.amdhsa_enable_private_segment 0
		.amdhsa_system_sgpr_workgroup_id_x 1
		.amdhsa_system_sgpr_workgroup_id_y 0
		.amdhsa_system_sgpr_workgroup_id_z 0
		.amdhsa_system_sgpr_workgroup_info 0
		.amdhsa_system_vgpr_workitem_id 0
		.amdhsa_next_free_vgpr 1
		.amdhsa_next_free_sgpr 1
		.amdhsa_reserve_vcc 0
		.amdhsa_float_round_mode_32 0
		.amdhsa_float_round_mode_16_64 0
		.amdhsa_float_denorm_mode_32 3
		.amdhsa_float_denorm_mode_16_64 3
		.amdhsa_fp16_overflow 0
		.amdhsa_workgroup_processor_mode 1
		.amdhsa_memory_ordered 1
		.amdhsa_forward_progress 1
		.amdhsa_inst_pref_size 0
		.amdhsa_round_robin_scheduling 0
		.amdhsa_exception_fp_ieee_invalid_op 0
		.amdhsa_exception_fp_denorm_src 0
		.amdhsa_exception_fp_ieee_div_zero 0
		.amdhsa_exception_fp_ieee_overflow 0
		.amdhsa_exception_fp_ieee_underflow 0
		.amdhsa_exception_fp_ieee_inexact 0
		.amdhsa_exception_int_div_zero 0
	.end_amdhsa_kernel
	.section	.text._ZN7rocprim17ROCPRIM_400000_NS6detail17trampoline_kernelINS0_14default_configENS1_36segmented_radix_sort_config_selectorI12hip_bfloat16lEEZNS1_25segmented_radix_sort_implIS3_Lb0EPKS5_PS5_PKlPlN2at6native12_GLOBAL__N_18offset_tEEE10hipError_tPvRmT1_PNSt15iterator_traitsISL_E10value_typeET2_T3_PNSM_ISR_E10value_typeET4_jRbjT5_SX_jjP12ihipStream_tbEUlT_E2_NS1_11comp_targetILNS1_3genE3ELNS1_11target_archE908ELNS1_3gpuE7ELNS1_3repE0EEENS1_30default_config_static_selectorELNS0_4arch9wavefront6targetE0EEEvSL_,"axG",@progbits,_ZN7rocprim17ROCPRIM_400000_NS6detail17trampoline_kernelINS0_14default_configENS1_36segmented_radix_sort_config_selectorI12hip_bfloat16lEEZNS1_25segmented_radix_sort_implIS3_Lb0EPKS5_PS5_PKlPlN2at6native12_GLOBAL__N_18offset_tEEE10hipError_tPvRmT1_PNSt15iterator_traitsISL_E10value_typeET2_T3_PNSM_ISR_E10value_typeET4_jRbjT5_SX_jjP12ihipStream_tbEUlT_E2_NS1_11comp_targetILNS1_3genE3ELNS1_11target_archE908ELNS1_3gpuE7ELNS1_3repE0EEENS1_30default_config_static_selectorELNS0_4arch9wavefront6targetE0EEEvSL_,comdat
.Lfunc_end2082:
	.size	_ZN7rocprim17ROCPRIM_400000_NS6detail17trampoline_kernelINS0_14default_configENS1_36segmented_radix_sort_config_selectorI12hip_bfloat16lEEZNS1_25segmented_radix_sort_implIS3_Lb0EPKS5_PS5_PKlPlN2at6native12_GLOBAL__N_18offset_tEEE10hipError_tPvRmT1_PNSt15iterator_traitsISL_E10value_typeET2_T3_PNSM_ISR_E10value_typeET4_jRbjT5_SX_jjP12ihipStream_tbEUlT_E2_NS1_11comp_targetILNS1_3genE3ELNS1_11target_archE908ELNS1_3gpuE7ELNS1_3repE0EEENS1_30default_config_static_selectorELNS0_4arch9wavefront6targetE0EEEvSL_, .Lfunc_end2082-_ZN7rocprim17ROCPRIM_400000_NS6detail17trampoline_kernelINS0_14default_configENS1_36segmented_radix_sort_config_selectorI12hip_bfloat16lEEZNS1_25segmented_radix_sort_implIS3_Lb0EPKS5_PS5_PKlPlN2at6native12_GLOBAL__N_18offset_tEEE10hipError_tPvRmT1_PNSt15iterator_traitsISL_E10value_typeET2_T3_PNSM_ISR_E10value_typeET4_jRbjT5_SX_jjP12ihipStream_tbEUlT_E2_NS1_11comp_targetILNS1_3genE3ELNS1_11target_archE908ELNS1_3gpuE7ELNS1_3repE0EEENS1_30default_config_static_selectorELNS0_4arch9wavefront6targetE0EEEvSL_
                                        ; -- End function
	.set _ZN7rocprim17ROCPRIM_400000_NS6detail17trampoline_kernelINS0_14default_configENS1_36segmented_radix_sort_config_selectorI12hip_bfloat16lEEZNS1_25segmented_radix_sort_implIS3_Lb0EPKS5_PS5_PKlPlN2at6native12_GLOBAL__N_18offset_tEEE10hipError_tPvRmT1_PNSt15iterator_traitsISL_E10value_typeET2_T3_PNSM_ISR_E10value_typeET4_jRbjT5_SX_jjP12ihipStream_tbEUlT_E2_NS1_11comp_targetILNS1_3genE3ELNS1_11target_archE908ELNS1_3gpuE7ELNS1_3repE0EEENS1_30default_config_static_selectorELNS0_4arch9wavefront6targetE0EEEvSL_.num_vgpr, 0
	.set _ZN7rocprim17ROCPRIM_400000_NS6detail17trampoline_kernelINS0_14default_configENS1_36segmented_radix_sort_config_selectorI12hip_bfloat16lEEZNS1_25segmented_radix_sort_implIS3_Lb0EPKS5_PS5_PKlPlN2at6native12_GLOBAL__N_18offset_tEEE10hipError_tPvRmT1_PNSt15iterator_traitsISL_E10value_typeET2_T3_PNSM_ISR_E10value_typeET4_jRbjT5_SX_jjP12ihipStream_tbEUlT_E2_NS1_11comp_targetILNS1_3genE3ELNS1_11target_archE908ELNS1_3gpuE7ELNS1_3repE0EEENS1_30default_config_static_selectorELNS0_4arch9wavefront6targetE0EEEvSL_.num_agpr, 0
	.set _ZN7rocprim17ROCPRIM_400000_NS6detail17trampoline_kernelINS0_14default_configENS1_36segmented_radix_sort_config_selectorI12hip_bfloat16lEEZNS1_25segmented_radix_sort_implIS3_Lb0EPKS5_PS5_PKlPlN2at6native12_GLOBAL__N_18offset_tEEE10hipError_tPvRmT1_PNSt15iterator_traitsISL_E10value_typeET2_T3_PNSM_ISR_E10value_typeET4_jRbjT5_SX_jjP12ihipStream_tbEUlT_E2_NS1_11comp_targetILNS1_3genE3ELNS1_11target_archE908ELNS1_3gpuE7ELNS1_3repE0EEENS1_30default_config_static_selectorELNS0_4arch9wavefront6targetE0EEEvSL_.numbered_sgpr, 0
	.set _ZN7rocprim17ROCPRIM_400000_NS6detail17trampoline_kernelINS0_14default_configENS1_36segmented_radix_sort_config_selectorI12hip_bfloat16lEEZNS1_25segmented_radix_sort_implIS3_Lb0EPKS5_PS5_PKlPlN2at6native12_GLOBAL__N_18offset_tEEE10hipError_tPvRmT1_PNSt15iterator_traitsISL_E10value_typeET2_T3_PNSM_ISR_E10value_typeET4_jRbjT5_SX_jjP12ihipStream_tbEUlT_E2_NS1_11comp_targetILNS1_3genE3ELNS1_11target_archE908ELNS1_3gpuE7ELNS1_3repE0EEENS1_30default_config_static_selectorELNS0_4arch9wavefront6targetE0EEEvSL_.num_named_barrier, 0
	.set _ZN7rocprim17ROCPRIM_400000_NS6detail17trampoline_kernelINS0_14default_configENS1_36segmented_radix_sort_config_selectorI12hip_bfloat16lEEZNS1_25segmented_radix_sort_implIS3_Lb0EPKS5_PS5_PKlPlN2at6native12_GLOBAL__N_18offset_tEEE10hipError_tPvRmT1_PNSt15iterator_traitsISL_E10value_typeET2_T3_PNSM_ISR_E10value_typeET4_jRbjT5_SX_jjP12ihipStream_tbEUlT_E2_NS1_11comp_targetILNS1_3genE3ELNS1_11target_archE908ELNS1_3gpuE7ELNS1_3repE0EEENS1_30default_config_static_selectorELNS0_4arch9wavefront6targetE0EEEvSL_.private_seg_size, 0
	.set _ZN7rocprim17ROCPRIM_400000_NS6detail17trampoline_kernelINS0_14default_configENS1_36segmented_radix_sort_config_selectorI12hip_bfloat16lEEZNS1_25segmented_radix_sort_implIS3_Lb0EPKS5_PS5_PKlPlN2at6native12_GLOBAL__N_18offset_tEEE10hipError_tPvRmT1_PNSt15iterator_traitsISL_E10value_typeET2_T3_PNSM_ISR_E10value_typeET4_jRbjT5_SX_jjP12ihipStream_tbEUlT_E2_NS1_11comp_targetILNS1_3genE3ELNS1_11target_archE908ELNS1_3gpuE7ELNS1_3repE0EEENS1_30default_config_static_selectorELNS0_4arch9wavefront6targetE0EEEvSL_.uses_vcc, 0
	.set _ZN7rocprim17ROCPRIM_400000_NS6detail17trampoline_kernelINS0_14default_configENS1_36segmented_radix_sort_config_selectorI12hip_bfloat16lEEZNS1_25segmented_radix_sort_implIS3_Lb0EPKS5_PS5_PKlPlN2at6native12_GLOBAL__N_18offset_tEEE10hipError_tPvRmT1_PNSt15iterator_traitsISL_E10value_typeET2_T3_PNSM_ISR_E10value_typeET4_jRbjT5_SX_jjP12ihipStream_tbEUlT_E2_NS1_11comp_targetILNS1_3genE3ELNS1_11target_archE908ELNS1_3gpuE7ELNS1_3repE0EEENS1_30default_config_static_selectorELNS0_4arch9wavefront6targetE0EEEvSL_.uses_flat_scratch, 0
	.set _ZN7rocprim17ROCPRIM_400000_NS6detail17trampoline_kernelINS0_14default_configENS1_36segmented_radix_sort_config_selectorI12hip_bfloat16lEEZNS1_25segmented_radix_sort_implIS3_Lb0EPKS5_PS5_PKlPlN2at6native12_GLOBAL__N_18offset_tEEE10hipError_tPvRmT1_PNSt15iterator_traitsISL_E10value_typeET2_T3_PNSM_ISR_E10value_typeET4_jRbjT5_SX_jjP12ihipStream_tbEUlT_E2_NS1_11comp_targetILNS1_3genE3ELNS1_11target_archE908ELNS1_3gpuE7ELNS1_3repE0EEENS1_30default_config_static_selectorELNS0_4arch9wavefront6targetE0EEEvSL_.has_dyn_sized_stack, 0
	.set _ZN7rocprim17ROCPRIM_400000_NS6detail17trampoline_kernelINS0_14default_configENS1_36segmented_radix_sort_config_selectorI12hip_bfloat16lEEZNS1_25segmented_radix_sort_implIS3_Lb0EPKS5_PS5_PKlPlN2at6native12_GLOBAL__N_18offset_tEEE10hipError_tPvRmT1_PNSt15iterator_traitsISL_E10value_typeET2_T3_PNSM_ISR_E10value_typeET4_jRbjT5_SX_jjP12ihipStream_tbEUlT_E2_NS1_11comp_targetILNS1_3genE3ELNS1_11target_archE908ELNS1_3gpuE7ELNS1_3repE0EEENS1_30default_config_static_selectorELNS0_4arch9wavefront6targetE0EEEvSL_.has_recursion, 0
	.set _ZN7rocprim17ROCPRIM_400000_NS6detail17trampoline_kernelINS0_14default_configENS1_36segmented_radix_sort_config_selectorI12hip_bfloat16lEEZNS1_25segmented_radix_sort_implIS3_Lb0EPKS5_PS5_PKlPlN2at6native12_GLOBAL__N_18offset_tEEE10hipError_tPvRmT1_PNSt15iterator_traitsISL_E10value_typeET2_T3_PNSM_ISR_E10value_typeET4_jRbjT5_SX_jjP12ihipStream_tbEUlT_E2_NS1_11comp_targetILNS1_3genE3ELNS1_11target_archE908ELNS1_3gpuE7ELNS1_3repE0EEENS1_30default_config_static_selectorELNS0_4arch9wavefront6targetE0EEEvSL_.has_indirect_call, 0
	.section	.AMDGPU.csdata,"",@progbits
; Kernel info:
; codeLenInByte = 0
; TotalNumSgprs: 0
; NumVgprs: 0
; ScratchSize: 0
; MemoryBound: 0
; FloatMode: 240
; IeeeMode: 1
; LDSByteSize: 0 bytes/workgroup (compile time only)
; SGPRBlocks: 0
; VGPRBlocks: 0
; NumSGPRsForWavesPerEU: 1
; NumVGPRsForWavesPerEU: 1
; Occupancy: 16
; WaveLimiterHint : 0
; COMPUTE_PGM_RSRC2:SCRATCH_EN: 0
; COMPUTE_PGM_RSRC2:USER_SGPR: 2
; COMPUTE_PGM_RSRC2:TRAP_HANDLER: 0
; COMPUTE_PGM_RSRC2:TGID_X_EN: 1
; COMPUTE_PGM_RSRC2:TGID_Y_EN: 0
; COMPUTE_PGM_RSRC2:TGID_Z_EN: 0
; COMPUTE_PGM_RSRC2:TIDIG_COMP_CNT: 0
	.section	.text._ZN7rocprim17ROCPRIM_400000_NS6detail17trampoline_kernelINS0_14default_configENS1_36segmented_radix_sort_config_selectorI12hip_bfloat16lEEZNS1_25segmented_radix_sort_implIS3_Lb0EPKS5_PS5_PKlPlN2at6native12_GLOBAL__N_18offset_tEEE10hipError_tPvRmT1_PNSt15iterator_traitsISL_E10value_typeET2_T3_PNSM_ISR_E10value_typeET4_jRbjT5_SX_jjP12ihipStream_tbEUlT_E2_NS1_11comp_targetILNS1_3genE2ELNS1_11target_archE906ELNS1_3gpuE6ELNS1_3repE0EEENS1_30default_config_static_selectorELNS0_4arch9wavefront6targetE0EEEvSL_,"axG",@progbits,_ZN7rocprim17ROCPRIM_400000_NS6detail17trampoline_kernelINS0_14default_configENS1_36segmented_radix_sort_config_selectorI12hip_bfloat16lEEZNS1_25segmented_radix_sort_implIS3_Lb0EPKS5_PS5_PKlPlN2at6native12_GLOBAL__N_18offset_tEEE10hipError_tPvRmT1_PNSt15iterator_traitsISL_E10value_typeET2_T3_PNSM_ISR_E10value_typeET4_jRbjT5_SX_jjP12ihipStream_tbEUlT_E2_NS1_11comp_targetILNS1_3genE2ELNS1_11target_archE906ELNS1_3gpuE6ELNS1_3repE0EEENS1_30default_config_static_selectorELNS0_4arch9wavefront6targetE0EEEvSL_,comdat
	.globl	_ZN7rocprim17ROCPRIM_400000_NS6detail17trampoline_kernelINS0_14default_configENS1_36segmented_radix_sort_config_selectorI12hip_bfloat16lEEZNS1_25segmented_radix_sort_implIS3_Lb0EPKS5_PS5_PKlPlN2at6native12_GLOBAL__N_18offset_tEEE10hipError_tPvRmT1_PNSt15iterator_traitsISL_E10value_typeET2_T3_PNSM_ISR_E10value_typeET4_jRbjT5_SX_jjP12ihipStream_tbEUlT_E2_NS1_11comp_targetILNS1_3genE2ELNS1_11target_archE906ELNS1_3gpuE6ELNS1_3repE0EEENS1_30default_config_static_selectorELNS0_4arch9wavefront6targetE0EEEvSL_ ; -- Begin function _ZN7rocprim17ROCPRIM_400000_NS6detail17trampoline_kernelINS0_14default_configENS1_36segmented_radix_sort_config_selectorI12hip_bfloat16lEEZNS1_25segmented_radix_sort_implIS3_Lb0EPKS5_PS5_PKlPlN2at6native12_GLOBAL__N_18offset_tEEE10hipError_tPvRmT1_PNSt15iterator_traitsISL_E10value_typeET2_T3_PNSM_ISR_E10value_typeET4_jRbjT5_SX_jjP12ihipStream_tbEUlT_E2_NS1_11comp_targetILNS1_3genE2ELNS1_11target_archE906ELNS1_3gpuE6ELNS1_3repE0EEENS1_30default_config_static_selectorELNS0_4arch9wavefront6targetE0EEEvSL_
	.p2align	8
	.type	_ZN7rocprim17ROCPRIM_400000_NS6detail17trampoline_kernelINS0_14default_configENS1_36segmented_radix_sort_config_selectorI12hip_bfloat16lEEZNS1_25segmented_radix_sort_implIS3_Lb0EPKS5_PS5_PKlPlN2at6native12_GLOBAL__N_18offset_tEEE10hipError_tPvRmT1_PNSt15iterator_traitsISL_E10value_typeET2_T3_PNSM_ISR_E10value_typeET4_jRbjT5_SX_jjP12ihipStream_tbEUlT_E2_NS1_11comp_targetILNS1_3genE2ELNS1_11target_archE906ELNS1_3gpuE6ELNS1_3repE0EEENS1_30default_config_static_selectorELNS0_4arch9wavefront6targetE0EEEvSL_,@function
_ZN7rocprim17ROCPRIM_400000_NS6detail17trampoline_kernelINS0_14default_configENS1_36segmented_radix_sort_config_selectorI12hip_bfloat16lEEZNS1_25segmented_radix_sort_implIS3_Lb0EPKS5_PS5_PKlPlN2at6native12_GLOBAL__N_18offset_tEEE10hipError_tPvRmT1_PNSt15iterator_traitsISL_E10value_typeET2_T3_PNSM_ISR_E10value_typeET4_jRbjT5_SX_jjP12ihipStream_tbEUlT_E2_NS1_11comp_targetILNS1_3genE2ELNS1_11target_archE906ELNS1_3gpuE6ELNS1_3repE0EEENS1_30default_config_static_selectorELNS0_4arch9wavefront6targetE0EEEvSL_: ; @_ZN7rocprim17ROCPRIM_400000_NS6detail17trampoline_kernelINS0_14default_configENS1_36segmented_radix_sort_config_selectorI12hip_bfloat16lEEZNS1_25segmented_radix_sort_implIS3_Lb0EPKS5_PS5_PKlPlN2at6native12_GLOBAL__N_18offset_tEEE10hipError_tPvRmT1_PNSt15iterator_traitsISL_E10value_typeET2_T3_PNSM_ISR_E10value_typeET4_jRbjT5_SX_jjP12ihipStream_tbEUlT_E2_NS1_11comp_targetILNS1_3genE2ELNS1_11target_archE906ELNS1_3gpuE6ELNS1_3repE0EEENS1_30default_config_static_selectorELNS0_4arch9wavefront6targetE0EEEvSL_
; %bb.0:
	.section	.rodata,"a",@progbits
	.p2align	6, 0x0
	.amdhsa_kernel _ZN7rocprim17ROCPRIM_400000_NS6detail17trampoline_kernelINS0_14default_configENS1_36segmented_radix_sort_config_selectorI12hip_bfloat16lEEZNS1_25segmented_radix_sort_implIS3_Lb0EPKS5_PS5_PKlPlN2at6native12_GLOBAL__N_18offset_tEEE10hipError_tPvRmT1_PNSt15iterator_traitsISL_E10value_typeET2_T3_PNSM_ISR_E10value_typeET4_jRbjT5_SX_jjP12ihipStream_tbEUlT_E2_NS1_11comp_targetILNS1_3genE2ELNS1_11target_archE906ELNS1_3gpuE6ELNS1_3repE0EEENS1_30default_config_static_selectorELNS0_4arch9wavefront6targetE0EEEvSL_
		.amdhsa_group_segment_fixed_size 0
		.amdhsa_private_segment_fixed_size 0
		.amdhsa_kernarg_size 80
		.amdhsa_user_sgpr_count 2
		.amdhsa_user_sgpr_dispatch_ptr 0
		.amdhsa_user_sgpr_queue_ptr 0
		.amdhsa_user_sgpr_kernarg_segment_ptr 1
		.amdhsa_user_sgpr_dispatch_id 0
		.amdhsa_user_sgpr_private_segment_size 0
		.amdhsa_wavefront_size32 1
		.amdhsa_uses_dynamic_stack 0
		.amdhsa_enable_private_segment 0
		.amdhsa_system_sgpr_workgroup_id_x 1
		.amdhsa_system_sgpr_workgroup_id_y 0
		.amdhsa_system_sgpr_workgroup_id_z 0
		.amdhsa_system_sgpr_workgroup_info 0
		.amdhsa_system_vgpr_workitem_id 0
		.amdhsa_next_free_vgpr 1
		.amdhsa_next_free_sgpr 1
		.amdhsa_reserve_vcc 0
		.amdhsa_float_round_mode_32 0
		.amdhsa_float_round_mode_16_64 0
		.amdhsa_float_denorm_mode_32 3
		.amdhsa_float_denorm_mode_16_64 3
		.amdhsa_fp16_overflow 0
		.amdhsa_workgroup_processor_mode 1
		.amdhsa_memory_ordered 1
		.amdhsa_forward_progress 1
		.amdhsa_inst_pref_size 0
		.amdhsa_round_robin_scheduling 0
		.amdhsa_exception_fp_ieee_invalid_op 0
		.amdhsa_exception_fp_denorm_src 0
		.amdhsa_exception_fp_ieee_div_zero 0
		.amdhsa_exception_fp_ieee_overflow 0
		.amdhsa_exception_fp_ieee_underflow 0
		.amdhsa_exception_fp_ieee_inexact 0
		.amdhsa_exception_int_div_zero 0
	.end_amdhsa_kernel
	.section	.text._ZN7rocprim17ROCPRIM_400000_NS6detail17trampoline_kernelINS0_14default_configENS1_36segmented_radix_sort_config_selectorI12hip_bfloat16lEEZNS1_25segmented_radix_sort_implIS3_Lb0EPKS5_PS5_PKlPlN2at6native12_GLOBAL__N_18offset_tEEE10hipError_tPvRmT1_PNSt15iterator_traitsISL_E10value_typeET2_T3_PNSM_ISR_E10value_typeET4_jRbjT5_SX_jjP12ihipStream_tbEUlT_E2_NS1_11comp_targetILNS1_3genE2ELNS1_11target_archE906ELNS1_3gpuE6ELNS1_3repE0EEENS1_30default_config_static_selectorELNS0_4arch9wavefront6targetE0EEEvSL_,"axG",@progbits,_ZN7rocprim17ROCPRIM_400000_NS6detail17trampoline_kernelINS0_14default_configENS1_36segmented_radix_sort_config_selectorI12hip_bfloat16lEEZNS1_25segmented_radix_sort_implIS3_Lb0EPKS5_PS5_PKlPlN2at6native12_GLOBAL__N_18offset_tEEE10hipError_tPvRmT1_PNSt15iterator_traitsISL_E10value_typeET2_T3_PNSM_ISR_E10value_typeET4_jRbjT5_SX_jjP12ihipStream_tbEUlT_E2_NS1_11comp_targetILNS1_3genE2ELNS1_11target_archE906ELNS1_3gpuE6ELNS1_3repE0EEENS1_30default_config_static_selectorELNS0_4arch9wavefront6targetE0EEEvSL_,comdat
.Lfunc_end2083:
	.size	_ZN7rocprim17ROCPRIM_400000_NS6detail17trampoline_kernelINS0_14default_configENS1_36segmented_radix_sort_config_selectorI12hip_bfloat16lEEZNS1_25segmented_radix_sort_implIS3_Lb0EPKS5_PS5_PKlPlN2at6native12_GLOBAL__N_18offset_tEEE10hipError_tPvRmT1_PNSt15iterator_traitsISL_E10value_typeET2_T3_PNSM_ISR_E10value_typeET4_jRbjT5_SX_jjP12ihipStream_tbEUlT_E2_NS1_11comp_targetILNS1_3genE2ELNS1_11target_archE906ELNS1_3gpuE6ELNS1_3repE0EEENS1_30default_config_static_selectorELNS0_4arch9wavefront6targetE0EEEvSL_, .Lfunc_end2083-_ZN7rocprim17ROCPRIM_400000_NS6detail17trampoline_kernelINS0_14default_configENS1_36segmented_radix_sort_config_selectorI12hip_bfloat16lEEZNS1_25segmented_radix_sort_implIS3_Lb0EPKS5_PS5_PKlPlN2at6native12_GLOBAL__N_18offset_tEEE10hipError_tPvRmT1_PNSt15iterator_traitsISL_E10value_typeET2_T3_PNSM_ISR_E10value_typeET4_jRbjT5_SX_jjP12ihipStream_tbEUlT_E2_NS1_11comp_targetILNS1_3genE2ELNS1_11target_archE906ELNS1_3gpuE6ELNS1_3repE0EEENS1_30default_config_static_selectorELNS0_4arch9wavefront6targetE0EEEvSL_
                                        ; -- End function
	.set _ZN7rocprim17ROCPRIM_400000_NS6detail17trampoline_kernelINS0_14default_configENS1_36segmented_radix_sort_config_selectorI12hip_bfloat16lEEZNS1_25segmented_radix_sort_implIS3_Lb0EPKS5_PS5_PKlPlN2at6native12_GLOBAL__N_18offset_tEEE10hipError_tPvRmT1_PNSt15iterator_traitsISL_E10value_typeET2_T3_PNSM_ISR_E10value_typeET4_jRbjT5_SX_jjP12ihipStream_tbEUlT_E2_NS1_11comp_targetILNS1_3genE2ELNS1_11target_archE906ELNS1_3gpuE6ELNS1_3repE0EEENS1_30default_config_static_selectorELNS0_4arch9wavefront6targetE0EEEvSL_.num_vgpr, 0
	.set _ZN7rocprim17ROCPRIM_400000_NS6detail17trampoline_kernelINS0_14default_configENS1_36segmented_radix_sort_config_selectorI12hip_bfloat16lEEZNS1_25segmented_radix_sort_implIS3_Lb0EPKS5_PS5_PKlPlN2at6native12_GLOBAL__N_18offset_tEEE10hipError_tPvRmT1_PNSt15iterator_traitsISL_E10value_typeET2_T3_PNSM_ISR_E10value_typeET4_jRbjT5_SX_jjP12ihipStream_tbEUlT_E2_NS1_11comp_targetILNS1_3genE2ELNS1_11target_archE906ELNS1_3gpuE6ELNS1_3repE0EEENS1_30default_config_static_selectorELNS0_4arch9wavefront6targetE0EEEvSL_.num_agpr, 0
	.set _ZN7rocprim17ROCPRIM_400000_NS6detail17trampoline_kernelINS0_14default_configENS1_36segmented_radix_sort_config_selectorI12hip_bfloat16lEEZNS1_25segmented_radix_sort_implIS3_Lb0EPKS5_PS5_PKlPlN2at6native12_GLOBAL__N_18offset_tEEE10hipError_tPvRmT1_PNSt15iterator_traitsISL_E10value_typeET2_T3_PNSM_ISR_E10value_typeET4_jRbjT5_SX_jjP12ihipStream_tbEUlT_E2_NS1_11comp_targetILNS1_3genE2ELNS1_11target_archE906ELNS1_3gpuE6ELNS1_3repE0EEENS1_30default_config_static_selectorELNS0_4arch9wavefront6targetE0EEEvSL_.numbered_sgpr, 0
	.set _ZN7rocprim17ROCPRIM_400000_NS6detail17trampoline_kernelINS0_14default_configENS1_36segmented_radix_sort_config_selectorI12hip_bfloat16lEEZNS1_25segmented_radix_sort_implIS3_Lb0EPKS5_PS5_PKlPlN2at6native12_GLOBAL__N_18offset_tEEE10hipError_tPvRmT1_PNSt15iterator_traitsISL_E10value_typeET2_T3_PNSM_ISR_E10value_typeET4_jRbjT5_SX_jjP12ihipStream_tbEUlT_E2_NS1_11comp_targetILNS1_3genE2ELNS1_11target_archE906ELNS1_3gpuE6ELNS1_3repE0EEENS1_30default_config_static_selectorELNS0_4arch9wavefront6targetE0EEEvSL_.num_named_barrier, 0
	.set _ZN7rocprim17ROCPRIM_400000_NS6detail17trampoline_kernelINS0_14default_configENS1_36segmented_radix_sort_config_selectorI12hip_bfloat16lEEZNS1_25segmented_radix_sort_implIS3_Lb0EPKS5_PS5_PKlPlN2at6native12_GLOBAL__N_18offset_tEEE10hipError_tPvRmT1_PNSt15iterator_traitsISL_E10value_typeET2_T3_PNSM_ISR_E10value_typeET4_jRbjT5_SX_jjP12ihipStream_tbEUlT_E2_NS1_11comp_targetILNS1_3genE2ELNS1_11target_archE906ELNS1_3gpuE6ELNS1_3repE0EEENS1_30default_config_static_selectorELNS0_4arch9wavefront6targetE0EEEvSL_.private_seg_size, 0
	.set _ZN7rocprim17ROCPRIM_400000_NS6detail17trampoline_kernelINS0_14default_configENS1_36segmented_radix_sort_config_selectorI12hip_bfloat16lEEZNS1_25segmented_radix_sort_implIS3_Lb0EPKS5_PS5_PKlPlN2at6native12_GLOBAL__N_18offset_tEEE10hipError_tPvRmT1_PNSt15iterator_traitsISL_E10value_typeET2_T3_PNSM_ISR_E10value_typeET4_jRbjT5_SX_jjP12ihipStream_tbEUlT_E2_NS1_11comp_targetILNS1_3genE2ELNS1_11target_archE906ELNS1_3gpuE6ELNS1_3repE0EEENS1_30default_config_static_selectorELNS0_4arch9wavefront6targetE0EEEvSL_.uses_vcc, 0
	.set _ZN7rocprim17ROCPRIM_400000_NS6detail17trampoline_kernelINS0_14default_configENS1_36segmented_radix_sort_config_selectorI12hip_bfloat16lEEZNS1_25segmented_radix_sort_implIS3_Lb0EPKS5_PS5_PKlPlN2at6native12_GLOBAL__N_18offset_tEEE10hipError_tPvRmT1_PNSt15iterator_traitsISL_E10value_typeET2_T3_PNSM_ISR_E10value_typeET4_jRbjT5_SX_jjP12ihipStream_tbEUlT_E2_NS1_11comp_targetILNS1_3genE2ELNS1_11target_archE906ELNS1_3gpuE6ELNS1_3repE0EEENS1_30default_config_static_selectorELNS0_4arch9wavefront6targetE0EEEvSL_.uses_flat_scratch, 0
	.set _ZN7rocprim17ROCPRIM_400000_NS6detail17trampoline_kernelINS0_14default_configENS1_36segmented_radix_sort_config_selectorI12hip_bfloat16lEEZNS1_25segmented_radix_sort_implIS3_Lb0EPKS5_PS5_PKlPlN2at6native12_GLOBAL__N_18offset_tEEE10hipError_tPvRmT1_PNSt15iterator_traitsISL_E10value_typeET2_T3_PNSM_ISR_E10value_typeET4_jRbjT5_SX_jjP12ihipStream_tbEUlT_E2_NS1_11comp_targetILNS1_3genE2ELNS1_11target_archE906ELNS1_3gpuE6ELNS1_3repE0EEENS1_30default_config_static_selectorELNS0_4arch9wavefront6targetE0EEEvSL_.has_dyn_sized_stack, 0
	.set _ZN7rocprim17ROCPRIM_400000_NS6detail17trampoline_kernelINS0_14default_configENS1_36segmented_radix_sort_config_selectorI12hip_bfloat16lEEZNS1_25segmented_radix_sort_implIS3_Lb0EPKS5_PS5_PKlPlN2at6native12_GLOBAL__N_18offset_tEEE10hipError_tPvRmT1_PNSt15iterator_traitsISL_E10value_typeET2_T3_PNSM_ISR_E10value_typeET4_jRbjT5_SX_jjP12ihipStream_tbEUlT_E2_NS1_11comp_targetILNS1_3genE2ELNS1_11target_archE906ELNS1_3gpuE6ELNS1_3repE0EEENS1_30default_config_static_selectorELNS0_4arch9wavefront6targetE0EEEvSL_.has_recursion, 0
	.set _ZN7rocprim17ROCPRIM_400000_NS6detail17trampoline_kernelINS0_14default_configENS1_36segmented_radix_sort_config_selectorI12hip_bfloat16lEEZNS1_25segmented_radix_sort_implIS3_Lb0EPKS5_PS5_PKlPlN2at6native12_GLOBAL__N_18offset_tEEE10hipError_tPvRmT1_PNSt15iterator_traitsISL_E10value_typeET2_T3_PNSM_ISR_E10value_typeET4_jRbjT5_SX_jjP12ihipStream_tbEUlT_E2_NS1_11comp_targetILNS1_3genE2ELNS1_11target_archE906ELNS1_3gpuE6ELNS1_3repE0EEENS1_30default_config_static_selectorELNS0_4arch9wavefront6targetE0EEEvSL_.has_indirect_call, 0
	.section	.AMDGPU.csdata,"",@progbits
; Kernel info:
; codeLenInByte = 0
; TotalNumSgprs: 0
; NumVgprs: 0
; ScratchSize: 0
; MemoryBound: 0
; FloatMode: 240
; IeeeMode: 1
; LDSByteSize: 0 bytes/workgroup (compile time only)
; SGPRBlocks: 0
; VGPRBlocks: 0
; NumSGPRsForWavesPerEU: 1
; NumVGPRsForWavesPerEU: 1
; Occupancy: 16
; WaveLimiterHint : 0
; COMPUTE_PGM_RSRC2:SCRATCH_EN: 0
; COMPUTE_PGM_RSRC2:USER_SGPR: 2
; COMPUTE_PGM_RSRC2:TRAP_HANDLER: 0
; COMPUTE_PGM_RSRC2:TGID_X_EN: 1
; COMPUTE_PGM_RSRC2:TGID_Y_EN: 0
; COMPUTE_PGM_RSRC2:TGID_Z_EN: 0
; COMPUTE_PGM_RSRC2:TIDIG_COMP_CNT: 0
	.section	.text._ZN7rocprim17ROCPRIM_400000_NS6detail17trampoline_kernelINS0_14default_configENS1_36segmented_radix_sort_config_selectorI12hip_bfloat16lEEZNS1_25segmented_radix_sort_implIS3_Lb0EPKS5_PS5_PKlPlN2at6native12_GLOBAL__N_18offset_tEEE10hipError_tPvRmT1_PNSt15iterator_traitsISL_E10value_typeET2_T3_PNSM_ISR_E10value_typeET4_jRbjT5_SX_jjP12ihipStream_tbEUlT_E2_NS1_11comp_targetILNS1_3genE10ELNS1_11target_archE1201ELNS1_3gpuE5ELNS1_3repE0EEENS1_30default_config_static_selectorELNS0_4arch9wavefront6targetE0EEEvSL_,"axG",@progbits,_ZN7rocprim17ROCPRIM_400000_NS6detail17trampoline_kernelINS0_14default_configENS1_36segmented_radix_sort_config_selectorI12hip_bfloat16lEEZNS1_25segmented_radix_sort_implIS3_Lb0EPKS5_PS5_PKlPlN2at6native12_GLOBAL__N_18offset_tEEE10hipError_tPvRmT1_PNSt15iterator_traitsISL_E10value_typeET2_T3_PNSM_ISR_E10value_typeET4_jRbjT5_SX_jjP12ihipStream_tbEUlT_E2_NS1_11comp_targetILNS1_3genE10ELNS1_11target_archE1201ELNS1_3gpuE5ELNS1_3repE0EEENS1_30default_config_static_selectorELNS0_4arch9wavefront6targetE0EEEvSL_,comdat
	.globl	_ZN7rocprim17ROCPRIM_400000_NS6detail17trampoline_kernelINS0_14default_configENS1_36segmented_radix_sort_config_selectorI12hip_bfloat16lEEZNS1_25segmented_radix_sort_implIS3_Lb0EPKS5_PS5_PKlPlN2at6native12_GLOBAL__N_18offset_tEEE10hipError_tPvRmT1_PNSt15iterator_traitsISL_E10value_typeET2_T3_PNSM_ISR_E10value_typeET4_jRbjT5_SX_jjP12ihipStream_tbEUlT_E2_NS1_11comp_targetILNS1_3genE10ELNS1_11target_archE1201ELNS1_3gpuE5ELNS1_3repE0EEENS1_30default_config_static_selectorELNS0_4arch9wavefront6targetE0EEEvSL_ ; -- Begin function _ZN7rocprim17ROCPRIM_400000_NS6detail17trampoline_kernelINS0_14default_configENS1_36segmented_radix_sort_config_selectorI12hip_bfloat16lEEZNS1_25segmented_radix_sort_implIS3_Lb0EPKS5_PS5_PKlPlN2at6native12_GLOBAL__N_18offset_tEEE10hipError_tPvRmT1_PNSt15iterator_traitsISL_E10value_typeET2_T3_PNSM_ISR_E10value_typeET4_jRbjT5_SX_jjP12ihipStream_tbEUlT_E2_NS1_11comp_targetILNS1_3genE10ELNS1_11target_archE1201ELNS1_3gpuE5ELNS1_3repE0EEENS1_30default_config_static_selectorELNS0_4arch9wavefront6targetE0EEEvSL_
	.p2align	8
	.type	_ZN7rocprim17ROCPRIM_400000_NS6detail17trampoline_kernelINS0_14default_configENS1_36segmented_radix_sort_config_selectorI12hip_bfloat16lEEZNS1_25segmented_radix_sort_implIS3_Lb0EPKS5_PS5_PKlPlN2at6native12_GLOBAL__N_18offset_tEEE10hipError_tPvRmT1_PNSt15iterator_traitsISL_E10value_typeET2_T3_PNSM_ISR_E10value_typeET4_jRbjT5_SX_jjP12ihipStream_tbEUlT_E2_NS1_11comp_targetILNS1_3genE10ELNS1_11target_archE1201ELNS1_3gpuE5ELNS1_3repE0EEENS1_30default_config_static_selectorELNS0_4arch9wavefront6targetE0EEEvSL_,@function
_ZN7rocprim17ROCPRIM_400000_NS6detail17trampoline_kernelINS0_14default_configENS1_36segmented_radix_sort_config_selectorI12hip_bfloat16lEEZNS1_25segmented_radix_sort_implIS3_Lb0EPKS5_PS5_PKlPlN2at6native12_GLOBAL__N_18offset_tEEE10hipError_tPvRmT1_PNSt15iterator_traitsISL_E10value_typeET2_T3_PNSM_ISR_E10value_typeET4_jRbjT5_SX_jjP12ihipStream_tbEUlT_E2_NS1_11comp_targetILNS1_3genE10ELNS1_11target_archE1201ELNS1_3gpuE5ELNS1_3repE0EEENS1_30default_config_static_selectorELNS0_4arch9wavefront6targetE0EEEvSL_: ; @_ZN7rocprim17ROCPRIM_400000_NS6detail17trampoline_kernelINS0_14default_configENS1_36segmented_radix_sort_config_selectorI12hip_bfloat16lEEZNS1_25segmented_radix_sort_implIS3_Lb0EPKS5_PS5_PKlPlN2at6native12_GLOBAL__N_18offset_tEEE10hipError_tPvRmT1_PNSt15iterator_traitsISL_E10value_typeET2_T3_PNSM_ISR_E10value_typeET4_jRbjT5_SX_jjP12ihipStream_tbEUlT_E2_NS1_11comp_targetILNS1_3genE10ELNS1_11target_archE1201ELNS1_3gpuE5ELNS1_3repE0EEENS1_30default_config_static_selectorELNS0_4arch9wavefront6targetE0EEEvSL_
; %bb.0:
	s_load_b128 s[4:7], s[0:1], 0x34
	s_mov_b32 s32, 0
	s_wait_kmcnt 0x0
	s_add_co_i32 s33, s5, ttmp9
	s_add_co_i32 s34, s7, ttmp9
	s_mul_i32 s33, s33, s4
	s_mul_i32 s34, s34, s6
	s_delay_alu instid0(SALU_CYCLE_1)
	s_cmp_le_u32 s34, s33
	s_cbranch_scc1 .LBB2084_678
; %bb.1:
	s_clause 0x3
	s_load_b32 s2, s[0:1], 0x30
	s_load_b128 s[24:27], s[0:1], 0x20
	s_load_b96 s[44:46], s[0:1], 0x44
	s_load_b256 s[36:43], s[0:1], 0x0
	s_wait_kmcnt 0x0
	s_bitcmp1_b32 s2, 0
	s_mov_b32 s2, -1
	s_cselect_b32 s35, -1, 0
	s_sub_co_i32 s47, s34, s33
	s_delay_alu instid0(SALU_CYCLE_1)
	s_cmp_lt_u32 s47, 0x801
	s_cbranch_scc0 .LBB2084_15
; %bb.2:
	s_cmp_lt_u32 s47, 33
	s_cbranch_scc0 .LBB2084_9
; %bb.3:
	s_load_b32 s2, s[0:1], 0x5c
	v_bfe_u32 v1, v0, 10, 10
	v_bfe_u32 v2, v0, 20, 10
	s_mov_b32 s14, exec_lo
	s_wait_kmcnt 0x0
	s_lshr_b32 s3, s2, 16
	s_and_b32 s2, s2, 0xffff
	v_mad_u32_u24 v2, v2, s3, v1
	v_and_b32_e32 v1, 0x3ff, v0
	s_delay_alu instid0(VALU_DEP_1) | instskip(NEXT) | instid1(VALU_DEP_1)
	v_mad_co_u64_u32 v[1:2], null, v2, s2, v[1:2]
	v_cmpx_gt_u32_e32 8, v1
	s_cbranch_execz .LBB2084_8
; %bb.4:
	v_cndmask_b32_e64 v1, 0, 1, s35
	s_and_b32 s2, s44, 1
	s_wait_alu 0xfffe
	s_delay_alu instid0(VALU_DEP_1)
	v_cmp_ne_u32_e32 vcc_lo, s2, v1
	s_mov_b32 s2, -1
	s_cbranch_vccnz .LBB2084_6
; %bb.5:
	s_mov_b64 s[2:3], src_shared_base
	v_dual_mov_b32 v31, v0 :: v_dual_mov_b32 v40, v0
	v_dual_mov_b32 v0, s36 :: v_dual_mov_b32 v1, s37
	v_dual_mov_b32 v2, s40 :: v_dual_mov_b32 v3, s41
	v_dual_mov_b32 v4, s42 :: v_dual_mov_b32 v5, s43
	v_dual_mov_b32 v6, s26 :: v_dual_mov_b32 v7, s27
	v_dual_mov_b32 v8, s33 :: v_dual_mov_b32 v9, s34
	s_wait_alu 0xfffe
	v_dual_mov_b32 v10, 0 :: v_dual_mov_b32 v11, s3
	s_add_nc_u64 s[8:9], s[0:1], 0x50
	s_getpc_b64 s[4:5]
	s_sext_i32_i16 s5, s5
	s_add_co_u32 s4, s4, _ZN7rocprim17ROCPRIM_400000_NS6detail26segmented_warp_sort_helperINS1_20WarpSortHelperConfigILj8ELj4ELj256EEE12hip_bfloat16lLi256ELb0EvE4sortIPKS5_PS5_PKlPlEEvT_T0_T1_T2_jjjjRNS6_12storage_typeE@rel32@lo+8
	s_add_co_ci_u32 s5, s5, _ZN7rocprim17ROCPRIM_400000_NS6detail26segmented_warp_sort_helperINS1_20WarpSortHelperConfigILj8ELj4ELj256EEE12hip_bfloat16lLi256ELb0EvE4sortIPKS5_PS5_PKlPlEEvT_T0_T1_T2_jjjjRNS6_12storage_typeE@rel32@hi+16
	s_mov_b64 s[12:13], s[0:1]
	s_swappc_b64 s[30:31], s[4:5]
	v_mov_b32_e32 v0, v40
	s_mov_b64 s[0:1], s[12:13]
	s_mov_b32 s2, 0
.LBB2084_6:
	s_wait_alu 0xfffe
	s_and_not1_b32 vcc_lo, exec_lo, s2
	s_wait_alu 0xfffe
	s_cbranch_vccnz .LBB2084_8
; %bb.7:
	s_mov_b64 s[2:3], src_shared_base
	v_dual_mov_b32 v31, v0 :: v_dual_mov_b32 v40, v0
	v_dual_mov_b32 v0, s36 :: v_dual_mov_b32 v1, s37
	;; [unrolled: 1-line block ×6, first 2 shown]
	s_wait_alu 0xfffe
	v_dual_mov_b32 v10, 0 :: v_dual_mov_b32 v11, s3
	s_add_nc_u64 s[8:9], s[0:1], 0x50
	s_getpc_b64 s[4:5]
	s_wait_alu 0xfffe
	s_sext_i32_i16 s5, s5
	s_add_co_u32 s4, s4, _ZN7rocprim17ROCPRIM_400000_NS6detail26segmented_warp_sort_helperINS1_20WarpSortHelperConfigILj8ELj4ELj256EEE12hip_bfloat16lLi256ELb0EvE4sortIPKS5_PS5_PKlPlEEvT_T0_T1_T2_jjjjRNS6_12storage_typeE@rel32@lo+12
	s_wait_alu 0xfffe
	s_add_co_ci_u32 s5, s5, _ZN7rocprim17ROCPRIM_400000_NS6detail26segmented_warp_sort_helperINS1_20WarpSortHelperConfigILj8ELj4ELj256EEE12hip_bfloat16lLi256ELb0EvE4sortIPKS5_PS5_PKlPlEEvT_T0_T1_T2_jjjjRNS6_12storage_typeE@rel32@hi+24
	s_mov_b64 s[12:13], s[0:1]
	s_wait_alu 0xfffe
	s_swappc_b64 s[30:31], s[4:5]
	v_mov_b32_e32 v0, v40
	s_mov_b64 s[0:1], s[12:13]
.LBB2084_8:
	s_or_b32 exec_lo, exec_lo, s14
	s_mov_b32 s2, 0
.LBB2084_9:
	s_wait_alu 0xfffe
	s_and_not1_b32 vcc_lo, exec_lo, s2
	s_wait_alu 0xfffe
	s_cbranch_vccnz .LBB2084_14
; %bb.10:
	v_cndmask_b32_e64 v1, 0, 1, s35
	s_and_b32 s2, s44, 1
	s_wait_alu 0xfffe
	s_delay_alu instid0(VALU_DEP_1)
	v_cmp_ne_u32_e32 vcc_lo, s2, v1
	s_mov_b32 s2, -1
	s_cbranch_vccnz .LBB2084_12
; %bb.11:
	s_mov_b64 s[2:3], src_shared_base
	v_dual_mov_b32 v31, v0 :: v_dual_mov_b32 v40, v0
	v_dual_mov_b32 v0, s36 :: v_dual_mov_b32 v1, s37
	v_dual_mov_b32 v2, s40 :: v_dual_mov_b32 v3, s41
	v_dual_mov_b32 v4, s42 :: v_dual_mov_b32 v5, s43
	v_dual_mov_b32 v6, s26 :: v_dual_mov_b32 v7, s27
	v_dual_mov_b32 v8, s33 :: v_dual_mov_b32 v9, s34
	v_dual_mov_b32 v10, s45 :: v_dual_mov_b32 v11, s46
	s_wait_alu 0xfffe
	v_dual_mov_b32 v12, 0 :: v_dual_mov_b32 v13, s3
	s_add_nc_u64 s[8:9], s[0:1], 0x50
	s_getpc_b64 s[4:5]
	s_wait_alu 0xfffe
	s_sext_i32_i16 s5, s5
	s_add_co_u32 s4, s4, _ZN7rocprim17ROCPRIM_400000_NS6detail40segmented_radix_sort_single_block_helperI12hip_bfloat16lLj256ELj8ELb0EE4sortIPKS3_PS3_PKlPlEEbT_T0_T1_T2_jjjjRNS4_12storage_typeE@rel32@lo+12
	s_wait_alu 0xfffe
	s_add_co_ci_u32 s5, s5, _ZN7rocprim17ROCPRIM_400000_NS6detail40segmented_radix_sort_single_block_helperI12hip_bfloat16lLj256ELj8ELb0EE4sortIPKS3_PS3_PKlPlEEbT_T0_T1_T2_jjjjRNS4_12storage_typeE@rel32@hi+24
	s_mov_b64 s[22:23], s[0:1]
	s_wait_alu 0xfffe
	s_swappc_b64 s[30:31], s[4:5]
	v_mov_b32_e32 v0, v40
	s_mov_b64 s[0:1], s[22:23]
	s_mov_b32 s2, 0
.LBB2084_12:
	s_wait_alu 0xfffe
	s_and_not1_b32 vcc_lo, exec_lo, s2
	s_wait_alu 0xfffe
	s_cbranch_vccnz .LBB2084_14
; %bb.13:
	s_mov_b64 s[2:3], src_shared_base
	v_dual_mov_b32 v31, v0 :: v_dual_mov_b32 v40, v0
	v_dual_mov_b32 v0, s36 :: v_dual_mov_b32 v1, s37
	;; [unrolled: 1-line block ×7, first 2 shown]
	s_wait_alu 0xfffe
	v_dual_mov_b32 v12, 0 :: v_dual_mov_b32 v13, s3
	s_add_nc_u64 s[8:9], s[0:1], 0x50
	s_getpc_b64 s[4:5]
	s_wait_alu 0xfffe
	s_sext_i32_i16 s5, s5
	s_add_co_u32 s4, s4, _ZN7rocprim17ROCPRIM_400000_NS6detail40segmented_radix_sort_single_block_helperI12hip_bfloat16lLj256ELj8ELb0EE4sortIPKS3_PS3_PKlPlEEbT_T0_T1_T2_jjjjRNS4_12storage_typeE@rel32@lo+12
	s_wait_alu 0xfffe
	s_add_co_ci_u32 s5, s5, _ZN7rocprim17ROCPRIM_400000_NS6detail40segmented_radix_sort_single_block_helperI12hip_bfloat16lLj256ELj8ELb0EE4sortIPKS3_PS3_PKlPlEEbT_T0_T1_T2_jjjjRNS4_12storage_typeE@rel32@hi+24
	s_mov_b64 s[22:23], s[0:1]
	s_wait_alu 0xfffe
	s_swappc_b64 s[30:31], s[4:5]
	v_mov_b32_e32 v0, v40
	s_mov_b64 s[0:1], s[22:23]
.LBB2084_14:
	s_mov_b32 s2, 0
.LBB2084_15:
	s_wait_alu 0xfffe
	s_and_not1_b32 vcc_lo, exec_lo, s2
	s_wait_alu 0xfffe
	s_cbranch_vccnz .LBB2084_678
; %bb.16:
	s_cmp_ge_u32 s45, s46
	s_cbranch_scc1 .LBB2084_678
; %bb.17:
	v_dual_mov_b32 v62, 1 :: v_dual_and_b32 v1, 0x3ff, v0
	v_dual_mov_b32 v3, 0 :: v_dual_and_b32 v2, 3, v0
	v_lshrrev_b32_e32 v5, 3, v0
	s_delay_alu instid0(VALU_DEP_3)
	v_lshlrev_b32_e32 v28, 2, v1
	v_or_b32_e32 v6, 31, v1
	v_lshlrev_b32_e32 v4, 1, v1
	v_lshlrev_b32_e32 v39, 2, v2
	;; [unrolled: 1-line block ×3, first 2 shown]
	v_mad_u32_u24 v40, v1, 12, v28
	v_and_b32_e32 v38, 28, v5
	v_lshlrev_b32_e32 v5, 5, v1
	v_cmp_eq_u32_e64 s3, v1, v6
	v_and_b32_e32 v2, 0x700, v2
	v_mad_u32_u24 v43, v1, 20, v40
	v_mbcnt_lo_u32_b32 v59, -1, 0
	v_add_co_u32 v32, s2, s40, v4
	s_delay_alu instid0(VALU_DEP_4) | instskip(NEXT) | instid1(VALU_DEP_4)
	v_lshlrev_b32_e32 v6, 1, v2
	v_sub_nc_u32_e32 v46, v43, v5
	v_lshlrev_b32_e32 v5, 3, v2
	v_lshlrev_b32_e32 v69, 3, v59
	v_lshlrev_b32_e32 v77, 1, v59
	v_or_b32_e32 v66, v59, v2
	v_or_b32_e32 v29, 0x100, v1
	v_add_co_u32 v7, s8, s26, v5
	s_wait_alu 0xf1ff
	v_add_co_ci_u32_e64 v8, null, s27, 0, s8
	v_add_co_u32 v9, s8, s40, v6
	s_wait_alu 0xf1ff
	v_add_co_ci_u32_e64 v10, null, s41, 0, s8
	;; [unrolled: 3-line block ×6, first 2 shown]
	v_add_co_u32 v57, s8, s42, v5
	v_add_co_u32 v83, vcc_lo, v7, v69
	s_wait_alu 0xf1ff
	v_add_co_ci_u32_e64 v58, null, s43, 0, s8
	v_add_co_u32 v60, s8, s36, v6
	s_wait_alu 0xfffd
	v_add_co_ci_u32_e64 v84, null, 0, v8, vcc_lo
	v_add_co_u32 v85, vcc_lo, v9, v77
	v_or_b32_e32 v30, 0x200, v1
	v_or_b32_e32 v31, 0x300, v1
	v_add_co_ci_u32_e64 v33, null, s41, 0, s2
	v_or_b32_e32 v34, 0x400, v1
	v_or_b32_e32 v35, 0x500, v1
	;; [unrolled: 1-line block ×4, first 2 shown]
	v_cmp_gt_u32_e64 s2, 0x100, v1
	v_or_b32_e32 v41, 0x4400, v38
	v_cmp_gt_u32_e64 s4, 8, v1
	v_add_nc_u32_e32 v42, 0x4400, v28
	v_cmp_lt_u32_e64 s5, 31, v1
	v_add_nc_u32_e32 v44, 0x43fc, v38
	v_bfe_u32 v45, v0, 20, 10
	v_bfe_u32 v0, v0, 10, 10
	v_cmp_eq_u32_e64 s6, 0, v1
	v_cmp_ne_u32_e64 s7, 0xff, v1
	v_sub_nc_u32_e32 v47, v46, v4
	v_mul_u32_u24_e32 v48, 6, v1
	s_wait_alu 0xf1ff
	v_add_co_ci_u32_e64 v61, null, s37, 0, s8
	v_and_b32_e32 v63, 15, v59
	v_bfe_i32 v64, v59, 4, 1
	v_and_b32_e32 v65, 16, v59
	v_and_b32_e32 v67, 7, v59
	v_sub_co_u32 v68, s8, v59, 1
	v_or_b32_e32 v70, 32, v66
	v_or_b32_e32 v71, 64, v66
	;; [unrolled: 1-line block ×7, first 2 shown]
	v_add_nc_u32_e32 v78, 0x420, v43
	v_add_nc_u32_e32 v79, 0x428, v43
	;; [unrolled: 1-line block ×4, first 2 shown]
	v_lshlrev_b32_e32 v82, 1, v1
	s_wait_alu 0xfffd
	v_add_co_ci_u32_e64 v86, null, 0, v10, vcc_lo
	s_add_nc_u64 s[28:29], s[0:1], 0x50
	s_mov_b32 s31, 0
	s_mov_b32 s23, s45
	s_branch .LBB2084_20
.LBB2084_18:                            ;   in Loop: Header=BB2084_20 Depth=1
	s_wait_loadcnt_dscnt 0x0
	s_barrier_signal -1
	s_barrier_wait -1
.LBB2084_19:                            ;   in Loop: Header=BB2084_20 Depth=1
	s_add_co_i32 s23, s23, 8
	global_inv scope:SCOPE_SE
	s_wait_alu 0xfffe
	s_cmp_ge_u32 s23, s46
	s_cbranch_scc1 .LBB2084_678
.LBB2084_20:                            ; =>This Loop Header: Depth=1
                                        ;     Child Loop BB2084_24 Depth 2
                                        ;     Child Loop BB2084_72 Depth 2
	;; [unrolled: 1-line block ×8, first 2 shown]
	s_wait_alu 0xfffe
	s_sub_co_i32 s0, s46, s23
	s_xor_b32 s35, s35, -1
	s_wait_alu 0xfffe
	s_min_u32 s0, s0, 8
	ds_store_2addr_stride64_b32 v28, v3, v3 offset1:4
	s_wait_alu 0xfffe
	s_lshl_b32 s0, -1, s0
	ds_store_2addr_stride64_b32 v28, v3, v3 offset0:8 offset1:12
	s_wait_alu 0xfffe
	s_not_b32 s42, s0
	s_cmp_lg_u32 s23, s45
	s_mov_b32 s0, -1
	s_wait_storecnt_dscnt 0x0
	s_cbranch_scc0 .LBB2084_350
; %bb.21:                               ;   in Loop: Header=BB2084_20 Depth=1
	s_and_b32 vcc_lo, exec_lo, s35
	s_wait_alu 0xfffe
	s_cbranch_vccz .LBB2084_185
; %bb.22:                               ;   in Loop: Header=BB2084_20 Depth=1
	s_mov_b32 s9, s47
	s_mov_b32 s30, s33
	s_barrier_signal -1
	s_barrier_wait -1
	global_inv scope:SCOPE_SE
                                        ; implicit-def: $vgpr2
                                        ; implicit-def: $vgpr4
                                        ; implicit-def: $vgpr5
                                        ; implicit-def: $vgpr6
                                        ; implicit-def: $vgpr7
                                        ; implicit-def: $vgpr8
                                        ; implicit-def: $vgpr9
                                        ; implicit-def: $vgpr10
	s_branch .LBB2084_24
.LBB2084_23:                            ;   in Loop: Header=BB2084_24 Depth=2
	s_wait_alu 0xfffe
	s_or_b32 exec_lo, exec_lo, s0
	s_addk_co_i32 s9, 0xf800
	s_cmp_ge_u32 s10, s34
	s_mov_b32 s30, s10
	s_cbranch_scc1 .LBB2084_60
.LBB2084_24:                            ;   Parent Loop BB2084_20 Depth=1
                                        ; =>  This Inner Loop Header: Depth=2
	s_wait_alu 0xfffe
	s_add_co_i32 s10, s30, 0x800
	s_mov_b32 s0, -1
	s_wait_alu 0xfffe
	s_cmp_gt_u32 s10, s34
                                        ; implicit-def: $vgpr11
                                        ; implicit-def: $vgpr12
                                        ; implicit-def: $vgpr13
                                        ; implicit-def: $vgpr14
                                        ; implicit-def: $vgpr15
                                        ; implicit-def: $vgpr16
                                        ; implicit-def: $vgpr17
                                        ; implicit-def: $vgpr18
	s_cbranch_scc1 .LBB2084_26
; %bb.25:                               ;   in Loop: Header=BB2084_24 Depth=2
	s_lshl_b64 s[0:1], s[30:31], 1
	s_wait_alu 0xfffe
	v_add_co_u32 v18, vcc_lo, v32, s0
	s_wait_alu 0xfffd
	v_add_co_ci_u32_e64 v19, null, s1, v33, vcc_lo
	s_mov_b32 s0, 0
	s_clause 0x7
	global_load_u16 v11, v[18:19], off
	global_load_u16 v12, v[18:19], off offset:512
	global_load_u16 v13, v[18:19], off offset:1024
	;; [unrolled: 1-line block ×7, first 2 shown]
.LBB2084_26:                            ;   in Loop: Header=BB2084_24 Depth=2
	s_wait_alu 0xfffe
	s_and_not1_b32 vcc_lo, exec_lo, s0
	s_movk_i32 s0, 0x800
	s_wait_alu 0xfffe
	s_cbranch_vccnz .LBB2084_37
; %bb.27:                               ;   in Loop: Header=BB2084_24 Depth=2
	s_lshl_b64 s[0:1], s[30:31], 1
	s_mov_b32 s11, exec_lo
	s_wait_alu 0xfffe
	s_add_nc_u64 s[0:1], s[40:41], s[0:1]
	v_cmpx_gt_u32_e64 s9, v1
	s_cbranch_execnz .LBB2084_53
; %bb.28:                               ;   in Loop: Header=BB2084_24 Depth=2
	s_or_b32 exec_lo, exec_lo, s11
	s_delay_alu instid0(SALU_CYCLE_1)
	s_mov_b32 s11, exec_lo
	v_cmpx_gt_u32_e64 s9, v29
	s_cbranch_execnz .LBB2084_54
.LBB2084_29:                            ;   in Loop: Header=BB2084_24 Depth=2
	s_wait_alu 0xfffe
	s_or_b32 exec_lo, exec_lo, s11
	s_delay_alu instid0(SALU_CYCLE_1)
	s_mov_b32 s11, exec_lo
	v_cmpx_gt_u32_e64 s9, v30
	s_cbranch_execnz .LBB2084_55
.LBB2084_30:                            ;   in Loop: Header=BB2084_24 Depth=2
	s_wait_alu 0xfffe
	s_or_b32 exec_lo, exec_lo, s11
	s_delay_alu instid0(SALU_CYCLE_1)
	s_mov_b32 s11, exec_lo
	v_cmpx_gt_u32_e64 s9, v31
	s_cbranch_execnz .LBB2084_56
.LBB2084_31:                            ;   in Loop: Header=BB2084_24 Depth=2
	s_wait_alu 0xfffe
	s_or_b32 exec_lo, exec_lo, s11
	s_delay_alu instid0(SALU_CYCLE_1)
	s_mov_b32 s11, exec_lo
	v_cmpx_gt_u32_e64 s9, v34
	s_cbranch_execnz .LBB2084_57
.LBB2084_32:                            ;   in Loop: Header=BB2084_24 Depth=2
	s_wait_alu 0xfffe
	s_or_b32 exec_lo, exec_lo, s11
	s_delay_alu instid0(SALU_CYCLE_1)
	s_mov_b32 s11, exec_lo
	v_cmpx_gt_u32_e64 s9, v35
	s_cbranch_execnz .LBB2084_58
.LBB2084_33:                            ;   in Loop: Header=BB2084_24 Depth=2
	s_wait_alu 0xfffe
	s_or_b32 exec_lo, exec_lo, s11
	s_delay_alu instid0(SALU_CYCLE_1)
	s_mov_b32 s11, exec_lo
	v_cmpx_gt_u32_e64 s9, v36
	s_cbranch_execnz .LBB2084_59
.LBB2084_34:                            ;   in Loop: Header=BB2084_24 Depth=2
	s_wait_alu 0xfffe
	s_or_b32 exec_lo, exec_lo, s11
	s_delay_alu instid0(SALU_CYCLE_1)
	s_mov_b32 s11, exec_lo
	v_cmpx_gt_u32_e64 s9, v37
	s_cbranch_execz .LBB2084_36
.LBB2084_35:                            ;   in Loop: Header=BB2084_24 Depth=2
	global_load_u16 v2, v82, s[0:1] offset:3584
.LBB2084_36:                            ;   in Loop: Header=BB2084_24 Depth=2
	s_wait_alu 0xfffe
	s_or_b32 exec_lo, exec_lo, s11
	s_wait_loadcnt 0x0
	v_dual_mov_b32 v11, v10 :: v_dual_mov_b32 v12, v9
	v_dual_mov_b32 v13, v8 :: v_dual_mov_b32 v14, v7
	;; [unrolled: 1-line block ×4, first 2 shown]
	s_mov_b32 s0, s9
.LBB2084_37:                            ;   in Loop: Header=BB2084_24 Depth=2
	s_wait_loadcnt 0x0
	s_delay_alu instid0(VALU_DEP_1) | instskip(NEXT) | instid1(VALU_DEP_2)
	v_dual_mov_b32 v2, v18 :: v_dual_mov_b32 v5, v16
	v_dual_mov_b32 v4, v17 :: v_dual_mov_b32 v7, v14
	;; [unrolled: 1-line block ×3, first 2 shown]
	v_mov_b32_e32 v8, v13
	v_mov_b32_e32 v10, v11
	s_mov_b32 s1, exec_lo
	s_wait_alu 0xfffe
	v_cmpx_gt_u32_e64 s0, v1
	s_cbranch_execnz .LBB2084_45
; %bb.38:                               ;   in Loop: Header=BB2084_24 Depth=2
	s_or_b32 exec_lo, exec_lo, s1
	s_delay_alu instid0(SALU_CYCLE_1)
	s_mov_b32 s1, exec_lo
	v_cmpx_gt_u32_e64 s0, v29
	s_cbranch_execnz .LBB2084_46
.LBB2084_39:                            ;   in Loop: Header=BB2084_24 Depth=2
	s_wait_alu 0xfffe
	s_or_b32 exec_lo, exec_lo, s1
	s_delay_alu instid0(SALU_CYCLE_1)
	s_mov_b32 s1, exec_lo
	v_cmpx_gt_u32_e64 s0, v30
	s_cbranch_execnz .LBB2084_47
.LBB2084_40:                            ;   in Loop: Header=BB2084_24 Depth=2
	s_wait_alu 0xfffe
	s_or_b32 exec_lo, exec_lo, s1
	s_delay_alu instid0(SALU_CYCLE_1)
	s_mov_b32 s1, exec_lo
	v_cmpx_gt_u32_e64 s0, v31
	s_cbranch_execnz .LBB2084_48
.LBB2084_41:                            ;   in Loop: Header=BB2084_24 Depth=2
	s_wait_alu 0xfffe
	s_or_b32 exec_lo, exec_lo, s1
	s_delay_alu instid0(SALU_CYCLE_1)
	s_mov_b32 s1, exec_lo
	v_cmpx_gt_u32_e64 s0, v34
	s_cbranch_execnz .LBB2084_49
.LBB2084_42:                            ;   in Loop: Header=BB2084_24 Depth=2
	s_wait_alu 0xfffe
	s_or_b32 exec_lo, exec_lo, s1
	s_delay_alu instid0(SALU_CYCLE_1)
	s_mov_b32 s1, exec_lo
	v_cmpx_gt_u32_e64 s0, v35
	s_cbranch_execnz .LBB2084_50
.LBB2084_43:                            ;   in Loop: Header=BB2084_24 Depth=2
	s_wait_alu 0xfffe
	s_or_b32 exec_lo, exec_lo, s1
	s_delay_alu instid0(SALU_CYCLE_1)
	s_mov_b32 s1, exec_lo
	v_cmpx_gt_u32_e64 s0, v36
	s_cbranch_execnz .LBB2084_51
.LBB2084_44:                            ;   in Loop: Header=BB2084_24 Depth=2
	s_wait_alu 0xfffe
	s_or_b32 exec_lo, exec_lo, s1
	v_cmp_gt_u32_e32 vcc_lo, s0, v37
	s_and_saveexec_b32 s0, vcc_lo
	s_cbranch_execz .LBB2084_23
	s_branch .LBB2084_52
.LBB2084_45:                            ;   in Loop: Header=BB2084_24 Depth=2
	v_cmp_lt_i16_e32 vcc_lo, -1, v10
	s_wait_alu 0xfffd
	v_cndmask_b32_e64 v11, -1, 0xffff8000, vcc_lo
	s_delay_alu instid0(VALU_DEP_1) | instskip(NEXT) | instid1(VALU_DEP_1)
	v_xor_b32_e32 v11, v11, v10
	v_cmp_ne_u16_e32 vcc_lo, 0x7fff, v11
	s_wait_alu 0xfffd
	v_cndmask_b32_e32 v11, 0xffff8000, v11, vcc_lo
	s_delay_alu instid0(VALU_DEP_1) | instskip(NEXT) | instid1(VALU_DEP_1)
	v_and_b32_e32 v11, 0xffff, v11
	v_lshrrev_b32_e32 v11, s23, v11
	s_delay_alu instid0(VALU_DEP_1) | instskip(NEXT) | instid1(VALU_DEP_1)
	v_and_b32_e32 v11, s42, v11
	v_lshl_or_b32 v11, v11, 4, v39
	ds_add_u32 v11, v62
	s_or_b32 exec_lo, exec_lo, s1
	s_delay_alu instid0(SALU_CYCLE_1)
	s_mov_b32 s1, exec_lo
	v_cmpx_gt_u32_e64 s0, v29
	s_cbranch_execz .LBB2084_39
.LBB2084_46:                            ;   in Loop: Header=BB2084_24 Depth=2
	v_cmp_lt_i16_e32 vcc_lo, -1, v9
	s_wait_alu 0xfffd
	v_cndmask_b32_e64 v11, -1, 0xffff8000, vcc_lo
	s_delay_alu instid0(VALU_DEP_1) | instskip(NEXT) | instid1(VALU_DEP_1)
	v_xor_b32_e32 v11, v11, v9
	v_cmp_ne_u16_e32 vcc_lo, 0x7fff, v11
	s_wait_alu 0xfffd
	v_cndmask_b32_e32 v11, 0xffff8000, v11, vcc_lo
	s_delay_alu instid0(VALU_DEP_1) | instskip(NEXT) | instid1(VALU_DEP_1)
	v_and_b32_e32 v11, 0xffff, v11
	v_lshrrev_b32_e32 v11, s23, v11
	s_delay_alu instid0(VALU_DEP_1) | instskip(NEXT) | instid1(VALU_DEP_1)
	v_and_b32_e32 v11, s42, v11
	v_lshl_or_b32 v11, v11, 4, v39
	ds_add_u32 v11, v62
	s_wait_alu 0xfffe
	s_or_b32 exec_lo, exec_lo, s1
	s_delay_alu instid0(SALU_CYCLE_1)
	s_mov_b32 s1, exec_lo
	v_cmpx_gt_u32_e64 s0, v30
	s_cbranch_execz .LBB2084_40
.LBB2084_47:                            ;   in Loop: Header=BB2084_24 Depth=2
	v_cmp_lt_i16_e32 vcc_lo, -1, v8
	s_wait_alu 0xfffd
	v_cndmask_b32_e64 v11, -1, 0xffff8000, vcc_lo
	s_delay_alu instid0(VALU_DEP_1) | instskip(NEXT) | instid1(VALU_DEP_1)
	v_xor_b32_e32 v11, v11, v8
	v_cmp_ne_u16_e32 vcc_lo, 0x7fff, v11
	s_wait_alu 0xfffd
	v_cndmask_b32_e32 v11, 0xffff8000, v11, vcc_lo
	s_delay_alu instid0(VALU_DEP_1) | instskip(NEXT) | instid1(VALU_DEP_1)
	v_and_b32_e32 v11, 0xffff, v11
	v_lshrrev_b32_e32 v11, s23, v11
	s_delay_alu instid0(VALU_DEP_1) | instskip(NEXT) | instid1(VALU_DEP_1)
	v_and_b32_e32 v11, s42, v11
	v_lshl_or_b32 v11, v11, 4, v39
	ds_add_u32 v11, v62
	s_wait_alu 0xfffe
	s_or_b32 exec_lo, exec_lo, s1
	s_delay_alu instid0(SALU_CYCLE_1)
	s_mov_b32 s1, exec_lo
	v_cmpx_gt_u32_e64 s0, v31
	s_cbranch_execz .LBB2084_41
.LBB2084_48:                            ;   in Loop: Header=BB2084_24 Depth=2
	v_cmp_lt_i16_e32 vcc_lo, -1, v7
	s_wait_alu 0xfffd
	v_cndmask_b32_e64 v11, -1, 0xffff8000, vcc_lo
	s_delay_alu instid0(VALU_DEP_1) | instskip(NEXT) | instid1(VALU_DEP_1)
	v_xor_b32_e32 v11, v11, v7
	v_cmp_ne_u16_e32 vcc_lo, 0x7fff, v11
	s_wait_alu 0xfffd
	v_cndmask_b32_e32 v11, 0xffff8000, v11, vcc_lo
	s_delay_alu instid0(VALU_DEP_1) | instskip(NEXT) | instid1(VALU_DEP_1)
	v_and_b32_e32 v11, 0xffff, v11
	v_lshrrev_b32_e32 v11, s23, v11
	s_delay_alu instid0(VALU_DEP_1) | instskip(NEXT) | instid1(VALU_DEP_1)
	v_and_b32_e32 v11, s42, v11
	v_lshl_or_b32 v11, v11, 4, v39
	ds_add_u32 v11, v62
	s_wait_alu 0xfffe
	s_or_b32 exec_lo, exec_lo, s1
	s_delay_alu instid0(SALU_CYCLE_1)
	s_mov_b32 s1, exec_lo
	v_cmpx_gt_u32_e64 s0, v34
	s_cbranch_execz .LBB2084_42
.LBB2084_49:                            ;   in Loop: Header=BB2084_24 Depth=2
	v_cmp_lt_i16_e32 vcc_lo, -1, v6
	s_wait_alu 0xfffd
	v_cndmask_b32_e64 v11, -1, 0xffff8000, vcc_lo
	s_delay_alu instid0(VALU_DEP_1) | instskip(NEXT) | instid1(VALU_DEP_1)
	v_xor_b32_e32 v11, v11, v6
	v_cmp_ne_u16_e32 vcc_lo, 0x7fff, v11
	s_wait_alu 0xfffd
	v_cndmask_b32_e32 v11, 0xffff8000, v11, vcc_lo
	s_delay_alu instid0(VALU_DEP_1) | instskip(NEXT) | instid1(VALU_DEP_1)
	v_and_b32_e32 v11, 0xffff, v11
	v_lshrrev_b32_e32 v11, s23, v11
	s_delay_alu instid0(VALU_DEP_1) | instskip(NEXT) | instid1(VALU_DEP_1)
	v_and_b32_e32 v11, s42, v11
	v_lshl_or_b32 v11, v11, 4, v39
	ds_add_u32 v11, v62
	s_wait_alu 0xfffe
	s_or_b32 exec_lo, exec_lo, s1
	s_delay_alu instid0(SALU_CYCLE_1)
	s_mov_b32 s1, exec_lo
	v_cmpx_gt_u32_e64 s0, v35
	s_cbranch_execz .LBB2084_43
.LBB2084_50:                            ;   in Loop: Header=BB2084_24 Depth=2
	v_cmp_lt_i16_e32 vcc_lo, -1, v5
	s_wait_alu 0xfffd
	v_cndmask_b32_e64 v11, -1, 0xffff8000, vcc_lo
	s_delay_alu instid0(VALU_DEP_1) | instskip(NEXT) | instid1(VALU_DEP_1)
	v_xor_b32_e32 v11, v11, v5
	v_cmp_ne_u16_e32 vcc_lo, 0x7fff, v11
	s_wait_alu 0xfffd
	v_cndmask_b32_e32 v11, 0xffff8000, v11, vcc_lo
	s_delay_alu instid0(VALU_DEP_1) | instskip(NEXT) | instid1(VALU_DEP_1)
	v_and_b32_e32 v11, 0xffff, v11
	v_lshrrev_b32_e32 v11, s23, v11
	s_delay_alu instid0(VALU_DEP_1) | instskip(NEXT) | instid1(VALU_DEP_1)
	v_and_b32_e32 v11, s42, v11
	v_lshl_or_b32 v11, v11, 4, v39
	ds_add_u32 v11, v62
	s_wait_alu 0xfffe
	s_or_b32 exec_lo, exec_lo, s1
	s_delay_alu instid0(SALU_CYCLE_1)
	s_mov_b32 s1, exec_lo
	v_cmpx_gt_u32_e64 s0, v36
	s_cbranch_execz .LBB2084_44
.LBB2084_51:                            ;   in Loop: Header=BB2084_24 Depth=2
	v_cmp_lt_i16_e32 vcc_lo, -1, v4
	s_wait_alu 0xfffd
	v_cndmask_b32_e64 v11, -1, 0xffff8000, vcc_lo
	s_delay_alu instid0(VALU_DEP_1) | instskip(NEXT) | instid1(VALU_DEP_1)
	v_xor_b32_e32 v11, v11, v4
	v_cmp_ne_u16_e32 vcc_lo, 0x7fff, v11
	s_wait_alu 0xfffd
	v_cndmask_b32_e32 v11, 0xffff8000, v11, vcc_lo
	s_delay_alu instid0(VALU_DEP_1) | instskip(NEXT) | instid1(VALU_DEP_1)
	v_and_b32_e32 v11, 0xffff, v11
	v_lshrrev_b32_e32 v11, s23, v11
	s_delay_alu instid0(VALU_DEP_1) | instskip(NEXT) | instid1(VALU_DEP_1)
	v_and_b32_e32 v11, s42, v11
	v_lshl_or_b32 v11, v11, 4, v39
	ds_add_u32 v11, v62
	s_wait_alu 0xfffe
	s_or_b32 exec_lo, exec_lo, s1
	v_cmp_gt_u32_e32 vcc_lo, s0, v37
	s_and_saveexec_b32 s0, vcc_lo
	s_cbranch_execz .LBB2084_23
.LBB2084_52:                            ;   in Loop: Header=BB2084_24 Depth=2
	v_cmp_lt_i16_e32 vcc_lo, -1, v2
	s_wait_alu 0xfffd
	v_cndmask_b32_e64 v11, -1, 0xffff8000, vcc_lo
	s_delay_alu instid0(VALU_DEP_1) | instskip(NEXT) | instid1(VALU_DEP_1)
	v_xor_b32_e32 v11, v11, v2
	v_cmp_ne_u16_e32 vcc_lo, 0x7fff, v11
	s_wait_alu 0xfffd
	v_cndmask_b32_e32 v11, 0xffff8000, v11, vcc_lo
	s_delay_alu instid0(VALU_DEP_1) | instskip(NEXT) | instid1(VALU_DEP_1)
	v_and_b32_e32 v11, 0xffff, v11
	v_lshrrev_b32_e32 v11, s23, v11
	s_delay_alu instid0(VALU_DEP_1) | instskip(NEXT) | instid1(VALU_DEP_1)
	v_and_b32_e32 v11, s42, v11
	v_lshl_or_b32 v11, v11, 4, v39
	ds_add_u32 v11, v62
	s_branch .LBB2084_23
.LBB2084_53:                            ;   in Loop: Header=BB2084_24 Depth=2
	global_load_u16 v10, v82, s[0:1]
	s_or_b32 exec_lo, exec_lo, s11
	s_delay_alu instid0(SALU_CYCLE_1)
	s_mov_b32 s11, exec_lo
	v_cmpx_gt_u32_e64 s9, v29
	s_cbranch_execz .LBB2084_29
.LBB2084_54:                            ;   in Loop: Header=BB2084_24 Depth=2
	global_load_u16 v9, v82, s[0:1] offset:512
	s_wait_alu 0xfffe
	s_or_b32 exec_lo, exec_lo, s11
	s_delay_alu instid0(SALU_CYCLE_1)
	s_mov_b32 s11, exec_lo
	v_cmpx_gt_u32_e64 s9, v30
	s_cbranch_execz .LBB2084_30
.LBB2084_55:                            ;   in Loop: Header=BB2084_24 Depth=2
	global_load_u16 v8, v82, s[0:1] offset:1024
	s_wait_alu 0xfffe
	s_or_b32 exec_lo, exec_lo, s11
	s_delay_alu instid0(SALU_CYCLE_1)
	s_mov_b32 s11, exec_lo
	v_cmpx_gt_u32_e64 s9, v31
	s_cbranch_execz .LBB2084_31
.LBB2084_56:                            ;   in Loop: Header=BB2084_24 Depth=2
	global_load_u16 v7, v82, s[0:1] offset:1536
	s_wait_alu 0xfffe
	s_or_b32 exec_lo, exec_lo, s11
	s_delay_alu instid0(SALU_CYCLE_1)
	s_mov_b32 s11, exec_lo
	v_cmpx_gt_u32_e64 s9, v34
	s_cbranch_execz .LBB2084_32
.LBB2084_57:                            ;   in Loop: Header=BB2084_24 Depth=2
	global_load_u16 v6, v82, s[0:1] offset:2048
	s_wait_alu 0xfffe
	s_or_b32 exec_lo, exec_lo, s11
	s_delay_alu instid0(SALU_CYCLE_1)
	s_mov_b32 s11, exec_lo
	v_cmpx_gt_u32_e64 s9, v35
	s_cbranch_execz .LBB2084_33
.LBB2084_58:                            ;   in Loop: Header=BB2084_24 Depth=2
	global_load_u16 v5, v82, s[0:1] offset:2560
	s_wait_alu 0xfffe
	s_or_b32 exec_lo, exec_lo, s11
	s_delay_alu instid0(SALU_CYCLE_1)
	s_mov_b32 s11, exec_lo
	v_cmpx_gt_u32_e64 s9, v36
	s_cbranch_execz .LBB2084_34
.LBB2084_59:                            ;   in Loop: Header=BB2084_24 Depth=2
	global_load_u16 v4, v82, s[0:1] offset:3072
	s_wait_alu 0xfffe
	s_or_b32 exec_lo, exec_lo, s11
	s_delay_alu instid0(SALU_CYCLE_1)
	s_mov_b32 s11, exec_lo
	v_cmpx_gt_u32_e64 s9, v37
	s_cbranch_execnz .LBB2084_35
	s_branch .LBB2084_36
.LBB2084_60:                            ;   in Loop: Header=BB2084_20 Depth=1
	v_mov_b32_e32 v2, 0
	s_wait_dscnt 0x0
	s_barrier_signal -1
	s_barrier_wait -1
	global_inv scope:SCOPE_SE
	s_and_saveexec_b32 s0, s2
	s_cbranch_execz .LBB2084_62
; %bb.61:                               ;   in Loop: Header=BB2084_20 Depth=1
	ds_load_2addr_b64 v[4:7], v40 offset1:1
	s_wait_dscnt 0x0
	v_add_nc_u32_e32 v2, v5, v4
	s_delay_alu instid0(VALU_DEP_1)
	v_add3_u32 v2, v2, v6, v7
.LBB2084_62:                            ;   in Loop: Header=BB2084_20 Depth=1
	s_wait_alu 0xfffe
	s_or_b32 exec_lo, exec_lo, s0
	s_delay_alu instid0(VALU_DEP_1)
	v_mov_b32_dpp v4, v2 row_shr:1 row_mask:0xf bank_mask:0xf
	v_cmp_eq_u32_e64 s0, 0, v63
	v_cmp_lt_u32_e64 s1, 1, v63
	v_cmp_lt_u32_e64 s9, 3, v63
	;; [unrolled: 1-line block ×3, first 2 shown]
	v_cmp_eq_u32_e64 s11, 0, v65
	s_wait_alu 0xf1ff
	v_cndmask_b32_e64 v4, v4, 0, s0
	s_delay_alu instid0(VALU_DEP_1) | instskip(NEXT) | instid1(VALU_DEP_1)
	v_add_nc_u32_e32 v2, v4, v2
	v_mov_b32_dpp v4, v2 row_shr:2 row_mask:0xf bank_mask:0xf
	s_delay_alu instid0(VALU_DEP_1) | instskip(NEXT) | instid1(VALU_DEP_1)
	v_cndmask_b32_e64 v4, 0, v4, s1
	v_add_nc_u32_e32 v2, v2, v4
	s_delay_alu instid0(VALU_DEP_1) | instskip(NEXT) | instid1(VALU_DEP_1)
	v_mov_b32_dpp v4, v2 row_shr:4 row_mask:0xf bank_mask:0xf
	v_cndmask_b32_e64 v4, 0, v4, s9
	s_delay_alu instid0(VALU_DEP_1) | instskip(NEXT) | instid1(VALU_DEP_1)
	v_add_nc_u32_e32 v2, v2, v4
	v_mov_b32_dpp v4, v2 row_shr:8 row_mask:0xf bank_mask:0xf
	s_delay_alu instid0(VALU_DEP_1) | instskip(NEXT) | instid1(VALU_DEP_1)
	v_cndmask_b32_e64 v4, 0, v4, s10
	v_add_nc_u32_e32 v2, v2, v4
	ds_swizzle_b32 v4, v2 offset:swizzle(BROADCAST,32,15)
	s_wait_dscnt 0x0
	v_and_b32_e32 v4, v64, v4
	s_delay_alu instid0(VALU_DEP_1)
	v_add_nc_u32_e32 v2, v2, v4
	s_and_saveexec_b32 s12, s3
; %bb.63:                               ;   in Loop: Header=BB2084_20 Depth=1
	ds_store_b32 v41, v2
; %bb.64:                               ;   in Loop: Header=BB2084_20 Depth=1
	s_wait_alu 0xfffe
	s_or_b32 exec_lo, exec_lo, s12
	s_wait_loadcnt_dscnt 0x0
	s_barrier_signal -1
	s_barrier_wait -1
	global_inv scope:SCOPE_SE
	s_and_saveexec_b32 s12, s4
	s_cbranch_execz .LBB2084_66
; %bb.65:                               ;   in Loop: Header=BB2084_20 Depth=1
	ds_load_b32 v4, v42
	v_cmp_ne_u32_e32 vcc_lo, 0, v67
	s_wait_dscnt 0x0
	v_mov_b32_dpp v5, v4 row_shr:1 row_mask:0xf bank_mask:0xf
	s_wait_alu 0xfffd
	s_delay_alu instid0(VALU_DEP_1) | instskip(SKIP_1) | instid1(VALU_DEP_2)
	v_cndmask_b32_e32 v5, 0, v5, vcc_lo
	v_cmp_lt_u32_e32 vcc_lo, 1, v67
	v_add_nc_u32_e32 v4, v5, v4
	s_delay_alu instid0(VALU_DEP_1) | instskip(SKIP_1) | instid1(VALU_DEP_1)
	v_mov_b32_dpp v5, v4 row_shr:2 row_mask:0xf bank_mask:0xf
	s_wait_alu 0xfffd
	v_cndmask_b32_e32 v5, 0, v5, vcc_lo
	v_cmp_lt_u32_e32 vcc_lo, 3, v67
	s_delay_alu instid0(VALU_DEP_2) | instskip(NEXT) | instid1(VALU_DEP_1)
	v_add_nc_u32_e32 v4, v4, v5
	v_mov_b32_dpp v5, v4 row_shr:4 row_mask:0xf bank_mask:0xf
	s_wait_alu 0xfffd
	s_delay_alu instid0(VALU_DEP_1) | instskip(NEXT) | instid1(VALU_DEP_1)
	v_cndmask_b32_e32 v5, 0, v5, vcc_lo
	v_add_nc_u32_e32 v4, v4, v5
	ds_store_b32 v42, v4
.LBB2084_66:                            ;   in Loop: Header=BB2084_20 Depth=1
	s_wait_alu 0xfffe
	s_or_b32 exec_lo, exec_lo, s12
	v_mov_b32_e32 v4, 0
	s_wait_loadcnt_dscnt 0x0
	s_barrier_signal -1
	s_barrier_wait -1
	global_inv scope:SCOPE_SE
	s_and_saveexec_b32 s12, s5
; %bb.67:                               ;   in Loop: Header=BB2084_20 Depth=1
	ds_load_b32 v4, v44
; %bb.68:                               ;   in Loop: Header=BB2084_20 Depth=1
	s_wait_alu 0xfffe
	s_or_b32 exec_lo, exec_lo, s12
	v_cmp_gt_i32_e32 vcc_lo, 0, v68
	s_wait_dscnt 0x0
	v_add_nc_u32_e32 v2, v4, v2
	s_wait_loadcnt 0x0
	s_barrier_signal -1
	s_barrier_wait -1
	s_wait_alu 0xfffd
	v_cndmask_b32_e32 v5, v68, v59, vcc_lo
	global_inv scope:SCOPE_SE
	v_lshlrev_b32_e32 v87, 2, v5
	ds_bpermute_b32 v2, v87, v2
	s_and_saveexec_b32 s12, s2
	s_cbranch_execz .LBB2084_70
; %bb.69:                               ;   in Loop: Header=BB2084_20 Depth=1
	s_wait_dscnt 0x0
	v_cndmask_b32_e64 v2, v2, v4, s8
	s_delay_alu instid0(VALU_DEP_1)
	v_add_nc_u32_e32 v2, s33, v2
	ds_store_b32 v28, v2
.LBB2084_70:                            ;   in Loop: Header=BB2084_20 Depth=1
	s_wait_alu 0xfffe
	s_or_b32 exec_lo, exec_lo, s12
	s_clause 0x1
	s_load_b32 s12, s[28:29], 0x4
	s_load_b32 s14, s[28:29], 0xc
	s_mov_b32 s43, s47
                                        ; implicit-def: $vgpr6_vgpr7
                                        ; implicit-def: $vgpr8_vgpr9
                                        ; implicit-def: $vgpr10_vgpr11
                                        ; implicit-def: $vgpr12_vgpr13
                                        ; implicit-def: $vgpr14_vgpr15
                                        ; implicit-def: $vgpr16_vgpr17
                                        ; implicit-def: $vgpr18_vgpr19
                                        ; implicit-def: $vgpr89
                                        ; implicit-def: $vgpr90
                                        ; implicit-def: $vgpr91
                                        ; implicit-def: $vgpr92
                                        ; implicit-def: $vgpr93
                                        ; implicit-def: $vgpr94
                                        ; implicit-def: $vgpr95
                                        ; implicit-def: $vgpr96
	s_wait_kmcnt 0x0
	s_cmp_lt_u32 ttmp7, s12
	s_cselect_b32 s30, 14, 20
	s_wait_alu 0xfffe
	s_add_nc_u64 s[12:13], s[28:29], s[30:31]
	s_mov_b32 s30, s33
	s_load_u16 s12, s[12:13], 0x0
	v_cmp_lt_u32_e64 s13, 1, v67
	s_wait_dscnt 0x0
	s_wait_kmcnt 0x0
	v_mad_u32_u24 v2, v45, s12, v0
	s_and_b32 s12, s14, 0xffff
	v_cmp_lt_u32_e64 s14, 3, v67
	s_wait_alu 0xfffe
	s_delay_alu instid0(VALU_DEP_2) | instskip(SKIP_1) | instid1(VALU_DEP_2)
	v_mad_co_u64_u32 v[4:5], null, v2, s12, v[1:2]
	v_cmp_eq_u32_e64 s12, 0, v67
	v_lshrrev_b32_e32 v2, 3, v4
                                        ; implicit-def: $vgpr4_vgpr5
	s_delay_alu instid0(VALU_DEP_1)
	v_and_b32_e32 v88, 0x1ffffffc, v2
	s_branch .LBB2084_72
.LBB2084_71:                            ;   in Loop: Header=BB2084_72 Depth=2
	s_wait_alu 0xfffe
	s_or_b32 exec_lo, exec_lo, s15
	s_addk_co_i32 s43, 0xf800
	s_cmp_lt_u32 s44, s34
	s_mov_b32 s30, s44
	s_cbranch_scc0 .LBB2084_184
.LBB2084_72:                            ;   Parent Loop BB2084_20 Depth=1
                                        ; =>  This Inner Loop Header: Depth=2
	s_wait_alu 0xfffe
	s_add_co_i32 s44, s30, 0x800
	s_wait_alu 0xfffe
	s_cmp_gt_u32 s44, s34
	s_cbranch_scc1 .LBB2084_74
; %bb.73:                               ;   in Loop: Header=BB2084_72 Depth=2
	s_lshl_b64 s[16:17], s[30:31], 1
	s_mov_b32 s15, -1
	s_wait_alu 0xfffe
	v_add_co_u32 v20, vcc_lo, v85, s16
	s_wait_alu 0xfffd
	v_add_co_ci_u32_e64 v21, null, s17, v86, vcc_lo
	s_clause 0x6
	global_load_u16 v2, v[20:21], off
	global_load_u16 v27, v[20:21], off offset:64
	global_load_u16 v26, v[20:21], off offset:128
	;; [unrolled: 1-line block ×6, first 2 shown]
	s_movk_i32 s16, 0x800
	s_cbranch_execz .LBB2084_75
	s_branch .LBB2084_90
.LBB2084_74:                            ;   in Loop: Header=BB2084_72 Depth=2
	s_mov_b32 s15, 0
                                        ; implicit-def: $vgpr2
                                        ; implicit-def: $vgpr27
                                        ; implicit-def: $vgpr26
                                        ; implicit-def: $vgpr25
                                        ; implicit-def: $vgpr24
                                        ; implicit-def: $vgpr23
                                        ; implicit-def: $vgpr22
	s_movk_i32 s16, 0x800
.LBB2084_75:                            ;   in Loop: Header=BB2084_72 Depth=2
	s_lshl_b64 s[16:17], s[30:31], 1
	s_wait_loadcnt 0x5
	v_dual_mov_b32 v27, 0x7fff :: v_dual_mov_b32 v2, 0x7fff
	s_wait_alu 0xfffe
	v_add_co_u32 v20, vcc_lo, v85, s16
	s_wait_alu 0xfffd
	v_add_co_ci_u32_e64 v21, null, s17, v86, vcc_lo
	s_mov_b32 s15, exec_lo
	v_cmpx_gt_u32_e64 s43, v66
	s_cbranch_execz .LBB2084_77
; %bb.76:                               ;   in Loop: Header=BB2084_72 Depth=2
	global_load_u16 v2, v[20:21], off
.LBB2084_77:                            ;   in Loop: Header=BB2084_72 Depth=2
	s_wait_alu 0xfffe
	s_or_b32 exec_lo, exec_lo, s15
	s_delay_alu instid0(SALU_CYCLE_1)
	s_mov_b32 s15, exec_lo
	v_cmpx_gt_u32_e64 s43, v70
	s_cbranch_execz .LBB2084_79
; %bb.78:                               ;   in Loop: Header=BB2084_72 Depth=2
	global_load_u16 v27, v[20:21], off offset:64
.LBB2084_79:                            ;   in Loop: Header=BB2084_72 Depth=2
	s_wait_alu 0xfffe
	s_or_b32 exec_lo, exec_lo, s15
	s_wait_loadcnt 0x3
	v_dual_mov_b32 v25, 0x7fff :: v_dual_mov_b32 v26, 0x7fff
	s_mov_b32 s15, exec_lo
	v_cmpx_gt_u32_e64 s43, v71
	s_cbranch_execz .LBB2084_81
; %bb.80:                               ;   in Loop: Header=BB2084_72 Depth=2
	global_load_u16 v26, v[20:21], off offset:128
.LBB2084_81:                            ;   in Loop: Header=BB2084_72 Depth=2
	s_wait_alu 0xfffe
	s_or_b32 exec_lo, exec_lo, s15
	s_delay_alu instid0(SALU_CYCLE_1)
	s_mov_b32 s15, exec_lo
	v_cmpx_gt_u32_e64 s43, v72
	s_cbranch_execz .LBB2084_83
; %bb.82:                               ;   in Loop: Header=BB2084_72 Depth=2
	global_load_u16 v25, v[20:21], off offset:192
.LBB2084_83:                            ;   in Loop: Header=BB2084_72 Depth=2
	s_wait_alu 0xfffe
	s_or_b32 exec_lo, exec_lo, s15
	s_wait_loadcnt 0x1
	v_dual_mov_b32 v23, 0x7fff :: v_dual_mov_b32 v24, 0x7fff
	s_mov_b32 s15, exec_lo
	v_cmpx_gt_u32_e64 s43, v73
	s_cbranch_execz .LBB2084_85
; %bb.84:                               ;   in Loop: Header=BB2084_72 Depth=2
	global_load_u16 v24, v[20:21], off offset:256
.LBB2084_85:                            ;   in Loop: Header=BB2084_72 Depth=2
	s_wait_alu 0xfffe
	s_or_b32 exec_lo, exec_lo, s15
	s_delay_alu instid0(SALU_CYCLE_1)
	s_mov_b32 s15, exec_lo
	v_cmpx_gt_u32_e64 s43, v74
	s_cbranch_execz .LBB2084_87
; %bb.86:                               ;   in Loop: Header=BB2084_72 Depth=2
	global_load_u16 v23, v[20:21], off offset:320
.LBB2084_87:                            ;   in Loop: Header=BB2084_72 Depth=2
	s_wait_alu 0xfffe
	s_or_b32 exec_lo, exec_lo, s15
	s_wait_loadcnt 0x0
	v_mov_b32_e32 v22, 0x7fff
	s_mov_b32 s15, exec_lo
	v_cmpx_gt_u32_e64 s43, v75
	s_cbranch_execz .LBB2084_89
; %bb.88:                               ;   in Loop: Header=BB2084_72 Depth=2
	global_load_u16 v22, v[20:21], off offset:384
.LBB2084_89:                            ;   in Loop: Header=BB2084_72 Depth=2
	s_wait_alu 0xfffe
	s_or_b32 exec_lo, exec_lo, s15
	v_cmp_gt_u32_e64 s15, s43, v76
	s_sub_co_i32 s16, s34, s30
.LBB2084_90:                            ;   in Loop: Header=BB2084_72 Depth=2
	v_dual_mov_b32 v20, 0x7fff :: v_dual_mov_b32 v97, s43
	s_and_saveexec_b32 s17, s15
	s_cbranch_execz .LBB2084_92
; %bb.91:                               ;   in Loop: Header=BB2084_72 Depth=2
	s_lshl_b64 s[18:19], s[30:31], 1
	s_wait_alu 0xfffe
	v_mov_b32_e32 v97, s16
	v_add_co_u32 v20, vcc_lo, v85, s18
	s_wait_alu 0xfffd
	v_add_co_ci_u32_e64 v21, null, s19, v86, vcc_lo
	global_load_u16 v20, v[20:21], off offset:448
.LBB2084_92:                            ;   in Loop: Header=BB2084_72 Depth=2
	s_wait_alu 0xfffe
	s_or_b32 exec_lo, exec_lo, s17
	s_wait_loadcnt 0x6
	v_cmp_lt_i16_e32 vcc_lo, -1, v2
	ds_store_2addr_b32 v81, v3, v3 offset1:1
	ds_store_2addr_b32 v78, v3, v3 offset1:1
	;; [unrolled: 1-line block ×4, first 2 shown]
	ds_store_b32 v43, v3 offset:1088
	s_wait_loadcnt_dscnt 0x0
	s_barrier_signal -1
	s_wait_alu 0xfffd
	v_cndmask_b32_e64 v21, -1, 0xffff8000, vcc_lo
	s_barrier_wait -1
	global_inv scope:SCOPE_SE
	; wave barrier
	v_xor_b32_e32 v2, v21, v2
	s_delay_alu instid0(VALU_DEP_1) | instskip(SKIP_2) | instid1(VALU_DEP_1)
	v_cmp_ne_u16_e32 vcc_lo, 0x7fff, v2
	s_wait_alu 0xfffd
	v_cndmask_b32_e32 v21, 0xffff8000, v2, vcc_lo
	v_and_b32_e32 v21, 0xffff, v21
	s_delay_alu instid0(VALU_DEP_1) | instskip(NEXT) | instid1(VALU_DEP_1)
	v_lshrrev_b32_e32 v21, s23, v21
	v_and_b32_e32 v99, s42, v21
	s_delay_alu instid0(VALU_DEP_1)
	v_and_b32_e32 v21, 1, v99
	v_lshlrev_b32_e32 v98, 30, v99
	v_lshlrev_b32_e32 v100, 29, v99
	;; [unrolled: 1-line block ×4, first 2 shown]
	v_add_co_u32 v21, s15, v21, -1
	s_wait_alu 0xf1ff
	v_cndmask_b32_e64 v102, 0, 1, s15
	v_not_b32_e32 v106, v98
	v_cmp_gt_i32_e64 s15, 0, v98
	v_not_b32_e32 v98, v100
	v_lshlrev_b32_e32 v104, 26, v99
	v_cmp_ne_u32_e32 vcc_lo, 0, v102
	v_ashrrev_i32_e32 v106, 31, v106
	v_lshlrev_b32_e32 v105, 25, v99
	v_ashrrev_i32_e32 v98, 31, v98
	v_lshlrev_b32_e32 v102, 24, v99
	s_wait_alu 0xfffd
	v_xor_b32_e32 v21, vcc_lo, v21
	v_cmp_gt_i32_e32 vcc_lo, 0, v100
	v_not_b32_e32 v100, v101
	s_wait_alu 0xf1ff
	v_xor_b32_e32 v106, s15, v106
	v_cmp_gt_i32_e64 s15, 0, v101
	v_and_b32_e32 v21, exec_lo, v21
	v_not_b32_e32 v101, v103
	v_ashrrev_i32_e32 v100, 31, v100
	s_wait_alu 0xfffd
	v_xor_b32_e32 v98, vcc_lo, v98
	v_cmp_gt_i32_e32 vcc_lo, 0, v103
	v_and_b32_e32 v21, v21, v106
	v_not_b32_e32 v103, v104
	v_ashrrev_i32_e32 v101, 31, v101
	s_wait_alu 0xf1ff
	v_xor_b32_e32 v100, s15, v100
	v_cmp_gt_i32_e64 s15, 0, v104
	v_and_b32_e32 v21, v21, v98
	v_not_b32_e32 v98, v105
	v_ashrrev_i32_e32 v103, 31, v103
	s_wait_alu 0xfffd
	v_xor_b32_e32 v101, vcc_lo, v101
	v_cmp_gt_i32_e32 vcc_lo, 0, v105
	v_and_b32_e32 v21, v21, v100
	v_not_b32_e32 v100, v102
	v_ashrrev_i32_e32 v98, 31, v98
	s_wait_alu 0xf1ff
	v_xor_b32_e32 v103, s15, v103
	v_cmp_gt_i32_e64 s15, 0, v102
	v_and_b32_e32 v21, v21, v101
	v_ashrrev_i32_e32 v100, 31, v100
	s_wait_alu 0xfffd
	v_xor_b32_e32 v98, vcc_lo, v98
	v_mul_u32_u24_e32 v99, 36, v99
	v_and_b32_e32 v21, v21, v103
	s_wait_alu 0xf1ff
	v_xor_b32_e32 v100, s15, v100
	s_delay_alu instid0(VALU_DEP_2) | instskip(NEXT) | instid1(VALU_DEP_1)
	v_and_b32_e32 v21, v21, v98
	v_and_b32_e32 v21, v21, v100
	v_add_nc_u32_e32 v100, v88, v99
	s_delay_alu instid0(VALU_DEP_2) | instskip(SKIP_1) | instid1(VALU_DEP_2)
	v_mbcnt_lo_u32_b32 v98, v21, 0
	v_cmp_ne_u32_e64 s15, 0, v21
	v_cmp_eq_u32_e32 vcc_lo, 0, v98
	s_and_b32 s16, s15, vcc_lo
	s_wait_alu 0xfffe
	s_and_saveexec_b32 s15, s16
; %bb.93:                               ;   in Loop: Header=BB2084_72 Depth=2
	v_bcnt_u32_b32 v21, v21, 0
	ds_store_b32 v100, v21 offset:1056
; %bb.94:                               ;   in Loop: Header=BB2084_72 Depth=2
	s_wait_alu 0xfffe
	s_or_b32 exec_lo, exec_lo, s15
	v_cmp_lt_i16_e32 vcc_lo, -1, v27
	; wave barrier
	s_wait_alu 0xfffd
	v_cndmask_b32_e64 v21, -1, 0xffff8000, vcc_lo
	s_delay_alu instid0(VALU_DEP_1) | instskip(NEXT) | instid1(VALU_DEP_1)
	v_xor_b32_e32 v99, v21, v27
	v_cmp_ne_u16_e32 vcc_lo, 0x7fff, v99
	s_wait_alu 0xfffd
	v_cndmask_b32_e32 v21, 0xffff8000, v99, vcc_lo
	s_delay_alu instid0(VALU_DEP_1) | instskip(NEXT) | instid1(VALU_DEP_1)
	v_and_b32_e32 v21, 0xffff, v21
	v_lshrrev_b32_e32 v21, s23, v21
	s_delay_alu instid0(VALU_DEP_1) | instskip(NEXT) | instid1(VALU_DEP_1)
	v_and_b32_e32 v27, s42, v21
	v_and_b32_e32 v21, 1, v27
	v_lshlrev_b32_e32 v101, 30, v27
	v_lshlrev_b32_e32 v102, 29, v27
	;; [unrolled: 1-line block ×4, first 2 shown]
	v_add_co_u32 v21, s15, v21, -1
	s_wait_alu 0xf1ff
	v_cndmask_b32_e64 v104, 0, 1, s15
	v_not_b32_e32 v108, v101
	v_cmp_gt_i32_e64 s15, 0, v101
	v_not_b32_e32 v101, v102
	v_lshlrev_b32_e32 v106, 26, v27
	v_cmp_ne_u32_e32 vcc_lo, 0, v104
	v_ashrrev_i32_e32 v108, 31, v108
	v_lshlrev_b32_e32 v107, 25, v27
	v_ashrrev_i32_e32 v101, 31, v101
	v_lshlrev_b32_e32 v104, 24, v27
	s_wait_alu 0xfffd
	v_xor_b32_e32 v21, vcc_lo, v21
	v_cmp_gt_i32_e32 vcc_lo, 0, v102
	v_not_b32_e32 v102, v103
	s_wait_alu 0xf1ff
	v_xor_b32_e32 v108, s15, v108
	v_cmp_gt_i32_e64 s15, 0, v103
	v_and_b32_e32 v21, exec_lo, v21
	v_not_b32_e32 v103, v105
	v_ashrrev_i32_e32 v102, 31, v102
	s_wait_alu 0xfffd
	v_xor_b32_e32 v101, vcc_lo, v101
	v_cmp_gt_i32_e32 vcc_lo, 0, v105
	v_and_b32_e32 v21, v21, v108
	v_not_b32_e32 v105, v106
	v_ashrrev_i32_e32 v103, 31, v103
	s_wait_alu 0xf1ff
	v_xor_b32_e32 v102, s15, v102
	v_cmp_gt_i32_e64 s15, 0, v106
	v_and_b32_e32 v21, v21, v101
	v_not_b32_e32 v101, v107
	v_ashrrev_i32_e32 v105, 31, v105
	s_wait_alu 0xfffd
	v_xor_b32_e32 v103, vcc_lo, v103
	v_cmp_gt_i32_e32 vcc_lo, 0, v107
	v_and_b32_e32 v21, v21, v102
	v_not_b32_e32 v102, v104
	v_ashrrev_i32_e32 v101, 31, v101
	s_wait_alu 0xf1ff
	v_xor_b32_e32 v105, s15, v105
	v_cmp_gt_i32_e64 s15, 0, v104
	v_and_b32_e32 v21, v21, v103
	v_ashrrev_i32_e32 v102, 31, v102
	s_wait_alu 0xfffd
	v_xor_b32_e32 v101, vcc_lo, v101
	v_mad_u32_u24 v103, v27, 36, v88
	v_mul_u32_u24_e32 v27, 36, v27
	v_and_b32_e32 v21, v21, v105
	s_wait_alu 0xf1ff
	v_xor_b32_e32 v102, s15, v102
	s_delay_alu instid0(VALU_DEP_3) | instskip(NEXT) | instid1(VALU_DEP_3)
	v_add_nc_u32_e32 v104, v88, v27
	v_and_b32_e32 v21, v21, v101
	ds_load_b32 v101, v103 offset:1056
	; wave barrier
	v_and_b32_e32 v21, v21, v102
	s_delay_alu instid0(VALU_DEP_1) | instskip(SKIP_1) | instid1(VALU_DEP_2)
	v_mbcnt_lo_u32_b32 v102, v21, 0
	v_cmp_ne_u32_e64 s15, 0, v21
	v_cmp_eq_u32_e32 vcc_lo, 0, v102
	s_and_b32 s16, s15, vcc_lo
	s_wait_alu 0xfffe
	s_and_saveexec_b32 s15, s16
	s_cbranch_execz .LBB2084_96
; %bb.95:                               ;   in Loop: Header=BB2084_72 Depth=2
	s_wait_dscnt 0x0
	v_bcnt_u32_b32 v21, v21, v101
	ds_store_b32 v104, v21 offset:1056
.LBB2084_96:                            ;   in Loop: Header=BB2084_72 Depth=2
	s_wait_alu 0xfffe
	s_or_b32 exec_lo, exec_lo, s15
	v_cmp_lt_i16_e32 vcc_lo, -1, v26
	; wave barrier
	s_wait_alu 0xfffd
	v_cndmask_b32_e64 v21, -1, 0xffff8000, vcc_lo
	s_delay_alu instid0(VALU_DEP_1) | instskip(NEXT) | instid1(VALU_DEP_1)
	v_xor_b32_e32 v103, v21, v26
	v_cmp_ne_u16_e32 vcc_lo, 0x7fff, v103
	s_wait_alu 0xfffd
	v_cndmask_b32_e32 v21, 0xffff8000, v103, vcc_lo
	s_delay_alu instid0(VALU_DEP_1) | instskip(NEXT) | instid1(VALU_DEP_1)
	v_and_b32_e32 v21, 0xffff, v21
	v_lshrrev_b32_e32 v21, s23, v21
	s_delay_alu instid0(VALU_DEP_1) | instskip(NEXT) | instid1(VALU_DEP_1)
	v_and_b32_e32 v26, s42, v21
	v_and_b32_e32 v21, 1, v26
	v_lshlrev_b32_e32 v27, 30, v26
	v_lshlrev_b32_e32 v105, 29, v26
	;; [unrolled: 1-line block ×4, first 2 shown]
	v_add_co_u32 v21, s15, v21, -1
	s_wait_alu 0xf1ff
	v_cndmask_b32_e64 v107, 0, 1, s15
	v_not_b32_e32 v111, v27
	v_cmp_gt_i32_e64 s15, 0, v27
	v_not_b32_e32 v27, v105
	v_lshlrev_b32_e32 v109, 26, v26
	v_cmp_ne_u32_e32 vcc_lo, 0, v107
	v_ashrrev_i32_e32 v111, 31, v111
	v_lshlrev_b32_e32 v110, 25, v26
	v_ashrrev_i32_e32 v27, 31, v27
	v_lshlrev_b32_e32 v107, 24, v26
	s_wait_alu 0xfffd
	v_xor_b32_e32 v21, vcc_lo, v21
	v_cmp_gt_i32_e32 vcc_lo, 0, v105
	v_not_b32_e32 v105, v106
	s_wait_alu 0xf1ff
	v_xor_b32_e32 v111, s15, v111
	v_cmp_gt_i32_e64 s15, 0, v106
	v_and_b32_e32 v21, exec_lo, v21
	v_not_b32_e32 v106, v108
	v_ashrrev_i32_e32 v105, 31, v105
	s_wait_alu 0xfffd
	v_xor_b32_e32 v27, vcc_lo, v27
	v_cmp_gt_i32_e32 vcc_lo, 0, v108
	v_and_b32_e32 v21, v21, v111
	v_not_b32_e32 v108, v109
	v_ashrrev_i32_e32 v106, 31, v106
	s_wait_alu 0xf1ff
	v_xor_b32_e32 v105, s15, v105
	v_cmp_gt_i32_e64 s15, 0, v109
	v_and_b32_e32 v21, v21, v27
	v_not_b32_e32 v27, v110
	v_ashrrev_i32_e32 v108, 31, v108
	s_wait_alu 0xfffd
	v_xor_b32_e32 v106, vcc_lo, v106
	v_cmp_gt_i32_e32 vcc_lo, 0, v110
	v_and_b32_e32 v21, v21, v105
	v_not_b32_e32 v105, v107
	v_ashrrev_i32_e32 v27, 31, v27
	s_wait_alu 0xf1ff
	v_xor_b32_e32 v108, s15, v108
	v_cmp_gt_i32_e64 s15, 0, v107
	v_and_b32_e32 v21, v21, v106
	v_ashrrev_i32_e32 v105, 31, v105
	s_wait_alu 0xfffd
	v_xor_b32_e32 v27, vcc_lo, v27
	v_mad_u32_u24 v106, v26, 36, v88
	v_mul_u32_u24_e32 v26, 36, v26
	v_and_b32_e32 v21, v21, v108
	s_wait_alu 0xf1ff
	v_xor_b32_e32 v107, s15, v105
	ds_load_b32 v105, v106 offset:1056
	v_add_nc_u32_e32 v108, v88, v26
	v_and_b32_e32 v21, v21, v27
	; wave barrier
	s_delay_alu instid0(VALU_DEP_1) | instskip(NEXT) | instid1(VALU_DEP_1)
	v_and_b32_e32 v21, v21, v107
	v_mbcnt_lo_u32_b32 v107, v21, 0
	v_cmp_ne_u32_e64 s15, 0, v21
	s_delay_alu instid0(VALU_DEP_2)
	v_cmp_eq_u32_e32 vcc_lo, 0, v107
	s_and_b32 s16, s15, vcc_lo
	s_wait_alu 0xfffe
	s_and_saveexec_b32 s15, s16
	s_cbranch_execz .LBB2084_98
; %bb.97:                               ;   in Loop: Header=BB2084_72 Depth=2
	s_wait_dscnt 0x0
	v_bcnt_u32_b32 v21, v21, v105
	ds_store_b32 v108, v21 offset:1056
.LBB2084_98:                            ;   in Loop: Header=BB2084_72 Depth=2
	s_wait_alu 0xfffe
	s_or_b32 exec_lo, exec_lo, s15
	v_cmp_lt_i16_e32 vcc_lo, -1, v25
	; wave barrier
	s_wait_alu 0xfffd
	v_cndmask_b32_e64 v21, -1, 0xffff8000, vcc_lo
	s_delay_alu instid0(VALU_DEP_1) | instskip(NEXT) | instid1(VALU_DEP_1)
	v_xor_b32_e32 v106, v21, v25
	v_cmp_ne_u16_e32 vcc_lo, 0x7fff, v106
	s_wait_alu 0xfffd
	v_cndmask_b32_e32 v21, 0xffff8000, v106, vcc_lo
	s_delay_alu instid0(VALU_DEP_1) | instskip(NEXT) | instid1(VALU_DEP_1)
	v_and_b32_e32 v21, 0xffff, v21
	v_lshrrev_b32_e32 v21, s23, v21
	s_delay_alu instid0(VALU_DEP_1) | instskip(NEXT) | instid1(VALU_DEP_1)
	v_and_b32_e32 v25, s42, v21
	v_and_b32_e32 v21, 1, v25
	v_lshlrev_b32_e32 v26, 30, v25
	v_lshlrev_b32_e32 v27, 29, v25
	;; [unrolled: 1-line block ×4, first 2 shown]
	v_add_co_u32 v21, s15, v21, -1
	s_wait_alu 0xf1ff
	v_cndmask_b32_e64 v110, 0, 1, s15
	v_not_b32_e32 v114, v26
	v_cmp_gt_i32_e64 s15, 0, v26
	v_not_b32_e32 v26, v27
	v_lshlrev_b32_e32 v112, 26, v25
	v_cmp_ne_u32_e32 vcc_lo, 0, v110
	v_ashrrev_i32_e32 v114, 31, v114
	v_lshlrev_b32_e32 v113, 25, v25
	v_ashrrev_i32_e32 v26, 31, v26
	v_lshlrev_b32_e32 v110, 24, v25
	s_wait_alu 0xfffd
	v_xor_b32_e32 v21, vcc_lo, v21
	v_cmp_gt_i32_e32 vcc_lo, 0, v27
	v_not_b32_e32 v27, v109
	s_wait_alu 0xf1ff
	v_xor_b32_e32 v114, s15, v114
	v_cmp_gt_i32_e64 s15, 0, v109
	v_and_b32_e32 v21, exec_lo, v21
	v_not_b32_e32 v109, v111
	v_ashrrev_i32_e32 v27, 31, v27
	s_wait_alu 0xfffd
	v_xor_b32_e32 v26, vcc_lo, v26
	v_cmp_gt_i32_e32 vcc_lo, 0, v111
	v_and_b32_e32 v21, v21, v114
	v_not_b32_e32 v111, v112
	v_ashrrev_i32_e32 v109, 31, v109
	s_wait_alu 0xf1ff
	v_xor_b32_e32 v27, s15, v27
	v_cmp_gt_i32_e64 s15, 0, v112
	v_and_b32_e32 v21, v21, v26
	v_not_b32_e32 v26, v113
	v_ashrrev_i32_e32 v111, 31, v111
	s_wait_alu 0xfffd
	v_xor_b32_e32 v109, vcc_lo, v109
	v_cmp_gt_i32_e32 vcc_lo, 0, v113
	v_and_b32_e32 v21, v21, v27
	v_not_b32_e32 v27, v110
	v_ashrrev_i32_e32 v26, 31, v26
	s_wait_alu 0xf1ff
	v_xor_b32_e32 v111, s15, v111
	v_cmp_gt_i32_e64 s15, 0, v110
	v_and_b32_e32 v21, v21, v109
	v_ashrrev_i32_e32 v27, 31, v27
	s_wait_alu 0xfffd
	v_xor_b32_e32 v26, vcc_lo, v26
	v_mad_u32_u24 v109, v25, 36, v88
	v_mul_u32_u24_e32 v25, 36, v25
	v_and_b32_e32 v21, v21, v111
	s_wait_alu 0xf1ff
	v_xor_b32_e32 v27, s15, v27
	ds_load_b32 v109, v109 offset:1056
	v_add_nc_u32_e32 v112, v88, v25
	v_and_b32_e32 v21, v21, v26
	; wave barrier
	s_delay_alu instid0(VALU_DEP_1) | instskip(NEXT) | instid1(VALU_DEP_1)
	v_and_b32_e32 v21, v21, v27
	v_mbcnt_lo_u32_b32 v111, v21, 0
	v_cmp_ne_u32_e64 s15, 0, v21
	s_delay_alu instid0(VALU_DEP_2)
	v_cmp_eq_u32_e32 vcc_lo, 0, v111
	s_and_b32 s16, s15, vcc_lo
	s_wait_alu 0xfffe
	s_and_saveexec_b32 s15, s16
	s_cbranch_execz .LBB2084_100
; %bb.99:                               ;   in Loop: Header=BB2084_72 Depth=2
	s_wait_dscnt 0x0
	v_bcnt_u32_b32 v21, v21, v109
	ds_store_b32 v112, v21 offset:1056
.LBB2084_100:                           ;   in Loop: Header=BB2084_72 Depth=2
	s_wait_alu 0xfffe
	s_or_b32 exec_lo, exec_lo, s15
	v_cmp_lt_i16_e32 vcc_lo, -1, v24
	; wave barrier
	s_wait_alu 0xfffd
	v_cndmask_b32_e64 v21, -1, 0xffff8000, vcc_lo
	s_delay_alu instid0(VALU_DEP_1) | instskip(NEXT) | instid1(VALU_DEP_1)
	v_xor_b32_e32 v110, v21, v24
	v_cmp_ne_u16_e32 vcc_lo, 0x7fff, v110
	s_wait_alu 0xfffd
	v_cndmask_b32_e32 v21, 0xffff8000, v110, vcc_lo
	s_delay_alu instid0(VALU_DEP_1) | instskip(NEXT) | instid1(VALU_DEP_1)
	v_and_b32_e32 v21, 0xffff, v21
	v_lshrrev_b32_e32 v21, s23, v21
	s_delay_alu instid0(VALU_DEP_1) | instskip(NEXT) | instid1(VALU_DEP_1)
	v_and_b32_e32 v24, s42, v21
	v_and_b32_e32 v21, 1, v24
	v_lshlrev_b32_e32 v25, 30, v24
	v_lshlrev_b32_e32 v26, 29, v24
	;; [unrolled: 1-line block ×4, first 2 shown]
	v_add_co_u32 v21, s15, v21, -1
	s_wait_alu 0xf1ff
	v_cndmask_b32_e64 v113, 0, 1, s15
	v_not_b32_e32 v117, v25
	v_cmp_gt_i32_e64 s15, 0, v25
	v_not_b32_e32 v25, v26
	v_lshlrev_b32_e32 v115, 26, v24
	v_cmp_ne_u32_e32 vcc_lo, 0, v113
	v_ashrrev_i32_e32 v117, 31, v117
	v_lshlrev_b32_e32 v116, 25, v24
	v_ashrrev_i32_e32 v25, 31, v25
	v_lshlrev_b32_e32 v113, 24, v24
	s_wait_alu 0xfffd
	v_xor_b32_e32 v21, vcc_lo, v21
	v_cmp_gt_i32_e32 vcc_lo, 0, v26
	v_not_b32_e32 v26, v27
	s_wait_alu 0xf1ff
	v_xor_b32_e32 v117, s15, v117
	v_cmp_gt_i32_e64 s15, 0, v27
	v_and_b32_e32 v21, exec_lo, v21
	v_not_b32_e32 v27, v114
	v_ashrrev_i32_e32 v26, 31, v26
	s_wait_alu 0xfffd
	v_xor_b32_e32 v25, vcc_lo, v25
	v_cmp_gt_i32_e32 vcc_lo, 0, v114
	v_and_b32_e32 v21, v21, v117
	v_not_b32_e32 v114, v115
	v_ashrrev_i32_e32 v27, 31, v27
	s_wait_alu 0xf1ff
	v_xor_b32_e32 v26, s15, v26
	v_cmp_gt_i32_e64 s15, 0, v115
	v_and_b32_e32 v21, v21, v25
	v_not_b32_e32 v25, v116
	v_ashrrev_i32_e32 v114, 31, v114
	s_wait_alu 0xfffd
	v_xor_b32_e32 v27, vcc_lo, v27
	v_cmp_gt_i32_e32 vcc_lo, 0, v116
	v_and_b32_e32 v21, v21, v26
	v_not_b32_e32 v26, v113
	v_ashrrev_i32_e32 v25, 31, v25
	s_wait_alu 0xf1ff
	v_xor_b32_e32 v114, s15, v114
	v_cmp_gt_i32_e64 s15, 0, v113
	v_and_b32_e32 v21, v21, v27
	v_ashrrev_i32_e32 v26, 31, v26
	s_wait_alu 0xfffd
	v_xor_b32_e32 v25, vcc_lo, v25
	v_mad_u32_u24 v27, v24, 36, v88
	v_mul_u32_u24_e32 v24, 36, v24
	v_and_b32_e32 v21, v21, v114
	s_wait_alu 0xf1ff
	v_xor_b32_e32 v26, s15, v26
	ds_load_b32 v113, v27 offset:1056
	v_add_nc_u32_e32 v116, v88, v24
	v_and_b32_e32 v21, v21, v25
	; wave barrier
	s_delay_alu instid0(VALU_DEP_1) | instskip(NEXT) | instid1(VALU_DEP_1)
	v_and_b32_e32 v21, v21, v26
	v_mbcnt_lo_u32_b32 v115, v21, 0
	v_cmp_ne_u32_e64 s15, 0, v21
	s_delay_alu instid0(VALU_DEP_2)
	v_cmp_eq_u32_e32 vcc_lo, 0, v115
	s_and_b32 s16, s15, vcc_lo
	s_wait_alu 0xfffe
	s_and_saveexec_b32 s15, s16
	s_cbranch_execz .LBB2084_102
; %bb.101:                              ;   in Loop: Header=BB2084_72 Depth=2
	s_wait_dscnt 0x0
	v_bcnt_u32_b32 v21, v21, v113
	ds_store_b32 v116, v21 offset:1056
.LBB2084_102:                           ;   in Loop: Header=BB2084_72 Depth=2
	s_wait_alu 0xfffe
	s_or_b32 exec_lo, exec_lo, s15
	v_cmp_lt_i16_e32 vcc_lo, -1, v23
	; wave barrier
	s_wait_alu 0xfffd
	v_cndmask_b32_e64 v21, -1, 0xffff8000, vcc_lo
	s_delay_alu instid0(VALU_DEP_1) | instskip(NEXT) | instid1(VALU_DEP_1)
	v_xor_b32_e32 v114, v21, v23
	v_cmp_ne_u16_e32 vcc_lo, 0x7fff, v114
	s_wait_alu 0xfffd
	v_cndmask_b32_e32 v21, 0xffff8000, v114, vcc_lo
	s_delay_alu instid0(VALU_DEP_1) | instskip(NEXT) | instid1(VALU_DEP_1)
	v_and_b32_e32 v21, 0xffff, v21
	v_lshrrev_b32_e32 v21, s23, v21
	s_delay_alu instid0(VALU_DEP_1) | instskip(NEXT) | instid1(VALU_DEP_1)
	v_and_b32_e32 v23, s42, v21
	v_and_b32_e32 v21, 1, v23
	v_lshlrev_b32_e32 v24, 30, v23
	v_lshlrev_b32_e32 v25, 29, v23
	;; [unrolled: 1-line block ×4, first 2 shown]
	v_add_co_u32 v21, s15, v21, -1
	s_wait_alu 0xf1ff
	v_cndmask_b32_e64 v27, 0, 1, s15
	v_not_b32_e32 v120, v24
	v_cmp_gt_i32_e64 s15, 0, v24
	v_not_b32_e32 v24, v25
	v_lshlrev_b32_e32 v118, 26, v23
	v_cmp_ne_u32_e32 vcc_lo, 0, v27
	v_ashrrev_i32_e32 v120, 31, v120
	v_lshlrev_b32_e32 v119, 25, v23
	v_ashrrev_i32_e32 v24, 31, v24
	v_lshlrev_b32_e32 v27, 24, v23
	s_wait_alu 0xfffd
	v_xor_b32_e32 v21, vcc_lo, v21
	v_cmp_gt_i32_e32 vcc_lo, 0, v25
	v_not_b32_e32 v25, v26
	s_wait_alu 0xf1ff
	v_xor_b32_e32 v120, s15, v120
	v_cmp_gt_i32_e64 s15, 0, v26
	v_and_b32_e32 v21, exec_lo, v21
	v_not_b32_e32 v26, v117
	v_ashrrev_i32_e32 v25, 31, v25
	s_wait_alu 0xfffd
	v_xor_b32_e32 v24, vcc_lo, v24
	v_cmp_gt_i32_e32 vcc_lo, 0, v117
	v_and_b32_e32 v21, v21, v120
	v_not_b32_e32 v117, v118
	v_ashrrev_i32_e32 v26, 31, v26
	s_wait_alu 0xf1ff
	v_xor_b32_e32 v25, s15, v25
	v_cmp_gt_i32_e64 s15, 0, v118
	v_and_b32_e32 v21, v21, v24
	v_not_b32_e32 v24, v119
	v_ashrrev_i32_e32 v117, 31, v117
	s_wait_alu 0xfffd
	v_xor_b32_e32 v26, vcc_lo, v26
	v_cmp_gt_i32_e32 vcc_lo, 0, v119
	v_and_b32_e32 v21, v21, v25
	v_not_b32_e32 v25, v27
	v_ashrrev_i32_e32 v24, 31, v24
	s_wait_alu 0xf1ff
	v_xor_b32_e32 v117, s15, v117
	v_cmp_gt_i32_e64 s15, 0, v27
	v_and_b32_e32 v21, v21, v26
	v_ashrrev_i32_e32 v25, 31, v25
	s_wait_alu 0xfffd
	v_xor_b32_e32 v24, vcc_lo, v24
	v_mad_u32_u24 v26, v23, 36, v88
	v_mul_u32_u24_e32 v23, 36, v23
	v_and_b32_e32 v21, v21, v117
	s_wait_alu 0xf1ff
	v_xor_b32_e32 v25, s15, v25
	ds_load_b32 v117, v26 offset:1056
	v_add_nc_u32_e32 v120, v88, v23
	v_and_b32_e32 v21, v21, v24
	; wave barrier
	s_delay_alu instid0(VALU_DEP_1) | instskip(NEXT) | instid1(VALU_DEP_1)
	v_and_b32_e32 v21, v21, v25
	v_mbcnt_lo_u32_b32 v119, v21, 0
	v_cmp_ne_u32_e64 s15, 0, v21
	s_delay_alu instid0(VALU_DEP_2)
	v_cmp_eq_u32_e32 vcc_lo, 0, v119
	s_and_b32 s16, s15, vcc_lo
	s_wait_alu 0xfffe
	s_and_saveexec_b32 s15, s16
	s_cbranch_execz .LBB2084_104
; %bb.103:                              ;   in Loop: Header=BB2084_72 Depth=2
	s_wait_dscnt 0x0
	v_bcnt_u32_b32 v21, v21, v117
	ds_store_b32 v120, v21 offset:1056
.LBB2084_104:                           ;   in Loop: Header=BB2084_72 Depth=2
	s_wait_alu 0xfffe
	s_or_b32 exec_lo, exec_lo, s15
	v_cmp_lt_i16_e32 vcc_lo, -1, v22
	; wave barrier
	s_wait_alu 0xfffd
	v_cndmask_b32_e64 v21, -1, 0xffff8000, vcc_lo
	s_delay_alu instid0(VALU_DEP_1) | instskip(NEXT) | instid1(VALU_DEP_1)
	v_xor_b32_e32 v118, v21, v22
	v_cmp_ne_u16_e32 vcc_lo, 0x7fff, v118
	s_wait_alu 0xfffd
	v_cndmask_b32_e32 v21, 0xffff8000, v118, vcc_lo
	s_delay_alu instid0(VALU_DEP_1) | instskip(NEXT) | instid1(VALU_DEP_1)
	v_and_b32_e32 v21, 0xffff, v21
	v_lshrrev_b32_e32 v21, s23, v21
	s_delay_alu instid0(VALU_DEP_1) | instskip(NEXT) | instid1(VALU_DEP_1)
	v_and_b32_e32 v22, s42, v21
	v_and_b32_e32 v21, 1, v22
	v_lshlrev_b32_e32 v23, 30, v22
	v_lshlrev_b32_e32 v24, 29, v22
	;; [unrolled: 1-line block ×4, first 2 shown]
	v_add_co_u32 v21, s15, v21, -1
	s_wait_alu 0xf1ff
	v_cndmask_b32_e64 v26, 0, 1, s15
	v_not_b32_e32 v123, v23
	v_cmp_gt_i32_e64 s15, 0, v23
	v_not_b32_e32 v23, v24
	v_lshlrev_b32_e32 v121, 26, v22
	v_cmp_ne_u32_e32 vcc_lo, 0, v26
	v_ashrrev_i32_e32 v123, 31, v123
	v_lshlrev_b32_e32 v122, 25, v22
	v_ashrrev_i32_e32 v23, 31, v23
	v_lshlrev_b32_e32 v26, 24, v22
	s_wait_alu 0xfffd
	v_xor_b32_e32 v21, vcc_lo, v21
	v_cmp_gt_i32_e32 vcc_lo, 0, v24
	v_not_b32_e32 v24, v25
	s_wait_alu 0xf1ff
	v_xor_b32_e32 v123, s15, v123
	v_cmp_gt_i32_e64 s15, 0, v25
	v_and_b32_e32 v21, exec_lo, v21
	v_not_b32_e32 v25, v27
	v_ashrrev_i32_e32 v24, 31, v24
	s_wait_alu 0xfffd
	v_xor_b32_e32 v23, vcc_lo, v23
	v_cmp_gt_i32_e32 vcc_lo, 0, v27
	v_and_b32_e32 v21, v21, v123
	v_not_b32_e32 v27, v121
	v_ashrrev_i32_e32 v25, 31, v25
	s_wait_alu 0xf1ff
	v_xor_b32_e32 v24, s15, v24
	v_cmp_gt_i32_e64 s15, 0, v121
	v_and_b32_e32 v21, v21, v23
	v_not_b32_e32 v23, v122
	v_ashrrev_i32_e32 v27, 31, v27
	s_wait_alu 0xfffd
	v_xor_b32_e32 v25, vcc_lo, v25
	v_cmp_gt_i32_e32 vcc_lo, 0, v122
	v_and_b32_e32 v21, v21, v24
	v_not_b32_e32 v24, v26
	v_ashrrev_i32_e32 v23, 31, v23
	s_wait_alu 0xf1ff
	v_xor_b32_e32 v27, s15, v27
	v_cmp_gt_i32_e64 s15, 0, v26
	v_and_b32_e32 v21, v21, v25
	v_ashrrev_i32_e32 v24, 31, v24
	s_wait_alu 0xfffd
	v_xor_b32_e32 v23, vcc_lo, v23
	v_mad_u32_u24 v25, v22, 36, v88
	v_mul_u32_u24_e32 v22, 36, v22
	v_and_b32_e32 v21, v21, v27
	s_wait_alu 0xf1ff
	v_xor_b32_e32 v24, s15, v24
	ds_load_b32 v121, v25 offset:1056
	v_add_nc_u32_e32 v124, v88, v22
	v_and_b32_e32 v21, v21, v23
	; wave barrier
	s_delay_alu instid0(VALU_DEP_1) | instskip(NEXT) | instid1(VALU_DEP_1)
	v_and_b32_e32 v21, v21, v24
	v_mbcnt_lo_u32_b32 v122, v21, 0
	v_cmp_ne_u32_e64 s15, 0, v21
	s_delay_alu instid0(VALU_DEP_2)
	v_cmp_eq_u32_e32 vcc_lo, 0, v122
	s_and_b32 s16, s15, vcc_lo
	s_wait_alu 0xfffe
	s_and_saveexec_b32 s15, s16
	s_cbranch_execz .LBB2084_106
; %bb.105:                              ;   in Loop: Header=BB2084_72 Depth=2
	s_wait_dscnt 0x0
	v_bcnt_u32_b32 v21, v21, v121
	ds_store_b32 v124, v21 offset:1056
.LBB2084_106:                           ;   in Loop: Header=BB2084_72 Depth=2
	s_wait_alu 0xfffe
	s_or_b32 exec_lo, exec_lo, s15
	v_cmp_lt_i16_e32 vcc_lo, -1, v20
	; wave barrier
	s_wait_alu 0xfffd
	v_cndmask_b32_e64 v21, -1, 0xffff8000, vcc_lo
	s_delay_alu instid0(VALU_DEP_1) | instskip(NEXT) | instid1(VALU_DEP_1)
	v_xor_b32_e32 v123, v21, v20
	v_cmp_ne_u16_e32 vcc_lo, 0x7fff, v123
	s_wait_alu 0xfffd
	v_cndmask_b32_e32 v20, 0xffff8000, v123, vcc_lo
	s_delay_alu instid0(VALU_DEP_1) | instskip(NEXT) | instid1(VALU_DEP_1)
	v_and_b32_e32 v20, 0xffff, v20
	v_lshrrev_b32_e32 v20, s23, v20
	s_delay_alu instid0(VALU_DEP_1) | instskip(NEXT) | instid1(VALU_DEP_1)
	v_and_b32_e32 v21, s42, v20
	v_and_b32_e32 v20, 1, v21
	v_lshlrev_b32_e32 v22, 30, v21
	v_lshlrev_b32_e32 v23, 29, v21
	;; [unrolled: 1-line block ×4, first 2 shown]
	v_add_co_u32 v20, s15, v20, -1
	s_wait_alu 0xf1ff
	v_cndmask_b32_e64 v25, 0, 1, s15
	v_not_b32_e32 v126, v22
	v_cmp_gt_i32_e64 s15, 0, v22
	v_not_b32_e32 v22, v23
	v_lshlrev_b32_e32 v27, 26, v21
	v_cmp_ne_u32_e32 vcc_lo, 0, v25
	v_ashrrev_i32_e32 v126, 31, v126
	v_lshlrev_b32_e32 v125, 25, v21
	v_ashrrev_i32_e32 v22, 31, v22
	v_lshlrev_b32_e32 v25, 24, v21
	s_wait_alu 0xfffd
	v_xor_b32_e32 v20, vcc_lo, v20
	v_cmp_gt_i32_e32 vcc_lo, 0, v23
	v_not_b32_e32 v23, v24
	s_wait_alu 0xf1ff
	v_xor_b32_e32 v126, s15, v126
	v_cmp_gt_i32_e64 s15, 0, v24
	v_and_b32_e32 v20, exec_lo, v20
	v_not_b32_e32 v24, v26
	v_ashrrev_i32_e32 v23, 31, v23
	s_wait_alu 0xfffd
	v_xor_b32_e32 v22, vcc_lo, v22
	v_cmp_gt_i32_e32 vcc_lo, 0, v26
	v_and_b32_e32 v20, v20, v126
	v_not_b32_e32 v26, v27
	v_ashrrev_i32_e32 v24, 31, v24
	s_wait_alu 0xf1ff
	v_xor_b32_e32 v23, s15, v23
	v_cmp_gt_i32_e64 s15, 0, v27
	v_and_b32_e32 v20, v20, v22
	v_not_b32_e32 v22, v125
	v_ashrrev_i32_e32 v26, 31, v26
	s_wait_alu 0xfffd
	v_xor_b32_e32 v24, vcc_lo, v24
	v_cmp_gt_i32_e32 vcc_lo, 0, v125
	v_and_b32_e32 v20, v20, v23
	v_not_b32_e32 v23, v25
	v_ashrrev_i32_e32 v22, 31, v22
	s_wait_alu 0xf1ff
	v_xor_b32_e32 v26, s15, v26
	v_cmp_gt_i32_e64 s15, 0, v25
	v_and_b32_e32 v20, v20, v24
	v_ashrrev_i32_e32 v23, 31, v23
	s_wait_alu 0xfffd
	v_xor_b32_e32 v22, vcc_lo, v22
	v_mad_u32_u24 v24, v21, 36, v88
	v_mul_u32_u24_e32 v21, 36, v21
	v_and_b32_e32 v20, v20, v26
	s_wait_alu 0xf1ff
	v_xor_b32_e32 v23, s15, v23
	ds_load_b32 v125, v24 offset:1056
	v_add_nc_u32_e32 v127, v88, v21
	v_and_b32_e32 v20, v20, v22
	; wave barrier
	s_delay_alu instid0(VALU_DEP_1) | instskip(NEXT) | instid1(VALU_DEP_1)
	v_and_b32_e32 v20, v20, v23
	v_mbcnt_lo_u32_b32 v126, v20, 0
	v_cmp_ne_u32_e64 s15, 0, v20
	s_delay_alu instid0(VALU_DEP_2)
	v_cmp_eq_u32_e32 vcc_lo, 0, v126
	s_and_b32 s16, s15, vcc_lo
	s_wait_alu 0xfffe
	s_and_saveexec_b32 s15, s16
	s_cbranch_execz .LBB2084_108
; %bb.107:                              ;   in Loop: Header=BB2084_72 Depth=2
	s_wait_dscnt 0x0
	v_bcnt_u32_b32 v20, v20, v125
	ds_store_b32 v127, v20 offset:1056
.LBB2084_108:                           ;   in Loop: Header=BB2084_72 Depth=2
	s_wait_alu 0xfffe
	s_or_b32 exec_lo, exec_lo, s15
	; wave barrier
	s_wait_loadcnt_dscnt 0x0
	s_barrier_signal -1
	s_barrier_wait -1
	global_inv scope:SCOPE_SE
	ds_load_2addr_b32 v[26:27], v78 offset1:1
	ds_load_2addr_b32 v[24:25], v79 offset1:1
	ds_load_2addr_b32 v[22:23], v80 offset1:1
	ds_load_2addr_b32 v[20:21], v81 offset1:1
	ds_load_b32 v128, v43 offset:1088
	s_wait_dscnt 0x3
	v_add3_u32 v129, v27, v26, v24
	s_wait_dscnt 0x2
	s_delay_alu instid0(VALU_DEP_1) | instskip(SKIP_1) | instid1(VALU_DEP_1)
	v_add3_u32 v129, v129, v25, v22
	s_wait_dscnt 0x1
	v_add3_u32 v129, v129, v23, v20
	s_wait_dscnt 0x0
	s_delay_alu instid0(VALU_DEP_1) | instskip(NEXT) | instid1(VALU_DEP_1)
	v_add3_u32 v128, v129, v21, v128
	v_mov_b32_dpp v129, v128 row_shr:1 row_mask:0xf bank_mask:0xf
	s_delay_alu instid0(VALU_DEP_1) | instskip(NEXT) | instid1(VALU_DEP_1)
	v_cndmask_b32_e64 v129, v129, 0, s0
	v_add_nc_u32_e32 v128, v129, v128
	s_delay_alu instid0(VALU_DEP_1) | instskip(NEXT) | instid1(VALU_DEP_1)
	v_mov_b32_dpp v129, v128 row_shr:2 row_mask:0xf bank_mask:0xf
	v_cndmask_b32_e64 v129, 0, v129, s1
	s_delay_alu instid0(VALU_DEP_1) | instskip(NEXT) | instid1(VALU_DEP_1)
	v_add_nc_u32_e32 v128, v128, v129
	v_mov_b32_dpp v129, v128 row_shr:4 row_mask:0xf bank_mask:0xf
	s_delay_alu instid0(VALU_DEP_1) | instskip(NEXT) | instid1(VALU_DEP_1)
	v_cndmask_b32_e64 v129, 0, v129, s9
	v_add_nc_u32_e32 v128, v128, v129
	s_delay_alu instid0(VALU_DEP_1) | instskip(NEXT) | instid1(VALU_DEP_1)
	v_mov_b32_dpp v129, v128 row_shr:8 row_mask:0xf bank_mask:0xf
	v_cndmask_b32_e64 v129, 0, v129, s10
	s_delay_alu instid0(VALU_DEP_1) | instskip(SKIP_3) | instid1(VALU_DEP_1)
	v_add_nc_u32_e32 v128, v128, v129
	ds_swizzle_b32 v129, v128 offset:swizzle(BROADCAST,32,15)
	s_wait_dscnt 0x0
	v_cndmask_b32_e64 v129, v129, 0, s11
	v_add_nc_u32_e32 v128, v128, v129
	s_and_saveexec_b32 s15, s3
; %bb.109:                              ;   in Loop: Header=BB2084_72 Depth=2
	ds_store_b32 v38, v128 offset:1024
; %bb.110:                              ;   in Loop: Header=BB2084_72 Depth=2
	s_wait_alu 0xfffe
	s_or_b32 exec_lo, exec_lo, s15
	s_wait_loadcnt_dscnt 0x0
	s_barrier_signal -1
	s_barrier_wait -1
	global_inv scope:SCOPE_SE
	s_and_saveexec_b32 s15, s4
	s_cbranch_execz .LBB2084_112
; %bb.111:                              ;   in Loop: Header=BB2084_72 Depth=2
	ds_load_b32 v129, v46 offset:1024
	s_wait_dscnt 0x0
	v_mov_b32_dpp v130, v129 row_shr:1 row_mask:0xf bank_mask:0xf
	s_delay_alu instid0(VALU_DEP_1) | instskip(NEXT) | instid1(VALU_DEP_1)
	v_cndmask_b32_e64 v130, v130, 0, s12
	v_add_nc_u32_e32 v129, v130, v129
	s_delay_alu instid0(VALU_DEP_1) | instskip(NEXT) | instid1(VALU_DEP_1)
	v_mov_b32_dpp v130, v129 row_shr:2 row_mask:0xf bank_mask:0xf
	v_cndmask_b32_e64 v130, 0, v130, s13
	s_delay_alu instid0(VALU_DEP_1) | instskip(NEXT) | instid1(VALU_DEP_1)
	v_add_nc_u32_e32 v129, v129, v130
	v_mov_b32_dpp v130, v129 row_shr:4 row_mask:0xf bank_mask:0xf
	s_delay_alu instid0(VALU_DEP_1) | instskip(NEXT) | instid1(VALU_DEP_1)
	v_cndmask_b32_e64 v130, 0, v130, s14
	v_add_nc_u32_e32 v129, v129, v130
	ds_store_b32 v46, v129 offset:1024
.LBB2084_112:                           ;   in Loop: Header=BB2084_72 Depth=2
	s_wait_alu 0xfffe
	s_or_b32 exec_lo, exec_lo, s15
	v_mov_b32_e32 v129, 0
	s_wait_loadcnt_dscnt 0x0
	s_barrier_signal -1
	s_barrier_wait -1
	global_inv scope:SCOPE_SE
	s_and_saveexec_b32 s15, s5
; %bb.113:                              ;   in Loop: Header=BB2084_72 Depth=2
	ds_load_b32 v129, v38 offset:1020
; %bb.114:                              ;   in Loop: Header=BB2084_72 Depth=2
	s_wait_alu 0xfffe
	s_or_b32 exec_lo, exec_lo, s15
	s_wait_dscnt 0x0
	v_add_nc_u32_e32 v128, v129, v128
	ds_bpermute_b32 v128, v87, v128
	s_wait_dscnt 0x0
	v_cndmask_b32_e64 v128, v128, v129, s8
	s_delay_alu instid0(VALU_DEP_1) | instskip(NEXT) | instid1(VALU_DEP_1)
	v_cndmask_b32_e64 v128, v128, 0, s6
	v_add_nc_u32_e32 v26, v128, v26
	s_delay_alu instid0(VALU_DEP_1) | instskip(NEXT) | instid1(VALU_DEP_1)
	v_add_nc_u32_e32 v27, v26, v27
	v_add_nc_u32_e32 v24, v27, v24
	s_delay_alu instid0(VALU_DEP_1) | instskip(NEXT) | instid1(VALU_DEP_1)
	v_add_nc_u32_e32 v25, v24, v25
	;; [unrolled: 3-line block ×3, first 2 shown]
	v_add_nc_u32_e32 v20, v23, v20
	s_delay_alu instid0(VALU_DEP_1)
	v_add_nc_u32_e32 v21, v20, v21
	ds_store_2addr_b32 v81, v23, v20 offset1:1
	ds_store_2addr_b32 v78, v128, v26 offset1:1
	;; [unrolled: 1-line block ×4, first 2 shown]
	ds_store_b32 v43, v21 offset:1088
	s_wait_loadcnt_dscnt 0x0
	s_barrier_signal -1
	s_barrier_wait -1
	global_inv scope:SCOPE_SE
	ds_load_b32 v23, v100 offset:1056
	ds_load_b32 v24, v104 offset:1056
	;; [unrolled: 1-line block ×9, first 2 shown]
	v_mov_b32_e32 v22, 0x800
	s_and_saveexec_b32 s15, s7
; %bb.115:                              ;   in Loop: Header=BB2084_72 Depth=2
	ds_load_b32 v22, v43 offset:1092
; %bb.116:                              ;   in Loop: Header=BB2084_72 Depth=2
	s_wait_alu 0xfffe
	s_or_b32 exec_lo, exec_lo, s15
	s_wait_loadcnt_dscnt 0x0
	s_barrier_signal -1
	s_barrier_wait -1
	global_inv scope:SCOPE_SE
	s_and_saveexec_b32 s15, s2
	s_cbranch_execz .LBB2084_118
; %bb.117:                              ;   in Loop: Header=BB2084_72 Depth=2
	ds_load_b32 v104, v28
	s_wait_dscnt 0x0
	v_sub_nc_u32_e32 v100, v104, v100
	ds_store_b32 v28, v100
.LBB2084_118:                           ;   in Loop: Header=BB2084_72 Depth=2
	s_wait_alu 0xfffe
	s_or_b32 exec_lo, exec_lo, s15
	v_add_nc_u32_e32 v104, v23, v98
	v_add3_u32 v100, v102, v101, v24
	v_add3_u32 v98, v107, v105, v25
	;; [unrolled: 1-line block ×4, first 2 shown]
	v_lshlrev_b32_e32 v101, 1, v104
	v_lshlrev_b32_e32 v102, 1, v100
	v_add3_u32 v23, v119, v117, v108
	v_lshlrev_b32_e32 v105, 1, v98
	v_add3_u32 v27, v122, v121, v20
	v_add3_u32 v26, v126, v125, v21
	ds_store_b16 v101, v2 offset:1024
	ds_store_b16 v102, v99 offset:1024
	;; [unrolled: 1-line block ×3, first 2 shown]
	v_lshlrev_b32_e32 v2, 1, v25
	v_cmp_lt_u32_e32 vcc_lo, v1, v97
	v_lshlrev_b32_e32 v20, 1, v24
	v_lshlrev_b32_e32 v21, 1, v23
	;; [unrolled: 1-line block ×4, first 2 shown]
	ds_store_b16 v2, v106 offset:1024
	ds_store_b16 v20, v110 offset:1024
	;; [unrolled: 1-line block ×5, first 2 shown]
	s_wait_loadcnt_dscnt 0x0
	s_barrier_signal -1
	s_barrier_wait -1
	global_inv scope:SCOPE_SE
	s_and_saveexec_b32 s16, vcc_lo
	s_cbranch_execnz .LBB2084_155
; %bb.119:                              ;   in Loop: Header=BB2084_72 Depth=2
	s_wait_alu 0xfffe
	s_or_b32 exec_lo, exec_lo, s16
	v_cmp_lt_u32_e64 s15, v29, v97
	s_and_saveexec_b32 s17, s15
	s_cbranch_execnz .LBB2084_156
.LBB2084_120:                           ;   in Loop: Header=BB2084_72 Depth=2
	s_wait_alu 0xfffe
	s_or_b32 exec_lo, exec_lo, s17
	v_cmp_lt_u32_e64 s16, v30, v97
	s_and_saveexec_b32 s18, s16
	s_cbranch_execnz .LBB2084_157
.LBB2084_121:                           ;   in Loop: Header=BB2084_72 Depth=2
	s_wait_alu 0xfffe
	s_or_b32 exec_lo, exec_lo, s18
	v_cmp_lt_u32_e64 s17, v31, v97
	s_and_saveexec_b32 s19, s17
	s_cbranch_execnz .LBB2084_158
.LBB2084_122:                           ;   in Loop: Header=BB2084_72 Depth=2
	s_wait_alu 0xfffe
	s_or_b32 exec_lo, exec_lo, s19
	v_cmp_lt_u32_e64 s18, v34, v97
	s_and_saveexec_b32 s20, s18
	s_cbranch_execnz .LBB2084_159
.LBB2084_123:                           ;   in Loop: Header=BB2084_72 Depth=2
	s_wait_alu 0xfffe
	s_or_b32 exec_lo, exec_lo, s20
	v_cmp_lt_u32_e64 s19, v35, v97
	s_and_saveexec_b32 s21, s19
	s_cbranch_execnz .LBB2084_160
.LBB2084_124:                           ;   in Loop: Header=BB2084_72 Depth=2
	s_wait_alu 0xfffe
	s_or_b32 exec_lo, exec_lo, s21
	v_cmp_lt_u32_e64 s20, v36, v97
	s_and_saveexec_b32 s22, s20
	s_cbranch_execnz .LBB2084_161
.LBB2084_125:                           ;   in Loop: Header=BB2084_72 Depth=2
	s_wait_alu 0xfffe
	s_or_b32 exec_lo, exec_lo, s22
	v_cmp_lt_u32_e64 s21, v37, v97
	s_and_saveexec_b32 s48, s21
	s_cbranch_execz .LBB2084_127
.LBB2084_126:                           ;   in Loop: Header=BB2084_72 Depth=2
	ds_load_u16 v99, v47 offset:4608
	s_wait_dscnt 0x0
	v_cmp_ne_u16_e64 s22, 0x7fff, v99
	s_wait_alu 0xf1ff
	s_delay_alu instid0(VALU_DEP_1) | instskip(SKIP_1) | instid1(VALU_DEP_2)
	v_cndmask_b32_e64 v2, 0xffff8000, v99, s22
	v_cmp_lt_i16_e64 s22, -1, v99
	v_and_b32_e32 v2, 0xffff, v2
	s_wait_alu 0xf1ff
	s_delay_alu instid0(VALU_DEP_2) | instskip(NEXT) | instid1(VALU_DEP_2)
	v_cndmask_b32_e64 v101, 0xffff8000, -1, s22
	v_lshrrev_b32_e32 v2, s23, v2
	s_delay_alu instid0(VALU_DEP_1) | instskip(NEXT) | instid1(VALU_DEP_1)
	v_and_b32_e32 v2, s42, v2
	v_lshlrev_b32_e32 v2, 2, v2
	ds_load_b32 v2, v2
	s_wait_dscnt 0x0
	v_add_nc_u32_e32 v2, v2, v37
	s_delay_alu instid0(VALU_DEP_1) | instskip(SKIP_1) | instid1(VALU_DEP_2)
	v_lshlrev_b64_e32 v[20:21], 1, v[2:3]
	v_xor_b32_e32 v2, v101, v99
	v_add_co_u32 v20, s22, s38, v20
	s_wait_alu 0xf1ff
	s_delay_alu instid0(VALU_DEP_3)
	v_add_co_ci_u32_e64 v21, null, s39, v21, s22
	global_store_b16 v[20:21], v2, off
.LBB2084_127:                           ;   in Loop: Header=BB2084_72 Depth=2
	s_wait_alu 0xfffe
	s_or_b32 exec_lo, exec_lo, s48
	s_lshl_b64 s[48:49], s[30:31], 3
	s_wait_alu 0xfffe
	v_add_co_u32 v20, s22, v83, s48
	s_wait_alu 0xf1ff
	v_add_co_ci_u32_e64 v21, null, s49, v84, s22
	v_cmp_lt_u32_e64 s22, v66, v97
	s_and_saveexec_b32 s30, s22
	s_wait_alu 0xfffe
	s_xor_b32 s22, exec_lo, s30
	s_cbranch_execnz .LBB2084_162
; %bb.128:                              ;   in Loop: Header=BB2084_72 Depth=2
	s_wait_alu 0xfffe
	s_or_b32 exec_lo, exec_lo, s22
	s_delay_alu instid0(SALU_CYCLE_1)
	s_mov_b32 s30, exec_lo
	v_cmpx_lt_u32_e64 v70, v97
	s_cbranch_execnz .LBB2084_163
.LBB2084_129:                           ;   in Loop: Header=BB2084_72 Depth=2
	s_wait_alu 0xfffe
	s_or_b32 exec_lo, exec_lo, s30
	s_delay_alu instid0(SALU_CYCLE_1)
	s_mov_b32 s30, exec_lo
	v_cmpx_lt_u32_e64 v71, v97
	s_cbranch_execnz .LBB2084_164
.LBB2084_130:                           ;   in Loop: Header=BB2084_72 Depth=2
	s_wait_alu 0xfffe
	s_or_b32 exec_lo, exec_lo, s30
	s_delay_alu instid0(SALU_CYCLE_1)
	s_mov_b32 s30, exec_lo
	v_cmpx_lt_u32_e64 v72, v97
	s_cbranch_execnz .LBB2084_165
.LBB2084_131:                           ;   in Loop: Header=BB2084_72 Depth=2
	s_wait_alu 0xfffe
	s_or_b32 exec_lo, exec_lo, s30
	s_delay_alu instid0(SALU_CYCLE_1)
	s_mov_b32 s30, exec_lo
	v_cmpx_lt_u32_e64 v73, v97
	s_cbranch_execnz .LBB2084_166
.LBB2084_132:                           ;   in Loop: Header=BB2084_72 Depth=2
	s_wait_alu 0xfffe
	s_or_b32 exec_lo, exec_lo, s30
	s_delay_alu instid0(SALU_CYCLE_1)
	s_mov_b32 s30, exec_lo
	v_cmpx_lt_u32_e64 v74, v97
	s_cbranch_execnz .LBB2084_167
.LBB2084_133:                           ;   in Loop: Header=BB2084_72 Depth=2
	s_wait_alu 0xfffe
	s_or_b32 exec_lo, exec_lo, s30
	s_delay_alu instid0(SALU_CYCLE_1)
	s_mov_b32 s30, exec_lo
	v_cmpx_lt_u32_e64 v75, v97
	s_cbranch_execnz .LBB2084_168
.LBB2084_134:                           ;   in Loop: Header=BB2084_72 Depth=2
	s_wait_alu 0xfffe
	s_or_b32 exec_lo, exec_lo, s30
	s_delay_alu instid0(SALU_CYCLE_1)
	s_mov_b32 s30, exec_lo
	v_cmpx_lt_u32_e64 v76, v97
	s_cbranch_execnz .LBB2084_169
.LBB2084_135:                           ;   in Loop: Header=BB2084_72 Depth=2
	s_wait_alu 0xfffe
	s_or_b32 exec_lo, exec_lo, s30
	s_and_saveexec_b32 s30, vcc_lo
	s_cbranch_execnz .LBB2084_170
.LBB2084_136:                           ;   in Loop: Header=BB2084_72 Depth=2
	s_wait_alu 0xfffe
	s_or_b32 exec_lo, exec_lo, s30
	s_and_saveexec_b32 s30, s15
	s_cbranch_execnz .LBB2084_171
.LBB2084_137:                           ;   in Loop: Header=BB2084_72 Depth=2
	s_wait_alu 0xfffe
	s_or_b32 exec_lo, exec_lo, s30
	s_and_saveexec_b32 s30, s16
	s_cbranch_execnz .LBB2084_172
.LBB2084_138:                           ;   in Loop: Header=BB2084_72 Depth=2
	s_wait_alu 0xfffe
	s_or_b32 exec_lo, exec_lo, s30
	s_and_saveexec_b32 s30, s17
	s_cbranch_execnz .LBB2084_173
.LBB2084_139:                           ;   in Loop: Header=BB2084_72 Depth=2
	s_wait_alu 0xfffe
	s_or_b32 exec_lo, exec_lo, s30
	s_and_saveexec_b32 s30, s18
	s_cbranch_execnz .LBB2084_174
.LBB2084_140:                           ;   in Loop: Header=BB2084_72 Depth=2
	s_wait_alu 0xfffe
	s_or_b32 exec_lo, exec_lo, s30
	s_and_saveexec_b32 s30, s19
	s_cbranch_execnz .LBB2084_175
.LBB2084_141:                           ;   in Loop: Header=BB2084_72 Depth=2
	s_wait_alu 0xfffe
	s_or_b32 exec_lo, exec_lo, s30
	s_and_saveexec_b32 s30, s20
	s_cbranch_execnz .LBB2084_176
.LBB2084_142:                           ;   in Loop: Header=BB2084_72 Depth=2
	s_wait_alu 0xfffe
	s_or_b32 exec_lo, exec_lo, s30
	s_and_saveexec_b32 s30, s21
	s_cbranch_execz .LBB2084_144
.LBB2084_143:                           ;   in Loop: Header=BB2084_72 Depth=2
	ds_load_u16 v2, v47 offset:4608
	s_wait_dscnt 0x0
	v_cmp_ne_u16_e64 s22, 0x7fff, v2
	s_wait_alu 0xf1ff
	s_delay_alu instid0(VALU_DEP_1) | instskip(NEXT) | instid1(VALU_DEP_1)
	v_cndmask_b32_e64 v2, 0xffff8000, v2, s22
	v_and_b32_e32 v2, 0xffff, v2
	s_delay_alu instid0(VALU_DEP_1) | instskip(NEXT) | instid1(VALU_DEP_1)
	v_lshrrev_b32_e32 v2, s23, v2
	v_and_b32_e32 v89, s42, v2
.LBB2084_144:                           ;   in Loop: Header=BB2084_72 Depth=2
	s_wait_alu 0xfffe
	s_or_b32 exec_lo, exec_lo, s30
	v_lshlrev_b32_e32 v2, 3, v104
	v_lshlrev_b32_e32 v20, 3, v100
	v_lshlrev_b32_e32 v21, 3, v98
	s_wait_loadcnt 0x0
	s_wait_storecnt 0x0
	s_barrier_signal -1
	s_barrier_wait -1
	global_inv scope:SCOPE_SE
	ds_store_b64 v2, v[18:19] offset:1024
	ds_store_b64 v20, v[16:17] offset:1024
	;; [unrolled: 1-line block ×3, first 2 shown]
	v_lshlrev_b32_e32 v2, 3, v25
	v_lshlrev_b32_e32 v20, 3, v24
	;; [unrolled: 1-line block ×5, first 2 shown]
	ds_store_b64 v2, v[12:13] offset:1024
	ds_store_b64 v20, v[10:11] offset:1024
	ds_store_b64 v21, v[8:9] offset:1024
	ds_store_b64 v23, v[6:7] offset:1024
	ds_store_b64 v24, v[4:5] offset:1024
	s_wait_loadcnt_dscnt 0x0
	s_barrier_signal -1
	s_barrier_wait -1
	global_inv scope:SCOPE_SE
	s_and_saveexec_b32 s22, vcc_lo
	s_cbranch_execnz .LBB2084_177
; %bb.145:                              ;   in Loop: Header=BB2084_72 Depth=2
	s_wait_alu 0xfffe
	s_or_b32 exec_lo, exec_lo, s22
	s_and_saveexec_b32 s22, s15
	s_cbranch_execnz .LBB2084_178
.LBB2084_146:                           ;   in Loop: Header=BB2084_72 Depth=2
	s_wait_alu 0xfffe
	s_or_b32 exec_lo, exec_lo, s22
	s_and_saveexec_b32 s15, s16
	s_cbranch_execnz .LBB2084_179
.LBB2084_147:                           ;   in Loop: Header=BB2084_72 Depth=2
	s_wait_alu 0xfffe
	s_or_b32 exec_lo, exec_lo, s15
	s_and_saveexec_b32 s15, s17
	s_cbranch_execnz .LBB2084_180
.LBB2084_148:                           ;   in Loop: Header=BB2084_72 Depth=2
	s_wait_alu 0xfffe
	s_or_b32 exec_lo, exec_lo, s15
	s_and_saveexec_b32 s15, s18
	s_cbranch_execnz .LBB2084_181
.LBB2084_149:                           ;   in Loop: Header=BB2084_72 Depth=2
	s_wait_alu 0xfffe
	s_or_b32 exec_lo, exec_lo, s15
	s_and_saveexec_b32 s15, s19
	s_cbranch_execnz .LBB2084_182
.LBB2084_150:                           ;   in Loop: Header=BB2084_72 Depth=2
	s_wait_alu 0xfffe
	s_or_b32 exec_lo, exec_lo, s15
	s_and_saveexec_b32 s15, s20
	s_cbranch_execnz .LBB2084_183
.LBB2084_151:                           ;   in Loop: Header=BB2084_72 Depth=2
	s_wait_alu 0xfffe
	s_or_b32 exec_lo, exec_lo, s15
	s_and_saveexec_b32 s15, s21
	s_cbranch_execz .LBB2084_153
.LBB2084_152:                           ;   in Loop: Header=BB2084_72 Depth=2
	v_lshlrev_b32_e32 v2, 2, v89
	v_add_nc_u32_e32 v20, v47, v48
	ds_load_b32 v2, v2
	ds_load_b64 v[20:21], v20 offset:15360
	s_wait_dscnt 0x1
	v_add_nc_u32_e32 v2, v2, v37
	s_delay_alu instid0(VALU_DEP_1) | instskip(NEXT) | instid1(VALU_DEP_1)
	v_lshlrev_b64_e32 v[23:24], 3, v[2:3]
	v_add_co_u32 v23, vcc_lo, s24, v23
	s_wait_alu 0xfffd
	s_delay_alu instid0(VALU_DEP_2)
	v_add_co_ci_u32_e64 v24, null, s25, v24, vcc_lo
	s_wait_dscnt 0x0
	global_store_b64 v[23:24], v[20:21], off
.LBB2084_153:                           ;   in Loop: Header=BB2084_72 Depth=2
	s_wait_alu 0xfffe
	s_or_b32 exec_lo, exec_lo, s15
	s_wait_loadcnt 0x0
	s_wait_storecnt 0x0
	s_barrier_signal -1
	s_barrier_wait -1
	global_inv scope:SCOPE_SE
	s_and_saveexec_b32 s15, s2
	s_cbranch_execz .LBB2084_71
; %bb.154:                              ;   in Loop: Header=BB2084_72 Depth=2
	ds_load_b32 v2, v28
	s_wait_dscnt 0x0
	v_add_nc_u32_e32 v2, v2, v22
	ds_store_b32 v28, v2
	s_branch .LBB2084_71
.LBB2084_155:                           ;   in Loop: Header=BB2084_72 Depth=2
	ds_load_u16 v99, v47 offset:1024
	s_wait_dscnt 0x0
	v_cmp_ne_u16_e64 s15, 0x7fff, v99
	s_wait_alu 0xf1ff
	s_delay_alu instid0(VALU_DEP_1) | instskip(SKIP_1) | instid1(VALU_DEP_2)
	v_cndmask_b32_e64 v2, 0xffff8000, v99, s15
	v_cmp_lt_i16_e64 s15, -1, v99
	v_and_b32_e32 v2, 0xffff, v2
	s_wait_alu 0xf1ff
	s_delay_alu instid0(VALU_DEP_2) | instskip(NEXT) | instid1(VALU_DEP_2)
	v_cndmask_b32_e64 v101, 0xffff8000, -1, s15
	v_lshrrev_b32_e32 v2, s23, v2
	s_delay_alu instid0(VALU_DEP_1) | instskip(NEXT) | instid1(VALU_DEP_1)
	v_and_b32_e32 v2, s42, v2
	v_lshlrev_b32_e32 v2, 2, v2
	ds_load_b32 v2, v2
	s_wait_dscnt 0x0
	v_add_nc_u32_e32 v2, v2, v1
	s_delay_alu instid0(VALU_DEP_1) | instskip(SKIP_1) | instid1(VALU_DEP_2)
	v_lshlrev_b64_e32 v[20:21], 1, v[2:3]
	v_xor_b32_e32 v2, v101, v99
	v_add_co_u32 v20, s15, s38, v20
	s_wait_alu 0xf1ff
	s_delay_alu instid0(VALU_DEP_3)
	v_add_co_ci_u32_e64 v21, null, s39, v21, s15
	global_store_b16 v[20:21], v2, off
	s_wait_alu 0xfffe
	s_or_b32 exec_lo, exec_lo, s16
	v_cmp_lt_u32_e64 s15, v29, v97
	s_and_saveexec_b32 s17, s15
	s_cbranch_execz .LBB2084_120
.LBB2084_156:                           ;   in Loop: Header=BB2084_72 Depth=2
	ds_load_u16 v99, v47 offset:1536
	s_wait_dscnt 0x0
	v_cmp_ne_u16_e64 s16, 0x7fff, v99
	s_wait_alu 0xf1ff
	s_delay_alu instid0(VALU_DEP_1) | instskip(SKIP_1) | instid1(VALU_DEP_2)
	v_cndmask_b32_e64 v2, 0xffff8000, v99, s16
	v_cmp_lt_i16_e64 s16, -1, v99
	v_and_b32_e32 v2, 0xffff, v2
	s_wait_alu 0xf1ff
	s_delay_alu instid0(VALU_DEP_2) | instskip(NEXT) | instid1(VALU_DEP_2)
	v_cndmask_b32_e64 v101, 0xffff8000, -1, s16
	v_lshrrev_b32_e32 v2, s23, v2
	s_delay_alu instid0(VALU_DEP_1) | instskip(NEXT) | instid1(VALU_DEP_1)
	v_and_b32_e32 v2, s42, v2
	v_lshlrev_b32_e32 v2, 2, v2
	ds_load_b32 v2, v2
	s_wait_dscnt 0x0
	v_add_nc_u32_e32 v2, v2, v29
	s_delay_alu instid0(VALU_DEP_1) | instskip(SKIP_1) | instid1(VALU_DEP_2)
	v_lshlrev_b64_e32 v[20:21], 1, v[2:3]
	v_xor_b32_e32 v2, v101, v99
	v_add_co_u32 v20, s16, s38, v20
	s_wait_alu 0xf1ff
	s_delay_alu instid0(VALU_DEP_3)
	v_add_co_ci_u32_e64 v21, null, s39, v21, s16
	global_store_b16 v[20:21], v2, off
	s_wait_alu 0xfffe
	s_or_b32 exec_lo, exec_lo, s17
	v_cmp_lt_u32_e64 s16, v30, v97
	s_and_saveexec_b32 s18, s16
	s_cbranch_execz .LBB2084_121
.LBB2084_157:                           ;   in Loop: Header=BB2084_72 Depth=2
	ds_load_u16 v99, v47 offset:2048
	s_wait_dscnt 0x0
	v_cmp_ne_u16_e64 s17, 0x7fff, v99
	s_wait_alu 0xf1ff
	s_delay_alu instid0(VALU_DEP_1) | instskip(SKIP_1) | instid1(VALU_DEP_2)
	v_cndmask_b32_e64 v2, 0xffff8000, v99, s17
	v_cmp_lt_i16_e64 s17, -1, v99
	v_and_b32_e32 v2, 0xffff, v2
	s_wait_alu 0xf1ff
	s_delay_alu instid0(VALU_DEP_2) | instskip(NEXT) | instid1(VALU_DEP_2)
	v_cndmask_b32_e64 v101, 0xffff8000, -1, s17
	v_lshrrev_b32_e32 v2, s23, v2
	s_delay_alu instid0(VALU_DEP_1) | instskip(NEXT) | instid1(VALU_DEP_1)
	v_and_b32_e32 v2, s42, v2
	v_lshlrev_b32_e32 v2, 2, v2
	ds_load_b32 v2, v2
	s_wait_dscnt 0x0
	v_add_nc_u32_e32 v2, v2, v30
	s_delay_alu instid0(VALU_DEP_1) | instskip(SKIP_1) | instid1(VALU_DEP_2)
	v_lshlrev_b64_e32 v[20:21], 1, v[2:3]
	v_xor_b32_e32 v2, v101, v99
	v_add_co_u32 v20, s17, s38, v20
	s_wait_alu 0xf1ff
	s_delay_alu instid0(VALU_DEP_3)
	v_add_co_ci_u32_e64 v21, null, s39, v21, s17
	global_store_b16 v[20:21], v2, off
	s_wait_alu 0xfffe
	s_or_b32 exec_lo, exec_lo, s18
	v_cmp_lt_u32_e64 s17, v31, v97
	s_and_saveexec_b32 s19, s17
	s_cbranch_execz .LBB2084_122
.LBB2084_158:                           ;   in Loop: Header=BB2084_72 Depth=2
	ds_load_u16 v99, v47 offset:2560
	s_wait_dscnt 0x0
	v_cmp_ne_u16_e64 s18, 0x7fff, v99
	s_wait_alu 0xf1ff
	s_delay_alu instid0(VALU_DEP_1) | instskip(SKIP_1) | instid1(VALU_DEP_2)
	v_cndmask_b32_e64 v2, 0xffff8000, v99, s18
	v_cmp_lt_i16_e64 s18, -1, v99
	v_and_b32_e32 v2, 0xffff, v2
	s_wait_alu 0xf1ff
	s_delay_alu instid0(VALU_DEP_2) | instskip(NEXT) | instid1(VALU_DEP_2)
	v_cndmask_b32_e64 v101, 0xffff8000, -1, s18
	v_lshrrev_b32_e32 v2, s23, v2
	s_delay_alu instid0(VALU_DEP_1) | instskip(NEXT) | instid1(VALU_DEP_1)
	v_and_b32_e32 v2, s42, v2
	v_lshlrev_b32_e32 v2, 2, v2
	ds_load_b32 v2, v2
	s_wait_dscnt 0x0
	v_add_nc_u32_e32 v2, v2, v31
	s_delay_alu instid0(VALU_DEP_1) | instskip(SKIP_1) | instid1(VALU_DEP_2)
	v_lshlrev_b64_e32 v[20:21], 1, v[2:3]
	v_xor_b32_e32 v2, v101, v99
	v_add_co_u32 v20, s18, s38, v20
	s_wait_alu 0xf1ff
	s_delay_alu instid0(VALU_DEP_3)
	v_add_co_ci_u32_e64 v21, null, s39, v21, s18
	global_store_b16 v[20:21], v2, off
	s_wait_alu 0xfffe
	s_or_b32 exec_lo, exec_lo, s19
	v_cmp_lt_u32_e64 s18, v34, v97
	s_and_saveexec_b32 s20, s18
	s_cbranch_execz .LBB2084_123
.LBB2084_159:                           ;   in Loop: Header=BB2084_72 Depth=2
	ds_load_u16 v99, v47 offset:3072
	s_wait_dscnt 0x0
	v_cmp_ne_u16_e64 s19, 0x7fff, v99
	s_wait_alu 0xf1ff
	s_delay_alu instid0(VALU_DEP_1) | instskip(SKIP_1) | instid1(VALU_DEP_2)
	v_cndmask_b32_e64 v2, 0xffff8000, v99, s19
	v_cmp_lt_i16_e64 s19, -1, v99
	v_and_b32_e32 v2, 0xffff, v2
	s_wait_alu 0xf1ff
	s_delay_alu instid0(VALU_DEP_2) | instskip(NEXT) | instid1(VALU_DEP_2)
	v_cndmask_b32_e64 v101, 0xffff8000, -1, s19
	v_lshrrev_b32_e32 v2, s23, v2
	s_delay_alu instid0(VALU_DEP_1) | instskip(NEXT) | instid1(VALU_DEP_1)
	v_and_b32_e32 v2, s42, v2
	v_lshlrev_b32_e32 v2, 2, v2
	ds_load_b32 v2, v2
	s_wait_dscnt 0x0
	v_add_nc_u32_e32 v2, v2, v34
	s_delay_alu instid0(VALU_DEP_1) | instskip(SKIP_1) | instid1(VALU_DEP_2)
	v_lshlrev_b64_e32 v[20:21], 1, v[2:3]
	v_xor_b32_e32 v2, v101, v99
	v_add_co_u32 v20, s19, s38, v20
	s_wait_alu 0xf1ff
	s_delay_alu instid0(VALU_DEP_3)
	v_add_co_ci_u32_e64 v21, null, s39, v21, s19
	global_store_b16 v[20:21], v2, off
	s_wait_alu 0xfffe
	s_or_b32 exec_lo, exec_lo, s20
	v_cmp_lt_u32_e64 s19, v35, v97
	s_and_saveexec_b32 s21, s19
	s_cbranch_execz .LBB2084_124
.LBB2084_160:                           ;   in Loop: Header=BB2084_72 Depth=2
	ds_load_u16 v99, v47 offset:3584
	s_wait_dscnt 0x0
	v_cmp_ne_u16_e64 s20, 0x7fff, v99
	s_wait_alu 0xf1ff
	s_delay_alu instid0(VALU_DEP_1) | instskip(SKIP_1) | instid1(VALU_DEP_2)
	v_cndmask_b32_e64 v2, 0xffff8000, v99, s20
	v_cmp_lt_i16_e64 s20, -1, v99
	v_and_b32_e32 v2, 0xffff, v2
	s_wait_alu 0xf1ff
	s_delay_alu instid0(VALU_DEP_2) | instskip(NEXT) | instid1(VALU_DEP_2)
	v_cndmask_b32_e64 v101, 0xffff8000, -1, s20
	v_lshrrev_b32_e32 v2, s23, v2
	s_delay_alu instid0(VALU_DEP_1) | instskip(NEXT) | instid1(VALU_DEP_1)
	v_and_b32_e32 v2, s42, v2
	v_lshlrev_b32_e32 v2, 2, v2
	ds_load_b32 v2, v2
	s_wait_dscnt 0x0
	v_add_nc_u32_e32 v2, v2, v35
	s_delay_alu instid0(VALU_DEP_1) | instskip(SKIP_1) | instid1(VALU_DEP_2)
	v_lshlrev_b64_e32 v[20:21], 1, v[2:3]
	v_xor_b32_e32 v2, v101, v99
	v_add_co_u32 v20, s20, s38, v20
	s_wait_alu 0xf1ff
	s_delay_alu instid0(VALU_DEP_3)
	v_add_co_ci_u32_e64 v21, null, s39, v21, s20
	global_store_b16 v[20:21], v2, off
	s_wait_alu 0xfffe
	s_or_b32 exec_lo, exec_lo, s21
	v_cmp_lt_u32_e64 s20, v36, v97
	s_and_saveexec_b32 s22, s20
	s_cbranch_execz .LBB2084_125
.LBB2084_161:                           ;   in Loop: Header=BB2084_72 Depth=2
	ds_load_u16 v99, v47 offset:4096
	s_wait_dscnt 0x0
	v_cmp_ne_u16_e64 s21, 0x7fff, v99
	s_wait_alu 0xf1ff
	s_delay_alu instid0(VALU_DEP_1) | instskip(SKIP_1) | instid1(VALU_DEP_2)
	v_cndmask_b32_e64 v2, 0xffff8000, v99, s21
	v_cmp_lt_i16_e64 s21, -1, v99
	v_and_b32_e32 v2, 0xffff, v2
	s_wait_alu 0xf1ff
	s_delay_alu instid0(VALU_DEP_2) | instskip(NEXT) | instid1(VALU_DEP_2)
	v_cndmask_b32_e64 v101, 0xffff8000, -1, s21
	v_lshrrev_b32_e32 v2, s23, v2
	s_delay_alu instid0(VALU_DEP_1) | instskip(NEXT) | instid1(VALU_DEP_1)
	v_and_b32_e32 v2, s42, v2
	v_lshlrev_b32_e32 v2, 2, v2
	ds_load_b32 v2, v2
	s_wait_dscnt 0x0
	v_add_nc_u32_e32 v2, v2, v36
	s_delay_alu instid0(VALU_DEP_1) | instskip(SKIP_1) | instid1(VALU_DEP_2)
	v_lshlrev_b64_e32 v[20:21], 1, v[2:3]
	v_xor_b32_e32 v2, v101, v99
	v_add_co_u32 v20, s21, s38, v20
	s_wait_alu 0xf1ff
	s_delay_alu instid0(VALU_DEP_3)
	v_add_co_ci_u32_e64 v21, null, s39, v21, s21
	global_store_b16 v[20:21], v2, off
	s_wait_alu 0xfffe
	s_or_b32 exec_lo, exec_lo, s22
	v_cmp_lt_u32_e64 s21, v37, v97
	s_and_saveexec_b32 s48, s21
	s_cbranch_execnz .LBB2084_126
	s_branch .LBB2084_127
.LBB2084_162:                           ;   in Loop: Header=BB2084_72 Depth=2
	global_load_b64 v[18:19], v[20:21], off
	s_wait_alu 0xfffe
	s_or_b32 exec_lo, exec_lo, s22
	s_delay_alu instid0(SALU_CYCLE_1)
	s_mov_b32 s30, exec_lo
	v_cmpx_lt_u32_e64 v70, v97
	s_cbranch_execz .LBB2084_129
.LBB2084_163:                           ;   in Loop: Header=BB2084_72 Depth=2
	global_load_b64 v[16:17], v[20:21], off offset:256
	s_wait_alu 0xfffe
	s_or_b32 exec_lo, exec_lo, s30
	s_delay_alu instid0(SALU_CYCLE_1)
	s_mov_b32 s30, exec_lo
	v_cmpx_lt_u32_e64 v71, v97
	s_cbranch_execz .LBB2084_130
.LBB2084_164:                           ;   in Loop: Header=BB2084_72 Depth=2
	global_load_b64 v[14:15], v[20:21], off offset:512
	s_wait_alu 0xfffe
	s_or_b32 exec_lo, exec_lo, s30
	s_delay_alu instid0(SALU_CYCLE_1)
	s_mov_b32 s30, exec_lo
	v_cmpx_lt_u32_e64 v72, v97
	s_cbranch_execz .LBB2084_131
.LBB2084_165:                           ;   in Loop: Header=BB2084_72 Depth=2
	global_load_b64 v[12:13], v[20:21], off offset:768
	s_wait_alu 0xfffe
	s_or_b32 exec_lo, exec_lo, s30
	s_delay_alu instid0(SALU_CYCLE_1)
	s_mov_b32 s30, exec_lo
	v_cmpx_lt_u32_e64 v73, v97
	s_cbranch_execz .LBB2084_132
.LBB2084_166:                           ;   in Loop: Header=BB2084_72 Depth=2
	global_load_b64 v[10:11], v[20:21], off offset:1024
	s_wait_alu 0xfffe
	s_or_b32 exec_lo, exec_lo, s30
	s_delay_alu instid0(SALU_CYCLE_1)
	s_mov_b32 s30, exec_lo
	v_cmpx_lt_u32_e64 v74, v97
	s_cbranch_execz .LBB2084_133
.LBB2084_167:                           ;   in Loop: Header=BB2084_72 Depth=2
	global_load_b64 v[8:9], v[20:21], off offset:1280
	s_wait_alu 0xfffe
	s_or_b32 exec_lo, exec_lo, s30
	s_delay_alu instid0(SALU_CYCLE_1)
	s_mov_b32 s30, exec_lo
	v_cmpx_lt_u32_e64 v75, v97
	s_cbranch_execz .LBB2084_134
.LBB2084_168:                           ;   in Loop: Header=BB2084_72 Depth=2
	global_load_b64 v[6:7], v[20:21], off offset:1536
	s_wait_alu 0xfffe
	s_or_b32 exec_lo, exec_lo, s30
	s_delay_alu instid0(SALU_CYCLE_1)
	s_mov_b32 s30, exec_lo
	v_cmpx_lt_u32_e64 v76, v97
	s_cbranch_execz .LBB2084_135
.LBB2084_169:                           ;   in Loop: Header=BB2084_72 Depth=2
	global_load_b64 v[4:5], v[20:21], off offset:1792
	s_wait_alu 0xfffe
	s_or_b32 exec_lo, exec_lo, s30
	s_and_saveexec_b32 s30, vcc_lo
	s_cbranch_execz .LBB2084_136
.LBB2084_170:                           ;   in Loop: Header=BB2084_72 Depth=2
	ds_load_u16 v2, v47 offset:1024
	s_wait_dscnt 0x0
	v_cmp_ne_u16_e64 s22, 0x7fff, v2
	s_wait_alu 0xf1ff
	s_delay_alu instid0(VALU_DEP_1) | instskip(NEXT) | instid1(VALU_DEP_1)
	v_cndmask_b32_e64 v2, 0xffff8000, v2, s22
	v_and_b32_e32 v2, 0xffff, v2
	s_delay_alu instid0(VALU_DEP_1) | instskip(NEXT) | instid1(VALU_DEP_1)
	v_lshrrev_b32_e32 v2, s23, v2
	v_and_b32_e32 v96, s42, v2
	s_wait_alu 0xfffe
	s_or_b32 exec_lo, exec_lo, s30
	s_and_saveexec_b32 s30, s15
	s_cbranch_execz .LBB2084_137
.LBB2084_171:                           ;   in Loop: Header=BB2084_72 Depth=2
	ds_load_u16 v2, v47 offset:1536
	s_wait_dscnt 0x0
	v_cmp_ne_u16_e64 s22, 0x7fff, v2
	s_wait_alu 0xf1ff
	s_delay_alu instid0(VALU_DEP_1) | instskip(NEXT) | instid1(VALU_DEP_1)
	v_cndmask_b32_e64 v2, 0xffff8000, v2, s22
	v_and_b32_e32 v2, 0xffff, v2
	s_delay_alu instid0(VALU_DEP_1) | instskip(NEXT) | instid1(VALU_DEP_1)
	v_lshrrev_b32_e32 v2, s23, v2
	v_and_b32_e32 v95, s42, v2
	s_wait_alu 0xfffe
	s_or_b32 exec_lo, exec_lo, s30
	s_and_saveexec_b32 s30, s16
	s_cbranch_execz .LBB2084_138
.LBB2084_172:                           ;   in Loop: Header=BB2084_72 Depth=2
	ds_load_u16 v2, v47 offset:2048
	s_wait_dscnt 0x0
	v_cmp_ne_u16_e64 s22, 0x7fff, v2
	s_wait_alu 0xf1ff
	s_delay_alu instid0(VALU_DEP_1) | instskip(NEXT) | instid1(VALU_DEP_1)
	v_cndmask_b32_e64 v2, 0xffff8000, v2, s22
	v_and_b32_e32 v2, 0xffff, v2
	s_delay_alu instid0(VALU_DEP_1) | instskip(NEXT) | instid1(VALU_DEP_1)
	v_lshrrev_b32_e32 v2, s23, v2
	v_and_b32_e32 v94, s42, v2
	s_wait_alu 0xfffe
	s_or_b32 exec_lo, exec_lo, s30
	s_and_saveexec_b32 s30, s17
	s_cbranch_execz .LBB2084_139
.LBB2084_173:                           ;   in Loop: Header=BB2084_72 Depth=2
	ds_load_u16 v2, v47 offset:2560
	s_wait_dscnt 0x0
	v_cmp_ne_u16_e64 s22, 0x7fff, v2
	s_wait_alu 0xf1ff
	s_delay_alu instid0(VALU_DEP_1) | instskip(NEXT) | instid1(VALU_DEP_1)
	v_cndmask_b32_e64 v2, 0xffff8000, v2, s22
	v_and_b32_e32 v2, 0xffff, v2
	s_delay_alu instid0(VALU_DEP_1) | instskip(NEXT) | instid1(VALU_DEP_1)
	v_lshrrev_b32_e32 v2, s23, v2
	v_and_b32_e32 v93, s42, v2
	s_wait_alu 0xfffe
	s_or_b32 exec_lo, exec_lo, s30
	s_and_saveexec_b32 s30, s18
	s_cbranch_execz .LBB2084_140
.LBB2084_174:                           ;   in Loop: Header=BB2084_72 Depth=2
	ds_load_u16 v2, v47 offset:3072
	s_wait_dscnt 0x0
	v_cmp_ne_u16_e64 s22, 0x7fff, v2
	s_wait_alu 0xf1ff
	s_delay_alu instid0(VALU_DEP_1) | instskip(NEXT) | instid1(VALU_DEP_1)
	v_cndmask_b32_e64 v2, 0xffff8000, v2, s22
	v_and_b32_e32 v2, 0xffff, v2
	s_delay_alu instid0(VALU_DEP_1) | instskip(NEXT) | instid1(VALU_DEP_1)
	v_lshrrev_b32_e32 v2, s23, v2
	v_and_b32_e32 v92, s42, v2
	s_wait_alu 0xfffe
	s_or_b32 exec_lo, exec_lo, s30
	s_and_saveexec_b32 s30, s19
	s_cbranch_execz .LBB2084_141
.LBB2084_175:                           ;   in Loop: Header=BB2084_72 Depth=2
	ds_load_u16 v2, v47 offset:3584
	s_wait_dscnt 0x0
	v_cmp_ne_u16_e64 s22, 0x7fff, v2
	s_wait_alu 0xf1ff
	s_delay_alu instid0(VALU_DEP_1) | instskip(NEXT) | instid1(VALU_DEP_1)
	v_cndmask_b32_e64 v2, 0xffff8000, v2, s22
	v_and_b32_e32 v2, 0xffff, v2
	s_delay_alu instid0(VALU_DEP_1) | instskip(NEXT) | instid1(VALU_DEP_1)
	v_lshrrev_b32_e32 v2, s23, v2
	v_and_b32_e32 v91, s42, v2
	s_wait_alu 0xfffe
	s_or_b32 exec_lo, exec_lo, s30
	s_and_saveexec_b32 s30, s20
	s_cbranch_execz .LBB2084_142
.LBB2084_176:                           ;   in Loop: Header=BB2084_72 Depth=2
	ds_load_u16 v2, v47 offset:4096
	s_wait_dscnt 0x0
	v_cmp_ne_u16_e64 s22, 0x7fff, v2
	s_wait_alu 0xf1ff
	s_delay_alu instid0(VALU_DEP_1) | instskip(NEXT) | instid1(VALU_DEP_1)
	v_cndmask_b32_e64 v2, 0xffff8000, v2, s22
	v_and_b32_e32 v2, 0xffff, v2
	s_delay_alu instid0(VALU_DEP_1) | instskip(NEXT) | instid1(VALU_DEP_1)
	v_lshrrev_b32_e32 v2, s23, v2
	v_and_b32_e32 v90, s42, v2
	s_wait_alu 0xfffe
	s_or_b32 exec_lo, exec_lo, s30
	s_and_saveexec_b32 s30, s21
	s_cbranch_execnz .LBB2084_143
	s_branch .LBB2084_144
.LBB2084_177:                           ;   in Loop: Header=BB2084_72 Depth=2
	v_lshlrev_b32_e32 v2, 2, v96
	v_add_nc_u32_e32 v20, v47, v48
	ds_load_b32 v2, v2
	ds_load_b64 v[20:21], v20 offset:1024
	s_wait_dscnt 0x1
	v_add_nc_u32_e32 v2, v2, v1
	s_delay_alu instid0(VALU_DEP_1) | instskip(NEXT) | instid1(VALU_DEP_1)
	v_lshlrev_b64_e32 v[23:24], 3, v[2:3]
	v_add_co_u32 v23, vcc_lo, s24, v23
	s_wait_alu 0xfffd
	s_delay_alu instid0(VALU_DEP_2)
	v_add_co_ci_u32_e64 v24, null, s25, v24, vcc_lo
	s_wait_dscnt 0x0
	global_store_b64 v[23:24], v[20:21], off
	s_wait_alu 0xfffe
	s_or_b32 exec_lo, exec_lo, s22
	s_and_saveexec_b32 s22, s15
	s_cbranch_execz .LBB2084_146
.LBB2084_178:                           ;   in Loop: Header=BB2084_72 Depth=2
	v_lshlrev_b32_e32 v2, 2, v95
	v_add_nc_u32_e32 v20, v47, v48
	ds_load_b32 v2, v2
	ds_load_b64 v[20:21], v20 offset:3072
	s_wait_dscnt 0x1
	v_add_nc_u32_e32 v2, v2, v29
	s_delay_alu instid0(VALU_DEP_1) | instskip(NEXT) | instid1(VALU_DEP_1)
	v_lshlrev_b64_e32 v[23:24], 3, v[2:3]
	v_add_co_u32 v23, vcc_lo, s24, v23
	s_wait_alu 0xfffd
	s_delay_alu instid0(VALU_DEP_2)
	v_add_co_ci_u32_e64 v24, null, s25, v24, vcc_lo
	s_wait_dscnt 0x0
	global_store_b64 v[23:24], v[20:21], off
	s_wait_alu 0xfffe
	s_or_b32 exec_lo, exec_lo, s22
	s_and_saveexec_b32 s15, s16
	s_cbranch_execz .LBB2084_147
.LBB2084_179:                           ;   in Loop: Header=BB2084_72 Depth=2
	v_lshlrev_b32_e32 v2, 2, v94
	v_add_nc_u32_e32 v20, v47, v48
	ds_load_b32 v2, v2
	ds_load_b64 v[20:21], v20 offset:5120
	s_wait_dscnt 0x1
	v_add_nc_u32_e32 v2, v2, v30
	s_delay_alu instid0(VALU_DEP_1) | instskip(NEXT) | instid1(VALU_DEP_1)
	v_lshlrev_b64_e32 v[23:24], 3, v[2:3]
	v_add_co_u32 v23, vcc_lo, s24, v23
	s_wait_alu 0xfffd
	s_delay_alu instid0(VALU_DEP_2)
	v_add_co_ci_u32_e64 v24, null, s25, v24, vcc_lo
	s_wait_dscnt 0x0
	global_store_b64 v[23:24], v[20:21], off
	s_wait_alu 0xfffe
	s_or_b32 exec_lo, exec_lo, s15
	s_and_saveexec_b32 s15, s17
	s_cbranch_execz .LBB2084_148
.LBB2084_180:                           ;   in Loop: Header=BB2084_72 Depth=2
	v_lshlrev_b32_e32 v2, 2, v93
	v_add_nc_u32_e32 v20, v47, v48
	ds_load_b32 v2, v2
	ds_load_b64 v[20:21], v20 offset:7168
	s_wait_dscnt 0x1
	v_add_nc_u32_e32 v2, v2, v31
	s_delay_alu instid0(VALU_DEP_1) | instskip(NEXT) | instid1(VALU_DEP_1)
	v_lshlrev_b64_e32 v[23:24], 3, v[2:3]
	v_add_co_u32 v23, vcc_lo, s24, v23
	s_wait_alu 0xfffd
	s_delay_alu instid0(VALU_DEP_2)
	v_add_co_ci_u32_e64 v24, null, s25, v24, vcc_lo
	s_wait_dscnt 0x0
	global_store_b64 v[23:24], v[20:21], off
	s_wait_alu 0xfffe
	s_or_b32 exec_lo, exec_lo, s15
	s_and_saveexec_b32 s15, s18
	s_cbranch_execz .LBB2084_149
.LBB2084_181:                           ;   in Loop: Header=BB2084_72 Depth=2
	v_lshlrev_b32_e32 v2, 2, v92
	v_add_nc_u32_e32 v20, v47, v48
	ds_load_b32 v2, v2
	ds_load_b64 v[20:21], v20 offset:9216
	s_wait_dscnt 0x1
	v_add_nc_u32_e32 v2, v2, v34
	s_delay_alu instid0(VALU_DEP_1) | instskip(NEXT) | instid1(VALU_DEP_1)
	v_lshlrev_b64_e32 v[23:24], 3, v[2:3]
	v_add_co_u32 v23, vcc_lo, s24, v23
	s_wait_alu 0xfffd
	s_delay_alu instid0(VALU_DEP_2)
	v_add_co_ci_u32_e64 v24, null, s25, v24, vcc_lo
	s_wait_dscnt 0x0
	global_store_b64 v[23:24], v[20:21], off
	s_wait_alu 0xfffe
	s_or_b32 exec_lo, exec_lo, s15
	s_and_saveexec_b32 s15, s19
	s_cbranch_execz .LBB2084_150
.LBB2084_182:                           ;   in Loop: Header=BB2084_72 Depth=2
	v_lshlrev_b32_e32 v2, 2, v91
	v_add_nc_u32_e32 v20, v47, v48
	ds_load_b32 v2, v2
	ds_load_b64 v[20:21], v20 offset:11264
	s_wait_dscnt 0x1
	v_add_nc_u32_e32 v2, v2, v35
	s_delay_alu instid0(VALU_DEP_1) | instskip(NEXT) | instid1(VALU_DEP_1)
	v_lshlrev_b64_e32 v[23:24], 3, v[2:3]
	v_add_co_u32 v23, vcc_lo, s24, v23
	s_wait_alu 0xfffd
	s_delay_alu instid0(VALU_DEP_2)
	v_add_co_ci_u32_e64 v24, null, s25, v24, vcc_lo
	s_wait_dscnt 0x0
	global_store_b64 v[23:24], v[20:21], off
	s_wait_alu 0xfffe
	s_or_b32 exec_lo, exec_lo, s15
	s_and_saveexec_b32 s15, s20
	s_cbranch_execz .LBB2084_151
.LBB2084_183:                           ;   in Loop: Header=BB2084_72 Depth=2
	v_lshlrev_b32_e32 v2, 2, v90
	v_add_nc_u32_e32 v20, v47, v48
	ds_load_b32 v2, v2
	ds_load_b64 v[20:21], v20 offset:13312
	s_wait_dscnt 0x1
	v_add_nc_u32_e32 v2, v2, v36
	s_delay_alu instid0(VALU_DEP_1) | instskip(NEXT) | instid1(VALU_DEP_1)
	v_lshlrev_b64_e32 v[23:24], 3, v[2:3]
	v_add_co_u32 v23, vcc_lo, s24, v23
	s_wait_alu 0xfffd
	s_delay_alu instid0(VALU_DEP_2)
	v_add_co_ci_u32_e64 v24, null, s25, v24, vcc_lo
	s_wait_dscnt 0x0
	global_store_b64 v[23:24], v[20:21], off
	s_wait_alu 0xfffe
	s_or_b32 exec_lo, exec_lo, s15
	s_and_saveexec_b32 s15, s21
	s_cbranch_execnz .LBB2084_152
	s_branch .LBB2084_153
.LBB2084_184:                           ;   in Loop: Header=BB2084_20 Depth=1
	s_wait_loadcnt_dscnt 0x0
	s_barrier_signal -1
	s_mov_b32 s0, 0
	s_barrier_wait -1
.LBB2084_185:                           ;   in Loop: Header=BB2084_20 Depth=1
	s_wait_alu 0xfffe
	s_and_b32 vcc_lo, exec_lo, s0
	s_wait_alu 0xfffe
	s_cbranch_vccz .LBB2084_349
; %bb.186:                              ;   in Loop: Header=BB2084_20 Depth=1
	s_mov_b32 s9, s47
	s_mov_b32 s30, s33
	s_barrier_signal -1
	s_barrier_wait -1
	global_inv scope:SCOPE_SE
                                        ; implicit-def: $vgpr2
                                        ; implicit-def: $vgpr4
                                        ; implicit-def: $vgpr5
                                        ; implicit-def: $vgpr6
                                        ; implicit-def: $vgpr7
                                        ; implicit-def: $vgpr8
                                        ; implicit-def: $vgpr9
                                        ; implicit-def: $vgpr10
	s_branch .LBB2084_188
.LBB2084_187:                           ;   in Loop: Header=BB2084_188 Depth=2
	s_wait_alu 0xfffe
	s_or_b32 exec_lo, exec_lo, s0
	s_addk_co_i32 s9, 0xf800
	s_cmp_ge_u32 s10, s34
	s_mov_b32 s30, s10
	s_cbranch_scc1 .LBB2084_224
.LBB2084_188:                           ;   Parent Loop BB2084_20 Depth=1
                                        ; =>  This Inner Loop Header: Depth=2
	s_wait_alu 0xfffe
	s_add_co_i32 s10, s30, 0x800
	s_mov_b32 s0, -1
	s_wait_alu 0xfffe
	s_cmp_gt_u32 s10, s34
                                        ; implicit-def: $vgpr11
                                        ; implicit-def: $vgpr12
                                        ; implicit-def: $vgpr13
                                        ; implicit-def: $vgpr14
                                        ; implicit-def: $vgpr15
                                        ; implicit-def: $vgpr16
                                        ; implicit-def: $vgpr17
                                        ; implicit-def: $vgpr18
	s_cbranch_scc1 .LBB2084_190
; %bb.189:                              ;   in Loop: Header=BB2084_188 Depth=2
	s_lshl_b64 s[0:1], s[30:31], 1
	s_wait_alu 0xfffe
	v_add_co_u32 v18, vcc_lo, v49, s0
	s_wait_alu 0xfffd
	v_add_co_ci_u32_e64 v19, null, s1, v50, vcc_lo
	s_mov_b32 s0, 0
	s_clause 0x7
	global_load_u16 v11, v[18:19], off
	global_load_u16 v12, v[18:19], off offset:512
	global_load_u16 v13, v[18:19], off offset:1024
	;; [unrolled: 1-line block ×7, first 2 shown]
.LBB2084_190:                           ;   in Loop: Header=BB2084_188 Depth=2
	s_wait_alu 0xfffe
	s_and_not1_b32 vcc_lo, exec_lo, s0
	s_movk_i32 s0, 0x800
	s_wait_alu 0xfffe
	s_cbranch_vccnz .LBB2084_201
; %bb.191:                              ;   in Loop: Header=BB2084_188 Depth=2
	s_lshl_b64 s[0:1], s[30:31], 1
	s_mov_b32 s11, exec_lo
	s_wait_alu 0xfffe
	s_add_nc_u64 s[0:1], s[38:39], s[0:1]
	v_cmpx_gt_u32_e64 s9, v1
	s_cbranch_execnz .LBB2084_217
; %bb.192:                              ;   in Loop: Header=BB2084_188 Depth=2
	s_or_b32 exec_lo, exec_lo, s11
	s_delay_alu instid0(SALU_CYCLE_1)
	s_mov_b32 s11, exec_lo
	v_cmpx_gt_u32_e64 s9, v29
	s_cbranch_execnz .LBB2084_218
.LBB2084_193:                           ;   in Loop: Header=BB2084_188 Depth=2
	s_wait_alu 0xfffe
	s_or_b32 exec_lo, exec_lo, s11
	s_delay_alu instid0(SALU_CYCLE_1)
	s_mov_b32 s11, exec_lo
	v_cmpx_gt_u32_e64 s9, v30
	s_cbranch_execnz .LBB2084_219
.LBB2084_194:                           ;   in Loop: Header=BB2084_188 Depth=2
	s_wait_alu 0xfffe
	s_or_b32 exec_lo, exec_lo, s11
	s_delay_alu instid0(SALU_CYCLE_1)
	s_mov_b32 s11, exec_lo
	v_cmpx_gt_u32_e64 s9, v31
	s_cbranch_execnz .LBB2084_220
.LBB2084_195:                           ;   in Loop: Header=BB2084_188 Depth=2
	s_wait_alu 0xfffe
	s_or_b32 exec_lo, exec_lo, s11
	s_delay_alu instid0(SALU_CYCLE_1)
	s_mov_b32 s11, exec_lo
	v_cmpx_gt_u32_e64 s9, v34
	s_cbranch_execnz .LBB2084_221
.LBB2084_196:                           ;   in Loop: Header=BB2084_188 Depth=2
	s_wait_alu 0xfffe
	s_or_b32 exec_lo, exec_lo, s11
	s_delay_alu instid0(SALU_CYCLE_1)
	s_mov_b32 s11, exec_lo
	v_cmpx_gt_u32_e64 s9, v35
	s_cbranch_execnz .LBB2084_222
.LBB2084_197:                           ;   in Loop: Header=BB2084_188 Depth=2
	s_wait_alu 0xfffe
	s_or_b32 exec_lo, exec_lo, s11
	s_delay_alu instid0(SALU_CYCLE_1)
	s_mov_b32 s11, exec_lo
	v_cmpx_gt_u32_e64 s9, v36
	s_cbranch_execnz .LBB2084_223
.LBB2084_198:                           ;   in Loop: Header=BB2084_188 Depth=2
	s_wait_alu 0xfffe
	s_or_b32 exec_lo, exec_lo, s11
	s_delay_alu instid0(SALU_CYCLE_1)
	s_mov_b32 s11, exec_lo
	v_cmpx_gt_u32_e64 s9, v37
	s_cbranch_execz .LBB2084_200
.LBB2084_199:                           ;   in Loop: Header=BB2084_188 Depth=2
	global_load_u16 v2, v82, s[0:1] offset:3584
.LBB2084_200:                           ;   in Loop: Header=BB2084_188 Depth=2
	s_wait_alu 0xfffe
	s_or_b32 exec_lo, exec_lo, s11
	s_wait_loadcnt 0x0
	v_dual_mov_b32 v11, v10 :: v_dual_mov_b32 v12, v9
	v_dual_mov_b32 v13, v8 :: v_dual_mov_b32 v14, v7
	;; [unrolled: 1-line block ×4, first 2 shown]
	s_mov_b32 s0, s9
.LBB2084_201:                           ;   in Loop: Header=BB2084_188 Depth=2
	s_wait_loadcnt 0x0
	s_delay_alu instid0(VALU_DEP_1) | instskip(NEXT) | instid1(VALU_DEP_2)
	v_dual_mov_b32 v2, v18 :: v_dual_mov_b32 v5, v16
	v_dual_mov_b32 v4, v17 :: v_dual_mov_b32 v7, v14
	;; [unrolled: 1-line block ×3, first 2 shown]
	v_mov_b32_e32 v8, v13
	v_mov_b32_e32 v10, v11
	s_mov_b32 s1, exec_lo
	s_wait_alu 0xfffe
	v_cmpx_gt_u32_e64 s0, v1
	s_cbranch_execnz .LBB2084_209
; %bb.202:                              ;   in Loop: Header=BB2084_188 Depth=2
	s_or_b32 exec_lo, exec_lo, s1
	s_delay_alu instid0(SALU_CYCLE_1)
	s_mov_b32 s1, exec_lo
	v_cmpx_gt_u32_e64 s0, v29
	s_cbranch_execnz .LBB2084_210
.LBB2084_203:                           ;   in Loop: Header=BB2084_188 Depth=2
	s_wait_alu 0xfffe
	s_or_b32 exec_lo, exec_lo, s1
	s_delay_alu instid0(SALU_CYCLE_1)
	s_mov_b32 s1, exec_lo
	v_cmpx_gt_u32_e64 s0, v30
	s_cbranch_execnz .LBB2084_211
.LBB2084_204:                           ;   in Loop: Header=BB2084_188 Depth=2
	s_wait_alu 0xfffe
	s_or_b32 exec_lo, exec_lo, s1
	s_delay_alu instid0(SALU_CYCLE_1)
	s_mov_b32 s1, exec_lo
	v_cmpx_gt_u32_e64 s0, v31
	s_cbranch_execnz .LBB2084_212
.LBB2084_205:                           ;   in Loop: Header=BB2084_188 Depth=2
	s_wait_alu 0xfffe
	s_or_b32 exec_lo, exec_lo, s1
	s_delay_alu instid0(SALU_CYCLE_1)
	s_mov_b32 s1, exec_lo
	v_cmpx_gt_u32_e64 s0, v34
	s_cbranch_execnz .LBB2084_213
.LBB2084_206:                           ;   in Loop: Header=BB2084_188 Depth=2
	s_wait_alu 0xfffe
	s_or_b32 exec_lo, exec_lo, s1
	s_delay_alu instid0(SALU_CYCLE_1)
	s_mov_b32 s1, exec_lo
	v_cmpx_gt_u32_e64 s0, v35
	s_cbranch_execnz .LBB2084_214
.LBB2084_207:                           ;   in Loop: Header=BB2084_188 Depth=2
	s_wait_alu 0xfffe
	s_or_b32 exec_lo, exec_lo, s1
	s_delay_alu instid0(SALU_CYCLE_1)
	s_mov_b32 s1, exec_lo
	v_cmpx_gt_u32_e64 s0, v36
	s_cbranch_execnz .LBB2084_215
.LBB2084_208:                           ;   in Loop: Header=BB2084_188 Depth=2
	s_wait_alu 0xfffe
	s_or_b32 exec_lo, exec_lo, s1
	v_cmp_gt_u32_e32 vcc_lo, s0, v37
	s_and_saveexec_b32 s0, vcc_lo
	s_cbranch_execz .LBB2084_187
	s_branch .LBB2084_216
.LBB2084_209:                           ;   in Loop: Header=BB2084_188 Depth=2
	v_cmp_lt_i16_e32 vcc_lo, -1, v10
	s_wait_alu 0xfffd
	v_cndmask_b32_e64 v11, -1, 0xffff8000, vcc_lo
	s_delay_alu instid0(VALU_DEP_1) | instskip(NEXT) | instid1(VALU_DEP_1)
	v_xor_b32_e32 v11, v11, v10
	v_cmp_ne_u16_e32 vcc_lo, 0x7fff, v11
	s_wait_alu 0xfffd
	v_cndmask_b32_e32 v11, 0xffff8000, v11, vcc_lo
	s_delay_alu instid0(VALU_DEP_1) | instskip(NEXT) | instid1(VALU_DEP_1)
	v_and_b32_e32 v11, 0xffff, v11
	v_lshrrev_b32_e32 v11, s23, v11
	s_delay_alu instid0(VALU_DEP_1) | instskip(NEXT) | instid1(VALU_DEP_1)
	v_and_b32_e32 v11, s42, v11
	v_lshl_or_b32 v11, v11, 4, v39
	ds_add_u32 v11, v62
	s_or_b32 exec_lo, exec_lo, s1
	s_delay_alu instid0(SALU_CYCLE_1)
	s_mov_b32 s1, exec_lo
	v_cmpx_gt_u32_e64 s0, v29
	s_cbranch_execz .LBB2084_203
.LBB2084_210:                           ;   in Loop: Header=BB2084_188 Depth=2
	v_cmp_lt_i16_e32 vcc_lo, -1, v9
	s_wait_alu 0xfffd
	v_cndmask_b32_e64 v11, -1, 0xffff8000, vcc_lo
	s_delay_alu instid0(VALU_DEP_1) | instskip(NEXT) | instid1(VALU_DEP_1)
	v_xor_b32_e32 v11, v11, v9
	v_cmp_ne_u16_e32 vcc_lo, 0x7fff, v11
	s_wait_alu 0xfffd
	v_cndmask_b32_e32 v11, 0xffff8000, v11, vcc_lo
	s_delay_alu instid0(VALU_DEP_1) | instskip(NEXT) | instid1(VALU_DEP_1)
	v_and_b32_e32 v11, 0xffff, v11
	v_lshrrev_b32_e32 v11, s23, v11
	s_delay_alu instid0(VALU_DEP_1) | instskip(NEXT) | instid1(VALU_DEP_1)
	v_and_b32_e32 v11, s42, v11
	v_lshl_or_b32 v11, v11, 4, v39
	ds_add_u32 v11, v62
	s_wait_alu 0xfffe
	s_or_b32 exec_lo, exec_lo, s1
	s_delay_alu instid0(SALU_CYCLE_1)
	s_mov_b32 s1, exec_lo
	v_cmpx_gt_u32_e64 s0, v30
	s_cbranch_execz .LBB2084_204
.LBB2084_211:                           ;   in Loop: Header=BB2084_188 Depth=2
	v_cmp_lt_i16_e32 vcc_lo, -1, v8
	s_wait_alu 0xfffd
	v_cndmask_b32_e64 v11, -1, 0xffff8000, vcc_lo
	s_delay_alu instid0(VALU_DEP_1) | instskip(NEXT) | instid1(VALU_DEP_1)
	v_xor_b32_e32 v11, v11, v8
	v_cmp_ne_u16_e32 vcc_lo, 0x7fff, v11
	s_wait_alu 0xfffd
	v_cndmask_b32_e32 v11, 0xffff8000, v11, vcc_lo
	s_delay_alu instid0(VALU_DEP_1) | instskip(NEXT) | instid1(VALU_DEP_1)
	v_and_b32_e32 v11, 0xffff, v11
	v_lshrrev_b32_e32 v11, s23, v11
	s_delay_alu instid0(VALU_DEP_1) | instskip(NEXT) | instid1(VALU_DEP_1)
	v_and_b32_e32 v11, s42, v11
	v_lshl_or_b32 v11, v11, 4, v39
	ds_add_u32 v11, v62
	s_wait_alu 0xfffe
	s_or_b32 exec_lo, exec_lo, s1
	s_delay_alu instid0(SALU_CYCLE_1)
	s_mov_b32 s1, exec_lo
	v_cmpx_gt_u32_e64 s0, v31
	s_cbranch_execz .LBB2084_205
.LBB2084_212:                           ;   in Loop: Header=BB2084_188 Depth=2
	v_cmp_lt_i16_e32 vcc_lo, -1, v7
	s_wait_alu 0xfffd
	v_cndmask_b32_e64 v11, -1, 0xffff8000, vcc_lo
	s_delay_alu instid0(VALU_DEP_1) | instskip(NEXT) | instid1(VALU_DEP_1)
	v_xor_b32_e32 v11, v11, v7
	v_cmp_ne_u16_e32 vcc_lo, 0x7fff, v11
	s_wait_alu 0xfffd
	v_cndmask_b32_e32 v11, 0xffff8000, v11, vcc_lo
	s_delay_alu instid0(VALU_DEP_1) | instskip(NEXT) | instid1(VALU_DEP_1)
	v_and_b32_e32 v11, 0xffff, v11
	v_lshrrev_b32_e32 v11, s23, v11
	s_delay_alu instid0(VALU_DEP_1) | instskip(NEXT) | instid1(VALU_DEP_1)
	v_and_b32_e32 v11, s42, v11
	v_lshl_or_b32 v11, v11, 4, v39
	ds_add_u32 v11, v62
	s_wait_alu 0xfffe
	s_or_b32 exec_lo, exec_lo, s1
	s_delay_alu instid0(SALU_CYCLE_1)
	s_mov_b32 s1, exec_lo
	v_cmpx_gt_u32_e64 s0, v34
	s_cbranch_execz .LBB2084_206
.LBB2084_213:                           ;   in Loop: Header=BB2084_188 Depth=2
	v_cmp_lt_i16_e32 vcc_lo, -1, v6
	s_wait_alu 0xfffd
	v_cndmask_b32_e64 v11, -1, 0xffff8000, vcc_lo
	s_delay_alu instid0(VALU_DEP_1) | instskip(NEXT) | instid1(VALU_DEP_1)
	v_xor_b32_e32 v11, v11, v6
	v_cmp_ne_u16_e32 vcc_lo, 0x7fff, v11
	s_wait_alu 0xfffd
	v_cndmask_b32_e32 v11, 0xffff8000, v11, vcc_lo
	s_delay_alu instid0(VALU_DEP_1) | instskip(NEXT) | instid1(VALU_DEP_1)
	v_and_b32_e32 v11, 0xffff, v11
	v_lshrrev_b32_e32 v11, s23, v11
	s_delay_alu instid0(VALU_DEP_1) | instskip(NEXT) | instid1(VALU_DEP_1)
	v_and_b32_e32 v11, s42, v11
	v_lshl_or_b32 v11, v11, 4, v39
	ds_add_u32 v11, v62
	s_wait_alu 0xfffe
	s_or_b32 exec_lo, exec_lo, s1
	s_delay_alu instid0(SALU_CYCLE_1)
	s_mov_b32 s1, exec_lo
	v_cmpx_gt_u32_e64 s0, v35
	s_cbranch_execz .LBB2084_207
.LBB2084_214:                           ;   in Loop: Header=BB2084_188 Depth=2
	v_cmp_lt_i16_e32 vcc_lo, -1, v5
	s_wait_alu 0xfffd
	v_cndmask_b32_e64 v11, -1, 0xffff8000, vcc_lo
	s_delay_alu instid0(VALU_DEP_1) | instskip(NEXT) | instid1(VALU_DEP_1)
	v_xor_b32_e32 v11, v11, v5
	v_cmp_ne_u16_e32 vcc_lo, 0x7fff, v11
	s_wait_alu 0xfffd
	v_cndmask_b32_e32 v11, 0xffff8000, v11, vcc_lo
	s_delay_alu instid0(VALU_DEP_1) | instskip(NEXT) | instid1(VALU_DEP_1)
	v_and_b32_e32 v11, 0xffff, v11
	v_lshrrev_b32_e32 v11, s23, v11
	s_delay_alu instid0(VALU_DEP_1) | instskip(NEXT) | instid1(VALU_DEP_1)
	v_and_b32_e32 v11, s42, v11
	v_lshl_or_b32 v11, v11, 4, v39
	ds_add_u32 v11, v62
	s_wait_alu 0xfffe
	s_or_b32 exec_lo, exec_lo, s1
	s_delay_alu instid0(SALU_CYCLE_1)
	s_mov_b32 s1, exec_lo
	v_cmpx_gt_u32_e64 s0, v36
	s_cbranch_execz .LBB2084_208
.LBB2084_215:                           ;   in Loop: Header=BB2084_188 Depth=2
	v_cmp_lt_i16_e32 vcc_lo, -1, v4
	s_wait_alu 0xfffd
	v_cndmask_b32_e64 v11, -1, 0xffff8000, vcc_lo
	s_delay_alu instid0(VALU_DEP_1) | instskip(NEXT) | instid1(VALU_DEP_1)
	v_xor_b32_e32 v11, v11, v4
	v_cmp_ne_u16_e32 vcc_lo, 0x7fff, v11
	s_wait_alu 0xfffd
	v_cndmask_b32_e32 v11, 0xffff8000, v11, vcc_lo
	s_delay_alu instid0(VALU_DEP_1) | instskip(NEXT) | instid1(VALU_DEP_1)
	v_and_b32_e32 v11, 0xffff, v11
	v_lshrrev_b32_e32 v11, s23, v11
	s_delay_alu instid0(VALU_DEP_1) | instskip(NEXT) | instid1(VALU_DEP_1)
	v_and_b32_e32 v11, s42, v11
	v_lshl_or_b32 v11, v11, 4, v39
	ds_add_u32 v11, v62
	s_wait_alu 0xfffe
	s_or_b32 exec_lo, exec_lo, s1
	v_cmp_gt_u32_e32 vcc_lo, s0, v37
	s_and_saveexec_b32 s0, vcc_lo
	s_cbranch_execz .LBB2084_187
.LBB2084_216:                           ;   in Loop: Header=BB2084_188 Depth=2
	v_cmp_lt_i16_e32 vcc_lo, -1, v2
	s_wait_alu 0xfffd
	v_cndmask_b32_e64 v11, -1, 0xffff8000, vcc_lo
	s_delay_alu instid0(VALU_DEP_1) | instskip(NEXT) | instid1(VALU_DEP_1)
	v_xor_b32_e32 v11, v11, v2
	v_cmp_ne_u16_e32 vcc_lo, 0x7fff, v11
	s_wait_alu 0xfffd
	v_cndmask_b32_e32 v11, 0xffff8000, v11, vcc_lo
	s_delay_alu instid0(VALU_DEP_1) | instskip(NEXT) | instid1(VALU_DEP_1)
	v_and_b32_e32 v11, 0xffff, v11
	v_lshrrev_b32_e32 v11, s23, v11
	s_delay_alu instid0(VALU_DEP_1) | instskip(NEXT) | instid1(VALU_DEP_1)
	v_and_b32_e32 v11, s42, v11
	v_lshl_or_b32 v11, v11, 4, v39
	ds_add_u32 v11, v62
	s_branch .LBB2084_187
.LBB2084_217:                           ;   in Loop: Header=BB2084_188 Depth=2
	global_load_u16 v10, v82, s[0:1]
	s_or_b32 exec_lo, exec_lo, s11
	s_delay_alu instid0(SALU_CYCLE_1)
	s_mov_b32 s11, exec_lo
	v_cmpx_gt_u32_e64 s9, v29
	s_cbranch_execz .LBB2084_193
.LBB2084_218:                           ;   in Loop: Header=BB2084_188 Depth=2
	global_load_u16 v9, v82, s[0:1] offset:512
	s_wait_alu 0xfffe
	s_or_b32 exec_lo, exec_lo, s11
	s_delay_alu instid0(SALU_CYCLE_1)
	s_mov_b32 s11, exec_lo
	v_cmpx_gt_u32_e64 s9, v30
	s_cbranch_execz .LBB2084_194
.LBB2084_219:                           ;   in Loop: Header=BB2084_188 Depth=2
	global_load_u16 v8, v82, s[0:1] offset:1024
	s_wait_alu 0xfffe
	s_or_b32 exec_lo, exec_lo, s11
	s_delay_alu instid0(SALU_CYCLE_1)
	s_mov_b32 s11, exec_lo
	v_cmpx_gt_u32_e64 s9, v31
	s_cbranch_execz .LBB2084_195
.LBB2084_220:                           ;   in Loop: Header=BB2084_188 Depth=2
	global_load_u16 v7, v82, s[0:1] offset:1536
	s_wait_alu 0xfffe
	s_or_b32 exec_lo, exec_lo, s11
	s_delay_alu instid0(SALU_CYCLE_1)
	s_mov_b32 s11, exec_lo
	v_cmpx_gt_u32_e64 s9, v34
	s_cbranch_execz .LBB2084_196
.LBB2084_221:                           ;   in Loop: Header=BB2084_188 Depth=2
	global_load_u16 v6, v82, s[0:1] offset:2048
	s_wait_alu 0xfffe
	s_or_b32 exec_lo, exec_lo, s11
	s_delay_alu instid0(SALU_CYCLE_1)
	s_mov_b32 s11, exec_lo
	v_cmpx_gt_u32_e64 s9, v35
	s_cbranch_execz .LBB2084_197
.LBB2084_222:                           ;   in Loop: Header=BB2084_188 Depth=2
	global_load_u16 v5, v82, s[0:1] offset:2560
	s_wait_alu 0xfffe
	s_or_b32 exec_lo, exec_lo, s11
	s_delay_alu instid0(SALU_CYCLE_1)
	s_mov_b32 s11, exec_lo
	v_cmpx_gt_u32_e64 s9, v36
	s_cbranch_execz .LBB2084_198
.LBB2084_223:                           ;   in Loop: Header=BB2084_188 Depth=2
	global_load_u16 v4, v82, s[0:1] offset:3072
	s_wait_alu 0xfffe
	s_or_b32 exec_lo, exec_lo, s11
	s_delay_alu instid0(SALU_CYCLE_1)
	s_mov_b32 s11, exec_lo
	v_cmpx_gt_u32_e64 s9, v37
	s_cbranch_execnz .LBB2084_199
	s_branch .LBB2084_200
.LBB2084_224:                           ;   in Loop: Header=BB2084_20 Depth=1
	v_mov_b32_e32 v2, 0
	s_wait_dscnt 0x0
	s_barrier_signal -1
	s_barrier_wait -1
	global_inv scope:SCOPE_SE
	s_and_saveexec_b32 s0, s2
	s_cbranch_execz .LBB2084_226
; %bb.225:                              ;   in Loop: Header=BB2084_20 Depth=1
	ds_load_2addr_b64 v[4:7], v40 offset1:1
	s_wait_dscnt 0x0
	v_add_nc_u32_e32 v2, v5, v4
	s_delay_alu instid0(VALU_DEP_1)
	v_add3_u32 v2, v2, v6, v7
.LBB2084_226:                           ;   in Loop: Header=BB2084_20 Depth=1
	s_wait_alu 0xfffe
	s_or_b32 exec_lo, exec_lo, s0
	s_delay_alu instid0(VALU_DEP_1)
	v_mov_b32_dpp v4, v2 row_shr:1 row_mask:0xf bank_mask:0xf
	v_cmp_eq_u32_e64 s0, 0, v63
	v_cmp_lt_u32_e64 s1, 1, v63
	v_cmp_lt_u32_e64 s9, 3, v63
	;; [unrolled: 1-line block ×3, first 2 shown]
	v_cmp_eq_u32_e64 s11, 0, v65
	s_wait_alu 0xf1ff
	v_cndmask_b32_e64 v4, v4, 0, s0
	s_delay_alu instid0(VALU_DEP_1) | instskip(NEXT) | instid1(VALU_DEP_1)
	v_add_nc_u32_e32 v2, v4, v2
	v_mov_b32_dpp v4, v2 row_shr:2 row_mask:0xf bank_mask:0xf
	s_delay_alu instid0(VALU_DEP_1) | instskip(NEXT) | instid1(VALU_DEP_1)
	v_cndmask_b32_e64 v4, 0, v4, s1
	v_add_nc_u32_e32 v2, v2, v4
	s_delay_alu instid0(VALU_DEP_1) | instskip(NEXT) | instid1(VALU_DEP_1)
	v_mov_b32_dpp v4, v2 row_shr:4 row_mask:0xf bank_mask:0xf
	v_cndmask_b32_e64 v4, 0, v4, s9
	s_delay_alu instid0(VALU_DEP_1) | instskip(NEXT) | instid1(VALU_DEP_1)
	v_add_nc_u32_e32 v2, v2, v4
	v_mov_b32_dpp v4, v2 row_shr:8 row_mask:0xf bank_mask:0xf
	s_delay_alu instid0(VALU_DEP_1) | instskip(NEXT) | instid1(VALU_DEP_1)
	v_cndmask_b32_e64 v4, 0, v4, s10
	v_add_nc_u32_e32 v2, v2, v4
	ds_swizzle_b32 v4, v2 offset:swizzle(BROADCAST,32,15)
	s_wait_dscnt 0x0
	v_and_b32_e32 v4, v64, v4
	s_delay_alu instid0(VALU_DEP_1)
	v_add_nc_u32_e32 v2, v2, v4
	s_and_saveexec_b32 s12, s3
; %bb.227:                              ;   in Loop: Header=BB2084_20 Depth=1
	ds_store_b32 v41, v2
; %bb.228:                              ;   in Loop: Header=BB2084_20 Depth=1
	s_wait_alu 0xfffe
	s_or_b32 exec_lo, exec_lo, s12
	s_wait_loadcnt_dscnt 0x0
	s_barrier_signal -1
	s_barrier_wait -1
	global_inv scope:SCOPE_SE
	s_and_saveexec_b32 s12, s4
	s_cbranch_execz .LBB2084_230
; %bb.229:                              ;   in Loop: Header=BB2084_20 Depth=1
	ds_load_b32 v4, v42
	v_cmp_ne_u32_e32 vcc_lo, 0, v67
	s_wait_dscnt 0x0
	v_mov_b32_dpp v5, v4 row_shr:1 row_mask:0xf bank_mask:0xf
	s_wait_alu 0xfffd
	s_delay_alu instid0(VALU_DEP_1) | instskip(SKIP_1) | instid1(VALU_DEP_2)
	v_cndmask_b32_e32 v5, 0, v5, vcc_lo
	v_cmp_lt_u32_e32 vcc_lo, 1, v67
	v_add_nc_u32_e32 v4, v5, v4
	s_delay_alu instid0(VALU_DEP_1) | instskip(SKIP_1) | instid1(VALU_DEP_1)
	v_mov_b32_dpp v5, v4 row_shr:2 row_mask:0xf bank_mask:0xf
	s_wait_alu 0xfffd
	v_cndmask_b32_e32 v5, 0, v5, vcc_lo
	v_cmp_lt_u32_e32 vcc_lo, 3, v67
	s_delay_alu instid0(VALU_DEP_2) | instskip(NEXT) | instid1(VALU_DEP_1)
	v_add_nc_u32_e32 v4, v4, v5
	v_mov_b32_dpp v5, v4 row_shr:4 row_mask:0xf bank_mask:0xf
	s_wait_alu 0xfffd
	s_delay_alu instid0(VALU_DEP_1) | instskip(NEXT) | instid1(VALU_DEP_1)
	v_cndmask_b32_e32 v5, 0, v5, vcc_lo
	v_add_nc_u32_e32 v4, v4, v5
	ds_store_b32 v42, v4
.LBB2084_230:                           ;   in Loop: Header=BB2084_20 Depth=1
	s_wait_alu 0xfffe
	s_or_b32 exec_lo, exec_lo, s12
	v_mov_b32_e32 v4, 0
	s_wait_loadcnt_dscnt 0x0
	s_barrier_signal -1
	s_barrier_wait -1
	global_inv scope:SCOPE_SE
	s_and_saveexec_b32 s12, s5
; %bb.231:                              ;   in Loop: Header=BB2084_20 Depth=1
	ds_load_b32 v4, v44
; %bb.232:                              ;   in Loop: Header=BB2084_20 Depth=1
	s_wait_alu 0xfffe
	s_or_b32 exec_lo, exec_lo, s12
	v_cmp_gt_i32_e32 vcc_lo, 0, v68
	s_wait_dscnt 0x0
	v_add_nc_u32_e32 v2, v4, v2
	s_wait_loadcnt 0x0
	s_barrier_signal -1
	s_barrier_wait -1
	s_wait_alu 0xfffd
	v_cndmask_b32_e32 v5, v68, v59, vcc_lo
	global_inv scope:SCOPE_SE
	v_lshlrev_b32_e32 v87, 2, v5
	ds_bpermute_b32 v2, v87, v2
	s_and_saveexec_b32 s12, s2
	s_cbranch_execz .LBB2084_234
; %bb.233:                              ;   in Loop: Header=BB2084_20 Depth=1
	s_wait_dscnt 0x0
	v_cndmask_b32_e64 v2, v2, v4, s8
	s_delay_alu instid0(VALU_DEP_1)
	v_add_nc_u32_e32 v2, s33, v2
	ds_store_b32 v28, v2
.LBB2084_234:                           ;   in Loop: Header=BB2084_20 Depth=1
	s_wait_alu 0xfffe
	s_or_b32 exec_lo, exec_lo, s12
	s_load_b64 s[12:13], s[28:29], 0x0
	v_add_co_u32 v88, vcc_lo, v51, v69
	s_wait_alu 0xfffd
	v_add_co_ci_u32_e64 v89, null, 0, v52, vcc_lo
	v_add_co_u32 v90, vcc_lo, v53, v77
	s_wait_alu 0xfffd
	v_add_co_ci_u32_e64 v91, null, 0, v54, vcc_lo
	s_mov_b32 s43, s47
                                        ; implicit-def: $vgpr6_vgpr7
                                        ; implicit-def: $vgpr8_vgpr9
                                        ; implicit-def: $vgpr10_vgpr11
                                        ; implicit-def: $vgpr12_vgpr13
                                        ; implicit-def: $vgpr14_vgpr15
                                        ; implicit-def: $vgpr16_vgpr17
                                        ; implicit-def: $vgpr18_vgpr19
                                        ; implicit-def: $vgpr93
                                        ; implicit-def: $vgpr94
                                        ; implicit-def: $vgpr95
                                        ; implicit-def: $vgpr96
                                        ; implicit-def: $vgpr97
                                        ; implicit-def: $vgpr98
                                        ; implicit-def: $vgpr99
                                        ; implicit-def: $vgpr100
	s_wait_kmcnt 0x0
	s_cmp_lt_u32 ttmp7, s13
	s_cselect_b32 s30, 14, 20
	s_cmp_lt_u32 ttmp9, s12
	s_wait_alu 0xfffe
	s_add_nc_u64 s[14:15], s[28:29], s[30:31]
	s_cselect_b32 s30, 12, 18
	s_load_u16 s14, s[14:15], 0x0
	s_add_nc_u64 s[12:13], s[28:29], s[30:31]
	s_mov_b32 s30, s33
	s_load_u16 s12, s[12:13], 0x0
	v_cmp_lt_u32_e64 s13, 1, v67
	s_wait_dscnt 0x0
	s_wait_kmcnt 0x0
	v_mad_u32_u24 v2, v45, s14, v0
	v_cmp_lt_u32_e64 s14, 3, v67
	s_delay_alu instid0(VALU_DEP_2) | instskip(SKIP_1) | instid1(VALU_DEP_2)
	v_mad_co_u64_u32 v[4:5], null, v2, s12, v[1:2]
	v_cmp_eq_u32_e64 s12, 0, v67
	v_lshrrev_b32_e32 v2, 3, v4
                                        ; implicit-def: $vgpr4_vgpr5
	s_delay_alu instid0(VALU_DEP_1)
	v_and_b32_e32 v92, 0x1ffffffc, v2
	s_branch .LBB2084_236
.LBB2084_235:                           ;   in Loop: Header=BB2084_236 Depth=2
	s_wait_alu 0xfffe
	s_or_b32 exec_lo, exec_lo, s15
	s_addk_co_i32 s43, 0xf800
	s_cmp_lt_u32 s44, s34
	s_mov_b32 s30, s44
	s_cbranch_scc0 .LBB2084_348
.LBB2084_236:                           ;   Parent Loop BB2084_20 Depth=1
                                        ; =>  This Inner Loop Header: Depth=2
	s_wait_alu 0xfffe
	s_add_co_i32 s44, s30, 0x800
	s_wait_alu 0xfffe
	s_cmp_gt_u32 s44, s34
	s_cbranch_scc1 .LBB2084_238
; %bb.237:                              ;   in Loop: Header=BB2084_236 Depth=2
	s_lshl_b64 s[16:17], s[30:31], 1
	s_mov_b32 s15, -1
	s_wait_alu 0xfffe
	v_add_co_u32 v20, vcc_lo, v90, s16
	s_wait_alu 0xfffd
	v_add_co_ci_u32_e64 v21, null, s17, v91, vcc_lo
	s_clause 0x6
	global_load_u16 v2, v[20:21], off
	global_load_u16 v27, v[20:21], off offset:64
	global_load_u16 v26, v[20:21], off offset:128
	global_load_u16 v25, v[20:21], off offset:192
	global_load_u16 v24, v[20:21], off offset:256
	global_load_u16 v23, v[20:21], off offset:320
	global_load_u16 v22, v[20:21], off offset:384
	s_movk_i32 s16, 0x800
	s_cbranch_execz .LBB2084_239
	s_branch .LBB2084_254
.LBB2084_238:                           ;   in Loop: Header=BB2084_236 Depth=2
	s_mov_b32 s15, 0
                                        ; implicit-def: $vgpr2
                                        ; implicit-def: $vgpr27
                                        ; implicit-def: $vgpr26
                                        ; implicit-def: $vgpr25
                                        ; implicit-def: $vgpr24
                                        ; implicit-def: $vgpr23
                                        ; implicit-def: $vgpr22
	s_movk_i32 s16, 0x800
.LBB2084_239:                           ;   in Loop: Header=BB2084_236 Depth=2
	s_lshl_b64 s[16:17], s[30:31], 1
	s_wait_loadcnt 0x5
	v_dual_mov_b32 v27, 0x7fff :: v_dual_mov_b32 v2, 0x7fff
	s_wait_alu 0xfffe
	v_add_co_u32 v20, vcc_lo, v90, s16
	s_wait_alu 0xfffd
	v_add_co_ci_u32_e64 v21, null, s17, v91, vcc_lo
	s_mov_b32 s15, exec_lo
	v_cmpx_gt_u32_e64 s43, v66
	s_cbranch_execz .LBB2084_241
; %bb.240:                              ;   in Loop: Header=BB2084_236 Depth=2
	global_load_u16 v2, v[20:21], off
.LBB2084_241:                           ;   in Loop: Header=BB2084_236 Depth=2
	s_wait_alu 0xfffe
	s_or_b32 exec_lo, exec_lo, s15
	s_delay_alu instid0(SALU_CYCLE_1)
	s_mov_b32 s15, exec_lo
	v_cmpx_gt_u32_e64 s43, v70
	s_cbranch_execz .LBB2084_243
; %bb.242:                              ;   in Loop: Header=BB2084_236 Depth=2
	global_load_u16 v27, v[20:21], off offset:64
.LBB2084_243:                           ;   in Loop: Header=BB2084_236 Depth=2
	s_wait_alu 0xfffe
	s_or_b32 exec_lo, exec_lo, s15
	s_wait_loadcnt 0x3
	v_dual_mov_b32 v25, 0x7fff :: v_dual_mov_b32 v26, 0x7fff
	s_mov_b32 s15, exec_lo
	v_cmpx_gt_u32_e64 s43, v71
	s_cbranch_execz .LBB2084_245
; %bb.244:                              ;   in Loop: Header=BB2084_236 Depth=2
	global_load_u16 v26, v[20:21], off offset:128
.LBB2084_245:                           ;   in Loop: Header=BB2084_236 Depth=2
	s_wait_alu 0xfffe
	s_or_b32 exec_lo, exec_lo, s15
	s_delay_alu instid0(SALU_CYCLE_1)
	s_mov_b32 s15, exec_lo
	v_cmpx_gt_u32_e64 s43, v72
	s_cbranch_execz .LBB2084_247
; %bb.246:                              ;   in Loop: Header=BB2084_236 Depth=2
	global_load_u16 v25, v[20:21], off offset:192
.LBB2084_247:                           ;   in Loop: Header=BB2084_236 Depth=2
	s_wait_alu 0xfffe
	s_or_b32 exec_lo, exec_lo, s15
	s_wait_loadcnt 0x1
	v_dual_mov_b32 v23, 0x7fff :: v_dual_mov_b32 v24, 0x7fff
	s_mov_b32 s15, exec_lo
	v_cmpx_gt_u32_e64 s43, v73
	s_cbranch_execz .LBB2084_249
; %bb.248:                              ;   in Loop: Header=BB2084_236 Depth=2
	global_load_u16 v24, v[20:21], off offset:256
.LBB2084_249:                           ;   in Loop: Header=BB2084_236 Depth=2
	s_wait_alu 0xfffe
	s_or_b32 exec_lo, exec_lo, s15
	s_delay_alu instid0(SALU_CYCLE_1)
	s_mov_b32 s15, exec_lo
	v_cmpx_gt_u32_e64 s43, v74
	s_cbranch_execz .LBB2084_251
; %bb.250:                              ;   in Loop: Header=BB2084_236 Depth=2
	global_load_u16 v23, v[20:21], off offset:320
.LBB2084_251:                           ;   in Loop: Header=BB2084_236 Depth=2
	s_wait_alu 0xfffe
	s_or_b32 exec_lo, exec_lo, s15
	s_wait_loadcnt 0x0
	v_mov_b32_e32 v22, 0x7fff
	s_mov_b32 s15, exec_lo
	v_cmpx_gt_u32_e64 s43, v75
	s_cbranch_execz .LBB2084_253
; %bb.252:                              ;   in Loop: Header=BB2084_236 Depth=2
	global_load_u16 v22, v[20:21], off offset:384
.LBB2084_253:                           ;   in Loop: Header=BB2084_236 Depth=2
	s_wait_alu 0xfffe
	s_or_b32 exec_lo, exec_lo, s15
	v_cmp_gt_u32_e64 s15, s43, v76
	s_sub_co_i32 s16, s34, s30
.LBB2084_254:                           ;   in Loop: Header=BB2084_236 Depth=2
	v_dual_mov_b32 v20, 0x7fff :: v_dual_mov_b32 v101, s43
	s_and_saveexec_b32 s17, s15
	s_cbranch_execz .LBB2084_256
; %bb.255:                              ;   in Loop: Header=BB2084_236 Depth=2
	s_lshl_b64 s[18:19], s[30:31], 1
	s_wait_alu 0xfffe
	v_mov_b32_e32 v101, s16
	v_add_co_u32 v20, vcc_lo, v90, s18
	s_wait_alu 0xfffd
	v_add_co_ci_u32_e64 v21, null, s19, v91, vcc_lo
	global_load_u16 v20, v[20:21], off offset:448
.LBB2084_256:                           ;   in Loop: Header=BB2084_236 Depth=2
	s_wait_alu 0xfffe
	s_or_b32 exec_lo, exec_lo, s17
	s_wait_loadcnt 0x6
	v_cmp_lt_i16_e32 vcc_lo, -1, v2
	ds_store_2addr_b32 v81, v3, v3 offset1:1
	ds_store_2addr_b32 v78, v3, v3 offset1:1
	;; [unrolled: 1-line block ×4, first 2 shown]
	ds_store_b32 v43, v3 offset:1088
	s_wait_loadcnt_dscnt 0x0
	s_barrier_signal -1
	s_wait_alu 0xfffd
	v_cndmask_b32_e64 v21, -1, 0xffff8000, vcc_lo
	s_barrier_wait -1
	global_inv scope:SCOPE_SE
	; wave barrier
	v_xor_b32_e32 v2, v21, v2
	s_delay_alu instid0(VALU_DEP_1) | instskip(SKIP_2) | instid1(VALU_DEP_1)
	v_cmp_ne_u16_e32 vcc_lo, 0x7fff, v2
	s_wait_alu 0xfffd
	v_cndmask_b32_e32 v21, 0xffff8000, v2, vcc_lo
	v_and_b32_e32 v21, 0xffff, v21
	s_delay_alu instid0(VALU_DEP_1) | instskip(NEXT) | instid1(VALU_DEP_1)
	v_lshrrev_b32_e32 v21, s23, v21
	v_and_b32_e32 v103, s42, v21
	s_delay_alu instid0(VALU_DEP_1)
	v_and_b32_e32 v21, 1, v103
	v_lshlrev_b32_e32 v102, 30, v103
	v_lshlrev_b32_e32 v104, 29, v103
	;; [unrolled: 1-line block ×4, first 2 shown]
	v_add_co_u32 v21, s15, v21, -1
	s_wait_alu 0xf1ff
	v_cndmask_b32_e64 v106, 0, 1, s15
	v_not_b32_e32 v110, v102
	v_cmp_gt_i32_e64 s15, 0, v102
	v_not_b32_e32 v102, v104
	v_lshlrev_b32_e32 v108, 26, v103
	v_cmp_ne_u32_e32 vcc_lo, 0, v106
	v_ashrrev_i32_e32 v110, 31, v110
	v_lshlrev_b32_e32 v109, 25, v103
	v_ashrrev_i32_e32 v102, 31, v102
	v_lshlrev_b32_e32 v106, 24, v103
	s_wait_alu 0xfffd
	v_xor_b32_e32 v21, vcc_lo, v21
	v_cmp_gt_i32_e32 vcc_lo, 0, v104
	v_not_b32_e32 v104, v105
	s_wait_alu 0xf1ff
	v_xor_b32_e32 v110, s15, v110
	v_cmp_gt_i32_e64 s15, 0, v105
	v_and_b32_e32 v21, exec_lo, v21
	v_not_b32_e32 v105, v107
	v_ashrrev_i32_e32 v104, 31, v104
	s_wait_alu 0xfffd
	v_xor_b32_e32 v102, vcc_lo, v102
	v_cmp_gt_i32_e32 vcc_lo, 0, v107
	v_and_b32_e32 v21, v21, v110
	v_not_b32_e32 v107, v108
	v_ashrrev_i32_e32 v105, 31, v105
	s_wait_alu 0xf1ff
	v_xor_b32_e32 v104, s15, v104
	v_cmp_gt_i32_e64 s15, 0, v108
	v_and_b32_e32 v21, v21, v102
	v_not_b32_e32 v102, v109
	v_ashrrev_i32_e32 v107, 31, v107
	s_wait_alu 0xfffd
	v_xor_b32_e32 v105, vcc_lo, v105
	v_cmp_gt_i32_e32 vcc_lo, 0, v109
	v_and_b32_e32 v21, v21, v104
	v_not_b32_e32 v104, v106
	v_ashrrev_i32_e32 v102, 31, v102
	s_wait_alu 0xf1ff
	v_xor_b32_e32 v107, s15, v107
	v_cmp_gt_i32_e64 s15, 0, v106
	v_and_b32_e32 v21, v21, v105
	v_ashrrev_i32_e32 v104, 31, v104
	s_wait_alu 0xfffd
	v_xor_b32_e32 v102, vcc_lo, v102
	v_mul_u32_u24_e32 v103, 36, v103
	v_and_b32_e32 v21, v21, v107
	s_wait_alu 0xf1ff
	v_xor_b32_e32 v104, s15, v104
	s_delay_alu instid0(VALU_DEP_2) | instskip(NEXT) | instid1(VALU_DEP_1)
	v_and_b32_e32 v21, v21, v102
	v_and_b32_e32 v21, v21, v104
	v_add_nc_u32_e32 v104, v92, v103
	s_delay_alu instid0(VALU_DEP_2) | instskip(SKIP_1) | instid1(VALU_DEP_2)
	v_mbcnt_lo_u32_b32 v102, v21, 0
	v_cmp_ne_u32_e64 s15, 0, v21
	v_cmp_eq_u32_e32 vcc_lo, 0, v102
	s_and_b32 s16, s15, vcc_lo
	s_wait_alu 0xfffe
	s_and_saveexec_b32 s15, s16
; %bb.257:                              ;   in Loop: Header=BB2084_236 Depth=2
	v_bcnt_u32_b32 v21, v21, 0
	ds_store_b32 v104, v21 offset:1056
; %bb.258:                              ;   in Loop: Header=BB2084_236 Depth=2
	s_wait_alu 0xfffe
	s_or_b32 exec_lo, exec_lo, s15
	v_cmp_lt_i16_e32 vcc_lo, -1, v27
	; wave barrier
	s_wait_alu 0xfffd
	v_cndmask_b32_e64 v21, -1, 0xffff8000, vcc_lo
	s_delay_alu instid0(VALU_DEP_1) | instskip(NEXT) | instid1(VALU_DEP_1)
	v_xor_b32_e32 v103, v21, v27
	v_cmp_ne_u16_e32 vcc_lo, 0x7fff, v103
	s_wait_alu 0xfffd
	v_cndmask_b32_e32 v21, 0xffff8000, v103, vcc_lo
	s_delay_alu instid0(VALU_DEP_1) | instskip(NEXT) | instid1(VALU_DEP_1)
	v_and_b32_e32 v21, 0xffff, v21
	v_lshrrev_b32_e32 v21, s23, v21
	s_delay_alu instid0(VALU_DEP_1) | instskip(NEXT) | instid1(VALU_DEP_1)
	v_and_b32_e32 v27, s42, v21
	v_and_b32_e32 v21, 1, v27
	v_lshlrev_b32_e32 v105, 30, v27
	v_lshlrev_b32_e32 v106, 29, v27
	;; [unrolled: 1-line block ×4, first 2 shown]
	v_add_co_u32 v21, s15, v21, -1
	s_wait_alu 0xf1ff
	v_cndmask_b32_e64 v108, 0, 1, s15
	v_not_b32_e32 v112, v105
	v_cmp_gt_i32_e64 s15, 0, v105
	v_not_b32_e32 v105, v106
	v_lshlrev_b32_e32 v110, 26, v27
	v_cmp_ne_u32_e32 vcc_lo, 0, v108
	v_ashrrev_i32_e32 v112, 31, v112
	v_lshlrev_b32_e32 v111, 25, v27
	v_ashrrev_i32_e32 v105, 31, v105
	v_lshlrev_b32_e32 v108, 24, v27
	s_wait_alu 0xfffd
	v_xor_b32_e32 v21, vcc_lo, v21
	v_cmp_gt_i32_e32 vcc_lo, 0, v106
	v_not_b32_e32 v106, v107
	s_wait_alu 0xf1ff
	v_xor_b32_e32 v112, s15, v112
	v_cmp_gt_i32_e64 s15, 0, v107
	v_and_b32_e32 v21, exec_lo, v21
	v_not_b32_e32 v107, v109
	v_ashrrev_i32_e32 v106, 31, v106
	s_wait_alu 0xfffd
	v_xor_b32_e32 v105, vcc_lo, v105
	v_cmp_gt_i32_e32 vcc_lo, 0, v109
	v_and_b32_e32 v21, v21, v112
	v_not_b32_e32 v109, v110
	v_ashrrev_i32_e32 v107, 31, v107
	s_wait_alu 0xf1ff
	v_xor_b32_e32 v106, s15, v106
	v_cmp_gt_i32_e64 s15, 0, v110
	v_and_b32_e32 v21, v21, v105
	v_not_b32_e32 v105, v111
	v_ashrrev_i32_e32 v109, 31, v109
	s_wait_alu 0xfffd
	v_xor_b32_e32 v107, vcc_lo, v107
	v_cmp_gt_i32_e32 vcc_lo, 0, v111
	v_and_b32_e32 v21, v21, v106
	v_not_b32_e32 v106, v108
	v_ashrrev_i32_e32 v105, 31, v105
	s_wait_alu 0xf1ff
	v_xor_b32_e32 v109, s15, v109
	v_cmp_gt_i32_e64 s15, 0, v108
	v_and_b32_e32 v21, v21, v107
	v_ashrrev_i32_e32 v106, 31, v106
	s_wait_alu 0xfffd
	v_xor_b32_e32 v105, vcc_lo, v105
	v_mad_u32_u24 v107, v27, 36, v92
	v_mul_u32_u24_e32 v27, 36, v27
	v_and_b32_e32 v21, v21, v109
	s_wait_alu 0xf1ff
	v_xor_b32_e32 v106, s15, v106
	s_delay_alu instid0(VALU_DEP_3) | instskip(NEXT) | instid1(VALU_DEP_3)
	v_add_nc_u32_e32 v108, v92, v27
	v_and_b32_e32 v21, v21, v105
	ds_load_b32 v105, v107 offset:1056
	; wave barrier
	v_and_b32_e32 v21, v21, v106
	s_delay_alu instid0(VALU_DEP_1) | instskip(SKIP_1) | instid1(VALU_DEP_2)
	v_mbcnt_lo_u32_b32 v106, v21, 0
	v_cmp_ne_u32_e64 s15, 0, v21
	v_cmp_eq_u32_e32 vcc_lo, 0, v106
	s_and_b32 s16, s15, vcc_lo
	s_wait_alu 0xfffe
	s_and_saveexec_b32 s15, s16
	s_cbranch_execz .LBB2084_260
; %bb.259:                              ;   in Loop: Header=BB2084_236 Depth=2
	s_wait_dscnt 0x0
	v_bcnt_u32_b32 v21, v21, v105
	ds_store_b32 v108, v21 offset:1056
.LBB2084_260:                           ;   in Loop: Header=BB2084_236 Depth=2
	s_wait_alu 0xfffe
	s_or_b32 exec_lo, exec_lo, s15
	v_cmp_lt_i16_e32 vcc_lo, -1, v26
	; wave barrier
	s_wait_alu 0xfffd
	v_cndmask_b32_e64 v21, -1, 0xffff8000, vcc_lo
	s_delay_alu instid0(VALU_DEP_1) | instskip(NEXT) | instid1(VALU_DEP_1)
	v_xor_b32_e32 v107, v21, v26
	v_cmp_ne_u16_e32 vcc_lo, 0x7fff, v107
	s_wait_alu 0xfffd
	v_cndmask_b32_e32 v21, 0xffff8000, v107, vcc_lo
	s_delay_alu instid0(VALU_DEP_1) | instskip(NEXT) | instid1(VALU_DEP_1)
	v_and_b32_e32 v21, 0xffff, v21
	v_lshrrev_b32_e32 v21, s23, v21
	s_delay_alu instid0(VALU_DEP_1) | instskip(NEXT) | instid1(VALU_DEP_1)
	v_and_b32_e32 v26, s42, v21
	v_and_b32_e32 v21, 1, v26
	v_lshlrev_b32_e32 v27, 30, v26
	v_lshlrev_b32_e32 v109, 29, v26
	;; [unrolled: 1-line block ×4, first 2 shown]
	v_add_co_u32 v21, s15, v21, -1
	s_wait_alu 0xf1ff
	v_cndmask_b32_e64 v111, 0, 1, s15
	v_not_b32_e32 v115, v27
	v_cmp_gt_i32_e64 s15, 0, v27
	v_not_b32_e32 v27, v109
	v_lshlrev_b32_e32 v113, 26, v26
	v_cmp_ne_u32_e32 vcc_lo, 0, v111
	v_ashrrev_i32_e32 v115, 31, v115
	v_lshlrev_b32_e32 v114, 25, v26
	v_ashrrev_i32_e32 v27, 31, v27
	v_lshlrev_b32_e32 v111, 24, v26
	s_wait_alu 0xfffd
	v_xor_b32_e32 v21, vcc_lo, v21
	v_cmp_gt_i32_e32 vcc_lo, 0, v109
	v_not_b32_e32 v109, v110
	s_wait_alu 0xf1ff
	v_xor_b32_e32 v115, s15, v115
	v_cmp_gt_i32_e64 s15, 0, v110
	v_and_b32_e32 v21, exec_lo, v21
	v_not_b32_e32 v110, v112
	v_ashrrev_i32_e32 v109, 31, v109
	s_wait_alu 0xfffd
	v_xor_b32_e32 v27, vcc_lo, v27
	v_cmp_gt_i32_e32 vcc_lo, 0, v112
	v_and_b32_e32 v21, v21, v115
	v_not_b32_e32 v112, v113
	v_ashrrev_i32_e32 v110, 31, v110
	s_wait_alu 0xf1ff
	v_xor_b32_e32 v109, s15, v109
	v_cmp_gt_i32_e64 s15, 0, v113
	v_and_b32_e32 v21, v21, v27
	v_not_b32_e32 v27, v114
	v_ashrrev_i32_e32 v112, 31, v112
	s_wait_alu 0xfffd
	v_xor_b32_e32 v110, vcc_lo, v110
	v_cmp_gt_i32_e32 vcc_lo, 0, v114
	v_and_b32_e32 v21, v21, v109
	v_not_b32_e32 v109, v111
	v_ashrrev_i32_e32 v27, 31, v27
	s_wait_alu 0xf1ff
	v_xor_b32_e32 v112, s15, v112
	v_cmp_gt_i32_e64 s15, 0, v111
	v_and_b32_e32 v21, v21, v110
	v_ashrrev_i32_e32 v109, 31, v109
	s_wait_alu 0xfffd
	v_xor_b32_e32 v27, vcc_lo, v27
	v_mad_u32_u24 v110, v26, 36, v92
	v_mul_u32_u24_e32 v26, 36, v26
	v_and_b32_e32 v21, v21, v112
	s_wait_alu 0xf1ff
	v_xor_b32_e32 v111, s15, v109
	ds_load_b32 v109, v110 offset:1056
	v_add_nc_u32_e32 v112, v92, v26
	v_and_b32_e32 v21, v21, v27
	; wave barrier
	s_delay_alu instid0(VALU_DEP_1) | instskip(NEXT) | instid1(VALU_DEP_1)
	v_and_b32_e32 v21, v21, v111
	v_mbcnt_lo_u32_b32 v111, v21, 0
	v_cmp_ne_u32_e64 s15, 0, v21
	s_delay_alu instid0(VALU_DEP_2)
	v_cmp_eq_u32_e32 vcc_lo, 0, v111
	s_and_b32 s16, s15, vcc_lo
	s_wait_alu 0xfffe
	s_and_saveexec_b32 s15, s16
	s_cbranch_execz .LBB2084_262
; %bb.261:                              ;   in Loop: Header=BB2084_236 Depth=2
	s_wait_dscnt 0x0
	v_bcnt_u32_b32 v21, v21, v109
	ds_store_b32 v112, v21 offset:1056
.LBB2084_262:                           ;   in Loop: Header=BB2084_236 Depth=2
	s_wait_alu 0xfffe
	s_or_b32 exec_lo, exec_lo, s15
	v_cmp_lt_i16_e32 vcc_lo, -1, v25
	; wave barrier
	s_wait_alu 0xfffd
	v_cndmask_b32_e64 v21, -1, 0xffff8000, vcc_lo
	s_delay_alu instid0(VALU_DEP_1) | instskip(NEXT) | instid1(VALU_DEP_1)
	v_xor_b32_e32 v110, v21, v25
	v_cmp_ne_u16_e32 vcc_lo, 0x7fff, v110
	s_wait_alu 0xfffd
	v_cndmask_b32_e32 v21, 0xffff8000, v110, vcc_lo
	s_delay_alu instid0(VALU_DEP_1) | instskip(NEXT) | instid1(VALU_DEP_1)
	v_and_b32_e32 v21, 0xffff, v21
	v_lshrrev_b32_e32 v21, s23, v21
	s_delay_alu instid0(VALU_DEP_1) | instskip(NEXT) | instid1(VALU_DEP_1)
	v_and_b32_e32 v25, s42, v21
	v_and_b32_e32 v21, 1, v25
	v_lshlrev_b32_e32 v26, 30, v25
	v_lshlrev_b32_e32 v27, 29, v25
	;; [unrolled: 1-line block ×4, first 2 shown]
	v_add_co_u32 v21, s15, v21, -1
	s_wait_alu 0xf1ff
	v_cndmask_b32_e64 v114, 0, 1, s15
	v_not_b32_e32 v118, v26
	v_cmp_gt_i32_e64 s15, 0, v26
	v_not_b32_e32 v26, v27
	v_lshlrev_b32_e32 v116, 26, v25
	v_cmp_ne_u32_e32 vcc_lo, 0, v114
	v_ashrrev_i32_e32 v118, 31, v118
	v_lshlrev_b32_e32 v117, 25, v25
	v_ashrrev_i32_e32 v26, 31, v26
	v_lshlrev_b32_e32 v114, 24, v25
	s_wait_alu 0xfffd
	v_xor_b32_e32 v21, vcc_lo, v21
	v_cmp_gt_i32_e32 vcc_lo, 0, v27
	v_not_b32_e32 v27, v113
	s_wait_alu 0xf1ff
	v_xor_b32_e32 v118, s15, v118
	v_cmp_gt_i32_e64 s15, 0, v113
	v_and_b32_e32 v21, exec_lo, v21
	v_not_b32_e32 v113, v115
	v_ashrrev_i32_e32 v27, 31, v27
	s_wait_alu 0xfffd
	v_xor_b32_e32 v26, vcc_lo, v26
	v_cmp_gt_i32_e32 vcc_lo, 0, v115
	v_and_b32_e32 v21, v21, v118
	v_not_b32_e32 v115, v116
	v_ashrrev_i32_e32 v113, 31, v113
	s_wait_alu 0xf1ff
	v_xor_b32_e32 v27, s15, v27
	v_cmp_gt_i32_e64 s15, 0, v116
	v_and_b32_e32 v21, v21, v26
	v_not_b32_e32 v26, v117
	v_ashrrev_i32_e32 v115, 31, v115
	s_wait_alu 0xfffd
	v_xor_b32_e32 v113, vcc_lo, v113
	v_cmp_gt_i32_e32 vcc_lo, 0, v117
	v_and_b32_e32 v21, v21, v27
	v_not_b32_e32 v27, v114
	v_ashrrev_i32_e32 v26, 31, v26
	s_wait_alu 0xf1ff
	v_xor_b32_e32 v115, s15, v115
	v_cmp_gt_i32_e64 s15, 0, v114
	v_and_b32_e32 v21, v21, v113
	v_ashrrev_i32_e32 v27, 31, v27
	s_wait_alu 0xfffd
	v_xor_b32_e32 v26, vcc_lo, v26
	v_mad_u32_u24 v113, v25, 36, v92
	v_mul_u32_u24_e32 v25, 36, v25
	v_and_b32_e32 v21, v21, v115
	s_wait_alu 0xf1ff
	v_xor_b32_e32 v27, s15, v27
	ds_load_b32 v113, v113 offset:1056
	v_add_nc_u32_e32 v116, v92, v25
	v_and_b32_e32 v21, v21, v26
	; wave barrier
	s_delay_alu instid0(VALU_DEP_1) | instskip(NEXT) | instid1(VALU_DEP_1)
	v_and_b32_e32 v21, v21, v27
	v_mbcnt_lo_u32_b32 v115, v21, 0
	v_cmp_ne_u32_e64 s15, 0, v21
	s_delay_alu instid0(VALU_DEP_2)
	v_cmp_eq_u32_e32 vcc_lo, 0, v115
	s_and_b32 s16, s15, vcc_lo
	s_wait_alu 0xfffe
	s_and_saveexec_b32 s15, s16
	s_cbranch_execz .LBB2084_264
; %bb.263:                              ;   in Loop: Header=BB2084_236 Depth=2
	s_wait_dscnt 0x0
	v_bcnt_u32_b32 v21, v21, v113
	ds_store_b32 v116, v21 offset:1056
.LBB2084_264:                           ;   in Loop: Header=BB2084_236 Depth=2
	s_wait_alu 0xfffe
	s_or_b32 exec_lo, exec_lo, s15
	v_cmp_lt_i16_e32 vcc_lo, -1, v24
	; wave barrier
	s_wait_alu 0xfffd
	v_cndmask_b32_e64 v21, -1, 0xffff8000, vcc_lo
	s_delay_alu instid0(VALU_DEP_1) | instskip(NEXT) | instid1(VALU_DEP_1)
	v_xor_b32_e32 v114, v21, v24
	v_cmp_ne_u16_e32 vcc_lo, 0x7fff, v114
	s_wait_alu 0xfffd
	v_cndmask_b32_e32 v21, 0xffff8000, v114, vcc_lo
	s_delay_alu instid0(VALU_DEP_1) | instskip(NEXT) | instid1(VALU_DEP_1)
	v_and_b32_e32 v21, 0xffff, v21
	v_lshrrev_b32_e32 v21, s23, v21
	s_delay_alu instid0(VALU_DEP_1) | instskip(NEXT) | instid1(VALU_DEP_1)
	v_and_b32_e32 v24, s42, v21
	v_and_b32_e32 v21, 1, v24
	v_lshlrev_b32_e32 v25, 30, v24
	v_lshlrev_b32_e32 v26, 29, v24
	;; [unrolled: 1-line block ×4, first 2 shown]
	v_add_co_u32 v21, s15, v21, -1
	s_wait_alu 0xf1ff
	v_cndmask_b32_e64 v117, 0, 1, s15
	v_not_b32_e32 v121, v25
	v_cmp_gt_i32_e64 s15, 0, v25
	v_not_b32_e32 v25, v26
	v_lshlrev_b32_e32 v119, 26, v24
	v_cmp_ne_u32_e32 vcc_lo, 0, v117
	v_ashrrev_i32_e32 v121, 31, v121
	v_lshlrev_b32_e32 v120, 25, v24
	v_ashrrev_i32_e32 v25, 31, v25
	v_lshlrev_b32_e32 v117, 24, v24
	s_wait_alu 0xfffd
	v_xor_b32_e32 v21, vcc_lo, v21
	v_cmp_gt_i32_e32 vcc_lo, 0, v26
	v_not_b32_e32 v26, v27
	s_wait_alu 0xf1ff
	v_xor_b32_e32 v121, s15, v121
	v_cmp_gt_i32_e64 s15, 0, v27
	v_and_b32_e32 v21, exec_lo, v21
	v_not_b32_e32 v27, v118
	v_ashrrev_i32_e32 v26, 31, v26
	s_wait_alu 0xfffd
	v_xor_b32_e32 v25, vcc_lo, v25
	v_cmp_gt_i32_e32 vcc_lo, 0, v118
	v_and_b32_e32 v21, v21, v121
	v_not_b32_e32 v118, v119
	v_ashrrev_i32_e32 v27, 31, v27
	s_wait_alu 0xf1ff
	v_xor_b32_e32 v26, s15, v26
	v_cmp_gt_i32_e64 s15, 0, v119
	v_and_b32_e32 v21, v21, v25
	v_not_b32_e32 v25, v120
	v_ashrrev_i32_e32 v118, 31, v118
	s_wait_alu 0xfffd
	v_xor_b32_e32 v27, vcc_lo, v27
	v_cmp_gt_i32_e32 vcc_lo, 0, v120
	v_and_b32_e32 v21, v21, v26
	v_not_b32_e32 v26, v117
	v_ashrrev_i32_e32 v25, 31, v25
	s_wait_alu 0xf1ff
	v_xor_b32_e32 v118, s15, v118
	v_cmp_gt_i32_e64 s15, 0, v117
	v_and_b32_e32 v21, v21, v27
	v_ashrrev_i32_e32 v26, 31, v26
	s_wait_alu 0xfffd
	v_xor_b32_e32 v25, vcc_lo, v25
	v_mad_u32_u24 v27, v24, 36, v92
	v_mul_u32_u24_e32 v24, 36, v24
	v_and_b32_e32 v21, v21, v118
	s_wait_alu 0xf1ff
	v_xor_b32_e32 v26, s15, v26
	ds_load_b32 v117, v27 offset:1056
	v_add_nc_u32_e32 v120, v92, v24
	v_and_b32_e32 v21, v21, v25
	; wave barrier
	s_delay_alu instid0(VALU_DEP_1) | instskip(NEXT) | instid1(VALU_DEP_1)
	v_and_b32_e32 v21, v21, v26
	v_mbcnt_lo_u32_b32 v119, v21, 0
	v_cmp_ne_u32_e64 s15, 0, v21
	s_delay_alu instid0(VALU_DEP_2)
	v_cmp_eq_u32_e32 vcc_lo, 0, v119
	s_and_b32 s16, s15, vcc_lo
	s_wait_alu 0xfffe
	s_and_saveexec_b32 s15, s16
	s_cbranch_execz .LBB2084_266
; %bb.265:                              ;   in Loop: Header=BB2084_236 Depth=2
	s_wait_dscnt 0x0
	v_bcnt_u32_b32 v21, v21, v117
	ds_store_b32 v120, v21 offset:1056
.LBB2084_266:                           ;   in Loop: Header=BB2084_236 Depth=2
	s_wait_alu 0xfffe
	s_or_b32 exec_lo, exec_lo, s15
	v_cmp_lt_i16_e32 vcc_lo, -1, v23
	; wave barrier
	s_wait_alu 0xfffd
	v_cndmask_b32_e64 v21, -1, 0xffff8000, vcc_lo
	s_delay_alu instid0(VALU_DEP_1) | instskip(NEXT) | instid1(VALU_DEP_1)
	v_xor_b32_e32 v118, v21, v23
	v_cmp_ne_u16_e32 vcc_lo, 0x7fff, v118
	s_wait_alu 0xfffd
	v_cndmask_b32_e32 v21, 0xffff8000, v118, vcc_lo
	s_delay_alu instid0(VALU_DEP_1) | instskip(NEXT) | instid1(VALU_DEP_1)
	v_and_b32_e32 v21, 0xffff, v21
	v_lshrrev_b32_e32 v21, s23, v21
	s_delay_alu instid0(VALU_DEP_1) | instskip(NEXT) | instid1(VALU_DEP_1)
	v_and_b32_e32 v23, s42, v21
	v_and_b32_e32 v21, 1, v23
	v_lshlrev_b32_e32 v24, 30, v23
	v_lshlrev_b32_e32 v25, 29, v23
	;; [unrolled: 1-line block ×4, first 2 shown]
	v_add_co_u32 v21, s15, v21, -1
	s_wait_alu 0xf1ff
	v_cndmask_b32_e64 v27, 0, 1, s15
	v_not_b32_e32 v124, v24
	v_cmp_gt_i32_e64 s15, 0, v24
	v_not_b32_e32 v24, v25
	v_lshlrev_b32_e32 v122, 26, v23
	v_cmp_ne_u32_e32 vcc_lo, 0, v27
	v_ashrrev_i32_e32 v124, 31, v124
	v_lshlrev_b32_e32 v123, 25, v23
	v_ashrrev_i32_e32 v24, 31, v24
	v_lshlrev_b32_e32 v27, 24, v23
	s_wait_alu 0xfffd
	v_xor_b32_e32 v21, vcc_lo, v21
	v_cmp_gt_i32_e32 vcc_lo, 0, v25
	v_not_b32_e32 v25, v26
	s_wait_alu 0xf1ff
	v_xor_b32_e32 v124, s15, v124
	v_cmp_gt_i32_e64 s15, 0, v26
	v_and_b32_e32 v21, exec_lo, v21
	v_not_b32_e32 v26, v121
	v_ashrrev_i32_e32 v25, 31, v25
	s_wait_alu 0xfffd
	v_xor_b32_e32 v24, vcc_lo, v24
	v_cmp_gt_i32_e32 vcc_lo, 0, v121
	v_and_b32_e32 v21, v21, v124
	v_not_b32_e32 v121, v122
	v_ashrrev_i32_e32 v26, 31, v26
	s_wait_alu 0xf1ff
	v_xor_b32_e32 v25, s15, v25
	v_cmp_gt_i32_e64 s15, 0, v122
	v_and_b32_e32 v21, v21, v24
	v_not_b32_e32 v24, v123
	v_ashrrev_i32_e32 v121, 31, v121
	s_wait_alu 0xfffd
	v_xor_b32_e32 v26, vcc_lo, v26
	v_cmp_gt_i32_e32 vcc_lo, 0, v123
	v_and_b32_e32 v21, v21, v25
	v_not_b32_e32 v25, v27
	v_ashrrev_i32_e32 v24, 31, v24
	s_wait_alu 0xf1ff
	v_xor_b32_e32 v121, s15, v121
	v_cmp_gt_i32_e64 s15, 0, v27
	v_and_b32_e32 v21, v21, v26
	v_ashrrev_i32_e32 v25, 31, v25
	s_wait_alu 0xfffd
	v_xor_b32_e32 v24, vcc_lo, v24
	v_mad_u32_u24 v26, v23, 36, v92
	v_mul_u32_u24_e32 v23, 36, v23
	v_and_b32_e32 v21, v21, v121
	s_wait_alu 0xf1ff
	v_xor_b32_e32 v25, s15, v25
	ds_load_b32 v121, v26 offset:1056
	v_add_nc_u32_e32 v124, v92, v23
	v_and_b32_e32 v21, v21, v24
	; wave barrier
	s_delay_alu instid0(VALU_DEP_1) | instskip(NEXT) | instid1(VALU_DEP_1)
	v_and_b32_e32 v21, v21, v25
	v_mbcnt_lo_u32_b32 v123, v21, 0
	v_cmp_ne_u32_e64 s15, 0, v21
	s_delay_alu instid0(VALU_DEP_2)
	v_cmp_eq_u32_e32 vcc_lo, 0, v123
	s_and_b32 s16, s15, vcc_lo
	s_wait_alu 0xfffe
	s_and_saveexec_b32 s15, s16
	s_cbranch_execz .LBB2084_268
; %bb.267:                              ;   in Loop: Header=BB2084_236 Depth=2
	s_wait_dscnt 0x0
	v_bcnt_u32_b32 v21, v21, v121
	ds_store_b32 v124, v21 offset:1056
.LBB2084_268:                           ;   in Loop: Header=BB2084_236 Depth=2
	s_wait_alu 0xfffe
	s_or_b32 exec_lo, exec_lo, s15
	v_cmp_lt_i16_e32 vcc_lo, -1, v22
	; wave barrier
	s_wait_alu 0xfffd
	v_cndmask_b32_e64 v21, -1, 0xffff8000, vcc_lo
	s_delay_alu instid0(VALU_DEP_1) | instskip(NEXT) | instid1(VALU_DEP_1)
	v_xor_b32_e32 v122, v21, v22
	v_cmp_ne_u16_e32 vcc_lo, 0x7fff, v122
	s_wait_alu 0xfffd
	v_cndmask_b32_e32 v21, 0xffff8000, v122, vcc_lo
	s_delay_alu instid0(VALU_DEP_1) | instskip(NEXT) | instid1(VALU_DEP_1)
	v_and_b32_e32 v21, 0xffff, v21
	v_lshrrev_b32_e32 v21, s23, v21
	s_delay_alu instid0(VALU_DEP_1) | instskip(NEXT) | instid1(VALU_DEP_1)
	v_and_b32_e32 v22, s42, v21
	v_and_b32_e32 v21, 1, v22
	v_lshlrev_b32_e32 v23, 30, v22
	v_lshlrev_b32_e32 v24, 29, v22
	;; [unrolled: 1-line block ×4, first 2 shown]
	v_add_co_u32 v21, s15, v21, -1
	s_wait_alu 0xf1ff
	v_cndmask_b32_e64 v26, 0, 1, s15
	v_not_b32_e32 v127, v23
	v_cmp_gt_i32_e64 s15, 0, v23
	v_not_b32_e32 v23, v24
	v_lshlrev_b32_e32 v125, 26, v22
	v_cmp_ne_u32_e32 vcc_lo, 0, v26
	v_ashrrev_i32_e32 v127, 31, v127
	v_lshlrev_b32_e32 v126, 25, v22
	v_ashrrev_i32_e32 v23, 31, v23
	v_lshlrev_b32_e32 v26, 24, v22
	s_wait_alu 0xfffd
	v_xor_b32_e32 v21, vcc_lo, v21
	v_cmp_gt_i32_e32 vcc_lo, 0, v24
	v_not_b32_e32 v24, v25
	s_wait_alu 0xf1ff
	v_xor_b32_e32 v127, s15, v127
	v_cmp_gt_i32_e64 s15, 0, v25
	v_and_b32_e32 v21, exec_lo, v21
	v_not_b32_e32 v25, v27
	v_ashrrev_i32_e32 v24, 31, v24
	s_wait_alu 0xfffd
	v_xor_b32_e32 v23, vcc_lo, v23
	v_cmp_gt_i32_e32 vcc_lo, 0, v27
	v_and_b32_e32 v21, v21, v127
	v_not_b32_e32 v27, v125
	v_ashrrev_i32_e32 v25, 31, v25
	s_wait_alu 0xf1ff
	v_xor_b32_e32 v24, s15, v24
	v_cmp_gt_i32_e64 s15, 0, v125
	v_and_b32_e32 v21, v21, v23
	v_not_b32_e32 v23, v126
	v_ashrrev_i32_e32 v27, 31, v27
	s_wait_alu 0xfffd
	v_xor_b32_e32 v25, vcc_lo, v25
	v_cmp_gt_i32_e32 vcc_lo, 0, v126
	v_and_b32_e32 v21, v21, v24
	v_not_b32_e32 v24, v26
	v_ashrrev_i32_e32 v23, 31, v23
	s_wait_alu 0xf1ff
	v_xor_b32_e32 v27, s15, v27
	v_cmp_gt_i32_e64 s15, 0, v26
	v_and_b32_e32 v21, v21, v25
	v_ashrrev_i32_e32 v24, 31, v24
	s_wait_alu 0xfffd
	v_xor_b32_e32 v23, vcc_lo, v23
	v_mad_u32_u24 v25, v22, 36, v92
	v_mul_u32_u24_e32 v22, 36, v22
	v_and_b32_e32 v21, v21, v27
	s_wait_alu 0xf1ff
	v_xor_b32_e32 v24, s15, v24
	ds_load_b32 v125, v25 offset:1056
	v_add_nc_u32_e32 v128, v92, v22
	v_and_b32_e32 v21, v21, v23
	; wave barrier
	s_delay_alu instid0(VALU_DEP_1) | instskip(NEXT) | instid1(VALU_DEP_1)
	v_and_b32_e32 v21, v21, v24
	v_mbcnt_lo_u32_b32 v126, v21, 0
	v_cmp_ne_u32_e64 s15, 0, v21
	s_delay_alu instid0(VALU_DEP_2)
	v_cmp_eq_u32_e32 vcc_lo, 0, v126
	s_and_b32 s16, s15, vcc_lo
	s_wait_alu 0xfffe
	s_and_saveexec_b32 s15, s16
	s_cbranch_execz .LBB2084_270
; %bb.269:                              ;   in Loop: Header=BB2084_236 Depth=2
	s_wait_dscnt 0x0
	v_bcnt_u32_b32 v21, v21, v125
	ds_store_b32 v128, v21 offset:1056
.LBB2084_270:                           ;   in Loop: Header=BB2084_236 Depth=2
	s_wait_alu 0xfffe
	s_or_b32 exec_lo, exec_lo, s15
	v_cmp_lt_i16_e32 vcc_lo, -1, v20
	; wave barrier
	s_wait_alu 0xfffd
	v_cndmask_b32_e64 v21, -1, 0xffff8000, vcc_lo
	s_delay_alu instid0(VALU_DEP_1) | instskip(NEXT) | instid1(VALU_DEP_1)
	v_xor_b32_e32 v127, v21, v20
	v_cmp_ne_u16_e32 vcc_lo, 0x7fff, v127
	s_wait_alu 0xfffd
	v_cndmask_b32_e32 v20, 0xffff8000, v127, vcc_lo
	s_delay_alu instid0(VALU_DEP_1) | instskip(NEXT) | instid1(VALU_DEP_1)
	v_and_b32_e32 v20, 0xffff, v20
	v_lshrrev_b32_e32 v20, s23, v20
	s_delay_alu instid0(VALU_DEP_1) | instskip(NEXT) | instid1(VALU_DEP_1)
	v_and_b32_e32 v21, s42, v20
	v_and_b32_e32 v20, 1, v21
	v_lshlrev_b32_e32 v22, 30, v21
	v_lshlrev_b32_e32 v23, 29, v21
	;; [unrolled: 1-line block ×4, first 2 shown]
	v_add_co_u32 v20, s15, v20, -1
	s_wait_alu 0xf1ff
	v_cndmask_b32_e64 v25, 0, 1, s15
	v_not_b32_e32 v130, v22
	v_cmp_gt_i32_e64 s15, 0, v22
	v_not_b32_e32 v22, v23
	v_lshlrev_b32_e32 v27, 26, v21
	v_cmp_ne_u32_e32 vcc_lo, 0, v25
	v_ashrrev_i32_e32 v130, 31, v130
	v_lshlrev_b32_e32 v129, 25, v21
	v_ashrrev_i32_e32 v22, 31, v22
	v_lshlrev_b32_e32 v25, 24, v21
	s_wait_alu 0xfffd
	v_xor_b32_e32 v20, vcc_lo, v20
	v_cmp_gt_i32_e32 vcc_lo, 0, v23
	v_not_b32_e32 v23, v24
	s_wait_alu 0xf1ff
	v_xor_b32_e32 v130, s15, v130
	v_cmp_gt_i32_e64 s15, 0, v24
	v_and_b32_e32 v20, exec_lo, v20
	v_not_b32_e32 v24, v26
	v_ashrrev_i32_e32 v23, 31, v23
	s_wait_alu 0xfffd
	v_xor_b32_e32 v22, vcc_lo, v22
	v_cmp_gt_i32_e32 vcc_lo, 0, v26
	v_and_b32_e32 v20, v20, v130
	v_not_b32_e32 v26, v27
	v_ashrrev_i32_e32 v24, 31, v24
	s_wait_alu 0xf1ff
	v_xor_b32_e32 v23, s15, v23
	v_cmp_gt_i32_e64 s15, 0, v27
	v_and_b32_e32 v20, v20, v22
	v_not_b32_e32 v22, v129
	v_ashrrev_i32_e32 v26, 31, v26
	s_wait_alu 0xfffd
	v_xor_b32_e32 v24, vcc_lo, v24
	v_cmp_gt_i32_e32 vcc_lo, 0, v129
	v_and_b32_e32 v20, v20, v23
	v_not_b32_e32 v23, v25
	v_ashrrev_i32_e32 v22, 31, v22
	s_wait_alu 0xf1ff
	v_xor_b32_e32 v26, s15, v26
	v_cmp_gt_i32_e64 s15, 0, v25
	v_and_b32_e32 v20, v20, v24
	v_ashrrev_i32_e32 v23, 31, v23
	s_wait_alu 0xfffd
	v_xor_b32_e32 v22, vcc_lo, v22
	v_mad_u32_u24 v24, v21, 36, v92
	v_mul_u32_u24_e32 v21, 36, v21
	v_and_b32_e32 v20, v20, v26
	s_wait_alu 0xf1ff
	v_xor_b32_e32 v23, s15, v23
	ds_load_b32 v129, v24 offset:1056
	v_add_nc_u32_e32 v131, v92, v21
	v_and_b32_e32 v20, v20, v22
	; wave barrier
	s_delay_alu instid0(VALU_DEP_1) | instskip(NEXT) | instid1(VALU_DEP_1)
	v_and_b32_e32 v20, v20, v23
	v_mbcnt_lo_u32_b32 v130, v20, 0
	v_cmp_ne_u32_e64 s15, 0, v20
	s_delay_alu instid0(VALU_DEP_2)
	v_cmp_eq_u32_e32 vcc_lo, 0, v130
	s_and_b32 s16, s15, vcc_lo
	s_wait_alu 0xfffe
	s_and_saveexec_b32 s15, s16
	s_cbranch_execz .LBB2084_272
; %bb.271:                              ;   in Loop: Header=BB2084_236 Depth=2
	s_wait_dscnt 0x0
	v_bcnt_u32_b32 v20, v20, v129
	ds_store_b32 v131, v20 offset:1056
.LBB2084_272:                           ;   in Loop: Header=BB2084_236 Depth=2
	s_wait_alu 0xfffe
	s_or_b32 exec_lo, exec_lo, s15
	; wave barrier
	s_wait_loadcnt_dscnt 0x0
	s_barrier_signal -1
	s_barrier_wait -1
	global_inv scope:SCOPE_SE
	ds_load_2addr_b32 v[26:27], v78 offset1:1
	ds_load_2addr_b32 v[24:25], v79 offset1:1
	;; [unrolled: 1-line block ×4, first 2 shown]
	ds_load_b32 v132, v43 offset:1088
	s_wait_dscnt 0x3
	v_add3_u32 v133, v27, v26, v24
	s_wait_dscnt 0x2
	s_delay_alu instid0(VALU_DEP_1) | instskip(SKIP_1) | instid1(VALU_DEP_1)
	v_add3_u32 v133, v133, v25, v22
	s_wait_dscnt 0x1
	v_add3_u32 v133, v133, v23, v20
	s_wait_dscnt 0x0
	s_delay_alu instid0(VALU_DEP_1) | instskip(NEXT) | instid1(VALU_DEP_1)
	v_add3_u32 v132, v133, v21, v132
	v_mov_b32_dpp v133, v132 row_shr:1 row_mask:0xf bank_mask:0xf
	s_delay_alu instid0(VALU_DEP_1) | instskip(NEXT) | instid1(VALU_DEP_1)
	v_cndmask_b32_e64 v133, v133, 0, s0
	v_add_nc_u32_e32 v132, v133, v132
	s_delay_alu instid0(VALU_DEP_1) | instskip(NEXT) | instid1(VALU_DEP_1)
	v_mov_b32_dpp v133, v132 row_shr:2 row_mask:0xf bank_mask:0xf
	v_cndmask_b32_e64 v133, 0, v133, s1
	s_delay_alu instid0(VALU_DEP_1) | instskip(NEXT) | instid1(VALU_DEP_1)
	v_add_nc_u32_e32 v132, v132, v133
	v_mov_b32_dpp v133, v132 row_shr:4 row_mask:0xf bank_mask:0xf
	s_delay_alu instid0(VALU_DEP_1) | instskip(NEXT) | instid1(VALU_DEP_1)
	v_cndmask_b32_e64 v133, 0, v133, s9
	v_add_nc_u32_e32 v132, v132, v133
	s_delay_alu instid0(VALU_DEP_1) | instskip(NEXT) | instid1(VALU_DEP_1)
	v_mov_b32_dpp v133, v132 row_shr:8 row_mask:0xf bank_mask:0xf
	v_cndmask_b32_e64 v133, 0, v133, s10
	s_delay_alu instid0(VALU_DEP_1) | instskip(SKIP_3) | instid1(VALU_DEP_1)
	v_add_nc_u32_e32 v132, v132, v133
	ds_swizzle_b32 v133, v132 offset:swizzle(BROADCAST,32,15)
	s_wait_dscnt 0x0
	v_cndmask_b32_e64 v133, v133, 0, s11
	v_add_nc_u32_e32 v132, v132, v133
	s_and_saveexec_b32 s15, s3
; %bb.273:                              ;   in Loop: Header=BB2084_236 Depth=2
	ds_store_b32 v38, v132 offset:1024
; %bb.274:                              ;   in Loop: Header=BB2084_236 Depth=2
	s_wait_alu 0xfffe
	s_or_b32 exec_lo, exec_lo, s15
	s_wait_loadcnt_dscnt 0x0
	s_barrier_signal -1
	s_barrier_wait -1
	global_inv scope:SCOPE_SE
	s_and_saveexec_b32 s15, s4
	s_cbranch_execz .LBB2084_276
; %bb.275:                              ;   in Loop: Header=BB2084_236 Depth=2
	ds_load_b32 v133, v46 offset:1024
	s_wait_dscnt 0x0
	v_mov_b32_dpp v134, v133 row_shr:1 row_mask:0xf bank_mask:0xf
	s_delay_alu instid0(VALU_DEP_1) | instskip(NEXT) | instid1(VALU_DEP_1)
	v_cndmask_b32_e64 v134, v134, 0, s12
	v_add_nc_u32_e32 v133, v134, v133
	s_delay_alu instid0(VALU_DEP_1) | instskip(NEXT) | instid1(VALU_DEP_1)
	v_mov_b32_dpp v134, v133 row_shr:2 row_mask:0xf bank_mask:0xf
	v_cndmask_b32_e64 v134, 0, v134, s13
	s_delay_alu instid0(VALU_DEP_1) | instskip(NEXT) | instid1(VALU_DEP_1)
	v_add_nc_u32_e32 v133, v133, v134
	v_mov_b32_dpp v134, v133 row_shr:4 row_mask:0xf bank_mask:0xf
	s_delay_alu instid0(VALU_DEP_1) | instskip(NEXT) | instid1(VALU_DEP_1)
	v_cndmask_b32_e64 v134, 0, v134, s14
	v_add_nc_u32_e32 v133, v133, v134
	ds_store_b32 v46, v133 offset:1024
.LBB2084_276:                           ;   in Loop: Header=BB2084_236 Depth=2
	s_wait_alu 0xfffe
	s_or_b32 exec_lo, exec_lo, s15
	v_mov_b32_e32 v133, 0
	s_wait_loadcnt_dscnt 0x0
	s_barrier_signal -1
	s_barrier_wait -1
	global_inv scope:SCOPE_SE
	s_and_saveexec_b32 s15, s5
; %bb.277:                              ;   in Loop: Header=BB2084_236 Depth=2
	ds_load_b32 v133, v38 offset:1020
; %bb.278:                              ;   in Loop: Header=BB2084_236 Depth=2
	s_wait_alu 0xfffe
	s_or_b32 exec_lo, exec_lo, s15
	s_wait_dscnt 0x0
	v_add_nc_u32_e32 v132, v133, v132
	ds_bpermute_b32 v132, v87, v132
	s_wait_dscnt 0x0
	v_cndmask_b32_e64 v132, v132, v133, s8
	s_delay_alu instid0(VALU_DEP_1) | instskip(NEXT) | instid1(VALU_DEP_1)
	v_cndmask_b32_e64 v132, v132, 0, s6
	v_add_nc_u32_e32 v26, v132, v26
	s_delay_alu instid0(VALU_DEP_1) | instskip(NEXT) | instid1(VALU_DEP_1)
	v_add_nc_u32_e32 v27, v26, v27
	v_add_nc_u32_e32 v24, v27, v24
	s_delay_alu instid0(VALU_DEP_1) | instskip(NEXT) | instid1(VALU_DEP_1)
	v_add_nc_u32_e32 v25, v24, v25
	;; [unrolled: 3-line block ×3, first 2 shown]
	v_add_nc_u32_e32 v20, v23, v20
	s_delay_alu instid0(VALU_DEP_1)
	v_add_nc_u32_e32 v21, v20, v21
	ds_store_2addr_b32 v81, v23, v20 offset1:1
	ds_store_2addr_b32 v78, v132, v26 offset1:1
	;; [unrolled: 1-line block ×4, first 2 shown]
	ds_store_b32 v43, v21 offset:1088
	s_wait_loadcnt_dscnt 0x0
	s_barrier_signal -1
	s_barrier_wait -1
	global_inv scope:SCOPE_SE
	ds_load_b32 v23, v104 offset:1056
	ds_load_b32 v24, v108 offset:1056
	;; [unrolled: 1-line block ×9, first 2 shown]
	v_mov_b32_e32 v22, 0x800
	s_and_saveexec_b32 s15, s7
; %bb.279:                              ;   in Loop: Header=BB2084_236 Depth=2
	ds_load_b32 v22, v43 offset:1092
; %bb.280:                              ;   in Loop: Header=BB2084_236 Depth=2
	s_wait_alu 0xfffe
	s_or_b32 exec_lo, exec_lo, s15
	s_wait_loadcnt_dscnt 0x0
	s_barrier_signal -1
	s_barrier_wait -1
	global_inv scope:SCOPE_SE
	s_and_saveexec_b32 s15, s2
	s_cbranch_execz .LBB2084_282
; %bb.281:                              ;   in Loop: Header=BB2084_236 Depth=2
	ds_load_b32 v108, v28
	s_wait_dscnt 0x0
	v_sub_nc_u32_e32 v104, v108, v104
	ds_store_b32 v28, v104
.LBB2084_282:                           ;   in Loop: Header=BB2084_236 Depth=2
	s_wait_alu 0xfffe
	s_or_b32 exec_lo, exec_lo, s15
	v_add_nc_u32_e32 v108, v23, v102
	v_add3_u32 v104, v106, v105, v24
	v_add3_u32 v102, v111, v109, v25
	;; [unrolled: 1-line block ×4, first 2 shown]
	v_lshlrev_b32_e32 v105, 1, v108
	v_lshlrev_b32_e32 v106, 1, v104
	v_add3_u32 v23, v123, v121, v112
	v_lshlrev_b32_e32 v109, 1, v102
	v_add3_u32 v27, v126, v125, v20
	v_add3_u32 v26, v130, v129, v21
	ds_store_b16 v105, v2 offset:1024
	ds_store_b16 v106, v103 offset:1024
	;; [unrolled: 1-line block ×3, first 2 shown]
	v_lshlrev_b32_e32 v2, 1, v25
	v_cmp_lt_u32_e32 vcc_lo, v1, v101
	v_lshlrev_b32_e32 v20, 1, v24
	v_lshlrev_b32_e32 v21, 1, v23
	;; [unrolled: 1-line block ×4, first 2 shown]
	ds_store_b16 v2, v110 offset:1024
	ds_store_b16 v20, v114 offset:1024
	;; [unrolled: 1-line block ×5, first 2 shown]
	s_wait_loadcnt_dscnt 0x0
	s_barrier_signal -1
	s_barrier_wait -1
	global_inv scope:SCOPE_SE
	s_and_saveexec_b32 s16, vcc_lo
	s_cbranch_execnz .LBB2084_319
; %bb.283:                              ;   in Loop: Header=BB2084_236 Depth=2
	s_wait_alu 0xfffe
	s_or_b32 exec_lo, exec_lo, s16
	v_cmp_lt_u32_e64 s15, v29, v101
	s_and_saveexec_b32 s17, s15
	s_cbranch_execnz .LBB2084_320
.LBB2084_284:                           ;   in Loop: Header=BB2084_236 Depth=2
	s_wait_alu 0xfffe
	s_or_b32 exec_lo, exec_lo, s17
	v_cmp_lt_u32_e64 s16, v30, v101
	s_and_saveexec_b32 s18, s16
	s_cbranch_execnz .LBB2084_321
.LBB2084_285:                           ;   in Loop: Header=BB2084_236 Depth=2
	s_wait_alu 0xfffe
	s_or_b32 exec_lo, exec_lo, s18
	v_cmp_lt_u32_e64 s17, v31, v101
	s_and_saveexec_b32 s19, s17
	s_cbranch_execnz .LBB2084_322
.LBB2084_286:                           ;   in Loop: Header=BB2084_236 Depth=2
	s_wait_alu 0xfffe
	s_or_b32 exec_lo, exec_lo, s19
	v_cmp_lt_u32_e64 s18, v34, v101
	s_and_saveexec_b32 s20, s18
	s_cbranch_execnz .LBB2084_323
.LBB2084_287:                           ;   in Loop: Header=BB2084_236 Depth=2
	s_wait_alu 0xfffe
	s_or_b32 exec_lo, exec_lo, s20
	v_cmp_lt_u32_e64 s19, v35, v101
	s_and_saveexec_b32 s21, s19
	s_cbranch_execnz .LBB2084_324
.LBB2084_288:                           ;   in Loop: Header=BB2084_236 Depth=2
	s_wait_alu 0xfffe
	s_or_b32 exec_lo, exec_lo, s21
	v_cmp_lt_u32_e64 s20, v36, v101
	s_and_saveexec_b32 s22, s20
	s_cbranch_execnz .LBB2084_325
.LBB2084_289:                           ;   in Loop: Header=BB2084_236 Depth=2
	s_wait_alu 0xfffe
	s_or_b32 exec_lo, exec_lo, s22
	v_cmp_lt_u32_e64 s21, v37, v101
	s_and_saveexec_b32 s48, s21
	s_cbranch_execz .LBB2084_291
.LBB2084_290:                           ;   in Loop: Header=BB2084_236 Depth=2
	ds_load_u16 v103, v47 offset:4608
	s_wait_dscnt 0x0
	v_cmp_ne_u16_e64 s22, 0x7fff, v103
	s_wait_alu 0xf1ff
	s_delay_alu instid0(VALU_DEP_1) | instskip(SKIP_1) | instid1(VALU_DEP_2)
	v_cndmask_b32_e64 v2, 0xffff8000, v103, s22
	v_cmp_lt_i16_e64 s22, -1, v103
	v_and_b32_e32 v2, 0xffff, v2
	s_wait_alu 0xf1ff
	s_delay_alu instid0(VALU_DEP_2) | instskip(NEXT) | instid1(VALU_DEP_2)
	v_cndmask_b32_e64 v105, 0xffff8000, -1, s22
	v_lshrrev_b32_e32 v2, s23, v2
	s_delay_alu instid0(VALU_DEP_1) | instskip(NEXT) | instid1(VALU_DEP_1)
	v_and_b32_e32 v2, s42, v2
	v_lshlrev_b32_e32 v2, 2, v2
	ds_load_b32 v2, v2
	s_wait_dscnt 0x0
	v_add_nc_u32_e32 v2, v2, v37
	s_delay_alu instid0(VALU_DEP_1) | instskip(SKIP_1) | instid1(VALU_DEP_2)
	v_lshlrev_b64_e32 v[20:21], 1, v[2:3]
	v_xor_b32_e32 v2, v105, v103
	v_add_co_u32 v20, s22, s40, v20
	s_wait_alu 0xf1ff
	s_delay_alu instid0(VALU_DEP_3)
	v_add_co_ci_u32_e64 v21, null, s41, v21, s22
	global_store_b16 v[20:21], v2, off
.LBB2084_291:                           ;   in Loop: Header=BB2084_236 Depth=2
	s_wait_alu 0xfffe
	s_or_b32 exec_lo, exec_lo, s48
	s_lshl_b64 s[48:49], s[30:31], 3
	s_wait_alu 0xfffe
	v_add_co_u32 v20, s22, v88, s48
	s_wait_alu 0xf1ff
	v_add_co_ci_u32_e64 v21, null, s49, v89, s22
	v_cmp_lt_u32_e64 s22, v66, v101
	s_and_saveexec_b32 s30, s22
	s_wait_alu 0xfffe
	s_xor_b32 s22, exec_lo, s30
	s_cbranch_execnz .LBB2084_326
; %bb.292:                              ;   in Loop: Header=BB2084_236 Depth=2
	s_wait_alu 0xfffe
	s_or_b32 exec_lo, exec_lo, s22
	s_delay_alu instid0(SALU_CYCLE_1)
	s_mov_b32 s30, exec_lo
	v_cmpx_lt_u32_e64 v70, v101
	s_cbranch_execnz .LBB2084_327
.LBB2084_293:                           ;   in Loop: Header=BB2084_236 Depth=2
	s_wait_alu 0xfffe
	s_or_b32 exec_lo, exec_lo, s30
	s_delay_alu instid0(SALU_CYCLE_1)
	s_mov_b32 s30, exec_lo
	v_cmpx_lt_u32_e64 v71, v101
	s_cbranch_execnz .LBB2084_328
.LBB2084_294:                           ;   in Loop: Header=BB2084_236 Depth=2
	s_wait_alu 0xfffe
	s_or_b32 exec_lo, exec_lo, s30
	s_delay_alu instid0(SALU_CYCLE_1)
	s_mov_b32 s30, exec_lo
	v_cmpx_lt_u32_e64 v72, v101
	s_cbranch_execnz .LBB2084_329
.LBB2084_295:                           ;   in Loop: Header=BB2084_236 Depth=2
	s_wait_alu 0xfffe
	s_or_b32 exec_lo, exec_lo, s30
	s_delay_alu instid0(SALU_CYCLE_1)
	s_mov_b32 s30, exec_lo
	v_cmpx_lt_u32_e64 v73, v101
	s_cbranch_execnz .LBB2084_330
.LBB2084_296:                           ;   in Loop: Header=BB2084_236 Depth=2
	s_wait_alu 0xfffe
	s_or_b32 exec_lo, exec_lo, s30
	s_delay_alu instid0(SALU_CYCLE_1)
	s_mov_b32 s30, exec_lo
	v_cmpx_lt_u32_e64 v74, v101
	s_cbranch_execnz .LBB2084_331
.LBB2084_297:                           ;   in Loop: Header=BB2084_236 Depth=2
	s_wait_alu 0xfffe
	s_or_b32 exec_lo, exec_lo, s30
	s_delay_alu instid0(SALU_CYCLE_1)
	s_mov_b32 s30, exec_lo
	v_cmpx_lt_u32_e64 v75, v101
	s_cbranch_execnz .LBB2084_332
.LBB2084_298:                           ;   in Loop: Header=BB2084_236 Depth=2
	s_wait_alu 0xfffe
	s_or_b32 exec_lo, exec_lo, s30
	s_delay_alu instid0(SALU_CYCLE_1)
	s_mov_b32 s30, exec_lo
	v_cmpx_lt_u32_e64 v76, v101
	s_cbranch_execnz .LBB2084_333
.LBB2084_299:                           ;   in Loop: Header=BB2084_236 Depth=2
	s_wait_alu 0xfffe
	s_or_b32 exec_lo, exec_lo, s30
	s_and_saveexec_b32 s30, vcc_lo
	s_cbranch_execnz .LBB2084_334
.LBB2084_300:                           ;   in Loop: Header=BB2084_236 Depth=2
	s_wait_alu 0xfffe
	s_or_b32 exec_lo, exec_lo, s30
	s_and_saveexec_b32 s30, s15
	s_cbranch_execnz .LBB2084_335
.LBB2084_301:                           ;   in Loop: Header=BB2084_236 Depth=2
	s_wait_alu 0xfffe
	s_or_b32 exec_lo, exec_lo, s30
	s_and_saveexec_b32 s30, s16
	s_cbranch_execnz .LBB2084_336
.LBB2084_302:                           ;   in Loop: Header=BB2084_236 Depth=2
	s_wait_alu 0xfffe
	s_or_b32 exec_lo, exec_lo, s30
	s_and_saveexec_b32 s30, s17
	s_cbranch_execnz .LBB2084_337
.LBB2084_303:                           ;   in Loop: Header=BB2084_236 Depth=2
	s_wait_alu 0xfffe
	s_or_b32 exec_lo, exec_lo, s30
	s_and_saveexec_b32 s30, s18
	s_cbranch_execnz .LBB2084_338
.LBB2084_304:                           ;   in Loop: Header=BB2084_236 Depth=2
	s_wait_alu 0xfffe
	s_or_b32 exec_lo, exec_lo, s30
	s_and_saveexec_b32 s30, s19
	s_cbranch_execnz .LBB2084_339
.LBB2084_305:                           ;   in Loop: Header=BB2084_236 Depth=2
	s_wait_alu 0xfffe
	s_or_b32 exec_lo, exec_lo, s30
	s_and_saveexec_b32 s30, s20
	s_cbranch_execnz .LBB2084_340
.LBB2084_306:                           ;   in Loop: Header=BB2084_236 Depth=2
	s_wait_alu 0xfffe
	s_or_b32 exec_lo, exec_lo, s30
	s_and_saveexec_b32 s30, s21
	s_cbranch_execz .LBB2084_308
.LBB2084_307:                           ;   in Loop: Header=BB2084_236 Depth=2
	ds_load_u16 v2, v47 offset:4608
	s_wait_dscnt 0x0
	v_cmp_ne_u16_e64 s22, 0x7fff, v2
	s_wait_alu 0xf1ff
	s_delay_alu instid0(VALU_DEP_1) | instskip(NEXT) | instid1(VALU_DEP_1)
	v_cndmask_b32_e64 v2, 0xffff8000, v2, s22
	v_and_b32_e32 v2, 0xffff, v2
	s_delay_alu instid0(VALU_DEP_1) | instskip(NEXT) | instid1(VALU_DEP_1)
	v_lshrrev_b32_e32 v2, s23, v2
	v_and_b32_e32 v93, s42, v2
.LBB2084_308:                           ;   in Loop: Header=BB2084_236 Depth=2
	s_wait_alu 0xfffe
	s_or_b32 exec_lo, exec_lo, s30
	v_lshlrev_b32_e32 v2, 3, v108
	v_lshlrev_b32_e32 v20, 3, v104
	;; [unrolled: 1-line block ×3, first 2 shown]
	s_wait_loadcnt 0x0
	s_wait_storecnt 0x0
	s_barrier_signal -1
	s_barrier_wait -1
	global_inv scope:SCOPE_SE
	ds_store_b64 v2, v[18:19] offset:1024
	ds_store_b64 v20, v[16:17] offset:1024
	;; [unrolled: 1-line block ×3, first 2 shown]
	v_lshlrev_b32_e32 v2, 3, v25
	v_lshlrev_b32_e32 v20, 3, v24
	v_lshlrev_b32_e32 v21, 3, v23
	v_lshlrev_b32_e32 v23, 3, v27
	v_lshlrev_b32_e32 v24, 3, v26
	ds_store_b64 v2, v[12:13] offset:1024
	ds_store_b64 v20, v[10:11] offset:1024
	;; [unrolled: 1-line block ×5, first 2 shown]
	s_wait_loadcnt_dscnt 0x0
	s_barrier_signal -1
	s_barrier_wait -1
	global_inv scope:SCOPE_SE
	s_and_saveexec_b32 s22, vcc_lo
	s_cbranch_execnz .LBB2084_341
; %bb.309:                              ;   in Loop: Header=BB2084_236 Depth=2
	s_wait_alu 0xfffe
	s_or_b32 exec_lo, exec_lo, s22
	s_and_saveexec_b32 s22, s15
	s_cbranch_execnz .LBB2084_342
.LBB2084_310:                           ;   in Loop: Header=BB2084_236 Depth=2
	s_wait_alu 0xfffe
	s_or_b32 exec_lo, exec_lo, s22
	s_and_saveexec_b32 s15, s16
	s_cbranch_execnz .LBB2084_343
.LBB2084_311:                           ;   in Loop: Header=BB2084_236 Depth=2
	s_wait_alu 0xfffe
	s_or_b32 exec_lo, exec_lo, s15
	s_and_saveexec_b32 s15, s17
	s_cbranch_execnz .LBB2084_344
.LBB2084_312:                           ;   in Loop: Header=BB2084_236 Depth=2
	s_wait_alu 0xfffe
	s_or_b32 exec_lo, exec_lo, s15
	s_and_saveexec_b32 s15, s18
	s_cbranch_execnz .LBB2084_345
.LBB2084_313:                           ;   in Loop: Header=BB2084_236 Depth=2
	s_wait_alu 0xfffe
	s_or_b32 exec_lo, exec_lo, s15
	s_and_saveexec_b32 s15, s19
	s_cbranch_execnz .LBB2084_346
.LBB2084_314:                           ;   in Loop: Header=BB2084_236 Depth=2
	s_wait_alu 0xfffe
	s_or_b32 exec_lo, exec_lo, s15
	s_and_saveexec_b32 s15, s20
	s_cbranch_execnz .LBB2084_347
.LBB2084_315:                           ;   in Loop: Header=BB2084_236 Depth=2
	s_wait_alu 0xfffe
	s_or_b32 exec_lo, exec_lo, s15
	s_and_saveexec_b32 s15, s21
	s_cbranch_execz .LBB2084_317
.LBB2084_316:                           ;   in Loop: Header=BB2084_236 Depth=2
	v_lshlrev_b32_e32 v2, 2, v93
	v_add_nc_u32_e32 v20, v47, v48
	ds_load_b32 v2, v2
	ds_load_b64 v[20:21], v20 offset:15360
	s_wait_dscnt 0x1
	v_add_nc_u32_e32 v2, v2, v37
	s_delay_alu instid0(VALU_DEP_1) | instskip(NEXT) | instid1(VALU_DEP_1)
	v_lshlrev_b64_e32 v[23:24], 3, v[2:3]
	v_add_co_u32 v23, vcc_lo, s26, v23
	s_wait_alu 0xfffd
	s_delay_alu instid0(VALU_DEP_2)
	v_add_co_ci_u32_e64 v24, null, s27, v24, vcc_lo
	s_wait_dscnt 0x0
	global_store_b64 v[23:24], v[20:21], off
.LBB2084_317:                           ;   in Loop: Header=BB2084_236 Depth=2
	s_wait_alu 0xfffe
	s_or_b32 exec_lo, exec_lo, s15
	s_wait_loadcnt 0x0
	s_wait_storecnt 0x0
	s_barrier_signal -1
	s_barrier_wait -1
	global_inv scope:SCOPE_SE
	s_and_saveexec_b32 s15, s2
	s_cbranch_execz .LBB2084_235
; %bb.318:                              ;   in Loop: Header=BB2084_236 Depth=2
	ds_load_b32 v2, v28
	s_wait_dscnt 0x0
	v_add_nc_u32_e32 v2, v2, v22
	ds_store_b32 v28, v2
	s_branch .LBB2084_235
.LBB2084_319:                           ;   in Loop: Header=BB2084_236 Depth=2
	ds_load_u16 v103, v47 offset:1024
	s_wait_dscnt 0x0
	v_cmp_ne_u16_e64 s15, 0x7fff, v103
	s_wait_alu 0xf1ff
	s_delay_alu instid0(VALU_DEP_1) | instskip(SKIP_1) | instid1(VALU_DEP_2)
	v_cndmask_b32_e64 v2, 0xffff8000, v103, s15
	v_cmp_lt_i16_e64 s15, -1, v103
	v_and_b32_e32 v2, 0xffff, v2
	s_wait_alu 0xf1ff
	s_delay_alu instid0(VALU_DEP_2) | instskip(NEXT) | instid1(VALU_DEP_2)
	v_cndmask_b32_e64 v105, 0xffff8000, -1, s15
	v_lshrrev_b32_e32 v2, s23, v2
	s_delay_alu instid0(VALU_DEP_1) | instskip(NEXT) | instid1(VALU_DEP_1)
	v_and_b32_e32 v2, s42, v2
	v_lshlrev_b32_e32 v2, 2, v2
	ds_load_b32 v2, v2
	s_wait_dscnt 0x0
	v_add_nc_u32_e32 v2, v2, v1
	s_delay_alu instid0(VALU_DEP_1) | instskip(SKIP_1) | instid1(VALU_DEP_2)
	v_lshlrev_b64_e32 v[20:21], 1, v[2:3]
	v_xor_b32_e32 v2, v105, v103
	v_add_co_u32 v20, s15, s40, v20
	s_wait_alu 0xf1ff
	s_delay_alu instid0(VALU_DEP_3)
	v_add_co_ci_u32_e64 v21, null, s41, v21, s15
	global_store_b16 v[20:21], v2, off
	s_wait_alu 0xfffe
	s_or_b32 exec_lo, exec_lo, s16
	v_cmp_lt_u32_e64 s15, v29, v101
	s_and_saveexec_b32 s17, s15
	s_cbranch_execz .LBB2084_284
.LBB2084_320:                           ;   in Loop: Header=BB2084_236 Depth=2
	ds_load_u16 v103, v47 offset:1536
	s_wait_dscnt 0x0
	v_cmp_ne_u16_e64 s16, 0x7fff, v103
	s_wait_alu 0xf1ff
	s_delay_alu instid0(VALU_DEP_1) | instskip(SKIP_1) | instid1(VALU_DEP_2)
	v_cndmask_b32_e64 v2, 0xffff8000, v103, s16
	v_cmp_lt_i16_e64 s16, -1, v103
	v_and_b32_e32 v2, 0xffff, v2
	s_wait_alu 0xf1ff
	s_delay_alu instid0(VALU_DEP_2) | instskip(NEXT) | instid1(VALU_DEP_2)
	v_cndmask_b32_e64 v105, 0xffff8000, -1, s16
	v_lshrrev_b32_e32 v2, s23, v2
	s_delay_alu instid0(VALU_DEP_1) | instskip(NEXT) | instid1(VALU_DEP_1)
	v_and_b32_e32 v2, s42, v2
	v_lshlrev_b32_e32 v2, 2, v2
	ds_load_b32 v2, v2
	s_wait_dscnt 0x0
	v_add_nc_u32_e32 v2, v2, v29
	s_delay_alu instid0(VALU_DEP_1) | instskip(SKIP_1) | instid1(VALU_DEP_2)
	v_lshlrev_b64_e32 v[20:21], 1, v[2:3]
	v_xor_b32_e32 v2, v105, v103
	v_add_co_u32 v20, s16, s40, v20
	s_wait_alu 0xf1ff
	s_delay_alu instid0(VALU_DEP_3)
	v_add_co_ci_u32_e64 v21, null, s41, v21, s16
	global_store_b16 v[20:21], v2, off
	s_wait_alu 0xfffe
	s_or_b32 exec_lo, exec_lo, s17
	v_cmp_lt_u32_e64 s16, v30, v101
	s_and_saveexec_b32 s18, s16
	s_cbranch_execz .LBB2084_285
.LBB2084_321:                           ;   in Loop: Header=BB2084_236 Depth=2
	ds_load_u16 v103, v47 offset:2048
	s_wait_dscnt 0x0
	v_cmp_ne_u16_e64 s17, 0x7fff, v103
	s_wait_alu 0xf1ff
	s_delay_alu instid0(VALU_DEP_1) | instskip(SKIP_1) | instid1(VALU_DEP_2)
	v_cndmask_b32_e64 v2, 0xffff8000, v103, s17
	v_cmp_lt_i16_e64 s17, -1, v103
	v_and_b32_e32 v2, 0xffff, v2
	s_wait_alu 0xf1ff
	s_delay_alu instid0(VALU_DEP_2) | instskip(NEXT) | instid1(VALU_DEP_2)
	v_cndmask_b32_e64 v105, 0xffff8000, -1, s17
	v_lshrrev_b32_e32 v2, s23, v2
	s_delay_alu instid0(VALU_DEP_1) | instskip(NEXT) | instid1(VALU_DEP_1)
	v_and_b32_e32 v2, s42, v2
	v_lshlrev_b32_e32 v2, 2, v2
	ds_load_b32 v2, v2
	s_wait_dscnt 0x0
	v_add_nc_u32_e32 v2, v2, v30
	s_delay_alu instid0(VALU_DEP_1) | instskip(SKIP_1) | instid1(VALU_DEP_2)
	v_lshlrev_b64_e32 v[20:21], 1, v[2:3]
	v_xor_b32_e32 v2, v105, v103
	v_add_co_u32 v20, s17, s40, v20
	s_wait_alu 0xf1ff
	s_delay_alu instid0(VALU_DEP_3)
	v_add_co_ci_u32_e64 v21, null, s41, v21, s17
	global_store_b16 v[20:21], v2, off
	s_wait_alu 0xfffe
	s_or_b32 exec_lo, exec_lo, s18
	v_cmp_lt_u32_e64 s17, v31, v101
	s_and_saveexec_b32 s19, s17
	s_cbranch_execz .LBB2084_286
.LBB2084_322:                           ;   in Loop: Header=BB2084_236 Depth=2
	ds_load_u16 v103, v47 offset:2560
	s_wait_dscnt 0x0
	v_cmp_ne_u16_e64 s18, 0x7fff, v103
	s_wait_alu 0xf1ff
	s_delay_alu instid0(VALU_DEP_1) | instskip(SKIP_1) | instid1(VALU_DEP_2)
	v_cndmask_b32_e64 v2, 0xffff8000, v103, s18
	v_cmp_lt_i16_e64 s18, -1, v103
	v_and_b32_e32 v2, 0xffff, v2
	s_wait_alu 0xf1ff
	s_delay_alu instid0(VALU_DEP_2) | instskip(NEXT) | instid1(VALU_DEP_2)
	v_cndmask_b32_e64 v105, 0xffff8000, -1, s18
	v_lshrrev_b32_e32 v2, s23, v2
	s_delay_alu instid0(VALU_DEP_1) | instskip(NEXT) | instid1(VALU_DEP_1)
	v_and_b32_e32 v2, s42, v2
	v_lshlrev_b32_e32 v2, 2, v2
	ds_load_b32 v2, v2
	s_wait_dscnt 0x0
	v_add_nc_u32_e32 v2, v2, v31
	s_delay_alu instid0(VALU_DEP_1) | instskip(SKIP_1) | instid1(VALU_DEP_2)
	v_lshlrev_b64_e32 v[20:21], 1, v[2:3]
	v_xor_b32_e32 v2, v105, v103
	v_add_co_u32 v20, s18, s40, v20
	s_wait_alu 0xf1ff
	s_delay_alu instid0(VALU_DEP_3)
	v_add_co_ci_u32_e64 v21, null, s41, v21, s18
	global_store_b16 v[20:21], v2, off
	s_wait_alu 0xfffe
	s_or_b32 exec_lo, exec_lo, s19
	v_cmp_lt_u32_e64 s18, v34, v101
	s_and_saveexec_b32 s20, s18
	s_cbranch_execz .LBB2084_287
.LBB2084_323:                           ;   in Loop: Header=BB2084_236 Depth=2
	ds_load_u16 v103, v47 offset:3072
	s_wait_dscnt 0x0
	v_cmp_ne_u16_e64 s19, 0x7fff, v103
	s_wait_alu 0xf1ff
	s_delay_alu instid0(VALU_DEP_1) | instskip(SKIP_1) | instid1(VALU_DEP_2)
	v_cndmask_b32_e64 v2, 0xffff8000, v103, s19
	v_cmp_lt_i16_e64 s19, -1, v103
	v_and_b32_e32 v2, 0xffff, v2
	s_wait_alu 0xf1ff
	s_delay_alu instid0(VALU_DEP_2) | instskip(NEXT) | instid1(VALU_DEP_2)
	v_cndmask_b32_e64 v105, 0xffff8000, -1, s19
	v_lshrrev_b32_e32 v2, s23, v2
	s_delay_alu instid0(VALU_DEP_1) | instskip(NEXT) | instid1(VALU_DEP_1)
	v_and_b32_e32 v2, s42, v2
	v_lshlrev_b32_e32 v2, 2, v2
	ds_load_b32 v2, v2
	s_wait_dscnt 0x0
	v_add_nc_u32_e32 v2, v2, v34
	s_delay_alu instid0(VALU_DEP_1) | instskip(SKIP_1) | instid1(VALU_DEP_2)
	v_lshlrev_b64_e32 v[20:21], 1, v[2:3]
	v_xor_b32_e32 v2, v105, v103
	v_add_co_u32 v20, s19, s40, v20
	s_wait_alu 0xf1ff
	s_delay_alu instid0(VALU_DEP_3)
	v_add_co_ci_u32_e64 v21, null, s41, v21, s19
	global_store_b16 v[20:21], v2, off
	s_wait_alu 0xfffe
	s_or_b32 exec_lo, exec_lo, s20
	v_cmp_lt_u32_e64 s19, v35, v101
	s_and_saveexec_b32 s21, s19
	s_cbranch_execz .LBB2084_288
.LBB2084_324:                           ;   in Loop: Header=BB2084_236 Depth=2
	ds_load_u16 v103, v47 offset:3584
	s_wait_dscnt 0x0
	v_cmp_ne_u16_e64 s20, 0x7fff, v103
	s_wait_alu 0xf1ff
	s_delay_alu instid0(VALU_DEP_1) | instskip(SKIP_1) | instid1(VALU_DEP_2)
	v_cndmask_b32_e64 v2, 0xffff8000, v103, s20
	v_cmp_lt_i16_e64 s20, -1, v103
	v_and_b32_e32 v2, 0xffff, v2
	s_wait_alu 0xf1ff
	s_delay_alu instid0(VALU_DEP_2) | instskip(NEXT) | instid1(VALU_DEP_2)
	v_cndmask_b32_e64 v105, 0xffff8000, -1, s20
	v_lshrrev_b32_e32 v2, s23, v2
	s_delay_alu instid0(VALU_DEP_1) | instskip(NEXT) | instid1(VALU_DEP_1)
	v_and_b32_e32 v2, s42, v2
	v_lshlrev_b32_e32 v2, 2, v2
	ds_load_b32 v2, v2
	s_wait_dscnt 0x0
	v_add_nc_u32_e32 v2, v2, v35
	s_delay_alu instid0(VALU_DEP_1) | instskip(SKIP_1) | instid1(VALU_DEP_2)
	v_lshlrev_b64_e32 v[20:21], 1, v[2:3]
	v_xor_b32_e32 v2, v105, v103
	v_add_co_u32 v20, s20, s40, v20
	s_wait_alu 0xf1ff
	s_delay_alu instid0(VALU_DEP_3)
	v_add_co_ci_u32_e64 v21, null, s41, v21, s20
	global_store_b16 v[20:21], v2, off
	s_wait_alu 0xfffe
	s_or_b32 exec_lo, exec_lo, s21
	v_cmp_lt_u32_e64 s20, v36, v101
	s_and_saveexec_b32 s22, s20
	s_cbranch_execz .LBB2084_289
.LBB2084_325:                           ;   in Loop: Header=BB2084_236 Depth=2
	ds_load_u16 v103, v47 offset:4096
	s_wait_dscnt 0x0
	v_cmp_ne_u16_e64 s21, 0x7fff, v103
	s_wait_alu 0xf1ff
	s_delay_alu instid0(VALU_DEP_1) | instskip(SKIP_1) | instid1(VALU_DEP_2)
	v_cndmask_b32_e64 v2, 0xffff8000, v103, s21
	v_cmp_lt_i16_e64 s21, -1, v103
	v_and_b32_e32 v2, 0xffff, v2
	s_wait_alu 0xf1ff
	s_delay_alu instid0(VALU_DEP_2) | instskip(NEXT) | instid1(VALU_DEP_2)
	v_cndmask_b32_e64 v105, 0xffff8000, -1, s21
	v_lshrrev_b32_e32 v2, s23, v2
	s_delay_alu instid0(VALU_DEP_1) | instskip(NEXT) | instid1(VALU_DEP_1)
	v_and_b32_e32 v2, s42, v2
	v_lshlrev_b32_e32 v2, 2, v2
	ds_load_b32 v2, v2
	s_wait_dscnt 0x0
	v_add_nc_u32_e32 v2, v2, v36
	s_delay_alu instid0(VALU_DEP_1) | instskip(SKIP_1) | instid1(VALU_DEP_2)
	v_lshlrev_b64_e32 v[20:21], 1, v[2:3]
	v_xor_b32_e32 v2, v105, v103
	v_add_co_u32 v20, s21, s40, v20
	s_wait_alu 0xf1ff
	s_delay_alu instid0(VALU_DEP_3)
	v_add_co_ci_u32_e64 v21, null, s41, v21, s21
	global_store_b16 v[20:21], v2, off
	s_wait_alu 0xfffe
	s_or_b32 exec_lo, exec_lo, s22
	v_cmp_lt_u32_e64 s21, v37, v101
	s_and_saveexec_b32 s48, s21
	s_cbranch_execnz .LBB2084_290
	s_branch .LBB2084_291
.LBB2084_326:                           ;   in Loop: Header=BB2084_236 Depth=2
	global_load_b64 v[18:19], v[20:21], off
	s_wait_alu 0xfffe
	s_or_b32 exec_lo, exec_lo, s22
	s_delay_alu instid0(SALU_CYCLE_1)
	s_mov_b32 s30, exec_lo
	v_cmpx_lt_u32_e64 v70, v101
	s_cbranch_execz .LBB2084_293
.LBB2084_327:                           ;   in Loop: Header=BB2084_236 Depth=2
	global_load_b64 v[16:17], v[20:21], off offset:256
	s_wait_alu 0xfffe
	s_or_b32 exec_lo, exec_lo, s30
	s_delay_alu instid0(SALU_CYCLE_1)
	s_mov_b32 s30, exec_lo
	v_cmpx_lt_u32_e64 v71, v101
	s_cbranch_execz .LBB2084_294
.LBB2084_328:                           ;   in Loop: Header=BB2084_236 Depth=2
	global_load_b64 v[14:15], v[20:21], off offset:512
	s_wait_alu 0xfffe
	s_or_b32 exec_lo, exec_lo, s30
	s_delay_alu instid0(SALU_CYCLE_1)
	s_mov_b32 s30, exec_lo
	v_cmpx_lt_u32_e64 v72, v101
	s_cbranch_execz .LBB2084_295
.LBB2084_329:                           ;   in Loop: Header=BB2084_236 Depth=2
	global_load_b64 v[12:13], v[20:21], off offset:768
	s_wait_alu 0xfffe
	s_or_b32 exec_lo, exec_lo, s30
	s_delay_alu instid0(SALU_CYCLE_1)
	s_mov_b32 s30, exec_lo
	v_cmpx_lt_u32_e64 v73, v101
	s_cbranch_execz .LBB2084_296
.LBB2084_330:                           ;   in Loop: Header=BB2084_236 Depth=2
	global_load_b64 v[10:11], v[20:21], off offset:1024
	s_wait_alu 0xfffe
	s_or_b32 exec_lo, exec_lo, s30
	s_delay_alu instid0(SALU_CYCLE_1)
	s_mov_b32 s30, exec_lo
	v_cmpx_lt_u32_e64 v74, v101
	s_cbranch_execz .LBB2084_297
.LBB2084_331:                           ;   in Loop: Header=BB2084_236 Depth=2
	global_load_b64 v[8:9], v[20:21], off offset:1280
	s_wait_alu 0xfffe
	s_or_b32 exec_lo, exec_lo, s30
	s_delay_alu instid0(SALU_CYCLE_1)
	s_mov_b32 s30, exec_lo
	v_cmpx_lt_u32_e64 v75, v101
	s_cbranch_execz .LBB2084_298
.LBB2084_332:                           ;   in Loop: Header=BB2084_236 Depth=2
	global_load_b64 v[6:7], v[20:21], off offset:1536
	s_wait_alu 0xfffe
	s_or_b32 exec_lo, exec_lo, s30
	s_delay_alu instid0(SALU_CYCLE_1)
	s_mov_b32 s30, exec_lo
	v_cmpx_lt_u32_e64 v76, v101
	s_cbranch_execz .LBB2084_299
.LBB2084_333:                           ;   in Loop: Header=BB2084_236 Depth=2
	global_load_b64 v[4:5], v[20:21], off offset:1792
	s_wait_alu 0xfffe
	s_or_b32 exec_lo, exec_lo, s30
	s_and_saveexec_b32 s30, vcc_lo
	s_cbranch_execz .LBB2084_300
.LBB2084_334:                           ;   in Loop: Header=BB2084_236 Depth=2
	ds_load_u16 v2, v47 offset:1024
	s_wait_dscnt 0x0
	v_cmp_ne_u16_e64 s22, 0x7fff, v2
	s_wait_alu 0xf1ff
	s_delay_alu instid0(VALU_DEP_1) | instskip(NEXT) | instid1(VALU_DEP_1)
	v_cndmask_b32_e64 v2, 0xffff8000, v2, s22
	v_and_b32_e32 v2, 0xffff, v2
	s_delay_alu instid0(VALU_DEP_1) | instskip(NEXT) | instid1(VALU_DEP_1)
	v_lshrrev_b32_e32 v2, s23, v2
	v_and_b32_e32 v100, s42, v2
	s_wait_alu 0xfffe
	s_or_b32 exec_lo, exec_lo, s30
	s_and_saveexec_b32 s30, s15
	s_cbranch_execz .LBB2084_301
.LBB2084_335:                           ;   in Loop: Header=BB2084_236 Depth=2
	ds_load_u16 v2, v47 offset:1536
	s_wait_dscnt 0x0
	v_cmp_ne_u16_e64 s22, 0x7fff, v2
	s_wait_alu 0xf1ff
	s_delay_alu instid0(VALU_DEP_1) | instskip(NEXT) | instid1(VALU_DEP_1)
	v_cndmask_b32_e64 v2, 0xffff8000, v2, s22
	v_and_b32_e32 v2, 0xffff, v2
	s_delay_alu instid0(VALU_DEP_1) | instskip(NEXT) | instid1(VALU_DEP_1)
	v_lshrrev_b32_e32 v2, s23, v2
	v_and_b32_e32 v99, s42, v2
	s_wait_alu 0xfffe
	s_or_b32 exec_lo, exec_lo, s30
	s_and_saveexec_b32 s30, s16
	s_cbranch_execz .LBB2084_302
.LBB2084_336:                           ;   in Loop: Header=BB2084_236 Depth=2
	ds_load_u16 v2, v47 offset:2048
	s_wait_dscnt 0x0
	v_cmp_ne_u16_e64 s22, 0x7fff, v2
	s_wait_alu 0xf1ff
	s_delay_alu instid0(VALU_DEP_1) | instskip(NEXT) | instid1(VALU_DEP_1)
	v_cndmask_b32_e64 v2, 0xffff8000, v2, s22
	v_and_b32_e32 v2, 0xffff, v2
	s_delay_alu instid0(VALU_DEP_1) | instskip(NEXT) | instid1(VALU_DEP_1)
	v_lshrrev_b32_e32 v2, s23, v2
	v_and_b32_e32 v98, s42, v2
	s_wait_alu 0xfffe
	s_or_b32 exec_lo, exec_lo, s30
	s_and_saveexec_b32 s30, s17
	s_cbranch_execz .LBB2084_303
.LBB2084_337:                           ;   in Loop: Header=BB2084_236 Depth=2
	ds_load_u16 v2, v47 offset:2560
	s_wait_dscnt 0x0
	v_cmp_ne_u16_e64 s22, 0x7fff, v2
	s_wait_alu 0xf1ff
	s_delay_alu instid0(VALU_DEP_1) | instskip(NEXT) | instid1(VALU_DEP_1)
	v_cndmask_b32_e64 v2, 0xffff8000, v2, s22
	v_and_b32_e32 v2, 0xffff, v2
	s_delay_alu instid0(VALU_DEP_1) | instskip(NEXT) | instid1(VALU_DEP_1)
	v_lshrrev_b32_e32 v2, s23, v2
	v_and_b32_e32 v97, s42, v2
	s_wait_alu 0xfffe
	s_or_b32 exec_lo, exec_lo, s30
	s_and_saveexec_b32 s30, s18
	s_cbranch_execz .LBB2084_304
.LBB2084_338:                           ;   in Loop: Header=BB2084_236 Depth=2
	ds_load_u16 v2, v47 offset:3072
	s_wait_dscnt 0x0
	v_cmp_ne_u16_e64 s22, 0x7fff, v2
	s_wait_alu 0xf1ff
	s_delay_alu instid0(VALU_DEP_1) | instskip(NEXT) | instid1(VALU_DEP_1)
	v_cndmask_b32_e64 v2, 0xffff8000, v2, s22
	v_and_b32_e32 v2, 0xffff, v2
	s_delay_alu instid0(VALU_DEP_1) | instskip(NEXT) | instid1(VALU_DEP_1)
	v_lshrrev_b32_e32 v2, s23, v2
	v_and_b32_e32 v96, s42, v2
	s_wait_alu 0xfffe
	s_or_b32 exec_lo, exec_lo, s30
	s_and_saveexec_b32 s30, s19
	s_cbranch_execz .LBB2084_305
.LBB2084_339:                           ;   in Loop: Header=BB2084_236 Depth=2
	ds_load_u16 v2, v47 offset:3584
	s_wait_dscnt 0x0
	v_cmp_ne_u16_e64 s22, 0x7fff, v2
	s_wait_alu 0xf1ff
	s_delay_alu instid0(VALU_DEP_1) | instskip(NEXT) | instid1(VALU_DEP_1)
	v_cndmask_b32_e64 v2, 0xffff8000, v2, s22
	v_and_b32_e32 v2, 0xffff, v2
	s_delay_alu instid0(VALU_DEP_1) | instskip(NEXT) | instid1(VALU_DEP_1)
	v_lshrrev_b32_e32 v2, s23, v2
	v_and_b32_e32 v95, s42, v2
	s_wait_alu 0xfffe
	s_or_b32 exec_lo, exec_lo, s30
	s_and_saveexec_b32 s30, s20
	s_cbranch_execz .LBB2084_306
.LBB2084_340:                           ;   in Loop: Header=BB2084_236 Depth=2
	ds_load_u16 v2, v47 offset:4096
	s_wait_dscnt 0x0
	v_cmp_ne_u16_e64 s22, 0x7fff, v2
	s_wait_alu 0xf1ff
	s_delay_alu instid0(VALU_DEP_1) | instskip(NEXT) | instid1(VALU_DEP_1)
	v_cndmask_b32_e64 v2, 0xffff8000, v2, s22
	v_and_b32_e32 v2, 0xffff, v2
	s_delay_alu instid0(VALU_DEP_1) | instskip(NEXT) | instid1(VALU_DEP_1)
	v_lshrrev_b32_e32 v2, s23, v2
	v_and_b32_e32 v94, s42, v2
	s_wait_alu 0xfffe
	s_or_b32 exec_lo, exec_lo, s30
	s_and_saveexec_b32 s30, s21
	s_cbranch_execnz .LBB2084_307
	s_branch .LBB2084_308
.LBB2084_341:                           ;   in Loop: Header=BB2084_236 Depth=2
	v_lshlrev_b32_e32 v2, 2, v100
	v_add_nc_u32_e32 v20, v47, v48
	ds_load_b32 v2, v2
	ds_load_b64 v[20:21], v20 offset:1024
	s_wait_dscnt 0x1
	v_add_nc_u32_e32 v2, v2, v1
	s_delay_alu instid0(VALU_DEP_1) | instskip(NEXT) | instid1(VALU_DEP_1)
	v_lshlrev_b64_e32 v[23:24], 3, v[2:3]
	v_add_co_u32 v23, vcc_lo, s26, v23
	s_wait_alu 0xfffd
	s_delay_alu instid0(VALU_DEP_2)
	v_add_co_ci_u32_e64 v24, null, s27, v24, vcc_lo
	s_wait_dscnt 0x0
	global_store_b64 v[23:24], v[20:21], off
	s_wait_alu 0xfffe
	s_or_b32 exec_lo, exec_lo, s22
	s_and_saveexec_b32 s22, s15
	s_cbranch_execz .LBB2084_310
.LBB2084_342:                           ;   in Loop: Header=BB2084_236 Depth=2
	v_lshlrev_b32_e32 v2, 2, v99
	v_add_nc_u32_e32 v20, v47, v48
	ds_load_b32 v2, v2
	ds_load_b64 v[20:21], v20 offset:3072
	s_wait_dscnt 0x1
	v_add_nc_u32_e32 v2, v2, v29
	s_delay_alu instid0(VALU_DEP_1) | instskip(NEXT) | instid1(VALU_DEP_1)
	v_lshlrev_b64_e32 v[23:24], 3, v[2:3]
	v_add_co_u32 v23, vcc_lo, s26, v23
	s_wait_alu 0xfffd
	s_delay_alu instid0(VALU_DEP_2)
	v_add_co_ci_u32_e64 v24, null, s27, v24, vcc_lo
	s_wait_dscnt 0x0
	global_store_b64 v[23:24], v[20:21], off
	s_wait_alu 0xfffe
	s_or_b32 exec_lo, exec_lo, s22
	s_and_saveexec_b32 s15, s16
	s_cbranch_execz .LBB2084_311
.LBB2084_343:                           ;   in Loop: Header=BB2084_236 Depth=2
	v_lshlrev_b32_e32 v2, 2, v98
	v_add_nc_u32_e32 v20, v47, v48
	ds_load_b32 v2, v2
	ds_load_b64 v[20:21], v20 offset:5120
	s_wait_dscnt 0x1
	v_add_nc_u32_e32 v2, v2, v30
	s_delay_alu instid0(VALU_DEP_1) | instskip(NEXT) | instid1(VALU_DEP_1)
	v_lshlrev_b64_e32 v[23:24], 3, v[2:3]
	v_add_co_u32 v23, vcc_lo, s26, v23
	s_wait_alu 0xfffd
	s_delay_alu instid0(VALU_DEP_2)
	v_add_co_ci_u32_e64 v24, null, s27, v24, vcc_lo
	s_wait_dscnt 0x0
	global_store_b64 v[23:24], v[20:21], off
	s_wait_alu 0xfffe
	s_or_b32 exec_lo, exec_lo, s15
	s_and_saveexec_b32 s15, s17
	s_cbranch_execz .LBB2084_312
.LBB2084_344:                           ;   in Loop: Header=BB2084_236 Depth=2
	v_lshlrev_b32_e32 v2, 2, v97
	v_add_nc_u32_e32 v20, v47, v48
	ds_load_b32 v2, v2
	ds_load_b64 v[20:21], v20 offset:7168
	s_wait_dscnt 0x1
	v_add_nc_u32_e32 v2, v2, v31
	s_delay_alu instid0(VALU_DEP_1) | instskip(NEXT) | instid1(VALU_DEP_1)
	v_lshlrev_b64_e32 v[23:24], 3, v[2:3]
	v_add_co_u32 v23, vcc_lo, s26, v23
	s_wait_alu 0xfffd
	s_delay_alu instid0(VALU_DEP_2)
	v_add_co_ci_u32_e64 v24, null, s27, v24, vcc_lo
	s_wait_dscnt 0x0
	global_store_b64 v[23:24], v[20:21], off
	s_wait_alu 0xfffe
	s_or_b32 exec_lo, exec_lo, s15
	s_and_saveexec_b32 s15, s18
	s_cbranch_execz .LBB2084_313
.LBB2084_345:                           ;   in Loop: Header=BB2084_236 Depth=2
	v_lshlrev_b32_e32 v2, 2, v96
	v_add_nc_u32_e32 v20, v47, v48
	ds_load_b32 v2, v2
	ds_load_b64 v[20:21], v20 offset:9216
	s_wait_dscnt 0x1
	v_add_nc_u32_e32 v2, v2, v34
	s_delay_alu instid0(VALU_DEP_1) | instskip(NEXT) | instid1(VALU_DEP_1)
	v_lshlrev_b64_e32 v[23:24], 3, v[2:3]
	v_add_co_u32 v23, vcc_lo, s26, v23
	s_wait_alu 0xfffd
	s_delay_alu instid0(VALU_DEP_2)
	v_add_co_ci_u32_e64 v24, null, s27, v24, vcc_lo
	s_wait_dscnt 0x0
	global_store_b64 v[23:24], v[20:21], off
	s_wait_alu 0xfffe
	s_or_b32 exec_lo, exec_lo, s15
	s_and_saveexec_b32 s15, s19
	s_cbranch_execz .LBB2084_314
.LBB2084_346:                           ;   in Loop: Header=BB2084_236 Depth=2
	v_lshlrev_b32_e32 v2, 2, v95
	v_add_nc_u32_e32 v20, v47, v48
	ds_load_b32 v2, v2
	ds_load_b64 v[20:21], v20 offset:11264
	s_wait_dscnt 0x1
	v_add_nc_u32_e32 v2, v2, v35
	s_delay_alu instid0(VALU_DEP_1) | instskip(NEXT) | instid1(VALU_DEP_1)
	v_lshlrev_b64_e32 v[23:24], 3, v[2:3]
	v_add_co_u32 v23, vcc_lo, s26, v23
	s_wait_alu 0xfffd
	s_delay_alu instid0(VALU_DEP_2)
	v_add_co_ci_u32_e64 v24, null, s27, v24, vcc_lo
	s_wait_dscnt 0x0
	global_store_b64 v[23:24], v[20:21], off
	s_wait_alu 0xfffe
	s_or_b32 exec_lo, exec_lo, s15
	s_and_saveexec_b32 s15, s20
	s_cbranch_execz .LBB2084_315
.LBB2084_347:                           ;   in Loop: Header=BB2084_236 Depth=2
	v_lshlrev_b32_e32 v2, 2, v94
	v_add_nc_u32_e32 v20, v47, v48
	ds_load_b32 v2, v2
	ds_load_b64 v[20:21], v20 offset:13312
	s_wait_dscnt 0x1
	v_add_nc_u32_e32 v2, v2, v36
	s_delay_alu instid0(VALU_DEP_1) | instskip(NEXT) | instid1(VALU_DEP_1)
	v_lshlrev_b64_e32 v[23:24], 3, v[2:3]
	v_add_co_u32 v23, vcc_lo, s26, v23
	s_wait_alu 0xfffd
	s_delay_alu instid0(VALU_DEP_2)
	v_add_co_ci_u32_e64 v24, null, s27, v24, vcc_lo
	s_wait_dscnt 0x0
	global_store_b64 v[23:24], v[20:21], off
	s_wait_alu 0xfffe
	s_or_b32 exec_lo, exec_lo, s15
	s_and_saveexec_b32 s15, s21
	s_cbranch_execnz .LBB2084_316
	s_branch .LBB2084_317
.LBB2084_348:                           ;   in Loop: Header=BB2084_20 Depth=1
	s_wait_loadcnt_dscnt 0x0
	s_barrier_signal -1
	s_barrier_wait -1
.LBB2084_349:                           ;   in Loop: Header=BB2084_20 Depth=1
	s_mov_b32 s0, 0
.LBB2084_350:                           ;   in Loop: Header=BB2084_20 Depth=1
	s_wait_alu 0xfffe
	s_and_not1_b32 vcc_lo, exec_lo, s0
	s_wait_alu 0xfffe
	s_cbranch_vccnz .LBB2084_19
; %bb.351:                              ;   in Loop: Header=BB2084_20 Depth=1
	s_and_b32 vcc_lo, exec_lo, s35
	s_mov_b32 s0, -1
	s_wait_alu 0xfffe
	s_cbranch_vccz .LBB2084_515
; %bb.352:                              ;   in Loop: Header=BB2084_20 Depth=1
	s_mov_b32 s9, s47
	s_mov_b32 s30, s33
	s_barrier_signal -1
	s_barrier_wait -1
	global_inv scope:SCOPE_SE
                                        ; implicit-def: $vgpr2
                                        ; implicit-def: $vgpr4
                                        ; implicit-def: $vgpr5
                                        ; implicit-def: $vgpr6
                                        ; implicit-def: $vgpr7
                                        ; implicit-def: $vgpr8
                                        ; implicit-def: $vgpr9
                                        ; implicit-def: $vgpr10
	s_branch .LBB2084_354
.LBB2084_353:                           ;   in Loop: Header=BB2084_354 Depth=2
	s_wait_alu 0xfffe
	s_or_b32 exec_lo, exec_lo, s0
	s_addk_co_i32 s9, 0xf800
	s_cmp_ge_u32 s10, s34
	s_mov_b32 s30, s10
	s_cbranch_scc1 .LBB2084_390
.LBB2084_354:                           ;   Parent Loop BB2084_20 Depth=1
                                        ; =>  This Inner Loop Header: Depth=2
	s_wait_alu 0xfffe
	s_add_co_i32 s10, s30, 0x800
	s_mov_b32 s0, -1
	s_wait_alu 0xfffe
	s_cmp_gt_u32 s10, s34
                                        ; implicit-def: $vgpr11
                                        ; implicit-def: $vgpr12
                                        ; implicit-def: $vgpr13
                                        ; implicit-def: $vgpr14
                                        ; implicit-def: $vgpr15
                                        ; implicit-def: $vgpr16
                                        ; implicit-def: $vgpr17
                                        ; implicit-def: $vgpr18
	s_cbranch_scc1 .LBB2084_356
; %bb.355:                              ;   in Loop: Header=BB2084_354 Depth=2
	s_lshl_b64 s[0:1], s[30:31], 1
	s_wait_alu 0xfffe
	v_add_co_u32 v18, vcc_lo, v55, s0
	s_wait_alu 0xfffd
	v_add_co_ci_u32_e64 v19, null, s1, v56, vcc_lo
	s_mov_b32 s0, 0
	s_clause 0x7
	global_load_u16 v11, v[18:19], off
	global_load_u16 v12, v[18:19], off offset:512
	global_load_u16 v13, v[18:19], off offset:1024
	;; [unrolled: 1-line block ×7, first 2 shown]
.LBB2084_356:                           ;   in Loop: Header=BB2084_354 Depth=2
	s_wait_alu 0xfffe
	s_and_not1_b32 vcc_lo, exec_lo, s0
	s_movk_i32 s0, 0x800
	s_wait_alu 0xfffe
	s_cbranch_vccnz .LBB2084_367
; %bb.357:                              ;   in Loop: Header=BB2084_354 Depth=2
	s_lshl_b64 s[0:1], s[30:31], 1
	s_mov_b32 s11, exec_lo
	s_wait_alu 0xfffe
	s_add_nc_u64 s[0:1], s[36:37], s[0:1]
	v_cmpx_gt_u32_e64 s9, v1
	s_cbranch_execnz .LBB2084_383
; %bb.358:                              ;   in Loop: Header=BB2084_354 Depth=2
	s_or_b32 exec_lo, exec_lo, s11
	s_delay_alu instid0(SALU_CYCLE_1)
	s_mov_b32 s11, exec_lo
	v_cmpx_gt_u32_e64 s9, v29
	s_cbranch_execnz .LBB2084_384
.LBB2084_359:                           ;   in Loop: Header=BB2084_354 Depth=2
	s_wait_alu 0xfffe
	s_or_b32 exec_lo, exec_lo, s11
	s_delay_alu instid0(SALU_CYCLE_1)
	s_mov_b32 s11, exec_lo
	v_cmpx_gt_u32_e64 s9, v30
	s_cbranch_execnz .LBB2084_385
.LBB2084_360:                           ;   in Loop: Header=BB2084_354 Depth=2
	s_wait_alu 0xfffe
	s_or_b32 exec_lo, exec_lo, s11
	s_delay_alu instid0(SALU_CYCLE_1)
	s_mov_b32 s11, exec_lo
	v_cmpx_gt_u32_e64 s9, v31
	s_cbranch_execnz .LBB2084_386
.LBB2084_361:                           ;   in Loop: Header=BB2084_354 Depth=2
	s_wait_alu 0xfffe
	s_or_b32 exec_lo, exec_lo, s11
	s_delay_alu instid0(SALU_CYCLE_1)
	s_mov_b32 s11, exec_lo
	v_cmpx_gt_u32_e64 s9, v34
	s_cbranch_execnz .LBB2084_387
.LBB2084_362:                           ;   in Loop: Header=BB2084_354 Depth=2
	s_wait_alu 0xfffe
	s_or_b32 exec_lo, exec_lo, s11
	s_delay_alu instid0(SALU_CYCLE_1)
	s_mov_b32 s11, exec_lo
	v_cmpx_gt_u32_e64 s9, v35
	s_cbranch_execnz .LBB2084_388
.LBB2084_363:                           ;   in Loop: Header=BB2084_354 Depth=2
	s_wait_alu 0xfffe
	s_or_b32 exec_lo, exec_lo, s11
	s_delay_alu instid0(SALU_CYCLE_1)
	s_mov_b32 s11, exec_lo
	v_cmpx_gt_u32_e64 s9, v36
	s_cbranch_execnz .LBB2084_389
.LBB2084_364:                           ;   in Loop: Header=BB2084_354 Depth=2
	s_wait_alu 0xfffe
	s_or_b32 exec_lo, exec_lo, s11
	s_delay_alu instid0(SALU_CYCLE_1)
	s_mov_b32 s11, exec_lo
	v_cmpx_gt_u32_e64 s9, v37
	s_cbranch_execz .LBB2084_366
.LBB2084_365:                           ;   in Loop: Header=BB2084_354 Depth=2
	global_load_u16 v2, v82, s[0:1] offset:3584
.LBB2084_366:                           ;   in Loop: Header=BB2084_354 Depth=2
	s_wait_alu 0xfffe
	s_or_b32 exec_lo, exec_lo, s11
	s_wait_loadcnt 0x0
	v_dual_mov_b32 v11, v10 :: v_dual_mov_b32 v12, v9
	v_dual_mov_b32 v13, v8 :: v_dual_mov_b32 v14, v7
	;; [unrolled: 1-line block ×4, first 2 shown]
	s_mov_b32 s0, s9
.LBB2084_367:                           ;   in Loop: Header=BB2084_354 Depth=2
	s_wait_loadcnt 0x0
	s_delay_alu instid0(VALU_DEP_1) | instskip(NEXT) | instid1(VALU_DEP_2)
	v_dual_mov_b32 v2, v18 :: v_dual_mov_b32 v5, v16
	v_dual_mov_b32 v4, v17 :: v_dual_mov_b32 v7, v14
	;; [unrolled: 1-line block ×3, first 2 shown]
	v_mov_b32_e32 v8, v13
	v_mov_b32_e32 v10, v11
	s_mov_b32 s1, exec_lo
	s_wait_alu 0xfffe
	v_cmpx_gt_u32_e64 s0, v1
	s_cbranch_execnz .LBB2084_375
; %bb.368:                              ;   in Loop: Header=BB2084_354 Depth=2
	s_or_b32 exec_lo, exec_lo, s1
	s_delay_alu instid0(SALU_CYCLE_1)
	s_mov_b32 s1, exec_lo
	v_cmpx_gt_u32_e64 s0, v29
	s_cbranch_execnz .LBB2084_376
.LBB2084_369:                           ;   in Loop: Header=BB2084_354 Depth=2
	s_wait_alu 0xfffe
	s_or_b32 exec_lo, exec_lo, s1
	s_delay_alu instid0(SALU_CYCLE_1)
	s_mov_b32 s1, exec_lo
	v_cmpx_gt_u32_e64 s0, v30
	s_cbranch_execnz .LBB2084_377
.LBB2084_370:                           ;   in Loop: Header=BB2084_354 Depth=2
	s_wait_alu 0xfffe
	s_or_b32 exec_lo, exec_lo, s1
	s_delay_alu instid0(SALU_CYCLE_1)
	s_mov_b32 s1, exec_lo
	v_cmpx_gt_u32_e64 s0, v31
	s_cbranch_execnz .LBB2084_378
.LBB2084_371:                           ;   in Loop: Header=BB2084_354 Depth=2
	s_wait_alu 0xfffe
	s_or_b32 exec_lo, exec_lo, s1
	s_delay_alu instid0(SALU_CYCLE_1)
	s_mov_b32 s1, exec_lo
	v_cmpx_gt_u32_e64 s0, v34
	s_cbranch_execnz .LBB2084_379
.LBB2084_372:                           ;   in Loop: Header=BB2084_354 Depth=2
	s_wait_alu 0xfffe
	s_or_b32 exec_lo, exec_lo, s1
	s_delay_alu instid0(SALU_CYCLE_1)
	s_mov_b32 s1, exec_lo
	v_cmpx_gt_u32_e64 s0, v35
	s_cbranch_execnz .LBB2084_380
.LBB2084_373:                           ;   in Loop: Header=BB2084_354 Depth=2
	s_wait_alu 0xfffe
	s_or_b32 exec_lo, exec_lo, s1
	s_delay_alu instid0(SALU_CYCLE_1)
	s_mov_b32 s1, exec_lo
	v_cmpx_gt_u32_e64 s0, v36
	s_cbranch_execnz .LBB2084_381
.LBB2084_374:                           ;   in Loop: Header=BB2084_354 Depth=2
	s_wait_alu 0xfffe
	s_or_b32 exec_lo, exec_lo, s1
	v_cmp_gt_u32_e32 vcc_lo, s0, v37
	s_and_saveexec_b32 s0, vcc_lo
	s_cbranch_execz .LBB2084_353
	s_branch .LBB2084_382
.LBB2084_375:                           ;   in Loop: Header=BB2084_354 Depth=2
	v_cmp_lt_i16_e32 vcc_lo, -1, v10
	s_wait_alu 0xfffd
	v_cndmask_b32_e64 v11, -1, 0xffff8000, vcc_lo
	s_delay_alu instid0(VALU_DEP_1) | instskip(NEXT) | instid1(VALU_DEP_1)
	v_xor_b32_e32 v11, v11, v10
	v_cmp_ne_u16_e32 vcc_lo, 0x7fff, v11
	s_wait_alu 0xfffd
	v_cndmask_b32_e32 v11, 0xffff8000, v11, vcc_lo
	s_delay_alu instid0(VALU_DEP_1) | instskip(NEXT) | instid1(VALU_DEP_1)
	v_and_b32_e32 v11, 0xffff, v11
	v_lshrrev_b32_e32 v11, s45, v11
	s_delay_alu instid0(VALU_DEP_1) | instskip(NEXT) | instid1(VALU_DEP_1)
	v_and_b32_e32 v11, s42, v11
	v_lshl_or_b32 v11, v11, 4, v39
	ds_add_u32 v11, v62
	s_or_b32 exec_lo, exec_lo, s1
	s_delay_alu instid0(SALU_CYCLE_1)
	s_mov_b32 s1, exec_lo
	v_cmpx_gt_u32_e64 s0, v29
	s_cbranch_execz .LBB2084_369
.LBB2084_376:                           ;   in Loop: Header=BB2084_354 Depth=2
	v_cmp_lt_i16_e32 vcc_lo, -1, v9
	s_wait_alu 0xfffd
	v_cndmask_b32_e64 v11, -1, 0xffff8000, vcc_lo
	s_delay_alu instid0(VALU_DEP_1) | instskip(NEXT) | instid1(VALU_DEP_1)
	v_xor_b32_e32 v11, v11, v9
	v_cmp_ne_u16_e32 vcc_lo, 0x7fff, v11
	s_wait_alu 0xfffd
	v_cndmask_b32_e32 v11, 0xffff8000, v11, vcc_lo
	s_delay_alu instid0(VALU_DEP_1) | instskip(NEXT) | instid1(VALU_DEP_1)
	v_and_b32_e32 v11, 0xffff, v11
	v_lshrrev_b32_e32 v11, s45, v11
	s_delay_alu instid0(VALU_DEP_1) | instskip(NEXT) | instid1(VALU_DEP_1)
	v_and_b32_e32 v11, s42, v11
	v_lshl_or_b32 v11, v11, 4, v39
	ds_add_u32 v11, v62
	s_wait_alu 0xfffe
	s_or_b32 exec_lo, exec_lo, s1
	s_delay_alu instid0(SALU_CYCLE_1)
	s_mov_b32 s1, exec_lo
	v_cmpx_gt_u32_e64 s0, v30
	s_cbranch_execz .LBB2084_370
.LBB2084_377:                           ;   in Loop: Header=BB2084_354 Depth=2
	v_cmp_lt_i16_e32 vcc_lo, -1, v8
	s_wait_alu 0xfffd
	v_cndmask_b32_e64 v11, -1, 0xffff8000, vcc_lo
	s_delay_alu instid0(VALU_DEP_1) | instskip(NEXT) | instid1(VALU_DEP_1)
	v_xor_b32_e32 v11, v11, v8
	v_cmp_ne_u16_e32 vcc_lo, 0x7fff, v11
	s_wait_alu 0xfffd
	v_cndmask_b32_e32 v11, 0xffff8000, v11, vcc_lo
	s_delay_alu instid0(VALU_DEP_1) | instskip(NEXT) | instid1(VALU_DEP_1)
	v_and_b32_e32 v11, 0xffff, v11
	v_lshrrev_b32_e32 v11, s45, v11
	s_delay_alu instid0(VALU_DEP_1) | instskip(NEXT) | instid1(VALU_DEP_1)
	v_and_b32_e32 v11, s42, v11
	v_lshl_or_b32 v11, v11, 4, v39
	ds_add_u32 v11, v62
	s_wait_alu 0xfffe
	s_or_b32 exec_lo, exec_lo, s1
	s_delay_alu instid0(SALU_CYCLE_1)
	s_mov_b32 s1, exec_lo
	v_cmpx_gt_u32_e64 s0, v31
	s_cbranch_execz .LBB2084_371
.LBB2084_378:                           ;   in Loop: Header=BB2084_354 Depth=2
	v_cmp_lt_i16_e32 vcc_lo, -1, v7
	s_wait_alu 0xfffd
	v_cndmask_b32_e64 v11, -1, 0xffff8000, vcc_lo
	s_delay_alu instid0(VALU_DEP_1) | instskip(NEXT) | instid1(VALU_DEP_1)
	v_xor_b32_e32 v11, v11, v7
	v_cmp_ne_u16_e32 vcc_lo, 0x7fff, v11
	s_wait_alu 0xfffd
	v_cndmask_b32_e32 v11, 0xffff8000, v11, vcc_lo
	s_delay_alu instid0(VALU_DEP_1) | instskip(NEXT) | instid1(VALU_DEP_1)
	v_and_b32_e32 v11, 0xffff, v11
	v_lshrrev_b32_e32 v11, s45, v11
	s_delay_alu instid0(VALU_DEP_1) | instskip(NEXT) | instid1(VALU_DEP_1)
	v_and_b32_e32 v11, s42, v11
	v_lshl_or_b32 v11, v11, 4, v39
	ds_add_u32 v11, v62
	s_wait_alu 0xfffe
	s_or_b32 exec_lo, exec_lo, s1
	s_delay_alu instid0(SALU_CYCLE_1)
	s_mov_b32 s1, exec_lo
	v_cmpx_gt_u32_e64 s0, v34
	s_cbranch_execz .LBB2084_372
.LBB2084_379:                           ;   in Loop: Header=BB2084_354 Depth=2
	v_cmp_lt_i16_e32 vcc_lo, -1, v6
	s_wait_alu 0xfffd
	v_cndmask_b32_e64 v11, -1, 0xffff8000, vcc_lo
	s_delay_alu instid0(VALU_DEP_1) | instskip(NEXT) | instid1(VALU_DEP_1)
	v_xor_b32_e32 v11, v11, v6
	v_cmp_ne_u16_e32 vcc_lo, 0x7fff, v11
	s_wait_alu 0xfffd
	v_cndmask_b32_e32 v11, 0xffff8000, v11, vcc_lo
	s_delay_alu instid0(VALU_DEP_1) | instskip(NEXT) | instid1(VALU_DEP_1)
	v_and_b32_e32 v11, 0xffff, v11
	v_lshrrev_b32_e32 v11, s45, v11
	s_delay_alu instid0(VALU_DEP_1) | instskip(NEXT) | instid1(VALU_DEP_1)
	v_and_b32_e32 v11, s42, v11
	v_lshl_or_b32 v11, v11, 4, v39
	ds_add_u32 v11, v62
	s_wait_alu 0xfffe
	s_or_b32 exec_lo, exec_lo, s1
	s_delay_alu instid0(SALU_CYCLE_1)
	s_mov_b32 s1, exec_lo
	v_cmpx_gt_u32_e64 s0, v35
	s_cbranch_execz .LBB2084_373
.LBB2084_380:                           ;   in Loop: Header=BB2084_354 Depth=2
	v_cmp_lt_i16_e32 vcc_lo, -1, v5
	s_wait_alu 0xfffd
	v_cndmask_b32_e64 v11, -1, 0xffff8000, vcc_lo
	s_delay_alu instid0(VALU_DEP_1) | instskip(NEXT) | instid1(VALU_DEP_1)
	v_xor_b32_e32 v11, v11, v5
	v_cmp_ne_u16_e32 vcc_lo, 0x7fff, v11
	s_wait_alu 0xfffd
	v_cndmask_b32_e32 v11, 0xffff8000, v11, vcc_lo
	s_delay_alu instid0(VALU_DEP_1) | instskip(NEXT) | instid1(VALU_DEP_1)
	v_and_b32_e32 v11, 0xffff, v11
	v_lshrrev_b32_e32 v11, s45, v11
	s_delay_alu instid0(VALU_DEP_1) | instskip(NEXT) | instid1(VALU_DEP_1)
	v_and_b32_e32 v11, s42, v11
	v_lshl_or_b32 v11, v11, 4, v39
	ds_add_u32 v11, v62
	s_wait_alu 0xfffe
	s_or_b32 exec_lo, exec_lo, s1
	s_delay_alu instid0(SALU_CYCLE_1)
	s_mov_b32 s1, exec_lo
	v_cmpx_gt_u32_e64 s0, v36
	s_cbranch_execz .LBB2084_374
.LBB2084_381:                           ;   in Loop: Header=BB2084_354 Depth=2
	v_cmp_lt_i16_e32 vcc_lo, -1, v4
	s_wait_alu 0xfffd
	v_cndmask_b32_e64 v11, -1, 0xffff8000, vcc_lo
	s_delay_alu instid0(VALU_DEP_1) | instskip(NEXT) | instid1(VALU_DEP_1)
	v_xor_b32_e32 v11, v11, v4
	v_cmp_ne_u16_e32 vcc_lo, 0x7fff, v11
	s_wait_alu 0xfffd
	v_cndmask_b32_e32 v11, 0xffff8000, v11, vcc_lo
	s_delay_alu instid0(VALU_DEP_1) | instskip(NEXT) | instid1(VALU_DEP_1)
	v_and_b32_e32 v11, 0xffff, v11
	v_lshrrev_b32_e32 v11, s45, v11
	s_delay_alu instid0(VALU_DEP_1) | instskip(NEXT) | instid1(VALU_DEP_1)
	v_and_b32_e32 v11, s42, v11
	v_lshl_or_b32 v11, v11, 4, v39
	ds_add_u32 v11, v62
	s_wait_alu 0xfffe
	s_or_b32 exec_lo, exec_lo, s1
	v_cmp_gt_u32_e32 vcc_lo, s0, v37
	s_and_saveexec_b32 s0, vcc_lo
	s_cbranch_execz .LBB2084_353
.LBB2084_382:                           ;   in Loop: Header=BB2084_354 Depth=2
	v_cmp_lt_i16_e32 vcc_lo, -1, v2
	s_wait_alu 0xfffd
	v_cndmask_b32_e64 v11, -1, 0xffff8000, vcc_lo
	s_delay_alu instid0(VALU_DEP_1) | instskip(NEXT) | instid1(VALU_DEP_1)
	v_xor_b32_e32 v11, v11, v2
	v_cmp_ne_u16_e32 vcc_lo, 0x7fff, v11
	s_wait_alu 0xfffd
	v_cndmask_b32_e32 v11, 0xffff8000, v11, vcc_lo
	s_delay_alu instid0(VALU_DEP_1) | instskip(NEXT) | instid1(VALU_DEP_1)
	v_and_b32_e32 v11, 0xffff, v11
	v_lshrrev_b32_e32 v11, s45, v11
	s_delay_alu instid0(VALU_DEP_1) | instskip(NEXT) | instid1(VALU_DEP_1)
	v_and_b32_e32 v11, s42, v11
	v_lshl_or_b32 v11, v11, 4, v39
	ds_add_u32 v11, v62
	s_branch .LBB2084_353
.LBB2084_383:                           ;   in Loop: Header=BB2084_354 Depth=2
	global_load_u16 v10, v82, s[0:1]
	s_or_b32 exec_lo, exec_lo, s11
	s_delay_alu instid0(SALU_CYCLE_1)
	s_mov_b32 s11, exec_lo
	v_cmpx_gt_u32_e64 s9, v29
	s_cbranch_execz .LBB2084_359
.LBB2084_384:                           ;   in Loop: Header=BB2084_354 Depth=2
	global_load_u16 v9, v82, s[0:1] offset:512
	s_wait_alu 0xfffe
	s_or_b32 exec_lo, exec_lo, s11
	s_delay_alu instid0(SALU_CYCLE_1)
	s_mov_b32 s11, exec_lo
	v_cmpx_gt_u32_e64 s9, v30
	s_cbranch_execz .LBB2084_360
.LBB2084_385:                           ;   in Loop: Header=BB2084_354 Depth=2
	global_load_u16 v8, v82, s[0:1] offset:1024
	s_wait_alu 0xfffe
	s_or_b32 exec_lo, exec_lo, s11
	s_delay_alu instid0(SALU_CYCLE_1)
	s_mov_b32 s11, exec_lo
	v_cmpx_gt_u32_e64 s9, v31
	s_cbranch_execz .LBB2084_361
.LBB2084_386:                           ;   in Loop: Header=BB2084_354 Depth=2
	global_load_u16 v7, v82, s[0:1] offset:1536
	s_wait_alu 0xfffe
	s_or_b32 exec_lo, exec_lo, s11
	s_delay_alu instid0(SALU_CYCLE_1)
	s_mov_b32 s11, exec_lo
	v_cmpx_gt_u32_e64 s9, v34
	s_cbranch_execz .LBB2084_362
.LBB2084_387:                           ;   in Loop: Header=BB2084_354 Depth=2
	global_load_u16 v6, v82, s[0:1] offset:2048
	s_wait_alu 0xfffe
	s_or_b32 exec_lo, exec_lo, s11
	s_delay_alu instid0(SALU_CYCLE_1)
	s_mov_b32 s11, exec_lo
	v_cmpx_gt_u32_e64 s9, v35
	s_cbranch_execz .LBB2084_363
.LBB2084_388:                           ;   in Loop: Header=BB2084_354 Depth=2
	global_load_u16 v5, v82, s[0:1] offset:2560
	s_wait_alu 0xfffe
	s_or_b32 exec_lo, exec_lo, s11
	s_delay_alu instid0(SALU_CYCLE_1)
	s_mov_b32 s11, exec_lo
	v_cmpx_gt_u32_e64 s9, v36
	s_cbranch_execz .LBB2084_364
.LBB2084_389:                           ;   in Loop: Header=BB2084_354 Depth=2
	global_load_u16 v4, v82, s[0:1] offset:3072
	s_wait_alu 0xfffe
	s_or_b32 exec_lo, exec_lo, s11
	s_delay_alu instid0(SALU_CYCLE_1)
	s_mov_b32 s11, exec_lo
	v_cmpx_gt_u32_e64 s9, v37
	s_cbranch_execnz .LBB2084_365
	s_branch .LBB2084_366
.LBB2084_390:                           ;   in Loop: Header=BB2084_20 Depth=1
	v_mov_b32_e32 v2, 0
	s_wait_dscnt 0x0
	s_barrier_signal -1
	s_barrier_wait -1
	global_inv scope:SCOPE_SE
	s_and_saveexec_b32 s0, s2
	s_cbranch_execz .LBB2084_392
; %bb.391:                              ;   in Loop: Header=BB2084_20 Depth=1
	ds_load_2addr_b64 v[4:7], v40 offset1:1
	s_wait_dscnt 0x0
	v_add_nc_u32_e32 v2, v5, v4
	s_delay_alu instid0(VALU_DEP_1)
	v_add3_u32 v2, v2, v6, v7
.LBB2084_392:                           ;   in Loop: Header=BB2084_20 Depth=1
	s_wait_alu 0xfffe
	s_or_b32 exec_lo, exec_lo, s0
	s_delay_alu instid0(VALU_DEP_1)
	v_mov_b32_dpp v4, v2 row_shr:1 row_mask:0xf bank_mask:0xf
	v_cmp_eq_u32_e64 s0, 0, v63
	v_cmp_lt_u32_e64 s1, 1, v63
	v_cmp_lt_u32_e64 s9, 3, v63
	;; [unrolled: 1-line block ×3, first 2 shown]
	v_cmp_eq_u32_e64 s11, 0, v65
	s_wait_alu 0xf1ff
	v_cndmask_b32_e64 v4, v4, 0, s0
	s_delay_alu instid0(VALU_DEP_1) | instskip(NEXT) | instid1(VALU_DEP_1)
	v_add_nc_u32_e32 v2, v4, v2
	v_mov_b32_dpp v4, v2 row_shr:2 row_mask:0xf bank_mask:0xf
	s_delay_alu instid0(VALU_DEP_1) | instskip(NEXT) | instid1(VALU_DEP_1)
	v_cndmask_b32_e64 v4, 0, v4, s1
	v_add_nc_u32_e32 v2, v2, v4
	s_delay_alu instid0(VALU_DEP_1) | instskip(NEXT) | instid1(VALU_DEP_1)
	v_mov_b32_dpp v4, v2 row_shr:4 row_mask:0xf bank_mask:0xf
	v_cndmask_b32_e64 v4, 0, v4, s9
	s_delay_alu instid0(VALU_DEP_1) | instskip(NEXT) | instid1(VALU_DEP_1)
	v_add_nc_u32_e32 v2, v2, v4
	v_mov_b32_dpp v4, v2 row_shr:8 row_mask:0xf bank_mask:0xf
	s_delay_alu instid0(VALU_DEP_1) | instskip(NEXT) | instid1(VALU_DEP_1)
	v_cndmask_b32_e64 v4, 0, v4, s10
	v_add_nc_u32_e32 v2, v2, v4
	ds_swizzle_b32 v4, v2 offset:swizzle(BROADCAST,32,15)
	s_wait_dscnt 0x0
	v_and_b32_e32 v4, v64, v4
	s_delay_alu instid0(VALU_DEP_1)
	v_add_nc_u32_e32 v2, v2, v4
	s_and_saveexec_b32 s12, s3
; %bb.393:                              ;   in Loop: Header=BB2084_20 Depth=1
	ds_store_b32 v41, v2
; %bb.394:                              ;   in Loop: Header=BB2084_20 Depth=1
	s_wait_alu 0xfffe
	s_or_b32 exec_lo, exec_lo, s12
	s_wait_loadcnt_dscnt 0x0
	s_barrier_signal -1
	s_barrier_wait -1
	global_inv scope:SCOPE_SE
	s_and_saveexec_b32 s12, s4
	s_cbranch_execz .LBB2084_396
; %bb.395:                              ;   in Loop: Header=BB2084_20 Depth=1
	ds_load_b32 v4, v42
	v_cmp_ne_u32_e32 vcc_lo, 0, v67
	s_wait_dscnt 0x0
	v_mov_b32_dpp v5, v4 row_shr:1 row_mask:0xf bank_mask:0xf
	s_wait_alu 0xfffd
	s_delay_alu instid0(VALU_DEP_1) | instskip(SKIP_1) | instid1(VALU_DEP_2)
	v_cndmask_b32_e32 v5, 0, v5, vcc_lo
	v_cmp_lt_u32_e32 vcc_lo, 1, v67
	v_add_nc_u32_e32 v4, v5, v4
	s_delay_alu instid0(VALU_DEP_1) | instskip(SKIP_1) | instid1(VALU_DEP_1)
	v_mov_b32_dpp v5, v4 row_shr:2 row_mask:0xf bank_mask:0xf
	s_wait_alu 0xfffd
	v_cndmask_b32_e32 v5, 0, v5, vcc_lo
	v_cmp_lt_u32_e32 vcc_lo, 3, v67
	s_delay_alu instid0(VALU_DEP_2) | instskip(NEXT) | instid1(VALU_DEP_1)
	v_add_nc_u32_e32 v4, v4, v5
	v_mov_b32_dpp v5, v4 row_shr:4 row_mask:0xf bank_mask:0xf
	s_wait_alu 0xfffd
	s_delay_alu instid0(VALU_DEP_1) | instskip(NEXT) | instid1(VALU_DEP_1)
	v_cndmask_b32_e32 v5, 0, v5, vcc_lo
	v_add_nc_u32_e32 v4, v4, v5
	ds_store_b32 v42, v4
.LBB2084_396:                           ;   in Loop: Header=BB2084_20 Depth=1
	s_wait_alu 0xfffe
	s_or_b32 exec_lo, exec_lo, s12
	v_mov_b32_e32 v4, 0
	s_wait_loadcnt_dscnt 0x0
	s_barrier_signal -1
	s_barrier_wait -1
	global_inv scope:SCOPE_SE
	s_and_saveexec_b32 s12, s5
; %bb.397:                              ;   in Loop: Header=BB2084_20 Depth=1
	ds_load_b32 v4, v44
; %bb.398:                              ;   in Loop: Header=BB2084_20 Depth=1
	s_wait_alu 0xfffe
	s_or_b32 exec_lo, exec_lo, s12
	v_cmp_gt_i32_e32 vcc_lo, 0, v68
	s_wait_dscnt 0x0
	v_add_nc_u32_e32 v2, v4, v2
	s_wait_loadcnt 0x0
	s_barrier_signal -1
	s_barrier_wait -1
	s_wait_alu 0xfffd
	v_cndmask_b32_e32 v5, v68, v59, vcc_lo
	global_inv scope:SCOPE_SE
	v_lshlrev_b32_e32 v87, 2, v5
	ds_bpermute_b32 v2, v87, v2
	s_and_saveexec_b32 s12, s2
	s_cbranch_execz .LBB2084_400
; %bb.399:                              ;   in Loop: Header=BB2084_20 Depth=1
	s_wait_dscnt 0x0
	v_cndmask_b32_e64 v2, v2, v4, s8
	s_delay_alu instid0(VALU_DEP_1)
	v_add_nc_u32_e32 v2, s33, v2
	ds_store_b32 v28, v2
.LBB2084_400:                           ;   in Loop: Header=BB2084_20 Depth=1
	s_wait_alu 0xfffe
	s_or_b32 exec_lo, exec_lo, s12
	s_load_b64 s[12:13], s[28:29], 0x0
	v_add_co_u32 v88, vcc_lo, v57, v69
	s_wait_alu 0xfffd
	v_add_co_ci_u32_e64 v89, null, 0, v58, vcc_lo
	v_add_co_u32 v90, vcc_lo, v60, v77
	s_wait_alu 0xfffd
	v_add_co_ci_u32_e64 v91, null, 0, v61, vcc_lo
	s_mov_b32 s43, s47
                                        ; implicit-def: $vgpr6_vgpr7
                                        ; implicit-def: $vgpr8_vgpr9
                                        ; implicit-def: $vgpr10_vgpr11
                                        ; implicit-def: $vgpr12_vgpr13
                                        ; implicit-def: $vgpr14_vgpr15
                                        ; implicit-def: $vgpr16_vgpr17
                                        ; implicit-def: $vgpr18_vgpr19
                                        ; implicit-def: $vgpr93
                                        ; implicit-def: $vgpr94
                                        ; implicit-def: $vgpr95
                                        ; implicit-def: $vgpr96
                                        ; implicit-def: $vgpr97
                                        ; implicit-def: $vgpr98
                                        ; implicit-def: $vgpr99
                                        ; implicit-def: $vgpr100
	s_wait_kmcnt 0x0
	s_cmp_lt_u32 ttmp7, s13
	s_cselect_b32 s30, 14, 20
	s_cmp_lt_u32 ttmp9, s12
	s_wait_alu 0xfffe
	s_add_nc_u64 s[14:15], s[28:29], s[30:31]
	s_cselect_b32 s30, 12, 18
	s_load_u16 s14, s[14:15], 0x0
	s_add_nc_u64 s[12:13], s[28:29], s[30:31]
	s_mov_b32 s30, s33
	s_load_u16 s12, s[12:13], 0x0
	v_cmp_lt_u32_e64 s13, 1, v67
	s_wait_dscnt 0x0
	s_wait_kmcnt 0x0
	v_mad_u32_u24 v2, v45, s14, v0
	v_cmp_lt_u32_e64 s14, 3, v67
	s_delay_alu instid0(VALU_DEP_2) | instskip(SKIP_1) | instid1(VALU_DEP_2)
	v_mad_co_u64_u32 v[4:5], null, v2, s12, v[1:2]
	v_cmp_eq_u32_e64 s12, 0, v67
	v_lshrrev_b32_e32 v2, 3, v4
                                        ; implicit-def: $vgpr4_vgpr5
	s_delay_alu instid0(VALU_DEP_1)
	v_and_b32_e32 v92, 0x1ffffffc, v2
	s_branch .LBB2084_402
.LBB2084_401:                           ;   in Loop: Header=BB2084_402 Depth=2
	s_wait_alu 0xfffe
	s_or_b32 exec_lo, exec_lo, s15
	s_addk_co_i32 s43, 0xf800
	s_cmp_lt_u32 s44, s34
	s_mov_b32 s30, s44
	s_cbranch_scc0 .LBB2084_514
.LBB2084_402:                           ;   Parent Loop BB2084_20 Depth=1
                                        ; =>  This Inner Loop Header: Depth=2
	s_wait_alu 0xfffe
	s_add_co_i32 s44, s30, 0x800
	s_wait_alu 0xfffe
	s_cmp_gt_u32 s44, s34
	s_cbranch_scc1 .LBB2084_404
; %bb.403:                              ;   in Loop: Header=BB2084_402 Depth=2
	s_lshl_b64 s[16:17], s[30:31], 1
	s_mov_b32 s15, -1
	s_wait_alu 0xfffe
	v_add_co_u32 v20, vcc_lo, v90, s16
	s_wait_alu 0xfffd
	v_add_co_ci_u32_e64 v21, null, s17, v91, vcc_lo
	s_clause 0x6
	global_load_u16 v2, v[20:21], off
	global_load_u16 v27, v[20:21], off offset:64
	global_load_u16 v26, v[20:21], off offset:128
	global_load_u16 v25, v[20:21], off offset:192
	global_load_u16 v24, v[20:21], off offset:256
	global_load_u16 v23, v[20:21], off offset:320
	global_load_u16 v22, v[20:21], off offset:384
	s_movk_i32 s16, 0x800
	s_cbranch_execz .LBB2084_405
	s_branch .LBB2084_420
.LBB2084_404:                           ;   in Loop: Header=BB2084_402 Depth=2
	s_mov_b32 s15, 0
                                        ; implicit-def: $vgpr2
                                        ; implicit-def: $vgpr27
                                        ; implicit-def: $vgpr26
                                        ; implicit-def: $vgpr25
                                        ; implicit-def: $vgpr24
                                        ; implicit-def: $vgpr23
                                        ; implicit-def: $vgpr22
	s_movk_i32 s16, 0x800
.LBB2084_405:                           ;   in Loop: Header=BB2084_402 Depth=2
	s_lshl_b64 s[16:17], s[30:31], 1
	s_wait_loadcnt 0x5
	v_dual_mov_b32 v27, 0x7fff :: v_dual_mov_b32 v2, 0x7fff
	s_wait_alu 0xfffe
	v_add_co_u32 v20, vcc_lo, v90, s16
	s_wait_alu 0xfffd
	v_add_co_ci_u32_e64 v21, null, s17, v91, vcc_lo
	s_mov_b32 s15, exec_lo
	v_cmpx_gt_u32_e64 s43, v66
	s_cbranch_execz .LBB2084_407
; %bb.406:                              ;   in Loop: Header=BB2084_402 Depth=2
	global_load_u16 v2, v[20:21], off
.LBB2084_407:                           ;   in Loop: Header=BB2084_402 Depth=2
	s_wait_alu 0xfffe
	s_or_b32 exec_lo, exec_lo, s15
	s_delay_alu instid0(SALU_CYCLE_1)
	s_mov_b32 s15, exec_lo
	v_cmpx_gt_u32_e64 s43, v70
	s_cbranch_execz .LBB2084_409
; %bb.408:                              ;   in Loop: Header=BB2084_402 Depth=2
	global_load_u16 v27, v[20:21], off offset:64
.LBB2084_409:                           ;   in Loop: Header=BB2084_402 Depth=2
	s_wait_alu 0xfffe
	s_or_b32 exec_lo, exec_lo, s15
	s_wait_loadcnt 0x3
	v_dual_mov_b32 v25, 0x7fff :: v_dual_mov_b32 v26, 0x7fff
	s_mov_b32 s15, exec_lo
	v_cmpx_gt_u32_e64 s43, v71
	s_cbranch_execz .LBB2084_411
; %bb.410:                              ;   in Loop: Header=BB2084_402 Depth=2
	global_load_u16 v26, v[20:21], off offset:128
.LBB2084_411:                           ;   in Loop: Header=BB2084_402 Depth=2
	s_wait_alu 0xfffe
	s_or_b32 exec_lo, exec_lo, s15
	s_delay_alu instid0(SALU_CYCLE_1)
	s_mov_b32 s15, exec_lo
	v_cmpx_gt_u32_e64 s43, v72
	s_cbranch_execz .LBB2084_413
; %bb.412:                              ;   in Loop: Header=BB2084_402 Depth=2
	global_load_u16 v25, v[20:21], off offset:192
.LBB2084_413:                           ;   in Loop: Header=BB2084_402 Depth=2
	s_wait_alu 0xfffe
	s_or_b32 exec_lo, exec_lo, s15
	s_wait_loadcnt 0x1
	v_dual_mov_b32 v23, 0x7fff :: v_dual_mov_b32 v24, 0x7fff
	s_mov_b32 s15, exec_lo
	v_cmpx_gt_u32_e64 s43, v73
	s_cbranch_execz .LBB2084_415
; %bb.414:                              ;   in Loop: Header=BB2084_402 Depth=2
	global_load_u16 v24, v[20:21], off offset:256
.LBB2084_415:                           ;   in Loop: Header=BB2084_402 Depth=2
	s_wait_alu 0xfffe
	s_or_b32 exec_lo, exec_lo, s15
	s_delay_alu instid0(SALU_CYCLE_1)
	s_mov_b32 s15, exec_lo
	v_cmpx_gt_u32_e64 s43, v74
	s_cbranch_execz .LBB2084_417
; %bb.416:                              ;   in Loop: Header=BB2084_402 Depth=2
	global_load_u16 v23, v[20:21], off offset:320
.LBB2084_417:                           ;   in Loop: Header=BB2084_402 Depth=2
	s_wait_alu 0xfffe
	s_or_b32 exec_lo, exec_lo, s15
	s_wait_loadcnt 0x0
	v_mov_b32_e32 v22, 0x7fff
	s_mov_b32 s15, exec_lo
	v_cmpx_gt_u32_e64 s43, v75
	s_cbranch_execz .LBB2084_419
; %bb.418:                              ;   in Loop: Header=BB2084_402 Depth=2
	global_load_u16 v22, v[20:21], off offset:384
.LBB2084_419:                           ;   in Loop: Header=BB2084_402 Depth=2
	s_wait_alu 0xfffe
	s_or_b32 exec_lo, exec_lo, s15
	v_cmp_gt_u32_e64 s15, s43, v76
	s_sub_co_i32 s16, s34, s30
.LBB2084_420:                           ;   in Loop: Header=BB2084_402 Depth=2
	v_dual_mov_b32 v20, 0x7fff :: v_dual_mov_b32 v101, s43
	s_and_saveexec_b32 s17, s15
	s_cbranch_execz .LBB2084_422
; %bb.421:                              ;   in Loop: Header=BB2084_402 Depth=2
	s_lshl_b64 s[18:19], s[30:31], 1
	s_wait_alu 0xfffe
	v_mov_b32_e32 v101, s16
	v_add_co_u32 v20, vcc_lo, v90, s18
	s_wait_alu 0xfffd
	v_add_co_ci_u32_e64 v21, null, s19, v91, vcc_lo
	global_load_u16 v20, v[20:21], off offset:448
.LBB2084_422:                           ;   in Loop: Header=BB2084_402 Depth=2
	s_wait_alu 0xfffe
	s_or_b32 exec_lo, exec_lo, s17
	s_wait_loadcnt 0x6
	v_cmp_lt_i16_e32 vcc_lo, -1, v2
	ds_store_2addr_b32 v81, v3, v3 offset1:1
	ds_store_2addr_b32 v78, v3, v3 offset1:1
	;; [unrolled: 1-line block ×4, first 2 shown]
	ds_store_b32 v43, v3 offset:1088
	s_wait_loadcnt_dscnt 0x0
	s_barrier_signal -1
	s_wait_alu 0xfffd
	v_cndmask_b32_e64 v21, -1, 0xffff8000, vcc_lo
	s_barrier_wait -1
	global_inv scope:SCOPE_SE
	; wave barrier
	v_xor_b32_e32 v2, v21, v2
	s_delay_alu instid0(VALU_DEP_1) | instskip(SKIP_2) | instid1(VALU_DEP_1)
	v_cmp_ne_u16_e32 vcc_lo, 0x7fff, v2
	s_wait_alu 0xfffd
	v_cndmask_b32_e32 v21, 0xffff8000, v2, vcc_lo
	v_and_b32_e32 v21, 0xffff, v21
	s_delay_alu instid0(VALU_DEP_1) | instskip(NEXT) | instid1(VALU_DEP_1)
	v_lshrrev_b32_e32 v21, s45, v21
	v_and_b32_e32 v103, s42, v21
	s_delay_alu instid0(VALU_DEP_1)
	v_and_b32_e32 v21, 1, v103
	v_lshlrev_b32_e32 v102, 30, v103
	v_lshlrev_b32_e32 v104, 29, v103
	;; [unrolled: 1-line block ×4, first 2 shown]
	v_add_co_u32 v21, s15, v21, -1
	s_wait_alu 0xf1ff
	v_cndmask_b32_e64 v106, 0, 1, s15
	v_not_b32_e32 v110, v102
	v_cmp_gt_i32_e64 s15, 0, v102
	v_not_b32_e32 v102, v104
	v_lshlrev_b32_e32 v108, 26, v103
	v_cmp_ne_u32_e32 vcc_lo, 0, v106
	v_ashrrev_i32_e32 v110, 31, v110
	v_lshlrev_b32_e32 v109, 25, v103
	v_ashrrev_i32_e32 v102, 31, v102
	v_lshlrev_b32_e32 v106, 24, v103
	s_wait_alu 0xfffd
	v_xor_b32_e32 v21, vcc_lo, v21
	v_cmp_gt_i32_e32 vcc_lo, 0, v104
	v_not_b32_e32 v104, v105
	s_wait_alu 0xf1ff
	v_xor_b32_e32 v110, s15, v110
	v_cmp_gt_i32_e64 s15, 0, v105
	v_and_b32_e32 v21, exec_lo, v21
	v_not_b32_e32 v105, v107
	v_ashrrev_i32_e32 v104, 31, v104
	s_wait_alu 0xfffd
	v_xor_b32_e32 v102, vcc_lo, v102
	v_cmp_gt_i32_e32 vcc_lo, 0, v107
	v_and_b32_e32 v21, v21, v110
	v_not_b32_e32 v107, v108
	v_ashrrev_i32_e32 v105, 31, v105
	s_wait_alu 0xf1ff
	v_xor_b32_e32 v104, s15, v104
	v_cmp_gt_i32_e64 s15, 0, v108
	v_and_b32_e32 v21, v21, v102
	v_not_b32_e32 v102, v109
	v_ashrrev_i32_e32 v107, 31, v107
	s_wait_alu 0xfffd
	v_xor_b32_e32 v105, vcc_lo, v105
	v_cmp_gt_i32_e32 vcc_lo, 0, v109
	v_and_b32_e32 v21, v21, v104
	v_not_b32_e32 v104, v106
	v_ashrrev_i32_e32 v102, 31, v102
	s_wait_alu 0xf1ff
	v_xor_b32_e32 v107, s15, v107
	v_cmp_gt_i32_e64 s15, 0, v106
	v_and_b32_e32 v21, v21, v105
	v_ashrrev_i32_e32 v104, 31, v104
	s_wait_alu 0xfffd
	v_xor_b32_e32 v102, vcc_lo, v102
	v_mul_u32_u24_e32 v103, 36, v103
	v_and_b32_e32 v21, v21, v107
	s_wait_alu 0xf1ff
	v_xor_b32_e32 v104, s15, v104
	s_delay_alu instid0(VALU_DEP_2) | instskip(NEXT) | instid1(VALU_DEP_1)
	v_and_b32_e32 v21, v21, v102
	v_and_b32_e32 v21, v21, v104
	v_add_nc_u32_e32 v104, v92, v103
	s_delay_alu instid0(VALU_DEP_2) | instskip(SKIP_1) | instid1(VALU_DEP_2)
	v_mbcnt_lo_u32_b32 v102, v21, 0
	v_cmp_ne_u32_e64 s15, 0, v21
	v_cmp_eq_u32_e32 vcc_lo, 0, v102
	s_and_b32 s16, s15, vcc_lo
	s_wait_alu 0xfffe
	s_and_saveexec_b32 s15, s16
; %bb.423:                              ;   in Loop: Header=BB2084_402 Depth=2
	v_bcnt_u32_b32 v21, v21, 0
	ds_store_b32 v104, v21 offset:1056
; %bb.424:                              ;   in Loop: Header=BB2084_402 Depth=2
	s_wait_alu 0xfffe
	s_or_b32 exec_lo, exec_lo, s15
	v_cmp_lt_i16_e32 vcc_lo, -1, v27
	; wave barrier
	s_wait_alu 0xfffd
	v_cndmask_b32_e64 v21, -1, 0xffff8000, vcc_lo
	s_delay_alu instid0(VALU_DEP_1) | instskip(NEXT) | instid1(VALU_DEP_1)
	v_xor_b32_e32 v103, v21, v27
	v_cmp_ne_u16_e32 vcc_lo, 0x7fff, v103
	s_wait_alu 0xfffd
	v_cndmask_b32_e32 v21, 0xffff8000, v103, vcc_lo
	s_delay_alu instid0(VALU_DEP_1) | instskip(NEXT) | instid1(VALU_DEP_1)
	v_and_b32_e32 v21, 0xffff, v21
	v_lshrrev_b32_e32 v21, s45, v21
	s_delay_alu instid0(VALU_DEP_1) | instskip(NEXT) | instid1(VALU_DEP_1)
	v_and_b32_e32 v27, s42, v21
	v_and_b32_e32 v21, 1, v27
	v_lshlrev_b32_e32 v105, 30, v27
	v_lshlrev_b32_e32 v106, 29, v27
	;; [unrolled: 1-line block ×4, first 2 shown]
	v_add_co_u32 v21, s15, v21, -1
	s_wait_alu 0xf1ff
	v_cndmask_b32_e64 v108, 0, 1, s15
	v_not_b32_e32 v112, v105
	v_cmp_gt_i32_e64 s15, 0, v105
	v_not_b32_e32 v105, v106
	v_lshlrev_b32_e32 v110, 26, v27
	v_cmp_ne_u32_e32 vcc_lo, 0, v108
	v_ashrrev_i32_e32 v112, 31, v112
	v_lshlrev_b32_e32 v111, 25, v27
	v_ashrrev_i32_e32 v105, 31, v105
	v_lshlrev_b32_e32 v108, 24, v27
	s_wait_alu 0xfffd
	v_xor_b32_e32 v21, vcc_lo, v21
	v_cmp_gt_i32_e32 vcc_lo, 0, v106
	v_not_b32_e32 v106, v107
	s_wait_alu 0xf1ff
	v_xor_b32_e32 v112, s15, v112
	v_cmp_gt_i32_e64 s15, 0, v107
	v_and_b32_e32 v21, exec_lo, v21
	v_not_b32_e32 v107, v109
	v_ashrrev_i32_e32 v106, 31, v106
	s_wait_alu 0xfffd
	v_xor_b32_e32 v105, vcc_lo, v105
	v_cmp_gt_i32_e32 vcc_lo, 0, v109
	v_and_b32_e32 v21, v21, v112
	v_not_b32_e32 v109, v110
	v_ashrrev_i32_e32 v107, 31, v107
	s_wait_alu 0xf1ff
	v_xor_b32_e32 v106, s15, v106
	v_cmp_gt_i32_e64 s15, 0, v110
	v_and_b32_e32 v21, v21, v105
	v_not_b32_e32 v105, v111
	v_ashrrev_i32_e32 v109, 31, v109
	s_wait_alu 0xfffd
	v_xor_b32_e32 v107, vcc_lo, v107
	v_cmp_gt_i32_e32 vcc_lo, 0, v111
	v_and_b32_e32 v21, v21, v106
	v_not_b32_e32 v106, v108
	v_ashrrev_i32_e32 v105, 31, v105
	s_wait_alu 0xf1ff
	v_xor_b32_e32 v109, s15, v109
	v_cmp_gt_i32_e64 s15, 0, v108
	v_and_b32_e32 v21, v21, v107
	v_ashrrev_i32_e32 v106, 31, v106
	s_wait_alu 0xfffd
	v_xor_b32_e32 v105, vcc_lo, v105
	v_mad_u32_u24 v107, v27, 36, v92
	v_mul_u32_u24_e32 v27, 36, v27
	v_and_b32_e32 v21, v21, v109
	s_wait_alu 0xf1ff
	v_xor_b32_e32 v106, s15, v106
	s_delay_alu instid0(VALU_DEP_3) | instskip(NEXT) | instid1(VALU_DEP_3)
	v_add_nc_u32_e32 v108, v92, v27
	v_and_b32_e32 v21, v21, v105
	ds_load_b32 v105, v107 offset:1056
	; wave barrier
	v_and_b32_e32 v21, v21, v106
	s_delay_alu instid0(VALU_DEP_1) | instskip(SKIP_1) | instid1(VALU_DEP_2)
	v_mbcnt_lo_u32_b32 v106, v21, 0
	v_cmp_ne_u32_e64 s15, 0, v21
	v_cmp_eq_u32_e32 vcc_lo, 0, v106
	s_and_b32 s16, s15, vcc_lo
	s_wait_alu 0xfffe
	s_and_saveexec_b32 s15, s16
	s_cbranch_execz .LBB2084_426
; %bb.425:                              ;   in Loop: Header=BB2084_402 Depth=2
	s_wait_dscnt 0x0
	v_bcnt_u32_b32 v21, v21, v105
	ds_store_b32 v108, v21 offset:1056
.LBB2084_426:                           ;   in Loop: Header=BB2084_402 Depth=2
	s_wait_alu 0xfffe
	s_or_b32 exec_lo, exec_lo, s15
	v_cmp_lt_i16_e32 vcc_lo, -1, v26
	; wave barrier
	s_wait_alu 0xfffd
	v_cndmask_b32_e64 v21, -1, 0xffff8000, vcc_lo
	s_delay_alu instid0(VALU_DEP_1) | instskip(NEXT) | instid1(VALU_DEP_1)
	v_xor_b32_e32 v107, v21, v26
	v_cmp_ne_u16_e32 vcc_lo, 0x7fff, v107
	s_wait_alu 0xfffd
	v_cndmask_b32_e32 v21, 0xffff8000, v107, vcc_lo
	s_delay_alu instid0(VALU_DEP_1) | instskip(NEXT) | instid1(VALU_DEP_1)
	v_and_b32_e32 v21, 0xffff, v21
	v_lshrrev_b32_e32 v21, s45, v21
	s_delay_alu instid0(VALU_DEP_1) | instskip(NEXT) | instid1(VALU_DEP_1)
	v_and_b32_e32 v26, s42, v21
	v_and_b32_e32 v21, 1, v26
	v_lshlrev_b32_e32 v27, 30, v26
	v_lshlrev_b32_e32 v109, 29, v26
	;; [unrolled: 1-line block ×4, first 2 shown]
	v_add_co_u32 v21, s15, v21, -1
	s_wait_alu 0xf1ff
	v_cndmask_b32_e64 v111, 0, 1, s15
	v_not_b32_e32 v115, v27
	v_cmp_gt_i32_e64 s15, 0, v27
	v_not_b32_e32 v27, v109
	v_lshlrev_b32_e32 v113, 26, v26
	v_cmp_ne_u32_e32 vcc_lo, 0, v111
	v_ashrrev_i32_e32 v115, 31, v115
	v_lshlrev_b32_e32 v114, 25, v26
	v_ashrrev_i32_e32 v27, 31, v27
	v_lshlrev_b32_e32 v111, 24, v26
	s_wait_alu 0xfffd
	v_xor_b32_e32 v21, vcc_lo, v21
	v_cmp_gt_i32_e32 vcc_lo, 0, v109
	v_not_b32_e32 v109, v110
	s_wait_alu 0xf1ff
	v_xor_b32_e32 v115, s15, v115
	v_cmp_gt_i32_e64 s15, 0, v110
	v_and_b32_e32 v21, exec_lo, v21
	v_not_b32_e32 v110, v112
	v_ashrrev_i32_e32 v109, 31, v109
	s_wait_alu 0xfffd
	v_xor_b32_e32 v27, vcc_lo, v27
	v_cmp_gt_i32_e32 vcc_lo, 0, v112
	v_and_b32_e32 v21, v21, v115
	v_not_b32_e32 v112, v113
	v_ashrrev_i32_e32 v110, 31, v110
	s_wait_alu 0xf1ff
	v_xor_b32_e32 v109, s15, v109
	v_cmp_gt_i32_e64 s15, 0, v113
	v_and_b32_e32 v21, v21, v27
	v_not_b32_e32 v27, v114
	v_ashrrev_i32_e32 v112, 31, v112
	s_wait_alu 0xfffd
	v_xor_b32_e32 v110, vcc_lo, v110
	v_cmp_gt_i32_e32 vcc_lo, 0, v114
	v_and_b32_e32 v21, v21, v109
	v_not_b32_e32 v109, v111
	v_ashrrev_i32_e32 v27, 31, v27
	s_wait_alu 0xf1ff
	v_xor_b32_e32 v112, s15, v112
	v_cmp_gt_i32_e64 s15, 0, v111
	v_and_b32_e32 v21, v21, v110
	v_ashrrev_i32_e32 v109, 31, v109
	s_wait_alu 0xfffd
	v_xor_b32_e32 v27, vcc_lo, v27
	v_mad_u32_u24 v110, v26, 36, v92
	v_mul_u32_u24_e32 v26, 36, v26
	v_and_b32_e32 v21, v21, v112
	s_wait_alu 0xf1ff
	v_xor_b32_e32 v111, s15, v109
	ds_load_b32 v109, v110 offset:1056
	v_add_nc_u32_e32 v112, v92, v26
	v_and_b32_e32 v21, v21, v27
	; wave barrier
	s_delay_alu instid0(VALU_DEP_1) | instskip(NEXT) | instid1(VALU_DEP_1)
	v_and_b32_e32 v21, v21, v111
	v_mbcnt_lo_u32_b32 v111, v21, 0
	v_cmp_ne_u32_e64 s15, 0, v21
	s_delay_alu instid0(VALU_DEP_2)
	v_cmp_eq_u32_e32 vcc_lo, 0, v111
	s_and_b32 s16, s15, vcc_lo
	s_wait_alu 0xfffe
	s_and_saveexec_b32 s15, s16
	s_cbranch_execz .LBB2084_428
; %bb.427:                              ;   in Loop: Header=BB2084_402 Depth=2
	s_wait_dscnt 0x0
	v_bcnt_u32_b32 v21, v21, v109
	ds_store_b32 v112, v21 offset:1056
.LBB2084_428:                           ;   in Loop: Header=BB2084_402 Depth=2
	s_wait_alu 0xfffe
	s_or_b32 exec_lo, exec_lo, s15
	v_cmp_lt_i16_e32 vcc_lo, -1, v25
	; wave barrier
	s_wait_alu 0xfffd
	v_cndmask_b32_e64 v21, -1, 0xffff8000, vcc_lo
	s_delay_alu instid0(VALU_DEP_1) | instskip(NEXT) | instid1(VALU_DEP_1)
	v_xor_b32_e32 v110, v21, v25
	v_cmp_ne_u16_e32 vcc_lo, 0x7fff, v110
	s_wait_alu 0xfffd
	v_cndmask_b32_e32 v21, 0xffff8000, v110, vcc_lo
	s_delay_alu instid0(VALU_DEP_1) | instskip(NEXT) | instid1(VALU_DEP_1)
	v_and_b32_e32 v21, 0xffff, v21
	v_lshrrev_b32_e32 v21, s45, v21
	s_delay_alu instid0(VALU_DEP_1) | instskip(NEXT) | instid1(VALU_DEP_1)
	v_and_b32_e32 v25, s42, v21
	v_and_b32_e32 v21, 1, v25
	v_lshlrev_b32_e32 v26, 30, v25
	v_lshlrev_b32_e32 v27, 29, v25
	;; [unrolled: 1-line block ×4, first 2 shown]
	v_add_co_u32 v21, s15, v21, -1
	s_wait_alu 0xf1ff
	v_cndmask_b32_e64 v114, 0, 1, s15
	v_not_b32_e32 v118, v26
	v_cmp_gt_i32_e64 s15, 0, v26
	v_not_b32_e32 v26, v27
	v_lshlrev_b32_e32 v116, 26, v25
	v_cmp_ne_u32_e32 vcc_lo, 0, v114
	v_ashrrev_i32_e32 v118, 31, v118
	v_lshlrev_b32_e32 v117, 25, v25
	v_ashrrev_i32_e32 v26, 31, v26
	v_lshlrev_b32_e32 v114, 24, v25
	s_wait_alu 0xfffd
	v_xor_b32_e32 v21, vcc_lo, v21
	v_cmp_gt_i32_e32 vcc_lo, 0, v27
	v_not_b32_e32 v27, v113
	s_wait_alu 0xf1ff
	v_xor_b32_e32 v118, s15, v118
	v_cmp_gt_i32_e64 s15, 0, v113
	v_and_b32_e32 v21, exec_lo, v21
	v_not_b32_e32 v113, v115
	v_ashrrev_i32_e32 v27, 31, v27
	s_wait_alu 0xfffd
	v_xor_b32_e32 v26, vcc_lo, v26
	v_cmp_gt_i32_e32 vcc_lo, 0, v115
	v_and_b32_e32 v21, v21, v118
	v_not_b32_e32 v115, v116
	v_ashrrev_i32_e32 v113, 31, v113
	s_wait_alu 0xf1ff
	v_xor_b32_e32 v27, s15, v27
	v_cmp_gt_i32_e64 s15, 0, v116
	v_and_b32_e32 v21, v21, v26
	v_not_b32_e32 v26, v117
	v_ashrrev_i32_e32 v115, 31, v115
	s_wait_alu 0xfffd
	v_xor_b32_e32 v113, vcc_lo, v113
	v_cmp_gt_i32_e32 vcc_lo, 0, v117
	v_and_b32_e32 v21, v21, v27
	v_not_b32_e32 v27, v114
	v_ashrrev_i32_e32 v26, 31, v26
	s_wait_alu 0xf1ff
	v_xor_b32_e32 v115, s15, v115
	v_cmp_gt_i32_e64 s15, 0, v114
	v_and_b32_e32 v21, v21, v113
	v_ashrrev_i32_e32 v27, 31, v27
	s_wait_alu 0xfffd
	v_xor_b32_e32 v26, vcc_lo, v26
	v_mad_u32_u24 v113, v25, 36, v92
	v_mul_u32_u24_e32 v25, 36, v25
	v_and_b32_e32 v21, v21, v115
	s_wait_alu 0xf1ff
	v_xor_b32_e32 v27, s15, v27
	ds_load_b32 v113, v113 offset:1056
	v_add_nc_u32_e32 v116, v92, v25
	v_and_b32_e32 v21, v21, v26
	; wave barrier
	s_delay_alu instid0(VALU_DEP_1) | instskip(NEXT) | instid1(VALU_DEP_1)
	v_and_b32_e32 v21, v21, v27
	v_mbcnt_lo_u32_b32 v115, v21, 0
	v_cmp_ne_u32_e64 s15, 0, v21
	s_delay_alu instid0(VALU_DEP_2)
	v_cmp_eq_u32_e32 vcc_lo, 0, v115
	s_and_b32 s16, s15, vcc_lo
	s_wait_alu 0xfffe
	s_and_saveexec_b32 s15, s16
	s_cbranch_execz .LBB2084_430
; %bb.429:                              ;   in Loop: Header=BB2084_402 Depth=2
	s_wait_dscnt 0x0
	v_bcnt_u32_b32 v21, v21, v113
	ds_store_b32 v116, v21 offset:1056
.LBB2084_430:                           ;   in Loop: Header=BB2084_402 Depth=2
	s_wait_alu 0xfffe
	s_or_b32 exec_lo, exec_lo, s15
	v_cmp_lt_i16_e32 vcc_lo, -1, v24
	; wave barrier
	s_wait_alu 0xfffd
	v_cndmask_b32_e64 v21, -1, 0xffff8000, vcc_lo
	s_delay_alu instid0(VALU_DEP_1) | instskip(NEXT) | instid1(VALU_DEP_1)
	v_xor_b32_e32 v114, v21, v24
	v_cmp_ne_u16_e32 vcc_lo, 0x7fff, v114
	s_wait_alu 0xfffd
	v_cndmask_b32_e32 v21, 0xffff8000, v114, vcc_lo
	s_delay_alu instid0(VALU_DEP_1) | instskip(NEXT) | instid1(VALU_DEP_1)
	v_and_b32_e32 v21, 0xffff, v21
	v_lshrrev_b32_e32 v21, s45, v21
	s_delay_alu instid0(VALU_DEP_1) | instskip(NEXT) | instid1(VALU_DEP_1)
	v_and_b32_e32 v24, s42, v21
	v_and_b32_e32 v21, 1, v24
	v_lshlrev_b32_e32 v25, 30, v24
	v_lshlrev_b32_e32 v26, 29, v24
	;; [unrolled: 1-line block ×4, first 2 shown]
	v_add_co_u32 v21, s15, v21, -1
	s_wait_alu 0xf1ff
	v_cndmask_b32_e64 v117, 0, 1, s15
	v_not_b32_e32 v121, v25
	v_cmp_gt_i32_e64 s15, 0, v25
	v_not_b32_e32 v25, v26
	v_lshlrev_b32_e32 v119, 26, v24
	v_cmp_ne_u32_e32 vcc_lo, 0, v117
	v_ashrrev_i32_e32 v121, 31, v121
	v_lshlrev_b32_e32 v120, 25, v24
	v_ashrrev_i32_e32 v25, 31, v25
	v_lshlrev_b32_e32 v117, 24, v24
	s_wait_alu 0xfffd
	v_xor_b32_e32 v21, vcc_lo, v21
	v_cmp_gt_i32_e32 vcc_lo, 0, v26
	v_not_b32_e32 v26, v27
	s_wait_alu 0xf1ff
	v_xor_b32_e32 v121, s15, v121
	v_cmp_gt_i32_e64 s15, 0, v27
	v_and_b32_e32 v21, exec_lo, v21
	v_not_b32_e32 v27, v118
	v_ashrrev_i32_e32 v26, 31, v26
	s_wait_alu 0xfffd
	v_xor_b32_e32 v25, vcc_lo, v25
	v_cmp_gt_i32_e32 vcc_lo, 0, v118
	v_and_b32_e32 v21, v21, v121
	v_not_b32_e32 v118, v119
	v_ashrrev_i32_e32 v27, 31, v27
	s_wait_alu 0xf1ff
	v_xor_b32_e32 v26, s15, v26
	v_cmp_gt_i32_e64 s15, 0, v119
	v_and_b32_e32 v21, v21, v25
	v_not_b32_e32 v25, v120
	v_ashrrev_i32_e32 v118, 31, v118
	s_wait_alu 0xfffd
	v_xor_b32_e32 v27, vcc_lo, v27
	v_cmp_gt_i32_e32 vcc_lo, 0, v120
	v_and_b32_e32 v21, v21, v26
	v_not_b32_e32 v26, v117
	v_ashrrev_i32_e32 v25, 31, v25
	s_wait_alu 0xf1ff
	v_xor_b32_e32 v118, s15, v118
	v_cmp_gt_i32_e64 s15, 0, v117
	v_and_b32_e32 v21, v21, v27
	v_ashrrev_i32_e32 v26, 31, v26
	s_wait_alu 0xfffd
	v_xor_b32_e32 v25, vcc_lo, v25
	v_mad_u32_u24 v27, v24, 36, v92
	v_mul_u32_u24_e32 v24, 36, v24
	v_and_b32_e32 v21, v21, v118
	s_wait_alu 0xf1ff
	v_xor_b32_e32 v26, s15, v26
	ds_load_b32 v117, v27 offset:1056
	v_add_nc_u32_e32 v120, v92, v24
	v_and_b32_e32 v21, v21, v25
	; wave barrier
	s_delay_alu instid0(VALU_DEP_1) | instskip(NEXT) | instid1(VALU_DEP_1)
	v_and_b32_e32 v21, v21, v26
	v_mbcnt_lo_u32_b32 v119, v21, 0
	v_cmp_ne_u32_e64 s15, 0, v21
	s_delay_alu instid0(VALU_DEP_2)
	v_cmp_eq_u32_e32 vcc_lo, 0, v119
	s_and_b32 s16, s15, vcc_lo
	s_wait_alu 0xfffe
	s_and_saveexec_b32 s15, s16
	s_cbranch_execz .LBB2084_432
; %bb.431:                              ;   in Loop: Header=BB2084_402 Depth=2
	s_wait_dscnt 0x0
	v_bcnt_u32_b32 v21, v21, v117
	ds_store_b32 v120, v21 offset:1056
.LBB2084_432:                           ;   in Loop: Header=BB2084_402 Depth=2
	s_wait_alu 0xfffe
	s_or_b32 exec_lo, exec_lo, s15
	v_cmp_lt_i16_e32 vcc_lo, -1, v23
	; wave barrier
	s_wait_alu 0xfffd
	v_cndmask_b32_e64 v21, -1, 0xffff8000, vcc_lo
	s_delay_alu instid0(VALU_DEP_1) | instskip(NEXT) | instid1(VALU_DEP_1)
	v_xor_b32_e32 v118, v21, v23
	v_cmp_ne_u16_e32 vcc_lo, 0x7fff, v118
	s_wait_alu 0xfffd
	v_cndmask_b32_e32 v21, 0xffff8000, v118, vcc_lo
	s_delay_alu instid0(VALU_DEP_1) | instskip(NEXT) | instid1(VALU_DEP_1)
	v_and_b32_e32 v21, 0xffff, v21
	v_lshrrev_b32_e32 v21, s45, v21
	s_delay_alu instid0(VALU_DEP_1) | instskip(NEXT) | instid1(VALU_DEP_1)
	v_and_b32_e32 v23, s42, v21
	v_and_b32_e32 v21, 1, v23
	v_lshlrev_b32_e32 v24, 30, v23
	v_lshlrev_b32_e32 v25, 29, v23
	;; [unrolled: 1-line block ×4, first 2 shown]
	v_add_co_u32 v21, s15, v21, -1
	s_wait_alu 0xf1ff
	v_cndmask_b32_e64 v27, 0, 1, s15
	v_not_b32_e32 v124, v24
	v_cmp_gt_i32_e64 s15, 0, v24
	v_not_b32_e32 v24, v25
	v_lshlrev_b32_e32 v122, 26, v23
	v_cmp_ne_u32_e32 vcc_lo, 0, v27
	v_ashrrev_i32_e32 v124, 31, v124
	v_lshlrev_b32_e32 v123, 25, v23
	v_ashrrev_i32_e32 v24, 31, v24
	v_lshlrev_b32_e32 v27, 24, v23
	s_wait_alu 0xfffd
	v_xor_b32_e32 v21, vcc_lo, v21
	v_cmp_gt_i32_e32 vcc_lo, 0, v25
	v_not_b32_e32 v25, v26
	s_wait_alu 0xf1ff
	v_xor_b32_e32 v124, s15, v124
	v_cmp_gt_i32_e64 s15, 0, v26
	v_and_b32_e32 v21, exec_lo, v21
	v_not_b32_e32 v26, v121
	v_ashrrev_i32_e32 v25, 31, v25
	s_wait_alu 0xfffd
	v_xor_b32_e32 v24, vcc_lo, v24
	v_cmp_gt_i32_e32 vcc_lo, 0, v121
	v_and_b32_e32 v21, v21, v124
	v_not_b32_e32 v121, v122
	v_ashrrev_i32_e32 v26, 31, v26
	s_wait_alu 0xf1ff
	v_xor_b32_e32 v25, s15, v25
	v_cmp_gt_i32_e64 s15, 0, v122
	v_and_b32_e32 v21, v21, v24
	v_not_b32_e32 v24, v123
	v_ashrrev_i32_e32 v121, 31, v121
	s_wait_alu 0xfffd
	v_xor_b32_e32 v26, vcc_lo, v26
	v_cmp_gt_i32_e32 vcc_lo, 0, v123
	v_and_b32_e32 v21, v21, v25
	v_not_b32_e32 v25, v27
	v_ashrrev_i32_e32 v24, 31, v24
	s_wait_alu 0xf1ff
	v_xor_b32_e32 v121, s15, v121
	v_cmp_gt_i32_e64 s15, 0, v27
	v_and_b32_e32 v21, v21, v26
	v_ashrrev_i32_e32 v25, 31, v25
	s_wait_alu 0xfffd
	v_xor_b32_e32 v24, vcc_lo, v24
	v_mad_u32_u24 v26, v23, 36, v92
	v_mul_u32_u24_e32 v23, 36, v23
	v_and_b32_e32 v21, v21, v121
	s_wait_alu 0xf1ff
	v_xor_b32_e32 v25, s15, v25
	ds_load_b32 v121, v26 offset:1056
	v_add_nc_u32_e32 v124, v92, v23
	v_and_b32_e32 v21, v21, v24
	; wave barrier
	s_delay_alu instid0(VALU_DEP_1) | instskip(NEXT) | instid1(VALU_DEP_1)
	v_and_b32_e32 v21, v21, v25
	v_mbcnt_lo_u32_b32 v123, v21, 0
	v_cmp_ne_u32_e64 s15, 0, v21
	s_delay_alu instid0(VALU_DEP_2)
	v_cmp_eq_u32_e32 vcc_lo, 0, v123
	s_and_b32 s16, s15, vcc_lo
	s_wait_alu 0xfffe
	s_and_saveexec_b32 s15, s16
	s_cbranch_execz .LBB2084_434
; %bb.433:                              ;   in Loop: Header=BB2084_402 Depth=2
	s_wait_dscnt 0x0
	v_bcnt_u32_b32 v21, v21, v121
	ds_store_b32 v124, v21 offset:1056
.LBB2084_434:                           ;   in Loop: Header=BB2084_402 Depth=2
	s_wait_alu 0xfffe
	s_or_b32 exec_lo, exec_lo, s15
	v_cmp_lt_i16_e32 vcc_lo, -1, v22
	; wave barrier
	s_wait_alu 0xfffd
	v_cndmask_b32_e64 v21, -1, 0xffff8000, vcc_lo
	s_delay_alu instid0(VALU_DEP_1) | instskip(NEXT) | instid1(VALU_DEP_1)
	v_xor_b32_e32 v122, v21, v22
	v_cmp_ne_u16_e32 vcc_lo, 0x7fff, v122
	s_wait_alu 0xfffd
	v_cndmask_b32_e32 v21, 0xffff8000, v122, vcc_lo
	s_delay_alu instid0(VALU_DEP_1) | instskip(NEXT) | instid1(VALU_DEP_1)
	v_and_b32_e32 v21, 0xffff, v21
	v_lshrrev_b32_e32 v21, s45, v21
	s_delay_alu instid0(VALU_DEP_1) | instskip(NEXT) | instid1(VALU_DEP_1)
	v_and_b32_e32 v22, s42, v21
	v_and_b32_e32 v21, 1, v22
	v_lshlrev_b32_e32 v23, 30, v22
	v_lshlrev_b32_e32 v24, 29, v22
	;; [unrolled: 1-line block ×4, first 2 shown]
	v_add_co_u32 v21, s15, v21, -1
	s_wait_alu 0xf1ff
	v_cndmask_b32_e64 v26, 0, 1, s15
	v_not_b32_e32 v127, v23
	v_cmp_gt_i32_e64 s15, 0, v23
	v_not_b32_e32 v23, v24
	v_lshlrev_b32_e32 v125, 26, v22
	v_cmp_ne_u32_e32 vcc_lo, 0, v26
	v_ashrrev_i32_e32 v127, 31, v127
	v_lshlrev_b32_e32 v126, 25, v22
	v_ashrrev_i32_e32 v23, 31, v23
	v_lshlrev_b32_e32 v26, 24, v22
	s_wait_alu 0xfffd
	v_xor_b32_e32 v21, vcc_lo, v21
	v_cmp_gt_i32_e32 vcc_lo, 0, v24
	v_not_b32_e32 v24, v25
	s_wait_alu 0xf1ff
	v_xor_b32_e32 v127, s15, v127
	v_cmp_gt_i32_e64 s15, 0, v25
	v_and_b32_e32 v21, exec_lo, v21
	v_not_b32_e32 v25, v27
	v_ashrrev_i32_e32 v24, 31, v24
	s_wait_alu 0xfffd
	v_xor_b32_e32 v23, vcc_lo, v23
	v_cmp_gt_i32_e32 vcc_lo, 0, v27
	v_and_b32_e32 v21, v21, v127
	v_not_b32_e32 v27, v125
	v_ashrrev_i32_e32 v25, 31, v25
	s_wait_alu 0xf1ff
	v_xor_b32_e32 v24, s15, v24
	v_cmp_gt_i32_e64 s15, 0, v125
	v_and_b32_e32 v21, v21, v23
	v_not_b32_e32 v23, v126
	v_ashrrev_i32_e32 v27, 31, v27
	s_wait_alu 0xfffd
	v_xor_b32_e32 v25, vcc_lo, v25
	v_cmp_gt_i32_e32 vcc_lo, 0, v126
	v_and_b32_e32 v21, v21, v24
	v_not_b32_e32 v24, v26
	v_ashrrev_i32_e32 v23, 31, v23
	s_wait_alu 0xf1ff
	v_xor_b32_e32 v27, s15, v27
	v_cmp_gt_i32_e64 s15, 0, v26
	v_and_b32_e32 v21, v21, v25
	v_ashrrev_i32_e32 v24, 31, v24
	s_wait_alu 0xfffd
	v_xor_b32_e32 v23, vcc_lo, v23
	v_mad_u32_u24 v25, v22, 36, v92
	v_mul_u32_u24_e32 v22, 36, v22
	v_and_b32_e32 v21, v21, v27
	s_wait_alu 0xf1ff
	v_xor_b32_e32 v24, s15, v24
	ds_load_b32 v125, v25 offset:1056
	v_add_nc_u32_e32 v128, v92, v22
	v_and_b32_e32 v21, v21, v23
	; wave barrier
	s_delay_alu instid0(VALU_DEP_1) | instskip(NEXT) | instid1(VALU_DEP_1)
	v_and_b32_e32 v21, v21, v24
	v_mbcnt_lo_u32_b32 v126, v21, 0
	v_cmp_ne_u32_e64 s15, 0, v21
	s_delay_alu instid0(VALU_DEP_2)
	v_cmp_eq_u32_e32 vcc_lo, 0, v126
	s_and_b32 s16, s15, vcc_lo
	s_wait_alu 0xfffe
	s_and_saveexec_b32 s15, s16
	s_cbranch_execz .LBB2084_436
; %bb.435:                              ;   in Loop: Header=BB2084_402 Depth=2
	s_wait_dscnt 0x0
	v_bcnt_u32_b32 v21, v21, v125
	ds_store_b32 v128, v21 offset:1056
.LBB2084_436:                           ;   in Loop: Header=BB2084_402 Depth=2
	s_wait_alu 0xfffe
	s_or_b32 exec_lo, exec_lo, s15
	v_cmp_lt_i16_e32 vcc_lo, -1, v20
	; wave barrier
	s_wait_alu 0xfffd
	v_cndmask_b32_e64 v21, -1, 0xffff8000, vcc_lo
	s_delay_alu instid0(VALU_DEP_1) | instskip(NEXT) | instid1(VALU_DEP_1)
	v_xor_b32_e32 v127, v21, v20
	v_cmp_ne_u16_e32 vcc_lo, 0x7fff, v127
	s_wait_alu 0xfffd
	v_cndmask_b32_e32 v20, 0xffff8000, v127, vcc_lo
	s_delay_alu instid0(VALU_DEP_1) | instskip(NEXT) | instid1(VALU_DEP_1)
	v_and_b32_e32 v20, 0xffff, v20
	v_lshrrev_b32_e32 v20, s45, v20
	s_delay_alu instid0(VALU_DEP_1) | instskip(NEXT) | instid1(VALU_DEP_1)
	v_and_b32_e32 v21, s42, v20
	v_and_b32_e32 v20, 1, v21
	v_lshlrev_b32_e32 v22, 30, v21
	v_lshlrev_b32_e32 v23, 29, v21
	;; [unrolled: 1-line block ×4, first 2 shown]
	v_add_co_u32 v20, s15, v20, -1
	s_wait_alu 0xf1ff
	v_cndmask_b32_e64 v25, 0, 1, s15
	v_not_b32_e32 v130, v22
	v_cmp_gt_i32_e64 s15, 0, v22
	v_not_b32_e32 v22, v23
	v_lshlrev_b32_e32 v27, 26, v21
	v_cmp_ne_u32_e32 vcc_lo, 0, v25
	v_ashrrev_i32_e32 v130, 31, v130
	v_lshlrev_b32_e32 v129, 25, v21
	v_ashrrev_i32_e32 v22, 31, v22
	v_lshlrev_b32_e32 v25, 24, v21
	s_wait_alu 0xfffd
	v_xor_b32_e32 v20, vcc_lo, v20
	v_cmp_gt_i32_e32 vcc_lo, 0, v23
	v_not_b32_e32 v23, v24
	s_wait_alu 0xf1ff
	v_xor_b32_e32 v130, s15, v130
	v_cmp_gt_i32_e64 s15, 0, v24
	v_and_b32_e32 v20, exec_lo, v20
	v_not_b32_e32 v24, v26
	v_ashrrev_i32_e32 v23, 31, v23
	s_wait_alu 0xfffd
	v_xor_b32_e32 v22, vcc_lo, v22
	v_cmp_gt_i32_e32 vcc_lo, 0, v26
	v_and_b32_e32 v20, v20, v130
	v_not_b32_e32 v26, v27
	v_ashrrev_i32_e32 v24, 31, v24
	s_wait_alu 0xf1ff
	v_xor_b32_e32 v23, s15, v23
	v_cmp_gt_i32_e64 s15, 0, v27
	v_and_b32_e32 v20, v20, v22
	v_not_b32_e32 v22, v129
	v_ashrrev_i32_e32 v26, 31, v26
	s_wait_alu 0xfffd
	v_xor_b32_e32 v24, vcc_lo, v24
	v_cmp_gt_i32_e32 vcc_lo, 0, v129
	v_and_b32_e32 v20, v20, v23
	v_not_b32_e32 v23, v25
	v_ashrrev_i32_e32 v22, 31, v22
	s_wait_alu 0xf1ff
	v_xor_b32_e32 v26, s15, v26
	v_cmp_gt_i32_e64 s15, 0, v25
	v_and_b32_e32 v20, v20, v24
	v_ashrrev_i32_e32 v23, 31, v23
	s_wait_alu 0xfffd
	v_xor_b32_e32 v22, vcc_lo, v22
	v_mad_u32_u24 v24, v21, 36, v92
	v_mul_u32_u24_e32 v21, 36, v21
	v_and_b32_e32 v20, v20, v26
	s_wait_alu 0xf1ff
	v_xor_b32_e32 v23, s15, v23
	ds_load_b32 v129, v24 offset:1056
	v_add_nc_u32_e32 v131, v92, v21
	v_and_b32_e32 v20, v20, v22
	; wave barrier
	s_delay_alu instid0(VALU_DEP_1) | instskip(NEXT) | instid1(VALU_DEP_1)
	v_and_b32_e32 v20, v20, v23
	v_mbcnt_lo_u32_b32 v130, v20, 0
	v_cmp_ne_u32_e64 s15, 0, v20
	s_delay_alu instid0(VALU_DEP_2)
	v_cmp_eq_u32_e32 vcc_lo, 0, v130
	s_and_b32 s16, s15, vcc_lo
	s_wait_alu 0xfffe
	s_and_saveexec_b32 s15, s16
	s_cbranch_execz .LBB2084_438
; %bb.437:                              ;   in Loop: Header=BB2084_402 Depth=2
	s_wait_dscnt 0x0
	v_bcnt_u32_b32 v20, v20, v129
	ds_store_b32 v131, v20 offset:1056
.LBB2084_438:                           ;   in Loop: Header=BB2084_402 Depth=2
	s_wait_alu 0xfffe
	s_or_b32 exec_lo, exec_lo, s15
	; wave barrier
	s_wait_loadcnt_dscnt 0x0
	s_barrier_signal -1
	s_barrier_wait -1
	global_inv scope:SCOPE_SE
	ds_load_2addr_b32 v[26:27], v78 offset1:1
	ds_load_2addr_b32 v[24:25], v79 offset1:1
	;; [unrolled: 1-line block ×4, first 2 shown]
	ds_load_b32 v132, v43 offset:1088
	s_wait_dscnt 0x3
	v_add3_u32 v133, v27, v26, v24
	s_wait_dscnt 0x2
	s_delay_alu instid0(VALU_DEP_1) | instskip(SKIP_1) | instid1(VALU_DEP_1)
	v_add3_u32 v133, v133, v25, v22
	s_wait_dscnt 0x1
	v_add3_u32 v133, v133, v23, v20
	s_wait_dscnt 0x0
	s_delay_alu instid0(VALU_DEP_1) | instskip(NEXT) | instid1(VALU_DEP_1)
	v_add3_u32 v132, v133, v21, v132
	v_mov_b32_dpp v133, v132 row_shr:1 row_mask:0xf bank_mask:0xf
	s_delay_alu instid0(VALU_DEP_1) | instskip(NEXT) | instid1(VALU_DEP_1)
	v_cndmask_b32_e64 v133, v133, 0, s0
	v_add_nc_u32_e32 v132, v133, v132
	s_delay_alu instid0(VALU_DEP_1) | instskip(NEXT) | instid1(VALU_DEP_1)
	v_mov_b32_dpp v133, v132 row_shr:2 row_mask:0xf bank_mask:0xf
	v_cndmask_b32_e64 v133, 0, v133, s1
	s_delay_alu instid0(VALU_DEP_1) | instskip(NEXT) | instid1(VALU_DEP_1)
	v_add_nc_u32_e32 v132, v132, v133
	v_mov_b32_dpp v133, v132 row_shr:4 row_mask:0xf bank_mask:0xf
	s_delay_alu instid0(VALU_DEP_1) | instskip(NEXT) | instid1(VALU_DEP_1)
	v_cndmask_b32_e64 v133, 0, v133, s9
	v_add_nc_u32_e32 v132, v132, v133
	s_delay_alu instid0(VALU_DEP_1) | instskip(NEXT) | instid1(VALU_DEP_1)
	v_mov_b32_dpp v133, v132 row_shr:8 row_mask:0xf bank_mask:0xf
	v_cndmask_b32_e64 v133, 0, v133, s10
	s_delay_alu instid0(VALU_DEP_1) | instskip(SKIP_3) | instid1(VALU_DEP_1)
	v_add_nc_u32_e32 v132, v132, v133
	ds_swizzle_b32 v133, v132 offset:swizzle(BROADCAST,32,15)
	s_wait_dscnt 0x0
	v_cndmask_b32_e64 v133, v133, 0, s11
	v_add_nc_u32_e32 v132, v132, v133
	s_and_saveexec_b32 s15, s3
; %bb.439:                              ;   in Loop: Header=BB2084_402 Depth=2
	ds_store_b32 v38, v132 offset:1024
; %bb.440:                              ;   in Loop: Header=BB2084_402 Depth=2
	s_wait_alu 0xfffe
	s_or_b32 exec_lo, exec_lo, s15
	s_wait_loadcnt_dscnt 0x0
	s_barrier_signal -1
	s_barrier_wait -1
	global_inv scope:SCOPE_SE
	s_and_saveexec_b32 s15, s4
	s_cbranch_execz .LBB2084_442
; %bb.441:                              ;   in Loop: Header=BB2084_402 Depth=2
	ds_load_b32 v133, v46 offset:1024
	s_wait_dscnt 0x0
	v_mov_b32_dpp v134, v133 row_shr:1 row_mask:0xf bank_mask:0xf
	s_delay_alu instid0(VALU_DEP_1) | instskip(NEXT) | instid1(VALU_DEP_1)
	v_cndmask_b32_e64 v134, v134, 0, s12
	v_add_nc_u32_e32 v133, v134, v133
	s_delay_alu instid0(VALU_DEP_1) | instskip(NEXT) | instid1(VALU_DEP_1)
	v_mov_b32_dpp v134, v133 row_shr:2 row_mask:0xf bank_mask:0xf
	v_cndmask_b32_e64 v134, 0, v134, s13
	s_delay_alu instid0(VALU_DEP_1) | instskip(NEXT) | instid1(VALU_DEP_1)
	v_add_nc_u32_e32 v133, v133, v134
	v_mov_b32_dpp v134, v133 row_shr:4 row_mask:0xf bank_mask:0xf
	s_delay_alu instid0(VALU_DEP_1) | instskip(NEXT) | instid1(VALU_DEP_1)
	v_cndmask_b32_e64 v134, 0, v134, s14
	v_add_nc_u32_e32 v133, v133, v134
	ds_store_b32 v46, v133 offset:1024
.LBB2084_442:                           ;   in Loop: Header=BB2084_402 Depth=2
	s_wait_alu 0xfffe
	s_or_b32 exec_lo, exec_lo, s15
	v_mov_b32_e32 v133, 0
	s_wait_loadcnt_dscnt 0x0
	s_barrier_signal -1
	s_barrier_wait -1
	global_inv scope:SCOPE_SE
	s_and_saveexec_b32 s15, s5
; %bb.443:                              ;   in Loop: Header=BB2084_402 Depth=2
	ds_load_b32 v133, v38 offset:1020
; %bb.444:                              ;   in Loop: Header=BB2084_402 Depth=2
	s_wait_alu 0xfffe
	s_or_b32 exec_lo, exec_lo, s15
	s_wait_dscnt 0x0
	v_add_nc_u32_e32 v132, v133, v132
	ds_bpermute_b32 v132, v87, v132
	s_wait_dscnt 0x0
	v_cndmask_b32_e64 v132, v132, v133, s8
	s_delay_alu instid0(VALU_DEP_1) | instskip(NEXT) | instid1(VALU_DEP_1)
	v_cndmask_b32_e64 v132, v132, 0, s6
	v_add_nc_u32_e32 v26, v132, v26
	s_delay_alu instid0(VALU_DEP_1) | instskip(NEXT) | instid1(VALU_DEP_1)
	v_add_nc_u32_e32 v27, v26, v27
	v_add_nc_u32_e32 v24, v27, v24
	s_delay_alu instid0(VALU_DEP_1) | instskip(NEXT) | instid1(VALU_DEP_1)
	v_add_nc_u32_e32 v25, v24, v25
	;; [unrolled: 3-line block ×3, first 2 shown]
	v_add_nc_u32_e32 v20, v23, v20
	s_delay_alu instid0(VALU_DEP_1)
	v_add_nc_u32_e32 v21, v20, v21
	ds_store_2addr_b32 v81, v23, v20 offset1:1
	ds_store_2addr_b32 v78, v132, v26 offset1:1
	;; [unrolled: 1-line block ×4, first 2 shown]
	ds_store_b32 v43, v21 offset:1088
	s_wait_loadcnt_dscnt 0x0
	s_barrier_signal -1
	s_barrier_wait -1
	global_inv scope:SCOPE_SE
	ds_load_b32 v23, v104 offset:1056
	ds_load_b32 v24, v108 offset:1056
	;; [unrolled: 1-line block ×9, first 2 shown]
	v_mov_b32_e32 v22, 0x800
	s_and_saveexec_b32 s15, s7
; %bb.445:                              ;   in Loop: Header=BB2084_402 Depth=2
	ds_load_b32 v22, v43 offset:1092
; %bb.446:                              ;   in Loop: Header=BB2084_402 Depth=2
	s_wait_alu 0xfffe
	s_or_b32 exec_lo, exec_lo, s15
	s_wait_loadcnt_dscnt 0x0
	s_barrier_signal -1
	s_barrier_wait -1
	global_inv scope:SCOPE_SE
	s_and_saveexec_b32 s15, s2
	s_cbranch_execz .LBB2084_448
; %bb.447:                              ;   in Loop: Header=BB2084_402 Depth=2
	ds_load_b32 v108, v28
	s_wait_dscnt 0x0
	v_sub_nc_u32_e32 v104, v108, v104
	ds_store_b32 v28, v104
.LBB2084_448:                           ;   in Loop: Header=BB2084_402 Depth=2
	s_wait_alu 0xfffe
	s_or_b32 exec_lo, exec_lo, s15
	v_add_nc_u32_e32 v108, v23, v102
	v_add3_u32 v104, v106, v105, v24
	v_add3_u32 v102, v111, v109, v25
	;; [unrolled: 1-line block ×4, first 2 shown]
	v_lshlrev_b32_e32 v105, 1, v108
	v_lshlrev_b32_e32 v106, 1, v104
	v_add3_u32 v23, v123, v121, v112
	v_lshlrev_b32_e32 v109, 1, v102
	v_add3_u32 v27, v126, v125, v20
	v_add3_u32 v26, v130, v129, v21
	ds_store_b16 v105, v2 offset:1024
	ds_store_b16 v106, v103 offset:1024
	;; [unrolled: 1-line block ×3, first 2 shown]
	v_lshlrev_b32_e32 v2, 1, v25
	v_cmp_lt_u32_e32 vcc_lo, v1, v101
	v_lshlrev_b32_e32 v20, 1, v24
	v_lshlrev_b32_e32 v21, 1, v23
	;; [unrolled: 1-line block ×4, first 2 shown]
	ds_store_b16 v2, v110 offset:1024
	ds_store_b16 v20, v114 offset:1024
	;; [unrolled: 1-line block ×5, first 2 shown]
	s_wait_loadcnt_dscnt 0x0
	s_barrier_signal -1
	s_barrier_wait -1
	global_inv scope:SCOPE_SE
	s_and_saveexec_b32 s16, vcc_lo
	s_cbranch_execnz .LBB2084_485
; %bb.449:                              ;   in Loop: Header=BB2084_402 Depth=2
	s_wait_alu 0xfffe
	s_or_b32 exec_lo, exec_lo, s16
	v_cmp_lt_u32_e64 s15, v29, v101
	s_and_saveexec_b32 s17, s15
	s_cbranch_execnz .LBB2084_486
.LBB2084_450:                           ;   in Loop: Header=BB2084_402 Depth=2
	s_wait_alu 0xfffe
	s_or_b32 exec_lo, exec_lo, s17
	v_cmp_lt_u32_e64 s16, v30, v101
	s_and_saveexec_b32 s18, s16
	s_cbranch_execnz .LBB2084_487
.LBB2084_451:                           ;   in Loop: Header=BB2084_402 Depth=2
	s_wait_alu 0xfffe
	s_or_b32 exec_lo, exec_lo, s18
	v_cmp_lt_u32_e64 s17, v31, v101
	s_and_saveexec_b32 s19, s17
	s_cbranch_execnz .LBB2084_488
.LBB2084_452:                           ;   in Loop: Header=BB2084_402 Depth=2
	s_wait_alu 0xfffe
	s_or_b32 exec_lo, exec_lo, s19
	v_cmp_lt_u32_e64 s18, v34, v101
	s_and_saveexec_b32 s20, s18
	s_cbranch_execnz .LBB2084_489
.LBB2084_453:                           ;   in Loop: Header=BB2084_402 Depth=2
	s_wait_alu 0xfffe
	s_or_b32 exec_lo, exec_lo, s20
	v_cmp_lt_u32_e64 s19, v35, v101
	s_and_saveexec_b32 s21, s19
	s_cbranch_execnz .LBB2084_490
.LBB2084_454:                           ;   in Loop: Header=BB2084_402 Depth=2
	s_wait_alu 0xfffe
	s_or_b32 exec_lo, exec_lo, s21
	v_cmp_lt_u32_e64 s20, v36, v101
	s_and_saveexec_b32 s22, s20
	s_cbranch_execnz .LBB2084_491
.LBB2084_455:                           ;   in Loop: Header=BB2084_402 Depth=2
	s_wait_alu 0xfffe
	s_or_b32 exec_lo, exec_lo, s22
	v_cmp_lt_u32_e64 s21, v37, v101
	s_and_saveexec_b32 s48, s21
	s_cbranch_execz .LBB2084_457
.LBB2084_456:                           ;   in Loop: Header=BB2084_402 Depth=2
	ds_load_u16 v103, v47 offset:4608
	s_wait_dscnt 0x0
	v_cmp_ne_u16_e64 s22, 0x7fff, v103
	s_wait_alu 0xf1ff
	s_delay_alu instid0(VALU_DEP_1) | instskip(SKIP_1) | instid1(VALU_DEP_2)
	v_cndmask_b32_e64 v2, 0xffff8000, v103, s22
	v_cmp_lt_i16_e64 s22, -1, v103
	v_and_b32_e32 v2, 0xffff, v2
	s_wait_alu 0xf1ff
	s_delay_alu instid0(VALU_DEP_2) | instskip(NEXT) | instid1(VALU_DEP_2)
	v_cndmask_b32_e64 v105, 0xffff8000, -1, s22
	v_lshrrev_b32_e32 v2, s45, v2
	s_delay_alu instid0(VALU_DEP_1) | instskip(NEXT) | instid1(VALU_DEP_1)
	v_and_b32_e32 v2, s42, v2
	v_lshlrev_b32_e32 v2, 2, v2
	ds_load_b32 v2, v2
	s_wait_dscnt 0x0
	v_add_nc_u32_e32 v2, v2, v37
	s_delay_alu instid0(VALU_DEP_1) | instskip(SKIP_1) | instid1(VALU_DEP_2)
	v_lshlrev_b64_e32 v[20:21], 1, v[2:3]
	v_xor_b32_e32 v2, v105, v103
	v_add_co_u32 v20, s22, s38, v20
	s_wait_alu 0xf1ff
	s_delay_alu instid0(VALU_DEP_3)
	v_add_co_ci_u32_e64 v21, null, s39, v21, s22
	global_store_b16 v[20:21], v2, off
.LBB2084_457:                           ;   in Loop: Header=BB2084_402 Depth=2
	s_wait_alu 0xfffe
	s_or_b32 exec_lo, exec_lo, s48
	s_lshl_b64 s[48:49], s[30:31], 3
	s_wait_alu 0xfffe
	v_add_co_u32 v20, s22, v88, s48
	s_wait_alu 0xf1ff
	v_add_co_ci_u32_e64 v21, null, s49, v89, s22
	v_cmp_lt_u32_e64 s22, v66, v101
	s_and_saveexec_b32 s30, s22
	s_wait_alu 0xfffe
	s_xor_b32 s22, exec_lo, s30
	s_cbranch_execnz .LBB2084_492
; %bb.458:                              ;   in Loop: Header=BB2084_402 Depth=2
	s_wait_alu 0xfffe
	s_or_b32 exec_lo, exec_lo, s22
	s_delay_alu instid0(SALU_CYCLE_1)
	s_mov_b32 s30, exec_lo
	v_cmpx_lt_u32_e64 v70, v101
	s_cbranch_execnz .LBB2084_493
.LBB2084_459:                           ;   in Loop: Header=BB2084_402 Depth=2
	s_wait_alu 0xfffe
	s_or_b32 exec_lo, exec_lo, s30
	s_delay_alu instid0(SALU_CYCLE_1)
	s_mov_b32 s30, exec_lo
	v_cmpx_lt_u32_e64 v71, v101
	s_cbranch_execnz .LBB2084_494
.LBB2084_460:                           ;   in Loop: Header=BB2084_402 Depth=2
	s_wait_alu 0xfffe
	s_or_b32 exec_lo, exec_lo, s30
	s_delay_alu instid0(SALU_CYCLE_1)
	s_mov_b32 s30, exec_lo
	v_cmpx_lt_u32_e64 v72, v101
	s_cbranch_execnz .LBB2084_495
.LBB2084_461:                           ;   in Loop: Header=BB2084_402 Depth=2
	s_wait_alu 0xfffe
	s_or_b32 exec_lo, exec_lo, s30
	s_delay_alu instid0(SALU_CYCLE_1)
	s_mov_b32 s30, exec_lo
	v_cmpx_lt_u32_e64 v73, v101
	s_cbranch_execnz .LBB2084_496
.LBB2084_462:                           ;   in Loop: Header=BB2084_402 Depth=2
	s_wait_alu 0xfffe
	s_or_b32 exec_lo, exec_lo, s30
	s_delay_alu instid0(SALU_CYCLE_1)
	s_mov_b32 s30, exec_lo
	v_cmpx_lt_u32_e64 v74, v101
	s_cbranch_execnz .LBB2084_497
.LBB2084_463:                           ;   in Loop: Header=BB2084_402 Depth=2
	s_wait_alu 0xfffe
	s_or_b32 exec_lo, exec_lo, s30
	s_delay_alu instid0(SALU_CYCLE_1)
	s_mov_b32 s30, exec_lo
	v_cmpx_lt_u32_e64 v75, v101
	s_cbranch_execnz .LBB2084_498
.LBB2084_464:                           ;   in Loop: Header=BB2084_402 Depth=2
	s_wait_alu 0xfffe
	s_or_b32 exec_lo, exec_lo, s30
	s_delay_alu instid0(SALU_CYCLE_1)
	s_mov_b32 s30, exec_lo
	v_cmpx_lt_u32_e64 v76, v101
	s_cbranch_execnz .LBB2084_499
.LBB2084_465:                           ;   in Loop: Header=BB2084_402 Depth=2
	s_wait_alu 0xfffe
	s_or_b32 exec_lo, exec_lo, s30
	s_and_saveexec_b32 s30, vcc_lo
	s_cbranch_execnz .LBB2084_500
.LBB2084_466:                           ;   in Loop: Header=BB2084_402 Depth=2
	s_wait_alu 0xfffe
	s_or_b32 exec_lo, exec_lo, s30
	s_and_saveexec_b32 s30, s15
	s_cbranch_execnz .LBB2084_501
.LBB2084_467:                           ;   in Loop: Header=BB2084_402 Depth=2
	s_wait_alu 0xfffe
	s_or_b32 exec_lo, exec_lo, s30
	s_and_saveexec_b32 s30, s16
	s_cbranch_execnz .LBB2084_502
.LBB2084_468:                           ;   in Loop: Header=BB2084_402 Depth=2
	s_wait_alu 0xfffe
	s_or_b32 exec_lo, exec_lo, s30
	s_and_saveexec_b32 s30, s17
	s_cbranch_execnz .LBB2084_503
.LBB2084_469:                           ;   in Loop: Header=BB2084_402 Depth=2
	s_wait_alu 0xfffe
	s_or_b32 exec_lo, exec_lo, s30
	s_and_saveexec_b32 s30, s18
	s_cbranch_execnz .LBB2084_504
.LBB2084_470:                           ;   in Loop: Header=BB2084_402 Depth=2
	s_wait_alu 0xfffe
	s_or_b32 exec_lo, exec_lo, s30
	s_and_saveexec_b32 s30, s19
	s_cbranch_execnz .LBB2084_505
.LBB2084_471:                           ;   in Loop: Header=BB2084_402 Depth=2
	s_wait_alu 0xfffe
	s_or_b32 exec_lo, exec_lo, s30
	s_and_saveexec_b32 s30, s20
	s_cbranch_execnz .LBB2084_506
.LBB2084_472:                           ;   in Loop: Header=BB2084_402 Depth=2
	s_wait_alu 0xfffe
	s_or_b32 exec_lo, exec_lo, s30
	s_and_saveexec_b32 s30, s21
	s_cbranch_execz .LBB2084_474
.LBB2084_473:                           ;   in Loop: Header=BB2084_402 Depth=2
	ds_load_u16 v2, v47 offset:4608
	s_wait_dscnt 0x0
	v_cmp_ne_u16_e64 s22, 0x7fff, v2
	s_wait_alu 0xf1ff
	s_delay_alu instid0(VALU_DEP_1) | instskip(NEXT) | instid1(VALU_DEP_1)
	v_cndmask_b32_e64 v2, 0xffff8000, v2, s22
	v_and_b32_e32 v2, 0xffff, v2
	s_delay_alu instid0(VALU_DEP_1) | instskip(NEXT) | instid1(VALU_DEP_1)
	v_lshrrev_b32_e32 v2, s45, v2
	v_and_b32_e32 v93, s42, v2
.LBB2084_474:                           ;   in Loop: Header=BB2084_402 Depth=2
	s_wait_alu 0xfffe
	s_or_b32 exec_lo, exec_lo, s30
	v_lshlrev_b32_e32 v2, 3, v108
	v_lshlrev_b32_e32 v20, 3, v104
	;; [unrolled: 1-line block ×3, first 2 shown]
	s_wait_loadcnt 0x0
	s_wait_storecnt 0x0
	s_barrier_signal -1
	s_barrier_wait -1
	global_inv scope:SCOPE_SE
	ds_store_b64 v2, v[18:19] offset:1024
	ds_store_b64 v20, v[16:17] offset:1024
	;; [unrolled: 1-line block ×3, first 2 shown]
	v_lshlrev_b32_e32 v2, 3, v25
	v_lshlrev_b32_e32 v20, 3, v24
	;; [unrolled: 1-line block ×5, first 2 shown]
	ds_store_b64 v2, v[12:13] offset:1024
	ds_store_b64 v20, v[10:11] offset:1024
	;; [unrolled: 1-line block ×5, first 2 shown]
	s_wait_loadcnt_dscnt 0x0
	s_barrier_signal -1
	s_barrier_wait -1
	global_inv scope:SCOPE_SE
	s_and_saveexec_b32 s22, vcc_lo
	s_cbranch_execnz .LBB2084_507
; %bb.475:                              ;   in Loop: Header=BB2084_402 Depth=2
	s_wait_alu 0xfffe
	s_or_b32 exec_lo, exec_lo, s22
	s_and_saveexec_b32 s22, s15
	s_cbranch_execnz .LBB2084_508
.LBB2084_476:                           ;   in Loop: Header=BB2084_402 Depth=2
	s_wait_alu 0xfffe
	s_or_b32 exec_lo, exec_lo, s22
	s_and_saveexec_b32 s15, s16
	s_cbranch_execnz .LBB2084_509
.LBB2084_477:                           ;   in Loop: Header=BB2084_402 Depth=2
	s_wait_alu 0xfffe
	s_or_b32 exec_lo, exec_lo, s15
	s_and_saveexec_b32 s15, s17
	s_cbranch_execnz .LBB2084_510
.LBB2084_478:                           ;   in Loop: Header=BB2084_402 Depth=2
	s_wait_alu 0xfffe
	s_or_b32 exec_lo, exec_lo, s15
	s_and_saveexec_b32 s15, s18
	s_cbranch_execnz .LBB2084_511
.LBB2084_479:                           ;   in Loop: Header=BB2084_402 Depth=2
	s_wait_alu 0xfffe
	s_or_b32 exec_lo, exec_lo, s15
	s_and_saveexec_b32 s15, s19
	s_cbranch_execnz .LBB2084_512
.LBB2084_480:                           ;   in Loop: Header=BB2084_402 Depth=2
	s_wait_alu 0xfffe
	s_or_b32 exec_lo, exec_lo, s15
	s_and_saveexec_b32 s15, s20
	s_cbranch_execnz .LBB2084_513
.LBB2084_481:                           ;   in Loop: Header=BB2084_402 Depth=2
	s_wait_alu 0xfffe
	s_or_b32 exec_lo, exec_lo, s15
	s_and_saveexec_b32 s15, s21
	s_cbranch_execz .LBB2084_483
.LBB2084_482:                           ;   in Loop: Header=BB2084_402 Depth=2
	v_lshlrev_b32_e32 v2, 2, v93
	v_add_nc_u32_e32 v20, v47, v48
	ds_load_b32 v2, v2
	ds_load_b64 v[20:21], v20 offset:15360
	s_wait_dscnt 0x1
	v_add_nc_u32_e32 v2, v2, v37
	s_delay_alu instid0(VALU_DEP_1) | instskip(NEXT) | instid1(VALU_DEP_1)
	v_lshlrev_b64_e32 v[23:24], 3, v[2:3]
	v_add_co_u32 v23, vcc_lo, s24, v23
	s_wait_alu 0xfffd
	s_delay_alu instid0(VALU_DEP_2)
	v_add_co_ci_u32_e64 v24, null, s25, v24, vcc_lo
	s_wait_dscnt 0x0
	global_store_b64 v[23:24], v[20:21], off
.LBB2084_483:                           ;   in Loop: Header=BB2084_402 Depth=2
	s_wait_alu 0xfffe
	s_or_b32 exec_lo, exec_lo, s15
	s_wait_loadcnt 0x0
	s_wait_storecnt 0x0
	s_barrier_signal -1
	s_barrier_wait -1
	global_inv scope:SCOPE_SE
	s_and_saveexec_b32 s15, s2
	s_cbranch_execz .LBB2084_401
; %bb.484:                              ;   in Loop: Header=BB2084_402 Depth=2
	ds_load_b32 v2, v28
	s_wait_dscnt 0x0
	v_add_nc_u32_e32 v2, v2, v22
	ds_store_b32 v28, v2
	s_branch .LBB2084_401
.LBB2084_485:                           ;   in Loop: Header=BB2084_402 Depth=2
	ds_load_u16 v103, v47 offset:1024
	s_wait_dscnt 0x0
	v_cmp_ne_u16_e64 s15, 0x7fff, v103
	s_wait_alu 0xf1ff
	s_delay_alu instid0(VALU_DEP_1) | instskip(SKIP_1) | instid1(VALU_DEP_2)
	v_cndmask_b32_e64 v2, 0xffff8000, v103, s15
	v_cmp_lt_i16_e64 s15, -1, v103
	v_and_b32_e32 v2, 0xffff, v2
	s_wait_alu 0xf1ff
	s_delay_alu instid0(VALU_DEP_2) | instskip(NEXT) | instid1(VALU_DEP_2)
	v_cndmask_b32_e64 v105, 0xffff8000, -1, s15
	v_lshrrev_b32_e32 v2, s45, v2
	s_delay_alu instid0(VALU_DEP_1) | instskip(NEXT) | instid1(VALU_DEP_1)
	v_and_b32_e32 v2, s42, v2
	v_lshlrev_b32_e32 v2, 2, v2
	ds_load_b32 v2, v2
	s_wait_dscnt 0x0
	v_add_nc_u32_e32 v2, v2, v1
	s_delay_alu instid0(VALU_DEP_1) | instskip(SKIP_1) | instid1(VALU_DEP_2)
	v_lshlrev_b64_e32 v[20:21], 1, v[2:3]
	v_xor_b32_e32 v2, v105, v103
	v_add_co_u32 v20, s15, s38, v20
	s_wait_alu 0xf1ff
	s_delay_alu instid0(VALU_DEP_3)
	v_add_co_ci_u32_e64 v21, null, s39, v21, s15
	global_store_b16 v[20:21], v2, off
	s_wait_alu 0xfffe
	s_or_b32 exec_lo, exec_lo, s16
	v_cmp_lt_u32_e64 s15, v29, v101
	s_and_saveexec_b32 s17, s15
	s_cbranch_execz .LBB2084_450
.LBB2084_486:                           ;   in Loop: Header=BB2084_402 Depth=2
	ds_load_u16 v103, v47 offset:1536
	s_wait_dscnt 0x0
	v_cmp_ne_u16_e64 s16, 0x7fff, v103
	s_wait_alu 0xf1ff
	s_delay_alu instid0(VALU_DEP_1) | instskip(SKIP_1) | instid1(VALU_DEP_2)
	v_cndmask_b32_e64 v2, 0xffff8000, v103, s16
	v_cmp_lt_i16_e64 s16, -1, v103
	v_and_b32_e32 v2, 0xffff, v2
	s_wait_alu 0xf1ff
	s_delay_alu instid0(VALU_DEP_2) | instskip(NEXT) | instid1(VALU_DEP_2)
	v_cndmask_b32_e64 v105, 0xffff8000, -1, s16
	v_lshrrev_b32_e32 v2, s45, v2
	s_delay_alu instid0(VALU_DEP_1) | instskip(NEXT) | instid1(VALU_DEP_1)
	v_and_b32_e32 v2, s42, v2
	v_lshlrev_b32_e32 v2, 2, v2
	ds_load_b32 v2, v2
	s_wait_dscnt 0x0
	v_add_nc_u32_e32 v2, v2, v29
	s_delay_alu instid0(VALU_DEP_1) | instskip(SKIP_1) | instid1(VALU_DEP_2)
	v_lshlrev_b64_e32 v[20:21], 1, v[2:3]
	v_xor_b32_e32 v2, v105, v103
	v_add_co_u32 v20, s16, s38, v20
	s_wait_alu 0xf1ff
	s_delay_alu instid0(VALU_DEP_3)
	v_add_co_ci_u32_e64 v21, null, s39, v21, s16
	global_store_b16 v[20:21], v2, off
	s_wait_alu 0xfffe
	s_or_b32 exec_lo, exec_lo, s17
	v_cmp_lt_u32_e64 s16, v30, v101
	s_and_saveexec_b32 s18, s16
	s_cbranch_execz .LBB2084_451
.LBB2084_487:                           ;   in Loop: Header=BB2084_402 Depth=2
	ds_load_u16 v103, v47 offset:2048
	s_wait_dscnt 0x0
	v_cmp_ne_u16_e64 s17, 0x7fff, v103
	s_wait_alu 0xf1ff
	s_delay_alu instid0(VALU_DEP_1) | instskip(SKIP_1) | instid1(VALU_DEP_2)
	v_cndmask_b32_e64 v2, 0xffff8000, v103, s17
	v_cmp_lt_i16_e64 s17, -1, v103
	v_and_b32_e32 v2, 0xffff, v2
	s_wait_alu 0xf1ff
	s_delay_alu instid0(VALU_DEP_2) | instskip(NEXT) | instid1(VALU_DEP_2)
	v_cndmask_b32_e64 v105, 0xffff8000, -1, s17
	v_lshrrev_b32_e32 v2, s45, v2
	s_delay_alu instid0(VALU_DEP_1) | instskip(NEXT) | instid1(VALU_DEP_1)
	v_and_b32_e32 v2, s42, v2
	v_lshlrev_b32_e32 v2, 2, v2
	ds_load_b32 v2, v2
	s_wait_dscnt 0x0
	v_add_nc_u32_e32 v2, v2, v30
	s_delay_alu instid0(VALU_DEP_1) | instskip(SKIP_1) | instid1(VALU_DEP_2)
	v_lshlrev_b64_e32 v[20:21], 1, v[2:3]
	v_xor_b32_e32 v2, v105, v103
	v_add_co_u32 v20, s17, s38, v20
	s_wait_alu 0xf1ff
	s_delay_alu instid0(VALU_DEP_3)
	v_add_co_ci_u32_e64 v21, null, s39, v21, s17
	global_store_b16 v[20:21], v2, off
	s_wait_alu 0xfffe
	s_or_b32 exec_lo, exec_lo, s18
	v_cmp_lt_u32_e64 s17, v31, v101
	s_and_saveexec_b32 s19, s17
	s_cbranch_execz .LBB2084_452
.LBB2084_488:                           ;   in Loop: Header=BB2084_402 Depth=2
	ds_load_u16 v103, v47 offset:2560
	s_wait_dscnt 0x0
	v_cmp_ne_u16_e64 s18, 0x7fff, v103
	s_wait_alu 0xf1ff
	s_delay_alu instid0(VALU_DEP_1) | instskip(SKIP_1) | instid1(VALU_DEP_2)
	v_cndmask_b32_e64 v2, 0xffff8000, v103, s18
	v_cmp_lt_i16_e64 s18, -1, v103
	v_and_b32_e32 v2, 0xffff, v2
	s_wait_alu 0xf1ff
	s_delay_alu instid0(VALU_DEP_2) | instskip(NEXT) | instid1(VALU_DEP_2)
	v_cndmask_b32_e64 v105, 0xffff8000, -1, s18
	v_lshrrev_b32_e32 v2, s45, v2
	s_delay_alu instid0(VALU_DEP_1) | instskip(NEXT) | instid1(VALU_DEP_1)
	v_and_b32_e32 v2, s42, v2
	v_lshlrev_b32_e32 v2, 2, v2
	ds_load_b32 v2, v2
	s_wait_dscnt 0x0
	v_add_nc_u32_e32 v2, v2, v31
	s_delay_alu instid0(VALU_DEP_1) | instskip(SKIP_1) | instid1(VALU_DEP_2)
	v_lshlrev_b64_e32 v[20:21], 1, v[2:3]
	v_xor_b32_e32 v2, v105, v103
	v_add_co_u32 v20, s18, s38, v20
	s_wait_alu 0xf1ff
	s_delay_alu instid0(VALU_DEP_3)
	v_add_co_ci_u32_e64 v21, null, s39, v21, s18
	global_store_b16 v[20:21], v2, off
	s_wait_alu 0xfffe
	s_or_b32 exec_lo, exec_lo, s19
	v_cmp_lt_u32_e64 s18, v34, v101
	s_and_saveexec_b32 s20, s18
	s_cbranch_execz .LBB2084_453
.LBB2084_489:                           ;   in Loop: Header=BB2084_402 Depth=2
	ds_load_u16 v103, v47 offset:3072
	s_wait_dscnt 0x0
	v_cmp_ne_u16_e64 s19, 0x7fff, v103
	s_wait_alu 0xf1ff
	s_delay_alu instid0(VALU_DEP_1) | instskip(SKIP_1) | instid1(VALU_DEP_2)
	v_cndmask_b32_e64 v2, 0xffff8000, v103, s19
	v_cmp_lt_i16_e64 s19, -1, v103
	v_and_b32_e32 v2, 0xffff, v2
	s_wait_alu 0xf1ff
	s_delay_alu instid0(VALU_DEP_2) | instskip(NEXT) | instid1(VALU_DEP_2)
	v_cndmask_b32_e64 v105, 0xffff8000, -1, s19
	v_lshrrev_b32_e32 v2, s45, v2
	s_delay_alu instid0(VALU_DEP_1) | instskip(NEXT) | instid1(VALU_DEP_1)
	v_and_b32_e32 v2, s42, v2
	v_lshlrev_b32_e32 v2, 2, v2
	ds_load_b32 v2, v2
	s_wait_dscnt 0x0
	v_add_nc_u32_e32 v2, v2, v34
	s_delay_alu instid0(VALU_DEP_1) | instskip(SKIP_1) | instid1(VALU_DEP_2)
	v_lshlrev_b64_e32 v[20:21], 1, v[2:3]
	v_xor_b32_e32 v2, v105, v103
	v_add_co_u32 v20, s19, s38, v20
	s_wait_alu 0xf1ff
	s_delay_alu instid0(VALU_DEP_3)
	v_add_co_ci_u32_e64 v21, null, s39, v21, s19
	global_store_b16 v[20:21], v2, off
	s_wait_alu 0xfffe
	s_or_b32 exec_lo, exec_lo, s20
	v_cmp_lt_u32_e64 s19, v35, v101
	s_and_saveexec_b32 s21, s19
	s_cbranch_execz .LBB2084_454
.LBB2084_490:                           ;   in Loop: Header=BB2084_402 Depth=2
	ds_load_u16 v103, v47 offset:3584
	s_wait_dscnt 0x0
	v_cmp_ne_u16_e64 s20, 0x7fff, v103
	s_wait_alu 0xf1ff
	s_delay_alu instid0(VALU_DEP_1) | instskip(SKIP_1) | instid1(VALU_DEP_2)
	v_cndmask_b32_e64 v2, 0xffff8000, v103, s20
	v_cmp_lt_i16_e64 s20, -1, v103
	v_and_b32_e32 v2, 0xffff, v2
	s_wait_alu 0xf1ff
	s_delay_alu instid0(VALU_DEP_2) | instskip(NEXT) | instid1(VALU_DEP_2)
	v_cndmask_b32_e64 v105, 0xffff8000, -1, s20
	v_lshrrev_b32_e32 v2, s45, v2
	s_delay_alu instid0(VALU_DEP_1) | instskip(NEXT) | instid1(VALU_DEP_1)
	v_and_b32_e32 v2, s42, v2
	v_lshlrev_b32_e32 v2, 2, v2
	ds_load_b32 v2, v2
	s_wait_dscnt 0x0
	v_add_nc_u32_e32 v2, v2, v35
	s_delay_alu instid0(VALU_DEP_1) | instskip(SKIP_1) | instid1(VALU_DEP_2)
	v_lshlrev_b64_e32 v[20:21], 1, v[2:3]
	v_xor_b32_e32 v2, v105, v103
	v_add_co_u32 v20, s20, s38, v20
	s_wait_alu 0xf1ff
	s_delay_alu instid0(VALU_DEP_3)
	v_add_co_ci_u32_e64 v21, null, s39, v21, s20
	global_store_b16 v[20:21], v2, off
	s_wait_alu 0xfffe
	s_or_b32 exec_lo, exec_lo, s21
	v_cmp_lt_u32_e64 s20, v36, v101
	s_and_saveexec_b32 s22, s20
	s_cbranch_execz .LBB2084_455
.LBB2084_491:                           ;   in Loop: Header=BB2084_402 Depth=2
	ds_load_u16 v103, v47 offset:4096
	s_wait_dscnt 0x0
	v_cmp_ne_u16_e64 s21, 0x7fff, v103
	s_wait_alu 0xf1ff
	s_delay_alu instid0(VALU_DEP_1) | instskip(SKIP_1) | instid1(VALU_DEP_2)
	v_cndmask_b32_e64 v2, 0xffff8000, v103, s21
	v_cmp_lt_i16_e64 s21, -1, v103
	v_and_b32_e32 v2, 0xffff, v2
	s_wait_alu 0xf1ff
	s_delay_alu instid0(VALU_DEP_2) | instskip(NEXT) | instid1(VALU_DEP_2)
	v_cndmask_b32_e64 v105, 0xffff8000, -1, s21
	v_lshrrev_b32_e32 v2, s45, v2
	s_delay_alu instid0(VALU_DEP_1) | instskip(NEXT) | instid1(VALU_DEP_1)
	v_and_b32_e32 v2, s42, v2
	v_lshlrev_b32_e32 v2, 2, v2
	ds_load_b32 v2, v2
	s_wait_dscnt 0x0
	v_add_nc_u32_e32 v2, v2, v36
	s_delay_alu instid0(VALU_DEP_1) | instskip(SKIP_1) | instid1(VALU_DEP_2)
	v_lshlrev_b64_e32 v[20:21], 1, v[2:3]
	v_xor_b32_e32 v2, v105, v103
	v_add_co_u32 v20, s21, s38, v20
	s_wait_alu 0xf1ff
	s_delay_alu instid0(VALU_DEP_3)
	v_add_co_ci_u32_e64 v21, null, s39, v21, s21
	global_store_b16 v[20:21], v2, off
	s_wait_alu 0xfffe
	s_or_b32 exec_lo, exec_lo, s22
	v_cmp_lt_u32_e64 s21, v37, v101
	s_and_saveexec_b32 s48, s21
	s_cbranch_execnz .LBB2084_456
	s_branch .LBB2084_457
.LBB2084_492:                           ;   in Loop: Header=BB2084_402 Depth=2
	global_load_b64 v[18:19], v[20:21], off
	s_wait_alu 0xfffe
	s_or_b32 exec_lo, exec_lo, s22
	s_delay_alu instid0(SALU_CYCLE_1)
	s_mov_b32 s30, exec_lo
	v_cmpx_lt_u32_e64 v70, v101
	s_cbranch_execz .LBB2084_459
.LBB2084_493:                           ;   in Loop: Header=BB2084_402 Depth=2
	global_load_b64 v[16:17], v[20:21], off offset:256
	s_wait_alu 0xfffe
	s_or_b32 exec_lo, exec_lo, s30
	s_delay_alu instid0(SALU_CYCLE_1)
	s_mov_b32 s30, exec_lo
	v_cmpx_lt_u32_e64 v71, v101
	s_cbranch_execz .LBB2084_460
.LBB2084_494:                           ;   in Loop: Header=BB2084_402 Depth=2
	global_load_b64 v[14:15], v[20:21], off offset:512
	s_wait_alu 0xfffe
	s_or_b32 exec_lo, exec_lo, s30
	s_delay_alu instid0(SALU_CYCLE_1)
	s_mov_b32 s30, exec_lo
	v_cmpx_lt_u32_e64 v72, v101
	s_cbranch_execz .LBB2084_461
.LBB2084_495:                           ;   in Loop: Header=BB2084_402 Depth=2
	global_load_b64 v[12:13], v[20:21], off offset:768
	s_wait_alu 0xfffe
	s_or_b32 exec_lo, exec_lo, s30
	s_delay_alu instid0(SALU_CYCLE_1)
	s_mov_b32 s30, exec_lo
	v_cmpx_lt_u32_e64 v73, v101
	s_cbranch_execz .LBB2084_462
.LBB2084_496:                           ;   in Loop: Header=BB2084_402 Depth=2
	global_load_b64 v[10:11], v[20:21], off offset:1024
	s_wait_alu 0xfffe
	s_or_b32 exec_lo, exec_lo, s30
	s_delay_alu instid0(SALU_CYCLE_1)
	s_mov_b32 s30, exec_lo
	v_cmpx_lt_u32_e64 v74, v101
	s_cbranch_execz .LBB2084_463
.LBB2084_497:                           ;   in Loop: Header=BB2084_402 Depth=2
	global_load_b64 v[8:9], v[20:21], off offset:1280
	s_wait_alu 0xfffe
	s_or_b32 exec_lo, exec_lo, s30
	s_delay_alu instid0(SALU_CYCLE_1)
	s_mov_b32 s30, exec_lo
	v_cmpx_lt_u32_e64 v75, v101
	s_cbranch_execz .LBB2084_464
.LBB2084_498:                           ;   in Loop: Header=BB2084_402 Depth=2
	global_load_b64 v[6:7], v[20:21], off offset:1536
	s_wait_alu 0xfffe
	s_or_b32 exec_lo, exec_lo, s30
	s_delay_alu instid0(SALU_CYCLE_1)
	s_mov_b32 s30, exec_lo
	v_cmpx_lt_u32_e64 v76, v101
	s_cbranch_execz .LBB2084_465
.LBB2084_499:                           ;   in Loop: Header=BB2084_402 Depth=2
	global_load_b64 v[4:5], v[20:21], off offset:1792
	s_wait_alu 0xfffe
	s_or_b32 exec_lo, exec_lo, s30
	s_and_saveexec_b32 s30, vcc_lo
	s_cbranch_execz .LBB2084_466
.LBB2084_500:                           ;   in Loop: Header=BB2084_402 Depth=2
	ds_load_u16 v2, v47 offset:1024
	s_wait_dscnt 0x0
	v_cmp_ne_u16_e64 s22, 0x7fff, v2
	s_wait_alu 0xf1ff
	s_delay_alu instid0(VALU_DEP_1) | instskip(NEXT) | instid1(VALU_DEP_1)
	v_cndmask_b32_e64 v2, 0xffff8000, v2, s22
	v_and_b32_e32 v2, 0xffff, v2
	s_delay_alu instid0(VALU_DEP_1) | instskip(NEXT) | instid1(VALU_DEP_1)
	v_lshrrev_b32_e32 v2, s45, v2
	v_and_b32_e32 v100, s42, v2
	s_wait_alu 0xfffe
	s_or_b32 exec_lo, exec_lo, s30
	s_and_saveexec_b32 s30, s15
	s_cbranch_execz .LBB2084_467
.LBB2084_501:                           ;   in Loop: Header=BB2084_402 Depth=2
	ds_load_u16 v2, v47 offset:1536
	s_wait_dscnt 0x0
	v_cmp_ne_u16_e64 s22, 0x7fff, v2
	s_wait_alu 0xf1ff
	s_delay_alu instid0(VALU_DEP_1) | instskip(NEXT) | instid1(VALU_DEP_1)
	v_cndmask_b32_e64 v2, 0xffff8000, v2, s22
	v_and_b32_e32 v2, 0xffff, v2
	s_delay_alu instid0(VALU_DEP_1) | instskip(NEXT) | instid1(VALU_DEP_1)
	v_lshrrev_b32_e32 v2, s45, v2
	v_and_b32_e32 v99, s42, v2
	s_wait_alu 0xfffe
	s_or_b32 exec_lo, exec_lo, s30
	s_and_saveexec_b32 s30, s16
	s_cbranch_execz .LBB2084_468
.LBB2084_502:                           ;   in Loop: Header=BB2084_402 Depth=2
	ds_load_u16 v2, v47 offset:2048
	s_wait_dscnt 0x0
	v_cmp_ne_u16_e64 s22, 0x7fff, v2
	s_wait_alu 0xf1ff
	s_delay_alu instid0(VALU_DEP_1) | instskip(NEXT) | instid1(VALU_DEP_1)
	v_cndmask_b32_e64 v2, 0xffff8000, v2, s22
	v_and_b32_e32 v2, 0xffff, v2
	s_delay_alu instid0(VALU_DEP_1) | instskip(NEXT) | instid1(VALU_DEP_1)
	v_lshrrev_b32_e32 v2, s45, v2
	v_and_b32_e32 v98, s42, v2
	s_wait_alu 0xfffe
	s_or_b32 exec_lo, exec_lo, s30
	s_and_saveexec_b32 s30, s17
	s_cbranch_execz .LBB2084_469
.LBB2084_503:                           ;   in Loop: Header=BB2084_402 Depth=2
	ds_load_u16 v2, v47 offset:2560
	s_wait_dscnt 0x0
	v_cmp_ne_u16_e64 s22, 0x7fff, v2
	s_wait_alu 0xf1ff
	s_delay_alu instid0(VALU_DEP_1) | instskip(NEXT) | instid1(VALU_DEP_1)
	v_cndmask_b32_e64 v2, 0xffff8000, v2, s22
	v_and_b32_e32 v2, 0xffff, v2
	s_delay_alu instid0(VALU_DEP_1) | instskip(NEXT) | instid1(VALU_DEP_1)
	v_lshrrev_b32_e32 v2, s45, v2
	v_and_b32_e32 v97, s42, v2
	s_wait_alu 0xfffe
	s_or_b32 exec_lo, exec_lo, s30
	s_and_saveexec_b32 s30, s18
	s_cbranch_execz .LBB2084_470
.LBB2084_504:                           ;   in Loop: Header=BB2084_402 Depth=2
	ds_load_u16 v2, v47 offset:3072
	s_wait_dscnt 0x0
	v_cmp_ne_u16_e64 s22, 0x7fff, v2
	s_wait_alu 0xf1ff
	s_delay_alu instid0(VALU_DEP_1) | instskip(NEXT) | instid1(VALU_DEP_1)
	v_cndmask_b32_e64 v2, 0xffff8000, v2, s22
	v_and_b32_e32 v2, 0xffff, v2
	s_delay_alu instid0(VALU_DEP_1) | instskip(NEXT) | instid1(VALU_DEP_1)
	v_lshrrev_b32_e32 v2, s45, v2
	v_and_b32_e32 v96, s42, v2
	s_wait_alu 0xfffe
	s_or_b32 exec_lo, exec_lo, s30
	s_and_saveexec_b32 s30, s19
	s_cbranch_execz .LBB2084_471
.LBB2084_505:                           ;   in Loop: Header=BB2084_402 Depth=2
	ds_load_u16 v2, v47 offset:3584
	s_wait_dscnt 0x0
	v_cmp_ne_u16_e64 s22, 0x7fff, v2
	s_wait_alu 0xf1ff
	s_delay_alu instid0(VALU_DEP_1) | instskip(NEXT) | instid1(VALU_DEP_1)
	v_cndmask_b32_e64 v2, 0xffff8000, v2, s22
	v_and_b32_e32 v2, 0xffff, v2
	s_delay_alu instid0(VALU_DEP_1) | instskip(NEXT) | instid1(VALU_DEP_1)
	v_lshrrev_b32_e32 v2, s45, v2
	v_and_b32_e32 v95, s42, v2
	s_wait_alu 0xfffe
	s_or_b32 exec_lo, exec_lo, s30
	s_and_saveexec_b32 s30, s20
	s_cbranch_execz .LBB2084_472
.LBB2084_506:                           ;   in Loop: Header=BB2084_402 Depth=2
	ds_load_u16 v2, v47 offset:4096
	s_wait_dscnt 0x0
	v_cmp_ne_u16_e64 s22, 0x7fff, v2
	s_wait_alu 0xf1ff
	s_delay_alu instid0(VALU_DEP_1) | instskip(NEXT) | instid1(VALU_DEP_1)
	v_cndmask_b32_e64 v2, 0xffff8000, v2, s22
	v_and_b32_e32 v2, 0xffff, v2
	s_delay_alu instid0(VALU_DEP_1) | instskip(NEXT) | instid1(VALU_DEP_1)
	v_lshrrev_b32_e32 v2, s45, v2
	v_and_b32_e32 v94, s42, v2
	s_wait_alu 0xfffe
	s_or_b32 exec_lo, exec_lo, s30
	s_and_saveexec_b32 s30, s21
	s_cbranch_execnz .LBB2084_473
	s_branch .LBB2084_474
.LBB2084_507:                           ;   in Loop: Header=BB2084_402 Depth=2
	v_lshlrev_b32_e32 v2, 2, v100
	v_add_nc_u32_e32 v20, v47, v48
	ds_load_b32 v2, v2
	ds_load_b64 v[20:21], v20 offset:1024
	s_wait_dscnt 0x1
	v_add_nc_u32_e32 v2, v2, v1
	s_delay_alu instid0(VALU_DEP_1) | instskip(NEXT) | instid1(VALU_DEP_1)
	v_lshlrev_b64_e32 v[23:24], 3, v[2:3]
	v_add_co_u32 v23, vcc_lo, s24, v23
	s_wait_alu 0xfffd
	s_delay_alu instid0(VALU_DEP_2)
	v_add_co_ci_u32_e64 v24, null, s25, v24, vcc_lo
	s_wait_dscnt 0x0
	global_store_b64 v[23:24], v[20:21], off
	s_wait_alu 0xfffe
	s_or_b32 exec_lo, exec_lo, s22
	s_and_saveexec_b32 s22, s15
	s_cbranch_execz .LBB2084_476
.LBB2084_508:                           ;   in Loop: Header=BB2084_402 Depth=2
	v_lshlrev_b32_e32 v2, 2, v99
	v_add_nc_u32_e32 v20, v47, v48
	ds_load_b32 v2, v2
	ds_load_b64 v[20:21], v20 offset:3072
	s_wait_dscnt 0x1
	v_add_nc_u32_e32 v2, v2, v29
	s_delay_alu instid0(VALU_DEP_1) | instskip(NEXT) | instid1(VALU_DEP_1)
	v_lshlrev_b64_e32 v[23:24], 3, v[2:3]
	v_add_co_u32 v23, vcc_lo, s24, v23
	s_wait_alu 0xfffd
	s_delay_alu instid0(VALU_DEP_2)
	v_add_co_ci_u32_e64 v24, null, s25, v24, vcc_lo
	s_wait_dscnt 0x0
	global_store_b64 v[23:24], v[20:21], off
	s_wait_alu 0xfffe
	s_or_b32 exec_lo, exec_lo, s22
	s_and_saveexec_b32 s15, s16
	s_cbranch_execz .LBB2084_477
.LBB2084_509:                           ;   in Loop: Header=BB2084_402 Depth=2
	v_lshlrev_b32_e32 v2, 2, v98
	v_add_nc_u32_e32 v20, v47, v48
	ds_load_b32 v2, v2
	ds_load_b64 v[20:21], v20 offset:5120
	s_wait_dscnt 0x1
	v_add_nc_u32_e32 v2, v2, v30
	s_delay_alu instid0(VALU_DEP_1) | instskip(NEXT) | instid1(VALU_DEP_1)
	v_lshlrev_b64_e32 v[23:24], 3, v[2:3]
	v_add_co_u32 v23, vcc_lo, s24, v23
	s_wait_alu 0xfffd
	s_delay_alu instid0(VALU_DEP_2)
	v_add_co_ci_u32_e64 v24, null, s25, v24, vcc_lo
	s_wait_dscnt 0x0
	global_store_b64 v[23:24], v[20:21], off
	s_wait_alu 0xfffe
	s_or_b32 exec_lo, exec_lo, s15
	s_and_saveexec_b32 s15, s17
	s_cbranch_execz .LBB2084_478
.LBB2084_510:                           ;   in Loop: Header=BB2084_402 Depth=2
	v_lshlrev_b32_e32 v2, 2, v97
	v_add_nc_u32_e32 v20, v47, v48
	ds_load_b32 v2, v2
	ds_load_b64 v[20:21], v20 offset:7168
	s_wait_dscnt 0x1
	v_add_nc_u32_e32 v2, v2, v31
	s_delay_alu instid0(VALU_DEP_1) | instskip(NEXT) | instid1(VALU_DEP_1)
	v_lshlrev_b64_e32 v[23:24], 3, v[2:3]
	v_add_co_u32 v23, vcc_lo, s24, v23
	s_wait_alu 0xfffd
	s_delay_alu instid0(VALU_DEP_2)
	v_add_co_ci_u32_e64 v24, null, s25, v24, vcc_lo
	s_wait_dscnt 0x0
	global_store_b64 v[23:24], v[20:21], off
	s_wait_alu 0xfffe
	s_or_b32 exec_lo, exec_lo, s15
	s_and_saveexec_b32 s15, s18
	s_cbranch_execz .LBB2084_479
.LBB2084_511:                           ;   in Loop: Header=BB2084_402 Depth=2
	v_lshlrev_b32_e32 v2, 2, v96
	v_add_nc_u32_e32 v20, v47, v48
	ds_load_b32 v2, v2
	ds_load_b64 v[20:21], v20 offset:9216
	s_wait_dscnt 0x1
	v_add_nc_u32_e32 v2, v2, v34
	s_delay_alu instid0(VALU_DEP_1) | instskip(NEXT) | instid1(VALU_DEP_1)
	v_lshlrev_b64_e32 v[23:24], 3, v[2:3]
	v_add_co_u32 v23, vcc_lo, s24, v23
	s_wait_alu 0xfffd
	s_delay_alu instid0(VALU_DEP_2)
	v_add_co_ci_u32_e64 v24, null, s25, v24, vcc_lo
	s_wait_dscnt 0x0
	global_store_b64 v[23:24], v[20:21], off
	s_wait_alu 0xfffe
	s_or_b32 exec_lo, exec_lo, s15
	s_and_saveexec_b32 s15, s19
	s_cbranch_execz .LBB2084_480
.LBB2084_512:                           ;   in Loop: Header=BB2084_402 Depth=2
	v_lshlrev_b32_e32 v2, 2, v95
	v_add_nc_u32_e32 v20, v47, v48
	ds_load_b32 v2, v2
	ds_load_b64 v[20:21], v20 offset:11264
	s_wait_dscnt 0x1
	v_add_nc_u32_e32 v2, v2, v35
	s_delay_alu instid0(VALU_DEP_1) | instskip(NEXT) | instid1(VALU_DEP_1)
	v_lshlrev_b64_e32 v[23:24], 3, v[2:3]
	v_add_co_u32 v23, vcc_lo, s24, v23
	s_wait_alu 0xfffd
	s_delay_alu instid0(VALU_DEP_2)
	v_add_co_ci_u32_e64 v24, null, s25, v24, vcc_lo
	s_wait_dscnt 0x0
	global_store_b64 v[23:24], v[20:21], off
	s_wait_alu 0xfffe
	s_or_b32 exec_lo, exec_lo, s15
	s_and_saveexec_b32 s15, s20
	s_cbranch_execz .LBB2084_481
.LBB2084_513:                           ;   in Loop: Header=BB2084_402 Depth=2
	v_lshlrev_b32_e32 v2, 2, v94
	v_add_nc_u32_e32 v20, v47, v48
	ds_load_b32 v2, v2
	ds_load_b64 v[20:21], v20 offset:13312
	s_wait_dscnt 0x1
	v_add_nc_u32_e32 v2, v2, v36
	s_delay_alu instid0(VALU_DEP_1) | instskip(NEXT) | instid1(VALU_DEP_1)
	v_lshlrev_b64_e32 v[23:24], 3, v[2:3]
	v_add_co_u32 v23, vcc_lo, s24, v23
	s_wait_alu 0xfffd
	s_delay_alu instid0(VALU_DEP_2)
	v_add_co_ci_u32_e64 v24, null, s25, v24, vcc_lo
	s_wait_dscnt 0x0
	global_store_b64 v[23:24], v[20:21], off
	s_wait_alu 0xfffe
	s_or_b32 exec_lo, exec_lo, s15
	s_and_saveexec_b32 s15, s21
	s_cbranch_execnz .LBB2084_482
	s_branch .LBB2084_483
.LBB2084_514:                           ;   in Loop: Header=BB2084_20 Depth=1
	s_wait_loadcnt_dscnt 0x0
	s_barrier_signal -1
	s_mov_b32 s0, 0
	s_barrier_wait -1
.LBB2084_515:                           ;   in Loop: Header=BB2084_20 Depth=1
	s_wait_alu 0xfffe
	s_and_b32 vcc_lo, exec_lo, s0
	s_wait_alu 0xfffe
	s_cbranch_vccz .LBB2084_19
; %bb.516:                              ;   in Loop: Header=BB2084_20 Depth=1
	s_mov_b32 s9, s47
	s_mov_b32 s30, s33
	s_barrier_signal -1
	s_barrier_wait -1
	global_inv scope:SCOPE_SE
                                        ; implicit-def: $vgpr2
                                        ; implicit-def: $vgpr4
                                        ; implicit-def: $vgpr5
                                        ; implicit-def: $vgpr6
                                        ; implicit-def: $vgpr7
                                        ; implicit-def: $vgpr8
                                        ; implicit-def: $vgpr9
                                        ; implicit-def: $vgpr10
	s_branch .LBB2084_518
.LBB2084_517:                           ;   in Loop: Header=BB2084_518 Depth=2
	s_wait_alu 0xfffe
	s_or_b32 exec_lo, exec_lo, s0
	s_addk_co_i32 s9, 0xf800
	s_cmp_ge_u32 s10, s34
	s_mov_b32 s30, s10
	s_cbranch_scc1 .LBB2084_554
.LBB2084_518:                           ;   Parent Loop BB2084_20 Depth=1
                                        ; =>  This Inner Loop Header: Depth=2
	s_wait_alu 0xfffe
	s_add_co_i32 s10, s30, 0x800
	s_mov_b32 s0, -1
	s_wait_alu 0xfffe
	s_cmp_gt_u32 s10, s34
                                        ; implicit-def: $vgpr11
                                        ; implicit-def: $vgpr12
                                        ; implicit-def: $vgpr13
                                        ; implicit-def: $vgpr14
                                        ; implicit-def: $vgpr15
                                        ; implicit-def: $vgpr16
                                        ; implicit-def: $vgpr17
                                        ; implicit-def: $vgpr18
	s_cbranch_scc1 .LBB2084_520
; %bb.519:                              ;   in Loop: Header=BB2084_518 Depth=2
	s_lshl_b64 s[0:1], s[30:31], 1
	s_wait_alu 0xfffe
	v_add_co_u32 v18, vcc_lo, v55, s0
	s_wait_alu 0xfffd
	v_add_co_ci_u32_e64 v19, null, s1, v56, vcc_lo
	s_mov_b32 s0, 0
	s_clause 0x7
	global_load_u16 v11, v[18:19], off
	global_load_u16 v12, v[18:19], off offset:512
	global_load_u16 v13, v[18:19], off offset:1024
	;; [unrolled: 1-line block ×7, first 2 shown]
.LBB2084_520:                           ;   in Loop: Header=BB2084_518 Depth=2
	s_wait_alu 0xfffe
	s_and_not1_b32 vcc_lo, exec_lo, s0
	s_movk_i32 s0, 0x800
	s_wait_alu 0xfffe
	s_cbranch_vccnz .LBB2084_531
; %bb.521:                              ;   in Loop: Header=BB2084_518 Depth=2
	s_lshl_b64 s[0:1], s[30:31], 1
	s_mov_b32 s11, exec_lo
	s_wait_alu 0xfffe
	s_add_nc_u64 s[0:1], s[36:37], s[0:1]
	v_cmpx_gt_u32_e64 s9, v1
	s_cbranch_execnz .LBB2084_547
; %bb.522:                              ;   in Loop: Header=BB2084_518 Depth=2
	s_or_b32 exec_lo, exec_lo, s11
	s_delay_alu instid0(SALU_CYCLE_1)
	s_mov_b32 s11, exec_lo
	v_cmpx_gt_u32_e64 s9, v29
	s_cbranch_execnz .LBB2084_548
.LBB2084_523:                           ;   in Loop: Header=BB2084_518 Depth=2
	s_wait_alu 0xfffe
	s_or_b32 exec_lo, exec_lo, s11
	s_delay_alu instid0(SALU_CYCLE_1)
	s_mov_b32 s11, exec_lo
	v_cmpx_gt_u32_e64 s9, v30
	s_cbranch_execnz .LBB2084_549
.LBB2084_524:                           ;   in Loop: Header=BB2084_518 Depth=2
	s_wait_alu 0xfffe
	s_or_b32 exec_lo, exec_lo, s11
	s_delay_alu instid0(SALU_CYCLE_1)
	s_mov_b32 s11, exec_lo
	v_cmpx_gt_u32_e64 s9, v31
	s_cbranch_execnz .LBB2084_550
.LBB2084_525:                           ;   in Loop: Header=BB2084_518 Depth=2
	s_wait_alu 0xfffe
	s_or_b32 exec_lo, exec_lo, s11
	s_delay_alu instid0(SALU_CYCLE_1)
	s_mov_b32 s11, exec_lo
	v_cmpx_gt_u32_e64 s9, v34
	s_cbranch_execnz .LBB2084_551
.LBB2084_526:                           ;   in Loop: Header=BB2084_518 Depth=2
	s_wait_alu 0xfffe
	s_or_b32 exec_lo, exec_lo, s11
	s_delay_alu instid0(SALU_CYCLE_1)
	s_mov_b32 s11, exec_lo
	v_cmpx_gt_u32_e64 s9, v35
	s_cbranch_execnz .LBB2084_552
.LBB2084_527:                           ;   in Loop: Header=BB2084_518 Depth=2
	s_wait_alu 0xfffe
	s_or_b32 exec_lo, exec_lo, s11
	s_delay_alu instid0(SALU_CYCLE_1)
	s_mov_b32 s11, exec_lo
	v_cmpx_gt_u32_e64 s9, v36
	s_cbranch_execnz .LBB2084_553
.LBB2084_528:                           ;   in Loop: Header=BB2084_518 Depth=2
	s_wait_alu 0xfffe
	s_or_b32 exec_lo, exec_lo, s11
	s_delay_alu instid0(SALU_CYCLE_1)
	s_mov_b32 s11, exec_lo
	v_cmpx_gt_u32_e64 s9, v37
	s_cbranch_execz .LBB2084_530
.LBB2084_529:                           ;   in Loop: Header=BB2084_518 Depth=2
	global_load_u16 v2, v82, s[0:1] offset:3584
.LBB2084_530:                           ;   in Loop: Header=BB2084_518 Depth=2
	s_wait_alu 0xfffe
	s_or_b32 exec_lo, exec_lo, s11
	s_wait_loadcnt 0x0
	v_dual_mov_b32 v11, v10 :: v_dual_mov_b32 v12, v9
	v_dual_mov_b32 v13, v8 :: v_dual_mov_b32 v14, v7
	v_dual_mov_b32 v15, v6 :: v_dual_mov_b32 v16, v5
	v_dual_mov_b32 v17, v4 :: v_dual_mov_b32 v18, v2
	s_mov_b32 s0, s9
.LBB2084_531:                           ;   in Loop: Header=BB2084_518 Depth=2
	s_wait_loadcnt 0x0
	s_delay_alu instid0(VALU_DEP_1) | instskip(NEXT) | instid1(VALU_DEP_2)
	v_dual_mov_b32 v2, v18 :: v_dual_mov_b32 v5, v16
	v_dual_mov_b32 v4, v17 :: v_dual_mov_b32 v7, v14
	;; [unrolled: 1-line block ×3, first 2 shown]
	v_mov_b32_e32 v8, v13
	v_mov_b32_e32 v10, v11
	s_mov_b32 s1, exec_lo
	s_wait_alu 0xfffe
	v_cmpx_gt_u32_e64 s0, v1
	s_cbranch_execnz .LBB2084_539
; %bb.532:                              ;   in Loop: Header=BB2084_518 Depth=2
	s_or_b32 exec_lo, exec_lo, s1
	s_delay_alu instid0(SALU_CYCLE_1)
	s_mov_b32 s1, exec_lo
	v_cmpx_gt_u32_e64 s0, v29
	s_cbranch_execnz .LBB2084_540
.LBB2084_533:                           ;   in Loop: Header=BB2084_518 Depth=2
	s_wait_alu 0xfffe
	s_or_b32 exec_lo, exec_lo, s1
	s_delay_alu instid0(SALU_CYCLE_1)
	s_mov_b32 s1, exec_lo
	v_cmpx_gt_u32_e64 s0, v30
	s_cbranch_execnz .LBB2084_541
.LBB2084_534:                           ;   in Loop: Header=BB2084_518 Depth=2
	s_wait_alu 0xfffe
	s_or_b32 exec_lo, exec_lo, s1
	s_delay_alu instid0(SALU_CYCLE_1)
	s_mov_b32 s1, exec_lo
	v_cmpx_gt_u32_e64 s0, v31
	s_cbranch_execnz .LBB2084_542
.LBB2084_535:                           ;   in Loop: Header=BB2084_518 Depth=2
	s_wait_alu 0xfffe
	s_or_b32 exec_lo, exec_lo, s1
	s_delay_alu instid0(SALU_CYCLE_1)
	s_mov_b32 s1, exec_lo
	v_cmpx_gt_u32_e64 s0, v34
	s_cbranch_execnz .LBB2084_543
.LBB2084_536:                           ;   in Loop: Header=BB2084_518 Depth=2
	s_wait_alu 0xfffe
	s_or_b32 exec_lo, exec_lo, s1
	s_delay_alu instid0(SALU_CYCLE_1)
	s_mov_b32 s1, exec_lo
	v_cmpx_gt_u32_e64 s0, v35
	s_cbranch_execnz .LBB2084_544
.LBB2084_537:                           ;   in Loop: Header=BB2084_518 Depth=2
	s_wait_alu 0xfffe
	s_or_b32 exec_lo, exec_lo, s1
	s_delay_alu instid0(SALU_CYCLE_1)
	s_mov_b32 s1, exec_lo
	v_cmpx_gt_u32_e64 s0, v36
	s_cbranch_execnz .LBB2084_545
.LBB2084_538:                           ;   in Loop: Header=BB2084_518 Depth=2
	s_wait_alu 0xfffe
	s_or_b32 exec_lo, exec_lo, s1
	v_cmp_gt_u32_e32 vcc_lo, s0, v37
	s_and_saveexec_b32 s0, vcc_lo
	s_cbranch_execz .LBB2084_517
	s_branch .LBB2084_546
.LBB2084_539:                           ;   in Loop: Header=BB2084_518 Depth=2
	v_cmp_lt_i16_e32 vcc_lo, -1, v10
	s_wait_alu 0xfffd
	v_cndmask_b32_e64 v11, -1, 0xffff8000, vcc_lo
	s_delay_alu instid0(VALU_DEP_1) | instskip(NEXT) | instid1(VALU_DEP_1)
	v_xor_b32_e32 v11, v11, v10
	v_cmp_ne_u16_e32 vcc_lo, 0x7fff, v11
	s_wait_alu 0xfffd
	v_cndmask_b32_e32 v11, 0xffff8000, v11, vcc_lo
	s_delay_alu instid0(VALU_DEP_1) | instskip(NEXT) | instid1(VALU_DEP_1)
	v_and_b32_e32 v11, 0xffff, v11
	v_lshrrev_b32_e32 v11, s45, v11
	s_delay_alu instid0(VALU_DEP_1) | instskip(NEXT) | instid1(VALU_DEP_1)
	v_and_b32_e32 v11, s42, v11
	v_lshl_or_b32 v11, v11, 4, v39
	ds_add_u32 v11, v62
	s_or_b32 exec_lo, exec_lo, s1
	s_delay_alu instid0(SALU_CYCLE_1)
	s_mov_b32 s1, exec_lo
	v_cmpx_gt_u32_e64 s0, v29
	s_cbranch_execz .LBB2084_533
.LBB2084_540:                           ;   in Loop: Header=BB2084_518 Depth=2
	v_cmp_lt_i16_e32 vcc_lo, -1, v9
	s_wait_alu 0xfffd
	v_cndmask_b32_e64 v11, -1, 0xffff8000, vcc_lo
	s_delay_alu instid0(VALU_DEP_1) | instskip(NEXT) | instid1(VALU_DEP_1)
	v_xor_b32_e32 v11, v11, v9
	v_cmp_ne_u16_e32 vcc_lo, 0x7fff, v11
	s_wait_alu 0xfffd
	v_cndmask_b32_e32 v11, 0xffff8000, v11, vcc_lo
	s_delay_alu instid0(VALU_DEP_1) | instskip(NEXT) | instid1(VALU_DEP_1)
	v_and_b32_e32 v11, 0xffff, v11
	v_lshrrev_b32_e32 v11, s45, v11
	s_delay_alu instid0(VALU_DEP_1) | instskip(NEXT) | instid1(VALU_DEP_1)
	v_and_b32_e32 v11, s42, v11
	v_lshl_or_b32 v11, v11, 4, v39
	ds_add_u32 v11, v62
	s_wait_alu 0xfffe
	s_or_b32 exec_lo, exec_lo, s1
	s_delay_alu instid0(SALU_CYCLE_1)
	s_mov_b32 s1, exec_lo
	v_cmpx_gt_u32_e64 s0, v30
	s_cbranch_execz .LBB2084_534
.LBB2084_541:                           ;   in Loop: Header=BB2084_518 Depth=2
	v_cmp_lt_i16_e32 vcc_lo, -1, v8
	s_wait_alu 0xfffd
	v_cndmask_b32_e64 v11, -1, 0xffff8000, vcc_lo
	s_delay_alu instid0(VALU_DEP_1) | instskip(NEXT) | instid1(VALU_DEP_1)
	v_xor_b32_e32 v11, v11, v8
	v_cmp_ne_u16_e32 vcc_lo, 0x7fff, v11
	s_wait_alu 0xfffd
	v_cndmask_b32_e32 v11, 0xffff8000, v11, vcc_lo
	s_delay_alu instid0(VALU_DEP_1) | instskip(NEXT) | instid1(VALU_DEP_1)
	v_and_b32_e32 v11, 0xffff, v11
	v_lshrrev_b32_e32 v11, s45, v11
	s_delay_alu instid0(VALU_DEP_1) | instskip(NEXT) | instid1(VALU_DEP_1)
	v_and_b32_e32 v11, s42, v11
	v_lshl_or_b32 v11, v11, 4, v39
	ds_add_u32 v11, v62
	s_wait_alu 0xfffe
	s_or_b32 exec_lo, exec_lo, s1
	s_delay_alu instid0(SALU_CYCLE_1)
	s_mov_b32 s1, exec_lo
	v_cmpx_gt_u32_e64 s0, v31
	s_cbranch_execz .LBB2084_535
.LBB2084_542:                           ;   in Loop: Header=BB2084_518 Depth=2
	v_cmp_lt_i16_e32 vcc_lo, -1, v7
	s_wait_alu 0xfffd
	v_cndmask_b32_e64 v11, -1, 0xffff8000, vcc_lo
	s_delay_alu instid0(VALU_DEP_1) | instskip(NEXT) | instid1(VALU_DEP_1)
	v_xor_b32_e32 v11, v11, v7
	v_cmp_ne_u16_e32 vcc_lo, 0x7fff, v11
	s_wait_alu 0xfffd
	v_cndmask_b32_e32 v11, 0xffff8000, v11, vcc_lo
	s_delay_alu instid0(VALU_DEP_1) | instskip(NEXT) | instid1(VALU_DEP_1)
	v_and_b32_e32 v11, 0xffff, v11
	v_lshrrev_b32_e32 v11, s45, v11
	s_delay_alu instid0(VALU_DEP_1) | instskip(NEXT) | instid1(VALU_DEP_1)
	v_and_b32_e32 v11, s42, v11
	v_lshl_or_b32 v11, v11, 4, v39
	ds_add_u32 v11, v62
	s_wait_alu 0xfffe
	s_or_b32 exec_lo, exec_lo, s1
	s_delay_alu instid0(SALU_CYCLE_1)
	s_mov_b32 s1, exec_lo
	v_cmpx_gt_u32_e64 s0, v34
	s_cbranch_execz .LBB2084_536
.LBB2084_543:                           ;   in Loop: Header=BB2084_518 Depth=2
	v_cmp_lt_i16_e32 vcc_lo, -1, v6
	s_wait_alu 0xfffd
	v_cndmask_b32_e64 v11, -1, 0xffff8000, vcc_lo
	s_delay_alu instid0(VALU_DEP_1) | instskip(NEXT) | instid1(VALU_DEP_1)
	v_xor_b32_e32 v11, v11, v6
	v_cmp_ne_u16_e32 vcc_lo, 0x7fff, v11
	s_wait_alu 0xfffd
	v_cndmask_b32_e32 v11, 0xffff8000, v11, vcc_lo
	s_delay_alu instid0(VALU_DEP_1) | instskip(NEXT) | instid1(VALU_DEP_1)
	v_and_b32_e32 v11, 0xffff, v11
	v_lshrrev_b32_e32 v11, s45, v11
	s_delay_alu instid0(VALU_DEP_1) | instskip(NEXT) | instid1(VALU_DEP_1)
	v_and_b32_e32 v11, s42, v11
	v_lshl_or_b32 v11, v11, 4, v39
	ds_add_u32 v11, v62
	s_wait_alu 0xfffe
	s_or_b32 exec_lo, exec_lo, s1
	s_delay_alu instid0(SALU_CYCLE_1)
	s_mov_b32 s1, exec_lo
	v_cmpx_gt_u32_e64 s0, v35
	s_cbranch_execz .LBB2084_537
.LBB2084_544:                           ;   in Loop: Header=BB2084_518 Depth=2
	v_cmp_lt_i16_e32 vcc_lo, -1, v5
	s_wait_alu 0xfffd
	v_cndmask_b32_e64 v11, -1, 0xffff8000, vcc_lo
	s_delay_alu instid0(VALU_DEP_1) | instskip(NEXT) | instid1(VALU_DEP_1)
	v_xor_b32_e32 v11, v11, v5
	v_cmp_ne_u16_e32 vcc_lo, 0x7fff, v11
	s_wait_alu 0xfffd
	v_cndmask_b32_e32 v11, 0xffff8000, v11, vcc_lo
	s_delay_alu instid0(VALU_DEP_1) | instskip(NEXT) | instid1(VALU_DEP_1)
	v_and_b32_e32 v11, 0xffff, v11
	v_lshrrev_b32_e32 v11, s45, v11
	s_delay_alu instid0(VALU_DEP_1) | instskip(NEXT) | instid1(VALU_DEP_1)
	v_and_b32_e32 v11, s42, v11
	v_lshl_or_b32 v11, v11, 4, v39
	ds_add_u32 v11, v62
	s_wait_alu 0xfffe
	s_or_b32 exec_lo, exec_lo, s1
	s_delay_alu instid0(SALU_CYCLE_1)
	s_mov_b32 s1, exec_lo
	v_cmpx_gt_u32_e64 s0, v36
	s_cbranch_execz .LBB2084_538
.LBB2084_545:                           ;   in Loop: Header=BB2084_518 Depth=2
	v_cmp_lt_i16_e32 vcc_lo, -1, v4
	s_wait_alu 0xfffd
	v_cndmask_b32_e64 v11, -1, 0xffff8000, vcc_lo
	s_delay_alu instid0(VALU_DEP_1) | instskip(NEXT) | instid1(VALU_DEP_1)
	v_xor_b32_e32 v11, v11, v4
	v_cmp_ne_u16_e32 vcc_lo, 0x7fff, v11
	s_wait_alu 0xfffd
	v_cndmask_b32_e32 v11, 0xffff8000, v11, vcc_lo
	s_delay_alu instid0(VALU_DEP_1) | instskip(NEXT) | instid1(VALU_DEP_1)
	v_and_b32_e32 v11, 0xffff, v11
	v_lshrrev_b32_e32 v11, s45, v11
	s_delay_alu instid0(VALU_DEP_1) | instskip(NEXT) | instid1(VALU_DEP_1)
	v_and_b32_e32 v11, s42, v11
	v_lshl_or_b32 v11, v11, 4, v39
	ds_add_u32 v11, v62
	s_wait_alu 0xfffe
	s_or_b32 exec_lo, exec_lo, s1
	v_cmp_gt_u32_e32 vcc_lo, s0, v37
	s_and_saveexec_b32 s0, vcc_lo
	s_cbranch_execz .LBB2084_517
.LBB2084_546:                           ;   in Loop: Header=BB2084_518 Depth=2
	v_cmp_lt_i16_e32 vcc_lo, -1, v2
	s_wait_alu 0xfffd
	v_cndmask_b32_e64 v11, -1, 0xffff8000, vcc_lo
	s_delay_alu instid0(VALU_DEP_1) | instskip(NEXT) | instid1(VALU_DEP_1)
	v_xor_b32_e32 v11, v11, v2
	v_cmp_ne_u16_e32 vcc_lo, 0x7fff, v11
	s_wait_alu 0xfffd
	v_cndmask_b32_e32 v11, 0xffff8000, v11, vcc_lo
	s_delay_alu instid0(VALU_DEP_1) | instskip(NEXT) | instid1(VALU_DEP_1)
	v_and_b32_e32 v11, 0xffff, v11
	v_lshrrev_b32_e32 v11, s45, v11
	s_delay_alu instid0(VALU_DEP_1) | instskip(NEXT) | instid1(VALU_DEP_1)
	v_and_b32_e32 v11, s42, v11
	v_lshl_or_b32 v11, v11, 4, v39
	ds_add_u32 v11, v62
	s_branch .LBB2084_517
.LBB2084_547:                           ;   in Loop: Header=BB2084_518 Depth=2
	global_load_u16 v10, v82, s[0:1]
	s_or_b32 exec_lo, exec_lo, s11
	s_delay_alu instid0(SALU_CYCLE_1)
	s_mov_b32 s11, exec_lo
	v_cmpx_gt_u32_e64 s9, v29
	s_cbranch_execz .LBB2084_523
.LBB2084_548:                           ;   in Loop: Header=BB2084_518 Depth=2
	global_load_u16 v9, v82, s[0:1] offset:512
	s_wait_alu 0xfffe
	s_or_b32 exec_lo, exec_lo, s11
	s_delay_alu instid0(SALU_CYCLE_1)
	s_mov_b32 s11, exec_lo
	v_cmpx_gt_u32_e64 s9, v30
	s_cbranch_execz .LBB2084_524
.LBB2084_549:                           ;   in Loop: Header=BB2084_518 Depth=2
	global_load_u16 v8, v82, s[0:1] offset:1024
	s_wait_alu 0xfffe
	s_or_b32 exec_lo, exec_lo, s11
	s_delay_alu instid0(SALU_CYCLE_1)
	s_mov_b32 s11, exec_lo
	v_cmpx_gt_u32_e64 s9, v31
	s_cbranch_execz .LBB2084_525
.LBB2084_550:                           ;   in Loop: Header=BB2084_518 Depth=2
	global_load_u16 v7, v82, s[0:1] offset:1536
	s_wait_alu 0xfffe
	s_or_b32 exec_lo, exec_lo, s11
	s_delay_alu instid0(SALU_CYCLE_1)
	s_mov_b32 s11, exec_lo
	v_cmpx_gt_u32_e64 s9, v34
	s_cbranch_execz .LBB2084_526
.LBB2084_551:                           ;   in Loop: Header=BB2084_518 Depth=2
	global_load_u16 v6, v82, s[0:1] offset:2048
	s_wait_alu 0xfffe
	s_or_b32 exec_lo, exec_lo, s11
	s_delay_alu instid0(SALU_CYCLE_1)
	s_mov_b32 s11, exec_lo
	v_cmpx_gt_u32_e64 s9, v35
	s_cbranch_execz .LBB2084_527
.LBB2084_552:                           ;   in Loop: Header=BB2084_518 Depth=2
	global_load_u16 v5, v82, s[0:1] offset:2560
	s_wait_alu 0xfffe
	s_or_b32 exec_lo, exec_lo, s11
	s_delay_alu instid0(SALU_CYCLE_1)
	s_mov_b32 s11, exec_lo
	v_cmpx_gt_u32_e64 s9, v36
	s_cbranch_execz .LBB2084_528
.LBB2084_553:                           ;   in Loop: Header=BB2084_518 Depth=2
	global_load_u16 v4, v82, s[0:1] offset:3072
	s_wait_alu 0xfffe
	s_or_b32 exec_lo, exec_lo, s11
	s_delay_alu instid0(SALU_CYCLE_1)
	s_mov_b32 s11, exec_lo
	v_cmpx_gt_u32_e64 s9, v37
	s_cbranch_execnz .LBB2084_529
	s_branch .LBB2084_530
.LBB2084_554:                           ;   in Loop: Header=BB2084_20 Depth=1
	v_mov_b32_e32 v2, 0
	s_wait_dscnt 0x0
	s_barrier_signal -1
	s_barrier_wait -1
	global_inv scope:SCOPE_SE
	s_and_saveexec_b32 s0, s2
	s_cbranch_execz .LBB2084_556
; %bb.555:                              ;   in Loop: Header=BB2084_20 Depth=1
	ds_load_2addr_b64 v[4:7], v40 offset1:1
	s_wait_dscnt 0x0
	v_add_nc_u32_e32 v2, v5, v4
	s_delay_alu instid0(VALU_DEP_1)
	v_add3_u32 v2, v2, v6, v7
.LBB2084_556:                           ;   in Loop: Header=BB2084_20 Depth=1
	s_wait_alu 0xfffe
	s_or_b32 exec_lo, exec_lo, s0
	s_delay_alu instid0(VALU_DEP_1)
	v_mov_b32_dpp v4, v2 row_shr:1 row_mask:0xf bank_mask:0xf
	v_cmp_eq_u32_e64 s0, 0, v63
	v_cmp_lt_u32_e64 s1, 1, v63
	v_cmp_lt_u32_e64 s9, 3, v63
	;; [unrolled: 1-line block ×3, first 2 shown]
	v_cmp_eq_u32_e64 s11, 0, v65
	s_wait_alu 0xf1ff
	v_cndmask_b32_e64 v4, v4, 0, s0
	s_delay_alu instid0(VALU_DEP_1) | instskip(NEXT) | instid1(VALU_DEP_1)
	v_add_nc_u32_e32 v2, v4, v2
	v_mov_b32_dpp v4, v2 row_shr:2 row_mask:0xf bank_mask:0xf
	s_delay_alu instid0(VALU_DEP_1) | instskip(NEXT) | instid1(VALU_DEP_1)
	v_cndmask_b32_e64 v4, 0, v4, s1
	v_add_nc_u32_e32 v2, v2, v4
	s_delay_alu instid0(VALU_DEP_1) | instskip(NEXT) | instid1(VALU_DEP_1)
	v_mov_b32_dpp v4, v2 row_shr:4 row_mask:0xf bank_mask:0xf
	v_cndmask_b32_e64 v4, 0, v4, s9
	s_delay_alu instid0(VALU_DEP_1) | instskip(NEXT) | instid1(VALU_DEP_1)
	v_add_nc_u32_e32 v2, v2, v4
	v_mov_b32_dpp v4, v2 row_shr:8 row_mask:0xf bank_mask:0xf
	s_delay_alu instid0(VALU_DEP_1) | instskip(NEXT) | instid1(VALU_DEP_1)
	v_cndmask_b32_e64 v4, 0, v4, s10
	v_add_nc_u32_e32 v2, v2, v4
	ds_swizzle_b32 v4, v2 offset:swizzle(BROADCAST,32,15)
	s_wait_dscnt 0x0
	v_and_b32_e32 v4, v64, v4
	s_delay_alu instid0(VALU_DEP_1)
	v_add_nc_u32_e32 v2, v2, v4
	s_and_saveexec_b32 s12, s3
; %bb.557:                              ;   in Loop: Header=BB2084_20 Depth=1
	ds_store_b32 v41, v2
; %bb.558:                              ;   in Loop: Header=BB2084_20 Depth=1
	s_wait_alu 0xfffe
	s_or_b32 exec_lo, exec_lo, s12
	s_wait_loadcnt_dscnt 0x0
	s_barrier_signal -1
	s_barrier_wait -1
	global_inv scope:SCOPE_SE
	s_and_saveexec_b32 s12, s4
	s_cbranch_execz .LBB2084_560
; %bb.559:                              ;   in Loop: Header=BB2084_20 Depth=1
	ds_load_b32 v4, v42
	v_cmp_ne_u32_e32 vcc_lo, 0, v67
	s_wait_dscnt 0x0
	v_mov_b32_dpp v5, v4 row_shr:1 row_mask:0xf bank_mask:0xf
	s_wait_alu 0xfffd
	s_delay_alu instid0(VALU_DEP_1) | instskip(SKIP_1) | instid1(VALU_DEP_2)
	v_cndmask_b32_e32 v5, 0, v5, vcc_lo
	v_cmp_lt_u32_e32 vcc_lo, 1, v67
	v_add_nc_u32_e32 v4, v5, v4
	s_delay_alu instid0(VALU_DEP_1) | instskip(SKIP_1) | instid1(VALU_DEP_1)
	v_mov_b32_dpp v5, v4 row_shr:2 row_mask:0xf bank_mask:0xf
	s_wait_alu 0xfffd
	v_cndmask_b32_e32 v5, 0, v5, vcc_lo
	v_cmp_lt_u32_e32 vcc_lo, 3, v67
	s_delay_alu instid0(VALU_DEP_2) | instskip(NEXT) | instid1(VALU_DEP_1)
	v_add_nc_u32_e32 v4, v4, v5
	v_mov_b32_dpp v5, v4 row_shr:4 row_mask:0xf bank_mask:0xf
	s_wait_alu 0xfffd
	s_delay_alu instid0(VALU_DEP_1) | instskip(NEXT) | instid1(VALU_DEP_1)
	v_cndmask_b32_e32 v5, 0, v5, vcc_lo
	v_add_nc_u32_e32 v4, v4, v5
	ds_store_b32 v42, v4
.LBB2084_560:                           ;   in Loop: Header=BB2084_20 Depth=1
	s_wait_alu 0xfffe
	s_or_b32 exec_lo, exec_lo, s12
	v_mov_b32_e32 v4, 0
	s_wait_loadcnt_dscnt 0x0
	s_barrier_signal -1
	s_barrier_wait -1
	global_inv scope:SCOPE_SE
	s_and_saveexec_b32 s12, s5
; %bb.561:                              ;   in Loop: Header=BB2084_20 Depth=1
	ds_load_b32 v4, v44
; %bb.562:                              ;   in Loop: Header=BB2084_20 Depth=1
	s_wait_alu 0xfffe
	s_or_b32 exec_lo, exec_lo, s12
	v_cmp_gt_i32_e32 vcc_lo, 0, v68
	s_wait_dscnt 0x0
	v_add_nc_u32_e32 v2, v4, v2
	s_wait_loadcnt 0x0
	s_barrier_signal -1
	s_barrier_wait -1
	s_wait_alu 0xfffd
	v_cndmask_b32_e32 v5, v68, v59, vcc_lo
	global_inv scope:SCOPE_SE
	v_lshlrev_b32_e32 v87, 2, v5
	ds_bpermute_b32 v2, v87, v2
	s_and_saveexec_b32 s12, s2
	s_cbranch_execz .LBB2084_564
; %bb.563:                              ;   in Loop: Header=BB2084_20 Depth=1
	s_wait_dscnt 0x0
	v_cndmask_b32_e64 v2, v2, v4, s8
	s_delay_alu instid0(VALU_DEP_1)
	v_add_nc_u32_e32 v2, s33, v2
	ds_store_b32 v28, v2
.LBB2084_564:                           ;   in Loop: Header=BB2084_20 Depth=1
	s_wait_alu 0xfffe
	s_or_b32 exec_lo, exec_lo, s12
	s_load_b64 s[12:13], s[28:29], 0x0
	v_add_co_u32 v88, vcc_lo, v57, v69
	s_wait_alu 0xfffd
	v_add_co_ci_u32_e64 v89, null, 0, v58, vcc_lo
	v_add_co_u32 v90, vcc_lo, v60, v77
	s_wait_alu 0xfffd
	v_add_co_ci_u32_e64 v91, null, 0, v61, vcc_lo
	s_mov_b32 s43, s47
                                        ; implicit-def: $vgpr6_vgpr7
                                        ; implicit-def: $vgpr8_vgpr9
                                        ; implicit-def: $vgpr10_vgpr11
                                        ; implicit-def: $vgpr12_vgpr13
                                        ; implicit-def: $vgpr14_vgpr15
                                        ; implicit-def: $vgpr16_vgpr17
                                        ; implicit-def: $vgpr18_vgpr19
                                        ; implicit-def: $vgpr93
                                        ; implicit-def: $vgpr94
                                        ; implicit-def: $vgpr95
                                        ; implicit-def: $vgpr96
                                        ; implicit-def: $vgpr97
                                        ; implicit-def: $vgpr98
                                        ; implicit-def: $vgpr99
                                        ; implicit-def: $vgpr100
	s_wait_kmcnt 0x0
	s_cmp_lt_u32 ttmp7, s13
	s_cselect_b32 s30, 14, 20
	s_cmp_lt_u32 ttmp9, s12
	s_wait_alu 0xfffe
	s_add_nc_u64 s[14:15], s[28:29], s[30:31]
	s_cselect_b32 s30, 12, 18
	s_load_u16 s14, s[14:15], 0x0
	s_add_nc_u64 s[12:13], s[28:29], s[30:31]
	s_mov_b32 s30, s33
	s_load_u16 s12, s[12:13], 0x0
	v_cmp_lt_u32_e64 s13, 1, v67
	s_wait_dscnt 0x0
	s_wait_kmcnt 0x0
	v_mad_u32_u24 v2, v45, s14, v0
	v_cmp_lt_u32_e64 s14, 3, v67
	s_delay_alu instid0(VALU_DEP_2) | instskip(SKIP_1) | instid1(VALU_DEP_2)
	v_mad_co_u64_u32 v[4:5], null, v2, s12, v[1:2]
	v_cmp_eq_u32_e64 s12, 0, v67
	v_lshrrev_b32_e32 v2, 3, v4
                                        ; implicit-def: $vgpr4_vgpr5
	s_delay_alu instid0(VALU_DEP_1)
	v_and_b32_e32 v92, 0x1ffffffc, v2
	s_branch .LBB2084_566
.LBB2084_565:                           ;   in Loop: Header=BB2084_566 Depth=2
	s_wait_alu 0xfffe
	s_or_b32 exec_lo, exec_lo, s15
	s_addk_co_i32 s43, 0xf800
	s_cmp_lt_u32 s44, s34
	s_mov_b32 s30, s44
	s_cbranch_scc0 .LBB2084_18
.LBB2084_566:                           ;   Parent Loop BB2084_20 Depth=1
                                        ; =>  This Inner Loop Header: Depth=2
	s_wait_alu 0xfffe
	s_add_co_i32 s44, s30, 0x800
	s_wait_alu 0xfffe
	s_cmp_gt_u32 s44, s34
	s_cbranch_scc1 .LBB2084_568
; %bb.567:                              ;   in Loop: Header=BB2084_566 Depth=2
	s_lshl_b64 s[16:17], s[30:31], 1
	s_mov_b32 s15, -1
	s_wait_alu 0xfffe
	v_add_co_u32 v20, vcc_lo, v90, s16
	s_wait_alu 0xfffd
	v_add_co_ci_u32_e64 v21, null, s17, v91, vcc_lo
	s_clause 0x6
	global_load_u16 v2, v[20:21], off
	global_load_u16 v27, v[20:21], off offset:64
	global_load_u16 v26, v[20:21], off offset:128
	global_load_u16 v25, v[20:21], off offset:192
	global_load_u16 v24, v[20:21], off offset:256
	global_load_u16 v23, v[20:21], off offset:320
	global_load_u16 v22, v[20:21], off offset:384
	s_movk_i32 s16, 0x800
	s_cbranch_execz .LBB2084_569
	s_branch .LBB2084_584
.LBB2084_568:                           ;   in Loop: Header=BB2084_566 Depth=2
	s_mov_b32 s15, 0
                                        ; implicit-def: $vgpr2
                                        ; implicit-def: $vgpr27
                                        ; implicit-def: $vgpr26
                                        ; implicit-def: $vgpr25
                                        ; implicit-def: $vgpr24
                                        ; implicit-def: $vgpr23
                                        ; implicit-def: $vgpr22
	s_movk_i32 s16, 0x800
.LBB2084_569:                           ;   in Loop: Header=BB2084_566 Depth=2
	s_lshl_b64 s[16:17], s[30:31], 1
	s_wait_loadcnt 0x5
	v_dual_mov_b32 v27, 0x7fff :: v_dual_mov_b32 v2, 0x7fff
	s_wait_alu 0xfffe
	v_add_co_u32 v20, vcc_lo, v90, s16
	s_wait_alu 0xfffd
	v_add_co_ci_u32_e64 v21, null, s17, v91, vcc_lo
	s_mov_b32 s15, exec_lo
	v_cmpx_gt_u32_e64 s43, v66
	s_cbranch_execz .LBB2084_571
; %bb.570:                              ;   in Loop: Header=BB2084_566 Depth=2
	global_load_u16 v2, v[20:21], off
.LBB2084_571:                           ;   in Loop: Header=BB2084_566 Depth=2
	s_wait_alu 0xfffe
	s_or_b32 exec_lo, exec_lo, s15
	s_delay_alu instid0(SALU_CYCLE_1)
	s_mov_b32 s15, exec_lo
	v_cmpx_gt_u32_e64 s43, v70
	s_cbranch_execz .LBB2084_573
; %bb.572:                              ;   in Loop: Header=BB2084_566 Depth=2
	global_load_u16 v27, v[20:21], off offset:64
.LBB2084_573:                           ;   in Loop: Header=BB2084_566 Depth=2
	s_wait_alu 0xfffe
	s_or_b32 exec_lo, exec_lo, s15
	s_wait_loadcnt 0x3
	v_dual_mov_b32 v25, 0x7fff :: v_dual_mov_b32 v26, 0x7fff
	s_mov_b32 s15, exec_lo
	v_cmpx_gt_u32_e64 s43, v71
	s_cbranch_execz .LBB2084_575
; %bb.574:                              ;   in Loop: Header=BB2084_566 Depth=2
	global_load_u16 v26, v[20:21], off offset:128
.LBB2084_575:                           ;   in Loop: Header=BB2084_566 Depth=2
	s_wait_alu 0xfffe
	s_or_b32 exec_lo, exec_lo, s15
	s_delay_alu instid0(SALU_CYCLE_1)
	s_mov_b32 s15, exec_lo
	v_cmpx_gt_u32_e64 s43, v72
	s_cbranch_execz .LBB2084_577
; %bb.576:                              ;   in Loop: Header=BB2084_566 Depth=2
	global_load_u16 v25, v[20:21], off offset:192
.LBB2084_577:                           ;   in Loop: Header=BB2084_566 Depth=2
	s_wait_alu 0xfffe
	s_or_b32 exec_lo, exec_lo, s15
	s_wait_loadcnt 0x1
	v_dual_mov_b32 v23, 0x7fff :: v_dual_mov_b32 v24, 0x7fff
	s_mov_b32 s15, exec_lo
	v_cmpx_gt_u32_e64 s43, v73
	s_cbranch_execz .LBB2084_579
; %bb.578:                              ;   in Loop: Header=BB2084_566 Depth=2
	global_load_u16 v24, v[20:21], off offset:256
.LBB2084_579:                           ;   in Loop: Header=BB2084_566 Depth=2
	s_wait_alu 0xfffe
	s_or_b32 exec_lo, exec_lo, s15
	s_delay_alu instid0(SALU_CYCLE_1)
	s_mov_b32 s15, exec_lo
	v_cmpx_gt_u32_e64 s43, v74
	s_cbranch_execz .LBB2084_581
; %bb.580:                              ;   in Loop: Header=BB2084_566 Depth=2
	global_load_u16 v23, v[20:21], off offset:320
.LBB2084_581:                           ;   in Loop: Header=BB2084_566 Depth=2
	s_wait_alu 0xfffe
	s_or_b32 exec_lo, exec_lo, s15
	s_wait_loadcnt 0x0
	v_mov_b32_e32 v22, 0x7fff
	s_mov_b32 s15, exec_lo
	v_cmpx_gt_u32_e64 s43, v75
	s_cbranch_execz .LBB2084_583
; %bb.582:                              ;   in Loop: Header=BB2084_566 Depth=2
	global_load_u16 v22, v[20:21], off offset:384
.LBB2084_583:                           ;   in Loop: Header=BB2084_566 Depth=2
	s_wait_alu 0xfffe
	s_or_b32 exec_lo, exec_lo, s15
	v_cmp_gt_u32_e64 s15, s43, v76
	s_sub_co_i32 s16, s34, s30
.LBB2084_584:                           ;   in Loop: Header=BB2084_566 Depth=2
	v_dual_mov_b32 v20, 0x7fff :: v_dual_mov_b32 v101, s43
	s_and_saveexec_b32 s17, s15
	s_cbranch_execz .LBB2084_586
; %bb.585:                              ;   in Loop: Header=BB2084_566 Depth=2
	s_lshl_b64 s[18:19], s[30:31], 1
	s_wait_alu 0xfffe
	v_mov_b32_e32 v101, s16
	v_add_co_u32 v20, vcc_lo, v90, s18
	s_wait_alu 0xfffd
	v_add_co_ci_u32_e64 v21, null, s19, v91, vcc_lo
	global_load_u16 v20, v[20:21], off offset:448
.LBB2084_586:                           ;   in Loop: Header=BB2084_566 Depth=2
	s_wait_alu 0xfffe
	s_or_b32 exec_lo, exec_lo, s17
	s_wait_loadcnt 0x6
	v_cmp_lt_i16_e32 vcc_lo, -1, v2
	ds_store_2addr_b32 v81, v3, v3 offset1:1
	ds_store_2addr_b32 v78, v3, v3 offset1:1
	ds_store_2addr_b32 v79, v3, v3 offset1:1
	ds_store_2addr_b32 v80, v3, v3 offset1:1
	ds_store_b32 v43, v3 offset:1088
	s_wait_loadcnt_dscnt 0x0
	s_barrier_signal -1
	s_wait_alu 0xfffd
	v_cndmask_b32_e64 v21, -1, 0xffff8000, vcc_lo
	s_barrier_wait -1
	global_inv scope:SCOPE_SE
	; wave barrier
	v_xor_b32_e32 v2, v21, v2
	s_delay_alu instid0(VALU_DEP_1) | instskip(SKIP_2) | instid1(VALU_DEP_1)
	v_cmp_ne_u16_e32 vcc_lo, 0x7fff, v2
	s_wait_alu 0xfffd
	v_cndmask_b32_e32 v21, 0xffff8000, v2, vcc_lo
	v_and_b32_e32 v21, 0xffff, v21
	s_delay_alu instid0(VALU_DEP_1) | instskip(NEXT) | instid1(VALU_DEP_1)
	v_lshrrev_b32_e32 v21, s45, v21
	v_and_b32_e32 v103, s42, v21
	s_delay_alu instid0(VALU_DEP_1)
	v_and_b32_e32 v21, 1, v103
	v_lshlrev_b32_e32 v102, 30, v103
	v_lshlrev_b32_e32 v104, 29, v103
	;; [unrolled: 1-line block ×4, first 2 shown]
	v_add_co_u32 v21, s15, v21, -1
	s_wait_alu 0xf1ff
	v_cndmask_b32_e64 v106, 0, 1, s15
	v_not_b32_e32 v110, v102
	v_cmp_gt_i32_e64 s15, 0, v102
	v_not_b32_e32 v102, v104
	v_lshlrev_b32_e32 v108, 26, v103
	v_cmp_ne_u32_e32 vcc_lo, 0, v106
	v_ashrrev_i32_e32 v110, 31, v110
	v_lshlrev_b32_e32 v109, 25, v103
	v_ashrrev_i32_e32 v102, 31, v102
	v_lshlrev_b32_e32 v106, 24, v103
	s_wait_alu 0xfffd
	v_xor_b32_e32 v21, vcc_lo, v21
	v_cmp_gt_i32_e32 vcc_lo, 0, v104
	v_not_b32_e32 v104, v105
	s_wait_alu 0xf1ff
	v_xor_b32_e32 v110, s15, v110
	v_cmp_gt_i32_e64 s15, 0, v105
	v_and_b32_e32 v21, exec_lo, v21
	v_not_b32_e32 v105, v107
	v_ashrrev_i32_e32 v104, 31, v104
	s_wait_alu 0xfffd
	v_xor_b32_e32 v102, vcc_lo, v102
	v_cmp_gt_i32_e32 vcc_lo, 0, v107
	v_and_b32_e32 v21, v21, v110
	v_not_b32_e32 v107, v108
	v_ashrrev_i32_e32 v105, 31, v105
	s_wait_alu 0xf1ff
	v_xor_b32_e32 v104, s15, v104
	v_cmp_gt_i32_e64 s15, 0, v108
	v_and_b32_e32 v21, v21, v102
	v_not_b32_e32 v102, v109
	v_ashrrev_i32_e32 v107, 31, v107
	s_wait_alu 0xfffd
	v_xor_b32_e32 v105, vcc_lo, v105
	v_cmp_gt_i32_e32 vcc_lo, 0, v109
	v_and_b32_e32 v21, v21, v104
	v_not_b32_e32 v104, v106
	v_ashrrev_i32_e32 v102, 31, v102
	s_wait_alu 0xf1ff
	v_xor_b32_e32 v107, s15, v107
	v_cmp_gt_i32_e64 s15, 0, v106
	v_and_b32_e32 v21, v21, v105
	v_ashrrev_i32_e32 v104, 31, v104
	s_wait_alu 0xfffd
	v_xor_b32_e32 v102, vcc_lo, v102
	v_mul_u32_u24_e32 v103, 36, v103
	v_and_b32_e32 v21, v21, v107
	s_wait_alu 0xf1ff
	v_xor_b32_e32 v104, s15, v104
	s_delay_alu instid0(VALU_DEP_2) | instskip(NEXT) | instid1(VALU_DEP_1)
	v_and_b32_e32 v21, v21, v102
	v_and_b32_e32 v21, v21, v104
	v_add_nc_u32_e32 v104, v92, v103
	s_delay_alu instid0(VALU_DEP_2) | instskip(SKIP_1) | instid1(VALU_DEP_2)
	v_mbcnt_lo_u32_b32 v102, v21, 0
	v_cmp_ne_u32_e64 s15, 0, v21
	v_cmp_eq_u32_e32 vcc_lo, 0, v102
	s_and_b32 s16, s15, vcc_lo
	s_wait_alu 0xfffe
	s_and_saveexec_b32 s15, s16
; %bb.587:                              ;   in Loop: Header=BB2084_566 Depth=2
	v_bcnt_u32_b32 v21, v21, 0
	ds_store_b32 v104, v21 offset:1056
; %bb.588:                              ;   in Loop: Header=BB2084_566 Depth=2
	s_wait_alu 0xfffe
	s_or_b32 exec_lo, exec_lo, s15
	v_cmp_lt_i16_e32 vcc_lo, -1, v27
	; wave barrier
	s_wait_alu 0xfffd
	v_cndmask_b32_e64 v21, -1, 0xffff8000, vcc_lo
	s_delay_alu instid0(VALU_DEP_1) | instskip(NEXT) | instid1(VALU_DEP_1)
	v_xor_b32_e32 v103, v21, v27
	v_cmp_ne_u16_e32 vcc_lo, 0x7fff, v103
	s_wait_alu 0xfffd
	v_cndmask_b32_e32 v21, 0xffff8000, v103, vcc_lo
	s_delay_alu instid0(VALU_DEP_1) | instskip(NEXT) | instid1(VALU_DEP_1)
	v_and_b32_e32 v21, 0xffff, v21
	v_lshrrev_b32_e32 v21, s45, v21
	s_delay_alu instid0(VALU_DEP_1) | instskip(NEXT) | instid1(VALU_DEP_1)
	v_and_b32_e32 v27, s42, v21
	v_and_b32_e32 v21, 1, v27
	v_lshlrev_b32_e32 v105, 30, v27
	v_lshlrev_b32_e32 v106, 29, v27
	;; [unrolled: 1-line block ×4, first 2 shown]
	v_add_co_u32 v21, s15, v21, -1
	s_wait_alu 0xf1ff
	v_cndmask_b32_e64 v108, 0, 1, s15
	v_not_b32_e32 v112, v105
	v_cmp_gt_i32_e64 s15, 0, v105
	v_not_b32_e32 v105, v106
	v_lshlrev_b32_e32 v110, 26, v27
	v_cmp_ne_u32_e32 vcc_lo, 0, v108
	v_ashrrev_i32_e32 v112, 31, v112
	v_lshlrev_b32_e32 v111, 25, v27
	v_ashrrev_i32_e32 v105, 31, v105
	v_lshlrev_b32_e32 v108, 24, v27
	s_wait_alu 0xfffd
	v_xor_b32_e32 v21, vcc_lo, v21
	v_cmp_gt_i32_e32 vcc_lo, 0, v106
	v_not_b32_e32 v106, v107
	s_wait_alu 0xf1ff
	v_xor_b32_e32 v112, s15, v112
	v_cmp_gt_i32_e64 s15, 0, v107
	v_and_b32_e32 v21, exec_lo, v21
	v_not_b32_e32 v107, v109
	v_ashrrev_i32_e32 v106, 31, v106
	s_wait_alu 0xfffd
	v_xor_b32_e32 v105, vcc_lo, v105
	v_cmp_gt_i32_e32 vcc_lo, 0, v109
	v_and_b32_e32 v21, v21, v112
	v_not_b32_e32 v109, v110
	v_ashrrev_i32_e32 v107, 31, v107
	s_wait_alu 0xf1ff
	v_xor_b32_e32 v106, s15, v106
	v_cmp_gt_i32_e64 s15, 0, v110
	v_and_b32_e32 v21, v21, v105
	v_not_b32_e32 v105, v111
	v_ashrrev_i32_e32 v109, 31, v109
	s_wait_alu 0xfffd
	v_xor_b32_e32 v107, vcc_lo, v107
	v_cmp_gt_i32_e32 vcc_lo, 0, v111
	v_and_b32_e32 v21, v21, v106
	v_not_b32_e32 v106, v108
	v_ashrrev_i32_e32 v105, 31, v105
	s_wait_alu 0xf1ff
	v_xor_b32_e32 v109, s15, v109
	v_cmp_gt_i32_e64 s15, 0, v108
	v_and_b32_e32 v21, v21, v107
	v_ashrrev_i32_e32 v106, 31, v106
	s_wait_alu 0xfffd
	v_xor_b32_e32 v105, vcc_lo, v105
	v_mad_u32_u24 v107, v27, 36, v92
	v_mul_u32_u24_e32 v27, 36, v27
	v_and_b32_e32 v21, v21, v109
	s_wait_alu 0xf1ff
	v_xor_b32_e32 v106, s15, v106
	s_delay_alu instid0(VALU_DEP_3) | instskip(NEXT) | instid1(VALU_DEP_3)
	v_add_nc_u32_e32 v108, v92, v27
	v_and_b32_e32 v21, v21, v105
	ds_load_b32 v105, v107 offset:1056
	; wave barrier
	v_and_b32_e32 v21, v21, v106
	s_delay_alu instid0(VALU_DEP_1) | instskip(SKIP_1) | instid1(VALU_DEP_2)
	v_mbcnt_lo_u32_b32 v106, v21, 0
	v_cmp_ne_u32_e64 s15, 0, v21
	v_cmp_eq_u32_e32 vcc_lo, 0, v106
	s_and_b32 s16, s15, vcc_lo
	s_wait_alu 0xfffe
	s_and_saveexec_b32 s15, s16
	s_cbranch_execz .LBB2084_590
; %bb.589:                              ;   in Loop: Header=BB2084_566 Depth=2
	s_wait_dscnt 0x0
	v_bcnt_u32_b32 v21, v21, v105
	ds_store_b32 v108, v21 offset:1056
.LBB2084_590:                           ;   in Loop: Header=BB2084_566 Depth=2
	s_wait_alu 0xfffe
	s_or_b32 exec_lo, exec_lo, s15
	v_cmp_lt_i16_e32 vcc_lo, -1, v26
	; wave barrier
	s_wait_alu 0xfffd
	v_cndmask_b32_e64 v21, -1, 0xffff8000, vcc_lo
	s_delay_alu instid0(VALU_DEP_1) | instskip(NEXT) | instid1(VALU_DEP_1)
	v_xor_b32_e32 v107, v21, v26
	v_cmp_ne_u16_e32 vcc_lo, 0x7fff, v107
	s_wait_alu 0xfffd
	v_cndmask_b32_e32 v21, 0xffff8000, v107, vcc_lo
	s_delay_alu instid0(VALU_DEP_1) | instskip(NEXT) | instid1(VALU_DEP_1)
	v_and_b32_e32 v21, 0xffff, v21
	v_lshrrev_b32_e32 v21, s45, v21
	s_delay_alu instid0(VALU_DEP_1) | instskip(NEXT) | instid1(VALU_DEP_1)
	v_and_b32_e32 v26, s42, v21
	v_and_b32_e32 v21, 1, v26
	v_lshlrev_b32_e32 v27, 30, v26
	v_lshlrev_b32_e32 v109, 29, v26
	;; [unrolled: 1-line block ×4, first 2 shown]
	v_add_co_u32 v21, s15, v21, -1
	s_wait_alu 0xf1ff
	v_cndmask_b32_e64 v111, 0, 1, s15
	v_not_b32_e32 v115, v27
	v_cmp_gt_i32_e64 s15, 0, v27
	v_not_b32_e32 v27, v109
	v_lshlrev_b32_e32 v113, 26, v26
	v_cmp_ne_u32_e32 vcc_lo, 0, v111
	v_ashrrev_i32_e32 v115, 31, v115
	v_lshlrev_b32_e32 v114, 25, v26
	v_ashrrev_i32_e32 v27, 31, v27
	v_lshlrev_b32_e32 v111, 24, v26
	s_wait_alu 0xfffd
	v_xor_b32_e32 v21, vcc_lo, v21
	v_cmp_gt_i32_e32 vcc_lo, 0, v109
	v_not_b32_e32 v109, v110
	s_wait_alu 0xf1ff
	v_xor_b32_e32 v115, s15, v115
	v_cmp_gt_i32_e64 s15, 0, v110
	v_and_b32_e32 v21, exec_lo, v21
	v_not_b32_e32 v110, v112
	v_ashrrev_i32_e32 v109, 31, v109
	s_wait_alu 0xfffd
	v_xor_b32_e32 v27, vcc_lo, v27
	v_cmp_gt_i32_e32 vcc_lo, 0, v112
	v_and_b32_e32 v21, v21, v115
	v_not_b32_e32 v112, v113
	v_ashrrev_i32_e32 v110, 31, v110
	s_wait_alu 0xf1ff
	v_xor_b32_e32 v109, s15, v109
	v_cmp_gt_i32_e64 s15, 0, v113
	v_and_b32_e32 v21, v21, v27
	v_not_b32_e32 v27, v114
	v_ashrrev_i32_e32 v112, 31, v112
	s_wait_alu 0xfffd
	v_xor_b32_e32 v110, vcc_lo, v110
	v_cmp_gt_i32_e32 vcc_lo, 0, v114
	v_and_b32_e32 v21, v21, v109
	v_not_b32_e32 v109, v111
	v_ashrrev_i32_e32 v27, 31, v27
	s_wait_alu 0xf1ff
	v_xor_b32_e32 v112, s15, v112
	v_cmp_gt_i32_e64 s15, 0, v111
	v_and_b32_e32 v21, v21, v110
	v_ashrrev_i32_e32 v109, 31, v109
	s_wait_alu 0xfffd
	v_xor_b32_e32 v27, vcc_lo, v27
	v_mad_u32_u24 v110, v26, 36, v92
	v_mul_u32_u24_e32 v26, 36, v26
	v_and_b32_e32 v21, v21, v112
	s_wait_alu 0xf1ff
	v_xor_b32_e32 v111, s15, v109
	ds_load_b32 v109, v110 offset:1056
	v_add_nc_u32_e32 v112, v92, v26
	v_and_b32_e32 v21, v21, v27
	; wave barrier
	s_delay_alu instid0(VALU_DEP_1) | instskip(NEXT) | instid1(VALU_DEP_1)
	v_and_b32_e32 v21, v21, v111
	v_mbcnt_lo_u32_b32 v111, v21, 0
	v_cmp_ne_u32_e64 s15, 0, v21
	s_delay_alu instid0(VALU_DEP_2)
	v_cmp_eq_u32_e32 vcc_lo, 0, v111
	s_and_b32 s16, s15, vcc_lo
	s_wait_alu 0xfffe
	s_and_saveexec_b32 s15, s16
	s_cbranch_execz .LBB2084_592
; %bb.591:                              ;   in Loop: Header=BB2084_566 Depth=2
	s_wait_dscnt 0x0
	v_bcnt_u32_b32 v21, v21, v109
	ds_store_b32 v112, v21 offset:1056
.LBB2084_592:                           ;   in Loop: Header=BB2084_566 Depth=2
	s_wait_alu 0xfffe
	s_or_b32 exec_lo, exec_lo, s15
	v_cmp_lt_i16_e32 vcc_lo, -1, v25
	; wave barrier
	s_wait_alu 0xfffd
	v_cndmask_b32_e64 v21, -1, 0xffff8000, vcc_lo
	s_delay_alu instid0(VALU_DEP_1) | instskip(NEXT) | instid1(VALU_DEP_1)
	v_xor_b32_e32 v110, v21, v25
	v_cmp_ne_u16_e32 vcc_lo, 0x7fff, v110
	s_wait_alu 0xfffd
	v_cndmask_b32_e32 v21, 0xffff8000, v110, vcc_lo
	s_delay_alu instid0(VALU_DEP_1) | instskip(NEXT) | instid1(VALU_DEP_1)
	v_and_b32_e32 v21, 0xffff, v21
	v_lshrrev_b32_e32 v21, s45, v21
	s_delay_alu instid0(VALU_DEP_1) | instskip(NEXT) | instid1(VALU_DEP_1)
	v_and_b32_e32 v25, s42, v21
	v_and_b32_e32 v21, 1, v25
	v_lshlrev_b32_e32 v26, 30, v25
	v_lshlrev_b32_e32 v27, 29, v25
	;; [unrolled: 1-line block ×4, first 2 shown]
	v_add_co_u32 v21, s15, v21, -1
	s_wait_alu 0xf1ff
	v_cndmask_b32_e64 v114, 0, 1, s15
	v_not_b32_e32 v118, v26
	v_cmp_gt_i32_e64 s15, 0, v26
	v_not_b32_e32 v26, v27
	v_lshlrev_b32_e32 v116, 26, v25
	v_cmp_ne_u32_e32 vcc_lo, 0, v114
	v_ashrrev_i32_e32 v118, 31, v118
	v_lshlrev_b32_e32 v117, 25, v25
	v_ashrrev_i32_e32 v26, 31, v26
	v_lshlrev_b32_e32 v114, 24, v25
	s_wait_alu 0xfffd
	v_xor_b32_e32 v21, vcc_lo, v21
	v_cmp_gt_i32_e32 vcc_lo, 0, v27
	v_not_b32_e32 v27, v113
	s_wait_alu 0xf1ff
	v_xor_b32_e32 v118, s15, v118
	v_cmp_gt_i32_e64 s15, 0, v113
	v_and_b32_e32 v21, exec_lo, v21
	v_not_b32_e32 v113, v115
	v_ashrrev_i32_e32 v27, 31, v27
	s_wait_alu 0xfffd
	v_xor_b32_e32 v26, vcc_lo, v26
	v_cmp_gt_i32_e32 vcc_lo, 0, v115
	v_and_b32_e32 v21, v21, v118
	v_not_b32_e32 v115, v116
	v_ashrrev_i32_e32 v113, 31, v113
	s_wait_alu 0xf1ff
	v_xor_b32_e32 v27, s15, v27
	v_cmp_gt_i32_e64 s15, 0, v116
	v_and_b32_e32 v21, v21, v26
	v_not_b32_e32 v26, v117
	v_ashrrev_i32_e32 v115, 31, v115
	s_wait_alu 0xfffd
	v_xor_b32_e32 v113, vcc_lo, v113
	v_cmp_gt_i32_e32 vcc_lo, 0, v117
	v_and_b32_e32 v21, v21, v27
	v_not_b32_e32 v27, v114
	v_ashrrev_i32_e32 v26, 31, v26
	s_wait_alu 0xf1ff
	v_xor_b32_e32 v115, s15, v115
	v_cmp_gt_i32_e64 s15, 0, v114
	v_and_b32_e32 v21, v21, v113
	v_ashrrev_i32_e32 v27, 31, v27
	s_wait_alu 0xfffd
	v_xor_b32_e32 v26, vcc_lo, v26
	v_mad_u32_u24 v113, v25, 36, v92
	v_mul_u32_u24_e32 v25, 36, v25
	v_and_b32_e32 v21, v21, v115
	s_wait_alu 0xf1ff
	v_xor_b32_e32 v27, s15, v27
	ds_load_b32 v113, v113 offset:1056
	v_add_nc_u32_e32 v116, v92, v25
	v_and_b32_e32 v21, v21, v26
	; wave barrier
	s_delay_alu instid0(VALU_DEP_1) | instskip(NEXT) | instid1(VALU_DEP_1)
	v_and_b32_e32 v21, v21, v27
	v_mbcnt_lo_u32_b32 v115, v21, 0
	v_cmp_ne_u32_e64 s15, 0, v21
	s_delay_alu instid0(VALU_DEP_2)
	v_cmp_eq_u32_e32 vcc_lo, 0, v115
	s_and_b32 s16, s15, vcc_lo
	s_wait_alu 0xfffe
	s_and_saveexec_b32 s15, s16
	s_cbranch_execz .LBB2084_594
; %bb.593:                              ;   in Loop: Header=BB2084_566 Depth=2
	s_wait_dscnt 0x0
	v_bcnt_u32_b32 v21, v21, v113
	ds_store_b32 v116, v21 offset:1056
.LBB2084_594:                           ;   in Loop: Header=BB2084_566 Depth=2
	s_wait_alu 0xfffe
	s_or_b32 exec_lo, exec_lo, s15
	v_cmp_lt_i16_e32 vcc_lo, -1, v24
	; wave barrier
	s_wait_alu 0xfffd
	v_cndmask_b32_e64 v21, -1, 0xffff8000, vcc_lo
	s_delay_alu instid0(VALU_DEP_1) | instskip(NEXT) | instid1(VALU_DEP_1)
	v_xor_b32_e32 v114, v21, v24
	v_cmp_ne_u16_e32 vcc_lo, 0x7fff, v114
	s_wait_alu 0xfffd
	v_cndmask_b32_e32 v21, 0xffff8000, v114, vcc_lo
	s_delay_alu instid0(VALU_DEP_1) | instskip(NEXT) | instid1(VALU_DEP_1)
	v_and_b32_e32 v21, 0xffff, v21
	v_lshrrev_b32_e32 v21, s45, v21
	s_delay_alu instid0(VALU_DEP_1) | instskip(NEXT) | instid1(VALU_DEP_1)
	v_and_b32_e32 v24, s42, v21
	v_and_b32_e32 v21, 1, v24
	v_lshlrev_b32_e32 v25, 30, v24
	v_lshlrev_b32_e32 v26, 29, v24
	;; [unrolled: 1-line block ×4, first 2 shown]
	v_add_co_u32 v21, s15, v21, -1
	s_wait_alu 0xf1ff
	v_cndmask_b32_e64 v117, 0, 1, s15
	v_not_b32_e32 v121, v25
	v_cmp_gt_i32_e64 s15, 0, v25
	v_not_b32_e32 v25, v26
	v_lshlrev_b32_e32 v119, 26, v24
	v_cmp_ne_u32_e32 vcc_lo, 0, v117
	v_ashrrev_i32_e32 v121, 31, v121
	v_lshlrev_b32_e32 v120, 25, v24
	v_ashrrev_i32_e32 v25, 31, v25
	v_lshlrev_b32_e32 v117, 24, v24
	s_wait_alu 0xfffd
	v_xor_b32_e32 v21, vcc_lo, v21
	v_cmp_gt_i32_e32 vcc_lo, 0, v26
	v_not_b32_e32 v26, v27
	s_wait_alu 0xf1ff
	v_xor_b32_e32 v121, s15, v121
	v_cmp_gt_i32_e64 s15, 0, v27
	v_and_b32_e32 v21, exec_lo, v21
	v_not_b32_e32 v27, v118
	v_ashrrev_i32_e32 v26, 31, v26
	s_wait_alu 0xfffd
	v_xor_b32_e32 v25, vcc_lo, v25
	v_cmp_gt_i32_e32 vcc_lo, 0, v118
	v_and_b32_e32 v21, v21, v121
	v_not_b32_e32 v118, v119
	v_ashrrev_i32_e32 v27, 31, v27
	s_wait_alu 0xf1ff
	v_xor_b32_e32 v26, s15, v26
	v_cmp_gt_i32_e64 s15, 0, v119
	v_and_b32_e32 v21, v21, v25
	v_not_b32_e32 v25, v120
	v_ashrrev_i32_e32 v118, 31, v118
	s_wait_alu 0xfffd
	v_xor_b32_e32 v27, vcc_lo, v27
	v_cmp_gt_i32_e32 vcc_lo, 0, v120
	v_and_b32_e32 v21, v21, v26
	v_not_b32_e32 v26, v117
	v_ashrrev_i32_e32 v25, 31, v25
	s_wait_alu 0xf1ff
	v_xor_b32_e32 v118, s15, v118
	v_cmp_gt_i32_e64 s15, 0, v117
	v_and_b32_e32 v21, v21, v27
	v_ashrrev_i32_e32 v26, 31, v26
	s_wait_alu 0xfffd
	v_xor_b32_e32 v25, vcc_lo, v25
	v_mad_u32_u24 v27, v24, 36, v92
	v_mul_u32_u24_e32 v24, 36, v24
	v_and_b32_e32 v21, v21, v118
	s_wait_alu 0xf1ff
	v_xor_b32_e32 v26, s15, v26
	ds_load_b32 v117, v27 offset:1056
	v_add_nc_u32_e32 v120, v92, v24
	v_and_b32_e32 v21, v21, v25
	; wave barrier
	s_delay_alu instid0(VALU_DEP_1) | instskip(NEXT) | instid1(VALU_DEP_1)
	v_and_b32_e32 v21, v21, v26
	v_mbcnt_lo_u32_b32 v119, v21, 0
	v_cmp_ne_u32_e64 s15, 0, v21
	s_delay_alu instid0(VALU_DEP_2)
	v_cmp_eq_u32_e32 vcc_lo, 0, v119
	s_and_b32 s16, s15, vcc_lo
	s_wait_alu 0xfffe
	s_and_saveexec_b32 s15, s16
	s_cbranch_execz .LBB2084_596
; %bb.595:                              ;   in Loop: Header=BB2084_566 Depth=2
	s_wait_dscnt 0x0
	v_bcnt_u32_b32 v21, v21, v117
	ds_store_b32 v120, v21 offset:1056
.LBB2084_596:                           ;   in Loop: Header=BB2084_566 Depth=2
	s_wait_alu 0xfffe
	s_or_b32 exec_lo, exec_lo, s15
	v_cmp_lt_i16_e32 vcc_lo, -1, v23
	; wave barrier
	s_wait_alu 0xfffd
	v_cndmask_b32_e64 v21, -1, 0xffff8000, vcc_lo
	s_delay_alu instid0(VALU_DEP_1) | instskip(NEXT) | instid1(VALU_DEP_1)
	v_xor_b32_e32 v118, v21, v23
	v_cmp_ne_u16_e32 vcc_lo, 0x7fff, v118
	s_wait_alu 0xfffd
	v_cndmask_b32_e32 v21, 0xffff8000, v118, vcc_lo
	s_delay_alu instid0(VALU_DEP_1) | instskip(NEXT) | instid1(VALU_DEP_1)
	v_and_b32_e32 v21, 0xffff, v21
	v_lshrrev_b32_e32 v21, s45, v21
	s_delay_alu instid0(VALU_DEP_1) | instskip(NEXT) | instid1(VALU_DEP_1)
	v_and_b32_e32 v23, s42, v21
	v_and_b32_e32 v21, 1, v23
	v_lshlrev_b32_e32 v24, 30, v23
	v_lshlrev_b32_e32 v25, 29, v23
	;; [unrolled: 1-line block ×4, first 2 shown]
	v_add_co_u32 v21, s15, v21, -1
	s_wait_alu 0xf1ff
	v_cndmask_b32_e64 v27, 0, 1, s15
	v_not_b32_e32 v124, v24
	v_cmp_gt_i32_e64 s15, 0, v24
	v_not_b32_e32 v24, v25
	v_lshlrev_b32_e32 v122, 26, v23
	v_cmp_ne_u32_e32 vcc_lo, 0, v27
	v_ashrrev_i32_e32 v124, 31, v124
	v_lshlrev_b32_e32 v123, 25, v23
	v_ashrrev_i32_e32 v24, 31, v24
	v_lshlrev_b32_e32 v27, 24, v23
	s_wait_alu 0xfffd
	v_xor_b32_e32 v21, vcc_lo, v21
	v_cmp_gt_i32_e32 vcc_lo, 0, v25
	v_not_b32_e32 v25, v26
	s_wait_alu 0xf1ff
	v_xor_b32_e32 v124, s15, v124
	v_cmp_gt_i32_e64 s15, 0, v26
	v_and_b32_e32 v21, exec_lo, v21
	v_not_b32_e32 v26, v121
	v_ashrrev_i32_e32 v25, 31, v25
	s_wait_alu 0xfffd
	v_xor_b32_e32 v24, vcc_lo, v24
	v_cmp_gt_i32_e32 vcc_lo, 0, v121
	v_and_b32_e32 v21, v21, v124
	v_not_b32_e32 v121, v122
	v_ashrrev_i32_e32 v26, 31, v26
	s_wait_alu 0xf1ff
	v_xor_b32_e32 v25, s15, v25
	v_cmp_gt_i32_e64 s15, 0, v122
	v_and_b32_e32 v21, v21, v24
	v_not_b32_e32 v24, v123
	v_ashrrev_i32_e32 v121, 31, v121
	s_wait_alu 0xfffd
	v_xor_b32_e32 v26, vcc_lo, v26
	v_cmp_gt_i32_e32 vcc_lo, 0, v123
	v_and_b32_e32 v21, v21, v25
	v_not_b32_e32 v25, v27
	v_ashrrev_i32_e32 v24, 31, v24
	s_wait_alu 0xf1ff
	v_xor_b32_e32 v121, s15, v121
	v_cmp_gt_i32_e64 s15, 0, v27
	v_and_b32_e32 v21, v21, v26
	v_ashrrev_i32_e32 v25, 31, v25
	s_wait_alu 0xfffd
	v_xor_b32_e32 v24, vcc_lo, v24
	v_mad_u32_u24 v26, v23, 36, v92
	v_mul_u32_u24_e32 v23, 36, v23
	v_and_b32_e32 v21, v21, v121
	s_wait_alu 0xf1ff
	v_xor_b32_e32 v25, s15, v25
	ds_load_b32 v121, v26 offset:1056
	v_add_nc_u32_e32 v124, v92, v23
	v_and_b32_e32 v21, v21, v24
	; wave barrier
	s_delay_alu instid0(VALU_DEP_1) | instskip(NEXT) | instid1(VALU_DEP_1)
	v_and_b32_e32 v21, v21, v25
	v_mbcnt_lo_u32_b32 v123, v21, 0
	v_cmp_ne_u32_e64 s15, 0, v21
	s_delay_alu instid0(VALU_DEP_2)
	v_cmp_eq_u32_e32 vcc_lo, 0, v123
	s_and_b32 s16, s15, vcc_lo
	s_wait_alu 0xfffe
	s_and_saveexec_b32 s15, s16
	s_cbranch_execz .LBB2084_598
; %bb.597:                              ;   in Loop: Header=BB2084_566 Depth=2
	s_wait_dscnt 0x0
	v_bcnt_u32_b32 v21, v21, v121
	ds_store_b32 v124, v21 offset:1056
.LBB2084_598:                           ;   in Loop: Header=BB2084_566 Depth=2
	s_wait_alu 0xfffe
	s_or_b32 exec_lo, exec_lo, s15
	v_cmp_lt_i16_e32 vcc_lo, -1, v22
	; wave barrier
	s_wait_alu 0xfffd
	v_cndmask_b32_e64 v21, -1, 0xffff8000, vcc_lo
	s_delay_alu instid0(VALU_DEP_1) | instskip(NEXT) | instid1(VALU_DEP_1)
	v_xor_b32_e32 v122, v21, v22
	v_cmp_ne_u16_e32 vcc_lo, 0x7fff, v122
	s_wait_alu 0xfffd
	v_cndmask_b32_e32 v21, 0xffff8000, v122, vcc_lo
	s_delay_alu instid0(VALU_DEP_1) | instskip(NEXT) | instid1(VALU_DEP_1)
	v_and_b32_e32 v21, 0xffff, v21
	v_lshrrev_b32_e32 v21, s45, v21
	s_delay_alu instid0(VALU_DEP_1) | instskip(NEXT) | instid1(VALU_DEP_1)
	v_and_b32_e32 v22, s42, v21
	v_and_b32_e32 v21, 1, v22
	v_lshlrev_b32_e32 v23, 30, v22
	v_lshlrev_b32_e32 v24, 29, v22
	;; [unrolled: 1-line block ×4, first 2 shown]
	v_add_co_u32 v21, s15, v21, -1
	s_wait_alu 0xf1ff
	v_cndmask_b32_e64 v26, 0, 1, s15
	v_not_b32_e32 v127, v23
	v_cmp_gt_i32_e64 s15, 0, v23
	v_not_b32_e32 v23, v24
	v_lshlrev_b32_e32 v125, 26, v22
	v_cmp_ne_u32_e32 vcc_lo, 0, v26
	v_ashrrev_i32_e32 v127, 31, v127
	v_lshlrev_b32_e32 v126, 25, v22
	v_ashrrev_i32_e32 v23, 31, v23
	v_lshlrev_b32_e32 v26, 24, v22
	s_wait_alu 0xfffd
	v_xor_b32_e32 v21, vcc_lo, v21
	v_cmp_gt_i32_e32 vcc_lo, 0, v24
	v_not_b32_e32 v24, v25
	s_wait_alu 0xf1ff
	v_xor_b32_e32 v127, s15, v127
	v_cmp_gt_i32_e64 s15, 0, v25
	v_and_b32_e32 v21, exec_lo, v21
	v_not_b32_e32 v25, v27
	v_ashrrev_i32_e32 v24, 31, v24
	s_wait_alu 0xfffd
	v_xor_b32_e32 v23, vcc_lo, v23
	v_cmp_gt_i32_e32 vcc_lo, 0, v27
	v_and_b32_e32 v21, v21, v127
	v_not_b32_e32 v27, v125
	v_ashrrev_i32_e32 v25, 31, v25
	s_wait_alu 0xf1ff
	v_xor_b32_e32 v24, s15, v24
	v_cmp_gt_i32_e64 s15, 0, v125
	v_and_b32_e32 v21, v21, v23
	v_not_b32_e32 v23, v126
	v_ashrrev_i32_e32 v27, 31, v27
	s_wait_alu 0xfffd
	v_xor_b32_e32 v25, vcc_lo, v25
	v_cmp_gt_i32_e32 vcc_lo, 0, v126
	v_and_b32_e32 v21, v21, v24
	v_not_b32_e32 v24, v26
	v_ashrrev_i32_e32 v23, 31, v23
	s_wait_alu 0xf1ff
	v_xor_b32_e32 v27, s15, v27
	v_cmp_gt_i32_e64 s15, 0, v26
	v_and_b32_e32 v21, v21, v25
	v_ashrrev_i32_e32 v24, 31, v24
	s_wait_alu 0xfffd
	v_xor_b32_e32 v23, vcc_lo, v23
	v_mad_u32_u24 v25, v22, 36, v92
	v_mul_u32_u24_e32 v22, 36, v22
	v_and_b32_e32 v21, v21, v27
	s_wait_alu 0xf1ff
	v_xor_b32_e32 v24, s15, v24
	ds_load_b32 v125, v25 offset:1056
	v_add_nc_u32_e32 v128, v92, v22
	v_and_b32_e32 v21, v21, v23
	; wave barrier
	s_delay_alu instid0(VALU_DEP_1) | instskip(NEXT) | instid1(VALU_DEP_1)
	v_and_b32_e32 v21, v21, v24
	v_mbcnt_lo_u32_b32 v126, v21, 0
	v_cmp_ne_u32_e64 s15, 0, v21
	s_delay_alu instid0(VALU_DEP_2)
	v_cmp_eq_u32_e32 vcc_lo, 0, v126
	s_and_b32 s16, s15, vcc_lo
	s_wait_alu 0xfffe
	s_and_saveexec_b32 s15, s16
	s_cbranch_execz .LBB2084_600
; %bb.599:                              ;   in Loop: Header=BB2084_566 Depth=2
	s_wait_dscnt 0x0
	v_bcnt_u32_b32 v21, v21, v125
	ds_store_b32 v128, v21 offset:1056
.LBB2084_600:                           ;   in Loop: Header=BB2084_566 Depth=2
	s_wait_alu 0xfffe
	s_or_b32 exec_lo, exec_lo, s15
	v_cmp_lt_i16_e32 vcc_lo, -1, v20
	; wave barrier
	s_wait_alu 0xfffd
	v_cndmask_b32_e64 v21, -1, 0xffff8000, vcc_lo
	s_delay_alu instid0(VALU_DEP_1) | instskip(NEXT) | instid1(VALU_DEP_1)
	v_xor_b32_e32 v127, v21, v20
	v_cmp_ne_u16_e32 vcc_lo, 0x7fff, v127
	s_wait_alu 0xfffd
	v_cndmask_b32_e32 v20, 0xffff8000, v127, vcc_lo
	s_delay_alu instid0(VALU_DEP_1) | instskip(NEXT) | instid1(VALU_DEP_1)
	v_and_b32_e32 v20, 0xffff, v20
	v_lshrrev_b32_e32 v20, s45, v20
	s_delay_alu instid0(VALU_DEP_1) | instskip(NEXT) | instid1(VALU_DEP_1)
	v_and_b32_e32 v21, s42, v20
	v_and_b32_e32 v20, 1, v21
	v_lshlrev_b32_e32 v22, 30, v21
	v_lshlrev_b32_e32 v23, 29, v21
	;; [unrolled: 1-line block ×4, first 2 shown]
	v_add_co_u32 v20, s15, v20, -1
	s_wait_alu 0xf1ff
	v_cndmask_b32_e64 v25, 0, 1, s15
	v_not_b32_e32 v130, v22
	v_cmp_gt_i32_e64 s15, 0, v22
	v_not_b32_e32 v22, v23
	v_lshlrev_b32_e32 v27, 26, v21
	v_cmp_ne_u32_e32 vcc_lo, 0, v25
	v_ashrrev_i32_e32 v130, 31, v130
	v_lshlrev_b32_e32 v129, 25, v21
	v_ashrrev_i32_e32 v22, 31, v22
	v_lshlrev_b32_e32 v25, 24, v21
	s_wait_alu 0xfffd
	v_xor_b32_e32 v20, vcc_lo, v20
	v_cmp_gt_i32_e32 vcc_lo, 0, v23
	v_not_b32_e32 v23, v24
	s_wait_alu 0xf1ff
	v_xor_b32_e32 v130, s15, v130
	v_cmp_gt_i32_e64 s15, 0, v24
	v_and_b32_e32 v20, exec_lo, v20
	v_not_b32_e32 v24, v26
	v_ashrrev_i32_e32 v23, 31, v23
	s_wait_alu 0xfffd
	v_xor_b32_e32 v22, vcc_lo, v22
	v_cmp_gt_i32_e32 vcc_lo, 0, v26
	v_and_b32_e32 v20, v20, v130
	v_not_b32_e32 v26, v27
	v_ashrrev_i32_e32 v24, 31, v24
	s_wait_alu 0xf1ff
	v_xor_b32_e32 v23, s15, v23
	v_cmp_gt_i32_e64 s15, 0, v27
	v_and_b32_e32 v20, v20, v22
	v_not_b32_e32 v22, v129
	v_ashrrev_i32_e32 v26, 31, v26
	s_wait_alu 0xfffd
	v_xor_b32_e32 v24, vcc_lo, v24
	v_cmp_gt_i32_e32 vcc_lo, 0, v129
	v_and_b32_e32 v20, v20, v23
	v_not_b32_e32 v23, v25
	v_ashrrev_i32_e32 v22, 31, v22
	s_wait_alu 0xf1ff
	v_xor_b32_e32 v26, s15, v26
	v_cmp_gt_i32_e64 s15, 0, v25
	v_and_b32_e32 v20, v20, v24
	v_ashrrev_i32_e32 v23, 31, v23
	s_wait_alu 0xfffd
	v_xor_b32_e32 v22, vcc_lo, v22
	v_mad_u32_u24 v24, v21, 36, v92
	v_mul_u32_u24_e32 v21, 36, v21
	v_and_b32_e32 v20, v20, v26
	s_wait_alu 0xf1ff
	v_xor_b32_e32 v23, s15, v23
	ds_load_b32 v129, v24 offset:1056
	v_add_nc_u32_e32 v131, v92, v21
	v_and_b32_e32 v20, v20, v22
	; wave barrier
	s_delay_alu instid0(VALU_DEP_1) | instskip(NEXT) | instid1(VALU_DEP_1)
	v_and_b32_e32 v20, v20, v23
	v_mbcnt_lo_u32_b32 v130, v20, 0
	v_cmp_ne_u32_e64 s15, 0, v20
	s_delay_alu instid0(VALU_DEP_2)
	v_cmp_eq_u32_e32 vcc_lo, 0, v130
	s_and_b32 s16, s15, vcc_lo
	s_wait_alu 0xfffe
	s_and_saveexec_b32 s15, s16
	s_cbranch_execz .LBB2084_602
; %bb.601:                              ;   in Loop: Header=BB2084_566 Depth=2
	s_wait_dscnt 0x0
	v_bcnt_u32_b32 v20, v20, v129
	ds_store_b32 v131, v20 offset:1056
.LBB2084_602:                           ;   in Loop: Header=BB2084_566 Depth=2
	s_wait_alu 0xfffe
	s_or_b32 exec_lo, exec_lo, s15
	; wave barrier
	s_wait_loadcnt_dscnt 0x0
	s_barrier_signal -1
	s_barrier_wait -1
	global_inv scope:SCOPE_SE
	ds_load_2addr_b32 v[26:27], v78 offset1:1
	ds_load_2addr_b32 v[24:25], v79 offset1:1
	;; [unrolled: 1-line block ×4, first 2 shown]
	ds_load_b32 v132, v43 offset:1088
	s_wait_dscnt 0x3
	v_add3_u32 v133, v27, v26, v24
	s_wait_dscnt 0x2
	s_delay_alu instid0(VALU_DEP_1) | instskip(SKIP_1) | instid1(VALU_DEP_1)
	v_add3_u32 v133, v133, v25, v22
	s_wait_dscnt 0x1
	v_add3_u32 v133, v133, v23, v20
	s_wait_dscnt 0x0
	s_delay_alu instid0(VALU_DEP_1) | instskip(NEXT) | instid1(VALU_DEP_1)
	v_add3_u32 v132, v133, v21, v132
	v_mov_b32_dpp v133, v132 row_shr:1 row_mask:0xf bank_mask:0xf
	s_delay_alu instid0(VALU_DEP_1) | instskip(NEXT) | instid1(VALU_DEP_1)
	v_cndmask_b32_e64 v133, v133, 0, s0
	v_add_nc_u32_e32 v132, v133, v132
	s_delay_alu instid0(VALU_DEP_1) | instskip(NEXT) | instid1(VALU_DEP_1)
	v_mov_b32_dpp v133, v132 row_shr:2 row_mask:0xf bank_mask:0xf
	v_cndmask_b32_e64 v133, 0, v133, s1
	s_delay_alu instid0(VALU_DEP_1) | instskip(NEXT) | instid1(VALU_DEP_1)
	v_add_nc_u32_e32 v132, v132, v133
	v_mov_b32_dpp v133, v132 row_shr:4 row_mask:0xf bank_mask:0xf
	s_delay_alu instid0(VALU_DEP_1) | instskip(NEXT) | instid1(VALU_DEP_1)
	v_cndmask_b32_e64 v133, 0, v133, s9
	v_add_nc_u32_e32 v132, v132, v133
	s_delay_alu instid0(VALU_DEP_1) | instskip(NEXT) | instid1(VALU_DEP_1)
	v_mov_b32_dpp v133, v132 row_shr:8 row_mask:0xf bank_mask:0xf
	v_cndmask_b32_e64 v133, 0, v133, s10
	s_delay_alu instid0(VALU_DEP_1) | instskip(SKIP_3) | instid1(VALU_DEP_1)
	v_add_nc_u32_e32 v132, v132, v133
	ds_swizzle_b32 v133, v132 offset:swizzle(BROADCAST,32,15)
	s_wait_dscnt 0x0
	v_cndmask_b32_e64 v133, v133, 0, s11
	v_add_nc_u32_e32 v132, v132, v133
	s_and_saveexec_b32 s15, s3
; %bb.603:                              ;   in Loop: Header=BB2084_566 Depth=2
	ds_store_b32 v38, v132 offset:1024
; %bb.604:                              ;   in Loop: Header=BB2084_566 Depth=2
	s_wait_alu 0xfffe
	s_or_b32 exec_lo, exec_lo, s15
	s_wait_loadcnt_dscnt 0x0
	s_barrier_signal -1
	s_barrier_wait -1
	global_inv scope:SCOPE_SE
	s_and_saveexec_b32 s15, s4
	s_cbranch_execz .LBB2084_606
; %bb.605:                              ;   in Loop: Header=BB2084_566 Depth=2
	ds_load_b32 v133, v46 offset:1024
	s_wait_dscnt 0x0
	v_mov_b32_dpp v134, v133 row_shr:1 row_mask:0xf bank_mask:0xf
	s_delay_alu instid0(VALU_DEP_1) | instskip(NEXT) | instid1(VALU_DEP_1)
	v_cndmask_b32_e64 v134, v134, 0, s12
	v_add_nc_u32_e32 v133, v134, v133
	s_delay_alu instid0(VALU_DEP_1) | instskip(NEXT) | instid1(VALU_DEP_1)
	v_mov_b32_dpp v134, v133 row_shr:2 row_mask:0xf bank_mask:0xf
	v_cndmask_b32_e64 v134, 0, v134, s13
	s_delay_alu instid0(VALU_DEP_1) | instskip(NEXT) | instid1(VALU_DEP_1)
	v_add_nc_u32_e32 v133, v133, v134
	v_mov_b32_dpp v134, v133 row_shr:4 row_mask:0xf bank_mask:0xf
	s_delay_alu instid0(VALU_DEP_1) | instskip(NEXT) | instid1(VALU_DEP_1)
	v_cndmask_b32_e64 v134, 0, v134, s14
	v_add_nc_u32_e32 v133, v133, v134
	ds_store_b32 v46, v133 offset:1024
.LBB2084_606:                           ;   in Loop: Header=BB2084_566 Depth=2
	s_wait_alu 0xfffe
	s_or_b32 exec_lo, exec_lo, s15
	v_mov_b32_e32 v133, 0
	s_wait_loadcnt_dscnt 0x0
	s_barrier_signal -1
	s_barrier_wait -1
	global_inv scope:SCOPE_SE
	s_and_saveexec_b32 s15, s5
; %bb.607:                              ;   in Loop: Header=BB2084_566 Depth=2
	ds_load_b32 v133, v38 offset:1020
; %bb.608:                              ;   in Loop: Header=BB2084_566 Depth=2
	s_wait_alu 0xfffe
	s_or_b32 exec_lo, exec_lo, s15
	s_wait_dscnt 0x0
	v_add_nc_u32_e32 v132, v133, v132
	ds_bpermute_b32 v132, v87, v132
	s_wait_dscnt 0x0
	v_cndmask_b32_e64 v132, v132, v133, s8
	s_delay_alu instid0(VALU_DEP_1) | instskip(NEXT) | instid1(VALU_DEP_1)
	v_cndmask_b32_e64 v132, v132, 0, s6
	v_add_nc_u32_e32 v26, v132, v26
	s_delay_alu instid0(VALU_DEP_1) | instskip(NEXT) | instid1(VALU_DEP_1)
	v_add_nc_u32_e32 v27, v26, v27
	v_add_nc_u32_e32 v24, v27, v24
	s_delay_alu instid0(VALU_DEP_1) | instskip(NEXT) | instid1(VALU_DEP_1)
	v_add_nc_u32_e32 v25, v24, v25
	;; [unrolled: 3-line block ×3, first 2 shown]
	v_add_nc_u32_e32 v20, v23, v20
	s_delay_alu instid0(VALU_DEP_1)
	v_add_nc_u32_e32 v21, v20, v21
	ds_store_2addr_b32 v81, v23, v20 offset1:1
	ds_store_2addr_b32 v78, v132, v26 offset1:1
	;; [unrolled: 1-line block ×4, first 2 shown]
	ds_store_b32 v43, v21 offset:1088
	s_wait_loadcnt_dscnt 0x0
	s_barrier_signal -1
	s_barrier_wait -1
	global_inv scope:SCOPE_SE
	ds_load_b32 v23, v104 offset:1056
	ds_load_b32 v24, v108 offset:1056
	;; [unrolled: 1-line block ×9, first 2 shown]
	v_mov_b32_e32 v22, 0x800
	s_and_saveexec_b32 s15, s7
; %bb.609:                              ;   in Loop: Header=BB2084_566 Depth=2
	ds_load_b32 v22, v43 offset:1092
; %bb.610:                              ;   in Loop: Header=BB2084_566 Depth=2
	s_wait_alu 0xfffe
	s_or_b32 exec_lo, exec_lo, s15
	s_wait_loadcnt_dscnt 0x0
	s_barrier_signal -1
	s_barrier_wait -1
	global_inv scope:SCOPE_SE
	s_and_saveexec_b32 s15, s2
	s_cbranch_execz .LBB2084_612
; %bb.611:                              ;   in Loop: Header=BB2084_566 Depth=2
	ds_load_b32 v108, v28
	s_wait_dscnt 0x0
	v_sub_nc_u32_e32 v104, v108, v104
	ds_store_b32 v28, v104
.LBB2084_612:                           ;   in Loop: Header=BB2084_566 Depth=2
	s_wait_alu 0xfffe
	s_or_b32 exec_lo, exec_lo, s15
	v_add_nc_u32_e32 v108, v23, v102
	v_add3_u32 v104, v106, v105, v24
	v_add3_u32 v102, v111, v109, v25
	;; [unrolled: 1-line block ×4, first 2 shown]
	v_lshlrev_b32_e32 v105, 1, v108
	v_lshlrev_b32_e32 v106, 1, v104
	v_add3_u32 v23, v123, v121, v112
	v_lshlrev_b32_e32 v109, 1, v102
	v_add3_u32 v27, v126, v125, v20
	v_add3_u32 v26, v130, v129, v21
	ds_store_b16 v105, v2 offset:1024
	ds_store_b16 v106, v103 offset:1024
	;; [unrolled: 1-line block ×3, first 2 shown]
	v_lshlrev_b32_e32 v2, 1, v25
	v_cmp_lt_u32_e32 vcc_lo, v1, v101
	v_lshlrev_b32_e32 v20, 1, v24
	v_lshlrev_b32_e32 v21, 1, v23
	v_lshlrev_b32_e32 v103, 1, v27
	v_lshlrev_b32_e32 v105, 1, v26
	ds_store_b16 v2, v110 offset:1024
	ds_store_b16 v20, v114 offset:1024
	;; [unrolled: 1-line block ×5, first 2 shown]
	s_wait_loadcnt_dscnt 0x0
	s_barrier_signal -1
	s_barrier_wait -1
	global_inv scope:SCOPE_SE
	s_and_saveexec_b32 s16, vcc_lo
	s_cbranch_execnz .LBB2084_649
; %bb.613:                              ;   in Loop: Header=BB2084_566 Depth=2
	s_wait_alu 0xfffe
	s_or_b32 exec_lo, exec_lo, s16
	v_cmp_lt_u32_e64 s15, v29, v101
	s_and_saveexec_b32 s17, s15
	s_cbranch_execnz .LBB2084_650
.LBB2084_614:                           ;   in Loop: Header=BB2084_566 Depth=2
	s_wait_alu 0xfffe
	s_or_b32 exec_lo, exec_lo, s17
	v_cmp_lt_u32_e64 s16, v30, v101
	s_and_saveexec_b32 s18, s16
	s_cbranch_execnz .LBB2084_651
.LBB2084_615:                           ;   in Loop: Header=BB2084_566 Depth=2
	s_wait_alu 0xfffe
	s_or_b32 exec_lo, exec_lo, s18
	v_cmp_lt_u32_e64 s17, v31, v101
	s_and_saveexec_b32 s19, s17
	s_cbranch_execnz .LBB2084_652
.LBB2084_616:                           ;   in Loop: Header=BB2084_566 Depth=2
	s_wait_alu 0xfffe
	s_or_b32 exec_lo, exec_lo, s19
	v_cmp_lt_u32_e64 s18, v34, v101
	s_and_saveexec_b32 s20, s18
	s_cbranch_execnz .LBB2084_653
.LBB2084_617:                           ;   in Loop: Header=BB2084_566 Depth=2
	s_wait_alu 0xfffe
	s_or_b32 exec_lo, exec_lo, s20
	v_cmp_lt_u32_e64 s19, v35, v101
	s_and_saveexec_b32 s21, s19
	s_cbranch_execnz .LBB2084_654
.LBB2084_618:                           ;   in Loop: Header=BB2084_566 Depth=2
	s_wait_alu 0xfffe
	s_or_b32 exec_lo, exec_lo, s21
	v_cmp_lt_u32_e64 s20, v36, v101
	s_and_saveexec_b32 s22, s20
	s_cbranch_execnz .LBB2084_655
.LBB2084_619:                           ;   in Loop: Header=BB2084_566 Depth=2
	s_wait_alu 0xfffe
	s_or_b32 exec_lo, exec_lo, s22
	v_cmp_lt_u32_e64 s21, v37, v101
	s_and_saveexec_b32 s48, s21
	s_cbranch_execz .LBB2084_621
.LBB2084_620:                           ;   in Loop: Header=BB2084_566 Depth=2
	ds_load_u16 v103, v47 offset:4608
	s_wait_dscnt 0x0
	v_cmp_ne_u16_e64 s22, 0x7fff, v103
	s_wait_alu 0xf1ff
	s_delay_alu instid0(VALU_DEP_1) | instskip(SKIP_1) | instid1(VALU_DEP_2)
	v_cndmask_b32_e64 v2, 0xffff8000, v103, s22
	v_cmp_lt_i16_e64 s22, -1, v103
	v_and_b32_e32 v2, 0xffff, v2
	s_wait_alu 0xf1ff
	s_delay_alu instid0(VALU_DEP_2) | instskip(NEXT) | instid1(VALU_DEP_2)
	v_cndmask_b32_e64 v105, 0xffff8000, -1, s22
	v_lshrrev_b32_e32 v2, s45, v2
	s_delay_alu instid0(VALU_DEP_1) | instskip(NEXT) | instid1(VALU_DEP_1)
	v_and_b32_e32 v2, s42, v2
	v_lshlrev_b32_e32 v2, 2, v2
	ds_load_b32 v2, v2
	s_wait_dscnt 0x0
	v_add_nc_u32_e32 v2, v2, v37
	s_delay_alu instid0(VALU_DEP_1) | instskip(SKIP_1) | instid1(VALU_DEP_2)
	v_lshlrev_b64_e32 v[20:21], 1, v[2:3]
	v_xor_b32_e32 v2, v105, v103
	v_add_co_u32 v20, s22, s40, v20
	s_wait_alu 0xf1ff
	s_delay_alu instid0(VALU_DEP_3)
	v_add_co_ci_u32_e64 v21, null, s41, v21, s22
	global_store_b16 v[20:21], v2, off
.LBB2084_621:                           ;   in Loop: Header=BB2084_566 Depth=2
	s_wait_alu 0xfffe
	s_or_b32 exec_lo, exec_lo, s48
	s_lshl_b64 s[48:49], s[30:31], 3
	s_wait_alu 0xfffe
	v_add_co_u32 v20, s22, v88, s48
	s_wait_alu 0xf1ff
	v_add_co_ci_u32_e64 v21, null, s49, v89, s22
	v_cmp_lt_u32_e64 s22, v66, v101
	s_and_saveexec_b32 s30, s22
	s_wait_alu 0xfffe
	s_xor_b32 s22, exec_lo, s30
	s_cbranch_execnz .LBB2084_656
; %bb.622:                              ;   in Loop: Header=BB2084_566 Depth=2
	s_wait_alu 0xfffe
	s_or_b32 exec_lo, exec_lo, s22
	s_delay_alu instid0(SALU_CYCLE_1)
	s_mov_b32 s30, exec_lo
	v_cmpx_lt_u32_e64 v70, v101
	s_cbranch_execnz .LBB2084_657
.LBB2084_623:                           ;   in Loop: Header=BB2084_566 Depth=2
	s_wait_alu 0xfffe
	s_or_b32 exec_lo, exec_lo, s30
	s_delay_alu instid0(SALU_CYCLE_1)
	s_mov_b32 s30, exec_lo
	v_cmpx_lt_u32_e64 v71, v101
	s_cbranch_execnz .LBB2084_658
.LBB2084_624:                           ;   in Loop: Header=BB2084_566 Depth=2
	s_wait_alu 0xfffe
	s_or_b32 exec_lo, exec_lo, s30
	s_delay_alu instid0(SALU_CYCLE_1)
	s_mov_b32 s30, exec_lo
	v_cmpx_lt_u32_e64 v72, v101
	s_cbranch_execnz .LBB2084_659
.LBB2084_625:                           ;   in Loop: Header=BB2084_566 Depth=2
	s_wait_alu 0xfffe
	s_or_b32 exec_lo, exec_lo, s30
	s_delay_alu instid0(SALU_CYCLE_1)
	s_mov_b32 s30, exec_lo
	v_cmpx_lt_u32_e64 v73, v101
	s_cbranch_execnz .LBB2084_660
.LBB2084_626:                           ;   in Loop: Header=BB2084_566 Depth=2
	s_wait_alu 0xfffe
	s_or_b32 exec_lo, exec_lo, s30
	s_delay_alu instid0(SALU_CYCLE_1)
	s_mov_b32 s30, exec_lo
	v_cmpx_lt_u32_e64 v74, v101
	s_cbranch_execnz .LBB2084_661
.LBB2084_627:                           ;   in Loop: Header=BB2084_566 Depth=2
	s_wait_alu 0xfffe
	s_or_b32 exec_lo, exec_lo, s30
	s_delay_alu instid0(SALU_CYCLE_1)
	s_mov_b32 s30, exec_lo
	v_cmpx_lt_u32_e64 v75, v101
	s_cbranch_execnz .LBB2084_662
.LBB2084_628:                           ;   in Loop: Header=BB2084_566 Depth=2
	s_wait_alu 0xfffe
	s_or_b32 exec_lo, exec_lo, s30
	s_delay_alu instid0(SALU_CYCLE_1)
	s_mov_b32 s30, exec_lo
	v_cmpx_lt_u32_e64 v76, v101
	s_cbranch_execnz .LBB2084_663
.LBB2084_629:                           ;   in Loop: Header=BB2084_566 Depth=2
	s_wait_alu 0xfffe
	s_or_b32 exec_lo, exec_lo, s30
	s_and_saveexec_b32 s30, vcc_lo
	s_cbranch_execnz .LBB2084_664
.LBB2084_630:                           ;   in Loop: Header=BB2084_566 Depth=2
	s_wait_alu 0xfffe
	s_or_b32 exec_lo, exec_lo, s30
	s_and_saveexec_b32 s30, s15
	s_cbranch_execnz .LBB2084_665
.LBB2084_631:                           ;   in Loop: Header=BB2084_566 Depth=2
	s_wait_alu 0xfffe
	s_or_b32 exec_lo, exec_lo, s30
	s_and_saveexec_b32 s30, s16
	s_cbranch_execnz .LBB2084_666
.LBB2084_632:                           ;   in Loop: Header=BB2084_566 Depth=2
	s_wait_alu 0xfffe
	s_or_b32 exec_lo, exec_lo, s30
	s_and_saveexec_b32 s30, s17
	s_cbranch_execnz .LBB2084_667
.LBB2084_633:                           ;   in Loop: Header=BB2084_566 Depth=2
	s_wait_alu 0xfffe
	s_or_b32 exec_lo, exec_lo, s30
	s_and_saveexec_b32 s30, s18
	s_cbranch_execnz .LBB2084_668
.LBB2084_634:                           ;   in Loop: Header=BB2084_566 Depth=2
	s_wait_alu 0xfffe
	s_or_b32 exec_lo, exec_lo, s30
	s_and_saveexec_b32 s30, s19
	s_cbranch_execnz .LBB2084_669
.LBB2084_635:                           ;   in Loop: Header=BB2084_566 Depth=2
	s_wait_alu 0xfffe
	s_or_b32 exec_lo, exec_lo, s30
	s_and_saveexec_b32 s30, s20
	s_cbranch_execnz .LBB2084_670
.LBB2084_636:                           ;   in Loop: Header=BB2084_566 Depth=2
	s_wait_alu 0xfffe
	s_or_b32 exec_lo, exec_lo, s30
	s_and_saveexec_b32 s30, s21
	s_cbranch_execz .LBB2084_638
.LBB2084_637:                           ;   in Loop: Header=BB2084_566 Depth=2
	ds_load_u16 v2, v47 offset:4608
	s_wait_dscnt 0x0
	v_cmp_ne_u16_e64 s22, 0x7fff, v2
	s_wait_alu 0xf1ff
	s_delay_alu instid0(VALU_DEP_1) | instskip(NEXT) | instid1(VALU_DEP_1)
	v_cndmask_b32_e64 v2, 0xffff8000, v2, s22
	v_and_b32_e32 v2, 0xffff, v2
	s_delay_alu instid0(VALU_DEP_1) | instskip(NEXT) | instid1(VALU_DEP_1)
	v_lshrrev_b32_e32 v2, s45, v2
	v_and_b32_e32 v93, s42, v2
.LBB2084_638:                           ;   in Loop: Header=BB2084_566 Depth=2
	s_wait_alu 0xfffe
	s_or_b32 exec_lo, exec_lo, s30
	v_lshlrev_b32_e32 v2, 3, v108
	v_lshlrev_b32_e32 v20, 3, v104
	;; [unrolled: 1-line block ×3, first 2 shown]
	s_wait_loadcnt 0x0
	s_wait_storecnt 0x0
	s_barrier_signal -1
	s_barrier_wait -1
	global_inv scope:SCOPE_SE
	ds_store_b64 v2, v[18:19] offset:1024
	ds_store_b64 v20, v[16:17] offset:1024
	;; [unrolled: 1-line block ×3, first 2 shown]
	v_lshlrev_b32_e32 v2, 3, v25
	v_lshlrev_b32_e32 v20, 3, v24
	;; [unrolled: 1-line block ×5, first 2 shown]
	ds_store_b64 v2, v[12:13] offset:1024
	ds_store_b64 v20, v[10:11] offset:1024
	ds_store_b64 v21, v[8:9] offset:1024
	ds_store_b64 v23, v[6:7] offset:1024
	ds_store_b64 v24, v[4:5] offset:1024
	v_add_nc_u32_e32 v20, v47, v48
	s_wait_loadcnt_dscnt 0x0
	s_barrier_signal -1
	s_barrier_wait -1
	global_inv scope:SCOPE_SE
	s_and_saveexec_b32 s22, vcc_lo
	s_cbranch_execnz .LBB2084_671
; %bb.639:                              ;   in Loop: Header=BB2084_566 Depth=2
	s_wait_alu 0xfffe
	s_or_b32 exec_lo, exec_lo, s22
	s_and_saveexec_b32 s22, s15
	s_cbranch_execnz .LBB2084_672
.LBB2084_640:                           ;   in Loop: Header=BB2084_566 Depth=2
	s_wait_alu 0xfffe
	s_or_b32 exec_lo, exec_lo, s22
	s_and_saveexec_b32 s15, s16
	s_cbranch_execnz .LBB2084_673
.LBB2084_641:                           ;   in Loop: Header=BB2084_566 Depth=2
	s_wait_alu 0xfffe
	s_or_b32 exec_lo, exec_lo, s15
	s_and_saveexec_b32 s15, s17
	s_cbranch_execnz .LBB2084_674
.LBB2084_642:                           ;   in Loop: Header=BB2084_566 Depth=2
	s_wait_alu 0xfffe
	s_or_b32 exec_lo, exec_lo, s15
	s_and_saveexec_b32 s15, s18
	s_cbranch_execnz .LBB2084_675
.LBB2084_643:                           ;   in Loop: Header=BB2084_566 Depth=2
	s_wait_alu 0xfffe
	s_or_b32 exec_lo, exec_lo, s15
	s_and_saveexec_b32 s15, s19
	s_cbranch_execnz .LBB2084_676
.LBB2084_644:                           ;   in Loop: Header=BB2084_566 Depth=2
	s_wait_alu 0xfffe
	s_or_b32 exec_lo, exec_lo, s15
	s_and_saveexec_b32 s15, s20
	s_cbranch_execnz .LBB2084_677
.LBB2084_645:                           ;   in Loop: Header=BB2084_566 Depth=2
	s_wait_alu 0xfffe
	s_or_b32 exec_lo, exec_lo, s15
	s_and_saveexec_b32 s15, s21
	s_cbranch_execz .LBB2084_647
.LBB2084_646:                           ;   in Loop: Header=BB2084_566 Depth=2
	v_lshlrev_b32_e32 v2, 2, v93
	ds_load_b32 v2, v2
	ds_load_b64 v[20:21], v20 offset:15360
	s_wait_dscnt 0x1
	v_add_nc_u32_e32 v2, v2, v37
	s_delay_alu instid0(VALU_DEP_1) | instskip(NEXT) | instid1(VALU_DEP_1)
	v_lshlrev_b64_e32 v[23:24], 3, v[2:3]
	v_add_co_u32 v23, vcc_lo, s26, v23
	s_wait_alu 0xfffd
	s_delay_alu instid0(VALU_DEP_2)
	v_add_co_ci_u32_e64 v24, null, s27, v24, vcc_lo
	s_wait_dscnt 0x0
	global_store_b64 v[23:24], v[20:21], off
.LBB2084_647:                           ;   in Loop: Header=BB2084_566 Depth=2
	s_wait_alu 0xfffe
	s_or_b32 exec_lo, exec_lo, s15
	s_wait_loadcnt 0x0
	s_wait_storecnt 0x0
	s_barrier_signal -1
	s_barrier_wait -1
	global_inv scope:SCOPE_SE
	s_and_saveexec_b32 s15, s2
	s_cbranch_execz .LBB2084_565
; %bb.648:                              ;   in Loop: Header=BB2084_566 Depth=2
	ds_load_b32 v2, v28
	s_wait_dscnt 0x0
	v_add_nc_u32_e32 v2, v2, v22
	ds_store_b32 v28, v2
	s_branch .LBB2084_565
.LBB2084_649:                           ;   in Loop: Header=BB2084_566 Depth=2
	ds_load_u16 v103, v47 offset:1024
	s_wait_dscnt 0x0
	v_cmp_ne_u16_e64 s15, 0x7fff, v103
	s_wait_alu 0xf1ff
	s_delay_alu instid0(VALU_DEP_1) | instskip(SKIP_1) | instid1(VALU_DEP_2)
	v_cndmask_b32_e64 v2, 0xffff8000, v103, s15
	v_cmp_lt_i16_e64 s15, -1, v103
	v_and_b32_e32 v2, 0xffff, v2
	s_wait_alu 0xf1ff
	s_delay_alu instid0(VALU_DEP_2) | instskip(NEXT) | instid1(VALU_DEP_2)
	v_cndmask_b32_e64 v105, 0xffff8000, -1, s15
	v_lshrrev_b32_e32 v2, s45, v2
	s_delay_alu instid0(VALU_DEP_1) | instskip(NEXT) | instid1(VALU_DEP_1)
	v_and_b32_e32 v2, s42, v2
	v_lshlrev_b32_e32 v2, 2, v2
	ds_load_b32 v2, v2
	s_wait_dscnt 0x0
	v_add_nc_u32_e32 v2, v2, v1
	s_delay_alu instid0(VALU_DEP_1) | instskip(SKIP_1) | instid1(VALU_DEP_2)
	v_lshlrev_b64_e32 v[20:21], 1, v[2:3]
	v_xor_b32_e32 v2, v105, v103
	v_add_co_u32 v20, s15, s40, v20
	s_wait_alu 0xf1ff
	s_delay_alu instid0(VALU_DEP_3)
	v_add_co_ci_u32_e64 v21, null, s41, v21, s15
	global_store_b16 v[20:21], v2, off
	s_wait_alu 0xfffe
	s_or_b32 exec_lo, exec_lo, s16
	v_cmp_lt_u32_e64 s15, v29, v101
	s_and_saveexec_b32 s17, s15
	s_cbranch_execz .LBB2084_614
.LBB2084_650:                           ;   in Loop: Header=BB2084_566 Depth=2
	ds_load_u16 v103, v47 offset:1536
	s_wait_dscnt 0x0
	v_cmp_ne_u16_e64 s16, 0x7fff, v103
	s_wait_alu 0xf1ff
	s_delay_alu instid0(VALU_DEP_1) | instskip(SKIP_1) | instid1(VALU_DEP_2)
	v_cndmask_b32_e64 v2, 0xffff8000, v103, s16
	v_cmp_lt_i16_e64 s16, -1, v103
	v_and_b32_e32 v2, 0xffff, v2
	s_wait_alu 0xf1ff
	s_delay_alu instid0(VALU_DEP_2) | instskip(NEXT) | instid1(VALU_DEP_2)
	v_cndmask_b32_e64 v105, 0xffff8000, -1, s16
	v_lshrrev_b32_e32 v2, s45, v2
	s_delay_alu instid0(VALU_DEP_1) | instskip(NEXT) | instid1(VALU_DEP_1)
	v_and_b32_e32 v2, s42, v2
	v_lshlrev_b32_e32 v2, 2, v2
	ds_load_b32 v2, v2
	s_wait_dscnt 0x0
	v_add_nc_u32_e32 v2, v2, v29
	s_delay_alu instid0(VALU_DEP_1) | instskip(SKIP_1) | instid1(VALU_DEP_2)
	v_lshlrev_b64_e32 v[20:21], 1, v[2:3]
	v_xor_b32_e32 v2, v105, v103
	v_add_co_u32 v20, s16, s40, v20
	s_wait_alu 0xf1ff
	s_delay_alu instid0(VALU_DEP_3)
	v_add_co_ci_u32_e64 v21, null, s41, v21, s16
	global_store_b16 v[20:21], v2, off
	s_wait_alu 0xfffe
	s_or_b32 exec_lo, exec_lo, s17
	v_cmp_lt_u32_e64 s16, v30, v101
	s_and_saveexec_b32 s18, s16
	s_cbranch_execz .LBB2084_615
.LBB2084_651:                           ;   in Loop: Header=BB2084_566 Depth=2
	ds_load_u16 v103, v47 offset:2048
	s_wait_dscnt 0x0
	v_cmp_ne_u16_e64 s17, 0x7fff, v103
	s_wait_alu 0xf1ff
	s_delay_alu instid0(VALU_DEP_1) | instskip(SKIP_1) | instid1(VALU_DEP_2)
	v_cndmask_b32_e64 v2, 0xffff8000, v103, s17
	v_cmp_lt_i16_e64 s17, -1, v103
	v_and_b32_e32 v2, 0xffff, v2
	s_wait_alu 0xf1ff
	s_delay_alu instid0(VALU_DEP_2) | instskip(NEXT) | instid1(VALU_DEP_2)
	v_cndmask_b32_e64 v105, 0xffff8000, -1, s17
	v_lshrrev_b32_e32 v2, s45, v2
	s_delay_alu instid0(VALU_DEP_1) | instskip(NEXT) | instid1(VALU_DEP_1)
	v_and_b32_e32 v2, s42, v2
	v_lshlrev_b32_e32 v2, 2, v2
	ds_load_b32 v2, v2
	s_wait_dscnt 0x0
	v_add_nc_u32_e32 v2, v2, v30
	s_delay_alu instid0(VALU_DEP_1) | instskip(SKIP_1) | instid1(VALU_DEP_2)
	v_lshlrev_b64_e32 v[20:21], 1, v[2:3]
	v_xor_b32_e32 v2, v105, v103
	v_add_co_u32 v20, s17, s40, v20
	s_wait_alu 0xf1ff
	s_delay_alu instid0(VALU_DEP_3)
	v_add_co_ci_u32_e64 v21, null, s41, v21, s17
	global_store_b16 v[20:21], v2, off
	s_wait_alu 0xfffe
	s_or_b32 exec_lo, exec_lo, s18
	v_cmp_lt_u32_e64 s17, v31, v101
	s_and_saveexec_b32 s19, s17
	s_cbranch_execz .LBB2084_616
.LBB2084_652:                           ;   in Loop: Header=BB2084_566 Depth=2
	ds_load_u16 v103, v47 offset:2560
	s_wait_dscnt 0x0
	v_cmp_ne_u16_e64 s18, 0x7fff, v103
	s_wait_alu 0xf1ff
	s_delay_alu instid0(VALU_DEP_1) | instskip(SKIP_1) | instid1(VALU_DEP_2)
	v_cndmask_b32_e64 v2, 0xffff8000, v103, s18
	v_cmp_lt_i16_e64 s18, -1, v103
	v_and_b32_e32 v2, 0xffff, v2
	s_wait_alu 0xf1ff
	s_delay_alu instid0(VALU_DEP_2) | instskip(NEXT) | instid1(VALU_DEP_2)
	v_cndmask_b32_e64 v105, 0xffff8000, -1, s18
	v_lshrrev_b32_e32 v2, s45, v2
	s_delay_alu instid0(VALU_DEP_1) | instskip(NEXT) | instid1(VALU_DEP_1)
	v_and_b32_e32 v2, s42, v2
	v_lshlrev_b32_e32 v2, 2, v2
	ds_load_b32 v2, v2
	s_wait_dscnt 0x0
	v_add_nc_u32_e32 v2, v2, v31
	s_delay_alu instid0(VALU_DEP_1) | instskip(SKIP_1) | instid1(VALU_DEP_2)
	v_lshlrev_b64_e32 v[20:21], 1, v[2:3]
	v_xor_b32_e32 v2, v105, v103
	v_add_co_u32 v20, s18, s40, v20
	s_wait_alu 0xf1ff
	s_delay_alu instid0(VALU_DEP_3)
	v_add_co_ci_u32_e64 v21, null, s41, v21, s18
	global_store_b16 v[20:21], v2, off
	s_wait_alu 0xfffe
	s_or_b32 exec_lo, exec_lo, s19
	v_cmp_lt_u32_e64 s18, v34, v101
	s_and_saveexec_b32 s20, s18
	s_cbranch_execz .LBB2084_617
.LBB2084_653:                           ;   in Loop: Header=BB2084_566 Depth=2
	ds_load_u16 v103, v47 offset:3072
	s_wait_dscnt 0x0
	v_cmp_ne_u16_e64 s19, 0x7fff, v103
	s_wait_alu 0xf1ff
	s_delay_alu instid0(VALU_DEP_1) | instskip(SKIP_1) | instid1(VALU_DEP_2)
	v_cndmask_b32_e64 v2, 0xffff8000, v103, s19
	v_cmp_lt_i16_e64 s19, -1, v103
	v_and_b32_e32 v2, 0xffff, v2
	s_wait_alu 0xf1ff
	s_delay_alu instid0(VALU_DEP_2) | instskip(NEXT) | instid1(VALU_DEP_2)
	v_cndmask_b32_e64 v105, 0xffff8000, -1, s19
	v_lshrrev_b32_e32 v2, s45, v2
	s_delay_alu instid0(VALU_DEP_1) | instskip(NEXT) | instid1(VALU_DEP_1)
	v_and_b32_e32 v2, s42, v2
	v_lshlrev_b32_e32 v2, 2, v2
	ds_load_b32 v2, v2
	s_wait_dscnt 0x0
	v_add_nc_u32_e32 v2, v2, v34
	s_delay_alu instid0(VALU_DEP_1) | instskip(SKIP_1) | instid1(VALU_DEP_2)
	v_lshlrev_b64_e32 v[20:21], 1, v[2:3]
	v_xor_b32_e32 v2, v105, v103
	v_add_co_u32 v20, s19, s40, v20
	s_wait_alu 0xf1ff
	s_delay_alu instid0(VALU_DEP_3)
	v_add_co_ci_u32_e64 v21, null, s41, v21, s19
	global_store_b16 v[20:21], v2, off
	s_wait_alu 0xfffe
	s_or_b32 exec_lo, exec_lo, s20
	v_cmp_lt_u32_e64 s19, v35, v101
	s_and_saveexec_b32 s21, s19
	s_cbranch_execz .LBB2084_618
.LBB2084_654:                           ;   in Loop: Header=BB2084_566 Depth=2
	ds_load_u16 v103, v47 offset:3584
	s_wait_dscnt 0x0
	v_cmp_ne_u16_e64 s20, 0x7fff, v103
	s_wait_alu 0xf1ff
	s_delay_alu instid0(VALU_DEP_1) | instskip(SKIP_1) | instid1(VALU_DEP_2)
	v_cndmask_b32_e64 v2, 0xffff8000, v103, s20
	v_cmp_lt_i16_e64 s20, -1, v103
	v_and_b32_e32 v2, 0xffff, v2
	s_wait_alu 0xf1ff
	s_delay_alu instid0(VALU_DEP_2) | instskip(NEXT) | instid1(VALU_DEP_2)
	v_cndmask_b32_e64 v105, 0xffff8000, -1, s20
	v_lshrrev_b32_e32 v2, s45, v2
	s_delay_alu instid0(VALU_DEP_1) | instskip(NEXT) | instid1(VALU_DEP_1)
	v_and_b32_e32 v2, s42, v2
	v_lshlrev_b32_e32 v2, 2, v2
	ds_load_b32 v2, v2
	s_wait_dscnt 0x0
	v_add_nc_u32_e32 v2, v2, v35
	s_delay_alu instid0(VALU_DEP_1) | instskip(SKIP_1) | instid1(VALU_DEP_2)
	v_lshlrev_b64_e32 v[20:21], 1, v[2:3]
	v_xor_b32_e32 v2, v105, v103
	v_add_co_u32 v20, s20, s40, v20
	s_wait_alu 0xf1ff
	s_delay_alu instid0(VALU_DEP_3)
	v_add_co_ci_u32_e64 v21, null, s41, v21, s20
	global_store_b16 v[20:21], v2, off
	s_wait_alu 0xfffe
	s_or_b32 exec_lo, exec_lo, s21
	v_cmp_lt_u32_e64 s20, v36, v101
	s_and_saveexec_b32 s22, s20
	s_cbranch_execz .LBB2084_619
.LBB2084_655:                           ;   in Loop: Header=BB2084_566 Depth=2
	ds_load_u16 v103, v47 offset:4096
	s_wait_dscnt 0x0
	v_cmp_ne_u16_e64 s21, 0x7fff, v103
	s_wait_alu 0xf1ff
	s_delay_alu instid0(VALU_DEP_1) | instskip(SKIP_1) | instid1(VALU_DEP_2)
	v_cndmask_b32_e64 v2, 0xffff8000, v103, s21
	v_cmp_lt_i16_e64 s21, -1, v103
	v_and_b32_e32 v2, 0xffff, v2
	s_wait_alu 0xf1ff
	s_delay_alu instid0(VALU_DEP_2) | instskip(NEXT) | instid1(VALU_DEP_2)
	v_cndmask_b32_e64 v105, 0xffff8000, -1, s21
	v_lshrrev_b32_e32 v2, s45, v2
	s_delay_alu instid0(VALU_DEP_1) | instskip(NEXT) | instid1(VALU_DEP_1)
	v_and_b32_e32 v2, s42, v2
	v_lshlrev_b32_e32 v2, 2, v2
	ds_load_b32 v2, v2
	s_wait_dscnt 0x0
	v_add_nc_u32_e32 v2, v2, v36
	s_delay_alu instid0(VALU_DEP_1) | instskip(SKIP_1) | instid1(VALU_DEP_2)
	v_lshlrev_b64_e32 v[20:21], 1, v[2:3]
	v_xor_b32_e32 v2, v105, v103
	v_add_co_u32 v20, s21, s40, v20
	s_wait_alu 0xf1ff
	s_delay_alu instid0(VALU_DEP_3)
	v_add_co_ci_u32_e64 v21, null, s41, v21, s21
	global_store_b16 v[20:21], v2, off
	s_wait_alu 0xfffe
	s_or_b32 exec_lo, exec_lo, s22
	v_cmp_lt_u32_e64 s21, v37, v101
	s_and_saveexec_b32 s48, s21
	s_cbranch_execnz .LBB2084_620
	s_branch .LBB2084_621
.LBB2084_656:                           ;   in Loop: Header=BB2084_566 Depth=2
	global_load_b64 v[18:19], v[20:21], off
	s_wait_alu 0xfffe
	s_or_b32 exec_lo, exec_lo, s22
	s_delay_alu instid0(SALU_CYCLE_1)
	s_mov_b32 s30, exec_lo
	v_cmpx_lt_u32_e64 v70, v101
	s_cbranch_execz .LBB2084_623
.LBB2084_657:                           ;   in Loop: Header=BB2084_566 Depth=2
	global_load_b64 v[16:17], v[20:21], off offset:256
	s_wait_alu 0xfffe
	s_or_b32 exec_lo, exec_lo, s30
	s_delay_alu instid0(SALU_CYCLE_1)
	s_mov_b32 s30, exec_lo
	v_cmpx_lt_u32_e64 v71, v101
	s_cbranch_execz .LBB2084_624
.LBB2084_658:                           ;   in Loop: Header=BB2084_566 Depth=2
	global_load_b64 v[14:15], v[20:21], off offset:512
	s_wait_alu 0xfffe
	s_or_b32 exec_lo, exec_lo, s30
	s_delay_alu instid0(SALU_CYCLE_1)
	s_mov_b32 s30, exec_lo
	v_cmpx_lt_u32_e64 v72, v101
	s_cbranch_execz .LBB2084_625
.LBB2084_659:                           ;   in Loop: Header=BB2084_566 Depth=2
	global_load_b64 v[12:13], v[20:21], off offset:768
	s_wait_alu 0xfffe
	s_or_b32 exec_lo, exec_lo, s30
	s_delay_alu instid0(SALU_CYCLE_1)
	s_mov_b32 s30, exec_lo
	v_cmpx_lt_u32_e64 v73, v101
	s_cbranch_execz .LBB2084_626
.LBB2084_660:                           ;   in Loop: Header=BB2084_566 Depth=2
	global_load_b64 v[10:11], v[20:21], off offset:1024
	s_wait_alu 0xfffe
	s_or_b32 exec_lo, exec_lo, s30
	s_delay_alu instid0(SALU_CYCLE_1)
	s_mov_b32 s30, exec_lo
	v_cmpx_lt_u32_e64 v74, v101
	s_cbranch_execz .LBB2084_627
.LBB2084_661:                           ;   in Loop: Header=BB2084_566 Depth=2
	global_load_b64 v[8:9], v[20:21], off offset:1280
	s_wait_alu 0xfffe
	s_or_b32 exec_lo, exec_lo, s30
	s_delay_alu instid0(SALU_CYCLE_1)
	s_mov_b32 s30, exec_lo
	v_cmpx_lt_u32_e64 v75, v101
	s_cbranch_execz .LBB2084_628
.LBB2084_662:                           ;   in Loop: Header=BB2084_566 Depth=2
	global_load_b64 v[6:7], v[20:21], off offset:1536
	s_wait_alu 0xfffe
	s_or_b32 exec_lo, exec_lo, s30
	s_delay_alu instid0(SALU_CYCLE_1)
	s_mov_b32 s30, exec_lo
	v_cmpx_lt_u32_e64 v76, v101
	s_cbranch_execz .LBB2084_629
.LBB2084_663:                           ;   in Loop: Header=BB2084_566 Depth=2
	global_load_b64 v[4:5], v[20:21], off offset:1792
	s_wait_alu 0xfffe
	s_or_b32 exec_lo, exec_lo, s30
	s_and_saveexec_b32 s30, vcc_lo
	s_cbranch_execz .LBB2084_630
.LBB2084_664:                           ;   in Loop: Header=BB2084_566 Depth=2
	ds_load_u16 v2, v47 offset:1024
	s_wait_dscnt 0x0
	v_cmp_ne_u16_e64 s22, 0x7fff, v2
	s_wait_alu 0xf1ff
	s_delay_alu instid0(VALU_DEP_1) | instskip(NEXT) | instid1(VALU_DEP_1)
	v_cndmask_b32_e64 v2, 0xffff8000, v2, s22
	v_and_b32_e32 v2, 0xffff, v2
	s_delay_alu instid0(VALU_DEP_1) | instskip(NEXT) | instid1(VALU_DEP_1)
	v_lshrrev_b32_e32 v2, s45, v2
	v_and_b32_e32 v100, s42, v2
	s_wait_alu 0xfffe
	s_or_b32 exec_lo, exec_lo, s30
	s_and_saveexec_b32 s30, s15
	s_cbranch_execz .LBB2084_631
.LBB2084_665:                           ;   in Loop: Header=BB2084_566 Depth=2
	ds_load_u16 v2, v47 offset:1536
	s_wait_dscnt 0x0
	v_cmp_ne_u16_e64 s22, 0x7fff, v2
	s_wait_alu 0xf1ff
	s_delay_alu instid0(VALU_DEP_1) | instskip(NEXT) | instid1(VALU_DEP_1)
	v_cndmask_b32_e64 v2, 0xffff8000, v2, s22
	v_and_b32_e32 v2, 0xffff, v2
	s_delay_alu instid0(VALU_DEP_1) | instskip(NEXT) | instid1(VALU_DEP_1)
	v_lshrrev_b32_e32 v2, s45, v2
	v_and_b32_e32 v99, s42, v2
	s_wait_alu 0xfffe
	s_or_b32 exec_lo, exec_lo, s30
	s_and_saveexec_b32 s30, s16
	s_cbranch_execz .LBB2084_632
.LBB2084_666:                           ;   in Loop: Header=BB2084_566 Depth=2
	ds_load_u16 v2, v47 offset:2048
	s_wait_dscnt 0x0
	v_cmp_ne_u16_e64 s22, 0x7fff, v2
	s_wait_alu 0xf1ff
	s_delay_alu instid0(VALU_DEP_1) | instskip(NEXT) | instid1(VALU_DEP_1)
	v_cndmask_b32_e64 v2, 0xffff8000, v2, s22
	v_and_b32_e32 v2, 0xffff, v2
	s_delay_alu instid0(VALU_DEP_1) | instskip(NEXT) | instid1(VALU_DEP_1)
	v_lshrrev_b32_e32 v2, s45, v2
	v_and_b32_e32 v98, s42, v2
	s_wait_alu 0xfffe
	s_or_b32 exec_lo, exec_lo, s30
	s_and_saveexec_b32 s30, s17
	s_cbranch_execz .LBB2084_633
.LBB2084_667:                           ;   in Loop: Header=BB2084_566 Depth=2
	ds_load_u16 v2, v47 offset:2560
	s_wait_dscnt 0x0
	v_cmp_ne_u16_e64 s22, 0x7fff, v2
	s_wait_alu 0xf1ff
	s_delay_alu instid0(VALU_DEP_1) | instskip(NEXT) | instid1(VALU_DEP_1)
	v_cndmask_b32_e64 v2, 0xffff8000, v2, s22
	v_and_b32_e32 v2, 0xffff, v2
	s_delay_alu instid0(VALU_DEP_1) | instskip(NEXT) | instid1(VALU_DEP_1)
	v_lshrrev_b32_e32 v2, s45, v2
	v_and_b32_e32 v97, s42, v2
	s_wait_alu 0xfffe
	s_or_b32 exec_lo, exec_lo, s30
	s_and_saveexec_b32 s30, s18
	s_cbranch_execz .LBB2084_634
.LBB2084_668:                           ;   in Loop: Header=BB2084_566 Depth=2
	ds_load_u16 v2, v47 offset:3072
	s_wait_dscnt 0x0
	v_cmp_ne_u16_e64 s22, 0x7fff, v2
	s_wait_alu 0xf1ff
	s_delay_alu instid0(VALU_DEP_1) | instskip(NEXT) | instid1(VALU_DEP_1)
	v_cndmask_b32_e64 v2, 0xffff8000, v2, s22
	v_and_b32_e32 v2, 0xffff, v2
	s_delay_alu instid0(VALU_DEP_1) | instskip(NEXT) | instid1(VALU_DEP_1)
	v_lshrrev_b32_e32 v2, s45, v2
	v_and_b32_e32 v96, s42, v2
	s_wait_alu 0xfffe
	s_or_b32 exec_lo, exec_lo, s30
	s_and_saveexec_b32 s30, s19
	s_cbranch_execz .LBB2084_635
.LBB2084_669:                           ;   in Loop: Header=BB2084_566 Depth=2
	ds_load_u16 v2, v47 offset:3584
	s_wait_dscnt 0x0
	v_cmp_ne_u16_e64 s22, 0x7fff, v2
	s_wait_alu 0xf1ff
	s_delay_alu instid0(VALU_DEP_1) | instskip(NEXT) | instid1(VALU_DEP_1)
	v_cndmask_b32_e64 v2, 0xffff8000, v2, s22
	v_and_b32_e32 v2, 0xffff, v2
	s_delay_alu instid0(VALU_DEP_1) | instskip(NEXT) | instid1(VALU_DEP_1)
	v_lshrrev_b32_e32 v2, s45, v2
	v_and_b32_e32 v95, s42, v2
	s_wait_alu 0xfffe
	s_or_b32 exec_lo, exec_lo, s30
	s_and_saveexec_b32 s30, s20
	s_cbranch_execz .LBB2084_636
.LBB2084_670:                           ;   in Loop: Header=BB2084_566 Depth=2
	ds_load_u16 v2, v47 offset:4096
	s_wait_dscnt 0x0
	v_cmp_ne_u16_e64 s22, 0x7fff, v2
	s_wait_alu 0xf1ff
	s_delay_alu instid0(VALU_DEP_1) | instskip(NEXT) | instid1(VALU_DEP_1)
	v_cndmask_b32_e64 v2, 0xffff8000, v2, s22
	v_and_b32_e32 v2, 0xffff, v2
	s_delay_alu instid0(VALU_DEP_1) | instskip(NEXT) | instid1(VALU_DEP_1)
	v_lshrrev_b32_e32 v2, s45, v2
	v_and_b32_e32 v94, s42, v2
	s_wait_alu 0xfffe
	s_or_b32 exec_lo, exec_lo, s30
	s_and_saveexec_b32 s30, s21
	s_cbranch_execnz .LBB2084_637
	s_branch .LBB2084_638
.LBB2084_671:                           ;   in Loop: Header=BB2084_566 Depth=2
	v_lshlrev_b32_e32 v2, 2, v100
	ds_load_b32 v2, v2
	ds_load_b64 v[23:24], v20 offset:1024
	s_wait_dscnt 0x1
	v_add_nc_u32_e32 v2, v2, v1
	s_delay_alu instid0(VALU_DEP_1) | instskip(NEXT) | instid1(VALU_DEP_1)
	v_lshlrev_b64_e32 v[25:26], 3, v[2:3]
	v_add_co_u32 v25, vcc_lo, s26, v25
	s_wait_alu 0xfffd
	s_delay_alu instid0(VALU_DEP_2)
	v_add_co_ci_u32_e64 v26, null, s27, v26, vcc_lo
	s_wait_dscnt 0x0
	global_store_b64 v[25:26], v[23:24], off
	s_wait_alu 0xfffe
	s_or_b32 exec_lo, exec_lo, s22
	s_and_saveexec_b32 s22, s15
	s_cbranch_execz .LBB2084_640
.LBB2084_672:                           ;   in Loop: Header=BB2084_566 Depth=2
	v_lshlrev_b32_e32 v2, 2, v99
	ds_load_b32 v2, v2
	ds_load_b64 v[23:24], v20 offset:3072
	s_wait_dscnt 0x1
	v_add_nc_u32_e32 v2, v2, v29
	s_delay_alu instid0(VALU_DEP_1) | instskip(NEXT) | instid1(VALU_DEP_1)
	v_lshlrev_b64_e32 v[25:26], 3, v[2:3]
	v_add_co_u32 v25, vcc_lo, s26, v25
	s_wait_alu 0xfffd
	s_delay_alu instid0(VALU_DEP_2)
	v_add_co_ci_u32_e64 v26, null, s27, v26, vcc_lo
	s_wait_dscnt 0x0
	global_store_b64 v[25:26], v[23:24], off
	s_wait_alu 0xfffe
	s_or_b32 exec_lo, exec_lo, s22
	s_and_saveexec_b32 s15, s16
	s_cbranch_execz .LBB2084_641
.LBB2084_673:                           ;   in Loop: Header=BB2084_566 Depth=2
	v_lshlrev_b32_e32 v2, 2, v98
	ds_load_b32 v2, v2
	ds_load_b64 v[23:24], v20 offset:5120
	s_wait_dscnt 0x1
	v_add_nc_u32_e32 v2, v2, v30
	s_delay_alu instid0(VALU_DEP_1) | instskip(NEXT) | instid1(VALU_DEP_1)
	v_lshlrev_b64_e32 v[25:26], 3, v[2:3]
	v_add_co_u32 v25, vcc_lo, s26, v25
	s_wait_alu 0xfffd
	s_delay_alu instid0(VALU_DEP_2)
	v_add_co_ci_u32_e64 v26, null, s27, v26, vcc_lo
	s_wait_dscnt 0x0
	global_store_b64 v[25:26], v[23:24], off
	s_wait_alu 0xfffe
	s_or_b32 exec_lo, exec_lo, s15
	s_and_saveexec_b32 s15, s17
	s_cbranch_execz .LBB2084_642
.LBB2084_674:                           ;   in Loop: Header=BB2084_566 Depth=2
	v_lshlrev_b32_e32 v2, 2, v97
	ds_load_b32 v2, v2
	ds_load_b64 v[23:24], v20 offset:7168
	s_wait_dscnt 0x1
	v_add_nc_u32_e32 v2, v2, v31
	s_delay_alu instid0(VALU_DEP_1) | instskip(NEXT) | instid1(VALU_DEP_1)
	v_lshlrev_b64_e32 v[25:26], 3, v[2:3]
	v_add_co_u32 v25, vcc_lo, s26, v25
	s_wait_alu 0xfffd
	s_delay_alu instid0(VALU_DEP_2)
	v_add_co_ci_u32_e64 v26, null, s27, v26, vcc_lo
	s_wait_dscnt 0x0
	global_store_b64 v[25:26], v[23:24], off
	s_wait_alu 0xfffe
	s_or_b32 exec_lo, exec_lo, s15
	s_and_saveexec_b32 s15, s18
	s_cbranch_execz .LBB2084_643
.LBB2084_675:                           ;   in Loop: Header=BB2084_566 Depth=2
	v_lshlrev_b32_e32 v2, 2, v96
	ds_load_b32 v2, v2
	ds_load_b64 v[23:24], v20 offset:9216
	s_wait_dscnt 0x1
	v_add_nc_u32_e32 v2, v2, v34
	s_delay_alu instid0(VALU_DEP_1) | instskip(NEXT) | instid1(VALU_DEP_1)
	v_lshlrev_b64_e32 v[25:26], 3, v[2:3]
	v_add_co_u32 v25, vcc_lo, s26, v25
	s_wait_alu 0xfffd
	s_delay_alu instid0(VALU_DEP_2)
	v_add_co_ci_u32_e64 v26, null, s27, v26, vcc_lo
	s_wait_dscnt 0x0
	global_store_b64 v[25:26], v[23:24], off
	s_wait_alu 0xfffe
	s_or_b32 exec_lo, exec_lo, s15
	s_and_saveexec_b32 s15, s19
	s_cbranch_execz .LBB2084_644
.LBB2084_676:                           ;   in Loop: Header=BB2084_566 Depth=2
	v_lshlrev_b32_e32 v2, 2, v95
	ds_load_b32 v2, v2
	ds_load_b64 v[23:24], v20 offset:11264
	s_wait_dscnt 0x1
	v_add_nc_u32_e32 v2, v2, v35
	s_delay_alu instid0(VALU_DEP_1) | instskip(NEXT) | instid1(VALU_DEP_1)
	v_lshlrev_b64_e32 v[25:26], 3, v[2:3]
	v_add_co_u32 v25, vcc_lo, s26, v25
	s_wait_alu 0xfffd
	s_delay_alu instid0(VALU_DEP_2)
	v_add_co_ci_u32_e64 v26, null, s27, v26, vcc_lo
	s_wait_dscnt 0x0
	global_store_b64 v[25:26], v[23:24], off
	s_wait_alu 0xfffe
	s_or_b32 exec_lo, exec_lo, s15
	s_and_saveexec_b32 s15, s20
	s_cbranch_execz .LBB2084_645
.LBB2084_677:                           ;   in Loop: Header=BB2084_566 Depth=2
	v_lshlrev_b32_e32 v2, 2, v94
	ds_load_b32 v2, v2
	ds_load_b64 v[23:24], v20 offset:13312
	s_wait_dscnt 0x1
	v_add_nc_u32_e32 v2, v2, v36
	s_delay_alu instid0(VALU_DEP_1) | instskip(NEXT) | instid1(VALU_DEP_1)
	v_lshlrev_b64_e32 v[25:26], 3, v[2:3]
	v_add_co_u32 v25, vcc_lo, s26, v25
	s_wait_alu 0xfffd
	s_delay_alu instid0(VALU_DEP_2)
	v_add_co_ci_u32_e64 v26, null, s27, v26, vcc_lo
	s_wait_dscnt 0x0
	global_store_b64 v[25:26], v[23:24], off
	s_wait_alu 0xfffe
	s_or_b32 exec_lo, exec_lo, s15
	s_and_saveexec_b32 s15, s21
	s_cbranch_execnz .LBB2084_646
	s_branch .LBB2084_647
.LBB2084_678:
	s_endpgm
	.section	.rodata,"a",@progbits
	.p2align	6, 0x0
	.amdhsa_kernel _ZN7rocprim17ROCPRIM_400000_NS6detail17trampoline_kernelINS0_14default_configENS1_36segmented_radix_sort_config_selectorI12hip_bfloat16lEEZNS1_25segmented_radix_sort_implIS3_Lb0EPKS5_PS5_PKlPlN2at6native12_GLOBAL__N_18offset_tEEE10hipError_tPvRmT1_PNSt15iterator_traitsISL_E10value_typeET2_T3_PNSM_ISR_E10value_typeET4_jRbjT5_SX_jjP12ihipStream_tbEUlT_E2_NS1_11comp_targetILNS1_3genE10ELNS1_11target_archE1201ELNS1_3gpuE5ELNS1_3repE0EEENS1_30default_config_static_selectorELNS0_4arch9wavefront6targetE0EEEvSL_
		.amdhsa_group_segment_fixed_size 17440
		.amdhsa_private_segment_fixed_size 0
		.amdhsa_kernarg_size 336
		.amdhsa_user_sgpr_count 2
		.amdhsa_user_sgpr_dispatch_ptr 0
		.amdhsa_user_sgpr_queue_ptr 0
		.amdhsa_user_sgpr_kernarg_segment_ptr 1
		.amdhsa_user_sgpr_dispatch_id 0
		.amdhsa_user_sgpr_private_segment_size 0
		.amdhsa_wavefront_size32 1
		.amdhsa_uses_dynamic_stack 0
		.amdhsa_enable_private_segment 0
		.amdhsa_system_sgpr_workgroup_id_x 1
		.amdhsa_system_sgpr_workgroup_id_y 1
		.amdhsa_system_sgpr_workgroup_id_z 0
		.amdhsa_system_sgpr_workgroup_info 0
		.amdhsa_system_vgpr_workitem_id 2
		.amdhsa_next_free_vgpr 198
		.amdhsa_next_free_sgpr 50
		.amdhsa_reserve_vcc 1
		.amdhsa_float_round_mode_32 0
		.amdhsa_float_round_mode_16_64 0
		.amdhsa_float_denorm_mode_32 3
		.amdhsa_float_denorm_mode_16_64 3
		.amdhsa_fp16_overflow 0
		.amdhsa_workgroup_processor_mode 1
		.amdhsa_memory_ordered 1
		.amdhsa_forward_progress 1
		.amdhsa_inst_pref_size 255
		.amdhsa_round_robin_scheduling 0
		.amdhsa_exception_fp_ieee_invalid_op 0
		.amdhsa_exception_fp_denorm_src 0
		.amdhsa_exception_fp_ieee_div_zero 0
		.amdhsa_exception_fp_ieee_overflow 0
		.amdhsa_exception_fp_ieee_underflow 0
		.amdhsa_exception_fp_ieee_inexact 0
		.amdhsa_exception_int_div_zero 0
	.end_amdhsa_kernel
	.section	.text._ZN7rocprim17ROCPRIM_400000_NS6detail17trampoline_kernelINS0_14default_configENS1_36segmented_radix_sort_config_selectorI12hip_bfloat16lEEZNS1_25segmented_radix_sort_implIS3_Lb0EPKS5_PS5_PKlPlN2at6native12_GLOBAL__N_18offset_tEEE10hipError_tPvRmT1_PNSt15iterator_traitsISL_E10value_typeET2_T3_PNSM_ISR_E10value_typeET4_jRbjT5_SX_jjP12ihipStream_tbEUlT_E2_NS1_11comp_targetILNS1_3genE10ELNS1_11target_archE1201ELNS1_3gpuE5ELNS1_3repE0EEENS1_30default_config_static_selectorELNS0_4arch9wavefront6targetE0EEEvSL_,"axG",@progbits,_ZN7rocprim17ROCPRIM_400000_NS6detail17trampoline_kernelINS0_14default_configENS1_36segmented_radix_sort_config_selectorI12hip_bfloat16lEEZNS1_25segmented_radix_sort_implIS3_Lb0EPKS5_PS5_PKlPlN2at6native12_GLOBAL__N_18offset_tEEE10hipError_tPvRmT1_PNSt15iterator_traitsISL_E10value_typeET2_T3_PNSM_ISR_E10value_typeET4_jRbjT5_SX_jjP12ihipStream_tbEUlT_E2_NS1_11comp_targetILNS1_3genE10ELNS1_11target_archE1201ELNS1_3gpuE5ELNS1_3repE0EEENS1_30default_config_static_selectorELNS0_4arch9wavefront6targetE0EEEvSL_,comdat
.Lfunc_end2084:
	.size	_ZN7rocprim17ROCPRIM_400000_NS6detail17trampoline_kernelINS0_14default_configENS1_36segmented_radix_sort_config_selectorI12hip_bfloat16lEEZNS1_25segmented_radix_sort_implIS3_Lb0EPKS5_PS5_PKlPlN2at6native12_GLOBAL__N_18offset_tEEE10hipError_tPvRmT1_PNSt15iterator_traitsISL_E10value_typeET2_T3_PNSM_ISR_E10value_typeET4_jRbjT5_SX_jjP12ihipStream_tbEUlT_E2_NS1_11comp_targetILNS1_3genE10ELNS1_11target_archE1201ELNS1_3gpuE5ELNS1_3repE0EEENS1_30default_config_static_selectorELNS0_4arch9wavefront6targetE0EEEvSL_, .Lfunc_end2084-_ZN7rocprim17ROCPRIM_400000_NS6detail17trampoline_kernelINS0_14default_configENS1_36segmented_radix_sort_config_selectorI12hip_bfloat16lEEZNS1_25segmented_radix_sort_implIS3_Lb0EPKS5_PS5_PKlPlN2at6native12_GLOBAL__N_18offset_tEEE10hipError_tPvRmT1_PNSt15iterator_traitsISL_E10value_typeET2_T3_PNSM_ISR_E10value_typeET4_jRbjT5_SX_jjP12ihipStream_tbEUlT_E2_NS1_11comp_targetILNS1_3genE10ELNS1_11target_archE1201ELNS1_3gpuE5ELNS1_3repE0EEENS1_30default_config_static_selectorELNS0_4arch9wavefront6targetE0EEEvSL_
                                        ; -- End function
	.set _ZN7rocprim17ROCPRIM_400000_NS6detail17trampoline_kernelINS0_14default_configENS1_36segmented_radix_sort_config_selectorI12hip_bfloat16lEEZNS1_25segmented_radix_sort_implIS3_Lb0EPKS5_PS5_PKlPlN2at6native12_GLOBAL__N_18offset_tEEE10hipError_tPvRmT1_PNSt15iterator_traitsISL_E10value_typeET2_T3_PNSM_ISR_E10value_typeET4_jRbjT5_SX_jjP12ihipStream_tbEUlT_E2_NS1_11comp_targetILNS1_3genE10ELNS1_11target_archE1201ELNS1_3gpuE5ELNS1_3repE0EEENS1_30default_config_static_selectorELNS0_4arch9wavefront6targetE0EEEvSL_.num_vgpr, max(135, .L_ZN7rocprim17ROCPRIM_400000_NS6detail26segmented_warp_sort_helperINS1_20WarpSortHelperConfigILj8ELj4ELj256EEE12hip_bfloat16lLi256ELb0EvE4sortIPKS5_PS5_PKlPlEEvT_T0_T1_T2_jjjjRNS6_12storage_typeE.num_vgpr, .L_ZN7rocprim17ROCPRIM_400000_NS6detail40segmented_radix_sort_single_block_helperI12hip_bfloat16lLj256ELj8ELb0EE4sortIPKS3_PS3_PKlPlEEbT_T0_T1_T2_jjjjRNS4_12storage_typeE.num_vgpr)
	.set _ZN7rocprim17ROCPRIM_400000_NS6detail17trampoline_kernelINS0_14default_configENS1_36segmented_radix_sort_config_selectorI12hip_bfloat16lEEZNS1_25segmented_radix_sort_implIS3_Lb0EPKS5_PS5_PKlPlN2at6native12_GLOBAL__N_18offset_tEEE10hipError_tPvRmT1_PNSt15iterator_traitsISL_E10value_typeET2_T3_PNSM_ISR_E10value_typeET4_jRbjT5_SX_jjP12ihipStream_tbEUlT_E2_NS1_11comp_targetILNS1_3genE10ELNS1_11target_archE1201ELNS1_3gpuE5ELNS1_3repE0EEENS1_30default_config_static_selectorELNS0_4arch9wavefront6targetE0EEEvSL_.num_agpr, max(0, .L_ZN7rocprim17ROCPRIM_400000_NS6detail26segmented_warp_sort_helperINS1_20WarpSortHelperConfigILj8ELj4ELj256EEE12hip_bfloat16lLi256ELb0EvE4sortIPKS5_PS5_PKlPlEEvT_T0_T1_T2_jjjjRNS6_12storage_typeE.num_agpr, .L_ZN7rocprim17ROCPRIM_400000_NS6detail40segmented_radix_sort_single_block_helperI12hip_bfloat16lLj256ELj8ELb0EE4sortIPKS3_PS3_PKlPlEEbT_T0_T1_T2_jjjjRNS4_12storage_typeE.num_agpr)
	.set _ZN7rocprim17ROCPRIM_400000_NS6detail17trampoline_kernelINS0_14default_configENS1_36segmented_radix_sort_config_selectorI12hip_bfloat16lEEZNS1_25segmented_radix_sort_implIS3_Lb0EPKS5_PS5_PKlPlN2at6native12_GLOBAL__N_18offset_tEEE10hipError_tPvRmT1_PNSt15iterator_traitsISL_E10value_typeET2_T3_PNSM_ISR_E10value_typeET4_jRbjT5_SX_jjP12ihipStream_tbEUlT_E2_NS1_11comp_targetILNS1_3genE10ELNS1_11target_archE1201ELNS1_3gpuE5ELNS1_3repE0EEENS1_30default_config_static_selectorELNS0_4arch9wavefront6targetE0EEEvSL_.numbered_sgpr, max(50, .L_ZN7rocprim17ROCPRIM_400000_NS6detail26segmented_warp_sort_helperINS1_20WarpSortHelperConfigILj8ELj4ELj256EEE12hip_bfloat16lLi256ELb0EvE4sortIPKS5_PS5_PKlPlEEvT_T0_T1_T2_jjjjRNS6_12storage_typeE.numbered_sgpr, .L_ZN7rocprim17ROCPRIM_400000_NS6detail40segmented_radix_sort_single_block_helperI12hip_bfloat16lLj256ELj8ELb0EE4sortIPKS3_PS3_PKlPlEEbT_T0_T1_T2_jjjjRNS4_12storage_typeE.numbered_sgpr)
	.set _ZN7rocprim17ROCPRIM_400000_NS6detail17trampoline_kernelINS0_14default_configENS1_36segmented_radix_sort_config_selectorI12hip_bfloat16lEEZNS1_25segmented_radix_sort_implIS3_Lb0EPKS5_PS5_PKlPlN2at6native12_GLOBAL__N_18offset_tEEE10hipError_tPvRmT1_PNSt15iterator_traitsISL_E10value_typeET2_T3_PNSM_ISR_E10value_typeET4_jRbjT5_SX_jjP12ihipStream_tbEUlT_E2_NS1_11comp_targetILNS1_3genE10ELNS1_11target_archE1201ELNS1_3gpuE5ELNS1_3repE0EEENS1_30default_config_static_selectorELNS0_4arch9wavefront6targetE0EEEvSL_.num_named_barrier, max(0, .L_ZN7rocprim17ROCPRIM_400000_NS6detail26segmented_warp_sort_helperINS1_20WarpSortHelperConfigILj8ELj4ELj256EEE12hip_bfloat16lLi256ELb0EvE4sortIPKS5_PS5_PKlPlEEvT_T0_T1_T2_jjjjRNS6_12storage_typeE.num_named_barrier, .L_ZN7rocprim17ROCPRIM_400000_NS6detail40segmented_radix_sort_single_block_helperI12hip_bfloat16lLj256ELj8ELb0EE4sortIPKS3_PS3_PKlPlEEbT_T0_T1_T2_jjjjRNS4_12storage_typeE.num_named_barrier)
	.set _ZN7rocprim17ROCPRIM_400000_NS6detail17trampoline_kernelINS0_14default_configENS1_36segmented_radix_sort_config_selectorI12hip_bfloat16lEEZNS1_25segmented_radix_sort_implIS3_Lb0EPKS5_PS5_PKlPlN2at6native12_GLOBAL__N_18offset_tEEE10hipError_tPvRmT1_PNSt15iterator_traitsISL_E10value_typeET2_T3_PNSM_ISR_E10value_typeET4_jRbjT5_SX_jjP12ihipStream_tbEUlT_E2_NS1_11comp_targetILNS1_3genE10ELNS1_11target_archE1201ELNS1_3gpuE5ELNS1_3repE0EEENS1_30default_config_static_selectorELNS0_4arch9wavefront6targetE0EEEvSL_.private_seg_size, 0+max(.L_ZN7rocprim17ROCPRIM_400000_NS6detail26segmented_warp_sort_helperINS1_20WarpSortHelperConfigILj8ELj4ELj256EEE12hip_bfloat16lLi256ELb0EvE4sortIPKS5_PS5_PKlPlEEvT_T0_T1_T2_jjjjRNS6_12storage_typeE.private_seg_size, .L_ZN7rocprim17ROCPRIM_400000_NS6detail40segmented_radix_sort_single_block_helperI12hip_bfloat16lLj256ELj8ELb0EE4sortIPKS3_PS3_PKlPlEEbT_T0_T1_T2_jjjjRNS4_12storage_typeE.private_seg_size)
	.set _ZN7rocprim17ROCPRIM_400000_NS6detail17trampoline_kernelINS0_14default_configENS1_36segmented_radix_sort_config_selectorI12hip_bfloat16lEEZNS1_25segmented_radix_sort_implIS3_Lb0EPKS5_PS5_PKlPlN2at6native12_GLOBAL__N_18offset_tEEE10hipError_tPvRmT1_PNSt15iterator_traitsISL_E10value_typeET2_T3_PNSM_ISR_E10value_typeET4_jRbjT5_SX_jjP12ihipStream_tbEUlT_E2_NS1_11comp_targetILNS1_3genE10ELNS1_11target_archE1201ELNS1_3gpuE5ELNS1_3repE0EEENS1_30default_config_static_selectorELNS0_4arch9wavefront6targetE0EEEvSL_.uses_vcc, or(1, .L_ZN7rocprim17ROCPRIM_400000_NS6detail26segmented_warp_sort_helperINS1_20WarpSortHelperConfigILj8ELj4ELj256EEE12hip_bfloat16lLi256ELb0EvE4sortIPKS5_PS5_PKlPlEEvT_T0_T1_T2_jjjjRNS6_12storage_typeE.uses_vcc, .L_ZN7rocprim17ROCPRIM_400000_NS6detail40segmented_radix_sort_single_block_helperI12hip_bfloat16lLj256ELj8ELb0EE4sortIPKS3_PS3_PKlPlEEbT_T0_T1_T2_jjjjRNS4_12storage_typeE.uses_vcc)
	.set _ZN7rocprim17ROCPRIM_400000_NS6detail17trampoline_kernelINS0_14default_configENS1_36segmented_radix_sort_config_selectorI12hip_bfloat16lEEZNS1_25segmented_radix_sort_implIS3_Lb0EPKS5_PS5_PKlPlN2at6native12_GLOBAL__N_18offset_tEEE10hipError_tPvRmT1_PNSt15iterator_traitsISL_E10value_typeET2_T3_PNSM_ISR_E10value_typeET4_jRbjT5_SX_jjP12ihipStream_tbEUlT_E2_NS1_11comp_targetILNS1_3genE10ELNS1_11target_archE1201ELNS1_3gpuE5ELNS1_3repE0EEENS1_30default_config_static_selectorELNS0_4arch9wavefront6targetE0EEEvSL_.uses_flat_scratch, or(0, .L_ZN7rocprim17ROCPRIM_400000_NS6detail26segmented_warp_sort_helperINS1_20WarpSortHelperConfigILj8ELj4ELj256EEE12hip_bfloat16lLi256ELb0EvE4sortIPKS5_PS5_PKlPlEEvT_T0_T1_T2_jjjjRNS6_12storage_typeE.uses_flat_scratch, .L_ZN7rocprim17ROCPRIM_400000_NS6detail40segmented_radix_sort_single_block_helperI12hip_bfloat16lLj256ELj8ELb0EE4sortIPKS3_PS3_PKlPlEEbT_T0_T1_T2_jjjjRNS4_12storage_typeE.uses_flat_scratch)
	.set _ZN7rocprim17ROCPRIM_400000_NS6detail17trampoline_kernelINS0_14default_configENS1_36segmented_radix_sort_config_selectorI12hip_bfloat16lEEZNS1_25segmented_radix_sort_implIS3_Lb0EPKS5_PS5_PKlPlN2at6native12_GLOBAL__N_18offset_tEEE10hipError_tPvRmT1_PNSt15iterator_traitsISL_E10value_typeET2_T3_PNSM_ISR_E10value_typeET4_jRbjT5_SX_jjP12ihipStream_tbEUlT_E2_NS1_11comp_targetILNS1_3genE10ELNS1_11target_archE1201ELNS1_3gpuE5ELNS1_3repE0EEENS1_30default_config_static_selectorELNS0_4arch9wavefront6targetE0EEEvSL_.has_dyn_sized_stack, or(0, .L_ZN7rocprim17ROCPRIM_400000_NS6detail26segmented_warp_sort_helperINS1_20WarpSortHelperConfigILj8ELj4ELj256EEE12hip_bfloat16lLi256ELb0EvE4sortIPKS5_PS5_PKlPlEEvT_T0_T1_T2_jjjjRNS6_12storage_typeE.has_dyn_sized_stack, .L_ZN7rocprim17ROCPRIM_400000_NS6detail40segmented_radix_sort_single_block_helperI12hip_bfloat16lLj256ELj8ELb0EE4sortIPKS3_PS3_PKlPlEEbT_T0_T1_T2_jjjjRNS4_12storage_typeE.has_dyn_sized_stack)
	.set _ZN7rocprim17ROCPRIM_400000_NS6detail17trampoline_kernelINS0_14default_configENS1_36segmented_radix_sort_config_selectorI12hip_bfloat16lEEZNS1_25segmented_radix_sort_implIS3_Lb0EPKS5_PS5_PKlPlN2at6native12_GLOBAL__N_18offset_tEEE10hipError_tPvRmT1_PNSt15iterator_traitsISL_E10value_typeET2_T3_PNSM_ISR_E10value_typeET4_jRbjT5_SX_jjP12ihipStream_tbEUlT_E2_NS1_11comp_targetILNS1_3genE10ELNS1_11target_archE1201ELNS1_3gpuE5ELNS1_3repE0EEENS1_30default_config_static_selectorELNS0_4arch9wavefront6targetE0EEEvSL_.has_recursion, or(0, .L_ZN7rocprim17ROCPRIM_400000_NS6detail26segmented_warp_sort_helperINS1_20WarpSortHelperConfigILj8ELj4ELj256EEE12hip_bfloat16lLi256ELb0EvE4sortIPKS5_PS5_PKlPlEEvT_T0_T1_T2_jjjjRNS6_12storage_typeE.has_recursion, .L_ZN7rocprim17ROCPRIM_400000_NS6detail40segmented_radix_sort_single_block_helperI12hip_bfloat16lLj256ELj8ELb0EE4sortIPKS3_PS3_PKlPlEEbT_T0_T1_T2_jjjjRNS4_12storage_typeE.has_recursion)
	.set _ZN7rocprim17ROCPRIM_400000_NS6detail17trampoline_kernelINS0_14default_configENS1_36segmented_radix_sort_config_selectorI12hip_bfloat16lEEZNS1_25segmented_radix_sort_implIS3_Lb0EPKS5_PS5_PKlPlN2at6native12_GLOBAL__N_18offset_tEEE10hipError_tPvRmT1_PNSt15iterator_traitsISL_E10value_typeET2_T3_PNSM_ISR_E10value_typeET4_jRbjT5_SX_jjP12ihipStream_tbEUlT_E2_NS1_11comp_targetILNS1_3genE10ELNS1_11target_archE1201ELNS1_3gpuE5ELNS1_3repE0EEENS1_30default_config_static_selectorELNS0_4arch9wavefront6targetE0EEEvSL_.has_indirect_call, or(0, .L_ZN7rocprim17ROCPRIM_400000_NS6detail26segmented_warp_sort_helperINS1_20WarpSortHelperConfigILj8ELj4ELj256EEE12hip_bfloat16lLi256ELb0EvE4sortIPKS5_PS5_PKlPlEEvT_T0_T1_T2_jjjjRNS6_12storage_typeE.has_indirect_call, .L_ZN7rocprim17ROCPRIM_400000_NS6detail40segmented_radix_sort_single_block_helperI12hip_bfloat16lLj256ELj8ELb0EE4sortIPKS3_PS3_PKlPlEEbT_T0_T1_T2_jjjjRNS4_12storage_typeE.has_indirect_call)
	.section	.AMDGPU.csdata,"",@progbits
; Kernel info:
; codeLenInByte = 48472
; TotalNumSgprs: 52
; NumVgprs: 198
; ScratchSize: 0
; MemoryBound: 0
; FloatMode: 240
; IeeeMode: 1
; LDSByteSize: 17440 bytes/workgroup (compile time only)
; SGPRBlocks: 0
; VGPRBlocks: 24
; NumSGPRsForWavesPerEU: 52
; NumVGPRsForWavesPerEU: 198
; Occupancy: 7
; WaveLimiterHint : 1
; COMPUTE_PGM_RSRC2:SCRATCH_EN: 0
; COMPUTE_PGM_RSRC2:USER_SGPR: 2
; COMPUTE_PGM_RSRC2:TRAP_HANDLER: 0
; COMPUTE_PGM_RSRC2:TGID_X_EN: 1
; COMPUTE_PGM_RSRC2:TGID_Y_EN: 1
; COMPUTE_PGM_RSRC2:TGID_Z_EN: 0
; COMPUTE_PGM_RSRC2:TIDIG_COMP_CNT: 2
	.section	.text._ZN7rocprim17ROCPRIM_400000_NS6detail17trampoline_kernelINS0_14default_configENS1_36segmented_radix_sort_config_selectorI12hip_bfloat16lEEZNS1_25segmented_radix_sort_implIS3_Lb0EPKS5_PS5_PKlPlN2at6native12_GLOBAL__N_18offset_tEEE10hipError_tPvRmT1_PNSt15iterator_traitsISL_E10value_typeET2_T3_PNSM_ISR_E10value_typeET4_jRbjT5_SX_jjP12ihipStream_tbEUlT_E2_NS1_11comp_targetILNS1_3genE10ELNS1_11target_archE1200ELNS1_3gpuE4ELNS1_3repE0EEENS1_30default_config_static_selectorELNS0_4arch9wavefront6targetE0EEEvSL_,"axG",@progbits,_ZN7rocprim17ROCPRIM_400000_NS6detail17trampoline_kernelINS0_14default_configENS1_36segmented_radix_sort_config_selectorI12hip_bfloat16lEEZNS1_25segmented_radix_sort_implIS3_Lb0EPKS5_PS5_PKlPlN2at6native12_GLOBAL__N_18offset_tEEE10hipError_tPvRmT1_PNSt15iterator_traitsISL_E10value_typeET2_T3_PNSM_ISR_E10value_typeET4_jRbjT5_SX_jjP12ihipStream_tbEUlT_E2_NS1_11comp_targetILNS1_3genE10ELNS1_11target_archE1200ELNS1_3gpuE4ELNS1_3repE0EEENS1_30default_config_static_selectorELNS0_4arch9wavefront6targetE0EEEvSL_,comdat
	.globl	_ZN7rocprim17ROCPRIM_400000_NS6detail17trampoline_kernelINS0_14default_configENS1_36segmented_radix_sort_config_selectorI12hip_bfloat16lEEZNS1_25segmented_radix_sort_implIS3_Lb0EPKS5_PS5_PKlPlN2at6native12_GLOBAL__N_18offset_tEEE10hipError_tPvRmT1_PNSt15iterator_traitsISL_E10value_typeET2_T3_PNSM_ISR_E10value_typeET4_jRbjT5_SX_jjP12ihipStream_tbEUlT_E2_NS1_11comp_targetILNS1_3genE10ELNS1_11target_archE1200ELNS1_3gpuE4ELNS1_3repE0EEENS1_30default_config_static_selectorELNS0_4arch9wavefront6targetE0EEEvSL_ ; -- Begin function _ZN7rocprim17ROCPRIM_400000_NS6detail17trampoline_kernelINS0_14default_configENS1_36segmented_radix_sort_config_selectorI12hip_bfloat16lEEZNS1_25segmented_radix_sort_implIS3_Lb0EPKS5_PS5_PKlPlN2at6native12_GLOBAL__N_18offset_tEEE10hipError_tPvRmT1_PNSt15iterator_traitsISL_E10value_typeET2_T3_PNSM_ISR_E10value_typeET4_jRbjT5_SX_jjP12ihipStream_tbEUlT_E2_NS1_11comp_targetILNS1_3genE10ELNS1_11target_archE1200ELNS1_3gpuE4ELNS1_3repE0EEENS1_30default_config_static_selectorELNS0_4arch9wavefront6targetE0EEEvSL_
	.p2align	8
	.type	_ZN7rocprim17ROCPRIM_400000_NS6detail17trampoline_kernelINS0_14default_configENS1_36segmented_radix_sort_config_selectorI12hip_bfloat16lEEZNS1_25segmented_radix_sort_implIS3_Lb0EPKS5_PS5_PKlPlN2at6native12_GLOBAL__N_18offset_tEEE10hipError_tPvRmT1_PNSt15iterator_traitsISL_E10value_typeET2_T3_PNSM_ISR_E10value_typeET4_jRbjT5_SX_jjP12ihipStream_tbEUlT_E2_NS1_11comp_targetILNS1_3genE10ELNS1_11target_archE1200ELNS1_3gpuE4ELNS1_3repE0EEENS1_30default_config_static_selectorELNS0_4arch9wavefront6targetE0EEEvSL_,@function
_ZN7rocprim17ROCPRIM_400000_NS6detail17trampoline_kernelINS0_14default_configENS1_36segmented_radix_sort_config_selectorI12hip_bfloat16lEEZNS1_25segmented_radix_sort_implIS3_Lb0EPKS5_PS5_PKlPlN2at6native12_GLOBAL__N_18offset_tEEE10hipError_tPvRmT1_PNSt15iterator_traitsISL_E10value_typeET2_T3_PNSM_ISR_E10value_typeET4_jRbjT5_SX_jjP12ihipStream_tbEUlT_E2_NS1_11comp_targetILNS1_3genE10ELNS1_11target_archE1200ELNS1_3gpuE4ELNS1_3repE0EEENS1_30default_config_static_selectorELNS0_4arch9wavefront6targetE0EEEvSL_: ; @_ZN7rocprim17ROCPRIM_400000_NS6detail17trampoline_kernelINS0_14default_configENS1_36segmented_radix_sort_config_selectorI12hip_bfloat16lEEZNS1_25segmented_radix_sort_implIS3_Lb0EPKS5_PS5_PKlPlN2at6native12_GLOBAL__N_18offset_tEEE10hipError_tPvRmT1_PNSt15iterator_traitsISL_E10value_typeET2_T3_PNSM_ISR_E10value_typeET4_jRbjT5_SX_jjP12ihipStream_tbEUlT_E2_NS1_11comp_targetILNS1_3genE10ELNS1_11target_archE1200ELNS1_3gpuE4ELNS1_3repE0EEENS1_30default_config_static_selectorELNS0_4arch9wavefront6targetE0EEEvSL_
; %bb.0:
	.section	.rodata,"a",@progbits
	.p2align	6, 0x0
	.amdhsa_kernel _ZN7rocprim17ROCPRIM_400000_NS6detail17trampoline_kernelINS0_14default_configENS1_36segmented_radix_sort_config_selectorI12hip_bfloat16lEEZNS1_25segmented_radix_sort_implIS3_Lb0EPKS5_PS5_PKlPlN2at6native12_GLOBAL__N_18offset_tEEE10hipError_tPvRmT1_PNSt15iterator_traitsISL_E10value_typeET2_T3_PNSM_ISR_E10value_typeET4_jRbjT5_SX_jjP12ihipStream_tbEUlT_E2_NS1_11comp_targetILNS1_3genE10ELNS1_11target_archE1200ELNS1_3gpuE4ELNS1_3repE0EEENS1_30default_config_static_selectorELNS0_4arch9wavefront6targetE0EEEvSL_
		.amdhsa_group_segment_fixed_size 0
		.amdhsa_private_segment_fixed_size 0
		.amdhsa_kernarg_size 80
		.amdhsa_user_sgpr_count 2
		.amdhsa_user_sgpr_dispatch_ptr 0
		.amdhsa_user_sgpr_queue_ptr 0
		.amdhsa_user_sgpr_kernarg_segment_ptr 1
		.amdhsa_user_sgpr_dispatch_id 0
		.amdhsa_user_sgpr_private_segment_size 0
		.amdhsa_wavefront_size32 1
		.amdhsa_uses_dynamic_stack 0
		.amdhsa_enable_private_segment 0
		.amdhsa_system_sgpr_workgroup_id_x 1
		.amdhsa_system_sgpr_workgroup_id_y 0
		.amdhsa_system_sgpr_workgroup_id_z 0
		.amdhsa_system_sgpr_workgroup_info 0
		.amdhsa_system_vgpr_workitem_id 0
		.amdhsa_next_free_vgpr 1
		.amdhsa_next_free_sgpr 1
		.amdhsa_reserve_vcc 0
		.amdhsa_float_round_mode_32 0
		.amdhsa_float_round_mode_16_64 0
		.amdhsa_float_denorm_mode_32 3
		.amdhsa_float_denorm_mode_16_64 3
		.amdhsa_fp16_overflow 0
		.amdhsa_workgroup_processor_mode 1
		.amdhsa_memory_ordered 1
		.amdhsa_forward_progress 1
		.amdhsa_inst_pref_size 0
		.amdhsa_round_robin_scheduling 0
		.amdhsa_exception_fp_ieee_invalid_op 0
		.amdhsa_exception_fp_denorm_src 0
		.amdhsa_exception_fp_ieee_div_zero 0
		.amdhsa_exception_fp_ieee_overflow 0
		.amdhsa_exception_fp_ieee_underflow 0
		.amdhsa_exception_fp_ieee_inexact 0
		.amdhsa_exception_int_div_zero 0
	.end_amdhsa_kernel
	.section	.text._ZN7rocprim17ROCPRIM_400000_NS6detail17trampoline_kernelINS0_14default_configENS1_36segmented_radix_sort_config_selectorI12hip_bfloat16lEEZNS1_25segmented_radix_sort_implIS3_Lb0EPKS5_PS5_PKlPlN2at6native12_GLOBAL__N_18offset_tEEE10hipError_tPvRmT1_PNSt15iterator_traitsISL_E10value_typeET2_T3_PNSM_ISR_E10value_typeET4_jRbjT5_SX_jjP12ihipStream_tbEUlT_E2_NS1_11comp_targetILNS1_3genE10ELNS1_11target_archE1200ELNS1_3gpuE4ELNS1_3repE0EEENS1_30default_config_static_selectorELNS0_4arch9wavefront6targetE0EEEvSL_,"axG",@progbits,_ZN7rocprim17ROCPRIM_400000_NS6detail17trampoline_kernelINS0_14default_configENS1_36segmented_radix_sort_config_selectorI12hip_bfloat16lEEZNS1_25segmented_radix_sort_implIS3_Lb0EPKS5_PS5_PKlPlN2at6native12_GLOBAL__N_18offset_tEEE10hipError_tPvRmT1_PNSt15iterator_traitsISL_E10value_typeET2_T3_PNSM_ISR_E10value_typeET4_jRbjT5_SX_jjP12ihipStream_tbEUlT_E2_NS1_11comp_targetILNS1_3genE10ELNS1_11target_archE1200ELNS1_3gpuE4ELNS1_3repE0EEENS1_30default_config_static_selectorELNS0_4arch9wavefront6targetE0EEEvSL_,comdat
.Lfunc_end2085:
	.size	_ZN7rocprim17ROCPRIM_400000_NS6detail17trampoline_kernelINS0_14default_configENS1_36segmented_radix_sort_config_selectorI12hip_bfloat16lEEZNS1_25segmented_radix_sort_implIS3_Lb0EPKS5_PS5_PKlPlN2at6native12_GLOBAL__N_18offset_tEEE10hipError_tPvRmT1_PNSt15iterator_traitsISL_E10value_typeET2_T3_PNSM_ISR_E10value_typeET4_jRbjT5_SX_jjP12ihipStream_tbEUlT_E2_NS1_11comp_targetILNS1_3genE10ELNS1_11target_archE1200ELNS1_3gpuE4ELNS1_3repE0EEENS1_30default_config_static_selectorELNS0_4arch9wavefront6targetE0EEEvSL_, .Lfunc_end2085-_ZN7rocprim17ROCPRIM_400000_NS6detail17trampoline_kernelINS0_14default_configENS1_36segmented_radix_sort_config_selectorI12hip_bfloat16lEEZNS1_25segmented_radix_sort_implIS3_Lb0EPKS5_PS5_PKlPlN2at6native12_GLOBAL__N_18offset_tEEE10hipError_tPvRmT1_PNSt15iterator_traitsISL_E10value_typeET2_T3_PNSM_ISR_E10value_typeET4_jRbjT5_SX_jjP12ihipStream_tbEUlT_E2_NS1_11comp_targetILNS1_3genE10ELNS1_11target_archE1200ELNS1_3gpuE4ELNS1_3repE0EEENS1_30default_config_static_selectorELNS0_4arch9wavefront6targetE0EEEvSL_
                                        ; -- End function
	.set _ZN7rocprim17ROCPRIM_400000_NS6detail17trampoline_kernelINS0_14default_configENS1_36segmented_radix_sort_config_selectorI12hip_bfloat16lEEZNS1_25segmented_radix_sort_implIS3_Lb0EPKS5_PS5_PKlPlN2at6native12_GLOBAL__N_18offset_tEEE10hipError_tPvRmT1_PNSt15iterator_traitsISL_E10value_typeET2_T3_PNSM_ISR_E10value_typeET4_jRbjT5_SX_jjP12ihipStream_tbEUlT_E2_NS1_11comp_targetILNS1_3genE10ELNS1_11target_archE1200ELNS1_3gpuE4ELNS1_3repE0EEENS1_30default_config_static_selectorELNS0_4arch9wavefront6targetE0EEEvSL_.num_vgpr, 0
	.set _ZN7rocprim17ROCPRIM_400000_NS6detail17trampoline_kernelINS0_14default_configENS1_36segmented_radix_sort_config_selectorI12hip_bfloat16lEEZNS1_25segmented_radix_sort_implIS3_Lb0EPKS5_PS5_PKlPlN2at6native12_GLOBAL__N_18offset_tEEE10hipError_tPvRmT1_PNSt15iterator_traitsISL_E10value_typeET2_T3_PNSM_ISR_E10value_typeET4_jRbjT5_SX_jjP12ihipStream_tbEUlT_E2_NS1_11comp_targetILNS1_3genE10ELNS1_11target_archE1200ELNS1_3gpuE4ELNS1_3repE0EEENS1_30default_config_static_selectorELNS0_4arch9wavefront6targetE0EEEvSL_.num_agpr, 0
	.set _ZN7rocprim17ROCPRIM_400000_NS6detail17trampoline_kernelINS0_14default_configENS1_36segmented_radix_sort_config_selectorI12hip_bfloat16lEEZNS1_25segmented_radix_sort_implIS3_Lb0EPKS5_PS5_PKlPlN2at6native12_GLOBAL__N_18offset_tEEE10hipError_tPvRmT1_PNSt15iterator_traitsISL_E10value_typeET2_T3_PNSM_ISR_E10value_typeET4_jRbjT5_SX_jjP12ihipStream_tbEUlT_E2_NS1_11comp_targetILNS1_3genE10ELNS1_11target_archE1200ELNS1_3gpuE4ELNS1_3repE0EEENS1_30default_config_static_selectorELNS0_4arch9wavefront6targetE0EEEvSL_.numbered_sgpr, 0
	.set _ZN7rocprim17ROCPRIM_400000_NS6detail17trampoline_kernelINS0_14default_configENS1_36segmented_radix_sort_config_selectorI12hip_bfloat16lEEZNS1_25segmented_radix_sort_implIS3_Lb0EPKS5_PS5_PKlPlN2at6native12_GLOBAL__N_18offset_tEEE10hipError_tPvRmT1_PNSt15iterator_traitsISL_E10value_typeET2_T3_PNSM_ISR_E10value_typeET4_jRbjT5_SX_jjP12ihipStream_tbEUlT_E2_NS1_11comp_targetILNS1_3genE10ELNS1_11target_archE1200ELNS1_3gpuE4ELNS1_3repE0EEENS1_30default_config_static_selectorELNS0_4arch9wavefront6targetE0EEEvSL_.num_named_barrier, 0
	.set _ZN7rocprim17ROCPRIM_400000_NS6detail17trampoline_kernelINS0_14default_configENS1_36segmented_radix_sort_config_selectorI12hip_bfloat16lEEZNS1_25segmented_radix_sort_implIS3_Lb0EPKS5_PS5_PKlPlN2at6native12_GLOBAL__N_18offset_tEEE10hipError_tPvRmT1_PNSt15iterator_traitsISL_E10value_typeET2_T3_PNSM_ISR_E10value_typeET4_jRbjT5_SX_jjP12ihipStream_tbEUlT_E2_NS1_11comp_targetILNS1_3genE10ELNS1_11target_archE1200ELNS1_3gpuE4ELNS1_3repE0EEENS1_30default_config_static_selectorELNS0_4arch9wavefront6targetE0EEEvSL_.private_seg_size, 0
	.set _ZN7rocprim17ROCPRIM_400000_NS6detail17trampoline_kernelINS0_14default_configENS1_36segmented_radix_sort_config_selectorI12hip_bfloat16lEEZNS1_25segmented_radix_sort_implIS3_Lb0EPKS5_PS5_PKlPlN2at6native12_GLOBAL__N_18offset_tEEE10hipError_tPvRmT1_PNSt15iterator_traitsISL_E10value_typeET2_T3_PNSM_ISR_E10value_typeET4_jRbjT5_SX_jjP12ihipStream_tbEUlT_E2_NS1_11comp_targetILNS1_3genE10ELNS1_11target_archE1200ELNS1_3gpuE4ELNS1_3repE0EEENS1_30default_config_static_selectorELNS0_4arch9wavefront6targetE0EEEvSL_.uses_vcc, 0
	.set _ZN7rocprim17ROCPRIM_400000_NS6detail17trampoline_kernelINS0_14default_configENS1_36segmented_radix_sort_config_selectorI12hip_bfloat16lEEZNS1_25segmented_radix_sort_implIS3_Lb0EPKS5_PS5_PKlPlN2at6native12_GLOBAL__N_18offset_tEEE10hipError_tPvRmT1_PNSt15iterator_traitsISL_E10value_typeET2_T3_PNSM_ISR_E10value_typeET4_jRbjT5_SX_jjP12ihipStream_tbEUlT_E2_NS1_11comp_targetILNS1_3genE10ELNS1_11target_archE1200ELNS1_3gpuE4ELNS1_3repE0EEENS1_30default_config_static_selectorELNS0_4arch9wavefront6targetE0EEEvSL_.uses_flat_scratch, 0
	.set _ZN7rocprim17ROCPRIM_400000_NS6detail17trampoline_kernelINS0_14default_configENS1_36segmented_radix_sort_config_selectorI12hip_bfloat16lEEZNS1_25segmented_radix_sort_implIS3_Lb0EPKS5_PS5_PKlPlN2at6native12_GLOBAL__N_18offset_tEEE10hipError_tPvRmT1_PNSt15iterator_traitsISL_E10value_typeET2_T3_PNSM_ISR_E10value_typeET4_jRbjT5_SX_jjP12ihipStream_tbEUlT_E2_NS1_11comp_targetILNS1_3genE10ELNS1_11target_archE1200ELNS1_3gpuE4ELNS1_3repE0EEENS1_30default_config_static_selectorELNS0_4arch9wavefront6targetE0EEEvSL_.has_dyn_sized_stack, 0
	.set _ZN7rocprim17ROCPRIM_400000_NS6detail17trampoline_kernelINS0_14default_configENS1_36segmented_radix_sort_config_selectorI12hip_bfloat16lEEZNS1_25segmented_radix_sort_implIS3_Lb0EPKS5_PS5_PKlPlN2at6native12_GLOBAL__N_18offset_tEEE10hipError_tPvRmT1_PNSt15iterator_traitsISL_E10value_typeET2_T3_PNSM_ISR_E10value_typeET4_jRbjT5_SX_jjP12ihipStream_tbEUlT_E2_NS1_11comp_targetILNS1_3genE10ELNS1_11target_archE1200ELNS1_3gpuE4ELNS1_3repE0EEENS1_30default_config_static_selectorELNS0_4arch9wavefront6targetE0EEEvSL_.has_recursion, 0
	.set _ZN7rocprim17ROCPRIM_400000_NS6detail17trampoline_kernelINS0_14default_configENS1_36segmented_radix_sort_config_selectorI12hip_bfloat16lEEZNS1_25segmented_radix_sort_implIS3_Lb0EPKS5_PS5_PKlPlN2at6native12_GLOBAL__N_18offset_tEEE10hipError_tPvRmT1_PNSt15iterator_traitsISL_E10value_typeET2_T3_PNSM_ISR_E10value_typeET4_jRbjT5_SX_jjP12ihipStream_tbEUlT_E2_NS1_11comp_targetILNS1_3genE10ELNS1_11target_archE1200ELNS1_3gpuE4ELNS1_3repE0EEENS1_30default_config_static_selectorELNS0_4arch9wavefront6targetE0EEEvSL_.has_indirect_call, 0
	.section	.AMDGPU.csdata,"",@progbits
; Kernel info:
; codeLenInByte = 0
; TotalNumSgprs: 0
; NumVgprs: 0
; ScratchSize: 0
; MemoryBound: 0
; FloatMode: 240
; IeeeMode: 1
; LDSByteSize: 0 bytes/workgroup (compile time only)
; SGPRBlocks: 0
; VGPRBlocks: 0
; NumSGPRsForWavesPerEU: 1
; NumVGPRsForWavesPerEU: 1
; Occupancy: 16
; WaveLimiterHint : 0
; COMPUTE_PGM_RSRC2:SCRATCH_EN: 0
; COMPUTE_PGM_RSRC2:USER_SGPR: 2
; COMPUTE_PGM_RSRC2:TRAP_HANDLER: 0
; COMPUTE_PGM_RSRC2:TGID_X_EN: 1
; COMPUTE_PGM_RSRC2:TGID_Y_EN: 0
; COMPUTE_PGM_RSRC2:TGID_Z_EN: 0
; COMPUTE_PGM_RSRC2:TIDIG_COMP_CNT: 0
	.section	.text._ZN7rocprim17ROCPRIM_400000_NS6detail17trampoline_kernelINS0_14default_configENS1_36segmented_radix_sort_config_selectorI12hip_bfloat16lEEZNS1_25segmented_radix_sort_implIS3_Lb0EPKS5_PS5_PKlPlN2at6native12_GLOBAL__N_18offset_tEEE10hipError_tPvRmT1_PNSt15iterator_traitsISL_E10value_typeET2_T3_PNSM_ISR_E10value_typeET4_jRbjT5_SX_jjP12ihipStream_tbEUlT_E2_NS1_11comp_targetILNS1_3genE9ELNS1_11target_archE1100ELNS1_3gpuE3ELNS1_3repE0EEENS1_30default_config_static_selectorELNS0_4arch9wavefront6targetE0EEEvSL_,"axG",@progbits,_ZN7rocprim17ROCPRIM_400000_NS6detail17trampoline_kernelINS0_14default_configENS1_36segmented_radix_sort_config_selectorI12hip_bfloat16lEEZNS1_25segmented_radix_sort_implIS3_Lb0EPKS5_PS5_PKlPlN2at6native12_GLOBAL__N_18offset_tEEE10hipError_tPvRmT1_PNSt15iterator_traitsISL_E10value_typeET2_T3_PNSM_ISR_E10value_typeET4_jRbjT5_SX_jjP12ihipStream_tbEUlT_E2_NS1_11comp_targetILNS1_3genE9ELNS1_11target_archE1100ELNS1_3gpuE3ELNS1_3repE0EEENS1_30default_config_static_selectorELNS0_4arch9wavefront6targetE0EEEvSL_,comdat
	.globl	_ZN7rocprim17ROCPRIM_400000_NS6detail17trampoline_kernelINS0_14default_configENS1_36segmented_radix_sort_config_selectorI12hip_bfloat16lEEZNS1_25segmented_radix_sort_implIS3_Lb0EPKS5_PS5_PKlPlN2at6native12_GLOBAL__N_18offset_tEEE10hipError_tPvRmT1_PNSt15iterator_traitsISL_E10value_typeET2_T3_PNSM_ISR_E10value_typeET4_jRbjT5_SX_jjP12ihipStream_tbEUlT_E2_NS1_11comp_targetILNS1_3genE9ELNS1_11target_archE1100ELNS1_3gpuE3ELNS1_3repE0EEENS1_30default_config_static_selectorELNS0_4arch9wavefront6targetE0EEEvSL_ ; -- Begin function _ZN7rocprim17ROCPRIM_400000_NS6detail17trampoline_kernelINS0_14default_configENS1_36segmented_radix_sort_config_selectorI12hip_bfloat16lEEZNS1_25segmented_radix_sort_implIS3_Lb0EPKS5_PS5_PKlPlN2at6native12_GLOBAL__N_18offset_tEEE10hipError_tPvRmT1_PNSt15iterator_traitsISL_E10value_typeET2_T3_PNSM_ISR_E10value_typeET4_jRbjT5_SX_jjP12ihipStream_tbEUlT_E2_NS1_11comp_targetILNS1_3genE9ELNS1_11target_archE1100ELNS1_3gpuE3ELNS1_3repE0EEENS1_30default_config_static_selectorELNS0_4arch9wavefront6targetE0EEEvSL_
	.p2align	8
	.type	_ZN7rocprim17ROCPRIM_400000_NS6detail17trampoline_kernelINS0_14default_configENS1_36segmented_radix_sort_config_selectorI12hip_bfloat16lEEZNS1_25segmented_radix_sort_implIS3_Lb0EPKS5_PS5_PKlPlN2at6native12_GLOBAL__N_18offset_tEEE10hipError_tPvRmT1_PNSt15iterator_traitsISL_E10value_typeET2_T3_PNSM_ISR_E10value_typeET4_jRbjT5_SX_jjP12ihipStream_tbEUlT_E2_NS1_11comp_targetILNS1_3genE9ELNS1_11target_archE1100ELNS1_3gpuE3ELNS1_3repE0EEENS1_30default_config_static_selectorELNS0_4arch9wavefront6targetE0EEEvSL_,@function
_ZN7rocprim17ROCPRIM_400000_NS6detail17trampoline_kernelINS0_14default_configENS1_36segmented_radix_sort_config_selectorI12hip_bfloat16lEEZNS1_25segmented_radix_sort_implIS3_Lb0EPKS5_PS5_PKlPlN2at6native12_GLOBAL__N_18offset_tEEE10hipError_tPvRmT1_PNSt15iterator_traitsISL_E10value_typeET2_T3_PNSM_ISR_E10value_typeET4_jRbjT5_SX_jjP12ihipStream_tbEUlT_E2_NS1_11comp_targetILNS1_3genE9ELNS1_11target_archE1100ELNS1_3gpuE3ELNS1_3repE0EEENS1_30default_config_static_selectorELNS0_4arch9wavefront6targetE0EEEvSL_: ; @_ZN7rocprim17ROCPRIM_400000_NS6detail17trampoline_kernelINS0_14default_configENS1_36segmented_radix_sort_config_selectorI12hip_bfloat16lEEZNS1_25segmented_radix_sort_implIS3_Lb0EPKS5_PS5_PKlPlN2at6native12_GLOBAL__N_18offset_tEEE10hipError_tPvRmT1_PNSt15iterator_traitsISL_E10value_typeET2_T3_PNSM_ISR_E10value_typeET4_jRbjT5_SX_jjP12ihipStream_tbEUlT_E2_NS1_11comp_targetILNS1_3genE9ELNS1_11target_archE1100ELNS1_3gpuE3ELNS1_3repE0EEENS1_30default_config_static_selectorELNS0_4arch9wavefront6targetE0EEEvSL_
; %bb.0:
	.section	.rodata,"a",@progbits
	.p2align	6, 0x0
	.amdhsa_kernel _ZN7rocprim17ROCPRIM_400000_NS6detail17trampoline_kernelINS0_14default_configENS1_36segmented_radix_sort_config_selectorI12hip_bfloat16lEEZNS1_25segmented_radix_sort_implIS3_Lb0EPKS5_PS5_PKlPlN2at6native12_GLOBAL__N_18offset_tEEE10hipError_tPvRmT1_PNSt15iterator_traitsISL_E10value_typeET2_T3_PNSM_ISR_E10value_typeET4_jRbjT5_SX_jjP12ihipStream_tbEUlT_E2_NS1_11comp_targetILNS1_3genE9ELNS1_11target_archE1100ELNS1_3gpuE3ELNS1_3repE0EEENS1_30default_config_static_selectorELNS0_4arch9wavefront6targetE0EEEvSL_
		.amdhsa_group_segment_fixed_size 0
		.amdhsa_private_segment_fixed_size 0
		.amdhsa_kernarg_size 80
		.amdhsa_user_sgpr_count 2
		.amdhsa_user_sgpr_dispatch_ptr 0
		.amdhsa_user_sgpr_queue_ptr 0
		.amdhsa_user_sgpr_kernarg_segment_ptr 1
		.amdhsa_user_sgpr_dispatch_id 0
		.amdhsa_user_sgpr_private_segment_size 0
		.amdhsa_wavefront_size32 1
		.amdhsa_uses_dynamic_stack 0
		.amdhsa_enable_private_segment 0
		.amdhsa_system_sgpr_workgroup_id_x 1
		.amdhsa_system_sgpr_workgroup_id_y 0
		.amdhsa_system_sgpr_workgroup_id_z 0
		.amdhsa_system_sgpr_workgroup_info 0
		.amdhsa_system_vgpr_workitem_id 0
		.amdhsa_next_free_vgpr 1
		.amdhsa_next_free_sgpr 1
		.amdhsa_reserve_vcc 0
		.amdhsa_float_round_mode_32 0
		.amdhsa_float_round_mode_16_64 0
		.amdhsa_float_denorm_mode_32 3
		.amdhsa_float_denorm_mode_16_64 3
		.amdhsa_fp16_overflow 0
		.amdhsa_workgroup_processor_mode 1
		.amdhsa_memory_ordered 1
		.amdhsa_forward_progress 1
		.amdhsa_inst_pref_size 0
		.amdhsa_round_robin_scheduling 0
		.amdhsa_exception_fp_ieee_invalid_op 0
		.amdhsa_exception_fp_denorm_src 0
		.amdhsa_exception_fp_ieee_div_zero 0
		.amdhsa_exception_fp_ieee_overflow 0
		.amdhsa_exception_fp_ieee_underflow 0
		.amdhsa_exception_fp_ieee_inexact 0
		.amdhsa_exception_int_div_zero 0
	.end_amdhsa_kernel
	.section	.text._ZN7rocprim17ROCPRIM_400000_NS6detail17trampoline_kernelINS0_14default_configENS1_36segmented_radix_sort_config_selectorI12hip_bfloat16lEEZNS1_25segmented_radix_sort_implIS3_Lb0EPKS5_PS5_PKlPlN2at6native12_GLOBAL__N_18offset_tEEE10hipError_tPvRmT1_PNSt15iterator_traitsISL_E10value_typeET2_T3_PNSM_ISR_E10value_typeET4_jRbjT5_SX_jjP12ihipStream_tbEUlT_E2_NS1_11comp_targetILNS1_3genE9ELNS1_11target_archE1100ELNS1_3gpuE3ELNS1_3repE0EEENS1_30default_config_static_selectorELNS0_4arch9wavefront6targetE0EEEvSL_,"axG",@progbits,_ZN7rocprim17ROCPRIM_400000_NS6detail17trampoline_kernelINS0_14default_configENS1_36segmented_radix_sort_config_selectorI12hip_bfloat16lEEZNS1_25segmented_radix_sort_implIS3_Lb0EPKS5_PS5_PKlPlN2at6native12_GLOBAL__N_18offset_tEEE10hipError_tPvRmT1_PNSt15iterator_traitsISL_E10value_typeET2_T3_PNSM_ISR_E10value_typeET4_jRbjT5_SX_jjP12ihipStream_tbEUlT_E2_NS1_11comp_targetILNS1_3genE9ELNS1_11target_archE1100ELNS1_3gpuE3ELNS1_3repE0EEENS1_30default_config_static_selectorELNS0_4arch9wavefront6targetE0EEEvSL_,comdat
.Lfunc_end2086:
	.size	_ZN7rocprim17ROCPRIM_400000_NS6detail17trampoline_kernelINS0_14default_configENS1_36segmented_radix_sort_config_selectorI12hip_bfloat16lEEZNS1_25segmented_radix_sort_implIS3_Lb0EPKS5_PS5_PKlPlN2at6native12_GLOBAL__N_18offset_tEEE10hipError_tPvRmT1_PNSt15iterator_traitsISL_E10value_typeET2_T3_PNSM_ISR_E10value_typeET4_jRbjT5_SX_jjP12ihipStream_tbEUlT_E2_NS1_11comp_targetILNS1_3genE9ELNS1_11target_archE1100ELNS1_3gpuE3ELNS1_3repE0EEENS1_30default_config_static_selectorELNS0_4arch9wavefront6targetE0EEEvSL_, .Lfunc_end2086-_ZN7rocprim17ROCPRIM_400000_NS6detail17trampoline_kernelINS0_14default_configENS1_36segmented_radix_sort_config_selectorI12hip_bfloat16lEEZNS1_25segmented_radix_sort_implIS3_Lb0EPKS5_PS5_PKlPlN2at6native12_GLOBAL__N_18offset_tEEE10hipError_tPvRmT1_PNSt15iterator_traitsISL_E10value_typeET2_T3_PNSM_ISR_E10value_typeET4_jRbjT5_SX_jjP12ihipStream_tbEUlT_E2_NS1_11comp_targetILNS1_3genE9ELNS1_11target_archE1100ELNS1_3gpuE3ELNS1_3repE0EEENS1_30default_config_static_selectorELNS0_4arch9wavefront6targetE0EEEvSL_
                                        ; -- End function
	.set _ZN7rocprim17ROCPRIM_400000_NS6detail17trampoline_kernelINS0_14default_configENS1_36segmented_radix_sort_config_selectorI12hip_bfloat16lEEZNS1_25segmented_radix_sort_implIS3_Lb0EPKS5_PS5_PKlPlN2at6native12_GLOBAL__N_18offset_tEEE10hipError_tPvRmT1_PNSt15iterator_traitsISL_E10value_typeET2_T3_PNSM_ISR_E10value_typeET4_jRbjT5_SX_jjP12ihipStream_tbEUlT_E2_NS1_11comp_targetILNS1_3genE9ELNS1_11target_archE1100ELNS1_3gpuE3ELNS1_3repE0EEENS1_30default_config_static_selectorELNS0_4arch9wavefront6targetE0EEEvSL_.num_vgpr, 0
	.set _ZN7rocprim17ROCPRIM_400000_NS6detail17trampoline_kernelINS0_14default_configENS1_36segmented_radix_sort_config_selectorI12hip_bfloat16lEEZNS1_25segmented_radix_sort_implIS3_Lb0EPKS5_PS5_PKlPlN2at6native12_GLOBAL__N_18offset_tEEE10hipError_tPvRmT1_PNSt15iterator_traitsISL_E10value_typeET2_T3_PNSM_ISR_E10value_typeET4_jRbjT5_SX_jjP12ihipStream_tbEUlT_E2_NS1_11comp_targetILNS1_3genE9ELNS1_11target_archE1100ELNS1_3gpuE3ELNS1_3repE0EEENS1_30default_config_static_selectorELNS0_4arch9wavefront6targetE0EEEvSL_.num_agpr, 0
	.set _ZN7rocprim17ROCPRIM_400000_NS6detail17trampoline_kernelINS0_14default_configENS1_36segmented_radix_sort_config_selectorI12hip_bfloat16lEEZNS1_25segmented_radix_sort_implIS3_Lb0EPKS5_PS5_PKlPlN2at6native12_GLOBAL__N_18offset_tEEE10hipError_tPvRmT1_PNSt15iterator_traitsISL_E10value_typeET2_T3_PNSM_ISR_E10value_typeET4_jRbjT5_SX_jjP12ihipStream_tbEUlT_E2_NS1_11comp_targetILNS1_3genE9ELNS1_11target_archE1100ELNS1_3gpuE3ELNS1_3repE0EEENS1_30default_config_static_selectorELNS0_4arch9wavefront6targetE0EEEvSL_.numbered_sgpr, 0
	.set _ZN7rocprim17ROCPRIM_400000_NS6detail17trampoline_kernelINS0_14default_configENS1_36segmented_radix_sort_config_selectorI12hip_bfloat16lEEZNS1_25segmented_radix_sort_implIS3_Lb0EPKS5_PS5_PKlPlN2at6native12_GLOBAL__N_18offset_tEEE10hipError_tPvRmT1_PNSt15iterator_traitsISL_E10value_typeET2_T3_PNSM_ISR_E10value_typeET4_jRbjT5_SX_jjP12ihipStream_tbEUlT_E2_NS1_11comp_targetILNS1_3genE9ELNS1_11target_archE1100ELNS1_3gpuE3ELNS1_3repE0EEENS1_30default_config_static_selectorELNS0_4arch9wavefront6targetE0EEEvSL_.num_named_barrier, 0
	.set _ZN7rocprim17ROCPRIM_400000_NS6detail17trampoline_kernelINS0_14default_configENS1_36segmented_radix_sort_config_selectorI12hip_bfloat16lEEZNS1_25segmented_radix_sort_implIS3_Lb0EPKS5_PS5_PKlPlN2at6native12_GLOBAL__N_18offset_tEEE10hipError_tPvRmT1_PNSt15iterator_traitsISL_E10value_typeET2_T3_PNSM_ISR_E10value_typeET4_jRbjT5_SX_jjP12ihipStream_tbEUlT_E2_NS1_11comp_targetILNS1_3genE9ELNS1_11target_archE1100ELNS1_3gpuE3ELNS1_3repE0EEENS1_30default_config_static_selectorELNS0_4arch9wavefront6targetE0EEEvSL_.private_seg_size, 0
	.set _ZN7rocprim17ROCPRIM_400000_NS6detail17trampoline_kernelINS0_14default_configENS1_36segmented_radix_sort_config_selectorI12hip_bfloat16lEEZNS1_25segmented_radix_sort_implIS3_Lb0EPKS5_PS5_PKlPlN2at6native12_GLOBAL__N_18offset_tEEE10hipError_tPvRmT1_PNSt15iterator_traitsISL_E10value_typeET2_T3_PNSM_ISR_E10value_typeET4_jRbjT5_SX_jjP12ihipStream_tbEUlT_E2_NS1_11comp_targetILNS1_3genE9ELNS1_11target_archE1100ELNS1_3gpuE3ELNS1_3repE0EEENS1_30default_config_static_selectorELNS0_4arch9wavefront6targetE0EEEvSL_.uses_vcc, 0
	.set _ZN7rocprim17ROCPRIM_400000_NS6detail17trampoline_kernelINS0_14default_configENS1_36segmented_radix_sort_config_selectorI12hip_bfloat16lEEZNS1_25segmented_radix_sort_implIS3_Lb0EPKS5_PS5_PKlPlN2at6native12_GLOBAL__N_18offset_tEEE10hipError_tPvRmT1_PNSt15iterator_traitsISL_E10value_typeET2_T3_PNSM_ISR_E10value_typeET4_jRbjT5_SX_jjP12ihipStream_tbEUlT_E2_NS1_11comp_targetILNS1_3genE9ELNS1_11target_archE1100ELNS1_3gpuE3ELNS1_3repE0EEENS1_30default_config_static_selectorELNS0_4arch9wavefront6targetE0EEEvSL_.uses_flat_scratch, 0
	.set _ZN7rocprim17ROCPRIM_400000_NS6detail17trampoline_kernelINS0_14default_configENS1_36segmented_radix_sort_config_selectorI12hip_bfloat16lEEZNS1_25segmented_radix_sort_implIS3_Lb0EPKS5_PS5_PKlPlN2at6native12_GLOBAL__N_18offset_tEEE10hipError_tPvRmT1_PNSt15iterator_traitsISL_E10value_typeET2_T3_PNSM_ISR_E10value_typeET4_jRbjT5_SX_jjP12ihipStream_tbEUlT_E2_NS1_11comp_targetILNS1_3genE9ELNS1_11target_archE1100ELNS1_3gpuE3ELNS1_3repE0EEENS1_30default_config_static_selectorELNS0_4arch9wavefront6targetE0EEEvSL_.has_dyn_sized_stack, 0
	.set _ZN7rocprim17ROCPRIM_400000_NS6detail17trampoline_kernelINS0_14default_configENS1_36segmented_radix_sort_config_selectorI12hip_bfloat16lEEZNS1_25segmented_radix_sort_implIS3_Lb0EPKS5_PS5_PKlPlN2at6native12_GLOBAL__N_18offset_tEEE10hipError_tPvRmT1_PNSt15iterator_traitsISL_E10value_typeET2_T3_PNSM_ISR_E10value_typeET4_jRbjT5_SX_jjP12ihipStream_tbEUlT_E2_NS1_11comp_targetILNS1_3genE9ELNS1_11target_archE1100ELNS1_3gpuE3ELNS1_3repE0EEENS1_30default_config_static_selectorELNS0_4arch9wavefront6targetE0EEEvSL_.has_recursion, 0
	.set _ZN7rocprim17ROCPRIM_400000_NS6detail17trampoline_kernelINS0_14default_configENS1_36segmented_radix_sort_config_selectorI12hip_bfloat16lEEZNS1_25segmented_radix_sort_implIS3_Lb0EPKS5_PS5_PKlPlN2at6native12_GLOBAL__N_18offset_tEEE10hipError_tPvRmT1_PNSt15iterator_traitsISL_E10value_typeET2_T3_PNSM_ISR_E10value_typeET4_jRbjT5_SX_jjP12ihipStream_tbEUlT_E2_NS1_11comp_targetILNS1_3genE9ELNS1_11target_archE1100ELNS1_3gpuE3ELNS1_3repE0EEENS1_30default_config_static_selectorELNS0_4arch9wavefront6targetE0EEEvSL_.has_indirect_call, 0
	.section	.AMDGPU.csdata,"",@progbits
; Kernel info:
; codeLenInByte = 0
; TotalNumSgprs: 0
; NumVgprs: 0
; ScratchSize: 0
; MemoryBound: 0
; FloatMode: 240
; IeeeMode: 1
; LDSByteSize: 0 bytes/workgroup (compile time only)
; SGPRBlocks: 0
; VGPRBlocks: 0
; NumSGPRsForWavesPerEU: 1
; NumVGPRsForWavesPerEU: 1
; Occupancy: 16
; WaveLimiterHint : 0
; COMPUTE_PGM_RSRC2:SCRATCH_EN: 0
; COMPUTE_PGM_RSRC2:USER_SGPR: 2
; COMPUTE_PGM_RSRC2:TRAP_HANDLER: 0
; COMPUTE_PGM_RSRC2:TGID_X_EN: 1
; COMPUTE_PGM_RSRC2:TGID_Y_EN: 0
; COMPUTE_PGM_RSRC2:TGID_Z_EN: 0
; COMPUTE_PGM_RSRC2:TIDIG_COMP_CNT: 0
	.section	.text._ZN7rocprim17ROCPRIM_400000_NS6detail17trampoline_kernelINS0_14default_configENS1_36segmented_radix_sort_config_selectorI12hip_bfloat16lEEZNS1_25segmented_radix_sort_implIS3_Lb0EPKS5_PS5_PKlPlN2at6native12_GLOBAL__N_18offset_tEEE10hipError_tPvRmT1_PNSt15iterator_traitsISL_E10value_typeET2_T3_PNSM_ISR_E10value_typeET4_jRbjT5_SX_jjP12ihipStream_tbEUlT_E2_NS1_11comp_targetILNS1_3genE8ELNS1_11target_archE1030ELNS1_3gpuE2ELNS1_3repE0EEENS1_30default_config_static_selectorELNS0_4arch9wavefront6targetE0EEEvSL_,"axG",@progbits,_ZN7rocprim17ROCPRIM_400000_NS6detail17trampoline_kernelINS0_14default_configENS1_36segmented_radix_sort_config_selectorI12hip_bfloat16lEEZNS1_25segmented_radix_sort_implIS3_Lb0EPKS5_PS5_PKlPlN2at6native12_GLOBAL__N_18offset_tEEE10hipError_tPvRmT1_PNSt15iterator_traitsISL_E10value_typeET2_T3_PNSM_ISR_E10value_typeET4_jRbjT5_SX_jjP12ihipStream_tbEUlT_E2_NS1_11comp_targetILNS1_3genE8ELNS1_11target_archE1030ELNS1_3gpuE2ELNS1_3repE0EEENS1_30default_config_static_selectorELNS0_4arch9wavefront6targetE0EEEvSL_,comdat
	.globl	_ZN7rocprim17ROCPRIM_400000_NS6detail17trampoline_kernelINS0_14default_configENS1_36segmented_radix_sort_config_selectorI12hip_bfloat16lEEZNS1_25segmented_radix_sort_implIS3_Lb0EPKS5_PS5_PKlPlN2at6native12_GLOBAL__N_18offset_tEEE10hipError_tPvRmT1_PNSt15iterator_traitsISL_E10value_typeET2_T3_PNSM_ISR_E10value_typeET4_jRbjT5_SX_jjP12ihipStream_tbEUlT_E2_NS1_11comp_targetILNS1_3genE8ELNS1_11target_archE1030ELNS1_3gpuE2ELNS1_3repE0EEENS1_30default_config_static_selectorELNS0_4arch9wavefront6targetE0EEEvSL_ ; -- Begin function _ZN7rocprim17ROCPRIM_400000_NS6detail17trampoline_kernelINS0_14default_configENS1_36segmented_radix_sort_config_selectorI12hip_bfloat16lEEZNS1_25segmented_radix_sort_implIS3_Lb0EPKS5_PS5_PKlPlN2at6native12_GLOBAL__N_18offset_tEEE10hipError_tPvRmT1_PNSt15iterator_traitsISL_E10value_typeET2_T3_PNSM_ISR_E10value_typeET4_jRbjT5_SX_jjP12ihipStream_tbEUlT_E2_NS1_11comp_targetILNS1_3genE8ELNS1_11target_archE1030ELNS1_3gpuE2ELNS1_3repE0EEENS1_30default_config_static_selectorELNS0_4arch9wavefront6targetE0EEEvSL_
	.p2align	8
	.type	_ZN7rocprim17ROCPRIM_400000_NS6detail17trampoline_kernelINS0_14default_configENS1_36segmented_radix_sort_config_selectorI12hip_bfloat16lEEZNS1_25segmented_radix_sort_implIS3_Lb0EPKS5_PS5_PKlPlN2at6native12_GLOBAL__N_18offset_tEEE10hipError_tPvRmT1_PNSt15iterator_traitsISL_E10value_typeET2_T3_PNSM_ISR_E10value_typeET4_jRbjT5_SX_jjP12ihipStream_tbEUlT_E2_NS1_11comp_targetILNS1_3genE8ELNS1_11target_archE1030ELNS1_3gpuE2ELNS1_3repE0EEENS1_30default_config_static_selectorELNS0_4arch9wavefront6targetE0EEEvSL_,@function
_ZN7rocprim17ROCPRIM_400000_NS6detail17trampoline_kernelINS0_14default_configENS1_36segmented_radix_sort_config_selectorI12hip_bfloat16lEEZNS1_25segmented_radix_sort_implIS3_Lb0EPKS5_PS5_PKlPlN2at6native12_GLOBAL__N_18offset_tEEE10hipError_tPvRmT1_PNSt15iterator_traitsISL_E10value_typeET2_T3_PNSM_ISR_E10value_typeET4_jRbjT5_SX_jjP12ihipStream_tbEUlT_E2_NS1_11comp_targetILNS1_3genE8ELNS1_11target_archE1030ELNS1_3gpuE2ELNS1_3repE0EEENS1_30default_config_static_selectorELNS0_4arch9wavefront6targetE0EEEvSL_: ; @_ZN7rocprim17ROCPRIM_400000_NS6detail17trampoline_kernelINS0_14default_configENS1_36segmented_radix_sort_config_selectorI12hip_bfloat16lEEZNS1_25segmented_radix_sort_implIS3_Lb0EPKS5_PS5_PKlPlN2at6native12_GLOBAL__N_18offset_tEEE10hipError_tPvRmT1_PNSt15iterator_traitsISL_E10value_typeET2_T3_PNSM_ISR_E10value_typeET4_jRbjT5_SX_jjP12ihipStream_tbEUlT_E2_NS1_11comp_targetILNS1_3genE8ELNS1_11target_archE1030ELNS1_3gpuE2ELNS1_3repE0EEENS1_30default_config_static_selectorELNS0_4arch9wavefront6targetE0EEEvSL_
; %bb.0:
	.section	.rodata,"a",@progbits
	.p2align	6, 0x0
	.amdhsa_kernel _ZN7rocprim17ROCPRIM_400000_NS6detail17trampoline_kernelINS0_14default_configENS1_36segmented_radix_sort_config_selectorI12hip_bfloat16lEEZNS1_25segmented_radix_sort_implIS3_Lb0EPKS5_PS5_PKlPlN2at6native12_GLOBAL__N_18offset_tEEE10hipError_tPvRmT1_PNSt15iterator_traitsISL_E10value_typeET2_T3_PNSM_ISR_E10value_typeET4_jRbjT5_SX_jjP12ihipStream_tbEUlT_E2_NS1_11comp_targetILNS1_3genE8ELNS1_11target_archE1030ELNS1_3gpuE2ELNS1_3repE0EEENS1_30default_config_static_selectorELNS0_4arch9wavefront6targetE0EEEvSL_
		.amdhsa_group_segment_fixed_size 0
		.amdhsa_private_segment_fixed_size 0
		.amdhsa_kernarg_size 80
		.amdhsa_user_sgpr_count 2
		.amdhsa_user_sgpr_dispatch_ptr 0
		.amdhsa_user_sgpr_queue_ptr 0
		.amdhsa_user_sgpr_kernarg_segment_ptr 1
		.amdhsa_user_sgpr_dispatch_id 0
		.amdhsa_user_sgpr_private_segment_size 0
		.amdhsa_wavefront_size32 1
		.amdhsa_uses_dynamic_stack 0
		.amdhsa_enable_private_segment 0
		.amdhsa_system_sgpr_workgroup_id_x 1
		.amdhsa_system_sgpr_workgroup_id_y 0
		.amdhsa_system_sgpr_workgroup_id_z 0
		.amdhsa_system_sgpr_workgroup_info 0
		.amdhsa_system_vgpr_workitem_id 0
		.amdhsa_next_free_vgpr 1
		.amdhsa_next_free_sgpr 1
		.amdhsa_reserve_vcc 0
		.amdhsa_float_round_mode_32 0
		.amdhsa_float_round_mode_16_64 0
		.amdhsa_float_denorm_mode_32 3
		.amdhsa_float_denorm_mode_16_64 3
		.amdhsa_fp16_overflow 0
		.amdhsa_workgroup_processor_mode 1
		.amdhsa_memory_ordered 1
		.amdhsa_forward_progress 1
		.amdhsa_inst_pref_size 0
		.amdhsa_round_robin_scheduling 0
		.amdhsa_exception_fp_ieee_invalid_op 0
		.amdhsa_exception_fp_denorm_src 0
		.amdhsa_exception_fp_ieee_div_zero 0
		.amdhsa_exception_fp_ieee_overflow 0
		.amdhsa_exception_fp_ieee_underflow 0
		.amdhsa_exception_fp_ieee_inexact 0
		.amdhsa_exception_int_div_zero 0
	.end_amdhsa_kernel
	.section	.text._ZN7rocprim17ROCPRIM_400000_NS6detail17trampoline_kernelINS0_14default_configENS1_36segmented_radix_sort_config_selectorI12hip_bfloat16lEEZNS1_25segmented_radix_sort_implIS3_Lb0EPKS5_PS5_PKlPlN2at6native12_GLOBAL__N_18offset_tEEE10hipError_tPvRmT1_PNSt15iterator_traitsISL_E10value_typeET2_T3_PNSM_ISR_E10value_typeET4_jRbjT5_SX_jjP12ihipStream_tbEUlT_E2_NS1_11comp_targetILNS1_3genE8ELNS1_11target_archE1030ELNS1_3gpuE2ELNS1_3repE0EEENS1_30default_config_static_selectorELNS0_4arch9wavefront6targetE0EEEvSL_,"axG",@progbits,_ZN7rocprim17ROCPRIM_400000_NS6detail17trampoline_kernelINS0_14default_configENS1_36segmented_radix_sort_config_selectorI12hip_bfloat16lEEZNS1_25segmented_radix_sort_implIS3_Lb0EPKS5_PS5_PKlPlN2at6native12_GLOBAL__N_18offset_tEEE10hipError_tPvRmT1_PNSt15iterator_traitsISL_E10value_typeET2_T3_PNSM_ISR_E10value_typeET4_jRbjT5_SX_jjP12ihipStream_tbEUlT_E2_NS1_11comp_targetILNS1_3genE8ELNS1_11target_archE1030ELNS1_3gpuE2ELNS1_3repE0EEENS1_30default_config_static_selectorELNS0_4arch9wavefront6targetE0EEEvSL_,comdat
.Lfunc_end2087:
	.size	_ZN7rocprim17ROCPRIM_400000_NS6detail17trampoline_kernelINS0_14default_configENS1_36segmented_radix_sort_config_selectorI12hip_bfloat16lEEZNS1_25segmented_radix_sort_implIS3_Lb0EPKS5_PS5_PKlPlN2at6native12_GLOBAL__N_18offset_tEEE10hipError_tPvRmT1_PNSt15iterator_traitsISL_E10value_typeET2_T3_PNSM_ISR_E10value_typeET4_jRbjT5_SX_jjP12ihipStream_tbEUlT_E2_NS1_11comp_targetILNS1_3genE8ELNS1_11target_archE1030ELNS1_3gpuE2ELNS1_3repE0EEENS1_30default_config_static_selectorELNS0_4arch9wavefront6targetE0EEEvSL_, .Lfunc_end2087-_ZN7rocprim17ROCPRIM_400000_NS6detail17trampoline_kernelINS0_14default_configENS1_36segmented_radix_sort_config_selectorI12hip_bfloat16lEEZNS1_25segmented_radix_sort_implIS3_Lb0EPKS5_PS5_PKlPlN2at6native12_GLOBAL__N_18offset_tEEE10hipError_tPvRmT1_PNSt15iterator_traitsISL_E10value_typeET2_T3_PNSM_ISR_E10value_typeET4_jRbjT5_SX_jjP12ihipStream_tbEUlT_E2_NS1_11comp_targetILNS1_3genE8ELNS1_11target_archE1030ELNS1_3gpuE2ELNS1_3repE0EEENS1_30default_config_static_selectorELNS0_4arch9wavefront6targetE0EEEvSL_
                                        ; -- End function
	.set _ZN7rocprim17ROCPRIM_400000_NS6detail17trampoline_kernelINS0_14default_configENS1_36segmented_radix_sort_config_selectorI12hip_bfloat16lEEZNS1_25segmented_radix_sort_implIS3_Lb0EPKS5_PS5_PKlPlN2at6native12_GLOBAL__N_18offset_tEEE10hipError_tPvRmT1_PNSt15iterator_traitsISL_E10value_typeET2_T3_PNSM_ISR_E10value_typeET4_jRbjT5_SX_jjP12ihipStream_tbEUlT_E2_NS1_11comp_targetILNS1_3genE8ELNS1_11target_archE1030ELNS1_3gpuE2ELNS1_3repE0EEENS1_30default_config_static_selectorELNS0_4arch9wavefront6targetE0EEEvSL_.num_vgpr, 0
	.set _ZN7rocprim17ROCPRIM_400000_NS6detail17trampoline_kernelINS0_14default_configENS1_36segmented_radix_sort_config_selectorI12hip_bfloat16lEEZNS1_25segmented_radix_sort_implIS3_Lb0EPKS5_PS5_PKlPlN2at6native12_GLOBAL__N_18offset_tEEE10hipError_tPvRmT1_PNSt15iterator_traitsISL_E10value_typeET2_T3_PNSM_ISR_E10value_typeET4_jRbjT5_SX_jjP12ihipStream_tbEUlT_E2_NS1_11comp_targetILNS1_3genE8ELNS1_11target_archE1030ELNS1_3gpuE2ELNS1_3repE0EEENS1_30default_config_static_selectorELNS0_4arch9wavefront6targetE0EEEvSL_.num_agpr, 0
	.set _ZN7rocprim17ROCPRIM_400000_NS6detail17trampoline_kernelINS0_14default_configENS1_36segmented_radix_sort_config_selectorI12hip_bfloat16lEEZNS1_25segmented_radix_sort_implIS3_Lb0EPKS5_PS5_PKlPlN2at6native12_GLOBAL__N_18offset_tEEE10hipError_tPvRmT1_PNSt15iterator_traitsISL_E10value_typeET2_T3_PNSM_ISR_E10value_typeET4_jRbjT5_SX_jjP12ihipStream_tbEUlT_E2_NS1_11comp_targetILNS1_3genE8ELNS1_11target_archE1030ELNS1_3gpuE2ELNS1_3repE0EEENS1_30default_config_static_selectorELNS0_4arch9wavefront6targetE0EEEvSL_.numbered_sgpr, 0
	.set _ZN7rocprim17ROCPRIM_400000_NS6detail17trampoline_kernelINS0_14default_configENS1_36segmented_radix_sort_config_selectorI12hip_bfloat16lEEZNS1_25segmented_radix_sort_implIS3_Lb0EPKS5_PS5_PKlPlN2at6native12_GLOBAL__N_18offset_tEEE10hipError_tPvRmT1_PNSt15iterator_traitsISL_E10value_typeET2_T3_PNSM_ISR_E10value_typeET4_jRbjT5_SX_jjP12ihipStream_tbEUlT_E2_NS1_11comp_targetILNS1_3genE8ELNS1_11target_archE1030ELNS1_3gpuE2ELNS1_3repE0EEENS1_30default_config_static_selectorELNS0_4arch9wavefront6targetE0EEEvSL_.num_named_barrier, 0
	.set _ZN7rocprim17ROCPRIM_400000_NS6detail17trampoline_kernelINS0_14default_configENS1_36segmented_radix_sort_config_selectorI12hip_bfloat16lEEZNS1_25segmented_radix_sort_implIS3_Lb0EPKS5_PS5_PKlPlN2at6native12_GLOBAL__N_18offset_tEEE10hipError_tPvRmT1_PNSt15iterator_traitsISL_E10value_typeET2_T3_PNSM_ISR_E10value_typeET4_jRbjT5_SX_jjP12ihipStream_tbEUlT_E2_NS1_11comp_targetILNS1_3genE8ELNS1_11target_archE1030ELNS1_3gpuE2ELNS1_3repE0EEENS1_30default_config_static_selectorELNS0_4arch9wavefront6targetE0EEEvSL_.private_seg_size, 0
	.set _ZN7rocprim17ROCPRIM_400000_NS6detail17trampoline_kernelINS0_14default_configENS1_36segmented_radix_sort_config_selectorI12hip_bfloat16lEEZNS1_25segmented_radix_sort_implIS3_Lb0EPKS5_PS5_PKlPlN2at6native12_GLOBAL__N_18offset_tEEE10hipError_tPvRmT1_PNSt15iterator_traitsISL_E10value_typeET2_T3_PNSM_ISR_E10value_typeET4_jRbjT5_SX_jjP12ihipStream_tbEUlT_E2_NS1_11comp_targetILNS1_3genE8ELNS1_11target_archE1030ELNS1_3gpuE2ELNS1_3repE0EEENS1_30default_config_static_selectorELNS0_4arch9wavefront6targetE0EEEvSL_.uses_vcc, 0
	.set _ZN7rocprim17ROCPRIM_400000_NS6detail17trampoline_kernelINS0_14default_configENS1_36segmented_radix_sort_config_selectorI12hip_bfloat16lEEZNS1_25segmented_radix_sort_implIS3_Lb0EPKS5_PS5_PKlPlN2at6native12_GLOBAL__N_18offset_tEEE10hipError_tPvRmT1_PNSt15iterator_traitsISL_E10value_typeET2_T3_PNSM_ISR_E10value_typeET4_jRbjT5_SX_jjP12ihipStream_tbEUlT_E2_NS1_11comp_targetILNS1_3genE8ELNS1_11target_archE1030ELNS1_3gpuE2ELNS1_3repE0EEENS1_30default_config_static_selectorELNS0_4arch9wavefront6targetE0EEEvSL_.uses_flat_scratch, 0
	.set _ZN7rocprim17ROCPRIM_400000_NS6detail17trampoline_kernelINS0_14default_configENS1_36segmented_radix_sort_config_selectorI12hip_bfloat16lEEZNS1_25segmented_radix_sort_implIS3_Lb0EPKS5_PS5_PKlPlN2at6native12_GLOBAL__N_18offset_tEEE10hipError_tPvRmT1_PNSt15iterator_traitsISL_E10value_typeET2_T3_PNSM_ISR_E10value_typeET4_jRbjT5_SX_jjP12ihipStream_tbEUlT_E2_NS1_11comp_targetILNS1_3genE8ELNS1_11target_archE1030ELNS1_3gpuE2ELNS1_3repE0EEENS1_30default_config_static_selectorELNS0_4arch9wavefront6targetE0EEEvSL_.has_dyn_sized_stack, 0
	.set _ZN7rocprim17ROCPRIM_400000_NS6detail17trampoline_kernelINS0_14default_configENS1_36segmented_radix_sort_config_selectorI12hip_bfloat16lEEZNS1_25segmented_radix_sort_implIS3_Lb0EPKS5_PS5_PKlPlN2at6native12_GLOBAL__N_18offset_tEEE10hipError_tPvRmT1_PNSt15iterator_traitsISL_E10value_typeET2_T3_PNSM_ISR_E10value_typeET4_jRbjT5_SX_jjP12ihipStream_tbEUlT_E2_NS1_11comp_targetILNS1_3genE8ELNS1_11target_archE1030ELNS1_3gpuE2ELNS1_3repE0EEENS1_30default_config_static_selectorELNS0_4arch9wavefront6targetE0EEEvSL_.has_recursion, 0
	.set _ZN7rocprim17ROCPRIM_400000_NS6detail17trampoline_kernelINS0_14default_configENS1_36segmented_radix_sort_config_selectorI12hip_bfloat16lEEZNS1_25segmented_radix_sort_implIS3_Lb0EPKS5_PS5_PKlPlN2at6native12_GLOBAL__N_18offset_tEEE10hipError_tPvRmT1_PNSt15iterator_traitsISL_E10value_typeET2_T3_PNSM_ISR_E10value_typeET4_jRbjT5_SX_jjP12ihipStream_tbEUlT_E2_NS1_11comp_targetILNS1_3genE8ELNS1_11target_archE1030ELNS1_3gpuE2ELNS1_3repE0EEENS1_30default_config_static_selectorELNS0_4arch9wavefront6targetE0EEEvSL_.has_indirect_call, 0
	.section	.AMDGPU.csdata,"",@progbits
; Kernel info:
; codeLenInByte = 0
; TotalNumSgprs: 0
; NumVgprs: 0
; ScratchSize: 0
; MemoryBound: 0
; FloatMode: 240
; IeeeMode: 1
; LDSByteSize: 0 bytes/workgroup (compile time only)
; SGPRBlocks: 0
; VGPRBlocks: 0
; NumSGPRsForWavesPerEU: 1
; NumVGPRsForWavesPerEU: 1
; Occupancy: 16
; WaveLimiterHint : 0
; COMPUTE_PGM_RSRC2:SCRATCH_EN: 0
; COMPUTE_PGM_RSRC2:USER_SGPR: 2
; COMPUTE_PGM_RSRC2:TRAP_HANDLER: 0
; COMPUTE_PGM_RSRC2:TGID_X_EN: 1
; COMPUTE_PGM_RSRC2:TGID_Y_EN: 0
; COMPUTE_PGM_RSRC2:TGID_Z_EN: 0
; COMPUTE_PGM_RSRC2:TIDIG_COMP_CNT: 0
	.text
	.p2alignl 7, 3214868480
	.fill 96, 4, 3214868480
	.section	.AMDGPU.gpr_maximums,"",@progbits
	.set amdgpu.max_num_vgpr, 248
	.set amdgpu.max_num_agpr, 0
	.set amdgpu.max_num_sgpr, 33
	.text
	.protected	_ZN7rocprim17ROCPRIM_400000_NS16block_radix_sortIhLj256ELj1ElLj1ELj1ELj8ELNS0_26block_radix_rank_algorithmE2ELNS0_18block_padding_hintE2ELNS0_4arch9wavefront6targetE0EE19radix_bits_per_passE ; @_ZN7rocprim17ROCPRIM_400000_NS16block_radix_sortIhLj256ELj1ElLj1ELj1ELj8ELNS0_26block_radix_rank_algorithmE2ELNS0_18block_padding_hintE2ELNS0_4arch9wavefront6targetE0EE19radix_bits_per_passE
	.type	_ZN7rocprim17ROCPRIM_400000_NS16block_radix_sortIhLj256ELj1ElLj1ELj1ELj8ELNS0_26block_radix_rank_algorithmE2ELNS0_18block_padding_hintE2ELNS0_4arch9wavefront6targetE0EE19radix_bits_per_passE,@object
	.section	.rodata._ZN7rocprim17ROCPRIM_400000_NS16block_radix_sortIhLj256ELj1ElLj1ELj1ELj8ELNS0_26block_radix_rank_algorithmE2ELNS0_18block_padding_hintE2ELNS0_4arch9wavefront6targetE0EE19radix_bits_per_passE,"aG",@progbits,_ZN7rocprim17ROCPRIM_400000_NS16block_radix_sortIhLj256ELj1ElLj1ELj1ELj8ELNS0_26block_radix_rank_algorithmE2ELNS0_18block_padding_hintE2ELNS0_4arch9wavefront6targetE0EE19radix_bits_per_passE,comdat
	.weak	_ZN7rocprim17ROCPRIM_400000_NS16block_radix_sortIhLj256ELj1ElLj1ELj1ELj8ELNS0_26block_radix_rank_algorithmE2ELNS0_18block_padding_hintE2ELNS0_4arch9wavefront6targetE0EE19radix_bits_per_passE
	.p2align	2, 0x0
_ZN7rocprim17ROCPRIM_400000_NS16block_radix_sortIhLj256ELj1ElLj1ELj1ELj8ELNS0_26block_radix_rank_algorithmE2ELNS0_18block_padding_hintE2ELNS0_4arch9wavefront6targetE0EE19radix_bits_per_passE:
	.long	8                               ; 0x8
	.size	_ZN7rocprim17ROCPRIM_400000_NS16block_radix_sortIhLj256ELj1ElLj1ELj1ELj8ELNS0_26block_radix_rank_algorithmE2ELNS0_18block_padding_hintE2ELNS0_4arch9wavefront6targetE0EE19radix_bits_per_passE, 4

	.protected	_ZN7rocprim17ROCPRIM_400000_NS16block_radix_sortIhLj256ELj2ElLj1ELj1ELj8ELNS0_26block_radix_rank_algorithmE2ELNS0_18block_padding_hintE2ELNS0_4arch9wavefront6targetE0EE19radix_bits_per_passE ; @_ZN7rocprim17ROCPRIM_400000_NS16block_radix_sortIhLj256ELj2ElLj1ELj1ELj8ELNS0_26block_radix_rank_algorithmE2ELNS0_18block_padding_hintE2ELNS0_4arch9wavefront6targetE0EE19radix_bits_per_passE
	.type	_ZN7rocprim17ROCPRIM_400000_NS16block_radix_sortIhLj256ELj2ElLj1ELj1ELj8ELNS0_26block_radix_rank_algorithmE2ELNS0_18block_padding_hintE2ELNS0_4arch9wavefront6targetE0EE19radix_bits_per_passE,@object
	.section	.rodata._ZN7rocprim17ROCPRIM_400000_NS16block_radix_sortIhLj256ELj2ElLj1ELj1ELj8ELNS0_26block_radix_rank_algorithmE2ELNS0_18block_padding_hintE2ELNS0_4arch9wavefront6targetE0EE19radix_bits_per_passE,"aG",@progbits,_ZN7rocprim17ROCPRIM_400000_NS16block_radix_sortIhLj256ELj2ElLj1ELj1ELj8ELNS0_26block_radix_rank_algorithmE2ELNS0_18block_padding_hintE2ELNS0_4arch9wavefront6targetE0EE19radix_bits_per_passE,comdat
	.weak	_ZN7rocprim17ROCPRIM_400000_NS16block_radix_sortIhLj256ELj2ElLj1ELj1ELj8ELNS0_26block_radix_rank_algorithmE2ELNS0_18block_padding_hintE2ELNS0_4arch9wavefront6targetE0EE19radix_bits_per_passE
	.p2align	2, 0x0
_ZN7rocprim17ROCPRIM_400000_NS16block_radix_sortIhLj256ELj2ElLj1ELj1ELj8ELNS0_26block_radix_rank_algorithmE2ELNS0_18block_padding_hintE2ELNS0_4arch9wavefront6targetE0EE19radix_bits_per_passE:
	.long	8                               ; 0x8
	.size	_ZN7rocprim17ROCPRIM_400000_NS16block_radix_sortIhLj256ELj2ElLj1ELj1ELj8ELNS0_26block_radix_rank_algorithmE2ELNS0_18block_padding_hintE2ELNS0_4arch9wavefront6targetE0EE19radix_bits_per_passE, 4

	.protected	_ZN7rocprim17ROCPRIM_400000_NS16block_radix_sortIhLj256ELj4ElLj1ELj1ELj8ELNS0_26block_radix_rank_algorithmE2ELNS0_18block_padding_hintE2ELNS0_4arch9wavefront6targetE0EE19radix_bits_per_passE ; @_ZN7rocprim17ROCPRIM_400000_NS16block_radix_sortIhLj256ELj4ElLj1ELj1ELj8ELNS0_26block_radix_rank_algorithmE2ELNS0_18block_padding_hintE2ELNS0_4arch9wavefront6targetE0EE19radix_bits_per_passE
	.type	_ZN7rocprim17ROCPRIM_400000_NS16block_radix_sortIhLj256ELj4ElLj1ELj1ELj8ELNS0_26block_radix_rank_algorithmE2ELNS0_18block_padding_hintE2ELNS0_4arch9wavefront6targetE0EE19radix_bits_per_passE,@object
	.section	.rodata._ZN7rocprim17ROCPRIM_400000_NS16block_radix_sortIhLj256ELj4ElLj1ELj1ELj8ELNS0_26block_radix_rank_algorithmE2ELNS0_18block_padding_hintE2ELNS0_4arch9wavefront6targetE0EE19radix_bits_per_passE,"aG",@progbits,_ZN7rocprim17ROCPRIM_400000_NS16block_radix_sortIhLj256ELj4ElLj1ELj1ELj8ELNS0_26block_radix_rank_algorithmE2ELNS0_18block_padding_hintE2ELNS0_4arch9wavefront6targetE0EE19radix_bits_per_passE,comdat
	.weak	_ZN7rocprim17ROCPRIM_400000_NS16block_radix_sortIhLj256ELj4ElLj1ELj1ELj8ELNS0_26block_radix_rank_algorithmE2ELNS0_18block_padding_hintE2ELNS0_4arch9wavefront6targetE0EE19radix_bits_per_passE
	.p2align	2, 0x0
_ZN7rocprim17ROCPRIM_400000_NS16block_radix_sortIhLj256ELj4ElLj1ELj1ELj8ELNS0_26block_radix_rank_algorithmE2ELNS0_18block_padding_hintE2ELNS0_4arch9wavefront6targetE0EE19radix_bits_per_passE:
	.long	8                               ; 0x8
	.size	_ZN7rocprim17ROCPRIM_400000_NS16block_radix_sortIhLj256ELj4ElLj1ELj1ELj8ELNS0_26block_radix_rank_algorithmE2ELNS0_18block_padding_hintE2ELNS0_4arch9wavefront6targetE0EE19radix_bits_per_passE, 4

	.protected	_ZN7rocprim17ROCPRIM_400000_NS16block_radix_sortIhLj256ELj8ElLj1ELj1ELj8ELNS0_26block_radix_rank_algorithmE2ELNS0_18block_padding_hintE2ELNS0_4arch9wavefront6targetE0EE19radix_bits_per_passE ; @_ZN7rocprim17ROCPRIM_400000_NS16block_radix_sortIhLj256ELj8ElLj1ELj1ELj8ELNS0_26block_radix_rank_algorithmE2ELNS0_18block_padding_hintE2ELNS0_4arch9wavefront6targetE0EE19radix_bits_per_passE
	.type	_ZN7rocprim17ROCPRIM_400000_NS16block_radix_sortIhLj256ELj8ElLj1ELj1ELj8ELNS0_26block_radix_rank_algorithmE2ELNS0_18block_padding_hintE2ELNS0_4arch9wavefront6targetE0EE19radix_bits_per_passE,@object
	.section	.rodata._ZN7rocprim17ROCPRIM_400000_NS16block_radix_sortIhLj256ELj8ElLj1ELj1ELj8ELNS0_26block_radix_rank_algorithmE2ELNS0_18block_padding_hintE2ELNS0_4arch9wavefront6targetE0EE19radix_bits_per_passE,"aG",@progbits,_ZN7rocprim17ROCPRIM_400000_NS16block_radix_sortIhLj256ELj8ElLj1ELj1ELj8ELNS0_26block_radix_rank_algorithmE2ELNS0_18block_padding_hintE2ELNS0_4arch9wavefront6targetE0EE19radix_bits_per_passE,comdat
	.weak	_ZN7rocprim17ROCPRIM_400000_NS16block_radix_sortIhLj256ELj8ElLj1ELj1ELj8ELNS0_26block_radix_rank_algorithmE2ELNS0_18block_padding_hintE2ELNS0_4arch9wavefront6targetE0EE19radix_bits_per_passE
	.p2align	2, 0x0
_ZN7rocprim17ROCPRIM_400000_NS16block_radix_sortIhLj256ELj8ElLj1ELj1ELj8ELNS0_26block_radix_rank_algorithmE2ELNS0_18block_padding_hintE2ELNS0_4arch9wavefront6targetE0EE19radix_bits_per_passE:
	.long	8                               ; 0x8
	.size	_ZN7rocprim17ROCPRIM_400000_NS16block_radix_sortIhLj256ELj8ElLj1ELj1ELj8ELNS0_26block_radix_rank_algorithmE2ELNS0_18block_padding_hintE2ELNS0_4arch9wavefront6targetE0EE19radix_bits_per_passE, 4

	.protected	_ZN7rocprim17ROCPRIM_400000_NS16block_radix_sortIaLj256ELj1ElLj1ELj1ELj8ELNS0_26block_radix_rank_algorithmE2ELNS0_18block_padding_hintE2ELNS0_4arch9wavefront6targetE0EE19radix_bits_per_passE ; @_ZN7rocprim17ROCPRIM_400000_NS16block_radix_sortIaLj256ELj1ElLj1ELj1ELj8ELNS0_26block_radix_rank_algorithmE2ELNS0_18block_padding_hintE2ELNS0_4arch9wavefront6targetE0EE19radix_bits_per_passE
	.type	_ZN7rocprim17ROCPRIM_400000_NS16block_radix_sortIaLj256ELj1ElLj1ELj1ELj8ELNS0_26block_radix_rank_algorithmE2ELNS0_18block_padding_hintE2ELNS0_4arch9wavefront6targetE0EE19radix_bits_per_passE,@object
	.section	.rodata._ZN7rocprim17ROCPRIM_400000_NS16block_radix_sortIaLj256ELj1ElLj1ELj1ELj8ELNS0_26block_radix_rank_algorithmE2ELNS0_18block_padding_hintE2ELNS0_4arch9wavefront6targetE0EE19radix_bits_per_passE,"aG",@progbits,_ZN7rocprim17ROCPRIM_400000_NS16block_radix_sortIaLj256ELj1ElLj1ELj1ELj8ELNS0_26block_radix_rank_algorithmE2ELNS0_18block_padding_hintE2ELNS0_4arch9wavefront6targetE0EE19radix_bits_per_passE,comdat
	.weak	_ZN7rocprim17ROCPRIM_400000_NS16block_radix_sortIaLj256ELj1ElLj1ELj1ELj8ELNS0_26block_radix_rank_algorithmE2ELNS0_18block_padding_hintE2ELNS0_4arch9wavefront6targetE0EE19radix_bits_per_passE
	.p2align	2, 0x0
_ZN7rocprim17ROCPRIM_400000_NS16block_radix_sortIaLj256ELj1ElLj1ELj1ELj8ELNS0_26block_radix_rank_algorithmE2ELNS0_18block_padding_hintE2ELNS0_4arch9wavefront6targetE0EE19radix_bits_per_passE:
	.long	8                               ; 0x8
	.size	_ZN7rocprim17ROCPRIM_400000_NS16block_radix_sortIaLj256ELj1ElLj1ELj1ELj8ELNS0_26block_radix_rank_algorithmE2ELNS0_18block_padding_hintE2ELNS0_4arch9wavefront6targetE0EE19radix_bits_per_passE, 4

	.protected	_ZN7rocprim17ROCPRIM_400000_NS16block_radix_sortIaLj256ELj2ElLj1ELj1ELj8ELNS0_26block_radix_rank_algorithmE2ELNS0_18block_padding_hintE2ELNS0_4arch9wavefront6targetE0EE19radix_bits_per_passE ; @_ZN7rocprim17ROCPRIM_400000_NS16block_radix_sortIaLj256ELj2ElLj1ELj1ELj8ELNS0_26block_radix_rank_algorithmE2ELNS0_18block_padding_hintE2ELNS0_4arch9wavefront6targetE0EE19radix_bits_per_passE
	.type	_ZN7rocprim17ROCPRIM_400000_NS16block_radix_sortIaLj256ELj2ElLj1ELj1ELj8ELNS0_26block_radix_rank_algorithmE2ELNS0_18block_padding_hintE2ELNS0_4arch9wavefront6targetE0EE19radix_bits_per_passE,@object
	.section	.rodata._ZN7rocprim17ROCPRIM_400000_NS16block_radix_sortIaLj256ELj2ElLj1ELj1ELj8ELNS0_26block_radix_rank_algorithmE2ELNS0_18block_padding_hintE2ELNS0_4arch9wavefront6targetE0EE19radix_bits_per_passE,"aG",@progbits,_ZN7rocprim17ROCPRIM_400000_NS16block_radix_sortIaLj256ELj2ElLj1ELj1ELj8ELNS0_26block_radix_rank_algorithmE2ELNS0_18block_padding_hintE2ELNS0_4arch9wavefront6targetE0EE19radix_bits_per_passE,comdat
	.weak	_ZN7rocprim17ROCPRIM_400000_NS16block_radix_sortIaLj256ELj2ElLj1ELj1ELj8ELNS0_26block_radix_rank_algorithmE2ELNS0_18block_padding_hintE2ELNS0_4arch9wavefront6targetE0EE19radix_bits_per_passE
	.p2align	2, 0x0
_ZN7rocprim17ROCPRIM_400000_NS16block_radix_sortIaLj256ELj2ElLj1ELj1ELj8ELNS0_26block_radix_rank_algorithmE2ELNS0_18block_padding_hintE2ELNS0_4arch9wavefront6targetE0EE19radix_bits_per_passE:
	.long	8                               ; 0x8
	.size	_ZN7rocprim17ROCPRIM_400000_NS16block_radix_sortIaLj256ELj2ElLj1ELj1ELj8ELNS0_26block_radix_rank_algorithmE2ELNS0_18block_padding_hintE2ELNS0_4arch9wavefront6targetE0EE19radix_bits_per_passE, 4

	.protected	_ZN7rocprim17ROCPRIM_400000_NS16block_radix_sortIaLj256ELj4ElLj1ELj1ELj8ELNS0_26block_radix_rank_algorithmE2ELNS0_18block_padding_hintE2ELNS0_4arch9wavefront6targetE0EE19radix_bits_per_passE ; @_ZN7rocprim17ROCPRIM_400000_NS16block_radix_sortIaLj256ELj4ElLj1ELj1ELj8ELNS0_26block_radix_rank_algorithmE2ELNS0_18block_padding_hintE2ELNS0_4arch9wavefront6targetE0EE19radix_bits_per_passE
	.type	_ZN7rocprim17ROCPRIM_400000_NS16block_radix_sortIaLj256ELj4ElLj1ELj1ELj8ELNS0_26block_radix_rank_algorithmE2ELNS0_18block_padding_hintE2ELNS0_4arch9wavefront6targetE0EE19radix_bits_per_passE,@object
	.section	.rodata._ZN7rocprim17ROCPRIM_400000_NS16block_radix_sortIaLj256ELj4ElLj1ELj1ELj8ELNS0_26block_radix_rank_algorithmE2ELNS0_18block_padding_hintE2ELNS0_4arch9wavefront6targetE0EE19radix_bits_per_passE,"aG",@progbits,_ZN7rocprim17ROCPRIM_400000_NS16block_radix_sortIaLj256ELj4ElLj1ELj1ELj8ELNS0_26block_radix_rank_algorithmE2ELNS0_18block_padding_hintE2ELNS0_4arch9wavefront6targetE0EE19radix_bits_per_passE,comdat
	.weak	_ZN7rocprim17ROCPRIM_400000_NS16block_radix_sortIaLj256ELj4ElLj1ELj1ELj8ELNS0_26block_radix_rank_algorithmE2ELNS0_18block_padding_hintE2ELNS0_4arch9wavefront6targetE0EE19radix_bits_per_passE
	.p2align	2, 0x0
_ZN7rocprim17ROCPRIM_400000_NS16block_radix_sortIaLj256ELj4ElLj1ELj1ELj8ELNS0_26block_radix_rank_algorithmE2ELNS0_18block_padding_hintE2ELNS0_4arch9wavefront6targetE0EE19radix_bits_per_passE:
	.long	8                               ; 0x8
	.size	_ZN7rocprim17ROCPRIM_400000_NS16block_radix_sortIaLj256ELj4ElLj1ELj1ELj8ELNS0_26block_radix_rank_algorithmE2ELNS0_18block_padding_hintE2ELNS0_4arch9wavefront6targetE0EE19radix_bits_per_passE, 4

	.protected	_ZN7rocprim17ROCPRIM_400000_NS16block_radix_sortIaLj256ELj8ElLj1ELj1ELj8ELNS0_26block_radix_rank_algorithmE2ELNS0_18block_padding_hintE2ELNS0_4arch9wavefront6targetE0EE19radix_bits_per_passE ; @_ZN7rocprim17ROCPRIM_400000_NS16block_radix_sortIaLj256ELj8ElLj1ELj1ELj8ELNS0_26block_radix_rank_algorithmE2ELNS0_18block_padding_hintE2ELNS0_4arch9wavefront6targetE0EE19radix_bits_per_passE
	.type	_ZN7rocprim17ROCPRIM_400000_NS16block_radix_sortIaLj256ELj8ElLj1ELj1ELj8ELNS0_26block_radix_rank_algorithmE2ELNS0_18block_padding_hintE2ELNS0_4arch9wavefront6targetE0EE19radix_bits_per_passE,@object
	.section	.rodata._ZN7rocprim17ROCPRIM_400000_NS16block_radix_sortIaLj256ELj8ElLj1ELj1ELj8ELNS0_26block_radix_rank_algorithmE2ELNS0_18block_padding_hintE2ELNS0_4arch9wavefront6targetE0EE19radix_bits_per_passE,"aG",@progbits,_ZN7rocprim17ROCPRIM_400000_NS16block_radix_sortIaLj256ELj8ElLj1ELj1ELj8ELNS0_26block_radix_rank_algorithmE2ELNS0_18block_padding_hintE2ELNS0_4arch9wavefront6targetE0EE19radix_bits_per_passE,comdat
	.weak	_ZN7rocprim17ROCPRIM_400000_NS16block_radix_sortIaLj256ELj8ElLj1ELj1ELj8ELNS0_26block_radix_rank_algorithmE2ELNS0_18block_padding_hintE2ELNS0_4arch9wavefront6targetE0EE19radix_bits_per_passE
	.p2align	2, 0x0
_ZN7rocprim17ROCPRIM_400000_NS16block_radix_sortIaLj256ELj8ElLj1ELj1ELj8ELNS0_26block_radix_rank_algorithmE2ELNS0_18block_padding_hintE2ELNS0_4arch9wavefront6targetE0EE19radix_bits_per_passE:
	.long	8                               ; 0x8
	.size	_ZN7rocprim17ROCPRIM_400000_NS16block_radix_sortIaLj256ELj8ElLj1ELj1ELj8ELNS0_26block_radix_rank_algorithmE2ELNS0_18block_padding_hintE2ELNS0_4arch9wavefront6targetE0EE19radix_bits_per_passE, 4

	.protected	_ZN7rocprim17ROCPRIM_400000_NS16block_radix_sortIiLj256ELj1ElLj1ELj1ELj8ELNS0_26block_radix_rank_algorithmE2ELNS0_18block_padding_hintE2ELNS0_4arch9wavefront6targetE0EE19radix_bits_per_passE ; @_ZN7rocprim17ROCPRIM_400000_NS16block_radix_sortIiLj256ELj1ElLj1ELj1ELj8ELNS0_26block_radix_rank_algorithmE2ELNS0_18block_padding_hintE2ELNS0_4arch9wavefront6targetE0EE19radix_bits_per_passE
	.type	_ZN7rocprim17ROCPRIM_400000_NS16block_radix_sortIiLj256ELj1ElLj1ELj1ELj8ELNS0_26block_radix_rank_algorithmE2ELNS0_18block_padding_hintE2ELNS0_4arch9wavefront6targetE0EE19radix_bits_per_passE,@object
	.section	.rodata._ZN7rocprim17ROCPRIM_400000_NS16block_radix_sortIiLj256ELj1ElLj1ELj1ELj8ELNS0_26block_radix_rank_algorithmE2ELNS0_18block_padding_hintE2ELNS0_4arch9wavefront6targetE0EE19radix_bits_per_passE,"aG",@progbits,_ZN7rocprim17ROCPRIM_400000_NS16block_radix_sortIiLj256ELj1ElLj1ELj1ELj8ELNS0_26block_radix_rank_algorithmE2ELNS0_18block_padding_hintE2ELNS0_4arch9wavefront6targetE0EE19radix_bits_per_passE,comdat
	.weak	_ZN7rocprim17ROCPRIM_400000_NS16block_radix_sortIiLj256ELj1ElLj1ELj1ELj8ELNS0_26block_radix_rank_algorithmE2ELNS0_18block_padding_hintE2ELNS0_4arch9wavefront6targetE0EE19radix_bits_per_passE
	.p2align	2, 0x0
_ZN7rocprim17ROCPRIM_400000_NS16block_radix_sortIiLj256ELj1ElLj1ELj1ELj8ELNS0_26block_radix_rank_algorithmE2ELNS0_18block_padding_hintE2ELNS0_4arch9wavefront6targetE0EE19radix_bits_per_passE:
	.long	8                               ; 0x8
	.size	_ZN7rocprim17ROCPRIM_400000_NS16block_radix_sortIiLj256ELj1ElLj1ELj1ELj8ELNS0_26block_radix_rank_algorithmE2ELNS0_18block_padding_hintE2ELNS0_4arch9wavefront6targetE0EE19radix_bits_per_passE, 4

	.protected	_ZN7rocprim17ROCPRIM_400000_NS16block_radix_sortIiLj256ELj2ElLj1ELj1ELj8ELNS0_26block_radix_rank_algorithmE2ELNS0_18block_padding_hintE2ELNS0_4arch9wavefront6targetE0EE19radix_bits_per_passE ; @_ZN7rocprim17ROCPRIM_400000_NS16block_radix_sortIiLj256ELj2ElLj1ELj1ELj8ELNS0_26block_radix_rank_algorithmE2ELNS0_18block_padding_hintE2ELNS0_4arch9wavefront6targetE0EE19radix_bits_per_passE
	.type	_ZN7rocprim17ROCPRIM_400000_NS16block_radix_sortIiLj256ELj2ElLj1ELj1ELj8ELNS0_26block_radix_rank_algorithmE2ELNS0_18block_padding_hintE2ELNS0_4arch9wavefront6targetE0EE19radix_bits_per_passE,@object
	.section	.rodata._ZN7rocprim17ROCPRIM_400000_NS16block_radix_sortIiLj256ELj2ElLj1ELj1ELj8ELNS0_26block_radix_rank_algorithmE2ELNS0_18block_padding_hintE2ELNS0_4arch9wavefront6targetE0EE19radix_bits_per_passE,"aG",@progbits,_ZN7rocprim17ROCPRIM_400000_NS16block_radix_sortIiLj256ELj2ElLj1ELj1ELj8ELNS0_26block_radix_rank_algorithmE2ELNS0_18block_padding_hintE2ELNS0_4arch9wavefront6targetE0EE19radix_bits_per_passE,comdat
	.weak	_ZN7rocprim17ROCPRIM_400000_NS16block_radix_sortIiLj256ELj2ElLj1ELj1ELj8ELNS0_26block_radix_rank_algorithmE2ELNS0_18block_padding_hintE2ELNS0_4arch9wavefront6targetE0EE19radix_bits_per_passE
	.p2align	2, 0x0
_ZN7rocprim17ROCPRIM_400000_NS16block_radix_sortIiLj256ELj2ElLj1ELj1ELj8ELNS0_26block_radix_rank_algorithmE2ELNS0_18block_padding_hintE2ELNS0_4arch9wavefront6targetE0EE19radix_bits_per_passE:
	.long	8                               ; 0x8
	.size	_ZN7rocprim17ROCPRIM_400000_NS16block_radix_sortIiLj256ELj2ElLj1ELj1ELj8ELNS0_26block_radix_rank_algorithmE2ELNS0_18block_padding_hintE2ELNS0_4arch9wavefront6targetE0EE19radix_bits_per_passE, 4

	.protected	_ZN7rocprim17ROCPRIM_400000_NS16block_radix_sortIiLj256ELj4ElLj1ELj1ELj8ELNS0_26block_radix_rank_algorithmE2ELNS0_18block_padding_hintE2ELNS0_4arch9wavefront6targetE0EE19radix_bits_per_passE ; @_ZN7rocprim17ROCPRIM_400000_NS16block_radix_sortIiLj256ELj4ElLj1ELj1ELj8ELNS0_26block_radix_rank_algorithmE2ELNS0_18block_padding_hintE2ELNS0_4arch9wavefront6targetE0EE19radix_bits_per_passE
	.type	_ZN7rocprim17ROCPRIM_400000_NS16block_radix_sortIiLj256ELj4ElLj1ELj1ELj8ELNS0_26block_radix_rank_algorithmE2ELNS0_18block_padding_hintE2ELNS0_4arch9wavefront6targetE0EE19radix_bits_per_passE,@object
	.section	.rodata._ZN7rocprim17ROCPRIM_400000_NS16block_radix_sortIiLj256ELj4ElLj1ELj1ELj8ELNS0_26block_radix_rank_algorithmE2ELNS0_18block_padding_hintE2ELNS0_4arch9wavefront6targetE0EE19radix_bits_per_passE,"aG",@progbits,_ZN7rocprim17ROCPRIM_400000_NS16block_radix_sortIiLj256ELj4ElLj1ELj1ELj8ELNS0_26block_radix_rank_algorithmE2ELNS0_18block_padding_hintE2ELNS0_4arch9wavefront6targetE0EE19radix_bits_per_passE,comdat
	.weak	_ZN7rocprim17ROCPRIM_400000_NS16block_radix_sortIiLj256ELj4ElLj1ELj1ELj8ELNS0_26block_radix_rank_algorithmE2ELNS0_18block_padding_hintE2ELNS0_4arch9wavefront6targetE0EE19radix_bits_per_passE
	.p2align	2, 0x0
_ZN7rocprim17ROCPRIM_400000_NS16block_radix_sortIiLj256ELj4ElLj1ELj1ELj8ELNS0_26block_radix_rank_algorithmE2ELNS0_18block_padding_hintE2ELNS0_4arch9wavefront6targetE0EE19radix_bits_per_passE:
	.long	8                               ; 0x8
	.size	_ZN7rocprim17ROCPRIM_400000_NS16block_radix_sortIiLj256ELj4ElLj1ELj1ELj8ELNS0_26block_radix_rank_algorithmE2ELNS0_18block_padding_hintE2ELNS0_4arch9wavefront6targetE0EE19radix_bits_per_passE, 4

	.protected	_ZN7rocprim17ROCPRIM_400000_NS16block_radix_sortIiLj256ELj8ElLj1ELj1ELj8ELNS0_26block_radix_rank_algorithmE2ELNS0_18block_padding_hintE2ELNS0_4arch9wavefront6targetE0EE19radix_bits_per_passE ; @_ZN7rocprim17ROCPRIM_400000_NS16block_radix_sortIiLj256ELj8ElLj1ELj1ELj8ELNS0_26block_radix_rank_algorithmE2ELNS0_18block_padding_hintE2ELNS0_4arch9wavefront6targetE0EE19radix_bits_per_passE
	.type	_ZN7rocprim17ROCPRIM_400000_NS16block_radix_sortIiLj256ELj8ElLj1ELj1ELj8ELNS0_26block_radix_rank_algorithmE2ELNS0_18block_padding_hintE2ELNS0_4arch9wavefront6targetE0EE19radix_bits_per_passE,@object
	.section	.rodata._ZN7rocprim17ROCPRIM_400000_NS16block_radix_sortIiLj256ELj8ElLj1ELj1ELj8ELNS0_26block_radix_rank_algorithmE2ELNS0_18block_padding_hintE2ELNS0_4arch9wavefront6targetE0EE19radix_bits_per_passE,"aG",@progbits,_ZN7rocprim17ROCPRIM_400000_NS16block_radix_sortIiLj256ELj8ElLj1ELj1ELj8ELNS0_26block_radix_rank_algorithmE2ELNS0_18block_padding_hintE2ELNS0_4arch9wavefront6targetE0EE19radix_bits_per_passE,comdat
	.weak	_ZN7rocprim17ROCPRIM_400000_NS16block_radix_sortIiLj256ELj8ElLj1ELj1ELj8ELNS0_26block_radix_rank_algorithmE2ELNS0_18block_padding_hintE2ELNS0_4arch9wavefront6targetE0EE19radix_bits_per_passE
	.p2align	2, 0x0
_ZN7rocprim17ROCPRIM_400000_NS16block_radix_sortIiLj256ELj8ElLj1ELj1ELj8ELNS0_26block_radix_rank_algorithmE2ELNS0_18block_padding_hintE2ELNS0_4arch9wavefront6targetE0EE19radix_bits_per_passE:
	.long	8                               ; 0x8
	.size	_ZN7rocprim17ROCPRIM_400000_NS16block_radix_sortIiLj256ELj8ElLj1ELj1ELj8ELNS0_26block_radix_rank_algorithmE2ELNS0_18block_padding_hintE2ELNS0_4arch9wavefront6targetE0EE19radix_bits_per_passE, 4

	.protected	_ZN7rocprim17ROCPRIM_400000_NS16block_radix_sortIiLj256ELj16ElLj1ELj1ELj8ELNS0_26block_radix_rank_algorithmE2ELNS0_18block_padding_hintE2ELNS0_4arch9wavefront6targetE0EE19radix_bits_per_passE ; @_ZN7rocprim17ROCPRIM_400000_NS16block_radix_sortIiLj256ELj16ElLj1ELj1ELj8ELNS0_26block_radix_rank_algorithmE2ELNS0_18block_padding_hintE2ELNS0_4arch9wavefront6targetE0EE19radix_bits_per_passE
	.type	_ZN7rocprim17ROCPRIM_400000_NS16block_radix_sortIiLj256ELj16ElLj1ELj1ELj8ELNS0_26block_radix_rank_algorithmE2ELNS0_18block_padding_hintE2ELNS0_4arch9wavefront6targetE0EE19radix_bits_per_passE,@object
	.section	.rodata._ZN7rocprim17ROCPRIM_400000_NS16block_radix_sortIiLj256ELj16ElLj1ELj1ELj8ELNS0_26block_radix_rank_algorithmE2ELNS0_18block_padding_hintE2ELNS0_4arch9wavefront6targetE0EE19radix_bits_per_passE,"aG",@progbits,_ZN7rocprim17ROCPRIM_400000_NS16block_radix_sortIiLj256ELj16ElLj1ELj1ELj8ELNS0_26block_radix_rank_algorithmE2ELNS0_18block_padding_hintE2ELNS0_4arch9wavefront6targetE0EE19radix_bits_per_passE,comdat
	.weak	_ZN7rocprim17ROCPRIM_400000_NS16block_radix_sortIiLj256ELj16ElLj1ELj1ELj8ELNS0_26block_radix_rank_algorithmE2ELNS0_18block_padding_hintE2ELNS0_4arch9wavefront6targetE0EE19radix_bits_per_passE
	.p2align	2, 0x0
_ZN7rocprim17ROCPRIM_400000_NS16block_radix_sortIiLj256ELj16ElLj1ELj1ELj8ELNS0_26block_radix_rank_algorithmE2ELNS0_18block_padding_hintE2ELNS0_4arch9wavefront6targetE0EE19radix_bits_per_passE:
	.long	8                               ; 0x8
	.size	_ZN7rocprim17ROCPRIM_400000_NS16block_radix_sortIiLj256ELj16ElLj1ELj1ELj8ELNS0_26block_radix_rank_algorithmE2ELNS0_18block_padding_hintE2ELNS0_4arch9wavefront6targetE0EE19radix_bits_per_passE, 4

	.protected	_ZN7rocprim17ROCPRIM_400000_NS16block_radix_sortIlLj256ELj1ElLj1ELj1ELj8ELNS0_26block_radix_rank_algorithmE2ELNS0_18block_padding_hintE2ELNS0_4arch9wavefront6targetE0EE19radix_bits_per_passE ; @_ZN7rocprim17ROCPRIM_400000_NS16block_radix_sortIlLj256ELj1ElLj1ELj1ELj8ELNS0_26block_radix_rank_algorithmE2ELNS0_18block_padding_hintE2ELNS0_4arch9wavefront6targetE0EE19radix_bits_per_passE
	.type	_ZN7rocprim17ROCPRIM_400000_NS16block_radix_sortIlLj256ELj1ElLj1ELj1ELj8ELNS0_26block_radix_rank_algorithmE2ELNS0_18block_padding_hintE2ELNS0_4arch9wavefront6targetE0EE19radix_bits_per_passE,@object
	.section	.rodata._ZN7rocprim17ROCPRIM_400000_NS16block_radix_sortIlLj256ELj1ElLj1ELj1ELj8ELNS0_26block_radix_rank_algorithmE2ELNS0_18block_padding_hintE2ELNS0_4arch9wavefront6targetE0EE19radix_bits_per_passE,"aG",@progbits,_ZN7rocprim17ROCPRIM_400000_NS16block_radix_sortIlLj256ELj1ElLj1ELj1ELj8ELNS0_26block_radix_rank_algorithmE2ELNS0_18block_padding_hintE2ELNS0_4arch9wavefront6targetE0EE19radix_bits_per_passE,comdat
	.weak	_ZN7rocprim17ROCPRIM_400000_NS16block_radix_sortIlLj256ELj1ElLj1ELj1ELj8ELNS0_26block_radix_rank_algorithmE2ELNS0_18block_padding_hintE2ELNS0_4arch9wavefront6targetE0EE19radix_bits_per_passE
	.p2align	2, 0x0
_ZN7rocprim17ROCPRIM_400000_NS16block_radix_sortIlLj256ELj1ElLj1ELj1ELj8ELNS0_26block_radix_rank_algorithmE2ELNS0_18block_padding_hintE2ELNS0_4arch9wavefront6targetE0EE19radix_bits_per_passE:
	.long	8                               ; 0x8
	.size	_ZN7rocprim17ROCPRIM_400000_NS16block_radix_sortIlLj256ELj1ElLj1ELj1ELj8ELNS0_26block_radix_rank_algorithmE2ELNS0_18block_padding_hintE2ELNS0_4arch9wavefront6targetE0EE19radix_bits_per_passE, 4

	.protected	_ZN7rocprim17ROCPRIM_400000_NS16block_radix_sortIlLj256ELj2ElLj1ELj1ELj8ELNS0_26block_radix_rank_algorithmE2ELNS0_18block_padding_hintE2ELNS0_4arch9wavefront6targetE0EE19radix_bits_per_passE ; @_ZN7rocprim17ROCPRIM_400000_NS16block_radix_sortIlLj256ELj2ElLj1ELj1ELj8ELNS0_26block_radix_rank_algorithmE2ELNS0_18block_padding_hintE2ELNS0_4arch9wavefront6targetE0EE19radix_bits_per_passE
	.type	_ZN7rocprim17ROCPRIM_400000_NS16block_radix_sortIlLj256ELj2ElLj1ELj1ELj8ELNS0_26block_radix_rank_algorithmE2ELNS0_18block_padding_hintE2ELNS0_4arch9wavefront6targetE0EE19radix_bits_per_passE,@object
	.section	.rodata._ZN7rocprim17ROCPRIM_400000_NS16block_radix_sortIlLj256ELj2ElLj1ELj1ELj8ELNS0_26block_radix_rank_algorithmE2ELNS0_18block_padding_hintE2ELNS0_4arch9wavefront6targetE0EE19radix_bits_per_passE,"aG",@progbits,_ZN7rocprim17ROCPRIM_400000_NS16block_radix_sortIlLj256ELj2ElLj1ELj1ELj8ELNS0_26block_radix_rank_algorithmE2ELNS0_18block_padding_hintE2ELNS0_4arch9wavefront6targetE0EE19radix_bits_per_passE,comdat
	.weak	_ZN7rocprim17ROCPRIM_400000_NS16block_radix_sortIlLj256ELj2ElLj1ELj1ELj8ELNS0_26block_radix_rank_algorithmE2ELNS0_18block_padding_hintE2ELNS0_4arch9wavefront6targetE0EE19radix_bits_per_passE
	.p2align	2, 0x0
_ZN7rocprim17ROCPRIM_400000_NS16block_radix_sortIlLj256ELj2ElLj1ELj1ELj8ELNS0_26block_radix_rank_algorithmE2ELNS0_18block_padding_hintE2ELNS0_4arch9wavefront6targetE0EE19radix_bits_per_passE:
	.long	8                               ; 0x8
	.size	_ZN7rocprim17ROCPRIM_400000_NS16block_radix_sortIlLj256ELj2ElLj1ELj1ELj8ELNS0_26block_radix_rank_algorithmE2ELNS0_18block_padding_hintE2ELNS0_4arch9wavefront6targetE0EE19radix_bits_per_passE, 4

	.protected	_ZN7rocprim17ROCPRIM_400000_NS16block_radix_sortIlLj256ELj4ElLj1ELj1ELj8ELNS0_26block_radix_rank_algorithmE2ELNS0_18block_padding_hintE2ELNS0_4arch9wavefront6targetE0EE19radix_bits_per_passE ; @_ZN7rocprim17ROCPRIM_400000_NS16block_radix_sortIlLj256ELj4ElLj1ELj1ELj8ELNS0_26block_radix_rank_algorithmE2ELNS0_18block_padding_hintE2ELNS0_4arch9wavefront6targetE0EE19radix_bits_per_passE
	.type	_ZN7rocprim17ROCPRIM_400000_NS16block_radix_sortIlLj256ELj4ElLj1ELj1ELj8ELNS0_26block_radix_rank_algorithmE2ELNS0_18block_padding_hintE2ELNS0_4arch9wavefront6targetE0EE19radix_bits_per_passE,@object
	.section	.rodata._ZN7rocprim17ROCPRIM_400000_NS16block_radix_sortIlLj256ELj4ElLj1ELj1ELj8ELNS0_26block_radix_rank_algorithmE2ELNS0_18block_padding_hintE2ELNS0_4arch9wavefront6targetE0EE19radix_bits_per_passE,"aG",@progbits,_ZN7rocprim17ROCPRIM_400000_NS16block_radix_sortIlLj256ELj4ElLj1ELj1ELj8ELNS0_26block_radix_rank_algorithmE2ELNS0_18block_padding_hintE2ELNS0_4arch9wavefront6targetE0EE19radix_bits_per_passE,comdat
	.weak	_ZN7rocprim17ROCPRIM_400000_NS16block_radix_sortIlLj256ELj4ElLj1ELj1ELj8ELNS0_26block_radix_rank_algorithmE2ELNS0_18block_padding_hintE2ELNS0_4arch9wavefront6targetE0EE19radix_bits_per_passE
	.p2align	2, 0x0
_ZN7rocprim17ROCPRIM_400000_NS16block_radix_sortIlLj256ELj4ElLj1ELj1ELj8ELNS0_26block_radix_rank_algorithmE2ELNS0_18block_padding_hintE2ELNS0_4arch9wavefront6targetE0EE19radix_bits_per_passE:
	.long	8                               ; 0x8
	.size	_ZN7rocprim17ROCPRIM_400000_NS16block_radix_sortIlLj256ELj4ElLj1ELj1ELj8ELNS0_26block_radix_rank_algorithmE2ELNS0_18block_padding_hintE2ELNS0_4arch9wavefront6targetE0EE19radix_bits_per_passE, 4

	.protected	_ZN7rocprim17ROCPRIM_400000_NS16block_radix_sortIlLj256ELj8ElLj1ELj1ELj8ELNS0_26block_radix_rank_algorithmE2ELNS0_18block_padding_hintE2ELNS0_4arch9wavefront6targetE0EE19radix_bits_per_passE ; @_ZN7rocprim17ROCPRIM_400000_NS16block_radix_sortIlLj256ELj8ElLj1ELj1ELj8ELNS0_26block_radix_rank_algorithmE2ELNS0_18block_padding_hintE2ELNS0_4arch9wavefront6targetE0EE19radix_bits_per_passE
	.type	_ZN7rocprim17ROCPRIM_400000_NS16block_radix_sortIlLj256ELj8ElLj1ELj1ELj8ELNS0_26block_radix_rank_algorithmE2ELNS0_18block_padding_hintE2ELNS0_4arch9wavefront6targetE0EE19radix_bits_per_passE,@object
	.section	.rodata._ZN7rocprim17ROCPRIM_400000_NS16block_radix_sortIlLj256ELj8ElLj1ELj1ELj8ELNS0_26block_radix_rank_algorithmE2ELNS0_18block_padding_hintE2ELNS0_4arch9wavefront6targetE0EE19radix_bits_per_passE,"aG",@progbits,_ZN7rocprim17ROCPRIM_400000_NS16block_radix_sortIlLj256ELj8ElLj1ELj1ELj8ELNS0_26block_radix_rank_algorithmE2ELNS0_18block_padding_hintE2ELNS0_4arch9wavefront6targetE0EE19radix_bits_per_passE,comdat
	.weak	_ZN7rocprim17ROCPRIM_400000_NS16block_radix_sortIlLj256ELj8ElLj1ELj1ELj8ELNS0_26block_radix_rank_algorithmE2ELNS0_18block_padding_hintE2ELNS0_4arch9wavefront6targetE0EE19radix_bits_per_passE
	.p2align	2, 0x0
_ZN7rocprim17ROCPRIM_400000_NS16block_radix_sortIlLj256ELj8ElLj1ELj1ELj8ELNS0_26block_radix_rank_algorithmE2ELNS0_18block_padding_hintE2ELNS0_4arch9wavefront6targetE0EE19radix_bits_per_passE:
	.long	8                               ; 0x8
	.size	_ZN7rocprim17ROCPRIM_400000_NS16block_radix_sortIlLj256ELj8ElLj1ELj1ELj8ELNS0_26block_radix_rank_algorithmE2ELNS0_18block_padding_hintE2ELNS0_4arch9wavefront6targetE0EE19radix_bits_per_passE, 4

	.protected	_ZN7rocprim17ROCPRIM_400000_NS16block_radix_sortIlLj256ELj16ElLj1ELj1ELj8ELNS0_26block_radix_rank_algorithmE2ELNS0_18block_padding_hintE2ELNS0_4arch9wavefront6targetE0EE19radix_bits_per_passE ; @_ZN7rocprim17ROCPRIM_400000_NS16block_radix_sortIlLj256ELj16ElLj1ELj1ELj8ELNS0_26block_radix_rank_algorithmE2ELNS0_18block_padding_hintE2ELNS0_4arch9wavefront6targetE0EE19radix_bits_per_passE
	.type	_ZN7rocprim17ROCPRIM_400000_NS16block_radix_sortIlLj256ELj16ElLj1ELj1ELj8ELNS0_26block_radix_rank_algorithmE2ELNS0_18block_padding_hintE2ELNS0_4arch9wavefront6targetE0EE19radix_bits_per_passE,@object
	.section	.rodata._ZN7rocprim17ROCPRIM_400000_NS16block_radix_sortIlLj256ELj16ElLj1ELj1ELj8ELNS0_26block_radix_rank_algorithmE2ELNS0_18block_padding_hintE2ELNS0_4arch9wavefront6targetE0EE19radix_bits_per_passE,"aG",@progbits,_ZN7rocprim17ROCPRIM_400000_NS16block_radix_sortIlLj256ELj16ElLj1ELj1ELj8ELNS0_26block_radix_rank_algorithmE2ELNS0_18block_padding_hintE2ELNS0_4arch9wavefront6targetE0EE19radix_bits_per_passE,comdat
	.weak	_ZN7rocprim17ROCPRIM_400000_NS16block_radix_sortIlLj256ELj16ElLj1ELj1ELj8ELNS0_26block_radix_rank_algorithmE2ELNS0_18block_padding_hintE2ELNS0_4arch9wavefront6targetE0EE19radix_bits_per_passE
	.p2align	2, 0x0
_ZN7rocprim17ROCPRIM_400000_NS16block_radix_sortIlLj256ELj16ElLj1ELj1ELj8ELNS0_26block_radix_rank_algorithmE2ELNS0_18block_padding_hintE2ELNS0_4arch9wavefront6targetE0EE19radix_bits_per_passE:
	.long	8                               ; 0x8
	.size	_ZN7rocprim17ROCPRIM_400000_NS16block_radix_sortIlLj256ELj16ElLj1ELj1ELj8ELNS0_26block_radix_rank_algorithmE2ELNS0_18block_padding_hintE2ELNS0_4arch9wavefront6targetE0EE19radix_bits_per_passE, 4

	.protected	_ZN7rocprim17ROCPRIM_400000_NS16block_radix_sortIsLj256ELj1ElLj1ELj1ELj8ELNS0_26block_radix_rank_algorithmE2ELNS0_18block_padding_hintE2ELNS0_4arch9wavefront6targetE0EE19radix_bits_per_passE ; @_ZN7rocprim17ROCPRIM_400000_NS16block_radix_sortIsLj256ELj1ElLj1ELj1ELj8ELNS0_26block_radix_rank_algorithmE2ELNS0_18block_padding_hintE2ELNS0_4arch9wavefront6targetE0EE19radix_bits_per_passE
	.type	_ZN7rocprim17ROCPRIM_400000_NS16block_radix_sortIsLj256ELj1ElLj1ELj1ELj8ELNS0_26block_radix_rank_algorithmE2ELNS0_18block_padding_hintE2ELNS0_4arch9wavefront6targetE0EE19radix_bits_per_passE,@object
	.section	.rodata._ZN7rocprim17ROCPRIM_400000_NS16block_radix_sortIsLj256ELj1ElLj1ELj1ELj8ELNS0_26block_radix_rank_algorithmE2ELNS0_18block_padding_hintE2ELNS0_4arch9wavefront6targetE0EE19radix_bits_per_passE,"aG",@progbits,_ZN7rocprim17ROCPRIM_400000_NS16block_radix_sortIsLj256ELj1ElLj1ELj1ELj8ELNS0_26block_radix_rank_algorithmE2ELNS0_18block_padding_hintE2ELNS0_4arch9wavefront6targetE0EE19radix_bits_per_passE,comdat
	.weak	_ZN7rocprim17ROCPRIM_400000_NS16block_radix_sortIsLj256ELj1ElLj1ELj1ELj8ELNS0_26block_radix_rank_algorithmE2ELNS0_18block_padding_hintE2ELNS0_4arch9wavefront6targetE0EE19radix_bits_per_passE
	.p2align	2, 0x0
_ZN7rocprim17ROCPRIM_400000_NS16block_radix_sortIsLj256ELj1ElLj1ELj1ELj8ELNS0_26block_radix_rank_algorithmE2ELNS0_18block_padding_hintE2ELNS0_4arch9wavefront6targetE0EE19radix_bits_per_passE:
	.long	8                               ; 0x8
	.size	_ZN7rocprim17ROCPRIM_400000_NS16block_radix_sortIsLj256ELj1ElLj1ELj1ELj8ELNS0_26block_radix_rank_algorithmE2ELNS0_18block_padding_hintE2ELNS0_4arch9wavefront6targetE0EE19radix_bits_per_passE, 4

	.protected	_ZN7rocprim17ROCPRIM_400000_NS16block_radix_sortIsLj256ELj2ElLj1ELj1ELj8ELNS0_26block_radix_rank_algorithmE2ELNS0_18block_padding_hintE2ELNS0_4arch9wavefront6targetE0EE19radix_bits_per_passE ; @_ZN7rocprim17ROCPRIM_400000_NS16block_radix_sortIsLj256ELj2ElLj1ELj1ELj8ELNS0_26block_radix_rank_algorithmE2ELNS0_18block_padding_hintE2ELNS0_4arch9wavefront6targetE0EE19radix_bits_per_passE
	.type	_ZN7rocprim17ROCPRIM_400000_NS16block_radix_sortIsLj256ELj2ElLj1ELj1ELj8ELNS0_26block_radix_rank_algorithmE2ELNS0_18block_padding_hintE2ELNS0_4arch9wavefront6targetE0EE19radix_bits_per_passE,@object
	.section	.rodata._ZN7rocprim17ROCPRIM_400000_NS16block_radix_sortIsLj256ELj2ElLj1ELj1ELj8ELNS0_26block_radix_rank_algorithmE2ELNS0_18block_padding_hintE2ELNS0_4arch9wavefront6targetE0EE19radix_bits_per_passE,"aG",@progbits,_ZN7rocprim17ROCPRIM_400000_NS16block_radix_sortIsLj256ELj2ElLj1ELj1ELj8ELNS0_26block_radix_rank_algorithmE2ELNS0_18block_padding_hintE2ELNS0_4arch9wavefront6targetE0EE19radix_bits_per_passE,comdat
	.weak	_ZN7rocprim17ROCPRIM_400000_NS16block_radix_sortIsLj256ELj2ElLj1ELj1ELj8ELNS0_26block_radix_rank_algorithmE2ELNS0_18block_padding_hintE2ELNS0_4arch9wavefront6targetE0EE19radix_bits_per_passE
	.p2align	2, 0x0
_ZN7rocprim17ROCPRIM_400000_NS16block_radix_sortIsLj256ELj2ElLj1ELj1ELj8ELNS0_26block_radix_rank_algorithmE2ELNS0_18block_padding_hintE2ELNS0_4arch9wavefront6targetE0EE19radix_bits_per_passE:
	.long	8                               ; 0x8
	.size	_ZN7rocprim17ROCPRIM_400000_NS16block_radix_sortIsLj256ELj2ElLj1ELj1ELj8ELNS0_26block_radix_rank_algorithmE2ELNS0_18block_padding_hintE2ELNS0_4arch9wavefront6targetE0EE19radix_bits_per_passE, 4

	.protected	_ZN7rocprim17ROCPRIM_400000_NS16block_radix_sortIsLj256ELj4ElLj1ELj1ELj8ELNS0_26block_radix_rank_algorithmE2ELNS0_18block_padding_hintE2ELNS0_4arch9wavefront6targetE0EE19radix_bits_per_passE ; @_ZN7rocprim17ROCPRIM_400000_NS16block_radix_sortIsLj256ELj4ElLj1ELj1ELj8ELNS0_26block_radix_rank_algorithmE2ELNS0_18block_padding_hintE2ELNS0_4arch9wavefront6targetE0EE19radix_bits_per_passE
	.type	_ZN7rocprim17ROCPRIM_400000_NS16block_radix_sortIsLj256ELj4ElLj1ELj1ELj8ELNS0_26block_radix_rank_algorithmE2ELNS0_18block_padding_hintE2ELNS0_4arch9wavefront6targetE0EE19radix_bits_per_passE,@object
	.section	.rodata._ZN7rocprim17ROCPRIM_400000_NS16block_radix_sortIsLj256ELj4ElLj1ELj1ELj8ELNS0_26block_radix_rank_algorithmE2ELNS0_18block_padding_hintE2ELNS0_4arch9wavefront6targetE0EE19radix_bits_per_passE,"aG",@progbits,_ZN7rocprim17ROCPRIM_400000_NS16block_radix_sortIsLj256ELj4ElLj1ELj1ELj8ELNS0_26block_radix_rank_algorithmE2ELNS0_18block_padding_hintE2ELNS0_4arch9wavefront6targetE0EE19radix_bits_per_passE,comdat
	.weak	_ZN7rocprim17ROCPRIM_400000_NS16block_radix_sortIsLj256ELj4ElLj1ELj1ELj8ELNS0_26block_radix_rank_algorithmE2ELNS0_18block_padding_hintE2ELNS0_4arch9wavefront6targetE0EE19radix_bits_per_passE
	.p2align	2, 0x0
_ZN7rocprim17ROCPRIM_400000_NS16block_radix_sortIsLj256ELj4ElLj1ELj1ELj8ELNS0_26block_radix_rank_algorithmE2ELNS0_18block_padding_hintE2ELNS0_4arch9wavefront6targetE0EE19radix_bits_per_passE:
	.long	8                               ; 0x8
	.size	_ZN7rocprim17ROCPRIM_400000_NS16block_radix_sortIsLj256ELj4ElLj1ELj1ELj8ELNS0_26block_radix_rank_algorithmE2ELNS0_18block_padding_hintE2ELNS0_4arch9wavefront6targetE0EE19radix_bits_per_passE, 4

	.protected	_ZN7rocprim17ROCPRIM_400000_NS16block_radix_sortIsLj256ELj8ElLj1ELj1ELj8ELNS0_26block_radix_rank_algorithmE2ELNS0_18block_padding_hintE2ELNS0_4arch9wavefront6targetE0EE19radix_bits_per_passE ; @_ZN7rocprim17ROCPRIM_400000_NS16block_radix_sortIsLj256ELj8ElLj1ELj1ELj8ELNS0_26block_radix_rank_algorithmE2ELNS0_18block_padding_hintE2ELNS0_4arch9wavefront6targetE0EE19radix_bits_per_passE
	.type	_ZN7rocprim17ROCPRIM_400000_NS16block_radix_sortIsLj256ELj8ElLj1ELj1ELj8ELNS0_26block_radix_rank_algorithmE2ELNS0_18block_padding_hintE2ELNS0_4arch9wavefront6targetE0EE19radix_bits_per_passE,@object
	.section	.rodata._ZN7rocprim17ROCPRIM_400000_NS16block_radix_sortIsLj256ELj8ElLj1ELj1ELj8ELNS0_26block_radix_rank_algorithmE2ELNS0_18block_padding_hintE2ELNS0_4arch9wavefront6targetE0EE19radix_bits_per_passE,"aG",@progbits,_ZN7rocprim17ROCPRIM_400000_NS16block_radix_sortIsLj256ELj8ElLj1ELj1ELj8ELNS0_26block_radix_rank_algorithmE2ELNS0_18block_padding_hintE2ELNS0_4arch9wavefront6targetE0EE19radix_bits_per_passE,comdat
	.weak	_ZN7rocprim17ROCPRIM_400000_NS16block_radix_sortIsLj256ELj8ElLj1ELj1ELj8ELNS0_26block_radix_rank_algorithmE2ELNS0_18block_padding_hintE2ELNS0_4arch9wavefront6targetE0EE19radix_bits_per_passE
	.p2align	2, 0x0
_ZN7rocprim17ROCPRIM_400000_NS16block_radix_sortIsLj256ELj8ElLj1ELj1ELj8ELNS0_26block_radix_rank_algorithmE2ELNS0_18block_padding_hintE2ELNS0_4arch9wavefront6targetE0EE19radix_bits_per_passE:
	.long	8                               ; 0x8
	.size	_ZN7rocprim17ROCPRIM_400000_NS16block_radix_sortIsLj256ELj8ElLj1ELj1ELj8ELNS0_26block_radix_rank_algorithmE2ELNS0_18block_padding_hintE2ELNS0_4arch9wavefront6targetE0EE19radix_bits_per_passE, 4

	.protected	_ZN7rocprim17ROCPRIM_400000_NS16block_radix_sortIdLj256ELj1ElLj1ELj1ELj8ELNS0_26block_radix_rank_algorithmE2ELNS0_18block_padding_hintE2ELNS0_4arch9wavefront6targetE0EE19radix_bits_per_passE ; @_ZN7rocprim17ROCPRIM_400000_NS16block_radix_sortIdLj256ELj1ElLj1ELj1ELj8ELNS0_26block_radix_rank_algorithmE2ELNS0_18block_padding_hintE2ELNS0_4arch9wavefront6targetE0EE19radix_bits_per_passE
	.type	_ZN7rocprim17ROCPRIM_400000_NS16block_radix_sortIdLj256ELj1ElLj1ELj1ELj8ELNS0_26block_radix_rank_algorithmE2ELNS0_18block_padding_hintE2ELNS0_4arch9wavefront6targetE0EE19radix_bits_per_passE,@object
	.section	.rodata._ZN7rocprim17ROCPRIM_400000_NS16block_radix_sortIdLj256ELj1ElLj1ELj1ELj8ELNS0_26block_radix_rank_algorithmE2ELNS0_18block_padding_hintE2ELNS0_4arch9wavefront6targetE0EE19radix_bits_per_passE,"aG",@progbits,_ZN7rocprim17ROCPRIM_400000_NS16block_radix_sortIdLj256ELj1ElLj1ELj1ELj8ELNS0_26block_radix_rank_algorithmE2ELNS0_18block_padding_hintE2ELNS0_4arch9wavefront6targetE0EE19radix_bits_per_passE,comdat
	.weak	_ZN7rocprim17ROCPRIM_400000_NS16block_radix_sortIdLj256ELj1ElLj1ELj1ELj8ELNS0_26block_radix_rank_algorithmE2ELNS0_18block_padding_hintE2ELNS0_4arch9wavefront6targetE0EE19radix_bits_per_passE
	.p2align	2, 0x0
_ZN7rocprim17ROCPRIM_400000_NS16block_radix_sortIdLj256ELj1ElLj1ELj1ELj8ELNS0_26block_radix_rank_algorithmE2ELNS0_18block_padding_hintE2ELNS0_4arch9wavefront6targetE0EE19radix_bits_per_passE:
	.long	8                               ; 0x8
	.size	_ZN7rocprim17ROCPRIM_400000_NS16block_radix_sortIdLj256ELj1ElLj1ELj1ELj8ELNS0_26block_radix_rank_algorithmE2ELNS0_18block_padding_hintE2ELNS0_4arch9wavefront6targetE0EE19radix_bits_per_passE, 4

	.protected	_ZN7rocprim17ROCPRIM_400000_NS16block_radix_sortIdLj256ELj2ElLj1ELj1ELj8ELNS0_26block_radix_rank_algorithmE2ELNS0_18block_padding_hintE2ELNS0_4arch9wavefront6targetE0EE19radix_bits_per_passE ; @_ZN7rocprim17ROCPRIM_400000_NS16block_radix_sortIdLj256ELj2ElLj1ELj1ELj8ELNS0_26block_radix_rank_algorithmE2ELNS0_18block_padding_hintE2ELNS0_4arch9wavefront6targetE0EE19radix_bits_per_passE
	.type	_ZN7rocprim17ROCPRIM_400000_NS16block_radix_sortIdLj256ELj2ElLj1ELj1ELj8ELNS0_26block_radix_rank_algorithmE2ELNS0_18block_padding_hintE2ELNS0_4arch9wavefront6targetE0EE19radix_bits_per_passE,@object
	.section	.rodata._ZN7rocprim17ROCPRIM_400000_NS16block_radix_sortIdLj256ELj2ElLj1ELj1ELj8ELNS0_26block_radix_rank_algorithmE2ELNS0_18block_padding_hintE2ELNS0_4arch9wavefront6targetE0EE19radix_bits_per_passE,"aG",@progbits,_ZN7rocprim17ROCPRIM_400000_NS16block_radix_sortIdLj256ELj2ElLj1ELj1ELj8ELNS0_26block_radix_rank_algorithmE2ELNS0_18block_padding_hintE2ELNS0_4arch9wavefront6targetE0EE19radix_bits_per_passE,comdat
	.weak	_ZN7rocprim17ROCPRIM_400000_NS16block_radix_sortIdLj256ELj2ElLj1ELj1ELj8ELNS0_26block_radix_rank_algorithmE2ELNS0_18block_padding_hintE2ELNS0_4arch9wavefront6targetE0EE19radix_bits_per_passE
	.p2align	2, 0x0
_ZN7rocprim17ROCPRIM_400000_NS16block_radix_sortIdLj256ELj2ElLj1ELj1ELj8ELNS0_26block_radix_rank_algorithmE2ELNS0_18block_padding_hintE2ELNS0_4arch9wavefront6targetE0EE19radix_bits_per_passE:
	.long	8                               ; 0x8
	.size	_ZN7rocprim17ROCPRIM_400000_NS16block_radix_sortIdLj256ELj2ElLj1ELj1ELj8ELNS0_26block_radix_rank_algorithmE2ELNS0_18block_padding_hintE2ELNS0_4arch9wavefront6targetE0EE19radix_bits_per_passE, 4

	.protected	_ZN7rocprim17ROCPRIM_400000_NS16block_radix_sortIdLj256ELj4ElLj1ELj1ELj8ELNS0_26block_radix_rank_algorithmE2ELNS0_18block_padding_hintE2ELNS0_4arch9wavefront6targetE0EE19radix_bits_per_passE ; @_ZN7rocprim17ROCPRIM_400000_NS16block_radix_sortIdLj256ELj4ElLj1ELj1ELj8ELNS0_26block_radix_rank_algorithmE2ELNS0_18block_padding_hintE2ELNS0_4arch9wavefront6targetE0EE19radix_bits_per_passE
	.type	_ZN7rocprim17ROCPRIM_400000_NS16block_radix_sortIdLj256ELj4ElLj1ELj1ELj8ELNS0_26block_radix_rank_algorithmE2ELNS0_18block_padding_hintE2ELNS0_4arch9wavefront6targetE0EE19radix_bits_per_passE,@object
	.section	.rodata._ZN7rocprim17ROCPRIM_400000_NS16block_radix_sortIdLj256ELj4ElLj1ELj1ELj8ELNS0_26block_radix_rank_algorithmE2ELNS0_18block_padding_hintE2ELNS0_4arch9wavefront6targetE0EE19radix_bits_per_passE,"aG",@progbits,_ZN7rocprim17ROCPRIM_400000_NS16block_radix_sortIdLj256ELj4ElLj1ELj1ELj8ELNS0_26block_radix_rank_algorithmE2ELNS0_18block_padding_hintE2ELNS0_4arch9wavefront6targetE0EE19radix_bits_per_passE,comdat
	.weak	_ZN7rocprim17ROCPRIM_400000_NS16block_radix_sortIdLj256ELj4ElLj1ELj1ELj8ELNS0_26block_radix_rank_algorithmE2ELNS0_18block_padding_hintE2ELNS0_4arch9wavefront6targetE0EE19radix_bits_per_passE
	.p2align	2, 0x0
_ZN7rocprim17ROCPRIM_400000_NS16block_radix_sortIdLj256ELj4ElLj1ELj1ELj8ELNS0_26block_radix_rank_algorithmE2ELNS0_18block_padding_hintE2ELNS0_4arch9wavefront6targetE0EE19radix_bits_per_passE:
	.long	8                               ; 0x8
	.size	_ZN7rocprim17ROCPRIM_400000_NS16block_radix_sortIdLj256ELj4ElLj1ELj1ELj8ELNS0_26block_radix_rank_algorithmE2ELNS0_18block_padding_hintE2ELNS0_4arch9wavefront6targetE0EE19radix_bits_per_passE, 4

	.protected	_ZN7rocprim17ROCPRIM_400000_NS16block_radix_sortIdLj256ELj8ElLj1ELj1ELj8ELNS0_26block_radix_rank_algorithmE2ELNS0_18block_padding_hintE2ELNS0_4arch9wavefront6targetE0EE19radix_bits_per_passE ; @_ZN7rocprim17ROCPRIM_400000_NS16block_radix_sortIdLj256ELj8ElLj1ELj1ELj8ELNS0_26block_radix_rank_algorithmE2ELNS0_18block_padding_hintE2ELNS0_4arch9wavefront6targetE0EE19radix_bits_per_passE
	.type	_ZN7rocprim17ROCPRIM_400000_NS16block_radix_sortIdLj256ELj8ElLj1ELj1ELj8ELNS0_26block_radix_rank_algorithmE2ELNS0_18block_padding_hintE2ELNS0_4arch9wavefront6targetE0EE19radix_bits_per_passE,@object
	.section	.rodata._ZN7rocprim17ROCPRIM_400000_NS16block_radix_sortIdLj256ELj8ElLj1ELj1ELj8ELNS0_26block_radix_rank_algorithmE2ELNS0_18block_padding_hintE2ELNS0_4arch9wavefront6targetE0EE19radix_bits_per_passE,"aG",@progbits,_ZN7rocprim17ROCPRIM_400000_NS16block_radix_sortIdLj256ELj8ElLj1ELj1ELj8ELNS0_26block_radix_rank_algorithmE2ELNS0_18block_padding_hintE2ELNS0_4arch9wavefront6targetE0EE19radix_bits_per_passE,comdat
	.weak	_ZN7rocprim17ROCPRIM_400000_NS16block_radix_sortIdLj256ELj8ElLj1ELj1ELj8ELNS0_26block_radix_rank_algorithmE2ELNS0_18block_padding_hintE2ELNS0_4arch9wavefront6targetE0EE19radix_bits_per_passE
	.p2align	2, 0x0
_ZN7rocprim17ROCPRIM_400000_NS16block_radix_sortIdLj256ELj8ElLj1ELj1ELj8ELNS0_26block_radix_rank_algorithmE2ELNS0_18block_padding_hintE2ELNS0_4arch9wavefront6targetE0EE19radix_bits_per_passE:
	.long	8                               ; 0x8
	.size	_ZN7rocprim17ROCPRIM_400000_NS16block_radix_sortIdLj256ELj8ElLj1ELj1ELj8ELNS0_26block_radix_rank_algorithmE2ELNS0_18block_padding_hintE2ELNS0_4arch9wavefront6targetE0EE19radix_bits_per_passE, 4

	.protected	_ZN7rocprim17ROCPRIM_400000_NS16block_radix_sortIdLj256ELj16ElLj1ELj1ELj8ELNS0_26block_radix_rank_algorithmE2ELNS0_18block_padding_hintE2ELNS0_4arch9wavefront6targetE0EE19radix_bits_per_passE ; @_ZN7rocprim17ROCPRIM_400000_NS16block_radix_sortIdLj256ELj16ElLj1ELj1ELj8ELNS0_26block_radix_rank_algorithmE2ELNS0_18block_padding_hintE2ELNS0_4arch9wavefront6targetE0EE19radix_bits_per_passE
	.type	_ZN7rocprim17ROCPRIM_400000_NS16block_radix_sortIdLj256ELj16ElLj1ELj1ELj8ELNS0_26block_radix_rank_algorithmE2ELNS0_18block_padding_hintE2ELNS0_4arch9wavefront6targetE0EE19radix_bits_per_passE,@object
	.section	.rodata._ZN7rocprim17ROCPRIM_400000_NS16block_radix_sortIdLj256ELj16ElLj1ELj1ELj8ELNS0_26block_radix_rank_algorithmE2ELNS0_18block_padding_hintE2ELNS0_4arch9wavefront6targetE0EE19radix_bits_per_passE,"aG",@progbits,_ZN7rocprim17ROCPRIM_400000_NS16block_radix_sortIdLj256ELj16ElLj1ELj1ELj8ELNS0_26block_radix_rank_algorithmE2ELNS0_18block_padding_hintE2ELNS0_4arch9wavefront6targetE0EE19radix_bits_per_passE,comdat
	.weak	_ZN7rocprim17ROCPRIM_400000_NS16block_radix_sortIdLj256ELj16ElLj1ELj1ELj8ELNS0_26block_radix_rank_algorithmE2ELNS0_18block_padding_hintE2ELNS0_4arch9wavefront6targetE0EE19radix_bits_per_passE
	.p2align	2, 0x0
_ZN7rocprim17ROCPRIM_400000_NS16block_radix_sortIdLj256ELj16ElLj1ELj1ELj8ELNS0_26block_radix_rank_algorithmE2ELNS0_18block_padding_hintE2ELNS0_4arch9wavefront6targetE0EE19radix_bits_per_passE:
	.long	8                               ; 0x8
	.size	_ZN7rocprim17ROCPRIM_400000_NS16block_radix_sortIdLj256ELj16ElLj1ELj1ELj8ELNS0_26block_radix_rank_algorithmE2ELNS0_18block_padding_hintE2ELNS0_4arch9wavefront6targetE0EE19radix_bits_per_passE, 4

	.protected	_ZN7rocprim17ROCPRIM_400000_NS16block_radix_sortIfLj256ELj1ElLj1ELj1ELj8ELNS0_26block_radix_rank_algorithmE2ELNS0_18block_padding_hintE2ELNS0_4arch9wavefront6targetE0EE19radix_bits_per_passE ; @_ZN7rocprim17ROCPRIM_400000_NS16block_radix_sortIfLj256ELj1ElLj1ELj1ELj8ELNS0_26block_radix_rank_algorithmE2ELNS0_18block_padding_hintE2ELNS0_4arch9wavefront6targetE0EE19radix_bits_per_passE
	.type	_ZN7rocprim17ROCPRIM_400000_NS16block_radix_sortIfLj256ELj1ElLj1ELj1ELj8ELNS0_26block_radix_rank_algorithmE2ELNS0_18block_padding_hintE2ELNS0_4arch9wavefront6targetE0EE19radix_bits_per_passE,@object
	.section	.rodata._ZN7rocprim17ROCPRIM_400000_NS16block_radix_sortIfLj256ELj1ElLj1ELj1ELj8ELNS0_26block_radix_rank_algorithmE2ELNS0_18block_padding_hintE2ELNS0_4arch9wavefront6targetE0EE19radix_bits_per_passE,"aG",@progbits,_ZN7rocprim17ROCPRIM_400000_NS16block_radix_sortIfLj256ELj1ElLj1ELj1ELj8ELNS0_26block_radix_rank_algorithmE2ELNS0_18block_padding_hintE2ELNS0_4arch9wavefront6targetE0EE19radix_bits_per_passE,comdat
	.weak	_ZN7rocprim17ROCPRIM_400000_NS16block_radix_sortIfLj256ELj1ElLj1ELj1ELj8ELNS0_26block_radix_rank_algorithmE2ELNS0_18block_padding_hintE2ELNS0_4arch9wavefront6targetE0EE19radix_bits_per_passE
	.p2align	2, 0x0
_ZN7rocprim17ROCPRIM_400000_NS16block_radix_sortIfLj256ELj1ElLj1ELj1ELj8ELNS0_26block_radix_rank_algorithmE2ELNS0_18block_padding_hintE2ELNS0_4arch9wavefront6targetE0EE19radix_bits_per_passE:
	.long	8                               ; 0x8
	.size	_ZN7rocprim17ROCPRIM_400000_NS16block_radix_sortIfLj256ELj1ElLj1ELj1ELj8ELNS0_26block_radix_rank_algorithmE2ELNS0_18block_padding_hintE2ELNS0_4arch9wavefront6targetE0EE19radix_bits_per_passE, 4

	.protected	_ZN7rocprim17ROCPRIM_400000_NS16block_radix_sortIfLj256ELj2ElLj1ELj1ELj8ELNS0_26block_radix_rank_algorithmE2ELNS0_18block_padding_hintE2ELNS0_4arch9wavefront6targetE0EE19radix_bits_per_passE ; @_ZN7rocprim17ROCPRIM_400000_NS16block_radix_sortIfLj256ELj2ElLj1ELj1ELj8ELNS0_26block_radix_rank_algorithmE2ELNS0_18block_padding_hintE2ELNS0_4arch9wavefront6targetE0EE19radix_bits_per_passE
	.type	_ZN7rocprim17ROCPRIM_400000_NS16block_radix_sortIfLj256ELj2ElLj1ELj1ELj8ELNS0_26block_radix_rank_algorithmE2ELNS0_18block_padding_hintE2ELNS0_4arch9wavefront6targetE0EE19radix_bits_per_passE,@object
	.section	.rodata._ZN7rocprim17ROCPRIM_400000_NS16block_radix_sortIfLj256ELj2ElLj1ELj1ELj8ELNS0_26block_radix_rank_algorithmE2ELNS0_18block_padding_hintE2ELNS0_4arch9wavefront6targetE0EE19radix_bits_per_passE,"aG",@progbits,_ZN7rocprim17ROCPRIM_400000_NS16block_radix_sortIfLj256ELj2ElLj1ELj1ELj8ELNS0_26block_radix_rank_algorithmE2ELNS0_18block_padding_hintE2ELNS0_4arch9wavefront6targetE0EE19radix_bits_per_passE,comdat
	.weak	_ZN7rocprim17ROCPRIM_400000_NS16block_radix_sortIfLj256ELj2ElLj1ELj1ELj8ELNS0_26block_radix_rank_algorithmE2ELNS0_18block_padding_hintE2ELNS0_4arch9wavefront6targetE0EE19radix_bits_per_passE
	.p2align	2, 0x0
_ZN7rocprim17ROCPRIM_400000_NS16block_radix_sortIfLj256ELj2ElLj1ELj1ELj8ELNS0_26block_radix_rank_algorithmE2ELNS0_18block_padding_hintE2ELNS0_4arch9wavefront6targetE0EE19radix_bits_per_passE:
	.long	8                               ; 0x8
	.size	_ZN7rocprim17ROCPRIM_400000_NS16block_radix_sortIfLj256ELj2ElLj1ELj1ELj8ELNS0_26block_radix_rank_algorithmE2ELNS0_18block_padding_hintE2ELNS0_4arch9wavefront6targetE0EE19radix_bits_per_passE, 4

	.protected	_ZN7rocprim17ROCPRIM_400000_NS16block_radix_sortIfLj256ELj4ElLj1ELj1ELj8ELNS0_26block_radix_rank_algorithmE2ELNS0_18block_padding_hintE2ELNS0_4arch9wavefront6targetE0EE19radix_bits_per_passE ; @_ZN7rocprim17ROCPRIM_400000_NS16block_radix_sortIfLj256ELj4ElLj1ELj1ELj8ELNS0_26block_radix_rank_algorithmE2ELNS0_18block_padding_hintE2ELNS0_4arch9wavefront6targetE0EE19radix_bits_per_passE
	.type	_ZN7rocprim17ROCPRIM_400000_NS16block_radix_sortIfLj256ELj4ElLj1ELj1ELj8ELNS0_26block_radix_rank_algorithmE2ELNS0_18block_padding_hintE2ELNS0_4arch9wavefront6targetE0EE19radix_bits_per_passE,@object
	.section	.rodata._ZN7rocprim17ROCPRIM_400000_NS16block_radix_sortIfLj256ELj4ElLj1ELj1ELj8ELNS0_26block_radix_rank_algorithmE2ELNS0_18block_padding_hintE2ELNS0_4arch9wavefront6targetE0EE19radix_bits_per_passE,"aG",@progbits,_ZN7rocprim17ROCPRIM_400000_NS16block_radix_sortIfLj256ELj4ElLj1ELj1ELj8ELNS0_26block_radix_rank_algorithmE2ELNS0_18block_padding_hintE2ELNS0_4arch9wavefront6targetE0EE19radix_bits_per_passE,comdat
	.weak	_ZN7rocprim17ROCPRIM_400000_NS16block_radix_sortIfLj256ELj4ElLj1ELj1ELj8ELNS0_26block_radix_rank_algorithmE2ELNS0_18block_padding_hintE2ELNS0_4arch9wavefront6targetE0EE19radix_bits_per_passE
	.p2align	2, 0x0
_ZN7rocprim17ROCPRIM_400000_NS16block_radix_sortIfLj256ELj4ElLj1ELj1ELj8ELNS0_26block_radix_rank_algorithmE2ELNS0_18block_padding_hintE2ELNS0_4arch9wavefront6targetE0EE19radix_bits_per_passE:
	.long	8                               ; 0x8
	.size	_ZN7rocprim17ROCPRIM_400000_NS16block_radix_sortIfLj256ELj4ElLj1ELj1ELj8ELNS0_26block_radix_rank_algorithmE2ELNS0_18block_padding_hintE2ELNS0_4arch9wavefront6targetE0EE19radix_bits_per_passE, 4

	.protected	_ZN7rocprim17ROCPRIM_400000_NS16block_radix_sortIfLj256ELj8ElLj1ELj1ELj8ELNS0_26block_radix_rank_algorithmE2ELNS0_18block_padding_hintE2ELNS0_4arch9wavefront6targetE0EE19radix_bits_per_passE ; @_ZN7rocprim17ROCPRIM_400000_NS16block_radix_sortIfLj256ELj8ElLj1ELj1ELj8ELNS0_26block_radix_rank_algorithmE2ELNS0_18block_padding_hintE2ELNS0_4arch9wavefront6targetE0EE19radix_bits_per_passE
	.type	_ZN7rocprim17ROCPRIM_400000_NS16block_radix_sortIfLj256ELj8ElLj1ELj1ELj8ELNS0_26block_radix_rank_algorithmE2ELNS0_18block_padding_hintE2ELNS0_4arch9wavefront6targetE0EE19radix_bits_per_passE,@object
	.section	.rodata._ZN7rocprim17ROCPRIM_400000_NS16block_radix_sortIfLj256ELj8ElLj1ELj1ELj8ELNS0_26block_radix_rank_algorithmE2ELNS0_18block_padding_hintE2ELNS0_4arch9wavefront6targetE0EE19radix_bits_per_passE,"aG",@progbits,_ZN7rocprim17ROCPRIM_400000_NS16block_radix_sortIfLj256ELj8ElLj1ELj1ELj8ELNS0_26block_radix_rank_algorithmE2ELNS0_18block_padding_hintE2ELNS0_4arch9wavefront6targetE0EE19radix_bits_per_passE,comdat
	.weak	_ZN7rocprim17ROCPRIM_400000_NS16block_radix_sortIfLj256ELj8ElLj1ELj1ELj8ELNS0_26block_radix_rank_algorithmE2ELNS0_18block_padding_hintE2ELNS0_4arch9wavefront6targetE0EE19radix_bits_per_passE
	.p2align	2, 0x0
_ZN7rocprim17ROCPRIM_400000_NS16block_radix_sortIfLj256ELj8ElLj1ELj1ELj8ELNS0_26block_radix_rank_algorithmE2ELNS0_18block_padding_hintE2ELNS0_4arch9wavefront6targetE0EE19radix_bits_per_passE:
	.long	8                               ; 0x8
	.size	_ZN7rocprim17ROCPRIM_400000_NS16block_radix_sortIfLj256ELj8ElLj1ELj1ELj8ELNS0_26block_radix_rank_algorithmE2ELNS0_18block_padding_hintE2ELNS0_4arch9wavefront6targetE0EE19radix_bits_per_passE, 4

	.protected	_ZN7rocprim17ROCPRIM_400000_NS16block_radix_sortIfLj256ELj16ElLj1ELj1ELj8ELNS0_26block_radix_rank_algorithmE2ELNS0_18block_padding_hintE2ELNS0_4arch9wavefront6targetE0EE19radix_bits_per_passE ; @_ZN7rocprim17ROCPRIM_400000_NS16block_radix_sortIfLj256ELj16ElLj1ELj1ELj8ELNS0_26block_radix_rank_algorithmE2ELNS0_18block_padding_hintE2ELNS0_4arch9wavefront6targetE0EE19radix_bits_per_passE
	.type	_ZN7rocprim17ROCPRIM_400000_NS16block_radix_sortIfLj256ELj16ElLj1ELj1ELj8ELNS0_26block_radix_rank_algorithmE2ELNS0_18block_padding_hintE2ELNS0_4arch9wavefront6targetE0EE19radix_bits_per_passE,@object
	.section	.rodata._ZN7rocprim17ROCPRIM_400000_NS16block_radix_sortIfLj256ELj16ElLj1ELj1ELj8ELNS0_26block_radix_rank_algorithmE2ELNS0_18block_padding_hintE2ELNS0_4arch9wavefront6targetE0EE19radix_bits_per_passE,"aG",@progbits,_ZN7rocprim17ROCPRIM_400000_NS16block_radix_sortIfLj256ELj16ElLj1ELj1ELj8ELNS0_26block_radix_rank_algorithmE2ELNS0_18block_padding_hintE2ELNS0_4arch9wavefront6targetE0EE19radix_bits_per_passE,comdat
	.weak	_ZN7rocprim17ROCPRIM_400000_NS16block_radix_sortIfLj256ELj16ElLj1ELj1ELj8ELNS0_26block_radix_rank_algorithmE2ELNS0_18block_padding_hintE2ELNS0_4arch9wavefront6targetE0EE19radix_bits_per_passE
	.p2align	2, 0x0
_ZN7rocprim17ROCPRIM_400000_NS16block_radix_sortIfLj256ELj16ElLj1ELj1ELj8ELNS0_26block_radix_rank_algorithmE2ELNS0_18block_padding_hintE2ELNS0_4arch9wavefront6targetE0EE19radix_bits_per_passE:
	.long	8                               ; 0x8
	.size	_ZN7rocprim17ROCPRIM_400000_NS16block_radix_sortIfLj256ELj16ElLj1ELj1ELj8ELNS0_26block_radix_rank_algorithmE2ELNS0_18block_padding_hintE2ELNS0_4arch9wavefront6targetE0EE19radix_bits_per_passE, 4

	.protected	_ZN7rocprim17ROCPRIM_400000_NS16block_radix_sortIbLj256ELj1ElLj1ELj1ELj8ELNS0_26block_radix_rank_algorithmE2ELNS0_18block_padding_hintE2ELNS0_4arch9wavefront6targetE0EE19radix_bits_per_passE ; @_ZN7rocprim17ROCPRIM_400000_NS16block_radix_sortIbLj256ELj1ElLj1ELj1ELj8ELNS0_26block_radix_rank_algorithmE2ELNS0_18block_padding_hintE2ELNS0_4arch9wavefront6targetE0EE19radix_bits_per_passE
	.type	_ZN7rocprim17ROCPRIM_400000_NS16block_radix_sortIbLj256ELj1ElLj1ELj1ELj8ELNS0_26block_radix_rank_algorithmE2ELNS0_18block_padding_hintE2ELNS0_4arch9wavefront6targetE0EE19radix_bits_per_passE,@object
	.section	.rodata._ZN7rocprim17ROCPRIM_400000_NS16block_radix_sortIbLj256ELj1ElLj1ELj1ELj8ELNS0_26block_radix_rank_algorithmE2ELNS0_18block_padding_hintE2ELNS0_4arch9wavefront6targetE0EE19radix_bits_per_passE,"aG",@progbits,_ZN7rocprim17ROCPRIM_400000_NS16block_radix_sortIbLj256ELj1ElLj1ELj1ELj8ELNS0_26block_radix_rank_algorithmE2ELNS0_18block_padding_hintE2ELNS0_4arch9wavefront6targetE0EE19radix_bits_per_passE,comdat
	.weak	_ZN7rocprim17ROCPRIM_400000_NS16block_radix_sortIbLj256ELj1ElLj1ELj1ELj8ELNS0_26block_radix_rank_algorithmE2ELNS0_18block_padding_hintE2ELNS0_4arch9wavefront6targetE0EE19radix_bits_per_passE
	.p2align	2, 0x0
_ZN7rocprim17ROCPRIM_400000_NS16block_radix_sortIbLj256ELj1ElLj1ELj1ELj8ELNS0_26block_radix_rank_algorithmE2ELNS0_18block_padding_hintE2ELNS0_4arch9wavefront6targetE0EE19radix_bits_per_passE:
	.long	8                               ; 0x8
	.size	_ZN7rocprim17ROCPRIM_400000_NS16block_radix_sortIbLj256ELj1ElLj1ELj1ELj8ELNS0_26block_radix_rank_algorithmE2ELNS0_18block_padding_hintE2ELNS0_4arch9wavefront6targetE0EE19radix_bits_per_passE, 4

	.protected	_ZN7rocprim17ROCPRIM_400000_NS16block_radix_sortIbLj256ELj2ElLj1ELj1ELj8ELNS0_26block_radix_rank_algorithmE2ELNS0_18block_padding_hintE2ELNS0_4arch9wavefront6targetE0EE19radix_bits_per_passE ; @_ZN7rocprim17ROCPRIM_400000_NS16block_radix_sortIbLj256ELj2ElLj1ELj1ELj8ELNS0_26block_radix_rank_algorithmE2ELNS0_18block_padding_hintE2ELNS0_4arch9wavefront6targetE0EE19radix_bits_per_passE
	.type	_ZN7rocprim17ROCPRIM_400000_NS16block_radix_sortIbLj256ELj2ElLj1ELj1ELj8ELNS0_26block_radix_rank_algorithmE2ELNS0_18block_padding_hintE2ELNS0_4arch9wavefront6targetE0EE19radix_bits_per_passE,@object
	.section	.rodata._ZN7rocprim17ROCPRIM_400000_NS16block_radix_sortIbLj256ELj2ElLj1ELj1ELj8ELNS0_26block_radix_rank_algorithmE2ELNS0_18block_padding_hintE2ELNS0_4arch9wavefront6targetE0EE19radix_bits_per_passE,"aG",@progbits,_ZN7rocprim17ROCPRIM_400000_NS16block_radix_sortIbLj256ELj2ElLj1ELj1ELj8ELNS0_26block_radix_rank_algorithmE2ELNS0_18block_padding_hintE2ELNS0_4arch9wavefront6targetE0EE19radix_bits_per_passE,comdat
	.weak	_ZN7rocprim17ROCPRIM_400000_NS16block_radix_sortIbLj256ELj2ElLj1ELj1ELj8ELNS0_26block_radix_rank_algorithmE2ELNS0_18block_padding_hintE2ELNS0_4arch9wavefront6targetE0EE19radix_bits_per_passE
	.p2align	2, 0x0
_ZN7rocprim17ROCPRIM_400000_NS16block_radix_sortIbLj256ELj2ElLj1ELj1ELj8ELNS0_26block_radix_rank_algorithmE2ELNS0_18block_padding_hintE2ELNS0_4arch9wavefront6targetE0EE19radix_bits_per_passE:
	.long	8                               ; 0x8
	.size	_ZN7rocprim17ROCPRIM_400000_NS16block_radix_sortIbLj256ELj2ElLj1ELj1ELj8ELNS0_26block_radix_rank_algorithmE2ELNS0_18block_padding_hintE2ELNS0_4arch9wavefront6targetE0EE19radix_bits_per_passE, 4

	.protected	_ZN7rocprim17ROCPRIM_400000_NS16block_radix_sortIbLj256ELj4ElLj1ELj1ELj8ELNS0_26block_radix_rank_algorithmE2ELNS0_18block_padding_hintE2ELNS0_4arch9wavefront6targetE0EE19radix_bits_per_passE ; @_ZN7rocprim17ROCPRIM_400000_NS16block_radix_sortIbLj256ELj4ElLj1ELj1ELj8ELNS0_26block_radix_rank_algorithmE2ELNS0_18block_padding_hintE2ELNS0_4arch9wavefront6targetE0EE19radix_bits_per_passE
	.type	_ZN7rocprim17ROCPRIM_400000_NS16block_radix_sortIbLj256ELj4ElLj1ELj1ELj8ELNS0_26block_radix_rank_algorithmE2ELNS0_18block_padding_hintE2ELNS0_4arch9wavefront6targetE0EE19radix_bits_per_passE,@object
	.section	.rodata._ZN7rocprim17ROCPRIM_400000_NS16block_radix_sortIbLj256ELj4ElLj1ELj1ELj8ELNS0_26block_radix_rank_algorithmE2ELNS0_18block_padding_hintE2ELNS0_4arch9wavefront6targetE0EE19radix_bits_per_passE,"aG",@progbits,_ZN7rocprim17ROCPRIM_400000_NS16block_radix_sortIbLj256ELj4ElLj1ELj1ELj8ELNS0_26block_radix_rank_algorithmE2ELNS0_18block_padding_hintE2ELNS0_4arch9wavefront6targetE0EE19radix_bits_per_passE,comdat
	.weak	_ZN7rocprim17ROCPRIM_400000_NS16block_radix_sortIbLj256ELj4ElLj1ELj1ELj8ELNS0_26block_radix_rank_algorithmE2ELNS0_18block_padding_hintE2ELNS0_4arch9wavefront6targetE0EE19radix_bits_per_passE
	.p2align	2, 0x0
_ZN7rocprim17ROCPRIM_400000_NS16block_radix_sortIbLj256ELj4ElLj1ELj1ELj8ELNS0_26block_radix_rank_algorithmE2ELNS0_18block_padding_hintE2ELNS0_4arch9wavefront6targetE0EE19radix_bits_per_passE:
	.long	8                               ; 0x8
	.size	_ZN7rocprim17ROCPRIM_400000_NS16block_radix_sortIbLj256ELj4ElLj1ELj1ELj8ELNS0_26block_radix_rank_algorithmE2ELNS0_18block_padding_hintE2ELNS0_4arch9wavefront6targetE0EE19radix_bits_per_passE, 4

	.protected	_ZN7rocprim17ROCPRIM_400000_NS16block_radix_sortIbLj256ELj8ElLj1ELj1ELj8ELNS0_26block_radix_rank_algorithmE2ELNS0_18block_padding_hintE2ELNS0_4arch9wavefront6targetE0EE19radix_bits_per_passE ; @_ZN7rocprim17ROCPRIM_400000_NS16block_radix_sortIbLj256ELj8ElLj1ELj1ELj8ELNS0_26block_radix_rank_algorithmE2ELNS0_18block_padding_hintE2ELNS0_4arch9wavefront6targetE0EE19radix_bits_per_passE
	.type	_ZN7rocprim17ROCPRIM_400000_NS16block_radix_sortIbLj256ELj8ElLj1ELj1ELj8ELNS0_26block_radix_rank_algorithmE2ELNS0_18block_padding_hintE2ELNS0_4arch9wavefront6targetE0EE19radix_bits_per_passE,@object
	.section	.rodata._ZN7rocprim17ROCPRIM_400000_NS16block_radix_sortIbLj256ELj8ElLj1ELj1ELj8ELNS0_26block_radix_rank_algorithmE2ELNS0_18block_padding_hintE2ELNS0_4arch9wavefront6targetE0EE19radix_bits_per_passE,"aG",@progbits,_ZN7rocprim17ROCPRIM_400000_NS16block_radix_sortIbLj256ELj8ElLj1ELj1ELj8ELNS0_26block_radix_rank_algorithmE2ELNS0_18block_padding_hintE2ELNS0_4arch9wavefront6targetE0EE19radix_bits_per_passE,comdat
	.weak	_ZN7rocprim17ROCPRIM_400000_NS16block_radix_sortIbLj256ELj8ElLj1ELj1ELj8ELNS0_26block_radix_rank_algorithmE2ELNS0_18block_padding_hintE2ELNS0_4arch9wavefront6targetE0EE19radix_bits_per_passE
	.p2align	2, 0x0
_ZN7rocprim17ROCPRIM_400000_NS16block_radix_sortIbLj256ELj8ElLj1ELj1ELj8ELNS0_26block_radix_rank_algorithmE2ELNS0_18block_padding_hintE2ELNS0_4arch9wavefront6targetE0EE19radix_bits_per_passE:
	.long	8                               ; 0x8
	.size	_ZN7rocprim17ROCPRIM_400000_NS16block_radix_sortIbLj256ELj8ElLj1ELj1ELj8ELNS0_26block_radix_rank_algorithmE2ELNS0_18block_padding_hintE2ELNS0_4arch9wavefront6targetE0EE19radix_bits_per_passE, 4

	.protected	_ZN7rocprim17ROCPRIM_400000_NS16block_radix_sortI6__halfLj256ELj1ElLj1ELj1ELj8ELNS0_26block_radix_rank_algorithmE2ELNS0_18block_padding_hintE2ELNS0_4arch9wavefront6targetE0EE19radix_bits_per_passE ; @_ZN7rocprim17ROCPRIM_400000_NS16block_radix_sortI6__halfLj256ELj1ElLj1ELj1ELj8ELNS0_26block_radix_rank_algorithmE2ELNS0_18block_padding_hintE2ELNS0_4arch9wavefront6targetE0EE19radix_bits_per_passE
	.type	_ZN7rocprim17ROCPRIM_400000_NS16block_radix_sortI6__halfLj256ELj1ElLj1ELj1ELj8ELNS0_26block_radix_rank_algorithmE2ELNS0_18block_padding_hintE2ELNS0_4arch9wavefront6targetE0EE19radix_bits_per_passE,@object
	.section	.rodata._ZN7rocprim17ROCPRIM_400000_NS16block_radix_sortI6__halfLj256ELj1ElLj1ELj1ELj8ELNS0_26block_radix_rank_algorithmE2ELNS0_18block_padding_hintE2ELNS0_4arch9wavefront6targetE0EE19radix_bits_per_passE,"aG",@progbits,_ZN7rocprim17ROCPRIM_400000_NS16block_radix_sortI6__halfLj256ELj1ElLj1ELj1ELj8ELNS0_26block_radix_rank_algorithmE2ELNS0_18block_padding_hintE2ELNS0_4arch9wavefront6targetE0EE19radix_bits_per_passE,comdat
	.weak	_ZN7rocprim17ROCPRIM_400000_NS16block_radix_sortI6__halfLj256ELj1ElLj1ELj1ELj8ELNS0_26block_radix_rank_algorithmE2ELNS0_18block_padding_hintE2ELNS0_4arch9wavefront6targetE0EE19radix_bits_per_passE
	.p2align	2, 0x0
_ZN7rocprim17ROCPRIM_400000_NS16block_radix_sortI6__halfLj256ELj1ElLj1ELj1ELj8ELNS0_26block_radix_rank_algorithmE2ELNS0_18block_padding_hintE2ELNS0_4arch9wavefront6targetE0EE19radix_bits_per_passE:
	.long	8                               ; 0x8
	.size	_ZN7rocprim17ROCPRIM_400000_NS16block_radix_sortI6__halfLj256ELj1ElLj1ELj1ELj8ELNS0_26block_radix_rank_algorithmE2ELNS0_18block_padding_hintE2ELNS0_4arch9wavefront6targetE0EE19radix_bits_per_passE, 4

	.protected	_ZN7rocprim17ROCPRIM_400000_NS16block_radix_sortI6__halfLj256ELj2ElLj1ELj1ELj8ELNS0_26block_radix_rank_algorithmE2ELNS0_18block_padding_hintE2ELNS0_4arch9wavefront6targetE0EE19radix_bits_per_passE ; @_ZN7rocprim17ROCPRIM_400000_NS16block_radix_sortI6__halfLj256ELj2ElLj1ELj1ELj8ELNS0_26block_radix_rank_algorithmE2ELNS0_18block_padding_hintE2ELNS0_4arch9wavefront6targetE0EE19radix_bits_per_passE
	.type	_ZN7rocprim17ROCPRIM_400000_NS16block_radix_sortI6__halfLj256ELj2ElLj1ELj1ELj8ELNS0_26block_radix_rank_algorithmE2ELNS0_18block_padding_hintE2ELNS0_4arch9wavefront6targetE0EE19radix_bits_per_passE,@object
	.section	.rodata._ZN7rocprim17ROCPRIM_400000_NS16block_radix_sortI6__halfLj256ELj2ElLj1ELj1ELj8ELNS0_26block_radix_rank_algorithmE2ELNS0_18block_padding_hintE2ELNS0_4arch9wavefront6targetE0EE19radix_bits_per_passE,"aG",@progbits,_ZN7rocprim17ROCPRIM_400000_NS16block_radix_sortI6__halfLj256ELj2ElLj1ELj1ELj8ELNS0_26block_radix_rank_algorithmE2ELNS0_18block_padding_hintE2ELNS0_4arch9wavefront6targetE0EE19radix_bits_per_passE,comdat
	.weak	_ZN7rocprim17ROCPRIM_400000_NS16block_radix_sortI6__halfLj256ELj2ElLj1ELj1ELj8ELNS0_26block_radix_rank_algorithmE2ELNS0_18block_padding_hintE2ELNS0_4arch9wavefront6targetE0EE19radix_bits_per_passE
	.p2align	2, 0x0
_ZN7rocprim17ROCPRIM_400000_NS16block_radix_sortI6__halfLj256ELj2ElLj1ELj1ELj8ELNS0_26block_radix_rank_algorithmE2ELNS0_18block_padding_hintE2ELNS0_4arch9wavefront6targetE0EE19radix_bits_per_passE:
	.long	8                               ; 0x8
	.size	_ZN7rocprim17ROCPRIM_400000_NS16block_radix_sortI6__halfLj256ELj2ElLj1ELj1ELj8ELNS0_26block_radix_rank_algorithmE2ELNS0_18block_padding_hintE2ELNS0_4arch9wavefront6targetE0EE19radix_bits_per_passE, 4

	.protected	_ZN7rocprim17ROCPRIM_400000_NS16block_radix_sortI6__halfLj256ELj4ElLj1ELj1ELj8ELNS0_26block_radix_rank_algorithmE2ELNS0_18block_padding_hintE2ELNS0_4arch9wavefront6targetE0EE19radix_bits_per_passE ; @_ZN7rocprim17ROCPRIM_400000_NS16block_radix_sortI6__halfLj256ELj4ElLj1ELj1ELj8ELNS0_26block_radix_rank_algorithmE2ELNS0_18block_padding_hintE2ELNS0_4arch9wavefront6targetE0EE19radix_bits_per_passE
	.type	_ZN7rocprim17ROCPRIM_400000_NS16block_radix_sortI6__halfLj256ELj4ElLj1ELj1ELj8ELNS0_26block_radix_rank_algorithmE2ELNS0_18block_padding_hintE2ELNS0_4arch9wavefront6targetE0EE19radix_bits_per_passE,@object
	.section	.rodata._ZN7rocprim17ROCPRIM_400000_NS16block_radix_sortI6__halfLj256ELj4ElLj1ELj1ELj8ELNS0_26block_radix_rank_algorithmE2ELNS0_18block_padding_hintE2ELNS0_4arch9wavefront6targetE0EE19radix_bits_per_passE,"aG",@progbits,_ZN7rocprim17ROCPRIM_400000_NS16block_radix_sortI6__halfLj256ELj4ElLj1ELj1ELj8ELNS0_26block_radix_rank_algorithmE2ELNS0_18block_padding_hintE2ELNS0_4arch9wavefront6targetE0EE19radix_bits_per_passE,comdat
	.weak	_ZN7rocprim17ROCPRIM_400000_NS16block_radix_sortI6__halfLj256ELj4ElLj1ELj1ELj8ELNS0_26block_radix_rank_algorithmE2ELNS0_18block_padding_hintE2ELNS0_4arch9wavefront6targetE0EE19radix_bits_per_passE
	.p2align	2, 0x0
_ZN7rocprim17ROCPRIM_400000_NS16block_radix_sortI6__halfLj256ELj4ElLj1ELj1ELj8ELNS0_26block_radix_rank_algorithmE2ELNS0_18block_padding_hintE2ELNS0_4arch9wavefront6targetE0EE19radix_bits_per_passE:
	.long	8                               ; 0x8
	.size	_ZN7rocprim17ROCPRIM_400000_NS16block_radix_sortI6__halfLj256ELj4ElLj1ELj1ELj8ELNS0_26block_radix_rank_algorithmE2ELNS0_18block_padding_hintE2ELNS0_4arch9wavefront6targetE0EE19radix_bits_per_passE, 4

	.protected	_ZN7rocprim17ROCPRIM_400000_NS16block_radix_sortI6__halfLj256ELj8ElLj1ELj1ELj8ELNS0_26block_radix_rank_algorithmE2ELNS0_18block_padding_hintE2ELNS0_4arch9wavefront6targetE0EE19radix_bits_per_passE ; @_ZN7rocprim17ROCPRIM_400000_NS16block_radix_sortI6__halfLj256ELj8ElLj1ELj1ELj8ELNS0_26block_radix_rank_algorithmE2ELNS0_18block_padding_hintE2ELNS0_4arch9wavefront6targetE0EE19radix_bits_per_passE
	.type	_ZN7rocprim17ROCPRIM_400000_NS16block_radix_sortI6__halfLj256ELj8ElLj1ELj1ELj8ELNS0_26block_radix_rank_algorithmE2ELNS0_18block_padding_hintE2ELNS0_4arch9wavefront6targetE0EE19radix_bits_per_passE,@object
	.section	.rodata._ZN7rocprim17ROCPRIM_400000_NS16block_radix_sortI6__halfLj256ELj8ElLj1ELj1ELj8ELNS0_26block_radix_rank_algorithmE2ELNS0_18block_padding_hintE2ELNS0_4arch9wavefront6targetE0EE19radix_bits_per_passE,"aG",@progbits,_ZN7rocprim17ROCPRIM_400000_NS16block_radix_sortI6__halfLj256ELj8ElLj1ELj1ELj8ELNS0_26block_radix_rank_algorithmE2ELNS0_18block_padding_hintE2ELNS0_4arch9wavefront6targetE0EE19radix_bits_per_passE,comdat
	.weak	_ZN7rocprim17ROCPRIM_400000_NS16block_radix_sortI6__halfLj256ELj8ElLj1ELj1ELj8ELNS0_26block_radix_rank_algorithmE2ELNS0_18block_padding_hintE2ELNS0_4arch9wavefront6targetE0EE19radix_bits_per_passE
	.p2align	2, 0x0
_ZN7rocprim17ROCPRIM_400000_NS16block_radix_sortI6__halfLj256ELj8ElLj1ELj1ELj8ELNS0_26block_radix_rank_algorithmE2ELNS0_18block_padding_hintE2ELNS0_4arch9wavefront6targetE0EE19radix_bits_per_passE:
	.long	8                               ; 0x8
	.size	_ZN7rocprim17ROCPRIM_400000_NS16block_radix_sortI6__halfLj256ELj8ElLj1ELj1ELj8ELNS0_26block_radix_rank_algorithmE2ELNS0_18block_padding_hintE2ELNS0_4arch9wavefront6targetE0EE19radix_bits_per_passE, 4

	.protected	_ZN7rocprim17ROCPRIM_400000_NS16block_radix_sortI12hip_bfloat16Lj256ELj1ElLj1ELj1ELj8ELNS0_26block_radix_rank_algorithmE2ELNS0_18block_padding_hintE2ELNS0_4arch9wavefront6targetE0EE19radix_bits_per_passE ; @_ZN7rocprim17ROCPRIM_400000_NS16block_radix_sortI12hip_bfloat16Lj256ELj1ElLj1ELj1ELj8ELNS0_26block_radix_rank_algorithmE2ELNS0_18block_padding_hintE2ELNS0_4arch9wavefront6targetE0EE19radix_bits_per_passE
	.type	_ZN7rocprim17ROCPRIM_400000_NS16block_radix_sortI12hip_bfloat16Lj256ELj1ElLj1ELj1ELj8ELNS0_26block_radix_rank_algorithmE2ELNS0_18block_padding_hintE2ELNS0_4arch9wavefront6targetE0EE19radix_bits_per_passE,@object
	.section	.rodata._ZN7rocprim17ROCPRIM_400000_NS16block_radix_sortI12hip_bfloat16Lj256ELj1ElLj1ELj1ELj8ELNS0_26block_radix_rank_algorithmE2ELNS0_18block_padding_hintE2ELNS0_4arch9wavefront6targetE0EE19radix_bits_per_passE,"aG",@progbits,_ZN7rocprim17ROCPRIM_400000_NS16block_radix_sortI12hip_bfloat16Lj256ELj1ElLj1ELj1ELj8ELNS0_26block_radix_rank_algorithmE2ELNS0_18block_padding_hintE2ELNS0_4arch9wavefront6targetE0EE19radix_bits_per_passE,comdat
	.weak	_ZN7rocprim17ROCPRIM_400000_NS16block_radix_sortI12hip_bfloat16Lj256ELj1ElLj1ELj1ELj8ELNS0_26block_radix_rank_algorithmE2ELNS0_18block_padding_hintE2ELNS0_4arch9wavefront6targetE0EE19radix_bits_per_passE
	.p2align	2, 0x0
_ZN7rocprim17ROCPRIM_400000_NS16block_radix_sortI12hip_bfloat16Lj256ELj1ElLj1ELj1ELj8ELNS0_26block_radix_rank_algorithmE2ELNS0_18block_padding_hintE2ELNS0_4arch9wavefront6targetE0EE19radix_bits_per_passE:
	.long	8                               ; 0x8
	.size	_ZN7rocprim17ROCPRIM_400000_NS16block_radix_sortI12hip_bfloat16Lj256ELj1ElLj1ELj1ELj8ELNS0_26block_radix_rank_algorithmE2ELNS0_18block_padding_hintE2ELNS0_4arch9wavefront6targetE0EE19radix_bits_per_passE, 4

	.protected	_ZN7rocprim17ROCPRIM_400000_NS16block_radix_sortI12hip_bfloat16Lj256ELj2ElLj1ELj1ELj8ELNS0_26block_radix_rank_algorithmE2ELNS0_18block_padding_hintE2ELNS0_4arch9wavefront6targetE0EE19radix_bits_per_passE ; @_ZN7rocprim17ROCPRIM_400000_NS16block_radix_sortI12hip_bfloat16Lj256ELj2ElLj1ELj1ELj8ELNS0_26block_radix_rank_algorithmE2ELNS0_18block_padding_hintE2ELNS0_4arch9wavefront6targetE0EE19radix_bits_per_passE
	.type	_ZN7rocprim17ROCPRIM_400000_NS16block_radix_sortI12hip_bfloat16Lj256ELj2ElLj1ELj1ELj8ELNS0_26block_radix_rank_algorithmE2ELNS0_18block_padding_hintE2ELNS0_4arch9wavefront6targetE0EE19radix_bits_per_passE,@object
	.section	.rodata._ZN7rocprim17ROCPRIM_400000_NS16block_radix_sortI12hip_bfloat16Lj256ELj2ElLj1ELj1ELj8ELNS0_26block_radix_rank_algorithmE2ELNS0_18block_padding_hintE2ELNS0_4arch9wavefront6targetE0EE19radix_bits_per_passE,"aG",@progbits,_ZN7rocprim17ROCPRIM_400000_NS16block_radix_sortI12hip_bfloat16Lj256ELj2ElLj1ELj1ELj8ELNS0_26block_radix_rank_algorithmE2ELNS0_18block_padding_hintE2ELNS0_4arch9wavefront6targetE0EE19radix_bits_per_passE,comdat
	.weak	_ZN7rocprim17ROCPRIM_400000_NS16block_radix_sortI12hip_bfloat16Lj256ELj2ElLj1ELj1ELj8ELNS0_26block_radix_rank_algorithmE2ELNS0_18block_padding_hintE2ELNS0_4arch9wavefront6targetE0EE19radix_bits_per_passE
	.p2align	2, 0x0
_ZN7rocprim17ROCPRIM_400000_NS16block_radix_sortI12hip_bfloat16Lj256ELj2ElLj1ELj1ELj8ELNS0_26block_radix_rank_algorithmE2ELNS0_18block_padding_hintE2ELNS0_4arch9wavefront6targetE0EE19radix_bits_per_passE:
	.long	8                               ; 0x8
	.size	_ZN7rocprim17ROCPRIM_400000_NS16block_radix_sortI12hip_bfloat16Lj256ELj2ElLj1ELj1ELj8ELNS0_26block_radix_rank_algorithmE2ELNS0_18block_padding_hintE2ELNS0_4arch9wavefront6targetE0EE19radix_bits_per_passE, 4

	.protected	_ZN7rocprim17ROCPRIM_400000_NS16block_radix_sortI12hip_bfloat16Lj256ELj4ElLj1ELj1ELj8ELNS0_26block_radix_rank_algorithmE2ELNS0_18block_padding_hintE2ELNS0_4arch9wavefront6targetE0EE19radix_bits_per_passE ; @_ZN7rocprim17ROCPRIM_400000_NS16block_radix_sortI12hip_bfloat16Lj256ELj4ElLj1ELj1ELj8ELNS0_26block_radix_rank_algorithmE2ELNS0_18block_padding_hintE2ELNS0_4arch9wavefront6targetE0EE19radix_bits_per_passE
	.type	_ZN7rocprim17ROCPRIM_400000_NS16block_radix_sortI12hip_bfloat16Lj256ELj4ElLj1ELj1ELj8ELNS0_26block_radix_rank_algorithmE2ELNS0_18block_padding_hintE2ELNS0_4arch9wavefront6targetE0EE19radix_bits_per_passE,@object
	.section	.rodata._ZN7rocprim17ROCPRIM_400000_NS16block_radix_sortI12hip_bfloat16Lj256ELj4ElLj1ELj1ELj8ELNS0_26block_radix_rank_algorithmE2ELNS0_18block_padding_hintE2ELNS0_4arch9wavefront6targetE0EE19radix_bits_per_passE,"aG",@progbits,_ZN7rocprim17ROCPRIM_400000_NS16block_radix_sortI12hip_bfloat16Lj256ELj4ElLj1ELj1ELj8ELNS0_26block_radix_rank_algorithmE2ELNS0_18block_padding_hintE2ELNS0_4arch9wavefront6targetE0EE19radix_bits_per_passE,comdat
	.weak	_ZN7rocprim17ROCPRIM_400000_NS16block_radix_sortI12hip_bfloat16Lj256ELj4ElLj1ELj1ELj8ELNS0_26block_radix_rank_algorithmE2ELNS0_18block_padding_hintE2ELNS0_4arch9wavefront6targetE0EE19radix_bits_per_passE
	.p2align	2, 0x0
_ZN7rocprim17ROCPRIM_400000_NS16block_radix_sortI12hip_bfloat16Lj256ELj4ElLj1ELj1ELj8ELNS0_26block_radix_rank_algorithmE2ELNS0_18block_padding_hintE2ELNS0_4arch9wavefront6targetE0EE19radix_bits_per_passE:
	.long	8                               ; 0x8
	.size	_ZN7rocprim17ROCPRIM_400000_NS16block_radix_sortI12hip_bfloat16Lj256ELj4ElLj1ELj1ELj8ELNS0_26block_radix_rank_algorithmE2ELNS0_18block_padding_hintE2ELNS0_4arch9wavefront6targetE0EE19radix_bits_per_passE, 4

	.protected	_ZN7rocprim17ROCPRIM_400000_NS16block_radix_sortI12hip_bfloat16Lj256ELj8ElLj1ELj1ELj8ELNS0_26block_radix_rank_algorithmE2ELNS0_18block_padding_hintE2ELNS0_4arch9wavefront6targetE0EE19radix_bits_per_passE ; @_ZN7rocprim17ROCPRIM_400000_NS16block_radix_sortI12hip_bfloat16Lj256ELj8ElLj1ELj1ELj8ELNS0_26block_radix_rank_algorithmE2ELNS0_18block_padding_hintE2ELNS0_4arch9wavefront6targetE0EE19radix_bits_per_passE
	.type	_ZN7rocprim17ROCPRIM_400000_NS16block_radix_sortI12hip_bfloat16Lj256ELj8ElLj1ELj1ELj8ELNS0_26block_radix_rank_algorithmE2ELNS0_18block_padding_hintE2ELNS0_4arch9wavefront6targetE0EE19radix_bits_per_passE,@object
	.section	.rodata._ZN7rocprim17ROCPRIM_400000_NS16block_radix_sortI12hip_bfloat16Lj256ELj8ElLj1ELj1ELj8ELNS0_26block_radix_rank_algorithmE2ELNS0_18block_padding_hintE2ELNS0_4arch9wavefront6targetE0EE19radix_bits_per_passE,"aG",@progbits,_ZN7rocprim17ROCPRIM_400000_NS16block_radix_sortI12hip_bfloat16Lj256ELj8ElLj1ELj1ELj8ELNS0_26block_radix_rank_algorithmE2ELNS0_18block_padding_hintE2ELNS0_4arch9wavefront6targetE0EE19radix_bits_per_passE,comdat
	.weak	_ZN7rocprim17ROCPRIM_400000_NS16block_radix_sortI12hip_bfloat16Lj256ELj8ElLj1ELj1ELj8ELNS0_26block_radix_rank_algorithmE2ELNS0_18block_padding_hintE2ELNS0_4arch9wavefront6targetE0EE19radix_bits_per_passE
	.p2align	2, 0x0
_ZN7rocprim17ROCPRIM_400000_NS16block_radix_sortI12hip_bfloat16Lj256ELj8ElLj1ELj1ELj8ELNS0_26block_radix_rank_algorithmE2ELNS0_18block_padding_hintE2ELNS0_4arch9wavefront6targetE0EE19radix_bits_per_passE:
	.long	8                               ; 0x8
	.size	_ZN7rocprim17ROCPRIM_400000_NS16block_radix_sortI12hip_bfloat16Lj256ELj8ElLj1ELj1ELj8ELNS0_26block_radix_rank_algorithmE2ELNS0_18block_padding_hintE2ELNS0_4arch9wavefront6targetE0EE19radix_bits_per_passE, 4

	.type	__hip_cuid_ee4e33e762ee4615,@object ; @__hip_cuid_ee4e33e762ee4615
	.section	.bss,"aw",@nobits
	.globl	__hip_cuid_ee4e33e762ee4615
__hip_cuid_ee4e33e762ee4615:
	.byte	0                               ; 0x0
	.size	__hip_cuid_ee4e33e762ee4615, 1

	.ident	"AMD clang version 22.0.0git (https://github.com/RadeonOpenCompute/llvm-project roc-7.2.4 26084 f58b06dce1f9c15707c5f808fd002e18c2accf7e)"
	.section	".note.GNU-stack","",@progbits
	.addrsig
	.addrsig_sym __hip_cuid_ee4e33e762ee4615
	.amdgpu_metadata
---
amdhsa.kernels:
  - .args:
      - .address_space:  global
        .offset:         0
        .size:           8
        .value_kind:     global_buffer
      - .offset:         8
        .size:           4
        .value_kind:     by_value
      - .offset:         12
        .size:           12
        .value_kind:     by_value
      - .offset:         24
        .size:           4
        .value_kind:     hidden_block_count_x
      - .offset:         28
        .size:           4
        .value_kind:     hidden_block_count_y
      - .offset:         32
        .size:           4
        .value_kind:     hidden_block_count_z
      - .offset:         36
        .size:           2
        .value_kind:     hidden_group_size_x
      - .offset:         38
        .size:           2
        .value_kind:     hidden_group_size_y
      - .offset:         40
        .size:           2
        .value_kind:     hidden_group_size_z
      - .offset:         42
        .size:           2
        .value_kind:     hidden_remainder_x
      - .offset:         44
        .size:           2
        .value_kind:     hidden_remainder_y
      - .offset:         46
        .size:           2
        .value_kind:     hidden_remainder_z
      - .offset:         64
        .size:           8
        .value_kind:     hidden_global_offset_x
      - .offset:         72
        .size:           8
        .value_kind:     hidden_global_offset_y
      - .offset:         80
        .size:           8
        .value_kind:     hidden_global_offset_z
      - .offset:         88
        .size:           2
        .value_kind:     hidden_grid_dims
    .group_segment_fixed_size: 0
    .kernarg_segment_align: 8
    .kernarg_segment_size: 280
    .language:       OpenCL C
    .language_version:
      - 2
      - 0
    .max_flat_workgroup_size: 1024
    .name:           _ZN2at6native12_GLOBAL__N_129fill_index_and_segment_kernelEP15HIP_vector_typeIiLj2EEiNS_4cuda6detail10IntDividerIjEE
    .private_segment_fixed_size: 0
    .sgpr_count:     18
    .sgpr_spill_count: 0
    .symbol:         _ZN2at6native12_GLOBAL__N_129fill_index_and_segment_kernelEP15HIP_vector_typeIiLj2EEiNS_4cuda6detail10IntDividerIjEE.kd
    .uniform_work_group_size: 1
    .uses_dynamic_stack: false
    .vgpr_count:     13
    .vgpr_spill_count: 0
    .wavefront_size: 32
    .workgroup_processor_mode: 1
  - .args:
      - .address_space:  global
        .offset:         0
        .size:           8
        .value_kind:     global_buffer
      - .offset:         8
        .size:           4
        .value_kind:     by_value
      - .offset:         12
        .size:           12
        .value_kind:     by_value
      - .offset:         24
        .size:           4
        .value_kind:     hidden_block_count_x
      - .offset:         28
        .size:           4
        .value_kind:     hidden_block_count_y
      - .offset:         32
        .size:           4
        .value_kind:     hidden_block_count_z
      - .offset:         36
        .size:           2
        .value_kind:     hidden_group_size_x
      - .offset:         38
        .size:           2
        .value_kind:     hidden_group_size_y
      - .offset:         40
        .size:           2
        .value_kind:     hidden_group_size_z
      - .offset:         42
        .size:           2
        .value_kind:     hidden_remainder_x
      - .offset:         44
        .size:           2
        .value_kind:     hidden_remainder_y
      - .offset:         46
        .size:           2
        .value_kind:     hidden_remainder_z
      - .offset:         64
        .size:           8
        .value_kind:     hidden_global_offset_x
      - .offset:         72
        .size:           8
        .value_kind:     hidden_global_offset_y
      - .offset:         80
        .size:           8
        .value_kind:     hidden_global_offset_z
      - .offset:         88
        .size:           2
        .value_kind:     hidden_grid_dims
    .group_segment_fixed_size: 0
    .kernarg_segment_align: 8
    .kernarg_segment_size: 280
    .language:       OpenCL C
    .language_version:
      - 2
      - 0
    .max_flat_workgroup_size: 1024
    .name:           _ZN2at6native12_GLOBAL__N_127fill_reverse_indices_kernelEPliNS_4cuda6detail10IntDividerIjEE
    .private_segment_fixed_size: 0
    .sgpr_count:     18
    .sgpr_spill_count: 0
    .symbol:         _ZN2at6native12_GLOBAL__N_127fill_reverse_indices_kernelEPliNS_4cuda6detail10IntDividerIjEE.kd
    .uniform_work_group_size: 1
    .uses_dynamic_stack: false
    .vgpr_count:     12
    .vgpr_spill_count: 0
    .wavefront_size: 32
    .workgroup_processor_mode: 1
  - .args:
      - .address_space:  global
        .offset:         0
        .size:           8
        .value_kind:     global_buffer
      - .address_space:  global
        .offset:         8
        .size:           8
        .value_kind:     global_buffer
      - .address_space:  global
        .offset:         16
        .size:           8
        .value_kind:     global_buffer
      - .address_space:  global
        .offset:         24
        .size:           8
        .value_kind:     global_buffer
      - .offset:         32
        .size:           4
        .value_kind:     by_value
      - .offset:         36
        .size:           4
        .value_kind:     by_value
      - .offset:         40
        .size:           4
        .value_kind:     hidden_block_count_x
      - .offset:         44
        .size:           4
        .value_kind:     hidden_block_count_y
      - .offset:         48
        .size:           4
        .value_kind:     hidden_block_count_z
      - .offset:         52
        .size:           2
        .value_kind:     hidden_group_size_x
      - .offset:         54
        .size:           2
        .value_kind:     hidden_group_size_y
      - .offset:         56
        .size:           2
        .value_kind:     hidden_group_size_z
      - .offset:         58
        .size:           2
        .value_kind:     hidden_remainder_x
      - .offset:         60
        .size:           2
        .value_kind:     hidden_remainder_y
      - .offset:         62
        .size:           2
        .value_kind:     hidden_remainder_z
      - .offset:         80
        .size:           8
        .value_kind:     hidden_global_offset_x
      - .offset:         88
        .size:           8
        .value_kind:     hidden_global_offset_y
      - .offset:         96
        .size:           8
        .value_kind:     hidden_global_offset_z
      - .offset:         104
        .size:           2
        .value_kind:     hidden_grid_dims
    .group_segment_fixed_size: 0
    .kernarg_segment_align: 8
    .kernarg_segment_size: 296
    .language:       OpenCL C
    .language_version:
      - 2
      - 0
    .max_flat_workgroup_size: 1024
    .name:           _ZN2at6native12_GLOBAL__N_123sort_postprocess_kernelIhEEvPKT_PS3_PlPK15HIP_vector_typeIiLj2EEii
    .private_segment_fixed_size: 0
    .sgpr_count:     21
    .sgpr_spill_count: 0
    .symbol:         _ZN2at6native12_GLOBAL__N_123sort_postprocess_kernelIhEEvPKT_PS3_PlPK15HIP_vector_typeIiLj2EEii.kd
    .uniform_work_group_size: 1
    .uses_dynamic_stack: false
    .vgpr_count:     14
    .vgpr_spill_count: 0
    .wavefront_size: 32
    .workgroup_processor_mode: 1
  - .args:
      - .address_space:  global
        .offset:         0
        .size:           8
        .value_kind:     global_buffer
      - .offset:         8
        .size:           4
        .value_kind:     by_value
      - .offset:         12
        .size:           1
        .value_kind:     by_value
      - .offset:         16
        .size:           4
        .value_kind:     by_value
      - .address_space:  global
        .offset:         24
        .size:           8
        .value_kind:     global_buffer
      - .offset:         32
        .size:           4
        .value_kind:     hidden_block_count_x
      - .offset:         36
        .size:           4
        .value_kind:     hidden_block_count_y
      - .offset:         40
        .size:           4
        .value_kind:     hidden_block_count_z
      - .offset:         44
        .size:           2
        .value_kind:     hidden_group_size_x
      - .offset:         46
        .size:           2
        .value_kind:     hidden_group_size_y
      - .offset:         48
        .size:           2
        .value_kind:     hidden_group_size_z
      - .offset:         50
        .size:           2
        .value_kind:     hidden_remainder_x
      - .offset:         52
        .size:           2
        .value_kind:     hidden_remainder_y
      - .offset:         54
        .size:           2
        .value_kind:     hidden_remainder_z
      - .offset:         72
        .size:           8
        .value_kind:     hidden_global_offset_x
      - .offset:         80
        .size:           8
        .value_kind:     hidden_global_offset_y
      - .offset:         88
        .size:           8
        .value_kind:     hidden_global_offset_z
      - .offset:         96
        .size:           2
        .value_kind:     hidden_grid_dims
    .group_segment_fixed_size: 0
    .kernarg_segment_align: 8
    .kernarg_segment_size: 288
    .language:       OpenCL C
    .language_version:
      - 2
      - 0
    .max_flat_workgroup_size: 256
    .name:           _ZN7rocprim17ROCPRIM_400000_NS6detail31init_lookback_scan_state_kernelINS1_19lookback_scan_stateI15HIP_vector_typeIjLj2EELb0ELb1EEENS1_16block_id_wrapperIjLb0EEEEEvT_jT0_jPNS9_10value_typeE
    .private_segment_fixed_size: 0
    .sgpr_count:     11
    .sgpr_spill_count: 0
    .symbol:         _ZN7rocprim17ROCPRIM_400000_NS6detail31init_lookback_scan_state_kernelINS1_19lookback_scan_stateI15HIP_vector_typeIjLj2EELb0ELb1EEENS1_16block_id_wrapperIjLb0EEEEEvT_jT0_jPNS9_10value_typeE.kd
    .uniform_work_group_size: 1
    .uses_dynamic_stack: false
    .vgpr_count:     8
    .vgpr_spill_count: 0
    .wavefront_size: 32
    .workgroup_processor_mode: 1
  - .args:
      - .offset:         0
        .size:           176
        .value_kind:     by_value
    .group_segment_fixed_size: 0
    .kernarg_segment_align: 8
    .kernarg_segment_size: 176
    .language:       OpenCL C
    .language_version:
      - 2
      - 0
    .max_flat_workgroup_size: 256
    .name:           _ZN7rocprim17ROCPRIM_400000_NS6detail17trampoline_kernelINS0_13select_configILj256ELj13ELNS0_17block_load_methodE3ELS4_3ELS4_3ELNS0_20block_scan_algorithmE0ELj4294967295EEENS1_25partition_config_selectorILNS1_17partition_subalgoE4EjNS0_10empty_typeEbEEZZNS1_14partition_implILS8_4ELb0ES6_15HIP_vector_typeIjLj2EENS0_17counting_iteratorIjlEEPS9_SG_NS0_5tupleIJPjSI_NS0_16reverse_iteratorISI_EEEEENSH_IJSG_SG_SG_EEES9_SI_JZNS1_25segmented_radix_sort_implINS0_14default_configELb1EPKhPhPKlPlN2at6native12_GLOBAL__N_18offset_tEEE10hipError_tPvRmT1_PNSt15iterator_traitsIS12_E10value_typeET2_T3_PNS13_IS18_E10value_typeET4_jRbjT5_S1E_jjP12ihipStream_tbEUljE_ZNSN_ISO_Lb1ESQ_SR_ST_SU_SY_EESZ_S10_S11_S12_S16_S17_S18_S1B_S1C_jS1D_jS1E_S1E_jjS1G_bEUljE0_EEESZ_S10_S11_S18_S1C_S1E_T6_T7_T9_mT8_S1G_bDpT10_ENKUlT_T0_E_clISt17integral_constantIbLb0EES1U_EEDaS1P_S1Q_EUlS1P_E_NS1_11comp_targetILNS1_3genE0ELNS1_11target_archE4294967295ELNS1_3gpuE0ELNS1_3repE0EEENS1_30default_config_static_selectorELNS0_4arch9wavefront6targetE0EEEvS12_
    .private_segment_fixed_size: 0
    .sgpr_count:     0
    .sgpr_spill_count: 0
    .symbol:         _ZN7rocprim17ROCPRIM_400000_NS6detail17trampoline_kernelINS0_13select_configILj256ELj13ELNS0_17block_load_methodE3ELS4_3ELS4_3ELNS0_20block_scan_algorithmE0ELj4294967295EEENS1_25partition_config_selectorILNS1_17partition_subalgoE4EjNS0_10empty_typeEbEEZZNS1_14partition_implILS8_4ELb0ES6_15HIP_vector_typeIjLj2EENS0_17counting_iteratorIjlEEPS9_SG_NS0_5tupleIJPjSI_NS0_16reverse_iteratorISI_EEEEENSH_IJSG_SG_SG_EEES9_SI_JZNS1_25segmented_radix_sort_implINS0_14default_configELb1EPKhPhPKlPlN2at6native12_GLOBAL__N_18offset_tEEE10hipError_tPvRmT1_PNSt15iterator_traitsIS12_E10value_typeET2_T3_PNS13_IS18_E10value_typeET4_jRbjT5_S1E_jjP12ihipStream_tbEUljE_ZNSN_ISO_Lb1ESQ_SR_ST_SU_SY_EESZ_S10_S11_S12_S16_S17_S18_S1B_S1C_jS1D_jS1E_S1E_jjS1G_bEUljE0_EEESZ_S10_S11_S18_S1C_S1E_T6_T7_T9_mT8_S1G_bDpT10_ENKUlT_T0_E_clISt17integral_constantIbLb0EES1U_EEDaS1P_S1Q_EUlS1P_E_NS1_11comp_targetILNS1_3genE0ELNS1_11target_archE4294967295ELNS1_3gpuE0ELNS1_3repE0EEENS1_30default_config_static_selectorELNS0_4arch9wavefront6targetE0EEEvS12_.kd
    .uniform_work_group_size: 1
    .uses_dynamic_stack: false
    .vgpr_count:     0
    .vgpr_spill_count: 0
    .wavefront_size: 32
    .workgroup_processor_mode: 1
  - .args:
      - .offset:         0
        .size:           176
        .value_kind:     by_value
    .group_segment_fixed_size: 0
    .kernarg_segment_align: 8
    .kernarg_segment_size: 176
    .language:       OpenCL C
    .language_version:
      - 2
      - 0
    .max_flat_workgroup_size: 256
    .name:           _ZN7rocprim17ROCPRIM_400000_NS6detail17trampoline_kernelINS0_13select_configILj256ELj13ELNS0_17block_load_methodE3ELS4_3ELS4_3ELNS0_20block_scan_algorithmE0ELj4294967295EEENS1_25partition_config_selectorILNS1_17partition_subalgoE4EjNS0_10empty_typeEbEEZZNS1_14partition_implILS8_4ELb0ES6_15HIP_vector_typeIjLj2EENS0_17counting_iteratorIjlEEPS9_SG_NS0_5tupleIJPjSI_NS0_16reverse_iteratorISI_EEEEENSH_IJSG_SG_SG_EEES9_SI_JZNS1_25segmented_radix_sort_implINS0_14default_configELb1EPKhPhPKlPlN2at6native12_GLOBAL__N_18offset_tEEE10hipError_tPvRmT1_PNSt15iterator_traitsIS12_E10value_typeET2_T3_PNS13_IS18_E10value_typeET4_jRbjT5_S1E_jjP12ihipStream_tbEUljE_ZNSN_ISO_Lb1ESQ_SR_ST_SU_SY_EESZ_S10_S11_S12_S16_S17_S18_S1B_S1C_jS1D_jS1E_S1E_jjS1G_bEUljE0_EEESZ_S10_S11_S18_S1C_S1E_T6_T7_T9_mT8_S1G_bDpT10_ENKUlT_T0_E_clISt17integral_constantIbLb0EES1U_EEDaS1P_S1Q_EUlS1P_E_NS1_11comp_targetILNS1_3genE5ELNS1_11target_archE942ELNS1_3gpuE9ELNS1_3repE0EEENS1_30default_config_static_selectorELNS0_4arch9wavefront6targetE0EEEvS12_
    .private_segment_fixed_size: 0
    .sgpr_count:     0
    .sgpr_spill_count: 0
    .symbol:         _ZN7rocprim17ROCPRIM_400000_NS6detail17trampoline_kernelINS0_13select_configILj256ELj13ELNS0_17block_load_methodE3ELS4_3ELS4_3ELNS0_20block_scan_algorithmE0ELj4294967295EEENS1_25partition_config_selectorILNS1_17partition_subalgoE4EjNS0_10empty_typeEbEEZZNS1_14partition_implILS8_4ELb0ES6_15HIP_vector_typeIjLj2EENS0_17counting_iteratorIjlEEPS9_SG_NS0_5tupleIJPjSI_NS0_16reverse_iteratorISI_EEEEENSH_IJSG_SG_SG_EEES9_SI_JZNS1_25segmented_radix_sort_implINS0_14default_configELb1EPKhPhPKlPlN2at6native12_GLOBAL__N_18offset_tEEE10hipError_tPvRmT1_PNSt15iterator_traitsIS12_E10value_typeET2_T3_PNS13_IS18_E10value_typeET4_jRbjT5_S1E_jjP12ihipStream_tbEUljE_ZNSN_ISO_Lb1ESQ_SR_ST_SU_SY_EESZ_S10_S11_S12_S16_S17_S18_S1B_S1C_jS1D_jS1E_S1E_jjS1G_bEUljE0_EEESZ_S10_S11_S18_S1C_S1E_T6_T7_T9_mT8_S1G_bDpT10_ENKUlT_T0_E_clISt17integral_constantIbLb0EES1U_EEDaS1P_S1Q_EUlS1P_E_NS1_11comp_targetILNS1_3genE5ELNS1_11target_archE942ELNS1_3gpuE9ELNS1_3repE0EEENS1_30default_config_static_selectorELNS0_4arch9wavefront6targetE0EEEvS12_.kd
    .uniform_work_group_size: 1
    .uses_dynamic_stack: false
    .vgpr_count:     0
    .vgpr_spill_count: 0
    .wavefront_size: 32
    .workgroup_processor_mode: 1
  - .args:
      - .offset:         0
        .size:           176
        .value_kind:     by_value
    .group_segment_fixed_size: 0
    .kernarg_segment_align: 8
    .kernarg_segment_size: 176
    .language:       OpenCL C
    .language_version:
      - 2
      - 0
    .max_flat_workgroup_size: 256
    .name:           _ZN7rocprim17ROCPRIM_400000_NS6detail17trampoline_kernelINS0_13select_configILj256ELj13ELNS0_17block_load_methodE3ELS4_3ELS4_3ELNS0_20block_scan_algorithmE0ELj4294967295EEENS1_25partition_config_selectorILNS1_17partition_subalgoE4EjNS0_10empty_typeEbEEZZNS1_14partition_implILS8_4ELb0ES6_15HIP_vector_typeIjLj2EENS0_17counting_iteratorIjlEEPS9_SG_NS0_5tupleIJPjSI_NS0_16reverse_iteratorISI_EEEEENSH_IJSG_SG_SG_EEES9_SI_JZNS1_25segmented_radix_sort_implINS0_14default_configELb1EPKhPhPKlPlN2at6native12_GLOBAL__N_18offset_tEEE10hipError_tPvRmT1_PNSt15iterator_traitsIS12_E10value_typeET2_T3_PNS13_IS18_E10value_typeET4_jRbjT5_S1E_jjP12ihipStream_tbEUljE_ZNSN_ISO_Lb1ESQ_SR_ST_SU_SY_EESZ_S10_S11_S12_S16_S17_S18_S1B_S1C_jS1D_jS1E_S1E_jjS1G_bEUljE0_EEESZ_S10_S11_S18_S1C_S1E_T6_T7_T9_mT8_S1G_bDpT10_ENKUlT_T0_E_clISt17integral_constantIbLb0EES1U_EEDaS1P_S1Q_EUlS1P_E_NS1_11comp_targetILNS1_3genE4ELNS1_11target_archE910ELNS1_3gpuE8ELNS1_3repE0EEENS1_30default_config_static_selectorELNS0_4arch9wavefront6targetE0EEEvS12_
    .private_segment_fixed_size: 0
    .sgpr_count:     0
    .sgpr_spill_count: 0
    .symbol:         _ZN7rocprim17ROCPRIM_400000_NS6detail17trampoline_kernelINS0_13select_configILj256ELj13ELNS0_17block_load_methodE3ELS4_3ELS4_3ELNS0_20block_scan_algorithmE0ELj4294967295EEENS1_25partition_config_selectorILNS1_17partition_subalgoE4EjNS0_10empty_typeEbEEZZNS1_14partition_implILS8_4ELb0ES6_15HIP_vector_typeIjLj2EENS0_17counting_iteratorIjlEEPS9_SG_NS0_5tupleIJPjSI_NS0_16reverse_iteratorISI_EEEEENSH_IJSG_SG_SG_EEES9_SI_JZNS1_25segmented_radix_sort_implINS0_14default_configELb1EPKhPhPKlPlN2at6native12_GLOBAL__N_18offset_tEEE10hipError_tPvRmT1_PNSt15iterator_traitsIS12_E10value_typeET2_T3_PNS13_IS18_E10value_typeET4_jRbjT5_S1E_jjP12ihipStream_tbEUljE_ZNSN_ISO_Lb1ESQ_SR_ST_SU_SY_EESZ_S10_S11_S12_S16_S17_S18_S1B_S1C_jS1D_jS1E_S1E_jjS1G_bEUljE0_EEESZ_S10_S11_S18_S1C_S1E_T6_T7_T9_mT8_S1G_bDpT10_ENKUlT_T0_E_clISt17integral_constantIbLb0EES1U_EEDaS1P_S1Q_EUlS1P_E_NS1_11comp_targetILNS1_3genE4ELNS1_11target_archE910ELNS1_3gpuE8ELNS1_3repE0EEENS1_30default_config_static_selectorELNS0_4arch9wavefront6targetE0EEEvS12_.kd
    .uniform_work_group_size: 1
    .uses_dynamic_stack: false
    .vgpr_count:     0
    .vgpr_spill_count: 0
    .wavefront_size: 32
    .workgroup_processor_mode: 1
  - .args:
      - .offset:         0
        .size:           176
        .value_kind:     by_value
    .group_segment_fixed_size: 0
    .kernarg_segment_align: 8
    .kernarg_segment_size: 176
    .language:       OpenCL C
    .language_version:
      - 2
      - 0
    .max_flat_workgroup_size: 256
    .name:           _ZN7rocprim17ROCPRIM_400000_NS6detail17trampoline_kernelINS0_13select_configILj256ELj13ELNS0_17block_load_methodE3ELS4_3ELS4_3ELNS0_20block_scan_algorithmE0ELj4294967295EEENS1_25partition_config_selectorILNS1_17partition_subalgoE4EjNS0_10empty_typeEbEEZZNS1_14partition_implILS8_4ELb0ES6_15HIP_vector_typeIjLj2EENS0_17counting_iteratorIjlEEPS9_SG_NS0_5tupleIJPjSI_NS0_16reverse_iteratorISI_EEEEENSH_IJSG_SG_SG_EEES9_SI_JZNS1_25segmented_radix_sort_implINS0_14default_configELb1EPKhPhPKlPlN2at6native12_GLOBAL__N_18offset_tEEE10hipError_tPvRmT1_PNSt15iterator_traitsIS12_E10value_typeET2_T3_PNS13_IS18_E10value_typeET4_jRbjT5_S1E_jjP12ihipStream_tbEUljE_ZNSN_ISO_Lb1ESQ_SR_ST_SU_SY_EESZ_S10_S11_S12_S16_S17_S18_S1B_S1C_jS1D_jS1E_S1E_jjS1G_bEUljE0_EEESZ_S10_S11_S18_S1C_S1E_T6_T7_T9_mT8_S1G_bDpT10_ENKUlT_T0_E_clISt17integral_constantIbLb0EES1U_EEDaS1P_S1Q_EUlS1P_E_NS1_11comp_targetILNS1_3genE3ELNS1_11target_archE908ELNS1_3gpuE7ELNS1_3repE0EEENS1_30default_config_static_selectorELNS0_4arch9wavefront6targetE0EEEvS12_
    .private_segment_fixed_size: 0
    .sgpr_count:     0
    .sgpr_spill_count: 0
    .symbol:         _ZN7rocprim17ROCPRIM_400000_NS6detail17trampoline_kernelINS0_13select_configILj256ELj13ELNS0_17block_load_methodE3ELS4_3ELS4_3ELNS0_20block_scan_algorithmE0ELj4294967295EEENS1_25partition_config_selectorILNS1_17partition_subalgoE4EjNS0_10empty_typeEbEEZZNS1_14partition_implILS8_4ELb0ES6_15HIP_vector_typeIjLj2EENS0_17counting_iteratorIjlEEPS9_SG_NS0_5tupleIJPjSI_NS0_16reverse_iteratorISI_EEEEENSH_IJSG_SG_SG_EEES9_SI_JZNS1_25segmented_radix_sort_implINS0_14default_configELb1EPKhPhPKlPlN2at6native12_GLOBAL__N_18offset_tEEE10hipError_tPvRmT1_PNSt15iterator_traitsIS12_E10value_typeET2_T3_PNS13_IS18_E10value_typeET4_jRbjT5_S1E_jjP12ihipStream_tbEUljE_ZNSN_ISO_Lb1ESQ_SR_ST_SU_SY_EESZ_S10_S11_S12_S16_S17_S18_S1B_S1C_jS1D_jS1E_S1E_jjS1G_bEUljE0_EEESZ_S10_S11_S18_S1C_S1E_T6_T7_T9_mT8_S1G_bDpT10_ENKUlT_T0_E_clISt17integral_constantIbLb0EES1U_EEDaS1P_S1Q_EUlS1P_E_NS1_11comp_targetILNS1_3genE3ELNS1_11target_archE908ELNS1_3gpuE7ELNS1_3repE0EEENS1_30default_config_static_selectorELNS0_4arch9wavefront6targetE0EEEvS12_.kd
    .uniform_work_group_size: 1
    .uses_dynamic_stack: false
    .vgpr_count:     0
    .vgpr_spill_count: 0
    .wavefront_size: 32
    .workgroup_processor_mode: 1
  - .args:
      - .offset:         0
        .size:           176
        .value_kind:     by_value
    .group_segment_fixed_size: 0
    .kernarg_segment_align: 8
    .kernarg_segment_size: 176
    .language:       OpenCL C
    .language_version:
      - 2
      - 0
    .max_flat_workgroup_size: 256
    .name:           _ZN7rocprim17ROCPRIM_400000_NS6detail17trampoline_kernelINS0_13select_configILj256ELj13ELNS0_17block_load_methodE3ELS4_3ELS4_3ELNS0_20block_scan_algorithmE0ELj4294967295EEENS1_25partition_config_selectorILNS1_17partition_subalgoE4EjNS0_10empty_typeEbEEZZNS1_14partition_implILS8_4ELb0ES6_15HIP_vector_typeIjLj2EENS0_17counting_iteratorIjlEEPS9_SG_NS0_5tupleIJPjSI_NS0_16reverse_iteratorISI_EEEEENSH_IJSG_SG_SG_EEES9_SI_JZNS1_25segmented_radix_sort_implINS0_14default_configELb1EPKhPhPKlPlN2at6native12_GLOBAL__N_18offset_tEEE10hipError_tPvRmT1_PNSt15iterator_traitsIS12_E10value_typeET2_T3_PNS13_IS18_E10value_typeET4_jRbjT5_S1E_jjP12ihipStream_tbEUljE_ZNSN_ISO_Lb1ESQ_SR_ST_SU_SY_EESZ_S10_S11_S12_S16_S17_S18_S1B_S1C_jS1D_jS1E_S1E_jjS1G_bEUljE0_EEESZ_S10_S11_S18_S1C_S1E_T6_T7_T9_mT8_S1G_bDpT10_ENKUlT_T0_E_clISt17integral_constantIbLb0EES1U_EEDaS1P_S1Q_EUlS1P_E_NS1_11comp_targetILNS1_3genE2ELNS1_11target_archE906ELNS1_3gpuE6ELNS1_3repE0EEENS1_30default_config_static_selectorELNS0_4arch9wavefront6targetE0EEEvS12_
    .private_segment_fixed_size: 0
    .sgpr_count:     0
    .sgpr_spill_count: 0
    .symbol:         _ZN7rocprim17ROCPRIM_400000_NS6detail17trampoline_kernelINS0_13select_configILj256ELj13ELNS0_17block_load_methodE3ELS4_3ELS4_3ELNS0_20block_scan_algorithmE0ELj4294967295EEENS1_25partition_config_selectorILNS1_17partition_subalgoE4EjNS0_10empty_typeEbEEZZNS1_14partition_implILS8_4ELb0ES6_15HIP_vector_typeIjLj2EENS0_17counting_iteratorIjlEEPS9_SG_NS0_5tupleIJPjSI_NS0_16reverse_iteratorISI_EEEEENSH_IJSG_SG_SG_EEES9_SI_JZNS1_25segmented_radix_sort_implINS0_14default_configELb1EPKhPhPKlPlN2at6native12_GLOBAL__N_18offset_tEEE10hipError_tPvRmT1_PNSt15iterator_traitsIS12_E10value_typeET2_T3_PNS13_IS18_E10value_typeET4_jRbjT5_S1E_jjP12ihipStream_tbEUljE_ZNSN_ISO_Lb1ESQ_SR_ST_SU_SY_EESZ_S10_S11_S12_S16_S17_S18_S1B_S1C_jS1D_jS1E_S1E_jjS1G_bEUljE0_EEESZ_S10_S11_S18_S1C_S1E_T6_T7_T9_mT8_S1G_bDpT10_ENKUlT_T0_E_clISt17integral_constantIbLb0EES1U_EEDaS1P_S1Q_EUlS1P_E_NS1_11comp_targetILNS1_3genE2ELNS1_11target_archE906ELNS1_3gpuE6ELNS1_3repE0EEENS1_30default_config_static_selectorELNS0_4arch9wavefront6targetE0EEEvS12_.kd
    .uniform_work_group_size: 1
    .uses_dynamic_stack: false
    .vgpr_count:     0
    .vgpr_spill_count: 0
    .wavefront_size: 32
    .workgroup_processor_mode: 1
  - .args:
      - .offset:         0
        .size:           176
        .value_kind:     by_value
    .group_segment_fixed_size: 13328
    .kernarg_segment_align: 8
    .kernarg_segment_size: 176
    .language:       OpenCL C
    .language_version:
      - 2
      - 0
    .max_flat_workgroup_size: 256
    .name:           _ZN7rocprim17ROCPRIM_400000_NS6detail17trampoline_kernelINS0_13select_configILj256ELj13ELNS0_17block_load_methodE3ELS4_3ELS4_3ELNS0_20block_scan_algorithmE0ELj4294967295EEENS1_25partition_config_selectorILNS1_17partition_subalgoE4EjNS0_10empty_typeEbEEZZNS1_14partition_implILS8_4ELb0ES6_15HIP_vector_typeIjLj2EENS0_17counting_iteratorIjlEEPS9_SG_NS0_5tupleIJPjSI_NS0_16reverse_iteratorISI_EEEEENSH_IJSG_SG_SG_EEES9_SI_JZNS1_25segmented_radix_sort_implINS0_14default_configELb1EPKhPhPKlPlN2at6native12_GLOBAL__N_18offset_tEEE10hipError_tPvRmT1_PNSt15iterator_traitsIS12_E10value_typeET2_T3_PNS13_IS18_E10value_typeET4_jRbjT5_S1E_jjP12ihipStream_tbEUljE_ZNSN_ISO_Lb1ESQ_SR_ST_SU_SY_EESZ_S10_S11_S12_S16_S17_S18_S1B_S1C_jS1D_jS1E_S1E_jjS1G_bEUljE0_EEESZ_S10_S11_S18_S1C_S1E_T6_T7_T9_mT8_S1G_bDpT10_ENKUlT_T0_E_clISt17integral_constantIbLb0EES1U_EEDaS1P_S1Q_EUlS1P_E_NS1_11comp_targetILNS1_3genE10ELNS1_11target_archE1200ELNS1_3gpuE4ELNS1_3repE0EEENS1_30default_config_static_selectorELNS0_4arch9wavefront6targetE0EEEvS12_
    .private_segment_fixed_size: 0
    .sgpr_count:     60
    .sgpr_spill_count: 0
    .symbol:         _ZN7rocprim17ROCPRIM_400000_NS6detail17trampoline_kernelINS0_13select_configILj256ELj13ELNS0_17block_load_methodE3ELS4_3ELS4_3ELNS0_20block_scan_algorithmE0ELj4294967295EEENS1_25partition_config_selectorILNS1_17partition_subalgoE4EjNS0_10empty_typeEbEEZZNS1_14partition_implILS8_4ELb0ES6_15HIP_vector_typeIjLj2EENS0_17counting_iteratorIjlEEPS9_SG_NS0_5tupleIJPjSI_NS0_16reverse_iteratorISI_EEEEENSH_IJSG_SG_SG_EEES9_SI_JZNS1_25segmented_radix_sort_implINS0_14default_configELb1EPKhPhPKlPlN2at6native12_GLOBAL__N_18offset_tEEE10hipError_tPvRmT1_PNSt15iterator_traitsIS12_E10value_typeET2_T3_PNS13_IS18_E10value_typeET4_jRbjT5_S1E_jjP12ihipStream_tbEUljE_ZNSN_ISO_Lb1ESQ_SR_ST_SU_SY_EESZ_S10_S11_S12_S16_S17_S18_S1B_S1C_jS1D_jS1E_S1E_jjS1G_bEUljE0_EEESZ_S10_S11_S18_S1C_S1E_T6_T7_T9_mT8_S1G_bDpT10_ENKUlT_T0_E_clISt17integral_constantIbLb0EES1U_EEDaS1P_S1Q_EUlS1P_E_NS1_11comp_targetILNS1_3genE10ELNS1_11target_archE1200ELNS1_3gpuE4ELNS1_3repE0EEENS1_30default_config_static_selectorELNS0_4arch9wavefront6targetE0EEEvS12_.kd
    .uniform_work_group_size: 1
    .uses_dynamic_stack: false
    .vgpr_count:     93
    .vgpr_spill_count: 0
    .wavefront_size: 32
    .workgroup_processor_mode: 1
  - .args:
      - .offset:         0
        .size:           176
        .value_kind:     by_value
    .group_segment_fixed_size: 0
    .kernarg_segment_align: 8
    .kernarg_segment_size: 176
    .language:       OpenCL C
    .language_version:
      - 2
      - 0
    .max_flat_workgroup_size: 256
    .name:           _ZN7rocprim17ROCPRIM_400000_NS6detail17trampoline_kernelINS0_13select_configILj256ELj13ELNS0_17block_load_methodE3ELS4_3ELS4_3ELNS0_20block_scan_algorithmE0ELj4294967295EEENS1_25partition_config_selectorILNS1_17partition_subalgoE4EjNS0_10empty_typeEbEEZZNS1_14partition_implILS8_4ELb0ES6_15HIP_vector_typeIjLj2EENS0_17counting_iteratorIjlEEPS9_SG_NS0_5tupleIJPjSI_NS0_16reverse_iteratorISI_EEEEENSH_IJSG_SG_SG_EEES9_SI_JZNS1_25segmented_radix_sort_implINS0_14default_configELb1EPKhPhPKlPlN2at6native12_GLOBAL__N_18offset_tEEE10hipError_tPvRmT1_PNSt15iterator_traitsIS12_E10value_typeET2_T3_PNS13_IS18_E10value_typeET4_jRbjT5_S1E_jjP12ihipStream_tbEUljE_ZNSN_ISO_Lb1ESQ_SR_ST_SU_SY_EESZ_S10_S11_S12_S16_S17_S18_S1B_S1C_jS1D_jS1E_S1E_jjS1G_bEUljE0_EEESZ_S10_S11_S18_S1C_S1E_T6_T7_T9_mT8_S1G_bDpT10_ENKUlT_T0_E_clISt17integral_constantIbLb0EES1U_EEDaS1P_S1Q_EUlS1P_E_NS1_11comp_targetILNS1_3genE9ELNS1_11target_archE1100ELNS1_3gpuE3ELNS1_3repE0EEENS1_30default_config_static_selectorELNS0_4arch9wavefront6targetE0EEEvS12_
    .private_segment_fixed_size: 0
    .sgpr_count:     0
    .sgpr_spill_count: 0
    .symbol:         _ZN7rocprim17ROCPRIM_400000_NS6detail17trampoline_kernelINS0_13select_configILj256ELj13ELNS0_17block_load_methodE3ELS4_3ELS4_3ELNS0_20block_scan_algorithmE0ELj4294967295EEENS1_25partition_config_selectorILNS1_17partition_subalgoE4EjNS0_10empty_typeEbEEZZNS1_14partition_implILS8_4ELb0ES6_15HIP_vector_typeIjLj2EENS0_17counting_iteratorIjlEEPS9_SG_NS0_5tupleIJPjSI_NS0_16reverse_iteratorISI_EEEEENSH_IJSG_SG_SG_EEES9_SI_JZNS1_25segmented_radix_sort_implINS0_14default_configELb1EPKhPhPKlPlN2at6native12_GLOBAL__N_18offset_tEEE10hipError_tPvRmT1_PNSt15iterator_traitsIS12_E10value_typeET2_T3_PNS13_IS18_E10value_typeET4_jRbjT5_S1E_jjP12ihipStream_tbEUljE_ZNSN_ISO_Lb1ESQ_SR_ST_SU_SY_EESZ_S10_S11_S12_S16_S17_S18_S1B_S1C_jS1D_jS1E_S1E_jjS1G_bEUljE0_EEESZ_S10_S11_S18_S1C_S1E_T6_T7_T9_mT8_S1G_bDpT10_ENKUlT_T0_E_clISt17integral_constantIbLb0EES1U_EEDaS1P_S1Q_EUlS1P_E_NS1_11comp_targetILNS1_3genE9ELNS1_11target_archE1100ELNS1_3gpuE3ELNS1_3repE0EEENS1_30default_config_static_selectorELNS0_4arch9wavefront6targetE0EEEvS12_.kd
    .uniform_work_group_size: 1
    .uses_dynamic_stack: false
    .vgpr_count:     0
    .vgpr_spill_count: 0
    .wavefront_size: 32
    .workgroup_processor_mode: 1
  - .args:
      - .offset:         0
        .size:           176
        .value_kind:     by_value
    .group_segment_fixed_size: 0
    .kernarg_segment_align: 8
    .kernarg_segment_size: 176
    .language:       OpenCL C
    .language_version:
      - 2
      - 0
    .max_flat_workgroup_size: 256
    .name:           _ZN7rocprim17ROCPRIM_400000_NS6detail17trampoline_kernelINS0_13select_configILj256ELj13ELNS0_17block_load_methodE3ELS4_3ELS4_3ELNS0_20block_scan_algorithmE0ELj4294967295EEENS1_25partition_config_selectorILNS1_17partition_subalgoE4EjNS0_10empty_typeEbEEZZNS1_14partition_implILS8_4ELb0ES6_15HIP_vector_typeIjLj2EENS0_17counting_iteratorIjlEEPS9_SG_NS0_5tupleIJPjSI_NS0_16reverse_iteratorISI_EEEEENSH_IJSG_SG_SG_EEES9_SI_JZNS1_25segmented_radix_sort_implINS0_14default_configELb1EPKhPhPKlPlN2at6native12_GLOBAL__N_18offset_tEEE10hipError_tPvRmT1_PNSt15iterator_traitsIS12_E10value_typeET2_T3_PNS13_IS18_E10value_typeET4_jRbjT5_S1E_jjP12ihipStream_tbEUljE_ZNSN_ISO_Lb1ESQ_SR_ST_SU_SY_EESZ_S10_S11_S12_S16_S17_S18_S1B_S1C_jS1D_jS1E_S1E_jjS1G_bEUljE0_EEESZ_S10_S11_S18_S1C_S1E_T6_T7_T9_mT8_S1G_bDpT10_ENKUlT_T0_E_clISt17integral_constantIbLb0EES1U_EEDaS1P_S1Q_EUlS1P_E_NS1_11comp_targetILNS1_3genE8ELNS1_11target_archE1030ELNS1_3gpuE2ELNS1_3repE0EEENS1_30default_config_static_selectorELNS0_4arch9wavefront6targetE0EEEvS12_
    .private_segment_fixed_size: 0
    .sgpr_count:     0
    .sgpr_spill_count: 0
    .symbol:         _ZN7rocprim17ROCPRIM_400000_NS6detail17trampoline_kernelINS0_13select_configILj256ELj13ELNS0_17block_load_methodE3ELS4_3ELS4_3ELNS0_20block_scan_algorithmE0ELj4294967295EEENS1_25partition_config_selectorILNS1_17partition_subalgoE4EjNS0_10empty_typeEbEEZZNS1_14partition_implILS8_4ELb0ES6_15HIP_vector_typeIjLj2EENS0_17counting_iteratorIjlEEPS9_SG_NS0_5tupleIJPjSI_NS0_16reverse_iteratorISI_EEEEENSH_IJSG_SG_SG_EEES9_SI_JZNS1_25segmented_radix_sort_implINS0_14default_configELb1EPKhPhPKlPlN2at6native12_GLOBAL__N_18offset_tEEE10hipError_tPvRmT1_PNSt15iterator_traitsIS12_E10value_typeET2_T3_PNS13_IS18_E10value_typeET4_jRbjT5_S1E_jjP12ihipStream_tbEUljE_ZNSN_ISO_Lb1ESQ_SR_ST_SU_SY_EESZ_S10_S11_S12_S16_S17_S18_S1B_S1C_jS1D_jS1E_S1E_jjS1G_bEUljE0_EEESZ_S10_S11_S18_S1C_S1E_T6_T7_T9_mT8_S1G_bDpT10_ENKUlT_T0_E_clISt17integral_constantIbLb0EES1U_EEDaS1P_S1Q_EUlS1P_E_NS1_11comp_targetILNS1_3genE8ELNS1_11target_archE1030ELNS1_3gpuE2ELNS1_3repE0EEENS1_30default_config_static_selectorELNS0_4arch9wavefront6targetE0EEEvS12_.kd
    .uniform_work_group_size: 1
    .uses_dynamic_stack: false
    .vgpr_count:     0
    .vgpr_spill_count: 0
    .wavefront_size: 32
    .workgroup_processor_mode: 1
  - .args:
      - .offset:         0
        .size:           40
        .value_kind:     by_value
    .group_segment_fixed_size: 0
    .kernarg_segment_align: 8
    .kernarg_segment_size: 40
    .language:       OpenCL C
    .language_version:
      - 2
      - 0
    .max_flat_workgroup_size: 128
    .name:           _ZN7rocprim17ROCPRIM_400000_NS6detail17trampoline_kernelINS0_14default_configENS1_25transform_config_selectorImLb1EEEZNS1_14transform_implILb1ES3_S5_PmPjNS0_8identityIvEEEE10hipError_tT2_T3_mT4_P12ihipStream_tbEUlT_E_NS1_11comp_targetILNS1_3genE0ELNS1_11target_archE4294967295ELNS1_3gpuE0ELNS1_3repE0EEENS1_30default_config_static_selectorELNS0_4arch9wavefront6targetE0EEEvT1_
    .private_segment_fixed_size: 0
    .sgpr_count:     0
    .sgpr_spill_count: 0
    .symbol:         _ZN7rocprim17ROCPRIM_400000_NS6detail17trampoline_kernelINS0_14default_configENS1_25transform_config_selectorImLb1EEEZNS1_14transform_implILb1ES3_S5_PmPjNS0_8identityIvEEEE10hipError_tT2_T3_mT4_P12ihipStream_tbEUlT_E_NS1_11comp_targetILNS1_3genE0ELNS1_11target_archE4294967295ELNS1_3gpuE0ELNS1_3repE0EEENS1_30default_config_static_selectorELNS0_4arch9wavefront6targetE0EEEvT1_.kd
    .uniform_work_group_size: 1
    .uses_dynamic_stack: false
    .vgpr_count:     0
    .vgpr_spill_count: 0
    .wavefront_size: 32
    .workgroup_processor_mode: 1
  - .args:
      - .offset:         0
        .size:           40
        .value_kind:     by_value
      - .offset:         40
        .size:           4
        .value_kind:     hidden_block_count_x
      - .offset:         44
        .size:           4
        .value_kind:     hidden_block_count_y
      - .offset:         48
        .size:           4
        .value_kind:     hidden_block_count_z
      - .offset:         52
        .size:           2
        .value_kind:     hidden_group_size_x
      - .offset:         54
        .size:           2
        .value_kind:     hidden_group_size_y
      - .offset:         56
        .size:           2
        .value_kind:     hidden_group_size_z
      - .offset:         58
        .size:           2
        .value_kind:     hidden_remainder_x
      - .offset:         60
        .size:           2
        .value_kind:     hidden_remainder_y
      - .offset:         62
        .size:           2
        .value_kind:     hidden_remainder_z
      - .offset:         80
        .size:           8
        .value_kind:     hidden_global_offset_x
      - .offset:         88
        .size:           8
        .value_kind:     hidden_global_offset_y
      - .offset:         96
        .size:           8
        .value_kind:     hidden_global_offset_z
      - .offset:         104
        .size:           2
        .value_kind:     hidden_grid_dims
    .group_segment_fixed_size: 0
    .kernarg_segment_align: 8
    .kernarg_segment_size: 296
    .language:       OpenCL C
    .language_version:
      - 2
      - 0
    .max_flat_workgroup_size: 1024
    .name:           _ZN7rocprim17ROCPRIM_400000_NS6detail17trampoline_kernelINS0_14default_configENS1_25transform_config_selectorImLb1EEEZNS1_14transform_implILb1ES3_S5_PmPjNS0_8identityIvEEEE10hipError_tT2_T3_mT4_P12ihipStream_tbEUlT_E_NS1_11comp_targetILNS1_3genE10ELNS1_11target_archE1201ELNS1_3gpuE5ELNS1_3repE0EEENS1_30default_config_static_selectorELNS0_4arch9wavefront6targetE0EEEvT1_
    .private_segment_fixed_size: 0
    .sgpr_count:     16
    .sgpr_spill_count: 0
    .symbol:         _ZN7rocprim17ROCPRIM_400000_NS6detail17trampoline_kernelINS0_14default_configENS1_25transform_config_selectorImLb1EEEZNS1_14transform_implILb1ES3_S5_PmPjNS0_8identityIvEEEE10hipError_tT2_T3_mT4_P12ihipStream_tbEUlT_E_NS1_11comp_targetILNS1_3genE10ELNS1_11target_archE1201ELNS1_3gpuE5ELNS1_3repE0EEENS1_30default_config_static_selectorELNS0_4arch9wavefront6targetE0EEEvT1_.kd
    .uniform_work_group_size: 1
    .uses_dynamic_stack: false
    .vgpr_count:     6
    .vgpr_spill_count: 0
    .wavefront_size: 32
    .workgroup_processor_mode: 1
  - .args:
      - .offset:         0
        .size:           40
        .value_kind:     by_value
    .group_segment_fixed_size: 0
    .kernarg_segment_align: 8
    .kernarg_segment_size: 40
    .language:       OpenCL C
    .language_version:
      - 2
      - 0
    .max_flat_workgroup_size: 512
    .name:           _ZN7rocprim17ROCPRIM_400000_NS6detail17trampoline_kernelINS0_14default_configENS1_25transform_config_selectorImLb1EEEZNS1_14transform_implILb1ES3_S5_PmPjNS0_8identityIvEEEE10hipError_tT2_T3_mT4_P12ihipStream_tbEUlT_E_NS1_11comp_targetILNS1_3genE5ELNS1_11target_archE942ELNS1_3gpuE9ELNS1_3repE0EEENS1_30default_config_static_selectorELNS0_4arch9wavefront6targetE0EEEvT1_
    .private_segment_fixed_size: 0
    .sgpr_count:     0
    .sgpr_spill_count: 0
    .symbol:         _ZN7rocprim17ROCPRIM_400000_NS6detail17trampoline_kernelINS0_14default_configENS1_25transform_config_selectorImLb1EEEZNS1_14transform_implILb1ES3_S5_PmPjNS0_8identityIvEEEE10hipError_tT2_T3_mT4_P12ihipStream_tbEUlT_E_NS1_11comp_targetILNS1_3genE5ELNS1_11target_archE942ELNS1_3gpuE9ELNS1_3repE0EEENS1_30default_config_static_selectorELNS0_4arch9wavefront6targetE0EEEvT1_.kd
    .uniform_work_group_size: 1
    .uses_dynamic_stack: false
    .vgpr_count:     0
    .vgpr_spill_count: 0
    .wavefront_size: 32
    .workgroup_processor_mode: 1
  - .args:
      - .offset:         0
        .size:           40
        .value_kind:     by_value
    .group_segment_fixed_size: 0
    .kernarg_segment_align: 8
    .kernarg_segment_size: 40
    .language:       OpenCL C
    .language_version:
      - 2
      - 0
    .max_flat_workgroup_size: 1024
    .name:           _ZN7rocprim17ROCPRIM_400000_NS6detail17trampoline_kernelINS0_14default_configENS1_25transform_config_selectorImLb1EEEZNS1_14transform_implILb1ES3_S5_PmPjNS0_8identityIvEEEE10hipError_tT2_T3_mT4_P12ihipStream_tbEUlT_E_NS1_11comp_targetILNS1_3genE4ELNS1_11target_archE910ELNS1_3gpuE8ELNS1_3repE0EEENS1_30default_config_static_selectorELNS0_4arch9wavefront6targetE0EEEvT1_
    .private_segment_fixed_size: 0
    .sgpr_count:     0
    .sgpr_spill_count: 0
    .symbol:         _ZN7rocprim17ROCPRIM_400000_NS6detail17trampoline_kernelINS0_14default_configENS1_25transform_config_selectorImLb1EEEZNS1_14transform_implILb1ES3_S5_PmPjNS0_8identityIvEEEE10hipError_tT2_T3_mT4_P12ihipStream_tbEUlT_E_NS1_11comp_targetILNS1_3genE4ELNS1_11target_archE910ELNS1_3gpuE8ELNS1_3repE0EEENS1_30default_config_static_selectorELNS0_4arch9wavefront6targetE0EEEvT1_.kd
    .uniform_work_group_size: 1
    .uses_dynamic_stack: false
    .vgpr_count:     0
    .vgpr_spill_count: 0
    .wavefront_size: 32
    .workgroup_processor_mode: 1
  - .args:
      - .offset:         0
        .size:           40
        .value_kind:     by_value
    .group_segment_fixed_size: 0
    .kernarg_segment_align: 8
    .kernarg_segment_size: 40
    .language:       OpenCL C
    .language_version:
      - 2
      - 0
    .max_flat_workgroup_size: 128
    .name:           _ZN7rocprim17ROCPRIM_400000_NS6detail17trampoline_kernelINS0_14default_configENS1_25transform_config_selectorImLb1EEEZNS1_14transform_implILb1ES3_S5_PmPjNS0_8identityIvEEEE10hipError_tT2_T3_mT4_P12ihipStream_tbEUlT_E_NS1_11comp_targetILNS1_3genE3ELNS1_11target_archE908ELNS1_3gpuE7ELNS1_3repE0EEENS1_30default_config_static_selectorELNS0_4arch9wavefront6targetE0EEEvT1_
    .private_segment_fixed_size: 0
    .sgpr_count:     0
    .sgpr_spill_count: 0
    .symbol:         _ZN7rocprim17ROCPRIM_400000_NS6detail17trampoline_kernelINS0_14default_configENS1_25transform_config_selectorImLb1EEEZNS1_14transform_implILb1ES3_S5_PmPjNS0_8identityIvEEEE10hipError_tT2_T3_mT4_P12ihipStream_tbEUlT_E_NS1_11comp_targetILNS1_3genE3ELNS1_11target_archE908ELNS1_3gpuE7ELNS1_3repE0EEENS1_30default_config_static_selectorELNS0_4arch9wavefront6targetE0EEEvT1_.kd
    .uniform_work_group_size: 1
    .uses_dynamic_stack: false
    .vgpr_count:     0
    .vgpr_spill_count: 0
    .wavefront_size: 32
    .workgroup_processor_mode: 1
  - .args:
      - .offset:         0
        .size:           40
        .value_kind:     by_value
    .group_segment_fixed_size: 0
    .kernarg_segment_align: 8
    .kernarg_segment_size: 40
    .language:       OpenCL C
    .language_version:
      - 2
      - 0
    .max_flat_workgroup_size: 512
    .name:           _ZN7rocprim17ROCPRIM_400000_NS6detail17trampoline_kernelINS0_14default_configENS1_25transform_config_selectorImLb1EEEZNS1_14transform_implILb1ES3_S5_PmPjNS0_8identityIvEEEE10hipError_tT2_T3_mT4_P12ihipStream_tbEUlT_E_NS1_11comp_targetILNS1_3genE2ELNS1_11target_archE906ELNS1_3gpuE6ELNS1_3repE0EEENS1_30default_config_static_selectorELNS0_4arch9wavefront6targetE0EEEvT1_
    .private_segment_fixed_size: 0
    .sgpr_count:     0
    .sgpr_spill_count: 0
    .symbol:         _ZN7rocprim17ROCPRIM_400000_NS6detail17trampoline_kernelINS0_14default_configENS1_25transform_config_selectorImLb1EEEZNS1_14transform_implILb1ES3_S5_PmPjNS0_8identityIvEEEE10hipError_tT2_T3_mT4_P12ihipStream_tbEUlT_E_NS1_11comp_targetILNS1_3genE2ELNS1_11target_archE906ELNS1_3gpuE6ELNS1_3repE0EEENS1_30default_config_static_selectorELNS0_4arch9wavefront6targetE0EEEvT1_.kd
    .uniform_work_group_size: 1
    .uses_dynamic_stack: false
    .vgpr_count:     0
    .vgpr_spill_count: 0
    .wavefront_size: 32
    .workgroup_processor_mode: 1
  - .args:
      - .offset:         0
        .size:           40
        .value_kind:     by_value
    .group_segment_fixed_size: 0
    .kernarg_segment_align: 8
    .kernarg_segment_size: 40
    .language:       OpenCL C
    .language_version:
      - 2
      - 0
    .max_flat_workgroup_size: 1024
    .name:           _ZN7rocprim17ROCPRIM_400000_NS6detail17trampoline_kernelINS0_14default_configENS1_25transform_config_selectorImLb1EEEZNS1_14transform_implILb1ES3_S5_PmPjNS0_8identityIvEEEE10hipError_tT2_T3_mT4_P12ihipStream_tbEUlT_E_NS1_11comp_targetILNS1_3genE9ELNS1_11target_archE1100ELNS1_3gpuE3ELNS1_3repE0EEENS1_30default_config_static_selectorELNS0_4arch9wavefront6targetE0EEEvT1_
    .private_segment_fixed_size: 0
    .sgpr_count:     0
    .sgpr_spill_count: 0
    .symbol:         _ZN7rocprim17ROCPRIM_400000_NS6detail17trampoline_kernelINS0_14default_configENS1_25transform_config_selectorImLb1EEEZNS1_14transform_implILb1ES3_S5_PmPjNS0_8identityIvEEEE10hipError_tT2_T3_mT4_P12ihipStream_tbEUlT_E_NS1_11comp_targetILNS1_3genE9ELNS1_11target_archE1100ELNS1_3gpuE3ELNS1_3repE0EEENS1_30default_config_static_selectorELNS0_4arch9wavefront6targetE0EEEvT1_.kd
    .uniform_work_group_size: 1
    .uses_dynamic_stack: false
    .vgpr_count:     0
    .vgpr_spill_count: 0
    .wavefront_size: 32
    .workgroup_processor_mode: 1
  - .args:
      - .offset:         0
        .size:           40
        .value_kind:     by_value
    .group_segment_fixed_size: 0
    .kernarg_segment_align: 8
    .kernarg_segment_size: 40
    .language:       OpenCL C
    .language_version:
      - 2
      - 0
    .max_flat_workgroup_size: 1024
    .name:           _ZN7rocprim17ROCPRIM_400000_NS6detail17trampoline_kernelINS0_14default_configENS1_25transform_config_selectorImLb1EEEZNS1_14transform_implILb1ES3_S5_PmPjNS0_8identityIvEEEE10hipError_tT2_T3_mT4_P12ihipStream_tbEUlT_E_NS1_11comp_targetILNS1_3genE8ELNS1_11target_archE1030ELNS1_3gpuE2ELNS1_3repE0EEENS1_30default_config_static_selectorELNS0_4arch9wavefront6targetE0EEEvT1_
    .private_segment_fixed_size: 0
    .sgpr_count:     0
    .sgpr_spill_count: 0
    .symbol:         _ZN7rocprim17ROCPRIM_400000_NS6detail17trampoline_kernelINS0_14default_configENS1_25transform_config_selectorImLb1EEEZNS1_14transform_implILb1ES3_S5_PmPjNS0_8identityIvEEEE10hipError_tT2_T3_mT4_P12ihipStream_tbEUlT_E_NS1_11comp_targetILNS1_3genE8ELNS1_11target_archE1030ELNS1_3gpuE2ELNS1_3repE0EEENS1_30default_config_static_selectorELNS0_4arch9wavefront6targetE0EEEvT1_.kd
    .uniform_work_group_size: 1
    .uses_dynamic_stack: false
    .vgpr_count:     0
    .vgpr_spill_count: 0
    .wavefront_size: 32
    .workgroup_processor_mode: 1
  - .args:
      - .address_space:  global
        .offset:         0
        .size:           8
        .value_kind:     global_buffer
      - .offset:         8
        .size:           4
        .value_kind:     by_value
      - .address_space:  global
        .offset:         16
        .size:           8
        .value_kind:     global_buffer
      - .offset:         24
        .size:           4
        .value_kind:     by_value
      - .address_space:  global
        .offset:         32
        .size:           8
        .value_kind:     global_buffer
      - .offset:         40
        .size:           4
        .value_kind:     hidden_block_count_x
      - .offset:         44
        .size:           4
        .value_kind:     hidden_block_count_y
      - .offset:         48
        .size:           4
        .value_kind:     hidden_block_count_z
      - .offset:         52
        .size:           2
        .value_kind:     hidden_group_size_x
      - .offset:         54
        .size:           2
        .value_kind:     hidden_group_size_y
      - .offset:         56
        .size:           2
        .value_kind:     hidden_group_size_z
      - .offset:         58
        .size:           2
        .value_kind:     hidden_remainder_x
      - .offset:         60
        .size:           2
        .value_kind:     hidden_remainder_y
      - .offset:         62
        .size:           2
        .value_kind:     hidden_remainder_z
      - .offset:         80
        .size:           8
        .value_kind:     hidden_global_offset_x
      - .offset:         88
        .size:           8
        .value_kind:     hidden_global_offset_y
      - .offset:         96
        .size:           8
        .value_kind:     hidden_global_offset_z
      - .offset:         104
        .size:           2
        .value_kind:     hidden_grid_dims
    .group_segment_fixed_size: 0
    .kernarg_segment_align: 8
    .kernarg_segment_size: 296
    .language:       OpenCL C
    .language_version:
      - 2
      - 0
    .max_flat_workgroup_size: 256
    .name:           _ZN7rocprim17ROCPRIM_400000_NS6detail31init_lookback_scan_state_kernelINS1_19lookback_scan_stateI15HIP_vector_typeIjLj2EELb1ELb1EEENS1_16block_id_wrapperIjLb1EEEEEvT_jT0_jPNS9_10value_typeE
    .private_segment_fixed_size: 0
    .sgpr_count:     14
    .sgpr_spill_count: 0
    .symbol:         _ZN7rocprim17ROCPRIM_400000_NS6detail31init_lookback_scan_state_kernelINS1_19lookback_scan_stateI15HIP_vector_typeIjLj2EELb1ELb1EEENS1_16block_id_wrapperIjLb1EEEEEvT_jT0_jPNS9_10value_typeE.kd
    .uniform_work_group_size: 1
    .uses_dynamic_stack: false
    .vgpr_count:     8
    .vgpr_spill_count: 0
    .wavefront_size: 32
    .workgroup_processor_mode: 1
  - .args:
      - .offset:         0
        .size:           184
        .value_kind:     by_value
    .group_segment_fixed_size: 0
    .kernarg_segment_align: 8
    .kernarg_segment_size: 184
    .language:       OpenCL C
    .language_version:
      - 2
      - 0
    .max_flat_workgroup_size: 256
    .name:           _ZN7rocprim17ROCPRIM_400000_NS6detail17trampoline_kernelINS0_13select_configILj256ELj13ELNS0_17block_load_methodE3ELS4_3ELS4_3ELNS0_20block_scan_algorithmE0ELj4294967295EEENS1_25partition_config_selectorILNS1_17partition_subalgoE4EjNS0_10empty_typeEbEEZZNS1_14partition_implILS8_4ELb0ES6_15HIP_vector_typeIjLj2EENS0_17counting_iteratorIjlEEPS9_SG_NS0_5tupleIJPjSI_NS0_16reverse_iteratorISI_EEEEENSH_IJSG_SG_SG_EEES9_SI_JZNS1_25segmented_radix_sort_implINS0_14default_configELb1EPKhPhPKlPlN2at6native12_GLOBAL__N_18offset_tEEE10hipError_tPvRmT1_PNSt15iterator_traitsIS12_E10value_typeET2_T3_PNS13_IS18_E10value_typeET4_jRbjT5_S1E_jjP12ihipStream_tbEUljE_ZNSN_ISO_Lb1ESQ_SR_ST_SU_SY_EESZ_S10_S11_S12_S16_S17_S18_S1B_S1C_jS1D_jS1E_S1E_jjS1G_bEUljE0_EEESZ_S10_S11_S18_S1C_S1E_T6_T7_T9_mT8_S1G_bDpT10_ENKUlT_T0_E_clISt17integral_constantIbLb1EES1U_EEDaS1P_S1Q_EUlS1P_E_NS1_11comp_targetILNS1_3genE0ELNS1_11target_archE4294967295ELNS1_3gpuE0ELNS1_3repE0EEENS1_30default_config_static_selectorELNS0_4arch9wavefront6targetE0EEEvS12_
    .private_segment_fixed_size: 0
    .sgpr_count:     0
    .sgpr_spill_count: 0
    .symbol:         _ZN7rocprim17ROCPRIM_400000_NS6detail17trampoline_kernelINS0_13select_configILj256ELj13ELNS0_17block_load_methodE3ELS4_3ELS4_3ELNS0_20block_scan_algorithmE0ELj4294967295EEENS1_25partition_config_selectorILNS1_17partition_subalgoE4EjNS0_10empty_typeEbEEZZNS1_14partition_implILS8_4ELb0ES6_15HIP_vector_typeIjLj2EENS0_17counting_iteratorIjlEEPS9_SG_NS0_5tupleIJPjSI_NS0_16reverse_iteratorISI_EEEEENSH_IJSG_SG_SG_EEES9_SI_JZNS1_25segmented_radix_sort_implINS0_14default_configELb1EPKhPhPKlPlN2at6native12_GLOBAL__N_18offset_tEEE10hipError_tPvRmT1_PNSt15iterator_traitsIS12_E10value_typeET2_T3_PNS13_IS18_E10value_typeET4_jRbjT5_S1E_jjP12ihipStream_tbEUljE_ZNSN_ISO_Lb1ESQ_SR_ST_SU_SY_EESZ_S10_S11_S12_S16_S17_S18_S1B_S1C_jS1D_jS1E_S1E_jjS1G_bEUljE0_EEESZ_S10_S11_S18_S1C_S1E_T6_T7_T9_mT8_S1G_bDpT10_ENKUlT_T0_E_clISt17integral_constantIbLb1EES1U_EEDaS1P_S1Q_EUlS1P_E_NS1_11comp_targetILNS1_3genE0ELNS1_11target_archE4294967295ELNS1_3gpuE0ELNS1_3repE0EEENS1_30default_config_static_selectorELNS0_4arch9wavefront6targetE0EEEvS12_.kd
    .uniform_work_group_size: 1
    .uses_dynamic_stack: false
    .vgpr_count:     0
    .vgpr_spill_count: 0
    .wavefront_size: 32
    .workgroup_processor_mode: 1
  - .args:
      - .offset:         0
        .size:           184
        .value_kind:     by_value
    .group_segment_fixed_size: 0
    .kernarg_segment_align: 8
    .kernarg_segment_size: 184
    .language:       OpenCL C
    .language_version:
      - 2
      - 0
    .max_flat_workgroup_size: 256
    .name:           _ZN7rocprim17ROCPRIM_400000_NS6detail17trampoline_kernelINS0_13select_configILj256ELj13ELNS0_17block_load_methodE3ELS4_3ELS4_3ELNS0_20block_scan_algorithmE0ELj4294967295EEENS1_25partition_config_selectorILNS1_17partition_subalgoE4EjNS0_10empty_typeEbEEZZNS1_14partition_implILS8_4ELb0ES6_15HIP_vector_typeIjLj2EENS0_17counting_iteratorIjlEEPS9_SG_NS0_5tupleIJPjSI_NS0_16reverse_iteratorISI_EEEEENSH_IJSG_SG_SG_EEES9_SI_JZNS1_25segmented_radix_sort_implINS0_14default_configELb1EPKhPhPKlPlN2at6native12_GLOBAL__N_18offset_tEEE10hipError_tPvRmT1_PNSt15iterator_traitsIS12_E10value_typeET2_T3_PNS13_IS18_E10value_typeET4_jRbjT5_S1E_jjP12ihipStream_tbEUljE_ZNSN_ISO_Lb1ESQ_SR_ST_SU_SY_EESZ_S10_S11_S12_S16_S17_S18_S1B_S1C_jS1D_jS1E_S1E_jjS1G_bEUljE0_EEESZ_S10_S11_S18_S1C_S1E_T6_T7_T9_mT8_S1G_bDpT10_ENKUlT_T0_E_clISt17integral_constantIbLb1EES1U_EEDaS1P_S1Q_EUlS1P_E_NS1_11comp_targetILNS1_3genE5ELNS1_11target_archE942ELNS1_3gpuE9ELNS1_3repE0EEENS1_30default_config_static_selectorELNS0_4arch9wavefront6targetE0EEEvS12_
    .private_segment_fixed_size: 0
    .sgpr_count:     0
    .sgpr_spill_count: 0
    .symbol:         _ZN7rocprim17ROCPRIM_400000_NS6detail17trampoline_kernelINS0_13select_configILj256ELj13ELNS0_17block_load_methodE3ELS4_3ELS4_3ELNS0_20block_scan_algorithmE0ELj4294967295EEENS1_25partition_config_selectorILNS1_17partition_subalgoE4EjNS0_10empty_typeEbEEZZNS1_14partition_implILS8_4ELb0ES6_15HIP_vector_typeIjLj2EENS0_17counting_iteratorIjlEEPS9_SG_NS0_5tupleIJPjSI_NS0_16reverse_iteratorISI_EEEEENSH_IJSG_SG_SG_EEES9_SI_JZNS1_25segmented_radix_sort_implINS0_14default_configELb1EPKhPhPKlPlN2at6native12_GLOBAL__N_18offset_tEEE10hipError_tPvRmT1_PNSt15iterator_traitsIS12_E10value_typeET2_T3_PNS13_IS18_E10value_typeET4_jRbjT5_S1E_jjP12ihipStream_tbEUljE_ZNSN_ISO_Lb1ESQ_SR_ST_SU_SY_EESZ_S10_S11_S12_S16_S17_S18_S1B_S1C_jS1D_jS1E_S1E_jjS1G_bEUljE0_EEESZ_S10_S11_S18_S1C_S1E_T6_T7_T9_mT8_S1G_bDpT10_ENKUlT_T0_E_clISt17integral_constantIbLb1EES1U_EEDaS1P_S1Q_EUlS1P_E_NS1_11comp_targetILNS1_3genE5ELNS1_11target_archE942ELNS1_3gpuE9ELNS1_3repE0EEENS1_30default_config_static_selectorELNS0_4arch9wavefront6targetE0EEEvS12_.kd
    .uniform_work_group_size: 1
    .uses_dynamic_stack: false
    .vgpr_count:     0
    .vgpr_spill_count: 0
    .wavefront_size: 32
    .workgroup_processor_mode: 1
  - .args:
      - .offset:         0
        .size:           184
        .value_kind:     by_value
    .group_segment_fixed_size: 0
    .kernarg_segment_align: 8
    .kernarg_segment_size: 184
    .language:       OpenCL C
    .language_version:
      - 2
      - 0
    .max_flat_workgroup_size: 256
    .name:           _ZN7rocprim17ROCPRIM_400000_NS6detail17trampoline_kernelINS0_13select_configILj256ELj13ELNS0_17block_load_methodE3ELS4_3ELS4_3ELNS0_20block_scan_algorithmE0ELj4294967295EEENS1_25partition_config_selectorILNS1_17partition_subalgoE4EjNS0_10empty_typeEbEEZZNS1_14partition_implILS8_4ELb0ES6_15HIP_vector_typeIjLj2EENS0_17counting_iteratorIjlEEPS9_SG_NS0_5tupleIJPjSI_NS0_16reverse_iteratorISI_EEEEENSH_IJSG_SG_SG_EEES9_SI_JZNS1_25segmented_radix_sort_implINS0_14default_configELb1EPKhPhPKlPlN2at6native12_GLOBAL__N_18offset_tEEE10hipError_tPvRmT1_PNSt15iterator_traitsIS12_E10value_typeET2_T3_PNS13_IS18_E10value_typeET4_jRbjT5_S1E_jjP12ihipStream_tbEUljE_ZNSN_ISO_Lb1ESQ_SR_ST_SU_SY_EESZ_S10_S11_S12_S16_S17_S18_S1B_S1C_jS1D_jS1E_S1E_jjS1G_bEUljE0_EEESZ_S10_S11_S18_S1C_S1E_T6_T7_T9_mT8_S1G_bDpT10_ENKUlT_T0_E_clISt17integral_constantIbLb1EES1U_EEDaS1P_S1Q_EUlS1P_E_NS1_11comp_targetILNS1_3genE4ELNS1_11target_archE910ELNS1_3gpuE8ELNS1_3repE0EEENS1_30default_config_static_selectorELNS0_4arch9wavefront6targetE0EEEvS12_
    .private_segment_fixed_size: 0
    .sgpr_count:     0
    .sgpr_spill_count: 0
    .symbol:         _ZN7rocprim17ROCPRIM_400000_NS6detail17trampoline_kernelINS0_13select_configILj256ELj13ELNS0_17block_load_methodE3ELS4_3ELS4_3ELNS0_20block_scan_algorithmE0ELj4294967295EEENS1_25partition_config_selectorILNS1_17partition_subalgoE4EjNS0_10empty_typeEbEEZZNS1_14partition_implILS8_4ELb0ES6_15HIP_vector_typeIjLj2EENS0_17counting_iteratorIjlEEPS9_SG_NS0_5tupleIJPjSI_NS0_16reverse_iteratorISI_EEEEENSH_IJSG_SG_SG_EEES9_SI_JZNS1_25segmented_radix_sort_implINS0_14default_configELb1EPKhPhPKlPlN2at6native12_GLOBAL__N_18offset_tEEE10hipError_tPvRmT1_PNSt15iterator_traitsIS12_E10value_typeET2_T3_PNS13_IS18_E10value_typeET4_jRbjT5_S1E_jjP12ihipStream_tbEUljE_ZNSN_ISO_Lb1ESQ_SR_ST_SU_SY_EESZ_S10_S11_S12_S16_S17_S18_S1B_S1C_jS1D_jS1E_S1E_jjS1G_bEUljE0_EEESZ_S10_S11_S18_S1C_S1E_T6_T7_T9_mT8_S1G_bDpT10_ENKUlT_T0_E_clISt17integral_constantIbLb1EES1U_EEDaS1P_S1Q_EUlS1P_E_NS1_11comp_targetILNS1_3genE4ELNS1_11target_archE910ELNS1_3gpuE8ELNS1_3repE0EEENS1_30default_config_static_selectorELNS0_4arch9wavefront6targetE0EEEvS12_.kd
    .uniform_work_group_size: 1
    .uses_dynamic_stack: false
    .vgpr_count:     0
    .vgpr_spill_count: 0
    .wavefront_size: 32
    .workgroup_processor_mode: 1
  - .args:
      - .offset:         0
        .size:           184
        .value_kind:     by_value
    .group_segment_fixed_size: 0
    .kernarg_segment_align: 8
    .kernarg_segment_size: 184
    .language:       OpenCL C
    .language_version:
      - 2
      - 0
    .max_flat_workgroup_size: 256
    .name:           _ZN7rocprim17ROCPRIM_400000_NS6detail17trampoline_kernelINS0_13select_configILj256ELj13ELNS0_17block_load_methodE3ELS4_3ELS4_3ELNS0_20block_scan_algorithmE0ELj4294967295EEENS1_25partition_config_selectorILNS1_17partition_subalgoE4EjNS0_10empty_typeEbEEZZNS1_14partition_implILS8_4ELb0ES6_15HIP_vector_typeIjLj2EENS0_17counting_iteratorIjlEEPS9_SG_NS0_5tupleIJPjSI_NS0_16reverse_iteratorISI_EEEEENSH_IJSG_SG_SG_EEES9_SI_JZNS1_25segmented_radix_sort_implINS0_14default_configELb1EPKhPhPKlPlN2at6native12_GLOBAL__N_18offset_tEEE10hipError_tPvRmT1_PNSt15iterator_traitsIS12_E10value_typeET2_T3_PNS13_IS18_E10value_typeET4_jRbjT5_S1E_jjP12ihipStream_tbEUljE_ZNSN_ISO_Lb1ESQ_SR_ST_SU_SY_EESZ_S10_S11_S12_S16_S17_S18_S1B_S1C_jS1D_jS1E_S1E_jjS1G_bEUljE0_EEESZ_S10_S11_S18_S1C_S1E_T6_T7_T9_mT8_S1G_bDpT10_ENKUlT_T0_E_clISt17integral_constantIbLb1EES1U_EEDaS1P_S1Q_EUlS1P_E_NS1_11comp_targetILNS1_3genE3ELNS1_11target_archE908ELNS1_3gpuE7ELNS1_3repE0EEENS1_30default_config_static_selectorELNS0_4arch9wavefront6targetE0EEEvS12_
    .private_segment_fixed_size: 0
    .sgpr_count:     0
    .sgpr_spill_count: 0
    .symbol:         _ZN7rocprim17ROCPRIM_400000_NS6detail17trampoline_kernelINS0_13select_configILj256ELj13ELNS0_17block_load_methodE3ELS4_3ELS4_3ELNS0_20block_scan_algorithmE0ELj4294967295EEENS1_25partition_config_selectorILNS1_17partition_subalgoE4EjNS0_10empty_typeEbEEZZNS1_14partition_implILS8_4ELb0ES6_15HIP_vector_typeIjLj2EENS0_17counting_iteratorIjlEEPS9_SG_NS0_5tupleIJPjSI_NS0_16reverse_iteratorISI_EEEEENSH_IJSG_SG_SG_EEES9_SI_JZNS1_25segmented_radix_sort_implINS0_14default_configELb1EPKhPhPKlPlN2at6native12_GLOBAL__N_18offset_tEEE10hipError_tPvRmT1_PNSt15iterator_traitsIS12_E10value_typeET2_T3_PNS13_IS18_E10value_typeET4_jRbjT5_S1E_jjP12ihipStream_tbEUljE_ZNSN_ISO_Lb1ESQ_SR_ST_SU_SY_EESZ_S10_S11_S12_S16_S17_S18_S1B_S1C_jS1D_jS1E_S1E_jjS1G_bEUljE0_EEESZ_S10_S11_S18_S1C_S1E_T6_T7_T9_mT8_S1G_bDpT10_ENKUlT_T0_E_clISt17integral_constantIbLb1EES1U_EEDaS1P_S1Q_EUlS1P_E_NS1_11comp_targetILNS1_3genE3ELNS1_11target_archE908ELNS1_3gpuE7ELNS1_3repE0EEENS1_30default_config_static_selectorELNS0_4arch9wavefront6targetE0EEEvS12_.kd
    .uniform_work_group_size: 1
    .uses_dynamic_stack: false
    .vgpr_count:     0
    .vgpr_spill_count: 0
    .wavefront_size: 32
    .workgroup_processor_mode: 1
  - .args:
      - .offset:         0
        .size:           184
        .value_kind:     by_value
    .group_segment_fixed_size: 0
    .kernarg_segment_align: 8
    .kernarg_segment_size: 184
    .language:       OpenCL C
    .language_version:
      - 2
      - 0
    .max_flat_workgroup_size: 256
    .name:           _ZN7rocprim17ROCPRIM_400000_NS6detail17trampoline_kernelINS0_13select_configILj256ELj13ELNS0_17block_load_methodE3ELS4_3ELS4_3ELNS0_20block_scan_algorithmE0ELj4294967295EEENS1_25partition_config_selectorILNS1_17partition_subalgoE4EjNS0_10empty_typeEbEEZZNS1_14partition_implILS8_4ELb0ES6_15HIP_vector_typeIjLj2EENS0_17counting_iteratorIjlEEPS9_SG_NS0_5tupleIJPjSI_NS0_16reverse_iteratorISI_EEEEENSH_IJSG_SG_SG_EEES9_SI_JZNS1_25segmented_radix_sort_implINS0_14default_configELb1EPKhPhPKlPlN2at6native12_GLOBAL__N_18offset_tEEE10hipError_tPvRmT1_PNSt15iterator_traitsIS12_E10value_typeET2_T3_PNS13_IS18_E10value_typeET4_jRbjT5_S1E_jjP12ihipStream_tbEUljE_ZNSN_ISO_Lb1ESQ_SR_ST_SU_SY_EESZ_S10_S11_S12_S16_S17_S18_S1B_S1C_jS1D_jS1E_S1E_jjS1G_bEUljE0_EEESZ_S10_S11_S18_S1C_S1E_T6_T7_T9_mT8_S1G_bDpT10_ENKUlT_T0_E_clISt17integral_constantIbLb1EES1U_EEDaS1P_S1Q_EUlS1P_E_NS1_11comp_targetILNS1_3genE2ELNS1_11target_archE906ELNS1_3gpuE6ELNS1_3repE0EEENS1_30default_config_static_selectorELNS0_4arch9wavefront6targetE0EEEvS12_
    .private_segment_fixed_size: 0
    .sgpr_count:     0
    .sgpr_spill_count: 0
    .symbol:         _ZN7rocprim17ROCPRIM_400000_NS6detail17trampoline_kernelINS0_13select_configILj256ELj13ELNS0_17block_load_methodE3ELS4_3ELS4_3ELNS0_20block_scan_algorithmE0ELj4294967295EEENS1_25partition_config_selectorILNS1_17partition_subalgoE4EjNS0_10empty_typeEbEEZZNS1_14partition_implILS8_4ELb0ES6_15HIP_vector_typeIjLj2EENS0_17counting_iteratorIjlEEPS9_SG_NS0_5tupleIJPjSI_NS0_16reverse_iteratorISI_EEEEENSH_IJSG_SG_SG_EEES9_SI_JZNS1_25segmented_radix_sort_implINS0_14default_configELb1EPKhPhPKlPlN2at6native12_GLOBAL__N_18offset_tEEE10hipError_tPvRmT1_PNSt15iterator_traitsIS12_E10value_typeET2_T3_PNS13_IS18_E10value_typeET4_jRbjT5_S1E_jjP12ihipStream_tbEUljE_ZNSN_ISO_Lb1ESQ_SR_ST_SU_SY_EESZ_S10_S11_S12_S16_S17_S18_S1B_S1C_jS1D_jS1E_S1E_jjS1G_bEUljE0_EEESZ_S10_S11_S18_S1C_S1E_T6_T7_T9_mT8_S1G_bDpT10_ENKUlT_T0_E_clISt17integral_constantIbLb1EES1U_EEDaS1P_S1Q_EUlS1P_E_NS1_11comp_targetILNS1_3genE2ELNS1_11target_archE906ELNS1_3gpuE6ELNS1_3repE0EEENS1_30default_config_static_selectorELNS0_4arch9wavefront6targetE0EEEvS12_.kd
    .uniform_work_group_size: 1
    .uses_dynamic_stack: false
    .vgpr_count:     0
    .vgpr_spill_count: 0
    .wavefront_size: 32
    .workgroup_processor_mode: 1
  - .args:
      - .offset:         0
        .size:           184
        .value_kind:     by_value
    .group_segment_fixed_size: 0
    .kernarg_segment_align: 8
    .kernarg_segment_size: 184
    .language:       OpenCL C
    .language_version:
      - 2
      - 0
    .max_flat_workgroup_size: 256
    .name:           _ZN7rocprim17ROCPRIM_400000_NS6detail17trampoline_kernelINS0_13select_configILj256ELj13ELNS0_17block_load_methodE3ELS4_3ELS4_3ELNS0_20block_scan_algorithmE0ELj4294967295EEENS1_25partition_config_selectorILNS1_17partition_subalgoE4EjNS0_10empty_typeEbEEZZNS1_14partition_implILS8_4ELb0ES6_15HIP_vector_typeIjLj2EENS0_17counting_iteratorIjlEEPS9_SG_NS0_5tupleIJPjSI_NS0_16reverse_iteratorISI_EEEEENSH_IJSG_SG_SG_EEES9_SI_JZNS1_25segmented_radix_sort_implINS0_14default_configELb1EPKhPhPKlPlN2at6native12_GLOBAL__N_18offset_tEEE10hipError_tPvRmT1_PNSt15iterator_traitsIS12_E10value_typeET2_T3_PNS13_IS18_E10value_typeET4_jRbjT5_S1E_jjP12ihipStream_tbEUljE_ZNSN_ISO_Lb1ESQ_SR_ST_SU_SY_EESZ_S10_S11_S12_S16_S17_S18_S1B_S1C_jS1D_jS1E_S1E_jjS1G_bEUljE0_EEESZ_S10_S11_S18_S1C_S1E_T6_T7_T9_mT8_S1G_bDpT10_ENKUlT_T0_E_clISt17integral_constantIbLb1EES1U_EEDaS1P_S1Q_EUlS1P_E_NS1_11comp_targetILNS1_3genE10ELNS1_11target_archE1200ELNS1_3gpuE4ELNS1_3repE0EEENS1_30default_config_static_selectorELNS0_4arch9wavefront6targetE0EEEvS12_
    .private_segment_fixed_size: 0
    .sgpr_count:     0
    .sgpr_spill_count: 0
    .symbol:         _ZN7rocprim17ROCPRIM_400000_NS6detail17trampoline_kernelINS0_13select_configILj256ELj13ELNS0_17block_load_methodE3ELS4_3ELS4_3ELNS0_20block_scan_algorithmE0ELj4294967295EEENS1_25partition_config_selectorILNS1_17partition_subalgoE4EjNS0_10empty_typeEbEEZZNS1_14partition_implILS8_4ELb0ES6_15HIP_vector_typeIjLj2EENS0_17counting_iteratorIjlEEPS9_SG_NS0_5tupleIJPjSI_NS0_16reverse_iteratorISI_EEEEENSH_IJSG_SG_SG_EEES9_SI_JZNS1_25segmented_radix_sort_implINS0_14default_configELb1EPKhPhPKlPlN2at6native12_GLOBAL__N_18offset_tEEE10hipError_tPvRmT1_PNSt15iterator_traitsIS12_E10value_typeET2_T3_PNS13_IS18_E10value_typeET4_jRbjT5_S1E_jjP12ihipStream_tbEUljE_ZNSN_ISO_Lb1ESQ_SR_ST_SU_SY_EESZ_S10_S11_S12_S16_S17_S18_S1B_S1C_jS1D_jS1E_S1E_jjS1G_bEUljE0_EEESZ_S10_S11_S18_S1C_S1E_T6_T7_T9_mT8_S1G_bDpT10_ENKUlT_T0_E_clISt17integral_constantIbLb1EES1U_EEDaS1P_S1Q_EUlS1P_E_NS1_11comp_targetILNS1_3genE10ELNS1_11target_archE1200ELNS1_3gpuE4ELNS1_3repE0EEENS1_30default_config_static_selectorELNS0_4arch9wavefront6targetE0EEEvS12_.kd
    .uniform_work_group_size: 1
    .uses_dynamic_stack: false
    .vgpr_count:     0
    .vgpr_spill_count: 0
    .wavefront_size: 32
    .workgroup_processor_mode: 1
  - .args:
      - .offset:         0
        .size:           184
        .value_kind:     by_value
    .group_segment_fixed_size: 0
    .kernarg_segment_align: 8
    .kernarg_segment_size: 184
    .language:       OpenCL C
    .language_version:
      - 2
      - 0
    .max_flat_workgroup_size: 256
    .name:           _ZN7rocprim17ROCPRIM_400000_NS6detail17trampoline_kernelINS0_13select_configILj256ELj13ELNS0_17block_load_methodE3ELS4_3ELS4_3ELNS0_20block_scan_algorithmE0ELj4294967295EEENS1_25partition_config_selectorILNS1_17partition_subalgoE4EjNS0_10empty_typeEbEEZZNS1_14partition_implILS8_4ELb0ES6_15HIP_vector_typeIjLj2EENS0_17counting_iteratorIjlEEPS9_SG_NS0_5tupleIJPjSI_NS0_16reverse_iteratorISI_EEEEENSH_IJSG_SG_SG_EEES9_SI_JZNS1_25segmented_radix_sort_implINS0_14default_configELb1EPKhPhPKlPlN2at6native12_GLOBAL__N_18offset_tEEE10hipError_tPvRmT1_PNSt15iterator_traitsIS12_E10value_typeET2_T3_PNS13_IS18_E10value_typeET4_jRbjT5_S1E_jjP12ihipStream_tbEUljE_ZNSN_ISO_Lb1ESQ_SR_ST_SU_SY_EESZ_S10_S11_S12_S16_S17_S18_S1B_S1C_jS1D_jS1E_S1E_jjS1G_bEUljE0_EEESZ_S10_S11_S18_S1C_S1E_T6_T7_T9_mT8_S1G_bDpT10_ENKUlT_T0_E_clISt17integral_constantIbLb1EES1U_EEDaS1P_S1Q_EUlS1P_E_NS1_11comp_targetILNS1_3genE9ELNS1_11target_archE1100ELNS1_3gpuE3ELNS1_3repE0EEENS1_30default_config_static_selectorELNS0_4arch9wavefront6targetE0EEEvS12_
    .private_segment_fixed_size: 0
    .sgpr_count:     0
    .sgpr_spill_count: 0
    .symbol:         _ZN7rocprim17ROCPRIM_400000_NS6detail17trampoline_kernelINS0_13select_configILj256ELj13ELNS0_17block_load_methodE3ELS4_3ELS4_3ELNS0_20block_scan_algorithmE0ELj4294967295EEENS1_25partition_config_selectorILNS1_17partition_subalgoE4EjNS0_10empty_typeEbEEZZNS1_14partition_implILS8_4ELb0ES6_15HIP_vector_typeIjLj2EENS0_17counting_iteratorIjlEEPS9_SG_NS0_5tupleIJPjSI_NS0_16reverse_iteratorISI_EEEEENSH_IJSG_SG_SG_EEES9_SI_JZNS1_25segmented_radix_sort_implINS0_14default_configELb1EPKhPhPKlPlN2at6native12_GLOBAL__N_18offset_tEEE10hipError_tPvRmT1_PNSt15iterator_traitsIS12_E10value_typeET2_T3_PNS13_IS18_E10value_typeET4_jRbjT5_S1E_jjP12ihipStream_tbEUljE_ZNSN_ISO_Lb1ESQ_SR_ST_SU_SY_EESZ_S10_S11_S12_S16_S17_S18_S1B_S1C_jS1D_jS1E_S1E_jjS1G_bEUljE0_EEESZ_S10_S11_S18_S1C_S1E_T6_T7_T9_mT8_S1G_bDpT10_ENKUlT_T0_E_clISt17integral_constantIbLb1EES1U_EEDaS1P_S1Q_EUlS1P_E_NS1_11comp_targetILNS1_3genE9ELNS1_11target_archE1100ELNS1_3gpuE3ELNS1_3repE0EEENS1_30default_config_static_selectorELNS0_4arch9wavefront6targetE0EEEvS12_.kd
    .uniform_work_group_size: 1
    .uses_dynamic_stack: false
    .vgpr_count:     0
    .vgpr_spill_count: 0
    .wavefront_size: 32
    .workgroup_processor_mode: 1
  - .args:
      - .offset:         0
        .size:           184
        .value_kind:     by_value
    .group_segment_fixed_size: 0
    .kernarg_segment_align: 8
    .kernarg_segment_size: 184
    .language:       OpenCL C
    .language_version:
      - 2
      - 0
    .max_flat_workgroup_size: 256
    .name:           _ZN7rocprim17ROCPRIM_400000_NS6detail17trampoline_kernelINS0_13select_configILj256ELj13ELNS0_17block_load_methodE3ELS4_3ELS4_3ELNS0_20block_scan_algorithmE0ELj4294967295EEENS1_25partition_config_selectorILNS1_17partition_subalgoE4EjNS0_10empty_typeEbEEZZNS1_14partition_implILS8_4ELb0ES6_15HIP_vector_typeIjLj2EENS0_17counting_iteratorIjlEEPS9_SG_NS0_5tupleIJPjSI_NS0_16reverse_iteratorISI_EEEEENSH_IJSG_SG_SG_EEES9_SI_JZNS1_25segmented_radix_sort_implINS0_14default_configELb1EPKhPhPKlPlN2at6native12_GLOBAL__N_18offset_tEEE10hipError_tPvRmT1_PNSt15iterator_traitsIS12_E10value_typeET2_T3_PNS13_IS18_E10value_typeET4_jRbjT5_S1E_jjP12ihipStream_tbEUljE_ZNSN_ISO_Lb1ESQ_SR_ST_SU_SY_EESZ_S10_S11_S12_S16_S17_S18_S1B_S1C_jS1D_jS1E_S1E_jjS1G_bEUljE0_EEESZ_S10_S11_S18_S1C_S1E_T6_T7_T9_mT8_S1G_bDpT10_ENKUlT_T0_E_clISt17integral_constantIbLb1EES1U_EEDaS1P_S1Q_EUlS1P_E_NS1_11comp_targetILNS1_3genE8ELNS1_11target_archE1030ELNS1_3gpuE2ELNS1_3repE0EEENS1_30default_config_static_selectorELNS0_4arch9wavefront6targetE0EEEvS12_
    .private_segment_fixed_size: 0
    .sgpr_count:     0
    .sgpr_spill_count: 0
    .symbol:         _ZN7rocprim17ROCPRIM_400000_NS6detail17trampoline_kernelINS0_13select_configILj256ELj13ELNS0_17block_load_methodE3ELS4_3ELS4_3ELNS0_20block_scan_algorithmE0ELj4294967295EEENS1_25partition_config_selectorILNS1_17partition_subalgoE4EjNS0_10empty_typeEbEEZZNS1_14partition_implILS8_4ELb0ES6_15HIP_vector_typeIjLj2EENS0_17counting_iteratorIjlEEPS9_SG_NS0_5tupleIJPjSI_NS0_16reverse_iteratorISI_EEEEENSH_IJSG_SG_SG_EEES9_SI_JZNS1_25segmented_radix_sort_implINS0_14default_configELb1EPKhPhPKlPlN2at6native12_GLOBAL__N_18offset_tEEE10hipError_tPvRmT1_PNSt15iterator_traitsIS12_E10value_typeET2_T3_PNS13_IS18_E10value_typeET4_jRbjT5_S1E_jjP12ihipStream_tbEUljE_ZNSN_ISO_Lb1ESQ_SR_ST_SU_SY_EESZ_S10_S11_S12_S16_S17_S18_S1B_S1C_jS1D_jS1E_S1E_jjS1G_bEUljE0_EEESZ_S10_S11_S18_S1C_S1E_T6_T7_T9_mT8_S1G_bDpT10_ENKUlT_T0_E_clISt17integral_constantIbLb1EES1U_EEDaS1P_S1Q_EUlS1P_E_NS1_11comp_targetILNS1_3genE8ELNS1_11target_archE1030ELNS1_3gpuE2ELNS1_3repE0EEENS1_30default_config_static_selectorELNS0_4arch9wavefront6targetE0EEEvS12_.kd
    .uniform_work_group_size: 1
    .uses_dynamic_stack: false
    .vgpr_count:     0
    .vgpr_spill_count: 0
    .wavefront_size: 32
    .workgroup_processor_mode: 1
  - .args:
      - .address_space:  global
        .offset:         0
        .size:           8
        .value_kind:     global_buffer
      - .offset:         8
        .size:           4
        .value_kind:     by_value
      - .offset:         12
        .size:           1
        .value_kind:     by_value
      - .offset:         16
        .size:           4
        .value_kind:     by_value
      - .address_space:  global
        .offset:         24
        .size:           8
        .value_kind:     global_buffer
      - .offset:         32
        .size:           4
        .value_kind:     hidden_block_count_x
      - .offset:         36
        .size:           4
        .value_kind:     hidden_block_count_y
      - .offset:         40
        .size:           4
        .value_kind:     hidden_block_count_z
      - .offset:         44
        .size:           2
        .value_kind:     hidden_group_size_x
      - .offset:         46
        .size:           2
        .value_kind:     hidden_group_size_y
      - .offset:         48
        .size:           2
        .value_kind:     hidden_group_size_z
      - .offset:         50
        .size:           2
        .value_kind:     hidden_remainder_x
      - .offset:         52
        .size:           2
        .value_kind:     hidden_remainder_y
      - .offset:         54
        .size:           2
        .value_kind:     hidden_remainder_z
      - .offset:         72
        .size:           8
        .value_kind:     hidden_global_offset_x
      - .offset:         80
        .size:           8
        .value_kind:     hidden_global_offset_y
      - .offset:         88
        .size:           8
        .value_kind:     hidden_global_offset_z
      - .offset:         96
        .size:           2
        .value_kind:     hidden_grid_dims
    .group_segment_fixed_size: 0
    .kernarg_segment_align: 8
    .kernarg_segment_size: 288
    .language:       OpenCL C
    .language_version:
      - 2
      - 0
    .max_flat_workgroup_size: 256
    .name:           _ZN7rocprim17ROCPRIM_400000_NS6detail31init_lookback_scan_state_kernelINS1_19lookback_scan_stateI15HIP_vector_typeIjLj2EELb1ELb1EEENS1_16block_id_wrapperIjLb0EEEEEvT_jT0_jPNS9_10value_typeE
    .private_segment_fixed_size: 0
    .sgpr_count:     12
    .sgpr_spill_count: 0
    .symbol:         _ZN7rocprim17ROCPRIM_400000_NS6detail31init_lookback_scan_state_kernelINS1_19lookback_scan_stateI15HIP_vector_typeIjLj2EELb1ELb1EEENS1_16block_id_wrapperIjLb0EEEEEvT_jT0_jPNS9_10value_typeE.kd
    .uniform_work_group_size: 1
    .uses_dynamic_stack: false
    .vgpr_count:     8
    .vgpr_spill_count: 0
    .wavefront_size: 32
    .workgroup_processor_mode: 1
  - .args:
      - .offset:         0
        .size:           176
        .value_kind:     by_value
    .group_segment_fixed_size: 0
    .kernarg_segment_align: 8
    .kernarg_segment_size: 176
    .language:       OpenCL C
    .language_version:
      - 2
      - 0
    .max_flat_workgroup_size: 256
    .name:           _ZN7rocprim17ROCPRIM_400000_NS6detail17trampoline_kernelINS0_13select_configILj256ELj13ELNS0_17block_load_methodE3ELS4_3ELS4_3ELNS0_20block_scan_algorithmE0ELj4294967295EEENS1_25partition_config_selectorILNS1_17partition_subalgoE4EjNS0_10empty_typeEbEEZZNS1_14partition_implILS8_4ELb0ES6_15HIP_vector_typeIjLj2EENS0_17counting_iteratorIjlEEPS9_SG_NS0_5tupleIJPjSI_NS0_16reverse_iteratorISI_EEEEENSH_IJSG_SG_SG_EEES9_SI_JZNS1_25segmented_radix_sort_implINS0_14default_configELb1EPKhPhPKlPlN2at6native12_GLOBAL__N_18offset_tEEE10hipError_tPvRmT1_PNSt15iterator_traitsIS12_E10value_typeET2_T3_PNS13_IS18_E10value_typeET4_jRbjT5_S1E_jjP12ihipStream_tbEUljE_ZNSN_ISO_Lb1ESQ_SR_ST_SU_SY_EESZ_S10_S11_S12_S16_S17_S18_S1B_S1C_jS1D_jS1E_S1E_jjS1G_bEUljE0_EEESZ_S10_S11_S18_S1C_S1E_T6_T7_T9_mT8_S1G_bDpT10_ENKUlT_T0_E_clISt17integral_constantIbLb1EES1T_IbLb0EEEEDaS1P_S1Q_EUlS1P_E_NS1_11comp_targetILNS1_3genE0ELNS1_11target_archE4294967295ELNS1_3gpuE0ELNS1_3repE0EEENS1_30default_config_static_selectorELNS0_4arch9wavefront6targetE0EEEvS12_
    .private_segment_fixed_size: 0
    .sgpr_count:     0
    .sgpr_spill_count: 0
    .symbol:         _ZN7rocprim17ROCPRIM_400000_NS6detail17trampoline_kernelINS0_13select_configILj256ELj13ELNS0_17block_load_methodE3ELS4_3ELS4_3ELNS0_20block_scan_algorithmE0ELj4294967295EEENS1_25partition_config_selectorILNS1_17partition_subalgoE4EjNS0_10empty_typeEbEEZZNS1_14partition_implILS8_4ELb0ES6_15HIP_vector_typeIjLj2EENS0_17counting_iteratorIjlEEPS9_SG_NS0_5tupleIJPjSI_NS0_16reverse_iteratorISI_EEEEENSH_IJSG_SG_SG_EEES9_SI_JZNS1_25segmented_radix_sort_implINS0_14default_configELb1EPKhPhPKlPlN2at6native12_GLOBAL__N_18offset_tEEE10hipError_tPvRmT1_PNSt15iterator_traitsIS12_E10value_typeET2_T3_PNS13_IS18_E10value_typeET4_jRbjT5_S1E_jjP12ihipStream_tbEUljE_ZNSN_ISO_Lb1ESQ_SR_ST_SU_SY_EESZ_S10_S11_S12_S16_S17_S18_S1B_S1C_jS1D_jS1E_S1E_jjS1G_bEUljE0_EEESZ_S10_S11_S18_S1C_S1E_T6_T7_T9_mT8_S1G_bDpT10_ENKUlT_T0_E_clISt17integral_constantIbLb1EES1T_IbLb0EEEEDaS1P_S1Q_EUlS1P_E_NS1_11comp_targetILNS1_3genE0ELNS1_11target_archE4294967295ELNS1_3gpuE0ELNS1_3repE0EEENS1_30default_config_static_selectorELNS0_4arch9wavefront6targetE0EEEvS12_.kd
    .uniform_work_group_size: 1
    .uses_dynamic_stack: false
    .vgpr_count:     0
    .vgpr_spill_count: 0
    .wavefront_size: 32
    .workgroup_processor_mode: 1
  - .args:
      - .offset:         0
        .size:           176
        .value_kind:     by_value
    .group_segment_fixed_size: 0
    .kernarg_segment_align: 8
    .kernarg_segment_size: 176
    .language:       OpenCL C
    .language_version:
      - 2
      - 0
    .max_flat_workgroup_size: 256
    .name:           _ZN7rocprim17ROCPRIM_400000_NS6detail17trampoline_kernelINS0_13select_configILj256ELj13ELNS0_17block_load_methodE3ELS4_3ELS4_3ELNS0_20block_scan_algorithmE0ELj4294967295EEENS1_25partition_config_selectorILNS1_17partition_subalgoE4EjNS0_10empty_typeEbEEZZNS1_14partition_implILS8_4ELb0ES6_15HIP_vector_typeIjLj2EENS0_17counting_iteratorIjlEEPS9_SG_NS0_5tupleIJPjSI_NS0_16reverse_iteratorISI_EEEEENSH_IJSG_SG_SG_EEES9_SI_JZNS1_25segmented_radix_sort_implINS0_14default_configELb1EPKhPhPKlPlN2at6native12_GLOBAL__N_18offset_tEEE10hipError_tPvRmT1_PNSt15iterator_traitsIS12_E10value_typeET2_T3_PNS13_IS18_E10value_typeET4_jRbjT5_S1E_jjP12ihipStream_tbEUljE_ZNSN_ISO_Lb1ESQ_SR_ST_SU_SY_EESZ_S10_S11_S12_S16_S17_S18_S1B_S1C_jS1D_jS1E_S1E_jjS1G_bEUljE0_EEESZ_S10_S11_S18_S1C_S1E_T6_T7_T9_mT8_S1G_bDpT10_ENKUlT_T0_E_clISt17integral_constantIbLb1EES1T_IbLb0EEEEDaS1P_S1Q_EUlS1P_E_NS1_11comp_targetILNS1_3genE5ELNS1_11target_archE942ELNS1_3gpuE9ELNS1_3repE0EEENS1_30default_config_static_selectorELNS0_4arch9wavefront6targetE0EEEvS12_
    .private_segment_fixed_size: 0
    .sgpr_count:     0
    .sgpr_spill_count: 0
    .symbol:         _ZN7rocprim17ROCPRIM_400000_NS6detail17trampoline_kernelINS0_13select_configILj256ELj13ELNS0_17block_load_methodE3ELS4_3ELS4_3ELNS0_20block_scan_algorithmE0ELj4294967295EEENS1_25partition_config_selectorILNS1_17partition_subalgoE4EjNS0_10empty_typeEbEEZZNS1_14partition_implILS8_4ELb0ES6_15HIP_vector_typeIjLj2EENS0_17counting_iteratorIjlEEPS9_SG_NS0_5tupleIJPjSI_NS0_16reverse_iteratorISI_EEEEENSH_IJSG_SG_SG_EEES9_SI_JZNS1_25segmented_radix_sort_implINS0_14default_configELb1EPKhPhPKlPlN2at6native12_GLOBAL__N_18offset_tEEE10hipError_tPvRmT1_PNSt15iterator_traitsIS12_E10value_typeET2_T3_PNS13_IS18_E10value_typeET4_jRbjT5_S1E_jjP12ihipStream_tbEUljE_ZNSN_ISO_Lb1ESQ_SR_ST_SU_SY_EESZ_S10_S11_S12_S16_S17_S18_S1B_S1C_jS1D_jS1E_S1E_jjS1G_bEUljE0_EEESZ_S10_S11_S18_S1C_S1E_T6_T7_T9_mT8_S1G_bDpT10_ENKUlT_T0_E_clISt17integral_constantIbLb1EES1T_IbLb0EEEEDaS1P_S1Q_EUlS1P_E_NS1_11comp_targetILNS1_3genE5ELNS1_11target_archE942ELNS1_3gpuE9ELNS1_3repE0EEENS1_30default_config_static_selectorELNS0_4arch9wavefront6targetE0EEEvS12_.kd
    .uniform_work_group_size: 1
    .uses_dynamic_stack: false
    .vgpr_count:     0
    .vgpr_spill_count: 0
    .wavefront_size: 32
    .workgroup_processor_mode: 1
  - .args:
      - .offset:         0
        .size:           176
        .value_kind:     by_value
    .group_segment_fixed_size: 0
    .kernarg_segment_align: 8
    .kernarg_segment_size: 176
    .language:       OpenCL C
    .language_version:
      - 2
      - 0
    .max_flat_workgroup_size: 256
    .name:           _ZN7rocprim17ROCPRIM_400000_NS6detail17trampoline_kernelINS0_13select_configILj256ELj13ELNS0_17block_load_methodE3ELS4_3ELS4_3ELNS0_20block_scan_algorithmE0ELj4294967295EEENS1_25partition_config_selectorILNS1_17partition_subalgoE4EjNS0_10empty_typeEbEEZZNS1_14partition_implILS8_4ELb0ES6_15HIP_vector_typeIjLj2EENS0_17counting_iteratorIjlEEPS9_SG_NS0_5tupleIJPjSI_NS0_16reverse_iteratorISI_EEEEENSH_IJSG_SG_SG_EEES9_SI_JZNS1_25segmented_radix_sort_implINS0_14default_configELb1EPKhPhPKlPlN2at6native12_GLOBAL__N_18offset_tEEE10hipError_tPvRmT1_PNSt15iterator_traitsIS12_E10value_typeET2_T3_PNS13_IS18_E10value_typeET4_jRbjT5_S1E_jjP12ihipStream_tbEUljE_ZNSN_ISO_Lb1ESQ_SR_ST_SU_SY_EESZ_S10_S11_S12_S16_S17_S18_S1B_S1C_jS1D_jS1E_S1E_jjS1G_bEUljE0_EEESZ_S10_S11_S18_S1C_S1E_T6_T7_T9_mT8_S1G_bDpT10_ENKUlT_T0_E_clISt17integral_constantIbLb1EES1T_IbLb0EEEEDaS1P_S1Q_EUlS1P_E_NS1_11comp_targetILNS1_3genE4ELNS1_11target_archE910ELNS1_3gpuE8ELNS1_3repE0EEENS1_30default_config_static_selectorELNS0_4arch9wavefront6targetE0EEEvS12_
    .private_segment_fixed_size: 0
    .sgpr_count:     0
    .sgpr_spill_count: 0
    .symbol:         _ZN7rocprim17ROCPRIM_400000_NS6detail17trampoline_kernelINS0_13select_configILj256ELj13ELNS0_17block_load_methodE3ELS4_3ELS4_3ELNS0_20block_scan_algorithmE0ELj4294967295EEENS1_25partition_config_selectorILNS1_17partition_subalgoE4EjNS0_10empty_typeEbEEZZNS1_14partition_implILS8_4ELb0ES6_15HIP_vector_typeIjLj2EENS0_17counting_iteratorIjlEEPS9_SG_NS0_5tupleIJPjSI_NS0_16reverse_iteratorISI_EEEEENSH_IJSG_SG_SG_EEES9_SI_JZNS1_25segmented_radix_sort_implINS0_14default_configELb1EPKhPhPKlPlN2at6native12_GLOBAL__N_18offset_tEEE10hipError_tPvRmT1_PNSt15iterator_traitsIS12_E10value_typeET2_T3_PNS13_IS18_E10value_typeET4_jRbjT5_S1E_jjP12ihipStream_tbEUljE_ZNSN_ISO_Lb1ESQ_SR_ST_SU_SY_EESZ_S10_S11_S12_S16_S17_S18_S1B_S1C_jS1D_jS1E_S1E_jjS1G_bEUljE0_EEESZ_S10_S11_S18_S1C_S1E_T6_T7_T9_mT8_S1G_bDpT10_ENKUlT_T0_E_clISt17integral_constantIbLb1EES1T_IbLb0EEEEDaS1P_S1Q_EUlS1P_E_NS1_11comp_targetILNS1_3genE4ELNS1_11target_archE910ELNS1_3gpuE8ELNS1_3repE0EEENS1_30default_config_static_selectorELNS0_4arch9wavefront6targetE0EEEvS12_.kd
    .uniform_work_group_size: 1
    .uses_dynamic_stack: false
    .vgpr_count:     0
    .vgpr_spill_count: 0
    .wavefront_size: 32
    .workgroup_processor_mode: 1
  - .args:
      - .offset:         0
        .size:           176
        .value_kind:     by_value
    .group_segment_fixed_size: 0
    .kernarg_segment_align: 8
    .kernarg_segment_size: 176
    .language:       OpenCL C
    .language_version:
      - 2
      - 0
    .max_flat_workgroup_size: 256
    .name:           _ZN7rocprim17ROCPRIM_400000_NS6detail17trampoline_kernelINS0_13select_configILj256ELj13ELNS0_17block_load_methodE3ELS4_3ELS4_3ELNS0_20block_scan_algorithmE0ELj4294967295EEENS1_25partition_config_selectorILNS1_17partition_subalgoE4EjNS0_10empty_typeEbEEZZNS1_14partition_implILS8_4ELb0ES6_15HIP_vector_typeIjLj2EENS0_17counting_iteratorIjlEEPS9_SG_NS0_5tupleIJPjSI_NS0_16reverse_iteratorISI_EEEEENSH_IJSG_SG_SG_EEES9_SI_JZNS1_25segmented_radix_sort_implINS0_14default_configELb1EPKhPhPKlPlN2at6native12_GLOBAL__N_18offset_tEEE10hipError_tPvRmT1_PNSt15iterator_traitsIS12_E10value_typeET2_T3_PNS13_IS18_E10value_typeET4_jRbjT5_S1E_jjP12ihipStream_tbEUljE_ZNSN_ISO_Lb1ESQ_SR_ST_SU_SY_EESZ_S10_S11_S12_S16_S17_S18_S1B_S1C_jS1D_jS1E_S1E_jjS1G_bEUljE0_EEESZ_S10_S11_S18_S1C_S1E_T6_T7_T9_mT8_S1G_bDpT10_ENKUlT_T0_E_clISt17integral_constantIbLb1EES1T_IbLb0EEEEDaS1P_S1Q_EUlS1P_E_NS1_11comp_targetILNS1_3genE3ELNS1_11target_archE908ELNS1_3gpuE7ELNS1_3repE0EEENS1_30default_config_static_selectorELNS0_4arch9wavefront6targetE0EEEvS12_
    .private_segment_fixed_size: 0
    .sgpr_count:     0
    .sgpr_spill_count: 0
    .symbol:         _ZN7rocprim17ROCPRIM_400000_NS6detail17trampoline_kernelINS0_13select_configILj256ELj13ELNS0_17block_load_methodE3ELS4_3ELS4_3ELNS0_20block_scan_algorithmE0ELj4294967295EEENS1_25partition_config_selectorILNS1_17partition_subalgoE4EjNS0_10empty_typeEbEEZZNS1_14partition_implILS8_4ELb0ES6_15HIP_vector_typeIjLj2EENS0_17counting_iteratorIjlEEPS9_SG_NS0_5tupleIJPjSI_NS0_16reverse_iteratorISI_EEEEENSH_IJSG_SG_SG_EEES9_SI_JZNS1_25segmented_radix_sort_implINS0_14default_configELb1EPKhPhPKlPlN2at6native12_GLOBAL__N_18offset_tEEE10hipError_tPvRmT1_PNSt15iterator_traitsIS12_E10value_typeET2_T3_PNS13_IS18_E10value_typeET4_jRbjT5_S1E_jjP12ihipStream_tbEUljE_ZNSN_ISO_Lb1ESQ_SR_ST_SU_SY_EESZ_S10_S11_S12_S16_S17_S18_S1B_S1C_jS1D_jS1E_S1E_jjS1G_bEUljE0_EEESZ_S10_S11_S18_S1C_S1E_T6_T7_T9_mT8_S1G_bDpT10_ENKUlT_T0_E_clISt17integral_constantIbLb1EES1T_IbLb0EEEEDaS1P_S1Q_EUlS1P_E_NS1_11comp_targetILNS1_3genE3ELNS1_11target_archE908ELNS1_3gpuE7ELNS1_3repE0EEENS1_30default_config_static_selectorELNS0_4arch9wavefront6targetE0EEEvS12_.kd
    .uniform_work_group_size: 1
    .uses_dynamic_stack: false
    .vgpr_count:     0
    .vgpr_spill_count: 0
    .wavefront_size: 32
    .workgroup_processor_mode: 1
  - .args:
      - .offset:         0
        .size:           176
        .value_kind:     by_value
    .group_segment_fixed_size: 0
    .kernarg_segment_align: 8
    .kernarg_segment_size: 176
    .language:       OpenCL C
    .language_version:
      - 2
      - 0
    .max_flat_workgroup_size: 256
    .name:           _ZN7rocprim17ROCPRIM_400000_NS6detail17trampoline_kernelINS0_13select_configILj256ELj13ELNS0_17block_load_methodE3ELS4_3ELS4_3ELNS0_20block_scan_algorithmE0ELj4294967295EEENS1_25partition_config_selectorILNS1_17partition_subalgoE4EjNS0_10empty_typeEbEEZZNS1_14partition_implILS8_4ELb0ES6_15HIP_vector_typeIjLj2EENS0_17counting_iteratorIjlEEPS9_SG_NS0_5tupleIJPjSI_NS0_16reverse_iteratorISI_EEEEENSH_IJSG_SG_SG_EEES9_SI_JZNS1_25segmented_radix_sort_implINS0_14default_configELb1EPKhPhPKlPlN2at6native12_GLOBAL__N_18offset_tEEE10hipError_tPvRmT1_PNSt15iterator_traitsIS12_E10value_typeET2_T3_PNS13_IS18_E10value_typeET4_jRbjT5_S1E_jjP12ihipStream_tbEUljE_ZNSN_ISO_Lb1ESQ_SR_ST_SU_SY_EESZ_S10_S11_S12_S16_S17_S18_S1B_S1C_jS1D_jS1E_S1E_jjS1G_bEUljE0_EEESZ_S10_S11_S18_S1C_S1E_T6_T7_T9_mT8_S1G_bDpT10_ENKUlT_T0_E_clISt17integral_constantIbLb1EES1T_IbLb0EEEEDaS1P_S1Q_EUlS1P_E_NS1_11comp_targetILNS1_3genE2ELNS1_11target_archE906ELNS1_3gpuE6ELNS1_3repE0EEENS1_30default_config_static_selectorELNS0_4arch9wavefront6targetE0EEEvS12_
    .private_segment_fixed_size: 0
    .sgpr_count:     0
    .sgpr_spill_count: 0
    .symbol:         _ZN7rocprim17ROCPRIM_400000_NS6detail17trampoline_kernelINS0_13select_configILj256ELj13ELNS0_17block_load_methodE3ELS4_3ELS4_3ELNS0_20block_scan_algorithmE0ELj4294967295EEENS1_25partition_config_selectorILNS1_17partition_subalgoE4EjNS0_10empty_typeEbEEZZNS1_14partition_implILS8_4ELb0ES6_15HIP_vector_typeIjLj2EENS0_17counting_iteratorIjlEEPS9_SG_NS0_5tupleIJPjSI_NS0_16reverse_iteratorISI_EEEEENSH_IJSG_SG_SG_EEES9_SI_JZNS1_25segmented_radix_sort_implINS0_14default_configELb1EPKhPhPKlPlN2at6native12_GLOBAL__N_18offset_tEEE10hipError_tPvRmT1_PNSt15iterator_traitsIS12_E10value_typeET2_T3_PNS13_IS18_E10value_typeET4_jRbjT5_S1E_jjP12ihipStream_tbEUljE_ZNSN_ISO_Lb1ESQ_SR_ST_SU_SY_EESZ_S10_S11_S12_S16_S17_S18_S1B_S1C_jS1D_jS1E_S1E_jjS1G_bEUljE0_EEESZ_S10_S11_S18_S1C_S1E_T6_T7_T9_mT8_S1G_bDpT10_ENKUlT_T0_E_clISt17integral_constantIbLb1EES1T_IbLb0EEEEDaS1P_S1Q_EUlS1P_E_NS1_11comp_targetILNS1_3genE2ELNS1_11target_archE906ELNS1_3gpuE6ELNS1_3repE0EEENS1_30default_config_static_selectorELNS0_4arch9wavefront6targetE0EEEvS12_.kd
    .uniform_work_group_size: 1
    .uses_dynamic_stack: false
    .vgpr_count:     0
    .vgpr_spill_count: 0
    .wavefront_size: 32
    .workgroup_processor_mode: 1
  - .args:
      - .offset:         0
        .size:           176
        .value_kind:     by_value
    .group_segment_fixed_size: 0
    .kernarg_segment_align: 8
    .kernarg_segment_size: 176
    .language:       OpenCL C
    .language_version:
      - 2
      - 0
    .max_flat_workgroup_size: 256
    .name:           _ZN7rocprim17ROCPRIM_400000_NS6detail17trampoline_kernelINS0_13select_configILj256ELj13ELNS0_17block_load_methodE3ELS4_3ELS4_3ELNS0_20block_scan_algorithmE0ELj4294967295EEENS1_25partition_config_selectorILNS1_17partition_subalgoE4EjNS0_10empty_typeEbEEZZNS1_14partition_implILS8_4ELb0ES6_15HIP_vector_typeIjLj2EENS0_17counting_iteratorIjlEEPS9_SG_NS0_5tupleIJPjSI_NS0_16reverse_iteratorISI_EEEEENSH_IJSG_SG_SG_EEES9_SI_JZNS1_25segmented_radix_sort_implINS0_14default_configELb1EPKhPhPKlPlN2at6native12_GLOBAL__N_18offset_tEEE10hipError_tPvRmT1_PNSt15iterator_traitsIS12_E10value_typeET2_T3_PNS13_IS18_E10value_typeET4_jRbjT5_S1E_jjP12ihipStream_tbEUljE_ZNSN_ISO_Lb1ESQ_SR_ST_SU_SY_EESZ_S10_S11_S12_S16_S17_S18_S1B_S1C_jS1D_jS1E_S1E_jjS1G_bEUljE0_EEESZ_S10_S11_S18_S1C_S1E_T6_T7_T9_mT8_S1G_bDpT10_ENKUlT_T0_E_clISt17integral_constantIbLb1EES1T_IbLb0EEEEDaS1P_S1Q_EUlS1P_E_NS1_11comp_targetILNS1_3genE10ELNS1_11target_archE1200ELNS1_3gpuE4ELNS1_3repE0EEENS1_30default_config_static_selectorELNS0_4arch9wavefront6targetE0EEEvS12_
    .private_segment_fixed_size: 0
    .sgpr_count:     0
    .sgpr_spill_count: 0
    .symbol:         _ZN7rocprim17ROCPRIM_400000_NS6detail17trampoline_kernelINS0_13select_configILj256ELj13ELNS0_17block_load_methodE3ELS4_3ELS4_3ELNS0_20block_scan_algorithmE0ELj4294967295EEENS1_25partition_config_selectorILNS1_17partition_subalgoE4EjNS0_10empty_typeEbEEZZNS1_14partition_implILS8_4ELb0ES6_15HIP_vector_typeIjLj2EENS0_17counting_iteratorIjlEEPS9_SG_NS0_5tupleIJPjSI_NS0_16reverse_iteratorISI_EEEEENSH_IJSG_SG_SG_EEES9_SI_JZNS1_25segmented_radix_sort_implINS0_14default_configELb1EPKhPhPKlPlN2at6native12_GLOBAL__N_18offset_tEEE10hipError_tPvRmT1_PNSt15iterator_traitsIS12_E10value_typeET2_T3_PNS13_IS18_E10value_typeET4_jRbjT5_S1E_jjP12ihipStream_tbEUljE_ZNSN_ISO_Lb1ESQ_SR_ST_SU_SY_EESZ_S10_S11_S12_S16_S17_S18_S1B_S1C_jS1D_jS1E_S1E_jjS1G_bEUljE0_EEESZ_S10_S11_S18_S1C_S1E_T6_T7_T9_mT8_S1G_bDpT10_ENKUlT_T0_E_clISt17integral_constantIbLb1EES1T_IbLb0EEEEDaS1P_S1Q_EUlS1P_E_NS1_11comp_targetILNS1_3genE10ELNS1_11target_archE1200ELNS1_3gpuE4ELNS1_3repE0EEENS1_30default_config_static_selectorELNS0_4arch9wavefront6targetE0EEEvS12_.kd
    .uniform_work_group_size: 1
    .uses_dynamic_stack: false
    .vgpr_count:     0
    .vgpr_spill_count: 0
    .wavefront_size: 32
    .workgroup_processor_mode: 1
  - .args:
      - .offset:         0
        .size:           176
        .value_kind:     by_value
    .group_segment_fixed_size: 0
    .kernarg_segment_align: 8
    .kernarg_segment_size: 176
    .language:       OpenCL C
    .language_version:
      - 2
      - 0
    .max_flat_workgroup_size: 256
    .name:           _ZN7rocprim17ROCPRIM_400000_NS6detail17trampoline_kernelINS0_13select_configILj256ELj13ELNS0_17block_load_methodE3ELS4_3ELS4_3ELNS0_20block_scan_algorithmE0ELj4294967295EEENS1_25partition_config_selectorILNS1_17partition_subalgoE4EjNS0_10empty_typeEbEEZZNS1_14partition_implILS8_4ELb0ES6_15HIP_vector_typeIjLj2EENS0_17counting_iteratorIjlEEPS9_SG_NS0_5tupleIJPjSI_NS0_16reverse_iteratorISI_EEEEENSH_IJSG_SG_SG_EEES9_SI_JZNS1_25segmented_radix_sort_implINS0_14default_configELb1EPKhPhPKlPlN2at6native12_GLOBAL__N_18offset_tEEE10hipError_tPvRmT1_PNSt15iterator_traitsIS12_E10value_typeET2_T3_PNS13_IS18_E10value_typeET4_jRbjT5_S1E_jjP12ihipStream_tbEUljE_ZNSN_ISO_Lb1ESQ_SR_ST_SU_SY_EESZ_S10_S11_S12_S16_S17_S18_S1B_S1C_jS1D_jS1E_S1E_jjS1G_bEUljE0_EEESZ_S10_S11_S18_S1C_S1E_T6_T7_T9_mT8_S1G_bDpT10_ENKUlT_T0_E_clISt17integral_constantIbLb1EES1T_IbLb0EEEEDaS1P_S1Q_EUlS1P_E_NS1_11comp_targetILNS1_3genE9ELNS1_11target_archE1100ELNS1_3gpuE3ELNS1_3repE0EEENS1_30default_config_static_selectorELNS0_4arch9wavefront6targetE0EEEvS12_
    .private_segment_fixed_size: 0
    .sgpr_count:     0
    .sgpr_spill_count: 0
    .symbol:         _ZN7rocprim17ROCPRIM_400000_NS6detail17trampoline_kernelINS0_13select_configILj256ELj13ELNS0_17block_load_methodE3ELS4_3ELS4_3ELNS0_20block_scan_algorithmE0ELj4294967295EEENS1_25partition_config_selectorILNS1_17partition_subalgoE4EjNS0_10empty_typeEbEEZZNS1_14partition_implILS8_4ELb0ES6_15HIP_vector_typeIjLj2EENS0_17counting_iteratorIjlEEPS9_SG_NS0_5tupleIJPjSI_NS0_16reverse_iteratorISI_EEEEENSH_IJSG_SG_SG_EEES9_SI_JZNS1_25segmented_radix_sort_implINS0_14default_configELb1EPKhPhPKlPlN2at6native12_GLOBAL__N_18offset_tEEE10hipError_tPvRmT1_PNSt15iterator_traitsIS12_E10value_typeET2_T3_PNS13_IS18_E10value_typeET4_jRbjT5_S1E_jjP12ihipStream_tbEUljE_ZNSN_ISO_Lb1ESQ_SR_ST_SU_SY_EESZ_S10_S11_S12_S16_S17_S18_S1B_S1C_jS1D_jS1E_S1E_jjS1G_bEUljE0_EEESZ_S10_S11_S18_S1C_S1E_T6_T7_T9_mT8_S1G_bDpT10_ENKUlT_T0_E_clISt17integral_constantIbLb1EES1T_IbLb0EEEEDaS1P_S1Q_EUlS1P_E_NS1_11comp_targetILNS1_3genE9ELNS1_11target_archE1100ELNS1_3gpuE3ELNS1_3repE0EEENS1_30default_config_static_selectorELNS0_4arch9wavefront6targetE0EEEvS12_.kd
    .uniform_work_group_size: 1
    .uses_dynamic_stack: false
    .vgpr_count:     0
    .vgpr_spill_count: 0
    .wavefront_size: 32
    .workgroup_processor_mode: 1
  - .args:
      - .offset:         0
        .size:           176
        .value_kind:     by_value
    .group_segment_fixed_size: 0
    .kernarg_segment_align: 8
    .kernarg_segment_size: 176
    .language:       OpenCL C
    .language_version:
      - 2
      - 0
    .max_flat_workgroup_size: 256
    .name:           _ZN7rocprim17ROCPRIM_400000_NS6detail17trampoline_kernelINS0_13select_configILj256ELj13ELNS0_17block_load_methodE3ELS4_3ELS4_3ELNS0_20block_scan_algorithmE0ELj4294967295EEENS1_25partition_config_selectorILNS1_17partition_subalgoE4EjNS0_10empty_typeEbEEZZNS1_14partition_implILS8_4ELb0ES6_15HIP_vector_typeIjLj2EENS0_17counting_iteratorIjlEEPS9_SG_NS0_5tupleIJPjSI_NS0_16reverse_iteratorISI_EEEEENSH_IJSG_SG_SG_EEES9_SI_JZNS1_25segmented_radix_sort_implINS0_14default_configELb1EPKhPhPKlPlN2at6native12_GLOBAL__N_18offset_tEEE10hipError_tPvRmT1_PNSt15iterator_traitsIS12_E10value_typeET2_T3_PNS13_IS18_E10value_typeET4_jRbjT5_S1E_jjP12ihipStream_tbEUljE_ZNSN_ISO_Lb1ESQ_SR_ST_SU_SY_EESZ_S10_S11_S12_S16_S17_S18_S1B_S1C_jS1D_jS1E_S1E_jjS1G_bEUljE0_EEESZ_S10_S11_S18_S1C_S1E_T6_T7_T9_mT8_S1G_bDpT10_ENKUlT_T0_E_clISt17integral_constantIbLb1EES1T_IbLb0EEEEDaS1P_S1Q_EUlS1P_E_NS1_11comp_targetILNS1_3genE8ELNS1_11target_archE1030ELNS1_3gpuE2ELNS1_3repE0EEENS1_30default_config_static_selectorELNS0_4arch9wavefront6targetE0EEEvS12_
    .private_segment_fixed_size: 0
    .sgpr_count:     0
    .sgpr_spill_count: 0
    .symbol:         _ZN7rocprim17ROCPRIM_400000_NS6detail17trampoline_kernelINS0_13select_configILj256ELj13ELNS0_17block_load_methodE3ELS4_3ELS4_3ELNS0_20block_scan_algorithmE0ELj4294967295EEENS1_25partition_config_selectorILNS1_17partition_subalgoE4EjNS0_10empty_typeEbEEZZNS1_14partition_implILS8_4ELb0ES6_15HIP_vector_typeIjLj2EENS0_17counting_iteratorIjlEEPS9_SG_NS0_5tupleIJPjSI_NS0_16reverse_iteratorISI_EEEEENSH_IJSG_SG_SG_EEES9_SI_JZNS1_25segmented_radix_sort_implINS0_14default_configELb1EPKhPhPKlPlN2at6native12_GLOBAL__N_18offset_tEEE10hipError_tPvRmT1_PNSt15iterator_traitsIS12_E10value_typeET2_T3_PNS13_IS18_E10value_typeET4_jRbjT5_S1E_jjP12ihipStream_tbEUljE_ZNSN_ISO_Lb1ESQ_SR_ST_SU_SY_EESZ_S10_S11_S12_S16_S17_S18_S1B_S1C_jS1D_jS1E_S1E_jjS1G_bEUljE0_EEESZ_S10_S11_S18_S1C_S1E_T6_T7_T9_mT8_S1G_bDpT10_ENKUlT_T0_E_clISt17integral_constantIbLb1EES1T_IbLb0EEEEDaS1P_S1Q_EUlS1P_E_NS1_11comp_targetILNS1_3genE8ELNS1_11target_archE1030ELNS1_3gpuE2ELNS1_3repE0EEENS1_30default_config_static_selectorELNS0_4arch9wavefront6targetE0EEEvS12_.kd
    .uniform_work_group_size: 1
    .uses_dynamic_stack: false
    .vgpr_count:     0
    .vgpr_spill_count: 0
    .wavefront_size: 32
    .workgroup_processor_mode: 1
  - .args:
      - .address_space:  global
        .offset:         0
        .size:           8
        .value_kind:     global_buffer
      - .offset:         8
        .size:           4
        .value_kind:     by_value
      - .address_space:  global
        .offset:         16
        .size:           8
        .value_kind:     global_buffer
      - .offset:         24
        .size:           4
        .value_kind:     by_value
      - .address_space:  global
        .offset:         32
        .size:           8
        .value_kind:     global_buffer
      - .offset:         40
        .size:           4
        .value_kind:     hidden_block_count_x
      - .offset:         44
        .size:           4
        .value_kind:     hidden_block_count_y
      - .offset:         48
        .size:           4
        .value_kind:     hidden_block_count_z
      - .offset:         52
        .size:           2
        .value_kind:     hidden_group_size_x
      - .offset:         54
        .size:           2
        .value_kind:     hidden_group_size_y
      - .offset:         56
        .size:           2
        .value_kind:     hidden_group_size_z
      - .offset:         58
        .size:           2
        .value_kind:     hidden_remainder_x
      - .offset:         60
        .size:           2
        .value_kind:     hidden_remainder_y
      - .offset:         62
        .size:           2
        .value_kind:     hidden_remainder_z
      - .offset:         80
        .size:           8
        .value_kind:     hidden_global_offset_x
      - .offset:         88
        .size:           8
        .value_kind:     hidden_global_offset_y
      - .offset:         96
        .size:           8
        .value_kind:     hidden_global_offset_z
      - .offset:         104
        .size:           2
        .value_kind:     hidden_grid_dims
    .group_segment_fixed_size: 0
    .kernarg_segment_align: 8
    .kernarg_segment_size: 296
    .language:       OpenCL C
    .language_version:
      - 2
      - 0
    .max_flat_workgroup_size: 256
    .name:           _ZN7rocprim17ROCPRIM_400000_NS6detail31init_lookback_scan_state_kernelINS1_19lookback_scan_stateI15HIP_vector_typeIjLj2EELb0ELb1EEENS1_16block_id_wrapperIjLb1EEEEEvT_jT0_jPNS9_10value_typeE
    .private_segment_fixed_size: 0
    .sgpr_count:     13
    .sgpr_spill_count: 0
    .symbol:         _ZN7rocprim17ROCPRIM_400000_NS6detail31init_lookback_scan_state_kernelINS1_19lookback_scan_stateI15HIP_vector_typeIjLj2EELb0ELb1EEENS1_16block_id_wrapperIjLb1EEEEEvT_jT0_jPNS9_10value_typeE.kd
    .uniform_work_group_size: 1
    .uses_dynamic_stack: false
    .vgpr_count:     8
    .vgpr_spill_count: 0
    .wavefront_size: 32
    .workgroup_processor_mode: 1
  - .args:
      - .offset:         0
        .size:           184
        .value_kind:     by_value
    .group_segment_fixed_size: 0
    .kernarg_segment_align: 8
    .kernarg_segment_size: 184
    .language:       OpenCL C
    .language_version:
      - 2
      - 0
    .max_flat_workgroup_size: 256
    .name:           _ZN7rocprim17ROCPRIM_400000_NS6detail17trampoline_kernelINS0_13select_configILj256ELj13ELNS0_17block_load_methodE3ELS4_3ELS4_3ELNS0_20block_scan_algorithmE0ELj4294967295EEENS1_25partition_config_selectorILNS1_17partition_subalgoE4EjNS0_10empty_typeEbEEZZNS1_14partition_implILS8_4ELb0ES6_15HIP_vector_typeIjLj2EENS0_17counting_iteratorIjlEEPS9_SG_NS0_5tupleIJPjSI_NS0_16reverse_iteratorISI_EEEEENSH_IJSG_SG_SG_EEES9_SI_JZNS1_25segmented_radix_sort_implINS0_14default_configELb1EPKhPhPKlPlN2at6native12_GLOBAL__N_18offset_tEEE10hipError_tPvRmT1_PNSt15iterator_traitsIS12_E10value_typeET2_T3_PNS13_IS18_E10value_typeET4_jRbjT5_S1E_jjP12ihipStream_tbEUljE_ZNSN_ISO_Lb1ESQ_SR_ST_SU_SY_EESZ_S10_S11_S12_S16_S17_S18_S1B_S1C_jS1D_jS1E_S1E_jjS1G_bEUljE0_EEESZ_S10_S11_S18_S1C_S1E_T6_T7_T9_mT8_S1G_bDpT10_ENKUlT_T0_E_clISt17integral_constantIbLb0EES1T_IbLb1EEEEDaS1P_S1Q_EUlS1P_E_NS1_11comp_targetILNS1_3genE0ELNS1_11target_archE4294967295ELNS1_3gpuE0ELNS1_3repE0EEENS1_30default_config_static_selectorELNS0_4arch9wavefront6targetE0EEEvS12_
    .private_segment_fixed_size: 0
    .sgpr_count:     0
    .sgpr_spill_count: 0
    .symbol:         _ZN7rocprim17ROCPRIM_400000_NS6detail17trampoline_kernelINS0_13select_configILj256ELj13ELNS0_17block_load_methodE3ELS4_3ELS4_3ELNS0_20block_scan_algorithmE0ELj4294967295EEENS1_25partition_config_selectorILNS1_17partition_subalgoE4EjNS0_10empty_typeEbEEZZNS1_14partition_implILS8_4ELb0ES6_15HIP_vector_typeIjLj2EENS0_17counting_iteratorIjlEEPS9_SG_NS0_5tupleIJPjSI_NS0_16reverse_iteratorISI_EEEEENSH_IJSG_SG_SG_EEES9_SI_JZNS1_25segmented_radix_sort_implINS0_14default_configELb1EPKhPhPKlPlN2at6native12_GLOBAL__N_18offset_tEEE10hipError_tPvRmT1_PNSt15iterator_traitsIS12_E10value_typeET2_T3_PNS13_IS18_E10value_typeET4_jRbjT5_S1E_jjP12ihipStream_tbEUljE_ZNSN_ISO_Lb1ESQ_SR_ST_SU_SY_EESZ_S10_S11_S12_S16_S17_S18_S1B_S1C_jS1D_jS1E_S1E_jjS1G_bEUljE0_EEESZ_S10_S11_S18_S1C_S1E_T6_T7_T9_mT8_S1G_bDpT10_ENKUlT_T0_E_clISt17integral_constantIbLb0EES1T_IbLb1EEEEDaS1P_S1Q_EUlS1P_E_NS1_11comp_targetILNS1_3genE0ELNS1_11target_archE4294967295ELNS1_3gpuE0ELNS1_3repE0EEENS1_30default_config_static_selectorELNS0_4arch9wavefront6targetE0EEEvS12_.kd
    .uniform_work_group_size: 1
    .uses_dynamic_stack: false
    .vgpr_count:     0
    .vgpr_spill_count: 0
    .wavefront_size: 32
    .workgroup_processor_mode: 1
  - .args:
      - .offset:         0
        .size:           184
        .value_kind:     by_value
    .group_segment_fixed_size: 0
    .kernarg_segment_align: 8
    .kernarg_segment_size: 184
    .language:       OpenCL C
    .language_version:
      - 2
      - 0
    .max_flat_workgroup_size: 256
    .name:           _ZN7rocprim17ROCPRIM_400000_NS6detail17trampoline_kernelINS0_13select_configILj256ELj13ELNS0_17block_load_methodE3ELS4_3ELS4_3ELNS0_20block_scan_algorithmE0ELj4294967295EEENS1_25partition_config_selectorILNS1_17partition_subalgoE4EjNS0_10empty_typeEbEEZZNS1_14partition_implILS8_4ELb0ES6_15HIP_vector_typeIjLj2EENS0_17counting_iteratorIjlEEPS9_SG_NS0_5tupleIJPjSI_NS0_16reverse_iteratorISI_EEEEENSH_IJSG_SG_SG_EEES9_SI_JZNS1_25segmented_radix_sort_implINS0_14default_configELb1EPKhPhPKlPlN2at6native12_GLOBAL__N_18offset_tEEE10hipError_tPvRmT1_PNSt15iterator_traitsIS12_E10value_typeET2_T3_PNS13_IS18_E10value_typeET4_jRbjT5_S1E_jjP12ihipStream_tbEUljE_ZNSN_ISO_Lb1ESQ_SR_ST_SU_SY_EESZ_S10_S11_S12_S16_S17_S18_S1B_S1C_jS1D_jS1E_S1E_jjS1G_bEUljE0_EEESZ_S10_S11_S18_S1C_S1E_T6_T7_T9_mT8_S1G_bDpT10_ENKUlT_T0_E_clISt17integral_constantIbLb0EES1T_IbLb1EEEEDaS1P_S1Q_EUlS1P_E_NS1_11comp_targetILNS1_3genE5ELNS1_11target_archE942ELNS1_3gpuE9ELNS1_3repE0EEENS1_30default_config_static_selectorELNS0_4arch9wavefront6targetE0EEEvS12_
    .private_segment_fixed_size: 0
    .sgpr_count:     0
    .sgpr_spill_count: 0
    .symbol:         _ZN7rocprim17ROCPRIM_400000_NS6detail17trampoline_kernelINS0_13select_configILj256ELj13ELNS0_17block_load_methodE3ELS4_3ELS4_3ELNS0_20block_scan_algorithmE0ELj4294967295EEENS1_25partition_config_selectorILNS1_17partition_subalgoE4EjNS0_10empty_typeEbEEZZNS1_14partition_implILS8_4ELb0ES6_15HIP_vector_typeIjLj2EENS0_17counting_iteratorIjlEEPS9_SG_NS0_5tupleIJPjSI_NS0_16reverse_iteratorISI_EEEEENSH_IJSG_SG_SG_EEES9_SI_JZNS1_25segmented_radix_sort_implINS0_14default_configELb1EPKhPhPKlPlN2at6native12_GLOBAL__N_18offset_tEEE10hipError_tPvRmT1_PNSt15iterator_traitsIS12_E10value_typeET2_T3_PNS13_IS18_E10value_typeET4_jRbjT5_S1E_jjP12ihipStream_tbEUljE_ZNSN_ISO_Lb1ESQ_SR_ST_SU_SY_EESZ_S10_S11_S12_S16_S17_S18_S1B_S1C_jS1D_jS1E_S1E_jjS1G_bEUljE0_EEESZ_S10_S11_S18_S1C_S1E_T6_T7_T9_mT8_S1G_bDpT10_ENKUlT_T0_E_clISt17integral_constantIbLb0EES1T_IbLb1EEEEDaS1P_S1Q_EUlS1P_E_NS1_11comp_targetILNS1_3genE5ELNS1_11target_archE942ELNS1_3gpuE9ELNS1_3repE0EEENS1_30default_config_static_selectorELNS0_4arch9wavefront6targetE0EEEvS12_.kd
    .uniform_work_group_size: 1
    .uses_dynamic_stack: false
    .vgpr_count:     0
    .vgpr_spill_count: 0
    .wavefront_size: 32
    .workgroup_processor_mode: 1
  - .args:
      - .offset:         0
        .size:           184
        .value_kind:     by_value
    .group_segment_fixed_size: 0
    .kernarg_segment_align: 8
    .kernarg_segment_size: 184
    .language:       OpenCL C
    .language_version:
      - 2
      - 0
    .max_flat_workgroup_size: 256
    .name:           _ZN7rocprim17ROCPRIM_400000_NS6detail17trampoline_kernelINS0_13select_configILj256ELj13ELNS0_17block_load_methodE3ELS4_3ELS4_3ELNS0_20block_scan_algorithmE0ELj4294967295EEENS1_25partition_config_selectorILNS1_17partition_subalgoE4EjNS0_10empty_typeEbEEZZNS1_14partition_implILS8_4ELb0ES6_15HIP_vector_typeIjLj2EENS0_17counting_iteratorIjlEEPS9_SG_NS0_5tupleIJPjSI_NS0_16reverse_iteratorISI_EEEEENSH_IJSG_SG_SG_EEES9_SI_JZNS1_25segmented_radix_sort_implINS0_14default_configELb1EPKhPhPKlPlN2at6native12_GLOBAL__N_18offset_tEEE10hipError_tPvRmT1_PNSt15iterator_traitsIS12_E10value_typeET2_T3_PNS13_IS18_E10value_typeET4_jRbjT5_S1E_jjP12ihipStream_tbEUljE_ZNSN_ISO_Lb1ESQ_SR_ST_SU_SY_EESZ_S10_S11_S12_S16_S17_S18_S1B_S1C_jS1D_jS1E_S1E_jjS1G_bEUljE0_EEESZ_S10_S11_S18_S1C_S1E_T6_T7_T9_mT8_S1G_bDpT10_ENKUlT_T0_E_clISt17integral_constantIbLb0EES1T_IbLb1EEEEDaS1P_S1Q_EUlS1P_E_NS1_11comp_targetILNS1_3genE4ELNS1_11target_archE910ELNS1_3gpuE8ELNS1_3repE0EEENS1_30default_config_static_selectorELNS0_4arch9wavefront6targetE0EEEvS12_
    .private_segment_fixed_size: 0
    .sgpr_count:     0
    .sgpr_spill_count: 0
    .symbol:         _ZN7rocprim17ROCPRIM_400000_NS6detail17trampoline_kernelINS0_13select_configILj256ELj13ELNS0_17block_load_methodE3ELS4_3ELS4_3ELNS0_20block_scan_algorithmE0ELj4294967295EEENS1_25partition_config_selectorILNS1_17partition_subalgoE4EjNS0_10empty_typeEbEEZZNS1_14partition_implILS8_4ELb0ES6_15HIP_vector_typeIjLj2EENS0_17counting_iteratorIjlEEPS9_SG_NS0_5tupleIJPjSI_NS0_16reverse_iteratorISI_EEEEENSH_IJSG_SG_SG_EEES9_SI_JZNS1_25segmented_radix_sort_implINS0_14default_configELb1EPKhPhPKlPlN2at6native12_GLOBAL__N_18offset_tEEE10hipError_tPvRmT1_PNSt15iterator_traitsIS12_E10value_typeET2_T3_PNS13_IS18_E10value_typeET4_jRbjT5_S1E_jjP12ihipStream_tbEUljE_ZNSN_ISO_Lb1ESQ_SR_ST_SU_SY_EESZ_S10_S11_S12_S16_S17_S18_S1B_S1C_jS1D_jS1E_S1E_jjS1G_bEUljE0_EEESZ_S10_S11_S18_S1C_S1E_T6_T7_T9_mT8_S1G_bDpT10_ENKUlT_T0_E_clISt17integral_constantIbLb0EES1T_IbLb1EEEEDaS1P_S1Q_EUlS1P_E_NS1_11comp_targetILNS1_3genE4ELNS1_11target_archE910ELNS1_3gpuE8ELNS1_3repE0EEENS1_30default_config_static_selectorELNS0_4arch9wavefront6targetE0EEEvS12_.kd
    .uniform_work_group_size: 1
    .uses_dynamic_stack: false
    .vgpr_count:     0
    .vgpr_spill_count: 0
    .wavefront_size: 32
    .workgroup_processor_mode: 1
  - .args:
      - .offset:         0
        .size:           184
        .value_kind:     by_value
    .group_segment_fixed_size: 0
    .kernarg_segment_align: 8
    .kernarg_segment_size: 184
    .language:       OpenCL C
    .language_version:
      - 2
      - 0
    .max_flat_workgroup_size: 256
    .name:           _ZN7rocprim17ROCPRIM_400000_NS6detail17trampoline_kernelINS0_13select_configILj256ELj13ELNS0_17block_load_methodE3ELS4_3ELS4_3ELNS0_20block_scan_algorithmE0ELj4294967295EEENS1_25partition_config_selectorILNS1_17partition_subalgoE4EjNS0_10empty_typeEbEEZZNS1_14partition_implILS8_4ELb0ES6_15HIP_vector_typeIjLj2EENS0_17counting_iteratorIjlEEPS9_SG_NS0_5tupleIJPjSI_NS0_16reverse_iteratorISI_EEEEENSH_IJSG_SG_SG_EEES9_SI_JZNS1_25segmented_radix_sort_implINS0_14default_configELb1EPKhPhPKlPlN2at6native12_GLOBAL__N_18offset_tEEE10hipError_tPvRmT1_PNSt15iterator_traitsIS12_E10value_typeET2_T3_PNS13_IS18_E10value_typeET4_jRbjT5_S1E_jjP12ihipStream_tbEUljE_ZNSN_ISO_Lb1ESQ_SR_ST_SU_SY_EESZ_S10_S11_S12_S16_S17_S18_S1B_S1C_jS1D_jS1E_S1E_jjS1G_bEUljE0_EEESZ_S10_S11_S18_S1C_S1E_T6_T7_T9_mT8_S1G_bDpT10_ENKUlT_T0_E_clISt17integral_constantIbLb0EES1T_IbLb1EEEEDaS1P_S1Q_EUlS1P_E_NS1_11comp_targetILNS1_3genE3ELNS1_11target_archE908ELNS1_3gpuE7ELNS1_3repE0EEENS1_30default_config_static_selectorELNS0_4arch9wavefront6targetE0EEEvS12_
    .private_segment_fixed_size: 0
    .sgpr_count:     0
    .sgpr_spill_count: 0
    .symbol:         _ZN7rocprim17ROCPRIM_400000_NS6detail17trampoline_kernelINS0_13select_configILj256ELj13ELNS0_17block_load_methodE3ELS4_3ELS4_3ELNS0_20block_scan_algorithmE0ELj4294967295EEENS1_25partition_config_selectorILNS1_17partition_subalgoE4EjNS0_10empty_typeEbEEZZNS1_14partition_implILS8_4ELb0ES6_15HIP_vector_typeIjLj2EENS0_17counting_iteratorIjlEEPS9_SG_NS0_5tupleIJPjSI_NS0_16reverse_iteratorISI_EEEEENSH_IJSG_SG_SG_EEES9_SI_JZNS1_25segmented_radix_sort_implINS0_14default_configELb1EPKhPhPKlPlN2at6native12_GLOBAL__N_18offset_tEEE10hipError_tPvRmT1_PNSt15iterator_traitsIS12_E10value_typeET2_T3_PNS13_IS18_E10value_typeET4_jRbjT5_S1E_jjP12ihipStream_tbEUljE_ZNSN_ISO_Lb1ESQ_SR_ST_SU_SY_EESZ_S10_S11_S12_S16_S17_S18_S1B_S1C_jS1D_jS1E_S1E_jjS1G_bEUljE0_EEESZ_S10_S11_S18_S1C_S1E_T6_T7_T9_mT8_S1G_bDpT10_ENKUlT_T0_E_clISt17integral_constantIbLb0EES1T_IbLb1EEEEDaS1P_S1Q_EUlS1P_E_NS1_11comp_targetILNS1_3genE3ELNS1_11target_archE908ELNS1_3gpuE7ELNS1_3repE0EEENS1_30default_config_static_selectorELNS0_4arch9wavefront6targetE0EEEvS12_.kd
    .uniform_work_group_size: 1
    .uses_dynamic_stack: false
    .vgpr_count:     0
    .vgpr_spill_count: 0
    .wavefront_size: 32
    .workgroup_processor_mode: 1
  - .args:
      - .offset:         0
        .size:           184
        .value_kind:     by_value
    .group_segment_fixed_size: 0
    .kernarg_segment_align: 8
    .kernarg_segment_size: 184
    .language:       OpenCL C
    .language_version:
      - 2
      - 0
    .max_flat_workgroup_size: 256
    .name:           _ZN7rocprim17ROCPRIM_400000_NS6detail17trampoline_kernelINS0_13select_configILj256ELj13ELNS0_17block_load_methodE3ELS4_3ELS4_3ELNS0_20block_scan_algorithmE0ELj4294967295EEENS1_25partition_config_selectorILNS1_17partition_subalgoE4EjNS0_10empty_typeEbEEZZNS1_14partition_implILS8_4ELb0ES6_15HIP_vector_typeIjLj2EENS0_17counting_iteratorIjlEEPS9_SG_NS0_5tupleIJPjSI_NS0_16reverse_iteratorISI_EEEEENSH_IJSG_SG_SG_EEES9_SI_JZNS1_25segmented_radix_sort_implINS0_14default_configELb1EPKhPhPKlPlN2at6native12_GLOBAL__N_18offset_tEEE10hipError_tPvRmT1_PNSt15iterator_traitsIS12_E10value_typeET2_T3_PNS13_IS18_E10value_typeET4_jRbjT5_S1E_jjP12ihipStream_tbEUljE_ZNSN_ISO_Lb1ESQ_SR_ST_SU_SY_EESZ_S10_S11_S12_S16_S17_S18_S1B_S1C_jS1D_jS1E_S1E_jjS1G_bEUljE0_EEESZ_S10_S11_S18_S1C_S1E_T6_T7_T9_mT8_S1G_bDpT10_ENKUlT_T0_E_clISt17integral_constantIbLb0EES1T_IbLb1EEEEDaS1P_S1Q_EUlS1P_E_NS1_11comp_targetILNS1_3genE2ELNS1_11target_archE906ELNS1_3gpuE6ELNS1_3repE0EEENS1_30default_config_static_selectorELNS0_4arch9wavefront6targetE0EEEvS12_
    .private_segment_fixed_size: 0
    .sgpr_count:     0
    .sgpr_spill_count: 0
    .symbol:         _ZN7rocprim17ROCPRIM_400000_NS6detail17trampoline_kernelINS0_13select_configILj256ELj13ELNS0_17block_load_methodE3ELS4_3ELS4_3ELNS0_20block_scan_algorithmE0ELj4294967295EEENS1_25partition_config_selectorILNS1_17partition_subalgoE4EjNS0_10empty_typeEbEEZZNS1_14partition_implILS8_4ELb0ES6_15HIP_vector_typeIjLj2EENS0_17counting_iteratorIjlEEPS9_SG_NS0_5tupleIJPjSI_NS0_16reverse_iteratorISI_EEEEENSH_IJSG_SG_SG_EEES9_SI_JZNS1_25segmented_radix_sort_implINS0_14default_configELb1EPKhPhPKlPlN2at6native12_GLOBAL__N_18offset_tEEE10hipError_tPvRmT1_PNSt15iterator_traitsIS12_E10value_typeET2_T3_PNS13_IS18_E10value_typeET4_jRbjT5_S1E_jjP12ihipStream_tbEUljE_ZNSN_ISO_Lb1ESQ_SR_ST_SU_SY_EESZ_S10_S11_S12_S16_S17_S18_S1B_S1C_jS1D_jS1E_S1E_jjS1G_bEUljE0_EEESZ_S10_S11_S18_S1C_S1E_T6_T7_T9_mT8_S1G_bDpT10_ENKUlT_T0_E_clISt17integral_constantIbLb0EES1T_IbLb1EEEEDaS1P_S1Q_EUlS1P_E_NS1_11comp_targetILNS1_3genE2ELNS1_11target_archE906ELNS1_3gpuE6ELNS1_3repE0EEENS1_30default_config_static_selectorELNS0_4arch9wavefront6targetE0EEEvS12_.kd
    .uniform_work_group_size: 1
    .uses_dynamic_stack: false
    .vgpr_count:     0
    .vgpr_spill_count: 0
    .wavefront_size: 32
    .workgroup_processor_mode: 1
  - .args:
      - .offset:         0
        .size:           184
        .value_kind:     by_value
    .group_segment_fixed_size: 13328
    .kernarg_segment_align: 8
    .kernarg_segment_size: 184
    .language:       OpenCL C
    .language_version:
      - 2
      - 0
    .max_flat_workgroup_size: 256
    .name:           _ZN7rocprim17ROCPRIM_400000_NS6detail17trampoline_kernelINS0_13select_configILj256ELj13ELNS0_17block_load_methodE3ELS4_3ELS4_3ELNS0_20block_scan_algorithmE0ELj4294967295EEENS1_25partition_config_selectorILNS1_17partition_subalgoE4EjNS0_10empty_typeEbEEZZNS1_14partition_implILS8_4ELb0ES6_15HIP_vector_typeIjLj2EENS0_17counting_iteratorIjlEEPS9_SG_NS0_5tupleIJPjSI_NS0_16reverse_iteratorISI_EEEEENSH_IJSG_SG_SG_EEES9_SI_JZNS1_25segmented_radix_sort_implINS0_14default_configELb1EPKhPhPKlPlN2at6native12_GLOBAL__N_18offset_tEEE10hipError_tPvRmT1_PNSt15iterator_traitsIS12_E10value_typeET2_T3_PNS13_IS18_E10value_typeET4_jRbjT5_S1E_jjP12ihipStream_tbEUljE_ZNSN_ISO_Lb1ESQ_SR_ST_SU_SY_EESZ_S10_S11_S12_S16_S17_S18_S1B_S1C_jS1D_jS1E_S1E_jjS1G_bEUljE0_EEESZ_S10_S11_S18_S1C_S1E_T6_T7_T9_mT8_S1G_bDpT10_ENKUlT_T0_E_clISt17integral_constantIbLb0EES1T_IbLb1EEEEDaS1P_S1Q_EUlS1P_E_NS1_11comp_targetILNS1_3genE10ELNS1_11target_archE1200ELNS1_3gpuE4ELNS1_3repE0EEENS1_30default_config_static_selectorELNS0_4arch9wavefront6targetE0EEEvS12_
    .private_segment_fixed_size: 0
    .sgpr_count:     57
    .sgpr_spill_count: 0
    .symbol:         _ZN7rocprim17ROCPRIM_400000_NS6detail17trampoline_kernelINS0_13select_configILj256ELj13ELNS0_17block_load_methodE3ELS4_3ELS4_3ELNS0_20block_scan_algorithmE0ELj4294967295EEENS1_25partition_config_selectorILNS1_17partition_subalgoE4EjNS0_10empty_typeEbEEZZNS1_14partition_implILS8_4ELb0ES6_15HIP_vector_typeIjLj2EENS0_17counting_iteratorIjlEEPS9_SG_NS0_5tupleIJPjSI_NS0_16reverse_iteratorISI_EEEEENSH_IJSG_SG_SG_EEES9_SI_JZNS1_25segmented_radix_sort_implINS0_14default_configELb1EPKhPhPKlPlN2at6native12_GLOBAL__N_18offset_tEEE10hipError_tPvRmT1_PNSt15iterator_traitsIS12_E10value_typeET2_T3_PNS13_IS18_E10value_typeET4_jRbjT5_S1E_jjP12ihipStream_tbEUljE_ZNSN_ISO_Lb1ESQ_SR_ST_SU_SY_EESZ_S10_S11_S12_S16_S17_S18_S1B_S1C_jS1D_jS1E_S1E_jjS1G_bEUljE0_EEESZ_S10_S11_S18_S1C_S1E_T6_T7_T9_mT8_S1G_bDpT10_ENKUlT_T0_E_clISt17integral_constantIbLb0EES1T_IbLb1EEEEDaS1P_S1Q_EUlS1P_E_NS1_11comp_targetILNS1_3genE10ELNS1_11target_archE1200ELNS1_3gpuE4ELNS1_3repE0EEENS1_30default_config_static_selectorELNS0_4arch9wavefront6targetE0EEEvS12_.kd
    .uniform_work_group_size: 1
    .uses_dynamic_stack: false
    .vgpr_count:     98
    .vgpr_spill_count: 0
    .wavefront_size: 32
    .workgroup_processor_mode: 1
  - .args:
      - .offset:         0
        .size:           184
        .value_kind:     by_value
    .group_segment_fixed_size: 0
    .kernarg_segment_align: 8
    .kernarg_segment_size: 184
    .language:       OpenCL C
    .language_version:
      - 2
      - 0
    .max_flat_workgroup_size: 256
    .name:           _ZN7rocprim17ROCPRIM_400000_NS6detail17trampoline_kernelINS0_13select_configILj256ELj13ELNS0_17block_load_methodE3ELS4_3ELS4_3ELNS0_20block_scan_algorithmE0ELj4294967295EEENS1_25partition_config_selectorILNS1_17partition_subalgoE4EjNS0_10empty_typeEbEEZZNS1_14partition_implILS8_4ELb0ES6_15HIP_vector_typeIjLj2EENS0_17counting_iteratorIjlEEPS9_SG_NS0_5tupleIJPjSI_NS0_16reverse_iteratorISI_EEEEENSH_IJSG_SG_SG_EEES9_SI_JZNS1_25segmented_radix_sort_implINS0_14default_configELb1EPKhPhPKlPlN2at6native12_GLOBAL__N_18offset_tEEE10hipError_tPvRmT1_PNSt15iterator_traitsIS12_E10value_typeET2_T3_PNS13_IS18_E10value_typeET4_jRbjT5_S1E_jjP12ihipStream_tbEUljE_ZNSN_ISO_Lb1ESQ_SR_ST_SU_SY_EESZ_S10_S11_S12_S16_S17_S18_S1B_S1C_jS1D_jS1E_S1E_jjS1G_bEUljE0_EEESZ_S10_S11_S18_S1C_S1E_T6_T7_T9_mT8_S1G_bDpT10_ENKUlT_T0_E_clISt17integral_constantIbLb0EES1T_IbLb1EEEEDaS1P_S1Q_EUlS1P_E_NS1_11comp_targetILNS1_3genE9ELNS1_11target_archE1100ELNS1_3gpuE3ELNS1_3repE0EEENS1_30default_config_static_selectorELNS0_4arch9wavefront6targetE0EEEvS12_
    .private_segment_fixed_size: 0
    .sgpr_count:     0
    .sgpr_spill_count: 0
    .symbol:         _ZN7rocprim17ROCPRIM_400000_NS6detail17trampoline_kernelINS0_13select_configILj256ELj13ELNS0_17block_load_methodE3ELS4_3ELS4_3ELNS0_20block_scan_algorithmE0ELj4294967295EEENS1_25partition_config_selectorILNS1_17partition_subalgoE4EjNS0_10empty_typeEbEEZZNS1_14partition_implILS8_4ELb0ES6_15HIP_vector_typeIjLj2EENS0_17counting_iteratorIjlEEPS9_SG_NS0_5tupleIJPjSI_NS0_16reverse_iteratorISI_EEEEENSH_IJSG_SG_SG_EEES9_SI_JZNS1_25segmented_radix_sort_implINS0_14default_configELb1EPKhPhPKlPlN2at6native12_GLOBAL__N_18offset_tEEE10hipError_tPvRmT1_PNSt15iterator_traitsIS12_E10value_typeET2_T3_PNS13_IS18_E10value_typeET4_jRbjT5_S1E_jjP12ihipStream_tbEUljE_ZNSN_ISO_Lb1ESQ_SR_ST_SU_SY_EESZ_S10_S11_S12_S16_S17_S18_S1B_S1C_jS1D_jS1E_S1E_jjS1G_bEUljE0_EEESZ_S10_S11_S18_S1C_S1E_T6_T7_T9_mT8_S1G_bDpT10_ENKUlT_T0_E_clISt17integral_constantIbLb0EES1T_IbLb1EEEEDaS1P_S1Q_EUlS1P_E_NS1_11comp_targetILNS1_3genE9ELNS1_11target_archE1100ELNS1_3gpuE3ELNS1_3repE0EEENS1_30default_config_static_selectorELNS0_4arch9wavefront6targetE0EEEvS12_.kd
    .uniform_work_group_size: 1
    .uses_dynamic_stack: false
    .vgpr_count:     0
    .vgpr_spill_count: 0
    .wavefront_size: 32
    .workgroup_processor_mode: 1
  - .args:
      - .offset:         0
        .size:           184
        .value_kind:     by_value
    .group_segment_fixed_size: 0
    .kernarg_segment_align: 8
    .kernarg_segment_size: 184
    .language:       OpenCL C
    .language_version:
      - 2
      - 0
    .max_flat_workgroup_size: 256
    .name:           _ZN7rocprim17ROCPRIM_400000_NS6detail17trampoline_kernelINS0_13select_configILj256ELj13ELNS0_17block_load_methodE3ELS4_3ELS4_3ELNS0_20block_scan_algorithmE0ELj4294967295EEENS1_25partition_config_selectorILNS1_17partition_subalgoE4EjNS0_10empty_typeEbEEZZNS1_14partition_implILS8_4ELb0ES6_15HIP_vector_typeIjLj2EENS0_17counting_iteratorIjlEEPS9_SG_NS0_5tupleIJPjSI_NS0_16reverse_iteratorISI_EEEEENSH_IJSG_SG_SG_EEES9_SI_JZNS1_25segmented_radix_sort_implINS0_14default_configELb1EPKhPhPKlPlN2at6native12_GLOBAL__N_18offset_tEEE10hipError_tPvRmT1_PNSt15iterator_traitsIS12_E10value_typeET2_T3_PNS13_IS18_E10value_typeET4_jRbjT5_S1E_jjP12ihipStream_tbEUljE_ZNSN_ISO_Lb1ESQ_SR_ST_SU_SY_EESZ_S10_S11_S12_S16_S17_S18_S1B_S1C_jS1D_jS1E_S1E_jjS1G_bEUljE0_EEESZ_S10_S11_S18_S1C_S1E_T6_T7_T9_mT8_S1G_bDpT10_ENKUlT_T0_E_clISt17integral_constantIbLb0EES1T_IbLb1EEEEDaS1P_S1Q_EUlS1P_E_NS1_11comp_targetILNS1_3genE8ELNS1_11target_archE1030ELNS1_3gpuE2ELNS1_3repE0EEENS1_30default_config_static_selectorELNS0_4arch9wavefront6targetE0EEEvS12_
    .private_segment_fixed_size: 0
    .sgpr_count:     0
    .sgpr_spill_count: 0
    .symbol:         _ZN7rocprim17ROCPRIM_400000_NS6detail17trampoline_kernelINS0_13select_configILj256ELj13ELNS0_17block_load_methodE3ELS4_3ELS4_3ELNS0_20block_scan_algorithmE0ELj4294967295EEENS1_25partition_config_selectorILNS1_17partition_subalgoE4EjNS0_10empty_typeEbEEZZNS1_14partition_implILS8_4ELb0ES6_15HIP_vector_typeIjLj2EENS0_17counting_iteratorIjlEEPS9_SG_NS0_5tupleIJPjSI_NS0_16reverse_iteratorISI_EEEEENSH_IJSG_SG_SG_EEES9_SI_JZNS1_25segmented_radix_sort_implINS0_14default_configELb1EPKhPhPKlPlN2at6native12_GLOBAL__N_18offset_tEEE10hipError_tPvRmT1_PNSt15iterator_traitsIS12_E10value_typeET2_T3_PNS13_IS18_E10value_typeET4_jRbjT5_S1E_jjP12ihipStream_tbEUljE_ZNSN_ISO_Lb1ESQ_SR_ST_SU_SY_EESZ_S10_S11_S12_S16_S17_S18_S1B_S1C_jS1D_jS1E_S1E_jjS1G_bEUljE0_EEESZ_S10_S11_S18_S1C_S1E_T6_T7_T9_mT8_S1G_bDpT10_ENKUlT_T0_E_clISt17integral_constantIbLb0EES1T_IbLb1EEEEDaS1P_S1Q_EUlS1P_E_NS1_11comp_targetILNS1_3genE8ELNS1_11target_archE1030ELNS1_3gpuE2ELNS1_3repE0EEENS1_30default_config_static_selectorELNS0_4arch9wavefront6targetE0EEEvS12_.kd
    .uniform_work_group_size: 1
    .uses_dynamic_stack: false
    .vgpr_count:     0
    .vgpr_spill_count: 0
    .wavefront_size: 32
    .workgroup_processor_mode: 1
  - .args:
      - .address_space:  global
        .offset:         0
        .size:           8
        .value_kind:     global_buffer
      - .offset:         8
        .size:           4
        .value_kind:     by_value
      - .offset:         12
        .size:           1
        .value_kind:     by_value
      - .offset:         16
        .size:           4
        .value_kind:     by_value
      - .address_space:  global
        .offset:         24
        .size:           8
        .value_kind:     global_buffer
      - .offset:         32
        .size:           4
        .value_kind:     hidden_block_count_x
      - .offset:         36
        .size:           4
        .value_kind:     hidden_block_count_y
      - .offset:         40
        .size:           4
        .value_kind:     hidden_block_count_z
      - .offset:         44
        .size:           2
        .value_kind:     hidden_group_size_x
      - .offset:         46
        .size:           2
        .value_kind:     hidden_group_size_y
      - .offset:         48
        .size:           2
        .value_kind:     hidden_group_size_z
      - .offset:         50
        .size:           2
        .value_kind:     hidden_remainder_x
      - .offset:         52
        .size:           2
        .value_kind:     hidden_remainder_y
      - .offset:         54
        .size:           2
        .value_kind:     hidden_remainder_z
      - .offset:         72
        .size:           8
        .value_kind:     hidden_global_offset_x
      - .offset:         80
        .size:           8
        .value_kind:     hidden_global_offset_y
      - .offset:         88
        .size:           8
        .value_kind:     hidden_global_offset_z
      - .offset:         96
        .size:           2
        .value_kind:     hidden_grid_dims
    .group_segment_fixed_size: 0
    .kernarg_segment_align: 8
    .kernarg_segment_size: 288
    .language:       OpenCL C
    .language_version:
      - 2
      - 0
    .max_flat_workgroup_size: 256
    .name:           _ZN7rocprim17ROCPRIM_400000_NS6detail31init_lookback_scan_state_kernelINS1_19lookback_scan_stateIjLb0ELb1EEENS1_16block_id_wrapperIjLb0EEEEEvT_jT0_jPNS7_10value_typeE
    .private_segment_fixed_size: 0
    .sgpr_count:     10
    .sgpr_spill_count: 0
    .symbol:         _ZN7rocprim17ROCPRIM_400000_NS6detail31init_lookback_scan_state_kernelINS1_19lookback_scan_stateIjLb0ELb1EEENS1_16block_id_wrapperIjLb0EEEEEvT_jT0_jPNS7_10value_typeE.kd
    .uniform_work_group_size: 1
    .uses_dynamic_stack: false
    .vgpr_count:     7
    .vgpr_spill_count: 0
    .wavefront_size: 32
    .workgroup_processor_mode: 1
  - .args:
      - .offset:         0
        .size:           144
        .value_kind:     by_value
    .group_segment_fixed_size: 0
    .kernarg_segment_align: 8
    .kernarg_segment_size: 144
    .language:       OpenCL C
    .language_version:
      - 2
      - 0
    .max_flat_workgroup_size: 256
    .name:           _ZN7rocprim17ROCPRIM_400000_NS6detail17trampoline_kernelINS0_13select_configILj256ELj13ELNS0_17block_load_methodE3ELS4_3ELS4_3ELNS0_20block_scan_algorithmE0ELj4294967295EEENS1_25partition_config_selectorILNS1_17partition_subalgoE3EjNS0_10empty_typeEbEEZZNS1_14partition_implILS8_3ELb0ES6_jNS0_17counting_iteratorIjlEEPS9_SE_NS0_5tupleIJPjSE_EEENSF_IJSE_SE_EEES9_SG_JZNS1_25segmented_radix_sort_implINS0_14default_configELb1EPKhPhPKlPlN2at6native12_GLOBAL__N_18offset_tEEE10hipError_tPvRmT1_PNSt15iterator_traitsISY_E10value_typeET2_T3_PNSZ_IS14_E10value_typeET4_jRbjT5_S1A_jjP12ihipStream_tbEUljE_EEESV_SW_SX_S14_S18_S1A_T6_T7_T9_mT8_S1C_bDpT10_ENKUlT_T0_E_clISt17integral_constantIbLb0EES1P_EEDaS1K_S1L_EUlS1K_E_NS1_11comp_targetILNS1_3genE0ELNS1_11target_archE4294967295ELNS1_3gpuE0ELNS1_3repE0EEENS1_30default_config_static_selectorELNS0_4arch9wavefront6targetE0EEEvSY_
    .private_segment_fixed_size: 0
    .sgpr_count:     0
    .sgpr_spill_count: 0
    .symbol:         _ZN7rocprim17ROCPRIM_400000_NS6detail17trampoline_kernelINS0_13select_configILj256ELj13ELNS0_17block_load_methodE3ELS4_3ELS4_3ELNS0_20block_scan_algorithmE0ELj4294967295EEENS1_25partition_config_selectorILNS1_17partition_subalgoE3EjNS0_10empty_typeEbEEZZNS1_14partition_implILS8_3ELb0ES6_jNS0_17counting_iteratorIjlEEPS9_SE_NS0_5tupleIJPjSE_EEENSF_IJSE_SE_EEES9_SG_JZNS1_25segmented_radix_sort_implINS0_14default_configELb1EPKhPhPKlPlN2at6native12_GLOBAL__N_18offset_tEEE10hipError_tPvRmT1_PNSt15iterator_traitsISY_E10value_typeET2_T3_PNSZ_IS14_E10value_typeET4_jRbjT5_S1A_jjP12ihipStream_tbEUljE_EEESV_SW_SX_S14_S18_S1A_T6_T7_T9_mT8_S1C_bDpT10_ENKUlT_T0_E_clISt17integral_constantIbLb0EES1P_EEDaS1K_S1L_EUlS1K_E_NS1_11comp_targetILNS1_3genE0ELNS1_11target_archE4294967295ELNS1_3gpuE0ELNS1_3repE0EEENS1_30default_config_static_selectorELNS0_4arch9wavefront6targetE0EEEvSY_.kd
    .uniform_work_group_size: 1
    .uses_dynamic_stack: false
    .vgpr_count:     0
    .vgpr_spill_count: 0
    .wavefront_size: 32
    .workgroup_processor_mode: 1
  - .args:
      - .offset:         0
        .size:           144
        .value_kind:     by_value
    .group_segment_fixed_size: 0
    .kernarg_segment_align: 8
    .kernarg_segment_size: 144
    .language:       OpenCL C
    .language_version:
      - 2
      - 0
    .max_flat_workgroup_size: 256
    .name:           _ZN7rocprim17ROCPRIM_400000_NS6detail17trampoline_kernelINS0_13select_configILj256ELj13ELNS0_17block_load_methodE3ELS4_3ELS4_3ELNS0_20block_scan_algorithmE0ELj4294967295EEENS1_25partition_config_selectorILNS1_17partition_subalgoE3EjNS0_10empty_typeEbEEZZNS1_14partition_implILS8_3ELb0ES6_jNS0_17counting_iteratorIjlEEPS9_SE_NS0_5tupleIJPjSE_EEENSF_IJSE_SE_EEES9_SG_JZNS1_25segmented_radix_sort_implINS0_14default_configELb1EPKhPhPKlPlN2at6native12_GLOBAL__N_18offset_tEEE10hipError_tPvRmT1_PNSt15iterator_traitsISY_E10value_typeET2_T3_PNSZ_IS14_E10value_typeET4_jRbjT5_S1A_jjP12ihipStream_tbEUljE_EEESV_SW_SX_S14_S18_S1A_T6_T7_T9_mT8_S1C_bDpT10_ENKUlT_T0_E_clISt17integral_constantIbLb0EES1P_EEDaS1K_S1L_EUlS1K_E_NS1_11comp_targetILNS1_3genE5ELNS1_11target_archE942ELNS1_3gpuE9ELNS1_3repE0EEENS1_30default_config_static_selectorELNS0_4arch9wavefront6targetE0EEEvSY_
    .private_segment_fixed_size: 0
    .sgpr_count:     0
    .sgpr_spill_count: 0
    .symbol:         _ZN7rocprim17ROCPRIM_400000_NS6detail17trampoline_kernelINS0_13select_configILj256ELj13ELNS0_17block_load_methodE3ELS4_3ELS4_3ELNS0_20block_scan_algorithmE0ELj4294967295EEENS1_25partition_config_selectorILNS1_17partition_subalgoE3EjNS0_10empty_typeEbEEZZNS1_14partition_implILS8_3ELb0ES6_jNS0_17counting_iteratorIjlEEPS9_SE_NS0_5tupleIJPjSE_EEENSF_IJSE_SE_EEES9_SG_JZNS1_25segmented_radix_sort_implINS0_14default_configELb1EPKhPhPKlPlN2at6native12_GLOBAL__N_18offset_tEEE10hipError_tPvRmT1_PNSt15iterator_traitsISY_E10value_typeET2_T3_PNSZ_IS14_E10value_typeET4_jRbjT5_S1A_jjP12ihipStream_tbEUljE_EEESV_SW_SX_S14_S18_S1A_T6_T7_T9_mT8_S1C_bDpT10_ENKUlT_T0_E_clISt17integral_constantIbLb0EES1P_EEDaS1K_S1L_EUlS1K_E_NS1_11comp_targetILNS1_3genE5ELNS1_11target_archE942ELNS1_3gpuE9ELNS1_3repE0EEENS1_30default_config_static_selectorELNS0_4arch9wavefront6targetE0EEEvSY_.kd
    .uniform_work_group_size: 1
    .uses_dynamic_stack: false
    .vgpr_count:     0
    .vgpr_spill_count: 0
    .wavefront_size: 32
    .workgroup_processor_mode: 1
  - .args:
      - .offset:         0
        .size:           144
        .value_kind:     by_value
    .group_segment_fixed_size: 0
    .kernarg_segment_align: 8
    .kernarg_segment_size: 144
    .language:       OpenCL C
    .language_version:
      - 2
      - 0
    .max_flat_workgroup_size: 256
    .name:           _ZN7rocprim17ROCPRIM_400000_NS6detail17trampoline_kernelINS0_13select_configILj256ELj13ELNS0_17block_load_methodE3ELS4_3ELS4_3ELNS0_20block_scan_algorithmE0ELj4294967295EEENS1_25partition_config_selectorILNS1_17partition_subalgoE3EjNS0_10empty_typeEbEEZZNS1_14partition_implILS8_3ELb0ES6_jNS0_17counting_iteratorIjlEEPS9_SE_NS0_5tupleIJPjSE_EEENSF_IJSE_SE_EEES9_SG_JZNS1_25segmented_radix_sort_implINS0_14default_configELb1EPKhPhPKlPlN2at6native12_GLOBAL__N_18offset_tEEE10hipError_tPvRmT1_PNSt15iterator_traitsISY_E10value_typeET2_T3_PNSZ_IS14_E10value_typeET4_jRbjT5_S1A_jjP12ihipStream_tbEUljE_EEESV_SW_SX_S14_S18_S1A_T6_T7_T9_mT8_S1C_bDpT10_ENKUlT_T0_E_clISt17integral_constantIbLb0EES1P_EEDaS1K_S1L_EUlS1K_E_NS1_11comp_targetILNS1_3genE4ELNS1_11target_archE910ELNS1_3gpuE8ELNS1_3repE0EEENS1_30default_config_static_selectorELNS0_4arch9wavefront6targetE0EEEvSY_
    .private_segment_fixed_size: 0
    .sgpr_count:     0
    .sgpr_spill_count: 0
    .symbol:         _ZN7rocprim17ROCPRIM_400000_NS6detail17trampoline_kernelINS0_13select_configILj256ELj13ELNS0_17block_load_methodE3ELS4_3ELS4_3ELNS0_20block_scan_algorithmE0ELj4294967295EEENS1_25partition_config_selectorILNS1_17partition_subalgoE3EjNS0_10empty_typeEbEEZZNS1_14partition_implILS8_3ELb0ES6_jNS0_17counting_iteratorIjlEEPS9_SE_NS0_5tupleIJPjSE_EEENSF_IJSE_SE_EEES9_SG_JZNS1_25segmented_radix_sort_implINS0_14default_configELb1EPKhPhPKlPlN2at6native12_GLOBAL__N_18offset_tEEE10hipError_tPvRmT1_PNSt15iterator_traitsISY_E10value_typeET2_T3_PNSZ_IS14_E10value_typeET4_jRbjT5_S1A_jjP12ihipStream_tbEUljE_EEESV_SW_SX_S14_S18_S1A_T6_T7_T9_mT8_S1C_bDpT10_ENKUlT_T0_E_clISt17integral_constantIbLb0EES1P_EEDaS1K_S1L_EUlS1K_E_NS1_11comp_targetILNS1_3genE4ELNS1_11target_archE910ELNS1_3gpuE8ELNS1_3repE0EEENS1_30default_config_static_selectorELNS0_4arch9wavefront6targetE0EEEvSY_.kd
    .uniform_work_group_size: 1
    .uses_dynamic_stack: false
    .vgpr_count:     0
    .vgpr_spill_count: 0
    .wavefront_size: 32
    .workgroup_processor_mode: 1
  - .args:
      - .offset:         0
        .size:           144
        .value_kind:     by_value
    .group_segment_fixed_size: 0
    .kernarg_segment_align: 8
    .kernarg_segment_size: 144
    .language:       OpenCL C
    .language_version:
      - 2
      - 0
    .max_flat_workgroup_size: 256
    .name:           _ZN7rocprim17ROCPRIM_400000_NS6detail17trampoline_kernelINS0_13select_configILj256ELj13ELNS0_17block_load_methodE3ELS4_3ELS4_3ELNS0_20block_scan_algorithmE0ELj4294967295EEENS1_25partition_config_selectorILNS1_17partition_subalgoE3EjNS0_10empty_typeEbEEZZNS1_14partition_implILS8_3ELb0ES6_jNS0_17counting_iteratorIjlEEPS9_SE_NS0_5tupleIJPjSE_EEENSF_IJSE_SE_EEES9_SG_JZNS1_25segmented_radix_sort_implINS0_14default_configELb1EPKhPhPKlPlN2at6native12_GLOBAL__N_18offset_tEEE10hipError_tPvRmT1_PNSt15iterator_traitsISY_E10value_typeET2_T3_PNSZ_IS14_E10value_typeET4_jRbjT5_S1A_jjP12ihipStream_tbEUljE_EEESV_SW_SX_S14_S18_S1A_T6_T7_T9_mT8_S1C_bDpT10_ENKUlT_T0_E_clISt17integral_constantIbLb0EES1P_EEDaS1K_S1L_EUlS1K_E_NS1_11comp_targetILNS1_3genE3ELNS1_11target_archE908ELNS1_3gpuE7ELNS1_3repE0EEENS1_30default_config_static_selectorELNS0_4arch9wavefront6targetE0EEEvSY_
    .private_segment_fixed_size: 0
    .sgpr_count:     0
    .sgpr_spill_count: 0
    .symbol:         _ZN7rocprim17ROCPRIM_400000_NS6detail17trampoline_kernelINS0_13select_configILj256ELj13ELNS0_17block_load_methodE3ELS4_3ELS4_3ELNS0_20block_scan_algorithmE0ELj4294967295EEENS1_25partition_config_selectorILNS1_17partition_subalgoE3EjNS0_10empty_typeEbEEZZNS1_14partition_implILS8_3ELb0ES6_jNS0_17counting_iteratorIjlEEPS9_SE_NS0_5tupleIJPjSE_EEENSF_IJSE_SE_EEES9_SG_JZNS1_25segmented_radix_sort_implINS0_14default_configELb1EPKhPhPKlPlN2at6native12_GLOBAL__N_18offset_tEEE10hipError_tPvRmT1_PNSt15iterator_traitsISY_E10value_typeET2_T3_PNSZ_IS14_E10value_typeET4_jRbjT5_S1A_jjP12ihipStream_tbEUljE_EEESV_SW_SX_S14_S18_S1A_T6_T7_T9_mT8_S1C_bDpT10_ENKUlT_T0_E_clISt17integral_constantIbLb0EES1P_EEDaS1K_S1L_EUlS1K_E_NS1_11comp_targetILNS1_3genE3ELNS1_11target_archE908ELNS1_3gpuE7ELNS1_3repE0EEENS1_30default_config_static_selectorELNS0_4arch9wavefront6targetE0EEEvSY_.kd
    .uniform_work_group_size: 1
    .uses_dynamic_stack: false
    .vgpr_count:     0
    .vgpr_spill_count: 0
    .wavefront_size: 32
    .workgroup_processor_mode: 1
  - .args:
      - .offset:         0
        .size:           144
        .value_kind:     by_value
    .group_segment_fixed_size: 0
    .kernarg_segment_align: 8
    .kernarg_segment_size: 144
    .language:       OpenCL C
    .language_version:
      - 2
      - 0
    .max_flat_workgroup_size: 256
    .name:           _ZN7rocprim17ROCPRIM_400000_NS6detail17trampoline_kernelINS0_13select_configILj256ELj13ELNS0_17block_load_methodE3ELS4_3ELS4_3ELNS0_20block_scan_algorithmE0ELj4294967295EEENS1_25partition_config_selectorILNS1_17partition_subalgoE3EjNS0_10empty_typeEbEEZZNS1_14partition_implILS8_3ELb0ES6_jNS0_17counting_iteratorIjlEEPS9_SE_NS0_5tupleIJPjSE_EEENSF_IJSE_SE_EEES9_SG_JZNS1_25segmented_radix_sort_implINS0_14default_configELb1EPKhPhPKlPlN2at6native12_GLOBAL__N_18offset_tEEE10hipError_tPvRmT1_PNSt15iterator_traitsISY_E10value_typeET2_T3_PNSZ_IS14_E10value_typeET4_jRbjT5_S1A_jjP12ihipStream_tbEUljE_EEESV_SW_SX_S14_S18_S1A_T6_T7_T9_mT8_S1C_bDpT10_ENKUlT_T0_E_clISt17integral_constantIbLb0EES1P_EEDaS1K_S1L_EUlS1K_E_NS1_11comp_targetILNS1_3genE2ELNS1_11target_archE906ELNS1_3gpuE6ELNS1_3repE0EEENS1_30default_config_static_selectorELNS0_4arch9wavefront6targetE0EEEvSY_
    .private_segment_fixed_size: 0
    .sgpr_count:     0
    .sgpr_spill_count: 0
    .symbol:         _ZN7rocprim17ROCPRIM_400000_NS6detail17trampoline_kernelINS0_13select_configILj256ELj13ELNS0_17block_load_methodE3ELS4_3ELS4_3ELNS0_20block_scan_algorithmE0ELj4294967295EEENS1_25partition_config_selectorILNS1_17partition_subalgoE3EjNS0_10empty_typeEbEEZZNS1_14partition_implILS8_3ELb0ES6_jNS0_17counting_iteratorIjlEEPS9_SE_NS0_5tupleIJPjSE_EEENSF_IJSE_SE_EEES9_SG_JZNS1_25segmented_radix_sort_implINS0_14default_configELb1EPKhPhPKlPlN2at6native12_GLOBAL__N_18offset_tEEE10hipError_tPvRmT1_PNSt15iterator_traitsISY_E10value_typeET2_T3_PNSZ_IS14_E10value_typeET4_jRbjT5_S1A_jjP12ihipStream_tbEUljE_EEESV_SW_SX_S14_S18_S1A_T6_T7_T9_mT8_S1C_bDpT10_ENKUlT_T0_E_clISt17integral_constantIbLb0EES1P_EEDaS1K_S1L_EUlS1K_E_NS1_11comp_targetILNS1_3genE2ELNS1_11target_archE906ELNS1_3gpuE6ELNS1_3repE0EEENS1_30default_config_static_selectorELNS0_4arch9wavefront6targetE0EEEvSY_.kd
    .uniform_work_group_size: 1
    .uses_dynamic_stack: false
    .vgpr_count:     0
    .vgpr_spill_count: 0
    .wavefront_size: 32
    .workgroup_processor_mode: 1
  - .args:
      - .offset:         0
        .size:           144
        .value_kind:     by_value
    .group_segment_fixed_size: 13320
    .kernarg_segment_align: 8
    .kernarg_segment_size: 144
    .language:       OpenCL C
    .language_version:
      - 2
      - 0
    .max_flat_workgroup_size: 256
    .name:           _ZN7rocprim17ROCPRIM_400000_NS6detail17trampoline_kernelINS0_13select_configILj256ELj13ELNS0_17block_load_methodE3ELS4_3ELS4_3ELNS0_20block_scan_algorithmE0ELj4294967295EEENS1_25partition_config_selectorILNS1_17partition_subalgoE3EjNS0_10empty_typeEbEEZZNS1_14partition_implILS8_3ELb0ES6_jNS0_17counting_iteratorIjlEEPS9_SE_NS0_5tupleIJPjSE_EEENSF_IJSE_SE_EEES9_SG_JZNS1_25segmented_radix_sort_implINS0_14default_configELb1EPKhPhPKlPlN2at6native12_GLOBAL__N_18offset_tEEE10hipError_tPvRmT1_PNSt15iterator_traitsISY_E10value_typeET2_T3_PNSZ_IS14_E10value_typeET4_jRbjT5_S1A_jjP12ihipStream_tbEUljE_EEESV_SW_SX_S14_S18_S1A_T6_T7_T9_mT8_S1C_bDpT10_ENKUlT_T0_E_clISt17integral_constantIbLb0EES1P_EEDaS1K_S1L_EUlS1K_E_NS1_11comp_targetILNS1_3genE10ELNS1_11target_archE1200ELNS1_3gpuE4ELNS1_3repE0EEENS1_30default_config_static_selectorELNS0_4arch9wavefront6targetE0EEEvSY_
    .private_segment_fixed_size: 0
    .sgpr_count:     28
    .sgpr_spill_count: 0
    .symbol:         _ZN7rocprim17ROCPRIM_400000_NS6detail17trampoline_kernelINS0_13select_configILj256ELj13ELNS0_17block_load_methodE3ELS4_3ELS4_3ELNS0_20block_scan_algorithmE0ELj4294967295EEENS1_25partition_config_selectorILNS1_17partition_subalgoE3EjNS0_10empty_typeEbEEZZNS1_14partition_implILS8_3ELb0ES6_jNS0_17counting_iteratorIjlEEPS9_SE_NS0_5tupleIJPjSE_EEENSF_IJSE_SE_EEES9_SG_JZNS1_25segmented_radix_sort_implINS0_14default_configELb1EPKhPhPKlPlN2at6native12_GLOBAL__N_18offset_tEEE10hipError_tPvRmT1_PNSt15iterator_traitsISY_E10value_typeET2_T3_PNSZ_IS14_E10value_typeET4_jRbjT5_S1A_jjP12ihipStream_tbEUljE_EEESV_SW_SX_S14_S18_S1A_T6_T7_T9_mT8_S1C_bDpT10_ENKUlT_T0_E_clISt17integral_constantIbLb0EES1P_EEDaS1K_S1L_EUlS1K_E_NS1_11comp_targetILNS1_3genE10ELNS1_11target_archE1200ELNS1_3gpuE4ELNS1_3repE0EEENS1_30default_config_static_selectorELNS0_4arch9wavefront6targetE0EEEvSY_.kd
    .uniform_work_group_size: 1
    .uses_dynamic_stack: false
    .vgpr_count:     69
    .vgpr_spill_count: 0
    .wavefront_size: 32
    .workgroup_processor_mode: 1
  - .args:
      - .offset:         0
        .size:           144
        .value_kind:     by_value
    .group_segment_fixed_size: 0
    .kernarg_segment_align: 8
    .kernarg_segment_size: 144
    .language:       OpenCL C
    .language_version:
      - 2
      - 0
    .max_flat_workgroup_size: 256
    .name:           _ZN7rocprim17ROCPRIM_400000_NS6detail17trampoline_kernelINS0_13select_configILj256ELj13ELNS0_17block_load_methodE3ELS4_3ELS4_3ELNS0_20block_scan_algorithmE0ELj4294967295EEENS1_25partition_config_selectorILNS1_17partition_subalgoE3EjNS0_10empty_typeEbEEZZNS1_14partition_implILS8_3ELb0ES6_jNS0_17counting_iteratorIjlEEPS9_SE_NS0_5tupleIJPjSE_EEENSF_IJSE_SE_EEES9_SG_JZNS1_25segmented_radix_sort_implINS0_14default_configELb1EPKhPhPKlPlN2at6native12_GLOBAL__N_18offset_tEEE10hipError_tPvRmT1_PNSt15iterator_traitsISY_E10value_typeET2_T3_PNSZ_IS14_E10value_typeET4_jRbjT5_S1A_jjP12ihipStream_tbEUljE_EEESV_SW_SX_S14_S18_S1A_T6_T7_T9_mT8_S1C_bDpT10_ENKUlT_T0_E_clISt17integral_constantIbLb0EES1P_EEDaS1K_S1L_EUlS1K_E_NS1_11comp_targetILNS1_3genE9ELNS1_11target_archE1100ELNS1_3gpuE3ELNS1_3repE0EEENS1_30default_config_static_selectorELNS0_4arch9wavefront6targetE0EEEvSY_
    .private_segment_fixed_size: 0
    .sgpr_count:     0
    .sgpr_spill_count: 0
    .symbol:         _ZN7rocprim17ROCPRIM_400000_NS6detail17trampoline_kernelINS0_13select_configILj256ELj13ELNS0_17block_load_methodE3ELS4_3ELS4_3ELNS0_20block_scan_algorithmE0ELj4294967295EEENS1_25partition_config_selectorILNS1_17partition_subalgoE3EjNS0_10empty_typeEbEEZZNS1_14partition_implILS8_3ELb0ES6_jNS0_17counting_iteratorIjlEEPS9_SE_NS0_5tupleIJPjSE_EEENSF_IJSE_SE_EEES9_SG_JZNS1_25segmented_radix_sort_implINS0_14default_configELb1EPKhPhPKlPlN2at6native12_GLOBAL__N_18offset_tEEE10hipError_tPvRmT1_PNSt15iterator_traitsISY_E10value_typeET2_T3_PNSZ_IS14_E10value_typeET4_jRbjT5_S1A_jjP12ihipStream_tbEUljE_EEESV_SW_SX_S14_S18_S1A_T6_T7_T9_mT8_S1C_bDpT10_ENKUlT_T0_E_clISt17integral_constantIbLb0EES1P_EEDaS1K_S1L_EUlS1K_E_NS1_11comp_targetILNS1_3genE9ELNS1_11target_archE1100ELNS1_3gpuE3ELNS1_3repE0EEENS1_30default_config_static_selectorELNS0_4arch9wavefront6targetE0EEEvSY_.kd
    .uniform_work_group_size: 1
    .uses_dynamic_stack: false
    .vgpr_count:     0
    .vgpr_spill_count: 0
    .wavefront_size: 32
    .workgroup_processor_mode: 1
  - .args:
      - .offset:         0
        .size:           144
        .value_kind:     by_value
    .group_segment_fixed_size: 0
    .kernarg_segment_align: 8
    .kernarg_segment_size: 144
    .language:       OpenCL C
    .language_version:
      - 2
      - 0
    .max_flat_workgroup_size: 256
    .name:           _ZN7rocprim17ROCPRIM_400000_NS6detail17trampoline_kernelINS0_13select_configILj256ELj13ELNS0_17block_load_methodE3ELS4_3ELS4_3ELNS0_20block_scan_algorithmE0ELj4294967295EEENS1_25partition_config_selectorILNS1_17partition_subalgoE3EjNS0_10empty_typeEbEEZZNS1_14partition_implILS8_3ELb0ES6_jNS0_17counting_iteratorIjlEEPS9_SE_NS0_5tupleIJPjSE_EEENSF_IJSE_SE_EEES9_SG_JZNS1_25segmented_radix_sort_implINS0_14default_configELb1EPKhPhPKlPlN2at6native12_GLOBAL__N_18offset_tEEE10hipError_tPvRmT1_PNSt15iterator_traitsISY_E10value_typeET2_T3_PNSZ_IS14_E10value_typeET4_jRbjT5_S1A_jjP12ihipStream_tbEUljE_EEESV_SW_SX_S14_S18_S1A_T6_T7_T9_mT8_S1C_bDpT10_ENKUlT_T0_E_clISt17integral_constantIbLb0EES1P_EEDaS1K_S1L_EUlS1K_E_NS1_11comp_targetILNS1_3genE8ELNS1_11target_archE1030ELNS1_3gpuE2ELNS1_3repE0EEENS1_30default_config_static_selectorELNS0_4arch9wavefront6targetE0EEEvSY_
    .private_segment_fixed_size: 0
    .sgpr_count:     0
    .sgpr_spill_count: 0
    .symbol:         _ZN7rocprim17ROCPRIM_400000_NS6detail17trampoline_kernelINS0_13select_configILj256ELj13ELNS0_17block_load_methodE3ELS4_3ELS4_3ELNS0_20block_scan_algorithmE0ELj4294967295EEENS1_25partition_config_selectorILNS1_17partition_subalgoE3EjNS0_10empty_typeEbEEZZNS1_14partition_implILS8_3ELb0ES6_jNS0_17counting_iteratorIjlEEPS9_SE_NS0_5tupleIJPjSE_EEENSF_IJSE_SE_EEES9_SG_JZNS1_25segmented_radix_sort_implINS0_14default_configELb1EPKhPhPKlPlN2at6native12_GLOBAL__N_18offset_tEEE10hipError_tPvRmT1_PNSt15iterator_traitsISY_E10value_typeET2_T3_PNSZ_IS14_E10value_typeET4_jRbjT5_S1A_jjP12ihipStream_tbEUljE_EEESV_SW_SX_S14_S18_S1A_T6_T7_T9_mT8_S1C_bDpT10_ENKUlT_T0_E_clISt17integral_constantIbLb0EES1P_EEDaS1K_S1L_EUlS1K_E_NS1_11comp_targetILNS1_3genE8ELNS1_11target_archE1030ELNS1_3gpuE2ELNS1_3repE0EEENS1_30default_config_static_selectorELNS0_4arch9wavefront6targetE0EEEvSY_.kd
    .uniform_work_group_size: 1
    .uses_dynamic_stack: false
    .vgpr_count:     0
    .vgpr_spill_count: 0
    .wavefront_size: 32
    .workgroup_processor_mode: 1
  - .args:
      - .address_space:  global
        .offset:         0
        .size:           8
        .value_kind:     global_buffer
      - .offset:         8
        .size:           4
        .value_kind:     by_value
      - .address_space:  global
        .offset:         16
        .size:           8
        .value_kind:     global_buffer
      - .offset:         24
        .size:           4
        .value_kind:     by_value
      - .address_space:  global
        .offset:         32
        .size:           8
        .value_kind:     global_buffer
      - .offset:         40
        .size:           4
        .value_kind:     hidden_block_count_x
      - .offset:         44
        .size:           4
        .value_kind:     hidden_block_count_y
      - .offset:         48
        .size:           4
        .value_kind:     hidden_block_count_z
      - .offset:         52
        .size:           2
        .value_kind:     hidden_group_size_x
      - .offset:         54
        .size:           2
        .value_kind:     hidden_group_size_y
      - .offset:         56
        .size:           2
        .value_kind:     hidden_group_size_z
      - .offset:         58
        .size:           2
        .value_kind:     hidden_remainder_x
      - .offset:         60
        .size:           2
        .value_kind:     hidden_remainder_y
      - .offset:         62
        .size:           2
        .value_kind:     hidden_remainder_z
      - .offset:         80
        .size:           8
        .value_kind:     hidden_global_offset_x
      - .offset:         88
        .size:           8
        .value_kind:     hidden_global_offset_y
      - .offset:         96
        .size:           8
        .value_kind:     hidden_global_offset_z
      - .offset:         104
        .size:           2
        .value_kind:     hidden_grid_dims
    .group_segment_fixed_size: 0
    .kernarg_segment_align: 8
    .kernarg_segment_size: 296
    .language:       OpenCL C
    .language_version:
      - 2
      - 0
    .max_flat_workgroup_size: 256
    .name:           _ZN7rocprim17ROCPRIM_400000_NS6detail31init_lookback_scan_state_kernelINS1_19lookback_scan_stateIjLb1ELb1EEENS1_16block_id_wrapperIjLb1EEEEEvT_jT0_jPNS7_10value_typeE
    .private_segment_fixed_size: 0
    .sgpr_count:     14
    .sgpr_spill_count: 0
    .symbol:         _ZN7rocprim17ROCPRIM_400000_NS6detail31init_lookback_scan_state_kernelINS1_19lookback_scan_stateIjLb1ELb1EEENS1_16block_id_wrapperIjLb1EEEEEvT_jT0_jPNS7_10value_typeE.kd
    .uniform_work_group_size: 1
    .uses_dynamic_stack: false
    .vgpr_count:     7
    .vgpr_spill_count: 0
    .wavefront_size: 32
    .workgroup_processor_mode: 1
  - .args:
      - .offset:         0
        .size:           152
        .value_kind:     by_value
    .group_segment_fixed_size: 0
    .kernarg_segment_align: 8
    .kernarg_segment_size: 152
    .language:       OpenCL C
    .language_version:
      - 2
      - 0
    .max_flat_workgroup_size: 256
    .name:           _ZN7rocprim17ROCPRIM_400000_NS6detail17trampoline_kernelINS0_13select_configILj256ELj13ELNS0_17block_load_methodE3ELS4_3ELS4_3ELNS0_20block_scan_algorithmE0ELj4294967295EEENS1_25partition_config_selectorILNS1_17partition_subalgoE3EjNS0_10empty_typeEbEEZZNS1_14partition_implILS8_3ELb0ES6_jNS0_17counting_iteratorIjlEEPS9_SE_NS0_5tupleIJPjSE_EEENSF_IJSE_SE_EEES9_SG_JZNS1_25segmented_radix_sort_implINS0_14default_configELb1EPKhPhPKlPlN2at6native12_GLOBAL__N_18offset_tEEE10hipError_tPvRmT1_PNSt15iterator_traitsISY_E10value_typeET2_T3_PNSZ_IS14_E10value_typeET4_jRbjT5_S1A_jjP12ihipStream_tbEUljE_EEESV_SW_SX_S14_S18_S1A_T6_T7_T9_mT8_S1C_bDpT10_ENKUlT_T0_E_clISt17integral_constantIbLb1EES1P_EEDaS1K_S1L_EUlS1K_E_NS1_11comp_targetILNS1_3genE0ELNS1_11target_archE4294967295ELNS1_3gpuE0ELNS1_3repE0EEENS1_30default_config_static_selectorELNS0_4arch9wavefront6targetE0EEEvSY_
    .private_segment_fixed_size: 0
    .sgpr_count:     0
    .sgpr_spill_count: 0
    .symbol:         _ZN7rocprim17ROCPRIM_400000_NS6detail17trampoline_kernelINS0_13select_configILj256ELj13ELNS0_17block_load_methodE3ELS4_3ELS4_3ELNS0_20block_scan_algorithmE0ELj4294967295EEENS1_25partition_config_selectorILNS1_17partition_subalgoE3EjNS0_10empty_typeEbEEZZNS1_14partition_implILS8_3ELb0ES6_jNS0_17counting_iteratorIjlEEPS9_SE_NS0_5tupleIJPjSE_EEENSF_IJSE_SE_EEES9_SG_JZNS1_25segmented_radix_sort_implINS0_14default_configELb1EPKhPhPKlPlN2at6native12_GLOBAL__N_18offset_tEEE10hipError_tPvRmT1_PNSt15iterator_traitsISY_E10value_typeET2_T3_PNSZ_IS14_E10value_typeET4_jRbjT5_S1A_jjP12ihipStream_tbEUljE_EEESV_SW_SX_S14_S18_S1A_T6_T7_T9_mT8_S1C_bDpT10_ENKUlT_T0_E_clISt17integral_constantIbLb1EES1P_EEDaS1K_S1L_EUlS1K_E_NS1_11comp_targetILNS1_3genE0ELNS1_11target_archE4294967295ELNS1_3gpuE0ELNS1_3repE0EEENS1_30default_config_static_selectorELNS0_4arch9wavefront6targetE0EEEvSY_.kd
    .uniform_work_group_size: 1
    .uses_dynamic_stack: false
    .vgpr_count:     0
    .vgpr_spill_count: 0
    .wavefront_size: 32
    .workgroup_processor_mode: 1
  - .args:
      - .offset:         0
        .size:           152
        .value_kind:     by_value
    .group_segment_fixed_size: 0
    .kernarg_segment_align: 8
    .kernarg_segment_size: 152
    .language:       OpenCL C
    .language_version:
      - 2
      - 0
    .max_flat_workgroup_size: 256
    .name:           _ZN7rocprim17ROCPRIM_400000_NS6detail17trampoline_kernelINS0_13select_configILj256ELj13ELNS0_17block_load_methodE3ELS4_3ELS4_3ELNS0_20block_scan_algorithmE0ELj4294967295EEENS1_25partition_config_selectorILNS1_17partition_subalgoE3EjNS0_10empty_typeEbEEZZNS1_14partition_implILS8_3ELb0ES6_jNS0_17counting_iteratorIjlEEPS9_SE_NS0_5tupleIJPjSE_EEENSF_IJSE_SE_EEES9_SG_JZNS1_25segmented_radix_sort_implINS0_14default_configELb1EPKhPhPKlPlN2at6native12_GLOBAL__N_18offset_tEEE10hipError_tPvRmT1_PNSt15iterator_traitsISY_E10value_typeET2_T3_PNSZ_IS14_E10value_typeET4_jRbjT5_S1A_jjP12ihipStream_tbEUljE_EEESV_SW_SX_S14_S18_S1A_T6_T7_T9_mT8_S1C_bDpT10_ENKUlT_T0_E_clISt17integral_constantIbLb1EES1P_EEDaS1K_S1L_EUlS1K_E_NS1_11comp_targetILNS1_3genE5ELNS1_11target_archE942ELNS1_3gpuE9ELNS1_3repE0EEENS1_30default_config_static_selectorELNS0_4arch9wavefront6targetE0EEEvSY_
    .private_segment_fixed_size: 0
    .sgpr_count:     0
    .sgpr_spill_count: 0
    .symbol:         _ZN7rocprim17ROCPRIM_400000_NS6detail17trampoline_kernelINS0_13select_configILj256ELj13ELNS0_17block_load_methodE3ELS4_3ELS4_3ELNS0_20block_scan_algorithmE0ELj4294967295EEENS1_25partition_config_selectorILNS1_17partition_subalgoE3EjNS0_10empty_typeEbEEZZNS1_14partition_implILS8_3ELb0ES6_jNS0_17counting_iteratorIjlEEPS9_SE_NS0_5tupleIJPjSE_EEENSF_IJSE_SE_EEES9_SG_JZNS1_25segmented_radix_sort_implINS0_14default_configELb1EPKhPhPKlPlN2at6native12_GLOBAL__N_18offset_tEEE10hipError_tPvRmT1_PNSt15iterator_traitsISY_E10value_typeET2_T3_PNSZ_IS14_E10value_typeET4_jRbjT5_S1A_jjP12ihipStream_tbEUljE_EEESV_SW_SX_S14_S18_S1A_T6_T7_T9_mT8_S1C_bDpT10_ENKUlT_T0_E_clISt17integral_constantIbLb1EES1P_EEDaS1K_S1L_EUlS1K_E_NS1_11comp_targetILNS1_3genE5ELNS1_11target_archE942ELNS1_3gpuE9ELNS1_3repE0EEENS1_30default_config_static_selectorELNS0_4arch9wavefront6targetE0EEEvSY_.kd
    .uniform_work_group_size: 1
    .uses_dynamic_stack: false
    .vgpr_count:     0
    .vgpr_spill_count: 0
    .wavefront_size: 32
    .workgroup_processor_mode: 1
  - .args:
      - .offset:         0
        .size:           152
        .value_kind:     by_value
    .group_segment_fixed_size: 0
    .kernarg_segment_align: 8
    .kernarg_segment_size: 152
    .language:       OpenCL C
    .language_version:
      - 2
      - 0
    .max_flat_workgroup_size: 256
    .name:           _ZN7rocprim17ROCPRIM_400000_NS6detail17trampoline_kernelINS0_13select_configILj256ELj13ELNS0_17block_load_methodE3ELS4_3ELS4_3ELNS0_20block_scan_algorithmE0ELj4294967295EEENS1_25partition_config_selectorILNS1_17partition_subalgoE3EjNS0_10empty_typeEbEEZZNS1_14partition_implILS8_3ELb0ES6_jNS0_17counting_iteratorIjlEEPS9_SE_NS0_5tupleIJPjSE_EEENSF_IJSE_SE_EEES9_SG_JZNS1_25segmented_radix_sort_implINS0_14default_configELb1EPKhPhPKlPlN2at6native12_GLOBAL__N_18offset_tEEE10hipError_tPvRmT1_PNSt15iterator_traitsISY_E10value_typeET2_T3_PNSZ_IS14_E10value_typeET4_jRbjT5_S1A_jjP12ihipStream_tbEUljE_EEESV_SW_SX_S14_S18_S1A_T6_T7_T9_mT8_S1C_bDpT10_ENKUlT_T0_E_clISt17integral_constantIbLb1EES1P_EEDaS1K_S1L_EUlS1K_E_NS1_11comp_targetILNS1_3genE4ELNS1_11target_archE910ELNS1_3gpuE8ELNS1_3repE0EEENS1_30default_config_static_selectorELNS0_4arch9wavefront6targetE0EEEvSY_
    .private_segment_fixed_size: 0
    .sgpr_count:     0
    .sgpr_spill_count: 0
    .symbol:         _ZN7rocprim17ROCPRIM_400000_NS6detail17trampoline_kernelINS0_13select_configILj256ELj13ELNS0_17block_load_methodE3ELS4_3ELS4_3ELNS0_20block_scan_algorithmE0ELj4294967295EEENS1_25partition_config_selectorILNS1_17partition_subalgoE3EjNS0_10empty_typeEbEEZZNS1_14partition_implILS8_3ELb0ES6_jNS0_17counting_iteratorIjlEEPS9_SE_NS0_5tupleIJPjSE_EEENSF_IJSE_SE_EEES9_SG_JZNS1_25segmented_radix_sort_implINS0_14default_configELb1EPKhPhPKlPlN2at6native12_GLOBAL__N_18offset_tEEE10hipError_tPvRmT1_PNSt15iterator_traitsISY_E10value_typeET2_T3_PNSZ_IS14_E10value_typeET4_jRbjT5_S1A_jjP12ihipStream_tbEUljE_EEESV_SW_SX_S14_S18_S1A_T6_T7_T9_mT8_S1C_bDpT10_ENKUlT_T0_E_clISt17integral_constantIbLb1EES1P_EEDaS1K_S1L_EUlS1K_E_NS1_11comp_targetILNS1_3genE4ELNS1_11target_archE910ELNS1_3gpuE8ELNS1_3repE0EEENS1_30default_config_static_selectorELNS0_4arch9wavefront6targetE0EEEvSY_.kd
    .uniform_work_group_size: 1
    .uses_dynamic_stack: false
    .vgpr_count:     0
    .vgpr_spill_count: 0
    .wavefront_size: 32
    .workgroup_processor_mode: 1
  - .args:
      - .offset:         0
        .size:           152
        .value_kind:     by_value
    .group_segment_fixed_size: 0
    .kernarg_segment_align: 8
    .kernarg_segment_size: 152
    .language:       OpenCL C
    .language_version:
      - 2
      - 0
    .max_flat_workgroup_size: 256
    .name:           _ZN7rocprim17ROCPRIM_400000_NS6detail17trampoline_kernelINS0_13select_configILj256ELj13ELNS0_17block_load_methodE3ELS4_3ELS4_3ELNS0_20block_scan_algorithmE0ELj4294967295EEENS1_25partition_config_selectorILNS1_17partition_subalgoE3EjNS0_10empty_typeEbEEZZNS1_14partition_implILS8_3ELb0ES6_jNS0_17counting_iteratorIjlEEPS9_SE_NS0_5tupleIJPjSE_EEENSF_IJSE_SE_EEES9_SG_JZNS1_25segmented_radix_sort_implINS0_14default_configELb1EPKhPhPKlPlN2at6native12_GLOBAL__N_18offset_tEEE10hipError_tPvRmT1_PNSt15iterator_traitsISY_E10value_typeET2_T3_PNSZ_IS14_E10value_typeET4_jRbjT5_S1A_jjP12ihipStream_tbEUljE_EEESV_SW_SX_S14_S18_S1A_T6_T7_T9_mT8_S1C_bDpT10_ENKUlT_T0_E_clISt17integral_constantIbLb1EES1P_EEDaS1K_S1L_EUlS1K_E_NS1_11comp_targetILNS1_3genE3ELNS1_11target_archE908ELNS1_3gpuE7ELNS1_3repE0EEENS1_30default_config_static_selectorELNS0_4arch9wavefront6targetE0EEEvSY_
    .private_segment_fixed_size: 0
    .sgpr_count:     0
    .sgpr_spill_count: 0
    .symbol:         _ZN7rocprim17ROCPRIM_400000_NS6detail17trampoline_kernelINS0_13select_configILj256ELj13ELNS0_17block_load_methodE3ELS4_3ELS4_3ELNS0_20block_scan_algorithmE0ELj4294967295EEENS1_25partition_config_selectorILNS1_17partition_subalgoE3EjNS0_10empty_typeEbEEZZNS1_14partition_implILS8_3ELb0ES6_jNS0_17counting_iteratorIjlEEPS9_SE_NS0_5tupleIJPjSE_EEENSF_IJSE_SE_EEES9_SG_JZNS1_25segmented_radix_sort_implINS0_14default_configELb1EPKhPhPKlPlN2at6native12_GLOBAL__N_18offset_tEEE10hipError_tPvRmT1_PNSt15iterator_traitsISY_E10value_typeET2_T3_PNSZ_IS14_E10value_typeET4_jRbjT5_S1A_jjP12ihipStream_tbEUljE_EEESV_SW_SX_S14_S18_S1A_T6_T7_T9_mT8_S1C_bDpT10_ENKUlT_T0_E_clISt17integral_constantIbLb1EES1P_EEDaS1K_S1L_EUlS1K_E_NS1_11comp_targetILNS1_3genE3ELNS1_11target_archE908ELNS1_3gpuE7ELNS1_3repE0EEENS1_30default_config_static_selectorELNS0_4arch9wavefront6targetE0EEEvSY_.kd
    .uniform_work_group_size: 1
    .uses_dynamic_stack: false
    .vgpr_count:     0
    .vgpr_spill_count: 0
    .wavefront_size: 32
    .workgroup_processor_mode: 1
  - .args:
      - .offset:         0
        .size:           152
        .value_kind:     by_value
    .group_segment_fixed_size: 0
    .kernarg_segment_align: 8
    .kernarg_segment_size: 152
    .language:       OpenCL C
    .language_version:
      - 2
      - 0
    .max_flat_workgroup_size: 256
    .name:           _ZN7rocprim17ROCPRIM_400000_NS6detail17trampoline_kernelINS0_13select_configILj256ELj13ELNS0_17block_load_methodE3ELS4_3ELS4_3ELNS0_20block_scan_algorithmE0ELj4294967295EEENS1_25partition_config_selectorILNS1_17partition_subalgoE3EjNS0_10empty_typeEbEEZZNS1_14partition_implILS8_3ELb0ES6_jNS0_17counting_iteratorIjlEEPS9_SE_NS0_5tupleIJPjSE_EEENSF_IJSE_SE_EEES9_SG_JZNS1_25segmented_radix_sort_implINS0_14default_configELb1EPKhPhPKlPlN2at6native12_GLOBAL__N_18offset_tEEE10hipError_tPvRmT1_PNSt15iterator_traitsISY_E10value_typeET2_T3_PNSZ_IS14_E10value_typeET4_jRbjT5_S1A_jjP12ihipStream_tbEUljE_EEESV_SW_SX_S14_S18_S1A_T6_T7_T9_mT8_S1C_bDpT10_ENKUlT_T0_E_clISt17integral_constantIbLb1EES1P_EEDaS1K_S1L_EUlS1K_E_NS1_11comp_targetILNS1_3genE2ELNS1_11target_archE906ELNS1_3gpuE6ELNS1_3repE0EEENS1_30default_config_static_selectorELNS0_4arch9wavefront6targetE0EEEvSY_
    .private_segment_fixed_size: 0
    .sgpr_count:     0
    .sgpr_spill_count: 0
    .symbol:         _ZN7rocprim17ROCPRIM_400000_NS6detail17trampoline_kernelINS0_13select_configILj256ELj13ELNS0_17block_load_methodE3ELS4_3ELS4_3ELNS0_20block_scan_algorithmE0ELj4294967295EEENS1_25partition_config_selectorILNS1_17partition_subalgoE3EjNS0_10empty_typeEbEEZZNS1_14partition_implILS8_3ELb0ES6_jNS0_17counting_iteratorIjlEEPS9_SE_NS0_5tupleIJPjSE_EEENSF_IJSE_SE_EEES9_SG_JZNS1_25segmented_radix_sort_implINS0_14default_configELb1EPKhPhPKlPlN2at6native12_GLOBAL__N_18offset_tEEE10hipError_tPvRmT1_PNSt15iterator_traitsISY_E10value_typeET2_T3_PNSZ_IS14_E10value_typeET4_jRbjT5_S1A_jjP12ihipStream_tbEUljE_EEESV_SW_SX_S14_S18_S1A_T6_T7_T9_mT8_S1C_bDpT10_ENKUlT_T0_E_clISt17integral_constantIbLb1EES1P_EEDaS1K_S1L_EUlS1K_E_NS1_11comp_targetILNS1_3genE2ELNS1_11target_archE906ELNS1_3gpuE6ELNS1_3repE0EEENS1_30default_config_static_selectorELNS0_4arch9wavefront6targetE0EEEvSY_.kd
    .uniform_work_group_size: 1
    .uses_dynamic_stack: false
    .vgpr_count:     0
    .vgpr_spill_count: 0
    .wavefront_size: 32
    .workgroup_processor_mode: 1
  - .args:
      - .offset:         0
        .size:           152
        .value_kind:     by_value
    .group_segment_fixed_size: 0
    .kernarg_segment_align: 8
    .kernarg_segment_size: 152
    .language:       OpenCL C
    .language_version:
      - 2
      - 0
    .max_flat_workgroup_size: 256
    .name:           _ZN7rocprim17ROCPRIM_400000_NS6detail17trampoline_kernelINS0_13select_configILj256ELj13ELNS0_17block_load_methodE3ELS4_3ELS4_3ELNS0_20block_scan_algorithmE0ELj4294967295EEENS1_25partition_config_selectorILNS1_17partition_subalgoE3EjNS0_10empty_typeEbEEZZNS1_14partition_implILS8_3ELb0ES6_jNS0_17counting_iteratorIjlEEPS9_SE_NS0_5tupleIJPjSE_EEENSF_IJSE_SE_EEES9_SG_JZNS1_25segmented_radix_sort_implINS0_14default_configELb1EPKhPhPKlPlN2at6native12_GLOBAL__N_18offset_tEEE10hipError_tPvRmT1_PNSt15iterator_traitsISY_E10value_typeET2_T3_PNSZ_IS14_E10value_typeET4_jRbjT5_S1A_jjP12ihipStream_tbEUljE_EEESV_SW_SX_S14_S18_S1A_T6_T7_T9_mT8_S1C_bDpT10_ENKUlT_T0_E_clISt17integral_constantIbLb1EES1P_EEDaS1K_S1L_EUlS1K_E_NS1_11comp_targetILNS1_3genE10ELNS1_11target_archE1200ELNS1_3gpuE4ELNS1_3repE0EEENS1_30default_config_static_selectorELNS0_4arch9wavefront6targetE0EEEvSY_
    .private_segment_fixed_size: 0
    .sgpr_count:     0
    .sgpr_spill_count: 0
    .symbol:         _ZN7rocprim17ROCPRIM_400000_NS6detail17trampoline_kernelINS0_13select_configILj256ELj13ELNS0_17block_load_methodE3ELS4_3ELS4_3ELNS0_20block_scan_algorithmE0ELj4294967295EEENS1_25partition_config_selectorILNS1_17partition_subalgoE3EjNS0_10empty_typeEbEEZZNS1_14partition_implILS8_3ELb0ES6_jNS0_17counting_iteratorIjlEEPS9_SE_NS0_5tupleIJPjSE_EEENSF_IJSE_SE_EEES9_SG_JZNS1_25segmented_radix_sort_implINS0_14default_configELb1EPKhPhPKlPlN2at6native12_GLOBAL__N_18offset_tEEE10hipError_tPvRmT1_PNSt15iterator_traitsISY_E10value_typeET2_T3_PNSZ_IS14_E10value_typeET4_jRbjT5_S1A_jjP12ihipStream_tbEUljE_EEESV_SW_SX_S14_S18_S1A_T6_T7_T9_mT8_S1C_bDpT10_ENKUlT_T0_E_clISt17integral_constantIbLb1EES1P_EEDaS1K_S1L_EUlS1K_E_NS1_11comp_targetILNS1_3genE10ELNS1_11target_archE1200ELNS1_3gpuE4ELNS1_3repE0EEENS1_30default_config_static_selectorELNS0_4arch9wavefront6targetE0EEEvSY_.kd
    .uniform_work_group_size: 1
    .uses_dynamic_stack: false
    .vgpr_count:     0
    .vgpr_spill_count: 0
    .wavefront_size: 32
    .workgroup_processor_mode: 1
  - .args:
      - .offset:         0
        .size:           152
        .value_kind:     by_value
    .group_segment_fixed_size: 0
    .kernarg_segment_align: 8
    .kernarg_segment_size: 152
    .language:       OpenCL C
    .language_version:
      - 2
      - 0
    .max_flat_workgroup_size: 256
    .name:           _ZN7rocprim17ROCPRIM_400000_NS6detail17trampoline_kernelINS0_13select_configILj256ELj13ELNS0_17block_load_methodE3ELS4_3ELS4_3ELNS0_20block_scan_algorithmE0ELj4294967295EEENS1_25partition_config_selectorILNS1_17partition_subalgoE3EjNS0_10empty_typeEbEEZZNS1_14partition_implILS8_3ELb0ES6_jNS0_17counting_iteratorIjlEEPS9_SE_NS0_5tupleIJPjSE_EEENSF_IJSE_SE_EEES9_SG_JZNS1_25segmented_radix_sort_implINS0_14default_configELb1EPKhPhPKlPlN2at6native12_GLOBAL__N_18offset_tEEE10hipError_tPvRmT1_PNSt15iterator_traitsISY_E10value_typeET2_T3_PNSZ_IS14_E10value_typeET4_jRbjT5_S1A_jjP12ihipStream_tbEUljE_EEESV_SW_SX_S14_S18_S1A_T6_T7_T9_mT8_S1C_bDpT10_ENKUlT_T0_E_clISt17integral_constantIbLb1EES1P_EEDaS1K_S1L_EUlS1K_E_NS1_11comp_targetILNS1_3genE9ELNS1_11target_archE1100ELNS1_3gpuE3ELNS1_3repE0EEENS1_30default_config_static_selectorELNS0_4arch9wavefront6targetE0EEEvSY_
    .private_segment_fixed_size: 0
    .sgpr_count:     0
    .sgpr_spill_count: 0
    .symbol:         _ZN7rocprim17ROCPRIM_400000_NS6detail17trampoline_kernelINS0_13select_configILj256ELj13ELNS0_17block_load_methodE3ELS4_3ELS4_3ELNS0_20block_scan_algorithmE0ELj4294967295EEENS1_25partition_config_selectorILNS1_17partition_subalgoE3EjNS0_10empty_typeEbEEZZNS1_14partition_implILS8_3ELb0ES6_jNS0_17counting_iteratorIjlEEPS9_SE_NS0_5tupleIJPjSE_EEENSF_IJSE_SE_EEES9_SG_JZNS1_25segmented_radix_sort_implINS0_14default_configELb1EPKhPhPKlPlN2at6native12_GLOBAL__N_18offset_tEEE10hipError_tPvRmT1_PNSt15iterator_traitsISY_E10value_typeET2_T3_PNSZ_IS14_E10value_typeET4_jRbjT5_S1A_jjP12ihipStream_tbEUljE_EEESV_SW_SX_S14_S18_S1A_T6_T7_T9_mT8_S1C_bDpT10_ENKUlT_T0_E_clISt17integral_constantIbLb1EES1P_EEDaS1K_S1L_EUlS1K_E_NS1_11comp_targetILNS1_3genE9ELNS1_11target_archE1100ELNS1_3gpuE3ELNS1_3repE0EEENS1_30default_config_static_selectorELNS0_4arch9wavefront6targetE0EEEvSY_.kd
    .uniform_work_group_size: 1
    .uses_dynamic_stack: false
    .vgpr_count:     0
    .vgpr_spill_count: 0
    .wavefront_size: 32
    .workgroup_processor_mode: 1
  - .args:
      - .offset:         0
        .size:           152
        .value_kind:     by_value
    .group_segment_fixed_size: 0
    .kernarg_segment_align: 8
    .kernarg_segment_size: 152
    .language:       OpenCL C
    .language_version:
      - 2
      - 0
    .max_flat_workgroup_size: 256
    .name:           _ZN7rocprim17ROCPRIM_400000_NS6detail17trampoline_kernelINS0_13select_configILj256ELj13ELNS0_17block_load_methodE3ELS4_3ELS4_3ELNS0_20block_scan_algorithmE0ELj4294967295EEENS1_25partition_config_selectorILNS1_17partition_subalgoE3EjNS0_10empty_typeEbEEZZNS1_14partition_implILS8_3ELb0ES6_jNS0_17counting_iteratorIjlEEPS9_SE_NS0_5tupleIJPjSE_EEENSF_IJSE_SE_EEES9_SG_JZNS1_25segmented_radix_sort_implINS0_14default_configELb1EPKhPhPKlPlN2at6native12_GLOBAL__N_18offset_tEEE10hipError_tPvRmT1_PNSt15iterator_traitsISY_E10value_typeET2_T3_PNSZ_IS14_E10value_typeET4_jRbjT5_S1A_jjP12ihipStream_tbEUljE_EEESV_SW_SX_S14_S18_S1A_T6_T7_T9_mT8_S1C_bDpT10_ENKUlT_T0_E_clISt17integral_constantIbLb1EES1P_EEDaS1K_S1L_EUlS1K_E_NS1_11comp_targetILNS1_3genE8ELNS1_11target_archE1030ELNS1_3gpuE2ELNS1_3repE0EEENS1_30default_config_static_selectorELNS0_4arch9wavefront6targetE0EEEvSY_
    .private_segment_fixed_size: 0
    .sgpr_count:     0
    .sgpr_spill_count: 0
    .symbol:         _ZN7rocprim17ROCPRIM_400000_NS6detail17trampoline_kernelINS0_13select_configILj256ELj13ELNS0_17block_load_methodE3ELS4_3ELS4_3ELNS0_20block_scan_algorithmE0ELj4294967295EEENS1_25partition_config_selectorILNS1_17partition_subalgoE3EjNS0_10empty_typeEbEEZZNS1_14partition_implILS8_3ELb0ES6_jNS0_17counting_iteratorIjlEEPS9_SE_NS0_5tupleIJPjSE_EEENSF_IJSE_SE_EEES9_SG_JZNS1_25segmented_radix_sort_implINS0_14default_configELb1EPKhPhPKlPlN2at6native12_GLOBAL__N_18offset_tEEE10hipError_tPvRmT1_PNSt15iterator_traitsISY_E10value_typeET2_T3_PNSZ_IS14_E10value_typeET4_jRbjT5_S1A_jjP12ihipStream_tbEUljE_EEESV_SW_SX_S14_S18_S1A_T6_T7_T9_mT8_S1C_bDpT10_ENKUlT_T0_E_clISt17integral_constantIbLb1EES1P_EEDaS1K_S1L_EUlS1K_E_NS1_11comp_targetILNS1_3genE8ELNS1_11target_archE1030ELNS1_3gpuE2ELNS1_3repE0EEENS1_30default_config_static_selectorELNS0_4arch9wavefront6targetE0EEEvSY_.kd
    .uniform_work_group_size: 1
    .uses_dynamic_stack: false
    .vgpr_count:     0
    .vgpr_spill_count: 0
    .wavefront_size: 32
    .workgroup_processor_mode: 1
  - .args:
      - .address_space:  global
        .offset:         0
        .size:           8
        .value_kind:     global_buffer
      - .offset:         8
        .size:           4
        .value_kind:     by_value
      - .offset:         12
        .size:           1
        .value_kind:     by_value
      - .offset:         16
        .size:           4
        .value_kind:     by_value
      - .address_space:  global
        .offset:         24
        .size:           8
        .value_kind:     global_buffer
      - .offset:         32
        .size:           4
        .value_kind:     hidden_block_count_x
      - .offset:         36
        .size:           4
        .value_kind:     hidden_block_count_y
      - .offset:         40
        .size:           4
        .value_kind:     hidden_block_count_z
      - .offset:         44
        .size:           2
        .value_kind:     hidden_group_size_x
      - .offset:         46
        .size:           2
        .value_kind:     hidden_group_size_y
      - .offset:         48
        .size:           2
        .value_kind:     hidden_group_size_z
      - .offset:         50
        .size:           2
        .value_kind:     hidden_remainder_x
      - .offset:         52
        .size:           2
        .value_kind:     hidden_remainder_y
      - .offset:         54
        .size:           2
        .value_kind:     hidden_remainder_z
      - .offset:         72
        .size:           8
        .value_kind:     hidden_global_offset_x
      - .offset:         80
        .size:           8
        .value_kind:     hidden_global_offset_y
      - .offset:         88
        .size:           8
        .value_kind:     hidden_global_offset_z
      - .offset:         96
        .size:           2
        .value_kind:     hidden_grid_dims
    .group_segment_fixed_size: 0
    .kernarg_segment_align: 8
    .kernarg_segment_size: 288
    .language:       OpenCL C
    .language_version:
      - 2
      - 0
    .max_flat_workgroup_size: 256
    .name:           _ZN7rocprim17ROCPRIM_400000_NS6detail31init_lookback_scan_state_kernelINS1_19lookback_scan_stateIjLb1ELb1EEENS1_16block_id_wrapperIjLb0EEEEEvT_jT0_jPNS7_10value_typeE
    .private_segment_fixed_size: 0
    .sgpr_count:     12
    .sgpr_spill_count: 0
    .symbol:         _ZN7rocprim17ROCPRIM_400000_NS6detail31init_lookback_scan_state_kernelINS1_19lookback_scan_stateIjLb1ELb1EEENS1_16block_id_wrapperIjLb0EEEEEvT_jT0_jPNS7_10value_typeE.kd
    .uniform_work_group_size: 1
    .uses_dynamic_stack: false
    .vgpr_count:     7
    .vgpr_spill_count: 0
    .wavefront_size: 32
    .workgroup_processor_mode: 1
  - .args:
      - .offset:         0
        .size:           144
        .value_kind:     by_value
    .group_segment_fixed_size: 0
    .kernarg_segment_align: 8
    .kernarg_segment_size: 144
    .language:       OpenCL C
    .language_version:
      - 2
      - 0
    .max_flat_workgroup_size: 256
    .name:           _ZN7rocprim17ROCPRIM_400000_NS6detail17trampoline_kernelINS0_13select_configILj256ELj13ELNS0_17block_load_methodE3ELS4_3ELS4_3ELNS0_20block_scan_algorithmE0ELj4294967295EEENS1_25partition_config_selectorILNS1_17partition_subalgoE3EjNS0_10empty_typeEbEEZZNS1_14partition_implILS8_3ELb0ES6_jNS0_17counting_iteratorIjlEEPS9_SE_NS0_5tupleIJPjSE_EEENSF_IJSE_SE_EEES9_SG_JZNS1_25segmented_radix_sort_implINS0_14default_configELb1EPKhPhPKlPlN2at6native12_GLOBAL__N_18offset_tEEE10hipError_tPvRmT1_PNSt15iterator_traitsISY_E10value_typeET2_T3_PNSZ_IS14_E10value_typeET4_jRbjT5_S1A_jjP12ihipStream_tbEUljE_EEESV_SW_SX_S14_S18_S1A_T6_T7_T9_mT8_S1C_bDpT10_ENKUlT_T0_E_clISt17integral_constantIbLb1EES1O_IbLb0EEEEDaS1K_S1L_EUlS1K_E_NS1_11comp_targetILNS1_3genE0ELNS1_11target_archE4294967295ELNS1_3gpuE0ELNS1_3repE0EEENS1_30default_config_static_selectorELNS0_4arch9wavefront6targetE0EEEvSY_
    .private_segment_fixed_size: 0
    .sgpr_count:     0
    .sgpr_spill_count: 0
    .symbol:         _ZN7rocprim17ROCPRIM_400000_NS6detail17trampoline_kernelINS0_13select_configILj256ELj13ELNS0_17block_load_methodE3ELS4_3ELS4_3ELNS0_20block_scan_algorithmE0ELj4294967295EEENS1_25partition_config_selectorILNS1_17partition_subalgoE3EjNS0_10empty_typeEbEEZZNS1_14partition_implILS8_3ELb0ES6_jNS0_17counting_iteratorIjlEEPS9_SE_NS0_5tupleIJPjSE_EEENSF_IJSE_SE_EEES9_SG_JZNS1_25segmented_radix_sort_implINS0_14default_configELb1EPKhPhPKlPlN2at6native12_GLOBAL__N_18offset_tEEE10hipError_tPvRmT1_PNSt15iterator_traitsISY_E10value_typeET2_T3_PNSZ_IS14_E10value_typeET4_jRbjT5_S1A_jjP12ihipStream_tbEUljE_EEESV_SW_SX_S14_S18_S1A_T6_T7_T9_mT8_S1C_bDpT10_ENKUlT_T0_E_clISt17integral_constantIbLb1EES1O_IbLb0EEEEDaS1K_S1L_EUlS1K_E_NS1_11comp_targetILNS1_3genE0ELNS1_11target_archE4294967295ELNS1_3gpuE0ELNS1_3repE0EEENS1_30default_config_static_selectorELNS0_4arch9wavefront6targetE0EEEvSY_.kd
    .uniform_work_group_size: 1
    .uses_dynamic_stack: false
    .vgpr_count:     0
    .vgpr_spill_count: 0
    .wavefront_size: 32
    .workgroup_processor_mode: 1
  - .args:
      - .offset:         0
        .size:           144
        .value_kind:     by_value
    .group_segment_fixed_size: 0
    .kernarg_segment_align: 8
    .kernarg_segment_size: 144
    .language:       OpenCL C
    .language_version:
      - 2
      - 0
    .max_flat_workgroup_size: 256
    .name:           _ZN7rocprim17ROCPRIM_400000_NS6detail17trampoline_kernelINS0_13select_configILj256ELj13ELNS0_17block_load_methodE3ELS4_3ELS4_3ELNS0_20block_scan_algorithmE0ELj4294967295EEENS1_25partition_config_selectorILNS1_17partition_subalgoE3EjNS0_10empty_typeEbEEZZNS1_14partition_implILS8_3ELb0ES6_jNS0_17counting_iteratorIjlEEPS9_SE_NS0_5tupleIJPjSE_EEENSF_IJSE_SE_EEES9_SG_JZNS1_25segmented_radix_sort_implINS0_14default_configELb1EPKhPhPKlPlN2at6native12_GLOBAL__N_18offset_tEEE10hipError_tPvRmT1_PNSt15iterator_traitsISY_E10value_typeET2_T3_PNSZ_IS14_E10value_typeET4_jRbjT5_S1A_jjP12ihipStream_tbEUljE_EEESV_SW_SX_S14_S18_S1A_T6_T7_T9_mT8_S1C_bDpT10_ENKUlT_T0_E_clISt17integral_constantIbLb1EES1O_IbLb0EEEEDaS1K_S1L_EUlS1K_E_NS1_11comp_targetILNS1_3genE5ELNS1_11target_archE942ELNS1_3gpuE9ELNS1_3repE0EEENS1_30default_config_static_selectorELNS0_4arch9wavefront6targetE0EEEvSY_
    .private_segment_fixed_size: 0
    .sgpr_count:     0
    .sgpr_spill_count: 0
    .symbol:         _ZN7rocprim17ROCPRIM_400000_NS6detail17trampoline_kernelINS0_13select_configILj256ELj13ELNS0_17block_load_methodE3ELS4_3ELS4_3ELNS0_20block_scan_algorithmE0ELj4294967295EEENS1_25partition_config_selectorILNS1_17partition_subalgoE3EjNS0_10empty_typeEbEEZZNS1_14partition_implILS8_3ELb0ES6_jNS0_17counting_iteratorIjlEEPS9_SE_NS0_5tupleIJPjSE_EEENSF_IJSE_SE_EEES9_SG_JZNS1_25segmented_radix_sort_implINS0_14default_configELb1EPKhPhPKlPlN2at6native12_GLOBAL__N_18offset_tEEE10hipError_tPvRmT1_PNSt15iterator_traitsISY_E10value_typeET2_T3_PNSZ_IS14_E10value_typeET4_jRbjT5_S1A_jjP12ihipStream_tbEUljE_EEESV_SW_SX_S14_S18_S1A_T6_T7_T9_mT8_S1C_bDpT10_ENKUlT_T0_E_clISt17integral_constantIbLb1EES1O_IbLb0EEEEDaS1K_S1L_EUlS1K_E_NS1_11comp_targetILNS1_3genE5ELNS1_11target_archE942ELNS1_3gpuE9ELNS1_3repE0EEENS1_30default_config_static_selectorELNS0_4arch9wavefront6targetE0EEEvSY_.kd
    .uniform_work_group_size: 1
    .uses_dynamic_stack: false
    .vgpr_count:     0
    .vgpr_spill_count: 0
    .wavefront_size: 32
    .workgroup_processor_mode: 1
  - .args:
      - .offset:         0
        .size:           144
        .value_kind:     by_value
    .group_segment_fixed_size: 0
    .kernarg_segment_align: 8
    .kernarg_segment_size: 144
    .language:       OpenCL C
    .language_version:
      - 2
      - 0
    .max_flat_workgroup_size: 256
    .name:           _ZN7rocprim17ROCPRIM_400000_NS6detail17trampoline_kernelINS0_13select_configILj256ELj13ELNS0_17block_load_methodE3ELS4_3ELS4_3ELNS0_20block_scan_algorithmE0ELj4294967295EEENS1_25partition_config_selectorILNS1_17partition_subalgoE3EjNS0_10empty_typeEbEEZZNS1_14partition_implILS8_3ELb0ES6_jNS0_17counting_iteratorIjlEEPS9_SE_NS0_5tupleIJPjSE_EEENSF_IJSE_SE_EEES9_SG_JZNS1_25segmented_radix_sort_implINS0_14default_configELb1EPKhPhPKlPlN2at6native12_GLOBAL__N_18offset_tEEE10hipError_tPvRmT1_PNSt15iterator_traitsISY_E10value_typeET2_T3_PNSZ_IS14_E10value_typeET4_jRbjT5_S1A_jjP12ihipStream_tbEUljE_EEESV_SW_SX_S14_S18_S1A_T6_T7_T9_mT8_S1C_bDpT10_ENKUlT_T0_E_clISt17integral_constantIbLb1EES1O_IbLb0EEEEDaS1K_S1L_EUlS1K_E_NS1_11comp_targetILNS1_3genE4ELNS1_11target_archE910ELNS1_3gpuE8ELNS1_3repE0EEENS1_30default_config_static_selectorELNS0_4arch9wavefront6targetE0EEEvSY_
    .private_segment_fixed_size: 0
    .sgpr_count:     0
    .sgpr_spill_count: 0
    .symbol:         _ZN7rocprim17ROCPRIM_400000_NS6detail17trampoline_kernelINS0_13select_configILj256ELj13ELNS0_17block_load_methodE3ELS4_3ELS4_3ELNS0_20block_scan_algorithmE0ELj4294967295EEENS1_25partition_config_selectorILNS1_17partition_subalgoE3EjNS0_10empty_typeEbEEZZNS1_14partition_implILS8_3ELb0ES6_jNS0_17counting_iteratorIjlEEPS9_SE_NS0_5tupleIJPjSE_EEENSF_IJSE_SE_EEES9_SG_JZNS1_25segmented_radix_sort_implINS0_14default_configELb1EPKhPhPKlPlN2at6native12_GLOBAL__N_18offset_tEEE10hipError_tPvRmT1_PNSt15iterator_traitsISY_E10value_typeET2_T3_PNSZ_IS14_E10value_typeET4_jRbjT5_S1A_jjP12ihipStream_tbEUljE_EEESV_SW_SX_S14_S18_S1A_T6_T7_T9_mT8_S1C_bDpT10_ENKUlT_T0_E_clISt17integral_constantIbLb1EES1O_IbLb0EEEEDaS1K_S1L_EUlS1K_E_NS1_11comp_targetILNS1_3genE4ELNS1_11target_archE910ELNS1_3gpuE8ELNS1_3repE0EEENS1_30default_config_static_selectorELNS0_4arch9wavefront6targetE0EEEvSY_.kd
    .uniform_work_group_size: 1
    .uses_dynamic_stack: false
    .vgpr_count:     0
    .vgpr_spill_count: 0
    .wavefront_size: 32
    .workgroup_processor_mode: 1
  - .args:
      - .offset:         0
        .size:           144
        .value_kind:     by_value
    .group_segment_fixed_size: 0
    .kernarg_segment_align: 8
    .kernarg_segment_size: 144
    .language:       OpenCL C
    .language_version:
      - 2
      - 0
    .max_flat_workgroup_size: 256
    .name:           _ZN7rocprim17ROCPRIM_400000_NS6detail17trampoline_kernelINS0_13select_configILj256ELj13ELNS0_17block_load_methodE3ELS4_3ELS4_3ELNS0_20block_scan_algorithmE0ELj4294967295EEENS1_25partition_config_selectorILNS1_17partition_subalgoE3EjNS0_10empty_typeEbEEZZNS1_14partition_implILS8_3ELb0ES6_jNS0_17counting_iteratorIjlEEPS9_SE_NS0_5tupleIJPjSE_EEENSF_IJSE_SE_EEES9_SG_JZNS1_25segmented_radix_sort_implINS0_14default_configELb1EPKhPhPKlPlN2at6native12_GLOBAL__N_18offset_tEEE10hipError_tPvRmT1_PNSt15iterator_traitsISY_E10value_typeET2_T3_PNSZ_IS14_E10value_typeET4_jRbjT5_S1A_jjP12ihipStream_tbEUljE_EEESV_SW_SX_S14_S18_S1A_T6_T7_T9_mT8_S1C_bDpT10_ENKUlT_T0_E_clISt17integral_constantIbLb1EES1O_IbLb0EEEEDaS1K_S1L_EUlS1K_E_NS1_11comp_targetILNS1_3genE3ELNS1_11target_archE908ELNS1_3gpuE7ELNS1_3repE0EEENS1_30default_config_static_selectorELNS0_4arch9wavefront6targetE0EEEvSY_
    .private_segment_fixed_size: 0
    .sgpr_count:     0
    .sgpr_spill_count: 0
    .symbol:         _ZN7rocprim17ROCPRIM_400000_NS6detail17trampoline_kernelINS0_13select_configILj256ELj13ELNS0_17block_load_methodE3ELS4_3ELS4_3ELNS0_20block_scan_algorithmE0ELj4294967295EEENS1_25partition_config_selectorILNS1_17partition_subalgoE3EjNS0_10empty_typeEbEEZZNS1_14partition_implILS8_3ELb0ES6_jNS0_17counting_iteratorIjlEEPS9_SE_NS0_5tupleIJPjSE_EEENSF_IJSE_SE_EEES9_SG_JZNS1_25segmented_radix_sort_implINS0_14default_configELb1EPKhPhPKlPlN2at6native12_GLOBAL__N_18offset_tEEE10hipError_tPvRmT1_PNSt15iterator_traitsISY_E10value_typeET2_T3_PNSZ_IS14_E10value_typeET4_jRbjT5_S1A_jjP12ihipStream_tbEUljE_EEESV_SW_SX_S14_S18_S1A_T6_T7_T9_mT8_S1C_bDpT10_ENKUlT_T0_E_clISt17integral_constantIbLb1EES1O_IbLb0EEEEDaS1K_S1L_EUlS1K_E_NS1_11comp_targetILNS1_3genE3ELNS1_11target_archE908ELNS1_3gpuE7ELNS1_3repE0EEENS1_30default_config_static_selectorELNS0_4arch9wavefront6targetE0EEEvSY_.kd
    .uniform_work_group_size: 1
    .uses_dynamic_stack: false
    .vgpr_count:     0
    .vgpr_spill_count: 0
    .wavefront_size: 32
    .workgroup_processor_mode: 1
  - .args:
      - .offset:         0
        .size:           144
        .value_kind:     by_value
    .group_segment_fixed_size: 0
    .kernarg_segment_align: 8
    .kernarg_segment_size: 144
    .language:       OpenCL C
    .language_version:
      - 2
      - 0
    .max_flat_workgroup_size: 256
    .name:           _ZN7rocprim17ROCPRIM_400000_NS6detail17trampoline_kernelINS0_13select_configILj256ELj13ELNS0_17block_load_methodE3ELS4_3ELS4_3ELNS0_20block_scan_algorithmE0ELj4294967295EEENS1_25partition_config_selectorILNS1_17partition_subalgoE3EjNS0_10empty_typeEbEEZZNS1_14partition_implILS8_3ELb0ES6_jNS0_17counting_iteratorIjlEEPS9_SE_NS0_5tupleIJPjSE_EEENSF_IJSE_SE_EEES9_SG_JZNS1_25segmented_radix_sort_implINS0_14default_configELb1EPKhPhPKlPlN2at6native12_GLOBAL__N_18offset_tEEE10hipError_tPvRmT1_PNSt15iterator_traitsISY_E10value_typeET2_T3_PNSZ_IS14_E10value_typeET4_jRbjT5_S1A_jjP12ihipStream_tbEUljE_EEESV_SW_SX_S14_S18_S1A_T6_T7_T9_mT8_S1C_bDpT10_ENKUlT_T0_E_clISt17integral_constantIbLb1EES1O_IbLb0EEEEDaS1K_S1L_EUlS1K_E_NS1_11comp_targetILNS1_3genE2ELNS1_11target_archE906ELNS1_3gpuE6ELNS1_3repE0EEENS1_30default_config_static_selectorELNS0_4arch9wavefront6targetE0EEEvSY_
    .private_segment_fixed_size: 0
    .sgpr_count:     0
    .sgpr_spill_count: 0
    .symbol:         _ZN7rocprim17ROCPRIM_400000_NS6detail17trampoline_kernelINS0_13select_configILj256ELj13ELNS0_17block_load_methodE3ELS4_3ELS4_3ELNS0_20block_scan_algorithmE0ELj4294967295EEENS1_25partition_config_selectorILNS1_17partition_subalgoE3EjNS0_10empty_typeEbEEZZNS1_14partition_implILS8_3ELb0ES6_jNS0_17counting_iteratorIjlEEPS9_SE_NS0_5tupleIJPjSE_EEENSF_IJSE_SE_EEES9_SG_JZNS1_25segmented_radix_sort_implINS0_14default_configELb1EPKhPhPKlPlN2at6native12_GLOBAL__N_18offset_tEEE10hipError_tPvRmT1_PNSt15iterator_traitsISY_E10value_typeET2_T3_PNSZ_IS14_E10value_typeET4_jRbjT5_S1A_jjP12ihipStream_tbEUljE_EEESV_SW_SX_S14_S18_S1A_T6_T7_T9_mT8_S1C_bDpT10_ENKUlT_T0_E_clISt17integral_constantIbLb1EES1O_IbLb0EEEEDaS1K_S1L_EUlS1K_E_NS1_11comp_targetILNS1_3genE2ELNS1_11target_archE906ELNS1_3gpuE6ELNS1_3repE0EEENS1_30default_config_static_selectorELNS0_4arch9wavefront6targetE0EEEvSY_.kd
    .uniform_work_group_size: 1
    .uses_dynamic_stack: false
    .vgpr_count:     0
    .vgpr_spill_count: 0
    .wavefront_size: 32
    .workgroup_processor_mode: 1
  - .args:
      - .offset:         0
        .size:           144
        .value_kind:     by_value
    .group_segment_fixed_size: 0
    .kernarg_segment_align: 8
    .kernarg_segment_size: 144
    .language:       OpenCL C
    .language_version:
      - 2
      - 0
    .max_flat_workgroup_size: 256
    .name:           _ZN7rocprim17ROCPRIM_400000_NS6detail17trampoline_kernelINS0_13select_configILj256ELj13ELNS0_17block_load_methodE3ELS4_3ELS4_3ELNS0_20block_scan_algorithmE0ELj4294967295EEENS1_25partition_config_selectorILNS1_17partition_subalgoE3EjNS0_10empty_typeEbEEZZNS1_14partition_implILS8_3ELb0ES6_jNS0_17counting_iteratorIjlEEPS9_SE_NS0_5tupleIJPjSE_EEENSF_IJSE_SE_EEES9_SG_JZNS1_25segmented_radix_sort_implINS0_14default_configELb1EPKhPhPKlPlN2at6native12_GLOBAL__N_18offset_tEEE10hipError_tPvRmT1_PNSt15iterator_traitsISY_E10value_typeET2_T3_PNSZ_IS14_E10value_typeET4_jRbjT5_S1A_jjP12ihipStream_tbEUljE_EEESV_SW_SX_S14_S18_S1A_T6_T7_T9_mT8_S1C_bDpT10_ENKUlT_T0_E_clISt17integral_constantIbLb1EES1O_IbLb0EEEEDaS1K_S1L_EUlS1K_E_NS1_11comp_targetILNS1_3genE10ELNS1_11target_archE1200ELNS1_3gpuE4ELNS1_3repE0EEENS1_30default_config_static_selectorELNS0_4arch9wavefront6targetE0EEEvSY_
    .private_segment_fixed_size: 0
    .sgpr_count:     0
    .sgpr_spill_count: 0
    .symbol:         _ZN7rocprim17ROCPRIM_400000_NS6detail17trampoline_kernelINS0_13select_configILj256ELj13ELNS0_17block_load_methodE3ELS4_3ELS4_3ELNS0_20block_scan_algorithmE0ELj4294967295EEENS1_25partition_config_selectorILNS1_17partition_subalgoE3EjNS0_10empty_typeEbEEZZNS1_14partition_implILS8_3ELb0ES6_jNS0_17counting_iteratorIjlEEPS9_SE_NS0_5tupleIJPjSE_EEENSF_IJSE_SE_EEES9_SG_JZNS1_25segmented_radix_sort_implINS0_14default_configELb1EPKhPhPKlPlN2at6native12_GLOBAL__N_18offset_tEEE10hipError_tPvRmT1_PNSt15iterator_traitsISY_E10value_typeET2_T3_PNSZ_IS14_E10value_typeET4_jRbjT5_S1A_jjP12ihipStream_tbEUljE_EEESV_SW_SX_S14_S18_S1A_T6_T7_T9_mT8_S1C_bDpT10_ENKUlT_T0_E_clISt17integral_constantIbLb1EES1O_IbLb0EEEEDaS1K_S1L_EUlS1K_E_NS1_11comp_targetILNS1_3genE10ELNS1_11target_archE1200ELNS1_3gpuE4ELNS1_3repE0EEENS1_30default_config_static_selectorELNS0_4arch9wavefront6targetE0EEEvSY_.kd
    .uniform_work_group_size: 1
    .uses_dynamic_stack: false
    .vgpr_count:     0
    .vgpr_spill_count: 0
    .wavefront_size: 32
    .workgroup_processor_mode: 1
  - .args:
      - .offset:         0
        .size:           144
        .value_kind:     by_value
    .group_segment_fixed_size: 0
    .kernarg_segment_align: 8
    .kernarg_segment_size: 144
    .language:       OpenCL C
    .language_version:
      - 2
      - 0
    .max_flat_workgroup_size: 256
    .name:           _ZN7rocprim17ROCPRIM_400000_NS6detail17trampoline_kernelINS0_13select_configILj256ELj13ELNS0_17block_load_methodE3ELS4_3ELS4_3ELNS0_20block_scan_algorithmE0ELj4294967295EEENS1_25partition_config_selectorILNS1_17partition_subalgoE3EjNS0_10empty_typeEbEEZZNS1_14partition_implILS8_3ELb0ES6_jNS0_17counting_iteratorIjlEEPS9_SE_NS0_5tupleIJPjSE_EEENSF_IJSE_SE_EEES9_SG_JZNS1_25segmented_radix_sort_implINS0_14default_configELb1EPKhPhPKlPlN2at6native12_GLOBAL__N_18offset_tEEE10hipError_tPvRmT1_PNSt15iterator_traitsISY_E10value_typeET2_T3_PNSZ_IS14_E10value_typeET4_jRbjT5_S1A_jjP12ihipStream_tbEUljE_EEESV_SW_SX_S14_S18_S1A_T6_T7_T9_mT8_S1C_bDpT10_ENKUlT_T0_E_clISt17integral_constantIbLb1EES1O_IbLb0EEEEDaS1K_S1L_EUlS1K_E_NS1_11comp_targetILNS1_3genE9ELNS1_11target_archE1100ELNS1_3gpuE3ELNS1_3repE0EEENS1_30default_config_static_selectorELNS0_4arch9wavefront6targetE0EEEvSY_
    .private_segment_fixed_size: 0
    .sgpr_count:     0
    .sgpr_spill_count: 0
    .symbol:         _ZN7rocprim17ROCPRIM_400000_NS6detail17trampoline_kernelINS0_13select_configILj256ELj13ELNS0_17block_load_methodE3ELS4_3ELS4_3ELNS0_20block_scan_algorithmE0ELj4294967295EEENS1_25partition_config_selectorILNS1_17partition_subalgoE3EjNS0_10empty_typeEbEEZZNS1_14partition_implILS8_3ELb0ES6_jNS0_17counting_iteratorIjlEEPS9_SE_NS0_5tupleIJPjSE_EEENSF_IJSE_SE_EEES9_SG_JZNS1_25segmented_radix_sort_implINS0_14default_configELb1EPKhPhPKlPlN2at6native12_GLOBAL__N_18offset_tEEE10hipError_tPvRmT1_PNSt15iterator_traitsISY_E10value_typeET2_T3_PNSZ_IS14_E10value_typeET4_jRbjT5_S1A_jjP12ihipStream_tbEUljE_EEESV_SW_SX_S14_S18_S1A_T6_T7_T9_mT8_S1C_bDpT10_ENKUlT_T0_E_clISt17integral_constantIbLb1EES1O_IbLb0EEEEDaS1K_S1L_EUlS1K_E_NS1_11comp_targetILNS1_3genE9ELNS1_11target_archE1100ELNS1_3gpuE3ELNS1_3repE0EEENS1_30default_config_static_selectorELNS0_4arch9wavefront6targetE0EEEvSY_.kd
    .uniform_work_group_size: 1
    .uses_dynamic_stack: false
    .vgpr_count:     0
    .vgpr_spill_count: 0
    .wavefront_size: 32
    .workgroup_processor_mode: 1
  - .args:
      - .offset:         0
        .size:           144
        .value_kind:     by_value
    .group_segment_fixed_size: 0
    .kernarg_segment_align: 8
    .kernarg_segment_size: 144
    .language:       OpenCL C
    .language_version:
      - 2
      - 0
    .max_flat_workgroup_size: 256
    .name:           _ZN7rocprim17ROCPRIM_400000_NS6detail17trampoline_kernelINS0_13select_configILj256ELj13ELNS0_17block_load_methodE3ELS4_3ELS4_3ELNS0_20block_scan_algorithmE0ELj4294967295EEENS1_25partition_config_selectorILNS1_17partition_subalgoE3EjNS0_10empty_typeEbEEZZNS1_14partition_implILS8_3ELb0ES6_jNS0_17counting_iteratorIjlEEPS9_SE_NS0_5tupleIJPjSE_EEENSF_IJSE_SE_EEES9_SG_JZNS1_25segmented_radix_sort_implINS0_14default_configELb1EPKhPhPKlPlN2at6native12_GLOBAL__N_18offset_tEEE10hipError_tPvRmT1_PNSt15iterator_traitsISY_E10value_typeET2_T3_PNSZ_IS14_E10value_typeET4_jRbjT5_S1A_jjP12ihipStream_tbEUljE_EEESV_SW_SX_S14_S18_S1A_T6_T7_T9_mT8_S1C_bDpT10_ENKUlT_T0_E_clISt17integral_constantIbLb1EES1O_IbLb0EEEEDaS1K_S1L_EUlS1K_E_NS1_11comp_targetILNS1_3genE8ELNS1_11target_archE1030ELNS1_3gpuE2ELNS1_3repE0EEENS1_30default_config_static_selectorELNS0_4arch9wavefront6targetE0EEEvSY_
    .private_segment_fixed_size: 0
    .sgpr_count:     0
    .sgpr_spill_count: 0
    .symbol:         _ZN7rocprim17ROCPRIM_400000_NS6detail17trampoline_kernelINS0_13select_configILj256ELj13ELNS0_17block_load_methodE3ELS4_3ELS4_3ELNS0_20block_scan_algorithmE0ELj4294967295EEENS1_25partition_config_selectorILNS1_17partition_subalgoE3EjNS0_10empty_typeEbEEZZNS1_14partition_implILS8_3ELb0ES6_jNS0_17counting_iteratorIjlEEPS9_SE_NS0_5tupleIJPjSE_EEENSF_IJSE_SE_EEES9_SG_JZNS1_25segmented_radix_sort_implINS0_14default_configELb1EPKhPhPKlPlN2at6native12_GLOBAL__N_18offset_tEEE10hipError_tPvRmT1_PNSt15iterator_traitsISY_E10value_typeET2_T3_PNSZ_IS14_E10value_typeET4_jRbjT5_S1A_jjP12ihipStream_tbEUljE_EEESV_SW_SX_S14_S18_S1A_T6_T7_T9_mT8_S1C_bDpT10_ENKUlT_T0_E_clISt17integral_constantIbLb1EES1O_IbLb0EEEEDaS1K_S1L_EUlS1K_E_NS1_11comp_targetILNS1_3genE8ELNS1_11target_archE1030ELNS1_3gpuE2ELNS1_3repE0EEENS1_30default_config_static_selectorELNS0_4arch9wavefront6targetE0EEEvSY_.kd
    .uniform_work_group_size: 1
    .uses_dynamic_stack: false
    .vgpr_count:     0
    .vgpr_spill_count: 0
    .wavefront_size: 32
    .workgroup_processor_mode: 1
  - .args:
      - .address_space:  global
        .offset:         0
        .size:           8
        .value_kind:     global_buffer
      - .offset:         8
        .size:           4
        .value_kind:     by_value
      - .address_space:  global
        .offset:         16
        .size:           8
        .value_kind:     global_buffer
      - .offset:         24
        .size:           4
        .value_kind:     by_value
      - .address_space:  global
        .offset:         32
        .size:           8
        .value_kind:     global_buffer
      - .offset:         40
        .size:           4
        .value_kind:     hidden_block_count_x
      - .offset:         44
        .size:           4
        .value_kind:     hidden_block_count_y
      - .offset:         48
        .size:           4
        .value_kind:     hidden_block_count_z
      - .offset:         52
        .size:           2
        .value_kind:     hidden_group_size_x
      - .offset:         54
        .size:           2
        .value_kind:     hidden_group_size_y
      - .offset:         56
        .size:           2
        .value_kind:     hidden_group_size_z
      - .offset:         58
        .size:           2
        .value_kind:     hidden_remainder_x
      - .offset:         60
        .size:           2
        .value_kind:     hidden_remainder_y
      - .offset:         62
        .size:           2
        .value_kind:     hidden_remainder_z
      - .offset:         80
        .size:           8
        .value_kind:     hidden_global_offset_x
      - .offset:         88
        .size:           8
        .value_kind:     hidden_global_offset_y
      - .offset:         96
        .size:           8
        .value_kind:     hidden_global_offset_z
      - .offset:         104
        .size:           2
        .value_kind:     hidden_grid_dims
    .group_segment_fixed_size: 0
    .kernarg_segment_align: 8
    .kernarg_segment_size: 296
    .language:       OpenCL C
    .language_version:
      - 2
      - 0
    .max_flat_workgroup_size: 256
    .name:           _ZN7rocprim17ROCPRIM_400000_NS6detail31init_lookback_scan_state_kernelINS1_19lookback_scan_stateIjLb0ELb1EEENS1_16block_id_wrapperIjLb1EEEEEvT_jT0_jPNS7_10value_typeE
    .private_segment_fixed_size: 0
    .sgpr_count:     12
    .sgpr_spill_count: 0
    .symbol:         _ZN7rocprim17ROCPRIM_400000_NS6detail31init_lookback_scan_state_kernelINS1_19lookback_scan_stateIjLb0ELb1EEENS1_16block_id_wrapperIjLb1EEEEEvT_jT0_jPNS7_10value_typeE.kd
    .uniform_work_group_size: 1
    .uses_dynamic_stack: false
    .vgpr_count:     7
    .vgpr_spill_count: 0
    .wavefront_size: 32
    .workgroup_processor_mode: 1
  - .args:
      - .offset:         0
        .size:           152
        .value_kind:     by_value
    .group_segment_fixed_size: 0
    .kernarg_segment_align: 8
    .kernarg_segment_size: 152
    .language:       OpenCL C
    .language_version:
      - 2
      - 0
    .max_flat_workgroup_size: 256
    .name:           _ZN7rocprim17ROCPRIM_400000_NS6detail17trampoline_kernelINS0_13select_configILj256ELj13ELNS0_17block_load_methodE3ELS4_3ELS4_3ELNS0_20block_scan_algorithmE0ELj4294967295EEENS1_25partition_config_selectorILNS1_17partition_subalgoE3EjNS0_10empty_typeEbEEZZNS1_14partition_implILS8_3ELb0ES6_jNS0_17counting_iteratorIjlEEPS9_SE_NS0_5tupleIJPjSE_EEENSF_IJSE_SE_EEES9_SG_JZNS1_25segmented_radix_sort_implINS0_14default_configELb1EPKhPhPKlPlN2at6native12_GLOBAL__N_18offset_tEEE10hipError_tPvRmT1_PNSt15iterator_traitsISY_E10value_typeET2_T3_PNSZ_IS14_E10value_typeET4_jRbjT5_S1A_jjP12ihipStream_tbEUljE_EEESV_SW_SX_S14_S18_S1A_T6_T7_T9_mT8_S1C_bDpT10_ENKUlT_T0_E_clISt17integral_constantIbLb0EES1O_IbLb1EEEEDaS1K_S1L_EUlS1K_E_NS1_11comp_targetILNS1_3genE0ELNS1_11target_archE4294967295ELNS1_3gpuE0ELNS1_3repE0EEENS1_30default_config_static_selectorELNS0_4arch9wavefront6targetE0EEEvSY_
    .private_segment_fixed_size: 0
    .sgpr_count:     0
    .sgpr_spill_count: 0
    .symbol:         _ZN7rocprim17ROCPRIM_400000_NS6detail17trampoline_kernelINS0_13select_configILj256ELj13ELNS0_17block_load_methodE3ELS4_3ELS4_3ELNS0_20block_scan_algorithmE0ELj4294967295EEENS1_25partition_config_selectorILNS1_17partition_subalgoE3EjNS0_10empty_typeEbEEZZNS1_14partition_implILS8_3ELb0ES6_jNS0_17counting_iteratorIjlEEPS9_SE_NS0_5tupleIJPjSE_EEENSF_IJSE_SE_EEES9_SG_JZNS1_25segmented_radix_sort_implINS0_14default_configELb1EPKhPhPKlPlN2at6native12_GLOBAL__N_18offset_tEEE10hipError_tPvRmT1_PNSt15iterator_traitsISY_E10value_typeET2_T3_PNSZ_IS14_E10value_typeET4_jRbjT5_S1A_jjP12ihipStream_tbEUljE_EEESV_SW_SX_S14_S18_S1A_T6_T7_T9_mT8_S1C_bDpT10_ENKUlT_T0_E_clISt17integral_constantIbLb0EES1O_IbLb1EEEEDaS1K_S1L_EUlS1K_E_NS1_11comp_targetILNS1_3genE0ELNS1_11target_archE4294967295ELNS1_3gpuE0ELNS1_3repE0EEENS1_30default_config_static_selectorELNS0_4arch9wavefront6targetE0EEEvSY_.kd
    .uniform_work_group_size: 1
    .uses_dynamic_stack: false
    .vgpr_count:     0
    .vgpr_spill_count: 0
    .wavefront_size: 32
    .workgroup_processor_mode: 1
  - .args:
      - .offset:         0
        .size:           152
        .value_kind:     by_value
    .group_segment_fixed_size: 0
    .kernarg_segment_align: 8
    .kernarg_segment_size: 152
    .language:       OpenCL C
    .language_version:
      - 2
      - 0
    .max_flat_workgroup_size: 256
    .name:           _ZN7rocprim17ROCPRIM_400000_NS6detail17trampoline_kernelINS0_13select_configILj256ELj13ELNS0_17block_load_methodE3ELS4_3ELS4_3ELNS0_20block_scan_algorithmE0ELj4294967295EEENS1_25partition_config_selectorILNS1_17partition_subalgoE3EjNS0_10empty_typeEbEEZZNS1_14partition_implILS8_3ELb0ES6_jNS0_17counting_iteratorIjlEEPS9_SE_NS0_5tupleIJPjSE_EEENSF_IJSE_SE_EEES9_SG_JZNS1_25segmented_radix_sort_implINS0_14default_configELb1EPKhPhPKlPlN2at6native12_GLOBAL__N_18offset_tEEE10hipError_tPvRmT1_PNSt15iterator_traitsISY_E10value_typeET2_T3_PNSZ_IS14_E10value_typeET4_jRbjT5_S1A_jjP12ihipStream_tbEUljE_EEESV_SW_SX_S14_S18_S1A_T6_T7_T9_mT8_S1C_bDpT10_ENKUlT_T0_E_clISt17integral_constantIbLb0EES1O_IbLb1EEEEDaS1K_S1L_EUlS1K_E_NS1_11comp_targetILNS1_3genE5ELNS1_11target_archE942ELNS1_3gpuE9ELNS1_3repE0EEENS1_30default_config_static_selectorELNS0_4arch9wavefront6targetE0EEEvSY_
    .private_segment_fixed_size: 0
    .sgpr_count:     0
    .sgpr_spill_count: 0
    .symbol:         _ZN7rocprim17ROCPRIM_400000_NS6detail17trampoline_kernelINS0_13select_configILj256ELj13ELNS0_17block_load_methodE3ELS4_3ELS4_3ELNS0_20block_scan_algorithmE0ELj4294967295EEENS1_25partition_config_selectorILNS1_17partition_subalgoE3EjNS0_10empty_typeEbEEZZNS1_14partition_implILS8_3ELb0ES6_jNS0_17counting_iteratorIjlEEPS9_SE_NS0_5tupleIJPjSE_EEENSF_IJSE_SE_EEES9_SG_JZNS1_25segmented_radix_sort_implINS0_14default_configELb1EPKhPhPKlPlN2at6native12_GLOBAL__N_18offset_tEEE10hipError_tPvRmT1_PNSt15iterator_traitsISY_E10value_typeET2_T3_PNSZ_IS14_E10value_typeET4_jRbjT5_S1A_jjP12ihipStream_tbEUljE_EEESV_SW_SX_S14_S18_S1A_T6_T7_T9_mT8_S1C_bDpT10_ENKUlT_T0_E_clISt17integral_constantIbLb0EES1O_IbLb1EEEEDaS1K_S1L_EUlS1K_E_NS1_11comp_targetILNS1_3genE5ELNS1_11target_archE942ELNS1_3gpuE9ELNS1_3repE0EEENS1_30default_config_static_selectorELNS0_4arch9wavefront6targetE0EEEvSY_.kd
    .uniform_work_group_size: 1
    .uses_dynamic_stack: false
    .vgpr_count:     0
    .vgpr_spill_count: 0
    .wavefront_size: 32
    .workgroup_processor_mode: 1
  - .args:
      - .offset:         0
        .size:           152
        .value_kind:     by_value
    .group_segment_fixed_size: 0
    .kernarg_segment_align: 8
    .kernarg_segment_size: 152
    .language:       OpenCL C
    .language_version:
      - 2
      - 0
    .max_flat_workgroup_size: 256
    .name:           _ZN7rocprim17ROCPRIM_400000_NS6detail17trampoline_kernelINS0_13select_configILj256ELj13ELNS0_17block_load_methodE3ELS4_3ELS4_3ELNS0_20block_scan_algorithmE0ELj4294967295EEENS1_25partition_config_selectorILNS1_17partition_subalgoE3EjNS0_10empty_typeEbEEZZNS1_14partition_implILS8_3ELb0ES6_jNS0_17counting_iteratorIjlEEPS9_SE_NS0_5tupleIJPjSE_EEENSF_IJSE_SE_EEES9_SG_JZNS1_25segmented_radix_sort_implINS0_14default_configELb1EPKhPhPKlPlN2at6native12_GLOBAL__N_18offset_tEEE10hipError_tPvRmT1_PNSt15iterator_traitsISY_E10value_typeET2_T3_PNSZ_IS14_E10value_typeET4_jRbjT5_S1A_jjP12ihipStream_tbEUljE_EEESV_SW_SX_S14_S18_S1A_T6_T7_T9_mT8_S1C_bDpT10_ENKUlT_T0_E_clISt17integral_constantIbLb0EES1O_IbLb1EEEEDaS1K_S1L_EUlS1K_E_NS1_11comp_targetILNS1_3genE4ELNS1_11target_archE910ELNS1_3gpuE8ELNS1_3repE0EEENS1_30default_config_static_selectorELNS0_4arch9wavefront6targetE0EEEvSY_
    .private_segment_fixed_size: 0
    .sgpr_count:     0
    .sgpr_spill_count: 0
    .symbol:         _ZN7rocprim17ROCPRIM_400000_NS6detail17trampoline_kernelINS0_13select_configILj256ELj13ELNS0_17block_load_methodE3ELS4_3ELS4_3ELNS0_20block_scan_algorithmE0ELj4294967295EEENS1_25partition_config_selectorILNS1_17partition_subalgoE3EjNS0_10empty_typeEbEEZZNS1_14partition_implILS8_3ELb0ES6_jNS0_17counting_iteratorIjlEEPS9_SE_NS0_5tupleIJPjSE_EEENSF_IJSE_SE_EEES9_SG_JZNS1_25segmented_radix_sort_implINS0_14default_configELb1EPKhPhPKlPlN2at6native12_GLOBAL__N_18offset_tEEE10hipError_tPvRmT1_PNSt15iterator_traitsISY_E10value_typeET2_T3_PNSZ_IS14_E10value_typeET4_jRbjT5_S1A_jjP12ihipStream_tbEUljE_EEESV_SW_SX_S14_S18_S1A_T6_T7_T9_mT8_S1C_bDpT10_ENKUlT_T0_E_clISt17integral_constantIbLb0EES1O_IbLb1EEEEDaS1K_S1L_EUlS1K_E_NS1_11comp_targetILNS1_3genE4ELNS1_11target_archE910ELNS1_3gpuE8ELNS1_3repE0EEENS1_30default_config_static_selectorELNS0_4arch9wavefront6targetE0EEEvSY_.kd
    .uniform_work_group_size: 1
    .uses_dynamic_stack: false
    .vgpr_count:     0
    .vgpr_spill_count: 0
    .wavefront_size: 32
    .workgroup_processor_mode: 1
  - .args:
      - .offset:         0
        .size:           152
        .value_kind:     by_value
    .group_segment_fixed_size: 0
    .kernarg_segment_align: 8
    .kernarg_segment_size: 152
    .language:       OpenCL C
    .language_version:
      - 2
      - 0
    .max_flat_workgroup_size: 256
    .name:           _ZN7rocprim17ROCPRIM_400000_NS6detail17trampoline_kernelINS0_13select_configILj256ELj13ELNS0_17block_load_methodE3ELS4_3ELS4_3ELNS0_20block_scan_algorithmE0ELj4294967295EEENS1_25partition_config_selectorILNS1_17partition_subalgoE3EjNS0_10empty_typeEbEEZZNS1_14partition_implILS8_3ELb0ES6_jNS0_17counting_iteratorIjlEEPS9_SE_NS0_5tupleIJPjSE_EEENSF_IJSE_SE_EEES9_SG_JZNS1_25segmented_radix_sort_implINS0_14default_configELb1EPKhPhPKlPlN2at6native12_GLOBAL__N_18offset_tEEE10hipError_tPvRmT1_PNSt15iterator_traitsISY_E10value_typeET2_T3_PNSZ_IS14_E10value_typeET4_jRbjT5_S1A_jjP12ihipStream_tbEUljE_EEESV_SW_SX_S14_S18_S1A_T6_T7_T9_mT8_S1C_bDpT10_ENKUlT_T0_E_clISt17integral_constantIbLb0EES1O_IbLb1EEEEDaS1K_S1L_EUlS1K_E_NS1_11comp_targetILNS1_3genE3ELNS1_11target_archE908ELNS1_3gpuE7ELNS1_3repE0EEENS1_30default_config_static_selectorELNS0_4arch9wavefront6targetE0EEEvSY_
    .private_segment_fixed_size: 0
    .sgpr_count:     0
    .sgpr_spill_count: 0
    .symbol:         _ZN7rocprim17ROCPRIM_400000_NS6detail17trampoline_kernelINS0_13select_configILj256ELj13ELNS0_17block_load_methodE3ELS4_3ELS4_3ELNS0_20block_scan_algorithmE0ELj4294967295EEENS1_25partition_config_selectorILNS1_17partition_subalgoE3EjNS0_10empty_typeEbEEZZNS1_14partition_implILS8_3ELb0ES6_jNS0_17counting_iteratorIjlEEPS9_SE_NS0_5tupleIJPjSE_EEENSF_IJSE_SE_EEES9_SG_JZNS1_25segmented_radix_sort_implINS0_14default_configELb1EPKhPhPKlPlN2at6native12_GLOBAL__N_18offset_tEEE10hipError_tPvRmT1_PNSt15iterator_traitsISY_E10value_typeET2_T3_PNSZ_IS14_E10value_typeET4_jRbjT5_S1A_jjP12ihipStream_tbEUljE_EEESV_SW_SX_S14_S18_S1A_T6_T7_T9_mT8_S1C_bDpT10_ENKUlT_T0_E_clISt17integral_constantIbLb0EES1O_IbLb1EEEEDaS1K_S1L_EUlS1K_E_NS1_11comp_targetILNS1_3genE3ELNS1_11target_archE908ELNS1_3gpuE7ELNS1_3repE0EEENS1_30default_config_static_selectorELNS0_4arch9wavefront6targetE0EEEvSY_.kd
    .uniform_work_group_size: 1
    .uses_dynamic_stack: false
    .vgpr_count:     0
    .vgpr_spill_count: 0
    .wavefront_size: 32
    .workgroup_processor_mode: 1
  - .args:
      - .offset:         0
        .size:           152
        .value_kind:     by_value
    .group_segment_fixed_size: 0
    .kernarg_segment_align: 8
    .kernarg_segment_size: 152
    .language:       OpenCL C
    .language_version:
      - 2
      - 0
    .max_flat_workgroup_size: 256
    .name:           _ZN7rocprim17ROCPRIM_400000_NS6detail17trampoline_kernelINS0_13select_configILj256ELj13ELNS0_17block_load_methodE3ELS4_3ELS4_3ELNS0_20block_scan_algorithmE0ELj4294967295EEENS1_25partition_config_selectorILNS1_17partition_subalgoE3EjNS0_10empty_typeEbEEZZNS1_14partition_implILS8_3ELb0ES6_jNS0_17counting_iteratorIjlEEPS9_SE_NS0_5tupleIJPjSE_EEENSF_IJSE_SE_EEES9_SG_JZNS1_25segmented_radix_sort_implINS0_14default_configELb1EPKhPhPKlPlN2at6native12_GLOBAL__N_18offset_tEEE10hipError_tPvRmT1_PNSt15iterator_traitsISY_E10value_typeET2_T3_PNSZ_IS14_E10value_typeET4_jRbjT5_S1A_jjP12ihipStream_tbEUljE_EEESV_SW_SX_S14_S18_S1A_T6_T7_T9_mT8_S1C_bDpT10_ENKUlT_T0_E_clISt17integral_constantIbLb0EES1O_IbLb1EEEEDaS1K_S1L_EUlS1K_E_NS1_11comp_targetILNS1_3genE2ELNS1_11target_archE906ELNS1_3gpuE6ELNS1_3repE0EEENS1_30default_config_static_selectorELNS0_4arch9wavefront6targetE0EEEvSY_
    .private_segment_fixed_size: 0
    .sgpr_count:     0
    .sgpr_spill_count: 0
    .symbol:         _ZN7rocprim17ROCPRIM_400000_NS6detail17trampoline_kernelINS0_13select_configILj256ELj13ELNS0_17block_load_methodE3ELS4_3ELS4_3ELNS0_20block_scan_algorithmE0ELj4294967295EEENS1_25partition_config_selectorILNS1_17partition_subalgoE3EjNS0_10empty_typeEbEEZZNS1_14partition_implILS8_3ELb0ES6_jNS0_17counting_iteratorIjlEEPS9_SE_NS0_5tupleIJPjSE_EEENSF_IJSE_SE_EEES9_SG_JZNS1_25segmented_radix_sort_implINS0_14default_configELb1EPKhPhPKlPlN2at6native12_GLOBAL__N_18offset_tEEE10hipError_tPvRmT1_PNSt15iterator_traitsISY_E10value_typeET2_T3_PNSZ_IS14_E10value_typeET4_jRbjT5_S1A_jjP12ihipStream_tbEUljE_EEESV_SW_SX_S14_S18_S1A_T6_T7_T9_mT8_S1C_bDpT10_ENKUlT_T0_E_clISt17integral_constantIbLb0EES1O_IbLb1EEEEDaS1K_S1L_EUlS1K_E_NS1_11comp_targetILNS1_3genE2ELNS1_11target_archE906ELNS1_3gpuE6ELNS1_3repE0EEENS1_30default_config_static_selectorELNS0_4arch9wavefront6targetE0EEEvSY_.kd
    .uniform_work_group_size: 1
    .uses_dynamic_stack: false
    .vgpr_count:     0
    .vgpr_spill_count: 0
    .wavefront_size: 32
    .workgroup_processor_mode: 1
  - .args:
      - .offset:         0
        .size:           152
        .value_kind:     by_value
    .group_segment_fixed_size: 13320
    .kernarg_segment_align: 8
    .kernarg_segment_size: 152
    .language:       OpenCL C
    .language_version:
      - 2
      - 0
    .max_flat_workgroup_size: 256
    .name:           _ZN7rocprim17ROCPRIM_400000_NS6detail17trampoline_kernelINS0_13select_configILj256ELj13ELNS0_17block_load_methodE3ELS4_3ELS4_3ELNS0_20block_scan_algorithmE0ELj4294967295EEENS1_25partition_config_selectorILNS1_17partition_subalgoE3EjNS0_10empty_typeEbEEZZNS1_14partition_implILS8_3ELb0ES6_jNS0_17counting_iteratorIjlEEPS9_SE_NS0_5tupleIJPjSE_EEENSF_IJSE_SE_EEES9_SG_JZNS1_25segmented_radix_sort_implINS0_14default_configELb1EPKhPhPKlPlN2at6native12_GLOBAL__N_18offset_tEEE10hipError_tPvRmT1_PNSt15iterator_traitsISY_E10value_typeET2_T3_PNSZ_IS14_E10value_typeET4_jRbjT5_S1A_jjP12ihipStream_tbEUljE_EEESV_SW_SX_S14_S18_S1A_T6_T7_T9_mT8_S1C_bDpT10_ENKUlT_T0_E_clISt17integral_constantIbLb0EES1O_IbLb1EEEEDaS1K_S1L_EUlS1K_E_NS1_11comp_targetILNS1_3genE10ELNS1_11target_archE1200ELNS1_3gpuE4ELNS1_3repE0EEENS1_30default_config_static_selectorELNS0_4arch9wavefront6targetE0EEEvSY_
    .private_segment_fixed_size: 0
    .sgpr_count:     28
    .sgpr_spill_count: 0
    .symbol:         _ZN7rocprim17ROCPRIM_400000_NS6detail17trampoline_kernelINS0_13select_configILj256ELj13ELNS0_17block_load_methodE3ELS4_3ELS4_3ELNS0_20block_scan_algorithmE0ELj4294967295EEENS1_25partition_config_selectorILNS1_17partition_subalgoE3EjNS0_10empty_typeEbEEZZNS1_14partition_implILS8_3ELb0ES6_jNS0_17counting_iteratorIjlEEPS9_SE_NS0_5tupleIJPjSE_EEENSF_IJSE_SE_EEES9_SG_JZNS1_25segmented_radix_sort_implINS0_14default_configELb1EPKhPhPKlPlN2at6native12_GLOBAL__N_18offset_tEEE10hipError_tPvRmT1_PNSt15iterator_traitsISY_E10value_typeET2_T3_PNSZ_IS14_E10value_typeET4_jRbjT5_S1A_jjP12ihipStream_tbEUljE_EEESV_SW_SX_S14_S18_S1A_T6_T7_T9_mT8_S1C_bDpT10_ENKUlT_T0_E_clISt17integral_constantIbLb0EES1O_IbLb1EEEEDaS1K_S1L_EUlS1K_E_NS1_11comp_targetILNS1_3genE10ELNS1_11target_archE1200ELNS1_3gpuE4ELNS1_3repE0EEENS1_30default_config_static_selectorELNS0_4arch9wavefront6targetE0EEEvSY_.kd
    .uniform_work_group_size: 1
    .uses_dynamic_stack: false
    .vgpr_count:     71
    .vgpr_spill_count: 0
    .wavefront_size: 32
    .workgroup_processor_mode: 1
  - .args:
      - .offset:         0
        .size:           152
        .value_kind:     by_value
    .group_segment_fixed_size: 0
    .kernarg_segment_align: 8
    .kernarg_segment_size: 152
    .language:       OpenCL C
    .language_version:
      - 2
      - 0
    .max_flat_workgroup_size: 256
    .name:           _ZN7rocprim17ROCPRIM_400000_NS6detail17trampoline_kernelINS0_13select_configILj256ELj13ELNS0_17block_load_methodE3ELS4_3ELS4_3ELNS0_20block_scan_algorithmE0ELj4294967295EEENS1_25partition_config_selectorILNS1_17partition_subalgoE3EjNS0_10empty_typeEbEEZZNS1_14partition_implILS8_3ELb0ES6_jNS0_17counting_iteratorIjlEEPS9_SE_NS0_5tupleIJPjSE_EEENSF_IJSE_SE_EEES9_SG_JZNS1_25segmented_radix_sort_implINS0_14default_configELb1EPKhPhPKlPlN2at6native12_GLOBAL__N_18offset_tEEE10hipError_tPvRmT1_PNSt15iterator_traitsISY_E10value_typeET2_T3_PNSZ_IS14_E10value_typeET4_jRbjT5_S1A_jjP12ihipStream_tbEUljE_EEESV_SW_SX_S14_S18_S1A_T6_T7_T9_mT8_S1C_bDpT10_ENKUlT_T0_E_clISt17integral_constantIbLb0EES1O_IbLb1EEEEDaS1K_S1L_EUlS1K_E_NS1_11comp_targetILNS1_3genE9ELNS1_11target_archE1100ELNS1_3gpuE3ELNS1_3repE0EEENS1_30default_config_static_selectorELNS0_4arch9wavefront6targetE0EEEvSY_
    .private_segment_fixed_size: 0
    .sgpr_count:     0
    .sgpr_spill_count: 0
    .symbol:         _ZN7rocprim17ROCPRIM_400000_NS6detail17trampoline_kernelINS0_13select_configILj256ELj13ELNS0_17block_load_methodE3ELS4_3ELS4_3ELNS0_20block_scan_algorithmE0ELj4294967295EEENS1_25partition_config_selectorILNS1_17partition_subalgoE3EjNS0_10empty_typeEbEEZZNS1_14partition_implILS8_3ELb0ES6_jNS0_17counting_iteratorIjlEEPS9_SE_NS0_5tupleIJPjSE_EEENSF_IJSE_SE_EEES9_SG_JZNS1_25segmented_radix_sort_implINS0_14default_configELb1EPKhPhPKlPlN2at6native12_GLOBAL__N_18offset_tEEE10hipError_tPvRmT1_PNSt15iterator_traitsISY_E10value_typeET2_T3_PNSZ_IS14_E10value_typeET4_jRbjT5_S1A_jjP12ihipStream_tbEUljE_EEESV_SW_SX_S14_S18_S1A_T6_T7_T9_mT8_S1C_bDpT10_ENKUlT_T0_E_clISt17integral_constantIbLb0EES1O_IbLb1EEEEDaS1K_S1L_EUlS1K_E_NS1_11comp_targetILNS1_3genE9ELNS1_11target_archE1100ELNS1_3gpuE3ELNS1_3repE0EEENS1_30default_config_static_selectorELNS0_4arch9wavefront6targetE0EEEvSY_.kd
    .uniform_work_group_size: 1
    .uses_dynamic_stack: false
    .vgpr_count:     0
    .vgpr_spill_count: 0
    .wavefront_size: 32
    .workgroup_processor_mode: 1
  - .args:
      - .offset:         0
        .size:           152
        .value_kind:     by_value
    .group_segment_fixed_size: 0
    .kernarg_segment_align: 8
    .kernarg_segment_size: 152
    .language:       OpenCL C
    .language_version:
      - 2
      - 0
    .max_flat_workgroup_size: 256
    .name:           _ZN7rocprim17ROCPRIM_400000_NS6detail17trampoline_kernelINS0_13select_configILj256ELj13ELNS0_17block_load_methodE3ELS4_3ELS4_3ELNS0_20block_scan_algorithmE0ELj4294967295EEENS1_25partition_config_selectorILNS1_17partition_subalgoE3EjNS0_10empty_typeEbEEZZNS1_14partition_implILS8_3ELb0ES6_jNS0_17counting_iteratorIjlEEPS9_SE_NS0_5tupleIJPjSE_EEENSF_IJSE_SE_EEES9_SG_JZNS1_25segmented_radix_sort_implINS0_14default_configELb1EPKhPhPKlPlN2at6native12_GLOBAL__N_18offset_tEEE10hipError_tPvRmT1_PNSt15iterator_traitsISY_E10value_typeET2_T3_PNSZ_IS14_E10value_typeET4_jRbjT5_S1A_jjP12ihipStream_tbEUljE_EEESV_SW_SX_S14_S18_S1A_T6_T7_T9_mT8_S1C_bDpT10_ENKUlT_T0_E_clISt17integral_constantIbLb0EES1O_IbLb1EEEEDaS1K_S1L_EUlS1K_E_NS1_11comp_targetILNS1_3genE8ELNS1_11target_archE1030ELNS1_3gpuE2ELNS1_3repE0EEENS1_30default_config_static_selectorELNS0_4arch9wavefront6targetE0EEEvSY_
    .private_segment_fixed_size: 0
    .sgpr_count:     0
    .sgpr_spill_count: 0
    .symbol:         _ZN7rocprim17ROCPRIM_400000_NS6detail17trampoline_kernelINS0_13select_configILj256ELj13ELNS0_17block_load_methodE3ELS4_3ELS4_3ELNS0_20block_scan_algorithmE0ELj4294967295EEENS1_25partition_config_selectorILNS1_17partition_subalgoE3EjNS0_10empty_typeEbEEZZNS1_14partition_implILS8_3ELb0ES6_jNS0_17counting_iteratorIjlEEPS9_SE_NS0_5tupleIJPjSE_EEENSF_IJSE_SE_EEES9_SG_JZNS1_25segmented_radix_sort_implINS0_14default_configELb1EPKhPhPKlPlN2at6native12_GLOBAL__N_18offset_tEEE10hipError_tPvRmT1_PNSt15iterator_traitsISY_E10value_typeET2_T3_PNSZ_IS14_E10value_typeET4_jRbjT5_S1A_jjP12ihipStream_tbEUljE_EEESV_SW_SX_S14_S18_S1A_T6_T7_T9_mT8_S1C_bDpT10_ENKUlT_T0_E_clISt17integral_constantIbLb0EES1O_IbLb1EEEEDaS1K_S1L_EUlS1K_E_NS1_11comp_targetILNS1_3genE8ELNS1_11target_archE1030ELNS1_3gpuE2ELNS1_3repE0EEENS1_30default_config_static_selectorELNS0_4arch9wavefront6targetE0EEEvSY_.kd
    .uniform_work_group_size: 1
    .uses_dynamic_stack: false
    .vgpr_count:     0
    .vgpr_spill_count: 0
    .wavefront_size: 32
    .workgroup_processor_mode: 1
  - .args:
      - .offset:         0
        .size:           96
        .value_kind:     by_value
    .group_segment_fixed_size: 0
    .kernarg_segment_align: 8
    .kernarg_segment_size: 96
    .language:       OpenCL C
    .language_version:
      - 2
      - 0
    .max_flat_workgroup_size: 256
    .name:           _ZN7rocprim17ROCPRIM_400000_NS6detail17trampoline_kernelINS0_14default_configENS1_36segmented_radix_sort_config_selectorIhlEEZNS1_25segmented_radix_sort_implIS3_Lb1EPKhPhPKlPlN2at6native12_GLOBAL__N_18offset_tEEE10hipError_tPvRmT1_PNSt15iterator_traitsISK_E10value_typeET2_T3_PNSL_ISQ_E10value_typeET4_jRbjT5_SW_jjP12ihipStream_tbEUlT_E_NS1_11comp_targetILNS1_3genE0ELNS1_11target_archE4294967295ELNS1_3gpuE0ELNS1_3repE0EEENS1_30default_config_static_selectorELNS0_4arch9wavefront6targetE0EEEvSK_
    .private_segment_fixed_size: 0
    .sgpr_count:     0
    .sgpr_spill_count: 0
    .symbol:         _ZN7rocprim17ROCPRIM_400000_NS6detail17trampoline_kernelINS0_14default_configENS1_36segmented_radix_sort_config_selectorIhlEEZNS1_25segmented_radix_sort_implIS3_Lb1EPKhPhPKlPlN2at6native12_GLOBAL__N_18offset_tEEE10hipError_tPvRmT1_PNSt15iterator_traitsISK_E10value_typeET2_T3_PNSL_ISQ_E10value_typeET4_jRbjT5_SW_jjP12ihipStream_tbEUlT_E_NS1_11comp_targetILNS1_3genE0ELNS1_11target_archE4294967295ELNS1_3gpuE0ELNS1_3repE0EEENS1_30default_config_static_selectorELNS0_4arch9wavefront6targetE0EEEvSK_.kd
    .uniform_work_group_size: 1
    .uses_dynamic_stack: false
    .vgpr_count:     0
    .vgpr_spill_count: 0
    .wavefront_size: 32
    .workgroup_processor_mode: 1
  - .args:
      - .offset:         0
        .size:           96
        .value_kind:     by_value
    .group_segment_fixed_size: 0
    .kernarg_segment_align: 8
    .kernarg_segment_size: 96
    .language:       OpenCL C
    .language_version:
      - 2
      - 0
    .max_flat_workgroup_size: 256
    .name:           _ZN7rocprim17ROCPRIM_400000_NS6detail17trampoline_kernelINS0_14default_configENS1_36segmented_radix_sort_config_selectorIhlEEZNS1_25segmented_radix_sort_implIS3_Lb1EPKhPhPKlPlN2at6native12_GLOBAL__N_18offset_tEEE10hipError_tPvRmT1_PNSt15iterator_traitsISK_E10value_typeET2_T3_PNSL_ISQ_E10value_typeET4_jRbjT5_SW_jjP12ihipStream_tbEUlT_E_NS1_11comp_targetILNS1_3genE5ELNS1_11target_archE942ELNS1_3gpuE9ELNS1_3repE0EEENS1_30default_config_static_selectorELNS0_4arch9wavefront6targetE0EEEvSK_
    .private_segment_fixed_size: 0
    .sgpr_count:     0
    .sgpr_spill_count: 0
    .symbol:         _ZN7rocprim17ROCPRIM_400000_NS6detail17trampoline_kernelINS0_14default_configENS1_36segmented_radix_sort_config_selectorIhlEEZNS1_25segmented_radix_sort_implIS3_Lb1EPKhPhPKlPlN2at6native12_GLOBAL__N_18offset_tEEE10hipError_tPvRmT1_PNSt15iterator_traitsISK_E10value_typeET2_T3_PNSL_ISQ_E10value_typeET4_jRbjT5_SW_jjP12ihipStream_tbEUlT_E_NS1_11comp_targetILNS1_3genE5ELNS1_11target_archE942ELNS1_3gpuE9ELNS1_3repE0EEENS1_30default_config_static_selectorELNS0_4arch9wavefront6targetE0EEEvSK_.kd
    .uniform_work_group_size: 1
    .uses_dynamic_stack: false
    .vgpr_count:     0
    .vgpr_spill_count: 0
    .wavefront_size: 32
    .workgroup_processor_mode: 1
  - .args:
      - .offset:         0
        .size:           96
        .value_kind:     by_value
    .group_segment_fixed_size: 0
    .kernarg_segment_align: 8
    .kernarg_segment_size: 96
    .language:       OpenCL C
    .language_version:
      - 2
      - 0
    .max_flat_workgroup_size: 256
    .name:           _ZN7rocprim17ROCPRIM_400000_NS6detail17trampoline_kernelINS0_14default_configENS1_36segmented_radix_sort_config_selectorIhlEEZNS1_25segmented_radix_sort_implIS3_Lb1EPKhPhPKlPlN2at6native12_GLOBAL__N_18offset_tEEE10hipError_tPvRmT1_PNSt15iterator_traitsISK_E10value_typeET2_T3_PNSL_ISQ_E10value_typeET4_jRbjT5_SW_jjP12ihipStream_tbEUlT_E_NS1_11comp_targetILNS1_3genE4ELNS1_11target_archE910ELNS1_3gpuE8ELNS1_3repE0EEENS1_30default_config_static_selectorELNS0_4arch9wavefront6targetE0EEEvSK_
    .private_segment_fixed_size: 0
    .sgpr_count:     0
    .sgpr_spill_count: 0
    .symbol:         _ZN7rocprim17ROCPRIM_400000_NS6detail17trampoline_kernelINS0_14default_configENS1_36segmented_radix_sort_config_selectorIhlEEZNS1_25segmented_radix_sort_implIS3_Lb1EPKhPhPKlPlN2at6native12_GLOBAL__N_18offset_tEEE10hipError_tPvRmT1_PNSt15iterator_traitsISK_E10value_typeET2_T3_PNSL_ISQ_E10value_typeET4_jRbjT5_SW_jjP12ihipStream_tbEUlT_E_NS1_11comp_targetILNS1_3genE4ELNS1_11target_archE910ELNS1_3gpuE8ELNS1_3repE0EEENS1_30default_config_static_selectorELNS0_4arch9wavefront6targetE0EEEvSK_.kd
    .uniform_work_group_size: 1
    .uses_dynamic_stack: false
    .vgpr_count:     0
    .vgpr_spill_count: 0
    .wavefront_size: 32
    .workgroup_processor_mode: 1
  - .args:
      - .offset:         0
        .size:           96
        .value_kind:     by_value
    .group_segment_fixed_size: 0
    .kernarg_segment_align: 8
    .kernarg_segment_size: 96
    .language:       OpenCL C
    .language_version:
      - 2
      - 0
    .max_flat_workgroup_size: 256
    .name:           _ZN7rocprim17ROCPRIM_400000_NS6detail17trampoline_kernelINS0_14default_configENS1_36segmented_radix_sort_config_selectorIhlEEZNS1_25segmented_radix_sort_implIS3_Lb1EPKhPhPKlPlN2at6native12_GLOBAL__N_18offset_tEEE10hipError_tPvRmT1_PNSt15iterator_traitsISK_E10value_typeET2_T3_PNSL_ISQ_E10value_typeET4_jRbjT5_SW_jjP12ihipStream_tbEUlT_E_NS1_11comp_targetILNS1_3genE3ELNS1_11target_archE908ELNS1_3gpuE7ELNS1_3repE0EEENS1_30default_config_static_selectorELNS0_4arch9wavefront6targetE0EEEvSK_
    .private_segment_fixed_size: 0
    .sgpr_count:     0
    .sgpr_spill_count: 0
    .symbol:         _ZN7rocprim17ROCPRIM_400000_NS6detail17trampoline_kernelINS0_14default_configENS1_36segmented_radix_sort_config_selectorIhlEEZNS1_25segmented_radix_sort_implIS3_Lb1EPKhPhPKlPlN2at6native12_GLOBAL__N_18offset_tEEE10hipError_tPvRmT1_PNSt15iterator_traitsISK_E10value_typeET2_T3_PNSL_ISQ_E10value_typeET4_jRbjT5_SW_jjP12ihipStream_tbEUlT_E_NS1_11comp_targetILNS1_3genE3ELNS1_11target_archE908ELNS1_3gpuE7ELNS1_3repE0EEENS1_30default_config_static_selectorELNS0_4arch9wavefront6targetE0EEEvSK_.kd
    .uniform_work_group_size: 1
    .uses_dynamic_stack: false
    .vgpr_count:     0
    .vgpr_spill_count: 0
    .wavefront_size: 32
    .workgroup_processor_mode: 1
  - .args:
      - .offset:         0
        .size:           96
        .value_kind:     by_value
    .group_segment_fixed_size: 0
    .kernarg_segment_align: 8
    .kernarg_segment_size: 96
    .language:       OpenCL C
    .language_version:
      - 2
      - 0
    .max_flat_workgroup_size: 256
    .name:           _ZN7rocprim17ROCPRIM_400000_NS6detail17trampoline_kernelINS0_14default_configENS1_36segmented_radix_sort_config_selectorIhlEEZNS1_25segmented_radix_sort_implIS3_Lb1EPKhPhPKlPlN2at6native12_GLOBAL__N_18offset_tEEE10hipError_tPvRmT1_PNSt15iterator_traitsISK_E10value_typeET2_T3_PNSL_ISQ_E10value_typeET4_jRbjT5_SW_jjP12ihipStream_tbEUlT_E_NS1_11comp_targetILNS1_3genE2ELNS1_11target_archE906ELNS1_3gpuE6ELNS1_3repE0EEENS1_30default_config_static_selectorELNS0_4arch9wavefront6targetE0EEEvSK_
    .private_segment_fixed_size: 0
    .sgpr_count:     0
    .sgpr_spill_count: 0
    .symbol:         _ZN7rocprim17ROCPRIM_400000_NS6detail17trampoline_kernelINS0_14default_configENS1_36segmented_radix_sort_config_selectorIhlEEZNS1_25segmented_radix_sort_implIS3_Lb1EPKhPhPKlPlN2at6native12_GLOBAL__N_18offset_tEEE10hipError_tPvRmT1_PNSt15iterator_traitsISK_E10value_typeET2_T3_PNSL_ISQ_E10value_typeET4_jRbjT5_SW_jjP12ihipStream_tbEUlT_E_NS1_11comp_targetILNS1_3genE2ELNS1_11target_archE906ELNS1_3gpuE6ELNS1_3repE0EEENS1_30default_config_static_selectorELNS0_4arch9wavefront6targetE0EEEvSK_.kd
    .uniform_work_group_size: 1
    .uses_dynamic_stack: false
    .vgpr_count:     0
    .vgpr_spill_count: 0
    .wavefront_size: 32
    .workgroup_processor_mode: 1
  - .args:
      - .offset:         0
        .size:           96
        .value_kind:     by_value
      - .offset:         96
        .size:           4
        .value_kind:     hidden_block_count_x
      - .offset:         100
        .size:           4
        .value_kind:     hidden_block_count_y
      - .offset:         104
        .size:           4
        .value_kind:     hidden_block_count_z
      - .offset:         108
        .size:           2
        .value_kind:     hidden_group_size_x
      - .offset:         110
        .size:           2
        .value_kind:     hidden_group_size_y
      - .offset:         112
        .size:           2
        .value_kind:     hidden_group_size_z
      - .offset:         114
        .size:           2
        .value_kind:     hidden_remainder_x
      - .offset:         116
        .size:           2
        .value_kind:     hidden_remainder_y
      - .offset:         118
        .size:           2
        .value_kind:     hidden_remainder_z
      - .offset:         136
        .size:           8
        .value_kind:     hidden_global_offset_x
      - .offset:         144
        .size:           8
        .value_kind:     hidden_global_offset_y
      - .offset:         152
        .size:           8
        .value_kind:     hidden_global_offset_z
      - .offset:         160
        .size:           2
        .value_kind:     hidden_grid_dims
    .group_segment_fixed_size: 17440
    .kernarg_segment_align: 8
    .kernarg_segment_size: 352
    .language:       OpenCL C
    .language_version:
      - 2
      - 0
    .max_flat_workgroup_size: 256
    .name:           _ZN7rocprim17ROCPRIM_400000_NS6detail17trampoline_kernelINS0_14default_configENS1_36segmented_radix_sort_config_selectorIhlEEZNS1_25segmented_radix_sort_implIS3_Lb1EPKhPhPKlPlN2at6native12_GLOBAL__N_18offset_tEEE10hipError_tPvRmT1_PNSt15iterator_traitsISK_E10value_typeET2_T3_PNSL_ISQ_E10value_typeET4_jRbjT5_SW_jjP12ihipStream_tbEUlT_E_NS1_11comp_targetILNS1_3genE10ELNS1_11target_archE1201ELNS1_3gpuE5ELNS1_3repE0EEENS1_30default_config_static_selectorELNS0_4arch9wavefront6targetE0EEEvSK_
    .private_segment_fixed_size: 0
    .sgpr_count:     52
    .sgpr_spill_count: 0
    .symbol:         _ZN7rocprim17ROCPRIM_400000_NS6detail17trampoline_kernelINS0_14default_configENS1_36segmented_radix_sort_config_selectorIhlEEZNS1_25segmented_radix_sort_implIS3_Lb1EPKhPhPKlPlN2at6native12_GLOBAL__N_18offset_tEEE10hipError_tPvRmT1_PNSt15iterator_traitsISK_E10value_typeET2_T3_PNSL_ISQ_E10value_typeET4_jRbjT5_SW_jjP12ihipStream_tbEUlT_E_NS1_11comp_targetILNS1_3genE10ELNS1_11target_archE1201ELNS1_3gpuE5ELNS1_3repE0EEENS1_30default_config_static_selectorELNS0_4arch9wavefront6targetE0EEEvSK_.kd
    .uniform_work_group_size: 1
    .uses_dynamic_stack: false
    .vgpr_count:     197
    .vgpr_spill_count: 0
    .wavefront_size: 32
    .workgroup_processor_mode: 1
  - .args:
      - .offset:         0
        .size:           96
        .value_kind:     by_value
    .group_segment_fixed_size: 0
    .kernarg_segment_align: 8
    .kernarg_segment_size: 96
    .language:       OpenCL C
    .language_version:
      - 2
      - 0
    .max_flat_workgroup_size: 128
    .name:           _ZN7rocprim17ROCPRIM_400000_NS6detail17trampoline_kernelINS0_14default_configENS1_36segmented_radix_sort_config_selectorIhlEEZNS1_25segmented_radix_sort_implIS3_Lb1EPKhPhPKlPlN2at6native12_GLOBAL__N_18offset_tEEE10hipError_tPvRmT1_PNSt15iterator_traitsISK_E10value_typeET2_T3_PNSL_ISQ_E10value_typeET4_jRbjT5_SW_jjP12ihipStream_tbEUlT_E_NS1_11comp_targetILNS1_3genE10ELNS1_11target_archE1200ELNS1_3gpuE4ELNS1_3repE0EEENS1_30default_config_static_selectorELNS0_4arch9wavefront6targetE0EEEvSK_
    .private_segment_fixed_size: 0
    .sgpr_count:     0
    .sgpr_spill_count: 0
    .symbol:         _ZN7rocprim17ROCPRIM_400000_NS6detail17trampoline_kernelINS0_14default_configENS1_36segmented_radix_sort_config_selectorIhlEEZNS1_25segmented_radix_sort_implIS3_Lb1EPKhPhPKlPlN2at6native12_GLOBAL__N_18offset_tEEE10hipError_tPvRmT1_PNSt15iterator_traitsISK_E10value_typeET2_T3_PNSL_ISQ_E10value_typeET4_jRbjT5_SW_jjP12ihipStream_tbEUlT_E_NS1_11comp_targetILNS1_3genE10ELNS1_11target_archE1200ELNS1_3gpuE4ELNS1_3repE0EEENS1_30default_config_static_selectorELNS0_4arch9wavefront6targetE0EEEvSK_.kd
    .uniform_work_group_size: 1
    .uses_dynamic_stack: false
    .vgpr_count:     0
    .vgpr_spill_count: 0
    .wavefront_size: 32
    .workgroup_processor_mode: 1
  - .args:
      - .offset:         0
        .size:           96
        .value_kind:     by_value
    .group_segment_fixed_size: 0
    .kernarg_segment_align: 8
    .kernarg_segment_size: 96
    .language:       OpenCL C
    .language_version:
      - 2
      - 0
    .max_flat_workgroup_size: 256
    .name:           _ZN7rocprim17ROCPRIM_400000_NS6detail17trampoline_kernelINS0_14default_configENS1_36segmented_radix_sort_config_selectorIhlEEZNS1_25segmented_radix_sort_implIS3_Lb1EPKhPhPKlPlN2at6native12_GLOBAL__N_18offset_tEEE10hipError_tPvRmT1_PNSt15iterator_traitsISK_E10value_typeET2_T3_PNSL_ISQ_E10value_typeET4_jRbjT5_SW_jjP12ihipStream_tbEUlT_E_NS1_11comp_targetILNS1_3genE9ELNS1_11target_archE1100ELNS1_3gpuE3ELNS1_3repE0EEENS1_30default_config_static_selectorELNS0_4arch9wavefront6targetE0EEEvSK_
    .private_segment_fixed_size: 0
    .sgpr_count:     0
    .sgpr_spill_count: 0
    .symbol:         _ZN7rocprim17ROCPRIM_400000_NS6detail17trampoline_kernelINS0_14default_configENS1_36segmented_radix_sort_config_selectorIhlEEZNS1_25segmented_radix_sort_implIS3_Lb1EPKhPhPKlPlN2at6native12_GLOBAL__N_18offset_tEEE10hipError_tPvRmT1_PNSt15iterator_traitsISK_E10value_typeET2_T3_PNSL_ISQ_E10value_typeET4_jRbjT5_SW_jjP12ihipStream_tbEUlT_E_NS1_11comp_targetILNS1_3genE9ELNS1_11target_archE1100ELNS1_3gpuE3ELNS1_3repE0EEENS1_30default_config_static_selectorELNS0_4arch9wavefront6targetE0EEEvSK_.kd
    .uniform_work_group_size: 1
    .uses_dynamic_stack: false
    .vgpr_count:     0
    .vgpr_spill_count: 0
    .wavefront_size: 32
    .workgroup_processor_mode: 1
  - .args:
      - .offset:         0
        .size:           96
        .value_kind:     by_value
    .group_segment_fixed_size: 0
    .kernarg_segment_align: 8
    .kernarg_segment_size: 96
    .language:       OpenCL C
    .language_version:
      - 2
      - 0
    .max_flat_workgroup_size: 256
    .name:           _ZN7rocprim17ROCPRIM_400000_NS6detail17trampoline_kernelINS0_14default_configENS1_36segmented_radix_sort_config_selectorIhlEEZNS1_25segmented_radix_sort_implIS3_Lb1EPKhPhPKlPlN2at6native12_GLOBAL__N_18offset_tEEE10hipError_tPvRmT1_PNSt15iterator_traitsISK_E10value_typeET2_T3_PNSL_ISQ_E10value_typeET4_jRbjT5_SW_jjP12ihipStream_tbEUlT_E_NS1_11comp_targetILNS1_3genE8ELNS1_11target_archE1030ELNS1_3gpuE2ELNS1_3repE0EEENS1_30default_config_static_selectorELNS0_4arch9wavefront6targetE0EEEvSK_
    .private_segment_fixed_size: 0
    .sgpr_count:     0
    .sgpr_spill_count: 0
    .symbol:         _ZN7rocprim17ROCPRIM_400000_NS6detail17trampoline_kernelINS0_14default_configENS1_36segmented_radix_sort_config_selectorIhlEEZNS1_25segmented_radix_sort_implIS3_Lb1EPKhPhPKlPlN2at6native12_GLOBAL__N_18offset_tEEE10hipError_tPvRmT1_PNSt15iterator_traitsISK_E10value_typeET2_T3_PNSL_ISQ_E10value_typeET4_jRbjT5_SW_jjP12ihipStream_tbEUlT_E_NS1_11comp_targetILNS1_3genE8ELNS1_11target_archE1030ELNS1_3gpuE2ELNS1_3repE0EEENS1_30default_config_static_selectorELNS0_4arch9wavefront6targetE0EEEvSK_.kd
    .uniform_work_group_size: 1
    .uses_dynamic_stack: false
    .vgpr_count:     0
    .vgpr_spill_count: 0
    .wavefront_size: 32
    .workgroup_processor_mode: 1
  - .args:
      - .offset:         0
        .size:           88
        .value_kind:     by_value
    .group_segment_fixed_size: 0
    .kernarg_segment_align: 8
    .kernarg_segment_size: 88
    .language:       OpenCL C
    .language_version:
      - 2
      - 0
    .max_flat_workgroup_size: 256
    .name:           _ZN7rocprim17ROCPRIM_400000_NS6detail17trampoline_kernelINS0_14default_configENS1_36segmented_radix_sort_config_selectorIhlEEZNS1_25segmented_radix_sort_implIS3_Lb1EPKhPhPKlPlN2at6native12_GLOBAL__N_18offset_tEEE10hipError_tPvRmT1_PNSt15iterator_traitsISK_E10value_typeET2_T3_PNSL_ISQ_E10value_typeET4_jRbjT5_SW_jjP12ihipStream_tbEUlT_E0_NS1_11comp_targetILNS1_3genE0ELNS1_11target_archE4294967295ELNS1_3gpuE0ELNS1_3repE0EEENS1_60segmented_radix_sort_warp_sort_medium_config_static_selectorELNS0_4arch9wavefront6targetE0EEEvSK_
    .private_segment_fixed_size: 0
    .sgpr_count:     0
    .sgpr_spill_count: 0
    .symbol:         _ZN7rocprim17ROCPRIM_400000_NS6detail17trampoline_kernelINS0_14default_configENS1_36segmented_radix_sort_config_selectorIhlEEZNS1_25segmented_radix_sort_implIS3_Lb1EPKhPhPKlPlN2at6native12_GLOBAL__N_18offset_tEEE10hipError_tPvRmT1_PNSt15iterator_traitsISK_E10value_typeET2_T3_PNSL_ISQ_E10value_typeET4_jRbjT5_SW_jjP12ihipStream_tbEUlT_E0_NS1_11comp_targetILNS1_3genE0ELNS1_11target_archE4294967295ELNS1_3gpuE0ELNS1_3repE0EEENS1_60segmented_radix_sort_warp_sort_medium_config_static_selectorELNS0_4arch9wavefront6targetE0EEEvSK_.kd
    .uniform_work_group_size: 1
    .uses_dynamic_stack: false
    .vgpr_count:     0
    .vgpr_spill_count: 0
    .wavefront_size: 32
    .workgroup_processor_mode: 1
  - .args:
      - .offset:         0
        .size:           88
        .value_kind:     by_value
    .group_segment_fixed_size: 0
    .kernarg_segment_align: 8
    .kernarg_segment_size: 88
    .language:       OpenCL C
    .language_version:
      - 2
      - 0
    .max_flat_workgroup_size: 256
    .name:           _ZN7rocprim17ROCPRIM_400000_NS6detail17trampoline_kernelINS0_14default_configENS1_36segmented_radix_sort_config_selectorIhlEEZNS1_25segmented_radix_sort_implIS3_Lb1EPKhPhPKlPlN2at6native12_GLOBAL__N_18offset_tEEE10hipError_tPvRmT1_PNSt15iterator_traitsISK_E10value_typeET2_T3_PNSL_ISQ_E10value_typeET4_jRbjT5_SW_jjP12ihipStream_tbEUlT_E0_NS1_11comp_targetILNS1_3genE5ELNS1_11target_archE942ELNS1_3gpuE9ELNS1_3repE0EEENS1_60segmented_radix_sort_warp_sort_medium_config_static_selectorELNS0_4arch9wavefront6targetE0EEEvSK_
    .private_segment_fixed_size: 0
    .sgpr_count:     0
    .sgpr_spill_count: 0
    .symbol:         _ZN7rocprim17ROCPRIM_400000_NS6detail17trampoline_kernelINS0_14default_configENS1_36segmented_radix_sort_config_selectorIhlEEZNS1_25segmented_radix_sort_implIS3_Lb1EPKhPhPKlPlN2at6native12_GLOBAL__N_18offset_tEEE10hipError_tPvRmT1_PNSt15iterator_traitsISK_E10value_typeET2_T3_PNSL_ISQ_E10value_typeET4_jRbjT5_SW_jjP12ihipStream_tbEUlT_E0_NS1_11comp_targetILNS1_3genE5ELNS1_11target_archE942ELNS1_3gpuE9ELNS1_3repE0EEENS1_60segmented_radix_sort_warp_sort_medium_config_static_selectorELNS0_4arch9wavefront6targetE0EEEvSK_.kd
    .uniform_work_group_size: 1
    .uses_dynamic_stack: false
    .vgpr_count:     0
    .vgpr_spill_count: 0
    .wavefront_size: 32
    .workgroup_processor_mode: 1
  - .args:
      - .offset:         0
        .size:           88
        .value_kind:     by_value
    .group_segment_fixed_size: 0
    .kernarg_segment_align: 8
    .kernarg_segment_size: 88
    .language:       OpenCL C
    .language_version:
      - 2
      - 0
    .max_flat_workgroup_size: 256
    .name:           _ZN7rocprim17ROCPRIM_400000_NS6detail17trampoline_kernelINS0_14default_configENS1_36segmented_radix_sort_config_selectorIhlEEZNS1_25segmented_radix_sort_implIS3_Lb1EPKhPhPKlPlN2at6native12_GLOBAL__N_18offset_tEEE10hipError_tPvRmT1_PNSt15iterator_traitsISK_E10value_typeET2_T3_PNSL_ISQ_E10value_typeET4_jRbjT5_SW_jjP12ihipStream_tbEUlT_E0_NS1_11comp_targetILNS1_3genE4ELNS1_11target_archE910ELNS1_3gpuE8ELNS1_3repE0EEENS1_60segmented_radix_sort_warp_sort_medium_config_static_selectorELNS0_4arch9wavefront6targetE0EEEvSK_
    .private_segment_fixed_size: 0
    .sgpr_count:     0
    .sgpr_spill_count: 0
    .symbol:         _ZN7rocprim17ROCPRIM_400000_NS6detail17trampoline_kernelINS0_14default_configENS1_36segmented_radix_sort_config_selectorIhlEEZNS1_25segmented_radix_sort_implIS3_Lb1EPKhPhPKlPlN2at6native12_GLOBAL__N_18offset_tEEE10hipError_tPvRmT1_PNSt15iterator_traitsISK_E10value_typeET2_T3_PNSL_ISQ_E10value_typeET4_jRbjT5_SW_jjP12ihipStream_tbEUlT_E0_NS1_11comp_targetILNS1_3genE4ELNS1_11target_archE910ELNS1_3gpuE8ELNS1_3repE0EEENS1_60segmented_radix_sort_warp_sort_medium_config_static_selectorELNS0_4arch9wavefront6targetE0EEEvSK_.kd
    .uniform_work_group_size: 1
    .uses_dynamic_stack: false
    .vgpr_count:     0
    .vgpr_spill_count: 0
    .wavefront_size: 32
    .workgroup_processor_mode: 1
  - .args:
      - .offset:         0
        .size:           88
        .value_kind:     by_value
    .group_segment_fixed_size: 0
    .kernarg_segment_align: 8
    .kernarg_segment_size: 88
    .language:       OpenCL C
    .language_version:
      - 2
      - 0
    .max_flat_workgroup_size: 256
    .name:           _ZN7rocprim17ROCPRIM_400000_NS6detail17trampoline_kernelINS0_14default_configENS1_36segmented_radix_sort_config_selectorIhlEEZNS1_25segmented_radix_sort_implIS3_Lb1EPKhPhPKlPlN2at6native12_GLOBAL__N_18offset_tEEE10hipError_tPvRmT1_PNSt15iterator_traitsISK_E10value_typeET2_T3_PNSL_ISQ_E10value_typeET4_jRbjT5_SW_jjP12ihipStream_tbEUlT_E0_NS1_11comp_targetILNS1_3genE3ELNS1_11target_archE908ELNS1_3gpuE7ELNS1_3repE0EEENS1_60segmented_radix_sort_warp_sort_medium_config_static_selectorELNS0_4arch9wavefront6targetE0EEEvSK_
    .private_segment_fixed_size: 0
    .sgpr_count:     0
    .sgpr_spill_count: 0
    .symbol:         _ZN7rocprim17ROCPRIM_400000_NS6detail17trampoline_kernelINS0_14default_configENS1_36segmented_radix_sort_config_selectorIhlEEZNS1_25segmented_radix_sort_implIS3_Lb1EPKhPhPKlPlN2at6native12_GLOBAL__N_18offset_tEEE10hipError_tPvRmT1_PNSt15iterator_traitsISK_E10value_typeET2_T3_PNSL_ISQ_E10value_typeET4_jRbjT5_SW_jjP12ihipStream_tbEUlT_E0_NS1_11comp_targetILNS1_3genE3ELNS1_11target_archE908ELNS1_3gpuE7ELNS1_3repE0EEENS1_60segmented_radix_sort_warp_sort_medium_config_static_selectorELNS0_4arch9wavefront6targetE0EEEvSK_.kd
    .uniform_work_group_size: 1
    .uses_dynamic_stack: false
    .vgpr_count:     0
    .vgpr_spill_count: 0
    .wavefront_size: 32
    .workgroup_processor_mode: 1
  - .args:
      - .offset:         0
        .size:           88
        .value_kind:     by_value
    .group_segment_fixed_size: 0
    .kernarg_segment_align: 8
    .kernarg_segment_size: 88
    .language:       OpenCL C
    .language_version:
      - 2
      - 0
    .max_flat_workgroup_size: 256
    .name:           _ZN7rocprim17ROCPRIM_400000_NS6detail17trampoline_kernelINS0_14default_configENS1_36segmented_radix_sort_config_selectorIhlEEZNS1_25segmented_radix_sort_implIS3_Lb1EPKhPhPKlPlN2at6native12_GLOBAL__N_18offset_tEEE10hipError_tPvRmT1_PNSt15iterator_traitsISK_E10value_typeET2_T3_PNSL_ISQ_E10value_typeET4_jRbjT5_SW_jjP12ihipStream_tbEUlT_E0_NS1_11comp_targetILNS1_3genE2ELNS1_11target_archE906ELNS1_3gpuE6ELNS1_3repE0EEENS1_60segmented_radix_sort_warp_sort_medium_config_static_selectorELNS0_4arch9wavefront6targetE0EEEvSK_
    .private_segment_fixed_size: 0
    .sgpr_count:     0
    .sgpr_spill_count: 0
    .symbol:         _ZN7rocprim17ROCPRIM_400000_NS6detail17trampoline_kernelINS0_14default_configENS1_36segmented_radix_sort_config_selectorIhlEEZNS1_25segmented_radix_sort_implIS3_Lb1EPKhPhPKlPlN2at6native12_GLOBAL__N_18offset_tEEE10hipError_tPvRmT1_PNSt15iterator_traitsISK_E10value_typeET2_T3_PNSL_ISQ_E10value_typeET4_jRbjT5_SW_jjP12ihipStream_tbEUlT_E0_NS1_11comp_targetILNS1_3genE2ELNS1_11target_archE906ELNS1_3gpuE6ELNS1_3repE0EEENS1_60segmented_radix_sort_warp_sort_medium_config_static_selectorELNS0_4arch9wavefront6targetE0EEEvSK_.kd
    .uniform_work_group_size: 1
    .uses_dynamic_stack: false
    .vgpr_count:     0
    .vgpr_spill_count: 0
    .wavefront_size: 32
    .workgroup_processor_mode: 1
  - .args:
      - .offset:         0
        .size:           88
        .value_kind:     by_value
      - .offset:         88
        .size:           4
        .value_kind:     hidden_block_count_x
      - .offset:         92
        .size:           4
        .value_kind:     hidden_block_count_y
      - .offset:         96
        .size:           4
        .value_kind:     hidden_block_count_z
      - .offset:         100
        .size:           2
        .value_kind:     hidden_group_size_x
      - .offset:         102
        .size:           2
        .value_kind:     hidden_group_size_y
      - .offset:         104
        .size:           2
        .value_kind:     hidden_group_size_z
      - .offset:         106
        .size:           2
        .value_kind:     hidden_remainder_x
      - .offset:         108
        .size:           2
        .value_kind:     hidden_remainder_y
      - .offset:         110
        .size:           2
        .value_kind:     hidden_remainder_z
      - .offset:         128
        .size:           8
        .value_kind:     hidden_global_offset_x
      - .offset:         136
        .size:           8
        .value_kind:     hidden_global_offset_y
      - .offset:         144
        .size:           8
        .value_kind:     hidden_global_offset_z
      - .offset:         152
        .size:           2
        .value_kind:     hidden_grid_dims
    .group_segment_fixed_size: 18432
    .kernarg_segment_align: 8
    .kernarg_segment_size: 344
    .language:       OpenCL C
    .language_version:
      - 2
      - 0
    .max_flat_workgroup_size: 256
    .name:           _ZN7rocprim17ROCPRIM_400000_NS6detail17trampoline_kernelINS0_14default_configENS1_36segmented_radix_sort_config_selectorIhlEEZNS1_25segmented_radix_sort_implIS3_Lb1EPKhPhPKlPlN2at6native12_GLOBAL__N_18offset_tEEE10hipError_tPvRmT1_PNSt15iterator_traitsISK_E10value_typeET2_T3_PNSL_ISQ_E10value_typeET4_jRbjT5_SW_jjP12ihipStream_tbEUlT_E0_NS1_11comp_targetILNS1_3genE10ELNS1_11target_archE1201ELNS1_3gpuE5ELNS1_3repE0EEENS1_60segmented_radix_sort_warp_sort_medium_config_static_selectorELNS0_4arch9wavefront6targetE0EEEvSK_
    .private_segment_fixed_size: 0
    .sgpr_count:     46
    .sgpr_spill_count: 0
    .symbol:         _ZN7rocprim17ROCPRIM_400000_NS6detail17trampoline_kernelINS0_14default_configENS1_36segmented_radix_sort_config_selectorIhlEEZNS1_25segmented_radix_sort_implIS3_Lb1EPKhPhPKlPlN2at6native12_GLOBAL__N_18offset_tEEE10hipError_tPvRmT1_PNSt15iterator_traitsISK_E10value_typeET2_T3_PNSL_ISQ_E10value_typeET4_jRbjT5_SW_jjP12ihipStream_tbEUlT_E0_NS1_11comp_targetILNS1_3genE10ELNS1_11target_archE1201ELNS1_3gpuE5ELNS1_3repE0EEENS1_60segmented_radix_sort_warp_sort_medium_config_static_selectorELNS0_4arch9wavefront6targetE0EEEvSK_.kd
    .uniform_work_group_size: 1
    .uses_dynamic_stack: false
    .vgpr_count:     71
    .vgpr_spill_count: 0
    .wavefront_size: 32
    .workgroup_processor_mode: 1
  - .args:
      - .offset:         0
        .size:           88
        .value_kind:     by_value
    .group_segment_fixed_size: 0
    .kernarg_segment_align: 8
    .kernarg_segment_size: 88
    .language:       OpenCL C
    .language_version:
      - 2
      - 0
    .max_flat_workgroup_size: 256
    .name:           _ZN7rocprim17ROCPRIM_400000_NS6detail17trampoline_kernelINS0_14default_configENS1_36segmented_radix_sort_config_selectorIhlEEZNS1_25segmented_radix_sort_implIS3_Lb1EPKhPhPKlPlN2at6native12_GLOBAL__N_18offset_tEEE10hipError_tPvRmT1_PNSt15iterator_traitsISK_E10value_typeET2_T3_PNSL_ISQ_E10value_typeET4_jRbjT5_SW_jjP12ihipStream_tbEUlT_E0_NS1_11comp_targetILNS1_3genE10ELNS1_11target_archE1200ELNS1_3gpuE4ELNS1_3repE0EEENS1_60segmented_radix_sort_warp_sort_medium_config_static_selectorELNS0_4arch9wavefront6targetE0EEEvSK_
    .private_segment_fixed_size: 0
    .sgpr_count:     0
    .sgpr_spill_count: 0
    .symbol:         _ZN7rocprim17ROCPRIM_400000_NS6detail17trampoline_kernelINS0_14default_configENS1_36segmented_radix_sort_config_selectorIhlEEZNS1_25segmented_radix_sort_implIS3_Lb1EPKhPhPKlPlN2at6native12_GLOBAL__N_18offset_tEEE10hipError_tPvRmT1_PNSt15iterator_traitsISK_E10value_typeET2_T3_PNSL_ISQ_E10value_typeET4_jRbjT5_SW_jjP12ihipStream_tbEUlT_E0_NS1_11comp_targetILNS1_3genE10ELNS1_11target_archE1200ELNS1_3gpuE4ELNS1_3repE0EEENS1_60segmented_radix_sort_warp_sort_medium_config_static_selectorELNS0_4arch9wavefront6targetE0EEEvSK_.kd
    .uniform_work_group_size: 1
    .uses_dynamic_stack: false
    .vgpr_count:     0
    .vgpr_spill_count: 0
    .wavefront_size: 32
    .workgroup_processor_mode: 1
  - .args:
      - .offset:         0
        .size:           88
        .value_kind:     by_value
    .group_segment_fixed_size: 0
    .kernarg_segment_align: 8
    .kernarg_segment_size: 88
    .language:       OpenCL C
    .language_version:
      - 2
      - 0
    .max_flat_workgroup_size: 256
    .name:           _ZN7rocprim17ROCPRIM_400000_NS6detail17trampoline_kernelINS0_14default_configENS1_36segmented_radix_sort_config_selectorIhlEEZNS1_25segmented_radix_sort_implIS3_Lb1EPKhPhPKlPlN2at6native12_GLOBAL__N_18offset_tEEE10hipError_tPvRmT1_PNSt15iterator_traitsISK_E10value_typeET2_T3_PNSL_ISQ_E10value_typeET4_jRbjT5_SW_jjP12ihipStream_tbEUlT_E0_NS1_11comp_targetILNS1_3genE9ELNS1_11target_archE1100ELNS1_3gpuE3ELNS1_3repE0EEENS1_60segmented_radix_sort_warp_sort_medium_config_static_selectorELNS0_4arch9wavefront6targetE0EEEvSK_
    .private_segment_fixed_size: 0
    .sgpr_count:     0
    .sgpr_spill_count: 0
    .symbol:         _ZN7rocprim17ROCPRIM_400000_NS6detail17trampoline_kernelINS0_14default_configENS1_36segmented_radix_sort_config_selectorIhlEEZNS1_25segmented_radix_sort_implIS3_Lb1EPKhPhPKlPlN2at6native12_GLOBAL__N_18offset_tEEE10hipError_tPvRmT1_PNSt15iterator_traitsISK_E10value_typeET2_T3_PNSL_ISQ_E10value_typeET4_jRbjT5_SW_jjP12ihipStream_tbEUlT_E0_NS1_11comp_targetILNS1_3genE9ELNS1_11target_archE1100ELNS1_3gpuE3ELNS1_3repE0EEENS1_60segmented_radix_sort_warp_sort_medium_config_static_selectorELNS0_4arch9wavefront6targetE0EEEvSK_.kd
    .uniform_work_group_size: 1
    .uses_dynamic_stack: false
    .vgpr_count:     0
    .vgpr_spill_count: 0
    .wavefront_size: 32
    .workgroup_processor_mode: 1
  - .args:
      - .offset:         0
        .size:           88
        .value_kind:     by_value
    .group_segment_fixed_size: 0
    .kernarg_segment_align: 8
    .kernarg_segment_size: 88
    .language:       OpenCL C
    .language_version:
      - 2
      - 0
    .max_flat_workgroup_size: 256
    .name:           _ZN7rocprim17ROCPRIM_400000_NS6detail17trampoline_kernelINS0_14default_configENS1_36segmented_radix_sort_config_selectorIhlEEZNS1_25segmented_radix_sort_implIS3_Lb1EPKhPhPKlPlN2at6native12_GLOBAL__N_18offset_tEEE10hipError_tPvRmT1_PNSt15iterator_traitsISK_E10value_typeET2_T3_PNSL_ISQ_E10value_typeET4_jRbjT5_SW_jjP12ihipStream_tbEUlT_E0_NS1_11comp_targetILNS1_3genE8ELNS1_11target_archE1030ELNS1_3gpuE2ELNS1_3repE0EEENS1_60segmented_radix_sort_warp_sort_medium_config_static_selectorELNS0_4arch9wavefront6targetE0EEEvSK_
    .private_segment_fixed_size: 0
    .sgpr_count:     0
    .sgpr_spill_count: 0
    .symbol:         _ZN7rocprim17ROCPRIM_400000_NS6detail17trampoline_kernelINS0_14default_configENS1_36segmented_radix_sort_config_selectorIhlEEZNS1_25segmented_radix_sort_implIS3_Lb1EPKhPhPKlPlN2at6native12_GLOBAL__N_18offset_tEEE10hipError_tPvRmT1_PNSt15iterator_traitsISK_E10value_typeET2_T3_PNSL_ISQ_E10value_typeET4_jRbjT5_SW_jjP12ihipStream_tbEUlT_E0_NS1_11comp_targetILNS1_3genE8ELNS1_11target_archE1030ELNS1_3gpuE2ELNS1_3repE0EEENS1_60segmented_radix_sort_warp_sort_medium_config_static_selectorELNS0_4arch9wavefront6targetE0EEEvSK_.kd
    .uniform_work_group_size: 1
    .uses_dynamic_stack: false
    .vgpr_count:     0
    .vgpr_spill_count: 0
    .wavefront_size: 32
    .workgroup_processor_mode: 1
  - .args:
      - .offset:         0
        .size:           88
        .value_kind:     by_value
    .group_segment_fixed_size: 0
    .kernarg_segment_align: 8
    .kernarg_segment_size: 88
    .language:       OpenCL C
    .language_version:
      - 2
      - 0
    .max_flat_workgroup_size: 256
    .name:           _ZN7rocprim17ROCPRIM_400000_NS6detail17trampoline_kernelINS0_14default_configENS1_36segmented_radix_sort_config_selectorIhlEEZNS1_25segmented_radix_sort_implIS3_Lb1EPKhPhPKlPlN2at6native12_GLOBAL__N_18offset_tEEE10hipError_tPvRmT1_PNSt15iterator_traitsISK_E10value_typeET2_T3_PNSL_ISQ_E10value_typeET4_jRbjT5_SW_jjP12ihipStream_tbEUlT_E1_NS1_11comp_targetILNS1_3genE0ELNS1_11target_archE4294967295ELNS1_3gpuE0ELNS1_3repE0EEENS1_59segmented_radix_sort_warp_sort_small_config_static_selectorELNS0_4arch9wavefront6targetE0EEEvSK_
    .private_segment_fixed_size: 0
    .sgpr_count:     0
    .sgpr_spill_count: 0
    .symbol:         _ZN7rocprim17ROCPRIM_400000_NS6detail17trampoline_kernelINS0_14default_configENS1_36segmented_radix_sort_config_selectorIhlEEZNS1_25segmented_radix_sort_implIS3_Lb1EPKhPhPKlPlN2at6native12_GLOBAL__N_18offset_tEEE10hipError_tPvRmT1_PNSt15iterator_traitsISK_E10value_typeET2_T3_PNSL_ISQ_E10value_typeET4_jRbjT5_SW_jjP12ihipStream_tbEUlT_E1_NS1_11comp_targetILNS1_3genE0ELNS1_11target_archE4294967295ELNS1_3gpuE0ELNS1_3repE0EEENS1_59segmented_radix_sort_warp_sort_small_config_static_selectorELNS0_4arch9wavefront6targetE0EEEvSK_.kd
    .uniform_work_group_size: 1
    .uses_dynamic_stack: false
    .vgpr_count:     0
    .vgpr_spill_count: 0
    .wavefront_size: 32
    .workgroup_processor_mode: 1
  - .args:
      - .offset:         0
        .size:           88
        .value_kind:     by_value
    .group_segment_fixed_size: 0
    .kernarg_segment_align: 8
    .kernarg_segment_size: 88
    .language:       OpenCL C
    .language_version:
      - 2
      - 0
    .max_flat_workgroup_size: 256
    .name:           _ZN7rocprim17ROCPRIM_400000_NS6detail17trampoline_kernelINS0_14default_configENS1_36segmented_radix_sort_config_selectorIhlEEZNS1_25segmented_radix_sort_implIS3_Lb1EPKhPhPKlPlN2at6native12_GLOBAL__N_18offset_tEEE10hipError_tPvRmT1_PNSt15iterator_traitsISK_E10value_typeET2_T3_PNSL_ISQ_E10value_typeET4_jRbjT5_SW_jjP12ihipStream_tbEUlT_E1_NS1_11comp_targetILNS1_3genE5ELNS1_11target_archE942ELNS1_3gpuE9ELNS1_3repE0EEENS1_59segmented_radix_sort_warp_sort_small_config_static_selectorELNS0_4arch9wavefront6targetE0EEEvSK_
    .private_segment_fixed_size: 0
    .sgpr_count:     0
    .sgpr_spill_count: 0
    .symbol:         _ZN7rocprim17ROCPRIM_400000_NS6detail17trampoline_kernelINS0_14default_configENS1_36segmented_radix_sort_config_selectorIhlEEZNS1_25segmented_radix_sort_implIS3_Lb1EPKhPhPKlPlN2at6native12_GLOBAL__N_18offset_tEEE10hipError_tPvRmT1_PNSt15iterator_traitsISK_E10value_typeET2_T3_PNSL_ISQ_E10value_typeET4_jRbjT5_SW_jjP12ihipStream_tbEUlT_E1_NS1_11comp_targetILNS1_3genE5ELNS1_11target_archE942ELNS1_3gpuE9ELNS1_3repE0EEENS1_59segmented_radix_sort_warp_sort_small_config_static_selectorELNS0_4arch9wavefront6targetE0EEEvSK_.kd
    .uniform_work_group_size: 1
    .uses_dynamic_stack: false
    .vgpr_count:     0
    .vgpr_spill_count: 0
    .wavefront_size: 32
    .workgroup_processor_mode: 1
  - .args:
      - .offset:         0
        .size:           88
        .value_kind:     by_value
    .group_segment_fixed_size: 0
    .kernarg_segment_align: 8
    .kernarg_segment_size: 88
    .language:       OpenCL C
    .language_version:
      - 2
      - 0
    .max_flat_workgroup_size: 256
    .name:           _ZN7rocprim17ROCPRIM_400000_NS6detail17trampoline_kernelINS0_14default_configENS1_36segmented_radix_sort_config_selectorIhlEEZNS1_25segmented_radix_sort_implIS3_Lb1EPKhPhPKlPlN2at6native12_GLOBAL__N_18offset_tEEE10hipError_tPvRmT1_PNSt15iterator_traitsISK_E10value_typeET2_T3_PNSL_ISQ_E10value_typeET4_jRbjT5_SW_jjP12ihipStream_tbEUlT_E1_NS1_11comp_targetILNS1_3genE4ELNS1_11target_archE910ELNS1_3gpuE8ELNS1_3repE0EEENS1_59segmented_radix_sort_warp_sort_small_config_static_selectorELNS0_4arch9wavefront6targetE0EEEvSK_
    .private_segment_fixed_size: 0
    .sgpr_count:     0
    .sgpr_spill_count: 0
    .symbol:         _ZN7rocprim17ROCPRIM_400000_NS6detail17trampoline_kernelINS0_14default_configENS1_36segmented_radix_sort_config_selectorIhlEEZNS1_25segmented_radix_sort_implIS3_Lb1EPKhPhPKlPlN2at6native12_GLOBAL__N_18offset_tEEE10hipError_tPvRmT1_PNSt15iterator_traitsISK_E10value_typeET2_T3_PNSL_ISQ_E10value_typeET4_jRbjT5_SW_jjP12ihipStream_tbEUlT_E1_NS1_11comp_targetILNS1_3genE4ELNS1_11target_archE910ELNS1_3gpuE8ELNS1_3repE0EEENS1_59segmented_radix_sort_warp_sort_small_config_static_selectorELNS0_4arch9wavefront6targetE0EEEvSK_.kd
    .uniform_work_group_size: 1
    .uses_dynamic_stack: false
    .vgpr_count:     0
    .vgpr_spill_count: 0
    .wavefront_size: 32
    .workgroup_processor_mode: 1
  - .args:
      - .offset:         0
        .size:           88
        .value_kind:     by_value
    .group_segment_fixed_size: 0
    .kernarg_segment_align: 8
    .kernarg_segment_size: 88
    .language:       OpenCL C
    .language_version:
      - 2
      - 0
    .max_flat_workgroup_size: 256
    .name:           _ZN7rocprim17ROCPRIM_400000_NS6detail17trampoline_kernelINS0_14default_configENS1_36segmented_radix_sort_config_selectorIhlEEZNS1_25segmented_radix_sort_implIS3_Lb1EPKhPhPKlPlN2at6native12_GLOBAL__N_18offset_tEEE10hipError_tPvRmT1_PNSt15iterator_traitsISK_E10value_typeET2_T3_PNSL_ISQ_E10value_typeET4_jRbjT5_SW_jjP12ihipStream_tbEUlT_E1_NS1_11comp_targetILNS1_3genE3ELNS1_11target_archE908ELNS1_3gpuE7ELNS1_3repE0EEENS1_59segmented_radix_sort_warp_sort_small_config_static_selectorELNS0_4arch9wavefront6targetE0EEEvSK_
    .private_segment_fixed_size: 0
    .sgpr_count:     0
    .sgpr_spill_count: 0
    .symbol:         _ZN7rocprim17ROCPRIM_400000_NS6detail17trampoline_kernelINS0_14default_configENS1_36segmented_radix_sort_config_selectorIhlEEZNS1_25segmented_radix_sort_implIS3_Lb1EPKhPhPKlPlN2at6native12_GLOBAL__N_18offset_tEEE10hipError_tPvRmT1_PNSt15iterator_traitsISK_E10value_typeET2_T3_PNSL_ISQ_E10value_typeET4_jRbjT5_SW_jjP12ihipStream_tbEUlT_E1_NS1_11comp_targetILNS1_3genE3ELNS1_11target_archE908ELNS1_3gpuE7ELNS1_3repE0EEENS1_59segmented_radix_sort_warp_sort_small_config_static_selectorELNS0_4arch9wavefront6targetE0EEEvSK_.kd
    .uniform_work_group_size: 1
    .uses_dynamic_stack: false
    .vgpr_count:     0
    .vgpr_spill_count: 0
    .wavefront_size: 32
    .workgroup_processor_mode: 1
  - .args:
      - .offset:         0
        .size:           88
        .value_kind:     by_value
    .group_segment_fixed_size: 0
    .kernarg_segment_align: 8
    .kernarg_segment_size: 88
    .language:       OpenCL C
    .language_version:
      - 2
      - 0
    .max_flat_workgroup_size: 256
    .name:           _ZN7rocprim17ROCPRIM_400000_NS6detail17trampoline_kernelINS0_14default_configENS1_36segmented_radix_sort_config_selectorIhlEEZNS1_25segmented_radix_sort_implIS3_Lb1EPKhPhPKlPlN2at6native12_GLOBAL__N_18offset_tEEE10hipError_tPvRmT1_PNSt15iterator_traitsISK_E10value_typeET2_T3_PNSL_ISQ_E10value_typeET4_jRbjT5_SW_jjP12ihipStream_tbEUlT_E1_NS1_11comp_targetILNS1_3genE2ELNS1_11target_archE906ELNS1_3gpuE6ELNS1_3repE0EEENS1_59segmented_radix_sort_warp_sort_small_config_static_selectorELNS0_4arch9wavefront6targetE0EEEvSK_
    .private_segment_fixed_size: 0
    .sgpr_count:     0
    .sgpr_spill_count: 0
    .symbol:         _ZN7rocprim17ROCPRIM_400000_NS6detail17trampoline_kernelINS0_14default_configENS1_36segmented_radix_sort_config_selectorIhlEEZNS1_25segmented_radix_sort_implIS3_Lb1EPKhPhPKlPlN2at6native12_GLOBAL__N_18offset_tEEE10hipError_tPvRmT1_PNSt15iterator_traitsISK_E10value_typeET2_T3_PNSL_ISQ_E10value_typeET4_jRbjT5_SW_jjP12ihipStream_tbEUlT_E1_NS1_11comp_targetILNS1_3genE2ELNS1_11target_archE906ELNS1_3gpuE6ELNS1_3repE0EEENS1_59segmented_radix_sort_warp_sort_small_config_static_selectorELNS0_4arch9wavefront6targetE0EEEvSK_.kd
    .uniform_work_group_size: 1
    .uses_dynamic_stack: false
    .vgpr_count:     0
    .vgpr_spill_count: 0
    .wavefront_size: 32
    .workgroup_processor_mode: 1
  - .args:
      - .offset:         0
        .size:           88
        .value_kind:     by_value
      - .offset:         88
        .size:           4
        .value_kind:     hidden_block_count_x
      - .offset:         92
        .size:           4
        .value_kind:     hidden_block_count_y
      - .offset:         96
        .size:           4
        .value_kind:     hidden_block_count_z
      - .offset:         100
        .size:           2
        .value_kind:     hidden_group_size_x
      - .offset:         102
        .size:           2
        .value_kind:     hidden_group_size_y
      - .offset:         104
        .size:           2
        .value_kind:     hidden_group_size_z
      - .offset:         106
        .size:           2
        .value_kind:     hidden_remainder_x
      - .offset:         108
        .size:           2
        .value_kind:     hidden_remainder_y
      - .offset:         110
        .size:           2
        .value_kind:     hidden_remainder_z
      - .offset:         128
        .size:           8
        .value_kind:     hidden_global_offset_x
      - .offset:         136
        .size:           8
        .value_kind:     hidden_global_offset_y
      - .offset:         144
        .size:           8
        .value_kind:     hidden_global_offset_z
      - .offset:         152
        .size:           2
        .value_kind:     hidden_grid_dims
    .group_segment_fixed_size: 9216
    .kernarg_segment_align: 8
    .kernarg_segment_size: 344
    .language:       OpenCL C
    .language_version:
      - 2
      - 0
    .max_flat_workgroup_size: 256
    .name:           _ZN7rocprim17ROCPRIM_400000_NS6detail17trampoline_kernelINS0_14default_configENS1_36segmented_radix_sort_config_selectorIhlEEZNS1_25segmented_radix_sort_implIS3_Lb1EPKhPhPKlPlN2at6native12_GLOBAL__N_18offset_tEEE10hipError_tPvRmT1_PNSt15iterator_traitsISK_E10value_typeET2_T3_PNSL_ISQ_E10value_typeET4_jRbjT5_SW_jjP12ihipStream_tbEUlT_E1_NS1_11comp_targetILNS1_3genE10ELNS1_11target_archE1201ELNS1_3gpuE5ELNS1_3repE0EEENS1_59segmented_radix_sort_warp_sort_small_config_static_selectorELNS0_4arch9wavefront6targetE0EEEvSK_
    .private_segment_fixed_size: 0
    .sgpr_count:     35
    .sgpr_spill_count: 0
    .symbol:         _ZN7rocprim17ROCPRIM_400000_NS6detail17trampoline_kernelINS0_14default_configENS1_36segmented_radix_sort_config_selectorIhlEEZNS1_25segmented_radix_sort_implIS3_Lb1EPKhPhPKlPlN2at6native12_GLOBAL__N_18offset_tEEE10hipError_tPvRmT1_PNSt15iterator_traitsISK_E10value_typeET2_T3_PNSL_ISQ_E10value_typeET4_jRbjT5_SW_jjP12ihipStream_tbEUlT_E1_NS1_11comp_targetILNS1_3genE10ELNS1_11target_archE1201ELNS1_3gpuE5ELNS1_3repE0EEENS1_59segmented_radix_sort_warp_sort_small_config_static_selectorELNS0_4arch9wavefront6targetE0EEEvSK_.kd
    .uniform_work_group_size: 1
    .uses_dynamic_stack: false
    .vgpr_count:     52
    .vgpr_spill_count: 0
    .wavefront_size: 32
    .workgroup_processor_mode: 1
  - .args:
      - .offset:         0
        .size:           88
        .value_kind:     by_value
    .group_segment_fixed_size: 0
    .kernarg_segment_align: 8
    .kernarg_segment_size: 88
    .language:       OpenCL C
    .language_version:
      - 2
      - 0
    .max_flat_workgroup_size: 256
    .name:           _ZN7rocprim17ROCPRIM_400000_NS6detail17trampoline_kernelINS0_14default_configENS1_36segmented_radix_sort_config_selectorIhlEEZNS1_25segmented_radix_sort_implIS3_Lb1EPKhPhPKlPlN2at6native12_GLOBAL__N_18offset_tEEE10hipError_tPvRmT1_PNSt15iterator_traitsISK_E10value_typeET2_T3_PNSL_ISQ_E10value_typeET4_jRbjT5_SW_jjP12ihipStream_tbEUlT_E1_NS1_11comp_targetILNS1_3genE10ELNS1_11target_archE1200ELNS1_3gpuE4ELNS1_3repE0EEENS1_59segmented_radix_sort_warp_sort_small_config_static_selectorELNS0_4arch9wavefront6targetE0EEEvSK_
    .private_segment_fixed_size: 0
    .sgpr_count:     0
    .sgpr_spill_count: 0
    .symbol:         _ZN7rocprim17ROCPRIM_400000_NS6detail17trampoline_kernelINS0_14default_configENS1_36segmented_radix_sort_config_selectorIhlEEZNS1_25segmented_radix_sort_implIS3_Lb1EPKhPhPKlPlN2at6native12_GLOBAL__N_18offset_tEEE10hipError_tPvRmT1_PNSt15iterator_traitsISK_E10value_typeET2_T3_PNSL_ISQ_E10value_typeET4_jRbjT5_SW_jjP12ihipStream_tbEUlT_E1_NS1_11comp_targetILNS1_3genE10ELNS1_11target_archE1200ELNS1_3gpuE4ELNS1_3repE0EEENS1_59segmented_radix_sort_warp_sort_small_config_static_selectorELNS0_4arch9wavefront6targetE0EEEvSK_.kd
    .uniform_work_group_size: 1
    .uses_dynamic_stack: false
    .vgpr_count:     0
    .vgpr_spill_count: 0
    .wavefront_size: 32
    .workgroup_processor_mode: 1
  - .args:
      - .offset:         0
        .size:           88
        .value_kind:     by_value
    .group_segment_fixed_size: 0
    .kernarg_segment_align: 8
    .kernarg_segment_size: 88
    .language:       OpenCL C
    .language_version:
      - 2
      - 0
    .max_flat_workgroup_size: 256
    .name:           _ZN7rocprim17ROCPRIM_400000_NS6detail17trampoline_kernelINS0_14default_configENS1_36segmented_radix_sort_config_selectorIhlEEZNS1_25segmented_radix_sort_implIS3_Lb1EPKhPhPKlPlN2at6native12_GLOBAL__N_18offset_tEEE10hipError_tPvRmT1_PNSt15iterator_traitsISK_E10value_typeET2_T3_PNSL_ISQ_E10value_typeET4_jRbjT5_SW_jjP12ihipStream_tbEUlT_E1_NS1_11comp_targetILNS1_3genE9ELNS1_11target_archE1100ELNS1_3gpuE3ELNS1_3repE0EEENS1_59segmented_radix_sort_warp_sort_small_config_static_selectorELNS0_4arch9wavefront6targetE0EEEvSK_
    .private_segment_fixed_size: 0
    .sgpr_count:     0
    .sgpr_spill_count: 0
    .symbol:         _ZN7rocprim17ROCPRIM_400000_NS6detail17trampoline_kernelINS0_14default_configENS1_36segmented_radix_sort_config_selectorIhlEEZNS1_25segmented_radix_sort_implIS3_Lb1EPKhPhPKlPlN2at6native12_GLOBAL__N_18offset_tEEE10hipError_tPvRmT1_PNSt15iterator_traitsISK_E10value_typeET2_T3_PNSL_ISQ_E10value_typeET4_jRbjT5_SW_jjP12ihipStream_tbEUlT_E1_NS1_11comp_targetILNS1_3genE9ELNS1_11target_archE1100ELNS1_3gpuE3ELNS1_3repE0EEENS1_59segmented_radix_sort_warp_sort_small_config_static_selectorELNS0_4arch9wavefront6targetE0EEEvSK_.kd
    .uniform_work_group_size: 1
    .uses_dynamic_stack: false
    .vgpr_count:     0
    .vgpr_spill_count: 0
    .wavefront_size: 32
    .workgroup_processor_mode: 1
  - .args:
      - .offset:         0
        .size:           88
        .value_kind:     by_value
    .group_segment_fixed_size: 0
    .kernarg_segment_align: 8
    .kernarg_segment_size: 88
    .language:       OpenCL C
    .language_version:
      - 2
      - 0
    .max_flat_workgroup_size: 256
    .name:           _ZN7rocprim17ROCPRIM_400000_NS6detail17trampoline_kernelINS0_14default_configENS1_36segmented_radix_sort_config_selectorIhlEEZNS1_25segmented_radix_sort_implIS3_Lb1EPKhPhPKlPlN2at6native12_GLOBAL__N_18offset_tEEE10hipError_tPvRmT1_PNSt15iterator_traitsISK_E10value_typeET2_T3_PNSL_ISQ_E10value_typeET4_jRbjT5_SW_jjP12ihipStream_tbEUlT_E1_NS1_11comp_targetILNS1_3genE8ELNS1_11target_archE1030ELNS1_3gpuE2ELNS1_3repE0EEENS1_59segmented_radix_sort_warp_sort_small_config_static_selectorELNS0_4arch9wavefront6targetE0EEEvSK_
    .private_segment_fixed_size: 0
    .sgpr_count:     0
    .sgpr_spill_count: 0
    .symbol:         _ZN7rocprim17ROCPRIM_400000_NS6detail17trampoline_kernelINS0_14default_configENS1_36segmented_radix_sort_config_selectorIhlEEZNS1_25segmented_radix_sort_implIS3_Lb1EPKhPhPKlPlN2at6native12_GLOBAL__N_18offset_tEEE10hipError_tPvRmT1_PNSt15iterator_traitsISK_E10value_typeET2_T3_PNSL_ISQ_E10value_typeET4_jRbjT5_SW_jjP12ihipStream_tbEUlT_E1_NS1_11comp_targetILNS1_3genE8ELNS1_11target_archE1030ELNS1_3gpuE2ELNS1_3repE0EEENS1_59segmented_radix_sort_warp_sort_small_config_static_selectorELNS0_4arch9wavefront6targetE0EEEvSK_.kd
    .uniform_work_group_size: 1
    .uses_dynamic_stack: false
    .vgpr_count:     0
    .vgpr_spill_count: 0
    .wavefront_size: 32
    .workgroup_processor_mode: 1
  - .args:
      - .offset:         0
        .size:           80
        .value_kind:     by_value
    .group_segment_fixed_size: 0
    .kernarg_segment_align: 8
    .kernarg_segment_size: 80
    .language:       OpenCL C
    .language_version:
      - 2
      - 0
    .max_flat_workgroup_size: 256
    .name:           _ZN7rocprim17ROCPRIM_400000_NS6detail17trampoline_kernelINS0_14default_configENS1_36segmented_radix_sort_config_selectorIhlEEZNS1_25segmented_radix_sort_implIS3_Lb1EPKhPhPKlPlN2at6native12_GLOBAL__N_18offset_tEEE10hipError_tPvRmT1_PNSt15iterator_traitsISK_E10value_typeET2_T3_PNSL_ISQ_E10value_typeET4_jRbjT5_SW_jjP12ihipStream_tbEUlT_E2_NS1_11comp_targetILNS1_3genE0ELNS1_11target_archE4294967295ELNS1_3gpuE0ELNS1_3repE0EEENS1_30default_config_static_selectorELNS0_4arch9wavefront6targetE0EEEvSK_
    .private_segment_fixed_size: 0
    .sgpr_count:     0
    .sgpr_spill_count: 0
    .symbol:         _ZN7rocprim17ROCPRIM_400000_NS6detail17trampoline_kernelINS0_14default_configENS1_36segmented_radix_sort_config_selectorIhlEEZNS1_25segmented_radix_sort_implIS3_Lb1EPKhPhPKlPlN2at6native12_GLOBAL__N_18offset_tEEE10hipError_tPvRmT1_PNSt15iterator_traitsISK_E10value_typeET2_T3_PNSL_ISQ_E10value_typeET4_jRbjT5_SW_jjP12ihipStream_tbEUlT_E2_NS1_11comp_targetILNS1_3genE0ELNS1_11target_archE4294967295ELNS1_3gpuE0ELNS1_3repE0EEENS1_30default_config_static_selectorELNS0_4arch9wavefront6targetE0EEEvSK_.kd
    .uniform_work_group_size: 1
    .uses_dynamic_stack: false
    .vgpr_count:     0
    .vgpr_spill_count: 0
    .wavefront_size: 32
    .workgroup_processor_mode: 1
  - .args:
      - .offset:         0
        .size:           80
        .value_kind:     by_value
    .group_segment_fixed_size: 0
    .kernarg_segment_align: 8
    .kernarg_segment_size: 80
    .language:       OpenCL C
    .language_version:
      - 2
      - 0
    .max_flat_workgroup_size: 256
    .name:           _ZN7rocprim17ROCPRIM_400000_NS6detail17trampoline_kernelINS0_14default_configENS1_36segmented_radix_sort_config_selectorIhlEEZNS1_25segmented_radix_sort_implIS3_Lb1EPKhPhPKlPlN2at6native12_GLOBAL__N_18offset_tEEE10hipError_tPvRmT1_PNSt15iterator_traitsISK_E10value_typeET2_T3_PNSL_ISQ_E10value_typeET4_jRbjT5_SW_jjP12ihipStream_tbEUlT_E2_NS1_11comp_targetILNS1_3genE5ELNS1_11target_archE942ELNS1_3gpuE9ELNS1_3repE0EEENS1_30default_config_static_selectorELNS0_4arch9wavefront6targetE0EEEvSK_
    .private_segment_fixed_size: 0
    .sgpr_count:     0
    .sgpr_spill_count: 0
    .symbol:         _ZN7rocprim17ROCPRIM_400000_NS6detail17trampoline_kernelINS0_14default_configENS1_36segmented_radix_sort_config_selectorIhlEEZNS1_25segmented_radix_sort_implIS3_Lb1EPKhPhPKlPlN2at6native12_GLOBAL__N_18offset_tEEE10hipError_tPvRmT1_PNSt15iterator_traitsISK_E10value_typeET2_T3_PNSL_ISQ_E10value_typeET4_jRbjT5_SW_jjP12ihipStream_tbEUlT_E2_NS1_11comp_targetILNS1_3genE5ELNS1_11target_archE942ELNS1_3gpuE9ELNS1_3repE0EEENS1_30default_config_static_selectorELNS0_4arch9wavefront6targetE0EEEvSK_.kd
    .uniform_work_group_size: 1
    .uses_dynamic_stack: false
    .vgpr_count:     0
    .vgpr_spill_count: 0
    .wavefront_size: 32
    .workgroup_processor_mode: 1
  - .args:
      - .offset:         0
        .size:           80
        .value_kind:     by_value
    .group_segment_fixed_size: 0
    .kernarg_segment_align: 8
    .kernarg_segment_size: 80
    .language:       OpenCL C
    .language_version:
      - 2
      - 0
    .max_flat_workgroup_size: 256
    .name:           _ZN7rocprim17ROCPRIM_400000_NS6detail17trampoline_kernelINS0_14default_configENS1_36segmented_radix_sort_config_selectorIhlEEZNS1_25segmented_radix_sort_implIS3_Lb1EPKhPhPKlPlN2at6native12_GLOBAL__N_18offset_tEEE10hipError_tPvRmT1_PNSt15iterator_traitsISK_E10value_typeET2_T3_PNSL_ISQ_E10value_typeET4_jRbjT5_SW_jjP12ihipStream_tbEUlT_E2_NS1_11comp_targetILNS1_3genE4ELNS1_11target_archE910ELNS1_3gpuE8ELNS1_3repE0EEENS1_30default_config_static_selectorELNS0_4arch9wavefront6targetE0EEEvSK_
    .private_segment_fixed_size: 0
    .sgpr_count:     0
    .sgpr_spill_count: 0
    .symbol:         _ZN7rocprim17ROCPRIM_400000_NS6detail17trampoline_kernelINS0_14default_configENS1_36segmented_radix_sort_config_selectorIhlEEZNS1_25segmented_radix_sort_implIS3_Lb1EPKhPhPKlPlN2at6native12_GLOBAL__N_18offset_tEEE10hipError_tPvRmT1_PNSt15iterator_traitsISK_E10value_typeET2_T3_PNSL_ISQ_E10value_typeET4_jRbjT5_SW_jjP12ihipStream_tbEUlT_E2_NS1_11comp_targetILNS1_3genE4ELNS1_11target_archE910ELNS1_3gpuE8ELNS1_3repE0EEENS1_30default_config_static_selectorELNS0_4arch9wavefront6targetE0EEEvSK_.kd
    .uniform_work_group_size: 1
    .uses_dynamic_stack: false
    .vgpr_count:     0
    .vgpr_spill_count: 0
    .wavefront_size: 32
    .workgroup_processor_mode: 1
  - .args:
      - .offset:         0
        .size:           80
        .value_kind:     by_value
    .group_segment_fixed_size: 0
    .kernarg_segment_align: 8
    .kernarg_segment_size: 80
    .language:       OpenCL C
    .language_version:
      - 2
      - 0
    .max_flat_workgroup_size: 256
    .name:           _ZN7rocprim17ROCPRIM_400000_NS6detail17trampoline_kernelINS0_14default_configENS1_36segmented_radix_sort_config_selectorIhlEEZNS1_25segmented_radix_sort_implIS3_Lb1EPKhPhPKlPlN2at6native12_GLOBAL__N_18offset_tEEE10hipError_tPvRmT1_PNSt15iterator_traitsISK_E10value_typeET2_T3_PNSL_ISQ_E10value_typeET4_jRbjT5_SW_jjP12ihipStream_tbEUlT_E2_NS1_11comp_targetILNS1_3genE3ELNS1_11target_archE908ELNS1_3gpuE7ELNS1_3repE0EEENS1_30default_config_static_selectorELNS0_4arch9wavefront6targetE0EEEvSK_
    .private_segment_fixed_size: 0
    .sgpr_count:     0
    .sgpr_spill_count: 0
    .symbol:         _ZN7rocprim17ROCPRIM_400000_NS6detail17trampoline_kernelINS0_14default_configENS1_36segmented_radix_sort_config_selectorIhlEEZNS1_25segmented_radix_sort_implIS3_Lb1EPKhPhPKlPlN2at6native12_GLOBAL__N_18offset_tEEE10hipError_tPvRmT1_PNSt15iterator_traitsISK_E10value_typeET2_T3_PNSL_ISQ_E10value_typeET4_jRbjT5_SW_jjP12ihipStream_tbEUlT_E2_NS1_11comp_targetILNS1_3genE3ELNS1_11target_archE908ELNS1_3gpuE7ELNS1_3repE0EEENS1_30default_config_static_selectorELNS0_4arch9wavefront6targetE0EEEvSK_.kd
    .uniform_work_group_size: 1
    .uses_dynamic_stack: false
    .vgpr_count:     0
    .vgpr_spill_count: 0
    .wavefront_size: 32
    .workgroup_processor_mode: 1
  - .args:
      - .offset:         0
        .size:           80
        .value_kind:     by_value
    .group_segment_fixed_size: 0
    .kernarg_segment_align: 8
    .kernarg_segment_size: 80
    .language:       OpenCL C
    .language_version:
      - 2
      - 0
    .max_flat_workgroup_size: 256
    .name:           _ZN7rocprim17ROCPRIM_400000_NS6detail17trampoline_kernelINS0_14default_configENS1_36segmented_radix_sort_config_selectorIhlEEZNS1_25segmented_radix_sort_implIS3_Lb1EPKhPhPKlPlN2at6native12_GLOBAL__N_18offset_tEEE10hipError_tPvRmT1_PNSt15iterator_traitsISK_E10value_typeET2_T3_PNSL_ISQ_E10value_typeET4_jRbjT5_SW_jjP12ihipStream_tbEUlT_E2_NS1_11comp_targetILNS1_3genE2ELNS1_11target_archE906ELNS1_3gpuE6ELNS1_3repE0EEENS1_30default_config_static_selectorELNS0_4arch9wavefront6targetE0EEEvSK_
    .private_segment_fixed_size: 0
    .sgpr_count:     0
    .sgpr_spill_count: 0
    .symbol:         _ZN7rocprim17ROCPRIM_400000_NS6detail17trampoline_kernelINS0_14default_configENS1_36segmented_radix_sort_config_selectorIhlEEZNS1_25segmented_radix_sort_implIS3_Lb1EPKhPhPKlPlN2at6native12_GLOBAL__N_18offset_tEEE10hipError_tPvRmT1_PNSt15iterator_traitsISK_E10value_typeET2_T3_PNSL_ISQ_E10value_typeET4_jRbjT5_SW_jjP12ihipStream_tbEUlT_E2_NS1_11comp_targetILNS1_3genE2ELNS1_11target_archE906ELNS1_3gpuE6ELNS1_3repE0EEENS1_30default_config_static_selectorELNS0_4arch9wavefront6targetE0EEEvSK_.kd
    .uniform_work_group_size: 1
    .uses_dynamic_stack: false
    .vgpr_count:     0
    .vgpr_spill_count: 0
    .wavefront_size: 32
    .workgroup_processor_mode: 1
  - .args:
      - .offset:         0
        .size:           80
        .value_kind:     by_value
      - .offset:         80
        .size:           4
        .value_kind:     hidden_block_count_x
      - .offset:         84
        .size:           4
        .value_kind:     hidden_block_count_y
      - .offset:         88
        .size:           4
        .value_kind:     hidden_block_count_z
      - .offset:         92
        .size:           2
        .value_kind:     hidden_group_size_x
      - .offset:         94
        .size:           2
        .value_kind:     hidden_group_size_y
      - .offset:         96
        .size:           2
        .value_kind:     hidden_group_size_z
      - .offset:         98
        .size:           2
        .value_kind:     hidden_remainder_x
      - .offset:         100
        .size:           2
        .value_kind:     hidden_remainder_y
      - .offset:         102
        .size:           2
        .value_kind:     hidden_remainder_z
      - .offset:         120
        .size:           8
        .value_kind:     hidden_global_offset_x
      - .offset:         128
        .size:           8
        .value_kind:     hidden_global_offset_y
      - .offset:         136
        .size:           8
        .value_kind:     hidden_global_offset_z
      - .offset:         144
        .size:           2
        .value_kind:     hidden_grid_dims
    .group_segment_fixed_size: 17440
    .kernarg_segment_align: 8
    .kernarg_segment_size: 336
    .language:       OpenCL C
    .language_version:
      - 2
      - 0
    .max_flat_workgroup_size: 256
    .name:           _ZN7rocprim17ROCPRIM_400000_NS6detail17trampoline_kernelINS0_14default_configENS1_36segmented_radix_sort_config_selectorIhlEEZNS1_25segmented_radix_sort_implIS3_Lb1EPKhPhPKlPlN2at6native12_GLOBAL__N_18offset_tEEE10hipError_tPvRmT1_PNSt15iterator_traitsISK_E10value_typeET2_T3_PNSL_ISQ_E10value_typeET4_jRbjT5_SW_jjP12ihipStream_tbEUlT_E2_NS1_11comp_targetILNS1_3genE10ELNS1_11target_archE1201ELNS1_3gpuE5ELNS1_3repE0EEENS1_30default_config_static_selectorELNS0_4arch9wavefront6targetE0EEEvSK_
    .private_segment_fixed_size: 0
    .sgpr_count:     52
    .sgpr_spill_count: 0
    .symbol:         _ZN7rocprim17ROCPRIM_400000_NS6detail17trampoline_kernelINS0_14default_configENS1_36segmented_radix_sort_config_selectorIhlEEZNS1_25segmented_radix_sort_implIS3_Lb1EPKhPhPKlPlN2at6native12_GLOBAL__N_18offset_tEEE10hipError_tPvRmT1_PNSt15iterator_traitsISK_E10value_typeET2_T3_PNSL_ISQ_E10value_typeET4_jRbjT5_SW_jjP12ihipStream_tbEUlT_E2_NS1_11comp_targetILNS1_3genE10ELNS1_11target_archE1201ELNS1_3gpuE5ELNS1_3repE0EEENS1_30default_config_static_selectorELNS0_4arch9wavefront6targetE0EEEvSK_.kd
    .uniform_work_group_size: 1
    .uses_dynamic_stack: false
    .vgpr_count:     197
    .vgpr_spill_count: 0
    .wavefront_size: 32
    .workgroup_processor_mode: 1
  - .args:
      - .offset:         0
        .size:           80
        .value_kind:     by_value
    .group_segment_fixed_size: 0
    .kernarg_segment_align: 8
    .kernarg_segment_size: 80
    .language:       OpenCL C
    .language_version:
      - 2
      - 0
    .max_flat_workgroup_size: 128
    .name:           _ZN7rocprim17ROCPRIM_400000_NS6detail17trampoline_kernelINS0_14default_configENS1_36segmented_radix_sort_config_selectorIhlEEZNS1_25segmented_radix_sort_implIS3_Lb1EPKhPhPKlPlN2at6native12_GLOBAL__N_18offset_tEEE10hipError_tPvRmT1_PNSt15iterator_traitsISK_E10value_typeET2_T3_PNSL_ISQ_E10value_typeET4_jRbjT5_SW_jjP12ihipStream_tbEUlT_E2_NS1_11comp_targetILNS1_3genE10ELNS1_11target_archE1200ELNS1_3gpuE4ELNS1_3repE0EEENS1_30default_config_static_selectorELNS0_4arch9wavefront6targetE0EEEvSK_
    .private_segment_fixed_size: 0
    .sgpr_count:     0
    .sgpr_spill_count: 0
    .symbol:         _ZN7rocprim17ROCPRIM_400000_NS6detail17trampoline_kernelINS0_14default_configENS1_36segmented_radix_sort_config_selectorIhlEEZNS1_25segmented_radix_sort_implIS3_Lb1EPKhPhPKlPlN2at6native12_GLOBAL__N_18offset_tEEE10hipError_tPvRmT1_PNSt15iterator_traitsISK_E10value_typeET2_T3_PNSL_ISQ_E10value_typeET4_jRbjT5_SW_jjP12ihipStream_tbEUlT_E2_NS1_11comp_targetILNS1_3genE10ELNS1_11target_archE1200ELNS1_3gpuE4ELNS1_3repE0EEENS1_30default_config_static_selectorELNS0_4arch9wavefront6targetE0EEEvSK_.kd
    .uniform_work_group_size: 1
    .uses_dynamic_stack: false
    .vgpr_count:     0
    .vgpr_spill_count: 0
    .wavefront_size: 32
    .workgroup_processor_mode: 1
  - .args:
      - .offset:         0
        .size:           80
        .value_kind:     by_value
    .group_segment_fixed_size: 0
    .kernarg_segment_align: 8
    .kernarg_segment_size: 80
    .language:       OpenCL C
    .language_version:
      - 2
      - 0
    .max_flat_workgroup_size: 256
    .name:           _ZN7rocprim17ROCPRIM_400000_NS6detail17trampoline_kernelINS0_14default_configENS1_36segmented_radix_sort_config_selectorIhlEEZNS1_25segmented_radix_sort_implIS3_Lb1EPKhPhPKlPlN2at6native12_GLOBAL__N_18offset_tEEE10hipError_tPvRmT1_PNSt15iterator_traitsISK_E10value_typeET2_T3_PNSL_ISQ_E10value_typeET4_jRbjT5_SW_jjP12ihipStream_tbEUlT_E2_NS1_11comp_targetILNS1_3genE9ELNS1_11target_archE1100ELNS1_3gpuE3ELNS1_3repE0EEENS1_30default_config_static_selectorELNS0_4arch9wavefront6targetE0EEEvSK_
    .private_segment_fixed_size: 0
    .sgpr_count:     0
    .sgpr_spill_count: 0
    .symbol:         _ZN7rocprim17ROCPRIM_400000_NS6detail17trampoline_kernelINS0_14default_configENS1_36segmented_radix_sort_config_selectorIhlEEZNS1_25segmented_radix_sort_implIS3_Lb1EPKhPhPKlPlN2at6native12_GLOBAL__N_18offset_tEEE10hipError_tPvRmT1_PNSt15iterator_traitsISK_E10value_typeET2_T3_PNSL_ISQ_E10value_typeET4_jRbjT5_SW_jjP12ihipStream_tbEUlT_E2_NS1_11comp_targetILNS1_3genE9ELNS1_11target_archE1100ELNS1_3gpuE3ELNS1_3repE0EEENS1_30default_config_static_selectorELNS0_4arch9wavefront6targetE0EEEvSK_.kd
    .uniform_work_group_size: 1
    .uses_dynamic_stack: false
    .vgpr_count:     0
    .vgpr_spill_count: 0
    .wavefront_size: 32
    .workgroup_processor_mode: 1
  - .args:
      - .offset:         0
        .size:           80
        .value_kind:     by_value
    .group_segment_fixed_size: 0
    .kernarg_segment_align: 8
    .kernarg_segment_size: 80
    .language:       OpenCL C
    .language_version:
      - 2
      - 0
    .max_flat_workgroup_size: 256
    .name:           _ZN7rocprim17ROCPRIM_400000_NS6detail17trampoline_kernelINS0_14default_configENS1_36segmented_radix_sort_config_selectorIhlEEZNS1_25segmented_radix_sort_implIS3_Lb1EPKhPhPKlPlN2at6native12_GLOBAL__N_18offset_tEEE10hipError_tPvRmT1_PNSt15iterator_traitsISK_E10value_typeET2_T3_PNSL_ISQ_E10value_typeET4_jRbjT5_SW_jjP12ihipStream_tbEUlT_E2_NS1_11comp_targetILNS1_3genE8ELNS1_11target_archE1030ELNS1_3gpuE2ELNS1_3repE0EEENS1_30default_config_static_selectorELNS0_4arch9wavefront6targetE0EEEvSK_
    .private_segment_fixed_size: 0
    .sgpr_count:     0
    .sgpr_spill_count: 0
    .symbol:         _ZN7rocprim17ROCPRIM_400000_NS6detail17trampoline_kernelINS0_14default_configENS1_36segmented_radix_sort_config_selectorIhlEEZNS1_25segmented_radix_sort_implIS3_Lb1EPKhPhPKlPlN2at6native12_GLOBAL__N_18offset_tEEE10hipError_tPvRmT1_PNSt15iterator_traitsISK_E10value_typeET2_T3_PNSL_ISQ_E10value_typeET4_jRbjT5_SW_jjP12ihipStream_tbEUlT_E2_NS1_11comp_targetILNS1_3genE8ELNS1_11target_archE1030ELNS1_3gpuE2ELNS1_3repE0EEENS1_30default_config_static_selectorELNS0_4arch9wavefront6targetE0EEEvSK_.kd
    .uniform_work_group_size: 1
    .uses_dynamic_stack: false
    .vgpr_count:     0
    .vgpr_spill_count: 0
    .wavefront_size: 32
    .workgroup_processor_mode: 1
  - .args:
      - .offset:         0
        .size:           176
        .value_kind:     by_value
    .group_segment_fixed_size: 0
    .kernarg_segment_align: 8
    .kernarg_segment_size: 176
    .language:       OpenCL C
    .language_version:
      - 2
      - 0
    .max_flat_workgroup_size: 256
    .name:           _ZN7rocprim17ROCPRIM_400000_NS6detail17trampoline_kernelINS0_13select_configILj256ELj13ELNS0_17block_load_methodE3ELS4_3ELS4_3ELNS0_20block_scan_algorithmE0ELj4294967295EEENS1_25partition_config_selectorILNS1_17partition_subalgoE4EjNS0_10empty_typeEbEEZZNS1_14partition_implILS8_4ELb0ES6_15HIP_vector_typeIjLj2EENS0_17counting_iteratorIjlEEPS9_SG_NS0_5tupleIJPjSI_NS0_16reverse_iteratorISI_EEEEENSH_IJSG_SG_SG_EEES9_SI_JZNS1_25segmented_radix_sort_implINS0_14default_configELb0EPKhPhPKlPlN2at6native12_GLOBAL__N_18offset_tEEE10hipError_tPvRmT1_PNSt15iterator_traitsIS12_E10value_typeET2_T3_PNS13_IS18_E10value_typeET4_jRbjT5_S1E_jjP12ihipStream_tbEUljE_ZNSN_ISO_Lb0ESQ_SR_ST_SU_SY_EESZ_S10_S11_S12_S16_S17_S18_S1B_S1C_jS1D_jS1E_S1E_jjS1G_bEUljE0_EEESZ_S10_S11_S18_S1C_S1E_T6_T7_T9_mT8_S1G_bDpT10_ENKUlT_T0_E_clISt17integral_constantIbLb0EES1U_EEDaS1P_S1Q_EUlS1P_E_NS1_11comp_targetILNS1_3genE0ELNS1_11target_archE4294967295ELNS1_3gpuE0ELNS1_3repE0EEENS1_30default_config_static_selectorELNS0_4arch9wavefront6targetE0EEEvS12_
    .private_segment_fixed_size: 0
    .sgpr_count:     0
    .sgpr_spill_count: 0
    .symbol:         _ZN7rocprim17ROCPRIM_400000_NS6detail17trampoline_kernelINS0_13select_configILj256ELj13ELNS0_17block_load_methodE3ELS4_3ELS4_3ELNS0_20block_scan_algorithmE0ELj4294967295EEENS1_25partition_config_selectorILNS1_17partition_subalgoE4EjNS0_10empty_typeEbEEZZNS1_14partition_implILS8_4ELb0ES6_15HIP_vector_typeIjLj2EENS0_17counting_iteratorIjlEEPS9_SG_NS0_5tupleIJPjSI_NS0_16reverse_iteratorISI_EEEEENSH_IJSG_SG_SG_EEES9_SI_JZNS1_25segmented_radix_sort_implINS0_14default_configELb0EPKhPhPKlPlN2at6native12_GLOBAL__N_18offset_tEEE10hipError_tPvRmT1_PNSt15iterator_traitsIS12_E10value_typeET2_T3_PNS13_IS18_E10value_typeET4_jRbjT5_S1E_jjP12ihipStream_tbEUljE_ZNSN_ISO_Lb0ESQ_SR_ST_SU_SY_EESZ_S10_S11_S12_S16_S17_S18_S1B_S1C_jS1D_jS1E_S1E_jjS1G_bEUljE0_EEESZ_S10_S11_S18_S1C_S1E_T6_T7_T9_mT8_S1G_bDpT10_ENKUlT_T0_E_clISt17integral_constantIbLb0EES1U_EEDaS1P_S1Q_EUlS1P_E_NS1_11comp_targetILNS1_3genE0ELNS1_11target_archE4294967295ELNS1_3gpuE0ELNS1_3repE0EEENS1_30default_config_static_selectorELNS0_4arch9wavefront6targetE0EEEvS12_.kd
    .uniform_work_group_size: 1
    .uses_dynamic_stack: false
    .vgpr_count:     0
    .vgpr_spill_count: 0
    .wavefront_size: 32
    .workgroup_processor_mode: 1
  - .args:
      - .offset:         0
        .size:           176
        .value_kind:     by_value
    .group_segment_fixed_size: 0
    .kernarg_segment_align: 8
    .kernarg_segment_size: 176
    .language:       OpenCL C
    .language_version:
      - 2
      - 0
    .max_flat_workgroup_size: 256
    .name:           _ZN7rocprim17ROCPRIM_400000_NS6detail17trampoline_kernelINS0_13select_configILj256ELj13ELNS0_17block_load_methodE3ELS4_3ELS4_3ELNS0_20block_scan_algorithmE0ELj4294967295EEENS1_25partition_config_selectorILNS1_17partition_subalgoE4EjNS0_10empty_typeEbEEZZNS1_14partition_implILS8_4ELb0ES6_15HIP_vector_typeIjLj2EENS0_17counting_iteratorIjlEEPS9_SG_NS0_5tupleIJPjSI_NS0_16reverse_iteratorISI_EEEEENSH_IJSG_SG_SG_EEES9_SI_JZNS1_25segmented_radix_sort_implINS0_14default_configELb0EPKhPhPKlPlN2at6native12_GLOBAL__N_18offset_tEEE10hipError_tPvRmT1_PNSt15iterator_traitsIS12_E10value_typeET2_T3_PNS13_IS18_E10value_typeET4_jRbjT5_S1E_jjP12ihipStream_tbEUljE_ZNSN_ISO_Lb0ESQ_SR_ST_SU_SY_EESZ_S10_S11_S12_S16_S17_S18_S1B_S1C_jS1D_jS1E_S1E_jjS1G_bEUljE0_EEESZ_S10_S11_S18_S1C_S1E_T6_T7_T9_mT8_S1G_bDpT10_ENKUlT_T0_E_clISt17integral_constantIbLb0EES1U_EEDaS1P_S1Q_EUlS1P_E_NS1_11comp_targetILNS1_3genE5ELNS1_11target_archE942ELNS1_3gpuE9ELNS1_3repE0EEENS1_30default_config_static_selectorELNS0_4arch9wavefront6targetE0EEEvS12_
    .private_segment_fixed_size: 0
    .sgpr_count:     0
    .sgpr_spill_count: 0
    .symbol:         _ZN7rocprim17ROCPRIM_400000_NS6detail17trampoline_kernelINS0_13select_configILj256ELj13ELNS0_17block_load_methodE3ELS4_3ELS4_3ELNS0_20block_scan_algorithmE0ELj4294967295EEENS1_25partition_config_selectorILNS1_17partition_subalgoE4EjNS0_10empty_typeEbEEZZNS1_14partition_implILS8_4ELb0ES6_15HIP_vector_typeIjLj2EENS0_17counting_iteratorIjlEEPS9_SG_NS0_5tupleIJPjSI_NS0_16reverse_iteratorISI_EEEEENSH_IJSG_SG_SG_EEES9_SI_JZNS1_25segmented_radix_sort_implINS0_14default_configELb0EPKhPhPKlPlN2at6native12_GLOBAL__N_18offset_tEEE10hipError_tPvRmT1_PNSt15iterator_traitsIS12_E10value_typeET2_T3_PNS13_IS18_E10value_typeET4_jRbjT5_S1E_jjP12ihipStream_tbEUljE_ZNSN_ISO_Lb0ESQ_SR_ST_SU_SY_EESZ_S10_S11_S12_S16_S17_S18_S1B_S1C_jS1D_jS1E_S1E_jjS1G_bEUljE0_EEESZ_S10_S11_S18_S1C_S1E_T6_T7_T9_mT8_S1G_bDpT10_ENKUlT_T0_E_clISt17integral_constantIbLb0EES1U_EEDaS1P_S1Q_EUlS1P_E_NS1_11comp_targetILNS1_3genE5ELNS1_11target_archE942ELNS1_3gpuE9ELNS1_3repE0EEENS1_30default_config_static_selectorELNS0_4arch9wavefront6targetE0EEEvS12_.kd
    .uniform_work_group_size: 1
    .uses_dynamic_stack: false
    .vgpr_count:     0
    .vgpr_spill_count: 0
    .wavefront_size: 32
    .workgroup_processor_mode: 1
  - .args:
      - .offset:         0
        .size:           176
        .value_kind:     by_value
    .group_segment_fixed_size: 0
    .kernarg_segment_align: 8
    .kernarg_segment_size: 176
    .language:       OpenCL C
    .language_version:
      - 2
      - 0
    .max_flat_workgroup_size: 256
    .name:           _ZN7rocprim17ROCPRIM_400000_NS6detail17trampoline_kernelINS0_13select_configILj256ELj13ELNS0_17block_load_methodE3ELS4_3ELS4_3ELNS0_20block_scan_algorithmE0ELj4294967295EEENS1_25partition_config_selectorILNS1_17partition_subalgoE4EjNS0_10empty_typeEbEEZZNS1_14partition_implILS8_4ELb0ES6_15HIP_vector_typeIjLj2EENS0_17counting_iteratorIjlEEPS9_SG_NS0_5tupleIJPjSI_NS0_16reverse_iteratorISI_EEEEENSH_IJSG_SG_SG_EEES9_SI_JZNS1_25segmented_radix_sort_implINS0_14default_configELb0EPKhPhPKlPlN2at6native12_GLOBAL__N_18offset_tEEE10hipError_tPvRmT1_PNSt15iterator_traitsIS12_E10value_typeET2_T3_PNS13_IS18_E10value_typeET4_jRbjT5_S1E_jjP12ihipStream_tbEUljE_ZNSN_ISO_Lb0ESQ_SR_ST_SU_SY_EESZ_S10_S11_S12_S16_S17_S18_S1B_S1C_jS1D_jS1E_S1E_jjS1G_bEUljE0_EEESZ_S10_S11_S18_S1C_S1E_T6_T7_T9_mT8_S1G_bDpT10_ENKUlT_T0_E_clISt17integral_constantIbLb0EES1U_EEDaS1P_S1Q_EUlS1P_E_NS1_11comp_targetILNS1_3genE4ELNS1_11target_archE910ELNS1_3gpuE8ELNS1_3repE0EEENS1_30default_config_static_selectorELNS0_4arch9wavefront6targetE0EEEvS12_
    .private_segment_fixed_size: 0
    .sgpr_count:     0
    .sgpr_spill_count: 0
    .symbol:         _ZN7rocprim17ROCPRIM_400000_NS6detail17trampoline_kernelINS0_13select_configILj256ELj13ELNS0_17block_load_methodE3ELS4_3ELS4_3ELNS0_20block_scan_algorithmE0ELj4294967295EEENS1_25partition_config_selectorILNS1_17partition_subalgoE4EjNS0_10empty_typeEbEEZZNS1_14partition_implILS8_4ELb0ES6_15HIP_vector_typeIjLj2EENS0_17counting_iteratorIjlEEPS9_SG_NS0_5tupleIJPjSI_NS0_16reverse_iteratorISI_EEEEENSH_IJSG_SG_SG_EEES9_SI_JZNS1_25segmented_radix_sort_implINS0_14default_configELb0EPKhPhPKlPlN2at6native12_GLOBAL__N_18offset_tEEE10hipError_tPvRmT1_PNSt15iterator_traitsIS12_E10value_typeET2_T3_PNS13_IS18_E10value_typeET4_jRbjT5_S1E_jjP12ihipStream_tbEUljE_ZNSN_ISO_Lb0ESQ_SR_ST_SU_SY_EESZ_S10_S11_S12_S16_S17_S18_S1B_S1C_jS1D_jS1E_S1E_jjS1G_bEUljE0_EEESZ_S10_S11_S18_S1C_S1E_T6_T7_T9_mT8_S1G_bDpT10_ENKUlT_T0_E_clISt17integral_constantIbLb0EES1U_EEDaS1P_S1Q_EUlS1P_E_NS1_11comp_targetILNS1_3genE4ELNS1_11target_archE910ELNS1_3gpuE8ELNS1_3repE0EEENS1_30default_config_static_selectorELNS0_4arch9wavefront6targetE0EEEvS12_.kd
    .uniform_work_group_size: 1
    .uses_dynamic_stack: false
    .vgpr_count:     0
    .vgpr_spill_count: 0
    .wavefront_size: 32
    .workgroup_processor_mode: 1
  - .args:
      - .offset:         0
        .size:           176
        .value_kind:     by_value
    .group_segment_fixed_size: 0
    .kernarg_segment_align: 8
    .kernarg_segment_size: 176
    .language:       OpenCL C
    .language_version:
      - 2
      - 0
    .max_flat_workgroup_size: 256
    .name:           _ZN7rocprim17ROCPRIM_400000_NS6detail17trampoline_kernelINS0_13select_configILj256ELj13ELNS0_17block_load_methodE3ELS4_3ELS4_3ELNS0_20block_scan_algorithmE0ELj4294967295EEENS1_25partition_config_selectorILNS1_17partition_subalgoE4EjNS0_10empty_typeEbEEZZNS1_14partition_implILS8_4ELb0ES6_15HIP_vector_typeIjLj2EENS0_17counting_iteratorIjlEEPS9_SG_NS0_5tupleIJPjSI_NS0_16reverse_iteratorISI_EEEEENSH_IJSG_SG_SG_EEES9_SI_JZNS1_25segmented_radix_sort_implINS0_14default_configELb0EPKhPhPKlPlN2at6native12_GLOBAL__N_18offset_tEEE10hipError_tPvRmT1_PNSt15iterator_traitsIS12_E10value_typeET2_T3_PNS13_IS18_E10value_typeET4_jRbjT5_S1E_jjP12ihipStream_tbEUljE_ZNSN_ISO_Lb0ESQ_SR_ST_SU_SY_EESZ_S10_S11_S12_S16_S17_S18_S1B_S1C_jS1D_jS1E_S1E_jjS1G_bEUljE0_EEESZ_S10_S11_S18_S1C_S1E_T6_T7_T9_mT8_S1G_bDpT10_ENKUlT_T0_E_clISt17integral_constantIbLb0EES1U_EEDaS1P_S1Q_EUlS1P_E_NS1_11comp_targetILNS1_3genE3ELNS1_11target_archE908ELNS1_3gpuE7ELNS1_3repE0EEENS1_30default_config_static_selectorELNS0_4arch9wavefront6targetE0EEEvS12_
    .private_segment_fixed_size: 0
    .sgpr_count:     0
    .sgpr_spill_count: 0
    .symbol:         _ZN7rocprim17ROCPRIM_400000_NS6detail17trampoline_kernelINS0_13select_configILj256ELj13ELNS0_17block_load_methodE3ELS4_3ELS4_3ELNS0_20block_scan_algorithmE0ELj4294967295EEENS1_25partition_config_selectorILNS1_17partition_subalgoE4EjNS0_10empty_typeEbEEZZNS1_14partition_implILS8_4ELb0ES6_15HIP_vector_typeIjLj2EENS0_17counting_iteratorIjlEEPS9_SG_NS0_5tupleIJPjSI_NS0_16reverse_iteratorISI_EEEEENSH_IJSG_SG_SG_EEES9_SI_JZNS1_25segmented_radix_sort_implINS0_14default_configELb0EPKhPhPKlPlN2at6native12_GLOBAL__N_18offset_tEEE10hipError_tPvRmT1_PNSt15iterator_traitsIS12_E10value_typeET2_T3_PNS13_IS18_E10value_typeET4_jRbjT5_S1E_jjP12ihipStream_tbEUljE_ZNSN_ISO_Lb0ESQ_SR_ST_SU_SY_EESZ_S10_S11_S12_S16_S17_S18_S1B_S1C_jS1D_jS1E_S1E_jjS1G_bEUljE0_EEESZ_S10_S11_S18_S1C_S1E_T6_T7_T9_mT8_S1G_bDpT10_ENKUlT_T0_E_clISt17integral_constantIbLb0EES1U_EEDaS1P_S1Q_EUlS1P_E_NS1_11comp_targetILNS1_3genE3ELNS1_11target_archE908ELNS1_3gpuE7ELNS1_3repE0EEENS1_30default_config_static_selectorELNS0_4arch9wavefront6targetE0EEEvS12_.kd
    .uniform_work_group_size: 1
    .uses_dynamic_stack: false
    .vgpr_count:     0
    .vgpr_spill_count: 0
    .wavefront_size: 32
    .workgroup_processor_mode: 1
  - .args:
      - .offset:         0
        .size:           176
        .value_kind:     by_value
    .group_segment_fixed_size: 0
    .kernarg_segment_align: 8
    .kernarg_segment_size: 176
    .language:       OpenCL C
    .language_version:
      - 2
      - 0
    .max_flat_workgroup_size: 256
    .name:           _ZN7rocprim17ROCPRIM_400000_NS6detail17trampoline_kernelINS0_13select_configILj256ELj13ELNS0_17block_load_methodE3ELS4_3ELS4_3ELNS0_20block_scan_algorithmE0ELj4294967295EEENS1_25partition_config_selectorILNS1_17partition_subalgoE4EjNS0_10empty_typeEbEEZZNS1_14partition_implILS8_4ELb0ES6_15HIP_vector_typeIjLj2EENS0_17counting_iteratorIjlEEPS9_SG_NS0_5tupleIJPjSI_NS0_16reverse_iteratorISI_EEEEENSH_IJSG_SG_SG_EEES9_SI_JZNS1_25segmented_radix_sort_implINS0_14default_configELb0EPKhPhPKlPlN2at6native12_GLOBAL__N_18offset_tEEE10hipError_tPvRmT1_PNSt15iterator_traitsIS12_E10value_typeET2_T3_PNS13_IS18_E10value_typeET4_jRbjT5_S1E_jjP12ihipStream_tbEUljE_ZNSN_ISO_Lb0ESQ_SR_ST_SU_SY_EESZ_S10_S11_S12_S16_S17_S18_S1B_S1C_jS1D_jS1E_S1E_jjS1G_bEUljE0_EEESZ_S10_S11_S18_S1C_S1E_T6_T7_T9_mT8_S1G_bDpT10_ENKUlT_T0_E_clISt17integral_constantIbLb0EES1U_EEDaS1P_S1Q_EUlS1P_E_NS1_11comp_targetILNS1_3genE2ELNS1_11target_archE906ELNS1_3gpuE6ELNS1_3repE0EEENS1_30default_config_static_selectorELNS0_4arch9wavefront6targetE0EEEvS12_
    .private_segment_fixed_size: 0
    .sgpr_count:     0
    .sgpr_spill_count: 0
    .symbol:         _ZN7rocprim17ROCPRIM_400000_NS6detail17trampoline_kernelINS0_13select_configILj256ELj13ELNS0_17block_load_methodE3ELS4_3ELS4_3ELNS0_20block_scan_algorithmE0ELj4294967295EEENS1_25partition_config_selectorILNS1_17partition_subalgoE4EjNS0_10empty_typeEbEEZZNS1_14partition_implILS8_4ELb0ES6_15HIP_vector_typeIjLj2EENS0_17counting_iteratorIjlEEPS9_SG_NS0_5tupleIJPjSI_NS0_16reverse_iteratorISI_EEEEENSH_IJSG_SG_SG_EEES9_SI_JZNS1_25segmented_radix_sort_implINS0_14default_configELb0EPKhPhPKlPlN2at6native12_GLOBAL__N_18offset_tEEE10hipError_tPvRmT1_PNSt15iterator_traitsIS12_E10value_typeET2_T3_PNS13_IS18_E10value_typeET4_jRbjT5_S1E_jjP12ihipStream_tbEUljE_ZNSN_ISO_Lb0ESQ_SR_ST_SU_SY_EESZ_S10_S11_S12_S16_S17_S18_S1B_S1C_jS1D_jS1E_S1E_jjS1G_bEUljE0_EEESZ_S10_S11_S18_S1C_S1E_T6_T7_T9_mT8_S1G_bDpT10_ENKUlT_T0_E_clISt17integral_constantIbLb0EES1U_EEDaS1P_S1Q_EUlS1P_E_NS1_11comp_targetILNS1_3genE2ELNS1_11target_archE906ELNS1_3gpuE6ELNS1_3repE0EEENS1_30default_config_static_selectorELNS0_4arch9wavefront6targetE0EEEvS12_.kd
    .uniform_work_group_size: 1
    .uses_dynamic_stack: false
    .vgpr_count:     0
    .vgpr_spill_count: 0
    .wavefront_size: 32
    .workgroup_processor_mode: 1
  - .args:
      - .offset:         0
        .size:           176
        .value_kind:     by_value
    .group_segment_fixed_size: 13328
    .kernarg_segment_align: 8
    .kernarg_segment_size: 176
    .language:       OpenCL C
    .language_version:
      - 2
      - 0
    .max_flat_workgroup_size: 256
    .name:           _ZN7rocprim17ROCPRIM_400000_NS6detail17trampoline_kernelINS0_13select_configILj256ELj13ELNS0_17block_load_methodE3ELS4_3ELS4_3ELNS0_20block_scan_algorithmE0ELj4294967295EEENS1_25partition_config_selectorILNS1_17partition_subalgoE4EjNS0_10empty_typeEbEEZZNS1_14partition_implILS8_4ELb0ES6_15HIP_vector_typeIjLj2EENS0_17counting_iteratorIjlEEPS9_SG_NS0_5tupleIJPjSI_NS0_16reverse_iteratorISI_EEEEENSH_IJSG_SG_SG_EEES9_SI_JZNS1_25segmented_radix_sort_implINS0_14default_configELb0EPKhPhPKlPlN2at6native12_GLOBAL__N_18offset_tEEE10hipError_tPvRmT1_PNSt15iterator_traitsIS12_E10value_typeET2_T3_PNS13_IS18_E10value_typeET4_jRbjT5_S1E_jjP12ihipStream_tbEUljE_ZNSN_ISO_Lb0ESQ_SR_ST_SU_SY_EESZ_S10_S11_S12_S16_S17_S18_S1B_S1C_jS1D_jS1E_S1E_jjS1G_bEUljE0_EEESZ_S10_S11_S18_S1C_S1E_T6_T7_T9_mT8_S1G_bDpT10_ENKUlT_T0_E_clISt17integral_constantIbLb0EES1U_EEDaS1P_S1Q_EUlS1P_E_NS1_11comp_targetILNS1_3genE10ELNS1_11target_archE1200ELNS1_3gpuE4ELNS1_3repE0EEENS1_30default_config_static_selectorELNS0_4arch9wavefront6targetE0EEEvS12_
    .private_segment_fixed_size: 0
    .sgpr_count:     60
    .sgpr_spill_count: 0
    .symbol:         _ZN7rocprim17ROCPRIM_400000_NS6detail17trampoline_kernelINS0_13select_configILj256ELj13ELNS0_17block_load_methodE3ELS4_3ELS4_3ELNS0_20block_scan_algorithmE0ELj4294967295EEENS1_25partition_config_selectorILNS1_17partition_subalgoE4EjNS0_10empty_typeEbEEZZNS1_14partition_implILS8_4ELb0ES6_15HIP_vector_typeIjLj2EENS0_17counting_iteratorIjlEEPS9_SG_NS0_5tupleIJPjSI_NS0_16reverse_iteratorISI_EEEEENSH_IJSG_SG_SG_EEES9_SI_JZNS1_25segmented_radix_sort_implINS0_14default_configELb0EPKhPhPKlPlN2at6native12_GLOBAL__N_18offset_tEEE10hipError_tPvRmT1_PNSt15iterator_traitsIS12_E10value_typeET2_T3_PNS13_IS18_E10value_typeET4_jRbjT5_S1E_jjP12ihipStream_tbEUljE_ZNSN_ISO_Lb0ESQ_SR_ST_SU_SY_EESZ_S10_S11_S12_S16_S17_S18_S1B_S1C_jS1D_jS1E_S1E_jjS1G_bEUljE0_EEESZ_S10_S11_S18_S1C_S1E_T6_T7_T9_mT8_S1G_bDpT10_ENKUlT_T0_E_clISt17integral_constantIbLb0EES1U_EEDaS1P_S1Q_EUlS1P_E_NS1_11comp_targetILNS1_3genE10ELNS1_11target_archE1200ELNS1_3gpuE4ELNS1_3repE0EEENS1_30default_config_static_selectorELNS0_4arch9wavefront6targetE0EEEvS12_.kd
    .uniform_work_group_size: 1
    .uses_dynamic_stack: false
    .vgpr_count:     93
    .vgpr_spill_count: 0
    .wavefront_size: 32
    .workgroup_processor_mode: 1
  - .args:
      - .offset:         0
        .size:           176
        .value_kind:     by_value
    .group_segment_fixed_size: 0
    .kernarg_segment_align: 8
    .kernarg_segment_size: 176
    .language:       OpenCL C
    .language_version:
      - 2
      - 0
    .max_flat_workgroup_size: 256
    .name:           _ZN7rocprim17ROCPRIM_400000_NS6detail17trampoline_kernelINS0_13select_configILj256ELj13ELNS0_17block_load_methodE3ELS4_3ELS4_3ELNS0_20block_scan_algorithmE0ELj4294967295EEENS1_25partition_config_selectorILNS1_17partition_subalgoE4EjNS0_10empty_typeEbEEZZNS1_14partition_implILS8_4ELb0ES6_15HIP_vector_typeIjLj2EENS0_17counting_iteratorIjlEEPS9_SG_NS0_5tupleIJPjSI_NS0_16reverse_iteratorISI_EEEEENSH_IJSG_SG_SG_EEES9_SI_JZNS1_25segmented_radix_sort_implINS0_14default_configELb0EPKhPhPKlPlN2at6native12_GLOBAL__N_18offset_tEEE10hipError_tPvRmT1_PNSt15iterator_traitsIS12_E10value_typeET2_T3_PNS13_IS18_E10value_typeET4_jRbjT5_S1E_jjP12ihipStream_tbEUljE_ZNSN_ISO_Lb0ESQ_SR_ST_SU_SY_EESZ_S10_S11_S12_S16_S17_S18_S1B_S1C_jS1D_jS1E_S1E_jjS1G_bEUljE0_EEESZ_S10_S11_S18_S1C_S1E_T6_T7_T9_mT8_S1G_bDpT10_ENKUlT_T0_E_clISt17integral_constantIbLb0EES1U_EEDaS1P_S1Q_EUlS1P_E_NS1_11comp_targetILNS1_3genE9ELNS1_11target_archE1100ELNS1_3gpuE3ELNS1_3repE0EEENS1_30default_config_static_selectorELNS0_4arch9wavefront6targetE0EEEvS12_
    .private_segment_fixed_size: 0
    .sgpr_count:     0
    .sgpr_spill_count: 0
    .symbol:         _ZN7rocprim17ROCPRIM_400000_NS6detail17trampoline_kernelINS0_13select_configILj256ELj13ELNS0_17block_load_methodE3ELS4_3ELS4_3ELNS0_20block_scan_algorithmE0ELj4294967295EEENS1_25partition_config_selectorILNS1_17partition_subalgoE4EjNS0_10empty_typeEbEEZZNS1_14partition_implILS8_4ELb0ES6_15HIP_vector_typeIjLj2EENS0_17counting_iteratorIjlEEPS9_SG_NS0_5tupleIJPjSI_NS0_16reverse_iteratorISI_EEEEENSH_IJSG_SG_SG_EEES9_SI_JZNS1_25segmented_radix_sort_implINS0_14default_configELb0EPKhPhPKlPlN2at6native12_GLOBAL__N_18offset_tEEE10hipError_tPvRmT1_PNSt15iterator_traitsIS12_E10value_typeET2_T3_PNS13_IS18_E10value_typeET4_jRbjT5_S1E_jjP12ihipStream_tbEUljE_ZNSN_ISO_Lb0ESQ_SR_ST_SU_SY_EESZ_S10_S11_S12_S16_S17_S18_S1B_S1C_jS1D_jS1E_S1E_jjS1G_bEUljE0_EEESZ_S10_S11_S18_S1C_S1E_T6_T7_T9_mT8_S1G_bDpT10_ENKUlT_T0_E_clISt17integral_constantIbLb0EES1U_EEDaS1P_S1Q_EUlS1P_E_NS1_11comp_targetILNS1_3genE9ELNS1_11target_archE1100ELNS1_3gpuE3ELNS1_3repE0EEENS1_30default_config_static_selectorELNS0_4arch9wavefront6targetE0EEEvS12_.kd
    .uniform_work_group_size: 1
    .uses_dynamic_stack: false
    .vgpr_count:     0
    .vgpr_spill_count: 0
    .wavefront_size: 32
    .workgroup_processor_mode: 1
  - .args:
      - .offset:         0
        .size:           176
        .value_kind:     by_value
    .group_segment_fixed_size: 0
    .kernarg_segment_align: 8
    .kernarg_segment_size: 176
    .language:       OpenCL C
    .language_version:
      - 2
      - 0
    .max_flat_workgroup_size: 256
    .name:           _ZN7rocprim17ROCPRIM_400000_NS6detail17trampoline_kernelINS0_13select_configILj256ELj13ELNS0_17block_load_methodE3ELS4_3ELS4_3ELNS0_20block_scan_algorithmE0ELj4294967295EEENS1_25partition_config_selectorILNS1_17partition_subalgoE4EjNS0_10empty_typeEbEEZZNS1_14partition_implILS8_4ELb0ES6_15HIP_vector_typeIjLj2EENS0_17counting_iteratorIjlEEPS9_SG_NS0_5tupleIJPjSI_NS0_16reverse_iteratorISI_EEEEENSH_IJSG_SG_SG_EEES9_SI_JZNS1_25segmented_radix_sort_implINS0_14default_configELb0EPKhPhPKlPlN2at6native12_GLOBAL__N_18offset_tEEE10hipError_tPvRmT1_PNSt15iterator_traitsIS12_E10value_typeET2_T3_PNS13_IS18_E10value_typeET4_jRbjT5_S1E_jjP12ihipStream_tbEUljE_ZNSN_ISO_Lb0ESQ_SR_ST_SU_SY_EESZ_S10_S11_S12_S16_S17_S18_S1B_S1C_jS1D_jS1E_S1E_jjS1G_bEUljE0_EEESZ_S10_S11_S18_S1C_S1E_T6_T7_T9_mT8_S1G_bDpT10_ENKUlT_T0_E_clISt17integral_constantIbLb0EES1U_EEDaS1P_S1Q_EUlS1P_E_NS1_11comp_targetILNS1_3genE8ELNS1_11target_archE1030ELNS1_3gpuE2ELNS1_3repE0EEENS1_30default_config_static_selectorELNS0_4arch9wavefront6targetE0EEEvS12_
    .private_segment_fixed_size: 0
    .sgpr_count:     0
    .sgpr_spill_count: 0
    .symbol:         _ZN7rocprim17ROCPRIM_400000_NS6detail17trampoline_kernelINS0_13select_configILj256ELj13ELNS0_17block_load_methodE3ELS4_3ELS4_3ELNS0_20block_scan_algorithmE0ELj4294967295EEENS1_25partition_config_selectorILNS1_17partition_subalgoE4EjNS0_10empty_typeEbEEZZNS1_14partition_implILS8_4ELb0ES6_15HIP_vector_typeIjLj2EENS0_17counting_iteratorIjlEEPS9_SG_NS0_5tupleIJPjSI_NS0_16reverse_iteratorISI_EEEEENSH_IJSG_SG_SG_EEES9_SI_JZNS1_25segmented_radix_sort_implINS0_14default_configELb0EPKhPhPKlPlN2at6native12_GLOBAL__N_18offset_tEEE10hipError_tPvRmT1_PNSt15iterator_traitsIS12_E10value_typeET2_T3_PNS13_IS18_E10value_typeET4_jRbjT5_S1E_jjP12ihipStream_tbEUljE_ZNSN_ISO_Lb0ESQ_SR_ST_SU_SY_EESZ_S10_S11_S12_S16_S17_S18_S1B_S1C_jS1D_jS1E_S1E_jjS1G_bEUljE0_EEESZ_S10_S11_S18_S1C_S1E_T6_T7_T9_mT8_S1G_bDpT10_ENKUlT_T0_E_clISt17integral_constantIbLb0EES1U_EEDaS1P_S1Q_EUlS1P_E_NS1_11comp_targetILNS1_3genE8ELNS1_11target_archE1030ELNS1_3gpuE2ELNS1_3repE0EEENS1_30default_config_static_selectorELNS0_4arch9wavefront6targetE0EEEvS12_.kd
    .uniform_work_group_size: 1
    .uses_dynamic_stack: false
    .vgpr_count:     0
    .vgpr_spill_count: 0
    .wavefront_size: 32
    .workgroup_processor_mode: 1
  - .args:
      - .offset:         0
        .size:           184
        .value_kind:     by_value
    .group_segment_fixed_size: 0
    .kernarg_segment_align: 8
    .kernarg_segment_size: 184
    .language:       OpenCL C
    .language_version:
      - 2
      - 0
    .max_flat_workgroup_size: 256
    .name:           _ZN7rocprim17ROCPRIM_400000_NS6detail17trampoline_kernelINS0_13select_configILj256ELj13ELNS0_17block_load_methodE3ELS4_3ELS4_3ELNS0_20block_scan_algorithmE0ELj4294967295EEENS1_25partition_config_selectorILNS1_17partition_subalgoE4EjNS0_10empty_typeEbEEZZNS1_14partition_implILS8_4ELb0ES6_15HIP_vector_typeIjLj2EENS0_17counting_iteratorIjlEEPS9_SG_NS0_5tupleIJPjSI_NS0_16reverse_iteratorISI_EEEEENSH_IJSG_SG_SG_EEES9_SI_JZNS1_25segmented_radix_sort_implINS0_14default_configELb0EPKhPhPKlPlN2at6native12_GLOBAL__N_18offset_tEEE10hipError_tPvRmT1_PNSt15iterator_traitsIS12_E10value_typeET2_T3_PNS13_IS18_E10value_typeET4_jRbjT5_S1E_jjP12ihipStream_tbEUljE_ZNSN_ISO_Lb0ESQ_SR_ST_SU_SY_EESZ_S10_S11_S12_S16_S17_S18_S1B_S1C_jS1D_jS1E_S1E_jjS1G_bEUljE0_EEESZ_S10_S11_S18_S1C_S1E_T6_T7_T9_mT8_S1G_bDpT10_ENKUlT_T0_E_clISt17integral_constantIbLb1EES1U_EEDaS1P_S1Q_EUlS1P_E_NS1_11comp_targetILNS1_3genE0ELNS1_11target_archE4294967295ELNS1_3gpuE0ELNS1_3repE0EEENS1_30default_config_static_selectorELNS0_4arch9wavefront6targetE0EEEvS12_
    .private_segment_fixed_size: 0
    .sgpr_count:     0
    .sgpr_spill_count: 0
    .symbol:         _ZN7rocprim17ROCPRIM_400000_NS6detail17trampoline_kernelINS0_13select_configILj256ELj13ELNS0_17block_load_methodE3ELS4_3ELS4_3ELNS0_20block_scan_algorithmE0ELj4294967295EEENS1_25partition_config_selectorILNS1_17partition_subalgoE4EjNS0_10empty_typeEbEEZZNS1_14partition_implILS8_4ELb0ES6_15HIP_vector_typeIjLj2EENS0_17counting_iteratorIjlEEPS9_SG_NS0_5tupleIJPjSI_NS0_16reverse_iteratorISI_EEEEENSH_IJSG_SG_SG_EEES9_SI_JZNS1_25segmented_radix_sort_implINS0_14default_configELb0EPKhPhPKlPlN2at6native12_GLOBAL__N_18offset_tEEE10hipError_tPvRmT1_PNSt15iterator_traitsIS12_E10value_typeET2_T3_PNS13_IS18_E10value_typeET4_jRbjT5_S1E_jjP12ihipStream_tbEUljE_ZNSN_ISO_Lb0ESQ_SR_ST_SU_SY_EESZ_S10_S11_S12_S16_S17_S18_S1B_S1C_jS1D_jS1E_S1E_jjS1G_bEUljE0_EEESZ_S10_S11_S18_S1C_S1E_T6_T7_T9_mT8_S1G_bDpT10_ENKUlT_T0_E_clISt17integral_constantIbLb1EES1U_EEDaS1P_S1Q_EUlS1P_E_NS1_11comp_targetILNS1_3genE0ELNS1_11target_archE4294967295ELNS1_3gpuE0ELNS1_3repE0EEENS1_30default_config_static_selectorELNS0_4arch9wavefront6targetE0EEEvS12_.kd
    .uniform_work_group_size: 1
    .uses_dynamic_stack: false
    .vgpr_count:     0
    .vgpr_spill_count: 0
    .wavefront_size: 32
    .workgroup_processor_mode: 1
  - .args:
      - .offset:         0
        .size:           184
        .value_kind:     by_value
    .group_segment_fixed_size: 0
    .kernarg_segment_align: 8
    .kernarg_segment_size: 184
    .language:       OpenCL C
    .language_version:
      - 2
      - 0
    .max_flat_workgroup_size: 256
    .name:           _ZN7rocprim17ROCPRIM_400000_NS6detail17trampoline_kernelINS0_13select_configILj256ELj13ELNS0_17block_load_methodE3ELS4_3ELS4_3ELNS0_20block_scan_algorithmE0ELj4294967295EEENS1_25partition_config_selectorILNS1_17partition_subalgoE4EjNS0_10empty_typeEbEEZZNS1_14partition_implILS8_4ELb0ES6_15HIP_vector_typeIjLj2EENS0_17counting_iteratorIjlEEPS9_SG_NS0_5tupleIJPjSI_NS0_16reverse_iteratorISI_EEEEENSH_IJSG_SG_SG_EEES9_SI_JZNS1_25segmented_radix_sort_implINS0_14default_configELb0EPKhPhPKlPlN2at6native12_GLOBAL__N_18offset_tEEE10hipError_tPvRmT1_PNSt15iterator_traitsIS12_E10value_typeET2_T3_PNS13_IS18_E10value_typeET4_jRbjT5_S1E_jjP12ihipStream_tbEUljE_ZNSN_ISO_Lb0ESQ_SR_ST_SU_SY_EESZ_S10_S11_S12_S16_S17_S18_S1B_S1C_jS1D_jS1E_S1E_jjS1G_bEUljE0_EEESZ_S10_S11_S18_S1C_S1E_T6_T7_T9_mT8_S1G_bDpT10_ENKUlT_T0_E_clISt17integral_constantIbLb1EES1U_EEDaS1P_S1Q_EUlS1P_E_NS1_11comp_targetILNS1_3genE5ELNS1_11target_archE942ELNS1_3gpuE9ELNS1_3repE0EEENS1_30default_config_static_selectorELNS0_4arch9wavefront6targetE0EEEvS12_
    .private_segment_fixed_size: 0
    .sgpr_count:     0
    .sgpr_spill_count: 0
    .symbol:         _ZN7rocprim17ROCPRIM_400000_NS6detail17trampoline_kernelINS0_13select_configILj256ELj13ELNS0_17block_load_methodE3ELS4_3ELS4_3ELNS0_20block_scan_algorithmE0ELj4294967295EEENS1_25partition_config_selectorILNS1_17partition_subalgoE4EjNS0_10empty_typeEbEEZZNS1_14partition_implILS8_4ELb0ES6_15HIP_vector_typeIjLj2EENS0_17counting_iteratorIjlEEPS9_SG_NS0_5tupleIJPjSI_NS0_16reverse_iteratorISI_EEEEENSH_IJSG_SG_SG_EEES9_SI_JZNS1_25segmented_radix_sort_implINS0_14default_configELb0EPKhPhPKlPlN2at6native12_GLOBAL__N_18offset_tEEE10hipError_tPvRmT1_PNSt15iterator_traitsIS12_E10value_typeET2_T3_PNS13_IS18_E10value_typeET4_jRbjT5_S1E_jjP12ihipStream_tbEUljE_ZNSN_ISO_Lb0ESQ_SR_ST_SU_SY_EESZ_S10_S11_S12_S16_S17_S18_S1B_S1C_jS1D_jS1E_S1E_jjS1G_bEUljE0_EEESZ_S10_S11_S18_S1C_S1E_T6_T7_T9_mT8_S1G_bDpT10_ENKUlT_T0_E_clISt17integral_constantIbLb1EES1U_EEDaS1P_S1Q_EUlS1P_E_NS1_11comp_targetILNS1_3genE5ELNS1_11target_archE942ELNS1_3gpuE9ELNS1_3repE0EEENS1_30default_config_static_selectorELNS0_4arch9wavefront6targetE0EEEvS12_.kd
    .uniform_work_group_size: 1
    .uses_dynamic_stack: false
    .vgpr_count:     0
    .vgpr_spill_count: 0
    .wavefront_size: 32
    .workgroup_processor_mode: 1
  - .args:
      - .offset:         0
        .size:           184
        .value_kind:     by_value
    .group_segment_fixed_size: 0
    .kernarg_segment_align: 8
    .kernarg_segment_size: 184
    .language:       OpenCL C
    .language_version:
      - 2
      - 0
    .max_flat_workgroup_size: 256
    .name:           _ZN7rocprim17ROCPRIM_400000_NS6detail17trampoline_kernelINS0_13select_configILj256ELj13ELNS0_17block_load_methodE3ELS4_3ELS4_3ELNS0_20block_scan_algorithmE0ELj4294967295EEENS1_25partition_config_selectorILNS1_17partition_subalgoE4EjNS0_10empty_typeEbEEZZNS1_14partition_implILS8_4ELb0ES6_15HIP_vector_typeIjLj2EENS0_17counting_iteratorIjlEEPS9_SG_NS0_5tupleIJPjSI_NS0_16reverse_iteratorISI_EEEEENSH_IJSG_SG_SG_EEES9_SI_JZNS1_25segmented_radix_sort_implINS0_14default_configELb0EPKhPhPKlPlN2at6native12_GLOBAL__N_18offset_tEEE10hipError_tPvRmT1_PNSt15iterator_traitsIS12_E10value_typeET2_T3_PNS13_IS18_E10value_typeET4_jRbjT5_S1E_jjP12ihipStream_tbEUljE_ZNSN_ISO_Lb0ESQ_SR_ST_SU_SY_EESZ_S10_S11_S12_S16_S17_S18_S1B_S1C_jS1D_jS1E_S1E_jjS1G_bEUljE0_EEESZ_S10_S11_S18_S1C_S1E_T6_T7_T9_mT8_S1G_bDpT10_ENKUlT_T0_E_clISt17integral_constantIbLb1EES1U_EEDaS1P_S1Q_EUlS1P_E_NS1_11comp_targetILNS1_3genE4ELNS1_11target_archE910ELNS1_3gpuE8ELNS1_3repE0EEENS1_30default_config_static_selectorELNS0_4arch9wavefront6targetE0EEEvS12_
    .private_segment_fixed_size: 0
    .sgpr_count:     0
    .sgpr_spill_count: 0
    .symbol:         _ZN7rocprim17ROCPRIM_400000_NS6detail17trampoline_kernelINS0_13select_configILj256ELj13ELNS0_17block_load_methodE3ELS4_3ELS4_3ELNS0_20block_scan_algorithmE0ELj4294967295EEENS1_25partition_config_selectorILNS1_17partition_subalgoE4EjNS0_10empty_typeEbEEZZNS1_14partition_implILS8_4ELb0ES6_15HIP_vector_typeIjLj2EENS0_17counting_iteratorIjlEEPS9_SG_NS0_5tupleIJPjSI_NS0_16reverse_iteratorISI_EEEEENSH_IJSG_SG_SG_EEES9_SI_JZNS1_25segmented_radix_sort_implINS0_14default_configELb0EPKhPhPKlPlN2at6native12_GLOBAL__N_18offset_tEEE10hipError_tPvRmT1_PNSt15iterator_traitsIS12_E10value_typeET2_T3_PNS13_IS18_E10value_typeET4_jRbjT5_S1E_jjP12ihipStream_tbEUljE_ZNSN_ISO_Lb0ESQ_SR_ST_SU_SY_EESZ_S10_S11_S12_S16_S17_S18_S1B_S1C_jS1D_jS1E_S1E_jjS1G_bEUljE0_EEESZ_S10_S11_S18_S1C_S1E_T6_T7_T9_mT8_S1G_bDpT10_ENKUlT_T0_E_clISt17integral_constantIbLb1EES1U_EEDaS1P_S1Q_EUlS1P_E_NS1_11comp_targetILNS1_3genE4ELNS1_11target_archE910ELNS1_3gpuE8ELNS1_3repE0EEENS1_30default_config_static_selectorELNS0_4arch9wavefront6targetE0EEEvS12_.kd
    .uniform_work_group_size: 1
    .uses_dynamic_stack: false
    .vgpr_count:     0
    .vgpr_spill_count: 0
    .wavefront_size: 32
    .workgroup_processor_mode: 1
  - .args:
      - .offset:         0
        .size:           184
        .value_kind:     by_value
    .group_segment_fixed_size: 0
    .kernarg_segment_align: 8
    .kernarg_segment_size: 184
    .language:       OpenCL C
    .language_version:
      - 2
      - 0
    .max_flat_workgroup_size: 256
    .name:           _ZN7rocprim17ROCPRIM_400000_NS6detail17trampoline_kernelINS0_13select_configILj256ELj13ELNS0_17block_load_methodE3ELS4_3ELS4_3ELNS0_20block_scan_algorithmE0ELj4294967295EEENS1_25partition_config_selectorILNS1_17partition_subalgoE4EjNS0_10empty_typeEbEEZZNS1_14partition_implILS8_4ELb0ES6_15HIP_vector_typeIjLj2EENS0_17counting_iteratorIjlEEPS9_SG_NS0_5tupleIJPjSI_NS0_16reverse_iteratorISI_EEEEENSH_IJSG_SG_SG_EEES9_SI_JZNS1_25segmented_radix_sort_implINS0_14default_configELb0EPKhPhPKlPlN2at6native12_GLOBAL__N_18offset_tEEE10hipError_tPvRmT1_PNSt15iterator_traitsIS12_E10value_typeET2_T3_PNS13_IS18_E10value_typeET4_jRbjT5_S1E_jjP12ihipStream_tbEUljE_ZNSN_ISO_Lb0ESQ_SR_ST_SU_SY_EESZ_S10_S11_S12_S16_S17_S18_S1B_S1C_jS1D_jS1E_S1E_jjS1G_bEUljE0_EEESZ_S10_S11_S18_S1C_S1E_T6_T7_T9_mT8_S1G_bDpT10_ENKUlT_T0_E_clISt17integral_constantIbLb1EES1U_EEDaS1P_S1Q_EUlS1P_E_NS1_11comp_targetILNS1_3genE3ELNS1_11target_archE908ELNS1_3gpuE7ELNS1_3repE0EEENS1_30default_config_static_selectorELNS0_4arch9wavefront6targetE0EEEvS12_
    .private_segment_fixed_size: 0
    .sgpr_count:     0
    .sgpr_spill_count: 0
    .symbol:         _ZN7rocprim17ROCPRIM_400000_NS6detail17trampoline_kernelINS0_13select_configILj256ELj13ELNS0_17block_load_methodE3ELS4_3ELS4_3ELNS0_20block_scan_algorithmE0ELj4294967295EEENS1_25partition_config_selectorILNS1_17partition_subalgoE4EjNS0_10empty_typeEbEEZZNS1_14partition_implILS8_4ELb0ES6_15HIP_vector_typeIjLj2EENS0_17counting_iteratorIjlEEPS9_SG_NS0_5tupleIJPjSI_NS0_16reverse_iteratorISI_EEEEENSH_IJSG_SG_SG_EEES9_SI_JZNS1_25segmented_radix_sort_implINS0_14default_configELb0EPKhPhPKlPlN2at6native12_GLOBAL__N_18offset_tEEE10hipError_tPvRmT1_PNSt15iterator_traitsIS12_E10value_typeET2_T3_PNS13_IS18_E10value_typeET4_jRbjT5_S1E_jjP12ihipStream_tbEUljE_ZNSN_ISO_Lb0ESQ_SR_ST_SU_SY_EESZ_S10_S11_S12_S16_S17_S18_S1B_S1C_jS1D_jS1E_S1E_jjS1G_bEUljE0_EEESZ_S10_S11_S18_S1C_S1E_T6_T7_T9_mT8_S1G_bDpT10_ENKUlT_T0_E_clISt17integral_constantIbLb1EES1U_EEDaS1P_S1Q_EUlS1P_E_NS1_11comp_targetILNS1_3genE3ELNS1_11target_archE908ELNS1_3gpuE7ELNS1_3repE0EEENS1_30default_config_static_selectorELNS0_4arch9wavefront6targetE0EEEvS12_.kd
    .uniform_work_group_size: 1
    .uses_dynamic_stack: false
    .vgpr_count:     0
    .vgpr_spill_count: 0
    .wavefront_size: 32
    .workgroup_processor_mode: 1
  - .args:
      - .offset:         0
        .size:           184
        .value_kind:     by_value
    .group_segment_fixed_size: 0
    .kernarg_segment_align: 8
    .kernarg_segment_size: 184
    .language:       OpenCL C
    .language_version:
      - 2
      - 0
    .max_flat_workgroup_size: 256
    .name:           _ZN7rocprim17ROCPRIM_400000_NS6detail17trampoline_kernelINS0_13select_configILj256ELj13ELNS0_17block_load_methodE3ELS4_3ELS4_3ELNS0_20block_scan_algorithmE0ELj4294967295EEENS1_25partition_config_selectorILNS1_17partition_subalgoE4EjNS0_10empty_typeEbEEZZNS1_14partition_implILS8_4ELb0ES6_15HIP_vector_typeIjLj2EENS0_17counting_iteratorIjlEEPS9_SG_NS0_5tupleIJPjSI_NS0_16reverse_iteratorISI_EEEEENSH_IJSG_SG_SG_EEES9_SI_JZNS1_25segmented_radix_sort_implINS0_14default_configELb0EPKhPhPKlPlN2at6native12_GLOBAL__N_18offset_tEEE10hipError_tPvRmT1_PNSt15iterator_traitsIS12_E10value_typeET2_T3_PNS13_IS18_E10value_typeET4_jRbjT5_S1E_jjP12ihipStream_tbEUljE_ZNSN_ISO_Lb0ESQ_SR_ST_SU_SY_EESZ_S10_S11_S12_S16_S17_S18_S1B_S1C_jS1D_jS1E_S1E_jjS1G_bEUljE0_EEESZ_S10_S11_S18_S1C_S1E_T6_T7_T9_mT8_S1G_bDpT10_ENKUlT_T0_E_clISt17integral_constantIbLb1EES1U_EEDaS1P_S1Q_EUlS1P_E_NS1_11comp_targetILNS1_3genE2ELNS1_11target_archE906ELNS1_3gpuE6ELNS1_3repE0EEENS1_30default_config_static_selectorELNS0_4arch9wavefront6targetE0EEEvS12_
    .private_segment_fixed_size: 0
    .sgpr_count:     0
    .sgpr_spill_count: 0
    .symbol:         _ZN7rocprim17ROCPRIM_400000_NS6detail17trampoline_kernelINS0_13select_configILj256ELj13ELNS0_17block_load_methodE3ELS4_3ELS4_3ELNS0_20block_scan_algorithmE0ELj4294967295EEENS1_25partition_config_selectorILNS1_17partition_subalgoE4EjNS0_10empty_typeEbEEZZNS1_14partition_implILS8_4ELb0ES6_15HIP_vector_typeIjLj2EENS0_17counting_iteratorIjlEEPS9_SG_NS0_5tupleIJPjSI_NS0_16reverse_iteratorISI_EEEEENSH_IJSG_SG_SG_EEES9_SI_JZNS1_25segmented_radix_sort_implINS0_14default_configELb0EPKhPhPKlPlN2at6native12_GLOBAL__N_18offset_tEEE10hipError_tPvRmT1_PNSt15iterator_traitsIS12_E10value_typeET2_T3_PNS13_IS18_E10value_typeET4_jRbjT5_S1E_jjP12ihipStream_tbEUljE_ZNSN_ISO_Lb0ESQ_SR_ST_SU_SY_EESZ_S10_S11_S12_S16_S17_S18_S1B_S1C_jS1D_jS1E_S1E_jjS1G_bEUljE0_EEESZ_S10_S11_S18_S1C_S1E_T6_T7_T9_mT8_S1G_bDpT10_ENKUlT_T0_E_clISt17integral_constantIbLb1EES1U_EEDaS1P_S1Q_EUlS1P_E_NS1_11comp_targetILNS1_3genE2ELNS1_11target_archE906ELNS1_3gpuE6ELNS1_3repE0EEENS1_30default_config_static_selectorELNS0_4arch9wavefront6targetE0EEEvS12_.kd
    .uniform_work_group_size: 1
    .uses_dynamic_stack: false
    .vgpr_count:     0
    .vgpr_spill_count: 0
    .wavefront_size: 32
    .workgroup_processor_mode: 1
  - .args:
      - .offset:         0
        .size:           184
        .value_kind:     by_value
    .group_segment_fixed_size: 0
    .kernarg_segment_align: 8
    .kernarg_segment_size: 184
    .language:       OpenCL C
    .language_version:
      - 2
      - 0
    .max_flat_workgroup_size: 256
    .name:           _ZN7rocprim17ROCPRIM_400000_NS6detail17trampoline_kernelINS0_13select_configILj256ELj13ELNS0_17block_load_methodE3ELS4_3ELS4_3ELNS0_20block_scan_algorithmE0ELj4294967295EEENS1_25partition_config_selectorILNS1_17partition_subalgoE4EjNS0_10empty_typeEbEEZZNS1_14partition_implILS8_4ELb0ES6_15HIP_vector_typeIjLj2EENS0_17counting_iteratorIjlEEPS9_SG_NS0_5tupleIJPjSI_NS0_16reverse_iteratorISI_EEEEENSH_IJSG_SG_SG_EEES9_SI_JZNS1_25segmented_radix_sort_implINS0_14default_configELb0EPKhPhPKlPlN2at6native12_GLOBAL__N_18offset_tEEE10hipError_tPvRmT1_PNSt15iterator_traitsIS12_E10value_typeET2_T3_PNS13_IS18_E10value_typeET4_jRbjT5_S1E_jjP12ihipStream_tbEUljE_ZNSN_ISO_Lb0ESQ_SR_ST_SU_SY_EESZ_S10_S11_S12_S16_S17_S18_S1B_S1C_jS1D_jS1E_S1E_jjS1G_bEUljE0_EEESZ_S10_S11_S18_S1C_S1E_T6_T7_T9_mT8_S1G_bDpT10_ENKUlT_T0_E_clISt17integral_constantIbLb1EES1U_EEDaS1P_S1Q_EUlS1P_E_NS1_11comp_targetILNS1_3genE10ELNS1_11target_archE1200ELNS1_3gpuE4ELNS1_3repE0EEENS1_30default_config_static_selectorELNS0_4arch9wavefront6targetE0EEEvS12_
    .private_segment_fixed_size: 0
    .sgpr_count:     0
    .sgpr_spill_count: 0
    .symbol:         _ZN7rocprim17ROCPRIM_400000_NS6detail17trampoline_kernelINS0_13select_configILj256ELj13ELNS0_17block_load_methodE3ELS4_3ELS4_3ELNS0_20block_scan_algorithmE0ELj4294967295EEENS1_25partition_config_selectorILNS1_17partition_subalgoE4EjNS0_10empty_typeEbEEZZNS1_14partition_implILS8_4ELb0ES6_15HIP_vector_typeIjLj2EENS0_17counting_iteratorIjlEEPS9_SG_NS0_5tupleIJPjSI_NS0_16reverse_iteratorISI_EEEEENSH_IJSG_SG_SG_EEES9_SI_JZNS1_25segmented_radix_sort_implINS0_14default_configELb0EPKhPhPKlPlN2at6native12_GLOBAL__N_18offset_tEEE10hipError_tPvRmT1_PNSt15iterator_traitsIS12_E10value_typeET2_T3_PNS13_IS18_E10value_typeET4_jRbjT5_S1E_jjP12ihipStream_tbEUljE_ZNSN_ISO_Lb0ESQ_SR_ST_SU_SY_EESZ_S10_S11_S12_S16_S17_S18_S1B_S1C_jS1D_jS1E_S1E_jjS1G_bEUljE0_EEESZ_S10_S11_S18_S1C_S1E_T6_T7_T9_mT8_S1G_bDpT10_ENKUlT_T0_E_clISt17integral_constantIbLb1EES1U_EEDaS1P_S1Q_EUlS1P_E_NS1_11comp_targetILNS1_3genE10ELNS1_11target_archE1200ELNS1_3gpuE4ELNS1_3repE0EEENS1_30default_config_static_selectorELNS0_4arch9wavefront6targetE0EEEvS12_.kd
    .uniform_work_group_size: 1
    .uses_dynamic_stack: false
    .vgpr_count:     0
    .vgpr_spill_count: 0
    .wavefront_size: 32
    .workgroup_processor_mode: 1
  - .args:
      - .offset:         0
        .size:           184
        .value_kind:     by_value
    .group_segment_fixed_size: 0
    .kernarg_segment_align: 8
    .kernarg_segment_size: 184
    .language:       OpenCL C
    .language_version:
      - 2
      - 0
    .max_flat_workgroup_size: 256
    .name:           _ZN7rocprim17ROCPRIM_400000_NS6detail17trampoline_kernelINS0_13select_configILj256ELj13ELNS0_17block_load_methodE3ELS4_3ELS4_3ELNS0_20block_scan_algorithmE0ELj4294967295EEENS1_25partition_config_selectorILNS1_17partition_subalgoE4EjNS0_10empty_typeEbEEZZNS1_14partition_implILS8_4ELb0ES6_15HIP_vector_typeIjLj2EENS0_17counting_iteratorIjlEEPS9_SG_NS0_5tupleIJPjSI_NS0_16reverse_iteratorISI_EEEEENSH_IJSG_SG_SG_EEES9_SI_JZNS1_25segmented_radix_sort_implINS0_14default_configELb0EPKhPhPKlPlN2at6native12_GLOBAL__N_18offset_tEEE10hipError_tPvRmT1_PNSt15iterator_traitsIS12_E10value_typeET2_T3_PNS13_IS18_E10value_typeET4_jRbjT5_S1E_jjP12ihipStream_tbEUljE_ZNSN_ISO_Lb0ESQ_SR_ST_SU_SY_EESZ_S10_S11_S12_S16_S17_S18_S1B_S1C_jS1D_jS1E_S1E_jjS1G_bEUljE0_EEESZ_S10_S11_S18_S1C_S1E_T6_T7_T9_mT8_S1G_bDpT10_ENKUlT_T0_E_clISt17integral_constantIbLb1EES1U_EEDaS1P_S1Q_EUlS1P_E_NS1_11comp_targetILNS1_3genE9ELNS1_11target_archE1100ELNS1_3gpuE3ELNS1_3repE0EEENS1_30default_config_static_selectorELNS0_4arch9wavefront6targetE0EEEvS12_
    .private_segment_fixed_size: 0
    .sgpr_count:     0
    .sgpr_spill_count: 0
    .symbol:         _ZN7rocprim17ROCPRIM_400000_NS6detail17trampoline_kernelINS0_13select_configILj256ELj13ELNS0_17block_load_methodE3ELS4_3ELS4_3ELNS0_20block_scan_algorithmE0ELj4294967295EEENS1_25partition_config_selectorILNS1_17partition_subalgoE4EjNS0_10empty_typeEbEEZZNS1_14partition_implILS8_4ELb0ES6_15HIP_vector_typeIjLj2EENS0_17counting_iteratorIjlEEPS9_SG_NS0_5tupleIJPjSI_NS0_16reverse_iteratorISI_EEEEENSH_IJSG_SG_SG_EEES9_SI_JZNS1_25segmented_radix_sort_implINS0_14default_configELb0EPKhPhPKlPlN2at6native12_GLOBAL__N_18offset_tEEE10hipError_tPvRmT1_PNSt15iterator_traitsIS12_E10value_typeET2_T3_PNS13_IS18_E10value_typeET4_jRbjT5_S1E_jjP12ihipStream_tbEUljE_ZNSN_ISO_Lb0ESQ_SR_ST_SU_SY_EESZ_S10_S11_S12_S16_S17_S18_S1B_S1C_jS1D_jS1E_S1E_jjS1G_bEUljE0_EEESZ_S10_S11_S18_S1C_S1E_T6_T7_T9_mT8_S1G_bDpT10_ENKUlT_T0_E_clISt17integral_constantIbLb1EES1U_EEDaS1P_S1Q_EUlS1P_E_NS1_11comp_targetILNS1_3genE9ELNS1_11target_archE1100ELNS1_3gpuE3ELNS1_3repE0EEENS1_30default_config_static_selectorELNS0_4arch9wavefront6targetE0EEEvS12_.kd
    .uniform_work_group_size: 1
    .uses_dynamic_stack: false
    .vgpr_count:     0
    .vgpr_spill_count: 0
    .wavefront_size: 32
    .workgroup_processor_mode: 1
  - .args:
      - .offset:         0
        .size:           184
        .value_kind:     by_value
    .group_segment_fixed_size: 0
    .kernarg_segment_align: 8
    .kernarg_segment_size: 184
    .language:       OpenCL C
    .language_version:
      - 2
      - 0
    .max_flat_workgroup_size: 256
    .name:           _ZN7rocprim17ROCPRIM_400000_NS6detail17trampoline_kernelINS0_13select_configILj256ELj13ELNS0_17block_load_methodE3ELS4_3ELS4_3ELNS0_20block_scan_algorithmE0ELj4294967295EEENS1_25partition_config_selectorILNS1_17partition_subalgoE4EjNS0_10empty_typeEbEEZZNS1_14partition_implILS8_4ELb0ES6_15HIP_vector_typeIjLj2EENS0_17counting_iteratorIjlEEPS9_SG_NS0_5tupleIJPjSI_NS0_16reverse_iteratorISI_EEEEENSH_IJSG_SG_SG_EEES9_SI_JZNS1_25segmented_radix_sort_implINS0_14default_configELb0EPKhPhPKlPlN2at6native12_GLOBAL__N_18offset_tEEE10hipError_tPvRmT1_PNSt15iterator_traitsIS12_E10value_typeET2_T3_PNS13_IS18_E10value_typeET4_jRbjT5_S1E_jjP12ihipStream_tbEUljE_ZNSN_ISO_Lb0ESQ_SR_ST_SU_SY_EESZ_S10_S11_S12_S16_S17_S18_S1B_S1C_jS1D_jS1E_S1E_jjS1G_bEUljE0_EEESZ_S10_S11_S18_S1C_S1E_T6_T7_T9_mT8_S1G_bDpT10_ENKUlT_T0_E_clISt17integral_constantIbLb1EES1U_EEDaS1P_S1Q_EUlS1P_E_NS1_11comp_targetILNS1_3genE8ELNS1_11target_archE1030ELNS1_3gpuE2ELNS1_3repE0EEENS1_30default_config_static_selectorELNS0_4arch9wavefront6targetE0EEEvS12_
    .private_segment_fixed_size: 0
    .sgpr_count:     0
    .sgpr_spill_count: 0
    .symbol:         _ZN7rocprim17ROCPRIM_400000_NS6detail17trampoline_kernelINS0_13select_configILj256ELj13ELNS0_17block_load_methodE3ELS4_3ELS4_3ELNS0_20block_scan_algorithmE0ELj4294967295EEENS1_25partition_config_selectorILNS1_17partition_subalgoE4EjNS0_10empty_typeEbEEZZNS1_14partition_implILS8_4ELb0ES6_15HIP_vector_typeIjLj2EENS0_17counting_iteratorIjlEEPS9_SG_NS0_5tupleIJPjSI_NS0_16reverse_iteratorISI_EEEEENSH_IJSG_SG_SG_EEES9_SI_JZNS1_25segmented_radix_sort_implINS0_14default_configELb0EPKhPhPKlPlN2at6native12_GLOBAL__N_18offset_tEEE10hipError_tPvRmT1_PNSt15iterator_traitsIS12_E10value_typeET2_T3_PNS13_IS18_E10value_typeET4_jRbjT5_S1E_jjP12ihipStream_tbEUljE_ZNSN_ISO_Lb0ESQ_SR_ST_SU_SY_EESZ_S10_S11_S12_S16_S17_S18_S1B_S1C_jS1D_jS1E_S1E_jjS1G_bEUljE0_EEESZ_S10_S11_S18_S1C_S1E_T6_T7_T9_mT8_S1G_bDpT10_ENKUlT_T0_E_clISt17integral_constantIbLb1EES1U_EEDaS1P_S1Q_EUlS1P_E_NS1_11comp_targetILNS1_3genE8ELNS1_11target_archE1030ELNS1_3gpuE2ELNS1_3repE0EEENS1_30default_config_static_selectorELNS0_4arch9wavefront6targetE0EEEvS12_.kd
    .uniform_work_group_size: 1
    .uses_dynamic_stack: false
    .vgpr_count:     0
    .vgpr_spill_count: 0
    .wavefront_size: 32
    .workgroup_processor_mode: 1
  - .args:
      - .offset:         0
        .size:           176
        .value_kind:     by_value
    .group_segment_fixed_size: 0
    .kernarg_segment_align: 8
    .kernarg_segment_size: 176
    .language:       OpenCL C
    .language_version:
      - 2
      - 0
    .max_flat_workgroup_size: 256
    .name:           _ZN7rocprim17ROCPRIM_400000_NS6detail17trampoline_kernelINS0_13select_configILj256ELj13ELNS0_17block_load_methodE3ELS4_3ELS4_3ELNS0_20block_scan_algorithmE0ELj4294967295EEENS1_25partition_config_selectorILNS1_17partition_subalgoE4EjNS0_10empty_typeEbEEZZNS1_14partition_implILS8_4ELb0ES6_15HIP_vector_typeIjLj2EENS0_17counting_iteratorIjlEEPS9_SG_NS0_5tupleIJPjSI_NS0_16reverse_iteratorISI_EEEEENSH_IJSG_SG_SG_EEES9_SI_JZNS1_25segmented_radix_sort_implINS0_14default_configELb0EPKhPhPKlPlN2at6native12_GLOBAL__N_18offset_tEEE10hipError_tPvRmT1_PNSt15iterator_traitsIS12_E10value_typeET2_T3_PNS13_IS18_E10value_typeET4_jRbjT5_S1E_jjP12ihipStream_tbEUljE_ZNSN_ISO_Lb0ESQ_SR_ST_SU_SY_EESZ_S10_S11_S12_S16_S17_S18_S1B_S1C_jS1D_jS1E_S1E_jjS1G_bEUljE0_EEESZ_S10_S11_S18_S1C_S1E_T6_T7_T9_mT8_S1G_bDpT10_ENKUlT_T0_E_clISt17integral_constantIbLb1EES1T_IbLb0EEEEDaS1P_S1Q_EUlS1P_E_NS1_11comp_targetILNS1_3genE0ELNS1_11target_archE4294967295ELNS1_3gpuE0ELNS1_3repE0EEENS1_30default_config_static_selectorELNS0_4arch9wavefront6targetE0EEEvS12_
    .private_segment_fixed_size: 0
    .sgpr_count:     0
    .sgpr_spill_count: 0
    .symbol:         _ZN7rocprim17ROCPRIM_400000_NS6detail17trampoline_kernelINS0_13select_configILj256ELj13ELNS0_17block_load_methodE3ELS4_3ELS4_3ELNS0_20block_scan_algorithmE0ELj4294967295EEENS1_25partition_config_selectorILNS1_17partition_subalgoE4EjNS0_10empty_typeEbEEZZNS1_14partition_implILS8_4ELb0ES6_15HIP_vector_typeIjLj2EENS0_17counting_iteratorIjlEEPS9_SG_NS0_5tupleIJPjSI_NS0_16reverse_iteratorISI_EEEEENSH_IJSG_SG_SG_EEES9_SI_JZNS1_25segmented_radix_sort_implINS0_14default_configELb0EPKhPhPKlPlN2at6native12_GLOBAL__N_18offset_tEEE10hipError_tPvRmT1_PNSt15iterator_traitsIS12_E10value_typeET2_T3_PNS13_IS18_E10value_typeET4_jRbjT5_S1E_jjP12ihipStream_tbEUljE_ZNSN_ISO_Lb0ESQ_SR_ST_SU_SY_EESZ_S10_S11_S12_S16_S17_S18_S1B_S1C_jS1D_jS1E_S1E_jjS1G_bEUljE0_EEESZ_S10_S11_S18_S1C_S1E_T6_T7_T9_mT8_S1G_bDpT10_ENKUlT_T0_E_clISt17integral_constantIbLb1EES1T_IbLb0EEEEDaS1P_S1Q_EUlS1P_E_NS1_11comp_targetILNS1_3genE0ELNS1_11target_archE4294967295ELNS1_3gpuE0ELNS1_3repE0EEENS1_30default_config_static_selectorELNS0_4arch9wavefront6targetE0EEEvS12_.kd
    .uniform_work_group_size: 1
    .uses_dynamic_stack: false
    .vgpr_count:     0
    .vgpr_spill_count: 0
    .wavefront_size: 32
    .workgroup_processor_mode: 1
  - .args:
      - .offset:         0
        .size:           176
        .value_kind:     by_value
    .group_segment_fixed_size: 0
    .kernarg_segment_align: 8
    .kernarg_segment_size: 176
    .language:       OpenCL C
    .language_version:
      - 2
      - 0
    .max_flat_workgroup_size: 256
    .name:           _ZN7rocprim17ROCPRIM_400000_NS6detail17trampoline_kernelINS0_13select_configILj256ELj13ELNS0_17block_load_methodE3ELS4_3ELS4_3ELNS0_20block_scan_algorithmE0ELj4294967295EEENS1_25partition_config_selectorILNS1_17partition_subalgoE4EjNS0_10empty_typeEbEEZZNS1_14partition_implILS8_4ELb0ES6_15HIP_vector_typeIjLj2EENS0_17counting_iteratorIjlEEPS9_SG_NS0_5tupleIJPjSI_NS0_16reverse_iteratorISI_EEEEENSH_IJSG_SG_SG_EEES9_SI_JZNS1_25segmented_radix_sort_implINS0_14default_configELb0EPKhPhPKlPlN2at6native12_GLOBAL__N_18offset_tEEE10hipError_tPvRmT1_PNSt15iterator_traitsIS12_E10value_typeET2_T3_PNS13_IS18_E10value_typeET4_jRbjT5_S1E_jjP12ihipStream_tbEUljE_ZNSN_ISO_Lb0ESQ_SR_ST_SU_SY_EESZ_S10_S11_S12_S16_S17_S18_S1B_S1C_jS1D_jS1E_S1E_jjS1G_bEUljE0_EEESZ_S10_S11_S18_S1C_S1E_T6_T7_T9_mT8_S1G_bDpT10_ENKUlT_T0_E_clISt17integral_constantIbLb1EES1T_IbLb0EEEEDaS1P_S1Q_EUlS1P_E_NS1_11comp_targetILNS1_3genE5ELNS1_11target_archE942ELNS1_3gpuE9ELNS1_3repE0EEENS1_30default_config_static_selectorELNS0_4arch9wavefront6targetE0EEEvS12_
    .private_segment_fixed_size: 0
    .sgpr_count:     0
    .sgpr_spill_count: 0
    .symbol:         _ZN7rocprim17ROCPRIM_400000_NS6detail17trampoline_kernelINS0_13select_configILj256ELj13ELNS0_17block_load_methodE3ELS4_3ELS4_3ELNS0_20block_scan_algorithmE0ELj4294967295EEENS1_25partition_config_selectorILNS1_17partition_subalgoE4EjNS0_10empty_typeEbEEZZNS1_14partition_implILS8_4ELb0ES6_15HIP_vector_typeIjLj2EENS0_17counting_iteratorIjlEEPS9_SG_NS0_5tupleIJPjSI_NS0_16reverse_iteratorISI_EEEEENSH_IJSG_SG_SG_EEES9_SI_JZNS1_25segmented_radix_sort_implINS0_14default_configELb0EPKhPhPKlPlN2at6native12_GLOBAL__N_18offset_tEEE10hipError_tPvRmT1_PNSt15iterator_traitsIS12_E10value_typeET2_T3_PNS13_IS18_E10value_typeET4_jRbjT5_S1E_jjP12ihipStream_tbEUljE_ZNSN_ISO_Lb0ESQ_SR_ST_SU_SY_EESZ_S10_S11_S12_S16_S17_S18_S1B_S1C_jS1D_jS1E_S1E_jjS1G_bEUljE0_EEESZ_S10_S11_S18_S1C_S1E_T6_T7_T9_mT8_S1G_bDpT10_ENKUlT_T0_E_clISt17integral_constantIbLb1EES1T_IbLb0EEEEDaS1P_S1Q_EUlS1P_E_NS1_11comp_targetILNS1_3genE5ELNS1_11target_archE942ELNS1_3gpuE9ELNS1_3repE0EEENS1_30default_config_static_selectorELNS0_4arch9wavefront6targetE0EEEvS12_.kd
    .uniform_work_group_size: 1
    .uses_dynamic_stack: false
    .vgpr_count:     0
    .vgpr_spill_count: 0
    .wavefront_size: 32
    .workgroup_processor_mode: 1
  - .args:
      - .offset:         0
        .size:           176
        .value_kind:     by_value
    .group_segment_fixed_size: 0
    .kernarg_segment_align: 8
    .kernarg_segment_size: 176
    .language:       OpenCL C
    .language_version:
      - 2
      - 0
    .max_flat_workgroup_size: 256
    .name:           _ZN7rocprim17ROCPRIM_400000_NS6detail17trampoline_kernelINS0_13select_configILj256ELj13ELNS0_17block_load_methodE3ELS4_3ELS4_3ELNS0_20block_scan_algorithmE0ELj4294967295EEENS1_25partition_config_selectorILNS1_17partition_subalgoE4EjNS0_10empty_typeEbEEZZNS1_14partition_implILS8_4ELb0ES6_15HIP_vector_typeIjLj2EENS0_17counting_iteratorIjlEEPS9_SG_NS0_5tupleIJPjSI_NS0_16reverse_iteratorISI_EEEEENSH_IJSG_SG_SG_EEES9_SI_JZNS1_25segmented_radix_sort_implINS0_14default_configELb0EPKhPhPKlPlN2at6native12_GLOBAL__N_18offset_tEEE10hipError_tPvRmT1_PNSt15iterator_traitsIS12_E10value_typeET2_T3_PNS13_IS18_E10value_typeET4_jRbjT5_S1E_jjP12ihipStream_tbEUljE_ZNSN_ISO_Lb0ESQ_SR_ST_SU_SY_EESZ_S10_S11_S12_S16_S17_S18_S1B_S1C_jS1D_jS1E_S1E_jjS1G_bEUljE0_EEESZ_S10_S11_S18_S1C_S1E_T6_T7_T9_mT8_S1G_bDpT10_ENKUlT_T0_E_clISt17integral_constantIbLb1EES1T_IbLb0EEEEDaS1P_S1Q_EUlS1P_E_NS1_11comp_targetILNS1_3genE4ELNS1_11target_archE910ELNS1_3gpuE8ELNS1_3repE0EEENS1_30default_config_static_selectorELNS0_4arch9wavefront6targetE0EEEvS12_
    .private_segment_fixed_size: 0
    .sgpr_count:     0
    .sgpr_spill_count: 0
    .symbol:         _ZN7rocprim17ROCPRIM_400000_NS6detail17trampoline_kernelINS0_13select_configILj256ELj13ELNS0_17block_load_methodE3ELS4_3ELS4_3ELNS0_20block_scan_algorithmE0ELj4294967295EEENS1_25partition_config_selectorILNS1_17partition_subalgoE4EjNS0_10empty_typeEbEEZZNS1_14partition_implILS8_4ELb0ES6_15HIP_vector_typeIjLj2EENS0_17counting_iteratorIjlEEPS9_SG_NS0_5tupleIJPjSI_NS0_16reverse_iteratorISI_EEEEENSH_IJSG_SG_SG_EEES9_SI_JZNS1_25segmented_radix_sort_implINS0_14default_configELb0EPKhPhPKlPlN2at6native12_GLOBAL__N_18offset_tEEE10hipError_tPvRmT1_PNSt15iterator_traitsIS12_E10value_typeET2_T3_PNS13_IS18_E10value_typeET4_jRbjT5_S1E_jjP12ihipStream_tbEUljE_ZNSN_ISO_Lb0ESQ_SR_ST_SU_SY_EESZ_S10_S11_S12_S16_S17_S18_S1B_S1C_jS1D_jS1E_S1E_jjS1G_bEUljE0_EEESZ_S10_S11_S18_S1C_S1E_T6_T7_T9_mT8_S1G_bDpT10_ENKUlT_T0_E_clISt17integral_constantIbLb1EES1T_IbLb0EEEEDaS1P_S1Q_EUlS1P_E_NS1_11comp_targetILNS1_3genE4ELNS1_11target_archE910ELNS1_3gpuE8ELNS1_3repE0EEENS1_30default_config_static_selectorELNS0_4arch9wavefront6targetE0EEEvS12_.kd
    .uniform_work_group_size: 1
    .uses_dynamic_stack: false
    .vgpr_count:     0
    .vgpr_spill_count: 0
    .wavefront_size: 32
    .workgroup_processor_mode: 1
  - .args:
      - .offset:         0
        .size:           176
        .value_kind:     by_value
    .group_segment_fixed_size: 0
    .kernarg_segment_align: 8
    .kernarg_segment_size: 176
    .language:       OpenCL C
    .language_version:
      - 2
      - 0
    .max_flat_workgroup_size: 256
    .name:           _ZN7rocprim17ROCPRIM_400000_NS6detail17trampoline_kernelINS0_13select_configILj256ELj13ELNS0_17block_load_methodE3ELS4_3ELS4_3ELNS0_20block_scan_algorithmE0ELj4294967295EEENS1_25partition_config_selectorILNS1_17partition_subalgoE4EjNS0_10empty_typeEbEEZZNS1_14partition_implILS8_4ELb0ES6_15HIP_vector_typeIjLj2EENS0_17counting_iteratorIjlEEPS9_SG_NS0_5tupleIJPjSI_NS0_16reverse_iteratorISI_EEEEENSH_IJSG_SG_SG_EEES9_SI_JZNS1_25segmented_radix_sort_implINS0_14default_configELb0EPKhPhPKlPlN2at6native12_GLOBAL__N_18offset_tEEE10hipError_tPvRmT1_PNSt15iterator_traitsIS12_E10value_typeET2_T3_PNS13_IS18_E10value_typeET4_jRbjT5_S1E_jjP12ihipStream_tbEUljE_ZNSN_ISO_Lb0ESQ_SR_ST_SU_SY_EESZ_S10_S11_S12_S16_S17_S18_S1B_S1C_jS1D_jS1E_S1E_jjS1G_bEUljE0_EEESZ_S10_S11_S18_S1C_S1E_T6_T7_T9_mT8_S1G_bDpT10_ENKUlT_T0_E_clISt17integral_constantIbLb1EES1T_IbLb0EEEEDaS1P_S1Q_EUlS1P_E_NS1_11comp_targetILNS1_3genE3ELNS1_11target_archE908ELNS1_3gpuE7ELNS1_3repE0EEENS1_30default_config_static_selectorELNS0_4arch9wavefront6targetE0EEEvS12_
    .private_segment_fixed_size: 0
    .sgpr_count:     0
    .sgpr_spill_count: 0
    .symbol:         _ZN7rocprim17ROCPRIM_400000_NS6detail17trampoline_kernelINS0_13select_configILj256ELj13ELNS0_17block_load_methodE3ELS4_3ELS4_3ELNS0_20block_scan_algorithmE0ELj4294967295EEENS1_25partition_config_selectorILNS1_17partition_subalgoE4EjNS0_10empty_typeEbEEZZNS1_14partition_implILS8_4ELb0ES6_15HIP_vector_typeIjLj2EENS0_17counting_iteratorIjlEEPS9_SG_NS0_5tupleIJPjSI_NS0_16reverse_iteratorISI_EEEEENSH_IJSG_SG_SG_EEES9_SI_JZNS1_25segmented_radix_sort_implINS0_14default_configELb0EPKhPhPKlPlN2at6native12_GLOBAL__N_18offset_tEEE10hipError_tPvRmT1_PNSt15iterator_traitsIS12_E10value_typeET2_T3_PNS13_IS18_E10value_typeET4_jRbjT5_S1E_jjP12ihipStream_tbEUljE_ZNSN_ISO_Lb0ESQ_SR_ST_SU_SY_EESZ_S10_S11_S12_S16_S17_S18_S1B_S1C_jS1D_jS1E_S1E_jjS1G_bEUljE0_EEESZ_S10_S11_S18_S1C_S1E_T6_T7_T9_mT8_S1G_bDpT10_ENKUlT_T0_E_clISt17integral_constantIbLb1EES1T_IbLb0EEEEDaS1P_S1Q_EUlS1P_E_NS1_11comp_targetILNS1_3genE3ELNS1_11target_archE908ELNS1_3gpuE7ELNS1_3repE0EEENS1_30default_config_static_selectorELNS0_4arch9wavefront6targetE0EEEvS12_.kd
    .uniform_work_group_size: 1
    .uses_dynamic_stack: false
    .vgpr_count:     0
    .vgpr_spill_count: 0
    .wavefront_size: 32
    .workgroup_processor_mode: 1
  - .args:
      - .offset:         0
        .size:           176
        .value_kind:     by_value
    .group_segment_fixed_size: 0
    .kernarg_segment_align: 8
    .kernarg_segment_size: 176
    .language:       OpenCL C
    .language_version:
      - 2
      - 0
    .max_flat_workgroup_size: 256
    .name:           _ZN7rocprim17ROCPRIM_400000_NS6detail17trampoline_kernelINS0_13select_configILj256ELj13ELNS0_17block_load_methodE3ELS4_3ELS4_3ELNS0_20block_scan_algorithmE0ELj4294967295EEENS1_25partition_config_selectorILNS1_17partition_subalgoE4EjNS0_10empty_typeEbEEZZNS1_14partition_implILS8_4ELb0ES6_15HIP_vector_typeIjLj2EENS0_17counting_iteratorIjlEEPS9_SG_NS0_5tupleIJPjSI_NS0_16reverse_iteratorISI_EEEEENSH_IJSG_SG_SG_EEES9_SI_JZNS1_25segmented_radix_sort_implINS0_14default_configELb0EPKhPhPKlPlN2at6native12_GLOBAL__N_18offset_tEEE10hipError_tPvRmT1_PNSt15iterator_traitsIS12_E10value_typeET2_T3_PNS13_IS18_E10value_typeET4_jRbjT5_S1E_jjP12ihipStream_tbEUljE_ZNSN_ISO_Lb0ESQ_SR_ST_SU_SY_EESZ_S10_S11_S12_S16_S17_S18_S1B_S1C_jS1D_jS1E_S1E_jjS1G_bEUljE0_EEESZ_S10_S11_S18_S1C_S1E_T6_T7_T9_mT8_S1G_bDpT10_ENKUlT_T0_E_clISt17integral_constantIbLb1EES1T_IbLb0EEEEDaS1P_S1Q_EUlS1P_E_NS1_11comp_targetILNS1_3genE2ELNS1_11target_archE906ELNS1_3gpuE6ELNS1_3repE0EEENS1_30default_config_static_selectorELNS0_4arch9wavefront6targetE0EEEvS12_
    .private_segment_fixed_size: 0
    .sgpr_count:     0
    .sgpr_spill_count: 0
    .symbol:         _ZN7rocprim17ROCPRIM_400000_NS6detail17trampoline_kernelINS0_13select_configILj256ELj13ELNS0_17block_load_methodE3ELS4_3ELS4_3ELNS0_20block_scan_algorithmE0ELj4294967295EEENS1_25partition_config_selectorILNS1_17partition_subalgoE4EjNS0_10empty_typeEbEEZZNS1_14partition_implILS8_4ELb0ES6_15HIP_vector_typeIjLj2EENS0_17counting_iteratorIjlEEPS9_SG_NS0_5tupleIJPjSI_NS0_16reverse_iteratorISI_EEEEENSH_IJSG_SG_SG_EEES9_SI_JZNS1_25segmented_radix_sort_implINS0_14default_configELb0EPKhPhPKlPlN2at6native12_GLOBAL__N_18offset_tEEE10hipError_tPvRmT1_PNSt15iterator_traitsIS12_E10value_typeET2_T3_PNS13_IS18_E10value_typeET4_jRbjT5_S1E_jjP12ihipStream_tbEUljE_ZNSN_ISO_Lb0ESQ_SR_ST_SU_SY_EESZ_S10_S11_S12_S16_S17_S18_S1B_S1C_jS1D_jS1E_S1E_jjS1G_bEUljE0_EEESZ_S10_S11_S18_S1C_S1E_T6_T7_T9_mT8_S1G_bDpT10_ENKUlT_T0_E_clISt17integral_constantIbLb1EES1T_IbLb0EEEEDaS1P_S1Q_EUlS1P_E_NS1_11comp_targetILNS1_3genE2ELNS1_11target_archE906ELNS1_3gpuE6ELNS1_3repE0EEENS1_30default_config_static_selectorELNS0_4arch9wavefront6targetE0EEEvS12_.kd
    .uniform_work_group_size: 1
    .uses_dynamic_stack: false
    .vgpr_count:     0
    .vgpr_spill_count: 0
    .wavefront_size: 32
    .workgroup_processor_mode: 1
  - .args:
      - .offset:         0
        .size:           176
        .value_kind:     by_value
    .group_segment_fixed_size: 0
    .kernarg_segment_align: 8
    .kernarg_segment_size: 176
    .language:       OpenCL C
    .language_version:
      - 2
      - 0
    .max_flat_workgroup_size: 256
    .name:           _ZN7rocprim17ROCPRIM_400000_NS6detail17trampoline_kernelINS0_13select_configILj256ELj13ELNS0_17block_load_methodE3ELS4_3ELS4_3ELNS0_20block_scan_algorithmE0ELj4294967295EEENS1_25partition_config_selectorILNS1_17partition_subalgoE4EjNS0_10empty_typeEbEEZZNS1_14partition_implILS8_4ELb0ES6_15HIP_vector_typeIjLj2EENS0_17counting_iteratorIjlEEPS9_SG_NS0_5tupleIJPjSI_NS0_16reverse_iteratorISI_EEEEENSH_IJSG_SG_SG_EEES9_SI_JZNS1_25segmented_radix_sort_implINS0_14default_configELb0EPKhPhPKlPlN2at6native12_GLOBAL__N_18offset_tEEE10hipError_tPvRmT1_PNSt15iterator_traitsIS12_E10value_typeET2_T3_PNS13_IS18_E10value_typeET4_jRbjT5_S1E_jjP12ihipStream_tbEUljE_ZNSN_ISO_Lb0ESQ_SR_ST_SU_SY_EESZ_S10_S11_S12_S16_S17_S18_S1B_S1C_jS1D_jS1E_S1E_jjS1G_bEUljE0_EEESZ_S10_S11_S18_S1C_S1E_T6_T7_T9_mT8_S1G_bDpT10_ENKUlT_T0_E_clISt17integral_constantIbLb1EES1T_IbLb0EEEEDaS1P_S1Q_EUlS1P_E_NS1_11comp_targetILNS1_3genE10ELNS1_11target_archE1200ELNS1_3gpuE4ELNS1_3repE0EEENS1_30default_config_static_selectorELNS0_4arch9wavefront6targetE0EEEvS12_
    .private_segment_fixed_size: 0
    .sgpr_count:     0
    .sgpr_spill_count: 0
    .symbol:         _ZN7rocprim17ROCPRIM_400000_NS6detail17trampoline_kernelINS0_13select_configILj256ELj13ELNS0_17block_load_methodE3ELS4_3ELS4_3ELNS0_20block_scan_algorithmE0ELj4294967295EEENS1_25partition_config_selectorILNS1_17partition_subalgoE4EjNS0_10empty_typeEbEEZZNS1_14partition_implILS8_4ELb0ES6_15HIP_vector_typeIjLj2EENS0_17counting_iteratorIjlEEPS9_SG_NS0_5tupleIJPjSI_NS0_16reverse_iteratorISI_EEEEENSH_IJSG_SG_SG_EEES9_SI_JZNS1_25segmented_radix_sort_implINS0_14default_configELb0EPKhPhPKlPlN2at6native12_GLOBAL__N_18offset_tEEE10hipError_tPvRmT1_PNSt15iterator_traitsIS12_E10value_typeET2_T3_PNS13_IS18_E10value_typeET4_jRbjT5_S1E_jjP12ihipStream_tbEUljE_ZNSN_ISO_Lb0ESQ_SR_ST_SU_SY_EESZ_S10_S11_S12_S16_S17_S18_S1B_S1C_jS1D_jS1E_S1E_jjS1G_bEUljE0_EEESZ_S10_S11_S18_S1C_S1E_T6_T7_T9_mT8_S1G_bDpT10_ENKUlT_T0_E_clISt17integral_constantIbLb1EES1T_IbLb0EEEEDaS1P_S1Q_EUlS1P_E_NS1_11comp_targetILNS1_3genE10ELNS1_11target_archE1200ELNS1_3gpuE4ELNS1_3repE0EEENS1_30default_config_static_selectorELNS0_4arch9wavefront6targetE0EEEvS12_.kd
    .uniform_work_group_size: 1
    .uses_dynamic_stack: false
    .vgpr_count:     0
    .vgpr_spill_count: 0
    .wavefront_size: 32
    .workgroup_processor_mode: 1
  - .args:
      - .offset:         0
        .size:           176
        .value_kind:     by_value
    .group_segment_fixed_size: 0
    .kernarg_segment_align: 8
    .kernarg_segment_size: 176
    .language:       OpenCL C
    .language_version:
      - 2
      - 0
    .max_flat_workgroup_size: 256
    .name:           _ZN7rocprim17ROCPRIM_400000_NS6detail17trampoline_kernelINS0_13select_configILj256ELj13ELNS0_17block_load_methodE3ELS4_3ELS4_3ELNS0_20block_scan_algorithmE0ELj4294967295EEENS1_25partition_config_selectorILNS1_17partition_subalgoE4EjNS0_10empty_typeEbEEZZNS1_14partition_implILS8_4ELb0ES6_15HIP_vector_typeIjLj2EENS0_17counting_iteratorIjlEEPS9_SG_NS0_5tupleIJPjSI_NS0_16reverse_iteratorISI_EEEEENSH_IJSG_SG_SG_EEES9_SI_JZNS1_25segmented_radix_sort_implINS0_14default_configELb0EPKhPhPKlPlN2at6native12_GLOBAL__N_18offset_tEEE10hipError_tPvRmT1_PNSt15iterator_traitsIS12_E10value_typeET2_T3_PNS13_IS18_E10value_typeET4_jRbjT5_S1E_jjP12ihipStream_tbEUljE_ZNSN_ISO_Lb0ESQ_SR_ST_SU_SY_EESZ_S10_S11_S12_S16_S17_S18_S1B_S1C_jS1D_jS1E_S1E_jjS1G_bEUljE0_EEESZ_S10_S11_S18_S1C_S1E_T6_T7_T9_mT8_S1G_bDpT10_ENKUlT_T0_E_clISt17integral_constantIbLb1EES1T_IbLb0EEEEDaS1P_S1Q_EUlS1P_E_NS1_11comp_targetILNS1_3genE9ELNS1_11target_archE1100ELNS1_3gpuE3ELNS1_3repE0EEENS1_30default_config_static_selectorELNS0_4arch9wavefront6targetE0EEEvS12_
    .private_segment_fixed_size: 0
    .sgpr_count:     0
    .sgpr_spill_count: 0
    .symbol:         _ZN7rocprim17ROCPRIM_400000_NS6detail17trampoline_kernelINS0_13select_configILj256ELj13ELNS0_17block_load_methodE3ELS4_3ELS4_3ELNS0_20block_scan_algorithmE0ELj4294967295EEENS1_25partition_config_selectorILNS1_17partition_subalgoE4EjNS0_10empty_typeEbEEZZNS1_14partition_implILS8_4ELb0ES6_15HIP_vector_typeIjLj2EENS0_17counting_iteratorIjlEEPS9_SG_NS0_5tupleIJPjSI_NS0_16reverse_iteratorISI_EEEEENSH_IJSG_SG_SG_EEES9_SI_JZNS1_25segmented_radix_sort_implINS0_14default_configELb0EPKhPhPKlPlN2at6native12_GLOBAL__N_18offset_tEEE10hipError_tPvRmT1_PNSt15iterator_traitsIS12_E10value_typeET2_T3_PNS13_IS18_E10value_typeET4_jRbjT5_S1E_jjP12ihipStream_tbEUljE_ZNSN_ISO_Lb0ESQ_SR_ST_SU_SY_EESZ_S10_S11_S12_S16_S17_S18_S1B_S1C_jS1D_jS1E_S1E_jjS1G_bEUljE0_EEESZ_S10_S11_S18_S1C_S1E_T6_T7_T9_mT8_S1G_bDpT10_ENKUlT_T0_E_clISt17integral_constantIbLb1EES1T_IbLb0EEEEDaS1P_S1Q_EUlS1P_E_NS1_11comp_targetILNS1_3genE9ELNS1_11target_archE1100ELNS1_3gpuE3ELNS1_3repE0EEENS1_30default_config_static_selectorELNS0_4arch9wavefront6targetE0EEEvS12_.kd
    .uniform_work_group_size: 1
    .uses_dynamic_stack: false
    .vgpr_count:     0
    .vgpr_spill_count: 0
    .wavefront_size: 32
    .workgroup_processor_mode: 1
  - .args:
      - .offset:         0
        .size:           176
        .value_kind:     by_value
    .group_segment_fixed_size: 0
    .kernarg_segment_align: 8
    .kernarg_segment_size: 176
    .language:       OpenCL C
    .language_version:
      - 2
      - 0
    .max_flat_workgroup_size: 256
    .name:           _ZN7rocprim17ROCPRIM_400000_NS6detail17trampoline_kernelINS0_13select_configILj256ELj13ELNS0_17block_load_methodE3ELS4_3ELS4_3ELNS0_20block_scan_algorithmE0ELj4294967295EEENS1_25partition_config_selectorILNS1_17partition_subalgoE4EjNS0_10empty_typeEbEEZZNS1_14partition_implILS8_4ELb0ES6_15HIP_vector_typeIjLj2EENS0_17counting_iteratorIjlEEPS9_SG_NS0_5tupleIJPjSI_NS0_16reverse_iteratorISI_EEEEENSH_IJSG_SG_SG_EEES9_SI_JZNS1_25segmented_radix_sort_implINS0_14default_configELb0EPKhPhPKlPlN2at6native12_GLOBAL__N_18offset_tEEE10hipError_tPvRmT1_PNSt15iterator_traitsIS12_E10value_typeET2_T3_PNS13_IS18_E10value_typeET4_jRbjT5_S1E_jjP12ihipStream_tbEUljE_ZNSN_ISO_Lb0ESQ_SR_ST_SU_SY_EESZ_S10_S11_S12_S16_S17_S18_S1B_S1C_jS1D_jS1E_S1E_jjS1G_bEUljE0_EEESZ_S10_S11_S18_S1C_S1E_T6_T7_T9_mT8_S1G_bDpT10_ENKUlT_T0_E_clISt17integral_constantIbLb1EES1T_IbLb0EEEEDaS1P_S1Q_EUlS1P_E_NS1_11comp_targetILNS1_3genE8ELNS1_11target_archE1030ELNS1_3gpuE2ELNS1_3repE0EEENS1_30default_config_static_selectorELNS0_4arch9wavefront6targetE0EEEvS12_
    .private_segment_fixed_size: 0
    .sgpr_count:     0
    .sgpr_spill_count: 0
    .symbol:         _ZN7rocprim17ROCPRIM_400000_NS6detail17trampoline_kernelINS0_13select_configILj256ELj13ELNS0_17block_load_methodE3ELS4_3ELS4_3ELNS0_20block_scan_algorithmE0ELj4294967295EEENS1_25partition_config_selectorILNS1_17partition_subalgoE4EjNS0_10empty_typeEbEEZZNS1_14partition_implILS8_4ELb0ES6_15HIP_vector_typeIjLj2EENS0_17counting_iteratorIjlEEPS9_SG_NS0_5tupleIJPjSI_NS0_16reverse_iteratorISI_EEEEENSH_IJSG_SG_SG_EEES9_SI_JZNS1_25segmented_radix_sort_implINS0_14default_configELb0EPKhPhPKlPlN2at6native12_GLOBAL__N_18offset_tEEE10hipError_tPvRmT1_PNSt15iterator_traitsIS12_E10value_typeET2_T3_PNS13_IS18_E10value_typeET4_jRbjT5_S1E_jjP12ihipStream_tbEUljE_ZNSN_ISO_Lb0ESQ_SR_ST_SU_SY_EESZ_S10_S11_S12_S16_S17_S18_S1B_S1C_jS1D_jS1E_S1E_jjS1G_bEUljE0_EEESZ_S10_S11_S18_S1C_S1E_T6_T7_T9_mT8_S1G_bDpT10_ENKUlT_T0_E_clISt17integral_constantIbLb1EES1T_IbLb0EEEEDaS1P_S1Q_EUlS1P_E_NS1_11comp_targetILNS1_3genE8ELNS1_11target_archE1030ELNS1_3gpuE2ELNS1_3repE0EEENS1_30default_config_static_selectorELNS0_4arch9wavefront6targetE0EEEvS12_.kd
    .uniform_work_group_size: 1
    .uses_dynamic_stack: false
    .vgpr_count:     0
    .vgpr_spill_count: 0
    .wavefront_size: 32
    .workgroup_processor_mode: 1
  - .args:
      - .offset:         0
        .size:           184
        .value_kind:     by_value
    .group_segment_fixed_size: 0
    .kernarg_segment_align: 8
    .kernarg_segment_size: 184
    .language:       OpenCL C
    .language_version:
      - 2
      - 0
    .max_flat_workgroup_size: 256
    .name:           _ZN7rocprim17ROCPRIM_400000_NS6detail17trampoline_kernelINS0_13select_configILj256ELj13ELNS0_17block_load_methodE3ELS4_3ELS4_3ELNS0_20block_scan_algorithmE0ELj4294967295EEENS1_25partition_config_selectorILNS1_17partition_subalgoE4EjNS0_10empty_typeEbEEZZNS1_14partition_implILS8_4ELb0ES6_15HIP_vector_typeIjLj2EENS0_17counting_iteratorIjlEEPS9_SG_NS0_5tupleIJPjSI_NS0_16reverse_iteratorISI_EEEEENSH_IJSG_SG_SG_EEES9_SI_JZNS1_25segmented_radix_sort_implINS0_14default_configELb0EPKhPhPKlPlN2at6native12_GLOBAL__N_18offset_tEEE10hipError_tPvRmT1_PNSt15iterator_traitsIS12_E10value_typeET2_T3_PNS13_IS18_E10value_typeET4_jRbjT5_S1E_jjP12ihipStream_tbEUljE_ZNSN_ISO_Lb0ESQ_SR_ST_SU_SY_EESZ_S10_S11_S12_S16_S17_S18_S1B_S1C_jS1D_jS1E_S1E_jjS1G_bEUljE0_EEESZ_S10_S11_S18_S1C_S1E_T6_T7_T9_mT8_S1G_bDpT10_ENKUlT_T0_E_clISt17integral_constantIbLb0EES1T_IbLb1EEEEDaS1P_S1Q_EUlS1P_E_NS1_11comp_targetILNS1_3genE0ELNS1_11target_archE4294967295ELNS1_3gpuE0ELNS1_3repE0EEENS1_30default_config_static_selectorELNS0_4arch9wavefront6targetE0EEEvS12_
    .private_segment_fixed_size: 0
    .sgpr_count:     0
    .sgpr_spill_count: 0
    .symbol:         _ZN7rocprim17ROCPRIM_400000_NS6detail17trampoline_kernelINS0_13select_configILj256ELj13ELNS0_17block_load_methodE3ELS4_3ELS4_3ELNS0_20block_scan_algorithmE0ELj4294967295EEENS1_25partition_config_selectorILNS1_17partition_subalgoE4EjNS0_10empty_typeEbEEZZNS1_14partition_implILS8_4ELb0ES6_15HIP_vector_typeIjLj2EENS0_17counting_iteratorIjlEEPS9_SG_NS0_5tupleIJPjSI_NS0_16reverse_iteratorISI_EEEEENSH_IJSG_SG_SG_EEES9_SI_JZNS1_25segmented_radix_sort_implINS0_14default_configELb0EPKhPhPKlPlN2at6native12_GLOBAL__N_18offset_tEEE10hipError_tPvRmT1_PNSt15iterator_traitsIS12_E10value_typeET2_T3_PNS13_IS18_E10value_typeET4_jRbjT5_S1E_jjP12ihipStream_tbEUljE_ZNSN_ISO_Lb0ESQ_SR_ST_SU_SY_EESZ_S10_S11_S12_S16_S17_S18_S1B_S1C_jS1D_jS1E_S1E_jjS1G_bEUljE0_EEESZ_S10_S11_S18_S1C_S1E_T6_T7_T9_mT8_S1G_bDpT10_ENKUlT_T0_E_clISt17integral_constantIbLb0EES1T_IbLb1EEEEDaS1P_S1Q_EUlS1P_E_NS1_11comp_targetILNS1_3genE0ELNS1_11target_archE4294967295ELNS1_3gpuE0ELNS1_3repE0EEENS1_30default_config_static_selectorELNS0_4arch9wavefront6targetE0EEEvS12_.kd
    .uniform_work_group_size: 1
    .uses_dynamic_stack: false
    .vgpr_count:     0
    .vgpr_spill_count: 0
    .wavefront_size: 32
    .workgroup_processor_mode: 1
  - .args:
      - .offset:         0
        .size:           184
        .value_kind:     by_value
    .group_segment_fixed_size: 0
    .kernarg_segment_align: 8
    .kernarg_segment_size: 184
    .language:       OpenCL C
    .language_version:
      - 2
      - 0
    .max_flat_workgroup_size: 256
    .name:           _ZN7rocprim17ROCPRIM_400000_NS6detail17trampoline_kernelINS0_13select_configILj256ELj13ELNS0_17block_load_methodE3ELS4_3ELS4_3ELNS0_20block_scan_algorithmE0ELj4294967295EEENS1_25partition_config_selectorILNS1_17partition_subalgoE4EjNS0_10empty_typeEbEEZZNS1_14partition_implILS8_4ELb0ES6_15HIP_vector_typeIjLj2EENS0_17counting_iteratorIjlEEPS9_SG_NS0_5tupleIJPjSI_NS0_16reverse_iteratorISI_EEEEENSH_IJSG_SG_SG_EEES9_SI_JZNS1_25segmented_radix_sort_implINS0_14default_configELb0EPKhPhPKlPlN2at6native12_GLOBAL__N_18offset_tEEE10hipError_tPvRmT1_PNSt15iterator_traitsIS12_E10value_typeET2_T3_PNS13_IS18_E10value_typeET4_jRbjT5_S1E_jjP12ihipStream_tbEUljE_ZNSN_ISO_Lb0ESQ_SR_ST_SU_SY_EESZ_S10_S11_S12_S16_S17_S18_S1B_S1C_jS1D_jS1E_S1E_jjS1G_bEUljE0_EEESZ_S10_S11_S18_S1C_S1E_T6_T7_T9_mT8_S1G_bDpT10_ENKUlT_T0_E_clISt17integral_constantIbLb0EES1T_IbLb1EEEEDaS1P_S1Q_EUlS1P_E_NS1_11comp_targetILNS1_3genE5ELNS1_11target_archE942ELNS1_3gpuE9ELNS1_3repE0EEENS1_30default_config_static_selectorELNS0_4arch9wavefront6targetE0EEEvS12_
    .private_segment_fixed_size: 0
    .sgpr_count:     0
    .sgpr_spill_count: 0
    .symbol:         _ZN7rocprim17ROCPRIM_400000_NS6detail17trampoline_kernelINS0_13select_configILj256ELj13ELNS0_17block_load_methodE3ELS4_3ELS4_3ELNS0_20block_scan_algorithmE0ELj4294967295EEENS1_25partition_config_selectorILNS1_17partition_subalgoE4EjNS0_10empty_typeEbEEZZNS1_14partition_implILS8_4ELb0ES6_15HIP_vector_typeIjLj2EENS0_17counting_iteratorIjlEEPS9_SG_NS0_5tupleIJPjSI_NS0_16reverse_iteratorISI_EEEEENSH_IJSG_SG_SG_EEES9_SI_JZNS1_25segmented_radix_sort_implINS0_14default_configELb0EPKhPhPKlPlN2at6native12_GLOBAL__N_18offset_tEEE10hipError_tPvRmT1_PNSt15iterator_traitsIS12_E10value_typeET2_T3_PNS13_IS18_E10value_typeET4_jRbjT5_S1E_jjP12ihipStream_tbEUljE_ZNSN_ISO_Lb0ESQ_SR_ST_SU_SY_EESZ_S10_S11_S12_S16_S17_S18_S1B_S1C_jS1D_jS1E_S1E_jjS1G_bEUljE0_EEESZ_S10_S11_S18_S1C_S1E_T6_T7_T9_mT8_S1G_bDpT10_ENKUlT_T0_E_clISt17integral_constantIbLb0EES1T_IbLb1EEEEDaS1P_S1Q_EUlS1P_E_NS1_11comp_targetILNS1_3genE5ELNS1_11target_archE942ELNS1_3gpuE9ELNS1_3repE0EEENS1_30default_config_static_selectorELNS0_4arch9wavefront6targetE0EEEvS12_.kd
    .uniform_work_group_size: 1
    .uses_dynamic_stack: false
    .vgpr_count:     0
    .vgpr_spill_count: 0
    .wavefront_size: 32
    .workgroup_processor_mode: 1
  - .args:
      - .offset:         0
        .size:           184
        .value_kind:     by_value
    .group_segment_fixed_size: 0
    .kernarg_segment_align: 8
    .kernarg_segment_size: 184
    .language:       OpenCL C
    .language_version:
      - 2
      - 0
    .max_flat_workgroup_size: 256
    .name:           _ZN7rocprim17ROCPRIM_400000_NS6detail17trampoline_kernelINS0_13select_configILj256ELj13ELNS0_17block_load_methodE3ELS4_3ELS4_3ELNS0_20block_scan_algorithmE0ELj4294967295EEENS1_25partition_config_selectorILNS1_17partition_subalgoE4EjNS0_10empty_typeEbEEZZNS1_14partition_implILS8_4ELb0ES6_15HIP_vector_typeIjLj2EENS0_17counting_iteratorIjlEEPS9_SG_NS0_5tupleIJPjSI_NS0_16reverse_iteratorISI_EEEEENSH_IJSG_SG_SG_EEES9_SI_JZNS1_25segmented_radix_sort_implINS0_14default_configELb0EPKhPhPKlPlN2at6native12_GLOBAL__N_18offset_tEEE10hipError_tPvRmT1_PNSt15iterator_traitsIS12_E10value_typeET2_T3_PNS13_IS18_E10value_typeET4_jRbjT5_S1E_jjP12ihipStream_tbEUljE_ZNSN_ISO_Lb0ESQ_SR_ST_SU_SY_EESZ_S10_S11_S12_S16_S17_S18_S1B_S1C_jS1D_jS1E_S1E_jjS1G_bEUljE0_EEESZ_S10_S11_S18_S1C_S1E_T6_T7_T9_mT8_S1G_bDpT10_ENKUlT_T0_E_clISt17integral_constantIbLb0EES1T_IbLb1EEEEDaS1P_S1Q_EUlS1P_E_NS1_11comp_targetILNS1_3genE4ELNS1_11target_archE910ELNS1_3gpuE8ELNS1_3repE0EEENS1_30default_config_static_selectorELNS0_4arch9wavefront6targetE0EEEvS12_
    .private_segment_fixed_size: 0
    .sgpr_count:     0
    .sgpr_spill_count: 0
    .symbol:         _ZN7rocprim17ROCPRIM_400000_NS6detail17trampoline_kernelINS0_13select_configILj256ELj13ELNS0_17block_load_methodE3ELS4_3ELS4_3ELNS0_20block_scan_algorithmE0ELj4294967295EEENS1_25partition_config_selectorILNS1_17partition_subalgoE4EjNS0_10empty_typeEbEEZZNS1_14partition_implILS8_4ELb0ES6_15HIP_vector_typeIjLj2EENS0_17counting_iteratorIjlEEPS9_SG_NS0_5tupleIJPjSI_NS0_16reverse_iteratorISI_EEEEENSH_IJSG_SG_SG_EEES9_SI_JZNS1_25segmented_radix_sort_implINS0_14default_configELb0EPKhPhPKlPlN2at6native12_GLOBAL__N_18offset_tEEE10hipError_tPvRmT1_PNSt15iterator_traitsIS12_E10value_typeET2_T3_PNS13_IS18_E10value_typeET4_jRbjT5_S1E_jjP12ihipStream_tbEUljE_ZNSN_ISO_Lb0ESQ_SR_ST_SU_SY_EESZ_S10_S11_S12_S16_S17_S18_S1B_S1C_jS1D_jS1E_S1E_jjS1G_bEUljE0_EEESZ_S10_S11_S18_S1C_S1E_T6_T7_T9_mT8_S1G_bDpT10_ENKUlT_T0_E_clISt17integral_constantIbLb0EES1T_IbLb1EEEEDaS1P_S1Q_EUlS1P_E_NS1_11comp_targetILNS1_3genE4ELNS1_11target_archE910ELNS1_3gpuE8ELNS1_3repE0EEENS1_30default_config_static_selectorELNS0_4arch9wavefront6targetE0EEEvS12_.kd
    .uniform_work_group_size: 1
    .uses_dynamic_stack: false
    .vgpr_count:     0
    .vgpr_spill_count: 0
    .wavefront_size: 32
    .workgroup_processor_mode: 1
  - .args:
      - .offset:         0
        .size:           184
        .value_kind:     by_value
    .group_segment_fixed_size: 0
    .kernarg_segment_align: 8
    .kernarg_segment_size: 184
    .language:       OpenCL C
    .language_version:
      - 2
      - 0
    .max_flat_workgroup_size: 256
    .name:           _ZN7rocprim17ROCPRIM_400000_NS6detail17trampoline_kernelINS0_13select_configILj256ELj13ELNS0_17block_load_methodE3ELS4_3ELS4_3ELNS0_20block_scan_algorithmE0ELj4294967295EEENS1_25partition_config_selectorILNS1_17partition_subalgoE4EjNS0_10empty_typeEbEEZZNS1_14partition_implILS8_4ELb0ES6_15HIP_vector_typeIjLj2EENS0_17counting_iteratorIjlEEPS9_SG_NS0_5tupleIJPjSI_NS0_16reverse_iteratorISI_EEEEENSH_IJSG_SG_SG_EEES9_SI_JZNS1_25segmented_radix_sort_implINS0_14default_configELb0EPKhPhPKlPlN2at6native12_GLOBAL__N_18offset_tEEE10hipError_tPvRmT1_PNSt15iterator_traitsIS12_E10value_typeET2_T3_PNS13_IS18_E10value_typeET4_jRbjT5_S1E_jjP12ihipStream_tbEUljE_ZNSN_ISO_Lb0ESQ_SR_ST_SU_SY_EESZ_S10_S11_S12_S16_S17_S18_S1B_S1C_jS1D_jS1E_S1E_jjS1G_bEUljE0_EEESZ_S10_S11_S18_S1C_S1E_T6_T7_T9_mT8_S1G_bDpT10_ENKUlT_T0_E_clISt17integral_constantIbLb0EES1T_IbLb1EEEEDaS1P_S1Q_EUlS1P_E_NS1_11comp_targetILNS1_3genE3ELNS1_11target_archE908ELNS1_3gpuE7ELNS1_3repE0EEENS1_30default_config_static_selectorELNS0_4arch9wavefront6targetE0EEEvS12_
    .private_segment_fixed_size: 0
    .sgpr_count:     0
    .sgpr_spill_count: 0
    .symbol:         _ZN7rocprim17ROCPRIM_400000_NS6detail17trampoline_kernelINS0_13select_configILj256ELj13ELNS0_17block_load_methodE3ELS4_3ELS4_3ELNS0_20block_scan_algorithmE0ELj4294967295EEENS1_25partition_config_selectorILNS1_17partition_subalgoE4EjNS0_10empty_typeEbEEZZNS1_14partition_implILS8_4ELb0ES6_15HIP_vector_typeIjLj2EENS0_17counting_iteratorIjlEEPS9_SG_NS0_5tupleIJPjSI_NS0_16reverse_iteratorISI_EEEEENSH_IJSG_SG_SG_EEES9_SI_JZNS1_25segmented_radix_sort_implINS0_14default_configELb0EPKhPhPKlPlN2at6native12_GLOBAL__N_18offset_tEEE10hipError_tPvRmT1_PNSt15iterator_traitsIS12_E10value_typeET2_T3_PNS13_IS18_E10value_typeET4_jRbjT5_S1E_jjP12ihipStream_tbEUljE_ZNSN_ISO_Lb0ESQ_SR_ST_SU_SY_EESZ_S10_S11_S12_S16_S17_S18_S1B_S1C_jS1D_jS1E_S1E_jjS1G_bEUljE0_EEESZ_S10_S11_S18_S1C_S1E_T6_T7_T9_mT8_S1G_bDpT10_ENKUlT_T0_E_clISt17integral_constantIbLb0EES1T_IbLb1EEEEDaS1P_S1Q_EUlS1P_E_NS1_11comp_targetILNS1_3genE3ELNS1_11target_archE908ELNS1_3gpuE7ELNS1_3repE0EEENS1_30default_config_static_selectorELNS0_4arch9wavefront6targetE0EEEvS12_.kd
    .uniform_work_group_size: 1
    .uses_dynamic_stack: false
    .vgpr_count:     0
    .vgpr_spill_count: 0
    .wavefront_size: 32
    .workgroup_processor_mode: 1
  - .args:
      - .offset:         0
        .size:           184
        .value_kind:     by_value
    .group_segment_fixed_size: 0
    .kernarg_segment_align: 8
    .kernarg_segment_size: 184
    .language:       OpenCL C
    .language_version:
      - 2
      - 0
    .max_flat_workgroup_size: 256
    .name:           _ZN7rocprim17ROCPRIM_400000_NS6detail17trampoline_kernelINS0_13select_configILj256ELj13ELNS0_17block_load_methodE3ELS4_3ELS4_3ELNS0_20block_scan_algorithmE0ELj4294967295EEENS1_25partition_config_selectorILNS1_17partition_subalgoE4EjNS0_10empty_typeEbEEZZNS1_14partition_implILS8_4ELb0ES6_15HIP_vector_typeIjLj2EENS0_17counting_iteratorIjlEEPS9_SG_NS0_5tupleIJPjSI_NS0_16reverse_iteratorISI_EEEEENSH_IJSG_SG_SG_EEES9_SI_JZNS1_25segmented_radix_sort_implINS0_14default_configELb0EPKhPhPKlPlN2at6native12_GLOBAL__N_18offset_tEEE10hipError_tPvRmT1_PNSt15iterator_traitsIS12_E10value_typeET2_T3_PNS13_IS18_E10value_typeET4_jRbjT5_S1E_jjP12ihipStream_tbEUljE_ZNSN_ISO_Lb0ESQ_SR_ST_SU_SY_EESZ_S10_S11_S12_S16_S17_S18_S1B_S1C_jS1D_jS1E_S1E_jjS1G_bEUljE0_EEESZ_S10_S11_S18_S1C_S1E_T6_T7_T9_mT8_S1G_bDpT10_ENKUlT_T0_E_clISt17integral_constantIbLb0EES1T_IbLb1EEEEDaS1P_S1Q_EUlS1P_E_NS1_11comp_targetILNS1_3genE2ELNS1_11target_archE906ELNS1_3gpuE6ELNS1_3repE0EEENS1_30default_config_static_selectorELNS0_4arch9wavefront6targetE0EEEvS12_
    .private_segment_fixed_size: 0
    .sgpr_count:     0
    .sgpr_spill_count: 0
    .symbol:         _ZN7rocprim17ROCPRIM_400000_NS6detail17trampoline_kernelINS0_13select_configILj256ELj13ELNS0_17block_load_methodE3ELS4_3ELS4_3ELNS0_20block_scan_algorithmE0ELj4294967295EEENS1_25partition_config_selectorILNS1_17partition_subalgoE4EjNS0_10empty_typeEbEEZZNS1_14partition_implILS8_4ELb0ES6_15HIP_vector_typeIjLj2EENS0_17counting_iteratorIjlEEPS9_SG_NS0_5tupleIJPjSI_NS0_16reverse_iteratorISI_EEEEENSH_IJSG_SG_SG_EEES9_SI_JZNS1_25segmented_radix_sort_implINS0_14default_configELb0EPKhPhPKlPlN2at6native12_GLOBAL__N_18offset_tEEE10hipError_tPvRmT1_PNSt15iterator_traitsIS12_E10value_typeET2_T3_PNS13_IS18_E10value_typeET4_jRbjT5_S1E_jjP12ihipStream_tbEUljE_ZNSN_ISO_Lb0ESQ_SR_ST_SU_SY_EESZ_S10_S11_S12_S16_S17_S18_S1B_S1C_jS1D_jS1E_S1E_jjS1G_bEUljE0_EEESZ_S10_S11_S18_S1C_S1E_T6_T7_T9_mT8_S1G_bDpT10_ENKUlT_T0_E_clISt17integral_constantIbLb0EES1T_IbLb1EEEEDaS1P_S1Q_EUlS1P_E_NS1_11comp_targetILNS1_3genE2ELNS1_11target_archE906ELNS1_3gpuE6ELNS1_3repE0EEENS1_30default_config_static_selectorELNS0_4arch9wavefront6targetE0EEEvS12_.kd
    .uniform_work_group_size: 1
    .uses_dynamic_stack: false
    .vgpr_count:     0
    .vgpr_spill_count: 0
    .wavefront_size: 32
    .workgroup_processor_mode: 1
  - .args:
      - .offset:         0
        .size:           184
        .value_kind:     by_value
    .group_segment_fixed_size: 13328
    .kernarg_segment_align: 8
    .kernarg_segment_size: 184
    .language:       OpenCL C
    .language_version:
      - 2
      - 0
    .max_flat_workgroup_size: 256
    .name:           _ZN7rocprim17ROCPRIM_400000_NS6detail17trampoline_kernelINS0_13select_configILj256ELj13ELNS0_17block_load_methodE3ELS4_3ELS4_3ELNS0_20block_scan_algorithmE0ELj4294967295EEENS1_25partition_config_selectorILNS1_17partition_subalgoE4EjNS0_10empty_typeEbEEZZNS1_14partition_implILS8_4ELb0ES6_15HIP_vector_typeIjLj2EENS0_17counting_iteratorIjlEEPS9_SG_NS0_5tupleIJPjSI_NS0_16reverse_iteratorISI_EEEEENSH_IJSG_SG_SG_EEES9_SI_JZNS1_25segmented_radix_sort_implINS0_14default_configELb0EPKhPhPKlPlN2at6native12_GLOBAL__N_18offset_tEEE10hipError_tPvRmT1_PNSt15iterator_traitsIS12_E10value_typeET2_T3_PNS13_IS18_E10value_typeET4_jRbjT5_S1E_jjP12ihipStream_tbEUljE_ZNSN_ISO_Lb0ESQ_SR_ST_SU_SY_EESZ_S10_S11_S12_S16_S17_S18_S1B_S1C_jS1D_jS1E_S1E_jjS1G_bEUljE0_EEESZ_S10_S11_S18_S1C_S1E_T6_T7_T9_mT8_S1G_bDpT10_ENKUlT_T0_E_clISt17integral_constantIbLb0EES1T_IbLb1EEEEDaS1P_S1Q_EUlS1P_E_NS1_11comp_targetILNS1_3genE10ELNS1_11target_archE1200ELNS1_3gpuE4ELNS1_3repE0EEENS1_30default_config_static_selectorELNS0_4arch9wavefront6targetE0EEEvS12_
    .private_segment_fixed_size: 0
    .sgpr_count:     57
    .sgpr_spill_count: 0
    .symbol:         _ZN7rocprim17ROCPRIM_400000_NS6detail17trampoline_kernelINS0_13select_configILj256ELj13ELNS0_17block_load_methodE3ELS4_3ELS4_3ELNS0_20block_scan_algorithmE0ELj4294967295EEENS1_25partition_config_selectorILNS1_17partition_subalgoE4EjNS0_10empty_typeEbEEZZNS1_14partition_implILS8_4ELb0ES6_15HIP_vector_typeIjLj2EENS0_17counting_iteratorIjlEEPS9_SG_NS0_5tupleIJPjSI_NS0_16reverse_iteratorISI_EEEEENSH_IJSG_SG_SG_EEES9_SI_JZNS1_25segmented_radix_sort_implINS0_14default_configELb0EPKhPhPKlPlN2at6native12_GLOBAL__N_18offset_tEEE10hipError_tPvRmT1_PNSt15iterator_traitsIS12_E10value_typeET2_T3_PNS13_IS18_E10value_typeET4_jRbjT5_S1E_jjP12ihipStream_tbEUljE_ZNSN_ISO_Lb0ESQ_SR_ST_SU_SY_EESZ_S10_S11_S12_S16_S17_S18_S1B_S1C_jS1D_jS1E_S1E_jjS1G_bEUljE0_EEESZ_S10_S11_S18_S1C_S1E_T6_T7_T9_mT8_S1G_bDpT10_ENKUlT_T0_E_clISt17integral_constantIbLb0EES1T_IbLb1EEEEDaS1P_S1Q_EUlS1P_E_NS1_11comp_targetILNS1_3genE10ELNS1_11target_archE1200ELNS1_3gpuE4ELNS1_3repE0EEENS1_30default_config_static_selectorELNS0_4arch9wavefront6targetE0EEEvS12_.kd
    .uniform_work_group_size: 1
    .uses_dynamic_stack: false
    .vgpr_count:     98
    .vgpr_spill_count: 0
    .wavefront_size: 32
    .workgroup_processor_mode: 1
  - .args:
      - .offset:         0
        .size:           184
        .value_kind:     by_value
    .group_segment_fixed_size: 0
    .kernarg_segment_align: 8
    .kernarg_segment_size: 184
    .language:       OpenCL C
    .language_version:
      - 2
      - 0
    .max_flat_workgroup_size: 256
    .name:           _ZN7rocprim17ROCPRIM_400000_NS6detail17trampoline_kernelINS0_13select_configILj256ELj13ELNS0_17block_load_methodE3ELS4_3ELS4_3ELNS0_20block_scan_algorithmE0ELj4294967295EEENS1_25partition_config_selectorILNS1_17partition_subalgoE4EjNS0_10empty_typeEbEEZZNS1_14partition_implILS8_4ELb0ES6_15HIP_vector_typeIjLj2EENS0_17counting_iteratorIjlEEPS9_SG_NS0_5tupleIJPjSI_NS0_16reverse_iteratorISI_EEEEENSH_IJSG_SG_SG_EEES9_SI_JZNS1_25segmented_radix_sort_implINS0_14default_configELb0EPKhPhPKlPlN2at6native12_GLOBAL__N_18offset_tEEE10hipError_tPvRmT1_PNSt15iterator_traitsIS12_E10value_typeET2_T3_PNS13_IS18_E10value_typeET4_jRbjT5_S1E_jjP12ihipStream_tbEUljE_ZNSN_ISO_Lb0ESQ_SR_ST_SU_SY_EESZ_S10_S11_S12_S16_S17_S18_S1B_S1C_jS1D_jS1E_S1E_jjS1G_bEUljE0_EEESZ_S10_S11_S18_S1C_S1E_T6_T7_T9_mT8_S1G_bDpT10_ENKUlT_T0_E_clISt17integral_constantIbLb0EES1T_IbLb1EEEEDaS1P_S1Q_EUlS1P_E_NS1_11comp_targetILNS1_3genE9ELNS1_11target_archE1100ELNS1_3gpuE3ELNS1_3repE0EEENS1_30default_config_static_selectorELNS0_4arch9wavefront6targetE0EEEvS12_
    .private_segment_fixed_size: 0
    .sgpr_count:     0
    .sgpr_spill_count: 0
    .symbol:         _ZN7rocprim17ROCPRIM_400000_NS6detail17trampoline_kernelINS0_13select_configILj256ELj13ELNS0_17block_load_methodE3ELS4_3ELS4_3ELNS0_20block_scan_algorithmE0ELj4294967295EEENS1_25partition_config_selectorILNS1_17partition_subalgoE4EjNS0_10empty_typeEbEEZZNS1_14partition_implILS8_4ELb0ES6_15HIP_vector_typeIjLj2EENS0_17counting_iteratorIjlEEPS9_SG_NS0_5tupleIJPjSI_NS0_16reverse_iteratorISI_EEEEENSH_IJSG_SG_SG_EEES9_SI_JZNS1_25segmented_radix_sort_implINS0_14default_configELb0EPKhPhPKlPlN2at6native12_GLOBAL__N_18offset_tEEE10hipError_tPvRmT1_PNSt15iterator_traitsIS12_E10value_typeET2_T3_PNS13_IS18_E10value_typeET4_jRbjT5_S1E_jjP12ihipStream_tbEUljE_ZNSN_ISO_Lb0ESQ_SR_ST_SU_SY_EESZ_S10_S11_S12_S16_S17_S18_S1B_S1C_jS1D_jS1E_S1E_jjS1G_bEUljE0_EEESZ_S10_S11_S18_S1C_S1E_T6_T7_T9_mT8_S1G_bDpT10_ENKUlT_T0_E_clISt17integral_constantIbLb0EES1T_IbLb1EEEEDaS1P_S1Q_EUlS1P_E_NS1_11comp_targetILNS1_3genE9ELNS1_11target_archE1100ELNS1_3gpuE3ELNS1_3repE0EEENS1_30default_config_static_selectorELNS0_4arch9wavefront6targetE0EEEvS12_.kd
    .uniform_work_group_size: 1
    .uses_dynamic_stack: false
    .vgpr_count:     0
    .vgpr_spill_count: 0
    .wavefront_size: 32
    .workgroup_processor_mode: 1
  - .args:
      - .offset:         0
        .size:           184
        .value_kind:     by_value
    .group_segment_fixed_size: 0
    .kernarg_segment_align: 8
    .kernarg_segment_size: 184
    .language:       OpenCL C
    .language_version:
      - 2
      - 0
    .max_flat_workgroup_size: 256
    .name:           _ZN7rocprim17ROCPRIM_400000_NS6detail17trampoline_kernelINS0_13select_configILj256ELj13ELNS0_17block_load_methodE3ELS4_3ELS4_3ELNS0_20block_scan_algorithmE0ELj4294967295EEENS1_25partition_config_selectorILNS1_17partition_subalgoE4EjNS0_10empty_typeEbEEZZNS1_14partition_implILS8_4ELb0ES6_15HIP_vector_typeIjLj2EENS0_17counting_iteratorIjlEEPS9_SG_NS0_5tupleIJPjSI_NS0_16reverse_iteratorISI_EEEEENSH_IJSG_SG_SG_EEES9_SI_JZNS1_25segmented_radix_sort_implINS0_14default_configELb0EPKhPhPKlPlN2at6native12_GLOBAL__N_18offset_tEEE10hipError_tPvRmT1_PNSt15iterator_traitsIS12_E10value_typeET2_T3_PNS13_IS18_E10value_typeET4_jRbjT5_S1E_jjP12ihipStream_tbEUljE_ZNSN_ISO_Lb0ESQ_SR_ST_SU_SY_EESZ_S10_S11_S12_S16_S17_S18_S1B_S1C_jS1D_jS1E_S1E_jjS1G_bEUljE0_EEESZ_S10_S11_S18_S1C_S1E_T6_T7_T9_mT8_S1G_bDpT10_ENKUlT_T0_E_clISt17integral_constantIbLb0EES1T_IbLb1EEEEDaS1P_S1Q_EUlS1P_E_NS1_11comp_targetILNS1_3genE8ELNS1_11target_archE1030ELNS1_3gpuE2ELNS1_3repE0EEENS1_30default_config_static_selectorELNS0_4arch9wavefront6targetE0EEEvS12_
    .private_segment_fixed_size: 0
    .sgpr_count:     0
    .sgpr_spill_count: 0
    .symbol:         _ZN7rocprim17ROCPRIM_400000_NS6detail17trampoline_kernelINS0_13select_configILj256ELj13ELNS0_17block_load_methodE3ELS4_3ELS4_3ELNS0_20block_scan_algorithmE0ELj4294967295EEENS1_25partition_config_selectorILNS1_17partition_subalgoE4EjNS0_10empty_typeEbEEZZNS1_14partition_implILS8_4ELb0ES6_15HIP_vector_typeIjLj2EENS0_17counting_iteratorIjlEEPS9_SG_NS0_5tupleIJPjSI_NS0_16reverse_iteratorISI_EEEEENSH_IJSG_SG_SG_EEES9_SI_JZNS1_25segmented_radix_sort_implINS0_14default_configELb0EPKhPhPKlPlN2at6native12_GLOBAL__N_18offset_tEEE10hipError_tPvRmT1_PNSt15iterator_traitsIS12_E10value_typeET2_T3_PNS13_IS18_E10value_typeET4_jRbjT5_S1E_jjP12ihipStream_tbEUljE_ZNSN_ISO_Lb0ESQ_SR_ST_SU_SY_EESZ_S10_S11_S12_S16_S17_S18_S1B_S1C_jS1D_jS1E_S1E_jjS1G_bEUljE0_EEESZ_S10_S11_S18_S1C_S1E_T6_T7_T9_mT8_S1G_bDpT10_ENKUlT_T0_E_clISt17integral_constantIbLb0EES1T_IbLb1EEEEDaS1P_S1Q_EUlS1P_E_NS1_11comp_targetILNS1_3genE8ELNS1_11target_archE1030ELNS1_3gpuE2ELNS1_3repE0EEENS1_30default_config_static_selectorELNS0_4arch9wavefront6targetE0EEEvS12_.kd
    .uniform_work_group_size: 1
    .uses_dynamic_stack: false
    .vgpr_count:     0
    .vgpr_spill_count: 0
    .wavefront_size: 32
    .workgroup_processor_mode: 1
  - .args:
      - .offset:         0
        .size:           144
        .value_kind:     by_value
    .group_segment_fixed_size: 0
    .kernarg_segment_align: 8
    .kernarg_segment_size: 144
    .language:       OpenCL C
    .language_version:
      - 2
      - 0
    .max_flat_workgroup_size: 256
    .name:           _ZN7rocprim17ROCPRIM_400000_NS6detail17trampoline_kernelINS0_13select_configILj256ELj13ELNS0_17block_load_methodE3ELS4_3ELS4_3ELNS0_20block_scan_algorithmE0ELj4294967295EEENS1_25partition_config_selectorILNS1_17partition_subalgoE3EjNS0_10empty_typeEbEEZZNS1_14partition_implILS8_3ELb0ES6_jNS0_17counting_iteratorIjlEEPS9_SE_NS0_5tupleIJPjSE_EEENSF_IJSE_SE_EEES9_SG_JZNS1_25segmented_radix_sort_implINS0_14default_configELb0EPKhPhPKlPlN2at6native12_GLOBAL__N_18offset_tEEE10hipError_tPvRmT1_PNSt15iterator_traitsISY_E10value_typeET2_T3_PNSZ_IS14_E10value_typeET4_jRbjT5_S1A_jjP12ihipStream_tbEUljE_EEESV_SW_SX_S14_S18_S1A_T6_T7_T9_mT8_S1C_bDpT10_ENKUlT_T0_E_clISt17integral_constantIbLb0EES1P_EEDaS1K_S1L_EUlS1K_E_NS1_11comp_targetILNS1_3genE0ELNS1_11target_archE4294967295ELNS1_3gpuE0ELNS1_3repE0EEENS1_30default_config_static_selectorELNS0_4arch9wavefront6targetE0EEEvSY_
    .private_segment_fixed_size: 0
    .sgpr_count:     0
    .sgpr_spill_count: 0
    .symbol:         _ZN7rocprim17ROCPRIM_400000_NS6detail17trampoline_kernelINS0_13select_configILj256ELj13ELNS0_17block_load_methodE3ELS4_3ELS4_3ELNS0_20block_scan_algorithmE0ELj4294967295EEENS1_25partition_config_selectorILNS1_17partition_subalgoE3EjNS0_10empty_typeEbEEZZNS1_14partition_implILS8_3ELb0ES6_jNS0_17counting_iteratorIjlEEPS9_SE_NS0_5tupleIJPjSE_EEENSF_IJSE_SE_EEES9_SG_JZNS1_25segmented_radix_sort_implINS0_14default_configELb0EPKhPhPKlPlN2at6native12_GLOBAL__N_18offset_tEEE10hipError_tPvRmT1_PNSt15iterator_traitsISY_E10value_typeET2_T3_PNSZ_IS14_E10value_typeET4_jRbjT5_S1A_jjP12ihipStream_tbEUljE_EEESV_SW_SX_S14_S18_S1A_T6_T7_T9_mT8_S1C_bDpT10_ENKUlT_T0_E_clISt17integral_constantIbLb0EES1P_EEDaS1K_S1L_EUlS1K_E_NS1_11comp_targetILNS1_3genE0ELNS1_11target_archE4294967295ELNS1_3gpuE0ELNS1_3repE0EEENS1_30default_config_static_selectorELNS0_4arch9wavefront6targetE0EEEvSY_.kd
    .uniform_work_group_size: 1
    .uses_dynamic_stack: false
    .vgpr_count:     0
    .vgpr_spill_count: 0
    .wavefront_size: 32
    .workgroup_processor_mode: 1
  - .args:
      - .offset:         0
        .size:           144
        .value_kind:     by_value
    .group_segment_fixed_size: 0
    .kernarg_segment_align: 8
    .kernarg_segment_size: 144
    .language:       OpenCL C
    .language_version:
      - 2
      - 0
    .max_flat_workgroup_size: 256
    .name:           _ZN7rocprim17ROCPRIM_400000_NS6detail17trampoline_kernelINS0_13select_configILj256ELj13ELNS0_17block_load_methodE3ELS4_3ELS4_3ELNS0_20block_scan_algorithmE0ELj4294967295EEENS1_25partition_config_selectorILNS1_17partition_subalgoE3EjNS0_10empty_typeEbEEZZNS1_14partition_implILS8_3ELb0ES6_jNS0_17counting_iteratorIjlEEPS9_SE_NS0_5tupleIJPjSE_EEENSF_IJSE_SE_EEES9_SG_JZNS1_25segmented_radix_sort_implINS0_14default_configELb0EPKhPhPKlPlN2at6native12_GLOBAL__N_18offset_tEEE10hipError_tPvRmT1_PNSt15iterator_traitsISY_E10value_typeET2_T3_PNSZ_IS14_E10value_typeET4_jRbjT5_S1A_jjP12ihipStream_tbEUljE_EEESV_SW_SX_S14_S18_S1A_T6_T7_T9_mT8_S1C_bDpT10_ENKUlT_T0_E_clISt17integral_constantIbLb0EES1P_EEDaS1K_S1L_EUlS1K_E_NS1_11comp_targetILNS1_3genE5ELNS1_11target_archE942ELNS1_3gpuE9ELNS1_3repE0EEENS1_30default_config_static_selectorELNS0_4arch9wavefront6targetE0EEEvSY_
    .private_segment_fixed_size: 0
    .sgpr_count:     0
    .sgpr_spill_count: 0
    .symbol:         _ZN7rocprim17ROCPRIM_400000_NS6detail17trampoline_kernelINS0_13select_configILj256ELj13ELNS0_17block_load_methodE3ELS4_3ELS4_3ELNS0_20block_scan_algorithmE0ELj4294967295EEENS1_25partition_config_selectorILNS1_17partition_subalgoE3EjNS0_10empty_typeEbEEZZNS1_14partition_implILS8_3ELb0ES6_jNS0_17counting_iteratorIjlEEPS9_SE_NS0_5tupleIJPjSE_EEENSF_IJSE_SE_EEES9_SG_JZNS1_25segmented_radix_sort_implINS0_14default_configELb0EPKhPhPKlPlN2at6native12_GLOBAL__N_18offset_tEEE10hipError_tPvRmT1_PNSt15iterator_traitsISY_E10value_typeET2_T3_PNSZ_IS14_E10value_typeET4_jRbjT5_S1A_jjP12ihipStream_tbEUljE_EEESV_SW_SX_S14_S18_S1A_T6_T7_T9_mT8_S1C_bDpT10_ENKUlT_T0_E_clISt17integral_constantIbLb0EES1P_EEDaS1K_S1L_EUlS1K_E_NS1_11comp_targetILNS1_3genE5ELNS1_11target_archE942ELNS1_3gpuE9ELNS1_3repE0EEENS1_30default_config_static_selectorELNS0_4arch9wavefront6targetE0EEEvSY_.kd
    .uniform_work_group_size: 1
    .uses_dynamic_stack: false
    .vgpr_count:     0
    .vgpr_spill_count: 0
    .wavefront_size: 32
    .workgroup_processor_mode: 1
  - .args:
      - .offset:         0
        .size:           144
        .value_kind:     by_value
    .group_segment_fixed_size: 0
    .kernarg_segment_align: 8
    .kernarg_segment_size: 144
    .language:       OpenCL C
    .language_version:
      - 2
      - 0
    .max_flat_workgroup_size: 256
    .name:           _ZN7rocprim17ROCPRIM_400000_NS6detail17trampoline_kernelINS0_13select_configILj256ELj13ELNS0_17block_load_methodE3ELS4_3ELS4_3ELNS0_20block_scan_algorithmE0ELj4294967295EEENS1_25partition_config_selectorILNS1_17partition_subalgoE3EjNS0_10empty_typeEbEEZZNS1_14partition_implILS8_3ELb0ES6_jNS0_17counting_iteratorIjlEEPS9_SE_NS0_5tupleIJPjSE_EEENSF_IJSE_SE_EEES9_SG_JZNS1_25segmented_radix_sort_implINS0_14default_configELb0EPKhPhPKlPlN2at6native12_GLOBAL__N_18offset_tEEE10hipError_tPvRmT1_PNSt15iterator_traitsISY_E10value_typeET2_T3_PNSZ_IS14_E10value_typeET4_jRbjT5_S1A_jjP12ihipStream_tbEUljE_EEESV_SW_SX_S14_S18_S1A_T6_T7_T9_mT8_S1C_bDpT10_ENKUlT_T0_E_clISt17integral_constantIbLb0EES1P_EEDaS1K_S1L_EUlS1K_E_NS1_11comp_targetILNS1_3genE4ELNS1_11target_archE910ELNS1_3gpuE8ELNS1_3repE0EEENS1_30default_config_static_selectorELNS0_4arch9wavefront6targetE0EEEvSY_
    .private_segment_fixed_size: 0
    .sgpr_count:     0
    .sgpr_spill_count: 0
    .symbol:         _ZN7rocprim17ROCPRIM_400000_NS6detail17trampoline_kernelINS0_13select_configILj256ELj13ELNS0_17block_load_methodE3ELS4_3ELS4_3ELNS0_20block_scan_algorithmE0ELj4294967295EEENS1_25partition_config_selectorILNS1_17partition_subalgoE3EjNS0_10empty_typeEbEEZZNS1_14partition_implILS8_3ELb0ES6_jNS0_17counting_iteratorIjlEEPS9_SE_NS0_5tupleIJPjSE_EEENSF_IJSE_SE_EEES9_SG_JZNS1_25segmented_radix_sort_implINS0_14default_configELb0EPKhPhPKlPlN2at6native12_GLOBAL__N_18offset_tEEE10hipError_tPvRmT1_PNSt15iterator_traitsISY_E10value_typeET2_T3_PNSZ_IS14_E10value_typeET4_jRbjT5_S1A_jjP12ihipStream_tbEUljE_EEESV_SW_SX_S14_S18_S1A_T6_T7_T9_mT8_S1C_bDpT10_ENKUlT_T0_E_clISt17integral_constantIbLb0EES1P_EEDaS1K_S1L_EUlS1K_E_NS1_11comp_targetILNS1_3genE4ELNS1_11target_archE910ELNS1_3gpuE8ELNS1_3repE0EEENS1_30default_config_static_selectorELNS0_4arch9wavefront6targetE0EEEvSY_.kd
    .uniform_work_group_size: 1
    .uses_dynamic_stack: false
    .vgpr_count:     0
    .vgpr_spill_count: 0
    .wavefront_size: 32
    .workgroup_processor_mode: 1
  - .args:
      - .offset:         0
        .size:           144
        .value_kind:     by_value
    .group_segment_fixed_size: 0
    .kernarg_segment_align: 8
    .kernarg_segment_size: 144
    .language:       OpenCL C
    .language_version:
      - 2
      - 0
    .max_flat_workgroup_size: 256
    .name:           _ZN7rocprim17ROCPRIM_400000_NS6detail17trampoline_kernelINS0_13select_configILj256ELj13ELNS0_17block_load_methodE3ELS4_3ELS4_3ELNS0_20block_scan_algorithmE0ELj4294967295EEENS1_25partition_config_selectorILNS1_17partition_subalgoE3EjNS0_10empty_typeEbEEZZNS1_14partition_implILS8_3ELb0ES6_jNS0_17counting_iteratorIjlEEPS9_SE_NS0_5tupleIJPjSE_EEENSF_IJSE_SE_EEES9_SG_JZNS1_25segmented_radix_sort_implINS0_14default_configELb0EPKhPhPKlPlN2at6native12_GLOBAL__N_18offset_tEEE10hipError_tPvRmT1_PNSt15iterator_traitsISY_E10value_typeET2_T3_PNSZ_IS14_E10value_typeET4_jRbjT5_S1A_jjP12ihipStream_tbEUljE_EEESV_SW_SX_S14_S18_S1A_T6_T7_T9_mT8_S1C_bDpT10_ENKUlT_T0_E_clISt17integral_constantIbLb0EES1P_EEDaS1K_S1L_EUlS1K_E_NS1_11comp_targetILNS1_3genE3ELNS1_11target_archE908ELNS1_3gpuE7ELNS1_3repE0EEENS1_30default_config_static_selectorELNS0_4arch9wavefront6targetE0EEEvSY_
    .private_segment_fixed_size: 0
    .sgpr_count:     0
    .sgpr_spill_count: 0
    .symbol:         _ZN7rocprim17ROCPRIM_400000_NS6detail17trampoline_kernelINS0_13select_configILj256ELj13ELNS0_17block_load_methodE3ELS4_3ELS4_3ELNS0_20block_scan_algorithmE0ELj4294967295EEENS1_25partition_config_selectorILNS1_17partition_subalgoE3EjNS0_10empty_typeEbEEZZNS1_14partition_implILS8_3ELb0ES6_jNS0_17counting_iteratorIjlEEPS9_SE_NS0_5tupleIJPjSE_EEENSF_IJSE_SE_EEES9_SG_JZNS1_25segmented_radix_sort_implINS0_14default_configELb0EPKhPhPKlPlN2at6native12_GLOBAL__N_18offset_tEEE10hipError_tPvRmT1_PNSt15iterator_traitsISY_E10value_typeET2_T3_PNSZ_IS14_E10value_typeET4_jRbjT5_S1A_jjP12ihipStream_tbEUljE_EEESV_SW_SX_S14_S18_S1A_T6_T7_T9_mT8_S1C_bDpT10_ENKUlT_T0_E_clISt17integral_constantIbLb0EES1P_EEDaS1K_S1L_EUlS1K_E_NS1_11comp_targetILNS1_3genE3ELNS1_11target_archE908ELNS1_3gpuE7ELNS1_3repE0EEENS1_30default_config_static_selectorELNS0_4arch9wavefront6targetE0EEEvSY_.kd
    .uniform_work_group_size: 1
    .uses_dynamic_stack: false
    .vgpr_count:     0
    .vgpr_spill_count: 0
    .wavefront_size: 32
    .workgroup_processor_mode: 1
  - .args:
      - .offset:         0
        .size:           144
        .value_kind:     by_value
    .group_segment_fixed_size: 0
    .kernarg_segment_align: 8
    .kernarg_segment_size: 144
    .language:       OpenCL C
    .language_version:
      - 2
      - 0
    .max_flat_workgroup_size: 256
    .name:           _ZN7rocprim17ROCPRIM_400000_NS6detail17trampoline_kernelINS0_13select_configILj256ELj13ELNS0_17block_load_methodE3ELS4_3ELS4_3ELNS0_20block_scan_algorithmE0ELj4294967295EEENS1_25partition_config_selectorILNS1_17partition_subalgoE3EjNS0_10empty_typeEbEEZZNS1_14partition_implILS8_3ELb0ES6_jNS0_17counting_iteratorIjlEEPS9_SE_NS0_5tupleIJPjSE_EEENSF_IJSE_SE_EEES9_SG_JZNS1_25segmented_radix_sort_implINS0_14default_configELb0EPKhPhPKlPlN2at6native12_GLOBAL__N_18offset_tEEE10hipError_tPvRmT1_PNSt15iterator_traitsISY_E10value_typeET2_T3_PNSZ_IS14_E10value_typeET4_jRbjT5_S1A_jjP12ihipStream_tbEUljE_EEESV_SW_SX_S14_S18_S1A_T6_T7_T9_mT8_S1C_bDpT10_ENKUlT_T0_E_clISt17integral_constantIbLb0EES1P_EEDaS1K_S1L_EUlS1K_E_NS1_11comp_targetILNS1_3genE2ELNS1_11target_archE906ELNS1_3gpuE6ELNS1_3repE0EEENS1_30default_config_static_selectorELNS0_4arch9wavefront6targetE0EEEvSY_
    .private_segment_fixed_size: 0
    .sgpr_count:     0
    .sgpr_spill_count: 0
    .symbol:         _ZN7rocprim17ROCPRIM_400000_NS6detail17trampoline_kernelINS0_13select_configILj256ELj13ELNS0_17block_load_methodE3ELS4_3ELS4_3ELNS0_20block_scan_algorithmE0ELj4294967295EEENS1_25partition_config_selectorILNS1_17partition_subalgoE3EjNS0_10empty_typeEbEEZZNS1_14partition_implILS8_3ELb0ES6_jNS0_17counting_iteratorIjlEEPS9_SE_NS0_5tupleIJPjSE_EEENSF_IJSE_SE_EEES9_SG_JZNS1_25segmented_radix_sort_implINS0_14default_configELb0EPKhPhPKlPlN2at6native12_GLOBAL__N_18offset_tEEE10hipError_tPvRmT1_PNSt15iterator_traitsISY_E10value_typeET2_T3_PNSZ_IS14_E10value_typeET4_jRbjT5_S1A_jjP12ihipStream_tbEUljE_EEESV_SW_SX_S14_S18_S1A_T6_T7_T9_mT8_S1C_bDpT10_ENKUlT_T0_E_clISt17integral_constantIbLb0EES1P_EEDaS1K_S1L_EUlS1K_E_NS1_11comp_targetILNS1_3genE2ELNS1_11target_archE906ELNS1_3gpuE6ELNS1_3repE0EEENS1_30default_config_static_selectorELNS0_4arch9wavefront6targetE0EEEvSY_.kd
    .uniform_work_group_size: 1
    .uses_dynamic_stack: false
    .vgpr_count:     0
    .vgpr_spill_count: 0
    .wavefront_size: 32
    .workgroup_processor_mode: 1
  - .args:
      - .offset:         0
        .size:           144
        .value_kind:     by_value
    .group_segment_fixed_size: 13320
    .kernarg_segment_align: 8
    .kernarg_segment_size: 144
    .language:       OpenCL C
    .language_version:
      - 2
      - 0
    .max_flat_workgroup_size: 256
    .name:           _ZN7rocprim17ROCPRIM_400000_NS6detail17trampoline_kernelINS0_13select_configILj256ELj13ELNS0_17block_load_methodE3ELS4_3ELS4_3ELNS0_20block_scan_algorithmE0ELj4294967295EEENS1_25partition_config_selectorILNS1_17partition_subalgoE3EjNS0_10empty_typeEbEEZZNS1_14partition_implILS8_3ELb0ES6_jNS0_17counting_iteratorIjlEEPS9_SE_NS0_5tupleIJPjSE_EEENSF_IJSE_SE_EEES9_SG_JZNS1_25segmented_radix_sort_implINS0_14default_configELb0EPKhPhPKlPlN2at6native12_GLOBAL__N_18offset_tEEE10hipError_tPvRmT1_PNSt15iterator_traitsISY_E10value_typeET2_T3_PNSZ_IS14_E10value_typeET4_jRbjT5_S1A_jjP12ihipStream_tbEUljE_EEESV_SW_SX_S14_S18_S1A_T6_T7_T9_mT8_S1C_bDpT10_ENKUlT_T0_E_clISt17integral_constantIbLb0EES1P_EEDaS1K_S1L_EUlS1K_E_NS1_11comp_targetILNS1_3genE10ELNS1_11target_archE1200ELNS1_3gpuE4ELNS1_3repE0EEENS1_30default_config_static_selectorELNS0_4arch9wavefront6targetE0EEEvSY_
    .private_segment_fixed_size: 0
    .sgpr_count:     28
    .sgpr_spill_count: 0
    .symbol:         _ZN7rocprim17ROCPRIM_400000_NS6detail17trampoline_kernelINS0_13select_configILj256ELj13ELNS0_17block_load_methodE3ELS4_3ELS4_3ELNS0_20block_scan_algorithmE0ELj4294967295EEENS1_25partition_config_selectorILNS1_17partition_subalgoE3EjNS0_10empty_typeEbEEZZNS1_14partition_implILS8_3ELb0ES6_jNS0_17counting_iteratorIjlEEPS9_SE_NS0_5tupleIJPjSE_EEENSF_IJSE_SE_EEES9_SG_JZNS1_25segmented_radix_sort_implINS0_14default_configELb0EPKhPhPKlPlN2at6native12_GLOBAL__N_18offset_tEEE10hipError_tPvRmT1_PNSt15iterator_traitsISY_E10value_typeET2_T3_PNSZ_IS14_E10value_typeET4_jRbjT5_S1A_jjP12ihipStream_tbEUljE_EEESV_SW_SX_S14_S18_S1A_T6_T7_T9_mT8_S1C_bDpT10_ENKUlT_T0_E_clISt17integral_constantIbLb0EES1P_EEDaS1K_S1L_EUlS1K_E_NS1_11comp_targetILNS1_3genE10ELNS1_11target_archE1200ELNS1_3gpuE4ELNS1_3repE0EEENS1_30default_config_static_selectorELNS0_4arch9wavefront6targetE0EEEvSY_.kd
    .uniform_work_group_size: 1
    .uses_dynamic_stack: false
    .vgpr_count:     69
    .vgpr_spill_count: 0
    .wavefront_size: 32
    .workgroup_processor_mode: 1
  - .args:
      - .offset:         0
        .size:           144
        .value_kind:     by_value
    .group_segment_fixed_size: 0
    .kernarg_segment_align: 8
    .kernarg_segment_size: 144
    .language:       OpenCL C
    .language_version:
      - 2
      - 0
    .max_flat_workgroup_size: 256
    .name:           _ZN7rocprim17ROCPRIM_400000_NS6detail17trampoline_kernelINS0_13select_configILj256ELj13ELNS0_17block_load_methodE3ELS4_3ELS4_3ELNS0_20block_scan_algorithmE0ELj4294967295EEENS1_25partition_config_selectorILNS1_17partition_subalgoE3EjNS0_10empty_typeEbEEZZNS1_14partition_implILS8_3ELb0ES6_jNS0_17counting_iteratorIjlEEPS9_SE_NS0_5tupleIJPjSE_EEENSF_IJSE_SE_EEES9_SG_JZNS1_25segmented_radix_sort_implINS0_14default_configELb0EPKhPhPKlPlN2at6native12_GLOBAL__N_18offset_tEEE10hipError_tPvRmT1_PNSt15iterator_traitsISY_E10value_typeET2_T3_PNSZ_IS14_E10value_typeET4_jRbjT5_S1A_jjP12ihipStream_tbEUljE_EEESV_SW_SX_S14_S18_S1A_T6_T7_T9_mT8_S1C_bDpT10_ENKUlT_T0_E_clISt17integral_constantIbLb0EES1P_EEDaS1K_S1L_EUlS1K_E_NS1_11comp_targetILNS1_3genE9ELNS1_11target_archE1100ELNS1_3gpuE3ELNS1_3repE0EEENS1_30default_config_static_selectorELNS0_4arch9wavefront6targetE0EEEvSY_
    .private_segment_fixed_size: 0
    .sgpr_count:     0
    .sgpr_spill_count: 0
    .symbol:         _ZN7rocprim17ROCPRIM_400000_NS6detail17trampoline_kernelINS0_13select_configILj256ELj13ELNS0_17block_load_methodE3ELS4_3ELS4_3ELNS0_20block_scan_algorithmE0ELj4294967295EEENS1_25partition_config_selectorILNS1_17partition_subalgoE3EjNS0_10empty_typeEbEEZZNS1_14partition_implILS8_3ELb0ES6_jNS0_17counting_iteratorIjlEEPS9_SE_NS0_5tupleIJPjSE_EEENSF_IJSE_SE_EEES9_SG_JZNS1_25segmented_radix_sort_implINS0_14default_configELb0EPKhPhPKlPlN2at6native12_GLOBAL__N_18offset_tEEE10hipError_tPvRmT1_PNSt15iterator_traitsISY_E10value_typeET2_T3_PNSZ_IS14_E10value_typeET4_jRbjT5_S1A_jjP12ihipStream_tbEUljE_EEESV_SW_SX_S14_S18_S1A_T6_T7_T9_mT8_S1C_bDpT10_ENKUlT_T0_E_clISt17integral_constantIbLb0EES1P_EEDaS1K_S1L_EUlS1K_E_NS1_11comp_targetILNS1_3genE9ELNS1_11target_archE1100ELNS1_3gpuE3ELNS1_3repE0EEENS1_30default_config_static_selectorELNS0_4arch9wavefront6targetE0EEEvSY_.kd
    .uniform_work_group_size: 1
    .uses_dynamic_stack: false
    .vgpr_count:     0
    .vgpr_spill_count: 0
    .wavefront_size: 32
    .workgroup_processor_mode: 1
  - .args:
      - .offset:         0
        .size:           144
        .value_kind:     by_value
    .group_segment_fixed_size: 0
    .kernarg_segment_align: 8
    .kernarg_segment_size: 144
    .language:       OpenCL C
    .language_version:
      - 2
      - 0
    .max_flat_workgroup_size: 256
    .name:           _ZN7rocprim17ROCPRIM_400000_NS6detail17trampoline_kernelINS0_13select_configILj256ELj13ELNS0_17block_load_methodE3ELS4_3ELS4_3ELNS0_20block_scan_algorithmE0ELj4294967295EEENS1_25partition_config_selectorILNS1_17partition_subalgoE3EjNS0_10empty_typeEbEEZZNS1_14partition_implILS8_3ELb0ES6_jNS0_17counting_iteratorIjlEEPS9_SE_NS0_5tupleIJPjSE_EEENSF_IJSE_SE_EEES9_SG_JZNS1_25segmented_radix_sort_implINS0_14default_configELb0EPKhPhPKlPlN2at6native12_GLOBAL__N_18offset_tEEE10hipError_tPvRmT1_PNSt15iterator_traitsISY_E10value_typeET2_T3_PNSZ_IS14_E10value_typeET4_jRbjT5_S1A_jjP12ihipStream_tbEUljE_EEESV_SW_SX_S14_S18_S1A_T6_T7_T9_mT8_S1C_bDpT10_ENKUlT_T0_E_clISt17integral_constantIbLb0EES1P_EEDaS1K_S1L_EUlS1K_E_NS1_11comp_targetILNS1_3genE8ELNS1_11target_archE1030ELNS1_3gpuE2ELNS1_3repE0EEENS1_30default_config_static_selectorELNS0_4arch9wavefront6targetE0EEEvSY_
    .private_segment_fixed_size: 0
    .sgpr_count:     0
    .sgpr_spill_count: 0
    .symbol:         _ZN7rocprim17ROCPRIM_400000_NS6detail17trampoline_kernelINS0_13select_configILj256ELj13ELNS0_17block_load_methodE3ELS4_3ELS4_3ELNS0_20block_scan_algorithmE0ELj4294967295EEENS1_25partition_config_selectorILNS1_17partition_subalgoE3EjNS0_10empty_typeEbEEZZNS1_14partition_implILS8_3ELb0ES6_jNS0_17counting_iteratorIjlEEPS9_SE_NS0_5tupleIJPjSE_EEENSF_IJSE_SE_EEES9_SG_JZNS1_25segmented_radix_sort_implINS0_14default_configELb0EPKhPhPKlPlN2at6native12_GLOBAL__N_18offset_tEEE10hipError_tPvRmT1_PNSt15iterator_traitsISY_E10value_typeET2_T3_PNSZ_IS14_E10value_typeET4_jRbjT5_S1A_jjP12ihipStream_tbEUljE_EEESV_SW_SX_S14_S18_S1A_T6_T7_T9_mT8_S1C_bDpT10_ENKUlT_T0_E_clISt17integral_constantIbLb0EES1P_EEDaS1K_S1L_EUlS1K_E_NS1_11comp_targetILNS1_3genE8ELNS1_11target_archE1030ELNS1_3gpuE2ELNS1_3repE0EEENS1_30default_config_static_selectorELNS0_4arch9wavefront6targetE0EEEvSY_.kd
    .uniform_work_group_size: 1
    .uses_dynamic_stack: false
    .vgpr_count:     0
    .vgpr_spill_count: 0
    .wavefront_size: 32
    .workgroup_processor_mode: 1
  - .args:
      - .offset:         0
        .size:           152
        .value_kind:     by_value
    .group_segment_fixed_size: 0
    .kernarg_segment_align: 8
    .kernarg_segment_size: 152
    .language:       OpenCL C
    .language_version:
      - 2
      - 0
    .max_flat_workgroup_size: 256
    .name:           _ZN7rocprim17ROCPRIM_400000_NS6detail17trampoline_kernelINS0_13select_configILj256ELj13ELNS0_17block_load_methodE3ELS4_3ELS4_3ELNS0_20block_scan_algorithmE0ELj4294967295EEENS1_25partition_config_selectorILNS1_17partition_subalgoE3EjNS0_10empty_typeEbEEZZNS1_14partition_implILS8_3ELb0ES6_jNS0_17counting_iteratorIjlEEPS9_SE_NS0_5tupleIJPjSE_EEENSF_IJSE_SE_EEES9_SG_JZNS1_25segmented_radix_sort_implINS0_14default_configELb0EPKhPhPKlPlN2at6native12_GLOBAL__N_18offset_tEEE10hipError_tPvRmT1_PNSt15iterator_traitsISY_E10value_typeET2_T3_PNSZ_IS14_E10value_typeET4_jRbjT5_S1A_jjP12ihipStream_tbEUljE_EEESV_SW_SX_S14_S18_S1A_T6_T7_T9_mT8_S1C_bDpT10_ENKUlT_T0_E_clISt17integral_constantIbLb1EES1P_EEDaS1K_S1L_EUlS1K_E_NS1_11comp_targetILNS1_3genE0ELNS1_11target_archE4294967295ELNS1_3gpuE0ELNS1_3repE0EEENS1_30default_config_static_selectorELNS0_4arch9wavefront6targetE0EEEvSY_
    .private_segment_fixed_size: 0
    .sgpr_count:     0
    .sgpr_spill_count: 0
    .symbol:         _ZN7rocprim17ROCPRIM_400000_NS6detail17trampoline_kernelINS0_13select_configILj256ELj13ELNS0_17block_load_methodE3ELS4_3ELS4_3ELNS0_20block_scan_algorithmE0ELj4294967295EEENS1_25partition_config_selectorILNS1_17partition_subalgoE3EjNS0_10empty_typeEbEEZZNS1_14partition_implILS8_3ELb0ES6_jNS0_17counting_iteratorIjlEEPS9_SE_NS0_5tupleIJPjSE_EEENSF_IJSE_SE_EEES9_SG_JZNS1_25segmented_radix_sort_implINS0_14default_configELb0EPKhPhPKlPlN2at6native12_GLOBAL__N_18offset_tEEE10hipError_tPvRmT1_PNSt15iterator_traitsISY_E10value_typeET2_T3_PNSZ_IS14_E10value_typeET4_jRbjT5_S1A_jjP12ihipStream_tbEUljE_EEESV_SW_SX_S14_S18_S1A_T6_T7_T9_mT8_S1C_bDpT10_ENKUlT_T0_E_clISt17integral_constantIbLb1EES1P_EEDaS1K_S1L_EUlS1K_E_NS1_11comp_targetILNS1_3genE0ELNS1_11target_archE4294967295ELNS1_3gpuE0ELNS1_3repE0EEENS1_30default_config_static_selectorELNS0_4arch9wavefront6targetE0EEEvSY_.kd
    .uniform_work_group_size: 1
    .uses_dynamic_stack: false
    .vgpr_count:     0
    .vgpr_spill_count: 0
    .wavefront_size: 32
    .workgroup_processor_mode: 1
  - .args:
      - .offset:         0
        .size:           152
        .value_kind:     by_value
    .group_segment_fixed_size: 0
    .kernarg_segment_align: 8
    .kernarg_segment_size: 152
    .language:       OpenCL C
    .language_version:
      - 2
      - 0
    .max_flat_workgroup_size: 256
    .name:           _ZN7rocprim17ROCPRIM_400000_NS6detail17trampoline_kernelINS0_13select_configILj256ELj13ELNS0_17block_load_methodE3ELS4_3ELS4_3ELNS0_20block_scan_algorithmE0ELj4294967295EEENS1_25partition_config_selectorILNS1_17partition_subalgoE3EjNS0_10empty_typeEbEEZZNS1_14partition_implILS8_3ELb0ES6_jNS0_17counting_iteratorIjlEEPS9_SE_NS0_5tupleIJPjSE_EEENSF_IJSE_SE_EEES9_SG_JZNS1_25segmented_radix_sort_implINS0_14default_configELb0EPKhPhPKlPlN2at6native12_GLOBAL__N_18offset_tEEE10hipError_tPvRmT1_PNSt15iterator_traitsISY_E10value_typeET2_T3_PNSZ_IS14_E10value_typeET4_jRbjT5_S1A_jjP12ihipStream_tbEUljE_EEESV_SW_SX_S14_S18_S1A_T6_T7_T9_mT8_S1C_bDpT10_ENKUlT_T0_E_clISt17integral_constantIbLb1EES1P_EEDaS1K_S1L_EUlS1K_E_NS1_11comp_targetILNS1_3genE5ELNS1_11target_archE942ELNS1_3gpuE9ELNS1_3repE0EEENS1_30default_config_static_selectorELNS0_4arch9wavefront6targetE0EEEvSY_
    .private_segment_fixed_size: 0
    .sgpr_count:     0
    .sgpr_spill_count: 0
    .symbol:         _ZN7rocprim17ROCPRIM_400000_NS6detail17trampoline_kernelINS0_13select_configILj256ELj13ELNS0_17block_load_methodE3ELS4_3ELS4_3ELNS0_20block_scan_algorithmE0ELj4294967295EEENS1_25partition_config_selectorILNS1_17partition_subalgoE3EjNS0_10empty_typeEbEEZZNS1_14partition_implILS8_3ELb0ES6_jNS0_17counting_iteratorIjlEEPS9_SE_NS0_5tupleIJPjSE_EEENSF_IJSE_SE_EEES9_SG_JZNS1_25segmented_radix_sort_implINS0_14default_configELb0EPKhPhPKlPlN2at6native12_GLOBAL__N_18offset_tEEE10hipError_tPvRmT1_PNSt15iterator_traitsISY_E10value_typeET2_T3_PNSZ_IS14_E10value_typeET4_jRbjT5_S1A_jjP12ihipStream_tbEUljE_EEESV_SW_SX_S14_S18_S1A_T6_T7_T9_mT8_S1C_bDpT10_ENKUlT_T0_E_clISt17integral_constantIbLb1EES1P_EEDaS1K_S1L_EUlS1K_E_NS1_11comp_targetILNS1_3genE5ELNS1_11target_archE942ELNS1_3gpuE9ELNS1_3repE0EEENS1_30default_config_static_selectorELNS0_4arch9wavefront6targetE0EEEvSY_.kd
    .uniform_work_group_size: 1
    .uses_dynamic_stack: false
    .vgpr_count:     0
    .vgpr_spill_count: 0
    .wavefront_size: 32
    .workgroup_processor_mode: 1
  - .args:
      - .offset:         0
        .size:           152
        .value_kind:     by_value
    .group_segment_fixed_size: 0
    .kernarg_segment_align: 8
    .kernarg_segment_size: 152
    .language:       OpenCL C
    .language_version:
      - 2
      - 0
    .max_flat_workgroup_size: 256
    .name:           _ZN7rocprim17ROCPRIM_400000_NS6detail17trampoline_kernelINS0_13select_configILj256ELj13ELNS0_17block_load_methodE3ELS4_3ELS4_3ELNS0_20block_scan_algorithmE0ELj4294967295EEENS1_25partition_config_selectorILNS1_17partition_subalgoE3EjNS0_10empty_typeEbEEZZNS1_14partition_implILS8_3ELb0ES6_jNS0_17counting_iteratorIjlEEPS9_SE_NS0_5tupleIJPjSE_EEENSF_IJSE_SE_EEES9_SG_JZNS1_25segmented_radix_sort_implINS0_14default_configELb0EPKhPhPKlPlN2at6native12_GLOBAL__N_18offset_tEEE10hipError_tPvRmT1_PNSt15iterator_traitsISY_E10value_typeET2_T3_PNSZ_IS14_E10value_typeET4_jRbjT5_S1A_jjP12ihipStream_tbEUljE_EEESV_SW_SX_S14_S18_S1A_T6_T7_T9_mT8_S1C_bDpT10_ENKUlT_T0_E_clISt17integral_constantIbLb1EES1P_EEDaS1K_S1L_EUlS1K_E_NS1_11comp_targetILNS1_3genE4ELNS1_11target_archE910ELNS1_3gpuE8ELNS1_3repE0EEENS1_30default_config_static_selectorELNS0_4arch9wavefront6targetE0EEEvSY_
    .private_segment_fixed_size: 0
    .sgpr_count:     0
    .sgpr_spill_count: 0
    .symbol:         _ZN7rocprim17ROCPRIM_400000_NS6detail17trampoline_kernelINS0_13select_configILj256ELj13ELNS0_17block_load_methodE3ELS4_3ELS4_3ELNS0_20block_scan_algorithmE0ELj4294967295EEENS1_25partition_config_selectorILNS1_17partition_subalgoE3EjNS0_10empty_typeEbEEZZNS1_14partition_implILS8_3ELb0ES6_jNS0_17counting_iteratorIjlEEPS9_SE_NS0_5tupleIJPjSE_EEENSF_IJSE_SE_EEES9_SG_JZNS1_25segmented_radix_sort_implINS0_14default_configELb0EPKhPhPKlPlN2at6native12_GLOBAL__N_18offset_tEEE10hipError_tPvRmT1_PNSt15iterator_traitsISY_E10value_typeET2_T3_PNSZ_IS14_E10value_typeET4_jRbjT5_S1A_jjP12ihipStream_tbEUljE_EEESV_SW_SX_S14_S18_S1A_T6_T7_T9_mT8_S1C_bDpT10_ENKUlT_T0_E_clISt17integral_constantIbLb1EES1P_EEDaS1K_S1L_EUlS1K_E_NS1_11comp_targetILNS1_3genE4ELNS1_11target_archE910ELNS1_3gpuE8ELNS1_3repE0EEENS1_30default_config_static_selectorELNS0_4arch9wavefront6targetE0EEEvSY_.kd
    .uniform_work_group_size: 1
    .uses_dynamic_stack: false
    .vgpr_count:     0
    .vgpr_spill_count: 0
    .wavefront_size: 32
    .workgroup_processor_mode: 1
  - .args:
      - .offset:         0
        .size:           152
        .value_kind:     by_value
    .group_segment_fixed_size: 0
    .kernarg_segment_align: 8
    .kernarg_segment_size: 152
    .language:       OpenCL C
    .language_version:
      - 2
      - 0
    .max_flat_workgroup_size: 256
    .name:           _ZN7rocprim17ROCPRIM_400000_NS6detail17trampoline_kernelINS0_13select_configILj256ELj13ELNS0_17block_load_methodE3ELS4_3ELS4_3ELNS0_20block_scan_algorithmE0ELj4294967295EEENS1_25partition_config_selectorILNS1_17partition_subalgoE3EjNS0_10empty_typeEbEEZZNS1_14partition_implILS8_3ELb0ES6_jNS0_17counting_iteratorIjlEEPS9_SE_NS0_5tupleIJPjSE_EEENSF_IJSE_SE_EEES9_SG_JZNS1_25segmented_radix_sort_implINS0_14default_configELb0EPKhPhPKlPlN2at6native12_GLOBAL__N_18offset_tEEE10hipError_tPvRmT1_PNSt15iterator_traitsISY_E10value_typeET2_T3_PNSZ_IS14_E10value_typeET4_jRbjT5_S1A_jjP12ihipStream_tbEUljE_EEESV_SW_SX_S14_S18_S1A_T6_T7_T9_mT8_S1C_bDpT10_ENKUlT_T0_E_clISt17integral_constantIbLb1EES1P_EEDaS1K_S1L_EUlS1K_E_NS1_11comp_targetILNS1_3genE3ELNS1_11target_archE908ELNS1_3gpuE7ELNS1_3repE0EEENS1_30default_config_static_selectorELNS0_4arch9wavefront6targetE0EEEvSY_
    .private_segment_fixed_size: 0
    .sgpr_count:     0
    .sgpr_spill_count: 0
    .symbol:         _ZN7rocprim17ROCPRIM_400000_NS6detail17trampoline_kernelINS0_13select_configILj256ELj13ELNS0_17block_load_methodE3ELS4_3ELS4_3ELNS0_20block_scan_algorithmE0ELj4294967295EEENS1_25partition_config_selectorILNS1_17partition_subalgoE3EjNS0_10empty_typeEbEEZZNS1_14partition_implILS8_3ELb0ES6_jNS0_17counting_iteratorIjlEEPS9_SE_NS0_5tupleIJPjSE_EEENSF_IJSE_SE_EEES9_SG_JZNS1_25segmented_radix_sort_implINS0_14default_configELb0EPKhPhPKlPlN2at6native12_GLOBAL__N_18offset_tEEE10hipError_tPvRmT1_PNSt15iterator_traitsISY_E10value_typeET2_T3_PNSZ_IS14_E10value_typeET4_jRbjT5_S1A_jjP12ihipStream_tbEUljE_EEESV_SW_SX_S14_S18_S1A_T6_T7_T9_mT8_S1C_bDpT10_ENKUlT_T0_E_clISt17integral_constantIbLb1EES1P_EEDaS1K_S1L_EUlS1K_E_NS1_11comp_targetILNS1_3genE3ELNS1_11target_archE908ELNS1_3gpuE7ELNS1_3repE0EEENS1_30default_config_static_selectorELNS0_4arch9wavefront6targetE0EEEvSY_.kd
    .uniform_work_group_size: 1
    .uses_dynamic_stack: false
    .vgpr_count:     0
    .vgpr_spill_count: 0
    .wavefront_size: 32
    .workgroup_processor_mode: 1
  - .args:
      - .offset:         0
        .size:           152
        .value_kind:     by_value
    .group_segment_fixed_size: 0
    .kernarg_segment_align: 8
    .kernarg_segment_size: 152
    .language:       OpenCL C
    .language_version:
      - 2
      - 0
    .max_flat_workgroup_size: 256
    .name:           _ZN7rocprim17ROCPRIM_400000_NS6detail17trampoline_kernelINS0_13select_configILj256ELj13ELNS0_17block_load_methodE3ELS4_3ELS4_3ELNS0_20block_scan_algorithmE0ELj4294967295EEENS1_25partition_config_selectorILNS1_17partition_subalgoE3EjNS0_10empty_typeEbEEZZNS1_14partition_implILS8_3ELb0ES6_jNS0_17counting_iteratorIjlEEPS9_SE_NS0_5tupleIJPjSE_EEENSF_IJSE_SE_EEES9_SG_JZNS1_25segmented_radix_sort_implINS0_14default_configELb0EPKhPhPKlPlN2at6native12_GLOBAL__N_18offset_tEEE10hipError_tPvRmT1_PNSt15iterator_traitsISY_E10value_typeET2_T3_PNSZ_IS14_E10value_typeET4_jRbjT5_S1A_jjP12ihipStream_tbEUljE_EEESV_SW_SX_S14_S18_S1A_T6_T7_T9_mT8_S1C_bDpT10_ENKUlT_T0_E_clISt17integral_constantIbLb1EES1P_EEDaS1K_S1L_EUlS1K_E_NS1_11comp_targetILNS1_3genE2ELNS1_11target_archE906ELNS1_3gpuE6ELNS1_3repE0EEENS1_30default_config_static_selectorELNS0_4arch9wavefront6targetE0EEEvSY_
    .private_segment_fixed_size: 0
    .sgpr_count:     0
    .sgpr_spill_count: 0
    .symbol:         _ZN7rocprim17ROCPRIM_400000_NS6detail17trampoline_kernelINS0_13select_configILj256ELj13ELNS0_17block_load_methodE3ELS4_3ELS4_3ELNS0_20block_scan_algorithmE0ELj4294967295EEENS1_25partition_config_selectorILNS1_17partition_subalgoE3EjNS0_10empty_typeEbEEZZNS1_14partition_implILS8_3ELb0ES6_jNS0_17counting_iteratorIjlEEPS9_SE_NS0_5tupleIJPjSE_EEENSF_IJSE_SE_EEES9_SG_JZNS1_25segmented_radix_sort_implINS0_14default_configELb0EPKhPhPKlPlN2at6native12_GLOBAL__N_18offset_tEEE10hipError_tPvRmT1_PNSt15iterator_traitsISY_E10value_typeET2_T3_PNSZ_IS14_E10value_typeET4_jRbjT5_S1A_jjP12ihipStream_tbEUljE_EEESV_SW_SX_S14_S18_S1A_T6_T7_T9_mT8_S1C_bDpT10_ENKUlT_T0_E_clISt17integral_constantIbLb1EES1P_EEDaS1K_S1L_EUlS1K_E_NS1_11comp_targetILNS1_3genE2ELNS1_11target_archE906ELNS1_3gpuE6ELNS1_3repE0EEENS1_30default_config_static_selectorELNS0_4arch9wavefront6targetE0EEEvSY_.kd
    .uniform_work_group_size: 1
    .uses_dynamic_stack: false
    .vgpr_count:     0
    .vgpr_spill_count: 0
    .wavefront_size: 32
    .workgroup_processor_mode: 1
  - .args:
      - .offset:         0
        .size:           152
        .value_kind:     by_value
    .group_segment_fixed_size: 0
    .kernarg_segment_align: 8
    .kernarg_segment_size: 152
    .language:       OpenCL C
    .language_version:
      - 2
      - 0
    .max_flat_workgroup_size: 256
    .name:           _ZN7rocprim17ROCPRIM_400000_NS6detail17trampoline_kernelINS0_13select_configILj256ELj13ELNS0_17block_load_methodE3ELS4_3ELS4_3ELNS0_20block_scan_algorithmE0ELj4294967295EEENS1_25partition_config_selectorILNS1_17partition_subalgoE3EjNS0_10empty_typeEbEEZZNS1_14partition_implILS8_3ELb0ES6_jNS0_17counting_iteratorIjlEEPS9_SE_NS0_5tupleIJPjSE_EEENSF_IJSE_SE_EEES9_SG_JZNS1_25segmented_radix_sort_implINS0_14default_configELb0EPKhPhPKlPlN2at6native12_GLOBAL__N_18offset_tEEE10hipError_tPvRmT1_PNSt15iterator_traitsISY_E10value_typeET2_T3_PNSZ_IS14_E10value_typeET4_jRbjT5_S1A_jjP12ihipStream_tbEUljE_EEESV_SW_SX_S14_S18_S1A_T6_T7_T9_mT8_S1C_bDpT10_ENKUlT_T0_E_clISt17integral_constantIbLb1EES1P_EEDaS1K_S1L_EUlS1K_E_NS1_11comp_targetILNS1_3genE10ELNS1_11target_archE1200ELNS1_3gpuE4ELNS1_3repE0EEENS1_30default_config_static_selectorELNS0_4arch9wavefront6targetE0EEEvSY_
    .private_segment_fixed_size: 0
    .sgpr_count:     0
    .sgpr_spill_count: 0
    .symbol:         _ZN7rocprim17ROCPRIM_400000_NS6detail17trampoline_kernelINS0_13select_configILj256ELj13ELNS0_17block_load_methodE3ELS4_3ELS4_3ELNS0_20block_scan_algorithmE0ELj4294967295EEENS1_25partition_config_selectorILNS1_17partition_subalgoE3EjNS0_10empty_typeEbEEZZNS1_14partition_implILS8_3ELb0ES6_jNS0_17counting_iteratorIjlEEPS9_SE_NS0_5tupleIJPjSE_EEENSF_IJSE_SE_EEES9_SG_JZNS1_25segmented_radix_sort_implINS0_14default_configELb0EPKhPhPKlPlN2at6native12_GLOBAL__N_18offset_tEEE10hipError_tPvRmT1_PNSt15iterator_traitsISY_E10value_typeET2_T3_PNSZ_IS14_E10value_typeET4_jRbjT5_S1A_jjP12ihipStream_tbEUljE_EEESV_SW_SX_S14_S18_S1A_T6_T7_T9_mT8_S1C_bDpT10_ENKUlT_T0_E_clISt17integral_constantIbLb1EES1P_EEDaS1K_S1L_EUlS1K_E_NS1_11comp_targetILNS1_3genE10ELNS1_11target_archE1200ELNS1_3gpuE4ELNS1_3repE0EEENS1_30default_config_static_selectorELNS0_4arch9wavefront6targetE0EEEvSY_.kd
    .uniform_work_group_size: 1
    .uses_dynamic_stack: false
    .vgpr_count:     0
    .vgpr_spill_count: 0
    .wavefront_size: 32
    .workgroup_processor_mode: 1
  - .args:
      - .offset:         0
        .size:           152
        .value_kind:     by_value
    .group_segment_fixed_size: 0
    .kernarg_segment_align: 8
    .kernarg_segment_size: 152
    .language:       OpenCL C
    .language_version:
      - 2
      - 0
    .max_flat_workgroup_size: 256
    .name:           _ZN7rocprim17ROCPRIM_400000_NS6detail17trampoline_kernelINS0_13select_configILj256ELj13ELNS0_17block_load_methodE3ELS4_3ELS4_3ELNS0_20block_scan_algorithmE0ELj4294967295EEENS1_25partition_config_selectorILNS1_17partition_subalgoE3EjNS0_10empty_typeEbEEZZNS1_14partition_implILS8_3ELb0ES6_jNS0_17counting_iteratorIjlEEPS9_SE_NS0_5tupleIJPjSE_EEENSF_IJSE_SE_EEES9_SG_JZNS1_25segmented_radix_sort_implINS0_14default_configELb0EPKhPhPKlPlN2at6native12_GLOBAL__N_18offset_tEEE10hipError_tPvRmT1_PNSt15iterator_traitsISY_E10value_typeET2_T3_PNSZ_IS14_E10value_typeET4_jRbjT5_S1A_jjP12ihipStream_tbEUljE_EEESV_SW_SX_S14_S18_S1A_T6_T7_T9_mT8_S1C_bDpT10_ENKUlT_T0_E_clISt17integral_constantIbLb1EES1P_EEDaS1K_S1L_EUlS1K_E_NS1_11comp_targetILNS1_3genE9ELNS1_11target_archE1100ELNS1_3gpuE3ELNS1_3repE0EEENS1_30default_config_static_selectorELNS0_4arch9wavefront6targetE0EEEvSY_
    .private_segment_fixed_size: 0
    .sgpr_count:     0
    .sgpr_spill_count: 0
    .symbol:         _ZN7rocprim17ROCPRIM_400000_NS6detail17trampoline_kernelINS0_13select_configILj256ELj13ELNS0_17block_load_methodE3ELS4_3ELS4_3ELNS0_20block_scan_algorithmE0ELj4294967295EEENS1_25partition_config_selectorILNS1_17partition_subalgoE3EjNS0_10empty_typeEbEEZZNS1_14partition_implILS8_3ELb0ES6_jNS0_17counting_iteratorIjlEEPS9_SE_NS0_5tupleIJPjSE_EEENSF_IJSE_SE_EEES9_SG_JZNS1_25segmented_radix_sort_implINS0_14default_configELb0EPKhPhPKlPlN2at6native12_GLOBAL__N_18offset_tEEE10hipError_tPvRmT1_PNSt15iterator_traitsISY_E10value_typeET2_T3_PNSZ_IS14_E10value_typeET4_jRbjT5_S1A_jjP12ihipStream_tbEUljE_EEESV_SW_SX_S14_S18_S1A_T6_T7_T9_mT8_S1C_bDpT10_ENKUlT_T0_E_clISt17integral_constantIbLb1EES1P_EEDaS1K_S1L_EUlS1K_E_NS1_11comp_targetILNS1_3genE9ELNS1_11target_archE1100ELNS1_3gpuE3ELNS1_3repE0EEENS1_30default_config_static_selectorELNS0_4arch9wavefront6targetE0EEEvSY_.kd
    .uniform_work_group_size: 1
    .uses_dynamic_stack: false
    .vgpr_count:     0
    .vgpr_spill_count: 0
    .wavefront_size: 32
    .workgroup_processor_mode: 1
  - .args:
      - .offset:         0
        .size:           152
        .value_kind:     by_value
    .group_segment_fixed_size: 0
    .kernarg_segment_align: 8
    .kernarg_segment_size: 152
    .language:       OpenCL C
    .language_version:
      - 2
      - 0
    .max_flat_workgroup_size: 256
    .name:           _ZN7rocprim17ROCPRIM_400000_NS6detail17trampoline_kernelINS0_13select_configILj256ELj13ELNS0_17block_load_methodE3ELS4_3ELS4_3ELNS0_20block_scan_algorithmE0ELj4294967295EEENS1_25partition_config_selectorILNS1_17partition_subalgoE3EjNS0_10empty_typeEbEEZZNS1_14partition_implILS8_3ELb0ES6_jNS0_17counting_iteratorIjlEEPS9_SE_NS0_5tupleIJPjSE_EEENSF_IJSE_SE_EEES9_SG_JZNS1_25segmented_radix_sort_implINS0_14default_configELb0EPKhPhPKlPlN2at6native12_GLOBAL__N_18offset_tEEE10hipError_tPvRmT1_PNSt15iterator_traitsISY_E10value_typeET2_T3_PNSZ_IS14_E10value_typeET4_jRbjT5_S1A_jjP12ihipStream_tbEUljE_EEESV_SW_SX_S14_S18_S1A_T6_T7_T9_mT8_S1C_bDpT10_ENKUlT_T0_E_clISt17integral_constantIbLb1EES1P_EEDaS1K_S1L_EUlS1K_E_NS1_11comp_targetILNS1_3genE8ELNS1_11target_archE1030ELNS1_3gpuE2ELNS1_3repE0EEENS1_30default_config_static_selectorELNS0_4arch9wavefront6targetE0EEEvSY_
    .private_segment_fixed_size: 0
    .sgpr_count:     0
    .sgpr_spill_count: 0
    .symbol:         _ZN7rocprim17ROCPRIM_400000_NS6detail17trampoline_kernelINS0_13select_configILj256ELj13ELNS0_17block_load_methodE3ELS4_3ELS4_3ELNS0_20block_scan_algorithmE0ELj4294967295EEENS1_25partition_config_selectorILNS1_17partition_subalgoE3EjNS0_10empty_typeEbEEZZNS1_14partition_implILS8_3ELb0ES6_jNS0_17counting_iteratorIjlEEPS9_SE_NS0_5tupleIJPjSE_EEENSF_IJSE_SE_EEES9_SG_JZNS1_25segmented_radix_sort_implINS0_14default_configELb0EPKhPhPKlPlN2at6native12_GLOBAL__N_18offset_tEEE10hipError_tPvRmT1_PNSt15iterator_traitsISY_E10value_typeET2_T3_PNSZ_IS14_E10value_typeET4_jRbjT5_S1A_jjP12ihipStream_tbEUljE_EEESV_SW_SX_S14_S18_S1A_T6_T7_T9_mT8_S1C_bDpT10_ENKUlT_T0_E_clISt17integral_constantIbLb1EES1P_EEDaS1K_S1L_EUlS1K_E_NS1_11comp_targetILNS1_3genE8ELNS1_11target_archE1030ELNS1_3gpuE2ELNS1_3repE0EEENS1_30default_config_static_selectorELNS0_4arch9wavefront6targetE0EEEvSY_.kd
    .uniform_work_group_size: 1
    .uses_dynamic_stack: false
    .vgpr_count:     0
    .vgpr_spill_count: 0
    .wavefront_size: 32
    .workgroup_processor_mode: 1
  - .args:
      - .offset:         0
        .size:           144
        .value_kind:     by_value
    .group_segment_fixed_size: 0
    .kernarg_segment_align: 8
    .kernarg_segment_size: 144
    .language:       OpenCL C
    .language_version:
      - 2
      - 0
    .max_flat_workgroup_size: 256
    .name:           _ZN7rocprim17ROCPRIM_400000_NS6detail17trampoline_kernelINS0_13select_configILj256ELj13ELNS0_17block_load_methodE3ELS4_3ELS4_3ELNS0_20block_scan_algorithmE0ELj4294967295EEENS1_25partition_config_selectorILNS1_17partition_subalgoE3EjNS0_10empty_typeEbEEZZNS1_14partition_implILS8_3ELb0ES6_jNS0_17counting_iteratorIjlEEPS9_SE_NS0_5tupleIJPjSE_EEENSF_IJSE_SE_EEES9_SG_JZNS1_25segmented_radix_sort_implINS0_14default_configELb0EPKhPhPKlPlN2at6native12_GLOBAL__N_18offset_tEEE10hipError_tPvRmT1_PNSt15iterator_traitsISY_E10value_typeET2_T3_PNSZ_IS14_E10value_typeET4_jRbjT5_S1A_jjP12ihipStream_tbEUljE_EEESV_SW_SX_S14_S18_S1A_T6_T7_T9_mT8_S1C_bDpT10_ENKUlT_T0_E_clISt17integral_constantIbLb1EES1O_IbLb0EEEEDaS1K_S1L_EUlS1K_E_NS1_11comp_targetILNS1_3genE0ELNS1_11target_archE4294967295ELNS1_3gpuE0ELNS1_3repE0EEENS1_30default_config_static_selectorELNS0_4arch9wavefront6targetE0EEEvSY_
    .private_segment_fixed_size: 0
    .sgpr_count:     0
    .sgpr_spill_count: 0
    .symbol:         _ZN7rocprim17ROCPRIM_400000_NS6detail17trampoline_kernelINS0_13select_configILj256ELj13ELNS0_17block_load_methodE3ELS4_3ELS4_3ELNS0_20block_scan_algorithmE0ELj4294967295EEENS1_25partition_config_selectorILNS1_17partition_subalgoE3EjNS0_10empty_typeEbEEZZNS1_14partition_implILS8_3ELb0ES6_jNS0_17counting_iteratorIjlEEPS9_SE_NS0_5tupleIJPjSE_EEENSF_IJSE_SE_EEES9_SG_JZNS1_25segmented_radix_sort_implINS0_14default_configELb0EPKhPhPKlPlN2at6native12_GLOBAL__N_18offset_tEEE10hipError_tPvRmT1_PNSt15iterator_traitsISY_E10value_typeET2_T3_PNSZ_IS14_E10value_typeET4_jRbjT5_S1A_jjP12ihipStream_tbEUljE_EEESV_SW_SX_S14_S18_S1A_T6_T7_T9_mT8_S1C_bDpT10_ENKUlT_T0_E_clISt17integral_constantIbLb1EES1O_IbLb0EEEEDaS1K_S1L_EUlS1K_E_NS1_11comp_targetILNS1_3genE0ELNS1_11target_archE4294967295ELNS1_3gpuE0ELNS1_3repE0EEENS1_30default_config_static_selectorELNS0_4arch9wavefront6targetE0EEEvSY_.kd
    .uniform_work_group_size: 1
    .uses_dynamic_stack: false
    .vgpr_count:     0
    .vgpr_spill_count: 0
    .wavefront_size: 32
    .workgroup_processor_mode: 1
  - .args:
      - .offset:         0
        .size:           144
        .value_kind:     by_value
    .group_segment_fixed_size: 0
    .kernarg_segment_align: 8
    .kernarg_segment_size: 144
    .language:       OpenCL C
    .language_version:
      - 2
      - 0
    .max_flat_workgroup_size: 256
    .name:           _ZN7rocprim17ROCPRIM_400000_NS6detail17trampoline_kernelINS0_13select_configILj256ELj13ELNS0_17block_load_methodE3ELS4_3ELS4_3ELNS0_20block_scan_algorithmE0ELj4294967295EEENS1_25partition_config_selectorILNS1_17partition_subalgoE3EjNS0_10empty_typeEbEEZZNS1_14partition_implILS8_3ELb0ES6_jNS0_17counting_iteratorIjlEEPS9_SE_NS0_5tupleIJPjSE_EEENSF_IJSE_SE_EEES9_SG_JZNS1_25segmented_radix_sort_implINS0_14default_configELb0EPKhPhPKlPlN2at6native12_GLOBAL__N_18offset_tEEE10hipError_tPvRmT1_PNSt15iterator_traitsISY_E10value_typeET2_T3_PNSZ_IS14_E10value_typeET4_jRbjT5_S1A_jjP12ihipStream_tbEUljE_EEESV_SW_SX_S14_S18_S1A_T6_T7_T9_mT8_S1C_bDpT10_ENKUlT_T0_E_clISt17integral_constantIbLb1EES1O_IbLb0EEEEDaS1K_S1L_EUlS1K_E_NS1_11comp_targetILNS1_3genE5ELNS1_11target_archE942ELNS1_3gpuE9ELNS1_3repE0EEENS1_30default_config_static_selectorELNS0_4arch9wavefront6targetE0EEEvSY_
    .private_segment_fixed_size: 0
    .sgpr_count:     0
    .sgpr_spill_count: 0
    .symbol:         _ZN7rocprim17ROCPRIM_400000_NS6detail17trampoline_kernelINS0_13select_configILj256ELj13ELNS0_17block_load_methodE3ELS4_3ELS4_3ELNS0_20block_scan_algorithmE0ELj4294967295EEENS1_25partition_config_selectorILNS1_17partition_subalgoE3EjNS0_10empty_typeEbEEZZNS1_14partition_implILS8_3ELb0ES6_jNS0_17counting_iteratorIjlEEPS9_SE_NS0_5tupleIJPjSE_EEENSF_IJSE_SE_EEES9_SG_JZNS1_25segmented_radix_sort_implINS0_14default_configELb0EPKhPhPKlPlN2at6native12_GLOBAL__N_18offset_tEEE10hipError_tPvRmT1_PNSt15iterator_traitsISY_E10value_typeET2_T3_PNSZ_IS14_E10value_typeET4_jRbjT5_S1A_jjP12ihipStream_tbEUljE_EEESV_SW_SX_S14_S18_S1A_T6_T7_T9_mT8_S1C_bDpT10_ENKUlT_T0_E_clISt17integral_constantIbLb1EES1O_IbLb0EEEEDaS1K_S1L_EUlS1K_E_NS1_11comp_targetILNS1_3genE5ELNS1_11target_archE942ELNS1_3gpuE9ELNS1_3repE0EEENS1_30default_config_static_selectorELNS0_4arch9wavefront6targetE0EEEvSY_.kd
    .uniform_work_group_size: 1
    .uses_dynamic_stack: false
    .vgpr_count:     0
    .vgpr_spill_count: 0
    .wavefront_size: 32
    .workgroup_processor_mode: 1
  - .args:
      - .offset:         0
        .size:           144
        .value_kind:     by_value
    .group_segment_fixed_size: 0
    .kernarg_segment_align: 8
    .kernarg_segment_size: 144
    .language:       OpenCL C
    .language_version:
      - 2
      - 0
    .max_flat_workgroup_size: 256
    .name:           _ZN7rocprim17ROCPRIM_400000_NS6detail17trampoline_kernelINS0_13select_configILj256ELj13ELNS0_17block_load_methodE3ELS4_3ELS4_3ELNS0_20block_scan_algorithmE0ELj4294967295EEENS1_25partition_config_selectorILNS1_17partition_subalgoE3EjNS0_10empty_typeEbEEZZNS1_14partition_implILS8_3ELb0ES6_jNS0_17counting_iteratorIjlEEPS9_SE_NS0_5tupleIJPjSE_EEENSF_IJSE_SE_EEES9_SG_JZNS1_25segmented_radix_sort_implINS0_14default_configELb0EPKhPhPKlPlN2at6native12_GLOBAL__N_18offset_tEEE10hipError_tPvRmT1_PNSt15iterator_traitsISY_E10value_typeET2_T3_PNSZ_IS14_E10value_typeET4_jRbjT5_S1A_jjP12ihipStream_tbEUljE_EEESV_SW_SX_S14_S18_S1A_T6_T7_T9_mT8_S1C_bDpT10_ENKUlT_T0_E_clISt17integral_constantIbLb1EES1O_IbLb0EEEEDaS1K_S1L_EUlS1K_E_NS1_11comp_targetILNS1_3genE4ELNS1_11target_archE910ELNS1_3gpuE8ELNS1_3repE0EEENS1_30default_config_static_selectorELNS0_4arch9wavefront6targetE0EEEvSY_
    .private_segment_fixed_size: 0
    .sgpr_count:     0
    .sgpr_spill_count: 0
    .symbol:         _ZN7rocprim17ROCPRIM_400000_NS6detail17trampoline_kernelINS0_13select_configILj256ELj13ELNS0_17block_load_methodE3ELS4_3ELS4_3ELNS0_20block_scan_algorithmE0ELj4294967295EEENS1_25partition_config_selectorILNS1_17partition_subalgoE3EjNS0_10empty_typeEbEEZZNS1_14partition_implILS8_3ELb0ES6_jNS0_17counting_iteratorIjlEEPS9_SE_NS0_5tupleIJPjSE_EEENSF_IJSE_SE_EEES9_SG_JZNS1_25segmented_radix_sort_implINS0_14default_configELb0EPKhPhPKlPlN2at6native12_GLOBAL__N_18offset_tEEE10hipError_tPvRmT1_PNSt15iterator_traitsISY_E10value_typeET2_T3_PNSZ_IS14_E10value_typeET4_jRbjT5_S1A_jjP12ihipStream_tbEUljE_EEESV_SW_SX_S14_S18_S1A_T6_T7_T9_mT8_S1C_bDpT10_ENKUlT_T0_E_clISt17integral_constantIbLb1EES1O_IbLb0EEEEDaS1K_S1L_EUlS1K_E_NS1_11comp_targetILNS1_3genE4ELNS1_11target_archE910ELNS1_3gpuE8ELNS1_3repE0EEENS1_30default_config_static_selectorELNS0_4arch9wavefront6targetE0EEEvSY_.kd
    .uniform_work_group_size: 1
    .uses_dynamic_stack: false
    .vgpr_count:     0
    .vgpr_spill_count: 0
    .wavefront_size: 32
    .workgroup_processor_mode: 1
  - .args:
      - .offset:         0
        .size:           144
        .value_kind:     by_value
    .group_segment_fixed_size: 0
    .kernarg_segment_align: 8
    .kernarg_segment_size: 144
    .language:       OpenCL C
    .language_version:
      - 2
      - 0
    .max_flat_workgroup_size: 256
    .name:           _ZN7rocprim17ROCPRIM_400000_NS6detail17trampoline_kernelINS0_13select_configILj256ELj13ELNS0_17block_load_methodE3ELS4_3ELS4_3ELNS0_20block_scan_algorithmE0ELj4294967295EEENS1_25partition_config_selectorILNS1_17partition_subalgoE3EjNS0_10empty_typeEbEEZZNS1_14partition_implILS8_3ELb0ES6_jNS0_17counting_iteratorIjlEEPS9_SE_NS0_5tupleIJPjSE_EEENSF_IJSE_SE_EEES9_SG_JZNS1_25segmented_radix_sort_implINS0_14default_configELb0EPKhPhPKlPlN2at6native12_GLOBAL__N_18offset_tEEE10hipError_tPvRmT1_PNSt15iterator_traitsISY_E10value_typeET2_T3_PNSZ_IS14_E10value_typeET4_jRbjT5_S1A_jjP12ihipStream_tbEUljE_EEESV_SW_SX_S14_S18_S1A_T6_T7_T9_mT8_S1C_bDpT10_ENKUlT_T0_E_clISt17integral_constantIbLb1EES1O_IbLb0EEEEDaS1K_S1L_EUlS1K_E_NS1_11comp_targetILNS1_3genE3ELNS1_11target_archE908ELNS1_3gpuE7ELNS1_3repE0EEENS1_30default_config_static_selectorELNS0_4arch9wavefront6targetE0EEEvSY_
    .private_segment_fixed_size: 0
    .sgpr_count:     0
    .sgpr_spill_count: 0
    .symbol:         _ZN7rocprim17ROCPRIM_400000_NS6detail17trampoline_kernelINS0_13select_configILj256ELj13ELNS0_17block_load_methodE3ELS4_3ELS4_3ELNS0_20block_scan_algorithmE0ELj4294967295EEENS1_25partition_config_selectorILNS1_17partition_subalgoE3EjNS0_10empty_typeEbEEZZNS1_14partition_implILS8_3ELb0ES6_jNS0_17counting_iteratorIjlEEPS9_SE_NS0_5tupleIJPjSE_EEENSF_IJSE_SE_EEES9_SG_JZNS1_25segmented_radix_sort_implINS0_14default_configELb0EPKhPhPKlPlN2at6native12_GLOBAL__N_18offset_tEEE10hipError_tPvRmT1_PNSt15iterator_traitsISY_E10value_typeET2_T3_PNSZ_IS14_E10value_typeET4_jRbjT5_S1A_jjP12ihipStream_tbEUljE_EEESV_SW_SX_S14_S18_S1A_T6_T7_T9_mT8_S1C_bDpT10_ENKUlT_T0_E_clISt17integral_constantIbLb1EES1O_IbLb0EEEEDaS1K_S1L_EUlS1K_E_NS1_11comp_targetILNS1_3genE3ELNS1_11target_archE908ELNS1_3gpuE7ELNS1_3repE0EEENS1_30default_config_static_selectorELNS0_4arch9wavefront6targetE0EEEvSY_.kd
    .uniform_work_group_size: 1
    .uses_dynamic_stack: false
    .vgpr_count:     0
    .vgpr_spill_count: 0
    .wavefront_size: 32
    .workgroup_processor_mode: 1
  - .args:
      - .offset:         0
        .size:           144
        .value_kind:     by_value
    .group_segment_fixed_size: 0
    .kernarg_segment_align: 8
    .kernarg_segment_size: 144
    .language:       OpenCL C
    .language_version:
      - 2
      - 0
    .max_flat_workgroup_size: 256
    .name:           _ZN7rocprim17ROCPRIM_400000_NS6detail17trampoline_kernelINS0_13select_configILj256ELj13ELNS0_17block_load_methodE3ELS4_3ELS4_3ELNS0_20block_scan_algorithmE0ELj4294967295EEENS1_25partition_config_selectorILNS1_17partition_subalgoE3EjNS0_10empty_typeEbEEZZNS1_14partition_implILS8_3ELb0ES6_jNS0_17counting_iteratorIjlEEPS9_SE_NS0_5tupleIJPjSE_EEENSF_IJSE_SE_EEES9_SG_JZNS1_25segmented_radix_sort_implINS0_14default_configELb0EPKhPhPKlPlN2at6native12_GLOBAL__N_18offset_tEEE10hipError_tPvRmT1_PNSt15iterator_traitsISY_E10value_typeET2_T3_PNSZ_IS14_E10value_typeET4_jRbjT5_S1A_jjP12ihipStream_tbEUljE_EEESV_SW_SX_S14_S18_S1A_T6_T7_T9_mT8_S1C_bDpT10_ENKUlT_T0_E_clISt17integral_constantIbLb1EES1O_IbLb0EEEEDaS1K_S1L_EUlS1K_E_NS1_11comp_targetILNS1_3genE2ELNS1_11target_archE906ELNS1_3gpuE6ELNS1_3repE0EEENS1_30default_config_static_selectorELNS0_4arch9wavefront6targetE0EEEvSY_
    .private_segment_fixed_size: 0
    .sgpr_count:     0
    .sgpr_spill_count: 0
    .symbol:         _ZN7rocprim17ROCPRIM_400000_NS6detail17trampoline_kernelINS0_13select_configILj256ELj13ELNS0_17block_load_methodE3ELS4_3ELS4_3ELNS0_20block_scan_algorithmE0ELj4294967295EEENS1_25partition_config_selectorILNS1_17partition_subalgoE3EjNS0_10empty_typeEbEEZZNS1_14partition_implILS8_3ELb0ES6_jNS0_17counting_iteratorIjlEEPS9_SE_NS0_5tupleIJPjSE_EEENSF_IJSE_SE_EEES9_SG_JZNS1_25segmented_radix_sort_implINS0_14default_configELb0EPKhPhPKlPlN2at6native12_GLOBAL__N_18offset_tEEE10hipError_tPvRmT1_PNSt15iterator_traitsISY_E10value_typeET2_T3_PNSZ_IS14_E10value_typeET4_jRbjT5_S1A_jjP12ihipStream_tbEUljE_EEESV_SW_SX_S14_S18_S1A_T6_T7_T9_mT8_S1C_bDpT10_ENKUlT_T0_E_clISt17integral_constantIbLb1EES1O_IbLb0EEEEDaS1K_S1L_EUlS1K_E_NS1_11comp_targetILNS1_3genE2ELNS1_11target_archE906ELNS1_3gpuE6ELNS1_3repE0EEENS1_30default_config_static_selectorELNS0_4arch9wavefront6targetE0EEEvSY_.kd
    .uniform_work_group_size: 1
    .uses_dynamic_stack: false
    .vgpr_count:     0
    .vgpr_spill_count: 0
    .wavefront_size: 32
    .workgroup_processor_mode: 1
  - .args:
      - .offset:         0
        .size:           144
        .value_kind:     by_value
    .group_segment_fixed_size: 0
    .kernarg_segment_align: 8
    .kernarg_segment_size: 144
    .language:       OpenCL C
    .language_version:
      - 2
      - 0
    .max_flat_workgroup_size: 256
    .name:           _ZN7rocprim17ROCPRIM_400000_NS6detail17trampoline_kernelINS0_13select_configILj256ELj13ELNS0_17block_load_methodE3ELS4_3ELS4_3ELNS0_20block_scan_algorithmE0ELj4294967295EEENS1_25partition_config_selectorILNS1_17partition_subalgoE3EjNS0_10empty_typeEbEEZZNS1_14partition_implILS8_3ELb0ES6_jNS0_17counting_iteratorIjlEEPS9_SE_NS0_5tupleIJPjSE_EEENSF_IJSE_SE_EEES9_SG_JZNS1_25segmented_radix_sort_implINS0_14default_configELb0EPKhPhPKlPlN2at6native12_GLOBAL__N_18offset_tEEE10hipError_tPvRmT1_PNSt15iterator_traitsISY_E10value_typeET2_T3_PNSZ_IS14_E10value_typeET4_jRbjT5_S1A_jjP12ihipStream_tbEUljE_EEESV_SW_SX_S14_S18_S1A_T6_T7_T9_mT8_S1C_bDpT10_ENKUlT_T0_E_clISt17integral_constantIbLb1EES1O_IbLb0EEEEDaS1K_S1L_EUlS1K_E_NS1_11comp_targetILNS1_3genE10ELNS1_11target_archE1200ELNS1_3gpuE4ELNS1_3repE0EEENS1_30default_config_static_selectorELNS0_4arch9wavefront6targetE0EEEvSY_
    .private_segment_fixed_size: 0
    .sgpr_count:     0
    .sgpr_spill_count: 0
    .symbol:         _ZN7rocprim17ROCPRIM_400000_NS6detail17trampoline_kernelINS0_13select_configILj256ELj13ELNS0_17block_load_methodE3ELS4_3ELS4_3ELNS0_20block_scan_algorithmE0ELj4294967295EEENS1_25partition_config_selectorILNS1_17partition_subalgoE3EjNS0_10empty_typeEbEEZZNS1_14partition_implILS8_3ELb0ES6_jNS0_17counting_iteratorIjlEEPS9_SE_NS0_5tupleIJPjSE_EEENSF_IJSE_SE_EEES9_SG_JZNS1_25segmented_radix_sort_implINS0_14default_configELb0EPKhPhPKlPlN2at6native12_GLOBAL__N_18offset_tEEE10hipError_tPvRmT1_PNSt15iterator_traitsISY_E10value_typeET2_T3_PNSZ_IS14_E10value_typeET4_jRbjT5_S1A_jjP12ihipStream_tbEUljE_EEESV_SW_SX_S14_S18_S1A_T6_T7_T9_mT8_S1C_bDpT10_ENKUlT_T0_E_clISt17integral_constantIbLb1EES1O_IbLb0EEEEDaS1K_S1L_EUlS1K_E_NS1_11comp_targetILNS1_3genE10ELNS1_11target_archE1200ELNS1_3gpuE4ELNS1_3repE0EEENS1_30default_config_static_selectorELNS0_4arch9wavefront6targetE0EEEvSY_.kd
    .uniform_work_group_size: 1
    .uses_dynamic_stack: false
    .vgpr_count:     0
    .vgpr_spill_count: 0
    .wavefront_size: 32
    .workgroup_processor_mode: 1
  - .args:
      - .offset:         0
        .size:           144
        .value_kind:     by_value
    .group_segment_fixed_size: 0
    .kernarg_segment_align: 8
    .kernarg_segment_size: 144
    .language:       OpenCL C
    .language_version:
      - 2
      - 0
    .max_flat_workgroup_size: 256
    .name:           _ZN7rocprim17ROCPRIM_400000_NS6detail17trampoline_kernelINS0_13select_configILj256ELj13ELNS0_17block_load_methodE3ELS4_3ELS4_3ELNS0_20block_scan_algorithmE0ELj4294967295EEENS1_25partition_config_selectorILNS1_17partition_subalgoE3EjNS0_10empty_typeEbEEZZNS1_14partition_implILS8_3ELb0ES6_jNS0_17counting_iteratorIjlEEPS9_SE_NS0_5tupleIJPjSE_EEENSF_IJSE_SE_EEES9_SG_JZNS1_25segmented_radix_sort_implINS0_14default_configELb0EPKhPhPKlPlN2at6native12_GLOBAL__N_18offset_tEEE10hipError_tPvRmT1_PNSt15iterator_traitsISY_E10value_typeET2_T3_PNSZ_IS14_E10value_typeET4_jRbjT5_S1A_jjP12ihipStream_tbEUljE_EEESV_SW_SX_S14_S18_S1A_T6_T7_T9_mT8_S1C_bDpT10_ENKUlT_T0_E_clISt17integral_constantIbLb1EES1O_IbLb0EEEEDaS1K_S1L_EUlS1K_E_NS1_11comp_targetILNS1_3genE9ELNS1_11target_archE1100ELNS1_3gpuE3ELNS1_3repE0EEENS1_30default_config_static_selectorELNS0_4arch9wavefront6targetE0EEEvSY_
    .private_segment_fixed_size: 0
    .sgpr_count:     0
    .sgpr_spill_count: 0
    .symbol:         _ZN7rocprim17ROCPRIM_400000_NS6detail17trampoline_kernelINS0_13select_configILj256ELj13ELNS0_17block_load_methodE3ELS4_3ELS4_3ELNS0_20block_scan_algorithmE0ELj4294967295EEENS1_25partition_config_selectorILNS1_17partition_subalgoE3EjNS0_10empty_typeEbEEZZNS1_14partition_implILS8_3ELb0ES6_jNS0_17counting_iteratorIjlEEPS9_SE_NS0_5tupleIJPjSE_EEENSF_IJSE_SE_EEES9_SG_JZNS1_25segmented_radix_sort_implINS0_14default_configELb0EPKhPhPKlPlN2at6native12_GLOBAL__N_18offset_tEEE10hipError_tPvRmT1_PNSt15iterator_traitsISY_E10value_typeET2_T3_PNSZ_IS14_E10value_typeET4_jRbjT5_S1A_jjP12ihipStream_tbEUljE_EEESV_SW_SX_S14_S18_S1A_T6_T7_T9_mT8_S1C_bDpT10_ENKUlT_T0_E_clISt17integral_constantIbLb1EES1O_IbLb0EEEEDaS1K_S1L_EUlS1K_E_NS1_11comp_targetILNS1_3genE9ELNS1_11target_archE1100ELNS1_3gpuE3ELNS1_3repE0EEENS1_30default_config_static_selectorELNS0_4arch9wavefront6targetE0EEEvSY_.kd
    .uniform_work_group_size: 1
    .uses_dynamic_stack: false
    .vgpr_count:     0
    .vgpr_spill_count: 0
    .wavefront_size: 32
    .workgroup_processor_mode: 1
  - .args:
      - .offset:         0
        .size:           144
        .value_kind:     by_value
    .group_segment_fixed_size: 0
    .kernarg_segment_align: 8
    .kernarg_segment_size: 144
    .language:       OpenCL C
    .language_version:
      - 2
      - 0
    .max_flat_workgroup_size: 256
    .name:           _ZN7rocprim17ROCPRIM_400000_NS6detail17trampoline_kernelINS0_13select_configILj256ELj13ELNS0_17block_load_methodE3ELS4_3ELS4_3ELNS0_20block_scan_algorithmE0ELj4294967295EEENS1_25partition_config_selectorILNS1_17partition_subalgoE3EjNS0_10empty_typeEbEEZZNS1_14partition_implILS8_3ELb0ES6_jNS0_17counting_iteratorIjlEEPS9_SE_NS0_5tupleIJPjSE_EEENSF_IJSE_SE_EEES9_SG_JZNS1_25segmented_radix_sort_implINS0_14default_configELb0EPKhPhPKlPlN2at6native12_GLOBAL__N_18offset_tEEE10hipError_tPvRmT1_PNSt15iterator_traitsISY_E10value_typeET2_T3_PNSZ_IS14_E10value_typeET4_jRbjT5_S1A_jjP12ihipStream_tbEUljE_EEESV_SW_SX_S14_S18_S1A_T6_T7_T9_mT8_S1C_bDpT10_ENKUlT_T0_E_clISt17integral_constantIbLb1EES1O_IbLb0EEEEDaS1K_S1L_EUlS1K_E_NS1_11comp_targetILNS1_3genE8ELNS1_11target_archE1030ELNS1_3gpuE2ELNS1_3repE0EEENS1_30default_config_static_selectorELNS0_4arch9wavefront6targetE0EEEvSY_
    .private_segment_fixed_size: 0
    .sgpr_count:     0
    .sgpr_spill_count: 0
    .symbol:         _ZN7rocprim17ROCPRIM_400000_NS6detail17trampoline_kernelINS0_13select_configILj256ELj13ELNS0_17block_load_methodE3ELS4_3ELS4_3ELNS0_20block_scan_algorithmE0ELj4294967295EEENS1_25partition_config_selectorILNS1_17partition_subalgoE3EjNS0_10empty_typeEbEEZZNS1_14partition_implILS8_3ELb0ES6_jNS0_17counting_iteratorIjlEEPS9_SE_NS0_5tupleIJPjSE_EEENSF_IJSE_SE_EEES9_SG_JZNS1_25segmented_radix_sort_implINS0_14default_configELb0EPKhPhPKlPlN2at6native12_GLOBAL__N_18offset_tEEE10hipError_tPvRmT1_PNSt15iterator_traitsISY_E10value_typeET2_T3_PNSZ_IS14_E10value_typeET4_jRbjT5_S1A_jjP12ihipStream_tbEUljE_EEESV_SW_SX_S14_S18_S1A_T6_T7_T9_mT8_S1C_bDpT10_ENKUlT_T0_E_clISt17integral_constantIbLb1EES1O_IbLb0EEEEDaS1K_S1L_EUlS1K_E_NS1_11comp_targetILNS1_3genE8ELNS1_11target_archE1030ELNS1_3gpuE2ELNS1_3repE0EEENS1_30default_config_static_selectorELNS0_4arch9wavefront6targetE0EEEvSY_.kd
    .uniform_work_group_size: 1
    .uses_dynamic_stack: false
    .vgpr_count:     0
    .vgpr_spill_count: 0
    .wavefront_size: 32
    .workgroup_processor_mode: 1
  - .args:
      - .offset:         0
        .size:           152
        .value_kind:     by_value
    .group_segment_fixed_size: 0
    .kernarg_segment_align: 8
    .kernarg_segment_size: 152
    .language:       OpenCL C
    .language_version:
      - 2
      - 0
    .max_flat_workgroup_size: 256
    .name:           _ZN7rocprim17ROCPRIM_400000_NS6detail17trampoline_kernelINS0_13select_configILj256ELj13ELNS0_17block_load_methodE3ELS4_3ELS4_3ELNS0_20block_scan_algorithmE0ELj4294967295EEENS1_25partition_config_selectorILNS1_17partition_subalgoE3EjNS0_10empty_typeEbEEZZNS1_14partition_implILS8_3ELb0ES6_jNS0_17counting_iteratorIjlEEPS9_SE_NS0_5tupleIJPjSE_EEENSF_IJSE_SE_EEES9_SG_JZNS1_25segmented_radix_sort_implINS0_14default_configELb0EPKhPhPKlPlN2at6native12_GLOBAL__N_18offset_tEEE10hipError_tPvRmT1_PNSt15iterator_traitsISY_E10value_typeET2_T3_PNSZ_IS14_E10value_typeET4_jRbjT5_S1A_jjP12ihipStream_tbEUljE_EEESV_SW_SX_S14_S18_S1A_T6_T7_T9_mT8_S1C_bDpT10_ENKUlT_T0_E_clISt17integral_constantIbLb0EES1O_IbLb1EEEEDaS1K_S1L_EUlS1K_E_NS1_11comp_targetILNS1_3genE0ELNS1_11target_archE4294967295ELNS1_3gpuE0ELNS1_3repE0EEENS1_30default_config_static_selectorELNS0_4arch9wavefront6targetE0EEEvSY_
    .private_segment_fixed_size: 0
    .sgpr_count:     0
    .sgpr_spill_count: 0
    .symbol:         _ZN7rocprim17ROCPRIM_400000_NS6detail17trampoline_kernelINS0_13select_configILj256ELj13ELNS0_17block_load_methodE3ELS4_3ELS4_3ELNS0_20block_scan_algorithmE0ELj4294967295EEENS1_25partition_config_selectorILNS1_17partition_subalgoE3EjNS0_10empty_typeEbEEZZNS1_14partition_implILS8_3ELb0ES6_jNS0_17counting_iteratorIjlEEPS9_SE_NS0_5tupleIJPjSE_EEENSF_IJSE_SE_EEES9_SG_JZNS1_25segmented_radix_sort_implINS0_14default_configELb0EPKhPhPKlPlN2at6native12_GLOBAL__N_18offset_tEEE10hipError_tPvRmT1_PNSt15iterator_traitsISY_E10value_typeET2_T3_PNSZ_IS14_E10value_typeET4_jRbjT5_S1A_jjP12ihipStream_tbEUljE_EEESV_SW_SX_S14_S18_S1A_T6_T7_T9_mT8_S1C_bDpT10_ENKUlT_T0_E_clISt17integral_constantIbLb0EES1O_IbLb1EEEEDaS1K_S1L_EUlS1K_E_NS1_11comp_targetILNS1_3genE0ELNS1_11target_archE4294967295ELNS1_3gpuE0ELNS1_3repE0EEENS1_30default_config_static_selectorELNS0_4arch9wavefront6targetE0EEEvSY_.kd
    .uniform_work_group_size: 1
    .uses_dynamic_stack: false
    .vgpr_count:     0
    .vgpr_spill_count: 0
    .wavefront_size: 32
    .workgroup_processor_mode: 1
  - .args:
      - .offset:         0
        .size:           152
        .value_kind:     by_value
    .group_segment_fixed_size: 0
    .kernarg_segment_align: 8
    .kernarg_segment_size: 152
    .language:       OpenCL C
    .language_version:
      - 2
      - 0
    .max_flat_workgroup_size: 256
    .name:           _ZN7rocprim17ROCPRIM_400000_NS6detail17trampoline_kernelINS0_13select_configILj256ELj13ELNS0_17block_load_methodE3ELS4_3ELS4_3ELNS0_20block_scan_algorithmE0ELj4294967295EEENS1_25partition_config_selectorILNS1_17partition_subalgoE3EjNS0_10empty_typeEbEEZZNS1_14partition_implILS8_3ELb0ES6_jNS0_17counting_iteratorIjlEEPS9_SE_NS0_5tupleIJPjSE_EEENSF_IJSE_SE_EEES9_SG_JZNS1_25segmented_radix_sort_implINS0_14default_configELb0EPKhPhPKlPlN2at6native12_GLOBAL__N_18offset_tEEE10hipError_tPvRmT1_PNSt15iterator_traitsISY_E10value_typeET2_T3_PNSZ_IS14_E10value_typeET4_jRbjT5_S1A_jjP12ihipStream_tbEUljE_EEESV_SW_SX_S14_S18_S1A_T6_T7_T9_mT8_S1C_bDpT10_ENKUlT_T0_E_clISt17integral_constantIbLb0EES1O_IbLb1EEEEDaS1K_S1L_EUlS1K_E_NS1_11comp_targetILNS1_3genE5ELNS1_11target_archE942ELNS1_3gpuE9ELNS1_3repE0EEENS1_30default_config_static_selectorELNS0_4arch9wavefront6targetE0EEEvSY_
    .private_segment_fixed_size: 0
    .sgpr_count:     0
    .sgpr_spill_count: 0
    .symbol:         _ZN7rocprim17ROCPRIM_400000_NS6detail17trampoline_kernelINS0_13select_configILj256ELj13ELNS0_17block_load_methodE3ELS4_3ELS4_3ELNS0_20block_scan_algorithmE0ELj4294967295EEENS1_25partition_config_selectorILNS1_17partition_subalgoE3EjNS0_10empty_typeEbEEZZNS1_14partition_implILS8_3ELb0ES6_jNS0_17counting_iteratorIjlEEPS9_SE_NS0_5tupleIJPjSE_EEENSF_IJSE_SE_EEES9_SG_JZNS1_25segmented_radix_sort_implINS0_14default_configELb0EPKhPhPKlPlN2at6native12_GLOBAL__N_18offset_tEEE10hipError_tPvRmT1_PNSt15iterator_traitsISY_E10value_typeET2_T3_PNSZ_IS14_E10value_typeET4_jRbjT5_S1A_jjP12ihipStream_tbEUljE_EEESV_SW_SX_S14_S18_S1A_T6_T7_T9_mT8_S1C_bDpT10_ENKUlT_T0_E_clISt17integral_constantIbLb0EES1O_IbLb1EEEEDaS1K_S1L_EUlS1K_E_NS1_11comp_targetILNS1_3genE5ELNS1_11target_archE942ELNS1_3gpuE9ELNS1_3repE0EEENS1_30default_config_static_selectorELNS0_4arch9wavefront6targetE0EEEvSY_.kd
    .uniform_work_group_size: 1
    .uses_dynamic_stack: false
    .vgpr_count:     0
    .vgpr_spill_count: 0
    .wavefront_size: 32
    .workgroup_processor_mode: 1
  - .args:
      - .offset:         0
        .size:           152
        .value_kind:     by_value
    .group_segment_fixed_size: 0
    .kernarg_segment_align: 8
    .kernarg_segment_size: 152
    .language:       OpenCL C
    .language_version:
      - 2
      - 0
    .max_flat_workgroup_size: 256
    .name:           _ZN7rocprim17ROCPRIM_400000_NS6detail17trampoline_kernelINS0_13select_configILj256ELj13ELNS0_17block_load_methodE3ELS4_3ELS4_3ELNS0_20block_scan_algorithmE0ELj4294967295EEENS1_25partition_config_selectorILNS1_17partition_subalgoE3EjNS0_10empty_typeEbEEZZNS1_14partition_implILS8_3ELb0ES6_jNS0_17counting_iteratorIjlEEPS9_SE_NS0_5tupleIJPjSE_EEENSF_IJSE_SE_EEES9_SG_JZNS1_25segmented_radix_sort_implINS0_14default_configELb0EPKhPhPKlPlN2at6native12_GLOBAL__N_18offset_tEEE10hipError_tPvRmT1_PNSt15iterator_traitsISY_E10value_typeET2_T3_PNSZ_IS14_E10value_typeET4_jRbjT5_S1A_jjP12ihipStream_tbEUljE_EEESV_SW_SX_S14_S18_S1A_T6_T7_T9_mT8_S1C_bDpT10_ENKUlT_T0_E_clISt17integral_constantIbLb0EES1O_IbLb1EEEEDaS1K_S1L_EUlS1K_E_NS1_11comp_targetILNS1_3genE4ELNS1_11target_archE910ELNS1_3gpuE8ELNS1_3repE0EEENS1_30default_config_static_selectorELNS0_4arch9wavefront6targetE0EEEvSY_
    .private_segment_fixed_size: 0
    .sgpr_count:     0
    .sgpr_spill_count: 0
    .symbol:         _ZN7rocprim17ROCPRIM_400000_NS6detail17trampoline_kernelINS0_13select_configILj256ELj13ELNS0_17block_load_methodE3ELS4_3ELS4_3ELNS0_20block_scan_algorithmE0ELj4294967295EEENS1_25partition_config_selectorILNS1_17partition_subalgoE3EjNS0_10empty_typeEbEEZZNS1_14partition_implILS8_3ELb0ES6_jNS0_17counting_iteratorIjlEEPS9_SE_NS0_5tupleIJPjSE_EEENSF_IJSE_SE_EEES9_SG_JZNS1_25segmented_radix_sort_implINS0_14default_configELb0EPKhPhPKlPlN2at6native12_GLOBAL__N_18offset_tEEE10hipError_tPvRmT1_PNSt15iterator_traitsISY_E10value_typeET2_T3_PNSZ_IS14_E10value_typeET4_jRbjT5_S1A_jjP12ihipStream_tbEUljE_EEESV_SW_SX_S14_S18_S1A_T6_T7_T9_mT8_S1C_bDpT10_ENKUlT_T0_E_clISt17integral_constantIbLb0EES1O_IbLb1EEEEDaS1K_S1L_EUlS1K_E_NS1_11comp_targetILNS1_3genE4ELNS1_11target_archE910ELNS1_3gpuE8ELNS1_3repE0EEENS1_30default_config_static_selectorELNS0_4arch9wavefront6targetE0EEEvSY_.kd
    .uniform_work_group_size: 1
    .uses_dynamic_stack: false
    .vgpr_count:     0
    .vgpr_spill_count: 0
    .wavefront_size: 32
    .workgroup_processor_mode: 1
  - .args:
      - .offset:         0
        .size:           152
        .value_kind:     by_value
    .group_segment_fixed_size: 0
    .kernarg_segment_align: 8
    .kernarg_segment_size: 152
    .language:       OpenCL C
    .language_version:
      - 2
      - 0
    .max_flat_workgroup_size: 256
    .name:           _ZN7rocprim17ROCPRIM_400000_NS6detail17trampoline_kernelINS0_13select_configILj256ELj13ELNS0_17block_load_methodE3ELS4_3ELS4_3ELNS0_20block_scan_algorithmE0ELj4294967295EEENS1_25partition_config_selectorILNS1_17partition_subalgoE3EjNS0_10empty_typeEbEEZZNS1_14partition_implILS8_3ELb0ES6_jNS0_17counting_iteratorIjlEEPS9_SE_NS0_5tupleIJPjSE_EEENSF_IJSE_SE_EEES9_SG_JZNS1_25segmented_radix_sort_implINS0_14default_configELb0EPKhPhPKlPlN2at6native12_GLOBAL__N_18offset_tEEE10hipError_tPvRmT1_PNSt15iterator_traitsISY_E10value_typeET2_T3_PNSZ_IS14_E10value_typeET4_jRbjT5_S1A_jjP12ihipStream_tbEUljE_EEESV_SW_SX_S14_S18_S1A_T6_T7_T9_mT8_S1C_bDpT10_ENKUlT_T0_E_clISt17integral_constantIbLb0EES1O_IbLb1EEEEDaS1K_S1L_EUlS1K_E_NS1_11comp_targetILNS1_3genE3ELNS1_11target_archE908ELNS1_3gpuE7ELNS1_3repE0EEENS1_30default_config_static_selectorELNS0_4arch9wavefront6targetE0EEEvSY_
    .private_segment_fixed_size: 0
    .sgpr_count:     0
    .sgpr_spill_count: 0
    .symbol:         _ZN7rocprim17ROCPRIM_400000_NS6detail17trampoline_kernelINS0_13select_configILj256ELj13ELNS0_17block_load_methodE3ELS4_3ELS4_3ELNS0_20block_scan_algorithmE0ELj4294967295EEENS1_25partition_config_selectorILNS1_17partition_subalgoE3EjNS0_10empty_typeEbEEZZNS1_14partition_implILS8_3ELb0ES6_jNS0_17counting_iteratorIjlEEPS9_SE_NS0_5tupleIJPjSE_EEENSF_IJSE_SE_EEES9_SG_JZNS1_25segmented_radix_sort_implINS0_14default_configELb0EPKhPhPKlPlN2at6native12_GLOBAL__N_18offset_tEEE10hipError_tPvRmT1_PNSt15iterator_traitsISY_E10value_typeET2_T3_PNSZ_IS14_E10value_typeET4_jRbjT5_S1A_jjP12ihipStream_tbEUljE_EEESV_SW_SX_S14_S18_S1A_T6_T7_T9_mT8_S1C_bDpT10_ENKUlT_T0_E_clISt17integral_constantIbLb0EES1O_IbLb1EEEEDaS1K_S1L_EUlS1K_E_NS1_11comp_targetILNS1_3genE3ELNS1_11target_archE908ELNS1_3gpuE7ELNS1_3repE0EEENS1_30default_config_static_selectorELNS0_4arch9wavefront6targetE0EEEvSY_.kd
    .uniform_work_group_size: 1
    .uses_dynamic_stack: false
    .vgpr_count:     0
    .vgpr_spill_count: 0
    .wavefront_size: 32
    .workgroup_processor_mode: 1
  - .args:
      - .offset:         0
        .size:           152
        .value_kind:     by_value
    .group_segment_fixed_size: 0
    .kernarg_segment_align: 8
    .kernarg_segment_size: 152
    .language:       OpenCL C
    .language_version:
      - 2
      - 0
    .max_flat_workgroup_size: 256
    .name:           _ZN7rocprim17ROCPRIM_400000_NS6detail17trampoline_kernelINS0_13select_configILj256ELj13ELNS0_17block_load_methodE3ELS4_3ELS4_3ELNS0_20block_scan_algorithmE0ELj4294967295EEENS1_25partition_config_selectorILNS1_17partition_subalgoE3EjNS0_10empty_typeEbEEZZNS1_14partition_implILS8_3ELb0ES6_jNS0_17counting_iteratorIjlEEPS9_SE_NS0_5tupleIJPjSE_EEENSF_IJSE_SE_EEES9_SG_JZNS1_25segmented_radix_sort_implINS0_14default_configELb0EPKhPhPKlPlN2at6native12_GLOBAL__N_18offset_tEEE10hipError_tPvRmT1_PNSt15iterator_traitsISY_E10value_typeET2_T3_PNSZ_IS14_E10value_typeET4_jRbjT5_S1A_jjP12ihipStream_tbEUljE_EEESV_SW_SX_S14_S18_S1A_T6_T7_T9_mT8_S1C_bDpT10_ENKUlT_T0_E_clISt17integral_constantIbLb0EES1O_IbLb1EEEEDaS1K_S1L_EUlS1K_E_NS1_11comp_targetILNS1_3genE2ELNS1_11target_archE906ELNS1_3gpuE6ELNS1_3repE0EEENS1_30default_config_static_selectorELNS0_4arch9wavefront6targetE0EEEvSY_
    .private_segment_fixed_size: 0
    .sgpr_count:     0
    .sgpr_spill_count: 0
    .symbol:         _ZN7rocprim17ROCPRIM_400000_NS6detail17trampoline_kernelINS0_13select_configILj256ELj13ELNS0_17block_load_methodE3ELS4_3ELS4_3ELNS0_20block_scan_algorithmE0ELj4294967295EEENS1_25partition_config_selectorILNS1_17partition_subalgoE3EjNS0_10empty_typeEbEEZZNS1_14partition_implILS8_3ELb0ES6_jNS0_17counting_iteratorIjlEEPS9_SE_NS0_5tupleIJPjSE_EEENSF_IJSE_SE_EEES9_SG_JZNS1_25segmented_radix_sort_implINS0_14default_configELb0EPKhPhPKlPlN2at6native12_GLOBAL__N_18offset_tEEE10hipError_tPvRmT1_PNSt15iterator_traitsISY_E10value_typeET2_T3_PNSZ_IS14_E10value_typeET4_jRbjT5_S1A_jjP12ihipStream_tbEUljE_EEESV_SW_SX_S14_S18_S1A_T6_T7_T9_mT8_S1C_bDpT10_ENKUlT_T0_E_clISt17integral_constantIbLb0EES1O_IbLb1EEEEDaS1K_S1L_EUlS1K_E_NS1_11comp_targetILNS1_3genE2ELNS1_11target_archE906ELNS1_3gpuE6ELNS1_3repE0EEENS1_30default_config_static_selectorELNS0_4arch9wavefront6targetE0EEEvSY_.kd
    .uniform_work_group_size: 1
    .uses_dynamic_stack: false
    .vgpr_count:     0
    .vgpr_spill_count: 0
    .wavefront_size: 32
    .workgroup_processor_mode: 1
  - .args:
      - .offset:         0
        .size:           152
        .value_kind:     by_value
    .group_segment_fixed_size: 13320
    .kernarg_segment_align: 8
    .kernarg_segment_size: 152
    .language:       OpenCL C
    .language_version:
      - 2
      - 0
    .max_flat_workgroup_size: 256
    .name:           _ZN7rocprim17ROCPRIM_400000_NS6detail17trampoline_kernelINS0_13select_configILj256ELj13ELNS0_17block_load_methodE3ELS4_3ELS4_3ELNS0_20block_scan_algorithmE0ELj4294967295EEENS1_25partition_config_selectorILNS1_17partition_subalgoE3EjNS0_10empty_typeEbEEZZNS1_14partition_implILS8_3ELb0ES6_jNS0_17counting_iteratorIjlEEPS9_SE_NS0_5tupleIJPjSE_EEENSF_IJSE_SE_EEES9_SG_JZNS1_25segmented_radix_sort_implINS0_14default_configELb0EPKhPhPKlPlN2at6native12_GLOBAL__N_18offset_tEEE10hipError_tPvRmT1_PNSt15iterator_traitsISY_E10value_typeET2_T3_PNSZ_IS14_E10value_typeET4_jRbjT5_S1A_jjP12ihipStream_tbEUljE_EEESV_SW_SX_S14_S18_S1A_T6_T7_T9_mT8_S1C_bDpT10_ENKUlT_T0_E_clISt17integral_constantIbLb0EES1O_IbLb1EEEEDaS1K_S1L_EUlS1K_E_NS1_11comp_targetILNS1_3genE10ELNS1_11target_archE1200ELNS1_3gpuE4ELNS1_3repE0EEENS1_30default_config_static_selectorELNS0_4arch9wavefront6targetE0EEEvSY_
    .private_segment_fixed_size: 0
    .sgpr_count:     28
    .sgpr_spill_count: 0
    .symbol:         _ZN7rocprim17ROCPRIM_400000_NS6detail17trampoline_kernelINS0_13select_configILj256ELj13ELNS0_17block_load_methodE3ELS4_3ELS4_3ELNS0_20block_scan_algorithmE0ELj4294967295EEENS1_25partition_config_selectorILNS1_17partition_subalgoE3EjNS0_10empty_typeEbEEZZNS1_14partition_implILS8_3ELb0ES6_jNS0_17counting_iteratorIjlEEPS9_SE_NS0_5tupleIJPjSE_EEENSF_IJSE_SE_EEES9_SG_JZNS1_25segmented_radix_sort_implINS0_14default_configELb0EPKhPhPKlPlN2at6native12_GLOBAL__N_18offset_tEEE10hipError_tPvRmT1_PNSt15iterator_traitsISY_E10value_typeET2_T3_PNSZ_IS14_E10value_typeET4_jRbjT5_S1A_jjP12ihipStream_tbEUljE_EEESV_SW_SX_S14_S18_S1A_T6_T7_T9_mT8_S1C_bDpT10_ENKUlT_T0_E_clISt17integral_constantIbLb0EES1O_IbLb1EEEEDaS1K_S1L_EUlS1K_E_NS1_11comp_targetILNS1_3genE10ELNS1_11target_archE1200ELNS1_3gpuE4ELNS1_3repE0EEENS1_30default_config_static_selectorELNS0_4arch9wavefront6targetE0EEEvSY_.kd
    .uniform_work_group_size: 1
    .uses_dynamic_stack: false
    .vgpr_count:     71
    .vgpr_spill_count: 0
    .wavefront_size: 32
    .workgroup_processor_mode: 1
  - .args:
      - .offset:         0
        .size:           152
        .value_kind:     by_value
    .group_segment_fixed_size: 0
    .kernarg_segment_align: 8
    .kernarg_segment_size: 152
    .language:       OpenCL C
    .language_version:
      - 2
      - 0
    .max_flat_workgroup_size: 256
    .name:           _ZN7rocprim17ROCPRIM_400000_NS6detail17trampoline_kernelINS0_13select_configILj256ELj13ELNS0_17block_load_methodE3ELS4_3ELS4_3ELNS0_20block_scan_algorithmE0ELj4294967295EEENS1_25partition_config_selectorILNS1_17partition_subalgoE3EjNS0_10empty_typeEbEEZZNS1_14partition_implILS8_3ELb0ES6_jNS0_17counting_iteratorIjlEEPS9_SE_NS0_5tupleIJPjSE_EEENSF_IJSE_SE_EEES9_SG_JZNS1_25segmented_radix_sort_implINS0_14default_configELb0EPKhPhPKlPlN2at6native12_GLOBAL__N_18offset_tEEE10hipError_tPvRmT1_PNSt15iterator_traitsISY_E10value_typeET2_T3_PNSZ_IS14_E10value_typeET4_jRbjT5_S1A_jjP12ihipStream_tbEUljE_EEESV_SW_SX_S14_S18_S1A_T6_T7_T9_mT8_S1C_bDpT10_ENKUlT_T0_E_clISt17integral_constantIbLb0EES1O_IbLb1EEEEDaS1K_S1L_EUlS1K_E_NS1_11comp_targetILNS1_3genE9ELNS1_11target_archE1100ELNS1_3gpuE3ELNS1_3repE0EEENS1_30default_config_static_selectorELNS0_4arch9wavefront6targetE0EEEvSY_
    .private_segment_fixed_size: 0
    .sgpr_count:     0
    .sgpr_spill_count: 0
    .symbol:         _ZN7rocprim17ROCPRIM_400000_NS6detail17trampoline_kernelINS0_13select_configILj256ELj13ELNS0_17block_load_methodE3ELS4_3ELS4_3ELNS0_20block_scan_algorithmE0ELj4294967295EEENS1_25partition_config_selectorILNS1_17partition_subalgoE3EjNS0_10empty_typeEbEEZZNS1_14partition_implILS8_3ELb0ES6_jNS0_17counting_iteratorIjlEEPS9_SE_NS0_5tupleIJPjSE_EEENSF_IJSE_SE_EEES9_SG_JZNS1_25segmented_radix_sort_implINS0_14default_configELb0EPKhPhPKlPlN2at6native12_GLOBAL__N_18offset_tEEE10hipError_tPvRmT1_PNSt15iterator_traitsISY_E10value_typeET2_T3_PNSZ_IS14_E10value_typeET4_jRbjT5_S1A_jjP12ihipStream_tbEUljE_EEESV_SW_SX_S14_S18_S1A_T6_T7_T9_mT8_S1C_bDpT10_ENKUlT_T0_E_clISt17integral_constantIbLb0EES1O_IbLb1EEEEDaS1K_S1L_EUlS1K_E_NS1_11comp_targetILNS1_3genE9ELNS1_11target_archE1100ELNS1_3gpuE3ELNS1_3repE0EEENS1_30default_config_static_selectorELNS0_4arch9wavefront6targetE0EEEvSY_.kd
    .uniform_work_group_size: 1
    .uses_dynamic_stack: false
    .vgpr_count:     0
    .vgpr_spill_count: 0
    .wavefront_size: 32
    .workgroup_processor_mode: 1
  - .args:
      - .offset:         0
        .size:           152
        .value_kind:     by_value
    .group_segment_fixed_size: 0
    .kernarg_segment_align: 8
    .kernarg_segment_size: 152
    .language:       OpenCL C
    .language_version:
      - 2
      - 0
    .max_flat_workgroup_size: 256
    .name:           _ZN7rocprim17ROCPRIM_400000_NS6detail17trampoline_kernelINS0_13select_configILj256ELj13ELNS0_17block_load_methodE3ELS4_3ELS4_3ELNS0_20block_scan_algorithmE0ELj4294967295EEENS1_25partition_config_selectorILNS1_17partition_subalgoE3EjNS0_10empty_typeEbEEZZNS1_14partition_implILS8_3ELb0ES6_jNS0_17counting_iteratorIjlEEPS9_SE_NS0_5tupleIJPjSE_EEENSF_IJSE_SE_EEES9_SG_JZNS1_25segmented_radix_sort_implINS0_14default_configELb0EPKhPhPKlPlN2at6native12_GLOBAL__N_18offset_tEEE10hipError_tPvRmT1_PNSt15iterator_traitsISY_E10value_typeET2_T3_PNSZ_IS14_E10value_typeET4_jRbjT5_S1A_jjP12ihipStream_tbEUljE_EEESV_SW_SX_S14_S18_S1A_T6_T7_T9_mT8_S1C_bDpT10_ENKUlT_T0_E_clISt17integral_constantIbLb0EES1O_IbLb1EEEEDaS1K_S1L_EUlS1K_E_NS1_11comp_targetILNS1_3genE8ELNS1_11target_archE1030ELNS1_3gpuE2ELNS1_3repE0EEENS1_30default_config_static_selectorELNS0_4arch9wavefront6targetE0EEEvSY_
    .private_segment_fixed_size: 0
    .sgpr_count:     0
    .sgpr_spill_count: 0
    .symbol:         _ZN7rocprim17ROCPRIM_400000_NS6detail17trampoline_kernelINS0_13select_configILj256ELj13ELNS0_17block_load_methodE3ELS4_3ELS4_3ELNS0_20block_scan_algorithmE0ELj4294967295EEENS1_25partition_config_selectorILNS1_17partition_subalgoE3EjNS0_10empty_typeEbEEZZNS1_14partition_implILS8_3ELb0ES6_jNS0_17counting_iteratorIjlEEPS9_SE_NS0_5tupleIJPjSE_EEENSF_IJSE_SE_EEES9_SG_JZNS1_25segmented_radix_sort_implINS0_14default_configELb0EPKhPhPKlPlN2at6native12_GLOBAL__N_18offset_tEEE10hipError_tPvRmT1_PNSt15iterator_traitsISY_E10value_typeET2_T3_PNSZ_IS14_E10value_typeET4_jRbjT5_S1A_jjP12ihipStream_tbEUljE_EEESV_SW_SX_S14_S18_S1A_T6_T7_T9_mT8_S1C_bDpT10_ENKUlT_T0_E_clISt17integral_constantIbLb0EES1O_IbLb1EEEEDaS1K_S1L_EUlS1K_E_NS1_11comp_targetILNS1_3genE8ELNS1_11target_archE1030ELNS1_3gpuE2ELNS1_3repE0EEENS1_30default_config_static_selectorELNS0_4arch9wavefront6targetE0EEEvSY_.kd
    .uniform_work_group_size: 1
    .uses_dynamic_stack: false
    .vgpr_count:     0
    .vgpr_spill_count: 0
    .wavefront_size: 32
    .workgroup_processor_mode: 1
  - .args:
      - .offset:         0
        .size:           96
        .value_kind:     by_value
    .group_segment_fixed_size: 0
    .kernarg_segment_align: 8
    .kernarg_segment_size: 96
    .language:       OpenCL C
    .language_version:
      - 2
      - 0
    .max_flat_workgroup_size: 256
    .name:           _ZN7rocprim17ROCPRIM_400000_NS6detail17trampoline_kernelINS0_14default_configENS1_36segmented_radix_sort_config_selectorIhlEEZNS1_25segmented_radix_sort_implIS3_Lb0EPKhPhPKlPlN2at6native12_GLOBAL__N_18offset_tEEE10hipError_tPvRmT1_PNSt15iterator_traitsISK_E10value_typeET2_T3_PNSL_ISQ_E10value_typeET4_jRbjT5_SW_jjP12ihipStream_tbEUlT_E_NS1_11comp_targetILNS1_3genE0ELNS1_11target_archE4294967295ELNS1_3gpuE0ELNS1_3repE0EEENS1_30default_config_static_selectorELNS0_4arch9wavefront6targetE0EEEvSK_
    .private_segment_fixed_size: 0
    .sgpr_count:     0
    .sgpr_spill_count: 0
    .symbol:         _ZN7rocprim17ROCPRIM_400000_NS6detail17trampoline_kernelINS0_14default_configENS1_36segmented_radix_sort_config_selectorIhlEEZNS1_25segmented_radix_sort_implIS3_Lb0EPKhPhPKlPlN2at6native12_GLOBAL__N_18offset_tEEE10hipError_tPvRmT1_PNSt15iterator_traitsISK_E10value_typeET2_T3_PNSL_ISQ_E10value_typeET4_jRbjT5_SW_jjP12ihipStream_tbEUlT_E_NS1_11comp_targetILNS1_3genE0ELNS1_11target_archE4294967295ELNS1_3gpuE0ELNS1_3repE0EEENS1_30default_config_static_selectorELNS0_4arch9wavefront6targetE0EEEvSK_.kd
    .uniform_work_group_size: 1
    .uses_dynamic_stack: false
    .vgpr_count:     0
    .vgpr_spill_count: 0
    .wavefront_size: 32
    .workgroup_processor_mode: 1
  - .args:
      - .offset:         0
        .size:           96
        .value_kind:     by_value
    .group_segment_fixed_size: 0
    .kernarg_segment_align: 8
    .kernarg_segment_size: 96
    .language:       OpenCL C
    .language_version:
      - 2
      - 0
    .max_flat_workgroup_size: 256
    .name:           _ZN7rocprim17ROCPRIM_400000_NS6detail17trampoline_kernelINS0_14default_configENS1_36segmented_radix_sort_config_selectorIhlEEZNS1_25segmented_radix_sort_implIS3_Lb0EPKhPhPKlPlN2at6native12_GLOBAL__N_18offset_tEEE10hipError_tPvRmT1_PNSt15iterator_traitsISK_E10value_typeET2_T3_PNSL_ISQ_E10value_typeET4_jRbjT5_SW_jjP12ihipStream_tbEUlT_E_NS1_11comp_targetILNS1_3genE5ELNS1_11target_archE942ELNS1_3gpuE9ELNS1_3repE0EEENS1_30default_config_static_selectorELNS0_4arch9wavefront6targetE0EEEvSK_
    .private_segment_fixed_size: 0
    .sgpr_count:     0
    .sgpr_spill_count: 0
    .symbol:         _ZN7rocprim17ROCPRIM_400000_NS6detail17trampoline_kernelINS0_14default_configENS1_36segmented_radix_sort_config_selectorIhlEEZNS1_25segmented_radix_sort_implIS3_Lb0EPKhPhPKlPlN2at6native12_GLOBAL__N_18offset_tEEE10hipError_tPvRmT1_PNSt15iterator_traitsISK_E10value_typeET2_T3_PNSL_ISQ_E10value_typeET4_jRbjT5_SW_jjP12ihipStream_tbEUlT_E_NS1_11comp_targetILNS1_3genE5ELNS1_11target_archE942ELNS1_3gpuE9ELNS1_3repE0EEENS1_30default_config_static_selectorELNS0_4arch9wavefront6targetE0EEEvSK_.kd
    .uniform_work_group_size: 1
    .uses_dynamic_stack: false
    .vgpr_count:     0
    .vgpr_spill_count: 0
    .wavefront_size: 32
    .workgroup_processor_mode: 1
  - .args:
      - .offset:         0
        .size:           96
        .value_kind:     by_value
    .group_segment_fixed_size: 0
    .kernarg_segment_align: 8
    .kernarg_segment_size: 96
    .language:       OpenCL C
    .language_version:
      - 2
      - 0
    .max_flat_workgroup_size: 256
    .name:           _ZN7rocprim17ROCPRIM_400000_NS6detail17trampoline_kernelINS0_14default_configENS1_36segmented_radix_sort_config_selectorIhlEEZNS1_25segmented_radix_sort_implIS3_Lb0EPKhPhPKlPlN2at6native12_GLOBAL__N_18offset_tEEE10hipError_tPvRmT1_PNSt15iterator_traitsISK_E10value_typeET2_T3_PNSL_ISQ_E10value_typeET4_jRbjT5_SW_jjP12ihipStream_tbEUlT_E_NS1_11comp_targetILNS1_3genE4ELNS1_11target_archE910ELNS1_3gpuE8ELNS1_3repE0EEENS1_30default_config_static_selectorELNS0_4arch9wavefront6targetE0EEEvSK_
    .private_segment_fixed_size: 0
    .sgpr_count:     0
    .sgpr_spill_count: 0
    .symbol:         _ZN7rocprim17ROCPRIM_400000_NS6detail17trampoline_kernelINS0_14default_configENS1_36segmented_radix_sort_config_selectorIhlEEZNS1_25segmented_radix_sort_implIS3_Lb0EPKhPhPKlPlN2at6native12_GLOBAL__N_18offset_tEEE10hipError_tPvRmT1_PNSt15iterator_traitsISK_E10value_typeET2_T3_PNSL_ISQ_E10value_typeET4_jRbjT5_SW_jjP12ihipStream_tbEUlT_E_NS1_11comp_targetILNS1_3genE4ELNS1_11target_archE910ELNS1_3gpuE8ELNS1_3repE0EEENS1_30default_config_static_selectorELNS0_4arch9wavefront6targetE0EEEvSK_.kd
    .uniform_work_group_size: 1
    .uses_dynamic_stack: false
    .vgpr_count:     0
    .vgpr_spill_count: 0
    .wavefront_size: 32
    .workgroup_processor_mode: 1
  - .args:
      - .offset:         0
        .size:           96
        .value_kind:     by_value
    .group_segment_fixed_size: 0
    .kernarg_segment_align: 8
    .kernarg_segment_size: 96
    .language:       OpenCL C
    .language_version:
      - 2
      - 0
    .max_flat_workgroup_size: 256
    .name:           _ZN7rocprim17ROCPRIM_400000_NS6detail17trampoline_kernelINS0_14default_configENS1_36segmented_radix_sort_config_selectorIhlEEZNS1_25segmented_radix_sort_implIS3_Lb0EPKhPhPKlPlN2at6native12_GLOBAL__N_18offset_tEEE10hipError_tPvRmT1_PNSt15iterator_traitsISK_E10value_typeET2_T3_PNSL_ISQ_E10value_typeET4_jRbjT5_SW_jjP12ihipStream_tbEUlT_E_NS1_11comp_targetILNS1_3genE3ELNS1_11target_archE908ELNS1_3gpuE7ELNS1_3repE0EEENS1_30default_config_static_selectorELNS0_4arch9wavefront6targetE0EEEvSK_
    .private_segment_fixed_size: 0
    .sgpr_count:     0
    .sgpr_spill_count: 0
    .symbol:         _ZN7rocprim17ROCPRIM_400000_NS6detail17trampoline_kernelINS0_14default_configENS1_36segmented_radix_sort_config_selectorIhlEEZNS1_25segmented_radix_sort_implIS3_Lb0EPKhPhPKlPlN2at6native12_GLOBAL__N_18offset_tEEE10hipError_tPvRmT1_PNSt15iterator_traitsISK_E10value_typeET2_T3_PNSL_ISQ_E10value_typeET4_jRbjT5_SW_jjP12ihipStream_tbEUlT_E_NS1_11comp_targetILNS1_3genE3ELNS1_11target_archE908ELNS1_3gpuE7ELNS1_3repE0EEENS1_30default_config_static_selectorELNS0_4arch9wavefront6targetE0EEEvSK_.kd
    .uniform_work_group_size: 1
    .uses_dynamic_stack: false
    .vgpr_count:     0
    .vgpr_spill_count: 0
    .wavefront_size: 32
    .workgroup_processor_mode: 1
  - .args:
      - .offset:         0
        .size:           96
        .value_kind:     by_value
    .group_segment_fixed_size: 0
    .kernarg_segment_align: 8
    .kernarg_segment_size: 96
    .language:       OpenCL C
    .language_version:
      - 2
      - 0
    .max_flat_workgroup_size: 256
    .name:           _ZN7rocprim17ROCPRIM_400000_NS6detail17trampoline_kernelINS0_14default_configENS1_36segmented_radix_sort_config_selectorIhlEEZNS1_25segmented_radix_sort_implIS3_Lb0EPKhPhPKlPlN2at6native12_GLOBAL__N_18offset_tEEE10hipError_tPvRmT1_PNSt15iterator_traitsISK_E10value_typeET2_T3_PNSL_ISQ_E10value_typeET4_jRbjT5_SW_jjP12ihipStream_tbEUlT_E_NS1_11comp_targetILNS1_3genE2ELNS1_11target_archE906ELNS1_3gpuE6ELNS1_3repE0EEENS1_30default_config_static_selectorELNS0_4arch9wavefront6targetE0EEEvSK_
    .private_segment_fixed_size: 0
    .sgpr_count:     0
    .sgpr_spill_count: 0
    .symbol:         _ZN7rocprim17ROCPRIM_400000_NS6detail17trampoline_kernelINS0_14default_configENS1_36segmented_radix_sort_config_selectorIhlEEZNS1_25segmented_radix_sort_implIS3_Lb0EPKhPhPKlPlN2at6native12_GLOBAL__N_18offset_tEEE10hipError_tPvRmT1_PNSt15iterator_traitsISK_E10value_typeET2_T3_PNSL_ISQ_E10value_typeET4_jRbjT5_SW_jjP12ihipStream_tbEUlT_E_NS1_11comp_targetILNS1_3genE2ELNS1_11target_archE906ELNS1_3gpuE6ELNS1_3repE0EEENS1_30default_config_static_selectorELNS0_4arch9wavefront6targetE0EEEvSK_.kd
    .uniform_work_group_size: 1
    .uses_dynamic_stack: false
    .vgpr_count:     0
    .vgpr_spill_count: 0
    .wavefront_size: 32
    .workgroup_processor_mode: 1
  - .args:
      - .offset:         0
        .size:           96
        .value_kind:     by_value
      - .offset:         96
        .size:           4
        .value_kind:     hidden_block_count_x
      - .offset:         100
        .size:           4
        .value_kind:     hidden_block_count_y
      - .offset:         104
        .size:           4
        .value_kind:     hidden_block_count_z
      - .offset:         108
        .size:           2
        .value_kind:     hidden_group_size_x
      - .offset:         110
        .size:           2
        .value_kind:     hidden_group_size_y
      - .offset:         112
        .size:           2
        .value_kind:     hidden_group_size_z
      - .offset:         114
        .size:           2
        .value_kind:     hidden_remainder_x
      - .offset:         116
        .size:           2
        .value_kind:     hidden_remainder_y
      - .offset:         118
        .size:           2
        .value_kind:     hidden_remainder_z
      - .offset:         136
        .size:           8
        .value_kind:     hidden_global_offset_x
      - .offset:         144
        .size:           8
        .value_kind:     hidden_global_offset_y
      - .offset:         152
        .size:           8
        .value_kind:     hidden_global_offset_z
      - .offset:         160
        .size:           2
        .value_kind:     hidden_grid_dims
    .group_segment_fixed_size: 17440
    .kernarg_segment_align: 8
    .kernarg_segment_size: 352
    .language:       OpenCL C
    .language_version:
      - 2
      - 0
    .max_flat_workgroup_size: 256
    .name:           _ZN7rocprim17ROCPRIM_400000_NS6detail17trampoline_kernelINS0_14default_configENS1_36segmented_radix_sort_config_selectorIhlEEZNS1_25segmented_radix_sort_implIS3_Lb0EPKhPhPKlPlN2at6native12_GLOBAL__N_18offset_tEEE10hipError_tPvRmT1_PNSt15iterator_traitsISK_E10value_typeET2_T3_PNSL_ISQ_E10value_typeET4_jRbjT5_SW_jjP12ihipStream_tbEUlT_E_NS1_11comp_targetILNS1_3genE10ELNS1_11target_archE1201ELNS1_3gpuE5ELNS1_3repE0EEENS1_30default_config_static_selectorELNS0_4arch9wavefront6targetE0EEEvSK_
    .private_segment_fixed_size: 0
    .sgpr_count:     52
    .sgpr_spill_count: 0
    .symbol:         _ZN7rocprim17ROCPRIM_400000_NS6detail17trampoline_kernelINS0_14default_configENS1_36segmented_radix_sort_config_selectorIhlEEZNS1_25segmented_radix_sort_implIS3_Lb0EPKhPhPKlPlN2at6native12_GLOBAL__N_18offset_tEEE10hipError_tPvRmT1_PNSt15iterator_traitsISK_E10value_typeET2_T3_PNSL_ISQ_E10value_typeET4_jRbjT5_SW_jjP12ihipStream_tbEUlT_E_NS1_11comp_targetILNS1_3genE10ELNS1_11target_archE1201ELNS1_3gpuE5ELNS1_3repE0EEENS1_30default_config_static_selectorELNS0_4arch9wavefront6targetE0EEEvSK_.kd
    .uniform_work_group_size: 1
    .uses_dynamic_stack: false
    .vgpr_count:     197
    .vgpr_spill_count: 0
    .wavefront_size: 32
    .workgroup_processor_mode: 1
  - .args:
      - .offset:         0
        .size:           96
        .value_kind:     by_value
    .group_segment_fixed_size: 0
    .kernarg_segment_align: 8
    .kernarg_segment_size: 96
    .language:       OpenCL C
    .language_version:
      - 2
      - 0
    .max_flat_workgroup_size: 128
    .name:           _ZN7rocprim17ROCPRIM_400000_NS6detail17trampoline_kernelINS0_14default_configENS1_36segmented_radix_sort_config_selectorIhlEEZNS1_25segmented_radix_sort_implIS3_Lb0EPKhPhPKlPlN2at6native12_GLOBAL__N_18offset_tEEE10hipError_tPvRmT1_PNSt15iterator_traitsISK_E10value_typeET2_T3_PNSL_ISQ_E10value_typeET4_jRbjT5_SW_jjP12ihipStream_tbEUlT_E_NS1_11comp_targetILNS1_3genE10ELNS1_11target_archE1200ELNS1_3gpuE4ELNS1_3repE0EEENS1_30default_config_static_selectorELNS0_4arch9wavefront6targetE0EEEvSK_
    .private_segment_fixed_size: 0
    .sgpr_count:     0
    .sgpr_spill_count: 0
    .symbol:         _ZN7rocprim17ROCPRIM_400000_NS6detail17trampoline_kernelINS0_14default_configENS1_36segmented_radix_sort_config_selectorIhlEEZNS1_25segmented_radix_sort_implIS3_Lb0EPKhPhPKlPlN2at6native12_GLOBAL__N_18offset_tEEE10hipError_tPvRmT1_PNSt15iterator_traitsISK_E10value_typeET2_T3_PNSL_ISQ_E10value_typeET4_jRbjT5_SW_jjP12ihipStream_tbEUlT_E_NS1_11comp_targetILNS1_3genE10ELNS1_11target_archE1200ELNS1_3gpuE4ELNS1_3repE0EEENS1_30default_config_static_selectorELNS0_4arch9wavefront6targetE0EEEvSK_.kd
    .uniform_work_group_size: 1
    .uses_dynamic_stack: false
    .vgpr_count:     0
    .vgpr_spill_count: 0
    .wavefront_size: 32
    .workgroup_processor_mode: 1
  - .args:
      - .offset:         0
        .size:           96
        .value_kind:     by_value
    .group_segment_fixed_size: 0
    .kernarg_segment_align: 8
    .kernarg_segment_size: 96
    .language:       OpenCL C
    .language_version:
      - 2
      - 0
    .max_flat_workgroup_size: 256
    .name:           _ZN7rocprim17ROCPRIM_400000_NS6detail17trampoline_kernelINS0_14default_configENS1_36segmented_radix_sort_config_selectorIhlEEZNS1_25segmented_radix_sort_implIS3_Lb0EPKhPhPKlPlN2at6native12_GLOBAL__N_18offset_tEEE10hipError_tPvRmT1_PNSt15iterator_traitsISK_E10value_typeET2_T3_PNSL_ISQ_E10value_typeET4_jRbjT5_SW_jjP12ihipStream_tbEUlT_E_NS1_11comp_targetILNS1_3genE9ELNS1_11target_archE1100ELNS1_3gpuE3ELNS1_3repE0EEENS1_30default_config_static_selectorELNS0_4arch9wavefront6targetE0EEEvSK_
    .private_segment_fixed_size: 0
    .sgpr_count:     0
    .sgpr_spill_count: 0
    .symbol:         _ZN7rocprim17ROCPRIM_400000_NS6detail17trampoline_kernelINS0_14default_configENS1_36segmented_radix_sort_config_selectorIhlEEZNS1_25segmented_radix_sort_implIS3_Lb0EPKhPhPKlPlN2at6native12_GLOBAL__N_18offset_tEEE10hipError_tPvRmT1_PNSt15iterator_traitsISK_E10value_typeET2_T3_PNSL_ISQ_E10value_typeET4_jRbjT5_SW_jjP12ihipStream_tbEUlT_E_NS1_11comp_targetILNS1_3genE9ELNS1_11target_archE1100ELNS1_3gpuE3ELNS1_3repE0EEENS1_30default_config_static_selectorELNS0_4arch9wavefront6targetE0EEEvSK_.kd
    .uniform_work_group_size: 1
    .uses_dynamic_stack: false
    .vgpr_count:     0
    .vgpr_spill_count: 0
    .wavefront_size: 32
    .workgroup_processor_mode: 1
  - .args:
      - .offset:         0
        .size:           96
        .value_kind:     by_value
    .group_segment_fixed_size: 0
    .kernarg_segment_align: 8
    .kernarg_segment_size: 96
    .language:       OpenCL C
    .language_version:
      - 2
      - 0
    .max_flat_workgroup_size: 256
    .name:           _ZN7rocprim17ROCPRIM_400000_NS6detail17trampoline_kernelINS0_14default_configENS1_36segmented_radix_sort_config_selectorIhlEEZNS1_25segmented_radix_sort_implIS3_Lb0EPKhPhPKlPlN2at6native12_GLOBAL__N_18offset_tEEE10hipError_tPvRmT1_PNSt15iterator_traitsISK_E10value_typeET2_T3_PNSL_ISQ_E10value_typeET4_jRbjT5_SW_jjP12ihipStream_tbEUlT_E_NS1_11comp_targetILNS1_3genE8ELNS1_11target_archE1030ELNS1_3gpuE2ELNS1_3repE0EEENS1_30default_config_static_selectorELNS0_4arch9wavefront6targetE0EEEvSK_
    .private_segment_fixed_size: 0
    .sgpr_count:     0
    .sgpr_spill_count: 0
    .symbol:         _ZN7rocprim17ROCPRIM_400000_NS6detail17trampoline_kernelINS0_14default_configENS1_36segmented_radix_sort_config_selectorIhlEEZNS1_25segmented_radix_sort_implIS3_Lb0EPKhPhPKlPlN2at6native12_GLOBAL__N_18offset_tEEE10hipError_tPvRmT1_PNSt15iterator_traitsISK_E10value_typeET2_T3_PNSL_ISQ_E10value_typeET4_jRbjT5_SW_jjP12ihipStream_tbEUlT_E_NS1_11comp_targetILNS1_3genE8ELNS1_11target_archE1030ELNS1_3gpuE2ELNS1_3repE0EEENS1_30default_config_static_selectorELNS0_4arch9wavefront6targetE0EEEvSK_.kd
    .uniform_work_group_size: 1
    .uses_dynamic_stack: false
    .vgpr_count:     0
    .vgpr_spill_count: 0
    .wavefront_size: 32
    .workgroup_processor_mode: 1
  - .args:
      - .offset:         0
        .size:           88
        .value_kind:     by_value
    .group_segment_fixed_size: 0
    .kernarg_segment_align: 8
    .kernarg_segment_size: 88
    .language:       OpenCL C
    .language_version:
      - 2
      - 0
    .max_flat_workgroup_size: 256
    .name:           _ZN7rocprim17ROCPRIM_400000_NS6detail17trampoline_kernelINS0_14default_configENS1_36segmented_radix_sort_config_selectorIhlEEZNS1_25segmented_radix_sort_implIS3_Lb0EPKhPhPKlPlN2at6native12_GLOBAL__N_18offset_tEEE10hipError_tPvRmT1_PNSt15iterator_traitsISK_E10value_typeET2_T3_PNSL_ISQ_E10value_typeET4_jRbjT5_SW_jjP12ihipStream_tbEUlT_E0_NS1_11comp_targetILNS1_3genE0ELNS1_11target_archE4294967295ELNS1_3gpuE0ELNS1_3repE0EEENS1_60segmented_radix_sort_warp_sort_medium_config_static_selectorELNS0_4arch9wavefront6targetE0EEEvSK_
    .private_segment_fixed_size: 0
    .sgpr_count:     0
    .sgpr_spill_count: 0
    .symbol:         _ZN7rocprim17ROCPRIM_400000_NS6detail17trampoline_kernelINS0_14default_configENS1_36segmented_radix_sort_config_selectorIhlEEZNS1_25segmented_radix_sort_implIS3_Lb0EPKhPhPKlPlN2at6native12_GLOBAL__N_18offset_tEEE10hipError_tPvRmT1_PNSt15iterator_traitsISK_E10value_typeET2_T3_PNSL_ISQ_E10value_typeET4_jRbjT5_SW_jjP12ihipStream_tbEUlT_E0_NS1_11comp_targetILNS1_3genE0ELNS1_11target_archE4294967295ELNS1_3gpuE0ELNS1_3repE0EEENS1_60segmented_radix_sort_warp_sort_medium_config_static_selectorELNS0_4arch9wavefront6targetE0EEEvSK_.kd
    .uniform_work_group_size: 1
    .uses_dynamic_stack: false
    .vgpr_count:     0
    .vgpr_spill_count: 0
    .wavefront_size: 32
    .workgroup_processor_mode: 1
  - .args:
      - .offset:         0
        .size:           88
        .value_kind:     by_value
    .group_segment_fixed_size: 0
    .kernarg_segment_align: 8
    .kernarg_segment_size: 88
    .language:       OpenCL C
    .language_version:
      - 2
      - 0
    .max_flat_workgroup_size: 256
    .name:           _ZN7rocprim17ROCPRIM_400000_NS6detail17trampoline_kernelINS0_14default_configENS1_36segmented_radix_sort_config_selectorIhlEEZNS1_25segmented_radix_sort_implIS3_Lb0EPKhPhPKlPlN2at6native12_GLOBAL__N_18offset_tEEE10hipError_tPvRmT1_PNSt15iterator_traitsISK_E10value_typeET2_T3_PNSL_ISQ_E10value_typeET4_jRbjT5_SW_jjP12ihipStream_tbEUlT_E0_NS1_11comp_targetILNS1_3genE5ELNS1_11target_archE942ELNS1_3gpuE9ELNS1_3repE0EEENS1_60segmented_radix_sort_warp_sort_medium_config_static_selectorELNS0_4arch9wavefront6targetE0EEEvSK_
    .private_segment_fixed_size: 0
    .sgpr_count:     0
    .sgpr_spill_count: 0
    .symbol:         _ZN7rocprim17ROCPRIM_400000_NS6detail17trampoline_kernelINS0_14default_configENS1_36segmented_radix_sort_config_selectorIhlEEZNS1_25segmented_radix_sort_implIS3_Lb0EPKhPhPKlPlN2at6native12_GLOBAL__N_18offset_tEEE10hipError_tPvRmT1_PNSt15iterator_traitsISK_E10value_typeET2_T3_PNSL_ISQ_E10value_typeET4_jRbjT5_SW_jjP12ihipStream_tbEUlT_E0_NS1_11comp_targetILNS1_3genE5ELNS1_11target_archE942ELNS1_3gpuE9ELNS1_3repE0EEENS1_60segmented_radix_sort_warp_sort_medium_config_static_selectorELNS0_4arch9wavefront6targetE0EEEvSK_.kd
    .uniform_work_group_size: 1
    .uses_dynamic_stack: false
    .vgpr_count:     0
    .vgpr_spill_count: 0
    .wavefront_size: 32
    .workgroup_processor_mode: 1
  - .args:
      - .offset:         0
        .size:           88
        .value_kind:     by_value
    .group_segment_fixed_size: 0
    .kernarg_segment_align: 8
    .kernarg_segment_size: 88
    .language:       OpenCL C
    .language_version:
      - 2
      - 0
    .max_flat_workgroup_size: 256
    .name:           _ZN7rocprim17ROCPRIM_400000_NS6detail17trampoline_kernelINS0_14default_configENS1_36segmented_radix_sort_config_selectorIhlEEZNS1_25segmented_radix_sort_implIS3_Lb0EPKhPhPKlPlN2at6native12_GLOBAL__N_18offset_tEEE10hipError_tPvRmT1_PNSt15iterator_traitsISK_E10value_typeET2_T3_PNSL_ISQ_E10value_typeET4_jRbjT5_SW_jjP12ihipStream_tbEUlT_E0_NS1_11comp_targetILNS1_3genE4ELNS1_11target_archE910ELNS1_3gpuE8ELNS1_3repE0EEENS1_60segmented_radix_sort_warp_sort_medium_config_static_selectorELNS0_4arch9wavefront6targetE0EEEvSK_
    .private_segment_fixed_size: 0
    .sgpr_count:     0
    .sgpr_spill_count: 0
    .symbol:         _ZN7rocprim17ROCPRIM_400000_NS6detail17trampoline_kernelINS0_14default_configENS1_36segmented_radix_sort_config_selectorIhlEEZNS1_25segmented_radix_sort_implIS3_Lb0EPKhPhPKlPlN2at6native12_GLOBAL__N_18offset_tEEE10hipError_tPvRmT1_PNSt15iterator_traitsISK_E10value_typeET2_T3_PNSL_ISQ_E10value_typeET4_jRbjT5_SW_jjP12ihipStream_tbEUlT_E0_NS1_11comp_targetILNS1_3genE4ELNS1_11target_archE910ELNS1_3gpuE8ELNS1_3repE0EEENS1_60segmented_radix_sort_warp_sort_medium_config_static_selectorELNS0_4arch9wavefront6targetE0EEEvSK_.kd
    .uniform_work_group_size: 1
    .uses_dynamic_stack: false
    .vgpr_count:     0
    .vgpr_spill_count: 0
    .wavefront_size: 32
    .workgroup_processor_mode: 1
  - .args:
      - .offset:         0
        .size:           88
        .value_kind:     by_value
    .group_segment_fixed_size: 0
    .kernarg_segment_align: 8
    .kernarg_segment_size: 88
    .language:       OpenCL C
    .language_version:
      - 2
      - 0
    .max_flat_workgroup_size: 256
    .name:           _ZN7rocprim17ROCPRIM_400000_NS6detail17trampoline_kernelINS0_14default_configENS1_36segmented_radix_sort_config_selectorIhlEEZNS1_25segmented_radix_sort_implIS3_Lb0EPKhPhPKlPlN2at6native12_GLOBAL__N_18offset_tEEE10hipError_tPvRmT1_PNSt15iterator_traitsISK_E10value_typeET2_T3_PNSL_ISQ_E10value_typeET4_jRbjT5_SW_jjP12ihipStream_tbEUlT_E0_NS1_11comp_targetILNS1_3genE3ELNS1_11target_archE908ELNS1_3gpuE7ELNS1_3repE0EEENS1_60segmented_radix_sort_warp_sort_medium_config_static_selectorELNS0_4arch9wavefront6targetE0EEEvSK_
    .private_segment_fixed_size: 0
    .sgpr_count:     0
    .sgpr_spill_count: 0
    .symbol:         _ZN7rocprim17ROCPRIM_400000_NS6detail17trampoline_kernelINS0_14default_configENS1_36segmented_radix_sort_config_selectorIhlEEZNS1_25segmented_radix_sort_implIS3_Lb0EPKhPhPKlPlN2at6native12_GLOBAL__N_18offset_tEEE10hipError_tPvRmT1_PNSt15iterator_traitsISK_E10value_typeET2_T3_PNSL_ISQ_E10value_typeET4_jRbjT5_SW_jjP12ihipStream_tbEUlT_E0_NS1_11comp_targetILNS1_3genE3ELNS1_11target_archE908ELNS1_3gpuE7ELNS1_3repE0EEENS1_60segmented_radix_sort_warp_sort_medium_config_static_selectorELNS0_4arch9wavefront6targetE0EEEvSK_.kd
    .uniform_work_group_size: 1
    .uses_dynamic_stack: false
    .vgpr_count:     0
    .vgpr_spill_count: 0
    .wavefront_size: 32
    .workgroup_processor_mode: 1
  - .args:
      - .offset:         0
        .size:           88
        .value_kind:     by_value
    .group_segment_fixed_size: 0
    .kernarg_segment_align: 8
    .kernarg_segment_size: 88
    .language:       OpenCL C
    .language_version:
      - 2
      - 0
    .max_flat_workgroup_size: 256
    .name:           _ZN7rocprim17ROCPRIM_400000_NS6detail17trampoline_kernelINS0_14default_configENS1_36segmented_radix_sort_config_selectorIhlEEZNS1_25segmented_radix_sort_implIS3_Lb0EPKhPhPKlPlN2at6native12_GLOBAL__N_18offset_tEEE10hipError_tPvRmT1_PNSt15iterator_traitsISK_E10value_typeET2_T3_PNSL_ISQ_E10value_typeET4_jRbjT5_SW_jjP12ihipStream_tbEUlT_E0_NS1_11comp_targetILNS1_3genE2ELNS1_11target_archE906ELNS1_3gpuE6ELNS1_3repE0EEENS1_60segmented_radix_sort_warp_sort_medium_config_static_selectorELNS0_4arch9wavefront6targetE0EEEvSK_
    .private_segment_fixed_size: 0
    .sgpr_count:     0
    .sgpr_spill_count: 0
    .symbol:         _ZN7rocprim17ROCPRIM_400000_NS6detail17trampoline_kernelINS0_14default_configENS1_36segmented_radix_sort_config_selectorIhlEEZNS1_25segmented_radix_sort_implIS3_Lb0EPKhPhPKlPlN2at6native12_GLOBAL__N_18offset_tEEE10hipError_tPvRmT1_PNSt15iterator_traitsISK_E10value_typeET2_T3_PNSL_ISQ_E10value_typeET4_jRbjT5_SW_jjP12ihipStream_tbEUlT_E0_NS1_11comp_targetILNS1_3genE2ELNS1_11target_archE906ELNS1_3gpuE6ELNS1_3repE0EEENS1_60segmented_radix_sort_warp_sort_medium_config_static_selectorELNS0_4arch9wavefront6targetE0EEEvSK_.kd
    .uniform_work_group_size: 1
    .uses_dynamic_stack: false
    .vgpr_count:     0
    .vgpr_spill_count: 0
    .wavefront_size: 32
    .workgroup_processor_mode: 1
  - .args:
      - .offset:         0
        .size:           88
        .value_kind:     by_value
      - .offset:         88
        .size:           4
        .value_kind:     hidden_block_count_x
      - .offset:         92
        .size:           4
        .value_kind:     hidden_block_count_y
      - .offset:         96
        .size:           4
        .value_kind:     hidden_block_count_z
      - .offset:         100
        .size:           2
        .value_kind:     hidden_group_size_x
      - .offset:         102
        .size:           2
        .value_kind:     hidden_group_size_y
      - .offset:         104
        .size:           2
        .value_kind:     hidden_group_size_z
      - .offset:         106
        .size:           2
        .value_kind:     hidden_remainder_x
      - .offset:         108
        .size:           2
        .value_kind:     hidden_remainder_y
      - .offset:         110
        .size:           2
        .value_kind:     hidden_remainder_z
      - .offset:         128
        .size:           8
        .value_kind:     hidden_global_offset_x
      - .offset:         136
        .size:           8
        .value_kind:     hidden_global_offset_y
      - .offset:         144
        .size:           8
        .value_kind:     hidden_global_offset_z
      - .offset:         152
        .size:           2
        .value_kind:     hidden_grid_dims
    .group_segment_fixed_size: 18432
    .kernarg_segment_align: 8
    .kernarg_segment_size: 344
    .language:       OpenCL C
    .language_version:
      - 2
      - 0
    .max_flat_workgroup_size: 256
    .name:           _ZN7rocprim17ROCPRIM_400000_NS6detail17trampoline_kernelINS0_14default_configENS1_36segmented_radix_sort_config_selectorIhlEEZNS1_25segmented_radix_sort_implIS3_Lb0EPKhPhPKlPlN2at6native12_GLOBAL__N_18offset_tEEE10hipError_tPvRmT1_PNSt15iterator_traitsISK_E10value_typeET2_T3_PNSL_ISQ_E10value_typeET4_jRbjT5_SW_jjP12ihipStream_tbEUlT_E0_NS1_11comp_targetILNS1_3genE10ELNS1_11target_archE1201ELNS1_3gpuE5ELNS1_3repE0EEENS1_60segmented_radix_sort_warp_sort_medium_config_static_selectorELNS0_4arch9wavefront6targetE0EEEvSK_
    .private_segment_fixed_size: 0
    .sgpr_count:     46
    .sgpr_spill_count: 0
    .symbol:         _ZN7rocprim17ROCPRIM_400000_NS6detail17trampoline_kernelINS0_14default_configENS1_36segmented_radix_sort_config_selectorIhlEEZNS1_25segmented_radix_sort_implIS3_Lb0EPKhPhPKlPlN2at6native12_GLOBAL__N_18offset_tEEE10hipError_tPvRmT1_PNSt15iterator_traitsISK_E10value_typeET2_T3_PNSL_ISQ_E10value_typeET4_jRbjT5_SW_jjP12ihipStream_tbEUlT_E0_NS1_11comp_targetILNS1_3genE10ELNS1_11target_archE1201ELNS1_3gpuE5ELNS1_3repE0EEENS1_60segmented_radix_sort_warp_sort_medium_config_static_selectorELNS0_4arch9wavefront6targetE0EEEvSK_.kd
    .uniform_work_group_size: 1
    .uses_dynamic_stack: false
    .vgpr_count:     68
    .vgpr_spill_count: 0
    .wavefront_size: 32
    .workgroup_processor_mode: 1
  - .args:
      - .offset:         0
        .size:           88
        .value_kind:     by_value
    .group_segment_fixed_size: 0
    .kernarg_segment_align: 8
    .kernarg_segment_size: 88
    .language:       OpenCL C
    .language_version:
      - 2
      - 0
    .max_flat_workgroup_size: 256
    .name:           _ZN7rocprim17ROCPRIM_400000_NS6detail17trampoline_kernelINS0_14default_configENS1_36segmented_radix_sort_config_selectorIhlEEZNS1_25segmented_radix_sort_implIS3_Lb0EPKhPhPKlPlN2at6native12_GLOBAL__N_18offset_tEEE10hipError_tPvRmT1_PNSt15iterator_traitsISK_E10value_typeET2_T3_PNSL_ISQ_E10value_typeET4_jRbjT5_SW_jjP12ihipStream_tbEUlT_E0_NS1_11comp_targetILNS1_3genE10ELNS1_11target_archE1200ELNS1_3gpuE4ELNS1_3repE0EEENS1_60segmented_radix_sort_warp_sort_medium_config_static_selectorELNS0_4arch9wavefront6targetE0EEEvSK_
    .private_segment_fixed_size: 0
    .sgpr_count:     0
    .sgpr_spill_count: 0
    .symbol:         _ZN7rocprim17ROCPRIM_400000_NS6detail17trampoline_kernelINS0_14default_configENS1_36segmented_radix_sort_config_selectorIhlEEZNS1_25segmented_radix_sort_implIS3_Lb0EPKhPhPKlPlN2at6native12_GLOBAL__N_18offset_tEEE10hipError_tPvRmT1_PNSt15iterator_traitsISK_E10value_typeET2_T3_PNSL_ISQ_E10value_typeET4_jRbjT5_SW_jjP12ihipStream_tbEUlT_E0_NS1_11comp_targetILNS1_3genE10ELNS1_11target_archE1200ELNS1_3gpuE4ELNS1_3repE0EEENS1_60segmented_radix_sort_warp_sort_medium_config_static_selectorELNS0_4arch9wavefront6targetE0EEEvSK_.kd
    .uniform_work_group_size: 1
    .uses_dynamic_stack: false
    .vgpr_count:     0
    .vgpr_spill_count: 0
    .wavefront_size: 32
    .workgroup_processor_mode: 1
  - .args:
      - .offset:         0
        .size:           88
        .value_kind:     by_value
    .group_segment_fixed_size: 0
    .kernarg_segment_align: 8
    .kernarg_segment_size: 88
    .language:       OpenCL C
    .language_version:
      - 2
      - 0
    .max_flat_workgroup_size: 256
    .name:           _ZN7rocprim17ROCPRIM_400000_NS6detail17trampoline_kernelINS0_14default_configENS1_36segmented_radix_sort_config_selectorIhlEEZNS1_25segmented_radix_sort_implIS3_Lb0EPKhPhPKlPlN2at6native12_GLOBAL__N_18offset_tEEE10hipError_tPvRmT1_PNSt15iterator_traitsISK_E10value_typeET2_T3_PNSL_ISQ_E10value_typeET4_jRbjT5_SW_jjP12ihipStream_tbEUlT_E0_NS1_11comp_targetILNS1_3genE9ELNS1_11target_archE1100ELNS1_3gpuE3ELNS1_3repE0EEENS1_60segmented_radix_sort_warp_sort_medium_config_static_selectorELNS0_4arch9wavefront6targetE0EEEvSK_
    .private_segment_fixed_size: 0
    .sgpr_count:     0
    .sgpr_spill_count: 0
    .symbol:         _ZN7rocprim17ROCPRIM_400000_NS6detail17trampoline_kernelINS0_14default_configENS1_36segmented_radix_sort_config_selectorIhlEEZNS1_25segmented_radix_sort_implIS3_Lb0EPKhPhPKlPlN2at6native12_GLOBAL__N_18offset_tEEE10hipError_tPvRmT1_PNSt15iterator_traitsISK_E10value_typeET2_T3_PNSL_ISQ_E10value_typeET4_jRbjT5_SW_jjP12ihipStream_tbEUlT_E0_NS1_11comp_targetILNS1_3genE9ELNS1_11target_archE1100ELNS1_3gpuE3ELNS1_3repE0EEENS1_60segmented_radix_sort_warp_sort_medium_config_static_selectorELNS0_4arch9wavefront6targetE0EEEvSK_.kd
    .uniform_work_group_size: 1
    .uses_dynamic_stack: false
    .vgpr_count:     0
    .vgpr_spill_count: 0
    .wavefront_size: 32
    .workgroup_processor_mode: 1
  - .args:
      - .offset:         0
        .size:           88
        .value_kind:     by_value
    .group_segment_fixed_size: 0
    .kernarg_segment_align: 8
    .kernarg_segment_size: 88
    .language:       OpenCL C
    .language_version:
      - 2
      - 0
    .max_flat_workgroup_size: 256
    .name:           _ZN7rocprim17ROCPRIM_400000_NS6detail17trampoline_kernelINS0_14default_configENS1_36segmented_radix_sort_config_selectorIhlEEZNS1_25segmented_radix_sort_implIS3_Lb0EPKhPhPKlPlN2at6native12_GLOBAL__N_18offset_tEEE10hipError_tPvRmT1_PNSt15iterator_traitsISK_E10value_typeET2_T3_PNSL_ISQ_E10value_typeET4_jRbjT5_SW_jjP12ihipStream_tbEUlT_E0_NS1_11comp_targetILNS1_3genE8ELNS1_11target_archE1030ELNS1_3gpuE2ELNS1_3repE0EEENS1_60segmented_radix_sort_warp_sort_medium_config_static_selectorELNS0_4arch9wavefront6targetE0EEEvSK_
    .private_segment_fixed_size: 0
    .sgpr_count:     0
    .sgpr_spill_count: 0
    .symbol:         _ZN7rocprim17ROCPRIM_400000_NS6detail17trampoline_kernelINS0_14default_configENS1_36segmented_radix_sort_config_selectorIhlEEZNS1_25segmented_radix_sort_implIS3_Lb0EPKhPhPKlPlN2at6native12_GLOBAL__N_18offset_tEEE10hipError_tPvRmT1_PNSt15iterator_traitsISK_E10value_typeET2_T3_PNSL_ISQ_E10value_typeET4_jRbjT5_SW_jjP12ihipStream_tbEUlT_E0_NS1_11comp_targetILNS1_3genE8ELNS1_11target_archE1030ELNS1_3gpuE2ELNS1_3repE0EEENS1_60segmented_radix_sort_warp_sort_medium_config_static_selectorELNS0_4arch9wavefront6targetE0EEEvSK_.kd
    .uniform_work_group_size: 1
    .uses_dynamic_stack: false
    .vgpr_count:     0
    .vgpr_spill_count: 0
    .wavefront_size: 32
    .workgroup_processor_mode: 1
  - .args:
      - .offset:         0
        .size:           88
        .value_kind:     by_value
    .group_segment_fixed_size: 0
    .kernarg_segment_align: 8
    .kernarg_segment_size: 88
    .language:       OpenCL C
    .language_version:
      - 2
      - 0
    .max_flat_workgroup_size: 256
    .name:           _ZN7rocprim17ROCPRIM_400000_NS6detail17trampoline_kernelINS0_14default_configENS1_36segmented_radix_sort_config_selectorIhlEEZNS1_25segmented_radix_sort_implIS3_Lb0EPKhPhPKlPlN2at6native12_GLOBAL__N_18offset_tEEE10hipError_tPvRmT1_PNSt15iterator_traitsISK_E10value_typeET2_T3_PNSL_ISQ_E10value_typeET4_jRbjT5_SW_jjP12ihipStream_tbEUlT_E1_NS1_11comp_targetILNS1_3genE0ELNS1_11target_archE4294967295ELNS1_3gpuE0ELNS1_3repE0EEENS1_59segmented_radix_sort_warp_sort_small_config_static_selectorELNS0_4arch9wavefront6targetE0EEEvSK_
    .private_segment_fixed_size: 0
    .sgpr_count:     0
    .sgpr_spill_count: 0
    .symbol:         _ZN7rocprim17ROCPRIM_400000_NS6detail17trampoline_kernelINS0_14default_configENS1_36segmented_radix_sort_config_selectorIhlEEZNS1_25segmented_radix_sort_implIS3_Lb0EPKhPhPKlPlN2at6native12_GLOBAL__N_18offset_tEEE10hipError_tPvRmT1_PNSt15iterator_traitsISK_E10value_typeET2_T3_PNSL_ISQ_E10value_typeET4_jRbjT5_SW_jjP12ihipStream_tbEUlT_E1_NS1_11comp_targetILNS1_3genE0ELNS1_11target_archE4294967295ELNS1_3gpuE0ELNS1_3repE0EEENS1_59segmented_radix_sort_warp_sort_small_config_static_selectorELNS0_4arch9wavefront6targetE0EEEvSK_.kd
    .uniform_work_group_size: 1
    .uses_dynamic_stack: false
    .vgpr_count:     0
    .vgpr_spill_count: 0
    .wavefront_size: 32
    .workgroup_processor_mode: 1
  - .args:
      - .offset:         0
        .size:           88
        .value_kind:     by_value
    .group_segment_fixed_size: 0
    .kernarg_segment_align: 8
    .kernarg_segment_size: 88
    .language:       OpenCL C
    .language_version:
      - 2
      - 0
    .max_flat_workgroup_size: 256
    .name:           _ZN7rocprim17ROCPRIM_400000_NS6detail17trampoline_kernelINS0_14default_configENS1_36segmented_radix_sort_config_selectorIhlEEZNS1_25segmented_radix_sort_implIS3_Lb0EPKhPhPKlPlN2at6native12_GLOBAL__N_18offset_tEEE10hipError_tPvRmT1_PNSt15iterator_traitsISK_E10value_typeET2_T3_PNSL_ISQ_E10value_typeET4_jRbjT5_SW_jjP12ihipStream_tbEUlT_E1_NS1_11comp_targetILNS1_3genE5ELNS1_11target_archE942ELNS1_3gpuE9ELNS1_3repE0EEENS1_59segmented_radix_sort_warp_sort_small_config_static_selectorELNS0_4arch9wavefront6targetE0EEEvSK_
    .private_segment_fixed_size: 0
    .sgpr_count:     0
    .sgpr_spill_count: 0
    .symbol:         _ZN7rocprim17ROCPRIM_400000_NS6detail17trampoline_kernelINS0_14default_configENS1_36segmented_radix_sort_config_selectorIhlEEZNS1_25segmented_radix_sort_implIS3_Lb0EPKhPhPKlPlN2at6native12_GLOBAL__N_18offset_tEEE10hipError_tPvRmT1_PNSt15iterator_traitsISK_E10value_typeET2_T3_PNSL_ISQ_E10value_typeET4_jRbjT5_SW_jjP12ihipStream_tbEUlT_E1_NS1_11comp_targetILNS1_3genE5ELNS1_11target_archE942ELNS1_3gpuE9ELNS1_3repE0EEENS1_59segmented_radix_sort_warp_sort_small_config_static_selectorELNS0_4arch9wavefront6targetE0EEEvSK_.kd
    .uniform_work_group_size: 1
    .uses_dynamic_stack: false
    .vgpr_count:     0
    .vgpr_spill_count: 0
    .wavefront_size: 32
    .workgroup_processor_mode: 1
  - .args:
      - .offset:         0
        .size:           88
        .value_kind:     by_value
    .group_segment_fixed_size: 0
    .kernarg_segment_align: 8
    .kernarg_segment_size: 88
    .language:       OpenCL C
    .language_version:
      - 2
      - 0
    .max_flat_workgroup_size: 256
    .name:           _ZN7rocprim17ROCPRIM_400000_NS6detail17trampoline_kernelINS0_14default_configENS1_36segmented_radix_sort_config_selectorIhlEEZNS1_25segmented_radix_sort_implIS3_Lb0EPKhPhPKlPlN2at6native12_GLOBAL__N_18offset_tEEE10hipError_tPvRmT1_PNSt15iterator_traitsISK_E10value_typeET2_T3_PNSL_ISQ_E10value_typeET4_jRbjT5_SW_jjP12ihipStream_tbEUlT_E1_NS1_11comp_targetILNS1_3genE4ELNS1_11target_archE910ELNS1_3gpuE8ELNS1_3repE0EEENS1_59segmented_radix_sort_warp_sort_small_config_static_selectorELNS0_4arch9wavefront6targetE0EEEvSK_
    .private_segment_fixed_size: 0
    .sgpr_count:     0
    .sgpr_spill_count: 0
    .symbol:         _ZN7rocprim17ROCPRIM_400000_NS6detail17trampoline_kernelINS0_14default_configENS1_36segmented_radix_sort_config_selectorIhlEEZNS1_25segmented_radix_sort_implIS3_Lb0EPKhPhPKlPlN2at6native12_GLOBAL__N_18offset_tEEE10hipError_tPvRmT1_PNSt15iterator_traitsISK_E10value_typeET2_T3_PNSL_ISQ_E10value_typeET4_jRbjT5_SW_jjP12ihipStream_tbEUlT_E1_NS1_11comp_targetILNS1_3genE4ELNS1_11target_archE910ELNS1_3gpuE8ELNS1_3repE0EEENS1_59segmented_radix_sort_warp_sort_small_config_static_selectorELNS0_4arch9wavefront6targetE0EEEvSK_.kd
    .uniform_work_group_size: 1
    .uses_dynamic_stack: false
    .vgpr_count:     0
    .vgpr_spill_count: 0
    .wavefront_size: 32
    .workgroup_processor_mode: 1
  - .args:
      - .offset:         0
        .size:           88
        .value_kind:     by_value
    .group_segment_fixed_size: 0
    .kernarg_segment_align: 8
    .kernarg_segment_size: 88
    .language:       OpenCL C
    .language_version:
      - 2
      - 0
    .max_flat_workgroup_size: 256
    .name:           _ZN7rocprim17ROCPRIM_400000_NS6detail17trampoline_kernelINS0_14default_configENS1_36segmented_radix_sort_config_selectorIhlEEZNS1_25segmented_radix_sort_implIS3_Lb0EPKhPhPKlPlN2at6native12_GLOBAL__N_18offset_tEEE10hipError_tPvRmT1_PNSt15iterator_traitsISK_E10value_typeET2_T3_PNSL_ISQ_E10value_typeET4_jRbjT5_SW_jjP12ihipStream_tbEUlT_E1_NS1_11comp_targetILNS1_3genE3ELNS1_11target_archE908ELNS1_3gpuE7ELNS1_3repE0EEENS1_59segmented_radix_sort_warp_sort_small_config_static_selectorELNS0_4arch9wavefront6targetE0EEEvSK_
    .private_segment_fixed_size: 0
    .sgpr_count:     0
    .sgpr_spill_count: 0
    .symbol:         _ZN7rocprim17ROCPRIM_400000_NS6detail17trampoline_kernelINS0_14default_configENS1_36segmented_radix_sort_config_selectorIhlEEZNS1_25segmented_radix_sort_implIS3_Lb0EPKhPhPKlPlN2at6native12_GLOBAL__N_18offset_tEEE10hipError_tPvRmT1_PNSt15iterator_traitsISK_E10value_typeET2_T3_PNSL_ISQ_E10value_typeET4_jRbjT5_SW_jjP12ihipStream_tbEUlT_E1_NS1_11comp_targetILNS1_3genE3ELNS1_11target_archE908ELNS1_3gpuE7ELNS1_3repE0EEENS1_59segmented_radix_sort_warp_sort_small_config_static_selectorELNS0_4arch9wavefront6targetE0EEEvSK_.kd
    .uniform_work_group_size: 1
    .uses_dynamic_stack: false
    .vgpr_count:     0
    .vgpr_spill_count: 0
    .wavefront_size: 32
    .workgroup_processor_mode: 1
  - .args:
      - .offset:         0
        .size:           88
        .value_kind:     by_value
    .group_segment_fixed_size: 0
    .kernarg_segment_align: 8
    .kernarg_segment_size: 88
    .language:       OpenCL C
    .language_version:
      - 2
      - 0
    .max_flat_workgroup_size: 256
    .name:           _ZN7rocprim17ROCPRIM_400000_NS6detail17trampoline_kernelINS0_14default_configENS1_36segmented_radix_sort_config_selectorIhlEEZNS1_25segmented_radix_sort_implIS3_Lb0EPKhPhPKlPlN2at6native12_GLOBAL__N_18offset_tEEE10hipError_tPvRmT1_PNSt15iterator_traitsISK_E10value_typeET2_T3_PNSL_ISQ_E10value_typeET4_jRbjT5_SW_jjP12ihipStream_tbEUlT_E1_NS1_11comp_targetILNS1_3genE2ELNS1_11target_archE906ELNS1_3gpuE6ELNS1_3repE0EEENS1_59segmented_radix_sort_warp_sort_small_config_static_selectorELNS0_4arch9wavefront6targetE0EEEvSK_
    .private_segment_fixed_size: 0
    .sgpr_count:     0
    .sgpr_spill_count: 0
    .symbol:         _ZN7rocprim17ROCPRIM_400000_NS6detail17trampoline_kernelINS0_14default_configENS1_36segmented_radix_sort_config_selectorIhlEEZNS1_25segmented_radix_sort_implIS3_Lb0EPKhPhPKlPlN2at6native12_GLOBAL__N_18offset_tEEE10hipError_tPvRmT1_PNSt15iterator_traitsISK_E10value_typeET2_T3_PNSL_ISQ_E10value_typeET4_jRbjT5_SW_jjP12ihipStream_tbEUlT_E1_NS1_11comp_targetILNS1_3genE2ELNS1_11target_archE906ELNS1_3gpuE6ELNS1_3repE0EEENS1_59segmented_radix_sort_warp_sort_small_config_static_selectorELNS0_4arch9wavefront6targetE0EEEvSK_.kd
    .uniform_work_group_size: 1
    .uses_dynamic_stack: false
    .vgpr_count:     0
    .vgpr_spill_count: 0
    .wavefront_size: 32
    .workgroup_processor_mode: 1
  - .args:
      - .offset:         0
        .size:           88
        .value_kind:     by_value
      - .offset:         88
        .size:           4
        .value_kind:     hidden_block_count_x
      - .offset:         92
        .size:           4
        .value_kind:     hidden_block_count_y
      - .offset:         96
        .size:           4
        .value_kind:     hidden_block_count_z
      - .offset:         100
        .size:           2
        .value_kind:     hidden_group_size_x
      - .offset:         102
        .size:           2
        .value_kind:     hidden_group_size_y
      - .offset:         104
        .size:           2
        .value_kind:     hidden_group_size_z
      - .offset:         106
        .size:           2
        .value_kind:     hidden_remainder_x
      - .offset:         108
        .size:           2
        .value_kind:     hidden_remainder_y
      - .offset:         110
        .size:           2
        .value_kind:     hidden_remainder_z
      - .offset:         128
        .size:           8
        .value_kind:     hidden_global_offset_x
      - .offset:         136
        .size:           8
        .value_kind:     hidden_global_offset_y
      - .offset:         144
        .size:           8
        .value_kind:     hidden_global_offset_z
      - .offset:         152
        .size:           2
        .value_kind:     hidden_grid_dims
    .group_segment_fixed_size: 9216
    .kernarg_segment_align: 8
    .kernarg_segment_size: 344
    .language:       OpenCL C
    .language_version:
      - 2
      - 0
    .max_flat_workgroup_size: 256
    .name:           _ZN7rocprim17ROCPRIM_400000_NS6detail17trampoline_kernelINS0_14default_configENS1_36segmented_radix_sort_config_selectorIhlEEZNS1_25segmented_radix_sort_implIS3_Lb0EPKhPhPKlPlN2at6native12_GLOBAL__N_18offset_tEEE10hipError_tPvRmT1_PNSt15iterator_traitsISK_E10value_typeET2_T3_PNSL_ISQ_E10value_typeET4_jRbjT5_SW_jjP12ihipStream_tbEUlT_E1_NS1_11comp_targetILNS1_3genE10ELNS1_11target_archE1201ELNS1_3gpuE5ELNS1_3repE0EEENS1_59segmented_radix_sort_warp_sort_small_config_static_selectorELNS0_4arch9wavefront6targetE0EEEvSK_
    .private_segment_fixed_size: 0
    .sgpr_count:     35
    .sgpr_spill_count: 0
    .symbol:         _ZN7rocprim17ROCPRIM_400000_NS6detail17trampoline_kernelINS0_14default_configENS1_36segmented_radix_sort_config_selectorIhlEEZNS1_25segmented_radix_sort_implIS3_Lb0EPKhPhPKlPlN2at6native12_GLOBAL__N_18offset_tEEE10hipError_tPvRmT1_PNSt15iterator_traitsISK_E10value_typeET2_T3_PNSL_ISQ_E10value_typeET4_jRbjT5_SW_jjP12ihipStream_tbEUlT_E1_NS1_11comp_targetILNS1_3genE10ELNS1_11target_archE1201ELNS1_3gpuE5ELNS1_3repE0EEENS1_59segmented_radix_sort_warp_sort_small_config_static_selectorELNS0_4arch9wavefront6targetE0EEEvSK_.kd
    .uniform_work_group_size: 1
    .uses_dynamic_stack: false
    .vgpr_count:     51
    .vgpr_spill_count: 0
    .wavefront_size: 32
    .workgroup_processor_mode: 1
  - .args:
      - .offset:         0
        .size:           88
        .value_kind:     by_value
    .group_segment_fixed_size: 0
    .kernarg_segment_align: 8
    .kernarg_segment_size: 88
    .language:       OpenCL C
    .language_version:
      - 2
      - 0
    .max_flat_workgroup_size: 256
    .name:           _ZN7rocprim17ROCPRIM_400000_NS6detail17trampoline_kernelINS0_14default_configENS1_36segmented_radix_sort_config_selectorIhlEEZNS1_25segmented_radix_sort_implIS3_Lb0EPKhPhPKlPlN2at6native12_GLOBAL__N_18offset_tEEE10hipError_tPvRmT1_PNSt15iterator_traitsISK_E10value_typeET2_T3_PNSL_ISQ_E10value_typeET4_jRbjT5_SW_jjP12ihipStream_tbEUlT_E1_NS1_11comp_targetILNS1_3genE10ELNS1_11target_archE1200ELNS1_3gpuE4ELNS1_3repE0EEENS1_59segmented_radix_sort_warp_sort_small_config_static_selectorELNS0_4arch9wavefront6targetE0EEEvSK_
    .private_segment_fixed_size: 0
    .sgpr_count:     0
    .sgpr_spill_count: 0
    .symbol:         _ZN7rocprim17ROCPRIM_400000_NS6detail17trampoline_kernelINS0_14default_configENS1_36segmented_radix_sort_config_selectorIhlEEZNS1_25segmented_radix_sort_implIS3_Lb0EPKhPhPKlPlN2at6native12_GLOBAL__N_18offset_tEEE10hipError_tPvRmT1_PNSt15iterator_traitsISK_E10value_typeET2_T3_PNSL_ISQ_E10value_typeET4_jRbjT5_SW_jjP12ihipStream_tbEUlT_E1_NS1_11comp_targetILNS1_3genE10ELNS1_11target_archE1200ELNS1_3gpuE4ELNS1_3repE0EEENS1_59segmented_radix_sort_warp_sort_small_config_static_selectorELNS0_4arch9wavefront6targetE0EEEvSK_.kd
    .uniform_work_group_size: 1
    .uses_dynamic_stack: false
    .vgpr_count:     0
    .vgpr_spill_count: 0
    .wavefront_size: 32
    .workgroup_processor_mode: 1
  - .args:
      - .offset:         0
        .size:           88
        .value_kind:     by_value
    .group_segment_fixed_size: 0
    .kernarg_segment_align: 8
    .kernarg_segment_size: 88
    .language:       OpenCL C
    .language_version:
      - 2
      - 0
    .max_flat_workgroup_size: 256
    .name:           _ZN7rocprim17ROCPRIM_400000_NS6detail17trampoline_kernelINS0_14default_configENS1_36segmented_radix_sort_config_selectorIhlEEZNS1_25segmented_radix_sort_implIS3_Lb0EPKhPhPKlPlN2at6native12_GLOBAL__N_18offset_tEEE10hipError_tPvRmT1_PNSt15iterator_traitsISK_E10value_typeET2_T3_PNSL_ISQ_E10value_typeET4_jRbjT5_SW_jjP12ihipStream_tbEUlT_E1_NS1_11comp_targetILNS1_3genE9ELNS1_11target_archE1100ELNS1_3gpuE3ELNS1_3repE0EEENS1_59segmented_radix_sort_warp_sort_small_config_static_selectorELNS0_4arch9wavefront6targetE0EEEvSK_
    .private_segment_fixed_size: 0
    .sgpr_count:     0
    .sgpr_spill_count: 0
    .symbol:         _ZN7rocprim17ROCPRIM_400000_NS6detail17trampoline_kernelINS0_14default_configENS1_36segmented_radix_sort_config_selectorIhlEEZNS1_25segmented_radix_sort_implIS3_Lb0EPKhPhPKlPlN2at6native12_GLOBAL__N_18offset_tEEE10hipError_tPvRmT1_PNSt15iterator_traitsISK_E10value_typeET2_T3_PNSL_ISQ_E10value_typeET4_jRbjT5_SW_jjP12ihipStream_tbEUlT_E1_NS1_11comp_targetILNS1_3genE9ELNS1_11target_archE1100ELNS1_3gpuE3ELNS1_3repE0EEENS1_59segmented_radix_sort_warp_sort_small_config_static_selectorELNS0_4arch9wavefront6targetE0EEEvSK_.kd
    .uniform_work_group_size: 1
    .uses_dynamic_stack: false
    .vgpr_count:     0
    .vgpr_spill_count: 0
    .wavefront_size: 32
    .workgroup_processor_mode: 1
  - .args:
      - .offset:         0
        .size:           88
        .value_kind:     by_value
    .group_segment_fixed_size: 0
    .kernarg_segment_align: 8
    .kernarg_segment_size: 88
    .language:       OpenCL C
    .language_version:
      - 2
      - 0
    .max_flat_workgroup_size: 256
    .name:           _ZN7rocprim17ROCPRIM_400000_NS6detail17trampoline_kernelINS0_14default_configENS1_36segmented_radix_sort_config_selectorIhlEEZNS1_25segmented_radix_sort_implIS3_Lb0EPKhPhPKlPlN2at6native12_GLOBAL__N_18offset_tEEE10hipError_tPvRmT1_PNSt15iterator_traitsISK_E10value_typeET2_T3_PNSL_ISQ_E10value_typeET4_jRbjT5_SW_jjP12ihipStream_tbEUlT_E1_NS1_11comp_targetILNS1_3genE8ELNS1_11target_archE1030ELNS1_3gpuE2ELNS1_3repE0EEENS1_59segmented_radix_sort_warp_sort_small_config_static_selectorELNS0_4arch9wavefront6targetE0EEEvSK_
    .private_segment_fixed_size: 0
    .sgpr_count:     0
    .sgpr_spill_count: 0
    .symbol:         _ZN7rocprim17ROCPRIM_400000_NS6detail17trampoline_kernelINS0_14default_configENS1_36segmented_radix_sort_config_selectorIhlEEZNS1_25segmented_radix_sort_implIS3_Lb0EPKhPhPKlPlN2at6native12_GLOBAL__N_18offset_tEEE10hipError_tPvRmT1_PNSt15iterator_traitsISK_E10value_typeET2_T3_PNSL_ISQ_E10value_typeET4_jRbjT5_SW_jjP12ihipStream_tbEUlT_E1_NS1_11comp_targetILNS1_3genE8ELNS1_11target_archE1030ELNS1_3gpuE2ELNS1_3repE0EEENS1_59segmented_radix_sort_warp_sort_small_config_static_selectorELNS0_4arch9wavefront6targetE0EEEvSK_.kd
    .uniform_work_group_size: 1
    .uses_dynamic_stack: false
    .vgpr_count:     0
    .vgpr_spill_count: 0
    .wavefront_size: 32
    .workgroup_processor_mode: 1
  - .args:
      - .offset:         0
        .size:           80
        .value_kind:     by_value
    .group_segment_fixed_size: 0
    .kernarg_segment_align: 8
    .kernarg_segment_size: 80
    .language:       OpenCL C
    .language_version:
      - 2
      - 0
    .max_flat_workgroup_size: 256
    .name:           _ZN7rocprim17ROCPRIM_400000_NS6detail17trampoline_kernelINS0_14default_configENS1_36segmented_radix_sort_config_selectorIhlEEZNS1_25segmented_radix_sort_implIS3_Lb0EPKhPhPKlPlN2at6native12_GLOBAL__N_18offset_tEEE10hipError_tPvRmT1_PNSt15iterator_traitsISK_E10value_typeET2_T3_PNSL_ISQ_E10value_typeET4_jRbjT5_SW_jjP12ihipStream_tbEUlT_E2_NS1_11comp_targetILNS1_3genE0ELNS1_11target_archE4294967295ELNS1_3gpuE0ELNS1_3repE0EEENS1_30default_config_static_selectorELNS0_4arch9wavefront6targetE0EEEvSK_
    .private_segment_fixed_size: 0
    .sgpr_count:     0
    .sgpr_spill_count: 0
    .symbol:         _ZN7rocprim17ROCPRIM_400000_NS6detail17trampoline_kernelINS0_14default_configENS1_36segmented_radix_sort_config_selectorIhlEEZNS1_25segmented_radix_sort_implIS3_Lb0EPKhPhPKlPlN2at6native12_GLOBAL__N_18offset_tEEE10hipError_tPvRmT1_PNSt15iterator_traitsISK_E10value_typeET2_T3_PNSL_ISQ_E10value_typeET4_jRbjT5_SW_jjP12ihipStream_tbEUlT_E2_NS1_11comp_targetILNS1_3genE0ELNS1_11target_archE4294967295ELNS1_3gpuE0ELNS1_3repE0EEENS1_30default_config_static_selectorELNS0_4arch9wavefront6targetE0EEEvSK_.kd
    .uniform_work_group_size: 1
    .uses_dynamic_stack: false
    .vgpr_count:     0
    .vgpr_spill_count: 0
    .wavefront_size: 32
    .workgroup_processor_mode: 1
  - .args:
      - .offset:         0
        .size:           80
        .value_kind:     by_value
    .group_segment_fixed_size: 0
    .kernarg_segment_align: 8
    .kernarg_segment_size: 80
    .language:       OpenCL C
    .language_version:
      - 2
      - 0
    .max_flat_workgroup_size: 256
    .name:           _ZN7rocprim17ROCPRIM_400000_NS6detail17trampoline_kernelINS0_14default_configENS1_36segmented_radix_sort_config_selectorIhlEEZNS1_25segmented_radix_sort_implIS3_Lb0EPKhPhPKlPlN2at6native12_GLOBAL__N_18offset_tEEE10hipError_tPvRmT1_PNSt15iterator_traitsISK_E10value_typeET2_T3_PNSL_ISQ_E10value_typeET4_jRbjT5_SW_jjP12ihipStream_tbEUlT_E2_NS1_11comp_targetILNS1_3genE5ELNS1_11target_archE942ELNS1_3gpuE9ELNS1_3repE0EEENS1_30default_config_static_selectorELNS0_4arch9wavefront6targetE0EEEvSK_
    .private_segment_fixed_size: 0
    .sgpr_count:     0
    .sgpr_spill_count: 0
    .symbol:         _ZN7rocprim17ROCPRIM_400000_NS6detail17trampoline_kernelINS0_14default_configENS1_36segmented_radix_sort_config_selectorIhlEEZNS1_25segmented_radix_sort_implIS3_Lb0EPKhPhPKlPlN2at6native12_GLOBAL__N_18offset_tEEE10hipError_tPvRmT1_PNSt15iterator_traitsISK_E10value_typeET2_T3_PNSL_ISQ_E10value_typeET4_jRbjT5_SW_jjP12ihipStream_tbEUlT_E2_NS1_11comp_targetILNS1_3genE5ELNS1_11target_archE942ELNS1_3gpuE9ELNS1_3repE0EEENS1_30default_config_static_selectorELNS0_4arch9wavefront6targetE0EEEvSK_.kd
    .uniform_work_group_size: 1
    .uses_dynamic_stack: false
    .vgpr_count:     0
    .vgpr_spill_count: 0
    .wavefront_size: 32
    .workgroup_processor_mode: 1
  - .args:
      - .offset:         0
        .size:           80
        .value_kind:     by_value
    .group_segment_fixed_size: 0
    .kernarg_segment_align: 8
    .kernarg_segment_size: 80
    .language:       OpenCL C
    .language_version:
      - 2
      - 0
    .max_flat_workgroup_size: 256
    .name:           _ZN7rocprim17ROCPRIM_400000_NS6detail17trampoline_kernelINS0_14default_configENS1_36segmented_radix_sort_config_selectorIhlEEZNS1_25segmented_radix_sort_implIS3_Lb0EPKhPhPKlPlN2at6native12_GLOBAL__N_18offset_tEEE10hipError_tPvRmT1_PNSt15iterator_traitsISK_E10value_typeET2_T3_PNSL_ISQ_E10value_typeET4_jRbjT5_SW_jjP12ihipStream_tbEUlT_E2_NS1_11comp_targetILNS1_3genE4ELNS1_11target_archE910ELNS1_3gpuE8ELNS1_3repE0EEENS1_30default_config_static_selectorELNS0_4arch9wavefront6targetE0EEEvSK_
    .private_segment_fixed_size: 0
    .sgpr_count:     0
    .sgpr_spill_count: 0
    .symbol:         _ZN7rocprim17ROCPRIM_400000_NS6detail17trampoline_kernelINS0_14default_configENS1_36segmented_radix_sort_config_selectorIhlEEZNS1_25segmented_radix_sort_implIS3_Lb0EPKhPhPKlPlN2at6native12_GLOBAL__N_18offset_tEEE10hipError_tPvRmT1_PNSt15iterator_traitsISK_E10value_typeET2_T3_PNSL_ISQ_E10value_typeET4_jRbjT5_SW_jjP12ihipStream_tbEUlT_E2_NS1_11comp_targetILNS1_3genE4ELNS1_11target_archE910ELNS1_3gpuE8ELNS1_3repE0EEENS1_30default_config_static_selectorELNS0_4arch9wavefront6targetE0EEEvSK_.kd
    .uniform_work_group_size: 1
    .uses_dynamic_stack: false
    .vgpr_count:     0
    .vgpr_spill_count: 0
    .wavefront_size: 32
    .workgroup_processor_mode: 1
  - .args:
      - .offset:         0
        .size:           80
        .value_kind:     by_value
    .group_segment_fixed_size: 0
    .kernarg_segment_align: 8
    .kernarg_segment_size: 80
    .language:       OpenCL C
    .language_version:
      - 2
      - 0
    .max_flat_workgroup_size: 256
    .name:           _ZN7rocprim17ROCPRIM_400000_NS6detail17trampoline_kernelINS0_14default_configENS1_36segmented_radix_sort_config_selectorIhlEEZNS1_25segmented_radix_sort_implIS3_Lb0EPKhPhPKlPlN2at6native12_GLOBAL__N_18offset_tEEE10hipError_tPvRmT1_PNSt15iterator_traitsISK_E10value_typeET2_T3_PNSL_ISQ_E10value_typeET4_jRbjT5_SW_jjP12ihipStream_tbEUlT_E2_NS1_11comp_targetILNS1_3genE3ELNS1_11target_archE908ELNS1_3gpuE7ELNS1_3repE0EEENS1_30default_config_static_selectorELNS0_4arch9wavefront6targetE0EEEvSK_
    .private_segment_fixed_size: 0
    .sgpr_count:     0
    .sgpr_spill_count: 0
    .symbol:         _ZN7rocprim17ROCPRIM_400000_NS6detail17trampoline_kernelINS0_14default_configENS1_36segmented_radix_sort_config_selectorIhlEEZNS1_25segmented_radix_sort_implIS3_Lb0EPKhPhPKlPlN2at6native12_GLOBAL__N_18offset_tEEE10hipError_tPvRmT1_PNSt15iterator_traitsISK_E10value_typeET2_T3_PNSL_ISQ_E10value_typeET4_jRbjT5_SW_jjP12ihipStream_tbEUlT_E2_NS1_11comp_targetILNS1_3genE3ELNS1_11target_archE908ELNS1_3gpuE7ELNS1_3repE0EEENS1_30default_config_static_selectorELNS0_4arch9wavefront6targetE0EEEvSK_.kd
    .uniform_work_group_size: 1
    .uses_dynamic_stack: false
    .vgpr_count:     0
    .vgpr_spill_count: 0
    .wavefront_size: 32
    .workgroup_processor_mode: 1
  - .args:
      - .offset:         0
        .size:           80
        .value_kind:     by_value
    .group_segment_fixed_size: 0
    .kernarg_segment_align: 8
    .kernarg_segment_size: 80
    .language:       OpenCL C
    .language_version:
      - 2
      - 0
    .max_flat_workgroup_size: 256
    .name:           _ZN7rocprim17ROCPRIM_400000_NS6detail17trampoline_kernelINS0_14default_configENS1_36segmented_radix_sort_config_selectorIhlEEZNS1_25segmented_radix_sort_implIS3_Lb0EPKhPhPKlPlN2at6native12_GLOBAL__N_18offset_tEEE10hipError_tPvRmT1_PNSt15iterator_traitsISK_E10value_typeET2_T3_PNSL_ISQ_E10value_typeET4_jRbjT5_SW_jjP12ihipStream_tbEUlT_E2_NS1_11comp_targetILNS1_3genE2ELNS1_11target_archE906ELNS1_3gpuE6ELNS1_3repE0EEENS1_30default_config_static_selectorELNS0_4arch9wavefront6targetE0EEEvSK_
    .private_segment_fixed_size: 0
    .sgpr_count:     0
    .sgpr_spill_count: 0
    .symbol:         _ZN7rocprim17ROCPRIM_400000_NS6detail17trampoline_kernelINS0_14default_configENS1_36segmented_radix_sort_config_selectorIhlEEZNS1_25segmented_radix_sort_implIS3_Lb0EPKhPhPKlPlN2at6native12_GLOBAL__N_18offset_tEEE10hipError_tPvRmT1_PNSt15iterator_traitsISK_E10value_typeET2_T3_PNSL_ISQ_E10value_typeET4_jRbjT5_SW_jjP12ihipStream_tbEUlT_E2_NS1_11comp_targetILNS1_3genE2ELNS1_11target_archE906ELNS1_3gpuE6ELNS1_3repE0EEENS1_30default_config_static_selectorELNS0_4arch9wavefront6targetE0EEEvSK_.kd
    .uniform_work_group_size: 1
    .uses_dynamic_stack: false
    .vgpr_count:     0
    .vgpr_spill_count: 0
    .wavefront_size: 32
    .workgroup_processor_mode: 1
  - .args:
      - .offset:         0
        .size:           80
        .value_kind:     by_value
      - .offset:         80
        .size:           4
        .value_kind:     hidden_block_count_x
      - .offset:         84
        .size:           4
        .value_kind:     hidden_block_count_y
      - .offset:         88
        .size:           4
        .value_kind:     hidden_block_count_z
      - .offset:         92
        .size:           2
        .value_kind:     hidden_group_size_x
      - .offset:         94
        .size:           2
        .value_kind:     hidden_group_size_y
      - .offset:         96
        .size:           2
        .value_kind:     hidden_group_size_z
      - .offset:         98
        .size:           2
        .value_kind:     hidden_remainder_x
      - .offset:         100
        .size:           2
        .value_kind:     hidden_remainder_y
      - .offset:         102
        .size:           2
        .value_kind:     hidden_remainder_z
      - .offset:         120
        .size:           8
        .value_kind:     hidden_global_offset_x
      - .offset:         128
        .size:           8
        .value_kind:     hidden_global_offset_y
      - .offset:         136
        .size:           8
        .value_kind:     hidden_global_offset_z
      - .offset:         144
        .size:           2
        .value_kind:     hidden_grid_dims
    .group_segment_fixed_size: 17440
    .kernarg_segment_align: 8
    .kernarg_segment_size: 336
    .language:       OpenCL C
    .language_version:
      - 2
      - 0
    .max_flat_workgroup_size: 256
    .name:           _ZN7rocprim17ROCPRIM_400000_NS6detail17trampoline_kernelINS0_14default_configENS1_36segmented_radix_sort_config_selectorIhlEEZNS1_25segmented_radix_sort_implIS3_Lb0EPKhPhPKlPlN2at6native12_GLOBAL__N_18offset_tEEE10hipError_tPvRmT1_PNSt15iterator_traitsISK_E10value_typeET2_T3_PNSL_ISQ_E10value_typeET4_jRbjT5_SW_jjP12ihipStream_tbEUlT_E2_NS1_11comp_targetILNS1_3genE10ELNS1_11target_archE1201ELNS1_3gpuE5ELNS1_3repE0EEENS1_30default_config_static_selectorELNS0_4arch9wavefront6targetE0EEEvSK_
    .private_segment_fixed_size: 0
    .sgpr_count:     52
    .sgpr_spill_count: 0
    .symbol:         _ZN7rocprim17ROCPRIM_400000_NS6detail17trampoline_kernelINS0_14default_configENS1_36segmented_radix_sort_config_selectorIhlEEZNS1_25segmented_radix_sort_implIS3_Lb0EPKhPhPKlPlN2at6native12_GLOBAL__N_18offset_tEEE10hipError_tPvRmT1_PNSt15iterator_traitsISK_E10value_typeET2_T3_PNSL_ISQ_E10value_typeET4_jRbjT5_SW_jjP12ihipStream_tbEUlT_E2_NS1_11comp_targetILNS1_3genE10ELNS1_11target_archE1201ELNS1_3gpuE5ELNS1_3repE0EEENS1_30default_config_static_selectorELNS0_4arch9wavefront6targetE0EEEvSK_.kd
    .uniform_work_group_size: 1
    .uses_dynamic_stack: false
    .vgpr_count:     197
    .vgpr_spill_count: 0
    .wavefront_size: 32
    .workgroup_processor_mode: 1
  - .args:
      - .offset:         0
        .size:           80
        .value_kind:     by_value
    .group_segment_fixed_size: 0
    .kernarg_segment_align: 8
    .kernarg_segment_size: 80
    .language:       OpenCL C
    .language_version:
      - 2
      - 0
    .max_flat_workgroup_size: 128
    .name:           _ZN7rocprim17ROCPRIM_400000_NS6detail17trampoline_kernelINS0_14default_configENS1_36segmented_radix_sort_config_selectorIhlEEZNS1_25segmented_radix_sort_implIS3_Lb0EPKhPhPKlPlN2at6native12_GLOBAL__N_18offset_tEEE10hipError_tPvRmT1_PNSt15iterator_traitsISK_E10value_typeET2_T3_PNSL_ISQ_E10value_typeET4_jRbjT5_SW_jjP12ihipStream_tbEUlT_E2_NS1_11comp_targetILNS1_3genE10ELNS1_11target_archE1200ELNS1_3gpuE4ELNS1_3repE0EEENS1_30default_config_static_selectorELNS0_4arch9wavefront6targetE0EEEvSK_
    .private_segment_fixed_size: 0
    .sgpr_count:     0
    .sgpr_spill_count: 0
    .symbol:         _ZN7rocprim17ROCPRIM_400000_NS6detail17trampoline_kernelINS0_14default_configENS1_36segmented_radix_sort_config_selectorIhlEEZNS1_25segmented_radix_sort_implIS3_Lb0EPKhPhPKlPlN2at6native12_GLOBAL__N_18offset_tEEE10hipError_tPvRmT1_PNSt15iterator_traitsISK_E10value_typeET2_T3_PNSL_ISQ_E10value_typeET4_jRbjT5_SW_jjP12ihipStream_tbEUlT_E2_NS1_11comp_targetILNS1_3genE10ELNS1_11target_archE1200ELNS1_3gpuE4ELNS1_3repE0EEENS1_30default_config_static_selectorELNS0_4arch9wavefront6targetE0EEEvSK_.kd
    .uniform_work_group_size: 1
    .uses_dynamic_stack: false
    .vgpr_count:     0
    .vgpr_spill_count: 0
    .wavefront_size: 32
    .workgroup_processor_mode: 1
  - .args:
      - .offset:         0
        .size:           80
        .value_kind:     by_value
    .group_segment_fixed_size: 0
    .kernarg_segment_align: 8
    .kernarg_segment_size: 80
    .language:       OpenCL C
    .language_version:
      - 2
      - 0
    .max_flat_workgroup_size: 256
    .name:           _ZN7rocprim17ROCPRIM_400000_NS6detail17trampoline_kernelINS0_14default_configENS1_36segmented_radix_sort_config_selectorIhlEEZNS1_25segmented_radix_sort_implIS3_Lb0EPKhPhPKlPlN2at6native12_GLOBAL__N_18offset_tEEE10hipError_tPvRmT1_PNSt15iterator_traitsISK_E10value_typeET2_T3_PNSL_ISQ_E10value_typeET4_jRbjT5_SW_jjP12ihipStream_tbEUlT_E2_NS1_11comp_targetILNS1_3genE9ELNS1_11target_archE1100ELNS1_3gpuE3ELNS1_3repE0EEENS1_30default_config_static_selectorELNS0_4arch9wavefront6targetE0EEEvSK_
    .private_segment_fixed_size: 0
    .sgpr_count:     0
    .sgpr_spill_count: 0
    .symbol:         _ZN7rocprim17ROCPRIM_400000_NS6detail17trampoline_kernelINS0_14default_configENS1_36segmented_radix_sort_config_selectorIhlEEZNS1_25segmented_radix_sort_implIS3_Lb0EPKhPhPKlPlN2at6native12_GLOBAL__N_18offset_tEEE10hipError_tPvRmT1_PNSt15iterator_traitsISK_E10value_typeET2_T3_PNSL_ISQ_E10value_typeET4_jRbjT5_SW_jjP12ihipStream_tbEUlT_E2_NS1_11comp_targetILNS1_3genE9ELNS1_11target_archE1100ELNS1_3gpuE3ELNS1_3repE0EEENS1_30default_config_static_selectorELNS0_4arch9wavefront6targetE0EEEvSK_.kd
    .uniform_work_group_size: 1
    .uses_dynamic_stack: false
    .vgpr_count:     0
    .vgpr_spill_count: 0
    .wavefront_size: 32
    .workgroup_processor_mode: 1
  - .args:
      - .offset:         0
        .size:           80
        .value_kind:     by_value
    .group_segment_fixed_size: 0
    .kernarg_segment_align: 8
    .kernarg_segment_size: 80
    .language:       OpenCL C
    .language_version:
      - 2
      - 0
    .max_flat_workgroup_size: 256
    .name:           _ZN7rocprim17ROCPRIM_400000_NS6detail17trampoline_kernelINS0_14default_configENS1_36segmented_radix_sort_config_selectorIhlEEZNS1_25segmented_radix_sort_implIS3_Lb0EPKhPhPKlPlN2at6native12_GLOBAL__N_18offset_tEEE10hipError_tPvRmT1_PNSt15iterator_traitsISK_E10value_typeET2_T3_PNSL_ISQ_E10value_typeET4_jRbjT5_SW_jjP12ihipStream_tbEUlT_E2_NS1_11comp_targetILNS1_3genE8ELNS1_11target_archE1030ELNS1_3gpuE2ELNS1_3repE0EEENS1_30default_config_static_selectorELNS0_4arch9wavefront6targetE0EEEvSK_
    .private_segment_fixed_size: 0
    .sgpr_count:     0
    .sgpr_spill_count: 0
    .symbol:         _ZN7rocprim17ROCPRIM_400000_NS6detail17trampoline_kernelINS0_14default_configENS1_36segmented_radix_sort_config_selectorIhlEEZNS1_25segmented_radix_sort_implIS3_Lb0EPKhPhPKlPlN2at6native12_GLOBAL__N_18offset_tEEE10hipError_tPvRmT1_PNSt15iterator_traitsISK_E10value_typeET2_T3_PNSL_ISQ_E10value_typeET4_jRbjT5_SW_jjP12ihipStream_tbEUlT_E2_NS1_11comp_targetILNS1_3genE8ELNS1_11target_archE1030ELNS1_3gpuE2ELNS1_3repE0EEENS1_30default_config_static_selectorELNS0_4arch9wavefront6targetE0EEEvSK_.kd
    .uniform_work_group_size: 1
    .uses_dynamic_stack: false
    .vgpr_count:     0
    .vgpr_spill_count: 0
    .wavefront_size: 32
    .workgroup_processor_mode: 1
  - .args:
      - .address_space:  global
        .offset:         0
        .size:           8
        .value_kind:     global_buffer
      - .address_space:  global
        .offset:         8
        .size:           8
        .value_kind:     global_buffer
      - .address_space:  global
        .offset:         16
        .size:           8
        .value_kind:     global_buffer
      - .address_space:  global
        .offset:         24
        .size:           8
        .value_kind:     global_buffer
      - .offset:         32
        .size:           4
        .value_kind:     by_value
      - .offset:         36
        .size:           4
        .value_kind:     by_value
      - .offset:         40
        .size:           4
        .value_kind:     hidden_block_count_x
      - .offset:         44
        .size:           4
        .value_kind:     hidden_block_count_y
      - .offset:         48
        .size:           4
        .value_kind:     hidden_block_count_z
      - .offset:         52
        .size:           2
        .value_kind:     hidden_group_size_x
      - .offset:         54
        .size:           2
        .value_kind:     hidden_group_size_y
      - .offset:         56
        .size:           2
        .value_kind:     hidden_group_size_z
      - .offset:         58
        .size:           2
        .value_kind:     hidden_remainder_x
      - .offset:         60
        .size:           2
        .value_kind:     hidden_remainder_y
      - .offset:         62
        .size:           2
        .value_kind:     hidden_remainder_z
      - .offset:         80
        .size:           8
        .value_kind:     hidden_global_offset_x
      - .offset:         88
        .size:           8
        .value_kind:     hidden_global_offset_y
      - .offset:         96
        .size:           8
        .value_kind:     hidden_global_offset_z
      - .offset:         104
        .size:           2
        .value_kind:     hidden_grid_dims
    .group_segment_fixed_size: 0
    .kernarg_segment_align: 8
    .kernarg_segment_size: 296
    .language:       OpenCL C
    .language_version:
      - 2
      - 0
    .max_flat_workgroup_size: 1024
    .name:           _ZN2at6native12_GLOBAL__N_123sort_postprocess_kernelIaEEvPKT_PS3_PlPK15HIP_vector_typeIiLj2EEii
    .private_segment_fixed_size: 0
    .sgpr_count:     21
    .sgpr_spill_count: 0
    .symbol:         _ZN2at6native12_GLOBAL__N_123sort_postprocess_kernelIaEEvPKT_PS3_PlPK15HIP_vector_typeIiLj2EEii.kd
    .uniform_work_group_size: 1
    .uses_dynamic_stack: false
    .vgpr_count:     14
    .vgpr_spill_count: 0
    .wavefront_size: 32
    .workgroup_processor_mode: 1
  - .args:
      - .offset:         0
        .size:           176
        .value_kind:     by_value
    .group_segment_fixed_size: 0
    .kernarg_segment_align: 8
    .kernarg_segment_size: 176
    .language:       OpenCL C
    .language_version:
      - 2
      - 0
    .max_flat_workgroup_size: 256
    .name:           _ZN7rocprim17ROCPRIM_400000_NS6detail17trampoline_kernelINS0_13select_configILj256ELj13ELNS0_17block_load_methodE3ELS4_3ELS4_3ELNS0_20block_scan_algorithmE0ELj4294967295EEENS1_25partition_config_selectorILNS1_17partition_subalgoE4EjNS0_10empty_typeEbEEZZNS1_14partition_implILS8_4ELb0ES6_15HIP_vector_typeIjLj2EENS0_17counting_iteratorIjlEEPS9_SG_NS0_5tupleIJPjSI_NS0_16reverse_iteratorISI_EEEEENSH_IJSG_SG_SG_EEES9_SI_JZNS1_25segmented_radix_sort_implINS0_14default_configELb1EPKaPaPKlPlN2at6native12_GLOBAL__N_18offset_tEEE10hipError_tPvRmT1_PNSt15iterator_traitsIS12_E10value_typeET2_T3_PNS13_IS18_E10value_typeET4_jRbjT5_S1E_jjP12ihipStream_tbEUljE_ZNSN_ISO_Lb1ESQ_SR_ST_SU_SY_EESZ_S10_S11_S12_S16_S17_S18_S1B_S1C_jS1D_jS1E_S1E_jjS1G_bEUljE0_EEESZ_S10_S11_S18_S1C_S1E_T6_T7_T9_mT8_S1G_bDpT10_ENKUlT_T0_E_clISt17integral_constantIbLb0EES1U_EEDaS1P_S1Q_EUlS1P_E_NS1_11comp_targetILNS1_3genE0ELNS1_11target_archE4294967295ELNS1_3gpuE0ELNS1_3repE0EEENS1_30default_config_static_selectorELNS0_4arch9wavefront6targetE0EEEvS12_
    .private_segment_fixed_size: 0
    .sgpr_count:     0
    .sgpr_spill_count: 0
    .symbol:         _ZN7rocprim17ROCPRIM_400000_NS6detail17trampoline_kernelINS0_13select_configILj256ELj13ELNS0_17block_load_methodE3ELS4_3ELS4_3ELNS0_20block_scan_algorithmE0ELj4294967295EEENS1_25partition_config_selectorILNS1_17partition_subalgoE4EjNS0_10empty_typeEbEEZZNS1_14partition_implILS8_4ELb0ES6_15HIP_vector_typeIjLj2EENS0_17counting_iteratorIjlEEPS9_SG_NS0_5tupleIJPjSI_NS0_16reverse_iteratorISI_EEEEENSH_IJSG_SG_SG_EEES9_SI_JZNS1_25segmented_radix_sort_implINS0_14default_configELb1EPKaPaPKlPlN2at6native12_GLOBAL__N_18offset_tEEE10hipError_tPvRmT1_PNSt15iterator_traitsIS12_E10value_typeET2_T3_PNS13_IS18_E10value_typeET4_jRbjT5_S1E_jjP12ihipStream_tbEUljE_ZNSN_ISO_Lb1ESQ_SR_ST_SU_SY_EESZ_S10_S11_S12_S16_S17_S18_S1B_S1C_jS1D_jS1E_S1E_jjS1G_bEUljE0_EEESZ_S10_S11_S18_S1C_S1E_T6_T7_T9_mT8_S1G_bDpT10_ENKUlT_T0_E_clISt17integral_constantIbLb0EES1U_EEDaS1P_S1Q_EUlS1P_E_NS1_11comp_targetILNS1_3genE0ELNS1_11target_archE4294967295ELNS1_3gpuE0ELNS1_3repE0EEENS1_30default_config_static_selectorELNS0_4arch9wavefront6targetE0EEEvS12_.kd
    .uniform_work_group_size: 1
    .uses_dynamic_stack: false
    .vgpr_count:     0
    .vgpr_spill_count: 0
    .wavefront_size: 32
    .workgroup_processor_mode: 1
  - .args:
      - .offset:         0
        .size:           176
        .value_kind:     by_value
    .group_segment_fixed_size: 0
    .kernarg_segment_align: 8
    .kernarg_segment_size: 176
    .language:       OpenCL C
    .language_version:
      - 2
      - 0
    .max_flat_workgroup_size: 256
    .name:           _ZN7rocprim17ROCPRIM_400000_NS6detail17trampoline_kernelINS0_13select_configILj256ELj13ELNS0_17block_load_methodE3ELS4_3ELS4_3ELNS0_20block_scan_algorithmE0ELj4294967295EEENS1_25partition_config_selectorILNS1_17partition_subalgoE4EjNS0_10empty_typeEbEEZZNS1_14partition_implILS8_4ELb0ES6_15HIP_vector_typeIjLj2EENS0_17counting_iteratorIjlEEPS9_SG_NS0_5tupleIJPjSI_NS0_16reverse_iteratorISI_EEEEENSH_IJSG_SG_SG_EEES9_SI_JZNS1_25segmented_radix_sort_implINS0_14default_configELb1EPKaPaPKlPlN2at6native12_GLOBAL__N_18offset_tEEE10hipError_tPvRmT1_PNSt15iterator_traitsIS12_E10value_typeET2_T3_PNS13_IS18_E10value_typeET4_jRbjT5_S1E_jjP12ihipStream_tbEUljE_ZNSN_ISO_Lb1ESQ_SR_ST_SU_SY_EESZ_S10_S11_S12_S16_S17_S18_S1B_S1C_jS1D_jS1E_S1E_jjS1G_bEUljE0_EEESZ_S10_S11_S18_S1C_S1E_T6_T7_T9_mT8_S1G_bDpT10_ENKUlT_T0_E_clISt17integral_constantIbLb0EES1U_EEDaS1P_S1Q_EUlS1P_E_NS1_11comp_targetILNS1_3genE5ELNS1_11target_archE942ELNS1_3gpuE9ELNS1_3repE0EEENS1_30default_config_static_selectorELNS0_4arch9wavefront6targetE0EEEvS12_
    .private_segment_fixed_size: 0
    .sgpr_count:     0
    .sgpr_spill_count: 0
    .symbol:         _ZN7rocprim17ROCPRIM_400000_NS6detail17trampoline_kernelINS0_13select_configILj256ELj13ELNS0_17block_load_methodE3ELS4_3ELS4_3ELNS0_20block_scan_algorithmE0ELj4294967295EEENS1_25partition_config_selectorILNS1_17partition_subalgoE4EjNS0_10empty_typeEbEEZZNS1_14partition_implILS8_4ELb0ES6_15HIP_vector_typeIjLj2EENS0_17counting_iteratorIjlEEPS9_SG_NS0_5tupleIJPjSI_NS0_16reverse_iteratorISI_EEEEENSH_IJSG_SG_SG_EEES9_SI_JZNS1_25segmented_radix_sort_implINS0_14default_configELb1EPKaPaPKlPlN2at6native12_GLOBAL__N_18offset_tEEE10hipError_tPvRmT1_PNSt15iterator_traitsIS12_E10value_typeET2_T3_PNS13_IS18_E10value_typeET4_jRbjT5_S1E_jjP12ihipStream_tbEUljE_ZNSN_ISO_Lb1ESQ_SR_ST_SU_SY_EESZ_S10_S11_S12_S16_S17_S18_S1B_S1C_jS1D_jS1E_S1E_jjS1G_bEUljE0_EEESZ_S10_S11_S18_S1C_S1E_T6_T7_T9_mT8_S1G_bDpT10_ENKUlT_T0_E_clISt17integral_constantIbLb0EES1U_EEDaS1P_S1Q_EUlS1P_E_NS1_11comp_targetILNS1_3genE5ELNS1_11target_archE942ELNS1_3gpuE9ELNS1_3repE0EEENS1_30default_config_static_selectorELNS0_4arch9wavefront6targetE0EEEvS12_.kd
    .uniform_work_group_size: 1
    .uses_dynamic_stack: false
    .vgpr_count:     0
    .vgpr_spill_count: 0
    .wavefront_size: 32
    .workgroup_processor_mode: 1
  - .args:
      - .offset:         0
        .size:           176
        .value_kind:     by_value
    .group_segment_fixed_size: 0
    .kernarg_segment_align: 8
    .kernarg_segment_size: 176
    .language:       OpenCL C
    .language_version:
      - 2
      - 0
    .max_flat_workgroup_size: 256
    .name:           _ZN7rocprim17ROCPRIM_400000_NS6detail17trampoline_kernelINS0_13select_configILj256ELj13ELNS0_17block_load_methodE3ELS4_3ELS4_3ELNS0_20block_scan_algorithmE0ELj4294967295EEENS1_25partition_config_selectorILNS1_17partition_subalgoE4EjNS0_10empty_typeEbEEZZNS1_14partition_implILS8_4ELb0ES6_15HIP_vector_typeIjLj2EENS0_17counting_iteratorIjlEEPS9_SG_NS0_5tupleIJPjSI_NS0_16reverse_iteratorISI_EEEEENSH_IJSG_SG_SG_EEES9_SI_JZNS1_25segmented_radix_sort_implINS0_14default_configELb1EPKaPaPKlPlN2at6native12_GLOBAL__N_18offset_tEEE10hipError_tPvRmT1_PNSt15iterator_traitsIS12_E10value_typeET2_T3_PNS13_IS18_E10value_typeET4_jRbjT5_S1E_jjP12ihipStream_tbEUljE_ZNSN_ISO_Lb1ESQ_SR_ST_SU_SY_EESZ_S10_S11_S12_S16_S17_S18_S1B_S1C_jS1D_jS1E_S1E_jjS1G_bEUljE0_EEESZ_S10_S11_S18_S1C_S1E_T6_T7_T9_mT8_S1G_bDpT10_ENKUlT_T0_E_clISt17integral_constantIbLb0EES1U_EEDaS1P_S1Q_EUlS1P_E_NS1_11comp_targetILNS1_3genE4ELNS1_11target_archE910ELNS1_3gpuE8ELNS1_3repE0EEENS1_30default_config_static_selectorELNS0_4arch9wavefront6targetE0EEEvS12_
    .private_segment_fixed_size: 0
    .sgpr_count:     0
    .sgpr_spill_count: 0
    .symbol:         _ZN7rocprim17ROCPRIM_400000_NS6detail17trampoline_kernelINS0_13select_configILj256ELj13ELNS0_17block_load_methodE3ELS4_3ELS4_3ELNS0_20block_scan_algorithmE0ELj4294967295EEENS1_25partition_config_selectorILNS1_17partition_subalgoE4EjNS0_10empty_typeEbEEZZNS1_14partition_implILS8_4ELb0ES6_15HIP_vector_typeIjLj2EENS0_17counting_iteratorIjlEEPS9_SG_NS0_5tupleIJPjSI_NS0_16reverse_iteratorISI_EEEEENSH_IJSG_SG_SG_EEES9_SI_JZNS1_25segmented_radix_sort_implINS0_14default_configELb1EPKaPaPKlPlN2at6native12_GLOBAL__N_18offset_tEEE10hipError_tPvRmT1_PNSt15iterator_traitsIS12_E10value_typeET2_T3_PNS13_IS18_E10value_typeET4_jRbjT5_S1E_jjP12ihipStream_tbEUljE_ZNSN_ISO_Lb1ESQ_SR_ST_SU_SY_EESZ_S10_S11_S12_S16_S17_S18_S1B_S1C_jS1D_jS1E_S1E_jjS1G_bEUljE0_EEESZ_S10_S11_S18_S1C_S1E_T6_T7_T9_mT8_S1G_bDpT10_ENKUlT_T0_E_clISt17integral_constantIbLb0EES1U_EEDaS1P_S1Q_EUlS1P_E_NS1_11comp_targetILNS1_3genE4ELNS1_11target_archE910ELNS1_3gpuE8ELNS1_3repE0EEENS1_30default_config_static_selectorELNS0_4arch9wavefront6targetE0EEEvS12_.kd
    .uniform_work_group_size: 1
    .uses_dynamic_stack: false
    .vgpr_count:     0
    .vgpr_spill_count: 0
    .wavefront_size: 32
    .workgroup_processor_mode: 1
  - .args:
      - .offset:         0
        .size:           176
        .value_kind:     by_value
    .group_segment_fixed_size: 0
    .kernarg_segment_align: 8
    .kernarg_segment_size: 176
    .language:       OpenCL C
    .language_version:
      - 2
      - 0
    .max_flat_workgroup_size: 256
    .name:           _ZN7rocprim17ROCPRIM_400000_NS6detail17trampoline_kernelINS0_13select_configILj256ELj13ELNS0_17block_load_methodE3ELS4_3ELS4_3ELNS0_20block_scan_algorithmE0ELj4294967295EEENS1_25partition_config_selectorILNS1_17partition_subalgoE4EjNS0_10empty_typeEbEEZZNS1_14partition_implILS8_4ELb0ES6_15HIP_vector_typeIjLj2EENS0_17counting_iteratorIjlEEPS9_SG_NS0_5tupleIJPjSI_NS0_16reverse_iteratorISI_EEEEENSH_IJSG_SG_SG_EEES9_SI_JZNS1_25segmented_radix_sort_implINS0_14default_configELb1EPKaPaPKlPlN2at6native12_GLOBAL__N_18offset_tEEE10hipError_tPvRmT1_PNSt15iterator_traitsIS12_E10value_typeET2_T3_PNS13_IS18_E10value_typeET4_jRbjT5_S1E_jjP12ihipStream_tbEUljE_ZNSN_ISO_Lb1ESQ_SR_ST_SU_SY_EESZ_S10_S11_S12_S16_S17_S18_S1B_S1C_jS1D_jS1E_S1E_jjS1G_bEUljE0_EEESZ_S10_S11_S18_S1C_S1E_T6_T7_T9_mT8_S1G_bDpT10_ENKUlT_T0_E_clISt17integral_constantIbLb0EES1U_EEDaS1P_S1Q_EUlS1P_E_NS1_11comp_targetILNS1_3genE3ELNS1_11target_archE908ELNS1_3gpuE7ELNS1_3repE0EEENS1_30default_config_static_selectorELNS0_4arch9wavefront6targetE0EEEvS12_
    .private_segment_fixed_size: 0
    .sgpr_count:     0
    .sgpr_spill_count: 0
    .symbol:         _ZN7rocprim17ROCPRIM_400000_NS6detail17trampoline_kernelINS0_13select_configILj256ELj13ELNS0_17block_load_methodE3ELS4_3ELS4_3ELNS0_20block_scan_algorithmE0ELj4294967295EEENS1_25partition_config_selectorILNS1_17partition_subalgoE4EjNS0_10empty_typeEbEEZZNS1_14partition_implILS8_4ELb0ES6_15HIP_vector_typeIjLj2EENS0_17counting_iteratorIjlEEPS9_SG_NS0_5tupleIJPjSI_NS0_16reverse_iteratorISI_EEEEENSH_IJSG_SG_SG_EEES9_SI_JZNS1_25segmented_radix_sort_implINS0_14default_configELb1EPKaPaPKlPlN2at6native12_GLOBAL__N_18offset_tEEE10hipError_tPvRmT1_PNSt15iterator_traitsIS12_E10value_typeET2_T3_PNS13_IS18_E10value_typeET4_jRbjT5_S1E_jjP12ihipStream_tbEUljE_ZNSN_ISO_Lb1ESQ_SR_ST_SU_SY_EESZ_S10_S11_S12_S16_S17_S18_S1B_S1C_jS1D_jS1E_S1E_jjS1G_bEUljE0_EEESZ_S10_S11_S18_S1C_S1E_T6_T7_T9_mT8_S1G_bDpT10_ENKUlT_T0_E_clISt17integral_constantIbLb0EES1U_EEDaS1P_S1Q_EUlS1P_E_NS1_11comp_targetILNS1_3genE3ELNS1_11target_archE908ELNS1_3gpuE7ELNS1_3repE0EEENS1_30default_config_static_selectorELNS0_4arch9wavefront6targetE0EEEvS12_.kd
    .uniform_work_group_size: 1
    .uses_dynamic_stack: false
    .vgpr_count:     0
    .vgpr_spill_count: 0
    .wavefront_size: 32
    .workgroup_processor_mode: 1
  - .args:
      - .offset:         0
        .size:           176
        .value_kind:     by_value
    .group_segment_fixed_size: 0
    .kernarg_segment_align: 8
    .kernarg_segment_size: 176
    .language:       OpenCL C
    .language_version:
      - 2
      - 0
    .max_flat_workgroup_size: 256
    .name:           _ZN7rocprim17ROCPRIM_400000_NS6detail17trampoline_kernelINS0_13select_configILj256ELj13ELNS0_17block_load_methodE3ELS4_3ELS4_3ELNS0_20block_scan_algorithmE0ELj4294967295EEENS1_25partition_config_selectorILNS1_17partition_subalgoE4EjNS0_10empty_typeEbEEZZNS1_14partition_implILS8_4ELb0ES6_15HIP_vector_typeIjLj2EENS0_17counting_iteratorIjlEEPS9_SG_NS0_5tupleIJPjSI_NS0_16reverse_iteratorISI_EEEEENSH_IJSG_SG_SG_EEES9_SI_JZNS1_25segmented_radix_sort_implINS0_14default_configELb1EPKaPaPKlPlN2at6native12_GLOBAL__N_18offset_tEEE10hipError_tPvRmT1_PNSt15iterator_traitsIS12_E10value_typeET2_T3_PNS13_IS18_E10value_typeET4_jRbjT5_S1E_jjP12ihipStream_tbEUljE_ZNSN_ISO_Lb1ESQ_SR_ST_SU_SY_EESZ_S10_S11_S12_S16_S17_S18_S1B_S1C_jS1D_jS1E_S1E_jjS1G_bEUljE0_EEESZ_S10_S11_S18_S1C_S1E_T6_T7_T9_mT8_S1G_bDpT10_ENKUlT_T0_E_clISt17integral_constantIbLb0EES1U_EEDaS1P_S1Q_EUlS1P_E_NS1_11comp_targetILNS1_3genE2ELNS1_11target_archE906ELNS1_3gpuE6ELNS1_3repE0EEENS1_30default_config_static_selectorELNS0_4arch9wavefront6targetE0EEEvS12_
    .private_segment_fixed_size: 0
    .sgpr_count:     0
    .sgpr_spill_count: 0
    .symbol:         _ZN7rocprim17ROCPRIM_400000_NS6detail17trampoline_kernelINS0_13select_configILj256ELj13ELNS0_17block_load_methodE3ELS4_3ELS4_3ELNS0_20block_scan_algorithmE0ELj4294967295EEENS1_25partition_config_selectorILNS1_17partition_subalgoE4EjNS0_10empty_typeEbEEZZNS1_14partition_implILS8_4ELb0ES6_15HIP_vector_typeIjLj2EENS0_17counting_iteratorIjlEEPS9_SG_NS0_5tupleIJPjSI_NS0_16reverse_iteratorISI_EEEEENSH_IJSG_SG_SG_EEES9_SI_JZNS1_25segmented_radix_sort_implINS0_14default_configELb1EPKaPaPKlPlN2at6native12_GLOBAL__N_18offset_tEEE10hipError_tPvRmT1_PNSt15iterator_traitsIS12_E10value_typeET2_T3_PNS13_IS18_E10value_typeET4_jRbjT5_S1E_jjP12ihipStream_tbEUljE_ZNSN_ISO_Lb1ESQ_SR_ST_SU_SY_EESZ_S10_S11_S12_S16_S17_S18_S1B_S1C_jS1D_jS1E_S1E_jjS1G_bEUljE0_EEESZ_S10_S11_S18_S1C_S1E_T6_T7_T9_mT8_S1G_bDpT10_ENKUlT_T0_E_clISt17integral_constantIbLb0EES1U_EEDaS1P_S1Q_EUlS1P_E_NS1_11comp_targetILNS1_3genE2ELNS1_11target_archE906ELNS1_3gpuE6ELNS1_3repE0EEENS1_30default_config_static_selectorELNS0_4arch9wavefront6targetE0EEEvS12_.kd
    .uniform_work_group_size: 1
    .uses_dynamic_stack: false
    .vgpr_count:     0
    .vgpr_spill_count: 0
    .wavefront_size: 32
    .workgroup_processor_mode: 1
  - .args:
      - .offset:         0
        .size:           176
        .value_kind:     by_value
    .group_segment_fixed_size: 13328
    .kernarg_segment_align: 8
    .kernarg_segment_size: 176
    .language:       OpenCL C
    .language_version:
      - 2
      - 0
    .max_flat_workgroup_size: 256
    .name:           _ZN7rocprim17ROCPRIM_400000_NS6detail17trampoline_kernelINS0_13select_configILj256ELj13ELNS0_17block_load_methodE3ELS4_3ELS4_3ELNS0_20block_scan_algorithmE0ELj4294967295EEENS1_25partition_config_selectorILNS1_17partition_subalgoE4EjNS0_10empty_typeEbEEZZNS1_14partition_implILS8_4ELb0ES6_15HIP_vector_typeIjLj2EENS0_17counting_iteratorIjlEEPS9_SG_NS0_5tupleIJPjSI_NS0_16reverse_iteratorISI_EEEEENSH_IJSG_SG_SG_EEES9_SI_JZNS1_25segmented_radix_sort_implINS0_14default_configELb1EPKaPaPKlPlN2at6native12_GLOBAL__N_18offset_tEEE10hipError_tPvRmT1_PNSt15iterator_traitsIS12_E10value_typeET2_T3_PNS13_IS18_E10value_typeET4_jRbjT5_S1E_jjP12ihipStream_tbEUljE_ZNSN_ISO_Lb1ESQ_SR_ST_SU_SY_EESZ_S10_S11_S12_S16_S17_S18_S1B_S1C_jS1D_jS1E_S1E_jjS1G_bEUljE0_EEESZ_S10_S11_S18_S1C_S1E_T6_T7_T9_mT8_S1G_bDpT10_ENKUlT_T0_E_clISt17integral_constantIbLb0EES1U_EEDaS1P_S1Q_EUlS1P_E_NS1_11comp_targetILNS1_3genE10ELNS1_11target_archE1200ELNS1_3gpuE4ELNS1_3repE0EEENS1_30default_config_static_selectorELNS0_4arch9wavefront6targetE0EEEvS12_
    .private_segment_fixed_size: 0
    .sgpr_count:     60
    .sgpr_spill_count: 0
    .symbol:         _ZN7rocprim17ROCPRIM_400000_NS6detail17trampoline_kernelINS0_13select_configILj256ELj13ELNS0_17block_load_methodE3ELS4_3ELS4_3ELNS0_20block_scan_algorithmE0ELj4294967295EEENS1_25partition_config_selectorILNS1_17partition_subalgoE4EjNS0_10empty_typeEbEEZZNS1_14partition_implILS8_4ELb0ES6_15HIP_vector_typeIjLj2EENS0_17counting_iteratorIjlEEPS9_SG_NS0_5tupleIJPjSI_NS0_16reverse_iteratorISI_EEEEENSH_IJSG_SG_SG_EEES9_SI_JZNS1_25segmented_radix_sort_implINS0_14default_configELb1EPKaPaPKlPlN2at6native12_GLOBAL__N_18offset_tEEE10hipError_tPvRmT1_PNSt15iterator_traitsIS12_E10value_typeET2_T3_PNS13_IS18_E10value_typeET4_jRbjT5_S1E_jjP12ihipStream_tbEUljE_ZNSN_ISO_Lb1ESQ_SR_ST_SU_SY_EESZ_S10_S11_S12_S16_S17_S18_S1B_S1C_jS1D_jS1E_S1E_jjS1G_bEUljE0_EEESZ_S10_S11_S18_S1C_S1E_T6_T7_T9_mT8_S1G_bDpT10_ENKUlT_T0_E_clISt17integral_constantIbLb0EES1U_EEDaS1P_S1Q_EUlS1P_E_NS1_11comp_targetILNS1_3genE10ELNS1_11target_archE1200ELNS1_3gpuE4ELNS1_3repE0EEENS1_30default_config_static_selectorELNS0_4arch9wavefront6targetE0EEEvS12_.kd
    .uniform_work_group_size: 1
    .uses_dynamic_stack: false
    .vgpr_count:     93
    .vgpr_spill_count: 0
    .wavefront_size: 32
    .workgroup_processor_mode: 1
  - .args:
      - .offset:         0
        .size:           176
        .value_kind:     by_value
    .group_segment_fixed_size: 0
    .kernarg_segment_align: 8
    .kernarg_segment_size: 176
    .language:       OpenCL C
    .language_version:
      - 2
      - 0
    .max_flat_workgroup_size: 256
    .name:           _ZN7rocprim17ROCPRIM_400000_NS6detail17trampoline_kernelINS0_13select_configILj256ELj13ELNS0_17block_load_methodE3ELS4_3ELS4_3ELNS0_20block_scan_algorithmE0ELj4294967295EEENS1_25partition_config_selectorILNS1_17partition_subalgoE4EjNS0_10empty_typeEbEEZZNS1_14partition_implILS8_4ELb0ES6_15HIP_vector_typeIjLj2EENS0_17counting_iteratorIjlEEPS9_SG_NS0_5tupleIJPjSI_NS0_16reverse_iteratorISI_EEEEENSH_IJSG_SG_SG_EEES9_SI_JZNS1_25segmented_radix_sort_implINS0_14default_configELb1EPKaPaPKlPlN2at6native12_GLOBAL__N_18offset_tEEE10hipError_tPvRmT1_PNSt15iterator_traitsIS12_E10value_typeET2_T3_PNS13_IS18_E10value_typeET4_jRbjT5_S1E_jjP12ihipStream_tbEUljE_ZNSN_ISO_Lb1ESQ_SR_ST_SU_SY_EESZ_S10_S11_S12_S16_S17_S18_S1B_S1C_jS1D_jS1E_S1E_jjS1G_bEUljE0_EEESZ_S10_S11_S18_S1C_S1E_T6_T7_T9_mT8_S1G_bDpT10_ENKUlT_T0_E_clISt17integral_constantIbLb0EES1U_EEDaS1P_S1Q_EUlS1P_E_NS1_11comp_targetILNS1_3genE9ELNS1_11target_archE1100ELNS1_3gpuE3ELNS1_3repE0EEENS1_30default_config_static_selectorELNS0_4arch9wavefront6targetE0EEEvS12_
    .private_segment_fixed_size: 0
    .sgpr_count:     0
    .sgpr_spill_count: 0
    .symbol:         _ZN7rocprim17ROCPRIM_400000_NS6detail17trampoline_kernelINS0_13select_configILj256ELj13ELNS0_17block_load_methodE3ELS4_3ELS4_3ELNS0_20block_scan_algorithmE0ELj4294967295EEENS1_25partition_config_selectorILNS1_17partition_subalgoE4EjNS0_10empty_typeEbEEZZNS1_14partition_implILS8_4ELb0ES6_15HIP_vector_typeIjLj2EENS0_17counting_iteratorIjlEEPS9_SG_NS0_5tupleIJPjSI_NS0_16reverse_iteratorISI_EEEEENSH_IJSG_SG_SG_EEES9_SI_JZNS1_25segmented_radix_sort_implINS0_14default_configELb1EPKaPaPKlPlN2at6native12_GLOBAL__N_18offset_tEEE10hipError_tPvRmT1_PNSt15iterator_traitsIS12_E10value_typeET2_T3_PNS13_IS18_E10value_typeET4_jRbjT5_S1E_jjP12ihipStream_tbEUljE_ZNSN_ISO_Lb1ESQ_SR_ST_SU_SY_EESZ_S10_S11_S12_S16_S17_S18_S1B_S1C_jS1D_jS1E_S1E_jjS1G_bEUljE0_EEESZ_S10_S11_S18_S1C_S1E_T6_T7_T9_mT8_S1G_bDpT10_ENKUlT_T0_E_clISt17integral_constantIbLb0EES1U_EEDaS1P_S1Q_EUlS1P_E_NS1_11comp_targetILNS1_3genE9ELNS1_11target_archE1100ELNS1_3gpuE3ELNS1_3repE0EEENS1_30default_config_static_selectorELNS0_4arch9wavefront6targetE0EEEvS12_.kd
    .uniform_work_group_size: 1
    .uses_dynamic_stack: false
    .vgpr_count:     0
    .vgpr_spill_count: 0
    .wavefront_size: 32
    .workgroup_processor_mode: 1
  - .args:
      - .offset:         0
        .size:           176
        .value_kind:     by_value
    .group_segment_fixed_size: 0
    .kernarg_segment_align: 8
    .kernarg_segment_size: 176
    .language:       OpenCL C
    .language_version:
      - 2
      - 0
    .max_flat_workgroup_size: 256
    .name:           _ZN7rocprim17ROCPRIM_400000_NS6detail17trampoline_kernelINS0_13select_configILj256ELj13ELNS0_17block_load_methodE3ELS4_3ELS4_3ELNS0_20block_scan_algorithmE0ELj4294967295EEENS1_25partition_config_selectorILNS1_17partition_subalgoE4EjNS0_10empty_typeEbEEZZNS1_14partition_implILS8_4ELb0ES6_15HIP_vector_typeIjLj2EENS0_17counting_iteratorIjlEEPS9_SG_NS0_5tupleIJPjSI_NS0_16reverse_iteratorISI_EEEEENSH_IJSG_SG_SG_EEES9_SI_JZNS1_25segmented_radix_sort_implINS0_14default_configELb1EPKaPaPKlPlN2at6native12_GLOBAL__N_18offset_tEEE10hipError_tPvRmT1_PNSt15iterator_traitsIS12_E10value_typeET2_T3_PNS13_IS18_E10value_typeET4_jRbjT5_S1E_jjP12ihipStream_tbEUljE_ZNSN_ISO_Lb1ESQ_SR_ST_SU_SY_EESZ_S10_S11_S12_S16_S17_S18_S1B_S1C_jS1D_jS1E_S1E_jjS1G_bEUljE0_EEESZ_S10_S11_S18_S1C_S1E_T6_T7_T9_mT8_S1G_bDpT10_ENKUlT_T0_E_clISt17integral_constantIbLb0EES1U_EEDaS1P_S1Q_EUlS1P_E_NS1_11comp_targetILNS1_3genE8ELNS1_11target_archE1030ELNS1_3gpuE2ELNS1_3repE0EEENS1_30default_config_static_selectorELNS0_4arch9wavefront6targetE0EEEvS12_
    .private_segment_fixed_size: 0
    .sgpr_count:     0
    .sgpr_spill_count: 0
    .symbol:         _ZN7rocprim17ROCPRIM_400000_NS6detail17trampoline_kernelINS0_13select_configILj256ELj13ELNS0_17block_load_methodE3ELS4_3ELS4_3ELNS0_20block_scan_algorithmE0ELj4294967295EEENS1_25partition_config_selectorILNS1_17partition_subalgoE4EjNS0_10empty_typeEbEEZZNS1_14partition_implILS8_4ELb0ES6_15HIP_vector_typeIjLj2EENS0_17counting_iteratorIjlEEPS9_SG_NS0_5tupleIJPjSI_NS0_16reverse_iteratorISI_EEEEENSH_IJSG_SG_SG_EEES9_SI_JZNS1_25segmented_radix_sort_implINS0_14default_configELb1EPKaPaPKlPlN2at6native12_GLOBAL__N_18offset_tEEE10hipError_tPvRmT1_PNSt15iterator_traitsIS12_E10value_typeET2_T3_PNS13_IS18_E10value_typeET4_jRbjT5_S1E_jjP12ihipStream_tbEUljE_ZNSN_ISO_Lb1ESQ_SR_ST_SU_SY_EESZ_S10_S11_S12_S16_S17_S18_S1B_S1C_jS1D_jS1E_S1E_jjS1G_bEUljE0_EEESZ_S10_S11_S18_S1C_S1E_T6_T7_T9_mT8_S1G_bDpT10_ENKUlT_T0_E_clISt17integral_constantIbLb0EES1U_EEDaS1P_S1Q_EUlS1P_E_NS1_11comp_targetILNS1_3genE8ELNS1_11target_archE1030ELNS1_3gpuE2ELNS1_3repE0EEENS1_30default_config_static_selectorELNS0_4arch9wavefront6targetE0EEEvS12_.kd
    .uniform_work_group_size: 1
    .uses_dynamic_stack: false
    .vgpr_count:     0
    .vgpr_spill_count: 0
    .wavefront_size: 32
    .workgroup_processor_mode: 1
  - .args:
      - .offset:         0
        .size:           184
        .value_kind:     by_value
    .group_segment_fixed_size: 0
    .kernarg_segment_align: 8
    .kernarg_segment_size: 184
    .language:       OpenCL C
    .language_version:
      - 2
      - 0
    .max_flat_workgroup_size: 256
    .name:           _ZN7rocprim17ROCPRIM_400000_NS6detail17trampoline_kernelINS0_13select_configILj256ELj13ELNS0_17block_load_methodE3ELS4_3ELS4_3ELNS0_20block_scan_algorithmE0ELj4294967295EEENS1_25partition_config_selectorILNS1_17partition_subalgoE4EjNS0_10empty_typeEbEEZZNS1_14partition_implILS8_4ELb0ES6_15HIP_vector_typeIjLj2EENS0_17counting_iteratorIjlEEPS9_SG_NS0_5tupleIJPjSI_NS0_16reverse_iteratorISI_EEEEENSH_IJSG_SG_SG_EEES9_SI_JZNS1_25segmented_radix_sort_implINS0_14default_configELb1EPKaPaPKlPlN2at6native12_GLOBAL__N_18offset_tEEE10hipError_tPvRmT1_PNSt15iterator_traitsIS12_E10value_typeET2_T3_PNS13_IS18_E10value_typeET4_jRbjT5_S1E_jjP12ihipStream_tbEUljE_ZNSN_ISO_Lb1ESQ_SR_ST_SU_SY_EESZ_S10_S11_S12_S16_S17_S18_S1B_S1C_jS1D_jS1E_S1E_jjS1G_bEUljE0_EEESZ_S10_S11_S18_S1C_S1E_T6_T7_T9_mT8_S1G_bDpT10_ENKUlT_T0_E_clISt17integral_constantIbLb1EES1U_EEDaS1P_S1Q_EUlS1P_E_NS1_11comp_targetILNS1_3genE0ELNS1_11target_archE4294967295ELNS1_3gpuE0ELNS1_3repE0EEENS1_30default_config_static_selectorELNS0_4arch9wavefront6targetE0EEEvS12_
    .private_segment_fixed_size: 0
    .sgpr_count:     0
    .sgpr_spill_count: 0
    .symbol:         _ZN7rocprim17ROCPRIM_400000_NS6detail17trampoline_kernelINS0_13select_configILj256ELj13ELNS0_17block_load_methodE3ELS4_3ELS4_3ELNS0_20block_scan_algorithmE0ELj4294967295EEENS1_25partition_config_selectorILNS1_17partition_subalgoE4EjNS0_10empty_typeEbEEZZNS1_14partition_implILS8_4ELb0ES6_15HIP_vector_typeIjLj2EENS0_17counting_iteratorIjlEEPS9_SG_NS0_5tupleIJPjSI_NS0_16reverse_iteratorISI_EEEEENSH_IJSG_SG_SG_EEES9_SI_JZNS1_25segmented_radix_sort_implINS0_14default_configELb1EPKaPaPKlPlN2at6native12_GLOBAL__N_18offset_tEEE10hipError_tPvRmT1_PNSt15iterator_traitsIS12_E10value_typeET2_T3_PNS13_IS18_E10value_typeET4_jRbjT5_S1E_jjP12ihipStream_tbEUljE_ZNSN_ISO_Lb1ESQ_SR_ST_SU_SY_EESZ_S10_S11_S12_S16_S17_S18_S1B_S1C_jS1D_jS1E_S1E_jjS1G_bEUljE0_EEESZ_S10_S11_S18_S1C_S1E_T6_T7_T9_mT8_S1G_bDpT10_ENKUlT_T0_E_clISt17integral_constantIbLb1EES1U_EEDaS1P_S1Q_EUlS1P_E_NS1_11comp_targetILNS1_3genE0ELNS1_11target_archE4294967295ELNS1_3gpuE0ELNS1_3repE0EEENS1_30default_config_static_selectorELNS0_4arch9wavefront6targetE0EEEvS12_.kd
    .uniform_work_group_size: 1
    .uses_dynamic_stack: false
    .vgpr_count:     0
    .vgpr_spill_count: 0
    .wavefront_size: 32
    .workgroup_processor_mode: 1
  - .args:
      - .offset:         0
        .size:           184
        .value_kind:     by_value
    .group_segment_fixed_size: 0
    .kernarg_segment_align: 8
    .kernarg_segment_size: 184
    .language:       OpenCL C
    .language_version:
      - 2
      - 0
    .max_flat_workgroup_size: 256
    .name:           _ZN7rocprim17ROCPRIM_400000_NS6detail17trampoline_kernelINS0_13select_configILj256ELj13ELNS0_17block_load_methodE3ELS4_3ELS4_3ELNS0_20block_scan_algorithmE0ELj4294967295EEENS1_25partition_config_selectorILNS1_17partition_subalgoE4EjNS0_10empty_typeEbEEZZNS1_14partition_implILS8_4ELb0ES6_15HIP_vector_typeIjLj2EENS0_17counting_iteratorIjlEEPS9_SG_NS0_5tupleIJPjSI_NS0_16reverse_iteratorISI_EEEEENSH_IJSG_SG_SG_EEES9_SI_JZNS1_25segmented_radix_sort_implINS0_14default_configELb1EPKaPaPKlPlN2at6native12_GLOBAL__N_18offset_tEEE10hipError_tPvRmT1_PNSt15iterator_traitsIS12_E10value_typeET2_T3_PNS13_IS18_E10value_typeET4_jRbjT5_S1E_jjP12ihipStream_tbEUljE_ZNSN_ISO_Lb1ESQ_SR_ST_SU_SY_EESZ_S10_S11_S12_S16_S17_S18_S1B_S1C_jS1D_jS1E_S1E_jjS1G_bEUljE0_EEESZ_S10_S11_S18_S1C_S1E_T6_T7_T9_mT8_S1G_bDpT10_ENKUlT_T0_E_clISt17integral_constantIbLb1EES1U_EEDaS1P_S1Q_EUlS1P_E_NS1_11comp_targetILNS1_3genE5ELNS1_11target_archE942ELNS1_3gpuE9ELNS1_3repE0EEENS1_30default_config_static_selectorELNS0_4arch9wavefront6targetE0EEEvS12_
    .private_segment_fixed_size: 0
    .sgpr_count:     0
    .sgpr_spill_count: 0
    .symbol:         _ZN7rocprim17ROCPRIM_400000_NS6detail17trampoline_kernelINS0_13select_configILj256ELj13ELNS0_17block_load_methodE3ELS4_3ELS4_3ELNS0_20block_scan_algorithmE0ELj4294967295EEENS1_25partition_config_selectorILNS1_17partition_subalgoE4EjNS0_10empty_typeEbEEZZNS1_14partition_implILS8_4ELb0ES6_15HIP_vector_typeIjLj2EENS0_17counting_iteratorIjlEEPS9_SG_NS0_5tupleIJPjSI_NS0_16reverse_iteratorISI_EEEEENSH_IJSG_SG_SG_EEES9_SI_JZNS1_25segmented_radix_sort_implINS0_14default_configELb1EPKaPaPKlPlN2at6native12_GLOBAL__N_18offset_tEEE10hipError_tPvRmT1_PNSt15iterator_traitsIS12_E10value_typeET2_T3_PNS13_IS18_E10value_typeET4_jRbjT5_S1E_jjP12ihipStream_tbEUljE_ZNSN_ISO_Lb1ESQ_SR_ST_SU_SY_EESZ_S10_S11_S12_S16_S17_S18_S1B_S1C_jS1D_jS1E_S1E_jjS1G_bEUljE0_EEESZ_S10_S11_S18_S1C_S1E_T6_T7_T9_mT8_S1G_bDpT10_ENKUlT_T0_E_clISt17integral_constantIbLb1EES1U_EEDaS1P_S1Q_EUlS1P_E_NS1_11comp_targetILNS1_3genE5ELNS1_11target_archE942ELNS1_3gpuE9ELNS1_3repE0EEENS1_30default_config_static_selectorELNS0_4arch9wavefront6targetE0EEEvS12_.kd
    .uniform_work_group_size: 1
    .uses_dynamic_stack: false
    .vgpr_count:     0
    .vgpr_spill_count: 0
    .wavefront_size: 32
    .workgroup_processor_mode: 1
  - .args:
      - .offset:         0
        .size:           184
        .value_kind:     by_value
    .group_segment_fixed_size: 0
    .kernarg_segment_align: 8
    .kernarg_segment_size: 184
    .language:       OpenCL C
    .language_version:
      - 2
      - 0
    .max_flat_workgroup_size: 256
    .name:           _ZN7rocprim17ROCPRIM_400000_NS6detail17trampoline_kernelINS0_13select_configILj256ELj13ELNS0_17block_load_methodE3ELS4_3ELS4_3ELNS0_20block_scan_algorithmE0ELj4294967295EEENS1_25partition_config_selectorILNS1_17partition_subalgoE4EjNS0_10empty_typeEbEEZZNS1_14partition_implILS8_4ELb0ES6_15HIP_vector_typeIjLj2EENS0_17counting_iteratorIjlEEPS9_SG_NS0_5tupleIJPjSI_NS0_16reverse_iteratorISI_EEEEENSH_IJSG_SG_SG_EEES9_SI_JZNS1_25segmented_radix_sort_implINS0_14default_configELb1EPKaPaPKlPlN2at6native12_GLOBAL__N_18offset_tEEE10hipError_tPvRmT1_PNSt15iterator_traitsIS12_E10value_typeET2_T3_PNS13_IS18_E10value_typeET4_jRbjT5_S1E_jjP12ihipStream_tbEUljE_ZNSN_ISO_Lb1ESQ_SR_ST_SU_SY_EESZ_S10_S11_S12_S16_S17_S18_S1B_S1C_jS1D_jS1E_S1E_jjS1G_bEUljE0_EEESZ_S10_S11_S18_S1C_S1E_T6_T7_T9_mT8_S1G_bDpT10_ENKUlT_T0_E_clISt17integral_constantIbLb1EES1U_EEDaS1P_S1Q_EUlS1P_E_NS1_11comp_targetILNS1_3genE4ELNS1_11target_archE910ELNS1_3gpuE8ELNS1_3repE0EEENS1_30default_config_static_selectorELNS0_4arch9wavefront6targetE0EEEvS12_
    .private_segment_fixed_size: 0
    .sgpr_count:     0
    .sgpr_spill_count: 0
    .symbol:         _ZN7rocprim17ROCPRIM_400000_NS6detail17trampoline_kernelINS0_13select_configILj256ELj13ELNS0_17block_load_methodE3ELS4_3ELS4_3ELNS0_20block_scan_algorithmE0ELj4294967295EEENS1_25partition_config_selectorILNS1_17partition_subalgoE4EjNS0_10empty_typeEbEEZZNS1_14partition_implILS8_4ELb0ES6_15HIP_vector_typeIjLj2EENS0_17counting_iteratorIjlEEPS9_SG_NS0_5tupleIJPjSI_NS0_16reverse_iteratorISI_EEEEENSH_IJSG_SG_SG_EEES9_SI_JZNS1_25segmented_radix_sort_implINS0_14default_configELb1EPKaPaPKlPlN2at6native12_GLOBAL__N_18offset_tEEE10hipError_tPvRmT1_PNSt15iterator_traitsIS12_E10value_typeET2_T3_PNS13_IS18_E10value_typeET4_jRbjT5_S1E_jjP12ihipStream_tbEUljE_ZNSN_ISO_Lb1ESQ_SR_ST_SU_SY_EESZ_S10_S11_S12_S16_S17_S18_S1B_S1C_jS1D_jS1E_S1E_jjS1G_bEUljE0_EEESZ_S10_S11_S18_S1C_S1E_T6_T7_T9_mT8_S1G_bDpT10_ENKUlT_T0_E_clISt17integral_constantIbLb1EES1U_EEDaS1P_S1Q_EUlS1P_E_NS1_11comp_targetILNS1_3genE4ELNS1_11target_archE910ELNS1_3gpuE8ELNS1_3repE0EEENS1_30default_config_static_selectorELNS0_4arch9wavefront6targetE0EEEvS12_.kd
    .uniform_work_group_size: 1
    .uses_dynamic_stack: false
    .vgpr_count:     0
    .vgpr_spill_count: 0
    .wavefront_size: 32
    .workgroup_processor_mode: 1
  - .args:
      - .offset:         0
        .size:           184
        .value_kind:     by_value
    .group_segment_fixed_size: 0
    .kernarg_segment_align: 8
    .kernarg_segment_size: 184
    .language:       OpenCL C
    .language_version:
      - 2
      - 0
    .max_flat_workgroup_size: 256
    .name:           _ZN7rocprim17ROCPRIM_400000_NS6detail17trampoline_kernelINS0_13select_configILj256ELj13ELNS0_17block_load_methodE3ELS4_3ELS4_3ELNS0_20block_scan_algorithmE0ELj4294967295EEENS1_25partition_config_selectorILNS1_17partition_subalgoE4EjNS0_10empty_typeEbEEZZNS1_14partition_implILS8_4ELb0ES6_15HIP_vector_typeIjLj2EENS0_17counting_iteratorIjlEEPS9_SG_NS0_5tupleIJPjSI_NS0_16reverse_iteratorISI_EEEEENSH_IJSG_SG_SG_EEES9_SI_JZNS1_25segmented_radix_sort_implINS0_14default_configELb1EPKaPaPKlPlN2at6native12_GLOBAL__N_18offset_tEEE10hipError_tPvRmT1_PNSt15iterator_traitsIS12_E10value_typeET2_T3_PNS13_IS18_E10value_typeET4_jRbjT5_S1E_jjP12ihipStream_tbEUljE_ZNSN_ISO_Lb1ESQ_SR_ST_SU_SY_EESZ_S10_S11_S12_S16_S17_S18_S1B_S1C_jS1D_jS1E_S1E_jjS1G_bEUljE0_EEESZ_S10_S11_S18_S1C_S1E_T6_T7_T9_mT8_S1G_bDpT10_ENKUlT_T0_E_clISt17integral_constantIbLb1EES1U_EEDaS1P_S1Q_EUlS1P_E_NS1_11comp_targetILNS1_3genE3ELNS1_11target_archE908ELNS1_3gpuE7ELNS1_3repE0EEENS1_30default_config_static_selectorELNS0_4arch9wavefront6targetE0EEEvS12_
    .private_segment_fixed_size: 0
    .sgpr_count:     0
    .sgpr_spill_count: 0
    .symbol:         _ZN7rocprim17ROCPRIM_400000_NS6detail17trampoline_kernelINS0_13select_configILj256ELj13ELNS0_17block_load_methodE3ELS4_3ELS4_3ELNS0_20block_scan_algorithmE0ELj4294967295EEENS1_25partition_config_selectorILNS1_17partition_subalgoE4EjNS0_10empty_typeEbEEZZNS1_14partition_implILS8_4ELb0ES6_15HIP_vector_typeIjLj2EENS0_17counting_iteratorIjlEEPS9_SG_NS0_5tupleIJPjSI_NS0_16reverse_iteratorISI_EEEEENSH_IJSG_SG_SG_EEES9_SI_JZNS1_25segmented_radix_sort_implINS0_14default_configELb1EPKaPaPKlPlN2at6native12_GLOBAL__N_18offset_tEEE10hipError_tPvRmT1_PNSt15iterator_traitsIS12_E10value_typeET2_T3_PNS13_IS18_E10value_typeET4_jRbjT5_S1E_jjP12ihipStream_tbEUljE_ZNSN_ISO_Lb1ESQ_SR_ST_SU_SY_EESZ_S10_S11_S12_S16_S17_S18_S1B_S1C_jS1D_jS1E_S1E_jjS1G_bEUljE0_EEESZ_S10_S11_S18_S1C_S1E_T6_T7_T9_mT8_S1G_bDpT10_ENKUlT_T0_E_clISt17integral_constantIbLb1EES1U_EEDaS1P_S1Q_EUlS1P_E_NS1_11comp_targetILNS1_3genE3ELNS1_11target_archE908ELNS1_3gpuE7ELNS1_3repE0EEENS1_30default_config_static_selectorELNS0_4arch9wavefront6targetE0EEEvS12_.kd
    .uniform_work_group_size: 1
    .uses_dynamic_stack: false
    .vgpr_count:     0
    .vgpr_spill_count: 0
    .wavefront_size: 32
    .workgroup_processor_mode: 1
  - .args:
      - .offset:         0
        .size:           184
        .value_kind:     by_value
    .group_segment_fixed_size: 0
    .kernarg_segment_align: 8
    .kernarg_segment_size: 184
    .language:       OpenCL C
    .language_version:
      - 2
      - 0
    .max_flat_workgroup_size: 256
    .name:           _ZN7rocprim17ROCPRIM_400000_NS6detail17trampoline_kernelINS0_13select_configILj256ELj13ELNS0_17block_load_methodE3ELS4_3ELS4_3ELNS0_20block_scan_algorithmE0ELj4294967295EEENS1_25partition_config_selectorILNS1_17partition_subalgoE4EjNS0_10empty_typeEbEEZZNS1_14partition_implILS8_4ELb0ES6_15HIP_vector_typeIjLj2EENS0_17counting_iteratorIjlEEPS9_SG_NS0_5tupleIJPjSI_NS0_16reverse_iteratorISI_EEEEENSH_IJSG_SG_SG_EEES9_SI_JZNS1_25segmented_radix_sort_implINS0_14default_configELb1EPKaPaPKlPlN2at6native12_GLOBAL__N_18offset_tEEE10hipError_tPvRmT1_PNSt15iterator_traitsIS12_E10value_typeET2_T3_PNS13_IS18_E10value_typeET4_jRbjT5_S1E_jjP12ihipStream_tbEUljE_ZNSN_ISO_Lb1ESQ_SR_ST_SU_SY_EESZ_S10_S11_S12_S16_S17_S18_S1B_S1C_jS1D_jS1E_S1E_jjS1G_bEUljE0_EEESZ_S10_S11_S18_S1C_S1E_T6_T7_T9_mT8_S1G_bDpT10_ENKUlT_T0_E_clISt17integral_constantIbLb1EES1U_EEDaS1P_S1Q_EUlS1P_E_NS1_11comp_targetILNS1_3genE2ELNS1_11target_archE906ELNS1_3gpuE6ELNS1_3repE0EEENS1_30default_config_static_selectorELNS0_4arch9wavefront6targetE0EEEvS12_
    .private_segment_fixed_size: 0
    .sgpr_count:     0
    .sgpr_spill_count: 0
    .symbol:         _ZN7rocprim17ROCPRIM_400000_NS6detail17trampoline_kernelINS0_13select_configILj256ELj13ELNS0_17block_load_methodE3ELS4_3ELS4_3ELNS0_20block_scan_algorithmE0ELj4294967295EEENS1_25partition_config_selectorILNS1_17partition_subalgoE4EjNS0_10empty_typeEbEEZZNS1_14partition_implILS8_4ELb0ES6_15HIP_vector_typeIjLj2EENS0_17counting_iteratorIjlEEPS9_SG_NS0_5tupleIJPjSI_NS0_16reverse_iteratorISI_EEEEENSH_IJSG_SG_SG_EEES9_SI_JZNS1_25segmented_radix_sort_implINS0_14default_configELb1EPKaPaPKlPlN2at6native12_GLOBAL__N_18offset_tEEE10hipError_tPvRmT1_PNSt15iterator_traitsIS12_E10value_typeET2_T3_PNS13_IS18_E10value_typeET4_jRbjT5_S1E_jjP12ihipStream_tbEUljE_ZNSN_ISO_Lb1ESQ_SR_ST_SU_SY_EESZ_S10_S11_S12_S16_S17_S18_S1B_S1C_jS1D_jS1E_S1E_jjS1G_bEUljE0_EEESZ_S10_S11_S18_S1C_S1E_T6_T7_T9_mT8_S1G_bDpT10_ENKUlT_T0_E_clISt17integral_constantIbLb1EES1U_EEDaS1P_S1Q_EUlS1P_E_NS1_11comp_targetILNS1_3genE2ELNS1_11target_archE906ELNS1_3gpuE6ELNS1_3repE0EEENS1_30default_config_static_selectorELNS0_4arch9wavefront6targetE0EEEvS12_.kd
    .uniform_work_group_size: 1
    .uses_dynamic_stack: false
    .vgpr_count:     0
    .vgpr_spill_count: 0
    .wavefront_size: 32
    .workgroup_processor_mode: 1
  - .args:
      - .offset:         0
        .size:           184
        .value_kind:     by_value
    .group_segment_fixed_size: 0
    .kernarg_segment_align: 8
    .kernarg_segment_size: 184
    .language:       OpenCL C
    .language_version:
      - 2
      - 0
    .max_flat_workgroup_size: 256
    .name:           _ZN7rocprim17ROCPRIM_400000_NS6detail17trampoline_kernelINS0_13select_configILj256ELj13ELNS0_17block_load_methodE3ELS4_3ELS4_3ELNS0_20block_scan_algorithmE0ELj4294967295EEENS1_25partition_config_selectorILNS1_17partition_subalgoE4EjNS0_10empty_typeEbEEZZNS1_14partition_implILS8_4ELb0ES6_15HIP_vector_typeIjLj2EENS0_17counting_iteratorIjlEEPS9_SG_NS0_5tupleIJPjSI_NS0_16reverse_iteratorISI_EEEEENSH_IJSG_SG_SG_EEES9_SI_JZNS1_25segmented_radix_sort_implINS0_14default_configELb1EPKaPaPKlPlN2at6native12_GLOBAL__N_18offset_tEEE10hipError_tPvRmT1_PNSt15iterator_traitsIS12_E10value_typeET2_T3_PNS13_IS18_E10value_typeET4_jRbjT5_S1E_jjP12ihipStream_tbEUljE_ZNSN_ISO_Lb1ESQ_SR_ST_SU_SY_EESZ_S10_S11_S12_S16_S17_S18_S1B_S1C_jS1D_jS1E_S1E_jjS1G_bEUljE0_EEESZ_S10_S11_S18_S1C_S1E_T6_T7_T9_mT8_S1G_bDpT10_ENKUlT_T0_E_clISt17integral_constantIbLb1EES1U_EEDaS1P_S1Q_EUlS1P_E_NS1_11comp_targetILNS1_3genE10ELNS1_11target_archE1200ELNS1_3gpuE4ELNS1_3repE0EEENS1_30default_config_static_selectorELNS0_4arch9wavefront6targetE0EEEvS12_
    .private_segment_fixed_size: 0
    .sgpr_count:     0
    .sgpr_spill_count: 0
    .symbol:         _ZN7rocprim17ROCPRIM_400000_NS6detail17trampoline_kernelINS0_13select_configILj256ELj13ELNS0_17block_load_methodE3ELS4_3ELS4_3ELNS0_20block_scan_algorithmE0ELj4294967295EEENS1_25partition_config_selectorILNS1_17partition_subalgoE4EjNS0_10empty_typeEbEEZZNS1_14partition_implILS8_4ELb0ES6_15HIP_vector_typeIjLj2EENS0_17counting_iteratorIjlEEPS9_SG_NS0_5tupleIJPjSI_NS0_16reverse_iteratorISI_EEEEENSH_IJSG_SG_SG_EEES9_SI_JZNS1_25segmented_radix_sort_implINS0_14default_configELb1EPKaPaPKlPlN2at6native12_GLOBAL__N_18offset_tEEE10hipError_tPvRmT1_PNSt15iterator_traitsIS12_E10value_typeET2_T3_PNS13_IS18_E10value_typeET4_jRbjT5_S1E_jjP12ihipStream_tbEUljE_ZNSN_ISO_Lb1ESQ_SR_ST_SU_SY_EESZ_S10_S11_S12_S16_S17_S18_S1B_S1C_jS1D_jS1E_S1E_jjS1G_bEUljE0_EEESZ_S10_S11_S18_S1C_S1E_T6_T7_T9_mT8_S1G_bDpT10_ENKUlT_T0_E_clISt17integral_constantIbLb1EES1U_EEDaS1P_S1Q_EUlS1P_E_NS1_11comp_targetILNS1_3genE10ELNS1_11target_archE1200ELNS1_3gpuE4ELNS1_3repE0EEENS1_30default_config_static_selectorELNS0_4arch9wavefront6targetE0EEEvS12_.kd
    .uniform_work_group_size: 1
    .uses_dynamic_stack: false
    .vgpr_count:     0
    .vgpr_spill_count: 0
    .wavefront_size: 32
    .workgroup_processor_mode: 1
  - .args:
      - .offset:         0
        .size:           184
        .value_kind:     by_value
    .group_segment_fixed_size: 0
    .kernarg_segment_align: 8
    .kernarg_segment_size: 184
    .language:       OpenCL C
    .language_version:
      - 2
      - 0
    .max_flat_workgroup_size: 256
    .name:           _ZN7rocprim17ROCPRIM_400000_NS6detail17trampoline_kernelINS0_13select_configILj256ELj13ELNS0_17block_load_methodE3ELS4_3ELS4_3ELNS0_20block_scan_algorithmE0ELj4294967295EEENS1_25partition_config_selectorILNS1_17partition_subalgoE4EjNS0_10empty_typeEbEEZZNS1_14partition_implILS8_4ELb0ES6_15HIP_vector_typeIjLj2EENS0_17counting_iteratorIjlEEPS9_SG_NS0_5tupleIJPjSI_NS0_16reverse_iteratorISI_EEEEENSH_IJSG_SG_SG_EEES9_SI_JZNS1_25segmented_radix_sort_implINS0_14default_configELb1EPKaPaPKlPlN2at6native12_GLOBAL__N_18offset_tEEE10hipError_tPvRmT1_PNSt15iterator_traitsIS12_E10value_typeET2_T3_PNS13_IS18_E10value_typeET4_jRbjT5_S1E_jjP12ihipStream_tbEUljE_ZNSN_ISO_Lb1ESQ_SR_ST_SU_SY_EESZ_S10_S11_S12_S16_S17_S18_S1B_S1C_jS1D_jS1E_S1E_jjS1G_bEUljE0_EEESZ_S10_S11_S18_S1C_S1E_T6_T7_T9_mT8_S1G_bDpT10_ENKUlT_T0_E_clISt17integral_constantIbLb1EES1U_EEDaS1P_S1Q_EUlS1P_E_NS1_11comp_targetILNS1_3genE9ELNS1_11target_archE1100ELNS1_3gpuE3ELNS1_3repE0EEENS1_30default_config_static_selectorELNS0_4arch9wavefront6targetE0EEEvS12_
    .private_segment_fixed_size: 0
    .sgpr_count:     0
    .sgpr_spill_count: 0
    .symbol:         _ZN7rocprim17ROCPRIM_400000_NS6detail17trampoline_kernelINS0_13select_configILj256ELj13ELNS0_17block_load_methodE3ELS4_3ELS4_3ELNS0_20block_scan_algorithmE0ELj4294967295EEENS1_25partition_config_selectorILNS1_17partition_subalgoE4EjNS0_10empty_typeEbEEZZNS1_14partition_implILS8_4ELb0ES6_15HIP_vector_typeIjLj2EENS0_17counting_iteratorIjlEEPS9_SG_NS0_5tupleIJPjSI_NS0_16reverse_iteratorISI_EEEEENSH_IJSG_SG_SG_EEES9_SI_JZNS1_25segmented_radix_sort_implINS0_14default_configELb1EPKaPaPKlPlN2at6native12_GLOBAL__N_18offset_tEEE10hipError_tPvRmT1_PNSt15iterator_traitsIS12_E10value_typeET2_T3_PNS13_IS18_E10value_typeET4_jRbjT5_S1E_jjP12ihipStream_tbEUljE_ZNSN_ISO_Lb1ESQ_SR_ST_SU_SY_EESZ_S10_S11_S12_S16_S17_S18_S1B_S1C_jS1D_jS1E_S1E_jjS1G_bEUljE0_EEESZ_S10_S11_S18_S1C_S1E_T6_T7_T9_mT8_S1G_bDpT10_ENKUlT_T0_E_clISt17integral_constantIbLb1EES1U_EEDaS1P_S1Q_EUlS1P_E_NS1_11comp_targetILNS1_3genE9ELNS1_11target_archE1100ELNS1_3gpuE3ELNS1_3repE0EEENS1_30default_config_static_selectorELNS0_4arch9wavefront6targetE0EEEvS12_.kd
    .uniform_work_group_size: 1
    .uses_dynamic_stack: false
    .vgpr_count:     0
    .vgpr_spill_count: 0
    .wavefront_size: 32
    .workgroup_processor_mode: 1
  - .args:
      - .offset:         0
        .size:           184
        .value_kind:     by_value
    .group_segment_fixed_size: 0
    .kernarg_segment_align: 8
    .kernarg_segment_size: 184
    .language:       OpenCL C
    .language_version:
      - 2
      - 0
    .max_flat_workgroup_size: 256
    .name:           _ZN7rocprim17ROCPRIM_400000_NS6detail17trampoline_kernelINS0_13select_configILj256ELj13ELNS0_17block_load_methodE3ELS4_3ELS4_3ELNS0_20block_scan_algorithmE0ELj4294967295EEENS1_25partition_config_selectorILNS1_17partition_subalgoE4EjNS0_10empty_typeEbEEZZNS1_14partition_implILS8_4ELb0ES6_15HIP_vector_typeIjLj2EENS0_17counting_iteratorIjlEEPS9_SG_NS0_5tupleIJPjSI_NS0_16reverse_iteratorISI_EEEEENSH_IJSG_SG_SG_EEES9_SI_JZNS1_25segmented_radix_sort_implINS0_14default_configELb1EPKaPaPKlPlN2at6native12_GLOBAL__N_18offset_tEEE10hipError_tPvRmT1_PNSt15iterator_traitsIS12_E10value_typeET2_T3_PNS13_IS18_E10value_typeET4_jRbjT5_S1E_jjP12ihipStream_tbEUljE_ZNSN_ISO_Lb1ESQ_SR_ST_SU_SY_EESZ_S10_S11_S12_S16_S17_S18_S1B_S1C_jS1D_jS1E_S1E_jjS1G_bEUljE0_EEESZ_S10_S11_S18_S1C_S1E_T6_T7_T9_mT8_S1G_bDpT10_ENKUlT_T0_E_clISt17integral_constantIbLb1EES1U_EEDaS1P_S1Q_EUlS1P_E_NS1_11comp_targetILNS1_3genE8ELNS1_11target_archE1030ELNS1_3gpuE2ELNS1_3repE0EEENS1_30default_config_static_selectorELNS0_4arch9wavefront6targetE0EEEvS12_
    .private_segment_fixed_size: 0
    .sgpr_count:     0
    .sgpr_spill_count: 0
    .symbol:         _ZN7rocprim17ROCPRIM_400000_NS6detail17trampoline_kernelINS0_13select_configILj256ELj13ELNS0_17block_load_methodE3ELS4_3ELS4_3ELNS0_20block_scan_algorithmE0ELj4294967295EEENS1_25partition_config_selectorILNS1_17partition_subalgoE4EjNS0_10empty_typeEbEEZZNS1_14partition_implILS8_4ELb0ES6_15HIP_vector_typeIjLj2EENS0_17counting_iteratorIjlEEPS9_SG_NS0_5tupleIJPjSI_NS0_16reverse_iteratorISI_EEEEENSH_IJSG_SG_SG_EEES9_SI_JZNS1_25segmented_radix_sort_implINS0_14default_configELb1EPKaPaPKlPlN2at6native12_GLOBAL__N_18offset_tEEE10hipError_tPvRmT1_PNSt15iterator_traitsIS12_E10value_typeET2_T3_PNS13_IS18_E10value_typeET4_jRbjT5_S1E_jjP12ihipStream_tbEUljE_ZNSN_ISO_Lb1ESQ_SR_ST_SU_SY_EESZ_S10_S11_S12_S16_S17_S18_S1B_S1C_jS1D_jS1E_S1E_jjS1G_bEUljE0_EEESZ_S10_S11_S18_S1C_S1E_T6_T7_T9_mT8_S1G_bDpT10_ENKUlT_T0_E_clISt17integral_constantIbLb1EES1U_EEDaS1P_S1Q_EUlS1P_E_NS1_11comp_targetILNS1_3genE8ELNS1_11target_archE1030ELNS1_3gpuE2ELNS1_3repE0EEENS1_30default_config_static_selectorELNS0_4arch9wavefront6targetE0EEEvS12_.kd
    .uniform_work_group_size: 1
    .uses_dynamic_stack: false
    .vgpr_count:     0
    .vgpr_spill_count: 0
    .wavefront_size: 32
    .workgroup_processor_mode: 1
  - .args:
      - .offset:         0
        .size:           176
        .value_kind:     by_value
    .group_segment_fixed_size: 0
    .kernarg_segment_align: 8
    .kernarg_segment_size: 176
    .language:       OpenCL C
    .language_version:
      - 2
      - 0
    .max_flat_workgroup_size: 256
    .name:           _ZN7rocprim17ROCPRIM_400000_NS6detail17trampoline_kernelINS0_13select_configILj256ELj13ELNS0_17block_load_methodE3ELS4_3ELS4_3ELNS0_20block_scan_algorithmE0ELj4294967295EEENS1_25partition_config_selectorILNS1_17partition_subalgoE4EjNS0_10empty_typeEbEEZZNS1_14partition_implILS8_4ELb0ES6_15HIP_vector_typeIjLj2EENS0_17counting_iteratorIjlEEPS9_SG_NS0_5tupleIJPjSI_NS0_16reverse_iteratorISI_EEEEENSH_IJSG_SG_SG_EEES9_SI_JZNS1_25segmented_radix_sort_implINS0_14default_configELb1EPKaPaPKlPlN2at6native12_GLOBAL__N_18offset_tEEE10hipError_tPvRmT1_PNSt15iterator_traitsIS12_E10value_typeET2_T3_PNS13_IS18_E10value_typeET4_jRbjT5_S1E_jjP12ihipStream_tbEUljE_ZNSN_ISO_Lb1ESQ_SR_ST_SU_SY_EESZ_S10_S11_S12_S16_S17_S18_S1B_S1C_jS1D_jS1E_S1E_jjS1G_bEUljE0_EEESZ_S10_S11_S18_S1C_S1E_T6_T7_T9_mT8_S1G_bDpT10_ENKUlT_T0_E_clISt17integral_constantIbLb1EES1T_IbLb0EEEEDaS1P_S1Q_EUlS1P_E_NS1_11comp_targetILNS1_3genE0ELNS1_11target_archE4294967295ELNS1_3gpuE0ELNS1_3repE0EEENS1_30default_config_static_selectorELNS0_4arch9wavefront6targetE0EEEvS12_
    .private_segment_fixed_size: 0
    .sgpr_count:     0
    .sgpr_spill_count: 0
    .symbol:         _ZN7rocprim17ROCPRIM_400000_NS6detail17trampoline_kernelINS0_13select_configILj256ELj13ELNS0_17block_load_methodE3ELS4_3ELS4_3ELNS0_20block_scan_algorithmE0ELj4294967295EEENS1_25partition_config_selectorILNS1_17partition_subalgoE4EjNS0_10empty_typeEbEEZZNS1_14partition_implILS8_4ELb0ES6_15HIP_vector_typeIjLj2EENS0_17counting_iteratorIjlEEPS9_SG_NS0_5tupleIJPjSI_NS0_16reverse_iteratorISI_EEEEENSH_IJSG_SG_SG_EEES9_SI_JZNS1_25segmented_radix_sort_implINS0_14default_configELb1EPKaPaPKlPlN2at6native12_GLOBAL__N_18offset_tEEE10hipError_tPvRmT1_PNSt15iterator_traitsIS12_E10value_typeET2_T3_PNS13_IS18_E10value_typeET4_jRbjT5_S1E_jjP12ihipStream_tbEUljE_ZNSN_ISO_Lb1ESQ_SR_ST_SU_SY_EESZ_S10_S11_S12_S16_S17_S18_S1B_S1C_jS1D_jS1E_S1E_jjS1G_bEUljE0_EEESZ_S10_S11_S18_S1C_S1E_T6_T7_T9_mT8_S1G_bDpT10_ENKUlT_T0_E_clISt17integral_constantIbLb1EES1T_IbLb0EEEEDaS1P_S1Q_EUlS1P_E_NS1_11comp_targetILNS1_3genE0ELNS1_11target_archE4294967295ELNS1_3gpuE0ELNS1_3repE0EEENS1_30default_config_static_selectorELNS0_4arch9wavefront6targetE0EEEvS12_.kd
    .uniform_work_group_size: 1
    .uses_dynamic_stack: false
    .vgpr_count:     0
    .vgpr_spill_count: 0
    .wavefront_size: 32
    .workgroup_processor_mode: 1
  - .args:
      - .offset:         0
        .size:           176
        .value_kind:     by_value
    .group_segment_fixed_size: 0
    .kernarg_segment_align: 8
    .kernarg_segment_size: 176
    .language:       OpenCL C
    .language_version:
      - 2
      - 0
    .max_flat_workgroup_size: 256
    .name:           _ZN7rocprim17ROCPRIM_400000_NS6detail17trampoline_kernelINS0_13select_configILj256ELj13ELNS0_17block_load_methodE3ELS4_3ELS4_3ELNS0_20block_scan_algorithmE0ELj4294967295EEENS1_25partition_config_selectorILNS1_17partition_subalgoE4EjNS0_10empty_typeEbEEZZNS1_14partition_implILS8_4ELb0ES6_15HIP_vector_typeIjLj2EENS0_17counting_iteratorIjlEEPS9_SG_NS0_5tupleIJPjSI_NS0_16reverse_iteratorISI_EEEEENSH_IJSG_SG_SG_EEES9_SI_JZNS1_25segmented_radix_sort_implINS0_14default_configELb1EPKaPaPKlPlN2at6native12_GLOBAL__N_18offset_tEEE10hipError_tPvRmT1_PNSt15iterator_traitsIS12_E10value_typeET2_T3_PNS13_IS18_E10value_typeET4_jRbjT5_S1E_jjP12ihipStream_tbEUljE_ZNSN_ISO_Lb1ESQ_SR_ST_SU_SY_EESZ_S10_S11_S12_S16_S17_S18_S1B_S1C_jS1D_jS1E_S1E_jjS1G_bEUljE0_EEESZ_S10_S11_S18_S1C_S1E_T6_T7_T9_mT8_S1G_bDpT10_ENKUlT_T0_E_clISt17integral_constantIbLb1EES1T_IbLb0EEEEDaS1P_S1Q_EUlS1P_E_NS1_11comp_targetILNS1_3genE5ELNS1_11target_archE942ELNS1_3gpuE9ELNS1_3repE0EEENS1_30default_config_static_selectorELNS0_4arch9wavefront6targetE0EEEvS12_
    .private_segment_fixed_size: 0
    .sgpr_count:     0
    .sgpr_spill_count: 0
    .symbol:         _ZN7rocprim17ROCPRIM_400000_NS6detail17trampoline_kernelINS0_13select_configILj256ELj13ELNS0_17block_load_methodE3ELS4_3ELS4_3ELNS0_20block_scan_algorithmE0ELj4294967295EEENS1_25partition_config_selectorILNS1_17partition_subalgoE4EjNS0_10empty_typeEbEEZZNS1_14partition_implILS8_4ELb0ES6_15HIP_vector_typeIjLj2EENS0_17counting_iteratorIjlEEPS9_SG_NS0_5tupleIJPjSI_NS0_16reverse_iteratorISI_EEEEENSH_IJSG_SG_SG_EEES9_SI_JZNS1_25segmented_radix_sort_implINS0_14default_configELb1EPKaPaPKlPlN2at6native12_GLOBAL__N_18offset_tEEE10hipError_tPvRmT1_PNSt15iterator_traitsIS12_E10value_typeET2_T3_PNS13_IS18_E10value_typeET4_jRbjT5_S1E_jjP12ihipStream_tbEUljE_ZNSN_ISO_Lb1ESQ_SR_ST_SU_SY_EESZ_S10_S11_S12_S16_S17_S18_S1B_S1C_jS1D_jS1E_S1E_jjS1G_bEUljE0_EEESZ_S10_S11_S18_S1C_S1E_T6_T7_T9_mT8_S1G_bDpT10_ENKUlT_T0_E_clISt17integral_constantIbLb1EES1T_IbLb0EEEEDaS1P_S1Q_EUlS1P_E_NS1_11comp_targetILNS1_3genE5ELNS1_11target_archE942ELNS1_3gpuE9ELNS1_3repE0EEENS1_30default_config_static_selectorELNS0_4arch9wavefront6targetE0EEEvS12_.kd
    .uniform_work_group_size: 1
    .uses_dynamic_stack: false
    .vgpr_count:     0
    .vgpr_spill_count: 0
    .wavefront_size: 32
    .workgroup_processor_mode: 1
  - .args:
      - .offset:         0
        .size:           176
        .value_kind:     by_value
    .group_segment_fixed_size: 0
    .kernarg_segment_align: 8
    .kernarg_segment_size: 176
    .language:       OpenCL C
    .language_version:
      - 2
      - 0
    .max_flat_workgroup_size: 256
    .name:           _ZN7rocprim17ROCPRIM_400000_NS6detail17trampoline_kernelINS0_13select_configILj256ELj13ELNS0_17block_load_methodE3ELS4_3ELS4_3ELNS0_20block_scan_algorithmE0ELj4294967295EEENS1_25partition_config_selectorILNS1_17partition_subalgoE4EjNS0_10empty_typeEbEEZZNS1_14partition_implILS8_4ELb0ES6_15HIP_vector_typeIjLj2EENS0_17counting_iteratorIjlEEPS9_SG_NS0_5tupleIJPjSI_NS0_16reverse_iteratorISI_EEEEENSH_IJSG_SG_SG_EEES9_SI_JZNS1_25segmented_radix_sort_implINS0_14default_configELb1EPKaPaPKlPlN2at6native12_GLOBAL__N_18offset_tEEE10hipError_tPvRmT1_PNSt15iterator_traitsIS12_E10value_typeET2_T3_PNS13_IS18_E10value_typeET4_jRbjT5_S1E_jjP12ihipStream_tbEUljE_ZNSN_ISO_Lb1ESQ_SR_ST_SU_SY_EESZ_S10_S11_S12_S16_S17_S18_S1B_S1C_jS1D_jS1E_S1E_jjS1G_bEUljE0_EEESZ_S10_S11_S18_S1C_S1E_T6_T7_T9_mT8_S1G_bDpT10_ENKUlT_T0_E_clISt17integral_constantIbLb1EES1T_IbLb0EEEEDaS1P_S1Q_EUlS1P_E_NS1_11comp_targetILNS1_3genE4ELNS1_11target_archE910ELNS1_3gpuE8ELNS1_3repE0EEENS1_30default_config_static_selectorELNS0_4arch9wavefront6targetE0EEEvS12_
    .private_segment_fixed_size: 0
    .sgpr_count:     0
    .sgpr_spill_count: 0
    .symbol:         _ZN7rocprim17ROCPRIM_400000_NS6detail17trampoline_kernelINS0_13select_configILj256ELj13ELNS0_17block_load_methodE3ELS4_3ELS4_3ELNS0_20block_scan_algorithmE0ELj4294967295EEENS1_25partition_config_selectorILNS1_17partition_subalgoE4EjNS0_10empty_typeEbEEZZNS1_14partition_implILS8_4ELb0ES6_15HIP_vector_typeIjLj2EENS0_17counting_iteratorIjlEEPS9_SG_NS0_5tupleIJPjSI_NS0_16reverse_iteratorISI_EEEEENSH_IJSG_SG_SG_EEES9_SI_JZNS1_25segmented_radix_sort_implINS0_14default_configELb1EPKaPaPKlPlN2at6native12_GLOBAL__N_18offset_tEEE10hipError_tPvRmT1_PNSt15iterator_traitsIS12_E10value_typeET2_T3_PNS13_IS18_E10value_typeET4_jRbjT5_S1E_jjP12ihipStream_tbEUljE_ZNSN_ISO_Lb1ESQ_SR_ST_SU_SY_EESZ_S10_S11_S12_S16_S17_S18_S1B_S1C_jS1D_jS1E_S1E_jjS1G_bEUljE0_EEESZ_S10_S11_S18_S1C_S1E_T6_T7_T9_mT8_S1G_bDpT10_ENKUlT_T0_E_clISt17integral_constantIbLb1EES1T_IbLb0EEEEDaS1P_S1Q_EUlS1P_E_NS1_11comp_targetILNS1_3genE4ELNS1_11target_archE910ELNS1_3gpuE8ELNS1_3repE0EEENS1_30default_config_static_selectorELNS0_4arch9wavefront6targetE0EEEvS12_.kd
    .uniform_work_group_size: 1
    .uses_dynamic_stack: false
    .vgpr_count:     0
    .vgpr_spill_count: 0
    .wavefront_size: 32
    .workgroup_processor_mode: 1
  - .args:
      - .offset:         0
        .size:           176
        .value_kind:     by_value
    .group_segment_fixed_size: 0
    .kernarg_segment_align: 8
    .kernarg_segment_size: 176
    .language:       OpenCL C
    .language_version:
      - 2
      - 0
    .max_flat_workgroup_size: 256
    .name:           _ZN7rocprim17ROCPRIM_400000_NS6detail17trampoline_kernelINS0_13select_configILj256ELj13ELNS0_17block_load_methodE3ELS4_3ELS4_3ELNS0_20block_scan_algorithmE0ELj4294967295EEENS1_25partition_config_selectorILNS1_17partition_subalgoE4EjNS0_10empty_typeEbEEZZNS1_14partition_implILS8_4ELb0ES6_15HIP_vector_typeIjLj2EENS0_17counting_iteratorIjlEEPS9_SG_NS0_5tupleIJPjSI_NS0_16reverse_iteratorISI_EEEEENSH_IJSG_SG_SG_EEES9_SI_JZNS1_25segmented_radix_sort_implINS0_14default_configELb1EPKaPaPKlPlN2at6native12_GLOBAL__N_18offset_tEEE10hipError_tPvRmT1_PNSt15iterator_traitsIS12_E10value_typeET2_T3_PNS13_IS18_E10value_typeET4_jRbjT5_S1E_jjP12ihipStream_tbEUljE_ZNSN_ISO_Lb1ESQ_SR_ST_SU_SY_EESZ_S10_S11_S12_S16_S17_S18_S1B_S1C_jS1D_jS1E_S1E_jjS1G_bEUljE0_EEESZ_S10_S11_S18_S1C_S1E_T6_T7_T9_mT8_S1G_bDpT10_ENKUlT_T0_E_clISt17integral_constantIbLb1EES1T_IbLb0EEEEDaS1P_S1Q_EUlS1P_E_NS1_11comp_targetILNS1_3genE3ELNS1_11target_archE908ELNS1_3gpuE7ELNS1_3repE0EEENS1_30default_config_static_selectorELNS0_4arch9wavefront6targetE0EEEvS12_
    .private_segment_fixed_size: 0
    .sgpr_count:     0
    .sgpr_spill_count: 0
    .symbol:         _ZN7rocprim17ROCPRIM_400000_NS6detail17trampoline_kernelINS0_13select_configILj256ELj13ELNS0_17block_load_methodE3ELS4_3ELS4_3ELNS0_20block_scan_algorithmE0ELj4294967295EEENS1_25partition_config_selectorILNS1_17partition_subalgoE4EjNS0_10empty_typeEbEEZZNS1_14partition_implILS8_4ELb0ES6_15HIP_vector_typeIjLj2EENS0_17counting_iteratorIjlEEPS9_SG_NS0_5tupleIJPjSI_NS0_16reverse_iteratorISI_EEEEENSH_IJSG_SG_SG_EEES9_SI_JZNS1_25segmented_radix_sort_implINS0_14default_configELb1EPKaPaPKlPlN2at6native12_GLOBAL__N_18offset_tEEE10hipError_tPvRmT1_PNSt15iterator_traitsIS12_E10value_typeET2_T3_PNS13_IS18_E10value_typeET4_jRbjT5_S1E_jjP12ihipStream_tbEUljE_ZNSN_ISO_Lb1ESQ_SR_ST_SU_SY_EESZ_S10_S11_S12_S16_S17_S18_S1B_S1C_jS1D_jS1E_S1E_jjS1G_bEUljE0_EEESZ_S10_S11_S18_S1C_S1E_T6_T7_T9_mT8_S1G_bDpT10_ENKUlT_T0_E_clISt17integral_constantIbLb1EES1T_IbLb0EEEEDaS1P_S1Q_EUlS1P_E_NS1_11comp_targetILNS1_3genE3ELNS1_11target_archE908ELNS1_3gpuE7ELNS1_3repE0EEENS1_30default_config_static_selectorELNS0_4arch9wavefront6targetE0EEEvS12_.kd
    .uniform_work_group_size: 1
    .uses_dynamic_stack: false
    .vgpr_count:     0
    .vgpr_spill_count: 0
    .wavefront_size: 32
    .workgroup_processor_mode: 1
  - .args:
      - .offset:         0
        .size:           176
        .value_kind:     by_value
    .group_segment_fixed_size: 0
    .kernarg_segment_align: 8
    .kernarg_segment_size: 176
    .language:       OpenCL C
    .language_version:
      - 2
      - 0
    .max_flat_workgroup_size: 256
    .name:           _ZN7rocprim17ROCPRIM_400000_NS6detail17trampoline_kernelINS0_13select_configILj256ELj13ELNS0_17block_load_methodE3ELS4_3ELS4_3ELNS0_20block_scan_algorithmE0ELj4294967295EEENS1_25partition_config_selectorILNS1_17partition_subalgoE4EjNS0_10empty_typeEbEEZZNS1_14partition_implILS8_4ELb0ES6_15HIP_vector_typeIjLj2EENS0_17counting_iteratorIjlEEPS9_SG_NS0_5tupleIJPjSI_NS0_16reverse_iteratorISI_EEEEENSH_IJSG_SG_SG_EEES9_SI_JZNS1_25segmented_radix_sort_implINS0_14default_configELb1EPKaPaPKlPlN2at6native12_GLOBAL__N_18offset_tEEE10hipError_tPvRmT1_PNSt15iterator_traitsIS12_E10value_typeET2_T3_PNS13_IS18_E10value_typeET4_jRbjT5_S1E_jjP12ihipStream_tbEUljE_ZNSN_ISO_Lb1ESQ_SR_ST_SU_SY_EESZ_S10_S11_S12_S16_S17_S18_S1B_S1C_jS1D_jS1E_S1E_jjS1G_bEUljE0_EEESZ_S10_S11_S18_S1C_S1E_T6_T7_T9_mT8_S1G_bDpT10_ENKUlT_T0_E_clISt17integral_constantIbLb1EES1T_IbLb0EEEEDaS1P_S1Q_EUlS1P_E_NS1_11comp_targetILNS1_3genE2ELNS1_11target_archE906ELNS1_3gpuE6ELNS1_3repE0EEENS1_30default_config_static_selectorELNS0_4arch9wavefront6targetE0EEEvS12_
    .private_segment_fixed_size: 0
    .sgpr_count:     0
    .sgpr_spill_count: 0
    .symbol:         _ZN7rocprim17ROCPRIM_400000_NS6detail17trampoline_kernelINS0_13select_configILj256ELj13ELNS0_17block_load_methodE3ELS4_3ELS4_3ELNS0_20block_scan_algorithmE0ELj4294967295EEENS1_25partition_config_selectorILNS1_17partition_subalgoE4EjNS0_10empty_typeEbEEZZNS1_14partition_implILS8_4ELb0ES6_15HIP_vector_typeIjLj2EENS0_17counting_iteratorIjlEEPS9_SG_NS0_5tupleIJPjSI_NS0_16reverse_iteratorISI_EEEEENSH_IJSG_SG_SG_EEES9_SI_JZNS1_25segmented_radix_sort_implINS0_14default_configELb1EPKaPaPKlPlN2at6native12_GLOBAL__N_18offset_tEEE10hipError_tPvRmT1_PNSt15iterator_traitsIS12_E10value_typeET2_T3_PNS13_IS18_E10value_typeET4_jRbjT5_S1E_jjP12ihipStream_tbEUljE_ZNSN_ISO_Lb1ESQ_SR_ST_SU_SY_EESZ_S10_S11_S12_S16_S17_S18_S1B_S1C_jS1D_jS1E_S1E_jjS1G_bEUljE0_EEESZ_S10_S11_S18_S1C_S1E_T6_T7_T9_mT8_S1G_bDpT10_ENKUlT_T0_E_clISt17integral_constantIbLb1EES1T_IbLb0EEEEDaS1P_S1Q_EUlS1P_E_NS1_11comp_targetILNS1_3genE2ELNS1_11target_archE906ELNS1_3gpuE6ELNS1_3repE0EEENS1_30default_config_static_selectorELNS0_4arch9wavefront6targetE0EEEvS12_.kd
    .uniform_work_group_size: 1
    .uses_dynamic_stack: false
    .vgpr_count:     0
    .vgpr_spill_count: 0
    .wavefront_size: 32
    .workgroup_processor_mode: 1
  - .args:
      - .offset:         0
        .size:           176
        .value_kind:     by_value
    .group_segment_fixed_size: 0
    .kernarg_segment_align: 8
    .kernarg_segment_size: 176
    .language:       OpenCL C
    .language_version:
      - 2
      - 0
    .max_flat_workgroup_size: 256
    .name:           _ZN7rocprim17ROCPRIM_400000_NS6detail17trampoline_kernelINS0_13select_configILj256ELj13ELNS0_17block_load_methodE3ELS4_3ELS4_3ELNS0_20block_scan_algorithmE0ELj4294967295EEENS1_25partition_config_selectorILNS1_17partition_subalgoE4EjNS0_10empty_typeEbEEZZNS1_14partition_implILS8_4ELb0ES6_15HIP_vector_typeIjLj2EENS0_17counting_iteratorIjlEEPS9_SG_NS0_5tupleIJPjSI_NS0_16reverse_iteratorISI_EEEEENSH_IJSG_SG_SG_EEES9_SI_JZNS1_25segmented_radix_sort_implINS0_14default_configELb1EPKaPaPKlPlN2at6native12_GLOBAL__N_18offset_tEEE10hipError_tPvRmT1_PNSt15iterator_traitsIS12_E10value_typeET2_T3_PNS13_IS18_E10value_typeET4_jRbjT5_S1E_jjP12ihipStream_tbEUljE_ZNSN_ISO_Lb1ESQ_SR_ST_SU_SY_EESZ_S10_S11_S12_S16_S17_S18_S1B_S1C_jS1D_jS1E_S1E_jjS1G_bEUljE0_EEESZ_S10_S11_S18_S1C_S1E_T6_T7_T9_mT8_S1G_bDpT10_ENKUlT_T0_E_clISt17integral_constantIbLb1EES1T_IbLb0EEEEDaS1P_S1Q_EUlS1P_E_NS1_11comp_targetILNS1_3genE10ELNS1_11target_archE1200ELNS1_3gpuE4ELNS1_3repE0EEENS1_30default_config_static_selectorELNS0_4arch9wavefront6targetE0EEEvS12_
    .private_segment_fixed_size: 0
    .sgpr_count:     0
    .sgpr_spill_count: 0
    .symbol:         _ZN7rocprim17ROCPRIM_400000_NS6detail17trampoline_kernelINS0_13select_configILj256ELj13ELNS0_17block_load_methodE3ELS4_3ELS4_3ELNS0_20block_scan_algorithmE0ELj4294967295EEENS1_25partition_config_selectorILNS1_17partition_subalgoE4EjNS0_10empty_typeEbEEZZNS1_14partition_implILS8_4ELb0ES6_15HIP_vector_typeIjLj2EENS0_17counting_iteratorIjlEEPS9_SG_NS0_5tupleIJPjSI_NS0_16reverse_iteratorISI_EEEEENSH_IJSG_SG_SG_EEES9_SI_JZNS1_25segmented_radix_sort_implINS0_14default_configELb1EPKaPaPKlPlN2at6native12_GLOBAL__N_18offset_tEEE10hipError_tPvRmT1_PNSt15iterator_traitsIS12_E10value_typeET2_T3_PNS13_IS18_E10value_typeET4_jRbjT5_S1E_jjP12ihipStream_tbEUljE_ZNSN_ISO_Lb1ESQ_SR_ST_SU_SY_EESZ_S10_S11_S12_S16_S17_S18_S1B_S1C_jS1D_jS1E_S1E_jjS1G_bEUljE0_EEESZ_S10_S11_S18_S1C_S1E_T6_T7_T9_mT8_S1G_bDpT10_ENKUlT_T0_E_clISt17integral_constantIbLb1EES1T_IbLb0EEEEDaS1P_S1Q_EUlS1P_E_NS1_11comp_targetILNS1_3genE10ELNS1_11target_archE1200ELNS1_3gpuE4ELNS1_3repE0EEENS1_30default_config_static_selectorELNS0_4arch9wavefront6targetE0EEEvS12_.kd
    .uniform_work_group_size: 1
    .uses_dynamic_stack: false
    .vgpr_count:     0
    .vgpr_spill_count: 0
    .wavefront_size: 32
    .workgroup_processor_mode: 1
  - .args:
      - .offset:         0
        .size:           176
        .value_kind:     by_value
    .group_segment_fixed_size: 0
    .kernarg_segment_align: 8
    .kernarg_segment_size: 176
    .language:       OpenCL C
    .language_version:
      - 2
      - 0
    .max_flat_workgroup_size: 256
    .name:           _ZN7rocprim17ROCPRIM_400000_NS6detail17trampoline_kernelINS0_13select_configILj256ELj13ELNS0_17block_load_methodE3ELS4_3ELS4_3ELNS0_20block_scan_algorithmE0ELj4294967295EEENS1_25partition_config_selectorILNS1_17partition_subalgoE4EjNS0_10empty_typeEbEEZZNS1_14partition_implILS8_4ELb0ES6_15HIP_vector_typeIjLj2EENS0_17counting_iteratorIjlEEPS9_SG_NS0_5tupleIJPjSI_NS0_16reverse_iteratorISI_EEEEENSH_IJSG_SG_SG_EEES9_SI_JZNS1_25segmented_radix_sort_implINS0_14default_configELb1EPKaPaPKlPlN2at6native12_GLOBAL__N_18offset_tEEE10hipError_tPvRmT1_PNSt15iterator_traitsIS12_E10value_typeET2_T3_PNS13_IS18_E10value_typeET4_jRbjT5_S1E_jjP12ihipStream_tbEUljE_ZNSN_ISO_Lb1ESQ_SR_ST_SU_SY_EESZ_S10_S11_S12_S16_S17_S18_S1B_S1C_jS1D_jS1E_S1E_jjS1G_bEUljE0_EEESZ_S10_S11_S18_S1C_S1E_T6_T7_T9_mT8_S1G_bDpT10_ENKUlT_T0_E_clISt17integral_constantIbLb1EES1T_IbLb0EEEEDaS1P_S1Q_EUlS1P_E_NS1_11comp_targetILNS1_3genE9ELNS1_11target_archE1100ELNS1_3gpuE3ELNS1_3repE0EEENS1_30default_config_static_selectorELNS0_4arch9wavefront6targetE0EEEvS12_
    .private_segment_fixed_size: 0
    .sgpr_count:     0
    .sgpr_spill_count: 0
    .symbol:         _ZN7rocprim17ROCPRIM_400000_NS6detail17trampoline_kernelINS0_13select_configILj256ELj13ELNS0_17block_load_methodE3ELS4_3ELS4_3ELNS0_20block_scan_algorithmE0ELj4294967295EEENS1_25partition_config_selectorILNS1_17partition_subalgoE4EjNS0_10empty_typeEbEEZZNS1_14partition_implILS8_4ELb0ES6_15HIP_vector_typeIjLj2EENS0_17counting_iteratorIjlEEPS9_SG_NS0_5tupleIJPjSI_NS0_16reverse_iteratorISI_EEEEENSH_IJSG_SG_SG_EEES9_SI_JZNS1_25segmented_radix_sort_implINS0_14default_configELb1EPKaPaPKlPlN2at6native12_GLOBAL__N_18offset_tEEE10hipError_tPvRmT1_PNSt15iterator_traitsIS12_E10value_typeET2_T3_PNS13_IS18_E10value_typeET4_jRbjT5_S1E_jjP12ihipStream_tbEUljE_ZNSN_ISO_Lb1ESQ_SR_ST_SU_SY_EESZ_S10_S11_S12_S16_S17_S18_S1B_S1C_jS1D_jS1E_S1E_jjS1G_bEUljE0_EEESZ_S10_S11_S18_S1C_S1E_T6_T7_T9_mT8_S1G_bDpT10_ENKUlT_T0_E_clISt17integral_constantIbLb1EES1T_IbLb0EEEEDaS1P_S1Q_EUlS1P_E_NS1_11comp_targetILNS1_3genE9ELNS1_11target_archE1100ELNS1_3gpuE3ELNS1_3repE0EEENS1_30default_config_static_selectorELNS0_4arch9wavefront6targetE0EEEvS12_.kd
    .uniform_work_group_size: 1
    .uses_dynamic_stack: false
    .vgpr_count:     0
    .vgpr_spill_count: 0
    .wavefront_size: 32
    .workgroup_processor_mode: 1
  - .args:
      - .offset:         0
        .size:           176
        .value_kind:     by_value
    .group_segment_fixed_size: 0
    .kernarg_segment_align: 8
    .kernarg_segment_size: 176
    .language:       OpenCL C
    .language_version:
      - 2
      - 0
    .max_flat_workgroup_size: 256
    .name:           _ZN7rocprim17ROCPRIM_400000_NS6detail17trampoline_kernelINS0_13select_configILj256ELj13ELNS0_17block_load_methodE3ELS4_3ELS4_3ELNS0_20block_scan_algorithmE0ELj4294967295EEENS1_25partition_config_selectorILNS1_17partition_subalgoE4EjNS0_10empty_typeEbEEZZNS1_14partition_implILS8_4ELb0ES6_15HIP_vector_typeIjLj2EENS0_17counting_iteratorIjlEEPS9_SG_NS0_5tupleIJPjSI_NS0_16reverse_iteratorISI_EEEEENSH_IJSG_SG_SG_EEES9_SI_JZNS1_25segmented_radix_sort_implINS0_14default_configELb1EPKaPaPKlPlN2at6native12_GLOBAL__N_18offset_tEEE10hipError_tPvRmT1_PNSt15iterator_traitsIS12_E10value_typeET2_T3_PNS13_IS18_E10value_typeET4_jRbjT5_S1E_jjP12ihipStream_tbEUljE_ZNSN_ISO_Lb1ESQ_SR_ST_SU_SY_EESZ_S10_S11_S12_S16_S17_S18_S1B_S1C_jS1D_jS1E_S1E_jjS1G_bEUljE0_EEESZ_S10_S11_S18_S1C_S1E_T6_T7_T9_mT8_S1G_bDpT10_ENKUlT_T0_E_clISt17integral_constantIbLb1EES1T_IbLb0EEEEDaS1P_S1Q_EUlS1P_E_NS1_11comp_targetILNS1_3genE8ELNS1_11target_archE1030ELNS1_3gpuE2ELNS1_3repE0EEENS1_30default_config_static_selectorELNS0_4arch9wavefront6targetE0EEEvS12_
    .private_segment_fixed_size: 0
    .sgpr_count:     0
    .sgpr_spill_count: 0
    .symbol:         _ZN7rocprim17ROCPRIM_400000_NS6detail17trampoline_kernelINS0_13select_configILj256ELj13ELNS0_17block_load_methodE3ELS4_3ELS4_3ELNS0_20block_scan_algorithmE0ELj4294967295EEENS1_25partition_config_selectorILNS1_17partition_subalgoE4EjNS0_10empty_typeEbEEZZNS1_14partition_implILS8_4ELb0ES6_15HIP_vector_typeIjLj2EENS0_17counting_iteratorIjlEEPS9_SG_NS0_5tupleIJPjSI_NS0_16reverse_iteratorISI_EEEEENSH_IJSG_SG_SG_EEES9_SI_JZNS1_25segmented_radix_sort_implINS0_14default_configELb1EPKaPaPKlPlN2at6native12_GLOBAL__N_18offset_tEEE10hipError_tPvRmT1_PNSt15iterator_traitsIS12_E10value_typeET2_T3_PNS13_IS18_E10value_typeET4_jRbjT5_S1E_jjP12ihipStream_tbEUljE_ZNSN_ISO_Lb1ESQ_SR_ST_SU_SY_EESZ_S10_S11_S12_S16_S17_S18_S1B_S1C_jS1D_jS1E_S1E_jjS1G_bEUljE0_EEESZ_S10_S11_S18_S1C_S1E_T6_T7_T9_mT8_S1G_bDpT10_ENKUlT_T0_E_clISt17integral_constantIbLb1EES1T_IbLb0EEEEDaS1P_S1Q_EUlS1P_E_NS1_11comp_targetILNS1_3genE8ELNS1_11target_archE1030ELNS1_3gpuE2ELNS1_3repE0EEENS1_30default_config_static_selectorELNS0_4arch9wavefront6targetE0EEEvS12_.kd
    .uniform_work_group_size: 1
    .uses_dynamic_stack: false
    .vgpr_count:     0
    .vgpr_spill_count: 0
    .wavefront_size: 32
    .workgroup_processor_mode: 1
  - .args:
      - .offset:         0
        .size:           184
        .value_kind:     by_value
    .group_segment_fixed_size: 0
    .kernarg_segment_align: 8
    .kernarg_segment_size: 184
    .language:       OpenCL C
    .language_version:
      - 2
      - 0
    .max_flat_workgroup_size: 256
    .name:           _ZN7rocprim17ROCPRIM_400000_NS6detail17trampoline_kernelINS0_13select_configILj256ELj13ELNS0_17block_load_methodE3ELS4_3ELS4_3ELNS0_20block_scan_algorithmE0ELj4294967295EEENS1_25partition_config_selectorILNS1_17partition_subalgoE4EjNS0_10empty_typeEbEEZZNS1_14partition_implILS8_4ELb0ES6_15HIP_vector_typeIjLj2EENS0_17counting_iteratorIjlEEPS9_SG_NS0_5tupleIJPjSI_NS0_16reverse_iteratorISI_EEEEENSH_IJSG_SG_SG_EEES9_SI_JZNS1_25segmented_radix_sort_implINS0_14default_configELb1EPKaPaPKlPlN2at6native12_GLOBAL__N_18offset_tEEE10hipError_tPvRmT1_PNSt15iterator_traitsIS12_E10value_typeET2_T3_PNS13_IS18_E10value_typeET4_jRbjT5_S1E_jjP12ihipStream_tbEUljE_ZNSN_ISO_Lb1ESQ_SR_ST_SU_SY_EESZ_S10_S11_S12_S16_S17_S18_S1B_S1C_jS1D_jS1E_S1E_jjS1G_bEUljE0_EEESZ_S10_S11_S18_S1C_S1E_T6_T7_T9_mT8_S1G_bDpT10_ENKUlT_T0_E_clISt17integral_constantIbLb0EES1T_IbLb1EEEEDaS1P_S1Q_EUlS1P_E_NS1_11comp_targetILNS1_3genE0ELNS1_11target_archE4294967295ELNS1_3gpuE0ELNS1_3repE0EEENS1_30default_config_static_selectorELNS0_4arch9wavefront6targetE0EEEvS12_
    .private_segment_fixed_size: 0
    .sgpr_count:     0
    .sgpr_spill_count: 0
    .symbol:         _ZN7rocprim17ROCPRIM_400000_NS6detail17trampoline_kernelINS0_13select_configILj256ELj13ELNS0_17block_load_methodE3ELS4_3ELS4_3ELNS0_20block_scan_algorithmE0ELj4294967295EEENS1_25partition_config_selectorILNS1_17partition_subalgoE4EjNS0_10empty_typeEbEEZZNS1_14partition_implILS8_4ELb0ES6_15HIP_vector_typeIjLj2EENS0_17counting_iteratorIjlEEPS9_SG_NS0_5tupleIJPjSI_NS0_16reverse_iteratorISI_EEEEENSH_IJSG_SG_SG_EEES9_SI_JZNS1_25segmented_radix_sort_implINS0_14default_configELb1EPKaPaPKlPlN2at6native12_GLOBAL__N_18offset_tEEE10hipError_tPvRmT1_PNSt15iterator_traitsIS12_E10value_typeET2_T3_PNS13_IS18_E10value_typeET4_jRbjT5_S1E_jjP12ihipStream_tbEUljE_ZNSN_ISO_Lb1ESQ_SR_ST_SU_SY_EESZ_S10_S11_S12_S16_S17_S18_S1B_S1C_jS1D_jS1E_S1E_jjS1G_bEUljE0_EEESZ_S10_S11_S18_S1C_S1E_T6_T7_T9_mT8_S1G_bDpT10_ENKUlT_T0_E_clISt17integral_constantIbLb0EES1T_IbLb1EEEEDaS1P_S1Q_EUlS1P_E_NS1_11comp_targetILNS1_3genE0ELNS1_11target_archE4294967295ELNS1_3gpuE0ELNS1_3repE0EEENS1_30default_config_static_selectorELNS0_4arch9wavefront6targetE0EEEvS12_.kd
    .uniform_work_group_size: 1
    .uses_dynamic_stack: false
    .vgpr_count:     0
    .vgpr_spill_count: 0
    .wavefront_size: 32
    .workgroup_processor_mode: 1
  - .args:
      - .offset:         0
        .size:           184
        .value_kind:     by_value
    .group_segment_fixed_size: 0
    .kernarg_segment_align: 8
    .kernarg_segment_size: 184
    .language:       OpenCL C
    .language_version:
      - 2
      - 0
    .max_flat_workgroup_size: 256
    .name:           _ZN7rocprim17ROCPRIM_400000_NS6detail17trampoline_kernelINS0_13select_configILj256ELj13ELNS0_17block_load_methodE3ELS4_3ELS4_3ELNS0_20block_scan_algorithmE0ELj4294967295EEENS1_25partition_config_selectorILNS1_17partition_subalgoE4EjNS0_10empty_typeEbEEZZNS1_14partition_implILS8_4ELb0ES6_15HIP_vector_typeIjLj2EENS0_17counting_iteratorIjlEEPS9_SG_NS0_5tupleIJPjSI_NS0_16reverse_iteratorISI_EEEEENSH_IJSG_SG_SG_EEES9_SI_JZNS1_25segmented_radix_sort_implINS0_14default_configELb1EPKaPaPKlPlN2at6native12_GLOBAL__N_18offset_tEEE10hipError_tPvRmT1_PNSt15iterator_traitsIS12_E10value_typeET2_T3_PNS13_IS18_E10value_typeET4_jRbjT5_S1E_jjP12ihipStream_tbEUljE_ZNSN_ISO_Lb1ESQ_SR_ST_SU_SY_EESZ_S10_S11_S12_S16_S17_S18_S1B_S1C_jS1D_jS1E_S1E_jjS1G_bEUljE0_EEESZ_S10_S11_S18_S1C_S1E_T6_T7_T9_mT8_S1G_bDpT10_ENKUlT_T0_E_clISt17integral_constantIbLb0EES1T_IbLb1EEEEDaS1P_S1Q_EUlS1P_E_NS1_11comp_targetILNS1_3genE5ELNS1_11target_archE942ELNS1_3gpuE9ELNS1_3repE0EEENS1_30default_config_static_selectorELNS0_4arch9wavefront6targetE0EEEvS12_
    .private_segment_fixed_size: 0
    .sgpr_count:     0
    .sgpr_spill_count: 0
    .symbol:         _ZN7rocprim17ROCPRIM_400000_NS6detail17trampoline_kernelINS0_13select_configILj256ELj13ELNS0_17block_load_methodE3ELS4_3ELS4_3ELNS0_20block_scan_algorithmE0ELj4294967295EEENS1_25partition_config_selectorILNS1_17partition_subalgoE4EjNS0_10empty_typeEbEEZZNS1_14partition_implILS8_4ELb0ES6_15HIP_vector_typeIjLj2EENS0_17counting_iteratorIjlEEPS9_SG_NS0_5tupleIJPjSI_NS0_16reverse_iteratorISI_EEEEENSH_IJSG_SG_SG_EEES9_SI_JZNS1_25segmented_radix_sort_implINS0_14default_configELb1EPKaPaPKlPlN2at6native12_GLOBAL__N_18offset_tEEE10hipError_tPvRmT1_PNSt15iterator_traitsIS12_E10value_typeET2_T3_PNS13_IS18_E10value_typeET4_jRbjT5_S1E_jjP12ihipStream_tbEUljE_ZNSN_ISO_Lb1ESQ_SR_ST_SU_SY_EESZ_S10_S11_S12_S16_S17_S18_S1B_S1C_jS1D_jS1E_S1E_jjS1G_bEUljE0_EEESZ_S10_S11_S18_S1C_S1E_T6_T7_T9_mT8_S1G_bDpT10_ENKUlT_T0_E_clISt17integral_constantIbLb0EES1T_IbLb1EEEEDaS1P_S1Q_EUlS1P_E_NS1_11comp_targetILNS1_3genE5ELNS1_11target_archE942ELNS1_3gpuE9ELNS1_3repE0EEENS1_30default_config_static_selectorELNS0_4arch9wavefront6targetE0EEEvS12_.kd
    .uniform_work_group_size: 1
    .uses_dynamic_stack: false
    .vgpr_count:     0
    .vgpr_spill_count: 0
    .wavefront_size: 32
    .workgroup_processor_mode: 1
  - .args:
      - .offset:         0
        .size:           184
        .value_kind:     by_value
    .group_segment_fixed_size: 0
    .kernarg_segment_align: 8
    .kernarg_segment_size: 184
    .language:       OpenCL C
    .language_version:
      - 2
      - 0
    .max_flat_workgroup_size: 256
    .name:           _ZN7rocprim17ROCPRIM_400000_NS6detail17trampoline_kernelINS0_13select_configILj256ELj13ELNS0_17block_load_methodE3ELS4_3ELS4_3ELNS0_20block_scan_algorithmE0ELj4294967295EEENS1_25partition_config_selectorILNS1_17partition_subalgoE4EjNS0_10empty_typeEbEEZZNS1_14partition_implILS8_4ELb0ES6_15HIP_vector_typeIjLj2EENS0_17counting_iteratorIjlEEPS9_SG_NS0_5tupleIJPjSI_NS0_16reverse_iteratorISI_EEEEENSH_IJSG_SG_SG_EEES9_SI_JZNS1_25segmented_radix_sort_implINS0_14default_configELb1EPKaPaPKlPlN2at6native12_GLOBAL__N_18offset_tEEE10hipError_tPvRmT1_PNSt15iterator_traitsIS12_E10value_typeET2_T3_PNS13_IS18_E10value_typeET4_jRbjT5_S1E_jjP12ihipStream_tbEUljE_ZNSN_ISO_Lb1ESQ_SR_ST_SU_SY_EESZ_S10_S11_S12_S16_S17_S18_S1B_S1C_jS1D_jS1E_S1E_jjS1G_bEUljE0_EEESZ_S10_S11_S18_S1C_S1E_T6_T7_T9_mT8_S1G_bDpT10_ENKUlT_T0_E_clISt17integral_constantIbLb0EES1T_IbLb1EEEEDaS1P_S1Q_EUlS1P_E_NS1_11comp_targetILNS1_3genE4ELNS1_11target_archE910ELNS1_3gpuE8ELNS1_3repE0EEENS1_30default_config_static_selectorELNS0_4arch9wavefront6targetE0EEEvS12_
    .private_segment_fixed_size: 0
    .sgpr_count:     0
    .sgpr_spill_count: 0
    .symbol:         _ZN7rocprim17ROCPRIM_400000_NS6detail17trampoline_kernelINS0_13select_configILj256ELj13ELNS0_17block_load_methodE3ELS4_3ELS4_3ELNS0_20block_scan_algorithmE0ELj4294967295EEENS1_25partition_config_selectorILNS1_17partition_subalgoE4EjNS0_10empty_typeEbEEZZNS1_14partition_implILS8_4ELb0ES6_15HIP_vector_typeIjLj2EENS0_17counting_iteratorIjlEEPS9_SG_NS0_5tupleIJPjSI_NS0_16reverse_iteratorISI_EEEEENSH_IJSG_SG_SG_EEES9_SI_JZNS1_25segmented_radix_sort_implINS0_14default_configELb1EPKaPaPKlPlN2at6native12_GLOBAL__N_18offset_tEEE10hipError_tPvRmT1_PNSt15iterator_traitsIS12_E10value_typeET2_T3_PNS13_IS18_E10value_typeET4_jRbjT5_S1E_jjP12ihipStream_tbEUljE_ZNSN_ISO_Lb1ESQ_SR_ST_SU_SY_EESZ_S10_S11_S12_S16_S17_S18_S1B_S1C_jS1D_jS1E_S1E_jjS1G_bEUljE0_EEESZ_S10_S11_S18_S1C_S1E_T6_T7_T9_mT8_S1G_bDpT10_ENKUlT_T0_E_clISt17integral_constantIbLb0EES1T_IbLb1EEEEDaS1P_S1Q_EUlS1P_E_NS1_11comp_targetILNS1_3genE4ELNS1_11target_archE910ELNS1_3gpuE8ELNS1_3repE0EEENS1_30default_config_static_selectorELNS0_4arch9wavefront6targetE0EEEvS12_.kd
    .uniform_work_group_size: 1
    .uses_dynamic_stack: false
    .vgpr_count:     0
    .vgpr_spill_count: 0
    .wavefront_size: 32
    .workgroup_processor_mode: 1
  - .args:
      - .offset:         0
        .size:           184
        .value_kind:     by_value
    .group_segment_fixed_size: 0
    .kernarg_segment_align: 8
    .kernarg_segment_size: 184
    .language:       OpenCL C
    .language_version:
      - 2
      - 0
    .max_flat_workgroup_size: 256
    .name:           _ZN7rocprim17ROCPRIM_400000_NS6detail17trampoline_kernelINS0_13select_configILj256ELj13ELNS0_17block_load_methodE3ELS4_3ELS4_3ELNS0_20block_scan_algorithmE0ELj4294967295EEENS1_25partition_config_selectorILNS1_17partition_subalgoE4EjNS0_10empty_typeEbEEZZNS1_14partition_implILS8_4ELb0ES6_15HIP_vector_typeIjLj2EENS0_17counting_iteratorIjlEEPS9_SG_NS0_5tupleIJPjSI_NS0_16reverse_iteratorISI_EEEEENSH_IJSG_SG_SG_EEES9_SI_JZNS1_25segmented_radix_sort_implINS0_14default_configELb1EPKaPaPKlPlN2at6native12_GLOBAL__N_18offset_tEEE10hipError_tPvRmT1_PNSt15iterator_traitsIS12_E10value_typeET2_T3_PNS13_IS18_E10value_typeET4_jRbjT5_S1E_jjP12ihipStream_tbEUljE_ZNSN_ISO_Lb1ESQ_SR_ST_SU_SY_EESZ_S10_S11_S12_S16_S17_S18_S1B_S1C_jS1D_jS1E_S1E_jjS1G_bEUljE0_EEESZ_S10_S11_S18_S1C_S1E_T6_T7_T9_mT8_S1G_bDpT10_ENKUlT_T0_E_clISt17integral_constantIbLb0EES1T_IbLb1EEEEDaS1P_S1Q_EUlS1P_E_NS1_11comp_targetILNS1_3genE3ELNS1_11target_archE908ELNS1_3gpuE7ELNS1_3repE0EEENS1_30default_config_static_selectorELNS0_4arch9wavefront6targetE0EEEvS12_
    .private_segment_fixed_size: 0
    .sgpr_count:     0
    .sgpr_spill_count: 0
    .symbol:         _ZN7rocprim17ROCPRIM_400000_NS6detail17trampoline_kernelINS0_13select_configILj256ELj13ELNS0_17block_load_methodE3ELS4_3ELS4_3ELNS0_20block_scan_algorithmE0ELj4294967295EEENS1_25partition_config_selectorILNS1_17partition_subalgoE4EjNS0_10empty_typeEbEEZZNS1_14partition_implILS8_4ELb0ES6_15HIP_vector_typeIjLj2EENS0_17counting_iteratorIjlEEPS9_SG_NS0_5tupleIJPjSI_NS0_16reverse_iteratorISI_EEEEENSH_IJSG_SG_SG_EEES9_SI_JZNS1_25segmented_radix_sort_implINS0_14default_configELb1EPKaPaPKlPlN2at6native12_GLOBAL__N_18offset_tEEE10hipError_tPvRmT1_PNSt15iterator_traitsIS12_E10value_typeET2_T3_PNS13_IS18_E10value_typeET4_jRbjT5_S1E_jjP12ihipStream_tbEUljE_ZNSN_ISO_Lb1ESQ_SR_ST_SU_SY_EESZ_S10_S11_S12_S16_S17_S18_S1B_S1C_jS1D_jS1E_S1E_jjS1G_bEUljE0_EEESZ_S10_S11_S18_S1C_S1E_T6_T7_T9_mT8_S1G_bDpT10_ENKUlT_T0_E_clISt17integral_constantIbLb0EES1T_IbLb1EEEEDaS1P_S1Q_EUlS1P_E_NS1_11comp_targetILNS1_3genE3ELNS1_11target_archE908ELNS1_3gpuE7ELNS1_3repE0EEENS1_30default_config_static_selectorELNS0_4arch9wavefront6targetE0EEEvS12_.kd
    .uniform_work_group_size: 1
    .uses_dynamic_stack: false
    .vgpr_count:     0
    .vgpr_spill_count: 0
    .wavefront_size: 32
    .workgroup_processor_mode: 1
  - .args:
      - .offset:         0
        .size:           184
        .value_kind:     by_value
    .group_segment_fixed_size: 0
    .kernarg_segment_align: 8
    .kernarg_segment_size: 184
    .language:       OpenCL C
    .language_version:
      - 2
      - 0
    .max_flat_workgroup_size: 256
    .name:           _ZN7rocprim17ROCPRIM_400000_NS6detail17trampoline_kernelINS0_13select_configILj256ELj13ELNS0_17block_load_methodE3ELS4_3ELS4_3ELNS0_20block_scan_algorithmE0ELj4294967295EEENS1_25partition_config_selectorILNS1_17partition_subalgoE4EjNS0_10empty_typeEbEEZZNS1_14partition_implILS8_4ELb0ES6_15HIP_vector_typeIjLj2EENS0_17counting_iteratorIjlEEPS9_SG_NS0_5tupleIJPjSI_NS0_16reverse_iteratorISI_EEEEENSH_IJSG_SG_SG_EEES9_SI_JZNS1_25segmented_radix_sort_implINS0_14default_configELb1EPKaPaPKlPlN2at6native12_GLOBAL__N_18offset_tEEE10hipError_tPvRmT1_PNSt15iterator_traitsIS12_E10value_typeET2_T3_PNS13_IS18_E10value_typeET4_jRbjT5_S1E_jjP12ihipStream_tbEUljE_ZNSN_ISO_Lb1ESQ_SR_ST_SU_SY_EESZ_S10_S11_S12_S16_S17_S18_S1B_S1C_jS1D_jS1E_S1E_jjS1G_bEUljE0_EEESZ_S10_S11_S18_S1C_S1E_T6_T7_T9_mT8_S1G_bDpT10_ENKUlT_T0_E_clISt17integral_constantIbLb0EES1T_IbLb1EEEEDaS1P_S1Q_EUlS1P_E_NS1_11comp_targetILNS1_3genE2ELNS1_11target_archE906ELNS1_3gpuE6ELNS1_3repE0EEENS1_30default_config_static_selectorELNS0_4arch9wavefront6targetE0EEEvS12_
    .private_segment_fixed_size: 0
    .sgpr_count:     0
    .sgpr_spill_count: 0
    .symbol:         _ZN7rocprim17ROCPRIM_400000_NS6detail17trampoline_kernelINS0_13select_configILj256ELj13ELNS0_17block_load_methodE3ELS4_3ELS4_3ELNS0_20block_scan_algorithmE0ELj4294967295EEENS1_25partition_config_selectorILNS1_17partition_subalgoE4EjNS0_10empty_typeEbEEZZNS1_14partition_implILS8_4ELb0ES6_15HIP_vector_typeIjLj2EENS0_17counting_iteratorIjlEEPS9_SG_NS0_5tupleIJPjSI_NS0_16reverse_iteratorISI_EEEEENSH_IJSG_SG_SG_EEES9_SI_JZNS1_25segmented_radix_sort_implINS0_14default_configELb1EPKaPaPKlPlN2at6native12_GLOBAL__N_18offset_tEEE10hipError_tPvRmT1_PNSt15iterator_traitsIS12_E10value_typeET2_T3_PNS13_IS18_E10value_typeET4_jRbjT5_S1E_jjP12ihipStream_tbEUljE_ZNSN_ISO_Lb1ESQ_SR_ST_SU_SY_EESZ_S10_S11_S12_S16_S17_S18_S1B_S1C_jS1D_jS1E_S1E_jjS1G_bEUljE0_EEESZ_S10_S11_S18_S1C_S1E_T6_T7_T9_mT8_S1G_bDpT10_ENKUlT_T0_E_clISt17integral_constantIbLb0EES1T_IbLb1EEEEDaS1P_S1Q_EUlS1P_E_NS1_11comp_targetILNS1_3genE2ELNS1_11target_archE906ELNS1_3gpuE6ELNS1_3repE0EEENS1_30default_config_static_selectorELNS0_4arch9wavefront6targetE0EEEvS12_.kd
    .uniform_work_group_size: 1
    .uses_dynamic_stack: false
    .vgpr_count:     0
    .vgpr_spill_count: 0
    .wavefront_size: 32
    .workgroup_processor_mode: 1
  - .args:
      - .offset:         0
        .size:           184
        .value_kind:     by_value
    .group_segment_fixed_size: 13328
    .kernarg_segment_align: 8
    .kernarg_segment_size: 184
    .language:       OpenCL C
    .language_version:
      - 2
      - 0
    .max_flat_workgroup_size: 256
    .name:           _ZN7rocprim17ROCPRIM_400000_NS6detail17trampoline_kernelINS0_13select_configILj256ELj13ELNS0_17block_load_methodE3ELS4_3ELS4_3ELNS0_20block_scan_algorithmE0ELj4294967295EEENS1_25partition_config_selectorILNS1_17partition_subalgoE4EjNS0_10empty_typeEbEEZZNS1_14partition_implILS8_4ELb0ES6_15HIP_vector_typeIjLj2EENS0_17counting_iteratorIjlEEPS9_SG_NS0_5tupleIJPjSI_NS0_16reverse_iteratorISI_EEEEENSH_IJSG_SG_SG_EEES9_SI_JZNS1_25segmented_radix_sort_implINS0_14default_configELb1EPKaPaPKlPlN2at6native12_GLOBAL__N_18offset_tEEE10hipError_tPvRmT1_PNSt15iterator_traitsIS12_E10value_typeET2_T3_PNS13_IS18_E10value_typeET4_jRbjT5_S1E_jjP12ihipStream_tbEUljE_ZNSN_ISO_Lb1ESQ_SR_ST_SU_SY_EESZ_S10_S11_S12_S16_S17_S18_S1B_S1C_jS1D_jS1E_S1E_jjS1G_bEUljE0_EEESZ_S10_S11_S18_S1C_S1E_T6_T7_T9_mT8_S1G_bDpT10_ENKUlT_T0_E_clISt17integral_constantIbLb0EES1T_IbLb1EEEEDaS1P_S1Q_EUlS1P_E_NS1_11comp_targetILNS1_3genE10ELNS1_11target_archE1200ELNS1_3gpuE4ELNS1_3repE0EEENS1_30default_config_static_selectorELNS0_4arch9wavefront6targetE0EEEvS12_
    .private_segment_fixed_size: 0
    .sgpr_count:     57
    .sgpr_spill_count: 0
    .symbol:         _ZN7rocprim17ROCPRIM_400000_NS6detail17trampoline_kernelINS0_13select_configILj256ELj13ELNS0_17block_load_methodE3ELS4_3ELS4_3ELNS0_20block_scan_algorithmE0ELj4294967295EEENS1_25partition_config_selectorILNS1_17partition_subalgoE4EjNS0_10empty_typeEbEEZZNS1_14partition_implILS8_4ELb0ES6_15HIP_vector_typeIjLj2EENS0_17counting_iteratorIjlEEPS9_SG_NS0_5tupleIJPjSI_NS0_16reverse_iteratorISI_EEEEENSH_IJSG_SG_SG_EEES9_SI_JZNS1_25segmented_radix_sort_implINS0_14default_configELb1EPKaPaPKlPlN2at6native12_GLOBAL__N_18offset_tEEE10hipError_tPvRmT1_PNSt15iterator_traitsIS12_E10value_typeET2_T3_PNS13_IS18_E10value_typeET4_jRbjT5_S1E_jjP12ihipStream_tbEUljE_ZNSN_ISO_Lb1ESQ_SR_ST_SU_SY_EESZ_S10_S11_S12_S16_S17_S18_S1B_S1C_jS1D_jS1E_S1E_jjS1G_bEUljE0_EEESZ_S10_S11_S18_S1C_S1E_T6_T7_T9_mT8_S1G_bDpT10_ENKUlT_T0_E_clISt17integral_constantIbLb0EES1T_IbLb1EEEEDaS1P_S1Q_EUlS1P_E_NS1_11comp_targetILNS1_3genE10ELNS1_11target_archE1200ELNS1_3gpuE4ELNS1_3repE0EEENS1_30default_config_static_selectorELNS0_4arch9wavefront6targetE0EEEvS12_.kd
    .uniform_work_group_size: 1
    .uses_dynamic_stack: false
    .vgpr_count:     98
    .vgpr_spill_count: 0
    .wavefront_size: 32
    .workgroup_processor_mode: 1
  - .args:
      - .offset:         0
        .size:           184
        .value_kind:     by_value
    .group_segment_fixed_size: 0
    .kernarg_segment_align: 8
    .kernarg_segment_size: 184
    .language:       OpenCL C
    .language_version:
      - 2
      - 0
    .max_flat_workgroup_size: 256
    .name:           _ZN7rocprim17ROCPRIM_400000_NS6detail17trampoline_kernelINS0_13select_configILj256ELj13ELNS0_17block_load_methodE3ELS4_3ELS4_3ELNS0_20block_scan_algorithmE0ELj4294967295EEENS1_25partition_config_selectorILNS1_17partition_subalgoE4EjNS0_10empty_typeEbEEZZNS1_14partition_implILS8_4ELb0ES6_15HIP_vector_typeIjLj2EENS0_17counting_iteratorIjlEEPS9_SG_NS0_5tupleIJPjSI_NS0_16reverse_iteratorISI_EEEEENSH_IJSG_SG_SG_EEES9_SI_JZNS1_25segmented_radix_sort_implINS0_14default_configELb1EPKaPaPKlPlN2at6native12_GLOBAL__N_18offset_tEEE10hipError_tPvRmT1_PNSt15iterator_traitsIS12_E10value_typeET2_T3_PNS13_IS18_E10value_typeET4_jRbjT5_S1E_jjP12ihipStream_tbEUljE_ZNSN_ISO_Lb1ESQ_SR_ST_SU_SY_EESZ_S10_S11_S12_S16_S17_S18_S1B_S1C_jS1D_jS1E_S1E_jjS1G_bEUljE0_EEESZ_S10_S11_S18_S1C_S1E_T6_T7_T9_mT8_S1G_bDpT10_ENKUlT_T0_E_clISt17integral_constantIbLb0EES1T_IbLb1EEEEDaS1P_S1Q_EUlS1P_E_NS1_11comp_targetILNS1_3genE9ELNS1_11target_archE1100ELNS1_3gpuE3ELNS1_3repE0EEENS1_30default_config_static_selectorELNS0_4arch9wavefront6targetE0EEEvS12_
    .private_segment_fixed_size: 0
    .sgpr_count:     0
    .sgpr_spill_count: 0
    .symbol:         _ZN7rocprim17ROCPRIM_400000_NS6detail17trampoline_kernelINS0_13select_configILj256ELj13ELNS0_17block_load_methodE3ELS4_3ELS4_3ELNS0_20block_scan_algorithmE0ELj4294967295EEENS1_25partition_config_selectorILNS1_17partition_subalgoE4EjNS0_10empty_typeEbEEZZNS1_14partition_implILS8_4ELb0ES6_15HIP_vector_typeIjLj2EENS0_17counting_iteratorIjlEEPS9_SG_NS0_5tupleIJPjSI_NS0_16reverse_iteratorISI_EEEEENSH_IJSG_SG_SG_EEES9_SI_JZNS1_25segmented_radix_sort_implINS0_14default_configELb1EPKaPaPKlPlN2at6native12_GLOBAL__N_18offset_tEEE10hipError_tPvRmT1_PNSt15iterator_traitsIS12_E10value_typeET2_T3_PNS13_IS18_E10value_typeET4_jRbjT5_S1E_jjP12ihipStream_tbEUljE_ZNSN_ISO_Lb1ESQ_SR_ST_SU_SY_EESZ_S10_S11_S12_S16_S17_S18_S1B_S1C_jS1D_jS1E_S1E_jjS1G_bEUljE0_EEESZ_S10_S11_S18_S1C_S1E_T6_T7_T9_mT8_S1G_bDpT10_ENKUlT_T0_E_clISt17integral_constantIbLb0EES1T_IbLb1EEEEDaS1P_S1Q_EUlS1P_E_NS1_11comp_targetILNS1_3genE9ELNS1_11target_archE1100ELNS1_3gpuE3ELNS1_3repE0EEENS1_30default_config_static_selectorELNS0_4arch9wavefront6targetE0EEEvS12_.kd
    .uniform_work_group_size: 1
    .uses_dynamic_stack: false
    .vgpr_count:     0
    .vgpr_spill_count: 0
    .wavefront_size: 32
    .workgroup_processor_mode: 1
  - .args:
      - .offset:         0
        .size:           184
        .value_kind:     by_value
    .group_segment_fixed_size: 0
    .kernarg_segment_align: 8
    .kernarg_segment_size: 184
    .language:       OpenCL C
    .language_version:
      - 2
      - 0
    .max_flat_workgroup_size: 256
    .name:           _ZN7rocprim17ROCPRIM_400000_NS6detail17trampoline_kernelINS0_13select_configILj256ELj13ELNS0_17block_load_methodE3ELS4_3ELS4_3ELNS0_20block_scan_algorithmE0ELj4294967295EEENS1_25partition_config_selectorILNS1_17partition_subalgoE4EjNS0_10empty_typeEbEEZZNS1_14partition_implILS8_4ELb0ES6_15HIP_vector_typeIjLj2EENS0_17counting_iteratorIjlEEPS9_SG_NS0_5tupleIJPjSI_NS0_16reverse_iteratorISI_EEEEENSH_IJSG_SG_SG_EEES9_SI_JZNS1_25segmented_radix_sort_implINS0_14default_configELb1EPKaPaPKlPlN2at6native12_GLOBAL__N_18offset_tEEE10hipError_tPvRmT1_PNSt15iterator_traitsIS12_E10value_typeET2_T3_PNS13_IS18_E10value_typeET4_jRbjT5_S1E_jjP12ihipStream_tbEUljE_ZNSN_ISO_Lb1ESQ_SR_ST_SU_SY_EESZ_S10_S11_S12_S16_S17_S18_S1B_S1C_jS1D_jS1E_S1E_jjS1G_bEUljE0_EEESZ_S10_S11_S18_S1C_S1E_T6_T7_T9_mT8_S1G_bDpT10_ENKUlT_T0_E_clISt17integral_constantIbLb0EES1T_IbLb1EEEEDaS1P_S1Q_EUlS1P_E_NS1_11comp_targetILNS1_3genE8ELNS1_11target_archE1030ELNS1_3gpuE2ELNS1_3repE0EEENS1_30default_config_static_selectorELNS0_4arch9wavefront6targetE0EEEvS12_
    .private_segment_fixed_size: 0
    .sgpr_count:     0
    .sgpr_spill_count: 0
    .symbol:         _ZN7rocprim17ROCPRIM_400000_NS6detail17trampoline_kernelINS0_13select_configILj256ELj13ELNS0_17block_load_methodE3ELS4_3ELS4_3ELNS0_20block_scan_algorithmE0ELj4294967295EEENS1_25partition_config_selectorILNS1_17partition_subalgoE4EjNS0_10empty_typeEbEEZZNS1_14partition_implILS8_4ELb0ES6_15HIP_vector_typeIjLj2EENS0_17counting_iteratorIjlEEPS9_SG_NS0_5tupleIJPjSI_NS0_16reverse_iteratorISI_EEEEENSH_IJSG_SG_SG_EEES9_SI_JZNS1_25segmented_radix_sort_implINS0_14default_configELb1EPKaPaPKlPlN2at6native12_GLOBAL__N_18offset_tEEE10hipError_tPvRmT1_PNSt15iterator_traitsIS12_E10value_typeET2_T3_PNS13_IS18_E10value_typeET4_jRbjT5_S1E_jjP12ihipStream_tbEUljE_ZNSN_ISO_Lb1ESQ_SR_ST_SU_SY_EESZ_S10_S11_S12_S16_S17_S18_S1B_S1C_jS1D_jS1E_S1E_jjS1G_bEUljE0_EEESZ_S10_S11_S18_S1C_S1E_T6_T7_T9_mT8_S1G_bDpT10_ENKUlT_T0_E_clISt17integral_constantIbLb0EES1T_IbLb1EEEEDaS1P_S1Q_EUlS1P_E_NS1_11comp_targetILNS1_3genE8ELNS1_11target_archE1030ELNS1_3gpuE2ELNS1_3repE0EEENS1_30default_config_static_selectorELNS0_4arch9wavefront6targetE0EEEvS12_.kd
    .uniform_work_group_size: 1
    .uses_dynamic_stack: false
    .vgpr_count:     0
    .vgpr_spill_count: 0
    .wavefront_size: 32
    .workgroup_processor_mode: 1
  - .args:
      - .offset:         0
        .size:           144
        .value_kind:     by_value
    .group_segment_fixed_size: 0
    .kernarg_segment_align: 8
    .kernarg_segment_size: 144
    .language:       OpenCL C
    .language_version:
      - 2
      - 0
    .max_flat_workgroup_size: 256
    .name:           _ZN7rocprim17ROCPRIM_400000_NS6detail17trampoline_kernelINS0_13select_configILj256ELj13ELNS0_17block_load_methodE3ELS4_3ELS4_3ELNS0_20block_scan_algorithmE0ELj4294967295EEENS1_25partition_config_selectorILNS1_17partition_subalgoE3EjNS0_10empty_typeEbEEZZNS1_14partition_implILS8_3ELb0ES6_jNS0_17counting_iteratorIjlEEPS9_SE_NS0_5tupleIJPjSE_EEENSF_IJSE_SE_EEES9_SG_JZNS1_25segmented_radix_sort_implINS0_14default_configELb1EPKaPaPKlPlN2at6native12_GLOBAL__N_18offset_tEEE10hipError_tPvRmT1_PNSt15iterator_traitsISY_E10value_typeET2_T3_PNSZ_IS14_E10value_typeET4_jRbjT5_S1A_jjP12ihipStream_tbEUljE_EEESV_SW_SX_S14_S18_S1A_T6_T7_T9_mT8_S1C_bDpT10_ENKUlT_T0_E_clISt17integral_constantIbLb0EES1P_EEDaS1K_S1L_EUlS1K_E_NS1_11comp_targetILNS1_3genE0ELNS1_11target_archE4294967295ELNS1_3gpuE0ELNS1_3repE0EEENS1_30default_config_static_selectorELNS0_4arch9wavefront6targetE0EEEvSY_
    .private_segment_fixed_size: 0
    .sgpr_count:     0
    .sgpr_spill_count: 0
    .symbol:         _ZN7rocprim17ROCPRIM_400000_NS6detail17trampoline_kernelINS0_13select_configILj256ELj13ELNS0_17block_load_methodE3ELS4_3ELS4_3ELNS0_20block_scan_algorithmE0ELj4294967295EEENS1_25partition_config_selectorILNS1_17partition_subalgoE3EjNS0_10empty_typeEbEEZZNS1_14partition_implILS8_3ELb0ES6_jNS0_17counting_iteratorIjlEEPS9_SE_NS0_5tupleIJPjSE_EEENSF_IJSE_SE_EEES9_SG_JZNS1_25segmented_radix_sort_implINS0_14default_configELb1EPKaPaPKlPlN2at6native12_GLOBAL__N_18offset_tEEE10hipError_tPvRmT1_PNSt15iterator_traitsISY_E10value_typeET2_T3_PNSZ_IS14_E10value_typeET4_jRbjT5_S1A_jjP12ihipStream_tbEUljE_EEESV_SW_SX_S14_S18_S1A_T6_T7_T9_mT8_S1C_bDpT10_ENKUlT_T0_E_clISt17integral_constantIbLb0EES1P_EEDaS1K_S1L_EUlS1K_E_NS1_11comp_targetILNS1_3genE0ELNS1_11target_archE4294967295ELNS1_3gpuE0ELNS1_3repE0EEENS1_30default_config_static_selectorELNS0_4arch9wavefront6targetE0EEEvSY_.kd
    .uniform_work_group_size: 1
    .uses_dynamic_stack: false
    .vgpr_count:     0
    .vgpr_spill_count: 0
    .wavefront_size: 32
    .workgroup_processor_mode: 1
  - .args:
      - .offset:         0
        .size:           144
        .value_kind:     by_value
    .group_segment_fixed_size: 0
    .kernarg_segment_align: 8
    .kernarg_segment_size: 144
    .language:       OpenCL C
    .language_version:
      - 2
      - 0
    .max_flat_workgroup_size: 256
    .name:           _ZN7rocprim17ROCPRIM_400000_NS6detail17trampoline_kernelINS0_13select_configILj256ELj13ELNS0_17block_load_methodE3ELS4_3ELS4_3ELNS0_20block_scan_algorithmE0ELj4294967295EEENS1_25partition_config_selectorILNS1_17partition_subalgoE3EjNS0_10empty_typeEbEEZZNS1_14partition_implILS8_3ELb0ES6_jNS0_17counting_iteratorIjlEEPS9_SE_NS0_5tupleIJPjSE_EEENSF_IJSE_SE_EEES9_SG_JZNS1_25segmented_radix_sort_implINS0_14default_configELb1EPKaPaPKlPlN2at6native12_GLOBAL__N_18offset_tEEE10hipError_tPvRmT1_PNSt15iterator_traitsISY_E10value_typeET2_T3_PNSZ_IS14_E10value_typeET4_jRbjT5_S1A_jjP12ihipStream_tbEUljE_EEESV_SW_SX_S14_S18_S1A_T6_T7_T9_mT8_S1C_bDpT10_ENKUlT_T0_E_clISt17integral_constantIbLb0EES1P_EEDaS1K_S1L_EUlS1K_E_NS1_11comp_targetILNS1_3genE5ELNS1_11target_archE942ELNS1_3gpuE9ELNS1_3repE0EEENS1_30default_config_static_selectorELNS0_4arch9wavefront6targetE0EEEvSY_
    .private_segment_fixed_size: 0
    .sgpr_count:     0
    .sgpr_spill_count: 0
    .symbol:         _ZN7rocprim17ROCPRIM_400000_NS6detail17trampoline_kernelINS0_13select_configILj256ELj13ELNS0_17block_load_methodE3ELS4_3ELS4_3ELNS0_20block_scan_algorithmE0ELj4294967295EEENS1_25partition_config_selectorILNS1_17partition_subalgoE3EjNS0_10empty_typeEbEEZZNS1_14partition_implILS8_3ELb0ES6_jNS0_17counting_iteratorIjlEEPS9_SE_NS0_5tupleIJPjSE_EEENSF_IJSE_SE_EEES9_SG_JZNS1_25segmented_radix_sort_implINS0_14default_configELb1EPKaPaPKlPlN2at6native12_GLOBAL__N_18offset_tEEE10hipError_tPvRmT1_PNSt15iterator_traitsISY_E10value_typeET2_T3_PNSZ_IS14_E10value_typeET4_jRbjT5_S1A_jjP12ihipStream_tbEUljE_EEESV_SW_SX_S14_S18_S1A_T6_T7_T9_mT8_S1C_bDpT10_ENKUlT_T0_E_clISt17integral_constantIbLb0EES1P_EEDaS1K_S1L_EUlS1K_E_NS1_11comp_targetILNS1_3genE5ELNS1_11target_archE942ELNS1_3gpuE9ELNS1_3repE0EEENS1_30default_config_static_selectorELNS0_4arch9wavefront6targetE0EEEvSY_.kd
    .uniform_work_group_size: 1
    .uses_dynamic_stack: false
    .vgpr_count:     0
    .vgpr_spill_count: 0
    .wavefront_size: 32
    .workgroup_processor_mode: 1
  - .args:
      - .offset:         0
        .size:           144
        .value_kind:     by_value
    .group_segment_fixed_size: 0
    .kernarg_segment_align: 8
    .kernarg_segment_size: 144
    .language:       OpenCL C
    .language_version:
      - 2
      - 0
    .max_flat_workgroup_size: 256
    .name:           _ZN7rocprim17ROCPRIM_400000_NS6detail17trampoline_kernelINS0_13select_configILj256ELj13ELNS0_17block_load_methodE3ELS4_3ELS4_3ELNS0_20block_scan_algorithmE0ELj4294967295EEENS1_25partition_config_selectorILNS1_17partition_subalgoE3EjNS0_10empty_typeEbEEZZNS1_14partition_implILS8_3ELb0ES6_jNS0_17counting_iteratorIjlEEPS9_SE_NS0_5tupleIJPjSE_EEENSF_IJSE_SE_EEES9_SG_JZNS1_25segmented_radix_sort_implINS0_14default_configELb1EPKaPaPKlPlN2at6native12_GLOBAL__N_18offset_tEEE10hipError_tPvRmT1_PNSt15iterator_traitsISY_E10value_typeET2_T3_PNSZ_IS14_E10value_typeET4_jRbjT5_S1A_jjP12ihipStream_tbEUljE_EEESV_SW_SX_S14_S18_S1A_T6_T7_T9_mT8_S1C_bDpT10_ENKUlT_T0_E_clISt17integral_constantIbLb0EES1P_EEDaS1K_S1L_EUlS1K_E_NS1_11comp_targetILNS1_3genE4ELNS1_11target_archE910ELNS1_3gpuE8ELNS1_3repE0EEENS1_30default_config_static_selectorELNS0_4arch9wavefront6targetE0EEEvSY_
    .private_segment_fixed_size: 0
    .sgpr_count:     0
    .sgpr_spill_count: 0
    .symbol:         _ZN7rocprim17ROCPRIM_400000_NS6detail17trampoline_kernelINS0_13select_configILj256ELj13ELNS0_17block_load_methodE3ELS4_3ELS4_3ELNS0_20block_scan_algorithmE0ELj4294967295EEENS1_25partition_config_selectorILNS1_17partition_subalgoE3EjNS0_10empty_typeEbEEZZNS1_14partition_implILS8_3ELb0ES6_jNS0_17counting_iteratorIjlEEPS9_SE_NS0_5tupleIJPjSE_EEENSF_IJSE_SE_EEES9_SG_JZNS1_25segmented_radix_sort_implINS0_14default_configELb1EPKaPaPKlPlN2at6native12_GLOBAL__N_18offset_tEEE10hipError_tPvRmT1_PNSt15iterator_traitsISY_E10value_typeET2_T3_PNSZ_IS14_E10value_typeET4_jRbjT5_S1A_jjP12ihipStream_tbEUljE_EEESV_SW_SX_S14_S18_S1A_T6_T7_T9_mT8_S1C_bDpT10_ENKUlT_T0_E_clISt17integral_constantIbLb0EES1P_EEDaS1K_S1L_EUlS1K_E_NS1_11comp_targetILNS1_3genE4ELNS1_11target_archE910ELNS1_3gpuE8ELNS1_3repE0EEENS1_30default_config_static_selectorELNS0_4arch9wavefront6targetE0EEEvSY_.kd
    .uniform_work_group_size: 1
    .uses_dynamic_stack: false
    .vgpr_count:     0
    .vgpr_spill_count: 0
    .wavefront_size: 32
    .workgroup_processor_mode: 1
  - .args:
      - .offset:         0
        .size:           144
        .value_kind:     by_value
    .group_segment_fixed_size: 0
    .kernarg_segment_align: 8
    .kernarg_segment_size: 144
    .language:       OpenCL C
    .language_version:
      - 2
      - 0
    .max_flat_workgroup_size: 256
    .name:           _ZN7rocprim17ROCPRIM_400000_NS6detail17trampoline_kernelINS0_13select_configILj256ELj13ELNS0_17block_load_methodE3ELS4_3ELS4_3ELNS0_20block_scan_algorithmE0ELj4294967295EEENS1_25partition_config_selectorILNS1_17partition_subalgoE3EjNS0_10empty_typeEbEEZZNS1_14partition_implILS8_3ELb0ES6_jNS0_17counting_iteratorIjlEEPS9_SE_NS0_5tupleIJPjSE_EEENSF_IJSE_SE_EEES9_SG_JZNS1_25segmented_radix_sort_implINS0_14default_configELb1EPKaPaPKlPlN2at6native12_GLOBAL__N_18offset_tEEE10hipError_tPvRmT1_PNSt15iterator_traitsISY_E10value_typeET2_T3_PNSZ_IS14_E10value_typeET4_jRbjT5_S1A_jjP12ihipStream_tbEUljE_EEESV_SW_SX_S14_S18_S1A_T6_T7_T9_mT8_S1C_bDpT10_ENKUlT_T0_E_clISt17integral_constantIbLb0EES1P_EEDaS1K_S1L_EUlS1K_E_NS1_11comp_targetILNS1_3genE3ELNS1_11target_archE908ELNS1_3gpuE7ELNS1_3repE0EEENS1_30default_config_static_selectorELNS0_4arch9wavefront6targetE0EEEvSY_
    .private_segment_fixed_size: 0
    .sgpr_count:     0
    .sgpr_spill_count: 0
    .symbol:         _ZN7rocprim17ROCPRIM_400000_NS6detail17trampoline_kernelINS0_13select_configILj256ELj13ELNS0_17block_load_methodE3ELS4_3ELS4_3ELNS0_20block_scan_algorithmE0ELj4294967295EEENS1_25partition_config_selectorILNS1_17partition_subalgoE3EjNS0_10empty_typeEbEEZZNS1_14partition_implILS8_3ELb0ES6_jNS0_17counting_iteratorIjlEEPS9_SE_NS0_5tupleIJPjSE_EEENSF_IJSE_SE_EEES9_SG_JZNS1_25segmented_radix_sort_implINS0_14default_configELb1EPKaPaPKlPlN2at6native12_GLOBAL__N_18offset_tEEE10hipError_tPvRmT1_PNSt15iterator_traitsISY_E10value_typeET2_T3_PNSZ_IS14_E10value_typeET4_jRbjT5_S1A_jjP12ihipStream_tbEUljE_EEESV_SW_SX_S14_S18_S1A_T6_T7_T9_mT8_S1C_bDpT10_ENKUlT_T0_E_clISt17integral_constantIbLb0EES1P_EEDaS1K_S1L_EUlS1K_E_NS1_11comp_targetILNS1_3genE3ELNS1_11target_archE908ELNS1_3gpuE7ELNS1_3repE0EEENS1_30default_config_static_selectorELNS0_4arch9wavefront6targetE0EEEvSY_.kd
    .uniform_work_group_size: 1
    .uses_dynamic_stack: false
    .vgpr_count:     0
    .vgpr_spill_count: 0
    .wavefront_size: 32
    .workgroup_processor_mode: 1
  - .args:
      - .offset:         0
        .size:           144
        .value_kind:     by_value
    .group_segment_fixed_size: 0
    .kernarg_segment_align: 8
    .kernarg_segment_size: 144
    .language:       OpenCL C
    .language_version:
      - 2
      - 0
    .max_flat_workgroup_size: 256
    .name:           _ZN7rocprim17ROCPRIM_400000_NS6detail17trampoline_kernelINS0_13select_configILj256ELj13ELNS0_17block_load_methodE3ELS4_3ELS4_3ELNS0_20block_scan_algorithmE0ELj4294967295EEENS1_25partition_config_selectorILNS1_17partition_subalgoE3EjNS0_10empty_typeEbEEZZNS1_14partition_implILS8_3ELb0ES6_jNS0_17counting_iteratorIjlEEPS9_SE_NS0_5tupleIJPjSE_EEENSF_IJSE_SE_EEES9_SG_JZNS1_25segmented_radix_sort_implINS0_14default_configELb1EPKaPaPKlPlN2at6native12_GLOBAL__N_18offset_tEEE10hipError_tPvRmT1_PNSt15iterator_traitsISY_E10value_typeET2_T3_PNSZ_IS14_E10value_typeET4_jRbjT5_S1A_jjP12ihipStream_tbEUljE_EEESV_SW_SX_S14_S18_S1A_T6_T7_T9_mT8_S1C_bDpT10_ENKUlT_T0_E_clISt17integral_constantIbLb0EES1P_EEDaS1K_S1L_EUlS1K_E_NS1_11comp_targetILNS1_3genE2ELNS1_11target_archE906ELNS1_3gpuE6ELNS1_3repE0EEENS1_30default_config_static_selectorELNS0_4arch9wavefront6targetE0EEEvSY_
    .private_segment_fixed_size: 0
    .sgpr_count:     0
    .sgpr_spill_count: 0
    .symbol:         _ZN7rocprim17ROCPRIM_400000_NS6detail17trampoline_kernelINS0_13select_configILj256ELj13ELNS0_17block_load_methodE3ELS4_3ELS4_3ELNS0_20block_scan_algorithmE0ELj4294967295EEENS1_25partition_config_selectorILNS1_17partition_subalgoE3EjNS0_10empty_typeEbEEZZNS1_14partition_implILS8_3ELb0ES6_jNS0_17counting_iteratorIjlEEPS9_SE_NS0_5tupleIJPjSE_EEENSF_IJSE_SE_EEES9_SG_JZNS1_25segmented_radix_sort_implINS0_14default_configELb1EPKaPaPKlPlN2at6native12_GLOBAL__N_18offset_tEEE10hipError_tPvRmT1_PNSt15iterator_traitsISY_E10value_typeET2_T3_PNSZ_IS14_E10value_typeET4_jRbjT5_S1A_jjP12ihipStream_tbEUljE_EEESV_SW_SX_S14_S18_S1A_T6_T7_T9_mT8_S1C_bDpT10_ENKUlT_T0_E_clISt17integral_constantIbLb0EES1P_EEDaS1K_S1L_EUlS1K_E_NS1_11comp_targetILNS1_3genE2ELNS1_11target_archE906ELNS1_3gpuE6ELNS1_3repE0EEENS1_30default_config_static_selectorELNS0_4arch9wavefront6targetE0EEEvSY_.kd
    .uniform_work_group_size: 1
    .uses_dynamic_stack: false
    .vgpr_count:     0
    .vgpr_spill_count: 0
    .wavefront_size: 32
    .workgroup_processor_mode: 1
  - .args:
      - .offset:         0
        .size:           144
        .value_kind:     by_value
    .group_segment_fixed_size: 13320
    .kernarg_segment_align: 8
    .kernarg_segment_size: 144
    .language:       OpenCL C
    .language_version:
      - 2
      - 0
    .max_flat_workgroup_size: 256
    .name:           _ZN7rocprim17ROCPRIM_400000_NS6detail17trampoline_kernelINS0_13select_configILj256ELj13ELNS0_17block_load_methodE3ELS4_3ELS4_3ELNS0_20block_scan_algorithmE0ELj4294967295EEENS1_25partition_config_selectorILNS1_17partition_subalgoE3EjNS0_10empty_typeEbEEZZNS1_14partition_implILS8_3ELb0ES6_jNS0_17counting_iteratorIjlEEPS9_SE_NS0_5tupleIJPjSE_EEENSF_IJSE_SE_EEES9_SG_JZNS1_25segmented_radix_sort_implINS0_14default_configELb1EPKaPaPKlPlN2at6native12_GLOBAL__N_18offset_tEEE10hipError_tPvRmT1_PNSt15iterator_traitsISY_E10value_typeET2_T3_PNSZ_IS14_E10value_typeET4_jRbjT5_S1A_jjP12ihipStream_tbEUljE_EEESV_SW_SX_S14_S18_S1A_T6_T7_T9_mT8_S1C_bDpT10_ENKUlT_T0_E_clISt17integral_constantIbLb0EES1P_EEDaS1K_S1L_EUlS1K_E_NS1_11comp_targetILNS1_3genE10ELNS1_11target_archE1200ELNS1_3gpuE4ELNS1_3repE0EEENS1_30default_config_static_selectorELNS0_4arch9wavefront6targetE0EEEvSY_
    .private_segment_fixed_size: 0
    .sgpr_count:     28
    .sgpr_spill_count: 0
    .symbol:         _ZN7rocprim17ROCPRIM_400000_NS6detail17trampoline_kernelINS0_13select_configILj256ELj13ELNS0_17block_load_methodE3ELS4_3ELS4_3ELNS0_20block_scan_algorithmE0ELj4294967295EEENS1_25partition_config_selectorILNS1_17partition_subalgoE3EjNS0_10empty_typeEbEEZZNS1_14partition_implILS8_3ELb0ES6_jNS0_17counting_iteratorIjlEEPS9_SE_NS0_5tupleIJPjSE_EEENSF_IJSE_SE_EEES9_SG_JZNS1_25segmented_radix_sort_implINS0_14default_configELb1EPKaPaPKlPlN2at6native12_GLOBAL__N_18offset_tEEE10hipError_tPvRmT1_PNSt15iterator_traitsISY_E10value_typeET2_T3_PNSZ_IS14_E10value_typeET4_jRbjT5_S1A_jjP12ihipStream_tbEUljE_EEESV_SW_SX_S14_S18_S1A_T6_T7_T9_mT8_S1C_bDpT10_ENKUlT_T0_E_clISt17integral_constantIbLb0EES1P_EEDaS1K_S1L_EUlS1K_E_NS1_11comp_targetILNS1_3genE10ELNS1_11target_archE1200ELNS1_3gpuE4ELNS1_3repE0EEENS1_30default_config_static_selectorELNS0_4arch9wavefront6targetE0EEEvSY_.kd
    .uniform_work_group_size: 1
    .uses_dynamic_stack: false
    .vgpr_count:     69
    .vgpr_spill_count: 0
    .wavefront_size: 32
    .workgroup_processor_mode: 1
  - .args:
      - .offset:         0
        .size:           144
        .value_kind:     by_value
    .group_segment_fixed_size: 0
    .kernarg_segment_align: 8
    .kernarg_segment_size: 144
    .language:       OpenCL C
    .language_version:
      - 2
      - 0
    .max_flat_workgroup_size: 256
    .name:           _ZN7rocprim17ROCPRIM_400000_NS6detail17trampoline_kernelINS0_13select_configILj256ELj13ELNS0_17block_load_methodE3ELS4_3ELS4_3ELNS0_20block_scan_algorithmE0ELj4294967295EEENS1_25partition_config_selectorILNS1_17partition_subalgoE3EjNS0_10empty_typeEbEEZZNS1_14partition_implILS8_3ELb0ES6_jNS0_17counting_iteratorIjlEEPS9_SE_NS0_5tupleIJPjSE_EEENSF_IJSE_SE_EEES9_SG_JZNS1_25segmented_radix_sort_implINS0_14default_configELb1EPKaPaPKlPlN2at6native12_GLOBAL__N_18offset_tEEE10hipError_tPvRmT1_PNSt15iterator_traitsISY_E10value_typeET2_T3_PNSZ_IS14_E10value_typeET4_jRbjT5_S1A_jjP12ihipStream_tbEUljE_EEESV_SW_SX_S14_S18_S1A_T6_T7_T9_mT8_S1C_bDpT10_ENKUlT_T0_E_clISt17integral_constantIbLb0EES1P_EEDaS1K_S1L_EUlS1K_E_NS1_11comp_targetILNS1_3genE9ELNS1_11target_archE1100ELNS1_3gpuE3ELNS1_3repE0EEENS1_30default_config_static_selectorELNS0_4arch9wavefront6targetE0EEEvSY_
    .private_segment_fixed_size: 0
    .sgpr_count:     0
    .sgpr_spill_count: 0
    .symbol:         _ZN7rocprim17ROCPRIM_400000_NS6detail17trampoline_kernelINS0_13select_configILj256ELj13ELNS0_17block_load_methodE3ELS4_3ELS4_3ELNS0_20block_scan_algorithmE0ELj4294967295EEENS1_25partition_config_selectorILNS1_17partition_subalgoE3EjNS0_10empty_typeEbEEZZNS1_14partition_implILS8_3ELb0ES6_jNS0_17counting_iteratorIjlEEPS9_SE_NS0_5tupleIJPjSE_EEENSF_IJSE_SE_EEES9_SG_JZNS1_25segmented_radix_sort_implINS0_14default_configELb1EPKaPaPKlPlN2at6native12_GLOBAL__N_18offset_tEEE10hipError_tPvRmT1_PNSt15iterator_traitsISY_E10value_typeET2_T3_PNSZ_IS14_E10value_typeET4_jRbjT5_S1A_jjP12ihipStream_tbEUljE_EEESV_SW_SX_S14_S18_S1A_T6_T7_T9_mT8_S1C_bDpT10_ENKUlT_T0_E_clISt17integral_constantIbLb0EES1P_EEDaS1K_S1L_EUlS1K_E_NS1_11comp_targetILNS1_3genE9ELNS1_11target_archE1100ELNS1_3gpuE3ELNS1_3repE0EEENS1_30default_config_static_selectorELNS0_4arch9wavefront6targetE0EEEvSY_.kd
    .uniform_work_group_size: 1
    .uses_dynamic_stack: false
    .vgpr_count:     0
    .vgpr_spill_count: 0
    .wavefront_size: 32
    .workgroup_processor_mode: 1
  - .args:
      - .offset:         0
        .size:           144
        .value_kind:     by_value
    .group_segment_fixed_size: 0
    .kernarg_segment_align: 8
    .kernarg_segment_size: 144
    .language:       OpenCL C
    .language_version:
      - 2
      - 0
    .max_flat_workgroup_size: 256
    .name:           _ZN7rocprim17ROCPRIM_400000_NS6detail17trampoline_kernelINS0_13select_configILj256ELj13ELNS0_17block_load_methodE3ELS4_3ELS4_3ELNS0_20block_scan_algorithmE0ELj4294967295EEENS1_25partition_config_selectorILNS1_17partition_subalgoE3EjNS0_10empty_typeEbEEZZNS1_14partition_implILS8_3ELb0ES6_jNS0_17counting_iteratorIjlEEPS9_SE_NS0_5tupleIJPjSE_EEENSF_IJSE_SE_EEES9_SG_JZNS1_25segmented_radix_sort_implINS0_14default_configELb1EPKaPaPKlPlN2at6native12_GLOBAL__N_18offset_tEEE10hipError_tPvRmT1_PNSt15iterator_traitsISY_E10value_typeET2_T3_PNSZ_IS14_E10value_typeET4_jRbjT5_S1A_jjP12ihipStream_tbEUljE_EEESV_SW_SX_S14_S18_S1A_T6_T7_T9_mT8_S1C_bDpT10_ENKUlT_T0_E_clISt17integral_constantIbLb0EES1P_EEDaS1K_S1L_EUlS1K_E_NS1_11comp_targetILNS1_3genE8ELNS1_11target_archE1030ELNS1_3gpuE2ELNS1_3repE0EEENS1_30default_config_static_selectorELNS0_4arch9wavefront6targetE0EEEvSY_
    .private_segment_fixed_size: 0
    .sgpr_count:     0
    .sgpr_spill_count: 0
    .symbol:         _ZN7rocprim17ROCPRIM_400000_NS6detail17trampoline_kernelINS0_13select_configILj256ELj13ELNS0_17block_load_methodE3ELS4_3ELS4_3ELNS0_20block_scan_algorithmE0ELj4294967295EEENS1_25partition_config_selectorILNS1_17partition_subalgoE3EjNS0_10empty_typeEbEEZZNS1_14partition_implILS8_3ELb0ES6_jNS0_17counting_iteratorIjlEEPS9_SE_NS0_5tupleIJPjSE_EEENSF_IJSE_SE_EEES9_SG_JZNS1_25segmented_radix_sort_implINS0_14default_configELb1EPKaPaPKlPlN2at6native12_GLOBAL__N_18offset_tEEE10hipError_tPvRmT1_PNSt15iterator_traitsISY_E10value_typeET2_T3_PNSZ_IS14_E10value_typeET4_jRbjT5_S1A_jjP12ihipStream_tbEUljE_EEESV_SW_SX_S14_S18_S1A_T6_T7_T9_mT8_S1C_bDpT10_ENKUlT_T0_E_clISt17integral_constantIbLb0EES1P_EEDaS1K_S1L_EUlS1K_E_NS1_11comp_targetILNS1_3genE8ELNS1_11target_archE1030ELNS1_3gpuE2ELNS1_3repE0EEENS1_30default_config_static_selectorELNS0_4arch9wavefront6targetE0EEEvSY_.kd
    .uniform_work_group_size: 1
    .uses_dynamic_stack: false
    .vgpr_count:     0
    .vgpr_spill_count: 0
    .wavefront_size: 32
    .workgroup_processor_mode: 1
  - .args:
      - .offset:         0
        .size:           152
        .value_kind:     by_value
    .group_segment_fixed_size: 0
    .kernarg_segment_align: 8
    .kernarg_segment_size: 152
    .language:       OpenCL C
    .language_version:
      - 2
      - 0
    .max_flat_workgroup_size: 256
    .name:           _ZN7rocprim17ROCPRIM_400000_NS6detail17trampoline_kernelINS0_13select_configILj256ELj13ELNS0_17block_load_methodE3ELS4_3ELS4_3ELNS0_20block_scan_algorithmE0ELj4294967295EEENS1_25partition_config_selectorILNS1_17partition_subalgoE3EjNS0_10empty_typeEbEEZZNS1_14partition_implILS8_3ELb0ES6_jNS0_17counting_iteratorIjlEEPS9_SE_NS0_5tupleIJPjSE_EEENSF_IJSE_SE_EEES9_SG_JZNS1_25segmented_radix_sort_implINS0_14default_configELb1EPKaPaPKlPlN2at6native12_GLOBAL__N_18offset_tEEE10hipError_tPvRmT1_PNSt15iterator_traitsISY_E10value_typeET2_T3_PNSZ_IS14_E10value_typeET4_jRbjT5_S1A_jjP12ihipStream_tbEUljE_EEESV_SW_SX_S14_S18_S1A_T6_T7_T9_mT8_S1C_bDpT10_ENKUlT_T0_E_clISt17integral_constantIbLb1EES1P_EEDaS1K_S1L_EUlS1K_E_NS1_11comp_targetILNS1_3genE0ELNS1_11target_archE4294967295ELNS1_3gpuE0ELNS1_3repE0EEENS1_30default_config_static_selectorELNS0_4arch9wavefront6targetE0EEEvSY_
    .private_segment_fixed_size: 0
    .sgpr_count:     0
    .sgpr_spill_count: 0
    .symbol:         _ZN7rocprim17ROCPRIM_400000_NS6detail17trampoline_kernelINS0_13select_configILj256ELj13ELNS0_17block_load_methodE3ELS4_3ELS4_3ELNS0_20block_scan_algorithmE0ELj4294967295EEENS1_25partition_config_selectorILNS1_17partition_subalgoE3EjNS0_10empty_typeEbEEZZNS1_14partition_implILS8_3ELb0ES6_jNS0_17counting_iteratorIjlEEPS9_SE_NS0_5tupleIJPjSE_EEENSF_IJSE_SE_EEES9_SG_JZNS1_25segmented_radix_sort_implINS0_14default_configELb1EPKaPaPKlPlN2at6native12_GLOBAL__N_18offset_tEEE10hipError_tPvRmT1_PNSt15iterator_traitsISY_E10value_typeET2_T3_PNSZ_IS14_E10value_typeET4_jRbjT5_S1A_jjP12ihipStream_tbEUljE_EEESV_SW_SX_S14_S18_S1A_T6_T7_T9_mT8_S1C_bDpT10_ENKUlT_T0_E_clISt17integral_constantIbLb1EES1P_EEDaS1K_S1L_EUlS1K_E_NS1_11comp_targetILNS1_3genE0ELNS1_11target_archE4294967295ELNS1_3gpuE0ELNS1_3repE0EEENS1_30default_config_static_selectorELNS0_4arch9wavefront6targetE0EEEvSY_.kd
    .uniform_work_group_size: 1
    .uses_dynamic_stack: false
    .vgpr_count:     0
    .vgpr_spill_count: 0
    .wavefront_size: 32
    .workgroup_processor_mode: 1
  - .args:
      - .offset:         0
        .size:           152
        .value_kind:     by_value
    .group_segment_fixed_size: 0
    .kernarg_segment_align: 8
    .kernarg_segment_size: 152
    .language:       OpenCL C
    .language_version:
      - 2
      - 0
    .max_flat_workgroup_size: 256
    .name:           _ZN7rocprim17ROCPRIM_400000_NS6detail17trampoline_kernelINS0_13select_configILj256ELj13ELNS0_17block_load_methodE3ELS4_3ELS4_3ELNS0_20block_scan_algorithmE0ELj4294967295EEENS1_25partition_config_selectorILNS1_17partition_subalgoE3EjNS0_10empty_typeEbEEZZNS1_14partition_implILS8_3ELb0ES6_jNS0_17counting_iteratorIjlEEPS9_SE_NS0_5tupleIJPjSE_EEENSF_IJSE_SE_EEES9_SG_JZNS1_25segmented_radix_sort_implINS0_14default_configELb1EPKaPaPKlPlN2at6native12_GLOBAL__N_18offset_tEEE10hipError_tPvRmT1_PNSt15iterator_traitsISY_E10value_typeET2_T3_PNSZ_IS14_E10value_typeET4_jRbjT5_S1A_jjP12ihipStream_tbEUljE_EEESV_SW_SX_S14_S18_S1A_T6_T7_T9_mT8_S1C_bDpT10_ENKUlT_T0_E_clISt17integral_constantIbLb1EES1P_EEDaS1K_S1L_EUlS1K_E_NS1_11comp_targetILNS1_3genE5ELNS1_11target_archE942ELNS1_3gpuE9ELNS1_3repE0EEENS1_30default_config_static_selectorELNS0_4arch9wavefront6targetE0EEEvSY_
    .private_segment_fixed_size: 0
    .sgpr_count:     0
    .sgpr_spill_count: 0
    .symbol:         _ZN7rocprim17ROCPRIM_400000_NS6detail17trampoline_kernelINS0_13select_configILj256ELj13ELNS0_17block_load_methodE3ELS4_3ELS4_3ELNS0_20block_scan_algorithmE0ELj4294967295EEENS1_25partition_config_selectorILNS1_17partition_subalgoE3EjNS0_10empty_typeEbEEZZNS1_14partition_implILS8_3ELb0ES6_jNS0_17counting_iteratorIjlEEPS9_SE_NS0_5tupleIJPjSE_EEENSF_IJSE_SE_EEES9_SG_JZNS1_25segmented_radix_sort_implINS0_14default_configELb1EPKaPaPKlPlN2at6native12_GLOBAL__N_18offset_tEEE10hipError_tPvRmT1_PNSt15iterator_traitsISY_E10value_typeET2_T3_PNSZ_IS14_E10value_typeET4_jRbjT5_S1A_jjP12ihipStream_tbEUljE_EEESV_SW_SX_S14_S18_S1A_T6_T7_T9_mT8_S1C_bDpT10_ENKUlT_T0_E_clISt17integral_constantIbLb1EES1P_EEDaS1K_S1L_EUlS1K_E_NS1_11comp_targetILNS1_3genE5ELNS1_11target_archE942ELNS1_3gpuE9ELNS1_3repE0EEENS1_30default_config_static_selectorELNS0_4arch9wavefront6targetE0EEEvSY_.kd
    .uniform_work_group_size: 1
    .uses_dynamic_stack: false
    .vgpr_count:     0
    .vgpr_spill_count: 0
    .wavefront_size: 32
    .workgroup_processor_mode: 1
  - .args:
      - .offset:         0
        .size:           152
        .value_kind:     by_value
    .group_segment_fixed_size: 0
    .kernarg_segment_align: 8
    .kernarg_segment_size: 152
    .language:       OpenCL C
    .language_version:
      - 2
      - 0
    .max_flat_workgroup_size: 256
    .name:           _ZN7rocprim17ROCPRIM_400000_NS6detail17trampoline_kernelINS0_13select_configILj256ELj13ELNS0_17block_load_methodE3ELS4_3ELS4_3ELNS0_20block_scan_algorithmE0ELj4294967295EEENS1_25partition_config_selectorILNS1_17partition_subalgoE3EjNS0_10empty_typeEbEEZZNS1_14partition_implILS8_3ELb0ES6_jNS0_17counting_iteratorIjlEEPS9_SE_NS0_5tupleIJPjSE_EEENSF_IJSE_SE_EEES9_SG_JZNS1_25segmented_radix_sort_implINS0_14default_configELb1EPKaPaPKlPlN2at6native12_GLOBAL__N_18offset_tEEE10hipError_tPvRmT1_PNSt15iterator_traitsISY_E10value_typeET2_T3_PNSZ_IS14_E10value_typeET4_jRbjT5_S1A_jjP12ihipStream_tbEUljE_EEESV_SW_SX_S14_S18_S1A_T6_T7_T9_mT8_S1C_bDpT10_ENKUlT_T0_E_clISt17integral_constantIbLb1EES1P_EEDaS1K_S1L_EUlS1K_E_NS1_11comp_targetILNS1_3genE4ELNS1_11target_archE910ELNS1_3gpuE8ELNS1_3repE0EEENS1_30default_config_static_selectorELNS0_4arch9wavefront6targetE0EEEvSY_
    .private_segment_fixed_size: 0
    .sgpr_count:     0
    .sgpr_spill_count: 0
    .symbol:         _ZN7rocprim17ROCPRIM_400000_NS6detail17trampoline_kernelINS0_13select_configILj256ELj13ELNS0_17block_load_methodE3ELS4_3ELS4_3ELNS0_20block_scan_algorithmE0ELj4294967295EEENS1_25partition_config_selectorILNS1_17partition_subalgoE3EjNS0_10empty_typeEbEEZZNS1_14partition_implILS8_3ELb0ES6_jNS0_17counting_iteratorIjlEEPS9_SE_NS0_5tupleIJPjSE_EEENSF_IJSE_SE_EEES9_SG_JZNS1_25segmented_radix_sort_implINS0_14default_configELb1EPKaPaPKlPlN2at6native12_GLOBAL__N_18offset_tEEE10hipError_tPvRmT1_PNSt15iterator_traitsISY_E10value_typeET2_T3_PNSZ_IS14_E10value_typeET4_jRbjT5_S1A_jjP12ihipStream_tbEUljE_EEESV_SW_SX_S14_S18_S1A_T6_T7_T9_mT8_S1C_bDpT10_ENKUlT_T0_E_clISt17integral_constantIbLb1EES1P_EEDaS1K_S1L_EUlS1K_E_NS1_11comp_targetILNS1_3genE4ELNS1_11target_archE910ELNS1_3gpuE8ELNS1_3repE0EEENS1_30default_config_static_selectorELNS0_4arch9wavefront6targetE0EEEvSY_.kd
    .uniform_work_group_size: 1
    .uses_dynamic_stack: false
    .vgpr_count:     0
    .vgpr_spill_count: 0
    .wavefront_size: 32
    .workgroup_processor_mode: 1
  - .args:
      - .offset:         0
        .size:           152
        .value_kind:     by_value
    .group_segment_fixed_size: 0
    .kernarg_segment_align: 8
    .kernarg_segment_size: 152
    .language:       OpenCL C
    .language_version:
      - 2
      - 0
    .max_flat_workgroup_size: 256
    .name:           _ZN7rocprim17ROCPRIM_400000_NS6detail17trampoline_kernelINS0_13select_configILj256ELj13ELNS0_17block_load_methodE3ELS4_3ELS4_3ELNS0_20block_scan_algorithmE0ELj4294967295EEENS1_25partition_config_selectorILNS1_17partition_subalgoE3EjNS0_10empty_typeEbEEZZNS1_14partition_implILS8_3ELb0ES6_jNS0_17counting_iteratorIjlEEPS9_SE_NS0_5tupleIJPjSE_EEENSF_IJSE_SE_EEES9_SG_JZNS1_25segmented_radix_sort_implINS0_14default_configELb1EPKaPaPKlPlN2at6native12_GLOBAL__N_18offset_tEEE10hipError_tPvRmT1_PNSt15iterator_traitsISY_E10value_typeET2_T3_PNSZ_IS14_E10value_typeET4_jRbjT5_S1A_jjP12ihipStream_tbEUljE_EEESV_SW_SX_S14_S18_S1A_T6_T7_T9_mT8_S1C_bDpT10_ENKUlT_T0_E_clISt17integral_constantIbLb1EES1P_EEDaS1K_S1L_EUlS1K_E_NS1_11comp_targetILNS1_3genE3ELNS1_11target_archE908ELNS1_3gpuE7ELNS1_3repE0EEENS1_30default_config_static_selectorELNS0_4arch9wavefront6targetE0EEEvSY_
    .private_segment_fixed_size: 0
    .sgpr_count:     0
    .sgpr_spill_count: 0
    .symbol:         _ZN7rocprim17ROCPRIM_400000_NS6detail17trampoline_kernelINS0_13select_configILj256ELj13ELNS0_17block_load_methodE3ELS4_3ELS4_3ELNS0_20block_scan_algorithmE0ELj4294967295EEENS1_25partition_config_selectorILNS1_17partition_subalgoE3EjNS0_10empty_typeEbEEZZNS1_14partition_implILS8_3ELb0ES6_jNS0_17counting_iteratorIjlEEPS9_SE_NS0_5tupleIJPjSE_EEENSF_IJSE_SE_EEES9_SG_JZNS1_25segmented_radix_sort_implINS0_14default_configELb1EPKaPaPKlPlN2at6native12_GLOBAL__N_18offset_tEEE10hipError_tPvRmT1_PNSt15iterator_traitsISY_E10value_typeET2_T3_PNSZ_IS14_E10value_typeET4_jRbjT5_S1A_jjP12ihipStream_tbEUljE_EEESV_SW_SX_S14_S18_S1A_T6_T7_T9_mT8_S1C_bDpT10_ENKUlT_T0_E_clISt17integral_constantIbLb1EES1P_EEDaS1K_S1L_EUlS1K_E_NS1_11comp_targetILNS1_3genE3ELNS1_11target_archE908ELNS1_3gpuE7ELNS1_3repE0EEENS1_30default_config_static_selectorELNS0_4arch9wavefront6targetE0EEEvSY_.kd
    .uniform_work_group_size: 1
    .uses_dynamic_stack: false
    .vgpr_count:     0
    .vgpr_spill_count: 0
    .wavefront_size: 32
    .workgroup_processor_mode: 1
  - .args:
      - .offset:         0
        .size:           152
        .value_kind:     by_value
    .group_segment_fixed_size: 0
    .kernarg_segment_align: 8
    .kernarg_segment_size: 152
    .language:       OpenCL C
    .language_version:
      - 2
      - 0
    .max_flat_workgroup_size: 256
    .name:           _ZN7rocprim17ROCPRIM_400000_NS6detail17trampoline_kernelINS0_13select_configILj256ELj13ELNS0_17block_load_methodE3ELS4_3ELS4_3ELNS0_20block_scan_algorithmE0ELj4294967295EEENS1_25partition_config_selectorILNS1_17partition_subalgoE3EjNS0_10empty_typeEbEEZZNS1_14partition_implILS8_3ELb0ES6_jNS0_17counting_iteratorIjlEEPS9_SE_NS0_5tupleIJPjSE_EEENSF_IJSE_SE_EEES9_SG_JZNS1_25segmented_radix_sort_implINS0_14default_configELb1EPKaPaPKlPlN2at6native12_GLOBAL__N_18offset_tEEE10hipError_tPvRmT1_PNSt15iterator_traitsISY_E10value_typeET2_T3_PNSZ_IS14_E10value_typeET4_jRbjT5_S1A_jjP12ihipStream_tbEUljE_EEESV_SW_SX_S14_S18_S1A_T6_T7_T9_mT8_S1C_bDpT10_ENKUlT_T0_E_clISt17integral_constantIbLb1EES1P_EEDaS1K_S1L_EUlS1K_E_NS1_11comp_targetILNS1_3genE2ELNS1_11target_archE906ELNS1_3gpuE6ELNS1_3repE0EEENS1_30default_config_static_selectorELNS0_4arch9wavefront6targetE0EEEvSY_
    .private_segment_fixed_size: 0
    .sgpr_count:     0
    .sgpr_spill_count: 0
    .symbol:         _ZN7rocprim17ROCPRIM_400000_NS6detail17trampoline_kernelINS0_13select_configILj256ELj13ELNS0_17block_load_methodE3ELS4_3ELS4_3ELNS0_20block_scan_algorithmE0ELj4294967295EEENS1_25partition_config_selectorILNS1_17partition_subalgoE3EjNS0_10empty_typeEbEEZZNS1_14partition_implILS8_3ELb0ES6_jNS0_17counting_iteratorIjlEEPS9_SE_NS0_5tupleIJPjSE_EEENSF_IJSE_SE_EEES9_SG_JZNS1_25segmented_radix_sort_implINS0_14default_configELb1EPKaPaPKlPlN2at6native12_GLOBAL__N_18offset_tEEE10hipError_tPvRmT1_PNSt15iterator_traitsISY_E10value_typeET2_T3_PNSZ_IS14_E10value_typeET4_jRbjT5_S1A_jjP12ihipStream_tbEUljE_EEESV_SW_SX_S14_S18_S1A_T6_T7_T9_mT8_S1C_bDpT10_ENKUlT_T0_E_clISt17integral_constantIbLb1EES1P_EEDaS1K_S1L_EUlS1K_E_NS1_11comp_targetILNS1_3genE2ELNS1_11target_archE906ELNS1_3gpuE6ELNS1_3repE0EEENS1_30default_config_static_selectorELNS0_4arch9wavefront6targetE0EEEvSY_.kd
    .uniform_work_group_size: 1
    .uses_dynamic_stack: false
    .vgpr_count:     0
    .vgpr_spill_count: 0
    .wavefront_size: 32
    .workgroup_processor_mode: 1
  - .args:
      - .offset:         0
        .size:           152
        .value_kind:     by_value
    .group_segment_fixed_size: 0
    .kernarg_segment_align: 8
    .kernarg_segment_size: 152
    .language:       OpenCL C
    .language_version:
      - 2
      - 0
    .max_flat_workgroup_size: 256
    .name:           _ZN7rocprim17ROCPRIM_400000_NS6detail17trampoline_kernelINS0_13select_configILj256ELj13ELNS0_17block_load_methodE3ELS4_3ELS4_3ELNS0_20block_scan_algorithmE0ELj4294967295EEENS1_25partition_config_selectorILNS1_17partition_subalgoE3EjNS0_10empty_typeEbEEZZNS1_14partition_implILS8_3ELb0ES6_jNS0_17counting_iteratorIjlEEPS9_SE_NS0_5tupleIJPjSE_EEENSF_IJSE_SE_EEES9_SG_JZNS1_25segmented_radix_sort_implINS0_14default_configELb1EPKaPaPKlPlN2at6native12_GLOBAL__N_18offset_tEEE10hipError_tPvRmT1_PNSt15iterator_traitsISY_E10value_typeET2_T3_PNSZ_IS14_E10value_typeET4_jRbjT5_S1A_jjP12ihipStream_tbEUljE_EEESV_SW_SX_S14_S18_S1A_T6_T7_T9_mT8_S1C_bDpT10_ENKUlT_T0_E_clISt17integral_constantIbLb1EES1P_EEDaS1K_S1L_EUlS1K_E_NS1_11comp_targetILNS1_3genE10ELNS1_11target_archE1200ELNS1_3gpuE4ELNS1_3repE0EEENS1_30default_config_static_selectorELNS0_4arch9wavefront6targetE0EEEvSY_
    .private_segment_fixed_size: 0
    .sgpr_count:     0
    .sgpr_spill_count: 0
    .symbol:         _ZN7rocprim17ROCPRIM_400000_NS6detail17trampoline_kernelINS0_13select_configILj256ELj13ELNS0_17block_load_methodE3ELS4_3ELS4_3ELNS0_20block_scan_algorithmE0ELj4294967295EEENS1_25partition_config_selectorILNS1_17partition_subalgoE3EjNS0_10empty_typeEbEEZZNS1_14partition_implILS8_3ELb0ES6_jNS0_17counting_iteratorIjlEEPS9_SE_NS0_5tupleIJPjSE_EEENSF_IJSE_SE_EEES9_SG_JZNS1_25segmented_radix_sort_implINS0_14default_configELb1EPKaPaPKlPlN2at6native12_GLOBAL__N_18offset_tEEE10hipError_tPvRmT1_PNSt15iterator_traitsISY_E10value_typeET2_T3_PNSZ_IS14_E10value_typeET4_jRbjT5_S1A_jjP12ihipStream_tbEUljE_EEESV_SW_SX_S14_S18_S1A_T6_T7_T9_mT8_S1C_bDpT10_ENKUlT_T0_E_clISt17integral_constantIbLb1EES1P_EEDaS1K_S1L_EUlS1K_E_NS1_11comp_targetILNS1_3genE10ELNS1_11target_archE1200ELNS1_3gpuE4ELNS1_3repE0EEENS1_30default_config_static_selectorELNS0_4arch9wavefront6targetE0EEEvSY_.kd
    .uniform_work_group_size: 1
    .uses_dynamic_stack: false
    .vgpr_count:     0
    .vgpr_spill_count: 0
    .wavefront_size: 32
    .workgroup_processor_mode: 1
  - .args:
      - .offset:         0
        .size:           152
        .value_kind:     by_value
    .group_segment_fixed_size: 0
    .kernarg_segment_align: 8
    .kernarg_segment_size: 152
    .language:       OpenCL C
    .language_version:
      - 2
      - 0
    .max_flat_workgroup_size: 256
    .name:           _ZN7rocprim17ROCPRIM_400000_NS6detail17trampoline_kernelINS0_13select_configILj256ELj13ELNS0_17block_load_methodE3ELS4_3ELS4_3ELNS0_20block_scan_algorithmE0ELj4294967295EEENS1_25partition_config_selectorILNS1_17partition_subalgoE3EjNS0_10empty_typeEbEEZZNS1_14partition_implILS8_3ELb0ES6_jNS0_17counting_iteratorIjlEEPS9_SE_NS0_5tupleIJPjSE_EEENSF_IJSE_SE_EEES9_SG_JZNS1_25segmented_radix_sort_implINS0_14default_configELb1EPKaPaPKlPlN2at6native12_GLOBAL__N_18offset_tEEE10hipError_tPvRmT1_PNSt15iterator_traitsISY_E10value_typeET2_T3_PNSZ_IS14_E10value_typeET4_jRbjT5_S1A_jjP12ihipStream_tbEUljE_EEESV_SW_SX_S14_S18_S1A_T6_T7_T9_mT8_S1C_bDpT10_ENKUlT_T0_E_clISt17integral_constantIbLb1EES1P_EEDaS1K_S1L_EUlS1K_E_NS1_11comp_targetILNS1_3genE9ELNS1_11target_archE1100ELNS1_3gpuE3ELNS1_3repE0EEENS1_30default_config_static_selectorELNS0_4arch9wavefront6targetE0EEEvSY_
    .private_segment_fixed_size: 0
    .sgpr_count:     0
    .sgpr_spill_count: 0
    .symbol:         _ZN7rocprim17ROCPRIM_400000_NS6detail17trampoline_kernelINS0_13select_configILj256ELj13ELNS0_17block_load_methodE3ELS4_3ELS4_3ELNS0_20block_scan_algorithmE0ELj4294967295EEENS1_25partition_config_selectorILNS1_17partition_subalgoE3EjNS0_10empty_typeEbEEZZNS1_14partition_implILS8_3ELb0ES6_jNS0_17counting_iteratorIjlEEPS9_SE_NS0_5tupleIJPjSE_EEENSF_IJSE_SE_EEES9_SG_JZNS1_25segmented_radix_sort_implINS0_14default_configELb1EPKaPaPKlPlN2at6native12_GLOBAL__N_18offset_tEEE10hipError_tPvRmT1_PNSt15iterator_traitsISY_E10value_typeET2_T3_PNSZ_IS14_E10value_typeET4_jRbjT5_S1A_jjP12ihipStream_tbEUljE_EEESV_SW_SX_S14_S18_S1A_T6_T7_T9_mT8_S1C_bDpT10_ENKUlT_T0_E_clISt17integral_constantIbLb1EES1P_EEDaS1K_S1L_EUlS1K_E_NS1_11comp_targetILNS1_3genE9ELNS1_11target_archE1100ELNS1_3gpuE3ELNS1_3repE0EEENS1_30default_config_static_selectorELNS0_4arch9wavefront6targetE0EEEvSY_.kd
    .uniform_work_group_size: 1
    .uses_dynamic_stack: false
    .vgpr_count:     0
    .vgpr_spill_count: 0
    .wavefront_size: 32
    .workgroup_processor_mode: 1
  - .args:
      - .offset:         0
        .size:           152
        .value_kind:     by_value
    .group_segment_fixed_size: 0
    .kernarg_segment_align: 8
    .kernarg_segment_size: 152
    .language:       OpenCL C
    .language_version:
      - 2
      - 0
    .max_flat_workgroup_size: 256
    .name:           _ZN7rocprim17ROCPRIM_400000_NS6detail17trampoline_kernelINS0_13select_configILj256ELj13ELNS0_17block_load_methodE3ELS4_3ELS4_3ELNS0_20block_scan_algorithmE0ELj4294967295EEENS1_25partition_config_selectorILNS1_17partition_subalgoE3EjNS0_10empty_typeEbEEZZNS1_14partition_implILS8_3ELb0ES6_jNS0_17counting_iteratorIjlEEPS9_SE_NS0_5tupleIJPjSE_EEENSF_IJSE_SE_EEES9_SG_JZNS1_25segmented_radix_sort_implINS0_14default_configELb1EPKaPaPKlPlN2at6native12_GLOBAL__N_18offset_tEEE10hipError_tPvRmT1_PNSt15iterator_traitsISY_E10value_typeET2_T3_PNSZ_IS14_E10value_typeET4_jRbjT5_S1A_jjP12ihipStream_tbEUljE_EEESV_SW_SX_S14_S18_S1A_T6_T7_T9_mT8_S1C_bDpT10_ENKUlT_T0_E_clISt17integral_constantIbLb1EES1P_EEDaS1K_S1L_EUlS1K_E_NS1_11comp_targetILNS1_3genE8ELNS1_11target_archE1030ELNS1_3gpuE2ELNS1_3repE0EEENS1_30default_config_static_selectorELNS0_4arch9wavefront6targetE0EEEvSY_
    .private_segment_fixed_size: 0
    .sgpr_count:     0
    .sgpr_spill_count: 0
    .symbol:         _ZN7rocprim17ROCPRIM_400000_NS6detail17trampoline_kernelINS0_13select_configILj256ELj13ELNS0_17block_load_methodE3ELS4_3ELS4_3ELNS0_20block_scan_algorithmE0ELj4294967295EEENS1_25partition_config_selectorILNS1_17partition_subalgoE3EjNS0_10empty_typeEbEEZZNS1_14partition_implILS8_3ELb0ES6_jNS0_17counting_iteratorIjlEEPS9_SE_NS0_5tupleIJPjSE_EEENSF_IJSE_SE_EEES9_SG_JZNS1_25segmented_radix_sort_implINS0_14default_configELb1EPKaPaPKlPlN2at6native12_GLOBAL__N_18offset_tEEE10hipError_tPvRmT1_PNSt15iterator_traitsISY_E10value_typeET2_T3_PNSZ_IS14_E10value_typeET4_jRbjT5_S1A_jjP12ihipStream_tbEUljE_EEESV_SW_SX_S14_S18_S1A_T6_T7_T9_mT8_S1C_bDpT10_ENKUlT_T0_E_clISt17integral_constantIbLb1EES1P_EEDaS1K_S1L_EUlS1K_E_NS1_11comp_targetILNS1_3genE8ELNS1_11target_archE1030ELNS1_3gpuE2ELNS1_3repE0EEENS1_30default_config_static_selectorELNS0_4arch9wavefront6targetE0EEEvSY_.kd
    .uniform_work_group_size: 1
    .uses_dynamic_stack: false
    .vgpr_count:     0
    .vgpr_spill_count: 0
    .wavefront_size: 32
    .workgroup_processor_mode: 1
  - .args:
      - .offset:         0
        .size:           144
        .value_kind:     by_value
    .group_segment_fixed_size: 0
    .kernarg_segment_align: 8
    .kernarg_segment_size: 144
    .language:       OpenCL C
    .language_version:
      - 2
      - 0
    .max_flat_workgroup_size: 256
    .name:           _ZN7rocprim17ROCPRIM_400000_NS6detail17trampoline_kernelINS0_13select_configILj256ELj13ELNS0_17block_load_methodE3ELS4_3ELS4_3ELNS0_20block_scan_algorithmE0ELj4294967295EEENS1_25partition_config_selectorILNS1_17partition_subalgoE3EjNS0_10empty_typeEbEEZZNS1_14partition_implILS8_3ELb0ES6_jNS0_17counting_iteratorIjlEEPS9_SE_NS0_5tupleIJPjSE_EEENSF_IJSE_SE_EEES9_SG_JZNS1_25segmented_radix_sort_implINS0_14default_configELb1EPKaPaPKlPlN2at6native12_GLOBAL__N_18offset_tEEE10hipError_tPvRmT1_PNSt15iterator_traitsISY_E10value_typeET2_T3_PNSZ_IS14_E10value_typeET4_jRbjT5_S1A_jjP12ihipStream_tbEUljE_EEESV_SW_SX_S14_S18_S1A_T6_T7_T9_mT8_S1C_bDpT10_ENKUlT_T0_E_clISt17integral_constantIbLb1EES1O_IbLb0EEEEDaS1K_S1L_EUlS1K_E_NS1_11comp_targetILNS1_3genE0ELNS1_11target_archE4294967295ELNS1_3gpuE0ELNS1_3repE0EEENS1_30default_config_static_selectorELNS0_4arch9wavefront6targetE0EEEvSY_
    .private_segment_fixed_size: 0
    .sgpr_count:     0
    .sgpr_spill_count: 0
    .symbol:         _ZN7rocprim17ROCPRIM_400000_NS6detail17trampoline_kernelINS0_13select_configILj256ELj13ELNS0_17block_load_methodE3ELS4_3ELS4_3ELNS0_20block_scan_algorithmE0ELj4294967295EEENS1_25partition_config_selectorILNS1_17partition_subalgoE3EjNS0_10empty_typeEbEEZZNS1_14partition_implILS8_3ELb0ES6_jNS0_17counting_iteratorIjlEEPS9_SE_NS0_5tupleIJPjSE_EEENSF_IJSE_SE_EEES9_SG_JZNS1_25segmented_radix_sort_implINS0_14default_configELb1EPKaPaPKlPlN2at6native12_GLOBAL__N_18offset_tEEE10hipError_tPvRmT1_PNSt15iterator_traitsISY_E10value_typeET2_T3_PNSZ_IS14_E10value_typeET4_jRbjT5_S1A_jjP12ihipStream_tbEUljE_EEESV_SW_SX_S14_S18_S1A_T6_T7_T9_mT8_S1C_bDpT10_ENKUlT_T0_E_clISt17integral_constantIbLb1EES1O_IbLb0EEEEDaS1K_S1L_EUlS1K_E_NS1_11comp_targetILNS1_3genE0ELNS1_11target_archE4294967295ELNS1_3gpuE0ELNS1_3repE0EEENS1_30default_config_static_selectorELNS0_4arch9wavefront6targetE0EEEvSY_.kd
    .uniform_work_group_size: 1
    .uses_dynamic_stack: false
    .vgpr_count:     0
    .vgpr_spill_count: 0
    .wavefront_size: 32
    .workgroup_processor_mode: 1
  - .args:
      - .offset:         0
        .size:           144
        .value_kind:     by_value
    .group_segment_fixed_size: 0
    .kernarg_segment_align: 8
    .kernarg_segment_size: 144
    .language:       OpenCL C
    .language_version:
      - 2
      - 0
    .max_flat_workgroup_size: 256
    .name:           _ZN7rocprim17ROCPRIM_400000_NS6detail17trampoline_kernelINS0_13select_configILj256ELj13ELNS0_17block_load_methodE3ELS4_3ELS4_3ELNS0_20block_scan_algorithmE0ELj4294967295EEENS1_25partition_config_selectorILNS1_17partition_subalgoE3EjNS0_10empty_typeEbEEZZNS1_14partition_implILS8_3ELb0ES6_jNS0_17counting_iteratorIjlEEPS9_SE_NS0_5tupleIJPjSE_EEENSF_IJSE_SE_EEES9_SG_JZNS1_25segmented_radix_sort_implINS0_14default_configELb1EPKaPaPKlPlN2at6native12_GLOBAL__N_18offset_tEEE10hipError_tPvRmT1_PNSt15iterator_traitsISY_E10value_typeET2_T3_PNSZ_IS14_E10value_typeET4_jRbjT5_S1A_jjP12ihipStream_tbEUljE_EEESV_SW_SX_S14_S18_S1A_T6_T7_T9_mT8_S1C_bDpT10_ENKUlT_T0_E_clISt17integral_constantIbLb1EES1O_IbLb0EEEEDaS1K_S1L_EUlS1K_E_NS1_11comp_targetILNS1_3genE5ELNS1_11target_archE942ELNS1_3gpuE9ELNS1_3repE0EEENS1_30default_config_static_selectorELNS0_4arch9wavefront6targetE0EEEvSY_
    .private_segment_fixed_size: 0
    .sgpr_count:     0
    .sgpr_spill_count: 0
    .symbol:         _ZN7rocprim17ROCPRIM_400000_NS6detail17trampoline_kernelINS0_13select_configILj256ELj13ELNS0_17block_load_methodE3ELS4_3ELS4_3ELNS0_20block_scan_algorithmE0ELj4294967295EEENS1_25partition_config_selectorILNS1_17partition_subalgoE3EjNS0_10empty_typeEbEEZZNS1_14partition_implILS8_3ELb0ES6_jNS0_17counting_iteratorIjlEEPS9_SE_NS0_5tupleIJPjSE_EEENSF_IJSE_SE_EEES9_SG_JZNS1_25segmented_radix_sort_implINS0_14default_configELb1EPKaPaPKlPlN2at6native12_GLOBAL__N_18offset_tEEE10hipError_tPvRmT1_PNSt15iterator_traitsISY_E10value_typeET2_T3_PNSZ_IS14_E10value_typeET4_jRbjT5_S1A_jjP12ihipStream_tbEUljE_EEESV_SW_SX_S14_S18_S1A_T6_T7_T9_mT8_S1C_bDpT10_ENKUlT_T0_E_clISt17integral_constantIbLb1EES1O_IbLb0EEEEDaS1K_S1L_EUlS1K_E_NS1_11comp_targetILNS1_3genE5ELNS1_11target_archE942ELNS1_3gpuE9ELNS1_3repE0EEENS1_30default_config_static_selectorELNS0_4arch9wavefront6targetE0EEEvSY_.kd
    .uniform_work_group_size: 1
    .uses_dynamic_stack: false
    .vgpr_count:     0
    .vgpr_spill_count: 0
    .wavefront_size: 32
    .workgroup_processor_mode: 1
  - .args:
      - .offset:         0
        .size:           144
        .value_kind:     by_value
    .group_segment_fixed_size: 0
    .kernarg_segment_align: 8
    .kernarg_segment_size: 144
    .language:       OpenCL C
    .language_version:
      - 2
      - 0
    .max_flat_workgroup_size: 256
    .name:           _ZN7rocprim17ROCPRIM_400000_NS6detail17trampoline_kernelINS0_13select_configILj256ELj13ELNS0_17block_load_methodE3ELS4_3ELS4_3ELNS0_20block_scan_algorithmE0ELj4294967295EEENS1_25partition_config_selectorILNS1_17partition_subalgoE3EjNS0_10empty_typeEbEEZZNS1_14partition_implILS8_3ELb0ES6_jNS0_17counting_iteratorIjlEEPS9_SE_NS0_5tupleIJPjSE_EEENSF_IJSE_SE_EEES9_SG_JZNS1_25segmented_radix_sort_implINS0_14default_configELb1EPKaPaPKlPlN2at6native12_GLOBAL__N_18offset_tEEE10hipError_tPvRmT1_PNSt15iterator_traitsISY_E10value_typeET2_T3_PNSZ_IS14_E10value_typeET4_jRbjT5_S1A_jjP12ihipStream_tbEUljE_EEESV_SW_SX_S14_S18_S1A_T6_T7_T9_mT8_S1C_bDpT10_ENKUlT_T0_E_clISt17integral_constantIbLb1EES1O_IbLb0EEEEDaS1K_S1L_EUlS1K_E_NS1_11comp_targetILNS1_3genE4ELNS1_11target_archE910ELNS1_3gpuE8ELNS1_3repE0EEENS1_30default_config_static_selectorELNS0_4arch9wavefront6targetE0EEEvSY_
    .private_segment_fixed_size: 0
    .sgpr_count:     0
    .sgpr_spill_count: 0
    .symbol:         _ZN7rocprim17ROCPRIM_400000_NS6detail17trampoline_kernelINS0_13select_configILj256ELj13ELNS0_17block_load_methodE3ELS4_3ELS4_3ELNS0_20block_scan_algorithmE0ELj4294967295EEENS1_25partition_config_selectorILNS1_17partition_subalgoE3EjNS0_10empty_typeEbEEZZNS1_14partition_implILS8_3ELb0ES6_jNS0_17counting_iteratorIjlEEPS9_SE_NS0_5tupleIJPjSE_EEENSF_IJSE_SE_EEES9_SG_JZNS1_25segmented_radix_sort_implINS0_14default_configELb1EPKaPaPKlPlN2at6native12_GLOBAL__N_18offset_tEEE10hipError_tPvRmT1_PNSt15iterator_traitsISY_E10value_typeET2_T3_PNSZ_IS14_E10value_typeET4_jRbjT5_S1A_jjP12ihipStream_tbEUljE_EEESV_SW_SX_S14_S18_S1A_T6_T7_T9_mT8_S1C_bDpT10_ENKUlT_T0_E_clISt17integral_constantIbLb1EES1O_IbLb0EEEEDaS1K_S1L_EUlS1K_E_NS1_11comp_targetILNS1_3genE4ELNS1_11target_archE910ELNS1_3gpuE8ELNS1_3repE0EEENS1_30default_config_static_selectorELNS0_4arch9wavefront6targetE0EEEvSY_.kd
    .uniform_work_group_size: 1
    .uses_dynamic_stack: false
    .vgpr_count:     0
    .vgpr_spill_count: 0
    .wavefront_size: 32
    .workgroup_processor_mode: 1
  - .args:
      - .offset:         0
        .size:           144
        .value_kind:     by_value
    .group_segment_fixed_size: 0
    .kernarg_segment_align: 8
    .kernarg_segment_size: 144
    .language:       OpenCL C
    .language_version:
      - 2
      - 0
    .max_flat_workgroup_size: 256
    .name:           _ZN7rocprim17ROCPRIM_400000_NS6detail17trampoline_kernelINS0_13select_configILj256ELj13ELNS0_17block_load_methodE3ELS4_3ELS4_3ELNS0_20block_scan_algorithmE0ELj4294967295EEENS1_25partition_config_selectorILNS1_17partition_subalgoE3EjNS0_10empty_typeEbEEZZNS1_14partition_implILS8_3ELb0ES6_jNS0_17counting_iteratorIjlEEPS9_SE_NS0_5tupleIJPjSE_EEENSF_IJSE_SE_EEES9_SG_JZNS1_25segmented_radix_sort_implINS0_14default_configELb1EPKaPaPKlPlN2at6native12_GLOBAL__N_18offset_tEEE10hipError_tPvRmT1_PNSt15iterator_traitsISY_E10value_typeET2_T3_PNSZ_IS14_E10value_typeET4_jRbjT5_S1A_jjP12ihipStream_tbEUljE_EEESV_SW_SX_S14_S18_S1A_T6_T7_T9_mT8_S1C_bDpT10_ENKUlT_T0_E_clISt17integral_constantIbLb1EES1O_IbLb0EEEEDaS1K_S1L_EUlS1K_E_NS1_11comp_targetILNS1_3genE3ELNS1_11target_archE908ELNS1_3gpuE7ELNS1_3repE0EEENS1_30default_config_static_selectorELNS0_4arch9wavefront6targetE0EEEvSY_
    .private_segment_fixed_size: 0
    .sgpr_count:     0
    .sgpr_spill_count: 0
    .symbol:         _ZN7rocprim17ROCPRIM_400000_NS6detail17trampoline_kernelINS0_13select_configILj256ELj13ELNS0_17block_load_methodE3ELS4_3ELS4_3ELNS0_20block_scan_algorithmE0ELj4294967295EEENS1_25partition_config_selectorILNS1_17partition_subalgoE3EjNS0_10empty_typeEbEEZZNS1_14partition_implILS8_3ELb0ES6_jNS0_17counting_iteratorIjlEEPS9_SE_NS0_5tupleIJPjSE_EEENSF_IJSE_SE_EEES9_SG_JZNS1_25segmented_radix_sort_implINS0_14default_configELb1EPKaPaPKlPlN2at6native12_GLOBAL__N_18offset_tEEE10hipError_tPvRmT1_PNSt15iterator_traitsISY_E10value_typeET2_T3_PNSZ_IS14_E10value_typeET4_jRbjT5_S1A_jjP12ihipStream_tbEUljE_EEESV_SW_SX_S14_S18_S1A_T6_T7_T9_mT8_S1C_bDpT10_ENKUlT_T0_E_clISt17integral_constantIbLb1EES1O_IbLb0EEEEDaS1K_S1L_EUlS1K_E_NS1_11comp_targetILNS1_3genE3ELNS1_11target_archE908ELNS1_3gpuE7ELNS1_3repE0EEENS1_30default_config_static_selectorELNS0_4arch9wavefront6targetE0EEEvSY_.kd
    .uniform_work_group_size: 1
    .uses_dynamic_stack: false
    .vgpr_count:     0
    .vgpr_spill_count: 0
    .wavefront_size: 32
    .workgroup_processor_mode: 1
  - .args:
      - .offset:         0
        .size:           144
        .value_kind:     by_value
    .group_segment_fixed_size: 0
    .kernarg_segment_align: 8
    .kernarg_segment_size: 144
    .language:       OpenCL C
    .language_version:
      - 2
      - 0
    .max_flat_workgroup_size: 256
    .name:           _ZN7rocprim17ROCPRIM_400000_NS6detail17trampoline_kernelINS0_13select_configILj256ELj13ELNS0_17block_load_methodE3ELS4_3ELS4_3ELNS0_20block_scan_algorithmE0ELj4294967295EEENS1_25partition_config_selectorILNS1_17partition_subalgoE3EjNS0_10empty_typeEbEEZZNS1_14partition_implILS8_3ELb0ES6_jNS0_17counting_iteratorIjlEEPS9_SE_NS0_5tupleIJPjSE_EEENSF_IJSE_SE_EEES9_SG_JZNS1_25segmented_radix_sort_implINS0_14default_configELb1EPKaPaPKlPlN2at6native12_GLOBAL__N_18offset_tEEE10hipError_tPvRmT1_PNSt15iterator_traitsISY_E10value_typeET2_T3_PNSZ_IS14_E10value_typeET4_jRbjT5_S1A_jjP12ihipStream_tbEUljE_EEESV_SW_SX_S14_S18_S1A_T6_T7_T9_mT8_S1C_bDpT10_ENKUlT_T0_E_clISt17integral_constantIbLb1EES1O_IbLb0EEEEDaS1K_S1L_EUlS1K_E_NS1_11comp_targetILNS1_3genE2ELNS1_11target_archE906ELNS1_3gpuE6ELNS1_3repE0EEENS1_30default_config_static_selectorELNS0_4arch9wavefront6targetE0EEEvSY_
    .private_segment_fixed_size: 0
    .sgpr_count:     0
    .sgpr_spill_count: 0
    .symbol:         _ZN7rocprim17ROCPRIM_400000_NS6detail17trampoline_kernelINS0_13select_configILj256ELj13ELNS0_17block_load_methodE3ELS4_3ELS4_3ELNS0_20block_scan_algorithmE0ELj4294967295EEENS1_25partition_config_selectorILNS1_17partition_subalgoE3EjNS0_10empty_typeEbEEZZNS1_14partition_implILS8_3ELb0ES6_jNS0_17counting_iteratorIjlEEPS9_SE_NS0_5tupleIJPjSE_EEENSF_IJSE_SE_EEES9_SG_JZNS1_25segmented_radix_sort_implINS0_14default_configELb1EPKaPaPKlPlN2at6native12_GLOBAL__N_18offset_tEEE10hipError_tPvRmT1_PNSt15iterator_traitsISY_E10value_typeET2_T3_PNSZ_IS14_E10value_typeET4_jRbjT5_S1A_jjP12ihipStream_tbEUljE_EEESV_SW_SX_S14_S18_S1A_T6_T7_T9_mT8_S1C_bDpT10_ENKUlT_T0_E_clISt17integral_constantIbLb1EES1O_IbLb0EEEEDaS1K_S1L_EUlS1K_E_NS1_11comp_targetILNS1_3genE2ELNS1_11target_archE906ELNS1_3gpuE6ELNS1_3repE0EEENS1_30default_config_static_selectorELNS0_4arch9wavefront6targetE0EEEvSY_.kd
    .uniform_work_group_size: 1
    .uses_dynamic_stack: false
    .vgpr_count:     0
    .vgpr_spill_count: 0
    .wavefront_size: 32
    .workgroup_processor_mode: 1
  - .args:
      - .offset:         0
        .size:           144
        .value_kind:     by_value
    .group_segment_fixed_size: 0
    .kernarg_segment_align: 8
    .kernarg_segment_size: 144
    .language:       OpenCL C
    .language_version:
      - 2
      - 0
    .max_flat_workgroup_size: 256
    .name:           _ZN7rocprim17ROCPRIM_400000_NS6detail17trampoline_kernelINS0_13select_configILj256ELj13ELNS0_17block_load_methodE3ELS4_3ELS4_3ELNS0_20block_scan_algorithmE0ELj4294967295EEENS1_25partition_config_selectorILNS1_17partition_subalgoE3EjNS0_10empty_typeEbEEZZNS1_14partition_implILS8_3ELb0ES6_jNS0_17counting_iteratorIjlEEPS9_SE_NS0_5tupleIJPjSE_EEENSF_IJSE_SE_EEES9_SG_JZNS1_25segmented_radix_sort_implINS0_14default_configELb1EPKaPaPKlPlN2at6native12_GLOBAL__N_18offset_tEEE10hipError_tPvRmT1_PNSt15iterator_traitsISY_E10value_typeET2_T3_PNSZ_IS14_E10value_typeET4_jRbjT5_S1A_jjP12ihipStream_tbEUljE_EEESV_SW_SX_S14_S18_S1A_T6_T7_T9_mT8_S1C_bDpT10_ENKUlT_T0_E_clISt17integral_constantIbLb1EES1O_IbLb0EEEEDaS1K_S1L_EUlS1K_E_NS1_11comp_targetILNS1_3genE10ELNS1_11target_archE1200ELNS1_3gpuE4ELNS1_3repE0EEENS1_30default_config_static_selectorELNS0_4arch9wavefront6targetE0EEEvSY_
    .private_segment_fixed_size: 0
    .sgpr_count:     0
    .sgpr_spill_count: 0
    .symbol:         _ZN7rocprim17ROCPRIM_400000_NS6detail17trampoline_kernelINS0_13select_configILj256ELj13ELNS0_17block_load_methodE3ELS4_3ELS4_3ELNS0_20block_scan_algorithmE0ELj4294967295EEENS1_25partition_config_selectorILNS1_17partition_subalgoE3EjNS0_10empty_typeEbEEZZNS1_14partition_implILS8_3ELb0ES6_jNS0_17counting_iteratorIjlEEPS9_SE_NS0_5tupleIJPjSE_EEENSF_IJSE_SE_EEES9_SG_JZNS1_25segmented_radix_sort_implINS0_14default_configELb1EPKaPaPKlPlN2at6native12_GLOBAL__N_18offset_tEEE10hipError_tPvRmT1_PNSt15iterator_traitsISY_E10value_typeET2_T3_PNSZ_IS14_E10value_typeET4_jRbjT5_S1A_jjP12ihipStream_tbEUljE_EEESV_SW_SX_S14_S18_S1A_T6_T7_T9_mT8_S1C_bDpT10_ENKUlT_T0_E_clISt17integral_constantIbLb1EES1O_IbLb0EEEEDaS1K_S1L_EUlS1K_E_NS1_11comp_targetILNS1_3genE10ELNS1_11target_archE1200ELNS1_3gpuE4ELNS1_3repE0EEENS1_30default_config_static_selectorELNS0_4arch9wavefront6targetE0EEEvSY_.kd
    .uniform_work_group_size: 1
    .uses_dynamic_stack: false
    .vgpr_count:     0
    .vgpr_spill_count: 0
    .wavefront_size: 32
    .workgroup_processor_mode: 1
  - .args:
      - .offset:         0
        .size:           144
        .value_kind:     by_value
    .group_segment_fixed_size: 0
    .kernarg_segment_align: 8
    .kernarg_segment_size: 144
    .language:       OpenCL C
    .language_version:
      - 2
      - 0
    .max_flat_workgroup_size: 256
    .name:           _ZN7rocprim17ROCPRIM_400000_NS6detail17trampoline_kernelINS0_13select_configILj256ELj13ELNS0_17block_load_methodE3ELS4_3ELS4_3ELNS0_20block_scan_algorithmE0ELj4294967295EEENS1_25partition_config_selectorILNS1_17partition_subalgoE3EjNS0_10empty_typeEbEEZZNS1_14partition_implILS8_3ELb0ES6_jNS0_17counting_iteratorIjlEEPS9_SE_NS0_5tupleIJPjSE_EEENSF_IJSE_SE_EEES9_SG_JZNS1_25segmented_radix_sort_implINS0_14default_configELb1EPKaPaPKlPlN2at6native12_GLOBAL__N_18offset_tEEE10hipError_tPvRmT1_PNSt15iterator_traitsISY_E10value_typeET2_T3_PNSZ_IS14_E10value_typeET4_jRbjT5_S1A_jjP12ihipStream_tbEUljE_EEESV_SW_SX_S14_S18_S1A_T6_T7_T9_mT8_S1C_bDpT10_ENKUlT_T0_E_clISt17integral_constantIbLb1EES1O_IbLb0EEEEDaS1K_S1L_EUlS1K_E_NS1_11comp_targetILNS1_3genE9ELNS1_11target_archE1100ELNS1_3gpuE3ELNS1_3repE0EEENS1_30default_config_static_selectorELNS0_4arch9wavefront6targetE0EEEvSY_
    .private_segment_fixed_size: 0
    .sgpr_count:     0
    .sgpr_spill_count: 0
    .symbol:         _ZN7rocprim17ROCPRIM_400000_NS6detail17trampoline_kernelINS0_13select_configILj256ELj13ELNS0_17block_load_methodE3ELS4_3ELS4_3ELNS0_20block_scan_algorithmE0ELj4294967295EEENS1_25partition_config_selectorILNS1_17partition_subalgoE3EjNS0_10empty_typeEbEEZZNS1_14partition_implILS8_3ELb0ES6_jNS0_17counting_iteratorIjlEEPS9_SE_NS0_5tupleIJPjSE_EEENSF_IJSE_SE_EEES9_SG_JZNS1_25segmented_radix_sort_implINS0_14default_configELb1EPKaPaPKlPlN2at6native12_GLOBAL__N_18offset_tEEE10hipError_tPvRmT1_PNSt15iterator_traitsISY_E10value_typeET2_T3_PNSZ_IS14_E10value_typeET4_jRbjT5_S1A_jjP12ihipStream_tbEUljE_EEESV_SW_SX_S14_S18_S1A_T6_T7_T9_mT8_S1C_bDpT10_ENKUlT_T0_E_clISt17integral_constantIbLb1EES1O_IbLb0EEEEDaS1K_S1L_EUlS1K_E_NS1_11comp_targetILNS1_3genE9ELNS1_11target_archE1100ELNS1_3gpuE3ELNS1_3repE0EEENS1_30default_config_static_selectorELNS0_4arch9wavefront6targetE0EEEvSY_.kd
    .uniform_work_group_size: 1
    .uses_dynamic_stack: false
    .vgpr_count:     0
    .vgpr_spill_count: 0
    .wavefront_size: 32
    .workgroup_processor_mode: 1
  - .args:
      - .offset:         0
        .size:           144
        .value_kind:     by_value
    .group_segment_fixed_size: 0
    .kernarg_segment_align: 8
    .kernarg_segment_size: 144
    .language:       OpenCL C
    .language_version:
      - 2
      - 0
    .max_flat_workgroup_size: 256
    .name:           _ZN7rocprim17ROCPRIM_400000_NS6detail17trampoline_kernelINS0_13select_configILj256ELj13ELNS0_17block_load_methodE3ELS4_3ELS4_3ELNS0_20block_scan_algorithmE0ELj4294967295EEENS1_25partition_config_selectorILNS1_17partition_subalgoE3EjNS0_10empty_typeEbEEZZNS1_14partition_implILS8_3ELb0ES6_jNS0_17counting_iteratorIjlEEPS9_SE_NS0_5tupleIJPjSE_EEENSF_IJSE_SE_EEES9_SG_JZNS1_25segmented_radix_sort_implINS0_14default_configELb1EPKaPaPKlPlN2at6native12_GLOBAL__N_18offset_tEEE10hipError_tPvRmT1_PNSt15iterator_traitsISY_E10value_typeET2_T3_PNSZ_IS14_E10value_typeET4_jRbjT5_S1A_jjP12ihipStream_tbEUljE_EEESV_SW_SX_S14_S18_S1A_T6_T7_T9_mT8_S1C_bDpT10_ENKUlT_T0_E_clISt17integral_constantIbLb1EES1O_IbLb0EEEEDaS1K_S1L_EUlS1K_E_NS1_11comp_targetILNS1_3genE8ELNS1_11target_archE1030ELNS1_3gpuE2ELNS1_3repE0EEENS1_30default_config_static_selectorELNS0_4arch9wavefront6targetE0EEEvSY_
    .private_segment_fixed_size: 0
    .sgpr_count:     0
    .sgpr_spill_count: 0
    .symbol:         _ZN7rocprim17ROCPRIM_400000_NS6detail17trampoline_kernelINS0_13select_configILj256ELj13ELNS0_17block_load_methodE3ELS4_3ELS4_3ELNS0_20block_scan_algorithmE0ELj4294967295EEENS1_25partition_config_selectorILNS1_17partition_subalgoE3EjNS0_10empty_typeEbEEZZNS1_14partition_implILS8_3ELb0ES6_jNS0_17counting_iteratorIjlEEPS9_SE_NS0_5tupleIJPjSE_EEENSF_IJSE_SE_EEES9_SG_JZNS1_25segmented_radix_sort_implINS0_14default_configELb1EPKaPaPKlPlN2at6native12_GLOBAL__N_18offset_tEEE10hipError_tPvRmT1_PNSt15iterator_traitsISY_E10value_typeET2_T3_PNSZ_IS14_E10value_typeET4_jRbjT5_S1A_jjP12ihipStream_tbEUljE_EEESV_SW_SX_S14_S18_S1A_T6_T7_T9_mT8_S1C_bDpT10_ENKUlT_T0_E_clISt17integral_constantIbLb1EES1O_IbLb0EEEEDaS1K_S1L_EUlS1K_E_NS1_11comp_targetILNS1_3genE8ELNS1_11target_archE1030ELNS1_3gpuE2ELNS1_3repE0EEENS1_30default_config_static_selectorELNS0_4arch9wavefront6targetE0EEEvSY_.kd
    .uniform_work_group_size: 1
    .uses_dynamic_stack: false
    .vgpr_count:     0
    .vgpr_spill_count: 0
    .wavefront_size: 32
    .workgroup_processor_mode: 1
  - .args:
      - .offset:         0
        .size:           152
        .value_kind:     by_value
    .group_segment_fixed_size: 0
    .kernarg_segment_align: 8
    .kernarg_segment_size: 152
    .language:       OpenCL C
    .language_version:
      - 2
      - 0
    .max_flat_workgroup_size: 256
    .name:           _ZN7rocprim17ROCPRIM_400000_NS6detail17trampoline_kernelINS0_13select_configILj256ELj13ELNS0_17block_load_methodE3ELS4_3ELS4_3ELNS0_20block_scan_algorithmE0ELj4294967295EEENS1_25partition_config_selectorILNS1_17partition_subalgoE3EjNS0_10empty_typeEbEEZZNS1_14partition_implILS8_3ELb0ES6_jNS0_17counting_iteratorIjlEEPS9_SE_NS0_5tupleIJPjSE_EEENSF_IJSE_SE_EEES9_SG_JZNS1_25segmented_radix_sort_implINS0_14default_configELb1EPKaPaPKlPlN2at6native12_GLOBAL__N_18offset_tEEE10hipError_tPvRmT1_PNSt15iterator_traitsISY_E10value_typeET2_T3_PNSZ_IS14_E10value_typeET4_jRbjT5_S1A_jjP12ihipStream_tbEUljE_EEESV_SW_SX_S14_S18_S1A_T6_T7_T9_mT8_S1C_bDpT10_ENKUlT_T0_E_clISt17integral_constantIbLb0EES1O_IbLb1EEEEDaS1K_S1L_EUlS1K_E_NS1_11comp_targetILNS1_3genE0ELNS1_11target_archE4294967295ELNS1_3gpuE0ELNS1_3repE0EEENS1_30default_config_static_selectorELNS0_4arch9wavefront6targetE0EEEvSY_
    .private_segment_fixed_size: 0
    .sgpr_count:     0
    .sgpr_spill_count: 0
    .symbol:         _ZN7rocprim17ROCPRIM_400000_NS6detail17trampoline_kernelINS0_13select_configILj256ELj13ELNS0_17block_load_methodE3ELS4_3ELS4_3ELNS0_20block_scan_algorithmE0ELj4294967295EEENS1_25partition_config_selectorILNS1_17partition_subalgoE3EjNS0_10empty_typeEbEEZZNS1_14partition_implILS8_3ELb0ES6_jNS0_17counting_iteratorIjlEEPS9_SE_NS0_5tupleIJPjSE_EEENSF_IJSE_SE_EEES9_SG_JZNS1_25segmented_radix_sort_implINS0_14default_configELb1EPKaPaPKlPlN2at6native12_GLOBAL__N_18offset_tEEE10hipError_tPvRmT1_PNSt15iterator_traitsISY_E10value_typeET2_T3_PNSZ_IS14_E10value_typeET4_jRbjT5_S1A_jjP12ihipStream_tbEUljE_EEESV_SW_SX_S14_S18_S1A_T6_T7_T9_mT8_S1C_bDpT10_ENKUlT_T0_E_clISt17integral_constantIbLb0EES1O_IbLb1EEEEDaS1K_S1L_EUlS1K_E_NS1_11comp_targetILNS1_3genE0ELNS1_11target_archE4294967295ELNS1_3gpuE0ELNS1_3repE0EEENS1_30default_config_static_selectorELNS0_4arch9wavefront6targetE0EEEvSY_.kd
    .uniform_work_group_size: 1
    .uses_dynamic_stack: false
    .vgpr_count:     0
    .vgpr_spill_count: 0
    .wavefront_size: 32
    .workgroup_processor_mode: 1
  - .args:
      - .offset:         0
        .size:           152
        .value_kind:     by_value
    .group_segment_fixed_size: 0
    .kernarg_segment_align: 8
    .kernarg_segment_size: 152
    .language:       OpenCL C
    .language_version:
      - 2
      - 0
    .max_flat_workgroup_size: 256
    .name:           _ZN7rocprim17ROCPRIM_400000_NS6detail17trampoline_kernelINS0_13select_configILj256ELj13ELNS0_17block_load_methodE3ELS4_3ELS4_3ELNS0_20block_scan_algorithmE0ELj4294967295EEENS1_25partition_config_selectorILNS1_17partition_subalgoE3EjNS0_10empty_typeEbEEZZNS1_14partition_implILS8_3ELb0ES6_jNS0_17counting_iteratorIjlEEPS9_SE_NS0_5tupleIJPjSE_EEENSF_IJSE_SE_EEES9_SG_JZNS1_25segmented_radix_sort_implINS0_14default_configELb1EPKaPaPKlPlN2at6native12_GLOBAL__N_18offset_tEEE10hipError_tPvRmT1_PNSt15iterator_traitsISY_E10value_typeET2_T3_PNSZ_IS14_E10value_typeET4_jRbjT5_S1A_jjP12ihipStream_tbEUljE_EEESV_SW_SX_S14_S18_S1A_T6_T7_T9_mT8_S1C_bDpT10_ENKUlT_T0_E_clISt17integral_constantIbLb0EES1O_IbLb1EEEEDaS1K_S1L_EUlS1K_E_NS1_11comp_targetILNS1_3genE5ELNS1_11target_archE942ELNS1_3gpuE9ELNS1_3repE0EEENS1_30default_config_static_selectorELNS0_4arch9wavefront6targetE0EEEvSY_
    .private_segment_fixed_size: 0
    .sgpr_count:     0
    .sgpr_spill_count: 0
    .symbol:         _ZN7rocprim17ROCPRIM_400000_NS6detail17trampoline_kernelINS0_13select_configILj256ELj13ELNS0_17block_load_methodE3ELS4_3ELS4_3ELNS0_20block_scan_algorithmE0ELj4294967295EEENS1_25partition_config_selectorILNS1_17partition_subalgoE3EjNS0_10empty_typeEbEEZZNS1_14partition_implILS8_3ELb0ES6_jNS0_17counting_iteratorIjlEEPS9_SE_NS0_5tupleIJPjSE_EEENSF_IJSE_SE_EEES9_SG_JZNS1_25segmented_radix_sort_implINS0_14default_configELb1EPKaPaPKlPlN2at6native12_GLOBAL__N_18offset_tEEE10hipError_tPvRmT1_PNSt15iterator_traitsISY_E10value_typeET2_T3_PNSZ_IS14_E10value_typeET4_jRbjT5_S1A_jjP12ihipStream_tbEUljE_EEESV_SW_SX_S14_S18_S1A_T6_T7_T9_mT8_S1C_bDpT10_ENKUlT_T0_E_clISt17integral_constantIbLb0EES1O_IbLb1EEEEDaS1K_S1L_EUlS1K_E_NS1_11comp_targetILNS1_3genE5ELNS1_11target_archE942ELNS1_3gpuE9ELNS1_3repE0EEENS1_30default_config_static_selectorELNS0_4arch9wavefront6targetE0EEEvSY_.kd
    .uniform_work_group_size: 1
    .uses_dynamic_stack: false
    .vgpr_count:     0
    .vgpr_spill_count: 0
    .wavefront_size: 32
    .workgroup_processor_mode: 1
  - .args:
      - .offset:         0
        .size:           152
        .value_kind:     by_value
    .group_segment_fixed_size: 0
    .kernarg_segment_align: 8
    .kernarg_segment_size: 152
    .language:       OpenCL C
    .language_version:
      - 2
      - 0
    .max_flat_workgroup_size: 256
    .name:           _ZN7rocprim17ROCPRIM_400000_NS6detail17trampoline_kernelINS0_13select_configILj256ELj13ELNS0_17block_load_methodE3ELS4_3ELS4_3ELNS0_20block_scan_algorithmE0ELj4294967295EEENS1_25partition_config_selectorILNS1_17partition_subalgoE3EjNS0_10empty_typeEbEEZZNS1_14partition_implILS8_3ELb0ES6_jNS0_17counting_iteratorIjlEEPS9_SE_NS0_5tupleIJPjSE_EEENSF_IJSE_SE_EEES9_SG_JZNS1_25segmented_radix_sort_implINS0_14default_configELb1EPKaPaPKlPlN2at6native12_GLOBAL__N_18offset_tEEE10hipError_tPvRmT1_PNSt15iterator_traitsISY_E10value_typeET2_T3_PNSZ_IS14_E10value_typeET4_jRbjT5_S1A_jjP12ihipStream_tbEUljE_EEESV_SW_SX_S14_S18_S1A_T6_T7_T9_mT8_S1C_bDpT10_ENKUlT_T0_E_clISt17integral_constantIbLb0EES1O_IbLb1EEEEDaS1K_S1L_EUlS1K_E_NS1_11comp_targetILNS1_3genE4ELNS1_11target_archE910ELNS1_3gpuE8ELNS1_3repE0EEENS1_30default_config_static_selectorELNS0_4arch9wavefront6targetE0EEEvSY_
    .private_segment_fixed_size: 0
    .sgpr_count:     0
    .sgpr_spill_count: 0
    .symbol:         _ZN7rocprim17ROCPRIM_400000_NS6detail17trampoline_kernelINS0_13select_configILj256ELj13ELNS0_17block_load_methodE3ELS4_3ELS4_3ELNS0_20block_scan_algorithmE0ELj4294967295EEENS1_25partition_config_selectorILNS1_17partition_subalgoE3EjNS0_10empty_typeEbEEZZNS1_14partition_implILS8_3ELb0ES6_jNS0_17counting_iteratorIjlEEPS9_SE_NS0_5tupleIJPjSE_EEENSF_IJSE_SE_EEES9_SG_JZNS1_25segmented_radix_sort_implINS0_14default_configELb1EPKaPaPKlPlN2at6native12_GLOBAL__N_18offset_tEEE10hipError_tPvRmT1_PNSt15iterator_traitsISY_E10value_typeET2_T3_PNSZ_IS14_E10value_typeET4_jRbjT5_S1A_jjP12ihipStream_tbEUljE_EEESV_SW_SX_S14_S18_S1A_T6_T7_T9_mT8_S1C_bDpT10_ENKUlT_T0_E_clISt17integral_constantIbLb0EES1O_IbLb1EEEEDaS1K_S1L_EUlS1K_E_NS1_11comp_targetILNS1_3genE4ELNS1_11target_archE910ELNS1_3gpuE8ELNS1_3repE0EEENS1_30default_config_static_selectorELNS0_4arch9wavefront6targetE0EEEvSY_.kd
    .uniform_work_group_size: 1
    .uses_dynamic_stack: false
    .vgpr_count:     0
    .vgpr_spill_count: 0
    .wavefront_size: 32
    .workgroup_processor_mode: 1
  - .args:
      - .offset:         0
        .size:           152
        .value_kind:     by_value
    .group_segment_fixed_size: 0
    .kernarg_segment_align: 8
    .kernarg_segment_size: 152
    .language:       OpenCL C
    .language_version:
      - 2
      - 0
    .max_flat_workgroup_size: 256
    .name:           _ZN7rocprim17ROCPRIM_400000_NS6detail17trampoline_kernelINS0_13select_configILj256ELj13ELNS0_17block_load_methodE3ELS4_3ELS4_3ELNS0_20block_scan_algorithmE0ELj4294967295EEENS1_25partition_config_selectorILNS1_17partition_subalgoE3EjNS0_10empty_typeEbEEZZNS1_14partition_implILS8_3ELb0ES6_jNS0_17counting_iteratorIjlEEPS9_SE_NS0_5tupleIJPjSE_EEENSF_IJSE_SE_EEES9_SG_JZNS1_25segmented_radix_sort_implINS0_14default_configELb1EPKaPaPKlPlN2at6native12_GLOBAL__N_18offset_tEEE10hipError_tPvRmT1_PNSt15iterator_traitsISY_E10value_typeET2_T3_PNSZ_IS14_E10value_typeET4_jRbjT5_S1A_jjP12ihipStream_tbEUljE_EEESV_SW_SX_S14_S18_S1A_T6_T7_T9_mT8_S1C_bDpT10_ENKUlT_T0_E_clISt17integral_constantIbLb0EES1O_IbLb1EEEEDaS1K_S1L_EUlS1K_E_NS1_11comp_targetILNS1_3genE3ELNS1_11target_archE908ELNS1_3gpuE7ELNS1_3repE0EEENS1_30default_config_static_selectorELNS0_4arch9wavefront6targetE0EEEvSY_
    .private_segment_fixed_size: 0
    .sgpr_count:     0
    .sgpr_spill_count: 0
    .symbol:         _ZN7rocprim17ROCPRIM_400000_NS6detail17trampoline_kernelINS0_13select_configILj256ELj13ELNS0_17block_load_methodE3ELS4_3ELS4_3ELNS0_20block_scan_algorithmE0ELj4294967295EEENS1_25partition_config_selectorILNS1_17partition_subalgoE3EjNS0_10empty_typeEbEEZZNS1_14partition_implILS8_3ELb0ES6_jNS0_17counting_iteratorIjlEEPS9_SE_NS0_5tupleIJPjSE_EEENSF_IJSE_SE_EEES9_SG_JZNS1_25segmented_radix_sort_implINS0_14default_configELb1EPKaPaPKlPlN2at6native12_GLOBAL__N_18offset_tEEE10hipError_tPvRmT1_PNSt15iterator_traitsISY_E10value_typeET2_T3_PNSZ_IS14_E10value_typeET4_jRbjT5_S1A_jjP12ihipStream_tbEUljE_EEESV_SW_SX_S14_S18_S1A_T6_T7_T9_mT8_S1C_bDpT10_ENKUlT_T0_E_clISt17integral_constantIbLb0EES1O_IbLb1EEEEDaS1K_S1L_EUlS1K_E_NS1_11comp_targetILNS1_3genE3ELNS1_11target_archE908ELNS1_3gpuE7ELNS1_3repE0EEENS1_30default_config_static_selectorELNS0_4arch9wavefront6targetE0EEEvSY_.kd
    .uniform_work_group_size: 1
    .uses_dynamic_stack: false
    .vgpr_count:     0
    .vgpr_spill_count: 0
    .wavefront_size: 32
    .workgroup_processor_mode: 1
  - .args:
      - .offset:         0
        .size:           152
        .value_kind:     by_value
    .group_segment_fixed_size: 0
    .kernarg_segment_align: 8
    .kernarg_segment_size: 152
    .language:       OpenCL C
    .language_version:
      - 2
      - 0
    .max_flat_workgroup_size: 256
    .name:           _ZN7rocprim17ROCPRIM_400000_NS6detail17trampoline_kernelINS0_13select_configILj256ELj13ELNS0_17block_load_methodE3ELS4_3ELS4_3ELNS0_20block_scan_algorithmE0ELj4294967295EEENS1_25partition_config_selectorILNS1_17partition_subalgoE3EjNS0_10empty_typeEbEEZZNS1_14partition_implILS8_3ELb0ES6_jNS0_17counting_iteratorIjlEEPS9_SE_NS0_5tupleIJPjSE_EEENSF_IJSE_SE_EEES9_SG_JZNS1_25segmented_radix_sort_implINS0_14default_configELb1EPKaPaPKlPlN2at6native12_GLOBAL__N_18offset_tEEE10hipError_tPvRmT1_PNSt15iterator_traitsISY_E10value_typeET2_T3_PNSZ_IS14_E10value_typeET4_jRbjT5_S1A_jjP12ihipStream_tbEUljE_EEESV_SW_SX_S14_S18_S1A_T6_T7_T9_mT8_S1C_bDpT10_ENKUlT_T0_E_clISt17integral_constantIbLb0EES1O_IbLb1EEEEDaS1K_S1L_EUlS1K_E_NS1_11comp_targetILNS1_3genE2ELNS1_11target_archE906ELNS1_3gpuE6ELNS1_3repE0EEENS1_30default_config_static_selectorELNS0_4arch9wavefront6targetE0EEEvSY_
    .private_segment_fixed_size: 0
    .sgpr_count:     0
    .sgpr_spill_count: 0
    .symbol:         _ZN7rocprim17ROCPRIM_400000_NS6detail17trampoline_kernelINS0_13select_configILj256ELj13ELNS0_17block_load_methodE3ELS4_3ELS4_3ELNS0_20block_scan_algorithmE0ELj4294967295EEENS1_25partition_config_selectorILNS1_17partition_subalgoE3EjNS0_10empty_typeEbEEZZNS1_14partition_implILS8_3ELb0ES6_jNS0_17counting_iteratorIjlEEPS9_SE_NS0_5tupleIJPjSE_EEENSF_IJSE_SE_EEES9_SG_JZNS1_25segmented_radix_sort_implINS0_14default_configELb1EPKaPaPKlPlN2at6native12_GLOBAL__N_18offset_tEEE10hipError_tPvRmT1_PNSt15iterator_traitsISY_E10value_typeET2_T3_PNSZ_IS14_E10value_typeET4_jRbjT5_S1A_jjP12ihipStream_tbEUljE_EEESV_SW_SX_S14_S18_S1A_T6_T7_T9_mT8_S1C_bDpT10_ENKUlT_T0_E_clISt17integral_constantIbLb0EES1O_IbLb1EEEEDaS1K_S1L_EUlS1K_E_NS1_11comp_targetILNS1_3genE2ELNS1_11target_archE906ELNS1_3gpuE6ELNS1_3repE0EEENS1_30default_config_static_selectorELNS0_4arch9wavefront6targetE0EEEvSY_.kd
    .uniform_work_group_size: 1
    .uses_dynamic_stack: false
    .vgpr_count:     0
    .vgpr_spill_count: 0
    .wavefront_size: 32
    .workgroup_processor_mode: 1
  - .args:
      - .offset:         0
        .size:           152
        .value_kind:     by_value
    .group_segment_fixed_size: 13320
    .kernarg_segment_align: 8
    .kernarg_segment_size: 152
    .language:       OpenCL C
    .language_version:
      - 2
      - 0
    .max_flat_workgroup_size: 256
    .name:           _ZN7rocprim17ROCPRIM_400000_NS6detail17trampoline_kernelINS0_13select_configILj256ELj13ELNS0_17block_load_methodE3ELS4_3ELS4_3ELNS0_20block_scan_algorithmE0ELj4294967295EEENS1_25partition_config_selectorILNS1_17partition_subalgoE3EjNS0_10empty_typeEbEEZZNS1_14partition_implILS8_3ELb0ES6_jNS0_17counting_iteratorIjlEEPS9_SE_NS0_5tupleIJPjSE_EEENSF_IJSE_SE_EEES9_SG_JZNS1_25segmented_radix_sort_implINS0_14default_configELb1EPKaPaPKlPlN2at6native12_GLOBAL__N_18offset_tEEE10hipError_tPvRmT1_PNSt15iterator_traitsISY_E10value_typeET2_T3_PNSZ_IS14_E10value_typeET4_jRbjT5_S1A_jjP12ihipStream_tbEUljE_EEESV_SW_SX_S14_S18_S1A_T6_T7_T9_mT8_S1C_bDpT10_ENKUlT_T0_E_clISt17integral_constantIbLb0EES1O_IbLb1EEEEDaS1K_S1L_EUlS1K_E_NS1_11comp_targetILNS1_3genE10ELNS1_11target_archE1200ELNS1_3gpuE4ELNS1_3repE0EEENS1_30default_config_static_selectorELNS0_4arch9wavefront6targetE0EEEvSY_
    .private_segment_fixed_size: 0
    .sgpr_count:     28
    .sgpr_spill_count: 0
    .symbol:         _ZN7rocprim17ROCPRIM_400000_NS6detail17trampoline_kernelINS0_13select_configILj256ELj13ELNS0_17block_load_methodE3ELS4_3ELS4_3ELNS0_20block_scan_algorithmE0ELj4294967295EEENS1_25partition_config_selectorILNS1_17partition_subalgoE3EjNS0_10empty_typeEbEEZZNS1_14partition_implILS8_3ELb0ES6_jNS0_17counting_iteratorIjlEEPS9_SE_NS0_5tupleIJPjSE_EEENSF_IJSE_SE_EEES9_SG_JZNS1_25segmented_radix_sort_implINS0_14default_configELb1EPKaPaPKlPlN2at6native12_GLOBAL__N_18offset_tEEE10hipError_tPvRmT1_PNSt15iterator_traitsISY_E10value_typeET2_T3_PNSZ_IS14_E10value_typeET4_jRbjT5_S1A_jjP12ihipStream_tbEUljE_EEESV_SW_SX_S14_S18_S1A_T6_T7_T9_mT8_S1C_bDpT10_ENKUlT_T0_E_clISt17integral_constantIbLb0EES1O_IbLb1EEEEDaS1K_S1L_EUlS1K_E_NS1_11comp_targetILNS1_3genE10ELNS1_11target_archE1200ELNS1_3gpuE4ELNS1_3repE0EEENS1_30default_config_static_selectorELNS0_4arch9wavefront6targetE0EEEvSY_.kd
    .uniform_work_group_size: 1
    .uses_dynamic_stack: false
    .vgpr_count:     71
    .vgpr_spill_count: 0
    .wavefront_size: 32
    .workgroup_processor_mode: 1
  - .args:
      - .offset:         0
        .size:           152
        .value_kind:     by_value
    .group_segment_fixed_size: 0
    .kernarg_segment_align: 8
    .kernarg_segment_size: 152
    .language:       OpenCL C
    .language_version:
      - 2
      - 0
    .max_flat_workgroup_size: 256
    .name:           _ZN7rocprim17ROCPRIM_400000_NS6detail17trampoline_kernelINS0_13select_configILj256ELj13ELNS0_17block_load_methodE3ELS4_3ELS4_3ELNS0_20block_scan_algorithmE0ELj4294967295EEENS1_25partition_config_selectorILNS1_17partition_subalgoE3EjNS0_10empty_typeEbEEZZNS1_14partition_implILS8_3ELb0ES6_jNS0_17counting_iteratorIjlEEPS9_SE_NS0_5tupleIJPjSE_EEENSF_IJSE_SE_EEES9_SG_JZNS1_25segmented_radix_sort_implINS0_14default_configELb1EPKaPaPKlPlN2at6native12_GLOBAL__N_18offset_tEEE10hipError_tPvRmT1_PNSt15iterator_traitsISY_E10value_typeET2_T3_PNSZ_IS14_E10value_typeET4_jRbjT5_S1A_jjP12ihipStream_tbEUljE_EEESV_SW_SX_S14_S18_S1A_T6_T7_T9_mT8_S1C_bDpT10_ENKUlT_T0_E_clISt17integral_constantIbLb0EES1O_IbLb1EEEEDaS1K_S1L_EUlS1K_E_NS1_11comp_targetILNS1_3genE9ELNS1_11target_archE1100ELNS1_3gpuE3ELNS1_3repE0EEENS1_30default_config_static_selectorELNS0_4arch9wavefront6targetE0EEEvSY_
    .private_segment_fixed_size: 0
    .sgpr_count:     0
    .sgpr_spill_count: 0
    .symbol:         _ZN7rocprim17ROCPRIM_400000_NS6detail17trampoline_kernelINS0_13select_configILj256ELj13ELNS0_17block_load_methodE3ELS4_3ELS4_3ELNS0_20block_scan_algorithmE0ELj4294967295EEENS1_25partition_config_selectorILNS1_17partition_subalgoE3EjNS0_10empty_typeEbEEZZNS1_14partition_implILS8_3ELb0ES6_jNS0_17counting_iteratorIjlEEPS9_SE_NS0_5tupleIJPjSE_EEENSF_IJSE_SE_EEES9_SG_JZNS1_25segmented_radix_sort_implINS0_14default_configELb1EPKaPaPKlPlN2at6native12_GLOBAL__N_18offset_tEEE10hipError_tPvRmT1_PNSt15iterator_traitsISY_E10value_typeET2_T3_PNSZ_IS14_E10value_typeET4_jRbjT5_S1A_jjP12ihipStream_tbEUljE_EEESV_SW_SX_S14_S18_S1A_T6_T7_T9_mT8_S1C_bDpT10_ENKUlT_T0_E_clISt17integral_constantIbLb0EES1O_IbLb1EEEEDaS1K_S1L_EUlS1K_E_NS1_11comp_targetILNS1_3genE9ELNS1_11target_archE1100ELNS1_3gpuE3ELNS1_3repE0EEENS1_30default_config_static_selectorELNS0_4arch9wavefront6targetE0EEEvSY_.kd
    .uniform_work_group_size: 1
    .uses_dynamic_stack: false
    .vgpr_count:     0
    .vgpr_spill_count: 0
    .wavefront_size: 32
    .workgroup_processor_mode: 1
  - .args:
      - .offset:         0
        .size:           152
        .value_kind:     by_value
    .group_segment_fixed_size: 0
    .kernarg_segment_align: 8
    .kernarg_segment_size: 152
    .language:       OpenCL C
    .language_version:
      - 2
      - 0
    .max_flat_workgroup_size: 256
    .name:           _ZN7rocprim17ROCPRIM_400000_NS6detail17trampoline_kernelINS0_13select_configILj256ELj13ELNS0_17block_load_methodE3ELS4_3ELS4_3ELNS0_20block_scan_algorithmE0ELj4294967295EEENS1_25partition_config_selectorILNS1_17partition_subalgoE3EjNS0_10empty_typeEbEEZZNS1_14partition_implILS8_3ELb0ES6_jNS0_17counting_iteratorIjlEEPS9_SE_NS0_5tupleIJPjSE_EEENSF_IJSE_SE_EEES9_SG_JZNS1_25segmented_radix_sort_implINS0_14default_configELb1EPKaPaPKlPlN2at6native12_GLOBAL__N_18offset_tEEE10hipError_tPvRmT1_PNSt15iterator_traitsISY_E10value_typeET2_T3_PNSZ_IS14_E10value_typeET4_jRbjT5_S1A_jjP12ihipStream_tbEUljE_EEESV_SW_SX_S14_S18_S1A_T6_T7_T9_mT8_S1C_bDpT10_ENKUlT_T0_E_clISt17integral_constantIbLb0EES1O_IbLb1EEEEDaS1K_S1L_EUlS1K_E_NS1_11comp_targetILNS1_3genE8ELNS1_11target_archE1030ELNS1_3gpuE2ELNS1_3repE0EEENS1_30default_config_static_selectorELNS0_4arch9wavefront6targetE0EEEvSY_
    .private_segment_fixed_size: 0
    .sgpr_count:     0
    .sgpr_spill_count: 0
    .symbol:         _ZN7rocprim17ROCPRIM_400000_NS6detail17trampoline_kernelINS0_13select_configILj256ELj13ELNS0_17block_load_methodE3ELS4_3ELS4_3ELNS0_20block_scan_algorithmE0ELj4294967295EEENS1_25partition_config_selectorILNS1_17partition_subalgoE3EjNS0_10empty_typeEbEEZZNS1_14partition_implILS8_3ELb0ES6_jNS0_17counting_iteratorIjlEEPS9_SE_NS0_5tupleIJPjSE_EEENSF_IJSE_SE_EEES9_SG_JZNS1_25segmented_radix_sort_implINS0_14default_configELb1EPKaPaPKlPlN2at6native12_GLOBAL__N_18offset_tEEE10hipError_tPvRmT1_PNSt15iterator_traitsISY_E10value_typeET2_T3_PNSZ_IS14_E10value_typeET4_jRbjT5_S1A_jjP12ihipStream_tbEUljE_EEESV_SW_SX_S14_S18_S1A_T6_T7_T9_mT8_S1C_bDpT10_ENKUlT_T0_E_clISt17integral_constantIbLb0EES1O_IbLb1EEEEDaS1K_S1L_EUlS1K_E_NS1_11comp_targetILNS1_3genE8ELNS1_11target_archE1030ELNS1_3gpuE2ELNS1_3repE0EEENS1_30default_config_static_selectorELNS0_4arch9wavefront6targetE0EEEvSY_.kd
    .uniform_work_group_size: 1
    .uses_dynamic_stack: false
    .vgpr_count:     0
    .vgpr_spill_count: 0
    .wavefront_size: 32
    .workgroup_processor_mode: 1
  - .args:
      - .offset:         0
        .size:           96
        .value_kind:     by_value
    .group_segment_fixed_size: 0
    .kernarg_segment_align: 8
    .kernarg_segment_size: 96
    .language:       OpenCL C
    .language_version:
      - 2
      - 0
    .max_flat_workgroup_size: 256
    .name:           _ZN7rocprim17ROCPRIM_400000_NS6detail17trampoline_kernelINS0_14default_configENS1_36segmented_radix_sort_config_selectorIalEEZNS1_25segmented_radix_sort_implIS3_Lb1EPKaPaPKlPlN2at6native12_GLOBAL__N_18offset_tEEE10hipError_tPvRmT1_PNSt15iterator_traitsISK_E10value_typeET2_T3_PNSL_ISQ_E10value_typeET4_jRbjT5_SW_jjP12ihipStream_tbEUlT_E_NS1_11comp_targetILNS1_3genE0ELNS1_11target_archE4294967295ELNS1_3gpuE0ELNS1_3repE0EEENS1_30default_config_static_selectorELNS0_4arch9wavefront6targetE0EEEvSK_
    .private_segment_fixed_size: 0
    .sgpr_count:     0
    .sgpr_spill_count: 0
    .symbol:         _ZN7rocprim17ROCPRIM_400000_NS6detail17trampoline_kernelINS0_14default_configENS1_36segmented_radix_sort_config_selectorIalEEZNS1_25segmented_radix_sort_implIS3_Lb1EPKaPaPKlPlN2at6native12_GLOBAL__N_18offset_tEEE10hipError_tPvRmT1_PNSt15iterator_traitsISK_E10value_typeET2_T3_PNSL_ISQ_E10value_typeET4_jRbjT5_SW_jjP12ihipStream_tbEUlT_E_NS1_11comp_targetILNS1_3genE0ELNS1_11target_archE4294967295ELNS1_3gpuE0ELNS1_3repE0EEENS1_30default_config_static_selectorELNS0_4arch9wavefront6targetE0EEEvSK_.kd
    .uniform_work_group_size: 1
    .uses_dynamic_stack: false
    .vgpr_count:     0
    .vgpr_spill_count: 0
    .wavefront_size: 32
    .workgroup_processor_mode: 1
  - .args:
      - .offset:         0
        .size:           96
        .value_kind:     by_value
    .group_segment_fixed_size: 0
    .kernarg_segment_align: 8
    .kernarg_segment_size: 96
    .language:       OpenCL C
    .language_version:
      - 2
      - 0
    .max_flat_workgroup_size: 256
    .name:           _ZN7rocprim17ROCPRIM_400000_NS6detail17trampoline_kernelINS0_14default_configENS1_36segmented_radix_sort_config_selectorIalEEZNS1_25segmented_radix_sort_implIS3_Lb1EPKaPaPKlPlN2at6native12_GLOBAL__N_18offset_tEEE10hipError_tPvRmT1_PNSt15iterator_traitsISK_E10value_typeET2_T3_PNSL_ISQ_E10value_typeET4_jRbjT5_SW_jjP12ihipStream_tbEUlT_E_NS1_11comp_targetILNS1_3genE5ELNS1_11target_archE942ELNS1_3gpuE9ELNS1_3repE0EEENS1_30default_config_static_selectorELNS0_4arch9wavefront6targetE0EEEvSK_
    .private_segment_fixed_size: 0
    .sgpr_count:     0
    .sgpr_spill_count: 0
    .symbol:         _ZN7rocprim17ROCPRIM_400000_NS6detail17trampoline_kernelINS0_14default_configENS1_36segmented_radix_sort_config_selectorIalEEZNS1_25segmented_radix_sort_implIS3_Lb1EPKaPaPKlPlN2at6native12_GLOBAL__N_18offset_tEEE10hipError_tPvRmT1_PNSt15iterator_traitsISK_E10value_typeET2_T3_PNSL_ISQ_E10value_typeET4_jRbjT5_SW_jjP12ihipStream_tbEUlT_E_NS1_11comp_targetILNS1_3genE5ELNS1_11target_archE942ELNS1_3gpuE9ELNS1_3repE0EEENS1_30default_config_static_selectorELNS0_4arch9wavefront6targetE0EEEvSK_.kd
    .uniform_work_group_size: 1
    .uses_dynamic_stack: false
    .vgpr_count:     0
    .vgpr_spill_count: 0
    .wavefront_size: 32
    .workgroup_processor_mode: 1
  - .args:
      - .offset:         0
        .size:           96
        .value_kind:     by_value
    .group_segment_fixed_size: 0
    .kernarg_segment_align: 8
    .kernarg_segment_size: 96
    .language:       OpenCL C
    .language_version:
      - 2
      - 0
    .max_flat_workgroup_size: 256
    .name:           _ZN7rocprim17ROCPRIM_400000_NS6detail17trampoline_kernelINS0_14default_configENS1_36segmented_radix_sort_config_selectorIalEEZNS1_25segmented_radix_sort_implIS3_Lb1EPKaPaPKlPlN2at6native12_GLOBAL__N_18offset_tEEE10hipError_tPvRmT1_PNSt15iterator_traitsISK_E10value_typeET2_T3_PNSL_ISQ_E10value_typeET4_jRbjT5_SW_jjP12ihipStream_tbEUlT_E_NS1_11comp_targetILNS1_3genE4ELNS1_11target_archE910ELNS1_3gpuE8ELNS1_3repE0EEENS1_30default_config_static_selectorELNS0_4arch9wavefront6targetE0EEEvSK_
    .private_segment_fixed_size: 0
    .sgpr_count:     0
    .sgpr_spill_count: 0
    .symbol:         _ZN7rocprim17ROCPRIM_400000_NS6detail17trampoline_kernelINS0_14default_configENS1_36segmented_radix_sort_config_selectorIalEEZNS1_25segmented_radix_sort_implIS3_Lb1EPKaPaPKlPlN2at6native12_GLOBAL__N_18offset_tEEE10hipError_tPvRmT1_PNSt15iterator_traitsISK_E10value_typeET2_T3_PNSL_ISQ_E10value_typeET4_jRbjT5_SW_jjP12ihipStream_tbEUlT_E_NS1_11comp_targetILNS1_3genE4ELNS1_11target_archE910ELNS1_3gpuE8ELNS1_3repE0EEENS1_30default_config_static_selectorELNS0_4arch9wavefront6targetE0EEEvSK_.kd
    .uniform_work_group_size: 1
    .uses_dynamic_stack: false
    .vgpr_count:     0
    .vgpr_spill_count: 0
    .wavefront_size: 32
    .workgroup_processor_mode: 1
  - .args:
      - .offset:         0
        .size:           96
        .value_kind:     by_value
    .group_segment_fixed_size: 0
    .kernarg_segment_align: 8
    .kernarg_segment_size: 96
    .language:       OpenCL C
    .language_version:
      - 2
      - 0
    .max_flat_workgroup_size: 256
    .name:           _ZN7rocprim17ROCPRIM_400000_NS6detail17trampoline_kernelINS0_14default_configENS1_36segmented_radix_sort_config_selectorIalEEZNS1_25segmented_radix_sort_implIS3_Lb1EPKaPaPKlPlN2at6native12_GLOBAL__N_18offset_tEEE10hipError_tPvRmT1_PNSt15iterator_traitsISK_E10value_typeET2_T3_PNSL_ISQ_E10value_typeET4_jRbjT5_SW_jjP12ihipStream_tbEUlT_E_NS1_11comp_targetILNS1_3genE3ELNS1_11target_archE908ELNS1_3gpuE7ELNS1_3repE0EEENS1_30default_config_static_selectorELNS0_4arch9wavefront6targetE0EEEvSK_
    .private_segment_fixed_size: 0
    .sgpr_count:     0
    .sgpr_spill_count: 0
    .symbol:         _ZN7rocprim17ROCPRIM_400000_NS6detail17trampoline_kernelINS0_14default_configENS1_36segmented_radix_sort_config_selectorIalEEZNS1_25segmented_radix_sort_implIS3_Lb1EPKaPaPKlPlN2at6native12_GLOBAL__N_18offset_tEEE10hipError_tPvRmT1_PNSt15iterator_traitsISK_E10value_typeET2_T3_PNSL_ISQ_E10value_typeET4_jRbjT5_SW_jjP12ihipStream_tbEUlT_E_NS1_11comp_targetILNS1_3genE3ELNS1_11target_archE908ELNS1_3gpuE7ELNS1_3repE0EEENS1_30default_config_static_selectorELNS0_4arch9wavefront6targetE0EEEvSK_.kd
    .uniform_work_group_size: 1
    .uses_dynamic_stack: false
    .vgpr_count:     0
    .vgpr_spill_count: 0
    .wavefront_size: 32
    .workgroup_processor_mode: 1
  - .args:
      - .offset:         0
        .size:           96
        .value_kind:     by_value
    .group_segment_fixed_size: 0
    .kernarg_segment_align: 8
    .kernarg_segment_size: 96
    .language:       OpenCL C
    .language_version:
      - 2
      - 0
    .max_flat_workgroup_size: 256
    .name:           _ZN7rocprim17ROCPRIM_400000_NS6detail17trampoline_kernelINS0_14default_configENS1_36segmented_radix_sort_config_selectorIalEEZNS1_25segmented_radix_sort_implIS3_Lb1EPKaPaPKlPlN2at6native12_GLOBAL__N_18offset_tEEE10hipError_tPvRmT1_PNSt15iterator_traitsISK_E10value_typeET2_T3_PNSL_ISQ_E10value_typeET4_jRbjT5_SW_jjP12ihipStream_tbEUlT_E_NS1_11comp_targetILNS1_3genE2ELNS1_11target_archE906ELNS1_3gpuE6ELNS1_3repE0EEENS1_30default_config_static_selectorELNS0_4arch9wavefront6targetE0EEEvSK_
    .private_segment_fixed_size: 0
    .sgpr_count:     0
    .sgpr_spill_count: 0
    .symbol:         _ZN7rocprim17ROCPRIM_400000_NS6detail17trampoline_kernelINS0_14default_configENS1_36segmented_radix_sort_config_selectorIalEEZNS1_25segmented_radix_sort_implIS3_Lb1EPKaPaPKlPlN2at6native12_GLOBAL__N_18offset_tEEE10hipError_tPvRmT1_PNSt15iterator_traitsISK_E10value_typeET2_T3_PNSL_ISQ_E10value_typeET4_jRbjT5_SW_jjP12ihipStream_tbEUlT_E_NS1_11comp_targetILNS1_3genE2ELNS1_11target_archE906ELNS1_3gpuE6ELNS1_3repE0EEENS1_30default_config_static_selectorELNS0_4arch9wavefront6targetE0EEEvSK_.kd
    .uniform_work_group_size: 1
    .uses_dynamic_stack: false
    .vgpr_count:     0
    .vgpr_spill_count: 0
    .wavefront_size: 32
    .workgroup_processor_mode: 1
  - .args:
      - .offset:         0
        .size:           96
        .value_kind:     by_value
      - .offset:         96
        .size:           4
        .value_kind:     hidden_block_count_x
      - .offset:         100
        .size:           4
        .value_kind:     hidden_block_count_y
      - .offset:         104
        .size:           4
        .value_kind:     hidden_block_count_z
      - .offset:         108
        .size:           2
        .value_kind:     hidden_group_size_x
      - .offset:         110
        .size:           2
        .value_kind:     hidden_group_size_y
      - .offset:         112
        .size:           2
        .value_kind:     hidden_group_size_z
      - .offset:         114
        .size:           2
        .value_kind:     hidden_remainder_x
      - .offset:         116
        .size:           2
        .value_kind:     hidden_remainder_y
      - .offset:         118
        .size:           2
        .value_kind:     hidden_remainder_z
      - .offset:         136
        .size:           8
        .value_kind:     hidden_global_offset_x
      - .offset:         144
        .size:           8
        .value_kind:     hidden_global_offset_y
      - .offset:         152
        .size:           8
        .value_kind:     hidden_global_offset_z
      - .offset:         160
        .size:           2
        .value_kind:     hidden_grid_dims
    .group_segment_fixed_size: 17440
    .kernarg_segment_align: 8
    .kernarg_segment_size: 352
    .language:       OpenCL C
    .language_version:
      - 2
      - 0
    .max_flat_workgroup_size: 256
    .name:           _ZN7rocprim17ROCPRIM_400000_NS6detail17trampoline_kernelINS0_14default_configENS1_36segmented_radix_sort_config_selectorIalEEZNS1_25segmented_radix_sort_implIS3_Lb1EPKaPaPKlPlN2at6native12_GLOBAL__N_18offset_tEEE10hipError_tPvRmT1_PNSt15iterator_traitsISK_E10value_typeET2_T3_PNSL_ISQ_E10value_typeET4_jRbjT5_SW_jjP12ihipStream_tbEUlT_E_NS1_11comp_targetILNS1_3genE10ELNS1_11target_archE1201ELNS1_3gpuE5ELNS1_3repE0EEENS1_30default_config_static_selectorELNS0_4arch9wavefront6targetE0EEEvSK_
    .private_segment_fixed_size: 0
    .sgpr_count:     52
    .sgpr_spill_count: 0
    .symbol:         _ZN7rocprim17ROCPRIM_400000_NS6detail17trampoline_kernelINS0_14default_configENS1_36segmented_radix_sort_config_selectorIalEEZNS1_25segmented_radix_sort_implIS3_Lb1EPKaPaPKlPlN2at6native12_GLOBAL__N_18offset_tEEE10hipError_tPvRmT1_PNSt15iterator_traitsISK_E10value_typeET2_T3_PNSL_ISQ_E10value_typeET4_jRbjT5_SW_jjP12ihipStream_tbEUlT_E_NS1_11comp_targetILNS1_3genE10ELNS1_11target_archE1201ELNS1_3gpuE5ELNS1_3repE0EEENS1_30default_config_static_selectorELNS0_4arch9wavefront6targetE0EEEvSK_.kd
    .uniform_work_group_size: 1
    .uses_dynamic_stack: false
    .vgpr_count:     197
    .vgpr_spill_count: 0
    .wavefront_size: 32
    .workgroup_processor_mode: 1
  - .args:
      - .offset:         0
        .size:           96
        .value_kind:     by_value
    .group_segment_fixed_size: 0
    .kernarg_segment_align: 8
    .kernarg_segment_size: 96
    .language:       OpenCL C
    .language_version:
      - 2
      - 0
    .max_flat_workgroup_size: 128
    .name:           _ZN7rocprim17ROCPRIM_400000_NS6detail17trampoline_kernelINS0_14default_configENS1_36segmented_radix_sort_config_selectorIalEEZNS1_25segmented_radix_sort_implIS3_Lb1EPKaPaPKlPlN2at6native12_GLOBAL__N_18offset_tEEE10hipError_tPvRmT1_PNSt15iterator_traitsISK_E10value_typeET2_T3_PNSL_ISQ_E10value_typeET4_jRbjT5_SW_jjP12ihipStream_tbEUlT_E_NS1_11comp_targetILNS1_3genE10ELNS1_11target_archE1200ELNS1_3gpuE4ELNS1_3repE0EEENS1_30default_config_static_selectorELNS0_4arch9wavefront6targetE0EEEvSK_
    .private_segment_fixed_size: 0
    .sgpr_count:     0
    .sgpr_spill_count: 0
    .symbol:         _ZN7rocprim17ROCPRIM_400000_NS6detail17trampoline_kernelINS0_14default_configENS1_36segmented_radix_sort_config_selectorIalEEZNS1_25segmented_radix_sort_implIS3_Lb1EPKaPaPKlPlN2at6native12_GLOBAL__N_18offset_tEEE10hipError_tPvRmT1_PNSt15iterator_traitsISK_E10value_typeET2_T3_PNSL_ISQ_E10value_typeET4_jRbjT5_SW_jjP12ihipStream_tbEUlT_E_NS1_11comp_targetILNS1_3genE10ELNS1_11target_archE1200ELNS1_3gpuE4ELNS1_3repE0EEENS1_30default_config_static_selectorELNS0_4arch9wavefront6targetE0EEEvSK_.kd
    .uniform_work_group_size: 1
    .uses_dynamic_stack: false
    .vgpr_count:     0
    .vgpr_spill_count: 0
    .wavefront_size: 32
    .workgroup_processor_mode: 1
  - .args:
      - .offset:         0
        .size:           96
        .value_kind:     by_value
    .group_segment_fixed_size: 0
    .kernarg_segment_align: 8
    .kernarg_segment_size: 96
    .language:       OpenCL C
    .language_version:
      - 2
      - 0
    .max_flat_workgroup_size: 256
    .name:           _ZN7rocprim17ROCPRIM_400000_NS6detail17trampoline_kernelINS0_14default_configENS1_36segmented_radix_sort_config_selectorIalEEZNS1_25segmented_radix_sort_implIS3_Lb1EPKaPaPKlPlN2at6native12_GLOBAL__N_18offset_tEEE10hipError_tPvRmT1_PNSt15iterator_traitsISK_E10value_typeET2_T3_PNSL_ISQ_E10value_typeET4_jRbjT5_SW_jjP12ihipStream_tbEUlT_E_NS1_11comp_targetILNS1_3genE9ELNS1_11target_archE1100ELNS1_3gpuE3ELNS1_3repE0EEENS1_30default_config_static_selectorELNS0_4arch9wavefront6targetE0EEEvSK_
    .private_segment_fixed_size: 0
    .sgpr_count:     0
    .sgpr_spill_count: 0
    .symbol:         _ZN7rocprim17ROCPRIM_400000_NS6detail17trampoline_kernelINS0_14default_configENS1_36segmented_radix_sort_config_selectorIalEEZNS1_25segmented_radix_sort_implIS3_Lb1EPKaPaPKlPlN2at6native12_GLOBAL__N_18offset_tEEE10hipError_tPvRmT1_PNSt15iterator_traitsISK_E10value_typeET2_T3_PNSL_ISQ_E10value_typeET4_jRbjT5_SW_jjP12ihipStream_tbEUlT_E_NS1_11comp_targetILNS1_3genE9ELNS1_11target_archE1100ELNS1_3gpuE3ELNS1_3repE0EEENS1_30default_config_static_selectorELNS0_4arch9wavefront6targetE0EEEvSK_.kd
    .uniform_work_group_size: 1
    .uses_dynamic_stack: false
    .vgpr_count:     0
    .vgpr_spill_count: 0
    .wavefront_size: 32
    .workgroup_processor_mode: 1
  - .args:
      - .offset:         0
        .size:           96
        .value_kind:     by_value
    .group_segment_fixed_size: 0
    .kernarg_segment_align: 8
    .kernarg_segment_size: 96
    .language:       OpenCL C
    .language_version:
      - 2
      - 0
    .max_flat_workgroup_size: 256
    .name:           _ZN7rocprim17ROCPRIM_400000_NS6detail17trampoline_kernelINS0_14default_configENS1_36segmented_radix_sort_config_selectorIalEEZNS1_25segmented_radix_sort_implIS3_Lb1EPKaPaPKlPlN2at6native12_GLOBAL__N_18offset_tEEE10hipError_tPvRmT1_PNSt15iterator_traitsISK_E10value_typeET2_T3_PNSL_ISQ_E10value_typeET4_jRbjT5_SW_jjP12ihipStream_tbEUlT_E_NS1_11comp_targetILNS1_3genE8ELNS1_11target_archE1030ELNS1_3gpuE2ELNS1_3repE0EEENS1_30default_config_static_selectorELNS0_4arch9wavefront6targetE0EEEvSK_
    .private_segment_fixed_size: 0
    .sgpr_count:     0
    .sgpr_spill_count: 0
    .symbol:         _ZN7rocprim17ROCPRIM_400000_NS6detail17trampoline_kernelINS0_14default_configENS1_36segmented_radix_sort_config_selectorIalEEZNS1_25segmented_radix_sort_implIS3_Lb1EPKaPaPKlPlN2at6native12_GLOBAL__N_18offset_tEEE10hipError_tPvRmT1_PNSt15iterator_traitsISK_E10value_typeET2_T3_PNSL_ISQ_E10value_typeET4_jRbjT5_SW_jjP12ihipStream_tbEUlT_E_NS1_11comp_targetILNS1_3genE8ELNS1_11target_archE1030ELNS1_3gpuE2ELNS1_3repE0EEENS1_30default_config_static_selectorELNS0_4arch9wavefront6targetE0EEEvSK_.kd
    .uniform_work_group_size: 1
    .uses_dynamic_stack: false
    .vgpr_count:     0
    .vgpr_spill_count: 0
    .wavefront_size: 32
    .workgroup_processor_mode: 1
  - .args:
      - .offset:         0
        .size:           88
        .value_kind:     by_value
    .group_segment_fixed_size: 0
    .kernarg_segment_align: 8
    .kernarg_segment_size: 88
    .language:       OpenCL C
    .language_version:
      - 2
      - 0
    .max_flat_workgroup_size: 256
    .name:           _ZN7rocprim17ROCPRIM_400000_NS6detail17trampoline_kernelINS0_14default_configENS1_36segmented_radix_sort_config_selectorIalEEZNS1_25segmented_radix_sort_implIS3_Lb1EPKaPaPKlPlN2at6native12_GLOBAL__N_18offset_tEEE10hipError_tPvRmT1_PNSt15iterator_traitsISK_E10value_typeET2_T3_PNSL_ISQ_E10value_typeET4_jRbjT5_SW_jjP12ihipStream_tbEUlT_E0_NS1_11comp_targetILNS1_3genE0ELNS1_11target_archE4294967295ELNS1_3gpuE0ELNS1_3repE0EEENS1_60segmented_radix_sort_warp_sort_medium_config_static_selectorELNS0_4arch9wavefront6targetE0EEEvSK_
    .private_segment_fixed_size: 0
    .sgpr_count:     0
    .sgpr_spill_count: 0
    .symbol:         _ZN7rocprim17ROCPRIM_400000_NS6detail17trampoline_kernelINS0_14default_configENS1_36segmented_radix_sort_config_selectorIalEEZNS1_25segmented_radix_sort_implIS3_Lb1EPKaPaPKlPlN2at6native12_GLOBAL__N_18offset_tEEE10hipError_tPvRmT1_PNSt15iterator_traitsISK_E10value_typeET2_T3_PNSL_ISQ_E10value_typeET4_jRbjT5_SW_jjP12ihipStream_tbEUlT_E0_NS1_11comp_targetILNS1_3genE0ELNS1_11target_archE4294967295ELNS1_3gpuE0ELNS1_3repE0EEENS1_60segmented_radix_sort_warp_sort_medium_config_static_selectorELNS0_4arch9wavefront6targetE0EEEvSK_.kd
    .uniform_work_group_size: 1
    .uses_dynamic_stack: false
    .vgpr_count:     0
    .vgpr_spill_count: 0
    .wavefront_size: 32
    .workgroup_processor_mode: 1
  - .args:
      - .offset:         0
        .size:           88
        .value_kind:     by_value
    .group_segment_fixed_size: 0
    .kernarg_segment_align: 8
    .kernarg_segment_size: 88
    .language:       OpenCL C
    .language_version:
      - 2
      - 0
    .max_flat_workgroup_size: 256
    .name:           _ZN7rocprim17ROCPRIM_400000_NS6detail17trampoline_kernelINS0_14default_configENS1_36segmented_radix_sort_config_selectorIalEEZNS1_25segmented_radix_sort_implIS3_Lb1EPKaPaPKlPlN2at6native12_GLOBAL__N_18offset_tEEE10hipError_tPvRmT1_PNSt15iterator_traitsISK_E10value_typeET2_T3_PNSL_ISQ_E10value_typeET4_jRbjT5_SW_jjP12ihipStream_tbEUlT_E0_NS1_11comp_targetILNS1_3genE5ELNS1_11target_archE942ELNS1_3gpuE9ELNS1_3repE0EEENS1_60segmented_radix_sort_warp_sort_medium_config_static_selectorELNS0_4arch9wavefront6targetE0EEEvSK_
    .private_segment_fixed_size: 0
    .sgpr_count:     0
    .sgpr_spill_count: 0
    .symbol:         _ZN7rocprim17ROCPRIM_400000_NS6detail17trampoline_kernelINS0_14default_configENS1_36segmented_radix_sort_config_selectorIalEEZNS1_25segmented_radix_sort_implIS3_Lb1EPKaPaPKlPlN2at6native12_GLOBAL__N_18offset_tEEE10hipError_tPvRmT1_PNSt15iterator_traitsISK_E10value_typeET2_T3_PNSL_ISQ_E10value_typeET4_jRbjT5_SW_jjP12ihipStream_tbEUlT_E0_NS1_11comp_targetILNS1_3genE5ELNS1_11target_archE942ELNS1_3gpuE9ELNS1_3repE0EEENS1_60segmented_radix_sort_warp_sort_medium_config_static_selectorELNS0_4arch9wavefront6targetE0EEEvSK_.kd
    .uniform_work_group_size: 1
    .uses_dynamic_stack: false
    .vgpr_count:     0
    .vgpr_spill_count: 0
    .wavefront_size: 32
    .workgroup_processor_mode: 1
  - .args:
      - .offset:         0
        .size:           88
        .value_kind:     by_value
    .group_segment_fixed_size: 0
    .kernarg_segment_align: 8
    .kernarg_segment_size: 88
    .language:       OpenCL C
    .language_version:
      - 2
      - 0
    .max_flat_workgroup_size: 256
    .name:           _ZN7rocprim17ROCPRIM_400000_NS6detail17trampoline_kernelINS0_14default_configENS1_36segmented_radix_sort_config_selectorIalEEZNS1_25segmented_radix_sort_implIS3_Lb1EPKaPaPKlPlN2at6native12_GLOBAL__N_18offset_tEEE10hipError_tPvRmT1_PNSt15iterator_traitsISK_E10value_typeET2_T3_PNSL_ISQ_E10value_typeET4_jRbjT5_SW_jjP12ihipStream_tbEUlT_E0_NS1_11comp_targetILNS1_3genE4ELNS1_11target_archE910ELNS1_3gpuE8ELNS1_3repE0EEENS1_60segmented_radix_sort_warp_sort_medium_config_static_selectorELNS0_4arch9wavefront6targetE0EEEvSK_
    .private_segment_fixed_size: 0
    .sgpr_count:     0
    .sgpr_spill_count: 0
    .symbol:         _ZN7rocprim17ROCPRIM_400000_NS6detail17trampoline_kernelINS0_14default_configENS1_36segmented_radix_sort_config_selectorIalEEZNS1_25segmented_radix_sort_implIS3_Lb1EPKaPaPKlPlN2at6native12_GLOBAL__N_18offset_tEEE10hipError_tPvRmT1_PNSt15iterator_traitsISK_E10value_typeET2_T3_PNSL_ISQ_E10value_typeET4_jRbjT5_SW_jjP12ihipStream_tbEUlT_E0_NS1_11comp_targetILNS1_3genE4ELNS1_11target_archE910ELNS1_3gpuE8ELNS1_3repE0EEENS1_60segmented_radix_sort_warp_sort_medium_config_static_selectorELNS0_4arch9wavefront6targetE0EEEvSK_.kd
    .uniform_work_group_size: 1
    .uses_dynamic_stack: false
    .vgpr_count:     0
    .vgpr_spill_count: 0
    .wavefront_size: 32
    .workgroup_processor_mode: 1
  - .args:
      - .offset:         0
        .size:           88
        .value_kind:     by_value
    .group_segment_fixed_size: 0
    .kernarg_segment_align: 8
    .kernarg_segment_size: 88
    .language:       OpenCL C
    .language_version:
      - 2
      - 0
    .max_flat_workgroup_size: 256
    .name:           _ZN7rocprim17ROCPRIM_400000_NS6detail17trampoline_kernelINS0_14default_configENS1_36segmented_radix_sort_config_selectorIalEEZNS1_25segmented_radix_sort_implIS3_Lb1EPKaPaPKlPlN2at6native12_GLOBAL__N_18offset_tEEE10hipError_tPvRmT1_PNSt15iterator_traitsISK_E10value_typeET2_T3_PNSL_ISQ_E10value_typeET4_jRbjT5_SW_jjP12ihipStream_tbEUlT_E0_NS1_11comp_targetILNS1_3genE3ELNS1_11target_archE908ELNS1_3gpuE7ELNS1_3repE0EEENS1_60segmented_radix_sort_warp_sort_medium_config_static_selectorELNS0_4arch9wavefront6targetE0EEEvSK_
    .private_segment_fixed_size: 0
    .sgpr_count:     0
    .sgpr_spill_count: 0
    .symbol:         _ZN7rocprim17ROCPRIM_400000_NS6detail17trampoline_kernelINS0_14default_configENS1_36segmented_radix_sort_config_selectorIalEEZNS1_25segmented_radix_sort_implIS3_Lb1EPKaPaPKlPlN2at6native12_GLOBAL__N_18offset_tEEE10hipError_tPvRmT1_PNSt15iterator_traitsISK_E10value_typeET2_T3_PNSL_ISQ_E10value_typeET4_jRbjT5_SW_jjP12ihipStream_tbEUlT_E0_NS1_11comp_targetILNS1_3genE3ELNS1_11target_archE908ELNS1_3gpuE7ELNS1_3repE0EEENS1_60segmented_radix_sort_warp_sort_medium_config_static_selectorELNS0_4arch9wavefront6targetE0EEEvSK_.kd
    .uniform_work_group_size: 1
    .uses_dynamic_stack: false
    .vgpr_count:     0
    .vgpr_spill_count: 0
    .wavefront_size: 32
    .workgroup_processor_mode: 1
  - .args:
      - .offset:         0
        .size:           88
        .value_kind:     by_value
    .group_segment_fixed_size: 0
    .kernarg_segment_align: 8
    .kernarg_segment_size: 88
    .language:       OpenCL C
    .language_version:
      - 2
      - 0
    .max_flat_workgroup_size: 256
    .name:           _ZN7rocprim17ROCPRIM_400000_NS6detail17trampoline_kernelINS0_14default_configENS1_36segmented_radix_sort_config_selectorIalEEZNS1_25segmented_radix_sort_implIS3_Lb1EPKaPaPKlPlN2at6native12_GLOBAL__N_18offset_tEEE10hipError_tPvRmT1_PNSt15iterator_traitsISK_E10value_typeET2_T3_PNSL_ISQ_E10value_typeET4_jRbjT5_SW_jjP12ihipStream_tbEUlT_E0_NS1_11comp_targetILNS1_3genE2ELNS1_11target_archE906ELNS1_3gpuE6ELNS1_3repE0EEENS1_60segmented_radix_sort_warp_sort_medium_config_static_selectorELNS0_4arch9wavefront6targetE0EEEvSK_
    .private_segment_fixed_size: 0
    .sgpr_count:     0
    .sgpr_spill_count: 0
    .symbol:         _ZN7rocprim17ROCPRIM_400000_NS6detail17trampoline_kernelINS0_14default_configENS1_36segmented_radix_sort_config_selectorIalEEZNS1_25segmented_radix_sort_implIS3_Lb1EPKaPaPKlPlN2at6native12_GLOBAL__N_18offset_tEEE10hipError_tPvRmT1_PNSt15iterator_traitsISK_E10value_typeET2_T3_PNSL_ISQ_E10value_typeET4_jRbjT5_SW_jjP12ihipStream_tbEUlT_E0_NS1_11comp_targetILNS1_3genE2ELNS1_11target_archE906ELNS1_3gpuE6ELNS1_3repE0EEENS1_60segmented_radix_sort_warp_sort_medium_config_static_selectorELNS0_4arch9wavefront6targetE0EEEvSK_.kd
    .uniform_work_group_size: 1
    .uses_dynamic_stack: false
    .vgpr_count:     0
    .vgpr_spill_count: 0
    .wavefront_size: 32
    .workgroup_processor_mode: 1
  - .args:
      - .offset:         0
        .size:           88
        .value_kind:     by_value
      - .offset:         88
        .size:           4
        .value_kind:     hidden_block_count_x
      - .offset:         92
        .size:           4
        .value_kind:     hidden_block_count_y
      - .offset:         96
        .size:           4
        .value_kind:     hidden_block_count_z
      - .offset:         100
        .size:           2
        .value_kind:     hidden_group_size_x
      - .offset:         102
        .size:           2
        .value_kind:     hidden_group_size_y
      - .offset:         104
        .size:           2
        .value_kind:     hidden_group_size_z
      - .offset:         106
        .size:           2
        .value_kind:     hidden_remainder_x
      - .offset:         108
        .size:           2
        .value_kind:     hidden_remainder_y
      - .offset:         110
        .size:           2
        .value_kind:     hidden_remainder_z
      - .offset:         128
        .size:           8
        .value_kind:     hidden_global_offset_x
      - .offset:         136
        .size:           8
        .value_kind:     hidden_global_offset_y
      - .offset:         144
        .size:           8
        .value_kind:     hidden_global_offset_z
      - .offset:         152
        .size:           2
        .value_kind:     hidden_grid_dims
    .group_segment_fixed_size: 18432
    .kernarg_segment_align: 8
    .kernarg_segment_size: 344
    .language:       OpenCL C
    .language_version:
      - 2
      - 0
    .max_flat_workgroup_size: 256
    .name:           _ZN7rocprim17ROCPRIM_400000_NS6detail17trampoline_kernelINS0_14default_configENS1_36segmented_radix_sort_config_selectorIalEEZNS1_25segmented_radix_sort_implIS3_Lb1EPKaPaPKlPlN2at6native12_GLOBAL__N_18offset_tEEE10hipError_tPvRmT1_PNSt15iterator_traitsISK_E10value_typeET2_T3_PNSL_ISQ_E10value_typeET4_jRbjT5_SW_jjP12ihipStream_tbEUlT_E0_NS1_11comp_targetILNS1_3genE10ELNS1_11target_archE1201ELNS1_3gpuE5ELNS1_3repE0EEENS1_60segmented_radix_sort_warp_sort_medium_config_static_selectorELNS0_4arch9wavefront6targetE0EEEvSK_
    .private_segment_fixed_size: 0
    .sgpr_count:     46
    .sgpr_spill_count: 0
    .symbol:         _ZN7rocprim17ROCPRIM_400000_NS6detail17trampoline_kernelINS0_14default_configENS1_36segmented_radix_sort_config_selectorIalEEZNS1_25segmented_radix_sort_implIS3_Lb1EPKaPaPKlPlN2at6native12_GLOBAL__N_18offset_tEEE10hipError_tPvRmT1_PNSt15iterator_traitsISK_E10value_typeET2_T3_PNSL_ISQ_E10value_typeET4_jRbjT5_SW_jjP12ihipStream_tbEUlT_E0_NS1_11comp_targetILNS1_3genE10ELNS1_11target_archE1201ELNS1_3gpuE5ELNS1_3repE0EEENS1_60segmented_radix_sort_warp_sort_medium_config_static_selectorELNS0_4arch9wavefront6targetE0EEEvSK_.kd
    .uniform_work_group_size: 1
    .uses_dynamic_stack: false
    .vgpr_count:     68
    .vgpr_spill_count: 0
    .wavefront_size: 32
    .workgroup_processor_mode: 1
  - .args:
      - .offset:         0
        .size:           88
        .value_kind:     by_value
    .group_segment_fixed_size: 0
    .kernarg_segment_align: 8
    .kernarg_segment_size: 88
    .language:       OpenCL C
    .language_version:
      - 2
      - 0
    .max_flat_workgroup_size: 256
    .name:           _ZN7rocprim17ROCPRIM_400000_NS6detail17trampoline_kernelINS0_14default_configENS1_36segmented_radix_sort_config_selectorIalEEZNS1_25segmented_radix_sort_implIS3_Lb1EPKaPaPKlPlN2at6native12_GLOBAL__N_18offset_tEEE10hipError_tPvRmT1_PNSt15iterator_traitsISK_E10value_typeET2_T3_PNSL_ISQ_E10value_typeET4_jRbjT5_SW_jjP12ihipStream_tbEUlT_E0_NS1_11comp_targetILNS1_3genE10ELNS1_11target_archE1200ELNS1_3gpuE4ELNS1_3repE0EEENS1_60segmented_radix_sort_warp_sort_medium_config_static_selectorELNS0_4arch9wavefront6targetE0EEEvSK_
    .private_segment_fixed_size: 0
    .sgpr_count:     0
    .sgpr_spill_count: 0
    .symbol:         _ZN7rocprim17ROCPRIM_400000_NS6detail17trampoline_kernelINS0_14default_configENS1_36segmented_radix_sort_config_selectorIalEEZNS1_25segmented_radix_sort_implIS3_Lb1EPKaPaPKlPlN2at6native12_GLOBAL__N_18offset_tEEE10hipError_tPvRmT1_PNSt15iterator_traitsISK_E10value_typeET2_T3_PNSL_ISQ_E10value_typeET4_jRbjT5_SW_jjP12ihipStream_tbEUlT_E0_NS1_11comp_targetILNS1_3genE10ELNS1_11target_archE1200ELNS1_3gpuE4ELNS1_3repE0EEENS1_60segmented_radix_sort_warp_sort_medium_config_static_selectorELNS0_4arch9wavefront6targetE0EEEvSK_.kd
    .uniform_work_group_size: 1
    .uses_dynamic_stack: false
    .vgpr_count:     0
    .vgpr_spill_count: 0
    .wavefront_size: 32
    .workgroup_processor_mode: 1
  - .args:
      - .offset:         0
        .size:           88
        .value_kind:     by_value
    .group_segment_fixed_size: 0
    .kernarg_segment_align: 8
    .kernarg_segment_size: 88
    .language:       OpenCL C
    .language_version:
      - 2
      - 0
    .max_flat_workgroup_size: 256
    .name:           _ZN7rocprim17ROCPRIM_400000_NS6detail17trampoline_kernelINS0_14default_configENS1_36segmented_radix_sort_config_selectorIalEEZNS1_25segmented_radix_sort_implIS3_Lb1EPKaPaPKlPlN2at6native12_GLOBAL__N_18offset_tEEE10hipError_tPvRmT1_PNSt15iterator_traitsISK_E10value_typeET2_T3_PNSL_ISQ_E10value_typeET4_jRbjT5_SW_jjP12ihipStream_tbEUlT_E0_NS1_11comp_targetILNS1_3genE9ELNS1_11target_archE1100ELNS1_3gpuE3ELNS1_3repE0EEENS1_60segmented_radix_sort_warp_sort_medium_config_static_selectorELNS0_4arch9wavefront6targetE0EEEvSK_
    .private_segment_fixed_size: 0
    .sgpr_count:     0
    .sgpr_spill_count: 0
    .symbol:         _ZN7rocprim17ROCPRIM_400000_NS6detail17trampoline_kernelINS0_14default_configENS1_36segmented_radix_sort_config_selectorIalEEZNS1_25segmented_radix_sort_implIS3_Lb1EPKaPaPKlPlN2at6native12_GLOBAL__N_18offset_tEEE10hipError_tPvRmT1_PNSt15iterator_traitsISK_E10value_typeET2_T3_PNSL_ISQ_E10value_typeET4_jRbjT5_SW_jjP12ihipStream_tbEUlT_E0_NS1_11comp_targetILNS1_3genE9ELNS1_11target_archE1100ELNS1_3gpuE3ELNS1_3repE0EEENS1_60segmented_radix_sort_warp_sort_medium_config_static_selectorELNS0_4arch9wavefront6targetE0EEEvSK_.kd
    .uniform_work_group_size: 1
    .uses_dynamic_stack: false
    .vgpr_count:     0
    .vgpr_spill_count: 0
    .wavefront_size: 32
    .workgroup_processor_mode: 1
  - .args:
      - .offset:         0
        .size:           88
        .value_kind:     by_value
    .group_segment_fixed_size: 0
    .kernarg_segment_align: 8
    .kernarg_segment_size: 88
    .language:       OpenCL C
    .language_version:
      - 2
      - 0
    .max_flat_workgroup_size: 256
    .name:           _ZN7rocprim17ROCPRIM_400000_NS6detail17trampoline_kernelINS0_14default_configENS1_36segmented_radix_sort_config_selectorIalEEZNS1_25segmented_radix_sort_implIS3_Lb1EPKaPaPKlPlN2at6native12_GLOBAL__N_18offset_tEEE10hipError_tPvRmT1_PNSt15iterator_traitsISK_E10value_typeET2_T3_PNSL_ISQ_E10value_typeET4_jRbjT5_SW_jjP12ihipStream_tbEUlT_E0_NS1_11comp_targetILNS1_3genE8ELNS1_11target_archE1030ELNS1_3gpuE2ELNS1_3repE0EEENS1_60segmented_radix_sort_warp_sort_medium_config_static_selectorELNS0_4arch9wavefront6targetE0EEEvSK_
    .private_segment_fixed_size: 0
    .sgpr_count:     0
    .sgpr_spill_count: 0
    .symbol:         _ZN7rocprim17ROCPRIM_400000_NS6detail17trampoline_kernelINS0_14default_configENS1_36segmented_radix_sort_config_selectorIalEEZNS1_25segmented_radix_sort_implIS3_Lb1EPKaPaPKlPlN2at6native12_GLOBAL__N_18offset_tEEE10hipError_tPvRmT1_PNSt15iterator_traitsISK_E10value_typeET2_T3_PNSL_ISQ_E10value_typeET4_jRbjT5_SW_jjP12ihipStream_tbEUlT_E0_NS1_11comp_targetILNS1_3genE8ELNS1_11target_archE1030ELNS1_3gpuE2ELNS1_3repE0EEENS1_60segmented_radix_sort_warp_sort_medium_config_static_selectorELNS0_4arch9wavefront6targetE0EEEvSK_.kd
    .uniform_work_group_size: 1
    .uses_dynamic_stack: false
    .vgpr_count:     0
    .vgpr_spill_count: 0
    .wavefront_size: 32
    .workgroup_processor_mode: 1
  - .args:
      - .offset:         0
        .size:           88
        .value_kind:     by_value
    .group_segment_fixed_size: 0
    .kernarg_segment_align: 8
    .kernarg_segment_size: 88
    .language:       OpenCL C
    .language_version:
      - 2
      - 0
    .max_flat_workgroup_size: 256
    .name:           _ZN7rocprim17ROCPRIM_400000_NS6detail17trampoline_kernelINS0_14default_configENS1_36segmented_radix_sort_config_selectorIalEEZNS1_25segmented_radix_sort_implIS3_Lb1EPKaPaPKlPlN2at6native12_GLOBAL__N_18offset_tEEE10hipError_tPvRmT1_PNSt15iterator_traitsISK_E10value_typeET2_T3_PNSL_ISQ_E10value_typeET4_jRbjT5_SW_jjP12ihipStream_tbEUlT_E1_NS1_11comp_targetILNS1_3genE0ELNS1_11target_archE4294967295ELNS1_3gpuE0ELNS1_3repE0EEENS1_59segmented_radix_sort_warp_sort_small_config_static_selectorELNS0_4arch9wavefront6targetE0EEEvSK_
    .private_segment_fixed_size: 0
    .sgpr_count:     0
    .sgpr_spill_count: 0
    .symbol:         _ZN7rocprim17ROCPRIM_400000_NS6detail17trampoline_kernelINS0_14default_configENS1_36segmented_radix_sort_config_selectorIalEEZNS1_25segmented_radix_sort_implIS3_Lb1EPKaPaPKlPlN2at6native12_GLOBAL__N_18offset_tEEE10hipError_tPvRmT1_PNSt15iterator_traitsISK_E10value_typeET2_T3_PNSL_ISQ_E10value_typeET4_jRbjT5_SW_jjP12ihipStream_tbEUlT_E1_NS1_11comp_targetILNS1_3genE0ELNS1_11target_archE4294967295ELNS1_3gpuE0ELNS1_3repE0EEENS1_59segmented_radix_sort_warp_sort_small_config_static_selectorELNS0_4arch9wavefront6targetE0EEEvSK_.kd
    .uniform_work_group_size: 1
    .uses_dynamic_stack: false
    .vgpr_count:     0
    .vgpr_spill_count: 0
    .wavefront_size: 32
    .workgroup_processor_mode: 1
  - .args:
      - .offset:         0
        .size:           88
        .value_kind:     by_value
    .group_segment_fixed_size: 0
    .kernarg_segment_align: 8
    .kernarg_segment_size: 88
    .language:       OpenCL C
    .language_version:
      - 2
      - 0
    .max_flat_workgroup_size: 256
    .name:           _ZN7rocprim17ROCPRIM_400000_NS6detail17trampoline_kernelINS0_14default_configENS1_36segmented_radix_sort_config_selectorIalEEZNS1_25segmented_radix_sort_implIS3_Lb1EPKaPaPKlPlN2at6native12_GLOBAL__N_18offset_tEEE10hipError_tPvRmT1_PNSt15iterator_traitsISK_E10value_typeET2_T3_PNSL_ISQ_E10value_typeET4_jRbjT5_SW_jjP12ihipStream_tbEUlT_E1_NS1_11comp_targetILNS1_3genE5ELNS1_11target_archE942ELNS1_3gpuE9ELNS1_3repE0EEENS1_59segmented_radix_sort_warp_sort_small_config_static_selectorELNS0_4arch9wavefront6targetE0EEEvSK_
    .private_segment_fixed_size: 0
    .sgpr_count:     0
    .sgpr_spill_count: 0
    .symbol:         _ZN7rocprim17ROCPRIM_400000_NS6detail17trampoline_kernelINS0_14default_configENS1_36segmented_radix_sort_config_selectorIalEEZNS1_25segmented_radix_sort_implIS3_Lb1EPKaPaPKlPlN2at6native12_GLOBAL__N_18offset_tEEE10hipError_tPvRmT1_PNSt15iterator_traitsISK_E10value_typeET2_T3_PNSL_ISQ_E10value_typeET4_jRbjT5_SW_jjP12ihipStream_tbEUlT_E1_NS1_11comp_targetILNS1_3genE5ELNS1_11target_archE942ELNS1_3gpuE9ELNS1_3repE0EEENS1_59segmented_radix_sort_warp_sort_small_config_static_selectorELNS0_4arch9wavefront6targetE0EEEvSK_.kd
    .uniform_work_group_size: 1
    .uses_dynamic_stack: false
    .vgpr_count:     0
    .vgpr_spill_count: 0
    .wavefront_size: 32
    .workgroup_processor_mode: 1
  - .args:
      - .offset:         0
        .size:           88
        .value_kind:     by_value
    .group_segment_fixed_size: 0
    .kernarg_segment_align: 8
    .kernarg_segment_size: 88
    .language:       OpenCL C
    .language_version:
      - 2
      - 0
    .max_flat_workgroup_size: 256
    .name:           _ZN7rocprim17ROCPRIM_400000_NS6detail17trampoline_kernelINS0_14default_configENS1_36segmented_radix_sort_config_selectorIalEEZNS1_25segmented_radix_sort_implIS3_Lb1EPKaPaPKlPlN2at6native12_GLOBAL__N_18offset_tEEE10hipError_tPvRmT1_PNSt15iterator_traitsISK_E10value_typeET2_T3_PNSL_ISQ_E10value_typeET4_jRbjT5_SW_jjP12ihipStream_tbEUlT_E1_NS1_11comp_targetILNS1_3genE4ELNS1_11target_archE910ELNS1_3gpuE8ELNS1_3repE0EEENS1_59segmented_radix_sort_warp_sort_small_config_static_selectorELNS0_4arch9wavefront6targetE0EEEvSK_
    .private_segment_fixed_size: 0
    .sgpr_count:     0
    .sgpr_spill_count: 0
    .symbol:         _ZN7rocprim17ROCPRIM_400000_NS6detail17trampoline_kernelINS0_14default_configENS1_36segmented_radix_sort_config_selectorIalEEZNS1_25segmented_radix_sort_implIS3_Lb1EPKaPaPKlPlN2at6native12_GLOBAL__N_18offset_tEEE10hipError_tPvRmT1_PNSt15iterator_traitsISK_E10value_typeET2_T3_PNSL_ISQ_E10value_typeET4_jRbjT5_SW_jjP12ihipStream_tbEUlT_E1_NS1_11comp_targetILNS1_3genE4ELNS1_11target_archE910ELNS1_3gpuE8ELNS1_3repE0EEENS1_59segmented_radix_sort_warp_sort_small_config_static_selectorELNS0_4arch9wavefront6targetE0EEEvSK_.kd
    .uniform_work_group_size: 1
    .uses_dynamic_stack: false
    .vgpr_count:     0
    .vgpr_spill_count: 0
    .wavefront_size: 32
    .workgroup_processor_mode: 1
  - .args:
      - .offset:         0
        .size:           88
        .value_kind:     by_value
    .group_segment_fixed_size: 0
    .kernarg_segment_align: 8
    .kernarg_segment_size: 88
    .language:       OpenCL C
    .language_version:
      - 2
      - 0
    .max_flat_workgroup_size: 256
    .name:           _ZN7rocprim17ROCPRIM_400000_NS6detail17trampoline_kernelINS0_14default_configENS1_36segmented_radix_sort_config_selectorIalEEZNS1_25segmented_radix_sort_implIS3_Lb1EPKaPaPKlPlN2at6native12_GLOBAL__N_18offset_tEEE10hipError_tPvRmT1_PNSt15iterator_traitsISK_E10value_typeET2_T3_PNSL_ISQ_E10value_typeET4_jRbjT5_SW_jjP12ihipStream_tbEUlT_E1_NS1_11comp_targetILNS1_3genE3ELNS1_11target_archE908ELNS1_3gpuE7ELNS1_3repE0EEENS1_59segmented_radix_sort_warp_sort_small_config_static_selectorELNS0_4arch9wavefront6targetE0EEEvSK_
    .private_segment_fixed_size: 0
    .sgpr_count:     0
    .sgpr_spill_count: 0
    .symbol:         _ZN7rocprim17ROCPRIM_400000_NS6detail17trampoline_kernelINS0_14default_configENS1_36segmented_radix_sort_config_selectorIalEEZNS1_25segmented_radix_sort_implIS3_Lb1EPKaPaPKlPlN2at6native12_GLOBAL__N_18offset_tEEE10hipError_tPvRmT1_PNSt15iterator_traitsISK_E10value_typeET2_T3_PNSL_ISQ_E10value_typeET4_jRbjT5_SW_jjP12ihipStream_tbEUlT_E1_NS1_11comp_targetILNS1_3genE3ELNS1_11target_archE908ELNS1_3gpuE7ELNS1_3repE0EEENS1_59segmented_radix_sort_warp_sort_small_config_static_selectorELNS0_4arch9wavefront6targetE0EEEvSK_.kd
    .uniform_work_group_size: 1
    .uses_dynamic_stack: false
    .vgpr_count:     0
    .vgpr_spill_count: 0
    .wavefront_size: 32
    .workgroup_processor_mode: 1
  - .args:
      - .offset:         0
        .size:           88
        .value_kind:     by_value
    .group_segment_fixed_size: 0
    .kernarg_segment_align: 8
    .kernarg_segment_size: 88
    .language:       OpenCL C
    .language_version:
      - 2
      - 0
    .max_flat_workgroup_size: 256
    .name:           _ZN7rocprim17ROCPRIM_400000_NS6detail17trampoline_kernelINS0_14default_configENS1_36segmented_radix_sort_config_selectorIalEEZNS1_25segmented_radix_sort_implIS3_Lb1EPKaPaPKlPlN2at6native12_GLOBAL__N_18offset_tEEE10hipError_tPvRmT1_PNSt15iterator_traitsISK_E10value_typeET2_T3_PNSL_ISQ_E10value_typeET4_jRbjT5_SW_jjP12ihipStream_tbEUlT_E1_NS1_11comp_targetILNS1_3genE2ELNS1_11target_archE906ELNS1_3gpuE6ELNS1_3repE0EEENS1_59segmented_radix_sort_warp_sort_small_config_static_selectorELNS0_4arch9wavefront6targetE0EEEvSK_
    .private_segment_fixed_size: 0
    .sgpr_count:     0
    .sgpr_spill_count: 0
    .symbol:         _ZN7rocprim17ROCPRIM_400000_NS6detail17trampoline_kernelINS0_14default_configENS1_36segmented_radix_sort_config_selectorIalEEZNS1_25segmented_radix_sort_implIS3_Lb1EPKaPaPKlPlN2at6native12_GLOBAL__N_18offset_tEEE10hipError_tPvRmT1_PNSt15iterator_traitsISK_E10value_typeET2_T3_PNSL_ISQ_E10value_typeET4_jRbjT5_SW_jjP12ihipStream_tbEUlT_E1_NS1_11comp_targetILNS1_3genE2ELNS1_11target_archE906ELNS1_3gpuE6ELNS1_3repE0EEENS1_59segmented_radix_sort_warp_sort_small_config_static_selectorELNS0_4arch9wavefront6targetE0EEEvSK_.kd
    .uniform_work_group_size: 1
    .uses_dynamic_stack: false
    .vgpr_count:     0
    .vgpr_spill_count: 0
    .wavefront_size: 32
    .workgroup_processor_mode: 1
  - .args:
      - .offset:         0
        .size:           88
        .value_kind:     by_value
      - .offset:         88
        .size:           4
        .value_kind:     hidden_block_count_x
      - .offset:         92
        .size:           4
        .value_kind:     hidden_block_count_y
      - .offset:         96
        .size:           4
        .value_kind:     hidden_block_count_z
      - .offset:         100
        .size:           2
        .value_kind:     hidden_group_size_x
      - .offset:         102
        .size:           2
        .value_kind:     hidden_group_size_y
      - .offset:         104
        .size:           2
        .value_kind:     hidden_group_size_z
      - .offset:         106
        .size:           2
        .value_kind:     hidden_remainder_x
      - .offset:         108
        .size:           2
        .value_kind:     hidden_remainder_y
      - .offset:         110
        .size:           2
        .value_kind:     hidden_remainder_z
      - .offset:         128
        .size:           8
        .value_kind:     hidden_global_offset_x
      - .offset:         136
        .size:           8
        .value_kind:     hidden_global_offset_y
      - .offset:         144
        .size:           8
        .value_kind:     hidden_global_offset_z
      - .offset:         152
        .size:           2
        .value_kind:     hidden_grid_dims
    .group_segment_fixed_size: 9216
    .kernarg_segment_align: 8
    .kernarg_segment_size: 344
    .language:       OpenCL C
    .language_version:
      - 2
      - 0
    .max_flat_workgroup_size: 256
    .name:           _ZN7rocprim17ROCPRIM_400000_NS6detail17trampoline_kernelINS0_14default_configENS1_36segmented_radix_sort_config_selectorIalEEZNS1_25segmented_radix_sort_implIS3_Lb1EPKaPaPKlPlN2at6native12_GLOBAL__N_18offset_tEEE10hipError_tPvRmT1_PNSt15iterator_traitsISK_E10value_typeET2_T3_PNSL_ISQ_E10value_typeET4_jRbjT5_SW_jjP12ihipStream_tbEUlT_E1_NS1_11comp_targetILNS1_3genE10ELNS1_11target_archE1201ELNS1_3gpuE5ELNS1_3repE0EEENS1_59segmented_radix_sort_warp_sort_small_config_static_selectorELNS0_4arch9wavefront6targetE0EEEvSK_
    .private_segment_fixed_size: 0
    .sgpr_count:     35
    .sgpr_spill_count: 0
    .symbol:         _ZN7rocprim17ROCPRIM_400000_NS6detail17trampoline_kernelINS0_14default_configENS1_36segmented_radix_sort_config_selectorIalEEZNS1_25segmented_radix_sort_implIS3_Lb1EPKaPaPKlPlN2at6native12_GLOBAL__N_18offset_tEEE10hipError_tPvRmT1_PNSt15iterator_traitsISK_E10value_typeET2_T3_PNSL_ISQ_E10value_typeET4_jRbjT5_SW_jjP12ihipStream_tbEUlT_E1_NS1_11comp_targetILNS1_3genE10ELNS1_11target_archE1201ELNS1_3gpuE5ELNS1_3repE0EEENS1_59segmented_radix_sort_warp_sort_small_config_static_selectorELNS0_4arch9wavefront6targetE0EEEvSK_.kd
    .uniform_work_group_size: 1
    .uses_dynamic_stack: false
    .vgpr_count:     51
    .vgpr_spill_count: 0
    .wavefront_size: 32
    .workgroup_processor_mode: 1
  - .args:
      - .offset:         0
        .size:           88
        .value_kind:     by_value
    .group_segment_fixed_size: 0
    .kernarg_segment_align: 8
    .kernarg_segment_size: 88
    .language:       OpenCL C
    .language_version:
      - 2
      - 0
    .max_flat_workgroup_size: 256
    .name:           _ZN7rocprim17ROCPRIM_400000_NS6detail17trampoline_kernelINS0_14default_configENS1_36segmented_radix_sort_config_selectorIalEEZNS1_25segmented_radix_sort_implIS3_Lb1EPKaPaPKlPlN2at6native12_GLOBAL__N_18offset_tEEE10hipError_tPvRmT1_PNSt15iterator_traitsISK_E10value_typeET2_T3_PNSL_ISQ_E10value_typeET4_jRbjT5_SW_jjP12ihipStream_tbEUlT_E1_NS1_11comp_targetILNS1_3genE10ELNS1_11target_archE1200ELNS1_3gpuE4ELNS1_3repE0EEENS1_59segmented_radix_sort_warp_sort_small_config_static_selectorELNS0_4arch9wavefront6targetE0EEEvSK_
    .private_segment_fixed_size: 0
    .sgpr_count:     0
    .sgpr_spill_count: 0
    .symbol:         _ZN7rocprim17ROCPRIM_400000_NS6detail17trampoline_kernelINS0_14default_configENS1_36segmented_radix_sort_config_selectorIalEEZNS1_25segmented_radix_sort_implIS3_Lb1EPKaPaPKlPlN2at6native12_GLOBAL__N_18offset_tEEE10hipError_tPvRmT1_PNSt15iterator_traitsISK_E10value_typeET2_T3_PNSL_ISQ_E10value_typeET4_jRbjT5_SW_jjP12ihipStream_tbEUlT_E1_NS1_11comp_targetILNS1_3genE10ELNS1_11target_archE1200ELNS1_3gpuE4ELNS1_3repE0EEENS1_59segmented_radix_sort_warp_sort_small_config_static_selectorELNS0_4arch9wavefront6targetE0EEEvSK_.kd
    .uniform_work_group_size: 1
    .uses_dynamic_stack: false
    .vgpr_count:     0
    .vgpr_spill_count: 0
    .wavefront_size: 32
    .workgroup_processor_mode: 1
  - .args:
      - .offset:         0
        .size:           88
        .value_kind:     by_value
    .group_segment_fixed_size: 0
    .kernarg_segment_align: 8
    .kernarg_segment_size: 88
    .language:       OpenCL C
    .language_version:
      - 2
      - 0
    .max_flat_workgroup_size: 256
    .name:           _ZN7rocprim17ROCPRIM_400000_NS6detail17trampoline_kernelINS0_14default_configENS1_36segmented_radix_sort_config_selectorIalEEZNS1_25segmented_radix_sort_implIS3_Lb1EPKaPaPKlPlN2at6native12_GLOBAL__N_18offset_tEEE10hipError_tPvRmT1_PNSt15iterator_traitsISK_E10value_typeET2_T3_PNSL_ISQ_E10value_typeET4_jRbjT5_SW_jjP12ihipStream_tbEUlT_E1_NS1_11comp_targetILNS1_3genE9ELNS1_11target_archE1100ELNS1_3gpuE3ELNS1_3repE0EEENS1_59segmented_radix_sort_warp_sort_small_config_static_selectorELNS0_4arch9wavefront6targetE0EEEvSK_
    .private_segment_fixed_size: 0
    .sgpr_count:     0
    .sgpr_spill_count: 0
    .symbol:         _ZN7rocprim17ROCPRIM_400000_NS6detail17trampoline_kernelINS0_14default_configENS1_36segmented_radix_sort_config_selectorIalEEZNS1_25segmented_radix_sort_implIS3_Lb1EPKaPaPKlPlN2at6native12_GLOBAL__N_18offset_tEEE10hipError_tPvRmT1_PNSt15iterator_traitsISK_E10value_typeET2_T3_PNSL_ISQ_E10value_typeET4_jRbjT5_SW_jjP12ihipStream_tbEUlT_E1_NS1_11comp_targetILNS1_3genE9ELNS1_11target_archE1100ELNS1_3gpuE3ELNS1_3repE0EEENS1_59segmented_radix_sort_warp_sort_small_config_static_selectorELNS0_4arch9wavefront6targetE0EEEvSK_.kd
    .uniform_work_group_size: 1
    .uses_dynamic_stack: false
    .vgpr_count:     0
    .vgpr_spill_count: 0
    .wavefront_size: 32
    .workgroup_processor_mode: 1
  - .args:
      - .offset:         0
        .size:           88
        .value_kind:     by_value
    .group_segment_fixed_size: 0
    .kernarg_segment_align: 8
    .kernarg_segment_size: 88
    .language:       OpenCL C
    .language_version:
      - 2
      - 0
    .max_flat_workgroup_size: 256
    .name:           _ZN7rocprim17ROCPRIM_400000_NS6detail17trampoline_kernelINS0_14default_configENS1_36segmented_radix_sort_config_selectorIalEEZNS1_25segmented_radix_sort_implIS3_Lb1EPKaPaPKlPlN2at6native12_GLOBAL__N_18offset_tEEE10hipError_tPvRmT1_PNSt15iterator_traitsISK_E10value_typeET2_T3_PNSL_ISQ_E10value_typeET4_jRbjT5_SW_jjP12ihipStream_tbEUlT_E1_NS1_11comp_targetILNS1_3genE8ELNS1_11target_archE1030ELNS1_3gpuE2ELNS1_3repE0EEENS1_59segmented_radix_sort_warp_sort_small_config_static_selectorELNS0_4arch9wavefront6targetE0EEEvSK_
    .private_segment_fixed_size: 0
    .sgpr_count:     0
    .sgpr_spill_count: 0
    .symbol:         _ZN7rocprim17ROCPRIM_400000_NS6detail17trampoline_kernelINS0_14default_configENS1_36segmented_radix_sort_config_selectorIalEEZNS1_25segmented_radix_sort_implIS3_Lb1EPKaPaPKlPlN2at6native12_GLOBAL__N_18offset_tEEE10hipError_tPvRmT1_PNSt15iterator_traitsISK_E10value_typeET2_T3_PNSL_ISQ_E10value_typeET4_jRbjT5_SW_jjP12ihipStream_tbEUlT_E1_NS1_11comp_targetILNS1_3genE8ELNS1_11target_archE1030ELNS1_3gpuE2ELNS1_3repE0EEENS1_59segmented_radix_sort_warp_sort_small_config_static_selectorELNS0_4arch9wavefront6targetE0EEEvSK_.kd
    .uniform_work_group_size: 1
    .uses_dynamic_stack: false
    .vgpr_count:     0
    .vgpr_spill_count: 0
    .wavefront_size: 32
    .workgroup_processor_mode: 1
  - .args:
      - .offset:         0
        .size:           80
        .value_kind:     by_value
    .group_segment_fixed_size: 0
    .kernarg_segment_align: 8
    .kernarg_segment_size: 80
    .language:       OpenCL C
    .language_version:
      - 2
      - 0
    .max_flat_workgroup_size: 256
    .name:           _ZN7rocprim17ROCPRIM_400000_NS6detail17trampoline_kernelINS0_14default_configENS1_36segmented_radix_sort_config_selectorIalEEZNS1_25segmented_radix_sort_implIS3_Lb1EPKaPaPKlPlN2at6native12_GLOBAL__N_18offset_tEEE10hipError_tPvRmT1_PNSt15iterator_traitsISK_E10value_typeET2_T3_PNSL_ISQ_E10value_typeET4_jRbjT5_SW_jjP12ihipStream_tbEUlT_E2_NS1_11comp_targetILNS1_3genE0ELNS1_11target_archE4294967295ELNS1_3gpuE0ELNS1_3repE0EEENS1_30default_config_static_selectorELNS0_4arch9wavefront6targetE0EEEvSK_
    .private_segment_fixed_size: 0
    .sgpr_count:     0
    .sgpr_spill_count: 0
    .symbol:         _ZN7rocprim17ROCPRIM_400000_NS6detail17trampoline_kernelINS0_14default_configENS1_36segmented_radix_sort_config_selectorIalEEZNS1_25segmented_radix_sort_implIS3_Lb1EPKaPaPKlPlN2at6native12_GLOBAL__N_18offset_tEEE10hipError_tPvRmT1_PNSt15iterator_traitsISK_E10value_typeET2_T3_PNSL_ISQ_E10value_typeET4_jRbjT5_SW_jjP12ihipStream_tbEUlT_E2_NS1_11comp_targetILNS1_3genE0ELNS1_11target_archE4294967295ELNS1_3gpuE0ELNS1_3repE0EEENS1_30default_config_static_selectorELNS0_4arch9wavefront6targetE0EEEvSK_.kd
    .uniform_work_group_size: 1
    .uses_dynamic_stack: false
    .vgpr_count:     0
    .vgpr_spill_count: 0
    .wavefront_size: 32
    .workgroup_processor_mode: 1
  - .args:
      - .offset:         0
        .size:           80
        .value_kind:     by_value
    .group_segment_fixed_size: 0
    .kernarg_segment_align: 8
    .kernarg_segment_size: 80
    .language:       OpenCL C
    .language_version:
      - 2
      - 0
    .max_flat_workgroup_size: 256
    .name:           _ZN7rocprim17ROCPRIM_400000_NS6detail17trampoline_kernelINS0_14default_configENS1_36segmented_radix_sort_config_selectorIalEEZNS1_25segmented_radix_sort_implIS3_Lb1EPKaPaPKlPlN2at6native12_GLOBAL__N_18offset_tEEE10hipError_tPvRmT1_PNSt15iterator_traitsISK_E10value_typeET2_T3_PNSL_ISQ_E10value_typeET4_jRbjT5_SW_jjP12ihipStream_tbEUlT_E2_NS1_11comp_targetILNS1_3genE5ELNS1_11target_archE942ELNS1_3gpuE9ELNS1_3repE0EEENS1_30default_config_static_selectorELNS0_4arch9wavefront6targetE0EEEvSK_
    .private_segment_fixed_size: 0
    .sgpr_count:     0
    .sgpr_spill_count: 0
    .symbol:         _ZN7rocprim17ROCPRIM_400000_NS6detail17trampoline_kernelINS0_14default_configENS1_36segmented_radix_sort_config_selectorIalEEZNS1_25segmented_radix_sort_implIS3_Lb1EPKaPaPKlPlN2at6native12_GLOBAL__N_18offset_tEEE10hipError_tPvRmT1_PNSt15iterator_traitsISK_E10value_typeET2_T3_PNSL_ISQ_E10value_typeET4_jRbjT5_SW_jjP12ihipStream_tbEUlT_E2_NS1_11comp_targetILNS1_3genE5ELNS1_11target_archE942ELNS1_3gpuE9ELNS1_3repE0EEENS1_30default_config_static_selectorELNS0_4arch9wavefront6targetE0EEEvSK_.kd
    .uniform_work_group_size: 1
    .uses_dynamic_stack: false
    .vgpr_count:     0
    .vgpr_spill_count: 0
    .wavefront_size: 32
    .workgroup_processor_mode: 1
  - .args:
      - .offset:         0
        .size:           80
        .value_kind:     by_value
    .group_segment_fixed_size: 0
    .kernarg_segment_align: 8
    .kernarg_segment_size: 80
    .language:       OpenCL C
    .language_version:
      - 2
      - 0
    .max_flat_workgroup_size: 256
    .name:           _ZN7rocprim17ROCPRIM_400000_NS6detail17trampoline_kernelINS0_14default_configENS1_36segmented_radix_sort_config_selectorIalEEZNS1_25segmented_radix_sort_implIS3_Lb1EPKaPaPKlPlN2at6native12_GLOBAL__N_18offset_tEEE10hipError_tPvRmT1_PNSt15iterator_traitsISK_E10value_typeET2_T3_PNSL_ISQ_E10value_typeET4_jRbjT5_SW_jjP12ihipStream_tbEUlT_E2_NS1_11comp_targetILNS1_3genE4ELNS1_11target_archE910ELNS1_3gpuE8ELNS1_3repE0EEENS1_30default_config_static_selectorELNS0_4arch9wavefront6targetE0EEEvSK_
    .private_segment_fixed_size: 0
    .sgpr_count:     0
    .sgpr_spill_count: 0
    .symbol:         _ZN7rocprim17ROCPRIM_400000_NS6detail17trampoline_kernelINS0_14default_configENS1_36segmented_radix_sort_config_selectorIalEEZNS1_25segmented_radix_sort_implIS3_Lb1EPKaPaPKlPlN2at6native12_GLOBAL__N_18offset_tEEE10hipError_tPvRmT1_PNSt15iterator_traitsISK_E10value_typeET2_T3_PNSL_ISQ_E10value_typeET4_jRbjT5_SW_jjP12ihipStream_tbEUlT_E2_NS1_11comp_targetILNS1_3genE4ELNS1_11target_archE910ELNS1_3gpuE8ELNS1_3repE0EEENS1_30default_config_static_selectorELNS0_4arch9wavefront6targetE0EEEvSK_.kd
    .uniform_work_group_size: 1
    .uses_dynamic_stack: false
    .vgpr_count:     0
    .vgpr_spill_count: 0
    .wavefront_size: 32
    .workgroup_processor_mode: 1
  - .args:
      - .offset:         0
        .size:           80
        .value_kind:     by_value
    .group_segment_fixed_size: 0
    .kernarg_segment_align: 8
    .kernarg_segment_size: 80
    .language:       OpenCL C
    .language_version:
      - 2
      - 0
    .max_flat_workgroup_size: 256
    .name:           _ZN7rocprim17ROCPRIM_400000_NS6detail17trampoline_kernelINS0_14default_configENS1_36segmented_radix_sort_config_selectorIalEEZNS1_25segmented_radix_sort_implIS3_Lb1EPKaPaPKlPlN2at6native12_GLOBAL__N_18offset_tEEE10hipError_tPvRmT1_PNSt15iterator_traitsISK_E10value_typeET2_T3_PNSL_ISQ_E10value_typeET4_jRbjT5_SW_jjP12ihipStream_tbEUlT_E2_NS1_11comp_targetILNS1_3genE3ELNS1_11target_archE908ELNS1_3gpuE7ELNS1_3repE0EEENS1_30default_config_static_selectorELNS0_4arch9wavefront6targetE0EEEvSK_
    .private_segment_fixed_size: 0
    .sgpr_count:     0
    .sgpr_spill_count: 0
    .symbol:         _ZN7rocprim17ROCPRIM_400000_NS6detail17trampoline_kernelINS0_14default_configENS1_36segmented_radix_sort_config_selectorIalEEZNS1_25segmented_radix_sort_implIS3_Lb1EPKaPaPKlPlN2at6native12_GLOBAL__N_18offset_tEEE10hipError_tPvRmT1_PNSt15iterator_traitsISK_E10value_typeET2_T3_PNSL_ISQ_E10value_typeET4_jRbjT5_SW_jjP12ihipStream_tbEUlT_E2_NS1_11comp_targetILNS1_3genE3ELNS1_11target_archE908ELNS1_3gpuE7ELNS1_3repE0EEENS1_30default_config_static_selectorELNS0_4arch9wavefront6targetE0EEEvSK_.kd
    .uniform_work_group_size: 1
    .uses_dynamic_stack: false
    .vgpr_count:     0
    .vgpr_spill_count: 0
    .wavefront_size: 32
    .workgroup_processor_mode: 1
  - .args:
      - .offset:         0
        .size:           80
        .value_kind:     by_value
    .group_segment_fixed_size: 0
    .kernarg_segment_align: 8
    .kernarg_segment_size: 80
    .language:       OpenCL C
    .language_version:
      - 2
      - 0
    .max_flat_workgroup_size: 256
    .name:           _ZN7rocprim17ROCPRIM_400000_NS6detail17trampoline_kernelINS0_14default_configENS1_36segmented_radix_sort_config_selectorIalEEZNS1_25segmented_radix_sort_implIS3_Lb1EPKaPaPKlPlN2at6native12_GLOBAL__N_18offset_tEEE10hipError_tPvRmT1_PNSt15iterator_traitsISK_E10value_typeET2_T3_PNSL_ISQ_E10value_typeET4_jRbjT5_SW_jjP12ihipStream_tbEUlT_E2_NS1_11comp_targetILNS1_3genE2ELNS1_11target_archE906ELNS1_3gpuE6ELNS1_3repE0EEENS1_30default_config_static_selectorELNS0_4arch9wavefront6targetE0EEEvSK_
    .private_segment_fixed_size: 0
    .sgpr_count:     0
    .sgpr_spill_count: 0
    .symbol:         _ZN7rocprim17ROCPRIM_400000_NS6detail17trampoline_kernelINS0_14default_configENS1_36segmented_radix_sort_config_selectorIalEEZNS1_25segmented_radix_sort_implIS3_Lb1EPKaPaPKlPlN2at6native12_GLOBAL__N_18offset_tEEE10hipError_tPvRmT1_PNSt15iterator_traitsISK_E10value_typeET2_T3_PNSL_ISQ_E10value_typeET4_jRbjT5_SW_jjP12ihipStream_tbEUlT_E2_NS1_11comp_targetILNS1_3genE2ELNS1_11target_archE906ELNS1_3gpuE6ELNS1_3repE0EEENS1_30default_config_static_selectorELNS0_4arch9wavefront6targetE0EEEvSK_.kd
    .uniform_work_group_size: 1
    .uses_dynamic_stack: false
    .vgpr_count:     0
    .vgpr_spill_count: 0
    .wavefront_size: 32
    .workgroup_processor_mode: 1
  - .args:
      - .offset:         0
        .size:           80
        .value_kind:     by_value
      - .offset:         80
        .size:           4
        .value_kind:     hidden_block_count_x
      - .offset:         84
        .size:           4
        .value_kind:     hidden_block_count_y
      - .offset:         88
        .size:           4
        .value_kind:     hidden_block_count_z
      - .offset:         92
        .size:           2
        .value_kind:     hidden_group_size_x
      - .offset:         94
        .size:           2
        .value_kind:     hidden_group_size_y
      - .offset:         96
        .size:           2
        .value_kind:     hidden_group_size_z
      - .offset:         98
        .size:           2
        .value_kind:     hidden_remainder_x
      - .offset:         100
        .size:           2
        .value_kind:     hidden_remainder_y
      - .offset:         102
        .size:           2
        .value_kind:     hidden_remainder_z
      - .offset:         120
        .size:           8
        .value_kind:     hidden_global_offset_x
      - .offset:         128
        .size:           8
        .value_kind:     hidden_global_offset_y
      - .offset:         136
        .size:           8
        .value_kind:     hidden_global_offset_z
      - .offset:         144
        .size:           2
        .value_kind:     hidden_grid_dims
    .group_segment_fixed_size: 17440
    .kernarg_segment_align: 8
    .kernarg_segment_size: 336
    .language:       OpenCL C
    .language_version:
      - 2
      - 0
    .max_flat_workgroup_size: 256
    .name:           _ZN7rocprim17ROCPRIM_400000_NS6detail17trampoline_kernelINS0_14default_configENS1_36segmented_radix_sort_config_selectorIalEEZNS1_25segmented_radix_sort_implIS3_Lb1EPKaPaPKlPlN2at6native12_GLOBAL__N_18offset_tEEE10hipError_tPvRmT1_PNSt15iterator_traitsISK_E10value_typeET2_T3_PNSL_ISQ_E10value_typeET4_jRbjT5_SW_jjP12ihipStream_tbEUlT_E2_NS1_11comp_targetILNS1_3genE10ELNS1_11target_archE1201ELNS1_3gpuE5ELNS1_3repE0EEENS1_30default_config_static_selectorELNS0_4arch9wavefront6targetE0EEEvSK_
    .private_segment_fixed_size: 0
    .sgpr_count:     52
    .sgpr_spill_count: 0
    .symbol:         _ZN7rocprim17ROCPRIM_400000_NS6detail17trampoline_kernelINS0_14default_configENS1_36segmented_radix_sort_config_selectorIalEEZNS1_25segmented_radix_sort_implIS3_Lb1EPKaPaPKlPlN2at6native12_GLOBAL__N_18offset_tEEE10hipError_tPvRmT1_PNSt15iterator_traitsISK_E10value_typeET2_T3_PNSL_ISQ_E10value_typeET4_jRbjT5_SW_jjP12ihipStream_tbEUlT_E2_NS1_11comp_targetILNS1_3genE10ELNS1_11target_archE1201ELNS1_3gpuE5ELNS1_3repE0EEENS1_30default_config_static_selectorELNS0_4arch9wavefront6targetE0EEEvSK_.kd
    .uniform_work_group_size: 1
    .uses_dynamic_stack: false
    .vgpr_count:     197
    .vgpr_spill_count: 0
    .wavefront_size: 32
    .workgroup_processor_mode: 1
  - .args:
      - .offset:         0
        .size:           80
        .value_kind:     by_value
    .group_segment_fixed_size: 0
    .kernarg_segment_align: 8
    .kernarg_segment_size: 80
    .language:       OpenCL C
    .language_version:
      - 2
      - 0
    .max_flat_workgroup_size: 128
    .name:           _ZN7rocprim17ROCPRIM_400000_NS6detail17trampoline_kernelINS0_14default_configENS1_36segmented_radix_sort_config_selectorIalEEZNS1_25segmented_radix_sort_implIS3_Lb1EPKaPaPKlPlN2at6native12_GLOBAL__N_18offset_tEEE10hipError_tPvRmT1_PNSt15iterator_traitsISK_E10value_typeET2_T3_PNSL_ISQ_E10value_typeET4_jRbjT5_SW_jjP12ihipStream_tbEUlT_E2_NS1_11comp_targetILNS1_3genE10ELNS1_11target_archE1200ELNS1_3gpuE4ELNS1_3repE0EEENS1_30default_config_static_selectorELNS0_4arch9wavefront6targetE0EEEvSK_
    .private_segment_fixed_size: 0
    .sgpr_count:     0
    .sgpr_spill_count: 0
    .symbol:         _ZN7rocprim17ROCPRIM_400000_NS6detail17trampoline_kernelINS0_14default_configENS1_36segmented_radix_sort_config_selectorIalEEZNS1_25segmented_radix_sort_implIS3_Lb1EPKaPaPKlPlN2at6native12_GLOBAL__N_18offset_tEEE10hipError_tPvRmT1_PNSt15iterator_traitsISK_E10value_typeET2_T3_PNSL_ISQ_E10value_typeET4_jRbjT5_SW_jjP12ihipStream_tbEUlT_E2_NS1_11comp_targetILNS1_3genE10ELNS1_11target_archE1200ELNS1_3gpuE4ELNS1_3repE0EEENS1_30default_config_static_selectorELNS0_4arch9wavefront6targetE0EEEvSK_.kd
    .uniform_work_group_size: 1
    .uses_dynamic_stack: false
    .vgpr_count:     0
    .vgpr_spill_count: 0
    .wavefront_size: 32
    .workgroup_processor_mode: 1
  - .args:
      - .offset:         0
        .size:           80
        .value_kind:     by_value
    .group_segment_fixed_size: 0
    .kernarg_segment_align: 8
    .kernarg_segment_size: 80
    .language:       OpenCL C
    .language_version:
      - 2
      - 0
    .max_flat_workgroup_size: 256
    .name:           _ZN7rocprim17ROCPRIM_400000_NS6detail17trampoline_kernelINS0_14default_configENS1_36segmented_radix_sort_config_selectorIalEEZNS1_25segmented_radix_sort_implIS3_Lb1EPKaPaPKlPlN2at6native12_GLOBAL__N_18offset_tEEE10hipError_tPvRmT1_PNSt15iterator_traitsISK_E10value_typeET2_T3_PNSL_ISQ_E10value_typeET4_jRbjT5_SW_jjP12ihipStream_tbEUlT_E2_NS1_11comp_targetILNS1_3genE9ELNS1_11target_archE1100ELNS1_3gpuE3ELNS1_3repE0EEENS1_30default_config_static_selectorELNS0_4arch9wavefront6targetE0EEEvSK_
    .private_segment_fixed_size: 0
    .sgpr_count:     0
    .sgpr_spill_count: 0
    .symbol:         _ZN7rocprim17ROCPRIM_400000_NS6detail17trampoline_kernelINS0_14default_configENS1_36segmented_radix_sort_config_selectorIalEEZNS1_25segmented_radix_sort_implIS3_Lb1EPKaPaPKlPlN2at6native12_GLOBAL__N_18offset_tEEE10hipError_tPvRmT1_PNSt15iterator_traitsISK_E10value_typeET2_T3_PNSL_ISQ_E10value_typeET4_jRbjT5_SW_jjP12ihipStream_tbEUlT_E2_NS1_11comp_targetILNS1_3genE9ELNS1_11target_archE1100ELNS1_3gpuE3ELNS1_3repE0EEENS1_30default_config_static_selectorELNS0_4arch9wavefront6targetE0EEEvSK_.kd
    .uniform_work_group_size: 1
    .uses_dynamic_stack: false
    .vgpr_count:     0
    .vgpr_spill_count: 0
    .wavefront_size: 32
    .workgroup_processor_mode: 1
  - .args:
      - .offset:         0
        .size:           80
        .value_kind:     by_value
    .group_segment_fixed_size: 0
    .kernarg_segment_align: 8
    .kernarg_segment_size: 80
    .language:       OpenCL C
    .language_version:
      - 2
      - 0
    .max_flat_workgroup_size: 256
    .name:           _ZN7rocprim17ROCPRIM_400000_NS6detail17trampoline_kernelINS0_14default_configENS1_36segmented_radix_sort_config_selectorIalEEZNS1_25segmented_radix_sort_implIS3_Lb1EPKaPaPKlPlN2at6native12_GLOBAL__N_18offset_tEEE10hipError_tPvRmT1_PNSt15iterator_traitsISK_E10value_typeET2_T3_PNSL_ISQ_E10value_typeET4_jRbjT5_SW_jjP12ihipStream_tbEUlT_E2_NS1_11comp_targetILNS1_3genE8ELNS1_11target_archE1030ELNS1_3gpuE2ELNS1_3repE0EEENS1_30default_config_static_selectorELNS0_4arch9wavefront6targetE0EEEvSK_
    .private_segment_fixed_size: 0
    .sgpr_count:     0
    .sgpr_spill_count: 0
    .symbol:         _ZN7rocprim17ROCPRIM_400000_NS6detail17trampoline_kernelINS0_14default_configENS1_36segmented_radix_sort_config_selectorIalEEZNS1_25segmented_radix_sort_implIS3_Lb1EPKaPaPKlPlN2at6native12_GLOBAL__N_18offset_tEEE10hipError_tPvRmT1_PNSt15iterator_traitsISK_E10value_typeET2_T3_PNSL_ISQ_E10value_typeET4_jRbjT5_SW_jjP12ihipStream_tbEUlT_E2_NS1_11comp_targetILNS1_3genE8ELNS1_11target_archE1030ELNS1_3gpuE2ELNS1_3repE0EEENS1_30default_config_static_selectorELNS0_4arch9wavefront6targetE0EEEvSK_.kd
    .uniform_work_group_size: 1
    .uses_dynamic_stack: false
    .vgpr_count:     0
    .vgpr_spill_count: 0
    .wavefront_size: 32
    .workgroup_processor_mode: 1
  - .args:
      - .offset:         0
        .size:           176
        .value_kind:     by_value
    .group_segment_fixed_size: 0
    .kernarg_segment_align: 8
    .kernarg_segment_size: 176
    .language:       OpenCL C
    .language_version:
      - 2
      - 0
    .max_flat_workgroup_size: 256
    .name:           _ZN7rocprim17ROCPRIM_400000_NS6detail17trampoline_kernelINS0_13select_configILj256ELj13ELNS0_17block_load_methodE3ELS4_3ELS4_3ELNS0_20block_scan_algorithmE0ELj4294967295EEENS1_25partition_config_selectorILNS1_17partition_subalgoE4EjNS0_10empty_typeEbEEZZNS1_14partition_implILS8_4ELb0ES6_15HIP_vector_typeIjLj2EENS0_17counting_iteratorIjlEEPS9_SG_NS0_5tupleIJPjSI_NS0_16reverse_iteratorISI_EEEEENSH_IJSG_SG_SG_EEES9_SI_JZNS1_25segmented_radix_sort_implINS0_14default_configELb0EPKaPaPKlPlN2at6native12_GLOBAL__N_18offset_tEEE10hipError_tPvRmT1_PNSt15iterator_traitsIS12_E10value_typeET2_T3_PNS13_IS18_E10value_typeET4_jRbjT5_S1E_jjP12ihipStream_tbEUljE_ZNSN_ISO_Lb0ESQ_SR_ST_SU_SY_EESZ_S10_S11_S12_S16_S17_S18_S1B_S1C_jS1D_jS1E_S1E_jjS1G_bEUljE0_EEESZ_S10_S11_S18_S1C_S1E_T6_T7_T9_mT8_S1G_bDpT10_ENKUlT_T0_E_clISt17integral_constantIbLb0EES1U_EEDaS1P_S1Q_EUlS1P_E_NS1_11comp_targetILNS1_3genE0ELNS1_11target_archE4294967295ELNS1_3gpuE0ELNS1_3repE0EEENS1_30default_config_static_selectorELNS0_4arch9wavefront6targetE0EEEvS12_
    .private_segment_fixed_size: 0
    .sgpr_count:     0
    .sgpr_spill_count: 0
    .symbol:         _ZN7rocprim17ROCPRIM_400000_NS6detail17trampoline_kernelINS0_13select_configILj256ELj13ELNS0_17block_load_methodE3ELS4_3ELS4_3ELNS0_20block_scan_algorithmE0ELj4294967295EEENS1_25partition_config_selectorILNS1_17partition_subalgoE4EjNS0_10empty_typeEbEEZZNS1_14partition_implILS8_4ELb0ES6_15HIP_vector_typeIjLj2EENS0_17counting_iteratorIjlEEPS9_SG_NS0_5tupleIJPjSI_NS0_16reverse_iteratorISI_EEEEENSH_IJSG_SG_SG_EEES9_SI_JZNS1_25segmented_radix_sort_implINS0_14default_configELb0EPKaPaPKlPlN2at6native12_GLOBAL__N_18offset_tEEE10hipError_tPvRmT1_PNSt15iterator_traitsIS12_E10value_typeET2_T3_PNS13_IS18_E10value_typeET4_jRbjT5_S1E_jjP12ihipStream_tbEUljE_ZNSN_ISO_Lb0ESQ_SR_ST_SU_SY_EESZ_S10_S11_S12_S16_S17_S18_S1B_S1C_jS1D_jS1E_S1E_jjS1G_bEUljE0_EEESZ_S10_S11_S18_S1C_S1E_T6_T7_T9_mT8_S1G_bDpT10_ENKUlT_T0_E_clISt17integral_constantIbLb0EES1U_EEDaS1P_S1Q_EUlS1P_E_NS1_11comp_targetILNS1_3genE0ELNS1_11target_archE4294967295ELNS1_3gpuE0ELNS1_3repE0EEENS1_30default_config_static_selectorELNS0_4arch9wavefront6targetE0EEEvS12_.kd
    .uniform_work_group_size: 1
    .uses_dynamic_stack: false
    .vgpr_count:     0
    .vgpr_spill_count: 0
    .wavefront_size: 32
    .workgroup_processor_mode: 1
  - .args:
      - .offset:         0
        .size:           176
        .value_kind:     by_value
    .group_segment_fixed_size: 0
    .kernarg_segment_align: 8
    .kernarg_segment_size: 176
    .language:       OpenCL C
    .language_version:
      - 2
      - 0
    .max_flat_workgroup_size: 256
    .name:           _ZN7rocprim17ROCPRIM_400000_NS6detail17trampoline_kernelINS0_13select_configILj256ELj13ELNS0_17block_load_methodE3ELS4_3ELS4_3ELNS0_20block_scan_algorithmE0ELj4294967295EEENS1_25partition_config_selectorILNS1_17partition_subalgoE4EjNS0_10empty_typeEbEEZZNS1_14partition_implILS8_4ELb0ES6_15HIP_vector_typeIjLj2EENS0_17counting_iteratorIjlEEPS9_SG_NS0_5tupleIJPjSI_NS0_16reverse_iteratorISI_EEEEENSH_IJSG_SG_SG_EEES9_SI_JZNS1_25segmented_radix_sort_implINS0_14default_configELb0EPKaPaPKlPlN2at6native12_GLOBAL__N_18offset_tEEE10hipError_tPvRmT1_PNSt15iterator_traitsIS12_E10value_typeET2_T3_PNS13_IS18_E10value_typeET4_jRbjT5_S1E_jjP12ihipStream_tbEUljE_ZNSN_ISO_Lb0ESQ_SR_ST_SU_SY_EESZ_S10_S11_S12_S16_S17_S18_S1B_S1C_jS1D_jS1E_S1E_jjS1G_bEUljE0_EEESZ_S10_S11_S18_S1C_S1E_T6_T7_T9_mT8_S1G_bDpT10_ENKUlT_T0_E_clISt17integral_constantIbLb0EES1U_EEDaS1P_S1Q_EUlS1P_E_NS1_11comp_targetILNS1_3genE5ELNS1_11target_archE942ELNS1_3gpuE9ELNS1_3repE0EEENS1_30default_config_static_selectorELNS0_4arch9wavefront6targetE0EEEvS12_
    .private_segment_fixed_size: 0
    .sgpr_count:     0
    .sgpr_spill_count: 0
    .symbol:         _ZN7rocprim17ROCPRIM_400000_NS6detail17trampoline_kernelINS0_13select_configILj256ELj13ELNS0_17block_load_methodE3ELS4_3ELS4_3ELNS0_20block_scan_algorithmE0ELj4294967295EEENS1_25partition_config_selectorILNS1_17partition_subalgoE4EjNS0_10empty_typeEbEEZZNS1_14partition_implILS8_4ELb0ES6_15HIP_vector_typeIjLj2EENS0_17counting_iteratorIjlEEPS9_SG_NS0_5tupleIJPjSI_NS0_16reverse_iteratorISI_EEEEENSH_IJSG_SG_SG_EEES9_SI_JZNS1_25segmented_radix_sort_implINS0_14default_configELb0EPKaPaPKlPlN2at6native12_GLOBAL__N_18offset_tEEE10hipError_tPvRmT1_PNSt15iterator_traitsIS12_E10value_typeET2_T3_PNS13_IS18_E10value_typeET4_jRbjT5_S1E_jjP12ihipStream_tbEUljE_ZNSN_ISO_Lb0ESQ_SR_ST_SU_SY_EESZ_S10_S11_S12_S16_S17_S18_S1B_S1C_jS1D_jS1E_S1E_jjS1G_bEUljE0_EEESZ_S10_S11_S18_S1C_S1E_T6_T7_T9_mT8_S1G_bDpT10_ENKUlT_T0_E_clISt17integral_constantIbLb0EES1U_EEDaS1P_S1Q_EUlS1P_E_NS1_11comp_targetILNS1_3genE5ELNS1_11target_archE942ELNS1_3gpuE9ELNS1_3repE0EEENS1_30default_config_static_selectorELNS0_4arch9wavefront6targetE0EEEvS12_.kd
    .uniform_work_group_size: 1
    .uses_dynamic_stack: false
    .vgpr_count:     0
    .vgpr_spill_count: 0
    .wavefront_size: 32
    .workgroup_processor_mode: 1
  - .args:
      - .offset:         0
        .size:           176
        .value_kind:     by_value
    .group_segment_fixed_size: 0
    .kernarg_segment_align: 8
    .kernarg_segment_size: 176
    .language:       OpenCL C
    .language_version:
      - 2
      - 0
    .max_flat_workgroup_size: 256
    .name:           _ZN7rocprim17ROCPRIM_400000_NS6detail17trampoline_kernelINS0_13select_configILj256ELj13ELNS0_17block_load_methodE3ELS4_3ELS4_3ELNS0_20block_scan_algorithmE0ELj4294967295EEENS1_25partition_config_selectorILNS1_17partition_subalgoE4EjNS0_10empty_typeEbEEZZNS1_14partition_implILS8_4ELb0ES6_15HIP_vector_typeIjLj2EENS0_17counting_iteratorIjlEEPS9_SG_NS0_5tupleIJPjSI_NS0_16reverse_iteratorISI_EEEEENSH_IJSG_SG_SG_EEES9_SI_JZNS1_25segmented_radix_sort_implINS0_14default_configELb0EPKaPaPKlPlN2at6native12_GLOBAL__N_18offset_tEEE10hipError_tPvRmT1_PNSt15iterator_traitsIS12_E10value_typeET2_T3_PNS13_IS18_E10value_typeET4_jRbjT5_S1E_jjP12ihipStream_tbEUljE_ZNSN_ISO_Lb0ESQ_SR_ST_SU_SY_EESZ_S10_S11_S12_S16_S17_S18_S1B_S1C_jS1D_jS1E_S1E_jjS1G_bEUljE0_EEESZ_S10_S11_S18_S1C_S1E_T6_T7_T9_mT8_S1G_bDpT10_ENKUlT_T0_E_clISt17integral_constantIbLb0EES1U_EEDaS1P_S1Q_EUlS1P_E_NS1_11comp_targetILNS1_3genE4ELNS1_11target_archE910ELNS1_3gpuE8ELNS1_3repE0EEENS1_30default_config_static_selectorELNS0_4arch9wavefront6targetE0EEEvS12_
    .private_segment_fixed_size: 0
    .sgpr_count:     0
    .sgpr_spill_count: 0
    .symbol:         _ZN7rocprim17ROCPRIM_400000_NS6detail17trampoline_kernelINS0_13select_configILj256ELj13ELNS0_17block_load_methodE3ELS4_3ELS4_3ELNS0_20block_scan_algorithmE0ELj4294967295EEENS1_25partition_config_selectorILNS1_17partition_subalgoE4EjNS0_10empty_typeEbEEZZNS1_14partition_implILS8_4ELb0ES6_15HIP_vector_typeIjLj2EENS0_17counting_iteratorIjlEEPS9_SG_NS0_5tupleIJPjSI_NS0_16reverse_iteratorISI_EEEEENSH_IJSG_SG_SG_EEES9_SI_JZNS1_25segmented_radix_sort_implINS0_14default_configELb0EPKaPaPKlPlN2at6native12_GLOBAL__N_18offset_tEEE10hipError_tPvRmT1_PNSt15iterator_traitsIS12_E10value_typeET2_T3_PNS13_IS18_E10value_typeET4_jRbjT5_S1E_jjP12ihipStream_tbEUljE_ZNSN_ISO_Lb0ESQ_SR_ST_SU_SY_EESZ_S10_S11_S12_S16_S17_S18_S1B_S1C_jS1D_jS1E_S1E_jjS1G_bEUljE0_EEESZ_S10_S11_S18_S1C_S1E_T6_T7_T9_mT8_S1G_bDpT10_ENKUlT_T0_E_clISt17integral_constantIbLb0EES1U_EEDaS1P_S1Q_EUlS1P_E_NS1_11comp_targetILNS1_3genE4ELNS1_11target_archE910ELNS1_3gpuE8ELNS1_3repE0EEENS1_30default_config_static_selectorELNS0_4arch9wavefront6targetE0EEEvS12_.kd
    .uniform_work_group_size: 1
    .uses_dynamic_stack: false
    .vgpr_count:     0
    .vgpr_spill_count: 0
    .wavefront_size: 32
    .workgroup_processor_mode: 1
  - .args:
      - .offset:         0
        .size:           176
        .value_kind:     by_value
    .group_segment_fixed_size: 0
    .kernarg_segment_align: 8
    .kernarg_segment_size: 176
    .language:       OpenCL C
    .language_version:
      - 2
      - 0
    .max_flat_workgroup_size: 256
    .name:           _ZN7rocprim17ROCPRIM_400000_NS6detail17trampoline_kernelINS0_13select_configILj256ELj13ELNS0_17block_load_methodE3ELS4_3ELS4_3ELNS0_20block_scan_algorithmE0ELj4294967295EEENS1_25partition_config_selectorILNS1_17partition_subalgoE4EjNS0_10empty_typeEbEEZZNS1_14partition_implILS8_4ELb0ES6_15HIP_vector_typeIjLj2EENS0_17counting_iteratorIjlEEPS9_SG_NS0_5tupleIJPjSI_NS0_16reverse_iteratorISI_EEEEENSH_IJSG_SG_SG_EEES9_SI_JZNS1_25segmented_radix_sort_implINS0_14default_configELb0EPKaPaPKlPlN2at6native12_GLOBAL__N_18offset_tEEE10hipError_tPvRmT1_PNSt15iterator_traitsIS12_E10value_typeET2_T3_PNS13_IS18_E10value_typeET4_jRbjT5_S1E_jjP12ihipStream_tbEUljE_ZNSN_ISO_Lb0ESQ_SR_ST_SU_SY_EESZ_S10_S11_S12_S16_S17_S18_S1B_S1C_jS1D_jS1E_S1E_jjS1G_bEUljE0_EEESZ_S10_S11_S18_S1C_S1E_T6_T7_T9_mT8_S1G_bDpT10_ENKUlT_T0_E_clISt17integral_constantIbLb0EES1U_EEDaS1P_S1Q_EUlS1P_E_NS1_11comp_targetILNS1_3genE3ELNS1_11target_archE908ELNS1_3gpuE7ELNS1_3repE0EEENS1_30default_config_static_selectorELNS0_4arch9wavefront6targetE0EEEvS12_
    .private_segment_fixed_size: 0
    .sgpr_count:     0
    .sgpr_spill_count: 0
    .symbol:         _ZN7rocprim17ROCPRIM_400000_NS6detail17trampoline_kernelINS0_13select_configILj256ELj13ELNS0_17block_load_methodE3ELS4_3ELS4_3ELNS0_20block_scan_algorithmE0ELj4294967295EEENS1_25partition_config_selectorILNS1_17partition_subalgoE4EjNS0_10empty_typeEbEEZZNS1_14partition_implILS8_4ELb0ES6_15HIP_vector_typeIjLj2EENS0_17counting_iteratorIjlEEPS9_SG_NS0_5tupleIJPjSI_NS0_16reverse_iteratorISI_EEEEENSH_IJSG_SG_SG_EEES9_SI_JZNS1_25segmented_radix_sort_implINS0_14default_configELb0EPKaPaPKlPlN2at6native12_GLOBAL__N_18offset_tEEE10hipError_tPvRmT1_PNSt15iterator_traitsIS12_E10value_typeET2_T3_PNS13_IS18_E10value_typeET4_jRbjT5_S1E_jjP12ihipStream_tbEUljE_ZNSN_ISO_Lb0ESQ_SR_ST_SU_SY_EESZ_S10_S11_S12_S16_S17_S18_S1B_S1C_jS1D_jS1E_S1E_jjS1G_bEUljE0_EEESZ_S10_S11_S18_S1C_S1E_T6_T7_T9_mT8_S1G_bDpT10_ENKUlT_T0_E_clISt17integral_constantIbLb0EES1U_EEDaS1P_S1Q_EUlS1P_E_NS1_11comp_targetILNS1_3genE3ELNS1_11target_archE908ELNS1_3gpuE7ELNS1_3repE0EEENS1_30default_config_static_selectorELNS0_4arch9wavefront6targetE0EEEvS12_.kd
    .uniform_work_group_size: 1
    .uses_dynamic_stack: false
    .vgpr_count:     0
    .vgpr_spill_count: 0
    .wavefront_size: 32
    .workgroup_processor_mode: 1
  - .args:
      - .offset:         0
        .size:           176
        .value_kind:     by_value
    .group_segment_fixed_size: 0
    .kernarg_segment_align: 8
    .kernarg_segment_size: 176
    .language:       OpenCL C
    .language_version:
      - 2
      - 0
    .max_flat_workgroup_size: 256
    .name:           _ZN7rocprim17ROCPRIM_400000_NS6detail17trampoline_kernelINS0_13select_configILj256ELj13ELNS0_17block_load_methodE3ELS4_3ELS4_3ELNS0_20block_scan_algorithmE0ELj4294967295EEENS1_25partition_config_selectorILNS1_17partition_subalgoE4EjNS0_10empty_typeEbEEZZNS1_14partition_implILS8_4ELb0ES6_15HIP_vector_typeIjLj2EENS0_17counting_iteratorIjlEEPS9_SG_NS0_5tupleIJPjSI_NS0_16reverse_iteratorISI_EEEEENSH_IJSG_SG_SG_EEES9_SI_JZNS1_25segmented_radix_sort_implINS0_14default_configELb0EPKaPaPKlPlN2at6native12_GLOBAL__N_18offset_tEEE10hipError_tPvRmT1_PNSt15iterator_traitsIS12_E10value_typeET2_T3_PNS13_IS18_E10value_typeET4_jRbjT5_S1E_jjP12ihipStream_tbEUljE_ZNSN_ISO_Lb0ESQ_SR_ST_SU_SY_EESZ_S10_S11_S12_S16_S17_S18_S1B_S1C_jS1D_jS1E_S1E_jjS1G_bEUljE0_EEESZ_S10_S11_S18_S1C_S1E_T6_T7_T9_mT8_S1G_bDpT10_ENKUlT_T0_E_clISt17integral_constantIbLb0EES1U_EEDaS1P_S1Q_EUlS1P_E_NS1_11comp_targetILNS1_3genE2ELNS1_11target_archE906ELNS1_3gpuE6ELNS1_3repE0EEENS1_30default_config_static_selectorELNS0_4arch9wavefront6targetE0EEEvS12_
    .private_segment_fixed_size: 0
    .sgpr_count:     0
    .sgpr_spill_count: 0
    .symbol:         _ZN7rocprim17ROCPRIM_400000_NS6detail17trampoline_kernelINS0_13select_configILj256ELj13ELNS0_17block_load_methodE3ELS4_3ELS4_3ELNS0_20block_scan_algorithmE0ELj4294967295EEENS1_25partition_config_selectorILNS1_17partition_subalgoE4EjNS0_10empty_typeEbEEZZNS1_14partition_implILS8_4ELb0ES6_15HIP_vector_typeIjLj2EENS0_17counting_iteratorIjlEEPS9_SG_NS0_5tupleIJPjSI_NS0_16reverse_iteratorISI_EEEEENSH_IJSG_SG_SG_EEES9_SI_JZNS1_25segmented_radix_sort_implINS0_14default_configELb0EPKaPaPKlPlN2at6native12_GLOBAL__N_18offset_tEEE10hipError_tPvRmT1_PNSt15iterator_traitsIS12_E10value_typeET2_T3_PNS13_IS18_E10value_typeET4_jRbjT5_S1E_jjP12ihipStream_tbEUljE_ZNSN_ISO_Lb0ESQ_SR_ST_SU_SY_EESZ_S10_S11_S12_S16_S17_S18_S1B_S1C_jS1D_jS1E_S1E_jjS1G_bEUljE0_EEESZ_S10_S11_S18_S1C_S1E_T6_T7_T9_mT8_S1G_bDpT10_ENKUlT_T0_E_clISt17integral_constantIbLb0EES1U_EEDaS1P_S1Q_EUlS1P_E_NS1_11comp_targetILNS1_3genE2ELNS1_11target_archE906ELNS1_3gpuE6ELNS1_3repE0EEENS1_30default_config_static_selectorELNS0_4arch9wavefront6targetE0EEEvS12_.kd
    .uniform_work_group_size: 1
    .uses_dynamic_stack: false
    .vgpr_count:     0
    .vgpr_spill_count: 0
    .wavefront_size: 32
    .workgroup_processor_mode: 1
  - .args:
      - .offset:         0
        .size:           176
        .value_kind:     by_value
    .group_segment_fixed_size: 13328
    .kernarg_segment_align: 8
    .kernarg_segment_size: 176
    .language:       OpenCL C
    .language_version:
      - 2
      - 0
    .max_flat_workgroup_size: 256
    .name:           _ZN7rocprim17ROCPRIM_400000_NS6detail17trampoline_kernelINS0_13select_configILj256ELj13ELNS0_17block_load_methodE3ELS4_3ELS4_3ELNS0_20block_scan_algorithmE0ELj4294967295EEENS1_25partition_config_selectorILNS1_17partition_subalgoE4EjNS0_10empty_typeEbEEZZNS1_14partition_implILS8_4ELb0ES6_15HIP_vector_typeIjLj2EENS0_17counting_iteratorIjlEEPS9_SG_NS0_5tupleIJPjSI_NS0_16reverse_iteratorISI_EEEEENSH_IJSG_SG_SG_EEES9_SI_JZNS1_25segmented_radix_sort_implINS0_14default_configELb0EPKaPaPKlPlN2at6native12_GLOBAL__N_18offset_tEEE10hipError_tPvRmT1_PNSt15iterator_traitsIS12_E10value_typeET2_T3_PNS13_IS18_E10value_typeET4_jRbjT5_S1E_jjP12ihipStream_tbEUljE_ZNSN_ISO_Lb0ESQ_SR_ST_SU_SY_EESZ_S10_S11_S12_S16_S17_S18_S1B_S1C_jS1D_jS1E_S1E_jjS1G_bEUljE0_EEESZ_S10_S11_S18_S1C_S1E_T6_T7_T9_mT8_S1G_bDpT10_ENKUlT_T0_E_clISt17integral_constantIbLb0EES1U_EEDaS1P_S1Q_EUlS1P_E_NS1_11comp_targetILNS1_3genE10ELNS1_11target_archE1200ELNS1_3gpuE4ELNS1_3repE0EEENS1_30default_config_static_selectorELNS0_4arch9wavefront6targetE0EEEvS12_
    .private_segment_fixed_size: 0
    .sgpr_count:     60
    .sgpr_spill_count: 0
    .symbol:         _ZN7rocprim17ROCPRIM_400000_NS6detail17trampoline_kernelINS0_13select_configILj256ELj13ELNS0_17block_load_methodE3ELS4_3ELS4_3ELNS0_20block_scan_algorithmE0ELj4294967295EEENS1_25partition_config_selectorILNS1_17partition_subalgoE4EjNS0_10empty_typeEbEEZZNS1_14partition_implILS8_4ELb0ES6_15HIP_vector_typeIjLj2EENS0_17counting_iteratorIjlEEPS9_SG_NS0_5tupleIJPjSI_NS0_16reverse_iteratorISI_EEEEENSH_IJSG_SG_SG_EEES9_SI_JZNS1_25segmented_radix_sort_implINS0_14default_configELb0EPKaPaPKlPlN2at6native12_GLOBAL__N_18offset_tEEE10hipError_tPvRmT1_PNSt15iterator_traitsIS12_E10value_typeET2_T3_PNS13_IS18_E10value_typeET4_jRbjT5_S1E_jjP12ihipStream_tbEUljE_ZNSN_ISO_Lb0ESQ_SR_ST_SU_SY_EESZ_S10_S11_S12_S16_S17_S18_S1B_S1C_jS1D_jS1E_S1E_jjS1G_bEUljE0_EEESZ_S10_S11_S18_S1C_S1E_T6_T7_T9_mT8_S1G_bDpT10_ENKUlT_T0_E_clISt17integral_constantIbLb0EES1U_EEDaS1P_S1Q_EUlS1P_E_NS1_11comp_targetILNS1_3genE10ELNS1_11target_archE1200ELNS1_3gpuE4ELNS1_3repE0EEENS1_30default_config_static_selectorELNS0_4arch9wavefront6targetE0EEEvS12_.kd
    .uniform_work_group_size: 1
    .uses_dynamic_stack: false
    .vgpr_count:     93
    .vgpr_spill_count: 0
    .wavefront_size: 32
    .workgroup_processor_mode: 1
  - .args:
      - .offset:         0
        .size:           176
        .value_kind:     by_value
    .group_segment_fixed_size: 0
    .kernarg_segment_align: 8
    .kernarg_segment_size: 176
    .language:       OpenCL C
    .language_version:
      - 2
      - 0
    .max_flat_workgroup_size: 256
    .name:           _ZN7rocprim17ROCPRIM_400000_NS6detail17trampoline_kernelINS0_13select_configILj256ELj13ELNS0_17block_load_methodE3ELS4_3ELS4_3ELNS0_20block_scan_algorithmE0ELj4294967295EEENS1_25partition_config_selectorILNS1_17partition_subalgoE4EjNS0_10empty_typeEbEEZZNS1_14partition_implILS8_4ELb0ES6_15HIP_vector_typeIjLj2EENS0_17counting_iteratorIjlEEPS9_SG_NS0_5tupleIJPjSI_NS0_16reverse_iteratorISI_EEEEENSH_IJSG_SG_SG_EEES9_SI_JZNS1_25segmented_radix_sort_implINS0_14default_configELb0EPKaPaPKlPlN2at6native12_GLOBAL__N_18offset_tEEE10hipError_tPvRmT1_PNSt15iterator_traitsIS12_E10value_typeET2_T3_PNS13_IS18_E10value_typeET4_jRbjT5_S1E_jjP12ihipStream_tbEUljE_ZNSN_ISO_Lb0ESQ_SR_ST_SU_SY_EESZ_S10_S11_S12_S16_S17_S18_S1B_S1C_jS1D_jS1E_S1E_jjS1G_bEUljE0_EEESZ_S10_S11_S18_S1C_S1E_T6_T7_T9_mT8_S1G_bDpT10_ENKUlT_T0_E_clISt17integral_constantIbLb0EES1U_EEDaS1P_S1Q_EUlS1P_E_NS1_11comp_targetILNS1_3genE9ELNS1_11target_archE1100ELNS1_3gpuE3ELNS1_3repE0EEENS1_30default_config_static_selectorELNS0_4arch9wavefront6targetE0EEEvS12_
    .private_segment_fixed_size: 0
    .sgpr_count:     0
    .sgpr_spill_count: 0
    .symbol:         _ZN7rocprim17ROCPRIM_400000_NS6detail17trampoline_kernelINS0_13select_configILj256ELj13ELNS0_17block_load_methodE3ELS4_3ELS4_3ELNS0_20block_scan_algorithmE0ELj4294967295EEENS1_25partition_config_selectorILNS1_17partition_subalgoE4EjNS0_10empty_typeEbEEZZNS1_14partition_implILS8_4ELb0ES6_15HIP_vector_typeIjLj2EENS0_17counting_iteratorIjlEEPS9_SG_NS0_5tupleIJPjSI_NS0_16reverse_iteratorISI_EEEEENSH_IJSG_SG_SG_EEES9_SI_JZNS1_25segmented_radix_sort_implINS0_14default_configELb0EPKaPaPKlPlN2at6native12_GLOBAL__N_18offset_tEEE10hipError_tPvRmT1_PNSt15iterator_traitsIS12_E10value_typeET2_T3_PNS13_IS18_E10value_typeET4_jRbjT5_S1E_jjP12ihipStream_tbEUljE_ZNSN_ISO_Lb0ESQ_SR_ST_SU_SY_EESZ_S10_S11_S12_S16_S17_S18_S1B_S1C_jS1D_jS1E_S1E_jjS1G_bEUljE0_EEESZ_S10_S11_S18_S1C_S1E_T6_T7_T9_mT8_S1G_bDpT10_ENKUlT_T0_E_clISt17integral_constantIbLb0EES1U_EEDaS1P_S1Q_EUlS1P_E_NS1_11comp_targetILNS1_3genE9ELNS1_11target_archE1100ELNS1_3gpuE3ELNS1_3repE0EEENS1_30default_config_static_selectorELNS0_4arch9wavefront6targetE0EEEvS12_.kd
    .uniform_work_group_size: 1
    .uses_dynamic_stack: false
    .vgpr_count:     0
    .vgpr_spill_count: 0
    .wavefront_size: 32
    .workgroup_processor_mode: 1
  - .args:
      - .offset:         0
        .size:           176
        .value_kind:     by_value
    .group_segment_fixed_size: 0
    .kernarg_segment_align: 8
    .kernarg_segment_size: 176
    .language:       OpenCL C
    .language_version:
      - 2
      - 0
    .max_flat_workgroup_size: 256
    .name:           _ZN7rocprim17ROCPRIM_400000_NS6detail17trampoline_kernelINS0_13select_configILj256ELj13ELNS0_17block_load_methodE3ELS4_3ELS4_3ELNS0_20block_scan_algorithmE0ELj4294967295EEENS1_25partition_config_selectorILNS1_17partition_subalgoE4EjNS0_10empty_typeEbEEZZNS1_14partition_implILS8_4ELb0ES6_15HIP_vector_typeIjLj2EENS0_17counting_iteratorIjlEEPS9_SG_NS0_5tupleIJPjSI_NS0_16reverse_iteratorISI_EEEEENSH_IJSG_SG_SG_EEES9_SI_JZNS1_25segmented_radix_sort_implINS0_14default_configELb0EPKaPaPKlPlN2at6native12_GLOBAL__N_18offset_tEEE10hipError_tPvRmT1_PNSt15iterator_traitsIS12_E10value_typeET2_T3_PNS13_IS18_E10value_typeET4_jRbjT5_S1E_jjP12ihipStream_tbEUljE_ZNSN_ISO_Lb0ESQ_SR_ST_SU_SY_EESZ_S10_S11_S12_S16_S17_S18_S1B_S1C_jS1D_jS1E_S1E_jjS1G_bEUljE0_EEESZ_S10_S11_S18_S1C_S1E_T6_T7_T9_mT8_S1G_bDpT10_ENKUlT_T0_E_clISt17integral_constantIbLb0EES1U_EEDaS1P_S1Q_EUlS1P_E_NS1_11comp_targetILNS1_3genE8ELNS1_11target_archE1030ELNS1_3gpuE2ELNS1_3repE0EEENS1_30default_config_static_selectorELNS0_4arch9wavefront6targetE0EEEvS12_
    .private_segment_fixed_size: 0
    .sgpr_count:     0
    .sgpr_spill_count: 0
    .symbol:         _ZN7rocprim17ROCPRIM_400000_NS6detail17trampoline_kernelINS0_13select_configILj256ELj13ELNS0_17block_load_methodE3ELS4_3ELS4_3ELNS0_20block_scan_algorithmE0ELj4294967295EEENS1_25partition_config_selectorILNS1_17partition_subalgoE4EjNS0_10empty_typeEbEEZZNS1_14partition_implILS8_4ELb0ES6_15HIP_vector_typeIjLj2EENS0_17counting_iteratorIjlEEPS9_SG_NS0_5tupleIJPjSI_NS0_16reverse_iteratorISI_EEEEENSH_IJSG_SG_SG_EEES9_SI_JZNS1_25segmented_radix_sort_implINS0_14default_configELb0EPKaPaPKlPlN2at6native12_GLOBAL__N_18offset_tEEE10hipError_tPvRmT1_PNSt15iterator_traitsIS12_E10value_typeET2_T3_PNS13_IS18_E10value_typeET4_jRbjT5_S1E_jjP12ihipStream_tbEUljE_ZNSN_ISO_Lb0ESQ_SR_ST_SU_SY_EESZ_S10_S11_S12_S16_S17_S18_S1B_S1C_jS1D_jS1E_S1E_jjS1G_bEUljE0_EEESZ_S10_S11_S18_S1C_S1E_T6_T7_T9_mT8_S1G_bDpT10_ENKUlT_T0_E_clISt17integral_constantIbLb0EES1U_EEDaS1P_S1Q_EUlS1P_E_NS1_11comp_targetILNS1_3genE8ELNS1_11target_archE1030ELNS1_3gpuE2ELNS1_3repE0EEENS1_30default_config_static_selectorELNS0_4arch9wavefront6targetE0EEEvS12_.kd
    .uniform_work_group_size: 1
    .uses_dynamic_stack: false
    .vgpr_count:     0
    .vgpr_spill_count: 0
    .wavefront_size: 32
    .workgroup_processor_mode: 1
  - .args:
      - .offset:         0
        .size:           184
        .value_kind:     by_value
    .group_segment_fixed_size: 0
    .kernarg_segment_align: 8
    .kernarg_segment_size: 184
    .language:       OpenCL C
    .language_version:
      - 2
      - 0
    .max_flat_workgroup_size: 256
    .name:           _ZN7rocprim17ROCPRIM_400000_NS6detail17trampoline_kernelINS0_13select_configILj256ELj13ELNS0_17block_load_methodE3ELS4_3ELS4_3ELNS0_20block_scan_algorithmE0ELj4294967295EEENS1_25partition_config_selectorILNS1_17partition_subalgoE4EjNS0_10empty_typeEbEEZZNS1_14partition_implILS8_4ELb0ES6_15HIP_vector_typeIjLj2EENS0_17counting_iteratorIjlEEPS9_SG_NS0_5tupleIJPjSI_NS0_16reverse_iteratorISI_EEEEENSH_IJSG_SG_SG_EEES9_SI_JZNS1_25segmented_radix_sort_implINS0_14default_configELb0EPKaPaPKlPlN2at6native12_GLOBAL__N_18offset_tEEE10hipError_tPvRmT1_PNSt15iterator_traitsIS12_E10value_typeET2_T3_PNS13_IS18_E10value_typeET4_jRbjT5_S1E_jjP12ihipStream_tbEUljE_ZNSN_ISO_Lb0ESQ_SR_ST_SU_SY_EESZ_S10_S11_S12_S16_S17_S18_S1B_S1C_jS1D_jS1E_S1E_jjS1G_bEUljE0_EEESZ_S10_S11_S18_S1C_S1E_T6_T7_T9_mT8_S1G_bDpT10_ENKUlT_T0_E_clISt17integral_constantIbLb1EES1U_EEDaS1P_S1Q_EUlS1P_E_NS1_11comp_targetILNS1_3genE0ELNS1_11target_archE4294967295ELNS1_3gpuE0ELNS1_3repE0EEENS1_30default_config_static_selectorELNS0_4arch9wavefront6targetE0EEEvS12_
    .private_segment_fixed_size: 0
    .sgpr_count:     0
    .sgpr_spill_count: 0
    .symbol:         _ZN7rocprim17ROCPRIM_400000_NS6detail17trampoline_kernelINS0_13select_configILj256ELj13ELNS0_17block_load_methodE3ELS4_3ELS4_3ELNS0_20block_scan_algorithmE0ELj4294967295EEENS1_25partition_config_selectorILNS1_17partition_subalgoE4EjNS0_10empty_typeEbEEZZNS1_14partition_implILS8_4ELb0ES6_15HIP_vector_typeIjLj2EENS0_17counting_iteratorIjlEEPS9_SG_NS0_5tupleIJPjSI_NS0_16reverse_iteratorISI_EEEEENSH_IJSG_SG_SG_EEES9_SI_JZNS1_25segmented_radix_sort_implINS0_14default_configELb0EPKaPaPKlPlN2at6native12_GLOBAL__N_18offset_tEEE10hipError_tPvRmT1_PNSt15iterator_traitsIS12_E10value_typeET2_T3_PNS13_IS18_E10value_typeET4_jRbjT5_S1E_jjP12ihipStream_tbEUljE_ZNSN_ISO_Lb0ESQ_SR_ST_SU_SY_EESZ_S10_S11_S12_S16_S17_S18_S1B_S1C_jS1D_jS1E_S1E_jjS1G_bEUljE0_EEESZ_S10_S11_S18_S1C_S1E_T6_T7_T9_mT8_S1G_bDpT10_ENKUlT_T0_E_clISt17integral_constantIbLb1EES1U_EEDaS1P_S1Q_EUlS1P_E_NS1_11comp_targetILNS1_3genE0ELNS1_11target_archE4294967295ELNS1_3gpuE0ELNS1_3repE0EEENS1_30default_config_static_selectorELNS0_4arch9wavefront6targetE0EEEvS12_.kd
    .uniform_work_group_size: 1
    .uses_dynamic_stack: false
    .vgpr_count:     0
    .vgpr_spill_count: 0
    .wavefront_size: 32
    .workgroup_processor_mode: 1
  - .args:
      - .offset:         0
        .size:           184
        .value_kind:     by_value
    .group_segment_fixed_size: 0
    .kernarg_segment_align: 8
    .kernarg_segment_size: 184
    .language:       OpenCL C
    .language_version:
      - 2
      - 0
    .max_flat_workgroup_size: 256
    .name:           _ZN7rocprim17ROCPRIM_400000_NS6detail17trampoline_kernelINS0_13select_configILj256ELj13ELNS0_17block_load_methodE3ELS4_3ELS4_3ELNS0_20block_scan_algorithmE0ELj4294967295EEENS1_25partition_config_selectorILNS1_17partition_subalgoE4EjNS0_10empty_typeEbEEZZNS1_14partition_implILS8_4ELb0ES6_15HIP_vector_typeIjLj2EENS0_17counting_iteratorIjlEEPS9_SG_NS0_5tupleIJPjSI_NS0_16reverse_iteratorISI_EEEEENSH_IJSG_SG_SG_EEES9_SI_JZNS1_25segmented_radix_sort_implINS0_14default_configELb0EPKaPaPKlPlN2at6native12_GLOBAL__N_18offset_tEEE10hipError_tPvRmT1_PNSt15iterator_traitsIS12_E10value_typeET2_T3_PNS13_IS18_E10value_typeET4_jRbjT5_S1E_jjP12ihipStream_tbEUljE_ZNSN_ISO_Lb0ESQ_SR_ST_SU_SY_EESZ_S10_S11_S12_S16_S17_S18_S1B_S1C_jS1D_jS1E_S1E_jjS1G_bEUljE0_EEESZ_S10_S11_S18_S1C_S1E_T6_T7_T9_mT8_S1G_bDpT10_ENKUlT_T0_E_clISt17integral_constantIbLb1EES1U_EEDaS1P_S1Q_EUlS1P_E_NS1_11comp_targetILNS1_3genE5ELNS1_11target_archE942ELNS1_3gpuE9ELNS1_3repE0EEENS1_30default_config_static_selectorELNS0_4arch9wavefront6targetE0EEEvS12_
    .private_segment_fixed_size: 0
    .sgpr_count:     0
    .sgpr_spill_count: 0
    .symbol:         _ZN7rocprim17ROCPRIM_400000_NS6detail17trampoline_kernelINS0_13select_configILj256ELj13ELNS0_17block_load_methodE3ELS4_3ELS4_3ELNS0_20block_scan_algorithmE0ELj4294967295EEENS1_25partition_config_selectorILNS1_17partition_subalgoE4EjNS0_10empty_typeEbEEZZNS1_14partition_implILS8_4ELb0ES6_15HIP_vector_typeIjLj2EENS0_17counting_iteratorIjlEEPS9_SG_NS0_5tupleIJPjSI_NS0_16reverse_iteratorISI_EEEEENSH_IJSG_SG_SG_EEES9_SI_JZNS1_25segmented_radix_sort_implINS0_14default_configELb0EPKaPaPKlPlN2at6native12_GLOBAL__N_18offset_tEEE10hipError_tPvRmT1_PNSt15iterator_traitsIS12_E10value_typeET2_T3_PNS13_IS18_E10value_typeET4_jRbjT5_S1E_jjP12ihipStream_tbEUljE_ZNSN_ISO_Lb0ESQ_SR_ST_SU_SY_EESZ_S10_S11_S12_S16_S17_S18_S1B_S1C_jS1D_jS1E_S1E_jjS1G_bEUljE0_EEESZ_S10_S11_S18_S1C_S1E_T6_T7_T9_mT8_S1G_bDpT10_ENKUlT_T0_E_clISt17integral_constantIbLb1EES1U_EEDaS1P_S1Q_EUlS1P_E_NS1_11comp_targetILNS1_3genE5ELNS1_11target_archE942ELNS1_3gpuE9ELNS1_3repE0EEENS1_30default_config_static_selectorELNS0_4arch9wavefront6targetE0EEEvS12_.kd
    .uniform_work_group_size: 1
    .uses_dynamic_stack: false
    .vgpr_count:     0
    .vgpr_spill_count: 0
    .wavefront_size: 32
    .workgroup_processor_mode: 1
  - .args:
      - .offset:         0
        .size:           184
        .value_kind:     by_value
    .group_segment_fixed_size: 0
    .kernarg_segment_align: 8
    .kernarg_segment_size: 184
    .language:       OpenCL C
    .language_version:
      - 2
      - 0
    .max_flat_workgroup_size: 256
    .name:           _ZN7rocprim17ROCPRIM_400000_NS6detail17trampoline_kernelINS0_13select_configILj256ELj13ELNS0_17block_load_methodE3ELS4_3ELS4_3ELNS0_20block_scan_algorithmE0ELj4294967295EEENS1_25partition_config_selectorILNS1_17partition_subalgoE4EjNS0_10empty_typeEbEEZZNS1_14partition_implILS8_4ELb0ES6_15HIP_vector_typeIjLj2EENS0_17counting_iteratorIjlEEPS9_SG_NS0_5tupleIJPjSI_NS0_16reverse_iteratorISI_EEEEENSH_IJSG_SG_SG_EEES9_SI_JZNS1_25segmented_radix_sort_implINS0_14default_configELb0EPKaPaPKlPlN2at6native12_GLOBAL__N_18offset_tEEE10hipError_tPvRmT1_PNSt15iterator_traitsIS12_E10value_typeET2_T3_PNS13_IS18_E10value_typeET4_jRbjT5_S1E_jjP12ihipStream_tbEUljE_ZNSN_ISO_Lb0ESQ_SR_ST_SU_SY_EESZ_S10_S11_S12_S16_S17_S18_S1B_S1C_jS1D_jS1E_S1E_jjS1G_bEUljE0_EEESZ_S10_S11_S18_S1C_S1E_T6_T7_T9_mT8_S1G_bDpT10_ENKUlT_T0_E_clISt17integral_constantIbLb1EES1U_EEDaS1P_S1Q_EUlS1P_E_NS1_11comp_targetILNS1_3genE4ELNS1_11target_archE910ELNS1_3gpuE8ELNS1_3repE0EEENS1_30default_config_static_selectorELNS0_4arch9wavefront6targetE0EEEvS12_
    .private_segment_fixed_size: 0
    .sgpr_count:     0
    .sgpr_spill_count: 0
    .symbol:         _ZN7rocprim17ROCPRIM_400000_NS6detail17trampoline_kernelINS0_13select_configILj256ELj13ELNS0_17block_load_methodE3ELS4_3ELS4_3ELNS0_20block_scan_algorithmE0ELj4294967295EEENS1_25partition_config_selectorILNS1_17partition_subalgoE4EjNS0_10empty_typeEbEEZZNS1_14partition_implILS8_4ELb0ES6_15HIP_vector_typeIjLj2EENS0_17counting_iteratorIjlEEPS9_SG_NS0_5tupleIJPjSI_NS0_16reverse_iteratorISI_EEEEENSH_IJSG_SG_SG_EEES9_SI_JZNS1_25segmented_radix_sort_implINS0_14default_configELb0EPKaPaPKlPlN2at6native12_GLOBAL__N_18offset_tEEE10hipError_tPvRmT1_PNSt15iterator_traitsIS12_E10value_typeET2_T3_PNS13_IS18_E10value_typeET4_jRbjT5_S1E_jjP12ihipStream_tbEUljE_ZNSN_ISO_Lb0ESQ_SR_ST_SU_SY_EESZ_S10_S11_S12_S16_S17_S18_S1B_S1C_jS1D_jS1E_S1E_jjS1G_bEUljE0_EEESZ_S10_S11_S18_S1C_S1E_T6_T7_T9_mT8_S1G_bDpT10_ENKUlT_T0_E_clISt17integral_constantIbLb1EES1U_EEDaS1P_S1Q_EUlS1P_E_NS1_11comp_targetILNS1_3genE4ELNS1_11target_archE910ELNS1_3gpuE8ELNS1_3repE0EEENS1_30default_config_static_selectorELNS0_4arch9wavefront6targetE0EEEvS12_.kd
    .uniform_work_group_size: 1
    .uses_dynamic_stack: false
    .vgpr_count:     0
    .vgpr_spill_count: 0
    .wavefront_size: 32
    .workgroup_processor_mode: 1
  - .args:
      - .offset:         0
        .size:           184
        .value_kind:     by_value
    .group_segment_fixed_size: 0
    .kernarg_segment_align: 8
    .kernarg_segment_size: 184
    .language:       OpenCL C
    .language_version:
      - 2
      - 0
    .max_flat_workgroup_size: 256
    .name:           _ZN7rocprim17ROCPRIM_400000_NS6detail17trampoline_kernelINS0_13select_configILj256ELj13ELNS0_17block_load_methodE3ELS4_3ELS4_3ELNS0_20block_scan_algorithmE0ELj4294967295EEENS1_25partition_config_selectorILNS1_17partition_subalgoE4EjNS0_10empty_typeEbEEZZNS1_14partition_implILS8_4ELb0ES6_15HIP_vector_typeIjLj2EENS0_17counting_iteratorIjlEEPS9_SG_NS0_5tupleIJPjSI_NS0_16reverse_iteratorISI_EEEEENSH_IJSG_SG_SG_EEES9_SI_JZNS1_25segmented_radix_sort_implINS0_14default_configELb0EPKaPaPKlPlN2at6native12_GLOBAL__N_18offset_tEEE10hipError_tPvRmT1_PNSt15iterator_traitsIS12_E10value_typeET2_T3_PNS13_IS18_E10value_typeET4_jRbjT5_S1E_jjP12ihipStream_tbEUljE_ZNSN_ISO_Lb0ESQ_SR_ST_SU_SY_EESZ_S10_S11_S12_S16_S17_S18_S1B_S1C_jS1D_jS1E_S1E_jjS1G_bEUljE0_EEESZ_S10_S11_S18_S1C_S1E_T6_T7_T9_mT8_S1G_bDpT10_ENKUlT_T0_E_clISt17integral_constantIbLb1EES1U_EEDaS1P_S1Q_EUlS1P_E_NS1_11comp_targetILNS1_3genE3ELNS1_11target_archE908ELNS1_3gpuE7ELNS1_3repE0EEENS1_30default_config_static_selectorELNS0_4arch9wavefront6targetE0EEEvS12_
    .private_segment_fixed_size: 0
    .sgpr_count:     0
    .sgpr_spill_count: 0
    .symbol:         _ZN7rocprim17ROCPRIM_400000_NS6detail17trampoline_kernelINS0_13select_configILj256ELj13ELNS0_17block_load_methodE3ELS4_3ELS4_3ELNS0_20block_scan_algorithmE0ELj4294967295EEENS1_25partition_config_selectorILNS1_17partition_subalgoE4EjNS0_10empty_typeEbEEZZNS1_14partition_implILS8_4ELb0ES6_15HIP_vector_typeIjLj2EENS0_17counting_iteratorIjlEEPS9_SG_NS0_5tupleIJPjSI_NS0_16reverse_iteratorISI_EEEEENSH_IJSG_SG_SG_EEES9_SI_JZNS1_25segmented_radix_sort_implINS0_14default_configELb0EPKaPaPKlPlN2at6native12_GLOBAL__N_18offset_tEEE10hipError_tPvRmT1_PNSt15iterator_traitsIS12_E10value_typeET2_T3_PNS13_IS18_E10value_typeET4_jRbjT5_S1E_jjP12ihipStream_tbEUljE_ZNSN_ISO_Lb0ESQ_SR_ST_SU_SY_EESZ_S10_S11_S12_S16_S17_S18_S1B_S1C_jS1D_jS1E_S1E_jjS1G_bEUljE0_EEESZ_S10_S11_S18_S1C_S1E_T6_T7_T9_mT8_S1G_bDpT10_ENKUlT_T0_E_clISt17integral_constantIbLb1EES1U_EEDaS1P_S1Q_EUlS1P_E_NS1_11comp_targetILNS1_3genE3ELNS1_11target_archE908ELNS1_3gpuE7ELNS1_3repE0EEENS1_30default_config_static_selectorELNS0_4arch9wavefront6targetE0EEEvS12_.kd
    .uniform_work_group_size: 1
    .uses_dynamic_stack: false
    .vgpr_count:     0
    .vgpr_spill_count: 0
    .wavefront_size: 32
    .workgroup_processor_mode: 1
  - .args:
      - .offset:         0
        .size:           184
        .value_kind:     by_value
    .group_segment_fixed_size: 0
    .kernarg_segment_align: 8
    .kernarg_segment_size: 184
    .language:       OpenCL C
    .language_version:
      - 2
      - 0
    .max_flat_workgroup_size: 256
    .name:           _ZN7rocprim17ROCPRIM_400000_NS6detail17trampoline_kernelINS0_13select_configILj256ELj13ELNS0_17block_load_methodE3ELS4_3ELS4_3ELNS0_20block_scan_algorithmE0ELj4294967295EEENS1_25partition_config_selectorILNS1_17partition_subalgoE4EjNS0_10empty_typeEbEEZZNS1_14partition_implILS8_4ELb0ES6_15HIP_vector_typeIjLj2EENS0_17counting_iteratorIjlEEPS9_SG_NS0_5tupleIJPjSI_NS0_16reverse_iteratorISI_EEEEENSH_IJSG_SG_SG_EEES9_SI_JZNS1_25segmented_radix_sort_implINS0_14default_configELb0EPKaPaPKlPlN2at6native12_GLOBAL__N_18offset_tEEE10hipError_tPvRmT1_PNSt15iterator_traitsIS12_E10value_typeET2_T3_PNS13_IS18_E10value_typeET4_jRbjT5_S1E_jjP12ihipStream_tbEUljE_ZNSN_ISO_Lb0ESQ_SR_ST_SU_SY_EESZ_S10_S11_S12_S16_S17_S18_S1B_S1C_jS1D_jS1E_S1E_jjS1G_bEUljE0_EEESZ_S10_S11_S18_S1C_S1E_T6_T7_T9_mT8_S1G_bDpT10_ENKUlT_T0_E_clISt17integral_constantIbLb1EES1U_EEDaS1P_S1Q_EUlS1P_E_NS1_11comp_targetILNS1_3genE2ELNS1_11target_archE906ELNS1_3gpuE6ELNS1_3repE0EEENS1_30default_config_static_selectorELNS0_4arch9wavefront6targetE0EEEvS12_
    .private_segment_fixed_size: 0
    .sgpr_count:     0
    .sgpr_spill_count: 0
    .symbol:         _ZN7rocprim17ROCPRIM_400000_NS6detail17trampoline_kernelINS0_13select_configILj256ELj13ELNS0_17block_load_methodE3ELS4_3ELS4_3ELNS0_20block_scan_algorithmE0ELj4294967295EEENS1_25partition_config_selectorILNS1_17partition_subalgoE4EjNS0_10empty_typeEbEEZZNS1_14partition_implILS8_4ELb0ES6_15HIP_vector_typeIjLj2EENS0_17counting_iteratorIjlEEPS9_SG_NS0_5tupleIJPjSI_NS0_16reverse_iteratorISI_EEEEENSH_IJSG_SG_SG_EEES9_SI_JZNS1_25segmented_radix_sort_implINS0_14default_configELb0EPKaPaPKlPlN2at6native12_GLOBAL__N_18offset_tEEE10hipError_tPvRmT1_PNSt15iterator_traitsIS12_E10value_typeET2_T3_PNS13_IS18_E10value_typeET4_jRbjT5_S1E_jjP12ihipStream_tbEUljE_ZNSN_ISO_Lb0ESQ_SR_ST_SU_SY_EESZ_S10_S11_S12_S16_S17_S18_S1B_S1C_jS1D_jS1E_S1E_jjS1G_bEUljE0_EEESZ_S10_S11_S18_S1C_S1E_T6_T7_T9_mT8_S1G_bDpT10_ENKUlT_T0_E_clISt17integral_constantIbLb1EES1U_EEDaS1P_S1Q_EUlS1P_E_NS1_11comp_targetILNS1_3genE2ELNS1_11target_archE906ELNS1_3gpuE6ELNS1_3repE0EEENS1_30default_config_static_selectorELNS0_4arch9wavefront6targetE0EEEvS12_.kd
    .uniform_work_group_size: 1
    .uses_dynamic_stack: false
    .vgpr_count:     0
    .vgpr_spill_count: 0
    .wavefront_size: 32
    .workgroup_processor_mode: 1
  - .args:
      - .offset:         0
        .size:           184
        .value_kind:     by_value
    .group_segment_fixed_size: 0
    .kernarg_segment_align: 8
    .kernarg_segment_size: 184
    .language:       OpenCL C
    .language_version:
      - 2
      - 0
    .max_flat_workgroup_size: 256
    .name:           _ZN7rocprim17ROCPRIM_400000_NS6detail17trampoline_kernelINS0_13select_configILj256ELj13ELNS0_17block_load_methodE3ELS4_3ELS4_3ELNS0_20block_scan_algorithmE0ELj4294967295EEENS1_25partition_config_selectorILNS1_17partition_subalgoE4EjNS0_10empty_typeEbEEZZNS1_14partition_implILS8_4ELb0ES6_15HIP_vector_typeIjLj2EENS0_17counting_iteratorIjlEEPS9_SG_NS0_5tupleIJPjSI_NS0_16reverse_iteratorISI_EEEEENSH_IJSG_SG_SG_EEES9_SI_JZNS1_25segmented_radix_sort_implINS0_14default_configELb0EPKaPaPKlPlN2at6native12_GLOBAL__N_18offset_tEEE10hipError_tPvRmT1_PNSt15iterator_traitsIS12_E10value_typeET2_T3_PNS13_IS18_E10value_typeET4_jRbjT5_S1E_jjP12ihipStream_tbEUljE_ZNSN_ISO_Lb0ESQ_SR_ST_SU_SY_EESZ_S10_S11_S12_S16_S17_S18_S1B_S1C_jS1D_jS1E_S1E_jjS1G_bEUljE0_EEESZ_S10_S11_S18_S1C_S1E_T6_T7_T9_mT8_S1G_bDpT10_ENKUlT_T0_E_clISt17integral_constantIbLb1EES1U_EEDaS1P_S1Q_EUlS1P_E_NS1_11comp_targetILNS1_3genE10ELNS1_11target_archE1200ELNS1_3gpuE4ELNS1_3repE0EEENS1_30default_config_static_selectorELNS0_4arch9wavefront6targetE0EEEvS12_
    .private_segment_fixed_size: 0
    .sgpr_count:     0
    .sgpr_spill_count: 0
    .symbol:         _ZN7rocprim17ROCPRIM_400000_NS6detail17trampoline_kernelINS0_13select_configILj256ELj13ELNS0_17block_load_methodE3ELS4_3ELS4_3ELNS0_20block_scan_algorithmE0ELj4294967295EEENS1_25partition_config_selectorILNS1_17partition_subalgoE4EjNS0_10empty_typeEbEEZZNS1_14partition_implILS8_4ELb0ES6_15HIP_vector_typeIjLj2EENS0_17counting_iteratorIjlEEPS9_SG_NS0_5tupleIJPjSI_NS0_16reverse_iteratorISI_EEEEENSH_IJSG_SG_SG_EEES9_SI_JZNS1_25segmented_radix_sort_implINS0_14default_configELb0EPKaPaPKlPlN2at6native12_GLOBAL__N_18offset_tEEE10hipError_tPvRmT1_PNSt15iterator_traitsIS12_E10value_typeET2_T3_PNS13_IS18_E10value_typeET4_jRbjT5_S1E_jjP12ihipStream_tbEUljE_ZNSN_ISO_Lb0ESQ_SR_ST_SU_SY_EESZ_S10_S11_S12_S16_S17_S18_S1B_S1C_jS1D_jS1E_S1E_jjS1G_bEUljE0_EEESZ_S10_S11_S18_S1C_S1E_T6_T7_T9_mT8_S1G_bDpT10_ENKUlT_T0_E_clISt17integral_constantIbLb1EES1U_EEDaS1P_S1Q_EUlS1P_E_NS1_11comp_targetILNS1_3genE10ELNS1_11target_archE1200ELNS1_3gpuE4ELNS1_3repE0EEENS1_30default_config_static_selectorELNS0_4arch9wavefront6targetE0EEEvS12_.kd
    .uniform_work_group_size: 1
    .uses_dynamic_stack: false
    .vgpr_count:     0
    .vgpr_spill_count: 0
    .wavefront_size: 32
    .workgroup_processor_mode: 1
  - .args:
      - .offset:         0
        .size:           184
        .value_kind:     by_value
    .group_segment_fixed_size: 0
    .kernarg_segment_align: 8
    .kernarg_segment_size: 184
    .language:       OpenCL C
    .language_version:
      - 2
      - 0
    .max_flat_workgroup_size: 256
    .name:           _ZN7rocprim17ROCPRIM_400000_NS6detail17trampoline_kernelINS0_13select_configILj256ELj13ELNS0_17block_load_methodE3ELS4_3ELS4_3ELNS0_20block_scan_algorithmE0ELj4294967295EEENS1_25partition_config_selectorILNS1_17partition_subalgoE4EjNS0_10empty_typeEbEEZZNS1_14partition_implILS8_4ELb0ES6_15HIP_vector_typeIjLj2EENS0_17counting_iteratorIjlEEPS9_SG_NS0_5tupleIJPjSI_NS0_16reverse_iteratorISI_EEEEENSH_IJSG_SG_SG_EEES9_SI_JZNS1_25segmented_radix_sort_implINS0_14default_configELb0EPKaPaPKlPlN2at6native12_GLOBAL__N_18offset_tEEE10hipError_tPvRmT1_PNSt15iterator_traitsIS12_E10value_typeET2_T3_PNS13_IS18_E10value_typeET4_jRbjT5_S1E_jjP12ihipStream_tbEUljE_ZNSN_ISO_Lb0ESQ_SR_ST_SU_SY_EESZ_S10_S11_S12_S16_S17_S18_S1B_S1C_jS1D_jS1E_S1E_jjS1G_bEUljE0_EEESZ_S10_S11_S18_S1C_S1E_T6_T7_T9_mT8_S1G_bDpT10_ENKUlT_T0_E_clISt17integral_constantIbLb1EES1U_EEDaS1P_S1Q_EUlS1P_E_NS1_11comp_targetILNS1_3genE9ELNS1_11target_archE1100ELNS1_3gpuE3ELNS1_3repE0EEENS1_30default_config_static_selectorELNS0_4arch9wavefront6targetE0EEEvS12_
    .private_segment_fixed_size: 0
    .sgpr_count:     0
    .sgpr_spill_count: 0
    .symbol:         _ZN7rocprim17ROCPRIM_400000_NS6detail17trampoline_kernelINS0_13select_configILj256ELj13ELNS0_17block_load_methodE3ELS4_3ELS4_3ELNS0_20block_scan_algorithmE0ELj4294967295EEENS1_25partition_config_selectorILNS1_17partition_subalgoE4EjNS0_10empty_typeEbEEZZNS1_14partition_implILS8_4ELb0ES6_15HIP_vector_typeIjLj2EENS0_17counting_iteratorIjlEEPS9_SG_NS0_5tupleIJPjSI_NS0_16reverse_iteratorISI_EEEEENSH_IJSG_SG_SG_EEES9_SI_JZNS1_25segmented_radix_sort_implINS0_14default_configELb0EPKaPaPKlPlN2at6native12_GLOBAL__N_18offset_tEEE10hipError_tPvRmT1_PNSt15iterator_traitsIS12_E10value_typeET2_T3_PNS13_IS18_E10value_typeET4_jRbjT5_S1E_jjP12ihipStream_tbEUljE_ZNSN_ISO_Lb0ESQ_SR_ST_SU_SY_EESZ_S10_S11_S12_S16_S17_S18_S1B_S1C_jS1D_jS1E_S1E_jjS1G_bEUljE0_EEESZ_S10_S11_S18_S1C_S1E_T6_T7_T9_mT8_S1G_bDpT10_ENKUlT_T0_E_clISt17integral_constantIbLb1EES1U_EEDaS1P_S1Q_EUlS1P_E_NS1_11comp_targetILNS1_3genE9ELNS1_11target_archE1100ELNS1_3gpuE3ELNS1_3repE0EEENS1_30default_config_static_selectorELNS0_4arch9wavefront6targetE0EEEvS12_.kd
    .uniform_work_group_size: 1
    .uses_dynamic_stack: false
    .vgpr_count:     0
    .vgpr_spill_count: 0
    .wavefront_size: 32
    .workgroup_processor_mode: 1
  - .args:
      - .offset:         0
        .size:           184
        .value_kind:     by_value
    .group_segment_fixed_size: 0
    .kernarg_segment_align: 8
    .kernarg_segment_size: 184
    .language:       OpenCL C
    .language_version:
      - 2
      - 0
    .max_flat_workgroup_size: 256
    .name:           _ZN7rocprim17ROCPRIM_400000_NS6detail17trampoline_kernelINS0_13select_configILj256ELj13ELNS0_17block_load_methodE3ELS4_3ELS4_3ELNS0_20block_scan_algorithmE0ELj4294967295EEENS1_25partition_config_selectorILNS1_17partition_subalgoE4EjNS0_10empty_typeEbEEZZNS1_14partition_implILS8_4ELb0ES6_15HIP_vector_typeIjLj2EENS0_17counting_iteratorIjlEEPS9_SG_NS0_5tupleIJPjSI_NS0_16reverse_iteratorISI_EEEEENSH_IJSG_SG_SG_EEES9_SI_JZNS1_25segmented_radix_sort_implINS0_14default_configELb0EPKaPaPKlPlN2at6native12_GLOBAL__N_18offset_tEEE10hipError_tPvRmT1_PNSt15iterator_traitsIS12_E10value_typeET2_T3_PNS13_IS18_E10value_typeET4_jRbjT5_S1E_jjP12ihipStream_tbEUljE_ZNSN_ISO_Lb0ESQ_SR_ST_SU_SY_EESZ_S10_S11_S12_S16_S17_S18_S1B_S1C_jS1D_jS1E_S1E_jjS1G_bEUljE0_EEESZ_S10_S11_S18_S1C_S1E_T6_T7_T9_mT8_S1G_bDpT10_ENKUlT_T0_E_clISt17integral_constantIbLb1EES1U_EEDaS1P_S1Q_EUlS1P_E_NS1_11comp_targetILNS1_3genE8ELNS1_11target_archE1030ELNS1_3gpuE2ELNS1_3repE0EEENS1_30default_config_static_selectorELNS0_4arch9wavefront6targetE0EEEvS12_
    .private_segment_fixed_size: 0
    .sgpr_count:     0
    .sgpr_spill_count: 0
    .symbol:         _ZN7rocprim17ROCPRIM_400000_NS6detail17trampoline_kernelINS0_13select_configILj256ELj13ELNS0_17block_load_methodE3ELS4_3ELS4_3ELNS0_20block_scan_algorithmE0ELj4294967295EEENS1_25partition_config_selectorILNS1_17partition_subalgoE4EjNS0_10empty_typeEbEEZZNS1_14partition_implILS8_4ELb0ES6_15HIP_vector_typeIjLj2EENS0_17counting_iteratorIjlEEPS9_SG_NS0_5tupleIJPjSI_NS0_16reverse_iteratorISI_EEEEENSH_IJSG_SG_SG_EEES9_SI_JZNS1_25segmented_radix_sort_implINS0_14default_configELb0EPKaPaPKlPlN2at6native12_GLOBAL__N_18offset_tEEE10hipError_tPvRmT1_PNSt15iterator_traitsIS12_E10value_typeET2_T3_PNS13_IS18_E10value_typeET4_jRbjT5_S1E_jjP12ihipStream_tbEUljE_ZNSN_ISO_Lb0ESQ_SR_ST_SU_SY_EESZ_S10_S11_S12_S16_S17_S18_S1B_S1C_jS1D_jS1E_S1E_jjS1G_bEUljE0_EEESZ_S10_S11_S18_S1C_S1E_T6_T7_T9_mT8_S1G_bDpT10_ENKUlT_T0_E_clISt17integral_constantIbLb1EES1U_EEDaS1P_S1Q_EUlS1P_E_NS1_11comp_targetILNS1_3genE8ELNS1_11target_archE1030ELNS1_3gpuE2ELNS1_3repE0EEENS1_30default_config_static_selectorELNS0_4arch9wavefront6targetE0EEEvS12_.kd
    .uniform_work_group_size: 1
    .uses_dynamic_stack: false
    .vgpr_count:     0
    .vgpr_spill_count: 0
    .wavefront_size: 32
    .workgroup_processor_mode: 1
  - .args:
      - .offset:         0
        .size:           176
        .value_kind:     by_value
    .group_segment_fixed_size: 0
    .kernarg_segment_align: 8
    .kernarg_segment_size: 176
    .language:       OpenCL C
    .language_version:
      - 2
      - 0
    .max_flat_workgroup_size: 256
    .name:           _ZN7rocprim17ROCPRIM_400000_NS6detail17trampoline_kernelINS0_13select_configILj256ELj13ELNS0_17block_load_methodE3ELS4_3ELS4_3ELNS0_20block_scan_algorithmE0ELj4294967295EEENS1_25partition_config_selectorILNS1_17partition_subalgoE4EjNS0_10empty_typeEbEEZZNS1_14partition_implILS8_4ELb0ES6_15HIP_vector_typeIjLj2EENS0_17counting_iteratorIjlEEPS9_SG_NS0_5tupleIJPjSI_NS0_16reverse_iteratorISI_EEEEENSH_IJSG_SG_SG_EEES9_SI_JZNS1_25segmented_radix_sort_implINS0_14default_configELb0EPKaPaPKlPlN2at6native12_GLOBAL__N_18offset_tEEE10hipError_tPvRmT1_PNSt15iterator_traitsIS12_E10value_typeET2_T3_PNS13_IS18_E10value_typeET4_jRbjT5_S1E_jjP12ihipStream_tbEUljE_ZNSN_ISO_Lb0ESQ_SR_ST_SU_SY_EESZ_S10_S11_S12_S16_S17_S18_S1B_S1C_jS1D_jS1E_S1E_jjS1G_bEUljE0_EEESZ_S10_S11_S18_S1C_S1E_T6_T7_T9_mT8_S1G_bDpT10_ENKUlT_T0_E_clISt17integral_constantIbLb1EES1T_IbLb0EEEEDaS1P_S1Q_EUlS1P_E_NS1_11comp_targetILNS1_3genE0ELNS1_11target_archE4294967295ELNS1_3gpuE0ELNS1_3repE0EEENS1_30default_config_static_selectorELNS0_4arch9wavefront6targetE0EEEvS12_
    .private_segment_fixed_size: 0
    .sgpr_count:     0
    .sgpr_spill_count: 0
    .symbol:         _ZN7rocprim17ROCPRIM_400000_NS6detail17trampoline_kernelINS0_13select_configILj256ELj13ELNS0_17block_load_methodE3ELS4_3ELS4_3ELNS0_20block_scan_algorithmE0ELj4294967295EEENS1_25partition_config_selectorILNS1_17partition_subalgoE4EjNS0_10empty_typeEbEEZZNS1_14partition_implILS8_4ELb0ES6_15HIP_vector_typeIjLj2EENS0_17counting_iteratorIjlEEPS9_SG_NS0_5tupleIJPjSI_NS0_16reverse_iteratorISI_EEEEENSH_IJSG_SG_SG_EEES9_SI_JZNS1_25segmented_radix_sort_implINS0_14default_configELb0EPKaPaPKlPlN2at6native12_GLOBAL__N_18offset_tEEE10hipError_tPvRmT1_PNSt15iterator_traitsIS12_E10value_typeET2_T3_PNS13_IS18_E10value_typeET4_jRbjT5_S1E_jjP12ihipStream_tbEUljE_ZNSN_ISO_Lb0ESQ_SR_ST_SU_SY_EESZ_S10_S11_S12_S16_S17_S18_S1B_S1C_jS1D_jS1E_S1E_jjS1G_bEUljE0_EEESZ_S10_S11_S18_S1C_S1E_T6_T7_T9_mT8_S1G_bDpT10_ENKUlT_T0_E_clISt17integral_constantIbLb1EES1T_IbLb0EEEEDaS1P_S1Q_EUlS1P_E_NS1_11comp_targetILNS1_3genE0ELNS1_11target_archE4294967295ELNS1_3gpuE0ELNS1_3repE0EEENS1_30default_config_static_selectorELNS0_4arch9wavefront6targetE0EEEvS12_.kd
    .uniform_work_group_size: 1
    .uses_dynamic_stack: false
    .vgpr_count:     0
    .vgpr_spill_count: 0
    .wavefront_size: 32
    .workgroup_processor_mode: 1
  - .args:
      - .offset:         0
        .size:           176
        .value_kind:     by_value
    .group_segment_fixed_size: 0
    .kernarg_segment_align: 8
    .kernarg_segment_size: 176
    .language:       OpenCL C
    .language_version:
      - 2
      - 0
    .max_flat_workgroup_size: 256
    .name:           _ZN7rocprim17ROCPRIM_400000_NS6detail17trampoline_kernelINS0_13select_configILj256ELj13ELNS0_17block_load_methodE3ELS4_3ELS4_3ELNS0_20block_scan_algorithmE0ELj4294967295EEENS1_25partition_config_selectorILNS1_17partition_subalgoE4EjNS0_10empty_typeEbEEZZNS1_14partition_implILS8_4ELb0ES6_15HIP_vector_typeIjLj2EENS0_17counting_iteratorIjlEEPS9_SG_NS0_5tupleIJPjSI_NS0_16reverse_iteratorISI_EEEEENSH_IJSG_SG_SG_EEES9_SI_JZNS1_25segmented_radix_sort_implINS0_14default_configELb0EPKaPaPKlPlN2at6native12_GLOBAL__N_18offset_tEEE10hipError_tPvRmT1_PNSt15iterator_traitsIS12_E10value_typeET2_T3_PNS13_IS18_E10value_typeET4_jRbjT5_S1E_jjP12ihipStream_tbEUljE_ZNSN_ISO_Lb0ESQ_SR_ST_SU_SY_EESZ_S10_S11_S12_S16_S17_S18_S1B_S1C_jS1D_jS1E_S1E_jjS1G_bEUljE0_EEESZ_S10_S11_S18_S1C_S1E_T6_T7_T9_mT8_S1G_bDpT10_ENKUlT_T0_E_clISt17integral_constantIbLb1EES1T_IbLb0EEEEDaS1P_S1Q_EUlS1P_E_NS1_11comp_targetILNS1_3genE5ELNS1_11target_archE942ELNS1_3gpuE9ELNS1_3repE0EEENS1_30default_config_static_selectorELNS0_4arch9wavefront6targetE0EEEvS12_
    .private_segment_fixed_size: 0
    .sgpr_count:     0
    .sgpr_spill_count: 0
    .symbol:         _ZN7rocprim17ROCPRIM_400000_NS6detail17trampoline_kernelINS0_13select_configILj256ELj13ELNS0_17block_load_methodE3ELS4_3ELS4_3ELNS0_20block_scan_algorithmE0ELj4294967295EEENS1_25partition_config_selectorILNS1_17partition_subalgoE4EjNS0_10empty_typeEbEEZZNS1_14partition_implILS8_4ELb0ES6_15HIP_vector_typeIjLj2EENS0_17counting_iteratorIjlEEPS9_SG_NS0_5tupleIJPjSI_NS0_16reverse_iteratorISI_EEEEENSH_IJSG_SG_SG_EEES9_SI_JZNS1_25segmented_radix_sort_implINS0_14default_configELb0EPKaPaPKlPlN2at6native12_GLOBAL__N_18offset_tEEE10hipError_tPvRmT1_PNSt15iterator_traitsIS12_E10value_typeET2_T3_PNS13_IS18_E10value_typeET4_jRbjT5_S1E_jjP12ihipStream_tbEUljE_ZNSN_ISO_Lb0ESQ_SR_ST_SU_SY_EESZ_S10_S11_S12_S16_S17_S18_S1B_S1C_jS1D_jS1E_S1E_jjS1G_bEUljE0_EEESZ_S10_S11_S18_S1C_S1E_T6_T7_T9_mT8_S1G_bDpT10_ENKUlT_T0_E_clISt17integral_constantIbLb1EES1T_IbLb0EEEEDaS1P_S1Q_EUlS1P_E_NS1_11comp_targetILNS1_3genE5ELNS1_11target_archE942ELNS1_3gpuE9ELNS1_3repE0EEENS1_30default_config_static_selectorELNS0_4arch9wavefront6targetE0EEEvS12_.kd
    .uniform_work_group_size: 1
    .uses_dynamic_stack: false
    .vgpr_count:     0
    .vgpr_spill_count: 0
    .wavefront_size: 32
    .workgroup_processor_mode: 1
  - .args:
      - .offset:         0
        .size:           176
        .value_kind:     by_value
    .group_segment_fixed_size: 0
    .kernarg_segment_align: 8
    .kernarg_segment_size: 176
    .language:       OpenCL C
    .language_version:
      - 2
      - 0
    .max_flat_workgroup_size: 256
    .name:           _ZN7rocprim17ROCPRIM_400000_NS6detail17trampoline_kernelINS0_13select_configILj256ELj13ELNS0_17block_load_methodE3ELS4_3ELS4_3ELNS0_20block_scan_algorithmE0ELj4294967295EEENS1_25partition_config_selectorILNS1_17partition_subalgoE4EjNS0_10empty_typeEbEEZZNS1_14partition_implILS8_4ELb0ES6_15HIP_vector_typeIjLj2EENS0_17counting_iteratorIjlEEPS9_SG_NS0_5tupleIJPjSI_NS0_16reverse_iteratorISI_EEEEENSH_IJSG_SG_SG_EEES9_SI_JZNS1_25segmented_radix_sort_implINS0_14default_configELb0EPKaPaPKlPlN2at6native12_GLOBAL__N_18offset_tEEE10hipError_tPvRmT1_PNSt15iterator_traitsIS12_E10value_typeET2_T3_PNS13_IS18_E10value_typeET4_jRbjT5_S1E_jjP12ihipStream_tbEUljE_ZNSN_ISO_Lb0ESQ_SR_ST_SU_SY_EESZ_S10_S11_S12_S16_S17_S18_S1B_S1C_jS1D_jS1E_S1E_jjS1G_bEUljE0_EEESZ_S10_S11_S18_S1C_S1E_T6_T7_T9_mT8_S1G_bDpT10_ENKUlT_T0_E_clISt17integral_constantIbLb1EES1T_IbLb0EEEEDaS1P_S1Q_EUlS1P_E_NS1_11comp_targetILNS1_3genE4ELNS1_11target_archE910ELNS1_3gpuE8ELNS1_3repE0EEENS1_30default_config_static_selectorELNS0_4arch9wavefront6targetE0EEEvS12_
    .private_segment_fixed_size: 0
    .sgpr_count:     0
    .sgpr_spill_count: 0
    .symbol:         _ZN7rocprim17ROCPRIM_400000_NS6detail17trampoline_kernelINS0_13select_configILj256ELj13ELNS0_17block_load_methodE3ELS4_3ELS4_3ELNS0_20block_scan_algorithmE0ELj4294967295EEENS1_25partition_config_selectorILNS1_17partition_subalgoE4EjNS0_10empty_typeEbEEZZNS1_14partition_implILS8_4ELb0ES6_15HIP_vector_typeIjLj2EENS0_17counting_iteratorIjlEEPS9_SG_NS0_5tupleIJPjSI_NS0_16reverse_iteratorISI_EEEEENSH_IJSG_SG_SG_EEES9_SI_JZNS1_25segmented_radix_sort_implINS0_14default_configELb0EPKaPaPKlPlN2at6native12_GLOBAL__N_18offset_tEEE10hipError_tPvRmT1_PNSt15iterator_traitsIS12_E10value_typeET2_T3_PNS13_IS18_E10value_typeET4_jRbjT5_S1E_jjP12ihipStream_tbEUljE_ZNSN_ISO_Lb0ESQ_SR_ST_SU_SY_EESZ_S10_S11_S12_S16_S17_S18_S1B_S1C_jS1D_jS1E_S1E_jjS1G_bEUljE0_EEESZ_S10_S11_S18_S1C_S1E_T6_T7_T9_mT8_S1G_bDpT10_ENKUlT_T0_E_clISt17integral_constantIbLb1EES1T_IbLb0EEEEDaS1P_S1Q_EUlS1P_E_NS1_11comp_targetILNS1_3genE4ELNS1_11target_archE910ELNS1_3gpuE8ELNS1_3repE0EEENS1_30default_config_static_selectorELNS0_4arch9wavefront6targetE0EEEvS12_.kd
    .uniform_work_group_size: 1
    .uses_dynamic_stack: false
    .vgpr_count:     0
    .vgpr_spill_count: 0
    .wavefront_size: 32
    .workgroup_processor_mode: 1
  - .args:
      - .offset:         0
        .size:           176
        .value_kind:     by_value
    .group_segment_fixed_size: 0
    .kernarg_segment_align: 8
    .kernarg_segment_size: 176
    .language:       OpenCL C
    .language_version:
      - 2
      - 0
    .max_flat_workgroup_size: 256
    .name:           _ZN7rocprim17ROCPRIM_400000_NS6detail17trampoline_kernelINS0_13select_configILj256ELj13ELNS0_17block_load_methodE3ELS4_3ELS4_3ELNS0_20block_scan_algorithmE0ELj4294967295EEENS1_25partition_config_selectorILNS1_17partition_subalgoE4EjNS0_10empty_typeEbEEZZNS1_14partition_implILS8_4ELb0ES6_15HIP_vector_typeIjLj2EENS0_17counting_iteratorIjlEEPS9_SG_NS0_5tupleIJPjSI_NS0_16reverse_iteratorISI_EEEEENSH_IJSG_SG_SG_EEES9_SI_JZNS1_25segmented_radix_sort_implINS0_14default_configELb0EPKaPaPKlPlN2at6native12_GLOBAL__N_18offset_tEEE10hipError_tPvRmT1_PNSt15iterator_traitsIS12_E10value_typeET2_T3_PNS13_IS18_E10value_typeET4_jRbjT5_S1E_jjP12ihipStream_tbEUljE_ZNSN_ISO_Lb0ESQ_SR_ST_SU_SY_EESZ_S10_S11_S12_S16_S17_S18_S1B_S1C_jS1D_jS1E_S1E_jjS1G_bEUljE0_EEESZ_S10_S11_S18_S1C_S1E_T6_T7_T9_mT8_S1G_bDpT10_ENKUlT_T0_E_clISt17integral_constantIbLb1EES1T_IbLb0EEEEDaS1P_S1Q_EUlS1P_E_NS1_11comp_targetILNS1_3genE3ELNS1_11target_archE908ELNS1_3gpuE7ELNS1_3repE0EEENS1_30default_config_static_selectorELNS0_4arch9wavefront6targetE0EEEvS12_
    .private_segment_fixed_size: 0
    .sgpr_count:     0
    .sgpr_spill_count: 0
    .symbol:         _ZN7rocprim17ROCPRIM_400000_NS6detail17trampoline_kernelINS0_13select_configILj256ELj13ELNS0_17block_load_methodE3ELS4_3ELS4_3ELNS0_20block_scan_algorithmE0ELj4294967295EEENS1_25partition_config_selectorILNS1_17partition_subalgoE4EjNS0_10empty_typeEbEEZZNS1_14partition_implILS8_4ELb0ES6_15HIP_vector_typeIjLj2EENS0_17counting_iteratorIjlEEPS9_SG_NS0_5tupleIJPjSI_NS0_16reverse_iteratorISI_EEEEENSH_IJSG_SG_SG_EEES9_SI_JZNS1_25segmented_radix_sort_implINS0_14default_configELb0EPKaPaPKlPlN2at6native12_GLOBAL__N_18offset_tEEE10hipError_tPvRmT1_PNSt15iterator_traitsIS12_E10value_typeET2_T3_PNS13_IS18_E10value_typeET4_jRbjT5_S1E_jjP12ihipStream_tbEUljE_ZNSN_ISO_Lb0ESQ_SR_ST_SU_SY_EESZ_S10_S11_S12_S16_S17_S18_S1B_S1C_jS1D_jS1E_S1E_jjS1G_bEUljE0_EEESZ_S10_S11_S18_S1C_S1E_T6_T7_T9_mT8_S1G_bDpT10_ENKUlT_T0_E_clISt17integral_constantIbLb1EES1T_IbLb0EEEEDaS1P_S1Q_EUlS1P_E_NS1_11comp_targetILNS1_3genE3ELNS1_11target_archE908ELNS1_3gpuE7ELNS1_3repE0EEENS1_30default_config_static_selectorELNS0_4arch9wavefront6targetE0EEEvS12_.kd
    .uniform_work_group_size: 1
    .uses_dynamic_stack: false
    .vgpr_count:     0
    .vgpr_spill_count: 0
    .wavefront_size: 32
    .workgroup_processor_mode: 1
  - .args:
      - .offset:         0
        .size:           176
        .value_kind:     by_value
    .group_segment_fixed_size: 0
    .kernarg_segment_align: 8
    .kernarg_segment_size: 176
    .language:       OpenCL C
    .language_version:
      - 2
      - 0
    .max_flat_workgroup_size: 256
    .name:           _ZN7rocprim17ROCPRIM_400000_NS6detail17trampoline_kernelINS0_13select_configILj256ELj13ELNS0_17block_load_methodE3ELS4_3ELS4_3ELNS0_20block_scan_algorithmE0ELj4294967295EEENS1_25partition_config_selectorILNS1_17partition_subalgoE4EjNS0_10empty_typeEbEEZZNS1_14partition_implILS8_4ELb0ES6_15HIP_vector_typeIjLj2EENS0_17counting_iteratorIjlEEPS9_SG_NS0_5tupleIJPjSI_NS0_16reverse_iteratorISI_EEEEENSH_IJSG_SG_SG_EEES9_SI_JZNS1_25segmented_radix_sort_implINS0_14default_configELb0EPKaPaPKlPlN2at6native12_GLOBAL__N_18offset_tEEE10hipError_tPvRmT1_PNSt15iterator_traitsIS12_E10value_typeET2_T3_PNS13_IS18_E10value_typeET4_jRbjT5_S1E_jjP12ihipStream_tbEUljE_ZNSN_ISO_Lb0ESQ_SR_ST_SU_SY_EESZ_S10_S11_S12_S16_S17_S18_S1B_S1C_jS1D_jS1E_S1E_jjS1G_bEUljE0_EEESZ_S10_S11_S18_S1C_S1E_T6_T7_T9_mT8_S1G_bDpT10_ENKUlT_T0_E_clISt17integral_constantIbLb1EES1T_IbLb0EEEEDaS1P_S1Q_EUlS1P_E_NS1_11comp_targetILNS1_3genE2ELNS1_11target_archE906ELNS1_3gpuE6ELNS1_3repE0EEENS1_30default_config_static_selectorELNS0_4arch9wavefront6targetE0EEEvS12_
    .private_segment_fixed_size: 0
    .sgpr_count:     0
    .sgpr_spill_count: 0
    .symbol:         _ZN7rocprim17ROCPRIM_400000_NS6detail17trampoline_kernelINS0_13select_configILj256ELj13ELNS0_17block_load_methodE3ELS4_3ELS4_3ELNS0_20block_scan_algorithmE0ELj4294967295EEENS1_25partition_config_selectorILNS1_17partition_subalgoE4EjNS0_10empty_typeEbEEZZNS1_14partition_implILS8_4ELb0ES6_15HIP_vector_typeIjLj2EENS0_17counting_iteratorIjlEEPS9_SG_NS0_5tupleIJPjSI_NS0_16reverse_iteratorISI_EEEEENSH_IJSG_SG_SG_EEES9_SI_JZNS1_25segmented_radix_sort_implINS0_14default_configELb0EPKaPaPKlPlN2at6native12_GLOBAL__N_18offset_tEEE10hipError_tPvRmT1_PNSt15iterator_traitsIS12_E10value_typeET2_T3_PNS13_IS18_E10value_typeET4_jRbjT5_S1E_jjP12ihipStream_tbEUljE_ZNSN_ISO_Lb0ESQ_SR_ST_SU_SY_EESZ_S10_S11_S12_S16_S17_S18_S1B_S1C_jS1D_jS1E_S1E_jjS1G_bEUljE0_EEESZ_S10_S11_S18_S1C_S1E_T6_T7_T9_mT8_S1G_bDpT10_ENKUlT_T0_E_clISt17integral_constantIbLb1EES1T_IbLb0EEEEDaS1P_S1Q_EUlS1P_E_NS1_11comp_targetILNS1_3genE2ELNS1_11target_archE906ELNS1_3gpuE6ELNS1_3repE0EEENS1_30default_config_static_selectorELNS0_4arch9wavefront6targetE0EEEvS12_.kd
    .uniform_work_group_size: 1
    .uses_dynamic_stack: false
    .vgpr_count:     0
    .vgpr_spill_count: 0
    .wavefront_size: 32
    .workgroup_processor_mode: 1
  - .args:
      - .offset:         0
        .size:           176
        .value_kind:     by_value
    .group_segment_fixed_size: 0
    .kernarg_segment_align: 8
    .kernarg_segment_size: 176
    .language:       OpenCL C
    .language_version:
      - 2
      - 0
    .max_flat_workgroup_size: 256
    .name:           _ZN7rocprim17ROCPRIM_400000_NS6detail17trampoline_kernelINS0_13select_configILj256ELj13ELNS0_17block_load_methodE3ELS4_3ELS4_3ELNS0_20block_scan_algorithmE0ELj4294967295EEENS1_25partition_config_selectorILNS1_17partition_subalgoE4EjNS0_10empty_typeEbEEZZNS1_14partition_implILS8_4ELb0ES6_15HIP_vector_typeIjLj2EENS0_17counting_iteratorIjlEEPS9_SG_NS0_5tupleIJPjSI_NS0_16reverse_iteratorISI_EEEEENSH_IJSG_SG_SG_EEES9_SI_JZNS1_25segmented_radix_sort_implINS0_14default_configELb0EPKaPaPKlPlN2at6native12_GLOBAL__N_18offset_tEEE10hipError_tPvRmT1_PNSt15iterator_traitsIS12_E10value_typeET2_T3_PNS13_IS18_E10value_typeET4_jRbjT5_S1E_jjP12ihipStream_tbEUljE_ZNSN_ISO_Lb0ESQ_SR_ST_SU_SY_EESZ_S10_S11_S12_S16_S17_S18_S1B_S1C_jS1D_jS1E_S1E_jjS1G_bEUljE0_EEESZ_S10_S11_S18_S1C_S1E_T6_T7_T9_mT8_S1G_bDpT10_ENKUlT_T0_E_clISt17integral_constantIbLb1EES1T_IbLb0EEEEDaS1P_S1Q_EUlS1P_E_NS1_11comp_targetILNS1_3genE10ELNS1_11target_archE1200ELNS1_3gpuE4ELNS1_3repE0EEENS1_30default_config_static_selectorELNS0_4arch9wavefront6targetE0EEEvS12_
    .private_segment_fixed_size: 0
    .sgpr_count:     0
    .sgpr_spill_count: 0
    .symbol:         _ZN7rocprim17ROCPRIM_400000_NS6detail17trampoline_kernelINS0_13select_configILj256ELj13ELNS0_17block_load_methodE3ELS4_3ELS4_3ELNS0_20block_scan_algorithmE0ELj4294967295EEENS1_25partition_config_selectorILNS1_17partition_subalgoE4EjNS0_10empty_typeEbEEZZNS1_14partition_implILS8_4ELb0ES6_15HIP_vector_typeIjLj2EENS0_17counting_iteratorIjlEEPS9_SG_NS0_5tupleIJPjSI_NS0_16reverse_iteratorISI_EEEEENSH_IJSG_SG_SG_EEES9_SI_JZNS1_25segmented_radix_sort_implINS0_14default_configELb0EPKaPaPKlPlN2at6native12_GLOBAL__N_18offset_tEEE10hipError_tPvRmT1_PNSt15iterator_traitsIS12_E10value_typeET2_T3_PNS13_IS18_E10value_typeET4_jRbjT5_S1E_jjP12ihipStream_tbEUljE_ZNSN_ISO_Lb0ESQ_SR_ST_SU_SY_EESZ_S10_S11_S12_S16_S17_S18_S1B_S1C_jS1D_jS1E_S1E_jjS1G_bEUljE0_EEESZ_S10_S11_S18_S1C_S1E_T6_T7_T9_mT8_S1G_bDpT10_ENKUlT_T0_E_clISt17integral_constantIbLb1EES1T_IbLb0EEEEDaS1P_S1Q_EUlS1P_E_NS1_11comp_targetILNS1_3genE10ELNS1_11target_archE1200ELNS1_3gpuE4ELNS1_3repE0EEENS1_30default_config_static_selectorELNS0_4arch9wavefront6targetE0EEEvS12_.kd
    .uniform_work_group_size: 1
    .uses_dynamic_stack: false
    .vgpr_count:     0
    .vgpr_spill_count: 0
    .wavefront_size: 32
    .workgroup_processor_mode: 1
  - .args:
      - .offset:         0
        .size:           176
        .value_kind:     by_value
    .group_segment_fixed_size: 0
    .kernarg_segment_align: 8
    .kernarg_segment_size: 176
    .language:       OpenCL C
    .language_version:
      - 2
      - 0
    .max_flat_workgroup_size: 256
    .name:           _ZN7rocprim17ROCPRIM_400000_NS6detail17trampoline_kernelINS0_13select_configILj256ELj13ELNS0_17block_load_methodE3ELS4_3ELS4_3ELNS0_20block_scan_algorithmE0ELj4294967295EEENS1_25partition_config_selectorILNS1_17partition_subalgoE4EjNS0_10empty_typeEbEEZZNS1_14partition_implILS8_4ELb0ES6_15HIP_vector_typeIjLj2EENS0_17counting_iteratorIjlEEPS9_SG_NS0_5tupleIJPjSI_NS0_16reverse_iteratorISI_EEEEENSH_IJSG_SG_SG_EEES9_SI_JZNS1_25segmented_radix_sort_implINS0_14default_configELb0EPKaPaPKlPlN2at6native12_GLOBAL__N_18offset_tEEE10hipError_tPvRmT1_PNSt15iterator_traitsIS12_E10value_typeET2_T3_PNS13_IS18_E10value_typeET4_jRbjT5_S1E_jjP12ihipStream_tbEUljE_ZNSN_ISO_Lb0ESQ_SR_ST_SU_SY_EESZ_S10_S11_S12_S16_S17_S18_S1B_S1C_jS1D_jS1E_S1E_jjS1G_bEUljE0_EEESZ_S10_S11_S18_S1C_S1E_T6_T7_T9_mT8_S1G_bDpT10_ENKUlT_T0_E_clISt17integral_constantIbLb1EES1T_IbLb0EEEEDaS1P_S1Q_EUlS1P_E_NS1_11comp_targetILNS1_3genE9ELNS1_11target_archE1100ELNS1_3gpuE3ELNS1_3repE0EEENS1_30default_config_static_selectorELNS0_4arch9wavefront6targetE0EEEvS12_
    .private_segment_fixed_size: 0
    .sgpr_count:     0
    .sgpr_spill_count: 0
    .symbol:         _ZN7rocprim17ROCPRIM_400000_NS6detail17trampoline_kernelINS0_13select_configILj256ELj13ELNS0_17block_load_methodE3ELS4_3ELS4_3ELNS0_20block_scan_algorithmE0ELj4294967295EEENS1_25partition_config_selectorILNS1_17partition_subalgoE4EjNS0_10empty_typeEbEEZZNS1_14partition_implILS8_4ELb0ES6_15HIP_vector_typeIjLj2EENS0_17counting_iteratorIjlEEPS9_SG_NS0_5tupleIJPjSI_NS0_16reverse_iteratorISI_EEEEENSH_IJSG_SG_SG_EEES9_SI_JZNS1_25segmented_radix_sort_implINS0_14default_configELb0EPKaPaPKlPlN2at6native12_GLOBAL__N_18offset_tEEE10hipError_tPvRmT1_PNSt15iterator_traitsIS12_E10value_typeET2_T3_PNS13_IS18_E10value_typeET4_jRbjT5_S1E_jjP12ihipStream_tbEUljE_ZNSN_ISO_Lb0ESQ_SR_ST_SU_SY_EESZ_S10_S11_S12_S16_S17_S18_S1B_S1C_jS1D_jS1E_S1E_jjS1G_bEUljE0_EEESZ_S10_S11_S18_S1C_S1E_T6_T7_T9_mT8_S1G_bDpT10_ENKUlT_T0_E_clISt17integral_constantIbLb1EES1T_IbLb0EEEEDaS1P_S1Q_EUlS1P_E_NS1_11comp_targetILNS1_3genE9ELNS1_11target_archE1100ELNS1_3gpuE3ELNS1_3repE0EEENS1_30default_config_static_selectorELNS0_4arch9wavefront6targetE0EEEvS12_.kd
    .uniform_work_group_size: 1
    .uses_dynamic_stack: false
    .vgpr_count:     0
    .vgpr_spill_count: 0
    .wavefront_size: 32
    .workgroup_processor_mode: 1
  - .args:
      - .offset:         0
        .size:           176
        .value_kind:     by_value
    .group_segment_fixed_size: 0
    .kernarg_segment_align: 8
    .kernarg_segment_size: 176
    .language:       OpenCL C
    .language_version:
      - 2
      - 0
    .max_flat_workgroup_size: 256
    .name:           _ZN7rocprim17ROCPRIM_400000_NS6detail17trampoline_kernelINS0_13select_configILj256ELj13ELNS0_17block_load_methodE3ELS4_3ELS4_3ELNS0_20block_scan_algorithmE0ELj4294967295EEENS1_25partition_config_selectorILNS1_17partition_subalgoE4EjNS0_10empty_typeEbEEZZNS1_14partition_implILS8_4ELb0ES6_15HIP_vector_typeIjLj2EENS0_17counting_iteratorIjlEEPS9_SG_NS0_5tupleIJPjSI_NS0_16reverse_iteratorISI_EEEEENSH_IJSG_SG_SG_EEES9_SI_JZNS1_25segmented_radix_sort_implINS0_14default_configELb0EPKaPaPKlPlN2at6native12_GLOBAL__N_18offset_tEEE10hipError_tPvRmT1_PNSt15iterator_traitsIS12_E10value_typeET2_T3_PNS13_IS18_E10value_typeET4_jRbjT5_S1E_jjP12ihipStream_tbEUljE_ZNSN_ISO_Lb0ESQ_SR_ST_SU_SY_EESZ_S10_S11_S12_S16_S17_S18_S1B_S1C_jS1D_jS1E_S1E_jjS1G_bEUljE0_EEESZ_S10_S11_S18_S1C_S1E_T6_T7_T9_mT8_S1G_bDpT10_ENKUlT_T0_E_clISt17integral_constantIbLb1EES1T_IbLb0EEEEDaS1P_S1Q_EUlS1P_E_NS1_11comp_targetILNS1_3genE8ELNS1_11target_archE1030ELNS1_3gpuE2ELNS1_3repE0EEENS1_30default_config_static_selectorELNS0_4arch9wavefront6targetE0EEEvS12_
    .private_segment_fixed_size: 0
    .sgpr_count:     0
    .sgpr_spill_count: 0
    .symbol:         _ZN7rocprim17ROCPRIM_400000_NS6detail17trampoline_kernelINS0_13select_configILj256ELj13ELNS0_17block_load_methodE3ELS4_3ELS4_3ELNS0_20block_scan_algorithmE0ELj4294967295EEENS1_25partition_config_selectorILNS1_17partition_subalgoE4EjNS0_10empty_typeEbEEZZNS1_14partition_implILS8_4ELb0ES6_15HIP_vector_typeIjLj2EENS0_17counting_iteratorIjlEEPS9_SG_NS0_5tupleIJPjSI_NS0_16reverse_iteratorISI_EEEEENSH_IJSG_SG_SG_EEES9_SI_JZNS1_25segmented_radix_sort_implINS0_14default_configELb0EPKaPaPKlPlN2at6native12_GLOBAL__N_18offset_tEEE10hipError_tPvRmT1_PNSt15iterator_traitsIS12_E10value_typeET2_T3_PNS13_IS18_E10value_typeET4_jRbjT5_S1E_jjP12ihipStream_tbEUljE_ZNSN_ISO_Lb0ESQ_SR_ST_SU_SY_EESZ_S10_S11_S12_S16_S17_S18_S1B_S1C_jS1D_jS1E_S1E_jjS1G_bEUljE0_EEESZ_S10_S11_S18_S1C_S1E_T6_T7_T9_mT8_S1G_bDpT10_ENKUlT_T0_E_clISt17integral_constantIbLb1EES1T_IbLb0EEEEDaS1P_S1Q_EUlS1P_E_NS1_11comp_targetILNS1_3genE8ELNS1_11target_archE1030ELNS1_3gpuE2ELNS1_3repE0EEENS1_30default_config_static_selectorELNS0_4arch9wavefront6targetE0EEEvS12_.kd
    .uniform_work_group_size: 1
    .uses_dynamic_stack: false
    .vgpr_count:     0
    .vgpr_spill_count: 0
    .wavefront_size: 32
    .workgroup_processor_mode: 1
  - .args:
      - .offset:         0
        .size:           184
        .value_kind:     by_value
    .group_segment_fixed_size: 0
    .kernarg_segment_align: 8
    .kernarg_segment_size: 184
    .language:       OpenCL C
    .language_version:
      - 2
      - 0
    .max_flat_workgroup_size: 256
    .name:           _ZN7rocprim17ROCPRIM_400000_NS6detail17trampoline_kernelINS0_13select_configILj256ELj13ELNS0_17block_load_methodE3ELS4_3ELS4_3ELNS0_20block_scan_algorithmE0ELj4294967295EEENS1_25partition_config_selectorILNS1_17partition_subalgoE4EjNS0_10empty_typeEbEEZZNS1_14partition_implILS8_4ELb0ES6_15HIP_vector_typeIjLj2EENS0_17counting_iteratorIjlEEPS9_SG_NS0_5tupleIJPjSI_NS0_16reverse_iteratorISI_EEEEENSH_IJSG_SG_SG_EEES9_SI_JZNS1_25segmented_radix_sort_implINS0_14default_configELb0EPKaPaPKlPlN2at6native12_GLOBAL__N_18offset_tEEE10hipError_tPvRmT1_PNSt15iterator_traitsIS12_E10value_typeET2_T3_PNS13_IS18_E10value_typeET4_jRbjT5_S1E_jjP12ihipStream_tbEUljE_ZNSN_ISO_Lb0ESQ_SR_ST_SU_SY_EESZ_S10_S11_S12_S16_S17_S18_S1B_S1C_jS1D_jS1E_S1E_jjS1G_bEUljE0_EEESZ_S10_S11_S18_S1C_S1E_T6_T7_T9_mT8_S1G_bDpT10_ENKUlT_T0_E_clISt17integral_constantIbLb0EES1T_IbLb1EEEEDaS1P_S1Q_EUlS1P_E_NS1_11comp_targetILNS1_3genE0ELNS1_11target_archE4294967295ELNS1_3gpuE0ELNS1_3repE0EEENS1_30default_config_static_selectorELNS0_4arch9wavefront6targetE0EEEvS12_
    .private_segment_fixed_size: 0
    .sgpr_count:     0
    .sgpr_spill_count: 0
    .symbol:         _ZN7rocprim17ROCPRIM_400000_NS6detail17trampoline_kernelINS0_13select_configILj256ELj13ELNS0_17block_load_methodE3ELS4_3ELS4_3ELNS0_20block_scan_algorithmE0ELj4294967295EEENS1_25partition_config_selectorILNS1_17partition_subalgoE4EjNS0_10empty_typeEbEEZZNS1_14partition_implILS8_4ELb0ES6_15HIP_vector_typeIjLj2EENS0_17counting_iteratorIjlEEPS9_SG_NS0_5tupleIJPjSI_NS0_16reverse_iteratorISI_EEEEENSH_IJSG_SG_SG_EEES9_SI_JZNS1_25segmented_radix_sort_implINS0_14default_configELb0EPKaPaPKlPlN2at6native12_GLOBAL__N_18offset_tEEE10hipError_tPvRmT1_PNSt15iterator_traitsIS12_E10value_typeET2_T3_PNS13_IS18_E10value_typeET4_jRbjT5_S1E_jjP12ihipStream_tbEUljE_ZNSN_ISO_Lb0ESQ_SR_ST_SU_SY_EESZ_S10_S11_S12_S16_S17_S18_S1B_S1C_jS1D_jS1E_S1E_jjS1G_bEUljE0_EEESZ_S10_S11_S18_S1C_S1E_T6_T7_T9_mT8_S1G_bDpT10_ENKUlT_T0_E_clISt17integral_constantIbLb0EES1T_IbLb1EEEEDaS1P_S1Q_EUlS1P_E_NS1_11comp_targetILNS1_3genE0ELNS1_11target_archE4294967295ELNS1_3gpuE0ELNS1_3repE0EEENS1_30default_config_static_selectorELNS0_4arch9wavefront6targetE0EEEvS12_.kd
    .uniform_work_group_size: 1
    .uses_dynamic_stack: false
    .vgpr_count:     0
    .vgpr_spill_count: 0
    .wavefront_size: 32
    .workgroup_processor_mode: 1
  - .args:
      - .offset:         0
        .size:           184
        .value_kind:     by_value
    .group_segment_fixed_size: 0
    .kernarg_segment_align: 8
    .kernarg_segment_size: 184
    .language:       OpenCL C
    .language_version:
      - 2
      - 0
    .max_flat_workgroup_size: 256
    .name:           _ZN7rocprim17ROCPRIM_400000_NS6detail17trampoline_kernelINS0_13select_configILj256ELj13ELNS0_17block_load_methodE3ELS4_3ELS4_3ELNS0_20block_scan_algorithmE0ELj4294967295EEENS1_25partition_config_selectorILNS1_17partition_subalgoE4EjNS0_10empty_typeEbEEZZNS1_14partition_implILS8_4ELb0ES6_15HIP_vector_typeIjLj2EENS0_17counting_iteratorIjlEEPS9_SG_NS0_5tupleIJPjSI_NS0_16reverse_iteratorISI_EEEEENSH_IJSG_SG_SG_EEES9_SI_JZNS1_25segmented_radix_sort_implINS0_14default_configELb0EPKaPaPKlPlN2at6native12_GLOBAL__N_18offset_tEEE10hipError_tPvRmT1_PNSt15iterator_traitsIS12_E10value_typeET2_T3_PNS13_IS18_E10value_typeET4_jRbjT5_S1E_jjP12ihipStream_tbEUljE_ZNSN_ISO_Lb0ESQ_SR_ST_SU_SY_EESZ_S10_S11_S12_S16_S17_S18_S1B_S1C_jS1D_jS1E_S1E_jjS1G_bEUljE0_EEESZ_S10_S11_S18_S1C_S1E_T6_T7_T9_mT8_S1G_bDpT10_ENKUlT_T0_E_clISt17integral_constantIbLb0EES1T_IbLb1EEEEDaS1P_S1Q_EUlS1P_E_NS1_11comp_targetILNS1_3genE5ELNS1_11target_archE942ELNS1_3gpuE9ELNS1_3repE0EEENS1_30default_config_static_selectorELNS0_4arch9wavefront6targetE0EEEvS12_
    .private_segment_fixed_size: 0
    .sgpr_count:     0
    .sgpr_spill_count: 0
    .symbol:         _ZN7rocprim17ROCPRIM_400000_NS6detail17trampoline_kernelINS0_13select_configILj256ELj13ELNS0_17block_load_methodE3ELS4_3ELS4_3ELNS0_20block_scan_algorithmE0ELj4294967295EEENS1_25partition_config_selectorILNS1_17partition_subalgoE4EjNS0_10empty_typeEbEEZZNS1_14partition_implILS8_4ELb0ES6_15HIP_vector_typeIjLj2EENS0_17counting_iteratorIjlEEPS9_SG_NS0_5tupleIJPjSI_NS0_16reverse_iteratorISI_EEEEENSH_IJSG_SG_SG_EEES9_SI_JZNS1_25segmented_radix_sort_implINS0_14default_configELb0EPKaPaPKlPlN2at6native12_GLOBAL__N_18offset_tEEE10hipError_tPvRmT1_PNSt15iterator_traitsIS12_E10value_typeET2_T3_PNS13_IS18_E10value_typeET4_jRbjT5_S1E_jjP12ihipStream_tbEUljE_ZNSN_ISO_Lb0ESQ_SR_ST_SU_SY_EESZ_S10_S11_S12_S16_S17_S18_S1B_S1C_jS1D_jS1E_S1E_jjS1G_bEUljE0_EEESZ_S10_S11_S18_S1C_S1E_T6_T7_T9_mT8_S1G_bDpT10_ENKUlT_T0_E_clISt17integral_constantIbLb0EES1T_IbLb1EEEEDaS1P_S1Q_EUlS1P_E_NS1_11comp_targetILNS1_3genE5ELNS1_11target_archE942ELNS1_3gpuE9ELNS1_3repE0EEENS1_30default_config_static_selectorELNS0_4arch9wavefront6targetE0EEEvS12_.kd
    .uniform_work_group_size: 1
    .uses_dynamic_stack: false
    .vgpr_count:     0
    .vgpr_spill_count: 0
    .wavefront_size: 32
    .workgroup_processor_mode: 1
  - .args:
      - .offset:         0
        .size:           184
        .value_kind:     by_value
    .group_segment_fixed_size: 0
    .kernarg_segment_align: 8
    .kernarg_segment_size: 184
    .language:       OpenCL C
    .language_version:
      - 2
      - 0
    .max_flat_workgroup_size: 256
    .name:           _ZN7rocprim17ROCPRIM_400000_NS6detail17trampoline_kernelINS0_13select_configILj256ELj13ELNS0_17block_load_methodE3ELS4_3ELS4_3ELNS0_20block_scan_algorithmE0ELj4294967295EEENS1_25partition_config_selectorILNS1_17partition_subalgoE4EjNS0_10empty_typeEbEEZZNS1_14partition_implILS8_4ELb0ES6_15HIP_vector_typeIjLj2EENS0_17counting_iteratorIjlEEPS9_SG_NS0_5tupleIJPjSI_NS0_16reverse_iteratorISI_EEEEENSH_IJSG_SG_SG_EEES9_SI_JZNS1_25segmented_radix_sort_implINS0_14default_configELb0EPKaPaPKlPlN2at6native12_GLOBAL__N_18offset_tEEE10hipError_tPvRmT1_PNSt15iterator_traitsIS12_E10value_typeET2_T3_PNS13_IS18_E10value_typeET4_jRbjT5_S1E_jjP12ihipStream_tbEUljE_ZNSN_ISO_Lb0ESQ_SR_ST_SU_SY_EESZ_S10_S11_S12_S16_S17_S18_S1B_S1C_jS1D_jS1E_S1E_jjS1G_bEUljE0_EEESZ_S10_S11_S18_S1C_S1E_T6_T7_T9_mT8_S1G_bDpT10_ENKUlT_T0_E_clISt17integral_constantIbLb0EES1T_IbLb1EEEEDaS1P_S1Q_EUlS1P_E_NS1_11comp_targetILNS1_3genE4ELNS1_11target_archE910ELNS1_3gpuE8ELNS1_3repE0EEENS1_30default_config_static_selectorELNS0_4arch9wavefront6targetE0EEEvS12_
    .private_segment_fixed_size: 0
    .sgpr_count:     0
    .sgpr_spill_count: 0
    .symbol:         _ZN7rocprim17ROCPRIM_400000_NS6detail17trampoline_kernelINS0_13select_configILj256ELj13ELNS0_17block_load_methodE3ELS4_3ELS4_3ELNS0_20block_scan_algorithmE0ELj4294967295EEENS1_25partition_config_selectorILNS1_17partition_subalgoE4EjNS0_10empty_typeEbEEZZNS1_14partition_implILS8_4ELb0ES6_15HIP_vector_typeIjLj2EENS0_17counting_iteratorIjlEEPS9_SG_NS0_5tupleIJPjSI_NS0_16reverse_iteratorISI_EEEEENSH_IJSG_SG_SG_EEES9_SI_JZNS1_25segmented_radix_sort_implINS0_14default_configELb0EPKaPaPKlPlN2at6native12_GLOBAL__N_18offset_tEEE10hipError_tPvRmT1_PNSt15iterator_traitsIS12_E10value_typeET2_T3_PNS13_IS18_E10value_typeET4_jRbjT5_S1E_jjP12ihipStream_tbEUljE_ZNSN_ISO_Lb0ESQ_SR_ST_SU_SY_EESZ_S10_S11_S12_S16_S17_S18_S1B_S1C_jS1D_jS1E_S1E_jjS1G_bEUljE0_EEESZ_S10_S11_S18_S1C_S1E_T6_T7_T9_mT8_S1G_bDpT10_ENKUlT_T0_E_clISt17integral_constantIbLb0EES1T_IbLb1EEEEDaS1P_S1Q_EUlS1P_E_NS1_11comp_targetILNS1_3genE4ELNS1_11target_archE910ELNS1_3gpuE8ELNS1_3repE0EEENS1_30default_config_static_selectorELNS0_4arch9wavefront6targetE0EEEvS12_.kd
    .uniform_work_group_size: 1
    .uses_dynamic_stack: false
    .vgpr_count:     0
    .vgpr_spill_count: 0
    .wavefront_size: 32
    .workgroup_processor_mode: 1
  - .args:
      - .offset:         0
        .size:           184
        .value_kind:     by_value
    .group_segment_fixed_size: 0
    .kernarg_segment_align: 8
    .kernarg_segment_size: 184
    .language:       OpenCL C
    .language_version:
      - 2
      - 0
    .max_flat_workgroup_size: 256
    .name:           _ZN7rocprim17ROCPRIM_400000_NS6detail17trampoline_kernelINS0_13select_configILj256ELj13ELNS0_17block_load_methodE3ELS4_3ELS4_3ELNS0_20block_scan_algorithmE0ELj4294967295EEENS1_25partition_config_selectorILNS1_17partition_subalgoE4EjNS0_10empty_typeEbEEZZNS1_14partition_implILS8_4ELb0ES6_15HIP_vector_typeIjLj2EENS0_17counting_iteratorIjlEEPS9_SG_NS0_5tupleIJPjSI_NS0_16reverse_iteratorISI_EEEEENSH_IJSG_SG_SG_EEES9_SI_JZNS1_25segmented_radix_sort_implINS0_14default_configELb0EPKaPaPKlPlN2at6native12_GLOBAL__N_18offset_tEEE10hipError_tPvRmT1_PNSt15iterator_traitsIS12_E10value_typeET2_T3_PNS13_IS18_E10value_typeET4_jRbjT5_S1E_jjP12ihipStream_tbEUljE_ZNSN_ISO_Lb0ESQ_SR_ST_SU_SY_EESZ_S10_S11_S12_S16_S17_S18_S1B_S1C_jS1D_jS1E_S1E_jjS1G_bEUljE0_EEESZ_S10_S11_S18_S1C_S1E_T6_T7_T9_mT8_S1G_bDpT10_ENKUlT_T0_E_clISt17integral_constantIbLb0EES1T_IbLb1EEEEDaS1P_S1Q_EUlS1P_E_NS1_11comp_targetILNS1_3genE3ELNS1_11target_archE908ELNS1_3gpuE7ELNS1_3repE0EEENS1_30default_config_static_selectorELNS0_4arch9wavefront6targetE0EEEvS12_
    .private_segment_fixed_size: 0
    .sgpr_count:     0
    .sgpr_spill_count: 0
    .symbol:         _ZN7rocprim17ROCPRIM_400000_NS6detail17trampoline_kernelINS0_13select_configILj256ELj13ELNS0_17block_load_methodE3ELS4_3ELS4_3ELNS0_20block_scan_algorithmE0ELj4294967295EEENS1_25partition_config_selectorILNS1_17partition_subalgoE4EjNS0_10empty_typeEbEEZZNS1_14partition_implILS8_4ELb0ES6_15HIP_vector_typeIjLj2EENS0_17counting_iteratorIjlEEPS9_SG_NS0_5tupleIJPjSI_NS0_16reverse_iteratorISI_EEEEENSH_IJSG_SG_SG_EEES9_SI_JZNS1_25segmented_radix_sort_implINS0_14default_configELb0EPKaPaPKlPlN2at6native12_GLOBAL__N_18offset_tEEE10hipError_tPvRmT1_PNSt15iterator_traitsIS12_E10value_typeET2_T3_PNS13_IS18_E10value_typeET4_jRbjT5_S1E_jjP12ihipStream_tbEUljE_ZNSN_ISO_Lb0ESQ_SR_ST_SU_SY_EESZ_S10_S11_S12_S16_S17_S18_S1B_S1C_jS1D_jS1E_S1E_jjS1G_bEUljE0_EEESZ_S10_S11_S18_S1C_S1E_T6_T7_T9_mT8_S1G_bDpT10_ENKUlT_T0_E_clISt17integral_constantIbLb0EES1T_IbLb1EEEEDaS1P_S1Q_EUlS1P_E_NS1_11comp_targetILNS1_3genE3ELNS1_11target_archE908ELNS1_3gpuE7ELNS1_3repE0EEENS1_30default_config_static_selectorELNS0_4arch9wavefront6targetE0EEEvS12_.kd
    .uniform_work_group_size: 1
    .uses_dynamic_stack: false
    .vgpr_count:     0
    .vgpr_spill_count: 0
    .wavefront_size: 32
    .workgroup_processor_mode: 1
  - .args:
      - .offset:         0
        .size:           184
        .value_kind:     by_value
    .group_segment_fixed_size: 0
    .kernarg_segment_align: 8
    .kernarg_segment_size: 184
    .language:       OpenCL C
    .language_version:
      - 2
      - 0
    .max_flat_workgroup_size: 256
    .name:           _ZN7rocprim17ROCPRIM_400000_NS6detail17trampoline_kernelINS0_13select_configILj256ELj13ELNS0_17block_load_methodE3ELS4_3ELS4_3ELNS0_20block_scan_algorithmE0ELj4294967295EEENS1_25partition_config_selectorILNS1_17partition_subalgoE4EjNS0_10empty_typeEbEEZZNS1_14partition_implILS8_4ELb0ES6_15HIP_vector_typeIjLj2EENS0_17counting_iteratorIjlEEPS9_SG_NS0_5tupleIJPjSI_NS0_16reverse_iteratorISI_EEEEENSH_IJSG_SG_SG_EEES9_SI_JZNS1_25segmented_radix_sort_implINS0_14default_configELb0EPKaPaPKlPlN2at6native12_GLOBAL__N_18offset_tEEE10hipError_tPvRmT1_PNSt15iterator_traitsIS12_E10value_typeET2_T3_PNS13_IS18_E10value_typeET4_jRbjT5_S1E_jjP12ihipStream_tbEUljE_ZNSN_ISO_Lb0ESQ_SR_ST_SU_SY_EESZ_S10_S11_S12_S16_S17_S18_S1B_S1C_jS1D_jS1E_S1E_jjS1G_bEUljE0_EEESZ_S10_S11_S18_S1C_S1E_T6_T7_T9_mT8_S1G_bDpT10_ENKUlT_T0_E_clISt17integral_constantIbLb0EES1T_IbLb1EEEEDaS1P_S1Q_EUlS1P_E_NS1_11comp_targetILNS1_3genE2ELNS1_11target_archE906ELNS1_3gpuE6ELNS1_3repE0EEENS1_30default_config_static_selectorELNS0_4arch9wavefront6targetE0EEEvS12_
    .private_segment_fixed_size: 0
    .sgpr_count:     0
    .sgpr_spill_count: 0
    .symbol:         _ZN7rocprim17ROCPRIM_400000_NS6detail17trampoline_kernelINS0_13select_configILj256ELj13ELNS0_17block_load_methodE3ELS4_3ELS4_3ELNS0_20block_scan_algorithmE0ELj4294967295EEENS1_25partition_config_selectorILNS1_17partition_subalgoE4EjNS0_10empty_typeEbEEZZNS1_14partition_implILS8_4ELb0ES6_15HIP_vector_typeIjLj2EENS0_17counting_iteratorIjlEEPS9_SG_NS0_5tupleIJPjSI_NS0_16reverse_iteratorISI_EEEEENSH_IJSG_SG_SG_EEES9_SI_JZNS1_25segmented_radix_sort_implINS0_14default_configELb0EPKaPaPKlPlN2at6native12_GLOBAL__N_18offset_tEEE10hipError_tPvRmT1_PNSt15iterator_traitsIS12_E10value_typeET2_T3_PNS13_IS18_E10value_typeET4_jRbjT5_S1E_jjP12ihipStream_tbEUljE_ZNSN_ISO_Lb0ESQ_SR_ST_SU_SY_EESZ_S10_S11_S12_S16_S17_S18_S1B_S1C_jS1D_jS1E_S1E_jjS1G_bEUljE0_EEESZ_S10_S11_S18_S1C_S1E_T6_T7_T9_mT8_S1G_bDpT10_ENKUlT_T0_E_clISt17integral_constantIbLb0EES1T_IbLb1EEEEDaS1P_S1Q_EUlS1P_E_NS1_11comp_targetILNS1_3genE2ELNS1_11target_archE906ELNS1_3gpuE6ELNS1_3repE0EEENS1_30default_config_static_selectorELNS0_4arch9wavefront6targetE0EEEvS12_.kd
    .uniform_work_group_size: 1
    .uses_dynamic_stack: false
    .vgpr_count:     0
    .vgpr_spill_count: 0
    .wavefront_size: 32
    .workgroup_processor_mode: 1
  - .args:
      - .offset:         0
        .size:           184
        .value_kind:     by_value
    .group_segment_fixed_size: 13328
    .kernarg_segment_align: 8
    .kernarg_segment_size: 184
    .language:       OpenCL C
    .language_version:
      - 2
      - 0
    .max_flat_workgroup_size: 256
    .name:           _ZN7rocprim17ROCPRIM_400000_NS6detail17trampoline_kernelINS0_13select_configILj256ELj13ELNS0_17block_load_methodE3ELS4_3ELS4_3ELNS0_20block_scan_algorithmE0ELj4294967295EEENS1_25partition_config_selectorILNS1_17partition_subalgoE4EjNS0_10empty_typeEbEEZZNS1_14partition_implILS8_4ELb0ES6_15HIP_vector_typeIjLj2EENS0_17counting_iteratorIjlEEPS9_SG_NS0_5tupleIJPjSI_NS0_16reverse_iteratorISI_EEEEENSH_IJSG_SG_SG_EEES9_SI_JZNS1_25segmented_radix_sort_implINS0_14default_configELb0EPKaPaPKlPlN2at6native12_GLOBAL__N_18offset_tEEE10hipError_tPvRmT1_PNSt15iterator_traitsIS12_E10value_typeET2_T3_PNS13_IS18_E10value_typeET4_jRbjT5_S1E_jjP12ihipStream_tbEUljE_ZNSN_ISO_Lb0ESQ_SR_ST_SU_SY_EESZ_S10_S11_S12_S16_S17_S18_S1B_S1C_jS1D_jS1E_S1E_jjS1G_bEUljE0_EEESZ_S10_S11_S18_S1C_S1E_T6_T7_T9_mT8_S1G_bDpT10_ENKUlT_T0_E_clISt17integral_constantIbLb0EES1T_IbLb1EEEEDaS1P_S1Q_EUlS1P_E_NS1_11comp_targetILNS1_3genE10ELNS1_11target_archE1200ELNS1_3gpuE4ELNS1_3repE0EEENS1_30default_config_static_selectorELNS0_4arch9wavefront6targetE0EEEvS12_
    .private_segment_fixed_size: 0
    .sgpr_count:     57
    .sgpr_spill_count: 0
    .symbol:         _ZN7rocprim17ROCPRIM_400000_NS6detail17trampoline_kernelINS0_13select_configILj256ELj13ELNS0_17block_load_methodE3ELS4_3ELS4_3ELNS0_20block_scan_algorithmE0ELj4294967295EEENS1_25partition_config_selectorILNS1_17partition_subalgoE4EjNS0_10empty_typeEbEEZZNS1_14partition_implILS8_4ELb0ES6_15HIP_vector_typeIjLj2EENS0_17counting_iteratorIjlEEPS9_SG_NS0_5tupleIJPjSI_NS0_16reverse_iteratorISI_EEEEENSH_IJSG_SG_SG_EEES9_SI_JZNS1_25segmented_radix_sort_implINS0_14default_configELb0EPKaPaPKlPlN2at6native12_GLOBAL__N_18offset_tEEE10hipError_tPvRmT1_PNSt15iterator_traitsIS12_E10value_typeET2_T3_PNS13_IS18_E10value_typeET4_jRbjT5_S1E_jjP12ihipStream_tbEUljE_ZNSN_ISO_Lb0ESQ_SR_ST_SU_SY_EESZ_S10_S11_S12_S16_S17_S18_S1B_S1C_jS1D_jS1E_S1E_jjS1G_bEUljE0_EEESZ_S10_S11_S18_S1C_S1E_T6_T7_T9_mT8_S1G_bDpT10_ENKUlT_T0_E_clISt17integral_constantIbLb0EES1T_IbLb1EEEEDaS1P_S1Q_EUlS1P_E_NS1_11comp_targetILNS1_3genE10ELNS1_11target_archE1200ELNS1_3gpuE4ELNS1_3repE0EEENS1_30default_config_static_selectorELNS0_4arch9wavefront6targetE0EEEvS12_.kd
    .uniform_work_group_size: 1
    .uses_dynamic_stack: false
    .vgpr_count:     98
    .vgpr_spill_count: 0
    .wavefront_size: 32
    .workgroup_processor_mode: 1
  - .args:
      - .offset:         0
        .size:           184
        .value_kind:     by_value
    .group_segment_fixed_size: 0
    .kernarg_segment_align: 8
    .kernarg_segment_size: 184
    .language:       OpenCL C
    .language_version:
      - 2
      - 0
    .max_flat_workgroup_size: 256
    .name:           _ZN7rocprim17ROCPRIM_400000_NS6detail17trampoline_kernelINS0_13select_configILj256ELj13ELNS0_17block_load_methodE3ELS4_3ELS4_3ELNS0_20block_scan_algorithmE0ELj4294967295EEENS1_25partition_config_selectorILNS1_17partition_subalgoE4EjNS0_10empty_typeEbEEZZNS1_14partition_implILS8_4ELb0ES6_15HIP_vector_typeIjLj2EENS0_17counting_iteratorIjlEEPS9_SG_NS0_5tupleIJPjSI_NS0_16reverse_iteratorISI_EEEEENSH_IJSG_SG_SG_EEES9_SI_JZNS1_25segmented_radix_sort_implINS0_14default_configELb0EPKaPaPKlPlN2at6native12_GLOBAL__N_18offset_tEEE10hipError_tPvRmT1_PNSt15iterator_traitsIS12_E10value_typeET2_T3_PNS13_IS18_E10value_typeET4_jRbjT5_S1E_jjP12ihipStream_tbEUljE_ZNSN_ISO_Lb0ESQ_SR_ST_SU_SY_EESZ_S10_S11_S12_S16_S17_S18_S1B_S1C_jS1D_jS1E_S1E_jjS1G_bEUljE0_EEESZ_S10_S11_S18_S1C_S1E_T6_T7_T9_mT8_S1G_bDpT10_ENKUlT_T0_E_clISt17integral_constantIbLb0EES1T_IbLb1EEEEDaS1P_S1Q_EUlS1P_E_NS1_11comp_targetILNS1_3genE9ELNS1_11target_archE1100ELNS1_3gpuE3ELNS1_3repE0EEENS1_30default_config_static_selectorELNS0_4arch9wavefront6targetE0EEEvS12_
    .private_segment_fixed_size: 0
    .sgpr_count:     0
    .sgpr_spill_count: 0
    .symbol:         _ZN7rocprim17ROCPRIM_400000_NS6detail17trampoline_kernelINS0_13select_configILj256ELj13ELNS0_17block_load_methodE3ELS4_3ELS4_3ELNS0_20block_scan_algorithmE0ELj4294967295EEENS1_25partition_config_selectorILNS1_17partition_subalgoE4EjNS0_10empty_typeEbEEZZNS1_14partition_implILS8_4ELb0ES6_15HIP_vector_typeIjLj2EENS0_17counting_iteratorIjlEEPS9_SG_NS0_5tupleIJPjSI_NS0_16reverse_iteratorISI_EEEEENSH_IJSG_SG_SG_EEES9_SI_JZNS1_25segmented_radix_sort_implINS0_14default_configELb0EPKaPaPKlPlN2at6native12_GLOBAL__N_18offset_tEEE10hipError_tPvRmT1_PNSt15iterator_traitsIS12_E10value_typeET2_T3_PNS13_IS18_E10value_typeET4_jRbjT5_S1E_jjP12ihipStream_tbEUljE_ZNSN_ISO_Lb0ESQ_SR_ST_SU_SY_EESZ_S10_S11_S12_S16_S17_S18_S1B_S1C_jS1D_jS1E_S1E_jjS1G_bEUljE0_EEESZ_S10_S11_S18_S1C_S1E_T6_T7_T9_mT8_S1G_bDpT10_ENKUlT_T0_E_clISt17integral_constantIbLb0EES1T_IbLb1EEEEDaS1P_S1Q_EUlS1P_E_NS1_11comp_targetILNS1_3genE9ELNS1_11target_archE1100ELNS1_3gpuE3ELNS1_3repE0EEENS1_30default_config_static_selectorELNS0_4arch9wavefront6targetE0EEEvS12_.kd
    .uniform_work_group_size: 1
    .uses_dynamic_stack: false
    .vgpr_count:     0
    .vgpr_spill_count: 0
    .wavefront_size: 32
    .workgroup_processor_mode: 1
  - .args:
      - .offset:         0
        .size:           184
        .value_kind:     by_value
    .group_segment_fixed_size: 0
    .kernarg_segment_align: 8
    .kernarg_segment_size: 184
    .language:       OpenCL C
    .language_version:
      - 2
      - 0
    .max_flat_workgroup_size: 256
    .name:           _ZN7rocprim17ROCPRIM_400000_NS6detail17trampoline_kernelINS0_13select_configILj256ELj13ELNS0_17block_load_methodE3ELS4_3ELS4_3ELNS0_20block_scan_algorithmE0ELj4294967295EEENS1_25partition_config_selectorILNS1_17partition_subalgoE4EjNS0_10empty_typeEbEEZZNS1_14partition_implILS8_4ELb0ES6_15HIP_vector_typeIjLj2EENS0_17counting_iteratorIjlEEPS9_SG_NS0_5tupleIJPjSI_NS0_16reverse_iteratorISI_EEEEENSH_IJSG_SG_SG_EEES9_SI_JZNS1_25segmented_radix_sort_implINS0_14default_configELb0EPKaPaPKlPlN2at6native12_GLOBAL__N_18offset_tEEE10hipError_tPvRmT1_PNSt15iterator_traitsIS12_E10value_typeET2_T3_PNS13_IS18_E10value_typeET4_jRbjT5_S1E_jjP12ihipStream_tbEUljE_ZNSN_ISO_Lb0ESQ_SR_ST_SU_SY_EESZ_S10_S11_S12_S16_S17_S18_S1B_S1C_jS1D_jS1E_S1E_jjS1G_bEUljE0_EEESZ_S10_S11_S18_S1C_S1E_T6_T7_T9_mT8_S1G_bDpT10_ENKUlT_T0_E_clISt17integral_constantIbLb0EES1T_IbLb1EEEEDaS1P_S1Q_EUlS1P_E_NS1_11comp_targetILNS1_3genE8ELNS1_11target_archE1030ELNS1_3gpuE2ELNS1_3repE0EEENS1_30default_config_static_selectorELNS0_4arch9wavefront6targetE0EEEvS12_
    .private_segment_fixed_size: 0
    .sgpr_count:     0
    .sgpr_spill_count: 0
    .symbol:         _ZN7rocprim17ROCPRIM_400000_NS6detail17trampoline_kernelINS0_13select_configILj256ELj13ELNS0_17block_load_methodE3ELS4_3ELS4_3ELNS0_20block_scan_algorithmE0ELj4294967295EEENS1_25partition_config_selectorILNS1_17partition_subalgoE4EjNS0_10empty_typeEbEEZZNS1_14partition_implILS8_4ELb0ES6_15HIP_vector_typeIjLj2EENS0_17counting_iteratorIjlEEPS9_SG_NS0_5tupleIJPjSI_NS0_16reverse_iteratorISI_EEEEENSH_IJSG_SG_SG_EEES9_SI_JZNS1_25segmented_radix_sort_implINS0_14default_configELb0EPKaPaPKlPlN2at6native12_GLOBAL__N_18offset_tEEE10hipError_tPvRmT1_PNSt15iterator_traitsIS12_E10value_typeET2_T3_PNS13_IS18_E10value_typeET4_jRbjT5_S1E_jjP12ihipStream_tbEUljE_ZNSN_ISO_Lb0ESQ_SR_ST_SU_SY_EESZ_S10_S11_S12_S16_S17_S18_S1B_S1C_jS1D_jS1E_S1E_jjS1G_bEUljE0_EEESZ_S10_S11_S18_S1C_S1E_T6_T7_T9_mT8_S1G_bDpT10_ENKUlT_T0_E_clISt17integral_constantIbLb0EES1T_IbLb1EEEEDaS1P_S1Q_EUlS1P_E_NS1_11comp_targetILNS1_3genE8ELNS1_11target_archE1030ELNS1_3gpuE2ELNS1_3repE0EEENS1_30default_config_static_selectorELNS0_4arch9wavefront6targetE0EEEvS12_.kd
    .uniform_work_group_size: 1
    .uses_dynamic_stack: false
    .vgpr_count:     0
    .vgpr_spill_count: 0
    .wavefront_size: 32
    .workgroup_processor_mode: 1
  - .args:
      - .offset:         0
        .size:           144
        .value_kind:     by_value
    .group_segment_fixed_size: 0
    .kernarg_segment_align: 8
    .kernarg_segment_size: 144
    .language:       OpenCL C
    .language_version:
      - 2
      - 0
    .max_flat_workgroup_size: 256
    .name:           _ZN7rocprim17ROCPRIM_400000_NS6detail17trampoline_kernelINS0_13select_configILj256ELj13ELNS0_17block_load_methodE3ELS4_3ELS4_3ELNS0_20block_scan_algorithmE0ELj4294967295EEENS1_25partition_config_selectorILNS1_17partition_subalgoE3EjNS0_10empty_typeEbEEZZNS1_14partition_implILS8_3ELb0ES6_jNS0_17counting_iteratorIjlEEPS9_SE_NS0_5tupleIJPjSE_EEENSF_IJSE_SE_EEES9_SG_JZNS1_25segmented_radix_sort_implINS0_14default_configELb0EPKaPaPKlPlN2at6native12_GLOBAL__N_18offset_tEEE10hipError_tPvRmT1_PNSt15iterator_traitsISY_E10value_typeET2_T3_PNSZ_IS14_E10value_typeET4_jRbjT5_S1A_jjP12ihipStream_tbEUljE_EEESV_SW_SX_S14_S18_S1A_T6_T7_T9_mT8_S1C_bDpT10_ENKUlT_T0_E_clISt17integral_constantIbLb0EES1P_EEDaS1K_S1L_EUlS1K_E_NS1_11comp_targetILNS1_3genE0ELNS1_11target_archE4294967295ELNS1_3gpuE0ELNS1_3repE0EEENS1_30default_config_static_selectorELNS0_4arch9wavefront6targetE0EEEvSY_
    .private_segment_fixed_size: 0
    .sgpr_count:     0
    .sgpr_spill_count: 0
    .symbol:         _ZN7rocprim17ROCPRIM_400000_NS6detail17trampoline_kernelINS0_13select_configILj256ELj13ELNS0_17block_load_methodE3ELS4_3ELS4_3ELNS0_20block_scan_algorithmE0ELj4294967295EEENS1_25partition_config_selectorILNS1_17partition_subalgoE3EjNS0_10empty_typeEbEEZZNS1_14partition_implILS8_3ELb0ES6_jNS0_17counting_iteratorIjlEEPS9_SE_NS0_5tupleIJPjSE_EEENSF_IJSE_SE_EEES9_SG_JZNS1_25segmented_radix_sort_implINS0_14default_configELb0EPKaPaPKlPlN2at6native12_GLOBAL__N_18offset_tEEE10hipError_tPvRmT1_PNSt15iterator_traitsISY_E10value_typeET2_T3_PNSZ_IS14_E10value_typeET4_jRbjT5_S1A_jjP12ihipStream_tbEUljE_EEESV_SW_SX_S14_S18_S1A_T6_T7_T9_mT8_S1C_bDpT10_ENKUlT_T0_E_clISt17integral_constantIbLb0EES1P_EEDaS1K_S1L_EUlS1K_E_NS1_11comp_targetILNS1_3genE0ELNS1_11target_archE4294967295ELNS1_3gpuE0ELNS1_3repE0EEENS1_30default_config_static_selectorELNS0_4arch9wavefront6targetE0EEEvSY_.kd
    .uniform_work_group_size: 1
    .uses_dynamic_stack: false
    .vgpr_count:     0
    .vgpr_spill_count: 0
    .wavefront_size: 32
    .workgroup_processor_mode: 1
  - .args:
      - .offset:         0
        .size:           144
        .value_kind:     by_value
    .group_segment_fixed_size: 0
    .kernarg_segment_align: 8
    .kernarg_segment_size: 144
    .language:       OpenCL C
    .language_version:
      - 2
      - 0
    .max_flat_workgroup_size: 256
    .name:           _ZN7rocprim17ROCPRIM_400000_NS6detail17trampoline_kernelINS0_13select_configILj256ELj13ELNS0_17block_load_methodE3ELS4_3ELS4_3ELNS0_20block_scan_algorithmE0ELj4294967295EEENS1_25partition_config_selectorILNS1_17partition_subalgoE3EjNS0_10empty_typeEbEEZZNS1_14partition_implILS8_3ELb0ES6_jNS0_17counting_iteratorIjlEEPS9_SE_NS0_5tupleIJPjSE_EEENSF_IJSE_SE_EEES9_SG_JZNS1_25segmented_radix_sort_implINS0_14default_configELb0EPKaPaPKlPlN2at6native12_GLOBAL__N_18offset_tEEE10hipError_tPvRmT1_PNSt15iterator_traitsISY_E10value_typeET2_T3_PNSZ_IS14_E10value_typeET4_jRbjT5_S1A_jjP12ihipStream_tbEUljE_EEESV_SW_SX_S14_S18_S1A_T6_T7_T9_mT8_S1C_bDpT10_ENKUlT_T0_E_clISt17integral_constantIbLb0EES1P_EEDaS1K_S1L_EUlS1K_E_NS1_11comp_targetILNS1_3genE5ELNS1_11target_archE942ELNS1_3gpuE9ELNS1_3repE0EEENS1_30default_config_static_selectorELNS0_4arch9wavefront6targetE0EEEvSY_
    .private_segment_fixed_size: 0
    .sgpr_count:     0
    .sgpr_spill_count: 0
    .symbol:         _ZN7rocprim17ROCPRIM_400000_NS6detail17trampoline_kernelINS0_13select_configILj256ELj13ELNS0_17block_load_methodE3ELS4_3ELS4_3ELNS0_20block_scan_algorithmE0ELj4294967295EEENS1_25partition_config_selectorILNS1_17partition_subalgoE3EjNS0_10empty_typeEbEEZZNS1_14partition_implILS8_3ELb0ES6_jNS0_17counting_iteratorIjlEEPS9_SE_NS0_5tupleIJPjSE_EEENSF_IJSE_SE_EEES9_SG_JZNS1_25segmented_radix_sort_implINS0_14default_configELb0EPKaPaPKlPlN2at6native12_GLOBAL__N_18offset_tEEE10hipError_tPvRmT1_PNSt15iterator_traitsISY_E10value_typeET2_T3_PNSZ_IS14_E10value_typeET4_jRbjT5_S1A_jjP12ihipStream_tbEUljE_EEESV_SW_SX_S14_S18_S1A_T6_T7_T9_mT8_S1C_bDpT10_ENKUlT_T0_E_clISt17integral_constantIbLb0EES1P_EEDaS1K_S1L_EUlS1K_E_NS1_11comp_targetILNS1_3genE5ELNS1_11target_archE942ELNS1_3gpuE9ELNS1_3repE0EEENS1_30default_config_static_selectorELNS0_4arch9wavefront6targetE0EEEvSY_.kd
    .uniform_work_group_size: 1
    .uses_dynamic_stack: false
    .vgpr_count:     0
    .vgpr_spill_count: 0
    .wavefront_size: 32
    .workgroup_processor_mode: 1
  - .args:
      - .offset:         0
        .size:           144
        .value_kind:     by_value
    .group_segment_fixed_size: 0
    .kernarg_segment_align: 8
    .kernarg_segment_size: 144
    .language:       OpenCL C
    .language_version:
      - 2
      - 0
    .max_flat_workgroup_size: 256
    .name:           _ZN7rocprim17ROCPRIM_400000_NS6detail17trampoline_kernelINS0_13select_configILj256ELj13ELNS0_17block_load_methodE3ELS4_3ELS4_3ELNS0_20block_scan_algorithmE0ELj4294967295EEENS1_25partition_config_selectorILNS1_17partition_subalgoE3EjNS0_10empty_typeEbEEZZNS1_14partition_implILS8_3ELb0ES6_jNS0_17counting_iteratorIjlEEPS9_SE_NS0_5tupleIJPjSE_EEENSF_IJSE_SE_EEES9_SG_JZNS1_25segmented_radix_sort_implINS0_14default_configELb0EPKaPaPKlPlN2at6native12_GLOBAL__N_18offset_tEEE10hipError_tPvRmT1_PNSt15iterator_traitsISY_E10value_typeET2_T3_PNSZ_IS14_E10value_typeET4_jRbjT5_S1A_jjP12ihipStream_tbEUljE_EEESV_SW_SX_S14_S18_S1A_T6_T7_T9_mT8_S1C_bDpT10_ENKUlT_T0_E_clISt17integral_constantIbLb0EES1P_EEDaS1K_S1L_EUlS1K_E_NS1_11comp_targetILNS1_3genE4ELNS1_11target_archE910ELNS1_3gpuE8ELNS1_3repE0EEENS1_30default_config_static_selectorELNS0_4arch9wavefront6targetE0EEEvSY_
    .private_segment_fixed_size: 0
    .sgpr_count:     0
    .sgpr_spill_count: 0
    .symbol:         _ZN7rocprim17ROCPRIM_400000_NS6detail17trampoline_kernelINS0_13select_configILj256ELj13ELNS0_17block_load_methodE3ELS4_3ELS4_3ELNS0_20block_scan_algorithmE0ELj4294967295EEENS1_25partition_config_selectorILNS1_17partition_subalgoE3EjNS0_10empty_typeEbEEZZNS1_14partition_implILS8_3ELb0ES6_jNS0_17counting_iteratorIjlEEPS9_SE_NS0_5tupleIJPjSE_EEENSF_IJSE_SE_EEES9_SG_JZNS1_25segmented_radix_sort_implINS0_14default_configELb0EPKaPaPKlPlN2at6native12_GLOBAL__N_18offset_tEEE10hipError_tPvRmT1_PNSt15iterator_traitsISY_E10value_typeET2_T3_PNSZ_IS14_E10value_typeET4_jRbjT5_S1A_jjP12ihipStream_tbEUljE_EEESV_SW_SX_S14_S18_S1A_T6_T7_T9_mT8_S1C_bDpT10_ENKUlT_T0_E_clISt17integral_constantIbLb0EES1P_EEDaS1K_S1L_EUlS1K_E_NS1_11comp_targetILNS1_3genE4ELNS1_11target_archE910ELNS1_3gpuE8ELNS1_3repE0EEENS1_30default_config_static_selectorELNS0_4arch9wavefront6targetE0EEEvSY_.kd
    .uniform_work_group_size: 1
    .uses_dynamic_stack: false
    .vgpr_count:     0
    .vgpr_spill_count: 0
    .wavefront_size: 32
    .workgroup_processor_mode: 1
  - .args:
      - .offset:         0
        .size:           144
        .value_kind:     by_value
    .group_segment_fixed_size: 0
    .kernarg_segment_align: 8
    .kernarg_segment_size: 144
    .language:       OpenCL C
    .language_version:
      - 2
      - 0
    .max_flat_workgroup_size: 256
    .name:           _ZN7rocprim17ROCPRIM_400000_NS6detail17trampoline_kernelINS0_13select_configILj256ELj13ELNS0_17block_load_methodE3ELS4_3ELS4_3ELNS0_20block_scan_algorithmE0ELj4294967295EEENS1_25partition_config_selectorILNS1_17partition_subalgoE3EjNS0_10empty_typeEbEEZZNS1_14partition_implILS8_3ELb0ES6_jNS0_17counting_iteratorIjlEEPS9_SE_NS0_5tupleIJPjSE_EEENSF_IJSE_SE_EEES9_SG_JZNS1_25segmented_radix_sort_implINS0_14default_configELb0EPKaPaPKlPlN2at6native12_GLOBAL__N_18offset_tEEE10hipError_tPvRmT1_PNSt15iterator_traitsISY_E10value_typeET2_T3_PNSZ_IS14_E10value_typeET4_jRbjT5_S1A_jjP12ihipStream_tbEUljE_EEESV_SW_SX_S14_S18_S1A_T6_T7_T9_mT8_S1C_bDpT10_ENKUlT_T0_E_clISt17integral_constantIbLb0EES1P_EEDaS1K_S1L_EUlS1K_E_NS1_11comp_targetILNS1_3genE3ELNS1_11target_archE908ELNS1_3gpuE7ELNS1_3repE0EEENS1_30default_config_static_selectorELNS0_4arch9wavefront6targetE0EEEvSY_
    .private_segment_fixed_size: 0
    .sgpr_count:     0
    .sgpr_spill_count: 0
    .symbol:         _ZN7rocprim17ROCPRIM_400000_NS6detail17trampoline_kernelINS0_13select_configILj256ELj13ELNS0_17block_load_methodE3ELS4_3ELS4_3ELNS0_20block_scan_algorithmE0ELj4294967295EEENS1_25partition_config_selectorILNS1_17partition_subalgoE3EjNS0_10empty_typeEbEEZZNS1_14partition_implILS8_3ELb0ES6_jNS0_17counting_iteratorIjlEEPS9_SE_NS0_5tupleIJPjSE_EEENSF_IJSE_SE_EEES9_SG_JZNS1_25segmented_radix_sort_implINS0_14default_configELb0EPKaPaPKlPlN2at6native12_GLOBAL__N_18offset_tEEE10hipError_tPvRmT1_PNSt15iterator_traitsISY_E10value_typeET2_T3_PNSZ_IS14_E10value_typeET4_jRbjT5_S1A_jjP12ihipStream_tbEUljE_EEESV_SW_SX_S14_S18_S1A_T6_T7_T9_mT8_S1C_bDpT10_ENKUlT_T0_E_clISt17integral_constantIbLb0EES1P_EEDaS1K_S1L_EUlS1K_E_NS1_11comp_targetILNS1_3genE3ELNS1_11target_archE908ELNS1_3gpuE7ELNS1_3repE0EEENS1_30default_config_static_selectorELNS0_4arch9wavefront6targetE0EEEvSY_.kd
    .uniform_work_group_size: 1
    .uses_dynamic_stack: false
    .vgpr_count:     0
    .vgpr_spill_count: 0
    .wavefront_size: 32
    .workgroup_processor_mode: 1
  - .args:
      - .offset:         0
        .size:           144
        .value_kind:     by_value
    .group_segment_fixed_size: 0
    .kernarg_segment_align: 8
    .kernarg_segment_size: 144
    .language:       OpenCL C
    .language_version:
      - 2
      - 0
    .max_flat_workgroup_size: 256
    .name:           _ZN7rocprim17ROCPRIM_400000_NS6detail17trampoline_kernelINS0_13select_configILj256ELj13ELNS0_17block_load_methodE3ELS4_3ELS4_3ELNS0_20block_scan_algorithmE0ELj4294967295EEENS1_25partition_config_selectorILNS1_17partition_subalgoE3EjNS0_10empty_typeEbEEZZNS1_14partition_implILS8_3ELb0ES6_jNS0_17counting_iteratorIjlEEPS9_SE_NS0_5tupleIJPjSE_EEENSF_IJSE_SE_EEES9_SG_JZNS1_25segmented_radix_sort_implINS0_14default_configELb0EPKaPaPKlPlN2at6native12_GLOBAL__N_18offset_tEEE10hipError_tPvRmT1_PNSt15iterator_traitsISY_E10value_typeET2_T3_PNSZ_IS14_E10value_typeET4_jRbjT5_S1A_jjP12ihipStream_tbEUljE_EEESV_SW_SX_S14_S18_S1A_T6_T7_T9_mT8_S1C_bDpT10_ENKUlT_T0_E_clISt17integral_constantIbLb0EES1P_EEDaS1K_S1L_EUlS1K_E_NS1_11comp_targetILNS1_3genE2ELNS1_11target_archE906ELNS1_3gpuE6ELNS1_3repE0EEENS1_30default_config_static_selectorELNS0_4arch9wavefront6targetE0EEEvSY_
    .private_segment_fixed_size: 0
    .sgpr_count:     0
    .sgpr_spill_count: 0
    .symbol:         _ZN7rocprim17ROCPRIM_400000_NS6detail17trampoline_kernelINS0_13select_configILj256ELj13ELNS0_17block_load_methodE3ELS4_3ELS4_3ELNS0_20block_scan_algorithmE0ELj4294967295EEENS1_25partition_config_selectorILNS1_17partition_subalgoE3EjNS0_10empty_typeEbEEZZNS1_14partition_implILS8_3ELb0ES6_jNS0_17counting_iteratorIjlEEPS9_SE_NS0_5tupleIJPjSE_EEENSF_IJSE_SE_EEES9_SG_JZNS1_25segmented_radix_sort_implINS0_14default_configELb0EPKaPaPKlPlN2at6native12_GLOBAL__N_18offset_tEEE10hipError_tPvRmT1_PNSt15iterator_traitsISY_E10value_typeET2_T3_PNSZ_IS14_E10value_typeET4_jRbjT5_S1A_jjP12ihipStream_tbEUljE_EEESV_SW_SX_S14_S18_S1A_T6_T7_T9_mT8_S1C_bDpT10_ENKUlT_T0_E_clISt17integral_constantIbLb0EES1P_EEDaS1K_S1L_EUlS1K_E_NS1_11comp_targetILNS1_3genE2ELNS1_11target_archE906ELNS1_3gpuE6ELNS1_3repE0EEENS1_30default_config_static_selectorELNS0_4arch9wavefront6targetE0EEEvSY_.kd
    .uniform_work_group_size: 1
    .uses_dynamic_stack: false
    .vgpr_count:     0
    .vgpr_spill_count: 0
    .wavefront_size: 32
    .workgroup_processor_mode: 1
  - .args:
      - .offset:         0
        .size:           144
        .value_kind:     by_value
    .group_segment_fixed_size: 13320
    .kernarg_segment_align: 8
    .kernarg_segment_size: 144
    .language:       OpenCL C
    .language_version:
      - 2
      - 0
    .max_flat_workgroup_size: 256
    .name:           _ZN7rocprim17ROCPRIM_400000_NS6detail17trampoline_kernelINS0_13select_configILj256ELj13ELNS0_17block_load_methodE3ELS4_3ELS4_3ELNS0_20block_scan_algorithmE0ELj4294967295EEENS1_25partition_config_selectorILNS1_17partition_subalgoE3EjNS0_10empty_typeEbEEZZNS1_14partition_implILS8_3ELb0ES6_jNS0_17counting_iteratorIjlEEPS9_SE_NS0_5tupleIJPjSE_EEENSF_IJSE_SE_EEES9_SG_JZNS1_25segmented_radix_sort_implINS0_14default_configELb0EPKaPaPKlPlN2at6native12_GLOBAL__N_18offset_tEEE10hipError_tPvRmT1_PNSt15iterator_traitsISY_E10value_typeET2_T3_PNSZ_IS14_E10value_typeET4_jRbjT5_S1A_jjP12ihipStream_tbEUljE_EEESV_SW_SX_S14_S18_S1A_T6_T7_T9_mT8_S1C_bDpT10_ENKUlT_T0_E_clISt17integral_constantIbLb0EES1P_EEDaS1K_S1L_EUlS1K_E_NS1_11comp_targetILNS1_3genE10ELNS1_11target_archE1200ELNS1_3gpuE4ELNS1_3repE0EEENS1_30default_config_static_selectorELNS0_4arch9wavefront6targetE0EEEvSY_
    .private_segment_fixed_size: 0
    .sgpr_count:     28
    .sgpr_spill_count: 0
    .symbol:         _ZN7rocprim17ROCPRIM_400000_NS6detail17trampoline_kernelINS0_13select_configILj256ELj13ELNS0_17block_load_methodE3ELS4_3ELS4_3ELNS0_20block_scan_algorithmE0ELj4294967295EEENS1_25partition_config_selectorILNS1_17partition_subalgoE3EjNS0_10empty_typeEbEEZZNS1_14partition_implILS8_3ELb0ES6_jNS0_17counting_iteratorIjlEEPS9_SE_NS0_5tupleIJPjSE_EEENSF_IJSE_SE_EEES9_SG_JZNS1_25segmented_radix_sort_implINS0_14default_configELb0EPKaPaPKlPlN2at6native12_GLOBAL__N_18offset_tEEE10hipError_tPvRmT1_PNSt15iterator_traitsISY_E10value_typeET2_T3_PNSZ_IS14_E10value_typeET4_jRbjT5_S1A_jjP12ihipStream_tbEUljE_EEESV_SW_SX_S14_S18_S1A_T6_T7_T9_mT8_S1C_bDpT10_ENKUlT_T0_E_clISt17integral_constantIbLb0EES1P_EEDaS1K_S1L_EUlS1K_E_NS1_11comp_targetILNS1_3genE10ELNS1_11target_archE1200ELNS1_3gpuE4ELNS1_3repE0EEENS1_30default_config_static_selectorELNS0_4arch9wavefront6targetE0EEEvSY_.kd
    .uniform_work_group_size: 1
    .uses_dynamic_stack: false
    .vgpr_count:     69
    .vgpr_spill_count: 0
    .wavefront_size: 32
    .workgroup_processor_mode: 1
  - .args:
      - .offset:         0
        .size:           144
        .value_kind:     by_value
    .group_segment_fixed_size: 0
    .kernarg_segment_align: 8
    .kernarg_segment_size: 144
    .language:       OpenCL C
    .language_version:
      - 2
      - 0
    .max_flat_workgroup_size: 256
    .name:           _ZN7rocprim17ROCPRIM_400000_NS6detail17trampoline_kernelINS0_13select_configILj256ELj13ELNS0_17block_load_methodE3ELS4_3ELS4_3ELNS0_20block_scan_algorithmE0ELj4294967295EEENS1_25partition_config_selectorILNS1_17partition_subalgoE3EjNS0_10empty_typeEbEEZZNS1_14partition_implILS8_3ELb0ES6_jNS0_17counting_iteratorIjlEEPS9_SE_NS0_5tupleIJPjSE_EEENSF_IJSE_SE_EEES9_SG_JZNS1_25segmented_radix_sort_implINS0_14default_configELb0EPKaPaPKlPlN2at6native12_GLOBAL__N_18offset_tEEE10hipError_tPvRmT1_PNSt15iterator_traitsISY_E10value_typeET2_T3_PNSZ_IS14_E10value_typeET4_jRbjT5_S1A_jjP12ihipStream_tbEUljE_EEESV_SW_SX_S14_S18_S1A_T6_T7_T9_mT8_S1C_bDpT10_ENKUlT_T0_E_clISt17integral_constantIbLb0EES1P_EEDaS1K_S1L_EUlS1K_E_NS1_11comp_targetILNS1_3genE9ELNS1_11target_archE1100ELNS1_3gpuE3ELNS1_3repE0EEENS1_30default_config_static_selectorELNS0_4arch9wavefront6targetE0EEEvSY_
    .private_segment_fixed_size: 0
    .sgpr_count:     0
    .sgpr_spill_count: 0
    .symbol:         _ZN7rocprim17ROCPRIM_400000_NS6detail17trampoline_kernelINS0_13select_configILj256ELj13ELNS0_17block_load_methodE3ELS4_3ELS4_3ELNS0_20block_scan_algorithmE0ELj4294967295EEENS1_25partition_config_selectorILNS1_17partition_subalgoE3EjNS0_10empty_typeEbEEZZNS1_14partition_implILS8_3ELb0ES6_jNS0_17counting_iteratorIjlEEPS9_SE_NS0_5tupleIJPjSE_EEENSF_IJSE_SE_EEES9_SG_JZNS1_25segmented_radix_sort_implINS0_14default_configELb0EPKaPaPKlPlN2at6native12_GLOBAL__N_18offset_tEEE10hipError_tPvRmT1_PNSt15iterator_traitsISY_E10value_typeET2_T3_PNSZ_IS14_E10value_typeET4_jRbjT5_S1A_jjP12ihipStream_tbEUljE_EEESV_SW_SX_S14_S18_S1A_T6_T7_T9_mT8_S1C_bDpT10_ENKUlT_T0_E_clISt17integral_constantIbLb0EES1P_EEDaS1K_S1L_EUlS1K_E_NS1_11comp_targetILNS1_3genE9ELNS1_11target_archE1100ELNS1_3gpuE3ELNS1_3repE0EEENS1_30default_config_static_selectorELNS0_4arch9wavefront6targetE0EEEvSY_.kd
    .uniform_work_group_size: 1
    .uses_dynamic_stack: false
    .vgpr_count:     0
    .vgpr_spill_count: 0
    .wavefront_size: 32
    .workgroup_processor_mode: 1
  - .args:
      - .offset:         0
        .size:           144
        .value_kind:     by_value
    .group_segment_fixed_size: 0
    .kernarg_segment_align: 8
    .kernarg_segment_size: 144
    .language:       OpenCL C
    .language_version:
      - 2
      - 0
    .max_flat_workgroup_size: 256
    .name:           _ZN7rocprim17ROCPRIM_400000_NS6detail17trampoline_kernelINS0_13select_configILj256ELj13ELNS0_17block_load_methodE3ELS4_3ELS4_3ELNS0_20block_scan_algorithmE0ELj4294967295EEENS1_25partition_config_selectorILNS1_17partition_subalgoE3EjNS0_10empty_typeEbEEZZNS1_14partition_implILS8_3ELb0ES6_jNS0_17counting_iteratorIjlEEPS9_SE_NS0_5tupleIJPjSE_EEENSF_IJSE_SE_EEES9_SG_JZNS1_25segmented_radix_sort_implINS0_14default_configELb0EPKaPaPKlPlN2at6native12_GLOBAL__N_18offset_tEEE10hipError_tPvRmT1_PNSt15iterator_traitsISY_E10value_typeET2_T3_PNSZ_IS14_E10value_typeET4_jRbjT5_S1A_jjP12ihipStream_tbEUljE_EEESV_SW_SX_S14_S18_S1A_T6_T7_T9_mT8_S1C_bDpT10_ENKUlT_T0_E_clISt17integral_constantIbLb0EES1P_EEDaS1K_S1L_EUlS1K_E_NS1_11comp_targetILNS1_3genE8ELNS1_11target_archE1030ELNS1_3gpuE2ELNS1_3repE0EEENS1_30default_config_static_selectorELNS0_4arch9wavefront6targetE0EEEvSY_
    .private_segment_fixed_size: 0
    .sgpr_count:     0
    .sgpr_spill_count: 0
    .symbol:         _ZN7rocprim17ROCPRIM_400000_NS6detail17trampoline_kernelINS0_13select_configILj256ELj13ELNS0_17block_load_methodE3ELS4_3ELS4_3ELNS0_20block_scan_algorithmE0ELj4294967295EEENS1_25partition_config_selectorILNS1_17partition_subalgoE3EjNS0_10empty_typeEbEEZZNS1_14partition_implILS8_3ELb0ES6_jNS0_17counting_iteratorIjlEEPS9_SE_NS0_5tupleIJPjSE_EEENSF_IJSE_SE_EEES9_SG_JZNS1_25segmented_radix_sort_implINS0_14default_configELb0EPKaPaPKlPlN2at6native12_GLOBAL__N_18offset_tEEE10hipError_tPvRmT1_PNSt15iterator_traitsISY_E10value_typeET2_T3_PNSZ_IS14_E10value_typeET4_jRbjT5_S1A_jjP12ihipStream_tbEUljE_EEESV_SW_SX_S14_S18_S1A_T6_T7_T9_mT8_S1C_bDpT10_ENKUlT_T0_E_clISt17integral_constantIbLb0EES1P_EEDaS1K_S1L_EUlS1K_E_NS1_11comp_targetILNS1_3genE8ELNS1_11target_archE1030ELNS1_3gpuE2ELNS1_3repE0EEENS1_30default_config_static_selectorELNS0_4arch9wavefront6targetE0EEEvSY_.kd
    .uniform_work_group_size: 1
    .uses_dynamic_stack: false
    .vgpr_count:     0
    .vgpr_spill_count: 0
    .wavefront_size: 32
    .workgroup_processor_mode: 1
  - .args:
      - .offset:         0
        .size:           152
        .value_kind:     by_value
    .group_segment_fixed_size: 0
    .kernarg_segment_align: 8
    .kernarg_segment_size: 152
    .language:       OpenCL C
    .language_version:
      - 2
      - 0
    .max_flat_workgroup_size: 256
    .name:           _ZN7rocprim17ROCPRIM_400000_NS6detail17trampoline_kernelINS0_13select_configILj256ELj13ELNS0_17block_load_methodE3ELS4_3ELS4_3ELNS0_20block_scan_algorithmE0ELj4294967295EEENS1_25partition_config_selectorILNS1_17partition_subalgoE3EjNS0_10empty_typeEbEEZZNS1_14partition_implILS8_3ELb0ES6_jNS0_17counting_iteratorIjlEEPS9_SE_NS0_5tupleIJPjSE_EEENSF_IJSE_SE_EEES9_SG_JZNS1_25segmented_radix_sort_implINS0_14default_configELb0EPKaPaPKlPlN2at6native12_GLOBAL__N_18offset_tEEE10hipError_tPvRmT1_PNSt15iterator_traitsISY_E10value_typeET2_T3_PNSZ_IS14_E10value_typeET4_jRbjT5_S1A_jjP12ihipStream_tbEUljE_EEESV_SW_SX_S14_S18_S1A_T6_T7_T9_mT8_S1C_bDpT10_ENKUlT_T0_E_clISt17integral_constantIbLb1EES1P_EEDaS1K_S1L_EUlS1K_E_NS1_11comp_targetILNS1_3genE0ELNS1_11target_archE4294967295ELNS1_3gpuE0ELNS1_3repE0EEENS1_30default_config_static_selectorELNS0_4arch9wavefront6targetE0EEEvSY_
    .private_segment_fixed_size: 0
    .sgpr_count:     0
    .sgpr_spill_count: 0
    .symbol:         _ZN7rocprim17ROCPRIM_400000_NS6detail17trampoline_kernelINS0_13select_configILj256ELj13ELNS0_17block_load_methodE3ELS4_3ELS4_3ELNS0_20block_scan_algorithmE0ELj4294967295EEENS1_25partition_config_selectorILNS1_17partition_subalgoE3EjNS0_10empty_typeEbEEZZNS1_14partition_implILS8_3ELb0ES6_jNS0_17counting_iteratorIjlEEPS9_SE_NS0_5tupleIJPjSE_EEENSF_IJSE_SE_EEES9_SG_JZNS1_25segmented_radix_sort_implINS0_14default_configELb0EPKaPaPKlPlN2at6native12_GLOBAL__N_18offset_tEEE10hipError_tPvRmT1_PNSt15iterator_traitsISY_E10value_typeET2_T3_PNSZ_IS14_E10value_typeET4_jRbjT5_S1A_jjP12ihipStream_tbEUljE_EEESV_SW_SX_S14_S18_S1A_T6_T7_T9_mT8_S1C_bDpT10_ENKUlT_T0_E_clISt17integral_constantIbLb1EES1P_EEDaS1K_S1L_EUlS1K_E_NS1_11comp_targetILNS1_3genE0ELNS1_11target_archE4294967295ELNS1_3gpuE0ELNS1_3repE0EEENS1_30default_config_static_selectorELNS0_4arch9wavefront6targetE0EEEvSY_.kd
    .uniform_work_group_size: 1
    .uses_dynamic_stack: false
    .vgpr_count:     0
    .vgpr_spill_count: 0
    .wavefront_size: 32
    .workgroup_processor_mode: 1
  - .args:
      - .offset:         0
        .size:           152
        .value_kind:     by_value
    .group_segment_fixed_size: 0
    .kernarg_segment_align: 8
    .kernarg_segment_size: 152
    .language:       OpenCL C
    .language_version:
      - 2
      - 0
    .max_flat_workgroup_size: 256
    .name:           _ZN7rocprim17ROCPRIM_400000_NS6detail17trampoline_kernelINS0_13select_configILj256ELj13ELNS0_17block_load_methodE3ELS4_3ELS4_3ELNS0_20block_scan_algorithmE0ELj4294967295EEENS1_25partition_config_selectorILNS1_17partition_subalgoE3EjNS0_10empty_typeEbEEZZNS1_14partition_implILS8_3ELb0ES6_jNS0_17counting_iteratorIjlEEPS9_SE_NS0_5tupleIJPjSE_EEENSF_IJSE_SE_EEES9_SG_JZNS1_25segmented_radix_sort_implINS0_14default_configELb0EPKaPaPKlPlN2at6native12_GLOBAL__N_18offset_tEEE10hipError_tPvRmT1_PNSt15iterator_traitsISY_E10value_typeET2_T3_PNSZ_IS14_E10value_typeET4_jRbjT5_S1A_jjP12ihipStream_tbEUljE_EEESV_SW_SX_S14_S18_S1A_T6_T7_T9_mT8_S1C_bDpT10_ENKUlT_T0_E_clISt17integral_constantIbLb1EES1P_EEDaS1K_S1L_EUlS1K_E_NS1_11comp_targetILNS1_3genE5ELNS1_11target_archE942ELNS1_3gpuE9ELNS1_3repE0EEENS1_30default_config_static_selectorELNS0_4arch9wavefront6targetE0EEEvSY_
    .private_segment_fixed_size: 0
    .sgpr_count:     0
    .sgpr_spill_count: 0
    .symbol:         _ZN7rocprim17ROCPRIM_400000_NS6detail17trampoline_kernelINS0_13select_configILj256ELj13ELNS0_17block_load_methodE3ELS4_3ELS4_3ELNS0_20block_scan_algorithmE0ELj4294967295EEENS1_25partition_config_selectorILNS1_17partition_subalgoE3EjNS0_10empty_typeEbEEZZNS1_14partition_implILS8_3ELb0ES6_jNS0_17counting_iteratorIjlEEPS9_SE_NS0_5tupleIJPjSE_EEENSF_IJSE_SE_EEES9_SG_JZNS1_25segmented_radix_sort_implINS0_14default_configELb0EPKaPaPKlPlN2at6native12_GLOBAL__N_18offset_tEEE10hipError_tPvRmT1_PNSt15iterator_traitsISY_E10value_typeET2_T3_PNSZ_IS14_E10value_typeET4_jRbjT5_S1A_jjP12ihipStream_tbEUljE_EEESV_SW_SX_S14_S18_S1A_T6_T7_T9_mT8_S1C_bDpT10_ENKUlT_T0_E_clISt17integral_constantIbLb1EES1P_EEDaS1K_S1L_EUlS1K_E_NS1_11comp_targetILNS1_3genE5ELNS1_11target_archE942ELNS1_3gpuE9ELNS1_3repE0EEENS1_30default_config_static_selectorELNS0_4arch9wavefront6targetE0EEEvSY_.kd
    .uniform_work_group_size: 1
    .uses_dynamic_stack: false
    .vgpr_count:     0
    .vgpr_spill_count: 0
    .wavefront_size: 32
    .workgroup_processor_mode: 1
  - .args:
      - .offset:         0
        .size:           152
        .value_kind:     by_value
    .group_segment_fixed_size: 0
    .kernarg_segment_align: 8
    .kernarg_segment_size: 152
    .language:       OpenCL C
    .language_version:
      - 2
      - 0
    .max_flat_workgroup_size: 256
    .name:           _ZN7rocprim17ROCPRIM_400000_NS6detail17trampoline_kernelINS0_13select_configILj256ELj13ELNS0_17block_load_methodE3ELS4_3ELS4_3ELNS0_20block_scan_algorithmE0ELj4294967295EEENS1_25partition_config_selectorILNS1_17partition_subalgoE3EjNS0_10empty_typeEbEEZZNS1_14partition_implILS8_3ELb0ES6_jNS0_17counting_iteratorIjlEEPS9_SE_NS0_5tupleIJPjSE_EEENSF_IJSE_SE_EEES9_SG_JZNS1_25segmented_radix_sort_implINS0_14default_configELb0EPKaPaPKlPlN2at6native12_GLOBAL__N_18offset_tEEE10hipError_tPvRmT1_PNSt15iterator_traitsISY_E10value_typeET2_T3_PNSZ_IS14_E10value_typeET4_jRbjT5_S1A_jjP12ihipStream_tbEUljE_EEESV_SW_SX_S14_S18_S1A_T6_T7_T9_mT8_S1C_bDpT10_ENKUlT_T0_E_clISt17integral_constantIbLb1EES1P_EEDaS1K_S1L_EUlS1K_E_NS1_11comp_targetILNS1_3genE4ELNS1_11target_archE910ELNS1_3gpuE8ELNS1_3repE0EEENS1_30default_config_static_selectorELNS0_4arch9wavefront6targetE0EEEvSY_
    .private_segment_fixed_size: 0
    .sgpr_count:     0
    .sgpr_spill_count: 0
    .symbol:         _ZN7rocprim17ROCPRIM_400000_NS6detail17trampoline_kernelINS0_13select_configILj256ELj13ELNS0_17block_load_methodE3ELS4_3ELS4_3ELNS0_20block_scan_algorithmE0ELj4294967295EEENS1_25partition_config_selectorILNS1_17partition_subalgoE3EjNS0_10empty_typeEbEEZZNS1_14partition_implILS8_3ELb0ES6_jNS0_17counting_iteratorIjlEEPS9_SE_NS0_5tupleIJPjSE_EEENSF_IJSE_SE_EEES9_SG_JZNS1_25segmented_radix_sort_implINS0_14default_configELb0EPKaPaPKlPlN2at6native12_GLOBAL__N_18offset_tEEE10hipError_tPvRmT1_PNSt15iterator_traitsISY_E10value_typeET2_T3_PNSZ_IS14_E10value_typeET4_jRbjT5_S1A_jjP12ihipStream_tbEUljE_EEESV_SW_SX_S14_S18_S1A_T6_T7_T9_mT8_S1C_bDpT10_ENKUlT_T0_E_clISt17integral_constantIbLb1EES1P_EEDaS1K_S1L_EUlS1K_E_NS1_11comp_targetILNS1_3genE4ELNS1_11target_archE910ELNS1_3gpuE8ELNS1_3repE0EEENS1_30default_config_static_selectorELNS0_4arch9wavefront6targetE0EEEvSY_.kd
    .uniform_work_group_size: 1
    .uses_dynamic_stack: false
    .vgpr_count:     0
    .vgpr_spill_count: 0
    .wavefront_size: 32
    .workgroup_processor_mode: 1
  - .args:
      - .offset:         0
        .size:           152
        .value_kind:     by_value
    .group_segment_fixed_size: 0
    .kernarg_segment_align: 8
    .kernarg_segment_size: 152
    .language:       OpenCL C
    .language_version:
      - 2
      - 0
    .max_flat_workgroup_size: 256
    .name:           _ZN7rocprim17ROCPRIM_400000_NS6detail17trampoline_kernelINS0_13select_configILj256ELj13ELNS0_17block_load_methodE3ELS4_3ELS4_3ELNS0_20block_scan_algorithmE0ELj4294967295EEENS1_25partition_config_selectorILNS1_17partition_subalgoE3EjNS0_10empty_typeEbEEZZNS1_14partition_implILS8_3ELb0ES6_jNS0_17counting_iteratorIjlEEPS9_SE_NS0_5tupleIJPjSE_EEENSF_IJSE_SE_EEES9_SG_JZNS1_25segmented_radix_sort_implINS0_14default_configELb0EPKaPaPKlPlN2at6native12_GLOBAL__N_18offset_tEEE10hipError_tPvRmT1_PNSt15iterator_traitsISY_E10value_typeET2_T3_PNSZ_IS14_E10value_typeET4_jRbjT5_S1A_jjP12ihipStream_tbEUljE_EEESV_SW_SX_S14_S18_S1A_T6_T7_T9_mT8_S1C_bDpT10_ENKUlT_T0_E_clISt17integral_constantIbLb1EES1P_EEDaS1K_S1L_EUlS1K_E_NS1_11comp_targetILNS1_3genE3ELNS1_11target_archE908ELNS1_3gpuE7ELNS1_3repE0EEENS1_30default_config_static_selectorELNS0_4arch9wavefront6targetE0EEEvSY_
    .private_segment_fixed_size: 0
    .sgpr_count:     0
    .sgpr_spill_count: 0
    .symbol:         _ZN7rocprim17ROCPRIM_400000_NS6detail17trampoline_kernelINS0_13select_configILj256ELj13ELNS0_17block_load_methodE3ELS4_3ELS4_3ELNS0_20block_scan_algorithmE0ELj4294967295EEENS1_25partition_config_selectorILNS1_17partition_subalgoE3EjNS0_10empty_typeEbEEZZNS1_14partition_implILS8_3ELb0ES6_jNS0_17counting_iteratorIjlEEPS9_SE_NS0_5tupleIJPjSE_EEENSF_IJSE_SE_EEES9_SG_JZNS1_25segmented_radix_sort_implINS0_14default_configELb0EPKaPaPKlPlN2at6native12_GLOBAL__N_18offset_tEEE10hipError_tPvRmT1_PNSt15iterator_traitsISY_E10value_typeET2_T3_PNSZ_IS14_E10value_typeET4_jRbjT5_S1A_jjP12ihipStream_tbEUljE_EEESV_SW_SX_S14_S18_S1A_T6_T7_T9_mT8_S1C_bDpT10_ENKUlT_T0_E_clISt17integral_constantIbLb1EES1P_EEDaS1K_S1L_EUlS1K_E_NS1_11comp_targetILNS1_3genE3ELNS1_11target_archE908ELNS1_3gpuE7ELNS1_3repE0EEENS1_30default_config_static_selectorELNS0_4arch9wavefront6targetE0EEEvSY_.kd
    .uniform_work_group_size: 1
    .uses_dynamic_stack: false
    .vgpr_count:     0
    .vgpr_spill_count: 0
    .wavefront_size: 32
    .workgroup_processor_mode: 1
  - .args:
      - .offset:         0
        .size:           152
        .value_kind:     by_value
    .group_segment_fixed_size: 0
    .kernarg_segment_align: 8
    .kernarg_segment_size: 152
    .language:       OpenCL C
    .language_version:
      - 2
      - 0
    .max_flat_workgroup_size: 256
    .name:           _ZN7rocprim17ROCPRIM_400000_NS6detail17trampoline_kernelINS0_13select_configILj256ELj13ELNS0_17block_load_methodE3ELS4_3ELS4_3ELNS0_20block_scan_algorithmE0ELj4294967295EEENS1_25partition_config_selectorILNS1_17partition_subalgoE3EjNS0_10empty_typeEbEEZZNS1_14partition_implILS8_3ELb0ES6_jNS0_17counting_iteratorIjlEEPS9_SE_NS0_5tupleIJPjSE_EEENSF_IJSE_SE_EEES9_SG_JZNS1_25segmented_radix_sort_implINS0_14default_configELb0EPKaPaPKlPlN2at6native12_GLOBAL__N_18offset_tEEE10hipError_tPvRmT1_PNSt15iterator_traitsISY_E10value_typeET2_T3_PNSZ_IS14_E10value_typeET4_jRbjT5_S1A_jjP12ihipStream_tbEUljE_EEESV_SW_SX_S14_S18_S1A_T6_T7_T9_mT8_S1C_bDpT10_ENKUlT_T0_E_clISt17integral_constantIbLb1EES1P_EEDaS1K_S1L_EUlS1K_E_NS1_11comp_targetILNS1_3genE2ELNS1_11target_archE906ELNS1_3gpuE6ELNS1_3repE0EEENS1_30default_config_static_selectorELNS0_4arch9wavefront6targetE0EEEvSY_
    .private_segment_fixed_size: 0
    .sgpr_count:     0
    .sgpr_spill_count: 0
    .symbol:         _ZN7rocprim17ROCPRIM_400000_NS6detail17trampoline_kernelINS0_13select_configILj256ELj13ELNS0_17block_load_methodE3ELS4_3ELS4_3ELNS0_20block_scan_algorithmE0ELj4294967295EEENS1_25partition_config_selectorILNS1_17partition_subalgoE3EjNS0_10empty_typeEbEEZZNS1_14partition_implILS8_3ELb0ES6_jNS0_17counting_iteratorIjlEEPS9_SE_NS0_5tupleIJPjSE_EEENSF_IJSE_SE_EEES9_SG_JZNS1_25segmented_radix_sort_implINS0_14default_configELb0EPKaPaPKlPlN2at6native12_GLOBAL__N_18offset_tEEE10hipError_tPvRmT1_PNSt15iterator_traitsISY_E10value_typeET2_T3_PNSZ_IS14_E10value_typeET4_jRbjT5_S1A_jjP12ihipStream_tbEUljE_EEESV_SW_SX_S14_S18_S1A_T6_T7_T9_mT8_S1C_bDpT10_ENKUlT_T0_E_clISt17integral_constantIbLb1EES1P_EEDaS1K_S1L_EUlS1K_E_NS1_11comp_targetILNS1_3genE2ELNS1_11target_archE906ELNS1_3gpuE6ELNS1_3repE0EEENS1_30default_config_static_selectorELNS0_4arch9wavefront6targetE0EEEvSY_.kd
    .uniform_work_group_size: 1
    .uses_dynamic_stack: false
    .vgpr_count:     0
    .vgpr_spill_count: 0
    .wavefront_size: 32
    .workgroup_processor_mode: 1
  - .args:
      - .offset:         0
        .size:           152
        .value_kind:     by_value
    .group_segment_fixed_size: 0
    .kernarg_segment_align: 8
    .kernarg_segment_size: 152
    .language:       OpenCL C
    .language_version:
      - 2
      - 0
    .max_flat_workgroup_size: 256
    .name:           _ZN7rocprim17ROCPRIM_400000_NS6detail17trampoline_kernelINS0_13select_configILj256ELj13ELNS0_17block_load_methodE3ELS4_3ELS4_3ELNS0_20block_scan_algorithmE0ELj4294967295EEENS1_25partition_config_selectorILNS1_17partition_subalgoE3EjNS0_10empty_typeEbEEZZNS1_14partition_implILS8_3ELb0ES6_jNS0_17counting_iteratorIjlEEPS9_SE_NS0_5tupleIJPjSE_EEENSF_IJSE_SE_EEES9_SG_JZNS1_25segmented_radix_sort_implINS0_14default_configELb0EPKaPaPKlPlN2at6native12_GLOBAL__N_18offset_tEEE10hipError_tPvRmT1_PNSt15iterator_traitsISY_E10value_typeET2_T3_PNSZ_IS14_E10value_typeET4_jRbjT5_S1A_jjP12ihipStream_tbEUljE_EEESV_SW_SX_S14_S18_S1A_T6_T7_T9_mT8_S1C_bDpT10_ENKUlT_T0_E_clISt17integral_constantIbLb1EES1P_EEDaS1K_S1L_EUlS1K_E_NS1_11comp_targetILNS1_3genE10ELNS1_11target_archE1200ELNS1_3gpuE4ELNS1_3repE0EEENS1_30default_config_static_selectorELNS0_4arch9wavefront6targetE0EEEvSY_
    .private_segment_fixed_size: 0
    .sgpr_count:     0
    .sgpr_spill_count: 0
    .symbol:         _ZN7rocprim17ROCPRIM_400000_NS6detail17trampoline_kernelINS0_13select_configILj256ELj13ELNS0_17block_load_methodE3ELS4_3ELS4_3ELNS0_20block_scan_algorithmE0ELj4294967295EEENS1_25partition_config_selectorILNS1_17partition_subalgoE3EjNS0_10empty_typeEbEEZZNS1_14partition_implILS8_3ELb0ES6_jNS0_17counting_iteratorIjlEEPS9_SE_NS0_5tupleIJPjSE_EEENSF_IJSE_SE_EEES9_SG_JZNS1_25segmented_radix_sort_implINS0_14default_configELb0EPKaPaPKlPlN2at6native12_GLOBAL__N_18offset_tEEE10hipError_tPvRmT1_PNSt15iterator_traitsISY_E10value_typeET2_T3_PNSZ_IS14_E10value_typeET4_jRbjT5_S1A_jjP12ihipStream_tbEUljE_EEESV_SW_SX_S14_S18_S1A_T6_T7_T9_mT8_S1C_bDpT10_ENKUlT_T0_E_clISt17integral_constantIbLb1EES1P_EEDaS1K_S1L_EUlS1K_E_NS1_11comp_targetILNS1_3genE10ELNS1_11target_archE1200ELNS1_3gpuE4ELNS1_3repE0EEENS1_30default_config_static_selectorELNS0_4arch9wavefront6targetE0EEEvSY_.kd
    .uniform_work_group_size: 1
    .uses_dynamic_stack: false
    .vgpr_count:     0
    .vgpr_spill_count: 0
    .wavefront_size: 32
    .workgroup_processor_mode: 1
  - .args:
      - .offset:         0
        .size:           152
        .value_kind:     by_value
    .group_segment_fixed_size: 0
    .kernarg_segment_align: 8
    .kernarg_segment_size: 152
    .language:       OpenCL C
    .language_version:
      - 2
      - 0
    .max_flat_workgroup_size: 256
    .name:           _ZN7rocprim17ROCPRIM_400000_NS6detail17trampoline_kernelINS0_13select_configILj256ELj13ELNS0_17block_load_methodE3ELS4_3ELS4_3ELNS0_20block_scan_algorithmE0ELj4294967295EEENS1_25partition_config_selectorILNS1_17partition_subalgoE3EjNS0_10empty_typeEbEEZZNS1_14partition_implILS8_3ELb0ES6_jNS0_17counting_iteratorIjlEEPS9_SE_NS0_5tupleIJPjSE_EEENSF_IJSE_SE_EEES9_SG_JZNS1_25segmented_radix_sort_implINS0_14default_configELb0EPKaPaPKlPlN2at6native12_GLOBAL__N_18offset_tEEE10hipError_tPvRmT1_PNSt15iterator_traitsISY_E10value_typeET2_T3_PNSZ_IS14_E10value_typeET4_jRbjT5_S1A_jjP12ihipStream_tbEUljE_EEESV_SW_SX_S14_S18_S1A_T6_T7_T9_mT8_S1C_bDpT10_ENKUlT_T0_E_clISt17integral_constantIbLb1EES1P_EEDaS1K_S1L_EUlS1K_E_NS1_11comp_targetILNS1_3genE9ELNS1_11target_archE1100ELNS1_3gpuE3ELNS1_3repE0EEENS1_30default_config_static_selectorELNS0_4arch9wavefront6targetE0EEEvSY_
    .private_segment_fixed_size: 0
    .sgpr_count:     0
    .sgpr_spill_count: 0
    .symbol:         _ZN7rocprim17ROCPRIM_400000_NS6detail17trampoline_kernelINS0_13select_configILj256ELj13ELNS0_17block_load_methodE3ELS4_3ELS4_3ELNS0_20block_scan_algorithmE0ELj4294967295EEENS1_25partition_config_selectorILNS1_17partition_subalgoE3EjNS0_10empty_typeEbEEZZNS1_14partition_implILS8_3ELb0ES6_jNS0_17counting_iteratorIjlEEPS9_SE_NS0_5tupleIJPjSE_EEENSF_IJSE_SE_EEES9_SG_JZNS1_25segmented_radix_sort_implINS0_14default_configELb0EPKaPaPKlPlN2at6native12_GLOBAL__N_18offset_tEEE10hipError_tPvRmT1_PNSt15iterator_traitsISY_E10value_typeET2_T3_PNSZ_IS14_E10value_typeET4_jRbjT5_S1A_jjP12ihipStream_tbEUljE_EEESV_SW_SX_S14_S18_S1A_T6_T7_T9_mT8_S1C_bDpT10_ENKUlT_T0_E_clISt17integral_constantIbLb1EES1P_EEDaS1K_S1L_EUlS1K_E_NS1_11comp_targetILNS1_3genE9ELNS1_11target_archE1100ELNS1_3gpuE3ELNS1_3repE0EEENS1_30default_config_static_selectorELNS0_4arch9wavefront6targetE0EEEvSY_.kd
    .uniform_work_group_size: 1
    .uses_dynamic_stack: false
    .vgpr_count:     0
    .vgpr_spill_count: 0
    .wavefront_size: 32
    .workgroup_processor_mode: 1
  - .args:
      - .offset:         0
        .size:           152
        .value_kind:     by_value
    .group_segment_fixed_size: 0
    .kernarg_segment_align: 8
    .kernarg_segment_size: 152
    .language:       OpenCL C
    .language_version:
      - 2
      - 0
    .max_flat_workgroup_size: 256
    .name:           _ZN7rocprim17ROCPRIM_400000_NS6detail17trampoline_kernelINS0_13select_configILj256ELj13ELNS0_17block_load_methodE3ELS4_3ELS4_3ELNS0_20block_scan_algorithmE0ELj4294967295EEENS1_25partition_config_selectorILNS1_17partition_subalgoE3EjNS0_10empty_typeEbEEZZNS1_14partition_implILS8_3ELb0ES6_jNS0_17counting_iteratorIjlEEPS9_SE_NS0_5tupleIJPjSE_EEENSF_IJSE_SE_EEES9_SG_JZNS1_25segmented_radix_sort_implINS0_14default_configELb0EPKaPaPKlPlN2at6native12_GLOBAL__N_18offset_tEEE10hipError_tPvRmT1_PNSt15iterator_traitsISY_E10value_typeET2_T3_PNSZ_IS14_E10value_typeET4_jRbjT5_S1A_jjP12ihipStream_tbEUljE_EEESV_SW_SX_S14_S18_S1A_T6_T7_T9_mT8_S1C_bDpT10_ENKUlT_T0_E_clISt17integral_constantIbLb1EES1P_EEDaS1K_S1L_EUlS1K_E_NS1_11comp_targetILNS1_3genE8ELNS1_11target_archE1030ELNS1_3gpuE2ELNS1_3repE0EEENS1_30default_config_static_selectorELNS0_4arch9wavefront6targetE0EEEvSY_
    .private_segment_fixed_size: 0
    .sgpr_count:     0
    .sgpr_spill_count: 0
    .symbol:         _ZN7rocprim17ROCPRIM_400000_NS6detail17trampoline_kernelINS0_13select_configILj256ELj13ELNS0_17block_load_methodE3ELS4_3ELS4_3ELNS0_20block_scan_algorithmE0ELj4294967295EEENS1_25partition_config_selectorILNS1_17partition_subalgoE3EjNS0_10empty_typeEbEEZZNS1_14partition_implILS8_3ELb0ES6_jNS0_17counting_iteratorIjlEEPS9_SE_NS0_5tupleIJPjSE_EEENSF_IJSE_SE_EEES9_SG_JZNS1_25segmented_radix_sort_implINS0_14default_configELb0EPKaPaPKlPlN2at6native12_GLOBAL__N_18offset_tEEE10hipError_tPvRmT1_PNSt15iterator_traitsISY_E10value_typeET2_T3_PNSZ_IS14_E10value_typeET4_jRbjT5_S1A_jjP12ihipStream_tbEUljE_EEESV_SW_SX_S14_S18_S1A_T6_T7_T9_mT8_S1C_bDpT10_ENKUlT_T0_E_clISt17integral_constantIbLb1EES1P_EEDaS1K_S1L_EUlS1K_E_NS1_11comp_targetILNS1_3genE8ELNS1_11target_archE1030ELNS1_3gpuE2ELNS1_3repE0EEENS1_30default_config_static_selectorELNS0_4arch9wavefront6targetE0EEEvSY_.kd
    .uniform_work_group_size: 1
    .uses_dynamic_stack: false
    .vgpr_count:     0
    .vgpr_spill_count: 0
    .wavefront_size: 32
    .workgroup_processor_mode: 1
  - .args:
      - .offset:         0
        .size:           144
        .value_kind:     by_value
    .group_segment_fixed_size: 0
    .kernarg_segment_align: 8
    .kernarg_segment_size: 144
    .language:       OpenCL C
    .language_version:
      - 2
      - 0
    .max_flat_workgroup_size: 256
    .name:           _ZN7rocprim17ROCPRIM_400000_NS6detail17trampoline_kernelINS0_13select_configILj256ELj13ELNS0_17block_load_methodE3ELS4_3ELS4_3ELNS0_20block_scan_algorithmE0ELj4294967295EEENS1_25partition_config_selectorILNS1_17partition_subalgoE3EjNS0_10empty_typeEbEEZZNS1_14partition_implILS8_3ELb0ES6_jNS0_17counting_iteratorIjlEEPS9_SE_NS0_5tupleIJPjSE_EEENSF_IJSE_SE_EEES9_SG_JZNS1_25segmented_radix_sort_implINS0_14default_configELb0EPKaPaPKlPlN2at6native12_GLOBAL__N_18offset_tEEE10hipError_tPvRmT1_PNSt15iterator_traitsISY_E10value_typeET2_T3_PNSZ_IS14_E10value_typeET4_jRbjT5_S1A_jjP12ihipStream_tbEUljE_EEESV_SW_SX_S14_S18_S1A_T6_T7_T9_mT8_S1C_bDpT10_ENKUlT_T0_E_clISt17integral_constantIbLb1EES1O_IbLb0EEEEDaS1K_S1L_EUlS1K_E_NS1_11comp_targetILNS1_3genE0ELNS1_11target_archE4294967295ELNS1_3gpuE0ELNS1_3repE0EEENS1_30default_config_static_selectorELNS0_4arch9wavefront6targetE0EEEvSY_
    .private_segment_fixed_size: 0
    .sgpr_count:     0
    .sgpr_spill_count: 0
    .symbol:         _ZN7rocprim17ROCPRIM_400000_NS6detail17trampoline_kernelINS0_13select_configILj256ELj13ELNS0_17block_load_methodE3ELS4_3ELS4_3ELNS0_20block_scan_algorithmE0ELj4294967295EEENS1_25partition_config_selectorILNS1_17partition_subalgoE3EjNS0_10empty_typeEbEEZZNS1_14partition_implILS8_3ELb0ES6_jNS0_17counting_iteratorIjlEEPS9_SE_NS0_5tupleIJPjSE_EEENSF_IJSE_SE_EEES9_SG_JZNS1_25segmented_radix_sort_implINS0_14default_configELb0EPKaPaPKlPlN2at6native12_GLOBAL__N_18offset_tEEE10hipError_tPvRmT1_PNSt15iterator_traitsISY_E10value_typeET2_T3_PNSZ_IS14_E10value_typeET4_jRbjT5_S1A_jjP12ihipStream_tbEUljE_EEESV_SW_SX_S14_S18_S1A_T6_T7_T9_mT8_S1C_bDpT10_ENKUlT_T0_E_clISt17integral_constantIbLb1EES1O_IbLb0EEEEDaS1K_S1L_EUlS1K_E_NS1_11comp_targetILNS1_3genE0ELNS1_11target_archE4294967295ELNS1_3gpuE0ELNS1_3repE0EEENS1_30default_config_static_selectorELNS0_4arch9wavefront6targetE0EEEvSY_.kd
    .uniform_work_group_size: 1
    .uses_dynamic_stack: false
    .vgpr_count:     0
    .vgpr_spill_count: 0
    .wavefront_size: 32
    .workgroup_processor_mode: 1
  - .args:
      - .offset:         0
        .size:           144
        .value_kind:     by_value
    .group_segment_fixed_size: 0
    .kernarg_segment_align: 8
    .kernarg_segment_size: 144
    .language:       OpenCL C
    .language_version:
      - 2
      - 0
    .max_flat_workgroup_size: 256
    .name:           _ZN7rocprim17ROCPRIM_400000_NS6detail17trampoline_kernelINS0_13select_configILj256ELj13ELNS0_17block_load_methodE3ELS4_3ELS4_3ELNS0_20block_scan_algorithmE0ELj4294967295EEENS1_25partition_config_selectorILNS1_17partition_subalgoE3EjNS0_10empty_typeEbEEZZNS1_14partition_implILS8_3ELb0ES6_jNS0_17counting_iteratorIjlEEPS9_SE_NS0_5tupleIJPjSE_EEENSF_IJSE_SE_EEES9_SG_JZNS1_25segmented_radix_sort_implINS0_14default_configELb0EPKaPaPKlPlN2at6native12_GLOBAL__N_18offset_tEEE10hipError_tPvRmT1_PNSt15iterator_traitsISY_E10value_typeET2_T3_PNSZ_IS14_E10value_typeET4_jRbjT5_S1A_jjP12ihipStream_tbEUljE_EEESV_SW_SX_S14_S18_S1A_T6_T7_T9_mT8_S1C_bDpT10_ENKUlT_T0_E_clISt17integral_constantIbLb1EES1O_IbLb0EEEEDaS1K_S1L_EUlS1K_E_NS1_11comp_targetILNS1_3genE5ELNS1_11target_archE942ELNS1_3gpuE9ELNS1_3repE0EEENS1_30default_config_static_selectorELNS0_4arch9wavefront6targetE0EEEvSY_
    .private_segment_fixed_size: 0
    .sgpr_count:     0
    .sgpr_spill_count: 0
    .symbol:         _ZN7rocprim17ROCPRIM_400000_NS6detail17trampoline_kernelINS0_13select_configILj256ELj13ELNS0_17block_load_methodE3ELS4_3ELS4_3ELNS0_20block_scan_algorithmE0ELj4294967295EEENS1_25partition_config_selectorILNS1_17partition_subalgoE3EjNS0_10empty_typeEbEEZZNS1_14partition_implILS8_3ELb0ES6_jNS0_17counting_iteratorIjlEEPS9_SE_NS0_5tupleIJPjSE_EEENSF_IJSE_SE_EEES9_SG_JZNS1_25segmented_radix_sort_implINS0_14default_configELb0EPKaPaPKlPlN2at6native12_GLOBAL__N_18offset_tEEE10hipError_tPvRmT1_PNSt15iterator_traitsISY_E10value_typeET2_T3_PNSZ_IS14_E10value_typeET4_jRbjT5_S1A_jjP12ihipStream_tbEUljE_EEESV_SW_SX_S14_S18_S1A_T6_T7_T9_mT8_S1C_bDpT10_ENKUlT_T0_E_clISt17integral_constantIbLb1EES1O_IbLb0EEEEDaS1K_S1L_EUlS1K_E_NS1_11comp_targetILNS1_3genE5ELNS1_11target_archE942ELNS1_3gpuE9ELNS1_3repE0EEENS1_30default_config_static_selectorELNS0_4arch9wavefront6targetE0EEEvSY_.kd
    .uniform_work_group_size: 1
    .uses_dynamic_stack: false
    .vgpr_count:     0
    .vgpr_spill_count: 0
    .wavefront_size: 32
    .workgroup_processor_mode: 1
  - .args:
      - .offset:         0
        .size:           144
        .value_kind:     by_value
    .group_segment_fixed_size: 0
    .kernarg_segment_align: 8
    .kernarg_segment_size: 144
    .language:       OpenCL C
    .language_version:
      - 2
      - 0
    .max_flat_workgroup_size: 256
    .name:           _ZN7rocprim17ROCPRIM_400000_NS6detail17trampoline_kernelINS0_13select_configILj256ELj13ELNS0_17block_load_methodE3ELS4_3ELS4_3ELNS0_20block_scan_algorithmE0ELj4294967295EEENS1_25partition_config_selectorILNS1_17partition_subalgoE3EjNS0_10empty_typeEbEEZZNS1_14partition_implILS8_3ELb0ES6_jNS0_17counting_iteratorIjlEEPS9_SE_NS0_5tupleIJPjSE_EEENSF_IJSE_SE_EEES9_SG_JZNS1_25segmented_radix_sort_implINS0_14default_configELb0EPKaPaPKlPlN2at6native12_GLOBAL__N_18offset_tEEE10hipError_tPvRmT1_PNSt15iterator_traitsISY_E10value_typeET2_T3_PNSZ_IS14_E10value_typeET4_jRbjT5_S1A_jjP12ihipStream_tbEUljE_EEESV_SW_SX_S14_S18_S1A_T6_T7_T9_mT8_S1C_bDpT10_ENKUlT_T0_E_clISt17integral_constantIbLb1EES1O_IbLb0EEEEDaS1K_S1L_EUlS1K_E_NS1_11comp_targetILNS1_3genE4ELNS1_11target_archE910ELNS1_3gpuE8ELNS1_3repE0EEENS1_30default_config_static_selectorELNS0_4arch9wavefront6targetE0EEEvSY_
    .private_segment_fixed_size: 0
    .sgpr_count:     0
    .sgpr_spill_count: 0
    .symbol:         _ZN7rocprim17ROCPRIM_400000_NS6detail17trampoline_kernelINS0_13select_configILj256ELj13ELNS0_17block_load_methodE3ELS4_3ELS4_3ELNS0_20block_scan_algorithmE0ELj4294967295EEENS1_25partition_config_selectorILNS1_17partition_subalgoE3EjNS0_10empty_typeEbEEZZNS1_14partition_implILS8_3ELb0ES6_jNS0_17counting_iteratorIjlEEPS9_SE_NS0_5tupleIJPjSE_EEENSF_IJSE_SE_EEES9_SG_JZNS1_25segmented_radix_sort_implINS0_14default_configELb0EPKaPaPKlPlN2at6native12_GLOBAL__N_18offset_tEEE10hipError_tPvRmT1_PNSt15iterator_traitsISY_E10value_typeET2_T3_PNSZ_IS14_E10value_typeET4_jRbjT5_S1A_jjP12ihipStream_tbEUljE_EEESV_SW_SX_S14_S18_S1A_T6_T7_T9_mT8_S1C_bDpT10_ENKUlT_T0_E_clISt17integral_constantIbLb1EES1O_IbLb0EEEEDaS1K_S1L_EUlS1K_E_NS1_11comp_targetILNS1_3genE4ELNS1_11target_archE910ELNS1_3gpuE8ELNS1_3repE0EEENS1_30default_config_static_selectorELNS0_4arch9wavefront6targetE0EEEvSY_.kd
    .uniform_work_group_size: 1
    .uses_dynamic_stack: false
    .vgpr_count:     0
    .vgpr_spill_count: 0
    .wavefront_size: 32
    .workgroup_processor_mode: 1
  - .args:
      - .offset:         0
        .size:           144
        .value_kind:     by_value
    .group_segment_fixed_size: 0
    .kernarg_segment_align: 8
    .kernarg_segment_size: 144
    .language:       OpenCL C
    .language_version:
      - 2
      - 0
    .max_flat_workgroup_size: 256
    .name:           _ZN7rocprim17ROCPRIM_400000_NS6detail17trampoline_kernelINS0_13select_configILj256ELj13ELNS0_17block_load_methodE3ELS4_3ELS4_3ELNS0_20block_scan_algorithmE0ELj4294967295EEENS1_25partition_config_selectorILNS1_17partition_subalgoE3EjNS0_10empty_typeEbEEZZNS1_14partition_implILS8_3ELb0ES6_jNS0_17counting_iteratorIjlEEPS9_SE_NS0_5tupleIJPjSE_EEENSF_IJSE_SE_EEES9_SG_JZNS1_25segmented_radix_sort_implINS0_14default_configELb0EPKaPaPKlPlN2at6native12_GLOBAL__N_18offset_tEEE10hipError_tPvRmT1_PNSt15iterator_traitsISY_E10value_typeET2_T3_PNSZ_IS14_E10value_typeET4_jRbjT5_S1A_jjP12ihipStream_tbEUljE_EEESV_SW_SX_S14_S18_S1A_T6_T7_T9_mT8_S1C_bDpT10_ENKUlT_T0_E_clISt17integral_constantIbLb1EES1O_IbLb0EEEEDaS1K_S1L_EUlS1K_E_NS1_11comp_targetILNS1_3genE3ELNS1_11target_archE908ELNS1_3gpuE7ELNS1_3repE0EEENS1_30default_config_static_selectorELNS0_4arch9wavefront6targetE0EEEvSY_
    .private_segment_fixed_size: 0
    .sgpr_count:     0
    .sgpr_spill_count: 0
    .symbol:         _ZN7rocprim17ROCPRIM_400000_NS6detail17trampoline_kernelINS0_13select_configILj256ELj13ELNS0_17block_load_methodE3ELS4_3ELS4_3ELNS0_20block_scan_algorithmE0ELj4294967295EEENS1_25partition_config_selectorILNS1_17partition_subalgoE3EjNS0_10empty_typeEbEEZZNS1_14partition_implILS8_3ELb0ES6_jNS0_17counting_iteratorIjlEEPS9_SE_NS0_5tupleIJPjSE_EEENSF_IJSE_SE_EEES9_SG_JZNS1_25segmented_radix_sort_implINS0_14default_configELb0EPKaPaPKlPlN2at6native12_GLOBAL__N_18offset_tEEE10hipError_tPvRmT1_PNSt15iterator_traitsISY_E10value_typeET2_T3_PNSZ_IS14_E10value_typeET4_jRbjT5_S1A_jjP12ihipStream_tbEUljE_EEESV_SW_SX_S14_S18_S1A_T6_T7_T9_mT8_S1C_bDpT10_ENKUlT_T0_E_clISt17integral_constantIbLb1EES1O_IbLb0EEEEDaS1K_S1L_EUlS1K_E_NS1_11comp_targetILNS1_3genE3ELNS1_11target_archE908ELNS1_3gpuE7ELNS1_3repE0EEENS1_30default_config_static_selectorELNS0_4arch9wavefront6targetE0EEEvSY_.kd
    .uniform_work_group_size: 1
    .uses_dynamic_stack: false
    .vgpr_count:     0
    .vgpr_spill_count: 0
    .wavefront_size: 32
    .workgroup_processor_mode: 1
  - .args:
      - .offset:         0
        .size:           144
        .value_kind:     by_value
    .group_segment_fixed_size: 0
    .kernarg_segment_align: 8
    .kernarg_segment_size: 144
    .language:       OpenCL C
    .language_version:
      - 2
      - 0
    .max_flat_workgroup_size: 256
    .name:           _ZN7rocprim17ROCPRIM_400000_NS6detail17trampoline_kernelINS0_13select_configILj256ELj13ELNS0_17block_load_methodE3ELS4_3ELS4_3ELNS0_20block_scan_algorithmE0ELj4294967295EEENS1_25partition_config_selectorILNS1_17partition_subalgoE3EjNS0_10empty_typeEbEEZZNS1_14partition_implILS8_3ELb0ES6_jNS0_17counting_iteratorIjlEEPS9_SE_NS0_5tupleIJPjSE_EEENSF_IJSE_SE_EEES9_SG_JZNS1_25segmented_radix_sort_implINS0_14default_configELb0EPKaPaPKlPlN2at6native12_GLOBAL__N_18offset_tEEE10hipError_tPvRmT1_PNSt15iterator_traitsISY_E10value_typeET2_T3_PNSZ_IS14_E10value_typeET4_jRbjT5_S1A_jjP12ihipStream_tbEUljE_EEESV_SW_SX_S14_S18_S1A_T6_T7_T9_mT8_S1C_bDpT10_ENKUlT_T0_E_clISt17integral_constantIbLb1EES1O_IbLb0EEEEDaS1K_S1L_EUlS1K_E_NS1_11comp_targetILNS1_3genE2ELNS1_11target_archE906ELNS1_3gpuE6ELNS1_3repE0EEENS1_30default_config_static_selectorELNS0_4arch9wavefront6targetE0EEEvSY_
    .private_segment_fixed_size: 0
    .sgpr_count:     0
    .sgpr_spill_count: 0
    .symbol:         _ZN7rocprim17ROCPRIM_400000_NS6detail17trampoline_kernelINS0_13select_configILj256ELj13ELNS0_17block_load_methodE3ELS4_3ELS4_3ELNS0_20block_scan_algorithmE0ELj4294967295EEENS1_25partition_config_selectorILNS1_17partition_subalgoE3EjNS0_10empty_typeEbEEZZNS1_14partition_implILS8_3ELb0ES6_jNS0_17counting_iteratorIjlEEPS9_SE_NS0_5tupleIJPjSE_EEENSF_IJSE_SE_EEES9_SG_JZNS1_25segmented_radix_sort_implINS0_14default_configELb0EPKaPaPKlPlN2at6native12_GLOBAL__N_18offset_tEEE10hipError_tPvRmT1_PNSt15iterator_traitsISY_E10value_typeET2_T3_PNSZ_IS14_E10value_typeET4_jRbjT5_S1A_jjP12ihipStream_tbEUljE_EEESV_SW_SX_S14_S18_S1A_T6_T7_T9_mT8_S1C_bDpT10_ENKUlT_T0_E_clISt17integral_constantIbLb1EES1O_IbLb0EEEEDaS1K_S1L_EUlS1K_E_NS1_11comp_targetILNS1_3genE2ELNS1_11target_archE906ELNS1_3gpuE6ELNS1_3repE0EEENS1_30default_config_static_selectorELNS0_4arch9wavefront6targetE0EEEvSY_.kd
    .uniform_work_group_size: 1
    .uses_dynamic_stack: false
    .vgpr_count:     0
    .vgpr_spill_count: 0
    .wavefront_size: 32
    .workgroup_processor_mode: 1
  - .args:
      - .offset:         0
        .size:           144
        .value_kind:     by_value
    .group_segment_fixed_size: 0
    .kernarg_segment_align: 8
    .kernarg_segment_size: 144
    .language:       OpenCL C
    .language_version:
      - 2
      - 0
    .max_flat_workgroup_size: 256
    .name:           _ZN7rocprim17ROCPRIM_400000_NS6detail17trampoline_kernelINS0_13select_configILj256ELj13ELNS0_17block_load_methodE3ELS4_3ELS4_3ELNS0_20block_scan_algorithmE0ELj4294967295EEENS1_25partition_config_selectorILNS1_17partition_subalgoE3EjNS0_10empty_typeEbEEZZNS1_14partition_implILS8_3ELb0ES6_jNS0_17counting_iteratorIjlEEPS9_SE_NS0_5tupleIJPjSE_EEENSF_IJSE_SE_EEES9_SG_JZNS1_25segmented_radix_sort_implINS0_14default_configELb0EPKaPaPKlPlN2at6native12_GLOBAL__N_18offset_tEEE10hipError_tPvRmT1_PNSt15iterator_traitsISY_E10value_typeET2_T3_PNSZ_IS14_E10value_typeET4_jRbjT5_S1A_jjP12ihipStream_tbEUljE_EEESV_SW_SX_S14_S18_S1A_T6_T7_T9_mT8_S1C_bDpT10_ENKUlT_T0_E_clISt17integral_constantIbLb1EES1O_IbLb0EEEEDaS1K_S1L_EUlS1K_E_NS1_11comp_targetILNS1_3genE10ELNS1_11target_archE1200ELNS1_3gpuE4ELNS1_3repE0EEENS1_30default_config_static_selectorELNS0_4arch9wavefront6targetE0EEEvSY_
    .private_segment_fixed_size: 0
    .sgpr_count:     0
    .sgpr_spill_count: 0
    .symbol:         _ZN7rocprim17ROCPRIM_400000_NS6detail17trampoline_kernelINS0_13select_configILj256ELj13ELNS0_17block_load_methodE3ELS4_3ELS4_3ELNS0_20block_scan_algorithmE0ELj4294967295EEENS1_25partition_config_selectorILNS1_17partition_subalgoE3EjNS0_10empty_typeEbEEZZNS1_14partition_implILS8_3ELb0ES6_jNS0_17counting_iteratorIjlEEPS9_SE_NS0_5tupleIJPjSE_EEENSF_IJSE_SE_EEES9_SG_JZNS1_25segmented_radix_sort_implINS0_14default_configELb0EPKaPaPKlPlN2at6native12_GLOBAL__N_18offset_tEEE10hipError_tPvRmT1_PNSt15iterator_traitsISY_E10value_typeET2_T3_PNSZ_IS14_E10value_typeET4_jRbjT5_S1A_jjP12ihipStream_tbEUljE_EEESV_SW_SX_S14_S18_S1A_T6_T7_T9_mT8_S1C_bDpT10_ENKUlT_T0_E_clISt17integral_constantIbLb1EES1O_IbLb0EEEEDaS1K_S1L_EUlS1K_E_NS1_11comp_targetILNS1_3genE10ELNS1_11target_archE1200ELNS1_3gpuE4ELNS1_3repE0EEENS1_30default_config_static_selectorELNS0_4arch9wavefront6targetE0EEEvSY_.kd
    .uniform_work_group_size: 1
    .uses_dynamic_stack: false
    .vgpr_count:     0
    .vgpr_spill_count: 0
    .wavefront_size: 32
    .workgroup_processor_mode: 1
  - .args:
      - .offset:         0
        .size:           144
        .value_kind:     by_value
    .group_segment_fixed_size: 0
    .kernarg_segment_align: 8
    .kernarg_segment_size: 144
    .language:       OpenCL C
    .language_version:
      - 2
      - 0
    .max_flat_workgroup_size: 256
    .name:           _ZN7rocprim17ROCPRIM_400000_NS6detail17trampoline_kernelINS0_13select_configILj256ELj13ELNS0_17block_load_methodE3ELS4_3ELS4_3ELNS0_20block_scan_algorithmE0ELj4294967295EEENS1_25partition_config_selectorILNS1_17partition_subalgoE3EjNS0_10empty_typeEbEEZZNS1_14partition_implILS8_3ELb0ES6_jNS0_17counting_iteratorIjlEEPS9_SE_NS0_5tupleIJPjSE_EEENSF_IJSE_SE_EEES9_SG_JZNS1_25segmented_radix_sort_implINS0_14default_configELb0EPKaPaPKlPlN2at6native12_GLOBAL__N_18offset_tEEE10hipError_tPvRmT1_PNSt15iterator_traitsISY_E10value_typeET2_T3_PNSZ_IS14_E10value_typeET4_jRbjT5_S1A_jjP12ihipStream_tbEUljE_EEESV_SW_SX_S14_S18_S1A_T6_T7_T9_mT8_S1C_bDpT10_ENKUlT_T0_E_clISt17integral_constantIbLb1EES1O_IbLb0EEEEDaS1K_S1L_EUlS1K_E_NS1_11comp_targetILNS1_3genE9ELNS1_11target_archE1100ELNS1_3gpuE3ELNS1_3repE0EEENS1_30default_config_static_selectorELNS0_4arch9wavefront6targetE0EEEvSY_
    .private_segment_fixed_size: 0
    .sgpr_count:     0
    .sgpr_spill_count: 0
    .symbol:         _ZN7rocprim17ROCPRIM_400000_NS6detail17trampoline_kernelINS0_13select_configILj256ELj13ELNS0_17block_load_methodE3ELS4_3ELS4_3ELNS0_20block_scan_algorithmE0ELj4294967295EEENS1_25partition_config_selectorILNS1_17partition_subalgoE3EjNS0_10empty_typeEbEEZZNS1_14partition_implILS8_3ELb0ES6_jNS0_17counting_iteratorIjlEEPS9_SE_NS0_5tupleIJPjSE_EEENSF_IJSE_SE_EEES9_SG_JZNS1_25segmented_radix_sort_implINS0_14default_configELb0EPKaPaPKlPlN2at6native12_GLOBAL__N_18offset_tEEE10hipError_tPvRmT1_PNSt15iterator_traitsISY_E10value_typeET2_T3_PNSZ_IS14_E10value_typeET4_jRbjT5_S1A_jjP12ihipStream_tbEUljE_EEESV_SW_SX_S14_S18_S1A_T6_T7_T9_mT8_S1C_bDpT10_ENKUlT_T0_E_clISt17integral_constantIbLb1EES1O_IbLb0EEEEDaS1K_S1L_EUlS1K_E_NS1_11comp_targetILNS1_3genE9ELNS1_11target_archE1100ELNS1_3gpuE3ELNS1_3repE0EEENS1_30default_config_static_selectorELNS0_4arch9wavefront6targetE0EEEvSY_.kd
    .uniform_work_group_size: 1
    .uses_dynamic_stack: false
    .vgpr_count:     0
    .vgpr_spill_count: 0
    .wavefront_size: 32
    .workgroup_processor_mode: 1
  - .args:
      - .offset:         0
        .size:           144
        .value_kind:     by_value
    .group_segment_fixed_size: 0
    .kernarg_segment_align: 8
    .kernarg_segment_size: 144
    .language:       OpenCL C
    .language_version:
      - 2
      - 0
    .max_flat_workgroup_size: 256
    .name:           _ZN7rocprim17ROCPRIM_400000_NS6detail17trampoline_kernelINS0_13select_configILj256ELj13ELNS0_17block_load_methodE3ELS4_3ELS4_3ELNS0_20block_scan_algorithmE0ELj4294967295EEENS1_25partition_config_selectorILNS1_17partition_subalgoE3EjNS0_10empty_typeEbEEZZNS1_14partition_implILS8_3ELb0ES6_jNS0_17counting_iteratorIjlEEPS9_SE_NS0_5tupleIJPjSE_EEENSF_IJSE_SE_EEES9_SG_JZNS1_25segmented_radix_sort_implINS0_14default_configELb0EPKaPaPKlPlN2at6native12_GLOBAL__N_18offset_tEEE10hipError_tPvRmT1_PNSt15iterator_traitsISY_E10value_typeET2_T3_PNSZ_IS14_E10value_typeET4_jRbjT5_S1A_jjP12ihipStream_tbEUljE_EEESV_SW_SX_S14_S18_S1A_T6_T7_T9_mT8_S1C_bDpT10_ENKUlT_T0_E_clISt17integral_constantIbLb1EES1O_IbLb0EEEEDaS1K_S1L_EUlS1K_E_NS1_11comp_targetILNS1_3genE8ELNS1_11target_archE1030ELNS1_3gpuE2ELNS1_3repE0EEENS1_30default_config_static_selectorELNS0_4arch9wavefront6targetE0EEEvSY_
    .private_segment_fixed_size: 0
    .sgpr_count:     0
    .sgpr_spill_count: 0
    .symbol:         _ZN7rocprim17ROCPRIM_400000_NS6detail17trampoline_kernelINS0_13select_configILj256ELj13ELNS0_17block_load_methodE3ELS4_3ELS4_3ELNS0_20block_scan_algorithmE0ELj4294967295EEENS1_25partition_config_selectorILNS1_17partition_subalgoE3EjNS0_10empty_typeEbEEZZNS1_14partition_implILS8_3ELb0ES6_jNS0_17counting_iteratorIjlEEPS9_SE_NS0_5tupleIJPjSE_EEENSF_IJSE_SE_EEES9_SG_JZNS1_25segmented_radix_sort_implINS0_14default_configELb0EPKaPaPKlPlN2at6native12_GLOBAL__N_18offset_tEEE10hipError_tPvRmT1_PNSt15iterator_traitsISY_E10value_typeET2_T3_PNSZ_IS14_E10value_typeET4_jRbjT5_S1A_jjP12ihipStream_tbEUljE_EEESV_SW_SX_S14_S18_S1A_T6_T7_T9_mT8_S1C_bDpT10_ENKUlT_T0_E_clISt17integral_constantIbLb1EES1O_IbLb0EEEEDaS1K_S1L_EUlS1K_E_NS1_11comp_targetILNS1_3genE8ELNS1_11target_archE1030ELNS1_3gpuE2ELNS1_3repE0EEENS1_30default_config_static_selectorELNS0_4arch9wavefront6targetE0EEEvSY_.kd
    .uniform_work_group_size: 1
    .uses_dynamic_stack: false
    .vgpr_count:     0
    .vgpr_spill_count: 0
    .wavefront_size: 32
    .workgroup_processor_mode: 1
  - .args:
      - .offset:         0
        .size:           152
        .value_kind:     by_value
    .group_segment_fixed_size: 0
    .kernarg_segment_align: 8
    .kernarg_segment_size: 152
    .language:       OpenCL C
    .language_version:
      - 2
      - 0
    .max_flat_workgroup_size: 256
    .name:           _ZN7rocprim17ROCPRIM_400000_NS6detail17trampoline_kernelINS0_13select_configILj256ELj13ELNS0_17block_load_methodE3ELS4_3ELS4_3ELNS0_20block_scan_algorithmE0ELj4294967295EEENS1_25partition_config_selectorILNS1_17partition_subalgoE3EjNS0_10empty_typeEbEEZZNS1_14partition_implILS8_3ELb0ES6_jNS0_17counting_iteratorIjlEEPS9_SE_NS0_5tupleIJPjSE_EEENSF_IJSE_SE_EEES9_SG_JZNS1_25segmented_radix_sort_implINS0_14default_configELb0EPKaPaPKlPlN2at6native12_GLOBAL__N_18offset_tEEE10hipError_tPvRmT1_PNSt15iterator_traitsISY_E10value_typeET2_T3_PNSZ_IS14_E10value_typeET4_jRbjT5_S1A_jjP12ihipStream_tbEUljE_EEESV_SW_SX_S14_S18_S1A_T6_T7_T9_mT8_S1C_bDpT10_ENKUlT_T0_E_clISt17integral_constantIbLb0EES1O_IbLb1EEEEDaS1K_S1L_EUlS1K_E_NS1_11comp_targetILNS1_3genE0ELNS1_11target_archE4294967295ELNS1_3gpuE0ELNS1_3repE0EEENS1_30default_config_static_selectorELNS0_4arch9wavefront6targetE0EEEvSY_
    .private_segment_fixed_size: 0
    .sgpr_count:     0
    .sgpr_spill_count: 0
    .symbol:         _ZN7rocprim17ROCPRIM_400000_NS6detail17trampoline_kernelINS0_13select_configILj256ELj13ELNS0_17block_load_methodE3ELS4_3ELS4_3ELNS0_20block_scan_algorithmE0ELj4294967295EEENS1_25partition_config_selectorILNS1_17partition_subalgoE3EjNS0_10empty_typeEbEEZZNS1_14partition_implILS8_3ELb0ES6_jNS0_17counting_iteratorIjlEEPS9_SE_NS0_5tupleIJPjSE_EEENSF_IJSE_SE_EEES9_SG_JZNS1_25segmented_radix_sort_implINS0_14default_configELb0EPKaPaPKlPlN2at6native12_GLOBAL__N_18offset_tEEE10hipError_tPvRmT1_PNSt15iterator_traitsISY_E10value_typeET2_T3_PNSZ_IS14_E10value_typeET4_jRbjT5_S1A_jjP12ihipStream_tbEUljE_EEESV_SW_SX_S14_S18_S1A_T6_T7_T9_mT8_S1C_bDpT10_ENKUlT_T0_E_clISt17integral_constantIbLb0EES1O_IbLb1EEEEDaS1K_S1L_EUlS1K_E_NS1_11comp_targetILNS1_3genE0ELNS1_11target_archE4294967295ELNS1_3gpuE0ELNS1_3repE0EEENS1_30default_config_static_selectorELNS0_4arch9wavefront6targetE0EEEvSY_.kd
    .uniform_work_group_size: 1
    .uses_dynamic_stack: false
    .vgpr_count:     0
    .vgpr_spill_count: 0
    .wavefront_size: 32
    .workgroup_processor_mode: 1
  - .args:
      - .offset:         0
        .size:           152
        .value_kind:     by_value
    .group_segment_fixed_size: 0
    .kernarg_segment_align: 8
    .kernarg_segment_size: 152
    .language:       OpenCL C
    .language_version:
      - 2
      - 0
    .max_flat_workgroup_size: 256
    .name:           _ZN7rocprim17ROCPRIM_400000_NS6detail17trampoline_kernelINS0_13select_configILj256ELj13ELNS0_17block_load_methodE3ELS4_3ELS4_3ELNS0_20block_scan_algorithmE0ELj4294967295EEENS1_25partition_config_selectorILNS1_17partition_subalgoE3EjNS0_10empty_typeEbEEZZNS1_14partition_implILS8_3ELb0ES6_jNS0_17counting_iteratorIjlEEPS9_SE_NS0_5tupleIJPjSE_EEENSF_IJSE_SE_EEES9_SG_JZNS1_25segmented_radix_sort_implINS0_14default_configELb0EPKaPaPKlPlN2at6native12_GLOBAL__N_18offset_tEEE10hipError_tPvRmT1_PNSt15iterator_traitsISY_E10value_typeET2_T3_PNSZ_IS14_E10value_typeET4_jRbjT5_S1A_jjP12ihipStream_tbEUljE_EEESV_SW_SX_S14_S18_S1A_T6_T7_T9_mT8_S1C_bDpT10_ENKUlT_T0_E_clISt17integral_constantIbLb0EES1O_IbLb1EEEEDaS1K_S1L_EUlS1K_E_NS1_11comp_targetILNS1_3genE5ELNS1_11target_archE942ELNS1_3gpuE9ELNS1_3repE0EEENS1_30default_config_static_selectorELNS0_4arch9wavefront6targetE0EEEvSY_
    .private_segment_fixed_size: 0
    .sgpr_count:     0
    .sgpr_spill_count: 0
    .symbol:         _ZN7rocprim17ROCPRIM_400000_NS6detail17trampoline_kernelINS0_13select_configILj256ELj13ELNS0_17block_load_methodE3ELS4_3ELS4_3ELNS0_20block_scan_algorithmE0ELj4294967295EEENS1_25partition_config_selectorILNS1_17partition_subalgoE3EjNS0_10empty_typeEbEEZZNS1_14partition_implILS8_3ELb0ES6_jNS0_17counting_iteratorIjlEEPS9_SE_NS0_5tupleIJPjSE_EEENSF_IJSE_SE_EEES9_SG_JZNS1_25segmented_radix_sort_implINS0_14default_configELb0EPKaPaPKlPlN2at6native12_GLOBAL__N_18offset_tEEE10hipError_tPvRmT1_PNSt15iterator_traitsISY_E10value_typeET2_T3_PNSZ_IS14_E10value_typeET4_jRbjT5_S1A_jjP12ihipStream_tbEUljE_EEESV_SW_SX_S14_S18_S1A_T6_T7_T9_mT8_S1C_bDpT10_ENKUlT_T0_E_clISt17integral_constantIbLb0EES1O_IbLb1EEEEDaS1K_S1L_EUlS1K_E_NS1_11comp_targetILNS1_3genE5ELNS1_11target_archE942ELNS1_3gpuE9ELNS1_3repE0EEENS1_30default_config_static_selectorELNS0_4arch9wavefront6targetE0EEEvSY_.kd
    .uniform_work_group_size: 1
    .uses_dynamic_stack: false
    .vgpr_count:     0
    .vgpr_spill_count: 0
    .wavefront_size: 32
    .workgroup_processor_mode: 1
  - .args:
      - .offset:         0
        .size:           152
        .value_kind:     by_value
    .group_segment_fixed_size: 0
    .kernarg_segment_align: 8
    .kernarg_segment_size: 152
    .language:       OpenCL C
    .language_version:
      - 2
      - 0
    .max_flat_workgroup_size: 256
    .name:           _ZN7rocprim17ROCPRIM_400000_NS6detail17trampoline_kernelINS0_13select_configILj256ELj13ELNS0_17block_load_methodE3ELS4_3ELS4_3ELNS0_20block_scan_algorithmE0ELj4294967295EEENS1_25partition_config_selectorILNS1_17partition_subalgoE3EjNS0_10empty_typeEbEEZZNS1_14partition_implILS8_3ELb0ES6_jNS0_17counting_iteratorIjlEEPS9_SE_NS0_5tupleIJPjSE_EEENSF_IJSE_SE_EEES9_SG_JZNS1_25segmented_radix_sort_implINS0_14default_configELb0EPKaPaPKlPlN2at6native12_GLOBAL__N_18offset_tEEE10hipError_tPvRmT1_PNSt15iterator_traitsISY_E10value_typeET2_T3_PNSZ_IS14_E10value_typeET4_jRbjT5_S1A_jjP12ihipStream_tbEUljE_EEESV_SW_SX_S14_S18_S1A_T6_T7_T9_mT8_S1C_bDpT10_ENKUlT_T0_E_clISt17integral_constantIbLb0EES1O_IbLb1EEEEDaS1K_S1L_EUlS1K_E_NS1_11comp_targetILNS1_3genE4ELNS1_11target_archE910ELNS1_3gpuE8ELNS1_3repE0EEENS1_30default_config_static_selectorELNS0_4arch9wavefront6targetE0EEEvSY_
    .private_segment_fixed_size: 0
    .sgpr_count:     0
    .sgpr_spill_count: 0
    .symbol:         _ZN7rocprim17ROCPRIM_400000_NS6detail17trampoline_kernelINS0_13select_configILj256ELj13ELNS0_17block_load_methodE3ELS4_3ELS4_3ELNS0_20block_scan_algorithmE0ELj4294967295EEENS1_25partition_config_selectorILNS1_17partition_subalgoE3EjNS0_10empty_typeEbEEZZNS1_14partition_implILS8_3ELb0ES6_jNS0_17counting_iteratorIjlEEPS9_SE_NS0_5tupleIJPjSE_EEENSF_IJSE_SE_EEES9_SG_JZNS1_25segmented_radix_sort_implINS0_14default_configELb0EPKaPaPKlPlN2at6native12_GLOBAL__N_18offset_tEEE10hipError_tPvRmT1_PNSt15iterator_traitsISY_E10value_typeET2_T3_PNSZ_IS14_E10value_typeET4_jRbjT5_S1A_jjP12ihipStream_tbEUljE_EEESV_SW_SX_S14_S18_S1A_T6_T7_T9_mT8_S1C_bDpT10_ENKUlT_T0_E_clISt17integral_constantIbLb0EES1O_IbLb1EEEEDaS1K_S1L_EUlS1K_E_NS1_11comp_targetILNS1_3genE4ELNS1_11target_archE910ELNS1_3gpuE8ELNS1_3repE0EEENS1_30default_config_static_selectorELNS0_4arch9wavefront6targetE0EEEvSY_.kd
    .uniform_work_group_size: 1
    .uses_dynamic_stack: false
    .vgpr_count:     0
    .vgpr_spill_count: 0
    .wavefront_size: 32
    .workgroup_processor_mode: 1
  - .args:
      - .offset:         0
        .size:           152
        .value_kind:     by_value
    .group_segment_fixed_size: 0
    .kernarg_segment_align: 8
    .kernarg_segment_size: 152
    .language:       OpenCL C
    .language_version:
      - 2
      - 0
    .max_flat_workgroup_size: 256
    .name:           _ZN7rocprim17ROCPRIM_400000_NS6detail17trampoline_kernelINS0_13select_configILj256ELj13ELNS0_17block_load_methodE3ELS4_3ELS4_3ELNS0_20block_scan_algorithmE0ELj4294967295EEENS1_25partition_config_selectorILNS1_17partition_subalgoE3EjNS0_10empty_typeEbEEZZNS1_14partition_implILS8_3ELb0ES6_jNS0_17counting_iteratorIjlEEPS9_SE_NS0_5tupleIJPjSE_EEENSF_IJSE_SE_EEES9_SG_JZNS1_25segmented_radix_sort_implINS0_14default_configELb0EPKaPaPKlPlN2at6native12_GLOBAL__N_18offset_tEEE10hipError_tPvRmT1_PNSt15iterator_traitsISY_E10value_typeET2_T3_PNSZ_IS14_E10value_typeET4_jRbjT5_S1A_jjP12ihipStream_tbEUljE_EEESV_SW_SX_S14_S18_S1A_T6_T7_T9_mT8_S1C_bDpT10_ENKUlT_T0_E_clISt17integral_constantIbLb0EES1O_IbLb1EEEEDaS1K_S1L_EUlS1K_E_NS1_11comp_targetILNS1_3genE3ELNS1_11target_archE908ELNS1_3gpuE7ELNS1_3repE0EEENS1_30default_config_static_selectorELNS0_4arch9wavefront6targetE0EEEvSY_
    .private_segment_fixed_size: 0
    .sgpr_count:     0
    .sgpr_spill_count: 0
    .symbol:         _ZN7rocprim17ROCPRIM_400000_NS6detail17trampoline_kernelINS0_13select_configILj256ELj13ELNS0_17block_load_methodE3ELS4_3ELS4_3ELNS0_20block_scan_algorithmE0ELj4294967295EEENS1_25partition_config_selectorILNS1_17partition_subalgoE3EjNS0_10empty_typeEbEEZZNS1_14partition_implILS8_3ELb0ES6_jNS0_17counting_iteratorIjlEEPS9_SE_NS0_5tupleIJPjSE_EEENSF_IJSE_SE_EEES9_SG_JZNS1_25segmented_radix_sort_implINS0_14default_configELb0EPKaPaPKlPlN2at6native12_GLOBAL__N_18offset_tEEE10hipError_tPvRmT1_PNSt15iterator_traitsISY_E10value_typeET2_T3_PNSZ_IS14_E10value_typeET4_jRbjT5_S1A_jjP12ihipStream_tbEUljE_EEESV_SW_SX_S14_S18_S1A_T6_T7_T9_mT8_S1C_bDpT10_ENKUlT_T0_E_clISt17integral_constantIbLb0EES1O_IbLb1EEEEDaS1K_S1L_EUlS1K_E_NS1_11comp_targetILNS1_3genE3ELNS1_11target_archE908ELNS1_3gpuE7ELNS1_3repE0EEENS1_30default_config_static_selectorELNS0_4arch9wavefront6targetE0EEEvSY_.kd
    .uniform_work_group_size: 1
    .uses_dynamic_stack: false
    .vgpr_count:     0
    .vgpr_spill_count: 0
    .wavefront_size: 32
    .workgroup_processor_mode: 1
  - .args:
      - .offset:         0
        .size:           152
        .value_kind:     by_value
    .group_segment_fixed_size: 0
    .kernarg_segment_align: 8
    .kernarg_segment_size: 152
    .language:       OpenCL C
    .language_version:
      - 2
      - 0
    .max_flat_workgroup_size: 256
    .name:           _ZN7rocprim17ROCPRIM_400000_NS6detail17trampoline_kernelINS0_13select_configILj256ELj13ELNS0_17block_load_methodE3ELS4_3ELS4_3ELNS0_20block_scan_algorithmE0ELj4294967295EEENS1_25partition_config_selectorILNS1_17partition_subalgoE3EjNS0_10empty_typeEbEEZZNS1_14partition_implILS8_3ELb0ES6_jNS0_17counting_iteratorIjlEEPS9_SE_NS0_5tupleIJPjSE_EEENSF_IJSE_SE_EEES9_SG_JZNS1_25segmented_radix_sort_implINS0_14default_configELb0EPKaPaPKlPlN2at6native12_GLOBAL__N_18offset_tEEE10hipError_tPvRmT1_PNSt15iterator_traitsISY_E10value_typeET2_T3_PNSZ_IS14_E10value_typeET4_jRbjT5_S1A_jjP12ihipStream_tbEUljE_EEESV_SW_SX_S14_S18_S1A_T6_T7_T9_mT8_S1C_bDpT10_ENKUlT_T0_E_clISt17integral_constantIbLb0EES1O_IbLb1EEEEDaS1K_S1L_EUlS1K_E_NS1_11comp_targetILNS1_3genE2ELNS1_11target_archE906ELNS1_3gpuE6ELNS1_3repE0EEENS1_30default_config_static_selectorELNS0_4arch9wavefront6targetE0EEEvSY_
    .private_segment_fixed_size: 0
    .sgpr_count:     0
    .sgpr_spill_count: 0
    .symbol:         _ZN7rocprim17ROCPRIM_400000_NS6detail17trampoline_kernelINS0_13select_configILj256ELj13ELNS0_17block_load_methodE3ELS4_3ELS4_3ELNS0_20block_scan_algorithmE0ELj4294967295EEENS1_25partition_config_selectorILNS1_17partition_subalgoE3EjNS0_10empty_typeEbEEZZNS1_14partition_implILS8_3ELb0ES6_jNS0_17counting_iteratorIjlEEPS9_SE_NS0_5tupleIJPjSE_EEENSF_IJSE_SE_EEES9_SG_JZNS1_25segmented_radix_sort_implINS0_14default_configELb0EPKaPaPKlPlN2at6native12_GLOBAL__N_18offset_tEEE10hipError_tPvRmT1_PNSt15iterator_traitsISY_E10value_typeET2_T3_PNSZ_IS14_E10value_typeET4_jRbjT5_S1A_jjP12ihipStream_tbEUljE_EEESV_SW_SX_S14_S18_S1A_T6_T7_T9_mT8_S1C_bDpT10_ENKUlT_T0_E_clISt17integral_constantIbLb0EES1O_IbLb1EEEEDaS1K_S1L_EUlS1K_E_NS1_11comp_targetILNS1_3genE2ELNS1_11target_archE906ELNS1_3gpuE6ELNS1_3repE0EEENS1_30default_config_static_selectorELNS0_4arch9wavefront6targetE0EEEvSY_.kd
    .uniform_work_group_size: 1
    .uses_dynamic_stack: false
    .vgpr_count:     0
    .vgpr_spill_count: 0
    .wavefront_size: 32
    .workgroup_processor_mode: 1
  - .args:
      - .offset:         0
        .size:           152
        .value_kind:     by_value
    .group_segment_fixed_size: 13320
    .kernarg_segment_align: 8
    .kernarg_segment_size: 152
    .language:       OpenCL C
    .language_version:
      - 2
      - 0
    .max_flat_workgroup_size: 256
    .name:           _ZN7rocprim17ROCPRIM_400000_NS6detail17trampoline_kernelINS0_13select_configILj256ELj13ELNS0_17block_load_methodE3ELS4_3ELS4_3ELNS0_20block_scan_algorithmE0ELj4294967295EEENS1_25partition_config_selectorILNS1_17partition_subalgoE3EjNS0_10empty_typeEbEEZZNS1_14partition_implILS8_3ELb0ES6_jNS0_17counting_iteratorIjlEEPS9_SE_NS0_5tupleIJPjSE_EEENSF_IJSE_SE_EEES9_SG_JZNS1_25segmented_radix_sort_implINS0_14default_configELb0EPKaPaPKlPlN2at6native12_GLOBAL__N_18offset_tEEE10hipError_tPvRmT1_PNSt15iterator_traitsISY_E10value_typeET2_T3_PNSZ_IS14_E10value_typeET4_jRbjT5_S1A_jjP12ihipStream_tbEUljE_EEESV_SW_SX_S14_S18_S1A_T6_T7_T9_mT8_S1C_bDpT10_ENKUlT_T0_E_clISt17integral_constantIbLb0EES1O_IbLb1EEEEDaS1K_S1L_EUlS1K_E_NS1_11comp_targetILNS1_3genE10ELNS1_11target_archE1200ELNS1_3gpuE4ELNS1_3repE0EEENS1_30default_config_static_selectorELNS0_4arch9wavefront6targetE0EEEvSY_
    .private_segment_fixed_size: 0
    .sgpr_count:     28
    .sgpr_spill_count: 0
    .symbol:         _ZN7rocprim17ROCPRIM_400000_NS6detail17trampoline_kernelINS0_13select_configILj256ELj13ELNS0_17block_load_methodE3ELS4_3ELS4_3ELNS0_20block_scan_algorithmE0ELj4294967295EEENS1_25partition_config_selectorILNS1_17partition_subalgoE3EjNS0_10empty_typeEbEEZZNS1_14partition_implILS8_3ELb0ES6_jNS0_17counting_iteratorIjlEEPS9_SE_NS0_5tupleIJPjSE_EEENSF_IJSE_SE_EEES9_SG_JZNS1_25segmented_radix_sort_implINS0_14default_configELb0EPKaPaPKlPlN2at6native12_GLOBAL__N_18offset_tEEE10hipError_tPvRmT1_PNSt15iterator_traitsISY_E10value_typeET2_T3_PNSZ_IS14_E10value_typeET4_jRbjT5_S1A_jjP12ihipStream_tbEUljE_EEESV_SW_SX_S14_S18_S1A_T6_T7_T9_mT8_S1C_bDpT10_ENKUlT_T0_E_clISt17integral_constantIbLb0EES1O_IbLb1EEEEDaS1K_S1L_EUlS1K_E_NS1_11comp_targetILNS1_3genE10ELNS1_11target_archE1200ELNS1_3gpuE4ELNS1_3repE0EEENS1_30default_config_static_selectorELNS0_4arch9wavefront6targetE0EEEvSY_.kd
    .uniform_work_group_size: 1
    .uses_dynamic_stack: false
    .vgpr_count:     71
    .vgpr_spill_count: 0
    .wavefront_size: 32
    .workgroup_processor_mode: 1
  - .args:
      - .offset:         0
        .size:           152
        .value_kind:     by_value
    .group_segment_fixed_size: 0
    .kernarg_segment_align: 8
    .kernarg_segment_size: 152
    .language:       OpenCL C
    .language_version:
      - 2
      - 0
    .max_flat_workgroup_size: 256
    .name:           _ZN7rocprim17ROCPRIM_400000_NS6detail17trampoline_kernelINS0_13select_configILj256ELj13ELNS0_17block_load_methodE3ELS4_3ELS4_3ELNS0_20block_scan_algorithmE0ELj4294967295EEENS1_25partition_config_selectorILNS1_17partition_subalgoE3EjNS0_10empty_typeEbEEZZNS1_14partition_implILS8_3ELb0ES6_jNS0_17counting_iteratorIjlEEPS9_SE_NS0_5tupleIJPjSE_EEENSF_IJSE_SE_EEES9_SG_JZNS1_25segmented_radix_sort_implINS0_14default_configELb0EPKaPaPKlPlN2at6native12_GLOBAL__N_18offset_tEEE10hipError_tPvRmT1_PNSt15iterator_traitsISY_E10value_typeET2_T3_PNSZ_IS14_E10value_typeET4_jRbjT5_S1A_jjP12ihipStream_tbEUljE_EEESV_SW_SX_S14_S18_S1A_T6_T7_T9_mT8_S1C_bDpT10_ENKUlT_T0_E_clISt17integral_constantIbLb0EES1O_IbLb1EEEEDaS1K_S1L_EUlS1K_E_NS1_11comp_targetILNS1_3genE9ELNS1_11target_archE1100ELNS1_3gpuE3ELNS1_3repE0EEENS1_30default_config_static_selectorELNS0_4arch9wavefront6targetE0EEEvSY_
    .private_segment_fixed_size: 0
    .sgpr_count:     0
    .sgpr_spill_count: 0
    .symbol:         _ZN7rocprim17ROCPRIM_400000_NS6detail17trampoline_kernelINS0_13select_configILj256ELj13ELNS0_17block_load_methodE3ELS4_3ELS4_3ELNS0_20block_scan_algorithmE0ELj4294967295EEENS1_25partition_config_selectorILNS1_17partition_subalgoE3EjNS0_10empty_typeEbEEZZNS1_14partition_implILS8_3ELb0ES6_jNS0_17counting_iteratorIjlEEPS9_SE_NS0_5tupleIJPjSE_EEENSF_IJSE_SE_EEES9_SG_JZNS1_25segmented_radix_sort_implINS0_14default_configELb0EPKaPaPKlPlN2at6native12_GLOBAL__N_18offset_tEEE10hipError_tPvRmT1_PNSt15iterator_traitsISY_E10value_typeET2_T3_PNSZ_IS14_E10value_typeET4_jRbjT5_S1A_jjP12ihipStream_tbEUljE_EEESV_SW_SX_S14_S18_S1A_T6_T7_T9_mT8_S1C_bDpT10_ENKUlT_T0_E_clISt17integral_constantIbLb0EES1O_IbLb1EEEEDaS1K_S1L_EUlS1K_E_NS1_11comp_targetILNS1_3genE9ELNS1_11target_archE1100ELNS1_3gpuE3ELNS1_3repE0EEENS1_30default_config_static_selectorELNS0_4arch9wavefront6targetE0EEEvSY_.kd
    .uniform_work_group_size: 1
    .uses_dynamic_stack: false
    .vgpr_count:     0
    .vgpr_spill_count: 0
    .wavefront_size: 32
    .workgroup_processor_mode: 1
  - .args:
      - .offset:         0
        .size:           152
        .value_kind:     by_value
    .group_segment_fixed_size: 0
    .kernarg_segment_align: 8
    .kernarg_segment_size: 152
    .language:       OpenCL C
    .language_version:
      - 2
      - 0
    .max_flat_workgroup_size: 256
    .name:           _ZN7rocprim17ROCPRIM_400000_NS6detail17trampoline_kernelINS0_13select_configILj256ELj13ELNS0_17block_load_methodE3ELS4_3ELS4_3ELNS0_20block_scan_algorithmE0ELj4294967295EEENS1_25partition_config_selectorILNS1_17partition_subalgoE3EjNS0_10empty_typeEbEEZZNS1_14partition_implILS8_3ELb0ES6_jNS0_17counting_iteratorIjlEEPS9_SE_NS0_5tupleIJPjSE_EEENSF_IJSE_SE_EEES9_SG_JZNS1_25segmented_radix_sort_implINS0_14default_configELb0EPKaPaPKlPlN2at6native12_GLOBAL__N_18offset_tEEE10hipError_tPvRmT1_PNSt15iterator_traitsISY_E10value_typeET2_T3_PNSZ_IS14_E10value_typeET4_jRbjT5_S1A_jjP12ihipStream_tbEUljE_EEESV_SW_SX_S14_S18_S1A_T6_T7_T9_mT8_S1C_bDpT10_ENKUlT_T0_E_clISt17integral_constantIbLb0EES1O_IbLb1EEEEDaS1K_S1L_EUlS1K_E_NS1_11comp_targetILNS1_3genE8ELNS1_11target_archE1030ELNS1_3gpuE2ELNS1_3repE0EEENS1_30default_config_static_selectorELNS0_4arch9wavefront6targetE0EEEvSY_
    .private_segment_fixed_size: 0
    .sgpr_count:     0
    .sgpr_spill_count: 0
    .symbol:         _ZN7rocprim17ROCPRIM_400000_NS6detail17trampoline_kernelINS0_13select_configILj256ELj13ELNS0_17block_load_methodE3ELS4_3ELS4_3ELNS0_20block_scan_algorithmE0ELj4294967295EEENS1_25partition_config_selectorILNS1_17partition_subalgoE3EjNS0_10empty_typeEbEEZZNS1_14partition_implILS8_3ELb0ES6_jNS0_17counting_iteratorIjlEEPS9_SE_NS0_5tupleIJPjSE_EEENSF_IJSE_SE_EEES9_SG_JZNS1_25segmented_radix_sort_implINS0_14default_configELb0EPKaPaPKlPlN2at6native12_GLOBAL__N_18offset_tEEE10hipError_tPvRmT1_PNSt15iterator_traitsISY_E10value_typeET2_T3_PNSZ_IS14_E10value_typeET4_jRbjT5_S1A_jjP12ihipStream_tbEUljE_EEESV_SW_SX_S14_S18_S1A_T6_T7_T9_mT8_S1C_bDpT10_ENKUlT_T0_E_clISt17integral_constantIbLb0EES1O_IbLb1EEEEDaS1K_S1L_EUlS1K_E_NS1_11comp_targetILNS1_3genE8ELNS1_11target_archE1030ELNS1_3gpuE2ELNS1_3repE0EEENS1_30default_config_static_selectorELNS0_4arch9wavefront6targetE0EEEvSY_.kd
    .uniform_work_group_size: 1
    .uses_dynamic_stack: false
    .vgpr_count:     0
    .vgpr_spill_count: 0
    .wavefront_size: 32
    .workgroup_processor_mode: 1
  - .args:
      - .offset:         0
        .size:           96
        .value_kind:     by_value
    .group_segment_fixed_size: 0
    .kernarg_segment_align: 8
    .kernarg_segment_size: 96
    .language:       OpenCL C
    .language_version:
      - 2
      - 0
    .max_flat_workgroup_size: 256
    .name:           _ZN7rocprim17ROCPRIM_400000_NS6detail17trampoline_kernelINS0_14default_configENS1_36segmented_radix_sort_config_selectorIalEEZNS1_25segmented_radix_sort_implIS3_Lb0EPKaPaPKlPlN2at6native12_GLOBAL__N_18offset_tEEE10hipError_tPvRmT1_PNSt15iterator_traitsISK_E10value_typeET2_T3_PNSL_ISQ_E10value_typeET4_jRbjT5_SW_jjP12ihipStream_tbEUlT_E_NS1_11comp_targetILNS1_3genE0ELNS1_11target_archE4294967295ELNS1_3gpuE0ELNS1_3repE0EEENS1_30default_config_static_selectorELNS0_4arch9wavefront6targetE0EEEvSK_
    .private_segment_fixed_size: 0
    .sgpr_count:     0
    .sgpr_spill_count: 0
    .symbol:         _ZN7rocprim17ROCPRIM_400000_NS6detail17trampoline_kernelINS0_14default_configENS1_36segmented_radix_sort_config_selectorIalEEZNS1_25segmented_radix_sort_implIS3_Lb0EPKaPaPKlPlN2at6native12_GLOBAL__N_18offset_tEEE10hipError_tPvRmT1_PNSt15iterator_traitsISK_E10value_typeET2_T3_PNSL_ISQ_E10value_typeET4_jRbjT5_SW_jjP12ihipStream_tbEUlT_E_NS1_11comp_targetILNS1_3genE0ELNS1_11target_archE4294967295ELNS1_3gpuE0ELNS1_3repE0EEENS1_30default_config_static_selectorELNS0_4arch9wavefront6targetE0EEEvSK_.kd
    .uniform_work_group_size: 1
    .uses_dynamic_stack: false
    .vgpr_count:     0
    .vgpr_spill_count: 0
    .wavefront_size: 32
    .workgroup_processor_mode: 1
  - .args:
      - .offset:         0
        .size:           96
        .value_kind:     by_value
    .group_segment_fixed_size: 0
    .kernarg_segment_align: 8
    .kernarg_segment_size: 96
    .language:       OpenCL C
    .language_version:
      - 2
      - 0
    .max_flat_workgroup_size: 256
    .name:           _ZN7rocprim17ROCPRIM_400000_NS6detail17trampoline_kernelINS0_14default_configENS1_36segmented_radix_sort_config_selectorIalEEZNS1_25segmented_radix_sort_implIS3_Lb0EPKaPaPKlPlN2at6native12_GLOBAL__N_18offset_tEEE10hipError_tPvRmT1_PNSt15iterator_traitsISK_E10value_typeET2_T3_PNSL_ISQ_E10value_typeET4_jRbjT5_SW_jjP12ihipStream_tbEUlT_E_NS1_11comp_targetILNS1_3genE5ELNS1_11target_archE942ELNS1_3gpuE9ELNS1_3repE0EEENS1_30default_config_static_selectorELNS0_4arch9wavefront6targetE0EEEvSK_
    .private_segment_fixed_size: 0
    .sgpr_count:     0
    .sgpr_spill_count: 0
    .symbol:         _ZN7rocprim17ROCPRIM_400000_NS6detail17trampoline_kernelINS0_14default_configENS1_36segmented_radix_sort_config_selectorIalEEZNS1_25segmented_radix_sort_implIS3_Lb0EPKaPaPKlPlN2at6native12_GLOBAL__N_18offset_tEEE10hipError_tPvRmT1_PNSt15iterator_traitsISK_E10value_typeET2_T3_PNSL_ISQ_E10value_typeET4_jRbjT5_SW_jjP12ihipStream_tbEUlT_E_NS1_11comp_targetILNS1_3genE5ELNS1_11target_archE942ELNS1_3gpuE9ELNS1_3repE0EEENS1_30default_config_static_selectorELNS0_4arch9wavefront6targetE0EEEvSK_.kd
    .uniform_work_group_size: 1
    .uses_dynamic_stack: false
    .vgpr_count:     0
    .vgpr_spill_count: 0
    .wavefront_size: 32
    .workgroup_processor_mode: 1
  - .args:
      - .offset:         0
        .size:           96
        .value_kind:     by_value
    .group_segment_fixed_size: 0
    .kernarg_segment_align: 8
    .kernarg_segment_size: 96
    .language:       OpenCL C
    .language_version:
      - 2
      - 0
    .max_flat_workgroup_size: 256
    .name:           _ZN7rocprim17ROCPRIM_400000_NS6detail17trampoline_kernelINS0_14default_configENS1_36segmented_radix_sort_config_selectorIalEEZNS1_25segmented_radix_sort_implIS3_Lb0EPKaPaPKlPlN2at6native12_GLOBAL__N_18offset_tEEE10hipError_tPvRmT1_PNSt15iterator_traitsISK_E10value_typeET2_T3_PNSL_ISQ_E10value_typeET4_jRbjT5_SW_jjP12ihipStream_tbEUlT_E_NS1_11comp_targetILNS1_3genE4ELNS1_11target_archE910ELNS1_3gpuE8ELNS1_3repE0EEENS1_30default_config_static_selectorELNS0_4arch9wavefront6targetE0EEEvSK_
    .private_segment_fixed_size: 0
    .sgpr_count:     0
    .sgpr_spill_count: 0
    .symbol:         _ZN7rocprim17ROCPRIM_400000_NS6detail17trampoline_kernelINS0_14default_configENS1_36segmented_radix_sort_config_selectorIalEEZNS1_25segmented_radix_sort_implIS3_Lb0EPKaPaPKlPlN2at6native12_GLOBAL__N_18offset_tEEE10hipError_tPvRmT1_PNSt15iterator_traitsISK_E10value_typeET2_T3_PNSL_ISQ_E10value_typeET4_jRbjT5_SW_jjP12ihipStream_tbEUlT_E_NS1_11comp_targetILNS1_3genE4ELNS1_11target_archE910ELNS1_3gpuE8ELNS1_3repE0EEENS1_30default_config_static_selectorELNS0_4arch9wavefront6targetE0EEEvSK_.kd
    .uniform_work_group_size: 1
    .uses_dynamic_stack: false
    .vgpr_count:     0
    .vgpr_spill_count: 0
    .wavefront_size: 32
    .workgroup_processor_mode: 1
  - .args:
      - .offset:         0
        .size:           96
        .value_kind:     by_value
    .group_segment_fixed_size: 0
    .kernarg_segment_align: 8
    .kernarg_segment_size: 96
    .language:       OpenCL C
    .language_version:
      - 2
      - 0
    .max_flat_workgroup_size: 256
    .name:           _ZN7rocprim17ROCPRIM_400000_NS6detail17trampoline_kernelINS0_14default_configENS1_36segmented_radix_sort_config_selectorIalEEZNS1_25segmented_radix_sort_implIS3_Lb0EPKaPaPKlPlN2at6native12_GLOBAL__N_18offset_tEEE10hipError_tPvRmT1_PNSt15iterator_traitsISK_E10value_typeET2_T3_PNSL_ISQ_E10value_typeET4_jRbjT5_SW_jjP12ihipStream_tbEUlT_E_NS1_11comp_targetILNS1_3genE3ELNS1_11target_archE908ELNS1_3gpuE7ELNS1_3repE0EEENS1_30default_config_static_selectorELNS0_4arch9wavefront6targetE0EEEvSK_
    .private_segment_fixed_size: 0
    .sgpr_count:     0
    .sgpr_spill_count: 0
    .symbol:         _ZN7rocprim17ROCPRIM_400000_NS6detail17trampoline_kernelINS0_14default_configENS1_36segmented_radix_sort_config_selectorIalEEZNS1_25segmented_radix_sort_implIS3_Lb0EPKaPaPKlPlN2at6native12_GLOBAL__N_18offset_tEEE10hipError_tPvRmT1_PNSt15iterator_traitsISK_E10value_typeET2_T3_PNSL_ISQ_E10value_typeET4_jRbjT5_SW_jjP12ihipStream_tbEUlT_E_NS1_11comp_targetILNS1_3genE3ELNS1_11target_archE908ELNS1_3gpuE7ELNS1_3repE0EEENS1_30default_config_static_selectorELNS0_4arch9wavefront6targetE0EEEvSK_.kd
    .uniform_work_group_size: 1
    .uses_dynamic_stack: false
    .vgpr_count:     0
    .vgpr_spill_count: 0
    .wavefront_size: 32
    .workgroup_processor_mode: 1
  - .args:
      - .offset:         0
        .size:           96
        .value_kind:     by_value
    .group_segment_fixed_size: 0
    .kernarg_segment_align: 8
    .kernarg_segment_size: 96
    .language:       OpenCL C
    .language_version:
      - 2
      - 0
    .max_flat_workgroup_size: 256
    .name:           _ZN7rocprim17ROCPRIM_400000_NS6detail17trampoline_kernelINS0_14default_configENS1_36segmented_radix_sort_config_selectorIalEEZNS1_25segmented_radix_sort_implIS3_Lb0EPKaPaPKlPlN2at6native12_GLOBAL__N_18offset_tEEE10hipError_tPvRmT1_PNSt15iterator_traitsISK_E10value_typeET2_T3_PNSL_ISQ_E10value_typeET4_jRbjT5_SW_jjP12ihipStream_tbEUlT_E_NS1_11comp_targetILNS1_3genE2ELNS1_11target_archE906ELNS1_3gpuE6ELNS1_3repE0EEENS1_30default_config_static_selectorELNS0_4arch9wavefront6targetE0EEEvSK_
    .private_segment_fixed_size: 0
    .sgpr_count:     0
    .sgpr_spill_count: 0
    .symbol:         _ZN7rocprim17ROCPRIM_400000_NS6detail17trampoline_kernelINS0_14default_configENS1_36segmented_radix_sort_config_selectorIalEEZNS1_25segmented_radix_sort_implIS3_Lb0EPKaPaPKlPlN2at6native12_GLOBAL__N_18offset_tEEE10hipError_tPvRmT1_PNSt15iterator_traitsISK_E10value_typeET2_T3_PNSL_ISQ_E10value_typeET4_jRbjT5_SW_jjP12ihipStream_tbEUlT_E_NS1_11comp_targetILNS1_3genE2ELNS1_11target_archE906ELNS1_3gpuE6ELNS1_3repE0EEENS1_30default_config_static_selectorELNS0_4arch9wavefront6targetE0EEEvSK_.kd
    .uniform_work_group_size: 1
    .uses_dynamic_stack: false
    .vgpr_count:     0
    .vgpr_spill_count: 0
    .wavefront_size: 32
    .workgroup_processor_mode: 1
  - .args:
      - .offset:         0
        .size:           96
        .value_kind:     by_value
      - .offset:         96
        .size:           4
        .value_kind:     hidden_block_count_x
      - .offset:         100
        .size:           4
        .value_kind:     hidden_block_count_y
      - .offset:         104
        .size:           4
        .value_kind:     hidden_block_count_z
      - .offset:         108
        .size:           2
        .value_kind:     hidden_group_size_x
      - .offset:         110
        .size:           2
        .value_kind:     hidden_group_size_y
      - .offset:         112
        .size:           2
        .value_kind:     hidden_group_size_z
      - .offset:         114
        .size:           2
        .value_kind:     hidden_remainder_x
      - .offset:         116
        .size:           2
        .value_kind:     hidden_remainder_y
      - .offset:         118
        .size:           2
        .value_kind:     hidden_remainder_z
      - .offset:         136
        .size:           8
        .value_kind:     hidden_global_offset_x
      - .offset:         144
        .size:           8
        .value_kind:     hidden_global_offset_y
      - .offset:         152
        .size:           8
        .value_kind:     hidden_global_offset_z
      - .offset:         160
        .size:           2
        .value_kind:     hidden_grid_dims
    .group_segment_fixed_size: 17440
    .kernarg_segment_align: 8
    .kernarg_segment_size: 352
    .language:       OpenCL C
    .language_version:
      - 2
      - 0
    .max_flat_workgroup_size: 256
    .name:           _ZN7rocprim17ROCPRIM_400000_NS6detail17trampoline_kernelINS0_14default_configENS1_36segmented_radix_sort_config_selectorIalEEZNS1_25segmented_radix_sort_implIS3_Lb0EPKaPaPKlPlN2at6native12_GLOBAL__N_18offset_tEEE10hipError_tPvRmT1_PNSt15iterator_traitsISK_E10value_typeET2_T3_PNSL_ISQ_E10value_typeET4_jRbjT5_SW_jjP12ihipStream_tbEUlT_E_NS1_11comp_targetILNS1_3genE10ELNS1_11target_archE1201ELNS1_3gpuE5ELNS1_3repE0EEENS1_30default_config_static_selectorELNS0_4arch9wavefront6targetE0EEEvSK_
    .private_segment_fixed_size: 0
    .sgpr_count:     52
    .sgpr_spill_count: 0
    .symbol:         _ZN7rocprim17ROCPRIM_400000_NS6detail17trampoline_kernelINS0_14default_configENS1_36segmented_radix_sort_config_selectorIalEEZNS1_25segmented_radix_sort_implIS3_Lb0EPKaPaPKlPlN2at6native12_GLOBAL__N_18offset_tEEE10hipError_tPvRmT1_PNSt15iterator_traitsISK_E10value_typeET2_T3_PNSL_ISQ_E10value_typeET4_jRbjT5_SW_jjP12ihipStream_tbEUlT_E_NS1_11comp_targetILNS1_3genE10ELNS1_11target_archE1201ELNS1_3gpuE5ELNS1_3repE0EEENS1_30default_config_static_selectorELNS0_4arch9wavefront6targetE0EEEvSK_.kd
    .uniform_work_group_size: 1
    .uses_dynamic_stack: false
    .vgpr_count:     197
    .vgpr_spill_count: 0
    .wavefront_size: 32
    .workgroup_processor_mode: 1
  - .args:
      - .offset:         0
        .size:           96
        .value_kind:     by_value
    .group_segment_fixed_size: 0
    .kernarg_segment_align: 8
    .kernarg_segment_size: 96
    .language:       OpenCL C
    .language_version:
      - 2
      - 0
    .max_flat_workgroup_size: 128
    .name:           _ZN7rocprim17ROCPRIM_400000_NS6detail17trampoline_kernelINS0_14default_configENS1_36segmented_radix_sort_config_selectorIalEEZNS1_25segmented_radix_sort_implIS3_Lb0EPKaPaPKlPlN2at6native12_GLOBAL__N_18offset_tEEE10hipError_tPvRmT1_PNSt15iterator_traitsISK_E10value_typeET2_T3_PNSL_ISQ_E10value_typeET4_jRbjT5_SW_jjP12ihipStream_tbEUlT_E_NS1_11comp_targetILNS1_3genE10ELNS1_11target_archE1200ELNS1_3gpuE4ELNS1_3repE0EEENS1_30default_config_static_selectorELNS0_4arch9wavefront6targetE0EEEvSK_
    .private_segment_fixed_size: 0
    .sgpr_count:     0
    .sgpr_spill_count: 0
    .symbol:         _ZN7rocprim17ROCPRIM_400000_NS6detail17trampoline_kernelINS0_14default_configENS1_36segmented_radix_sort_config_selectorIalEEZNS1_25segmented_radix_sort_implIS3_Lb0EPKaPaPKlPlN2at6native12_GLOBAL__N_18offset_tEEE10hipError_tPvRmT1_PNSt15iterator_traitsISK_E10value_typeET2_T3_PNSL_ISQ_E10value_typeET4_jRbjT5_SW_jjP12ihipStream_tbEUlT_E_NS1_11comp_targetILNS1_3genE10ELNS1_11target_archE1200ELNS1_3gpuE4ELNS1_3repE0EEENS1_30default_config_static_selectorELNS0_4arch9wavefront6targetE0EEEvSK_.kd
    .uniform_work_group_size: 1
    .uses_dynamic_stack: false
    .vgpr_count:     0
    .vgpr_spill_count: 0
    .wavefront_size: 32
    .workgroup_processor_mode: 1
  - .args:
      - .offset:         0
        .size:           96
        .value_kind:     by_value
    .group_segment_fixed_size: 0
    .kernarg_segment_align: 8
    .kernarg_segment_size: 96
    .language:       OpenCL C
    .language_version:
      - 2
      - 0
    .max_flat_workgroup_size: 256
    .name:           _ZN7rocprim17ROCPRIM_400000_NS6detail17trampoline_kernelINS0_14default_configENS1_36segmented_radix_sort_config_selectorIalEEZNS1_25segmented_radix_sort_implIS3_Lb0EPKaPaPKlPlN2at6native12_GLOBAL__N_18offset_tEEE10hipError_tPvRmT1_PNSt15iterator_traitsISK_E10value_typeET2_T3_PNSL_ISQ_E10value_typeET4_jRbjT5_SW_jjP12ihipStream_tbEUlT_E_NS1_11comp_targetILNS1_3genE9ELNS1_11target_archE1100ELNS1_3gpuE3ELNS1_3repE0EEENS1_30default_config_static_selectorELNS0_4arch9wavefront6targetE0EEEvSK_
    .private_segment_fixed_size: 0
    .sgpr_count:     0
    .sgpr_spill_count: 0
    .symbol:         _ZN7rocprim17ROCPRIM_400000_NS6detail17trampoline_kernelINS0_14default_configENS1_36segmented_radix_sort_config_selectorIalEEZNS1_25segmented_radix_sort_implIS3_Lb0EPKaPaPKlPlN2at6native12_GLOBAL__N_18offset_tEEE10hipError_tPvRmT1_PNSt15iterator_traitsISK_E10value_typeET2_T3_PNSL_ISQ_E10value_typeET4_jRbjT5_SW_jjP12ihipStream_tbEUlT_E_NS1_11comp_targetILNS1_3genE9ELNS1_11target_archE1100ELNS1_3gpuE3ELNS1_3repE0EEENS1_30default_config_static_selectorELNS0_4arch9wavefront6targetE0EEEvSK_.kd
    .uniform_work_group_size: 1
    .uses_dynamic_stack: false
    .vgpr_count:     0
    .vgpr_spill_count: 0
    .wavefront_size: 32
    .workgroup_processor_mode: 1
  - .args:
      - .offset:         0
        .size:           96
        .value_kind:     by_value
    .group_segment_fixed_size: 0
    .kernarg_segment_align: 8
    .kernarg_segment_size: 96
    .language:       OpenCL C
    .language_version:
      - 2
      - 0
    .max_flat_workgroup_size: 256
    .name:           _ZN7rocprim17ROCPRIM_400000_NS6detail17trampoline_kernelINS0_14default_configENS1_36segmented_radix_sort_config_selectorIalEEZNS1_25segmented_radix_sort_implIS3_Lb0EPKaPaPKlPlN2at6native12_GLOBAL__N_18offset_tEEE10hipError_tPvRmT1_PNSt15iterator_traitsISK_E10value_typeET2_T3_PNSL_ISQ_E10value_typeET4_jRbjT5_SW_jjP12ihipStream_tbEUlT_E_NS1_11comp_targetILNS1_3genE8ELNS1_11target_archE1030ELNS1_3gpuE2ELNS1_3repE0EEENS1_30default_config_static_selectorELNS0_4arch9wavefront6targetE0EEEvSK_
    .private_segment_fixed_size: 0
    .sgpr_count:     0
    .sgpr_spill_count: 0
    .symbol:         _ZN7rocprim17ROCPRIM_400000_NS6detail17trampoline_kernelINS0_14default_configENS1_36segmented_radix_sort_config_selectorIalEEZNS1_25segmented_radix_sort_implIS3_Lb0EPKaPaPKlPlN2at6native12_GLOBAL__N_18offset_tEEE10hipError_tPvRmT1_PNSt15iterator_traitsISK_E10value_typeET2_T3_PNSL_ISQ_E10value_typeET4_jRbjT5_SW_jjP12ihipStream_tbEUlT_E_NS1_11comp_targetILNS1_3genE8ELNS1_11target_archE1030ELNS1_3gpuE2ELNS1_3repE0EEENS1_30default_config_static_selectorELNS0_4arch9wavefront6targetE0EEEvSK_.kd
    .uniform_work_group_size: 1
    .uses_dynamic_stack: false
    .vgpr_count:     0
    .vgpr_spill_count: 0
    .wavefront_size: 32
    .workgroup_processor_mode: 1
  - .args:
      - .offset:         0
        .size:           88
        .value_kind:     by_value
    .group_segment_fixed_size: 0
    .kernarg_segment_align: 8
    .kernarg_segment_size: 88
    .language:       OpenCL C
    .language_version:
      - 2
      - 0
    .max_flat_workgroup_size: 256
    .name:           _ZN7rocprim17ROCPRIM_400000_NS6detail17trampoline_kernelINS0_14default_configENS1_36segmented_radix_sort_config_selectorIalEEZNS1_25segmented_radix_sort_implIS3_Lb0EPKaPaPKlPlN2at6native12_GLOBAL__N_18offset_tEEE10hipError_tPvRmT1_PNSt15iterator_traitsISK_E10value_typeET2_T3_PNSL_ISQ_E10value_typeET4_jRbjT5_SW_jjP12ihipStream_tbEUlT_E0_NS1_11comp_targetILNS1_3genE0ELNS1_11target_archE4294967295ELNS1_3gpuE0ELNS1_3repE0EEENS1_60segmented_radix_sort_warp_sort_medium_config_static_selectorELNS0_4arch9wavefront6targetE0EEEvSK_
    .private_segment_fixed_size: 0
    .sgpr_count:     0
    .sgpr_spill_count: 0
    .symbol:         _ZN7rocprim17ROCPRIM_400000_NS6detail17trampoline_kernelINS0_14default_configENS1_36segmented_radix_sort_config_selectorIalEEZNS1_25segmented_radix_sort_implIS3_Lb0EPKaPaPKlPlN2at6native12_GLOBAL__N_18offset_tEEE10hipError_tPvRmT1_PNSt15iterator_traitsISK_E10value_typeET2_T3_PNSL_ISQ_E10value_typeET4_jRbjT5_SW_jjP12ihipStream_tbEUlT_E0_NS1_11comp_targetILNS1_3genE0ELNS1_11target_archE4294967295ELNS1_3gpuE0ELNS1_3repE0EEENS1_60segmented_radix_sort_warp_sort_medium_config_static_selectorELNS0_4arch9wavefront6targetE0EEEvSK_.kd
    .uniform_work_group_size: 1
    .uses_dynamic_stack: false
    .vgpr_count:     0
    .vgpr_spill_count: 0
    .wavefront_size: 32
    .workgroup_processor_mode: 1
  - .args:
      - .offset:         0
        .size:           88
        .value_kind:     by_value
    .group_segment_fixed_size: 0
    .kernarg_segment_align: 8
    .kernarg_segment_size: 88
    .language:       OpenCL C
    .language_version:
      - 2
      - 0
    .max_flat_workgroup_size: 256
    .name:           _ZN7rocprim17ROCPRIM_400000_NS6detail17trampoline_kernelINS0_14default_configENS1_36segmented_radix_sort_config_selectorIalEEZNS1_25segmented_radix_sort_implIS3_Lb0EPKaPaPKlPlN2at6native12_GLOBAL__N_18offset_tEEE10hipError_tPvRmT1_PNSt15iterator_traitsISK_E10value_typeET2_T3_PNSL_ISQ_E10value_typeET4_jRbjT5_SW_jjP12ihipStream_tbEUlT_E0_NS1_11comp_targetILNS1_3genE5ELNS1_11target_archE942ELNS1_3gpuE9ELNS1_3repE0EEENS1_60segmented_radix_sort_warp_sort_medium_config_static_selectorELNS0_4arch9wavefront6targetE0EEEvSK_
    .private_segment_fixed_size: 0
    .sgpr_count:     0
    .sgpr_spill_count: 0
    .symbol:         _ZN7rocprim17ROCPRIM_400000_NS6detail17trampoline_kernelINS0_14default_configENS1_36segmented_radix_sort_config_selectorIalEEZNS1_25segmented_radix_sort_implIS3_Lb0EPKaPaPKlPlN2at6native12_GLOBAL__N_18offset_tEEE10hipError_tPvRmT1_PNSt15iterator_traitsISK_E10value_typeET2_T3_PNSL_ISQ_E10value_typeET4_jRbjT5_SW_jjP12ihipStream_tbEUlT_E0_NS1_11comp_targetILNS1_3genE5ELNS1_11target_archE942ELNS1_3gpuE9ELNS1_3repE0EEENS1_60segmented_radix_sort_warp_sort_medium_config_static_selectorELNS0_4arch9wavefront6targetE0EEEvSK_.kd
    .uniform_work_group_size: 1
    .uses_dynamic_stack: false
    .vgpr_count:     0
    .vgpr_spill_count: 0
    .wavefront_size: 32
    .workgroup_processor_mode: 1
  - .args:
      - .offset:         0
        .size:           88
        .value_kind:     by_value
    .group_segment_fixed_size: 0
    .kernarg_segment_align: 8
    .kernarg_segment_size: 88
    .language:       OpenCL C
    .language_version:
      - 2
      - 0
    .max_flat_workgroup_size: 256
    .name:           _ZN7rocprim17ROCPRIM_400000_NS6detail17trampoline_kernelINS0_14default_configENS1_36segmented_radix_sort_config_selectorIalEEZNS1_25segmented_radix_sort_implIS3_Lb0EPKaPaPKlPlN2at6native12_GLOBAL__N_18offset_tEEE10hipError_tPvRmT1_PNSt15iterator_traitsISK_E10value_typeET2_T3_PNSL_ISQ_E10value_typeET4_jRbjT5_SW_jjP12ihipStream_tbEUlT_E0_NS1_11comp_targetILNS1_3genE4ELNS1_11target_archE910ELNS1_3gpuE8ELNS1_3repE0EEENS1_60segmented_radix_sort_warp_sort_medium_config_static_selectorELNS0_4arch9wavefront6targetE0EEEvSK_
    .private_segment_fixed_size: 0
    .sgpr_count:     0
    .sgpr_spill_count: 0
    .symbol:         _ZN7rocprim17ROCPRIM_400000_NS6detail17trampoline_kernelINS0_14default_configENS1_36segmented_radix_sort_config_selectorIalEEZNS1_25segmented_radix_sort_implIS3_Lb0EPKaPaPKlPlN2at6native12_GLOBAL__N_18offset_tEEE10hipError_tPvRmT1_PNSt15iterator_traitsISK_E10value_typeET2_T3_PNSL_ISQ_E10value_typeET4_jRbjT5_SW_jjP12ihipStream_tbEUlT_E0_NS1_11comp_targetILNS1_3genE4ELNS1_11target_archE910ELNS1_3gpuE8ELNS1_3repE0EEENS1_60segmented_radix_sort_warp_sort_medium_config_static_selectorELNS0_4arch9wavefront6targetE0EEEvSK_.kd
    .uniform_work_group_size: 1
    .uses_dynamic_stack: false
    .vgpr_count:     0
    .vgpr_spill_count: 0
    .wavefront_size: 32
    .workgroup_processor_mode: 1
  - .args:
      - .offset:         0
        .size:           88
        .value_kind:     by_value
    .group_segment_fixed_size: 0
    .kernarg_segment_align: 8
    .kernarg_segment_size: 88
    .language:       OpenCL C
    .language_version:
      - 2
      - 0
    .max_flat_workgroup_size: 256
    .name:           _ZN7rocprim17ROCPRIM_400000_NS6detail17trampoline_kernelINS0_14default_configENS1_36segmented_radix_sort_config_selectorIalEEZNS1_25segmented_radix_sort_implIS3_Lb0EPKaPaPKlPlN2at6native12_GLOBAL__N_18offset_tEEE10hipError_tPvRmT1_PNSt15iterator_traitsISK_E10value_typeET2_T3_PNSL_ISQ_E10value_typeET4_jRbjT5_SW_jjP12ihipStream_tbEUlT_E0_NS1_11comp_targetILNS1_3genE3ELNS1_11target_archE908ELNS1_3gpuE7ELNS1_3repE0EEENS1_60segmented_radix_sort_warp_sort_medium_config_static_selectorELNS0_4arch9wavefront6targetE0EEEvSK_
    .private_segment_fixed_size: 0
    .sgpr_count:     0
    .sgpr_spill_count: 0
    .symbol:         _ZN7rocprim17ROCPRIM_400000_NS6detail17trampoline_kernelINS0_14default_configENS1_36segmented_radix_sort_config_selectorIalEEZNS1_25segmented_radix_sort_implIS3_Lb0EPKaPaPKlPlN2at6native12_GLOBAL__N_18offset_tEEE10hipError_tPvRmT1_PNSt15iterator_traitsISK_E10value_typeET2_T3_PNSL_ISQ_E10value_typeET4_jRbjT5_SW_jjP12ihipStream_tbEUlT_E0_NS1_11comp_targetILNS1_3genE3ELNS1_11target_archE908ELNS1_3gpuE7ELNS1_3repE0EEENS1_60segmented_radix_sort_warp_sort_medium_config_static_selectorELNS0_4arch9wavefront6targetE0EEEvSK_.kd
    .uniform_work_group_size: 1
    .uses_dynamic_stack: false
    .vgpr_count:     0
    .vgpr_spill_count: 0
    .wavefront_size: 32
    .workgroup_processor_mode: 1
  - .args:
      - .offset:         0
        .size:           88
        .value_kind:     by_value
    .group_segment_fixed_size: 0
    .kernarg_segment_align: 8
    .kernarg_segment_size: 88
    .language:       OpenCL C
    .language_version:
      - 2
      - 0
    .max_flat_workgroup_size: 256
    .name:           _ZN7rocprim17ROCPRIM_400000_NS6detail17trampoline_kernelINS0_14default_configENS1_36segmented_radix_sort_config_selectorIalEEZNS1_25segmented_radix_sort_implIS3_Lb0EPKaPaPKlPlN2at6native12_GLOBAL__N_18offset_tEEE10hipError_tPvRmT1_PNSt15iterator_traitsISK_E10value_typeET2_T3_PNSL_ISQ_E10value_typeET4_jRbjT5_SW_jjP12ihipStream_tbEUlT_E0_NS1_11comp_targetILNS1_3genE2ELNS1_11target_archE906ELNS1_3gpuE6ELNS1_3repE0EEENS1_60segmented_radix_sort_warp_sort_medium_config_static_selectorELNS0_4arch9wavefront6targetE0EEEvSK_
    .private_segment_fixed_size: 0
    .sgpr_count:     0
    .sgpr_spill_count: 0
    .symbol:         _ZN7rocprim17ROCPRIM_400000_NS6detail17trampoline_kernelINS0_14default_configENS1_36segmented_radix_sort_config_selectorIalEEZNS1_25segmented_radix_sort_implIS3_Lb0EPKaPaPKlPlN2at6native12_GLOBAL__N_18offset_tEEE10hipError_tPvRmT1_PNSt15iterator_traitsISK_E10value_typeET2_T3_PNSL_ISQ_E10value_typeET4_jRbjT5_SW_jjP12ihipStream_tbEUlT_E0_NS1_11comp_targetILNS1_3genE2ELNS1_11target_archE906ELNS1_3gpuE6ELNS1_3repE0EEENS1_60segmented_radix_sort_warp_sort_medium_config_static_selectorELNS0_4arch9wavefront6targetE0EEEvSK_.kd
    .uniform_work_group_size: 1
    .uses_dynamic_stack: false
    .vgpr_count:     0
    .vgpr_spill_count: 0
    .wavefront_size: 32
    .workgroup_processor_mode: 1
  - .args:
      - .offset:         0
        .size:           88
        .value_kind:     by_value
      - .offset:         88
        .size:           4
        .value_kind:     hidden_block_count_x
      - .offset:         92
        .size:           4
        .value_kind:     hidden_block_count_y
      - .offset:         96
        .size:           4
        .value_kind:     hidden_block_count_z
      - .offset:         100
        .size:           2
        .value_kind:     hidden_group_size_x
      - .offset:         102
        .size:           2
        .value_kind:     hidden_group_size_y
      - .offset:         104
        .size:           2
        .value_kind:     hidden_group_size_z
      - .offset:         106
        .size:           2
        .value_kind:     hidden_remainder_x
      - .offset:         108
        .size:           2
        .value_kind:     hidden_remainder_y
      - .offset:         110
        .size:           2
        .value_kind:     hidden_remainder_z
      - .offset:         128
        .size:           8
        .value_kind:     hidden_global_offset_x
      - .offset:         136
        .size:           8
        .value_kind:     hidden_global_offset_y
      - .offset:         144
        .size:           8
        .value_kind:     hidden_global_offset_z
      - .offset:         152
        .size:           2
        .value_kind:     hidden_grid_dims
    .group_segment_fixed_size: 18432
    .kernarg_segment_align: 8
    .kernarg_segment_size: 344
    .language:       OpenCL C
    .language_version:
      - 2
      - 0
    .max_flat_workgroup_size: 256
    .name:           _ZN7rocprim17ROCPRIM_400000_NS6detail17trampoline_kernelINS0_14default_configENS1_36segmented_radix_sort_config_selectorIalEEZNS1_25segmented_radix_sort_implIS3_Lb0EPKaPaPKlPlN2at6native12_GLOBAL__N_18offset_tEEE10hipError_tPvRmT1_PNSt15iterator_traitsISK_E10value_typeET2_T3_PNSL_ISQ_E10value_typeET4_jRbjT5_SW_jjP12ihipStream_tbEUlT_E0_NS1_11comp_targetILNS1_3genE10ELNS1_11target_archE1201ELNS1_3gpuE5ELNS1_3repE0EEENS1_60segmented_radix_sort_warp_sort_medium_config_static_selectorELNS0_4arch9wavefront6targetE0EEEvSK_
    .private_segment_fixed_size: 0
    .sgpr_count:     46
    .sgpr_spill_count: 0
    .symbol:         _ZN7rocprim17ROCPRIM_400000_NS6detail17trampoline_kernelINS0_14default_configENS1_36segmented_radix_sort_config_selectorIalEEZNS1_25segmented_radix_sort_implIS3_Lb0EPKaPaPKlPlN2at6native12_GLOBAL__N_18offset_tEEE10hipError_tPvRmT1_PNSt15iterator_traitsISK_E10value_typeET2_T3_PNSL_ISQ_E10value_typeET4_jRbjT5_SW_jjP12ihipStream_tbEUlT_E0_NS1_11comp_targetILNS1_3genE10ELNS1_11target_archE1201ELNS1_3gpuE5ELNS1_3repE0EEENS1_60segmented_radix_sort_warp_sort_medium_config_static_selectorELNS0_4arch9wavefront6targetE0EEEvSK_.kd
    .uniform_work_group_size: 1
    .uses_dynamic_stack: false
    .vgpr_count:     68
    .vgpr_spill_count: 0
    .wavefront_size: 32
    .workgroup_processor_mode: 1
  - .args:
      - .offset:         0
        .size:           88
        .value_kind:     by_value
    .group_segment_fixed_size: 0
    .kernarg_segment_align: 8
    .kernarg_segment_size: 88
    .language:       OpenCL C
    .language_version:
      - 2
      - 0
    .max_flat_workgroup_size: 256
    .name:           _ZN7rocprim17ROCPRIM_400000_NS6detail17trampoline_kernelINS0_14default_configENS1_36segmented_radix_sort_config_selectorIalEEZNS1_25segmented_radix_sort_implIS3_Lb0EPKaPaPKlPlN2at6native12_GLOBAL__N_18offset_tEEE10hipError_tPvRmT1_PNSt15iterator_traitsISK_E10value_typeET2_T3_PNSL_ISQ_E10value_typeET4_jRbjT5_SW_jjP12ihipStream_tbEUlT_E0_NS1_11comp_targetILNS1_3genE10ELNS1_11target_archE1200ELNS1_3gpuE4ELNS1_3repE0EEENS1_60segmented_radix_sort_warp_sort_medium_config_static_selectorELNS0_4arch9wavefront6targetE0EEEvSK_
    .private_segment_fixed_size: 0
    .sgpr_count:     0
    .sgpr_spill_count: 0
    .symbol:         _ZN7rocprim17ROCPRIM_400000_NS6detail17trampoline_kernelINS0_14default_configENS1_36segmented_radix_sort_config_selectorIalEEZNS1_25segmented_radix_sort_implIS3_Lb0EPKaPaPKlPlN2at6native12_GLOBAL__N_18offset_tEEE10hipError_tPvRmT1_PNSt15iterator_traitsISK_E10value_typeET2_T3_PNSL_ISQ_E10value_typeET4_jRbjT5_SW_jjP12ihipStream_tbEUlT_E0_NS1_11comp_targetILNS1_3genE10ELNS1_11target_archE1200ELNS1_3gpuE4ELNS1_3repE0EEENS1_60segmented_radix_sort_warp_sort_medium_config_static_selectorELNS0_4arch9wavefront6targetE0EEEvSK_.kd
    .uniform_work_group_size: 1
    .uses_dynamic_stack: false
    .vgpr_count:     0
    .vgpr_spill_count: 0
    .wavefront_size: 32
    .workgroup_processor_mode: 1
  - .args:
      - .offset:         0
        .size:           88
        .value_kind:     by_value
    .group_segment_fixed_size: 0
    .kernarg_segment_align: 8
    .kernarg_segment_size: 88
    .language:       OpenCL C
    .language_version:
      - 2
      - 0
    .max_flat_workgroup_size: 256
    .name:           _ZN7rocprim17ROCPRIM_400000_NS6detail17trampoline_kernelINS0_14default_configENS1_36segmented_radix_sort_config_selectorIalEEZNS1_25segmented_radix_sort_implIS3_Lb0EPKaPaPKlPlN2at6native12_GLOBAL__N_18offset_tEEE10hipError_tPvRmT1_PNSt15iterator_traitsISK_E10value_typeET2_T3_PNSL_ISQ_E10value_typeET4_jRbjT5_SW_jjP12ihipStream_tbEUlT_E0_NS1_11comp_targetILNS1_3genE9ELNS1_11target_archE1100ELNS1_3gpuE3ELNS1_3repE0EEENS1_60segmented_radix_sort_warp_sort_medium_config_static_selectorELNS0_4arch9wavefront6targetE0EEEvSK_
    .private_segment_fixed_size: 0
    .sgpr_count:     0
    .sgpr_spill_count: 0
    .symbol:         _ZN7rocprim17ROCPRIM_400000_NS6detail17trampoline_kernelINS0_14default_configENS1_36segmented_radix_sort_config_selectorIalEEZNS1_25segmented_radix_sort_implIS3_Lb0EPKaPaPKlPlN2at6native12_GLOBAL__N_18offset_tEEE10hipError_tPvRmT1_PNSt15iterator_traitsISK_E10value_typeET2_T3_PNSL_ISQ_E10value_typeET4_jRbjT5_SW_jjP12ihipStream_tbEUlT_E0_NS1_11comp_targetILNS1_3genE9ELNS1_11target_archE1100ELNS1_3gpuE3ELNS1_3repE0EEENS1_60segmented_radix_sort_warp_sort_medium_config_static_selectorELNS0_4arch9wavefront6targetE0EEEvSK_.kd
    .uniform_work_group_size: 1
    .uses_dynamic_stack: false
    .vgpr_count:     0
    .vgpr_spill_count: 0
    .wavefront_size: 32
    .workgroup_processor_mode: 1
  - .args:
      - .offset:         0
        .size:           88
        .value_kind:     by_value
    .group_segment_fixed_size: 0
    .kernarg_segment_align: 8
    .kernarg_segment_size: 88
    .language:       OpenCL C
    .language_version:
      - 2
      - 0
    .max_flat_workgroup_size: 256
    .name:           _ZN7rocprim17ROCPRIM_400000_NS6detail17trampoline_kernelINS0_14default_configENS1_36segmented_radix_sort_config_selectorIalEEZNS1_25segmented_radix_sort_implIS3_Lb0EPKaPaPKlPlN2at6native12_GLOBAL__N_18offset_tEEE10hipError_tPvRmT1_PNSt15iterator_traitsISK_E10value_typeET2_T3_PNSL_ISQ_E10value_typeET4_jRbjT5_SW_jjP12ihipStream_tbEUlT_E0_NS1_11comp_targetILNS1_3genE8ELNS1_11target_archE1030ELNS1_3gpuE2ELNS1_3repE0EEENS1_60segmented_radix_sort_warp_sort_medium_config_static_selectorELNS0_4arch9wavefront6targetE0EEEvSK_
    .private_segment_fixed_size: 0
    .sgpr_count:     0
    .sgpr_spill_count: 0
    .symbol:         _ZN7rocprim17ROCPRIM_400000_NS6detail17trampoline_kernelINS0_14default_configENS1_36segmented_radix_sort_config_selectorIalEEZNS1_25segmented_radix_sort_implIS3_Lb0EPKaPaPKlPlN2at6native12_GLOBAL__N_18offset_tEEE10hipError_tPvRmT1_PNSt15iterator_traitsISK_E10value_typeET2_T3_PNSL_ISQ_E10value_typeET4_jRbjT5_SW_jjP12ihipStream_tbEUlT_E0_NS1_11comp_targetILNS1_3genE8ELNS1_11target_archE1030ELNS1_3gpuE2ELNS1_3repE0EEENS1_60segmented_radix_sort_warp_sort_medium_config_static_selectorELNS0_4arch9wavefront6targetE0EEEvSK_.kd
    .uniform_work_group_size: 1
    .uses_dynamic_stack: false
    .vgpr_count:     0
    .vgpr_spill_count: 0
    .wavefront_size: 32
    .workgroup_processor_mode: 1
  - .args:
      - .offset:         0
        .size:           88
        .value_kind:     by_value
    .group_segment_fixed_size: 0
    .kernarg_segment_align: 8
    .kernarg_segment_size: 88
    .language:       OpenCL C
    .language_version:
      - 2
      - 0
    .max_flat_workgroup_size: 256
    .name:           _ZN7rocprim17ROCPRIM_400000_NS6detail17trampoline_kernelINS0_14default_configENS1_36segmented_radix_sort_config_selectorIalEEZNS1_25segmented_radix_sort_implIS3_Lb0EPKaPaPKlPlN2at6native12_GLOBAL__N_18offset_tEEE10hipError_tPvRmT1_PNSt15iterator_traitsISK_E10value_typeET2_T3_PNSL_ISQ_E10value_typeET4_jRbjT5_SW_jjP12ihipStream_tbEUlT_E1_NS1_11comp_targetILNS1_3genE0ELNS1_11target_archE4294967295ELNS1_3gpuE0ELNS1_3repE0EEENS1_59segmented_radix_sort_warp_sort_small_config_static_selectorELNS0_4arch9wavefront6targetE0EEEvSK_
    .private_segment_fixed_size: 0
    .sgpr_count:     0
    .sgpr_spill_count: 0
    .symbol:         _ZN7rocprim17ROCPRIM_400000_NS6detail17trampoline_kernelINS0_14default_configENS1_36segmented_radix_sort_config_selectorIalEEZNS1_25segmented_radix_sort_implIS3_Lb0EPKaPaPKlPlN2at6native12_GLOBAL__N_18offset_tEEE10hipError_tPvRmT1_PNSt15iterator_traitsISK_E10value_typeET2_T3_PNSL_ISQ_E10value_typeET4_jRbjT5_SW_jjP12ihipStream_tbEUlT_E1_NS1_11comp_targetILNS1_3genE0ELNS1_11target_archE4294967295ELNS1_3gpuE0ELNS1_3repE0EEENS1_59segmented_radix_sort_warp_sort_small_config_static_selectorELNS0_4arch9wavefront6targetE0EEEvSK_.kd
    .uniform_work_group_size: 1
    .uses_dynamic_stack: false
    .vgpr_count:     0
    .vgpr_spill_count: 0
    .wavefront_size: 32
    .workgroup_processor_mode: 1
  - .args:
      - .offset:         0
        .size:           88
        .value_kind:     by_value
    .group_segment_fixed_size: 0
    .kernarg_segment_align: 8
    .kernarg_segment_size: 88
    .language:       OpenCL C
    .language_version:
      - 2
      - 0
    .max_flat_workgroup_size: 256
    .name:           _ZN7rocprim17ROCPRIM_400000_NS6detail17trampoline_kernelINS0_14default_configENS1_36segmented_radix_sort_config_selectorIalEEZNS1_25segmented_radix_sort_implIS3_Lb0EPKaPaPKlPlN2at6native12_GLOBAL__N_18offset_tEEE10hipError_tPvRmT1_PNSt15iterator_traitsISK_E10value_typeET2_T3_PNSL_ISQ_E10value_typeET4_jRbjT5_SW_jjP12ihipStream_tbEUlT_E1_NS1_11comp_targetILNS1_3genE5ELNS1_11target_archE942ELNS1_3gpuE9ELNS1_3repE0EEENS1_59segmented_radix_sort_warp_sort_small_config_static_selectorELNS0_4arch9wavefront6targetE0EEEvSK_
    .private_segment_fixed_size: 0
    .sgpr_count:     0
    .sgpr_spill_count: 0
    .symbol:         _ZN7rocprim17ROCPRIM_400000_NS6detail17trampoline_kernelINS0_14default_configENS1_36segmented_radix_sort_config_selectorIalEEZNS1_25segmented_radix_sort_implIS3_Lb0EPKaPaPKlPlN2at6native12_GLOBAL__N_18offset_tEEE10hipError_tPvRmT1_PNSt15iterator_traitsISK_E10value_typeET2_T3_PNSL_ISQ_E10value_typeET4_jRbjT5_SW_jjP12ihipStream_tbEUlT_E1_NS1_11comp_targetILNS1_3genE5ELNS1_11target_archE942ELNS1_3gpuE9ELNS1_3repE0EEENS1_59segmented_radix_sort_warp_sort_small_config_static_selectorELNS0_4arch9wavefront6targetE0EEEvSK_.kd
    .uniform_work_group_size: 1
    .uses_dynamic_stack: false
    .vgpr_count:     0
    .vgpr_spill_count: 0
    .wavefront_size: 32
    .workgroup_processor_mode: 1
  - .args:
      - .offset:         0
        .size:           88
        .value_kind:     by_value
    .group_segment_fixed_size: 0
    .kernarg_segment_align: 8
    .kernarg_segment_size: 88
    .language:       OpenCL C
    .language_version:
      - 2
      - 0
    .max_flat_workgroup_size: 256
    .name:           _ZN7rocprim17ROCPRIM_400000_NS6detail17trampoline_kernelINS0_14default_configENS1_36segmented_radix_sort_config_selectorIalEEZNS1_25segmented_radix_sort_implIS3_Lb0EPKaPaPKlPlN2at6native12_GLOBAL__N_18offset_tEEE10hipError_tPvRmT1_PNSt15iterator_traitsISK_E10value_typeET2_T3_PNSL_ISQ_E10value_typeET4_jRbjT5_SW_jjP12ihipStream_tbEUlT_E1_NS1_11comp_targetILNS1_3genE4ELNS1_11target_archE910ELNS1_3gpuE8ELNS1_3repE0EEENS1_59segmented_radix_sort_warp_sort_small_config_static_selectorELNS0_4arch9wavefront6targetE0EEEvSK_
    .private_segment_fixed_size: 0
    .sgpr_count:     0
    .sgpr_spill_count: 0
    .symbol:         _ZN7rocprim17ROCPRIM_400000_NS6detail17trampoline_kernelINS0_14default_configENS1_36segmented_radix_sort_config_selectorIalEEZNS1_25segmented_radix_sort_implIS3_Lb0EPKaPaPKlPlN2at6native12_GLOBAL__N_18offset_tEEE10hipError_tPvRmT1_PNSt15iterator_traitsISK_E10value_typeET2_T3_PNSL_ISQ_E10value_typeET4_jRbjT5_SW_jjP12ihipStream_tbEUlT_E1_NS1_11comp_targetILNS1_3genE4ELNS1_11target_archE910ELNS1_3gpuE8ELNS1_3repE0EEENS1_59segmented_radix_sort_warp_sort_small_config_static_selectorELNS0_4arch9wavefront6targetE0EEEvSK_.kd
    .uniform_work_group_size: 1
    .uses_dynamic_stack: false
    .vgpr_count:     0
    .vgpr_spill_count: 0
    .wavefront_size: 32
    .workgroup_processor_mode: 1
  - .args:
      - .offset:         0
        .size:           88
        .value_kind:     by_value
    .group_segment_fixed_size: 0
    .kernarg_segment_align: 8
    .kernarg_segment_size: 88
    .language:       OpenCL C
    .language_version:
      - 2
      - 0
    .max_flat_workgroup_size: 256
    .name:           _ZN7rocprim17ROCPRIM_400000_NS6detail17trampoline_kernelINS0_14default_configENS1_36segmented_radix_sort_config_selectorIalEEZNS1_25segmented_radix_sort_implIS3_Lb0EPKaPaPKlPlN2at6native12_GLOBAL__N_18offset_tEEE10hipError_tPvRmT1_PNSt15iterator_traitsISK_E10value_typeET2_T3_PNSL_ISQ_E10value_typeET4_jRbjT5_SW_jjP12ihipStream_tbEUlT_E1_NS1_11comp_targetILNS1_3genE3ELNS1_11target_archE908ELNS1_3gpuE7ELNS1_3repE0EEENS1_59segmented_radix_sort_warp_sort_small_config_static_selectorELNS0_4arch9wavefront6targetE0EEEvSK_
    .private_segment_fixed_size: 0
    .sgpr_count:     0
    .sgpr_spill_count: 0
    .symbol:         _ZN7rocprim17ROCPRIM_400000_NS6detail17trampoline_kernelINS0_14default_configENS1_36segmented_radix_sort_config_selectorIalEEZNS1_25segmented_radix_sort_implIS3_Lb0EPKaPaPKlPlN2at6native12_GLOBAL__N_18offset_tEEE10hipError_tPvRmT1_PNSt15iterator_traitsISK_E10value_typeET2_T3_PNSL_ISQ_E10value_typeET4_jRbjT5_SW_jjP12ihipStream_tbEUlT_E1_NS1_11comp_targetILNS1_3genE3ELNS1_11target_archE908ELNS1_3gpuE7ELNS1_3repE0EEENS1_59segmented_radix_sort_warp_sort_small_config_static_selectorELNS0_4arch9wavefront6targetE0EEEvSK_.kd
    .uniform_work_group_size: 1
    .uses_dynamic_stack: false
    .vgpr_count:     0
    .vgpr_spill_count: 0
    .wavefront_size: 32
    .workgroup_processor_mode: 1
  - .args:
      - .offset:         0
        .size:           88
        .value_kind:     by_value
    .group_segment_fixed_size: 0
    .kernarg_segment_align: 8
    .kernarg_segment_size: 88
    .language:       OpenCL C
    .language_version:
      - 2
      - 0
    .max_flat_workgroup_size: 256
    .name:           _ZN7rocprim17ROCPRIM_400000_NS6detail17trampoline_kernelINS0_14default_configENS1_36segmented_radix_sort_config_selectorIalEEZNS1_25segmented_radix_sort_implIS3_Lb0EPKaPaPKlPlN2at6native12_GLOBAL__N_18offset_tEEE10hipError_tPvRmT1_PNSt15iterator_traitsISK_E10value_typeET2_T3_PNSL_ISQ_E10value_typeET4_jRbjT5_SW_jjP12ihipStream_tbEUlT_E1_NS1_11comp_targetILNS1_3genE2ELNS1_11target_archE906ELNS1_3gpuE6ELNS1_3repE0EEENS1_59segmented_radix_sort_warp_sort_small_config_static_selectorELNS0_4arch9wavefront6targetE0EEEvSK_
    .private_segment_fixed_size: 0
    .sgpr_count:     0
    .sgpr_spill_count: 0
    .symbol:         _ZN7rocprim17ROCPRIM_400000_NS6detail17trampoline_kernelINS0_14default_configENS1_36segmented_radix_sort_config_selectorIalEEZNS1_25segmented_radix_sort_implIS3_Lb0EPKaPaPKlPlN2at6native12_GLOBAL__N_18offset_tEEE10hipError_tPvRmT1_PNSt15iterator_traitsISK_E10value_typeET2_T3_PNSL_ISQ_E10value_typeET4_jRbjT5_SW_jjP12ihipStream_tbEUlT_E1_NS1_11comp_targetILNS1_3genE2ELNS1_11target_archE906ELNS1_3gpuE6ELNS1_3repE0EEENS1_59segmented_radix_sort_warp_sort_small_config_static_selectorELNS0_4arch9wavefront6targetE0EEEvSK_.kd
    .uniform_work_group_size: 1
    .uses_dynamic_stack: false
    .vgpr_count:     0
    .vgpr_spill_count: 0
    .wavefront_size: 32
    .workgroup_processor_mode: 1
  - .args:
      - .offset:         0
        .size:           88
        .value_kind:     by_value
      - .offset:         88
        .size:           4
        .value_kind:     hidden_block_count_x
      - .offset:         92
        .size:           4
        .value_kind:     hidden_block_count_y
      - .offset:         96
        .size:           4
        .value_kind:     hidden_block_count_z
      - .offset:         100
        .size:           2
        .value_kind:     hidden_group_size_x
      - .offset:         102
        .size:           2
        .value_kind:     hidden_group_size_y
      - .offset:         104
        .size:           2
        .value_kind:     hidden_group_size_z
      - .offset:         106
        .size:           2
        .value_kind:     hidden_remainder_x
      - .offset:         108
        .size:           2
        .value_kind:     hidden_remainder_y
      - .offset:         110
        .size:           2
        .value_kind:     hidden_remainder_z
      - .offset:         128
        .size:           8
        .value_kind:     hidden_global_offset_x
      - .offset:         136
        .size:           8
        .value_kind:     hidden_global_offset_y
      - .offset:         144
        .size:           8
        .value_kind:     hidden_global_offset_z
      - .offset:         152
        .size:           2
        .value_kind:     hidden_grid_dims
    .group_segment_fixed_size: 9216
    .kernarg_segment_align: 8
    .kernarg_segment_size: 344
    .language:       OpenCL C
    .language_version:
      - 2
      - 0
    .max_flat_workgroup_size: 256
    .name:           _ZN7rocprim17ROCPRIM_400000_NS6detail17trampoline_kernelINS0_14default_configENS1_36segmented_radix_sort_config_selectorIalEEZNS1_25segmented_radix_sort_implIS3_Lb0EPKaPaPKlPlN2at6native12_GLOBAL__N_18offset_tEEE10hipError_tPvRmT1_PNSt15iterator_traitsISK_E10value_typeET2_T3_PNSL_ISQ_E10value_typeET4_jRbjT5_SW_jjP12ihipStream_tbEUlT_E1_NS1_11comp_targetILNS1_3genE10ELNS1_11target_archE1201ELNS1_3gpuE5ELNS1_3repE0EEENS1_59segmented_radix_sort_warp_sort_small_config_static_selectorELNS0_4arch9wavefront6targetE0EEEvSK_
    .private_segment_fixed_size: 0
    .sgpr_count:     35
    .sgpr_spill_count: 0
    .symbol:         _ZN7rocprim17ROCPRIM_400000_NS6detail17trampoline_kernelINS0_14default_configENS1_36segmented_radix_sort_config_selectorIalEEZNS1_25segmented_radix_sort_implIS3_Lb0EPKaPaPKlPlN2at6native12_GLOBAL__N_18offset_tEEE10hipError_tPvRmT1_PNSt15iterator_traitsISK_E10value_typeET2_T3_PNSL_ISQ_E10value_typeET4_jRbjT5_SW_jjP12ihipStream_tbEUlT_E1_NS1_11comp_targetILNS1_3genE10ELNS1_11target_archE1201ELNS1_3gpuE5ELNS1_3repE0EEENS1_59segmented_radix_sort_warp_sort_small_config_static_selectorELNS0_4arch9wavefront6targetE0EEEvSK_.kd
    .uniform_work_group_size: 1
    .uses_dynamic_stack: false
    .vgpr_count:     51
    .vgpr_spill_count: 0
    .wavefront_size: 32
    .workgroup_processor_mode: 1
  - .args:
      - .offset:         0
        .size:           88
        .value_kind:     by_value
    .group_segment_fixed_size: 0
    .kernarg_segment_align: 8
    .kernarg_segment_size: 88
    .language:       OpenCL C
    .language_version:
      - 2
      - 0
    .max_flat_workgroup_size: 256
    .name:           _ZN7rocprim17ROCPRIM_400000_NS6detail17trampoline_kernelINS0_14default_configENS1_36segmented_radix_sort_config_selectorIalEEZNS1_25segmented_radix_sort_implIS3_Lb0EPKaPaPKlPlN2at6native12_GLOBAL__N_18offset_tEEE10hipError_tPvRmT1_PNSt15iterator_traitsISK_E10value_typeET2_T3_PNSL_ISQ_E10value_typeET4_jRbjT5_SW_jjP12ihipStream_tbEUlT_E1_NS1_11comp_targetILNS1_3genE10ELNS1_11target_archE1200ELNS1_3gpuE4ELNS1_3repE0EEENS1_59segmented_radix_sort_warp_sort_small_config_static_selectorELNS0_4arch9wavefront6targetE0EEEvSK_
    .private_segment_fixed_size: 0
    .sgpr_count:     0
    .sgpr_spill_count: 0
    .symbol:         _ZN7rocprim17ROCPRIM_400000_NS6detail17trampoline_kernelINS0_14default_configENS1_36segmented_radix_sort_config_selectorIalEEZNS1_25segmented_radix_sort_implIS3_Lb0EPKaPaPKlPlN2at6native12_GLOBAL__N_18offset_tEEE10hipError_tPvRmT1_PNSt15iterator_traitsISK_E10value_typeET2_T3_PNSL_ISQ_E10value_typeET4_jRbjT5_SW_jjP12ihipStream_tbEUlT_E1_NS1_11comp_targetILNS1_3genE10ELNS1_11target_archE1200ELNS1_3gpuE4ELNS1_3repE0EEENS1_59segmented_radix_sort_warp_sort_small_config_static_selectorELNS0_4arch9wavefront6targetE0EEEvSK_.kd
    .uniform_work_group_size: 1
    .uses_dynamic_stack: false
    .vgpr_count:     0
    .vgpr_spill_count: 0
    .wavefront_size: 32
    .workgroup_processor_mode: 1
  - .args:
      - .offset:         0
        .size:           88
        .value_kind:     by_value
    .group_segment_fixed_size: 0
    .kernarg_segment_align: 8
    .kernarg_segment_size: 88
    .language:       OpenCL C
    .language_version:
      - 2
      - 0
    .max_flat_workgroup_size: 256
    .name:           _ZN7rocprim17ROCPRIM_400000_NS6detail17trampoline_kernelINS0_14default_configENS1_36segmented_radix_sort_config_selectorIalEEZNS1_25segmented_radix_sort_implIS3_Lb0EPKaPaPKlPlN2at6native12_GLOBAL__N_18offset_tEEE10hipError_tPvRmT1_PNSt15iterator_traitsISK_E10value_typeET2_T3_PNSL_ISQ_E10value_typeET4_jRbjT5_SW_jjP12ihipStream_tbEUlT_E1_NS1_11comp_targetILNS1_3genE9ELNS1_11target_archE1100ELNS1_3gpuE3ELNS1_3repE0EEENS1_59segmented_radix_sort_warp_sort_small_config_static_selectorELNS0_4arch9wavefront6targetE0EEEvSK_
    .private_segment_fixed_size: 0
    .sgpr_count:     0
    .sgpr_spill_count: 0
    .symbol:         _ZN7rocprim17ROCPRIM_400000_NS6detail17trampoline_kernelINS0_14default_configENS1_36segmented_radix_sort_config_selectorIalEEZNS1_25segmented_radix_sort_implIS3_Lb0EPKaPaPKlPlN2at6native12_GLOBAL__N_18offset_tEEE10hipError_tPvRmT1_PNSt15iterator_traitsISK_E10value_typeET2_T3_PNSL_ISQ_E10value_typeET4_jRbjT5_SW_jjP12ihipStream_tbEUlT_E1_NS1_11comp_targetILNS1_3genE9ELNS1_11target_archE1100ELNS1_3gpuE3ELNS1_3repE0EEENS1_59segmented_radix_sort_warp_sort_small_config_static_selectorELNS0_4arch9wavefront6targetE0EEEvSK_.kd
    .uniform_work_group_size: 1
    .uses_dynamic_stack: false
    .vgpr_count:     0
    .vgpr_spill_count: 0
    .wavefront_size: 32
    .workgroup_processor_mode: 1
  - .args:
      - .offset:         0
        .size:           88
        .value_kind:     by_value
    .group_segment_fixed_size: 0
    .kernarg_segment_align: 8
    .kernarg_segment_size: 88
    .language:       OpenCL C
    .language_version:
      - 2
      - 0
    .max_flat_workgroup_size: 256
    .name:           _ZN7rocprim17ROCPRIM_400000_NS6detail17trampoline_kernelINS0_14default_configENS1_36segmented_radix_sort_config_selectorIalEEZNS1_25segmented_radix_sort_implIS3_Lb0EPKaPaPKlPlN2at6native12_GLOBAL__N_18offset_tEEE10hipError_tPvRmT1_PNSt15iterator_traitsISK_E10value_typeET2_T3_PNSL_ISQ_E10value_typeET4_jRbjT5_SW_jjP12ihipStream_tbEUlT_E1_NS1_11comp_targetILNS1_3genE8ELNS1_11target_archE1030ELNS1_3gpuE2ELNS1_3repE0EEENS1_59segmented_radix_sort_warp_sort_small_config_static_selectorELNS0_4arch9wavefront6targetE0EEEvSK_
    .private_segment_fixed_size: 0
    .sgpr_count:     0
    .sgpr_spill_count: 0
    .symbol:         _ZN7rocprim17ROCPRIM_400000_NS6detail17trampoline_kernelINS0_14default_configENS1_36segmented_radix_sort_config_selectorIalEEZNS1_25segmented_radix_sort_implIS3_Lb0EPKaPaPKlPlN2at6native12_GLOBAL__N_18offset_tEEE10hipError_tPvRmT1_PNSt15iterator_traitsISK_E10value_typeET2_T3_PNSL_ISQ_E10value_typeET4_jRbjT5_SW_jjP12ihipStream_tbEUlT_E1_NS1_11comp_targetILNS1_3genE8ELNS1_11target_archE1030ELNS1_3gpuE2ELNS1_3repE0EEENS1_59segmented_radix_sort_warp_sort_small_config_static_selectorELNS0_4arch9wavefront6targetE0EEEvSK_.kd
    .uniform_work_group_size: 1
    .uses_dynamic_stack: false
    .vgpr_count:     0
    .vgpr_spill_count: 0
    .wavefront_size: 32
    .workgroup_processor_mode: 1
  - .args:
      - .offset:         0
        .size:           80
        .value_kind:     by_value
    .group_segment_fixed_size: 0
    .kernarg_segment_align: 8
    .kernarg_segment_size: 80
    .language:       OpenCL C
    .language_version:
      - 2
      - 0
    .max_flat_workgroup_size: 256
    .name:           _ZN7rocprim17ROCPRIM_400000_NS6detail17trampoline_kernelINS0_14default_configENS1_36segmented_radix_sort_config_selectorIalEEZNS1_25segmented_radix_sort_implIS3_Lb0EPKaPaPKlPlN2at6native12_GLOBAL__N_18offset_tEEE10hipError_tPvRmT1_PNSt15iterator_traitsISK_E10value_typeET2_T3_PNSL_ISQ_E10value_typeET4_jRbjT5_SW_jjP12ihipStream_tbEUlT_E2_NS1_11comp_targetILNS1_3genE0ELNS1_11target_archE4294967295ELNS1_3gpuE0ELNS1_3repE0EEENS1_30default_config_static_selectorELNS0_4arch9wavefront6targetE0EEEvSK_
    .private_segment_fixed_size: 0
    .sgpr_count:     0
    .sgpr_spill_count: 0
    .symbol:         _ZN7rocprim17ROCPRIM_400000_NS6detail17trampoline_kernelINS0_14default_configENS1_36segmented_radix_sort_config_selectorIalEEZNS1_25segmented_radix_sort_implIS3_Lb0EPKaPaPKlPlN2at6native12_GLOBAL__N_18offset_tEEE10hipError_tPvRmT1_PNSt15iterator_traitsISK_E10value_typeET2_T3_PNSL_ISQ_E10value_typeET4_jRbjT5_SW_jjP12ihipStream_tbEUlT_E2_NS1_11comp_targetILNS1_3genE0ELNS1_11target_archE4294967295ELNS1_3gpuE0ELNS1_3repE0EEENS1_30default_config_static_selectorELNS0_4arch9wavefront6targetE0EEEvSK_.kd
    .uniform_work_group_size: 1
    .uses_dynamic_stack: false
    .vgpr_count:     0
    .vgpr_spill_count: 0
    .wavefront_size: 32
    .workgroup_processor_mode: 1
  - .args:
      - .offset:         0
        .size:           80
        .value_kind:     by_value
    .group_segment_fixed_size: 0
    .kernarg_segment_align: 8
    .kernarg_segment_size: 80
    .language:       OpenCL C
    .language_version:
      - 2
      - 0
    .max_flat_workgroup_size: 256
    .name:           _ZN7rocprim17ROCPRIM_400000_NS6detail17trampoline_kernelINS0_14default_configENS1_36segmented_radix_sort_config_selectorIalEEZNS1_25segmented_radix_sort_implIS3_Lb0EPKaPaPKlPlN2at6native12_GLOBAL__N_18offset_tEEE10hipError_tPvRmT1_PNSt15iterator_traitsISK_E10value_typeET2_T3_PNSL_ISQ_E10value_typeET4_jRbjT5_SW_jjP12ihipStream_tbEUlT_E2_NS1_11comp_targetILNS1_3genE5ELNS1_11target_archE942ELNS1_3gpuE9ELNS1_3repE0EEENS1_30default_config_static_selectorELNS0_4arch9wavefront6targetE0EEEvSK_
    .private_segment_fixed_size: 0
    .sgpr_count:     0
    .sgpr_spill_count: 0
    .symbol:         _ZN7rocprim17ROCPRIM_400000_NS6detail17trampoline_kernelINS0_14default_configENS1_36segmented_radix_sort_config_selectorIalEEZNS1_25segmented_radix_sort_implIS3_Lb0EPKaPaPKlPlN2at6native12_GLOBAL__N_18offset_tEEE10hipError_tPvRmT1_PNSt15iterator_traitsISK_E10value_typeET2_T3_PNSL_ISQ_E10value_typeET4_jRbjT5_SW_jjP12ihipStream_tbEUlT_E2_NS1_11comp_targetILNS1_3genE5ELNS1_11target_archE942ELNS1_3gpuE9ELNS1_3repE0EEENS1_30default_config_static_selectorELNS0_4arch9wavefront6targetE0EEEvSK_.kd
    .uniform_work_group_size: 1
    .uses_dynamic_stack: false
    .vgpr_count:     0
    .vgpr_spill_count: 0
    .wavefront_size: 32
    .workgroup_processor_mode: 1
  - .args:
      - .offset:         0
        .size:           80
        .value_kind:     by_value
    .group_segment_fixed_size: 0
    .kernarg_segment_align: 8
    .kernarg_segment_size: 80
    .language:       OpenCL C
    .language_version:
      - 2
      - 0
    .max_flat_workgroup_size: 256
    .name:           _ZN7rocprim17ROCPRIM_400000_NS6detail17trampoline_kernelINS0_14default_configENS1_36segmented_radix_sort_config_selectorIalEEZNS1_25segmented_radix_sort_implIS3_Lb0EPKaPaPKlPlN2at6native12_GLOBAL__N_18offset_tEEE10hipError_tPvRmT1_PNSt15iterator_traitsISK_E10value_typeET2_T3_PNSL_ISQ_E10value_typeET4_jRbjT5_SW_jjP12ihipStream_tbEUlT_E2_NS1_11comp_targetILNS1_3genE4ELNS1_11target_archE910ELNS1_3gpuE8ELNS1_3repE0EEENS1_30default_config_static_selectorELNS0_4arch9wavefront6targetE0EEEvSK_
    .private_segment_fixed_size: 0
    .sgpr_count:     0
    .sgpr_spill_count: 0
    .symbol:         _ZN7rocprim17ROCPRIM_400000_NS6detail17trampoline_kernelINS0_14default_configENS1_36segmented_radix_sort_config_selectorIalEEZNS1_25segmented_radix_sort_implIS3_Lb0EPKaPaPKlPlN2at6native12_GLOBAL__N_18offset_tEEE10hipError_tPvRmT1_PNSt15iterator_traitsISK_E10value_typeET2_T3_PNSL_ISQ_E10value_typeET4_jRbjT5_SW_jjP12ihipStream_tbEUlT_E2_NS1_11comp_targetILNS1_3genE4ELNS1_11target_archE910ELNS1_3gpuE8ELNS1_3repE0EEENS1_30default_config_static_selectorELNS0_4arch9wavefront6targetE0EEEvSK_.kd
    .uniform_work_group_size: 1
    .uses_dynamic_stack: false
    .vgpr_count:     0
    .vgpr_spill_count: 0
    .wavefront_size: 32
    .workgroup_processor_mode: 1
  - .args:
      - .offset:         0
        .size:           80
        .value_kind:     by_value
    .group_segment_fixed_size: 0
    .kernarg_segment_align: 8
    .kernarg_segment_size: 80
    .language:       OpenCL C
    .language_version:
      - 2
      - 0
    .max_flat_workgroup_size: 256
    .name:           _ZN7rocprim17ROCPRIM_400000_NS6detail17trampoline_kernelINS0_14default_configENS1_36segmented_radix_sort_config_selectorIalEEZNS1_25segmented_radix_sort_implIS3_Lb0EPKaPaPKlPlN2at6native12_GLOBAL__N_18offset_tEEE10hipError_tPvRmT1_PNSt15iterator_traitsISK_E10value_typeET2_T3_PNSL_ISQ_E10value_typeET4_jRbjT5_SW_jjP12ihipStream_tbEUlT_E2_NS1_11comp_targetILNS1_3genE3ELNS1_11target_archE908ELNS1_3gpuE7ELNS1_3repE0EEENS1_30default_config_static_selectorELNS0_4arch9wavefront6targetE0EEEvSK_
    .private_segment_fixed_size: 0
    .sgpr_count:     0
    .sgpr_spill_count: 0
    .symbol:         _ZN7rocprim17ROCPRIM_400000_NS6detail17trampoline_kernelINS0_14default_configENS1_36segmented_radix_sort_config_selectorIalEEZNS1_25segmented_radix_sort_implIS3_Lb0EPKaPaPKlPlN2at6native12_GLOBAL__N_18offset_tEEE10hipError_tPvRmT1_PNSt15iterator_traitsISK_E10value_typeET2_T3_PNSL_ISQ_E10value_typeET4_jRbjT5_SW_jjP12ihipStream_tbEUlT_E2_NS1_11comp_targetILNS1_3genE3ELNS1_11target_archE908ELNS1_3gpuE7ELNS1_3repE0EEENS1_30default_config_static_selectorELNS0_4arch9wavefront6targetE0EEEvSK_.kd
    .uniform_work_group_size: 1
    .uses_dynamic_stack: false
    .vgpr_count:     0
    .vgpr_spill_count: 0
    .wavefront_size: 32
    .workgroup_processor_mode: 1
  - .args:
      - .offset:         0
        .size:           80
        .value_kind:     by_value
    .group_segment_fixed_size: 0
    .kernarg_segment_align: 8
    .kernarg_segment_size: 80
    .language:       OpenCL C
    .language_version:
      - 2
      - 0
    .max_flat_workgroup_size: 256
    .name:           _ZN7rocprim17ROCPRIM_400000_NS6detail17trampoline_kernelINS0_14default_configENS1_36segmented_radix_sort_config_selectorIalEEZNS1_25segmented_radix_sort_implIS3_Lb0EPKaPaPKlPlN2at6native12_GLOBAL__N_18offset_tEEE10hipError_tPvRmT1_PNSt15iterator_traitsISK_E10value_typeET2_T3_PNSL_ISQ_E10value_typeET4_jRbjT5_SW_jjP12ihipStream_tbEUlT_E2_NS1_11comp_targetILNS1_3genE2ELNS1_11target_archE906ELNS1_3gpuE6ELNS1_3repE0EEENS1_30default_config_static_selectorELNS0_4arch9wavefront6targetE0EEEvSK_
    .private_segment_fixed_size: 0
    .sgpr_count:     0
    .sgpr_spill_count: 0
    .symbol:         _ZN7rocprim17ROCPRIM_400000_NS6detail17trampoline_kernelINS0_14default_configENS1_36segmented_radix_sort_config_selectorIalEEZNS1_25segmented_radix_sort_implIS3_Lb0EPKaPaPKlPlN2at6native12_GLOBAL__N_18offset_tEEE10hipError_tPvRmT1_PNSt15iterator_traitsISK_E10value_typeET2_T3_PNSL_ISQ_E10value_typeET4_jRbjT5_SW_jjP12ihipStream_tbEUlT_E2_NS1_11comp_targetILNS1_3genE2ELNS1_11target_archE906ELNS1_3gpuE6ELNS1_3repE0EEENS1_30default_config_static_selectorELNS0_4arch9wavefront6targetE0EEEvSK_.kd
    .uniform_work_group_size: 1
    .uses_dynamic_stack: false
    .vgpr_count:     0
    .vgpr_spill_count: 0
    .wavefront_size: 32
    .workgroup_processor_mode: 1
  - .args:
      - .offset:         0
        .size:           80
        .value_kind:     by_value
      - .offset:         80
        .size:           4
        .value_kind:     hidden_block_count_x
      - .offset:         84
        .size:           4
        .value_kind:     hidden_block_count_y
      - .offset:         88
        .size:           4
        .value_kind:     hidden_block_count_z
      - .offset:         92
        .size:           2
        .value_kind:     hidden_group_size_x
      - .offset:         94
        .size:           2
        .value_kind:     hidden_group_size_y
      - .offset:         96
        .size:           2
        .value_kind:     hidden_group_size_z
      - .offset:         98
        .size:           2
        .value_kind:     hidden_remainder_x
      - .offset:         100
        .size:           2
        .value_kind:     hidden_remainder_y
      - .offset:         102
        .size:           2
        .value_kind:     hidden_remainder_z
      - .offset:         120
        .size:           8
        .value_kind:     hidden_global_offset_x
      - .offset:         128
        .size:           8
        .value_kind:     hidden_global_offset_y
      - .offset:         136
        .size:           8
        .value_kind:     hidden_global_offset_z
      - .offset:         144
        .size:           2
        .value_kind:     hidden_grid_dims
    .group_segment_fixed_size: 17440
    .kernarg_segment_align: 8
    .kernarg_segment_size: 336
    .language:       OpenCL C
    .language_version:
      - 2
      - 0
    .max_flat_workgroup_size: 256
    .name:           _ZN7rocprim17ROCPRIM_400000_NS6detail17trampoline_kernelINS0_14default_configENS1_36segmented_radix_sort_config_selectorIalEEZNS1_25segmented_radix_sort_implIS3_Lb0EPKaPaPKlPlN2at6native12_GLOBAL__N_18offset_tEEE10hipError_tPvRmT1_PNSt15iterator_traitsISK_E10value_typeET2_T3_PNSL_ISQ_E10value_typeET4_jRbjT5_SW_jjP12ihipStream_tbEUlT_E2_NS1_11comp_targetILNS1_3genE10ELNS1_11target_archE1201ELNS1_3gpuE5ELNS1_3repE0EEENS1_30default_config_static_selectorELNS0_4arch9wavefront6targetE0EEEvSK_
    .private_segment_fixed_size: 0
    .sgpr_count:     52
    .sgpr_spill_count: 0
    .symbol:         _ZN7rocprim17ROCPRIM_400000_NS6detail17trampoline_kernelINS0_14default_configENS1_36segmented_radix_sort_config_selectorIalEEZNS1_25segmented_radix_sort_implIS3_Lb0EPKaPaPKlPlN2at6native12_GLOBAL__N_18offset_tEEE10hipError_tPvRmT1_PNSt15iterator_traitsISK_E10value_typeET2_T3_PNSL_ISQ_E10value_typeET4_jRbjT5_SW_jjP12ihipStream_tbEUlT_E2_NS1_11comp_targetILNS1_3genE10ELNS1_11target_archE1201ELNS1_3gpuE5ELNS1_3repE0EEENS1_30default_config_static_selectorELNS0_4arch9wavefront6targetE0EEEvSK_.kd
    .uniform_work_group_size: 1
    .uses_dynamic_stack: false
    .vgpr_count:     197
    .vgpr_spill_count: 0
    .wavefront_size: 32
    .workgroup_processor_mode: 1
  - .args:
      - .offset:         0
        .size:           80
        .value_kind:     by_value
    .group_segment_fixed_size: 0
    .kernarg_segment_align: 8
    .kernarg_segment_size: 80
    .language:       OpenCL C
    .language_version:
      - 2
      - 0
    .max_flat_workgroup_size: 128
    .name:           _ZN7rocprim17ROCPRIM_400000_NS6detail17trampoline_kernelINS0_14default_configENS1_36segmented_radix_sort_config_selectorIalEEZNS1_25segmented_radix_sort_implIS3_Lb0EPKaPaPKlPlN2at6native12_GLOBAL__N_18offset_tEEE10hipError_tPvRmT1_PNSt15iterator_traitsISK_E10value_typeET2_T3_PNSL_ISQ_E10value_typeET4_jRbjT5_SW_jjP12ihipStream_tbEUlT_E2_NS1_11comp_targetILNS1_3genE10ELNS1_11target_archE1200ELNS1_3gpuE4ELNS1_3repE0EEENS1_30default_config_static_selectorELNS0_4arch9wavefront6targetE0EEEvSK_
    .private_segment_fixed_size: 0
    .sgpr_count:     0
    .sgpr_spill_count: 0
    .symbol:         _ZN7rocprim17ROCPRIM_400000_NS6detail17trampoline_kernelINS0_14default_configENS1_36segmented_radix_sort_config_selectorIalEEZNS1_25segmented_radix_sort_implIS3_Lb0EPKaPaPKlPlN2at6native12_GLOBAL__N_18offset_tEEE10hipError_tPvRmT1_PNSt15iterator_traitsISK_E10value_typeET2_T3_PNSL_ISQ_E10value_typeET4_jRbjT5_SW_jjP12ihipStream_tbEUlT_E2_NS1_11comp_targetILNS1_3genE10ELNS1_11target_archE1200ELNS1_3gpuE4ELNS1_3repE0EEENS1_30default_config_static_selectorELNS0_4arch9wavefront6targetE0EEEvSK_.kd
    .uniform_work_group_size: 1
    .uses_dynamic_stack: false
    .vgpr_count:     0
    .vgpr_spill_count: 0
    .wavefront_size: 32
    .workgroup_processor_mode: 1
  - .args:
      - .offset:         0
        .size:           80
        .value_kind:     by_value
    .group_segment_fixed_size: 0
    .kernarg_segment_align: 8
    .kernarg_segment_size: 80
    .language:       OpenCL C
    .language_version:
      - 2
      - 0
    .max_flat_workgroup_size: 256
    .name:           _ZN7rocprim17ROCPRIM_400000_NS6detail17trampoline_kernelINS0_14default_configENS1_36segmented_radix_sort_config_selectorIalEEZNS1_25segmented_radix_sort_implIS3_Lb0EPKaPaPKlPlN2at6native12_GLOBAL__N_18offset_tEEE10hipError_tPvRmT1_PNSt15iterator_traitsISK_E10value_typeET2_T3_PNSL_ISQ_E10value_typeET4_jRbjT5_SW_jjP12ihipStream_tbEUlT_E2_NS1_11comp_targetILNS1_3genE9ELNS1_11target_archE1100ELNS1_3gpuE3ELNS1_3repE0EEENS1_30default_config_static_selectorELNS0_4arch9wavefront6targetE0EEEvSK_
    .private_segment_fixed_size: 0
    .sgpr_count:     0
    .sgpr_spill_count: 0
    .symbol:         _ZN7rocprim17ROCPRIM_400000_NS6detail17trampoline_kernelINS0_14default_configENS1_36segmented_radix_sort_config_selectorIalEEZNS1_25segmented_radix_sort_implIS3_Lb0EPKaPaPKlPlN2at6native12_GLOBAL__N_18offset_tEEE10hipError_tPvRmT1_PNSt15iterator_traitsISK_E10value_typeET2_T3_PNSL_ISQ_E10value_typeET4_jRbjT5_SW_jjP12ihipStream_tbEUlT_E2_NS1_11comp_targetILNS1_3genE9ELNS1_11target_archE1100ELNS1_3gpuE3ELNS1_3repE0EEENS1_30default_config_static_selectorELNS0_4arch9wavefront6targetE0EEEvSK_.kd
    .uniform_work_group_size: 1
    .uses_dynamic_stack: false
    .vgpr_count:     0
    .vgpr_spill_count: 0
    .wavefront_size: 32
    .workgroup_processor_mode: 1
  - .args:
      - .offset:         0
        .size:           80
        .value_kind:     by_value
    .group_segment_fixed_size: 0
    .kernarg_segment_align: 8
    .kernarg_segment_size: 80
    .language:       OpenCL C
    .language_version:
      - 2
      - 0
    .max_flat_workgroup_size: 256
    .name:           _ZN7rocprim17ROCPRIM_400000_NS6detail17trampoline_kernelINS0_14default_configENS1_36segmented_radix_sort_config_selectorIalEEZNS1_25segmented_radix_sort_implIS3_Lb0EPKaPaPKlPlN2at6native12_GLOBAL__N_18offset_tEEE10hipError_tPvRmT1_PNSt15iterator_traitsISK_E10value_typeET2_T3_PNSL_ISQ_E10value_typeET4_jRbjT5_SW_jjP12ihipStream_tbEUlT_E2_NS1_11comp_targetILNS1_3genE8ELNS1_11target_archE1030ELNS1_3gpuE2ELNS1_3repE0EEENS1_30default_config_static_selectorELNS0_4arch9wavefront6targetE0EEEvSK_
    .private_segment_fixed_size: 0
    .sgpr_count:     0
    .sgpr_spill_count: 0
    .symbol:         _ZN7rocprim17ROCPRIM_400000_NS6detail17trampoline_kernelINS0_14default_configENS1_36segmented_radix_sort_config_selectorIalEEZNS1_25segmented_radix_sort_implIS3_Lb0EPKaPaPKlPlN2at6native12_GLOBAL__N_18offset_tEEE10hipError_tPvRmT1_PNSt15iterator_traitsISK_E10value_typeET2_T3_PNSL_ISQ_E10value_typeET4_jRbjT5_SW_jjP12ihipStream_tbEUlT_E2_NS1_11comp_targetILNS1_3genE8ELNS1_11target_archE1030ELNS1_3gpuE2ELNS1_3repE0EEENS1_30default_config_static_selectorELNS0_4arch9wavefront6targetE0EEEvSK_.kd
    .uniform_work_group_size: 1
    .uses_dynamic_stack: false
    .vgpr_count:     0
    .vgpr_spill_count: 0
    .wavefront_size: 32
    .workgroup_processor_mode: 1
  - .args:
      - .address_space:  global
        .offset:         0
        .size:           8
        .value_kind:     global_buffer
      - .address_space:  global
        .offset:         8
        .size:           8
        .value_kind:     global_buffer
      - .address_space:  global
        .offset:         16
        .size:           8
        .value_kind:     global_buffer
      - .address_space:  global
        .offset:         24
        .size:           8
        .value_kind:     global_buffer
      - .offset:         32
        .size:           4
        .value_kind:     by_value
      - .offset:         36
        .size:           4
        .value_kind:     by_value
      - .offset:         40
        .size:           4
        .value_kind:     hidden_block_count_x
      - .offset:         44
        .size:           4
        .value_kind:     hidden_block_count_y
      - .offset:         48
        .size:           4
        .value_kind:     hidden_block_count_z
      - .offset:         52
        .size:           2
        .value_kind:     hidden_group_size_x
      - .offset:         54
        .size:           2
        .value_kind:     hidden_group_size_y
      - .offset:         56
        .size:           2
        .value_kind:     hidden_group_size_z
      - .offset:         58
        .size:           2
        .value_kind:     hidden_remainder_x
      - .offset:         60
        .size:           2
        .value_kind:     hidden_remainder_y
      - .offset:         62
        .size:           2
        .value_kind:     hidden_remainder_z
      - .offset:         80
        .size:           8
        .value_kind:     hidden_global_offset_x
      - .offset:         88
        .size:           8
        .value_kind:     hidden_global_offset_y
      - .offset:         96
        .size:           8
        .value_kind:     hidden_global_offset_z
      - .offset:         104
        .size:           2
        .value_kind:     hidden_grid_dims
    .group_segment_fixed_size: 0
    .kernarg_segment_align: 8
    .kernarg_segment_size: 296
    .language:       OpenCL C
    .language_version:
      - 2
      - 0
    .max_flat_workgroup_size: 1024
    .name:           _ZN2at6native12_GLOBAL__N_123sort_postprocess_kernelIiEEvPKT_PS3_PlPK15HIP_vector_typeIiLj2EEii
    .private_segment_fixed_size: 0
    .sgpr_count:     21
    .sgpr_spill_count: 0
    .symbol:         _ZN2at6native12_GLOBAL__N_123sort_postprocess_kernelIiEEvPKT_PS3_PlPK15HIP_vector_typeIiLj2EEii.kd
    .uniform_work_group_size: 1
    .uses_dynamic_stack: false
    .vgpr_count:     16
    .vgpr_spill_count: 0
    .wavefront_size: 32
    .workgroup_processor_mode: 1
  - .args:
      - .offset:         0
        .size:           176
        .value_kind:     by_value
    .group_segment_fixed_size: 0
    .kernarg_segment_align: 8
    .kernarg_segment_size: 176
    .language:       OpenCL C
    .language_version:
      - 2
      - 0
    .max_flat_workgroup_size: 256
    .name:           _ZN7rocprim17ROCPRIM_400000_NS6detail17trampoline_kernelINS0_13select_configILj256ELj13ELNS0_17block_load_methodE3ELS4_3ELS4_3ELNS0_20block_scan_algorithmE0ELj4294967295EEENS1_25partition_config_selectorILNS1_17partition_subalgoE4EjNS0_10empty_typeEbEEZZNS1_14partition_implILS8_4ELb0ES6_15HIP_vector_typeIjLj2EENS0_17counting_iteratorIjlEEPS9_SG_NS0_5tupleIJPjSI_NS0_16reverse_iteratorISI_EEEEENSH_IJSG_SG_SG_EEES9_SI_JZNS1_25segmented_radix_sort_implINS0_14default_configELb1EPKiPiPKlPlN2at6native12_GLOBAL__N_18offset_tEEE10hipError_tPvRmT1_PNSt15iterator_traitsIS12_E10value_typeET2_T3_PNS13_IS18_E10value_typeET4_jRbjT5_S1E_jjP12ihipStream_tbEUljE_ZNSN_ISO_Lb1ESQ_SR_ST_SU_SY_EESZ_S10_S11_S12_S16_S17_S18_S1B_S1C_jS1D_jS1E_S1E_jjS1G_bEUljE0_EEESZ_S10_S11_S18_S1C_S1E_T6_T7_T9_mT8_S1G_bDpT10_ENKUlT_T0_E_clISt17integral_constantIbLb0EES1U_EEDaS1P_S1Q_EUlS1P_E_NS1_11comp_targetILNS1_3genE0ELNS1_11target_archE4294967295ELNS1_3gpuE0ELNS1_3repE0EEENS1_30default_config_static_selectorELNS0_4arch9wavefront6targetE0EEEvS12_
    .private_segment_fixed_size: 0
    .sgpr_count:     0
    .sgpr_spill_count: 0
    .symbol:         _ZN7rocprim17ROCPRIM_400000_NS6detail17trampoline_kernelINS0_13select_configILj256ELj13ELNS0_17block_load_methodE3ELS4_3ELS4_3ELNS0_20block_scan_algorithmE0ELj4294967295EEENS1_25partition_config_selectorILNS1_17partition_subalgoE4EjNS0_10empty_typeEbEEZZNS1_14partition_implILS8_4ELb0ES6_15HIP_vector_typeIjLj2EENS0_17counting_iteratorIjlEEPS9_SG_NS0_5tupleIJPjSI_NS0_16reverse_iteratorISI_EEEEENSH_IJSG_SG_SG_EEES9_SI_JZNS1_25segmented_radix_sort_implINS0_14default_configELb1EPKiPiPKlPlN2at6native12_GLOBAL__N_18offset_tEEE10hipError_tPvRmT1_PNSt15iterator_traitsIS12_E10value_typeET2_T3_PNS13_IS18_E10value_typeET4_jRbjT5_S1E_jjP12ihipStream_tbEUljE_ZNSN_ISO_Lb1ESQ_SR_ST_SU_SY_EESZ_S10_S11_S12_S16_S17_S18_S1B_S1C_jS1D_jS1E_S1E_jjS1G_bEUljE0_EEESZ_S10_S11_S18_S1C_S1E_T6_T7_T9_mT8_S1G_bDpT10_ENKUlT_T0_E_clISt17integral_constantIbLb0EES1U_EEDaS1P_S1Q_EUlS1P_E_NS1_11comp_targetILNS1_3genE0ELNS1_11target_archE4294967295ELNS1_3gpuE0ELNS1_3repE0EEENS1_30default_config_static_selectorELNS0_4arch9wavefront6targetE0EEEvS12_.kd
    .uniform_work_group_size: 1
    .uses_dynamic_stack: false
    .vgpr_count:     0
    .vgpr_spill_count: 0
    .wavefront_size: 32
    .workgroup_processor_mode: 1
  - .args:
      - .offset:         0
        .size:           176
        .value_kind:     by_value
    .group_segment_fixed_size: 0
    .kernarg_segment_align: 8
    .kernarg_segment_size: 176
    .language:       OpenCL C
    .language_version:
      - 2
      - 0
    .max_flat_workgroup_size: 256
    .name:           _ZN7rocprim17ROCPRIM_400000_NS6detail17trampoline_kernelINS0_13select_configILj256ELj13ELNS0_17block_load_methodE3ELS4_3ELS4_3ELNS0_20block_scan_algorithmE0ELj4294967295EEENS1_25partition_config_selectorILNS1_17partition_subalgoE4EjNS0_10empty_typeEbEEZZNS1_14partition_implILS8_4ELb0ES6_15HIP_vector_typeIjLj2EENS0_17counting_iteratorIjlEEPS9_SG_NS0_5tupleIJPjSI_NS0_16reverse_iteratorISI_EEEEENSH_IJSG_SG_SG_EEES9_SI_JZNS1_25segmented_radix_sort_implINS0_14default_configELb1EPKiPiPKlPlN2at6native12_GLOBAL__N_18offset_tEEE10hipError_tPvRmT1_PNSt15iterator_traitsIS12_E10value_typeET2_T3_PNS13_IS18_E10value_typeET4_jRbjT5_S1E_jjP12ihipStream_tbEUljE_ZNSN_ISO_Lb1ESQ_SR_ST_SU_SY_EESZ_S10_S11_S12_S16_S17_S18_S1B_S1C_jS1D_jS1E_S1E_jjS1G_bEUljE0_EEESZ_S10_S11_S18_S1C_S1E_T6_T7_T9_mT8_S1G_bDpT10_ENKUlT_T0_E_clISt17integral_constantIbLb0EES1U_EEDaS1P_S1Q_EUlS1P_E_NS1_11comp_targetILNS1_3genE5ELNS1_11target_archE942ELNS1_3gpuE9ELNS1_3repE0EEENS1_30default_config_static_selectorELNS0_4arch9wavefront6targetE0EEEvS12_
    .private_segment_fixed_size: 0
    .sgpr_count:     0
    .sgpr_spill_count: 0
    .symbol:         _ZN7rocprim17ROCPRIM_400000_NS6detail17trampoline_kernelINS0_13select_configILj256ELj13ELNS0_17block_load_methodE3ELS4_3ELS4_3ELNS0_20block_scan_algorithmE0ELj4294967295EEENS1_25partition_config_selectorILNS1_17partition_subalgoE4EjNS0_10empty_typeEbEEZZNS1_14partition_implILS8_4ELb0ES6_15HIP_vector_typeIjLj2EENS0_17counting_iteratorIjlEEPS9_SG_NS0_5tupleIJPjSI_NS0_16reverse_iteratorISI_EEEEENSH_IJSG_SG_SG_EEES9_SI_JZNS1_25segmented_radix_sort_implINS0_14default_configELb1EPKiPiPKlPlN2at6native12_GLOBAL__N_18offset_tEEE10hipError_tPvRmT1_PNSt15iterator_traitsIS12_E10value_typeET2_T3_PNS13_IS18_E10value_typeET4_jRbjT5_S1E_jjP12ihipStream_tbEUljE_ZNSN_ISO_Lb1ESQ_SR_ST_SU_SY_EESZ_S10_S11_S12_S16_S17_S18_S1B_S1C_jS1D_jS1E_S1E_jjS1G_bEUljE0_EEESZ_S10_S11_S18_S1C_S1E_T6_T7_T9_mT8_S1G_bDpT10_ENKUlT_T0_E_clISt17integral_constantIbLb0EES1U_EEDaS1P_S1Q_EUlS1P_E_NS1_11comp_targetILNS1_3genE5ELNS1_11target_archE942ELNS1_3gpuE9ELNS1_3repE0EEENS1_30default_config_static_selectorELNS0_4arch9wavefront6targetE0EEEvS12_.kd
    .uniform_work_group_size: 1
    .uses_dynamic_stack: false
    .vgpr_count:     0
    .vgpr_spill_count: 0
    .wavefront_size: 32
    .workgroup_processor_mode: 1
  - .args:
      - .offset:         0
        .size:           176
        .value_kind:     by_value
    .group_segment_fixed_size: 0
    .kernarg_segment_align: 8
    .kernarg_segment_size: 176
    .language:       OpenCL C
    .language_version:
      - 2
      - 0
    .max_flat_workgroup_size: 256
    .name:           _ZN7rocprim17ROCPRIM_400000_NS6detail17trampoline_kernelINS0_13select_configILj256ELj13ELNS0_17block_load_methodE3ELS4_3ELS4_3ELNS0_20block_scan_algorithmE0ELj4294967295EEENS1_25partition_config_selectorILNS1_17partition_subalgoE4EjNS0_10empty_typeEbEEZZNS1_14partition_implILS8_4ELb0ES6_15HIP_vector_typeIjLj2EENS0_17counting_iteratorIjlEEPS9_SG_NS0_5tupleIJPjSI_NS0_16reverse_iteratorISI_EEEEENSH_IJSG_SG_SG_EEES9_SI_JZNS1_25segmented_radix_sort_implINS0_14default_configELb1EPKiPiPKlPlN2at6native12_GLOBAL__N_18offset_tEEE10hipError_tPvRmT1_PNSt15iterator_traitsIS12_E10value_typeET2_T3_PNS13_IS18_E10value_typeET4_jRbjT5_S1E_jjP12ihipStream_tbEUljE_ZNSN_ISO_Lb1ESQ_SR_ST_SU_SY_EESZ_S10_S11_S12_S16_S17_S18_S1B_S1C_jS1D_jS1E_S1E_jjS1G_bEUljE0_EEESZ_S10_S11_S18_S1C_S1E_T6_T7_T9_mT8_S1G_bDpT10_ENKUlT_T0_E_clISt17integral_constantIbLb0EES1U_EEDaS1P_S1Q_EUlS1P_E_NS1_11comp_targetILNS1_3genE4ELNS1_11target_archE910ELNS1_3gpuE8ELNS1_3repE0EEENS1_30default_config_static_selectorELNS0_4arch9wavefront6targetE0EEEvS12_
    .private_segment_fixed_size: 0
    .sgpr_count:     0
    .sgpr_spill_count: 0
    .symbol:         _ZN7rocprim17ROCPRIM_400000_NS6detail17trampoline_kernelINS0_13select_configILj256ELj13ELNS0_17block_load_methodE3ELS4_3ELS4_3ELNS0_20block_scan_algorithmE0ELj4294967295EEENS1_25partition_config_selectorILNS1_17partition_subalgoE4EjNS0_10empty_typeEbEEZZNS1_14partition_implILS8_4ELb0ES6_15HIP_vector_typeIjLj2EENS0_17counting_iteratorIjlEEPS9_SG_NS0_5tupleIJPjSI_NS0_16reverse_iteratorISI_EEEEENSH_IJSG_SG_SG_EEES9_SI_JZNS1_25segmented_radix_sort_implINS0_14default_configELb1EPKiPiPKlPlN2at6native12_GLOBAL__N_18offset_tEEE10hipError_tPvRmT1_PNSt15iterator_traitsIS12_E10value_typeET2_T3_PNS13_IS18_E10value_typeET4_jRbjT5_S1E_jjP12ihipStream_tbEUljE_ZNSN_ISO_Lb1ESQ_SR_ST_SU_SY_EESZ_S10_S11_S12_S16_S17_S18_S1B_S1C_jS1D_jS1E_S1E_jjS1G_bEUljE0_EEESZ_S10_S11_S18_S1C_S1E_T6_T7_T9_mT8_S1G_bDpT10_ENKUlT_T0_E_clISt17integral_constantIbLb0EES1U_EEDaS1P_S1Q_EUlS1P_E_NS1_11comp_targetILNS1_3genE4ELNS1_11target_archE910ELNS1_3gpuE8ELNS1_3repE0EEENS1_30default_config_static_selectorELNS0_4arch9wavefront6targetE0EEEvS12_.kd
    .uniform_work_group_size: 1
    .uses_dynamic_stack: false
    .vgpr_count:     0
    .vgpr_spill_count: 0
    .wavefront_size: 32
    .workgroup_processor_mode: 1
  - .args:
      - .offset:         0
        .size:           176
        .value_kind:     by_value
    .group_segment_fixed_size: 0
    .kernarg_segment_align: 8
    .kernarg_segment_size: 176
    .language:       OpenCL C
    .language_version:
      - 2
      - 0
    .max_flat_workgroup_size: 256
    .name:           _ZN7rocprim17ROCPRIM_400000_NS6detail17trampoline_kernelINS0_13select_configILj256ELj13ELNS0_17block_load_methodE3ELS4_3ELS4_3ELNS0_20block_scan_algorithmE0ELj4294967295EEENS1_25partition_config_selectorILNS1_17partition_subalgoE4EjNS0_10empty_typeEbEEZZNS1_14partition_implILS8_4ELb0ES6_15HIP_vector_typeIjLj2EENS0_17counting_iteratorIjlEEPS9_SG_NS0_5tupleIJPjSI_NS0_16reverse_iteratorISI_EEEEENSH_IJSG_SG_SG_EEES9_SI_JZNS1_25segmented_radix_sort_implINS0_14default_configELb1EPKiPiPKlPlN2at6native12_GLOBAL__N_18offset_tEEE10hipError_tPvRmT1_PNSt15iterator_traitsIS12_E10value_typeET2_T3_PNS13_IS18_E10value_typeET4_jRbjT5_S1E_jjP12ihipStream_tbEUljE_ZNSN_ISO_Lb1ESQ_SR_ST_SU_SY_EESZ_S10_S11_S12_S16_S17_S18_S1B_S1C_jS1D_jS1E_S1E_jjS1G_bEUljE0_EEESZ_S10_S11_S18_S1C_S1E_T6_T7_T9_mT8_S1G_bDpT10_ENKUlT_T0_E_clISt17integral_constantIbLb0EES1U_EEDaS1P_S1Q_EUlS1P_E_NS1_11comp_targetILNS1_3genE3ELNS1_11target_archE908ELNS1_3gpuE7ELNS1_3repE0EEENS1_30default_config_static_selectorELNS0_4arch9wavefront6targetE0EEEvS12_
    .private_segment_fixed_size: 0
    .sgpr_count:     0
    .sgpr_spill_count: 0
    .symbol:         _ZN7rocprim17ROCPRIM_400000_NS6detail17trampoline_kernelINS0_13select_configILj256ELj13ELNS0_17block_load_methodE3ELS4_3ELS4_3ELNS0_20block_scan_algorithmE0ELj4294967295EEENS1_25partition_config_selectorILNS1_17partition_subalgoE4EjNS0_10empty_typeEbEEZZNS1_14partition_implILS8_4ELb0ES6_15HIP_vector_typeIjLj2EENS0_17counting_iteratorIjlEEPS9_SG_NS0_5tupleIJPjSI_NS0_16reverse_iteratorISI_EEEEENSH_IJSG_SG_SG_EEES9_SI_JZNS1_25segmented_radix_sort_implINS0_14default_configELb1EPKiPiPKlPlN2at6native12_GLOBAL__N_18offset_tEEE10hipError_tPvRmT1_PNSt15iterator_traitsIS12_E10value_typeET2_T3_PNS13_IS18_E10value_typeET4_jRbjT5_S1E_jjP12ihipStream_tbEUljE_ZNSN_ISO_Lb1ESQ_SR_ST_SU_SY_EESZ_S10_S11_S12_S16_S17_S18_S1B_S1C_jS1D_jS1E_S1E_jjS1G_bEUljE0_EEESZ_S10_S11_S18_S1C_S1E_T6_T7_T9_mT8_S1G_bDpT10_ENKUlT_T0_E_clISt17integral_constantIbLb0EES1U_EEDaS1P_S1Q_EUlS1P_E_NS1_11comp_targetILNS1_3genE3ELNS1_11target_archE908ELNS1_3gpuE7ELNS1_3repE0EEENS1_30default_config_static_selectorELNS0_4arch9wavefront6targetE0EEEvS12_.kd
    .uniform_work_group_size: 1
    .uses_dynamic_stack: false
    .vgpr_count:     0
    .vgpr_spill_count: 0
    .wavefront_size: 32
    .workgroup_processor_mode: 1
  - .args:
      - .offset:         0
        .size:           176
        .value_kind:     by_value
    .group_segment_fixed_size: 0
    .kernarg_segment_align: 8
    .kernarg_segment_size: 176
    .language:       OpenCL C
    .language_version:
      - 2
      - 0
    .max_flat_workgroup_size: 256
    .name:           _ZN7rocprim17ROCPRIM_400000_NS6detail17trampoline_kernelINS0_13select_configILj256ELj13ELNS0_17block_load_methodE3ELS4_3ELS4_3ELNS0_20block_scan_algorithmE0ELj4294967295EEENS1_25partition_config_selectorILNS1_17partition_subalgoE4EjNS0_10empty_typeEbEEZZNS1_14partition_implILS8_4ELb0ES6_15HIP_vector_typeIjLj2EENS0_17counting_iteratorIjlEEPS9_SG_NS0_5tupleIJPjSI_NS0_16reverse_iteratorISI_EEEEENSH_IJSG_SG_SG_EEES9_SI_JZNS1_25segmented_radix_sort_implINS0_14default_configELb1EPKiPiPKlPlN2at6native12_GLOBAL__N_18offset_tEEE10hipError_tPvRmT1_PNSt15iterator_traitsIS12_E10value_typeET2_T3_PNS13_IS18_E10value_typeET4_jRbjT5_S1E_jjP12ihipStream_tbEUljE_ZNSN_ISO_Lb1ESQ_SR_ST_SU_SY_EESZ_S10_S11_S12_S16_S17_S18_S1B_S1C_jS1D_jS1E_S1E_jjS1G_bEUljE0_EEESZ_S10_S11_S18_S1C_S1E_T6_T7_T9_mT8_S1G_bDpT10_ENKUlT_T0_E_clISt17integral_constantIbLb0EES1U_EEDaS1P_S1Q_EUlS1P_E_NS1_11comp_targetILNS1_3genE2ELNS1_11target_archE906ELNS1_3gpuE6ELNS1_3repE0EEENS1_30default_config_static_selectorELNS0_4arch9wavefront6targetE0EEEvS12_
    .private_segment_fixed_size: 0
    .sgpr_count:     0
    .sgpr_spill_count: 0
    .symbol:         _ZN7rocprim17ROCPRIM_400000_NS6detail17trampoline_kernelINS0_13select_configILj256ELj13ELNS0_17block_load_methodE3ELS4_3ELS4_3ELNS0_20block_scan_algorithmE0ELj4294967295EEENS1_25partition_config_selectorILNS1_17partition_subalgoE4EjNS0_10empty_typeEbEEZZNS1_14partition_implILS8_4ELb0ES6_15HIP_vector_typeIjLj2EENS0_17counting_iteratorIjlEEPS9_SG_NS0_5tupleIJPjSI_NS0_16reverse_iteratorISI_EEEEENSH_IJSG_SG_SG_EEES9_SI_JZNS1_25segmented_radix_sort_implINS0_14default_configELb1EPKiPiPKlPlN2at6native12_GLOBAL__N_18offset_tEEE10hipError_tPvRmT1_PNSt15iterator_traitsIS12_E10value_typeET2_T3_PNS13_IS18_E10value_typeET4_jRbjT5_S1E_jjP12ihipStream_tbEUljE_ZNSN_ISO_Lb1ESQ_SR_ST_SU_SY_EESZ_S10_S11_S12_S16_S17_S18_S1B_S1C_jS1D_jS1E_S1E_jjS1G_bEUljE0_EEESZ_S10_S11_S18_S1C_S1E_T6_T7_T9_mT8_S1G_bDpT10_ENKUlT_T0_E_clISt17integral_constantIbLb0EES1U_EEDaS1P_S1Q_EUlS1P_E_NS1_11comp_targetILNS1_3genE2ELNS1_11target_archE906ELNS1_3gpuE6ELNS1_3repE0EEENS1_30default_config_static_selectorELNS0_4arch9wavefront6targetE0EEEvS12_.kd
    .uniform_work_group_size: 1
    .uses_dynamic_stack: false
    .vgpr_count:     0
    .vgpr_spill_count: 0
    .wavefront_size: 32
    .workgroup_processor_mode: 1
  - .args:
      - .offset:         0
        .size:           176
        .value_kind:     by_value
    .group_segment_fixed_size: 13328
    .kernarg_segment_align: 8
    .kernarg_segment_size: 176
    .language:       OpenCL C
    .language_version:
      - 2
      - 0
    .max_flat_workgroup_size: 256
    .name:           _ZN7rocprim17ROCPRIM_400000_NS6detail17trampoline_kernelINS0_13select_configILj256ELj13ELNS0_17block_load_methodE3ELS4_3ELS4_3ELNS0_20block_scan_algorithmE0ELj4294967295EEENS1_25partition_config_selectorILNS1_17partition_subalgoE4EjNS0_10empty_typeEbEEZZNS1_14partition_implILS8_4ELb0ES6_15HIP_vector_typeIjLj2EENS0_17counting_iteratorIjlEEPS9_SG_NS0_5tupleIJPjSI_NS0_16reverse_iteratorISI_EEEEENSH_IJSG_SG_SG_EEES9_SI_JZNS1_25segmented_radix_sort_implINS0_14default_configELb1EPKiPiPKlPlN2at6native12_GLOBAL__N_18offset_tEEE10hipError_tPvRmT1_PNSt15iterator_traitsIS12_E10value_typeET2_T3_PNS13_IS18_E10value_typeET4_jRbjT5_S1E_jjP12ihipStream_tbEUljE_ZNSN_ISO_Lb1ESQ_SR_ST_SU_SY_EESZ_S10_S11_S12_S16_S17_S18_S1B_S1C_jS1D_jS1E_S1E_jjS1G_bEUljE0_EEESZ_S10_S11_S18_S1C_S1E_T6_T7_T9_mT8_S1G_bDpT10_ENKUlT_T0_E_clISt17integral_constantIbLb0EES1U_EEDaS1P_S1Q_EUlS1P_E_NS1_11comp_targetILNS1_3genE10ELNS1_11target_archE1200ELNS1_3gpuE4ELNS1_3repE0EEENS1_30default_config_static_selectorELNS0_4arch9wavefront6targetE0EEEvS12_
    .private_segment_fixed_size: 0
    .sgpr_count:     60
    .sgpr_spill_count: 0
    .symbol:         _ZN7rocprim17ROCPRIM_400000_NS6detail17trampoline_kernelINS0_13select_configILj256ELj13ELNS0_17block_load_methodE3ELS4_3ELS4_3ELNS0_20block_scan_algorithmE0ELj4294967295EEENS1_25partition_config_selectorILNS1_17partition_subalgoE4EjNS0_10empty_typeEbEEZZNS1_14partition_implILS8_4ELb0ES6_15HIP_vector_typeIjLj2EENS0_17counting_iteratorIjlEEPS9_SG_NS0_5tupleIJPjSI_NS0_16reverse_iteratorISI_EEEEENSH_IJSG_SG_SG_EEES9_SI_JZNS1_25segmented_radix_sort_implINS0_14default_configELb1EPKiPiPKlPlN2at6native12_GLOBAL__N_18offset_tEEE10hipError_tPvRmT1_PNSt15iterator_traitsIS12_E10value_typeET2_T3_PNS13_IS18_E10value_typeET4_jRbjT5_S1E_jjP12ihipStream_tbEUljE_ZNSN_ISO_Lb1ESQ_SR_ST_SU_SY_EESZ_S10_S11_S12_S16_S17_S18_S1B_S1C_jS1D_jS1E_S1E_jjS1G_bEUljE0_EEESZ_S10_S11_S18_S1C_S1E_T6_T7_T9_mT8_S1G_bDpT10_ENKUlT_T0_E_clISt17integral_constantIbLb0EES1U_EEDaS1P_S1Q_EUlS1P_E_NS1_11comp_targetILNS1_3genE10ELNS1_11target_archE1200ELNS1_3gpuE4ELNS1_3repE0EEENS1_30default_config_static_selectorELNS0_4arch9wavefront6targetE0EEEvS12_.kd
    .uniform_work_group_size: 1
    .uses_dynamic_stack: false
    .vgpr_count:     93
    .vgpr_spill_count: 0
    .wavefront_size: 32
    .workgroup_processor_mode: 1
  - .args:
      - .offset:         0
        .size:           176
        .value_kind:     by_value
    .group_segment_fixed_size: 0
    .kernarg_segment_align: 8
    .kernarg_segment_size: 176
    .language:       OpenCL C
    .language_version:
      - 2
      - 0
    .max_flat_workgroup_size: 256
    .name:           _ZN7rocprim17ROCPRIM_400000_NS6detail17trampoline_kernelINS0_13select_configILj256ELj13ELNS0_17block_load_methodE3ELS4_3ELS4_3ELNS0_20block_scan_algorithmE0ELj4294967295EEENS1_25partition_config_selectorILNS1_17partition_subalgoE4EjNS0_10empty_typeEbEEZZNS1_14partition_implILS8_4ELb0ES6_15HIP_vector_typeIjLj2EENS0_17counting_iteratorIjlEEPS9_SG_NS0_5tupleIJPjSI_NS0_16reverse_iteratorISI_EEEEENSH_IJSG_SG_SG_EEES9_SI_JZNS1_25segmented_radix_sort_implINS0_14default_configELb1EPKiPiPKlPlN2at6native12_GLOBAL__N_18offset_tEEE10hipError_tPvRmT1_PNSt15iterator_traitsIS12_E10value_typeET2_T3_PNS13_IS18_E10value_typeET4_jRbjT5_S1E_jjP12ihipStream_tbEUljE_ZNSN_ISO_Lb1ESQ_SR_ST_SU_SY_EESZ_S10_S11_S12_S16_S17_S18_S1B_S1C_jS1D_jS1E_S1E_jjS1G_bEUljE0_EEESZ_S10_S11_S18_S1C_S1E_T6_T7_T9_mT8_S1G_bDpT10_ENKUlT_T0_E_clISt17integral_constantIbLb0EES1U_EEDaS1P_S1Q_EUlS1P_E_NS1_11comp_targetILNS1_3genE9ELNS1_11target_archE1100ELNS1_3gpuE3ELNS1_3repE0EEENS1_30default_config_static_selectorELNS0_4arch9wavefront6targetE0EEEvS12_
    .private_segment_fixed_size: 0
    .sgpr_count:     0
    .sgpr_spill_count: 0
    .symbol:         _ZN7rocprim17ROCPRIM_400000_NS6detail17trampoline_kernelINS0_13select_configILj256ELj13ELNS0_17block_load_methodE3ELS4_3ELS4_3ELNS0_20block_scan_algorithmE0ELj4294967295EEENS1_25partition_config_selectorILNS1_17partition_subalgoE4EjNS0_10empty_typeEbEEZZNS1_14partition_implILS8_4ELb0ES6_15HIP_vector_typeIjLj2EENS0_17counting_iteratorIjlEEPS9_SG_NS0_5tupleIJPjSI_NS0_16reverse_iteratorISI_EEEEENSH_IJSG_SG_SG_EEES9_SI_JZNS1_25segmented_radix_sort_implINS0_14default_configELb1EPKiPiPKlPlN2at6native12_GLOBAL__N_18offset_tEEE10hipError_tPvRmT1_PNSt15iterator_traitsIS12_E10value_typeET2_T3_PNS13_IS18_E10value_typeET4_jRbjT5_S1E_jjP12ihipStream_tbEUljE_ZNSN_ISO_Lb1ESQ_SR_ST_SU_SY_EESZ_S10_S11_S12_S16_S17_S18_S1B_S1C_jS1D_jS1E_S1E_jjS1G_bEUljE0_EEESZ_S10_S11_S18_S1C_S1E_T6_T7_T9_mT8_S1G_bDpT10_ENKUlT_T0_E_clISt17integral_constantIbLb0EES1U_EEDaS1P_S1Q_EUlS1P_E_NS1_11comp_targetILNS1_3genE9ELNS1_11target_archE1100ELNS1_3gpuE3ELNS1_3repE0EEENS1_30default_config_static_selectorELNS0_4arch9wavefront6targetE0EEEvS12_.kd
    .uniform_work_group_size: 1
    .uses_dynamic_stack: false
    .vgpr_count:     0
    .vgpr_spill_count: 0
    .wavefront_size: 32
    .workgroup_processor_mode: 1
  - .args:
      - .offset:         0
        .size:           176
        .value_kind:     by_value
    .group_segment_fixed_size: 0
    .kernarg_segment_align: 8
    .kernarg_segment_size: 176
    .language:       OpenCL C
    .language_version:
      - 2
      - 0
    .max_flat_workgroup_size: 256
    .name:           _ZN7rocprim17ROCPRIM_400000_NS6detail17trampoline_kernelINS0_13select_configILj256ELj13ELNS0_17block_load_methodE3ELS4_3ELS4_3ELNS0_20block_scan_algorithmE0ELj4294967295EEENS1_25partition_config_selectorILNS1_17partition_subalgoE4EjNS0_10empty_typeEbEEZZNS1_14partition_implILS8_4ELb0ES6_15HIP_vector_typeIjLj2EENS0_17counting_iteratorIjlEEPS9_SG_NS0_5tupleIJPjSI_NS0_16reverse_iteratorISI_EEEEENSH_IJSG_SG_SG_EEES9_SI_JZNS1_25segmented_radix_sort_implINS0_14default_configELb1EPKiPiPKlPlN2at6native12_GLOBAL__N_18offset_tEEE10hipError_tPvRmT1_PNSt15iterator_traitsIS12_E10value_typeET2_T3_PNS13_IS18_E10value_typeET4_jRbjT5_S1E_jjP12ihipStream_tbEUljE_ZNSN_ISO_Lb1ESQ_SR_ST_SU_SY_EESZ_S10_S11_S12_S16_S17_S18_S1B_S1C_jS1D_jS1E_S1E_jjS1G_bEUljE0_EEESZ_S10_S11_S18_S1C_S1E_T6_T7_T9_mT8_S1G_bDpT10_ENKUlT_T0_E_clISt17integral_constantIbLb0EES1U_EEDaS1P_S1Q_EUlS1P_E_NS1_11comp_targetILNS1_3genE8ELNS1_11target_archE1030ELNS1_3gpuE2ELNS1_3repE0EEENS1_30default_config_static_selectorELNS0_4arch9wavefront6targetE0EEEvS12_
    .private_segment_fixed_size: 0
    .sgpr_count:     0
    .sgpr_spill_count: 0
    .symbol:         _ZN7rocprim17ROCPRIM_400000_NS6detail17trampoline_kernelINS0_13select_configILj256ELj13ELNS0_17block_load_methodE3ELS4_3ELS4_3ELNS0_20block_scan_algorithmE0ELj4294967295EEENS1_25partition_config_selectorILNS1_17partition_subalgoE4EjNS0_10empty_typeEbEEZZNS1_14partition_implILS8_4ELb0ES6_15HIP_vector_typeIjLj2EENS0_17counting_iteratorIjlEEPS9_SG_NS0_5tupleIJPjSI_NS0_16reverse_iteratorISI_EEEEENSH_IJSG_SG_SG_EEES9_SI_JZNS1_25segmented_radix_sort_implINS0_14default_configELb1EPKiPiPKlPlN2at6native12_GLOBAL__N_18offset_tEEE10hipError_tPvRmT1_PNSt15iterator_traitsIS12_E10value_typeET2_T3_PNS13_IS18_E10value_typeET4_jRbjT5_S1E_jjP12ihipStream_tbEUljE_ZNSN_ISO_Lb1ESQ_SR_ST_SU_SY_EESZ_S10_S11_S12_S16_S17_S18_S1B_S1C_jS1D_jS1E_S1E_jjS1G_bEUljE0_EEESZ_S10_S11_S18_S1C_S1E_T6_T7_T9_mT8_S1G_bDpT10_ENKUlT_T0_E_clISt17integral_constantIbLb0EES1U_EEDaS1P_S1Q_EUlS1P_E_NS1_11comp_targetILNS1_3genE8ELNS1_11target_archE1030ELNS1_3gpuE2ELNS1_3repE0EEENS1_30default_config_static_selectorELNS0_4arch9wavefront6targetE0EEEvS12_.kd
    .uniform_work_group_size: 1
    .uses_dynamic_stack: false
    .vgpr_count:     0
    .vgpr_spill_count: 0
    .wavefront_size: 32
    .workgroup_processor_mode: 1
  - .args:
      - .offset:         0
        .size:           184
        .value_kind:     by_value
    .group_segment_fixed_size: 0
    .kernarg_segment_align: 8
    .kernarg_segment_size: 184
    .language:       OpenCL C
    .language_version:
      - 2
      - 0
    .max_flat_workgroup_size: 256
    .name:           _ZN7rocprim17ROCPRIM_400000_NS6detail17trampoline_kernelINS0_13select_configILj256ELj13ELNS0_17block_load_methodE3ELS4_3ELS4_3ELNS0_20block_scan_algorithmE0ELj4294967295EEENS1_25partition_config_selectorILNS1_17partition_subalgoE4EjNS0_10empty_typeEbEEZZNS1_14partition_implILS8_4ELb0ES6_15HIP_vector_typeIjLj2EENS0_17counting_iteratorIjlEEPS9_SG_NS0_5tupleIJPjSI_NS0_16reverse_iteratorISI_EEEEENSH_IJSG_SG_SG_EEES9_SI_JZNS1_25segmented_radix_sort_implINS0_14default_configELb1EPKiPiPKlPlN2at6native12_GLOBAL__N_18offset_tEEE10hipError_tPvRmT1_PNSt15iterator_traitsIS12_E10value_typeET2_T3_PNS13_IS18_E10value_typeET4_jRbjT5_S1E_jjP12ihipStream_tbEUljE_ZNSN_ISO_Lb1ESQ_SR_ST_SU_SY_EESZ_S10_S11_S12_S16_S17_S18_S1B_S1C_jS1D_jS1E_S1E_jjS1G_bEUljE0_EEESZ_S10_S11_S18_S1C_S1E_T6_T7_T9_mT8_S1G_bDpT10_ENKUlT_T0_E_clISt17integral_constantIbLb1EES1U_EEDaS1P_S1Q_EUlS1P_E_NS1_11comp_targetILNS1_3genE0ELNS1_11target_archE4294967295ELNS1_3gpuE0ELNS1_3repE0EEENS1_30default_config_static_selectorELNS0_4arch9wavefront6targetE0EEEvS12_
    .private_segment_fixed_size: 0
    .sgpr_count:     0
    .sgpr_spill_count: 0
    .symbol:         _ZN7rocprim17ROCPRIM_400000_NS6detail17trampoline_kernelINS0_13select_configILj256ELj13ELNS0_17block_load_methodE3ELS4_3ELS4_3ELNS0_20block_scan_algorithmE0ELj4294967295EEENS1_25partition_config_selectorILNS1_17partition_subalgoE4EjNS0_10empty_typeEbEEZZNS1_14partition_implILS8_4ELb0ES6_15HIP_vector_typeIjLj2EENS0_17counting_iteratorIjlEEPS9_SG_NS0_5tupleIJPjSI_NS0_16reverse_iteratorISI_EEEEENSH_IJSG_SG_SG_EEES9_SI_JZNS1_25segmented_radix_sort_implINS0_14default_configELb1EPKiPiPKlPlN2at6native12_GLOBAL__N_18offset_tEEE10hipError_tPvRmT1_PNSt15iterator_traitsIS12_E10value_typeET2_T3_PNS13_IS18_E10value_typeET4_jRbjT5_S1E_jjP12ihipStream_tbEUljE_ZNSN_ISO_Lb1ESQ_SR_ST_SU_SY_EESZ_S10_S11_S12_S16_S17_S18_S1B_S1C_jS1D_jS1E_S1E_jjS1G_bEUljE0_EEESZ_S10_S11_S18_S1C_S1E_T6_T7_T9_mT8_S1G_bDpT10_ENKUlT_T0_E_clISt17integral_constantIbLb1EES1U_EEDaS1P_S1Q_EUlS1P_E_NS1_11comp_targetILNS1_3genE0ELNS1_11target_archE4294967295ELNS1_3gpuE0ELNS1_3repE0EEENS1_30default_config_static_selectorELNS0_4arch9wavefront6targetE0EEEvS12_.kd
    .uniform_work_group_size: 1
    .uses_dynamic_stack: false
    .vgpr_count:     0
    .vgpr_spill_count: 0
    .wavefront_size: 32
    .workgroup_processor_mode: 1
  - .args:
      - .offset:         0
        .size:           184
        .value_kind:     by_value
    .group_segment_fixed_size: 0
    .kernarg_segment_align: 8
    .kernarg_segment_size: 184
    .language:       OpenCL C
    .language_version:
      - 2
      - 0
    .max_flat_workgroup_size: 256
    .name:           _ZN7rocprim17ROCPRIM_400000_NS6detail17trampoline_kernelINS0_13select_configILj256ELj13ELNS0_17block_load_methodE3ELS4_3ELS4_3ELNS0_20block_scan_algorithmE0ELj4294967295EEENS1_25partition_config_selectorILNS1_17partition_subalgoE4EjNS0_10empty_typeEbEEZZNS1_14partition_implILS8_4ELb0ES6_15HIP_vector_typeIjLj2EENS0_17counting_iteratorIjlEEPS9_SG_NS0_5tupleIJPjSI_NS0_16reverse_iteratorISI_EEEEENSH_IJSG_SG_SG_EEES9_SI_JZNS1_25segmented_radix_sort_implINS0_14default_configELb1EPKiPiPKlPlN2at6native12_GLOBAL__N_18offset_tEEE10hipError_tPvRmT1_PNSt15iterator_traitsIS12_E10value_typeET2_T3_PNS13_IS18_E10value_typeET4_jRbjT5_S1E_jjP12ihipStream_tbEUljE_ZNSN_ISO_Lb1ESQ_SR_ST_SU_SY_EESZ_S10_S11_S12_S16_S17_S18_S1B_S1C_jS1D_jS1E_S1E_jjS1G_bEUljE0_EEESZ_S10_S11_S18_S1C_S1E_T6_T7_T9_mT8_S1G_bDpT10_ENKUlT_T0_E_clISt17integral_constantIbLb1EES1U_EEDaS1P_S1Q_EUlS1P_E_NS1_11comp_targetILNS1_3genE5ELNS1_11target_archE942ELNS1_3gpuE9ELNS1_3repE0EEENS1_30default_config_static_selectorELNS0_4arch9wavefront6targetE0EEEvS12_
    .private_segment_fixed_size: 0
    .sgpr_count:     0
    .sgpr_spill_count: 0
    .symbol:         _ZN7rocprim17ROCPRIM_400000_NS6detail17trampoline_kernelINS0_13select_configILj256ELj13ELNS0_17block_load_methodE3ELS4_3ELS4_3ELNS0_20block_scan_algorithmE0ELj4294967295EEENS1_25partition_config_selectorILNS1_17partition_subalgoE4EjNS0_10empty_typeEbEEZZNS1_14partition_implILS8_4ELb0ES6_15HIP_vector_typeIjLj2EENS0_17counting_iteratorIjlEEPS9_SG_NS0_5tupleIJPjSI_NS0_16reverse_iteratorISI_EEEEENSH_IJSG_SG_SG_EEES9_SI_JZNS1_25segmented_radix_sort_implINS0_14default_configELb1EPKiPiPKlPlN2at6native12_GLOBAL__N_18offset_tEEE10hipError_tPvRmT1_PNSt15iterator_traitsIS12_E10value_typeET2_T3_PNS13_IS18_E10value_typeET4_jRbjT5_S1E_jjP12ihipStream_tbEUljE_ZNSN_ISO_Lb1ESQ_SR_ST_SU_SY_EESZ_S10_S11_S12_S16_S17_S18_S1B_S1C_jS1D_jS1E_S1E_jjS1G_bEUljE0_EEESZ_S10_S11_S18_S1C_S1E_T6_T7_T9_mT8_S1G_bDpT10_ENKUlT_T0_E_clISt17integral_constantIbLb1EES1U_EEDaS1P_S1Q_EUlS1P_E_NS1_11comp_targetILNS1_3genE5ELNS1_11target_archE942ELNS1_3gpuE9ELNS1_3repE0EEENS1_30default_config_static_selectorELNS0_4arch9wavefront6targetE0EEEvS12_.kd
    .uniform_work_group_size: 1
    .uses_dynamic_stack: false
    .vgpr_count:     0
    .vgpr_spill_count: 0
    .wavefront_size: 32
    .workgroup_processor_mode: 1
  - .args:
      - .offset:         0
        .size:           184
        .value_kind:     by_value
    .group_segment_fixed_size: 0
    .kernarg_segment_align: 8
    .kernarg_segment_size: 184
    .language:       OpenCL C
    .language_version:
      - 2
      - 0
    .max_flat_workgroup_size: 256
    .name:           _ZN7rocprim17ROCPRIM_400000_NS6detail17trampoline_kernelINS0_13select_configILj256ELj13ELNS0_17block_load_methodE3ELS4_3ELS4_3ELNS0_20block_scan_algorithmE0ELj4294967295EEENS1_25partition_config_selectorILNS1_17partition_subalgoE4EjNS0_10empty_typeEbEEZZNS1_14partition_implILS8_4ELb0ES6_15HIP_vector_typeIjLj2EENS0_17counting_iteratorIjlEEPS9_SG_NS0_5tupleIJPjSI_NS0_16reverse_iteratorISI_EEEEENSH_IJSG_SG_SG_EEES9_SI_JZNS1_25segmented_radix_sort_implINS0_14default_configELb1EPKiPiPKlPlN2at6native12_GLOBAL__N_18offset_tEEE10hipError_tPvRmT1_PNSt15iterator_traitsIS12_E10value_typeET2_T3_PNS13_IS18_E10value_typeET4_jRbjT5_S1E_jjP12ihipStream_tbEUljE_ZNSN_ISO_Lb1ESQ_SR_ST_SU_SY_EESZ_S10_S11_S12_S16_S17_S18_S1B_S1C_jS1D_jS1E_S1E_jjS1G_bEUljE0_EEESZ_S10_S11_S18_S1C_S1E_T6_T7_T9_mT8_S1G_bDpT10_ENKUlT_T0_E_clISt17integral_constantIbLb1EES1U_EEDaS1P_S1Q_EUlS1P_E_NS1_11comp_targetILNS1_3genE4ELNS1_11target_archE910ELNS1_3gpuE8ELNS1_3repE0EEENS1_30default_config_static_selectorELNS0_4arch9wavefront6targetE0EEEvS12_
    .private_segment_fixed_size: 0
    .sgpr_count:     0
    .sgpr_spill_count: 0
    .symbol:         _ZN7rocprim17ROCPRIM_400000_NS6detail17trampoline_kernelINS0_13select_configILj256ELj13ELNS0_17block_load_methodE3ELS4_3ELS4_3ELNS0_20block_scan_algorithmE0ELj4294967295EEENS1_25partition_config_selectorILNS1_17partition_subalgoE4EjNS0_10empty_typeEbEEZZNS1_14partition_implILS8_4ELb0ES6_15HIP_vector_typeIjLj2EENS0_17counting_iteratorIjlEEPS9_SG_NS0_5tupleIJPjSI_NS0_16reverse_iteratorISI_EEEEENSH_IJSG_SG_SG_EEES9_SI_JZNS1_25segmented_radix_sort_implINS0_14default_configELb1EPKiPiPKlPlN2at6native12_GLOBAL__N_18offset_tEEE10hipError_tPvRmT1_PNSt15iterator_traitsIS12_E10value_typeET2_T3_PNS13_IS18_E10value_typeET4_jRbjT5_S1E_jjP12ihipStream_tbEUljE_ZNSN_ISO_Lb1ESQ_SR_ST_SU_SY_EESZ_S10_S11_S12_S16_S17_S18_S1B_S1C_jS1D_jS1E_S1E_jjS1G_bEUljE0_EEESZ_S10_S11_S18_S1C_S1E_T6_T7_T9_mT8_S1G_bDpT10_ENKUlT_T0_E_clISt17integral_constantIbLb1EES1U_EEDaS1P_S1Q_EUlS1P_E_NS1_11comp_targetILNS1_3genE4ELNS1_11target_archE910ELNS1_3gpuE8ELNS1_3repE0EEENS1_30default_config_static_selectorELNS0_4arch9wavefront6targetE0EEEvS12_.kd
    .uniform_work_group_size: 1
    .uses_dynamic_stack: false
    .vgpr_count:     0
    .vgpr_spill_count: 0
    .wavefront_size: 32
    .workgroup_processor_mode: 1
  - .args:
      - .offset:         0
        .size:           184
        .value_kind:     by_value
    .group_segment_fixed_size: 0
    .kernarg_segment_align: 8
    .kernarg_segment_size: 184
    .language:       OpenCL C
    .language_version:
      - 2
      - 0
    .max_flat_workgroup_size: 256
    .name:           _ZN7rocprim17ROCPRIM_400000_NS6detail17trampoline_kernelINS0_13select_configILj256ELj13ELNS0_17block_load_methodE3ELS4_3ELS4_3ELNS0_20block_scan_algorithmE0ELj4294967295EEENS1_25partition_config_selectorILNS1_17partition_subalgoE4EjNS0_10empty_typeEbEEZZNS1_14partition_implILS8_4ELb0ES6_15HIP_vector_typeIjLj2EENS0_17counting_iteratorIjlEEPS9_SG_NS0_5tupleIJPjSI_NS0_16reverse_iteratorISI_EEEEENSH_IJSG_SG_SG_EEES9_SI_JZNS1_25segmented_radix_sort_implINS0_14default_configELb1EPKiPiPKlPlN2at6native12_GLOBAL__N_18offset_tEEE10hipError_tPvRmT1_PNSt15iterator_traitsIS12_E10value_typeET2_T3_PNS13_IS18_E10value_typeET4_jRbjT5_S1E_jjP12ihipStream_tbEUljE_ZNSN_ISO_Lb1ESQ_SR_ST_SU_SY_EESZ_S10_S11_S12_S16_S17_S18_S1B_S1C_jS1D_jS1E_S1E_jjS1G_bEUljE0_EEESZ_S10_S11_S18_S1C_S1E_T6_T7_T9_mT8_S1G_bDpT10_ENKUlT_T0_E_clISt17integral_constantIbLb1EES1U_EEDaS1P_S1Q_EUlS1P_E_NS1_11comp_targetILNS1_3genE3ELNS1_11target_archE908ELNS1_3gpuE7ELNS1_3repE0EEENS1_30default_config_static_selectorELNS0_4arch9wavefront6targetE0EEEvS12_
    .private_segment_fixed_size: 0
    .sgpr_count:     0
    .sgpr_spill_count: 0
    .symbol:         _ZN7rocprim17ROCPRIM_400000_NS6detail17trampoline_kernelINS0_13select_configILj256ELj13ELNS0_17block_load_methodE3ELS4_3ELS4_3ELNS0_20block_scan_algorithmE0ELj4294967295EEENS1_25partition_config_selectorILNS1_17partition_subalgoE4EjNS0_10empty_typeEbEEZZNS1_14partition_implILS8_4ELb0ES6_15HIP_vector_typeIjLj2EENS0_17counting_iteratorIjlEEPS9_SG_NS0_5tupleIJPjSI_NS0_16reverse_iteratorISI_EEEEENSH_IJSG_SG_SG_EEES9_SI_JZNS1_25segmented_radix_sort_implINS0_14default_configELb1EPKiPiPKlPlN2at6native12_GLOBAL__N_18offset_tEEE10hipError_tPvRmT1_PNSt15iterator_traitsIS12_E10value_typeET2_T3_PNS13_IS18_E10value_typeET4_jRbjT5_S1E_jjP12ihipStream_tbEUljE_ZNSN_ISO_Lb1ESQ_SR_ST_SU_SY_EESZ_S10_S11_S12_S16_S17_S18_S1B_S1C_jS1D_jS1E_S1E_jjS1G_bEUljE0_EEESZ_S10_S11_S18_S1C_S1E_T6_T7_T9_mT8_S1G_bDpT10_ENKUlT_T0_E_clISt17integral_constantIbLb1EES1U_EEDaS1P_S1Q_EUlS1P_E_NS1_11comp_targetILNS1_3genE3ELNS1_11target_archE908ELNS1_3gpuE7ELNS1_3repE0EEENS1_30default_config_static_selectorELNS0_4arch9wavefront6targetE0EEEvS12_.kd
    .uniform_work_group_size: 1
    .uses_dynamic_stack: false
    .vgpr_count:     0
    .vgpr_spill_count: 0
    .wavefront_size: 32
    .workgroup_processor_mode: 1
  - .args:
      - .offset:         0
        .size:           184
        .value_kind:     by_value
    .group_segment_fixed_size: 0
    .kernarg_segment_align: 8
    .kernarg_segment_size: 184
    .language:       OpenCL C
    .language_version:
      - 2
      - 0
    .max_flat_workgroup_size: 256
    .name:           _ZN7rocprim17ROCPRIM_400000_NS6detail17trampoline_kernelINS0_13select_configILj256ELj13ELNS0_17block_load_methodE3ELS4_3ELS4_3ELNS0_20block_scan_algorithmE0ELj4294967295EEENS1_25partition_config_selectorILNS1_17partition_subalgoE4EjNS0_10empty_typeEbEEZZNS1_14partition_implILS8_4ELb0ES6_15HIP_vector_typeIjLj2EENS0_17counting_iteratorIjlEEPS9_SG_NS0_5tupleIJPjSI_NS0_16reverse_iteratorISI_EEEEENSH_IJSG_SG_SG_EEES9_SI_JZNS1_25segmented_radix_sort_implINS0_14default_configELb1EPKiPiPKlPlN2at6native12_GLOBAL__N_18offset_tEEE10hipError_tPvRmT1_PNSt15iterator_traitsIS12_E10value_typeET2_T3_PNS13_IS18_E10value_typeET4_jRbjT5_S1E_jjP12ihipStream_tbEUljE_ZNSN_ISO_Lb1ESQ_SR_ST_SU_SY_EESZ_S10_S11_S12_S16_S17_S18_S1B_S1C_jS1D_jS1E_S1E_jjS1G_bEUljE0_EEESZ_S10_S11_S18_S1C_S1E_T6_T7_T9_mT8_S1G_bDpT10_ENKUlT_T0_E_clISt17integral_constantIbLb1EES1U_EEDaS1P_S1Q_EUlS1P_E_NS1_11comp_targetILNS1_3genE2ELNS1_11target_archE906ELNS1_3gpuE6ELNS1_3repE0EEENS1_30default_config_static_selectorELNS0_4arch9wavefront6targetE0EEEvS12_
    .private_segment_fixed_size: 0
    .sgpr_count:     0
    .sgpr_spill_count: 0
    .symbol:         _ZN7rocprim17ROCPRIM_400000_NS6detail17trampoline_kernelINS0_13select_configILj256ELj13ELNS0_17block_load_methodE3ELS4_3ELS4_3ELNS0_20block_scan_algorithmE0ELj4294967295EEENS1_25partition_config_selectorILNS1_17partition_subalgoE4EjNS0_10empty_typeEbEEZZNS1_14partition_implILS8_4ELb0ES6_15HIP_vector_typeIjLj2EENS0_17counting_iteratorIjlEEPS9_SG_NS0_5tupleIJPjSI_NS0_16reverse_iteratorISI_EEEEENSH_IJSG_SG_SG_EEES9_SI_JZNS1_25segmented_radix_sort_implINS0_14default_configELb1EPKiPiPKlPlN2at6native12_GLOBAL__N_18offset_tEEE10hipError_tPvRmT1_PNSt15iterator_traitsIS12_E10value_typeET2_T3_PNS13_IS18_E10value_typeET4_jRbjT5_S1E_jjP12ihipStream_tbEUljE_ZNSN_ISO_Lb1ESQ_SR_ST_SU_SY_EESZ_S10_S11_S12_S16_S17_S18_S1B_S1C_jS1D_jS1E_S1E_jjS1G_bEUljE0_EEESZ_S10_S11_S18_S1C_S1E_T6_T7_T9_mT8_S1G_bDpT10_ENKUlT_T0_E_clISt17integral_constantIbLb1EES1U_EEDaS1P_S1Q_EUlS1P_E_NS1_11comp_targetILNS1_3genE2ELNS1_11target_archE906ELNS1_3gpuE6ELNS1_3repE0EEENS1_30default_config_static_selectorELNS0_4arch9wavefront6targetE0EEEvS12_.kd
    .uniform_work_group_size: 1
    .uses_dynamic_stack: false
    .vgpr_count:     0
    .vgpr_spill_count: 0
    .wavefront_size: 32
    .workgroup_processor_mode: 1
  - .args:
      - .offset:         0
        .size:           184
        .value_kind:     by_value
    .group_segment_fixed_size: 0
    .kernarg_segment_align: 8
    .kernarg_segment_size: 184
    .language:       OpenCL C
    .language_version:
      - 2
      - 0
    .max_flat_workgroup_size: 256
    .name:           _ZN7rocprim17ROCPRIM_400000_NS6detail17trampoline_kernelINS0_13select_configILj256ELj13ELNS0_17block_load_methodE3ELS4_3ELS4_3ELNS0_20block_scan_algorithmE0ELj4294967295EEENS1_25partition_config_selectorILNS1_17partition_subalgoE4EjNS0_10empty_typeEbEEZZNS1_14partition_implILS8_4ELb0ES6_15HIP_vector_typeIjLj2EENS0_17counting_iteratorIjlEEPS9_SG_NS0_5tupleIJPjSI_NS0_16reverse_iteratorISI_EEEEENSH_IJSG_SG_SG_EEES9_SI_JZNS1_25segmented_radix_sort_implINS0_14default_configELb1EPKiPiPKlPlN2at6native12_GLOBAL__N_18offset_tEEE10hipError_tPvRmT1_PNSt15iterator_traitsIS12_E10value_typeET2_T3_PNS13_IS18_E10value_typeET4_jRbjT5_S1E_jjP12ihipStream_tbEUljE_ZNSN_ISO_Lb1ESQ_SR_ST_SU_SY_EESZ_S10_S11_S12_S16_S17_S18_S1B_S1C_jS1D_jS1E_S1E_jjS1G_bEUljE0_EEESZ_S10_S11_S18_S1C_S1E_T6_T7_T9_mT8_S1G_bDpT10_ENKUlT_T0_E_clISt17integral_constantIbLb1EES1U_EEDaS1P_S1Q_EUlS1P_E_NS1_11comp_targetILNS1_3genE10ELNS1_11target_archE1200ELNS1_3gpuE4ELNS1_3repE0EEENS1_30default_config_static_selectorELNS0_4arch9wavefront6targetE0EEEvS12_
    .private_segment_fixed_size: 0
    .sgpr_count:     0
    .sgpr_spill_count: 0
    .symbol:         _ZN7rocprim17ROCPRIM_400000_NS6detail17trampoline_kernelINS0_13select_configILj256ELj13ELNS0_17block_load_methodE3ELS4_3ELS4_3ELNS0_20block_scan_algorithmE0ELj4294967295EEENS1_25partition_config_selectorILNS1_17partition_subalgoE4EjNS0_10empty_typeEbEEZZNS1_14partition_implILS8_4ELb0ES6_15HIP_vector_typeIjLj2EENS0_17counting_iteratorIjlEEPS9_SG_NS0_5tupleIJPjSI_NS0_16reverse_iteratorISI_EEEEENSH_IJSG_SG_SG_EEES9_SI_JZNS1_25segmented_radix_sort_implINS0_14default_configELb1EPKiPiPKlPlN2at6native12_GLOBAL__N_18offset_tEEE10hipError_tPvRmT1_PNSt15iterator_traitsIS12_E10value_typeET2_T3_PNS13_IS18_E10value_typeET4_jRbjT5_S1E_jjP12ihipStream_tbEUljE_ZNSN_ISO_Lb1ESQ_SR_ST_SU_SY_EESZ_S10_S11_S12_S16_S17_S18_S1B_S1C_jS1D_jS1E_S1E_jjS1G_bEUljE0_EEESZ_S10_S11_S18_S1C_S1E_T6_T7_T9_mT8_S1G_bDpT10_ENKUlT_T0_E_clISt17integral_constantIbLb1EES1U_EEDaS1P_S1Q_EUlS1P_E_NS1_11comp_targetILNS1_3genE10ELNS1_11target_archE1200ELNS1_3gpuE4ELNS1_3repE0EEENS1_30default_config_static_selectorELNS0_4arch9wavefront6targetE0EEEvS12_.kd
    .uniform_work_group_size: 1
    .uses_dynamic_stack: false
    .vgpr_count:     0
    .vgpr_spill_count: 0
    .wavefront_size: 32
    .workgroup_processor_mode: 1
  - .args:
      - .offset:         0
        .size:           184
        .value_kind:     by_value
    .group_segment_fixed_size: 0
    .kernarg_segment_align: 8
    .kernarg_segment_size: 184
    .language:       OpenCL C
    .language_version:
      - 2
      - 0
    .max_flat_workgroup_size: 256
    .name:           _ZN7rocprim17ROCPRIM_400000_NS6detail17trampoline_kernelINS0_13select_configILj256ELj13ELNS0_17block_load_methodE3ELS4_3ELS4_3ELNS0_20block_scan_algorithmE0ELj4294967295EEENS1_25partition_config_selectorILNS1_17partition_subalgoE4EjNS0_10empty_typeEbEEZZNS1_14partition_implILS8_4ELb0ES6_15HIP_vector_typeIjLj2EENS0_17counting_iteratorIjlEEPS9_SG_NS0_5tupleIJPjSI_NS0_16reverse_iteratorISI_EEEEENSH_IJSG_SG_SG_EEES9_SI_JZNS1_25segmented_radix_sort_implINS0_14default_configELb1EPKiPiPKlPlN2at6native12_GLOBAL__N_18offset_tEEE10hipError_tPvRmT1_PNSt15iterator_traitsIS12_E10value_typeET2_T3_PNS13_IS18_E10value_typeET4_jRbjT5_S1E_jjP12ihipStream_tbEUljE_ZNSN_ISO_Lb1ESQ_SR_ST_SU_SY_EESZ_S10_S11_S12_S16_S17_S18_S1B_S1C_jS1D_jS1E_S1E_jjS1G_bEUljE0_EEESZ_S10_S11_S18_S1C_S1E_T6_T7_T9_mT8_S1G_bDpT10_ENKUlT_T0_E_clISt17integral_constantIbLb1EES1U_EEDaS1P_S1Q_EUlS1P_E_NS1_11comp_targetILNS1_3genE9ELNS1_11target_archE1100ELNS1_3gpuE3ELNS1_3repE0EEENS1_30default_config_static_selectorELNS0_4arch9wavefront6targetE0EEEvS12_
    .private_segment_fixed_size: 0
    .sgpr_count:     0
    .sgpr_spill_count: 0
    .symbol:         _ZN7rocprim17ROCPRIM_400000_NS6detail17trampoline_kernelINS0_13select_configILj256ELj13ELNS0_17block_load_methodE3ELS4_3ELS4_3ELNS0_20block_scan_algorithmE0ELj4294967295EEENS1_25partition_config_selectorILNS1_17partition_subalgoE4EjNS0_10empty_typeEbEEZZNS1_14partition_implILS8_4ELb0ES6_15HIP_vector_typeIjLj2EENS0_17counting_iteratorIjlEEPS9_SG_NS0_5tupleIJPjSI_NS0_16reverse_iteratorISI_EEEEENSH_IJSG_SG_SG_EEES9_SI_JZNS1_25segmented_radix_sort_implINS0_14default_configELb1EPKiPiPKlPlN2at6native12_GLOBAL__N_18offset_tEEE10hipError_tPvRmT1_PNSt15iterator_traitsIS12_E10value_typeET2_T3_PNS13_IS18_E10value_typeET4_jRbjT5_S1E_jjP12ihipStream_tbEUljE_ZNSN_ISO_Lb1ESQ_SR_ST_SU_SY_EESZ_S10_S11_S12_S16_S17_S18_S1B_S1C_jS1D_jS1E_S1E_jjS1G_bEUljE0_EEESZ_S10_S11_S18_S1C_S1E_T6_T7_T9_mT8_S1G_bDpT10_ENKUlT_T0_E_clISt17integral_constantIbLb1EES1U_EEDaS1P_S1Q_EUlS1P_E_NS1_11comp_targetILNS1_3genE9ELNS1_11target_archE1100ELNS1_3gpuE3ELNS1_3repE0EEENS1_30default_config_static_selectorELNS0_4arch9wavefront6targetE0EEEvS12_.kd
    .uniform_work_group_size: 1
    .uses_dynamic_stack: false
    .vgpr_count:     0
    .vgpr_spill_count: 0
    .wavefront_size: 32
    .workgroup_processor_mode: 1
  - .args:
      - .offset:         0
        .size:           184
        .value_kind:     by_value
    .group_segment_fixed_size: 0
    .kernarg_segment_align: 8
    .kernarg_segment_size: 184
    .language:       OpenCL C
    .language_version:
      - 2
      - 0
    .max_flat_workgroup_size: 256
    .name:           _ZN7rocprim17ROCPRIM_400000_NS6detail17trampoline_kernelINS0_13select_configILj256ELj13ELNS0_17block_load_methodE3ELS4_3ELS4_3ELNS0_20block_scan_algorithmE0ELj4294967295EEENS1_25partition_config_selectorILNS1_17partition_subalgoE4EjNS0_10empty_typeEbEEZZNS1_14partition_implILS8_4ELb0ES6_15HIP_vector_typeIjLj2EENS0_17counting_iteratorIjlEEPS9_SG_NS0_5tupleIJPjSI_NS0_16reverse_iteratorISI_EEEEENSH_IJSG_SG_SG_EEES9_SI_JZNS1_25segmented_radix_sort_implINS0_14default_configELb1EPKiPiPKlPlN2at6native12_GLOBAL__N_18offset_tEEE10hipError_tPvRmT1_PNSt15iterator_traitsIS12_E10value_typeET2_T3_PNS13_IS18_E10value_typeET4_jRbjT5_S1E_jjP12ihipStream_tbEUljE_ZNSN_ISO_Lb1ESQ_SR_ST_SU_SY_EESZ_S10_S11_S12_S16_S17_S18_S1B_S1C_jS1D_jS1E_S1E_jjS1G_bEUljE0_EEESZ_S10_S11_S18_S1C_S1E_T6_T7_T9_mT8_S1G_bDpT10_ENKUlT_T0_E_clISt17integral_constantIbLb1EES1U_EEDaS1P_S1Q_EUlS1P_E_NS1_11comp_targetILNS1_3genE8ELNS1_11target_archE1030ELNS1_3gpuE2ELNS1_3repE0EEENS1_30default_config_static_selectorELNS0_4arch9wavefront6targetE0EEEvS12_
    .private_segment_fixed_size: 0
    .sgpr_count:     0
    .sgpr_spill_count: 0
    .symbol:         _ZN7rocprim17ROCPRIM_400000_NS6detail17trampoline_kernelINS0_13select_configILj256ELj13ELNS0_17block_load_methodE3ELS4_3ELS4_3ELNS0_20block_scan_algorithmE0ELj4294967295EEENS1_25partition_config_selectorILNS1_17partition_subalgoE4EjNS0_10empty_typeEbEEZZNS1_14partition_implILS8_4ELb0ES6_15HIP_vector_typeIjLj2EENS0_17counting_iteratorIjlEEPS9_SG_NS0_5tupleIJPjSI_NS0_16reverse_iteratorISI_EEEEENSH_IJSG_SG_SG_EEES9_SI_JZNS1_25segmented_radix_sort_implINS0_14default_configELb1EPKiPiPKlPlN2at6native12_GLOBAL__N_18offset_tEEE10hipError_tPvRmT1_PNSt15iterator_traitsIS12_E10value_typeET2_T3_PNS13_IS18_E10value_typeET4_jRbjT5_S1E_jjP12ihipStream_tbEUljE_ZNSN_ISO_Lb1ESQ_SR_ST_SU_SY_EESZ_S10_S11_S12_S16_S17_S18_S1B_S1C_jS1D_jS1E_S1E_jjS1G_bEUljE0_EEESZ_S10_S11_S18_S1C_S1E_T6_T7_T9_mT8_S1G_bDpT10_ENKUlT_T0_E_clISt17integral_constantIbLb1EES1U_EEDaS1P_S1Q_EUlS1P_E_NS1_11comp_targetILNS1_3genE8ELNS1_11target_archE1030ELNS1_3gpuE2ELNS1_3repE0EEENS1_30default_config_static_selectorELNS0_4arch9wavefront6targetE0EEEvS12_.kd
    .uniform_work_group_size: 1
    .uses_dynamic_stack: false
    .vgpr_count:     0
    .vgpr_spill_count: 0
    .wavefront_size: 32
    .workgroup_processor_mode: 1
  - .args:
      - .offset:         0
        .size:           176
        .value_kind:     by_value
    .group_segment_fixed_size: 0
    .kernarg_segment_align: 8
    .kernarg_segment_size: 176
    .language:       OpenCL C
    .language_version:
      - 2
      - 0
    .max_flat_workgroup_size: 256
    .name:           _ZN7rocprim17ROCPRIM_400000_NS6detail17trampoline_kernelINS0_13select_configILj256ELj13ELNS0_17block_load_methodE3ELS4_3ELS4_3ELNS0_20block_scan_algorithmE0ELj4294967295EEENS1_25partition_config_selectorILNS1_17partition_subalgoE4EjNS0_10empty_typeEbEEZZNS1_14partition_implILS8_4ELb0ES6_15HIP_vector_typeIjLj2EENS0_17counting_iteratorIjlEEPS9_SG_NS0_5tupleIJPjSI_NS0_16reverse_iteratorISI_EEEEENSH_IJSG_SG_SG_EEES9_SI_JZNS1_25segmented_radix_sort_implINS0_14default_configELb1EPKiPiPKlPlN2at6native12_GLOBAL__N_18offset_tEEE10hipError_tPvRmT1_PNSt15iterator_traitsIS12_E10value_typeET2_T3_PNS13_IS18_E10value_typeET4_jRbjT5_S1E_jjP12ihipStream_tbEUljE_ZNSN_ISO_Lb1ESQ_SR_ST_SU_SY_EESZ_S10_S11_S12_S16_S17_S18_S1B_S1C_jS1D_jS1E_S1E_jjS1G_bEUljE0_EEESZ_S10_S11_S18_S1C_S1E_T6_T7_T9_mT8_S1G_bDpT10_ENKUlT_T0_E_clISt17integral_constantIbLb1EES1T_IbLb0EEEEDaS1P_S1Q_EUlS1P_E_NS1_11comp_targetILNS1_3genE0ELNS1_11target_archE4294967295ELNS1_3gpuE0ELNS1_3repE0EEENS1_30default_config_static_selectorELNS0_4arch9wavefront6targetE0EEEvS12_
    .private_segment_fixed_size: 0
    .sgpr_count:     0
    .sgpr_spill_count: 0
    .symbol:         _ZN7rocprim17ROCPRIM_400000_NS6detail17trampoline_kernelINS0_13select_configILj256ELj13ELNS0_17block_load_methodE3ELS4_3ELS4_3ELNS0_20block_scan_algorithmE0ELj4294967295EEENS1_25partition_config_selectorILNS1_17partition_subalgoE4EjNS0_10empty_typeEbEEZZNS1_14partition_implILS8_4ELb0ES6_15HIP_vector_typeIjLj2EENS0_17counting_iteratorIjlEEPS9_SG_NS0_5tupleIJPjSI_NS0_16reverse_iteratorISI_EEEEENSH_IJSG_SG_SG_EEES9_SI_JZNS1_25segmented_radix_sort_implINS0_14default_configELb1EPKiPiPKlPlN2at6native12_GLOBAL__N_18offset_tEEE10hipError_tPvRmT1_PNSt15iterator_traitsIS12_E10value_typeET2_T3_PNS13_IS18_E10value_typeET4_jRbjT5_S1E_jjP12ihipStream_tbEUljE_ZNSN_ISO_Lb1ESQ_SR_ST_SU_SY_EESZ_S10_S11_S12_S16_S17_S18_S1B_S1C_jS1D_jS1E_S1E_jjS1G_bEUljE0_EEESZ_S10_S11_S18_S1C_S1E_T6_T7_T9_mT8_S1G_bDpT10_ENKUlT_T0_E_clISt17integral_constantIbLb1EES1T_IbLb0EEEEDaS1P_S1Q_EUlS1P_E_NS1_11comp_targetILNS1_3genE0ELNS1_11target_archE4294967295ELNS1_3gpuE0ELNS1_3repE0EEENS1_30default_config_static_selectorELNS0_4arch9wavefront6targetE0EEEvS12_.kd
    .uniform_work_group_size: 1
    .uses_dynamic_stack: false
    .vgpr_count:     0
    .vgpr_spill_count: 0
    .wavefront_size: 32
    .workgroup_processor_mode: 1
  - .args:
      - .offset:         0
        .size:           176
        .value_kind:     by_value
    .group_segment_fixed_size: 0
    .kernarg_segment_align: 8
    .kernarg_segment_size: 176
    .language:       OpenCL C
    .language_version:
      - 2
      - 0
    .max_flat_workgroup_size: 256
    .name:           _ZN7rocprim17ROCPRIM_400000_NS6detail17trampoline_kernelINS0_13select_configILj256ELj13ELNS0_17block_load_methodE3ELS4_3ELS4_3ELNS0_20block_scan_algorithmE0ELj4294967295EEENS1_25partition_config_selectorILNS1_17partition_subalgoE4EjNS0_10empty_typeEbEEZZNS1_14partition_implILS8_4ELb0ES6_15HIP_vector_typeIjLj2EENS0_17counting_iteratorIjlEEPS9_SG_NS0_5tupleIJPjSI_NS0_16reverse_iteratorISI_EEEEENSH_IJSG_SG_SG_EEES9_SI_JZNS1_25segmented_radix_sort_implINS0_14default_configELb1EPKiPiPKlPlN2at6native12_GLOBAL__N_18offset_tEEE10hipError_tPvRmT1_PNSt15iterator_traitsIS12_E10value_typeET2_T3_PNS13_IS18_E10value_typeET4_jRbjT5_S1E_jjP12ihipStream_tbEUljE_ZNSN_ISO_Lb1ESQ_SR_ST_SU_SY_EESZ_S10_S11_S12_S16_S17_S18_S1B_S1C_jS1D_jS1E_S1E_jjS1G_bEUljE0_EEESZ_S10_S11_S18_S1C_S1E_T6_T7_T9_mT8_S1G_bDpT10_ENKUlT_T0_E_clISt17integral_constantIbLb1EES1T_IbLb0EEEEDaS1P_S1Q_EUlS1P_E_NS1_11comp_targetILNS1_3genE5ELNS1_11target_archE942ELNS1_3gpuE9ELNS1_3repE0EEENS1_30default_config_static_selectorELNS0_4arch9wavefront6targetE0EEEvS12_
    .private_segment_fixed_size: 0
    .sgpr_count:     0
    .sgpr_spill_count: 0
    .symbol:         _ZN7rocprim17ROCPRIM_400000_NS6detail17trampoline_kernelINS0_13select_configILj256ELj13ELNS0_17block_load_methodE3ELS4_3ELS4_3ELNS0_20block_scan_algorithmE0ELj4294967295EEENS1_25partition_config_selectorILNS1_17partition_subalgoE4EjNS0_10empty_typeEbEEZZNS1_14partition_implILS8_4ELb0ES6_15HIP_vector_typeIjLj2EENS0_17counting_iteratorIjlEEPS9_SG_NS0_5tupleIJPjSI_NS0_16reverse_iteratorISI_EEEEENSH_IJSG_SG_SG_EEES9_SI_JZNS1_25segmented_radix_sort_implINS0_14default_configELb1EPKiPiPKlPlN2at6native12_GLOBAL__N_18offset_tEEE10hipError_tPvRmT1_PNSt15iterator_traitsIS12_E10value_typeET2_T3_PNS13_IS18_E10value_typeET4_jRbjT5_S1E_jjP12ihipStream_tbEUljE_ZNSN_ISO_Lb1ESQ_SR_ST_SU_SY_EESZ_S10_S11_S12_S16_S17_S18_S1B_S1C_jS1D_jS1E_S1E_jjS1G_bEUljE0_EEESZ_S10_S11_S18_S1C_S1E_T6_T7_T9_mT8_S1G_bDpT10_ENKUlT_T0_E_clISt17integral_constantIbLb1EES1T_IbLb0EEEEDaS1P_S1Q_EUlS1P_E_NS1_11comp_targetILNS1_3genE5ELNS1_11target_archE942ELNS1_3gpuE9ELNS1_3repE0EEENS1_30default_config_static_selectorELNS0_4arch9wavefront6targetE0EEEvS12_.kd
    .uniform_work_group_size: 1
    .uses_dynamic_stack: false
    .vgpr_count:     0
    .vgpr_spill_count: 0
    .wavefront_size: 32
    .workgroup_processor_mode: 1
  - .args:
      - .offset:         0
        .size:           176
        .value_kind:     by_value
    .group_segment_fixed_size: 0
    .kernarg_segment_align: 8
    .kernarg_segment_size: 176
    .language:       OpenCL C
    .language_version:
      - 2
      - 0
    .max_flat_workgroup_size: 256
    .name:           _ZN7rocprim17ROCPRIM_400000_NS6detail17trampoline_kernelINS0_13select_configILj256ELj13ELNS0_17block_load_methodE3ELS4_3ELS4_3ELNS0_20block_scan_algorithmE0ELj4294967295EEENS1_25partition_config_selectorILNS1_17partition_subalgoE4EjNS0_10empty_typeEbEEZZNS1_14partition_implILS8_4ELb0ES6_15HIP_vector_typeIjLj2EENS0_17counting_iteratorIjlEEPS9_SG_NS0_5tupleIJPjSI_NS0_16reverse_iteratorISI_EEEEENSH_IJSG_SG_SG_EEES9_SI_JZNS1_25segmented_radix_sort_implINS0_14default_configELb1EPKiPiPKlPlN2at6native12_GLOBAL__N_18offset_tEEE10hipError_tPvRmT1_PNSt15iterator_traitsIS12_E10value_typeET2_T3_PNS13_IS18_E10value_typeET4_jRbjT5_S1E_jjP12ihipStream_tbEUljE_ZNSN_ISO_Lb1ESQ_SR_ST_SU_SY_EESZ_S10_S11_S12_S16_S17_S18_S1B_S1C_jS1D_jS1E_S1E_jjS1G_bEUljE0_EEESZ_S10_S11_S18_S1C_S1E_T6_T7_T9_mT8_S1G_bDpT10_ENKUlT_T0_E_clISt17integral_constantIbLb1EES1T_IbLb0EEEEDaS1P_S1Q_EUlS1P_E_NS1_11comp_targetILNS1_3genE4ELNS1_11target_archE910ELNS1_3gpuE8ELNS1_3repE0EEENS1_30default_config_static_selectorELNS0_4arch9wavefront6targetE0EEEvS12_
    .private_segment_fixed_size: 0
    .sgpr_count:     0
    .sgpr_spill_count: 0
    .symbol:         _ZN7rocprim17ROCPRIM_400000_NS6detail17trampoline_kernelINS0_13select_configILj256ELj13ELNS0_17block_load_methodE3ELS4_3ELS4_3ELNS0_20block_scan_algorithmE0ELj4294967295EEENS1_25partition_config_selectorILNS1_17partition_subalgoE4EjNS0_10empty_typeEbEEZZNS1_14partition_implILS8_4ELb0ES6_15HIP_vector_typeIjLj2EENS0_17counting_iteratorIjlEEPS9_SG_NS0_5tupleIJPjSI_NS0_16reverse_iteratorISI_EEEEENSH_IJSG_SG_SG_EEES9_SI_JZNS1_25segmented_radix_sort_implINS0_14default_configELb1EPKiPiPKlPlN2at6native12_GLOBAL__N_18offset_tEEE10hipError_tPvRmT1_PNSt15iterator_traitsIS12_E10value_typeET2_T3_PNS13_IS18_E10value_typeET4_jRbjT5_S1E_jjP12ihipStream_tbEUljE_ZNSN_ISO_Lb1ESQ_SR_ST_SU_SY_EESZ_S10_S11_S12_S16_S17_S18_S1B_S1C_jS1D_jS1E_S1E_jjS1G_bEUljE0_EEESZ_S10_S11_S18_S1C_S1E_T6_T7_T9_mT8_S1G_bDpT10_ENKUlT_T0_E_clISt17integral_constantIbLb1EES1T_IbLb0EEEEDaS1P_S1Q_EUlS1P_E_NS1_11comp_targetILNS1_3genE4ELNS1_11target_archE910ELNS1_3gpuE8ELNS1_3repE0EEENS1_30default_config_static_selectorELNS0_4arch9wavefront6targetE0EEEvS12_.kd
    .uniform_work_group_size: 1
    .uses_dynamic_stack: false
    .vgpr_count:     0
    .vgpr_spill_count: 0
    .wavefront_size: 32
    .workgroup_processor_mode: 1
  - .args:
      - .offset:         0
        .size:           176
        .value_kind:     by_value
    .group_segment_fixed_size: 0
    .kernarg_segment_align: 8
    .kernarg_segment_size: 176
    .language:       OpenCL C
    .language_version:
      - 2
      - 0
    .max_flat_workgroup_size: 256
    .name:           _ZN7rocprim17ROCPRIM_400000_NS6detail17trampoline_kernelINS0_13select_configILj256ELj13ELNS0_17block_load_methodE3ELS4_3ELS4_3ELNS0_20block_scan_algorithmE0ELj4294967295EEENS1_25partition_config_selectorILNS1_17partition_subalgoE4EjNS0_10empty_typeEbEEZZNS1_14partition_implILS8_4ELb0ES6_15HIP_vector_typeIjLj2EENS0_17counting_iteratorIjlEEPS9_SG_NS0_5tupleIJPjSI_NS0_16reverse_iteratorISI_EEEEENSH_IJSG_SG_SG_EEES9_SI_JZNS1_25segmented_radix_sort_implINS0_14default_configELb1EPKiPiPKlPlN2at6native12_GLOBAL__N_18offset_tEEE10hipError_tPvRmT1_PNSt15iterator_traitsIS12_E10value_typeET2_T3_PNS13_IS18_E10value_typeET4_jRbjT5_S1E_jjP12ihipStream_tbEUljE_ZNSN_ISO_Lb1ESQ_SR_ST_SU_SY_EESZ_S10_S11_S12_S16_S17_S18_S1B_S1C_jS1D_jS1E_S1E_jjS1G_bEUljE0_EEESZ_S10_S11_S18_S1C_S1E_T6_T7_T9_mT8_S1G_bDpT10_ENKUlT_T0_E_clISt17integral_constantIbLb1EES1T_IbLb0EEEEDaS1P_S1Q_EUlS1P_E_NS1_11comp_targetILNS1_3genE3ELNS1_11target_archE908ELNS1_3gpuE7ELNS1_3repE0EEENS1_30default_config_static_selectorELNS0_4arch9wavefront6targetE0EEEvS12_
    .private_segment_fixed_size: 0
    .sgpr_count:     0
    .sgpr_spill_count: 0
    .symbol:         _ZN7rocprim17ROCPRIM_400000_NS6detail17trampoline_kernelINS0_13select_configILj256ELj13ELNS0_17block_load_methodE3ELS4_3ELS4_3ELNS0_20block_scan_algorithmE0ELj4294967295EEENS1_25partition_config_selectorILNS1_17partition_subalgoE4EjNS0_10empty_typeEbEEZZNS1_14partition_implILS8_4ELb0ES6_15HIP_vector_typeIjLj2EENS0_17counting_iteratorIjlEEPS9_SG_NS0_5tupleIJPjSI_NS0_16reverse_iteratorISI_EEEEENSH_IJSG_SG_SG_EEES9_SI_JZNS1_25segmented_radix_sort_implINS0_14default_configELb1EPKiPiPKlPlN2at6native12_GLOBAL__N_18offset_tEEE10hipError_tPvRmT1_PNSt15iterator_traitsIS12_E10value_typeET2_T3_PNS13_IS18_E10value_typeET4_jRbjT5_S1E_jjP12ihipStream_tbEUljE_ZNSN_ISO_Lb1ESQ_SR_ST_SU_SY_EESZ_S10_S11_S12_S16_S17_S18_S1B_S1C_jS1D_jS1E_S1E_jjS1G_bEUljE0_EEESZ_S10_S11_S18_S1C_S1E_T6_T7_T9_mT8_S1G_bDpT10_ENKUlT_T0_E_clISt17integral_constantIbLb1EES1T_IbLb0EEEEDaS1P_S1Q_EUlS1P_E_NS1_11comp_targetILNS1_3genE3ELNS1_11target_archE908ELNS1_3gpuE7ELNS1_3repE0EEENS1_30default_config_static_selectorELNS0_4arch9wavefront6targetE0EEEvS12_.kd
    .uniform_work_group_size: 1
    .uses_dynamic_stack: false
    .vgpr_count:     0
    .vgpr_spill_count: 0
    .wavefront_size: 32
    .workgroup_processor_mode: 1
  - .args:
      - .offset:         0
        .size:           176
        .value_kind:     by_value
    .group_segment_fixed_size: 0
    .kernarg_segment_align: 8
    .kernarg_segment_size: 176
    .language:       OpenCL C
    .language_version:
      - 2
      - 0
    .max_flat_workgroup_size: 256
    .name:           _ZN7rocprim17ROCPRIM_400000_NS6detail17trampoline_kernelINS0_13select_configILj256ELj13ELNS0_17block_load_methodE3ELS4_3ELS4_3ELNS0_20block_scan_algorithmE0ELj4294967295EEENS1_25partition_config_selectorILNS1_17partition_subalgoE4EjNS0_10empty_typeEbEEZZNS1_14partition_implILS8_4ELb0ES6_15HIP_vector_typeIjLj2EENS0_17counting_iteratorIjlEEPS9_SG_NS0_5tupleIJPjSI_NS0_16reverse_iteratorISI_EEEEENSH_IJSG_SG_SG_EEES9_SI_JZNS1_25segmented_radix_sort_implINS0_14default_configELb1EPKiPiPKlPlN2at6native12_GLOBAL__N_18offset_tEEE10hipError_tPvRmT1_PNSt15iterator_traitsIS12_E10value_typeET2_T3_PNS13_IS18_E10value_typeET4_jRbjT5_S1E_jjP12ihipStream_tbEUljE_ZNSN_ISO_Lb1ESQ_SR_ST_SU_SY_EESZ_S10_S11_S12_S16_S17_S18_S1B_S1C_jS1D_jS1E_S1E_jjS1G_bEUljE0_EEESZ_S10_S11_S18_S1C_S1E_T6_T7_T9_mT8_S1G_bDpT10_ENKUlT_T0_E_clISt17integral_constantIbLb1EES1T_IbLb0EEEEDaS1P_S1Q_EUlS1P_E_NS1_11comp_targetILNS1_3genE2ELNS1_11target_archE906ELNS1_3gpuE6ELNS1_3repE0EEENS1_30default_config_static_selectorELNS0_4arch9wavefront6targetE0EEEvS12_
    .private_segment_fixed_size: 0
    .sgpr_count:     0
    .sgpr_spill_count: 0
    .symbol:         _ZN7rocprim17ROCPRIM_400000_NS6detail17trampoline_kernelINS0_13select_configILj256ELj13ELNS0_17block_load_methodE3ELS4_3ELS4_3ELNS0_20block_scan_algorithmE0ELj4294967295EEENS1_25partition_config_selectorILNS1_17partition_subalgoE4EjNS0_10empty_typeEbEEZZNS1_14partition_implILS8_4ELb0ES6_15HIP_vector_typeIjLj2EENS0_17counting_iteratorIjlEEPS9_SG_NS0_5tupleIJPjSI_NS0_16reverse_iteratorISI_EEEEENSH_IJSG_SG_SG_EEES9_SI_JZNS1_25segmented_radix_sort_implINS0_14default_configELb1EPKiPiPKlPlN2at6native12_GLOBAL__N_18offset_tEEE10hipError_tPvRmT1_PNSt15iterator_traitsIS12_E10value_typeET2_T3_PNS13_IS18_E10value_typeET4_jRbjT5_S1E_jjP12ihipStream_tbEUljE_ZNSN_ISO_Lb1ESQ_SR_ST_SU_SY_EESZ_S10_S11_S12_S16_S17_S18_S1B_S1C_jS1D_jS1E_S1E_jjS1G_bEUljE0_EEESZ_S10_S11_S18_S1C_S1E_T6_T7_T9_mT8_S1G_bDpT10_ENKUlT_T0_E_clISt17integral_constantIbLb1EES1T_IbLb0EEEEDaS1P_S1Q_EUlS1P_E_NS1_11comp_targetILNS1_3genE2ELNS1_11target_archE906ELNS1_3gpuE6ELNS1_3repE0EEENS1_30default_config_static_selectorELNS0_4arch9wavefront6targetE0EEEvS12_.kd
    .uniform_work_group_size: 1
    .uses_dynamic_stack: false
    .vgpr_count:     0
    .vgpr_spill_count: 0
    .wavefront_size: 32
    .workgroup_processor_mode: 1
  - .args:
      - .offset:         0
        .size:           176
        .value_kind:     by_value
    .group_segment_fixed_size: 0
    .kernarg_segment_align: 8
    .kernarg_segment_size: 176
    .language:       OpenCL C
    .language_version:
      - 2
      - 0
    .max_flat_workgroup_size: 256
    .name:           _ZN7rocprim17ROCPRIM_400000_NS6detail17trampoline_kernelINS0_13select_configILj256ELj13ELNS0_17block_load_methodE3ELS4_3ELS4_3ELNS0_20block_scan_algorithmE0ELj4294967295EEENS1_25partition_config_selectorILNS1_17partition_subalgoE4EjNS0_10empty_typeEbEEZZNS1_14partition_implILS8_4ELb0ES6_15HIP_vector_typeIjLj2EENS0_17counting_iteratorIjlEEPS9_SG_NS0_5tupleIJPjSI_NS0_16reverse_iteratorISI_EEEEENSH_IJSG_SG_SG_EEES9_SI_JZNS1_25segmented_radix_sort_implINS0_14default_configELb1EPKiPiPKlPlN2at6native12_GLOBAL__N_18offset_tEEE10hipError_tPvRmT1_PNSt15iterator_traitsIS12_E10value_typeET2_T3_PNS13_IS18_E10value_typeET4_jRbjT5_S1E_jjP12ihipStream_tbEUljE_ZNSN_ISO_Lb1ESQ_SR_ST_SU_SY_EESZ_S10_S11_S12_S16_S17_S18_S1B_S1C_jS1D_jS1E_S1E_jjS1G_bEUljE0_EEESZ_S10_S11_S18_S1C_S1E_T6_T7_T9_mT8_S1G_bDpT10_ENKUlT_T0_E_clISt17integral_constantIbLb1EES1T_IbLb0EEEEDaS1P_S1Q_EUlS1P_E_NS1_11comp_targetILNS1_3genE10ELNS1_11target_archE1200ELNS1_3gpuE4ELNS1_3repE0EEENS1_30default_config_static_selectorELNS0_4arch9wavefront6targetE0EEEvS12_
    .private_segment_fixed_size: 0
    .sgpr_count:     0
    .sgpr_spill_count: 0
    .symbol:         _ZN7rocprim17ROCPRIM_400000_NS6detail17trampoline_kernelINS0_13select_configILj256ELj13ELNS0_17block_load_methodE3ELS4_3ELS4_3ELNS0_20block_scan_algorithmE0ELj4294967295EEENS1_25partition_config_selectorILNS1_17partition_subalgoE4EjNS0_10empty_typeEbEEZZNS1_14partition_implILS8_4ELb0ES6_15HIP_vector_typeIjLj2EENS0_17counting_iteratorIjlEEPS9_SG_NS0_5tupleIJPjSI_NS0_16reverse_iteratorISI_EEEEENSH_IJSG_SG_SG_EEES9_SI_JZNS1_25segmented_radix_sort_implINS0_14default_configELb1EPKiPiPKlPlN2at6native12_GLOBAL__N_18offset_tEEE10hipError_tPvRmT1_PNSt15iterator_traitsIS12_E10value_typeET2_T3_PNS13_IS18_E10value_typeET4_jRbjT5_S1E_jjP12ihipStream_tbEUljE_ZNSN_ISO_Lb1ESQ_SR_ST_SU_SY_EESZ_S10_S11_S12_S16_S17_S18_S1B_S1C_jS1D_jS1E_S1E_jjS1G_bEUljE0_EEESZ_S10_S11_S18_S1C_S1E_T6_T7_T9_mT8_S1G_bDpT10_ENKUlT_T0_E_clISt17integral_constantIbLb1EES1T_IbLb0EEEEDaS1P_S1Q_EUlS1P_E_NS1_11comp_targetILNS1_3genE10ELNS1_11target_archE1200ELNS1_3gpuE4ELNS1_3repE0EEENS1_30default_config_static_selectorELNS0_4arch9wavefront6targetE0EEEvS12_.kd
    .uniform_work_group_size: 1
    .uses_dynamic_stack: false
    .vgpr_count:     0
    .vgpr_spill_count: 0
    .wavefront_size: 32
    .workgroup_processor_mode: 1
  - .args:
      - .offset:         0
        .size:           176
        .value_kind:     by_value
    .group_segment_fixed_size: 0
    .kernarg_segment_align: 8
    .kernarg_segment_size: 176
    .language:       OpenCL C
    .language_version:
      - 2
      - 0
    .max_flat_workgroup_size: 256
    .name:           _ZN7rocprim17ROCPRIM_400000_NS6detail17trampoline_kernelINS0_13select_configILj256ELj13ELNS0_17block_load_methodE3ELS4_3ELS4_3ELNS0_20block_scan_algorithmE0ELj4294967295EEENS1_25partition_config_selectorILNS1_17partition_subalgoE4EjNS0_10empty_typeEbEEZZNS1_14partition_implILS8_4ELb0ES6_15HIP_vector_typeIjLj2EENS0_17counting_iteratorIjlEEPS9_SG_NS0_5tupleIJPjSI_NS0_16reverse_iteratorISI_EEEEENSH_IJSG_SG_SG_EEES9_SI_JZNS1_25segmented_radix_sort_implINS0_14default_configELb1EPKiPiPKlPlN2at6native12_GLOBAL__N_18offset_tEEE10hipError_tPvRmT1_PNSt15iterator_traitsIS12_E10value_typeET2_T3_PNS13_IS18_E10value_typeET4_jRbjT5_S1E_jjP12ihipStream_tbEUljE_ZNSN_ISO_Lb1ESQ_SR_ST_SU_SY_EESZ_S10_S11_S12_S16_S17_S18_S1B_S1C_jS1D_jS1E_S1E_jjS1G_bEUljE0_EEESZ_S10_S11_S18_S1C_S1E_T6_T7_T9_mT8_S1G_bDpT10_ENKUlT_T0_E_clISt17integral_constantIbLb1EES1T_IbLb0EEEEDaS1P_S1Q_EUlS1P_E_NS1_11comp_targetILNS1_3genE9ELNS1_11target_archE1100ELNS1_3gpuE3ELNS1_3repE0EEENS1_30default_config_static_selectorELNS0_4arch9wavefront6targetE0EEEvS12_
    .private_segment_fixed_size: 0
    .sgpr_count:     0
    .sgpr_spill_count: 0
    .symbol:         _ZN7rocprim17ROCPRIM_400000_NS6detail17trampoline_kernelINS0_13select_configILj256ELj13ELNS0_17block_load_methodE3ELS4_3ELS4_3ELNS0_20block_scan_algorithmE0ELj4294967295EEENS1_25partition_config_selectorILNS1_17partition_subalgoE4EjNS0_10empty_typeEbEEZZNS1_14partition_implILS8_4ELb0ES6_15HIP_vector_typeIjLj2EENS0_17counting_iteratorIjlEEPS9_SG_NS0_5tupleIJPjSI_NS0_16reverse_iteratorISI_EEEEENSH_IJSG_SG_SG_EEES9_SI_JZNS1_25segmented_radix_sort_implINS0_14default_configELb1EPKiPiPKlPlN2at6native12_GLOBAL__N_18offset_tEEE10hipError_tPvRmT1_PNSt15iterator_traitsIS12_E10value_typeET2_T3_PNS13_IS18_E10value_typeET4_jRbjT5_S1E_jjP12ihipStream_tbEUljE_ZNSN_ISO_Lb1ESQ_SR_ST_SU_SY_EESZ_S10_S11_S12_S16_S17_S18_S1B_S1C_jS1D_jS1E_S1E_jjS1G_bEUljE0_EEESZ_S10_S11_S18_S1C_S1E_T6_T7_T9_mT8_S1G_bDpT10_ENKUlT_T0_E_clISt17integral_constantIbLb1EES1T_IbLb0EEEEDaS1P_S1Q_EUlS1P_E_NS1_11comp_targetILNS1_3genE9ELNS1_11target_archE1100ELNS1_3gpuE3ELNS1_3repE0EEENS1_30default_config_static_selectorELNS0_4arch9wavefront6targetE0EEEvS12_.kd
    .uniform_work_group_size: 1
    .uses_dynamic_stack: false
    .vgpr_count:     0
    .vgpr_spill_count: 0
    .wavefront_size: 32
    .workgroup_processor_mode: 1
  - .args:
      - .offset:         0
        .size:           176
        .value_kind:     by_value
    .group_segment_fixed_size: 0
    .kernarg_segment_align: 8
    .kernarg_segment_size: 176
    .language:       OpenCL C
    .language_version:
      - 2
      - 0
    .max_flat_workgroup_size: 256
    .name:           _ZN7rocprim17ROCPRIM_400000_NS6detail17trampoline_kernelINS0_13select_configILj256ELj13ELNS0_17block_load_methodE3ELS4_3ELS4_3ELNS0_20block_scan_algorithmE0ELj4294967295EEENS1_25partition_config_selectorILNS1_17partition_subalgoE4EjNS0_10empty_typeEbEEZZNS1_14partition_implILS8_4ELb0ES6_15HIP_vector_typeIjLj2EENS0_17counting_iteratorIjlEEPS9_SG_NS0_5tupleIJPjSI_NS0_16reverse_iteratorISI_EEEEENSH_IJSG_SG_SG_EEES9_SI_JZNS1_25segmented_radix_sort_implINS0_14default_configELb1EPKiPiPKlPlN2at6native12_GLOBAL__N_18offset_tEEE10hipError_tPvRmT1_PNSt15iterator_traitsIS12_E10value_typeET2_T3_PNS13_IS18_E10value_typeET4_jRbjT5_S1E_jjP12ihipStream_tbEUljE_ZNSN_ISO_Lb1ESQ_SR_ST_SU_SY_EESZ_S10_S11_S12_S16_S17_S18_S1B_S1C_jS1D_jS1E_S1E_jjS1G_bEUljE0_EEESZ_S10_S11_S18_S1C_S1E_T6_T7_T9_mT8_S1G_bDpT10_ENKUlT_T0_E_clISt17integral_constantIbLb1EES1T_IbLb0EEEEDaS1P_S1Q_EUlS1P_E_NS1_11comp_targetILNS1_3genE8ELNS1_11target_archE1030ELNS1_3gpuE2ELNS1_3repE0EEENS1_30default_config_static_selectorELNS0_4arch9wavefront6targetE0EEEvS12_
    .private_segment_fixed_size: 0
    .sgpr_count:     0
    .sgpr_spill_count: 0
    .symbol:         _ZN7rocprim17ROCPRIM_400000_NS6detail17trampoline_kernelINS0_13select_configILj256ELj13ELNS0_17block_load_methodE3ELS4_3ELS4_3ELNS0_20block_scan_algorithmE0ELj4294967295EEENS1_25partition_config_selectorILNS1_17partition_subalgoE4EjNS0_10empty_typeEbEEZZNS1_14partition_implILS8_4ELb0ES6_15HIP_vector_typeIjLj2EENS0_17counting_iteratorIjlEEPS9_SG_NS0_5tupleIJPjSI_NS0_16reverse_iteratorISI_EEEEENSH_IJSG_SG_SG_EEES9_SI_JZNS1_25segmented_radix_sort_implINS0_14default_configELb1EPKiPiPKlPlN2at6native12_GLOBAL__N_18offset_tEEE10hipError_tPvRmT1_PNSt15iterator_traitsIS12_E10value_typeET2_T3_PNS13_IS18_E10value_typeET4_jRbjT5_S1E_jjP12ihipStream_tbEUljE_ZNSN_ISO_Lb1ESQ_SR_ST_SU_SY_EESZ_S10_S11_S12_S16_S17_S18_S1B_S1C_jS1D_jS1E_S1E_jjS1G_bEUljE0_EEESZ_S10_S11_S18_S1C_S1E_T6_T7_T9_mT8_S1G_bDpT10_ENKUlT_T0_E_clISt17integral_constantIbLb1EES1T_IbLb0EEEEDaS1P_S1Q_EUlS1P_E_NS1_11comp_targetILNS1_3genE8ELNS1_11target_archE1030ELNS1_3gpuE2ELNS1_3repE0EEENS1_30default_config_static_selectorELNS0_4arch9wavefront6targetE0EEEvS12_.kd
    .uniform_work_group_size: 1
    .uses_dynamic_stack: false
    .vgpr_count:     0
    .vgpr_spill_count: 0
    .wavefront_size: 32
    .workgroup_processor_mode: 1
  - .args:
      - .offset:         0
        .size:           184
        .value_kind:     by_value
    .group_segment_fixed_size: 0
    .kernarg_segment_align: 8
    .kernarg_segment_size: 184
    .language:       OpenCL C
    .language_version:
      - 2
      - 0
    .max_flat_workgroup_size: 256
    .name:           _ZN7rocprim17ROCPRIM_400000_NS6detail17trampoline_kernelINS0_13select_configILj256ELj13ELNS0_17block_load_methodE3ELS4_3ELS4_3ELNS0_20block_scan_algorithmE0ELj4294967295EEENS1_25partition_config_selectorILNS1_17partition_subalgoE4EjNS0_10empty_typeEbEEZZNS1_14partition_implILS8_4ELb0ES6_15HIP_vector_typeIjLj2EENS0_17counting_iteratorIjlEEPS9_SG_NS0_5tupleIJPjSI_NS0_16reverse_iteratorISI_EEEEENSH_IJSG_SG_SG_EEES9_SI_JZNS1_25segmented_radix_sort_implINS0_14default_configELb1EPKiPiPKlPlN2at6native12_GLOBAL__N_18offset_tEEE10hipError_tPvRmT1_PNSt15iterator_traitsIS12_E10value_typeET2_T3_PNS13_IS18_E10value_typeET4_jRbjT5_S1E_jjP12ihipStream_tbEUljE_ZNSN_ISO_Lb1ESQ_SR_ST_SU_SY_EESZ_S10_S11_S12_S16_S17_S18_S1B_S1C_jS1D_jS1E_S1E_jjS1G_bEUljE0_EEESZ_S10_S11_S18_S1C_S1E_T6_T7_T9_mT8_S1G_bDpT10_ENKUlT_T0_E_clISt17integral_constantIbLb0EES1T_IbLb1EEEEDaS1P_S1Q_EUlS1P_E_NS1_11comp_targetILNS1_3genE0ELNS1_11target_archE4294967295ELNS1_3gpuE0ELNS1_3repE0EEENS1_30default_config_static_selectorELNS0_4arch9wavefront6targetE0EEEvS12_
    .private_segment_fixed_size: 0
    .sgpr_count:     0
    .sgpr_spill_count: 0
    .symbol:         _ZN7rocprim17ROCPRIM_400000_NS6detail17trampoline_kernelINS0_13select_configILj256ELj13ELNS0_17block_load_methodE3ELS4_3ELS4_3ELNS0_20block_scan_algorithmE0ELj4294967295EEENS1_25partition_config_selectorILNS1_17partition_subalgoE4EjNS0_10empty_typeEbEEZZNS1_14partition_implILS8_4ELb0ES6_15HIP_vector_typeIjLj2EENS0_17counting_iteratorIjlEEPS9_SG_NS0_5tupleIJPjSI_NS0_16reverse_iteratorISI_EEEEENSH_IJSG_SG_SG_EEES9_SI_JZNS1_25segmented_radix_sort_implINS0_14default_configELb1EPKiPiPKlPlN2at6native12_GLOBAL__N_18offset_tEEE10hipError_tPvRmT1_PNSt15iterator_traitsIS12_E10value_typeET2_T3_PNS13_IS18_E10value_typeET4_jRbjT5_S1E_jjP12ihipStream_tbEUljE_ZNSN_ISO_Lb1ESQ_SR_ST_SU_SY_EESZ_S10_S11_S12_S16_S17_S18_S1B_S1C_jS1D_jS1E_S1E_jjS1G_bEUljE0_EEESZ_S10_S11_S18_S1C_S1E_T6_T7_T9_mT8_S1G_bDpT10_ENKUlT_T0_E_clISt17integral_constantIbLb0EES1T_IbLb1EEEEDaS1P_S1Q_EUlS1P_E_NS1_11comp_targetILNS1_3genE0ELNS1_11target_archE4294967295ELNS1_3gpuE0ELNS1_3repE0EEENS1_30default_config_static_selectorELNS0_4arch9wavefront6targetE0EEEvS12_.kd
    .uniform_work_group_size: 1
    .uses_dynamic_stack: false
    .vgpr_count:     0
    .vgpr_spill_count: 0
    .wavefront_size: 32
    .workgroup_processor_mode: 1
  - .args:
      - .offset:         0
        .size:           184
        .value_kind:     by_value
    .group_segment_fixed_size: 0
    .kernarg_segment_align: 8
    .kernarg_segment_size: 184
    .language:       OpenCL C
    .language_version:
      - 2
      - 0
    .max_flat_workgroup_size: 256
    .name:           _ZN7rocprim17ROCPRIM_400000_NS6detail17trampoline_kernelINS0_13select_configILj256ELj13ELNS0_17block_load_methodE3ELS4_3ELS4_3ELNS0_20block_scan_algorithmE0ELj4294967295EEENS1_25partition_config_selectorILNS1_17partition_subalgoE4EjNS0_10empty_typeEbEEZZNS1_14partition_implILS8_4ELb0ES6_15HIP_vector_typeIjLj2EENS0_17counting_iteratorIjlEEPS9_SG_NS0_5tupleIJPjSI_NS0_16reverse_iteratorISI_EEEEENSH_IJSG_SG_SG_EEES9_SI_JZNS1_25segmented_radix_sort_implINS0_14default_configELb1EPKiPiPKlPlN2at6native12_GLOBAL__N_18offset_tEEE10hipError_tPvRmT1_PNSt15iterator_traitsIS12_E10value_typeET2_T3_PNS13_IS18_E10value_typeET4_jRbjT5_S1E_jjP12ihipStream_tbEUljE_ZNSN_ISO_Lb1ESQ_SR_ST_SU_SY_EESZ_S10_S11_S12_S16_S17_S18_S1B_S1C_jS1D_jS1E_S1E_jjS1G_bEUljE0_EEESZ_S10_S11_S18_S1C_S1E_T6_T7_T9_mT8_S1G_bDpT10_ENKUlT_T0_E_clISt17integral_constantIbLb0EES1T_IbLb1EEEEDaS1P_S1Q_EUlS1P_E_NS1_11comp_targetILNS1_3genE5ELNS1_11target_archE942ELNS1_3gpuE9ELNS1_3repE0EEENS1_30default_config_static_selectorELNS0_4arch9wavefront6targetE0EEEvS12_
    .private_segment_fixed_size: 0
    .sgpr_count:     0
    .sgpr_spill_count: 0
    .symbol:         _ZN7rocprim17ROCPRIM_400000_NS6detail17trampoline_kernelINS0_13select_configILj256ELj13ELNS0_17block_load_methodE3ELS4_3ELS4_3ELNS0_20block_scan_algorithmE0ELj4294967295EEENS1_25partition_config_selectorILNS1_17partition_subalgoE4EjNS0_10empty_typeEbEEZZNS1_14partition_implILS8_4ELb0ES6_15HIP_vector_typeIjLj2EENS0_17counting_iteratorIjlEEPS9_SG_NS0_5tupleIJPjSI_NS0_16reverse_iteratorISI_EEEEENSH_IJSG_SG_SG_EEES9_SI_JZNS1_25segmented_radix_sort_implINS0_14default_configELb1EPKiPiPKlPlN2at6native12_GLOBAL__N_18offset_tEEE10hipError_tPvRmT1_PNSt15iterator_traitsIS12_E10value_typeET2_T3_PNS13_IS18_E10value_typeET4_jRbjT5_S1E_jjP12ihipStream_tbEUljE_ZNSN_ISO_Lb1ESQ_SR_ST_SU_SY_EESZ_S10_S11_S12_S16_S17_S18_S1B_S1C_jS1D_jS1E_S1E_jjS1G_bEUljE0_EEESZ_S10_S11_S18_S1C_S1E_T6_T7_T9_mT8_S1G_bDpT10_ENKUlT_T0_E_clISt17integral_constantIbLb0EES1T_IbLb1EEEEDaS1P_S1Q_EUlS1P_E_NS1_11comp_targetILNS1_3genE5ELNS1_11target_archE942ELNS1_3gpuE9ELNS1_3repE0EEENS1_30default_config_static_selectorELNS0_4arch9wavefront6targetE0EEEvS12_.kd
    .uniform_work_group_size: 1
    .uses_dynamic_stack: false
    .vgpr_count:     0
    .vgpr_spill_count: 0
    .wavefront_size: 32
    .workgroup_processor_mode: 1
  - .args:
      - .offset:         0
        .size:           184
        .value_kind:     by_value
    .group_segment_fixed_size: 0
    .kernarg_segment_align: 8
    .kernarg_segment_size: 184
    .language:       OpenCL C
    .language_version:
      - 2
      - 0
    .max_flat_workgroup_size: 256
    .name:           _ZN7rocprim17ROCPRIM_400000_NS6detail17trampoline_kernelINS0_13select_configILj256ELj13ELNS0_17block_load_methodE3ELS4_3ELS4_3ELNS0_20block_scan_algorithmE0ELj4294967295EEENS1_25partition_config_selectorILNS1_17partition_subalgoE4EjNS0_10empty_typeEbEEZZNS1_14partition_implILS8_4ELb0ES6_15HIP_vector_typeIjLj2EENS0_17counting_iteratorIjlEEPS9_SG_NS0_5tupleIJPjSI_NS0_16reverse_iteratorISI_EEEEENSH_IJSG_SG_SG_EEES9_SI_JZNS1_25segmented_radix_sort_implINS0_14default_configELb1EPKiPiPKlPlN2at6native12_GLOBAL__N_18offset_tEEE10hipError_tPvRmT1_PNSt15iterator_traitsIS12_E10value_typeET2_T3_PNS13_IS18_E10value_typeET4_jRbjT5_S1E_jjP12ihipStream_tbEUljE_ZNSN_ISO_Lb1ESQ_SR_ST_SU_SY_EESZ_S10_S11_S12_S16_S17_S18_S1B_S1C_jS1D_jS1E_S1E_jjS1G_bEUljE0_EEESZ_S10_S11_S18_S1C_S1E_T6_T7_T9_mT8_S1G_bDpT10_ENKUlT_T0_E_clISt17integral_constantIbLb0EES1T_IbLb1EEEEDaS1P_S1Q_EUlS1P_E_NS1_11comp_targetILNS1_3genE4ELNS1_11target_archE910ELNS1_3gpuE8ELNS1_3repE0EEENS1_30default_config_static_selectorELNS0_4arch9wavefront6targetE0EEEvS12_
    .private_segment_fixed_size: 0
    .sgpr_count:     0
    .sgpr_spill_count: 0
    .symbol:         _ZN7rocprim17ROCPRIM_400000_NS6detail17trampoline_kernelINS0_13select_configILj256ELj13ELNS0_17block_load_methodE3ELS4_3ELS4_3ELNS0_20block_scan_algorithmE0ELj4294967295EEENS1_25partition_config_selectorILNS1_17partition_subalgoE4EjNS0_10empty_typeEbEEZZNS1_14partition_implILS8_4ELb0ES6_15HIP_vector_typeIjLj2EENS0_17counting_iteratorIjlEEPS9_SG_NS0_5tupleIJPjSI_NS0_16reverse_iteratorISI_EEEEENSH_IJSG_SG_SG_EEES9_SI_JZNS1_25segmented_radix_sort_implINS0_14default_configELb1EPKiPiPKlPlN2at6native12_GLOBAL__N_18offset_tEEE10hipError_tPvRmT1_PNSt15iterator_traitsIS12_E10value_typeET2_T3_PNS13_IS18_E10value_typeET4_jRbjT5_S1E_jjP12ihipStream_tbEUljE_ZNSN_ISO_Lb1ESQ_SR_ST_SU_SY_EESZ_S10_S11_S12_S16_S17_S18_S1B_S1C_jS1D_jS1E_S1E_jjS1G_bEUljE0_EEESZ_S10_S11_S18_S1C_S1E_T6_T7_T9_mT8_S1G_bDpT10_ENKUlT_T0_E_clISt17integral_constantIbLb0EES1T_IbLb1EEEEDaS1P_S1Q_EUlS1P_E_NS1_11comp_targetILNS1_3genE4ELNS1_11target_archE910ELNS1_3gpuE8ELNS1_3repE0EEENS1_30default_config_static_selectorELNS0_4arch9wavefront6targetE0EEEvS12_.kd
    .uniform_work_group_size: 1
    .uses_dynamic_stack: false
    .vgpr_count:     0
    .vgpr_spill_count: 0
    .wavefront_size: 32
    .workgroup_processor_mode: 1
  - .args:
      - .offset:         0
        .size:           184
        .value_kind:     by_value
    .group_segment_fixed_size: 0
    .kernarg_segment_align: 8
    .kernarg_segment_size: 184
    .language:       OpenCL C
    .language_version:
      - 2
      - 0
    .max_flat_workgroup_size: 256
    .name:           _ZN7rocprim17ROCPRIM_400000_NS6detail17trampoline_kernelINS0_13select_configILj256ELj13ELNS0_17block_load_methodE3ELS4_3ELS4_3ELNS0_20block_scan_algorithmE0ELj4294967295EEENS1_25partition_config_selectorILNS1_17partition_subalgoE4EjNS0_10empty_typeEbEEZZNS1_14partition_implILS8_4ELb0ES6_15HIP_vector_typeIjLj2EENS0_17counting_iteratorIjlEEPS9_SG_NS0_5tupleIJPjSI_NS0_16reverse_iteratorISI_EEEEENSH_IJSG_SG_SG_EEES9_SI_JZNS1_25segmented_radix_sort_implINS0_14default_configELb1EPKiPiPKlPlN2at6native12_GLOBAL__N_18offset_tEEE10hipError_tPvRmT1_PNSt15iterator_traitsIS12_E10value_typeET2_T3_PNS13_IS18_E10value_typeET4_jRbjT5_S1E_jjP12ihipStream_tbEUljE_ZNSN_ISO_Lb1ESQ_SR_ST_SU_SY_EESZ_S10_S11_S12_S16_S17_S18_S1B_S1C_jS1D_jS1E_S1E_jjS1G_bEUljE0_EEESZ_S10_S11_S18_S1C_S1E_T6_T7_T9_mT8_S1G_bDpT10_ENKUlT_T0_E_clISt17integral_constantIbLb0EES1T_IbLb1EEEEDaS1P_S1Q_EUlS1P_E_NS1_11comp_targetILNS1_3genE3ELNS1_11target_archE908ELNS1_3gpuE7ELNS1_3repE0EEENS1_30default_config_static_selectorELNS0_4arch9wavefront6targetE0EEEvS12_
    .private_segment_fixed_size: 0
    .sgpr_count:     0
    .sgpr_spill_count: 0
    .symbol:         _ZN7rocprim17ROCPRIM_400000_NS6detail17trampoline_kernelINS0_13select_configILj256ELj13ELNS0_17block_load_methodE3ELS4_3ELS4_3ELNS0_20block_scan_algorithmE0ELj4294967295EEENS1_25partition_config_selectorILNS1_17partition_subalgoE4EjNS0_10empty_typeEbEEZZNS1_14partition_implILS8_4ELb0ES6_15HIP_vector_typeIjLj2EENS0_17counting_iteratorIjlEEPS9_SG_NS0_5tupleIJPjSI_NS0_16reverse_iteratorISI_EEEEENSH_IJSG_SG_SG_EEES9_SI_JZNS1_25segmented_radix_sort_implINS0_14default_configELb1EPKiPiPKlPlN2at6native12_GLOBAL__N_18offset_tEEE10hipError_tPvRmT1_PNSt15iterator_traitsIS12_E10value_typeET2_T3_PNS13_IS18_E10value_typeET4_jRbjT5_S1E_jjP12ihipStream_tbEUljE_ZNSN_ISO_Lb1ESQ_SR_ST_SU_SY_EESZ_S10_S11_S12_S16_S17_S18_S1B_S1C_jS1D_jS1E_S1E_jjS1G_bEUljE0_EEESZ_S10_S11_S18_S1C_S1E_T6_T7_T9_mT8_S1G_bDpT10_ENKUlT_T0_E_clISt17integral_constantIbLb0EES1T_IbLb1EEEEDaS1P_S1Q_EUlS1P_E_NS1_11comp_targetILNS1_3genE3ELNS1_11target_archE908ELNS1_3gpuE7ELNS1_3repE0EEENS1_30default_config_static_selectorELNS0_4arch9wavefront6targetE0EEEvS12_.kd
    .uniform_work_group_size: 1
    .uses_dynamic_stack: false
    .vgpr_count:     0
    .vgpr_spill_count: 0
    .wavefront_size: 32
    .workgroup_processor_mode: 1
  - .args:
      - .offset:         0
        .size:           184
        .value_kind:     by_value
    .group_segment_fixed_size: 0
    .kernarg_segment_align: 8
    .kernarg_segment_size: 184
    .language:       OpenCL C
    .language_version:
      - 2
      - 0
    .max_flat_workgroup_size: 256
    .name:           _ZN7rocprim17ROCPRIM_400000_NS6detail17trampoline_kernelINS0_13select_configILj256ELj13ELNS0_17block_load_methodE3ELS4_3ELS4_3ELNS0_20block_scan_algorithmE0ELj4294967295EEENS1_25partition_config_selectorILNS1_17partition_subalgoE4EjNS0_10empty_typeEbEEZZNS1_14partition_implILS8_4ELb0ES6_15HIP_vector_typeIjLj2EENS0_17counting_iteratorIjlEEPS9_SG_NS0_5tupleIJPjSI_NS0_16reverse_iteratorISI_EEEEENSH_IJSG_SG_SG_EEES9_SI_JZNS1_25segmented_radix_sort_implINS0_14default_configELb1EPKiPiPKlPlN2at6native12_GLOBAL__N_18offset_tEEE10hipError_tPvRmT1_PNSt15iterator_traitsIS12_E10value_typeET2_T3_PNS13_IS18_E10value_typeET4_jRbjT5_S1E_jjP12ihipStream_tbEUljE_ZNSN_ISO_Lb1ESQ_SR_ST_SU_SY_EESZ_S10_S11_S12_S16_S17_S18_S1B_S1C_jS1D_jS1E_S1E_jjS1G_bEUljE0_EEESZ_S10_S11_S18_S1C_S1E_T6_T7_T9_mT8_S1G_bDpT10_ENKUlT_T0_E_clISt17integral_constantIbLb0EES1T_IbLb1EEEEDaS1P_S1Q_EUlS1P_E_NS1_11comp_targetILNS1_3genE2ELNS1_11target_archE906ELNS1_3gpuE6ELNS1_3repE0EEENS1_30default_config_static_selectorELNS0_4arch9wavefront6targetE0EEEvS12_
    .private_segment_fixed_size: 0
    .sgpr_count:     0
    .sgpr_spill_count: 0
    .symbol:         _ZN7rocprim17ROCPRIM_400000_NS6detail17trampoline_kernelINS0_13select_configILj256ELj13ELNS0_17block_load_methodE3ELS4_3ELS4_3ELNS0_20block_scan_algorithmE0ELj4294967295EEENS1_25partition_config_selectorILNS1_17partition_subalgoE4EjNS0_10empty_typeEbEEZZNS1_14partition_implILS8_4ELb0ES6_15HIP_vector_typeIjLj2EENS0_17counting_iteratorIjlEEPS9_SG_NS0_5tupleIJPjSI_NS0_16reverse_iteratorISI_EEEEENSH_IJSG_SG_SG_EEES9_SI_JZNS1_25segmented_radix_sort_implINS0_14default_configELb1EPKiPiPKlPlN2at6native12_GLOBAL__N_18offset_tEEE10hipError_tPvRmT1_PNSt15iterator_traitsIS12_E10value_typeET2_T3_PNS13_IS18_E10value_typeET4_jRbjT5_S1E_jjP12ihipStream_tbEUljE_ZNSN_ISO_Lb1ESQ_SR_ST_SU_SY_EESZ_S10_S11_S12_S16_S17_S18_S1B_S1C_jS1D_jS1E_S1E_jjS1G_bEUljE0_EEESZ_S10_S11_S18_S1C_S1E_T6_T7_T9_mT8_S1G_bDpT10_ENKUlT_T0_E_clISt17integral_constantIbLb0EES1T_IbLb1EEEEDaS1P_S1Q_EUlS1P_E_NS1_11comp_targetILNS1_3genE2ELNS1_11target_archE906ELNS1_3gpuE6ELNS1_3repE0EEENS1_30default_config_static_selectorELNS0_4arch9wavefront6targetE0EEEvS12_.kd
    .uniform_work_group_size: 1
    .uses_dynamic_stack: false
    .vgpr_count:     0
    .vgpr_spill_count: 0
    .wavefront_size: 32
    .workgroup_processor_mode: 1
  - .args:
      - .offset:         0
        .size:           184
        .value_kind:     by_value
    .group_segment_fixed_size: 13328
    .kernarg_segment_align: 8
    .kernarg_segment_size: 184
    .language:       OpenCL C
    .language_version:
      - 2
      - 0
    .max_flat_workgroup_size: 256
    .name:           _ZN7rocprim17ROCPRIM_400000_NS6detail17trampoline_kernelINS0_13select_configILj256ELj13ELNS0_17block_load_methodE3ELS4_3ELS4_3ELNS0_20block_scan_algorithmE0ELj4294967295EEENS1_25partition_config_selectorILNS1_17partition_subalgoE4EjNS0_10empty_typeEbEEZZNS1_14partition_implILS8_4ELb0ES6_15HIP_vector_typeIjLj2EENS0_17counting_iteratorIjlEEPS9_SG_NS0_5tupleIJPjSI_NS0_16reverse_iteratorISI_EEEEENSH_IJSG_SG_SG_EEES9_SI_JZNS1_25segmented_radix_sort_implINS0_14default_configELb1EPKiPiPKlPlN2at6native12_GLOBAL__N_18offset_tEEE10hipError_tPvRmT1_PNSt15iterator_traitsIS12_E10value_typeET2_T3_PNS13_IS18_E10value_typeET4_jRbjT5_S1E_jjP12ihipStream_tbEUljE_ZNSN_ISO_Lb1ESQ_SR_ST_SU_SY_EESZ_S10_S11_S12_S16_S17_S18_S1B_S1C_jS1D_jS1E_S1E_jjS1G_bEUljE0_EEESZ_S10_S11_S18_S1C_S1E_T6_T7_T9_mT8_S1G_bDpT10_ENKUlT_T0_E_clISt17integral_constantIbLb0EES1T_IbLb1EEEEDaS1P_S1Q_EUlS1P_E_NS1_11comp_targetILNS1_3genE10ELNS1_11target_archE1200ELNS1_3gpuE4ELNS1_3repE0EEENS1_30default_config_static_selectorELNS0_4arch9wavefront6targetE0EEEvS12_
    .private_segment_fixed_size: 0
    .sgpr_count:     57
    .sgpr_spill_count: 0
    .symbol:         _ZN7rocprim17ROCPRIM_400000_NS6detail17trampoline_kernelINS0_13select_configILj256ELj13ELNS0_17block_load_methodE3ELS4_3ELS4_3ELNS0_20block_scan_algorithmE0ELj4294967295EEENS1_25partition_config_selectorILNS1_17partition_subalgoE4EjNS0_10empty_typeEbEEZZNS1_14partition_implILS8_4ELb0ES6_15HIP_vector_typeIjLj2EENS0_17counting_iteratorIjlEEPS9_SG_NS0_5tupleIJPjSI_NS0_16reverse_iteratorISI_EEEEENSH_IJSG_SG_SG_EEES9_SI_JZNS1_25segmented_radix_sort_implINS0_14default_configELb1EPKiPiPKlPlN2at6native12_GLOBAL__N_18offset_tEEE10hipError_tPvRmT1_PNSt15iterator_traitsIS12_E10value_typeET2_T3_PNS13_IS18_E10value_typeET4_jRbjT5_S1E_jjP12ihipStream_tbEUljE_ZNSN_ISO_Lb1ESQ_SR_ST_SU_SY_EESZ_S10_S11_S12_S16_S17_S18_S1B_S1C_jS1D_jS1E_S1E_jjS1G_bEUljE0_EEESZ_S10_S11_S18_S1C_S1E_T6_T7_T9_mT8_S1G_bDpT10_ENKUlT_T0_E_clISt17integral_constantIbLb0EES1T_IbLb1EEEEDaS1P_S1Q_EUlS1P_E_NS1_11comp_targetILNS1_3genE10ELNS1_11target_archE1200ELNS1_3gpuE4ELNS1_3repE0EEENS1_30default_config_static_selectorELNS0_4arch9wavefront6targetE0EEEvS12_.kd
    .uniform_work_group_size: 1
    .uses_dynamic_stack: false
    .vgpr_count:     98
    .vgpr_spill_count: 0
    .wavefront_size: 32
    .workgroup_processor_mode: 1
  - .args:
      - .offset:         0
        .size:           184
        .value_kind:     by_value
    .group_segment_fixed_size: 0
    .kernarg_segment_align: 8
    .kernarg_segment_size: 184
    .language:       OpenCL C
    .language_version:
      - 2
      - 0
    .max_flat_workgroup_size: 256
    .name:           _ZN7rocprim17ROCPRIM_400000_NS6detail17trampoline_kernelINS0_13select_configILj256ELj13ELNS0_17block_load_methodE3ELS4_3ELS4_3ELNS0_20block_scan_algorithmE0ELj4294967295EEENS1_25partition_config_selectorILNS1_17partition_subalgoE4EjNS0_10empty_typeEbEEZZNS1_14partition_implILS8_4ELb0ES6_15HIP_vector_typeIjLj2EENS0_17counting_iteratorIjlEEPS9_SG_NS0_5tupleIJPjSI_NS0_16reverse_iteratorISI_EEEEENSH_IJSG_SG_SG_EEES9_SI_JZNS1_25segmented_radix_sort_implINS0_14default_configELb1EPKiPiPKlPlN2at6native12_GLOBAL__N_18offset_tEEE10hipError_tPvRmT1_PNSt15iterator_traitsIS12_E10value_typeET2_T3_PNS13_IS18_E10value_typeET4_jRbjT5_S1E_jjP12ihipStream_tbEUljE_ZNSN_ISO_Lb1ESQ_SR_ST_SU_SY_EESZ_S10_S11_S12_S16_S17_S18_S1B_S1C_jS1D_jS1E_S1E_jjS1G_bEUljE0_EEESZ_S10_S11_S18_S1C_S1E_T6_T7_T9_mT8_S1G_bDpT10_ENKUlT_T0_E_clISt17integral_constantIbLb0EES1T_IbLb1EEEEDaS1P_S1Q_EUlS1P_E_NS1_11comp_targetILNS1_3genE9ELNS1_11target_archE1100ELNS1_3gpuE3ELNS1_3repE0EEENS1_30default_config_static_selectorELNS0_4arch9wavefront6targetE0EEEvS12_
    .private_segment_fixed_size: 0
    .sgpr_count:     0
    .sgpr_spill_count: 0
    .symbol:         _ZN7rocprim17ROCPRIM_400000_NS6detail17trampoline_kernelINS0_13select_configILj256ELj13ELNS0_17block_load_methodE3ELS4_3ELS4_3ELNS0_20block_scan_algorithmE0ELj4294967295EEENS1_25partition_config_selectorILNS1_17partition_subalgoE4EjNS0_10empty_typeEbEEZZNS1_14partition_implILS8_4ELb0ES6_15HIP_vector_typeIjLj2EENS0_17counting_iteratorIjlEEPS9_SG_NS0_5tupleIJPjSI_NS0_16reverse_iteratorISI_EEEEENSH_IJSG_SG_SG_EEES9_SI_JZNS1_25segmented_radix_sort_implINS0_14default_configELb1EPKiPiPKlPlN2at6native12_GLOBAL__N_18offset_tEEE10hipError_tPvRmT1_PNSt15iterator_traitsIS12_E10value_typeET2_T3_PNS13_IS18_E10value_typeET4_jRbjT5_S1E_jjP12ihipStream_tbEUljE_ZNSN_ISO_Lb1ESQ_SR_ST_SU_SY_EESZ_S10_S11_S12_S16_S17_S18_S1B_S1C_jS1D_jS1E_S1E_jjS1G_bEUljE0_EEESZ_S10_S11_S18_S1C_S1E_T6_T7_T9_mT8_S1G_bDpT10_ENKUlT_T0_E_clISt17integral_constantIbLb0EES1T_IbLb1EEEEDaS1P_S1Q_EUlS1P_E_NS1_11comp_targetILNS1_3genE9ELNS1_11target_archE1100ELNS1_3gpuE3ELNS1_3repE0EEENS1_30default_config_static_selectorELNS0_4arch9wavefront6targetE0EEEvS12_.kd
    .uniform_work_group_size: 1
    .uses_dynamic_stack: false
    .vgpr_count:     0
    .vgpr_spill_count: 0
    .wavefront_size: 32
    .workgroup_processor_mode: 1
  - .args:
      - .offset:         0
        .size:           184
        .value_kind:     by_value
    .group_segment_fixed_size: 0
    .kernarg_segment_align: 8
    .kernarg_segment_size: 184
    .language:       OpenCL C
    .language_version:
      - 2
      - 0
    .max_flat_workgroup_size: 256
    .name:           _ZN7rocprim17ROCPRIM_400000_NS6detail17trampoline_kernelINS0_13select_configILj256ELj13ELNS0_17block_load_methodE3ELS4_3ELS4_3ELNS0_20block_scan_algorithmE0ELj4294967295EEENS1_25partition_config_selectorILNS1_17partition_subalgoE4EjNS0_10empty_typeEbEEZZNS1_14partition_implILS8_4ELb0ES6_15HIP_vector_typeIjLj2EENS0_17counting_iteratorIjlEEPS9_SG_NS0_5tupleIJPjSI_NS0_16reverse_iteratorISI_EEEEENSH_IJSG_SG_SG_EEES9_SI_JZNS1_25segmented_radix_sort_implINS0_14default_configELb1EPKiPiPKlPlN2at6native12_GLOBAL__N_18offset_tEEE10hipError_tPvRmT1_PNSt15iterator_traitsIS12_E10value_typeET2_T3_PNS13_IS18_E10value_typeET4_jRbjT5_S1E_jjP12ihipStream_tbEUljE_ZNSN_ISO_Lb1ESQ_SR_ST_SU_SY_EESZ_S10_S11_S12_S16_S17_S18_S1B_S1C_jS1D_jS1E_S1E_jjS1G_bEUljE0_EEESZ_S10_S11_S18_S1C_S1E_T6_T7_T9_mT8_S1G_bDpT10_ENKUlT_T0_E_clISt17integral_constantIbLb0EES1T_IbLb1EEEEDaS1P_S1Q_EUlS1P_E_NS1_11comp_targetILNS1_3genE8ELNS1_11target_archE1030ELNS1_3gpuE2ELNS1_3repE0EEENS1_30default_config_static_selectorELNS0_4arch9wavefront6targetE0EEEvS12_
    .private_segment_fixed_size: 0
    .sgpr_count:     0
    .sgpr_spill_count: 0
    .symbol:         _ZN7rocprim17ROCPRIM_400000_NS6detail17trampoline_kernelINS0_13select_configILj256ELj13ELNS0_17block_load_methodE3ELS4_3ELS4_3ELNS0_20block_scan_algorithmE0ELj4294967295EEENS1_25partition_config_selectorILNS1_17partition_subalgoE4EjNS0_10empty_typeEbEEZZNS1_14partition_implILS8_4ELb0ES6_15HIP_vector_typeIjLj2EENS0_17counting_iteratorIjlEEPS9_SG_NS0_5tupleIJPjSI_NS0_16reverse_iteratorISI_EEEEENSH_IJSG_SG_SG_EEES9_SI_JZNS1_25segmented_radix_sort_implINS0_14default_configELb1EPKiPiPKlPlN2at6native12_GLOBAL__N_18offset_tEEE10hipError_tPvRmT1_PNSt15iterator_traitsIS12_E10value_typeET2_T3_PNS13_IS18_E10value_typeET4_jRbjT5_S1E_jjP12ihipStream_tbEUljE_ZNSN_ISO_Lb1ESQ_SR_ST_SU_SY_EESZ_S10_S11_S12_S16_S17_S18_S1B_S1C_jS1D_jS1E_S1E_jjS1G_bEUljE0_EEESZ_S10_S11_S18_S1C_S1E_T6_T7_T9_mT8_S1G_bDpT10_ENKUlT_T0_E_clISt17integral_constantIbLb0EES1T_IbLb1EEEEDaS1P_S1Q_EUlS1P_E_NS1_11comp_targetILNS1_3genE8ELNS1_11target_archE1030ELNS1_3gpuE2ELNS1_3repE0EEENS1_30default_config_static_selectorELNS0_4arch9wavefront6targetE0EEEvS12_.kd
    .uniform_work_group_size: 1
    .uses_dynamic_stack: false
    .vgpr_count:     0
    .vgpr_spill_count: 0
    .wavefront_size: 32
    .workgroup_processor_mode: 1
  - .args:
      - .offset:         0
        .size:           144
        .value_kind:     by_value
    .group_segment_fixed_size: 0
    .kernarg_segment_align: 8
    .kernarg_segment_size: 144
    .language:       OpenCL C
    .language_version:
      - 2
      - 0
    .max_flat_workgroup_size: 256
    .name:           _ZN7rocprim17ROCPRIM_400000_NS6detail17trampoline_kernelINS0_13select_configILj256ELj13ELNS0_17block_load_methodE3ELS4_3ELS4_3ELNS0_20block_scan_algorithmE0ELj4294967295EEENS1_25partition_config_selectorILNS1_17partition_subalgoE3EjNS0_10empty_typeEbEEZZNS1_14partition_implILS8_3ELb0ES6_jNS0_17counting_iteratorIjlEEPS9_SE_NS0_5tupleIJPjSE_EEENSF_IJSE_SE_EEES9_SG_JZNS1_25segmented_radix_sort_implINS0_14default_configELb1EPKiPiPKlPlN2at6native12_GLOBAL__N_18offset_tEEE10hipError_tPvRmT1_PNSt15iterator_traitsISY_E10value_typeET2_T3_PNSZ_IS14_E10value_typeET4_jRbjT5_S1A_jjP12ihipStream_tbEUljE_EEESV_SW_SX_S14_S18_S1A_T6_T7_T9_mT8_S1C_bDpT10_ENKUlT_T0_E_clISt17integral_constantIbLb0EES1P_EEDaS1K_S1L_EUlS1K_E_NS1_11comp_targetILNS1_3genE0ELNS1_11target_archE4294967295ELNS1_3gpuE0ELNS1_3repE0EEENS1_30default_config_static_selectorELNS0_4arch9wavefront6targetE0EEEvSY_
    .private_segment_fixed_size: 0
    .sgpr_count:     0
    .sgpr_spill_count: 0
    .symbol:         _ZN7rocprim17ROCPRIM_400000_NS6detail17trampoline_kernelINS0_13select_configILj256ELj13ELNS0_17block_load_methodE3ELS4_3ELS4_3ELNS0_20block_scan_algorithmE0ELj4294967295EEENS1_25partition_config_selectorILNS1_17partition_subalgoE3EjNS0_10empty_typeEbEEZZNS1_14partition_implILS8_3ELb0ES6_jNS0_17counting_iteratorIjlEEPS9_SE_NS0_5tupleIJPjSE_EEENSF_IJSE_SE_EEES9_SG_JZNS1_25segmented_radix_sort_implINS0_14default_configELb1EPKiPiPKlPlN2at6native12_GLOBAL__N_18offset_tEEE10hipError_tPvRmT1_PNSt15iterator_traitsISY_E10value_typeET2_T3_PNSZ_IS14_E10value_typeET4_jRbjT5_S1A_jjP12ihipStream_tbEUljE_EEESV_SW_SX_S14_S18_S1A_T6_T7_T9_mT8_S1C_bDpT10_ENKUlT_T0_E_clISt17integral_constantIbLb0EES1P_EEDaS1K_S1L_EUlS1K_E_NS1_11comp_targetILNS1_3genE0ELNS1_11target_archE4294967295ELNS1_3gpuE0ELNS1_3repE0EEENS1_30default_config_static_selectorELNS0_4arch9wavefront6targetE0EEEvSY_.kd
    .uniform_work_group_size: 1
    .uses_dynamic_stack: false
    .vgpr_count:     0
    .vgpr_spill_count: 0
    .wavefront_size: 32
    .workgroup_processor_mode: 1
  - .args:
      - .offset:         0
        .size:           144
        .value_kind:     by_value
    .group_segment_fixed_size: 0
    .kernarg_segment_align: 8
    .kernarg_segment_size: 144
    .language:       OpenCL C
    .language_version:
      - 2
      - 0
    .max_flat_workgroup_size: 256
    .name:           _ZN7rocprim17ROCPRIM_400000_NS6detail17trampoline_kernelINS0_13select_configILj256ELj13ELNS0_17block_load_methodE3ELS4_3ELS4_3ELNS0_20block_scan_algorithmE0ELj4294967295EEENS1_25partition_config_selectorILNS1_17partition_subalgoE3EjNS0_10empty_typeEbEEZZNS1_14partition_implILS8_3ELb0ES6_jNS0_17counting_iteratorIjlEEPS9_SE_NS0_5tupleIJPjSE_EEENSF_IJSE_SE_EEES9_SG_JZNS1_25segmented_radix_sort_implINS0_14default_configELb1EPKiPiPKlPlN2at6native12_GLOBAL__N_18offset_tEEE10hipError_tPvRmT1_PNSt15iterator_traitsISY_E10value_typeET2_T3_PNSZ_IS14_E10value_typeET4_jRbjT5_S1A_jjP12ihipStream_tbEUljE_EEESV_SW_SX_S14_S18_S1A_T6_T7_T9_mT8_S1C_bDpT10_ENKUlT_T0_E_clISt17integral_constantIbLb0EES1P_EEDaS1K_S1L_EUlS1K_E_NS1_11comp_targetILNS1_3genE5ELNS1_11target_archE942ELNS1_3gpuE9ELNS1_3repE0EEENS1_30default_config_static_selectorELNS0_4arch9wavefront6targetE0EEEvSY_
    .private_segment_fixed_size: 0
    .sgpr_count:     0
    .sgpr_spill_count: 0
    .symbol:         _ZN7rocprim17ROCPRIM_400000_NS6detail17trampoline_kernelINS0_13select_configILj256ELj13ELNS0_17block_load_methodE3ELS4_3ELS4_3ELNS0_20block_scan_algorithmE0ELj4294967295EEENS1_25partition_config_selectorILNS1_17partition_subalgoE3EjNS0_10empty_typeEbEEZZNS1_14partition_implILS8_3ELb0ES6_jNS0_17counting_iteratorIjlEEPS9_SE_NS0_5tupleIJPjSE_EEENSF_IJSE_SE_EEES9_SG_JZNS1_25segmented_radix_sort_implINS0_14default_configELb1EPKiPiPKlPlN2at6native12_GLOBAL__N_18offset_tEEE10hipError_tPvRmT1_PNSt15iterator_traitsISY_E10value_typeET2_T3_PNSZ_IS14_E10value_typeET4_jRbjT5_S1A_jjP12ihipStream_tbEUljE_EEESV_SW_SX_S14_S18_S1A_T6_T7_T9_mT8_S1C_bDpT10_ENKUlT_T0_E_clISt17integral_constantIbLb0EES1P_EEDaS1K_S1L_EUlS1K_E_NS1_11comp_targetILNS1_3genE5ELNS1_11target_archE942ELNS1_3gpuE9ELNS1_3repE0EEENS1_30default_config_static_selectorELNS0_4arch9wavefront6targetE0EEEvSY_.kd
    .uniform_work_group_size: 1
    .uses_dynamic_stack: false
    .vgpr_count:     0
    .vgpr_spill_count: 0
    .wavefront_size: 32
    .workgroup_processor_mode: 1
  - .args:
      - .offset:         0
        .size:           144
        .value_kind:     by_value
    .group_segment_fixed_size: 0
    .kernarg_segment_align: 8
    .kernarg_segment_size: 144
    .language:       OpenCL C
    .language_version:
      - 2
      - 0
    .max_flat_workgroup_size: 256
    .name:           _ZN7rocprim17ROCPRIM_400000_NS6detail17trampoline_kernelINS0_13select_configILj256ELj13ELNS0_17block_load_methodE3ELS4_3ELS4_3ELNS0_20block_scan_algorithmE0ELj4294967295EEENS1_25partition_config_selectorILNS1_17partition_subalgoE3EjNS0_10empty_typeEbEEZZNS1_14partition_implILS8_3ELb0ES6_jNS0_17counting_iteratorIjlEEPS9_SE_NS0_5tupleIJPjSE_EEENSF_IJSE_SE_EEES9_SG_JZNS1_25segmented_radix_sort_implINS0_14default_configELb1EPKiPiPKlPlN2at6native12_GLOBAL__N_18offset_tEEE10hipError_tPvRmT1_PNSt15iterator_traitsISY_E10value_typeET2_T3_PNSZ_IS14_E10value_typeET4_jRbjT5_S1A_jjP12ihipStream_tbEUljE_EEESV_SW_SX_S14_S18_S1A_T6_T7_T9_mT8_S1C_bDpT10_ENKUlT_T0_E_clISt17integral_constantIbLb0EES1P_EEDaS1K_S1L_EUlS1K_E_NS1_11comp_targetILNS1_3genE4ELNS1_11target_archE910ELNS1_3gpuE8ELNS1_3repE0EEENS1_30default_config_static_selectorELNS0_4arch9wavefront6targetE0EEEvSY_
    .private_segment_fixed_size: 0
    .sgpr_count:     0
    .sgpr_spill_count: 0
    .symbol:         _ZN7rocprim17ROCPRIM_400000_NS6detail17trampoline_kernelINS0_13select_configILj256ELj13ELNS0_17block_load_methodE3ELS4_3ELS4_3ELNS0_20block_scan_algorithmE0ELj4294967295EEENS1_25partition_config_selectorILNS1_17partition_subalgoE3EjNS0_10empty_typeEbEEZZNS1_14partition_implILS8_3ELb0ES6_jNS0_17counting_iteratorIjlEEPS9_SE_NS0_5tupleIJPjSE_EEENSF_IJSE_SE_EEES9_SG_JZNS1_25segmented_radix_sort_implINS0_14default_configELb1EPKiPiPKlPlN2at6native12_GLOBAL__N_18offset_tEEE10hipError_tPvRmT1_PNSt15iterator_traitsISY_E10value_typeET2_T3_PNSZ_IS14_E10value_typeET4_jRbjT5_S1A_jjP12ihipStream_tbEUljE_EEESV_SW_SX_S14_S18_S1A_T6_T7_T9_mT8_S1C_bDpT10_ENKUlT_T0_E_clISt17integral_constantIbLb0EES1P_EEDaS1K_S1L_EUlS1K_E_NS1_11comp_targetILNS1_3genE4ELNS1_11target_archE910ELNS1_3gpuE8ELNS1_3repE0EEENS1_30default_config_static_selectorELNS0_4arch9wavefront6targetE0EEEvSY_.kd
    .uniform_work_group_size: 1
    .uses_dynamic_stack: false
    .vgpr_count:     0
    .vgpr_spill_count: 0
    .wavefront_size: 32
    .workgroup_processor_mode: 1
  - .args:
      - .offset:         0
        .size:           144
        .value_kind:     by_value
    .group_segment_fixed_size: 0
    .kernarg_segment_align: 8
    .kernarg_segment_size: 144
    .language:       OpenCL C
    .language_version:
      - 2
      - 0
    .max_flat_workgroup_size: 256
    .name:           _ZN7rocprim17ROCPRIM_400000_NS6detail17trampoline_kernelINS0_13select_configILj256ELj13ELNS0_17block_load_methodE3ELS4_3ELS4_3ELNS0_20block_scan_algorithmE0ELj4294967295EEENS1_25partition_config_selectorILNS1_17partition_subalgoE3EjNS0_10empty_typeEbEEZZNS1_14partition_implILS8_3ELb0ES6_jNS0_17counting_iteratorIjlEEPS9_SE_NS0_5tupleIJPjSE_EEENSF_IJSE_SE_EEES9_SG_JZNS1_25segmented_radix_sort_implINS0_14default_configELb1EPKiPiPKlPlN2at6native12_GLOBAL__N_18offset_tEEE10hipError_tPvRmT1_PNSt15iterator_traitsISY_E10value_typeET2_T3_PNSZ_IS14_E10value_typeET4_jRbjT5_S1A_jjP12ihipStream_tbEUljE_EEESV_SW_SX_S14_S18_S1A_T6_T7_T9_mT8_S1C_bDpT10_ENKUlT_T0_E_clISt17integral_constantIbLb0EES1P_EEDaS1K_S1L_EUlS1K_E_NS1_11comp_targetILNS1_3genE3ELNS1_11target_archE908ELNS1_3gpuE7ELNS1_3repE0EEENS1_30default_config_static_selectorELNS0_4arch9wavefront6targetE0EEEvSY_
    .private_segment_fixed_size: 0
    .sgpr_count:     0
    .sgpr_spill_count: 0
    .symbol:         _ZN7rocprim17ROCPRIM_400000_NS6detail17trampoline_kernelINS0_13select_configILj256ELj13ELNS0_17block_load_methodE3ELS4_3ELS4_3ELNS0_20block_scan_algorithmE0ELj4294967295EEENS1_25partition_config_selectorILNS1_17partition_subalgoE3EjNS0_10empty_typeEbEEZZNS1_14partition_implILS8_3ELb0ES6_jNS0_17counting_iteratorIjlEEPS9_SE_NS0_5tupleIJPjSE_EEENSF_IJSE_SE_EEES9_SG_JZNS1_25segmented_radix_sort_implINS0_14default_configELb1EPKiPiPKlPlN2at6native12_GLOBAL__N_18offset_tEEE10hipError_tPvRmT1_PNSt15iterator_traitsISY_E10value_typeET2_T3_PNSZ_IS14_E10value_typeET4_jRbjT5_S1A_jjP12ihipStream_tbEUljE_EEESV_SW_SX_S14_S18_S1A_T6_T7_T9_mT8_S1C_bDpT10_ENKUlT_T0_E_clISt17integral_constantIbLb0EES1P_EEDaS1K_S1L_EUlS1K_E_NS1_11comp_targetILNS1_3genE3ELNS1_11target_archE908ELNS1_3gpuE7ELNS1_3repE0EEENS1_30default_config_static_selectorELNS0_4arch9wavefront6targetE0EEEvSY_.kd
    .uniform_work_group_size: 1
    .uses_dynamic_stack: false
    .vgpr_count:     0
    .vgpr_spill_count: 0
    .wavefront_size: 32
    .workgroup_processor_mode: 1
  - .args:
      - .offset:         0
        .size:           144
        .value_kind:     by_value
    .group_segment_fixed_size: 0
    .kernarg_segment_align: 8
    .kernarg_segment_size: 144
    .language:       OpenCL C
    .language_version:
      - 2
      - 0
    .max_flat_workgroup_size: 256
    .name:           _ZN7rocprim17ROCPRIM_400000_NS6detail17trampoline_kernelINS0_13select_configILj256ELj13ELNS0_17block_load_methodE3ELS4_3ELS4_3ELNS0_20block_scan_algorithmE0ELj4294967295EEENS1_25partition_config_selectorILNS1_17partition_subalgoE3EjNS0_10empty_typeEbEEZZNS1_14partition_implILS8_3ELb0ES6_jNS0_17counting_iteratorIjlEEPS9_SE_NS0_5tupleIJPjSE_EEENSF_IJSE_SE_EEES9_SG_JZNS1_25segmented_radix_sort_implINS0_14default_configELb1EPKiPiPKlPlN2at6native12_GLOBAL__N_18offset_tEEE10hipError_tPvRmT1_PNSt15iterator_traitsISY_E10value_typeET2_T3_PNSZ_IS14_E10value_typeET4_jRbjT5_S1A_jjP12ihipStream_tbEUljE_EEESV_SW_SX_S14_S18_S1A_T6_T7_T9_mT8_S1C_bDpT10_ENKUlT_T0_E_clISt17integral_constantIbLb0EES1P_EEDaS1K_S1L_EUlS1K_E_NS1_11comp_targetILNS1_3genE2ELNS1_11target_archE906ELNS1_3gpuE6ELNS1_3repE0EEENS1_30default_config_static_selectorELNS0_4arch9wavefront6targetE0EEEvSY_
    .private_segment_fixed_size: 0
    .sgpr_count:     0
    .sgpr_spill_count: 0
    .symbol:         _ZN7rocprim17ROCPRIM_400000_NS6detail17trampoline_kernelINS0_13select_configILj256ELj13ELNS0_17block_load_methodE3ELS4_3ELS4_3ELNS0_20block_scan_algorithmE0ELj4294967295EEENS1_25partition_config_selectorILNS1_17partition_subalgoE3EjNS0_10empty_typeEbEEZZNS1_14partition_implILS8_3ELb0ES6_jNS0_17counting_iteratorIjlEEPS9_SE_NS0_5tupleIJPjSE_EEENSF_IJSE_SE_EEES9_SG_JZNS1_25segmented_radix_sort_implINS0_14default_configELb1EPKiPiPKlPlN2at6native12_GLOBAL__N_18offset_tEEE10hipError_tPvRmT1_PNSt15iterator_traitsISY_E10value_typeET2_T3_PNSZ_IS14_E10value_typeET4_jRbjT5_S1A_jjP12ihipStream_tbEUljE_EEESV_SW_SX_S14_S18_S1A_T6_T7_T9_mT8_S1C_bDpT10_ENKUlT_T0_E_clISt17integral_constantIbLb0EES1P_EEDaS1K_S1L_EUlS1K_E_NS1_11comp_targetILNS1_3genE2ELNS1_11target_archE906ELNS1_3gpuE6ELNS1_3repE0EEENS1_30default_config_static_selectorELNS0_4arch9wavefront6targetE0EEEvSY_.kd
    .uniform_work_group_size: 1
    .uses_dynamic_stack: false
    .vgpr_count:     0
    .vgpr_spill_count: 0
    .wavefront_size: 32
    .workgroup_processor_mode: 1
  - .args:
      - .offset:         0
        .size:           144
        .value_kind:     by_value
    .group_segment_fixed_size: 13320
    .kernarg_segment_align: 8
    .kernarg_segment_size: 144
    .language:       OpenCL C
    .language_version:
      - 2
      - 0
    .max_flat_workgroup_size: 256
    .name:           _ZN7rocprim17ROCPRIM_400000_NS6detail17trampoline_kernelINS0_13select_configILj256ELj13ELNS0_17block_load_methodE3ELS4_3ELS4_3ELNS0_20block_scan_algorithmE0ELj4294967295EEENS1_25partition_config_selectorILNS1_17partition_subalgoE3EjNS0_10empty_typeEbEEZZNS1_14partition_implILS8_3ELb0ES6_jNS0_17counting_iteratorIjlEEPS9_SE_NS0_5tupleIJPjSE_EEENSF_IJSE_SE_EEES9_SG_JZNS1_25segmented_radix_sort_implINS0_14default_configELb1EPKiPiPKlPlN2at6native12_GLOBAL__N_18offset_tEEE10hipError_tPvRmT1_PNSt15iterator_traitsISY_E10value_typeET2_T3_PNSZ_IS14_E10value_typeET4_jRbjT5_S1A_jjP12ihipStream_tbEUljE_EEESV_SW_SX_S14_S18_S1A_T6_T7_T9_mT8_S1C_bDpT10_ENKUlT_T0_E_clISt17integral_constantIbLb0EES1P_EEDaS1K_S1L_EUlS1K_E_NS1_11comp_targetILNS1_3genE10ELNS1_11target_archE1200ELNS1_3gpuE4ELNS1_3repE0EEENS1_30default_config_static_selectorELNS0_4arch9wavefront6targetE0EEEvSY_
    .private_segment_fixed_size: 0
    .sgpr_count:     28
    .sgpr_spill_count: 0
    .symbol:         _ZN7rocprim17ROCPRIM_400000_NS6detail17trampoline_kernelINS0_13select_configILj256ELj13ELNS0_17block_load_methodE3ELS4_3ELS4_3ELNS0_20block_scan_algorithmE0ELj4294967295EEENS1_25partition_config_selectorILNS1_17partition_subalgoE3EjNS0_10empty_typeEbEEZZNS1_14partition_implILS8_3ELb0ES6_jNS0_17counting_iteratorIjlEEPS9_SE_NS0_5tupleIJPjSE_EEENSF_IJSE_SE_EEES9_SG_JZNS1_25segmented_radix_sort_implINS0_14default_configELb1EPKiPiPKlPlN2at6native12_GLOBAL__N_18offset_tEEE10hipError_tPvRmT1_PNSt15iterator_traitsISY_E10value_typeET2_T3_PNSZ_IS14_E10value_typeET4_jRbjT5_S1A_jjP12ihipStream_tbEUljE_EEESV_SW_SX_S14_S18_S1A_T6_T7_T9_mT8_S1C_bDpT10_ENKUlT_T0_E_clISt17integral_constantIbLb0EES1P_EEDaS1K_S1L_EUlS1K_E_NS1_11comp_targetILNS1_3genE10ELNS1_11target_archE1200ELNS1_3gpuE4ELNS1_3repE0EEENS1_30default_config_static_selectorELNS0_4arch9wavefront6targetE0EEEvSY_.kd
    .uniform_work_group_size: 1
    .uses_dynamic_stack: false
    .vgpr_count:     69
    .vgpr_spill_count: 0
    .wavefront_size: 32
    .workgroup_processor_mode: 1
  - .args:
      - .offset:         0
        .size:           144
        .value_kind:     by_value
    .group_segment_fixed_size: 0
    .kernarg_segment_align: 8
    .kernarg_segment_size: 144
    .language:       OpenCL C
    .language_version:
      - 2
      - 0
    .max_flat_workgroup_size: 256
    .name:           _ZN7rocprim17ROCPRIM_400000_NS6detail17trampoline_kernelINS0_13select_configILj256ELj13ELNS0_17block_load_methodE3ELS4_3ELS4_3ELNS0_20block_scan_algorithmE0ELj4294967295EEENS1_25partition_config_selectorILNS1_17partition_subalgoE3EjNS0_10empty_typeEbEEZZNS1_14partition_implILS8_3ELb0ES6_jNS0_17counting_iteratorIjlEEPS9_SE_NS0_5tupleIJPjSE_EEENSF_IJSE_SE_EEES9_SG_JZNS1_25segmented_radix_sort_implINS0_14default_configELb1EPKiPiPKlPlN2at6native12_GLOBAL__N_18offset_tEEE10hipError_tPvRmT1_PNSt15iterator_traitsISY_E10value_typeET2_T3_PNSZ_IS14_E10value_typeET4_jRbjT5_S1A_jjP12ihipStream_tbEUljE_EEESV_SW_SX_S14_S18_S1A_T6_T7_T9_mT8_S1C_bDpT10_ENKUlT_T0_E_clISt17integral_constantIbLb0EES1P_EEDaS1K_S1L_EUlS1K_E_NS1_11comp_targetILNS1_3genE9ELNS1_11target_archE1100ELNS1_3gpuE3ELNS1_3repE0EEENS1_30default_config_static_selectorELNS0_4arch9wavefront6targetE0EEEvSY_
    .private_segment_fixed_size: 0
    .sgpr_count:     0
    .sgpr_spill_count: 0
    .symbol:         _ZN7rocprim17ROCPRIM_400000_NS6detail17trampoline_kernelINS0_13select_configILj256ELj13ELNS0_17block_load_methodE3ELS4_3ELS4_3ELNS0_20block_scan_algorithmE0ELj4294967295EEENS1_25partition_config_selectorILNS1_17partition_subalgoE3EjNS0_10empty_typeEbEEZZNS1_14partition_implILS8_3ELb0ES6_jNS0_17counting_iteratorIjlEEPS9_SE_NS0_5tupleIJPjSE_EEENSF_IJSE_SE_EEES9_SG_JZNS1_25segmented_radix_sort_implINS0_14default_configELb1EPKiPiPKlPlN2at6native12_GLOBAL__N_18offset_tEEE10hipError_tPvRmT1_PNSt15iterator_traitsISY_E10value_typeET2_T3_PNSZ_IS14_E10value_typeET4_jRbjT5_S1A_jjP12ihipStream_tbEUljE_EEESV_SW_SX_S14_S18_S1A_T6_T7_T9_mT8_S1C_bDpT10_ENKUlT_T0_E_clISt17integral_constantIbLb0EES1P_EEDaS1K_S1L_EUlS1K_E_NS1_11comp_targetILNS1_3genE9ELNS1_11target_archE1100ELNS1_3gpuE3ELNS1_3repE0EEENS1_30default_config_static_selectorELNS0_4arch9wavefront6targetE0EEEvSY_.kd
    .uniform_work_group_size: 1
    .uses_dynamic_stack: false
    .vgpr_count:     0
    .vgpr_spill_count: 0
    .wavefront_size: 32
    .workgroup_processor_mode: 1
  - .args:
      - .offset:         0
        .size:           144
        .value_kind:     by_value
    .group_segment_fixed_size: 0
    .kernarg_segment_align: 8
    .kernarg_segment_size: 144
    .language:       OpenCL C
    .language_version:
      - 2
      - 0
    .max_flat_workgroup_size: 256
    .name:           _ZN7rocprim17ROCPRIM_400000_NS6detail17trampoline_kernelINS0_13select_configILj256ELj13ELNS0_17block_load_methodE3ELS4_3ELS4_3ELNS0_20block_scan_algorithmE0ELj4294967295EEENS1_25partition_config_selectorILNS1_17partition_subalgoE3EjNS0_10empty_typeEbEEZZNS1_14partition_implILS8_3ELb0ES6_jNS0_17counting_iteratorIjlEEPS9_SE_NS0_5tupleIJPjSE_EEENSF_IJSE_SE_EEES9_SG_JZNS1_25segmented_radix_sort_implINS0_14default_configELb1EPKiPiPKlPlN2at6native12_GLOBAL__N_18offset_tEEE10hipError_tPvRmT1_PNSt15iterator_traitsISY_E10value_typeET2_T3_PNSZ_IS14_E10value_typeET4_jRbjT5_S1A_jjP12ihipStream_tbEUljE_EEESV_SW_SX_S14_S18_S1A_T6_T7_T9_mT8_S1C_bDpT10_ENKUlT_T0_E_clISt17integral_constantIbLb0EES1P_EEDaS1K_S1L_EUlS1K_E_NS1_11comp_targetILNS1_3genE8ELNS1_11target_archE1030ELNS1_3gpuE2ELNS1_3repE0EEENS1_30default_config_static_selectorELNS0_4arch9wavefront6targetE0EEEvSY_
    .private_segment_fixed_size: 0
    .sgpr_count:     0
    .sgpr_spill_count: 0
    .symbol:         _ZN7rocprim17ROCPRIM_400000_NS6detail17trampoline_kernelINS0_13select_configILj256ELj13ELNS0_17block_load_methodE3ELS4_3ELS4_3ELNS0_20block_scan_algorithmE0ELj4294967295EEENS1_25partition_config_selectorILNS1_17partition_subalgoE3EjNS0_10empty_typeEbEEZZNS1_14partition_implILS8_3ELb0ES6_jNS0_17counting_iteratorIjlEEPS9_SE_NS0_5tupleIJPjSE_EEENSF_IJSE_SE_EEES9_SG_JZNS1_25segmented_radix_sort_implINS0_14default_configELb1EPKiPiPKlPlN2at6native12_GLOBAL__N_18offset_tEEE10hipError_tPvRmT1_PNSt15iterator_traitsISY_E10value_typeET2_T3_PNSZ_IS14_E10value_typeET4_jRbjT5_S1A_jjP12ihipStream_tbEUljE_EEESV_SW_SX_S14_S18_S1A_T6_T7_T9_mT8_S1C_bDpT10_ENKUlT_T0_E_clISt17integral_constantIbLb0EES1P_EEDaS1K_S1L_EUlS1K_E_NS1_11comp_targetILNS1_3genE8ELNS1_11target_archE1030ELNS1_3gpuE2ELNS1_3repE0EEENS1_30default_config_static_selectorELNS0_4arch9wavefront6targetE0EEEvSY_.kd
    .uniform_work_group_size: 1
    .uses_dynamic_stack: false
    .vgpr_count:     0
    .vgpr_spill_count: 0
    .wavefront_size: 32
    .workgroup_processor_mode: 1
  - .args:
      - .offset:         0
        .size:           152
        .value_kind:     by_value
    .group_segment_fixed_size: 0
    .kernarg_segment_align: 8
    .kernarg_segment_size: 152
    .language:       OpenCL C
    .language_version:
      - 2
      - 0
    .max_flat_workgroup_size: 256
    .name:           _ZN7rocprim17ROCPRIM_400000_NS6detail17trampoline_kernelINS0_13select_configILj256ELj13ELNS0_17block_load_methodE3ELS4_3ELS4_3ELNS0_20block_scan_algorithmE0ELj4294967295EEENS1_25partition_config_selectorILNS1_17partition_subalgoE3EjNS0_10empty_typeEbEEZZNS1_14partition_implILS8_3ELb0ES6_jNS0_17counting_iteratorIjlEEPS9_SE_NS0_5tupleIJPjSE_EEENSF_IJSE_SE_EEES9_SG_JZNS1_25segmented_radix_sort_implINS0_14default_configELb1EPKiPiPKlPlN2at6native12_GLOBAL__N_18offset_tEEE10hipError_tPvRmT1_PNSt15iterator_traitsISY_E10value_typeET2_T3_PNSZ_IS14_E10value_typeET4_jRbjT5_S1A_jjP12ihipStream_tbEUljE_EEESV_SW_SX_S14_S18_S1A_T6_T7_T9_mT8_S1C_bDpT10_ENKUlT_T0_E_clISt17integral_constantIbLb1EES1P_EEDaS1K_S1L_EUlS1K_E_NS1_11comp_targetILNS1_3genE0ELNS1_11target_archE4294967295ELNS1_3gpuE0ELNS1_3repE0EEENS1_30default_config_static_selectorELNS0_4arch9wavefront6targetE0EEEvSY_
    .private_segment_fixed_size: 0
    .sgpr_count:     0
    .sgpr_spill_count: 0
    .symbol:         _ZN7rocprim17ROCPRIM_400000_NS6detail17trampoline_kernelINS0_13select_configILj256ELj13ELNS0_17block_load_methodE3ELS4_3ELS4_3ELNS0_20block_scan_algorithmE0ELj4294967295EEENS1_25partition_config_selectorILNS1_17partition_subalgoE3EjNS0_10empty_typeEbEEZZNS1_14partition_implILS8_3ELb0ES6_jNS0_17counting_iteratorIjlEEPS9_SE_NS0_5tupleIJPjSE_EEENSF_IJSE_SE_EEES9_SG_JZNS1_25segmented_radix_sort_implINS0_14default_configELb1EPKiPiPKlPlN2at6native12_GLOBAL__N_18offset_tEEE10hipError_tPvRmT1_PNSt15iterator_traitsISY_E10value_typeET2_T3_PNSZ_IS14_E10value_typeET4_jRbjT5_S1A_jjP12ihipStream_tbEUljE_EEESV_SW_SX_S14_S18_S1A_T6_T7_T9_mT8_S1C_bDpT10_ENKUlT_T0_E_clISt17integral_constantIbLb1EES1P_EEDaS1K_S1L_EUlS1K_E_NS1_11comp_targetILNS1_3genE0ELNS1_11target_archE4294967295ELNS1_3gpuE0ELNS1_3repE0EEENS1_30default_config_static_selectorELNS0_4arch9wavefront6targetE0EEEvSY_.kd
    .uniform_work_group_size: 1
    .uses_dynamic_stack: false
    .vgpr_count:     0
    .vgpr_spill_count: 0
    .wavefront_size: 32
    .workgroup_processor_mode: 1
  - .args:
      - .offset:         0
        .size:           152
        .value_kind:     by_value
    .group_segment_fixed_size: 0
    .kernarg_segment_align: 8
    .kernarg_segment_size: 152
    .language:       OpenCL C
    .language_version:
      - 2
      - 0
    .max_flat_workgroup_size: 256
    .name:           _ZN7rocprim17ROCPRIM_400000_NS6detail17trampoline_kernelINS0_13select_configILj256ELj13ELNS0_17block_load_methodE3ELS4_3ELS4_3ELNS0_20block_scan_algorithmE0ELj4294967295EEENS1_25partition_config_selectorILNS1_17partition_subalgoE3EjNS0_10empty_typeEbEEZZNS1_14partition_implILS8_3ELb0ES6_jNS0_17counting_iteratorIjlEEPS9_SE_NS0_5tupleIJPjSE_EEENSF_IJSE_SE_EEES9_SG_JZNS1_25segmented_radix_sort_implINS0_14default_configELb1EPKiPiPKlPlN2at6native12_GLOBAL__N_18offset_tEEE10hipError_tPvRmT1_PNSt15iterator_traitsISY_E10value_typeET2_T3_PNSZ_IS14_E10value_typeET4_jRbjT5_S1A_jjP12ihipStream_tbEUljE_EEESV_SW_SX_S14_S18_S1A_T6_T7_T9_mT8_S1C_bDpT10_ENKUlT_T0_E_clISt17integral_constantIbLb1EES1P_EEDaS1K_S1L_EUlS1K_E_NS1_11comp_targetILNS1_3genE5ELNS1_11target_archE942ELNS1_3gpuE9ELNS1_3repE0EEENS1_30default_config_static_selectorELNS0_4arch9wavefront6targetE0EEEvSY_
    .private_segment_fixed_size: 0
    .sgpr_count:     0
    .sgpr_spill_count: 0
    .symbol:         _ZN7rocprim17ROCPRIM_400000_NS6detail17trampoline_kernelINS0_13select_configILj256ELj13ELNS0_17block_load_methodE3ELS4_3ELS4_3ELNS0_20block_scan_algorithmE0ELj4294967295EEENS1_25partition_config_selectorILNS1_17partition_subalgoE3EjNS0_10empty_typeEbEEZZNS1_14partition_implILS8_3ELb0ES6_jNS0_17counting_iteratorIjlEEPS9_SE_NS0_5tupleIJPjSE_EEENSF_IJSE_SE_EEES9_SG_JZNS1_25segmented_radix_sort_implINS0_14default_configELb1EPKiPiPKlPlN2at6native12_GLOBAL__N_18offset_tEEE10hipError_tPvRmT1_PNSt15iterator_traitsISY_E10value_typeET2_T3_PNSZ_IS14_E10value_typeET4_jRbjT5_S1A_jjP12ihipStream_tbEUljE_EEESV_SW_SX_S14_S18_S1A_T6_T7_T9_mT8_S1C_bDpT10_ENKUlT_T0_E_clISt17integral_constantIbLb1EES1P_EEDaS1K_S1L_EUlS1K_E_NS1_11comp_targetILNS1_3genE5ELNS1_11target_archE942ELNS1_3gpuE9ELNS1_3repE0EEENS1_30default_config_static_selectorELNS0_4arch9wavefront6targetE0EEEvSY_.kd
    .uniform_work_group_size: 1
    .uses_dynamic_stack: false
    .vgpr_count:     0
    .vgpr_spill_count: 0
    .wavefront_size: 32
    .workgroup_processor_mode: 1
  - .args:
      - .offset:         0
        .size:           152
        .value_kind:     by_value
    .group_segment_fixed_size: 0
    .kernarg_segment_align: 8
    .kernarg_segment_size: 152
    .language:       OpenCL C
    .language_version:
      - 2
      - 0
    .max_flat_workgroup_size: 256
    .name:           _ZN7rocprim17ROCPRIM_400000_NS6detail17trampoline_kernelINS0_13select_configILj256ELj13ELNS0_17block_load_methodE3ELS4_3ELS4_3ELNS0_20block_scan_algorithmE0ELj4294967295EEENS1_25partition_config_selectorILNS1_17partition_subalgoE3EjNS0_10empty_typeEbEEZZNS1_14partition_implILS8_3ELb0ES6_jNS0_17counting_iteratorIjlEEPS9_SE_NS0_5tupleIJPjSE_EEENSF_IJSE_SE_EEES9_SG_JZNS1_25segmented_radix_sort_implINS0_14default_configELb1EPKiPiPKlPlN2at6native12_GLOBAL__N_18offset_tEEE10hipError_tPvRmT1_PNSt15iterator_traitsISY_E10value_typeET2_T3_PNSZ_IS14_E10value_typeET4_jRbjT5_S1A_jjP12ihipStream_tbEUljE_EEESV_SW_SX_S14_S18_S1A_T6_T7_T9_mT8_S1C_bDpT10_ENKUlT_T0_E_clISt17integral_constantIbLb1EES1P_EEDaS1K_S1L_EUlS1K_E_NS1_11comp_targetILNS1_3genE4ELNS1_11target_archE910ELNS1_3gpuE8ELNS1_3repE0EEENS1_30default_config_static_selectorELNS0_4arch9wavefront6targetE0EEEvSY_
    .private_segment_fixed_size: 0
    .sgpr_count:     0
    .sgpr_spill_count: 0
    .symbol:         _ZN7rocprim17ROCPRIM_400000_NS6detail17trampoline_kernelINS0_13select_configILj256ELj13ELNS0_17block_load_methodE3ELS4_3ELS4_3ELNS0_20block_scan_algorithmE0ELj4294967295EEENS1_25partition_config_selectorILNS1_17partition_subalgoE3EjNS0_10empty_typeEbEEZZNS1_14partition_implILS8_3ELb0ES6_jNS0_17counting_iteratorIjlEEPS9_SE_NS0_5tupleIJPjSE_EEENSF_IJSE_SE_EEES9_SG_JZNS1_25segmented_radix_sort_implINS0_14default_configELb1EPKiPiPKlPlN2at6native12_GLOBAL__N_18offset_tEEE10hipError_tPvRmT1_PNSt15iterator_traitsISY_E10value_typeET2_T3_PNSZ_IS14_E10value_typeET4_jRbjT5_S1A_jjP12ihipStream_tbEUljE_EEESV_SW_SX_S14_S18_S1A_T6_T7_T9_mT8_S1C_bDpT10_ENKUlT_T0_E_clISt17integral_constantIbLb1EES1P_EEDaS1K_S1L_EUlS1K_E_NS1_11comp_targetILNS1_3genE4ELNS1_11target_archE910ELNS1_3gpuE8ELNS1_3repE0EEENS1_30default_config_static_selectorELNS0_4arch9wavefront6targetE0EEEvSY_.kd
    .uniform_work_group_size: 1
    .uses_dynamic_stack: false
    .vgpr_count:     0
    .vgpr_spill_count: 0
    .wavefront_size: 32
    .workgroup_processor_mode: 1
  - .args:
      - .offset:         0
        .size:           152
        .value_kind:     by_value
    .group_segment_fixed_size: 0
    .kernarg_segment_align: 8
    .kernarg_segment_size: 152
    .language:       OpenCL C
    .language_version:
      - 2
      - 0
    .max_flat_workgroup_size: 256
    .name:           _ZN7rocprim17ROCPRIM_400000_NS6detail17trampoline_kernelINS0_13select_configILj256ELj13ELNS0_17block_load_methodE3ELS4_3ELS4_3ELNS0_20block_scan_algorithmE0ELj4294967295EEENS1_25partition_config_selectorILNS1_17partition_subalgoE3EjNS0_10empty_typeEbEEZZNS1_14partition_implILS8_3ELb0ES6_jNS0_17counting_iteratorIjlEEPS9_SE_NS0_5tupleIJPjSE_EEENSF_IJSE_SE_EEES9_SG_JZNS1_25segmented_radix_sort_implINS0_14default_configELb1EPKiPiPKlPlN2at6native12_GLOBAL__N_18offset_tEEE10hipError_tPvRmT1_PNSt15iterator_traitsISY_E10value_typeET2_T3_PNSZ_IS14_E10value_typeET4_jRbjT5_S1A_jjP12ihipStream_tbEUljE_EEESV_SW_SX_S14_S18_S1A_T6_T7_T9_mT8_S1C_bDpT10_ENKUlT_T0_E_clISt17integral_constantIbLb1EES1P_EEDaS1K_S1L_EUlS1K_E_NS1_11comp_targetILNS1_3genE3ELNS1_11target_archE908ELNS1_3gpuE7ELNS1_3repE0EEENS1_30default_config_static_selectorELNS0_4arch9wavefront6targetE0EEEvSY_
    .private_segment_fixed_size: 0
    .sgpr_count:     0
    .sgpr_spill_count: 0
    .symbol:         _ZN7rocprim17ROCPRIM_400000_NS6detail17trampoline_kernelINS0_13select_configILj256ELj13ELNS0_17block_load_methodE3ELS4_3ELS4_3ELNS0_20block_scan_algorithmE0ELj4294967295EEENS1_25partition_config_selectorILNS1_17partition_subalgoE3EjNS0_10empty_typeEbEEZZNS1_14partition_implILS8_3ELb0ES6_jNS0_17counting_iteratorIjlEEPS9_SE_NS0_5tupleIJPjSE_EEENSF_IJSE_SE_EEES9_SG_JZNS1_25segmented_radix_sort_implINS0_14default_configELb1EPKiPiPKlPlN2at6native12_GLOBAL__N_18offset_tEEE10hipError_tPvRmT1_PNSt15iterator_traitsISY_E10value_typeET2_T3_PNSZ_IS14_E10value_typeET4_jRbjT5_S1A_jjP12ihipStream_tbEUljE_EEESV_SW_SX_S14_S18_S1A_T6_T7_T9_mT8_S1C_bDpT10_ENKUlT_T0_E_clISt17integral_constantIbLb1EES1P_EEDaS1K_S1L_EUlS1K_E_NS1_11comp_targetILNS1_3genE3ELNS1_11target_archE908ELNS1_3gpuE7ELNS1_3repE0EEENS1_30default_config_static_selectorELNS0_4arch9wavefront6targetE0EEEvSY_.kd
    .uniform_work_group_size: 1
    .uses_dynamic_stack: false
    .vgpr_count:     0
    .vgpr_spill_count: 0
    .wavefront_size: 32
    .workgroup_processor_mode: 1
  - .args:
      - .offset:         0
        .size:           152
        .value_kind:     by_value
    .group_segment_fixed_size: 0
    .kernarg_segment_align: 8
    .kernarg_segment_size: 152
    .language:       OpenCL C
    .language_version:
      - 2
      - 0
    .max_flat_workgroup_size: 256
    .name:           _ZN7rocprim17ROCPRIM_400000_NS6detail17trampoline_kernelINS0_13select_configILj256ELj13ELNS0_17block_load_methodE3ELS4_3ELS4_3ELNS0_20block_scan_algorithmE0ELj4294967295EEENS1_25partition_config_selectorILNS1_17partition_subalgoE3EjNS0_10empty_typeEbEEZZNS1_14partition_implILS8_3ELb0ES6_jNS0_17counting_iteratorIjlEEPS9_SE_NS0_5tupleIJPjSE_EEENSF_IJSE_SE_EEES9_SG_JZNS1_25segmented_radix_sort_implINS0_14default_configELb1EPKiPiPKlPlN2at6native12_GLOBAL__N_18offset_tEEE10hipError_tPvRmT1_PNSt15iterator_traitsISY_E10value_typeET2_T3_PNSZ_IS14_E10value_typeET4_jRbjT5_S1A_jjP12ihipStream_tbEUljE_EEESV_SW_SX_S14_S18_S1A_T6_T7_T9_mT8_S1C_bDpT10_ENKUlT_T0_E_clISt17integral_constantIbLb1EES1P_EEDaS1K_S1L_EUlS1K_E_NS1_11comp_targetILNS1_3genE2ELNS1_11target_archE906ELNS1_3gpuE6ELNS1_3repE0EEENS1_30default_config_static_selectorELNS0_4arch9wavefront6targetE0EEEvSY_
    .private_segment_fixed_size: 0
    .sgpr_count:     0
    .sgpr_spill_count: 0
    .symbol:         _ZN7rocprim17ROCPRIM_400000_NS6detail17trampoline_kernelINS0_13select_configILj256ELj13ELNS0_17block_load_methodE3ELS4_3ELS4_3ELNS0_20block_scan_algorithmE0ELj4294967295EEENS1_25partition_config_selectorILNS1_17partition_subalgoE3EjNS0_10empty_typeEbEEZZNS1_14partition_implILS8_3ELb0ES6_jNS0_17counting_iteratorIjlEEPS9_SE_NS0_5tupleIJPjSE_EEENSF_IJSE_SE_EEES9_SG_JZNS1_25segmented_radix_sort_implINS0_14default_configELb1EPKiPiPKlPlN2at6native12_GLOBAL__N_18offset_tEEE10hipError_tPvRmT1_PNSt15iterator_traitsISY_E10value_typeET2_T3_PNSZ_IS14_E10value_typeET4_jRbjT5_S1A_jjP12ihipStream_tbEUljE_EEESV_SW_SX_S14_S18_S1A_T6_T7_T9_mT8_S1C_bDpT10_ENKUlT_T0_E_clISt17integral_constantIbLb1EES1P_EEDaS1K_S1L_EUlS1K_E_NS1_11comp_targetILNS1_3genE2ELNS1_11target_archE906ELNS1_3gpuE6ELNS1_3repE0EEENS1_30default_config_static_selectorELNS0_4arch9wavefront6targetE0EEEvSY_.kd
    .uniform_work_group_size: 1
    .uses_dynamic_stack: false
    .vgpr_count:     0
    .vgpr_spill_count: 0
    .wavefront_size: 32
    .workgroup_processor_mode: 1
  - .args:
      - .offset:         0
        .size:           152
        .value_kind:     by_value
    .group_segment_fixed_size: 0
    .kernarg_segment_align: 8
    .kernarg_segment_size: 152
    .language:       OpenCL C
    .language_version:
      - 2
      - 0
    .max_flat_workgroup_size: 256
    .name:           _ZN7rocprim17ROCPRIM_400000_NS6detail17trampoline_kernelINS0_13select_configILj256ELj13ELNS0_17block_load_methodE3ELS4_3ELS4_3ELNS0_20block_scan_algorithmE0ELj4294967295EEENS1_25partition_config_selectorILNS1_17partition_subalgoE3EjNS0_10empty_typeEbEEZZNS1_14partition_implILS8_3ELb0ES6_jNS0_17counting_iteratorIjlEEPS9_SE_NS0_5tupleIJPjSE_EEENSF_IJSE_SE_EEES9_SG_JZNS1_25segmented_radix_sort_implINS0_14default_configELb1EPKiPiPKlPlN2at6native12_GLOBAL__N_18offset_tEEE10hipError_tPvRmT1_PNSt15iterator_traitsISY_E10value_typeET2_T3_PNSZ_IS14_E10value_typeET4_jRbjT5_S1A_jjP12ihipStream_tbEUljE_EEESV_SW_SX_S14_S18_S1A_T6_T7_T9_mT8_S1C_bDpT10_ENKUlT_T0_E_clISt17integral_constantIbLb1EES1P_EEDaS1K_S1L_EUlS1K_E_NS1_11comp_targetILNS1_3genE10ELNS1_11target_archE1200ELNS1_3gpuE4ELNS1_3repE0EEENS1_30default_config_static_selectorELNS0_4arch9wavefront6targetE0EEEvSY_
    .private_segment_fixed_size: 0
    .sgpr_count:     0
    .sgpr_spill_count: 0
    .symbol:         _ZN7rocprim17ROCPRIM_400000_NS6detail17trampoline_kernelINS0_13select_configILj256ELj13ELNS0_17block_load_methodE3ELS4_3ELS4_3ELNS0_20block_scan_algorithmE0ELj4294967295EEENS1_25partition_config_selectorILNS1_17partition_subalgoE3EjNS0_10empty_typeEbEEZZNS1_14partition_implILS8_3ELb0ES6_jNS0_17counting_iteratorIjlEEPS9_SE_NS0_5tupleIJPjSE_EEENSF_IJSE_SE_EEES9_SG_JZNS1_25segmented_radix_sort_implINS0_14default_configELb1EPKiPiPKlPlN2at6native12_GLOBAL__N_18offset_tEEE10hipError_tPvRmT1_PNSt15iterator_traitsISY_E10value_typeET2_T3_PNSZ_IS14_E10value_typeET4_jRbjT5_S1A_jjP12ihipStream_tbEUljE_EEESV_SW_SX_S14_S18_S1A_T6_T7_T9_mT8_S1C_bDpT10_ENKUlT_T0_E_clISt17integral_constantIbLb1EES1P_EEDaS1K_S1L_EUlS1K_E_NS1_11comp_targetILNS1_3genE10ELNS1_11target_archE1200ELNS1_3gpuE4ELNS1_3repE0EEENS1_30default_config_static_selectorELNS0_4arch9wavefront6targetE0EEEvSY_.kd
    .uniform_work_group_size: 1
    .uses_dynamic_stack: false
    .vgpr_count:     0
    .vgpr_spill_count: 0
    .wavefront_size: 32
    .workgroup_processor_mode: 1
  - .args:
      - .offset:         0
        .size:           152
        .value_kind:     by_value
    .group_segment_fixed_size: 0
    .kernarg_segment_align: 8
    .kernarg_segment_size: 152
    .language:       OpenCL C
    .language_version:
      - 2
      - 0
    .max_flat_workgroup_size: 256
    .name:           _ZN7rocprim17ROCPRIM_400000_NS6detail17trampoline_kernelINS0_13select_configILj256ELj13ELNS0_17block_load_methodE3ELS4_3ELS4_3ELNS0_20block_scan_algorithmE0ELj4294967295EEENS1_25partition_config_selectorILNS1_17partition_subalgoE3EjNS0_10empty_typeEbEEZZNS1_14partition_implILS8_3ELb0ES6_jNS0_17counting_iteratorIjlEEPS9_SE_NS0_5tupleIJPjSE_EEENSF_IJSE_SE_EEES9_SG_JZNS1_25segmented_radix_sort_implINS0_14default_configELb1EPKiPiPKlPlN2at6native12_GLOBAL__N_18offset_tEEE10hipError_tPvRmT1_PNSt15iterator_traitsISY_E10value_typeET2_T3_PNSZ_IS14_E10value_typeET4_jRbjT5_S1A_jjP12ihipStream_tbEUljE_EEESV_SW_SX_S14_S18_S1A_T6_T7_T9_mT8_S1C_bDpT10_ENKUlT_T0_E_clISt17integral_constantIbLb1EES1P_EEDaS1K_S1L_EUlS1K_E_NS1_11comp_targetILNS1_3genE9ELNS1_11target_archE1100ELNS1_3gpuE3ELNS1_3repE0EEENS1_30default_config_static_selectorELNS0_4arch9wavefront6targetE0EEEvSY_
    .private_segment_fixed_size: 0
    .sgpr_count:     0
    .sgpr_spill_count: 0
    .symbol:         _ZN7rocprim17ROCPRIM_400000_NS6detail17trampoline_kernelINS0_13select_configILj256ELj13ELNS0_17block_load_methodE3ELS4_3ELS4_3ELNS0_20block_scan_algorithmE0ELj4294967295EEENS1_25partition_config_selectorILNS1_17partition_subalgoE3EjNS0_10empty_typeEbEEZZNS1_14partition_implILS8_3ELb0ES6_jNS0_17counting_iteratorIjlEEPS9_SE_NS0_5tupleIJPjSE_EEENSF_IJSE_SE_EEES9_SG_JZNS1_25segmented_radix_sort_implINS0_14default_configELb1EPKiPiPKlPlN2at6native12_GLOBAL__N_18offset_tEEE10hipError_tPvRmT1_PNSt15iterator_traitsISY_E10value_typeET2_T3_PNSZ_IS14_E10value_typeET4_jRbjT5_S1A_jjP12ihipStream_tbEUljE_EEESV_SW_SX_S14_S18_S1A_T6_T7_T9_mT8_S1C_bDpT10_ENKUlT_T0_E_clISt17integral_constantIbLb1EES1P_EEDaS1K_S1L_EUlS1K_E_NS1_11comp_targetILNS1_3genE9ELNS1_11target_archE1100ELNS1_3gpuE3ELNS1_3repE0EEENS1_30default_config_static_selectorELNS0_4arch9wavefront6targetE0EEEvSY_.kd
    .uniform_work_group_size: 1
    .uses_dynamic_stack: false
    .vgpr_count:     0
    .vgpr_spill_count: 0
    .wavefront_size: 32
    .workgroup_processor_mode: 1
  - .args:
      - .offset:         0
        .size:           152
        .value_kind:     by_value
    .group_segment_fixed_size: 0
    .kernarg_segment_align: 8
    .kernarg_segment_size: 152
    .language:       OpenCL C
    .language_version:
      - 2
      - 0
    .max_flat_workgroup_size: 256
    .name:           _ZN7rocprim17ROCPRIM_400000_NS6detail17trampoline_kernelINS0_13select_configILj256ELj13ELNS0_17block_load_methodE3ELS4_3ELS4_3ELNS0_20block_scan_algorithmE0ELj4294967295EEENS1_25partition_config_selectorILNS1_17partition_subalgoE3EjNS0_10empty_typeEbEEZZNS1_14partition_implILS8_3ELb0ES6_jNS0_17counting_iteratorIjlEEPS9_SE_NS0_5tupleIJPjSE_EEENSF_IJSE_SE_EEES9_SG_JZNS1_25segmented_radix_sort_implINS0_14default_configELb1EPKiPiPKlPlN2at6native12_GLOBAL__N_18offset_tEEE10hipError_tPvRmT1_PNSt15iterator_traitsISY_E10value_typeET2_T3_PNSZ_IS14_E10value_typeET4_jRbjT5_S1A_jjP12ihipStream_tbEUljE_EEESV_SW_SX_S14_S18_S1A_T6_T7_T9_mT8_S1C_bDpT10_ENKUlT_T0_E_clISt17integral_constantIbLb1EES1P_EEDaS1K_S1L_EUlS1K_E_NS1_11comp_targetILNS1_3genE8ELNS1_11target_archE1030ELNS1_3gpuE2ELNS1_3repE0EEENS1_30default_config_static_selectorELNS0_4arch9wavefront6targetE0EEEvSY_
    .private_segment_fixed_size: 0
    .sgpr_count:     0
    .sgpr_spill_count: 0
    .symbol:         _ZN7rocprim17ROCPRIM_400000_NS6detail17trampoline_kernelINS0_13select_configILj256ELj13ELNS0_17block_load_methodE3ELS4_3ELS4_3ELNS0_20block_scan_algorithmE0ELj4294967295EEENS1_25partition_config_selectorILNS1_17partition_subalgoE3EjNS0_10empty_typeEbEEZZNS1_14partition_implILS8_3ELb0ES6_jNS0_17counting_iteratorIjlEEPS9_SE_NS0_5tupleIJPjSE_EEENSF_IJSE_SE_EEES9_SG_JZNS1_25segmented_radix_sort_implINS0_14default_configELb1EPKiPiPKlPlN2at6native12_GLOBAL__N_18offset_tEEE10hipError_tPvRmT1_PNSt15iterator_traitsISY_E10value_typeET2_T3_PNSZ_IS14_E10value_typeET4_jRbjT5_S1A_jjP12ihipStream_tbEUljE_EEESV_SW_SX_S14_S18_S1A_T6_T7_T9_mT8_S1C_bDpT10_ENKUlT_T0_E_clISt17integral_constantIbLb1EES1P_EEDaS1K_S1L_EUlS1K_E_NS1_11comp_targetILNS1_3genE8ELNS1_11target_archE1030ELNS1_3gpuE2ELNS1_3repE0EEENS1_30default_config_static_selectorELNS0_4arch9wavefront6targetE0EEEvSY_.kd
    .uniform_work_group_size: 1
    .uses_dynamic_stack: false
    .vgpr_count:     0
    .vgpr_spill_count: 0
    .wavefront_size: 32
    .workgroup_processor_mode: 1
  - .args:
      - .offset:         0
        .size:           144
        .value_kind:     by_value
    .group_segment_fixed_size: 0
    .kernarg_segment_align: 8
    .kernarg_segment_size: 144
    .language:       OpenCL C
    .language_version:
      - 2
      - 0
    .max_flat_workgroup_size: 256
    .name:           _ZN7rocprim17ROCPRIM_400000_NS6detail17trampoline_kernelINS0_13select_configILj256ELj13ELNS0_17block_load_methodE3ELS4_3ELS4_3ELNS0_20block_scan_algorithmE0ELj4294967295EEENS1_25partition_config_selectorILNS1_17partition_subalgoE3EjNS0_10empty_typeEbEEZZNS1_14partition_implILS8_3ELb0ES6_jNS0_17counting_iteratorIjlEEPS9_SE_NS0_5tupleIJPjSE_EEENSF_IJSE_SE_EEES9_SG_JZNS1_25segmented_radix_sort_implINS0_14default_configELb1EPKiPiPKlPlN2at6native12_GLOBAL__N_18offset_tEEE10hipError_tPvRmT1_PNSt15iterator_traitsISY_E10value_typeET2_T3_PNSZ_IS14_E10value_typeET4_jRbjT5_S1A_jjP12ihipStream_tbEUljE_EEESV_SW_SX_S14_S18_S1A_T6_T7_T9_mT8_S1C_bDpT10_ENKUlT_T0_E_clISt17integral_constantIbLb1EES1O_IbLb0EEEEDaS1K_S1L_EUlS1K_E_NS1_11comp_targetILNS1_3genE0ELNS1_11target_archE4294967295ELNS1_3gpuE0ELNS1_3repE0EEENS1_30default_config_static_selectorELNS0_4arch9wavefront6targetE0EEEvSY_
    .private_segment_fixed_size: 0
    .sgpr_count:     0
    .sgpr_spill_count: 0
    .symbol:         _ZN7rocprim17ROCPRIM_400000_NS6detail17trampoline_kernelINS0_13select_configILj256ELj13ELNS0_17block_load_methodE3ELS4_3ELS4_3ELNS0_20block_scan_algorithmE0ELj4294967295EEENS1_25partition_config_selectorILNS1_17partition_subalgoE3EjNS0_10empty_typeEbEEZZNS1_14partition_implILS8_3ELb0ES6_jNS0_17counting_iteratorIjlEEPS9_SE_NS0_5tupleIJPjSE_EEENSF_IJSE_SE_EEES9_SG_JZNS1_25segmented_radix_sort_implINS0_14default_configELb1EPKiPiPKlPlN2at6native12_GLOBAL__N_18offset_tEEE10hipError_tPvRmT1_PNSt15iterator_traitsISY_E10value_typeET2_T3_PNSZ_IS14_E10value_typeET4_jRbjT5_S1A_jjP12ihipStream_tbEUljE_EEESV_SW_SX_S14_S18_S1A_T6_T7_T9_mT8_S1C_bDpT10_ENKUlT_T0_E_clISt17integral_constantIbLb1EES1O_IbLb0EEEEDaS1K_S1L_EUlS1K_E_NS1_11comp_targetILNS1_3genE0ELNS1_11target_archE4294967295ELNS1_3gpuE0ELNS1_3repE0EEENS1_30default_config_static_selectorELNS0_4arch9wavefront6targetE0EEEvSY_.kd
    .uniform_work_group_size: 1
    .uses_dynamic_stack: false
    .vgpr_count:     0
    .vgpr_spill_count: 0
    .wavefront_size: 32
    .workgroup_processor_mode: 1
  - .args:
      - .offset:         0
        .size:           144
        .value_kind:     by_value
    .group_segment_fixed_size: 0
    .kernarg_segment_align: 8
    .kernarg_segment_size: 144
    .language:       OpenCL C
    .language_version:
      - 2
      - 0
    .max_flat_workgroup_size: 256
    .name:           _ZN7rocprim17ROCPRIM_400000_NS6detail17trampoline_kernelINS0_13select_configILj256ELj13ELNS0_17block_load_methodE3ELS4_3ELS4_3ELNS0_20block_scan_algorithmE0ELj4294967295EEENS1_25partition_config_selectorILNS1_17partition_subalgoE3EjNS0_10empty_typeEbEEZZNS1_14partition_implILS8_3ELb0ES6_jNS0_17counting_iteratorIjlEEPS9_SE_NS0_5tupleIJPjSE_EEENSF_IJSE_SE_EEES9_SG_JZNS1_25segmented_radix_sort_implINS0_14default_configELb1EPKiPiPKlPlN2at6native12_GLOBAL__N_18offset_tEEE10hipError_tPvRmT1_PNSt15iterator_traitsISY_E10value_typeET2_T3_PNSZ_IS14_E10value_typeET4_jRbjT5_S1A_jjP12ihipStream_tbEUljE_EEESV_SW_SX_S14_S18_S1A_T6_T7_T9_mT8_S1C_bDpT10_ENKUlT_T0_E_clISt17integral_constantIbLb1EES1O_IbLb0EEEEDaS1K_S1L_EUlS1K_E_NS1_11comp_targetILNS1_3genE5ELNS1_11target_archE942ELNS1_3gpuE9ELNS1_3repE0EEENS1_30default_config_static_selectorELNS0_4arch9wavefront6targetE0EEEvSY_
    .private_segment_fixed_size: 0
    .sgpr_count:     0
    .sgpr_spill_count: 0
    .symbol:         _ZN7rocprim17ROCPRIM_400000_NS6detail17trampoline_kernelINS0_13select_configILj256ELj13ELNS0_17block_load_methodE3ELS4_3ELS4_3ELNS0_20block_scan_algorithmE0ELj4294967295EEENS1_25partition_config_selectorILNS1_17partition_subalgoE3EjNS0_10empty_typeEbEEZZNS1_14partition_implILS8_3ELb0ES6_jNS0_17counting_iteratorIjlEEPS9_SE_NS0_5tupleIJPjSE_EEENSF_IJSE_SE_EEES9_SG_JZNS1_25segmented_radix_sort_implINS0_14default_configELb1EPKiPiPKlPlN2at6native12_GLOBAL__N_18offset_tEEE10hipError_tPvRmT1_PNSt15iterator_traitsISY_E10value_typeET2_T3_PNSZ_IS14_E10value_typeET4_jRbjT5_S1A_jjP12ihipStream_tbEUljE_EEESV_SW_SX_S14_S18_S1A_T6_T7_T9_mT8_S1C_bDpT10_ENKUlT_T0_E_clISt17integral_constantIbLb1EES1O_IbLb0EEEEDaS1K_S1L_EUlS1K_E_NS1_11comp_targetILNS1_3genE5ELNS1_11target_archE942ELNS1_3gpuE9ELNS1_3repE0EEENS1_30default_config_static_selectorELNS0_4arch9wavefront6targetE0EEEvSY_.kd
    .uniform_work_group_size: 1
    .uses_dynamic_stack: false
    .vgpr_count:     0
    .vgpr_spill_count: 0
    .wavefront_size: 32
    .workgroup_processor_mode: 1
  - .args:
      - .offset:         0
        .size:           144
        .value_kind:     by_value
    .group_segment_fixed_size: 0
    .kernarg_segment_align: 8
    .kernarg_segment_size: 144
    .language:       OpenCL C
    .language_version:
      - 2
      - 0
    .max_flat_workgroup_size: 256
    .name:           _ZN7rocprim17ROCPRIM_400000_NS6detail17trampoline_kernelINS0_13select_configILj256ELj13ELNS0_17block_load_methodE3ELS4_3ELS4_3ELNS0_20block_scan_algorithmE0ELj4294967295EEENS1_25partition_config_selectorILNS1_17partition_subalgoE3EjNS0_10empty_typeEbEEZZNS1_14partition_implILS8_3ELb0ES6_jNS0_17counting_iteratorIjlEEPS9_SE_NS0_5tupleIJPjSE_EEENSF_IJSE_SE_EEES9_SG_JZNS1_25segmented_radix_sort_implINS0_14default_configELb1EPKiPiPKlPlN2at6native12_GLOBAL__N_18offset_tEEE10hipError_tPvRmT1_PNSt15iterator_traitsISY_E10value_typeET2_T3_PNSZ_IS14_E10value_typeET4_jRbjT5_S1A_jjP12ihipStream_tbEUljE_EEESV_SW_SX_S14_S18_S1A_T6_T7_T9_mT8_S1C_bDpT10_ENKUlT_T0_E_clISt17integral_constantIbLb1EES1O_IbLb0EEEEDaS1K_S1L_EUlS1K_E_NS1_11comp_targetILNS1_3genE4ELNS1_11target_archE910ELNS1_3gpuE8ELNS1_3repE0EEENS1_30default_config_static_selectorELNS0_4arch9wavefront6targetE0EEEvSY_
    .private_segment_fixed_size: 0
    .sgpr_count:     0
    .sgpr_spill_count: 0
    .symbol:         _ZN7rocprim17ROCPRIM_400000_NS6detail17trampoline_kernelINS0_13select_configILj256ELj13ELNS0_17block_load_methodE3ELS4_3ELS4_3ELNS0_20block_scan_algorithmE0ELj4294967295EEENS1_25partition_config_selectorILNS1_17partition_subalgoE3EjNS0_10empty_typeEbEEZZNS1_14partition_implILS8_3ELb0ES6_jNS0_17counting_iteratorIjlEEPS9_SE_NS0_5tupleIJPjSE_EEENSF_IJSE_SE_EEES9_SG_JZNS1_25segmented_radix_sort_implINS0_14default_configELb1EPKiPiPKlPlN2at6native12_GLOBAL__N_18offset_tEEE10hipError_tPvRmT1_PNSt15iterator_traitsISY_E10value_typeET2_T3_PNSZ_IS14_E10value_typeET4_jRbjT5_S1A_jjP12ihipStream_tbEUljE_EEESV_SW_SX_S14_S18_S1A_T6_T7_T9_mT8_S1C_bDpT10_ENKUlT_T0_E_clISt17integral_constantIbLb1EES1O_IbLb0EEEEDaS1K_S1L_EUlS1K_E_NS1_11comp_targetILNS1_3genE4ELNS1_11target_archE910ELNS1_3gpuE8ELNS1_3repE0EEENS1_30default_config_static_selectorELNS0_4arch9wavefront6targetE0EEEvSY_.kd
    .uniform_work_group_size: 1
    .uses_dynamic_stack: false
    .vgpr_count:     0
    .vgpr_spill_count: 0
    .wavefront_size: 32
    .workgroup_processor_mode: 1
  - .args:
      - .offset:         0
        .size:           144
        .value_kind:     by_value
    .group_segment_fixed_size: 0
    .kernarg_segment_align: 8
    .kernarg_segment_size: 144
    .language:       OpenCL C
    .language_version:
      - 2
      - 0
    .max_flat_workgroup_size: 256
    .name:           _ZN7rocprim17ROCPRIM_400000_NS6detail17trampoline_kernelINS0_13select_configILj256ELj13ELNS0_17block_load_methodE3ELS4_3ELS4_3ELNS0_20block_scan_algorithmE0ELj4294967295EEENS1_25partition_config_selectorILNS1_17partition_subalgoE3EjNS0_10empty_typeEbEEZZNS1_14partition_implILS8_3ELb0ES6_jNS0_17counting_iteratorIjlEEPS9_SE_NS0_5tupleIJPjSE_EEENSF_IJSE_SE_EEES9_SG_JZNS1_25segmented_radix_sort_implINS0_14default_configELb1EPKiPiPKlPlN2at6native12_GLOBAL__N_18offset_tEEE10hipError_tPvRmT1_PNSt15iterator_traitsISY_E10value_typeET2_T3_PNSZ_IS14_E10value_typeET4_jRbjT5_S1A_jjP12ihipStream_tbEUljE_EEESV_SW_SX_S14_S18_S1A_T6_T7_T9_mT8_S1C_bDpT10_ENKUlT_T0_E_clISt17integral_constantIbLb1EES1O_IbLb0EEEEDaS1K_S1L_EUlS1K_E_NS1_11comp_targetILNS1_3genE3ELNS1_11target_archE908ELNS1_3gpuE7ELNS1_3repE0EEENS1_30default_config_static_selectorELNS0_4arch9wavefront6targetE0EEEvSY_
    .private_segment_fixed_size: 0
    .sgpr_count:     0
    .sgpr_spill_count: 0
    .symbol:         _ZN7rocprim17ROCPRIM_400000_NS6detail17trampoline_kernelINS0_13select_configILj256ELj13ELNS0_17block_load_methodE3ELS4_3ELS4_3ELNS0_20block_scan_algorithmE0ELj4294967295EEENS1_25partition_config_selectorILNS1_17partition_subalgoE3EjNS0_10empty_typeEbEEZZNS1_14partition_implILS8_3ELb0ES6_jNS0_17counting_iteratorIjlEEPS9_SE_NS0_5tupleIJPjSE_EEENSF_IJSE_SE_EEES9_SG_JZNS1_25segmented_radix_sort_implINS0_14default_configELb1EPKiPiPKlPlN2at6native12_GLOBAL__N_18offset_tEEE10hipError_tPvRmT1_PNSt15iterator_traitsISY_E10value_typeET2_T3_PNSZ_IS14_E10value_typeET4_jRbjT5_S1A_jjP12ihipStream_tbEUljE_EEESV_SW_SX_S14_S18_S1A_T6_T7_T9_mT8_S1C_bDpT10_ENKUlT_T0_E_clISt17integral_constantIbLb1EES1O_IbLb0EEEEDaS1K_S1L_EUlS1K_E_NS1_11comp_targetILNS1_3genE3ELNS1_11target_archE908ELNS1_3gpuE7ELNS1_3repE0EEENS1_30default_config_static_selectorELNS0_4arch9wavefront6targetE0EEEvSY_.kd
    .uniform_work_group_size: 1
    .uses_dynamic_stack: false
    .vgpr_count:     0
    .vgpr_spill_count: 0
    .wavefront_size: 32
    .workgroup_processor_mode: 1
  - .args:
      - .offset:         0
        .size:           144
        .value_kind:     by_value
    .group_segment_fixed_size: 0
    .kernarg_segment_align: 8
    .kernarg_segment_size: 144
    .language:       OpenCL C
    .language_version:
      - 2
      - 0
    .max_flat_workgroup_size: 256
    .name:           _ZN7rocprim17ROCPRIM_400000_NS6detail17trampoline_kernelINS0_13select_configILj256ELj13ELNS0_17block_load_methodE3ELS4_3ELS4_3ELNS0_20block_scan_algorithmE0ELj4294967295EEENS1_25partition_config_selectorILNS1_17partition_subalgoE3EjNS0_10empty_typeEbEEZZNS1_14partition_implILS8_3ELb0ES6_jNS0_17counting_iteratorIjlEEPS9_SE_NS0_5tupleIJPjSE_EEENSF_IJSE_SE_EEES9_SG_JZNS1_25segmented_radix_sort_implINS0_14default_configELb1EPKiPiPKlPlN2at6native12_GLOBAL__N_18offset_tEEE10hipError_tPvRmT1_PNSt15iterator_traitsISY_E10value_typeET2_T3_PNSZ_IS14_E10value_typeET4_jRbjT5_S1A_jjP12ihipStream_tbEUljE_EEESV_SW_SX_S14_S18_S1A_T6_T7_T9_mT8_S1C_bDpT10_ENKUlT_T0_E_clISt17integral_constantIbLb1EES1O_IbLb0EEEEDaS1K_S1L_EUlS1K_E_NS1_11comp_targetILNS1_3genE2ELNS1_11target_archE906ELNS1_3gpuE6ELNS1_3repE0EEENS1_30default_config_static_selectorELNS0_4arch9wavefront6targetE0EEEvSY_
    .private_segment_fixed_size: 0
    .sgpr_count:     0
    .sgpr_spill_count: 0
    .symbol:         _ZN7rocprim17ROCPRIM_400000_NS6detail17trampoline_kernelINS0_13select_configILj256ELj13ELNS0_17block_load_methodE3ELS4_3ELS4_3ELNS0_20block_scan_algorithmE0ELj4294967295EEENS1_25partition_config_selectorILNS1_17partition_subalgoE3EjNS0_10empty_typeEbEEZZNS1_14partition_implILS8_3ELb0ES6_jNS0_17counting_iteratorIjlEEPS9_SE_NS0_5tupleIJPjSE_EEENSF_IJSE_SE_EEES9_SG_JZNS1_25segmented_radix_sort_implINS0_14default_configELb1EPKiPiPKlPlN2at6native12_GLOBAL__N_18offset_tEEE10hipError_tPvRmT1_PNSt15iterator_traitsISY_E10value_typeET2_T3_PNSZ_IS14_E10value_typeET4_jRbjT5_S1A_jjP12ihipStream_tbEUljE_EEESV_SW_SX_S14_S18_S1A_T6_T7_T9_mT8_S1C_bDpT10_ENKUlT_T0_E_clISt17integral_constantIbLb1EES1O_IbLb0EEEEDaS1K_S1L_EUlS1K_E_NS1_11comp_targetILNS1_3genE2ELNS1_11target_archE906ELNS1_3gpuE6ELNS1_3repE0EEENS1_30default_config_static_selectorELNS0_4arch9wavefront6targetE0EEEvSY_.kd
    .uniform_work_group_size: 1
    .uses_dynamic_stack: false
    .vgpr_count:     0
    .vgpr_spill_count: 0
    .wavefront_size: 32
    .workgroup_processor_mode: 1
  - .args:
      - .offset:         0
        .size:           144
        .value_kind:     by_value
    .group_segment_fixed_size: 0
    .kernarg_segment_align: 8
    .kernarg_segment_size: 144
    .language:       OpenCL C
    .language_version:
      - 2
      - 0
    .max_flat_workgroup_size: 256
    .name:           _ZN7rocprim17ROCPRIM_400000_NS6detail17trampoline_kernelINS0_13select_configILj256ELj13ELNS0_17block_load_methodE3ELS4_3ELS4_3ELNS0_20block_scan_algorithmE0ELj4294967295EEENS1_25partition_config_selectorILNS1_17partition_subalgoE3EjNS0_10empty_typeEbEEZZNS1_14partition_implILS8_3ELb0ES6_jNS0_17counting_iteratorIjlEEPS9_SE_NS0_5tupleIJPjSE_EEENSF_IJSE_SE_EEES9_SG_JZNS1_25segmented_radix_sort_implINS0_14default_configELb1EPKiPiPKlPlN2at6native12_GLOBAL__N_18offset_tEEE10hipError_tPvRmT1_PNSt15iterator_traitsISY_E10value_typeET2_T3_PNSZ_IS14_E10value_typeET4_jRbjT5_S1A_jjP12ihipStream_tbEUljE_EEESV_SW_SX_S14_S18_S1A_T6_T7_T9_mT8_S1C_bDpT10_ENKUlT_T0_E_clISt17integral_constantIbLb1EES1O_IbLb0EEEEDaS1K_S1L_EUlS1K_E_NS1_11comp_targetILNS1_3genE10ELNS1_11target_archE1200ELNS1_3gpuE4ELNS1_3repE0EEENS1_30default_config_static_selectorELNS0_4arch9wavefront6targetE0EEEvSY_
    .private_segment_fixed_size: 0
    .sgpr_count:     0
    .sgpr_spill_count: 0
    .symbol:         _ZN7rocprim17ROCPRIM_400000_NS6detail17trampoline_kernelINS0_13select_configILj256ELj13ELNS0_17block_load_methodE3ELS4_3ELS4_3ELNS0_20block_scan_algorithmE0ELj4294967295EEENS1_25partition_config_selectorILNS1_17partition_subalgoE3EjNS0_10empty_typeEbEEZZNS1_14partition_implILS8_3ELb0ES6_jNS0_17counting_iteratorIjlEEPS9_SE_NS0_5tupleIJPjSE_EEENSF_IJSE_SE_EEES9_SG_JZNS1_25segmented_radix_sort_implINS0_14default_configELb1EPKiPiPKlPlN2at6native12_GLOBAL__N_18offset_tEEE10hipError_tPvRmT1_PNSt15iterator_traitsISY_E10value_typeET2_T3_PNSZ_IS14_E10value_typeET4_jRbjT5_S1A_jjP12ihipStream_tbEUljE_EEESV_SW_SX_S14_S18_S1A_T6_T7_T9_mT8_S1C_bDpT10_ENKUlT_T0_E_clISt17integral_constantIbLb1EES1O_IbLb0EEEEDaS1K_S1L_EUlS1K_E_NS1_11comp_targetILNS1_3genE10ELNS1_11target_archE1200ELNS1_3gpuE4ELNS1_3repE0EEENS1_30default_config_static_selectorELNS0_4arch9wavefront6targetE0EEEvSY_.kd
    .uniform_work_group_size: 1
    .uses_dynamic_stack: false
    .vgpr_count:     0
    .vgpr_spill_count: 0
    .wavefront_size: 32
    .workgroup_processor_mode: 1
  - .args:
      - .offset:         0
        .size:           144
        .value_kind:     by_value
    .group_segment_fixed_size: 0
    .kernarg_segment_align: 8
    .kernarg_segment_size: 144
    .language:       OpenCL C
    .language_version:
      - 2
      - 0
    .max_flat_workgroup_size: 256
    .name:           _ZN7rocprim17ROCPRIM_400000_NS6detail17trampoline_kernelINS0_13select_configILj256ELj13ELNS0_17block_load_methodE3ELS4_3ELS4_3ELNS0_20block_scan_algorithmE0ELj4294967295EEENS1_25partition_config_selectorILNS1_17partition_subalgoE3EjNS0_10empty_typeEbEEZZNS1_14partition_implILS8_3ELb0ES6_jNS0_17counting_iteratorIjlEEPS9_SE_NS0_5tupleIJPjSE_EEENSF_IJSE_SE_EEES9_SG_JZNS1_25segmented_radix_sort_implINS0_14default_configELb1EPKiPiPKlPlN2at6native12_GLOBAL__N_18offset_tEEE10hipError_tPvRmT1_PNSt15iterator_traitsISY_E10value_typeET2_T3_PNSZ_IS14_E10value_typeET4_jRbjT5_S1A_jjP12ihipStream_tbEUljE_EEESV_SW_SX_S14_S18_S1A_T6_T7_T9_mT8_S1C_bDpT10_ENKUlT_T0_E_clISt17integral_constantIbLb1EES1O_IbLb0EEEEDaS1K_S1L_EUlS1K_E_NS1_11comp_targetILNS1_3genE9ELNS1_11target_archE1100ELNS1_3gpuE3ELNS1_3repE0EEENS1_30default_config_static_selectorELNS0_4arch9wavefront6targetE0EEEvSY_
    .private_segment_fixed_size: 0
    .sgpr_count:     0
    .sgpr_spill_count: 0
    .symbol:         _ZN7rocprim17ROCPRIM_400000_NS6detail17trampoline_kernelINS0_13select_configILj256ELj13ELNS0_17block_load_methodE3ELS4_3ELS4_3ELNS0_20block_scan_algorithmE0ELj4294967295EEENS1_25partition_config_selectorILNS1_17partition_subalgoE3EjNS0_10empty_typeEbEEZZNS1_14partition_implILS8_3ELb0ES6_jNS0_17counting_iteratorIjlEEPS9_SE_NS0_5tupleIJPjSE_EEENSF_IJSE_SE_EEES9_SG_JZNS1_25segmented_radix_sort_implINS0_14default_configELb1EPKiPiPKlPlN2at6native12_GLOBAL__N_18offset_tEEE10hipError_tPvRmT1_PNSt15iterator_traitsISY_E10value_typeET2_T3_PNSZ_IS14_E10value_typeET4_jRbjT5_S1A_jjP12ihipStream_tbEUljE_EEESV_SW_SX_S14_S18_S1A_T6_T7_T9_mT8_S1C_bDpT10_ENKUlT_T0_E_clISt17integral_constantIbLb1EES1O_IbLb0EEEEDaS1K_S1L_EUlS1K_E_NS1_11comp_targetILNS1_3genE9ELNS1_11target_archE1100ELNS1_3gpuE3ELNS1_3repE0EEENS1_30default_config_static_selectorELNS0_4arch9wavefront6targetE0EEEvSY_.kd
    .uniform_work_group_size: 1
    .uses_dynamic_stack: false
    .vgpr_count:     0
    .vgpr_spill_count: 0
    .wavefront_size: 32
    .workgroup_processor_mode: 1
  - .args:
      - .offset:         0
        .size:           144
        .value_kind:     by_value
    .group_segment_fixed_size: 0
    .kernarg_segment_align: 8
    .kernarg_segment_size: 144
    .language:       OpenCL C
    .language_version:
      - 2
      - 0
    .max_flat_workgroup_size: 256
    .name:           _ZN7rocprim17ROCPRIM_400000_NS6detail17trampoline_kernelINS0_13select_configILj256ELj13ELNS0_17block_load_methodE3ELS4_3ELS4_3ELNS0_20block_scan_algorithmE0ELj4294967295EEENS1_25partition_config_selectorILNS1_17partition_subalgoE3EjNS0_10empty_typeEbEEZZNS1_14partition_implILS8_3ELb0ES6_jNS0_17counting_iteratorIjlEEPS9_SE_NS0_5tupleIJPjSE_EEENSF_IJSE_SE_EEES9_SG_JZNS1_25segmented_radix_sort_implINS0_14default_configELb1EPKiPiPKlPlN2at6native12_GLOBAL__N_18offset_tEEE10hipError_tPvRmT1_PNSt15iterator_traitsISY_E10value_typeET2_T3_PNSZ_IS14_E10value_typeET4_jRbjT5_S1A_jjP12ihipStream_tbEUljE_EEESV_SW_SX_S14_S18_S1A_T6_T7_T9_mT8_S1C_bDpT10_ENKUlT_T0_E_clISt17integral_constantIbLb1EES1O_IbLb0EEEEDaS1K_S1L_EUlS1K_E_NS1_11comp_targetILNS1_3genE8ELNS1_11target_archE1030ELNS1_3gpuE2ELNS1_3repE0EEENS1_30default_config_static_selectorELNS0_4arch9wavefront6targetE0EEEvSY_
    .private_segment_fixed_size: 0
    .sgpr_count:     0
    .sgpr_spill_count: 0
    .symbol:         _ZN7rocprim17ROCPRIM_400000_NS6detail17trampoline_kernelINS0_13select_configILj256ELj13ELNS0_17block_load_methodE3ELS4_3ELS4_3ELNS0_20block_scan_algorithmE0ELj4294967295EEENS1_25partition_config_selectorILNS1_17partition_subalgoE3EjNS0_10empty_typeEbEEZZNS1_14partition_implILS8_3ELb0ES6_jNS0_17counting_iteratorIjlEEPS9_SE_NS0_5tupleIJPjSE_EEENSF_IJSE_SE_EEES9_SG_JZNS1_25segmented_radix_sort_implINS0_14default_configELb1EPKiPiPKlPlN2at6native12_GLOBAL__N_18offset_tEEE10hipError_tPvRmT1_PNSt15iterator_traitsISY_E10value_typeET2_T3_PNSZ_IS14_E10value_typeET4_jRbjT5_S1A_jjP12ihipStream_tbEUljE_EEESV_SW_SX_S14_S18_S1A_T6_T7_T9_mT8_S1C_bDpT10_ENKUlT_T0_E_clISt17integral_constantIbLb1EES1O_IbLb0EEEEDaS1K_S1L_EUlS1K_E_NS1_11comp_targetILNS1_3genE8ELNS1_11target_archE1030ELNS1_3gpuE2ELNS1_3repE0EEENS1_30default_config_static_selectorELNS0_4arch9wavefront6targetE0EEEvSY_.kd
    .uniform_work_group_size: 1
    .uses_dynamic_stack: false
    .vgpr_count:     0
    .vgpr_spill_count: 0
    .wavefront_size: 32
    .workgroup_processor_mode: 1
  - .args:
      - .offset:         0
        .size:           152
        .value_kind:     by_value
    .group_segment_fixed_size: 0
    .kernarg_segment_align: 8
    .kernarg_segment_size: 152
    .language:       OpenCL C
    .language_version:
      - 2
      - 0
    .max_flat_workgroup_size: 256
    .name:           _ZN7rocprim17ROCPRIM_400000_NS6detail17trampoline_kernelINS0_13select_configILj256ELj13ELNS0_17block_load_methodE3ELS4_3ELS4_3ELNS0_20block_scan_algorithmE0ELj4294967295EEENS1_25partition_config_selectorILNS1_17partition_subalgoE3EjNS0_10empty_typeEbEEZZNS1_14partition_implILS8_3ELb0ES6_jNS0_17counting_iteratorIjlEEPS9_SE_NS0_5tupleIJPjSE_EEENSF_IJSE_SE_EEES9_SG_JZNS1_25segmented_radix_sort_implINS0_14default_configELb1EPKiPiPKlPlN2at6native12_GLOBAL__N_18offset_tEEE10hipError_tPvRmT1_PNSt15iterator_traitsISY_E10value_typeET2_T3_PNSZ_IS14_E10value_typeET4_jRbjT5_S1A_jjP12ihipStream_tbEUljE_EEESV_SW_SX_S14_S18_S1A_T6_T7_T9_mT8_S1C_bDpT10_ENKUlT_T0_E_clISt17integral_constantIbLb0EES1O_IbLb1EEEEDaS1K_S1L_EUlS1K_E_NS1_11comp_targetILNS1_3genE0ELNS1_11target_archE4294967295ELNS1_3gpuE0ELNS1_3repE0EEENS1_30default_config_static_selectorELNS0_4arch9wavefront6targetE0EEEvSY_
    .private_segment_fixed_size: 0
    .sgpr_count:     0
    .sgpr_spill_count: 0
    .symbol:         _ZN7rocprim17ROCPRIM_400000_NS6detail17trampoline_kernelINS0_13select_configILj256ELj13ELNS0_17block_load_methodE3ELS4_3ELS4_3ELNS0_20block_scan_algorithmE0ELj4294967295EEENS1_25partition_config_selectorILNS1_17partition_subalgoE3EjNS0_10empty_typeEbEEZZNS1_14partition_implILS8_3ELb0ES6_jNS0_17counting_iteratorIjlEEPS9_SE_NS0_5tupleIJPjSE_EEENSF_IJSE_SE_EEES9_SG_JZNS1_25segmented_radix_sort_implINS0_14default_configELb1EPKiPiPKlPlN2at6native12_GLOBAL__N_18offset_tEEE10hipError_tPvRmT1_PNSt15iterator_traitsISY_E10value_typeET2_T3_PNSZ_IS14_E10value_typeET4_jRbjT5_S1A_jjP12ihipStream_tbEUljE_EEESV_SW_SX_S14_S18_S1A_T6_T7_T9_mT8_S1C_bDpT10_ENKUlT_T0_E_clISt17integral_constantIbLb0EES1O_IbLb1EEEEDaS1K_S1L_EUlS1K_E_NS1_11comp_targetILNS1_3genE0ELNS1_11target_archE4294967295ELNS1_3gpuE0ELNS1_3repE0EEENS1_30default_config_static_selectorELNS0_4arch9wavefront6targetE0EEEvSY_.kd
    .uniform_work_group_size: 1
    .uses_dynamic_stack: false
    .vgpr_count:     0
    .vgpr_spill_count: 0
    .wavefront_size: 32
    .workgroup_processor_mode: 1
  - .args:
      - .offset:         0
        .size:           152
        .value_kind:     by_value
    .group_segment_fixed_size: 0
    .kernarg_segment_align: 8
    .kernarg_segment_size: 152
    .language:       OpenCL C
    .language_version:
      - 2
      - 0
    .max_flat_workgroup_size: 256
    .name:           _ZN7rocprim17ROCPRIM_400000_NS6detail17trampoline_kernelINS0_13select_configILj256ELj13ELNS0_17block_load_methodE3ELS4_3ELS4_3ELNS0_20block_scan_algorithmE0ELj4294967295EEENS1_25partition_config_selectorILNS1_17partition_subalgoE3EjNS0_10empty_typeEbEEZZNS1_14partition_implILS8_3ELb0ES6_jNS0_17counting_iteratorIjlEEPS9_SE_NS0_5tupleIJPjSE_EEENSF_IJSE_SE_EEES9_SG_JZNS1_25segmented_radix_sort_implINS0_14default_configELb1EPKiPiPKlPlN2at6native12_GLOBAL__N_18offset_tEEE10hipError_tPvRmT1_PNSt15iterator_traitsISY_E10value_typeET2_T3_PNSZ_IS14_E10value_typeET4_jRbjT5_S1A_jjP12ihipStream_tbEUljE_EEESV_SW_SX_S14_S18_S1A_T6_T7_T9_mT8_S1C_bDpT10_ENKUlT_T0_E_clISt17integral_constantIbLb0EES1O_IbLb1EEEEDaS1K_S1L_EUlS1K_E_NS1_11comp_targetILNS1_3genE5ELNS1_11target_archE942ELNS1_3gpuE9ELNS1_3repE0EEENS1_30default_config_static_selectorELNS0_4arch9wavefront6targetE0EEEvSY_
    .private_segment_fixed_size: 0
    .sgpr_count:     0
    .sgpr_spill_count: 0
    .symbol:         _ZN7rocprim17ROCPRIM_400000_NS6detail17trampoline_kernelINS0_13select_configILj256ELj13ELNS0_17block_load_methodE3ELS4_3ELS4_3ELNS0_20block_scan_algorithmE0ELj4294967295EEENS1_25partition_config_selectorILNS1_17partition_subalgoE3EjNS0_10empty_typeEbEEZZNS1_14partition_implILS8_3ELb0ES6_jNS0_17counting_iteratorIjlEEPS9_SE_NS0_5tupleIJPjSE_EEENSF_IJSE_SE_EEES9_SG_JZNS1_25segmented_radix_sort_implINS0_14default_configELb1EPKiPiPKlPlN2at6native12_GLOBAL__N_18offset_tEEE10hipError_tPvRmT1_PNSt15iterator_traitsISY_E10value_typeET2_T3_PNSZ_IS14_E10value_typeET4_jRbjT5_S1A_jjP12ihipStream_tbEUljE_EEESV_SW_SX_S14_S18_S1A_T6_T7_T9_mT8_S1C_bDpT10_ENKUlT_T0_E_clISt17integral_constantIbLb0EES1O_IbLb1EEEEDaS1K_S1L_EUlS1K_E_NS1_11comp_targetILNS1_3genE5ELNS1_11target_archE942ELNS1_3gpuE9ELNS1_3repE0EEENS1_30default_config_static_selectorELNS0_4arch9wavefront6targetE0EEEvSY_.kd
    .uniform_work_group_size: 1
    .uses_dynamic_stack: false
    .vgpr_count:     0
    .vgpr_spill_count: 0
    .wavefront_size: 32
    .workgroup_processor_mode: 1
  - .args:
      - .offset:         0
        .size:           152
        .value_kind:     by_value
    .group_segment_fixed_size: 0
    .kernarg_segment_align: 8
    .kernarg_segment_size: 152
    .language:       OpenCL C
    .language_version:
      - 2
      - 0
    .max_flat_workgroup_size: 256
    .name:           _ZN7rocprim17ROCPRIM_400000_NS6detail17trampoline_kernelINS0_13select_configILj256ELj13ELNS0_17block_load_methodE3ELS4_3ELS4_3ELNS0_20block_scan_algorithmE0ELj4294967295EEENS1_25partition_config_selectorILNS1_17partition_subalgoE3EjNS0_10empty_typeEbEEZZNS1_14partition_implILS8_3ELb0ES6_jNS0_17counting_iteratorIjlEEPS9_SE_NS0_5tupleIJPjSE_EEENSF_IJSE_SE_EEES9_SG_JZNS1_25segmented_radix_sort_implINS0_14default_configELb1EPKiPiPKlPlN2at6native12_GLOBAL__N_18offset_tEEE10hipError_tPvRmT1_PNSt15iterator_traitsISY_E10value_typeET2_T3_PNSZ_IS14_E10value_typeET4_jRbjT5_S1A_jjP12ihipStream_tbEUljE_EEESV_SW_SX_S14_S18_S1A_T6_T7_T9_mT8_S1C_bDpT10_ENKUlT_T0_E_clISt17integral_constantIbLb0EES1O_IbLb1EEEEDaS1K_S1L_EUlS1K_E_NS1_11comp_targetILNS1_3genE4ELNS1_11target_archE910ELNS1_3gpuE8ELNS1_3repE0EEENS1_30default_config_static_selectorELNS0_4arch9wavefront6targetE0EEEvSY_
    .private_segment_fixed_size: 0
    .sgpr_count:     0
    .sgpr_spill_count: 0
    .symbol:         _ZN7rocprim17ROCPRIM_400000_NS6detail17trampoline_kernelINS0_13select_configILj256ELj13ELNS0_17block_load_methodE3ELS4_3ELS4_3ELNS0_20block_scan_algorithmE0ELj4294967295EEENS1_25partition_config_selectorILNS1_17partition_subalgoE3EjNS0_10empty_typeEbEEZZNS1_14partition_implILS8_3ELb0ES6_jNS0_17counting_iteratorIjlEEPS9_SE_NS0_5tupleIJPjSE_EEENSF_IJSE_SE_EEES9_SG_JZNS1_25segmented_radix_sort_implINS0_14default_configELb1EPKiPiPKlPlN2at6native12_GLOBAL__N_18offset_tEEE10hipError_tPvRmT1_PNSt15iterator_traitsISY_E10value_typeET2_T3_PNSZ_IS14_E10value_typeET4_jRbjT5_S1A_jjP12ihipStream_tbEUljE_EEESV_SW_SX_S14_S18_S1A_T6_T7_T9_mT8_S1C_bDpT10_ENKUlT_T0_E_clISt17integral_constantIbLb0EES1O_IbLb1EEEEDaS1K_S1L_EUlS1K_E_NS1_11comp_targetILNS1_3genE4ELNS1_11target_archE910ELNS1_3gpuE8ELNS1_3repE0EEENS1_30default_config_static_selectorELNS0_4arch9wavefront6targetE0EEEvSY_.kd
    .uniform_work_group_size: 1
    .uses_dynamic_stack: false
    .vgpr_count:     0
    .vgpr_spill_count: 0
    .wavefront_size: 32
    .workgroup_processor_mode: 1
  - .args:
      - .offset:         0
        .size:           152
        .value_kind:     by_value
    .group_segment_fixed_size: 0
    .kernarg_segment_align: 8
    .kernarg_segment_size: 152
    .language:       OpenCL C
    .language_version:
      - 2
      - 0
    .max_flat_workgroup_size: 256
    .name:           _ZN7rocprim17ROCPRIM_400000_NS6detail17trampoline_kernelINS0_13select_configILj256ELj13ELNS0_17block_load_methodE3ELS4_3ELS4_3ELNS0_20block_scan_algorithmE0ELj4294967295EEENS1_25partition_config_selectorILNS1_17partition_subalgoE3EjNS0_10empty_typeEbEEZZNS1_14partition_implILS8_3ELb0ES6_jNS0_17counting_iteratorIjlEEPS9_SE_NS0_5tupleIJPjSE_EEENSF_IJSE_SE_EEES9_SG_JZNS1_25segmented_radix_sort_implINS0_14default_configELb1EPKiPiPKlPlN2at6native12_GLOBAL__N_18offset_tEEE10hipError_tPvRmT1_PNSt15iterator_traitsISY_E10value_typeET2_T3_PNSZ_IS14_E10value_typeET4_jRbjT5_S1A_jjP12ihipStream_tbEUljE_EEESV_SW_SX_S14_S18_S1A_T6_T7_T9_mT8_S1C_bDpT10_ENKUlT_T0_E_clISt17integral_constantIbLb0EES1O_IbLb1EEEEDaS1K_S1L_EUlS1K_E_NS1_11comp_targetILNS1_3genE3ELNS1_11target_archE908ELNS1_3gpuE7ELNS1_3repE0EEENS1_30default_config_static_selectorELNS0_4arch9wavefront6targetE0EEEvSY_
    .private_segment_fixed_size: 0
    .sgpr_count:     0
    .sgpr_spill_count: 0
    .symbol:         _ZN7rocprim17ROCPRIM_400000_NS6detail17trampoline_kernelINS0_13select_configILj256ELj13ELNS0_17block_load_methodE3ELS4_3ELS4_3ELNS0_20block_scan_algorithmE0ELj4294967295EEENS1_25partition_config_selectorILNS1_17partition_subalgoE3EjNS0_10empty_typeEbEEZZNS1_14partition_implILS8_3ELb0ES6_jNS0_17counting_iteratorIjlEEPS9_SE_NS0_5tupleIJPjSE_EEENSF_IJSE_SE_EEES9_SG_JZNS1_25segmented_radix_sort_implINS0_14default_configELb1EPKiPiPKlPlN2at6native12_GLOBAL__N_18offset_tEEE10hipError_tPvRmT1_PNSt15iterator_traitsISY_E10value_typeET2_T3_PNSZ_IS14_E10value_typeET4_jRbjT5_S1A_jjP12ihipStream_tbEUljE_EEESV_SW_SX_S14_S18_S1A_T6_T7_T9_mT8_S1C_bDpT10_ENKUlT_T0_E_clISt17integral_constantIbLb0EES1O_IbLb1EEEEDaS1K_S1L_EUlS1K_E_NS1_11comp_targetILNS1_3genE3ELNS1_11target_archE908ELNS1_3gpuE7ELNS1_3repE0EEENS1_30default_config_static_selectorELNS0_4arch9wavefront6targetE0EEEvSY_.kd
    .uniform_work_group_size: 1
    .uses_dynamic_stack: false
    .vgpr_count:     0
    .vgpr_spill_count: 0
    .wavefront_size: 32
    .workgroup_processor_mode: 1
  - .args:
      - .offset:         0
        .size:           152
        .value_kind:     by_value
    .group_segment_fixed_size: 0
    .kernarg_segment_align: 8
    .kernarg_segment_size: 152
    .language:       OpenCL C
    .language_version:
      - 2
      - 0
    .max_flat_workgroup_size: 256
    .name:           _ZN7rocprim17ROCPRIM_400000_NS6detail17trampoline_kernelINS0_13select_configILj256ELj13ELNS0_17block_load_methodE3ELS4_3ELS4_3ELNS0_20block_scan_algorithmE0ELj4294967295EEENS1_25partition_config_selectorILNS1_17partition_subalgoE3EjNS0_10empty_typeEbEEZZNS1_14partition_implILS8_3ELb0ES6_jNS0_17counting_iteratorIjlEEPS9_SE_NS0_5tupleIJPjSE_EEENSF_IJSE_SE_EEES9_SG_JZNS1_25segmented_radix_sort_implINS0_14default_configELb1EPKiPiPKlPlN2at6native12_GLOBAL__N_18offset_tEEE10hipError_tPvRmT1_PNSt15iterator_traitsISY_E10value_typeET2_T3_PNSZ_IS14_E10value_typeET4_jRbjT5_S1A_jjP12ihipStream_tbEUljE_EEESV_SW_SX_S14_S18_S1A_T6_T7_T9_mT8_S1C_bDpT10_ENKUlT_T0_E_clISt17integral_constantIbLb0EES1O_IbLb1EEEEDaS1K_S1L_EUlS1K_E_NS1_11comp_targetILNS1_3genE2ELNS1_11target_archE906ELNS1_3gpuE6ELNS1_3repE0EEENS1_30default_config_static_selectorELNS0_4arch9wavefront6targetE0EEEvSY_
    .private_segment_fixed_size: 0
    .sgpr_count:     0
    .sgpr_spill_count: 0
    .symbol:         _ZN7rocprim17ROCPRIM_400000_NS6detail17trampoline_kernelINS0_13select_configILj256ELj13ELNS0_17block_load_methodE3ELS4_3ELS4_3ELNS0_20block_scan_algorithmE0ELj4294967295EEENS1_25partition_config_selectorILNS1_17partition_subalgoE3EjNS0_10empty_typeEbEEZZNS1_14partition_implILS8_3ELb0ES6_jNS0_17counting_iteratorIjlEEPS9_SE_NS0_5tupleIJPjSE_EEENSF_IJSE_SE_EEES9_SG_JZNS1_25segmented_radix_sort_implINS0_14default_configELb1EPKiPiPKlPlN2at6native12_GLOBAL__N_18offset_tEEE10hipError_tPvRmT1_PNSt15iterator_traitsISY_E10value_typeET2_T3_PNSZ_IS14_E10value_typeET4_jRbjT5_S1A_jjP12ihipStream_tbEUljE_EEESV_SW_SX_S14_S18_S1A_T6_T7_T9_mT8_S1C_bDpT10_ENKUlT_T0_E_clISt17integral_constantIbLb0EES1O_IbLb1EEEEDaS1K_S1L_EUlS1K_E_NS1_11comp_targetILNS1_3genE2ELNS1_11target_archE906ELNS1_3gpuE6ELNS1_3repE0EEENS1_30default_config_static_selectorELNS0_4arch9wavefront6targetE0EEEvSY_.kd
    .uniform_work_group_size: 1
    .uses_dynamic_stack: false
    .vgpr_count:     0
    .vgpr_spill_count: 0
    .wavefront_size: 32
    .workgroup_processor_mode: 1
  - .args:
      - .offset:         0
        .size:           152
        .value_kind:     by_value
    .group_segment_fixed_size: 13320
    .kernarg_segment_align: 8
    .kernarg_segment_size: 152
    .language:       OpenCL C
    .language_version:
      - 2
      - 0
    .max_flat_workgroup_size: 256
    .name:           _ZN7rocprim17ROCPRIM_400000_NS6detail17trampoline_kernelINS0_13select_configILj256ELj13ELNS0_17block_load_methodE3ELS4_3ELS4_3ELNS0_20block_scan_algorithmE0ELj4294967295EEENS1_25partition_config_selectorILNS1_17partition_subalgoE3EjNS0_10empty_typeEbEEZZNS1_14partition_implILS8_3ELb0ES6_jNS0_17counting_iteratorIjlEEPS9_SE_NS0_5tupleIJPjSE_EEENSF_IJSE_SE_EEES9_SG_JZNS1_25segmented_radix_sort_implINS0_14default_configELb1EPKiPiPKlPlN2at6native12_GLOBAL__N_18offset_tEEE10hipError_tPvRmT1_PNSt15iterator_traitsISY_E10value_typeET2_T3_PNSZ_IS14_E10value_typeET4_jRbjT5_S1A_jjP12ihipStream_tbEUljE_EEESV_SW_SX_S14_S18_S1A_T6_T7_T9_mT8_S1C_bDpT10_ENKUlT_T0_E_clISt17integral_constantIbLb0EES1O_IbLb1EEEEDaS1K_S1L_EUlS1K_E_NS1_11comp_targetILNS1_3genE10ELNS1_11target_archE1200ELNS1_3gpuE4ELNS1_3repE0EEENS1_30default_config_static_selectorELNS0_4arch9wavefront6targetE0EEEvSY_
    .private_segment_fixed_size: 0
    .sgpr_count:     28
    .sgpr_spill_count: 0
    .symbol:         _ZN7rocprim17ROCPRIM_400000_NS6detail17trampoline_kernelINS0_13select_configILj256ELj13ELNS0_17block_load_methodE3ELS4_3ELS4_3ELNS0_20block_scan_algorithmE0ELj4294967295EEENS1_25partition_config_selectorILNS1_17partition_subalgoE3EjNS0_10empty_typeEbEEZZNS1_14partition_implILS8_3ELb0ES6_jNS0_17counting_iteratorIjlEEPS9_SE_NS0_5tupleIJPjSE_EEENSF_IJSE_SE_EEES9_SG_JZNS1_25segmented_radix_sort_implINS0_14default_configELb1EPKiPiPKlPlN2at6native12_GLOBAL__N_18offset_tEEE10hipError_tPvRmT1_PNSt15iterator_traitsISY_E10value_typeET2_T3_PNSZ_IS14_E10value_typeET4_jRbjT5_S1A_jjP12ihipStream_tbEUljE_EEESV_SW_SX_S14_S18_S1A_T6_T7_T9_mT8_S1C_bDpT10_ENKUlT_T0_E_clISt17integral_constantIbLb0EES1O_IbLb1EEEEDaS1K_S1L_EUlS1K_E_NS1_11comp_targetILNS1_3genE10ELNS1_11target_archE1200ELNS1_3gpuE4ELNS1_3repE0EEENS1_30default_config_static_selectorELNS0_4arch9wavefront6targetE0EEEvSY_.kd
    .uniform_work_group_size: 1
    .uses_dynamic_stack: false
    .vgpr_count:     71
    .vgpr_spill_count: 0
    .wavefront_size: 32
    .workgroup_processor_mode: 1
  - .args:
      - .offset:         0
        .size:           152
        .value_kind:     by_value
    .group_segment_fixed_size: 0
    .kernarg_segment_align: 8
    .kernarg_segment_size: 152
    .language:       OpenCL C
    .language_version:
      - 2
      - 0
    .max_flat_workgroup_size: 256
    .name:           _ZN7rocprim17ROCPRIM_400000_NS6detail17trampoline_kernelINS0_13select_configILj256ELj13ELNS0_17block_load_methodE3ELS4_3ELS4_3ELNS0_20block_scan_algorithmE0ELj4294967295EEENS1_25partition_config_selectorILNS1_17partition_subalgoE3EjNS0_10empty_typeEbEEZZNS1_14partition_implILS8_3ELb0ES6_jNS0_17counting_iteratorIjlEEPS9_SE_NS0_5tupleIJPjSE_EEENSF_IJSE_SE_EEES9_SG_JZNS1_25segmented_radix_sort_implINS0_14default_configELb1EPKiPiPKlPlN2at6native12_GLOBAL__N_18offset_tEEE10hipError_tPvRmT1_PNSt15iterator_traitsISY_E10value_typeET2_T3_PNSZ_IS14_E10value_typeET4_jRbjT5_S1A_jjP12ihipStream_tbEUljE_EEESV_SW_SX_S14_S18_S1A_T6_T7_T9_mT8_S1C_bDpT10_ENKUlT_T0_E_clISt17integral_constantIbLb0EES1O_IbLb1EEEEDaS1K_S1L_EUlS1K_E_NS1_11comp_targetILNS1_3genE9ELNS1_11target_archE1100ELNS1_3gpuE3ELNS1_3repE0EEENS1_30default_config_static_selectorELNS0_4arch9wavefront6targetE0EEEvSY_
    .private_segment_fixed_size: 0
    .sgpr_count:     0
    .sgpr_spill_count: 0
    .symbol:         _ZN7rocprim17ROCPRIM_400000_NS6detail17trampoline_kernelINS0_13select_configILj256ELj13ELNS0_17block_load_methodE3ELS4_3ELS4_3ELNS0_20block_scan_algorithmE0ELj4294967295EEENS1_25partition_config_selectorILNS1_17partition_subalgoE3EjNS0_10empty_typeEbEEZZNS1_14partition_implILS8_3ELb0ES6_jNS0_17counting_iteratorIjlEEPS9_SE_NS0_5tupleIJPjSE_EEENSF_IJSE_SE_EEES9_SG_JZNS1_25segmented_radix_sort_implINS0_14default_configELb1EPKiPiPKlPlN2at6native12_GLOBAL__N_18offset_tEEE10hipError_tPvRmT1_PNSt15iterator_traitsISY_E10value_typeET2_T3_PNSZ_IS14_E10value_typeET4_jRbjT5_S1A_jjP12ihipStream_tbEUljE_EEESV_SW_SX_S14_S18_S1A_T6_T7_T9_mT8_S1C_bDpT10_ENKUlT_T0_E_clISt17integral_constantIbLb0EES1O_IbLb1EEEEDaS1K_S1L_EUlS1K_E_NS1_11comp_targetILNS1_3genE9ELNS1_11target_archE1100ELNS1_3gpuE3ELNS1_3repE0EEENS1_30default_config_static_selectorELNS0_4arch9wavefront6targetE0EEEvSY_.kd
    .uniform_work_group_size: 1
    .uses_dynamic_stack: false
    .vgpr_count:     0
    .vgpr_spill_count: 0
    .wavefront_size: 32
    .workgroup_processor_mode: 1
  - .args:
      - .offset:         0
        .size:           152
        .value_kind:     by_value
    .group_segment_fixed_size: 0
    .kernarg_segment_align: 8
    .kernarg_segment_size: 152
    .language:       OpenCL C
    .language_version:
      - 2
      - 0
    .max_flat_workgroup_size: 256
    .name:           _ZN7rocprim17ROCPRIM_400000_NS6detail17trampoline_kernelINS0_13select_configILj256ELj13ELNS0_17block_load_methodE3ELS4_3ELS4_3ELNS0_20block_scan_algorithmE0ELj4294967295EEENS1_25partition_config_selectorILNS1_17partition_subalgoE3EjNS0_10empty_typeEbEEZZNS1_14partition_implILS8_3ELb0ES6_jNS0_17counting_iteratorIjlEEPS9_SE_NS0_5tupleIJPjSE_EEENSF_IJSE_SE_EEES9_SG_JZNS1_25segmented_radix_sort_implINS0_14default_configELb1EPKiPiPKlPlN2at6native12_GLOBAL__N_18offset_tEEE10hipError_tPvRmT1_PNSt15iterator_traitsISY_E10value_typeET2_T3_PNSZ_IS14_E10value_typeET4_jRbjT5_S1A_jjP12ihipStream_tbEUljE_EEESV_SW_SX_S14_S18_S1A_T6_T7_T9_mT8_S1C_bDpT10_ENKUlT_T0_E_clISt17integral_constantIbLb0EES1O_IbLb1EEEEDaS1K_S1L_EUlS1K_E_NS1_11comp_targetILNS1_3genE8ELNS1_11target_archE1030ELNS1_3gpuE2ELNS1_3repE0EEENS1_30default_config_static_selectorELNS0_4arch9wavefront6targetE0EEEvSY_
    .private_segment_fixed_size: 0
    .sgpr_count:     0
    .sgpr_spill_count: 0
    .symbol:         _ZN7rocprim17ROCPRIM_400000_NS6detail17trampoline_kernelINS0_13select_configILj256ELj13ELNS0_17block_load_methodE3ELS4_3ELS4_3ELNS0_20block_scan_algorithmE0ELj4294967295EEENS1_25partition_config_selectorILNS1_17partition_subalgoE3EjNS0_10empty_typeEbEEZZNS1_14partition_implILS8_3ELb0ES6_jNS0_17counting_iteratorIjlEEPS9_SE_NS0_5tupleIJPjSE_EEENSF_IJSE_SE_EEES9_SG_JZNS1_25segmented_radix_sort_implINS0_14default_configELb1EPKiPiPKlPlN2at6native12_GLOBAL__N_18offset_tEEE10hipError_tPvRmT1_PNSt15iterator_traitsISY_E10value_typeET2_T3_PNSZ_IS14_E10value_typeET4_jRbjT5_S1A_jjP12ihipStream_tbEUljE_EEESV_SW_SX_S14_S18_S1A_T6_T7_T9_mT8_S1C_bDpT10_ENKUlT_T0_E_clISt17integral_constantIbLb0EES1O_IbLb1EEEEDaS1K_S1L_EUlS1K_E_NS1_11comp_targetILNS1_3genE8ELNS1_11target_archE1030ELNS1_3gpuE2ELNS1_3repE0EEENS1_30default_config_static_selectorELNS0_4arch9wavefront6targetE0EEEvSY_.kd
    .uniform_work_group_size: 1
    .uses_dynamic_stack: false
    .vgpr_count:     0
    .vgpr_spill_count: 0
    .wavefront_size: 32
    .workgroup_processor_mode: 1
  - .args:
      - .offset:         0
        .size:           96
        .value_kind:     by_value
    .group_segment_fixed_size: 0
    .kernarg_segment_align: 8
    .kernarg_segment_size: 96
    .language:       OpenCL C
    .language_version:
      - 2
      - 0
    .max_flat_workgroup_size: 256
    .name:           _ZN7rocprim17ROCPRIM_400000_NS6detail17trampoline_kernelINS0_14default_configENS1_36segmented_radix_sort_config_selectorIilEEZNS1_25segmented_radix_sort_implIS3_Lb1EPKiPiPKlPlN2at6native12_GLOBAL__N_18offset_tEEE10hipError_tPvRmT1_PNSt15iterator_traitsISK_E10value_typeET2_T3_PNSL_ISQ_E10value_typeET4_jRbjT5_SW_jjP12ihipStream_tbEUlT_E_NS1_11comp_targetILNS1_3genE0ELNS1_11target_archE4294967295ELNS1_3gpuE0ELNS1_3repE0EEENS1_30default_config_static_selectorELNS0_4arch9wavefront6targetE0EEEvSK_
    .private_segment_fixed_size: 0
    .sgpr_count:     0
    .sgpr_spill_count: 0
    .symbol:         _ZN7rocprim17ROCPRIM_400000_NS6detail17trampoline_kernelINS0_14default_configENS1_36segmented_radix_sort_config_selectorIilEEZNS1_25segmented_radix_sort_implIS3_Lb1EPKiPiPKlPlN2at6native12_GLOBAL__N_18offset_tEEE10hipError_tPvRmT1_PNSt15iterator_traitsISK_E10value_typeET2_T3_PNSL_ISQ_E10value_typeET4_jRbjT5_SW_jjP12ihipStream_tbEUlT_E_NS1_11comp_targetILNS1_3genE0ELNS1_11target_archE4294967295ELNS1_3gpuE0ELNS1_3repE0EEENS1_30default_config_static_selectorELNS0_4arch9wavefront6targetE0EEEvSK_.kd
    .uniform_work_group_size: 1
    .uses_dynamic_stack: false
    .vgpr_count:     0
    .vgpr_spill_count: 0
    .wavefront_size: 32
    .workgroup_processor_mode: 1
  - .args:
      - .offset:         0
        .size:           96
        .value_kind:     by_value
    .group_segment_fixed_size: 0
    .kernarg_segment_align: 8
    .kernarg_segment_size: 96
    .language:       OpenCL C
    .language_version:
      - 2
      - 0
    .max_flat_workgroup_size: 256
    .name:           _ZN7rocprim17ROCPRIM_400000_NS6detail17trampoline_kernelINS0_14default_configENS1_36segmented_radix_sort_config_selectorIilEEZNS1_25segmented_radix_sort_implIS3_Lb1EPKiPiPKlPlN2at6native12_GLOBAL__N_18offset_tEEE10hipError_tPvRmT1_PNSt15iterator_traitsISK_E10value_typeET2_T3_PNSL_ISQ_E10value_typeET4_jRbjT5_SW_jjP12ihipStream_tbEUlT_E_NS1_11comp_targetILNS1_3genE5ELNS1_11target_archE942ELNS1_3gpuE9ELNS1_3repE0EEENS1_30default_config_static_selectorELNS0_4arch9wavefront6targetE0EEEvSK_
    .private_segment_fixed_size: 0
    .sgpr_count:     0
    .sgpr_spill_count: 0
    .symbol:         _ZN7rocprim17ROCPRIM_400000_NS6detail17trampoline_kernelINS0_14default_configENS1_36segmented_radix_sort_config_selectorIilEEZNS1_25segmented_radix_sort_implIS3_Lb1EPKiPiPKlPlN2at6native12_GLOBAL__N_18offset_tEEE10hipError_tPvRmT1_PNSt15iterator_traitsISK_E10value_typeET2_T3_PNSL_ISQ_E10value_typeET4_jRbjT5_SW_jjP12ihipStream_tbEUlT_E_NS1_11comp_targetILNS1_3genE5ELNS1_11target_archE942ELNS1_3gpuE9ELNS1_3repE0EEENS1_30default_config_static_selectorELNS0_4arch9wavefront6targetE0EEEvSK_.kd
    .uniform_work_group_size: 1
    .uses_dynamic_stack: false
    .vgpr_count:     0
    .vgpr_spill_count: 0
    .wavefront_size: 32
    .workgroup_processor_mode: 1
  - .args:
      - .offset:         0
        .size:           96
        .value_kind:     by_value
    .group_segment_fixed_size: 0
    .kernarg_segment_align: 8
    .kernarg_segment_size: 96
    .language:       OpenCL C
    .language_version:
      - 2
      - 0
    .max_flat_workgroup_size: 256
    .name:           _ZN7rocprim17ROCPRIM_400000_NS6detail17trampoline_kernelINS0_14default_configENS1_36segmented_radix_sort_config_selectorIilEEZNS1_25segmented_radix_sort_implIS3_Lb1EPKiPiPKlPlN2at6native12_GLOBAL__N_18offset_tEEE10hipError_tPvRmT1_PNSt15iterator_traitsISK_E10value_typeET2_T3_PNSL_ISQ_E10value_typeET4_jRbjT5_SW_jjP12ihipStream_tbEUlT_E_NS1_11comp_targetILNS1_3genE4ELNS1_11target_archE910ELNS1_3gpuE8ELNS1_3repE0EEENS1_30default_config_static_selectorELNS0_4arch9wavefront6targetE0EEEvSK_
    .private_segment_fixed_size: 0
    .sgpr_count:     0
    .sgpr_spill_count: 0
    .symbol:         _ZN7rocprim17ROCPRIM_400000_NS6detail17trampoline_kernelINS0_14default_configENS1_36segmented_radix_sort_config_selectorIilEEZNS1_25segmented_radix_sort_implIS3_Lb1EPKiPiPKlPlN2at6native12_GLOBAL__N_18offset_tEEE10hipError_tPvRmT1_PNSt15iterator_traitsISK_E10value_typeET2_T3_PNSL_ISQ_E10value_typeET4_jRbjT5_SW_jjP12ihipStream_tbEUlT_E_NS1_11comp_targetILNS1_3genE4ELNS1_11target_archE910ELNS1_3gpuE8ELNS1_3repE0EEENS1_30default_config_static_selectorELNS0_4arch9wavefront6targetE0EEEvSK_.kd
    .uniform_work_group_size: 1
    .uses_dynamic_stack: false
    .vgpr_count:     0
    .vgpr_spill_count: 0
    .wavefront_size: 32
    .workgroup_processor_mode: 1
  - .args:
      - .offset:         0
        .size:           96
        .value_kind:     by_value
    .group_segment_fixed_size: 0
    .kernarg_segment_align: 8
    .kernarg_segment_size: 96
    .language:       OpenCL C
    .language_version:
      - 2
      - 0
    .max_flat_workgroup_size: 256
    .name:           _ZN7rocprim17ROCPRIM_400000_NS6detail17trampoline_kernelINS0_14default_configENS1_36segmented_radix_sort_config_selectorIilEEZNS1_25segmented_radix_sort_implIS3_Lb1EPKiPiPKlPlN2at6native12_GLOBAL__N_18offset_tEEE10hipError_tPvRmT1_PNSt15iterator_traitsISK_E10value_typeET2_T3_PNSL_ISQ_E10value_typeET4_jRbjT5_SW_jjP12ihipStream_tbEUlT_E_NS1_11comp_targetILNS1_3genE3ELNS1_11target_archE908ELNS1_3gpuE7ELNS1_3repE0EEENS1_30default_config_static_selectorELNS0_4arch9wavefront6targetE0EEEvSK_
    .private_segment_fixed_size: 0
    .sgpr_count:     0
    .sgpr_spill_count: 0
    .symbol:         _ZN7rocprim17ROCPRIM_400000_NS6detail17trampoline_kernelINS0_14default_configENS1_36segmented_radix_sort_config_selectorIilEEZNS1_25segmented_radix_sort_implIS3_Lb1EPKiPiPKlPlN2at6native12_GLOBAL__N_18offset_tEEE10hipError_tPvRmT1_PNSt15iterator_traitsISK_E10value_typeET2_T3_PNSL_ISQ_E10value_typeET4_jRbjT5_SW_jjP12ihipStream_tbEUlT_E_NS1_11comp_targetILNS1_3genE3ELNS1_11target_archE908ELNS1_3gpuE7ELNS1_3repE0EEENS1_30default_config_static_selectorELNS0_4arch9wavefront6targetE0EEEvSK_.kd
    .uniform_work_group_size: 1
    .uses_dynamic_stack: false
    .vgpr_count:     0
    .vgpr_spill_count: 0
    .wavefront_size: 32
    .workgroup_processor_mode: 1
  - .args:
      - .offset:         0
        .size:           96
        .value_kind:     by_value
    .group_segment_fixed_size: 0
    .kernarg_segment_align: 8
    .kernarg_segment_size: 96
    .language:       OpenCL C
    .language_version:
      - 2
      - 0
    .max_flat_workgroup_size: 256
    .name:           _ZN7rocprim17ROCPRIM_400000_NS6detail17trampoline_kernelINS0_14default_configENS1_36segmented_radix_sort_config_selectorIilEEZNS1_25segmented_radix_sort_implIS3_Lb1EPKiPiPKlPlN2at6native12_GLOBAL__N_18offset_tEEE10hipError_tPvRmT1_PNSt15iterator_traitsISK_E10value_typeET2_T3_PNSL_ISQ_E10value_typeET4_jRbjT5_SW_jjP12ihipStream_tbEUlT_E_NS1_11comp_targetILNS1_3genE2ELNS1_11target_archE906ELNS1_3gpuE6ELNS1_3repE0EEENS1_30default_config_static_selectorELNS0_4arch9wavefront6targetE0EEEvSK_
    .private_segment_fixed_size: 0
    .sgpr_count:     0
    .sgpr_spill_count: 0
    .symbol:         _ZN7rocprim17ROCPRIM_400000_NS6detail17trampoline_kernelINS0_14default_configENS1_36segmented_radix_sort_config_selectorIilEEZNS1_25segmented_radix_sort_implIS3_Lb1EPKiPiPKlPlN2at6native12_GLOBAL__N_18offset_tEEE10hipError_tPvRmT1_PNSt15iterator_traitsISK_E10value_typeET2_T3_PNSL_ISQ_E10value_typeET4_jRbjT5_SW_jjP12ihipStream_tbEUlT_E_NS1_11comp_targetILNS1_3genE2ELNS1_11target_archE906ELNS1_3gpuE6ELNS1_3repE0EEENS1_30default_config_static_selectorELNS0_4arch9wavefront6targetE0EEEvSK_.kd
    .uniform_work_group_size: 1
    .uses_dynamic_stack: false
    .vgpr_count:     0
    .vgpr_spill_count: 0
    .wavefront_size: 32
    .workgroup_processor_mode: 1
  - .args:
      - .offset:         0
        .size:           96
        .value_kind:     by_value
      - .offset:         96
        .size:           4
        .value_kind:     hidden_block_count_x
      - .offset:         100
        .size:           4
        .value_kind:     hidden_block_count_y
      - .offset:         104
        .size:           4
        .value_kind:     hidden_block_count_z
      - .offset:         108
        .size:           2
        .value_kind:     hidden_group_size_x
      - .offset:         110
        .size:           2
        .value_kind:     hidden_group_size_y
      - .offset:         112
        .size:           2
        .value_kind:     hidden_group_size_z
      - .offset:         114
        .size:           2
        .value_kind:     hidden_remainder_x
      - .offset:         116
        .size:           2
        .value_kind:     hidden_remainder_y
      - .offset:         118
        .size:           2
        .value_kind:     hidden_remainder_z
      - .offset:         136
        .size:           8
        .value_kind:     hidden_global_offset_x
      - .offset:         144
        .size:           8
        .value_kind:     hidden_global_offset_y
      - .offset:         152
        .size:           8
        .value_kind:     hidden_global_offset_z
      - .offset:         160
        .size:           2
        .value_kind:     hidden_grid_dims
    .group_segment_fixed_size: 33824
    .kernarg_segment_align: 8
    .kernarg_segment_size: 352
    .language:       OpenCL C
    .language_version:
      - 2
      - 0
    .max_flat_workgroup_size: 256
    .name:           _ZN7rocprim17ROCPRIM_400000_NS6detail17trampoline_kernelINS0_14default_configENS1_36segmented_radix_sort_config_selectorIilEEZNS1_25segmented_radix_sort_implIS3_Lb1EPKiPiPKlPlN2at6native12_GLOBAL__N_18offset_tEEE10hipError_tPvRmT1_PNSt15iterator_traitsISK_E10value_typeET2_T3_PNSL_ISQ_E10value_typeET4_jRbjT5_SW_jjP12ihipStream_tbEUlT_E_NS1_11comp_targetILNS1_3genE10ELNS1_11target_archE1201ELNS1_3gpuE5ELNS1_3repE0EEENS1_30default_config_static_selectorELNS0_4arch9wavefront6targetE0EEEvSK_
    .private_segment_fixed_size: 100
    .sgpr_count:     60
    .sgpr_spill_count: 0
    .symbol:         _ZN7rocprim17ROCPRIM_400000_NS6detail17trampoline_kernelINS0_14default_configENS1_36segmented_radix_sort_config_selectorIilEEZNS1_25segmented_radix_sort_implIS3_Lb1EPKiPiPKlPlN2at6native12_GLOBAL__N_18offset_tEEE10hipError_tPvRmT1_PNSt15iterator_traitsISK_E10value_typeET2_T3_PNSL_ISQ_E10value_typeET4_jRbjT5_SW_jjP12ihipStream_tbEUlT_E_NS1_11comp_targetILNS1_3genE10ELNS1_11target_archE1201ELNS1_3gpuE5ELNS1_3repE0EEENS1_30default_config_static_selectorELNS0_4arch9wavefront6targetE0EEEvSK_.kd
    .uniform_work_group_size: 1
    .uses_dynamic_stack: false
    .vgpr_count:     248
    .vgpr_spill_count: 0
    .wavefront_size: 32
    .workgroup_processor_mode: 1
  - .args:
      - .offset:         0
        .size:           96
        .value_kind:     by_value
    .group_segment_fixed_size: 0
    .kernarg_segment_align: 8
    .kernarg_segment_size: 96
    .language:       OpenCL C
    .language_version:
      - 2
      - 0
    .max_flat_workgroup_size: 128
    .name:           _ZN7rocprim17ROCPRIM_400000_NS6detail17trampoline_kernelINS0_14default_configENS1_36segmented_radix_sort_config_selectorIilEEZNS1_25segmented_radix_sort_implIS3_Lb1EPKiPiPKlPlN2at6native12_GLOBAL__N_18offset_tEEE10hipError_tPvRmT1_PNSt15iterator_traitsISK_E10value_typeET2_T3_PNSL_ISQ_E10value_typeET4_jRbjT5_SW_jjP12ihipStream_tbEUlT_E_NS1_11comp_targetILNS1_3genE10ELNS1_11target_archE1200ELNS1_3gpuE4ELNS1_3repE0EEENS1_30default_config_static_selectorELNS0_4arch9wavefront6targetE0EEEvSK_
    .private_segment_fixed_size: 0
    .sgpr_count:     0
    .sgpr_spill_count: 0
    .symbol:         _ZN7rocprim17ROCPRIM_400000_NS6detail17trampoline_kernelINS0_14default_configENS1_36segmented_radix_sort_config_selectorIilEEZNS1_25segmented_radix_sort_implIS3_Lb1EPKiPiPKlPlN2at6native12_GLOBAL__N_18offset_tEEE10hipError_tPvRmT1_PNSt15iterator_traitsISK_E10value_typeET2_T3_PNSL_ISQ_E10value_typeET4_jRbjT5_SW_jjP12ihipStream_tbEUlT_E_NS1_11comp_targetILNS1_3genE10ELNS1_11target_archE1200ELNS1_3gpuE4ELNS1_3repE0EEENS1_30default_config_static_selectorELNS0_4arch9wavefront6targetE0EEEvSK_.kd
    .uniform_work_group_size: 1
    .uses_dynamic_stack: false
    .vgpr_count:     0
    .vgpr_spill_count: 0
    .wavefront_size: 32
    .workgroup_processor_mode: 1
  - .args:
      - .offset:         0
        .size:           96
        .value_kind:     by_value
    .group_segment_fixed_size: 0
    .kernarg_segment_align: 8
    .kernarg_segment_size: 96
    .language:       OpenCL C
    .language_version:
      - 2
      - 0
    .max_flat_workgroup_size: 256
    .name:           _ZN7rocprim17ROCPRIM_400000_NS6detail17trampoline_kernelINS0_14default_configENS1_36segmented_radix_sort_config_selectorIilEEZNS1_25segmented_radix_sort_implIS3_Lb1EPKiPiPKlPlN2at6native12_GLOBAL__N_18offset_tEEE10hipError_tPvRmT1_PNSt15iterator_traitsISK_E10value_typeET2_T3_PNSL_ISQ_E10value_typeET4_jRbjT5_SW_jjP12ihipStream_tbEUlT_E_NS1_11comp_targetILNS1_3genE9ELNS1_11target_archE1100ELNS1_3gpuE3ELNS1_3repE0EEENS1_30default_config_static_selectorELNS0_4arch9wavefront6targetE0EEEvSK_
    .private_segment_fixed_size: 0
    .sgpr_count:     0
    .sgpr_spill_count: 0
    .symbol:         _ZN7rocprim17ROCPRIM_400000_NS6detail17trampoline_kernelINS0_14default_configENS1_36segmented_radix_sort_config_selectorIilEEZNS1_25segmented_radix_sort_implIS3_Lb1EPKiPiPKlPlN2at6native12_GLOBAL__N_18offset_tEEE10hipError_tPvRmT1_PNSt15iterator_traitsISK_E10value_typeET2_T3_PNSL_ISQ_E10value_typeET4_jRbjT5_SW_jjP12ihipStream_tbEUlT_E_NS1_11comp_targetILNS1_3genE9ELNS1_11target_archE1100ELNS1_3gpuE3ELNS1_3repE0EEENS1_30default_config_static_selectorELNS0_4arch9wavefront6targetE0EEEvSK_.kd
    .uniform_work_group_size: 1
    .uses_dynamic_stack: false
    .vgpr_count:     0
    .vgpr_spill_count: 0
    .wavefront_size: 32
    .workgroup_processor_mode: 1
  - .args:
      - .offset:         0
        .size:           96
        .value_kind:     by_value
    .group_segment_fixed_size: 0
    .kernarg_segment_align: 8
    .kernarg_segment_size: 96
    .language:       OpenCL C
    .language_version:
      - 2
      - 0
    .max_flat_workgroup_size: 256
    .name:           _ZN7rocprim17ROCPRIM_400000_NS6detail17trampoline_kernelINS0_14default_configENS1_36segmented_radix_sort_config_selectorIilEEZNS1_25segmented_radix_sort_implIS3_Lb1EPKiPiPKlPlN2at6native12_GLOBAL__N_18offset_tEEE10hipError_tPvRmT1_PNSt15iterator_traitsISK_E10value_typeET2_T3_PNSL_ISQ_E10value_typeET4_jRbjT5_SW_jjP12ihipStream_tbEUlT_E_NS1_11comp_targetILNS1_3genE8ELNS1_11target_archE1030ELNS1_3gpuE2ELNS1_3repE0EEENS1_30default_config_static_selectorELNS0_4arch9wavefront6targetE0EEEvSK_
    .private_segment_fixed_size: 0
    .sgpr_count:     0
    .sgpr_spill_count: 0
    .symbol:         _ZN7rocprim17ROCPRIM_400000_NS6detail17trampoline_kernelINS0_14default_configENS1_36segmented_radix_sort_config_selectorIilEEZNS1_25segmented_radix_sort_implIS3_Lb1EPKiPiPKlPlN2at6native12_GLOBAL__N_18offset_tEEE10hipError_tPvRmT1_PNSt15iterator_traitsISK_E10value_typeET2_T3_PNSL_ISQ_E10value_typeET4_jRbjT5_SW_jjP12ihipStream_tbEUlT_E_NS1_11comp_targetILNS1_3genE8ELNS1_11target_archE1030ELNS1_3gpuE2ELNS1_3repE0EEENS1_30default_config_static_selectorELNS0_4arch9wavefront6targetE0EEEvSK_.kd
    .uniform_work_group_size: 1
    .uses_dynamic_stack: false
    .vgpr_count:     0
    .vgpr_spill_count: 0
    .wavefront_size: 32
    .workgroup_processor_mode: 1
  - .args:
      - .offset:         0
        .size:           88
        .value_kind:     by_value
    .group_segment_fixed_size: 0
    .kernarg_segment_align: 8
    .kernarg_segment_size: 88
    .language:       OpenCL C
    .language_version:
      - 2
      - 0
    .max_flat_workgroup_size: 256
    .name:           _ZN7rocprim17ROCPRIM_400000_NS6detail17trampoline_kernelINS0_14default_configENS1_36segmented_radix_sort_config_selectorIilEEZNS1_25segmented_radix_sort_implIS3_Lb1EPKiPiPKlPlN2at6native12_GLOBAL__N_18offset_tEEE10hipError_tPvRmT1_PNSt15iterator_traitsISK_E10value_typeET2_T3_PNSL_ISQ_E10value_typeET4_jRbjT5_SW_jjP12ihipStream_tbEUlT_E0_NS1_11comp_targetILNS1_3genE0ELNS1_11target_archE4294967295ELNS1_3gpuE0ELNS1_3repE0EEENS1_60segmented_radix_sort_warp_sort_medium_config_static_selectorELNS0_4arch9wavefront6targetE0EEEvSK_
    .private_segment_fixed_size: 0
    .sgpr_count:     0
    .sgpr_spill_count: 0
    .symbol:         _ZN7rocprim17ROCPRIM_400000_NS6detail17trampoline_kernelINS0_14default_configENS1_36segmented_radix_sort_config_selectorIilEEZNS1_25segmented_radix_sort_implIS3_Lb1EPKiPiPKlPlN2at6native12_GLOBAL__N_18offset_tEEE10hipError_tPvRmT1_PNSt15iterator_traitsISK_E10value_typeET2_T3_PNSL_ISQ_E10value_typeET4_jRbjT5_SW_jjP12ihipStream_tbEUlT_E0_NS1_11comp_targetILNS1_3genE0ELNS1_11target_archE4294967295ELNS1_3gpuE0ELNS1_3repE0EEENS1_60segmented_radix_sort_warp_sort_medium_config_static_selectorELNS0_4arch9wavefront6targetE0EEEvSK_.kd
    .uniform_work_group_size: 1
    .uses_dynamic_stack: false
    .vgpr_count:     0
    .vgpr_spill_count: 0
    .wavefront_size: 32
    .workgroup_processor_mode: 1
  - .args:
      - .offset:         0
        .size:           88
        .value_kind:     by_value
    .group_segment_fixed_size: 0
    .kernarg_segment_align: 8
    .kernarg_segment_size: 88
    .language:       OpenCL C
    .language_version:
      - 2
      - 0
    .max_flat_workgroup_size: 256
    .name:           _ZN7rocprim17ROCPRIM_400000_NS6detail17trampoline_kernelINS0_14default_configENS1_36segmented_radix_sort_config_selectorIilEEZNS1_25segmented_radix_sort_implIS3_Lb1EPKiPiPKlPlN2at6native12_GLOBAL__N_18offset_tEEE10hipError_tPvRmT1_PNSt15iterator_traitsISK_E10value_typeET2_T3_PNSL_ISQ_E10value_typeET4_jRbjT5_SW_jjP12ihipStream_tbEUlT_E0_NS1_11comp_targetILNS1_3genE5ELNS1_11target_archE942ELNS1_3gpuE9ELNS1_3repE0EEENS1_60segmented_radix_sort_warp_sort_medium_config_static_selectorELNS0_4arch9wavefront6targetE0EEEvSK_
    .private_segment_fixed_size: 0
    .sgpr_count:     0
    .sgpr_spill_count: 0
    .symbol:         _ZN7rocprim17ROCPRIM_400000_NS6detail17trampoline_kernelINS0_14default_configENS1_36segmented_radix_sort_config_selectorIilEEZNS1_25segmented_radix_sort_implIS3_Lb1EPKiPiPKlPlN2at6native12_GLOBAL__N_18offset_tEEE10hipError_tPvRmT1_PNSt15iterator_traitsISK_E10value_typeET2_T3_PNSL_ISQ_E10value_typeET4_jRbjT5_SW_jjP12ihipStream_tbEUlT_E0_NS1_11comp_targetILNS1_3genE5ELNS1_11target_archE942ELNS1_3gpuE9ELNS1_3repE0EEENS1_60segmented_radix_sort_warp_sort_medium_config_static_selectorELNS0_4arch9wavefront6targetE0EEEvSK_.kd
    .uniform_work_group_size: 1
    .uses_dynamic_stack: false
    .vgpr_count:     0
    .vgpr_spill_count: 0
    .wavefront_size: 32
    .workgroup_processor_mode: 1
  - .args:
      - .offset:         0
        .size:           88
        .value_kind:     by_value
    .group_segment_fixed_size: 0
    .kernarg_segment_align: 8
    .kernarg_segment_size: 88
    .language:       OpenCL C
    .language_version:
      - 2
      - 0
    .max_flat_workgroup_size: 256
    .name:           _ZN7rocprim17ROCPRIM_400000_NS6detail17trampoline_kernelINS0_14default_configENS1_36segmented_radix_sort_config_selectorIilEEZNS1_25segmented_radix_sort_implIS3_Lb1EPKiPiPKlPlN2at6native12_GLOBAL__N_18offset_tEEE10hipError_tPvRmT1_PNSt15iterator_traitsISK_E10value_typeET2_T3_PNSL_ISQ_E10value_typeET4_jRbjT5_SW_jjP12ihipStream_tbEUlT_E0_NS1_11comp_targetILNS1_3genE4ELNS1_11target_archE910ELNS1_3gpuE8ELNS1_3repE0EEENS1_60segmented_radix_sort_warp_sort_medium_config_static_selectorELNS0_4arch9wavefront6targetE0EEEvSK_
    .private_segment_fixed_size: 0
    .sgpr_count:     0
    .sgpr_spill_count: 0
    .symbol:         _ZN7rocprim17ROCPRIM_400000_NS6detail17trampoline_kernelINS0_14default_configENS1_36segmented_radix_sort_config_selectorIilEEZNS1_25segmented_radix_sort_implIS3_Lb1EPKiPiPKlPlN2at6native12_GLOBAL__N_18offset_tEEE10hipError_tPvRmT1_PNSt15iterator_traitsISK_E10value_typeET2_T3_PNSL_ISQ_E10value_typeET4_jRbjT5_SW_jjP12ihipStream_tbEUlT_E0_NS1_11comp_targetILNS1_3genE4ELNS1_11target_archE910ELNS1_3gpuE8ELNS1_3repE0EEENS1_60segmented_radix_sort_warp_sort_medium_config_static_selectorELNS0_4arch9wavefront6targetE0EEEvSK_.kd
    .uniform_work_group_size: 1
    .uses_dynamic_stack: false
    .vgpr_count:     0
    .vgpr_spill_count: 0
    .wavefront_size: 32
    .workgroup_processor_mode: 1
  - .args:
      - .offset:         0
        .size:           88
        .value_kind:     by_value
    .group_segment_fixed_size: 0
    .kernarg_segment_align: 8
    .kernarg_segment_size: 88
    .language:       OpenCL C
    .language_version:
      - 2
      - 0
    .max_flat_workgroup_size: 256
    .name:           _ZN7rocprim17ROCPRIM_400000_NS6detail17trampoline_kernelINS0_14default_configENS1_36segmented_radix_sort_config_selectorIilEEZNS1_25segmented_radix_sort_implIS3_Lb1EPKiPiPKlPlN2at6native12_GLOBAL__N_18offset_tEEE10hipError_tPvRmT1_PNSt15iterator_traitsISK_E10value_typeET2_T3_PNSL_ISQ_E10value_typeET4_jRbjT5_SW_jjP12ihipStream_tbEUlT_E0_NS1_11comp_targetILNS1_3genE3ELNS1_11target_archE908ELNS1_3gpuE7ELNS1_3repE0EEENS1_60segmented_radix_sort_warp_sort_medium_config_static_selectorELNS0_4arch9wavefront6targetE0EEEvSK_
    .private_segment_fixed_size: 0
    .sgpr_count:     0
    .sgpr_spill_count: 0
    .symbol:         _ZN7rocprim17ROCPRIM_400000_NS6detail17trampoline_kernelINS0_14default_configENS1_36segmented_radix_sort_config_selectorIilEEZNS1_25segmented_radix_sort_implIS3_Lb1EPKiPiPKlPlN2at6native12_GLOBAL__N_18offset_tEEE10hipError_tPvRmT1_PNSt15iterator_traitsISK_E10value_typeET2_T3_PNSL_ISQ_E10value_typeET4_jRbjT5_SW_jjP12ihipStream_tbEUlT_E0_NS1_11comp_targetILNS1_3genE3ELNS1_11target_archE908ELNS1_3gpuE7ELNS1_3repE0EEENS1_60segmented_radix_sort_warp_sort_medium_config_static_selectorELNS0_4arch9wavefront6targetE0EEEvSK_.kd
    .uniform_work_group_size: 1
    .uses_dynamic_stack: false
    .vgpr_count:     0
    .vgpr_spill_count: 0
    .wavefront_size: 32
    .workgroup_processor_mode: 1
  - .args:
      - .offset:         0
        .size:           88
        .value_kind:     by_value
    .group_segment_fixed_size: 0
    .kernarg_segment_align: 8
    .kernarg_segment_size: 88
    .language:       OpenCL C
    .language_version:
      - 2
      - 0
    .max_flat_workgroup_size: 256
    .name:           _ZN7rocprim17ROCPRIM_400000_NS6detail17trampoline_kernelINS0_14default_configENS1_36segmented_radix_sort_config_selectorIilEEZNS1_25segmented_radix_sort_implIS3_Lb1EPKiPiPKlPlN2at6native12_GLOBAL__N_18offset_tEEE10hipError_tPvRmT1_PNSt15iterator_traitsISK_E10value_typeET2_T3_PNSL_ISQ_E10value_typeET4_jRbjT5_SW_jjP12ihipStream_tbEUlT_E0_NS1_11comp_targetILNS1_3genE2ELNS1_11target_archE906ELNS1_3gpuE6ELNS1_3repE0EEENS1_60segmented_radix_sort_warp_sort_medium_config_static_selectorELNS0_4arch9wavefront6targetE0EEEvSK_
    .private_segment_fixed_size: 0
    .sgpr_count:     0
    .sgpr_spill_count: 0
    .symbol:         _ZN7rocprim17ROCPRIM_400000_NS6detail17trampoline_kernelINS0_14default_configENS1_36segmented_radix_sort_config_selectorIilEEZNS1_25segmented_radix_sort_implIS3_Lb1EPKiPiPKlPlN2at6native12_GLOBAL__N_18offset_tEEE10hipError_tPvRmT1_PNSt15iterator_traitsISK_E10value_typeET2_T3_PNSL_ISQ_E10value_typeET4_jRbjT5_SW_jjP12ihipStream_tbEUlT_E0_NS1_11comp_targetILNS1_3genE2ELNS1_11target_archE906ELNS1_3gpuE6ELNS1_3repE0EEENS1_60segmented_radix_sort_warp_sort_medium_config_static_selectorELNS0_4arch9wavefront6targetE0EEEvSK_.kd
    .uniform_work_group_size: 1
    .uses_dynamic_stack: false
    .vgpr_count:     0
    .vgpr_spill_count: 0
    .wavefront_size: 32
    .workgroup_processor_mode: 1
  - .args:
      - .offset:         0
        .size:           88
        .value_kind:     by_value
      - .offset:         88
        .size:           4
        .value_kind:     hidden_block_count_x
      - .offset:         92
        .size:           4
        .value_kind:     hidden_block_count_y
      - .offset:         96
        .size:           4
        .value_kind:     hidden_block_count_z
      - .offset:         100
        .size:           2
        .value_kind:     hidden_group_size_x
      - .offset:         102
        .size:           2
        .value_kind:     hidden_group_size_y
      - .offset:         104
        .size:           2
        .value_kind:     hidden_group_size_z
      - .offset:         106
        .size:           2
        .value_kind:     hidden_remainder_x
      - .offset:         108
        .size:           2
        .value_kind:     hidden_remainder_y
      - .offset:         110
        .size:           2
        .value_kind:     hidden_remainder_z
      - .offset:         128
        .size:           8
        .value_kind:     hidden_global_offset_x
      - .offset:         136
        .size:           8
        .value_kind:     hidden_global_offset_y
      - .offset:         144
        .size:           8
        .value_kind:     hidden_global_offset_z
      - .offset:         152
        .size:           2
        .value_kind:     hidden_grid_dims
    .group_segment_fixed_size: 24576
    .kernarg_segment_align: 8
    .kernarg_segment_size: 344
    .language:       OpenCL C
    .language_version:
      - 2
      - 0
    .max_flat_workgroup_size: 256
    .name:           _ZN7rocprim17ROCPRIM_400000_NS6detail17trampoline_kernelINS0_14default_configENS1_36segmented_radix_sort_config_selectorIilEEZNS1_25segmented_radix_sort_implIS3_Lb1EPKiPiPKlPlN2at6native12_GLOBAL__N_18offset_tEEE10hipError_tPvRmT1_PNSt15iterator_traitsISK_E10value_typeET2_T3_PNSL_ISQ_E10value_typeET4_jRbjT5_SW_jjP12ihipStream_tbEUlT_E0_NS1_11comp_targetILNS1_3genE10ELNS1_11target_archE1201ELNS1_3gpuE5ELNS1_3repE0EEENS1_60segmented_radix_sort_warp_sort_medium_config_static_selectorELNS0_4arch9wavefront6targetE0EEEvSK_
    .private_segment_fixed_size: 0
    .sgpr_count:     46
    .sgpr_spill_count: 0
    .symbol:         _ZN7rocprim17ROCPRIM_400000_NS6detail17trampoline_kernelINS0_14default_configENS1_36segmented_radix_sort_config_selectorIilEEZNS1_25segmented_radix_sort_implIS3_Lb1EPKiPiPKlPlN2at6native12_GLOBAL__N_18offset_tEEE10hipError_tPvRmT1_PNSt15iterator_traitsISK_E10value_typeET2_T3_PNSL_ISQ_E10value_typeET4_jRbjT5_SW_jjP12ihipStream_tbEUlT_E0_NS1_11comp_targetILNS1_3genE10ELNS1_11target_archE1201ELNS1_3gpuE5ELNS1_3repE0EEENS1_60segmented_radix_sort_warp_sort_medium_config_static_selectorELNS0_4arch9wavefront6targetE0EEEvSK_.kd
    .uniform_work_group_size: 1
    .uses_dynamic_stack: false
    .vgpr_count:     81
    .vgpr_spill_count: 0
    .wavefront_size: 32
    .workgroup_processor_mode: 1
  - .args:
      - .offset:         0
        .size:           88
        .value_kind:     by_value
    .group_segment_fixed_size: 0
    .kernarg_segment_align: 8
    .kernarg_segment_size: 88
    .language:       OpenCL C
    .language_version:
      - 2
      - 0
    .max_flat_workgroup_size: 256
    .name:           _ZN7rocprim17ROCPRIM_400000_NS6detail17trampoline_kernelINS0_14default_configENS1_36segmented_radix_sort_config_selectorIilEEZNS1_25segmented_radix_sort_implIS3_Lb1EPKiPiPKlPlN2at6native12_GLOBAL__N_18offset_tEEE10hipError_tPvRmT1_PNSt15iterator_traitsISK_E10value_typeET2_T3_PNSL_ISQ_E10value_typeET4_jRbjT5_SW_jjP12ihipStream_tbEUlT_E0_NS1_11comp_targetILNS1_3genE10ELNS1_11target_archE1200ELNS1_3gpuE4ELNS1_3repE0EEENS1_60segmented_radix_sort_warp_sort_medium_config_static_selectorELNS0_4arch9wavefront6targetE0EEEvSK_
    .private_segment_fixed_size: 0
    .sgpr_count:     0
    .sgpr_spill_count: 0
    .symbol:         _ZN7rocprim17ROCPRIM_400000_NS6detail17trampoline_kernelINS0_14default_configENS1_36segmented_radix_sort_config_selectorIilEEZNS1_25segmented_radix_sort_implIS3_Lb1EPKiPiPKlPlN2at6native12_GLOBAL__N_18offset_tEEE10hipError_tPvRmT1_PNSt15iterator_traitsISK_E10value_typeET2_T3_PNSL_ISQ_E10value_typeET4_jRbjT5_SW_jjP12ihipStream_tbEUlT_E0_NS1_11comp_targetILNS1_3genE10ELNS1_11target_archE1200ELNS1_3gpuE4ELNS1_3repE0EEENS1_60segmented_radix_sort_warp_sort_medium_config_static_selectorELNS0_4arch9wavefront6targetE0EEEvSK_.kd
    .uniform_work_group_size: 1
    .uses_dynamic_stack: false
    .vgpr_count:     0
    .vgpr_spill_count: 0
    .wavefront_size: 32
    .workgroup_processor_mode: 1
  - .args:
      - .offset:         0
        .size:           88
        .value_kind:     by_value
    .group_segment_fixed_size: 0
    .kernarg_segment_align: 8
    .kernarg_segment_size: 88
    .language:       OpenCL C
    .language_version:
      - 2
      - 0
    .max_flat_workgroup_size: 256
    .name:           _ZN7rocprim17ROCPRIM_400000_NS6detail17trampoline_kernelINS0_14default_configENS1_36segmented_radix_sort_config_selectorIilEEZNS1_25segmented_radix_sort_implIS3_Lb1EPKiPiPKlPlN2at6native12_GLOBAL__N_18offset_tEEE10hipError_tPvRmT1_PNSt15iterator_traitsISK_E10value_typeET2_T3_PNSL_ISQ_E10value_typeET4_jRbjT5_SW_jjP12ihipStream_tbEUlT_E0_NS1_11comp_targetILNS1_3genE9ELNS1_11target_archE1100ELNS1_3gpuE3ELNS1_3repE0EEENS1_60segmented_radix_sort_warp_sort_medium_config_static_selectorELNS0_4arch9wavefront6targetE0EEEvSK_
    .private_segment_fixed_size: 0
    .sgpr_count:     0
    .sgpr_spill_count: 0
    .symbol:         _ZN7rocprim17ROCPRIM_400000_NS6detail17trampoline_kernelINS0_14default_configENS1_36segmented_radix_sort_config_selectorIilEEZNS1_25segmented_radix_sort_implIS3_Lb1EPKiPiPKlPlN2at6native12_GLOBAL__N_18offset_tEEE10hipError_tPvRmT1_PNSt15iterator_traitsISK_E10value_typeET2_T3_PNSL_ISQ_E10value_typeET4_jRbjT5_SW_jjP12ihipStream_tbEUlT_E0_NS1_11comp_targetILNS1_3genE9ELNS1_11target_archE1100ELNS1_3gpuE3ELNS1_3repE0EEENS1_60segmented_radix_sort_warp_sort_medium_config_static_selectorELNS0_4arch9wavefront6targetE0EEEvSK_.kd
    .uniform_work_group_size: 1
    .uses_dynamic_stack: false
    .vgpr_count:     0
    .vgpr_spill_count: 0
    .wavefront_size: 32
    .workgroup_processor_mode: 1
  - .args:
      - .offset:         0
        .size:           88
        .value_kind:     by_value
    .group_segment_fixed_size: 0
    .kernarg_segment_align: 8
    .kernarg_segment_size: 88
    .language:       OpenCL C
    .language_version:
      - 2
      - 0
    .max_flat_workgroup_size: 256
    .name:           _ZN7rocprim17ROCPRIM_400000_NS6detail17trampoline_kernelINS0_14default_configENS1_36segmented_radix_sort_config_selectorIilEEZNS1_25segmented_radix_sort_implIS3_Lb1EPKiPiPKlPlN2at6native12_GLOBAL__N_18offset_tEEE10hipError_tPvRmT1_PNSt15iterator_traitsISK_E10value_typeET2_T3_PNSL_ISQ_E10value_typeET4_jRbjT5_SW_jjP12ihipStream_tbEUlT_E0_NS1_11comp_targetILNS1_3genE8ELNS1_11target_archE1030ELNS1_3gpuE2ELNS1_3repE0EEENS1_60segmented_radix_sort_warp_sort_medium_config_static_selectorELNS0_4arch9wavefront6targetE0EEEvSK_
    .private_segment_fixed_size: 0
    .sgpr_count:     0
    .sgpr_spill_count: 0
    .symbol:         _ZN7rocprim17ROCPRIM_400000_NS6detail17trampoline_kernelINS0_14default_configENS1_36segmented_radix_sort_config_selectorIilEEZNS1_25segmented_radix_sort_implIS3_Lb1EPKiPiPKlPlN2at6native12_GLOBAL__N_18offset_tEEE10hipError_tPvRmT1_PNSt15iterator_traitsISK_E10value_typeET2_T3_PNSL_ISQ_E10value_typeET4_jRbjT5_SW_jjP12ihipStream_tbEUlT_E0_NS1_11comp_targetILNS1_3genE8ELNS1_11target_archE1030ELNS1_3gpuE2ELNS1_3repE0EEENS1_60segmented_radix_sort_warp_sort_medium_config_static_selectorELNS0_4arch9wavefront6targetE0EEEvSK_.kd
    .uniform_work_group_size: 1
    .uses_dynamic_stack: false
    .vgpr_count:     0
    .vgpr_spill_count: 0
    .wavefront_size: 32
    .workgroup_processor_mode: 1
  - .args:
      - .offset:         0
        .size:           88
        .value_kind:     by_value
    .group_segment_fixed_size: 0
    .kernarg_segment_align: 8
    .kernarg_segment_size: 88
    .language:       OpenCL C
    .language_version:
      - 2
      - 0
    .max_flat_workgroup_size: 256
    .name:           _ZN7rocprim17ROCPRIM_400000_NS6detail17trampoline_kernelINS0_14default_configENS1_36segmented_radix_sort_config_selectorIilEEZNS1_25segmented_radix_sort_implIS3_Lb1EPKiPiPKlPlN2at6native12_GLOBAL__N_18offset_tEEE10hipError_tPvRmT1_PNSt15iterator_traitsISK_E10value_typeET2_T3_PNSL_ISQ_E10value_typeET4_jRbjT5_SW_jjP12ihipStream_tbEUlT_E1_NS1_11comp_targetILNS1_3genE0ELNS1_11target_archE4294967295ELNS1_3gpuE0ELNS1_3repE0EEENS1_59segmented_radix_sort_warp_sort_small_config_static_selectorELNS0_4arch9wavefront6targetE0EEEvSK_
    .private_segment_fixed_size: 0
    .sgpr_count:     0
    .sgpr_spill_count: 0
    .symbol:         _ZN7rocprim17ROCPRIM_400000_NS6detail17trampoline_kernelINS0_14default_configENS1_36segmented_radix_sort_config_selectorIilEEZNS1_25segmented_radix_sort_implIS3_Lb1EPKiPiPKlPlN2at6native12_GLOBAL__N_18offset_tEEE10hipError_tPvRmT1_PNSt15iterator_traitsISK_E10value_typeET2_T3_PNSL_ISQ_E10value_typeET4_jRbjT5_SW_jjP12ihipStream_tbEUlT_E1_NS1_11comp_targetILNS1_3genE0ELNS1_11target_archE4294967295ELNS1_3gpuE0ELNS1_3repE0EEENS1_59segmented_radix_sort_warp_sort_small_config_static_selectorELNS0_4arch9wavefront6targetE0EEEvSK_.kd
    .uniform_work_group_size: 1
    .uses_dynamic_stack: false
    .vgpr_count:     0
    .vgpr_spill_count: 0
    .wavefront_size: 32
    .workgroup_processor_mode: 1
  - .args:
      - .offset:         0
        .size:           88
        .value_kind:     by_value
    .group_segment_fixed_size: 0
    .kernarg_segment_align: 8
    .kernarg_segment_size: 88
    .language:       OpenCL C
    .language_version:
      - 2
      - 0
    .max_flat_workgroup_size: 256
    .name:           _ZN7rocprim17ROCPRIM_400000_NS6detail17trampoline_kernelINS0_14default_configENS1_36segmented_radix_sort_config_selectorIilEEZNS1_25segmented_radix_sort_implIS3_Lb1EPKiPiPKlPlN2at6native12_GLOBAL__N_18offset_tEEE10hipError_tPvRmT1_PNSt15iterator_traitsISK_E10value_typeET2_T3_PNSL_ISQ_E10value_typeET4_jRbjT5_SW_jjP12ihipStream_tbEUlT_E1_NS1_11comp_targetILNS1_3genE5ELNS1_11target_archE942ELNS1_3gpuE9ELNS1_3repE0EEENS1_59segmented_radix_sort_warp_sort_small_config_static_selectorELNS0_4arch9wavefront6targetE0EEEvSK_
    .private_segment_fixed_size: 0
    .sgpr_count:     0
    .sgpr_spill_count: 0
    .symbol:         _ZN7rocprim17ROCPRIM_400000_NS6detail17trampoline_kernelINS0_14default_configENS1_36segmented_radix_sort_config_selectorIilEEZNS1_25segmented_radix_sort_implIS3_Lb1EPKiPiPKlPlN2at6native12_GLOBAL__N_18offset_tEEE10hipError_tPvRmT1_PNSt15iterator_traitsISK_E10value_typeET2_T3_PNSL_ISQ_E10value_typeET4_jRbjT5_SW_jjP12ihipStream_tbEUlT_E1_NS1_11comp_targetILNS1_3genE5ELNS1_11target_archE942ELNS1_3gpuE9ELNS1_3repE0EEENS1_59segmented_radix_sort_warp_sort_small_config_static_selectorELNS0_4arch9wavefront6targetE0EEEvSK_.kd
    .uniform_work_group_size: 1
    .uses_dynamic_stack: false
    .vgpr_count:     0
    .vgpr_spill_count: 0
    .wavefront_size: 32
    .workgroup_processor_mode: 1
  - .args:
      - .offset:         0
        .size:           88
        .value_kind:     by_value
    .group_segment_fixed_size: 0
    .kernarg_segment_align: 8
    .kernarg_segment_size: 88
    .language:       OpenCL C
    .language_version:
      - 2
      - 0
    .max_flat_workgroup_size: 256
    .name:           _ZN7rocprim17ROCPRIM_400000_NS6detail17trampoline_kernelINS0_14default_configENS1_36segmented_radix_sort_config_selectorIilEEZNS1_25segmented_radix_sort_implIS3_Lb1EPKiPiPKlPlN2at6native12_GLOBAL__N_18offset_tEEE10hipError_tPvRmT1_PNSt15iterator_traitsISK_E10value_typeET2_T3_PNSL_ISQ_E10value_typeET4_jRbjT5_SW_jjP12ihipStream_tbEUlT_E1_NS1_11comp_targetILNS1_3genE4ELNS1_11target_archE910ELNS1_3gpuE8ELNS1_3repE0EEENS1_59segmented_radix_sort_warp_sort_small_config_static_selectorELNS0_4arch9wavefront6targetE0EEEvSK_
    .private_segment_fixed_size: 0
    .sgpr_count:     0
    .sgpr_spill_count: 0
    .symbol:         _ZN7rocprim17ROCPRIM_400000_NS6detail17trampoline_kernelINS0_14default_configENS1_36segmented_radix_sort_config_selectorIilEEZNS1_25segmented_radix_sort_implIS3_Lb1EPKiPiPKlPlN2at6native12_GLOBAL__N_18offset_tEEE10hipError_tPvRmT1_PNSt15iterator_traitsISK_E10value_typeET2_T3_PNSL_ISQ_E10value_typeET4_jRbjT5_SW_jjP12ihipStream_tbEUlT_E1_NS1_11comp_targetILNS1_3genE4ELNS1_11target_archE910ELNS1_3gpuE8ELNS1_3repE0EEENS1_59segmented_radix_sort_warp_sort_small_config_static_selectorELNS0_4arch9wavefront6targetE0EEEvSK_.kd
    .uniform_work_group_size: 1
    .uses_dynamic_stack: false
    .vgpr_count:     0
    .vgpr_spill_count: 0
    .wavefront_size: 32
    .workgroup_processor_mode: 1
  - .args:
      - .offset:         0
        .size:           88
        .value_kind:     by_value
    .group_segment_fixed_size: 0
    .kernarg_segment_align: 8
    .kernarg_segment_size: 88
    .language:       OpenCL C
    .language_version:
      - 2
      - 0
    .max_flat_workgroup_size: 256
    .name:           _ZN7rocprim17ROCPRIM_400000_NS6detail17trampoline_kernelINS0_14default_configENS1_36segmented_radix_sort_config_selectorIilEEZNS1_25segmented_radix_sort_implIS3_Lb1EPKiPiPKlPlN2at6native12_GLOBAL__N_18offset_tEEE10hipError_tPvRmT1_PNSt15iterator_traitsISK_E10value_typeET2_T3_PNSL_ISQ_E10value_typeET4_jRbjT5_SW_jjP12ihipStream_tbEUlT_E1_NS1_11comp_targetILNS1_3genE3ELNS1_11target_archE908ELNS1_3gpuE7ELNS1_3repE0EEENS1_59segmented_radix_sort_warp_sort_small_config_static_selectorELNS0_4arch9wavefront6targetE0EEEvSK_
    .private_segment_fixed_size: 0
    .sgpr_count:     0
    .sgpr_spill_count: 0
    .symbol:         _ZN7rocprim17ROCPRIM_400000_NS6detail17trampoline_kernelINS0_14default_configENS1_36segmented_radix_sort_config_selectorIilEEZNS1_25segmented_radix_sort_implIS3_Lb1EPKiPiPKlPlN2at6native12_GLOBAL__N_18offset_tEEE10hipError_tPvRmT1_PNSt15iterator_traitsISK_E10value_typeET2_T3_PNSL_ISQ_E10value_typeET4_jRbjT5_SW_jjP12ihipStream_tbEUlT_E1_NS1_11comp_targetILNS1_3genE3ELNS1_11target_archE908ELNS1_3gpuE7ELNS1_3repE0EEENS1_59segmented_radix_sort_warp_sort_small_config_static_selectorELNS0_4arch9wavefront6targetE0EEEvSK_.kd
    .uniform_work_group_size: 1
    .uses_dynamic_stack: false
    .vgpr_count:     0
    .vgpr_spill_count: 0
    .wavefront_size: 32
    .workgroup_processor_mode: 1
  - .args:
      - .offset:         0
        .size:           88
        .value_kind:     by_value
    .group_segment_fixed_size: 0
    .kernarg_segment_align: 8
    .kernarg_segment_size: 88
    .language:       OpenCL C
    .language_version:
      - 2
      - 0
    .max_flat_workgroup_size: 256
    .name:           _ZN7rocprim17ROCPRIM_400000_NS6detail17trampoline_kernelINS0_14default_configENS1_36segmented_radix_sort_config_selectorIilEEZNS1_25segmented_radix_sort_implIS3_Lb1EPKiPiPKlPlN2at6native12_GLOBAL__N_18offset_tEEE10hipError_tPvRmT1_PNSt15iterator_traitsISK_E10value_typeET2_T3_PNSL_ISQ_E10value_typeET4_jRbjT5_SW_jjP12ihipStream_tbEUlT_E1_NS1_11comp_targetILNS1_3genE2ELNS1_11target_archE906ELNS1_3gpuE6ELNS1_3repE0EEENS1_59segmented_radix_sort_warp_sort_small_config_static_selectorELNS0_4arch9wavefront6targetE0EEEvSK_
    .private_segment_fixed_size: 0
    .sgpr_count:     0
    .sgpr_spill_count: 0
    .symbol:         _ZN7rocprim17ROCPRIM_400000_NS6detail17trampoline_kernelINS0_14default_configENS1_36segmented_radix_sort_config_selectorIilEEZNS1_25segmented_radix_sort_implIS3_Lb1EPKiPiPKlPlN2at6native12_GLOBAL__N_18offset_tEEE10hipError_tPvRmT1_PNSt15iterator_traitsISK_E10value_typeET2_T3_PNSL_ISQ_E10value_typeET4_jRbjT5_SW_jjP12ihipStream_tbEUlT_E1_NS1_11comp_targetILNS1_3genE2ELNS1_11target_archE906ELNS1_3gpuE6ELNS1_3repE0EEENS1_59segmented_radix_sort_warp_sort_small_config_static_selectorELNS0_4arch9wavefront6targetE0EEEvSK_.kd
    .uniform_work_group_size: 1
    .uses_dynamic_stack: false
    .vgpr_count:     0
    .vgpr_spill_count: 0
    .wavefront_size: 32
    .workgroup_processor_mode: 1
  - .args:
      - .offset:         0
        .size:           88
        .value_kind:     by_value
      - .offset:         88
        .size:           4
        .value_kind:     hidden_block_count_x
      - .offset:         92
        .size:           4
        .value_kind:     hidden_block_count_y
      - .offset:         96
        .size:           4
        .value_kind:     hidden_block_count_z
      - .offset:         100
        .size:           2
        .value_kind:     hidden_group_size_x
      - .offset:         102
        .size:           2
        .value_kind:     hidden_group_size_y
      - .offset:         104
        .size:           2
        .value_kind:     hidden_group_size_z
      - .offset:         106
        .size:           2
        .value_kind:     hidden_remainder_x
      - .offset:         108
        .size:           2
        .value_kind:     hidden_remainder_y
      - .offset:         110
        .size:           2
        .value_kind:     hidden_remainder_z
      - .offset:         128
        .size:           8
        .value_kind:     hidden_global_offset_x
      - .offset:         136
        .size:           8
        .value_kind:     hidden_global_offset_y
      - .offset:         144
        .size:           8
        .value_kind:     hidden_global_offset_z
      - .offset:         152
        .size:           2
        .value_kind:     hidden_grid_dims
    .group_segment_fixed_size: 12288
    .kernarg_segment_align: 8
    .kernarg_segment_size: 344
    .language:       OpenCL C
    .language_version:
      - 2
      - 0
    .max_flat_workgroup_size: 256
    .name:           _ZN7rocprim17ROCPRIM_400000_NS6detail17trampoline_kernelINS0_14default_configENS1_36segmented_radix_sort_config_selectorIilEEZNS1_25segmented_radix_sort_implIS3_Lb1EPKiPiPKlPlN2at6native12_GLOBAL__N_18offset_tEEE10hipError_tPvRmT1_PNSt15iterator_traitsISK_E10value_typeET2_T3_PNSL_ISQ_E10value_typeET4_jRbjT5_SW_jjP12ihipStream_tbEUlT_E1_NS1_11comp_targetILNS1_3genE10ELNS1_11target_archE1201ELNS1_3gpuE5ELNS1_3repE0EEENS1_59segmented_radix_sort_warp_sort_small_config_static_selectorELNS0_4arch9wavefront6targetE0EEEvSK_
    .private_segment_fixed_size: 0
    .sgpr_count:     35
    .sgpr_spill_count: 0
    .symbol:         _ZN7rocprim17ROCPRIM_400000_NS6detail17trampoline_kernelINS0_14default_configENS1_36segmented_radix_sort_config_selectorIilEEZNS1_25segmented_radix_sort_implIS3_Lb1EPKiPiPKlPlN2at6native12_GLOBAL__N_18offset_tEEE10hipError_tPvRmT1_PNSt15iterator_traitsISK_E10value_typeET2_T3_PNSL_ISQ_E10value_typeET4_jRbjT5_SW_jjP12ihipStream_tbEUlT_E1_NS1_11comp_targetILNS1_3genE10ELNS1_11target_archE1201ELNS1_3gpuE5ELNS1_3repE0EEENS1_59segmented_radix_sort_warp_sort_small_config_static_selectorELNS0_4arch9wavefront6targetE0EEEvSK_.kd
    .uniform_work_group_size: 1
    .uses_dynamic_stack: false
    .vgpr_count:     56
    .vgpr_spill_count: 0
    .wavefront_size: 32
    .workgroup_processor_mode: 1
  - .args:
      - .offset:         0
        .size:           88
        .value_kind:     by_value
    .group_segment_fixed_size: 0
    .kernarg_segment_align: 8
    .kernarg_segment_size: 88
    .language:       OpenCL C
    .language_version:
      - 2
      - 0
    .max_flat_workgroup_size: 256
    .name:           _ZN7rocprim17ROCPRIM_400000_NS6detail17trampoline_kernelINS0_14default_configENS1_36segmented_radix_sort_config_selectorIilEEZNS1_25segmented_radix_sort_implIS3_Lb1EPKiPiPKlPlN2at6native12_GLOBAL__N_18offset_tEEE10hipError_tPvRmT1_PNSt15iterator_traitsISK_E10value_typeET2_T3_PNSL_ISQ_E10value_typeET4_jRbjT5_SW_jjP12ihipStream_tbEUlT_E1_NS1_11comp_targetILNS1_3genE10ELNS1_11target_archE1200ELNS1_3gpuE4ELNS1_3repE0EEENS1_59segmented_radix_sort_warp_sort_small_config_static_selectorELNS0_4arch9wavefront6targetE0EEEvSK_
    .private_segment_fixed_size: 0
    .sgpr_count:     0
    .sgpr_spill_count: 0
    .symbol:         _ZN7rocprim17ROCPRIM_400000_NS6detail17trampoline_kernelINS0_14default_configENS1_36segmented_radix_sort_config_selectorIilEEZNS1_25segmented_radix_sort_implIS3_Lb1EPKiPiPKlPlN2at6native12_GLOBAL__N_18offset_tEEE10hipError_tPvRmT1_PNSt15iterator_traitsISK_E10value_typeET2_T3_PNSL_ISQ_E10value_typeET4_jRbjT5_SW_jjP12ihipStream_tbEUlT_E1_NS1_11comp_targetILNS1_3genE10ELNS1_11target_archE1200ELNS1_3gpuE4ELNS1_3repE0EEENS1_59segmented_radix_sort_warp_sort_small_config_static_selectorELNS0_4arch9wavefront6targetE0EEEvSK_.kd
    .uniform_work_group_size: 1
    .uses_dynamic_stack: false
    .vgpr_count:     0
    .vgpr_spill_count: 0
    .wavefront_size: 32
    .workgroup_processor_mode: 1
  - .args:
      - .offset:         0
        .size:           88
        .value_kind:     by_value
    .group_segment_fixed_size: 0
    .kernarg_segment_align: 8
    .kernarg_segment_size: 88
    .language:       OpenCL C
    .language_version:
      - 2
      - 0
    .max_flat_workgroup_size: 256
    .name:           _ZN7rocprim17ROCPRIM_400000_NS6detail17trampoline_kernelINS0_14default_configENS1_36segmented_radix_sort_config_selectorIilEEZNS1_25segmented_radix_sort_implIS3_Lb1EPKiPiPKlPlN2at6native12_GLOBAL__N_18offset_tEEE10hipError_tPvRmT1_PNSt15iterator_traitsISK_E10value_typeET2_T3_PNSL_ISQ_E10value_typeET4_jRbjT5_SW_jjP12ihipStream_tbEUlT_E1_NS1_11comp_targetILNS1_3genE9ELNS1_11target_archE1100ELNS1_3gpuE3ELNS1_3repE0EEENS1_59segmented_radix_sort_warp_sort_small_config_static_selectorELNS0_4arch9wavefront6targetE0EEEvSK_
    .private_segment_fixed_size: 0
    .sgpr_count:     0
    .sgpr_spill_count: 0
    .symbol:         _ZN7rocprim17ROCPRIM_400000_NS6detail17trampoline_kernelINS0_14default_configENS1_36segmented_radix_sort_config_selectorIilEEZNS1_25segmented_radix_sort_implIS3_Lb1EPKiPiPKlPlN2at6native12_GLOBAL__N_18offset_tEEE10hipError_tPvRmT1_PNSt15iterator_traitsISK_E10value_typeET2_T3_PNSL_ISQ_E10value_typeET4_jRbjT5_SW_jjP12ihipStream_tbEUlT_E1_NS1_11comp_targetILNS1_3genE9ELNS1_11target_archE1100ELNS1_3gpuE3ELNS1_3repE0EEENS1_59segmented_radix_sort_warp_sort_small_config_static_selectorELNS0_4arch9wavefront6targetE0EEEvSK_.kd
    .uniform_work_group_size: 1
    .uses_dynamic_stack: false
    .vgpr_count:     0
    .vgpr_spill_count: 0
    .wavefront_size: 32
    .workgroup_processor_mode: 1
  - .args:
      - .offset:         0
        .size:           88
        .value_kind:     by_value
    .group_segment_fixed_size: 0
    .kernarg_segment_align: 8
    .kernarg_segment_size: 88
    .language:       OpenCL C
    .language_version:
      - 2
      - 0
    .max_flat_workgroup_size: 256
    .name:           _ZN7rocprim17ROCPRIM_400000_NS6detail17trampoline_kernelINS0_14default_configENS1_36segmented_radix_sort_config_selectorIilEEZNS1_25segmented_radix_sort_implIS3_Lb1EPKiPiPKlPlN2at6native12_GLOBAL__N_18offset_tEEE10hipError_tPvRmT1_PNSt15iterator_traitsISK_E10value_typeET2_T3_PNSL_ISQ_E10value_typeET4_jRbjT5_SW_jjP12ihipStream_tbEUlT_E1_NS1_11comp_targetILNS1_3genE8ELNS1_11target_archE1030ELNS1_3gpuE2ELNS1_3repE0EEENS1_59segmented_radix_sort_warp_sort_small_config_static_selectorELNS0_4arch9wavefront6targetE0EEEvSK_
    .private_segment_fixed_size: 0
    .sgpr_count:     0
    .sgpr_spill_count: 0
    .symbol:         _ZN7rocprim17ROCPRIM_400000_NS6detail17trampoline_kernelINS0_14default_configENS1_36segmented_radix_sort_config_selectorIilEEZNS1_25segmented_radix_sort_implIS3_Lb1EPKiPiPKlPlN2at6native12_GLOBAL__N_18offset_tEEE10hipError_tPvRmT1_PNSt15iterator_traitsISK_E10value_typeET2_T3_PNSL_ISQ_E10value_typeET4_jRbjT5_SW_jjP12ihipStream_tbEUlT_E1_NS1_11comp_targetILNS1_3genE8ELNS1_11target_archE1030ELNS1_3gpuE2ELNS1_3repE0EEENS1_59segmented_radix_sort_warp_sort_small_config_static_selectorELNS0_4arch9wavefront6targetE0EEEvSK_.kd
    .uniform_work_group_size: 1
    .uses_dynamic_stack: false
    .vgpr_count:     0
    .vgpr_spill_count: 0
    .wavefront_size: 32
    .workgroup_processor_mode: 1
  - .args:
      - .offset:         0
        .size:           80
        .value_kind:     by_value
    .group_segment_fixed_size: 0
    .kernarg_segment_align: 8
    .kernarg_segment_size: 80
    .language:       OpenCL C
    .language_version:
      - 2
      - 0
    .max_flat_workgroup_size: 256
    .name:           _ZN7rocprim17ROCPRIM_400000_NS6detail17trampoline_kernelINS0_14default_configENS1_36segmented_radix_sort_config_selectorIilEEZNS1_25segmented_radix_sort_implIS3_Lb1EPKiPiPKlPlN2at6native12_GLOBAL__N_18offset_tEEE10hipError_tPvRmT1_PNSt15iterator_traitsISK_E10value_typeET2_T3_PNSL_ISQ_E10value_typeET4_jRbjT5_SW_jjP12ihipStream_tbEUlT_E2_NS1_11comp_targetILNS1_3genE0ELNS1_11target_archE4294967295ELNS1_3gpuE0ELNS1_3repE0EEENS1_30default_config_static_selectorELNS0_4arch9wavefront6targetE0EEEvSK_
    .private_segment_fixed_size: 0
    .sgpr_count:     0
    .sgpr_spill_count: 0
    .symbol:         _ZN7rocprim17ROCPRIM_400000_NS6detail17trampoline_kernelINS0_14default_configENS1_36segmented_radix_sort_config_selectorIilEEZNS1_25segmented_radix_sort_implIS3_Lb1EPKiPiPKlPlN2at6native12_GLOBAL__N_18offset_tEEE10hipError_tPvRmT1_PNSt15iterator_traitsISK_E10value_typeET2_T3_PNSL_ISQ_E10value_typeET4_jRbjT5_SW_jjP12ihipStream_tbEUlT_E2_NS1_11comp_targetILNS1_3genE0ELNS1_11target_archE4294967295ELNS1_3gpuE0ELNS1_3repE0EEENS1_30default_config_static_selectorELNS0_4arch9wavefront6targetE0EEEvSK_.kd
    .uniform_work_group_size: 1
    .uses_dynamic_stack: false
    .vgpr_count:     0
    .vgpr_spill_count: 0
    .wavefront_size: 32
    .workgroup_processor_mode: 1
  - .args:
      - .offset:         0
        .size:           80
        .value_kind:     by_value
    .group_segment_fixed_size: 0
    .kernarg_segment_align: 8
    .kernarg_segment_size: 80
    .language:       OpenCL C
    .language_version:
      - 2
      - 0
    .max_flat_workgroup_size: 256
    .name:           _ZN7rocprim17ROCPRIM_400000_NS6detail17trampoline_kernelINS0_14default_configENS1_36segmented_radix_sort_config_selectorIilEEZNS1_25segmented_radix_sort_implIS3_Lb1EPKiPiPKlPlN2at6native12_GLOBAL__N_18offset_tEEE10hipError_tPvRmT1_PNSt15iterator_traitsISK_E10value_typeET2_T3_PNSL_ISQ_E10value_typeET4_jRbjT5_SW_jjP12ihipStream_tbEUlT_E2_NS1_11comp_targetILNS1_3genE5ELNS1_11target_archE942ELNS1_3gpuE9ELNS1_3repE0EEENS1_30default_config_static_selectorELNS0_4arch9wavefront6targetE0EEEvSK_
    .private_segment_fixed_size: 0
    .sgpr_count:     0
    .sgpr_spill_count: 0
    .symbol:         _ZN7rocprim17ROCPRIM_400000_NS6detail17trampoline_kernelINS0_14default_configENS1_36segmented_radix_sort_config_selectorIilEEZNS1_25segmented_radix_sort_implIS3_Lb1EPKiPiPKlPlN2at6native12_GLOBAL__N_18offset_tEEE10hipError_tPvRmT1_PNSt15iterator_traitsISK_E10value_typeET2_T3_PNSL_ISQ_E10value_typeET4_jRbjT5_SW_jjP12ihipStream_tbEUlT_E2_NS1_11comp_targetILNS1_3genE5ELNS1_11target_archE942ELNS1_3gpuE9ELNS1_3repE0EEENS1_30default_config_static_selectorELNS0_4arch9wavefront6targetE0EEEvSK_.kd
    .uniform_work_group_size: 1
    .uses_dynamic_stack: false
    .vgpr_count:     0
    .vgpr_spill_count: 0
    .wavefront_size: 32
    .workgroup_processor_mode: 1
  - .args:
      - .offset:         0
        .size:           80
        .value_kind:     by_value
    .group_segment_fixed_size: 0
    .kernarg_segment_align: 8
    .kernarg_segment_size: 80
    .language:       OpenCL C
    .language_version:
      - 2
      - 0
    .max_flat_workgroup_size: 256
    .name:           _ZN7rocprim17ROCPRIM_400000_NS6detail17trampoline_kernelINS0_14default_configENS1_36segmented_radix_sort_config_selectorIilEEZNS1_25segmented_radix_sort_implIS3_Lb1EPKiPiPKlPlN2at6native12_GLOBAL__N_18offset_tEEE10hipError_tPvRmT1_PNSt15iterator_traitsISK_E10value_typeET2_T3_PNSL_ISQ_E10value_typeET4_jRbjT5_SW_jjP12ihipStream_tbEUlT_E2_NS1_11comp_targetILNS1_3genE4ELNS1_11target_archE910ELNS1_3gpuE8ELNS1_3repE0EEENS1_30default_config_static_selectorELNS0_4arch9wavefront6targetE0EEEvSK_
    .private_segment_fixed_size: 0
    .sgpr_count:     0
    .sgpr_spill_count: 0
    .symbol:         _ZN7rocprim17ROCPRIM_400000_NS6detail17trampoline_kernelINS0_14default_configENS1_36segmented_radix_sort_config_selectorIilEEZNS1_25segmented_radix_sort_implIS3_Lb1EPKiPiPKlPlN2at6native12_GLOBAL__N_18offset_tEEE10hipError_tPvRmT1_PNSt15iterator_traitsISK_E10value_typeET2_T3_PNSL_ISQ_E10value_typeET4_jRbjT5_SW_jjP12ihipStream_tbEUlT_E2_NS1_11comp_targetILNS1_3genE4ELNS1_11target_archE910ELNS1_3gpuE8ELNS1_3repE0EEENS1_30default_config_static_selectorELNS0_4arch9wavefront6targetE0EEEvSK_.kd
    .uniform_work_group_size: 1
    .uses_dynamic_stack: false
    .vgpr_count:     0
    .vgpr_spill_count: 0
    .wavefront_size: 32
    .workgroup_processor_mode: 1
  - .args:
      - .offset:         0
        .size:           80
        .value_kind:     by_value
    .group_segment_fixed_size: 0
    .kernarg_segment_align: 8
    .kernarg_segment_size: 80
    .language:       OpenCL C
    .language_version:
      - 2
      - 0
    .max_flat_workgroup_size: 256
    .name:           _ZN7rocprim17ROCPRIM_400000_NS6detail17trampoline_kernelINS0_14default_configENS1_36segmented_radix_sort_config_selectorIilEEZNS1_25segmented_radix_sort_implIS3_Lb1EPKiPiPKlPlN2at6native12_GLOBAL__N_18offset_tEEE10hipError_tPvRmT1_PNSt15iterator_traitsISK_E10value_typeET2_T3_PNSL_ISQ_E10value_typeET4_jRbjT5_SW_jjP12ihipStream_tbEUlT_E2_NS1_11comp_targetILNS1_3genE3ELNS1_11target_archE908ELNS1_3gpuE7ELNS1_3repE0EEENS1_30default_config_static_selectorELNS0_4arch9wavefront6targetE0EEEvSK_
    .private_segment_fixed_size: 0
    .sgpr_count:     0
    .sgpr_spill_count: 0
    .symbol:         _ZN7rocprim17ROCPRIM_400000_NS6detail17trampoline_kernelINS0_14default_configENS1_36segmented_radix_sort_config_selectorIilEEZNS1_25segmented_radix_sort_implIS3_Lb1EPKiPiPKlPlN2at6native12_GLOBAL__N_18offset_tEEE10hipError_tPvRmT1_PNSt15iterator_traitsISK_E10value_typeET2_T3_PNSL_ISQ_E10value_typeET4_jRbjT5_SW_jjP12ihipStream_tbEUlT_E2_NS1_11comp_targetILNS1_3genE3ELNS1_11target_archE908ELNS1_3gpuE7ELNS1_3repE0EEENS1_30default_config_static_selectorELNS0_4arch9wavefront6targetE0EEEvSK_.kd
    .uniform_work_group_size: 1
    .uses_dynamic_stack: false
    .vgpr_count:     0
    .vgpr_spill_count: 0
    .wavefront_size: 32
    .workgroup_processor_mode: 1
  - .args:
      - .offset:         0
        .size:           80
        .value_kind:     by_value
    .group_segment_fixed_size: 0
    .kernarg_segment_align: 8
    .kernarg_segment_size: 80
    .language:       OpenCL C
    .language_version:
      - 2
      - 0
    .max_flat_workgroup_size: 256
    .name:           _ZN7rocprim17ROCPRIM_400000_NS6detail17trampoline_kernelINS0_14default_configENS1_36segmented_radix_sort_config_selectorIilEEZNS1_25segmented_radix_sort_implIS3_Lb1EPKiPiPKlPlN2at6native12_GLOBAL__N_18offset_tEEE10hipError_tPvRmT1_PNSt15iterator_traitsISK_E10value_typeET2_T3_PNSL_ISQ_E10value_typeET4_jRbjT5_SW_jjP12ihipStream_tbEUlT_E2_NS1_11comp_targetILNS1_3genE2ELNS1_11target_archE906ELNS1_3gpuE6ELNS1_3repE0EEENS1_30default_config_static_selectorELNS0_4arch9wavefront6targetE0EEEvSK_
    .private_segment_fixed_size: 0
    .sgpr_count:     0
    .sgpr_spill_count: 0
    .symbol:         _ZN7rocprim17ROCPRIM_400000_NS6detail17trampoline_kernelINS0_14default_configENS1_36segmented_radix_sort_config_selectorIilEEZNS1_25segmented_radix_sort_implIS3_Lb1EPKiPiPKlPlN2at6native12_GLOBAL__N_18offset_tEEE10hipError_tPvRmT1_PNSt15iterator_traitsISK_E10value_typeET2_T3_PNSL_ISQ_E10value_typeET4_jRbjT5_SW_jjP12ihipStream_tbEUlT_E2_NS1_11comp_targetILNS1_3genE2ELNS1_11target_archE906ELNS1_3gpuE6ELNS1_3repE0EEENS1_30default_config_static_selectorELNS0_4arch9wavefront6targetE0EEEvSK_.kd
    .uniform_work_group_size: 1
    .uses_dynamic_stack: false
    .vgpr_count:     0
    .vgpr_spill_count: 0
    .wavefront_size: 32
    .workgroup_processor_mode: 1
  - .args:
      - .offset:         0
        .size:           80
        .value_kind:     by_value
      - .offset:         80
        .size:           4
        .value_kind:     hidden_block_count_x
      - .offset:         84
        .size:           4
        .value_kind:     hidden_block_count_y
      - .offset:         88
        .size:           4
        .value_kind:     hidden_block_count_z
      - .offset:         92
        .size:           2
        .value_kind:     hidden_group_size_x
      - .offset:         94
        .size:           2
        .value_kind:     hidden_group_size_y
      - .offset:         96
        .size:           2
        .value_kind:     hidden_group_size_z
      - .offset:         98
        .size:           2
        .value_kind:     hidden_remainder_x
      - .offset:         100
        .size:           2
        .value_kind:     hidden_remainder_y
      - .offset:         102
        .size:           2
        .value_kind:     hidden_remainder_z
      - .offset:         120
        .size:           8
        .value_kind:     hidden_global_offset_x
      - .offset:         128
        .size:           8
        .value_kind:     hidden_global_offset_y
      - .offset:         136
        .size:           8
        .value_kind:     hidden_global_offset_z
      - .offset:         144
        .size:           2
        .value_kind:     hidden_grid_dims
    .group_segment_fixed_size: 33824
    .kernarg_segment_align: 8
    .kernarg_segment_size: 336
    .language:       OpenCL C
    .language_version:
      - 2
      - 0
    .max_flat_workgroup_size: 256
    .name:           _ZN7rocprim17ROCPRIM_400000_NS6detail17trampoline_kernelINS0_14default_configENS1_36segmented_radix_sort_config_selectorIilEEZNS1_25segmented_radix_sort_implIS3_Lb1EPKiPiPKlPlN2at6native12_GLOBAL__N_18offset_tEEE10hipError_tPvRmT1_PNSt15iterator_traitsISK_E10value_typeET2_T3_PNSL_ISQ_E10value_typeET4_jRbjT5_SW_jjP12ihipStream_tbEUlT_E2_NS1_11comp_targetILNS1_3genE10ELNS1_11target_archE1201ELNS1_3gpuE5ELNS1_3repE0EEENS1_30default_config_static_selectorELNS0_4arch9wavefront6targetE0EEEvSK_
    .private_segment_fixed_size: 100
    .sgpr_count:     60
    .sgpr_spill_count: 0
    .symbol:         _ZN7rocprim17ROCPRIM_400000_NS6detail17trampoline_kernelINS0_14default_configENS1_36segmented_radix_sort_config_selectorIilEEZNS1_25segmented_radix_sort_implIS3_Lb1EPKiPiPKlPlN2at6native12_GLOBAL__N_18offset_tEEE10hipError_tPvRmT1_PNSt15iterator_traitsISK_E10value_typeET2_T3_PNSL_ISQ_E10value_typeET4_jRbjT5_SW_jjP12ihipStream_tbEUlT_E2_NS1_11comp_targetILNS1_3genE10ELNS1_11target_archE1201ELNS1_3gpuE5ELNS1_3repE0EEENS1_30default_config_static_selectorELNS0_4arch9wavefront6targetE0EEEvSK_.kd
    .uniform_work_group_size: 1
    .uses_dynamic_stack: false
    .vgpr_count:     248
    .vgpr_spill_count: 0
    .wavefront_size: 32
    .workgroup_processor_mode: 1
  - .args:
      - .offset:         0
        .size:           80
        .value_kind:     by_value
    .group_segment_fixed_size: 0
    .kernarg_segment_align: 8
    .kernarg_segment_size: 80
    .language:       OpenCL C
    .language_version:
      - 2
      - 0
    .max_flat_workgroup_size: 128
    .name:           _ZN7rocprim17ROCPRIM_400000_NS6detail17trampoline_kernelINS0_14default_configENS1_36segmented_radix_sort_config_selectorIilEEZNS1_25segmented_radix_sort_implIS3_Lb1EPKiPiPKlPlN2at6native12_GLOBAL__N_18offset_tEEE10hipError_tPvRmT1_PNSt15iterator_traitsISK_E10value_typeET2_T3_PNSL_ISQ_E10value_typeET4_jRbjT5_SW_jjP12ihipStream_tbEUlT_E2_NS1_11comp_targetILNS1_3genE10ELNS1_11target_archE1200ELNS1_3gpuE4ELNS1_3repE0EEENS1_30default_config_static_selectorELNS0_4arch9wavefront6targetE0EEEvSK_
    .private_segment_fixed_size: 0
    .sgpr_count:     0
    .sgpr_spill_count: 0
    .symbol:         _ZN7rocprim17ROCPRIM_400000_NS6detail17trampoline_kernelINS0_14default_configENS1_36segmented_radix_sort_config_selectorIilEEZNS1_25segmented_radix_sort_implIS3_Lb1EPKiPiPKlPlN2at6native12_GLOBAL__N_18offset_tEEE10hipError_tPvRmT1_PNSt15iterator_traitsISK_E10value_typeET2_T3_PNSL_ISQ_E10value_typeET4_jRbjT5_SW_jjP12ihipStream_tbEUlT_E2_NS1_11comp_targetILNS1_3genE10ELNS1_11target_archE1200ELNS1_3gpuE4ELNS1_3repE0EEENS1_30default_config_static_selectorELNS0_4arch9wavefront6targetE0EEEvSK_.kd
    .uniform_work_group_size: 1
    .uses_dynamic_stack: false
    .vgpr_count:     0
    .vgpr_spill_count: 0
    .wavefront_size: 32
    .workgroup_processor_mode: 1
  - .args:
      - .offset:         0
        .size:           80
        .value_kind:     by_value
    .group_segment_fixed_size: 0
    .kernarg_segment_align: 8
    .kernarg_segment_size: 80
    .language:       OpenCL C
    .language_version:
      - 2
      - 0
    .max_flat_workgroup_size: 256
    .name:           _ZN7rocprim17ROCPRIM_400000_NS6detail17trampoline_kernelINS0_14default_configENS1_36segmented_radix_sort_config_selectorIilEEZNS1_25segmented_radix_sort_implIS3_Lb1EPKiPiPKlPlN2at6native12_GLOBAL__N_18offset_tEEE10hipError_tPvRmT1_PNSt15iterator_traitsISK_E10value_typeET2_T3_PNSL_ISQ_E10value_typeET4_jRbjT5_SW_jjP12ihipStream_tbEUlT_E2_NS1_11comp_targetILNS1_3genE9ELNS1_11target_archE1100ELNS1_3gpuE3ELNS1_3repE0EEENS1_30default_config_static_selectorELNS0_4arch9wavefront6targetE0EEEvSK_
    .private_segment_fixed_size: 0
    .sgpr_count:     0
    .sgpr_spill_count: 0
    .symbol:         _ZN7rocprim17ROCPRIM_400000_NS6detail17trampoline_kernelINS0_14default_configENS1_36segmented_radix_sort_config_selectorIilEEZNS1_25segmented_radix_sort_implIS3_Lb1EPKiPiPKlPlN2at6native12_GLOBAL__N_18offset_tEEE10hipError_tPvRmT1_PNSt15iterator_traitsISK_E10value_typeET2_T3_PNSL_ISQ_E10value_typeET4_jRbjT5_SW_jjP12ihipStream_tbEUlT_E2_NS1_11comp_targetILNS1_3genE9ELNS1_11target_archE1100ELNS1_3gpuE3ELNS1_3repE0EEENS1_30default_config_static_selectorELNS0_4arch9wavefront6targetE0EEEvSK_.kd
    .uniform_work_group_size: 1
    .uses_dynamic_stack: false
    .vgpr_count:     0
    .vgpr_spill_count: 0
    .wavefront_size: 32
    .workgroup_processor_mode: 1
  - .args:
      - .offset:         0
        .size:           80
        .value_kind:     by_value
    .group_segment_fixed_size: 0
    .kernarg_segment_align: 8
    .kernarg_segment_size: 80
    .language:       OpenCL C
    .language_version:
      - 2
      - 0
    .max_flat_workgroup_size: 256
    .name:           _ZN7rocprim17ROCPRIM_400000_NS6detail17trampoline_kernelINS0_14default_configENS1_36segmented_radix_sort_config_selectorIilEEZNS1_25segmented_radix_sort_implIS3_Lb1EPKiPiPKlPlN2at6native12_GLOBAL__N_18offset_tEEE10hipError_tPvRmT1_PNSt15iterator_traitsISK_E10value_typeET2_T3_PNSL_ISQ_E10value_typeET4_jRbjT5_SW_jjP12ihipStream_tbEUlT_E2_NS1_11comp_targetILNS1_3genE8ELNS1_11target_archE1030ELNS1_3gpuE2ELNS1_3repE0EEENS1_30default_config_static_selectorELNS0_4arch9wavefront6targetE0EEEvSK_
    .private_segment_fixed_size: 0
    .sgpr_count:     0
    .sgpr_spill_count: 0
    .symbol:         _ZN7rocprim17ROCPRIM_400000_NS6detail17trampoline_kernelINS0_14default_configENS1_36segmented_radix_sort_config_selectorIilEEZNS1_25segmented_radix_sort_implIS3_Lb1EPKiPiPKlPlN2at6native12_GLOBAL__N_18offset_tEEE10hipError_tPvRmT1_PNSt15iterator_traitsISK_E10value_typeET2_T3_PNSL_ISQ_E10value_typeET4_jRbjT5_SW_jjP12ihipStream_tbEUlT_E2_NS1_11comp_targetILNS1_3genE8ELNS1_11target_archE1030ELNS1_3gpuE2ELNS1_3repE0EEENS1_30default_config_static_selectorELNS0_4arch9wavefront6targetE0EEEvSK_.kd
    .uniform_work_group_size: 1
    .uses_dynamic_stack: false
    .vgpr_count:     0
    .vgpr_spill_count: 0
    .wavefront_size: 32
    .workgroup_processor_mode: 1
  - .args:
      - .offset:         0
        .size:           176
        .value_kind:     by_value
    .group_segment_fixed_size: 0
    .kernarg_segment_align: 8
    .kernarg_segment_size: 176
    .language:       OpenCL C
    .language_version:
      - 2
      - 0
    .max_flat_workgroup_size: 256
    .name:           _ZN7rocprim17ROCPRIM_400000_NS6detail17trampoline_kernelINS0_13select_configILj256ELj13ELNS0_17block_load_methodE3ELS4_3ELS4_3ELNS0_20block_scan_algorithmE0ELj4294967295EEENS1_25partition_config_selectorILNS1_17partition_subalgoE4EjNS0_10empty_typeEbEEZZNS1_14partition_implILS8_4ELb0ES6_15HIP_vector_typeIjLj2EENS0_17counting_iteratorIjlEEPS9_SG_NS0_5tupleIJPjSI_NS0_16reverse_iteratorISI_EEEEENSH_IJSG_SG_SG_EEES9_SI_JZNS1_25segmented_radix_sort_implINS0_14default_configELb0EPKiPiPKlPlN2at6native12_GLOBAL__N_18offset_tEEE10hipError_tPvRmT1_PNSt15iterator_traitsIS12_E10value_typeET2_T3_PNS13_IS18_E10value_typeET4_jRbjT5_S1E_jjP12ihipStream_tbEUljE_ZNSN_ISO_Lb0ESQ_SR_ST_SU_SY_EESZ_S10_S11_S12_S16_S17_S18_S1B_S1C_jS1D_jS1E_S1E_jjS1G_bEUljE0_EEESZ_S10_S11_S18_S1C_S1E_T6_T7_T9_mT8_S1G_bDpT10_ENKUlT_T0_E_clISt17integral_constantIbLb0EES1U_EEDaS1P_S1Q_EUlS1P_E_NS1_11comp_targetILNS1_3genE0ELNS1_11target_archE4294967295ELNS1_3gpuE0ELNS1_3repE0EEENS1_30default_config_static_selectorELNS0_4arch9wavefront6targetE0EEEvS12_
    .private_segment_fixed_size: 0
    .sgpr_count:     0
    .sgpr_spill_count: 0
    .symbol:         _ZN7rocprim17ROCPRIM_400000_NS6detail17trampoline_kernelINS0_13select_configILj256ELj13ELNS0_17block_load_methodE3ELS4_3ELS4_3ELNS0_20block_scan_algorithmE0ELj4294967295EEENS1_25partition_config_selectorILNS1_17partition_subalgoE4EjNS0_10empty_typeEbEEZZNS1_14partition_implILS8_4ELb0ES6_15HIP_vector_typeIjLj2EENS0_17counting_iteratorIjlEEPS9_SG_NS0_5tupleIJPjSI_NS0_16reverse_iteratorISI_EEEEENSH_IJSG_SG_SG_EEES9_SI_JZNS1_25segmented_radix_sort_implINS0_14default_configELb0EPKiPiPKlPlN2at6native12_GLOBAL__N_18offset_tEEE10hipError_tPvRmT1_PNSt15iterator_traitsIS12_E10value_typeET2_T3_PNS13_IS18_E10value_typeET4_jRbjT5_S1E_jjP12ihipStream_tbEUljE_ZNSN_ISO_Lb0ESQ_SR_ST_SU_SY_EESZ_S10_S11_S12_S16_S17_S18_S1B_S1C_jS1D_jS1E_S1E_jjS1G_bEUljE0_EEESZ_S10_S11_S18_S1C_S1E_T6_T7_T9_mT8_S1G_bDpT10_ENKUlT_T0_E_clISt17integral_constantIbLb0EES1U_EEDaS1P_S1Q_EUlS1P_E_NS1_11comp_targetILNS1_3genE0ELNS1_11target_archE4294967295ELNS1_3gpuE0ELNS1_3repE0EEENS1_30default_config_static_selectorELNS0_4arch9wavefront6targetE0EEEvS12_.kd
    .uniform_work_group_size: 1
    .uses_dynamic_stack: false
    .vgpr_count:     0
    .vgpr_spill_count: 0
    .wavefront_size: 32
    .workgroup_processor_mode: 1
  - .args:
      - .offset:         0
        .size:           176
        .value_kind:     by_value
    .group_segment_fixed_size: 0
    .kernarg_segment_align: 8
    .kernarg_segment_size: 176
    .language:       OpenCL C
    .language_version:
      - 2
      - 0
    .max_flat_workgroup_size: 256
    .name:           _ZN7rocprim17ROCPRIM_400000_NS6detail17trampoline_kernelINS0_13select_configILj256ELj13ELNS0_17block_load_methodE3ELS4_3ELS4_3ELNS0_20block_scan_algorithmE0ELj4294967295EEENS1_25partition_config_selectorILNS1_17partition_subalgoE4EjNS0_10empty_typeEbEEZZNS1_14partition_implILS8_4ELb0ES6_15HIP_vector_typeIjLj2EENS0_17counting_iteratorIjlEEPS9_SG_NS0_5tupleIJPjSI_NS0_16reverse_iteratorISI_EEEEENSH_IJSG_SG_SG_EEES9_SI_JZNS1_25segmented_radix_sort_implINS0_14default_configELb0EPKiPiPKlPlN2at6native12_GLOBAL__N_18offset_tEEE10hipError_tPvRmT1_PNSt15iterator_traitsIS12_E10value_typeET2_T3_PNS13_IS18_E10value_typeET4_jRbjT5_S1E_jjP12ihipStream_tbEUljE_ZNSN_ISO_Lb0ESQ_SR_ST_SU_SY_EESZ_S10_S11_S12_S16_S17_S18_S1B_S1C_jS1D_jS1E_S1E_jjS1G_bEUljE0_EEESZ_S10_S11_S18_S1C_S1E_T6_T7_T9_mT8_S1G_bDpT10_ENKUlT_T0_E_clISt17integral_constantIbLb0EES1U_EEDaS1P_S1Q_EUlS1P_E_NS1_11comp_targetILNS1_3genE5ELNS1_11target_archE942ELNS1_3gpuE9ELNS1_3repE0EEENS1_30default_config_static_selectorELNS0_4arch9wavefront6targetE0EEEvS12_
    .private_segment_fixed_size: 0
    .sgpr_count:     0
    .sgpr_spill_count: 0
    .symbol:         _ZN7rocprim17ROCPRIM_400000_NS6detail17trampoline_kernelINS0_13select_configILj256ELj13ELNS0_17block_load_methodE3ELS4_3ELS4_3ELNS0_20block_scan_algorithmE0ELj4294967295EEENS1_25partition_config_selectorILNS1_17partition_subalgoE4EjNS0_10empty_typeEbEEZZNS1_14partition_implILS8_4ELb0ES6_15HIP_vector_typeIjLj2EENS0_17counting_iteratorIjlEEPS9_SG_NS0_5tupleIJPjSI_NS0_16reverse_iteratorISI_EEEEENSH_IJSG_SG_SG_EEES9_SI_JZNS1_25segmented_radix_sort_implINS0_14default_configELb0EPKiPiPKlPlN2at6native12_GLOBAL__N_18offset_tEEE10hipError_tPvRmT1_PNSt15iterator_traitsIS12_E10value_typeET2_T3_PNS13_IS18_E10value_typeET4_jRbjT5_S1E_jjP12ihipStream_tbEUljE_ZNSN_ISO_Lb0ESQ_SR_ST_SU_SY_EESZ_S10_S11_S12_S16_S17_S18_S1B_S1C_jS1D_jS1E_S1E_jjS1G_bEUljE0_EEESZ_S10_S11_S18_S1C_S1E_T6_T7_T9_mT8_S1G_bDpT10_ENKUlT_T0_E_clISt17integral_constantIbLb0EES1U_EEDaS1P_S1Q_EUlS1P_E_NS1_11comp_targetILNS1_3genE5ELNS1_11target_archE942ELNS1_3gpuE9ELNS1_3repE0EEENS1_30default_config_static_selectorELNS0_4arch9wavefront6targetE0EEEvS12_.kd
    .uniform_work_group_size: 1
    .uses_dynamic_stack: false
    .vgpr_count:     0
    .vgpr_spill_count: 0
    .wavefront_size: 32
    .workgroup_processor_mode: 1
  - .args:
      - .offset:         0
        .size:           176
        .value_kind:     by_value
    .group_segment_fixed_size: 0
    .kernarg_segment_align: 8
    .kernarg_segment_size: 176
    .language:       OpenCL C
    .language_version:
      - 2
      - 0
    .max_flat_workgroup_size: 256
    .name:           _ZN7rocprim17ROCPRIM_400000_NS6detail17trampoline_kernelINS0_13select_configILj256ELj13ELNS0_17block_load_methodE3ELS4_3ELS4_3ELNS0_20block_scan_algorithmE0ELj4294967295EEENS1_25partition_config_selectorILNS1_17partition_subalgoE4EjNS0_10empty_typeEbEEZZNS1_14partition_implILS8_4ELb0ES6_15HIP_vector_typeIjLj2EENS0_17counting_iteratorIjlEEPS9_SG_NS0_5tupleIJPjSI_NS0_16reverse_iteratorISI_EEEEENSH_IJSG_SG_SG_EEES9_SI_JZNS1_25segmented_radix_sort_implINS0_14default_configELb0EPKiPiPKlPlN2at6native12_GLOBAL__N_18offset_tEEE10hipError_tPvRmT1_PNSt15iterator_traitsIS12_E10value_typeET2_T3_PNS13_IS18_E10value_typeET4_jRbjT5_S1E_jjP12ihipStream_tbEUljE_ZNSN_ISO_Lb0ESQ_SR_ST_SU_SY_EESZ_S10_S11_S12_S16_S17_S18_S1B_S1C_jS1D_jS1E_S1E_jjS1G_bEUljE0_EEESZ_S10_S11_S18_S1C_S1E_T6_T7_T9_mT8_S1G_bDpT10_ENKUlT_T0_E_clISt17integral_constantIbLb0EES1U_EEDaS1P_S1Q_EUlS1P_E_NS1_11comp_targetILNS1_3genE4ELNS1_11target_archE910ELNS1_3gpuE8ELNS1_3repE0EEENS1_30default_config_static_selectorELNS0_4arch9wavefront6targetE0EEEvS12_
    .private_segment_fixed_size: 0
    .sgpr_count:     0
    .sgpr_spill_count: 0
    .symbol:         _ZN7rocprim17ROCPRIM_400000_NS6detail17trampoline_kernelINS0_13select_configILj256ELj13ELNS0_17block_load_methodE3ELS4_3ELS4_3ELNS0_20block_scan_algorithmE0ELj4294967295EEENS1_25partition_config_selectorILNS1_17partition_subalgoE4EjNS0_10empty_typeEbEEZZNS1_14partition_implILS8_4ELb0ES6_15HIP_vector_typeIjLj2EENS0_17counting_iteratorIjlEEPS9_SG_NS0_5tupleIJPjSI_NS0_16reverse_iteratorISI_EEEEENSH_IJSG_SG_SG_EEES9_SI_JZNS1_25segmented_radix_sort_implINS0_14default_configELb0EPKiPiPKlPlN2at6native12_GLOBAL__N_18offset_tEEE10hipError_tPvRmT1_PNSt15iterator_traitsIS12_E10value_typeET2_T3_PNS13_IS18_E10value_typeET4_jRbjT5_S1E_jjP12ihipStream_tbEUljE_ZNSN_ISO_Lb0ESQ_SR_ST_SU_SY_EESZ_S10_S11_S12_S16_S17_S18_S1B_S1C_jS1D_jS1E_S1E_jjS1G_bEUljE0_EEESZ_S10_S11_S18_S1C_S1E_T6_T7_T9_mT8_S1G_bDpT10_ENKUlT_T0_E_clISt17integral_constantIbLb0EES1U_EEDaS1P_S1Q_EUlS1P_E_NS1_11comp_targetILNS1_3genE4ELNS1_11target_archE910ELNS1_3gpuE8ELNS1_3repE0EEENS1_30default_config_static_selectorELNS0_4arch9wavefront6targetE0EEEvS12_.kd
    .uniform_work_group_size: 1
    .uses_dynamic_stack: false
    .vgpr_count:     0
    .vgpr_spill_count: 0
    .wavefront_size: 32
    .workgroup_processor_mode: 1
  - .args:
      - .offset:         0
        .size:           176
        .value_kind:     by_value
    .group_segment_fixed_size: 0
    .kernarg_segment_align: 8
    .kernarg_segment_size: 176
    .language:       OpenCL C
    .language_version:
      - 2
      - 0
    .max_flat_workgroup_size: 256
    .name:           _ZN7rocprim17ROCPRIM_400000_NS6detail17trampoline_kernelINS0_13select_configILj256ELj13ELNS0_17block_load_methodE3ELS4_3ELS4_3ELNS0_20block_scan_algorithmE0ELj4294967295EEENS1_25partition_config_selectorILNS1_17partition_subalgoE4EjNS0_10empty_typeEbEEZZNS1_14partition_implILS8_4ELb0ES6_15HIP_vector_typeIjLj2EENS0_17counting_iteratorIjlEEPS9_SG_NS0_5tupleIJPjSI_NS0_16reverse_iteratorISI_EEEEENSH_IJSG_SG_SG_EEES9_SI_JZNS1_25segmented_radix_sort_implINS0_14default_configELb0EPKiPiPKlPlN2at6native12_GLOBAL__N_18offset_tEEE10hipError_tPvRmT1_PNSt15iterator_traitsIS12_E10value_typeET2_T3_PNS13_IS18_E10value_typeET4_jRbjT5_S1E_jjP12ihipStream_tbEUljE_ZNSN_ISO_Lb0ESQ_SR_ST_SU_SY_EESZ_S10_S11_S12_S16_S17_S18_S1B_S1C_jS1D_jS1E_S1E_jjS1G_bEUljE0_EEESZ_S10_S11_S18_S1C_S1E_T6_T7_T9_mT8_S1G_bDpT10_ENKUlT_T0_E_clISt17integral_constantIbLb0EES1U_EEDaS1P_S1Q_EUlS1P_E_NS1_11comp_targetILNS1_3genE3ELNS1_11target_archE908ELNS1_3gpuE7ELNS1_3repE0EEENS1_30default_config_static_selectorELNS0_4arch9wavefront6targetE0EEEvS12_
    .private_segment_fixed_size: 0
    .sgpr_count:     0
    .sgpr_spill_count: 0
    .symbol:         _ZN7rocprim17ROCPRIM_400000_NS6detail17trampoline_kernelINS0_13select_configILj256ELj13ELNS0_17block_load_methodE3ELS4_3ELS4_3ELNS0_20block_scan_algorithmE0ELj4294967295EEENS1_25partition_config_selectorILNS1_17partition_subalgoE4EjNS0_10empty_typeEbEEZZNS1_14partition_implILS8_4ELb0ES6_15HIP_vector_typeIjLj2EENS0_17counting_iteratorIjlEEPS9_SG_NS0_5tupleIJPjSI_NS0_16reverse_iteratorISI_EEEEENSH_IJSG_SG_SG_EEES9_SI_JZNS1_25segmented_radix_sort_implINS0_14default_configELb0EPKiPiPKlPlN2at6native12_GLOBAL__N_18offset_tEEE10hipError_tPvRmT1_PNSt15iterator_traitsIS12_E10value_typeET2_T3_PNS13_IS18_E10value_typeET4_jRbjT5_S1E_jjP12ihipStream_tbEUljE_ZNSN_ISO_Lb0ESQ_SR_ST_SU_SY_EESZ_S10_S11_S12_S16_S17_S18_S1B_S1C_jS1D_jS1E_S1E_jjS1G_bEUljE0_EEESZ_S10_S11_S18_S1C_S1E_T6_T7_T9_mT8_S1G_bDpT10_ENKUlT_T0_E_clISt17integral_constantIbLb0EES1U_EEDaS1P_S1Q_EUlS1P_E_NS1_11comp_targetILNS1_3genE3ELNS1_11target_archE908ELNS1_3gpuE7ELNS1_3repE0EEENS1_30default_config_static_selectorELNS0_4arch9wavefront6targetE0EEEvS12_.kd
    .uniform_work_group_size: 1
    .uses_dynamic_stack: false
    .vgpr_count:     0
    .vgpr_spill_count: 0
    .wavefront_size: 32
    .workgroup_processor_mode: 1
  - .args:
      - .offset:         0
        .size:           176
        .value_kind:     by_value
    .group_segment_fixed_size: 0
    .kernarg_segment_align: 8
    .kernarg_segment_size: 176
    .language:       OpenCL C
    .language_version:
      - 2
      - 0
    .max_flat_workgroup_size: 256
    .name:           _ZN7rocprim17ROCPRIM_400000_NS6detail17trampoline_kernelINS0_13select_configILj256ELj13ELNS0_17block_load_methodE3ELS4_3ELS4_3ELNS0_20block_scan_algorithmE0ELj4294967295EEENS1_25partition_config_selectorILNS1_17partition_subalgoE4EjNS0_10empty_typeEbEEZZNS1_14partition_implILS8_4ELb0ES6_15HIP_vector_typeIjLj2EENS0_17counting_iteratorIjlEEPS9_SG_NS0_5tupleIJPjSI_NS0_16reverse_iteratorISI_EEEEENSH_IJSG_SG_SG_EEES9_SI_JZNS1_25segmented_radix_sort_implINS0_14default_configELb0EPKiPiPKlPlN2at6native12_GLOBAL__N_18offset_tEEE10hipError_tPvRmT1_PNSt15iterator_traitsIS12_E10value_typeET2_T3_PNS13_IS18_E10value_typeET4_jRbjT5_S1E_jjP12ihipStream_tbEUljE_ZNSN_ISO_Lb0ESQ_SR_ST_SU_SY_EESZ_S10_S11_S12_S16_S17_S18_S1B_S1C_jS1D_jS1E_S1E_jjS1G_bEUljE0_EEESZ_S10_S11_S18_S1C_S1E_T6_T7_T9_mT8_S1G_bDpT10_ENKUlT_T0_E_clISt17integral_constantIbLb0EES1U_EEDaS1P_S1Q_EUlS1P_E_NS1_11comp_targetILNS1_3genE2ELNS1_11target_archE906ELNS1_3gpuE6ELNS1_3repE0EEENS1_30default_config_static_selectorELNS0_4arch9wavefront6targetE0EEEvS12_
    .private_segment_fixed_size: 0
    .sgpr_count:     0
    .sgpr_spill_count: 0
    .symbol:         _ZN7rocprim17ROCPRIM_400000_NS6detail17trampoline_kernelINS0_13select_configILj256ELj13ELNS0_17block_load_methodE3ELS4_3ELS4_3ELNS0_20block_scan_algorithmE0ELj4294967295EEENS1_25partition_config_selectorILNS1_17partition_subalgoE4EjNS0_10empty_typeEbEEZZNS1_14partition_implILS8_4ELb0ES6_15HIP_vector_typeIjLj2EENS0_17counting_iteratorIjlEEPS9_SG_NS0_5tupleIJPjSI_NS0_16reverse_iteratorISI_EEEEENSH_IJSG_SG_SG_EEES9_SI_JZNS1_25segmented_radix_sort_implINS0_14default_configELb0EPKiPiPKlPlN2at6native12_GLOBAL__N_18offset_tEEE10hipError_tPvRmT1_PNSt15iterator_traitsIS12_E10value_typeET2_T3_PNS13_IS18_E10value_typeET4_jRbjT5_S1E_jjP12ihipStream_tbEUljE_ZNSN_ISO_Lb0ESQ_SR_ST_SU_SY_EESZ_S10_S11_S12_S16_S17_S18_S1B_S1C_jS1D_jS1E_S1E_jjS1G_bEUljE0_EEESZ_S10_S11_S18_S1C_S1E_T6_T7_T9_mT8_S1G_bDpT10_ENKUlT_T0_E_clISt17integral_constantIbLb0EES1U_EEDaS1P_S1Q_EUlS1P_E_NS1_11comp_targetILNS1_3genE2ELNS1_11target_archE906ELNS1_3gpuE6ELNS1_3repE0EEENS1_30default_config_static_selectorELNS0_4arch9wavefront6targetE0EEEvS12_.kd
    .uniform_work_group_size: 1
    .uses_dynamic_stack: false
    .vgpr_count:     0
    .vgpr_spill_count: 0
    .wavefront_size: 32
    .workgroup_processor_mode: 1
  - .args:
      - .offset:         0
        .size:           176
        .value_kind:     by_value
    .group_segment_fixed_size: 13328
    .kernarg_segment_align: 8
    .kernarg_segment_size: 176
    .language:       OpenCL C
    .language_version:
      - 2
      - 0
    .max_flat_workgroup_size: 256
    .name:           _ZN7rocprim17ROCPRIM_400000_NS6detail17trampoline_kernelINS0_13select_configILj256ELj13ELNS0_17block_load_methodE3ELS4_3ELS4_3ELNS0_20block_scan_algorithmE0ELj4294967295EEENS1_25partition_config_selectorILNS1_17partition_subalgoE4EjNS0_10empty_typeEbEEZZNS1_14partition_implILS8_4ELb0ES6_15HIP_vector_typeIjLj2EENS0_17counting_iteratorIjlEEPS9_SG_NS0_5tupleIJPjSI_NS0_16reverse_iteratorISI_EEEEENSH_IJSG_SG_SG_EEES9_SI_JZNS1_25segmented_radix_sort_implINS0_14default_configELb0EPKiPiPKlPlN2at6native12_GLOBAL__N_18offset_tEEE10hipError_tPvRmT1_PNSt15iterator_traitsIS12_E10value_typeET2_T3_PNS13_IS18_E10value_typeET4_jRbjT5_S1E_jjP12ihipStream_tbEUljE_ZNSN_ISO_Lb0ESQ_SR_ST_SU_SY_EESZ_S10_S11_S12_S16_S17_S18_S1B_S1C_jS1D_jS1E_S1E_jjS1G_bEUljE0_EEESZ_S10_S11_S18_S1C_S1E_T6_T7_T9_mT8_S1G_bDpT10_ENKUlT_T0_E_clISt17integral_constantIbLb0EES1U_EEDaS1P_S1Q_EUlS1P_E_NS1_11comp_targetILNS1_3genE10ELNS1_11target_archE1200ELNS1_3gpuE4ELNS1_3repE0EEENS1_30default_config_static_selectorELNS0_4arch9wavefront6targetE0EEEvS12_
    .private_segment_fixed_size: 0
    .sgpr_count:     60
    .sgpr_spill_count: 0
    .symbol:         _ZN7rocprim17ROCPRIM_400000_NS6detail17trampoline_kernelINS0_13select_configILj256ELj13ELNS0_17block_load_methodE3ELS4_3ELS4_3ELNS0_20block_scan_algorithmE0ELj4294967295EEENS1_25partition_config_selectorILNS1_17partition_subalgoE4EjNS0_10empty_typeEbEEZZNS1_14partition_implILS8_4ELb0ES6_15HIP_vector_typeIjLj2EENS0_17counting_iteratorIjlEEPS9_SG_NS0_5tupleIJPjSI_NS0_16reverse_iteratorISI_EEEEENSH_IJSG_SG_SG_EEES9_SI_JZNS1_25segmented_radix_sort_implINS0_14default_configELb0EPKiPiPKlPlN2at6native12_GLOBAL__N_18offset_tEEE10hipError_tPvRmT1_PNSt15iterator_traitsIS12_E10value_typeET2_T3_PNS13_IS18_E10value_typeET4_jRbjT5_S1E_jjP12ihipStream_tbEUljE_ZNSN_ISO_Lb0ESQ_SR_ST_SU_SY_EESZ_S10_S11_S12_S16_S17_S18_S1B_S1C_jS1D_jS1E_S1E_jjS1G_bEUljE0_EEESZ_S10_S11_S18_S1C_S1E_T6_T7_T9_mT8_S1G_bDpT10_ENKUlT_T0_E_clISt17integral_constantIbLb0EES1U_EEDaS1P_S1Q_EUlS1P_E_NS1_11comp_targetILNS1_3genE10ELNS1_11target_archE1200ELNS1_3gpuE4ELNS1_3repE0EEENS1_30default_config_static_selectorELNS0_4arch9wavefront6targetE0EEEvS12_.kd
    .uniform_work_group_size: 1
    .uses_dynamic_stack: false
    .vgpr_count:     93
    .vgpr_spill_count: 0
    .wavefront_size: 32
    .workgroup_processor_mode: 1
  - .args:
      - .offset:         0
        .size:           176
        .value_kind:     by_value
    .group_segment_fixed_size: 0
    .kernarg_segment_align: 8
    .kernarg_segment_size: 176
    .language:       OpenCL C
    .language_version:
      - 2
      - 0
    .max_flat_workgroup_size: 256
    .name:           _ZN7rocprim17ROCPRIM_400000_NS6detail17trampoline_kernelINS0_13select_configILj256ELj13ELNS0_17block_load_methodE3ELS4_3ELS4_3ELNS0_20block_scan_algorithmE0ELj4294967295EEENS1_25partition_config_selectorILNS1_17partition_subalgoE4EjNS0_10empty_typeEbEEZZNS1_14partition_implILS8_4ELb0ES6_15HIP_vector_typeIjLj2EENS0_17counting_iteratorIjlEEPS9_SG_NS0_5tupleIJPjSI_NS0_16reverse_iteratorISI_EEEEENSH_IJSG_SG_SG_EEES9_SI_JZNS1_25segmented_radix_sort_implINS0_14default_configELb0EPKiPiPKlPlN2at6native12_GLOBAL__N_18offset_tEEE10hipError_tPvRmT1_PNSt15iterator_traitsIS12_E10value_typeET2_T3_PNS13_IS18_E10value_typeET4_jRbjT5_S1E_jjP12ihipStream_tbEUljE_ZNSN_ISO_Lb0ESQ_SR_ST_SU_SY_EESZ_S10_S11_S12_S16_S17_S18_S1B_S1C_jS1D_jS1E_S1E_jjS1G_bEUljE0_EEESZ_S10_S11_S18_S1C_S1E_T6_T7_T9_mT8_S1G_bDpT10_ENKUlT_T0_E_clISt17integral_constantIbLb0EES1U_EEDaS1P_S1Q_EUlS1P_E_NS1_11comp_targetILNS1_3genE9ELNS1_11target_archE1100ELNS1_3gpuE3ELNS1_3repE0EEENS1_30default_config_static_selectorELNS0_4arch9wavefront6targetE0EEEvS12_
    .private_segment_fixed_size: 0
    .sgpr_count:     0
    .sgpr_spill_count: 0
    .symbol:         _ZN7rocprim17ROCPRIM_400000_NS6detail17trampoline_kernelINS0_13select_configILj256ELj13ELNS0_17block_load_methodE3ELS4_3ELS4_3ELNS0_20block_scan_algorithmE0ELj4294967295EEENS1_25partition_config_selectorILNS1_17partition_subalgoE4EjNS0_10empty_typeEbEEZZNS1_14partition_implILS8_4ELb0ES6_15HIP_vector_typeIjLj2EENS0_17counting_iteratorIjlEEPS9_SG_NS0_5tupleIJPjSI_NS0_16reverse_iteratorISI_EEEEENSH_IJSG_SG_SG_EEES9_SI_JZNS1_25segmented_radix_sort_implINS0_14default_configELb0EPKiPiPKlPlN2at6native12_GLOBAL__N_18offset_tEEE10hipError_tPvRmT1_PNSt15iterator_traitsIS12_E10value_typeET2_T3_PNS13_IS18_E10value_typeET4_jRbjT5_S1E_jjP12ihipStream_tbEUljE_ZNSN_ISO_Lb0ESQ_SR_ST_SU_SY_EESZ_S10_S11_S12_S16_S17_S18_S1B_S1C_jS1D_jS1E_S1E_jjS1G_bEUljE0_EEESZ_S10_S11_S18_S1C_S1E_T6_T7_T9_mT8_S1G_bDpT10_ENKUlT_T0_E_clISt17integral_constantIbLb0EES1U_EEDaS1P_S1Q_EUlS1P_E_NS1_11comp_targetILNS1_3genE9ELNS1_11target_archE1100ELNS1_3gpuE3ELNS1_3repE0EEENS1_30default_config_static_selectorELNS0_4arch9wavefront6targetE0EEEvS12_.kd
    .uniform_work_group_size: 1
    .uses_dynamic_stack: false
    .vgpr_count:     0
    .vgpr_spill_count: 0
    .wavefront_size: 32
    .workgroup_processor_mode: 1
  - .args:
      - .offset:         0
        .size:           176
        .value_kind:     by_value
    .group_segment_fixed_size: 0
    .kernarg_segment_align: 8
    .kernarg_segment_size: 176
    .language:       OpenCL C
    .language_version:
      - 2
      - 0
    .max_flat_workgroup_size: 256
    .name:           _ZN7rocprim17ROCPRIM_400000_NS6detail17trampoline_kernelINS0_13select_configILj256ELj13ELNS0_17block_load_methodE3ELS4_3ELS4_3ELNS0_20block_scan_algorithmE0ELj4294967295EEENS1_25partition_config_selectorILNS1_17partition_subalgoE4EjNS0_10empty_typeEbEEZZNS1_14partition_implILS8_4ELb0ES6_15HIP_vector_typeIjLj2EENS0_17counting_iteratorIjlEEPS9_SG_NS0_5tupleIJPjSI_NS0_16reverse_iteratorISI_EEEEENSH_IJSG_SG_SG_EEES9_SI_JZNS1_25segmented_radix_sort_implINS0_14default_configELb0EPKiPiPKlPlN2at6native12_GLOBAL__N_18offset_tEEE10hipError_tPvRmT1_PNSt15iterator_traitsIS12_E10value_typeET2_T3_PNS13_IS18_E10value_typeET4_jRbjT5_S1E_jjP12ihipStream_tbEUljE_ZNSN_ISO_Lb0ESQ_SR_ST_SU_SY_EESZ_S10_S11_S12_S16_S17_S18_S1B_S1C_jS1D_jS1E_S1E_jjS1G_bEUljE0_EEESZ_S10_S11_S18_S1C_S1E_T6_T7_T9_mT8_S1G_bDpT10_ENKUlT_T0_E_clISt17integral_constantIbLb0EES1U_EEDaS1P_S1Q_EUlS1P_E_NS1_11comp_targetILNS1_3genE8ELNS1_11target_archE1030ELNS1_3gpuE2ELNS1_3repE0EEENS1_30default_config_static_selectorELNS0_4arch9wavefront6targetE0EEEvS12_
    .private_segment_fixed_size: 0
    .sgpr_count:     0
    .sgpr_spill_count: 0
    .symbol:         _ZN7rocprim17ROCPRIM_400000_NS6detail17trampoline_kernelINS0_13select_configILj256ELj13ELNS0_17block_load_methodE3ELS4_3ELS4_3ELNS0_20block_scan_algorithmE0ELj4294967295EEENS1_25partition_config_selectorILNS1_17partition_subalgoE4EjNS0_10empty_typeEbEEZZNS1_14partition_implILS8_4ELb0ES6_15HIP_vector_typeIjLj2EENS0_17counting_iteratorIjlEEPS9_SG_NS0_5tupleIJPjSI_NS0_16reverse_iteratorISI_EEEEENSH_IJSG_SG_SG_EEES9_SI_JZNS1_25segmented_radix_sort_implINS0_14default_configELb0EPKiPiPKlPlN2at6native12_GLOBAL__N_18offset_tEEE10hipError_tPvRmT1_PNSt15iterator_traitsIS12_E10value_typeET2_T3_PNS13_IS18_E10value_typeET4_jRbjT5_S1E_jjP12ihipStream_tbEUljE_ZNSN_ISO_Lb0ESQ_SR_ST_SU_SY_EESZ_S10_S11_S12_S16_S17_S18_S1B_S1C_jS1D_jS1E_S1E_jjS1G_bEUljE0_EEESZ_S10_S11_S18_S1C_S1E_T6_T7_T9_mT8_S1G_bDpT10_ENKUlT_T0_E_clISt17integral_constantIbLb0EES1U_EEDaS1P_S1Q_EUlS1P_E_NS1_11comp_targetILNS1_3genE8ELNS1_11target_archE1030ELNS1_3gpuE2ELNS1_3repE0EEENS1_30default_config_static_selectorELNS0_4arch9wavefront6targetE0EEEvS12_.kd
    .uniform_work_group_size: 1
    .uses_dynamic_stack: false
    .vgpr_count:     0
    .vgpr_spill_count: 0
    .wavefront_size: 32
    .workgroup_processor_mode: 1
  - .args:
      - .offset:         0
        .size:           184
        .value_kind:     by_value
    .group_segment_fixed_size: 0
    .kernarg_segment_align: 8
    .kernarg_segment_size: 184
    .language:       OpenCL C
    .language_version:
      - 2
      - 0
    .max_flat_workgroup_size: 256
    .name:           _ZN7rocprim17ROCPRIM_400000_NS6detail17trampoline_kernelINS0_13select_configILj256ELj13ELNS0_17block_load_methodE3ELS4_3ELS4_3ELNS0_20block_scan_algorithmE0ELj4294967295EEENS1_25partition_config_selectorILNS1_17partition_subalgoE4EjNS0_10empty_typeEbEEZZNS1_14partition_implILS8_4ELb0ES6_15HIP_vector_typeIjLj2EENS0_17counting_iteratorIjlEEPS9_SG_NS0_5tupleIJPjSI_NS0_16reverse_iteratorISI_EEEEENSH_IJSG_SG_SG_EEES9_SI_JZNS1_25segmented_radix_sort_implINS0_14default_configELb0EPKiPiPKlPlN2at6native12_GLOBAL__N_18offset_tEEE10hipError_tPvRmT1_PNSt15iterator_traitsIS12_E10value_typeET2_T3_PNS13_IS18_E10value_typeET4_jRbjT5_S1E_jjP12ihipStream_tbEUljE_ZNSN_ISO_Lb0ESQ_SR_ST_SU_SY_EESZ_S10_S11_S12_S16_S17_S18_S1B_S1C_jS1D_jS1E_S1E_jjS1G_bEUljE0_EEESZ_S10_S11_S18_S1C_S1E_T6_T7_T9_mT8_S1G_bDpT10_ENKUlT_T0_E_clISt17integral_constantIbLb1EES1U_EEDaS1P_S1Q_EUlS1P_E_NS1_11comp_targetILNS1_3genE0ELNS1_11target_archE4294967295ELNS1_3gpuE0ELNS1_3repE0EEENS1_30default_config_static_selectorELNS0_4arch9wavefront6targetE0EEEvS12_
    .private_segment_fixed_size: 0
    .sgpr_count:     0
    .sgpr_spill_count: 0
    .symbol:         _ZN7rocprim17ROCPRIM_400000_NS6detail17trampoline_kernelINS0_13select_configILj256ELj13ELNS0_17block_load_methodE3ELS4_3ELS4_3ELNS0_20block_scan_algorithmE0ELj4294967295EEENS1_25partition_config_selectorILNS1_17partition_subalgoE4EjNS0_10empty_typeEbEEZZNS1_14partition_implILS8_4ELb0ES6_15HIP_vector_typeIjLj2EENS0_17counting_iteratorIjlEEPS9_SG_NS0_5tupleIJPjSI_NS0_16reverse_iteratorISI_EEEEENSH_IJSG_SG_SG_EEES9_SI_JZNS1_25segmented_radix_sort_implINS0_14default_configELb0EPKiPiPKlPlN2at6native12_GLOBAL__N_18offset_tEEE10hipError_tPvRmT1_PNSt15iterator_traitsIS12_E10value_typeET2_T3_PNS13_IS18_E10value_typeET4_jRbjT5_S1E_jjP12ihipStream_tbEUljE_ZNSN_ISO_Lb0ESQ_SR_ST_SU_SY_EESZ_S10_S11_S12_S16_S17_S18_S1B_S1C_jS1D_jS1E_S1E_jjS1G_bEUljE0_EEESZ_S10_S11_S18_S1C_S1E_T6_T7_T9_mT8_S1G_bDpT10_ENKUlT_T0_E_clISt17integral_constantIbLb1EES1U_EEDaS1P_S1Q_EUlS1P_E_NS1_11comp_targetILNS1_3genE0ELNS1_11target_archE4294967295ELNS1_3gpuE0ELNS1_3repE0EEENS1_30default_config_static_selectorELNS0_4arch9wavefront6targetE0EEEvS12_.kd
    .uniform_work_group_size: 1
    .uses_dynamic_stack: false
    .vgpr_count:     0
    .vgpr_spill_count: 0
    .wavefront_size: 32
    .workgroup_processor_mode: 1
  - .args:
      - .offset:         0
        .size:           184
        .value_kind:     by_value
    .group_segment_fixed_size: 0
    .kernarg_segment_align: 8
    .kernarg_segment_size: 184
    .language:       OpenCL C
    .language_version:
      - 2
      - 0
    .max_flat_workgroup_size: 256
    .name:           _ZN7rocprim17ROCPRIM_400000_NS6detail17trampoline_kernelINS0_13select_configILj256ELj13ELNS0_17block_load_methodE3ELS4_3ELS4_3ELNS0_20block_scan_algorithmE0ELj4294967295EEENS1_25partition_config_selectorILNS1_17partition_subalgoE4EjNS0_10empty_typeEbEEZZNS1_14partition_implILS8_4ELb0ES6_15HIP_vector_typeIjLj2EENS0_17counting_iteratorIjlEEPS9_SG_NS0_5tupleIJPjSI_NS0_16reverse_iteratorISI_EEEEENSH_IJSG_SG_SG_EEES9_SI_JZNS1_25segmented_radix_sort_implINS0_14default_configELb0EPKiPiPKlPlN2at6native12_GLOBAL__N_18offset_tEEE10hipError_tPvRmT1_PNSt15iterator_traitsIS12_E10value_typeET2_T3_PNS13_IS18_E10value_typeET4_jRbjT5_S1E_jjP12ihipStream_tbEUljE_ZNSN_ISO_Lb0ESQ_SR_ST_SU_SY_EESZ_S10_S11_S12_S16_S17_S18_S1B_S1C_jS1D_jS1E_S1E_jjS1G_bEUljE0_EEESZ_S10_S11_S18_S1C_S1E_T6_T7_T9_mT8_S1G_bDpT10_ENKUlT_T0_E_clISt17integral_constantIbLb1EES1U_EEDaS1P_S1Q_EUlS1P_E_NS1_11comp_targetILNS1_3genE5ELNS1_11target_archE942ELNS1_3gpuE9ELNS1_3repE0EEENS1_30default_config_static_selectorELNS0_4arch9wavefront6targetE0EEEvS12_
    .private_segment_fixed_size: 0
    .sgpr_count:     0
    .sgpr_spill_count: 0
    .symbol:         _ZN7rocprim17ROCPRIM_400000_NS6detail17trampoline_kernelINS0_13select_configILj256ELj13ELNS0_17block_load_methodE3ELS4_3ELS4_3ELNS0_20block_scan_algorithmE0ELj4294967295EEENS1_25partition_config_selectorILNS1_17partition_subalgoE4EjNS0_10empty_typeEbEEZZNS1_14partition_implILS8_4ELb0ES6_15HIP_vector_typeIjLj2EENS0_17counting_iteratorIjlEEPS9_SG_NS0_5tupleIJPjSI_NS0_16reverse_iteratorISI_EEEEENSH_IJSG_SG_SG_EEES9_SI_JZNS1_25segmented_radix_sort_implINS0_14default_configELb0EPKiPiPKlPlN2at6native12_GLOBAL__N_18offset_tEEE10hipError_tPvRmT1_PNSt15iterator_traitsIS12_E10value_typeET2_T3_PNS13_IS18_E10value_typeET4_jRbjT5_S1E_jjP12ihipStream_tbEUljE_ZNSN_ISO_Lb0ESQ_SR_ST_SU_SY_EESZ_S10_S11_S12_S16_S17_S18_S1B_S1C_jS1D_jS1E_S1E_jjS1G_bEUljE0_EEESZ_S10_S11_S18_S1C_S1E_T6_T7_T9_mT8_S1G_bDpT10_ENKUlT_T0_E_clISt17integral_constantIbLb1EES1U_EEDaS1P_S1Q_EUlS1P_E_NS1_11comp_targetILNS1_3genE5ELNS1_11target_archE942ELNS1_3gpuE9ELNS1_3repE0EEENS1_30default_config_static_selectorELNS0_4arch9wavefront6targetE0EEEvS12_.kd
    .uniform_work_group_size: 1
    .uses_dynamic_stack: false
    .vgpr_count:     0
    .vgpr_spill_count: 0
    .wavefront_size: 32
    .workgroup_processor_mode: 1
  - .args:
      - .offset:         0
        .size:           184
        .value_kind:     by_value
    .group_segment_fixed_size: 0
    .kernarg_segment_align: 8
    .kernarg_segment_size: 184
    .language:       OpenCL C
    .language_version:
      - 2
      - 0
    .max_flat_workgroup_size: 256
    .name:           _ZN7rocprim17ROCPRIM_400000_NS6detail17trampoline_kernelINS0_13select_configILj256ELj13ELNS0_17block_load_methodE3ELS4_3ELS4_3ELNS0_20block_scan_algorithmE0ELj4294967295EEENS1_25partition_config_selectorILNS1_17partition_subalgoE4EjNS0_10empty_typeEbEEZZNS1_14partition_implILS8_4ELb0ES6_15HIP_vector_typeIjLj2EENS0_17counting_iteratorIjlEEPS9_SG_NS0_5tupleIJPjSI_NS0_16reverse_iteratorISI_EEEEENSH_IJSG_SG_SG_EEES9_SI_JZNS1_25segmented_radix_sort_implINS0_14default_configELb0EPKiPiPKlPlN2at6native12_GLOBAL__N_18offset_tEEE10hipError_tPvRmT1_PNSt15iterator_traitsIS12_E10value_typeET2_T3_PNS13_IS18_E10value_typeET4_jRbjT5_S1E_jjP12ihipStream_tbEUljE_ZNSN_ISO_Lb0ESQ_SR_ST_SU_SY_EESZ_S10_S11_S12_S16_S17_S18_S1B_S1C_jS1D_jS1E_S1E_jjS1G_bEUljE0_EEESZ_S10_S11_S18_S1C_S1E_T6_T7_T9_mT8_S1G_bDpT10_ENKUlT_T0_E_clISt17integral_constantIbLb1EES1U_EEDaS1P_S1Q_EUlS1P_E_NS1_11comp_targetILNS1_3genE4ELNS1_11target_archE910ELNS1_3gpuE8ELNS1_3repE0EEENS1_30default_config_static_selectorELNS0_4arch9wavefront6targetE0EEEvS12_
    .private_segment_fixed_size: 0
    .sgpr_count:     0
    .sgpr_spill_count: 0
    .symbol:         _ZN7rocprim17ROCPRIM_400000_NS6detail17trampoline_kernelINS0_13select_configILj256ELj13ELNS0_17block_load_methodE3ELS4_3ELS4_3ELNS0_20block_scan_algorithmE0ELj4294967295EEENS1_25partition_config_selectorILNS1_17partition_subalgoE4EjNS0_10empty_typeEbEEZZNS1_14partition_implILS8_4ELb0ES6_15HIP_vector_typeIjLj2EENS0_17counting_iteratorIjlEEPS9_SG_NS0_5tupleIJPjSI_NS0_16reverse_iteratorISI_EEEEENSH_IJSG_SG_SG_EEES9_SI_JZNS1_25segmented_radix_sort_implINS0_14default_configELb0EPKiPiPKlPlN2at6native12_GLOBAL__N_18offset_tEEE10hipError_tPvRmT1_PNSt15iterator_traitsIS12_E10value_typeET2_T3_PNS13_IS18_E10value_typeET4_jRbjT5_S1E_jjP12ihipStream_tbEUljE_ZNSN_ISO_Lb0ESQ_SR_ST_SU_SY_EESZ_S10_S11_S12_S16_S17_S18_S1B_S1C_jS1D_jS1E_S1E_jjS1G_bEUljE0_EEESZ_S10_S11_S18_S1C_S1E_T6_T7_T9_mT8_S1G_bDpT10_ENKUlT_T0_E_clISt17integral_constantIbLb1EES1U_EEDaS1P_S1Q_EUlS1P_E_NS1_11comp_targetILNS1_3genE4ELNS1_11target_archE910ELNS1_3gpuE8ELNS1_3repE0EEENS1_30default_config_static_selectorELNS0_4arch9wavefront6targetE0EEEvS12_.kd
    .uniform_work_group_size: 1
    .uses_dynamic_stack: false
    .vgpr_count:     0
    .vgpr_spill_count: 0
    .wavefront_size: 32
    .workgroup_processor_mode: 1
  - .args:
      - .offset:         0
        .size:           184
        .value_kind:     by_value
    .group_segment_fixed_size: 0
    .kernarg_segment_align: 8
    .kernarg_segment_size: 184
    .language:       OpenCL C
    .language_version:
      - 2
      - 0
    .max_flat_workgroup_size: 256
    .name:           _ZN7rocprim17ROCPRIM_400000_NS6detail17trampoline_kernelINS0_13select_configILj256ELj13ELNS0_17block_load_methodE3ELS4_3ELS4_3ELNS0_20block_scan_algorithmE0ELj4294967295EEENS1_25partition_config_selectorILNS1_17partition_subalgoE4EjNS0_10empty_typeEbEEZZNS1_14partition_implILS8_4ELb0ES6_15HIP_vector_typeIjLj2EENS0_17counting_iteratorIjlEEPS9_SG_NS0_5tupleIJPjSI_NS0_16reverse_iteratorISI_EEEEENSH_IJSG_SG_SG_EEES9_SI_JZNS1_25segmented_radix_sort_implINS0_14default_configELb0EPKiPiPKlPlN2at6native12_GLOBAL__N_18offset_tEEE10hipError_tPvRmT1_PNSt15iterator_traitsIS12_E10value_typeET2_T3_PNS13_IS18_E10value_typeET4_jRbjT5_S1E_jjP12ihipStream_tbEUljE_ZNSN_ISO_Lb0ESQ_SR_ST_SU_SY_EESZ_S10_S11_S12_S16_S17_S18_S1B_S1C_jS1D_jS1E_S1E_jjS1G_bEUljE0_EEESZ_S10_S11_S18_S1C_S1E_T6_T7_T9_mT8_S1G_bDpT10_ENKUlT_T0_E_clISt17integral_constantIbLb1EES1U_EEDaS1P_S1Q_EUlS1P_E_NS1_11comp_targetILNS1_3genE3ELNS1_11target_archE908ELNS1_3gpuE7ELNS1_3repE0EEENS1_30default_config_static_selectorELNS0_4arch9wavefront6targetE0EEEvS12_
    .private_segment_fixed_size: 0
    .sgpr_count:     0
    .sgpr_spill_count: 0
    .symbol:         _ZN7rocprim17ROCPRIM_400000_NS6detail17trampoline_kernelINS0_13select_configILj256ELj13ELNS0_17block_load_methodE3ELS4_3ELS4_3ELNS0_20block_scan_algorithmE0ELj4294967295EEENS1_25partition_config_selectorILNS1_17partition_subalgoE4EjNS0_10empty_typeEbEEZZNS1_14partition_implILS8_4ELb0ES6_15HIP_vector_typeIjLj2EENS0_17counting_iteratorIjlEEPS9_SG_NS0_5tupleIJPjSI_NS0_16reverse_iteratorISI_EEEEENSH_IJSG_SG_SG_EEES9_SI_JZNS1_25segmented_radix_sort_implINS0_14default_configELb0EPKiPiPKlPlN2at6native12_GLOBAL__N_18offset_tEEE10hipError_tPvRmT1_PNSt15iterator_traitsIS12_E10value_typeET2_T3_PNS13_IS18_E10value_typeET4_jRbjT5_S1E_jjP12ihipStream_tbEUljE_ZNSN_ISO_Lb0ESQ_SR_ST_SU_SY_EESZ_S10_S11_S12_S16_S17_S18_S1B_S1C_jS1D_jS1E_S1E_jjS1G_bEUljE0_EEESZ_S10_S11_S18_S1C_S1E_T6_T7_T9_mT8_S1G_bDpT10_ENKUlT_T0_E_clISt17integral_constantIbLb1EES1U_EEDaS1P_S1Q_EUlS1P_E_NS1_11comp_targetILNS1_3genE3ELNS1_11target_archE908ELNS1_3gpuE7ELNS1_3repE0EEENS1_30default_config_static_selectorELNS0_4arch9wavefront6targetE0EEEvS12_.kd
    .uniform_work_group_size: 1
    .uses_dynamic_stack: false
    .vgpr_count:     0
    .vgpr_spill_count: 0
    .wavefront_size: 32
    .workgroup_processor_mode: 1
  - .args:
      - .offset:         0
        .size:           184
        .value_kind:     by_value
    .group_segment_fixed_size: 0
    .kernarg_segment_align: 8
    .kernarg_segment_size: 184
    .language:       OpenCL C
    .language_version:
      - 2
      - 0
    .max_flat_workgroup_size: 256
    .name:           _ZN7rocprim17ROCPRIM_400000_NS6detail17trampoline_kernelINS0_13select_configILj256ELj13ELNS0_17block_load_methodE3ELS4_3ELS4_3ELNS0_20block_scan_algorithmE0ELj4294967295EEENS1_25partition_config_selectorILNS1_17partition_subalgoE4EjNS0_10empty_typeEbEEZZNS1_14partition_implILS8_4ELb0ES6_15HIP_vector_typeIjLj2EENS0_17counting_iteratorIjlEEPS9_SG_NS0_5tupleIJPjSI_NS0_16reverse_iteratorISI_EEEEENSH_IJSG_SG_SG_EEES9_SI_JZNS1_25segmented_radix_sort_implINS0_14default_configELb0EPKiPiPKlPlN2at6native12_GLOBAL__N_18offset_tEEE10hipError_tPvRmT1_PNSt15iterator_traitsIS12_E10value_typeET2_T3_PNS13_IS18_E10value_typeET4_jRbjT5_S1E_jjP12ihipStream_tbEUljE_ZNSN_ISO_Lb0ESQ_SR_ST_SU_SY_EESZ_S10_S11_S12_S16_S17_S18_S1B_S1C_jS1D_jS1E_S1E_jjS1G_bEUljE0_EEESZ_S10_S11_S18_S1C_S1E_T6_T7_T9_mT8_S1G_bDpT10_ENKUlT_T0_E_clISt17integral_constantIbLb1EES1U_EEDaS1P_S1Q_EUlS1P_E_NS1_11comp_targetILNS1_3genE2ELNS1_11target_archE906ELNS1_3gpuE6ELNS1_3repE0EEENS1_30default_config_static_selectorELNS0_4arch9wavefront6targetE0EEEvS12_
    .private_segment_fixed_size: 0
    .sgpr_count:     0
    .sgpr_spill_count: 0
    .symbol:         _ZN7rocprim17ROCPRIM_400000_NS6detail17trampoline_kernelINS0_13select_configILj256ELj13ELNS0_17block_load_methodE3ELS4_3ELS4_3ELNS0_20block_scan_algorithmE0ELj4294967295EEENS1_25partition_config_selectorILNS1_17partition_subalgoE4EjNS0_10empty_typeEbEEZZNS1_14partition_implILS8_4ELb0ES6_15HIP_vector_typeIjLj2EENS0_17counting_iteratorIjlEEPS9_SG_NS0_5tupleIJPjSI_NS0_16reverse_iteratorISI_EEEEENSH_IJSG_SG_SG_EEES9_SI_JZNS1_25segmented_radix_sort_implINS0_14default_configELb0EPKiPiPKlPlN2at6native12_GLOBAL__N_18offset_tEEE10hipError_tPvRmT1_PNSt15iterator_traitsIS12_E10value_typeET2_T3_PNS13_IS18_E10value_typeET4_jRbjT5_S1E_jjP12ihipStream_tbEUljE_ZNSN_ISO_Lb0ESQ_SR_ST_SU_SY_EESZ_S10_S11_S12_S16_S17_S18_S1B_S1C_jS1D_jS1E_S1E_jjS1G_bEUljE0_EEESZ_S10_S11_S18_S1C_S1E_T6_T7_T9_mT8_S1G_bDpT10_ENKUlT_T0_E_clISt17integral_constantIbLb1EES1U_EEDaS1P_S1Q_EUlS1P_E_NS1_11comp_targetILNS1_3genE2ELNS1_11target_archE906ELNS1_3gpuE6ELNS1_3repE0EEENS1_30default_config_static_selectorELNS0_4arch9wavefront6targetE0EEEvS12_.kd
    .uniform_work_group_size: 1
    .uses_dynamic_stack: false
    .vgpr_count:     0
    .vgpr_spill_count: 0
    .wavefront_size: 32
    .workgroup_processor_mode: 1
  - .args:
      - .offset:         0
        .size:           184
        .value_kind:     by_value
    .group_segment_fixed_size: 0
    .kernarg_segment_align: 8
    .kernarg_segment_size: 184
    .language:       OpenCL C
    .language_version:
      - 2
      - 0
    .max_flat_workgroup_size: 256
    .name:           _ZN7rocprim17ROCPRIM_400000_NS6detail17trampoline_kernelINS0_13select_configILj256ELj13ELNS0_17block_load_methodE3ELS4_3ELS4_3ELNS0_20block_scan_algorithmE0ELj4294967295EEENS1_25partition_config_selectorILNS1_17partition_subalgoE4EjNS0_10empty_typeEbEEZZNS1_14partition_implILS8_4ELb0ES6_15HIP_vector_typeIjLj2EENS0_17counting_iteratorIjlEEPS9_SG_NS0_5tupleIJPjSI_NS0_16reverse_iteratorISI_EEEEENSH_IJSG_SG_SG_EEES9_SI_JZNS1_25segmented_radix_sort_implINS0_14default_configELb0EPKiPiPKlPlN2at6native12_GLOBAL__N_18offset_tEEE10hipError_tPvRmT1_PNSt15iterator_traitsIS12_E10value_typeET2_T3_PNS13_IS18_E10value_typeET4_jRbjT5_S1E_jjP12ihipStream_tbEUljE_ZNSN_ISO_Lb0ESQ_SR_ST_SU_SY_EESZ_S10_S11_S12_S16_S17_S18_S1B_S1C_jS1D_jS1E_S1E_jjS1G_bEUljE0_EEESZ_S10_S11_S18_S1C_S1E_T6_T7_T9_mT8_S1G_bDpT10_ENKUlT_T0_E_clISt17integral_constantIbLb1EES1U_EEDaS1P_S1Q_EUlS1P_E_NS1_11comp_targetILNS1_3genE10ELNS1_11target_archE1200ELNS1_3gpuE4ELNS1_3repE0EEENS1_30default_config_static_selectorELNS0_4arch9wavefront6targetE0EEEvS12_
    .private_segment_fixed_size: 0
    .sgpr_count:     0
    .sgpr_spill_count: 0
    .symbol:         _ZN7rocprim17ROCPRIM_400000_NS6detail17trampoline_kernelINS0_13select_configILj256ELj13ELNS0_17block_load_methodE3ELS4_3ELS4_3ELNS0_20block_scan_algorithmE0ELj4294967295EEENS1_25partition_config_selectorILNS1_17partition_subalgoE4EjNS0_10empty_typeEbEEZZNS1_14partition_implILS8_4ELb0ES6_15HIP_vector_typeIjLj2EENS0_17counting_iteratorIjlEEPS9_SG_NS0_5tupleIJPjSI_NS0_16reverse_iteratorISI_EEEEENSH_IJSG_SG_SG_EEES9_SI_JZNS1_25segmented_radix_sort_implINS0_14default_configELb0EPKiPiPKlPlN2at6native12_GLOBAL__N_18offset_tEEE10hipError_tPvRmT1_PNSt15iterator_traitsIS12_E10value_typeET2_T3_PNS13_IS18_E10value_typeET4_jRbjT5_S1E_jjP12ihipStream_tbEUljE_ZNSN_ISO_Lb0ESQ_SR_ST_SU_SY_EESZ_S10_S11_S12_S16_S17_S18_S1B_S1C_jS1D_jS1E_S1E_jjS1G_bEUljE0_EEESZ_S10_S11_S18_S1C_S1E_T6_T7_T9_mT8_S1G_bDpT10_ENKUlT_T0_E_clISt17integral_constantIbLb1EES1U_EEDaS1P_S1Q_EUlS1P_E_NS1_11comp_targetILNS1_3genE10ELNS1_11target_archE1200ELNS1_3gpuE4ELNS1_3repE0EEENS1_30default_config_static_selectorELNS0_4arch9wavefront6targetE0EEEvS12_.kd
    .uniform_work_group_size: 1
    .uses_dynamic_stack: false
    .vgpr_count:     0
    .vgpr_spill_count: 0
    .wavefront_size: 32
    .workgroup_processor_mode: 1
  - .args:
      - .offset:         0
        .size:           184
        .value_kind:     by_value
    .group_segment_fixed_size: 0
    .kernarg_segment_align: 8
    .kernarg_segment_size: 184
    .language:       OpenCL C
    .language_version:
      - 2
      - 0
    .max_flat_workgroup_size: 256
    .name:           _ZN7rocprim17ROCPRIM_400000_NS6detail17trampoline_kernelINS0_13select_configILj256ELj13ELNS0_17block_load_methodE3ELS4_3ELS4_3ELNS0_20block_scan_algorithmE0ELj4294967295EEENS1_25partition_config_selectorILNS1_17partition_subalgoE4EjNS0_10empty_typeEbEEZZNS1_14partition_implILS8_4ELb0ES6_15HIP_vector_typeIjLj2EENS0_17counting_iteratorIjlEEPS9_SG_NS0_5tupleIJPjSI_NS0_16reverse_iteratorISI_EEEEENSH_IJSG_SG_SG_EEES9_SI_JZNS1_25segmented_radix_sort_implINS0_14default_configELb0EPKiPiPKlPlN2at6native12_GLOBAL__N_18offset_tEEE10hipError_tPvRmT1_PNSt15iterator_traitsIS12_E10value_typeET2_T3_PNS13_IS18_E10value_typeET4_jRbjT5_S1E_jjP12ihipStream_tbEUljE_ZNSN_ISO_Lb0ESQ_SR_ST_SU_SY_EESZ_S10_S11_S12_S16_S17_S18_S1B_S1C_jS1D_jS1E_S1E_jjS1G_bEUljE0_EEESZ_S10_S11_S18_S1C_S1E_T6_T7_T9_mT8_S1G_bDpT10_ENKUlT_T0_E_clISt17integral_constantIbLb1EES1U_EEDaS1P_S1Q_EUlS1P_E_NS1_11comp_targetILNS1_3genE9ELNS1_11target_archE1100ELNS1_3gpuE3ELNS1_3repE0EEENS1_30default_config_static_selectorELNS0_4arch9wavefront6targetE0EEEvS12_
    .private_segment_fixed_size: 0
    .sgpr_count:     0
    .sgpr_spill_count: 0
    .symbol:         _ZN7rocprim17ROCPRIM_400000_NS6detail17trampoline_kernelINS0_13select_configILj256ELj13ELNS0_17block_load_methodE3ELS4_3ELS4_3ELNS0_20block_scan_algorithmE0ELj4294967295EEENS1_25partition_config_selectorILNS1_17partition_subalgoE4EjNS0_10empty_typeEbEEZZNS1_14partition_implILS8_4ELb0ES6_15HIP_vector_typeIjLj2EENS0_17counting_iteratorIjlEEPS9_SG_NS0_5tupleIJPjSI_NS0_16reverse_iteratorISI_EEEEENSH_IJSG_SG_SG_EEES9_SI_JZNS1_25segmented_radix_sort_implINS0_14default_configELb0EPKiPiPKlPlN2at6native12_GLOBAL__N_18offset_tEEE10hipError_tPvRmT1_PNSt15iterator_traitsIS12_E10value_typeET2_T3_PNS13_IS18_E10value_typeET4_jRbjT5_S1E_jjP12ihipStream_tbEUljE_ZNSN_ISO_Lb0ESQ_SR_ST_SU_SY_EESZ_S10_S11_S12_S16_S17_S18_S1B_S1C_jS1D_jS1E_S1E_jjS1G_bEUljE0_EEESZ_S10_S11_S18_S1C_S1E_T6_T7_T9_mT8_S1G_bDpT10_ENKUlT_T0_E_clISt17integral_constantIbLb1EES1U_EEDaS1P_S1Q_EUlS1P_E_NS1_11comp_targetILNS1_3genE9ELNS1_11target_archE1100ELNS1_3gpuE3ELNS1_3repE0EEENS1_30default_config_static_selectorELNS0_4arch9wavefront6targetE0EEEvS12_.kd
    .uniform_work_group_size: 1
    .uses_dynamic_stack: false
    .vgpr_count:     0
    .vgpr_spill_count: 0
    .wavefront_size: 32
    .workgroup_processor_mode: 1
  - .args:
      - .offset:         0
        .size:           184
        .value_kind:     by_value
    .group_segment_fixed_size: 0
    .kernarg_segment_align: 8
    .kernarg_segment_size: 184
    .language:       OpenCL C
    .language_version:
      - 2
      - 0
    .max_flat_workgroup_size: 256
    .name:           _ZN7rocprim17ROCPRIM_400000_NS6detail17trampoline_kernelINS0_13select_configILj256ELj13ELNS0_17block_load_methodE3ELS4_3ELS4_3ELNS0_20block_scan_algorithmE0ELj4294967295EEENS1_25partition_config_selectorILNS1_17partition_subalgoE4EjNS0_10empty_typeEbEEZZNS1_14partition_implILS8_4ELb0ES6_15HIP_vector_typeIjLj2EENS0_17counting_iteratorIjlEEPS9_SG_NS0_5tupleIJPjSI_NS0_16reverse_iteratorISI_EEEEENSH_IJSG_SG_SG_EEES9_SI_JZNS1_25segmented_radix_sort_implINS0_14default_configELb0EPKiPiPKlPlN2at6native12_GLOBAL__N_18offset_tEEE10hipError_tPvRmT1_PNSt15iterator_traitsIS12_E10value_typeET2_T3_PNS13_IS18_E10value_typeET4_jRbjT5_S1E_jjP12ihipStream_tbEUljE_ZNSN_ISO_Lb0ESQ_SR_ST_SU_SY_EESZ_S10_S11_S12_S16_S17_S18_S1B_S1C_jS1D_jS1E_S1E_jjS1G_bEUljE0_EEESZ_S10_S11_S18_S1C_S1E_T6_T7_T9_mT8_S1G_bDpT10_ENKUlT_T0_E_clISt17integral_constantIbLb1EES1U_EEDaS1P_S1Q_EUlS1P_E_NS1_11comp_targetILNS1_3genE8ELNS1_11target_archE1030ELNS1_3gpuE2ELNS1_3repE0EEENS1_30default_config_static_selectorELNS0_4arch9wavefront6targetE0EEEvS12_
    .private_segment_fixed_size: 0
    .sgpr_count:     0
    .sgpr_spill_count: 0
    .symbol:         _ZN7rocprim17ROCPRIM_400000_NS6detail17trampoline_kernelINS0_13select_configILj256ELj13ELNS0_17block_load_methodE3ELS4_3ELS4_3ELNS0_20block_scan_algorithmE0ELj4294967295EEENS1_25partition_config_selectorILNS1_17partition_subalgoE4EjNS0_10empty_typeEbEEZZNS1_14partition_implILS8_4ELb0ES6_15HIP_vector_typeIjLj2EENS0_17counting_iteratorIjlEEPS9_SG_NS0_5tupleIJPjSI_NS0_16reverse_iteratorISI_EEEEENSH_IJSG_SG_SG_EEES9_SI_JZNS1_25segmented_radix_sort_implINS0_14default_configELb0EPKiPiPKlPlN2at6native12_GLOBAL__N_18offset_tEEE10hipError_tPvRmT1_PNSt15iterator_traitsIS12_E10value_typeET2_T3_PNS13_IS18_E10value_typeET4_jRbjT5_S1E_jjP12ihipStream_tbEUljE_ZNSN_ISO_Lb0ESQ_SR_ST_SU_SY_EESZ_S10_S11_S12_S16_S17_S18_S1B_S1C_jS1D_jS1E_S1E_jjS1G_bEUljE0_EEESZ_S10_S11_S18_S1C_S1E_T6_T7_T9_mT8_S1G_bDpT10_ENKUlT_T0_E_clISt17integral_constantIbLb1EES1U_EEDaS1P_S1Q_EUlS1P_E_NS1_11comp_targetILNS1_3genE8ELNS1_11target_archE1030ELNS1_3gpuE2ELNS1_3repE0EEENS1_30default_config_static_selectorELNS0_4arch9wavefront6targetE0EEEvS12_.kd
    .uniform_work_group_size: 1
    .uses_dynamic_stack: false
    .vgpr_count:     0
    .vgpr_spill_count: 0
    .wavefront_size: 32
    .workgroup_processor_mode: 1
  - .args:
      - .offset:         0
        .size:           176
        .value_kind:     by_value
    .group_segment_fixed_size: 0
    .kernarg_segment_align: 8
    .kernarg_segment_size: 176
    .language:       OpenCL C
    .language_version:
      - 2
      - 0
    .max_flat_workgroup_size: 256
    .name:           _ZN7rocprim17ROCPRIM_400000_NS6detail17trampoline_kernelINS0_13select_configILj256ELj13ELNS0_17block_load_methodE3ELS4_3ELS4_3ELNS0_20block_scan_algorithmE0ELj4294967295EEENS1_25partition_config_selectorILNS1_17partition_subalgoE4EjNS0_10empty_typeEbEEZZNS1_14partition_implILS8_4ELb0ES6_15HIP_vector_typeIjLj2EENS0_17counting_iteratorIjlEEPS9_SG_NS0_5tupleIJPjSI_NS0_16reverse_iteratorISI_EEEEENSH_IJSG_SG_SG_EEES9_SI_JZNS1_25segmented_radix_sort_implINS0_14default_configELb0EPKiPiPKlPlN2at6native12_GLOBAL__N_18offset_tEEE10hipError_tPvRmT1_PNSt15iterator_traitsIS12_E10value_typeET2_T3_PNS13_IS18_E10value_typeET4_jRbjT5_S1E_jjP12ihipStream_tbEUljE_ZNSN_ISO_Lb0ESQ_SR_ST_SU_SY_EESZ_S10_S11_S12_S16_S17_S18_S1B_S1C_jS1D_jS1E_S1E_jjS1G_bEUljE0_EEESZ_S10_S11_S18_S1C_S1E_T6_T7_T9_mT8_S1G_bDpT10_ENKUlT_T0_E_clISt17integral_constantIbLb1EES1T_IbLb0EEEEDaS1P_S1Q_EUlS1P_E_NS1_11comp_targetILNS1_3genE0ELNS1_11target_archE4294967295ELNS1_3gpuE0ELNS1_3repE0EEENS1_30default_config_static_selectorELNS0_4arch9wavefront6targetE0EEEvS12_
    .private_segment_fixed_size: 0
    .sgpr_count:     0
    .sgpr_spill_count: 0
    .symbol:         _ZN7rocprim17ROCPRIM_400000_NS6detail17trampoline_kernelINS0_13select_configILj256ELj13ELNS0_17block_load_methodE3ELS4_3ELS4_3ELNS0_20block_scan_algorithmE0ELj4294967295EEENS1_25partition_config_selectorILNS1_17partition_subalgoE4EjNS0_10empty_typeEbEEZZNS1_14partition_implILS8_4ELb0ES6_15HIP_vector_typeIjLj2EENS0_17counting_iteratorIjlEEPS9_SG_NS0_5tupleIJPjSI_NS0_16reverse_iteratorISI_EEEEENSH_IJSG_SG_SG_EEES9_SI_JZNS1_25segmented_radix_sort_implINS0_14default_configELb0EPKiPiPKlPlN2at6native12_GLOBAL__N_18offset_tEEE10hipError_tPvRmT1_PNSt15iterator_traitsIS12_E10value_typeET2_T3_PNS13_IS18_E10value_typeET4_jRbjT5_S1E_jjP12ihipStream_tbEUljE_ZNSN_ISO_Lb0ESQ_SR_ST_SU_SY_EESZ_S10_S11_S12_S16_S17_S18_S1B_S1C_jS1D_jS1E_S1E_jjS1G_bEUljE0_EEESZ_S10_S11_S18_S1C_S1E_T6_T7_T9_mT8_S1G_bDpT10_ENKUlT_T0_E_clISt17integral_constantIbLb1EES1T_IbLb0EEEEDaS1P_S1Q_EUlS1P_E_NS1_11comp_targetILNS1_3genE0ELNS1_11target_archE4294967295ELNS1_3gpuE0ELNS1_3repE0EEENS1_30default_config_static_selectorELNS0_4arch9wavefront6targetE0EEEvS12_.kd
    .uniform_work_group_size: 1
    .uses_dynamic_stack: false
    .vgpr_count:     0
    .vgpr_spill_count: 0
    .wavefront_size: 32
    .workgroup_processor_mode: 1
  - .args:
      - .offset:         0
        .size:           176
        .value_kind:     by_value
    .group_segment_fixed_size: 0
    .kernarg_segment_align: 8
    .kernarg_segment_size: 176
    .language:       OpenCL C
    .language_version:
      - 2
      - 0
    .max_flat_workgroup_size: 256
    .name:           _ZN7rocprim17ROCPRIM_400000_NS6detail17trampoline_kernelINS0_13select_configILj256ELj13ELNS0_17block_load_methodE3ELS4_3ELS4_3ELNS0_20block_scan_algorithmE0ELj4294967295EEENS1_25partition_config_selectorILNS1_17partition_subalgoE4EjNS0_10empty_typeEbEEZZNS1_14partition_implILS8_4ELb0ES6_15HIP_vector_typeIjLj2EENS0_17counting_iteratorIjlEEPS9_SG_NS0_5tupleIJPjSI_NS0_16reverse_iteratorISI_EEEEENSH_IJSG_SG_SG_EEES9_SI_JZNS1_25segmented_radix_sort_implINS0_14default_configELb0EPKiPiPKlPlN2at6native12_GLOBAL__N_18offset_tEEE10hipError_tPvRmT1_PNSt15iterator_traitsIS12_E10value_typeET2_T3_PNS13_IS18_E10value_typeET4_jRbjT5_S1E_jjP12ihipStream_tbEUljE_ZNSN_ISO_Lb0ESQ_SR_ST_SU_SY_EESZ_S10_S11_S12_S16_S17_S18_S1B_S1C_jS1D_jS1E_S1E_jjS1G_bEUljE0_EEESZ_S10_S11_S18_S1C_S1E_T6_T7_T9_mT8_S1G_bDpT10_ENKUlT_T0_E_clISt17integral_constantIbLb1EES1T_IbLb0EEEEDaS1P_S1Q_EUlS1P_E_NS1_11comp_targetILNS1_3genE5ELNS1_11target_archE942ELNS1_3gpuE9ELNS1_3repE0EEENS1_30default_config_static_selectorELNS0_4arch9wavefront6targetE0EEEvS12_
    .private_segment_fixed_size: 0
    .sgpr_count:     0
    .sgpr_spill_count: 0
    .symbol:         _ZN7rocprim17ROCPRIM_400000_NS6detail17trampoline_kernelINS0_13select_configILj256ELj13ELNS0_17block_load_methodE3ELS4_3ELS4_3ELNS0_20block_scan_algorithmE0ELj4294967295EEENS1_25partition_config_selectorILNS1_17partition_subalgoE4EjNS0_10empty_typeEbEEZZNS1_14partition_implILS8_4ELb0ES6_15HIP_vector_typeIjLj2EENS0_17counting_iteratorIjlEEPS9_SG_NS0_5tupleIJPjSI_NS0_16reverse_iteratorISI_EEEEENSH_IJSG_SG_SG_EEES9_SI_JZNS1_25segmented_radix_sort_implINS0_14default_configELb0EPKiPiPKlPlN2at6native12_GLOBAL__N_18offset_tEEE10hipError_tPvRmT1_PNSt15iterator_traitsIS12_E10value_typeET2_T3_PNS13_IS18_E10value_typeET4_jRbjT5_S1E_jjP12ihipStream_tbEUljE_ZNSN_ISO_Lb0ESQ_SR_ST_SU_SY_EESZ_S10_S11_S12_S16_S17_S18_S1B_S1C_jS1D_jS1E_S1E_jjS1G_bEUljE0_EEESZ_S10_S11_S18_S1C_S1E_T6_T7_T9_mT8_S1G_bDpT10_ENKUlT_T0_E_clISt17integral_constantIbLb1EES1T_IbLb0EEEEDaS1P_S1Q_EUlS1P_E_NS1_11comp_targetILNS1_3genE5ELNS1_11target_archE942ELNS1_3gpuE9ELNS1_3repE0EEENS1_30default_config_static_selectorELNS0_4arch9wavefront6targetE0EEEvS12_.kd
    .uniform_work_group_size: 1
    .uses_dynamic_stack: false
    .vgpr_count:     0
    .vgpr_spill_count: 0
    .wavefront_size: 32
    .workgroup_processor_mode: 1
  - .args:
      - .offset:         0
        .size:           176
        .value_kind:     by_value
    .group_segment_fixed_size: 0
    .kernarg_segment_align: 8
    .kernarg_segment_size: 176
    .language:       OpenCL C
    .language_version:
      - 2
      - 0
    .max_flat_workgroup_size: 256
    .name:           _ZN7rocprim17ROCPRIM_400000_NS6detail17trampoline_kernelINS0_13select_configILj256ELj13ELNS0_17block_load_methodE3ELS4_3ELS4_3ELNS0_20block_scan_algorithmE0ELj4294967295EEENS1_25partition_config_selectorILNS1_17partition_subalgoE4EjNS0_10empty_typeEbEEZZNS1_14partition_implILS8_4ELb0ES6_15HIP_vector_typeIjLj2EENS0_17counting_iteratorIjlEEPS9_SG_NS0_5tupleIJPjSI_NS0_16reverse_iteratorISI_EEEEENSH_IJSG_SG_SG_EEES9_SI_JZNS1_25segmented_radix_sort_implINS0_14default_configELb0EPKiPiPKlPlN2at6native12_GLOBAL__N_18offset_tEEE10hipError_tPvRmT1_PNSt15iterator_traitsIS12_E10value_typeET2_T3_PNS13_IS18_E10value_typeET4_jRbjT5_S1E_jjP12ihipStream_tbEUljE_ZNSN_ISO_Lb0ESQ_SR_ST_SU_SY_EESZ_S10_S11_S12_S16_S17_S18_S1B_S1C_jS1D_jS1E_S1E_jjS1G_bEUljE0_EEESZ_S10_S11_S18_S1C_S1E_T6_T7_T9_mT8_S1G_bDpT10_ENKUlT_T0_E_clISt17integral_constantIbLb1EES1T_IbLb0EEEEDaS1P_S1Q_EUlS1P_E_NS1_11comp_targetILNS1_3genE4ELNS1_11target_archE910ELNS1_3gpuE8ELNS1_3repE0EEENS1_30default_config_static_selectorELNS0_4arch9wavefront6targetE0EEEvS12_
    .private_segment_fixed_size: 0
    .sgpr_count:     0
    .sgpr_spill_count: 0
    .symbol:         _ZN7rocprim17ROCPRIM_400000_NS6detail17trampoline_kernelINS0_13select_configILj256ELj13ELNS0_17block_load_methodE3ELS4_3ELS4_3ELNS0_20block_scan_algorithmE0ELj4294967295EEENS1_25partition_config_selectorILNS1_17partition_subalgoE4EjNS0_10empty_typeEbEEZZNS1_14partition_implILS8_4ELb0ES6_15HIP_vector_typeIjLj2EENS0_17counting_iteratorIjlEEPS9_SG_NS0_5tupleIJPjSI_NS0_16reverse_iteratorISI_EEEEENSH_IJSG_SG_SG_EEES9_SI_JZNS1_25segmented_radix_sort_implINS0_14default_configELb0EPKiPiPKlPlN2at6native12_GLOBAL__N_18offset_tEEE10hipError_tPvRmT1_PNSt15iterator_traitsIS12_E10value_typeET2_T3_PNS13_IS18_E10value_typeET4_jRbjT5_S1E_jjP12ihipStream_tbEUljE_ZNSN_ISO_Lb0ESQ_SR_ST_SU_SY_EESZ_S10_S11_S12_S16_S17_S18_S1B_S1C_jS1D_jS1E_S1E_jjS1G_bEUljE0_EEESZ_S10_S11_S18_S1C_S1E_T6_T7_T9_mT8_S1G_bDpT10_ENKUlT_T0_E_clISt17integral_constantIbLb1EES1T_IbLb0EEEEDaS1P_S1Q_EUlS1P_E_NS1_11comp_targetILNS1_3genE4ELNS1_11target_archE910ELNS1_3gpuE8ELNS1_3repE0EEENS1_30default_config_static_selectorELNS0_4arch9wavefront6targetE0EEEvS12_.kd
    .uniform_work_group_size: 1
    .uses_dynamic_stack: false
    .vgpr_count:     0
    .vgpr_spill_count: 0
    .wavefront_size: 32
    .workgroup_processor_mode: 1
  - .args:
      - .offset:         0
        .size:           176
        .value_kind:     by_value
    .group_segment_fixed_size: 0
    .kernarg_segment_align: 8
    .kernarg_segment_size: 176
    .language:       OpenCL C
    .language_version:
      - 2
      - 0
    .max_flat_workgroup_size: 256
    .name:           _ZN7rocprim17ROCPRIM_400000_NS6detail17trampoline_kernelINS0_13select_configILj256ELj13ELNS0_17block_load_methodE3ELS4_3ELS4_3ELNS0_20block_scan_algorithmE0ELj4294967295EEENS1_25partition_config_selectorILNS1_17partition_subalgoE4EjNS0_10empty_typeEbEEZZNS1_14partition_implILS8_4ELb0ES6_15HIP_vector_typeIjLj2EENS0_17counting_iteratorIjlEEPS9_SG_NS0_5tupleIJPjSI_NS0_16reverse_iteratorISI_EEEEENSH_IJSG_SG_SG_EEES9_SI_JZNS1_25segmented_radix_sort_implINS0_14default_configELb0EPKiPiPKlPlN2at6native12_GLOBAL__N_18offset_tEEE10hipError_tPvRmT1_PNSt15iterator_traitsIS12_E10value_typeET2_T3_PNS13_IS18_E10value_typeET4_jRbjT5_S1E_jjP12ihipStream_tbEUljE_ZNSN_ISO_Lb0ESQ_SR_ST_SU_SY_EESZ_S10_S11_S12_S16_S17_S18_S1B_S1C_jS1D_jS1E_S1E_jjS1G_bEUljE0_EEESZ_S10_S11_S18_S1C_S1E_T6_T7_T9_mT8_S1G_bDpT10_ENKUlT_T0_E_clISt17integral_constantIbLb1EES1T_IbLb0EEEEDaS1P_S1Q_EUlS1P_E_NS1_11comp_targetILNS1_3genE3ELNS1_11target_archE908ELNS1_3gpuE7ELNS1_3repE0EEENS1_30default_config_static_selectorELNS0_4arch9wavefront6targetE0EEEvS12_
    .private_segment_fixed_size: 0
    .sgpr_count:     0
    .sgpr_spill_count: 0
    .symbol:         _ZN7rocprim17ROCPRIM_400000_NS6detail17trampoline_kernelINS0_13select_configILj256ELj13ELNS0_17block_load_methodE3ELS4_3ELS4_3ELNS0_20block_scan_algorithmE0ELj4294967295EEENS1_25partition_config_selectorILNS1_17partition_subalgoE4EjNS0_10empty_typeEbEEZZNS1_14partition_implILS8_4ELb0ES6_15HIP_vector_typeIjLj2EENS0_17counting_iteratorIjlEEPS9_SG_NS0_5tupleIJPjSI_NS0_16reverse_iteratorISI_EEEEENSH_IJSG_SG_SG_EEES9_SI_JZNS1_25segmented_radix_sort_implINS0_14default_configELb0EPKiPiPKlPlN2at6native12_GLOBAL__N_18offset_tEEE10hipError_tPvRmT1_PNSt15iterator_traitsIS12_E10value_typeET2_T3_PNS13_IS18_E10value_typeET4_jRbjT5_S1E_jjP12ihipStream_tbEUljE_ZNSN_ISO_Lb0ESQ_SR_ST_SU_SY_EESZ_S10_S11_S12_S16_S17_S18_S1B_S1C_jS1D_jS1E_S1E_jjS1G_bEUljE0_EEESZ_S10_S11_S18_S1C_S1E_T6_T7_T9_mT8_S1G_bDpT10_ENKUlT_T0_E_clISt17integral_constantIbLb1EES1T_IbLb0EEEEDaS1P_S1Q_EUlS1P_E_NS1_11comp_targetILNS1_3genE3ELNS1_11target_archE908ELNS1_3gpuE7ELNS1_3repE0EEENS1_30default_config_static_selectorELNS0_4arch9wavefront6targetE0EEEvS12_.kd
    .uniform_work_group_size: 1
    .uses_dynamic_stack: false
    .vgpr_count:     0
    .vgpr_spill_count: 0
    .wavefront_size: 32
    .workgroup_processor_mode: 1
  - .args:
      - .offset:         0
        .size:           176
        .value_kind:     by_value
    .group_segment_fixed_size: 0
    .kernarg_segment_align: 8
    .kernarg_segment_size: 176
    .language:       OpenCL C
    .language_version:
      - 2
      - 0
    .max_flat_workgroup_size: 256
    .name:           _ZN7rocprim17ROCPRIM_400000_NS6detail17trampoline_kernelINS0_13select_configILj256ELj13ELNS0_17block_load_methodE3ELS4_3ELS4_3ELNS0_20block_scan_algorithmE0ELj4294967295EEENS1_25partition_config_selectorILNS1_17partition_subalgoE4EjNS0_10empty_typeEbEEZZNS1_14partition_implILS8_4ELb0ES6_15HIP_vector_typeIjLj2EENS0_17counting_iteratorIjlEEPS9_SG_NS0_5tupleIJPjSI_NS0_16reverse_iteratorISI_EEEEENSH_IJSG_SG_SG_EEES9_SI_JZNS1_25segmented_radix_sort_implINS0_14default_configELb0EPKiPiPKlPlN2at6native12_GLOBAL__N_18offset_tEEE10hipError_tPvRmT1_PNSt15iterator_traitsIS12_E10value_typeET2_T3_PNS13_IS18_E10value_typeET4_jRbjT5_S1E_jjP12ihipStream_tbEUljE_ZNSN_ISO_Lb0ESQ_SR_ST_SU_SY_EESZ_S10_S11_S12_S16_S17_S18_S1B_S1C_jS1D_jS1E_S1E_jjS1G_bEUljE0_EEESZ_S10_S11_S18_S1C_S1E_T6_T7_T9_mT8_S1G_bDpT10_ENKUlT_T0_E_clISt17integral_constantIbLb1EES1T_IbLb0EEEEDaS1P_S1Q_EUlS1P_E_NS1_11comp_targetILNS1_3genE2ELNS1_11target_archE906ELNS1_3gpuE6ELNS1_3repE0EEENS1_30default_config_static_selectorELNS0_4arch9wavefront6targetE0EEEvS12_
    .private_segment_fixed_size: 0
    .sgpr_count:     0
    .sgpr_spill_count: 0
    .symbol:         _ZN7rocprim17ROCPRIM_400000_NS6detail17trampoline_kernelINS0_13select_configILj256ELj13ELNS0_17block_load_methodE3ELS4_3ELS4_3ELNS0_20block_scan_algorithmE0ELj4294967295EEENS1_25partition_config_selectorILNS1_17partition_subalgoE4EjNS0_10empty_typeEbEEZZNS1_14partition_implILS8_4ELb0ES6_15HIP_vector_typeIjLj2EENS0_17counting_iteratorIjlEEPS9_SG_NS0_5tupleIJPjSI_NS0_16reverse_iteratorISI_EEEEENSH_IJSG_SG_SG_EEES9_SI_JZNS1_25segmented_radix_sort_implINS0_14default_configELb0EPKiPiPKlPlN2at6native12_GLOBAL__N_18offset_tEEE10hipError_tPvRmT1_PNSt15iterator_traitsIS12_E10value_typeET2_T3_PNS13_IS18_E10value_typeET4_jRbjT5_S1E_jjP12ihipStream_tbEUljE_ZNSN_ISO_Lb0ESQ_SR_ST_SU_SY_EESZ_S10_S11_S12_S16_S17_S18_S1B_S1C_jS1D_jS1E_S1E_jjS1G_bEUljE0_EEESZ_S10_S11_S18_S1C_S1E_T6_T7_T9_mT8_S1G_bDpT10_ENKUlT_T0_E_clISt17integral_constantIbLb1EES1T_IbLb0EEEEDaS1P_S1Q_EUlS1P_E_NS1_11comp_targetILNS1_3genE2ELNS1_11target_archE906ELNS1_3gpuE6ELNS1_3repE0EEENS1_30default_config_static_selectorELNS0_4arch9wavefront6targetE0EEEvS12_.kd
    .uniform_work_group_size: 1
    .uses_dynamic_stack: false
    .vgpr_count:     0
    .vgpr_spill_count: 0
    .wavefront_size: 32
    .workgroup_processor_mode: 1
  - .args:
      - .offset:         0
        .size:           176
        .value_kind:     by_value
    .group_segment_fixed_size: 0
    .kernarg_segment_align: 8
    .kernarg_segment_size: 176
    .language:       OpenCL C
    .language_version:
      - 2
      - 0
    .max_flat_workgroup_size: 256
    .name:           _ZN7rocprim17ROCPRIM_400000_NS6detail17trampoline_kernelINS0_13select_configILj256ELj13ELNS0_17block_load_methodE3ELS4_3ELS4_3ELNS0_20block_scan_algorithmE0ELj4294967295EEENS1_25partition_config_selectorILNS1_17partition_subalgoE4EjNS0_10empty_typeEbEEZZNS1_14partition_implILS8_4ELb0ES6_15HIP_vector_typeIjLj2EENS0_17counting_iteratorIjlEEPS9_SG_NS0_5tupleIJPjSI_NS0_16reverse_iteratorISI_EEEEENSH_IJSG_SG_SG_EEES9_SI_JZNS1_25segmented_radix_sort_implINS0_14default_configELb0EPKiPiPKlPlN2at6native12_GLOBAL__N_18offset_tEEE10hipError_tPvRmT1_PNSt15iterator_traitsIS12_E10value_typeET2_T3_PNS13_IS18_E10value_typeET4_jRbjT5_S1E_jjP12ihipStream_tbEUljE_ZNSN_ISO_Lb0ESQ_SR_ST_SU_SY_EESZ_S10_S11_S12_S16_S17_S18_S1B_S1C_jS1D_jS1E_S1E_jjS1G_bEUljE0_EEESZ_S10_S11_S18_S1C_S1E_T6_T7_T9_mT8_S1G_bDpT10_ENKUlT_T0_E_clISt17integral_constantIbLb1EES1T_IbLb0EEEEDaS1P_S1Q_EUlS1P_E_NS1_11comp_targetILNS1_3genE10ELNS1_11target_archE1200ELNS1_3gpuE4ELNS1_3repE0EEENS1_30default_config_static_selectorELNS0_4arch9wavefront6targetE0EEEvS12_
    .private_segment_fixed_size: 0
    .sgpr_count:     0
    .sgpr_spill_count: 0
    .symbol:         _ZN7rocprim17ROCPRIM_400000_NS6detail17trampoline_kernelINS0_13select_configILj256ELj13ELNS0_17block_load_methodE3ELS4_3ELS4_3ELNS0_20block_scan_algorithmE0ELj4294967295EEENS1_25partition_config_selectorILNS1_17partition_subalgoE4EjNS0_10empty_typeEbEEZZNS1_14partition_implILS8_4ELb0ES6_15HIP_vector_typeIjLj2EENS0_17counting_iteratorIjlEEPS9_SG_NS0_5tupleIJPjSI_NS0_16reverse_iteratorISI_EEEEENSH_IJSG_SG_SG_EEES9_SI_JZNS1_25segmented_radix_sort_implINS0_14default_configELb0EPKiPiPKlPlN2at6native12_GLOBAL__N_18offset_tEEE10hipError_tPvRmT1_PNSt15iterator_traitsIS12_E10value_typeET2_T3_PNS13_IS18_E10value_typeET4_jRbjT5_S1E_jjP12ihipStream_tbEUljE_ZNSN_ISO_Lb0ESQ_SR_ST_SU_SY_EESZ_S10_S11_S12_S16_S17_S18_S1B_S1C_jS1D_jS1E_S1E_jjS1G_bEUljE0_EEESZ_S10_S11_S18_S1C_S1E_T6_T7_T9_mT8_S1G_bDpT10_ENKUlT_T0_E_clISt17integral_constantIbLb1EES1T_IbLb0EEEEDaS1P_S1Q_EUlS1P_E_NS1_11comp_targetILNS1_3genE10ELNS1_11target_archE1200ELNS1_3gpuE4ELNS1_3repE0EEENS1_30default_config_static_selectorELNS0_4arch9wavefront6targetE0EEEvS12_.kd
    .uniform_work_group_size: 1
    .uses_dynamic_stack: false
    .vgpr_count:     0
    .vgpr_spill_count: 0
    .wavefront_size: 32
    .workgroup_processor_mode: 1
  - .args:
      - .offset:         0
        .size:           176
        .value_kind:     by_value
    .group_segment_fixed_size: 0
    .kernarg_segment_align: 8
    .kernarg_segment_size: 176
    .language:       OpenCL C
    .language_version:
      - 2
      - 0
    .max_flat_workgroup_size: 256
    .name:           _ZN7rocprim17ROCPRIM_400000_NS6detail17trampoline_kernelINS0_13select_configILj256ELj13ELNS0_17block_load_methodE3ELS4_3ELS4_3ELNS0_20block_scan_algorithmE0ELj4294967295EEENS1_25partition_config_selectorILNS1_17partition_subalgoE4EjNS0_10empty_typeEbEEZZNS1_14partition_implILS8_4ELb0ES6_15HIP_vector_typeIjLj2EENS0_17counting_iteratorIjlEEPS9_SG_NS0_5tupleIJPjSI_NS0_16reverse_iteratorISI_EEEEENSH_IJSG_SG_SG_EEES9_SI_JZNS1_25segmented_radix_sort_implINS0_14default_configELb0EPKiPiPKlPlN2at6native12_GLOBAL__N_18offset_tEEE10hipError_tPvRmT1_PNSt15iterator_traitsIS12_E10value_typeET2_T3_PNS13_IS18_E10value_typeET4_jRbjT5_S1E_jjP12ihipStream_tbEUljE_ZNSN_ISO_Lb0ESQ_SR_ST_SU_SY_EESZ_S10_S11_S12_S16_S17_S18_S1B_S1C_jS1D_jS1E_S1E_jjS1G_bEUljE0_EEESZ_S10_S11_S18_S1C_S1E_T6_T7_T9_mT8_S1G_bDpT10_ENKUlT_T0_E_clISt17integral_constantIbLb1EES1T_IbLb0EEEEDaS1P_S1Q_EUlS1P_E_NS1_11comp_targetILNS1_3genE9ELNS1_11target_archE1100ELNS1_3gpuE3ELNS1_3repE0EEENS1_30default_config_static_selectorELNS0_4arch9wavefront6targetE0EEEvS12_
    .private_segment_fixed_size: 0
    .sgpr_count:     0
    .sgpr_spill_count: 0
    .symbol:         _ZN7rocprim17ROCPRIM_400000_NS6detail17trampoline_kernelINS0_13select_configILj256ELj13ELNS0_17block_load_methodE3ELS4_3ELS4_3ELNS0_20block_scan_algorithmE0ELj4294967295EEENS1_25partition_config_selectorILNS1_17partition_subalgoE4EjNS0_10empty_typeEbEEZZNS1_14partition_implILS8_4ELb0ES6_15HIP_vector_typeIjLj2EENS0_17counting_iteratorIjlEEPS9_SG_NS0_5tupleIJPjSI_NS0_16reverse_iteratorISI_EEEEENSH_IJSG_SG_SG_EEES9_SI_JZNS1_25segmented_radix_sort_implINS0_14default_configELb0EPKiPiPKlPlN2at6native12_GLOBAL__N_18offset_tEEE10hipError_tPvRmT1_PNSt15iterator_traitsIS12_E10value_typeET2_T3_PNS13_IS18_E10value_typeET4_jRbjT5_S1E_jjP12ihipStream_tbEUljE_ZNSN_ISO_Lb0ESQ_SR_ST_SU_SY_EESZ_S10_S11_S12_S16_S17_S18_S1B_S1C_jS1D_jS1E_S1E_jjS1G_bEUljE0_EEESZ_S10_S11_S18_S1C_S1E_T6_T7_T9_mT8_S1G_bDpT10_ENKUlT_T0_E_clISt17integral_constantIbLb1EES1T_IbLb0EEEEDaS1P_S1Q_EUlS1P_E_NS1_11comp_targetILNS1_3genE9ELNS1_11target_archE1100ELNS1_3gpuE3ELNS1_3repE0EEENS1_30default_config_static_selectorELNS0_4arch9wavefront6targetE0EEEvS12_.kd
    .uniform_work_group_size: 1
    .uses_dynamic_stack: false
    .vgpr_count:     0
    .vgpr_spill_count: 0
    .wavefront_size: 32
    .workgroup_processor_mode: 1
  - .args:
      - .offset:         0
        .size:           176
        .value_kind:     by_value
    .group_segment_fixed_size: 0
    .kernarg_segment_align: 8
    .kernarg_segment_size: 176
    .language:       OpenCL C
    .language_version:
      - 2
      - 0
    .max_flat_workgroup_size: 256
    .name:           _ZN7rocprim17ROCPRIM_400000_NS6detail17trampoline_kernelINS0_13select_configILj256ELj13ELNS0_17block_load_methodE3ELS4_3ELS4_3ELNS0_20block_scan_algorithmE0ELj4294967295EEENS1_25partition_config_selectorILNS1_17partition_subalgoE4EjNS0_10empty_typeEbEEZZNS1_14partition_implILS8_4ELb0ES6_15HIP_vector_typeIjLj2EENS0_17counting_iteratorIjlEEPS9_SG_NS0_5tupleIJPjSI_NS0_16reverse_iteratorISI_EEEEENSH_IJSG_SG_SG_EEES9_SI_JZNS1_25segmented_radix_sort_implINS0_14default_configELb0EPKiPiPKlPlN2at6native12_GLOBAL__N_18offset_tEEE10hipError_tPvRmT1_PNSt15iterator_traitsIS12_E10value_typeET2_T3_PNS13_IS18_E10value_typeET4_jRbjT5_S1E_jjP12ihipStream_tbEUljE_ZNSN_ISO_Lb0ESQ_SR_ST_SU_SY_EESZ_S10_S11_S12_S16_S17_S18_S1B_S1C_jS1D_jS1E_S1E_jjS1G_bEUljE0_EEESZ_S10_S11_S18_S1C_S1E_T6_T7_T9_mT8_S1G_bDpT10_ENKUlT_T0_E_clISt17integral_constantIbLb1EES1T_IbLb0EEEEDaS1P_S1Q_EUlS1P_E_NS1_11comp_targetILNS1_3genE8ELNS1_11target_archE1030ELNS1_3gpuE2ELNS1_3repE0EEENS1_30default_config_static_selectorELNS0_4arch9wavefront6targetE0EEEvS12_
    .private_segment_fixed_size: 0
    .sgpr_count:     0
    .sgpr_spill_count: 0
    .symbol:         _ZN7rocprim17ROCPRIM_400000_NS6detail17trampoline_kernelINS0_13select_configILj256ELj13ELNS0_17block_load_methodE3ELS4_3ELS4_3ELNS0_20block_scan_algorithmE0ELj4294967295EEENS1_25partition_config_selectorILNS1_17partition_subalgoE4EjNS0_10empty_typeEbEEZZNS1_14partition_implILS8_4ELb0ES6_15HIP_vector_typeIjLj2EENS0_17counting_iteratorIjlEEPS9_SG_NS0_5tupleIJPjSI_NS0_16reverse_iteratorISI_EEEEENSH_IJSG_SG_SG_EEES9_SI_JZNS1_25segmented_radix_sort_implINS0_14default_configELb0EPKiPiPKlPlN2at6native12_GLOBAL__N_18offset_tEEE10hipError_tPvRmT1_PNSt15iterator_traitsIS12_E10value_typeET2_T3_PNS13_IS18_E10value_typeET4_jRbjT5_S1E_jjP12ihipStream_tbEUljE_ZNSN_ISO_Lb0ESQ_SR_ST_SU_SY_EESZ_S10_S11_S12_S16_S17_S18_S1B_S1C_jS1D_jS1E_S1E_jjS1G_bEUljE0_EEESZ_S10_S11_S18_S1C_S1E_T6_T7_T9_mT8_S1G_bDpT10_ENKUlT_T0_E_clISt17integral_constantIbLb1EES1T_IbLb0EEEEDaS1P_S1Q_EUlS1P_E_NS1_11comp_targetILNS1_3genE8ELNS1_11target_archE1030ELNS1_3gpuE2ELNS1_3repE0EEENS1_30default_config_static_selectorELNS0_4arch9wavefront6targetE0EEEvS12_.kd
    .uniform_work_group_size: 1
    .uses_dynamic_stack: false
    .vgpr_count:     0
    .vgpr_spill_count: 0
    .wavefront_size: 32
    .workgroup_processor_mode: 1
  - .args:
      - .offset:         0
        .size:           184
        .value_kind:     by_value
    .group_segment_fixed_size: 0
    .kernarg_segment_align: 8
    .kernarg_segment_size: 184
    .language:       OpenCL C
    .language_version:
      - 2
      - 0
    .max_flat_workgroup_size: 256
    .name:           _ZN7rocprim17ROCPRIM_400000_NS6detail17trampoline_kernelINS0_13select_configILj256ELj13ELNS0_17block_load_methodE3ELS4_3ELS4_3ELNS0_20block_scan_algorithmE0ELj4294967295EEENS1_25partition_config_selectorILNS1_17partition_subalgoE4EjNS0_10empty_typeEbEEZZNS1_14partition_implILS8_4ELb0ES6_15HIP_vector_typeIjLj2EENS0_17counting_iteratorIjlEEPS9_SG_NS0_5tupleIJPjSI_NS0_16reverse_iteratorISI_EEEEENSH_IJSG_SG_SG_EEES9_SI_JZNS1_25segmented_radix_sort_implINS0_14default_configELb0EPKiPiPKlPlN2at6native12_GLOBAL__N_18offset_tEEE10hipError_tPvRmT1_PNSt15iterator_traitsIS12_E10value_typeET2_T3_PNS13_IS18_E10value_typeET4_jRbjT5_S1E_jjP12ihipStream_tbEUljE_ZNSN_ISO_Lb0ESQ_SR_ST_SU_SY_EESZ_S10_S11_S12_S16_S17_S18_S1B_S1C_jS1D_jS1E_S1E_jjS1G_bEUljE0_EEESZ_S10_S11_S18_S1C_S1E_T6_T7_T9_mT8_S1G_bDpT10_ENKUlT_T0_E_clISt17integral_constantIbLb0EES1T_IbLb1EEEEDaS1P_S1Q_EUlS1P_E_NS1_11comp_targetILNS1_3genE0ELNS1_11target_archE4294967295ELNS1_3gpuE0ELNS1_3repE0EEENS1_30default_config_static_selectorELNS0_4arch9wavefront6targetE0EEEvS12_
    .private_segment_fixed_size: 0
    .sgpr_count:     0
    .sgpr_spill_count: 0
    .symbol:         _ZN7rocprim17ROCPRIM_400000_NS6detail17trampoline_kernelINS0_13select_configILj256ELj13ELNS0_17block_load_methodE3ELS4_3ELS4_3ELNS0_20block_scan_algorithmE0ELj4294967295EEENS1_25partition_config_selectorILNS1_17partition_subalgoE4EjNS0_10empty_typeEbEEZZNS1_14partition_implILS8_4ELb0ES6_15HIP_vector_typeIjLj2EENS0_17counting_iteratorIjlEEPS9_SG_NS0_5tupleIJPjSI_NS0_16reverse_iteratorISI_EEEEENSH_IJSG_SG_SG_EEES9_SI_JZNS1_25segmented_radix_sort_implINS0_14default_configELb0EPKiPiPKlPlN2at6native12_GLOBAL__N_18offset_tEEE10hipError_tPvRmT1_PNSt15iterator_traitsIS12_E10value_typeET2_T3_PNS13_IS18_E10value_typeET4_jRbjT5_S1E_jjP12ihipStream_tbEUljE_ZNSN_ISO_Lb0ESQ_SR_ST_SU_SY_EESZ_S10_S11_S12_S16_S17_S18_S1B_S1C_jS1D_jS1E_S1E_jjS1G_bEUljE0_EEESZ_S10_S11_S18_S1C_S1E_T6_T7_T9_mT8_S1G_bDpT10_ENKUlT_T0_E_clISt17integral_constantIbLb0EES1T_IbLb1EEEEDaS1P_S1Q_EUlS1P_E_NS1_11comp_targetILNS1_3genE0ELNS1_11target_archE4294967295ELNS1_3gpuE0ELNS1_3repE0EEENS1_30default_config_static_selectorELNS0_4arch9wavefront6targetE0EEEvS12_.kd
    .uniform_work_group_size: 1
    .uses_dynamic_stack: false
    .vgpr_count:     0
    .vgpr_spill_count: 0
    .wavefront_size: 32
    .workgroup_processor_mode: 1
  - .args:
      - .offset:         0
        .size:           184
        .value_kind:     by_value
    .group_segment_fixed_size: 0
    .kernarg_segment_align: 8
    .kernarg_segment_size: 184
    .language:       OpenCL C
    .language_version:
      - 2
      - 0
    .max_flat_workgroup_size: 256
    .name:           _ZN7rocprim17ROCPRIM_400000_NS6detail17trampoline_kernelINS0_13select_configILj256ELj13ELNS0_17block_load_methodE3ELS4_3ELS4_3ELNS0_20block_scan_algorithmE0ELj4294967295EEENS1_25partition_config_selectorILNS1_17partition_subalgoE4EjNS0_10empty_typeEbEEZZNS1_14partition_implILS8_4ELb0ES6_15HIP_vector_typeIjLj2EENS0_17counting_iteratorIjlEEPS9_SG_NS0_5tupleIJPjSI_NS0_16reverse_iteratorISI_EEEEENSH_IJSG_SG_SG_EEES9_SI_JZNS1_25segmented_radix_sort_implINS0_14default_configELb0EPKiPiPKlPlN2at6native12_GLOBAL__N_18offset_tEEE10hipError_tPvRmT1_PNSt15iterator_traitsIS12_E10value_typeET2_T3_PNS13_IS18_E10value_typeET4_jRbjT5_S1E_jjP12ihipStream_tbEUljE_ZNSN_ISO_Lb0ESQ_SR_ST_SU_SY_EESZ_S10_S11_S12_S16_S17_S18_S1B_S1C_jS1D_jS1E_S1E_jjS1G_bEUljE0_EEESZ_S10_S11_S18_S1C_S1E_T6_T7_T9_mT8_S1G_bDpT10_ENKUlT_T0_E_clISt17integral_constantIbLb0EES1T_IbLb1EEEEDaS1P_S1Q_EUlS1P_E_NS1_11comp_targetILNS1_3genE5ELNS1_11target_archE942ELNS1_3gpuE9ELNS1_3repE0EEENS1_30default_config_static_selectorELNS0_4arch9wavefront6targetE0EEEvS12_
    .private_segment_fixed_size: 0
    .sgpr_count:     0
    .sgpr_spill_count: 0
    .symbol:         _ZN7rocprim17ROCPRIM_400000_NS6detail17trampoline_kernelINS0_13select_configILj256ELj13ELNS0_17block_load_methodE3ELS4_3ELS4_3ELNS0_20block_scan_algorithmE0ELj4294967295EEENS1_25partition_config_selectorILNS1_17partition_subalgoE4EjNS0_10empty_typeEbEEZZNS1_14partition_implILS8_4ELb0ES6_15HIP_vector_typeIjLj2EENS0_17counting_iteratorIjlEEPS9_SG_NS0_5tupleIJPjSI_NS0_16reverse_iteratorISI_EEEEENSH_IJSG_SG_SG_EEES9_SI_JZNS1_25segmented_radix_sort_implINS0_14default_configELb0EPKiPiPKlPlN2at6native12_GLOBAL__N_18offset_tEEE10hipError_tPvRmT1_PNSt15iterator_traitsIS12_E10value_typeET2_T3_PNS13_IS18_E10value_typeET4_jRbjT5_S1E_jjP12ihipStream_tbEUljE_ZNSN_ISO_Lb0ESQ_SR_ST_SU_SY_EESZ_S10_S11_S12_S16_S17_S18_S1B_S1C_jS1D_jS1E_S1E_jjS1G_bEUljE0_EEESZ_S10_S11_S18_S1C_S1E_T6_T7_T9_mT8_S1G_bDpT10_ENKUlT_T0_E_clISt17integral_constantIbLb0EES1T_IbLb1EEEEDaS1P_S1Q_EUlS1P_E_NS1_11comp_targetILNS1_3genE5ELNS1_11target_archE942ELNS1_3gpuE9ELNS1_3repE0EEENS1_30default_config_static_selectorELNS0_4arch9wavefront6targetE0EEEvS12_.kd
    .uniform_work_group_size: 1
    .uses_dynamic_stack: false
    .vgpr_count:     0
    .vgpr_spill_count: 0
    .wavefront_size: 32
    .workgroup_processor_mode: 1
  - .args:
      - .offset:         0
        .size:           184
        .value_kind:     by_value
    .group_segment_fixed_size: 0
    .kernarg_segment_align: 8
    .kernarg_segment_size: 184
    .language:       OpenCL C
    .language_version:
      - 2
      - 0
    .max_flat_workgroup_size: 256
    .name:           _ZN7rocprim17ROCPRIM_400000_NS6detail17trampoline_kernelINS0_13select_configILj256ELj13ELNS0_17block_load_methodE3ELS4_3ELS4_3ELNS0_20block_scan_algorithmE0ELj4294967295EEENS1_25partition_config_selectorILNS1_17partition_subalgoE4EjNS0_10empty_typeEbEEZZNS1_14partition_implILS8_4ELb0ES6_15HIP_vector_typeIjLj2EENS0_17counting_iteratorIjlEEPS9_SG_NS0_5tupleIJPjSI_NS0_16reverse_iteratorISI_EEEEENSH_IJSG_SG_SG_EEES9_SI_JZNS1_25segmented_radix_sort_implINS0_14default_configELb0EPKiPiPKlPlN2at6native12_GLOBAL__N_18offset_tEEE10hipError_tPvRmT1_PNSt15iterator_traitsIS12_E10value_typeET2_T3_PNS13_IS18_E10value_typeET4_jRbjT5_S1E_jjP12ihipStream_tbEUljE_ZNSN_ISO_Lb0ESQ_SR_ST_SU_SY_EESZ_S10_S11_S12_S16_S17_S18_S1B_S1C_jS1D_jS1E_S1E_jjS1G_bEUljE0_EEESZ_S10_S11_S18_S1C_S1E_T6_T7_T9_mT8_S1G_bDpT10_ENKUlT_T0_E_clISt17integral_constantIbLb0EES1T_IbLb1EEEEDaS1P_S1Q_EUlS1P_E_NS1_11comp_targetILNS1_3genE4ELNS1_11target_archE910ELNS1_3gpuE8ELNS1_3repE0EEENS1_30default_config_static_selectorELNS0_4arch9wavefront6targetE0EEEvS12_
    .private_segment_fixed_size: 0
    .sgpr_count:     0
    .sgpr_spill_count: 0
    .symbol:         _ZN7rocprim17ROCPRIM_400000_NS6detail17trampoline_kernelINS0_13select_configILj256ELj13ELNS0_17block_load_methodE3ELS4_3ELS4_3ELNS0_20block_scan_algorithmE0ELj4294967295EEENS1_25partition_config_selectorILNS1_17partition_subalgoE4EjNS0_10empty_typeEbEEZZNS1_14partition_implILS8_4ELb0ES6_15HIP_vector_typeIjLj2EENS0_17counting_iteratorIjlEEPS9_SG_NS0_5tupleIJPjSI_NS0_16reverse_iteratorISI_EEEEENSH_IJSG_SG_SG_EEES9_SI_JZNS1_25segmented_radix_sort_implINS0_14default_configELb0EPKiPiPKlPlN2at6native12_GLOBAL__N_18offset_tEEE10hipError_tPvRmT1_PNSt15iterator_traitsIS12_E10value_typeET2_T3_PNS13_IS18_E10value_typeET4_jRbjT5_S1E_jjP12ihipStream_tbEUljE_ZNSN_ISO_Lb0ESQ_SR_ST_SU_SY_EESZ_S10_S11_S12_S16_S17_S18_S1B_S1C_jS1D_jS1E_S1E_jjS1G_bEUljE0_EEESZ_S10_S11_S18_S1C_S1E_T6_T7_T9_mT8_S1G_bDpT10_ENKUlT_T0_E_clISt17integral_constantIbLb0EES1T_IbLb1EEEEDaS1P_S1Q_EUlS1P_E_NS1_11comp_targetILNS1_3genE4ELNS1_11target_archE910ELNS1_3gpuE8ELNS1_3repE0EEENS1_30default_config_static_selectorELNS0_4arch9wavefront6targetE0EEEvS12_.kd
    .uniform_work_group_size: 1
    .uses_dynamic_stack: false
    .vgpr_count:     0
    .vgpr_spill_count: 0
    .wavefront_size: 32
    .workgroup_processor_mode: 1
  - .args:
      - .offset:         0
        .size:           184
        .value_kind:     by_value
    .group_segment_fixed_size: 0
    .kernarg_segment_align: 8
    .kernarg_segment_size: 184
    .language:       OpenCL C
    .language_version:
      - 2
      - 0
    .max_flat_workgroup_size: 256
    .name:           _ZN7rocprim17ROCPRIM_400000_NS6detail17trampoline_kernelINS0_13select_configILj256ELj13ELNS0_17block_load_methodE3ELS4_3ELS4_3ELNS0_20block_scan_algorithmE0ELj4294967295EEENS1_25partition_config_selectorILNS1_17partition_subalgoE4EjNS0_10empty_typeEbEEZZNS1_14partition_implILS8_4ELb0ES6_15HIP_vector_typeIjLj2EENS0_17counting_iteratorIjlEEPS9_SG_NS0_5tupleIJPjSI_NS0_16reverse_iteratorISI_EEEEENSH_IJSG_SG_SG_EEES9_SI_JZNS1_25segmented_radix_sort_implINS0_14default_configELb0EPKiPiPKlPlN2at6native12_GLOBAL__N_18offset_tEEE10hipError_tPvRmT1_PNSt15iterator_traitsIS12_E10value_typeET2_T3_PNS13_IS18_E10value_typeET4_jRbjT5_S1E_jjP12ihipStream_tbEUljE_ZNSN_ISO_Lb0ESQ_SR_ST_SU_SY_EESZ_S10_S11_S12_S16_S17_S18_S1B_S1C_jS1D_jS1E_S1E_jjS1G_bEUljE0_EEESZ_S10_S11_S18_S1C_S1E_T6_T7_T9_mT8_S1G_bDpT10_ENKUlT_T0_E_clISt17integral_constantIbLb0EES1T_IbLb1EEEEDaS1P_S1Q_EUlS1P_E_NS1_11comp_targetILNS1_3genE3ELNS1_11target_archE908ELNS1_3gpuE7ELNS1_3repE0EEENS1_30default_config_static_selectorELNS0_4arch9wavefront6targetE0EEEvS12_
    .private_segment_fixed_size: 0
    .sgpr_count:     0
    .sgpr_spill_count: 0
    .symbol:         _ZN7rocprim17ROCPRIM_400000_NS6detail17trampoline_kernelINS0_13select_configILj256ELj13ELNS0_17block_load_methodE3ELS4_3ELS4_3ELNS0_20block_scan_algorithmE0ELj4294967295EEENS1_25partition_config_selectorILNS1_17partition_subalgoE4EjNS0_10empty_typeEbEEZZNS1_14partition_implILS8_4ELb0ES6_15HIP_vector_typeIjLj2EENS0_17counting_iteratorIjlEEPS9_SG_NS0_5tupleIJPjSI_NS0_16reverse_iteratorISI_EEEEENSH_IJSG_SG_SG_EEES9_SI_JZNS1_25segmented_radix_sort_implINS0_14default_configELb0EPKiPiPKlPlN2at6native12_GLOBAL__N_18offset_tEEE10hipError_tPvRmT1_PNSt15iterator_traitsIS12_E10value_typeET2_T3_PNS13_IS18_E10value_typeET4_jRbjT5_S1E_jjP12ihipStream_tbEUljE_ZNSN_ISO_Lb0ESQ_SR_ST_SU_SY_EESZ_S10_S11_S12_S16_S17_S18_S1B_S1C_jS1D_jS1E_S1E_jjS1G_bEUljE0_EEESZ_S10_S11_S18_S1C_S1E_T6_T7_T9_mT8_S1G_bDpT10_ENKUlT_T0_E_clISt17integral_constantIbLb0EES1T_IbLb1EEEEDaS1P_S1Q_EUlS1P_E_NS1_11comp_targetILNS1_3genE3ELNS1_11target_archE908ELNS1_3gpuE7ELNS1_3repE0EEENS1_30default_config_static_selectorELNS0_4arch9wavefront6targetE0EEEvS12_.kd
    .uniform_work_group_size: 1
    .uses_dynamic_stack: false
    .vgpr_count:     0
    .vgpr_spill_count: 0
    .wavefront_size: 32
    .workgroup_processor_mode: 1
  - .args:
      - .offset:         0
        .size:           184
        .value_kind:     by_value
    .group_segment_fixed_size: 0
    .kernarg_segment_align: 8
    .kernarg_segment_size: 184
    .language:       OpenCL C
    .language_version:
      - 2
      - 0
    .max_flat_workgroup_size: 256
    .name:           _ZN7rocprim17ROCPRIM_400000_NS6detail17trampoline_kernelINS0_13select_configILj256ELj13ELNS0_17block_load_methodE3ELS4_3ELS4_3ELNS0_20block_scan_algorithmE0ELj4294967295EEENS1_25partition_config_selectorILNS1_17partition_subalgoE4EjNS0_10empty_typeEbEEZZNS1_14partition_implILS8_4ELb0ES6_15HIP_vector_typeIjLj2EENS0_17counting_iteratorIjlEEPS9_SG_NS0_5tupleIJPjSI_NS0_16reverse_iteratorISI_EEEEENSH_IJSG_SG_SG_EEES9_SI_JZNS1_25segmented_radix_sort_implINS0_14default_configELb0EPKiPiPKlPlN2at6native12_GLOBAL__N_18offset_tEEE10hipError_tPvRmT1_PNSt15iterator_traitsIS12_E10value_typeET2_T3_PNS13_IS18_E10value_typeET4_jRbjT5_S1E_jjP12ihipStream_tbEUljE_ZNSN_ISO_Lb0ESQ_SR_ST_SU_SY_EESZ_S10_S11_S12_S16_S17_S18_S1B_S1C_jS1D_jS1E_S1E_jjS1G_bEUljE0_EEESZ_S10_S11_S18_S1C_S1E_T6_T7_T9_mT8_S1G_bDpT10_ENKUlT_T0_E_clISt17integral_constantIbLb0EES1T_IbLb1EEEEDaS1P_S1Q_EUlS1P_E_NS1_11comp_targetILNS1_3genE2ELNS1_11target_archE906ELNS1_3gpuE6ELNS1_3repE0EEENS1_30default_config_static_selectorELNS0_4arch9wavefront6targetE0EEEvS12_
    .private_segment_fixed_size: 0
    .sgpr_count:     0
    .sgpr_spill_count: 0
    .symbol:         _ZN7rocprim17ROCPRIM_400000_NS6detail17trampoline_kernelINS0_13select_configILj256ELj13ELNS0_17block_load_methodE3ELS4_3ELS4_3ELNS0_20block_scan_algorithmE0ELj4294967295EEENS1_25partition_config_selectorILNS1_17partition_subalgoE4EjNS0_10empty_typeEbEEZZNS1_14partition_implILS8_4ELb0ES6_15HIP_vector_typeIjLj2EENS0_17counting_iteratorIjlEEPS9_SG_NS0_5tupleIJPjSI_NS0_16reverse_iteratorISI_EEEEENSH_IJSG_SG_SG_EEES9_SI_JZNS1_25segmented_radix_sort_implINS0_14default_configELb0EPKiPiPKlPlN2at6native12_GLOBAL__N_18offset_tEEE10hipError_tPvRmT1_PNSt15iterator_traitsIS12_E10value_typeET2_T3_PNS13_IS18_E10value_typeET4_jRbjT5_S1E_jjP12ihipStream_tbEUljE_ZNSN_ISO_Lb0ESQ_SR_ST_SU_SY_EESZ_S10_S11_S12_S16_S17_S18_S1B_S1C_jS1D_jS1E_S1E_jjS1G_bEUljE0_EEESZ_S10_S11_S18_S1C_S1E_T6_T7_T9_mT8_S1G_bDpT10_ENKUlT_T0_E_clISt17integral_constantIbLb0EES1T_IbLb1EEEEDaS1P_S1Q_EUlS1P_E_NS1_11comp_targetILNS1_3genE2ELNS1_11target_archE906ELNS1_3gpuE6ELNS1_3repE0EEENS1_30default_config_static_selectorELNS0_4arch9wavefront6targetE0EEEvS12_.kd
    .uniform_work_group_size: 1
    .uses_dynamic_stack: false
    .vgpr_count:     0
    .vgpr_spill_count: 0
    .wavefront_size: 32
    .workgroup_processor_mode: 1
  - .args:
      - .offset:         0
        .size:           184
        .value_kind:     by_value
    .group_segment_fixed_size: 13328
    .kernarg_segment_align: 8
    .kernarg_segment_size: 184
    .language:       OpenCL C
    .language_version:
      - 2
      - 0
    .max_flat_workgroup_size: 256
    .name:           _ZN7rocprim17ROCPRIM_400000_NS6detail17trampoline_kernelINS0_13select_configILj256ELj13ELNS0_17block_load_methodE3ELS4_3ELS4_3ELNS0_20block_scan_algorithmE0ELj4294967295EEENS1_25partition_config_selectorILNS1_17partition_subalgoE4EjNS0_10empty_typeEbEEZZNS1_14partition_implILS8_4ELb0ES6_15HIP_vector_typeIjLj2EENS0_17counting_iteratorIjlEEPS9_SG_NS0_5tupleIJPjSI_NS0_16reverse_iteratorISI_EEEEENSH_IJSG_SG_SG_EEES9_SI_JZNS1_25segmented_radix_sort_implINS0_14default_configELb0EPKiPiPKlPlN2at6native12_GLOBAL__N_18offset_tEEE10hipError_tPvRmT1_PNSt15iterator_traitsIS12_E10value_typeET2_T3_PNS13_IS18_E10value_typeET4_jRbjT5_S1E_jjP12ihipStream_tbEUljE_ZNSN_ISO_Lb0ESQ_SR_ST_SU_SY_EESZ_S10_S11_S12_S16_S17_S18_S1B_S1C_jS1D_jS1E_S1E_jjS1G_bEUljE0_EEESZ_S10_S11_S18_S1C_S1E_T6_T7_T9_mT8_S1G_bDpT10_ENKUlT_T0_E_clISt17integral_constantIbLb0EES1T_IbLb1EEEEDaS1P_S1Q_EUlS1P_E_NS1_11comp_targetILNS1_3genE10ELNS1_11target_archE1200ELNS1_3gpuE4ELNS1_3repE0EEENS1_30default_config_static_selectorELNS0_4arch9wavefront6targetE0EEEvS12_
    .private_segment_fixed_size: 0
    .sgpr_count:     57
    .sgpr_spill_count: 0
    .symbol:         _ZN7rocprim17ROCPRIM_400000_NS6detail17trampoline_kernelINS0_13select_configILj256ELj13ELNS0_17block_load_methodE3ELS4_3ELS4_3ELNS0_20block_scan_algorithmE0ELj4294967295EEENS1_25partition_config_selectorILNS1_17partition_subalgoE4EjNS0_10empty_typeEbEEZZNS1_14partition_implILS8_4ELb0ES6_15HIP_vector_typeIjLj2EENS0_17counting_iteratorIjlEEPS9_SG_NS0_5tupleIJPjSI_NS0_16reverse_iteratorISI_EEEEENSH_IJSG_SG_SG_EEES9_SI_JZNS1_25segmented_radix_sort_implINS0_14default_configELb0EPKiPiPKlPlN2at6native12_GLOBAL__N_18offset_tEEE10hipError_tPvRmT1_PNSt15iterator_traitsIS12_E10value_typeET2_T3_PNS13_IS18_E10value_typeET4_jRbjT5_S1E_jjP12ihipStream_tbEUljE_ZNSN_ISO_Lb0ESQ_SR_ST_SU_SY_EESZ_S10_S11_S12_S16_S17_S18_S1B_S1C_jS1D_jS1E_S1E_jjS1G_bEUljE0_EEESZ_S10_S11_S18_S1C_S1E_T6_T7_T9_mT8_S1G_bDpT10_ENKUlT_T0_E_clISt17integral_constantIbLb0EES1T_IbLb1EEEEDaS1P_S1Q_EUlS1P_E_NS1_11comp_targetILNS1_3genE10ELNS1_11target_archE1200ELNS1_3gpuE4ELNS1_3repE0EEENS1_30default_config_static_selectorELNS0_4arch9wavefront6targetE0EEEvS12_.kd
    .uniform_work_group_size: 1
    .uses_dynamic_stack: false
    .vgpr_count:     98
    .vgpr_spill_count: 0
    .wavefront_size: 32
    .workgroup_processor_mode: 1
  - .args:
      - .offset:         0
        .size:           184
        .value_kind:     by_value
    .group_segment_fixed_size: 0
    .kernarg_segment_align: 8
    .kernarg_segment_size: 184
    .language:       OpenCL C
    .language_version:
      - 2
      - 0
    .max_flat_workgroup_size: 256
    .name:           _ZN7rocprim17ROCPRIM_400000_NS6detail17trampoline_kernelINS0_13select_configILj256ELj13ELNS0_17block_load_methodE3ELS4_3ELS4_3ELNS0_20block_scan_algorithmE0ELj4294967295EEENS1_25partition_config_selectorILNS1_17partition_subalgoE4EjNS0_10empty_typeEbEEZZNS1_14partition_implILS8_4ELb0ES6_15HIP_vector_typeIjLj2EENS0_17counting_iteratorIjlEEPS9_SG_NS0_5tupleIJPjSI_NS0_16reverse_iteratorISI_EEEEENSH_IJSG_SG_SG_EEES9_SI_JZNS1_25segmented_radix_sort_implINS0_14default_configELb0EPKiPiPKlPlN2at6native12_GLOBAL__N_18offset_tEEE10hipError_tPvRmT1_PNSt15iterator_traitsIS12_E10value_typeET2_T3_PNS13_IS18_E10value_typeET4_jRbjT5_S1E_jjP12ihipStream_tbEUljE_ZNSN_ISO_Lb0ESQ_SR_ST_SU_SY_EESZ_S10_S11_S12_S16_S17_S18_S1B_S1C_jS1D_jS1E_S1E_jjS1G_bEUljE0_EEESZ_S10_S11_S18_S1C_S1E_T6_T7_T9_mT8_S1G_bDpT10_ENKUlT_T0_E_clISt17integral_constantIbLb0EES1T_IbLb1EEEEDaS1P_S1Q_EUlS1P_E_NS1_11comp_targetILNS1_3genE9ELNS1_11target_archE1100ELNS1_3gpuE3ELNS1_3repE0EEENS1_30default_config_static_selectorELNS0_4arch9wavefront6targetE0EEEvS12_
    .private_segment_fixed_size: 0
    .sgpr_count:     0
    .sgpr_spill_count: 0
    .symbol:         _ZN7rocprim17ROCPRIM_400000_NS6detail17trampoline_kernelINS0_13select_configILj256ELj13ELNS0_17block_load_methodE3ELS4_3ELS4_3ELNS0_20block_scan_algorithmE0ELj4294967295EEENS1_25partition_config_selectorILNS1_17partition_subalgoE4EjNS0_10empty_typeEbEEZZNS1_14partition_implILS8_4ELb0ES6_15HIP_vector_typeIjLj2EENS0_17counting_iteratorIjlEEPS9_SG_NS0_5tupleIJPjSI_NS0_16reverse_iteratorISI_EEEEENSH_IJSG_SG_SG_EEES9_SI_JZNS1_25segmented_radix_sort_implINS0_14default_configELb0EPKiPiPKlPlN2at6native12_GLOBAL__N_18offset_tEEE10hipError_tPvRmT1_PNSt15iterator_traitsIS12_E10value_typeET2_T3_PNS13_IS18_E10value_typeET4_jRbjT5_S1E_jjP12ihipStream_tbEUljE_ZNSN_ISO_Lb0ESQ_SR_ST_SU_SY_EESZ_S10_S11_S12_S16_S17_S18_S1B_S1C_jS1D_jS1E_S1E_jjS1G_bEUljE0_EEESZ_S10_S11_S18_S1C_S1E_T6_T7_T9_mT8_S1G_bDpT10_ENKUlT_T0_E_clISt17integral_constantIbLb0EES1T_IbLb1EEEEDaS1P_S1Q_EUlS1P_E_NS1_11comp_targetILNS1_3genE9ELNS1_11target_archE1100ELNS1_3gpuE3ELNS1_3repE0EEENS1_30default_config_static_selectorELNS0_4arch9wavefront6targetE0EEEvS12_.kd
    .uniform_work_group_size: 1
    .uses_dynamic_stack: false
    .vgpr_count:     0
    .vgpr_spill_count: 0
    .wavefront_size: 32
    .workgroup_processor_mode: 1
  - .args:
      - .offset:         0
        .size:           184
        .value_kind:     by_value
    .group_segment_fixed_size: 0
    .kernarg_segment_align: 8
    .kernarg_segment_size: 184
    .language:       OpenCL C
    .language_version:
      - 2
      - 0
    .max_flat_workgroup_size: 256
    .name:           _ZN7rocprim17ROCPRIM_400000_NS6detail17trampoline_kernelINS0_13select_configILj256ELj13ELNS0_17block_load_methodE3ELS4_3ELS4_3ELNS0_20block_scan_algorithmE0ELj4294967295EEENS1_25partition_config_selectorILNS1_17partition_subalgoE4EjNS0_10empty_typeEbEEZZNS1_14partition_implILS8_4ELb0ES6_15HIP_vector_typeIjLj2EENS0_17counting_iteratorIjlEEPS9_SG_NS0_5tupleIJPjSI_NS0_16reverse_iteratorISI_EEEEENSH_IJSG_SG_SG_EEES9_SI_JZNS1_25segmented_radix_sort_implINS0_14default_configELb0EPKiPiPKlPlN2at6native12_GLOBAL__N_18offset_tEEE10hipError_tPvRmT1_PNSt15iterator_traitsIS12_E10value_typeET2_T3_PNS13_IS18_E10value_typeET4_jRbjT5_S1E_jjP12ihipStream_tbEUljE_ZNSN_ISO_Lb0ESQ_SR_ST_SU_SY_EESZ_S10_S11_S12_S16_S17_S18_S1B_S1C_jS1D_jS1E_S1E_jjS1G_bEUljE0_EEESZ_S10_S11_S18_S1C_S1E_T6_T7_T9_mT8_S1G_bDpT10_ENKUlT_T0_E_clISt17integral_constantIbLb0EES1T_IbLb1EEEEDaS1P_S1Q_EUlS1P_E_NS1_11comp_targetILNS1_3genE8ELNS1_11target_archE1030ELNS1_3gpuE2ELNS1_3repE0EEENS1_30default_config_static_selectorELNS0_4arch9wavefront6targetE0EEEvS12_
    .private_segment_fixed_size: 0
    .sgpr_count:     0
    .sgpr_spill_count: 0
    .symbol:         _ZN7rocprim17ROCPRIM_400000_NS6detail17trampoline_kernelINS0_13select_configILj256ELj13ELNS0_17block_load_methodE3ELS4_3ELS4_3ELNS0_20block_scan_algorithmE0ELj4294967295EEENS1_25partition_config_selectorILNS1_17partition_subalgoE4EjNS0_10empty_typeEbEEZZNS1_14partition_implILS8_4ELb0ES6_15HIP_vector_typeIjLj2EENS0_17counting_iteratorIjlEEPS9_SG_NS0_5tupleIJPjSI_NS0_16reverse_iteratorISI_EEEEENSH_IJSG_SG_SG_EEES9_SI_JZNS1_25segmented_radix_sort_implINS0_14default_configELb0EPKiPiPKlPlN2at6native12_GLOBAL__N_18offset_tEEE10hipError_tPvRmT1_PNSt15iterator_traitsIS12_E10value_typeET2_T3_PNS13_IS18_E10value_typeET4_jRbjT5_S1E_jjP12ihipStream_tbEUljE_ZNSN_ISO_Lb0ESQ_SR_ST_SU_SY_EESZ_S10_S11_S12_S16_S17_S18_S1B_S1C_jS1D_jS1E_S1E_jjS1G_bEUljE0_EEESZ_S10_S11_S18_S1C_S1E_T6_T7_T9_mT8_S1G_bDpT10_ENKUlT_T0_E_clISt17integral_constantIbLb0EES1T_IbLb1EEEEDaS1P_S1Q_EUlS1P_E_NS1_11comp_targetILNS1_3genE8ELNS1_11target_archE1030ELNS1_3gpuE2ELNS1_3repE0EEENS1_30default_config_static_selectorELNS0_4arch9wavefront6targetE0EEEvS12_.kd
    .uniform_work_group_size: 1
    .uses_dynamic_stack: false
    .vgpr_count:     0
    .vgpr_spill_count: 0
    .wavefront_size: 32
    .workgroup_processor_mode: 1
  - .args:
      - .offset:         0
        .size:           144
        .value_kind:     by_value
    .group_segment_fixed_size: 0
    .kernarg_segment_align: 8
    .kernarg_segment_size: 144
    .language:       OpenCL C
    .language_version:
      - 2
      - 0
    .max_flat_workgroup_size: 256
    .name:           _ZN7rocprim17ROCPRIM_400000_NS6detail17trampoline_kernelINS0_13select_configILj256ELj13ELNS0_17block_load_methodE3ELS4_3ELS4_3ELNS0_20block_scan_algorithmE0ELj4294967295EEENS1_25partition_config_selectorILNS1_17partition_subalgoE3EjNS0_10empty_typeEbEEZZNS1_14partition_implILS8_3ELb0ES6_jNS0_17counting_iteratorIjlEEPS9_SE_NS0_5tupleIJPjSE_EEENSF_IJSE_SE_EEES9_SG_JZNS1_25segmented_radix_sort_implINS0_14default_configELb0EPKiPiPKlPlN2at6native12_GLOBAL__N_18offset_tEEE10hipError_tPvRmT1_PNSt15iterator_traitsISY_E10value_typeET2_T3_PNSZ_IS14_E10value_typeET4_jRbjT5_S1A_jjP12ihipStream_tbEUljE_EEESV_SW_SX_S14_S18_S1A_T6_T7_T9_mT8_S1C_bDpT10_ENKUlT_T0_E_clISt17integral_constantIbLb0EES1P_EEDaS1K_S1L_EUlS1K_E_NS1_11comp_targetILNS1_3genE0ELNS1_11target_archE4294967295ELNS1_3gpuE0ELNS1_3repE0EEENS1_30default_config_static_selectorELNS0_4arch9wavefront6targetE0EEEvSY_
    .private_segment_fixed_size: 0
    .sgpr_count:     0
    .sgpr_spill_count: 0
    .symbol:         _ZN7rocprim17ROCPRIM_400000_NS6detail17trampoline_kernelINS0_13select_configILj256ELj13ELNS0_17block_load_methodE3ELS4_3ELS4_3ELNS0_20block_scan_algorithmE0ELj4294967295EEENS1_25partition_config_selectorILNS1_17partition_subalgoE3EjNS0_10empty_typeEbEEZZNS1_14partition_implILS8_3ELb0ES6_jNS0_17counting_iteratorIjlEEPS9_SE_NS0_5tupleIJPjSE_EEENSF_IJSE_SE_EEES9_SG_JZNS1_25segmented_radix_sort_implINS0_14default_configELb0EPKiPiPKlPlN2at6native12_GLOBAL__N_18offset_tEEE10hipError_tPvRmT1_PNSt15iterator_traitsISY_E10value_typeET2_T3_PNSZ_IS14_E10value_typeET4_jRbjT5_S1A_jjP12ihipStream_tbEUljE_EEESV_SW_SX_S14_S18_S1A_T6_T7_T9_mT8_S1C_bDpT10_ENKUlT_T0_E_clISt17integral_constantIbLb0EES1P_EEDaS1K_S1L_EUlS1K_E_NS1_11comp_targetILNS1_3genE0ELNS1_11target_archE4294967295ELNS1_3gpuE0ELNS1_3repE0EEENS1_30default_config_static_selectorELNS0_4arch9wavefront6targetE0EEEvSY_.kd
    .uniform_work_group_size: 1
    .uses_dynamic_stack: false
    .vgpr_count:     0
    .vgpr_spill_count: 0
    .wavefront_size: 32
    .workgroup_processor_mode: 1
  - .args:
      - .offset:         0
        .size:           144
        .value_kind:     by_value
    .group_segment_fixed_size: 0
    .kernarg_segment_align: 8
    .kernarg_segment_size: 144
    .language:       OpenCL C
    .language_version:
      - 2
      - 0
    .max_flat_workgroup_size: 256
    .name:           _ZN7rocprim17ROCPRIM_400000_NS6detail17trampoline_kernelINS0_13select_configILj256ELj13ELNS0_17block_load_methodE3ELS4_3ELS4_3ELNS0_20block_scan_algorithmE0ELj4294967295EEENS1_25partition_config_selectorILNS1_17partition_subalgoE3EjNS0_10empty_typeEbEEZZNS1_14partition_implILS8_3ELb0ES6_jNS0_17counting_iteratorIjlEEPS9_SE_NS0_5tupleIJPjSE_EEENSF_IJSE_SE_EEES9_SG_JZNS1_25segmented_radix_sort_implINS0_14default_configELb0EPKiPiPKlPlN2at6native12_GLOBAL__N_18offset_tEEE10hipError_tPvRmT1_PNSt15iterator_traitsISY_E10value_typeET2_T3_PNSZ_IS14_E10value_typeET4_jRbjT5_S1A_jjP12ihipStream_tbEUljE_EEESV_SW_SX_S14_S18_S1A_T6_T7_T9_mT8_S1C_bDpT10_ENKUlT_T0_E_clISt17integral_constantIbLb0EES1P_EEDaS1K_S1L_EUlS1K_E_NS1_11comp_targetILNS1_3genE5ELNS1_11target_archE942ELNS1_3gpuE9ELNS1_3repE0EEENS1_30default_config_static_selectorELNS0_4arch9wavefront6targetE0EEEvSY_
    .private_segment_fixed_size: 0
    .sgpr_count:     0
    .sgpr_spill_count: 0
    .symbol:         _ZN7rocprim17ROCPRIM_400000_NS6detail17trampoline_kernelINS0_13select_configILj256ELj13ELNS0_17block_load_methodE3ELS4_3ELS4_3ELNS0_20block_scan_algorithmE0ELj4294967295EEENS1_25partition_config_selectorILNS1_17partition_subalgoE3EjNS0_10empty_typeEbEEZZNS1_14partition_implILS8_3ELb0ES6_jNS0_17counting_iteratorIjlEEPS9_SE_NS0_5tupleIJPjSE_EEENSF_IJSE_SE_EEES9_SG_JZNS1_25segmented_radix_sort_implINS0_14default_configELb0EPKiPiPKlPlN2at6native12_GLOBAL__N_18offset_tEEE10hipError_tPvRmT1_PNSt15iterator_traitsISY_E10value_typeET2_T3_PNSZ_IS14_E10value_typeET4_jRbjT5_S1A_jjP12ihipStream_tbEUljE_EEESV_SW_SX_S14_S18_S1A_T6_T7_T9_mT8_S1C_bDpT10_ENKUlT_T0_E_clISt17integral_constantIbLb0EES1P_EEDaS1K_S1L_EUlS1K_E_NS1_11comp_targetILNS1_3genE5ELNS1_11target_archE942ELNS1_3gpuE9ELNS1_3repE0EEENS1_30default_config_static_selectorELNS0_4arch9wavefront6targetE0EEEvSY_.kd
    .uniform_work_group_size: 1
    .uses_dynamic_stack: false
    .vgpr_count:     0
    .vgpr_spill_count: 0
    .wavefront_size: 32
    .workgroup_processor_mode: 1
  - .args:
      - .offset:         0
        .size:           144
        .value_kind:     by_value
    .group_segment_fixed_size: 0
    .kernarg_segment_align: 8
    .kernarg_segment_size: 144
    .language:       OpenCL C
    .language_version:
      - 2
      - 0
    .max_flat_workgroup_size: 256
    .name:           _ZN7rocprim17ROCPRIM_400000_NS6detail17trampoline_kernelINS0_13select_configILj256ELj13ELNS0_17block_load_methodE3ELS4_3ELS4_3ELNS0_20block_scan_algorithmE0ELj4294967295EEENS1_25partition_config_selectorILNS1_17partition_subalgoE3EjNS0_10empty_typeEbEEZZNS1_14partition_implILS8_3ELb0ES6_jNS0_17counting_iteratorIjlEEPS9_SE_NS0_5tupleIJPjSE_EEENSF_IJSE_SE_EEES9_SG_JZNS1_25segmented_radix_sort_implINS0_14default_configELb0EPKiPiPKlPlN2at6native12_GLOBAL__N_18offset_tEEE10hipError_tPvRmT1_PNSt15iterator_traitsISY_E10value_typeET2_T3_PNSZ_IS14_E10value_typeET4_jRbjT5_S1A_jjP12ihipStream_tbEUljE_EEESV_SW_SX_S14_S18_S1A_T6_T7_T9_mT8_S1C_bDpT10_ENKUlT_T0_E_clISt17integral_constantIbLb0EES1P_EEDaS1K_S1L_EUlS1K_E_NS1_11comp_targetILNS1_3genE4ELNS1_11target_archE910ELNS1_3gpuE8ELNS1_3repE0EEENS1_30default_config_static_selectorELNS0_4arch9wavefront6targetE0EEEvSY_
    .private_segment_fixed_size: 0
    .sgpr_count:     0
    .sgpr_spill_count: 0
    .symbol:         _ZN7rocprim17ROCPRIM_400000_NS6detail17trampoline_kernelINS0_13select_configILj256ELj13ELNS0_17block_load_methodE3ELS4_3ELS4_3ELNS0_20block_scan_algorithmE0ELj4294967295EEENS1_25partition_config_selectorILNS1_17partition_subalgoE3EjNS0_10empty_typeEbEEZZNS1_14partition_implILS8_3ELb0ES6_jNS0_17counting_iteratorIjlEEPS9_SE_NS0_5tupleIJPjSE_EEENSF_IJSE_SE_EEES9_SG_JZNS1_25segmented_radix_sort_implINS0_14default_configELb0EPKiPiPKlPlN2at6native12_GLOBAL__N_18offset_tEEE10hipError_tPvRmT1_PNSt15iterator_traitsISY_E10value_typeET2_T3_PNSZ_IS14_E10value_typeET4_jRbjT5_S1A_jjP12ihipStream_tbEUljE_EEESV_SW_SX_S14_S18_S1A_T6_T7_T9_mT8_S1C_bDpT10_ENKUlT_T0_E_clISt17integral_constantIbLb0EES1P_EEDaS1K_S1L_EUlS1K_E_NS1_11comp_targetILNS1_3genE4ELNS1_11target_archE910ELNS1_3gpuE8ELNS1_3repE0EEENS1_30default_config_static_selectorELNS0_4arch9wavefront6targetE0EEEvSY_.kd
    .uniform_work_group_size: 1
    .uses_dynamic_stack: false
    .vgpr_count:     0
    .vgpr_spill_count: 0
    .wavefront_size: 32
    .workgroup_processor_mode: 1
  - .args:
      - .offset:         0
        .size:           144
        .value_kind:     by_value
    .group_segment_fixed_size: 0
    .kernarg_segment_align: 8
    .kernarg_segment_size: 144
    .language:       OpenCL C
    .language_version:
      - 2
      - 0
    .max_flat_workgroup_size: 256
    .name:           _ZN7rocprim17ROCPRIM_400000_NS6detail17trampoline_kernelINS0_13select_configILj256ELj13ELNS0_17block_load_methodE3ELS4_3ELS4_3ELNS0_20block_scan_algorithmE0ELj4294967295EEENS1_25partition_config_selectorILNS1_17partition_subalgoE3EjNS0_10empty_typeEbEEZZNS1_14partition_implILS8_3ELb0ES6_jNS0_17counting_iteratorIjlEEPS9_SE_NS0_5tupleIJPjSE_EEENSF_IJSE_SE_EEES9_SG_JZNS1_25segmented_radix_sort_implINS0_14default_configELb0EPKiPiPKlPlN2at6native12_GLOBAL__N_18offset_tEEE10hipError_tPvRmT1_PNSt15iterator_traitsISY_E10value_typeET2_T3_PNSZ_IS14_E10value_typeET4_jRbjT5_S1A_jjP12ihipStream_tbEUljE_EEESV_SW_SX_S14_S18_S1A_T6_T7_T9_mT8_S1C_bDpT10_ENKUlT_T0_E_clISt17integral_constantIbLb0EES1P_EEDaS1K_S1L_EUlS1K_E_NS1_11comp_targetILNS1_3genE3ELNS1_11target_archE908ELNS1_3gpuE7ELNS1_3repE0EEENS1_30default_config_static_selectorELNS0_4arch9wavefront6targetE0EEEvSY_
    .private_segment_fixed_size: 0
    .sgpr_count:     0
    .sgpr_spill_count: 0
    .symbol:         _ZN7rocprim17ROCPRIM_400000_NS6detail17trampoline_kernelINS0_13select_configILj256ELj13ELNS0_17block_load_methodE3ELS4_3ELS4_3ELNS0_20block_scan_algorithmE0ELj4294967295EEENS1_25partition_config_selectorILNS1_17partition_subalgoE3EjNS0_10empty_typeEbEEZZNS1_14partition_implILS8_3ELb0ES6_jNS0_17counting_iteratorIjlEEPS9_SE_NS0_5tupleIJPjSE_EEENSF_IJSE_SE_EEES9_SG_JZNS1_25segmented_radix_sort_implINS0_14default_configELb0EPKiPiPKlPlN2at6native12_GLOBAL__N_18offset_tEEE10hipError_tPvRmT1_PNSt15iterator_traitsISY_E10value_typeET2_T3_PNSZ_IS14_E10value_typeET4_jRbjT5_S1A_jjP12ihipStream_tbEUljE_EEESV_SW_SX_S14_S18_S1A_T6_T7_T9_mT8_S1C_bDpT10_ENKUlT_T0_E_clISt17integral_constantIbLb0EES1P_EEDaS1K_S1L_EUlS1K_E_NS1_11comp_targetILNS1_3genE3ELNS1_11target_archE908ELNS1_3gpuE7ELNS1_3repE0EEENS1_30default_config_static_selectorELNS0_4arch9wavefront6targetE0EEEvSY_.kd
    .uniform_work_group_size: 1
    .uses_dynamic_stack: false
    .vgpr_count:     0
    .vgpr_spill_count: 0
    .wavefront_size: 32
    .workgroup_processor_mode: 1
  - .args:
      - .offset:         0
        .size:           144
        .value_kind:     by_value
    .group_segment_fixed_size: 0
    .kernarg_segment_align: 8
    .kernarg_segment_size: 144
    .language:       OpenCL C
    .language_version:
      - 2
      - 0
    .max_flat_workgroup_size: 256
    .name:           _ZN7rocprim17ROCPRIM_400000_NS6detail17trampoline_kernelINS0_13select_configILj256ELj13ELNS0_17block_load_methodE3ELS4_3ELS4_3ELNS0_20block_scan_algorithmE0ELj4294967295EEENS1_25partition_config_selectorILNS1_17partition_subalgoE3EjNS0_10empty_typeEbEEZZNS1_14partition_implILS8_3ELb0ES6_jNS0_17counting_iteratorIjlEEPS9_SE_NS0_5tupleIJPjSE_EEENSF_IJSE_SE_EEES9_SG_JZNS1_25segmented_radix_sort_implINS0_14default_configELb0EPKiPiPKlPlN2at6native12_GLOBAL__N_18offset_tEEE10hipError_tPvRmT1_PNSt15iterator_traitsISY_E10value_typeET2_T3_PNSZ_IS14_E10value_typeET4_jRbjT5_S1A_jjP12ihipStream_tbEUljE_EEESV_SW_SX_S14_S18_S1A_T6_T7_T9_mT8_S1C_bDpT10_ENKUlT_T0_E_clISt17integral_constantIbLb0EES1P_EEDaS1K_S1L_EUlS1K_E_NS1_11comp_targetILNS1_3genE2ELNS1_11target_archE906ELNS1_3gpuE6ELNS1_3repE0EEENS1_30default_config_static_selectorELNS0_4arch9wavefront6targetE0EEEvSY_
    .private_segment_fixed_size: 0
    .sgpr_count:     0
    .sgpr_spill_count: 0
    .symbol:         _ZN7rocprim17ROCPRIM_400000_NS6detail17trampoline_kernelINS0_13select_configILj256ELj13ELNS0_17block_load_methodE3ELS4_3ELS4_3ELNS0_20block_scan_algorithmE0ELj4294967295EEENS1_25partition_config_selectorILNS1_17partition_subalgoE3EjNS0_10empty_typeEbEEZZNS1_14partition_implILS8_3ELb0ES6_jNS0_17counting_iteratorIjlEEPS9_SE_NS0_5tupleIJPjSE_EEENSF_IJSE_SE_EEES9_SG_JZNS1_25segmented_radix_sort_implINS0_14default_configELb0EPKiPiPKlPlN2at6native12_GLOBAL__N_18offset_tEEE10hipError_tPvRmT1_PNSt15iterator_traitsISY_E10value_typeET2_T3_PNSZ_IS14_E10value_typeET4_jRbjT5_S1A_jjP12ihipStream_tbEUljE_EEESV_SW_SX_S14_S18_S1A_T6_T7_T9_mT8_S1C_bDpT10_ENKUlT_T0_E_clISt17integral_constantIbLb0EES1P_EEDaS1K_S1L_EUlS1K_E_NS1_11comp_targetILNS1_3genE2ELNS1_11target_archE906ELNS1_3gpuE6ELNS1_3repE0EEENS1_30default_config_static_selectorELNS0_4arch9wavefront6targetE0EEEvSY_.kd
    .uniform_work_group_size: 1
    .uses_dynamic_stack: false
    .vgpr_count:     0
    .vgpr_spill_count: 0
    .wavefront_size: 32
    .workgroup_processor_mode: 1
  - .args:
      - .offset:         0
        .size:           144
        .value_kind:     by_value
    .group_segment_fixed_size: 13320
    .kernarg_segment_align: 8
    .kernarg_segment_size: 144
    .language:       OpenCL C
    .language_version:
      - 2
      - 0
    .max_flat_workgroup_size: 256
    .name:           _ZN7rocprim17ROCPRIM_400000_NS6detail17trampoline_kernelINS0_13select_configILj256ELj13ELNS0_17block_load_methodE3ELS4_3ELS4_3ELNS0_20block_scan_algorithmE0ELj4294967295EEENS1_25partition_config_selectorILNS1_17partition_subalgoE3EjNS0_10empty_typeEbEEZZNS1_14partition_implILS8_3ELb0ES6_jNS0_17counting_iteratorIjlEEPS9_SE_NS0_5tupleIJPjSE_EEENSF_IJSE_SE_EEES9_SG_JZNS1_25segmented_radix_sort_implINS0_14default_configELb0EPKiPiPKlPlN2at6native12_GLOBAL__N_18offset_tEEE10hipError_tPvRmT1_PNSt15iterator_traitsISY_E10value_typeET2_T3_PNSZ_IS14_E10value_typeET4_jRbjT5_S1A_jjP12ihipStream_tbEUljE_EEESV_SW_SX_S14_S18_S1A_T6_T7_T9_mT8_S1C_bDpT10_ENKUlT_T0_E_clISt17integral_constantIbLb0EES1P_EEDaS1K_S1L_EUlS1K_E_NS1_11comp_targetILNS1_3genE10ELNS1_11target_archE1200ELNS1_3gpuE4ELNS1_3repE0EEENS1_30default_config_static_selectorELNS0_4arch9wavefront6targetE0EEEvSY_
    .private_segment_fixed_size: 0
    .sgpr_count:     28
    .sgpr_spill_count: 0
    .symbol:         _ZN7rocprim17ROCPRIM_400000_NS6detail17trampoline_kernelINS0_13select_configILj256ELj13ELNS0_17block_load_methodE3ELS4_3ELS4_3ELNS0_20block_scan_algorithmE0ELj4294967295EEENS1_25partition_config_selectorILNS1_17partition_subalgoE3EjNS0_10empty_typeEbEEZZNS1_14partition_implILS8_3ELb0ES6_jNS0_17counting_iteratorIjlEEPS9_SE_NS0_5tupleIJPjSE_EEENSF_IJSE_SE_EEES9_SG_JZNS1_25segmented_radix_sort_implINS0_14default_configELb0EPKiPiPKlPlN2at6native12_GLOBAL__N_18offset_tEEE10hipError_tPvRmT1_PNSt15iterator_traitsISY_E10value_typeET2_T3_PNSZ_IS14_E10value_typeET4_jRbjT5_S1A_jjP12ihipStream_tbEUljE_EEESV_SW_SX_S14_S18_S1A_T6_T7_T9_mT8_S1C_bDpT10_ENKUlT_T0_E_clISt17integral_constantIbLb0EES1P_EEDaS1K_S1L_EUlS1K_E_NS1_11comp_targetILNS1_3genE10ELNS1_11target_archE1200ELNS1_3gpuE4ELNS1_3repE0EEENS1_30default_config_static_selectorELNS0_4arch9wavefront6targetE0EEEvSY_.kd
    .uniform_work_group_size: 1
    .uses_dynamic_stack: false
    .vgpr_count:     69
    .vgpr_spill_count: 0
    .wavefront_size: 32
    .workgroup_processor_mode: 1
  - .args:
      - .offset:         0
        .size:           144
        .value_kind:     by_value
    .group_segment_fixed_size: 0
    .kernarg_segment_align: 8
    .kernarg_segment_size: 144
    .language:       OpenCL C
    .language_version:
      - 2
      - 0
    .max_flat_workgroup_size: 256
    .name:           _ZN7rocprim17ROCPRIM_400000_NS6detail17trampoline_kernelINS0_13select_configILj256ELj13ELNS0_17block_load_methodE3ELS4_3ELS4_3ELNS0_20block_scan_algorithmE0ELj4294967295EEENS1_25partition_config_selectorILNS1_17partition_subalgoE3EjNS0_10empty_typeEbEEZZNS1_14partition_implILS8_3ELb0ES6_jNS0_17counting_iteratorIjlEEPS9_SE_NS0_5tupleIJPjSE_EEENSF_IJSE_SE_EEES9_SG_JZNS1_25segmented_radix_sort_implINS0_14default_configELb0EPKiPiPKlPlN2at6native12_GLOBAL__N_18offset_tEEE10hipError_tPvRmT1_PNSt15iterator_traitsISY_E10value_typeET2_T3_PNSZ_IS14_E10value_typeET4_jRbjT5_S1A_jjP12ihipStream_tbEUljE_EEESV_SW_SX_S14_S18_S1A_T6_T7_T9_mT8_S1C_bDpT10_ENKUlT_T0_E_clISt17integral_constantIbLb0EES1P_EEDaS1K_S1L_EUlS1K_E_NS1_11comp_targetILNS1_3genE9ELNS1_11target_archE1100ELNS1_3gpuE3ELNS1_3repE0EEENS1_30default_config_static_selectorELNS0_4arch9wavefront6targetE0EEEvSY_
    .private_segment_fixed_size: 0
    .sgpr_count:     0
    .sgpr_spill_count: 0
    .symbol:         _ZN7rocprim17ROCPRIM_400000_NS6detail17trampoline_kernelINS0_13select_configILj256ELj13ELNS0_17block_load_methodE3ELS4_3ELS4_3ELNS0_20block_scan_algorithmE0ELj4294967295EEENS1_25partition_config_selectorILNS1_17partition_subalgoE3EjNS0_10empty_typeEbEEZZNS1_14partition_implILS8_3ELb0ES6_jNS0_17counting_iteratorIjlEEPS9_SE_NS0_5tupleIJPjSE_EEENSF_IJSE_SE_EEES9_SG_JZNS1_25segmented_radix_sort_implINS0_14default_configELb0EPKiPiPKlPlN2at6native12_GLOBAL__N_18offset_tEEE10hipError_tPvRmT1_PNSt15iterator_traitsISY_E10value_typeET2_T3_PNSZ_IS14_E10value_typeET4_jRbjT5_S1A_jjP12ihipStream_tbEUljE_EEESV_SW_SX_S14_S18_S1A_T6_T7_T9_mT8_S1C_bDpT10_ENKUlT_T0_E_clISt17integral_constantIbLb0EES1P_EEDaS1K_S1L_EUlS1K_E_NS1_11comp_targetILNS1_3genE9ELNS1_11target_archE1100ELNS1_3gpuE3ELNS1_3repE0EEENS1_30default_config_static_selectorELNS0_4arch9wavefront6targetE0EEEvSY_.kd
    .uniform_work_group_size: 1
    .uses_dynamic_stack: false
    .vgpr_count:     0
    .vgpr_spill_count: 0
    .wavefront_size: 32
    .workgroup_processor_mode: 1
  - .args:
      - .offset:         0
        .size:           144
        .value_kind:     by_value
    .group_segment_fixed_size: 0
    .kernarg_segment_align: 8
    .kernarg_segment_size: 144
    .language:       OpenCL C
    .language_version:
      - 2
      - 0
    .max_flat_workgroup_size: 256
    .name:           _ZN7rocprim17ROCPRIM_400000_NS6detail17trampoline_kernelINS0_13select_configILj256ELj13ELNS0_17block_load_methodE3ELS4_3ELS4_3ELNS0_20block_scan_algorithmE0ELj4294967295EEENS1_25partition_config_selectorILNS1_17partition_subalgoE3EjNS0_10empty_typeEbEEZZNS1_14partition_implILS8_3ELb0ES6_jNS0_17counting_iteratorIjlEEPS9_SE_NS0_5tupleIJPjSE_EEENSF_IJSE_SE_EEES9_SG_JZNS1_25segmented_radix_sort_implINS0_14default_configELb0EPKiPiPKlPlN2at6native12_GLOBAL__N_18offset_tEEE10hipError_tPvRmT1_PNSt15iterator_traitsISY_E10value_typeET2_T3_PNSZ_IS14_E10value_typeET4_jRbjT5_S1A_jjP12ihipStream_tbEUljE_EEESV_SW_SX_S14_S18_S1A_T6_T7_T9_mT8_S1C_bDpT10_ENKUlT_T0_E_clISt17integral_constantIbLb0EES1P_EEDaS1K_S1L_EUlS1K_E_NS1_11comp_targetILNS1_3genE8ELNS1_11target_archE1030ELNS1_3gpuE2ELNS1_3repE0EEENS1_30default_config_static_selectorELNS0_4arch9wavefront6targetE0EEEvSY_
    .private_segment_fixed_size: 0
    .sgpr_count:     0
    .sgpr_spill_count: 0
    .symbol:         _ZN7rocprim17ROCPRIM_400000_NS6detail17trampoline_kernelINS0_13select_configILj256ELj13ELNS0_17block_load_methodE3ELS4_3ELS4_3ELNS0_20block_scan_algorithmE0ELj4294967295EEENS1_25partition_config_selectorILNS1_17partition_subalgoE3EjNS0_10empty_typeEbEEZZNS1_14partition_implILS8_3ELb0ES6_jNS0_17counting_iteratorIjlEEPS9_SE_NS0_5tupleIJPjSE_EEENSF_IJSE_SE_EEES9_SG_JZNS1_25segmented_radix_sort_implINS0_14default_configELb0EPKiPiPKlPlN2at6native12_GLOBAL__N_18offset_tEEE10hipError_tPvRmT1_PNSt15iterator_traitsISY_E10value_typeET2_T3_PNSZ_IS14_E10value_typeET4_jRbjT5_S1A_jjP12ihipStream_tbEUljE_EEESV_SW_SX_S14_S18_S1A_T6_T7_T9_mT8_S1C_bDpT10_ENKUlT_T0_E_clISt17integral_constantIbLb0EES1P_EEDaS1K_S1L_EUlS1K_E_NS1_11comp_targetILNS1_3genE8ELNS1_11target_archE1030ELNS1_3gpuE2ELNS1_3repE0EEENS1_30default_config_static_selectorELNS0_4arch9wavefront6targetE0EEEvSY_.kd
    .uniform_work_group_size: 1
    .uses_dynamic_stack: false
    .vgpr_count:     0
    .vgpr_spill_count: 0
    .wavefront_size: 32
    .workgroup_processor_mode: 1
  - .args:
      - .offset:         0
        .size:           152
        .value_kind:     by_value
    .group_segment_fixed_size: 0
    .kernarg_segment_align: 8
    .kernarg_segment_size: 152
    .language:       OpenCL C
    .language_version:
      - 2
      - 0
    .max_flat_workgroup_size: 256
    .name:           _ZN7rocprim17ROCPRIM_400000_NS6detail17trampoline_kernelINS0_13select_configILj256ELj13ELNS0_17block_load_methodE3ELS4_3ELS4_3ELNS0_20block_scan_algorithmE0ELj4294967295EEENS1_25partition_config_selectorILNS1_17partition_subalgoE3EjNS0_10empty_typeEbEEZZNS1_14partition_implILS8_3ELb0ES6_jNS0_17counting_iteratorIjlEEPS9_SE_NS0_5tupleIJPjSE_EEENSF_IJSE_SE_EEES9_SG_JZNS1_25segmented_radix_sort_implINS0_14default_configELb0EPKiPiPKlPlN2at6native12_GLOBAL__N_18offset_tEEE10hipError_tPvRmT1_PNSt15iterator_traitsISY_E10value_typeET2_T3_PNSZ_IS14_E10value_typeET4_jRbjT5_S1A_jjP12ihipStream_tbEUljE_EEESV_SW_SX_S14_S18_S1A_T6_T7_T9_mT8_S1C_bDpT10_ENKUlT_T0_E_clISt17integral_constantIbLb1EES1P_EEDaS1K_S1L_EUlS1K_E_NS1_11comp_targetILNS1_3genE0ELNS1_11target_archE4294967295ELNS1_3gpuE0ELNS1_3repE0EEENS1_30default_config_static_selectorELNS0_4arch9wavefront6targetE0EEEvSY_
    .private_segment_fixed_size: 0
    .sgpr_count:     0
    .sgpr_spill_count: 0
    .symbol:         _ZN7rocprim17ROCPRIM_400000_NS6detail17trampoline_kernelINS0_13select_configILj256ELj13ELNS0_17block_load_methodE3ELS4_3ELS4_3ELNS0_20block_scan_algorithmE0ELj4294967295EEENS1_25partition_config_selectorILNS1_17partition_subalgoE3EjNS0_10empty_typeEbEEZZNS1_14partition_implILS8_3ELb0ES6_jNS0_17counting_iteratorIjlEEPS9_SE_NS0_5tupleIJPjSE_EEENSF_IJSE_SE_EEES9_SG_JZNS1_25segmented_radix_sort_implINS0_14default_configELb0EPKiPiPKlPlN2at6native12_GLOBAL__N_18offset_tEEE10hipError_tPvRmT1_PNSt15iterator_traitsISY_E10value_typeET2_T3_PNSZ_IS14_E10value_typeET4_jRbjT5_S1A_jjP12ihipStream_tbEUljE_EEESV_SW_SX_S14_S18_S1A_T6_T7_T9_mT8_S1C_bDpT10_ENKUlT_T0_E_clISt17integral_constantIbLb1EES1P_EEDaS1K_S1L_EUlS1K_E_NS1_11comp_targetILNS1_3genE0ELNS1_11target_archE4294967295ELNS1_3gpuE0ELNS1_3repE0EEENS1_30default_config_static_selectorELNS0_4arch9wavefront6targetE0EEEvSY_.kd
    .uniform_work_group_size: 1
    .uses_dynamic_stack: false
    .vgpr_count:     0
    .vgpr_spill_count: 0
    .wavefront_size: 32
    .workgroup_processor_mode: 1
  - .args:
      - .offset:         0
        .size:           152
        .value_kind:     by_value
    .group_segment_fixed_size: 0
    .kernarg_segment_align: 8
    .kernarg_segment_size: 152
    .language:       OpenCL C
    .language_version:
      - 2
      - 0
    .max_flat_workgroup_size: 256
    .name:           _ZN7rocprim17ROCPRIM_400000_NS6detail17trampoline_kernelINS0_13select_configILj256ELj13ELNS0_17block_load_methodE3ELS4_3ELS4_3ELNS0_20block_scan_algorithmE0ELj4294967295EEENS1_25partition_config_selectorILNS1_17partition_subalgoE3EjNS0_10empty_typeEbEEZZNS1_14partition_implILS8_3ELb0ES6_jNS0_17counting_iteratorIjlEEPS9_SE_NS0_5tupleIJPjSE_EEENSF_IJSE_SE_EEES9_SG_JZNS1_25segmented_radix_sort_implINS0_14default_configELb0EPKiPiPKlPlN2at6native12_GLOBAL__N_18offset_tEEE10hipError_tPvRmT1_PNSt15iterator_traitsISY_E10value_typeET2_T3_PNSZ_IS14_E10value_typeET4_jRbjT5_S1A_jjP12ihipStream_tbEUljE_EEESV_SW_SX_S14_S18_S1A_T6_T7_T9_mT8_S1C_bDpT10_ENKUlT_T0_E_clISt17integral_constantIbLb1EES1P_EEDaS1K_S1L_EUlS1K_E_NS1_11comp_targetILNS1_3genE5ELNS1_11target_archE942ELNS1_3gpuE9ELNS1_3repE0EEENS1_30default_config_static_selectorELNS0_4arch9wavefront6targetE0EEEvSY_
    .private_segment_fixed_size: 0
    .sgpr_count:     0
    .sgpr_spill_count: 0
    .symbol:         _ZN7rocprim17ROCPRIM_400000_NS6detail17trampoline_kernelINS0_13select_configILj256ELj13ELNS0_17block_load_methodE3ELS4_3ELS4_3ELNS0_20block_scan_algorithmE0ELj4294967295EEENS1_25partition_config_selectorILNS1_17partition_subalgoE3EjNS0_10empty_typeEbEEZZNS1_14partition_implILS8_3ELb0ES6_jNS0_17counting_iteratorIjlEEPS9_SE_NS0_5tupleIJPjSE_EEENSF_IJSE_SE_EEES9_SG_JZNS1_25segmented_radix_sort_implINS0_14default_configELb0EPKiPiPKlPlN2at6native12_GLOBAL__N_18offset_tEEE10hipError_tPvRmT1_PNSt15iterator_traitsISY_E10value_typeET2_T3_PNSZ_IS14_E10value_typeET4_jRbjT5_S1A_jjP12ihipStream_tbEUljE_EEESV_SW_SX_S14_S18_S1A_T6_T7_T9_mT8_S1C_bDpT10_ENKUlT_T0_E_clISt17integral_constantIbLb1EES1P_EEDaS1K_S1L_EUlS1K_E_NS1_11comp_targetILNS1_3genE5ELNS1_11target_archE942ELNS1_3gpuE9ELNS1_3repE0EEENS1_30default_config_static_selectorELNS0_4arch9wavefront6targetE0EEEvSY_.kd
    .uniform_work_group_size: 1
    .uses_dynamic_stack: false
    .vgpr_count:     0
    .vgpr_spill_count: 0
    .wavefront_size: 32
    .workgroup_processor_mode: 1
  - .args:
      - .offset:         0
        .size:           152
        .value_kind:     by_value
    .group_segment_fixed_size: 0
    .kernarg_segment_align: 8
    .kernarg_segment_size: 152
    .language:       OpenCL C
    .language_version:
      - 2
      - 0
    .max_flat_workgroup_size: 256
    .name:           _ZN7rocprim17ROCPRIM_400000_NS6detail17trampoline_kernelINS0_13select_configILj256ELj13ELNS0_17block_load_methodE3ELS4_3ELS4_3ELNS0_20block_scan_algorithmE0ELj4294967295EEENS1_25partition_config_selectorILNS1_17partition_subalgoE3EjNS0_10empty_typeEbEEZZNS1_14partition_implILS8_3ELb0ES6_jNS0_17counting_iteratorIjlEEPS9_SE_NS0_5tupleIJPjSE_EEENSF_IJSE_SE_EEES9_SG_JZNS1_25segmented_radix_sort_implINS0_14default_configELb0EPKiPiPKlPlN2at6native12_GLOBAL__N_18offset_tEEE10hipError_tPvRmT1_PNSt15iterator_traitsISY_E10value_typeET2_T3_PNSZ_IS14_E10value_typeET4_jRbjT5_S1A_jjP12ihipStream_tbEUljE_EEESV_SW_SX_S14_S18_S1A_T6_T7_T9_mT8_S1C_bDpT10_ENKUlT_T0_E_clISt17integral_constantIbLb1EES1P_EEDaS1K_S1L_EUlS1K_E_NS1_11comp_targetILNS1_3genE4ELNS1_11target_archE910ELNS1_3gpuE8ELNS1_3repE0EEENS1_30default_config_static_selectorELNS0_4arch9wavefront6targetE0EEEvSY_
    .private_segment_fixed_size: 0
    .sgpr_count:     0
    .sgpr_spill_count: 0
    .symbol:         _ZN7rocprim17ROCPRIM_400000_NS6detail17trampoline_kernelINS0_13select_configILj256ELj13ELNS0_17block_load_methodE3ELS4_3ELS4_3ELNS0_20block_scan_algorithmE0ELj4294967295EEENS1_25partition_config_selectorILNS1_17partition_subalgoE3EjNS0_10empty_typeEbEEZZNS1_14partition_implILS8_3ELb0ES6_jNS0_17counting_iteratorIjlEEPS9_SE_NS0_5tupleIJPjSE_EEENSF_IJSE_SE_EEES9_SG_JZNS1_25segmented_radix_sort_implINS0_14default_configELb0EPKiPiPKlPlN2at6native12_GLOBAL__N_18offset_tEEE10hipError_tPvRmT1_PNSt15iterator_traitsISY_E10value_typeET2_T3_PNSZ_IS14_E10value_typeET4_jRbjT5_S1A_jjP12ihipStream_tbEUljE_EEESV_SW_SX_S14_S18_S1A_T6_T7_T9_mT8_S1C_bDpT10_ENKUlT_T0_E_clISt17integral_constantIbLb1EES1P_EEDaS1K_S1L_EUlS1K_E_NS1_11comp_targetILNS1_3genE4ELNS1_11target_archE910ELNS1_3gpuE8ELNS1_3repE0EEENS1_30default_config_static_selectorELNS0_4arch9wavefront6targetE0EEEvSY_.kd
    .uniform_work_group_size: 1
    .uses_dynamic_stack: false
    .vgpr_count:     0
    .vgpr_spill_count: 0
    .wavefront_size: 32
    .workgroup_processor_mode: 1
  - .args:
      - .offset:         0
        .size:           152
        .value_kind:     by_value
    .group_segment_fixed_size: 0
    .kernarg_segment_align: 8
    .kernarg_segment_size: 152
    .language:       OpenCL C
    .language_version:
      - 2
      - 0
    .max_flat_workgroup_size: 256
    .name:           _ZN7rocprim17ROCPRIM_400000_NS6detail17trampoline_kernelINS0_13select_configILj256ELj13ELNS0_17block_load_methodE3ELS4_3ELS4_3ELNS0_20block_scan_algorithmE0ELj4294967295EEENS1_25partition_config_selectorILNS1_17partition_subalgoE3EjNS0_10empty_typeEbEEZZNS1_14partition_implILS8_3ELb0ES6_jNS0_17counting_iteratorIjlEEPS9_SE_NS0_5tupleIJPjSE_EEENSF_IJSE_SE_EEES9_SG_JZNS1_25segmented_radix_sort_implINS0_14default_configELb0EPKiPiPKlPlN2at6native12_GLOBAL__N_18offset_tEEE10hipError_tPvRmT1_PNSt15iterator_traitsISY_E10value_typeET2_T3_PNSZ_IS14_E10value_typeET4_jRbjT5_S1A_jjP12ihipStream_tbEUljE_EEESV_SW_SX_S14_S18_S1A_T6_T7_T9_mT8_S1C_bDpT10_ENKUlT_T0_E_clISt17integral_constantIbLb1EES1P_EEDaS1K_S1L_EUlS1K_E_NS1_11comp_targetILNS1_3genE3ELNS1_11target_archE908ELNS1_3gpuE7ELNS1_3repE0EEENS1_30default_config_static_selectorELNS0_4arch9wavefront6targetE0EEEvSY_
    .private_segment_fixed_size: 0
    .sgpr_count:     0
    .sgpr_spill_count: 0
    .symbol:         _ZN7rocprim17ROCPRIM_400000_NS6detail17trampoline_kernelINS0_13select_configILj256ELj13ELNS0_17block_load_methodE3ELS4_3ELS4_3ELNS0_20block_scan_algorithmE0ELj4294967295EEENS1_25partition_config_selectorILNS1_17partition_subalgoE3EjNS0_10empty_typeEbEEZZNS1_14partition_implILS8_3ELb0ES6_jNS0_17counting_iteratorIjlEEPS9_SE_NS0_5tupleIJPjSE_EEENSF_IJSE_SE_EEES9_SG_JZNS1_25segmented_radix_sort_implINS0_14default_configELb0EPKiPiPKlPlN2at6native12_GLOBAL__N_18offset_tEEE10hipError_tPvRmT1_PNSt15iterator_traitsISY_E10value_typeET2_T3_PNSZ_IS14_E10value_typeET4_jRbjT5_S1A_jjP12ihipStream_tbEUljE_EEESV_SW_SX_S14_S18_S1A_T6_T7_T9_mT8_S1C_bDpT10_ENKUlT_T0_E_clISt17integral_constantIbLb1EES1P_EEDaS1K_S1L_EUlS1K_E_NS1_11comp_targetILNS1_3genE3ELNS1_11target_archE908ELNS1_3gpuE7ELNS1_3repE0EEENS1_30default_config_static_selectorELNS0_4arch9wavefront6targetE0EEEvSY_.kd
    .uniform_work_group_size: 1
    .uses_dynamic_stack: false
    .vgpr_count:     0
    .vgpr_spill_count: 0
    .wavefront_size: 32
    .workgroup_processor_mode: 1
  - .args:
      - .offset:         0
        .size:           152
        .value_kind:     by_value
    .group_segment_fixed_size: 0
    .kernarg_segment_align: 8
    .kernarg_segment_size: 152
    .language:       OpenCL C
    .language_version:
      - 2
      - 0
    .max_flat_workgroup_size: 256
    .name:           _ZN7rocprim17ROCPRIM_400000_NS6detail17trampoline_kernelINS0_13select_configILj256ELj13ELNS0_17block_load_methodE3ELS4_3ELS4_3ELNS0_20block_scan_algorithmE0ELj4294967295EEENS1_25partition_config_selectorILNS1_17partition_subalgoE3EjNS0_10empty_typeEbEEZZNS1_14partition_implILS8_3ELb0ES6_jNS0_17counting_iteratorIjlEEPS9_SE_NS0_5tupleIJPjSE_EEENSF_IJSE_SE_EEES9_SG_JZNS1_25segmented_radix_sort_implINS0_14default_configELb0EPKiPiPKlPlN2at6native12_GLOBAL__N_18offset_tEEE10hipError_tPvRmT1_PNSt15iterator_traitsISY_E10value_typeET2_T3_PNSZ_IS14_E10value_typeET4_jRbjT5_S1A_jjP12ihipStream_tbEUljE_EEESV_SW_SX_S14_S18_S1A_T6_T7_T9_mT8_S1C_bDpT10_ENKUlT_T0_E_clISt17integral_constantIbLb1EES1P_EEDaS1K_S1L_EUlS1K_E_NS1_11comp_targetILNS1_3genE2ELNS1_11target_archE906ELNS1_3gpuE6ELNS1_3repE0EEENS1_30default_config_static_selectorELNS0_4arch9wavefront6targetE0EEEvSY_
    .private_segment_fixed_size: 0
    .sgpr_count:     0
    .sgpr_spill_count: 0
    .symbol:         _ZN7rocprim17ROCPRIM_400000_NS6detail17trampoline_kernelINS0_13select_configILj256ELj13ELNS0_17block_load_methodE3ELS4_3ELS4_3ELNS0_20block_scan_algorithmE0ELj4294967295EEENS1_25partition_config_selectorILNS1_17partition_subalgoE3EjNS0_10empty_typeEbEEZZNS1_14partition_implILS8_3ELb0ES6_jNS0_17counting_iteratorIjlEEPS9_SE_NS0_5tupleIJPjSE_EEENSF_IJSE_SE_EEES9_SG_JZNS1_25segmented_radix_sort_implINS0_14default_configELb0EPKiPiPKlPlN2at6native12_GLOBAL__N_18offset_tEEE10hipError_tPvRmT1_PNSt15iterator_traitsISY_E10value_typeET2_T3_PNSZ_IS14_E10value_typeET4_jRbjT5_S1A_jjP12ihipStream_tbEUljE_EEESV_SW_SX_S14_S18_S1A_T6_T7_T9_mT8_S1C_bDpT10_ENKUlT_T0_E_clISt17integral_constantIbLb1EES1P_EEDaS1K_S1L_EUlS1K_E_NS1_11comp_targetILNS1_3genE2ELNS1_11target_archE906ELNS1_3gpuE6ELNS1_3repE0EEENS1_30default_config_static_selectorELNS0_4arch9wavefront6targetE0EEEvSY_.kd
    .uniform_work_group_size: 1
    .uses_dynamic_stack: false
    .vgpr_count:     0
    .vgpr_spill_count: 0
    .wavefront_size: 32
    .workgroup_processor_mode: 1
  - .args:
      - .offset:         0
        .size:           152
        .value_kind:     by_value
    .group_segment_fixed_size: 0
    .kernarg_segment_align: 8
    .kernarg_segment_size: 152
    .language:       OpenCL C
    .language_version:
      - 2
      - 0
    .max_flat_workgroup_size: 256
    .name:           _ZN7rocprim17ROCPRIM_400000_NS6detail17trampoline_kernelINS0_13select_configILj256ELj13ELNS0_17block_load_methodE3ELS4_3ELS4_3ELNS0_20block_scan_algorithmE0ELj4294967295EEENS1_25partition_config_selectorILNS1_17partition_subalgoE3EjNS0_10empty_typeEbEEZZNS1_14partition_implILS8_3ELb0ES6_jNS0_17counting_iteratorIjlEEPS9_SE_NS0_5tupleIJPjSE_EEENSF_IJSE_SE_EEES9_SG_JZNS1_25segmented_radix_sort_implINS0_14default_configELb0EPKiPiPKlPlN2at6native12_GLOBAL__N_18offset_tEEE10hipError_tPvRmT1_PNSt15iterator_traitsISY_E10value_typeET2_T3_PNSZ_IS14_E10value_typeET4_jRbjT5_S1A_jjP12ihipStream_tbEUljE_EEESV_SW_SX_S14_S18_S1A_T6_T7_T9_mT8_S1C_bDpT10_ENKUlT_T0_E_clISt17integral_constantIbLb1EES1P_EEDaS1K_S1L_EUlS1K_E_NS1_11comp_targetILNS1_3genE10ELNS1_11target_archE1200ELNS1_3gpuE4ELNS1_3repE0EEENS1_30default_config_static_selectorELNS0_4arch9wavefront6targetE0EEEvSY_
    .private_segment_fixed_size: 0
    .sgpr_count:     0
    .sgpr_spill_count: 0
    .symbol:         _ZN7rocprim17ROCPRIM_400000_NS6detail17trampoline_kernelINS0_13select_configILj256ELj13ELNS0_17block_load_methodE3ELS4_3ELS4_3ELNS0_20block_scan_algorithmE0ELj4294967295EEENS1_25partition_config_selectorILNS1_17partition_subalgoE3EjNS0_10empty_typeEbEEZZNS1_14partition_implILS8_3ELb0ES6_jNS0_17counting_iteratorIjlEEPS9_SE_NS0_5tupleIJPjSE_EEENSF_IJSE_SE_EEES9_SG_JZNS1_25segmented_radix_sort_implINS0_14default_configELb0EPKiPiPKlPlN2at6native12_GLOBAL__N_18offset_tEEE10hipError_tPvRmT1_PNSt15iterator_traitsISY_E10value_typeET2_T3_PNSZ_IS14_E10value_typeET4_jRbjT5_S1A_jjP12ihipStream_tbEUljE_EEESV_SW_SX_S14_S18_S1A_T6_T7_T9_mT8_S1C_bDpT10_ENKUlT_T0_E_clISt17integral_constantIbLb1EES1P_EEDaS1K_S1L_EUlS1K_E_NS1_11comp_targetILNS1_3genE10ELNS1_11target_archE1200ELNS1_3gpuE4ELNS1_3repE0EEENS1_30default_config_static_selectorELNS0_4arch9wavefront6targetE0EEEvSY_.kd
    .uniform_work_group_size: 1
    .uses_dynamic_stack: false
    .vgpr_count:     0
    .vgpr_spill_count: 0
    .wavefront_size: 32
    .workgroup_processor_mode: 1
  - .args:
      - .offset:         0
        .size:           152
        .value_kind:     by_value
    .group_segment_fixed_size: 0
    .kernarg_segment_align: 8
    .kernarg_segment_size: 152
    .language:       OpenCL C
    .language_version:
      - 2
      - 0
    .max_flat_workgroup_size: 256
    .name:           _ZN7rocprim17ROCPRIM_400000_NS6detail17trampoline_kernelINS0_13select_configILj256ELj13ELNS0_17block_load_methodE3ELS4_3ELS4_3ELNS0_20block_scan_algorithmE0ELj4294967295EEENS1_25partition_config_selectorILNS1_17partition_subalgoE3EjNS0_10empty_typeEbEEZZNS1_14partition_implILS8_3ELb0ES6_jNS0_17counting_iteratorIjlEEPS9_SE_NS0_5tupleIJPjSE_EEENSF_IJSE_SE_EEES9_SG_JZNS1_25segmented_radix_sort_implINS0_14default_configELb0EPKiPiPKlPlN2at6native12_GLOBAL__N_18offset_tEEE10hipError_tPvRmT1_PNSt15iterator_traitsISY_E10value_typeET2_T3_PNSZ_IS14_E10value_typeET4_jRbjT5_S1A_jjP12ihipStream_tbEUljE_EEESV_SW_SX_S14_S18_S1A_T6_T7_T9_mT8_S1C_bDpT10_ENKUlT_T0_E_clISt17integral_constantIbLb1EES1P_EEDaS1K_S1L_EUlS1K_E_NS1_11comp_targetILNS1_3genE9ELNS1_11target_archE1100ELNS1_3gpuE3ELNS1_3repE0EEENS1_30default_config_static_selectorELNS0_4arch9wavefront6targetE0EEEvSY_
    .private_segment_fixed_size: 0
    .sgpr_count:     0
    .sgpr_spill_count: 0
    .symbol:         _ZN7rocprim17ROCPRIM_400000_NS6detail17trampoline_kernelINS0_13select_configILj256ELj13ELNS0_17block_load_methodE3ELS4_3ELS4_3ELNS0_20block_scan_algorithmE0ELj4294967295EEENS1_25partition_config_selectorILNS1_17partition_subalgoE3EjNS0_10empty_typeEbEEZZNS1_14partition_implILS8_3ELb0ES6_jNS0_17counting_iteratorIjlEEPS9_SE_NS0_5tupleIJPjSE_EEENSF_IJSE_SE_EEES9_SG_JZNS1_25segmented_radix_sort_implINS0_14default_configELb0EPKiPiPKlPlN2at6native12_GLOBAL__N_18offset_tEEE10hipError_tPvRmT1_PNSt15iterator_traitsISY_E10value_typeET2_T3_PNSZ_IS14_E10value_typeET4_jRbjT5_S1A_jjP12ihipStream_tbEUljE_EEESV_SW_SX_S14_S18_S1A_T6_T7_T9_mT8_S1C_bDpT10_ENKUlT_T0_E_clISt17integral_constantIbLb1EES1P_EEDaS1K_S1L_EUlS1K_E_NS1_11comp_targetILNS1_3genE9ELNS1_11target_archE1100ELNS1_3gpuE3ELNS1_3repE0EEENS1_30default_config_static_selectorELNS0_4arch9wavefront6targetE0EEEvSY_.kd
    .uniform_work_group_size: 1
    .uses_dynamic_stack: false
    .vgpr_count:     0
    .vgpr_spill_count: 0
    .wavefront_size: 32
    .workgroup_processor_mode: 1
  - .args:
      - .offset:         0
        .size:           152
        .value_kind:     by_value
    .group_segment_fixed_size: 0
    .kernarg_segment_align: 8
    .kernarg_segment_size: 152
    .language:       OpenCL C
    .language_version:
      - 2
      - 0
    .max_flat_workgroup_size: 256
    .name:           _ZN7rocprim17ROCPRIM_400000_NS6detail17trampoline_kernelINS0_13select_configILj256ELj13ELNS0_17block_load_methodE3ELS4_3ELS4_3ELNS0_20block_scan_algorithmE0ELj4294967295EEENS1_25partition_config_selectorILNS1_17partition_subalgoE3EjNS0_10empty_typeEbEEZZNS1_14partition_implILS8_3ELb0ES6_jNS0_17counting_iteratorIjlEEPS9_SE_NS0_5tupleIJPjSE_EEENSF_IJSE_SE_EEES9_SG_JZNS1_25segmented_radix_sort_implINS0_14default_configELb0EPKiPiPKlPlN2at6native12_GLOBAL__N_18offset_tEEE10hipError_tPvRmT1_PNSt15iterator_traitsISY_E10value_typeET2_T3_PNSZ_IS14_E10value_typeET4_jRbjT5_S1A_jjP12ihipStream_tbEUljE_EEESV_SW_SX_S14_S18_S1A_T6_T7_T9_mT8_S1C_bDpT10_ENKUlT_T0_E_clISt17integral_constantIbLb1EES1P_EEDaS1K_S1L_EUlS1K_E_NS1_11comp_targetILNS1_3genE8ELNS1_11target_archE1030ELNS1_3gpuE2ELNS1_3repE0EEENS1_30default_config_static_selectorELNS0_4arch9wavefront6targetE0EEEvSY_
    .private_segment_fixed_size: 0
    .sgpr_count:     0
    .sgpr_spill_count: 0
    .symbol:         _ZN7rocprim17ROCPRIM_400000_NS6detail17trampoline_kernelINS0_13select_configILj256ELj13ELNS0_17block_load_methodE3ELS4_3ELS4_3ELNS0_20block_scan_algorithmE0ELj4294967295EEENS1_25partition_config_selectorILNS1_17partition_subalgoE3EjNS0_10empty_typeEbEEZZNS1_14partition_implILS8_3ELb0ES6_jNS0_17counting_iteratorIjlEEPS9_SE_NS0_5tupleIJPjSE_EEENSF_IJSE_SE_EEES9_SG_JZNS1_25segmented_radix_sort_implINS0_14default_configELb0EPKiPiPKlPlN2at6native12_GLOBAL__N_18offset_tEEE10hipError_tPvRmT1_PNSt15iterator_traitsISY_E10value_typeET2_T3_PNSZ_IS14_E10value_typeET4_jRbjT5_S1A_jjP12ihipStream_tbEUljE_EEESV_SW_SX_S14_S18_S1A_T6_T7_T9_mT8_S1C_bDpT10_ENKUlT_T0_E_clISt17integral_constantIbLb1EES1P_EEDaS1K_S1L_EUlS1K_E_NS1_11comp_targetILNS1_3genE8ELNS1_11target_archE1030ELNS1_3gpuE2ELNS1_3repE0EEENS1_30default_config_static_selectorELNS0_4arch9wavefront6targetE0EEEvSY_.kd
    .uniform_work_group_size: 1
    .uses_dynamic_stack: false
    .vgpr_count:     0
    .vgpr_spill_count: 0
    .wavefront_size: 32
    .workgroup_processor_mode: 1
  - .args:
      - .offset:         0
        .size:           144
        .value_kind:     by_value
    .group_segment_fixed_size: 0
    .kernarg_segment_align: 8
    .kernarg_segment_size: 144
    .language:       OpenCL C
    .language_version:
      - 2
      - 0
    .max_flat_workgroup_size: 256
    .name:           _ZN7rocprim17ROCPRIM_400000_NS6detail17trampoline_kernelINS0_13select_configILj256ELj13ELNS0_17block_load_methodE3ELS4_3ELS4_3ELNS0_20block_scan_algorithmE0ELj4294967295EEENS1_25partition_config_selectorILNS1_17partition_subalgoE3EjNS0_10empty_typeEbEEZZNS1_14partition_implILS8_3ELb0ES6_jNS0_17counting_iteratorIjlEEPS9_SE_NS0_5tupleIJPjSE_EEENSF_IJSE_SE_EEES9_SG_JZNS1_25segmented_radix_sort_implINS0_14default_configELb0EPKiPiPKlPlN2at6native12_GLOBAL__N_18offset_tEEE10hipError_tPvRmT1_PNSt15iterator_traitsISY_E10value_typeET2_T3_PNSZ_IS14_E10value_typeET4_jRbjT5_S1A_jjP12ihipStream_tbEUljE_EEESV_SW_SX_S14_S18_S1A_T6_T7_T9_mT8_S1C_bDpT10_ENKUlT_T0_E_clISt17integral_constantIbLb1EES1O_IbLb0EEEEDaS1K_S1L_EUlS1K_E_NS1_11comp_targetILNS1_3genE0ELNS1_11target_archE4294967295ELNS1_3gpuE0ELNS1_3repE0EEENS1_30default_config_static_selectorELNS0_4arch9wavefront6targetE0EEEvSY_
    .private_segment_fixed_size: 0
    .sgpr_count:     0
    .sgpr_spill_count: 0
    .symbol:         _ZN7rocprim17ROCPRIM_400000_NS6detail17trampoline_kernelINS0_13select_configILj256ELj13ELNS0_17block_load_methodE3ELS4_3ELS4_3ELNS0_20block_scan_algorithmE0ELj4294967295EEENS1_25partition_config_selectorILNS1_17partition_subalgoE3EjNS0_10empty_typeEbEEZZNS1_14partition_implILS8_3ELb0ES6_jNS0_17counting_iteratorIjlEEPS9_SE_NS0_5tupleIJPjSE_EEENSF_IJSE_SE_EEES9_SG_JZNS1_25segmented_radix_sort_implINS0_14default_configELb0EPKiPiPKlPlN2at6native12_GLOBAL__N_18offset_tEEE10hipError_tPvRmT1_PNSt15iterator_traitsISY_E10value_typeET2_T3_PNSZ_IS14_E10value_typeET4_jRbjT5_S1A_jjP12ihipStream_tbEUljE_EEESV_SW_SX_S14_S18_S1A_T6_T7_T9_mT8_S1C_bDpT10_ENKUlT_T0_E_clISt17integral_constantIbLb1EES1O_IbLb0EEEEDaS1K_S1L_EUlS1K_E_NS1_11comp_targetILNS1_3genE0ELNS1_11target_archE4294967295ELNS1_3gpuE0ELNS1_3repE0EEENS1_30default_config_static_selectorELNS0_4arch9wavefront6targetE0EEEvSY_.kd
    .uniform_work_group_size: 1
    .uses_dynamic_stack: false
    .vgpr_count:     0
    .vgpr_spill_count: 0
    .wavefront_size: 32
    .workgroup_processor_mode: 1
  - .args:
      - .offset:         0
        .size:           144
        .value_kind:     by_value
    .group_segment_fixed_size: 0
    .kernarg_segment_align: 8
    .kernarg_segment_size: 144
    .language:       OpenCL C
    .language_version:
      - 2
      - 0
    .max_flat_workgroup_size: 256
    .name:           _ZN7rocprim17ROCPRIM_400000_NS6detail17trampoline_kernelINS0_13select_configILj256ELj13ELNS0_17block_load_methodE3ELS4_3ELS4_3ELNS0_20block_scan_algorithmE0ELj4294967295EEENS1_25partition_config_selectorILNS1_17partition_subalgoE3EjNS0_10empty_typeEbEEZZNS1_14partition_implILS8_3ELb0ES6_jNS0_17counting_iteratorIjlEEPS9_SE_NS0_5tupleIJPjSE_EEENSF_IJSE_SE_EEES9_SG_JZNS1_25segmented_radix_sort_implINS0_14default_configELb0EPKiPiPKlPlN2at6native12_GLOBAL__N_18offset_tEEE10hipError_tPvRmT1_PNSt15iterator_traitsISY_E10value_typeET2_T3_PNSZ_IS14_E10value_typeET4_jRbjT5_S1A_jjP12ihipStream_tbEUljE_EEESV_SW_SX_S14_S18_S1A_T6_T7_T9_mT8_S1C_bDpT10_ENKUlT_T0_E_clISt17integral_constantIbLb1EES1O_IbLb0EEEEDaS1K_S1L_EUlS1K_E_NS1_11comp_targetILNS1_3genE5ELNS1_11target_archE942ELNS1_3gpuE9ELNS1_3repE0EEENS1_30default_config_static_selectorELNS0_4arch9wavefront6targetE0EEEvSY_
    .private_segment_fixed_size: 0
    .sgpr_count:     0
    .sgpr_spill_count: 0
    .symbol:         _ZN7rocprim17ROCPRIM_400000_NS6detail17trampoline_kernelINS0_13select_configILj256ELj13ELNS0_17block_load_methodE3ELS4_3ELS4_3ELNS0_20block_scan_algorithmE0ELj4294967295EEENS1_25partition_config_selectorILNS1_17partition_subalgoE3EjNS0_10empty_typeEbEEZZNS1_14partition_implILS8_3ELb0ES6_jNS0_17counting_iteratorIjlEEPS9_SE_NS0_5tupleIJPjSE_EEENSF_IJSE_SE_EEES9_SG_JZNS1_25segmented_radix_sort_implINS0_14default_configELb0EPKiPiPKlPlN2at6native12_GLOBAL__N_18offset_tEEE10hipError_tPvRmT1_PNSt15iterator_traitsISY_E10value_typeET2_T3_PNSZ_IS14_E10value_typeET4_jRbjT5_S1A_jjP12ihipStream_tbEUljE_EEESV_SW_SX_S14_S18_S1A_T6_T7_T9_mT8_S1C_bDpT10_ENKUlT_T0_E_clISt17integral_constantIbLb1EES1O_IbLb0EEEEDaS1K_S1L_EUlS1K_E_NS1_11comp_targetILNS1_3genE5ELNS1_11target_archE942ELNS1_3gpuE9ELNS1_3repE0EEENS1_30default_config_static_selectorELNS0_4arch9wavefront6targetE0EEEvSY_.kd
    .uniform_work_group_size: 1
    .uses_dynamic_stack: false
    .vgpr_count:     0
    .vgpr_spill_count: 0
    .wavefront_size: 32
    .workgroup_processor_mode: 1
  - .args:
      - .offset:         0
        .size:           144
        .value_kind:     by_value
    .group_segment_fixed_size: 0
    .kernarg_segment_align: 8
    .kernarg_segment_size: 144
    .language:       OpenCL C
    .language_version:
      - 2
      - 0
    .max_flat_workgroup_size: 256
    .name:           _ZN7rocprim17ROCPRIM_400000_NS6detail17trampoline_kernelINS0_13select_configILj256ELj13ELNS0_17block_load_methodE3ELS4_3ELS4_3ELNS0_20block_scan_algorithmE0ELj4294967295EEENS1_25partition_config_selectorILNS1_17partition_subalgoE3EjNS0_10empty_typeEbEEZZNS1_14partition_implILS8_3ELb0ES6_jNS0_17counting_iteratorIjlEEPS9_SE_NS0_5tupleIJPjSE_EEENSF_IJSE_SE_EEES9_SG_JZNS1_25segmented_radix_sort_implINS0_14default_configELb0EPKiPiPKlPlN2at6native12_GLOBAL__N_18offset_tEEE10hipError_tPvRmT1_PNSt15iterator_traitsISY_E10value_typeET2_T3_PNSZ_IS14_E10value_typeET4_jRbjT5_S1A_jjP12ihipStream_tbEUljE_EEESV_SW_SX_S14_S18_S1A_T6_T7_T9_mT8_S1C_bDpT10_ENKUlT_T0_E_clISt17integral_constantIbLb1EES1O_IbLb0EEEEDaS1K_S1L_EUlS1K_E_NS1_11comp_targetILNS1_3genE4ELNS1_11target_archE910ELNS1_3gpuE8ELNS1_3repE0EEENS1_30default_config_static_selectorELNS0_4arch9wavefront6targetE0EEEvSY_
    .private_segment_fixed_size: 0
    .sgpr_count:     0
    .sgpr_spill_count: 0
    .symbol:         _ZN7rocprim17ROCPRIM_400000_NS6detail17trampoline_kernelINS0_13select_configILj256ELj13ELNS0_17block_load_methodE3ELS4_3ELS4_3ELNS0_20block_scan_algorithmE0ELj4294967295EEENS1_25partition_config_selectorILNS1_17partition_subalgoE3EjNS0_10empty_typeEbEEZZNS1_14partition_implILS8_3ELb0ES6_jNS0_17counting_iteratorIjlEEPS9_SE_NS0_5tupleIJPjSE_EEENSF_IJSE_SE_EEES9_SG_JZNS1_25segmented_radix_sort_implINS0_14default_configELb0EPKiPiPKlPlN2at6native12_GLOBAL__N_18offset_tEEE10hipError_tPvRmT1_PNSt15iterator_traitsISY_E10value_typeET2_T3_PNSZ_IS14_E10value_typeET4_jRbjT5_S1A_jjP12ihipStream_tbEUljE_EEESV_SW_SX_S14_S18_S1A_T6_T7_T9_mT8_S1C_bDpT10_ENKUlT_T0_E_clISt17integral_constantIbLb1EES1O_IbLb0EEEEDaS1K_S1L_EUlS1K_E_NS1_11comp_targetILNS1_3genE4ELNS1_11target_archE910ELNS1_3gpuE8ELNS1_3repE0EEENS1_30default_config_static_selectorELNS0_4arch9wavefront6targetE0EEEvSY_.kd
    .uniform_work_group_size: 1
    .uses_dynamic_stack: false
    .vgpr_count:     0
    .vgpr_spill_count: 0
    .wavefront_size: 32
    .workgroup_processor_mode: 1
  - .args:
      - .offset:         0
        .size:           144
        .value_kind:     by_value
    .group_segment_fixed_size: 0
    .kernarg_segment_align: 8
    .kernarg_segment_size: 144
    .language:       OpenCL C
    .language_version:
      - 2
      - 0
    .max_flat_workgroup_size: 256
    .name:           _ZN7rocprim17ROCPRIM_400000_NS6detail17trampoline_kernelINS0_13select_configILj256ELj13ELNS0_17block_load_methodE3ELS4_3ELS4_3ELNS0_20block_scan_algorithmE0ELj4294967295EEENS1_25partition_config_selectorILNS1_17partition_subalgoE3EjNS0_10empty_typeEbEEZZNS1_14partition_implILS8_3ELb0ES6_jNS0_17counting_iteratorIjlEEPS9_SE_NS0_5tupleIJPjSE_EEENSF_IJSE_SE_EEES9_SG_JZNS1_25segmented_radix_sort_implINS0_14default_configELb0EPKiPiPKlPlN2at6native12_GLOBAL__N_18offset_tEEE10hipError_tPvRmT1_PNSt15iterator_traitsISY_E10value_typeET2_T3_PNSZ_IS14_E10value_typeET4_jRbjT5_S1A_jjP12ihipStream_tbEUljE_EEESV_SW_SX_S14_S18_S1A_T6_T7_T9_mT8_S1C_bDpT10_ENKUlT_T0_E_clISt17integral_constantIbLb1EES1O_IbLb0EEEEDaS1K_S1L_EUlS1K_E_NS1_11comp_targetILNS1_3genE3ELNS1_11target_archE908ELNS1_3gpuE7ELNS1_3repE0EEENS1_30default_config_static_selectorELNS0_4arch9wavefront6targetE0EEEvSY_
    .private_segment_fixed_size: 0
    .sgpr_count:     0
    .sgpr_spill_count: 0
    .symbol:         _ZN7rocprim17ROCPRIM_400000_NS6detail17trampoline_kernelINS0_13select_configILj256ELj13ELNS0_17block_load_methodE3ELS4_3ELS4_3ELNS0_20block_scan_algorithmE0ELj4294967295EEENS1_25partition_config_selectorILNS1_17partition_subalgoE3EjNS0_10empty_typeEbEEZZNS1_14partition_implILS8_3ELb0ES6_jNS0_17counting_iteratorIjlEEPS9_SE_NS0_5tupleIJPjSE_EEENSF_IJSE_SE_EEES9_SG_JZNS1_25segmented_radix_sort_implINS0_14default_configELb0EPKiPiPKlPlN2at6native12_GLOBAL__N_18offset_tEEE10hipError_tPvRmT1_PNSt15iterator_traitsISY_E10value_typeET2_T3_PNSZ_IS14_E10value_typeET4_jRbjT5_S1A_jjP12ihipStream_tbEUljE_EEESV_SW_SX_S14_S18_S1A_T6_T7_T9_mT8_S1C_bDpT10_ENKUlT_T0_E_clISt17integral_constantIbLb1EES1O_IbLb0EEEEDaS1K_S1L_EUlS1K_E_NS1_11comp_targetILNS1_3genE3ELNS1_11target_archE908ELNS1_3gpuE7ELNS1_3repE0EEENS1_30default_config_static_selectorELNS0_4arch9wavefront6targetE0EEEvSY_.kd
    .uniform_work_group_size: 1
    .uses_dynamic_stack: false
    .vgpr_count:     0
    .vgpr_spill_count: 0
    .wavefront_size: 32
    .workgroup_processor_mode: 1
  - .args:
      - .offset:         0
        .size:           144
        .value_kind:     by_value
    .group_segment_fixed_size: 0
    .kernarg_segment_align: 8
    .kernarg_segment_size: 144
    .language:       OpenCL C
    .language_version:
      - 2
      - 0
    .max_flat_workgroup_size: 256
    .name:           _ZN7rocprim17ROCPRIM_400000_NS6detail17trampoline_kernelINS0_13select_configILj256ELj13ELNS0_17block_load_methodE3ELS4_3ELS4_3ELNS0_20block_scan_algorithmE0ELj4294967295EEENS1_25partition_config_selectorILNS1_17partition_subalgoE3EjNS0_10empty_typeEbEEZZNS1_14partition_implILS8_3ELb0ES6_jNS0_17counting_iteratorIjlEEPS9_SE_NS0_5tupleIJPjSE_EEENSF_IJSE_SE_EEES9_SG_JZNS1_25segmented_radix_sort_implINS0_14default_configELb0EPKiPiPKlPlN2at6native12_GLOBAL__N_18offset_tEEE10hipError_tPvRmT1_PNSt15iterator_traitsISY_E10value_typeET2_T3_PNSZ_IS14_E10value_typeET4_jRbjT5_S1A_jjP12ihipStream_tbEUljE_EEESV_SW_SX_S14_S18_S1A_T6_T7_T9_mT8_S1C_bDpT10_ENKUlT_T0_E_clISt17integral_constantIbLb1EES1O_IbLb0EEEEDaS1K_S1L_EUlS1K_E_NS1_11comp_targetILNS1_3genE2ELNS1_11target_archE906ELNS1_3gpuE6ELNS1_3repE0EEENS1_30default_config_static_selectorELNS0_4arch9wavefront6targetE0EEEvSY_
    .private_segment_fixed_size: 0
    .sgpr_count:     0
    .sgpr_spill_count: 0
    .symbol:         _ZN7rocprim17ROCPRIM_400000_NS6detail17trampoline_kernelINS0_13select_configILj256ELj13ELNS0_17block_load_methodE3ELS4_3ELS4_3ELNS0_20block_scan_algorithmE0ELj4294967295EEENS1_25partition_config_selectorILNS1_17partition_subalgoE3EjNS0_10empty_typeEbEEZZNS1_14partition_implILS8_3ELb0ES6_jNS0_17counting_iteratorIjlEEPS9_SE_NS0_5tupleIJPjSE_EEENSF_IJSE_SE_EEES9_SG_JZNS1_25segmented_radix_sort_implINS0_14default_configELb0EPKiPiPKlPlN2at6native12_GLOBAL__N_18offset_tEEE10hipError_tPvRmT1_PNSt15iterator_traitsISY_E10value_typeET2_T3_PNSZ_IS14_E10value_typeET4_jRbjT5_S1A_jjP12ihipStream_tbEUljE_EEESV_SW_SX_S14_S18_S1A_T6_T7_T9_mT8_S1C_bDpT10_ENKUlT_T0_E_clISt17integral_constantIbLb1EES1O_IbLb0EEEEDaS1K_S1L_EUlS1K_E_NS1_11comp_targetILNS1_3genE2ELNS1_11target_archE906ELNS1_3gpuE6ELNS1_3repE0EEENS1_30default_config_static_selectorELNS0_4arch9wavefront6targetE0EEEvSY_.kd
    .uniform_work_group_size: 1
    .uses_dynamic_stack: false
    .vgpr_count:     0
    .vgpr_spill_count: 0
    .wavefront_size: 32
    .workgroup_processor_mode: 1
  - .args:
      - .offset:         0
        .size:           144
        .value_kind:     by_value
    .group_segment_fixed_size: 0
    .kernarg_segment_align: 8
    .kernarg_segment_size: 144
    .language:       OpenCL C
    .language_version:
      - 2
      - 0
    .max_flat_workgroup_size: 256
    .name:           _ZN7rocprim17ROCPRIM_400000_NS6detail17trampoline_kernelINS0_13select_configILj256ELj13ELNS0_17block_load_methodE3ELS4_3ELS4_3ELNS0_20block_scan_algorithmE0ELj4294967295EEENS1_25partition_config_selectorILNS1_17partition_subalgoE3EjNS0_10empty_typeEbEEZZNS1_14partition_implILS8_3ELb0ES6_jNS0_17counting_iteratorIjlEEPS9_SE_NS0_5tupleIJPjSE_EEENSF_IJSE_SE_EEES9_SG_JZNS1_25segmented_radix_sort_implINS0_14default_configELb0EPKiPiPKlPlN2at6native12_GLOBAL__N_18offset_tEEE10hipError_tPvRmT1_PNSt15iterator_traitsISY_E10value_typeET2_T3_PNSZ_IS14_E10value_typeET4_jRbjT5_S1A_jjP12ihipStream_tbEUljE_EEESV_SW_SX_S14_S18_S1A_T6_T7_T9_mT8_S1C_bDpT10_ENKUlT_T0_E_clISt17integral_constantIbLb1EES1O_IbLb0EEEEDaS1K_S1L_EUlS1K_E_NS1_11comp_targetILNS1_3genE10ELNS1_11target_archE1200ELNS1_3gpuE4ELNS1_3repE0EEENS1_30default_config_static_selectorELNS0_4arch9wavefront6targetE0EEEvSY_
    .private_segment_fixed_size: 0
    .sgpr_count:     0
    .sgpr_spill_count: 0
    .symbol:         _ZN7rocprim17ROCPRIM_400000_NS6detail17trampoline_kernelINS0_13select_configILj256ELj13ELNS0_17block_load_methodE3ELS4_3ELS4_3ELNS0_20block_scan_algorithmE0ELj4294967295EEENS1_25partition_config_selectorILNS1_17partition_subalgoE3EjNS0_10empty_typeEbEEZZNS1_14partition_implILS8_3ELb0ES6_jNS0_17counting_iteratorIjlEEPS9_SE_NS0_5tupleIJPjSE_EEENSF_IJSE_SE_EEES9_SG_JZNS1_25segmented_radix_sort_implINS0_14default_configELb0EPKiPiPKlPlN2at6native12_GLOBAL__N_18offset_tEEE10hipError_tPvRmT1_PNSt15iterator_traitsISY_E10value_typeET2_T3_PNSZ_IS14_E10value_typeET4_jRbjT5_S1A_jjP12ihipStream_tbEUljE_EEESV_SW_SX_S14_S18_S1A_T6_T7_T9_mT8_S1C_bDpT10_ENKUlT_T0_E_clISt17integral_constantIbLb1EES1O_IbLb0EEEEDaS1K_S1L_EUlS1K_E_NS1_11comp_targetILNS1_3genE10ELNS1_11target_archE1200ELNS1_3gpuE4ELNS1_3repE0EEENS1_30default_config_static_selectorELNS0_4arch9wavefront6targetE0EEEvSY_.kd
    .uniform_work_group_size: 1
    .uses_dynamic_stack: false
    .vgpr_count:     0
    .vgpr_spill_count: 0
    .wavefront_size: 32
    .workgroup_processor_mode: 1
  - .args:
      - .offset:         0
        .size:           144
        .value_kind:     by_value
    .group_segment_fixed_size: 0
    .kernarg_segment_align: 8
    .kernarg_segment_size: 144
    .language:       OpenCL C
    .language_version:
      - 2
      - 0
    .max_flat_workgroup_size: 256
    .name:           _ZN7rocprim17ROCPRIM_400000_NS6detail17trampoline_kernelINS0_13select_configILj256ELj13ELNS0_17block_load_methodE3ELS4_3ELS4_3ELNS0_20block_scan_algorithmE0ELj4294967295EEENS1_25partition_config_selectorILNS1_17partition_subalgoE3EjNS0_10empty_typeEbEEZZNS1_14partition_implILS8_3ELb0ES6_jNS0_17counting_iteratorIjlEEPS9_SE_NS0_5tupleIJPjSE_EEENSF_IJSE_SE_EEES9_SG_JZNS1_25segmented_radix_sort_implINS0_14default_configELb0EPKiPiPKlPlN2at6native12_GLOBAL__N_18offset_tEEE10hipError_tPvRmT1_PNSt15iterator_traitsISY_E10value_typeET2_T3_PNSZ_IS14_E10value_typeET4_jRbjT5_S1A_jjP12ihipStream_tbEUljE_EEESV_SW_SX_S14_S18_S1A_T6_T7_T9_mT8_S1C_bDpT10_ENKUlT_T0_E_clISt17integral_constantIbLb1EES1O_IbLb0EEEEDaS1K_S1L_EUlS1K_E_NS1_11comp_targetILNS1_3genE9ELNS1_11target_archE1100ELNS1_3gpuE3ELNS1_3repE0EEENS1_30default_config_static_selectorELNS0_4arch9wavefront6targetE0EEEvSY_
    .private_segment_fixed_size: 0
    .sgpr_count:     0
    .sgpr_spill_count: 0
    .symbol:         _ZN7rocprim17ROCPRIM_400000_NS6detail17trampoline_kernelINS0_13select_configILj256ELj13ELNS0_17block_load_methodE3ELS4_3ELS4_3ELNS0_20block_scan_algorithmE0ELj4294967295EEENS1_25partition_config_selectorILNS1_17partition_subalgoE3EjNS0_10empty_typeEbEEZZNS1_14partition_implILS8_3ELb0ES6_jNS0_17counting_iteratorIjlEEPS9_SE_NS0_5tupleIJPjSE_EEENSF_IJSE_SE_EEES9_SG_JZNS1_25segmented_radix_sort_implINS0_14default_configELb0EPKiPiPKlPlN2at6native12_GLOBAL__N_18offset_tEEE10hipError_tPvRmT1_PNSt15iterator_traitsISY_E10value_typeET2_T3_PNSZ_IS14_E10value_typeET4_jRbjT5_S1A_jjP12ihipStream_tbEUljE_EEESV_SW_SX_S14_S18_S1A_T6_T7_T9_mT8_S1C_bDpT10_ENKUlT_T0_E_clISt17integral_constantIbLb1EES1O_IbLb0EEEEDaS1K_S1L_EUlS1K_E_NS1_11comp_targetILNS1_3genE9ELNS1_11target_archE1100ELNS1_3gpuE3ELNS1_3repE0EEENS1_30default_config_static_selectorELNS0_4arch9wavefront6targetE0EEEvSY_.kd
    .uniform_work_group_size: 1
    .uses_dynamic_stack: false
    .vgpr_count:     0
    .vgpr_spill_count: 0
    .wavefront_size: 32
    .workgroup_processor_mode: 1
  - .args:
      - .offset:         0
        .size:           144
        .value_kind:     by_value
    .group_segment_fixed_size: 0
    .kernarg_segment_align: 8
    .kernarg_segment_size: 144
    .language:       OpenCL C
    .language_version:
      - 2
      - 0
    .max_flat_workgroup_size: 256
    .name:           _ZN7rocprim17ROCPRIM_400000_NS6detail17trampoline_kernelINS0_13select_configILj256ELj13ELNS0_17block_load_methodE3ELS4_3ELS4_3ELNS0_20block_scan_algorithmE0ELj4294967295EEENS1_25partition_config_selectorILNS1_17partition_subalgoE3EjNS0_10empty_typeEbEEZZNS1_14partition_implILS8_3ELb0ES6_jNS0_17counting_iteratorIjlEEPS9_SE_NS0_5tupleIJPjSE_EEENSF_IJSE_SE_EEES9_SG_JZNS1_25segmented_radix_sort_implINS0_14default_configELb0EPKiPiPKlPlN2at6native12_GLOBAL__N_18offset_tEEE10hipError_tPvRmT1_PNSt15iterator_traitsISY_E10value_typeET2_T3_PNSZ_IS14_E10value_typeET4_jRbjT5_S1A_jjP12ihipStream_tbEUljE_EEESV_SW_SX_S14_S18_S1A_T6_T7_T9_mT8_S1C_bDpT10_ENKUlT_T0_E_clISt17integral_constantIbLb1EES1O_IbLb0EEEEDaS1K_S1L_EUlS1K_E_NS1_11comp_targetILNS1_3genE8ELNS1_11target_archE1030ELNS1_3gpuE2ELNS1_3repE0EEENS1_30default_config_static_selectorELNS0_4arch9wavefront6targetE0EEEvSY_
    .private_segment_fixed_size: 0
    .sgpr_count:     0
    .sgpr_spill_count: 0
    .symbol:         _ZN7rocprim17ROCPRIM_400000_NS6detail17trampoline_kernelINS0_13select_configILj256ELj13ELNS0_17block_load_methodE3ELS4_3ELS4_3ELNS0_20block_scan_algorithmE0ELj4294967295EEENS1_25partition_config_selectorILNS1_17partition_subalgoE3EjNS0_10empty_typeEbEEZZNS1_14partition_implILS8_3ELb0ES6_jNS0_17counting_iteratorIjlEEPS9_SE_NS0_5tupleIJPjSE_EEENSF_IJSE_SE_EEES9_SG_JZNS1_25segmented_radix_sort_implINS0_14default_configELb0EPKiPiPKlPlN2at6native12_GLOBAL__N_18offset_tEEE10hipError_tPvRmT1_PNSt15iterator_traitsISY_E10value_typeET2_T3_PNSZ_IS14_E10value_typeET4_jRbjT5_S1A_jjP12ihipStream_tbEUljE_EEESV_SW_SX_S14_S18_S1A_T6_T7_T9_mT8_S1C_bDpT10_ENKUlT_T0_E_clISt17integral_constantIbLb1EES1O_IbLb0EEEEDaS1K_S1L_EUlS1K_E_NS1_11comp_targetILNS1_3genE8ELNS1_11target_archE1030ELNS1_3gpuE2ELNS1_3repE0EEENS1_30default_config_static_selectorELNS0_4arch9wavefront6targetE0EEEvSY_.kd
    .uniform_work_group_size: 1
    .uses_dynamic_stack: false
    .vgpr_count:     0
    .vgpr_spill_count: 0
    .wavefront_size: 32
    .workgroup_processor_mode: 1
  - .args:
      - .offset:         0
        .size:           152
        .value_kind:     by_value
    .group_segment_fixed_size: 0
    .kernarg_segment_align: 8
    .kernarg_segment_size: 152
    .language:       OpenCL C
    .language_version:
      - 2
      - 0
    .max_flat_workgroup_size: 256
    .name:           _ZN7rocprim17ROCPRIM_400000_NS6detail17trampoline_kernelINS0_13select_configILj256ELj13ELNS0_17block_load_methodE3ELS4_3ELS4_3ELNS0_20block_scan_algorithmE0ELj4294967295EEENS1_25partition_config_selectorILNS1_17partition_subalgoE3EjNS0_10empty_typeEbEEZZNS1_14partition_implILS8_3ELb0ES6_jNS0_17counting_iteratorIjlEEPS9_SE_NS0_5tupleIJPjSE_EEENSF_IJSE_SE_EEES9_SG_JZNS1_25segmented_radix_sort_implINS0_14default_configELb0EPKiPiPKlPlN2at6native12_GLOBAL__N_18offset_tEEE10hipError_tPvRmT1_PNSt15iterator_traitsISY_E10value_typeET2_T3_PNSZ_IS14_E10value_typeET4_jRbjT5_S1A_jjP12ihipStream_tbEUljE_EEESV_SW_SX_S14_S18_S1A_T6_T7_T9_mT8_S1C_bDpT10_ENKUlT_T0_E_clISt17integral_constantIbLb0EES1O_IbLb1EEEEDaS1K_S1L_EUlS1K_E_NS1_11comp_targetILNS1_3genE0ELNS1_11target_archE4294967295ELNS1_3gpuE0ELNS1_3repE0EEENS1_30default_config_static_selectorELNS0_4arch9wavefront6targetE0EEEvSY_
    .private_segment_fixed_size: 0
    .sgpr_count:     0
    .sgpr_spill_count: 0
    .symbol:         _ZN7rocprim17ROCPRIM_400000_NS6detail17trampoline_kernelINS0_13select_configILj256ELj13ELNS0_17block_load_methodE3ELS4_3ELS4_3ELNS0_20block_scan_algorithmE0ELj4294967295EEENS1_25partition_config_selectorILNS1_17partition_subalgoE3EjNS0_10empty_typeEbEEZZNS1_14partition_implILS8_3ELb0ES6_jNS0_17counting_iteratorIjlEEPS9_SE_NS0_5tupleIJPjSE_EEENSF_IJSE_SE_EEES9_SG_JZNS1_25segmented_radix_sort_implINS0_14default_configELb0EPKiPiPKlPlN2at6native12_GLOBAL__N_18offset_tEEE10hipError_tPvRmT1_PNSt15iterator_traitsISY_E10value_typeET2_T3_PNSZ_IS14_E10value_typeET4_jRbjT5_S1A_jjP12ihipStream_tbEUljE_EEESV_SW_SX_S14_S18_S1A_T6_T7_T9_mT8_S1C_bDpT10_ENKUlT_T0_E_clISt17integral_constantIbLb0EES1O_IbLb1EEEEDaS1K_S1L_EUlS1K_E_NS1_11comp_targetILNS1_3genE0ELNS1_11target_archE4294967295ELNS1_3gpuE0ELNS1_3repE0EEENS1_30default_config_static_selectorELNS0_4arch9wavefront6targetE0EEEvSY_.kd
    .uniform_work_group_size: 1
    .uses_dynamic_stack: false
    .vgpr_count:     0
    .vgpr_spill_count: 0
    .wavefront_size: 32
    .workgroup_processor_mode: 1
  - .args:
      - .offset:         0
        .size:           152
        .value_kind:     by_value
    .group_segment_fixed_size: 0
    .kernarg_segment_align: 8
    .kernarg_segment_size: 152
    .language:       OpenCL C
    .language_version:
      - 2
      - 0
    .max_flat_workgroup_size: 256
    .name:           _ZN7rocprim17ROCPRIM_400000_NS6detail17trampoline_kernelINS0_13select_configILj256ELj13ELNS0_17block_load_methodE3ELS4_3ELS4_3ELNS0_20block_scan_algorithmE0ELj4294967295EEENS1_25partition_config_selectorILNS1_17partition_subalgoE3EjNS0_10empty_typeEbEEZZNS1_14partition_implILS8_3ELb0ES6_jNS0_17counting_iteratorIjlEEPS9_SE_NS0_5tupleIJPjSE_EEENSF_IJSE_SE_EEES9_SG_JZNS1_25segmented_radix_sort_implINS0_14default_configELb0EPKiPiPKlPlN2at6native12_GLOBAL__N_18offset_tEEE10hipError_tPvRmT1_PNSt15iterator_traitsISY_E10value_typeET2_T3_PNSZ_IS14_E10value_typeET4_jRbjT5_S1A_jjP12ihipStream_tbEUljE_EEESV_SW_SX_S14_S18_S1A_T6_T7_T9_mT8_S1C_bDpT10_ENKUlT_T0_E_clISt17integral_constantIbLb0EES1O_IbLb1EEEEDaS1K_S1L_EUlS1K_E_NS1_11comp_targetILNS1_3genE5ELNS1_11target_archE942ELNS1_3gpuE9ELNS1_3repE0EEENS1_30default_config_static_selectorELNS0_4arch9wavefront6targetE0EEEvSY_
    .private_segment_fixed_size: 0
    .sgpr_count:     0
    .sgpr_spill_count: 0
    .symbol:         _ZN7rocprim17ROCPRIM_400000_NS6detail17trampoline_kernelINS0_13select_configILj256ELj13ELNS0_17block_load_methodE3ELS4_3ELS4_3ELNS0_20block_scan_algorithmE0ELj4294967295EEENS1_25partition_config_selectorILNS1_17partition_subalgoE3EjNS0_10empty_typeEbEEZZNS1_14partition_implILS8_3ELb0ES6_jNS0_17counting_iteratorIjlEEPS9_SE_NS0_5tupleIJPjSE_EEENSF_IJSE_SE_EEES9_SG_JZNS1_25segmented_radix_sort_implINS0_14default_configELb0EPKiPiPKlPlN2at6native12_GLOBAL__N_18offset_tEEE10hipError_tPvRmT1_PNSt15iterator_traitsISY_E10value_typeET2_T3_PNSZ_IS14_E10value_typeET4_jRbjT5_S1A_jjP12ihipStream_tbEUljE_EEESV_SW_SX_S14_S18_S1A_T6_T7_T9_mT8_S1C_bDpT10_ENKUlT_T0_E_clISt17integral_constantIbLb0EES1O_IbLb1EEEEDaS1K_S1L_EUlS1K_E_NS1_11comp_targetILNS1_3genE5ELNS1_11target_archE942ELNS1_3gpuE9ELNS1_3repE0EEENS1_30default_config_static_selectorELNS0_4arch9wavefront6targetE0EEEvSY_.kd
    .uniform_work_group_size: 1
    .uses_dynamic_stack: false
    .vgpr_count:     0
    .vgpr_spill_count: 0
    .wavefront_size: 32
    .workgroup_processor_mode: 1
  - .args:
      - .offset:         0
        .size:           152
        .value_kind:     by_value
    .group_segment_fixed_size: 0
    .kernarg_segment_align: 8
    .kernarg_segment_size: 152
    .language:       OpenCL C
    .language_version:
      - 2
      - 0
    .max_flat_workgroup_size: 256
    .name:           _ZN7rocprim17ROCPRIM_400000_NS6detail17trampoline_kernelINS0_13select_configILj256ELj13ELNS0_17block_load_methodE3ELS4_3ELS4_3ELNS0_20block_scan_algorithmE0ELj4294967295EEENS1_25partition_config_selectorILNS1_17partition_subalgoE3EjNS0_10empty_typeEbEEZZNS1_14partition_implILS8_3ELb0ES6_jNS0_17counting_iteratorIjlEEPS9_SE_NS0_5tupleIJPjSE_EEENSF_IJSE_SE_EEES9_SG_JZNS1_25segmented_radix_sort_implINS0_14default_configELb0EPKiPiPKlPlN2at6native12_GLOBAL__N_18offset_tEEE10hipError_tPvRmT1_PNSt15iterator_traitsISY_E10value_typeET2_T3_PNSZ_IS14_E10value_typeET4_jRbjT5_S1A_jjP12ihipStream_tbEUljE_EEESV_SW_SX_S14_S18_S1A_T6_T7_T9_mT8_S1C_bDpT10_ENKUlT_T0_E_clISt17integral_constantIbLb0EES1O_IbLb1EEEEDaS1K_S1L_EUlS1K_E_NS1_11comp_targetILNS1_3genE4ELNS1_11target_archE910ELNS1_3gpuE8ELNS1_3repE0EEENS1_30default_config_static_selectorELNS0_4arch9wavefront6targetE0EEEvSY_
    .private_segment_fixed_size: 0
    .sgpr_count:     0
    .sgpr_spill_count: 0
    .symbol:         _ZN7rocprim17ROCPRIM_400000_NS6detail17trampoline_kernelINS0_13select_configILj256ELj13ELNS0_17block_load_methodE3ELS4_3ELS4_3ELNS0_20block_scan_algorithmE0ELj4294967295EEENS1_25partition_config_selectorILNS1_17partition_subalgoE3EjNS0_10empty_typeEbEEZZNS1_14partition_implILS8_3ELb0ES6_jNS0_17counting_iteratorIjlEEPS9_SE_NS0_5tupleIJPjSE_EEENSF_IJSE_SE_EEES9_SG_JZNS1_25segmented_radix_sort_implINS0_14default_configELb0EPKiPiPKlPlN2at6native12_GLOBAL__N_18offset_tEEE10hipError_tPvRmT1_PNSt15iterator_traitsISY_E10value_typeET2_T3_PNSZ_IS14_E10value_typeET4_jRbjT5_S1A_jjP12ihipStream_tbEUljE_EEESV_SW_SX_S14_S18_S1A_T6_T7_T9_mT8_S1C_bDpT10_ENKUlT_T0_E_clISt17integral_constantIbLb0EES1O_IbLb1EEEEDaS1K_S1L_EUlS1K_E_NS1_11comp_targetILNS1_3genE4ELNS1_11target_archE910ELNS1_3gpuE8ELNS1_3repE0EEENS1_30default_config_static_selectorELNS0_4arch9wavefront6targetE0EEEvSY_.kd
    .uniform_work_group_size: 1
    .uses_dynamic_stack: false
    .vgpr_count:     0
    .vgpr_spill_count: 0
    .wavefront_size: 32
    .workgroup_processor_mode: 1
  - .args:
      - .offset:         0
        .size:           152
        .value_kind:     by_value
    .group_segment_fixed_size: 0
    .kernarg_segment_align: 8
    .kernarg_segment_size: 152
    .language:       OpenCL C
    .language_version:
      - 2
      - 0
    .max_flat_workgroup_size: 256
    .name:           _ZN7rocprim17ROCPRIM_400000_NS6detail17trampoline_kernelINS0_13select_configILj256ELj13ELNS0_17block_load_methodE3ELS4_3ELS4_3ELNS0_20block_scan_algorithmE0ELj4294967295EEENS1_25partition_config_selectorILNS1_17partition_subalgoE3EjNS0_10empty_typeEbEEZZNS1_14partition_implILS8_3ELb0ES6_jNS0_17counting_iteratorIjlEEPS9_SE_NS0_5tupleIJPjSE_EEENSF_IJSE_SE_EEES9_SG_JZNS1_25segmented_radix_sort_implINS0_14default_configELb0EPKiPiPKlPlN2at6native12_GLOBAL__N_18offset_tEEE10hipError_tPvRmT1_PNSt15iterator_traitsISY_E10value_typeET2_T3_PNSZ_IS14_E10value_typeET4_jRbjT5_S1A_jjP12ihipStream_tbEUljE_EEESV_SW_SX_S14_S18_S1A_T6_T7_T9_mT8_S1C_bDpT10_ENKUlT_T0_E_clISt17integral_constantIbLb0EES1O_IbLb1EEEEDaS1K_S1L_EUlS1K_E_NS1_11comp_targetILNS1_3genE3ELNS1_11target_archE908ELNS1_3gpuE7ELNS1_3repE0EEENS1_30default_config_static_selectorELNS0_4arch9wavefront6targetE0EEEvSY_
    .private_segment_fixed_size: 0
    .sgpr_count:     0
    .sgpr_spill_count: 0
    .symbol:         _ZN7rocprim17ROCPRIM_400000_NS6detail17trampoline_kernelINS0_13select_configILj256ELj13ELNS0_17block_load_methodE3ELS4_3ELS4_3ELNS0_20block_scan_algorithmE0ELj4294967295EEENS1_25partition_config_selectorILNS1_17partition_subalgoE3EjNS0_10empty_typeEbEEZZNS1_14partition_implILS8_3ELb0ES6_jNS0_17counting_iteratorIjlEEPS9_SE_NS0_5tupleIJPjSE_EEENSF_IJSE_SE_EEES9_SG_JZNS1_25segmented_radix_sort_implINS0_14default_configELb0EPKiPiPKlPlN2at6native12_GLOBAL__N_18offset_tEEE10hipError_tPvRmT1_PNSt15iterator_traitsISY_E10value_typeET2_T3_PNSZ_IS14_E10value_typeET4_jRbjT5_S1A_jjP12ihipStream_tbEUljE_EEESV_SW_SX_S14_S18_S1A_T6_T7_T9_mT8_S1C_bDpT10_ENKUlT_T0_E_clISt17integral_constantIbLb0EES1O_IbLb1EEEEDaS1K_S1L_EUlS1K_E_NS1_11comp_targetILNS1_3genE3ELNS1_11target_archE908ELNS1_3gpuE7ELNS1_3repE0EEENS1_30default_config_static_selectorELNS0_4arch9wavefront6targetE0EEEvSY_.kd
    .uniform_work_group_size: 1
    .uses_dynamic_stack: false
    .vgpr_count:     0
    .vgpr_spill_count: 0
    .wavefront_size: 32
    .workgroup_processor_mode: 1
  - .args:
      - .offset:         0
        .size:           152
        .value_kind:     by_value
    .group_segment_fixed_size: 0
    .kernarg_segment_align: 8
    .kernarg_segment_size: 152
    .language:       OpenCL C
    .language_version:
      - 2
      - 0
    .max_flat_workgroup_size: 256
    .name:           _ZN7rocprim17ROCPRIM_400000_NS6detail17trampoline_kernelINS0_13select_configILj256ELj13ELNS0_17block_load_methodE3ELS4_3ELS4_3ELNS0_20block_scan_algorithmE0ELj4294967295EEENS1_25partition_config_selectorILNS1_17partition_subalgoE3EjNS0_10empty_typeEbEEZZNS1_14partition_implILS8_3ELb0ES6_jNS0_17counting_iteratorIjlEEPS9_SE_NS0_5tupleIJPjSE_EEENSF_IJSE_SE_EEES9_SG_JZNS1_25segmented_radix_sort_implINS0_14default_configELb0EPKiPiPKlPlN2at6native12_GLOBAL__N_18offset_tEEE10hipError_tPvRmT1_PNSt15iterator_traitsISY_E10value_typeET2_T3_PNSZ_IS14_E10value_typeET4_jRbjT5_S1A_jjP12ihipStream_tbEUljE_EEESV_SW_SX_S14_S18_S1A_T6_T7_T9_mT8_S1C_bDpT10_ENKUlT_T0_E_clISt17integral_constantIbLb0EES1O_IbLb1EEEEDaS1K_S1L_EUlS1K_E_NS1_11comp_targetILNS1_3genE2ELNS1_11target_archE906ELNS1_3gpuE6ELNS1_3repE0EEENS1_30default_config_static_selectorELNS0_4arch9wavefront6targetE0EEEvSY_
    .private_segment_fixed_size: 0
    .sgpr_count:     0
    .sgpr_spill_count: 0
    .symbol:         _ZN7rocprim17ROCPRIM_400000_NS6detail17trampoline_kernelINS0_13select_configILj256ELj13ELNS0_17block_load_methodE3ELS4_3ELS4_3ELNS0_20block_scan_algorithmE0ELj4294967295EEENS1_25partition_config_selectorILNS1_17partition_subalgoE3EjNS0_10empty_typeEbEEZZNS1_14partition_implILS8_3ELb0ES6_jNS0_17counting_iteratorIjlEEPS9_SE_NS0_5tupleIJPjSE_EEENSF_IJSE_SE_EEES9_SG_JZNS1_25segmented_radix_sort_implINS0_14default_configELb0EPKiPiPKlPlN2at6native12_GLOBAL__N_18offset_tEEE10hipError_tPvRmT1_PNSt15iterator_traitsISY_E10value_typeET2_T3_PNSZ_IS14_E10value_typeET4_jRbjT5_S1A_jjP12ihipStream_tbEUljE_EEESV_SW_SX_S14_S18_S1A_T6_T7_T9_mT8_S1C_bDpT10_ENKUlT_T0_E_clISt17integral_constantIbLb0EES1O_IbLb1EEEEDaS1K_S1L_EUlS1K_E_NS1_11comp_targetILNS1_3genE2ELNS1_11target_archE906ELNS1_3gpuE6ELNS1_3repE0EEENS1_30default_config_static_selectorELNS0_4arch9wavefront6targetE0EEEvSY_.kd
    .uniform_work_group_size: 1
    .uses_dynamic_stack: false
    .vgpr_count:     0
    .vgpr_spill_count: 0
    .wavefront_size: 32
    .workgroup_processor_mode: 1
  - .args:
      - .offset:         0
        .size:           152
        .value_kind:     by_value
    .group_segment_fixed_size: 13320
    .kernarg_segment_align: 8
    .kernarg_segment_size: 152
    .language:       OpenCL C
    .language_version:
      - 2
      - 0
    .max_flat_workgroup_size: 256
    .name:           _ZN7rocprim17ROCPRIM_400000_NS6detail17trampoline_kernelINS0_13select_configILj256ELj13ELNS0_17block_load_methodE3ELS4_3ELS4_3ELNS0_20block_scan_algorithmE0ELj4294967295EEENS1_25partition_config_selectorILNS1_17partition_subalgoE3EjNS0_10empty_typeEbEEZZNS1_14partition_implILS8_3ELb0ES6_jNS0_17counting_iteratorIjlEEPS9_SE_NS0_5tupleIJPjSE_EEENSF_IJSE_SE_EEES9_SG_JZNS1_25segmented_radix_sort_implINS0_14default_configELb0EPKiPiPKlPlN2at6native12_GLOBAL__N_18offset_tEEE10hipError_tPvRmT1_PNSt15iterator_traitsISY_E10value_typeET2_T3_PNSZ_IS14_E10value_typeET4_jRbjT5_S1A_jjP12ihipStream_tbEUljE_EEESV_SW_SX_S14_S18_S1A_T6_T7_T9_mT8_S1C_bDpT10_ENKUlT_T0_E_clISt17integral_constantIbLb0EES1O_IbLb1EEEEDaS1K_S1L_EUlS1K_E_NS1_11comp_targetILNS1_3genE10ELNS1_11target_archE1200ELNS1_3gpuE4ELNS1_3repE0EEENS1_30default_config_static_selectorELNS0_4arch9wavefront6targetE0EEEvSY_
    .private_segment_fixed_size: 0
    .sgpr_count:     28
    .sgpr_spill_count: 0
    .symbol:         _ZN7rocprim17ROCPRIM_400000_NS6detail17trampoline_kernelINS0_13select_configILj256ELj13ELNS0_17block_load_methodE3ELS4_3ELS4_3ELNS0_20block_scan_algorithmE0ELj4294967295EEENS1_25partition_config_selectorILNS1_17partition_subalgoE3EjNS0_10empty_typeEbEEZZNS1_14partition_implILS8_3ELb0ES6_jNS0_17counting_iteratorIjlEEPS9_SE_NS0_5tupleIJPjSE_EEENSF_IJSE_SE_EEES9_SG_JZNS1_25segmented_radix_sort_implINS0_14default_configELb0EPKiPiPKlPlN2at6native12_GLOBAL__N_18offset_tEEE10hipError_tPvRmT1_PNSt15iterator_traitsISY_E10value_typeET2_T3_PNSZ_IS14_E10value_typeET4_jRbjT5_S1A_jjP12ihipStream_tbEUljE_EEESV_SW_SX_S14_S18_S1A_T6_T7_T9_mT8_S1C_bDpT10_ENKUlT_T0_E_clISt17integral_constantIbLb0EES1O_IbLb1EEEEDaS1K_S1L_EUlS1K_E_NS1_11comp_targetILNS1_3genE10ELNS1_11target_archE1200ELNS1_3gpuE4ELNS1_3repE0EEENS1_30default_config_static_selectorELNS0_4arch9wavefront6targetE0EEEvSY_.kd
    .uniform_work_group_size: 1
    .uses_dynamic_stack: false
    .vgpr_count:     71
    .vgpr_spill_count: 0
    .wavefront_size: 32
    .workgroup_processor_mode: 1
  - .args:
      - .offset:         0
        .size:           152
        .value_kind:     by_value
    .group_segment_fixed_size: 0
    .kernarg_segment_align: 8
    .kernarg_segment_size: 152
    .language:       OpenCL C
    .language_version:
      - 2
      - 0
    .max_flat_workgroup_size: 256
    .name:           _ZN7rocprim17ROCPRIM_400000_NS6detail17trampoline_kernelINS0_13select_configILj256ELj13ELNS0_17block_load_methodE3ELS4_3ELS4_3ELNS0_20block_scan_algorithmE0ELj4294967295EEENS1_25partition_config_selectorILNS1_17partition_subalgoE3EjNS0_10empty_typeEbEEZZNS1_14partition_implILS8_3ELb0ES6_jNS0_17counting_iteratorIjlEEPS9_SE_NS0_5tupleIJPjSE_EEENSF_IJSE_SE_EEES9_SG_JZNS1_25segmented_radix_sort_implINS0_14default_configELb0EPKiPiPKlPlN2at6native12_GLOBAL__N_18offset_tEEE10hipError_tPvRmT1_PNSt15iterator_traitsISY_E10value_typeET2_T3_PNSZ_IS14_E10value_typeET4_jRbjT5_S1A_jjP12ihipStream_tbEUljE_EEESV_SW_SX_S14_S18_S1A_T6_T7_T9_mT8_S1C_bDpT10_ENKUlT_T0_E_clISt17integral_constantIbLb0EES1O_IbLb1EEEEDaS1K_S1L_EUlS1K_E_NS1_11comp_targetILNS1_3genE9ELNS1_11target_archE1100ELNS1_3gpuE3ELNS1_3repE0EEENS1_30default_config_static_selectorELNS0_4arch9wavefront6targetE0EEEvSY_
    .private_segment_fixed_size: 0
    .sgpr_count:     0
    .sgpr_spill_count: 0
    .symbol:         _ZN7rocprim17ROCPRIM_400000_NS6detail17trampoline_kernelINS0_13select_configILj256ELj13ELNS0_17block_load_methodE3ELS4_3ELS4_3ELNS0_20block_scan_algorithmE0ELj4294967295EEENS1_25partition_config_selectorILNS1_17partition_subalgoE3EjNS0_10empty_typeEbEEZZNS1_14partition_implILS8_3ELb0ES6_jNS0_17counting_iteratorIjlEEPS9_SE_NS0_5tupleIJPjSE_EEENSF_IJSE_SE_EEES9_SG_JZNS1_25segmented_radix_sort_implINS0_14default_configELb0EPKiPiPKlPlN2at6native12_GLOBAL__N_18offset_tEEE10hipError_tPvRmT1_PNSt15iterator_traitsISY_E10value_typeET2_T3_PNSZ_IS14_E10value_typeET4_jRbjT5_S1A_jjP12ihipStream_tbEUljE_EEESV_SW_SX_S14_S18_S1A_T6_T7_T9_mT8_S1C_bDpT10_ENKUlT_T0_E_clISt17integral_constantIbLb0EES1O_IbLb1EEEEDaS1K_S1L_EUlS1K_E_NS1_11comp_targetILNS1_3genE9ELNS1_11target_archE1100ELNS1_3gpuE3ELNS1_3repE0EEENS1_30default_config_static_selectorELNS0_4arch9wavefront6targetE0EEEvSY_.kd
    .uniform_work_group_size: 1
    .uses_dynamic_stack: false
    .vgpr_count:     0
    .vgpr_spill_count: 0
    .wavefront_size: 32
    .workgroup_processor_mode: 1
  - .args:
      - .offset:         0
        .size:           152
        .value_kind:     by_value
    .group_segment_fixed_size: 0
    .kernarg_segment_align: 8
    .kernarg_segment_size: 152
    .language:       OpenCL C
    .language_version:
      - 2
      - 0
    .max_flat_workgroup_size: 256
    .name:           _ZN7rocprim17ROCPRIM_400000_NS6detail17trampoline_kernelINS0_13select_configILj256ELj13ELNS0_17block_load_methodE3ELS4_3ELS4_3ELNS0_20block_scan_algorithmE0ELj4294967295EEENS1_25partition_config_selectorILNS1_17partition_subalgoE3EjNS0_10empty_typeEbEEZZNS1_14partition_implILS8_3ELb0ES6_jNS0_17counting_iteratorIjlEEPS9_SE_NS0_5tupleIJPjSE_EEENSF_IJSE_SE_EEES9_SG_JZNS1_25segmented_radix_sort_implINS0_14default_configELb0EPKiPiPKlPlN2at6native12_GLOBAL__N_18offset_tEEE10hipError_tPvRmT1_PNSt15iterator_traitsISY_E10value_typeET2_T3_PNSZ_IS14_E10value_typeET4_jRbjT5_S1A_jjP12ihipStream_tbEUljE_EEESV_SW_SX_S14_S18_S1A_T6_T7_T9_mT8_S1C_bDpT10_ENKUlT_T0_E_clISt17integral_constantIbLb0EES1O_IbLb1EEEEDaS1K_S1L_EUlS1K_E_NS1_11comp_targetILNS1_3genE8ELNS1_11target_archE1030ELNS1_3gpuE2ELNS1_3repE0EEENS1_30default_config_static_selectorELNS0_4arch9wavefront6targetE0EEEvSY_
    .private_segment_fixed_size: 0
    .sgpr_count:     0
    .sgpr_spill_count: 0
    .symbol:         _ZN7rocprim17ROCPRIM_400000_NS6detail17trampoline_kernelINS0_13select_configILj256ELj13ELNS0_17block_load_methodE3ELS4_3ELS4_3ELNS0_20block_scan_algorithmE0ELj4294967295EEENS1_25partition_config_selectorILNS1_17partition_subalgoE3EjNS0_10empty_typeEbEEZZNS1_14partition_implILS8_3ELb0ES6_jNS0_17counting_iteratorIjlEEPS9_SE_NS0_5tupleIJPjSE_EEENSF_IJSE_SE_EEES9_SG_JZNS1_25segmented_radix_sort_implINS0_14default_configELb0EPKiPiPKlPlN2at6native12_GLOBAL__N_18offset_tEEE10hipError_tPvRmT1_PNSt15iterator_traitsISY_E10value_typeET2_T3_PNSZ_IS14_E10value_typeET4_jRbjT5_S1A_jjP12ihipStream_tbEUljE_EEESV_SW_SX_S14_S18_S1A_T6_T7_T9_mT8_S1C_bDpT10_ENKUlT_T0_E_clISt17integral_constantIbLb0EES1O_IbLb1EEEEDaS1K_S1L_EUlS1K_E_NS1_11comp_targetILNS1_3genE8ELNS1_11target_archE1030ELNS1_3gpuE2ELNS1_3repE0EEENS1_30default_config_static_selectorELNS0_4arch9wavefront6targetE0EEEvSY_.kd
    .uniform_work_group_size: 1
    .uses_dynamic_stack: false
    .vgpr_count:     0
    .vgpr_spill_count: 0
    .wavefront_size: 32
    .workgroup_processor_mode: 1
  - .args:
      - .offset:         0
        .size:           96
        .value_kind:     by_value
    .group_segment_fixed_size: 0
    .kernarg_segment_align: 8
    .kernarg_segment_size: 96
    .language:       OpenCL C
    .language_version:
      - 2
      - 0
    .max_flat_workgroup_size: 256
    .name:           _ZN7rocprim17ROCPRIM_400000_NS6detail17trampoline_kernelINS0_14default_configENS1_36segmented_radix_sort_config_selectorIilEEZNS1_25segmented_radix_sort_implIS3_Lb0EPKiPiPKlPlN2at6native12_GLOBAL__N_18offset_tEEE10hipError_tPvRmT1_PNSt15iterator_traitsISK_E10value_typeET2_T3_PNSL_ISQ_E10value_typeET4_jRbjT5_SW_jjP12ihipStream_tbEUlT_E_NS1_11comp_targetILNS1_3genE0ELNS1_11target_archE4294967295ELNS1_3gpuE0ELNS1_3repE0EEENS1_30default_config_static_selectorELNS0_4arch9wavefront6targetE0EEEvSK_
    .private_segment_fixed_size: 0
    .sgpr_count:     0
    .sgpr_spill_count: 0
    .symbol:         _ZN7rocprim17ROCPRIM_400000_NS6detail17trampoline_kernelINS0_14default_configENS1_36segmented_radix_sort_config_selectorIilEEZNS1_25segmented_radix_sort_implIS3_Lb0EPKiPiPKlPlN2at6native12_GLOBAL__N_18offset_tEEE10hipError_tPvRmT1_PNSt15iterator_traitsISK_E10value_typeET2_T3_PNSL_ISQ_E10value_typeET4_jRbjT5_SW_jjP12ihipStream_tbEUlT_E_NS1_11comp_targetILNS1_3genE0ELNS1_11target_archE4294967295ELNS1_3gpuE0ELNS1_3repE0EEENS1_30default_config_static_selectorELNS0_4arch9wavefront6targetE0EEEvSK_.kd
    .uniform_work_group_size: 1
    .uses_dynamic_stack: false
    .vgpr_count:     0
    .vgpr_spill_count: 0
    .wavefront_size: 32
    .workgroup_processor_mode: 1
  - .args:
      - .offset:         0
        .size:           96
        .value_kind:     by_value
    .group_segment_fixed_size: 0
    .kernarg_segment_align: 8
    .kernarg_segment_size: 96
    .language:       OpenCL C
    .language_version:
      - 2
      - 0
    .max_flat_workgroup_size: 256
    .name:           _ZN7rocprim17ROCPRIM_400000_NS6detail17trampoline_kernelINS0_14default_configENS1_36segmented_radix_sort_config_selectorIilEEZNS1_25segmented_radix_sort_implIS3_Lb0EPKiPiPKlPlN2at6native12_GLOBAL__N_18offset_tEEE10hipError_tPvRmT1_PNSt15iterator_traitsISK_E10value_typeET2_T3_PNSL_ISQ_E10value_typeET4_jRbjT5_SW_jjP12ihipStream_tbEUlT_E_NS1_11comp_targetILNS1_3genE5ELNS1_11target_archE942ELNS1_3gpuE9ELNS1_3repE0EEENS1_30default_config_static_selectorELNS0_4arch9wavefront6targetE0EEEvSK_
    .private_segment_fixed_size: 0
    .sgpr_count:     0
    .sgpr_spill_count: 0
    .symbol:         _ZN7rocprim17ROCPRIM_400000_NS6detail17trampoline_kernelINS0_14default_configENS1_36segmented_radix_sort_config_selectorIilEEZNS1_25segmented_radix_sort_implIS3_Lb0EPKiPiPKlPlN2at6native12_GLOBAL__N_18offset_tEEE10hipError_tPvRmT1_PNSt15iterator_traitsISK_E10value_typeET2_T3_PNSL_ISQ_E10value_typeET4_jRbjT5_SW_jjP12ihipStream_tbEUlT_E_NS1_11comp_targetILNS1_3genE5ELNS1_11target_archE942ELNS1_3gpuE9ELNS1_3repE0EEENS1_30default_config_static_selectorELNS0_4arch9wavefront6targetE0EEEvSK_.kd
    .uniform_work_group_size: 1
    .uses_dynamic_stack: false
    .vgpr_count:     0
    .vgpr_spill_count: 0
    .wavefront_size: 32
    .workgroup_processor_mode: 1
  - .args:
      - .offset:         0
        .size:           96
        .value_kind:     by_value
    .group_segment_fixed_size: 0
    .kernarg_segment_align: 8
    .kernarg_segment_size: 96
    .language:       OpenCL C
    .language_version:
      - 2
      - 0
    .max_flat_workgroup_size: 256
    .name:           _ZN7rocprim17ROCPRIM_400000_NS6detail17trampoline_kernelINS0_14default_configENS1_36segmented_radix_sort_config_selectorIilEEZNS1_25segmented_radix_sort_implIS3_Lb0EPKiPiPKlPlN2at6native12_GLOBAL__N_18offset_tEEE10hipError_tPvRmT1_PNSt15iterator_traitsISK_E10value_typeET2_T3_PNSL_ISQ_E10value_typeET4_jRbjT5_SW_jjP12ihipStream_tbEUlT_E_NS1_11comp_targetILNS1_3genE4ELNS1_11target_archE910ELNS1_3gpuE8ELNS1_3repE0EEENS1_30default_config_static_selectorELNS0_4arch9wavefront6targetE0EEEvSK_
    .private_segment_fixed_size: 0
    .sgpr_count:     0
    .sgpr_spill_count: 0
    .symbol:         _ZN7rocprim17ROCPRIM_400000_NS6detail17trampoline_kernelINS0_14default_configENS1_36segmented_radix_sort_config_selectorIilEEZNS1_25segmented_radix_sort_implIS3_Lb0EPKiPiPKlPlN2at6native12_GLOBAL__N_18offset_tEEE10hipError_tPvRmT1_PNSt15iterator_traitsISK_E10value_typeET2_T3_PNSL_ISQ_E10value_typeET4_jRbjT5_SW_jjP12ihipStream_tbEUlT_E_NS1_11comp_targetILNS1_3genE4ELNS1_11target_archE910ELNS1_3gpuE8ELNS1_3repE0EEENS1_30default_config_static_selectorELNS0_4arch9wavefront6targetE0EEEvSK_.kd
    .uniform_work_group_size: 1
    .uses_dynamic_stack: false
    .vgpr_count:     0
    .vgpr_spill_count: 0
    .wavefront_size: 32
    .workgroup_processor_mode: 1
  - .args:
      - .offset:         0
        .size:           96
        .value_kind:     by_value
    .group_segment_fixed_size: 0
    .kernarg_segment_align: 8
    .kernarg_segment_size: 96
    .language:       OpenCL C
    .language_version:
      - 2
      - 0
    .max_flat_workgroup_size: 256
    .name:           _ZN7rocprim17ROCPRIM_400000_NS6detail17trampoline_kernelINS0_14default_configENS1_36segmented_radix_sort_config_selectorIilEEZNS1_25segmented_radix_sort_implIS3_Lb0EPKiPiPKlPlN2at6native12_GLOBAL__N_18offset_tEEE10hipError_tPvRmT1_PNSt15iterator_traitsISK_E10value_typeET2_T3_PNSL_ISQ_E10value_typeET4_jRbjT5_SW_jjP12ihipStream_tbEUlT_E_NS1_11comp_targetILNS1_3genE3ELNS1_11target_archE908ELNS1_3gpuE7ELNS1_3repE0EEENS1_30default_config_static_selectorELNS0_4arch9wavefront6targetE0EEEvSK_
    .private_segment_fixed_size: 0
    .sgpr_count:     0
    .sgpr_spill_count: 0
    .symbol:         _ZN7rocprim17ROCPRIM_400000_NS6detail17trampoline_kernelINS0_14default_configENS1_36segmented_radix_sort_config_selectorIilEEZNS1_25segmented_radix_sort_implIS3_Lb0EPKiPiPKlPlN2at6native12_GLOBAL__N_18offset_tEEE10hipError_tPvRmT1_PNSt15iterator_traitsISK_E10value_typeET2_T3_PNSL_ISQ_E10value_typeET4_jRbjT5_SW_jjP12ihipStream_tbEUlT_E_NS1_11comp_targetILNS1_3genE3ELNS1_11target_archE908ELNS1_3gpuE7ELNS1_3repE0EEENS1_30default_config_static_selectorELNS0_4arch9wavefront6targetE0EEEvSK_.kd
    .uniform_work_group_size: 1
    .uses_dynamic_stack: false
    .vgpr_count:     0
    .vgpr_spill_count: 0
    .wavefront_size: 32
    .workgroup_processor_mode: 1
  - .args:
      - .offset:         0
        .size:           96
        .value_kind:     by_value
    .group_segment_fixed_size: 0
    .kernarg_segment_align: 8
    .kernarg_segment_size: 96
    .language:       OpenCL C
    .language_version:
      - 2
      - 0
    .max_flat_workgroup_size: 256
    .name:           _ZN7rocprim17ROCPRIM_400000_NS6detail17trampoline_kernelINS0_14default_configENS1_36segmented_radix_sort_config_selectorIilEEZNS1_25segmented_radix_sort_implIS3_Lb0EPKiPiPKlPlN2at6native12_GLOBAL__N_18offset_tEEE10hipError_tPvRmT1_PNSt15iterator_traitsISK_E10value_typeET2_T3_PNSL_ISQ_E10value_typeET4_jRbjT5_SW_jjP12ihipStream_tbEUlT_E_NS1_11comp_targetILNS1_3genE2ELNS1_11target_archE906ELNS1_3gpuE6ELNS1_3repE0EEENS1_30default_config_static_selectorELNS0_4arch9wavefront6targetE0EEEvSK_
    .private_segment_fixed_size: 0
    .sgpr_count:     0
    .sgpr_spill_count: 0
    .symbol:         _ZN7rocprim17ROCPRIM_400000_NS6detail17trampoline_kernelINS0_14default_configENS1_36segmented_radix_sort_config_selectorIilEEZNS1_25segmented_radix_sort_implIS3_Lb0EPKiPiPKlPlN2at6native12_GLOBAL__N_18offset_tEEE10hipError_tPvRmT1_PNSt15iterator_traitsISK_E10value_typeET2_T3_PNSL_ISQ_E10value_typeET4_jRbjT5_SW_jjP12ihipStream_tbEUlT_E_NS1_11comp_targetILNS1_3genE2ELNS1_11target_archE906ELNS1_3gpuE6ELNS1_3repE0EEENS1_30default_config_static_selectorELNS0_4arch9wavefront6targetE0EEEvSK_.kd
    .uniform_work_group_size: 1
    .uses_dynamic_stack: false
    .vgpr_count:     0
    .vgpr_spill_count: 0
    .wavefront_size: 32
    .workgroup_processor_mode: 1
  - .args:
      - .offset:         0
        .size:           96
        .value_kind:     by_value
      - .offset:         96
        .size:           4
        .value_kind:     hidden_block_count_x
      - .offset:         100
        .size:           4
        .value_kind:     hidden_block_count_y
      - .offset:         104
        .size:           4
        .value_kind:     hidden_block_count_z
      - .offset:         108
        .size:           2
        .value_kind:     hidden_group_size_x
      - .offset:         110
        .size:           2
        .value_kind:     hidden_group_size_y
      - .offset:         112
        .size:           2
        .value_kind:     hidden_group_size_z
      - .offset:         114
        .size:           2
        .value_kind:     hidden_remainder_x
      - .offset:         116
        .size:           2
        .value_kind:     hidden_remainder_y
      - .offset:         118
        .size:           2
        .value_kind:     hidden_remainder_z
      - .offset:         136
        .size:           8
        .value_kind:     hidden_global_offset_x
      - .offset:         144
        .size:           8
        .value_kind:     hidden_global_offset_y
      - .offset:         152
        .size:           8
        .value_kind:     hidden_global_offset_z
      - .offset:         160
        .size:           2
        .value_kind:     hidden_grid_dims
    .group_segment_fixed_size: 33824
    .kernarg_segment_align: 8
    .kernarg_segment_size: 352
    .language:       OpenCL C
    .language_version:
      - 2
      - 0
    .max_flat_workgroup_size: 256
    .name:           _ZN7rocprim17ROCPRIM_400000_NS6detail17trampoline_kernelINS0_14default_configENS1_36segmented_radix_sort_config_selectorIilEEZNS1_25segmented_radix_sort_implIS3_Lb0EPKiPiPKlPlN2at6native12_GLOBAL__N_18offset_tEEE10hipError_tPvRmT1_PNSt15iterator_traitsISK_E10value_typeET2_T3_PNSL_ISQ_E10value_typeET4_jRbjT5_SW_jjP12ihipStream_tbEUlT_E_NS1_11comp_targetILNS1_3genE10ELNS1_11target_archE1201ELNS1_3gpuE5ELNS1_3repE0EEENS1_30default_config_static_selectorELNS0_4arch9wavefront6targetE0EEEvSK_
    .private_segment_fixed_size: 100
    .sgpr_count:     60
    .sgpr_spill_count: 0
    .symbol:         _ZN7rocprim17ROCPRIM_400000_NS6detail17trampoline_kernelINS0_14default_configENS1_36segmented_radix_sort_config_selectorIilEEZNS1_25segmented_radix_sort_implIS3_Lb0EPKiPiPKlPlN2at6native12_GLOBAL__N_18offset_tEEE10hipError_tPvRmT1_PNSt15iterator_traitsISK_E10value_typeET2_T3_PNSL_ISQ_E10value_typeET4_jRbjT5_SW_jjP12ihipStream_tbEUlT_E_NS1_11comp_targetILNS1_3genE10ELNS1_11target_archE1201ELNS1_3gpuE5ELNS1_3repE0EEENS1_30default_config_static_selectorELNS0_4arch9wavefront6targetE0EEEvSK_.kd
    .uniform_work_group_size: 1
    .uses_dynamic_stack: false
    .vgpr_count:     248
    .vgpr_spill_count: 0
    .wavefront_size: 32
    .workgroup_processor_mode: 1
  - .args:
      - .offset:         0
        .size:           96
        .value_kind:     by_value
    .group_segment_fixed_size: 0
    .kernarg_segment_align: 8
    .kernarg_segment_size: 96
    .language:       OpenCL C
    .language_version:
      - 2
      - 0
    .max_flat_workgroup_size: 128
    .name:           _ZN7rocprim17ROCPRIM_400000_NS6detail17trampoline_kernelINS0_14default_configENS1_36segmented_radix_sort_config_selectorIilEEZNS1_25segmented_radix_sort_implIS3_Lb0EPKiPiPKlPlN2at6native12_GLOBAL__N_18offset_tEEE10hipError_tPvRmT1_PNSt15iterator_traitsISK_E10value_typeET2_T3_PNSL_ISQ_E10value_typeET4_jRbjT5_SW_jjP12ihipStream_tbEUlT_E_NS1_11comp_targetILNS1_3genE10ELNS1_11target_archE1200ELNS1_3gpuE4ELNS1_3repE0EEENS1_30default_config_static_selectorELNS0_4arch9wavefront6targetE0EEEvSK_
    .private_segment_fixed_size: 0
    .sgpr_count:     0
    .sgpr_spill_count: 0
    .symbol:         _ZN7rocprim17ROCPRIM_400000_NS6detail17trampoline_kernelINS0_14default_configENS1_36segmented_radix_sort_config_selectorIilEEZNS1_25segmented_radix_sort_implIS3_Lb0EPKiPiPKlPlN2at6native12_GLOBAL__N_18offset_tEEE10hipError_tPvRmT1_PNSt15iterator_traitsISK_E10value_typeET2_T3_PNSL_ISQ_E10value_typeET4_jRbjT5_SW_jjP12ihipStream_tbEUlT_E_NS1_11comp_targetILNS1_3genE10ELNS1_11target_archE1200ELNS1_3gpuE4ELNS1_3repE0EEENS1_30default_config_static_selectorELNS0_4arch9wavefront6targetE0EEEvSK_.kd
    .uniform_work_group_size: 1
    .uses_dynamic_stack: false
    .vgpr_count:     0
    .vgpr_spill_count: 0
    .wavefront_size: 32
    .workgroup_processor_mode: 1
  - .args:
      - .offset:         0
        .size:           96
        .value_kind:     by_value
    .group_segment_fixed_size: 0
    .kernarg_segment_align: 8
    .kernarg_segment_size: 96
    .language:       OpenCL C
    .language_version:
      - 2
      - 0
    .max_flat_workgroup_size: 256
    .name:           _ZN7rocprim17ROCPRIM_400000_NS6detail17trampoline_kernelINS0_14default_configENS1_36segmented_radix_sort_config_selectorIilEEZNS1_25segmented_radix_sort_implIS3_Lb0EPKiPiPKlPlN2at6native12_GLOBAL__N_18offset_tEEE10hipError_tPvRmT1_PNSt15iterator_traitsISK_E10value_typeET2_T3_PNSL_ISQ_E10value_typeET4_jRbjT5_SW_jjP12ihipStream_tbEUlT_E_NS1_11comp_targetILNS1_3genE9ELNS1_11target_archE1100ELNS1_3gpuE3ELNS1_3repE0EEENS1_30default_config_static_selectorELNS0_4arch9wavefront6targetE0EEEvSK_
    .private_segment_fixed_size: 0
    .sgpr_count:     0
    .sgpr_spill_count: 0
    .symbol:         _ZN7rocprim17ROCPRIM_400000_NS6detail17trampoline_kernelINS0_14default_configENS1_36segmented_radix_sort_config_selectorIilEEZNS1_25segmented_radix_sort_implIS3_Lb0EPKiPiPKlPlN2at6native12_GLOBAL__N_18offset_tEEE10hipError_tPvRmT1_PNSt15iterator_traitsISK_E10value_typeET2_T3_PNSL_ISQ_E10value_typeET4_jRbjT5_SW_jjP12ihipStream_tbEUlT_E_NS1_11comp_targetILNS1_3genE9ELNS1_11target_archE1100ELNS1_3gpuE3ELNS1_3repE0EEENS1_30default_config_static_selectorELNS0_4arch9wavefront6targetE0EEEvSK_.kd
    .uniform_work_group_size: 1
    .uses_dynamic_stack: false
    .vgpr_count:     0
    .vgpr_spill_count: 0
    .wavefront_size: 32
    .workgroup_processor_mode: 1
  - .args:
      - .offset:         0
        .size:           96
        .value_kind:     by_value
    .group_segment_fixed_size: 0
    .kernarg_segment_align: 8
    .kernarg_segment_size: 96
    .language:       OpenCL C
    .language_version:
      - 2
      - 0
    .max_flat_workgroup_size: 256
    .name:           _ZN7rocprim17ROCPRIM_400000_NS6detail17trampoline_kernelINS0_14default_configENS1_36segmented_radix_sort_config_selectorIilEEZNS1_25segmented_radix_sort_implIS3_Lb0EPKiPiPKlPlN2at6native12_GLOBAL__N_18offset_tEEE10hipError_tPvRmT1_PNSt15iterator_traitsISK_E10value_typeET2_T3_PNSL_ISQ_E10value_typeET4_jRbjT5_SW_jjP12ihipStream_tbEUlT_E_NS1_11comp_targetILNS1_3genE8ELNS1_11target_archE1030ELNS1_3gpuE2ELNS1_3repE0EEENS1_30default_config_static_selectorELNS0_4arch9wavefront6targetE0EEEvSK_
    .private_segment_fixed_size: 0
    .sgpr_count:     0
    .sgpr_spill_count: 0
    .symbol:         _ZN7rocprim17ROCPRIM_400000_NS6detail17trampoline_kernelINS0_14default_configENS1_36segmented_radix_sort_config_selectorIilEEZNS1_25segmented_radix_sort_implIS3_Lb0EPKiPiPKlPlN2at6native12_GLOBAL__N_18offset_tEEE10hipError_tPvRmT1_PNSt15iterator_traitsISK_E10value_typeET2_T3_PNSL_ISQ_E10value_typeET4_jRbjT5_SW_jjP12ihipStream_tbEUlT_E_NS1_11comp_targetILNS1_3genE8ELNS1_11target_archE1030ELNS1_3gpuE2ELNS1_3repE0EEENS1_30default_config_static_selectorELNS0_4arch9wavefront6targetE0EEEvSK_.kd
    .uniform_work_group_size: 1
    .uses_dynamic_stack: false
    .vgpr_count:     0
    .vgpr_spill_count: 0
    .wavefront_size: 32
    .workgroup_processor_mode: 1
  - .args:
      - .offset:         0
        .size:           88
        .value_kind:     by_value
    .group_segment_fixed_size: 0
    .kernarg_segment_align: 8
    .kernarg_segment_size: 88
    .language:       OpenCL C
    .language_version:
      - 2
      - 0
    .max_flat_workgroup_size: 256
    .name:           _ZN7rocprim17ROCPRIM_400000_NS6detail17trampoline_kernelINS0_14default_configENS1_36segmented_radix_sort_config_selectorIilEEZNS1_25segmented_radix_sort_implIS3_Lb0EPKiPiPKlPlN2at6native12_GLOBAL__N_18offset_tEEE10hipError_tPvRmT1_PNSt15iterator_traitsISK_E10value_typeET2_T3_PNSL_ISQ_E10value_typeET4_jRbjT5_SW_jjP12ihipStream_tbEUlT_E0_NS1_11comp_targetILNS1_3genE0ELNS1_11target_archE4294967295ELNS1_3gpuE0ELNS1_3repE0EEENS1_60segmented_radix_sort_warp_sort_medium_config_static_selectorELNS0_4arch9wavefront6targetE0EEEvSK_
    .private_segment_fixed_size: 0
    .sgpr_count:     0
    .sgpr_spill_count: 0
    .symbol:         _ZN7rocprim17ROCPRIM_400000_NS6detail17trampoline_kernelINS0_14default_configENS1_36segmented_radix_sort_config_selectorIilEEZNS1_25segmented_radix_sort_implIS3_Lb0EPKiPiPKlPlN2at6native12_GLOBAL__N_18offset_tEEE10hipError_tPvRmT1_PNSt15iterator_traitsISK_E10value_typeET2_T3_PNSL_ISQ_E10value_typeET4_jRbjT5_SW_jjP12ihipStream_tbEUlT_E0_NS1_11comp_targetILNS1_3genE0ELNS1_11target_archE4294967295ELNS1_3gpuE0ELNS1_3repE0EEENS1_60segmented_radix_sort_warp_sort_medium_config_static_selectorELNS0_4arch9wavefront6targetE0EEEvSK_.kd
    .uniform_work_group_size: 1
    .uses_dynamic_stack: false
    .vgpr_count:     0
    .vgpr_spill_count: 0
    .wavefront_size: 32
    .workgroup_processor_mode: 1
  - .args:
      - .offset:         0
        .size:           88
        .value_kind:     by_value
    .group_segment_fixed_size: 0
    .kernarg_segment_align: 8
    .kernarg_segment_size: 88
    .language:       OpenCL C
    .language_version:
      - 2
      - 0
    .max_flat_workgroup_size: 256
    .name:           _ZN7rocprim17ROCPRIM_400000_NS6detail17trampoline_kernelINS0_14default_configENS1_36segmented_radix_sort_config_selectorIilEEZNS1_25segmented_radix_sort_implIS3_Lb0EPKiPiPKlPlN2at6native12_GLOBAL__N_18offset_tEEE10hipError_tPvRmT1_PNSt15iterator_traitsISK_E10value_typeET2_T3_PNSL_ISQ_E10value_typeET4_jRbjT5_SW_jjP12ihipStream_tbEUlT_E0_NS1_11comp_targetILNS1_3genE5ELNS1_11target_archE942ELNS1_3gpuE9ELNS1_3repE0EEENS1_60segmented_radix_sort_warp_sort_medium_config_static_selectorELNS0_4arch9wavefront6targetE0EEEvSK_
    .private_segment_fixed_size: 0
    .sgpr_count:     0
    .sgpr_spill_count: 0
    .symbol:         _ZN7rocprim17ROCPRIM_400000_NS6detail17trampoline_kernelINS0_14default_configENS1_36segmented_radix_sort_config_selectorIilEEZNS1_25segmented_radix_sort_implIS3_Lb0EPKiPiPKlPlN2at6native12_GLOBAL__N_18offset_tEEE10hipError_tPvRmT1_PNSt15iterator_traitsISK_E10value_typeET2_T3_PNSL_ISQ_E10value_typeET4_jRbjT5_SW_jjP12ihipStream_tbEUlT_E0_NS1_11comp_targetILNS1_3genE5ELNS1_11target_archE942ELNS1_3gpuE9ELNS1_3repE0EEENS1_60segmented_radix_sort_warp_sort_medium_config_static_selectorELNS0_4arch9wavefront6targetE0EEEvSK_.kd
    .uniform_work_group_size: 1
    .uses_dynamic_stack: false
    .vgpr_count:     0
    .vgpr_spill_count: 0
    .wavefront_size: 32
    .workgroup_processor_mode: 1
  - .args:
      - .offset:         0
        .size:           88
        .value_kind:     by_value
    .group_segment_fixed_size: 0
    .kernarg_segment_align: 8
    .kernarg_segment_size: 88
    .language:       OpenCL C
    .language_version:
      - 2
      - 0
    .max_flat_workgroup_size: 256
    .name:           _ZN7rocprim17ROCPRIM_400000_NS6detail17trampoline_kernelINS0_14default_configENS1_36segmented_radix_sort_config_selectorIilEEZNS1_25segmented_radix_sort_implIS3_Lb0EPKiPiPKlPlN2at6native12_GLOBAL__N_18offset_tEEE10hipError_tPvRmT1_PNSt15iterator_traitsISK_E10value_typeET2_T3_PNSL_ISQ_E10value_typeET4_jRbjT5_SW_jjP12ihipStream_tbEUlT_E0_NS1_11comp_targetILNS1_3genE4ELNS1_11target_archE910ELNS1_3gpuE8ELNS1_3repE0EEENS1_60segmented_radix_sort_warp_sort_medium_config_static_selectorELNS0_4arch9wavefront6targetE0EEEvSK_
    .private_segment_fixed_size: 0
    .sgpr_count:     0
    .sgpr_spill_count: 0
    .symbol:         _ZN7rocprim17ROCPRIM_400000_NS6detail17trampoline_kernelINS0_14default_configENS1_36segmented_radix_sort_config_selectorIilEEZNS1_25segmented_radix_sort_implIS3_Lb0EPKiPiPKlPlN2at6native12_GLOBAL__N_18offset_tEEE10hipError_tPvRmT1_PNSt15iterator_traitsISK_E10value_typeET2_T3_PNSL_ISQ_E10value_typeET4_jRbjT5_SW_jjP12ihipStream_tbEUlT_E0_NS1_11comp_targetILNS1_3genE4ELNS1_11target_archE910ELNS1_3gpuE8ELNS1_3repE0EEENS1_60segmented_radix_sort_warp_sort_medium_config_static_selectorELNS0_4arch9wavefront6targetE0EEEvSK_.kd
    .uniform_work_group_size: 1
    .uses_dynamic_stack: false
    .vgpr_count:     0
    .vgpr_spill_count: 0
    .wavefront_size: 32
    .workgroup_processor_mode: 1
  - .args:
      - .offset:         0
        .size:           88
        .value_kind:     by_value
    .group_segment_fixed_size: 0
    .kernarg_segment_align: 8
    .kernarg_segment_size: 88
    .language:       OpenCL C
    .language_version:
      - 2
      - 0
    .max_flat_workgroup_size: 256
    .name:           _ZN7rocprim17ROCPRIM_400000_NS6detail17trampoline_kernelINS0_14default_configENS1_36segmented_radix_sort_config_selectorIilEEZNS1_25segmented_radix_sort_implIS3_Lb0EPKiPiPKlPlN2at6native12_GLOBAL__N_18offset_tEEE10hipError_tPvRmT1_PNSt15iterator_traitsISK_E10value_typeET2_T3_PNSL_ISQ_E10value_typeET4_jRbjT5_SW_jjP12ihipStream_tbEUlT_E0_NS1_11comp_targetILNS1_3genE3ELNS1_11target_archE908ELNS1_3gpuE7ELNS1_3repE0EEENS1_60segmented_radix_sort_warp_sort_medium_config_static_selectorELNS0_4arch9wavefront6targetE0EEEvSK_
    .private_segment_fixed_size: 0
    .sgpr_count:     0
    .sgpr_spill_count: 0
    .symbol:         _ZN7rocprim17ROCPRIM_400000_NS6detail17trampoline_kernelINS0_14default_configENS1_36segmented_radix_sort_config_selectorIilEEZNS1_25segmented_radix_sort_implIS3_Lb0EPKiPiPKlPlN2at6native12_GLOBAL__N_18offset_tEEE10hipError_tPvRmT1_PNSt15iterator_traitsISK_E10value_typeET2_T3_PNSL_ISQ_E10value_typeET4_jRbjT5_SW_jjP12ihipStream_tbEUlT_E0_NS1_11comp_targetILNS1_3genE3ELNS1_11target_archE908ELNS1_3gpuE7ELNS1_3repE0EEENS1_60segmented_radix_sort_warp_sort_medium_config_static_selectorELNS0_4arch9wavefront6targetE0EEEvSK_.kd
    .uniform_work_group_size: 1
    .uses_dynamic_stack: false
    .vgpr_count:     0
    .vgpr_spill_count: 0
    .wavefront_size: 32
    .workgroup_processor_mode: 1
  - .args:
      - .offset:         0
        .size:           88
        .value_kind:     by_value
    .group_segment_fixed_size: 0
    .kernarg_segment_align: 8
    .kernarg_segment_size: 88
    .language:       OpenCL C
    .language_version:
      - 2
      - 0
    .max_flat_workgroup_size: 256
    .name:           _ZN7rocprim17ROCPRIM_400000_NS6detail17trampoline_kernelINS0_14default_configENS1_36segmented_radix_sort_config_selectorIilEEZNS1_25segmented_radix_sort_implIS3_Lb0EPKiPiPKlPlN2at6native12_GLOBAL__N_18offset_tEEE10hipError_tPvRmT1_PNSt15iterator_traitsISK_E10value_typeET2_T3_PNSL_ISQ_E10value_typeET4_jRbjT5_SW_jjP12ihipStream_tbEUlT_E0_NS1_11comp_targetILNS1_3genE2ELNS1_11target_archE906ELNS1_3gpuE6ELNS1_3repE0EEENS1_60segmented_radix_sort_warp_sort_medium_config_static_selectorELNS0_4arch9wavefront6targetE0EEEvSK_
    .private_segment_fixed_size: 0
    .sgpr_count:     0
    .sgpr_spill_count: 0
    .symbol:         _ZN7rocprim17ROCPRIM_400000_NS6detail17trampoline_kernelINS0_14default_configENS1_36segmented_radix_sort_config_selectorIilEEZNS1_25segmented_radix_sort_implIS3_Lb0EPKiPiPKlPlN2at6native12_GLOBAL__N_18offset_tEEE10hipError_tPvRmT1_PNSt15iterator_traitsISK_E10value_typeET2_T3_PNSL_ISQ_E10value_typeET4_jRbjT5_SW_jjP12ihipStream_tbEUlT_E0_NS1_11comp_targetILNS1_3genE2ELNS1_11target_archE906ELNS1_3gpuE6ELNS1_3repE0EEENS1_60segmented_radix_sort_warp_sort_medium_config_static_selectorELNS0_4arch9wavefront6targetE0EEEvSK_.kd
    .uniform_work_group_size: 1
    .uses_dynamic_stack: false
    .vgpr_count:     0
    .vgpr_spill_count: 0
    .wavefront_size: 32
    .workgroup_processor_mode: 1
  - .args:
      - .offset:         0
        .size:           88
        .value_kind:     by_value
      - .offset:         88
        .size:           4
        .value_kind:     hidden_block_count_x
      - .offset:         92
        .size:           4
        .value_kind:     hidden_block_count_y
      - .offset:         96
        .size:           4
        .value_kind:     hidden_block_count_z
      - .offset:         100
        .size:           2
        .value_kind:     hidden_group_size_x
      - .offset:         102
        .size:           2
        .value_kind:     hidden_group_size_y
      - .offset:         104
        .size:           2
        .value_kind:     hidden_group_size_z
      - .offset:         106
        .size:           2
        .value_kind:     hidden_remainder_x
      - .offset:         108
        .size:           2
        .value_kind:     hidden_remainder_y
      - .offset:         110
        .size:           2
        .value_kind:     hidden_remainder_z
      - .offset:         128
        .size:           8
        .value_kind:     hidden_global_offset_x
      - .offset:         136
        .size:           8
        .value_kind:     hidden_global_offset_y
      - .offset:         144
        .size:           8
        .value_kind:     hidden_global_offset_z
      - .offset:         152
        .size:           2
        .value_kind:     hidden_grid_dims
    .group_segment_fixed_size: 24576
    .kernarg_segment_align: 8
    .kernarg_segment_size: 344
    .language:       OpenCL C
    .language_version:
      - 2
      - 0
    .max_flat_workgroup_size: 256
    .name:           _ZN7rocprim17ROCPRIM_400000_NS6detail17trampoline_kernelINS0_14default_configENS1_36segmented_radix_sort_config_selectorIilEEZNS1_25segmented_radix_sort_implIS3_Lb0EPKiPiPKlPlN2at6native12_GLOBAL__N_18offset_tEEE10hipError_tPvRmT1_PNSt15iterator_traitsISK_E10value_typeET2_T3_PNSL_ISQ_E10value_typeET4_jRbjT5_SW_jjP12ihipStream_tbEUlT_E0_NS1_11comp_targetILNS1_3genE10ELNS1_11target_archE1201ELNS1_3gpuE5ELNS1_3repE0EEENS1_60segmented_radix_sort_warp_sort_medium_config_static_selectorELNS0_4arch9wavefront6targetE0EEEvSK_
    .private_segment_fixed_size: 0
    .sgpr_count:     46
    .sgpr_spill_count: 0
    .symbol:         _ZN7rocprim17ROCPRIM_400000_NS6detail17trampoline_kernelINS0_14default_configENS1_36segmented_radix_sort_config_selectorIilEEZNS1_25segmented_radix_sort_implIS3_Lb0EPKiPiPKlPlN2at6native12_GLOBAL__N_18offset_tEEE10hipError_tPvRmT1_PNSt15iterator_traitsISK_E10value_typeET2_T3_PNSL_ISQ_E10value_typeET4_jRbjT5_SW_jjP12ihipStream_tbEUlT_E0_NS1_11comp_targetILNS1_3genE10ELNS1_11target_archE1201ELNS1_3gpuE5ELNS1_3repE0EEENS1_60segmented_radix_sort_warp_sort_medium_config_static_selectorELNS0_4arch9wavefront6targetE0EEEvSK_.kd
    .uniform_work_group_size: 1
    .uses_dynamic_stack: false
    .vgpr_count:     81
    .vgpr_spill_count: 0
    .wavefront_size: 32
    .workgroup_processor_mode: 1
  - .args:
      - .offset:         0
        .size:           88
        .value_kind:     by_value
    .group_segment_fixed_size: 0
    .kernarg_segment_align: 8
    .kernarg_segment_size: 88
    .language:       OpenCL C
    .language_version:
      - 2
      - 0
    .max_flat_workgroup_size: 256
    .name:           _ZN7rocprim17ROCPRIM_400000_NS6detail17trampoline_kernelINS0_14default_configENS1_36segmented_radix_sort_config_selectorIilEEZNS1_25segmented_radix_sort_implIS3_Lb0EPKiPiPKlPlN2at6native12_GLOBAL__N_18offset_tEEE10hipError_tPvRmT1_PNSt15iterator_traitsISK_E10value_typeET2_T3_PNSL_ISQ_E10value_typeET4_jRbjT5_SW_jjP12ihipStream_tbEUlT_E0_NS1_11comp_targetILNS1_3genE10ELNS1_11target_archE1200ELNS1_3gpuE4ELNS1_3repE0EEENS1_60segmented_radix_sort_warp_sort_medium_config_static_selectorELNS0_4arch9wavefront6targetE0EEEvSK_
    .private_segment_fixed_size: 0
    .sgpr_count:     0
    .sgpr_spill_count: 0
    .symbol:         _ZN7rocprim17ROCPRIM_400000_NS6detail17trampoline_kernelINS0_14default_configENS1_36segmented_radix_sort_config_selectorIilEEZNS1_25segmented_radix_sort_implIS3_Lb0EPKiPiPKlPlN2at6native12_GLOBAL__N_18offset_tEEE10hipError_tPvRmT1_PNSt15iterator_traitsISK_E10value_typeET2_T3_PNSL_ISQ_E10value_typeET4_jRbjT5_SW_jjP12ihipStream_tbEUlT_E0_NS1_11comp_targetILNS1_3genE10ELNS1_11target_archE1200ELNS1_3gpuE4ELNS1_3repE0EEENS1_60segmented_radix_sort_warp_sort_medium_config_static_selectorELNS0_4arch9wavefront6targetE0EEEvSK_.kd
    .uniform_work_group_size: 1
    .uses_dynamic_stack: false
    .vgpr_count:     0
    .vgpr_spill_count: 0
    .wavefront_size: 32
    .workgroup_processor_mode: 1
  - .args:
      - .offset:         0
        .size:           88
        .value_kind:     by_value
    .group_segment_fixed_size: 0
    .kernarg_segment_align: 8
    .kernarg_segment_size: 88
    .language:       OpenCL C
    .language_version:
      - 2
      - 0
    .max_flat_workgroup_size: 256
    .name:           _ZN7rocprim17ROCPRIM_400000_NS6detail17trampoline_kernelINS0_14default_configENS1_36segmented_radix_sort_config_selectorIilEEZNS1_25segmented_radix_sort_implIS3_Lb0EPKiPiPKlPlN2at6native12_GLOBAL__N_18offset_tEEE10hipError_tPvRmT1_PNSt15iterator_traitsISK_E10value_typeET2_T3_PNSL_ISQ_E10value_typeET4_jRbjT5_SW_jjP12ihipStream_tbEUlT_E0_NS1_11comp_targetILNS1_3genE9ELNS1_11target_archE1100ELNS1_3gpuE3ELNS1_3repE0EEENS1_60segmented_radix_sort_warp_sort_medium_config_static_selectorELNS0_4arch9wavefront6targetE0EEEvSK_
    .private_segment_fixed_size: 0
    .sgpr_count:     0
    .sgpr_spill_count: 0
    .symbol:         _ZN7rocprim17ROCPRIM_400000_NS6detail17trampoline_kernelINS0_14default_configENS1_36segmented_radix_sort_config_selectorIilEEZNS1_25segmented_radix_sort_implIS3_Lb0EPKiPiPKlPlN2at6native12_GLOBAL__N_18offset_tEEE10hipError_tPvRmT1_PNSt15iterator_traitsISK_E10value_typeET2_T3_PNSL_ISQ_E10value_typeET4_jRbjT5_SW_jjP12ihipStream_tbEUlT_E0_NS1_11comp_targetILNS1_3genE9ELNS1_11target_archE1100ELNS1_3gpuE3ELNS1_3repE0EEENS1_60segmented_radix_sort_warp_sort_medium_config_static_selectorELNS0_4arch9wavefront6targetE0EEEvSK_.kd
    .uniform_work_group_size: 1
    .uses_dynamic_stack: false
    .vgpr_count:     0
    .vgpr_spill_count: 0
    .wavefront_size: 32
    .workgroup_processor_mode: 1
  - .args:
      - .offset:         0
        .size:           88
        .value_kind:     by_value
    .group_segment_fixed_size: 0
    .kernarg_segment_align: 8
    .kernarg_segment_size: 88
    .language:       OpenCL C
    .language_version:
      - 2
      - 0
    .max_flat_workgroup_size: 256
    .name:           _ZN7rocprim17ROCPRIM_400000_NS6detail17trampoline_kernelINS0_14default_configENS1_36segmented_radix_sort_config_selectorIilEEZNS1_25segmented_radix_sort_implIS3_Lb0EPKiPiPKlPlN2at6native12_GLOBAL__N_18offset_tEEE10hipError_tPvRmT1_PNSt15iterator_traitsISK_E10value_typeET2_T3_PNSL_ISQ_E10value_typeET4_jRbjT5_SW_jjP12ihipStream_tbEUlT_E0_NS1_11comp_targetILNS1_3genE8ELNS1_11target_archE1030ELNS1_3gpuE2ELNS1_3repE0EEENS1_60segmented_radix_sort_warp_sort_medium_config_static_selectorELNS0_4arch9wavefront6targetE0EEEvSK_
    .private_segment_fixed_size: 0
    .sgpr_count:     0
    .sgpr_spill_count: 0
    .symbol:         _ZN7rocprim17ROCPRIM_400000_NS6detail17trampoline_kernelINS0_14default_configENS1_36segmented_radix_sort_config_selectorIilEEZNS1_25segmented_radix_sort_implIS3_Lb0EPKiPiPKlPlN2at6native12_GLOBAL__N_18offset_tEEE10hipError_tPvRmT1_PNSt15iterator_traitsISK_E10value_typeET2_T3_PNSL_ISQ_E10value_typeET4_jRbjT5_SW_jjP12ihipStream_tbEUlT_E0_NS1_11comp_targetILNS1_3genE8ELNS1_11target_archE1030ELNS1_3gpuE2ELNS1_3repE0EEENS1_60segmented_radix_sort_warp_sort_medium_config_static_selectorELNS0_4arch9wavefront6targetE0EEEvSK_.kd
    .uniform_work_group_size: 1
    .uses_dynamic_stack: false
    .vgpr_count:     0
    .vgpr_spill_count: 0
    .wavefront_size: 32
    .workgroup_processor_mode: 1
  - .args:
      - .offset:         0
        .size:           88
        .value_kind:     by_value
    .group_segment_fixed_size: 0
    .kernarg_segment_align: 8
    .kernarg_segment_size: 88
    .language:       OpenCL C
    .language_version:
      - 2
      - 0
    .max_flat_workgroup_size: 256
    .name:           _ZN7rocprim17ROCPRIM_400000_NS6detail17trampoline_kernelINS0_14default_configENS1_36segmented_radix_sort_config_selectorIilEEZNS1_25segmented_radix_sort_implIS3_Lb0EPKiPiPKlPlN2at6native12_GLOBAL__N_18offset_tEEE10hipError_tPvRmT1_PNSt15iterator_traitsISK_E10value_typeET2_T3_PNSL_ISQ_E10value_typeET4_jRbjT5_SW_jjP12ihipStream_tbEUlT_E1_NS1_11comp_targetILNS1_3genE0ELNS1_11target_archE4294967295ELNS1_3gpuE0ELNS1_3repE0EEENS1_59segmented_radix_sort_warp_sort_small_config_static_selectorELNS0_4arch9wavefront6targetE0EEEvSK_
    .private_segment_fixed_size: 0
    .sgpr_count:     0
    .sgpr_spill_count: 0
    .symbol:         _ZN7rocprim17ROCPRIM_400000_NS6detail17trampoline_kernelINS0_14default_configENS1_36segmented_radix_sort_config_selectorIilEEZNS1_25segmented_radix_sort_implIS3_Lb0EPKiPiPKlPlN2at6native12_GLOBAL__N_18offset_tEEE10hipError_tPvRmT1_PNSt15iterator_traitsISK_E10value_typeET2_T3_PNSL_ISQ_E10value_typeET4_jRbjT5_SW_jjP12ihipStream_tbEUlT_E1_NS1_11comp_targetILNS1_3genE0ELNS1_11target_archE4294967295ELNS1_3gpuE0ELNS1_3repE0EEENS1_59segmented_radix_sort_warp_sort_small_config_static_selectorELNS0_4arch9wavefront6targetE0EEEvSK_.kd
    .uniform_work_group_size: 1
    .uses_dynamic_stack: false
    .vgpr_count:     0
    .vgpr_spill_count: 0
    .wavefront_size: 32
    .workgroup_processor_mode: 1
  - .args:
      - .offset:         0
        .size:           88
        .value_kind:     by_value
    .group_segment_fixed_size: 0
    .kernarg_segment_align: 8
    .kernarg_segment_size: 88
    .language:       OpenCL C
    .language_version:
      - 2
      - 0
    .max_flat_workgroup_size: 256
    .name:           _ZN7rocprim17ROCPRIM_400000_NS6detail17trampoline_kernelINS0_14default_configENS1_36segmented_radix_sort_config_selectorIilEEZNS1_25segmented_radix_sort_implIS3_Lb0EPKiPiPKlPlN2at6native12_GLOBAL__N_18offset_tEEE10hipError_tPvRmT1_PNSt15iterator_traitsISK_E10value_typeET2_T3_PNSL_ISQ_E10value_typeET4_jRbjT5_SW_jjP12ihipStream_tbEUlT_E1_NS1_11comp_targetILNS1_3genE5ELNS1_11target_archE942ELNS1_3gpuE9ELNS1_3repE0EEENS1_59segmented_radix_sort_warp_sort_small_config_static_selectorELNS0_4arch9wavefront6targetE0EEEvSK_
    .private_segment_fixed_size: 0
    .sgpr_count:     0
    .sgpr_spill_count: 0
    .symbol:         _ZN7rocprim17ROCPRIM_400000_NS6detail17trampoline_kernelINS0_14default_configENS1_36segmented_radix_sort_config_selectorIilEEZNS1_25segmented_radix_sort_implIS3_Lb0EPKiPiPKlPlN2at6native12_GLOBAL__N_18offset_tEEE10hipError_tPvRmT1_PNSt15iterator_traitsISK_E10value_typeET2_T3_PNSL_ISQ_E10value_typeET4_jRbjT5_SW_jjP12ihipStream_tbEUlT_E1_NS1_11comp_targetILNS1_3genE5ELNS1_11target_archE942ELNS1_3gpuE9ELNS1_3repE0EEENS1_59segmented_radix_sort_warp_sort_small_config_static_selectorELNS0_4arch9wavefront6targetE0EEEvSK_.kd
    .uniform_work_group_size: 1
    .uses_dynamic_stack: false
    .vgpr_count:     0
    .vgpr_spill_count: 0
    .wavefront_size: 32
    .workgroup_processor_mode: 1
  - .args:
      - .offset:         0
        .size:           88
        .value_kind:     by_value
    .group_segment_fixed_size: 0
    .kernarg_segment_align: 8
    .kernarg_segment_size: 88
    .language:       OpenCL C
    .language_version:
      - 2
      - 0
    .max_flat_workgroup_size: 256
    .name:           _ZN7rocprim17ROCPRIM_400000_NS6detail17trampoline_kernelINS0_14default_configENS1_36segmented_radix_sort_config_selectorIilEEZNS1_25segmented_radix_sort_implIS3_Lb0EPKiPiPKlPlN2at6native12_GLOBAL__N_18offset_tEEE10hipError_tPvRmT1_PNSt15iterator_traitsISK_E10value_typeET2_T3_PNSL_ISQ_E10value_typeET4_jRbjT5_SW_jjP12ihipStream_tbEUlT_E1_NS1_11comp_targetILNS1_3genE4ELNS1_11target_archE910ELNS1_3gpuE8ELNS1_3repE0EEENS1_59segmented_radix_sort_warp_sort_small_config_static_selectorELNS0_4arch9wavefront6targetE0EEEvSK_
    .private_segment_fixed_size: 0
    .sgpr_count:     0
    .sgpr_spill_count: 0
    .symbol:         _ZN7rocprim17ROCPRIM_400000_NS6detail17trampoline_kernelINS0_14default_configENS1_36segmented_radix_sort_config_selectorIilEEZNS1_25segmented_radix_sort_implIS3_Lb0EPKiPiPKlPlN2at6native12_GLOBAL__N_18offset_tEEE10hipError_tPvRmT1_PNSt15iterator_traitsISK_E10value_typeET2_T3_PNSL_ISQ_E10value_typeET4_jRbjT5_SW_jjP12ihipStream_tbEUlT_E1_NS1_11comp_targetILNS1_3genE4ELNS1_11target_archE910ELNS1_3gpuE8ELNS1_3repE0EEENS1_59segmented_radix_sort_warp_sort_small_config_static_selectorELNS0_4arch9wavefront6targetE0EEEvSK_.kd
    .uniform_work_group_size: 1
    .uses_dynamic_stack: false
    .vgpr_count:     0
    .vgpr_spill_count: 0
    .wavefront_size: 32
    .workgroup_processor_mode: 1
  - .args:
      - .offset:         0
        .size:           88
        .value_kind:     by_value
    .group_segment_fixed_size: 0
    .kernarg_segment_align: 8
    .kernarg_segment_size: 88
    .language:       OpenCL C
    .language_version:
      - 2
      - 0
    .max_flat_workgroup_size: 256
    .name:           _ZN7rocprim17ROCPRIM_400000_NS6detail17trampoline_kernelINS0_14default_configENS1_36segmented_radix_sort_config_selectorIilEEZNS1_25segmented_radix_sort_implIS3_Lb0EPKiPiPKlPlN2at6native12_GLOBAL__N_18offset_tEEE10hipError_tPvRmT1_PNSt15iterator_traitsISK_E10value_typeET2_T3_PNSL_ISQ_E10value_typeET4_jRbjT5_SW_jjP12ihipStream_tbEUlT_E1_NS1_11comp_targetILNS1_3genE3ELNS1_11target_archE908ELNS1_3gpuE7ELNS1_3repE0EEENS1_59segmented_radix_sort_warp_sort_small_config_static_selectorELNS0_4arch9wavefront6targetE0EEEvSK_
    .private_segment_fixed_size: 0
    .sgpr_count:     0
    .sgpr_spill_count: 0
    .symbol:         _ZN7rocprim17ROCPRIM_400000_NS6detail17trampoline_kernelINS0_14default_configENS1_36segmented_radix_sort_config_selectorIilEEZNS1_25segmented_radix_sort_implIS3_Lb0EPKiPiPKlPlN2at6native12_GLOBAL__N_18offset_tEEE10hipError_tPvRmT1_PNSt15iterator_traitsISK_E10value_typeET2_T3_PNSL_ISQ_E10value_typeET4_jRbjT5_SW_jjP12ihipStream_tbEUlT_E1_NS1_11comp_targetILNS1_3genE3ELNS1_11target_archE908ELNS1_3gpuE7ELNS1_3repE0EEENS1_59segmented_radix_sort_warp_sort_small_config_static_selectorELNS0_4arch9wavefront6targetE0EEEvSK_.kd
    .uniform_work_group_size: 1
    .uses_dynamic_stack: false
    .vgpr_count:     0
    .vgpr_spill_count: 0
    .wavefront_size: 32
    .workgroup_processor_mode: 1
  - .args:
      - .offset:         0
        .size:           88
        .value_kind:     by_value
    .group_segment_fixed_size: 0
    .kernarg_segment_align: 8
    .kernarg_segment_size: 88
    .language:       OpenCL C
    .language_version:
      - 2
      - 0
    .max_flat_workgroup_size: 256
    .name:           _ZN7rocprim17ROCPRIM_400000_NS6detail17trampoline_kernelINS0_14default_configENS1_36segmented_radix_sort_config_selectorIilEEZNS1_25segmented_radix_sort_implIS3_Lb0EPKiPiPKlPlN2at6native12_GLOBAL__N_18offset_tEEE10hipError_tPvRmT1_PNSt15iterator_traitsISK_E10value_typeET2_T3_PNSL_ISQ_E10value_typeET4_jRbjT5_SW_jjP12ihipStream_tbEUlT_E1_NS1_11comp_targetILNS1_3genE2ELNS1_11target_archE906ELNS1_3gpuE6ELNS1_3repE0EEENS1_59segmented_radix_sort_warp_sort_small_config_static_selectorELNS0_4arch9wavefront6targetE0EEEvSK_
    .private_segment_fixed_size: 0
    .sgpr_count:     0
    .sgpr_spill_count: 0
    .symbol:         _ZN7rocprim17ROCPRIM_400000_NS6detail17trampoline_kernelINS0_14default_configENS1_36segmented_radix_sort_config_selectorIilEEZNS1_25segmented_radix_sort_implIS3_Lb0EPKiPiPKlPlN2at6native12_GLOBAL__N_18offset_tEEE10hipError_tPvRmT1_PNSt15iterator_traitsISK_E10value_typeET2_T3_PNSL_ISQ_E10value_typeET4_jRbjT5_SW_jjP12ihipStream_tbEUlT_E1_NS1_11comp_targetILNS1_3genE2ELNS1_11target_archE906ELNS1_3gpuE6ELNS1_3repE0EEENS1_59segmented_radix_sort_warp_sort_small_config_static_selectorELNS0_4arch9wavefront6targetE0EEEvSK_.kd
    .uniform_work_group_size: 1
    .uses_dynamic_stack: false
    .vgpr_count:     0
    .vgpr_spill_count: 0
    .wavefront_size: 32
    .workgroup_processor_mode: 1
  - .args:
      - .offset:         0
        .size:           88
        .value_kind:     by_value
      - .offset:         88
        .size:           4
        .value_kind:     hidden_block_count_x
      - .offset:         92
        .size:           4
        .value_kind:     hidden_block_count_y
      - .offset:         96
        .size:           4
        .value_kind:     hidden_block_count_z
      - .offset:         100
        .size:           2
        .value_kind:     hidden_group_size_x
      - .offset:         102
        .size:           2
        .value_kind:     hidden_group_size_y
      - .offset:         104
        .size:           2
        .value_kind:     hidden_group_size_z
      - .offset:         106
        .size:           2
        .value_kind:     hidden_remainder_x
      - .offset:         108
        .size:           2
        .value_kind:     hidden_remainder_y
      - .offset:         110
        .size:           2
        .value_kind:     hidden_remainder_z
      - .offset:         128
        .size:           8
        .value_kind:     hidden_global_offset_x
      - .offset:         136
        .size:           8
        .value_kind:     hidden_global_offset_y
      - .offset:         144
        .size:           8
        .value_kind:     hidden_global_offset_z
      - .offset:         152
        .size:           2
        .value_kind:     hidden_grid_dims
    .group_segment_fixed_size: 12288
    .kernarg_segment_align: 8
    .kernarg_segment_size: 344
    .language:       OpenCL C
    .language_version:
      - 2
      - 0
    .max_flat_workgroup_size: 256
    .name:           _ZN7rocprim17ROCPRIM_400000_NS6detail17trampoline_kernelINS0_14default_configENS1_36segmented_radix_sort_config_selectorIilEEZNS1_25segmented_radix_sort_implIS3_Lb0EPKiPiPKlPlN2at6native12_GLOBAL__N_18offset_tEEE10hipError_tPvRmT1_PNSt15iterator_traitsISK_E10value_typeET2_T3_PNSL_ISQ_E10value_typeET4_jRbjT5_SW_jjP12ihipStream_tbEUlT_E1_NS1_11comp_targetILNS1_3genE10ELNS1_11target_archE1201ELNS1_3gpuE5ELNS1_3repE0EEENS1_59segmented_radix_sort_warp_sort_small_config_static_selectorELNS0_4arch9wavefront6targetE0EEEvSK_
    .private_segment_fixed_size: 0
    .sgpr_count:     35
    .sgpr_spill_count: 0
    .symbol:         _ZN7rocprim17ROCPRIM_400000_NS6detail17trampoline_kernelINS0_14default_configENS1_36segmented_radix_sort_config_selectorIilEEZNS1_25segmented_radix_sort_implIS3_Lb0EPKiPiPKlPlN2at6native12_GLOBAL__N_18offset_tEEE10hipError_tPvRmT1_PNSt15iterator_traitsISK_E10value_typeET2_T3_PNSL_ISQ_E10value_typeET4_jRbjT5_SW_jjP12ihipStream_tbEUlT_E1_NS1_11comp_targetILNS1_3genE10ELNS1_11target_archE1201ELNS1_3gpuE5ELNS1_3repE0EEENS1_59segmented_radix_sort_warp_sort_small_config_static_selectorELNS0_4arch9wavefront6targetE0EEEvSK_.kd
    .uniform_work_group_size: 1
    .uses_dynamic_stack: false
    .vgpr_count:     56
    .vgpr_spill_count: 0
    .wavefront_size: 32
    .workgroup_processor_mode: 1
  - .args:
      - .offset:         0
        .size:           88
        .value_kind:     by_value
    .group_segment_fixed_size: 0
    .kernarg_segment_align: 8
    .kernarg_segment_size: 88
    .language:       OpenCL C
    .language_version:
      - 2
      - 0
    .max_flat_workgroup_size: 256
    .name:           _ZN7rocprim17ROCPRIM_400000_NS6detail17trampoline_kernelINS0_14default_configENS1_36segmented_radix_sort_config_selectorIilEEZNS1_25segmented_radix_sort_implIS3_Lb0EPKiPiPKlPlN2at6native12_GLOBAL__N_18offset_tEEE10hipError_tPvRmT1_PNSt15iterator_traitsISK_E10value_typeET2_T3_PNSL_ISQ_E10value_typeET4_jRbjT5_SW_jjP12ihipStream_tbEUlT_E1_NS1_11comp_targetILNS1_3genE10ELNS1_11target_archE1200ELNS1_3gpuE4ELNS1_3repE0EEENS1_59segmented_radix_sort_warp_sort_small_config_static_selectorELNS0_4arch9wavefront6targetE0EEEvSK_
    .private_segment_fixed_size: 0
    .sgpr_count:     0
    .sgpr_spill_count: 0
    .symbol:         _ZN7rocprim17ROCPRIM_400000_NS6detail17trampoline_kernelINS0_14default_configENS1_36segmented_radix_sort_config_selectorIilEEZNS1_25segmented_radix_sort_implIS3_Lb0EPKiPiPKlPlN2at6native12_GLOBAL__N_18offset_tEEE10hipError_tPvRmT1_PNSt15iterator_traitsISK_E10value_typeET2_T3_PNSL_ISQ_E10value_typeET4_jRbjT5_SW_jjP12ihipStream_tbEUlT_E1_NS1_11comp_targetILNS1_3genE10ELNS1_11target_archE1200ELNS1_3gpuE4ELNS1_3repE0EEENS1_59segmented_radix_sort_warp_sort_small_config_static_selectorELNS0_4arch9wavefront6targetE0EEEvSK_.kd
    .uniform_work_group_size: 1
    .uses_dynamic_stack: false
    .vgpr_count:     0
    .vgpr_spill_count: 0
    .wavefront_size: 32
    .workgroup_processor_mode: 1
  - .args:
      - .offset:         0
        .size:           88
        .value_kind:     by_value
    .group_segment_fixed_size: 0
    .kernarg_segment_align: 8
    .kernarg_segment_size: 88
    .language:       OpenCL C
    .language_version:
      - 2
      - 0
    .max_flat_workgroup_size: 256
    .name:           _ZN7rocprim17ROCPRIM_400000_NS6detail17trampoline_kernelINS0_14default_configENS1_36segmented_radix_sort_config_selectorIilEEZNS1_25segmented_radix_sort_implIS3_Lb0EPKiPiPKlPlN2at6native12_GLOBAL__N_18offset_tEEE10hipError_tPvRmT1_PNSt15iterator_traitsISK_E10value_typeET2_T3_PNSL_ISQ_E10value_typeET4_jRbjT5_SW_jjP12ihipStream_tbEUlT_E1_NS1_11comp_targetILNS1_3genE9ELNS1_11target_archE1100ELNS1_3gpuE3ELNS1_3repE0EEENS1_59segmented_radix_sort_warp_sort_small_config_static_selectorELNS0_4arch9wavefront6targetE0EEEvSK_
    .private_segment_fixed_size: 0
    .sgpr_count:     0
    .sgpr_spill_count: 0
    .symbol:         _ZN7rocprim17ROCPRIM_400000_NS6detail17trampoline_kernelINS0_14default_configENS1_36segmented_radix_sort_config_selectorIilEEZNS1_25segmented_radix_sort_implIS3_Lb0EPKiPiPKlPlN2at6native12_GLOBAL__N_18offset_tEEE10hipError_tPvRmT1_PNSt15iterator_traitsISK_E10value_typeET2_T3_PNSL_ISQ_E10value_typeET4_jRbjT5_SW_jjP12ihipStream_tbEUlT_E1_NS1_11comp_targetILNS1_3genE9ELNS1_11target_archE1100ELNS1_3gpuE3ELNS1_3repE0EEENS1_59segmented_radix_sort_warp_sort_small_config_static_selectorELNS0_4arch9wavefront6targetE0EEEvSK_.kd
    .uniform_work_group_size: 1
    .uses_dynamic_stack: false
    .vgpr_count:     0
    .vgpr_spill_count: 0
    .wavefront_size: 32
    .workgroup_processor_mode: 1
  - .args:
      - .offset:         0
        .size:           88
        .value_kind:     by_value
    .group_segment_fixed_size: 0
    .kernarg_segment_align: 8
    .kernarg_segment_size: 88
    .language:       OpenCL C
    .language_version:
      - 2
      - 0
    .max_flat_workgroup_size: 256
    .name:           _ZN7rocprim17ROCPRIM_400000_NS6detail17trampoline_kernelINS0_14default_configENS1_36segmented_radix_sort_config_selectorIilEEZNS1_25segmented_radix_sort_implIS3_Lb0EPKiPiPKlPlN2at6native12_GLOBAL__N_18offset_tEEE10hipError_tPvRmT1_PNSt15iterator_traitsISK_E10value_typeET2_T3_PNSL_ISQ_E10value_typeET4_jRbjT5_SW_jjP12ihipStream_tbEUlT_E1_NS1_11comp_targetILNS1_3genE8ELNS1_11target_archE1030ELNS1_3gpuE2ELNS1_3repE0EEENS1_59segmented_radix_sort_warp_sort_small_config_static_selectorELNS0_4arch9wavefront6targetE0EEEvSK_
    .private_segment_fixed_size: 0
    .sgpr_count:     0
    .sgpr_spill_count: 0
    .symbol:         _ZN7rocprim17ROCPRIM_400000_NS6detail17trampoline_kernelINS0_14default_configENS1_36segmented_radix_sort_config_selectorIilEEZNS1_25segmented_radix_sort_implIS3_Lb0EPKiPiPKlPlN2at6native12_GLOBAL__N_18offset_tEEE10hipError_tPvRmT1_PNSt15iterator_traitsISK_E10value_typeET2_T3_PNSL_ISQ_E10value_typeET4_jRbjT5_SW_jjP12ihipStream_tbEUlT_E1_NS1_11comp_targetILNS1_3genE8ELNS1_11target_archE1030ELNS1_3gpuE2ELNS1_3repE0EEENS1_59segmented_radix_sort_warp_sort_small_config_static_selectorELNS0_4arch9wavefront6targetE0EEEvSK_.kd
    .uniform_work_group_size: 1
    .uses_dynamic_stack: false
    .vgpr_count:     0
    .vgpr_spill_count: 0
    .wavefront_size: 32
    .workgroup_processor_mode: 1
  - .args:
      - .offset:         0
        .size:           80
        .value_kind:     by_value
    .group_segment_fixed_size: 0
    .kernarg_segment_align: 8
    .kernarg_segment_size: 80
    .language:       OpenCL C
    .language_version:
      - 2
      - 0
    .max_flat_workgroup_size: 256
    .name:           _ZN7rocprim17ROCPRIM_400000_NS6detail17trampoline_kernelINS0_14default_configENS1_36segmented_radix_sort_config_selectorIilEEZNS1_25segmented_radix_sort_implIS3_Lb0EPKiPiPKlPlN2at6native12_GLOBAL__N_18offset_tEEE10hipError_tPvRmT1_PNSt15iterator_traitsISK_E10value_typeET2_T3_PNSL_ISQ_E10value_typeET4_jRbjT5_SW_jjP12ihipStream_tbEUlT_E2_NS1_11comp_targetILNS1_3genE0ELNS1_11target_archE4294967295ELNS1_3gpuE0ELNS1_3repE0EEENS1_30default_config_static_selectorELNS0_4arch9wavefront6targetE0EEEvSK_
    .private_segment_fixed_size: 0
    .sgpr_count:     0
    .sgpr_spill_count: 0
    .symbol:         _ZN7rocprim17ROCPRIM_400000_NS6detail17trampoline_kernelINS0_14default_configENS1_36segmented_radix_sort_config_selectorIilEEZNS1_25segmented_radix_sort_implIS3_Lb0EPKiPiPKlPlN2at6native12_GLOBAL__N_18offset_tEEE10hipError_tPvRmT1_PNSt15iterator_traitsISK_E10value_typeET2_T3_PNSL_ISQ_E10value_typeET4_jRbjT5_SW_jjP12ihipStream_tbEUlT_E2_NS1_11comp_targetILNS1_3genE0ELNS1_11target_archE4294967295ELNS1_3gpuE0ELNS1_3repE0EEENS1_30default_config_static_selectorELNS0_4arch9wavefront6targetE0EEEvSK_.kd
    .uniform_work_group_size: 1
    .uses_dynamic_stack: false
    .vgpr_count:     0
    .vgpr_spill_count: 0
    .wavefront_size: 32
    .workgroup_processor_mode: 1
  - .args:
      - .offset:         0
        .size:           80
        .value_kind:     by_value
    .group_segment_fixed_size: 0
    .kernarg_segment_align: 8
    .kernarg_segment_size: 80
    .language:       OpenCL C
    .language_version:
      - 2
      - 0
    .max_flat_workgroup_size: 256
    .name:           _ZN7rocprim17ROCPRIM_400000_NS6detail17trampoline_kernelINS0_14default_configENS1_36segmented_radix_sort_config_selectorIilEEZNS1_25segmented_radix_sort_implIS3_Lb0EPKiPiPKlPlN2at6native12_GLOBAL__N_18offset_tEEE10hipError_tPvRmT1_PNSt15iterator_traitsISK_E10value_typeET2_T3_PNSL_ISQ_E10value_typeET4_jRbjT5_SW_jjP12ihipStream_tbEUlT_E2_NS1_11comp_targetILNS1_3genE5ELNS1_11target_archE942ELNS1_3gpuE9ELNS1_3repE0EEENS1_30default_config_static_selectorELNS0_4arch9wavefront6targetE0EEEvSK_
    .private_segment_fixed_size: 0
    .sgpr_count:     0
    .sgpr_spill_count: 0
    .symbol:         _ZN7rocprim17ROCPRIM_400000_NS6detail17trampoline_kernelINS0_14default_configENS1_36segmented_radix_sort_config_selectorIilEEZNS1_25segmented_radix_sort_implIS3_Lb0EPKiPiPKlPlN2at6native12_GLOBAL__N_18offset_tEEE10hipError_tPvRmT1_PNSt15iterator_traitsISK_E10value_typeET2_T3_PNSL_ISQ_E10value_typeET4_jRbjT5_SW_jjP12ihipStream_tbEUlT_E2_NS1_11comp_targetILNS1_3genE5ELNS1_11target_archE942ELNS1_3gpuE9ELNS1_3repE0EEENS1_30default_config_static_selectorELNS0_4arch9wavefront6targetE0EEEvSK_.kd
    .uniform_work_group_size: 1
    .uses_dynamic_stack: false
    .vgpr_count:     0
    .vgpr_spill_count: 0
    .wavefront_size: 32
    .workgroup_processor_mode: 1
  - .args:
      - .offset:         0
        .size:           80
        .value_kind:     by_value
    .group_segment_fixed_size: 0
    .kernarg_segment_align: 8
    .kernarg_segment_size: 80
    .language:       OpenCL C
    .language_version:
      - 2
      - 0
    .max_flat_workgroup_size: 256
    .name:           _ZN7rocprim17ROCPRIM_400000_NS6detail17trampoline_kernelINS0_14default_configENS1_36segmented_radix_sort_config_selectorIilEEZNS1_25segmented_radix_sort_implIS3_Lb0EPKiPiPKlPlN2at6native12_GLOBAL__N_18offset_tEEE10hipError_tPvRmT1_PNSt15iterator_traitsISK_E10value_typeET2_T3_PNSL_ISQ_E10value_typeET4_jRbjT5_SW_jjP12ihipStream_tbEUlT_E2_NS1_11comp_targetILNS1_3genE4ELNS1_11target_archE910ELNS1_3gpuE8ELNS1_3repE0EEENS1_30default_config_static_selectorELNS0_4arch9wavefront6targetE0EEEvSK_
    .private_segment_fixed_size: 0
    .sgpr_count:     0
    .sgpr_spill_count: 0
    .symbol:         _ZN7rocprim17ROCPRIM_400000_NS6detail17trampoline_kernelINS0_14default_configENS1_36segmented_radix_sort_config_selectorIilEEZNS1_25segmented_radix_sort_implIS3_Lb0EPKiPiPKlPlN2at6native12_GLOBAL__N_18offset_tEEE10hipError_tPvRmT1_PNSt15iterator_traitsISK_E10value_typeET2_T3_PNSL_ISQ_E10value_typeET4_jRbjT5_SW_jjP12ihipStream_tbEUlT_E2_NS1_11comp_targetILNS1_3genE4ELNS1_11target_archE910ELNS1_3gpuE8ELNS1_3repE0EEENS1_30default_config_static_selectorELNS0_4arch9wavefront6targetE0EEEvSK_.kd
    .uniform_work_group_size: 1
    .uses_dynamic_stack: false
    .vgpr_count:     0
    .vgpr_spill_count: 0
    .wavefront_size: 32
    .workgroup_processor_mode: 1
  - .args:
      - .offset:         0
        .size:           80
        .value_kind:     by_value
    .group_segment_fixed_size: 0
    .kernarg_segment_align: 8
    .kernarg_segment_size: 80
    .language:       OpenCL C
    .language_version:
      - 2
      - 0
    .max_flat_workgroup_size: 256
    .name:           _ZN7rocprim17ROCPRIM_400000_NS6detail17trampoline_kernelINS0_14default_configENS1_36segmented_radix_sort_config_selectorIilEEZNS1_25segmented_radix_sort_implIS3_Lb0EPKiPiPKlPlN2at6native12_GLOBAL__N_18offset_tEEE10hipError_tPvRmT1_PNSt15iterator_traitsISK_E10value_typeET2_T3_PNSL_ISQ_E10value_typeET4_jRbjT5_SW_jjP12ihipStream_tbEUlT_E2_NS1_11comp_targetILNS1_3genE3ELNS1_11target_archE908ELNS1_3gpuE7ELNS1_3repE0EEENS1_30default_config_static_selectorELNS0_4arch9wavefront6targetE0EEEvSK_
    .private_segment_fixed_size: 0
    .sgpr_count:     0
    .sgpr_spill_count: 0
    .symbol:         _ZN7rocprim17ROCPRIM_400000_NS6detail17trampoline_kernelINS0_14default_configENS1_36segmented_radix_sort_config_selectorIilEEZNS1_25segmented_radix_sort_implIS3_Lb0EPKiPiPKlPlN2at6native12_GLOBAL__N_18offset_tEEE10hipError_tPvRmT1_PNSt15iterator_traitsISK_E10value_typeET2_T3_PNSL_ISQ_E10value_typeET4_jRbjT5_SW_jjP12ihipStream_tbEUlT_E2_NS1_11comp_targetILNS1_3genE3ELNS1_11target_archE908ELNS1_3gpuE7ELNS1_3repE0EEENS1_30default_config_static_selectorELNS0_4arch9wavefront6targetE0EEEvSK_.kd
    .uniform_work_group_size: 1
    .uses_dynamic_stack: false
    .vgpr_count:     0
    .vgpr_spill_count: 0
    .wavefront_size: 32
    .workgroup_processor_mode: 1
  - .args:
      - .offset:         0
        .size:           80
        .value_kind:     by_value
    .group_segment_fixed_size: 0
    .kernarg_segment_align: 8
    .kernarg_segment_size: 80
    .language:       OpenCL C
    .language_version:
      - 2
      - 0
    .max_flat_workgroup_size: 256
    .name:           _ZN7rocprim17ROCPRIM_400000_NS6detail17trampoline_kernelINS0_14default_configENS1_36segmented_radix_sort_config_selectorIilEEZNS1_25segmented_radix_sort_implIS3_Lb0EPKiPiPKlPlN2at6native12_GLOBAL__N_18offset_tEEE10hipError_tPvRmT1_PNSt15iterator_traitsISK_E10value_typeET2_T3_PNSL_ISQ_E10value_typeET4_jRbjT5_SW_jjP12ihipStream_tbEUlT_E2_NS1_11comp_targetILNS1_3genE2ELNS1_11target_archE906ELNS1_3gpuE6ELNS1_3repE0EEENS1_30default_config_static_selectorELNS0_4arch9wavefront6targetE0EEEvSK_
    .private_segment_fixed_size: 0
    .sgpr_count:     0
    .sgpr_spill_count: 0
    .symbol:         _ZN7rocprim17ROCPRIM_400000_NS6detail17trampoline_kernelINS0_14default_configENS1_36segmented_radix_sort_config_selectorIilEEZNS1_25segmented_radix_sort_implIS3_Lb0EPKiPiPKlPlN2at6native12_GLOBAL__N_18offset_tEEE10hipError_tPvRmT1_PNSt15iterator_traitsISK_E10value_typeET2_T3_PNSL_ISQ_E10value_typeET4_jRbjT5_SW_jjP12ihipStream_tbEUlT_E2_NS1_11comp_targetILNS1_3genE2ELNS1_11target_archE906ELNS1_3gpuE6ELNS1_3repE0EEENS1_30default_config_static_selectorELNS0_4arch9wavefront6targetE0EEEvSK_.kd
    .uniform_work_group_size: 1
    .uses_dynamic_stack: false
    .vgpr_count:     0
    .vgpr_spill_count: 0
    .wavefront_size: 32
    .workgroup_processor_mode: 1
  - .args:
      - .offset:         0
        .size:           80
        .value_kind:     by_value
      - .offset:         80
        .size:           4
        .value_kind:     hidden_block_count_x
      - .offset:         84
        .size:           4
        .value_kind:     hidden_block_count_y
      - .offset:         88
        .size:           4
        .value_kind:     hidden_block_count_z
      - .offset:         92
        .size:           2
        .value_kind:     hidden_group_size_x
      - .offset:         94
        .size:           2
        .value_kind:     hidden_group_size_y
      - .offset:         96
        .size:           2
        .value_kind:     hidden_group_size_z
      - .offset:         98
        .size:           2
        .value_kind:     hidden_remainder_x
      - .offset:         100
        .size:           2
        .value_kind:     hidden_remainder_y
      - .offset:         102
        .size:           2
        .value_kind:     hidden_remainder_z
      - .offset:         120
        .size:           8
        .value_kind:     hidden_global_offset_x
      - .offset:         128
        .size:           8
        .value_kind:     hidden_global_offset_y
      - .offset:         136
        .size:           8
        .value_kind:     hidden_global_offset_z
      - .offset:         144
        .size:           2
        .value_kind:     hidden_grid_dims
    .group_segment_fixed_size: 33824
    .kernarg_segment_align: 8
    .kernarg_segment_size: 336
    .language:       OpenCL C
    .language_version:
      - 2
      - 0
    .max_flat_workgroup_size: 256
    .name:           _ZN7rocprim17ROCPRIM_400000_NS6detail17trampoline_kernelINS0_14default_configENS1_36segmented_radix_sort_config_selectorIilEEZNS1_25segmented_radix_sort_implIS3_Lb0EPKiPiPKlPlN2at6native12_GLOBAL__N_18offset_tEEE10hipError_tPvRmT1_PNSt15iterator_traitsISK_E10value_typeET2_T3_PNSL_ISQ_E10value_typeET4_jRbjT5_SW_jjP12ihipStream_tbEUlT_E2_NS1_11comp_targetILNS1_3genE10ELNS1_11target_archE1201ELNS1_3gpuE5ELNS1_3repE0EEENS1_30default_config_static_selectorELNS0_4arch9wavefront6targetE0EEEvSK_
    .private_segment_fixed_size: 100
    .sgpr_count:     60
    .sgpr_spill_count: 0
    .symbol:         _ZN7rocprim17ROCPRIM_400000_NS6detail17trampoline_kernelINS0_14default_configENS1_36segmented_radix_sort_config_selectorIilEEZNS1_25segmented_radix_sort_implIS3_Lb0EPKiPiPKlPlN2at6native12_GLOBAL__N_18offset_tEEE10hipError_tPvRmT1_PNSt15iterator_traitsISK_E10value_typeET2_T3_PNSL_ISQ_E10value_typeET4_jRbjT5_SW_jjP12ihipStream_tbEUlT_E2_NS1_11comp_targetILNS1_3genE10ELNS1_11target_archE1201ELNS1_3gpuE5ELNS1_3repE0EEENS1_30default_config_static_selectorELNS0_4arch9wavefront6targetE0EEEvSK_.kd
    .uniform_work_group_size: 1
    .uses_dynamic_stack: false
    .vgpr_count:     248
    .vgpr_spill_count: 0
    .wavefront_size: 32
    .workgroup_processor_mode: 1
  - .args:
      - .offset:         0
        .size:           80
        .value_kind:     by_value
    .group_segment_fixed_size: 0
    .kernarg_segment_align: 8
    .kernarg_segment_size: 80
    .language:       OpenCL C
    .language_version:
      - 2
      - 0
    .max_flat_workgroup_size: 128
    .name:           _ZN7rocprim17ROCPRIM_400000_NS6detail17trampoline_kernelINS0_14default_configENS1_36segmented_radix_sort_config_selectorIilEEZNS1_25segmented_radix_sort_implIS3_Lb0EPKiPiPKlPlN2at6native12_GLOBAL__N_18offset_tEEE10hipError_tPvRmT1_PNSt15iterator_traitsISK_E10value_typeET2_T3_PNSL_ISQ_E10value_typeET4_jRbjT5_SW_jjP12ihipStream_tbEUlT_E2_NS1_11comp_targetILNS1_3genE10ELNS1_11target_archE1200ELNS1_3gpuE4ELNS1_3repE0EEENS1_30default_config_static_selectorELNS0_4arch9wavefront6targetE0EEEvSK_
    .private_segment_fixed_size: 0
    .sgpr_count:     0
    .sgpr_spill_count: 0
    .symbol:         _ZN7rocprim17ROCPRIM_400000_NS6detail17trampoline_kernelINS0_14default_configENS1_36segmented_radix_sort_config_selectorIilEEZNS1_25segmented_radix_sort_implIS3_Lb0EPKiPiPKlPlN2at6native12_GLOBAL__N_18offset_tEEE10hipError_tPvRmT1_PNSt15iterator_traitsISK_E10value_typeET2_T3_PNSL_ISQ_E10value_typeET4_jRbjT5_SW_jjP12ihipStream_tbEUlT_E2_NS1_11comp_targetILNS1_3genE10ELNS1_11target_archE1200ELNS1_3gpuE4ELNS1_3repE0EEENS1_30default_config_static_selectorELNS0_4arch9wavefront6targetE0EEEvSK_.kd
    .uniform_work_group_size: 1
    .uses_dynamic_stack: false
    .vgpr_count:     0
    .vgpr_spill_count: 0
    .wavefront_size: 32
    .workgroup_processor_mode: 1
  - .args:
      - .offset:         0
        .size:           80
        .value_kind:     by_value
    .group_segment_fixed_size: 0
    .kernarg_segment_align: 8
    .kernarg_segment_size: 80
    .language:       OpenCL C
    .language_version:
      - 2
      - 0
    .max_flat_workgroup_size: 256
    .name:           _ZN7rocprim17ROCPRIM_400000_NS6detail17trampoline_kernelINS0_14default_configENS1_36segmented_radix_sort_config_selectorIilEEZNS1_25segmented_radix_sort_implIS3_Lb0EPKiPiPKlPlN2at6native12_GLOBAL__N_18offset_tEEE10hipError_tPvRmT1_PNSt15iterator_traitsISK_E10value_typeET2_T3_PNSL_ISQ_E10value_typeET4_jRbjT5_SW_jjP12ihipStream_tbEUlT_E2_NS1_11comp_targetILNS1_3genE9ELNS1_11target_archE1100ELNS1_3gpuE3ELNS1_3repE0EEENS1_30default_config_static_selectorELNS0_4arch9wavefront6targetE0EEEvSK_
    .private_segment_fixed_size: 0
    .sgpr_count:     0
    .sgpr_spill_count: 0
    .symbol:         _ZN7rocprim17ROCPRIM_400000_NS6detail17trampoline_kernelINS0_14default_configENS1_36segmented_radix_sort_config_selectorIilEEZNS1_25segmented_radix_sort_implIS3_Lb0EPKiPiPKlPlN2at6native12_GLOBAL__N_18offset_tEEE10hipError_tPvRmT1_PNSt15iterator_traitsISK_E10value_typeET2_T3_PNSL_ISQ_E10value_typeET4_jRbjT5_SW_jjP12ihipStream_tbEUlT_E2_NS1_11comp_targetILNS1_3genE9ELNS1_11target_archE1100ELNS1_3gpuE3ELNS1_3repE0EEENS1_30default_config_static_selectorELNS0_4arch9wavefront6targetE0EEEvSK_.kd
    .uniform_work_group_size: 1
    .uses_dynamic_stack: false
    .vgpr_count:     0
    .vgpr_spill_count: 0
    .wavefront_size: 32
    .workgroup_processor_mode: 1
  - .args:
      - .offset:         0
        .size:           80
        .value_kind:     by_value
    .group_segment_fixed_size: 0
    .kernarg_segment_align: 8
    .kernarg_segment_size: 80
    .language:       OpenCL C
    .language_version:
      - 2
      - 0
    .max_flat_workgroup_size: 256
    .name:           _ZN7rocprim17ROCPRIM_400000_NS6detail17trampoline_kernelINS0_14default_configENS1_36segmented_radix_sort_config_selectorIilEEZNS1_25segmented_radix_sort_implIS3_Lb0EPKiPiPKlPlN2at6native12_GLOBAL__N_18offset_tEEE10hipError_tPvRmT1_PNSt15iterator_traitsISK_E10value_typeET2_T3_PNSL_ISQ_E10value_typeET4_jRbjT5_SW_jjP12ihipStream_tbEUlT_E2_NS1_11comp_targetILNS1_3genE8ELNS1_11target_archE1030ELNS1_3gpuE2ELNS1_3repE0EEENS1_30default_config_static_selectorELNS0_4arch9wavefront6targetE0EEEvSK_
    .private_segment_fixed_size: 0
    .sgpr_count:     0
    .sgpr_spill_count: 0
    .symbol:         _ZN7rocprim17ROCPRIM_400000_NS6detail17trampoline_kernelINS0_14default_configENS1_36segmented_radix_sort_config_selectorIilEEZNS1_25segmented_radix_sort_implIS3_Lb0EPKiPiPKlPlN2at6native12_GLOBAL__N_18offset_tEEE10hipError_tPvRmT1_PNSt15iterator_traitsISK_E10value_typeET2_T3_PNSL_ISQ_E10value_typeET4_jRbjT5_SW_jjP12ihipStream_tbEUlT_E2_NS1_11comp_targetILNS1_3genE8ELNS1_11target_archE1030ELNS1_3gpuE2ELNS1_3repE0EEENS1_30default_config_static_selectorELNS0_4arch9wavefront6targetE0EEEvSK_.kd
    .uniform_work_group_size: 1
    .uses_dynamic_stack: false
    .vgpr_count:     0
    .vgpr_spill_count: 0
    .wavefront_size: 32
    .workgroup_processor_mode: 1
  - .args:
      - .address_space:  global
        .offset:         0
        .size:           8
        .value_kind:     global_buffer
      - .address_space:  global
        .offset:         8
        .size:           8
        .value_kind:     global_buffer
      - .address_space:  global
        .offset:         16
        .size:           8
        .value_kind:     global_buffer
      - .address_space:  global
        .offset:         24
        .size:           8
        .value_kind:     global_buffer
      - .offset:         32
        .size:           4
        .value_kind:     by_value
      - .offset:         36
        .size:           4
        .value_kind:     by_value
      - .offset:         40
        .size:           4
        .value_kind:     hidden_block_count_x
      - .offset:         44
        .size:           4
        .value_kind:     hidden_block_count_y
      - .offset:         48
        .size:           4
        .value_kind:     hidden_block_count_z
      - .offset:         52
        .size:           2
        .value_kind:     hidden_group_size_x
      - .offset:         54
        .size:           2
        .value_kind:     hidden_group_size_y
      - .offset:         56
        .size:           2
        .value_kind:     hidden_group_size_z
      - .offset:         58
        .size:           2
        .value_kind:     hidden_remainder_x
      - .offset:         60
        .size:           2
        .value_kind:     hidden_remainder_y
      - .offset:         62
        .size:           2
        .value_kind:     hidden_remainder_z
      - .offset:         80
        .size:           8
        .value_kind:     hidden_global_offset_x
      - .offset:         88
        .size:           8
        .value_kind:     hidden_global_offset_y
      - .offset:         96
        .size:           8
        .value_kind:     hidden_global_offset_z
      - .offset:         104
        .size:           2
        .value_kind:     hidden_grid_dims
    .group_segment_fixed_size: 0
    .kernarg_segment_align: 8
    .kernarg_segment_size: 296
    .language:       OpenCL C
    .language_version:
      - 2
      - 0
    .max_flat_workgroup_size: 1024
    .name:           _ZN2at6native12_GLOBAL__N_123sort_postprocess_kernelIlEEvPKT_PS3_PlPK15HIP_vector_typeIiLj2EEii
    .private_segment_fixed_size: 0
    .sgpr_count:     21
    .sgpr_spill_count: 0
    .symbol:         _ZN2at6native12_GLOBAL__N_123sort_postprocess_kernelIlEEvPKT_PS3_PlPK15HIP_vector_typeIiLj2EEii.kd
    .uniform_work_group_size: 1
    .uses_dynamic_stack: false
    .vgpr_count:     14
    .vgpr_spill_count: 0
    .wavefront_size: 32
    .workgroup_processor_mode: 1
  - .args:
      - .offset:         0
        .size:           176
        .value_kind:     by_value
    .group_segment_fixed_size: 0
    .kernarg_segment_align: 8
    .kernarg_segment_size: 176
    .language:       OpenCL C
    .language_version:
      - 2
      - 0
    .max_flat_workgroup_size: 256
    .name:           _ZN7rocprim17ROCPRIM_400000_NS6detail17trampoline_kernelINS0_13select_configILj256ELj13ELNS0_17block_load_methodE3ELS4_3ELS4_3ELNS0_20block_scan_algorithmE0ELj4294967295EEENS1_25partition_config_selectorILNS1_17partition_subalgoE4EjNS0_10empty_typeEbEEZZNS1_14partition_implILS8_4ELb0ES6_15HIP_vector_typeIjLj2EENS0_17counting_iteratorIjlEEPS9_SG_NS0_5tupleIJPjSI_NS0_16reverse_iteratorISI_EEEEENSH_IJSG_SG_SG_EEES9_SI_JZNS1_25segmented_radix_sort_implINS0_14default_configELb1EPKlPlSQ_SR_N2at6native12_GLOBAL__N_18offset_tEEE10hipError_tPvRmT1_PNSt15iterator_traitsISZ_E10value_typeET2_T3_PNS10_IS15_E10value_typeET4_jRbjT5_S1B_jjP12ihipStream_tbEUljE_ZNSN_ISO_Lb1ESQ_SR_SQ_SR_SV_EESW_SX_SY_SZ_S13_S14_S15_S18_S19_jS1A_jS1B_S1B_jjS1D_bEUljE0_EEESW_SX_SY_S15_S19_S1B_T6_T7_T9_mT8_S1D_bDpT10_ENKUlT_T0_E_clISt17integral_constantIbLb0EES1R_EEDaS1M_S1N_EUlS1M_E_NS1_11comp_targetILNS1_3genE0ELNS1_11target_archE4294967295ELNS1_3gpuE0ELNS1_3repE0EEENS1_30default_config_static_selectorELNS0_4arch9wavefront6targetE0EEEvSZ_
    .private_segment_fixed_size: 0
    .sgpr_count:     0
    .sgpr_spill_count: 0
    .symbol:         _ZN7rocprim17ROCPRIM_400000_NS6detail17trampoline_kernelINS0_13select_configILj256ELj13ELNS0_17block_load_methodE3ELS4_3ELS4_3ELNS0_20block_scan_algorithmE0ELj4294967295EEENS1_25partition_config_selectorILNS1_17partition_subalgoE4EjNS0_10empty_typeEbEEZZNS1_14partition_implILS8_4ELb0ES6_15HIP_vector_typeIjLj2EENS0_17counting_iteratorIjlEEPS9_SG_NS0_5tupleIJPjSI_NS0_16reverse_iteratorISI_EEEEENSH_IJSG_SG_SG_EEES9_SI_JZNS1_25segmented_radix_sort_implINS0_14default_configELb1EPKlPlSQ_SR_N2at6native12_GLOBAL__N_18offset_tEEE10hipError_tPvRmT1_PNSt15iterator_traitsISZ_E10value_typeET2_T3_PNS10_IS15_E10value_typeET4_jRbjT5_S1B_jjP12ihipStream_tbEUljE_ZNSN_ISO_Lb1ESQ_SR_SQ_SR_SV_EESW_SX_SY_SZ_S13_S14_S15_S18_S19_jS1A_jS1B_S1B_jjS1D_bEUljE0_EEESW_SX_SY_S15_S19_S1B_T6_T7_T9_mT8_S1D_bDpT10_ENKUlT_T0_E_clISt17integral_constantIbLb0EES1R_EEDaS1M_S1N_EUlS1M_E_NS1_11comp_targetILNS1_3genE0ELNS1_11target_archE4294967295ELNS1_3gpuE0ELNS1_3repE0EEENS1_30default_config_static_selectorELNS0_4arch9wavefront6targetE0EEEvSZ_.kd
    .uniform_work_group_size: 1
    .uses_dynamic_stack: false
    .vgpr_count:     0
    .vgpr_spill_count: 0
    .wavefront_size: 32
    .workgroup_processor_mode: 1
  - .args:
      - .offset:         0
        .size:           176
        .value_kind:     by_value
    .group_segment_fixed_size: 0
    .kernarg_segment_align: 8
    .kernarg_segment_size: 176
    .language:       OpenCL C
    .language_version:
      - 2
      - 0
    .max_flat_workgroup_size: 256
    .name:           _ZN7rocprim17ROCPRIM_400000_NS6detail17trampoline_kernelINS0_13select_configILj256ELj13ELNS0_17block_load_methodE3ELS4_3ELS4_3ELNS0_20block_scan_algorithmE0ELj4294967295EEENS1_25partition_config_selectorILNS1_17partition_subalgoE4EjNS0_10empty_typeEbEEZZNS1_14partition_implILS8_4ELb0ES6_15HIP_vector_typeIjLj2EENS0_17counting_iteratorIjlEEPS9_SG_NS0_5tupleIJPjSI_NS0_16reverse_iteratorISI_EEEEENSH_IJSG_SG_SG_EEES9_SI_JZNS1_25segmented_radix_sort_implINS0_14default_configELb1EPKlPlSQ_SR_N2at6native12_GLOBAL__N_18offset_tEEE10hipError_tPvRmT1_PNSt15iterator_traitsISZ_E10value_typeET2_T3_PNS10_IS15_E10value_typeET4_jRbjT5_S1B_jjP12ihipStream_tbEUljE_ZNSN_ISO_Lb1ESQ_SR_SQ_SR_SV_EESW_SX_SY_SZ_S13_S14_S15_S18_S19_jS1A_jS1B_S1B_jjS1D_bEUljE0_EEESW_SX_SY_S15_S19_S1B_T6_T7_T9_mT8_S1D_bDpT10_ENKUlT_T0_E_clISt17integral_constantIbLb0EES1R_EEDaS1M_S1N_EUlS1M_E_NS1_11comp_targetILNS1_3genE5ELNS1_11target_archE942ELNS1_3gpuE9ELNS1_3repE0EEENS1_30default_config_static_selectorELNS0_4arch9wavefront6targetE0EEEvSZ_
    .private_segment_fixed_size: 0
    .sgpr_count:     0
    .sgpr_spill_count: 0
    .symbol:         _ZN7rocprim17ROCPRIM_400000_NS6detail17trampoline_kernelINS0_13select_configILj256ELj13ELNS0_17block_load_methodE3ELS4_3ELS4_3ELNS0_20block_scan_algorithmE0ELj4294967295EEENS1_25partition_config_selectorILNS1_17partition_subalgoE4EjNS0_10empty_typeEbEEZZNS1_14partition_implILS8_4ELb0ES6_15HIP_vector_typeIjLj2EENS0_17counting_iteratorIjlEEPS9_SG_NS0_5tupleIJPjSI_NS0_16reverse_iteratorISI_EEEEENSH_IJSG_SG_SG_EEES9_SI_JZNS1_25segmented_radix_sort_implINS0_14default_configELb1EPKlPlSQ_SR_N2at6native12_GLOBAL__N_18offset_tEEE10hipError_tPvRmT1_PNSt15iterator_traitsISZ_E10value_typeET2_T3_PNS10_IS15_E10value_typeET4_jRbjT5_S1B_jjP12ihipStream_tbEUljE_ZNSN_ISO_Lb1ESQ_SR_SQ_SR_SV_EESW_SX_SY_SZ_S13_S14_S15_S18_S19_jS1A_jS1B_S1B_jjS1D_bEUljE0_EEESW_SX_SY_S15_S19_S1B_T6_T7_T9_mT8_S1D_bDpT10_ENKUlT_T0_E_clISt17integral_constantIbLb0EES1R_EEDaS1M_S1N_EUlS1M_E_NS1_11comp_targetILNS1_3genE5ELNS1_11target_archE942ELNS1_3gpuE9ELNS1_3repE0EEENS1_30default_config_static_selectorELNS0_4arch9wavefront6targetE0EEEvSZ_.kd
    .uniform_work_group_size: 1
    .uses_dynamic_stack: false
    .vgpr_count:     0
    .vgpr_spill_count: 0
    .wavefront_size: 32
    .workgroup_processor_mode: 1
  - .args:
      - .offset:         0
        .size:           176
        .value_kind:     by_value
    .group_segment_fixed_size: 0
    .kernarg_segment_align: 8
    .kernarg_segment_size: 176
    .language:       OpenCL C
    .language_version:
      - 2
      - 0
    .max_flat_workgroup_size: 256
    .name:           _ZN7rocprim17ROCPRIM_400000_NS6detail17trampoline_kernelINS0_13select_configILj256ELj13ELNS0_17block_load_methodE3ELS4_3ELS4_3ELNS0_20block_scan_algorithmE0ELj4294967295EEENS1_25partition_config_selectorILNS1_17partition_subalgoE4EjNS0_10empty_typeEbEEZZNS1_14partition_implILS8_4ELb0ES6_15HIP_vector_typeIjLj2EENS0_17counting_iteratorIjlEEPS9_SG_NS0_5tupleIJPjSI_NS0_16reverse_iteratorISI_EEEEENSH_IJSG_SG_SG_EEES9_SI_JZNS1_25segmented_radix_sort_implINS0_14default_configELb1EPKlPlSQ_SR_N2at6native12_GLOBAL__N_18offset_tEEE10hipError_tPvRmT1_PNSt15iterator_traitsISZ_E10value_typeET2_T3_PNS10_IS15_E10value_typeET4_jRbjT5_S1B_jjP12ihipStream_tbEUljE_ZNSN_ISO_Lb1ESQ_SR_SQ_SR_SV_EESW_SX_SY_SZ_S13_S14_S15_S18_S19_jS1A_jS1B_S1B_jjS1D_bEUljE0_EEESW_SX_SY_S15_S19_S1B_T6_T7_T9_mT8_S1D_bDpT10_ENKUlT_T0_E_clISt17integral_constantIbLb0EES1R_EEDaS1M_S1N_EUlS1M_E_NS1_11comp_targetILNS1_3genE4ELNS1_11target_archE910ELNS1_3gpuE8ELNS1_3repE0EEENS1_30default_config_static_selectorELNS0_4arch9wavefront6targetE0EEEvSZ_
    .private_segment_fixed_size: 0
    .sgpr_count:     0
    .sgpr_spill_count: 0
    .symbol:         _ZN7rocprim17ROCPRIM_400000_NS6detail17trampoline_kernelINS0_13select_configILj256ELj13ELNS0_17block_load_methodE3ELS4_3ELS4_3ELNS0_20block_scan_algorithmE0ELj4294967295EEENS1_25partition_config_selectorILNS1_17partition_subalgoE4EjNS0_10empty_typeEbEEZZNS1_14partition_implILS8_4ELb0ES6_15HIP_vector_typeIjLj2EENS0_17counting_iteratorIjlEEPS9_SG_NS0_5tupleIJPjSI_NS0_16reverse_iteratorISI_EEEEENSH_IJSG_SG_SG_EEES9_SI_JZNS1_25segmented_radix_sort_implINS0_14default_configELb1EPKlPlSQ_SR_N2at6native12_GLOBAL__N_18offset_tEEE10hipError_tPvRmT1_PNSt15iterator_traitsISZ_E10value_typeET2_T3_PNS10_IS15_E10value_typeET4_jRbjT5_S1B_jjP12ihipStream_tbEUljE_ZNSN_ISO_Lb1ESQ_SR_SQ_SR_SV_EESW_SX_SY_SZ_S13_S14_S15_S18_S19_jS1A_jS1B_S1B_jjS1D_bEUljE0_EEESW_SX_SY_S15_S19_S1B_T6_T7_T9_mT8_S1D_bDpT10_ENKUlT_T0_E_clISt17integral_constantIbLb0EES1R_EEDaS1M_S1N_EUlS1M_E_NS1_11comp_targetILNS1_3genE4ELNS1_11target_archE910ELNS1_3gpuE8ELNS1_3repE0EEENS1_30default_config_static_selectorELNS0_4arch9wavefront6targetE0EEEvSZ_.kd
    .uniform_work_group_size: 1
    .uses_dynamic_stack: false
    .vgpr_count:     0
    .vgpr_spill_count: 0
    .wavefront_size: 32
    .workgroup_processor_mode: 1
  - .args:
      - .offset:         0
        .size:           176
        .value_kind:     by_value
    .group_segment_fixed_size: 0
    .kernarg_segment_align: 8
    .kernarg_segment_size: 176
    .language:       OpenCL C
    .language_version:
      - 2
      - 0
    .max_flat_workgroup_size: 256
    .name:           _ZN7rocprim17ROCPRIM_400000_NS6detail17trampoline_kernelINS0_13select_configILj256ELj13ELNS0_17block_load_methodE3ELS4_3ELS4_3ELNS0_20block_scan_algorithmE0ELj4294967295EEENS1_25partition_config_selectorILNS1_17partition_subalgoE4EjNS0_10empty_typeEbEEZZNS1_14partition_implILS8_4ELb0ES6_15HIP_vector_typeIjLj2EENS0_17counting_iteratorIjlEEPS9_SG_NS0_5tupleIJPjSI_NS0_16reverse_iteratorISI_EEEEENSH_IJSG_SG_SG_EEES9_SI_JZNS1_25segmented_radix_sort_implINS0_14default_configELb1EPKlPlSQ_SR_N2at6native12_GLOBAL__N_18offset_tEEE10hipError_tPvRmT1_PNSt15iterator_traitsISZ_E10value_typeET2_T3_PNS10_IS15_E10value_typeET4_jRbjT5_S1B_jjP12ihipStream_tbEUljE_ZNSN_ISO_Lb1ESQ_SR_SQ_SR_SV_EESW_SX_SY_SZ_S13_S14_S15_S18_S19_jS1A_jS1B_S1B_jjS1D_bEUljE0_EEESW_SX_SY_S15_S19_S1B_T6_T7_T9_mT8_S1D_bDpT10_ENKUlT_T0_E_clISt17integral_constantIbLb0EES1R_EEDaS1M_S1N_EUlS1M_E_NS1_11comp_targetILNS1_3genE3ELNS1_11target_archE908ELNS1_3gpuE7ELNS1_3repE0EEENS1_30default_config_static_selectorELNS0_4arch9wavefront6targetE0EEEvSZ_
    .private_segment_fixed_size: 0
    .sgpr_count:     0
    .sgpr_spill_count: 0
    .symbol:         _ZN7rocprim17ROCPRIM_400000_NS6detail17trampoline_kernelINS0_13select_configILj256ELj13ELNS0_17block_load_methodE3ELS4_3ELS4_3ELNS0_20block_scan_algorithmE0ELj4294967295EEENS1_25partition_config_selectorILNS1_17partition_subalgoE4EjNS0_10empty_typeEbEEZZNS1_14partition_implILS8_4ELb0ES6_15HIP_vector_typeIjLj2EENS0_17counting_iteratorIjlEEPS9_SG_NS0_5tupleIJPjSI_NS0_16reverse_iteratorISI_EEEEENSH_IJSG_SG_SG_EEES9_SI_JZNS1_25segmented_radix_sort_implINS0_14default_configELb1EPKlPlSQ_SR_N2at6native12_GLOBAL__N_18offset_tEEE10hipError_tPvRmT1_PNSt15iterator_traitsISZ_E10value_typeET2_T3_PNS10_IS15_E10value_typeET4_jRbjT5_S1B_jjP12ihipStream_tbEUljE_ZNSN_ISO_Lb1ESQ_SR_SQ_SR_SV_EESW_SX_SY_SZ_S13_S14_S15_S18_S19_jS1A_jS1B_S1B_jjS1D_bEUljE0_EEESW_SX_SY_S15_S19_S1B_T6_T7_T9_mT8_S1D_bDpT10_ENKUlT_T0_E_clISt17integral_constantIbLb0EES1R_EEDaS1M_S1N_EUlS1M_E_NS1_11comp_targetILNS1_3genE3ELNS1_11target_archE908ELNS1_3gpuE7ELNS1_3repE0EEENS1_30default_config_static_selectorELNS0_4arch9wavefront6targetE0EEEvSZ_.kd
    .uniform_work_group_size: 1
    .uses_dynamic_stack: false
    .vgpr_count:     0
    .vgpr_spill_count: 0
    .wavefront_size: 32
    .workgroup_processor_mode: 1
  - .args:
      - .offset:         0
        .size:           176
        .value_kind:     by_value
    .group_segment_fixed_size: 0
    .kernarg_segment_align: 8
    .kernarg_segment_size: 176
    .language:       OpenCL C
    .language_version:
      - 2
      - 0
    .max_flat_workgroup_size: 256
    .name:           _ZN7rocprim17ROCPRIM_400000_NS6detail17trampoline_kernelINS0_13select_configILj256ELj13ELNS0_17block_load_methodE3ELS4_3ELS4_3ELNS0_20block_scan_algorithmE0ELj4294967295EEENS1_25partition_config_selectorILNS1_17partition_subalgoE4EjNS0_10empty_typeEbEEZZNS1_14partition_implILS8_4ELb0ES6_15HIP_vector_typeIjLj2EENS0_17counting_iteratorIjlEEPS9_SG_NS0_5tupleIJPjSI_NS0_16reverse_iteratorISI_EEEEENSH_IJSG_SG_SG_EEES9_SI_JZNS1_25segmented_radix_sort_implINS0_14default_configELb1EPKlPlSQ_SR_N2at6native12_GLOBAL__N_18offset_tEEE10hipError_tPvRmT1_PNSt15iterator_traitsISZ_E10value_typeET2_T3_PNS10_IS15_E10value_typeET4_jRbjT5_S1B_jjP12ihipStream_tbEUljE_ZNSN_ISO_Lb1ESQ_SR_SQ_SR_SV_EESW_SX_SY_SZ_S13_S14_S15_S18_S19_jS1A_jS1B_S1B_jjS1D_bEUljE0_EEESW_SX_SY_S15_S19_S1B_T6_T7_T9_mT8_S1D_bDpT10_ENKUlT_T0_E_clISt17integral_constantIbLb0EES1R_EEDaS1M_S1N_EUlS1M_E_NS1_11comp_targetILNS1_3genE2ELNS1_11target_archE906ELNS1_3gpuE6ELNS1_3repE0EEENS1_30default_config_static_selectorELNS0_4arch9wavefront6targetE0EEEvSZ_
    .private_segment_fixed_size: 0
    .sgpr_count:     0
    .sgpr_spill_count: 0
    .symbol:         _ZN7rocprim17ROCPRIM_400000_NS6detail17trampoline_kernelINS0_13select_configILj256ELj13ELNS0_17block_load_methodE3ELS4_3ELS4_3ELNS0_20block_scan_algorithmE0ELj4294967295EEENS1_25partition_config_selectorILNS1_17partition_subalgoE4EjNS0_10empty_typeEbEEZZNS1_14partition_implILS8_4ELb0ES6_15HIP_vector_typeIjLj2EENS0_17counting_iteratorIjlEEPS9_SG_NS0_5tupleIJPjSI_NS0_16reverse_iteratorISI_EEEEENSH_IJSG_SG_SG_EEES9_SI_JZNS1_25segmented_radix_sort_implINS0_14default_configELb1EPKlPlSQ_SR_N2at6native12_GLOBAL__N_18offset_tEEE10hipError_tPvRmT1_PNSt15iterator_traitsISZ_E10value_typeET2_T3_PNS10_IS15_E10value_typeET4_jRbjT5_S1B_jjP12ihipStream_tbEUljE_ZNSN_ISO_Lb1ESQ_SR_SQ_SR_SV_EESW_SX_SY_SZ_S13_S14_S15_S18_S19_jS1A_jS1B_S1B_jjS1D_bEUljE0_EEESW_SX_SY_S15_S19_S1B_T6_T7_T9_mT8_S1D_bDpT10_ENKUlT_T0_E_clISt17integral_constantIbLb0EES1R_EEDaS1M_S1N_EUlS1M_E_NS1_11comp_targetILNS1_3genE2ELNS1_11target_archE906ELNS1_3gpuE6ELNS1_3repE0EEENS1_30default_config_static_selectorELNS0_4arch9wavefront6targetE0EEEvSZ_.kd
    .uniform_work_group_size: 1
    .uses_dynamic_stack: false
    .vgpr_count:     0
    .vgpr_spill_count: 0
    .wavefront_size: 32
    .workgroup_processor_mode: 1
  - .args:
      - .offset:         0
        .size:           176
        .value_kind:     by_value
    .group_segment_fixed_size: 13328
    .kernarg_segment_align: 8
    .kernarg_segment_size: 176
    .language:       OpenCL C
    .language_version:
      - 2
      - 0
    .max_flat_workgroup_size: 256
    .name:           _ZN7rocprim17ROCPRIM_400000_NS6detail17trampoline_kernelINS0_13select_configILj256ELj13ELNS0_17block_load_methodE3ELS4_3ELS4_3ELNS0_20block_scan_algorithmE0ELj4294967295EEENS1_25partition_config_selectorILNS1_17partition_subalgoE4EjNS0_10empty_typeEbEEZZNS1_14partition_implILS8_4ELb0ES6_15HIP_vector_typeIjLj2EENS0_17counting_iteratorIjlEEPS9_SG_NS0_5tupleIJPjSI_NS0_16reverse_iteratorISI_EEEEENSH_IJSG_SG_SG_EEES9_SI_JZNS1_25segmented_radix_sort_implINS0_14default_configELb1EPKlPlSQ_SR_N2at6native12_GLOBAL__N_18offset_tEEE10hipError_tPvRmT1_PNSt15iterator_traitsISZ_E10value_typeET2_T3_PNS10_IS15_E10value_typeET4_jRbjT5_S1B_jjP12ihipStream_tbEUljE_ZNSN_ISO_Lb1ESQ_SR_SQ_SR_SV_EESW_SX_SY_SZ_S13_S14_S15_S18_S19_jS1A_jS1B_S1B_jjS1D_bEUljE0_EEESW_SX_SY_S15_S19_S1B_T6_T7_T9_mT8_S1D_bDpT10_ENKUlT_T0_E_clISt17integral_constantIbLb0EES1R_EEDaS1M_S1N_EUlS1M_E_NS1_11comp_targetILNS1_3genE10ELNS1_11target_archE1200ELNS1_3gpuE4ELNS1_3repE0EEENS1_30default_config_static_selectorELNS0_4arch9wavefront6targetE0EEEvSZ_
    .private_segment_fixed_size: 0
    .sgpr_count:     60
    .sgpr_spill_count: 0
    .symbol:         _ZN7rocprim17ROCPRIM_400000_NS6detail17trampoline_kernelINS0_13select_configILj256ELj13ELNS0_17block_load_methodE3ELS4_3ELS4_3ELNS0_20block_scan_algorithmE0ELj4294967295EEENS1_25partition_config_selectorILNS1_17partition_subalgoE4EjNS0_10empty_typeEbEEZZNS1_14partition_implILS8_4ELb0ES6_15HIP_vector_typeIjLj2EENS0_17counting_iteratorIjlEEPS9_SG_NS0_5tupleIJPjSI_NS0_16reverse_iteratorISI_EEEEENSH_IJSG_SG_SG_EEES9_SI_JZNS1_25segmented_radix_sort_implINS0_14default_configELb1EPKlPlSQ_SR_N2at6native12_GLOBAL__N_18offset_tEEE10hipError_tPvRmT1_PNSt15iterator_traitsISZ_E10value_typeET2_T3_PNS10_IS15_E10value_typeET4_jRbjT5_S1B_jjP12ihipStream_tbEUljE_ZNSN_ISO_Lb1ESQ_SR_SQ_SR_SV_EESW_SX_SY_SZ_S13_S14_S15_S18_S19_jS1A_jS1B_S1B_jjS1D_bEUljE0_EEESW_SX_SY_S15_S19_S1B_T6_T7_T9_mT8_S1D_bDpT10_ENKUlT_T0_E_clISt17integral_constantIbLb0EES1R_EEDaS1M_S1N_EUlS1M_E_NS1_11comp_targetILNS1_3genE10ELNS1_11target_archE1200ELNS1_3gpuE4ELNS1_3repE0EEENS1_30default_config_static_selectorELNS0_4arch9wavefront6targetE0EEEvSZ_.kd
    .uniform_work_group_size: 1
    .uses_dynamic_stack: false
    .vgpr_count:     93
    .vgpr_spill_count: 0
    .wavefront_size: 32
    .workgroup_processor_mode: 1
  - .args:
      - .offset:         0
        .size:           176
        .value_kind:     by_value
    .group_segment_fixed_size: 0
    .kernarg_segment_align: 8
    .kernarg_segment_size: 176
    .language:       OpenCL C
    .language_version:
      - 2
      - 0
    .max_flat_workgroup_size: 256
    .name:           _ZN7rocprim17ROCPRIM_400000_NS6detail17trampoline_kernelINS0_13select_configILj256ELj13ELNS0_17block_load_methodE3ELS4_3ELS4_3ELNS0_20block_scan_algorithmE0ELj4294967295EEENS1_25partition_config_selectorILNS1_17partition_subalgoE4EjNS0_10empty_typeEbEEZZNS1_14partition_implILS8_4ELb0ES6_15HIP_vector_typeIjLj2EENS0_17counting_iteratorIjlEEPS9_SG_NS0_5tupleIJPjSI_NS0_16reverse_iteratorISI_EEEEENSH_IJSG_SG_SG_EEES9_SI_JZNS1_25segmented_radix_sort_implINS0_14default_configELb1EPKlPlSQ_SR_N2at6native12_GLOBAL__N_18offset_tEEE10hipError_tPvRmT1_PNSt15iterator_traitsISZ_E10value_typeET2_T3_PNS10_IS15_E10value_typeET4_jRbjT5_S1B_jjP12ihipStream_tbEUljE_ZNSN_ISO_Lb1ESQ_SR_SQ_SR_SV_EESW_SX_SY_SZ_S13_S14_S15_S18_S19_jS1A_jS1B_S1B_jjS1D_bEUljE0_EEESW_SX_SY_S15_S19_S1B_T6_T7_T9_mT8_S1D_bDpT10_ENKUlT_T0_E_clISt17integral_constantIbLb0EES1R_EEDaS1M_S1N_EUlS1M_E_NS1_11comp_targetILNS1_3genE9ELNS1_11target_archE1100ELNS1_3gpuE3ELNS1_3repE0EEENS1_30default_config_static_selectorELNS0_4arch9wavefront6targetE0EEEvSZ_
    .private_segment_fixed_size: 0
    .sgpr_count:     0
    .sgpr_spill_count: 0
    .symbol:         _ZN7rocprim17ROCPRIM_400000_NS6detail17trampoline_kernelINS0_13select_configILj256ELj13ELNS0_17block_load_methodE3ELS4_3ELS4_3ELNS0_20block_scan_algorithmE0ELj4294967295EEENS1_25partition_config_selectorILNS1_17partition_subalgoE4EjNS0_10empty_typeEbEEZZNS1_14partition_implILS8_4ELb0ES6_15HIP_vector_typeIjLj2EENS0_17counting_iteratorIjlEEPS9_SG_NS0_5tupleIJPjSI_NS0_16reverse_iteratorISI_EEEEENSH_IJSG_SG_SG_EEES9_SI_JZNS1_25segmented_radix_sort_implINS0_14default_configELb1EPKlPlSQ_SR_N2at6native12_GLOBAL__N_18offset_tEEE10hipError_tPvRmT1_PNSt15iterator_traitsISZ_E10value_typeET2_T3_PNS10_IS15_E10value_typeET4_jRbjT5_S1B_jjP12ihipStream_tbEUljE_ZNSN_ISO_Lb1ESQ_SR_SQ_SR_SV_EESW_SX_SY_SZ_S13_S14_S15_S18_S19_jS1A_jS1B_S1B_jjS1D_bEUljE0_EEESW_SX_SY_S15_S19_S1B_T6_T7_T9_mT8_S1D_bDpT10_ENKUlT_T0_E_clISt17integral_constantIbLb0EES1R_EEDaS1M_S1N_EUlS1M_E_NS1_11comp_targetILNS1_3genE9ELNS1_11target_archE1100ELNS1_3gpuE3ELNS1_3repE0EEENS1_30default_config_static_selectorELNS0_4arch9wavefront6targetE0EEEvSZ_.kd
    .uniform_work_group_size: 1
    .uses_dynamic_stack: false
    .vgpr_count:     0
    .vgpr_spill_count: 0
    .wavefront_size: 32
    .workgroup_processor_mode: 1
  - .args:
      - .offset:         0
        .size:           176
        .value_kind:     by_value
    .group_segment_fixed_size: 0
    .kernarg_segment_align: 8
    .kernarg_segment_size: 176
    .language:       OpenCL C
    .language_version:
      - 2
      - 0
    .max_flat_workgroup_size: 256
    .name:           _ZN7rocprim17ROCPRIM_400000_NS6detail17trampoline_kernelINS0_13select_configILj256ELj13ELNS0_17block_load_methodE3ELS4_3ELS4_3ELNS0_20block_scan_algorithmE0ELj4294967295EEENS1_25partition_config_selectorILNS1_17partition_subalgoE4EjNS0_10empty_typeEbEEZZNS1_14partition_implILS8_4ELb0ES6_15HIP_vector_typeIjLj2EENS0_17counting_iteratorIjlEEPS9_SG_NS0_5tupleIJPjSI_NS0_16reverse_iteratorISI_EEEEENSH_IJSG_SG_SG_EEES9_SI_JZNS1_25segmented_radix_sort_implINS0_14default_configELb1EPKlPlSQ_SR_N2at6native12_GLOBAL__N_18offset_tEEE10hipError_tPvRmT1_PNSt15iterator_traitsISZ_E10value_typeET2_T3_PNS10_IS15_E10value_typeET4_jRbjT5_S1B_jjP12ihipStream_tbEUljE_ZNSN_ISO_Lb1ESQ_SR_SQ_SR_SV_EESW_SX_SY_SZ_S13_S14_S15_S18_S19_jS1A_jS1B_S1B_jjS1D_bEUljE0_EEESW_SX_SY_S15_S19_S1B_T6_T7_T9_mT8_S1D_bDpT10_ENKUlT_T0_E_clISt17integral_constantIbLb0EES1R_EEDaS1M_S1N_EUlS1M_E_NS1_11comp_targetILNS1_3genE8ELNS1_11target_archE1030ELNS1_3gpuE2ELNS1_3repE0EEENS1_30default_config_static_selectorELNS0_4arch9wavefront6targetE0EEEvSZ_
    .private_segment_fixed_size: 0
    .sgpr_count:     0
    .sgpr_spill_count: 0
    .symbol:         _ZN7rocprim17ROCPRIM_400000_NS6detail17trampoline_kernelINS0_13select_configILj256ELj13ELNS0_17block_load_methodE3ELS4_3ELS4_3ELNS0_20block_scan_algorithmE0ELj4294967295EEENS1_25partition_config_selectorILNS1_17partition_subalgoE4EjNS0_10empty_typeEbEEZZNS1_14partition_implILS8_4ELb0ES6_15HIP_vector_typeIjLj2EENS0_17counting_iteratorIjlEEPS9_SG_NS0_5tupleIJPjSI_NS0_16reverse_iteratorISI_EEEEENSH_IJSG_SG_SG_EEES9_SI_JZNS1_25segmented_radix_sort_implINS0_14default_configELb1EPKlPlSQ_SR_N2at6native12_GLOBAL__N_18offset_tEEE10hipError_tPvRmT1_PNSt15iterator_traitsISZ_E10value_typeET2_T3_PNS10_IS15_E10value_typeET4_jRbjT5_S1B_jjP12ihipStream_tbEUljE_ZNSN_ISO_Lb1ESQ_SR_SQ_SR_SV_EESW_SX_SY_SZ_S13_S14_S15_S18_S19_jS1A_jS1B_S1B_jjS1D_bEUljE0_EEESW_SX_SY_S15_S19_S1B_T6_T7_T9_mT8_S1D_bDpT10_ENKUlT_T0_E_clISt17integral_constantIbLb0EES1R_EEDaS1M_S1N_EUlS1M_E_NS1_11comp_targetILNS1_3genE8ELNS1_11target_archE1030ELNS1_3gpuE2ELNS1_3repE0EEENS1_30default_config_static_selectorELNS0_4arch9wavefront6targetE0EEEvSZ_.kd
    .uniform_work_group_size: 1
    .uses_dynamic_stack: false
    .vgpr_count:     0
    .vgpr_spill_count: 0
    .wavefront_size: 32
    .workgroup_processor_mode: 1
  - .args:
      - .offset:         0
        .size:           184
        .value_kind:     by_value
    .group_segment_fixed_size: 0
    .kernarg_segment_align: 8
    .kernarg_segment_size: 184
    .language:       OpenCL C
    .language_version:
      - 2
      - 0
    .max_flat_workgroup_size: 256
    .name:           _ZN7rocprim17ROCPRIM_400000_NS6detail17trampoline_kernelINS0_13select_configILj256ELj13ELNS0_17block_load_methodE3ELS4_3ELS4_3ELNS0_20block_scan_algorithmE0ELj4294967295EEENS1_25partition_config_selectorILNS1_17partition_subalgoE4EjNS0_10empty_typeEbEEZZNS1_14partition_implILS8_4ELb0ES6_15HIP_vector_typeIjLj2EENS0_17counting_iteratorIjlEEPS9_SG_NS0_5tupleIJPjSI_NS0_16reverse_iteratorISI_EEEEENSH_IJSG_SG_SG_EEES9_SI_JZNS1_25segmented_radix_sort_implINS0_14default_configELb1EPKlPlSQ_SR_N2at6native12_GLOBAL__N_18offset_tEEE10hipError_tPvRmT1_PNSt15iterator_traitsISZ_E10value_typeET2_T3_PNS10_IS15_E10value_typeET4_jRbjT5_S1B_jjP12ihipStream_tbEUljE_ZNSN_ISO_Lb1ESQ_SR_SQ_SR_SV_EESW_SX_SY_SZ_S13_S14_S15_S18_S19_jS1A_jS1B_S1B_jjS1D_bEUljE0_EEESW_SX_SY_S15_S19_S1B_T6_T7_T9_mT8_S1D_bDpT10_ENKUlT_T0_E_clISt17integral_constantIbLb1EES1R_EEDaS1M_S1N_EUlS1M_E_NS1_11comp_targetILNS1_3genE0ELNS1_11target_archE4294967295ELNS1_3gpuE0ELNS1_3repE0EEENS1_30default_config_static_selectorELNS0_4arch9wavefront6targetE0EEEvSZ_
    .private_segment_fixed_size: 0
    .sgpr_count:     0
    .sgpr_spill_count: 0
    .symbol:         _ZN7rocprim17ROCPRIM_400000_NS6detail17trampoline_kernelINS0_13select_configILj256ELj13ELNS0_17block_load_methodE3ELS4_3ELS4_3ELNS0_20block_scan_algorithmE0ELj4294967295EEENS1_25partition_config_selectorILNS1_17partition_subalgoE4EjNS0_10empty_typeEbEEZZNS1_14partition_implILS8_4ELb0ES6_15HIP_vector_typeIjLj2EENS0_17counting_iteratorIjlEEPS9_SG_NS0_5tupleIJPjSI_NS0_16reverse_iteratorISI_EEEEENSH_IJSG_SG_SG_EEES9_SI_JZNS1_25segmented_radix_sort_implINS0_14default_configELb1EPKlPlSQ_SR_N2at6native12_GLOBAL__N_18offset_tEEE10hipError_tPvRmT1_PNSt15iterator_traitsISZ_E10value_typeET2_T3_PNS10_IS15_E10value_typeET4_jRbjT5_S1B_jjP12ihipStream_tbEUljE_ZNSN_ISO_Lb1ESQ_SR_SQ_SR_SV_EESW_SX_SY_SZ_S13_S14_S15_S18_S19_jS1A_jS1B_S1B_jjS1D_bEUljE0_EEESW_SX_SY_S15_S19_S1B_T6_T7_T9_mT8_S1D_bDpT10_ENKUlT_T0_E_clISt17integral_constantIbLb1EES1R_EEDaS1M_S1N_EUlS1M_E_NS1_11comp_targetILNS1_3genE0ELNS1_11target_archE4294967295ELNS1_3gpuE0ELNS1_3repE0EEENS1_30default_config_static_selectorELNS0_4arch9wavefront6targetE0EEEvSZ_.kd
    .uniform_work_group_size: 1
    .uses_dynamic_stack: false
    .vgpr_count:     0
    .vgpr_spill_count: 0
    .wavefront_size: 32
    .workgroup_processor_mode: 1
  - .args:
      - .offset:         0
        .size:           184
        .value_kind:     by_value
    .group_segment_fixed_size: 0
    .kernarg_segment_align: 8
    .kernarg_segment_size: 184
    .language:       OpenCL C
    .language_version:
      - 2
      - 0
    .max_flat_workgroup_size: 256
    .name:           _ZN7rocprim17ROCPRIM_400000_NS6detail17trampoline_kernelINS0_13select_configILj256ELj13ELNS0_17block_load_methodE3ELS4_3ELS4_3ELNS0_20block_scan_algorithmE0ELj4294967295EEENS1_25partition_config_selectorILNS1_17partition_subalgoE4EjNS0_10empty_typeEbEEZZNS1_14partition_implILS8_4ELb0ES6_15HIP_vector_typeIjLj2EENS0_17counting_iteratorIjlEEPS9_SG_NS0_5tupleIJPjSI_NS0_16reverse_iteratorISI_EEEEENSH_IJSG_SG_SG_EEES9_SI_JZNS1_25segmented_radix_sort_implINS0_14default_configELb1EPKlPlSQ_SR_N2at6native12_GLOBAL__N_18offset_tEEE10hipError_tPvRmT1_PNSt15iterator_traitsISZ_E10value_typeET2_T3_PNS10_IS15_E10value_typeET4_jRbjT5_S1B_jjP12ihipStream_tbEUljE_ZNSN_ISO_Lb1ESQ_SR_SQ_SR_SV_EESW_SX_SY_SZ_S13_S14_S15_S18_S19_jS1A_jS1B_S1B_jjS1D_bEUljE0_EEESW_SX_SY_S15_S19_S1B_T6_T7_T9_mT8_S1D_bDpT10_ENKUlT_T0_E_clISt17integral_constantIbLb1EES1R_EEDaS1M_S1N_EUlS1M_E_NS1_11comp_targetILNS1_3genE5ELNS1_11target_archE942ELNS1_3gpuE9ELNS1_3repE0EEENS1_30default_config_static_selectorELNS0_4arch9wavefront6targetE0EEEvSZ_
    .private_segment_fixed_size: 0
    .sgpr_count:     0
    .sgpr_spill_count: 0
    .symbol:         _ZN7rocprim17ROCPRIM_400000_NS6detail17trampoline_kernelINS0_13select_configILj256ELj13ELNS0_17block_load_methodE3ELS4_3ELS4_3ELNS0_20block_scan_algorithmE0ELj4294967295EEENS1_25partition_config_selectorILNS1_17partition_subalgoE4EjNS0_10empty_typeEbEEZZNS1_14partition_implILS8_4ELb0ES6_15HIP_vector_typeIjLj2EENS0_17counting_iteratorIjlEEPS9_SG_NS0_5tupleIJPjSI_NS0_16reverse_iteratorISI_EEEEENSH_IJSG_SG_SG_EEES9_SI_JZNS1_25segmented_radix_sort_implINS0_14default_configELb1EPKlPlSQ_SR_N2at6native12_GLOBAL__N_18offset_tEEE10hipError_tPvRmT1_PNSt15iterator_traitsISZ_E10value_typeET2_T3_PNS10_IS15_E10value_typeET4_jRbjT5_S1B_jjP12ihipStream_tbEUljE_ZNSN_ISO_Lb1ESQ_SR_SQ_SR_SV_EESW_SX_SY_SZ_S13_S14_S15_S18_S19_jS1A_jS1B_S1B_jjS1D_bEUljE0_EEESW_SX_SY_S15_S19_S1B_T6_T7_T9_mT8_S1D_bDpT10_ENKUlT_T0_E_clISt17integral_constantIbLb1EES1R_EEDaS1M_S1N_EUlS1M_E_NS1_11comp_targetILNS1_3genE5ELNS1_11target_archE942ELNS1_3gpuE9ELNS1_3repE0EEENS1_30default_config_static_selectorELNS0_4arch9wavefront6targetE0EEEvSZ_.kd
    .uniform_work_group_size: 1
    .uses_dynamic_stack: false
    .vgpr_count:     0
    .vgpr_spill_count: 0
    .wavefront_size: 32
    .workgroup_processor_mode: 1
  - .args:
      - .offset:         0
        .size:           184
        .value_kind:     by_value
    .group_segment_fixed_size: 0
    .kernarg_segment_align: 8
    .kernarg_segment_size: 184
    .language:       OpenCL C
    .language_version:
      - 2
      - 0
    .max_flat_workgroup_size: 256
    .name:           _ZN7rocprim17ROCPRIM_400000_NS6detail17trampoline_kernelINS0_13select_configILj256ELj13ELNS0_17block_load_methodE3ELS4_3ELS4_3ELNS0_20block_scan_algorithmE0ELj4294967295EEENS1_25partition_config_selectorILNS1_17partition_subalgoE4EjNS0_10empty_typeEbEEZZNS1_14partition_implILS8_4ELb0ES6_15HIP_vector_typeIjLj2EENS0_17counting_iteratorIjlEEPS9_SG_NS0_5tupleIJPjSI_NS0_16reverse_iteratorISI_EEEEENSH_IJSG_SG_SG_EEES9_SI_JZNS1_25segmented_radix_sort_implINS0_14default_configELb1EPKlPlSQ_SR_N2at6native12_GLOBAL__N_18offset_tEEE10hipError_tPvRmT1_PNSt15iterator_traitsISZ_E10value_typeET2_T3_PNS10_IS15_E10value_typeET4_jRbjT5_S1B_jjP12ihipStream_tbEUljE_ZNSN_ISO_Lb1ESQ_SR_SQ_SR_SV_EESW_SX_SY_SZ_S13_S14_S15_S18_S19_jS1A_jS1B_S1B_jjS1D_bEUljE0_EEESW_SX_SY_S15_S19_S1B_T6_T7_T9_mT8_S1D_bDpT10_ENKUlT_T0_E_clISt17integral_constantIbLb1EES1R_EEDaS1M_S1N_EUlS1M_E_NS1_11comp_targetILNS1_3genE4ELNS1_11target_archE910ELNS1_3gpuE8ELNS1_3repE0EEENS1_30default_config_static_selectorELNS0_4arch9wavefront6targetE0EEEvSZ_
    .private_segment_fixed_size: 0
    .sgpr_count:     0
    .sgpr_spill_count: 0
    .symbol:         _ZN7rocprim17ROCPRIM_400000_NS6detail17trampoline_kernelINS0_13select_configILj256ELj13ELNS0_17block_load_methodE3ELS4_3ELS4_3ELNS0_20block_scan_algorithmE0ELj4294967295EEENS1_25partition_config_selectorILNS1_17partition_subalgoE4EjNS0_10empty_typeEbEEZZNS1_14partition_implILS8_4ELb0ES6_15HIP_vector_typeIjLj2EENS0_17counting_iteratorIjlEEPS9_SG_NS0_5tupleIJPjSI_NS0_16reverse_iteratorISI_EEEEENSH_IJSG_SG_SG_EEES9_SI_JZNS1_25segmented_radix_sort_implINS0_14default_configELb1EPKlPlSQ_SR_N2at6native12_GLOBAL__N_18offset_tEEE10hipError_tPvRmT1_PNSt15iterator_traitsISZ_E10value_typeET2_T3_PNS10_IS15_E10value_typeET4_jRbjT5_S1B_jjP12ihipStream_tbEUljE_ZNSN_ISO_Lb1ESQ_SR_SQ_SR_SV_EESW_SX_SY_SZ_S13_S14_S15_S18_S19_jS1A_jS1B_S1B_jjS1D_bEUljE0_EEESW_SX_SY_S15_S19_S1B_T6_T7_T9_mT8_S1D_bDpT10_ENKUlT_T0_E_clISt17integral_constantIbLb1EES1R_EEDaS1M_S1N_EUlS1M_E_NS1_11comp_targetILNS1_3genE4ELNS1_11target_archE910ELNS1_3gpuE8ELNS1_3repE0EEENS1_30default_config_static_selectorELNS0_4arch9wavefront6targetE0EEEvSZ_.kd
    .uniform_work_group_size: 1
    .uses_dynamic_stack: false
    .vgpr_count:     0
    .vgpr_spill_count: 0
    .wavefront_size: 32
    .workgroup_processor_mode: 1
  - .args:
      - .offset:         0
        .size:           184
        .value_kind:     by_value
    .group_segment_fixed_size: 0
    .kernarg_segment_align: 8
    .kernarg_segment_size: 184
    .language:       OpenCL C
    .language_version:
      - 2
      - 0
    .max_flat_workgroup_size: 256
    .name:           _ZN7rocprim17ROCPRIM_400000_NS6detail17trampoline_kernelINS0_13select_configILj256ELj13ELNS0_17block_load_methodE3ELS4_3ELS4_3ELNS0_20block_scan_algorithmE0ELj4294967295EEENS1_25partition_config_selectorILNS1_17partition_subalgoE4EjNS0_10empty_typeEbEEZZNS1_14partition_implILS8_4ELb0ES6_15HIP_vector_typeIjLj2EENS0_17counting_iteratorIjlEEPS9_SG_NS0_5tupleIJPjSI_NS0_16reverse_iteratorISI_EEEEENSH_IJSG_SG_SG_EEES9_SI_JZNS1_25segmented_radix_sort_implINS0_14default_configELb1EPKlPlSQ_SR_N2at6native12_GLOBAL__N_18offset_tEEE10hipError_tPvRmT1_PNSt15iterator_traitsISZ_E10value_typeET2_T3_PNS10_IS15_E10value_typeET4_jRbjT5_S1B_jjP12ihipStream_tbEUljE_ZNSN_ISO_Lb1ESQ_SR_SQ_SR_SV_EESW_SX_SY_SZ_S13_S14_S15_S18_S19_jS1A_jS1B_S1B_jjS1D_bEUljE0_EEESW_SX_SY_S15_S19_S1B_T6_T7_T9_mT8_S1D_bDpT10_ENKUlT_T0_E_clISt17integral_constantIbLb1EES1R_EEDaS1M_S1N_EUlS1M_E_NS1_11comp_targetILNS1_3genE3ELNS1_11target_archE908ELNS1_3gpuE7ELNS1_3repE0EEENS1_30default_config_static_selectorELNS0_4arch9wavefront6targetE0EEEvSZ_
    .private_segment_fixed_size: 0
    .sgpr_count:     0
    .sgpr_spill_count: 0
    .symbol:         _ZN7rocprim17ROCPRIM_400000_NS6detail17trampoline_kernelINS0_13select_configILj256ELj13ELNS0_17block_load_methodE3ELS4_3ELS4_3ELNS0_20block_scan_algorithmE0ELj4294967295EEENS1_25partition_config_selectorILNS1_17partition_subalgoE4EjNS0_10empty_typeEbEEZZNS1_14partition_implILS8_4ELb0ES6_15HIP_vector_typeIjLj2EENS0_17counting_iteratorIjlEEPS9_SG_NS0_5tupleIJPjSI_NS0_16reverse_iteratorISI_EEEEENSH_IJSG_SG_SG_EEES9_SI_JZNS1_25segmented_radix_sort_implINS0_14default_configELb1EPKlPlSQ_SR_N2at6native12_GLOBAL__N_18offset_tEEE10hipError_tPvRmT1_PNSt15iterator_traitsISZ_E10value_typeET2_T3_PNS10_IS15_E10value_typeET4_jRbjT5_S1B_jjP12ihipStream_tbEUljE_ZNSN_ISO_Lb1ESQ_SR_SQ_SR_SV_EESW_SX_SY_SZ_S13_S14_S15_S18_S19_jS1A_jS1B_S1B_jjS1D_bEUljE0_EEESW_SX_SY_S15_S19_S1B_T6_T7_T9_mT8_S1D_bDpT10_ENKUlT_T0_E_clISt17integral_constantIbLb1EES1R_EEDaS1M_S1N_EUlS1M_E_NS1_11comp_targetILNS1_3genE3ELNS1_11target_archE908ELNS1_3gpuE7ELNS1_3repE0EEENS1_30default_config_static_selectorELNS0_4arch9wavefront6targetE0EEEvSZ_.kd
    .uniform_work_group_size: 1
    .uses_dynamic_stack: false
    .vgpr_count:     0
    .vgpr_spill_count: 0
    .wavefront_size: 32
    .workgroup_processor_mode: 1
  - .args:
      - .offset:         0
        .size:           184
        .value_kind:     by_value
    .group_segment_fixed_size: 0
    .kernarg_segment_align: 8
    .kernarg_segment_size: 184
    .language:       OpenCL C
    .language_version:
      - 2
      - 0
    .max_flat_workgroup_size: 256
    .name:           _ZN7rocprim17ROCPRIM_400000_NS6detail17trampoline_kernelINS0_13select_configILj256ELj13ELNS0_17block_load_methodE3ELS4_3ELS4_3ELNS0_20block_scan_algorithmE0ELj4294967295EEENS1_25partition_config_selectorILNS1_17partition_subalgoE4EjNS0_10empty_typeEbEEZZNS1_14partition_implILS8_4ELb0ES6_15HIP_vector_typeIjLj2EENS0_17counting_iteratorIjlEEPS9_SG_NS0_5tupleIJPjSI_NS0_16reverse_iteratorISI_EEEEENSH_IJSG_SG_SG_EEES9_SI_JZNS1_25segmented_radix_sort_implINS0_14default_configELb1EPKlPlSQ_SR_N2at6native12_GLOBAL__N_18offset_tEEE10hipError_tPvRmT1_PNSt15iterator_traitsISZ_E10value_typeET2_T3_PNS10_IS15_E10value_typeET4_jRbjT5_S1B_jjP12ihipStream_tbEUljE_ZNSN_ISO_Lb1ESQ_SR_SQ_SR_SV_EESW_SX_SY_SZ_S13_S14_S15_S18_S19_jS1A_jS1B_S1B_jjS1D_bEUljE0_EEESW_SX_SY_S15_S19_S1B_T6_T7_T9_mT8_S1D_bDpT10_ENKUlT_T0_E_clISt17integral_constantIbLb1EES1R_EEDaS1M_S1N_EUlS1M_E_NS1_11comp_targetILNS1_3genE2ELNS1_11target_archE906ELNS1_3gpuE6ELNS1_3repE0EEENS1_30default_config_static_selectorELNS0_4arch9wavefront6targetE0EEEvSZ_
    .private_segment_fixed_size: 0
    .sgpr_count:     0
    .sgpr_spill_count: 0
    .symbol:         _ZN7rocprim17ROCPRIM_400000_NS6detail17trampoline_kernelINS0_13select_configILj256ELj13ELNS0_17block_load_methodE3ELS4_3ELS4_3ELNS0_20block_scan_algorithmE0ELj4294967295EEENS1_25partition_config_selectorILNS1_17partition_subalgoE4EjNS0_10empty_typeEbEEZZNS1_14partition_implILS8_4ELb0ES6_15HIP_vector_typeIjLj2EENS0_17counting_iteratorIjlEEPS9_SG_NS0_5tupleIJPjSI_NS0_16reverse_iteratorISI_EEEEENSH_IJSG_SG_SG_EEES9_SI_JZNS1_25segmented_radix_sort_implINS0_14default_configELb1EPKlPlSQ_SR_N2at6native12_GLOBAL__N_18offset_tEEE10hipError_tPvRmT1_PNSt15iterator_traitsISZ_E10value_typeET2_T3_PNS10_IS15_E10value_typeET4_jRbjT5_S1B_jjP12ihipStream_tbEUljE_ZNSN_ISO_Lb1ESQ_SR_SQ_SR_SV_EESW_SX_SY_SZ_S13_S14_S15_S18_S19_jS1A_jS1B_S1B_jjS1D_bEUljE0_EEESW_SX_SY_S15_S19_S1B_T6_T7_T9_mT8_S1D_bDpT10_ENKUlT_T0_E_clISt17integral_constantIbLb1EES1R_EEDaS1M_S1N_EUlS1M_E_NS1_11comp_targetILNS1_3genE2ELNS1_11target_archE906ELNS1_3gpuE6ELNS1_3repE0EEENS1_30default_config_static_selectorELNS0_4arch9wavefront6targetE0EEEvSZ_.kd
    .uniform_work_group_size: 1
    .uses_dynamic_stack: false
    .vgpr_count:     0
    .vgpr_spill_count: 0
    .wavefront_size: 32
    .workgroup_processor_mode: 1
  - .args:
      - .offset:         0
        .size:           184
        .value_kind:     by_value
    .group_segment_fixed_size: 0
    .kernarg_segment_align: 8
    .kernarg_segment_size: 184
    .language:       OpenCL C
    .language_version:
      - 2
      - 0
    .max_flat_workgroup_size: 256
    .name:           _ZN7rocprim17ROCPRIM_400000_NS6detail17trampoline_kernelINS0_13select_configILj256ELj13ELNS0_17block_load_methodE3ELS4_3ELS4_3ELNS0_20block_scan_algorithmE0ELj4294967295EEENS1_25partition_config_selectorILNS1_17partition_subalgoE4EjNS0_10empty_typeEbEEZZNS1_14partition_implILS8_4ELb0ES6_15HIP_vector_typeIjLj2EENS0_17counting_iteratorIjlEEPS9_SG_NS0_5tupleIJPjSI_NS0_16reverse_iteratorISI_EEEEENSH_IJSG_SG_SG_EEES9_SI_JZNS1_25segmented_radix_sort_implINS0_14default_configELb1EPKlPlSQ_SR_N2at6native12_GLOBAL__N_18offset_tEEE10hipError_tPvRmT1_PNSt15iterator_traitsISZ_E10value_typeET2_T3_PNS10_IS15_E10value_typeET4_jRbjT5_S1B_jjP12ihipStream_tbEUljE_ZNSN_ISO_Lb1ESQ_SR_SQ_SR_SV_EESW_SX_SY_SZ_S13_S14_S15_S18_S19_jS1A_jS1B_S1B_jjS1D_bEUljE0_EEESW_SX_SY_S15_S19_S1B_T6_T7_T9_mT8_S1D_bDpT10_ENKUlT_T0_E_clISt17integral_constantIbLb1EES1R_EEDaS1M_S1N_EUlS1M_E_NS1_11comp_targetILNS1_3genE10ELNS1_11target_archE1200ELNS1_3gpuE4ELNS1_3repE0EEENS1_30default_config_static_selectorELNS0_4arch9wavefront6targetE0EEEvSZ_
    .private_segment_fixed_size: 0
    .sgpr_count:     0
    .sgpr_spill_count: 0
    .symbol:         _ZN7rocprim17ROCPRIM_400000_NS6detail17trampoline_kernelINS0_13select_configILj256ELj13ELNS0_17block_load_methodE3ELS4_3ELS4_3ELNS0_20block_scan_algorithmE0ELj4294967295EEENS1_25partition_config_selectorILNS1_17partition_subalgoE4EjNS0_10empty_typeEbEEZZNS1_14partition_implILS8_4ELb0ES6_15HIP_vector_typeIjLj2EENS0_17counting_iteratorIjlEEPS9_SG_NS0_5tupleIJPjSI_NS0_16reverse_iteratorISI_EEEEENSH_IJSG_SG_SG_EEES9_SI_JZNS1_25segmented_radix_sort_implINS0_14default_configELb1EPKlPlSQ_SR_N2at6native12_GLOBAL__N_18offset_tEEE10hipError_tPvRmT1_PNSt15iterator_traitsISZ_E10value_typeET2_T3_PNS10_IS15_E10value_typeET4_jRbjT5_S1B_jjP12ihipStream_tbEUljE_ZNSN_ISO_Lb1ESQ_SR_SQ_SR_SV_EESW_SX_SY_SZ_S13_S14_S15_S18_S19_jS1A_jS1B_S1B_jjS1D_bEUljE0_EEESW_SX_SY_S15_S19_S1B_T6_T7_T9_mT8_S1D_bDpT10_ENKUlT_T0_E_clISt17integral_constantIbLb1EES1R_EEDaS1M_S1N_EUlS1M_E_NS1_11comp_targetILNS1_3genE10ELNS1_11target_archE1200ELNS1_3gpuE4ELNS1_3repE0EEENS1_30default_config_static_selectorELNS0_4arch9wavefront6targetE0EEEvSZ_.kd
    .uniform_work_group_size: 1
    .uses_dynamic_stack: false
    .vgpr_count:     0
    .vgpr_spill_count: 0
    .wavefront_size: 32
    .workgroup_processor_mode: 1
  - .args:
      - .offset:         0
        .size:           184
        .value_kind:     by_value
    .group_segment_fixed_size: 0
    .kernarg_segment_align: 8
    .kernarg_segment_size: 184
    .language:       OpenCL C
    .language_version:
      - 2
      - 0
    .max_flat_workgroup_size: 256
    .name:           _ZN7rocprim17ROCPRIM_400000_NS6detail17trampoline_kernelINS0_13select_configILj256ELj13ELNS0_17block_load_methodE3ELS4_3ELS4_3ELNS0_20block_scan_algorithmE0ELj4294967295EEENS1_25partition_config_selectorILNS1_17partition_subalgoE4EjNS0_10empty_typeEbEEZZNS1_14partition_implILS8_4ELb0ES6_15HIP_vector_typeIjLj2EENS0_17counting_iteratorIjlEEPS9_SG_NS0_5tupleIJPjSI_NS0_16reverse_iteratorISI_EEEEENSH_IJSG_SG_SG_EEES9_SI_JZNS1_25segmented_radix_sort_implINS0_14default_configELb1EPKlPlSQ_SR_N2at6native12_GLOBAL__N_18offset_tEEE10hipError_tPvRmT1_PNSt15iterator_traitsISZ_E10value_typeET2_T3_PNS10_IS15_E10value_typeET4_jRbjT5_S1B_jjP12ihipStream_tbEUljE_ZNSN_ISO_Lb1ESQ_SR_SQ_SR_SV_EESW_SX_SY_SZ_S13_S14_S15_S18_S19_jS1A_jS1B_S1B_jjS1D_bEUljE0_EEESW_SX_SY_S15_S19_S1B_T6_T7_T9_mT8_S1D_bDpT10_ENKUlT_T0_E_clISt17integral_constantIbLb1EES1R_EEDaS1M_S1N_EUlS1M_E_NS1_11comp_targetILNS1_3genE9ELNS1_11target_archE1100ELNS1_3gpuE3ELNS1_3repE0EEENS1_30default_config_static_selectorELNS0_4arch9wavefront6targetE0EEEvSZ_
    .private_segment_fixed_size: 0
    .sgpr_count:     0
    .sgpr_spill_count: 0
    .symbol:         _ZN7rocprim17ROCPRIM_400000_NS6detail17trampoline_kernelINS0_13select_configILj256ELj13ELNS0_17block_load_methodE3ELS4_3ELS4_3ELNS0_20block_scan_algorithmE0ELj4294967295EEENS1_25partition_config_selectorILNS1_17partition_subalgoE4EjNS0_10empty_typeEbEEZZNS1_14partition_implILS8_4ELb0ES6_15HIP_vector_typeIjLj2EENS0_17counting_iteratorIjlEEPS9_SG_NS0_5tupleIJPjSI_NS0_16reverse_iteratorISI_EEEEENSH_IJSG_SG_SG_EEES9_SI_JZNS1_25segmented_radix_sort_implINS0_14default_configELb1EPKlPlSQ_SR_N2at6native12_GLOBAL__N_18offset_tEEE10hipError_tPvRmT1_PNSt15iterator_traitsISZ_E10value_typeET2_T3_PNS10_IS15_E10value_typeET4_jRbjT5_S1B_jjP12ihipStream_tbEUljE_ZNSN_ISO_Lb1ESQ_SR_SQ_SR_SV_EESW_SX_SY_SZ_S13_S14_S15_S18_S19_jS1A_jS1B_S1B_jjS1D_bEUljE0_EEESW_SX_SY_S15_S19_S1B_T6_T7_T9_mT8_S1D_bDpT10_ENKUlT_T0_E_clISt17integral_constantIbLb1EES1R_EEDaS1M_S1N_EUlS1M_E_NS1_11comp_targetILNS1_3genE9ELNS1_11target_archE1100ELNS1_3gpuE3ELNS1_3repE0EEENS1_30default_config_static_selectorELNS0_4arch9wavefront6targetE0EEEvSZ_.kd
    .uniform_work_group_size: 1
    .uses_dynamic_stack: false
    .vgpr_count:     0
    .vgpr_spill_count: 0
    .wavefront_size: 32
    .workgroup_processor_mode: 1
  - .args:
      - .offset:         0
        .size:           184
        .value_kind:     by_value
    .group_segment_fixed_size: 0
    .kernarg_segment_align: 8
    .kernarg_segment_size: 184
    .language:       OpenCL C
    .language_version:
      - 2
      - 0
    .max_flat_workgroup_size: 256
    .name:           _ZN7rocprim17ROCPRIM_400000_NS6detail17trampoline_kernelINS0_13select_configILj256ELj13ELNS0_17block_load_methodE3ELS4_3ELS4_3ELNS0_20block_scan_algorithmE0ELj4294967295EEENS1_25partition_config_selectorILNS1_17partition_subalgoE4EjNS0_10empty_typeEbEEZZNS1_14partition_implILS8_4ELb0ES6_15HIP_vector_typeIjLj2EENS0_17counting_iteratorIjlEEPS9_SG_NS0_5tupleIJPjSI_NS0_16reverse_iteratorISI_EEEEENSH_IJSG_SG_SG_EEES9_SI_JZNS1_25segmented_radix_sort_implINS0_14default_configELb1EPKlPlSQ_SR_N2at6native12_GLOBAL__N_18offset_tEEE10hipError_tPvRmT1_PNSt15iterator_traitsISZ_E10value_typeET2_T3_PNS10_IS15_E10value_typeET4_jRbjT5_S1B_jjP12ihipStream_tbEUljE_ZNSN_ISO_Lb1ESQ_SR_SQ_SR_SV_EESW_SX_SY_SZ_S13_S14_S15_S18_S19_jS1A_jS1B_S1B_jjS1D_bEUljE0_EEESW_SX_SY_S15_S19_S1B_T6_T7_T9_mT8_S1D_bDpT10_ENKUlT_T0_E_clISt17integral_constantIbLb1EES1R_EEDaS1M_S1N_EUlS1M_E_NS1_11comp_targetILNS1_3genE8ELNS1_11target_archE1030ELNS1_3gpuE2ELNS1_3repE0EEENS1_30default_config_static_selectorELNS0_4arch9wavefront6targetE0EEEvSZ_
    .private_segment_fixed_size: 0
    .sgpr_count:     0
    .sgpr_spill_count: 0
    .symbol:         _ZN7rocprim17ROCPRIM_400000_NS6detail17trampoline_kernelINS0_13select_configILj256ELj13ELNS0_17block_load_methodE3ELS4_3ELS4_3ELNS0_20block_scan_algorithmE0ELj4294967295EEENS1_25partition_config_selectorILNS1_17partition_subalgoE4EjNS0_10empty_typeEbEEZZNS1_14partition_implILS8_4ELb0ES6_15HIP_vector_typeIjLj2EENS0_17counting_iteratorIjlEEPS9_SG_NS0_5tupleIJPjSI_NS0_16reverse_iteratorISI_EEEEENSH_IJSG_SG_SG_EEES9_SI_JZNS1_25segmented_radix_sort_implINS0_14default_configELb1EPKlPlSQ_SR_N2at6native12_GLOBAL__N_18offset_tEEE10hipError_tPvRmT1_PNSt15iterator_traitsISZ_E10value_typeET2_T3_PNS10_IS15_E10value_typeET4_jRbjT5_S1B_jjP12ihipStream_tbEUljE_ZNSN_ISO_Lb1ESQ_SR_SQ_SR_SV_EESW_SX_SY_SZ_S13_S14_S15_S18_S19_jS1A_jS1B_S1B_jjS1D_bEUljE0_EEESW_SX_SY_S15_S19_S1B_T6_T7_T9_mT8_S1D_bDpT10_ENKUlT_T0_E_clISt17integral_constantIbLb1EES1R_EEDaS1M_S1N_EUlS1M_E_NS1_11comp_targetILNS1_3genE8ELNS1_11target_archE1030ELNS1_3gpuE2ELNS1_3repE0EEENS1_30default_config_static_selectorELNS0_4arch9wavefront6targetE0EEEvSZ_.kd
    .uniform_work_group_size: 1
    .uses_dynamic_stack: false
    .vgpr_count:     0
    .vgpr_spill_count: 0
    .wavefront_size: 32
    .workgroup_processor_mode: 1
  - .args:
      - .offset:         0
        .size:           176
        .value_kind:     by_value
    .group_segment_fixed_size: 0
    .kernarg_segment_align: 8
    .kernarg_segment_size: 176
    .language:       OpenCL C
    .language_version:
      - 2
      - 0
    .max_flat_workgroup_size: 256
    .name:           _ZN7rocprim17ROCPRIM_400000_NS6detail17trampoline_kernelINS0_13select_configILj256ELj13ELNS0_17block_load_methodE3ELS4_3ELS4_3ELNS0_20block_scan_algorithmE0ELj4294967295EEENS1_25partition_config_selectorILNS1_17partition_subalgoE4EjNS0_10empty_typeEbEEZZNS1_14partition_implILS8_4ELb0ES6_15HIP_vector_typeIjLj2EENS0_17counting_iteratorIjlEEPS9_SG_NS0_5tupleIJPjSI_NS0_16reverse_iteratorISI_EEEEENSH_IJSG_SG_SG_EEES9_SI_JZNS1_25segmented_radix_sort_implINS0_14default_configELb1EPKlPlSQ_SR_N2at6native12_GLOBAL__N_18offset_tEEE10hipError_tPvRmT1_PNSt15iterator_traitsISZ_E10value_typeET2_T3_PNS10_IS15_E10value_typeET4_jRbjT5_S1B_jjP12ihipStream_tbEUljE_ZNSN_ISO_Lb1ESQ_SR_SQ_SR_SV_EESW_SX_SY_SZ_S13_S14_S15_S18_S19_jS1A_jS1B_S1B_jjS1D_bEUljE0_EEESW_SX_SY_S15_S19_S1B_T6_T7_T9_mT8_S1D_bDpT10_ENKUlT_T0_E_clISt17integral_constantIbLb1EES1Q_IbLb0EEEEDaS1M_S1N_EUlS1M_E_NS1_11comp_targetILNS1_3genE0ELNS1_11target_archE4294967295ELNS1_3gpuE0ELNS1_3repE0EEENS1_30default_config_static_selectorELNS0_4arch9wavefront6targetE0EEEvSZ_
    .private_segment_fixed_size: 0
    .sgpr_count:     0
    .sgpr_spill_count: 0
    .symbol:         _ZN7rocprim17ROCPRIM_400000_NS6detail17trampoline_kernelINS0_13select_configILj256ELj13ELNS0_17block_load_methodE3ELS4_3ELS4_3ELNS0_20block_scan_algorithmE0ELj4294967295EEENS1_25partition_config_selectorILNS1_17partition_subalgoE4EjNS0_10empty_typeEbEEZZNS1_14partition_implILS8_4ELb0ES6_15HIP_vector_typeIjLj2EENS0_17counting_iteratorIjlEEPS9_SG_NS0_5tupleIJPjSI_NS0_16reverse_iteratorISI_EEEEENSH_IJSG_SG_SG_EEES9_SI_JZNS1_25segmented_radix_sort_implINS0_14default_configELb1EPKlPlSQ_SR_N2at6native12_GLOBAL__N_18offset_tEEE10hipError_tPvRmT1_PNSt15iterator_traitsISZ_E10value_typeET2_T3_PNS10_IS15_E10value_typeET4_jRbjT5_S1B_jjP12ihipStream_tbEUljE_ZNSN_ISO_Lb1ESQ_SR_SQ_SR_SV_EESW_SX_SY_SZ_S13_S14_S15_S18_S19_jS1A_jS1B_S1B_jjS1D_bEUljE0_EEESW_SX_SY_S15_S19_S1B_T6_T7_T9_mT8_S1D_bDpT10_ENKUlT_T0_E_clISt17integral_constantIbLb1EES1Q_IbLb0EEEEDaS1M_S1N_EUlS1M_E_NS1_11comp_targetILNS1_3genE0ELNS1_11target_archE4294967295ELNS1_3gpuE0ELNS1_3repE0EEENS1_30default_config_static_selectorELNS0_4arch9wavefront6targetE0EEEvSZ_.kd
    .uniform_work_group_size: 1
    .uses_dynamic_stack: false
    .vgpr_count:     0
    .vgpr_spill_count: 0
    .wavefront_size: 32
    .workgroup_processor_mode: 1
  - .args:
      - .offset:         0
        .size:           176
        .value_kind:     by_value
    .group_segment_fixed_size: 0
    .kernarg_segment_align: 8
    .kernarg_segment_size: 176
    .language:       OpenCL C
    .language_version:
      - 2
      - 0
    .max_flat_workgroup_size: 256
    .name:           _ZN7rocprim17ROCPRIM_400000_NS6detail17trampoline_kernelINS0_13select_configILj256ELj13ELNS0_17block_load_methodE3ELS4_3ELS4_3ELNS0_20block_scan_algorithmE0ELj4294967295EEENS1_25partition_config_selectorILNS1_17partition_subalgoE4EjNS0_10empty_typeEbEEZZNS1_14partition_implILS8_4ELb0ES6_15HIP_vector_typeIjLj2EENS0_17counting_iteratorIjlEEPS9_SG_NS0_5tupleIJPjSI_NS0_16reverse_iteratorISI_EEEEENSH_IJSG_SG_SG_EEES9_SI_JZNS1_25segmented_radix_sort_implINS0_14default_configELb1EPKlPlSQ_SR_N2at6native12_GLOBAL__N_18offset_tEEE10hipError_tPvRmT1_PNSt15iterator_traitsISZ_E10value_typeET2_T3_PNS10_IS15_E10value_typeET4_jRbjT5_S1B_jjP12ihipStream_tbEUljE_ZNSN_ISO_Lb1ESQ_SR_SQ_SR_SV_EESW_SX_SY_SZ_S13_S14_S15_S18_S19_jS1A_jS1B_S1B_jjS1D_bEUljE0_EEESW_SX_SY_S15_S19_S1B_T6_T7_T9_mT8_S1D_bDpT10_ENKUlT_T0_E_clISt17integral_constantIbLb1EES1Q_IbLb0EEEEDaS1M_S1N_EUlS1M_E_NS1_11comp_targetILNS1_3genE5ELNS1_11target_archE942ELNS1_3gpuE9ELNS1_3repE0EEENS1_30default_config_static_selectorELNS0_4arch9wavefront6targetE0EEEvSZ_
    .private_segment_fixed_size: 0
    .sgpr_count:     0
    .sgpr_spill_count: 0
    .symbol:         _ZN7rocprim17ROCPRIM_400000_NS6detail17trampoline_kernelINS0_13select_configILj256ELj13ELNS0_17block_load_methodE3ELS4_3ELS4_3ELNS0_20block_scan_algorithmE0ELj4294967295EEENS1_25partition_config_selectorILNS1_17partition_subalgoE4EjNS0_10empty_typeEbEEZZNS1_14partition_implILS8_4ELb0ES6_15HIP_vector_typeIjLj2EENS0_17counting_iteratorIjlEEPS9_SG_NS0_5tupleIJPjSI_NS0_16reverse_iteratorISI_EEEEENSH_IJSG_SG_SG_EEES9_SI_JZNS1_25segmented_radix_sort_implINS0_14default_configELb1EPKlPlSQ_SR_N2at6native12_GLOBAL__N_18offset_tEEE10hipError_tPvRmT1_PNSt15iterator_traitsISZ_E10value_typeET2_T3_PNS10_IS15_E10value_typeET4_jRbjT5_S1B_jjP12ihipStream_tbEUljE_ZNSN_ISO_Lb1ESQ_SR_SQ_SR_SV_EESW_SX_SY_SZ_S13_S14_S15_S18_S19_jS1A_jS1B_S1B_jjS1D_bEUljE0_EEESW_SX_SY_S15_S19_S1B_T6_T7_T9_mT8_S1D_bDpT10_ENKUlT_T0_E_clISt17integral_constantIbLb1EES1Q_IbLb0EEEEDaS1M_S1N_EUlS1M_E_NS1_11comp_targetILNS1_3genE5ELNS1_11target_archE942ELNS1_3gpuE9ELNS1_3repE0EEENS1_30default_config_static_selectorELNS0_4arch9wavefront6targetE0EEEvSZ_.kd
    .uniform_work_group_size: 1
    .uses_dynamic_stack: false
    .vgpr_count:     0
    .vgpr_spill_count: 0
    .wavefront_size: 32
    .workgroup_processor_mode: 1
  - .args:
      - .offset:         0
        .size:           176
        .value_kind:     by_value
    .group_segment_fixed_size: 0
    .kernarg_segment_align: 8
    .kernarg_segment_size: 176
    .language:       OpenCL C
    .language_version:
      - 2
      - 0
    .max_flat_workgroup_size: 256
    .name:           _ZN7rocprim17ROCPRIM_400000_NS6detail17trampoline_kernelINS0_13select_configILj256ELj13ELNS0_17block_load_methodE3ELS4_3ELS4_3ELNS0_20block_scan_algorithmE0ELj4294967295EEENS1_25partition_config_selectorILNS1_17partition_subalgoE4EjNS0_10empty_typeEbEEZZNS1_14partition_implILS8_4ELb0ES6_15HIP_vector_typeIjLj2EENS0_17counting_iteratorIjlEEPS9_SG_NS0_5tupleIJPjSI_NS0_16reverse_iteratorISI_EEEEENSH_IJSG_SG_SG_EEES9_SI_JZNS1_25segmented_radix_sort_implINS0_14default_configELb1EPKlPlSQ_SR_N2at6native12_GLOBAL__N_18offset_tEEE10hipError_tPvRmT1_PNSt15iterator_traitsISZ_E10value_typeET2_T3_PNS10_IS15_E10value_typeET4_jRbjT5_S1B_jjP12ihipStream_tbEUljE_ZNSN_ISO_Lb1ESQ_SR_SQ_SR_SV_EESW_SX_SY_SZ_S13_S14_S15_S18_S19_jS1A_jS1B_S1B_jjS1D_bEUljE0_EEESW_SX_SY_S15_S19_S1B_T6_T7_T9_mT8_S1D_bDpT10_ENKUlT_T0_E_clISt17integral_constantIbLb1EES1Q_IbLb0EEEEDaS1M_S1N_EUlS1M_E_NS1_11comp_targetILNS1_3genE4ELNS1_11target_archE910ELNS1_3gpuE8ELNS1_3repE0EEENS1_30default_config_static_selectorELNS0_4arch9wavefront6targetE0EEEvSZ_
    .private_segment_fixed_size: 0
    .sgpr_count:     0
    .sgpr_spill_count: 0
    .symbol:         _ZN7rocprim17ROCPRIM_400000_NS6detail17trampoline_kernelINS0_13select_configILj256ELj13ELNS0_17block_load_methodE3ELS4_3ELS4_3ELNS0_20block_scan_algorithmE0ELj4294967295EEENS1_25partition_config_selectorILNS1_17partition_subalgoE4EjNS0_10empty_typeEbEEZZNS1_14partition_implILS8_4ELb0ES6_15HIP_vector_typeIjLj2EENS0_17counting_iteratorIjlEEPS9_SG_NS0_5tupleIJPjSI_NS0_16reverse_iteratorISI_EEEEENSH_IJSG_SG_SG_EEES9_SI_JZNS1_25segmented_radix_sort_implINS0_14default_configELb1EPKlPlSQ_SR_N2at6native12_GLOBAL__N_18offset_tEEE10hipError_tPvRmT1_PNSt15iterator_traitsISZ_E10value_typeET2_T3_PNS10_IS15_E10value_typeET4_jRbjT5_S1B_jjP12ihipStream_tbEUljE_ZNSN_ISO_Lb1ESQ_SR_SQ_SR_SV_EESW_SX_SY_SZ_S13_S14_S15_S18_S19_jS1A_jS1B_S1B_jjS1D_bEUljE0_EEESW_SX_SY_S15_S19_S1B_T6_T7_T9_mT8_S1D_bDpT10_ENKUlT_T0_E_clISt17integral_constantIbLb1EES1Q_IbLb0EEEEDaS1M_S1N_EUlS1M_E_NS1_11comp_targetILNS1_3genE4ELNS1_11target_archE910ELNS1_3gpuE8ELNS1_3repE0EEENS1_30default_config_static_selectorELNS0_4arch9wavefront6targetE0EEEvSZ_.kd
    .uniform_work_group_size: 1
    .uses_dynamic_stack: false
    .vgpr_count:     0
    .vgpr_spill_count: 0
    .wavefront_size: 32
    .workgroup_processor_mode: 1
  - .args:
      - .offset:         0
        .size:           176
        .value_kind:     by_value
    .group_segment_fixed_size: 0
    .kernarg_segment_align: 8
    .kernarg_segment_size: 176
    .language:       OpenCL C
    .language_version:
      - 2
      - 0
    .max_flat_workgroup_size: 256
    .name:           _ZN7rocprim17ROCPRIM_400000_NS6detail17trampoline_kernelINS0_13select_configILj256ELj13ELNS0_17block_load_methodE3ELS4_3ELS4_3ELNS0_20block_scan_algorithmE0ELj4294967295EEENS1_25partition_config_selectorILNS1_17partition_subalgoE4EjNS0_10empty_typeEbEEZZNS1_14partition_implILS8_4ELb0ES6_15HIP_vector_typeIjLj2EENS0_17counting_iteratorIjlEEPS9_SG_NS0_5tupleIJPjSI_NS0_16reverse_iteratorISI_EEEEENSH_IJSG_SG_SG_EEES9_SI_JZNS1_25segmented_radix_sort_implINS0_14default_configELb1EPKlPlSQ_SR_N2at6native12_GLOBAL__N_18offset_tEEE10hipError_tPvRmT1_PNSt15iterator_traitsISZ_E10value_typeET2_T3_PNS10_IS15_E10value_typeET4_jRbjT5_S1B_jjP12ihipStream_tbEUljE_ZNSN_ISO_Lb1ESQ_SR_SQ_SR_SV_EESW_SX_SY_SZ_S13_S14_S15_S18_S19_jS1A_jS1B_S1B_jjS1D_bEUljE0_EEESW_SX_SY_S15_S19_S1B_T6_T7_T9_mT8_S1D_bDpT10_ENKUlT_T0_E_clISt17integral_constantIbLb1EES1Q_IbLb0EEEEDaS1M_S1N_EUlS1M_E_NS1_11comp_targetILNS1_3genE3ELNS1_11target_archE908ELNS1_3gpuE7ELNS1_3repE0EEENS1_30default_config_static_selectorELNS0_4arch9wavefront6targetE0EEEvSZ_
    .private_segment_fixed_size: 0
    .sgpr_count:     0
    .sgpr_spill_count: 0
    .symbol:         _ZN7rocprim17ROCPRIM_400000_NS6detail17trampoline_kernelINS0_13select_configILj256ELj13ELNS0_17block_load_methodE3ELS4_3ELS4_3ELNS0_20block_scan_algorithmE0ELj4294967295EEENS1_25partition_config_selectorILNS1_17partition_subalgoE4EjNS0_10empty_typeEbEEZZNS1_14partition_implILS8_4ELb0ES6_15HIP_vector_typeIjLj2EENS0_17counting_iteratorIjlEEPS9_SG_NS0_5tupleIJPjSI_NS0_16reverse_iteratorISI_EEEEENSH_IJSG_SG_SG_EEES9_SI_JZNS1_25segmented_radix_sort_implINS0_14default_configELb1EPKlPlSQ_SR_N2at6native12_GLOBAL__N_18offset_tEEE10hipError_tPvRmT1_PNSt15iterator_traitsISZ_E10value_typeET2_T3_PNS10_IS15_E10value_typeET4_jRbjT5_S1B_jjP12ihipStream_tbEUljE_ZNSN_ISO_Lb1ESQ_SR_SQ_SR_SV_EESW_SX_SY_SZ_S13_S14_S15_S18_S19_jS1A_jS1B_S1B_jjS1D_bEUljE0_EEESW_SX_SY_S15_S19_S1B_T6_T7_T9_mT8_S1D_bDpT10_ENKUlT_T0_E_clISt17integral_constantIbLb1EES1Q_IbLb0EEEEDaS1M_S1N_EUlS1M_E_NS1_11comp_targetILNS1_3genE3ELNS1_11target_archE908ELNS1_3gpuE7ELNS1_3repE0EEENS1_30default_config_static_selectorELNS0_4arch9wavefront6targetE0EEEvSZ_.kd
    .uniform_work_group_size: 1
    .uses_dynamic_stack: false
    .vgpr_count:     0
    .vgpr_spill_count: 0
    .wavefront_size: 32
    .workgroup_processor_mode: 1
  - .args:
      - .offset:         0
        .size:           176
        .value_kind:     by_value
    .group_segment_fixed_size: 0
    .kernarg_segment_align: 8
    .kernarg_segment_size: 176
    .language:       OpenCL C
    .language_version:
      - 2
      - 0
    .max_flat_workgroup_size: 256
    .name:           _ZN7rocprim17ROCPRIM_400000_NS6detail17trampoline_kernelINS0_13select_configILj256ELj13ELNS0_17block_load_methodE3ELS4_3ELS4_3ELNS0_20block_scan_algorithmE0ELj4294967295EEENS1_25partition_config_selectorILNS1_17partition_subalgoE4EjNS0_10empty_typeEbEEZZNS1_14partition_implILS8_4ELb0ES6_15HIP_vector_typeIjLj2EENS0_17counting_iteratorIjlEEPS9_SG_NS0_5tupleIJPjSI_NS0_16reverse_iteratorISI_EEEEENSH_IJSG_SG_SG_EEES9_SI_JZNS1_25segmented_radix_sort_implINS0_14default_configELb1EPKlPlSQ_SR_N2at6native12_GLOBAL__N_18offset_tEEE10hipError_tPvRmT1_PNSt15iterator_traitsISZ_E10value_typeET2_T3_PNS10_IS15_E10value_typeET4_jRbjT5_S1B_jjP12ihipStream_tbEUljE_ZNSN_ISO_Lb1ESQ_SR_SQ_SR_SV_EESW_SX_SY_SZ_S13_S14_S15_S18_S19_jS1A_jS1B_S1B_jjS1D_bEUljE0_EEESW_SX_SY_S15_S19_S1B_T6_T7_T9_mT8_S1D_bDpT10_ENKUlT_T0_E_clISt17integral_constantIbLb1EES1Q_IbLb0EEEEDaS1M_S1N_EUlS1M_E_NS1_11comp_targetILNS1_3genE2ELNS1_11target_archE906ELNS1_3gpuE6ELNS1_3repE0EEENS1_30default_config_static_selectorELNS0_4arch9wavefront6targetE0EEEvSZ_
    .private_segment_fixed_size: 0
    .sgpr_count:     0
    .sgpr_spill_count: 0
    .symbol:         _ZN7rocprim17ROCPRIM_400000_NS6detail17trampoline_kernelINS0_13select_configILj256ELj13ELNS0_17block_load_methodE3ELS4_3ELS4_3ELNS0_20block_scan_algorithmE0ELj4294967295EEENS1_25partition_config_selectorILNS1_17partition_subalgoE4EjNS0_10empty_typeEbEEZZNS1_14partition_implILS8_4ELb0ES6_15HIP_vector_typeIjLj2EENS0_17counting_iteratorIjlEEPS9_SG_NS0_5tupleIJPjSI_NS0_16reverse_iteratorISI_EEEEENSH_IJSG_SG_SG_EEES9_SI_JZNS1_25segmented_radix_sort_implINS0_14default_configELb1EPKlPlSQ_SR_N2at6native12_GLOBAL__N_18offset_tEEE10hipError_tPvRmT1_PNSt15iterator_traitsISZ_E10value_typeET2_T3_PNS10_IS15_E10value_typeET4_jRbjT5_S1B_jjP12ihipStream_tbEUljE_ZNSN_ISO_Lb1ESQ_SR_SQ_SR_SV_EESW_SX_SY_SZ_S13_S14_S15_S18_S19_jS1A_jS1B_S1B_jjS1D_bEUljE0_EEESW_SX_SY_S15_S19_S1B_T6_T7_T9_mT8_S1D_bDpT10_ENKUlT_T0_E_clISt17integral_constantIbLb1EES1Q_IbLb0EEEEDaS1M_S1N_EUlS1M_E_NS1_11comp_targetILNS1_3genE2ELNS1_11target_archE906ELNS1_3gpuE6ELNS1_3repE0EEENS1_30default_config_static_selectorELNS0_4arch9wavefront6targetE0EEEvSZ_.kd
    .uniform_work_group_size: 1
    .uses_dynamic_stack: false
    .vgpr_count:     0
    .vgpr_spill_count: 0
    .wavefront_size: 32
    .workgroup_processor_mode: 1
  - .args:
      - .offset:         0
        .size:           176
        .value_kind:     by_value
    .group_segment_fixed_size: 0
    .kernarg_segment_align: 8
    .kernarg_segment_size: 176
    .language:       OpenCL C
    .language_version:
      - 2
      - 0
    .max_flat_workgroup_size: 256
    .name:           _ZN7rocprim17ROCPRIM_400000_NS6detail17trampoline_kernelINS0_13select_configILj256ELj13ELNS0_17block_load_methodE3ELS4_3ELS4_3ELNS0_20block_scan_algorithmE0ELj4294967295EEENS1_25partition_config_selectorILNS1_17partition_subalgoE4EjNS0_10empty_typeEbEEZZNS1_14partition_implILS8_4ELb0ES6_15HIP_vector_typeIjLj2EENS0_17counting_iteratorIjlEEPS9_SG_NS0_5tupleIJPjSI_NS0_16reverse_iteratorISI_EEEEENSH_IJSG_SG_SG_EEES9_SI_JZNS1_25segmented_radix_sort_implINS0_14default_configELb1EPKlPlSQ_SR_N2at6native12_GLOBAL__N_18offset_tEEE10hipError_tPvRmT1_PNSt15iterator_traitsISZ_E10value_typeET2_T3_PNS10_IS15_E10value_typeET4_jRbjT5_S1B_jjP12ihipStream_tbEUljE_ZNSN_ISO_Lb1ESQ_SR_SQ_SR_SV_EESW_SX_SY_SZ_S13_S14_S15_S18_S19_jS1A_jS1B_S1B_jjS1D_bEUljE0_EEESW_SX_SY_S15_S19_S1B_T6_T7_T9_mT8_S1D_bDpT10_ENKUlT_T0_E_clISt17integral_constantIbLb1EES1Q_IbLb0EEEEDaS1M_S1N_EUlS1M_E_NS1_11comp_targetILNS1_3genE10ELNS1_11target_archE1200ELNS1_3gpuE4ELNS1_3repE0EEENS1_30default_config_static_selectorELNS0_4arch9wavefront6targetE0EEEvSZ_
    .private_segment_fixed_size: 0
    .sgpr_count:     0
    .sgpr_spill_count: 0
    .symbol:         _ZN7rocprim17ROCPRIM_400000_NS6detail17trampoline_kernelINS0_13select_configILj256ELj13ELNS0_17block_load_methodE3ELS4_3ELS4_3ELNS0_20block_scan_algorithmE0ELj4294967295EEENS1_25partition_config_selectorILNS1_17partition_subalgoE4EjNS0_10empty_typeEbEEZZNS1_14partition_implILS8_4ELb0ES6_15HIP_vector_typeIjLj2EENS0_17counting_iteratorIjlEEPS9_SG_NS0_5tupleIJPjSI_NS0_16reverse_iteratorISI_EEEEENSH_IJSG_SG_SG_EEES9_SI_JZNS1_25segmented_radix_sort_implINS0_14default_configELb1EPKlPlSQ_SR_N2at6native12_GLOBAL__N_18offset_tEEE10hipError_tPvRmT1_PNSt15iterator_traitsISZ_E10value_typeET2_T3_PNS10_IS15_E10value_typeET4_jRbjT5_S1B_jjP12ihipStream_tbEUljE_ZNSN_ISO_Lb1ESQ_SR_SQ_SR_SV_EESW_SX_SY_SZ_S13_S14_S15_S18_S19_jS1A_jS1B_S1B_jjS1D_bEUljE0_EEESW_SX_SY_S15_S19_S1B_T6_T7_T9_mT8_S1D_bDpT10_ENKUlT_T0_E_clISt17integral_constantIbLb1EES1Q_IbLb0EEEEDaS1M_S1N_EUlS1M_E_NS1_11comp_targetILNS1_3genE10ELNS1_11target_archE1200ELNS1_3gpuE4ELNS1_3repE0EEENS1_30default_config_static_selectorELNS0_4arch9wavefront6targetE0EEEvSZ_.kd
    .uniform_work_group_size: 1
    .uses_dynamic_stack: false
    .vgpr_count:     0
    .vgpr_spill_count: 0
    .wavefront_size: 32
    .workgroup_processor_mode: 1
  - .args:
      - .offset:         0
        .size:           176
        .value_kind:     by_value
    .group_segment_fixed_size: 0
    .kernarg_segment_align: 8
    .kernarg_segment_size: 176
    .language:       OpenCL C
    .language_version:
      - 2
      - 0
    .max_flat_workgroup_size: 256
    .name:           _ZN7rocprim17ROCPRIM_400000_NS6detail17trampoline_kernelINS0_13select_configILj256ELj13ELNS0_17block_load_methodE3ELS4_3ELS4_3ELNS0_20block_scan_algorithmE0ELj4294967295EEENS1_25partition_config_selectorILNS1_17partition_subalgoE4EjNS0_10empty_typeEbEEZZNS1_14partition_implILS8_4ELb0ES6_15HIP_vector_typeIjLj2EENS0_17counting_iteratorIjlEEPS9_SG_NS0_5tupleIJPjSI_NS0_16reverse_iteratorISI_EEEEENSH_IJSG_SG_SG_EEES9_SI_JZNS1_25segmented_radix_sort_implINS0_14default_configELb1EPKlPlSQ_SR_N2at6native12_GLOBAL__N_18offset_tEEE10hipError_tPvRmT1_PNSt15iterator_traitsISZ_E10value_typeET2_T3_PNS10_IS15_E10value_typeET4_jRbjT5_S1B_jjP12ihipStream_tbEUljE_ZNSN_ISO_Lb1ESQ_SR_SQ_SR_SV_EESW_SX_SY_SZ_S13_S14_S15_S18_S19_jS1A_jS1B_S1B_jjS1D_bEUljE0_EEESW_SX_SY_S15_S19_S1B_T6_T7_T9_mT8_S1D_bDpT10_ENKUlT_T0_E_clISt17integral_constantIbLb1EES1Q_IbLb0EEEEDaS1M_S1N_EUlS1M_E_NS1_11comp_targetILNS1_3genE9ELNS1_11target_archE1100ELNS1_3gpuE3ELNS1_3repE0EEENS1_30default_config_static_selectorELNS0_4arch9wavefront6targetE0EEEvSZ_
    .private_segment_fixed_size: 0
    .sgpr_count:     0
    .sgpr_spill_count: 0
    .symbol:         _ZN7rocprim17ROCPRIM_400000_NS6detail17trampoline_kernelINS0_13select_configILj256ELj13ELNS0_17block_load_methodE3ELS4_3ELS4_3ELNS0_20block_scan_algorithmE0ELj4294967295EEENS1_25partition_config_selectorILNS1_17partition_subalgoE4EjNS0_10empty_typeEbEEZZNS1_14partition_implILS8_4ELb0ES6_15HIP_vector_typeIjLj2EENS0_17counting_iteratorIjlEEPS9_SG_NS0_5tupleIJPjSI_NS0_16reverse_iteratorISI_EEEEENSH_IJSG_SG_SG_EEES9_SI_JZNS1_25segmented_radix_sort_implINS0_14default_configELb1EPKlPlSQ_SR_N2at6native12_GLOBAL__N_18offset_tEEE10hipError_tPvRmT1_PNSt15iterator_traitsISZ_E10value_typeET2_T3_PNS10_IS15_E10value_typeET4_jRbjT5_S1B_jjP12ihipStream_tbEUljE_ZNSN_ISO_Lb1ESQ_SR_SQ_SR_SV_EESW_SX_SY_SZ_S13_S14_S15_S18_S19_jS1A_jS1B_S1B_jjS1D_bEUljE0_EEESW_SX_SY_S15_S19_S1B_T6_T7_T9_mT8_S1D_bDpT10_ENKUlT_T0_E_clISt17integral_constantIbLb1EES1Q_IbLb0EEEEDaS1M_S1N_EUlS1M_E_NS1_11comp_targetILNS1_3genE9ELNS1_11target_archE1100ELNS1_3gpuE3ELNS1_3repE0EEENS1_30default_config_static_selectorELNS0_4arch9wavefront6targetE0EEEvSZ_.kd
    .uniform_work_group_size: 1
    .uses_dynamic_stack: false
    .vgpr_count:     0
    .vgpr_spill_count: 0
    .wavefront_size: 32
    .workgroup_processor_mode: 1
  - .args:
      - .offset:         0
        .size:           176
        .value_kind:     by_value
    .group_segment_fixed_size: 0
    .kernarg_segment_align: 8
    .kernarg_segment_size: 176
    .language:       OpenCL C
    .language_version:
      - 2
      - 0
    .max_flat_workgroup_size: 256
    .name:           _ZN7rocprim17ROCPRIM_400000_NS6detail17trampoline_kernelINS0_13select_configILj256ELj13ELNS0_17block_load_methodE3ELS4_3ELS4_3ELNS0_20block_scan_algorithmE0ELj4294967295EEENS1_25partition_config_selectorILNS1_17partition_subalgoE4EjNS0_10empty_typeEbEEZZNS1_14partition_implILS8_4ELb0ES6_15HIP_vector_typeIjLj2EENS0_17counting_iteratorIjlEEPS9_SG_NS0_5tupleIJPjSI_NS0_16reverse_iteratorISI_EEEEENSH_IJSG_SG_SG_EEES9_SI_JZNS1_25segmented_radix_sort_implINS0_14default_configELb1EPKlPlSQ_SR_N2at6native12_GLOBAL__N_18offset_tEEE10hipError_tPvRmT1_PNSt15iterator_traitsISZ_E10value_typeET2_T3_PNS10_IS15_E10value_typeET4_jRbjT5_S1B_jjP12ihipStream_tbEUljE_ZNSN_ISO_Lb1ESQ_SR_SQ_SR_SV_EESW_SX_SY_SZ_S13_S14_S15_S18_S19_jS1A_jS1B_S1B_jjS1D_bEUljE0_EEESW_SX_SY_S15_S19_S1B_T6_T7_T9_mT8_S1D_bDpT10_ENKUlT_T0_E_clISt17integral_constantIbLb1EES1Q_IbLb0EEEEDaS1M_S1N_EUlS1M_E_NS1_11comp_targetILNS1_3genE8ELNS1_11target_archE1030ELNS1_3gpuE2ELNS1_3repE0EEENS1_30default_config_static_selectorELNS0_4arch9wavefront6targetE0EEEvSZ_
    .private_segment_fixed_size: 0
    .sgpr_count:     0
    .sgpr_spill_count: 0
    .symbol:         _ZN7rocprim17ROCPRIM_400000_NS6detail17trampoline_kernelINS0_13select_configILj256ELj13ELNS0_17block_load_methodE3ELS4_3ELS4_3ELNS0_20block_scan_algorithmE0ELj4294967295EEENS1_25partition_config_selectorILNS1_17partition_subalgoE4EjNS0_10empty_typeEbEEZZNS1_14partition_implILS8_4ELb0ES6_15HIP_vector_typeIjLj2EENS0_17counting_iteratorIjlEEPS9_SG_NS0_5tupleIJPjSI_NS0_16reverse_iteratorISI_EEEEENSH_IJSG_SG_SG_EEES9_SI_JZNS1_25segmented_radix_sort_implINS0_14default_configELb1EPKlPlSQ_SR_N2at6native12_GLOBAL__N_18offset_tEEE10hipError_tPvRmT1_PNSt15iterator_traitsISZ_E10value_typeET2_T3_PNS10_IS15_E10value_typeET4_jRbjT5_S1B_jjP12ihipStream_tbEUljE_ZNSN_ISO_Lb1ESQ_SR_SQ_SR_SV_EESW_SX_SY_SZ_S13_S14_S15_S18_S19_jS1A_jS1B_S1B_jjS1D_bEUljE0_EEESW_SX_SY_S15_S19_S1B_T6_T7_T9_mT8_S1D_bDpT10_ENKUlT_T0_E_clISt17integral_constantIbLb1EES1Q_IbLb0EEEEDaS1M_S1N_EUlS1M_E_NS1_11comp_targetILNS1_3genE8ELNS1_11target_archE1030ELNS1_3gpuE2ELNS1_3repE0EEENS1_30default_config_static_selectorELNS0_4arch9wavefront6targetE0EEEvSZ_.kd
    .uniform_work_group_size: 1
    .uses_dynamic_stack: false
    .vgpr_count:     0
    .vgpr_spill_count: 0
    .wavefront_size: 32
    .workgroup_processor_mode: 1
  - .args:
      - .offset:         0
        .size:           184
        .value_kind:     by_value
    .group_segment_fixed_size: 0
    .kernarg_segment_align: 8
    .kernarg_segment_size: 184
    .language:       OpenCL C
    .language_version:
      - 2
      - 0
    .max_flat_workgroup_size: 256
    .name:           _ZN7rocprim17ROCPRIM_400000_NS6detail17trampoline_kernelINS0_13select_configILj256ELj13ELNS0_17block_load_methodE3ELS4_3ELS4_3ELNS0_20block_scan_algorithmE0ELj4294967295EEENS1_25partition_config_selectorILNS1_17partition_subalgoE4EjNS0_10empty_typeEbEEZZNS1_14partition_implILS8_4ELb0ES6_15HIP_vector_typeIjLj2EENS0_17counting_iteratorIjlEEPS9_SG_NS0_5tupleIJPjSI_NS0_16reverse_iteratorISI_EEEEENSH_IJSG_SG_SG_EEES9_SI_JZNS1_25segmented_radix_sort_implINS0_14default_configELb1EPKlPlSQ_SR_N2at6native12_GLOBAL__N_18offset_tEEE10hipError_tPvRmT1_PNSt15iterator_traitsISZ_E10value_typeET2_T3_PNS10_IS15_E10value_typeET4_jRbjT5_S1B_jjP12ihipStream_tbEUljE_ZNSN_ISO_Lb1ESQ_SR_SQ_SR_SV_EESW_SX_SY_SZ_S13_S14_S15_S18_S19_jS1A_jS1B_S1B_jjS1D_bEUljE0_EEESW_SX_SY_S15_S19_S1B_T6_T7_T9_mT8_S1D_bDpT10_ENKUlT_T0_E_clISt17integral_constantIbLb0EES1Q_IbLb1EEEEDaS1M_S1N_EUlS1M_E_NS1_11comp_targetILNS1_3genE0ELNS1_11target_archE4294967295ELNS1_3gpuE0ELNS1_3repE0EEENS1_30default_config_static_selectorELNS0_4arch9wavefront6targetE0EEEvSZ_
    .private_segment_fixed_size: 0
    .sgpr_count:     0
    .sgpr_spill_count: 0
    .symbol:         _ZN7rocprim17ROCPRIM_400000_NS6detail17trampoline_kernelINS0_13select_configILj256ELj13ELNS0_17block_load_methodE3ELS4_3ELS4_3ELNS0_20block_scan_algorithmE0ELj4294967295EEENS1_25partition_config_selectorILNS1_17partition_subalgoE4EjNS0_10empty_typeEbEEZZNS1_14partition_implILS8_4ELb0ES6_15HIP_vector_typeIjLj2EENS0_17counting_iteratorIjlEEPS9_SG_NS0_5tupleIJPjSI_NS0_16reverse_iteratorISI_EEEEENSH_IJSG_SG_SG_EEES9_SI_JZNS1_25segmented_radix_sort_implINS0_14default_configELb1EPKlPlSQ_SR_N2at6native12_GLOBAL__N_18offset_tEEE10hipError_tPvRmT1_PNSt15iterator_traitsISZ_E10value_typeET2_T3_PNS10_IS15_E10value_typeET4_jRbjT5_S1B_jjP12ihipStream_tbEUljE_ZNSN_ISO_Lb1ESQ_SR_SQ_SR_SV_EESW_SX_SY_SZ_S13_S14_S15_S18_S19_jS1A_jS1B_S1B_jjS1D_bEUljE0_EEESW_SX_SY_S15_S19_S1B_T6_T7_T9_mT8_S1D_bDpT10_ENKUlT_T0_E_clISt17integral_constantIbLb0EES1Q_IbLb1EEEEDaS1M_S1N_EUlS1M_E_NS1_11comp_targetILNS1_3genE0ELNS1_11target_archE4294967295ELNS1_3gpuE0ELNS1_3repE0EEENS1_30default_config_static_selectorELNS0_4arch9wavefront6targetE0EEEvSZ_.kd
    .uniform_work_group_size: 1
    .uses_dynamic_stack: false
    .vgpr_count:     0
    .vgpr_spill_count: 0
    .wavefront_size: 32
    .workgroup_processor_mode: 1
  - .args:
      - .offset:         0
        .size:           184
        .value_kind:     by_value
    .group_segment_fixed_size: 0
    .kernarg_segment_align: 8
    .kernarg_segment_size: 184
    .language:       OpenCL C
    .language_version:
      - 2
      - 0
    .max_flat_workgroup_size: 256
    .name:           _ZN7rocprim17ROCPRIM_400000_NS6detail17trampoline_kernelINS0_13select_configILj256ELj13ELNS0_17block_load_methodE3ELS4_3ELS4_3ELNS0_20block_scan_algorithmE0ELj4294967295EEENS1_25partition_config_selectorILNS1_17partition_subalgoE4EjNS0_10empty_typeEbEEZZNS1_14partition_implILS8_4ELb0ES6_15HIP_vector_typeIjLj2EENS0_17counting_iteratorIjlEEPS9_SG_NS0_5tupleIJPjSI_NS0_16reverse_iteratorISI_EEEEENSH_IJSG_SG_SG_EEES9_SI_JZNS1_25segmented_radix_sort_implINS0_14default_configELb1EPKlPlSQ_SR_N2at6native12_GLOBAL__N_18offset_tEEE10hipError_tPvRmT1_PNSt15iterator_traitsISZ_E10value_typeET2_T3_PNS10_IS15_E10value_typeET4_jRbjT5_S1B_jjP12ihipStream_tbEUljE_ZNSN_ISO_Lb1ESQ_SR_SQ_SR_SV_EESW_SX_SY_SZ_S13_S14_S15_S18_S19_jS1A_jS1B_S1B_jjS1D_bEUljE0_EEESW_SX_SY_S15_S19_S1B_T6_T7_T9_mT8_S1D_bDpT10_ENKUlT_T0_E_clISt17integral_constantIbLb0EES1Q_IbLb1EEEEDaS1M_S1N_EUlS1M_E_NS1_11comp_targetILNS1_3genE5ELNS1_11target_archE942ELNS1_3gpuE9ELNS1_3repE0EEENS1_30default_config_static_selectorELNS0_4arch9wavefront6targetE0EEEvSZ_
    .private_segment_fixed_size: 0
    .sgpr_count:     0
    .sgpr_spill_count: 0
    .symbol:         _ZN7rocprim17ROCPRIM_400000_NS6detail17trampoline_kernelINS0_13select_configILj256ELj13ELNS0_17block_load_methodE3ELS4_3ELS4_3ELNS0_20block_scan_algorithmE0ELj4294967295EEENS1_25partition_config_selectorILNS1_17partition_subalgoE4EjNS0_10empty_typeEbEEZZNS1_14partition_implILS8_4ELb0ES6_15HIP_vector_typeIjLj2EENS0_17counting_iteratorIjlEEPS9_SG_NS0_5tupleIJPjSI_NS0_16reverse_iteratorISI_EEEEENSH_IJSG_SG_SG_EEES9_SI_JZNS1_25segmented_radix_sort_implINS0_14default_configELb1EPKlPlSQ_SR_N2at6native12_GLOBAL__N_18offset_tEEE10hipError_tPvRmT1_PNSt15iterator_traitsISZ_E10value_typeET2_T3_PNS10_IS15_E10value_typeET4_jRbjT5_S1B_jjP12ihipStream_tbEUljE_ZNSN_ISO_Lb1ESQ_SR_SQ_SR_SV_EESW_SX_SY_SZ_S13_S14_S15_S18_S19_jS1A_jS1B_S1B_jjS1D_bEUljE0_EEESW_SX_SY_S15_S19_S1B_T6_T7_T9_mT8_S1D_bDpT10_ENKUlT_T0_E_clISt17integral_constantIbLb0EES1Q_IbLb1EEEEDaS1M_S1N_EUlS1M_E_NS1_11comp_targetILNS1_3genE5ELNS1_11target_archE942ELNS1_3gpuE9ELNS1_3repE0EEENS1_30default_config_static_selectorELNS0_4arch9wavefront6targetE0EEEvSZ_.kd
    .uniform_work_group_size: 1
    .uses_dynamic_stack: false
    .vgpr_count:     0
    .vgpr_spill_count: 0
    .wavefront_size: 32
    .workgroup_processor_mode: 1
  - .args:
      - .offset:         0
        .size:           184
        .value_kind:     by_value
    .group_segment_fixed_size: 0
    .kernarg_segment_align: 8
    .kernarg_segment_size: 184
    .language:       OpenCL C
    .language_version:
      - 2
      - 0
    .max_flat_workgroup_size: 256
    .name:           _ZN7rocprim17ROCPRIM_400000_NS6detail17trampoline_kernelINS0_13select_configILj256ELj13ELNS0_17block_load_methodE3ELS4_3ELS4_3ELNS0_20block_scan_algorithmE0ELj4294967295EEENS1_25partition_config_selectorILNS1_17partition_subalgoE4EjNS0_10empty_typeEbEEZZNS1_14partition_implILS8_4ELb0ES6_15HIP_vector_typeIjLj2EENS0_17counting_iteratorIjlEEPS9_SG_NS0_5tupleIJPjSI_NS0_16reverse_iteratorISI_EEEEENSH_IJSG_SG_SG_EEES9_SI_JZNS1_25segmented_radix_sort_implINS0_14default_configELb1EPKlPlSQ_SR_N2at6native12_GLOBAL__N_18offset_tEEE10hipError_tPvRmT1_PNSt15iterator_traitsISZ_E10value_typeET2_T3_PNS10_IS15_E10value_typeET4_jRbjT5_S1B_jjP12ihipStream_tbEUljE_ZNSN_ISO_Lb1ESQ_SR_SQ_SR_SV_EESW_SX_SY_SZ_S13_S14_S15_S18_S19_jS1A_jS1B_S1B_jjS1D_bEUljE0_EEESW_SX_SY_S15_S19_S1B_T6_T7_T9_mT8_S1D_bDpT10_ENKUlT_T0_E_clISt17integral_constantIbLb0EES1Q_IbLb1EEEEDaS1M_S1N_EUlS1M_E_NS1_11comp_targetILNS1_3genE4ELNS1_11target_archE910ELNS1_3gpuE8ELNS1_3repE0EEENS1_30default_config_static_selectorELNS0_4arch9wavefront6targetE0EEEvSZ_
    .private_segment_fixed_size: 0
    .sgpr_count:     0
    .sgpr_spill_count: 0
    .symbol:         _ZN7rocprim17ROCPRIM_400000_NS6detail17trampoline_kernelINS0_13select_configILj256ELj13ELNS0_17block_load_methodE3ELS4_3ELS4_3ELNS0_20block_scan_algorithmE0ELj4294967295EEENS1_25partition_config_selectorILNS1_17partition_subalgoE4EjNS0_10empty_typeEbEEZZNS1_14partition_implILS8_4ELb0ES6_15HIP_vector_typeIjLj2EENS0_17counting_iteratorIjlEEPS9_SG_NS0_5tupleIJPjSI_NS0_16reverse_iteratorISI_EEEEENSH_IJSG_SG_SG_EEES9_SI_JZNS1_25segmented_radix_sort_implINS0_14default_configELb1EPKlPlSQ_SR_N2at6native12_GLOBAL__N_18offset_tEEE10hipError_tPvRmT1_PNSt15iterator_traitsISZ_E10value_typeET2_T3_PNS10_IS15_E10value_typeET4_jRbjT5_S1B_jjP12ihipStream_tbEUljE_ZNSN_ISO_Lb1ESQ_SR_SQ_SR_SV_EESW_SX_SY_SZ_S13_S14_S15_S18_S19_jS1A_jS1B_S1B_jjS1D_bEUljE0_EEESW_SX_SY_S15_S19_S1B_T6_T7_T9_mT8_S1D_bDpT10_ENKUlT_T0_E_clISt17integral_constantIbLb0EES1Q_IbLb1EEEEDaS1M_S1N_EUlS1M_E_NS1_11comp_targetILNS1_3genE4ELNS1_11target_archE910ELNS1_3gpuE8ELNS1_3repE0EEENS1_30default_config_static_selectorELNS0_4arch9wavefront6targetE0EEEvSZ_.kd
    .uniform_work_group_size: 1
    .uses_dynamic_stack: false
    .vgpr_count:     0
    .vgpr_spill_count: 0
    .wavefront_size: 32
    .workgroup_processor_mode: 1
  - .args:
      - .offset:         0
        .size:           184
        .value_kind:     by_value
    .group_segment_fixed_size: 0
    .kernarg_segment_align: 8
    .kernarg_segment_size: 184
    .language:       OpenCL C
    .language_version:
      - 2
      - 0
    .max_flat_workgroup_size: 256
    .name:           _ZN7rocprim17ROCPRIM_400000_NS6detail17trampoline_kernelINS0_13select_configILj256ELj13ELNS0_17block_load_methodE3ELS4_3ELS4_3ELNS0_20block_scan_algorithmE0ELj4294967295EEENS1_25partition_config_selectorILNS1_17partition_subalgoE4EjNS0_10empty_typeEbEEZZNS1_14partition_implILS8_4ELb0ES6_15HIP_vector_typeIjLj2EENS0_17counting_iteratorIjlEEPS9_SG_NS0_5tupleIJPjSI_NS0_16reverse_iteratorISI_EEEEENSH_IJSG_SG_SG_EEES9_SI_JZNS1_25segmented_radix_sort_implINS0_14default_configELb1EPKlPlSQ_SR_N2at6native12_GLOBAL__N_18offset_tEEE10hipError_tPvRmT1_PNSt15iterator_traitsISZ_E10value_typeET2_T3_PNS10_IS15_E10value_typeET4_jRbjT5_S1B_jjP12ihipStream_tbEUljE_ZNSN_ISO_Lb1ESQ_SR_SQ_SR_SV_EESW_SX_SY_SZ_S13_S14_S15_S18_S19_jS1A_jS1B_S1B_jjS1D_bEUljE0_EEESW_SX_SY_S15_S19_S1B_T6_T7_T9_mT8_S1D_bDpT10_ENKUlT_T0_E_clISt17integral_constantIbLb0EES1Q_IbLb1EEEEDaS1M_S1N_EUlS1M_E_NS1_11comp_targetILNS1_3genE3ELNS1_11target_archE908ELNS1_3gpuE7ELNS1_3repE0EEENS1_30default_config_static_selectorELNS0_4arch9wavefront6targetE0EEEvSZ_
    .private_segment_fixed_size: 0
    .sgpr_count:     0
    .sgpr_spill_count: 0
    .symbol:         _ZN7rocprim17ROCPRIM_400000_NS6detail17trampoline_kernelINS0_13select_configILj256ELj13ELNS0_17block_load_methodE3ELS4_3ELS4_3ELNS0_20block_scan_algorithmE0ELj4294967295EEENS1_25partition_config_selectorILNS1_17partition_subalgoE4EjNS0_10empty_typeEbEEZZNS1_14partition_implILS8_4ELb0ES6_15HIP_vector_typeIjLj2EENS0_17counting_iteratorIjlEEPS9_SG_NS0_5tupleIJPjSI_NS0_16reverse_iteratorISI_EEEEENSH_IJSG_SG_SG_EEES9_SI_JZNS1_25segmented_radix_sort_implINS0_14default_configELb1EPKlPlSQ_SR_N2at6native12_GLOBAL__N_18offset_tEEE10hipError_tPvRmT1_PNSt15iterator_traitsISZ_E10value_typeET2_T3_PNS10_IS15_E10value_typeET4_jRbjT5_S1B_jjP12ihipStream_tbEUljE_ZNSN_ISO_Lb1ESQ_SR_SQ_SR_SV_EESW_SX_SY_SZ_S13_S14_S15_S18_S19_jS1A_jS1B_S1B_jjS1D_bEUljE0_EEESW_SX_SY_S15_S19_S1B_T6_T7_T9_mT8_S1D_bDpT10_ENKUlT_T0_E_clISt17integral_constantIbLb0EES1Q_IbLb1EEEEDaS1M_S1N_EUlS1M_E_NS1_11comp_targetILNS1_3genE3ELNS1_11target_archE908ELNS1_3gpuE7ELNS1_3repE0EEENS1_30default_config_static_selectorELNS0_4arch9wavefront6targetE0EEEvSZ_.kd
    .uniform_work_group_size: 1
    .uses_dynamic_stack: false
    .vgpr_count:     0
    .vgpr_spill_count: 0
    .wavefront_size: 32
    .workgroup_processor_mode: 1
  - .args:
      - .offset:         0
        .size:           184
        .value_kind:     by_value
    .group_segment_fixed_size: 0
    .kernarg_segment_align: 8
    .kernarg_segment_size: 184
    .language:       OpenCL C
    .language_version:
      - 2
      - 0
    .max_flat_workgroup_size: 256
    .name:           _ZN7rocprim17ROCPRIM_400000_NS6detail17trampoline_kernelINS0_13select_configILj256ELj13ELNS0_17block_load_methodE3ELS4_3ELS4_3ELNS0_20block_scan_algorithmE0ELj4294967295EEENS1_25partition_config_selectorILNS1_17partition_subalgoE4EjNS0_10empty_typeEbEEZZNS1_14partition_implILS8_4ELb0ES6_15HIP_vector_typeIjLj2EENS0_17counting_iteratorIjlEEPS9_SG_NS0_5tupleIJPjSI_NS0_16reverse_iteratorISI_EEEEENSH_IJSG_SG_SG_EEES9_SI_JZNS1_25segmented_radix_sort_implINS0_14default_configELb1EPKlPlSQ_SR_N2at6native12_GLOBAL__N_18offset_tEEE10hipError_tPvRmT1_PNSt15iterator_traitsISZ_E10value_typeET2_T3_PNS10_IS15_E10value_typeET4_jRbjT5_S1B_jjP12ihipStream_tbEUljE_ZNSN_ISO_Lb1ESQ_SR_SQ_SR_SV_EESW_SX_SY_SZ_S13_S14_S15_S18_S19_jS1A_jS1B_S1B_jjS1D_bEUljE0_EEESW_SX_SY_S15_S19_S1B_T6_T7_T9_mT8_S1D_bDpT10_ENKUlT_T0_E_clISt17integral_constantIbLb0EES1Q_IbLb1EEEEDaS1M_S1N_EUlS1M_E_NS1_11comp_targetILNS1_3genE2ELNS1_11target_archE906ELNS1_3gpuE6ELNS1_3repE0EEENS1_30default_config_static_selectorELNS0_4arch9wavefront6targetE0EEEvSZ_
    .private_segment_fixed_size: 0
    .sgpr_count:     0
    .sgpr_spill_count: 0
    .symbol:         _ZN7rocprim17ROCPRIM_400000_NS6detail17trampoline_kernelINS0_13select_configILj256ELj13ELNS0_17block_load_methodE3ELS4_3ELS4_3ELNS0_20block_scan_algorithmE0ELj4294967295EEENS1_25partition_config_selectorILNS1_17partition_subalgoE4EjNS0_10empty_typeEbEEZZNS1_14partition_implILS8_4ELb0ES6_15HIP_vector_typeIjLj2EENS0_17counting_iteratorIjlEEPS9_SG_NS0_5tupleIJPjSI_NS0_16reverse_iteratorISI_EEEEENSH_IJSG_SG_SG_EEES9_SI_JZNS1_25segmented_radix_sort_implINS0_14default_configELb1EPKlPlSQ_SR_N2at6native12_GLOBAL__N_18offset_tEEE10hipError_tPvRmT1_PNSt15iterator_traitsISZ_E10value_typeET2_T3_PNS10_IS15_E10value_typeET4_jRbjT5_S1B_jjP12ihipStream_tbEUljE_ZNSN_ISO_Lb1ESQ_SR_SQ_SR_SV_EESW_SX_SY_SZ_S13_S14_S15_S18_S19_jS1A_jS1B_S1B_jjS1D_bEUljE0_EEESW_SX_SY_S15_S19_S1B_T6_T7_T9_mT8_S1D_bDpT10_ENKUlT_T0_E_clISt17integral_constantIbLb0EES1Q_IbLb1EEEEDaS1M_S1N_EUlS1M_E_NS1_11comp_targetILNS1_3genE2ELNS1_11target_archE906ELNS1_3gpuE6ELNS1_3repE0EEENS1_30default_config_static_selectorELNS0_4arch9wavefront6targetE0EEEvSZ_.kd
    .uniform_work_group_size: 1
    .uses_dynamic_stack: false
    .vgpr_count:     0
    .vgpr_spill_count: 0
    .wavefront_size: 32
    .workgroup_processor_mode: 1
  - .args:
      - .offset:         0
        .size:           184
        .value_kind:     by_value
    .group_segment_fixed_size: 13328
    .kernarg_segment_align: 8
    .kernarg_segment_size: 184
    .language:       OpenCL C
    .language_version:
      - 2
      - 0
    .max_flat_workgroup_size: 256
    .name:           _ZN7rocprim17ROCPRIM_400000_NS6detail17trampoline_kernelINS0_13select_configILj256ELj13ELNS0_17block_load_methodE3ELS4_3ELS4_3ELNS0_20block_scan_algorithmE0ELj4294967295EEENS1_25partition_config_selectorILNS1_17partition_subalgoE4EjNS0_10empty_typeEbEEZZNS1_14partition_implILS8_4ELb0ES6_15HIP_vector_typeIjLj2EENS0_17counting_iteratorIjlEEPS9_SG_NS0_5tupleIJPjSI_NS0_16reverse_iteratorISI_EEEEENSH_IJSG_SG_SG_EEES9_SI_JZNS1_25segmented_radix_sort_implINS0_14default_configELb1EPKlPlSQ_SR_N2at6native12_GLOBAL__N_18offset_tEEE10hipError_tPvRmT1_PNSt15iterator_traitsISZ_E10value_typeET2_T3_PNS10_IS15_E10value_typeET4_jRbjT5_S1B_jjP12ihipStream_tbEUljE_ZNSN_ISO_Lb1ESQ_SR_SQ_SR_SV_EESW_SX_SY_SZ_S13_S14_S15_S18_S19_jS1A_jS1B_S1B_jjS1D_bEUljE0_EEESW_SX_SY_S15_S19_S1B_T6_T7_T9_mT8_S1D_bDpT10_ENKUlT_T0_E_clISt17integral_constantIbLb0EES1Q_IbLb1EEEEDaS1M_S1N_EUlS1M_E_NS1_11comp_targetILNS1_3genE10ELNS1_11target_archE1200ELNS1_3gpuE4ELNS1_3repE0EEENS1_30default_config_static_selectorELNS0_4arch9wavefront6targetE0EEEvSZ_
    .private_segment_fixed_size: 0
    .sgpr_count:     57
    .sgpr_spill_count: 0
    .symbol:         _ZN7rocprim17ROCPRIM_400000_NS6detail17trampoline_kernelINS0_13select_configILj256ELj13ELNS0_17block_load_methodE3ELS4_3ELS4_3ELNS0_20block_scan_algorithmE0ELj4294967295EEENS1_25partition_config_selectorILNS1_17partition_subalgoE4EjNS0_10empty_typeEbEEZZNS1_14partition_implILS8_4ELb0ES6_15HIP_vector_typeIjLj2EENS0_17counting_iteratorIjlEEPS9_SG_NS0_5tupleIJPjSI_NS0_16reverse_iteratorISI_EEEEENSH_IJSG_SG_SG_EEES9_SI_JZNS1_25segmented_radix_sort_implINS0_14default_configELb1EPKlPlSQ_SR_N2at6native12_GLOBAL__N_18offset_tEEE10hipError_tPvRmT1_PNSt15iterator_traitsISZ_E10value_typeET2_T3_PNS10_IS15_E10value_typeET4_jRbjT5_S1B_jjP12ihipStream_tbEUljE_ZNSN_ISO_Lb1ESQ_SR_SQ_SR_SV_EESW_SX_SY_SZ_S13_S14_S15_S18_S19_jS1A_jS1B_S1B_jjS1D_bEUljE0_EEESW_SX_SY_S15_S19_S1B_T6_T7_T9_mT8_S1D_bDpT10_ENKUlT_T0_E_clISt17integral_constantIbLb0EES1Q_IbLb1EEEEDaS1M_S1N_EUlS1M_E_NS1_11comp_targetILNS1_3genE10ELNS1_11target_archE1200ELNS1_3gpuE4ELNS1_3repE0EEENS1_30default_config_static_selectorELNS0_4arch9wavefront6targetE0EEEvSZ_.kd
    .uniform_work_group_size: 1
    .uses_dynamic_stack: false
    .vgpr_count:     98
    .vgpr_spill_count: 0
    .wavefront_size: 32
    .workgroup_processor_mode: 1
  - .args:
      - .offset:         0
        .size:           184
        .value_kind:     by_value
    .group_segment_fixed_size: 0
    .kernarg_segment_align: 8
    .kernarg_segment_size: 184
    .language:       OpenCL C
    .language_version:
      - 2
      - 0
    .max_flat_workgroup_size: 256
    .name:           _ZN7rocprim17ROCPRIM_400000_NS6detail17trampoline_kernelINS0_13select_configILj256ELj13ELNS0_17block_load_methodE3ELS4_3ELS4_3ELNS0_20block_scan_algorithmE0ELj4294967295EEENS1_25partition_config_selectorILNS1_17partition_subalgoE4EjNS0_10empty_typeEbEEZZNS1_14partition_implILS8_4ELb0ES6_15HIP_vector_typeIjLj2EENS0_17counting_iteratorIjlEEPS9_SG_NS0_5tupleIJPjSI_NS0_16reverse_iteratorISI_EEEEENSH_IJSG_SG_SG_EEES9_SI_JZNS1_25segmented_radix_sort_implINS0_14default_configELb1EPKlPlSQ_SR_N2at6native12_GLOBAL__N_18offset_tEEE10hipError_tPvRmT1_PNSt15iterator_traitsISZ_E10value_typeET2_T3_PNS10_IS15_E10value_typeET4_jRbjT5_S1B_jjP12ihipStream_tbEUljE_ZNSN_ISO_Lb1ESQ_SR_SQ_SR_SV_EESW_SX_SY_SZ_S13_S14_S15_S18_S19_jS1A_jS1B_S1B_jjS1D_bEUljE0_EEESW_SX_SY_S15_S19_S1B_T6_T7_T9_mT8_S1D_bDpT10_ENKUlT_T0_E_clISt17integral_constantIbLb0EES1Q_IbLb1EEEEDaS1M_S1N_EUlS1M_E_NS1_11comp_targetILNS1_3genE9ELNS1_11target_archE1100ELNS1_3gpuE3ELNS1_3repE0EEENS1_30default_config_static_selectorELNS0_4arch9wavefront6targetE0EEEvSZ_
    .private_segment_fixed_size: 0
    .sgpr_count:     0
    .sgpr_spill_count: 0
    .symbol:         _ZN7rocprim17ROCPRIM_400000_NS6detail17trampoline_kernelINS0_13select_configILj256ELj13ELNS0_17block_load_methodE3ELS4_3ELS4_3ELNS0_20block_scan_algorithmE0ELj4294967295EEENS1_25partition_config_selectorILNS1_17partition_subalgoE4EjNS0_10empty_typeEbEEZZNS1_14partition_implILS8_4ELb0ES6_15HIP_vector_typeIjLj2EENS0_17counting_iteratorIjlEEPS9_SG_NS0_5tupleIJPjSI_NS0_16reverse_iteratorISI_EEEEENSH_IJSG_SG_SG_EEES9_SI_JZNS1_25segmented_radix_sort_implINS0_14default_configELb1EPKlPlSQ_SR_N2at6native12_GLOBAL__N_18offset_tEEE10hipError_tPvRmT1_PNSt15iterator_traitsISZ_E10value_typeET2_T3_PNS10_IS15_E10value_typeET4_jRbjT5_S1B_jjP12ihipStream_tbEUljE_ZNSN_ISO_Lb1ESQ_SR_SQ_SR_SV_EESW_SX_SY_SZ_S13_S14_S15_S18_S19_jS1A_jS1B_S1B_jjS1D_bEUljE0_EEESW_SX_SY_S15_S19_S1B_T6_T7_T9_mT8_S1D_bDpT10_ENKUlT_T0_E_clISt17integral_constantIbLb0EES1Q_IbLb1EEEEDaS1M_S1N_EUlS1M_E_NS1_11comp_targetILNS1_3genE9ELNS1_11target_archE1100ELNS1_3gpuE3ELNS1_3repE0EEENS1_30default_config_static_selectorELNS0_4arch9wavefront6targetE0EEEvSZ_.kd
    .uniform_work_group_size: 1
    .uses_dynamic_stack: false
    .vgpr_count:     0
    .vgpr_spill_count: 0
    .wavefront_size: 32
    .workgroup_processor_mode: 1
  - .args:
      - .offset:         0
        .size:           184
        .value_kind:     by_value
    .group_segment_fixed_size: 0
    .kernarg_segment_align: 8
    .kernarg_segment_size: 184
    .language:       OpenCL C
    .language_version:
      - 2
      - 0
    .max_flat_workgroup_size: 256
    .name:           _ZN7rocprim17ROCPRIM_400000_NS6detail17trampoline_kernelINS0_13select_configILj256ELj13ELNS0_17block_load_methodE3ELS4_3ELS4_3ELNS0_20block_scan_algorithmE0ELj4294967295EEENS1_25partition_config_selectorILNS1_17partition_subalgoE4EjNS0_10empty_typeEbEEZZNS1_14partition_implILS8_4ELb0ES6_15HIP_vector_typeIjLj2EENS0_17counting_iteratorIjlEEPS9_SG_NS0_5tupleIJPjSI_NS0_16reverse_iteratorISI_EEEEENSH_IJSG_SG_SG_EEES9_SI_JZNS1_25segmented_radix_sort_implINS0_14default_configELb1EPKlPlSQ_SR_N2at6native12_GLOBAL__N_18offset_tEEE10hipError_tPvRmT1_PNSt15iterator_traitsISZ_E10value_typeET2_T3_PNS10_IS15_E10value_typeET4_jRbjT5_S1B_jjP12ihipStream_tbEUljE_ZNSN_ISO_Lb1ESQ_SR_SQ_SR_SV_EESW_SX_SY_SZ_S13_S14_S15_S18_S19_jS1A_jS1B_S1B_jjS1D_bEUljE0_EEESW_SX_SY_S15_S19_S1B_T6_T7_T9_mT8_S1D_bDpT10_ENKUlT_T0_E_clISt17integral_constantIbLb0EES1Q_IbLb1EEEEDaS1M_S1N_EUlS1M_E_NS1_11comp_targetILNS1_3genE8ELNS1_11target_archE1030ELNS1_3gpuE2ELNS1_3repE0EEENS1_30default_config_static_selectorELNS0_4arch9wavefront6targetE0EEEvSZ_
    .private_segment_fixed_size: 0
    .sgpr_count:     0
    .sgpr_spill_count: 0
    .symbol:         _ZN7rocprim17ROCPRIM_400000_NS6detail17trampoline_kernelINS0_13select_configILj256ELj13ELNS0_17block_load_methodE3ELS4_3ELS4_3ELNS0_20block_scan_algorithmE0ELj4294967295EEENS1_25partition_config_selectorILNS1_17partition_subalgoE4EjNS0_10empty_typeEbEEZZNS1_14partition_implILS8_4ELb0ES6_15HIP_vector_typeIjLj2EENS0_17counting_iteratorIjlEEPS9_SG_NS0_5tupleIJPjSI_NS0_16reverse_iteratorISI_EEEEENSH_IJSG_SG_SG_EEES9_SI_JZNS1_25segmented_radix_sort_implINS0_14default_configELb1EPKlPlSQ_SR_N2at6native12_GLOBAL__N_18offset_tEEE10hipError_tPvRmT1_PNSt15iterator_traitsISZ_E10value_typeET2_T3_PNS10_IS15_E10value_typeET4_jRbjT5_S1B_jjP12ihipStream_tbEUljE_ZNSN_ISO_Lb1ESQ_SR_SQ_SR_SV_EESW_SX_SY_SZ_S13_S14_S15_S18_S19_jS1A_jS1B_S1B_jjS1D_bEUljE0_EEESW_SX_SY_S15_S19_S1B_T6_T7_T9_mT8_S1D_bDpT10_ENKUlT_T0_E_clISt17integral_constantIbLb0EES1Q_IbLb1EEEEDaS1M_S1N_EUlS1M_E_NS1_11comp_targetILNS1_3genE8ELNS1_11target_archE1030ELNS1_3gpuE2ELNS1_3repE0EEENS1_30default_config_static_selectorELNS0_4arch9wavefront6targetE0EEEvSZ_.kd
    .uniform_work_group_size: 1
    .uses_dynamic_stack: false
    .vgpr_count:     0
    .vgpr_spill_count: 0
    .wavefront_size: 32
    .workgroup_processor_mode: 1
  - .args:
      - .offset:         0
        .size:           144
        .value_kind:     by_value
    .group_segment_fixed_size: 0
    .kernarg_segment_align: 8
    .kernarg_segment_size: 144
    .language:       OpenCL C
    .language_version:
      - 2
      - 0
    .max_flat_workgroup_size: 256
    .name:           _ZN7rocprim17ROCPRIM_400000_NS6detail17trampoline_kernelINS0_13select_configILj256ELj13ELNS0_17block_load_methodE3ELS4_3ELS4_3ELNS0_20block_scan_algorithmE0ELj4294967295EEENS1_25partition_config_selectorILNS1_17partition_subalgoE3EjNS0_10empty_typeEbEEZZNS1_14partition_implILS8_3ELb0ES6_jNS0_17counting_iteratorIjlEEPS9_SE_NS0_5tupleIJPjSE_EEENSF_IJSE_SE_EEES9_SG_JZNS1_25segmented_radix_sort_implINS0_14default_configELb1EPKlPlSM_SN_N2at6native12_GLOBAL__N_18offset_tEEE10hipError_tPvRmT1_PNSt15iterator_traitsISV_E10value_typeET2_T3_PNSW_IS11_E10value_typeET4_jRbjT5_S17_jjP12ihipStream_tbEUljE_EEESS_ST_SU_S11_S15_S17_T6_T7_T9_mT8_S19_bDpT10_ENKUlT_T0_E_clISt17integral_constantIbLb0EES1M_EEDaS1H_S1I_EUlS1H_E_NS1_11comp_targetILNS1_3genE0ELNS1_11target_archE4294967295ELNS1_3gpuE0ELNS1_3repE0EEENS1_30default_config_static_selectorELNS0_4arch9wavefront6targetE0EEEvSV_
    .private_segment_fixed_size: 0
    .sgpr_count:     0
    .sgpr_spill_count: 0
    .symbol:         _ZN7rocprim17ROCPRIM_400000_NS6detail17trampoline_kernelINS0_13select_configILj256ELj13ELNS0_17block_load_methodE3ELS4_3ELS4_3ELNS0_20block_scan_algorithmE0ELj4294967295EEENS1_25partition_config_selectorILNS1_17partition_subalgoE3EjNS0_10empty_typeEbEEZZNS1_14partition_implILS8_3ELb0ES6_jNS0_17counting_iteratorIjlEEPS9_SE_NS0_5tupleIJPjSE_EEENSF_IJSE_SE_EEES9_SG_JZNS1_25segmented_radix_sort_implINS0_14default_configELb1EPKlPlSM_SN_N2at6native12_GLOBAL__N_18offset_tEEE10hipError_tPvRmT1_PNSt15iterator_traitsISV_E10value_typeET2_T3_PNSW_IS11_E10value_typeET4_jRbjT5_S17_jjP12ihipStream_tbEUljE_EEESS_ST_SU_S11_S15_S17_T6_T7_T9_mT8_S19_bDpT10_ENKUlT_T0_E_clISt17integral_constantIbLb0EES1M_EEDaS1H_S1I_EUlS1H_E_NS1_11comp_targetILNS1_3genE0ELNS1_11target_archE4294967295ELNS1_3gpuE0ELNS1_3repE0EEENS1_30default_config_static_selectorELNS0_4arch9wavefront6targetE0EEEvSV_.kd
    .uniform_work_group_size: 1
    .uses_dynamic_stack: false
    .vgpr_count:     0
    .vgpr_spill_count: 0
    .wavefront_size: 32
    .workgroup_processor_mode: 1
  - .args:
      - .offset:         0
        .size:           144
        .value_kind:     by_value
    .group_segment_fixed_size: 0
    .kernarg_segment_align: 8
    .kernarg_segment_size: 144
    .language:       OpenCL C
    .language_version:
      - 2
      - 0
    .max_flat_workgroup_size: 256
    .name:           _ZN7rocprim17ROCPRIM_400000_NS6detail17trampoline_kernelINS0_13select_configILj256ELj13ELNS0_17block_load_methodE3ELS4_3ELS4_3ELNS0_20block_scan_algorithmE0ELj4294967295EEENS1_25partition_config_selectorILNS1_17partition_subalgoE3EjNS0_10empty_typeEbEEZZNS1_14partition_implILS8_3ELb0ES6_jNS0_17counting_iteratorIjlEEPS9_SE_NS0_5tupleIJPjSE_EEENSF_IJSE_SE_EEES9_SG_JZNS1_25segmented_radix_sort_implINS0_14default_configELb1EPKlPlSM_SN_N2at6native12_GLOBAL__N_18offset_tEEE10hipError_tPvRmT1_PNSt15iterator_traitsISV_E10value_typeET2_T3_PNSW_IS11_E10value_typeET4_jRbjT5_S17_jjP12ihipStream_tbEUljE_EEESS_ST_SU_S11_S15_S17_T6_T7_T9_mT8_S19_bDpT10_ENKUlT_T0_E_clISt17integral_constantIbLb0EES1M_EEDaS1H_S1I_EUlS1H_E_NS1_11comp_targetILNS1_3genE5ELNS1_11target_archE942ELNS1_3gpuE9ELNS1_3repE0EEENS1_30default_config_static_selectorELNS0_4arch9wavefront6targetE0EEEvSV_
    .private_segment_fixed_size: 0
    .sgpr_count:     0
    .sgpr_spill_count: 0
    .symbol:         _ZN7rocprim17ROCPRIM_400000_NS6detail17trampoline_kernelINS0_13select_configILj256ELj13ELNS0_17block_load_methodE3ELS4_3ELS4_3ELNS0_20block_scan_algorithmE0ELj4294967295EEENS1_25partition_config_selectorILNS1_17partition_subalgoE3EjNS0_10empty_typeEbEEZZNS1_14partition_implILS8_3ELb0ES6_jNS0_17counting_iteratorIjlEEPS9_SE_NS0_5tupleIJPjSE_EEENSF_IJSE_SE_EEES9_SG_JZNS1_25segmented_radix_sort_implINS0_14default_configELb1EPKlPlSM_SN_N2at6native12_GLOBAL__N_18offset_tEEE10hipError_tPvRmT1_PNSt15iterator_traitsISV_E10value_typeET2_T3_PNSW_IS11_E10value_typeET4_jRbjT5_S17_jjP12ihipStream_tbEUljE_EEESS_ST_SU_S11_S15_S17_T6_T7_T9_mT8_S19_bDpT10_ENKUlT_T0_E_clISt17integral_constantIbLb0EES1M_EEDaS1H_S1I_EUlS1H_E_NS1_11comp_targetILNS1_3genE5ELNS1_11target_archE942ELNS1_3gpuE9ELNS1_3repE0EEENS1_30default_config_static_selectorELNS0_4arch9wavefront6targetE0EEEvSV_.kd
    .uniform_work_group_size: 1
    .uses_dynamic_stack: false
    .vgpr_count:     0
    .vgpr_spill_count: 0
    .wavefront_size: 32
    .workgroup_processor_mode: 1
  - .args:
      - .offset:         0
        .size:           144
        .value_kind:     by_value
    .group_segment_fixed_size: 0
    .kernarg_segment_align: 8
    .kernarg_segment_size: 144
    .language:       OpenCL C
    .language_version:
      - 2
      - 0
    .max_flat_workgroup_size: 256
    .name:           _ZN7rocprim17ROCPRIM_400000_NS6detail17trampoline_kernelINS0_13select_configILj256ELj13ELNS0_17block_load_methodE3ELS4_3ELS4_3ELNS0_20block_scan_algorithmE0ELj4294967295EEENS1_25partition_config_selectorILNS1_17partition_subalgoE3EjNS0_10empty_typeEbEEZZNS1_14partition_implILS8_3ELb0ES6_jNS0_17counting_iteratorIjlEEPS9_SE_NS0_5tupleIJPjSE_EEENSF_IJSE_SE_EEES9_SG_JZNS1_25segmented_radix_sort_implINS0_14default_configELb1EPKlPlSM_SN_N2at6native12_GLOBAL__N_18offset_tEEE10hipError_tPvRmT1_PNSt15iterator_traitsISV_E10value_typeET2_T3_PNSW_IS11_E10value_typeET4_jRbjT5_S17_jjP12ihipStream_tbEUljE_EEESS_ST_SU_S11_S15_S17_T6_T7_T9_mT8_S19_bDpT10_ENKUlT_T0_E_clISt17integral_constantIbLb0EES1M_EEDaS1H_S1I_EUlS1H_E_NS1_11comp_targetILNS1_3genE4ELNS1_11target_archE910ELNS1_3gpuE8ELNS1_3repE0EEENS1_30default_config_static_selectorELNS0_4arch9wavefront6targetE0EEEvSV_
    .private_segment_fixed_size: 0
    .sgpr_count:     0
    .sgpr_spill_count: 0
    .symbol:         _ZN7rocprim17ROCPRIM_400000_NS6detail17trampoline_kernelINS0_13select_configILj256ELj13ELNS0_17block_load_methodE3ELS4_3ELS4_3ELNS0_20block_scan_algorithmE0ELj4294967295EEENS1_25partition_config_selectorILNS1_17partition_subalgoE3EjNS0_10empty_typeEbEEZZNS1_14partition_implILS8_3ELb0ES6_jNS0_17counting_iteratorIjlEEPS9_SE_NS0_5tupleIJPjSE_EEENSF_IJSE_SE_EEES9_SG_JZNS1_25segmented_radix_sort_implINS0_14default_configELb1EPKlPlSM_SN_N2at6native12_GLOBAL__N_18offset_tEEE10hipError_tPvRmT1_PNSt15iterator_traitsISV_E10value_typeET2_T3_PNSW_IS11_E10value_typeET4_jRbjT5_S17_jjP12ihipStream_tbEUljE_EEESS_ST_SU_S11_S15_S17_T6_T7_T9_mT8_S19_bDpT10_ENKUlT_T0_E_clISt17integral_constantIbLb0EES1M_EEDaS1H_S1I_EUlS1H_E_NS1_11comp_targetILNS1_3genE4ELNS1_11target_archE910ELNS1_3gpuE8ELNS1_3repE0EEENS1_30default_config_static_selectorELNS0_4arch9wavefront6targetE0EEEvSV_.kd
    .uniform_work_group_size: 1
    .uses_dynamic_stack: false
    .vgpr_count:     0
    .vgpr_spill_count: 0
    .wavefront_size: 32
    .workgroup_processor_mode: 1
  - .args:
      - .offset:         0
        .size:           144
        .value_kind:     by_value
    .group_segment_fixed_size: 0
    .kernarg_segment_align: 8
    .kernarg_segment_size: 144
    .language:       OpenCL C
    .language_version:
      - 2
      - 0
    .max_flat_workgroup_size: 256
    .name:           _ZN7rocprim17ROCPRIM_400000_NS6detail17trampoline_kernelINS0_13select_configILj256ELj13ELNS0_17block_load_methodE3ELS4_3ELS4_3ELNS0_20block_scan_algorithmE0ELj4294967295EEENS1_25partition_config_selectorILNS1_17partition_subalgoE3EjNS0_10empty_typeEbEEZZNS1_14partition_implILS8_3ELb0ES6_jNS0_17counting_iteratorIjlEEPS9_SE_NS0_5tupleIJPjSE_EEENSF_IJSE_SE_EEES9_SG_JZNS1_25segmented_radix_sort_implINS0_14default_configELb1EPKlPlSM_SN_N2at6native12_GLOBAL__N_18offset_tEEE10hipError_tPvRmT1_PNSt15iterator_traitsISV_E10value_typeET2_T3_PNSW_IS11_E10value_typeET4_jRbjT5_S17_jjP12ihipStream_tbEUljE_EEESS_ST_SU_S11_S15_S17_T6_T7_T9_mT8_S19_bDpT10_ENKUlT_T0_E_clISt17integral_constantIbLb0EES1M_EEDaS1H_S1I_EUlS1H_E_NS1_11comp_targetILNS1_3genE3ELNS1_11target_archE908ELNS1_3gpuE7ELNS1_3repE0EEENS1_30default_config_static_selectorELNS0_4arch9wavefront6targetE0EEEvSV_
    .private_segment_fixed_size: 0
    .sgpr_count:     0
    .sgpr_spill_count: 0
    .symbol:         _ZN7rocprim17ROCPRIM_400000_NS6detail17trampoline_kernelINS0_13select_configILj256ELj13ELNS0_17block_load_methodE3ELS4_3ELS4_3ELNS0_20block_scan_algorithmE0ELj4294967295EEENS1_25partition_config_selectorILNS1_17partition_subalgoE3EjNS0_10empty_typeEbEEZZNS1_14partition_implILS8_3ELb0ES6_jNS0_17counting_iteratorIjlEEPS9_SE_NS0_5tupleIJPjSE_EEENSF_IJSE_SE_EEES9_SG_JZNS1_25segmented_radix_sort_implINS0_14default_configELb1EPKlPlSM_SN_N2at6native12_GLOBAL__N_18offset_tEEE10hipError_tPvRmT1_PNSt15iterator_traitsISV_E10value_typeET2_T3_PNSW_IS11_E10value_typeET4_jRbjT5_S17_jjP12ihipStream_tbEUljE_EEESS_ST_SU_S11_S15_S17_T6_T7_T9_mT8_S19_bDpT10_ENKUlT_T0_E_clISt17integral_constantIbLb0EES1M_EEDaS1H_S1I_EUlS1H_E_NS1_11comp_targetILNS1_3genE3ELNS1_11target_archE908ELNS1_3gpuE7ELNS1_3repE0EEENS1_30default_config_static_selectorELNS0_4arch9wavefront6targetE0EEEvSV_.kd
    .uniform_work_group_size: 1
    .uses_dynamic_stack: false
    .vgpr_count:     0
    .vgpr_spill_count: 0
    .wavefront_size: 32
    .workgroup_processor_mode: 1
  - .args:
      - .offset:         0
        .size:           144
        .value_kind:     by_value
    .group_segment_fixed_size: 0
    .kernarg_segment_align: 8
    .kernarg_segment_size: 144
    .language:       OpenCL C
    .language_version:
      - 2
      - 0
    .max_flat_workgroup_size: 256
    .name:           _ZN7rocprim17ROCPRIM_400000_NS6detail17trampoline_kernelINS0_13select_configILj256ELj13ELNS0_17block_load_methodE3ELS4_3ELS4_3ELNS0_20block_scan_algorithmE0ELj4294967295EEENS1_25partition_config_selectorILNS1_17partition_subalgoE3EjNS0_10empty_typeEbEEZZNS1_14partition_implILS8_3ELb0ES6_jNS0_17counting_iteratorIjlEEPS9_SE_NS0_5tupleIJPjSE_EEENSF_IJSE_SE_EEES9_SG_JZNS1_25segmented_radix_sort_implINS0_14default_configELb1EPKlPlSM_SN_N2at6native12_GLOBAL__N_18offset_tEEE10hipError_tPvRmT1_PNSt15iterator_traitsISV_E10value_typeET2_T3_PNSW_IS11_E10value_typeET4_jRbjT5_S17_jjP12ihipStream_tbEUljE_EEESS_ST_SU_S11_S15_S17_T6_T7_T9_mT8_S19_bDpT10_ENKUlT_T0_E_clISt17integral_constantIbLb0EES1M_EEDaS1H_S1I_EUlS1H_E_NS1_11comp_targetILNS1_3genE2ELNS1_11target_archE906ELNS1_3gpuE6ELNS1_3repE0EEENS1_30default_config_static_selectorELNS0_4arch9wavefront6targetE0EEEvSV_
    .private_segment_fixed_size: 0
    .sgpr_count:     0
    .sgpr_spill_count: 0
    .symbol:         _ZN7rocprim17ROCPRIM_400000_NS6detail17trampoline_kernelINS0_13select_configILj256ELj13ELNS0_17block_load_methodE3ELS4_3ELS4_3ELNS0_20block_scan_algorithmE0ELj4294967295EEENS1_25partition_config_selectorILNS1_17partition_subalgoE3EjNS0_10empty_typeEbEEZZNS1_14partition_implILS8_3ELb0ES6_jNS0_17counting_iteratorIjlEEPS9_SE_NS0_5tupleIJPjSE_EEENSF_IJSE_SE_EEES9_SG_JZNS1_25segmented_radix_sort_implINS0_14default_configELb1EPKlPlSM_SN_N2at6native12_GLOBAL__N_18offset_tEEE10hipError_tPvRmT1_PNSt15iterator_traitsISV_E10value_typeET2_T3_PNSW_IS11_E10value_typeET4_jRbjT5_S17_jjP12ihipStream_tbEUljE_EEESS_ST_SU_S11_S15_S17_T6_T7_T9_mT8_S19_bDpT10_ENKUlT_T0_E_clISt17integral_constantIbLb0EES1M_EEDaS1H_S1I_EUlS1H_E_NS1_11comp_targetILNS1_3genE2ELNS1_11target_archE906ELNS1_3gpuE6ELNS1_3repE0EEENS1_30default_config_static_selectorELNS0_4arch9wavefront6targetE0EEEvSV_.kd
    .uniform_work_group_size: 1
    .uses_dynamic_stack: false
    .vgpr_count:     0
    .vgpr_spill_count: 0
    .wavefront_size: 32
    .workgroup_processor_mode: 1
  - .args:
      - .offset:         0
        .size:           144
        .value_kind:     by_value
    .group_segment_fixed_size: 13320
    .kernarg_segment_align: 8
    .kernarg_segment_size: 144
    .language:       OpenCL C
    .language_version:
      - 2
      - 0
    .max_flat_workgroup_size: 256
    .name:           _ZN7rocprim17ROCPRIM_400000_NS6detail17trampoline_kernelINS0_13select_configILj256ELj13ELNS0_17block_load_methodE3ELS4_3ELS4_3ELNS0_20block_scan_algorithmE0ELj4294967295EEENS1_25partition_config_selectorILNS1_17partition_subalgoE3EjNS0_10empty_typeEbEEZZNS1_14partition_implILS8_3ELb0ES6_jNS0_17counting_iteratorIjlEEPS9_SE_NS0_5tupleIJPjSE_EEENSF_IJSE_SE_EEES9_SG_JZNS1_25segmented_radix_sort_implINS0_14default_configELb1EPKlPlSM_SN_N2at6native12_GLOBAL__N_18offset_tEEE10hipError_tPvRmT1_PNSt15iterator_traitsISV_E10value_typeET2_T3_PNSW_IS11_E10value_typeET4_jRbjT5_S17_jjP12ihipStream_tbEUljE_EEESS_ST_SU_S11_S15_S17_T6_T7_T9_mT8_S19_bDpT10_ENKUlT_T0_E_clISt17integral_constantIbLb0EES1M_EEDaS1H_S1I_EUlS1H_E_NS1_11comp_targetILNS1_3genE10ELNS1_11target_archE1200ELNS1_3gpuE4ELNS1_3repE0EEENS1_30default_config_static_selectorELNS0_4arch9wavefront6targetE0EEEvSV_
    .private_segment_fixed_size: 0
    .sgpr_count:     28
    .sgpr_spill_count: 0
    .symbol:         _ZN7rocprim17ROCPRIM_400000_NS6detail17trampoline_kernelINS0_13select_configILj256ELj13ELNS0_17block_load_methodE3ELS4_3ELS4_3ELNS0_20block_scan_algorithmE0ELj4294967295EEENS1_25partition_config_selectorILNS1_17partition_subalgoE3EjNS0_10empty_typeEbEEZZNS1_14partition_implILS8_3ELb0ES6_jNS0_17counting_iteratorIjlEEPS9_SE_NS0_5tupleIJPjSE_EEENSF_IJSE_SE_EEES9_SG_JZNS1_25segmented_radix_sort_implINS0_14default_configELb1EPKlPlSM_SN_N2at6native12_GLOBAL__N_18offset_tEEE10hipError_tPvRmT1_PNSt15iterator_traitsISV_E10value_typeET2_T3_PNSW_IS11_E10value_typeET4_jRbjT5_S17_jjP12ihipStream_tbEUljE_EEESS_ST_SU_S11_S15_S17_T6_T7_T9_mT8_S19_bDpT10_ENKUlT_T0_E_clISt17integral_constantIbLb0EES1M_EEDaS1H_S1I_EUlS1H_E_NS1_11comp_targetILNS1_3genE10ELNS1_11target_archE1200ELNS1_3gpuE4ELNS1_3repE0EEENS1_30default_config_static_selectorELNS0_4arch9wavefront6targetE0EEEvSV_.kd
    .uniform_work_group_size: 1
    .uses_dynamic_stack: false
    .vgpr_count:     69
    .vgpr_spill_count: 0
    .wavefront_size: 32
    .workgroup_processor_mode: 1
  - .args:
      - .offset:         0
        .size:           144
        .value_kind:     by_value
    .group_segment_fixed_size: 0
    .kernarg_segment_align: 8
    .kernarg_segment_size: 144
    .language:       OpenCL C
    .language_version:
      - 2
      - 0
    .max_flat_workgroup_size: 256
    .name:           _ZN7rocprim17ROCPRIM_400000_NS6detail17trampoline_kernelINS0_13select_configILj256ELj13ELNS0_17block_load_methodE3ELS4_3ELS4_3ELNS0_20block_scan_algorithmE0ELj4294967295EEENS1_25partition_config_selectorILNS1_17partition_subalgoE3EjNS0_10empty_typeEbEEZZNS1_14partition_implILS8_3ELb0ES6_jNS0_17counting_iteratorIjlEEPS9_SE_NS0_5tupleIJPjSE_EEENSF_IJSE_SE_EEES9_SG_JZNS1_25segmented_radix_sort_implINS0_14default_configELb1EPKlPlSM_SN_N2at6native12_GLOBAL__N_18offset_tEEE10hipError_tPvRmT1_PNSt15iterator_traitsISV_E10value_typeET2_T3_PNSW_IS11_E10value_typeET4_jRbjT5_S17_jjP12ihipStream_tbEUljE_EEESS_ST_SU_S11_S15_S17_T6_T7_T9_mT8_S19_bDpT10_ENKUlT_T0_E_clISt17integral_constantIbLb0EES1M_EEDaS1H_S1I_EUlS1H_E_NS1_11comp_targetILNS1_3genE9ELNS1_11target_archE1100ELNS1_3gpuE3ELNS1_3repE0EEENS1_30default_config_static_selectorELNS0_4arch9wavefront6targetE0EEEvSV_
    .private_segment_fixed_size: 0
    .sgpr_count:     0
    .sgpr_spill_count: 0
    .symbol:         _ZN7rocprim17ROCPRIM_400000_NS6detail17trampoline_kernelINS0_13select_configILj256ELj13ELNS0_17block_load_methodE3ELS4_3ELS4_3ELNS0_20block_scan_algorithmE0ELj4294967295EEENS1_25partition_config_selectorILNS1_17partition_subalgoE3EjNS0_10empty_typeEbEEZZNS1_14partition_implILS8_3ELb0ES6_jNS0_17counting_iteratorIjlEEPS9_SE_NS0_5tupleIJPjSE_EEENSF_IJSE_SE_EEES9_SG_JZNS1_25segmented_radix_sort_implINS0_14default_configELb1EPKlPlSM_SN_N2at6native12_GLOBAL__N_18offset_tEEE10hipError_tPvRmT1_PNSt15iterator_traitsISV_E10value_typeET2_T3_PNSW_IS11_E10value_typeET4_jRbjT5_S17_jjP12ihipStream_tbEUljE_EEESS_ST_SU_S11_S15_S17_T6_T7_T9_mT8_S19_bDpT10_ENKUlT_T0_E_clISt17integral_constantIbLb0EES1M_EEDaS1H_S1I_EUlS1H_E_NS1_11comp_targetILNS1_3genE9ELNS1_11target_archE1100ELNS1_3gpuE3ELNS1_3repE0EEENS1_30default_config_static_selectorELNS0_4arch9wavefront6targetE0EEEvSV_.kd
    .uniform_work_group_size: 1
    .uses_dynamic_stack: false
    .vgpr_count:     0
    .vgpr_spill_count: 0
    .wavefront_size: 32
    .workgroup_processor_mode: 1
  - .args:
      - .offset:         0
        .size:           144
        .value_kind:     by_value
    .group_segment_fixed_size: 0
    .kernarg_segment_align: 8
    .kernarg_segment_size: 144
    .language:       OpenCL C
    .language_version:
      - 2
      - 0
    .max_flat_workgroup_size: 256
    .name:           _ZN7rocprim17ROCPRIM_400000_NS6detail17trampoline_kernelINS0_13select_configILj256ELj13ELNS0_17block_load_methodE3ELS4_3ELS4_3ELNS0_20block_scan_algorithmE0ELj4294967295EEENS1_25partition_config_selectorILNS1_17partition_subalgoE3EjNS0_10empty_typeEbEEZZNS1_14partition_implILS8_3ELb0ES6_jNS0_17counting_iteratorIjlEEPS9_SE_NS0_5tupleIJPjSE_EEENSF_IJSE_SE_EEES9_SG_JZNS1_25segmented_radix_sort_implINS0_14default_configELb1EPKlPlSM_SN_N2at6native12_GLOBAL__N_18offset_tEEE10hipError_tPvRmT1_PNSt15iterator_traitsISV_E10value_typeET2_T3_PNSW_IS11_E10value_typeET4_jRbjT5_S17_jjP12ihipStream_tbEUljE_EEESS_ST_SU_S11_S15_S17_T6_T7_T9_mT8_S19_bDpT10_ENKUlT_T0_E_clISt17integral_constantIbLb0EES1M_EEDaS1H_S1I_EUlS1H_E_NS1_11comp_targetILNS1_3genE8ELNS1_11target_archE1030ELNS1_3gpuE2ELNS1_3repE0EEENS1_30default_config_static_selectorELNS0_4arch9wavefront6targetE0EEEvSV_
    .private_segment_fixed_size: 0
    .sgpr_count:     0
    .sgpr_spill_count: 0
    .symbol:         _ZN7rocprim17ROCPRIM_400000_NS6detail17trampoline_kernelINS0_13select_configILj256ELj13ELNS0_17block_load_methodE3ELS4_3ELS4_3ELNS0_20block_scan_algorithmE0ELj4294967295EEENS1_25partition_config_selectorILNS1_17partition_subalgoE3EjNS0_10empty_typeEbEEZZNS1_14partition_implILS8_3ELb0ES6_jNS0_17counting_iteratorIjlEEPS9_SE_NS0_5tupleIJPjSE_EEENSF_IJSE_SE_EEES9_SG_JZNS1_25segmented_radix_sort_implINS0_14default_configELb1EPKlPlSM_SN_N2at6native12_GLOBAL__N_18offset_tEEE10hipError_tPvRmT1_PNSt15iterator_traitsISV_E10value_typeET2_T3_PNSW_IS11_E10value_typeET4_jRbjT5_S17_jjP12ihipStream_tbEUljE_EEESS_ST_SU_S11_S15_S17_T6_T7_T9_mT8_S19_bDpT10_ENKUlT_T0_E_clISt17integral_constantIbLb0EES1M_EEDaS1H_S1I_EUlS1H_E_NS1_11comp_targetILNS1_3genE8ELNS1_11target_archE1030ELNS1_3gpuE2ELNS1_3repE0EEENS1_30default_config_static_selectorELNS0_4arch9wavefront6targetE0EEEvSV_.kd
    .uniform_work_group_size: 1
    .uses_dynamic_stack: false
    .vgpr_count:     0
    .vgpr_spill_count: 0
    .wavefront_size: 32
    .workgroup_processor_mode: 1
  - .args:
      - .offset:         0
        .size:           152
        .value_kind:     by_value
    .group_segment_fixed_size: 0
    .kernarg_segment_align: 8
    .kernarg_segment_size: 152
    .language:       OpenCL C
    .language_version:
      - 2
      - 0
    .max_flat_workgroup_size: 256
    .name:           _ZN7rocprim17ROCPRIM_400000_NS6detail17trampoline_kernelINS0_13select_configILj256ELj13ELNS0_17block_load_methodE3ELS4_3ELS4_3ELNS0_20block_scan_algorithmE0ELj4294967295EEENS1_25partition_config_selectorILNS1_17partition_subalgoE3EjNS0_10empty_typeEbEEZZNS1_14partition_implILS8_3ELb0ES6_jNS0_17counting_iteratorIjlEEPS9_SE_NS0_5tupleIJPjSE_EEENSF_IJSE_SE_EEES9_SG_JZNS1_25segmented_radix_sort_implINS0_14default_configELb1EPKlPlSM_SN_N2at6native12_GLOBAL__N_18offset_tEEE10hipError_tPvRmT1_PNSt15iterator_traitsISV_E10value_typeET2_T3_PNSW_IS11_E10value_typeET4_jRbjT5_S17_jjP12ihipStream_tbEUljE_EEESS_ST_SU_S11_S15_S17_T6_T7_T9_mT8_S19_bDpT10_ENKUlT_T0_E_clISt17integral_constantIbLb1EES1M_EEDaS1H_S1I_EUlS1H_E_NS1_11comp_targetILNS1_3genE0ELNS1_11target_archE4294967295ELNS1_3gpuE0ELNS1_3repE0EEENS1_30default_config_static_selectorELNS0_4arch9wavefront6targetE0EEEvSV_
    .private_segment_fixed_size: 0
    .sgpr_count:     0
    .sgpr_spill_count: 0
    .symbol:         _ZN7rocprim17ROCPRIM_400000_NS6detail17trampoline_kernelINS0_13select_configILj256ELj13ELNS0_17block_load_methodE3ELS4_3ELS4_3ELNS0_20block_scan_algorithmE0ELj4294967295EEENS1_25partition_config_selectorILNS1_17partition_subalgoE3EjNS0_10empty_typeEbEEZZNS1_14partition_implILS8_3ELb0ES6_jNS0_17counting_iteratorIjlEEPS9_SE_NS0_5tupleIJPjSE_EEENSF_IJSE_SE_EEES9_SG_JZNS1_25segmented_radix_sort_implINS0_14default_configELb1EPKlPlSM_SN_N2at6native12_GLOBAL__N_18offset_tEEE10hipError_tPvRmT1_PNSt15iterator_traitsISV_E10value_typeET2_T3_PNSW_IS11_E10value_typeET4_jRbjT5_S17_jjP12ihipStream_tbEUljE_EEESS_ST_SU_S11_S15_S17_T6_T7_T9_mT8_S19_bDpT10_ENKUlT_T0_E_clISt17integral_constantIbLb1EES1M_EEDaS1H_S1I_EUlS1H_E_NS1_11comp_targetILNS1_3genE0ELNS1_11target_archE4294967295ELNS1_3gpuE0ELNS1_3repE0EEENS1_30default_config_static_selectorELNS0_4arch9wavefront6targetE0EEEvSV_.kd
    .uniform_work_group_size: 1
    .uses_dynamic_stack: false
    .vgpr_count:     0
    .vgpr_spill_count: 0
    .wavefront_size: 32
    .workgroup_processor_mode: 1
  - .args:
      - .offset:         0
        .size:           152
        .value_kind:     by_value
    .group_segment_fixed_size: 0
    .kernarg_segment_align: 8
    .kernarg_segment_size: 152
    .language:       OpenCL C
    .language_version:
      - 2
      - 0
    .max_flat_workgroup_size: 256
    .name:           _ZN7rocprim17ROCPRIM_400000_NS6detail17trampoline_kernelINS0_13select_configILj256ELj13ELNS0_17block_load_methodE3ELS4_3ELS4_3ELNS0_20block_scan_algorithmE0ELj4294967295EEENS1_25partition_config_selectorILNS1_17partition_subalgoE3EjNS0_10empty_typeEbEEZZNS1_14partition_implILS8_3ELb0ES6_jNS0_17counting_iteratorIjlEEPS9_SE_NS0_5tupleIJPjSE_EEENSF_IJSE_SE_EEES9_SG_JZNS1_25segmented_radix_sort_implINS0_14default_configELb1EPKlPlSM_SN_N2at6native12_GLOBAL__N_18offset_tEEE10hipError_tPvRmT1_PNSt15iterator_traitsISV_E10value_typeET2_T3_PNSW_IS11_E10value_typeET4_jRbjT5_S17_jjP12ihipStream_tbEUljE_EEESS_ST_SU_S11_S15_S17_T6_T7_T9_mT8_S19_bDpT10_ENKUlT_T0_E_clISt17integral_constantIbLb1EES1M_EEDaS1H_S1I_EUlS1H_E_NS1_11comp_targetILNS1_3genE5ELNS1_11target_archE942ELNS1_3gpuE9ELNS1_3repE0EEENS1_30default_config_static_selectorELNS0_4arch9wavefront6targetE0EEEvSV_
    .private_segment_fixed_size: 0
    .sgpr_count:     0
    .sgpr_spill_count: 0
    .symbol:         _ZN7rocprim17ROCPRIM_400000_NS6detail17trampoline_kernelINS0_13select_configILj256ELj13ELNS0_17block_load_methodE3ELS4_3ELS4_3ELNS0_20block_scan_algorithmE0ELj4294967295EEENS1_25partition_config_selectorILNS1_17partition_subalgoE3EjNS0_10empty_typeEbEEZZNS1_14partition_implILS8_3ELb0ES6_jNS0_17counting_iteratorIjlEEPS9_SE_NS0_5tupleIJPjSE_EEENSF_IJSE_SE_EEES9_SG_JZNS1_25segmented_radix_sort_implINS0_14default_configELb1EPKlPlSM_SN_N2at6native12_GLOBAL__N_18offset_tEEE10hipError_tPvRmT1_PNSt15iterator_traitsISV_E10value_typeET2_T3_PNSW_IS11_E10value_typeET4_jRbjT5_S17_jjP12ihipStream_tbEUljE_EEESS_ST_SU_S11_S15_S17_T6_T7_T9_mT8_S19_bDpT10_ENKUlT_T0_E_clISt17integral_constantIbLb1EES1M_EEDaS1H_S1I_EUlS1H_E_NS1_11comp_targetILNS1_3genE5ELNS1_11target_archE942ELNS1_3gpuE9ELNS1_3repE0EEENS1_30default_config_static_selectorELNS0_4arch9wavefront6targetE0EEEvSV_.kd
    .uniform_work_group_size: 1
    .uses_dynamic_stack: false
    .vgpr_count:     0
    .vgpr_spill_count: 0
    .wavefront_size: 32
    .workgroup_processor_mode: 1
  - .args:
      - .offset:         0
        .size:           152
        .value_kind:     by_value
    .group_segment_fixed_size: 0
    .kernarg_segment_align: 8
    .kernarg_segment_size: 152
    .language:       OpenCL C
    .language_version:
      - 2
      - 0
    .max_flat_workgroup_size: 256
    .name:           _ZN7rocprim17ROCPRIM_400000_NS6detail17trampoline_kernelINS0_13select_configILj256ELj13ELNS0_17block_load_methodE3ELS4_3ELS4_3ELNS0_20block_scan_algorithmE0ELj4294967295EEENS1_25partition_config_selectorILNS1_17partition_subalgoE3EjNS0_10empty_typeEbEEZZNS1_14partition_implILS8_3ELb0ES6_jNS0_17counting_iteratorIjlEEPS9_SE_NS0_5tupleIJPjSE_EEENSF_IJSE_SE_EEES9_SG_JZNS1_25segmented_radix_sort_implINS0_14default_configELb1EPKlPlSM_SN_N2at6native12_GLOBAL__N_18offset_tEEE10hipError_tPvRmT1_PNSt15iterator_traitsISV_E10value_typeET2_T3_PNSW_IS11_E10value_typeET4_jRbjT5_S17_jjP12ihipStream_tbEUljE_EEESS_ST_SU_S11_S15_S17_T6_T7_T9_mT8_S19_bDpT10_ENKUlT_T0_E_clISt17integral_constantIbLb1EES1M_EEDaS1H_S1I_EUlS1H_E_NS1_11comp_targetILNS1_3genE4ELNS1_11target_archE910ELNS1_3gpuE8ELNS1_3repE0EEENS1_30default_config_static_selectorELNS0_4arch9wavefront6targetE0EEEvSV_
    .private_segment_fixed_size: 0
    .sgpr_count:     0
    .sgpr_spill_count: 0
    .symbol:         _ZN7rocprim17ROCPRIM_400000_NS6detail17trampoline_kernelINS0_13select_configILj256ELj13ELNS0_17block_load_methodE3ELS4_3ELS4_3ELNS0_20block_scan_algorithmE0ELj4294967295EEENS1_25partition_config_selectorILNS1_17partition_subalgoE3EjNS0_10empty_typeEbEEZZNS1_14partition_implILS8_3ELb0ES6_jNS0_17counting_iteratorIjlEEPS9_SE_NS0_5tupleIJPjSE_EEENSF_IJSE_SE_EEES9_SG_JZNS1_25segmented_radix_sort_implINS0_14default_configELb1EPKlPlSM_SN_N2at6native12_GLOBAL__N_18offset_tEEE10hipError_tPvRmT1_PNSt15iterator_traitsISV_E10value_typeET2_T3_PNSW_IS11_E10value_typeET4_jRbjT5_S17_jjP12ihipStream_tbEUljE_EEESS_ST_SU_S11_S15_S17_T6_T7_T9_mT8_S19_bDpT10_ENKUlT_T0_E_clISt17integral_constantIbLb1EES1M_EEDaS1H_S1I_EUlS1H_E_NS1_11comp_targetILNS1_3genE4ELNS1_11target_archE910ELNS1_3gpuE8ELNS1_3repE0EEENS1_30default_config_static_selectorELNS0_4arch9wavefront6targetE0EEEvSV_.kd
    .uniform_work_group_size: 1
    .uses_dynamic_stack: false
    .vgpr_count:     0
    .vgpr_spill_count: 0
    .wavefront_size: 32
    .workgroup_processor_mode: 1
  - .args:
      - .offset:         0
        .size:           152
        .value_kind:     by_value
    .group_segment_fixed_size: 0
    .kernarg_segment_align: 8
    .kernarg_segment_size: 152
    .language:       OpenCL C
    .language_version:
      - 2
      - 0
    .max_flat_workgroup_size: 256
    .name:           _ZN7rocprim17ROCPRIM_400000_NS6detail17trampoline_kernelINS0_13select_configILj256ELj13ELNS0_17block_load_methodE3ELS4_3ELS4_3ELNS0_20block_scan_algorithmE0ELj4294967295EEENS1_25partition_config_selectorILNS1_17partition_subalgoE3EjNS0_10empty_typeEbEEZZNS1_14partition_implILS8_3ELb0ES6_jNS0_17counting_iteratorIjlEEPS9_SE_NS0_5tupleIJPjSE_EEENSF_IJSE_SE_EEES9_SG_JZNS1_25segmented_radix_sort_implINS0_14default_configELb1EPKlPlSM_SN_N2at6native12_GLOBAL__N_18offset_tEEE10hipError_tPvRmT1_PNSt15iterator_traitsISV_E10value_typeET2_T3_PNSW_IS11_E10value_typeET4_jRbjT5_S17_jjP12ihipStream_tbEUljE_EEESS_ST_SU_S11_S15_S17_T6_T7_T9_mT8_S19_bDpT10_ENKUlT_T0_E_clISt17integral_constantIbLb1EES1M_EEDaS1H_S1I_EUlS1H_E_NS1_11comp_targetILNS1_3genE3ELNS1_11target_archE908ELNS1_3gpuE7ELNS1_3repE0EEENS1_30default_config_static_selectorELNS0_4arch9wavefront6targetE0EEEvSV_
    .private_segment_fixed_size: 0
    .sgpr_count:     0
    .sgpr_spill_count: 0
    .symbol:         _ZN7rocprim17ROCPRIM_400000_NS6detail17trampoline_kernelINS0_13select_configILj256ELj13ELNS0_17block_load_methodE3ELS4_3ELS4_3ELNS0_20block_scan_algorithmE0ELj4294967295EEENS1_25partition_config_selectorILNS1_17partition_subalgoE3EjNS0_10empty_typeEbEEZZNS1_14partition_implILS8_3ELb0ES6_jNS0_17counting_iteratorIjlEEPS9_SE_NS0_5tupleIJPjSE_EEENSF_IJSE_SE_EEES9_SG_JZNS1_25segmented_radix_sort_implINS0_14default_configELb1EPKlPlSM_SN_N2at6native12_GLOBAL__N_18offset_tEEE10hipError_tPvRmT1_PNSt15iterator_traitsISV_E10value_typeET2_T3_PNSW_IS11_E10value_typeET4_jRbjT5_S17_jjP12ihipStream_tbEUljE_EEESS_ST_SU_S11_S15_S17_T6_T7_T9_mT8_S19_bDpT10_ENKUlT_T0_E_clISt17integral_constantIbLb1EES1M_EEDaS1H_S1I_EUlS1H_E_NS1_11comp_targetILNS1_3genE3ELNS1_11target_archE908ELNS1_3gpuE7ELNS1_3repE0EEENS1_30default_config_static_selectorELNS0_4arch9wavefront6targetE0EEEvSV_.kd
    .uniform_work_group_size: 1
    .uses_dynamic_stack: false
    .vgpr_count:     0
    .vgpr_spill_count: 0
    .wavefront_size: 32
    .workgroup_processor_mode: 1
  - .args:
      - .offset:         0
        .size:           152
        .value_kind:     by_value
    .group_segment_fixed_size: 0
    .kernarg_segment_align: 8
    .kernarg_segment_size: 152
    .language:       OpenCL C
    .language_version:
      - 2
      - 0
    .max_flat_workgroup_size: 256
    .name:           _ZN7rocprim17ROCPRIM_400000_NS6detail17trampoline_kernelINS0_13select_configILj256ELj13ELNS0_17block_load_methodE3ELS4_3ELS4_3ELNS0_20block_scan_algorithmE0ELj4294967295EEENS1_25partition_config_selectorILNS1_17partition_subalgoE3EjNS0_10empty_typeEbEEZZNS1_14partition_implILS8_3ELb0ES6_jNS0_17counting_iteratorIjlEEPS9_SE_NS0_5tupleIJPjSE_EEENSF_IJSE_SE_EEES9_SG_JZNS1_25segmented_radix_sort_implINS0_14default_configELb1EPKlPlSM_SN_N2at6native12_GLOBAL__N_18offset_tEEE10hipError_tPvRmT1_PNSt15iterator_traitsISV_E10value_typeET2_T3_PNSW_IS11_E10value_typeET4_jRbjT5_S17_jjP12ihipStream_tbEUljE_EEESS_ST_SU_S11_S15_S17_T6_T7_T9_mT8_S19_bDpT10_ENKUlT_T0_E_clISt17integral_constantIbLb1EES1M_EEDaS1H_S1I_EUlS1H_E_NS1_11comp_targetILNS1_3genE2ELNS1_11target_archE906ELNS1_3gpuE6ELNS1_3repE0EEENS1_30default_config_static_selectorELNS0_4arch9wavefront6targetE0EEEvSV_
    .private_segment_fixed_size: 0
    .sgpr_count:     0
    .sgpr_spill_count: 0
    .symbol:         _ZN7rocprim17ROCPRIM_400000_NS6detail17trampoline_kernelINS0_13select_configILj256ELj13ELNS0_17block_load_methodE3ELS4_3ELS4_3ELNS0_20block_scan_algorithmE0ELj4294967295EEENS1_25partition_config_selectorILNS1_17partition_subalgoE3EjNS0_10empty_typeEbEEZZNS1_14partition_implILS8_3ELb0ES6_jNS0_17counting_iteratorIjlEEPS9_SE_NS0_5tupleIJPjSE_EEENSF_IJSE_SE_EEES9_SG_JZNS1_25segmented_radix_sort_implINS0_14default_configELb1EPKlPlSM_SN_N2at6native12_GLOBAL__N_18offset_tEEE10hipError_tPvRmT1_PNSt15iterator_traitsISV_E10value_typeET2_T3_PNSW_IS11_E10value_typeET4_jRbjT5_S17_jjP12ihipStream_tbEUljE_EEESS_ST_SU_S11_S15_S17_T6_T7_T9_mT8_S19_bDpT10_ENKUlT_T0_E_clISt17integral_constantIbLb1EES1M_EEDaS1H_S1I_EUlS1H_E_NS1_11comp_targetILNS1_3genE2ELNS1_11target_archE906ELNS1_3gpuE6ELNS1_3repE0EEENS1_30default_config_static_selectorELNS0_4arch9wavefront6targetE0EEEvSV_.kd
    .uniform_work_group_size: 1
    .uses_dynamic_stack: false
    .vgpr_count:     0
    .vgpr_spill_count: 0
    .wavefront_size: 32
    .workgroup_processor_mode: 1
  - .args:
      - .offset:         0
        .size:           152
        .value_kind:     by_value
    .group_segment_fixed_size: 0
    .kernarg_segment_align: 8
    .kernarg_segment_size: 152
    .language:       OpenCL C
    .language_version:
      - 2
      - 0
    .max_flat_workgroup_size: 256
    .name:           _ZN7rocprim17ROCPRIM_400000_NS6detail17trampoline_kernelINS0_13select_configILj256ELj13ELNS0_17block_load_methodE3ELS4_3ELS4_3ELNS0_20block_scan_algorithmE0ELj4294967295EEENS1_25partition_config_selectorILNS1_17partition_subalgoE3EjNS0_10empty_typeEbEEZZNS1_14partition_implILS8_3ELb0ES6_jNS0_17counting_iteratorIjlEEPS9_SE_NS0_5tupleIJPjSE_EEENSF_IJSE_SE_EEES9_SG_JZNS1_25segmented_radix_sort_implINS0_14default_configELb1EPKlPlSM_SN_N2at6native12_GLOBAL__N_18offset_tEEE10hipError_tPvRmT1_PNSt15iterator_traitsISV_E10value_typeET2_T3_PNSW_IS11_E10value_typeET4_jRbjT5_S17_jjP12ihipStream_tbEUljE_EEESS_ST_SU_S11_S15_S17_T6_T7_T9_mT8_S19_bDpT10_ENKUlT_T0_E_clISt17integral_constantIbLb1EES1M_EEDaS1H_S1I_EUlS1H_E_NS1_11comp_targetILNS1_3genE10ELNS1_11target_archE1200ELNS1_3gpuE4ELNS1_3repE0EEENS1_30default_config_static_selectorELNS0_4arch9wavefront6targetE0EEEvSV_
    .private_segment_fixed_size: 0
    .sgpr_count:     0
    .sgpr_spill_count: 0
    .symbol:         _ZN7rocprim17ROCPRIM_400000_NS6detail17trampoline_kernelINS0_13select_configILj256ELj13ELNS0_17block_load_methodE3ELS4_3ELS4_3ELNS0_20block_scan_algorithmE0ELj4294967295EEENS1_25partition_config_selectorILNS1_17partition_subalgoE3EjNS0_10empty_typeEbEEZZNS1_14partition_implILS8_3ELb0ES6_jNS0_17counting_iteratorIjlEEPS9_SE_NS0_5tupleIJPjSE_EEENSF_IJSE_SE_EEES9_SG_JZNS1_25segmented_radix_sort_implINS0_14default_configELb1EPKlPlSM_SN_N2at6native12_GLOBAL__N_18offset_tEEE10hipError_tPvRmT1_PNSt15iterator_traitsISV_E10value_typeET2_T3_PNSW_IS11_E10value_typeET4_jRbjT5_S17_jjP12ihipStream_tbEUljE_EEESS_ST_SU_S11_S15_S17_T6_T7_T9_mT8_S19_bDpT10_ENKUlT_T0_E_clISt17integral_constantIbLb1EES1M_EEDaS1H_S1I_EUlS1H_E_NS1_11comp_targetILNS1_3genE10ELNS1_11target_archE1200ELNS1_3gpuE4ELNS1_3repE0EEENS1_30default_config_static_selectorELNS0_4arch9wavefront6targetE0EEEvSV_.kd
    .uniform_work_group_size: 1
    .uses_dynamic_stack: false
    .vgpr_count:     0
    .vgpr_spill_count: 0
    .wavefront_size: 32
    .workgroup_processor_mode: 1
  - .args:
      - .offset:         0
        .size:           152
        .value_kind:     by_value
    .group_segment_fixed_size: 0
    .kernarg_segment_align: 8
    .kernarg_segment_size: 152
    .language:       OpenCL C
    .language_version:
      - 2
      - 0
    .max_flat_workgroup_size: 256
    .name:           _ZN7rocprim17ROCPRIM_400000_NS6detail17trampoline_kernelINS0_13select_configILj256ELj13ELNS0_17block_load_methodE3ELS4_3ELS4_3ELNS0_20block_scan_algorithmE0ELj4294967295EEENS1_25partition_config_selectorILNS1_17partition_subalgoE3EjNS0_10empty_typeEbEEZZNS1_14partition_implILS8_3ELb0ES6_jNS0_17counting_iteratorIjlEEPS9_SE_NS0_5tupleIJPjSE_EEENSF_IJSE_SE_EEES9_SG_JZNS1_25segmented_radix_sort_implINS0_14default_configELb1EPKlPlSM_SN_N2at6native12_GLOBAL__N_18offset_tEEE10hipError_tPvRmT1_PNSt15iterator_traitsISV_E10value_typeET2_T3_PNSW_IS11_E10value_typeET4_jRbjT5_S17_jjP12ihipStream_tbEUljE_EEESS_ST_SU_S11_S15_S17_T6_T7_T9_mT8_S19_bDpT10_ENKUlT_T0_E_clISt17integral_constantIbLb1EES1M_EEDaS1H_S1I_EUlS1H_E_NS1_11comp_targetILNS1_3genE9ELNS1_11target_archE1100ELNS1_3gpuE3ELNS1_3repE0EEENS1_30default_config_static_selectorELNS0_4arch9wavefront6targetE0EEEvSV_
    .private_segment_fixed_size: 0
    .sgpr_count:     0
    .sgpr_spill_count: 0
    .symbol:         _ZN7rocprim17ROCPRIM_400000_NS6detail17trampoline_kernelINS0_13select_configILj256ELj13ELNS0_17block_load_methodE3ELS4_3ELS4_3ELNS0_20block_scan_algorithmE0ELj4294967295EEENS1_25partition_config_selectorILNS1_17partition_subalgoE3EjNS0_10empty_typeEbEEZZNS1_14partition_implILS8_3ELb0ES6_jNS0_17counting_iteratorIjlEEPS9_SE_NS0_5tupleIJPjSE_EEENSF_IJSE_SE_EEES9_SG_JZNS1_25segmented_radix_sort_implINS0_14default_configELb1EPKlPlSM_SN_N2at6native12_GLOBAL__N_18offset_tEEE10hipError_tPvRmT1_PNSt15iterator_traitsISV_E10value_typeET2_T3_PNSW_IS11_E10value_typeET4_jRbjT5_S17_jjP12ihipStream_tbEUljE_EEESS_ST_SU_S11_S15_S17_T6_T7_T9_mT8_S19_bDpT10_ENKUlT_T0_E_clISt17integral_constantIbLb1EES1M_EEDaS1H_S1I_EUlS1H_E_NS1_11comp_targetILNS1_3genE9ELNS1_11target_archE1100ELNS1_3gpuE3ELNS1_3repE0EEENS1_30default_config_static_selectorELNS0_4arch9wavefront6targetE0EEEvSV_.kd
    .uniform_work_group_size: 1
    .uses_dynamic_stack: false
    .vgpr_count:     0
    .vgpr_spill_count: 0
    .wavefront_size: 32
    .workgroup_processor_mode: 1
  - .args:
      - .offset:         0
        .size:           152
        .value_kind:     by_value
    .group_segment_fixed_size: 0
    .kernarg_segment_align: 8
    .kernarg_segment_size: 152
    .language:       OpenCL C
    .language_version:
      - 2
      - 0
    .max_flat_workgroup_size: 256
    .name:           _ZN7rocprim17ROCPRIM_400000_NS6detail17trampoline_kernelINS0_13select_configILj256ELj13ELNS0_17block_load_methodE3ELS4_3ELS4_3ELNS0_20block_scan_algorithmE0ELj4294967295EEENS1_25partition_config_selectorILNS1_17partition_subalgoE3EjNS0_10empty_typeEbEEZZNS1_14partition_implILS8_3ELb0ES6_jNS0_17counting_iteratorIjlEEPS9_SE_NS0_5tupleIJPjSE_EEENSF_IJSE_SE_EEES9_SG_JZNS1_25segmented_radix_sort_implINS0_14default_configELb1EPKlPlSM_SN_N2at6native12_GLOBAL__N_18offset_tEEE10hipError_tPvRmT1_PNSt15iterator_traitsISV_E10value_typeET2_T3_PNSW_IS11_E10value_typeET4_jRbjT5_S17_jjP12ihipStream_tbEUljE_EEESS_ST_SU_S11_S15_S17_T6_T7_T9_mT8_S19_bDpT10_ENKUlT_T0_E_clISt17integral_constantIbLb1EES1M_EEDaS1H_S1I_EUlS1H_E_NS1_11comp_targetILNS1_3genE8ELNS1_11target_archE1030ELNS1_3gpuE2ELNS1_3repE0EEENS1_30default_config_static_selectorELNS0_4arch9wavefront6targetE0EEEvSV_
    .private_segment_fixed_size: 0
    .sgpr_count:     0
    .sgpr_spill_count: 0
    .symbol:         _ZN7rocprim17ROCPRIM_400000_NS6detail17trampoline_kernelINS0_13select_configILj256ELj13ELNS0_17block_load_methodE3ELS4_3ELS4_3ELNS0_20block_scan_algorithmE0ELj4294967295EEENS1_25partition_config_selectorILNS1_17partition_subalgoE3EjNS0_10empty_typeEbEEZZNS1_14partition_implILS8_3ELb0ES6_jNS0_17counting_iteratorIjlEEPS9_SE_NS0_5tupleIJPjSE_EEENSF_IJSE_SE_EEES9_SG_JZNS1_25segmented_radix_sort_implINS0_14default_configELb1EPKlPlSM_SN_N2at6native12_GLOBAL__N_18offset_tEEE10hipError_tPvRmT1_PNSt15iterator_traitsISV_E10value_typeET2_T3_PNSW_IS11_E10value_typeET4_jRbjT5_S17_jjP12ihipStream_tbEUljE_EEESS_ST_SU_S11_S15_S17_T6_T7_T9_mT8_S19_bDpT10_ENKUlT_T0_E_clISt17integral_constantIbLb1EES1M_EEDaS1H_S1I_EUlS1H_E_NS1_11comp_targetILNS1_3genE8ELNS1_11target_archE1030ELNS1_3gpuE2ELNS1_3repE0EEENS1_30default_config_static_selectorELNS0_4arch9wavefront6targetE0EEEvSV_.kd
    .uniform_work_group_size: 1
    .uses_dynamic_stack: false
    .vgpr_count:     0
    .vgpr_spill_count: 0
    .wavefront_size: 32
    .workgroup_processor_mode: 1
  - .args:
      - .offset:         0
        .size:           144
        .value_kind:     by_value
    .group_segment_fixed_size: 0
    .kernarg_segment_align: 8
    .kernarg_segment_size: 144
    .language:       OpenCL C
    .language_version:
      - 2
      - 0
    .max_flat_workgroup_size: 256
    .name:           _ZN7rocprim17ROCPRIM_400000_NS6detail17trampoline_kernelINS0_13select_configILj256ELj13ELNS0_17block_load_methodE3ELS4_3ELS4_3ELNS0_20block_scan_algorithmE0ELj4294967295EEENS1_25partition_config_selectorILNS1_17partition_subalgoE3EjNS0_10empty_typeEbEEZZNS1_14partition_implILS8_3ELb0ES6_jNS0_17counting_iteratorIjlEEPS9_SE_NS0_5tupleIJPjSE_EEENSF_IJSE_SE_EEES9_SG_JZNS1_25segmented_radix_sort_implINS0_14default_configELb1EPKlPlSM_SN_N2at6native12_GLOBAL__N_18offset_tEEE10hipError_tPvRmT1_PNSt15iterator_traitsISV_E10value_typeET2_T3_PNSW_IS11_E10value_typeET4_jRbjT5_S17_jjP12ihipStream_tbEUljE_EEESS_ST_SU_S11_S15_S17_T6_T7_T9_mT8_S19_bDpT10_ENKUlT_T0_E_clISt17integral_constantIbLb1EES1L_IbLb0EEEEDaS1H_S1I_EUlS1H_E_NS1_11comp_targetILNS1_3genE0ELNS1_11target_archE4294967295ELNS1_3gpuE0ELNS1_3repE0EEENS1_30default_config_static_selectorELNS0_4arch9wavefront6targetE0EEEvSV_
    .private_segment_fixed_size: 0
    .sgpr_count:     0
    .sgpr_spill_count: 0
    .symbol:         _ZN7rocprim17ROCPRIM_400000_NS6detail17trampoline_kernelINS0_13select_configILj256ELj13ELNS0_17block_load_methodE3ELS4_3ELS4_3ELNS0_20block_scan_algorithmE0ELj4294967295EEENS1_25partition_config_selectorILNS1_17partition_subalgoE3EjNS0_10empty_typeEbEEZZNS1_14partition_implILS8_3ELb0ES6_jNS0_17counting_iteratorIjlEEPS9_SE_NS0_5tupleIJPjSE_EEENSF_IJSE_SE_EEES9_SG_JZNS1_25segmented_radix_sort_implINS0_14default_configELb1EPKlPlSM_SN_N2at6native12_GLOBAL__N_18offset_tEEE10hipError_tPvRmT1_PNSt15iterator_traitsISV_E10value_typeET2_T3_PNSW_IS11_E10value_typeET4_jRbjT5_S17_jjP12ihipStream_tbEUljE_EEESS_ST_SU_S11_S15_S17_T6_T7_T9_mT8_S19_bDpT10_ENKUlT_T0_E_clISt17integral_constantIbLb1EES1L_IbLb0EEEEDaS1H_S1I_EUlS1H_E_NS1_11comp_targetILNS1_3genE0ELNS1_11target_archE4294967295ELNS1_3gpuE0ELNS1_3repE0EEENS1_30default_config_static_selectorELNS0_4arch9wavefront6targetE0EEEvSV_.kd
    .uniform_work_group_size: 1
    .uses_dynamic_stack: false
    .vgpr_count:     0
    .vgpr_spill_count: 0
    .wavefront_size: 32
    .workgroup_processor_mode: 1
  - .args:
      - .offset:         0
        .size:           144
        .value_kind:     by_value
    .group_segment_fixed_size: 0
    .kernarg_segment_align: 8
    .kernarg_segment_size: 144
    .language:       OpenCL C
    .language_version:
      - 2
      - 0
    .max_flat_workgroup_size: 256
    .name:           _ZN7rocprim17ROCPRIM_400000_NS6detail17trampoline_kernelINS0_13select_configILj256ELj13ELNS0_17block_load_methodE3ELS4_3ELS4_3ELNS0_20block_scan_algorithmE0ELj4294967295EEENS1_25partition_config_selectorILNS1_17partition_subalgoE3EjNS0_10empty_typeEbEEZZNS1_14partition_implILS8_3ELb0ES6_jNS0_17counting_iteratorIjlEEPS9_SE_NS0_5tupleIJPjSE_EEENSF_IJSE_SE_EEES9_SG_JZNS1_25segmented_radix_sort_implINS0_14default_configELb1EPKlPlSM_SN_N2at6native12_GLOBAL__N_18offset_tEEE10hipError_tPvRmT1_PNSt15iterator_traitsISV_E10value_typeET2_T3_PNSW_IS11_E10value_typeET4_jRbjT5_S17_jjP12ihipStream_tbEUljE_EEESS_ST_SU_S11_S15_S17_T6_T7_T9_mT8_S19_bDpT10_ENKUlT_T0_E_clISt17integral_constantIbLb1EES1L_IbLb0EEEEDaS1H_S1I_EUlS1H_E_NS1_11comp_targetILNS1_3genE5ELNS1_11target_archE942ELNS1_3gpuE9ELNS1_3repE0EEENS1_30default_config_static_selectorELNS0_4arch9wavefront6targetE0EEEvSV_
    .private_segment_fixed_size: 0
    .sgpr_count:     0
    .sgpr_spill_count: 0
    .symbol:         _ZN7rocprim17ROCPRIM_400000_NS6detail17trampoline_kernelINS0_13select_configILj256ELj13ELNS0_17block_load_methodE3ELS4_3ELS4_3ELNS0_20block_scan_algorithmE0ELj4294967295EEENS1_25partition_config_selectorILNS1_17partition_subalgoE3EjNS0_10empty_typeEbEEZZNS1_14partition_implILS8_3ELb0ES6_jNS0_17counting_iteratorIjlEEPS9_SE_NS0_5tupleIJPjSE_EEENSF_IJSE_SE_EEES9_SG_JZNS1_25segmented_radix_sort_implINS0_14default_configELb1EPKlPlSM_SN_N2at6native12_GLOBAL__N_18offset_tEEE10hipError_tPvRmT1_PNSt15iterator_traitsISV_E10value_typeET2_T3_PNSW_IS11_E10value_typeET4_jRbjT5_S17_jjP12ihipStream_tbEUljE_EEESS_ST_SU_S11_S15_S17_T6_T7_T9_mT8_S19_bDpT10_ENKUlT_T0_E_clISt17integral_constantIbLb1EES1L_IbLb0EEEEDaS1H_S1I_EUlS1H_E_NS1_11comp_targetILNS1_3genE5ELNS1_11target_archE942ELNS1_3gpuE9ELNS1_3repE0EEENS1_30default_config_static_selectorELNS0_4arch9wavefront6targetE0EEEvSV_.kd
    .uniform_work_group_size: 1
    .uses_dynamic_stack: false
    .vgpr_count:     0
    .vgpr_spill_count: 0
    .wavefront_size: 32
    .workgroup_processor_mode: 1
  - .args:
      - .offset:         0
        .size:           144
        .value_kind:     by_value
    .group_segment_fixed_size: 0
    .kernarg_segment_align: 8
    .kernarg_segment_size: 144
    .language:       OpenCL C
    .language_version:
      - 2
      - 0
    .max_flat_workgroup_size: 256
    .name:           _ZN7rocprim17ROCPRIM_400000_NS6detail17trampoline_kernelINS0_13select_configILj256ELj13ELNS0_17block_load_methodE3ELS4_3ELS4_3ELNS0_20block_scan_algorithmE0ELj4294967295EEENS1_25partition_config_selectorILNS1_17partition_subalgoE3EjNS0_10empty_typeEbEEZZNS1_14partition_implILS8_3ELb0ES6_jNS0_17counting_iteratorIjlEEPS9_SE_NS0_5tupleIJPjSE_EEENSF_IJSE_SE_EEES9_SG_JZNS1_25segmented_radix_sort_implINS0_14default_configELb1EPKlPlSM_SN_N2at6native12_GLOBAL__N_18offset_tEEE10hipError_tPvRmT1_PNSt15iterator_traitsISV_E10value_typeET2_T3_PNSW_IS11_E10value_typeET4_jRbjT5_S17_jjP12ihipStream_tbEUljE_EEESS_ST_SU_S11_S15_S17_T6_T7_T9_mT8_S19_bDpT10_ENKUlT_T0_E_clISt17integral_constantIbLb1EES1L_IbLb0EEEEDaS1H_S1I_EUlS1H_E_NS1_11comp_targetILNS1_3genE4ELNS1_11target_archE910ELNS1_3gpuE8ELNS1_3repE0EEENS1_30default_config_static_selectorELNS0_4arch9wavefront6targetE0EEEvSV_
    .private_segment_fixed_size: 0
    .sgpr_count:     0
    .sgpr_spill_count: 0
    .symbol:         _ZN7rocprim17ROCPRIM_400000_NS6detail17trampoline_kernelINS0_13select_configILj256ELj13ELNS0_17block_load_methodE3ELS4_3ELS4_3ELNS0_20block_scan_algorithmE0ELj4294967295EEENS1_25partition_config_selectorILNS1_17partition_subalgoE3EjNS0_10empty_typeEbEEZZNS1_14partition_implILS8_3ELb0ES6_jNS0_17counting_iteratorIjlEEPS9_SE_NS0_5tupleIJPjSE_EEENSF_IJSE_SE_EEES9_SG_JZNS1_25segmented_radix_sort_implINS0_14default_configELb1EPKlPlSM_SN_N2at6native12_GLOBAL__N_18offset_tEEE10hipError_tPvRmT1_PNSt15iterator_traitsISV_E10value_typeET2_T3_PNSW_IS11_E10value_typeET4_jRbjT5_S17_jjP12ihipStream_tbEUljE_EEESS_ST_SU_S11_S15_S17_T6_T7_T9_mT8_S19_bDpT10_ENKUlT_T0_E_clISt17integral_constantIbLb1EES1L_IbLb0EEEEDaS1H_S1I_EUlS1H_E_NS1_11comp_targetILNS1_3genE4ELNS1_11target_archE910ELNS1_3gpuE8ELNS1_3repE0EEENS1_30default_config_static_selectorELNS0_4arch9wavefront6targetE0EEEvSV_.kd
    .uniform_work_group_size: 1
    .uses_dynamic_stack: false
    .vgpr_count:     0
    .vgpr_spill_count: 0
    .wavefront_size: 32
    .workgroup_processor_mode: 1
  - .args:
      - .offset:         0
        .size:           144
        .value_kind:     by_value
    .group_segment_fixed_size: 0
    .kernarg_segment_align: 8
    .kernarg_segment_size: 144
    .language:       OpenCL C
    .language_version:
      - 2
      - 0
    .max_flat_workgroup_size: 256
    .name:           _ZN7rocprim17ROCPRIM_400000_NS6detail17trampoline_kernelINS0_13select_configILj256ELj13ELNS0_17block_load_methodE3ELS4_3ELS4_3ELNS0_20block_scan_algorithmE0ELj4294967295EEENS1_25partition_config_selectorILNS1_17partition_subalgoE3EjNS0_10empty_typeEbEEZZNS1_14partition_implILS8_3ELb0ES6_jNS0_17counting_iteratorIjlEEPS9_SE_NS0_5tupleIJPjSE_EEENSF_IJSE_SE_EEES9_SG_JZNS1_25segmented_radix_sort_implINS0_14default_configELb1EPKlPlSM_SN_N2at6native12_GLOBAL__N_18offset_tEEE10hipError_tPvRmT1_PNSt15iterator_traitsISV_E10value_typeET2_T3_PNSW_IS11_E10value_typeET4_jRbjT5_S17_jjP12ihipStream_tbEUljE_EEESS_ST_SU_S11_S15_S17_T6_T7_T9_mT8_S19_bDpT10_ENKUlT_T0_E_clISt17integral_constantIbLb1EES1L_IbLb0EEEEDaS1H_S1I_EUlS1H_E_NS1_11comp_targetILNS1_3genE3ELNS1_11target_archE908ELNS1_3gpuE7ELNS1_3repE0EEENS1_30default_config_static_selectorELNS0_4arch9wavefront6targetE0EEEvSV_
    .private_segment_fixed_size: 0
    .sgpr_count:     0
    .sgpr_spill_count: 0
    .symbol:         _ZN7rocprim17ROCPRIM_400000_NS6detail17trampoline_kernelINS0_13select_configILj256ELj13ELNS0_17block_load_methodE3ELS4_3ELS4_3ELNS0_20block_scan_algorithmE0ELj4294967295EEENS1_25partition_config_selectorILNS1_17partition_subalgoE3EjNS0_10empty_typeEbEEZZNS1_14partition_implILS8_3ELb0ES6_jNS0_17counting_iteratorIjlEEPS9_SE_NS0_5tupleIJPjSE_EEENSF_IJSE_SE_EEES9_SG_JZNS1_25segmented_radix_sort_implINS0_14default_configELb1EPKlPlSM_SN_N2at6native12_GLOBAL__N_18offset_tEEE10hipError_tPvRmT1_PNSt15iterator_traitsISV_E10value_typeET2_T3_PNSW_IS11_E10value_typeET4_jRbjT5_S17_jjP12ihipStream_tbEUljE_EEESS_ST_SU_S11_S15_S17_T6_T7_T9_mT8_S19_bDpT10_ENKUlT_T0_E_clISt17integral_constantIbLb1EES1L_IbLb0EEEEDaS1H_S1I_EUlS1H_E_NS1_11comp_targetILNS1_3genE3ELNS1_11target_archE908ELNS1_3gpuE7ELNS1_3repE0EEENS1_30default_config_static_selectorELNS0_4arch9wavefront6targetE0EEEvSV_.kd
    .uniform_work_group_size: 1
    .uses_dynamic_stack: false
    .vgpr_count:     0
    .vgpr_spill_count: 0
    .wavefront_size: 32
    .workgroup_processor_mode: 1
  - .args:
      - .offset:         0
        .size:           144
        .value_kind:     by_value
    .group_segment_fixed_size: 0
    .kernarg_segment_align: 8
    .kernarg_segment_size: 144
    .language:       OpenCL C
    .language_version:
      - 2
      - 0
    .max_flat_workgroup_size: 256
    .name:           _ZN7rocprim17ROCPRIM_400000_NS6detail17trampoline_kernelINS0_13select_configILj256ELj13ELNS0_17block_load_methodE3ELS4_3ELS4_3ELNS0_20block_scan_algorithmE0ELj4294967295EEENS1_25partition_config_selectorILNS1_17partition_subalgoE3EjNS0_10empty_typeEbEEZZNS1_14partition_implILS8_3ELb0ES6_jNS0_17counting_iteratorIjlEEPS9_SE_NS0_5tupleIJPjSE_EEENSF_IJSE_SE_EEES9_SG_JZNS1_25segmented_radix_sort_implINS0_14default_configELb1EPKlPlSM_SN_N2at6native12_GLOBAL__N_18offset_tEEE10hipError_tPvRmT1_PNSt15iterator_traitsISV_E10value_typeET2_T3_PNSW_IS11_E10value_typeET4_jRbjT5_S17_jjP12ihipStream_tbEUljE_EEESS_ST_SU_S11_S15_S17_T6_T7_T9_mT8_S19_bDpT10_ENKUlT_T0_E_clISt17integral_constantIbLb1EES1L_IbLb0EEEEDaS1H_S1I_EUlS1H_E_NS1_11comp_targetILNS1_3genE2ELNS1_11target_archE906ELNS1_3gpuE6ELNS1_3repE0EEENS1_30default_config_static_selectorELNS0_4arch9wavefront6targetE0EEEvSV_
    .private_segment_fixed_size: 0
    .sgpr_count:     0
    .sgpr_spill_count: 0
    .symbol:         _ZN7rocprim17ROCPRIM_400000_NS6detail17trampoline_kernelINS0_13select_configILj256ELj13ELNS0_17block_load_methodE3ELS4_3ELS4_3ELNS0_20block_scan_algorithmE0ELj4294967295EEENS1_25partition_config_selectorILNS1_17partition_subalgoE3EjNS0_10empty_typeEbEEZZNS1_14partition_implILS8_3ELb0ES6_jNS0_17counting_iteratorIjlEEPS9_SE_NS0_5tupleIJPjSE_EEENSF_IJSE_SE_EEES9_SG_JZNS1_25segmented_radix_sort_implINS0_14default_configELb1EPKlPlSM_SN_N2at6native12_GLOBAL__N_18offset_tEEE10hipError_tPvRmT1_PNSt15iterator_traitsISV_E10value_typeET2_T3_PNSW_IS11_E10value_typeET4_jRbjT5_S17_jjP12ihipStream_tbEUljE_EEESS_ST_SU_S11_S15_S17_T6_T7_T9_mT8_S19_bDpT10_ENKUlT_T0_E_clISt17integral_constantIbLb1EES1L_IbLb0EEEEDaS1H_S1I_EUlS1H_E_NS1_11comp_targetILNS1_3genE2ELNS1_11target_archE906ELNS1_3gpuE6ELNS1_3repE0EEENS1_30default_config_static_selectorELNS0_4arch9wavefront6targetE0EEEvSV_.kd
    .uniform_work_group_size: 1
    .uses_dynamic_stack: false
    .vgpr_count:     0
    .vgpr_spill_count: 0
    .wavefront_size: 32
    .workgroup_processor_mode: 1
  - .args:
      - .offset:         0
        .size:           144
        .value_kind:     by_value
    .group_segment_fixed_size: 0
    .kernarg_segment_align: 8
    .kernarg_segment_size: 144
    .language:       OpenCL C
    .language_version:
      - 2
      - 0
    .max_flat_workgroup_size: 256
    .name:           _ZN7rocprim17ROCPRIM_400000_NS6detail17trampoline_kernelINS0_13select_configILj256ELj13ELNS0_17block_load_methodE3ELS4_3ELS4_3ELNS0_20block_scan_algorithmE0ELj4294967295EEENS1_25partition_config_selectorILNS1_17partition_subalgoE3EjNS0_10empty_typeEbEEZZNS1_14partition_implILS8_3ELb0ES6_jNS0_17counting_iteratorIjlEEPS9_SE_NS0_5tupleIJPjSE_EEENSF_IJSE_SE_EEES9_SG_JZNS1_25segmented_radix_sort_implINS0_14default_configELb1EPKlPlSM_SN_N2at6native12_GLOBAL__N_18offset_tEEE10hipError_tPvRmT1_PNSt15iterator_traitsISV_E10value_typeET2_T3_PNSW_IS11_E10value_typeET4_jRbjT5_S17_jjP12ihipStream_tbEUljE_EEESS_ST_SU_S11_S15_S17_T6_T7_T9_mT8_S19_bDpT10_ENKUlT_T0_E_clISt17integral_constantIbLb1EES1L_IbLb0EEEEDaS1H_S1I_EUlS1H_E_NS1_11comp_targetILNS1_3genE10ELNS1_11target_archE1200ELNS1_3gpuE4ELNS1_3repE0EEENS1_30default_config_static_selectorELNS0_4arch9wavefront6targetE0EEEvSV_
    .private_segment_fixed_size: 0
    .sgpr_count:     0
    .sgpr_spill_count: 0
    .symbol:         _ZN7rocprim17ROCPRIM_400000_NS6detail17trampoline_kernelINS0_13select_configILj256ELj13ELNS0_17block_load_methodE3ELS4_3ELS4_3ELNS0_20block_scan_algorithmE0ELj4294967295EEENS1_25partition_config_selectorILNS1_17partition_subalgoE3EjNS0_10empty_typeEbEEZZNS1_14partition_implILS8_3ELb0ES6_jNS0_17counting_iteratorIjlEEPS9_SE_NS0_5tupleIJPjSE_EEENSF_IJSE_SE_EEES9_SG_JZNS1_25segmented_radix_sort_implINS0_14default_configELb1EPKlPlSM_SN_N2at6native12_GLOBAL__N_18offset_tEEE10hipError_tPvRmT1_PNSt15iterator_traitsISV_E10value_typeET2_T3_PNSW_IS11_E10value_typeET4_jRbjT5_S17_jjP12ihipStream_tbEUljE_EEESS_ST_SU_S11_S15_S17_T6_T7_T9_mT8_S19_bDpT10_ENKUlT_T0_E_clISt17integral_constantIbLb1EES1L_IbLb0EEEEDaS1H_S1I_EUlS1H_E_NS1_11comp_targetILNS1_3genE10ELNS1_11target_archE1200ELNS1_3gpuE4ELNS1_3repE0EEENS1_30default_config_static_selectorELNS0_4arch9wavefront6targetE0EEEvSV_.kd
    .uniform_work_group_size: 1
    .uses_dynamic_stack: false
    .vgpr_count:     0
    .vgpr_spill_count: 0
    .wavefront_size: 32
    .workgroup_processor_mode: 1
  - .args:
      - .offset:         0
        .size:           144
        .value_kind:     by_value
    .group_segment_fixed_size: 0
    .kernarg_segment_align: 8
    .kernarg_segment_size: 144
    .language:       OpenCL C
    .language_version:
      - 2
      - 0
    .max_flat_workgroup_size: 256
    .name:           _ZN7rocprim17ROCPRIM_400000_NS6detail17trampoline_kernelINS0_13select_configILj256ELj13ELNS0_17block_load_methodE3ELS4_3ELS4_3ELNS0_20block_scan_algorithmE0ELj4294967295EEENS1_25partition_config_selectorILNS1_17partition_subalgoE3EjNS0_10empty_typeEbEEZZNS1_14partition_implILS8_3ELb0ES6_jNS0_17counting_iteratorIjlEEPS9_SE_NS0_5tupleIJPjSE_EEENSF_IJSE_SE_EEES9_SG_JZNS1_25segmented_radix_sort_implINS0_14default_configELb1EPKlPlSM_SN_N2at6native12_GLOBAL__N_18offset_tEEE10hipError_tPvRmT1_PNSt15iterator_traitsISV_E10value_typeET2_T3_PNSW_IS11_E10value_typeET4_jRbjT5_S17_jjP12ihipStream_tbEUljE_EEESS_ST_SU_S11_S15_S17_T6_T7_T9_mT8_S19_bDpT10_ENKUlT_T0_E_clISt17integral_constantIbLb1EES1L_IbLb0EEEEDaS1H_S1I_EUlS1H_E_NS1_11comp_targetILNS1_3genE9ELNS1_11target_archE1100ELNS1_3gpuE3ELNS1_3repE0EEENS1_30default_config_static_selectorELNS0_4arch9wavefront6targetE0EEEvSV_
    .private_segment_fixed_size: 0
    .sgpr_count:     0
    .sgpr_spill_count: 0
    .symbol:         _ZN7rocprim17ROCPRIM_400000_NS6detail17trampoline_kernelINS0_13select_configILj256ELj13ELNS0_17block_load_methodE3ELS4_3ELS4_3ELNS0_20block_scan_algorithmE0ELj4294967295EEENS1_25partition_config_selectorILNS1_17partition_subalgoE3EjNS0_10empty_typeEbEEZZNS1_14partition_implILS8_3ELb0ES6_jNS0_17counting_iteratorIjlEEPS9_SE_NS0_5tupleIJPjSE_EEENSF_IJSE_SE_EEES9_SG_JZNS1_25segmented_radix_sort_implINS0_14default_configELb1EPKlPlSM_SN_N2at6native12_GLOBAL__N_18offset_tEEE10hipError_tPvRmT1_PNSt15iterator_traitsISV_E10value_typeET2_T3_PNSW_IS11_E10value_typeET4_jRbjT5_S17_jjP12ihipStream_tbEUljE_EEESS_ST_SU_S11_S15_S17_T6_T7_T9_mT8_S19_bDpT10_ENKUlT_T0_E_clISt17integral_constantIbLb1EES1L_IbLb0EEEEDaS1H_S1I_EUlS1H_E_NS1_11comp_targetILNS1_3genE9ELNS1_11target_archE1100ELNS1_3gpuE3ELNS1_3repE0EEENS1_30default_config_static_selectorELNS0_4arch9wavefront6targetE0EEEvSV_.kd
    .uniform_work_group_size: 1
    .uses_dynamic_stack: false
    .vgpr_count:     0
    .vgpr_spill_count: 0
    .wavefront_size: 32
    .workgroup_processor_mode: 1
  - .args:
      - .offset:         0
        .size:           144
        .value_kind:     by_value
    .group_segment_fixed_size: 0
    .kernarg_segment_align: 8
    .kernarg_segment_size: 144
    .language:       OpenCL C
    .language_version:
      - 2
      - 0
    .max_flat_workgroup_size: 256
    .name:           _ZN7rocprim17ROCPRIM_400000_NS6detail17trampoline_kernelINS0_13select_configILj256ELj13ELNS0_17block_load_methodE3ELS4_3ELS4_3ELNS0_20block_scan_algorithmE0ELj4294967295EEENS1_25partition_config_selectorILNS1_17partition_subalgoE3EjNS0_10empty_typeEbEEZZNS1_14partition_implILS8_3ELb0ES6_jNS0_17counting_iteratorIjlEEPS9_SE_NS0_5tupleIJPjSE_EEENSF_IJSE_SE_EEES9_SG_JZNS1_25segmented_radix_sort_implINS0_14default_configELb1EPKlPlSM_SN_N2at6native12_GLOBAL__N_18offset_tEEE10hipError_tPvRmT1_PNSt15iterator_traitsISV_E10value_typeET2_T3_PNSW_IS11_E10value_typeET4_jRbjT5_S17_jjP12ihipStream_tbEUljE_EEESS_ST_SU_S11_S15_S17_T6_T7_T9_mT8_S19_bDpT10_ENKUlT_T0_E_clISt17integral_constantIbLb1EES1L_IbLb0EEEEDaS1H_S1I_EUlS1H_E_NS1_11comp_targetILNS1_3genE8ELNS1_11target_archE1030ELNS1_3gpuE2ELNS1_3repE0EEENS1_30default_config_static_selectorELNS0_4arch9wavefront6targetE0EEEvSV_
    .private_segment_fixed_size: 0
    .sgpr_count:     0
    .sgpr_spill_count: 0
    .symbol:         _ZN7rocprim17ROCPRIM_400000_NS6detail17trampoline_kernelINS0_13select_configILj256ELj13ELNS0_17block_load_methodE3ELS4_3ELS4_3ELNS0_20block_scan_algorithmE0ELj4294967295EEENS1_25partition_config_selectorILNS1_17partition_subalgoE3EjNS0_10empty_typeEbEEZZNS1_14partition_implILS8_3ELb0ES6_jNS0_17counting_iteratorIjlEEPS9_SE_NS0_5tupleIJPjSE_EEENSF_IJSE_SE_EEES9_SG_JZNS1_25segmented_radix_sort_implINS0_14default_configELb1EPKlPlSM_SN_N2at6native12_GLOBAL__N_18offset_tEEE10hipError_tPvRmT1_PNSt15iterator_traitsISV_E10value_typeET2_T3_PNSW_IS11_E10value_typeET4_jRbjT5_S17_jjP12ihipStream_tbEUljE_EEESS_ST_SU_S11_S15_S17_T6_T7_T9_mT8_S19_bDpT10_ENKUlT_T0_E_clISt17integral_constantIbLb1EES1L_IbLb0EEEEDaS1H_S1I_EUlS1H_E_NS1_11comp_targetILNS1_3genE8ELNS1_11target_archE1030ELNS1_3gpuE2ELNS1_3repE0EEENS1_30default_config_static_selectorELNS0_4arch9wavefront6targetE0EEEvSV_.kd
    .uniform_work_group_size: 1
    .uses_dynamic_stack: false
    .vgpr_count:     0
    .vgpr_spill_count: 0
    .wavefront_size: 32
    .workgroup_processor_mode: 1
  - .args:
      - .offset:         0
        .size:           152
        .value_kind:     by_value
    .group_segment_fixed_size: 0
    .kernarg_segment_align: 8
    .kernarg_segment_size: 152
    .language:       OpenCL C
    .language_version:
      - 2
      - 0
    .max_flat_workgroup_size: 256
    .name:           _ZN7rocprim17ROCPRIM_400000_NS6detail17trampoline_kernelINS0_13select_configILj256ELj13ELNS0_17block_load_methodE3ELS4_3ELS4_3ELNS0_20block_scan_algorithmE0ELj4294967295EEENS1_25partition_config_selectorILNS1_17partition_subalgoE3EjNS0_10empty_typeEbEEZZNS1_14partition_implILS8_3ELb0ES6_jNS0_17counting_iteratorIjlEEPS9_SE_NS0_5tupleIJPjSE_EEENSF_IJSE_SE_EEES9_SG_JZNS1_25segmented_radix_sort_implINS0_14default_configELb1EPKlPlSM_SN_N2at6native12_GLOBAL__N_18offset_tEEE10hipError_tPvRmT1_PNSt15iterator_traitsISV_E10value_typeET2_T3_PNSW_IS11_E10value_typeET4_jRbjT5_S17_jjP12ihipStream_tbEUljE_EEESS_ST_SU_S11_S15_S17_T6_T7_T9_mT8_S19_bDpT10_ENKUlT_T0_E_clISt17integral_constantIbLb0EES1L_IbLb1EEEEDaS1H_S1I_EUlS1H_E_NS1_11comp_targetILNS1_3genE0ELNS1_11target_archE4294967295ELNS1_3gpuE0ELNS1_3repE0EEENS1_30default_config_static_selectorELNS0_4arch9wavefront6targetE0EEEvSV_
    .private_segment_fixed_size: 0
    .sgpr_count:     0
    .sgpr_spill_count: 0
    .symbol:         _ZN7rocprim17ROCPRIM_400000_NS6detail17trampoline_kernelINS0_13select_configILj256ELj13ELNS0_17block_load_methodE3ELS4_3ELS4_3ELNS0_20block_scan_algorithmE0ELj4294967295EEENS1_25partition_config_selectorILNS1_17partition_subalgoE3EjNS0_10empty_typeEbEEZZNS1_14partition_implILS8_3ELb0ES6_jNS0_17counting_iteratorIjlEEPS9_SE_NS0_5tupleIJPjSE_EEENSF_IJSE_SE_EEES9_SG_JZNS1_25segmented_radix_sort_implINS0_14default_configELb1EPKlPlSM_SN_N2at6native12_GLOBAL__N_18offset_tEEE10hipError_tPvRmT1_PNSt15iterator_traitsISV_E10value_typeET2_T3_PNSW_IS11_E10value_typeET4_jRbjT5_S17_jjP12ihipStream_tbEUljE_EEESS_ST_SU_S11_S15_S17_T6_T7_T9_mT8_S19_bDpT10_ENKUlT_T0_E_clISt17integral_constantIbLb0EES1L_IbLb1EEEEDaS1H_S1I_EUlS1H_E_NS1_11comp_targetILNS1_3genE0ELNS1_11target_archE4294967295ELNS1_3gpuE0ELNS1_3repE0EEENS1_30default_config_static_selectorELNS0_4arch9wavefront6targetE0EEEvSV_.kd
    .uniform_work_group_size: 1
    .uses_dynamic_stack: false
    .vgpr_count:     0
    .vgpr_spill_count: 0
    .wavefront_size: 32
    .workgroup_processor_mode: 1
  - .args:
      - .offset:         0
        .size:           152
        .value_kind:     by_value
    .group_segment_fixed_size: 0
    .kernarg_segment_align: 8
    .kernarg_segment_size: 152
    .language:       OpenCL C
    .language_version:
      - 2
      - 0
    .max_flat_workgroup_size: 256
    .name:           _ZN7rocprim17ROCPRIM_400000_NS6detail17trampoline_kernelINS0_13select_configILj256ELj13ELNS0_17block_load_methodE3ELS4_3ELS4_3ELNS0_20block_scan_algorithmE0ELj4294967295EEENS1_25partition_config_selectorILNS1_17partition_subalgoE3EjNS0_10empty_typeEbEEZZNS1_14partition_implILS8_3ELb0ES6_jNS0_17counting_iteratorIjlEEPS9_SE_NS0_5tupleIJPjSE_EEENSF_IJSE_SE_EEES9_SG_JZNS1_25segmented_radix_sort_implINS0_14default_configELb1EPKlPlSM_SN_N2at6native12_GLOBAL__N_18offset_tEEE10hipError_tPvRmT1_PNSt15iterator_traitsISV_E10value_typeET2_T3_PNSW_IS11_E10value_typeET4_jRbjT5_S17_jjP12ihipStream_tbEUljE_EEESS_ST_SU_S11_S15_S17_T6_T7_T9_mT8_S19_bDpT10_ENKUlT_T0_E_clISt17integral_constantIbLb0EES1L_IbLb1EEEEDaS1H_S1I_EUlS1H_E_NS1_11comp_targetILNS1_3genE5ELNS1_11target_archE942ELNS1_3gpuE9ELNS1_3repE0EEENS1_30default_config_static_selectorELNS0_4arch9wavefront6targetE0EEEvSV_
    .private_segment_fixed_size: 0
    .sgpr_count:     0
    .sgpr_spill_count: 0
    .symbol:         _ZN7rocprim17ROCPRIM_400000_NS6detail17trampoline_kernelINS0_13select_configILj256ELj13ELNS0_17block_load_methodE3ELS4_3ELS4_3ELNS0_20block_scan_algorithmE0ELj4294967295EEENS1_25partition_config_selectorILNS1_17partition_subalgoE3EjNS0_10empty_typeEbEEZZNS1_14partition_implILS8_3ELb0ES6_jNS0_17counting_iteratorIjlEEPS9_SE_NS0_5tupleIJPjSE_EEENSF_IJSE_SE_EEES9_SG_JZNS1_25segmented_radix_sort_implINS0_14default_configELb1EPKlPlSM_SN_N2at6native12_GLOBAL__N_18offset_tEEE10hipError_tPvRmT1_PNSt15iterator_traitsISV_E10value_typeET2_T3_PNSW_IS11_E10value_typeET4_jRbjT5_S17_jjP12ihipStream_tbEUljE_EEESS_ST_SU_S11_S15_S17_T6_T7_T9_mT8_S19_bDpT10_ENKUlT_T0_E_clISt17integral_constantIbLb0EES1L_IbLb1EEEEDaS1H_S1I_EUlS1H_E_NS1_11comp_targetILNS1_3genE5ELNS1_11target_archE942ELNS1_3gpuE9ELNS1_3repE0EEENS1_30default_config_static_selectorELNS0_4arch9wavefront6targetE0EEEvSV_.kd
    .uniform_work_group_size: 1
    .uses_dynamic_stack: false
    .vgpr_count:     0
    .vgpr_spill_count: 0
    .wavefront_size: 32
    .workgroup_processor_mode: 1
  - .args:
      - .offset:         0
        .size:           152
        .value_kind:     by_value
    .group_segment_fixed_size: 0
    .kernarg_segment_align: 8
    .kernarg_segment_size: 152
    .language:       OpenCL C
    .language_version:
      - 2
      - 0
    .max_flat_workgroup_size: 256
    .name:           _ZN7rocprim17ROCPRIM_400000_NS6detail17trampoline_kernelINS0_13select_configILj256ELj13ELNS0_17block_load_methodE3ELS4_3ELS4_3ELNS0_20block_scan_algorithmE0ELj4294967295EEENS1_25partition_config_selectorILNS1_17partition_subalgoE3EjNS0_10empty_typeEbEEZZNS1_14partition_implILS8_3ELb0ES6_jNS0_17counting_iteratorIjlEEPS9_SE_NS0_5tupleIJPjSE_EEENSF_IJSE_SE_EEES9_SG_JZNS1_25segmented_radix_sort_implINS0_14default_configELb1EPKlPlSM_SN_N2at6native12_GLOBAL__N_18offset_tEEE10hipError_tPvRmT1_PNSt15iterator_traitsISV_E10value_typeET2_T3_PNSW_IS11_E10value_typeET4_jRbjT5_S17_jjP12ihipStream_tbEUljE_EEESS_ST_SU_S11_S15_S17_T6_T7_T9_mT8_S19_bDpT10_ENKUlT_T0_E_clISt17integral_constantIbLb0EES1L_IbLb1EEEEDaS1H_S1I_EUlS1H_E_NS1_11comp_targetILNS1_3genE4ELNS1_11target_archE910ELNS1_3gpuE8ELNS1_3repE0EEENS1_30default_config_static_selectorELNS0_4arch9wavefront6targetE0EEEvSV_
    .private_segment_fixed_size: 0
    .sgpr_count:     0
    .sgpr_spill_count: 0
    .symbol:         _ZN7rocprim17ROCPRIM_400000_NS6detail17trampoline_kernelINS0_13select_configILj256ELj13ELNS0_17block_load_methodE3ELS4_3ELS4_3ELNS0_20block_scan_algorithmE0ELj4294967295EEENS1_25partition_config_selectorILNS1_17partition_subalgoE3EjNS0_10empty_typeEbEEZZNS1_14partition_implILS8_3ELb0ES6_jNS0_17counting_iteratorIjlEEPS9_SE_NS0_5tupleIJPjSE_EEENSF_IJSE_SE_EEES9_SG_JZNS1_25segmented_radix_sort_implINS0_14default_configELb1EPKlPlSM_SN_N2at6native12_GLOBAL__N_18offset_tEEE10hipError_tPvRmT1_PNSt15iterator_traitsISV_E10value_typeET2_T3_PNSW_IS11_E10value_typeET4_jRbjT5_S17_jjP12ihipStream_tbEUljE_EEESS_ST_SU_S11_S15_S17_T6_T7_T9_mT8_S19_bDpT10_ENKUlT_T0_E_clISt17integral_constantIbLb0EES1L_IbLb1EEEEDaS1H_S1I_EUlS1H_E_NS1_11comp_targetILNS1_3genE4ELNS1_11target_archE910ELNS1_3gpuE8ELNS1_3repE0EEENS1_30default_config_static_selectorELNS0_4arch9wavefront6targetE0EEEvSV_.kd
    .uniform_work_group_size: 1
    .uses_dynamic_stack: false
    .vgpr_count:     0
    .vgpr_spill_count: 0
    .wavefront_size: 32
    .workgroup_processor_mode: 1
  - .args:
      - .offset:         0
        .size:           152
        .value_kind:     by_value
    .group_segment_fixed_size: 0
    .kernarg_segment_align: 8
    .kernarg_segment_size: 152
    .language:       OpenCL C
    .language_version:
      - 2
      - 0
    .max_flat_workgroup_size: 256
    .name:           _ZN7rocprim17ROCPRIM_400000_NS6detail17trampoline_kernelINS0_13select_configILj256ELj13ELNS0_17block_load_methodE3ELS4_3ELS4_3ELNS0_20block_scan_algorithmE0ELj4294967295EEENS1_25partition_config_selectorILNS1_17partition_subalgoE3EjNS0_10empty_typeEbEEZZNS1_14partition_implILS8_3ELb0ES6_jNS0_17counting_iteratorIjlEEPS9_SE_NS0_5tupleIJPjSE_EEENSF_IJSE_SE_EEES9_SG_JZNS1_25segmented_radix_sort_implINS0_14default_configELb1EPKlPlSM_SN_N2at6native12_GLOBAL__N_18offset_tEEE10hipError_tPvRmT1_PNSt15iterator_traitsISV_E10value_typeET2_T3_PNSW_IS11_E10value_typeET4_jRbjT5_S17_jjP12ihipStream_tbEUljE_EEESS_ST_SU_S11_S15_S17_T6_T7_T9_mT8_S19_bDpT10_ENKUlT_T0_E_clISt17integral_constantIbLb0EES1L_IbLb1EEEEDaS1H_S1I_EUlS1H_E_NS1_11comp_targetILNS1_3genE3ELNS1_11target_archE908ELNS1_3gpuE7ELNS1_3repE0EEENS1_30default_config_static_selectorELNS0_4arch9wavefront6targetE0EEEvSV_
    .private_segment_fixed_size: 0
    .sgpr_count:     0
    .sgpr_spill_count: 0
    .symbol:         _ZN7rocprim17ROCPRIM_400000_NS6detail17trampoline_kernelINS0_13select_configILj256ELj13ELNS0_17block_load_methodE3ELS4_3ELS4_3ELNS0_20block_scan_algorithmE0ELj4294967295EEENS1_25partition_config_selectorILNS1_17partition_subalgoE3EjNS0_10empty_typeEbEEZZNS1_14partition_implILS8_3ELb0ES6_jNS0_17counting_iteratorIjlEEPS9_SE_NS0_5tupleIJPjSE_EEENSF_IJSE_SE_EEES9_SG_JZNS1_25segmented_radix_sort_implINS0_14default_configELb1EPKlPlSM_SN_N2at6native12_GLOBAL__N_18offset_tEEE10hipError_tPvRmT1_PNSt15iterator_traitsISV_E10value_typeET2_T3_PNSW_IS11_E10value_typeET4_jRbjT5_S17_jjP12ihipStream_tbEUljE_EEESS_ST_SU_S11_S15_S17_T6_T7_T9_mT8_S19_bDpT10_ENKUlT_T0_E_clISt17integral_constantIbLb0EES1L_IbLb1EEEEDaS1H_S1I_EUlS1H_E_NS1_11comp_targetILNS1_3genE3ELNS1_11target_archE908ELNS1_3gpuE7ELNS1_3repE0EEENS1_30default_config_static_selectorELNS0_4arch9wavefront6targetE0EEEvSV_.kd
    .uniform_work_group_size: 1
    .uses_dynamic_stack: false
    .vgpr_count:     0
    .vgpr_spill_count: 0
    .wavefront_size: 32
    .workgroup_processor_mode: 1
  - .args:
      - .offset:         0
        .size:           152
        .value_kind:     by_value
    .group_segment_fixed_size: 0
    .kernarg_segment_align: 8
    .kernarg_segment_size: 152
    .language:       OpenCL C
    .language_version:
      - 2
      - 0
    .max_flat_workgroup_size: 256
    .name:           _ZN7rocprim17ROCPRIM_400000_NS6detail17trampoline_kernelINS0_13select_configILj256ELj13ELNS0_17block_load_methodE3ELS4_3ELS4_3ELNS0_20block_scan_algorithmE0ELj4294967295EEENS1_25partition_config_selectorILNS1_17partition_subalgoE3EjNS0_10empty_typeEbEEZZNS1_14partition_implILS8_3ELb0ES6_jNS0_17counting_iteratorIjlEEPS9_SE_NS0_5tupleIJPjSE_EEENSF_IJSE_SE_EEES9_SG_JZNS1_25segmented_radix_sort_implINS0_14default_configELb1EPKlPlSM_SN_N2at6native12_GLOBAL__N_18offset_tEEE10hipError_tPvRmT1_PNSt15iterator_traitsISV_E10value_typeET2_T3_PNSW_IS11_E10value_typeET4_jRbjT5_S17_jjP12ihipStream_tbEUljE_EEESS_ST_SU_S11_S15_S17_T6_T7_T9_mT8_S19_bDpT10_ENKUlT_T0_E_clISt17integral_constantIbLb0EES1L_IbLb1EEEEDaS1H_S1I_EUlS1H_E_NS1_11comp_targetILNS1_3genE2ELNS1_11target_archE906ELNS1_3gpuE6ELNS1_3repE0EEENS1_30default_config_static_selectorELNS0_4arch9wavefront6targetE0EEEvSV_
    .private_segment_fixed_size: 0
    .sgpr_count:     0
    .sgpr_spill_count: 0
    .symbol:         _ZN7rocprim17ROCPRIM_400000_NS6detail17trampoline_kernelINS0_13select_configILj256ELj13ELNS0_17block_load_methodE3ELS4_3ELS4_3ELNS0_20block_scan_algorithmE0ELj4294967295EEENS1_25partition_config_selectorILNS1_17partition_subalgoE3EjNS0_10empty_typeEbEEZZNS1_14partition_implILS8_3ELb0ES6_jNS0_17counting_iteratorIjlEEPS9_SE_NS0_5tupleIJPjSE_EEENSF_IJSE_SE_EEES9_SG_JZNS1_25segmented_radix_sort_implINS0_14default_configELb1EPKlPlSM_SN_N2at6native12_GLOBAL__N_18offset_tEEE10hipError_tPvRmT1_PNSt15iterator_traitsISV_E10value_typeET2_T3_PNSW_IS11_E10value_typeET4_jRbjT5_S17_jjP12ihipStream_tbEUljE_EEESS_ST_SU_S11_S15_S17_T6_T7_T9_mT8_S19_bDpT10_ENKUlT_T0_E_clISt17integral_constantIbLb0EES1L_IbLb1EEEEDaS1H_S1I_EUlS1H_E_NS1_11comp_targetILNS1_3genE2ELNS1_11target_archE906ELNS1_3gpuE6ELNS1_3repE0EEENS1_30default_config_static_selectorELNS0_4arch9wavefront6targetE0EEEvSV_.kd
    .uniform_work_group_size: 1
    .uses_dynamic_stack: false
    .vgpr_count:     0
    .vgpr_spill_count: 0
    .wavefront_size: 32
    .workgroup_processor_mode: 1
  - .args:
      - .offset:         0
        .size:           152
        .value_kind:     by_value
    .group_segment_fixed_size: 13320
    .kernarg_segment_align: 8
    .kernarg_segment_size: 152
    .language:       OpenCL C
    .language_version:
      - 2
      - 0
    .max_flat_workgroup_size: 256
    .name:           _ZN7rocprim17ROCPRIM_400000_NS6detail17trampoline_kernelINS0_13select_configILj256ELj13ELNS0_17block_load_methodE3ELS4_3ELS4_3ELNS0_20block_scan_algorithmE0ELj4294967295EEENS1_25partition_config_selectorILNS1_17partition_subalgoE3EjNS0_10empty_typeEbEEZZNS1_14partition_implILS8_3ELb0ES6_jNS0_17counting_iteratorIjlEEPS9_SE_NS0_5tupleIJPjSE_EEENSF_IJSE_SE_EEES9_SG_JZNS1_25segmented_radix_sort_implINS0_14default_configELb1EPKlPlSM_SN_N2at6native12_GLOBAL__N_18offset_tEEE10hipError_tPvRmT1_PNSt15iterator_traitsISV_E10value_typeET2_T3_PNSW_IS11_E10value_typeET4_jRbjT5_S17_jjP12ihipStream_tbEUljE_EEESS_ST_SU_S11_S15_S17_T6_T7_T9_mT8_S19_bDpT10_ENKUlT_T0_E_clISt17integral_constantIbLb0EES1L_IbLb1EEEEDaS1H_S1I_EUlS1H_E_NS1_11comp_targetILNS1_3genE10ELNS1_11target_archE1200ELNS1_3gpuE4ELNS1_3repE0EEENS1_30default_config_static_selectorELNS0_4arch9wavefront6targetE0EEEvSV_
    .private_segment_fixed_size: 0
    .sgpr_count:     28
    .sgpr_spill_count: 0
    .symbol:         _ZN7rocprim17ROCPRIM_400000_NS6detail17trampoline_kernelINS0_13select_configILj256ELj13ELNS0_17block_load_methodE3ELS4_3ELS4_3ELNS0_20block_scan_algorithmE0ELj4294967295EEENS1_25partition_config_selectorILNS1_17partition_subalgoE3EjNS0_10empty_typeEbEEZZNS1_14partition_implILS8_3ELb0ES6_jNS0_17counting_iteratorIjlEEPS9_SE_NS0_5tupleIJPjSE_EEENSF_IJSE_SE_EEES9_SG_JZNS1_25segmented_radix_sort_implINS0_14default_configELb1EPKlPlSM_SN_N2at6native12_GLOBAL__N_18offset_tEEE10hipError_tPvRmT1_PNSt15iterator_traitsISV_E10value_typeET2_T3_PNSW_IS11_E10value_typeET4_jRbjT5_S17_jjP12ihipStream_tbEUljE_EEESS_ST_SU_S11_S15_S17_T6_T7_T9_mT8_S19_bDpT10_ENKUlT_T0_E_clISt17integral_constantIbLb0EES1L_IbLb1EEEEDaS1H_S1I_EUlS1H_E_NS1_11comp_targetILNS1_3genE10ELNS1_11target_archE1200ELNS1_3gpuE4ELNS1_3repE0EEENS1_30default_config_static_selectorELNS0_4arch9wavefront6targetE0EEEvSV_.kd
    .uniform_work_group_size: 1
    .uses_dynamic_stack: false
    .vgpr_count:     71
    .vgpr_spill_count: 0
    .wavefront_size: 32
    .workgroup_processor_mode: 1
  - .args:
      - .offset:         0
        .size:           152
        .value_kind:     by_value
    .group_segment_fixed_size: 0
    .kernarg_segment_align: 8
    .kernarg_segment_size: 152
    .language:       OpenCL C
    .language_version:
      - 2
      - 0
    .max_flat_workgroup_size: 256
    .name:           _ZN7rocprim17ROCPRIM_400000_NS6detail17trampoline_kernelINS0_13select_configILj256ELj13ELNS0_17block_load_methodE3ELS4_3ELS4_3ELNS0_20block_scan_algorithmE0ELj4294967295EEENS1_25partition_config_selectorILNS1_17partition_subalgoE3EjNS0_10empty_typeEbEEZZNS1_14partition_implILS8_3ELb0ES6_jNS0_17counting_iteratorIjlEEPS9_SE_NS0_5tupleIJPjSE_EEENSF_IJSE_SE_EEES9_SG_JZNS1_25segmented_radix_sort_implINS0_14default_configELb1EPKlPlSM_SN_N2at6native12_GLOBAL__N_18offset_tEEE10hipError_tPvRmT1_PNSt15iterator_traitsISV_E10value_typeET2_T3_PNSW_IS11_E10value_typeET4_jRbjT5_S17_jjP12ihipStream_tbEUljE_EEESS_ST_SU_S11_S15_S17_T6_T7_T9_mT8_S19_bDpT10_ENKUlT_T0_E_clISt17integral_constantIbLb0EES1L_IbLb1EEEEDaS1H_S1I_EUlS1H_E_NS1_11comp_targetILNS1_3genE9ELNS1_11target_archE1100ELNS1_3gpuE3ELNS1_3repE0EEENS1_30default_config_static_selectorELNS0_4arch9wavefront6targetE0EEEvSV_
    .private_segment_fixed_size: 0
    .sgpr_count:     0
    .sgpr_spill_count: 0
    .symbol:         _ZN7rocprim17ROCPRIM_400000_NS6detail17trampoline_kernelINS0_13select_configILj256ELj13ELNS0_17block_load_methodE3ELS4_3ELS4_3ELNS0_20block_scan_algorithmE0ELj4294967295EEENS1_25partition_config_selectorILNS1_17partition_subalgoE3EjNS0_10empty_typeEbEEZZNS1_14partition_implILS8_3ELb0ES6_jNS0_17counting_iteratorIjlEEPS9_SE_NS0_5tupleIJPjSE_EEENSF_IJSE_SE_EEES9_SG_JZNS1_25segmented_radix_sort_implINS0_14default_configELb1EPKlPlSM_SN_N2at6native12_GLOBAL__N_18offset_tEEE10hipError_tPvRmT1_PNSt15iterator_traitsISV_E10value_typeET2_T3_PNSW_IS11_E10value_typeET4_jRbjT5_S17_jjP12ihipStream_tbEUljE_EEESS_ST_SU_S11_S15_S17_T6_T7_T9_mT8_S19_bDpT10_ENKUlT_T0_E_clISt17integral_constantIbLb0EES1L_IbLb1EEEEDaS1H_S1I_EUlS1H_E_NS1_11comp_targetILNS1_3genE9ELNS1_11target_archE1100ELNS1_3gpuE3ELNS1_3repE0EEENS1_30default_config_static_selectorELNS0_4arch9wavefront6targetE0EEEvSV_.kd
    .uniform_work_group_size: 1
    .uses_dynamic_stack: false
    .vgpr_count:     0
    .vgpr_spill_count: 0
    .wavefront_size: 32
    .workgroup_processor_mode: 1
  - .args:
      - .offset:         0
        .size:           152
        .value_kind:     by_value
    .group_segment_fixed_size: 0
    .kernarg_segment_align: 8
    .kernarg_segment_size: 152
    .language:       OpenCL C
    .language_version:
      - 2
      - 0
    .max_flat_workgroup_size: 256
    .name:           _ZN7rocprim17ROCPRIM_400000_NS6detail17trampoline_kernelINS0_13select_configILj256ELj13ELNS0_17block_load_methodE3ELS4_3ELS4_3ELNS0_20block_scan_algorithmE0ELj4294967295EEENS1_25partition_config_selectorILNS1_17partition_subalgoE3EjNS0_10empty_typeEbEEZZNS1_14partition_implILS8_3ELb0ES6_jNS0_17counting_iteratorIjlEEPS9_SE_NS0_5tupleIJPjSE_EEENSF_IJSE_SE_EEES9_SG_JZNS1_25segmented_radix_sort_implINS0_14default_configELb1EPKlPlSM_SN_N2at6native12_GLOBAL__N_18offset_tEEE10hipError_tPvRmT1_PNSt15iterator_traitsISV_E10value_typeET2_T3_PNSW_IS11_E10value_typeET4_jRbjT5_S17_jjP12ihipStream_tbEUljE_EEESS_ST_SU_S11_S15_S17_T6_T7_T9_mT8_S19_bDpT10_ENKUlT_T0_E_clISt17integral_constantIbLb0EES1L_IbLb1EEEEDaS1H_S1I_EUlS1H_E_NS1_11comp_targetILNS1_3genE8ELNS1_11target_archE1030ELNS1_3gpuE2ELNS1_3repE0EEENS1_30default_config_static_selectorELNS0_4arch9wavefront6targetE0EEEvSV_
    .private_segment_fixed_size: 0
    .sgpr_count:     0
    .sgpr_spill_count: 0
    .symbol:         _ZN7rocprim17ROCPRIM_400000_NS6detail17trampoline_kernelINS0_13select_configILj256ELj13ELNS0_17block_load_methodE3ELS4_3ELS4_3ELNS0_20block_scan_algorithmE0ELj4294967295EEENS1_25partition_config_selectorILNS1_17partition_subalgoE3EjNS0_10empty_typeEbEEZZNS1_14partition_implILS8_3ELb0ES6_jNS0_17counting_iteratorIjlEEPS9_SE_NS0_5tupleIJPjSE_EEENSF_IJSE_SE_EEES9_SG_JZNS1_25segmented_radix_sort_implINS0_14default_configELb1EPKlPlSM_SN_N2at6native12_GLOBAL__N_18offset_tEEE10hipError_tPvRmT1_PNSt15iterator_traitsISV_E10value_typeET2_T3_PNSW_IS11_E10value_typeET4_jRbjT5_S17_jjP12ihipStream_tbEUljE_EEESS_ST_SU_S11_S15_S17_T6_T7_T9_mT8_S19_bDpT10_ENKUlT_T0_E_clISt17integral_constantIbLb0EES1L_IbLb1EEEEDaS1H_S1I_EUlS1H_E_NS1_11comp_targetILNS1_3genE8ELNS1_11target_archE1030ELNS1_3gpuE2ELNS1_3repE0EEENS1_30default_config_static_selectorELNS0_4arch9wavefront6targetE0EEEvSV_.kd
    .uniform_work_group_size: 1
    .uses_dynamic_stack: false
    .vgpr_count:     0
    .vgpr_spill_count: 0
    .wavefront_size: 32
    .workgroup_processor_mode: 1
  - .args:
      - .offset:         0
        .size:           96
        .value_kind:     by_value
    .group_segment_fixed_size: 0
    .kernarg_segment_align: 8
    .kernarg_segment_size: 96
    .language:       OpenCL C
    .language_version:
      - 2
      - 0
    .max_flat_workgroup_size: 256
    .name:           _ZN7rocprim17ROCPRIM_400000_NS6detail17trampoline_kernelINS0_14default_configENS1_36segmented_radix_sort_config_selectorIllEEZNS1_25segmented_radix_sort_implIS3_Lb1EPKlPlS8_S9_N2at6native12_GLOBAL__N_18offset_tEEE10hipError_tPvRmT1_PNSt15iterator_traitsISH_E10value_typeET2_T3_PNSI_ISN_E10value_typeET4_jRbjT5_ST_jjP12ihipStream_tbEUlT_E_NS1_11comp_targetILNS1_3genE0ELNS1_11target_archE4294967295ELNS1_3gpuE0ELNS1_3repE0EEENS1_30default_config_static_selectorELNS0_4arch9wavefront6targetE0EEEvSH_
    .private_segment_fixed_size: 0
    .sgpr_count:     0
    .sgpr_spill_count: 0
    .symbol:         _ZN7rocprim17ROCPRIM_400000_NS6detail17trampoline_kernelINS0_14default_configENS1_36segmented_radix_sort_config_selectorIllEEZNS1_25segmented_radix_sort_implIS3_Lb1EPKlPlS8_S9_N2at6native12_GLOBAL__N_18offset_tEEE10hipError_tPvRmT1_PNSt15iterator_traitsISH_E10value_typeET2_T3_PNSI_ISN_E10value_typeET4_jRbjT5_ST_jjP12ihipStream_tbEUlT_E_NS1_11comp_targetILNS1_3genE0ELNS1_11target_archE4294967295ELNS1_3gpuE0ELNS1_3repE0EEENS1_30default_config_static_selectorELNS0_4arch9wavefront6targetE0EEEvSH_.kd
    .uniform_work_group_size: 1
    .uses_dynamic_stack: false
    .vgpr_count:     0
    .vgpr_spill_count: 0
    .wavefront_size: 32
    .workgroup_processor_mode: 1
  - .args:
      - .offset:         0
        .size:           96
        .value_kind:     by_value
    .group_segment_fixed_size: 0
    .kernarg_segment_align: 8
    .kernarg_segment_size: 96
    .language:       OpenCL C
    .language_version:
      - 2
      - 0
    .max_flat_workgroup_size: 256
    .name:           _ZN7rocprim17ROCPRIM_400000_NS6detail17trampoline_kernelINS0_14default_configENS1_36segmented_radix_sort_config_selectorIllEEZNS1_25segmented_radix_sort_implIS3_Lb1EPKlPlS8_S9_N2at6native12_GLOBAL__N_18offset_tEEE10hipError_tPvRmT1_PNSt15iterator_traitsISH_E10value_typeET2_T3_PNSI_ISN_E10value_typeET4_jRbjT5_ST_jjP12ihipStream_tbEUlT_E_NS1_11comp_targetILNS1_3genE5ELNS1_11target_archE942ELNS1_3gpuE9ELNS1_3repE0EEENS1_30default_config_static_selectorELNS0_4arch9wavefront6targetE0EEEvSH_
    .private_segment_fixed_size: 0
    .sgpr_count:     0
    .sgpr_spill_count: 0
    .symbol:         _ZN7rocprim17ROCPRIM_400000_NS6detail17trampoline_kernelINS0_14default_configENS1_36segmented_radix_sort_config_selectorIllEEZNS1_25segmented_radix_sort_implIS3_Lb1EPKlPlS8_S9_N2at6native12_GLOBAL__N_18offset_tEEE10hipError_tPvRmT1_PNSt15iterator_traitsISH_E10value_typeET2_T3_PNSI_ISN_E10value_typeET4_jRbjT5_ST_jjP12ihipStream_tbEUlT_E_NS1_11comp_targetILNS1_3genE5ELNS1_11target_archE942ELNS1_3gpuE9ELNS1_3repE0EEENS1_30default_config_static_selectorELNS0_4arch9wavefront6targetE0EEEvSH_.kd
    .uniform_work_group_size: 1
    .uses_dynamic_stack: false
    .vgpr_count:     0
    .vgpr_spill_count: 0
    .wavefront_size: 32
    .workgroup_processor_mode: 1
  - .args:
      - .offset:         0
        .size:           96
        .value_kind:     by_value
    .group_segment_fixed_size: 0
    .kernarg_segment_align: 8
    .kernarg_segment_size: 96
    .language:       OpenCL C
    .language_version:
      - 2
      - 0
    .max_flat_workgroup_size: 256
    .name:           _ZN7rocprim17ROCPRIM_400000_NS6detail17trampoline_kernelINS0_14default_configENS1_36segmented_radix_sort_config_selectorIllEEZNS1_25segmented_radix_sort_implIS3_Lb1EPKlPlS8_S9_N2at6native12_GLOBAL__N_18offset_tEEE10hipError_tPvRmT1_PNSt15iterator_traitsISH_E10value_typeET2_T3_PNSI_ISN_E10value_typeET4_jRbjT5_ST_jjP12ihipStream_tbEUlT_E_NS1_11comp_targetILNS1_3genE4ELNS1_11target_archE910ELNS1_3gpuE8ELNS1_3repE0EEENS1_30default_config_static_selectorELNS0_4arch9wavefront6targetE0EEEvSH_
    .private_segment_fixed_size: 0
    .sgpr_count:     0
    .sgpr_spill_count: 0
    .symbol:         _ZN7rocprim17ROCPRIM_400000_NS6detail17trampoline_kernelINS0_14default_configENS1_36segmented_radix_sort_config_selectorIllEEZNS1_25segmented_radix_sort_implIS3_Lb1EPKlPlS8_S9_N2at6native12_GLOBAL__N_18offset_tEEE10hipError_tPvRmT1_PNSt15iterator_traitsISH_E10value_typeET2_T3_PNSI_ISN_E10value_typeET4_jRbjT5_ST_jjP12ihipStream_tbEUlT_E_NS1_11comp_targetILNS1_3genE4ELNS1_11target_archE910ELNS1_3gpuE8ELNS1_3repE0EEENS1_30default_config_static_selectorELNS0_4arch9wavefront6targetE0EEEvSH_.kd
    .uniform_work_group_size: 1
    .uses_dynamic_stack: false
    .vgpr_count:     0
    .vgpr_spill_count: 0
    .wavefront_size: 32
    .workgroup_processor_mode: 1
  - .args:
      - .offset:         0
        .size:           96
        .value_kind:     by_value
    .group_segment_fixed_size: 0
    .kernarg_segment_align: 8
    .kernarg_segment_size: 96
    .language:       OpenCL C
    .language_version:
      - 2
      - 0
    .max_flat_workgroup_size: 256
    .name:           _ZN7rocprim17ROCPRIM_400000_NS6detail17trampoline_kernelINS0_14default_configENS1_36segmented_radix_sort_config_selectorIllEEZNS1_25segmented_radix_sort_implIS3_Lb1EPKlPlS8_S9_N2at6native12_GLOBAL__N_18offset_tEEE10hipError_tPvRmT1_PNSt15iterator_traitsISH_E10value_typeET2_T3_PNSI_ISN_E10value_typeET4_jRbjT5_ST_jjP12ihipStream_tbEUlT_E_NS1_11comp_targetILNS1_3genE3ELNS1_11target_archE908ELNS1_3gpuE7ELNS1_3repE0EEENS1_30default_config_static_selectorELNS0_4arch9wavefront6targetE0EEEvSH_
    .private_segment_fixed_size: 0
    .sgpr_count:     0
    .sgpr_spill_count: 0
    .symbol:         _ZN7rocprim17ROCPRIM_400000_NS6detail17trampoline_kernelINS0_14default_configENS1_36segmented_radix_sort_config_selectorIllEEZNS1_25segmented_radix_sort_implIS3_Lb1EPKlPlS8_S9_N2at6native12_GLOBAL__N_18offset_tEEE10hipError_tPvRmT1_PNSt15iterator_traitsISH_E10value_typeET2_T3_PNSI_ISN_E10value_typeET4_jRbjT5_ST_jjP12ihipStream_tbEUlT_E_NS1_11comp_targetILNS1_3genE3ELNS1_11target_archE908ELNS1_3gpuE7ELNS1_3repE0EEENS1_30default_config_static_selectorELNS0_4arch9wavefront6targetE0EEEvSH_.kd
    .uniform_work_group_size: 1
    .uses_dynamic_stack: false
    .vgpr_count:     0
    .vgpr_spill_count: 0
    .wavefront_size: 32
    .workgroup_processor_mode: 1
  - .args:
      - .offset:         0
        .size:           96
        .value_kind:     by_value
    .group_segment_fixed_size: 0
    .kernarg_segment_align: 8
    .kernarg_segment_size: 96
    .language:       OpenCL C
    .language_version:
      - 2
      - 0
    .max_flat_workgroup_size: 256
    .name:           _ZN7rocprim17ROCPRIM_400000_NS6detail17trampoline_kernelINS0_14default_configENS1_36segmented_radix_sort_config_selectorIllEEZNS1_25segmented_radix_sort_implIS3_Lb1EPKlPlS8_S9_N2at6native12_GLOBAL__N_18offset_tEEE10hipError_tPvRmT1_PNSt15iterator_traitsISH_E10value_typeET2_T3_PNSI_ISN_E10value_typeET4_jRbjT5_ST_jjP12ihipStream_tbEUlT_E_NS1_11comp_targetILNS1_3genE2ELNS1_11target_archE906ELNS1_3gpuE6ELNS1_3repE0EEENS1_30default_config_static_selectorELNS0_4arch9wavefront6targetE0EEEvSH_
    .private_segment_fixed_size: 0
    .sgpr_count:     0
    .sgpr_spill_count: 0
    .symbol:         _ZN7rocprim17ROCPRIM_400000_NS6detail17trampoline_kernelINS0_14default_configENS1_36segmented_radix_sort_config_selectorIllEEZNS1_25segmented_radix_sort_implIS3_Lb1EPKlPlS8_S9_N2at6native12_GLOBAL__N_18offset_tEEE10hipError_tPvRmT1_PNSt15iterator_traitsISH_E10value_typeET2_T3_PNSI_ISN_E10value_typeET4_jRbjT5_ST_jjP12ihipStream_tbEUlT_E_NS1_11comp_targetILNS1_3genE2ELNS1_11target_archE906ELNS1_3gpuE6ELNS1_3repE0EEENS1_30default_config_static_selectorELNS0_4arch9wavefront6targetE0EEEvSH_.kd
    .uniform_work_group_size: 1
    .uses_dynamic_stack: false
    .vgpr_count:     0
    .vgpr_spill_count: 0
    .wavefront_size: 32
    .workgroup_processor_mode: 1
  - .args:
      - .offset:         0
        .size:           96
        .value_kind:     by_value
      - .offset:         96
        .size:           4
        .value_kind:     hidden_block_count_x
      - .offset:         100
        .size:           4
        .value_kind:     hidden_block_count_y
      - .offset:         104
        .size:           4
        .value_kind:     hidden_block_count_z
      - .offset:         108
        .size:           2
        .value_kind:     hidden_group_size_x
      - .offset:         110
        .size:           2
        .value_kind:     hidden_group_size_y
      - .offset:         112
        .size:           2
        .value_kind:     hidden_group_size_z
      - .offset:         114
        .size:           2
        .value_kind:     hidden_remainder_x
      - .offset:         116
        .size:           2
        .value_kind:     hidden_remainder_y
      - .offset:         118
        .size:           2
        .value_kind:     hidden_remainder_z
      - .offset:         136
        .size:           8
        .value_kind:     hidden_global_offset_x
      - .offset:         144
        .size:           8
        .value_kind:     hidden_global_offset_y
      - .offset:         152
        .size:           8
        .value_kind:     hidden_global_offset_z
      - .offset:         160
        .size:           2
        .value_kind:     hidden_grid_dims
    .group_segment_fixed_size: 33824
    .kernarg_segment_align: 8
    .kernarg_segment_size: 352
    .language:       OpenCL C
    .language_version:
      - 2
      - 0
    .max_flat_workgroup_size: 256
    .name:           _ZN7rocprim17ROCPRIM_400000_NS6detail17trampoline_kernelINS0_14default_configENS1_36segmented_radix_sort_config_selectorIllEEZNS1_25segmented_radix_sort_implIS3_Lb1EPKlPlS8_S9_N2at6native12_GLOBAL__N_18offset_tEEE10hipError_tPvRmT1_PNSt15iterator_traitsISH_E10value_typeET2_T3_PNSI_ISN_E10value_typeET4_jRbjT5_ST_jjP12ihipStream_tbEUlT_E_NS1_11comp_targetILNS1_3genE10ELNS1_11target_archE1201ELNS1_3gpuE5ELNS1_3repE0EEENS1_30default_config_static_selectorELNS0_4arch9wavefront6targetE0EEEvSH_
    .private_segment_fixed_size: 176
    .sgpr_count:     62
    .sgpr_spill_count: 0
    .symbol:         _ZN7rocprim17ROCPRIM_400000_NS6detail17trampoline_kernelINS0_14default_configENS1_36segmented_radix_sort_config_selectorIllEEZNS1_25segmented_radix_sort_implIS3_Lb1EPKlPlS8_S9_N2at6native12_GLOBAL__N_18offset_tEEE10hipError_tPvRmT1_PNSt15iterator_traitsISH_E10value_typeET2_T3_PNSI_ISN_E10value_typeET4_jRbjT5_ST_jjP12ihipStream_tbEUlT_E_NS1_11comp_targetILNS1_3genE10ELNS1_11target_archE1201ELNS1_3gpuE5ELNS1_3repE0EEENS1_30default_config_static_selectorELNS0_4arch9wavefront6targetE0EEEvSH_.kd
    .uniform_work_group_size: 1
    .uses_dynamic_stack: false
    .vgpr_count:     248
    .vgpr_spill_count: 0
    .wavefront_size: 32
    .workgroup_processor_mode: 1
  - .args:
      - .offset:         0
        .size:           96
        .value_kind:     by_value
    .group_segment_fixed_size: 0
    .kernarg_segment_align: 8
    .kernarg_segment_size: 96
    .language:       OpenCL C
    .language_version:
      - 2
      - 0
    .max_flat_workgroup_size: 128
    .name:           _ZN7rocprim17ROCPRIM_400000_NS6detail17trampoline_kernelINS0_14default_configENS1_36segmented_radix_sort_config_selectorIllEEZNS1_25segmented_radix_sort_implIS3_Lb1EPKlPlS8_S9_N2at6native12_GLOBAL__N_18offset_tEEE10hipError_tPvRmT1_PNSt15iterator_traitsISH_E10value_typeET2_T3_PNSI_ISN_E10value_typeET4_jRbjT5_ST_jjP12ihipStream_tbEUlT_E_NS1_11comp_targetILNS1_3genE10ELNS1_11target_archE1200ELNS1_3gpuE4ELNS1_3repE0EEENS1_30default_config_static_selectorELNS0_4arch9wavefront6targetE0EEEvSH_
    .private_segment_fixed_size: 0
    .sgpr_count:     0
    .sgpr_spill_count: 0
    .symbol:         _ZN7rocprim17ROCPRIM_400000_NS6detail17trampoline_kernelINS0_14default_configENS1_36segmented_radix_sort_config_selectorIllEEZNS1_25segmented_radix_sort_implIS3_Lb1EPKlPlS8_S9_N2at6native12_GLOBAL__N_18offset_tEEE10hipError_tPvRmT1_PNSt15iterator_traitsISH_E10value_typeET2_T3_PNSI_ISN_E10value_typeET4_jRbjT5_ST_jjP12ihipStream_tbEUlT_E_NS1_11comp_targetILNS1_3genE10ELNS1_11target_archE1200ELNS1_3gpuE4ELNS1_3repE0EEENS1_30default_config_static_selectorELNS0_4arch9wavefront6targetE0EEEvSH_.kd
    .uniform_work_group_size: 1
    .uses_dynamic_stack: false
    .vgpr_count:     0
    .vgpr_spill_count: 0
    .wavefront_size: 32
    .workgroup_processor_mode: 1
  - .args:
      - .offset:         0
        .size:           96
        .value_kind:     by_value
    .group_segment_fixed_size: 0
    .kernarg_segment_align: 8
    .kernarg_segment_size: 96
    .language:       OpenCL C
    .language_version:
      - 2
      - 0
    .max_flat_workgroup_size: 256
    .name:           _ZN7rocprim17ROCPRIM_400000_NS6detail17trampoline_kernelINS0_14default_configENS1_36segmented_radix_sort_config_selectorIllEEZNS1_25segmented_radix_sort_implIS3_Lb1EPKlPlS8_S9_N2at6native12_GLOBAL__N_18offset_tEEE10hipError_tPvRmT1_PNSt15iterator_traitsISH_E10value_typeET2_T3_PNSI_ISN_E10value_typeET4_jRbjT5_ST_jjP12ihipStream_tbEUlT_E_NS1_11comp_targetILNS1_3genE9ELNS1_11target_archE1100ELNS1_3gpuE3ELNS1_3repE0EEENS1_30default_config_static_selectorELNS0_4arch9wavefront6targetE0EEEvSH_
    .private_segment_fixed_size: 0
    .sgpr_count:     0
    .sgpr_spill_count: 0
    .symbol:         _ZN7rocprim17ROCPRIM_400000_NS6detail17trampoline_kernelINS0_14default_configENS1_36segmented_radix_sort_config_selectorIllEEZNS1_25segmented_radix_sort_implIS3_Lb1EPKlPlS8_S9_N2at6native12_GLOBAL__N_18offset_tEEE10hipError_tPvRmT1_PNSt15iterator_traitsISH_E10value_typeET2_T3_PNSI_ISN_E10value_typeET4_jRbjT5_ST_jjP12ihipStream_tbEUlT_E_NS1_11comp_targetILNS1_3genE9ELNS1_11target_archE1100ELNS1_3gpuE3ELNS1_3repE0EEENS1_30default_config_static_selectorELNS0_4arch9wavefront6targetE0EEEvSH_.kd
    .uniform_work_group_size: 1
    .uses_dynamic_stack: false
    .vgpr_count:     0
    .vgpr_spill_count: 0
    .wavefront_size: 32
    .workgroup_processor_mode: 1
  - .args:
      - .offset:         0
        .size:           96
        .value_kind:     by_value
    .group_segment_fixed_size: 0
    .kernarg_segment_align: 8
    .kernarg_segment_size: 96
    .language:       OpenCL C
    .language_version:
      - 2
      - 0
    .max_flat_workgroup_size: 256
    .name:           _ZN7rocprim17ROCPRIM_400000_NS6detail17trampoline_kernelINS0_14default_configENS1_36segmented_radix_sort_config_selectorIllEEZNS1_25segmented_radix_sort_implIS3_Lb1EPKlPlS8_S9_N2at6native12_GLOBAL__N_18offset_tEEE10hipError_tPvRmT1_PNSt15iterator_traitsISH_E10value_typeET2_T3_PNSI_ISN_E10value_typeET4_jRbjT5_ST_jjP12ihipStream_tbEUlT_E_NS1_11comp_targetILNS1_3genE8ELNS1_11target_archE1030ELNS1_3gpuE2ELNS1_3repE0EEENS1_30default_config_static_selectorELNS0_4arch9wavefront6targetE0EEEvSH_
    .private_segment_fixed_size: 0
    .sgpr_count:     0
    .sgpr_spill_count: 0
    .symbol:         _ZN7rocprim17ROCPRIM_400000_NS6detail17trampoline_kernelINS0_14default_configENS1_36segmented_radix_sort_config_selectorIllEEZNS1_25segmented_radix_sort_implIS3_Lb1EPKlPlS8_S9_N2at6native12_GLOBAL__N_18offset_tEEE10hipError_tPvRmT1_PNSt15iterator_traitsISH_E10value_typeET2_T3_PNSI_ISN_E10value_typeET4_jRbjT5_ST_jjP12ihipStream_tbEUlT_E_NS1_11comp_targetILNS1_3genE8ELNS1_11target_archE1030ELNS1_3gpuE2ELNS1_3repE0EEENS1_30default_config_static_selectorELNS0_4arch9wavefront6targetE0EEEvSH_.kd
    .uniform_work_group_size: 1
    .uses_dynamic_stack: false
    .vgpr_count:     0
    .vgpr_spill_count: 0
    .wavefront_size: 32
    .workgroup_processor_mode: 1
  - .args:
      - .offset:         0
        .size:           88
        .value_kind:     by_value
    .group_segment_fixed_size: 0
    .kernarg_segment_align: 8
    .kernarg_segment_size: 88
    .language:       OpenCL C
    .language_version:
      - 2
      - 0
    .max_flat_workgroup_size: 256
    .name:           _ZN7rocprim17ROCPRIM_400000_NS6detail17trampoline_kernelINS0_14default_configENS1_36segmented_radix_sort_config_selectorIllEEZNS1_25segmented_radix_sort_implIS3_Lb1EPKlPlS8_S9_N2at6native12_GLOBAL__N_18offset_tEEE10hipError_tPvRmT1_PNSt15iterator_traitsISH_E10value_typeET2_T3_PNSI_ISN_E10value_typeET4_jRbjT5_ST_jjP12ihipStream_tbEUlT_E0_NS1_11comp_targetILNS1_3genE0ELNS1_11target_archE4294967295ELNS1_3gpuE0ELNS1_3repE0EEENS1_60segmented_radix_sort_warp_sort_medium_config_static_selectorELNS0_4arch9wavefront6targetE0EEEvSH_
    .private_segment_fixed_size: 0
    .sgpr_count:     0
    .sgpr_spill_count: 0
    .symbol:         _ZN7rocprim17ROCPRIM_400000_NS6detail17trampoline_kernelINS0_14default_configENS1_36segmented_radix_sort_config_selectorIllEEZNS1_25segmented_radix_sort_implIS3_Lb1EPKlPlS8_S9_N2at6native12_GLOBAL__N_18offset_tEEE10hipError_tPvRmT1_PNSt15iterator_traitsISH_E10value_typeET2_T3_PNSI_ISN_E10value_typeET4_jRbjT5_ST_jjP12ihipStream_tbEUlT_E0_NS1_11comp_targetILNS1_3genE0ELNS1_11target_archE4294967295ELNS1_3gpuE0ELNS1_3repE0EEENS1_60segmented_radix_sort_warp_sort_medium_config_static_selectorELNS0_4arch9wavefront6targetE0EEEvSH_.kd
    .uniform_work_group_size: 1
    .uses_dynamic_stack: false
    .vgpr_count:     0
    .vgpr_spill_count: 0
    .wavefront_size: 32
    .workgroup_processor_mode: 1
  - .args:
      - .offset:         0
        .size:           88
        .value_kind:     by_value
    .group_segment_fixed_size: 0
    .kernarg_segment_align: 8
    .kernarg_segment_size: 88
    .language:       OpenCL C
    .language_version:
      - 2
      - 0
    .max_flat_workgroup_size: 256
    .name:           _ZN7rocprim17ROCPRIM_400000_NS6detail17trampoline_kernelINS0_14default_configENS1_36segmented_radix_sort_config_selectorIllEEZNS1_25segmented_radix_sort_implIS3_Lb1EPKlPlS8_S9_N2at6native12_GLOBAL__N_18offset_tEEE10hipError_tPvRmT1_PNSt15iterator_traitsISH_E10value_typeET2_T3_PNSI_ISN_E10value_typeET4_jRbjT5_ST_jjP12ihipStream_tbEUlT_E0_NS1_11comp_targetILNS1_3genE5ELNS1_11target_archE942ELNS1_3gpuE9ELNS1_3repE0EEENS1_60segmented_radix_sort_warp_sort_medium_config_static_selectorELNS0_4arch9wavefront6targetE0EEEvSH_
    .private_segment_fixed_size: 0
    .sgpr_count:     0
    .sgpr_spill_count: 0
    .symbol:         _ZN7rocprim17ROCPRIM_400000_NS6detail17trampoline_kernelINS0_14default_configENS1_36segmented_radix_sort_config_selectorIllEEZNS1_25segmented_radix_sort_implIS3_Lb1EPKlPlS8_S9_N2at6native12_GLOBAL__N_18offset_tEEE10hipError_tPvRmT1_PNSt15iterator_traitsISH_E10value_typeET2_T3_PNSI_ISN_E10value_typeET4_jRbjT5_ST_jjP12ihipStream_tbEUlT_E0_NS1_11comp_targetILNS1_3genE5ELNS1_11target_archE942ELNS1_3gpuE9ELNS1_3repE0EEENS1_60segmented_radix_sort_warp_sort_medium_config_static_selectorELNS0_4arch9wavefront6targetE0EEEvSH_.kd
    .uniform_work_group_size: 1
    .uses_dynamic_stack: false
    .vgpr_count:     0
    .vgpr_spill_count: 0
    .wavefront_size: 32
    .workgroup_processor_mode: 1
  - .args:
      - .offset:         0
        .size:           88
        .value_kind:     by_value
    .group_segment_fixed_size: 0
    .kernarg_segment_align: 8
    .kernarg_segment_size: 88
    .language:       OpenCL C
    .language_version:
      - 2
      - 0
    .max_flat_workgroup_size: 256
    .name:           _ZN7rocprim17ROCPRIM_400000_NS6detail17trampoline_kernelINS0_14default_configENS1_36segmented_radix_sort_config_selectorIllEEZNS1_25segmented_radix_sort_implIS3_Lb1EPKlPlS8_S9_N2at6native12_GLOBAL__N_18offset_tEEE10hipError_tPvRmT1_PNSt15iterator_traitsISH_E10value_typeET2_T3_PNSI_ISN_E10value_typeET4_jRbjT5_ST_jjP12ihipStream_tbEUlT_E0_NS1_11comp_targetILNS1_3genE4ELNS1_11target_archE910ELNS1_3gpuE8ELNS1_3repE0EEENS1_60segmented_radix_sort_warp_sort_medium_config_static_selectorELNS0_4arch9wavefront6targetE0EEEvSH_
    .private_segment_fixed_size: 0
    .sgpr_count:     0
    .sgpr_spill_count: 0
    .symbol:         _ZN7rocprim17ROCPRIM_400000_NS6detail17trampoline_kernelINS0_14default_configENS1_36segmented_radix_sort_config_selectorIllEEZNS1_25segmented_radix_sort_implIS3_Lb1EPKlPlS8_S9_N2at6native12_GLOBAL__N_18offset_tEEE10hipError_tPvRmT1_PNSt15iterator_traitsISH_E10value_typeET2_T3_PNSI_ISN_E10value_typeET4_jRbjT5_ST_jjP12ihipStream_tbEUlT_E0_NS1_11comp_targetILNS1_3genE4ELNS1_11target_archE910ELNS1_3gpuE8ELNS1_3repE0EEENS1_60segmented_radix_sort_warp_sort_medium_config_static_selectorELNS0_4arch9wavefront6targetE0EEEvSH_.kd
    .uniform_work_group_size: 1
    .uses_dynamic_stack: false
    .vgpr_count:     0
    .vgpr_spill_count: 0
    .wavefront_size: 32
    .workgroup_processor_mode: 1
  - .args:
      - .offset:         0
        .size:           88
        .value_kind:     by_value
    .group_segment_fixed_size: 0
    .kernarg_segment_align: 8
    .kernarg_segment_size: 88
    .language:       OpenCL C
    .language_version:
      - 2
      - 0
    .max_flat_workgroup_size: 256
    .name:           _ZN7rocprim17ROCPRIM_400000_NS6detail17trampoline_kernelINS0_14default_configENS1_36segmented_radix_sort_config_selectorIllEEZNS1_25segmented_radix_sort_implIS3_Lb1EPKlPlS8_S9_N2at6native12_GLOBAL__N_18offset_tEEE10hipError_tPvRmT1_PNSt15iterator_traitsISH_E10value_typeET2_T3_PNSI_ISN_E10value_typeET4_jRbjT5_ST_jjP12ihipStream_tbEUlT_E0_NS1_11comp_targetILNS1_3genE3ELNS1_11target_archE908ELNS1_3gpuE7ELNS1_3repE0EEENS1_60segmented_radix_sort_warp_sort_medium_config_static_selectorELNS0_4arch9wavefront6targetE0EEEvSH_
    .private_segment_fixed_size: 0
    .sgpr_count:     0
    .sgpr_spill_count: 0
    .symbol:         _ZN7rocprim17ROCPRIM_400000_NS6detail17trampoline_kernelINS0_14default_configENS1_36segmented_radix_sort_config_selectorIllEEZNS1_25segmented_radix_sort_implIS3_Lb1EPKlPlS8_S9_N2at6native12_GLOBAL__N_18offset_tEEE10hipError_tPvRmT1_PNSt15iterator_traitsISH_E10value_typeET2_T3_PNSI_ISN_E10value_typeET4_jRbjT5_ST_jjP12ihipStream_tbEUlT_E0_NS1_11comp_targetILNS1_3genE3ELNS1_11target_archE908ELNS1_3gpuE7ELNS1_3repE0EEENS1_60segmented_radix_sort_warp_sort_medium_config_static_selectorELNS0_4arch9wavefront6targetE0EEEvSH_.kd
    .uniform_work_group_size: 1
    .uses_dynamic_stack: false
    .vgpr_count:     0
    .vgpr_spill_count: 0
    .wavefront_size: 32
    .workgroup_processor_mode: 1
  - .args:
      - .offset:         0
        .size:           88
        .value_kind:     by_value
    .group_segment_fixed_size: 0
    .kernarg_segment_align: 8
    .kernarg_segment_size: 88
    .language:       OpenCL C
    .language_version:
      - 2
      - 0
    .max_flat_workgroup_size: 256
    .name:           _ZN7rocprim17ROCPRIM_400000_NS6detail17trampoline_kernelINS0_14default_configENS1_36segmented_radix_sort_config_selectorIllEEZNS1_25segmented_radix_sort_implIS3_Lb1EPKlPlS8_S9_N2at6native12_GLOBAL__N_18offset_tEEE10hipError_tPvRmT1_PNSt15iterator_traitsISH_E10value_typeET2_T3_PNSI_ISN_E10value_typeET4_jRbjT5_ST_jjP12ihipStream_tbEUlT_E0_NS1_11comp_targetILNS1_3genE2ELNS1_11target_archE906ELNS1_3gpuE6ELNS1_3repE0EEENS1_60segmented_radix_sort_warp_sort_medium_config_static_selectorELNS0_4arch9wavefront6targetE0EEEvSH_
    .private_segment_fixed_size: 0
    .sgpr_count:     0
    .sgpr_spill_count: 0
    .symbol:         _ZN7rocprim17ROCPRIM_400000_NS6detail17trampoline_kernelINS0_14default_configENS1_36segmented_radix_sort_config_selectorIllEEZNS1_25segmented_radix_sort_implIS3_Lb1EPKlPlS8_S9_N2at6native12_GLOBAL__N_18offset_tEEE10hipError_tPvRmT1_PNSt15iterator_traitsISH_E10value_typeET2_T3_PNSI_ISN_E10value_typeET4_jRbjT5_ST_jjP12ihipStream_tbEUlT_E0_NS1_11comp_targetILNS1_3genE2ELNS1_11target_archE906ELNS1_3gpuE6ELNS1_3repE0EEENS1_60segmented_radix_sort_warp_sort_medium_config_static_selectorELNS0_4arch9wavefront6targetE0EEEvSH_.kd
    .uniform_work_group_size: 1
    .uses_dynamic_stack: false
    .vgpr_count:     0
    .vgpr_spill_count: 0
    .wavefront_size: 32
    .workgroup_processor_mode: 1
  - .args:
      - .offset:         0
        .size:           88
        .value_kind:     by_value
      - .offset:         88
        .size:           4
        .value_kind:     hidden_block_count_x
      - .offset:         92
        .size:           4
        .value_kind:     hidden_block_count_y
      - .offset:         96
        .size:           4
        .value_kind:     hidden_block_count_z
      - .offset:         100
        .size:           2
        .value_kind:     hidden_group_size_x
      - .offset:         102
        .size:           2
        .value_kind:     hidden_group_size_y
      - .offset:         104
        .size:           2
        .value_kind:     hidden_group_size_z
      - .offset:         106
        .size:           2
        .value_kind:     hidden_remainder_x
      - .offset:         108
        .size:           2
        .value_kind:     hidden_remainder_y
      - .offset:         110
        .size:           2
        .value_kind:     hidden_remainder_z
      - .offset:         128
        .size:           8
        .value_kind:     hidden_global_offset_x
      - .offset:         136
        .size:           8
        .value_kind:     hidden_global_offset_y
      - .offset:         144
        .size:           8
        .value_kind:     hidden_global_offset_z
      - .offset:         152
        .size:           2
        .value_kind:     hidden_grid_dims
    .group_segment_fixed_size: 32768
    .kernarg_segment_align: 8
    .kernarg_segment_size: 344
    .language:       OpenCL C
    .language_version:
      - 2
      - 0
    .max_flat_workgroup_size: 256
    .name:           _ZN7rocprim17ROCPRIM_400000_NS6detail17trampoline_kernelINS0_14default_configENS1_36segmented_radix_sort_config_selectorIllEEZNS1_25segmented_radix_sort_implIS3_Lb1EPKlPlS8_S9_N2at6native12_GLOBAL__N_18offset_tEEE10hipError_tPvRmT1_PNSt15iterator_traitsISH_E10value_typeET2_T3_PNSI_ISN_E10value_typeET4_jRbjT5_ST_jjP12ihipStream_tbEUlT_E0_NS1_11comp_targetILNS1_3genE10ELNS1_11target_archE1201ELNS1_3gpuE5ELNS1_3repE0EEENS1_60segmented_radix_sort_warp_sort_medium_config_static_selectorELNS0_4arch9wavefront6targetE0EEEvSH_
    .private_segment_fixed_size: 0
    .sgpr_count:     46
    .sgpr_spill_count: 0
    .symbol:         _ZN7rocprim17ROCPRIM_400000_NS6detail17trampoline_kernelINS0_14default_configENS1_36segmented_radix_sort_config_selectorIllEEZNS1_25segmented_radix_sort_implIS3_Lb1EPKlPlS8_S9_N2at6native12_GLOBAL__N_18offset_tEEE10hipError_tPvRmT1_PNSt15iterator_traitsISH_E10value_typeET2_T3_PNSI_ISN_E10value_typeET4_jRbjT5_ST_jjP12ihipStream_tbEUlT_E0_NS1_11comp_targetILNS1_3genE10ELNS1_11target_archE1201ELNS1_3gpuE5ELNS1_3repE0EEENS1_60segmented_radix_sort_warp_sort_medium_config_static_selectorELNS0_4arch9wavefront6targetE0EEEvSH_.kd
    .uniform_work_group_size: 1
    .uses_dynamic_stack: false
    .vgpr_count:     102
    .vgpr_spill_count: 0
    .wavefront_size: 32
    .workgroup_processor_mode: 1
  - .args:
      - .offset:         0
        .size:           88
        .value_kind:     by_value
    .group_segment_fixed_size: 0
    .kernarg_segment_align: 8
    .kernarg_segment_size: 88
    .language:       OpenCL C
    .language_version:
      - 2
      - 0
    .max_flat_workgroup_size: 256
    .name:           _ZN7rocprim17ROCPRIM_400000_NS6detail17trampoline_kernelINS0_14default_configENS1_36segmented_radix_sort_config_selectorIllEEZNS1_25segmented_radix_sort_implIS3_Lb1EPKlPlS8_S9_N2at6native12_GLOBAL__N_18offset_tEEE10hipError_tPvRmT1_PNSt15iterator_traitsISH_E10value_typeET2_T3_PNSI_ISN_E10value_typeET4_jRbjT5_ST_jjP12ihipStream_tbEUlT_E0_NS1_11comp_targetILNS1_3genE10ELNS1_11target_archE1200ELNS1_3gpuE4ELNS1_3repE0EEENS1_60segmented_radix_sort_warp_sort_medium_config_static_selectorELNS0_4arch9wavefront6targetE0EEEvSH_
    .private_segment_fixed_size: 0
    .sgpr_count:     0
    .sgpr_spill_count: 0
    .symbol:         _ZN7rocprim17ROCPRIM_400000_NS6detail17trampoline_kernelINS0_14default_configENS1_36segmented_radix_sort_config_selectorIllEEZNS1_25segmented_radix_sort_implIS3_Lb1EPKlPlS8_S9_N2at6native12_GLOBAL__N_18offset_tEEE10hipError_tPvRmT1_PNSt15iterator_traitsISH_E10value_typeET2_T3_PNSI_ISN_E10value_typeET4_jRbjT5_ST_jjP12ihipStream_tbEUlT_E0_NS1_11comp_targetILNS1_3genE10ELNS1_11target_archE1200ELNS1_3gpuE4ELNS1_3repE0EEENS1_60segmented_radix_sort_warp_sort_medium_config_static_selectorELNS0_4arch9wavefront6targetE0EEEvSH_.kd
    .uniform_work_group_size: 1
    .uses_dynamic_stack: false
    .vgpr_count:     0
    .vgpr_spill_count: 0
    .wavefront_size: 32
    .workgroup_processor_mode: 1
  - .args:
      - .offset:         0
        .size:           88
        .value_kind:     by_value
    .group_segment_fixed_size: 0
    .kernarg_segment_align: 8
    .kernarg_segment_size: 88
    .language:       OpenCL C
    .language_version:
      - 2
      - 0
    .max_flat_workgroup_size: 256
    .name:           _ZN7rocprim17ROCPRIM_400000_NS6detail17trampoline_kernelINS0_14default_configENS1_36segmented_radix_sort_config_selectorIllEEZNS1_25segmented_radix_sort_implIS3_Lb1EPKlPlS8_S9_N2at6native12_GLOBAL__N_18offset_tEEE10hipError_tPvRmT1_PNSt15iterator_traitsISH_E10value_typeET2_T3_PNSI_ISN_E10value_typeET4_jRbjT5_ST_jjP12ihipStream_tbEUlT_E0_NS1_11comp_targetILNS1_3genE9ELNS1_11target_archE1100ELNS1_3gpuE3ELNS1_3repE0EEENS1_60segmented_radix_sort_warp_sort_medium_config_static_selectorELNS0_4arch9wavefront6targetE0EEEvSH_
    .private_segment_fixed_size: 0
    .sgpr_count:     0
    .sgpr_spill_count: 0
    .symbol:         _ZN7rocprim17ROCPRIM_400000_NS6detail17trampoline_kernelINS0_14default_configENS1_36segmented_radix_sort_config_selectorIllEEZNS1_25segmented_radix_sort_implIS3_Lb1EPKlPlS8_S9_N2at6native12_GLOBAL__N_18offset_tEEE10hipError_tPvRmT1_PNSt15iterator_traitsISH_E10value_typeET2_T3_PNSI_ISN_E10value_typeET4_jRbjT5_ST_jjP12ihipStream_tbEUlT_E0_NS1_11comp_targetILNS1_3genE9ELNS1_11target_archE1100ELNS1_3gpuE3ELNS1_3repE0EEENS1_60segmented_radix_sort_warp_sort_medium_config_static_selectorELNS0_4arch9wavefront6targetE0EEEvSH_.kd
    .uniform_work_group_size: 1
    .uses_dynamic_stack: false
    .vgpr_count:     0
    .vgpr_spill_count: 0
    .wavefront_size: 32
    .workgroup_processor_mode: 1
  - .args:
      - .offset:         0
        .size:           88
        .value_kind:     by_value
    .group_segment_fixed_size: 0
    .kernarg_segment_align: 8
    .kernarg_segment_size: 88
    .language:       OpenCL C
    .language_version:
      - 2
      - 0
    .max_flat_workgroup_size: 256
    .name:           _ZN7rocprim17ROCPRIM_400000_NS6detail17trampoline_kernelINS0_14default_configENS1_36segmented_radix_sort_config_selectorIllEEZNS1_25segmented_radix_sort_implIS3_Lb1EPKlPlS8_S9_N2at6native12_GLOBAL__N_18offset_tEEE10hipError_tPvRmT1_PNSt15iterator_traitsISH_E10value_typeET2_T3_PNSI_ISN_E10value_typeET4_jRbjT5_ST_jjP12ihipStream_tbEUlT_E0_NS1_11comp_targetILNS1_3genE8ELNS1_11target_archE1030ELNS1_3gpuE2ELNS1_3repE0EEENS1_60segmented_radix_sort_warp_sort_medium_config_static_selectorELNS0_4arch9wavefront6targetE0EEEvSH_
    .private_segment_fixed_size: 0
    .sgpr_count:     0
    .sgpr_spill_count: 0
    .symbol:         _ZN7rocprim17ROCPRIM_400000_NS6detail17trampoline_kernelINS0_14default_configENS1_36segmented_radix_sort_config_selectorIllEEZNS1_25segmented_radix_sort_implIS3_Lb1EPKlPlS8_S9_N2at6native12_GLOBAL__N_18offset_tEEE10hipError_tPvRmT1_PNSt15iterator_traitsISH_E10value_typeET2_T3_PNSI_ISN_E10value_typeET4_jRbjT5_ST_jjP12ihipStream_tbEUlT_E0_NS1_11comp_targetILNS1_3genE8ELNS1_11target_archE1030ELNS1_3gpuE2ELNS1_3repE0EEENS1_60segmented_radix_sort_warp_sort_medium_config_static_selectorELNS0_4arch9wavefront6targetE0EEEvSH_.kd
    .uniform_work_group_size: 1
    .uses_dynamic_stack: false
    .vgpr_count:     0
    .vgpr_spill_count: 0
    .wavefront_size: 32
    .workgroup_processor_mode: 1
  - .args:
      - .offset:         0
        .size:           88
        .value_kind:     by_value
    .group_segment_fixed_size: 0
    .kernarg_segment_align: 8
    .kernarg_segment_size: 88
    .language:       OpenCL C
    .language_version:
      - 2
      - 0
    .max_flat_workgroup_size: 256
    .name:           _ZN7rocprim17ROCPRIM_400000_NS6detail17trampoline_kernelINS0_14default_configENS1_36segmented_radix_sort_config_selectorIllEEZNS1_25segmented_radix_sort_implIS3_Lb1EPKlPlS8_S9_N2at6native12_GLOBAL__N_18offset_tEEE10hipError_tPvRmT1_PNSt15iterator_traitsISH_E10value_typeET2_T3_PNSI_ISN_E10value_typeET4_jRbjT5_ST_jjP12ihipStream_tbEUlT_E1_NS1_11comp_targetILNS1_3genE0ELNS1_11target_archE4294967295ELNS1_3gpuE0ELNS1_3repE0EEENS1_59segmented_radix_sort_warp_sort_small_config_static_selectorELNS0_4arch9wavefront6targetE0EEEvSH_
    .private_segment_fixed_size: 0
    .sgpr_count:     0
    .sgpr_spill_count: 0
    .symbol:         _ZN7rocprim17ROCPRIM_400000_NS6detail17trampoline_kernelINS0_14default_configENS1_36segmented_radix_sort_config_selectorIllEEZNS1_25segmented_radix_sort_implIS3_Lb1EPKlPlS8_S9_N2at6native12_GLOBAL__N_18offset_tEEE10hipError_tPvRmT1_PNSt15iterator_traitsISH_E10value_typeET2_T3_PNSI_ISN_E10value_typeET4_jRbjT5_ST_jjP12ihipStream_tbEUlT_E1_NS1_11comp_targetILNS1_3genE0ELNS1_11target_archE4294967295ELNS1_3gpuE0ELNS1_3repE0EEENS1_59segmented_radix_sort_warp_sort_small_config_static_selectorELNS0_4arch9wavefront6targetE0EEEvSH_.kd
    .uniform_work_group_size: 1
    .uses_dynamic_stack: false
    .vgpr_count:     0
    .vgpr_spill_count: 0
    .wavefront_size: 32
    .workgroup_processor_mode: 1
  - .args:
      - .offset:         0
        .size:           88
        .value_kind:     by_value
    .group_segment_fixed_size: 0
    .kernarg_segment_align: 8
    .kernarg_segment_size: 88
    .language:       OpenCL C
    .language_version:
      - 2
      - 0
    .max_flat_workgroup_size: 256
    .name:           _ZN7rocprim17ROCPRIM_400000_NS6detail17trampoline_kernelINS0_14default_configENS1_36segmented_radix_sort_config_selectorIllEEZNS1_25segmented_radix_sort_implIS3_Lb1EPKlPlS8_S9_N2at6native12_GLOBAL__N_18offset_tEEE10hipError_tPvRmT1_PNSt15iterator_traitsISH_E10value_typeET2_T3_PNSI_ISN_E10value_typeET4_jRbjT5_ST_jjP12ihipStream_tbEUlT_E1_NS1_11comp_targetILNS1_3genE5ELNS1_11target_archE942ELNS1_3gpuE9ELNS1_3repE0EEENS1_59segmented_radix_sort_warp_sort_small_config_static_selectorELNS0_4arch9wavefront6targetE0EEEvSH_
    .private_segment_fixed_size: 0
    .sgpr_count:     0
    .sgpr_spill_count: 0
    .symbol:         _ZN7rocprim17ROCPRIM_400000_NS6detail17trampoline_kernelINS0_14default_configENS1_36segmented_radix_sort_config_selectorIllEEZNS1_25segmented_radix_sort_implIS3_Lb1EPKlPlS8_S9_N2at6native12_GLOBAL__N_18offset_tEEE10hipError_tPvRmT1_PNSt15iterator_traitsISH_E10value_typeET2_T3_PNSI_ISN_E10value_typeET4_jRbjT5_ST_jjP12ihipStream_tbEUlT_E1_NS1_11comp_targetILNS1_3genE5ELNS1_11target_archE942ELNS1_3gpuE9ELNS1_3repE0EEENS1_59segmented_radix_sort_warp_sort_small_config_static_selectorELNS0_4arch9wavefront6targetE0EEEvSH_.kd
    .uniform_work_group_size: 1
    .uses_dynamic_stack: false
    .vgpr_count:     0
    .vgpr_spill_count: 0
    .wavefront_size: 32
    .workgroup_processor_mode: 1
  - .args:
      - .offset:         0
        .size:           88
        .value_kind:     by_value
    .group_segment_fixed_size: 0
    .kernarg_segment_align: 8
    .kernarg_segment_size: 88
    .language:       OpenCL C
    .language_version:
      - 2
      - 0
    .max_flat_workgroup_size: 256
    .name:           _ZN7rocprim17ROCPRIM_400000_NS6detail17trampoline_kernelINS0_14default_configENS1_36segmented_radix_sort_config_selectorIllEEZNS1_25segmented_radix_sort_implIS3_Lb1EPKlPlS8_S9_N2at6native12_GLOBAL__N_18offset_tEEE10hipError_tPvRmT1_PNSt15iterator_traitsISH_E10value_typeET2_T3_PNSI_ISN_E10value_typeET4_jRbjT5_ST_jjP12ihipStream_tbEUlT_E1_NS1_11comp_targetILNS1_3genE4ELNS1_11target_archE910ELNS1_3gpuE8ELNS1_3repE0EEENS1_59segmented_radix_sort_warp_sort_small_config_static_selectorELNS0_4arch9wavefront6targetE0EEEvSH_
    .private_segment_fixed_size: 0
    .sgpr_count:     0
    .sgpr_spill_count: 0
    .symbol:         _ZN7rocprim17ROCPRIM_400000_NS6detail17trampoline_kernelINS0_14default_configENS1_36segmented_radix_sort_config_selectorIllEEZNS1_25segmented_radix_sort_implIS3_Lb1EPKlPlS8_S9_N2at6native12_GLOBAL__N_18offset_tEEE10hipError_tPvRmT1_PNSt15iterator_traitsISH_E10value_typeET2_T3_PNSI_ISN_E10value_typeET4_jRbjT5_ST_jjP12ihipStream_tbEUlT_E1_NS1_11comp_targetILNS1_3genE4ELNS1_11target_archE910ELNS1_3gpuE8ELNS1_3repE0EEENS1_59segmented_radix_sort_warp_sort_small_config_static_selectorELNS0_4arch9wavefront6targetE0EEEvSH_.kd
    .uniform_work_group_size: 1
    .uses_dynamic_stack: false
    .vgpr_count:     0
    .vgpr_spill_count: 0
    .wavefront_size: 32
    .workgroup_processor_mode: 1
  - .args:
      - .offset:         0
        .size:           88
        .value_kind:     by_value
    .group_segment_fixed_size: 0
    .kernarg_segment_align: 8
    .kernarg_segment_size: 88
    .language:       OpenCL C
    .language_version:
      - 2
      - 0
    .max_flat_workgroup_size: 256
    .name:           _ZN7rocprim17ROCPRIM_400000_NS6detail17trampoline_kernelINS0_14default_configENS1_36segmented_radix_sort_config_selectorIllEEZNS1_25segmented_radix_sort_implIS3_Lb1EPKlPlS8_S9_N2at6native12_GLOBAL__N_18offset_tEEE10hipError_tPvRmT1_PNSt15iterator_traitsISH_E10value_typeET2_T3_PNSI_ISN_E10value_typeET4_jRbjT5_ST_jjP12ihipStream_tbEUlT_E1_NS1_11comp_targetILNS1_3genE3ELNS1_11target_archE908ELNS1_3gpuE7ELNS1_3repE0EEENS1_59segmented_radix_sort_warp_sort_small_config_static_selectorELNS0_4arch9wavefront6targetE0EEEvSH_
    .private_segment_fixed_size: 0
    .sgpr_count:     0
    .sgpr_spill_count: 0
    .symbol:         _ZN7rocprim17ROCPRIM_400000_NS6detail17trampoline_kernelINS0_14default_configENS1_36segmented_radix_sort_config_selectorIllEEZNS1_25segmented_radix_sort_implIS3_Lb1EPKlPlS8_S9_N2at6native12_GLOBAL__N_18offset_tEEE10hipError_tPvRmT1_PNSt15iterator_traitsISH_E10value_typeET2_T3_PNSI_ISN_E10value_typeET4_jRbjT5_ST_jjP12ihipStream_tbEUlT_E1_NS1_11comp_targetILNS1_3genE3ELNS1_11target_archE908ELNS1_3gpuE7ELNS1_3repE0EEENS1_59segmented_radix_sort_warp_sort_small_config_static_selectorELNS0_4arch9wavefront6targetE0EEEvSH_.kd
    .uniform_work_group_size: 1
    .uses_dynamic_stack: false
    .vgpr_count:     0
    .vgpr_spill_count: 0
    .wavefront_size: 32
    .workgroup_processor_mode: 1
  - .args:
      - .offset:         0
        .size:           88
        .value_kind:     by_value
    .group_segment_fixed_size: 0
    .kernarg_segment_align: 8
    .kernarg_segment_size: 88
    .language:       OpenCL C
    .language_version:
      - 2
      - 0
    .max_flat_workgroup_size: 256
    .name:           _ZN7rocprim17ROCPRIM_400000_NS6detail17trampoline_kernelINS0_14default_configENS1_36segmented_radix_sort_config_selectorIllEEZNS1_25segmented_radix_sort_implIS3_Lb1EPKlPlS8_S9_N2at6native12_GLOBAL__N_18offset_tEEE10hipError_tPvRmT1_PNSt15iterator_traitsISH_E10value_typeET2_T3_PNSI_ISN_E10value_typeET4_jRbjT5_ST_jjP12ihipStream_tbEUlT_E1_NS1_11comp_targetILNS1_3genE2ELNS1_11target_archE906ELNS1_3gpuE6ELNS1_3repE0EEENS1_59segmented_radix_sort_warp_sort_small_config_static_selectorELNS0_4arch9wavefront6targetE0EEEvSH_
    .private_segment_fixed_size: 0
    .sgpr_count:     0
    .sgpr_spill_count: 0
    .symbol:         _ZN7rocprim17ROCPRIM_400000_NS6detail17trampoline_kernelINS0_14default_configENS1_36segmented_radix_sort_config_selectorIllEEZNS1_25segmented_radix_sort_implIS3_Lb1EPKlPlS8_S9_N2at6native12_GLOBAL__N_18offset_tEEE10hipError_tPvRmT1_PNSt15iterator_traitsISH_E10value_typeET2_T3_PNSI_ISN_E10value_typeET4_jRbjT5_ST_jjP12ihipStream_tbEUlT_E1_NS1_11comp_targetILNS1_3genE2ELNS1_11target_archE906ELNS1_3gpuE6ELNS1_3repE0EEENS1_59segmented_radix_sort_warp_sort_small_config_static_selectorELNS0_4arch9wavefront6targetE0EEEvSH_.kd
    .uniform_work_group_size: 1
    .uses_dynamic_stack: false
    .vgpr_count:     0
    .vgpr_spill_count: 0
    .wavefront_size: 32
    .workgroup_processor_mode: 1
  - .args:
      - .offset:         0
        .size:           88
        .value_kind:     by_value
      - .offset:         88
        .size:           4
        .value_kind:     hidden_block_count_x
      - .offset:         92
        .size:           4
        .value_kind:     hidden_block_count_y
      - .offset:         96
        .size:           4
        .value_kind:     hidden_block_count_z
      - .offset:         100
        .size:           2
        .value_kind:     hidden_group_size_x
      - .offset:         102
        .size:           2
        .value_kind:     hidden_group_size_y
      - .offset:         104
        .size:           2
        .value_kind:     hidden_group_size_z
      - .offset:         106
        .size:           2
        .value_kind:     hidden_remainder_x
      - .offset:         108
        .size:           2
        .value_kind:     hidden_remainder_y
      - .offset:         110
        .size:           2
        .value_kind:     hidden_remainder_z
      - .offset:         128
        .size:           8
        .value_kind:     hidden_global_offset_x
      - .offset:         136
        .size:           8
        .value_kind:     hidden_global_offset_y
      - .offset:         144
        .size:           8
        .value_kind:     hidden_global_offset_z
      - .offset:         152
        .size:           2
        .value_kind:     hidden_grid_dims
    .group_segment_fixed_size: 16384
    .kernarg_segment_align: 8
    .kernarg_segment_size: 344
    .language:       OpenCL C
    .language_version:
      - 2
      - 0
    .max_flat_workgroup_size: 256
    .name:           _ZN7rocprim17ROCPRIM_400000_NS6detail17trampoline_kernelINS0_14default_configENS1_36segmented_radix_sort_config_selectorIllEEZNS1_25segmented_radix_sort_implIS3_Lb1EPKlPlS8_S9_N2at6native12_GLOBAL__N_18offset_tEEE10hipError_tPvRmT1_PNSt15iterator_traitsISH_E10value_typeET2_T3_PNSI_ISN_E10value_typeET4_jRbjT5_ST_jjP12ihipStream_tbEUlT_E1_NS1_11comp_targetILNS1_3genE10ELNS1_11target_archE1201ELNS1_3gpuE5ELNS1_3repE0EEENS1_59segmented_radix_sort_warp_sort_small_config_static_selectorELNS0_4arch9wavefront6targetE0EEEvSH_
    .private_segment_fixed_size: 0
    .sgpr_count:     35
    .sgpr_spill_count: 0
    .symbol:         _ZN7rocprim17ROCPRIM_400000_NS6detail17trampoline_kernelINS0_14default_configENS1_36segmented_radix_sort_config_selectorIllEEZNS1_25segmented_radix_sort_implIS3_Lb1EPKlPlS8_S9_N2at6native12_GLOBAL__N_18offset_tEEE10hipError_tPvRmT1_PNSt15iterator_traitsISH_E10value_typeET2_T3_PNSI_ISN_E10value_typeET4_jRbjT5_ST_jjP12ihipStream_tbEUlT_E1_NS1_11comp_targetILNS1_3genE10ELNS1_11target_archE1201ELNS1_3gpuE5ELNS1_3repE0EEENS1_59segmented_radix_sort_warp_sort_small_config_static_selectorELNS0_4arch9wavefront6targetE0EEEvSH_.kd
    .uniform_work_group_size: 1
    .uses_dynamic_stack: false
    .vgpr_count:     66
    .vgpr_spill_count: 0
    .wavefront_size: 32
    .workgroup_processor_mode: 1
  - .args:
      - .offset:         0
        .size:           88
        .value_kind:     by_value
    .group_segment_fixed_size: 0
    .kernarg_segment_align: 8
    .kernarg_segment_size: 88
    .language:       OpenCL C
    .language_version:
      - 2
      - 0
    .max_flat_workgroup_size: 256
    .name:           _ZN7rocprim17ROCPRIM_400000_NS6detail17trampoline_kernelINS0_14default_configENS1_36segmented_radix_sort_config_selectorIllEEZNS1_25segmented_radix_sort_implIS3_Lb1EPKlPlS8_S9_N2at6native12_GLOBAL__N_18offset_tEEE10hipError_tPvRmT1_PNSt15iterator_traitsISH_E10value_typeET2_T3_PNSI_ISN_E10value_typeET4_jRbjT5_ST_jjP12ihipStream_tbEUlT_E1_NS1_11comp_targetILNS1_3genE10ELNS1_11target_archE1200ELNS1_3gpuE4ELNS1_3repE0EEENS1_59segmented_radix_sort_warp_sort_small_config_static_selectorELNS0_4arch9wavefront6targetE0EEEvSH_
    .private_segment_fixed_size: 0
    .sgpr_count:     0
    .sgpr_spill_count: 0
    .symbol:         _ZN7rocprim17ROCPRIM_400000_NS6detail17trampoline_kernelINS0_14default_configENS1_36segmented_radix_sort_config_selectorIllEEZNS1_25segmented_radix_sort_implIS3_Lb1EPKlPlS8_S9_N2at6native12_GLOBAL__N_18offset_tEEE10hipError_tPvRmT1_PNSt15iterator_traitsISH_E10value_typeET2_T3_PNSI_ISN_E10value_typeET4_jRbjT5_ST_jjP12ihipStream_tbEUlT_E1_NS1_11comp_targetILNS1_3genE10ELNS1_11target_archE1200ELNS1_3gpuE4ELNS1_3repE0EEENS1_59segmented_radix_sort_warp_sort_small_config_static_selectorELNS0_4arch9wavefront6targetE0EEEvSH_.kd
    .uniform_work_group_size: 1
    .uses_dynamic_stack: false
    .vgpr_count:     0
    .vgpr_spill_count: 0
    .wavefront_size: 32
    .workgroup_processor_mode: 1
  - .args:
      - .offset:         0
        .size:           88
        .value_kind:     by_value
    .group_segment_fixed_size: 0
    .kernarg_segment_align: 8
    .kernarg_segment_size: 88
    .language:       OpenCL C
    .language_version:
      - 2
      - 0
    .max_flat_workgroup_size: 256
    .name:           _ZN7rocprim17ROCPRIM_400000_NS6detail17trampoline_kernelINS0_14default_configENS1_36segmented_radix_sort_config_selectorIllEEZNS1_25segmented_radix_sort_implIS3_Lb1EPKlPlS8_S9_N2at6native12_GLOBAL__N_18offset_tEEE10hipError_tPvRmT1_PNSt15iterator_traitsISH_E10value_typeET2_T3_PNSI_ISN_E10value_typeET4_jRbjT5_ST_jjP12ihipStream_tbEUlT_E1_NS1_11comp_targetILNS1_3genE9ELNS1_11target_archE1100ELNS1_3gpuE3ELNS1_3repE0EEENS1_59segmented_radix_sort_warp_sort_small_config_static_selectorELNS0_4arch9wavefront6targetE0EEEvSH_
    .private_segment_fixed_size: 0
    .sgpr_count:     0
    .sgpr_spill_count: 0
    .symbol:         _ZN7rocprim17ROCPRIM_400000_NS6detail17trampoline_kernelINS0_14default_configENS1_36segmented_radix_sort_config_selectorIllEEZNS1_25segmented_radix_sort_implIS3_Lb1EPKlPlS8_S9_N2at6native12_GLOBAL__N_18offset_tEEE10hipError_tPvRmT1_PNSt15iterator_traitsISH_E10value_typeET2_T3_PNSI_ISN_E10value_typeET4_jRbjT5_ST_jjP12ihipStream_tbEUlT_E1_NS1_11comp_targetILNS1_3genE9ELNS1_11target_archE1100ELNS1_3gpuE3ELNS1_3repE0EEENS1_59segmented_radix_sort_warp_sort_small_config_static_selectorELNS0_4arch9wavefront6targetE0EEEvSH_.kd
    .uniform_work_group_size: 1
    .uses_dynamic_stack: false
    .vgpr_count:     0
    .vgpr_spill_count: 0
    .wavefront_size: 32
    .workgroup_processor_mode: 1
  - .args:
      - .offset:         0
        .size:           88
        .value_kind:     by_value
    .group_segment_fixed_size: 0
    .kernarg_segment_align: 8
    .kernarg_segment_size: 88
    .language:       OpenCL C
    .language_version:
      - 2
      - 0
    .max_flat_workgroup_size: 256
    .name:           _ZN7rocprim17ROCPRIM_400000_NS6detail17trampoline_kernelINS0_14default_configENS1_36segmented_radix_sort_config_selectorIllEEZNS1_25segmented_radix_sort_implIS3_Lb1EPKlPlS8_S9_N2at6native12_GLOBAL__N_18offset_tEEE10hipError_tPvRmT1_PNSt15iterator_traitsISH_E10value_typeET2_T3_PNSI_ISN_E10value_typeET4_jRbjT5_ST_jjP12ihipStream_tbEUlT_E1_NS1_11comp_targetILNS1_3genE8ELNS1_11target_archE1030ELNS1_3gpuE2ELNS1_3repE0EEENS1_59segmented_radix_sort_warp_sort_small_config_static_selectorELNS0_4arch9wavefront6targetE0EEEvSH_
    .private_segment_fixed_size: 0
    .sgpr_count:     0
    .sgpr_spill_count: 0
    .symbol:         _ZN7rocprim17ROCPRIM_400000_NS6detail17trampoline_kernelINS0_14default_configENS1_36segmented_radix_sort_config_selectorIllEEZNS1_25segmented_radix_sort_implIS3_Lb1EPKlPlS8_S9_N2at6native12_GLOBAL__N_18offset_tEEE10hipError_tPvRmT1_PNSt15iterator_traitsISH_E10value_typeET2_T3_PNSI_ISN_E10value_typeET4_jRbjT5_ST_jjP12ihipStream_tbEUlT_E1_NS1_11comp_targetILNS1_3genE8ELNS1_11target_archE1030ELNS1_3gpuE2ELNS1_3repE0EEENS1_59segmented_radix_sort_warp_sort_small_config_static_selectorELNS0_4arch9wavefront6targetE0EEEvSH_.kd
    .uniform_work_group_size: 1
    .uses_dynamic_stack: false
    .vgpr_count:     0
    .vgpr_spill_count: 0
    .wavefront_size: 32
    .workgroup_processor_mode: 1
  - .args:
      - .offset:         0
        .size:           80
        .value_kind:     by_value
    .group_segment_fixed_size: 0
    .kernarg_segment_align: 8
    .kernarg_segment_size: 80
    .language:       OpenCL C
    .language_version:
      - 2
      - 0
    .max_flat_workgroup_size: 256
    .name:           _ZN7rocprim17ROCPRIM_400000_NS6detail17trampoline_kernelINS0_14default_configENS1_36segmented_radix_sort_config_selectorIllEEZNS1_25segmented_radix_sort_implIS3_Lb1EPKlPlS8_S9_N2at6native12_GLOBAL__N_18offset_tEEE10hipError_tPvRmT1_PNSt15iterator_traitsISH_E10value_typeET2_T3_PNSI_ISN_E10value_typeET4_jRbjT5_ST_jjP12ihipStream_tbEUlT_E2_NS1_11comp_targetILNS1_3genE0ELNS1_11target_archE4294967295ELNS1_3gpuE0ELNS1_3repE0EEENS1_30default_config_static_selectorELNS0_4arch9wavefront6targetE0EEEvSH_
    .private_segment_fixed_size: 0
    .sgpr_count:     0
    .sgpr_spill_count: 0
    .symbol:         _ZN7rocprim17ROCPRIM_400000_NS6detail17trampoline_kernelINS0_14default_configENS1_36segmented_radix_sort_config_selectorIllEEZNS1_25segmented_radix_sort_implIS3_Lb1EPKlPlS8_S9_N2at6native12_GLOBAL__N_18offset_tEEE10hipError_tPvRmT1_PNSt15iterator_traitsISH_E10value_typeET2_T3_PNSI_ISN_E10value_typeET4_jRbjT5_ST_jjP12ihipStream_tbEUlT_E2_NS1_11comp_targetILNS1_3genE0ELNS1_11target_archE4294967295ELNS1_3gpuE0ELNS1_3repE0EEENS1_30default_config_static_selectorELNS0_4arch9wavefront6targetE0EEEvSH_.kd
    .uniform_work_group_size: 1
    .uses_dynamic_stack: false
    .vgpr_count:     0
    .vgpr_spill_count: 0
    .wavefront_size: 32
    .workgroup_processor_mode: 1
  - .args:
      - .offset:         0
        .size:           80
        .value_kind:     by_value
    .group_segment_fixed_size: 0
    .kernarg_segment_align: 8
    .kernarg_segment_size: 80
    .language:       OpenCL C
    .language_version:
      - 2
      - 0
    .max_flat_workgroup_size: 256
    .name:           _ZN7rocprim17ROCPRIM_400000_NS6detail17trampoline_kernelINS0_14default_configENS1_36segmented_radix_sort_config_selectorIllEEZNS1_25segmented_radix_sort_implIS3_Lb1EPKlPlS8_S9_N2at6native12_GLOBAL__N_18offset_tEEE10hipError_tPvRmT1_PNSt15iterator_traitsISH_E10value_typeET2_T3_PNSI_ISN_E10value_typeET4_jRbjT5_ST_jjP12ihipStream_tbEUlT_E2_NS1_11comp_targetILNS1_3genE5ELNS1_11target_archE942ELNS1_3gpuE9ELNS1_3repE0EEENS1_30default_config_static_selectorELNS0_4arch9wavefront6targetE0EEEvSH_
    .private_segment_fixed_size: 0
    .sgpr_count:     0
    .sgpr_spill_count: 0
    .symbol:         _ZN7rocprim17ROCPRIM_400000_NS6detail17trampoline_kernelINS0_14default_configENS1_36segmented_radix_sort_config_selectorIllEEZNS1_25segmented_radix_sort_implIS3_Lb1EPKlPlS8_S9_N2at6native12_GLOBAL__N_18offset_tEEE10hipError_tPvRmT1_PNSt15iterator_traitsISH_E10value_typeET2_T3_PNSI_ISN_E10value_typeET4_jRbjT5_ST_jjP12ihipStream_tbEUlT_E2_NS1_11comp_targetILNS1_3genE5ELNS1_11target_archE942ELNS1_3gpuE9ELNS1_3repE0EEENS1_30default_config_static_selectorELNS0_4arch9wavefront6targetE0EEEvSH_.kd
    .uniform_work_group_size: 1
    .uses_dynamic_stack: false
    .vgpr_count:     0
    .vgpr_spill_count: 0
    .wavefront_size: 32
    .workgroup_processor_mode: 1
  - .args:
      - .offset:         0
        .size:           80
        .value_kind:     by_value
    .group_segment_fixed_size: 0
    .kernarg_segment_align: 8
    .kernarg_segment_size: 80
    .language:       OpenCL C
    .language_version:
      - 2
      - 0
    .max_flat_workgroup_size: 256
    .name:           _ZN7rocprim17ROCPRIM_400000_NS6detail17trampoline_kernelINS0_14default_configENS1_36segmented_radix_sort_config_selectorIllEEZNS1_25segmented_radix_sort_implIS3_Lb1EPKlPlS8_S9_N2at6native12_GLOBAL__N_18offset_tEEE10hipError_tPvRmT1_PNSt15iterator_traitsISH_E10value_typeET2_T3_PNSI_ISN_E10value_typeET4_jRbjT5_ST_jjP12ihipStream_tbEUlT_E2_NS1_11comp_targetILNS1_3genE4ELNS1_11target_archE910ELNS1_3gpuE8ELNS1_3repE0EEENS1_30default_config_static_selectorELNS0_4arch9wavefront6targetE0EEEvSH_
    .private_segment_fixed_size: 0
    .sgpr_count:     0
    .sgpr_spill_count: 0
    .symbol:         _ZN7rocprim17ROCPRIM_400000_NS6detail17trampoline_kernelINS0_14default_configENS1_36segmented_radix_sort_config_selectorIllEEZNS1_25segmented_radix_sort_implIS3_Lb1EPKlPlS8_S9_N2at6native12_GLOBAL__N_18offset_tEEE10hipError_tPvRmT1_PNSt15iterator_traitsISH_E10value_typeET2_T3_PNSI_ISN_E10value_typeET4_jRbjT5_ST_jjP12ihipStream_tbEUlT_E2_NS1_11comp_targetILNS1_3genE4ELNS1_11target_archE910ELNS1_3gpuE8ELNS1_3repE0EEENS1_30default_config_static_selectorELNS0_4arch9wavefront6targetE0EEEvSH_.kd
    .uniform_work_group_size: 1
    .uses_dynamic_stack: false
    .vgpr_count:     0
    .vgpr_spill_count: 0
    .wavefront_size: 32
    .workgroup_processor_mode: 1
  - .args:
      - .offset:         0
        .size:           80
        .value_kind:     by_value
    .group_segment_fixed_size: 0
    .kernarg_segment_align: 8
    .kernarg_segment_size: 80
    .language:       OpenCL C
    .language_version:
      - 2
      - 0
    .max_flat_workgroup_size: 256
    .name:           _ZN7rocprim17ROCPRIM_400000_NS6detail17trampoline_kernelINS0_14default_configENS1_36segmented_radix_sort_config_selectorIllEEZNS1_25segmented_radix_sort_implIS3_Lb1EPKlPlS8_S9_N2at6native12_GLOBAL__N_18offset_tEEE10hipError_tPvRmT1_PNSt15iterator_traitsISH_E10value_typeET2_T3_PNSI_ISN_E10value_typeET4_jRbjT5_ST_jjP12ihipStream_tbEUlT_E2_NS1_11comp_targetILNS1_3genE3ELNS1_11target_archE908ELNS1_3gpuE7ELNS1_3repE0EEENS1_30default_config_static_selectorELNS0_4arch9wavefront6targetE0EEEvSH_
    .private_segment_fixed_size: 0
    .sgpr_count:     0
    .sgpr_spill_count: 0
    .symbol:         _ZN7rocprim17ROCPRIM_400000_NS6detail17trampoline_kernelINS0_14default_configENS1_36segmented_radix_sort_config_selectorIllEEZNS1_25segmented_radix_sort_implIS3_Lb1EPKlPlS8_S9_N2at6native12_GLOBAL__N_18offset_tEEE10hipError_tPvRmT1_PNSt15iterator_traitsISH_E10value_typeET2_T3_PNSI_ISN_E10value_typeET4_jRbjT5_ST_jjP12ihipStream_tbEUlT_E2_NS1_11comp_targetILNS1_3genE3ELNS1_11target_archE908ELNS1_3gpuE7ELNS1_3repE0EEENS1_30default_config_static_selectorELNS0_4arch9wavefront6targetE0EEEvSH_.kd
    .uniform_work_group_size: 1
    .uses_dynamic_stack: false
    .vgpr_count:     0
    .vgpr_spill_count: 0
    .wavefront_size: 32
    .workgroup_processor_mode: 1
  - .args:
      - .offset:         0
        .size:           80
        .value_kind:     by_value
    .group_segment_fixed_size: 0
    .kernarg_segment_align: 8
    .kernarg_segment_size: 80
    .language:       OpenCL C
    .language_version:
      - 2
      - 0
    .max_flat_workgroup_size: 256
    .name:           _ZN7rocprim17ROCPRIM_400000_NS6detail17trampoline_kernelINS0_14default_configENS1_36segmented_radix_sort_config_selectorIllEEZNS1_25segmented_radix_sort_implIS3_Lb1EPKlPlS8_S9_N2at6native12_GLOBAL__N_18offset_tEEE10hipError_tPvRmT1_PNSt15iterator_traitsISH_E10value_typeET2_T3_PNSI_ISN_E10value_typeET4_jRbjT5_ST_jjP12ihipStream_tbEUlT_E2_NS1_11comp_targetILNS1_3genE2ELNS1_11target_archE906ELNS1_3gpuE6ELNS1_3repE0EEENS1_30default_config_static_selectorELNS0_4arch9wavefront6targetE0EEEvSH_
    .private_segment_fixed_size: 0
    .sgpr_count:     0
    .sgpr_spill_count: 0
    .symbol:         _ZN7rocprim17ROCPRIM_400000_NS6detail17trampoline_kernelINS0_14default_configENS1_36segmented_radix_sort_config_selectorIllEEZNS1_25segmented_radix_sort_implIS3_Lb1EPKlPlS8_S9_N2at6native12_GLOBAL__N_18offset_tEEE10hipError_tPvRmT1_PNSt15iterator_traitsISH_E10value_typeET2_T3_PNSI_ISN_E10value_typeET4_jRbjT5_ST_jjP12ihipStream_tbEUlT_E2_NS1_11comp_targetILNS1_3genE2ELNS1_11target_archE906ELNS1_3gpuE6ELNS1_3repE0EEENS1_30default_config_static_selectorELNS0_4arch9wavefront6targetE0EEEvSH_.kd
    .uniform_work_group_size: 1
    .uses_dynamic_stack: false
    .vgpr_count:     0
    .vgpr_spill_count: 0
    .wavefront_size: 32
    .workgroup_processor_mode: 1
  - .args:
      - .offset:         0
        .size:           80
        .value_kind:     by_value
      - .offset:         80
        .size:           4
        .value_kind:     hidden_block_count_x
      - .offset:         84
        .size:           4
        .value_kind:     hidden_block_count_y
      - .offset:         88
        .size:           4
        .value_kind:     hidden_block_count_z
      - .offset:         92
        .size:           2
        .value_kind:     hidden_group_size_x
      - .offset:         94
        .size:           2
        .value_kind:     hidden_group_size_y
      - .offset:         96
        .size:           2
        .value_kind:     hidden_group_size_z
      - .offset:         98
        .size:           2
        .value_kind:     hidden_remainder_x
      - .offset:         100
        .size:           2
        .value_kind:     hidden_remainder_y
      - .offset:         102
        .size:           2
        .value_kind:     hidden_remainder_z
      - .offset:         120
        .size:           8
        .value_kind:     hidden_global_offset_x
      - .offset:         128
        .size:           8
        .value_kind:     hidden_global_offset_y
      - .offset:         136
        .size:           8
        .value_kind:     hidden_global_offset_z
      - .offset:         144
        .size:           2
        .value_kind:     hidden_grid_dims
    .group_segment_fixed_size: 33824
    .kernarg_segment_align: 8
    .kernarg_segment_size: 336
    .language:       OpenCL C
    .language_version:
      - 2
      - 0
    .max_flat_workgroup_size: 256
    .name:           _ZN7rocprim17ROCPRIM_400000_NS6detail17trampoline_kernelINS0_14default_configENS1_36segmented_radix_sort_config_selectorIllEEZNS1_25segmented_radix_sort_implIS3_Lb1EPKlPlS8_S9_N2at6native12_GLOBAL__N_18offset_tEEE10hipError_tPvRmT1_PNSt15iterator_traitsISH_E10value_typeET2_T3_PNSI_ISN_E10value_typeET4_jRbjT5_ST_jjP12ihipStream_tbEUlT_E2_NS1_11comp_targetILNS1_3genE10ELNS1_11target_archE1201ELNS1_3gpuE5ELNS1_3repE0EEENS1_30default_config_static_selectorELNS0_4arch9wavefront6targetE0EEEvSH_
    .private_segment_fixed_size: 176
    .sgpr_count:     62
    .sgpr_spill_count: 0
    .symbol:         _ZN7rocprim17ROCPRIM_400000_NS6detail17trampoline_kernelINS0_14default_configENS1_36segmented_radix_sort_config_selectorIllEEZNS1_25segmented_radix_sort_implIS3_Lb1EPKlPlS8_S9_N2at6native12_GLOBAL__N_18offset_tEEE10hipError_tPvRmT1_PNSt15iterator_traitsISH_E10value_typeET2_T3_PNSI_ISN_E10value_typeET4_jRbjT5_ST_jjP12ihipStream_tbEUlT_E2_NS1_11comp_targetILNS1_3genE10ELNS1_11target_archE1201ELNS1_3gpuE5ELNS1_3repE0EEENS1_30default_config_static_selectorELNS0_4arch9wavefront6targetE0EEEvSH_.kd
    .uniform_work_group_size: 1
    .uses_dynamic_stack: false
    .vgpr_count:     248
    .vgpr_spill_count: 0
    .wavefront_size: 32
    .workgroup_processor_mode: 1
  - .args:
      - .offset:         0
        .size:           80
        .value_kind:     by_value
    .group_segment_fixed_size: 0
    .kernarg_segment_align: 8
    .kernarg_segment_size: 80
    .language:       OpenCL C
    .language_version:
      - 2
      - 0
    .max_flat_workgroup_size: 128
    .name:           _ZN7rocprim17ROCPRIM_400000_NS6detail17trampoline_kernelINS0_14default_configENS1_36segmented_radix_sort_config_selectorIllEEZNS1_25segmented_radix_sort_implIS3_Lb1EPKlPlS8_S9_N2at6native12_GLOBAL__N_18offset_tEEE10hipError_tPvRmT1_PNSt15iterator_traitsISH_E10value_typeET2_T3_PNSI_ISN_E10value_typeET4_jRbjT5_ST_jjP12ihipStream_tbEUlT_E2_NS1_11comp_targetILNS1_3genE10ELNS1_11target_archE1200ELNS1_3gpuE4ELNS1_3repE0EEENS1_30default_config_static_selectorELNS0_4arch9wavefront6targetE0EEEvSH_
    .private_segment_fixed_size: 0
    .sgpr_count:     0
    .sgpr_spill_count: 0
    .symbol:         _ZN7rocprim17ROCPRIM_400000_NS6detail17trampoline_kernelINS0_14default_configENS1_36segmented_radix_sort_config_selectorIllEEZNS1_25segmented_radix_sort_implIS3_Lb1EPKlPlS8_S9_N2at6native12_GLOBAL__N_18offset_tEEE10hipError_tPvRmT1_PNSt15iterator_traitsISH_E10value_typeET2_T3_PNSI_ISN_E10value_typeET4_jRbjT5_ST_jjP12ihipStream_tbEUlT_E2_NS1_11comp_targetILNS1_3genE10ELNS1_11target_archE1200ELNS1_3gpuE4ELNS1_3repE0EEENS1_30default_config_static_selectorELNS0_4arch9wavefront6targetE0EEEvSH_.kd
    .uniform_work_group_size: 1
    .uses_dynamic_stack: false
    .vgpr_count:     0
    .vgpr_spill_count: 0
    .wavefront_size: 32
    .workgroup_processor_mode: 1
  - .args:
      - .offset:         0
        .size:           80
        .value_kind:     by_value
    .group_segment_fixed_size: 0
    .kernarg_segment_align: 8
    .kernarg_segment_size: 80
    .language:       OpenCL C
    .language_version:
      - 2
      - 0
    .max_flat_workgroup_size: 256
    .name:           _ZN7rocprim17ROCPRIM_400000_NS6detail17trampoline_kernelINS0_14default_configENS1_36segmented_radix_sort_config_selectorIllEEZNS1_25segmented_radix_sort_implIS3_Lb1EPKlPlS8_S9_N2at6native12_GLOBAL__N_18offset_tEEE10hipError_tPvRmT1_PNSt15iterator_traitsISH_E10value_typeET2_T3_PNSI_ISN_E10value_typeET4_jRbjT5_ST_jjP12ihipStream_tbEUlT_E2_NS1_11comp_targetILNS1_3genE9ELNS1_11target_archE1100ELNS1_3gpuE3ELNS1_3repE0EEENS1_30default_config_static_selectorELNS0_4arch9wavefront6targetE0EEEvSH_
    .private_segment_fixed_size: 0
    .sgpr_count:     0
    .sgpr_spill_count: 0
    .symbol:         _ZN7rocprim17ROCPRIM_400000_NS6detail17trampoline_kernelINS0_14default_configENS1_36segmented_radix_sort_config_selectorIllEEZNS1_25segmented_radix_sort_implIS3_Lb1EPKlPlS8_S9_N2at6native12_GLOBAL__N_18offset_tEEE10hipError_tPvRmT1_PNSt15iterator_traitsISH_E10value_typeET2_T3_PNSI_ISN_E10value_typeET4_jRbjT5_ST_jjP12ihipStream_tbEUlT_E2_NS1_11comp_targetILNS1_3genE9ELNS1_11target_archE1100ELNS1_3gpuE3ELNS1_3repE0EEENS1_30default_config_static_selectorELNS0_4arch9wavefront6targetE0EEEvSH_.kd
    .uniform_work_group_size: 1
    .uses_dynamic_stack: false
    .vgpr_count:     0
    .vgpr_spill_count: 0
    .wavefront_size: 32
    .workgroup_processor_mode: 1
  - .args:
      - .offset:         0
        .size:           80
        .value_kind:     by_value
    .group_segment_fixed_size: 0
    .kernarg_segment_align: 8
    .kernarg_segment_size: 80
    .language:       OpenCL C
    .language_version:
      - 2
      - 0
    .max_flat_workgroup_size: 256
    .name:           _ZN7rocprim17ROCPRIM_400000_NS6detail17trampoline_kernelINS0_14default_configENS1_36segmented_radix_sort_config_selectorIllEEZNS1_25segmented_radix_sort_implIS3_Lb1EPKlPlS8_S9_N2at6native12_GLOBAL__N_18offset_tEEE10hipError_tPvRmT1_PNSt15iterator_traitsISH_E10value_typeET2_T3_PNSI_ISN_E10value_typeET4_jRbjT5_ST_jjP12ihipStream_tbEUlT_E2_NS1_11comp_targetILNS1_3genE8ELNS1_11target_archE1030ELNS1_3gpuE2ELNS1_3repE0EEENS1_30default_config_static_selectorELNS0_4arch9wavefront6targetE0EEEvSH_
    .private_segment_fixed_size: 0
    .sgpr_count:     0
    .sgpr_spill_count: 0
    .symbol:         _ZN7rocprim17ROCPRIM_400000_NS6detail17trampoline_kernelINS0_14default_configENS1_36segmented_radix_sort_config_selectorIllEEZNS1_25segmented_radix_sort_implIS3_Lb1EPKlPlS8_S9_N2at6native12_GLOBAL__N_18offset_tEEE10hipError_tPvRmT1_PNSt15iterator_traitsISH_E10value_typeET2_T3_PNSI_ISN_E10value_typeET4_jRbjT5_ST_jjP12ihipStream_tbEUlT_E2_NS1_11comp_targetILNS1_3genE8ELNS1_11target_archE1030ELNS1_3gpuE2ELNS1_3repE0EEENS1_30default_config_static_selectorELNS0_4arch9wavefront6targetE0EEEvSH_.kd
    .uniform_work_group_size: 1
    .uses_dynamic_stack: false
    .vgpr_count:     0
    .vgpr_spill_count: 0
    .wavefront_size: 32
    .workgroup_processor_mode: 1
  - .args:
      - .offset:         0
        .size:           176
        .value_kind:     by_value
    .group_segment_fixed_size: 0
    .kernarg_segment_align: 8
    .kernarg_segment_size: 176
    .language:       OpenCL C
    .language_version:
      - 2
      - 0
    .max_flat_workgroup_size: 256
    .name:           _ZN7rocprim17ROCPRIM_400000_NS6detail17trampoline_kernelINS0_13select_configILj256ELj13ELNS0_17block_load_methodE3ELS4_3ELS4_3ELNS0_20block_scan_algorithmE0ELj4294967295EEENS1_25partition_config_selectorILNS1_17partition_subalgoE4EjNS0_10empty_typeEbEEZZNS1_14partition_implILS8_4ELb0ES6_15HIP_vector_typeIjLj2EENS0_17counting_iteratorIjlEEPS9_SG_NS0_5tupleIJPjSI_NS0_16reverse_iteratorISI_EEEEENSH_IJSG_SG_SG_EEES9_SI_JZNS1_25segmented_radix_sort_implINS0_14default_configELb0EPKlPlSQ_SR_N2at6native12_GLOBAL__N_18offset_tEEE10hipError_tPvRmT1_PNSt15iterator_traitsISZ_E10value_typeET2_T3_PNS10_IS15_E10value_typeET4_jRbjT5_S1B_jjP12ihipStream_tbEUljE_ZNSN_ISO_Lb0ESQ_SR_SQ_SR_SV_EESW_SX_SY_SZ_S13_S14_S15_S18_S19_jS1A_jS1B_S1B_jjS1D_bEUljE0_EEESW_SX_SY_S15_S19_S1B_T6_T7_T9_mT8_S1D_bDpT10_ENKUlT_T0_E_clISt17integral_constantIbLb0EES1R_EEDaS1M_S1N_EUlS1M_E_NS1_11comp_targetILNS1_3genE0ELNS1_11target_archE4294967295ELNS1_3gpuE0ELNS1_3repE0EEENS1_30default_config_static_selectorELNS0_4arch9wavefront6targetE0EEEvSZ_
    .private_segment_fixed_size: 0
    .sgpr_count:     0
    .sgpr_spill_count: 0
    .symbol:         _ZN7rocprim17ROCPRIM_400000_NS6detail17trampoline_kernelINS0_13select_configILj256ELj13ELNS0_17block_load_methodE3ELS4_3ELS4_3ELNS0_20block_scan_algorithmE0ELj4294967295EEENS1_25partition_config_selectorILNS1_17partition_subalgoE4EjNS0_10empty_typeEbEEZZNS1_14partition_implILS8_4ELb0ES6_15HIP_vector_typeIjLj2EENS0_17counting_iteratorIjlEEPS9_SG_NS0_5tupleIJPjSI_NS0_16reverse_iteratorISI_EEEEENSH_IJSG_SG_SG_EEES9_SI_JZNS1_25segmented_radix_sort_implINS0_14default_configELb0EPKlPlSQ_SR_N2at6native12_GLOBAL__N_18offset_tEEE10hipError_tPvRmT1_PNSt15iterator_traitsISZ_E10value_typeET2_T3_PNS10_IS15_E10value_typeET4_jRbjT5_S1B_jjP12ihipStream_tbEUljE_ZNSN_ISO_Lb0ESQ_SR_SQ_SR_SV_EESW_SX_SY_SZ_S13_S14_S15_S18_S19_jS1A_jS1B_S1B_jjS1D_bEUljE0_EEESW_SX_SY_S15_S19_S1B_T6_T7_T9_mT8_S1D_bDpT10_ENKUlT_T0_E_clISt17integral_constantIbLb0EES1R_EEDaS1M_S1N_EUlS1M_E_NS1_11comp_targetILNS1_3genE0ELNS1_11target_archE4294967295ELNS1_3gpuE0ELNS1_3repE0EEENS1_30default_config_static_selectorELNS0_4arch9wavefront6targetE0EEEvSZ_.kd
    .uniform_work_group_size: 1
    .uses_dynamic_stack: false
    .vgpr_count:     0
    .vgpr_spill_count: 0
    .wavefront_size: 32
    .workgroup_processor_mode: 1
  - .args:
      - .offset:         0
        .size:           176
        .value_kind:     by_value
    .group_segment_fixed_size: 0
    .kernarg_segment_align: 8
    .kernarg_segment_size: 176
    .language:       OpenCL C
    .language_version:
      - 2
      - 0
    .max_flat_workgroup_size: 256
    .name:           _ZN7rocprim17ROCPRIM_400000_NS6detail17trampoline_kernelINS0_13select_configILj256ELj13ELNS0_17block_load_methodE3ELS4_3ELS4_3ELNS0_20block_scan_algorithmE0ELj4294967295EEENS1_25partition_config_selectorILNS1_17partition_subalgoE4EjNS0_10empty_typeEbEEZZNS1_14partition_implILS8_4ELb0ES6_15HIP_vector_typeIjLj2EENS0_17counting_iteratorIjlEEPS9_SG_NS0_5tupleIJPjSI_NS0_16reverse_iteratorISI_EEEEENSH_IJSG_SG_SG_EEES9_SI_JZNS1_25segmented_radix_sort_implINS0_14default_configELb0EPKlPlSQ_SR_N2at6native12_GLOBAL__N_18offset_tEEE10hipError_tPvRmT1_PNSt15iterator_traitsISZ_E10value_typeET2_T3_PNS10_IS15_E10value_typeET4_jRbjT5_S1B_jjP12ihipStream_tbEUljE_ZNSN_ISO_Lb0ESQ_SR_SQ_SR_SV_EESW_SX_SY_SZ_S13_S14_S15_S18_S19_jS1A_jS1B_S1B_jjS1D_bEUljE0_EEESW_SX_SY_S15_S19_S1B_T6_T7_T9_mT8_S1D_bDpT10_ENKUlT_T0_E_clISt17integral_constantIbLb0EES1R_EEDaS1M_S1N_EUlS1M_E_NS1_11comp_targetILNS1_3genE5ELNS1_11target_archE942ELNS1_3gpuE9ELNS1_3repE0EEENS1_30default_config_static_selectorELNS0_4arch9wavefront6targetE0EEEvSZ_
    .private_segment_fixed_size: 0
    .sgpr_count:     0
    .sgpr_spill_count: 0
    .symbol:         _ZN7rocprim17ROCPRIM_400000_NS6detail17trampoline_kernelINS0_13select_configILj256ELj13ELNS0_17block_load_methodE3ELS4_3ELS4_3ELNS0_20block_scan_algorithmE0ELj4294967295EEENS1_25partition_config_selectorILNS1_17partition_subalgoE4EjNS0_10empty_typeEbEEZZNS1_14partition_implILS8_4ELb0ES6_15HIP_vector_typeIjLj2EENS0_17counting_iteratorIjlEEPS9_SG_NS0_5tupleIJPjSI_NS0_16reverse_iteratorISI_EEEEENSH_IJSG_SG_SG_EEES9_SI_JZNS1_25segmented_radix_sort_implINS0_14default_configELb0EPKlPlSQ_SR_N2at6native12_GLOBAL__N_18offset_tEEE10hipError_tPvRmT1_PNSt15iterator_traitsISZ_E10value_typeET2_T3_PNS10_IS15_E10value_typeET4_jRbjT5_S1B_jjP12ihipStream_tbEUljE_ZNSN_ISO_Lb0ESQ_SR_SQ_SR_SV_EESW_SX_SY_SZ_S13_S14_S15_S18_S19_jS1A_jS1B_S1B_jjS1D_bEUljE0_EEESW_SX_SY_S15_S19_S1B_T6_T7_T9_mT8_S1D_bDpT10_ENKUlT_T0_E_clISt17integral_constantIbLb0EES1R_EEDaS1M_S1N_EUlS1M_E_NS1_11comp_targetILNS1_3genE5ELNS1_11target_archE942ELNS1_3gpuE9ELNS1_3repE0EEENS1_30default_config_static_selectorELNS0_4arch9wavefront6targetE0EEEvSZ_.kd
    .uniform_work_group_size: 1
    .uses_dynamic_stack: false
    .vgpr_count:     0
    .vgpr_spill_count: 0
    .wavefront_size: 32
    .workgroup_processor_mode: 1
  - .args:
      - .offset:         0
        .size:           176
        .value_kind:     by_value
    .group_segment_fixed_size: 0
    .kernarg_segment_align: 8
    .kernarg_segment_size: 176
    .language:       OpenCL C
    .language_version:
      - 2
      - 0
    .max_flat_workgroup_size: 256
    .name:           _ZN7rocprim17ROCPRIM_400000_NS6detail17trampoline_kernelINS0_13select_configILj256ELj13ELNS0_17block_load_methodE3ELS4_3ELS4_3ELNS0_20block_scan_algorithmE0ELj4294967295EEENS1_25partition_config_selectorILNS1_17partition_subalgoE4EjNS0_10empty_typeEbEEZZNS1_14partition_implILS8_4ELb0ES6_15HIP_vector_typeIjLj2EENS0_17counting_iteratorIjlEEPS9_SG_NS0_5tupleIJPjSI_NS0_16reverse_iteratorISI_EEEEENSH_IJSG_SG_SG_EEES9_SI_JZNS1_25segmented_radix_sort_implINS0_14default_configELb0EPKlPlSQ_SR_N2at6native12_GLOBAL__N_18offset_tEEE10hipError_tPvRmT1_PNSt15iterator_traitsISZ_E10value_typeET2_T3_PNS10_IS15_E10value_typeET4_jRbjT5_S1B_jjP12ihipStream_tbEUljE_ZNSN_ISO_Lb0ESQ_SR_SQ_SR_SV_EESW_SX_SY_SZ_S13_S14_S15_S18_S19_jS1A_jS1B_S1B_jjS1D_bEUljE0_EEESW_SX_SY_S15_S19_S1B_T6_T7_T9_mT8_S1D_bDpT10_ENKUlT_T0_E_clISt17integral_constantIbLb0EES1R_EEDaS1M_S1N_EUlS1M_E_NS1_11comp_targetILNS1_3genE4ELNS1_11target_archE910ELNS1_3gpuE8ELNS1_3repE0EEENS1_30default_config_static_selectorELNS0_4arch9wavefront6targetE0EEEvSZ_
    .private_segment_fixed_size: 0
    .sgpr_count:     0
    .sgpr_spill_count: 0
    .symbol:         _ZN7rocprim17ROCPRIM_400000_NS6detail17trampoline_kernelINS0_13select_configILj256ELj13ELNS0_17block_load_methodE3ELS4_3ELS4_3ELNS0_20block_scan_algorithmE0ELj4294967295EEENS1_25partition_config_selectorILNS1_17partition_subalgoE4EjNS0_10empty_typeEbEEZZNS1_14partition_implILS8_4ELb0ES6_15HIP_vector_typeIjLj2EENS0_17counting_iteratorIjlEEPS9_SG_NS0_5tupleIJPjSI_NS0_16reverse_iteratorISI_EEEEENSH_IJSG_SG_SG_EEES9_SI_JZNS1_25segmented_radix_sort_implINS0_14default_configELb0EPKlPlSQ_SR_N2at6native12_GLOBAL__N_18offset_tEEE10hipError_tPvRmT1_PNSt15iterator_traitsISZ_E10value_typeET2_T3_PNS10_IS15_E10value_typeET4_jRbjT5_S1B_jjP12ihipStream_tbEUljE_ZNSN_ISO_Lb0ESQ_SR_SQ_SR_SV_EESW_SX_SY_SZ_S13_S14_S15_S18_S19_jS1A_jS1B_S1B_jjS1D_bEUljE0_EEESW_SX_SY_S15_S19_S1B_T6_T7_T9_mT8_S1D_bDpT10_ENKUlT_T0_E_clISt17integral_constantIbLb0EES1R_EEDaS1M_S1N_EUlS1M_E_NS1_11comp_targetILNS1_3genE4ELNS1_11target_archE910ELNS1_3gpuE8ELNS1_3repE0EEENS1_30default_config_static_selectorELNS0_4arch9wavefront6targetE0EEEvSZ_.kd
    .uniform_work_group_size: 1
    .uses_dynamic_stack: false
    .vgpr_count:     0
    .vgpr_spill_count: 0
    .wavefront_size: 32
    .workgroup_processor_mode: 1
  - .args:
      - .offset:         0
        .size:           176
        .value_kind:     by_value
    .group_segment_fixed_size: 0
    .kernarg_segment_align: 8
    .kernarg_segment_size: 176
    .language:       OpenCL C
    .language_version:
      - 2
      - 0
    .max_flat_workgroup_size: 256
    .name:           _ZN7rocprim17ROCPRIM_400000_NS6detail17trampoline_kernelINS0_13select_configILj256ELj13ELNS0_17block_load_methodE3ELS4_3ELS4_3ELNS0_20block_scan_algorithmE0ELj4294967295EEENS1_25partition_config_selectorILNS1_17partition_subalgoE4EjNS0_10empty_typeEbEEZZNS1_14partition_implILS8_4ELb0ES6_15HIP_vector_typeIjLj2EENS0_17counting_iteratorIjlEEPS9_SG_NS0_5tupleIJPjSI_NS0_16reverse_iteratorISI_EEEEENSH_IJSG_SG_SG_EEES9_SI_JZNS1_25segmented_radix_sort_implINS0_14default_configELb0EPKlPlSQ_SR_N2at6native12_GLOBAL__N_18offset_tEEE10hipError_tPvRmT1_PNSt15iterator_traitsISZ_E10value_typeET2_T3_PNS10_IS15_E10value_typeET4_jRbjT5_S1B_jjP12ihipStream_tbEUljE_ZNSN_ISO_Lb0ESQ_SR_SQ_SR_SV_EESW_SX_SY_SZ_S13_S14_S15_S18_S19_jS1A_jS1B_S1B_jjS1D_bEUljE0_EEESW_SX_SY_S15_S19_S1B_T6_T7_T9_mT8_S1D_bDpT10_ENKUlT_T0_E_clISt17integral_constantIbLb0EES1R_EEDaS1M_S1N_EUlS1M_E_NS1_11comp_targetILNS1_3genE3ELNS1_11target_archE908ELNS1_3gpuE7ELNS1_3repE0EEENS1_30default_config_static_selectorELNS0_4arch9wavefront6targetE0EEEvSZ_
    .private_segment_fixed_size: 0
    .sgpr_count:     0
    .sgpr_spill_count: 0
    .symbol:         _ZN7rocprim17ROCPRIM_400000_NS6detail17trampoline_kernelINS0_13select_configILj256ELj13ELNS0_17block_load_methodE3ELS4_3ELS4_3ELNS0_20block_scan_algorithmE0ELj4294967295EEENS1_25partition_config_selectorILNS1_17partition_subalgoE4EjNS0_10empty_typeEbEEZZNS1_14partition_implILS8_4ELb0ES6_15HIP_vector_typeIjLj2EENS0_17counting_iteratorIjlEEPS9_SG_NS0_5tupleIJPjSI_NS0_16reverse_iteratorISI_EEEEENSH_IJSG_SG_SG_EEES9_SI_JZNS1_25segmented_radix_sort_implINS0_14default_configELb0EPKlPlSQ_SR_N2at6native12_GLOBAL__N_18offset_tEEE10hipError_tPvRmT1_PNSt15iterator_traitsISZ_E10value_typeET2_T3_PNS10_IS15_E10value_typeET4_jRbjT5_S1B_jjP12ihipStream_tbEUljE_ZNSN_ISO_Lb0ESQ_SR_SQ_SR_SV_EESW_SX_SY_SZ_S13_S14_S15_S18_S19_jS1A_jS1B_S1B_jjS1D_bEUljE0_EEESW_SX_SY_S15_S19_S1B_T6_T7_T9_mT8_S1D_bDpT10_ENKUlT_T0_E_clISt17integral_constantIbLb0EES1R_EEDaS1M_S1N_EUlS1M_E_NS1_11comp_targetILNS1_3genE3ELNS1_11target_archE908ELNS1_3gpuE7ELNS1_3repE0EEENS1_30default_config_static_selectorELNS0_4arch9wavefront6targetE0EEEvSZ_.kd
    .uniform_work_group_size: 1
    .uses_dynamic_stack: false
    .vgpr_count:     0
    .vgpr_spill_count: 0
    .wavefront_size: 32
    .workgroup_processor_mode: 1
  - .args:
      - .offset:         0
        .size:           176
        .value_kind:     by_value
    .group_segment_fixed_size: 0
    .kernarg_segment_align: 8
    .kernarg_segment_size: 176
    .language:       OpenCL C
    .language_version:
      - 2
      - 0
    .max_flat_workgroup_size: 256
    .name:           _ZN7rocprim17ROCPRIM_400000_NS6detail17trampoline_kernelINS0_13select_configILj256ELj13ELNS0_17block_load_methodE3ELS4_3ELS4_3ELNS0_20block_scan_algorithmE0ELj4294967295EEENS1_25partition_config_selectorILNS1_17partition_subalgoE4EjNS0_10empty_typeEbEEZZNS1_14partition_implILS8_4ELb0ES6_15HIP_vector_typeIjLj2EENS0_17counting_iteratorIjlEEPS9_SG_NS0_5tupleIJPjSI_NS0_16reverse_iteratorISI_EEEEENSH_IJSG_SG_SG_EEES9_SI_JZNS1_25segmented_radix_sort_implINS0_14default_configELb0EPKlPlSQ_SR_N2at6native12_GLOBAL__N_18offset_tEEE10hipError_tPvRmT1_PNSt15iterator_traitsISZ_E10value_typeET2_T3_PNS10_IS15_E10value_typeET4_jRbjT5_S1B_jjP12ihipStream_tbEUljE_ZNSN_ISO_Lb0ESQ_SR_SQ_SR_SV_EESW_SX_SY_SZ_S13_S14_S15_S18_S19_jS1A_jS1B_S1B_jjS1D_bEUljE0_EEESW_SX_SY_S15_S19_S1B_T6_T7_T9_mT8_S1D_bDpT10_ENKUlT_T0_E_clISt17integral_constantIbLb0EES1R_EEDaS1M_S1N_EUlS1M_E_NS1_11comp_targetILNS1_3genE2ELNS1_11target_archE906ELNS1_3gpuE6ELNS1_3repE0EEENS1_30default_config_static_selectorELNS0_4arch9wavefront6targetE0EEEvSZ_
    .private_segment_fixed_size: 0
    .sgpr_count:     0
    .sgpr_spill_count: 0
    .symbol:         _ZN7rocprim17ROCPRIM_400000_NS6detail17trampoline_kernelINS0_13select_configILj256ELj13ELNS0_17block_load_methodE3ELS4_3ELS4_3ELNS0_20block_scan_algorithmE0ELj4294967295EEENS1_25partition_config_selectorILNS1_17partition_subalgoE4EjNS0_10empty_typeEbEEZZNS1_14partition_implILS8_4ELb0ES6_15HIP_vector_typeIjLj2EENS0_17counting_iteratorIjlEEPS9_SG_NS0_5tupleIJPjSI_NS0_16reverse_iteratorISI_EEEEENSH_IJSG_SG_SG_EEES9_SI_JZNS1_25segmented_radix_sort_implINS0_14default_configELb0EPKlPlSQ_SR_N2at6native12_GLOBAL__N_18offset_tEEE10hipError_tPvRmT1_PNSt15iterator_traitsISZ_E10value_typeET2_T3_PNS10_IS15_E10value_typeET4_jRbjT5_S1B_jjP12ihipStream_tbEUljE_ZNSN_ISO_Lb0ESQ_SR_SQ_SR_SV_EESW_SX_SY_SZ_S13_S14_S15_S18_S19_jS1A_jS1B_S1B_jjS1D_bEUljE0_EEESW_SX_SY_S15_S19_S1B_T6_T7_T9_mT8_S1D_bDpT10_ENKUlT_T0_E_clISt17integral_constantIbLb0EES1R_EEDaS1M_S1N_EUlS1M_E_NS1_11comp_targetILNS1_3genE2ELNS1_11target_archE906ELNS1_3gpuE6ELNS1_3repE0EEENS1_30default_config_static_selectorELNS0_4arch9wavefront6targetE0EEEvSZ_.kd
    .uniform_work_group_size: 1
    .uses_dynamic_stack: false
    .vgpr_count:     0
    .vgpr_spill_count: 0
    .wavefront_size: 32
    .workgroup_processor_mode: 1
  - .args:
      - .offset:         0
        .size:           176
        .value_kind:     by_value
    .group_segment_fixed_size: 13328
    .kernarg_segment_align: 8
    .kernarg_segment_size: 176
    .language:       OpenCL C
    .language_version:
      - 2
      - 0
    .max_flat_workgroup_size: 256
    .name:           _ZN7rocprim17ROCPRIM_400000_NS6detail17trampoline_kernelINS0_13select_configILj256ELj13ELNS0_17block_load_methodE3ELS4_3ELS4_3ELNS0_20block_scan_algorithmE0ELj4294967295EEENS1_25partition_config_selectorILNS1_17partition_subalgoE4EjNS0_10empty_typeEbEEZZNS1_14partition_implILS8_4ELb0ES6_15HIP_vector_typeIjLj2EENS0_17counting_iteratorIjlEEPS9_SG_NS0_5tupleIJPjSI_NS0_16reverse_iteratorISI_EEEEENSH_IJSG_SG_SG_EEES9_SI_JZNS1_25segmented_radix_sort_implINS0_14default_configELb0EPKlPlSQ_SR_N2at6native12_GLOBAL__N_18offset_tEEE10hipError_tPvRmT1_PNSt15iterator_traitsISZ_E10value_typeET2_T3_PNS10_IS15_E10value_typeET4_jRbjT5_S1B_jjP12ihipStream_tbEUljE_ZNSN_ISO_Lb0ESQ_SR_SQ_SR_SV_EESW_SX_SY_SZ_S13_S14_S15_S18_S19_jS1A_jS1B_S1B_jjS1D_bEUljE0_EEESW_SX_SY_S15_S19_S1B_T6_T7_T9_mT8_S1D_bDpT10_ENKUlT_T0_E_clISt17integral_constantIbLb0EES1R_EEDaS1M_S1N_EUlS1M_E_NS1_11comp_targetILNS1_3genE10ELNS1_11target_archE1200ELNS1_3gpuE4ELNS1_3repE0EEENS1_30default_config_static_selectorELNS0_4arch9wavefront6targetE0EEEvSZ_
    .private_segment_fixed_size: 0
    .sgpr_count:     60
    .sgpr_spill_count: 0
    .symbol:         _ZN7rocprim17ROCPRIM_400000_NS6detail17trampoline_kernelINS0_13select_configILj256ELj13ELNS0_17block_load_methodE3ELS4_3ELS4_3ELNS0_20block_scan_algorithmE0ELj4294967295EEENS1_25partition_config_selectorILNS1_17partition_subalgoE4EjNS0_10empty_typeEbEEZZNS1_14partition_implILS8_4ELb0ES6_15HIP_vector_typeIjLj2EENS0_17counting_iteratorIjlEEPS9_SG_NS0_5tupleIJPjSI_NS0_16reverse_iteratorISI_EEEEENSH_IJSG_SG_SG_EEES9_SI_JZNS1_25segmented_radix_sort_implINS0_14default_configELb0EPKlPlSQ_SR_N2at6native12_GLOBAL__N_18offset_tEEE10hipError_tPvRmT1_PNSt15iterator_traitsISZ_E10value_typeET2_T3_PNS10_IS15_E10value_typeET4_jRbjT5_S1B_jjP12ihipStream_tbEUljE_ZNSN_ISO_Lb0ESQ_SR_SQ_SR_SV_EESW_SX_SY_SZ_S13_S14_S15_S18_S19_jS1A_jS1B_S1B_jjS1D_bEUljE0_EEESW_SX_SY_S15_S19_S1B_T6_T7_T9_mT8_S1D_bDpT10_ENKUlT_T0_E_clISt17integral_constantIbLb0EES1R_EEDaS1M_S1N_EUlS1M_E_NS1_11comp_targetILNS1_3genE10ELNS1_11target_archE1200ELNS1_3gpuE4ELNS1_3repE0EEENS1_30default_config_static_selectorELNS0_4arch9wavefront6targetE0EEEvSZ_.kd
    .uniform_work_group_size: 1
    .uses_dynamic_stack: false
    .vgpr_count:     93
    .vgpr_spill_count: 0
    .wavefront_size: 32
    .workgroup_processor_mode: 1
  - .args:
      - .offset:         0
        .size:           176
        .value_kind:     by_value
    .group_segment_fixed_size: 0
    .kernarg_segment_align: 8
    .kernarg_segment_size: 176
    .language:       OpenCL C
    .language_version:
      - 2
      - 0
    .max_flat_workgroup_size: 256
    .name:           _ZN7rocprim17ROCPRIM_400000_NS6detail17trampoline_kernelINS0_13select_configILj256ELj13ELNS0_17block_load_methodE3ELS4_3ELS4_3ELNS0_20block_scan_algorithmE0ELj4294967295EEENS1_25partition_config_selectorILNS1_17partition_subalgoE4EjNS0_10empty_typeEbEEZZNS1_14partition_implILS8_4ELb0ES6_15HIP_vector_typeIjLj2EENS0_17counting_iteratorIjlEEPS9_SG_NS0_5tupleIJPjSI_NS0_16reverse_iteratorISI_EEEEENSH_IJSG_SG_SG_EEES9_SI_JZNS1_25segmented_radix_sort_implINS0_14default_configELb0EPKlPlSQ_SR_N2at6native12_GLOBAL__N_18offset_tEEE10hipError_tPvRmT1_PNSt15iterator_traitsISZ_E10value_typeET2_T3_PNS10_IS15_E10value_typeET4_jRbjT5_S1B_jjP12ihipStream_tbEUljE_ZNSN_ISO_Lb0ESQ_SR_SQ_SR_SV_EESW_SX_SY_SZ_S13_S14_S15_S18_S19_jS1A_jS1B_S1B_jjS1D_bEUljE0_EEESW_SX_SY_S15_S19_S1B_T6_T7_T9_mT8_S1D_bDpT10_ENKUlT_T0_E_clISt17integral_constantIbLb0EES1R_EEDaS1M_S1N_EUlS1M_E_NS1_11comp_targetILNS1_3genE9ELNS1_11target_archE1100ELNS1_3gpuE3ELNS1_3repE0EEENS1_30default_config_static_selectorELNS0_4arch9wavefront6targetE0EEEvSZ_
    .private_segment_fixed_size: 0
    .sgpr_count:     0
    .sgpr_spill_count: 0
    .symbol:         _ZN7rocprim17ROCPRIM_400000_NS6detail17trampoline_kernelINS0_13select_configILj256ELj13ELNS0_17block_load_methodE3ELS4_3ELS4_3ELNS0_20block_scan_algorithmE0ELj4294967295EEENS1_25partition_config_selectorILNS1_17partition_subalgoE4EjNS0_10empty_typeEbEEZZNS1_14partition_implILS8_4ELb0ES6_15HIP_vector_typeIjLj2EENS0_17counting_iteratorIjlEEPS9_SG_NS0_5tupleIJPjSI_NS0_16reverse_iteratorISI_EEEEENSH_IJSG_SG_SG_EEES9_SI_JZNS1_25segmented_radix_sort_implINS0_14default_configELb0EPKlPlSQ_SR_N2at6native12_GLOBAL__N_18offset_tEEE10hipError_tPvRmT1_PNSt15iterator_traitsISZ_E10value_typeET2_T3_PNS10_IS15_E10value_typeET4_jRbjT5_S1B_jjP12ihipStream_tbEUljE_ZNSN_ISO_Lb0ESQ_SR_SQ_SR_SV_EESW_SX_SY_SZ_S13_S14_S15_S18_S19_jS1A_jS1B_S1B_jjS1D_bEUljE0_EEESW_SX_SY_S15_S19_S1B_T6_T7_T9_mT8_S1D_bDpT10_ENKUlT_T0_E_clISt17integral_constantIbLb0EES1R_EEDaS1M_S1N_EUlS1M_E_NS1_11comp_targetILNS1_3genE9ELNS1_11target_archE1100ELNS1_3gpuE3ELNS1_3repE0EEENS1_30default_config_static_selectorELNS0_4arch9wavefront6targetE0EEEvSZ_.kd
    .uniform_work_group_size: 1
    .uses_dynamic_stack: false
    .vgpr_count:     0
    .vgpr_spill_count: 0
    .wavefront_size: 32
    .workgroup_processor_mode: 1
  - .args:
      - .offset:         0
        .size:           176
        .value_kind:     by_value
    .group_segment_fixed_size: 0
    .kernarg_segment_align: 8
    .kernarg_segment_size: 176
    .language:       OpenCL C
    .language_version:
      - 2
      - 0
    .max_flat_workgroup_size: 256
    .name:           _ZN7rocprim17ROCPRIM_400000_NS6detail17trampoline_kernelINS0_13select_configILj256ELj13ELNS0_17block_load_methodE3ELS4_3ELS4_3ELNS0_20block_scan_algorithmE0ELj4294967295EEENS1_25partition_config_selectorILNS1_17partition_subalgoE4EjNS0_10empty_typeEbEEZZNS1_14partition_implILS8_4ELb0ES6_15HIP_vector_typeIjLj2EENS0_17counting_iteratorIjlEEPS9_SG_NS0_5tupleIJPjSI_NS0_16reverse_iteratorISI_EEEEENSH_IJSG_SG_SG_EEES9_SI_JZNS1_25segmented_radix_sort_implINS0_14default_configELb0EPKlPlSQ_SR_N2at6native12_GLOBAL__N_18offset_tEEE10hipError_tPvRmT1_PNSt15iterator_traitsISZ_E10value_typeET2_T3_PNS10_IS15_E10value_typeET4_jRbjT5_S1B_jjP12ihipStream_tbEUljE_ZNSN_ISO_Lb0ESQ_SR_SQ_SR_SV_EESW_SX_SY_SZ_S13_S14_S15_S18_S19_jS1A_jS1B_S1B_jjS1D_bEUljE0_EEESW_SX_SY_S15_S19_S1B_T6_T7_T9_mT8_S1D_bDpT10_ENKUlT_T0_E_clISt17integral_constantIbLb0EES1R_EEDaS1M_S1N_EUlS1M_E_NS1_11comp_targetILNS1_3genE8ELNS1_11target_archE1030ELNS1_3gpuE2ELNS1_3repE0EEENS1_30default_config_static_selectorELNS0_4arch9wavefront6targetE0EEEvSZ_
    .private_segment_fixed_size: 0
    .sgpr_count:     0
    .sgpr_spill_count: 0
    .symbol:         _ZN7rocprim17ROCPRIM_400000_NS6detail17trampoline_kernelINS0_13select_configILj256ELj13ELNS0_17block_load_methodE3ELS4_3ELS4_3ELNS0_20block_scan_algorithmE0ELj4294967295EEENS1_25partition_config_selectorILNS1_17partition_subalgoE4EjNS0_10empty_typeEbEEZZNS1_14partition_implILS8_4ELb0ES6_15HIP_vector_typeIjLj2EENS0_17counting_iteratorIjlEEPS9_SG_NS0_5tupleIJPjSI_NS0_16reverse_iteratorISI_EEEEENSH_IJSG_SG_SG_EEES9_SI_JZNS1_25segmented_radix_sort_implINS0_14default_configELb0EPKlPlSQ_SR_N2at6native12_GLOBAL__N_18offset_tEEE10hipError_tPvRmT1_PNSt15iterator_traitsISZ_E10value_typeET2_T3_PNS10_IS15_E10value_typeET4_jRbjT5_S1B_jjP12ihipStream_tbEUljE_ZNSN_ISO_Lb0ESQ_SR_SQ_SR_SV_EESW_SX_SY_SZ_S13_S14_S15_S18_S19_jS1A_jS1B_S1B_jjS1D_bEUljE0_EEESW_SX_SY_S15_S19_S1B_T6_T7_T9_mT8_S1D_bDpT10_ENKUlT_T0_E_clISt17integral_constantIbLb0EES1R_EEDaS1M_S1N_EUlS1M_E_NS1_11comp_targetILNS1_3genE8ELNS1_11target_archE1030ELNS1_3gpuE2ELNS1_3repE0EEENS1_30default_config_static_selectorELNS0_4arch9wavefront6targetE0EEEvSZ_.kd
    .uniform_work_group_size: 1
    .uses_dynamic_stack: false
    .vgpr_count:     0
    .vgpr_spill_count: 0
    .wavefront_size: 32
    .workgroup_processor_mode: 1
  - .args:
      - .offset:         0
        .size:           184
        .value_kind:     by_value
    .group_segment_fixed_size: 0
    .kernarg_segment_align: 8
    .kernarg_segment_size: 184
    .language:       OpenCL C
    .language_version:
      - 2
      - 0
    .max_flat_workgroup_size: 256
    .name:           _ZN7rocprim17ROCPRIM_400000_NS6detail17trampoline_kernelINS0_13select_configILj256ELj13ELNS0_17block_load_methodE3ELS4_3ELS4_3ELNS0_20block_scan_algorithmE0ELj4294967295EEENS1_25partition_config_selectorILNS1_17partition_subalgoE4EjNS0_10empty_typeEbEEZZNS1_14partition_implILS8_4ELb0ES6_15HIP_vector_typeIjLj2EENS0_17counting_iteratorIjlEEPS9_SG_NS0_5tupleIJPjSI_NS0_16reverse_iteratorISI_EEEEENSH_IJSG_SG_SG_EEES9_SI_JZNS1_25segmented_radix_sort_implINS0_14default_configELb0EPKlPlSQ_SR_N2at6native12_GLOBAL__N_18offset_tEEE10hipError_tPvRmT1_PNSt15iterator_traitsISZ_E10value_typeET2_T3_PNS10_IS15_E10value_typeET4_jRbjT5_S1B_jjP12ihipStream_tbEUljE_ZNSN_ISO_Lb0ESQ_SR_SQ_SR_SV_EESW_SX_SY_SZ_S13_S14_S15_S18_S19_jS1A_jS1B_S1B_jjS1D_bEUljE0_EEESW_SX_SY_S15_S19_S1B_T6_T7_T9_mT8_S1D_bDpT10_ENKUlT_T0_E_clISt17integral_constantIbLb1EES1R_EEDaS1M_S1N_EUlS1M_E_NS1_11comp_targetILNS1_3genE0ELNS1_11target_archE4294967295ELNS1_3gpuE0ELNS1_3repE0EEENS1_30default_config_static_selectorELNS0_4arch9wavefront6targetE0EEEvSZ_
    .private_segment_fixed_size: 0
    .sgpr_count:     0
    .sgpr_spill_count: 0
    .symbol:         _ZN7rocprim17ROCPRIM_400000_NS6detail17trampoline_kernelINS0_13select_configILj256ELj13ELNS0_17block_load_methodE3ELS4_3ELS4_3ELNS0_20block_scan_algorithmE0ELj4294967295EEENS1_25partition_config_selectorILNS1_17partition_subalgoE4EjNS0_10empty_typeEbEEZZNS1_14partition_implILS8_4ELb0ES6_15HIP_vector_typeIjLj2EENS0_17counting_iteratorIjlEEPS9_SG_NS0_5tupleIJPjSI_NS0_16reverse_iteratorISI_EEEEENSH_IJSG_SG_SG_EEES9_SI_JZNS1_25segmented_radix_sort_implINS0_14default_configELb0EPKlPlSQ_SR_N2at6native12_GLOBAL__N_18offset_tEEE10hipError_tPvRmT1_PNSt15iterator_traitsISZ_E10value_typeET2_T3_PNS10_IS15_E10value_typeET4_jRbjT5_S1B_jjP12ihipStream_tbEUljE_ZNSN_ISO_Lb0ESQ_SR_SQ_SR_SV_EESW_SX_SY_SZ_S13_S14_S15_S18_S19_jS1A_jS1B_S1B_jjS1D_bEUljE0_EEESW_SX_SY_S15_S19_S1B_T6_T7_T9_mT8_S1D_bDpT10_ENKUlT_T0_E_clISt17integral_constantIbLb1EES1R_EEDaS1M_S1N_EUlS1M_E_NS1_11comp_targetILNS1_3genE0ELNS1_11target_archE4294967295ELNS1_3gpuE0ELNS1_3repE0EEENS1_30default_config_static_selectorELNS0_4arch9wavefront6targetE0EEEvSZ_.kd
    .uniform_work_group_size: 1
    .uses_dynamic_stack: false
    .vgpr_count:     0
    .vgpr_spill_count: 0
    .wavefront_size: 32
    .workgroup_processor_mode: 1
  - .args:
      - .offset:         0
        .size:           184
        .value_kind:     by_value
    .group_segment_fixed_size: 0
    .kernarg_segment_align: 8
    .kernarg_segment_size: 184
    .language:       OpenCL C
    .language_version:
      - 2
      - 0
    .max_flat_workgroup_size: 256
    .name:           _ZN7rocprim17ROCPRIM_400000_NS6detail17trampoline_kernelINS0_13select_configILj256ELj13ELNS0_17block_load_methodE3ELS4_3ELS4_3ELNS0_20block_scan_algorithmE0ELj4294967295EEENS1_25partition_config_selectorILNS1_17partition_subalgoE4EjNS0_10empty_typeEbEEZZNS1_14partition_implILS8_4ELb0ES6_15HIP_vector_typeIjLj2EENS0_17counting_iteratorIjlEEPS9_SG_NS0_5tupleIJPjSI_NS0_16reverse_iteratorISI_EEEEENSH_IJSG_SG_SG_EEES9_SI_JZNS1_25segmented_radix_sort_implINS0_14default_configELb0EPKlPlSQ_SR_N2at6native12_GLOBAL__N_18offset_tEEE10hipError_tPvRmT1_PNSt15iterator_traitsISZ_E10value_typeET2_T3_PNS10_IS15_E10value_typeET4_jRbjT5_S1B_jjP12ihipStream_tbEUljE_ZNSN_ISO_Lb0ESQ_SR_SQ_SR_SV_EESW_SX_SY_SZ_S13_S14_S15_S18_S19_jS1A_jS1B_S1B_jjS1D_bEUljE0_EEESW_SX_SY_S15_S19_S1B_T6_T7_T9_mT8_S1D_bDpT10_ENKUlT_T0_E_clISt17integral_constantIbLb1EES1R_EEDaS1M_S1N_EUlS1M_E_NS1_11comp_targetILNS1_3genE5ELNS1_11target_archE942ELNS1_3gpuE9ELNS1_3repE0EEENS1_30default_config_static_selectorELNS0_4arch9wavefront6targetE0EEEvSZ_
    .private_segment_fixed_size: 0
    .sgpr_count:     0
    .sgpr_spill_count: 0
    .symbol:         _ZN7rocprim17ROCPRIM_400000_NS6detail17trampoline_kernelINS0_13select_configILj256ELj13ELNS0_17block_load_methodE3ELS4_3ELS4_3ELNS0_20block_scan_algorithmE0ELj4294967295EEENS1_25partition_config_selectorILNS1_17partition_subalgoE4EjNS0_10empty_typeEbEEZZNS1_14partition_implILS8_4ELb0ES6_15HIP_vector_typeIjLj2EENS0_17counting_iteratorIjlEEPS9_SG_NS0_5tupleIJPjSI_NS0_16reverse_iteratorISI_EEEEENSH_IJSG_SG_SG_EEES9_SI_JZNS1_25segmented_radix_sort_implINS0_14default_configELb0EPKlPlSQ_SR_N2at6native12_GLOBAL__N_18offset_tEEE10hipError_tPvRmT1_PNSt15iterator_traitsISZ_E10value_typeET2_T3_PNS10_IS15_E10value_typeET4_jRbjT5_S1B_jjP12ihipStream_tbEUljE_ZNSN_ISO_Lb0ESQ_SR_SQ_SR_SV_EESW_SX_SY_SZ_S13_S14_S15_S18_S19_jS1A_jS1B_S1B_jjS1D_bEUljE0_EEESW_SX_SY_S15_S19_S1B_T6_T7_T9_mT8_S1D_bDpT10_ENKUlT_T0_E_clISt17integral_constantIbLb1EES1R_EEDaS1M_S1N_EUlS1M_E_NS1_11comp_targetILNS1_3genE5ELNS1_11target_archE942ELNS1_3gpuE9ELNS1_3repE0EEENS1_30default_config_static_selectorELNS0_4arch9wavefront6targetE0EEEvSZ_.kd
    .uniform_work_group_size: 1
    .uses_dynamic_stack: false
    .vgpr_count:     0
    .vgpr_spill_count: 0
    .wavefront_size: 32
    .workgroup_processor_mode: 1
  - .args:
      - .offset:         0
        .size:           184
        .value_kind:     by_value
    .group_segment_fixed_size: 0
    .kernarg_segment_align: 8
    .kernarg_segment_size: 184
    .language:       OpenCL C
    .language_version:
      - 2
      - 0
    .max_flat_workgroup_size: 256
    .name:           _ZN7rocprim17ROCPRIM_400000_NS6detail17trampoline_kernelINS0_13select_configILj256ELj13ELNS0_17block_load_methodE3ELS4_3ELS4_3ELNS0_20block_scan_algorithmE0ELj4294967295EEENS1_25partition_config_selectorILNS1_17partition_subalgoE4EjNS0_10empty_typeEbEEZZNS1_14partition_implILS8_4ELb0ES6_15HIP_vector_typeIjLj2EENS0_17counting_iteratorIjlEEPS9_SG_NS0_5tupleIJPjSI_NS0_16reverse_iteratorISI_EEEEENSH_IJSG_SG_SG_EEES9_SI_JZNS1_25segmented_radix_sort_implINS0_14default_configELb0EPKlPlSQ_SR_N2at6native12_GLOBAL__N_18offset_tEEE10hipError_tPvRmT1_PNSt15iterator_traitsISZ_E10value_typeET2_T3_PNS10_IS15_E10value_typeET4_jRbjT5_S1B_jjP12ihipStream_tbEUljE_ZNSN_ISO_Lb0ESQ_SR_SQ_SR_SV_EESW_SX_SY_SZ_S13_S14_S15_S18_S19_jS1A_jS1B_S1B_jjS1D_bEUljE0_EEESW_SX_SY_S15_S19_S1B_T6_T7_T9_mT8_S1D_bDpT10_ENKUlT_T0_E_clISt17integral_constantIbLb1EES1R_EEDaS1M_S1N_EUlS1M_E_NS1_11comp_targetILNS1_3genE4ELNS1_11target_archE910ELNS1_3gpuE8ELNS1_3repE0EEENS1_30default_config_static_selectorELNS0_4arch9wavefront6targetE0EEEvSZ_
    .private_segment_fixed_size: 0
    .sgpr_count:     0
    .sgpr_spill_count: 0
    .symbol:         _ZN7rocprim17ROCPRIM_400000_NS6detail17trampoline_kernelINS0_13select_configILj256ELj13ELNS0_17block_load_methodE3ELS4_3ELS4_3ELNS0_20block_scan_algorithmE0ELj4294967295EEENS1_25partition_config_selectorILNS1_17partition_subalgoE4EjNS0_10empty_typeEbEEZZNS1_14partition_implILS8_4ELb0ES6_15HIP_vector_typeIjLj2EENS0_17counting_iteratorIjlEEPS9_SG_NS0_5tupleIJPjSI_NS0_16reverse_iteratorISI_EEEEENSH_IJSG_SG_SG_EEES9_SI_JZNS1_25segmented_radix_sort_implINS0_14default_configELb0EPKlPlSQ_SR_N2at6native12_GLOBAL__N_18offset_tEEE10hipError_tPvRmT1_PNSt15iterator_traitsISZ_E10value_typeET2_T3_PNS10_IS15_E10value_typeET4_jRbjT5_S1B_jjP12ihipStream_tbEUljE_ZNSN_ISO_Lb0ESQ_SR_SQ_SR_SV_EESW_SX_SY_SZ_S13_S14_S15_S18_S19_jS1A_jS1B_S1B_jjS1D_bEUljE0_EEESW_SX_SY_S15_S19_S1B_T6_T7_T9_mT8_S1D_bDpT10_ENKUlT_T0_E_clISt17integral_constantIbLb1EES1R_EEDaS1M_S1N_EUlS1M_E_NS1_11comp_targetILNS1_3genE4ELNS1_11target_archE910ELNS1_3gpuE8ELNS1_3repE0EEENS1_30default_config_static_selectorELNS0_4arch9wavefront6targetE0EEEvSZ_.kd
    .uniform_work_group_size: 1
    .uses_dynamic_stack: false
    .vgpr_count:     0
    .vgpr_spill_count: 0
    .wavefront_size: 32
    .workgroup_processor_mode: 1
  - .args:
      - .offset:         0
        .size:           184
        .value_kind:     by_value
    .group_segment_fixed_size: 0
    .kernarg_segment_align: 8
    .kernarg_segment_size: 184
    .language:       OpenCL C
    .language_version:
      - 2
      - 0
    .max_flat_workgroup_size: 256
    .name:           _ZN7rocprim17ROCPRIM_400000_NS6detail17trampoline_kernelINS0_13select_configILj256ELj13ELNS0_17block_load_methodE3ELS4_3ELS4_3ELNS0_20block_scan_algorithmE0ELj4294967295EEENS1_25partition_config_selectorILNS1_17partition_subalgoE4EjNS0_10empty_typeEbEEZZNS1_14partition_implILS8_4ELb0ES6_15HIP_vector_typeIjLj2EENS0_17counting_iteratorIjlEEPS9_SG_NS0_5tupleIJPjSI_NS0_16reverse_iteratorISI_EEEEENSH_IJSG_SG_SG_EEES9_SI_JZNS1_25segmented_radix_sort_implINS0_14default_configELb0EPKlPlSQ_SR_N2at6native12_GLOBAL__N_18offset_tEEE10hipError_tPvRmT1_PNSt15iterator_traitsISZ_E10value_typeET2_T3_PNS10_IS15_E10value_typeET4_jRbjT5_S1B_jjP12ihipStream_tbEUljE_ZNSN_ISO_Lb0ESQ_SR_SQ_SR_SV_EESW_SX_SY_SZ_S13_S14_S15_S18_S19_jS1A_jS1B_S1B_jjS1D_bEUljE0_EEESW_SX_SY_S15_S19_S1B_T6_T7_T9_mT8_S1D_bDpT10_ENKUlT_T0_E_clISt17integral_constantIbLb1EES1R_EEDaS1M_S1N_EUlS1M_E_NS1_11comp_targetILNS1_3genE3ELNS1_11target_archE908ELNS1_3gpuE7ELNS1_3repE0EEENS1_30default_config_static_selectorELNS0_4arch9wavefront6targetE0EEEvSZ_
    .private_segment_fixed_size: 0
    .sgpr_count:     0
    .sgpr_spill_count: 0
    .symbol:         _ZN7rocprim17ROCPRIM_400000_NS6detail17trampoline_kernelINS0_13select_configILj256ELj13ELNS0_17block_load_methodE3ELS4_3ELS4_3ELNS0_20block_scan_algorithmE0ELj4294967295EEENS1_25partition_config_selectorILNS1_17partition_subalgoE4EjNS0_10empty_typeEbEEZZNS1_14partition_implILS8_4ELb0ES6_15HIP_vector_typeIjLj2EENS0_17counting_iteratorIjlEEPS9_SG_NS0_5tupleIJPjSI_NS0_16reverse_iteratorISI_EEEEENSH_IJSG_SG_SG_EEES9_SI_JZNS1_25segmented_radix_sort_implINS0_14default_configELb0EPKlPlSQ_SR_N2at6native12_GLOBAL__N_18offset_tEEE10hipError_tPvRmT1_PNSt15iterator_traitsISZ_E10value_typeET2_T3_PNS10_IS15_E10value_typeET4_jRbjT5_S1B_jjP12ihipStream_tbEUljE_ZNSN_ISO_Lb0ESQ_SR_SQ_SR_SV_EESW_SX_SY_SZ_S13_S14_S15_S18_S19_jS1A_jS1B_S1B_jjS1D_bEUljE0_EEESW_SX_SY_S15_S19_S1B_T6_T7_T9_mT8_S1D_bDpT10_ENKUlT_T0_E_clISt17integral_constantIbLb1EES1R_EEDaS1M_S1N_EUlS1M_E_NS1_11comp_targetILNS1_3genE3ELNS1_11target_archE908ELNS1_3gpuE7ELNS1_3repE0EEENS1_30default_config_static_selectorELNS0_4arch9wavefront6targetE0EEEvSZ_.kd
    .uniform_work_group_size: 1
    .uses_dynamic_stack: false
    .vgpr_count:     0
    .vgpr_spill_count: 0
    .wavefront_size: 32
    .workgroup_processor_mode: 1
  - .args:
      - .offset:         0
        .size:           184
        .value_kind:     by_value
    .group_segment_fixed_size: 0
    .kernarg_segment_align: 8
    .kernarg_segment_size: 184
    .language:       OpenCL C
    .language_version:
      - 2
      - 0
    .max_flat_workgroup_size: 256
    .name:           _ZN7rocprim17ROCPRIM_400000_NS6detail17trampoline_kernelINS0_13select_configILj256ELj13ELNS0_17block_load_methodE3ELS4_3ELS4_3ELNS0_20block_scan_algorithmE0ELj4294967295EEENS1_25partition_config_selectorILNS1_17partition_subalgoE4EjNS0_10empty_typeEbEEZZNS1_14partition_implILS8_4ELb0ES6_15HIP_vector_typeIjLj2EENS0_17counting_iteratorIjlEEPS9_SG_NS0_5tupleIJPjSI_NS0_16reverse_iteratorISI_EEEEENSH_IJSG_SG_SG_EEES9_SI_JZNS1_25segmented_radix_sort_implINS0_14default_configELb0EPKlPlSQ_SR_N2at6native12_GLOBAL__N_18offset_tEEE10hipError_tPvRmT1_PNSt15iterator_traitsISZ_E10value_typeET2_T3_PNS10_IS15_E10value_typeET4_jRbjT5_S1B_jjP12ihipStream_tbEUljE_ZNSN_ISO_Lb0ESQ_SR_SQ_SR_SV_EESW_SX_SY_SZ_S13_S14_S15_S18_S19_jS1A_jS1B_S1B_jjS1D_bEUljE0_EEESW_SX_SY_S15_S19_S1B_T6_T7_T9_mT8_S1D_bDpT10_ENKUlT_T0_E_clISt17integral_constantIbLb1EES1R_EEDaS1M_S1N_EUlS1M_E_NS1_11comp_targetILNS1_3genE2ELNS1_11target_archE906ELNS1_3gpuE6ELNS1_3repE0EEENS1_30default_config_static_selectorELNS0_4arch9wavefront6targetE0EEEvSZ_
    .private_segment_fixed_size: 0
    .sgpr_count:     0
    .sgpr_spill_count: 0
    .symbol:         _ZN7rocprim17ROCPRIM_400000_NS6detail17trampoline_kernelINS0_13select_configILj256ELj13ELNS0_17block_load_methodE3ELS4_3ELS4_3ELNS0_20block_scan_algorithmE0ELj4294967295EEENS1_25partition_config_selectorILNS1_17partition_subalgoE4EjNS0_10empty_typeEbEEZZNS1_14partition_implILS8_4ELb0ES6_15HIP_vector_typeIjLj2EENS0_17counting_iteratorIjlEEPS9_SG_NS0_5tupleIJPjSI_NS0_16reverse_iteratorISI_EEEEENSH_IJSG_SG_SG_EEES9_SI_JZNS1_25segmented_radix_sort_implINS0_14default_configELb0EPKlPlSQ_SR_N2at6native12_GLOBAL__N_18offset_tEEE10hipError_tPvRmT1_PNSt15iterator_traitsISZ_E10value_typeET2_T3_PNS10_IS15_E10value_typeET4_jRbjT5_S1B_jjP12ihipStream_tbEUljE_ZNSN_ISO_Lb0ESQ_SR_SQ_SR_SV_EESW_SX_SY_SZ_S13_S14_S15_S18_S19_jS1A_jS1B_S1B_jjS1D_bEUljE0_EEESW_SX_SY_S15_S19_S1B_T6_T7_T9_mT8_S1D_bDpT10_ENKUlT_T0_E_clISt17integral_constantIbLb1EES1R_EEDaS1M_S1N_EUlS1M_E_NS1_11comp_targetILNS1_3genE2ELNS1_11target_archE906ELNS1_3gpuE6ELNS1_3repE0EEENS1_30default_config_static_selectorELNS0_4arch9wavefront6targetE0EEEvSZ_.kd
    .uniform_work_group_size: 1
    .uses_dynamic_stack: false
    .vgpr_count:     0
    .vgpr_spill_count: 0
    .wavefront_size: 32
    .workgroup_processor_mode: 1
  - .args:
      - .offset:         0
        .size:           184
        .value_kind:     by_value
    .group_segment_fixed_size: 0
    .kernarg_segment_align: 8
    .kernarg_segment_size: 184
    .language:       OpenCL C
    .language_version:
      - 2
      - 0
    .max_flat_workgroup_size: 256
    .name:           _ZN7rocprim17ROCPRIM_400000_NS6detail17trampoline_kernelINS0_13select_configILj256ELj13ELNS0_17block_load_methodE3ELS4_3ELS4_3ELNS0_20block_scan_algorithmE0ELj4294967295EEENS1_25partition_config_selectorILNS1_17partition_subalgoE4EjNS0_10empty_typeEbEEZZNS1_14partition_implILS8_4ELb0ES6_15HIP_vector_typeIjLj2EENS0_17counting_iteratorIjlEEPS9_SG_NS0_5tupleIJPjSI_NS0_16reverse_iteratorISI_EEEEENSH_IJSG_SG_SG_EEES9_SI_JZNS1_25segmented_radix_sort_implINS0_14default_configELb0EPKlPlSQ_SR_N2at6native12_GLOBAL__N_18offset_tEEE10hipError_tPvRmT1_PNSt15iterator_traitsISZ_E10value_typeET2_T3_PNS10_IS15_E10value_typeET4_jRbjT5_S1B_jjP12ihipStream_tbEUljE_ZNSN_ISO_Lb0ESQ_SR_SQ_SR_SV_EESW_SX_SY_SZ_S13_S14_S15_S18_S19_jS1A_jS1B_S1B_jjS1D_bEUljE0_EEESW_SX_SY_S15_S19_S1B_T6_T7_T9_mT8_S1D_bDpT10_ENKUlT_T0_E_clISt17integral_constantIbLb1EES1R_EEDaS1M_S1N_EUlS1M_E_NS1_11comp_targetILNS1_3genE10ELNS1_11target_archE1200ELNS1_3gpuE4ELNS1_3repE0EEENS1_30default_config_static_selectorELNS0_4arch9wavefront6targetE0EEEvSZ_
    .private_segment_fixed_size: 0
    .sgpr_count:     0
    .sgpr_spill_count: 0
    .symbol:         _ZN7rocprim17ROCPRIM_400000_NS6detail17trampoline_kernelINS0_13select_configILj256ELj13ELNS0_17block_load_methodE3ELS4_3ELS4_3ELNS0_20block_scan_algorithmE0ELj4294967295EEENS1_25partition_config_selectorILNS1_17partition_subalgoE4EjNS0_10empty_typeEbEEZZNS1_14partition_implILS8_4ELb0ES6_15HIP_vector_typeIjLj2EENS0_17counting_iteratorIjlEEPS9_SG_NS0_5tupleIJPjSI_NS0_16reverse_iteratorISI_EEEEENSH_IJSG_SG_SG_EEES9_SI_JZNS1_25segmented_radix_sort_implINS0_14default_configELb0EPKlPlSQ_SR_N2at6native12_GLOBAL__N_18offset_tEEE10hipError_tPvRmT1_PNSt15iterator_traitsISZ_E10value_typeET2_T3_PNS10_IS15_E10value_typeET4_jRbjT5_S1B_jjP12ihipStream_tbEUljE_ZNSN_ISO_Lb0ESQ_SR_SQ_SR_SV_EESW_SX_SY_SZ_S13_S14_S15_S18_S19_jS1A_jS1B_S1B_jjS1D_bEUljE0_EEESW_SX_SY_S15_S19_S1B_T6_T7_T9_mT8_S1D_bDpT10_ENKUlT_T0_E_clISt17integral_constantIbLb1EES1R_EEDaS1M_S1N_EUlS1M_E_NS1_11comp_targetILNS1_3genE10ELNS1_11target_archE1200ELNS1_3gpuE4ELNS1_3repE0EEENS1_30default_config_static_selectorELNS0_4arch9wavefront6targetE0EEEvSZ_.kd
    .uniform_work_group_size: 1
    .uses_dynamic_stack: false
    .vgpr_count:     0
    .vgpr_spill_count: 0
    .wavefront_size: 32
    .workgroup_processor_mode: 1
  - .args:
      - .offset:         0
        .size:           184
        .value_kind:     by_value
    .group_segment_fixed_size: 0
    .kernarg_segment_align: 8
    .kernarg_segment_size: 184
    .language:       OpenCL C
    .language_version:
      - 2
      - 0
    .max_flat_workgroup_size: 256
    .name:           _ZN7rocprim17ROCPRIM_400000_NS6detail17trampoline_kernelINS0_13select_configILj256ELj13ELNS0_17block_load_methodE3ELS4_3ELS4_3ELNS0_20block_scan_algorithmE0ELj4294967295EEENS1_25partition_config_selectorILNS1_17partition_subalgoE4EjNS0_10empty_typeEbEEZZNS1_14partition_implILS8_4ELb0ES6_15HIP_vector_typeIjLj2EENS0_17counting_iteratorIjlEEPS9_SG_NS0_5tupleIJPjSI_NS0_16reverse_iteratorISI_EEEEENSH_IJSG_SG_SG_EEES9_SI_JZNS1_25segmented_radix_sort_implINS0_14default_configELb0EPKlPlSQ_SR_N2at6native12_GLOBAL__N_18offset_tEEE10hipError_tPvRmT1_PNSt15iterator_traitsISZ_E10value_typeET2_T3_PNS10_IS15_E10value_typeET4_jRbjT5_S1B_jjP12ihipStream_tbEUljE_ZNSN_ISO_Lb0ESQ_SR_SQ_SR_SV_EESW_SX_SY_SZ_S13_S14_S15_S18_S19_jS1A_jS1B_S1B_jjS1D_bEUljE0_EEESW_SX_SY_S15_S19_S1B_T6_T7_T9_mT8_S1D_bDpT10_ENKUlT_T0_E_clISt17integral_constantIbLb1EES1R_EEDaS1M_S1N_EUlS1M_E_NS1_11comp_targetILNS1_3genE9ELNS1_11target_archE1100ELNS1_3gpuE3ELNS1_3repE0EEENS1_30default_config_static_selectorELNS0_4arch9wavefront6targetE0EEEvSZ_
    .private_segment_fixed_size: 0
    .sgpr_count:     0
    .sgpr_spill_count: 0
    .symbol:         _ZN7rocprim17ROCPRIM_400000_NS6detail17trampoline_kernelINS0_13select_configILj256ELj13ELNS0_17block_load_methodE3ELS4_3ELS4_3ELNS0_20block_scan_algorithmE0ELj4294967295EEENS1_25partition_config_selectorILNS1_17partition_subalgoE4EjNS0_10empty_typeEbEEZZNS1_14partition_implILS8_4ELb0ES6_15HIP_vector_typeIjLj2EENS0_17counting_iteratorIjlEEPS9_SG_NS0_5tupleIJPjSI_NS0_16reverse_iteratorISI_EEEEENSH_IJSG_SG_SG_EEES9_SI_JZNS1_25segmented_radix_sort_implINS0_14default_configELb0EPKlPlSQ_SR_N2at6native12_GLOBAL__N_18offset_tEEE10hipError_tPvRmT1_PNSt15iterator_traitsISZ_E10value_typeET2_T3_PNS10_IS15_E10value_typeET4_jRbjT5_S1B_jjP12ihipStream_tbEUljE_ZNSN_ISO_Lb0ESQ_SR_SQ_SR_SV_EESW_SX_SY_SZ_S13_S14_S15_S18_S19_jS1A_jS1B_S1B_jjS1D_bEUljE0_EEESW_SX_SY_S15_S19_S1B_T6_T7_T9_mT8_S1D_bDpT10_ENKUlT_T0_E_clISt17integral_constantIbLb1EES1R_EEDaS1M_S1N_EUlS1M_E_NS1_11comp_targetILNS1_3genE9ELNS1_11target_archE1100ELNS1_3gpuE3ELNS1_3repE0EEENS1_30default_config_static_selectorELNS0_4arch9wavefront6targetE0EEEvSZ_.kd
    .uniform_work_group_size: 1
    .uses_dynamic_stack: false
    .vgpr_count:     0
    .vgpr_spill_count: 0
    .wavefront_size: 32
    .workgroup_processor_mode: 1
  - .args:
      - .offset:         0
        .size:           184
        .value_kind:     by_value
    .group_segment_fixed_size: 0
    .kernarg_segment_align: 8
    .kernarg_segment_size: 184
    .language:       OpenCL C
    .language_version:
      - 2
      - 0
    .max_flat_workgroup_size: 256
    .name:           _ZN7rocprim17ROCPRIM_400000_NS6detail17trampoline_kernelINS0_13select_configILj256ELj13ELNS0_17block_load_methodE3ELS4_3ELS4_3ELNS0_20block_scan_algorithmE0ELj4294967295EEENS1_25partition_config_selectorILNS1_17partition_subalgoE4EjNS0_10empty_typeEbEEZZNS1_14partition_implILS8_4ELb0ES6_15HIP_vector_typeIjLj2EENS0_17counting_iteratorIjlEEPS9_SG_NS0_5tupleIJPjSI_NS0_16reverse_iteratorISI_EEEEENSH_IJSG_SG_SG_EEES9_SI_JZNS1_25segmented_radix_sort_implINS0_14default_configELb0EPKlPlSQ_SR_N2at6native12_GLOBAL__N_18offset_tEEE10hipError_tPvRmT1_PNSt15iterator_traitsISZ_E10value_typeET2_T3_PNS10_IS15_E10value_typeET4_jRbjT5_S1B_jjP12ihipStream_tbEUljE_ZNSN_ISO_Lb0ESQ_SR_SQ_SR_SV_EESW_SX_SY_SZ_S13_S14_S15_S18_S19_jS1A_jS1B_S1B_jjS1D_bEUljE0_EEESW_SX_SY_S15_S19_S1B_T6_T7_T9_mT8_S1D_bDpT10_ENKUlT_T0_E_clISt17integral_constantIbLb1EES1R_EEDaS1M_S1N_EUlS1M_E_NS1_11comp_targetILNS1_3genE8ELNS1_11target_archE1030ELNS1_3gpuE2ELNS1_3repE0EEENS1_30default_config_static_selectorELNS0_4arch9wavefront6targetE0EEEvSZ_
    .private_segment_fixed_size: 0
    .sgpr_count:     0
    .sgpr_spill_count: 0
    .symbol:         _ZN7rocprim17ROCPRIM_400000_NS6detail17trampoline_kernelINS0_13select_configILj256ELj13ELNS0_17block_load_methodE3ELS4_3ELS4_3ELNS0_20block_scan_algorithmE0ELj4294967295EEENS1_25partition_config_selectorILNS1_17partition_subalgoE4EjNS0_10empty_typeEbEEZZNS1_14partition_implILS8_4ELb0ES6_15HIP_vector_typeIjLj2EENS0_17counting_iteratorIjlEEPS9_SG_NS0_5tupleIJPjSI_NS0_16reverse_iteratorISI_EEEEENSH_IJSG_SG_SG_EEES9_SI_JZNS1_25segmented_radix_sort_implINS0_14default_configELb0EPKlPlSQ_SR_N2at6native12_GLOBAL__N_18offset_tEEE10hipError_tPvRmT1_PNSt15iterator_traitsISZ_E10value_typeET2_T3_PNS10_IS15_E10value_typeET4_jRbjT5_S1B_jjP12ihipStream_tbEUljE_ZNSN_ISO_Lb0ESQ_SR_SQ_SR_SV_EESW_SX_SY_SZ_S13_S14_S15_S18_S19_jS1A_jS1B_S1B_jjS1D_bEUljE0_EEESW_SX_SY_S15_S19_S1B_T6_T7_T9_mT8_S1D_bDpT10_ENKUlT_T0_E_clISt17integral_constantIbLb1EES1R_EEDaS1M_S1N_EUlS1M_E_NS1_11comp_targetILNS1_3genE8ELNS1_11target_archE1030ELNS1_3gpuE2ELNS1_3repE0EEENS1_30default_config_static_selectorELNS0_4arch9wavefront6targetE0EEEvSZ_.kd
    .uniform_work_group_size: 1
    .uses_dynamic_stack: false
    .vgpr_count:     0
    .vgpr_spill_count: 0
    .wavefront_size: 32
    .workgroup_processor_mode: 1
  - .args:
      - .offset:         0
        .size:           176
        .value_kind:     by_value
    .group_segment_fixed_size: 0
    .kernarg_segment_align: 8
    .kernarg_segment_size: 176
    .language:       OpenCL C
    .language_version:
      - 2
      - 0
    .max_flat_workgroup_size: 256
    .name:           _ZN7rocprim17ROCPRIM_400000_NS6detail17trampoline_kernelINS0_13select_configILj256ELj13ELNS0_17block_load_methodE3ELS4_3ELS4_3ELNS0_20block_scan_algorithmE0ELj4294967295EEENS1_25partition_config_selectorILNS1_17partition_subalgoE4EjNS0_10empty_typeEbEEZZNS1_14partition_implILS8_4ELb0ES6_15HIP_vector_typeIjLj2EENS0_17counting_iteratorIjlEEPS9_SG_NS0_5tupleIJPjSI_NS0_16reverse_iteratorISI_EEEEENSH_IJSG_SG_SG_EEES9_SI_JZNS1_25segmented_radix_sort_implINS0_14default_configELb0EPKlPlSQ_SR_N2at6native12_GLOBAL__N_18offset_tEEE10hipError_tPvRmT1_PNSt15iterator_traitsISZ_E10value_typeET2_T3_PNS10_IS15_E10value_typeET4_jRbjT5_S1B_jjP12ihipStream_tbEUljE_ZNSN_ISO_Lb0ESQ_SR_SQ_SR_SV_EESW_SX_SY_SZ_S13_S14_S15_S18_S19_jS1A_jS1B_S1B_jjS1D_bEUljE0_EEESW_SX_SY_S15_S19_S1B_T6_T7_T9_mT8_S1D_bDpT10_ENKUlT_T0_E_clISt17integral_constantIbLb1EES1Q_IbLb0EEEEDaS1M_S1N_EUlS1M_E_NS1_11comp_targetILNS1_3genE0ELNS1_11target_archE4294967295ELNS1_3gpuE0ELNS1_3repE0EEENS1_30default_config_static_selectorELNS0_4arch9wavefront6targetE0EEEvSZ_
    .private_segment_fixed_size: 0
    .sgpr_count:     0
    .sgpr_spill_count: 0
    .symbol:         _ZN7rocprim17ROCPRIM_400000_NS6detail17trampoline_kernelINS0_13select_configILj256ELj13ELNS0_17block_load_methodE3ELS4_3ELS4_3ELNS0_20block_scan_algorithmE0ELj4294967295EEENS1_25partition_config_selectorILNS1_17partition_subalgoE4EjNS0_10empty_typeEbEEZZNS1_14partition_implILS8_4ELb0ES6_15HIP_vector_typeIjLj2EENS0_17counting_iteratorIjlEEPS9_SG_NS0_5tupleIJPjSI_NS0_16reverse_iteratorISI_EEEEENSH_IJSG_SG_SG_EEES9_SI_JZNS1_25segmented_radix_sort_implINS0_14default_configELb0EPKlPlSQ_SR_N2at6native12_GLOBAL__N_18offset_tEEE10hipError_tPvRmT1_PNSt15iterator_traitsISZ_E10value_typeET2_T3_PNS10_IS15_E10value_typeET4_jRbjT5_S1B_jjP12ihipStream_tbEUljE_ZNSN_ISO_Lb0ESQ_SR_SQ_SR_SV_EESW_SX_SY_SZ_S13_S14_S15_S18_S19_jS1A_jS1B_S1B_jjS1D_bEUljE0_EEESW_SX_SY_S15_S19_S1B_T6_T7_T9_mT8_S1D_bDpT10_ENKUlT_T0_E_clISt17integral_constantIbLb1EES1Q_IbLb0EEEEDaS1M_S1N_EUlS1M_E_NS1_11comp_targetILNS1_3genE0ELNS1_11target_archE4294967295ELNS1_3gpuE0ELNS1_3repE0EEENS1_30default_config_static_selectorELNS0_4arch9wavefront6targetE0EEEvSZ_.kd
    .uniform_work_group_size: 1
    .uses_dynamic_stack: false
    .vgpr_count:     0
    .vgpr_spill_count: 0
    .wavefront_size: 32
    .workgroup_processor_mode: 1
  - .args:
      - .offset:         0
        .size:           176
        .value_kind:     by_value
    .group_segment_fixed_size: 0
    .kernarg_segment_align: 8
    .kernarg_segment_size: 176
    .language:       OpenCL C
    .language_version:
      - 2
      - 0
    .max_flat_workgroup_size: 256
    .name:           _ZN7rocprim17ROCPRIM_400000_NS6detail17trampoline_kernelINS0_13select_configILj256ELj13ELNS0_17block_load_methodE3ELS4_3ELS4_3ELNS0_20block_scan_algorithmE0ELj4294967295EEENS1_25partition_config_selectorILNS1_17partition_subalgoE4EjNS0_10empty_typeEbEEZZNS1_14partition_implILS8_4ELb0ES6_15HIP_vector_typeIjLj2EENS0_17counting_iteratorIjlEEPS9_SG_NS0_5tupleIJPjSI_NS0_16reverse_iteratorISI_EEEEENSH_IJSG_SG_SG_EEES9_SI_JZNS1_25segmented_radix_sort_implINS0_14default_configELb0EPKlPlSQ_SR_N2at6native12_GLOBAL__N_18offset_tEEE10hipError_tPvRmT1_PNSt15iterator_traitsISZ_E10value_typeET2_T3_PNS10_IS15_E10value_typeET4_jRbjT5_S1B_jjP12ihipStream_tbEUljE_ZNSN_ISO_Lb0ESQ_SR_SQ_SR_SV_EESW_SX_SY_SZ_S13_S14_S15_S18_S19_jS1A_jS1B_S1B_jjS1D_bEUljE0_EEESW_SX_SY_S15_S19_S1B_T6_T7_T9_mT8_S1D_bDpT10_ENKUlT_T0_E_clISt17integral_constantIbLb1EES1Q_IbLb0EEEEDaS1M_S1N_EUlS1M_E_NS1_11comp_targetILNS1_3genE5ELNS1_11target_archE942ELNS1_3gpuE9ELNS1_3repE0EEENS1_30default_config_static_selectorELNS0_4arch9wavefront6targetE0EEEvSZ_
    .private_segment_fixed_size: 0
    .sgpr_count:     0
    .sgpr_spill_count: 0
    .symbol:         _ZN7rocprim17ROCPRIM_400000_NS6detail17trampoline_kernelINS0_13select_configILj256ELj13ELNS0_17block_load_methodE3ELS4_3ELS4_3ELNS0_20block_scan_algorithmE0ELj4294967295EEENS1_25partition_config_selectorILNS1_17partition_subalgoE4EjNS0_10empty_typeEbEEZZNS1_14partition_implILS8_4ELb0ES6_15HIP_vector_typeIjLj2EENS0_17counting_iteratorIjlEEPS9_SG_NS0_5tupleIJPjSI_NS0_16reverse_iteratorISI_EEEEENSH_IJSG_SG_SG_EEES9_SI_JZNS1_25segmented_radix_sort_implINS0_14default_configELb0EPKlPlSQ_SR_N2at6native12_GLOBAL__N_18offset_tEEE10hipError_tPvRmT1_PNSt15iterator_traitsISZ_E10value_typeET2_T3_PNS10_IS15_E10value_typeET4_jRbjT5_S1B_jjP12ihipStream_tbEUljE_ZNSN_ISO_Lb0ESQ_SR_SQ_SR_SV_EESW_SX_SY_SZ_S13_S14_S15_S18_S19_jS1A_jS1B_S1B_jjS1D_bEUljE0_EEESW_SX_SY_S15_S19_S1B_T6_T7_T9_mT8_S1D_bDpT10_ENKUlT_T0_E_clISt17integral_constantIbLb1EES1Q_IbLb0EEEEDaS1M_S1N_EUlS1M_E_NS1_11comp_targetILNS1_3genE5ELNS1_11target_archE942ELNS1_3gpuE9ELNS1_3repE0EEENS1_30default_config_static_selectorELNS0_4arch9wavefront6targetE0EEEvSZ_.kd
    .uniform_work_group_size: 1
    .uses_dynamic_stack: false
    .vgpr_count:     0
    .vgpr_spill_count: 0
    .wavefront_size: 32
    .workgroup_processor_mode: 1
  - .args:
      - .offset:         0
        .size:           176
        .value_kind:     by_value
    .group_segment_fixed_size: 0
    .kernarg_segment_align: 8
    .kernarg_segment_size: 176
    .language:       OpenCL C
    .language_version:
      - 2
      - 0
    .max_flat_workgroup_size: 256
    .name:           _ZN7rocprim17ROCPRIM_400000_NS6detail17trampoline_kernelINS0_13select_configILj256ELj13ELNS0_17block_load_methodE3ELS4_3ELS4_3ELNS0_20block_scan_algorithmE0ELj4294967295EEENS1_25partition_config_selectorILNS1_17partition_subalgoE4EjNS0_10empty_typeEbEEZZNS1_14partition_implILS8_4ELb0ES6_15HIP_vector_typeIjLj2EENS0_17counting_iteratorIjlEEPS9_SG_NS0_5tupleIJPjSI_NS0_16reverse_iteratorISI_EEEEENSH_IJSG_SG_SG_EEES9_SI_JZNS1_25segmented_radix_sort_implINS0_14default_configELb0EPKlPlSQ_SR_N2at6native12_GLOBAL__N_18offset_tEEE10hipError_tPvRmT1_PNSt15iterator_traitsISZ_E10value_typeET2_T3_PNS10_IS15_E10value_typeET4_jRbjT5_S1B_jjP12ihipStream_tbEUljE_ZNSN_ISO_Lb0ESQ_SR_SQ_SR_SV_EESW_SX_SY_SZ_S13_S14_S15_S18_S19_jS1A_jS1B_S1B_jjS1D_bEUljE0_EEESW_SX_SY_S15_S19_S1B_T6_T7_T9_mT8_S1D_bDpT10_ENKUlT_T0_E_clISt17integral_constantIbLb1EES1Q_IbLb0EEEEDaS1M_S1N_EUlS1M_E_NS1_11comp_targetILNS1_3genE4ELNS1_11target_archE910ELNS1_3gpuE8ELNS1_3repE0EEENS1_30default_config_static_selectorELNS0_4arch9wavefront6targetE0EEEvSZ_
    .private_segment_fixed_size: 0
    .sgpr_count:     0
    .sgpr_spill_count: 0
    .symbol:         _ZN7rocprim17ROCPRIM_400000_NS6detail17trampoline_kernelINS0_13select_configILj256ELj13ELNS0_17block_load_methodE3ELS4_3ELS4_3ELNS0_20block_scan_algorithmE0ELj4294967295EEENS1_25partition_config_selectorILNS1_17partition_subalgoE4EjNS0_10empty_typeEbEEZZNS1_14partition_implILS8_4ELb0ES6_15HIP_vector_typeIjLj2EENS0_17counting_iteratorIjlEEPS9_SG_NS0_5tupleIJPjSI_NS0_16reverse_iteratorISI_EEEEENSH_IJSG_SG_SG_EEES9_SI_JZNS1_25segmented_radix_sort_implINS0_14default_configELb0EPKlPlSQ_SR_N2at6native12_GLOBAL__N_18offset_tEEE10hipError_tPvRmT1_PNSt15iterator_traitsISZ_E10value_typeET2_T3_PNS10_IS15_E10value_typeET4_jRbjT5_S1B_jjP12ihipStream_tbEUljE_ZNSN_ISO_Lb0ESQ_SR_SQ_SR_SV_EESW_SX_SY_SZ_S13_S14_S15_S18_S19_jS1A_jS1B_S1B_jjS1D_bEUljE0_EEESW_SX_SY_S15_S19_S1B_T6_T7_T9_mT8_S1D_bDpT10_ENKUlT_T0_E_clISt17integral_constantIbLb1EES1Q_IbLb0EEEEDaS1M_S1N_EUlS1M_E_NS1_11comp_targetILNS1_3genE4ELNS1_11target_archE910ELNS1_3gpuE8ELNS1_3repE0EEENS1_30default_config_static_selectorELNS0_4arch9wavefront6targetE0EEEvSZ_.kd
    .uniform_work_group_size: 1
    .uses_dynamic_stack: false
    .vgpr_count:     0
    .vgpr_spill_count: 0
    .wavefront_size: 32
    .workgroup_processor_mode: 1
  - .args:
      - .offset:         0
        .size:           176
        .value_kind:     by_value
    .group_segment_fixed_size: 0
    .kernarg_segment_align: 8
    .kernarg_segment_size: 176
    .language:       OpenCL C
    .language_version:
      - 2
      - 0
    .max_flat_workgroup_size: 256
    .name:           _ZN7rocprim17ROCPRIM_400000_NS6detail17trampoline_kernelINS0_13select_configILj256ELj13ELNS0_17block_load_methodE3ELS4_3ELS4_3ELNS0_20block_scan_algorithmE0ELj4294967295EEENS1_25partition_config_selectorILNS1_17partition_subalgoE4EjNS0_10empty_typeEbEEZZNS1_14partition_implILS8_4ELb0ES6_15HIP_vector_typeIjLj2EENS0_17counting_iteratorIjlEEPS9_SG_NS0_5tupleIJPjSI_NS0_16reverse_iteratorISI_EEEEENSH_IJSG_SG_SG_EEES9_SI_JZNS1_25segmented_radix_sort_implINS0_14default_configELb0EPKlPlSQ_SR_N2at6native12_GLOBAL__N_18offset_tEEE10hipError_tPvRmT1_PNSt15iterator_traitsISZ_E10value_typeET2_T3_PNS10_IS15_E10value_typeET4_jRbjT5_S1B_jjP12ihipStream_tbEUljE_ZNSN_ISO_Lb0ESQ_SR_SQ_SR_SV_EESW_SX_SY_SZ_S13_S14_S15_S18_S19_jS1A_jS1B_S1B_jjS1D_bEUljE0_EEESW_SX_SY_S15_S19_S1B_T6_T7_T9_mT8_S1D_bDpT10_ENKUlT_T0_E_clISt17integral_constantIbLb1EES1Q_IbLb0EEEEDaS1M_S1N_EUlS1M_E_NS1_11comp_targetILNS1_3genE3ELNS1_11target_archE908ELNS1_3gpuE7ELNS1_3repE0EEENS1_30default_config_static_selectorELNS0_4arch9wavefront6targetE0EEEvSZ_
    .private_segment_fixed_size: 0
    .sgpr_count:     0
    .sgpr_spill_count: 0
    .symbol:         _ZN7rocprim17ROCPRIM_400000_NS6detail17trampoline_kernelINS0_13select_configILj256ELj13ELNS0_17block_load_methodE3ELS4_3ELS4_3ELNS0_20block_scan_algorithmE0ELj4294967295EEENS1_25partition_config_selectorILNS1_17partition_subalgoE4EjNS0_10empty_typeEbEEZZNS1_14partition_implILS8_4ELb0ES6_15HIP_vector_typeIjLj2EENS0_17counting_iteratorIjlEEPS9_SG_NS0_5tupleIJPjSI_NS0_16reverse_iteratorISI_EEEEENSH_IJSG_SG_SG_EEES9_SI_JZNS1_25segmented_radix_sort_implINS0_14default_configELb0EPKlPlSQ_SR_N2at6native12_GLOBAL__N_18offset_tEEE10hipError_tPvRmT1_PNSt15iterator_traitsISZ_E10value_typeET2_T3_PNS10_IS15_E10value_typeET4_jRbjT5_S1B_jjP12ihipStream_tbEUljE_ZNSN_ISO_Lb0ESQ_SR_SQ_SR_SV_EESW_SX_SY_SZ_S13_S14_S15_S18_S19_jS1A_jS1B_S1B_jjS1D_bEUljE0_EEESW_SX_SY_S15_S19_S1B_T6_T7_T9_mT8_S1D_bDpT10_ENKUlT_T0_E_clISt17integral_constantIbLb1EES1Q_IbLb0EEEEDaS1M_S1N_EUlS1M_E_NS1_11comp_targetILNS1_3genE3ELNS1_11target_archE908ELNS1_3gpuE7ELNS1_3repE0EEENS1_30default_config_static_selectorELNS0_4arch9wavefront6targetE0EEEvSZ_.kd
    .uniform_work_group_size: 1
    .uses_dynamic_stack: false
    .vgpr_count:     0
    .vgpr_spill_count: 0
    .wavefront_size: 32
    .workgroup_processor_mode: 1
  - .args:
      - .offset:         0
        .size:           176
        .value_kind:     by_value
    .group_segment_fixed_size: 0
    .kernarg_segment_align: 8
    .kernarg_segment_size: 176
    .language:       OpenCL C
    .language_version:
      - 2
      - 0
    .max_flat_workgroup_size: 256
    .name:           _ZN7rocprim17ROCPRIM_400000_NS6detail17trampoline_kernelINS0_13select_configILj256ELj13ELNS0_17block_load_methodE3ELS4_3ELS4_3ELNS0_20block_scan_algorithmE0ELj4294967295EEENS1_25partition_config_selectorILNS1_17partition_subalgoE4EjNS0_10empty_typeEbEEZZNS1_14partition_implILS8_4ELb0ES6_15HIP_vector_typeIjLj2EENS0_17counting_iteratorIjlEEPS9_SG_NS0_5tupleIJPjSI_NS0_16reverse_iteratorISI_EEEEENSH_IJSG_SG_SG_EEES9_SI_JZNS1_25segmented_radix_sort_implINS0_14default_configELb0EPKlPlSQ_SR_N2at6native12_GLOBAL__N_18offset_tEEE10hipError_tPvRmT1_PNSt15iterator_traitsISZ_E10value_typeET2_T3_PNS10_IS15_E10value_typeET4_jRbjT5_S1B_jjP12ihipStream_tbEUljE_ZNSN_ISO_Lb0ESQ_SR_SQ_SR_SV_EESW_SX_SY_SZ_S13_S14_S15_S18_S19_jS1A_jS1B_S1B_jjS1D_bEUljE0_EEESW_SX_SY_S15_S19_S1B_T6_T7_T9_mT8_S1D_bDpT10_ENKUlT_T0_E_clISt17integral_constantIbLb1EES1Q_IbLb0EEEEDaS1M_S1N_EUlS1M_E_NS1_11comp_targetILNS1_3genE2ELNS1_11target_archE906ELNS1_3gpuE6ELNS1_3repE0EEENS1_30default_config_static_selectorELNS0_4arch9wavefront6targetE0EEEvSZ_
    .private_segment_fixed_size: 0
    .sgpr_count:     0
    .sgpr_spill_count: 0
    .symbol:         _ZN7rocprim17ROCPRIM_400000_NS6detail17trampoline_kernelINS0_13select_configILj256ELj13ELNS0_17block_load_methodE3ELS4_3ELS4_3ELNS0_20block_scan_algorithmE0ELj4294967295EEENS1_25partition_config_selectorILNS1_17partition_subalgoE4EjNS0_10empty_typeEbEEZZNS1_14partition_implILS8_4ELb0ES6_15HIP_vector_typeIjLj2EENS0_17counting_iteratorIjlEEPS9_SG_NS0_5tupleIJPjSI_NS0_16reverse_iteratorISI_EEEEENSH_IJSG_SG_SG_EEES9_SI_JZNS1_25segmented_radix_sort_implINS0_14default_configELb0EPKlPlSQ_SR_N2at6native12_GLOBAL__N_18offset_tEEE10hipError_tPvRmT1_PNSt15iterator_traitsISZ_E10value_typeET2_T3_PNS10_IS15_E10value_typeET4_jRbjT5_S1B_jjP12ihipStream_tbEUljE_ZNSN_ISO_Lb0ESQ_SR_SQ_SR_SV_EESW_SX_SY_SZ_S13_S14_S15_S18_S19_jS1A_jS1B_S1B_jjS1D_bEUljE0_EEESW_SX_SY_S15_S19_S1B_T6_T7_T9_mT8_S1D_bDpT10_ENKUlT_T0_E_clISt17integral_constantIbLb1EES1Q_IbLb0EEEEDaS1M_S1N_EUlS1M_E_NS1_11comp_targetILNS1_3genE2ELNS1_11target_archE906ELNS1_3gpuE6ELNS1_3repE0EEENS1_30default_config_static_selectorELNS0_4arch9wavefront6targetE0EEEvSZ_.kd
    .uniform_work_group_size: 1
    .uses_dynamic_stack: false
    .vgpr_count:     0
    .vgpr_spill_count: 0
    .wavefront_size: 32
    .workgroup_processor_mode: 1
  - .args:
      - .offset:         0
        .size:           176
        .value_kind:     by_value
    .group_segment_fixed_size: 0
    .kernarg_segment_align: 8
    .kernarg_segment_size: 176
    .language:       OpenCL C
    .language_version:
      - 2
      - 0
    .max_flat_workgroup_size: 256
    .name:           _ZN7rocprim17ROCPRIM_400000_NS6detail17trampoline_kernelINS0_13select_configILj256ELj13ELNS0_17block_load_methodE3ELS4_3ELS4_3ELNS0_20block_scan_algorithmE0ELj4294967295EEENS1_25partition_config_selectorILNS1_17partition_subalgoE4EjNS0_10empty_typeEbEEZZNS1_14partition_implILS8_4ELb0ES6_15HIP_vector_typeIjLj2EENS0_17counting_iteratorIjlEEPS9_SG_NS0_5tupleIJPjSI_NS0_16reverse_iteratorISI_EEEEENSH_IJSG_SG_SG_EEES9_SI_JZNS1_25segmented_radix_sort_implINS0_14default_configELb0EPKlPlSQ_SR_N2at6native12_GLOBAL__N_18offset_tEEE10hipError_tPvRmT1_PNSt15iterator_traitsISZ_E10value_typeET2_T3_PNS10_IS15_E10value_typeET4_jRbjT5_S1B_jjP12ihipStream_tbEUljE_ZNSN_ISO_Lb0ESQ_SR_SQ_SR_SV_EESW_SX_SY_SZ_S13_S14_S15_S18_S19_jS1A_jS1B_S1B_jjS1D_bEUljE0_EEESW_SX_SY_S15_S19_S1B_T6_T7_T9_mT8_S1D_bDpT10_ENKUlT_T0_E_clISt17integral_constantIbLb1EES1Q_IbLb0EEEEDaS1M_S1N_EUlS1M_E_NS1_11comp_targetILNS1_3genE10ELNS1_11target_archE1200ELNS1_3gpuE4ELNS1_3repE0EEENS1_30default_config_static_selectorELNS0_4arch9wavefront6targetE0EEEvSZ_
    .private_segment_fixed_size: 0
    .sgpr_count:     0
    .sgpr_spill_count: 0
    .symbol:         _ZN7rocprim17ROCPRIM_400000_NS6detail17trampoline_kernelINS0_13select_configILj256ELj13ELNS0_17block_load_methodE3ELS4_3ELS4_3ELNS0_20block_scan_algorithmE0ELj4294967295EEENS1_25partition_config_selectorILNS1_17partition_subalgoE4EjNS0_10empty_typeEbEEZZNS1_14partition_implILS8_4ELb0ES6_15HIP_vector_typeIjLj2EENS0_17counting_iteratorIjlEEPS9_SG_NS0_5tupleIJPjSI_NS0_16reverse_iteratorISI_EEEEENSH_IJSG_SG_SG_EEES9_SI_JZNS1_25segmented_radix_sort_implINS0_14default_configELb0EPKlPlSQ_SR_N2at6native12_GLOBAL__N_18offset_tEEE10hipError_tPvRmT1_PNSt15iterator_traitsISZ_E10value_typeET2_T3_PNS10_IS15_E10value_typeET4_jRbjT5_S1B_jjP12ihipStream_tbEUljE_ZNSN_ISO_Lb0ESQ_SR_SQ_SR_SV_EESW_SX_SY_SZ_S13_S14_S15_S18_S19_jS1A_jS1B_S1B_jjS1D_bEUljE0_EEESW_SX_SY_S15_S19_S1B_T6_T7_T9_mT8_S1D_bDpT10_ENKUlT_T0_E_clISt17integral_constantIbLb1EES1Q_IbLb0EEEEDaS1M_S1N_EUlS1M_E_NS1_11comp_targetILNS1_3genE10ELNS1_11target_archE1200ELNS1_3gpuE4ELNS1_3repE0EEENS1_30default_config_static_selectorELNS0_4arch9wavefront6targetE0EEEvSZ_.kd
    .uniform_work_group_size: 1
    .uses_dynamic_stack: false
    .vgpr_count:     0
    .vgpr_spill_count: 0
    .wavefront_size: 32
    .workgroup_processor_mode: 1
  - .args:
      - .offset:         0
        .size:           176
        .value_kind:     by_value
    .group_segment_fixed_size: 0
    .kernarg_segment_align: 8
    .kernarg_segment_size: 176
    .language:       OpenCL C
    .language_version:
      - 2
      - 0
    .max_flat_workgroup_size: 256
    .name:           _ZN7rocprim17ROCPRIM_400000_NS6detail17trampoline_kernelINS0_13select_configILj256ELj13ELNS0_17block_load_methodE3ELS4_3ELS4_3ELNS0_20block_scan_algorithmE0ELj4294967295EEENS1_25partition_config_selectorILNS1_17partition_subalgoE4EjNS0_10empty_typeEbEEZZNS1_14partition_implILS8_4ELb0ES6_15HIP_vector_typeIjLj2EENS0_17counting_iteratorIjlEEPS9_SG_NS0_5tupleIJPjSI_NS0_16reverse_iteratorISI_EEEEENSH_IJSG_SG_SG_EEES9_SI_JZNS1_25segmented_radix_sort_implINS0_14default_configELb0EPKlPlSQ_SR_N2at6native12_GLOBAL__N_18offset_tEEE10hipError_tPvRmT1_PNSt15iterator_traitsISZ_E10value_typeET2_T3_PNS10_IS15_E10value_typeET4_jRbjT5_S1B_jjP12ihipStream_tbEUljE_ZNSN_ISO_Lb0ESQ_SR_SQ_SR_SV_EESW_SX_SY_SZ_S13_S14_S15_S18_S19_jS1A_jS1B_S1B_jjS1D_bEUljE0_EEESW_SX_SY_S15_S19_S1B_T6_T7_T9_mT8_S1D_bDpT10_ENKUlT_T0_E_clISt17integral_constantIbLb1EES1Q_IbLb0EEEEDaS1M_S1N_EUlS1M_E_NS1_11comp_targetILNS1_3genE9ELNS1_11target_archE1100ELNS1_3gpuE3ELNS1_3repE0EEENS1_30default_config_static_selectorELNS0_4arch9wavefront6targetE0EEEvSZ_
    .private_segment_fixed_size: 0
    .sgpr_count:     0
    .sgpr_spill_count: 0
    .symbol:         _ZN7rocprim17ROCPRIM_400000_NS6detail17trampoline_kernelINS0_13select_configILj256ELj13ELNS0_17block_load_methodE3ELS4_3ELS4_3ELNS0_20block_scan_algorithmE0ELj4294967295EEENS1_25partition_config_selectorILNS1_17partition_subalgoE4EjNS0_10empty_typeEbEEZZNS1_14partition_implILS8_4ELb0ES6_15HIP_vector_typeIjLj2EENS0_17counting_iteratorIjlEEPS9_SG_NS0_5tupleIJPjSI_NS0_16reverse_iteratorISI_EEEEENSH_IJSG_SG_SG_EEES9_SI_JZNS1_25segmented_radix_sort_implINS0_14default_configELb0EPKlPlSQ_SR_N2at6native12_GLOBAL__N_18offset_tEEE10hipError_tPvRmT1_PNSt15iterator_traitsISZ_E10value_typeET2_T3_PNS10_IS15_E10value_typeET4_jRbjT5_S1B_jjP12ihipStream_tbEUljE_ZNSN_ISO_Lb0ESQ_SR_SQ_SR_SV_EESW_SX_SY_SZ_S13_S14_S15_S18_S19_jS1A_jS1B_S1B_jjS1D_bEUljE0_EEESW_SX_SY_S15_S19_S1B_T6_T7_T9_mT8_S1D_bDpT10_ENKUlT_T0_E_clISt17integral_constantIbLb1EES1Q_IbLb0EEEEDaS1M_S1N_EUlS1M_E_NS1_11comp_targetILNS1_3genE9ELNS1_11target_archE1100ELNS1_3gpuE3ELNS1_3repE0EEENS1_30default_config_static_selectorELNS0_4arch9wavefront6targetE0EEEvSZ_.kd
    .uniform_work_group_size: 1
    .uses_dynamic_stack: false
    .vgpr_count:     0
    .vgpr_spill_count: 0
    .wavefront_size: 32
    .workgroup_processor_mode: 1
  - .args:
      - .offset:         0
        .size:           176
        .value_kind:     by_value
    .group_segment_fixed_size: 0
    .kernarg_segment_align: 8
    .kernarg_segment_size: 176
    .language:       OpenCL C
    .language_version:
      - 2
      - 0
    .max_flat_workgroup_size: 256
    .name:           _ZN7rocprim17ROCPRIM_400000_NS6detail17trampoline_kernelINS0_13select_configILj256ELj13ELNS0_17block_load_methodE3ELS4_3ELS4_3ELNS0_20block_scan_algorithmE0ELj4294967295EEENS1_25partition_config_selectorILNS1_17partition_subalgoE4EjNS0_10empty_typeEbEEZZNS1_14partition_implILS8_4ELb0ES6_15HIP_vector_typeIjLj2EENS0_17counting_iteratorIjlEEPS9_SG_NS0_5tupleIJPjSI_NS0_16reverse_iteratorISI_EEEEENSH_IJSG_SG_SG_EEES9_SI_JZNS1_25segmented_radix_sort_implINS0_14default_configELb0EPKlPlSQ_SR_N2at6native12_GLOBAL__N_18offset_tEEE10hipError_tPvRmT1_PNSt15iterator_traitsISZ_E10value_typeET2_T3_PNS10_IS15_E10value_typeET4_jRbjT5_S1B_jjP12ihipStream_tbEUljE_ZNSN_ISO_Lb0ESQ_SR_SQ_SR_SV_EESW_SX_SY_SZ_S13_S14_S15_S18_S19_jS1A_jS1B_S1B_jjS1D_bEUljE0_EEESW_SX_SY_S15_S19_S1B_T6_T7_T9_mT8_S1D_bDpT10_ENKUlT_T0_E_clISt17integral_constantIbLb1EES1Q_IbLb0EEEEDaS1M_S1N_EUlS1M_E_NS1_11comp_targetILNS1_3genE8ELNS1_11target_archE1030ELNS1_3gpuE2ELNS1_3repE0EEENS1_30default_config_static_selectorELNS0_4arch9wavefront6targetE0EEEvSZ_
    .private_segment_fixed_size: 0
    .sgpr_count:     0
    .sgpr_spill_count: 0
    .symbol:         _ZN7rocprim17ROCPRIM_400000_NS6detail17trampoline_kernelINS0_13select_configILj256ELj13ELNS0_17block_load_methodE3ELS4_3ELS4_3ELNS0_20block_scan_algorithmE0ELj4294967295EEENS1_25partition_config_selectorILNS1_17partition_subalgoE4EjNS0_10empty_typeEbEEZZNS1_14partition_implILS8_4ELb0ES6_15HIP_vector_typeIjLj2EENS0_17counting_iteratorIjlEEPS9_SG_NS0_5tupleIJPjSI_NS0_16reverse_iteratorISI_EEEEENSH_IJSG_SG_SG_EEES9_SI_JZNS1_25segmented_radix_sort_implINS0_14default_configELb0EPKlPlSQ_SR_N2at6native12_GLOBAL__N_18offset_tEEE10hipError_tPvRmT1_PNSt15iterator_traitsISZ_E10value_typeET2_T3_PNS10_IS15_E10value_typeET4_jRbjT5_S1B_jjP12ihipStream_tbEUljE_ZNSN_ISO_Lb0ESQ_SR_SQ_SR_SV_EESW_SX_SY_SZ_S13_S14_S15_S18_S19_jS1A_jS1B_S1B_jjS1D_bEUljE0_EEESW_SX_SY_S15_S19_S1B_T6_T7_T9_mT8_S1D_bDpT10_ENKUlT_T0_E_clISt17integral_constantIbLb1EES1Q_IbLb0EEEEDaS1M_S1N_EUlS1M_E_NS1_11comp_targetILNS1_3genE8ELNS1_11target_archE1030ELNS1_3gpuE2ELNS1_3repE0EEENS1_30default_config_static_selectorELNS0_4arch9wavefront6targetE0EEEvSZ_.kd
    .uniform_work_group_size: 1
    .uses_dynamic_stack: false
    .vgpr_count:     0
    .vgpr_spill_count: 0
    .wavefront_size: 32
    .workgroup_processor_mode: 1
  - .args:
      - .offset:         0
        .size:           184
        .value_kind:     by_value
    .group_segment_fixed_size: 0
    .kernarg_segment_align: 8
    .kernarg_segment_size: 184
    .language:       OpenCL C
    .language_version:
      - 2
      - 0
    .max_flat_workgroup_size: 256
    .name:           _ZN7rocprim17ROCPRIM_400000_NS6detail17trampoline_kernelINS0_13select_configILj256ELj13ELNS0_17block_load_methodE3ELS4_3ELS4_3ELNS0_20block_scan_algorithmE0ELj4294967295EEENS1_25partition_config_selectorILNS1_17partition_subalgoE4EjNS0_10empty_typeEbEEZZNS1_14partition_implILS8_4ELb0ES6_15HIP_vector_typeIjLj2EENS0_17counting_iteratorIjlEEPS9_SG_NS0_5tupleIJPjSI_NS0_16reverse_iteratorISI_EEEEENSH_IJSG_SG_SG_EEES9_SI_JZNS1_25segmented_radix_sort_implINS0_14default_configELb0EPKlPlSQ_SR_N2at6native12_GLOBAL__N_18offset_tEEE10hipError_tPvRmT1_PNSt15iterator_traitsISZ_E10value_typeET2_T3_PNS10_IS15_E10value_typeET4_jRbjT5_S1B_jjP12ihipStream_tbEUljE_ZNSN_ISO_Lb0ESQ_SR_SQ_SR_SV_EESW_SX_SY_SZ_S13_S14_S15_S18_S19_jS1A_jS1B_S1B_jjS1D_bEUljE0_EEESW_SX_SY_S15_S19_S1B_T6_T7_T9_mT8_S1D_bDpT10_ENKUlT_T0_E_clISt17integral_constantIbLb0EES1Q_IbLb1EEEEDaS1M_S1N_EUlS1M_E_NS1_11comp_targetILNS1_3genE0ELNS1_11target_archE4294967295ELNS1_3gpuE0ELNS1_3repE0EEENS1_30default_config_static_selectorELNS0_4arch9wavefront6targetE0EEEvSZ_
    .private_segment_fixed_size: 0
    .sgpr_count:     0
    .sgpr_spill_count: 0
    .symbol:         _ZN7rocprim17ROCPRIM_400000_NS6detail17trampoline_kernelINS0_13select_configILj256ELj13ELNS0_17block_load_methodE3ELS4_3ELS4_3ELNS0_20block_scan_algorithmE0ELj4294967295EEENS1_25partition_config_selectorILNS1_17partition_subalgoE4EjNS0_10empty_typeEbEEZZNS1_14partition_implILS8_4ELb0ES6_15HIP_vector_typeIjLj2EENS0_17counting_iteratorIjlEEPS9_SG_NS0_5tupleIJPjSI_NS0_16reverse_iteratorISI_EEEEENSH_IJSG_SG_SG_EEES9_SI_JZNS1_25segmented_radix_sort_implINS0_14default_configELb0EPKlPlSQ_SR_N2at6native12_GLOBAL__N_18offset_tEEE10hipError_tPvRmT1_PNSt15iterator_traitsISZ_E10value_typeET2_T3_PNS10_IS15_E10value_typeET4_jRbjT5_S1B_jjP12ihipStream_tbEUljE_ZNSN_ISO_Lb0ESQ_SR_SQ_SR_SV_EESW_SX_SY_SZ_S13_S14_S15_S18_S19_jS1A_jS1B_S1B_jjS1D_bEUljE0_EEESW_SX_SY_S15_S19_S1B_T6_T7_T9_mT8_S1D_bDpT10_ENKUlT_T0_E_clISt17integral_constantIbLb0EES1Q_IbLb1EEEEDaS1M_S1N_EUlS1M_E_NS1_11comp_targetILNS1_3genE0ELNS1_11target_archE4294967295ELNS1_3gpuE0ELNS1_3repE0EEENS1_30default_config_static_selectorELNS0_4arch9wavefront6targetE0EEEvSZ_.kd
    .uniform_work_group_size: 1
    .uses_dynamic_stack: false
    .vgpr_count:     0
    .vgpr_spill_count: 0
    .wavefront_size: 32
    .workgroup_processor_mode: 1
  - .args:
      - .offset:         0
        .size:           184
        .value_kind:     by_value
    .group_segment_fixed_size: 0
    .kernarg_segment_align: 8
    .kernarg_segment_size: 184
    .language:       OpenCL C
    .language_version:
      - 2
      - 0
    .max_flat_workgroup_size: 256
    .name:           _ZN7rocprim17ROCPRIM_400000_NS6detail17trampoline_kernelINS0_13select_configILj256ELj13ELNS0_17block_load_methodE3ELS4_3ELS4_3ELNS0_20block_scan_algorithmE0ELj4294967295EEENS1_25partition_config_selectorILNS1_17partition_subalgoE4EjNS0_10empty_typeEbEEZZNS1_14partition_implILS8_4ELb0ES6_15HIP_vector_typeIjLj2EENS0_17counting_iteratorIjlEEPS9_SG_NS0_5tupleIJPjSI_NS0_16reverse_iteratorISI_EEEEENSH_IJSG_SG_SG_EEES9_SI_JZNS1_25segmented_radix_sort_implINS0_14default_configELb0EPKlPlSQ_SR_N2at6native12_GLOBAL__N_18offset_tEEE10hipError_tPvRmT1_PNSt15iterator_traitsISZ_E10value_typeET2_T3_PNS10_IS15_E10value_typeET4_jRbjT5_S1B_jjP12ihipStream_tbEUljE_ZNSN_ISO_Lb0ESQ_SR_SQ_SR_SV_EESW_SX_SY_SZ_S13_S14_S15_S18_S19_jS1A_jS1B_S1B_jjS1D_bEUljE0_EEESW_SX_SY_S15_S19_S1B_T6_T7_T9_mT8_S1D_bDpT10_ENKUlT_T0_E_clISt17integral_constantIbLb0EES1Q_IbLb1EEEEDaS1M_S1N_EUlS1M_E_NS1_11comp_targetILNS1_3genE5ELNS1_11target_archE942ELNS1_3gpuE9ELNS1_3repE0EEENS1_30default_config_static_selectorELNS0_4arch9wavefront6targetE0EEEvSZ_
    .private_segment_fixed_size: 0
    .sgpr_count:     0
    .sgpr_spill_count: 0
    .symbol:         _ZN7rocprim17ROCPRIM_400000_NS6detail17trampoline_kernelINS0_13select_configILj256ELj13ELNS0_17block_load_methodE3ELS4_3ELS4_3ELNS0_20block_scan_algorithmE0ELj4294967295EEENS1_25partition_config_selectorILNS1_17partition_subalgoE4EjNS0_10empty_typeEbEEZZNS1_14partition_implILS8_4ELb0ES6_15HIP_vector_typeIjLj2EENS0_17counting_iteratorIjlEEPS9_SG_NS0_5tupleIJPjSI_NS0_16reverse_iteratorISI_EEEEENSH_IJSG_SG_SG_EEES9_SI_JZNS1_25segmented_radix_sort_implINS0_14default_configELb0EPKlPlSQ_SR_N2at6native12_GLOBAL__N_18offset_tEEE10hipError_tPvRmT1_PNSt15iterator_traitsISZ_E10value_typeET2_T3_PNS10_IS15_E10value_typeET4_jRbjT5_S1B_jjP12ihipStream_tbEUljE_ZNSN_ISO_Lb0ESQ_SR_SQ_SR_SV_EESW_SX_SY_SZ_S13_S14_S15_S18_S19_jS1A_jS1B_S1B_jjS1D_bEUljE0_EEESW_SX_SY_S15_S19_S1B_T6_T7_T9_mT8_S1D_bDpT10_ENKUlT_T0_E_clISt17integral_constantIbLb0EES1Q_IbLb1EEEEDaS1M_S1N_EUlS1M_E_NS1_11comp_targetILNS1_3genE5ELNS1_11target_archE942ELNS1_3gpuE9ELNS1_3repE0EEENS1_30default_config_static_selectorELNS0_4arch9wavefront6targetE0EEEvSZ_.kd
    .uniform_work_group_size: 1
    .uses_dynamic_stack: false
    .vgpr_count:     0
    .vgpr_spill_count: 0
    .wavefront_size: 32
    .workgroup_processor_mode: 1
  - .args:
      - .offset:         0
        .size:           184
        .value_kind:     by_value
    .group_segment_fixed_size: 0
    .kernarg_segment_align: 8
    .kernarg_segment_size: 184
    .language:       OpenCL C
    .language_version:
      - 2
      - 0
    .max_flat_workgroup_size: 256
    .name:           _ZN7rocprim17ROCPRIM_400000_NS6detail17trampoline_kernelINS0_13select_configILj256ELj13ELNS0_17block_load_methodE3ELS4_3ELS4_3ELNS0_20block_scan_algorithmE0ELj4294967295EEENS1_25partition_config_selectorILNS1_17partition_subalgoE4EjNS0_10empty_typeEbEEZZNS1_14partition_implILS8_4ELb0ES6_15HIP_vector_typeIjLj2EENS0_17counting_iteratorIjlEEPS9_SG_NS0_5tupleIJPjSI_NS0_16reverse_iteratorISI_EEEEENSH_IJSG_SG_SG_EEES9_SI_JZNS1_25segmented_radix_sort_implINS0_14default_configELb0EPKlPlSQ_SR_N2at6native12_GLOBAL__N_18offset_tEEE10hipError_tPvRmT1_PNSt15iterator_traitsISZ_E10value_typeET2_T3_PNS10_IS15_E10value_typeET4_jRbjT5_S1B_jjP12ihipStream_tbEUljE_ZNSN_ISO_Lb0ESQ_SR_SQ_SR_SV_EESW_SX_SY_SZ_S13_S14_S15_S18_S19_jS1A_jS1B_S1B_jjS1D_bEUljE0_EEESW_SX_SY_S15_S19_S1B_T6_T7_T9_mT8_S1D_bDpT10_ENKUlT_T0_E_clISt17integral_constantIbLb0EES1Q_IbLb1EEEEDaS1M_S1N_EUlS1M_E_NS1_11comp_targetILNS1_3genE4ELNS1_11target_archE910ELNS1_3gpuE8ELNS1_3repE0EEENS1_30default_config_static_selectorELNS0_4arch9wavefront6targetE0EEEvSZ_
    .private_segment_fixed_size: 0
    .sgpr_count:     0
    .sgpr_spill_count: 0
    .symbol:         _ZN7rocprim17ROCPRIM_400000_NS6detail17trampoline_kernelINS0_13select_configILj256ELj13ELNS0_17block_load_methodE3ELS4_3ELS4_3ELNS0_20block_scan_algorithmE0ELj4294967295EEENS1_25partition_config_selectorILNS1_17partition_subalgoE4EjNS0_10empty_typeEbEEZZNS1_14partition_implILS8_4ELb0ES6_15HIP_vector_typeIjLj2EENS0_17counting_iteratorIjlEEPS9_SG_NS0_5tupleIJPjSI_NS0_16reverse_iteratorISI_EEEEENSH_IJSG_SG_SG_EEES9_SI_JZNS1_25segmented_radix_sort_implINS0_14default_configELb0EPKlPlSQ_SR_N2at6native12_GLOBAL__N_18offset_tEEE10hipError_tPvRmT1_PNSt15iterator_traitsISZ_E10value_typeET2_T3_PNS10_IS15_E10value_typeET4_jRbjT5_S1B_jjP12ihipStream_tbEUljE_ZNSN_ISO_Lb0ESQ_SR_SQ_SR_SV_EESW_SX_SY_SZ_S13_S14_S15_S18_S19_jS1A_jS1B_S1B_jjS1D_bEUljE0_EEESW_SX_SY_S15_S19_S1B_T6_T7_T9_mT8_S1D_bDpT10_ENKUlT_T0_E_clISt17integral_constantIbLb0EES1Q_IbLb1EEEEDaS1M_S1N_EUlS1M_E_NS1_11comp_targetILNS1_3genE4ELNS1_11target_archE910ELNS1_3gpuE8ELNS1_3repE0EEENS1_30default_config_static_selectorELNS0_4arch9wavefront6targetE0EEEvSZ_.kd
    .uniform_work_group_size: 1
    .uses_dynamic_stack: false
    .vgpr_count:     0
    .vgpr_spill_count: 0
    .wavefront_size: 32
    .workgroup_processor_mode: 1
  - .args:
      - .offset:         0
        .size:           184
        .value_kind:     by_value
    .group_segment_fixed_size: 0
    .kernarg_segment_align: 8
    .kernarg_segment_size: 184
    .language:       OpenCL C
    .language_version:
      - 2
      - 0
    .max_flat_workgroup_size: 256
    .name:           _ZN7rocprim17ROCPRIM_400000_NS6detail17trampoline_kernelINS0_13select_configILj256ELj13ELNS0_17block_load_methodE3ELS4_3ELS4_3ELNS0_20block_scan_algorithmE0ELj4294967295EEENS1_25partition_config_selectorILNS1_17partition_subalgoE4EjNS0_10empty_typeEbEEZZNS1_14partition_implILS8_4ELb0ES6_15HIP_vector_typeIjLj2EENS0_17counting_iteratorIjlEEPS9_SG_NS0_5tupleIJPjSI_NS0_16reverse_iteratorISI_EEEEENSH_IJSG_SG_SG_EEES9_SI_JZNS1_25segmented_radix_sort_implINS0_14default_configELb0EPKlPlSQ_SR_N2at6native12_GLOBAL__N_18offset_tEEE10hipError_tPvRmT1_PNSt15iterator_traitsISZ_E10value_typeET2_T3_PNS10_IS15_E10value_typeET4_jRbjT5_S1B_jjP12ihipStream_tbEUljE_ZNSN_ISO_Lb0ESQ_SR_SQ_SR_SV_EESW_SX_SY_SZ_S13_S14_S15_S18_S19_jS1A_jS1B_S1B_jjS1D_bEUljE0_EEESW_SX_SY_S15_S19_S1B_T6_T7_T9_mT8_S1D_bDpT10_ENKUlT_T0_E_clISt17integral_constantIbLb0EES1Q_IbLb1EEEEDaS1M_S1N_EUlS1M_E_NS1_11comp_targetILNS1_3genE3ELNS1_11target_archE908ELNS1_3gpuE7ELNS1_3repE0EEENS1_30default_config_static_selectorELNS0_4arch9wavefront6targetE0EEEvSZ_
    .private_segment_fixed_size: 0
    .sgpr_count:     0
    .sgpr_spill_count: 0
    .symbol:         _ZN7rocprim17ROCPRIM_400000_NS6detail17trampoline_kernelINS0_13select_configILj256ELj13ELNS0_17block_load_methodE3ELS4_3ELS4_3ELNS0_20block_scan_algorithmE0ELj4294967295EEENS1_25partition_config_selectorILNS1_17partition_subalgoE4EjNS0_10empty_typeEbEEZZNS1_14partition_implILS8_4ELb0ES6_15HIP_vector_typeIjLj2EENS0_17counting_iteratorIjlEEPS9_SG_NS0_5tupleIJPjSI_NS0_16reverse_iteratorISI_EEEEENSH_IJSG_SG_SG_EEES9_SI_JZNS1_25segmented_radix_sort_implINS0_14default_configELb0EPKlPlSQ_SR_N2at6native12_GLOBAL__N_18offset_tEEE10hipError_tPvRmT1_PNSt15iterator_traitsISZ_E10value_typeET2_T3_PNS10_IS15_E10value_typeET4_jRbjT5_S1B_jjP12ihipStream_tbEUljE_ZNSN_ISO_Lb0ESQ_SR_SQ_SR_SV_EESW_SX_SY_SZ_S13_S14_S15_S18_S19_jS1A_jS1B_S1B_jjS1D_bEUljE0_EEESW_SX_SY_S15_S19_S1B_T6_T7_T9_mT8_S1D_bDpT10_ENKUlT_T0_E_clISt17integral_constantIbLb0EES1Q_IbLb1EEEEDaS1M_S1N_EUlS1M_E_NS1_11comp_targetILNS1_3genE3ELNS1_11target_archE908ELNS1_3gpuE7ELNS1_3repE0EEENS1_30default_config_static_selectorELNS0_4arch9wavefront6targetE0EEEvSZ_.kd
    .uniform_work_group_size: 1
    .uses_dynamic_stack: false
    .vgpr_count:     0
    .vgpr_spill_count: 0
    .wavefront_size: 32
    .workgroup_processor_mode: 1
  - .args:
      - .offset:         0
        .size:           184
        .value_kind:     by_value
    .group_segment_fixed_size: 0
    .kernarg_segment_align: 8
    .kernarg_segment_size: 184
    .language:       OpenCL C
    .language_version:
      - 2
      - 0
    .max_flat_workgroup_size: 256
    .name:           _ZN7rocprim17ROCPRIM_400000_NS6detail17trampoline_kernelINS0_13select_configILj256ELj13ELNS0_17block_load_methodE3ELS4_3ELS4_3ELNS0_20block_scan_algorithmE0ELj4294967295EEENS1_25partition_config_selectorILNS1_17partition_subalgoE4EjNS0_10empty_typeEbEEZZNS1_14partition_implILS8_4ELb0ES6_15HIP_vector_typeIjLj2EENS0_17counting_iteratorIjlEEPS9_SG_NS0_5tupleIJPjSI_NS0_16reverse_iteratorISI_EEEEENSH_IJSG_SG_SG_EEES9_SI_JZNS1_25segmented_radix_sort_implINS0_14default_configELb0EPKlPlSQ_SR_N2at6native12_GLOBAL__N_18offset_tEEE10hipError_tPvRmT1_PNSt15iterator_traitsISZ_E10value_typeET2_T3_PNS10_IS15_E10value_typeET4_jRbjT5_S1B_jjP12ihipStream_tbEUljE_ZNSN_ISO_Lb0ESQ_SR_SQ_SR_SV_EESW_SX_SY_SZ_S13_S14_S15_S18_S19_jS1A_jS1B_S1B_jjS1D_bEUljE0_EEESW_SX_SY_S15_S19_S1B_T6_T7_T9_mT8_S1D_bDpT10_ENKUlT_T0_E_clISt17integral_constantIbLb0EES1Q_IbLb1EEEEDaS1M_S1N_EUlS1M_E_NS1_11comp_targetILNS1_3genE2ELNS1_11target_archE906ELNS1_3gpuE6ELNS1_3repE0EEENS1_30default_config_static_selectorELNS0_4arch9wavefront6targetE0EEEvSZ_
    .private_segment_fixed_size: 0
    .sgpr_count:     0
    .sgpr_spill_count: 0
    .symbol:         _ZN7rocprim17ROCPRIM_400000_NS6detail17trampoline_kernelINS0_13select_configILj256ELj13ELNS0_17block_load_methodE3ELS4_3ELS4_3ELNS0_20block_scan_algorithmE0ELj4294967295EEENS1_25partition_config_selectorILNS1_17partition_subalgoE4EjNS0_10empty_typeEbEEZZNS1_14partition_implILS8_4ELb0ES6_15HIP_vector_typeIjLj2EENS0_17counting_iteratorIjlEEPS9_SG_NS0_5tupleIJPjSI_NS0_16reverse_iteratorISI_EEEEENSH_IJSG_SG_SG_EEES9_SI_JZNS1_25segmented_radix_sort_implINS0_14default_configELb0EPKlPlSQ_SR_N2at6native12_GLOBAL__N_18offset_tEEE10hipError_tPvRmT1_PNSt15iterator_traitsISZ_E10value_typeET2_T3_PNS10_IS15_E10value_typeET4_jRbjT5_S1B_jjP12ihipStream_tbEUljE_ZNSN_ISO_Lb0ESQ_SR_SQ_SR_SV_EESW_SX_SY_SZ_S13_S14_S15_S18_S19_jS1A_jS1B_S1B_jjS1D_bEUljE0_EEESW_SX_SY_S15_S19_S1B_T6_T7_T9_mT8_S1D_bDpT10_ENKUlT_T0_E_clISt17integral_constantIbLb0EES1Q_IbLb1EEEEDaS1M_S1N_EUlS1M_E_NS1_11comp_targetILNS1_3genE2ELNS1_11target_archE906ELNS1_3gpuE6ELNS1_3repE0EEENS1_30default_config_static_selectorELNS0_4arch9wavefront6targetE0EEEvSZ_.kd
    .uniform_work_group_size: 1
    .uses_dynamic_stack: false
    .vgpr_count:     0
    .vgpr_spill_count: 0
    .wavefront_size: 32
    .workgroup_processor_mode: 1
  - .args:
      - .offset:         0
        .size:           184
        .value_kind:     by_value
    .group_segment_fixed_size: 13328
    .kernarg_segment_align: 8
    .kernarg_segment_size: 184
    .language:       OpenCL C
    .language_version:
      - 2
      - 0
    .max_flat_workgroup_size: 256
    .name:           _ZN7rocprim17ROCPRIM_400000_NS6detail17trampoline_kernelINS0_13select_configILj256ELj13ELNS0_17block_load_methodE3ELS4_3ELS4_3ELNS0_20block_scan_algorithmE0ELj4294967295EEENS1_25partition_config_selectorILNS1_17partition_subalgoE4EjNS0_10empty_typeEbEEZZNS1_14partition_implILS8_4ELb0ES6_15HIP_vector_typeIjLj2EENS0_17counting_iteratorIjlEEPS9_SG_NS0_5tupleIJPjSI_NS0_16reverse_iteratorISI_EEEEENSH_IJSG_SG_SG_EEES9_SI_JZNS1_25segmented_radix_sort_implINS0_14default_configELb0EPKlPlSQ_SR_N2at6native12_GLOBAL__N_18offset_tEEE10hipError_tPvRmT1_PNSt15iterator_traitsISZ_E10value_typeET2_T3_PNS10_IS15_E10value_typeET4_jRbjT5_S1B_jjP12ihipStream_tbEUljE_ZNSN_ISO_Lb0ESQ_SR_SQ_SR_SV_EESW_SX_SY_SZ_S13_S14_S15_S18_S19_jS1A_jS1B_S1B_jjS1D_bEUljE0_EEESW_SX_SY_S15_S19_S1B_T6_T7_T9_mT8_S1D_bDpT10_ENKUlT_T0_E_clISt17integral_constantIbLb0EES1Q_IbLb1EEEEDaS1M_S1N_EUlS1M_E_NS1_11comp_targetILNS1_3genE10ELNS1_11target_archE1200ELNS1_3gpuE4ELNS1_3repE0EEENS1_30default_config_static_selectorELNS0_4arch9wavefront6targetE0EEEvSZ_
    .private_segment_fixed_size: 0
    .sgpr_count:     57
    .sgpr_spill_count: 0
    .symbol:         _ZN7rocprim17ROCPRIM_400000_NS6detail17trampoline_kernelINS0_13select_configILj256ELj13ELNS0_17block_load_methodE3ELS4_3ELS4_3ELNS0_20block_scan_algorithmE0ELj4294967295EEENS1_25partition_config_selectorILNS1_17partition_subalgoE4EjNS0_10empty_typeEbEEZZNS1_14partition_implILS8_4ELb0ES6_15HIP_vector_typeIjLj2EENS0_17counting_iteratorIjlEEPS9_SG_NS0_5tupleIJPjSI_NS0_16reverse_iteratorISI_EEEEENSH_IJSG_SG_SG_EEES9_SI_JZNS1_25segmented_radix_sort_implINS0_14default_configELb0EPKlPlSQ_SR_N2at6native12_GLOBAL__N_18offset_tEEE10hipError_tPvRmT1_PNSt15iterator_traitsISZ_E10value_typeET2_T3_PNS10_IS15_E10value_typeET4_jRbjT5_S1B_jjP12ihipStream_tbEUljE_ZNSN_ISO_Lb0ESQ_SR_SQ_SR_SV_EESW_SX_SY_SZ_S13_S14_S15_S18_S19_jS1A_jS1B_S1B_jjS1D_bEUljE0_EEESW_SX_SY_S15_S19_S1B_T6_T7_T9_mT8_S1D_bDpT10_ENKUlT_T0_E_clISt17integral_constantIbLb0EES1Q_IbLb1EEEEDaS1M_S1N_EUlS1M_E_NS1_11comp_targetILNS1_3genE10ELNS1_11target_archE1200ELNS1_3gpuE4ELNS1_3repE0EEENS1_30default_config_static_selectorELNS0_4arch9wavefront6targetE0EEEvSZ_.kd
    .uniform_work_group_size: 1
    .uses_dynamic_stack: false
    .vgpr_count:     98
    .vgpr_spill_count: 0
    .wavefront_size: 32
    .workgroup_processor_mode: 1
  - .args:
      - .offset:         0
        .size:           184
        .value_kind:     by_value
    .group_segment_fixed_size: 0
    .kernarg_segment_align: 8
    .kernarg_segment_size: 184
    .language:       OpenCL C
    .language_version:
      - 2
      - 0
    .max_flat_workgroup_size: 256
    .name:           _ZN7rocprim17ROCPRIM_400000_NS6detail17trampoline_kernelINS0_13select_configILj256ELj13ELNS0_17block_load_methodE3ELS4_3ELS4_3ELNS0_20block_scan_algorithmE0ELj4294967295EEENS1_25partition_config_selectorILNS1_17partition_subalgoE4EjNS0_10empty_typeEbEEZZNS1_14partition_implILS8_4ELb0ES6_15HIP_vector_typeIjLj2EENS0_17counting_iteratorIjlEEPS9_SG_NS0_5tupleIJPjSI_NS0_16reverse_iteratorISI_EEEEENSH_IJSG_SG_SG_EEES9_SI_JZNS1_25segmented_radix_sort_implINS0_14default_configELb0EPKlPlSQ_SR_N2at6native12_GLOBAL__N_18offset_tEEE10hipError_tPvRmT1_PNSt15iterator_traitsISZ_E10value_typeET2_T3_PNS10_IS15_E10value_typeET4_jRbjT5_S1B_jjP12ihipStream_tbEUljE_ZNSN_ISO_Lb0ESQ_SR_SQ_SR_SV_EESW_SX_SY_SZ_S13_S14_S15_S18_S19_jS1A_jS1B_S1B_jjS1D_bEUljE0_EEESW_SX_SY_S15_S19_S1B_T6_T7_T9_mT8_S1D_bDpT10_ENKUlT_T0_E_clISt17integral_constantIbLb0EES1Q_IbLb1EEEEDaS1M_S1N_EUlS1M_E_NS1_11comp_targetILNS1_3genE9ELNS1_11target_archE1100ELNS1_3gpuE3ELNS1_3repE0EEENS1_30default_config_static_selectorELNS0_4arch9wavefront6targetE0EEEvSZ_
    .private_segment_fixed_size: 0
    .sgpr_count:     0
    .sgpr_spill_count: 0
    .symbol:         _ZN7rocprim17ROCPRIM_400000_NS6detail17trampoline_kernelINS0_13select_configILj256ELj13ELNS0_17block_load_methodE3ELS4_3ELS4_3ELNS0_20block_scan_algorithmE0ELj4294967295EEENS1_25partition_config_selectorILNS1_17partition_subalgoE4EjNS0_10empty_typeEbEEZZNS1_14partition_implILS8_4ELb0ES6_15HIP_vector_typeIjLj2EENS0_17counting_iteratorIjlEEPS9_SG_NS0_5tupleIJPjSI_NS0_16reverse_iteratorISI_EEEEENSH_IJSG_SG_SG_EEES9_SI_JZNS1_25segmented_radix_sort_implINS0_14default_configELb0EPKlPlSQ_SR_N2at6native12_GLOBAL__N_18offset_tEEE10hipError_tPvRmT1_PNSt15iterator_traitsISZ_E10value_typeET2_T3_PNS10_IS15_E10value_typeET4_jRbjT5_S1B_jjP12ihipStream_tbEUljE_ZNSN_ISO_Lb0ESQ_SR_SQ_SR_SV_EESW_SX_SY_SZ_S13_S14_S15_S18_S19_jS1A_jS1B_S1B_jjS1D_bEUljE0_EEESW_SX_SY_S15_S19_S1B_T6_T7_T9_mT8_S1D_bDpT10_ENKUlT_T0_E_clISt17integral_constantIbLb0EES1Q_IbLb1EEEEDaS1M_S1N_EUlS1M_E_NS1_11comp_targetILNS1_3genE9ELNS1_11target_archE1100ELNS1_3gpuE3ELNS1_3repE0EEENS1_30default_config_static_selectorELNS0_4arch9wavefront6targetE0EEEvSZ_.kd
    .uniform_work_group_size: 1
    .uses_dynamic_stack: false
    .vgpr_count:     0
    .vgpr_spill_count: 0
    .wavefront_size: 32
    .workgroup_processor_mode: 1
  - .args:
      - .offset:         0
        .size:           184
        .value_kind:     by_value
    .group_segment_fixed_size: 0
    .kernarg_segment_align: 8
    .kernarg_segment_size: 184
    .language:       OpenCL C
    .language_version:
      - 2
      - 0
    .max_flat_workgroup_size: 256
    .name:           _ZN7rocprim17ROCPRIM_400000_NS6detail17trampoline_kernelINS0_13select_configILj256ELj13ELNS0_17block_load_methodE3ELS4_3ELS4_3ELNS0_20block_scan_algorithmE0ELj4294967295EEENS1_25partition_config_selectorILNS1_17partition_subalgoE4EjNS0_10empty_typeEbEEZZNS1_14partition_implILS8_4ELb0ES6_15HIP_vector_typeIjLj2EENS0_17counting_iteratorIjlEEPS9_SG_NS0_5tupleIJPjSI_NS0_16reverse_iteratorISI_EEEEENSH_IJSG_SG_SG_EEES9_SI_JZNS1_25segmented_radix_sort_implINS0_14default_configELb0EPKlPlSQ_SR_N2at6native12_GLOBAL__N_18offset_tEEE10hipError_tPvRmT1_PNSt15iterator_traitsISZ_E10value_typeET2_T3_PNS10_IS15_E10value_typeET4_jRbjT5_S1B_jjP12ihipStream_tbEUljE_ZNSN_ISO_Lb0ESQ_SR_SQ_SR_SV_EESW_SX_SY_SZ_S13_S14_S15_S18_S19_jS1A_jS1B_S1B_jjS1D_bEUljE0_EEESW_SX_SY_S15_S19_S1B_T6_T7_T9_mT8_S1D_bDpT10_ENKUlT_T0_E_clISt17integral_constantIbLb0EES1Q_IbLb1EEEEDaS1M_S1N_EUlS1M_E_NS1_11comp_targetILNS1_3genE8ELNS1_11target_archE1030ELNS1_3gpuE2ELNS1_3repE0EEENS1_30default_config_static_selectorELNS0_4arch9wavefront6targetE0EEEvSZ_
    .private_segment_fixed_size: 0
    .sgpr_count:     0
    .sgpr_spill_count: 0
    .symbol:         _ZN7rocprim17ROCPRIM_400000_NS6detail17trampoline_kernelINS0_13select_configILj256ELj13ELNS0_17block_load_methodE3ELS4_3ELS4_3ELNS0_20block_scan_algorithmE0ELj4294967295EEENS1_25partition_config_selectorILNS1_17partition_subalgoE4EjNS0_10empty_typeEbEEZZNS1_14partition_implILS8_4ELb0ES6_15HIP_vector_typeIjLj2EENS0_17counting_iteratorIjlEEPS9_SG_NS0_5tupleIJPjSI_NS0_16reverse_iteratorISI_EEEEENSH_IJSG_SG_SG_EEES9_SI_JZNS1_25segmented_radix_sort_implINS0_14default_configELb0EPKlPlSQ_SR_N2at6native12_GLOBAL__N_18offset_tEEE10hipError_tPvRmT1_PNSt15iterator_traitsISZ_E10value_typeET2_T3_PNS10_IS15_E10value_typeET4_jRbjT5_S1B_jjP12ihipStream_tbEUljE_ZNSN_ISO_Lb0ESQ_SR_SQ_SR_SV_EESW_SX_SY_SZ_S13_S14_S15_S18_S19_jS1A_jS1B_S1B_jjS1D_bEUljE0_EEESW_SX_SY_S15_S19_S1B_T6_T7_T9_mT8_S1D_bDpT10_ENKUlT_T0_E_clISt17integral_constantIbLb0EES1Q_IbLb1EEEEDaS1M_S1N_EUlS1M_E_NS1_11comp_targetILNS1_3genE8ELNS1_11target_archE1030ELNS1_3gpuE2ELNS1_3repE0EEENS1_30default_config_static_selectorELNS0_4arch9wavefront6targetE0EEEvSZ_.kd
    .uniform_work_group_size: 1
    .uses_dynamic_stack: false
    .vgpr_count:     0
    .vgpr_spill_count: 0
    .wavefront_size: 32
    .workgroup_processor_mode: 1
  - .args:
      - .offset:         0
        .size:           144
        .value_kind:     by_value
    .group_segment_fixed_size: 0
    .kernarg_segment_align: 8
    .kernarg_segment_size: 144
    .language:       OpenCL C
    .language_version:
      - 2
      - 0
    .max_flat_workgroup_size: 256
    .name:           _ZN7rocprim17ROCPRIM_400000_NS6detail17trampoline_kernelINS0_13select_configILj256ELj13ELNS0_17block_load_methodE3ELS4_3ELS4_3ELNS0_20block_scan_algorithmE0ELj4294967295EEENS1_25partition_config_selectorILNS1_17partition_subalgoE3EjNS0_10empty_typeEbEEZZNS1_14partition_implILS8_3ELb0ES6_jNS0_17counting_iteratorIjlEEPS9_SE_NS0_5tupleIJPjSE_EEENSF_IJSE_SE_EEES9_SG_JZNS1_25segmented_radix_sort_implINS0_14default_configELb0EPKlPlSM_SN_N2at6native12_GLOBAL__N_18offset_tEEE10hipError_tPvRmT1_PNSt15iterator_traitsISV_E10value_typeET2_T3_PNSW_IS11_E10value_typeET4_jRbjT5_S17_jjP12ihipStream_tbEUljE_EEESS_ST_SU_S11_S15_S17_T6_T7_T9_mT8_S19_bDpT10_ENKUlT_T0_E_clISt17integral_constantIbLb0EES1M_EEDaS1H_S1I_EUlS1H_E_NS1_11comp_targetILNS1_3genE0ELNS1_11target_archE4294967295ELNS1_3gpuE0ELNS1_3repE0EEENS1_30default_config_static_selectorELNS0_4arch9wavefront6targetE0EEEvSV_
    .private_segment_fixed_size: 0
    .sgpr_count:     0
    .sgpr_spill_count: 0
    .symbol:         _ZN7rocprim17ROCPRIM_400000_NS6detail17trampoline_kernelINS0_13select_configILj256ELj13ELNS0_17block_load_methodE3ELS4_3ELS4_3ELNS0_20block_scan_algorithmE0ELj4294967295EEENS1_25partition_config_selectorILNS1_17partition_subalgoE3EjNS0_10empty_typeEbEEZZNS1_14partition_implILS8_3ELb0ES6_jNS0_17counting_iteratorIjlEEPS9_SE_NS0_5tupleIJPjSE_EEENSF_IJSE_SE_EEES9_SG_JZNS1_25segmented_radix_sort_implINS0_14default_configELb0EPKlPlSM_SN_N2at6native12_GLOBAL__N_18offset_tEEE10hipError_tPvRmT1_PNSt15iterator_traitsISV_E10value_typeET2_T3_PNSW_IS11_E10value_typeET4_jRbjT5_S17_jjP12ihipStream_tbEUljE_EEESS_ST_SU_S11_S15_S17_T6_T7_T9_mT8_S19_bDpT10_ENKUlT_T0_E_clISt17integral_constantIbLb0EES1M_EEDaS1H_S1I_EUlS1H_E_NS1_11comp_targetILNS1_3genE0ELNS1_11target_archE4294967295ELNS1_3gpuE0ELNS1_3repE0EEENS1_30default_config_static_selectorELNS0_4arch9wavefront6targetE0EEEvSV_.kd
    .uniform_work_group_size: 1
    .uses_dynamic_stack: false
    .vgpr_count:     0
    .vgpr_spill_count: 0
    .wavefront_size: 32
    .workgroup_processor_mode: 1
  - .args:
      - .offset:         0
        .size:           144
        .value_kind:     by_value
    .group_segment_fixed_size: 0
    .kernarg_segment_align: 8
    .kernarg_segment_size: 144
    .language:       OpenCL C
    .language_version:
      - 2
      - 0
    .max_flat_workgroup_size: 256
    .name:           _ZN7rocprim17ROCPRIM_400000_NS6detail17trampoline_kernelINS0_13select_configILj256ELj13ELNS0_17block_load_methodE3ELS4_3ELS4_3ELNS0_20block_scan_algorithmE0ELj4294967295EEENS1_25partition_config_selectorILNS1_17partition_subalgoE3EjNS0_10empty_typeEbEEZZNS1_14partition_implILS8_3ELb0ES6_jNS0_17counting_iteratorIjlEEPS9_SE_NS0_5tupleIJPjSE_EEENSF_IJSE_SE_EEES9_SG_JZNS1_25segmented_radix_sort_implINS0_14default_configELb0EPKlPlSM_SN_N2at6native12_GLOBAL__N_18offset_tEEE10hipError_tPvRmT1_PNSt15iterator_traitsISV_E10value_typeET2_T3_PNSW_IS11_E10value_typeET4_jRbjT5_S17_jjP12ihipStream_tbEUljE_EEESS_ST_SU_S11_S15_S17_T6_T7_T9_mT8_S19_bDpT10_ENKUlT_T0_E_clISt17integral_constantIbLb0EES1M_EEDaS1H_S1I_EUlS1H_E_NS1_11comp_targetILNS1_3genE5ELNS1_11target_archE942ELNS1_3gpuE9ELNS1_3repE0EEENS1_30default_config_static_selectorELNS0_4arch9wavefront6targetE0EEEvSV_
    .private_segment_fixed_size: 0
    .sgpr_count:     0
    .sgpr_spill_count: 0
    .symbol:         _ZN7rocprim17ROCPRIM_400000_NS6detail17trampoline_kernelINS0_13select_configILj256ELj13ELNS0_17block_load_methodE3ELS4_3ELS4_3ELNS0_20block_scan_algorithmE0ELj4294967295EEENS1_25partition_config_selectorILNS1_17partition_subalgoE3EjNS0_10empty_typeEbEEZZNS1_14partition_implILS8_3ELb0ES6_jNS0_17counting_iteratorIjlEEPS9_SE_NS0_5tupleIJPjSE_EEENSF_IJSE_SE_EEES9_SG_JZNS1_25segmented_radix_sort_implINS0_14default_configELb0EPKlPlSM_SN_N2at6native12_GLOBAL__N_18offset_tEEE10hipError_tPvRmT1_PNSt15iterator_traitsISV_E10value_typeET2_T3_PNSW_IS11_E10value_typeET4_jRbjT5_S17_jjP12ihipStream_tbEUljE_EEESS_ST_SU_S11_S15_S17_T6_T7_T9_mT8_S19_bDpT10_ENKUlT_T0_E_clISt17integral_constantIbLb0EES1M_EEDaS1H_S1I_EUlS1H_E_NS1_11comp_targetILNS1_3genE5ELNS1_11target_archE942ELNS1_3gpuE9ELNS1_3repE0EEENS1_30default_config_static_selectorELNS0_4arch9wavefront6targetE0EEEvSV_.kd
    .uniform_work_group_size: 1
    .uses_dynamic_stack: false
    .vgpr_count:     0
    .vgpr_spill_count: 0
    .wavefront_size: 32
    .workgroup_processor_mode: 1
  - .args:
      - .offset:         0
        .size:           144
        .value_kind:     by_value
    .group_segment_fixed_size: 0
    .kernarg_segment_align: 8
    .kernarg_segment_size: 144
    .language:       OpenCL C
    .language_version:
      - 2
      - 0
    .max_flat_workgroup_size: 256
    .name:           _ZN7rocprim17ROCPRIM_400000_NS6detail17trampoline_kernelINS0_13select_configILj256ELj13ELNS0_17block_load_methodE3ELS4_3ELS4_3ELNS0_20block_scan_algorithmE0ELj4294967295EEENS1_25partition_config_selectorILNS1_17partition_subalgoE3EjNS0_10empty_typeEbEEZZNS1_14partition_implILS8_3ELb0ES6_jNS0_17counting_iteratorIjlEEPS9_SE_NS0_5tupleIJPjSE_EEENSF_IJSE_SE_EEES9_SG_JZNS1_25segmented_radix_sort_implINS0_14default_configELb0EPKlPlSM_SN_N2at6native12_GLOBAL__N_18offset_tEEE10hipError_tPvRmT1_PNSt15iterator_traitsISV_E10value_typeET2_T3_PNSW_IS11_E10value_typeET4_jRbjT5_S17_jjP12ihipStream_tbEUljE_EEESS_ST_SU_S11_S15_S17_T6_T7_T9_mT8_S19_bDpT10_ENKUlT_T0_E_clISt17integral_constantIbLb0EES1M_EEDaS1H_S1I_EUlS1H_E_NS1_11comp_targetILNS1_3genE4ELNS1_11target_archE910ELNS1_3gpuE8ELNS1_3repE0EEENS1_30default_config_static_selectorELNS0_4arch9wavefront6targetE0EEEvSV_
    .private_segment_fixed_size: 0
    .sgpr_count:     0
    .sgpr_spill_count: 0
    .symbol:         _ZN7rocprim17ROCPRIM_400000_NS6detail17trampoline_kernelINS0_13select_configILj256ELj13ELNS0_17block_load_methodE3ELS4_3ELS4_3ELNS0_20block_scan_algorithmE0ELj4294967295EEENS1_25partition_config_selectorILNS1_17partition_subalgoE3EjNS0_10empty_typeEbEEZZNS1_14partition_implILS8_3ELb0ES6_jNS0_17counting_iteratorIjlEEPS9_SE_NS0_5tupleIJPjSE_EEENSF_IJSE_SE_EEES9_SG_JZNS1_25segmented_radix_sort_implINS0_14default_configELb0EPKlPlSM_SN_N2at6native12_GLOBAL__N_18offset_tEEE10hipError_tPvRmT1_PNSt15iterator_traitsISV_E10value_typeET2_T3_PNSW_IS11_E10value_typeET4_jRbjT5_S17_jjP12ihipStream_tbEUljE_EEESS_ST_SU_S11_S15_S17_T6_T7_T9_mT8_S19_bDpT10_ENKUlT_T0_E_clISt17integral_constantIbLb0EES1M_EEDaS1H_S1I_EUlS1H_E_NS1_11comp_targetILNS1_3genE4ELNS1_11target_archE910ELNS1_3gpuE8ELNS1_3repE0EEENS1_30default_config_static_selectorELNS0_4arch9wavefront6targetE0EEEvSV_.kd
    .uniform_work_group_size: 1
    .uses_dynamic_stack: false
    .vgpr_count:     0
    .vgpr_spill_count: 0
    .wavefront_size: 32
    .workgroup_processor_mode: 1
  - .args:
      - .offset:         0
        .size:           144
        .value_kind:     by_value
    .group_segment_fixed_size: 0
    .kernarg_segment_align: 8
    .kernarg_segment_size: 144
    .language:       OpenCL C
    .language_version:
      - 2
      - 0
    .max_flat_workgroup_size: 256
    .name:           _ZN7rocprim17ROCPRIM_400000_NS6detail17trampoline_kernelINS0_13select_configILj256ELj13ELNS0_17block_load_methodE3ELS4_3ELS4_3ELNS0_20block_scan_algorithmE0ELj4294967295EEENS1_25partition_config_selectorILNS1_17partition_subalgoE3EjNS0_10empty_typeEbEEZZNS1_14partition_implILS8_3ELb0ES6_jNS0_17counting_iteratorIjlEEPS9_SE_NS0_5tupleIJPjSE_EEENSF_IJSE_SE_EEES9_SG_JZNS1_25segmented_radix_sort_implINS0_14default_configELb0EPKlPlSM_SN_N2at6native12_GLOBAL__N_18offset_tEEE10hipError_tPvRmT1_PNSt15iterator_traitsISV_E10value_typeET2_T3_PNSW_IS11_E10value_typeET4_jRbjT5_S17_jjP12ihipStream_tbEUljE_EEESS_ST_SU_S11_S15_S17_T6_T7_T9_mT8_S19_bDpT10_ENKUlT_T0_E_clISt17integral_constantIbLb0EES1M_EEDaS1H_S1I_EUlS1H_E_NS1_11comp_targetILNS1_3genE3ELNS1_11target_archE908ELNS1_3gpuE7ELNS1_3repE0EEENS1_30default_config_static_selectorELNS0_4arch9wavefront6targetE0EEEvSV_
    .private_segment_fixed_size: 0
    .sgpr_count:     0
    .sgpr_spill_count: 0
    .symbol:         _ZN7rocprim17ROCPRIM_400000_NS6detail17trampoline_kernelINS0_13select_configILj256ELj13ELNS0_17block_load_methodE3ELS4_3ELS4_3ELNS0_20block_scan_algorithmE0ELj4294967295EEENS1_25partition_config_selectorILNS1_17partition_subalgoE3EjNS0_10empty_typeEbEEZZNS1_14partition_implILS8_3ELb0ES6_jNS0_17counting_iteratorIjlEEPS9_SE_NS0_5tupleIJPjSE_EEENSF_IJSE_SE_EEES9_SG_JZNS1_25segmented_radix_sort_implINS0_14default_configELb0EPKlPlSM_SN_N2at6native12_GLOBAL__N_18offset_tEEE10hipError_tPvRmT1_PNSt15iterator_traitsISV_E10value_typeET2_T3_PNSW_IS11_E10value_typeET4_jRbjT5_S17_jjP12ihipStream_tbEUljE_EEESS_ST_SU_S11_S15_S17_T6_T7_T9_mT8_S19_bDpT10_ENKUlT_T0_E_clISt17integral_constantIbLb0EES1M_EEDaS1H_S1I_EUlS1H_E_NS1_11comp_targetILNS1_3genE3ELNS1_11target_archE908ELNS1_3gpuE7ELNS1_3repE0EEENS1_30default_config_static_selectorELNS0_4arch9wavefront6targetE0EEEvSV_.kd
    .uniform_work_group_size: 1
    .uses_dynamic_stack: false
    .vgpr_count:     0
    .vgpr_spill_count: 0
    .wavefront_size: 32
    .workgroup_processor_mode: 1
  - .args:
      - .offset:         0
        .size:           144
        .value_kind:     by_value
    .group_segment_fixed_size: 0
    .kernarg_segment_align: 8
    .kernarg_segment_size: 144
    .language:       OpenCL C
    .language_version:
      - 2
      - 0
    .max_flat_workgroup_size: 256
    .name:           _ZN7rocprim17ROCPRIM_400000_NS6detail17trampoline_kernelINS0_13select_configILj256ELj13ELNS0_17block_load_methodE3ELS4_3ELS4_3ELNS0_20block_scan_algorithmE0ELj4294967295EEENS1_25partition_config_selectorILNS1_17partition_subalgoE3EjNS0_10empty_typeEbEEZZNS1_14partition_implILS8_3ELb0ES6_jNS0_17counting_iteratorIjlEEPS9_SE_NS0_5tupleIJPjSE_EEENSF_IJSE_SE_EEES9_SG_JZNS1_25segmented_radix_sort_implINS0_14default_configELb0EPKlPlSM_SN_N2at6native12_GLOBAL__N_18offset_tEEE10hipError_tPvRmT1_PNSt15iterator_traitsISV_E10value_typeET2_T3_PNSW_IS11_E10value_typeET4_jRbjT5_S17_jjP12ihipStream_tbEUljE_EEESS_ST_SU_S11_S15_S17_T6_T7_T9_mT8_S19_bDpT10_ENKUlT_T0_E_clISt17integral_constantIbLb0EES1M_EEDaS1H_S1I_EUlS1H_E_NS1_11comp_targetILNS1_3genE2ELNS1_11target_archE906ELNS1_3gpuE6ELNS1_3repE0EEENS1_30default_config_static_selectorELNS0_4arch9wavefront6targetE0EEEvSV_
    .private_segment_fixed_size: 0
    .sgpr_count:     0
    .sgpr_spill_count: 0
    .symbol:         _ZN7rocprim17ROCPRIM_400000_NS6detail17trampoline_kernelINS0_13select_configILj256ELj13ELNS0_17block_load_methodE3ELS4_3ELS4_3ELNS0_20block_scan_algorithmE0ELj4294967295EEENS1_25partition_config_selectorILNS1_17partition_subalgoE3EjNS0_10empty_typeEbEEZZNS1_14partition_implILS8_3ELb0ES6_jNS0_17counting_iteratorIjlEEPS9_SE_NS0_5tupleIJPjSE_EEENSF_IJSE_SE_EEES9_SG_JZNS1_25segmented_radix_sort_implINS0_14default_configELb0EPKlPlSM_SN_N2at6native12_GLOBAL__N_18offset_tEEE10hipError_tPvRmT1_PNSt15iterator_traitsISV_E10value_typeET2_T3_PNSW_IS11_E10value_typeET4_jRbjT5_S17_jjP12ihipStream_tbEUljE_EEESS_ST_SU_S11_S15_S17_T6_T7_T9_mT8_S19_bDpT10_ENKUlT_T0_E_clISt17integral_constantIbLb0EES1M_EEDaS1H_S1I_EUlS1H_E_NS1_11comp_targetILNS1_3genE2ELNS1_11target_archE906ELNS1_3gpuE6ELNS1_3repE0EEENS1_30default_config_static_selectorELNS0_4arch9wavefront6targetE0EEEvSV_.kd
    .uniform_work_group_size: 1
    .uses_dynamic_stack: false
    .vgpr_count:     0
    .vgpr_spill_count: 0
    .wavefront_size: 32
    .workgroup_processor_mode: 1
  - .args:
      - .offset:         0
        .size:           144
        .value_kind:     by_value
    .group_segment_fixed_size: 13320
    .kernarg_segment_align: 8
    .kernarg_segment_size: 144
    .language:       OpenCL C
    .language_version:
      - 2
      - 0
    .max_flat_workgroup_size: 256
    .name:           _ZN7rocprim17ROCPRIM_400000_NS6detail17trampoline_kernelINS0_13select_configILj256ELj13ELNS0_17block_load_methodE3ELS4_3ELS4_3ELNS0_20block_scan_algorithmE0ELj4294967295EEENS1_25partition_config_selectorILNS1_17partition_subalgoE3EjNS0_10empty_typeEbEEZZNS1_14partition_implILS8_3ELb0ES6_jNS0_17counting_iteratorIjlEEPS9_SE_NS0_5tupleIJPjSE_EEENSF_IJSE_SE_EEES9_SG_JZNS1_25segmented_radix_sort_implINS0_14default_configELb0EPKlPlSM_SN_N2at6native12_GLOBAL__N_18offset_tEEE10hipError_tPvRmT1_PNSt15iterator_traitsISV_E10value_typeET2_T3_PNSW_IS11_E10value_typeET4_jRbjT5_S17_jjP12ihipStream_tbEUljE_EEESS_ST_SU_S11_S15_S17_T6_T7_T9_mT8_S19_bDpT10_ENKUlT_T0_E_clISt17integral_constantIbLb0EES1M_EEDaS1H_S1I_EUlS1H_E_NS1_11comp_targetILNS1_3genE10ELNS1_11target_archE1200ELNS1_3gpuE4ELNS1_3repE0EEENS1_30default_config_static_selectorELNS0_4arch9wavefront6targetE0EEEvSV_
    .private_segment_fixed_size: 0
    .sgpr_count:     28
    .sgpr_spill_count: 0
    .symbol:         _ZN7rocprim17ROCPRIM_400000_NS6detail17trampoline_kernelINS0_13select_configILj256ELj13ELNS0_17block_load_methodE3ELS4_3ELS4_3ELNS0_20block_scan_algorithmE0ELj4294967295EEENS1_25partition_config_selectorILNS1_17partition_subalgoE3EjNS0_10empty_typeEbEEZZNS1_14partition_implILS8_3ELb0ES6_jNS0_17counting_iteratorIjlEEPS9_SE_NS0_5tupleIJPjSE_EEENSF_IJSE_SE_EEES9_SG_JZNS1_25segmented_radix_sort_implINS0_14default_configELb0EPKlPlSM_SN_N2at6native12_GLOBAL__N_18offset_tEEE10hipError_tPvRmT1_PNSt15iterator_traitsISV_E10value_typeET2_T3_PNSW_IS11_E10value_typeET4_jRbjT5_S17_jjP12ihipStream_tbEUljE_EEESS_ST_SU_S11_S15_S17_T6_T7_T9_mT8_S19_bDpT10_ENKUlT_T0_E_clISt17integral_constantIbLb0EES1M_EEDaS1H_S1I_EUlS1H_E_NS1_11comp_targetILNS1_3genE10ELNS1_11target_archE1200ELNS1_3gpuE4ELNS1_3repE0EEENS1_30default_config_static_selectorELNS0_4arch9wavefront6targetE0EEEvSV_.kd
    .uniform_work_group_size: 1
    .uses_dynamic_stack: false
    .vgpr_count:     69
    .vgpr_spill_count: 0
    .wavefront_size: 32
    .workgroup_processor_mode: 1
  - .args:
      - .offset:         0
        .size:           144
        .value_kind:     by_value
    .group_segment_fixed_size: 0
    .kernarg_segment_align: 8
    .kernarg_segment_size: 144
    .language:       OpenCL C
    .language_version:
      - 2
      - 0
    .max_flat_workgroup_size: 256
    .name:           _ZN7rocprim17ROCPRIM_400000_NS6detail17trampoline_kernelINS0_13select_configILj256ELj13ELNS0_17block_load_methodE3ELS4_3ELS4_3ELNS0_20block_scan_algorithmE0ELj4294967295EEENS1_25partition_config_selectorILNS1_17partition_subalgoE3EjNS0_10empty_typeEbEEZZNS1_14partition_implILS8_3ELb0ES6_jNS0_17counting_iteratorIjlEEPS9_SE_NS0_5tupleIJPjSE_EEENSF_IJSE_SE_EEES9_SG_JZNS1_25segmented_radix_sort_implINS0_14default_configELb0EPKlPlSM_SN_N2at6native12_GLOBAL__N_18offset_tEEE10hipError_tPvRmT1_PNSt15iterator_traitsISV_E10value_typeET2_T3_PNSW_IS11_E10value_typeET4_jRbjT5_S17_jjP12ihipStream_tbEUljE_EEESS_ST_SU_S11_S15_S17_T6_T7_T9_mT8_S19_bDpT10_ENKUlT_T0_E_clISt17integral_constantIbLb0EES1M_EEDaS1H_S1I_EUlS1H_E_NS1_11comp_targetILNS1_3genE9ELNS1_11target_archE1100ELNS1_3gpuE3ELNS1_3repE0EEENS1_30default_config_static_selectorELNS0_4arch9wavefront6targetE0EEEvSV_
    .private_segment_fixed_size: 0
    .sgpr_count:     0
    .sgpr_spill_count: 0
    .symbol:         _ZN7rocprim17ROCPRIM_400000_NS6detail17trampoline_kernelINS0_13select_configILj256ELj13ELNS0_17block_load_methodE3ELS4_3ELS4_3ELNS0_20block_scan_algorithmE0ELj4294967295EEENS1_25partition_config_selectorILNS1_17partition_subalgoE3EjNS0_10empty_typeEbEEZZNS1_14partition_implILS8_3ELb0ES6_jNS0_17counting_iteratorIjlEEPS9_SE_NS0_5tupleIJPjSE_EEENSF_IJSE_SE_EEES9_SG_JZNS1_25segmented_radix_sort_implINS0_14default_configELb0EPKlPlSM_SN_N2at6native12_GLOBAL__N_18offset_tEEE10hipError_tPvRmT1_PNSt15iterator_traitsISV_E10value_typeET2_T3_PNSW_IS11_E10value_typeET4_jRbjT5_S17_jjP12ihipStream_tbEUljE_EEESS_ST_SU_S11_S15_S17_T6_T7_T9_mT8_S19_bDpT10_ENKUlT_T0_E_clISt17integral_constantIbLb0EES1M_EEDaS1H_S1I_EUlS1H_E_NS1_11comp_targetILNS1_3genE9ELNS1_11target_archE1100ELNS1_3gpuE3ELNS1_3repE0EEENS1_30default_config_static_selectorELNS0_4arch9wavefront6targetE0EEEvSV_.kd
    .uniform_work_group_size: 1
    .uses_dynamic_stack: false
    .vgpr_count:     0
    .vgpr_spill_count: 0
    .wavefront_size: 32
    .workgroup_processor_mode: 1
  - .args:
      - .offset:         0
        .size:           144
        .value_kind:     by_value
    .group_segment_fixed_size: 0
    .kernarg_segment_align: 8
    .kernarg_segment_size: 144
    .language:       OpenCL C
    .language_version:
      - 2
      - 0
    .max_flat_workgroup_size: 256
    .name:           _ZN7rocprim17ROCPRIM_400000_NS6detail17trampoline_kernelINS0_13select_configILj256ELj13ELNS0_17block_load_methodE3ELS4_3ELS4_3ELNS0_20block_scan_algorithmE0ELj4294967295EEENS1_25partition_config_selectorILNS1_17partition_subalgoE3EjNS0_10empty_typeEbEEZZNS1_14partition_implILS8_3ELb0ES6_jNS0_17counting_iteratorIjlEEPS9_SE_NS0_5tupleIJPjSE_EEENSF_IJSE_SE_EEES9_SG_JZNS1_25segmented_radix_sort_implINS0_14default_configELb0EPKlPlSM_SN_N2at6native12_GLOBAL__N_18offset_tEEE10hipError_tPvRmT1_PNSt15iterator_traitsISV_E10value_typeET2_T3_PNSW_IS11_E10value_typeET4_jRbjT5_S17_jjP12ihipStream_tbEUljE_EEESS_ST_SU_S11_S15_S17_T6_T7_T9_mT8_S19_bDpT10_ENKUlT_T0_E_clISt17integral_constantIbLb0EES1M_EEDaS1H_S1I_EUlS1H_E_NS1_11comp_targetILNS1_3genE8ELNS1_11target_archE1030ELNS1_3gpuE2ELNS1_3repE0EEENS1_30default_config_static_selectorELNS0_4arch9wavefront6targetE0EEEvSV_
    .private_segment_fixed_size: 0
    .sgpr_count:     0
    .sgpr_spill_count: 0
    .symbol:         _ZN7rocprim17ROCPRIM_400000_NS6detail17trampoline_kernelINS0_13select_configILj256ELj13ELNS0_17block_load_methodE3ELS4_3ELS4_3ELNS0_20block_scan_algorithmE0ELj4294967295EEENS1_25partition_config_selectorILNS1_17partition_subalgoE3EjNS0_10empty_typeEbEEZZNS1_14partition_implILS8_3ELb0ES6_jNS0_17counting_iteratorIjlEEPS9_SE_NS0_5tupleIJPjSE_EEENSF_IJSE_SE_EEES9_SG_JZNS1_25segmented_radix_sort_implINS0_14default_configELb0EPKlPlSM_SN_N2at6native12_GLOBAL__N_18offset_tEEE10hipError_tPvRmT1_PNSt15iterator_traitsISV_E10value_typeET2_T3_PNSW_IS11_E10value_typeET4_jRbjT5_S17_jjP12ihipStream_tbEUljE_EEESS_ST_SU_S11_S15_S17_T6_T7_T9_mT8_S19_bDpT10_ENKUlT_T0_E_clISt17integral_constantIbLb0EES1M_EEDaS1H_S1I_EUlS1H_E_NS1_11comp_targetILNS1_3genE8ELNS1_11target_archE1030ELNS1_3gpuE2ELNS1_3repE0EEENS1_30default_config_static_selectorELNS0_4arch9wavefront6targetE0EEEvSV_.kd
    .uniform_work_group_size: 1
    .uses_dynamic_stack: false
    .vgpr_count:     0
    .vgpr_spill_count: 0
    .wavefront_size: 32
    .workgroup_processor_mode: 1
  - .args:
      - .offset:         0
        .size:           152
        .value_kind:     by_value
    .group_segment_fixed_size: 0
    .kernarg_segment_align: 8
    .kernarg_segment_size: 152
    .language:       OpenCL C
    .language_version:
      - 2
      - 0
    .max_flat_workgroup_size: 256
    .name:           _ZN7rocprim17ROCPRIM_400000_NS6detail17trampoline_kernelINS0_13select_configILj256ELj13ELNS0_17block_load_methodE3ELS4_3ELS4_3ELNS0_20block_scan_algorithmE0ELj4294967295EEENS1_25partition_config_selectorILNS1_17partition_subalgoE3EjNS0_10empty_typeEbEEZZNS1_14partition_implILS8_3ELb0ES6_jNS0_17counting_iteratorIjlEEPS9_SE_NS0_5tupleIJPjSE_EEENSF_IJSE_SE_EEES9_SG_JZNS1_25segmented_radix_sort_implINS0_14default_configELb0EPKlPlSM_SN_N2at6native12_GLOBAL__N_18offset_tEEE10hipError_tPvRmT1_PNSt15iterator_traitsISV_E10value_typeET2_T3_PNSW_IS11_E10value_typeET4_jRbjT5_S17_jjP12ihipStream_tbEUljE_EEESS_ST_SU_S11_S15_S17_T6_T7_T9_mT8_S19_bDpT10_ENKUlT_T0_E_clISt17integral_constantIbLb1EES1M_EEDaS1H_S1I_EUlS1H_E_NS1_11comp_targetILNS1_3genE0ELNS1_11target_archE4294967295ELNS1_3gpuE0ELNS1_3repE0EEENS1_30default_config_static_selectorELNS0_4arch9wavefront6targetE0EEEvSV_
    .private_segment_fixed_size: 0
    .sgpr_count:     0
    .sgpr_spill_count: 0
    .symbol:         _ZN7rocprim17ROCPRIM_400000_NS6detail17trampoline_kernelINS0_13select_configILj256ELj13ELNS0_17block_load_methodE3ELS4_3ELS4_3ELNS0_20block_scan_algorithmE0ELj4294967295EEENS1_25partition_config_selectorILNS1_17partition_subalgoE3EjNS0_10empty_typeEbEEZZNS1_14partition_implILS8_3ELb0ES6_jNS0_17counting_iteratorIjlEEPS9_SE_NS0_5tupleIJPjSE_EEENSF_IJSE_SE_EEES9_SG_JZNS1_25segmented_radix_sort_implINS0_14default_configELb0EPKlPlSM_SN_N2at6native12_GLOBAL__N_18offset_tEEE10hipError_tPvRmT1_PNSt15iterator_traitsISV_E10value_typeET2_T3_PNSW_IS11_E10value_typeET4_jRbjT5_S17_jjP12ihipStream_tbEUljE_EEESS_ST_SU_S11_S15_S17_T6_T7_T9_mT8_S19_bDpT10_ENKUlT_T0_E_clISt17integral_constantIbLb1EES1M_EEDaS1H_S1I_EUlS1H_E_NS1_11comp_targetILNS1_3genE0ELNS1_11target_archE4294967295ELNS1_3gpuE0ELNS1_3repE0EEENS1_30default_config_static_selectorELNS0_4arch9wavefront6targetE0EEEvSV_.kd
    .uniform_work_group_size: 1
    .uses_dynamic_stack: false
    .vgpr_count:     0
    .vgpr_spill_count: 0
    .wavefront_size: 32
    .workgroup_processor_mode: 1
  - .args:
      - .offset:         0
        .size:           152
        .value_kind:     by_value
    .group_segment_fixed_size: 0
    .kernarg_segment_align: 8
    .kernarg_segment_size: 152
    .language:       OpenCL C
    .language_version:
      - 2
      - 0
    .max_flat_workgroup_size: 256
    .name:           _ZN7rocprim17ROCPRIM_400000_NS6detail17trampoline_kernelINS0_13select_configILj256ELj13ELNS0_17block_load_methodE3ELS4_3ELS4_3ELNS0_20block_scan_algorithmE0ELj4294967295EEENS1_25partition_config_selectorILNS1_17partition_subalgoE3EjNS0_10empty_typeEbEEZZNS1_14partition_implILS8_3ELb0ES6_jNS0_17counting_iteratorIjlEEPS9_SE_NS0_5tupleIJPjSE_EEENSF_IJSE_SE_EEES9_SG_JZNS1_25segmented_radix_sort_implINS0_14default_configELb0EPKlPlSM_SN_N2at6native12_GLOBAL__N_18offset_tEEE10hipError_tPvRmT1_PNSt15iterator_traitsISV_E10value_typeET2_T3_PNSW_IS11_E10value_typeET4_jRbjT5_S17_jjP12ihipStream_tbEUljE_EEESS_ST_SU_S11_S15_S17_T6_T7_T9_mT8_S19_bDpT10_ENKUlT_T0_E_clISt17integral_constantIbLb1EES1M_EEDaS1H_S1I_EUlS1H_E_NS1_11comp_targetILNS1_3genE5ELNS1_11target_archE942ELNS1_3gpuE9ELNS1_3repE0EEENS1_30default_config_static_selectorELNS0_4arch9wavefront6targetE0EEEvSV_
    .private_segment_fixed_size: 0
    .sgpr_count:     0
    .sgpr_spill_count: 0
    .symbol:         _ZN7rocprim17ROCPRIM_400000_NS6detail17trampoline_kernelINS0_13select_configILj256ELj13ELNS0_17block_load_methodE3ELS4_3ELS4_3ELNS0_20block_scan_algorithmE0ELj4294967295EEENS1_25partition_config_selectorILNS1_17partition_subalgoE3EjNS0_10empty_typeEbEEZZNS1_14partition_implILS8_3ELb0ES6_jNS0_17counting_iteratorIjlEEPS9_SE_NS0_5tupleIJPjSE_EEENSF_IJSE_SE_EEES9_SG_JZNS1_25segmented_radix_sort_implINS0_14default_configELb0EPKlPlSM_SN_N2at6native12_GLOBAL__N_18offset_tEEE10hipError_tPvRmT1_PNSt15iterator_traitsISV_E10value_typeET2_T3_PNSW_IS11_E10value_typeET4_jRbjT5_S17_jjP12ihipStream_tbEUljE_EEESS_ST_SU_S11_S15_S17_T6_T7_T9_mT8_S19_bDpT10_ENKUlT_T0_E_clISt17integral_constantIbLb1EES1M_EEDaS1H_S1I_EUlS1H_E_NS1_11comp_targetILNS1_3genE5ELNS1_11target_archE942ELNS1_3gpuE9ELNS1_3repE0EEENS1_30default_config_static_selectorELNS0_4arch9wavefront6targetE0EEEvSV_.kd
    .uniform_work_group_size: 1
    .uses_dynamic_stack: false
    .vgpr_count:     0
    .vgpr_spill_count: 0
    .wavefront_size: 32
    .workgroup_processor_mode: 1
  - .args:
      - .offset:         0
        .size:           152
        .value_kind:     by_value
    .group_segment_fixed_size: 0
    .kernarg_segment_align: 8
    .kernarg_segment_size: 152
    .language:       OpenCL C
    .language_version:
      - 2
      - 0
    .max_flat_workgroup_size: 256
    .name:           _ZN7rocprim17ROCPRIM_400000_NS6detail17trampoline_kernelINS0_13select_configILj256ELj13ELNS0_17block_load_methodE3ELS4_3ELS4_3ELNS0_20block_scan_algorithmE0ELj4294967295EEENS1_25partition_config_selectorILNS1_17partition_subalgoE3EjNS0_10empty_typeEbEEZZNS1_14partition_implILS8_3ELb0ES6_jNS0_17counting_iteratorIjlEEPS9_SE_NS0_5tupleIJPjSE_EEENSF_IJSE_SE_EEES9_SG_JZNS1_25segmented_radix_sort_implINS0_14default_configELb0EPKlPlSM_SN_N2at6native12_GLOBAL__N_18offset_tEEE10hipError_tPvRmT1_PNSt15iterator_traitsISV_E10value_typeET2_T3_PNSW_IS11_E10value_typeET4_jRbjT5_S17_jjP12ihipStream_tbEUljE_EEESS_ST_SU_S11_S15_S17_T6_T7_T9_mT8_S19_bDpT10_ENKUlT_T0_E_clISt17integral_constantIbLb1EES1M_EEDaS1H_S1I_EUlS1H_E_NS1_11comp_targetILNS1_3genE4ELNS1_11target_archE910ELNS1_3gpuE8ELNS1_3repE0EEENS1_30default_config_static_selectorELNS0_4arch9wavefront6targetE0EEEvSV_
    .private_segment_fixed_size: 0
    .sgpr_count:     0
    .sgpr_spill_count: 0
    .symbol:         _ZN7rocprim17ROCPRIM_400000_NS6detail17trampoline_kernelINS0_13select_configILj256ELj13ELNS0_17block_load_methodE3ELS4_3ELS4_3ELNS0_20block_scan_algorithmE0ELj4294967295EEENS1_25partition_config_selectorILNS1_17partition_subalgoE3EjNS0_10empty_typeEbEEZZNS1_14partition_implILS8_3ELb0ES6_jNS0_17counting_iteratorIjlEEPS9_SE_NS0_5tupleIJPjSE_EEENSF_IJSE_SE_EEES9_SG_JZNS1_25segmented_radix_sort_implINS0_14default_configELb0EPKlPlSM_SN_N2at6native12_GLOBAL__N_18offset_tEEE10hipError_tPvRmT1_PNSt15iterator_traitsISV_E10value_typeET2_T3_PNSW_IS11_E10value_typeET4_jRbjT5_S17_jjP12ihipStream_tbEUljE_EEESS_ST_SU_S11_S15_S17_T6_T7_T9_mT8_S19_bDpT10_ENKUlT_T0_E_clISt17integral_constantIbLb1EES1M_EEDaS1H_S1I_EUlS1H_E_NS1_11comp_targetILNS1_3genE4ELNS1_11target_archE910ELNS1_3gpuE8ELNS1_3repE0EEENS1_30default_config_static_selectorELNS0_4arch9wavefront6targetE0EEEvSV_.kd
    .uniform_work_group_size: 1
    .uses_dynamic_stack: false
    .vgpr_count:     0
    .vgpr_spill_count: 0
    .wavefront_size: 32
    .workgroup_processor_mode: 1
  - .args:
      - .offset:         0
        .size:           152
        .value_kind:     by_value
    .group_segment_fixed_size: 0
    .kernarg_segment_align: 8
    .kernarg_segment_size: 152
    .language:       OpenCL C
    .language_version:
      - 2
      - 0
    .max_flat_workgroup_size: 256
    .name:           _ZN7rocprim17ROCPRIM_400000_NS6detail17trampoline_kernelINS0_13select_configILj256ELj13ELNS0_17block_load_methodE3ELS4_3ELS4_3ELNS0_20block_scan_algorithmE0ELj4294967295EEENS1_25partition_config_selectorILNS1_17partition_subalgoE3EjNS0_10empty_typeEbEEZZNS1_14partition_implILS8_3ELb0ES6_jNS0_17counting_iteratorIjlEEPS9_SE_NS0_5tupleIJPjSE_EEENSF_IJSE_SE_EEES9_SG_JZNS1_25segmented_radix_sort_implINS0_14default_configELb0EPKlPlSM_SN_N2at6native12_GLOBAL__N_18offset_tEEE10hipError_tPvRmT1_PNSt15iterator_traitsISV_E10value_typeET2_T3_PNSW_IS11_E10value_typeET4_jRbjT5_S17_jjP12ihipStream_tbEUljE_EEESS_ST_SU_S11_S15_S17_T6_T7_T9_mT8_S19_bDpT10_ENKUlT_T0_E_clISt17integral_constantIbLb1EES1M_EEDaS1H_S1I_EUlS1H_E_NS1_11comp_targetILNS1_3genE3ELNS1_11target_archE908ELNS1_3gpuE7ELNS1_3repE0EEENS1_30default_config_static_selectorELNS0_4arch9wavefront6targetE0EEEvSV_
    .private_segment_fixed_size: 0
    .sgpr_count:     0
    .sgpr_spill_count: 0
    .symbol:         _ZN7rocprim17ROCPRIM_400000_NS6detail17trampoline_kernelINS0_13select_configILj256ELj13ELNS0_17block_load_methodE3ELS4_3ELS4_3ELNS0_20block_scan_algorithmE0ELj4294967295EEENS1_25partition_config_selectorILNS1_17partition_subalgoE3EjNS0_10empty_typeEbEEZZNS1_14partition_implILS8_3ELb0ES6_jNS0_17counting_iteratorIjlEEPS9_SE_NS0_5tupleIJPjSE_EEENSF_IJSE_SE_EEES9_SG_JZNS1_25segmented_radix_sort_implINS0_14default_configELb0EPKlPlSM_SN_N2at6native12_GLOBAL__N_18offset_tEEE10hipError_tPvRmT1_PNSt15iterator_traitsISV_E10value_typeET2_T3_PNSW_IS11_E10value_typeET4_jRbjT5_S17_jjP12ihipStream_tbEUljE_EEESS_ST_SU_S11_S15_S17_T6_T7_T9_mT8_S19_bDpT10_ENKUlT_T0_E_clISt17integral_constantIbLb1EES1M_EEDaS1H_S1I_EUlS1H_E_NS1_11comp_targetILNS1_3genE3ELNS1_11target_archE908ELNS1_3gpuE7ELNS1_3repE0EEENS1_30default_config_static_selectorELNS0_4arch9wavefront6targetE0EEEvSV_.kd
    .uniform_work_group_size: 1
    .uses_dynamic_stack: false
    .vgpr_count:     0
    .vgpr_spill_count: 0
    .wavefront_size: 32
    .workgroup_processor_mode: 1
  - .args:
      - .offset:         0
        .size:           152
        .value_kind:     by_value
    .group_segment_fixed_size: 0
    .kernarg_segment_align: 8
    .kernarg_segment_size: 152
    .language:       OpenCL C
    .language_version:
      - 2
      - 0
    .max_flat_workgroup_size: 256
    .name:           _ZN7rocprim17ROCPRIM_400000_NS6detail17trampoline_kernelINS0_13select_configILj256ELj13ELNS0_17block_load_methodE3ELS4_3ELS4_3ELNS0_20block_scan_algorithmE0ELj4294967295EEENS1_25partition_config_selectorILNS1_17partition_subalgoE3EjNS0_10empty_typeEbEEZZNS1_14partition_implILS8_3ELb0ES6_jNS0_17counting_iteratorIjlEEPS9_SE_NS0_5tupleIJPjSE_EEENSF_IJSE_SE_EEES9_SG_JZNS1_25segmented_radix_sort_implINS0_14default_configELb0EPKlPlSM_SN_N2at6native12_GLOBAL__N_18offset_tEEE10hipError_tPvRmT1_PNSt15iterator_traitsISV_E10value_typeET2_T3_PNSW_IS11_E10value_typeET4_jRbjT5_S17_jjP12ihipStream_tbEUljE_EEESS_ST_SU_S11_S15_S17_T6_T7_T9_mT8_S19_bDpT10_ENKUlT_T0_E_clISt17integral_constantIbLb1EES1M_EEDaS1H_S1I_EUlS1H_E_NS1_11comp_targetILNS1_3genE2ELNS1_11target_archE906ELNS1_3gpuE6ELNS1_3repE0EEENS1_30default_config_static_selectorELNS0_4arch9wavefront6targetE0EEEvSV_
    .private_segment_fixed_size: 0
    .sgpr_count:     0
    .sgpr_spill_count: 0
    .symbol:         _ZN7rocprim17ROCPRIM_400000_NS6detail17trampoline_kernelINS0_13select_configILj256ELj13ELNS0_17block_load_methodE3ELS4_3ELS4_3ELNS0_20block_scan_algorithmE0ELj4294967295EEENS1_25partition_config_selectorILNS1_17partition_subalgoE3EjNS0_10empty_typeEbEEZZNS1_14partition_implILS8_3ELb0ES6_jNS0_17counting_iteratorIjlEEPS9_SE_NS0_5tupleIJPjSE_EEENSF_IJSE_SE_EEES9_SG_JZNS1_25segmented_radix_sort_implINS0_14default_configELb0EPKlPlSM_SN_N2at6native12_GLOBAL__N_18offset_tEEE10hipError_tPvRmT1_PNSt15iterator_traitsISV_E10value_typeET2_T3_PNSW_IS11_E10value_typeET4_jRbjT5_S17_jjP12ihipStream_tbEUljE_EEESS_ST_SU_S11_S15_S17_T6_T7_T9_mT8_S19_bDpT10_ENKUlT_T0_E_clISt17integral_constantIbLb1EES1M_EEDaS1H_S1I_EUlS1H_E_NS1_11comp_targetILNS1_3genE2ELNS1_11target_archE906ELNS1_3gpuE6ELNS1_3repE0EEENS1_30default_config_static_selectorELNS0_4arch9wavefront6targetE0EEEvSV_.kd
    .uniform_work_group_size: 1
    .uses_dynamic_stack: false
    .vgpr_count:     0
    .vgpr_spill_count: 0
    .wavefront_size: 32
    .workgroup_processor_mode: 1
  - .args:
      - .offset:         0
        .size:           152
        .value_kind:     by_value
    .group_segment_fixed_size: 0
    .kernarg_segment_align: 8
    .kernarg_segment_size: 152
    .language:       OpenCL C
    .language_version:
      - 2
      - 0
    .max_flat_workgroup_size: 256
    .name:           _ZN7rocprim17ROCPRIM_400000_NS6detail17trampoline_kernelINS0_13select_configILj256ELj13ELNS0_17block_load_methodE3ELS4_3ELS4_3ELNS0_20block_scan_algorithmE0ELj4294967295EEENS1_25partition_config_selectorILNS1_17partition_subalgoE3EjNS0_10empty_typeEbEEZZNS1_14partition_implILS8_3ELb0ES6_jNS0_17counting_iteratorIjlEEPS9_SE_NS0_5tupleIJPjSE_EEENSF_IJSE_SE_EEES9_SG_JZNS1_25segmented_radix_sort_implINS0_14default_configELb0EPKlPlSM_SN_N2at6native12_GLOBAL__N_18offset_tEEE10hipError_tPvRmT1_PNSt15iterator_traitsISV_E10value_typeET2_T3_PNSW_IS11_E10value_typeET4_jRbjT5_S17_jjP12ihipStream_tbEUljE_EEESS_ST_SU_S11_S15_S17_T6_T7_T9_mT8_S19_bDpT10_ENKUlT_T0_E_clISt17integral_constantIbLb1EES1M_EEDaS1H_S1I_EUlS1H_E_NS1_11comp_targetILNS1_3genE10ELNS1_11target_archE1200ELNS1_3gpuE4ELNS1_3repE0EEENS1_30default_config_static_selectorELNS0_4arch9wavefront6targetE0EEEvSV_
    .private_segment_fixed_size: 0
    .sgpr_count:     0
    .sgpr_spill_count: 0
    .symbol:         _ZN7rocprim17ROCPRIM_400000_NS6detail17trampoline_kernelINS0_13select_configILj256ELj13ELNS0_17block_load_methodE3ELS4_3ELS4_3ELNS0_20block_scan_algorithmE0ELj4294967295EEENS1_25partition_config_selectorILNS1_17partition_subalgoE3EjNS0_10empty_typeEbEEZZNS1_14partition_implILS8_3ELb0ES6_jNS0_17counting_iteratorIjlEEPS9_SE_NS0_5tupleIJPjSE_EEENSF_IJSE_SE_EEES9_SG_JZNS1_25segmented_radix_sort_implINS0_14default_configELb0EPKlPlSM_SN_N2at6native12_GLOBAL__N_18offset_tEEE10hipError_tPvRmT1_PNSt15iterator_traitsISV_E10value_typeET2_T3_PNSW_IS11_E10value_typeET4_jRbjT5_S17_jjP12ihipStream_tbEUljE_EEESS_ST_SU_S11_S15_S17_T6_T7_T9_mT8_S19_bDpT10_ENKUlT_T0_E_clISt17integral_constantIbLb1EES1M_EEDaS1H_S1I_EUlS1H_E_NS1_11comp_targetILNS1_3genE10ELNS1_11target_archE1200ELNS1_3gpuE4ELNS1_3repE0EEENS1_30default_config_static_selectorELNS0_4arch9wavefront6targetE0EEEvSV_.kd
    .uniform_work_group_size: 1
    .uses_dynamic_stack: false
    .vgpr_count:     0
    .vgpr_spill_count: 0
    .wavefront_size: 32
    .workgroup_processor_mode: 1
  - .args:
      - .offset:         0
        .size:           152
        .value_kind:     by_value
    .group_segment_fixed_size: 0
    .kernarg_segment_align: 8
    .kernarg_segment_size: 152
    .language:       OpenCL C
    .language_version:
      - 2
      - 0
    .max_flat_workgroup_size: 256
    .name:           _ZN7rocprim17ROCPRIM_400000_NS6detail17trampoline_kernelINS0_13select_configILj256ELj13ELNS0_17block_load_methodE3ELS4_3ELS4_3ELNS0_20block_scan_algorithmE0ELj4294967295EEENS1_25partition_config_selectorILNS1_17partition_subalgoE3EjNS0_10empty_typeEbEEZZNS1_14partition_implILS8_3ELb0ES6_jNS0_17counting_iteratorIjlEEPS9_SE_NS0_5tupleIJPjSE_EEENSF_IJSE_SE_EEES9_SG_JZNS1_25segmented_radix_sort_implINS0_14default_configELb0EPKlPlSM_SN_N2at6native12_GLOBAL__N_18offset_tEEE10hipError_tPvRmT1_PNSt15iterator_traitsISV_E10value_typeET2_T3_PNSW_IS11_E10value_typeET4_jRbjT5_S17_jjP12ihipStream_tbEUljE_EEESS_ST_SU_S11_S15_S17_T6_T7_T9_mT8_S19_bDpT10_ENKUlT_T0_E_clISt17integral_constantIbLb1EES1M_EEDaS1H_S1I_EUlS1H_E_NS1_11comp_targetILNS1_3genE9ELNS1_11target_archE1100ELNS1_3gpuE3ELNS1_3repE0EEENS1_30default_config_static_selectorELNS0_4arch9wavefront6targetE0EEEvSV_
    .private_segment_fixed_size: 0
    .sgpr_count:     0
    .sgpr_spill_count: 0
    .symbol:         _ZN7rocprim17ROCPRIM_400000_NS6detail17trampoline_kernelINS0_13select_configILj256ELj13ELNS0_17block_load_methodE3ELS4_3ELS4_3ELNS0_20block_scan_algorithmE0ELj4294967295EEENS1_25partition_config_selectorILNS1_17partition_subalgoE3EjNS0_10empty_typeEbEEZZNS1_14partition_implILS8_3ELb0ES6_jNS0_17counting_iteratorIjlEEPS9_SE_NS0_5tupleIJPjSE_EEENSF_IJSE_SE_EEES9_SG_JZNS1_25segmented_radix_sort_implINS0_14default_configELb0EPKlPlSM_SN_N2at6native12_GLOBAL__N_18offset_tEEE10hipError_tPvRmT1_PNSt15iterator_traitsISV_E10value_typeET2_T3_PNSW_IS11_E10value_typeET4_jRbjT5_S17_jjP12ihipStream_tbEUljE_EEESS_ST_SU_S11_S15_S17_T6_T7_T9_mT8_S19_bDpT10_ENKUlT_T0_E_clISt17integral_constantIbLb1EES1M_EEDaS1H_S1I_EUlS1H_E_NS1_11comp_targetILNS1_3genE9ELNS1_11target_archE1100ELNS1_3gpuE3ELNS1_3repE0EEENS1_30default_config_static_selectorELNS0_4arch9wavefront6targetE0EEEvSV_.kd
    .uniform_work_group_size: 1
    .uses_dynamic_stack: false
    .vgpr_count:     0
    .vgpr_spill_count: 0
    .wavefront_size: 32
    .workgroup_processor_mode: 1
  - .args:
      - .offset:         0
        .size:           152
        .value_kind:     by_value
    .group_segment_fixed_size: 0
    .kernarg_segment_align: 8
    .kernarg_segment_size: 152
    .language:       OpenCL C
    .language_version:
      - 2
      - 0
    .max_flat_workgroup_size: 256
    .name:           _ZN7rocprim17ROCPRIM_400000_NS6detail17trampoline_kernelINS0_13select_configILj256ELj13ELNS0_17block_load_methodE3ELS4_3ELS4_3ELNS0_20block_scan_algorithmE0ELj4294967295EEENS1_25partition_config_selectorILNS1_17partition_subalgoE3EjNS0_10empty_typeEbEEZZNS1_14partition_implILS8_3ELb0ES6_jNS0_17counting_iteratorIjlEEPS9_SE_NS0_5tupleIJPjSE_EEENSF_IJSE_SE_EEES9_SG_JZNS1_25segmented_radix_sort_implINS0_14default_configELb0EPKlPlSM_SN_N2at6native12_GLOBAL__N_18offset_tEEE10hipError_tPvRmT1_PNSt15iterator_traitsISV_E10value_typeET2_T3_PNSW_IS11_E10value_typeET4_jRbjT5_S17_jjP12ihipStream_tbEUljE_EEESS_ST_SU_S11_S15_S17_T6_T7_T9_mT8_S19_bDpT10_ENKUlT_T0_E_clISt17integral_constantIbLb1EES1M_EEDaS1H_S1I_EUlS1H_E_NS1_11comp_targetILNS1_3genE8ELNS1_11target_archE1030ELNS1_3gpuE2ELNS1_3repE0EEENS1_30default_config_static_selectorELNS0_4arch9wavefront6targetE0EEEvSV_
    .private_segment_fixed_size: 0
    .sgpr_count:     0
    .sgpr_spill_count: 0
    .symbol:         _ZN7rocprim17ROCPRIM_400000_NS6detail17trampoline_kernelINS0_13select_configILj256ELj13ELNS0_17block_load_methodE3ELS4_3ELS4_3ELNS0_20block_scan_algorithmE0ELj4294967295EEENS1_25partition_config_selectorILNS1_17partition_subalgoE3EjNS0_10empty_typeEbEEZZNS1_14partition_implILS8_3ELb0ES6_jNS0_17counting_iteratorIjlEEPS9_SE_NS0_5tupleIJPjSE_EEENSF_IJSE_SE_EEES9_SG_JZNS1_25segmented_radix_sort_implINS0_14default_configELb0EPKlPlSM_SN_N2at6native12_GLOBAL__N_18offset_tEEE10hipError_tPvRmT1_PNSt15iterator_traitsISV_E10value_typeET2_T3_PNSW_IS11_E10value_typeET4_jRbjT5_S17_jjP12ihipStream_tbEUljE_EEESS_ST_SU_S11_S15_S17_T6_T7_T9_mT8_S19_bDpT10_ENKUlT_T0_E_clISt17integral_constantIbLb1EES1M_EEDaS1H_S1I_EUlS1H_E_NS1_11comp_targetILNS1_3genE8ELNS1_11target_archE1030ELNS1_3gpuE2ELNS1_3repE0EEENS1_30default_config_static_selectorELNS0_4arch9wavefront6targetE0EEEvSV_.kd
    .uniform_work_group_size: 1
    .uses_dynamic_stack: false
    .vgpr_count:     0
    .vgpr_spill_count: 0
    .wavefront_size: 32
    .workgroup_processor_mode: 1
  - .args:
      - .offset:         0
        .size:           144
        .value_kind:     by_value
    .group_segment_fixed_size: 0
    .kernarg_segment_align: 8
    .kernarg_segment_size: 144
    .language:       OpenCL C
    .language_version:
      - 2
      - 0
    .max_flat_workgroup_size: 256
    .name:           _ZN7rocprim17ROCPRIM_400000_NS6detail17trampoline_kernelINS0_13select_configILj256ELj13ELNS0_17block_load_methodE3ELS4_3ELS4_3ELNS0_20block_scan_algorithmE0ELj4294967295EEENS1_25partition_config_selectorILNS1_17partition_subalgoE3EjNS0_10empty_typeEbEEZZNS1_14partition_implILS8_3ELb0ES6_jNS0_17counting_iteratorIjlEEPS9_SE_NS0_5tupleIJPjSE_EEENSF_IJSE_SE_EEES9_SG_JZNS1_25segmented_radix_sort_implINS0_14default_configELb0EPKlPlSM_SN_N2at6native12_GLOBAL__N_18offset_tEEE10hipError_tPvRmT1_PNSt15iterator_traitsISV_E10value_typeET2_T3_PNSW_IS11_E10value_typeET4_jRbjT5_S17_jjP12ihipStream_tbEUljE_EEESS_ST_SU_S11_S15_S17_T6_T7_T9_mT8_S19_bDpT10_ENKUlT_T0_E_clISt17integral_constantIbLb1EES1L_IbLb0EEEEDaS1H_S1I_EUlS1H_E_NS1_11comp_targetILNS1_3genE0ELNS1_11target_archE4294967295ELNS1_3gpuE0ELNS1_3repE0EEENS1_30default_config_static_selectorELNS0_4arch9wavefront6targetE0EEEvSV_
    .private_segment_fixed_size: 0
    .sgpr_count:     0
    .sgpr_spill_count: 0
    .symbol:         _ZN7rocprim17ROCPRIM_400000_NS6detail17trampoline_kernelINS0_13select_configILj256ELj13ELNS0_17block_load_methodE3ELS4_3ELS4_3ELNS0_20block_scan_algorithmE0ELj4294967295EEENS1_25partition_config_selectorILNS1_17partition_subalgoE3EjNS0_10empty_typeEbEEZZNS1_14partition_implILS8_3ELb0ES6_jNS0_17counting_iteratorIjlEEPS9_SE_NS0_5tupleIJPjSE_EEENSF_IJSE_SE_EEES9_SG_JZNS1_25segmented_radix_sort_implINS0_14default_configELb0EPKlPlSM_SN_N2at6native12_GLOBAL__N_18offset_tEEE10hipError_tPvRmT1_PNSt15iterator_traitsISV_E10value_typeET2_T3_PNSW_IS11_E10value_typeET4_jRbjT5_S17_jjP12ihipStream_tbEUljE_EEESS_ST_SU_S11_S15_S17_T6_T7_T9_mT8_S19_bDpT10_ENKUlT_T0_E_clISt17integral_constantIbLb1EES1L_IbLb0EEEEDaS1H_S1I_EUlS1H_E_NS1_11comp_targetILNS1_3genE0ELNS1_11target_archE4294967295ELNS1_3gpuE0ELNS1_3repE0EEENS1_30default_config_static_selectorELNS0_4arch9wavefront6targetE0EEEvSV_.kd
    .uniform_work_group_size: 1
    .uses_dynamic_stack: false
    .vgpr_count:     0
    .vgpr_spill_count: 0
    .wavefront_size: 32
    .workgroup_processor_mode: 1
  - .args:
      - .offset:         0
        .size:           144
        .value_kind:     by_value
    .group_segment_fixed_size: 0
    .kernarg_segment_align: 8
    .kernarg_segment_size: 144
    .language:       OpenCL C
    .language_version:
      - 2
      - 0
    .max_flat_workgroup_size: 256
    .name:           _ZN7rocprim17ROCPRIM_400000_NS6detail17trampoline_kernelINS0_13select_configILj256ELj13ELNS0_17block_load_methodE3ELS4_3ELS4_3ELNS0_20block_scan_algorithmE0ELj4294967295EEENS1_25partition_config_selectorILNS1_17partition_subalgoE3EjNS0_10empty_typeEbEEZZNS1_14partition_implILS8_3ELb0ES6_jNS0_17counting_iteratorIjlEEPS9_SE_NS0_5tupleIJPjSE_EEENSF_IJSE_SE_EEES9_SG_JZNS1_25segmented_radix_sort_implINS0_14default_configELb0EPKlPlSM_SN_N2at6native12_GLOBAL__N_18offset_tEEE10hipError_tPvRmT1_PNSt15iterator_traitsISV_E10value_typeET2_T3_PNSW_IS11_E10value_typeET4_jRbjT5_S17_jjP12ihipStream_tbEUljE_EEESS_ST_SU_S11_S15_S17_T6_T7_T9_mT8_S19_bDpT10_ENKUlT_T0_E_clISt17integral_constantIbLb1EES1L_IbLb0EEEEDaS1H_S1I_EUlS1H_E_NS1_11comp_targetILNS1_3genE5ELNS1_11target_archE942ELNS1_3gpuE9ELNS1_3repE0EEENS1_30default_config_static_selectorELNS0_4arch9wavefront6targetE0EEEvSV_
    .private_segment_fixed_size: 0
    .sgpr_count:     0
    .sgpr_spill_count: 0
    .symbol:         _ZN7rocprim17ROCPRIM_400000_NS6detail17trampoline_kernelINS0_13select_configILj256ELj13ELNS0_17block_load_methodE3ELS4_3ELS4_3ELNS0_20block_scan_algorithmE0ELj4294967295EEENS1_25partition_config_selectorILNS1_17partition_subalgoE3EjNS0_10empty_typeEbEEZZNS1_14partition_implILS8_3ELb0ES6_jNS0_17counting_iteratorIjlEEPS9_SE_NS0_5tupleIJPjSE_EEENSF_IJSE_SE_EEES9_SG_JZNS1_25segmented_radix_sort_implINS0_14default_configELb0EPKlPlSM_SN_N2at6native12_GLOBAL__N_18offset_tEEE10hipError_tPvRmT1_PNSt15iterator_traitsISV_E10value_typeET2_T3_PNSW_IS11_E10value_typeET4_jRbjT5_S17_jjP12ihipStream_tbEUljE_EEESS_ST_SU_S11_S15_S17_T6_T7_T9_mT8_S19_bDpT10_ENKUlT_T0_E_clISt17integral_constantIbLb1EES1L_IbLb0EEEEDaS1H_S1I_EUlS1H_E_NS1_11comp_targetILNS1_3genE5ELNS1_11target_archE942ELNS1_3gpuE9ELNS1_3repE0EEENS1_30default_config_static_selectorELNS0_4arch9wavefront6targetE0EEEvSV_.kd
    .uniform_work_group_size: 1
    .uses_dynamic_stack: false
    .vgpr_count:     0
    .vgpr_spill_count: 0
    .wavefront_size: 32
    .workgroup_processor_mode: 1
  - .args:
      - .offset:         0
        .size:           144
        .value_kind:     by_value
    .group_segment_fixed_size: 0
    .kernarg_segment_align: 8
    .kernarg_segment_size: 144
    .language:       OpenCL C
    .language_version:
      - 2
      - 0
    .max_flat_workgroup_size: 256
    .name:           _ZN7rocprim17ROCPRIM_400000_NS6detail17trampoline_kernelINS0_13select_configILj256ELj13ELNS0_17block_load_methodE3ELS4_3ELS4_3ELNS0_20block_scan_algorithmE0ELj4294967295EEENS1_25partition_config_selectorILNS1_17partition_subalgoE3EjNS0_10empty_typeEbEEZZNS1_14partition_implILS8_3ELb0ES6_jNS0_17counting_iteratorIjlEEPS9_SE_NS0_5tupleIJPjSE_EEENSF_IJSE_SE_EEES9_SG_JZNS1_25segmented_radix_sort_implINS0_14default_configELb0EPKlPlSM_SN_N2at6native12_GLOBAL__N_18offset_tEEE10hipError_tPvRmT1_PNSt15iterator_traitsISV_E10value_typeET2_T3_PNSW_IS11_E10value_typeET4_jRbjT5_S17_jjP12ihipStream_tbEUljE_EEESS_ST_SU_S11_S15_S17_T6_T7_T9_mT8_S19_bDpT10_ENKUlT_T0_E_clISt17integral_constantIbLb1EES1L_IbLb0EEEEDaS1H_S1I_EUlS1H_E_NS1_11comp_targetILNS1_3genE4ELNS1_11target_archE910ELNS1_3gpuE8ELNS1_3repE0EEENS1_30default_config_static_selectorELNS0_4arch9wavefront6targetE0EEEvSV_
    .private_segment_fixed_size: 0
    .sgpr_count:     0
    .sgpr_spill_count: 0
    .symbol:         _ZN7rocprim17ROCPRIM_400000_NS6detail17trampoline_kernelINS0_13select_configILj256ELj13ELNS0_17block_load_methodE3ELS4_3ELS4_3ELNS0_20block_scan_algorithmE0ELj4294967295EEENS1_25partition_config_selectorILNS1_17partition_subalgoE3EjNS0_10empty_typeEbEEZZNS1_14partition_implILS8_3ELb0ES6_jNS0_17counting_iteratorIjlEEPS9_SE_NS0_5tupleIJPjSE_EEENSF_IJSE_SE_EEES9_SG_JZNS1_25segmented_radix_sort_implINS0_14default_configELb0EPKlPlSM_SN_N2at6native12_GLOBAL__N_18offset_tEEE10hipError_tPvRmT1_PNSt15iterator_traitsISV_E10value_typeET2_T3_PNSW_IS11_E10value_typeET4_jRbjT5_S17_jjP12ihipStream_tbEUljE_EEESS_ST_SU_S11_S15_S17_T6_T7_T9_mT8_S19_bDpT10_ENKUlT_T0_E_clISt17integral_constantIbLb1EES1L_IbLb0EEEEDaS1H_S1I_EUlS1H_E_NS1_11comp_targetILNS1_3genE4ELNS1_11target_archE910ELNS1_3gpuE8ELNS1_3repE0EEENS1_30default_config_static_selectorELNS0_4arch9wavefront6targetE0EEEvSV_.kd
    .uniform_work_group_size: 1
    .uses_dynamic_stack: false
    .vgpr_count:     0
    .vgpr_spill_count: 0
    .wavefront_size: 32
    .workgroup_processor_mode: 1
  - .args:
      - .offset:         0
        .size:           144
        .value_kind:     by_value
    .group_segment_fixed_size: 0
    .kernarg_segment_align: 8
    .kernarg_segment_size: 144
    .language:       OpenCL C
    .language_version:
      - 2
      - 0
    .max_flat_workgroup_size: 256
    .name:           _ZN7rocprim17ROCPRIM_400000_NS6detail17trampoline_kernelINS0_13select_configILj256ELj13ELNS0_17block_load_methodE3ELS4_3ELS4_3ELNS0_20block_scan_algorithmE0ELj4294967295EEENS1_25partition_config_selectorILNS1_17partition_subalgoE3EjNS0_10empty_typeEbEEZZNS1_14partition_implILS8_3ELb0ES6_jNS0_17counting_iteratorIjlEEPS9_SE_NS0_5tupleIJPjSE_EEENSF_IJSE_SE_EEES9_SG_JZNS1_25segmented_radix_sort_implINS0_14default_configELb0EPKlPlSM_SN_N2at6native12_GLOBAL__N_18offset_tEEE10hipError_tPvRmT1_PNSt15iterator_traitsISV_E10value_typeET2_T3_PNSW_IS11_E10value_typeET4_jRbjT5_S17_jjP12ihipStream_tbEUljE_EEESS_ST_SU_S11_S15_S17_T6_T7_T9_mT8_S19_bDpT10_ENKUlT_T0_E_clISt17integral_constantIbLb1EES1L_IbLb0EEEEDaS1H_S1I_EUlS1H_E_NS1_11comp_targetILNS1_3genE3ELNS1_11target_archE908ELNS1_3gpuE7ELNS1_3repE0EEENS1_30default_config_static_selectorELNS0_4arch9wavefront6targetE0EEEvSV_
    .private_segment_fixed_size: 0
    .sgpr_count:     0
    .sgpr_spill_count: 0
    .symbol:         _ZN7rocprim17ROCPRIM_400000_NS6detail17trampoline_kernelINS0_13select_configILj256ELj13ELNS0_17block_load_methodE3ELS4_3ELS4_3ELNS0_20block_scan_algorithmE0ELj4294967295EEENS1_25partition_config_selectorILNS1_17partition_subalgoE3EjNS0_10empty_typeEbEEZZNS1_14partition_implILS8_3ELb0ES6_jNS0_17counting_iteratorIjlEEPS9_SE_NS0_5tupleIJPjSE_EEENSF_IJSE_SE_EEES9_SG_JZNS1_25segmented_radix_sort_implINS0_14default_configELb0EPKlPlSM_SN_N2at6native12_GLOBAL__N_18offset_tEEE10hipError_tPvRmT1_PNSt15iterator_traitsISV_E10value_typeET2_T3_PNSW_IS11_E10value_typeET4_jRbjT5_S17_jjP12ihipStream_tbEUljE_EEESS_ST_SU_S11_S15_S17_T6_T7_T9_mT8_S19_bDpT10_ENKUlT_T0_E_clISt17integral_constantIbLb1EES1L_IbLb0EEEEDaS1H_S1I_EUlS1H_E_NS1_11comp_targetILNS1_3genE3ELNS1_11target_archE908ELNS1_3gpuE7ELNS1_3repE0EEENS1_30default_config_static_selectorELNS0_4arch9wavefront6targetE0EEEvSV_.kd
    .uniform_work_group_size: 1
    .uses_dynamic_stack: false
    .vgpr_count:     0
    .vgpr_spill_count: 0
    .wavefront_size: 32
    .workgroup_processor_mode: 1
  - .args:
      - .offset:         0
        .size:           144
        .value_kind:     by_value
    .group_segment_fixed_size: 0
    .kernarg_segment_align: 8
    .kernarg_segment_size: 144
    .language:       OpenCL C
    .language_version:
      - 2
      - 0
    .max_flat_workgroup_size: 256
    .name:           _ZN7rocprim17ROCPRIM_400000_NS6detail17trampoline_kernelINS0_13select_configILj256ELj13ELNS0_17block_load_methodE3ELS4_3ELS4_3ELNS0_20block_scan_algorithmE0ELj4294967295EEENS1_25partition_config_selectorILNS1_17partition_subalgoE3EjNS0_10empty_typeEbEEZZNS1_14partition_implILS8_3ELb0ES6_jNS0_17counting_iteratorIjlEEPS9_SE_NS0_5tupleIJPjSE_EEENSF_IJSE_SE_EEES9_SG_JZNS1_25segmented_radix_sort_implINS0_14default_configELb0EPKlPlSM_SN_N2at6native12_GLOBAL__N_18offset_tEEE10hipError_tPvRmT1_PNSt15iterator_traitsISV_E10value_typeET2_T3_PNSW_IS11_E10value_typeET4_jRbjT5_S17_jjP12ihipStream_tbEUljE_EEESS_ST_SU_S11_S15_S17_T6_T7_T9_mT8_S19_bDpT10_ENKUlT_T0_E_clISt17integral_constantIbLb1EES1L_IbLb0EEEEDaS1H_S1I_EUlS1H_E_NS1_11comp_targetILNS1_3genE2ELNS1_11target_archE906ELNS1_3gpuE6ELNS1_3repE0EEENS1_30default_config_static_selectorELNS0_4arch9wavefront6targetE0EEEvSV_
    .private_segment_fixed_size: 0
    .sgpr_count:     0
    .sgpr_spill_count: 0
    .symbol:         _ZN7rocprim17ROCPRIM_400000_NS6detail17trampoline_kernelINS0_13select_configILj256ELj13ELNS0_17block_load_methodE3ELS4_3ELS4_3ELNS0_20block_scan_algorithmE0ELj4294967295EEENS1_25partition_config_selectorILNS1_17partition_subalgoE3EjNS0_10empty_typeEbEEZZNS1_14partition_implILS8_3ELb0ES6_jNS0_17counting_iteratorIjlEEPS9_SE_NS0_5tupleIJPjSE_EEENSF_IJSE_SE_EEES9_SG_JZNS1_25segmented_radix_sort_implINS0_14default_configELb0EPKlPlSM_SN_N2at6native12_GLOBAL__N_18offset_tEEE10hipError_tPvRmT1_PNSt15iterator_traitsISV_E10value_typeET2_T3_PNSW_IS11_E10value_typeET4_jRbjT5_S17_jjP12ihipStream_tbEUljE_EEESS_ST_SU_S11_S15_S17_T6_T7_T9_mT8_S19_bDpT10_ENKUlT_T0_E_clISt17integral_constantIbLb1EES1L_IbLb0EEEEDaS1H_S1I_EUlS1H_E_NS1_11comp_targetILNS1_3genE2ELNS1_11target_archE906ELNS1_3gpuE6ELNS1_3repE0EEENS1_30default_config_static_selectorELNS0_4arch9wavefront6targetE0EEEvSV_.kd
    .uniform_work_group_size: 1
    .uses_dynamic_stack: false
    .vgpr_count:     0
    .vgpr_spill_count: 0
    .wavefront_size: 32
    .workgroup_processor_mode: 1
  - .args:
      - .offset:         0
        .size:           144
        .value_kind:     by_value
    .group_segment_fixed_size: 0
    .kernarg_segment_align: 8
    .kernarg_segment_size: 144
    .language:       OpenCL C
    .language_version:
      - 2
      - 0
    .max_flat_workgroup_size: 256
    .name:           _ZN7rocprim17ROCPRIM_400000_NS6detail17trampoline_kernelINS0_13select_configILj256ELj13ELNS0_17block_load_methodE3ELS4_3ELS4_3ELNS0_20block_scan_algorithmE0ELj4294967295EEENS1_25partition_config_selectorILNS1_17partition_subalgoE3EjNS0_10empty_typeEbEEZZNS1_14partition_implILS8_3ELb0ES6_jNS0_17counting_iteratorIjlEEPS9_SE_NS0_5tupleIJPjSE_EEENSF_IJSE_SE_EEES9_SG_JZNS1_25segmented_radix_sort_implINS0_14default_configELb0EPKlPlSM_SN_N2at6native12_GLOBAL__N_18offset_tEEE10hipError_tPvRmT1_PNSt15iterator_traitsISV_E10value_typeET2_T3_PNSW_IS11_E10value_typeET4_jRbjT5_S17_jjP12ihipStream_tbEUljE_EEESS_ST_SU_S11_S15_S17_T6_T7_T9_mT8_S19_bDpT10_ENKUlT_T0_E_clISt17integral_constantIbLb1EES1L_IbLb0EEEEDaS1H_S1I_EUlS1H_E_NS1_11comp_targetILNS1_3genE10ELNS1_11target_archE1200ELNS1_3gpuE4ELNS1_3repE0EEENS1_30default_config_static_selectorELNS0_4arch9wavefront6targetE0EEEvSV_
    .private_segment_fixed_size: 0
    .sgpr_count:     0
    .sgpr_spill_count: 0
    .symbol:         _ZN7rocprim17ROCPRIM_400000_NS6detail17trampoline_kernelINS0_13select_configILj256ELj13ELNS0_17block_load_methodE3ELS4_3ELS4_3ELNS0_20block_scan_algorithmE0ELj4294967295EEENS1_25partition_config_selectorILNS1_17partition_subalgoE3EjNS0_10empty_typeEbEEZZNS1_14partition_implILS8_3ELb0ES6_jNS0_17counting_iteratorIjlEEPS9_SE_NS0_5tupleIJPjSE_EEENSF_IJSE_SE_EEES9_SG_JZNS1_25segmented_radix_sort_implINS0_14default_configELb0EPKlPlSM_SN_N2at6native12_GLOBAL__N_18offset_tEEE10hipError_tPvRmT1_PNSt15iterator_traitsISV_E10value_typeET2_T3_PNSW_IS11_E10value_typeET4_jRbjT5_S17_jjP12ihipStream_tbEUljE_EEESS_ST_SU_S11_S15_S17_T6_T7_T9_mT8_S19_bDpT10_ENKUlT_T0_E_clISt17integral_constantIbLb1EES1L_IbLb0EEEEDaS1H_S1I_EUlS1H_E_NS1_11comp_targetILNS1_3genE10ELNS1_11target_archE1200ELNS1_3gpuE4ELNS1_3repE0EEENS1_30default_config_static_selectorELNS0_4arch9wavefront6targetE0EEEvSV_.kd
    .uniform_work_group_size: 1
    .uses_dynamic_stack: false
    .vgpr_count:     0
    .vgpr_spill_count: 0
    .wavefront_size: 32
    .workgroup_processor_mode: 1
  - .args:
      - .offset:         0
        .size:           144
        .value_kind:     by_value
    .group_segment_fixed_size: 0
    .kernarg_segment_align: 8
    .kernarg_segment_size: 144
    .language:       OpenCL C
    .language_version:
      - 2
      - 0
    .max_flat_workgroup_size: 256
    .name:           _ZN7rocprim17ROCPRIM_400000_NS6detail17trampoline_kernelINS0_13select_configILj256ELj13ELNS0_17block_load_methodE3ELS4_3ELS4_3ELNS0_20block_scan_algorithmE0ELj4294967295EEENS1_25partition_config_selectorILNS1_17partition_subalgoE3EjNS0_10empty_typeEbEEZZNS1_14partition_implILS8_3ELb0ES6_jNS0_17counting_iteratorIjlEEPS9_SE_NS0_5tupleIJPjSE_EEENSF_IJSE_SE_EEES9_SG_JZNS1_25segmented_radix_sort_implINS0_14default_configELb0EPKlPlSM_SN_N2at6native12_GLOBAL__N_18offset_tEEE10hipError_tPvRmT1_PNSt15iterator_traitsISV_E10value_typeET2_T3_PNSW_IS11_E10value_typeET4_jRbjT5_S17_jjP12ihipStream_tbEUljE_EEESS_ST_SU_S11_S15_S17_T6_T7_T9_mT8_S19_bDpT10_ENKUlT_T0_E_clISt17integral_constantIbLb1EES1L_IbLb0EEEEDaS1H_S1I_EUlS1H_E_NS1_11comp_targetILNS1_3genE9ELNS1_11target_archE1100ELNS1_3gpuE3ELNS1_3repE0EEENS1_30default_config_static_selectorELNS0_4arch9wavefront6targetE0EEEvSV_
    .private_segment_fixed_size: 0
    .sgpr_count:     0
    .sgpr_spill_count: 0
    .symbol:         _ZN7rocprim17ROCPRIM_400000_NS6detail17trampoline_kernelINS0_13select_configILj256ELj13ELNS0_17block_load_methodE3ELS4_3ELS4_3ELNS0_20block_scan_algorithmE0ELj4294967295EEENS1_25partition_config_selectorILNS1_17partition_subalgoE3EjNS0_10empty_typeEbEEZZNS1_14partition_implILS8_3ELb0ES6_jNS0_17counting_iteratorIjlEEPS9_SE_NS0_5tupleIJPjSE_EEENSF_IJSE_SE_EEES9_SG_JZNS1_25segmented_radix_sort_implINS0_14default_configELb0EPKlPlSM_SN_N2at6native12_GLOBAL__N_18offset_tEEE10hipError_tPvRmT1_PNSt15iterator_traitsISV_E10value_typeET2_T3_PNSW_IS11_E10value_typeET4_jRbjT5_S17_jjP12ihipStream_tbEUljE_EEESS_ST_SU_S11_S15_S17_T6_T7_T9_mT8_S19_bDpT10_ENKUlT_T0_E_clISt17integral_constantIbLb1EES1L_IbLb0EEEEDaS1H_S1I_EUlS1H_E_NS1_11comp_targetILNS1_3genE9ELNS1_11target_archE1100ELNS1_3gpuE3ELNS1_3repE0EEENS1_30default_config_static_selectorELNS0_4arch9wavefront6targetE0EEEvSV_.kd
    .uniform_work_group_size: 1
    .uses_dynamic_stack: false
    .vgpr_count:     0
    .vgpr_spill_count: 0
    .wavefront_size: 32
    .workgroup_processor_mode: 1
  - .args:
      - .offset:         0
        .size:           144
        .value_kind:     by_value
    .group_segment_fixed_size: 0
    .kernarg_segment_align: 8
    .kernarg_segment_size: 144
    .language:       OpenCL C
    .language_version:
      - 2
      - 0
    .max_flat_workgroup_size: 256
    .name:           _ZN7rocprim17ROCPRIM_400000_NS6detail17trampoline_kernelINS0_13select_configILj256ELj13ELNS0_17block_load_methodE3ELS4_3ELS4_3ELNS0_20block_scan_algorithmE0ELj4294967295EEENS1_25partition_config_selectorILNS1_17partition_subalgoE3EjNS0_10empty_typeEbEEZZNS1_14partition_implILS8_3ELb0ES6_jNS0_17counting_iteratorIjlEEPS9_SE_NS0_5tupleIJPjSE_EEENSF_IJSE_SE_EEES9_SG_JZNS1_25segmented_radix_sort_implINS0_14default_configELb0EPKlPlSM_SN_N2at6native12_GLOBAL__N_18offset_tEEE10hipError_tPvRmT1_PNSt15iterator_traitsISV_E10value_typeET2_T3_PNSW_IS11_E10value_typeET4_jRbjT5_S17_jjP12ihipStream_tbEUljE_EEESS_ST_SU_S11_S15_S17_T6_T7_T9_mT8_S19_bDpT10_ENKUlT_T0_E_clISt17integral_constantIbLb1EES1L_IbLb0EEEEDaS1H_S1I_EUlS1H_E_NS1_11comp_targetILNS1_3genE8ELNS1_11target_archE1030ELNS1_3gpuE2ELNS1_3repE0EEENS1_30default_config_static_selectorELNS0_4arch9wavefront6targetE0EEEvSV_
    .private_segment_fixed_size: 0
    .sgpr_count:     0
    .sgpr_spill_count: 0
    .symbol:         _ZN7rocprim17ROCPRIM_400000_NS6detail17trampoline_kernelINS0_13select_configILj256ELj13ELNS0_17block_load_methodE3ELS4_3ELS4_3ELNS0_20block_scan_algorithmE0ELj4294967295EEENS1_25partition_config_selectorILNS1_17partition_subalgoE3EjNS0_10empty_typeEbEEZZNS1_14partition_implILS8_3ELb0ES6_jNS0_17counting_iteratorIjlEEPS9_SE_NS0_5tupleIJPjSE_EEENSF_IJSE_SE_EEES9_SG_JZNS1_25segmented_radix_sort_implINS0_14default_configELb0EPKlPlSM_SN_N2at6native12_GLOBAL__N_18offset_tEEE10hipError_tPvRmT1_PNSt15iterator_traitsISV_E10value_typeET2_T3_PNSW_IS11_E10value_typeET4_jRbjT5_S17_jjP12ihipStream_tbEUljE_EEESS_ST_SU_S11_S15_S17_T6_T7_T9_mT8_S19_bDpT10_ENKUlT_T0_E_clISt17integral_constantIbLb1EES1L_IbLb0EEEEDaS1H_S1I_EUlS1H_E_NS1_11comp_targetILNS1_3genE8ELNS1_11target_archE1030ELNS1_3gpuE2ELNS1_3repE0EEENS1_30default_config_static_selectorELNS0_4arch9wavefront6targetE0EEEvSV_.kd
    .uniform_work_group_size: 1
    .uses_dynamic_stack: false
    .vgpr_count:     0
    .vgpr_spill_count: 0
    .wavefront_size: 32
    .workgroup_processor_mode: 1
  - .args:
      - .offset:         0
        .size:           152
        .value_kind:     by_value
    .group_segment_fixed_size: 0
    .kernarg_segment_align: 8
    .kernarg_segment_size: 152
    .language:       OpenCL C
    .language_version:
      - 2
      - 0
    .max_flat_workgroup_size: 256
    .name:           _ZN7rocprim17ROCPRIM_400000_NS6detail17trampoline_kernelINS0_13select_configILj256ELj13ELNS0_17block_load_methodE3ELS4_3ELS4_3ELNS0_20block_scan_algorithmE0ELj4294967295EEENS1_25partition_config_selectorILNS1_17partition_subalgoE3EjNS0_10empty_typeEbEEZZNS1_14partition_implILS8_3ELb0ES6_jNS0_17counting_iteratorIjlEEPS9_SE_NS0_5tupleIJPjSE_EEENSF_IJSE_SE_EEES9_SG_JZNS1_25segmented_radix_sort_implINS0_14default_configELb0EPKlPlSM_SN_N2at6native12_GLOBAL__N_18offset_tEEE10hipError_tPvRmT1_PNSt15iterator_traitsISV_E10value_typeET2_T3_PNSW_IS11_E10value_typeET4_jRbjT5_S17_jjP12ihipStream_tbEUljE_EEESS_ST_SU_S11_S15_S17_T6_T7_T9_mT8_S19_bDpT10_ENKUlT_T0_E_clISt17integral_constantIbLb0EES1L_IbLb1EEEEDaS1H_S1I_EUlS1H_E_NS1_11comp_targetILNS1_3genE0ELNS1_11target_archE4294967295ELNS1_3gpuE0ELNS1_3repE0EEENS1_30default_config_static_selectorELNS0_4arch9wavefront6targetE0EEEvSV_
    .private_segment_fixed_size: 0
    .sgpr_count:     0
    .sgpr_spill_count: 0
    .symbol:         _ZN7rocprim17ROCPRIM_400000_NS6detail17trampoline_kernelINS0_13select_configILj256ELj13ELNS0_17block_load_methodE3ELS4_3ELS4_3ELNS0_20block_scan_algorithmE0ELj4294967295EEENS1_25partition_config_selectorILNS1_17partition_subalgoE3EjNS0_10empty_typeEbEEZZNS1_14partition_implILS8_3ELb0ES6_jNS0_17counting_iteratorIjlEEPS9_SE_NS0_5tupleIJPjSE_EEENSF_IJSE_SE_EEES9_SG_JZNS1_25segmented_radix_sort_implINS0_14default_configELb0EPKlPlSM_SN_N2at6native12_GLOBAL__N_18offset_tEEE10hipError_tPvRmT1_PNSt15iterator_traitsISV_E10value_typeET2_T3_PNSW_IS11_E10value_typeET4_jRbjT5_S17_jjP12ihipStream_tbEUljE_EEESS_ST_SU_S11_S15_S17_T6_T7_T9_mT8_S19_bDpT10_ENKUlT_T0_E_clISt17integral_constantIbLb0EES1L_IbLb1EEEEDaS1H_S1I_EUlS1H_E_NS1_11comp_targetILNS1_3genE0ELNS1_11target_archE4294967295ELNS1_3gpuE0ELNS1_3repE0EEENS1_30default_config_static_selectorELNS0_4arch9wavefront6targetE0EEEvSV_.kd
    .uniform_work_group_size: 1
    .uses_dynamic_stack: false
    .vgpr_count:     0
    .vgpr_spill_count: 0
    .wavefront_size: 32
    .workgroup_processor_mode: 1
  - .args:
      - .offset:         0
        .size:           152
        .value_kind:     by_value
    .group_segment_fixed_size: 0
    .kernarg_segment_align: 8
    .kernarg_segment_size: 152
    .language:       OpenCL C
    .language_version:
      - 2
      - 0
    .max_flat_workgroup_size: 256
    .name:           _ZN7rocprim17ROCPRIM_400000_NS6detail17trampoline_kernelINS0_13select_configILj256ELj13ELNS0_17block_load_methodE3ELS4_3ELS4_3ELNS0_20block_scan_algorithmE0ELj4294967295EEENS1_25partition_config_selectorILNS1_17partition_subalgoE3EjNS0_10empty_typeEbEEZZNS1_14partition_implILS8_3ELb0ES6_jNS0_17counting_iteratorIjlEEPS9_SE_NS0_5tupleIJPjSE_EEENSF_IJSE_SE_EEES9_SG_JZNS1_25segmented_radix_sort_implINS0_14default_configELb0EPKlPlSM_SN_N2at6native12_GLOBAL__N_18offset_tEEE10hipError_tPvRmT1_PNSt15iterator_traitsISV_E10value_typeET2_T3_PNSW_IS11_E10value_typeET4_jRbjT5_S17_jjP12ihipStream_tbEUljE_EEESS_ST_SU_S11_S15_S17_T6_T7_T9_mT8_S19_bDpT10_ENKUlT_T0_E_clISt17integral_constantIbLb0EES1L_IbLb1EEEEDaS1H_S1I_EUlS1H_E_NS1_11comp_targetILNS1_3genE5ELNS1_11target_archE942ELNS1_3gpuE9ELNS1_3repE0EEENS1_30default_config_static_selectorELNS0_4arch9wavefront6targetE0EEEvSV_
    .private_segment_fixed_size: 0
    .sgpr_count:     0
    .sgpr_spill_count: 0
    .symbol:         _ZN7rocprim17ROCPRIM_400000_NS6detail17trampoline_kernelINS0_13select_configILj256ELj13ELNS0_17block_load_methodE3ELS4_3ELS4_3ELNS0_20block_scan_algorithmE0ELj4294967295EEENS1_25partition_config_selectorILNS1_17partition_subalgoE3EjNS0_10empty_typeEbEEZZNS1_14partition_implILS8_3ELb0ES6_jNS0_17counting_iteratorIjlEEPS9_SE_NS0_5tupleIJPjSE_EEENSF_IJSE_SE_EEES9_SG_JZNS1_25segmented_radix_sort_implINS0_14default_configELb0EPKlPlSM_SN_N2at6native12_GLOBAL__N_18offset_tEEE10hipError_tPvRmT1_PNSt15iterator_traitsISV_E10value_typeET2_T3_PNSW_IS11_E10value_typeET4_jRbjT5_S17_jjP12ihipStream_tbEUljE_EEESS_ST_SU_S11_S15_S17_T6_T7_T9_mT8_S19_bDpT10_ENKUlT_T0_E_clISt17integral_constantIbLb0EES1L_IbLb1EEEEDaS1H_S1I_EUlS1H_E_NS1_11comp_targetILNS1_3genE5ELNS1_11target_archE942ELNS1_3gpuE9ELNS1_3repE0EEENS1_30default_config_static_selectorELNS0_4arch9wavefront6targetE0EEEvSV_.kd
    .uniform_work_group_size: 1
    .uses_dynamic_stack: false
    .vgpr_count:     0
    .vgpr_spill_count: 0
    .wavefront_size: 32
    .workgroup_processor_mode: 1
  - .args:
      - .offset:         0
        .size:           152
        .value_kind:     by_value
    .group_segment_fixed_size: 0
    .kernarg_segment_align: 8
    .kernarg_segment_size: 152
    .language:       OpenCL C
    .language_version:
      - 2
      - 0
    .max_flat_workgroup_size: 256
    .name:           _ZN7rocprim17ROCPRIM_400000_NS6detail17trampoline_kernelINS0_13select_configILj256ELj13ELNS0_17block_load_methodE3ELS4_3ELS4_3ELNS0_20block_scan_algorithmE0ELj4294967295EEENS1_25partition_config_selectorILNS1_17partition_subalgoE3EjNS0_10empty_typeEbEEZZNS1_14partition_implILS8_3ELb0ES6_jNS0_17counting_iteratorIjlEEPS9_SE_NS0_5tupleIJPjSE_EEENSF_IJSE_SE_EEES9_SG_JZNS1_25segmented_radix_sort_implINS0_14default_configELb0EPKlPlSM_SN_N2at6native12_GLOBAL__N_18offset_tEEE10hipError_tPvRmT1_PNSt15iterator_traitsISV_E10value_typeET2_T3_PNSW_IS11_E10value_typeET4_jRbjT5_S17_jjP12ihipStream_tbEUljE_EEESS_ST_SU_S11_S15_S17_T6_T7_T9_mT8_S19_bDpT10_ENKUlT_T0_E_clISt17integral_constantIbLb0EES1L_IbLb1EEEEDaS1H_S1I_EUlS1H_E_NS1_11comp_targetILNS1_3genE4ELNS1_11target_archE910ELNS1_3gpuE8ELNS1_3repE0EEENS1_30default_config_static_selectorELNS0_4arch9wavefront6targetE0EEEvSV_
    .private_segment_fixed_size: 0
    .sgpr_count:     0
    .sgpr_spill_count: 0
    .symbol:         _ZN7rocprim17ROCPRIM_400000_NS6detail17trampoline_kernelINS0_13select_configILj256ELj13ELNS0_17block_load_methodE3ELS4_3ELS4_3ELNS0_20block_scan_algorithmE0ELj4294967295EEENS1_25partition_config_selectorILNS1_17partition_subalgoE3EjNS0_10empty_typeEbEEZZNS1_14partition_implILS8_3ELb0ES6_jNS0_17counting_iteratorIjlEEPS9_SE_NS0_5tupleIJPjSE_EEENSF_IJSE_SE_EEES9_SG_JZNS1_25segmented_radix_sort_implINS0_14default_configELb0EPKlPlSM_SN_N2at6native12_GLOBAL__N_18offset_tEEE10hipError_tPvRmT1_PNSt15iterator_traitsISV_E10value_typeET2_T3_PNSW_IS11_E10value_typeET4_jRbjT5_S17_jjP12ihipStream_tbEUljE_EEESS_ST_SU_S11_S15_S17_T6_T7_T9_mT8_S19_bDpT10_ENKUlT_T0_E_clISt17integral_constantIbLb0EES1L_IbLb1EEEEDaS1H_S1I_EUlS1H_E_NS1_11comp_targetILNS1_3genE4ELNS1_11target_archE910ELNS1_3gpuE8ELNS1_3repE0EEENS1_30default_config_static_selectorELNS0_4arch9wavefront6targetE0EEEvSV_.kd
    .uniform_work_group_size: 1
    .uses_dynamic_stack: false
    .vgpr_count:     0
    .vgpr_spill_count: 0
    .wavefront_size: 32
    .workgroup_processor_mode: 1
  - .args:
      - .offset:         0
        .size:           152
        .value_kind:     by_value
    .group_segment_fixed_size: 0
    .kernarg_segment_align: 8
    .kernarg_segment_size: 152
    .language:       OpenCL C
    .language_version:
      - 2
      - 0
    .max_flat_workgroup_size: 256
    .name:           _ZN7rocprim17ROCPRIM_400000_NS6detail17trampoline_kernelINS0_13select_configILj256ELj13ELNS0_17block_load_methodE3ELS4_3ELS4_3ELNS0_20block_scan_algorithmE0ELj4294967295EEENS1_25partition_config_selectorILNS1_17partition_subalgoE3EjNS0_10empty_typeEbEEZZNS1_14partition_implILS8_3ELb0ES6_jNS0_17counting_iteratorIjlEEPS9_SE_NS0_5tupleIJPjSE_EEENSF_IJSE_SE_EEES9_SG_JZNS1_25segmented_radix_sort_implINS0_14default_configELb0EPKlPlSM_SN_N2at6native12_GLOBAL__N_18offset_tEEE10hipError_tPvRmT1_PNSt15iterator_traitsISV_E10value_typeET2_T3_PNSW_IS11_E10value_typeET4_jRbjT5_S17_jjP12ihipStream_tbEUljE_EEESS_ST_SU_S11_S15_S17_T6_T7_T9_mT8_S19_bDpT10_ENKUlT_T0_E_clISt17integral_constantIbLb0EES1L_IbLb1EEEEDaS1H_S1I_EUlS1H_E_NS1_11comp_targetILNS1_3genE3ELNS1_11target_archE908ELNS1_3gpuE7ELNS1_3repE0EEENS1_30default_config_static_selectorELNS0_4arch9wavefront6targetE0EEEvSV_
    .private_segment_fixed_size: 0
    .sgpr_count:     0
    .sgpr_spill_count: 0
    .symbol:         _ZN7rocprim17ROCPRIM_400000_NS6detail17trampoline_kernelINS0_13select_configILj256ELj13ELNS0_17block_load_methodE3ELS4_3ELS4_3ELNS0_20block_scan_algorithmE0ELj4294967295EEENS1_25partition_config_selectorILNS1_17partition_subalgoE3EjNS0_10empty_typeEbEEZZNS1_14partition_implILS8_3ELb0ES6_jNS0_17counting_iteratorIjlEEPS9_SE_NS0_5tupleIJPjSE_EEENSF_IJSE_SE_EEES9_SG_JZNS1_25segmented_radix_sort_implINS0_14default_configELb0EPKlPlSM_SN_N2at6native12_GLOBAL__N_18offset_tEEE10hipError_tPvRmT1_PNSt15iterator_traitsISV_E10value_typeET2_T3_PNSW_IS11_E10value_typeET4_jRbjT5_S17_jjP12ihipStream_tbEUljE_EEESS_ST_SU_S11_S15_S17_T6_T7_T9_mT8_S19_bDpT10_ENKUlT_T0_E_clISt17integral_constantIbLb0EES1L_IbLb1EEEEDaS1H_S1I_EUlS1H_E_NS1_11comp_targetILNS1_3genE3ELNS1_11target_archE908ELNS1_3gpuE7ELNS1_3repE0EEENS1_30default_config_static_selectorELNS0_4arch9wavefront6targetE0EEEvSV_.kd
    .uniform_work_group_size: 1
    .uses_dynamic_stack: false
    .vgpr_count:     0
    .vgpr_spill_count: 0
    .wavefront_size: 32
    .workgroup_processor_mode: 1
  - .args:
      - .offset:         0
        .size:           152
        .value_kind:     by_value
    .group_segment_fixed_size: 0
    .kernarg_segment_align: 8
    .kernarg_segment_size: 152
    .language:       OpenCL C
    .language_version:
      - 2
      - 0
    .max_flat_workgroup_size: 256
    .name:           _ZN7rocprim17ROCPRIM_400000_NS6detail17trampoline_kernelINS0_13select_configILj256ELj13ELNS0_17block_load_methodE3ELS4_3ELS4_3ELNS0_20block_scan_algorithmE0ELj4294967295EEENS1_25partition_config_selectorILNS1_17partition_subalgoE3EjNS0_10empty_typeEbEEZZNS1_14partition_implILS8_3ELb0ES6_jNS0_17counting_iteratorIjlEEPS9_SE_NS0_5tupleIJPjSE_EEENSF_IJSE_SE_EEES9_SG_JZNS1_25segmented_radix_sort_implINS0_14default_configELb0EPKlPlSM_SN_N2at6native12_GLOBAL__N_18offset_tEEE10hipError_tPvRmT1_PNSt15iterator_traitsISV_E10value_typeET2_T3_PNSW_IS11_E10value_typeET4_jRbjT5_S17_jjP12ihipStream_tbEUljE_EEESS_ST_SU_S11_S15_S17_T6_T7_T9_mT8_S19_bDpT10_ENKUlT_T0_E_clISt17integral_constantIbLb0EES1L_IbLb1EEEEDaS1H_S1I_EUlS1H_E_NS1_11comp_targetILNS1_3genE2ELNS1_11target_archE906ELNS1_3gpuE6ELNS1_3repE0EEENS1_30default_config_static_selectorELNS0_4arch9wavefront6targetE0EEEvSV_
    .private_segment_fixed_size: 0
    .sgpr_count:     0
    .sgpr_spill_count: 0
    .symbol:         _ZN7rocprim17ROCPRIM_400000_NS6detail17trampoline_kernelINS0_13select_configILj256ELj13ELNS0_17block_load_methodE3ELS4_3ELS4_3ELNS0_20block_scan_algorithmE0ELj4294967295EEENS1_25partition_config_selectorILNS1_17partition_subalgoE3EjNS0_10empty_typeEbEEZZNS1_14partition_implILS8_3ELb0ES6_jNS0_17counting_iteratorIjlEEPS9_SE_NS0_5tupleIJPjSE_EEENSF_IJSE_SE_EEES9_SG_JZNS1_25segmented_radix_sort_implINS0_14default_configELb0EPKlPlSM_SN_N2at6native12_GLOBAL__N_18offset_tEEE10hipError_tPvRmT1_PNSt15iterator_traitsISV_E10value_typeET2_T3_PNSW_IS11_E10value_typeET4_jRbjT5_S17_jjP12ihipStream_tbEUljE_EEESS_ST_SU_S11_S15_S17_T6_T7_T9_mT8_S19_bDpT10_ENKUlT_T0_E_clISt17integral_constantIbLb0EES1L_IbLb1EEEEDaS1H_S1I_EUlS1H_E_NS1_11comp_targetILNS1_3genE2ELNS1_11target_archE906ELNS1_3gpuE6ELNS1_3repE0EEENS1_30default_config_static_selectorELNS0_4arch9wavefront6targetE0EEEvSV_.kd
    .uniform_work_group_size: 1
    .uses_dynamic_stack: false
    .vgpr_count:     0
    .vgpr_spill_count: 0
    .wavefront_size: 32
    .workgroup_processor_mode: 1
  - .args:
      - .offset:         0
        .size:           152
        .value_kind:     by_value
    .group_segment_fixed_size: 13320
    .kernarg_segment_align: 8
    .kernarg_segment_size: 152
    .language:       OpenCL C
    .language_version:
      - 2
      - 0
    .max_flat_workgroup_size: 256
    .name:           _ZN7rocprim17ROCPRIM_400000_NS6detail17trampoline_kernelINS0_13select_configILj256ELj13ELNS0_17block_load_methodE3ELS4_3ELS4_3ELNS0_20block_scan_algorithmE0ELj4294967295EEENS1_25partition_config_selectorILNS1_17partition_subalgoE3EjNS0_10empty_typeEbEEZZNS1_14partition_implILS8_3ELb0ES6_jNS0_17counting_iteratorIjlEEPS9_SE_NS0_5tupleIJPjSE_EEENSF_IJSE_SE_EEES9_SG_JZNS1_25segmented_radix_sort_implINS0_14default_configELb0EPKlPlSM_SN_N2at6native12_GLOBAL__N_18offset_tEEE10hipError_tPvRmT1_PNSt15iterator_traitsISV_E10value_typeET2_T3_PNSW_IS11_E10value_typeET4_jRbjT5_S17_jjP12ihipStream_tbEUljE_EEESS_ST_SU_S11_S15_S17_T6_T7_T9_mT8_S19_bDpT10_ENKUlT_T0_E_clISt17integral_constantIbLb0EES1L_IbLb1EEEEDaS1H_S1I_EUlS1H_E_NS1_11comp_targetILNS1_3genE10ELNS1_11target_archE1200ELNS1_3gpuE4ELNS1_3repE0EEENS1_30default_config_static_selectorELNS0_4arch9wavefront6targetE0EEEvSV_
    .private_segment_fixed_size: 0
    .sgpr_count:     28
    .sgpr_spill_count: 0
    .symbol:         _ZN7rocprim17ROCPRIM_400000_NS6detail17trampoline_kernelINS0_13select_configILj256ELj13ELNS0_17block_load_methodE3ELS4_3ELS4_3ELNS0_20block_scan_algorithmE0ELj4294967295EEENS1_25partition_config_selectorILNS1_17partition_subalgoE3EjNS0_10empty_typeEbEEZZNS1_14partition_implILS8_3ELb0ES6_jNS0_17counting_iteratorIjlEEPS9_SE_NS0_5tupleIJPjSE_EEENSF_IJSE_SE_EEES9_SG_JZNS1_25segmented_radix_sort_implINS0_14default_configELb0EPKlPlSM_SN_N2at6native12_GLOBAL__N_18offset_tEEE10hipError_tPvRmT1_PNSt15iterator_traitsISV_E10value_typeET2_T3_PNSW_IS11_E10value_typeET4_jRbjT5_S17_jjP12ihipStream_tbEUljE_EEESS_ST_SU_S11_S15_S17_T6_T7_T9_mT8_S19_bDpT10_ENKUlT_T0_E_clISt17integral_constantIbLb0EES1L_IbLb1EEEEDaS1H_S1I_EUlS1H_E_NS1_11comp_targetILNS1_3genE10ELNS1_11target_archE1200ELNS1_3gpuE4ELNS1_3repE0EEENS1_30default_config_static_selectorELNS0_4arch9wavefront6targetE0EEEvSV_.kd
    .uniform_work_group_size: 1
    .uses_dynamic_stack: false
    .vgpr_count:     71
    .vgpr_spill_count: 0
    .wavefront_size: 32
    .workgroup_processor_mode: 1
  - .args:
      - .offset:         0
        .size:           152
        .value_kind:     by_value
    .group_segment_fixed_size: 0
    .kernarg_segment_align: 8
    .kernarg_segment_size: 152
    .language:       OpenCL C
    .language_version:
      - 2
      - 0
    .max_flat_workgroup_size: 256
    .name:           _ZN7rocprim17ROCPRIM_400000_NS6detail17trampoline_kernelINS0_13select_configILj256ELj13ELNS0_17block_load_methodE3ELS4_3ELS4_3ELNS0_20block_scan_algorithmE0ELj4294967295EEENS1_25partition_config_selectorILNS1_17partition_subalgoE3EjNS0_10empty_typeEbEEZZNS1_14partition_implILS8_3ELb0ES6_jNS0_17counting_iteratorIjlEEPS9_SE_NS0_5tupleIJPjSE_EEENSF_IJSE_SE_EEES9_SG_JZNS1_25segmented_radix_sort_implINS0_14default_configELb0EPKlPlSM_SN_N2at6native12_GLOBAL__N_18offset_tEEE10hipError_tPvRmT1_PNSt15iterator_traitsISV_E10value_typeET2_T3_PNSW_IS11_E10value_typeET4_jRbjT5_S17_jjP12ihipStream_tbEUljE_EEESS_ST_SU_S11_S15_S17_T6_T7_T9_mT8_S19_bDpT10_ENKUlT_T0_E_clISt17integral_constantIbLb0EES1L_IbLb1EEEEDaS1H_S1I_EUlS1H_E_NS1_11comp_targetILNS1_3genE9ELNS1_11target_archE1100ELNS1_3gpuE3ELNS1_3repE0EEENS1_30default_config_static_selectorELNS0_4arch9wavefront6targetE0EEEvSV_
    .private_segment_fixed_size: 0
    .sgpr_count:     0
    .sgpr_spill_count: 0
    .symbol:         _ZN7rocprim17ROCPRIM_400000_NS6detail17trampoline_kernelINS0_13select_configILj256ELj13ELNS0_17block_load_methodE3ELS4_3ELS4_3ELNS0_20block_scan_algorithmE0ELj4294967295EEENS1_25partition_config_selectorILNS1_17partition_subalgoE3EjNS0_10empty_typeEbEEZZNS1_14partition_implILS8_3ELb0ES6_jNS0_17counting_iteratorIjlEEPS9_SE_NS0_5tupleIJPjSE_EEENSF_IJSE_SE_EEES9_SG_JZNS1_25segmented_radix_sort_implINS0_14default_configELb0EPKlPlSM_SN_N2at6native12_GLOBAL__N_18offset_tEEE10hipError_tPvRmT1_PNSt15iterator_traitsISV_E10value_typeET2_T3_PNSW_IS11_E10value_typeET4_jRbjT5_S17_jjP12ihipStream_tbEUljE_EEESS_ST_SU_S11_S15_S17_T6_T7_T9_mT8_S19_bDpT10_ENKUlT_T0_E_clISt17integral_constantIbLb0EES1L_IbLb1EEEEDaS1H_S1I_EUlS1H_E_NS1_11comp_targetILNS1_3genE9ELNS1_11target_archE1100ELNS1_3gpuE3ELNS1_3repE0EEENS1_30default_config_static_selectorELNS0_4arch9wavefront6targetE0EEEvSV_.kd
    .uniform_work_group_size: 1
    .uses_dynamic_stack: false
    .vgpr_count:     0
    .vgpr_spill_count: 0
    .wavefront_size: 32
    .workgroup_processor_mode: 1
  - .args:
      - .offset:         0
        .size:           152
        .value_kind:     by_value
    .group_segment_fixed_size: 0
    .kernarg_segment_align: 8
    .kernarg_segment_size: 152
    .language:       OpenCL C
    .language_version:
      - 2
      - 0
    .max_flat_workgroup_size: 256
    .name:           _ZN7rocprim17ROCPRIM_400000_NS6detail17trampoline_kernelINS0_13select_configILj256ELj13ELNS0_17block_load_methodE3ELS4_3ELS4_3ELNS0_20block_scan_algorithmE0ELj4294967295EEENS1_25partition_config_selectorILNS1_17partition_subalgoE3EjNS0_10empty_typeEbEEZZNS1_14partition_implILS8_3ELb0ES6_jNS0_17counting_iteratorIjlEEPS9_SE_NS0_5tupleIJPjSE_EEENSF_IJSE_SE_EEES9_SG_JZNS1_25segmented_radix_sort_implINS0_14default_configELb0EPKlPlSM_SN_N2at6native12_GLOBAL__N_18offset_tEEE10hipError_tPvRmT1_PNSt15iterator_traitsISV_E10value_typeET2_T3_PNSW_IS11_E10value_typeET4_jRbjT5_S17_jjP12ihipStream_tbEUljE_EEESS_ST_SU_S11_S15_S17_T6_T7_T9_mT8_S19_bDpT10_ENKUlT_T0_E_clISt17integral_constantIbLb0EES1L_IbLb1EEEEDaS1H_S1I_EUlS1H_E_NS1_11comp_targetILNS1_3genE8ELNS1_11target_archE1030ELNS1_3gpuE2ELNS1_3repE0EEENS1_30default_config_static_selectorELNS0_4arch9wavefront6targetE0EEEvSV_
    .private_segment_fixed_size: 0
    .sgpr_count:     0
    .sgpr_spill_count: 0
    .symbol:         _ZN7rocprim17ROCPRIM_400000_NS6detail17trampoline_kernelINS0_13select_configILj256ELj13ELNS0_17block_load_methodE3ELS4_3ELS4_3ELNS0_20block_scan_algorithmE0ELj4294967295EEENS1_25partition_config_selectorILNS1_17partition_subalgoE3EjNS0_10empty_typeEbEEZZNS1_14partition_implILS8_3ELb0ES6_jNS0_17counting_iteratorIjlEEPS9_SE_NS0_5tupleIJPjSE_EEENSF_IJSE_SE_EEES9_SG_JZNS1_25segmented_radix_sort_implINS0_14default_configELb0EPKlPlSM_SN_N2at6native12_GLOBAL__N_18offset_tEEE10hipError_tPvRmT1_PNSt15iterator_traitsISV_E10value_typeET2_T3_PNSW_IS11_E10value_typeET4_jRbjT5_S17_jjP12ihipStream_tbEUljE_EEESS_ST_SU_S11_S15_S17_T6_T7_T9_mT8_S19_bDpT10_ENKUlT_T0_E_clISt17integral_constantIbLb0EES1L_IbLb1EEEEDaS1H_S1I_EUlS1H_E_NS1_11comp_targetILNS1_3genE8ELNS1_11target_archE1030ELNS1_3gpuE2ELNS1_3repE0EEENS1_30default_config_static_selectorELNS0_4arch9wavefront6targetE0EEEvSV_.kd
    .uniform_work_group_size: 1
    .uses_dynamic_stack: false
    .vgpr_count:     0
    .vgpr_spill_count: 0
    .wavefront_size: 32
    .workgroup_processor_mode: 1
  - .args:
      - .offset:         0
        .size:           96
        .value_kind:     by_value
    .group_segment_fixed_size: 0
    .kernarg_segment_align: 8
    .kernarg_segment_size: 96
    .language:       OpenCL C
    .language_version:
      - 2
      - 0
    .max_flat_workgroup_size: 256
    .name:           _ZN7rocprim17ROCPRIM_400000_NS6detail17trampoline_kernelINS0_14default_configENS1_36segmented_radix_sort_config_selectorIllEEZNS1_25segmented_radix_sort_implIS3_Lb0EPKlPlS8_S9_N2at6native12_GLOBAL__N_18offset_tEEE10hipError_tPvRmT1_PNSt15iterator_traitsISH_E10value_typeET2_T3_PNSI_ISN_E10value_typeET4_jRbjT5_ST_jjP12ihipStream_tbEUlT_E_NS1_11comp_targetILNS1_3genE0ELNS1_11target_archE4294967295ELNS1_3gpuE0ELNS1_3repE0EEENS1_30default_config_static_selectorELNS0_4arch9wavefront6targetE0EEEvSH_
    .private_segment_fixed_size: 0
    .sgpr_count:     0
    .sgpr_spill_count: 0
    .symbol:         _ZN7rocprim17ROCPRIM_400000_NS6detail17trampoline_kernelINS0_14default_configENS1_36segmented_radix_sort_config_selectorIllEEZNS1_25segmented_radix_sort_implIS3_Lb0EPKlPlS8_S9_N2at6native12_GLOBAL__N_18offset_tEEE10hipError_tPvRmT1_PNSt15iterator_traitsISH_E10value_typeET2_T3_PNSI_ISN_E10value_typeET4_jRbjT5_ST_jjP12ihipStream_tbEUlT_E_NS1_11comp_targetILNS1_3genE0ELNS1_11target_archE4294967295ELNS1_3gpuE0ELNS1_3repE0EEENS1_30default_config_static_selectorELNS0_4arch9wavefront6targetE0EEEvSH_.kd
    .uniform_work_group_size: 1
    .uses_dynamic_stack: false
    .vgpr_count:     0
    .vgpr_spill_count: 0
    .wavefront_size: 32
    .workgroup_processor_mode: 1
  - .args:
      - .offset:         0
        .size:           96
        .value_kind:     by_value
    .group_segment_fixed_size: 0
    .kernarg_segment_align: 8
    .kernarg_segment_size: 96
    .language:       OpenCL C
    .language_version:
      - 2
      - 0
    .max_flat_workgroup_size: 256
    .name:           _ZN7rocprim17ROCPRIM_400000_NS6detail17trampoline_kernelINS0_14default_configENS1_36segmented_radix_sort_config_selectorIllEEZNS1_25segmented_radix_sort_implIS3_Lb0EPKlPlS8_S9_N2at6native12_GLOBAL__N_18offset_tEEE10hipError_tPvRmT1_PNSt15iterator_traitsISH_E10value_typeET2_T3_PNSI_ISN_E10value_typeET4_jRbjT5_ST_jjP12ihipStream_tbEUlT_E_NS1_11comp_targetILNS1_3genE5ELNS1_11target_archE942ELNS1_3gpuE9ELNS1_3repE0EEENS1_30default_config_static_selectorELNS0_4arch9wavefront6targetE0EEEvSH_
    .private_segment_fixed_size: 0
    .sgpr_count:     0
    .sgpr_spill_count: 0
    .symbol:         _ZN7rocprim17ROCPRIM_400000_NS6detail17trampoline_kernelINS0_14default_configENS1_36segmented_radix_sort_config_selectorIllEEZNS1_25segmented_radix_sort_implIS3_Lb0EPKlPlS8_S9_N2at6native12_GLOBAL__N_18offset_tEEE10hipError_tPvRmT1_PNSt15iterator_traitsISH_E10value_typeET2_T3_PNSI_ISN_E10value_typeET4_jRbjT5_ST_jjP12ihipStream_tbEUlT_E_NS1_11comp_targetILNS1_3genE5ELNS1_11target_archE942ELNS1_3gpuE9ELNS1_3repE0EEENS1_30default_config_static_selectorELNS0_4arch9wavefront6targetE0EEEvSH_.kd
    .uniform_work_group_size: 1
    .uses_dynamic_stack: false
    .vgpr_count:     0
    .vgpr_spill_count: 0
    .wavefront_size: 32
    .workgroup_processor_mode: 1
  - .args:
      - .offset:         0
        .size:           96
        .value_kind:     by_value
    .group_segment_fixed_size: 0
    .kernarg_segment_align: 8
    .kernarg_segment_size: 96
    .language:       OpenCL C
    .language_version:
      - 2
      - 0
    .max_flat_workgroup_size: 256
    .name:           _ZN7rocprim17ROCPRIM_400000_NS6detail17trampoline_kernelINS0_14default_configENS1_36segmented_radix_sort_config_selectorIllEEZNS1_25segmented_radix_sort_implIS3_Lb0EPKlPlS8_S9_N2at6native12_GLOBAL__N_18offset_tEEE10hipError_tPvRmT1_PNSt15iterator_traitsISH_E10value_typeET2_T3_PNSI_ISN_E10value_typeET4_jRbjT5_ST_jjP12ihipStream_tbEUlT_E_NS1_11comp_targetILNS1_3genE4ELNS1_11target_archE910ELNS1_3gpuE8ELNS1_3repE0EEENS1_30default_config_static_selectorELNS0_4arch9wavefront6targetE0EEEvSH_
    .private_segment_fixed_size: 0
    .sgpr_count:     0
    .sgpr_spill_count: 0
    .symbol:         _ZN7rocprim17ROCPRIM_400000_NS6detail17trampoline_kernelINS0_14default_configENS1_36segmented_radix_sort_config_selectorIllEEZNS1_25segmented_radix_sort_implIS3_Lb0EPKlPlS8_S9_N2at6native12_GLOBAL__N_18offset_tEEE10hipError_tPvRmT1_PNSt15iterator_traitsISH_E10value_typeET2_T3_PNSI_ISN_E10value_typeET4_jRbjT5_ST_jjP12ihipStream_tbEUlT_E_NS1_11comp_targetILNS1_3genE4ELNS1_11target_archE910ELNS1_3gpuE8ELNS1_3repE0EEENS1_30default_config_static_selectorELNS0_4arch9wavefront6targetE0EEEvSH_.kd
    .uniform_work_group_size: 1
    .uses_dynamic_stack: false
    .vgpr_count:     0
    .vgpr_spill_count: 0
    .wavefront_size: 32
    .workgroup_processor_mode: 1
  - .args:
      - .offset:         0
        .size:           96
        .value_kind:     by_value
    .group_segment_fixed_size: 0
    .kernarg_segment_align: 8
    .kernarg_segment_size: 96
    .language:       OpenCL C
    .language_version:
      - 2
      - 0
    .max_flat_workgroup_size: 256
    .name:           _ZN7rocprim17ROCPRIM_400000_NS6detail17trampoline_kernelINS0_14default_configENS1_36segmented_radix_sort_config_selectorIllEEZNS1_25segmented_radix_sort_implIS3_Lb0EPKlPlS8_S9_N2at6native12_GLOBAL__N_18offset_tEEE10hipError_tPvRmT1_PNSt15iterator_traitsISH_E10value_typeET2_T3_PNSI_ISN_E10value_typeET4_jRbjT5_ST_jjP12ihipStream_tbEUlT_E_NS1_11comp_targetILNS1_3genE3ELNS1_11target_archE908ELNS1_3gpuE7ELNS1_3repE0EEENS1_30default_config_static_selectorELNS0_4arch9wavefront6targetE0EEEvSH_
    .private_segment_fixed_size: 0
    .sgpr_count:     0
    .sgpr_spill_count: 0
    .symbol:         _ZN7rocprim17ROCPRIM_400000_NS6detail17trampoline_kernelINS0_14default_configENS1_36segmented_radix_sort_config_selectorIllEEZNS1_25segmented_radix_sort_implIS3_Lb0EPKlPlS8_S9_N2at6native12_GLOBAL__N_18offset_tEEE10hipError_tPvRmT1_PNSt15iterator_traitsISH_E10value_typeET2_T3_PNSI_ISN_E10value_typeET4_jRbjT5_ST_jjP12ihipStream_tbEUlT_E_NS1_11comp_targetILNS1_3genE3ELNS1_11target_archE908ELNS1_3gpuE7ELNS1_3repE0EEENS1_30default_config_static_selectorELNS0_4arch9wavefront6targetE0EEEvSH_.kd
    .uniform_work_group_size: 1
    .uses_dynamic_stack: false
    .vgpr_count:     0
    .vgpr_spill_count: 0
    .wavefront_size: 32
    .workgroup_processor_mode: 1
  - .args:
      - .offset:         0
        .size:           96
        .value_kind:     by_value
    .group_segment_fixed_size: 0
    .kernarg_segment_align: 8
    .kernarg_segment_size: 96
    .language:       OpenCL C
    .language_version:
      - 2
      - 0
    .max_flat_workgroup_size: 256
    .name:           _ZN7rocprim17ROCPRIM_400000_NS6detail17trampoline_kernelINS0_14default_configENS1_36segmented_radix_sort_config_selectorIllEEZNS1_25segmented_radix_sort_implIS3_Lb0EPKlPlS8_S9_N2at6native12_GLOBAL__N_18offset_tEEE10hipError_tPvRmT1_PNSt15iterator_traitsISH_E10value_typeET2_T3_PNSI_ISN_E10value_typeET4_jRbjT5_ST_jjP12ihipStream_tbEUlT_E_NS1_11comp_targetILNS1_3genE2ELNS1_11target_archE906ELNS1_3gpuE6ELNS1_3repE0EEENS1_30default_config_static_selectorELNS0_4arch9wavefront6targetE0EEEvSH_
    .private_segment_fixed_size: 0
    .sgpr_count:     0
    .sgpr_spill_count: 0
    .symbol:         _ZN7rocprim17ROCPRIM_400000_NS6detail17trampoline_kernelINS0_14default_configENS1_36segmented_radix_sort_config_selectorIllEEZNS1_25segmented_radix_sort_implIS3_Lb0EPKlPlS8_S9_N2at6native12_GLOBAL__N_18offset_tEEE10hipError_tPvRmT1_PNSt15iterator_traitsISH_E10value_typeET2_T3_PNSI_ISN_E10value_typeET4_jRbjT5_ST_jjP12ihipStream_tbEUlT_E_NS1_11comp_targetILNS1_3genE2ELNS1_11target_archE906ELNS1_3gpuE6ELNS1_3repE0EEENS1_30default_config_static_selectorELNS0_4arch9wavefront6targetE0EEEvSH_.kd
    .uniform_work_group_size: 1
    .uses_dynamic_stack: false
    .vgpr_count:     0
    .vgpr_spill_count: 0
    .wavefront_size: 32
    .workgroup_processor_mode: 1
  - .args:
      - .offset:         0
        .size:           96
        .value_kind:     by_value
      - .offset:         96
        .size:           4
        .value_kind:     hidden_block_count_x
      - .offset:         100
        .size:           4
        .value_kind:     hidden_block_count_y
      - .offset:         104
        .size:           4
        .value_kind:     hidden_block_count_z
      - .offset:         108
        .size:           2
        .value_kind:     hidden_group_size_x
      - .offset:         110
        .size:           2
        .value_kind:     hidden_group_size_y
      - .offset:         112
        .size:           2
        .value_kind:     hidden_group_size_z
      - .offset:         114
        .size:           2
        .value_kind:     hidden_remainder_x
      - .offset:         116
        .size:           2
        .value_kind:     hidden_remainder_y
      - .offset:         118
        .size:           2
        .value_kind:     hidden_remainder_z
      - .offset:         136
        .size:           8
        .value_kind:     hidden_global_offset_x
      - .offset:         144
        .size:           8
        .value_kind:     hidden_global_offset_y
      - .offset:         152
        .size:           8
        .value_kind:     hidden_global_offset_z
      - .offset:         160
        .size:           2
        .value_kind:     hidden_grid_dims
    .group_segment_fixed_size: 33824
    .kernarg_segment_align: 8
    .kernarg_segment_size: 352
    .language:       OpenCL C
    .language_version:
      - 2
      - 0
    .max_flat_workgroup_size: 256
    .name:           _ZN7rocprim17ROCPRIM_400000_NS6detail17trampoline_kernelINS0_14default_configENS1_36segmented_radix_sort_config_selectorIllEEZNS1_25segmented_radix_sort_implIS3_Lb0EPKlPlS8_S9_N2at6native12_GLOBAL__N_18offset_tEEE10hipError_tPvRmT1_PNSt15iterator_traitsISH_E10value_typeET2_T3_PNSI_ISN_E10value_typeET4_jRbjT5_ST_jjP12ihipStream_tbEUlT_E_NS1_11comp_targetILNS1_3genE10ELNS1_11target_archE1201ELNS1_3gpuE5ELNS1_3repE0EEENS1_30default_config_static_selectorELNS0_4arch9wavefront6targetE0EEEvSH_
    .private_segment_fixed_size: 176
    .sgpr_count:     62
    .sgpr_spill_count: 0
    .symbol:         _ZN7rocprim17ROCPRIM_400000_NS6detail17trampoline_kernelINS0_14default_configENS1_36segmented_radix_sort_config_selectorIllEEZNS1_25segmented_radix_sort_implIS3_Lb0EPKlPlS8_S9_N2at6native12_GLOBAL__N_18offset_tEEE10hipError_tPvRmT1_PNSt15iterator_traitsISH_E10value_typeET2_T3_PNSI_ISN_E10value_typeET4_jRbjT5_ST_jjP12ihipStream_tbEUlT_E_NS1_11comp_targetILNS1_3genE10ELNS1_11target_archE1201ELNS1_3gpuE5ELNS1_3repE0EEENS1_30default_config_static_selectorELNS0_4arch9wavefront6targetE0EEEvSH_.kd
    .uniform_work_group_size: 1
    .uses_dynamic_stack: false
    .vgpr_count:     248
    .vgpr_spill_count: 0
    .wavefront_size: 32
    .workgroup_processor_mode: 1
  - .args:
      - .offset:         0
        .size:           96
        .value_kind:     by_value
    .group_segment_fixed_size: 0
    .kernarg_segment_align: 8
    .kernarg_segment_size: 96
    .language:       OpenCL C
    .language_version:
      - 2
      - 0
    .max_flat_workgroup_size: 128
    .name:           _ZN7rocprim17ROCPRIM_400000_NS6detail17trampoline_kernelINS0_14default_configENS1_36segmented_radix_sort_config_selectorIllEEZNS1_25segmented_radix_sort_implIS3_Lb0EPKlPlS8_S9_N2at6native12_GLOBAL__N_18offset_tEEE10hipError_tPvRmT1_PNSt15iterator_traitsISH_E10value_typeET2_T3_PNSI_ISN_E10value_typeET4_jRbjT5_ST_jjP12ihipStream_tbEUlT_E_NS1_11comp_targetILNS1_3genE10ELNS1_11target_archE1200ELNS1_3gpuE4ELNS1_3repE0EEENS1_30default_config_static_selectorELNS0_4arch9wavefront6targetE0EEEvSH_
    .private_segment_fixed_size: 0
    .sgpr_count:     0
    .sgpr_spill_count: 0
    .symbol:         _ZN7rocprim17ROCPRIM_400000_NS6detail17trampoline_kernelINS0_14default_configENS1_36segmented_radix_sort_config_selectorIllEEZNS1_25segmented_radix_sort_implIS3_Lb0EPKlPlS8_S9_N2at6native12_GLOBAL__N_18offset_tEEE10hipError_tPvRmT1_PNSt15iterator_traitsISH_E10value_typeET2_T3_PNSI_ISN_E10value_typeET4_jRbjT5_ST_jjP12ihipStream_tbEUlT_E_NS1_11comp_targetILNS1_3genE10ELNS1_11target_archE1200ELNS1_3gpuE4ELNS1_3repE0EEENS1_30default_config_static_selectorELNS0_4arch9wavefront6targetE0EEEvSH_.kd
    .uniform_work_group_size: 1
    .uses_dynamic_stack: false
    .vgpr_count:     0
    .vgpr_spill_count: 0
    .wavefront_size: 32
    .workgroup_processor_mode: 1
  - .args:
      - .offset:         0
        .size:           96
        .value_kind:     by_value
    .group_segment_fixed_size: 0
    .kernarg_segment_align: 8
    .kernarg_segment_size: 96
    .language:       OpenCL C
    .language_version:
      - 2
      - 0
    .max_flat_workgroup_size: 256
    .name:           _ZN7rocprim17ROCPRIM_400000_NS6detail17trampoline_kernelINS0_14default_configENS1_36segmented_radix_sort_config_selectorIllEEZNS1_25segmented_radix_sort_implIS3_Lb0EPKlPlS8_S9_N2at6native12_GLOBAL__N_18offset_tEEE10hipError_tPvRmT1_PNSt15iterator_traitsISH_E10value_typeET2_T3_PNSI_ISN_E10value_typeET4_jRbjT5_ST_jjP12ihipStream_tbEUlT_E_NS1_11comp_targetILNS1_3genE9ELNS1_11target_archE1100ELNS1_3gpuE3ELNS1_3repE0EEENS1_30default_config_static_selectorELNS0_4arch9wavefront6targetE0EEEvSH_
    .private_segment_fixed_size: 0
    .sgpr_count:     0
    .sgpr_spill_count: 0
    .symbol:         _ZN7rocprim17ROCPRIM_400000_NS6detail17trampoline_kernelINS0_14default_configENS1_36segmented_radix_sort_config_selectorIllEEZNS1_25segmented_radix_sort_implIS3_Lb0EPKlPlS8_S9_N2at6native12_GLOBAL__N_18offset_tEEE10hipError_tPvRmT1_PNSt15iterator_traitsISH_E10value_typeET2_T3_PNSI_ISN_E10value_typeET4_jRbjT5_ST_jjP12ihipStream_tbEUlT_E_NS1_11comp_targetILNS1_3genE9ELNS1_11target_archE1100ELNS1_3gpuE3ELNS1_3repE0EEENS1_30default_config_static_selectorELNS0_4arch9wavefront6targetE0EEEvSH_.kd
    .uniform_work_group_size: 1
    .uses_dynamic_stack: false
    .vgpr_count:     0
    .vgpr_spill_count: 0
    .wavefront_size: 32
    .workgroup_processor_mode: 1
  - .args:
      - .offset:         0
        .size:           96
        .value_kind:     by_value
    .group_segment_fixed_size: 0
    .kernarg_segment_align: 8
    .kernarg_segment_size: 96
    .language:       OpenCL C
    .language_version:
      - 2
      - 0
    .max_flat_workgroup_size: 256
    .name:           _ZN7rocprim17ROCPRIM_400000_NS6detail17trampoline_kernelINS0_14default_configENS1_36segmented_radix_sort_config_selectorIllEEZNS1_25segmented_radix_sort_implIS3_Lb0EPKlPlS8_S9_N2at6native12_GLOBAL__N_18offset_tEEE10hipError_tPvRmT1_PNSt15iterator_traitsISH_E10value_typeET2_T3_PNSI_ISN_E10value_typeET4_jRbjT5_ST_jjP12ihipStream_tbEUlT_E_NS1_11comp_targetILNS1_3genE8ELNS1_11target_archE1030ELNS1_3gpuE2ELNS1_3repE0EEENS1_30default_config_static_selectorELNS0_4arch9wavefront6targetE0EEEvSH_
    .private_segment_fixed_size: 0
    .sgpr_count:     0
    .sgpr_spill_count: 0
    .symbol:         _ZN7rocprim17ROCPRIM_400000_NS6detail17trampoline_kernelINS0_14default_configENS1_36segmented_radix_sort_config_selectorIllEEZNS1_25segmented_radix_sort_implIS3_Lb0EPKlPlS8_S9_N2at6native12_GLOBAL__N_18offset_tEEE10hipError_tPvRmT1_PNSt15iterator_traitsISH_E10value_typeET2_T3_PNSI_ISN_E10value_typeET4_jRbjT5_ST_jjP12ihipStream_tbEUlT_E_NS1_11comp_targetILNS1_3genE8ELNS1_11target_archE1030ELNS1_3gpuE2ELNS1_3repE0EEENS1_30default_config_static_selectorELNS0_4arch9wavefront6targetE0EEEvSH_.kd
    .uniform_work_group_size: 1
    .uses_dynamic_stack: false
    .vgpr_count:     0
    .vgpr_spill_count: 0
    .wavefront_size: 32
    .workgroup_processor_mode: 1
  - .args:
      - .offset:         0
        .size:           88
        .value_kind:     by_value
    .group_segment_fixed_size: 0
    .kernarg_segment_align: 8
    .kernarg_segment_size: 88
    .language:       OpenCL C
    .language_version:
      - 2
      - 0
    .max_flat_workgroup_size: 256
    .name:           _ZN7rocprim17ROCPRIM_400000_NS6detail17trampoline_kernelINS0_14default_configENS1_36segmented_radix_sort_config_selectorIllEEZNS1_25segmented_radix_sort_implIS3_Lb0EPKlPlS8_S9_N2at6native12_GLOBAL__N_18offset_tEEE10hipError_tPvRmT1_PNSt15iterator_traitsISH_E10value_typeET2_T3_PNSI_ISN_E10value_typeET4_jRbjT5_ST_jjP12ihipStream_tbEUlT_E0_NS1_11comp_targetILNS1_3genE0ELNS1_11target_archE4294967295ELNS1_3gpuE0ELNS1_3repE0EEENS1_60segmented_radix_sort_warp_sort_medium_config_static_selectorELNS0_4arch9wavefront6targetE0EEEvSH_
    .private_segment_fixed_size: 0
    .sgpr_count:     0
    .sgpr_spill_count: 0
    .symbol:         _ZN7rocprim17ROCPRIM_400000_NS6detail17trampoline_kernelINS0_14default_configENS1_36segmented_radix_sort_config_selectorIllEEZNS1_25segmented_radix_sort_implIS3_Lb0EPKlPlS8_S9_N2at6native12_GLOBAL__N_18offset_tEEE10hipError_tPvRmT1_PNSt15iterator_traitsISH_E10value_typeET2_T3_PNSI_ISN_E10value_typeET4_jRbjT5_ST_jjP12ihipStream_tbEUlT_E0_NS1_11comp_targetILNS1_3genE0ELNS1_11target_archE4294967295ELNS1_3gpuE0ELNS1_3repE0EEENS1_60segmented_radix_sort_warp_sort_medium_config_static_selectorELNS0_4arch9wavefront6targetE0EEEvSH_.kd
    .uniform_work_group_size: 1
    .uses_dynamic_stack: false
    .vgpr_count:     0
    .vgpr_spill_count: 0
    .wavefront_size: 32
    .workgroup_processor_mode: 1
  - .args:
      - .offset:         0
        .size:           88
        .value_kind:     by_value
    .group_segment_fixed_size: 0
    .kernarg_segment_align: 8
    .kernarg_segment_size: 88
    .language:       OpenCL C
    .language_version:
      - 2
      - 0
    .max_flat_workgroup_size: 256
    .name:           _ZN7rocprim17ROCPRIM_400000_NS6detail17trampoline_kernelINS0_14default_configENS1_36segmented_radix_sort_config_selectorIllEEZNS1_25segmented_radix_sort_implIS3_Lb0EPKlPlS8_S9_N2at6native12_GLOBAL__N_18offset_tEEE10hipError_tPvRmT1_PNSt15iterator_traitsISH_E10value_typeET2_T3_PNSI_ISN_E10value_typeET4_jRbjT5_ST_jjP12ihipStream_tbEUlT_E0_NS1_11comp_targetILNS1_3genE5ELNS1_11target_archE942ELNS1_3gpuE9ELNS1_3repE0EEENS1_60segmented_radix_sort_warp_sort_medium_config_static_selectorELNS0_4arch9wavefront6targetE0EEEvSH_
    .private_segment_fixed_size: 0
    .sgpr_count:     0
    .sgpr_spill_count: 0
    .symbol:         _ZN7rocprim17ROCPRIM_400000_NS6detail17trampoline_kernelINS0_14default_configENS1_36segmented_radix_sort_config_selectorIllEEZNS1_25segmented_radix_sort_implIS3_Lb0EPKlPlS8_S9_N2at6native12_GLOBAL__N_18offset_tEEE10hipError_tPvRmT1_PNSt15iterator_traitsISH_E10value_typeET2_T3_PNSI_ISN_E10value_typeET4_jRbjT5_ST_jjP12ihipStream_tbEUlT_E0_NS1_11comp_targetILNS1_3genE5ELNS1_11target_archE942ELNS1_3gpuE9ELNS1_3repE0EEENS1_60segmented_radix_sort_warp_sort_medium_config_static_selectorELNS0_4arch9wavefront6targetE0EEEvSH_.kd
    .uniform_work_group_size: 1
    .uses_dynamic_stack: false
    .vgpr_count:     0
    .vgpr_spill_count: 0
    .wavefront_size: 32
    .workgroup_processor_mode: 1
  - .args:
      - .offset:         0
        .size:           88
        .value_kind:     by_value
    .group_segment_fixed_size: 0
    .kernarg_segment_align: 8
    .kernarg_segment_size: 88
    .language:       OpenCL C
    .language_version:
      - 2
      - 0
    .max_flat_workgroup_size: 256
    .name:           _ZN7rocprim17ROCPRIM_400000_NS6detail17trampoline_kernelINS0_14default_configENS1_36segmented_radix_sort_config_selectorIllEEZNS1_25segmented_radix_sort_implIS3_Lb0EPKlPlS8_S9_N2at6native12_GLOBAL__N_18offset_tEEE10hipError_tPvRmT1_PNSt15iterator_traitsISH_E10value_typeET2_T3_PNSI_ISN_E10value_typeET4_jRbjT5_ST_jjP12ihipStream_tbEUlT_E0_NS1_11comp_targetILNS1_3genE4ELNS1_11target_archE910ELNS1_3gpuE8ELNS1_3repE0EEENS1_60segmented_radix_sort_warp_sort_medium_config_static_selectorELNS0_4arch9wavefront6targetE0EEEvSH_
    .private_segment_fixed_size: 0
    .sgpr_count:     0
    .sgpr_spill_count: 0
    .symbol:         _ZN7rocprim17ROCPRIM_400000_NS6detail17trampoline_kernelINS0_14default_configENS1_36segmented_radix_sort_config_selectorIllEEZNS1_25segmented_radix_sort_implIS3_Lb0EPKlPlS8_S9_N2at6native12_GLOBAL__N_18offset_tEEE10hipError_tPvRmT1_PNSt15iterator_traitsISH_E10value_typeET2_T3_PNSI_ISN_E10value_typeET4_jRbjT5_ST_jjP12ihipStream_tbEUlT_E0_NS1_11comp_targetILNS1_3genE4ELNS1_11target_archE910ELNS1_3gpuE8ELNS1_3repE0EEENS1_60segmented_radix_sort_warp_sort_medium_config_static_selectorELNS0_4arch9wavefront6targetE0EEEvSH_.kd
    .uniform_work_group_size: 1
    .uses_dynamic_stack: false
    .vgpr_count:     0
    .vgpr_spill_count: 0
    .wavefront_size: 32
    .workgroup_processor_mode: 1
  - .args:
      - .offset:         0
        .size:           88
        .value_kind:     by_value
    .group_segment_fixed_size: 0
    .kernarg_segment_align: 8
    .kernarg_segment_size: 88
    .language:       OpenCL C
    .language_version:
      - 2
      - 0
    .max_flat_workgroup_size: 256
    .name:           _ZN7rocprim17ROCPRIM_400000_NS6detail17trampoline_kernelINS0_14default_configENS1_36segmented_radix_sort_config_selectorIllEEZNS1_25segmented_radix_sort_implIS3_Lb0EPKlPlS8_S9_N2at6native12_GLOBAL__N_18offset_tEEE10hipError_tPvRmT1_PNSt15iterator_traitsISH_E10value_typeET2_T3_PNSI_ISN_E10value_typeET4_jRbjT5_ST_jjP12ihipStream_tbEUlT_E0_NS1_11comp_targetILNS1_3genE3ELNS1_11target_archE908ELNS1_3gpuE7ELNS1_3repE0EEENS1_60segmented_radix_sort_warp_sort_medium_config_static_selectorELNS0_4arch9wavefront6targetE0EEEvSH_
    .private_segment_fixed_size: 0
    .sgpr_count:     0
    .sgpr_spill_count: 0
    .symbol:         _ZN7rocprim17ROCPRIM_400000_NS6detail17trampoline_kernelINS0_14default_configENS1_36segmented_radix_sort_config_selectorIllEEZNS1_25segmented_radix_sort_implIS3_Lb0EPKlPlS8_S9_N2at6native12_GLOBAL__N_18offset_tEEE10hipError_tPvRmT1_PNSt15iterator_traitsISH_E10value_typeET2_T3_PNSI_ISN_E10value_typeET4_jRbjT5_ST_jjP12ihipStream_tbEUlT_E0_NS1_11comp_targetILNS1_3genE3ELNS1_11target_archE908ELNS1_3gpuE7ELNS1_3repE0EEENS1_60segmented_radix_sort_warp_sort_medium_config_static_selectorELNS0_4arch9wavefront6targetE0EEEvSH_.kd
    .uniform_work_group_size: 1
    .uses_dynamic_stack: false
    .vgpr_count:     0
    .vgpr_spill_count: 0
    .wavefront_size: 32
    .workgroup_processor_mode: 1
  - .args:
      - .offset:         0
        .size:           88
        .value_kind:     by_value
    .group_segment_fixed_size: 0
    .kernarg_segment_align: 8
    .kernarg_segment_size: 88
    .language:       OpenCL C
    .language_version:
      - 2
      - 0
    .max_flat_workgroup_size: 256
    .name:           _ZN7rocprim17ROCPRIM_400000_NS6detail17trampoline_kernelINS0_14default_configENS1_36segmented_radix_sort_config_selectorIllEEZNS1_25segmented_radix_sort_implIS3_Lb0EPKlPlS8_S9_N2at6native12_GLOBAL__N_18offset_tEEE10hipError_tPvRmT1_PNSt15iterator_traitsISH_E10value_typeET2_T3_PNSI_ISN_E10value_typeET4_jRbjT5_ST_jjP12ihipStream_tbEUlT_E0_NS1_11comp_targetILNS1_3genE2ELNS1_11target_archE906ELNS1_3gpuE6ELNS1_3repE0EEENS1_60segmented_radix_sort_warp_sort_medium_config_static_selectorELNS0_4arch9wavefront6targetE0EEEvSH_
    .private_segment_fixed_size: 0
    .sgpr_count:     0
    .sgpr_spill_count: 0
    .symbol:         _ZN7rocprim17ROCPRIM_400000_NS6detail17trampoline_kernelINS0_14default_configENS1_36segmented_radix_sort_config_selectorIllEEZNS1_25segmented_radix_sort_implIS3_Lb0EPKlPlS8_S9_N2at6native12_GLOBAL__N_18offset_tEEE10hipError_tPvRmT1_PNSt15iterator_traitsISH_E10value_typeET2_T3_PNSI_ISN_E10value_typeET4_jRbjT5_ST_jjP12ihipStream_tbEUlT_E0_NS1_11comp_targetILNS1_3genE2ELNS1_11target_archE906ELNS1_3gpuE6ELNS1_3repE0EEENS1_60segmented_radix_sort_warp_sort_medium_config_static_selectorELNS0_4arch9wavefront6targetE0EEEvSH_.kd
    .uniform_work_group_size: 1
    .uses_dynamic_stack: false
    .vgpr_count:     0
    .vgpr_spill_count: 0
    .wavefront_size: 32
    .workgroup_processor_mode: 1
  - .args:
      - .offset:         0
        .size:           88
        .value_kind:     by_value
      - .offset:         88
        .size:           4
        .value_kind:     hidden_block_count_x
      - .offset:         92
        .size:           4
        .value_kind:     hidden_block_count_y
      - .offset:         96
        .size:           4
        .value_kind:     hidden_block_count_z
      - .offset:         100
        .size:           2
        .value_kind:     hidden_group_size_x
      - .offset:         102
        .size:           2
        .value_kind:     hidden_group_size_y
      - .offset:         104
        .size:           2
        .value_kind:     hidden_group_size_z
      - .offset:         106
        .size:           2
        .value_kind:     hidden_remainder_x
      - .offset:         108
        .size:           2
        .value_kind:     hidden_remainder_y
      - .offset:         110
        .size:           2
        .value_kind:     hidden_remainder_z
      - .offset:         128
        .size:           8
        .value_kind:     hidden_global_offset_x
      - .offset:         136
        .size:           8
        .value_kind:     hidden_global_offset_y
      - .offset:         144
        .size:           8
        .value_kind:     hidden_global_offset_z
      - .offset:         152
        .size:           2
        .value_kind:     hidden_grid_dims
    .group_segment_fixed_size: 32768
    .kernarg_segment_align: 8
    .kernarg_segment_size: 344
    .language:       OpenCL C
    .language_version:
      - 2
      - 0
    .max_flat_workgroup_size: 256
    .name:           _ZN7rocprim17ROCPRIM_400000_NS6detail17trampoline_kernelINS0_14default_configENS1_36segmented_radix_sort_config_selectorIllEEZNS1_25segmented_radix_sort_implIS3_Lb0EPKlPlS8_S9_N2at6native12_GLOBAL__N_18offset_tEEE10hipError_tPvRmT1_PNSt15iterator_traitsISH_E10value_typeET2_T3_PNSI_ISN_E10value_typeET4_jRbjT5_ST_jjP12ihipStream_tbEUlT_E0_NS1_11comp_targetILNS1_3genE10ELNS1_11target_archE1201ELNS1_3gpuE5ELNS1_3repE0EEENS1_60segmented_radix_sort_warp_sort_medium_config_static_selectorELNS0_4arch9wavefront6targetE0EEEvSH_
    .private_segment_fixed_size: 0
    .sgpr_count:     46
    .sgpr_spill_count: 0
    .symbol:         _ZN7rocprim17ROCPRIM_400000_NS6detail17trampoline_kernelINS0_14default_configENS1_36segmented_radix_sort_config_selectorIllEEZNS1_25segmented_radix_sort_implIS3_Lb0EPKlPlS8_S9_N2at6native12_GLOBAL__N_18offset_tEEE10hipError_tPvRmT1_PNSt15iterator_traitsISH_E10value_typeET2_T3_PNSI_ISN_E10value_typeET4_jRbjT5_ST_jjP12ihipStream_tbEUlT_E0_NS1_11comp_targetILNS1_3genE10ELNS1_11target_archE1201ELNS1_3gpuE5ELNS1_3repE0EEENS1_60segmented_radix_sort_warp_sort_medium_config_static_selectorELNS0_4arch9wavefront6targetE0EEEvSH_.kd
    .uniform_work_group_size: 1
    .uses_dynamic_stack: false
    .vgpr_count:     103
    .vgpr_spill_count: 0
    .wavefront_size: 32
    .workgroup_processor_mode: 1
  - .args:
      - .offset:         0
        .size:           88
        .value_kind:     by_value
    .group_segment_fixed_size: 0
    .kernarg_segment_align: 8
    .kernarg_segment_size: 88
    .language:       OpenCL C
    .language_version:
      - 2
      - 0
    .max_flat_workgroup_size: 256
    .name:           _ZN7rocprim17ROCPRIM_400000_NS6detail17trampoline_kernelINS0_14default_configENS1_36segmented_radix_sort_config_selectorIllEEZNS1_25segmented_radix_sort_implIS3_Lb0EPKlPlS8_S9_N2at6native12_GLOBAL__N_18offset_tEEE10hipError_tPvRmT1_PNSt15iterator_traitsISH_E10value_typeET2_T3_PNSI_ISN_E10value_typeET4_jRbjT5_ST_jjP12ihipStream_tbEUlT_E0_NS1_11comp_targetILNS1_3genE10ELNS1_11target_archE1200ELNS1_3gpuE4ELNS1_3repE0EEENS1_60segmented_radix_sort_warp_sort_medium_config_static_selectorELNS0_4arch9wavefront6targetE0EEEvSH_
    .private_segment_fixed_size: 0
    .sgpr_count:     0
    .sgpr_spill_count: 0
    .symbol:         _ZN7rocprim17ROCPRIM_400000_NS6detail17trampoline_kernelINS0_14default_configENS1_36segmented_radix_sort_config_selectorIllEEZNS1_25segmented_radix_sort_implIS3_Lb0EPKlPlS8_S9_N2at6native12_GLOBAL__N_18offset_tEEE10hipError_tPvRmT1_PNSt15iterator_traitsISH_E10value_typeET2_T3_PNSI_ISN_E10value_typeET4_jRbjT5_ST_jjP12ihipStream_tbEUlT_E0_NS1_11comp_targetILNS1_3genE10ELNS1_11target_archE1200ELNS1_3gpuE4ELNS1_3repE0EEENS1_60segmented_radix_sort_warp_sort_medium_config_static_selectorELNS0_4arch9wavefront6targetE0EEEvSH_.kd
    .uniform_work_group_size: 1
    .uses_dynamic_stack: false
    .vgpr_count:     0
    .vgpr_spill_count: 0
    .wavefront_size: 32
    .workgroup_processor_mode: 1
  - .args:
      - .offset:         0
        .size:           88
        .value_kind:     by_value
    .group_segment_fixed_size: 0
    .kernarg_segment_align: 8
    .kernarg_segment_size: 88
    .language:       OpenCL C
    .language_version:
      - 2
      - 0
    .max_flat_workgroup_size: 256
    .name:           _ZN7rocprim17ROCPRIM_400000_NS6detail17trampoline_kernelINS0_14default_configENS1_36segmented_radix_sort_config_selectorIllEEZNS1_25segmented_radix_sort_implIS3_Lb0EPKlPlS8_S9_N2at6native12_GLOBAL__N_18offset_tEEE10hipError_tPvRmT1_PNSt15iterator_traitsISH_E10value_typeET2_T3_PNSI_ISN_E10value_typeET4_jRbjT5_ST_jjP12ihipStream_tbEUlT_E0_NS1_11comp_targetILNS1_3genE9ELNS1_11target_archE1100ELNS1_3gpuE3ELNS1_3repE0EEENS1_60segmented_radix_sort_warp_sort_medium_config_static_selectorELNS0_4arch9wavefront6targetE0EEEvSH_
    .private_segment_fixed_size: 0
    .sgpr_count:     0
    .sgpr_spill_count: 0
    .symbol:         _ZN7rocprim17ROCPRIM_400000_NS6detail17trampoline_kernelINS0_14default_configENS1_36segmented_radix_sort_config_selectorIllEEZNS1_25segmented_radix_sort_implIS3_Lb0EPKlPlS8_S9_N2at6native12_GLOBAL__N_18offset_tEEE10hipError_tPvRmT1_PNSt15iterator_traitsISH_E10value_typeET2_T3_PNSI_ISN_E10value_typeET4_jRbjT5_ST_jjP12ihipStream_tbEUlT_E0_NS1_11comp_targetILNS1_3genE9ELNS1_11target_archE1100ELNS1_3gpuE3ELNS1_3repE0EEENS1_60segmented_radix_sort_warp_sort_medium_config_static_selectorELNS0_4arch9wavefront6targetE0EEEvSH_.kd
    .uniform_work_group_size: 1
    .uses_dynamic_stack: false
    .vgpr_count:     0
    .vgpr_spill_count: 0
    .wavefront_size: 32
    .workgroup_processor_mode: 1
  - .args:
      - .offset:         0
        .size:           88
        .value_kind:     by_value
    .group_segment_fixed_size: 0
    .kernarg_segment_align: 8
    .kernarg_segment_size: 88
    .language:       OpenCL C
    .language_version:
      - 2
      - 0
    .max_flat_workgroup_size: 256
    .name:           _ZN7rocprim17ROCPRIM_400000_NS6detail17trampoline_kernelINS0_14default_configENS1_36segmented_radix_sort_config_selectorIllEEZNS1_25segmented_radix_sort_implIS3_Lb0EPKlPlS8_S9_N2at6native12_GLOBAL__N_18offset_tEEE10hipError_tPvRmT1_PNSt15iterator_traitsISH_E10value_typeET2_T3_PNSI_ISN_E10value_typeET4_jRbjT5_ST_jjP12ihipStream_tbEUlT_E0_NS1_11comp_targetILNS1_3genE8ELNS1_11target_archE1030ELNS1_3gpuE2ELNS1_3repE0EEENS1_60segmented_radix_sort_warp_sort_medium_config_static_selectorELNS0_4arch9wavefront6targetE0EEEvSH_
    .private_segment_fixed_size: 0
    .sgpr_count:     0
    .sgpr_spill_count: 0
    .symbol:         _ZN7rocprim17ROCPRIM_400000_NS6detail17trampoline_kernelINS0_14default_configENS1_36segmented_radix_sort_config_selectorIllEEZNS1_25segmented_radix_sort_implIS3_Lb0EPKlPlS8_S9_N2at6native12_GLOBAL__N_18offset_tEEE10hipError_tPvRmT1_PNSt15iterator_traitsISH_E10value_typeET2_T3_PNSI_ISN_E10value_typeET4_jRbjT5_ST_jjP12ihipStream_tbEUlT_E0_NS1_11comp_targetILNS1_3genE8ELNS1_11target_archE1030ELNS1_3gpuE2ELNS1_3repE0EEENS1_60segmented_radix_sort_warp_sort_medium_config_static_selectorELNS0_4arch9wavefront6targetE0EEEvSH_.kd
    .uniform_work_group_size: 1
    .uses_dynamic_stack: false
    .vgpr_count:     0
    .vgpr_spill_count: 0
    .wavefront_size: 32
    .workgroup_processor_mode: 1
  - .args:
      - .offset:         0
        .size:           88
        .value_kind:     by_value
    .group_segment_fixed_size: 0
    .kernarg_segment_align: 8
    .kernarg_segment_size: 88
    .language:       OpenCL C
    .language_version:
      - 2
      - 0
    .max_flat_workgroup_size: 256
    .name:           _ZN7rocprim17ROCPRIM_400000_NS6detail17trampoline_kernelINS0_14default_configENS1_36segmented_radix_sort_config_selectorIllEEZNS1_25segmented_radix_sort_implIS3_Lb0EPKlPlS8_S9_N2at6native12_GLOBAL__N_18offset_tEEE10hipError_tPvRmT1_PNSt15iterator_traitsISH_E10value_typeET2_T3_PNSI_ISN_E10value_typeET4_jRbjT5_ST_jjP12ihipStream_tbEUlT_E1_NS1_11comp_targetILNS1_3genE0ELNS1_11target_archE4294967295ELNS1_3gpuE0ELNS1_3repE0EEENS1_59segmented_radix_sort_warp_sort_small_config_static_selectorELNS0_4arch9wavefront6targetE0EEEvSH_
    .private_segment_fixed_size: 0
    .sgpr_count:     0
    .sgpr_spill_count: 0
    .symbol:         _ZN7rocprim17ROCPRIM_400000_NS6detail17trampoline_kernelINS0_14default_configENS1_36segmented_radix_sort_config_selectorIllEEZNS1_25segmented_radix_sort_implIS3_Lb0EPKlPlS8_S9_N2at6native12_GLOBAL__N_18offset_tEEE10hipError_tPvRmT1_PNSt15iterator_traitsISH_E10value_typeET2_T3_PNSI_ISN_E10value_typeET4_jRbjT5_ST_jjP12ihipStream_tbEUlT_E1_NS1_11comp_targetILNS1_3genE0ELNS1_11target_archE4294967295ELNS1_3gpuE0ELNS1_3repE0EEENS1_59segmented_radix_sort_warp_sort_small_config_static_selectorELNS0_4arch9wavefront6targetE0EEEvSH_.kd
    .uniform_work_group_size: 1
    .uses_dynamic_stack: false
    .vgpr_count:     0
    .vgpr_spill_count: 0
    .wavefront_size: 32
    .workgroup_processor_mode: 1
  - .args:
      - .offset:         0
        .size:           88
        .value_kind:     by_value
    .group_segment_fixed_size: 0
    .kernarg_segment_align: 8
    .kernarg_segment_size: 88
    .language:       OpenCL C
    .language_version:
      - 2
      - 0
    .max_flat_workgroup_size: 256
    .name:           _ZN7rocprim17ROCPRIM_400000_NS6detail17trampoline_kernelINS0_14default_configENS1_36segmented_radix_sort_config_selectorIllEEZNS1_25segmented_radix_sort_implIS3_Lb0EPKlPlS8_S9_N2at6native12_GLOBAL__N_18offset_tEEE10hipError_tPvRmT1_PNSt15iterator_traitsISH_E10value_typeET2_T3_PNSI_ISN_E10value_typeET4_jRbjT5_ST_jjP12ihipStream_tbEUlT_E1_NS1_11comp_targetILNS1_3genE5ELNS1_11target_archE942ELNS1_3gpuE9ELNS1_3repE0EEENS1_59segmented_radix_sort_warp_sort_small_config_static_selectorELNS0_4arch9wavefront6targetE0EEEvSH_
    .private_segment_fixed_size: 0
    .sgpr_count:     0
    .sgpr_spill_count: 0
    .symbol:         _ZN7rocprim17ROCPRIM_400000_NS6detail17trampoline_kernelINS0_14default_configENS1_36segmented_radix_sort_config_selectorIllEEZNS1_25segmented_radix_sort_implIS3_Lb0EPKlPlS8_S9_N2at6native12_GLOBAL__N_18offset_tEEE10hipError_tPvRmT1_PNSt15iterator_traitsISH_E10value_typeET2_T3_PNSI_ISN_E10value_typeET4_jRbjT5_ST_jjP12ihipStream_tbEUlT_E1_NS1_11comp_targetILNS1_3genE5ELNS1_11target_archE942ELNS1_3gpuE9ELNS1_3repE0EEENS1_59segmented_radix_sort_warp_sort_small_config_static_selectorELNS0_4arch9wavefront6targetE0EEEvSH_.kd
    .uniform_work_group_size: 1
    .uses_dynamic_stack: false
    .vgpr_count:     0
    .vgpr_spill_count: 0
    .wavefront_size: 32
    .workgroup_processor_mode: 1
  - .args:
      - .offset:         0
        .size:           88
        .value_kind:     by_value
    .group_segment_fixed_size: 0
    .kernarg_segment_align: 8
    .kernarg_segment_size: 88
    .language:       OpenCL C
    .language_version:
      - 2
      - 0
    .max_flat_workgroup_size: 256
    .name:           _ZN7rocprim17ROCPRIM_400000_NS6detail17trampoline_kernelINS0_14default_configENS1_36segmented_radix_sort_config_selectorIllEEZNS1_25segmented_radix_sort_implIS3_Lb0EPKlPlS8_S9_N2at6native12_GLOBAL__N_18offset_tEEE10hipError_tPvRmT1_PNSt15iterator_traitsISH_E10value_typeET2_T3_PNSI_ISN_E10value_typeET4_jRbjT5_ST_jjP12ihipStream_tbEUlT_E1_NS1_11comp_targetILNS1_3genE4ELNS1_11target_archE910ELNS1_3gpuE8ELNS1_3repE0EEENS1_59segmented_radix_sort_warp_sort_small_config_static_selectorELNS0_4arch9wavefront6targetE0EEEvSH_
    .private_segment_fixed_size: 0
    .sgpr_count:     0
    .sgpr_spill_count: 0
    .symbol:         _ZN7rocprim17ROCPRIM_400000_NS6detail17trampoline_kernelINS0_14default_configENS1_36segmented_radix_sort_config_selectorIllEEZNS1_25segmented_radix_sort_implIS3_Lb0EPKlPlS8_S9_N2at6native12_GLOBAL__N_18offset_tEEE10hipError_tPvRmT1_PNSt15iterator_traitsISH_E10value_typeET2_T3_PNSI_ISN_E10value_typeET4_jRbjT5_ST_jjP12ihipStream_tbEUlT_E1_NS1_11comp_targetILNS1_3genE4ELNS1_11target_archE910ELNS1_3gpuE8ELNS1_3repE0EEENS1_59segmented_radix_sort_warp_sort_small_config_static_selectorELNS0_4arch9wavefront6targetE0EEEvSH_.kd
    .uniform_work_group_size: 1
    .uses_dynamic_stack: false
    .vgpr_count:     0
    .vgpr_spill_count: 0
    .wavefront_size: 32
    .workgroup_processor_mode: 1
  - .args:
      - .offset:         0
        .size:           88
        .value_kind:     by_value
    .group_segment_fixed_size: 0
    .kernarg_segment_align: 8
    .kernarg_segment_size: 88
    .language:       OpenCL C
    .language_version:
      - 2
      - 0
    .max_flat_workgroup_size: 256
    .name:           _ZN7rocprim17ROCPRIM_400000_NS6detail17trampoline_kernelINS0_14default_configENS1_36segmented_radix_sort_config_selectorIllEEZNS1_25segmented_radix_sort_implIS3_Lb0EPKlPlS8_S9_N2at6native12_GLOBAL__N_18offset_tEEE10hipError_tPvRmT1_PNSt15iterator_traitsISH_E10value_typeET2_T3_PNSI_ISN_E10value_typeET4_jRbjT5_ST_jjP12ihipStream_tbEUlT_E1_NS1_11comp_targetILNS1_3genE3ELNS1_11target_archE908ELNS1_3gpuE7ELNS1_3repE0EEENS1_59segmented_radix_sort_warp_sort_small_config_static_selectorELNS0_4arch9wavefront6targetE0EEEvSH_
    .private_segment_fixed_size: 0
    .sgpr_count:     0
    .sgpr_spill_count: 0
    .symbol:         _ZN7rocprim17ROCPRIM_400000_NS6detail17trampoline_kernelINS0_14default_configENS1_36segmented_radix_sort_config_selectorIllEEZNS1_25segmented_radix_sort_implIS3_Lb0EPKlPlS8_S9_N2at6native12_GLOBAL__N_18offset_tEEE10hipError_tPvRmT1_PNSt15iterator_traitsISH_E10value_typeET2_T3_PNSI_ISN_E10value_typeET4_jRbjT5_ST_jjP12ihipStream_tbEUlT_E1_NS1_11comp_targetILNS1_3genE3ELNS1_11target_archE908ELNS1_3gpuE7ELNS1_3repE0EEENS1_59segmented_radix_sort_warp_sort_small_config_static_selectorELNS0_4arch9wavefront6targetE0EEEvSH_.kd
    .uniform_work_group_size: 1
    .uses_dynamic_stack: false
    .vgpr_count:     0
    .vgpr_spill_count: 0
    .wavefront_size: 32
    .workgroup_processor_mode: 1
  - .args:
      - .offset:         0
        .size:           88
        .value_kind:     by_value
    .group_segment_fixed_size: 0
    .kernarg_segment_align: 8
    .kernarg_segment_size: 88
    .language:       OpenCL C
    .language_version:
      - 2
      - 0
    .max_flat_workgroup_size: 256
    .name:           _ZN7rocprim17ROCPRIM_400000_NS6detail17trampoline_kernelINS0_14default_configENS1_36segmented_radix_sort_config_selectorIllEEZNS1_25segmented_radix_sort_implIS3_Lb0EPKlPlS8_S9_N2at6native12_GLOBAL__N_18offset_tEEE10hipError_tPvRmT1_PNSt15iterator_traitsISH_E10value_typeET2_T3_PNSI_ISN_E10value_typeET4_jRbjT5_ST_jjP12ihipStream_tbEUlT_E1_NS1_11comp_targetILNS1_3genE2ELNS1_11target_archE906ELNS1_3gpuE6ELNS1_3repE0EEENS1_59segmented_radix_sort_warp_sort_small_config_static_selectorELNS0_4arch9wavefront6targetE0EEEvSH_
    .private_segment_fixed_size: 0
    .sgpr_count:     0
    .sgpr_spill_count: 0
    .symbol:         _ZN7rocprim17ROCPRIM_400000_NS6detail17trampoline_kernelINS0_14default_configENS1_36segmented_radix_sort_config_selectorIllEEZNS1_25segmented_radix_sort_implIS3_Lb0EPKlPlS8_S9_N2at6native12_GLOBAL__N_18offset_tEEE10hipError_tPvRmT1_PNSt15iterator_traitsISH_E10value_typeET2_T3_PNSI_ISN_E10value_typeET4_jRbjT5_ST_jjP12ihipStream_tbEUlT_E1_NS1_11comp_targetILNS1_3genE2ELNS1_11target_archE906ELNS1_3gpuE6ELNS1_3repE0EEENS1_59segmented_radix_sort_warp_sort_small_config_static_selectorELNS0_4arch9wavefront6targetE0EEEvSH_.kd
    .uniform_work_group_size: 1
    .uses_dynamic_stack: false
    .vgpr_count:     0
    .vgpr_spill_count: 0
    .wavefront_size: 32
    .workgroup_processor_mode: 1
  - .args:
      - .offset:         0
        .size:           88
        .value_kind:     by_value
      - .offset:         88
        .size:           4
        .value_kind:     hidden_block_count_x
      - .offset:         92
        .size:           4
        .value_kind:     hidden_block_count_y
      - .offset:         96
        .size:           4
        .value_kind:     hidden_block_count_z
      - .offset:         100
        .size:           2
        .value_kind:     hidden_group_size_x
      - .offset:         102
        .size:           2
        .value_kind:     hidden_group_size_y
      - .offset:         104
        .size:           2
        .value_kind:     hidden_group_size_z
      - .offset:         106
        .size:           2
        .value_kind:     hidden_remainder_x
      - .offset:         108
        .size:           2
        .value_kind:     hidden_remainder_y
      - .offset:         110
        .size:           2
        .value_kind:     hidden_remainder_z
      - .offset:         128
        .size:           8
        .value_kind:     hidden_global_offset_x
      - .offset:         136
        .size:           8
        .value_kind:     hidden_global_offset_y
      - .offset:         144
        .size:           8
        .value_kind:     hidden_global_offset_z
      - .offset:         152
        .size:           2
        .value_kind:     hidden_grid_dims
    .group_segment_fixed_size: 16384
    .kernarg_segment_align: 8
    .kernarg_segment_size: 344
    .language:       OpenCL C
    .language_version:
      - 2
      - 0
    .max_flat_workgroup_size: 256
    .name:           _ZN7rocprim17ROCPRIM_400000_NS6detail17trampoline_kernelINS0_14default_configENS1_36segmented_radix_sort_config_selectorIllEEZNS1_25segmented_radix_sort_implIS3_Lb0EPKlPlS8_S9_N2at6native12_GLOBAL__N_18offset_tEEE10hipError_tPvRmT1_PNSt15iterator_traitsISH_E10value_typeET2_T3_PNSI_ISN_E10value_typeET4_jRbjT5_ST_jjP12ihipStream_tbEUlT_E1_NS1_11comp_targetILNS1_3genE10ELNS1_11target_archE1201ELNS1_3gpuE5ELNS1_3repE0EEENS1_59segmented_radix_sort_warp_sort_small_config_static_selectorELNS0_4arch9wavefront6targetE0EEEvSH_
    .private_segment_fixed_size: 0
    .sgpr_count:     35
    .sgpr_spill_count: 0
    .symbol:         _ZN7rocprim17ROCPRIM_400000_NS6detail17trampoline_kernelINS0_14default_configENS1_36segmented_radix_sort_config_selectorIllEEZNS1_25segmented_radix_sort_implIS3_Lb0EPKlPlS8_S9_N2at6native12_GLOBAL__N_18offset_tEEE10hipError_tPvRmT1_PNSt15iterator_traitsISH_E10value_typeET2_T3_PNSI_ISN_E10value_typeET4_jRbjT5_ST_jjP12ihipStream_tbEUlT_E1_NS1_11comp_targetILNS1_3genE10ELNS1_11target_archE1201ELNS1_3gpuE5ELNS1_3repE0EEENS1_59segmented_radix_sort_warp_sort_small_config_static_selectorELNS0_4arch9wavefront6targetE0EEEvSH_.kd
    .uniform_work_group_size: 1
    .uses_dynamic_stack: false
    .vgpr_count:     66
    .vgpr_spill_count: 0
    .wavefront_size: 32
    .workgroup_processor_mode: 1
  - .args:
      - .offset:         0
        .size:           88
        .value_kind:     by_value
    .group_segment_fixed_size: 0
    .kernarg_segment_align: 8
    .kernarg_segment_size: 88
    .language:       OpenCL C
    .language_version:
      - 2
      - 0
    .max_flat_workgroup_size: 256
    .name:           _ZN7rocprim17ROCPRIM_400000_NS6detail17trampoline_kernelINS0_14default_configENS1_36segmented_radix_sort_config_selectorIllEEZNS1_25segmented_radix_sort_implIS3_Lb0EPKlPlS8_S9_N2at6native12_GLOBAL__N_18offset_tEEE10hipError_tPvRmT1_PNSt15iterator_traitsISH_E10value_typeET2_T3_PNSI_ISN_E10value_typeET4_jRbjT5_ST_jjP12ihipStream_tbEUlT_E1_NS1_11comp_targetILNS1_3genE10ELNS1_11target_archE1200ELNS1_3gpuE4ELNS1_3repE0EEENS1_59segmented_radix_sort_warp_sort_small_config_static_selectorELNS0_4arch9wavefront6targetE0EEEvSH_
    .private_segment_fixed_size: 0
    .sgpr_count:     0
    .sgpr_spill_count: 0
    .symbol:         _ZN7rocprim17ROCPRIM_400000_NS6detail17trampoline_kernelINS0_14default_configENS1_36segmented_radix_sort_config_selectorIllEEZNS1_25segmented_radix_sort_implIS3_Lb0EPKlPlS8_S9_N2at6native12_GLOBAL__N_18offset_tEEE10hipError_tPvRmT1_PNSt15iterator_traitsISH_E10value_typeET2_T3_PNSI_ISN_E10value_typeET4_jRbjT5_ST_jjP12ihipStream_tbEUlT_E1_NS1_11comp_targetILNS1_3genE10ELNS1_11target_archE1200ELNS1_3gpuE4ELNS1_3repE0EEENS1_59segmented_radix_sort_warp_sort_small_config_static_selectorELNS0_4arch9wavefront6targetE0EEEvSH_.kd
    .uniform_work_group_size: 1
    .uses_dynamic_stack: false
    .vgpr_count:     0
    .vgpr_spill_count: 0
    .wavefront_size: 32
    .workgroup_processor_mode: 1
  - .args:
      - .offset:         0
        .size:           88
        .value_kind:     by_value
    .group_segment_fixed_size: 0
    .kernarg_segment_align: 8
    .kernarg_segment_size: 88
    .language:       OpenCL C
    .language_version:
      - 2
      - 0
    .max_flat_workgroup_size: 256
    .name:           _ZN7rocprim17ROCPRIM_400000_NS6detail17trampoline_kernelINS0_14default_configENS1_36segmented_radix_sort_config_selectorIllEEZNS1_25segmented_radix_sort_implIS3_Lb0EPKlPlS8_S9_N2at6native12_GLOBAL__N_18offset_tEEE10hipError_tPvRmT1_PNSt15iterator_traitsISH_E10value_typeET2_T3_PNSI_ISN_E10value_typeET4_jRbjT5_ST_jjP12ihipStream_tbEUlT_E1_NS1_11comp_targetILNS1_3genE9ELNS1_11target_archE1100ELNS1_3gpuE3ELNS1_3repE0EEENS1_59segmented_radix_sort_warp_sort_small_config_static_selectorELNS0_4arch9wavefront6targetE0EEEvSH_
    .private_segment_fixed_size: 0
    .sgpr_count:     0
    .sgpr_spill_count: 0
    .symbol:         _ZN7rocprim17ROCPRIM_400000_NS6detail17trampoline_kernelINS0_14default_configENS1_36segmented_radix_sort_config_selectorIllEEZNS1_25segmented_radix_sort_implIS3_Lb0EPKlPlS8_S9_N2at6native12_GLOBAL__N_18offset_tEEE10hipError_tPvRmT1_PNSt15iterator_traitsISH_E10value_typeET2_T3_PNSI_ISN_E10value_typeET4_jRbjT5_ST_jjP12ihipStream_tbEUlT_E1_NS1_11comp_targetILNS1_3genE9ELNS1_11target_archE1100ELNS1_3gpuE3ELNS1_3repE0EEENS1_59segmented_radix_sort_warp_sort_small_config_static_selectorELNS0_4arch9wavefront6targetE0EEEvSH_.kd
    .uniform_work_group_size: 1
    .uses_dynamic_stack: false
    .vgpr_count:     0
    .vgpr_spill_count: 0
    .wavefront_size: 32
    .workgroup_processor_mode: 1
  - .args:
      - .offset:         0
        .size:           88
        .value_kind:     by_value
    .group_segment_fixed_size: 0
    .kernarg_segment_align: 8
    .kernarg_segment_size: 88
    .language:       OpenCL C
    .language_version:
      - 2
      - 0
    .max_flat_workgroup_size: 256
    .name:           _ZN7rocprim17ROCPRIM_400000_NS6detail17trampoline_kernelINS0_14default_configENS1_36segmented_radix_sort_config_selectorIllEEZNS1_25segmented_radix_sort_implIS3_Lb0EPKlPlS8_S9_N2at6native12_GLOBAL__N_18offset_tEEE10hipError_tPvRmT1_PNSt15iterator_traitsISH_E10value_typeET2_T3_PNSI_ISN_E10value_typeET4_jRbjT5_ST_jjP12ihipStream_tbEUlT_E1_NS1_11comp_targetILNS1_3genE8ELNS1_11target_archE1030ELNS1_3gpuE2ELNS1_3repE0EEENS1_59segmented_radix_sort_warp_sort_small_config_static_selectorELNS0_4arch9wavefront6targetE0EEEvSH_
    .private_segment_fixed_size: 0
    .sgpr_count:     0
    .sgpr_spill_count: 0
    .symbol:         _ZN7rocprim17ROCPRIM_400000_NS6detail17trampoline_kernelINS0_14default_configENS1_36segmented_radix_sort_config_selectorIllEEZNS1_25segmented_radix_sort_implIS3_Lb0EPKlPlS8_S9_N2at6native12_GLOBAL__N_18offset_tEEE10hipError_tPvRmT1_PNSt15iterator_traitsISH_E10value_typeET2_T3_PNSI_ISN_E10value_typeET4_jRbjT5_ST_jjP12ihipStream_tbEUlT_E1_NS1_11comp_targetILNS1_3genE8ELNS1_11target_archE1030ELNS1_3gpuE2ELNS1_3repE0EEENS1_59segmented_radix_sort_warp_sort_small_config_static_selectorELNS0_4arch9wavefront6targetE0EEEvSH_.kd
    .uniform_work_group_size: 1
    .uses_dynamic_stack: false
    .vgpr_count:     0
    .vgpr_spill_count: 0
    .wavefront_size: 32
    .workgroup_processor_mode: 1
  - .args:
      - .offset:         0
        .size:           80
        .value_kind:     by_value
    .group_segment_fixed_size: 0
    .kernarg_segment_align: 8
    .kernarg_segment_size: 80
    .language:       OpenCL C
    .language_version:
      - 2
      - 0
    .max_flat_workgroup_size: 256
    .name:           _ZN7rocprim17ROCPRIM_400000_NS6detail17trampoline_kernelINS0_14default_configENS1_36segmented_radix_sort_config_selectorIllEEZNS1_25segmented_radix_sort_implIS3_Lb0EPKlPlS8_S9_N2at6native12_GLOBAL__N_18offset_tEEE10hipError_tPvRmT1_PNSt15iterator_traitsISH_E10value_typeET2_T3_PNSI_ISN_E10value_typeET4_jRbjT5_ST_jjP12ihipStream_tbEUlT_E2_NS1_11comp_targetILNS1_3genE0ELNS1_11target_archE4294967295ELNS1_3gpuE0ELNS1_3repE0EEENS1_30default_config_static_selectorELNS0_4arch9wavefront6targetE0EEEvSH_
    .private_segment_fixed_size: 0
    .sgpr_count:     0
    .sgpr_spill_count: 0
    .symbol:         _ZN7rocprim17ROCPRIM_400000_NS6detail17trampoline_kernelINS0_14default_configENS1_36segmented_radix_sort_config_selectorIllEEZNS1_25segmented_radix_sort_implIS3_Lb0EPKlPlS8_S9_N2at6native12_GLOBAL__N_18offset_tEEE10hipError_tPvRmT1_PNSt15iterator_traitsISH_E10value_typeET2_T3_PNSI_ISN_E10value_typeET4_jRbjT5_ST_jjP12ihipStream_tbEUlT_E2_NS1_11comp_targetILNS1_3genE0ELNS1_11target_archE4294967295ELNS1_3gpuE0ELNS1_3repE0EEENS1_30default_config_static_selectorELNS0_4arch9wavefront6targetE0EEEvSH_.kd
    .uniform_work_group_size: 1
    .uses_dynamic_stack: false
    .vgpr_count:     0
    .vgpr_spill_count: 0
    .wavefront_size: 32
    .workgroup_processor_mode: 1
  - .args:
      - .offset:         0
        .size:           80
        .value_kind:     by_value
    .group_segment_fixed_size: 0
    .kernarg_segment_align: 8
    .kernarg_segment_size: 80
    .language:       OpenCL C
    .language_version:
      - 2
      - 0
    .max_flat_workgroup_size: 256
    .name:           _ZN7rocprim17ROCPRIM_400000_NS6detail17trampoline_kernelINS0_14default_configENS1_36segmented_radix_sort_config_selectorIllEEZNS1_25segmented_radix_sort_implIS3_Lb0EPKlPlS8_S9_N2at6native12_GLOBAL__N_18offset_tEEE10hipError_tPvRmT1_PNSt15iterator_traitsISH_E10value_typeET2_T3_PNSI_ISN_E10value_typeET4_jRbjT5_ST_jjP12ihipStream_tbEUlT_E2_NS1_11comp_targetILNS1_3genE5ELNS1_11target_archE942ELNS1_3gpuE9ELNS1_3repE0EEENS1_30default_config_static_selectorELNS0_4arch9wavefront6targetE0EEEvSH_
    .private_segment_fixed_size: 0
    .sgpr_count:     0
    .sgpr_spill_count: 0
    .symbol:         _ZN7rocprim17ROCPRIM_400000_NS6detail17trampoline_kernelINS0_14default_configENS1_36segmented_radix_sort_config_selectorIllEEZNS1_25segmented_radix_sort_implIS3_Lb0EPKlPlS8_S9_N2at6native12_GLOBAL__N_18offset_tEEE10hipError_tPvRmT1_PNSt15iterator_traitsISH_E10value_typeET2_T3_PNSI_ISN_E10value_typeET4_jRbjT5_ST_jjP12ihipStream_tbEUlT_E2_NS1_11comp_targetILNS1_3genE5ELNS1_11target_archE942ELNS1_3gpuE9ELNS1_3repE0EEENS1_30default_config_static_selectorELNS0_4arch9wavefront6targetE0EEEvSH_.kd
    .uniform_work_group_size: 1
    .uses_dynamic_stack: false
    .vgpr_count:     0
    .vgpr_spill_count: 0
    .wavefront_size: 32
    .workgroup_processor_mode: 1
  - .args:
      - .offset:         0
        .size:           80
        .value_kind:     by_value
    .group_segment_fixed_size: 0
    .kernarg_segment_align: 8
    .kernarg_segment_size: 80
    .language:       OpenCL C
    .language_version:
      - 2
      - 0
    .max_flat_workgroup_size: 256
    .name:           _ZN7rocprim17ROCPRIM_400000_NS6detail17trampoline_kernelINS0_14default_configENS1_36segmented_radix_sort_config_selectorIllEEZNS1_25segmented_radix_sort_implIS3_Lb0EPKlPlS8_S9_N2at6native12_GLOBAL__N_18offset_tEEE10hipError_tPvRmT1_PNSt15iterator_traitsISH_E10value_typeET2_T3_PNSI_ISN_E10value_typeET4_jRbjT5_ST_jjP12ihipStream_tbEUlT_E2_NS1_11comp_targetILNS1_3genE4ELNS1_11target_archE910ELNS1_3gpuE8ELNS1_3repE0EEENS1_30default_config_static_selectorELNS0_4arch9wavefront6targetE0EEEvSH_
    .private_segment_fixed_size: 0
    .sgpr_count:     0
    .sgpr_spill_count: 0
    .symbol:         _ZN7rocprim17ROCPRIM_400000_NS6detail17trampoline_kernelINS0_14default_configENS1_36segmented_radix_sort_config_selectorIllEEZNS1_25segmented_radix_sort_implIS3_Lb0EPKlPlS8_S9_N2at6native12_GLOBAL__N_18offset_tEEE10hipError_tPvRmT1_PNSt15iterator_traitsISH_E10value_typeET2_T3_PNSI_ISN_E10value_typeET4_jRbjT5_ST_jjP12ihipStream_tbEUlT_E2_NS1_11comp_targetILNS1_3genE4ELNS1_11target_archE910ELNS1_3gpuE8ELNS1_3repE0EEENS1_30default_config_static_selectorELNS0_4arch9wavefront6targetE0EEEvSH_.kd
    .uniform_work_group_size: 1
    .uses_dynamic_stack: false
    .vgpr_count:     0
    .vgpr_spill_count: 0
    .wavefront_size: 32
    .workgroup_processor_mode: 1
  - .args:
      - .offset:         0
        .size:           80
        .value_kind:     by_value
    .group_segment_fixed_size: 0
    .kernarg_segment_align: 8
    .kernarg_segment_size: 80
    .language:       OpenCL C
    .language_version:
      - 2
      - 0
    .max_flat_workgroup_size: 256
    .name:           _ZN7rocprim17ROCPRIM_400000_NS6detail17trampoline_kernelINS0_14default_configENS1_36segmented_radix_sort_config_selectorIllEEZNS1_25segmented_radix_sort_implIS3_Lb0EPKlPlS8_S9_N2at6native12_GLOBAL__N_18offset_tEEE10hipError_tPvRmT1_PNSt15iterator_traitsISH_E10value_typeET2_T3_PNSI_ISN_E10value_typeET4_jRbjT5_ST_jjP12ihipStream_tbEUlT_E2_NS1_11comp_targetILNS1_3genE3ELNS1_11target_archE908ELNS1_3gpuE7ELNS1_3repE0EEENS1_30default_config_static_selectorELNS0_4arch9wavefront6targetE0EEEvSH_
    .private_segment_fixed_size: 0
    .sgpr_count:     0
    .sgpr_spill_count: 0
    .symbol:         _ZN7rocprim17ROCPRIM_400000_NS6detail17trampoline_kernelINS0_14default_configENS1_36segmented_radix_sort_config_selectorIllEEZNS1_25segmented_radix_sort_implIS3_Lb0EPKlPlS8_S9_N2at6native12_GLOBAL__N_18offset_tEEE10hipError_tPvRmT1_PNSt15iterator_traitsISH_E10value_typeET2_T3_PNSI_ISN_E10value_typeET4_jRbjT5_ST_jjP12ihipStream_tbEUlT_E2_NS1_11comp_targetILNS1_3genE3ELNS1_11target_archE908ELNS1_3gpuE7ELNS1_3repE0EEENS1_30default_config_static_selectorELNS0_4arch9wavefront6targetE0EEEvSH_.kd
    .uniform_work_group_size: 1
    .uses_dynamic_stack: false
    .vgpr_count:     0
    .vgpr_spill_count: 0
    .wavefront_size: 32
    .workgroup_processor_mode: 1
  - .args:
      - .offset:         0
        .size:           80
        .value_kind:     by_value
    .group_segment_fixed_size: 0
    .kernarg_segment_align: 8
    .kernarg_segment_size: 80
    .language:       OpenCL C
    .language_version:
      - 2
      - 0
    .max_flat_workgroup_size: 256
    .name:           _ZN7rocprim17ROCPRIM_400000_NS6detail17trampoline_kernelINS0_14default_configENS1_36segmented_radix_sort_config_selectorIllEEZNS1_25segmented_radix_sort_implIS3_Lb0EPKlPlS8_S9_N2at6native12_GLOBAL__N_18offset_tEEE10hipError_tPvRmT1_PNSt15iterator_traitsISH_E10value_typeET2_T3_PNSI_ISN_E10value_typeET4_jRbjT5_ST_jjP12ihipStream_tbEUlT_E2_NS1_11comp_targetILNS1_3genE2ELNS1_11target_archE906ELNS1_3gpuE6ELNS1_3repE0EEENS1_30default_config_static_selectorELNS0_4arch9wavefront6targetE0EEEvSH_
    .private_segment_fixed_size: 0
    .sgpr_count:     0
    .sgpr_spill_count: 0
    .symbol:         _ZN7rocprim17ROCPRIM_400000_NS6detail17trampoline_kernelINS0_14default_configENS1_36segmented_radix_sort_config_selectorIllEEZNS1_25segmented_radix_sort_implIS3_Lb0EPKlPlS8_S9_N2at6native12_GLOBAL__N_18offset_tEEE10hipError_tPvRmT1_PNSt15iterator_traitsISH_E10value_typeET2_T3_PNSI_ISN_E10value_typeET4_jRbjT5_ST_jjP12ihipStream_tbEUlT_E2_NS1_11comp_targetILNS1_3genE2ELNS1_11target_archE906ELNS1_3gpuE6ELNS1_3repE0EEENS1_30default_config_static_selectorELNS0_4arch9wavefront6targetE0EEEvSH_.kd
    .uniform_work_group_size: 1
    .uses_dynamic_stack: false
    .vgpr_count:     0
    .vgpr_spill_count: 0
    .wavefront_size: 32
    .workgroup_processor_mode: 1
  - .args:
      - .offset:         0
        .size:           80
        .value_kind:     by_value
      - .offset:         80
        .size:           4
        .value_kind:     hidden_block_count_x
      - .offset:         84
        .size:           4
        .value_kind:     hidden_block_count_y
      - .offset:         88
        .size:           4
        .value_kind:     hidden_block_count_z
      - .offset:         92
        .size:           2
        .value_kind:     hidden_group_size_x
      - .offset:         94
        .size:           2
        .value_kind:     hidden_group_size_y
      - .offset:         96
        .size:           2
        .value_kind:     hidden_group_size_z
      - .offset:         98
        .size:           2
        .value_kind:     hidden_remainder_x
      - .offset:         100
        .size:           2
        .value_kind:     hidden_remainder_y
      - .offset:         102
        .size:           2
        .value_kind:     hidden_remainder_z
      - .offset:         120
        .size:           8
        .value_kind:     hidden_global_offset_x
      - .offset:         128
        .size:           8
        .value_kind:     hidden_global_offset_y
      - .offset:         136
        .size:           8
        .value_kind:     hidden_global_offset_z
      - .offset:         144
        .size:           2
        .value_kind:     hidden_grid_dims
    .group_segment_fixed_size: 33824
    .kernarg_segment_align: 8
    .kernarg_segment_size: 336
    .language:       OpenCL C
    .language_version:
      - 2
      - 0
    .max_flat_workgroup_size: 256
    .name:           _ZN7rocprim17ROCPRIM_400000_NS6detail17trampoline_kernelINS0_14default_configENS1_36segmented_radix_sort_config_selectorIllEEZNS1_25segmented_radix_sort_implIS3_Lb0EPKlPlS8_S9_N2at6native12_GLOBAL__N_18offset_tEEE10hipError_tPvRmT1_PNSt15iterator_traitsISH_E10value_typeET2_T3_PNSI_ISN_E10value_typeET4_jRbjT5_ST_jjP12ihipStream_tbEUlT_E2_NS1_11comp_targetILNS1_3genE10ELNS1_11target_archE1201ELNS1_3gpuE5ELNS1_3repE0EEENS1_30default_config_static_selectorELNS0_4arch9wavefront6targetE0EEEvSH_
    .private_segment_fixed_size: 176
    .sgpr_count:     62
    .sgpr_spill_count: 0
    .symbol:         _ZN7rocprim17ROCPRIM_400000_NS6detail17trampoline_kernelINS0_14default_configENS1_36segmented_radix_sort_config_selectorIllEEZNS1_25segmented_radix_sort_implIS3_Lb0EPKlPlS8_S9_N2at6native12_GLOBAL__N_18offset_tEEE10hipError_tPvRmT1_PNSt15iterator_traitsISH_E10value_typeET2_T3_PNSI_ISN_E10value_typeET4_jRbjT5_ST_jjP12ihipStream_tbEUlT_E2_NS1_11comp_targetILNS1_3genE10ELNS1_11target_archE1201ELNS1_3gpuE5ELNS1_3repE0EEENS1_30default_config_static_selectorELNS0_4arch9wavefront6targetE0EEEvSH_.kd
    .uniform_work_group_size: 1
    .uses_dynamic_stack: false
    .vgpr_count:     248
    .vgpr_spill_count: 0
    .wavefront_size: 32
    .workgroup_processor_mode: 1
  - .args:
      - .offset:         0
        .size:           80
        .value_kind:     by_value
    .group_segment_fixed_size: 0
    .kernarg_segment_align: 8
    .kernarg_segment_size: 80
    .language:       OpenCL C
    .language_version:
      - 2
      - 0
    .max_flat_workgroup_size: 128
    .name:           _ZN7rocprim17ROCPRIM_400000_NS6detail17trampoline_kernelINS0_14default_configENS1_36segmented_radix_sort_config_selectorIllEEZNS1_25segmented_radix_sort_implIS3_Lb0EPKlPlS8_S9_N2at6native12_GLOBAL__N_18offset_tEEE10hipError_tPvRmT1_PNSt15iterator_traitsISH_E10value_typeET2_T3_PNSI_ISN_E10value_typeET4_jRbjT5_ST_jjP12ihipStream_tbEUlT_E2_NS1_11comp_targetILNS1_3genE10ELNS1_11target_archE1200ELNS1_3gpuE4ELNS1_3repE0EEENS1_30default_config_static_selectorELNS0_4arch9wavefront6targetE0EEEvSH_
    .private_segment_fixed_size: 0
    .sgpr_count:     0
    .sgpr_spill_count: 0
    .symbol:         _ZN7rocprim17ROCPRIM_400000_NS6detail17trampoline_kernelINS0_14default_configENS1_36segmented_radix_sort_config_selectorIllEEZNS1_25segmented_radix_sort_implIS3_Lb0EPKlPlS8_S9_N2at6native12_GLOBAL__N_18offset_tEEE10hipError_tPvRmT1_PNSt15iterator_traitsISH_E10value_typeET2_T3_PNSI_ISN_E10value_typeET4_jRbjT5_ST_jjP12ihipStream_tbEUlT_E2_NS1_11comp_targetILNS1_3genE10ELNS1_11target_archE1200ELNS1_3gpuE4ELNS1_3repE0EEENS1_30default_config_static_selectorELNS0_4arch9wavefront6targetE0EEEvSH_.kd
    .uniform_work_group_size: 1
    .uses_dynamic_stack: false
    .vgpr_count:     0
    .vgpr_spill_count: 0
    .wavefront_size: 32
    .workgroup_processor_mode: 1
  - .args:
      - .offset:         0
        .size:           80
        .value_kind:     by_value
    .group_segment_fixed_size: 0
    .kernarg_segment_align: 8
    .kernarg_segment_size: 80
    .language:       OpenCL C
    .language_version:
      - 2
      - 0
    .max_flat_workgroup_size: 256
    .name:           _ZN7rocprim17ROCPRIM_400000_NS6detail17trampoline_kernelINS0_14default_configENS1_36segmented_radix_sort_config_selectorIllEEZNS1_25segmented_radix_sort_implIS3_Lb0EPKlPlS8_S9_N2at6native12_GLOBAL__N_18offset_tEEE10hipError_tPvRmT1_PNSt15iterator_traitsISH_E10value_typeET2_T3_PNSI_ISN_E10value_typeET4_jRbjT5_ST_jjP12ihipStream_tbEUlT_E2_NS1_11comp_targetILNS1_3genE9ELNS1_11target_archE1100ELNS1_3gpuE3ELNS1_3repE0EEENS1_30default_config_static_selectorELNS0_4arch9wavefront6targetE0EEEvSH_
    .private_segment_fixed_size: 0
    .sgpr_count:     0
    .sgpr_spill_count: 0
    .symbol:         _ZN7rocprim17ROCPRIM_400000_NS6detail17trampoline_kernelINS0_14default_configENS1_36segmented_radix_sort_config_selectorIllEEZNS1_25segmented_radix_sort_implIS3_Lb0EPKlPlS8_S9_N2at6native12_GLOBAL__N_18offset_tEEE10hipError_tPvRmT1_PNSt15iterator_traitsISH_E10value_typeET2_T3_PNSI_ISN_E10value_typeET4_jRbjT5_ST_jjP12ihipStream_tbEUlT_E2_NS1_11comp_targetILNS1_3genE9ELNS1_11target_archE1100ELNS1_3gpuE3ELNS1_3repE0EEENS1_30default_config_static_selectorELNS0_4arch9wavefront6targetE0EEEvSH_.kd
    .uniform_work_group_size: 1
    .uses_dynamic_stack: false
    .vgpr_count:     0
    .vgpr_spill_count: 0
    .wavefront_size: 32
    .workgroup_processor_mode: 1
  - .args:
      - .offset:         0
        .size:           80
        .value_kind:     by_value
    .group_segment_fixed_size: 0
    .kernarg_segment_align: 8
    .kernarg_segment_size: 80
    .language:       OpenCL C
    .language_version:
      - 2
      - 0
    .max_flat_workgroup_size: 256
    .name:           _ZN7rocprim17ROCPRIM_400000_NS6detail17trampoline_kernelINS0_14default_configENS1_36segmented_radix_sort_config_selectorIllEEZNS1_25segmented_radix_sort_implIS3_Lb0EPKlPlS8_S9_N2at6native12_GLOBAL__N_18offset_tEEE10hipError_tPvRmT1_PNSt15iterator_traitsISH_E10value_typeET2_T3_PNSI_ISN_E10value_typeET4_jRbjT5_ST_jjP12ihipStream_tbEUlT_E2_NS1_11comp_targetILNS1_3genE8ELNS1_11target_archE1030ELNS1_3gpuE2ELNS1_3repE0EEENS1_30default_config_static_selectorELNS0_4arch9wavefront6targetE0EEEvSH_
    .private_segment_fixed_size: 0
    .sgpr_count:     0
    .sgpr_spill_count: 0
    .symbol:         _ZN7rocprim17ROCPRIM_400000_NS6detail17trampoline_kernelINS0_14default_configENS1_36segmented_radix_sort_config_selectorIllEEZNS1_25segmented_radix_sort_implIS3_Lb0EPKlPlS8_S9_N2at6native12_GLOBAL__N_18offset_tEEE10hipError_tPvRmT1_PNSt15iterator_traitsISH_E10value_typeET2_T3_PNSI_ISN_E10value_typeET4_jRbjT5_ST_jjP12ihipStream_tbEUlT_E2_NS1_11comp_targetILNS1_3genE8ELNS1_11target_archE1030ELNS1_3gpuE2ELNS1_3repE0EEENS1_30default_config_static_selectorELNS0_4arch9wavefront6targetE0EEEvSH_.kd
    .uniform_work_group_size: 1
    .uses_dynamic_stack: false
    .vgpr_count:     0
    .vgpr_spill_count: 0
    .wavefront_size: 32
    .workgroup_processor_mode: 1
  - .args:
      - .address_space:  global
        .offset:         0
        .size:           8
        .value_kind:     global_buffer
      - .address_space:  global
        .offset:         8
        .size:           8
        .value_kind:     global_buffer
      - .address_space:  global
        .offset:         16
        .size:           8
        .value_kind:     global_buffer
      - .address_space:  global
        .offset:         24
        .size:           8
        .value_kind:     global_buffer
      - .offset:         32
        .size:           4
        .value_kind:     by_value
      - .offset:         36
        .size:           4
        .value_kind:     by_value
      - .offset:         40
        .size:           4
        .value_kind:     hidden_block_count_x
      - .offset:         44
        .size:           4
        .value_kind:     hidden_block_count_y
      - .offset:         48
        .size:           4
        .value_kind:     hidden_block_count_z
      - .offset:         52
        .size:           2
        .value_kind:     hidden_group_size_x
      - .offset:         54
        .size:           2
        .value_kind:     hidden_group_size_y
      - .offset:         56
        .size:           2
        .value_kind:     hidden_group_size_z
      - .offset:         58
        .size:           2
        .value_kind:     hidden_remainder_x
      - .offset:         60
        .size:           2
        .value_kind:     hidden_remainder_y
      - .offset:         62
        .size:           2
        .value_kind:     hidden_remainder_z
      - .offset:         80
        .size:           8
        .value_kind:     hidden_global_offset_x
      - .offset:         88
        .size:           8
        .value_kind:     hidden_global_offset_y
      - .offset:         96
        .size:           8
        .value_kind:     hidden_global_offset_z
      - .offset:         104
        .size:           2
        .value_kind:     hidden_grid_dims
    .group_segment_fixed_size: 0
    .kernarg_segment_align: 8
    .kernarg_segment_size: 296
    .language:       OpenCL C
    .language_version:
      - 2
      - 0
    .max_flat_workgroup_size: 1024
    .name:           _ZN2at6native12_GLOBAL__N_123sort_postprocess_kernelIsEEvPKT_PS3_PlPK15HIP_vector_typeIiLj2EEii
    .private_segment_fixed_size: 0
    .sgpr_count:     21
    .sgpr_spill_count: 0
    .symbol:         _ZN2at6native12_GLOBAL__N_123sort_postprocess_kernelIsEEvPKT_PS3_PlPK15HIP_vector_typeIiLj2EEii.kd
    .uniform_work_group_size: 1
    .uses_dynamic_stack: false
    .vgpr_count:     16
    .vgpr_spill_count: 0
    .wavefront_size: 32
    .workgroup_processor_mode: 1
  - .args:
      - .offset:         0
        .size:           176
        .value_kind:     by_value
    .group_segment_fixed_size: 0
    .kernarg_segment_align: 8
    .kernarg_segment_size: 176
    .language:       OpenCL C
    .language_version:
      - 2
      - 0
    .max_flat_workgroup_size: 256
    .name:           _ZN7rocprim17ROCPRIM_400000_NS6detail17trampoline_kernelINS0_13select_configILj256ELj13ELNS0_17block_load_methodE3ELS4_3ELS4_3ELNS0_20block_scan_algorithmE0ELj4294967295EEENS1_25partition_config_selectorILNS1_17partition_subalgoE4EjNS0_10empty_typeEbEEZZNS1_14partition_implILS8_4ELb0ES6_15HIP_vector_typeIjLj2EENS0_17counting_iteratorIjlEEPS9_SG_NS0_5tupleIJPjSI_NS0_16reverse_iteratorISI_EEEEENSH_IJSG_SG_SG_EEES9_SI_JZNS1_25segmented_radix_sort_implINS0_14default_configELb1EPKsPsPKlPlN2at6native12_GLOBAL__N_18offset_tEEE10hipError_tPvRmT1_PNSt15iterator_traitsIS12_E10value_typeET2_T3_PNS13_IS18_E10value_typeET4_jRbjT5_S1E_jjP12ihipStream_tbEUljE_ZNSN_ISO_Lb1ESQ_SR_ST_SU_SY_EESZ_S10_S11_S12_S16_S17_S18_S1B_S1C_jS1D_jS1E_S1E_jjS1G_bEUljE0_EEESZ_S10_S11_S18_S1C_S1E_T6_T7_T9_mT8_S1G_bDpT10_ENKUlT_T0_E_clISt17integral_constantIbLb0EES1U_EEDaS1P_S1Q_EUlS1P_E_NS1_11comp_targetILNS1_3genE0ELNS1_11target_archE4294967295ELNS1_3gpuE0ELNS1_3repE0EEENS1_30default_config_static_selectorELNS0_4arch9wavefront6targetE0EEEvS12_
    .private_segment_fixed_size: 0
    .sgpr_count:     0
    .sgpr_spill_count: 0
    .symbol:         _ZN7rocprim17ROCPRIM_400000_NS6detail17trampoline_kernelINS0_13select_configILj256ELj13ELNS0_17block_load_methodE3ELS4_3ELS4_3ELNS0_20block_scan_algorithmE0ELj4294967295EEENS1_25partition_config_selectorILNS1_17partition_subalgoE4EjNS0_10empty_typeEbEEZZNS1_14partition_implILS8_4ELb0ES6_15HIP_vector_typeIjLj2EENS0_17counting_iteratorIjlEEPS9_SG_NS0_5tupleIJPjSI_NS0_16reverse_iteratorISI_EEEEENSH_IJSG_SG_SG_EEES9_SI_JZNS1_25segmented_radix_sort_implINS0_14default_configELb1EPKsPsPKlPlN2at6native12_GLOBAL__N_18offset_tEEE10hipError_tPvRmT1_PNSt15iterator_traitsIS12_E10value_typeET2_T3_PNS13_IS18_E10value_typeET4_jRbjT5_S1E_jjP12ihipStream_tbEUljE_ZNSN_ISO_Lb1ESQ_SR_ST_SU_SY_EESZ_S10_S11_S12_S16_S17_S18_S1B_S1C_jS1D_jS1E_S1E_jjS1G_bEUljE0_EEESZ_S10_S11_S18_S1C_S1E_T6_T7_T9_mT8_S1G_bDpT10_ENKUlT_T0_E_clISt17integral_constantIbLb0EES1U_EEDaS1P_S1Q_EUlS1P_E_NS1_11comp_targetILNS1_3genE0ELNS1_11target_archE4294967295ELNS1_3gpuE0ELNS1_3repE0EEENS1_30default_config_static_selectorELNS0_4arch9wavefront6targetE0EEEvS12_.kd
    .uniform_work_group_size: 1
    .uses_dynamic_stack: false
    .vgpr_count:     0
    .vgpr_spill_count: 0
    .wavefront_size: 32
    .workgroup_processor_mode: 1
  - .args:
      - .offset:         0
        .size:           176
        .value_kind:     by_value
    .group_segment_fixed_size: 0
    .kernarg_segment_align: 8
    .kernarg_segment_size: 176
    .language:       OpenCL C
    .language_version:
      - 2
      - 0
    .max_flat_workgroup_size: 256
    .name:           _ZN7rocprim17ROCPRIM_400000_NS6detail17trampoline_kernelINS0_13select_configILj256ELj13ELNS0_17block_load_methodE3ELS4_3ELS4_3ELNS0_20block_scan_algorithmE0ELj4294967295EEENS1_25partition_config_selectorILNS1_17partition_subalgoE4EjNS0_10empty_typeEbEEZZNS1_14partition_implILS8_4ELb0ES6_15HIP_vector_typeIjLj2EENS0_17counting_iteratorIjlEEPS9_SG_NS0_5tupleIJPjSI_NS0_16reverse_iteratorISI_EEEEENSH_IJSG_SG_SG_EEES9_SI_JZNS1_25segmented_radix_sort_implINS0_14default_configELb1EPKsPsPKlPlN2at6native12_GLOBAL__N_18offset_tEEE10hipError_tPvRmT1_PNSt15iterator_traitsIS12_E10value_typeET2_T3_PNS13_IS18_E10value_typeET4_jRbjT5_S1E_jjP12ihipStream_tbEUljE_ZNSN_ISO_Lb1ESQ_SR_ST_SU_SY_EESZ_S10_S11_S12_S16_S17_S18_S1B_S1C_jS1D_jS1E_S1E_jjS1G_bEUljE0_EEESZ_S10_S11_S18_S1C_S1E_T6_T7_T9_mT8_S1G_bDpT10_ENKUlT_T0_E_clISt17integral_constantIbLb0EES1U_EEDaS1P_S1Q_EUlS1P_E_NS1_11comp_targetILNS1_3genE5ELNS1_11target_archE942ELNS1_3gpuE9ELNS1_3repE0EEENS1_30default_config_static_selectorELNS0_4arch9wavefront6targetE0EEEvS12_
    .private_segment_fixed_size: 0
    .sgpr_count:     0
    .sgpr_spill_count: 0
    .symbol:         _ZN7rocprim17ROCPRIM_400000_NS6detail17trampoline_kernelINS0_13select_configILj256ELj13ELNS0_17block_load_methodE3ELS4_3ELS4_3ELNS0_20block_scan_algorithmE0ELj4294967295EEENS1_25partition_config_selectorILNS1_17partition_subalgoE4EjNS0_10empty_typeEbEEZZNS1_14partition_implILS8_4ELb0ES6_15HIP_vector_typeIjLj2EENS0_17counting_iteratorIjlEEPS9_SG_NS0_5tupleIJPjSI_NS0_16reverse_iteratorISI_EEEEENSH_IJSG_SG_SG_EEES9_SI_JZNS1_25segmented_radix_sort_implINS0_14default_configELb1EPKsPsPKlPlN2at6native12_GLOBAL__N_18offset_tEEE10hipError_tPvRmT1_PNSt15iterator_traitsIS12_E10value_typeET2_T3_PNS13_IS18_E10value_typeET4_jRbjT5_S1E_jjP12ihipStream_tbEUljE_ZNSN_ISO_Lb1ESQ_SR_ST_SU_SY_EESZ_S10_S11_S12_S16_S17_S18_S1B_S1C_jS1D_jS1E_S1E_jjS1G_bEUljE0_EEESZ_S10_S11_S18_S1C_S1E_T6_T7_T9_mT8_S1G_bDpT10_ENKUlT_T0_E_clISt17integral_constantIbLb0EES1U_EEDaS1P_S1Q_EUlS1P_E_NS1_11comp_targetILNS1_3genE5ELNS1_11target_archE942ELNS1_3gpuE9ELNS1_3repE0EEENS1_30default_config_static_selectorELNS0_4arch9wavefront6targetE0EEEvS12_.kd
    .uniform_work_group_size: 1
    .uses_dynamic_stack: false
    .vgpr_count:     0
    .vgpr_spill_count: 0
    .wavefront_size: 32
    .workgroup_processor_mode: 1
  - .args:
      - .offset:         0
        .size:           176
        .value_kind:     by_value
    .group_segment_fixed_size: 0
    .kernarg_segment_align: 8
    .kernarg_segment_size: 176
    .language:       OpenCL C
    .language_version:
      - 2
      - 0
    .max_flat_workgroup_size: 256
    .name:           _ZN7rocprim17ROCPRIM_400000_NS6detail17trampoline_kernelINS0_13select_configILj256ELj13ELNS0_17block_load_methodE3ELS4_3ELS4_3ELNS0_20block_scan_algorithmE0ELj4294967295EEENS1_25partition_config_selectorILNS1_17partition_subalgoE4EjNS0_10empty_typeEbEEZZNS1_14partition_implILS8_4ELb0ES6_15HIP_vector_typeIjLj2EENS0_17counting_iteratorIjlEEPS9_SG_NS0_5tupleIJPjSI_NS0_16reverse_iteratorISI_EEEEENSH_IJSG_SG_SG_EEES9_SI_JZNS1_25segmented_radix_sort_implINS0_14default_configELb1EPKsPsPKlPlN2at6native12_GLOBAL__N_18offset_tEEE10hipError_tPvRmT1_PNSt15iterator_traitsIS12_E10value_typeET2_T3_PNS13_IS18_E10value_typeET4_jRbjT5_S1E_jjP12ihipStream_tbEUljE_ZNSN_ISO_Lb1ESQ_SR_ST_SU_SY_EESZ_S10_S11_S12_S16_S17_S18_S1B_S1C_jS1D_jS1E_S1E_jjS1G_bEUljE0_EEESZ_S10_S11_S18_S1C_S1E_T6_T7_T9_mT8_S1G_bDpT10_ENKUlT_T0_E_clISt17integral_constantIbLb0EES1U_EEDaS1P_S1Q_EUlS1P_E_NS1_11comp_targetILNS1_3genE4ELNS1_11target_archE910ELNS1_3gpuE8ELNS1_3repE0EEENS1_30default_config_static_selectorELNS0_4arch9wavefront6targetE0EEEvS12_
    .private_segment_fixed_size: 0
    .sgpr_count:     0
    .sgpr_spill_count: 0
    .symbol:         _ZN7rocprim17ROCPRIM_400000_NS6detail17trampoline_kernelINS0_13select_configILj256ELj13ELNS0_17block_load_methodE3ELS4_3ELS4_3ELNS0_20block_scan_algorithmE0ELj4294967295EEENS1_25partition_config_selectorILNS1_17partition_subalgoE4EjNS0_10empty_typeEbEEZZNS1_14partition_implILS8_4ELb0ES6_15HIP_vector_typeIjLj2EENS0_17counting_iteratorIjlEEPS9_SG_NS0_5tupleIJPjSI_NS0_16reverse_iteratorISI_EEEEENSH_IJSG_SG_SG_EEES9_SI_JZNS1_25segmented_radix_sort_implINS0_14default_configELb1EPKsPsPKlPlN2at6native12_GLOBAL__N_18offset_tEEE10hipError_tPvRmT1_PNSt15iterator_traitsIS12_E10value_typeET2_T3_PNS13_IS18_E10value_typeET4_jRbjT5_S1E_jjP12ihipStream_tbEUljE_ZNSN_ISO_Lb1ESQ_SR_ST_SU_SY_EESZ_S10_S11_S12_S16_S17_S18_S1B_S1C_jS1D_jS1E_S1E_jjS1G_bEUljE0_EEESZ_S10_S11_S18_S1C_S1E_T6_T7_T9_mT8_S1G_bDpT10_ENKUlT_T0_E_clISt17integral_constantIbLb0EES1U_EEDaS1P_S1Q_EUlS1P_E_NS1_11comp_targetILNS1_3genE4ELNS1_11target_archE910ELNS1_3gpuE8ELNS1_3repE0EEENS1_30default_config_static_selectorELNS0_4arch9wavefront6targetE0EEEvS12_.kd
    .uniform_work_group_size: 1
    .uses_dynamic_stack: false
    .vgpr_count:     0
    .vgpr_spill_count: 0
    .wavefront_size: 32
    .workgroup_processor_mode: 1
  - .args:
      - .offset:         0
        .size:           176
        .value_kind:     by_value
    .group_segment_fixed_size: 0
    .kernarg_segment_align: 8
    .kernarg_segment_size: 176
    .language:       OpenCL C
    .language_version:
      - 2
      - 0
    .max_flat_workgroup_size: 256
    .name:           _ZN7rocprim17ROCPRIM_400000_NS6detail17trampoline_kernelINS0_13select_configILj256ELj13ELNS0_17block_load_methodE3ELS4_3ELS4_3ELNS0_20block_scan_algorithmE0ELj4294967295EEENS1_25partition_config_selectorILNS1_17partition_subalgoE4EjNS0_10empty_typeEbEEZZNS1_14partition_implILS8_4ELb0ES6_15HIP_vector_typeIjLj2EENS0_17counting_iteratorIjlEEPS9_SG_NS0_5tupleIJPjSI_NS0_16reverse_iteratorISI_EEEEENSH_IJSG_SG_SG_EEES9_SI_JZNS1_25segmented_radix_sort_implINS0_14default_configELb1EPKsPsPKlPlN2at6native12_GLOBAL__N_18offset_tEEE10hipError_tPvRmT1_PNSt15iterator_traitsIS12_E10value_typeET2_T3_PNS13_IS18_E10value_typeET4_jRbjT5_S1E_jjP12ihipStream_tbEUljE_ZNSN_ISO_Lb1ESQ_SR_ST_SU_SY_EESZ_S10_S11_S12_S16_S17_S18_S1B_S1C_jS1D_jS1E_S1E_jjS1G_bEUljE0_EEESZ_S10_S11_S18_S1C_S1E_T6_T7_T9_mT8_S1G_bDpT10_ENKUlT_T0_E_clISt17integral_constantIbLb0EES1U_EEDaS1P_S1Q_EUlS1P_E_NS1_11comp_targetILNS1_3genE3ELNS1_11target_archE908ELNS1_3gpuE7ELNS1_3repE0EEENS1_30default_config_static_selectorELNS0_4arch9wavefront6targetE0EEEvS12_
    .private_segment_fixed_size: 0
    .sgpr_count:     0
    .sgpr_spill_count: 0
    .symbol:         _ZN7rocprim17ROCPRIM_400000_NS6detail17trampoline_kernelINS0_13select_configILj256ELj13ELNS0_17block_load_methodE3ELS4_3ELS4_3ELNS0_20block_scan_algorithmE0ELj4294967295EEENS1_25partition_config_selectorILNS1_17partition_subalgoE4EjNS0_10empty_typeEbEEZZNS1_14partition_implILS8_4ELb0ES6_15HIP_vector_typeIjLj2EENS0_17counting_iteratorIjlEEPS9_SG_NS0_5tupleIJPjSI_NS0_16reverse_iteratorISI_EEEEENSH_IJSG_SG_SG_EEES9_SI_JZNS1_25segmented_radix_sort_implINS0_14default_configELb1EPKsPsPKlPlN2at6native12_GLOBAL__N_18offset_tEEE10hipError_tPvRmT1_PNSt15iterator_traitsIS12_E10value_typeET2_T3_PNS13_IS18_E10value_typeET4_jRbjT5_S1E_jjP12ihipStream_tbEUljE_ZNSN_ISO_Lb1ESQ_SR_ST_SU_SY_EESZ_S10_S11_S12_S16_S17_S18_S1B_S1C_jS1D_jS1E_S1E_jjS1G_bEUljE0_EEESZ_S10_S11_S18_S1C_S1E_T6_T7_T9_mT8_S1G_bDpT10_ENKUlT_T0_E_clISt17integral_constantIbLb0EES1U_EEDaS1P_S1Q_EUlS1P_E_NS1_11comp_targetILNS1_3genE3ELNS1_11target_archE908ELNS1_3gpuE7ELNS1_3repE0EEENS1_30default_config_static_selectorELNS0_4arch9wavefront6targetE0EEEvS12_.kd
    .uniform_work_group_size: 1
    .uses_dynamic_stack: false
    .vgpr_count:     0
    .vgpr_spill_count: 0
    .wavefront_size: 32
    .workgroup_processor_mode: 1
  - .args:
      - .offset:         0
        .size:           176
        .value_kind:     by_value
    .group_segment_fixed_size: 0
    .kernarg_segment_align: 8
    .kernarg_segment_size: 176
    .language:       OpenCL C
    .language_version:
      - 2
      - 0
    .max_flat_workgroup_size: 256
    .name:           _ZN7rocprim17ROCPRIM_400000_NS6detail17trampoline_kernelINS0_13select_configILj256ELj13ELNS0_17block_load_methodE3ELS4_3ELS4_3ELNS0_20block_scan_algorithmE0ELj4294967295EEENS1_25partition_config_selectorILNS1_17partition_subalgoE4EjNS0_10empty_typeEbEEZZNS1_14partition_implILS8_4ELb0ES6_15HIP_vector_typeIjLj2EENS0_17counting_iteratorIjlEEPS9_SG_NS0_5tupleIJPjSI_NS0_16reverse_iteratorISI_EEEEENSH_IJSG_SG_SG_EEES9_SI_JZNS1_25segmented_radix_sort_implINS0_14default_configELb1EPKsPsPKlPlN2at6native12_GLOBAL__N_18offset_tEEE10hipError_tPvRmT1_PNSt15iterator_traitsIS12_E10value_typeET2_T3_PNS13_IS18_E10value_typeET4_jRbjT5_S1E_jjP12ihipStream_tbEUljE_ZNSN_ISO_Lb1ESQ_SR_ST_SU_SY_EESZ_S10_S11_S12_S16_S17_S18_S1B_S1C_jS1D_jS1E_S1E_jjS1G_bEUljE0_EEESZ_S10_S11_S18_S1C_S1E_T6_T7_T9_mT8_S1G_bDpT10_ENKUlT_T0_E_clISt17integral_constantIbLb0EES1U_EEDaS1P_S1Q_EUlS1P_E_NS1_11comp_targetILNS1_3genE2ELNS1_11target_archE906ELNS1_3gpuE6ELNS1_3repE0EEENS1_30default_config_static_selectorELNS0_4arch9wavefront6targetE0EEEvS12_
    .private_segment_fixed_size: 0
    .sgpr_count:     0
    .sgpr_spill_count: 0
    .symbol:         _ZN7rocprim17ROCPRIM_400000_NS6detail17trampoline_kernelINS0_13select_configILj256ELj13ELNS0_17block_load_methodE3ELS4_3ELS4_3ELNS0_20block_scan_algorithmE0ELj4294967295EEENS1_25partition_config_selectorILNS1_17partition_subalgoE4EjNS0_10empty_typeEbEEZZNS1_14partition_implILS8_4ELb0ES6_15HIP_vector_typeIjLj2EENS0_17counting_iteratorIjlEEPS9_SG_NS0_5tupleIJPjSI_NS0_16reverse_iteratorISI_EEEEENSH_IJSG_SG_SG_EEES9_SI_JZNS1_25segmented_radix_sort_implINS0_14default_configELb1EPKsPsPKlPlN2at6native12_GLOBAL__N_18offset_tEEE10hipError_tPvRmT1_PNSt15iterator_traitsIS12_E10value_typeET2_T3_PNS13_IS18_E10value_typeET4_jRbjT5_S1E_jjP12ihipStream_tbEUljE_ZNSN_ISO_Lb1ESQ_SR_ST_SU_SY_EESZ_S10_S11_S12_S16_S17_S18_S1B_S1C_jS1D_jS1E_S1E_jjS1G_bEUljE0_EEESZ_S10_S11_S18_S1C_S1E_T6_T7_T9_mT8_S1G_bDpT10_ENKUlT_T0_E_clISt17integral_constantIbLb0EES1U_EEDaS1P_S1Q_EUlS1P_E_NS1_11comp_targetILNS1_3genE2ELNS1_11target_archE906ELNS1_3gpuE6ELNS1_3repE0EEENS1_30default_config_static_selectorELNS0_4arch9wavefront6targetE0EEEvS12_.kd
    .uniform_work_group_size: 1
    .uses_dynamic_stack: false
    .vgpr_count:     0
    .vgpr_spill_count: 0
    .wavefront_size: 32
    .workgroup_processor_mode: 1
  - .args:
      - .offset:         0
        .size:           176
        .value_kind:     by_value
    .group_segment_fixed_size: 13328
    .kernarg_segment_align: 8
    .kernarg_segment_size: 176
    .language:       OpenCL C
    .language_version:
      - 2
      - 0
    .max_flat_workgroup_size: 256
    .name:           _ZN7rocprim17ROCPRIM_400000_NS6detail17trampoline_kernelINS0_13select_configILj256ELj13ELNS0_17block_load_methodE3ELS4_3ELS4_3ELNS0_20block_scan_algorithmE0ELj4294967295EEENS1_25partition_config_selectorILNS1_17partition_subalgoE4EjNS0_10empty_typeEbEEZZNS1_14partition_implILS8_4ELb0ES6_15HIP_vector_typeIjLj2EENS0_17counting_iteratorIjlEEPS9_SG_NS0_5tupleIJPjSI_NS0_16reverse_iteratorISI_EEEEENSH_IJSG_SG_SG_EEES9_SI_JZNS1_25segmented_radix_sort_implINS0_14default_configELb1EPKsPsPKlPlN2at6native12_GLOBAL__N_18offset_tEEE10hipError_tPvRmT1_PNSt15iterator_traitsIS12_E10value_typeET2_T3_PNS13_IS18_E10value_typeET4_jRbjT5_S1E_jjP12ihipStream_tbEUljE_ZNSN_ISO_Lb1ESQ_SR_ST_SU_SY_EESZ_S10_S11_S12_S16_S17_S18_S1B_S1C_jS1D_jS1E_S1E_jjS1G_bEUljE0_EEESZ_S10_S11_S18_S1C_S1E_T6_T7_T9_mT8_S1G_bDpT10_ENKUlT_T0_E_clISt17integral_constantIbLb0EES1U_EEDaS1P_S1Q_EUlS1P_E_NS1_11comp_targetILNS1_3genE10ELNS1_11target_archE1200ELNS1_3gpuE4ELNS1_3repE0EEENS1_30default_config_static_selectorELNS0_4arch9wavefront6targetE0EEEvS12_
    .private_segment_fixed_size: 0
    .sgpr_count:     60
    .sgpr_spill_count: 0
    .symbol:         _ZN7rocprim17ROCPRIM_400000_NS6detail17trampoline_kernelINS0_13select_configILj256ELj13ELNS0_17block_load_methodE3ELS4_3ELS4_3ELNS0_20block_scan_algorithmE0ELj4294967295EEENS1_25partition_config_selectorILNS1_17partition_subalgoE4EjNS0_10empty_typeEbEEZZNS1_14partition_implILS8_4ELb0ES6_15HIP_vector_typeIjLj2EENS0_17counting_iteratorIjlEEPS9_SG_NS0_5tupleIJPjSI_NS0_16reverse_iteratorISI_EEEEENSH_IJSG_SG_SG_EEES9_SI_JZNS1_25segmented_radix_sort_implINS0_14default_configELb1EPKsPsPKlPlN2at6native12_GLOBAL__N_18offset_tEEE10hipError_tPvRmT1_PNSt15iterator_traitsIS12_E10value_typeET2_T3_PNS13_IS18_E10value_typeET4_jRbjT5_S1E_jjP12ihipStream_tbEUljE_ZNSN_ISO_Lb1ESQ_SR_ST_SU_SY_EESZ_S10_S11_S12_S16_S17_S18_S1B_S1C_jS1D_jS1E_S1E_jjS1G_bEUljE0_EEESZ_S10_S11_S18_S1C_S1E_T6_T7_T9_mT8_S1G_bDpT10_ENKUlT_T0_E_clISt17integral_constantIbLb0EES1U_EEDaS1P_S1Q_EUlS1P_E_NS1_11comp_targetILNS1_3genE10ELNS1_11target_archE1200ELNS1_3gpuE4ELNS1_3repE0EEENS1_30default_config_static_selectorELNS0_4arch9wavefront6targetE0EEEvS12_.kd
    .uniform_work_group_size: 1
    .uses_dynamic_stack: false
    .vgpr_count:     93
    .vgpr_spill_count: 0
    .wavefront_size: 32
    .workgroup_processor_mode: 1
  - .args:
      - .offset:         0
        .size:           176
        .value_kind:     by_value
    .group_segment_fixed_size: 0
    .kernarg_segment_align: 8
    .kernarg_segment_size: 176
    .language:       OpenCL C
    .language_version:
      - 2
      - 0
    .max_flat_workgroup_size: 256
    .name:           _ZN7rocprim17ROCPRIM_400000_NS6detail17trampoline_kernelINS0_13select_configILj256ELj13ELNS0_17block_load_methodE3ELS4_3ELS4_3ELNS0_20block_scan_algorithmE0ELj4294967295EEENS1_25partition_config_selectorILNS1_17partition_subalgoE4EjNS0_10empty_typeEbEEZZNS1_14partition_implILS8_4ELb0ES6_15HIP_vector_typeIjLj2EENS0_17counting_iteratorIjlEEPS9_SG_NS0_5tupleIJPjSI_NS0_16reverse_iteratorISI_EEEEENSH_IJSG_SG_SG_EEES9_SI_JZNS1_25segmented_radix_sort_implINS0_14default_configELb1EPKsPsPKlPlN2at6native12_GLOBAL__N_18offset_tEEE10hipError_tPvRmT1_PNSt15iterator_traitsIS12_E10value_typeET2_T3_PNS13_IS18_E10value_typeET4_jRbjT5_S1E_jjP12ihipStream_tbEUljE_ZNSN_ISO_Lb1ESQ_SR_ST_SU_SY_EESZ_S10_S11_S12_S16_S17_S18_S1B_S1C_jS1D_jS1E_S1E_jjS1G_bEUljE0_EEESZ_S10_S11_S18_S1C_S1E_T6_T7_T9_mT8_S1G_bDpT10_ENKUlT_T0_E_clISt17integral_constantIbLb0EES1U_EEDaS1P_S1Q_EUlS1P_E_NS1_11comp_targetILNS1_3genE9ELNS1_11target_archE1100ELNS1_3gpuE3ELNS1_3repE0EEENS1_30default_config_static_selectorELNS0_4arch9wavefront6targetE0EEEvS12_
    .private_segment_fixed_size: 0
    .sgpr_count:     0
    .sgpr_spill_count: 0
    .symbol:         _ZN7rocprim17ROCPRIM_400000_NS6detail17trampoline_kernelINS0_13select_configILj256ELj13ELNS0_17block_load_methodE3ELS4_3ELS4_3ELNS0_20block_scan_algorithmE0ELj4294967295EEENS1_25partition_config_selectorILNS1_17partition_subalgoE4EjNS0_10empty_typeEbEEZZNS1_14partition_implILS8_4ELb0ES6_15HIP_vector_typeIjLj2EENS0_17counting_iteratorIjlEEPS9_SG_NS0_5tupleIJPjSI_NS0_16reverse_iteratorISI_EEEEENSH_IJSG_SG_SG_EEES9_SI_JZNS1_25segmented_radix_sort_implINS0_14default_configELb1EPKsPsPKlPlN2at6native12_GLOBAL__N_18offset_tEEE10hipError_tPvRmT1_PNSt15iterator_traitsIS12_E10value_typeET2_T3_PNS13_IS18_E10value_typeET4_jRbjT5_S1E_jjP12ihipStream_tbEUljE_ZNSN_ISO_Lb1ESQ_SR_ST_SU_SY_EESZ_S10_S11_S12_S16_S17_S18_S1B_S1C_jS1D_jS1E_S1E_jjS1G_bEUljE0_EEESZ_S10_S11_S18_S1C_S1E_T6_T7_T9_mT8_S1G_bDpT10_ENKUlT_T0_E_clISt17integral_constantIbLb0EES1U_EEDaS1P_S1Q_EUlS1P_E_NS1_11comp_targetILNS1_3genE9ELNS1_11target_archE1100ELNS1_3gpuE3ELNS1_3repE0EEENS1_30default_config_static_selectorELNS0_4arch9wavefront6targetE0EEEvS12_.kd
    .uniform_work_group_size: 1
    .uses_dynamic_stack: false
    .vgpr_count:     0
    .vgpr_spill_count: 0
    .wavefront_size: 32
    .workgroup_processor_mode: 1
  - .args:
      - .offset:         0
        .size:           176
        .value_kind:     by_value
    .group_segment_fixed_size: 0
    .kernarg_segment_align: 8
    .kernarg_segment_size: 176
    .language:       OpenCL C
    .language_version:
      - 2
      - 0
    .max_flat_workgroup_size: 256
    .name:           _ZN7rocprim17ROCPRIM_400000_NS6detail17trampoline_kernelINS0_13select_configILj256ELj13ELNS0_17block_load_methodE3ELS4_3ELS4_3ELNS0_20block_scan_algorithmE0ELj4294967295EEENS1_25partition_config_selectorILNS1_17partition_subalgoE4EjNS0_10empty_typeEbEEZZNS1_14partition_implILS8_4ELb0ES6_15HIP_vector_typeIjLj2EENS0_17counting_iteratorIjlEEPS9_SG_NS0_5tupleIJPjSI_NS0_16reverse_iteratorISI_EEEEENSH_IJSG_SG_SG_EEES9_SI_JZNS1_25segmented_radix_sort_implINS0_14default_configELb1EPKsPsPKlPlN2at6native12_GLOBAL__N_18offset_tEEE10hipError_tPvRmT1_PNSt15iterator_traitsIS12_E10value_typeET2_T3_PNS13_IS18_E10value_typeET4_jRbjT5_S1E_jjP12ihipStream_tbEUljE_ZNSN_ISO_Lb1ESQ_SR_ST_SU_SY_EESZ_S10_S11_S12_S16_S17_S18_S1B_S1C_jS1D_jS1E_S1E_jjS1G_bEUljE0_EEESZ_S10_S11_S18_S1C_S1E_T6_T7_T9_mT8_S1G_bDpT10_ENKUlT_T0_E_clISt17integral_constantIbLb0EES1U_EEDaS1P_S1Q_EUlS1P_E_NS1_11comp_targetILNS1_3genE8ELNS1_11target_archE1030ELNS1_3gpuE2ELNS1_3repE0EEENS1_30default_config_static_selectorELNS0_4arch9wavefront6targetE0EEEvS12_
    .private_segment_fixed_size: 0
    .sgpr_count:     0
    .sgpr_spill_count: 0
    .symbol:         _ZN7rocprim17ROCPRIM_400000_NS6detail17trampoline_kernelINS0_13select_configILj256ELj13ELNS0_17block_load_methodE3ELS4_3ELS4_3ELNS0_20block_scan_algorithmE0ELj4294967295EEENS1_25partition_config_selectorILNS1_17partition_subalgoE4EjNS0_10empty_typeEbEEZZNS1_14partition_implILS8_4ELb0ES6_15HIP_vector_typeIjLj2EENS0_17counting_iteratorIjlEEPS9_SG_NS0_5tupleIJPjSI_NS0_16reverse_iteratorISI_EEEEENSH_IJSG_SG_SG_EEES9_SI_JZNS1_25segmented_radix_sort_implINS0_14default_configELb1EPKsPsPKlPlN2at6native12_GLOBAL__N_18offset_tEEE10hipError_tPvRmT1_PNSt15iterator_traitsIS12_E10value_typeET2_T3_PNS13_IS18_E10value_typeET4_jRbjT5_S1E_jjP12ihipStream_tbEUljE_ZNSN_ISO_Lb1ESQ_SR_ST_SU_SY_EESZ_S10_S11_S12_S16_S17_S18_S1B_S1C_jS1D_jS1E_S1E_jjS1G_bEUljE0_EEESZ_S10_S11_S18_S1C_S1E_T6_T7_T9_mT8_S1G_bDpT10_ENKUlT_T0_E_clISt17integral_constantIbLb0EES1U_EEDaS1P_S1Q_EUlS1P_E_NS1_11comp_targetILNS1_3genE8ELNS1_11target_archE1030ELNS1_3gpuE2ELNS1_3repE0EEENS1_30default_config_static_selectorELNS0_4arch9wavefront6targetE0EEEvS12_.kd
    .uniform_work_group_size: 1
    .uses_dynamic_stack: false
    .vgpr_count:     0
    .vgpr_spill_count: 0
    .wavefront_size: 32
    .workgroup_processor_mode: 1
  - .args:
      - .offset:         0
        .size:           184
        .value_kind:     by_value
    .group_segment_fixed_size: 0
    .kernarg_segment_align: 8
    .kernarg_segment_size: 184
    .language:       OpenCL C
    .language_version:
      - 2
      - 0
    .max_flat_workgroup_size: 256
    .name:           _ZN7rocprim17ROCPRIM_400000_NS6detail17trampoline_kernelINS0_13select_configILj256ELj13ELNS0_17block_load_methodE3ELS4_3ELS4_3ELNS0_20block_scan_algorithmE0ELj4294967295EEENS1_25partition_config_selectorILNS1_17partition_subalgoE4EjNS0_10empty_typeEbEEZZNS1_14partition_implILS8_4ELb0ES6_15HIP_vector_typeIjLj2EENS0_17counting_iteratorIjlEEPS9_SG_NS0_5tupleIJPjSI_NS0_16reverse_iteratorISI_EEEEENSH_IJSG_SG_SG_EEES9_SI_JZNS1_25segmented_radix_sort_implINS0_14default_configELb1EPKsPsPKlPlN2at6native12_GLOBAL__N_18offset_tEEE10hipError_tPvRmT1_PNSt15iterator_traitsIS12_E10value_typeET2_T3_PNS13_IS18_E10value_typeET4_jRbjT5_S1E_jjP12ihipStream_tbEUljE_ZNSN_ISO_Lb1ESQ_SR_ST_SU_SY_EESZ_S10_S11_S12_S16_S17_S18_S1B_S1C_jS1D_jS1E_S1E_jjS1G_bEUljE0_EEESZ_S10_S11_S18_S1C_S1E_T6_T7_T9_mT8_S1G_bDpT10_ENKUlT_T0_E_clISt17integral_constantIbLb1EES1U_EEDaS1P_S1Q_EUlS1P_E_NS1_11comp_targetILNS1_3genE0ELNS1_11target_archE4294967295ELNS1_3gpuE0ELNS1_3repE0EEENS1_30default_config_static_selectorELNS0_4arch9wavefront6targetE0EEEvS12_
    .private_segment_fixed_size: 0
    .sgpr_count:     0
    .sgpr_spill_count: 0
    .symbol:         _ZN7rocprim17ROCPRIM_400000_NS6detail17trampoline_kernelINS0_13select_configILj256ELj13ELNS0_17block_load_methodE3ELS4_3ELS4_3ELNS0_20block_scan_algorithmE0ELj4294967295EEENS1_25partition_config_selectorILNS1_17partition_subalgoE4EjNS0_10empty_typeEbEEZZNS1_14partition_implILS8_4ELb0ES6_15HIP_vector_typeIjLj2EENS0_17counting_iteratorIjlEEPS9_SG_NS0_5tupleIJPjSI_NS0_16reverse_iteratorISI_EEEEENSH_IJSG_SG_SG_EEES9_SI_JZNS1_25segmented_radix_sort_implINS0_14default_configELb1EPKsPsPKlPlN2at6native12_GLOBAL__N_18offset_tEEE10hipError_tPvRmT1_PNSt15iterator_traitsIS12_E10value_typeET2_T3_PNS13_IS18_E10value_typeET4_jRbjT5_S1E_jjP12ihipStream_tbEUljE_ZNSN_ISO_Lb1ESQ_SR_ST_SU_SY_EESZ_S10_S11_S12_S16_S17_S18_S1B_S1C_jS1D_jS1E_S1E_jjS1G_bEUljE0_EEESZ_S10_S11_S18_S1C_S1E_T6_T7_T9_mT8_S1G_bDpT10_ENKUlT_T0_E_clISt17integral_constantIbLb1EES1U_EEDaS1P_S1Q_EUlS1P_E_NS1_11comp_targetILNS1_3genE0ELNS1_11target_archE4294967295ELNS1_3gpuE0ELNS1_3repE0EEENS1_30default_config_static_selectorELNS0_4arch9wavefront6targetE0EEEvS12_.kd
    .uniform_work_group_size: 1
    .uses_dynamic_stack: false
    .vgpr_count:     0
    .vgpr_spill_count: 0
    .wavefront_size: 32
    .workgroup_processor_mode: 1
  - .args:
      - .offset:         0
        .size:           184
        .value_kind:     by_value
    .group_segment_fixed_size: 0
    .kernarg_segment_align: 8
    .kernarg_segment_size: 184
    .language:       OpenCL C
    .language_version:
      - 2
      - 0
    .max_flat_workgroup_size: 256
    .name:           _ZN7rocprim17ROCPRIM_400000_NS6detail17trampoline_kernelINS0_13select_configILj256ELj13ELNS0_17block_load_methodE3ELS4_3ELS4_3ELNS0_20block_scan_algorithmE0ELj4294967295EEENS1_25partition_config_selectorILNS1_17partition_subalgoE4EjNS0_10empty_typeEbEEZZNS1_14partition_implILS8_4ELb0ES6_15HIP_vector_typeIjLj2EENS0_17counting_iteratorIjlEEPS9_SG_NS0_5tupleIJPjSI_NS0_16reverse_iteratorISI_EEEEENSH_IJSG_SG_SG_EEES9_SI_JZNS1_25segmented_radix_sort_implINS0_14default_configELb1EPKsPsPKlPlN2at6native12_GLOBAL__N_18offset_tEEE10hipError_tPvRmT1_PNSt15iterator_traitsIS12_E10value_typeET2_T3_PNS13_IS18_E10value_typeET4_jRbjT5_S1E_jjP12ihipStream_tbEUljE_ZNSN_ISO_Lb1ESQ_SR_ST_SU_SY_EESZ_S10_S11_S12_S16_S17_S18_S1B_S1C_jS1D_jS1E_S1E_jjS1G_bEUljE0_EEESZ_S10_S11_S18_S1C_S1E_T6_T7_T9_mT8_S1G_bDpT10_ENKUlT_T0_E_clISt17integral_constantIbLb1EES1U_EEDaS1P_S1Q_EUlS1P_E_NS1_11comp_targetILNS1_3genE5ELNS1_11target_archE942ELNS1_3gpuE9ELNS1_3repE0EEENS1_30default_config_static_selectorELNS0_4arch9wavefront6targetE0EEEvS12_
    .private_segment_fixed_size: 0
    .sgpr_count:     0
    .sgpr_spill_count: 0
    .symbol:         _ZN7rocprim17ROCPRIM_400000_NS6detail17trampoline_kernelINS0_13select_configILj256ELj13ELNS0_17block_load_methodE3ELS4_3ELS4_3ELNS0_20block_scan_algorithmE0ELj4294967295EEENS1_25partition_config_selectorILNS1_17partition_subalgoE4EjNS0_10empty_typeEbEEZZNS1_14partition_implILS8_4ELb0ES6_15HIP_vector_typeIjLj2EENS0_17counting_iteratorIjlEEPS9_SG_NS0_5tupleIJPjSI_NS0_16reverse_iteratorISI_EEEEENSH_IJSG_SG_SG_EEES9_SI_JZNS1_25segmented_radix_sort_implINS0_14default_configELb1EPKsPsPKlPlN2at6native12_GLOBAL__N_18offset_tEEE10hipError_tPvRmT1_PNSt15iterator_traitsIS12_E10value_typeET2_T3_PNS13_IS18_E10value_typeET4_jRbjT5_S1E_jjP12ihipStream_tbEUljE_ZNSN_ISO_Lb1ESQ_SR_ST_SU_SY_EESZ_S10_S11_S12_S16_S17_S18_S1B_S1C_jS1D_jS1E_S1E_jjS1G_bEUljE0_EEESZ_S10_S11_S18_S1C_S1E_T6_T7_T9_mT8_S1G_bDpT10_ENKUlT_T0_E_clISt17integral_constantIbLb1EES1U_EEDaS1P_S1Q_EUlS1P_E_NS1_11comp_targetILNS1_3genE5ELNS1_11target_archE942ELNS1_3gpuE9ELNS1_3repE0EEENS1_30default_config_static_selectorELNS0_4arch9wavefront6targetE0EEEvS12_.kd
    .uniform_work_group_size: 1
    .uses_dynamic_stack: false
    .vgpr_count:     0
    .vgpr_spill_count: 0
    .wavefront_size: 32
    .workgroup_processor_mode: 1
  - .args:
      - .offset:         0
        .size:           184
        .value_kind:     by_value
    .group_segment_fixed_size: 0
    .kernarg_segment_align: 8
    .kernarg_segment_size: 184
    .language:       OpenCL C
    .language_version:
      - 2
      - 0
    .max_flat_workgroup_size: 256
    .name:           _ZN7rocprim17ROCPRIM_400000_NS6detail17trampoline_kernelINS0_13select_configILj256ELj13ELNS0_17block_load_methodE3ELS4_3ELS4_3ELNS0_20block_scan_algorithmE0ELj4294967295EEENS1_25partition_config_selectorILNS1_17partition_subalgoE4EjNS0_10empty_typeEbEEZZNS1_14partition_implILS8_4ELb0ES6_15HIP_vector_typeIjLj2EENS0_17counting_iteratorIjlEEPS9_SG_NS0_5tupleIJPjSI_NS0_16reverse_iteratorISI_EEEEENSH_IJSG_SG_SG_EEES9_SI_JZNS1_25segmented_radix_sort_implINS0_14default_configELb1EPKsPsPKlPlN2at6native12_GLOBAL__N_18offset_tEEE10hipError_tPvRmT1_PNSt15iterator_traitsIS12_E10value_typeET2_T3_PNS13_IS18_E10value_typeET4_jRbjT5_S1E_jjP12ihipStream_tbEUljE_ZNSN_ISO_Lb1ESQ_SR_ST_SU_SY_EESZ_S10_S11_S12_S16_S17_S18_S1B_S1C_jS1D_jS1E_S1E_jjS1G_bEUljE0_EEESZ_S10_S11_S18_S1C_S1E_T6_T7_T9_mT8_S1G_bDpT10_ENKUlT_T0_E_clISt17integral_constantIbLb1EES1U_EEDaS1P_S1Q_EUlS1P_E_NS1_11comp_targetILNS1_3genE4ELNS1_11target_archE910ELNS1_3gpuE8ELNS1_3repE0EEENS1_30default_config_static_selectorELNS0_4arch9wavefront6targetE0EEEvS12_
    .private_segment_fixed_size: 0
    .sgpr_count:     0
    .sgpr_spill_count: 0
    .symbol:         _ZN7rocprim17ROCPRIM_400000_NS6detail17trampoline_kernelINS0_13select_configILj256ELj13ELNS0_17block_load_methodE3ELS4_3ELS4_3ELNS0_20block_scan_algorithmE0ELj4294967295EEENS1_25partition_config_selectorILNS1_17partition_subalgoE4EjNS0_10empty_typeEbEEZZNS1_14partition_implILS8_4ELb0ES6_15HIP_vector_typeIjLj2EENS0_17counting_iteratorIjlEEPS9_SG_NS0_5tupleIJPjSI_NS0_16reverse_iteratorISI_EEEEENSH_IJSG_SG_SG_EEES9_SI_JZNS1_25segmented_radix_sort_implINS0_14default_configELb1EPKsPsPKlPlN2at6native12_GLOBAL__N_18offset_tEEE10hipError_tPvRmT1_PNSt15iterator_traitsIS12_E10value_typeET2_T3_PNS13_IS18_E10value_typeET4_jRbjT5_S1E_jjP12ihipStream_tbEUljE_ZNSN_ISO_Lb1ESQ_SR_ST_SU_SY_EESZ_S10_S11_S12_S16_S17_S18_S1B_S1C_jS1D_jS1E_S1E_jjS1G_bEUljE0_EEESZ_S10_S11_S18_S1C_S1E_T6_T7_T9_mT8_S1G_bDpT10_ENKUlT_T0_E_clISt17integral_constantIbLb1EES1U_EEDaS1P_S1Q_EUlS1P_E_NS1_11comp_targetILNS1_3genE4ELNS1_11target_archE910ELNS1_3gpuE8ELNS1_3repE0EEENS1_30default_config_static_selectorELNS0_4arch9wavefront6targetE0EEEvS12_.kd
    .uniform_work_group_size: 1
    .uses_dynamic_stack: false
    .vgpr_count:     0
    .vgpr_spill_count: 0
    .wavefront_size: 32
    .workgroup_processor_mode: 1
  - .args:
      - .offset:         0
        .size:           184
        .value_kind:     by_value
    .group_segment_fixed_size: 0
    .kernarg_segment_align: 8
    .kernarg_segment_size: 184
    .language:       OpenCL C
    .language_version:
      - 2
      - 0
    .max_flat_workgroup_size: 256
    .name:           _ZN7rocprim17ROCPRIM_400000_NS6detail17trampoline_kernelINS0_13select_configILj256ELj13ELNS0_17block_load_methodE3ELS4_3ELS4_3ELNS0_20block_scan_algorithmE0ELj4294967295EEENS1_25partition_config_selectorILNS1_17partition_subalgoE4EjNS0_10empty_typeEbEEZZNS1_14partition_implILS8_4ELb0ES6_15HIP_vector_typeIjLj2EENS0_17counting_iteratorIjlEEPS9_SG_NS0_5tupleIJPjSI_NS0_16reverse_iteratorISI_EEEEENSH_IJSG_SG_SG_EEES9_SI_JZNS1_25segmented_radix_sort_implINS0_14default_configELb1EPKsPsPKlPlN2at6native12_GLOBAL__N_18offset_tEEE10hipError_tPvRmT1_PNSt15iterator_traitsIS12_E10value_typeET2_T3_PNS13_IS18_E10value_typeET4_jRbjT5_S1E_jjP12ihipStream_tbEUljE_ZNSN_ISO_Lb1ESQ_SR_ST_SU_SY_EESZ_S10_S11_S12_S16_S17_S18_S1B_S1C_jS1D_jS1E_S1E_jjS1G_bEUljE0_EEESZ_S10_S11_S18_S1C_S1E_T6_T7_T9_mT8_S1G_bDpT10_ENKUlT_T0_E_clISt17integral_constantIbLb1EES1U_EEDaS1P_S1Q_EUlS1P_E_NS1_11comp_targetILNS1_3genE3ELNS1_11target_archE908ELNS1_3gpuE7ELNS1_3repE0EEENS1_30default_config_static_selectorELNS0_4arch9wavefront6targetE0EEEvS12_
    .private_segment_fixed_size: 0
    .sgpr_count:     0
    .sgpr_spill_count: 0
    .symbol:         _ZN7rocprim17ROCPRIM_400000_NS6detail17trampoline_kernelINS0_13select_configILj256ELj13ELNS0_17block_load_methodE3ELS4_3ELS4_3ELNS0_20block_scan_algorithmE0ELj4294967295EEENS1_25partition_config_selectorILNS1_17partition_subalgoE4EjNS0_10empty_typeEbEEZZNS1_14partition_implILS8_4ELb0ES6_15HIP_vector_typeIjLj2EENS0_17counting_iteratorIjlEEPS9_SG_NS0_5tupleIJPjSI_NS0_16reverse_iteratorISI_EEEEENSH_IJSG_SG_SG_EEES9_SI_JZNS1_25segmented_radix_sort_implINS0_14default_configELb1EPKsPsPKlPlN2at6native12_GLOBAL__N_18offset_tEEE10hipError_tPvRmT1_PNSt15iterator_traitsIS12_E10value_typeET2_T3_PNS13_IS18_E10value_typeET4_jRbjT5_S1E_jjP12ihipStream_tbEUljE_ZNSN_ISO_Lb1ESQ_SR_ST_SU_SY_EESZ_S10_S11_S12_S16_S17_S18_S1B_S1C_jS1D_jS1E_S1E_jjS1G_bEUljE0_EEESZ_S10_S11_S18_S1C_S1E_T6_T7_T9_mT8_S1G_bDpT10_ENKUlT_T0_E_clISt17integral_constantIbLb1EES1U_EEDaS1P_S1Q_EUlS1P_E_NS1_11comp_targetILNS1_3genE3ELNS1_11target_archE908ELNS1_3gpuE7ELNS1_3repE0EEENS1_30default_config_static_selectorELNS0_4arch9wavefront6targetE0EEEvS12_.kd
    .uniform_work_group_size: 1
    .uses_dynamic_stack: false
    .vgpr_count:     0
    .vgpr_spill_count: 0
    .wavefront_size: 32
    .workgroup_processor_mode: 1
  - .args:
      - .offset:         0
        .size:           184
        .value_kind:     by_value
    .group_segment_fixed_size: 0
    .kernarg_segment_align: 8
    .kernarg_segment_size: 184
    .language:       OpenCL C
    .language_version:
      - 2
      - 0
    .max_flat_workgroup_size: 256
    .name:           _ZN7rocprim17ROCPRIM_400000_NS6detail17trampoline_kernelINS0_13select_configILj256ELj13ELNS0_17block_load_methodE3ELS4_3ELS4_3ELNS0_20block_scan_algorithmE0ELj4294967295EEENS1_25partition_config_selectorILNS1_17partition_subalgoE4EjNS0_10empty_typeEbEEZZNS1_14partition_implILS8_4ELb0ES6_15HIP_vector_typeIjLj2EENS0_17counting_iteratorIjlEEPS9_SG_NS0_5tupleIJPjSI_NS0_16reverse_iteratorISI_EEEEENSH_IJSG_SG_SG_EEES9_SI_JZNS1_25segmented_radix_sort_implINS0_14default_configELb1EPKsPsPKlPlN2at6native12_GLOBAL__N_18offset_tEEE10hipError_tPvRmT1_PNSt15iterator_traitsIS12_E10value_typeET2_T3_PNS13_IS18_E10value_typeET4_jRbjT5_S1E_jjP12ihipStream_tbEUljE_ZNSN_ISO_Lb1ESQ_SR_ST_SU_SY_EESZ_S10_S11_S12_S16_S17_S18_S1B_S1C_jS1D_jS1E_S1E_jjS1G_bEUljE0_EEESZ_S10_S11_S18_S1C_S1E_T6_T7_T9_mT8_S1G_bDpT10_ENKUlT_T0_E_clISt17integral_constantIbLb1EES1U_EEDaS1P_S1Q_EUlS1P_E_NS1_11comp_targetILNS1_3genE2ELNS1_11target_archE906ELNS1_3gpuE6ELNS1_3repE0EEENS1_30default_config_static_selectorELNS0_4arch9wavefront6targetE0EEEvS12_
    .private_segment_fixed_size: 0
    .sgpr_count:     0
    .sgpr_spill_count: 0
    .symbol:         _ZN7rocprim17ROCPRIM_400000_NS6detail17trampoline_kernelINS0_13select_configILj256ELj13ELNS0_17block_load_methodE3ELS4_3ELS4_3ELNS0_20block_scan_algorithmE0ELj4294967295EEENS1_25partition_config_selectorILNS1_17partition_subalgoE4EjNS0_10empty_typeEbEEZZNS1_14partition_implILS8_4ELb0ES6_15HIP_vector_typeIjLj2EENS0_17counting_iteratorIjlEEPS9_SG_NS0_5tupleIJPjSI_NS0_16reverse_iteratorISI_EEEEENSH_IJSG_SG_SG_EEES9_SI_JZNS1_25segmented_radix_sort_implINS0_14default_configELb1EPKsPsPKlPlN2at6native12_GLOBAL__N_18offset_tEEE10hipError_tPvRmT1_PNSt15iterator_traitsIS12_E10value_typeET2_T3_PNS13_IS18_E10value_typeET4_jRbjT5_S1E_jjP12ihipStream_tbEUljE_ZNSN_ISO_Lb1ESQ_SR_ST_SU_SY_EESZ_S10_S11_S12_S16_S17_S18_S1B_S1C_jS1D_jS1E_S1E_jjS1G_bEUljE0_EEESZ_S10_S11_S18_S1C_S1E_T6_T7_T9_mT8_S1G_bDpT10_ENKUlT_T0_E_clISt17integral_constantIbLb1EES1U_EEDaS1P_S1Q_EUlS1P_E_NS1_11comp_targetILNS1_3genE2ELNS1_11target_archE906ELNS1_3gpuE6ELNS1_3repE0EEENS1_30default_config_static_selectorELNS0_4arch9wavefront6targetE0EEEvS12_.kd
    .uniform_work_group_size: 1
    .uses_dynamic_stack: false
    .vgpr_count:     0
    .vgpr_spill_count: 0
    .wavefront_size: 32
    .workgroup_processor_mode: 1
  - .args:
      - .offset:         0
        .size:           184
        .value_kind:     by_value
    .group_segment_fixed_size: 0
    .kernarg_segment_align: 8
    .kernarg_segment_size: 184
    .language:       OpenCL C
    .language_version:
      - 2
      - 0
    .max_flat_workgroup_size: 256
    .name:           _ZN7rocprim17ROCPRIM_400000_NS6detail17trampoline_kernelINS0_13select_configILj256ELj13ELNS0_17block_load_methodE3ELS4_3ELS4_3ELNS0_20block_scan_algorithmE0ELj4294967295EEENS1_25partition_config_selectorILNS1_17partition_subalgoE4EjNS0_10empty_typeEbEEZZNS1_14partition_implILS8_4ELb0ES6_15HIP_vector_typeIjLj2EENS0_17counting_iteratorIjlEEPS9_SG_NS0_5tupleIJPjSI_NS0_16reverse_iteratorISI_EEEEENSH_IJSG_SG_SG_EEES9_SI_JZNS1_25segmented_radix_sort_implINS0_14default_configELb1EPKsPsPKlPlN2at6native12_GLOBAL__N_18offset_tEEE10hipError_tPvRmT1_PNSt15iterator_traitsIS12_E10value_typeET2_T3_PNS13_IS18_E10value_typeET4_jRbjT5_S1E_jjP12ihipStream_tbEUljE_ZNSN_ISO_Lb1ESQ_SR_ST_SU_SY_EESZ_S10_S11_S12_S16_S17_S18_S1B_S1C_jS1D_jS1E_S1E_jjS1G_bEUljE0_EEESZ_S10_S11_S18_S1C_S1E_T6_T7_T9_mT8_S1G_bDpT10_ENKUlT_T0_E_clISt17integral_constantIbLb1EES1U_EEDaS1P_S1Q_EUlS1P_E_NS1_11comp_targetILNS1_3genE10ELNS1_11target_archE1200ELNS1_3gpuE4ELNS1_3repE0EEENS1_30default_config_static_selectorELNS0_4arch9wavefront6targetE0EEEvS12_
    .private_segment_fixed_size: 0
    .sgpr_count:     0
    .sgpr_spill_count: 0
    .symbol:         _ZN7rocprim17ROCPRIM_400000_NS6detail17trampoline_kernelINS0_13select_configILj256ELj13ELNS0_17block_load_methodE3ELS4_3ELS4_3ELNS0_20block_scan_algorithmE0ELj4294967295EEENS1_25partition_config_selectorILNS1_17partition_subalgoE4EjNS0_10empty_typeEbEEZZNS1_14partition_implILS8_4ELb0ES6_15HIP_vector_typeIjLj2EENS0_17counting_iteratorIjlEEPS9_SG_NS0_5tupleIJPjSI_NS0_16reverse_iteratorISI_EEEEENSH_IJSG_SG_SG_EEES9_SI_JZNS1_25segmented_radix_sort_implINS0_14default_configELb1EPKsPsPKlPlN2at6native12_GLOBAL__N_18offset_tEEE10hipError_tPvRmT1_PNSt15iterator_traitsIS12_E10value_typeET2_T3_PNS13_IS18_E10value_typeET4_jRbjT5_S1E_jjP12ihipStream_tbEUljE_ZNSN_ISO_Lb1ESQ_SR_ST_SU_SY_EESZ_S10_S11_S12_S16_S17_S18_S1B_S1C_jS1D_jS1E_S1E_jjS1G_bEUljE0_EEESZ_S10_S11_S18_S1C_S1E_T6_T7_T9_mT8_S1G_bDpT10_ENKUlT_T0_E_clISt17integral_constantIbLb1EES1U_EEDaS1P_S1Q_EUlS1P_E_NS1_11comp_targetILNS1_3genE10ELNS1_11target_archE1200ELNS1_3gpuE4ELNS1_3repE0EEENS1_30default_config_static_selectorELNS0_4arch9wavefront6targetE0EEEvS12_.kd
    .uniform_work_group_size: 1
    .uses_dynamic_stack: false
    .vgpr_count:     0
    .vgpr_spill_count: 0
    .wavefront_size: 32
    .workgroup_processor_mode: 1
  - .args:
      - .offset:         0
        .size:           184
        .value_kind:     by_value
    .group_segment_fixed_size: 0
    .kernarg_segment_align: 8
    .kernarg_segment_size: 184
    .language:       OpenCL C
    .language_version:
      - 2
      - 0
    .max_flat_workgroup_size: 256
    .name:           _ZN7rocprim17ROCPRIM_400000_NS6detail17trampoline_kernelINS0_13select_configILj256ELj13ELNS0_17block_load_methodE3ELS4_3ELS4_3ELNS0_20block_scan_algorithmE0ELj4294967295EEENS1_25partition_config_selectorILNS1_17partition_subalgoE4EjNS0_10empty_typeEbEEZZNS1_14partition_implILS8_4ELb0ES6_15HIP_vector_typeIjLj2EENS0_17counting_iteratorIjlEEPS9_SG_NS0_5tupleIJPjSI_NS0_16reverse_iteratorISI_EEEEENSH_IJSG_SG_SG_EEES9_SI_JZNS1_25segmented_radix_sort_implINS0_14default_configELb1EPKsPsPKlPlN2at6native12_GLOBAL__N_18offset_tEEE10hipError_tPvRmT1_PNSt15iterator_traitsIS12_E10value_typeET2_T3_PNS13_IS18_E10value_typeET4_jRbjT5_S1E_jjP12ihipStream_tbEUljE_ZNSN_ISO_Lb1ESQ_SR_ST_SU_SY_EESZ_S10_S11_S12_S16_S17_S18_S1B_S1C_jS1D_jS1E_S1E_jjS1G_bEUljE0_EEESZ_S10_S11_S18_S1C_S1E_T6_T7_T9_mT8_S1G_bDpT10_ENKUlT_T0_E_clISt17integral_constantIbLb1EES1U_EEDaS1P_S1Q_EUlS1P_E_NS1_11comp_targetILNS1_3genE9ELNS1_11target_archE1100ELNS1_3gpuE3ELNS1_3repE0EEENS1_30default_config_static_selectorELNS0_4arch9wavefront6targetE0EEEvS12_
    .private_segment_fixed_size: 0
    .sgpr_count:     0
    .sgpr_spill_count: 0
    .symbol:         _ZN7rocprim17ROCPRIM_400000_NS6detail17trampoline_kernelINS0_13select_configILj256ELj13ELNS0_17block_load_methodE3ELS4_3ELS4_3ELNS0_20block_scan_algorithmE0ELj4294967295EEENS1_25partition_config_selectorILNS1_17partition_subalgoE4EjNS0_10empty_typeEbEEZZNS1_14partition_implILS8_4ELb0ES6_15HIP_vector_typeIjLj2EENS0_17counting_iteratorIjlEEPS9_SG_NS0_5tupleIJPjSI_NS0_16reverse_iteratorISI_EEEEENSH_IJSG_SG_SG_EEES9_SI_JZNS1_25segmented_radix_sort_implINS0_14default_configELb1EPKsPsPKlPlN2at6native12_GLOBAL__N_18offset_tEEE10hipError_tPvRmT1_PNSt15iterator_traitsIS12_E10value_typeET2_T3_PNS13_IS18_E10value_typeET4_jRbjT5_S1E_jjP12ihipStream_tbEUljE_ZNSN_ISO_Lb1ESQ_SR_ST_SU_SY_EESZ_S10_S11_S12_S16_S17_S18_S1B_S1C_jS1D_jS1E_S1E_jjS1G_bEUljE0_EEESZ_S10_S11_S18_S1C_S1E_T6_T7_T9_mT8_S1G_bDpT10_ENKUlT_T0_E_clISt17integral_constantIbLb1EES1U_EEDaS1P_S1Q_EUlS1P_E_NS1_11comp_targetILNS1_3genE9ELNS1_11target_archE1100ELNS1_3gpuE3ELNS1_3repE0EEENS1_30default_config_static_selectorELNS0_4arch9wavefront6targetE0EEEvS12_.kd
    .uniform_work_group_size: 1
    .uses_dynamic_stack: false
    .vgpr_count:     0
    .vgpr_spill_count: 0
    .wavefront_size: 32
    .workgroup_processor_mode: 1
  - .args:
      - .offset:         0
        .size:           184
        .value_kind:     by_value
    .group_segment_fixed_size: 0
    .kernarg_segment_align: 8
    .kernarg_segment_size: 184
    .language:       OpenCL C
    .language_version:
      - 2
      - 0
    .max_flat_workgroup_size: 256
    .name:           _ZN7rocprim17ROCPRIM_400000_NS6detail17trampoline_kernelINS0_13select_configILj256ELj13ELNS0_17block_load_methodE3ELS4_3ELS4_3ELNS0_20block_scan_algorithmE0ELj4294967295EEENS1_25partition_config_selectorILNS1_17partition_subalgoE4EjNS0_10empty_typeEbEEZZNS1_14partition_implILS8_4ELb0ES6_15HIP_vector_typeIjLj2EENS0_17counting_iteratorIjlEEPS9_SG_NS0_5tupleIJPjSI_NS0_16reverse_iteratorISI_EEEEENSH_IJSG_SG_SG_EEES9_SI_JZNS1_25segmented_radix_sort_implINS0_14default_configELb1EPKsPsPKlPlN2at6native12_GLOBAL__N_18offset_tEEE10hipError_tPvRmT1_PNSt15iterator_traitsIS12_E10value_typeET2_T3_PNS13_IS18_E10value_typeET4_jRbjT5_S1E_jjP12ihipStream_tbEUljE_ZNSN_ISO_Lb1ESQ_SR_ST_SU_SY_EESZ_S10_S11_S12_S16_S17_S18_S1B_S1C_jS1D_jS1E_S1E_jjS1G_bEUljE0_EEESZ_S10_S11_S18_S1C_S1E_T6_T7_T9_mT8_S1G_bDpT10_ENKUlT_T0_E_clISt17integral_constantIbLb1EES1U_EEDaS1P_S1Q_EUlS1P_E_NS1_11comp_targetILNS1_3genE8ELNS1_11target_archE1030ELNS1_3gpuE2ELNS1_3repE0EEENS1_30default_config_static_selectorELNS0_4arch9wavefront6targetE0EEEvS12_
    .private_segment_fixed_size: 0
    .sgpr_count:     0
    .sgpr_spill_count: 0
    .symbol:         _ZN7rocprim17ROCPRIM_400000_NS6detail17trampoline_kernelINS0_13select_configILj256ELj13ELNS0_17block_load_methodE3ELS4_3ELS4_3ELNS0_20block_scan_algorithmE0ELj4294967295EEENS1_25partition_config_selectorILNS1_17partition_subalgoE4EjNS0_10empty_typeEbEEZZNS1_14partition_implILS8_4ELb0ES6_15HIP_vector_typeIjLj2EENS0_17counting_iteratorIjlEEPS9_SG_NS0_5tupleIJPjSI_NS0_16reverse_iteratorISI_EEEEENSH_IJSG_SG_SG_EEES9_SI_JZNS1_25segmented_radix_sort_implINS0_14default_configELb1EPKsPsPKlPlN2at6native12_GLOBAL__N_18offset_tEEE10hipError_tPvRmT1_PNSt15iterator_traitsIS12_E10value_typeET2_T3_PNS13_IS18_E10value_typeET4_jRbjT5_S1E_jjP12ihipStream_tbEUljE_ZNSN_ISO_Lb1ESQ_SR_ST_SU_SY_EESZ_S10_S11_S12_S16_S17_S18_S1B_S1C_jS1D_jS1E_S1E_jjS1G_bEUljE0_EEESZ_S10_S11_S18_S1C_S1E_T6_T7_T9_mT8_S1G_bDpT10_ENKUlT_T0_E_clISt17integral_constantIbLb1EES1U_EEDaS1P_S1Q_EUlS1P_E_NS1_11comp_targetILNS1_3genE8ELNS1_11target_archE1030ELNS1_3gpuE2ELNS1_3repE0EEENS1_30default_config_static_selectorELNS0_4arch9wavefront6targetE0EEEvS12_.kd
    .uniform_work_group_size: 1
    .uses_dynamic_stack: false
    .vgpr_count:     0
    .vgpr_spill_count: 0
    .wavefront_size: 32
    .workgroup_processor_mode: 1
  - .args:
      - .offset:         0
        .size:           176
        .value_kind:     by_value
    .group_segment_fixed_size: 0
    .kernarg_segment_align: 8
    .kernarg_segment_size: 176
    .language:       OpenCL C
    .language_version:
      - 2
      - 0
    .max_flat_workgroup_size: 256
    .name:           _ZN7rocprim17ROCPRIM_400000_NS6detail17trampoline_kernelINS0_13select_configILj256ELj13ELNS0_17block_load_methodE3ELS4_3ELS4_3ELNS0_20block_scan_algorithmE0ELj4294967295EEENS1_25partition_config_selectorILNS1_17partition_subalgoE4EjNS0_10empty_typeEbEEZZNS1_14partition_implILS8_4ELb0ES6_15HIP_vector_typeIjLj2EENS0_17counting_iteratorIjlEEPS9_SG_NS0_5tupleIJPjSI_NS0_16reverse_iteratorISI_EEEEENSH_IJSG_SG_SG_EEES9_SI_JZNS1_25segmented_radix_sort_implINS0_14default_configELb1EPKsPsPKlPlN2at6native12_GLOBAL__N_18offset_tEEE10hipError_tPvRmT1_PNSt15iterator_traitsIS12_E10value_typeET2_T3_PNS13_IS18_E10value_typeET4_jRbjT5_S1E_jjP12ihipStream_tbEUljE_ZNSN_ISO_Lb1ESQ_SR_ST_SU_SY_EESZ_S10_S11_S12_S16_S17_S18_S1B_S1C_jS1D_jS1E_S1E_jjS1G_bEUljE0_EEESZ_S10_S11_S18_S1C_S1E_T6_T7_T9_mT8_S1G_bDpT10_ENKUlT_T0_E_clISt17integral_constantIbLb1EES1T_IbLb0EEEEDaS1P_S1Q_EUlS1P_E_NS1_11comp_targetILNS1_3genE0ELNS1_11target_archE4294967295ELNS1_3gpuE0ELNS1_3repE0EEENS1_30default_config_static_selectorELNS0_4arch9wavefront6targetE0EEEvS12_
    .private_segment_fixed_size: 0
    .sgpr_count:     0
    .sgpr_spill_count: 0
    .symbol:         _ZN7rocprim17ROCPRIM_400000_NS6detail17trampoline_kernelINS0_13select_configILj256ELj13ELNS0_17block_load_methodE3ELS4_3ELS4_3ELNS0_20block_scan_algorithmE0ELj4294967295EEENS1_25partition_config_selectorILNS1_17partition_subalgoE4EjNS0_10empty_typeEbEEZZNS1_14partition_implILS8_4ELb0ES6_15HIP_vector_typeIjLj2EENS0_17counting_iteratorIjlEEPS9_SG_NS0_5tupleIJPjSI_NS0_16reverse_iteratorISI_EEEEENSH_IJSG_SG_SG_EEES9_SI_JZNS1_25segmented_radix_sort_implINS0_14default_configELb1EPKsPsPKlPlN2at6native12_GLOBAL__N_18offset_tEEE10hipError_tPvRmT1_PNSt15iterator_traitsIS12_E10value_typeET2_T3_PNS13_IS18_E10value_typeET4_jRbjT5_S1E_jjP12ihipStream_tbEUljE_ZNSN_ISO_Lb1ESQ_SR_ST_SU_SY_EESZ_S10_S11_S12_S16_S17_S18_S1B_S1C_jS1D_jS1E_S1E_jjS1G_bEUljE0_EEESZ_S10_S11_S18_S1C_S1E_T6_T7_T9_mT8_S1G_bDpT10_ENKUlT_T0_E_clISt17integral_constantIbLb1EES1T_IbLb0EEEEDaS1P_S1Q_EUlS1P_E_NS1_11comp_targetILNS1_3genE0ELNS1_11target_archE4294967295ELNS1_3gpuE0ELNS1_3repE0EEENS1_30default_config_static_selectorELNS0_4arch9wavefront6targetE0EEEvS12_.kd
    .uniform_work_group_size: 1
    .uses_dynamic_stack: false
    .vgpr_count:     0
    .vgpr_spill_count: 0
    .wavefront_size: 32
    .workgroup_processor_mode: 1
  - .args:
      - .offset:         0
        .size:           176
        .value_kind:     by_value
    .group_segment_fixed_size: 0
    .kernarg_segment_align: 8
    .kernarg_segment_size: 176
    .language:       OpenCL C
    .language_version:
      - 2
      - 0
    .max_flat_workgroup_size: 256
    .name:           _ZN7rocprim17ROCPRIM_400000_NS6detail17trampoline_kernelINS0_13select_configILj256ELj13ELNS0_17block_load_methodE3ELS4_3ELS4_3ELNS0_20block_scan_algorithmE0ELj4294967295EEENS1_25partition_config_selectorILNS1_17partition_subalgoE4EjNS0_10empty_typeEbEEZZNS1_14partition_implILS8_4ELb0ES6_15HIP_vector_typeIjLj2EENS0_17counting_iteratorIjlEEPS9_SG_NS0_5tupleIJPjSI_NS0_16reverse_iteratorISI_EEEEENSH_IJSG_SG_SG_EEES9_SI_JZNS1_25segmented_radix_sort_implINS0_14default_configELb1EPKsPsPKlPlN2at6native12_GLOBAL__N_18offset_tEEE10hipError_tPvRmT1_PNSt15iterator_traitsIS12_E10value_typeET2_T3_PNS13_IS18_E10value_typeET4_jRbjT5_S1E_jjP12ihipStream_tbEUljE_ZNSN_ISO_Lb1ESQ_SR_ST_SU_SY_EESZ_S10_S11_S12_S16_S17_S18_S1B_S1C_jS1D_jS1E_S1E_jjS1G_bEUljE0_EEESZ_S10_S11_S18_S1C_S1E_T6_T7_T9_mT8_S1G_bDpT10_ENKUlT_T0_E_clISt17integral_constantIbLb1EES1T_IbLb0EEEEDaS1P_S1Q_EUlS1P_E_NS1_11comp_targetILNS1_3genE5ELNS1_11target_archE942ELNS1_3gpuE9ELNS1_3repE0EEENS1_30default_config_static_selectorELNS0_4arch9wavefront6targetE0EEEvS12_
    .private_segment_fixed_size: 0
    .sgpr_count:     0
    .sgpr_spill_count: 0
    .symbol:         _ZN7rocprim17ROCPRIM_400000_NS6detail17trampoline_kernelINS0_13select_configILj256ELj13ELNS0_17block_load_methodE3ELS4_3ELS4_3ELNS0_20block_scan_algorithmE0ELj4294967295EEENS1_25partition_config_selectorILNS1_17partition_subalgoE4EjNS0_10empty_typeEbEEZZNS1_14partition_implILS8_4ELb0ES6_15HIP_vector_typeIjLj2EENS0_17counting_iteratorIjlEEPS9_SG_NS0_5tupleIJPjSI_NS0_16reverse_iteratorISI_EEEEENSH_IJSG_SG_SG_EEES9_SI_JZNS1_25segmented_radix_sort_implINS0_14default_configELb1EPKsPsPKlPlN2at6native12_GLOBAL__N_18offset_tEEE10hipError_tPvRmT1_PNSt15iterator_traitsIS12_E10value_typeET2_T3_PNS13_IS18_E10value_typeET4_jRbjT5_S1E_jjP12ihipStream_tbEUljE_ZNSN_ISO_Lb1ESQ_SR_ST_SU_SY_EESZ_S10_S11_S12_S16_S17_S18_S1B_S1C_jS1D_jS1E_S1E_jjS1G_bEUljE0_EEESZ_S10_S11_S18_S1C_S1E_T6_T7_T9_mT8_S1G_bDpT10_ENKUlT_T0_E_clISt17integral_constantIbLb1EES1T_IbLb0EEEEDaS1P_S1Q_EUlS1P_E_NS1_11comp_targetILNS1_3genE5ELNS1_11target_archE942ELNS1_3gpuE9ELNS1_3repE0EEENS1_30default_config_static_selectorELNS0_4arch9wavefront6targetE0EEEvS12_.kd
    .uniform_work_group_size: 1
    .uses_dynamic_stack: false
    .vgpr_count:     0
    .vgpr_spill_count: 0
    .wavefront_size: 32
    .workgroup_processor_mode: 1
  - .args:
      - .offset:         0
        .size:           176
        .value_kind:     by_value
    .group_segment_fixed_size: 0
    .kernarg_segment_align: 8
    .kernarg_segment_size: 176
    .language:       OpenCL C
    .language_version:
      - 2
      - 0
    .max_flat_workgroup_size: 256
    .name:           _ZN7rocprim17ROCPRIM_400000_NS6detail17trampoline_kernelINS0_13select_configILj256ELj13ELNS0_17block_load_methodE3ELS4_3ELS4_3ELNS0_20block_scan_algorithmE0ELj4294967295EEENS1_25partition_config_selectorILNS1_17partition_subalgoE4EjNS0_10empty_typeEbEEZZNS1_14partition_implILS8_4ELb0ES6_15HIP_vector_typeIjLj2EENS0_17counting_iteratorIjlEEPS9_SG_NS0_5tupleIJPjSI_NS0_16reverse_iteratorISI_EEEEENSH_IJSG_SG_SG_EEES9_SI_JZNS1_25segmented_radix_sort_implINS0_14default_configELb1EPKsPsPKlPlN2at6native12_GLOBAL__N_18offset_tEEE10hipError_tPvRmT1_PNSt15iterator_traitsIS12_E10value_typeET2_T3_PNS13_IS18_E10value_typeET4_jRbjT5_S1E_jjP12ihipStream_tbEUljE_ZNSN_ISO_Lb1ESQ_SR_ST_SU_SY_EESZ_S10_S11_S12_S16_S17_S18_S1B_S1C_jS1D_jS1E_S1E_jjS1G_bEUljE0_EEESZ_S10_S11_S18_S1C_S1E_T6_T7_T9_mT8_S1G_bDpT10_ENKUlT_T0_E_clISt17integral_constantIbLb1EES1T_IbLb0EEEEDaS1P_S1Q_EUlS1P_E_NS1_11comp_targetILNS1_3genE4ELNS1_11target_archE910ELNS1_3gpuE8ELNS1_3repE0EEENS1_30default_config_static_selectorELNS0_4arch9wavefront6targetE0EEEvS12_
    .private_segment_fixed_size: 0
    .sgpr_count:     0
    .sgpr_spill_count: 0
    .symbol:         _ZN7rocprim17ROCPRIM_400000_NS6detail17trampoline_kernelINS0_13select_configILj256ELj13ELNS0_17block_load_methodE3ELS4_3ELS4_3ELNS0_20block_scan_algorithmE0ELj4294967295EEENS1_25partition_config_selectorILNS1_17partition_subalgoE4EjNS0_10empty_typeEbEEZZNS1_14partition_implILS8_4ELb0ES6_15HIP_vector_typeIjLj2EENS0_17counting_iteratorIjlEEPS9_SG_NS0_5tupleIJPjSI_NS0_16reverse_iteratorISI_EEEEENSH_IJSG_SG_SG_EEES9_SI_JZNS1_25segmented_radix_sort_implINS0_14default_configELb1EPKsPsPKlPlN2at6native12_GLOBAL__N_18offset_tEEE10hipError_tPvRmT1_PNSt15iterator_traitsIS12_E10value_typeET2_T3_PNS13_IS18_E10value_typeET4_jRbjT5_S1E_jjP12ihipStream_tbEUljE_ZNSN_ISO_Lb1ESQ_SR_ST_SU_SY_EESZ_S10_S11_S12_S16_S17_S18_S1B_S1C_jS1D_jS1E_S1E_jjS1G_bEUljE0_EEESZ_S10_S11_S18_S1C_S1E_T6_T7_T9_mT8_S1G_bDpT10_ENKUlT_T0_E_clISt17integral_constantIbLb1EES1T_IbLb0EEEEDaS1P_S1Q_EUlS1P_E_NS1_11comp_targetILNS1_3genE4ELNS1_11target_archE910ELNS1_3gpuE8ELNS1_3repE0EEENS1_30default_config_static_selectorELNS0_4arch9wavefront6targetE0EEEvS12_.kd
    .uniform_work_group_size: 1
    .uses_dynamic_stack: false
    .vgpr_count:     0
    .vgpr_spill_count: 0
    .wavefront_size: 32
    .workgroup_processor_mode: 1
  - .args:
      - .offset:         0
        .size:           176
        .value_kind:     by_value
    .group_segment_fixed_size: 0
    .kernarg_segment_align: 8
    .kernarg_segment_size: 176
    .language:       OpenCL C
    .language_version:
      - 2
      - 0
    .max_flat_workgroup_size: 256
    .name:           _ZN7rocprim17ROCPRIM_400000_NS6detail17trampoline_kernelINS0_13select_configILj256ELj13ELNS0_17block_load_methodE3ELS4_3ELS4_3ELNS0_20block_scan_algorithmE0ELj4294967295EEENS1_25partition_config_selectorILNS1_17partition_subalgoE4EjNS0_10empty_typeEbEEZZNS1_14partition_implILS8_4ELb0ES6_15HIP_vector_typeIjLj2EENS0_17counting_iteratorIjlEEPS9_SG_NS0_5tupleIJPjSI_NS0_16reverse_iteratorISI_EEEEENSH_IJSG_SG_SG_EEES9_SI_JZNS1_25segmented_radix_sort_implINS0_14default_configELb1EPKsPsPKlPlN2at6native12_GLOBAL__N_18offset_tEEE10hipError_tPvRmT1_PNSt15iterator_traitsIS12_E10value_typeET2_T3_PNS13_IS18_E10value_typeET4_jRbjT5_S1E_jjP12ihipStream_tbEUljE_ZNSN_ISO_Lb1ESQ_SR_ST_SU_SY_EESZ_S10_S11_S12_S16_S17_S18_S1B_S1C_jS1D_jS1E_S1E_jjS1G_bEUljE0_EEESZ_S10_S11_S18_S1C_S1E_T6_T7_T9_mT8_S1G_bDpT10_ENKUlT_T0_E_clISt17integral_constantIbLb1EES1T_IbLb0EEEEDaS1P_S1Q_EUlS1P_E_NS1_11comp_targetILNS1_3genE3ELNS1_11target_archE908ELNS1_3gpuE7ELNS1_3repE0EEENS1_30default_config_static_selectorELNS0_4arch9wavefront6targetE0EEEvS12_
    .private_segment_fixed_size: 0
    .sgpr_count:     0
    .sgpr_spill_count: 0
    .symbol:         _ZN7rocprim17ROCPRIM_400000_NS6detail17trampoline_kernelINS0_13select_configILj256ELj13ELNS0_17block_load_methodE3ELS4_3ELS4_3ELNS0_20block_scan_algorithmE0ELj4294967295EEENS1_25partition_config_selectorILNS1_17partition_subalgoE4EjNS0_10empty_typeEbEEZZNS1_14partition_implILS8_4ELb0ES6_15HIP_vector_typeIjLj2EENS0_17counting_iteratorIjlEEPS9_SG_NS0_5tupleIJPjSI_NS0_16reverse_iteratorISI_EEEEENSH_IJSG_SG_SG_EEES9_SI_JZNS1_25segmented_radix_sort_implINS0_14default_configELb1EPKsPsPKlPlN2at6native12_GLOBAL__N_18offset_tEEE10hipError_tPvRmT1_PNSt15iterator_traitsIS12_E10value_typeET2_T3_PNS13_IS18_E10value_typeET4_jRbjT5_S1E_jjP12ihipStream_tbEUljE_ZNSN_ISO_Lb1ESQ_SR_ST_SU_SY_EESZ_S10_S11_S12_S16_S17_S18_S1B_S1C_jS1D_jS1E_S1E_jjS1G_bEUljE0_EEESZ_S10_S11_S18_S1C_S1E_T6_T7_T9_mT8_S1G_bDpT10_ENKUlT_T0_E_clISt17integral_constantIbLb1EES1T_IbLb0EEEEDaS1P_S1Q_EUlS1P_E_NS1_11comp_targetILNS1_3genE3ELNS1_11target_archE908ELNS1_3gpuE7ELNS1_3repE0EEENS1_30default_config_static_selectorELNS0_4arch9wavefront6targetE0EEEvS12_.kd
    .uniform_work_group_size: 1
    .uses_dynamic_stack: false
    .vgpr_count:     0
    .vgpr_spill_count: 0
    .wavefront_size: 32
    .workgroup_processor_mode: 1
  - .args:
      - .offset:         0
        .size:           176
        .value_kind:     by_value
    .group_segment_fixed_size: 0
    .kernarg_segment_align: 8
    .kernarg_segment_size: 176
    .language:       OpenCL C
    .language_version:
      - 2
      - 0
    .max_flat_workgroup_size: 256
    .name:           _ZN7rocprim17ROCPRIM_400000_NS6detail17trampoline_kernelINS0_13select_configILj256ELj13ELNS0_17block_load_methodE3ELS4_3ELS4_3ELNS0_20block_scan_algorithmE0ELj4294967295EEENS1_25partition_config_selectorILNS1_17partition_subalgoE4EjNS0_10empty_typeEbEEZZNS1_14partition_implILS8_4ELb0ES6_15HIP_vector_typeIjLj2EENS0_17counting_iteratorIjlEEPS9_SG_NS0_5tupleIJPjSI_NS0_16reverse_iteratorISI_EEEEENSH_IJSG_SG_SG_EEES9_SI_JZNS1_25segmented_radix_sort_implINS0_14default_configELb1EPKsPsPKlPlN2at6native12_GLOBAL__N_18offset_tEEE10hipError_tPvRmT1_PNSt15iterator_traitsIS12_E10value_typeET2_T3_PNS13_IS18_E10value_typeET4_jRbjT5_S1E_jjP12ihipStream_tbEUljE_ZNSN_ISO_Lb1ESQ_SR_ST_SU_SY_EESZ_S10_S11_S12_S16_S17_S18_S1B_S1C_jS1D_jS1E_S1E_jjS1G_bEUljE0_EEESZ_S10_S11_S18_S1C_S1E_T6_T7_T9_mT8_S1G_bDpT10_ENKUlT_T0_E_clISt17integral_constantIbLb1EES1T_IbLb0EEEEDaS1P_S1Q_EUlS1P_E_NS1_11comp_targetILNS1_3genE2ELNS1_11target_archE906ELNS1_3gpuE6ELNS1_3repE0EEENS1_30default_config_static_selectorELNS0_4arch9wavefront6targetE0EEEvS12_
    .private_segment_fixed_size: 0
    .sgpr_count:     0
    .sgpr_spill_count: 0
    .symbol:         _ZN7rocprim17ROCPRIM_400000_NS6detail17trampoline_kernelINS0_13select_configILj256ELj13ELNS0_17block_load_methodE3ELS4_3ELS4_3ELNS0_20block_scan_algorithmE0ELj4294967295EEENS1_25partition_config_selectorILNS1_17partition_subalgoE4EjNS0_10empty_typeEbEEZZNS1_14partition_implILS8_4ELb0ES6_15HIP_vector_typeIjLj2EENS0_17counting_iteratorIjlEEPS9_SG_NS0_5tupleIJPjSI_NS0_16reverse_iteratorISI_EEEEENSH_IJSG_SG_SG_EEES9_SI_JZNS1_25segmented_radix_sort_implINS0_14default_configELb1EPKsPsPKlPlN2at6native12_GLOBAL__N_18offset_tEEE10hipError_tPvRmT1_PNSt15iterator_traitsIS12_E10value_typeET2_T3_PNS13_IS18_E10value_typeET4_jRbjT5_S1E_jjP12ihipStream_tbEUljE_ZNSN_ISO_Lb1ESQ_SR_ST_SU_SY_EESZ_S10_S11_S12_S16_S17_S18_S1B_S1C_jS1D_jS1E_S1E_jjS1G_bEUljE0_EEESZ_S10_S11_S18_S1C_S1E_T6_T7_T9_mT8_S1G_bDpT10_ENKUlT_T0_E_clISt17integral_constantIbLb1EES1T_IbLb0EEEEDaS1P_S1Q_EUlS1P_E_NS1_11comp_targetILNS1_3genE2ELNS1_11target_archE906ELNS1_3gpuE6ELNS1_3repE0EEENS1_30default_config_static_selectorELNS0_4arch9wavefront6targetE0EEEvS12_.kd
    .uniform_work_group_size: 1
    .uses_dynamic_stack: false
    .vgpr_count:     0
    .vgpr_spill_count: 0
    .wavefront_size: 32
    .workgroup_processor_mode: 1
  - .args:
      - .offset:         0
        .size:           176
        .value_kind:     by_value
    .group_segment_fixed_size: 0
    .kernarg_segment_align: 8
    .kernarg_segment_size: 176
    .language:       OpenCL C
    .language_version:
      - 2
      - 0
    .max_flat_workgroup_size: 256
    .name:           _ZN7rocprim17ROCPRIM_400000_NS6detail17trampoline_kernelINS0_13select_configILj256ELj13ELNS0_17block_load_methodE3ELS4_3ELS4_3ELNS0_20block_scan_algorithmE0ELj4294967295EEENS1_25partition_config_selectorILNS1_17partition_subalgoE4EjNS0_10empty_typeEbEEZZNS1_14partition_implILS8_4ELb0ES6_15HIP_vector_typeIjLj2EENS0_17counting_iteratorIjlEEPS9_SG_NS0_5tupleIJPjSI_NS0_16reverse_iteratorISI_EEEEENSH_IJSG_SG_SG_EEES9_SI_JZNS1_25segmented_radix_sort_implINS0_14default_configELb1EPKsPsPKlPlN2at6native12_GLOBAL__N_18offset_tEEE10hipError_tPvRmT1_PNSt15iterator_traitsIS12_E10value_typeET2_T3_PNS13_IS18_E10value_typeET4_jRbjT5_S1E_jjP12ihipStream_tbEUljE_ZNSN_ISO_Lb1ESQ_SR_ST_SU_SY_EESZ_S10_S11_S12_S16_S17_S18_S1B_S1C_jS1D_jS1E_S1E_jjS1G_bEUljE0_EEESZ_S10_S11_S18_S1C_S1E_T6_T7_T9_mT8_S1G_bDpT10_ENKUlT_T0_E_clISt17integral_constantIbLb1EES1T_IbLb0EEEEDaS1P_S1Q_EUlS1P_E_NS1_11comp_targetILNS1_3genE10ELNS1_11target_archE1200ELNS1_3gpuE4ELNS1_3repE0EEENS1_30default_config_static_selectorELNS0_4arch9wavefront6targetE0EEEvS12_
    .private_segment_fixed_size: 0
    .sgpr_count:     0
    .sgpr_spill_count: 0
    .symbol:         _ZN7rocprim17ROCPRIM_400000_NS6detail17trampoline_kernelINS0_13select_configILj256ELj13ELNS0_17block_load_methodE3ELS4_3ELS4_3ELNS0_20block_scan_algorithmE0ELj4294967295EEENS1_25partition_config_selectorILNS1_17partition_subalgoE4EjNS0_10empty_typeEbEEZZNS1_14partition_implILS8_4ELb0ES6_15HIP_vector_typeIjLj2EENS0_17counting_iteratorIjlEEPS9_SG_NS0_5tupleIJPjSI_NS0_16reverse_iteratorISI_EEEEENSH_IJSG_SG_SG_EEES9_SI_JZNS1_25segmented_radix_sort_implINS0_14default_configELb1EPKsPsPKlPlN2at6native12_GLOBAL__N_18offset_tEEE10hipError_tPvRmT1_PNSt15iterator_traitsIS12_E10value_typeET2_T3_PNS13_IS18_E10value_typeET4_jRbjT5_S1E_jjP12ihipStream_tbEUljE_ZNSN_ISO_Lb1ESQ_SR_ST_SU_SY_EESZ_S10_S11_S12_S16_S17_S18_S1B_S1C_jS1D_jS1E_S1E_jjS1G_bEUljE0_EEESZ_S10_S11_S18_S1C_S1E_T6_T7_T9_mT8_S1G_bDpT10_ENKUlT_T0_E_clISt17integral_constantIbLb1EES1T_IbLb0EEEEDaS1P_S1Q_EUlS1P_E_NS1_11comp_targetILNS1_3genE10ELNS1_11target_archE1200ELNS1_3gpuE4ELNS1_3repE0EEENS1_30default_config_static_selectorELNS0_4arch9wavefront6targetE0EEEvS12_.kd
    .uniform_work_group_size: 1
    .uses_dynamic_stack: false
    .vgpr_count:     0
    .vgpr_spill_count: 0
    .wavefront_size: 32
    .workgroup_processor_mode: 1
  - .args:
      - .offset:         0
        .size:           176
        .value_kind:     by_value
    .group_segment_fixed_size: 0
    .kernarg_segment_align: 8
    .kernarg_segment_size: 176
    .language:       OpenCL C
    .language_version:
      - 2
      - 0
    .max_flat_workgroup_size: 256
    .name:           _ZN7rocprim17ROCPRIM_400000_NS6detail17trampoline_kernelINS0_13select_configILj256ELj13ELNS0_17block_load_methodE3ELS4_3ELS4_3ELNS0_20block_scan_algorithmE0ELj4294967295EEENS1_25partition_config_selectorILNS1_17partition_subalgoE4EjNS0_10empty_typeEbEEZZNS1_14partition_implILS8_4ELb0ES6_15HIP_vector_typeIjLj2EENS0_17counting_iteratorIjlEEPS9_SG_NS0_5tupleIJPjSI_NS0_16reverse_iteratorISI_EEEEENSH_IJSG_SG_SG_EEES9_SI_JZNS1_25segmented_radix_sort_implINS0_14default_configELb1EPKsPsPKlPlN2at6native12_GLOBAL__N_18offset_tEEE10hipError_tPvRmT1_PNSt15iterator_traitsIS12_E10value_typeET2_T3_PNS13_IS18_E10value_typeET4_jRbjT5_S1E_jjP12ihipStream_tbEUljE_ZNSN_ISO_Lb1ESQ_SR_ST_SU_SY_EESZ_S10_S11_S12_S16_S17_S18_S1B_S1C_jS1D_jS1E_S1E_jjS1G_bEUljE0_EEESZ_S10_S11_S18_S1C_S1E_T6_T7_T9_mT8_S1G_bDpT10_ENKUlT_T0_E_clISt17integral_constantIbLb1EES1T_IbLb0EEEEDaS1P_S1Q_EUlS1P_E_NS1_11comp_targetILNS1_3genE9ELNS1_11target_archE1100ELNS1_3gpuE3ELNS1_3repE0EEENS1_30default_config_static_selectorELNS0_4arch9wavefront6targetE0EEEvS12_
    .private_segment_fixed_size: 0
    .sgpr_count:     0
    .sgpr_spill_count: 0
    .symbol:         _ZN7rocprim17ROCPRIM_400000_NS6detail17trampoline_kernelINS0_13select_configILj256ELj13ELNS0_17block_load_methodE3ELS4_3ELS4_3ELNS0_20block_scan_algorithmE0ELj4294967295EEENS1_25partition_config_selectorILNS1_17partition_subalgoE4EjNS0_10empty_typeEbEEZZNS1_14partition_implILS8_4ELb0ES6_15HIP_vector_typeIjLj2EENS0_17counting_iteratorIjlEEPS9_SG_NS0_5tupleIJPjSI_NS0_16reverse_iteratorISI_EEEEENSH_IJSG_SG_SG_EEES9_SI_JZNS1_25segmented_radix_sort_implINS0_14default_configELb1EPKsPsPKlPlN2at6native12_GLOBAL__N_18offset_tEEE10hipError_tPvRmT1_PNSt15iterator_traitsIS12_E10value_typeET2_T3_PNS13_IS18_E10value_typeET4_jRbjT5_S1E_jjP12ihipStream_tbEUljE_ZNSN_ISO_Lb1ESQ_SR_ST_SU_SY_EESZ_S10_S11_S12_S16_S17_S18_S1B_S1C_jS1D_jS1E_S1E_jjS1G_bEUljE0_EEESZ_S10_S11_S18_S1C_S1E_T6_T7_T9_mT8_S1G_bDpT10_ENKUlT_T0_E_clISt17integral_constantIbLb1EES1T_IbLb0EEEEDaS1P_S1Q_EUlS1P_E_NS1_11comp_targetILNS1_3genE9ELNS1_11target_archE1100ELNS1_3gpuE3ELNS1_3repE0EEENS1_30default_config_static_selectorELNS0_4arch9wavefront6targetE0EEEvS12_.kd
    .uniform_work_group_size: 1
    .uses_dynamic_stack: false
    .vgpr_count:     0
    .vgpr_spill_count: 0
    .wavefront_size: 32
    .workgroup_processor_mode: 1
  - .args:
      - .offset:         0
        .size:           176
        .value_kind:     by_value
    .group_segment_fixed_size: 0
    .kernarg_segment_align: 8
    .kernarg_segment_size: 176
    .language:       OpenCL C
    .language_version:
      - 2
      - 0
    .max_flat_workgroup_size: 256
    .name:           _ZN7rocprim17ROCPRIM_400000_NS6detail17trampoline_kernelINS0_13select_configILj256ELj13ELNS0_17block_load_methodE3ELS4_3ELS4_3ELNS0_20block_scan_algorithmE0ELj4294967295EEENS1_25partition_config_selectorILNS1_17partition_subalgoE4EjNS0_10empty_typeEbEEZZNS1_14partition_implILS8_4ELb0ES6_15HIP_vector_typeIjLj2EENS0_17counting_iteratorIjlEEPS9_SG_NS0_5tupleIJPjSI_NS0_16reverse_iteratorISI_EEEEENSH_IJSG_SG_SG_EEES9_SI_JZNS1_25segmented_radix_sort_implINS0_14default_configELb1EPKsPsPKlPlN2at6native12_GLOBAL__N_18offset_tEEE10hipError_tPvRmT1_PNSt15iterator_traitsIS12_E10value_typeET2_T3_PNS13_IS18_E10value_typeET4_jRbjT5_S1E_jjP12ihipStream_tbEUljE_ZNSN_ISO_Lb1ESQ_SR_ST_SU_SY_EESZ_S10_S11_S12_S16_S17_S18_S1B_S1C_jS1D_jS1E_S1E_jjS1G_bEUljE0_EEESZ_S10_S11_S18_S1C_S1E_T6_T7_T9_mT8_S1G_bDpT10_ENKUlT_T0_E_clISt17integral_constantIbLb1EES1T_IbLb0EEEEDaS1P_S1Q_EUlS1P_E_NS1_11comp_targetILNS1_3genE8ELNS1_11target_archE1030ELNS1_3gpuE2ELNS1_3repE0EEENS1_30default_config_static_selectorELNS0_4arch9wavefront6targetE0EEEvS12_
    .private_segment_fixed_size: 0
    .sgpr_count:     0
    .sgpr_spill_count: 0
    .symbol:         _ZN7rocprim17ROCPRIM_400000_NS6detail17trampoline_kernelINS0_13select_configILj256ELj13ELNS0_17block_load_methodE3ELS4_3ELS4_3ELNS0_20block_scan_algorithmE0ELj4294967295EEENS1_25partition_config_selectorILNS1_17partition_subalgoE4EjNS0_10empty_typeEbEEZZNS1_14partition_implILS8_4ELb0ES6_15HIP_vector_typeIjLj2EENS0_17counting_iteratorIjlEEPS9_SG_NS0_5tupleIJPjSI_NS0_16reverse_iteratorISI_EEEEENSH_IJSG_SG_SG_EEES9_SI_JZNS1_25segmented_radix_sort_implINS0_14default_configELb1EPKsPsPKlPlN2at6native12_GLOBAL__N_18offset_tEEE10hipError_tPvRmT1_PNSt15iterator_traitsIS12_E10value_typeET2_T3_PNS13_IS18_E10value_typeET4_jRbjT5_S1E_jjP12ihipStream_tbEUljE_ZNSN_ISO_Lb1ESQ_SR_ST_SU_SY_EESZ_S10_S11_S12_S16_S17_S18_S1B_S1C_jS1D_jS1E_S1E_jjS1G_bEUljE0_EEESZ_S10_S11_S18_S1C_S1E_T6_T7_T9_mT8_S1G_bDpT10_ENKUlT_T0_E_clISt17integral_constantIbLb1EES1T_IbLb0EEEEDaS1P_S1Q_EUlS1P_E_NS1_11comp_targetILNS1_3genE8ELNS1_11target_archE1030ELNS1_3gpuE2ELNS1_3repE0EEENS1_30default_config_static_selectorELNS0_4arch9wavefront6targetE0EEEvS12_.kd
    .uniform_work_group_size: 1
    .uses_dynamic_stack: false
    .vgpr_count:     0
    .vgpr_spill_count: 0
    .wavefront_size: 32
    .workgroup_processor_mode: 1
  - .args:
      - .offset:         0
        .size:           184
        .value_kind:     by_value
    .group_segment_fixed_size: 0
    .kernarg_segment_align: 8
    .kernarg_segment_size: 184
    .language:       OpenCL C
    .language_version:
      - 2
      - 0
    .max_flat_workgroup_size: 256
    .name:           _ZN7rocprim17ROCPRIM_400000_NS6detail17trampoline_kernelINS0_13select_configILj256ELj13ELNS0_17block_load_methodE3ELS4_3ELS4_3ELNS0_20block_scan_algorithmE0ELj4294967295EEENS1_25partition_config_selectorILNS1_17partition_subalgoE4EjNS0_10empty_typeEbEEZZNS1_14partition_implILS8_4ELb0ES6_15HIP_vector_typeIjLj2EENS0_17counting_iteratorIjlEEPS9_SG_NS0_5tupleIJPjSI_NS0_16reverse_iteratorISI_EEEEENSH_IJSG_SG_SG_EEES9_SI_JZNS1_25segmented_radix_sort_implINS0_14default_configELb1EPKsPsPKlPlN2at6native12_GLOBAL__N_18offset_tEEE10hipError_tPvRmT1_PNSt15iterator_traitsIS12_E10value_typeET2_T3_PNS13_IS18_E10value_typeET4_jRbjT5_S1E_jjP12ihipStream_tbEUljE_ZNSN_ISO_Lb1ESQ_SR_ST_SU_SY_EESZ_S10_S11_S12_S16_S17_S18_S1B_S1C_jS1D_jS1E_S1E_jjS1G_bEUljE0_EEESZ_S10_S11_S18_S1C_S1E_T6_T7_T9_mT8_S1G_bDpT10_ENKUlT_T0_E_clISt17integral_constantIbLb0EES1T_IbLb1EEEEDaS1P_S1Q_EUlS1P_E_NS1_11comp_targetILNS1_3genE0ELNS1_11target_archE4294967295ELNS1_3gpuE0ELNS1_3repE0EEENS1_30default_config_static_selectorELNS0_4arch9wavefront6targetE0EEEvS12_
    .private_segment_fixed_size: 0
    .sgpr_count:     0
    .sgpr_spill_count: 0
    .symbol:         _ZN7rocprim17ROCPRIM_400000_NS6detail17trampoline_kernelINS0_13select_configILj256ELj13ELNS0_17block_load_methodE3ELS4_3ELS4_3ELNS0_20block_scan_algorithmE0ELj4294967295EEENS1_25partition_config_selectorILNS1_17partition_subalgoE4EjNS0_10empty_typeEbEEZZNS1_14partition_implILS8_4ELb0ES6_15HIP_vector_typeIjLj2EENS0_17counting_iteratorIjlEEPS9_SG_NS0_5tupleIJPjSI_NS0_16reverse_iteratorISI_EEEEENSH_IJSG_SG_SG_EEES9_SI_JZNS1_25segmented_radix_sort_implINS0_14default_configELb1EPKsPsPKlPlN2at6native12_GLOBAL__N_18offset_tEEE10hipError_tPvRmT1_PNSt15iterator_traitsIS12_E10value_typeET2_T3_PNS13_IS18_E10value_typeET4_jRbjT5_S1E_jjP12ihipStream_tbEUljE_ZNSN_ISO_Lb1ESQ_SR_ST_SU_SY_EESZ_S10_S11_S12_S16_S17_S18_S1B_S1C_jS1D_jS1E_S1E_jjS1G_bEUljE0_EEESZ_S10_S11_S18_S1C_S1E_T6_T7_T9_mT8_S1G_bDpT10_ENKUlT_T0_E_clISt17integral_constantIbLb0EES1T_IbLb1EEEEDaS1P_S1Q_EUlS1P_E_NS1_11comp_targetILNS1_3genE0ELNS1_11target_archE4294967295ELNS1_3gpuE0ELNS1_3repE0EEENS1_30default_config_static_selectorELNS0_4arch9wavefront6targetE0EEEvS12_.kd
    .uniform_work_group_size: 1
    .uses_dynamic_stack: false
    .vgpr_count:     0
    .vgpr_spill_count: 0
    .wavefront_size: 32
    .workgroup_processor_mode: 1
  - .args:
      - .offset:         0
        .size:           184
        .value_kind:     by_value
    .group_segment_fixed_size: 0
    .kernarg_segment_align: 8
    .kernarg_segment_size: 184
    .language:       OpenCL C
    .language_version:
      - 2
      - 0
    .max_flat_workgroup_size: 256
    .name:           _ZN7rocprim17ROCPRIM_400000_NS6detail17trampoline_kernelINS0_13select_configILj256ELj13ELNS0_17block_load_methodE3ELS4_3ELS4_3ELNS0_20block_scan_algorithmE0ELj4294967295EEENS1_25partition_config_selectorILNS1_17partition_subalgoE4EjNS0_10empty_typeEbEEZZNS1_14partition_implILS8_4ELb0ES6_15HIP_vector_typeIjLj2EENS0_17counting_iteratorIjlEEPS9_SG_NS0_5tupleIJPjSI_NS0_16reverse_iteratorISI_EEEEENSH_IJSG_SG_SG_EEES9_SI_JZNS1_25segmented_radix_sort_implINS0_14default_configELb1EPKsPsPKlPlN2at6native12_GLOBAL__N_18offset_tEEE10hipError_tPvRmT1_PNSt15iterator_traitsIS12_E10value_typeET2_T3_PNS13_IS18_E10value_typeET4_jRbjT5_S1E_jjP12ihipStream_tbEUljE_ZNSN_ISO_Lb1ESQ_SR_ST_SU_SY_EESZ_S10_S11_S12_S16_S17_S18_S1B_S1C_jS1D_jS1E_S1E_jjS1G_bEUljE0_EEESZ_S10_S11_S18_S1C_S1E_T6_T7_T9_mT8_S1G_bDpT10_ENKUlT_T0_E_clISt17integral_constantIbLb0EES1T_IbLb1EEEEDaS1P_S1Q_EUlS1P_E_NS1_11comp_targetILNS1_3genE5ELNS1_11target_archE942ELNS1_3gpuE9ELNS1_3repE0EEENS1_30default_config_static_selectorELNS0_4arch9wavefront6targetE0EEEvS12_
    .private_segment_fixed_size: 0
    .sgpr_count:     0
    .sgpr_spill_count: 0
    .symbol:         _ZN7rocprim17ROCPRIM_400000_NS6detail17trampoline_kernelINS0_13select_configILj256ELj13ELNS0_17block_load_methodE3ELS4_3ELS4_3ELNS0_20block_scan_algorithmE0ELj4294967295EEENS1_25partition_config_selectorILNS1_17partition_subalgoE4EjNS0_10empty_typeEbEEZZNS1_14partition_implILS8_4ELb0ES6_15HIP_vector_typeIjLj2EENS0_17counting_iteratorIjlEEPS9_SG_NS0_5tupleIJPjSI_NS0_16reverse_iteratorISI_EEEEENSH_IJSG_SG_SG_EEES9_SI_JZNS1_25segmented_radix_sort_implINS0_14default_configELb1EPKsPsPKlPlN2at6native12_GLOBAL__N_18offset_tEEE10hipError_tPvRmT1_PNSt15iterator_traitsIS12_E10value_typeET2_T3_PNS13_IS18_E10value_typeET4_jRbjT5_S1E_jjP12ihipStream_tbEUljE_ZNSN_ISO_Lb1ESQ_SR_ST_SU_SY_EESZ_S10_S11_S12_S16_S17_S18_S1B_S1C_jS1D_jS1E_S1E_jjS1G_bEUljE0_EEESZ_S10_S11_S18_S1C_S1E_T6_T7_T9_mT8_S1G_bDpT10_ENKUlT_T0_E_clISt17integral_constantIbLb0EES1T_IbLb1EEEEDaS1P_S1Q_EUlS1P_E_NS1_11comp_targetILNS1_3genE5ELNS1_11target_archE942ELNS1_3gpuE9ELNS1_3repE0EEENS1_30default_config_static_selectorELNS0_4arch9wavefront6targetE0EEEvS12_.kd
    .uniform_work_group_size: 1
    .uses_dynamic_stack: false
    .vgpr_count:     0
    .vgpr_spill_count: 0
    .wavefront_size: 32
    .workgroup_processor_mode: 1
  - .args:
      - .offset:         0
        .size:           184
        .value_kind:     by_value
    .group_segment_fixed_size: 0
    .kernarg_segment_align: 8
    .kernarg_segment_size: 184
    .language:       OpenCL C
    .language_version:
      - 2
      - 0
    .max_flat_workgroup_size: 256
    .name:           _ZN7rocprim17ROCPRIM_400000_NS6detail17trampoline_kernelINS0_13select_configILj256ELj13ELNS0_17block_load_methodE3ELS4_3ELS4_3ELNS0_20block_scan_algorithmE0ELj4294967295EEENS1_25partition_config_selectorILNS1_17partition_subalgoE4EjNS0_10empty_typeEbEEZZNS1_14partition_implILS8_4ELb0ES6_15HIP_vector_typeIjLj2EENS0_17counting_iteratorIjlEEPS9_SG_NS0_5tupleIJPjSI_NS0_16reverse_iteratorISI_EEEEENSH_IJSG_SG_SG_EEES9_SI_JZNS1_25segmented_radix_sort_implINS0_14default_configELb1EPKsPsPKlPlN2at6native12_GLOBAL__N_18offset_tEEE10hipError_tPvRmT1_PNSt15iterator_traitsIS12_E10value_typeET2_T3_PNS13_IS18_E10value_typeET4_jRbjT5_S1E_jjP12ihipStream_tbEUljE_ZNSN_ISO_Lb1ESQ_SR_ST_SU_SY_EESZ_S10_S11_S12_S16_S17_S18_S1B_S1C_jS1D_jS1E_S1E_jjS1G_bEUljE0_EEESZ_S10_S11_S18_S1C_S1E_T6_T7_T9_mT8_S1G_bDpT10_ENKUlT_T0_E_clISt17integral_constantIbLb0EES1T_IbLb1EEEEDaS1P_S1Q_EUlS1P_E_NS1_11comp_targetILNS1_3genE4ELNS1_11target_archE910ELNS1_3gpuE8ELNS1_3repE0EEENS1_30default_config_static_selectorELNS0_4arch9wavefront6targetE0EEEvS12_
    .private_segment_fixed_size: 0
    .sgpr_count:     0
    .sgpr_spill_count: 0
    .symbol:         _ZN7rocprim17ROCPRIM_400000_NS6detail17trampoline_kernelINS0_13select_configILj256ELj13ELNS0_17block_load_methodE3ELS4_3ELS4_3ELNS0_20block_scan_algorithmE0ELj4294967295EEENS1_25partition_config_selectorILNS1_17partition_subalgoE4EjNS0_10empty_typeEbEEZZNS1_14partition_implILS8_4ELb0ES6_15HIP_vector_typeIjLj2EENS0_17counting_iteratorIjlEEPS9_SG_NS0_5tupleIJPjSI_NS0_16reverse_iteratorISI_EEEEENSH_IJSG_SG_SG_EEES9_SI_JZNS1_25segmented_radix_sort_implINS0_14default_configELb1EPKsPsPKlPlN2at6native12_GLOBAL__N_18offset_tEEE10hipError_tPvRmT1_PNSt15iterator_traitsIS12_E10value_typeET2_T3_PNS13_IS18_E10value_typeET4_jRbjT5_S1E_jjP12ihipStream_tbEUljE_ZNSN_ISO_Lb1ESQ_SR_ST_SU_SY_EESZ_S10_S11_S12_S16_S17_S18_S1B_S1C_jS1D_jS1E_S1E_jjS1G_bEUljE0_EEESZ_S10_S11_S18_S1C_S1E_T6_T7_T9_mT8_S1G_bDpT10_ENKUlT_T0_E_clISt17integral_constantIbLb0EES1T_IbLb1EEEEDaS1P_S1Q_EUlS1P_E_NS1_11comp_targetILNS1_3genE4ELNS1_11target_archE910ELNS1_3gpuE8ELNS1_3repE0EEENS1_30default_config_static_selectorELNS0_4arch9wavefront6targetE0EEEvS12_.kd
    .uniform_work_group_size: 1
    .uses_dynamic_stack: false
    .vgpr_count:     0
    .vgpr_spill_count: 0
    .wavefront_size: 32
    .workgroup_processor_mode: 1
  - .args:
      - .offset:         0
        .size:           184
        .value_kind:     by_value
    .group_segment_fixed_size: 0
    .kernarg_segment_align: 8
    .kernarg_segment_size: 184
    .language:       OpenCL C
    .language_version:
      - 2
      - 0
    .max_flat_workgroup_size: 256
    .name:           _ZN7rocprim17ROCPRIM_400000_NS6detail17trampoline_kernelINS0_13select_configILj256ELj13ELNS0_17block_load_methodE3ELS4_3ELS4_3ELNS0_20block_scan_algorithmE0ELj4294967295EEENS1_25partition_config_selectorILNS1_17partition_subalgoE4EjNS0_10empty_typeEbEEZZNS1_14partition_implILS8_4ELb0ES6_15HIP_vector_typeIjLj2EENS0_17counting_iteratorIjlEEPS9_SG_NS0_5tupleIJPjSI_NS0_16reverse_iteratorISI_EEEEENSH_IJSG_SG_SG_EEES9_SI_JZNS1_25segmented_radix_sort_implINS0_14default_configELb1EPKsPsPKlPlN2at6native12_GLOBAL__N_18offset_tEEE10hipError_tPvRmT1_PNSt15iterator_traitsIS12_E10value_typeET2_T3_PNS13_IS18_E10value_typeET4_jRbjT5_S1E_jjP12ihipStream_tbEUljE_ZNSN_ISO_Lb1ESQ_SR_ST_SU_SY_EESZ_S10_S11_S12_S16_S17_S18_S1B_S1C_jS1D_jS1E_S1E_jjS1G_bEUljE0_EEESZ_S10_S11_S18_S1C_S1E_T6_T7_T9_mT8_S1G_bDpT10_ENKUlT_T0_E_clISt17integral_constantIbLb0EES1T_IbLb1EEEEDaS1P_S1Q_EUlS1P_E_NS1_11comp_targetILNS1_3genE3ELNS1_11target_archE908ELNS1_3gpuE7ELNS1_3repE0EEENS1_30default_config_static_selectorELNS0_4arch9wavefront6targetE0EEEvS12_
    .private_segment_fixed_size: 0
    .sgpr_count:     0
    .sgpr_spill_count: 0
    .symbol:         _ZN7rocprim17ROCPRIM_400000_NS6detail17trampoline_kernelINS0_13select_configILj256ELj13ELNS0_17block_load_methodE3ELS4_3ELS4_3ELNS0_20block_scan_algorithmE0ELj4294967295EEENS1_25partition_config_selectorILNS1_17partition_subalgoE4EjNS0_10empty_typeEbEEZZNS1_14partition_implILS8_4ELb0ES6_15HIP_vector_typeIjLj2EENS0_17counting_iteratorIjlEEPS9_SG_NS0_5tupleIJPjSI_NS0_16reverse_iteratorISI_EEEEENSH_IJSG_SG_SG_EEES9_SI_JZNS1_25segmented_radix_sort_implINS0_14default_configELb1EPKsPsPKlPlN2at6native12_GLOBAL__N_18offset_tEEE10hipError_tPvRmT1_PNSt15iterator_traitsIS12_E10value_typeET2_T3_PNS13_IS18_E10value_typeET4_jRbjT5_S1E_jjP12ihipStream_tbEUljE_ZNSN_ISO_Lb1ESQ_SR_ST_SU_SY_EESZ_S10_S11_S12_S16_S17_S18_S1B_S1C_jS1D_jS1E_S1E_jjS1G_bEUljE0_EEESZ_S10_S11_S18_S1C_S1E_T6_T7_T9_mT8_S1G_bDpT10_ENKUlT_T0_E_clISt17integral_constantIbLb0EES1T_IbLb1EEEEDaS1P_S1Q_EUlS1P_E_NS1_11comp_targetILNS1_3genE3ELNS1_11target_archE908ELNS1_3gpuE7ELNS1_3repE0EEENS1_30default_config_static_selectorELNS0_4arch9wavefront6targetE0EEEvS12_.kd
    .uniform_work_group_size: 1
    .uses_dynamic_stack: false
    .vgpr_count:     0
    .vgpr_spill_count: 0
    .wavefront_size: 32
    .workgroup_processor_mode: 1
  - .args:
      - .offset:         0
        .size:           184
        .value_kind:     by_value
    .group_segment_fixed_size: 0
    .kernarg_segment_align: 8
    .kernarg_segment_size: 184
    .language:       OpenCL C
    .language_version:
      - 2
      - 0
    .max_flat_workgroup_size: 256
    .name:           _ZN7rocprim17ROCPRIM_400000_NS6detail17trampoline_kernelINS0_13select_configILj256ELj13ELNS0_17block_load_methodE3ELS4_3ELS4_3ELNS0_20block_scan_algorithmE0ELj4294967295EEENS1_25partition_config_selectorILNS1_17partition_subalgoE4EjNS0_10empty_typeEbEEZZNS1_14partition_implILS8_4ELb0ES6_15HIP_vector_typeIjLj2EENS0_17counting_iteratorIjlEEPS9_SG_NS0_5tupleIJPjSI_NS0_16reverse_iteratorISI_EEEEENSH_IJSG_SG_SG_EEES9_SI_JZNS1_25segmented_radix_sort_implINS0_14default_configELb1EPKsPsPKlPlN2at6native12_GLOBAL__N_18offset_tEEE10hipError_tPvRmT1_PNSt15iterator_traitsIS12_E10value_typeET2_T3_PNS13_IS18_E10value_typeET4_jRbjT5_S1E_jjP12ihipStream_tbEUljE_ZNSN_ISO_Lb1ESQ_SR_ST_SU_SY_EESZ_S10_S11_S12_S16_S17_S18_S1B_S1C_jS1D_jS1E_S1E_jjS1G_bEUljE0_EEESZ_S10_S11_S18_S1C_S1E_T6_T7_T9_mT8_S1G_bDpT10_ENKUlT_T0_E_clISt17integral_constantIbLb0EES1T_IbLb1EEEEDaS1P_S1Q_EUlS1P_E_NS1_11comp_targetILNS1_3genE2ELNS1_11target_archE906ELNS1_3gpuE6ELNS1_3repE0EEENS1_30default_config_static_selectorELNS0_4arch9wavefront6targetE0EEEvS12_
    .private_segment_fixed_size: 0
    .sgpr_count:     0
    .sgpr_spill_count: 0
    .symbol:         _ZN7rocprim17ROCPRIM_400000_NS6detail17trampoline_kernelINS0_13select_configILj256ELj13ELNS0_17block_load_methodE3ELS4_3ELS4_3ELNS0_20block_scan_algorithmE0ELj4294967295EEENS1_25partition_config_selectorILNS1_17partition_subalgoE4EjNS0_10empty_typeEbEEZZNS1_14partition_implILS8_4ELb0ES6_15HIP_vector_typeIjLj2EENS0_17counting_iteratorIjlEEPS9_SG_NS0_5tupleIJPjSI_NS0_16reverse_iteratorISI_EEEEENSH_IJSG_SG_SG_EEES9_SI_JZNS1_25segmented_radix_sort_implINS0_14default_configELb1EPKsPsPKlPlN2at6native12_GLOBAL__N_18offset_tEEE10hipError_tPvRmT1_PNSt15iterator_traitsIS12_E10value_typeET2_T3_PNS13_IS18_E10value_typeET4_jRbjT5_S1E_jjP12ihipStream_tbEUljE_ZNSN_ISO_Lb1ESQ_SR_ST_SU_SY_EESZ_S10_S11_S12_S16_S17_S18_S1B_S1C_jS1D_jS1E_S1E_jjS1G_bEUljE0_EEESZ_S10_S11_S18_S1C_S1E_T6_T7_T9_mT8_S1G_bDpT10_ENKUlT_T0_E_clISt17integral_constantIbLb0EES1T_IbLb1EEEEDaS1P_S1Q_EUlS1P_E_NS1_11comp_targetILNS1_3genE2ELNS1_11target_archE906ELNS1_3gpuE6ELNS1_3repE0EEENS1_30default_config_static_selectorELNS0_4arch9wavefront6targetE0EEEvS12_.kd
    .uniform_work_group_size: 1
    .uses_dynamic_stack: false
    .vgpr_count:     0
    .vgpr_spill_count: 0
    .wavefront_size: 32
    .workgroup_processor_mode: 1
  - .args:
      - .offset:         0
        .size:           184
        .value_kind:     by_value
    .group_segment_fixed_size: 13328
    .kernarg_segment_align: 8
    .kernarg_segment_size: 184
    .language:       OpenCL C
    .language_version:
      - 2
      - 0
    .max_flat_workgroup_size: 256
    .name:           _ZN7rocprim17ROCPRIM_400000_NS6detail17trampoline_kernelINS0_13select_configILj256ELj13ELNS0_17block_load_methodE3ELS4_3ELS4_3ELNS0_20block_scan_algorithmE0ELj4294967295EEENS1_25partition_config_selectorILNS1_17partition_subalgoE4EjNS0_10empty_typeEbEEZZNS1_14partition_implILS8_4ELb0ES6_15HIP_vector_typeIjLj2EENS0_17counting_iteratorIjlEEPS9_SG_NS0_5tupleIJPjSI_NS0_16reverse_iteratorISI_EEEEENSH_IJSG_SG_SG_EEES9_SI_JZNS1_25segmented_radix_sort_implINS0_14default_configELb1EPKsPsPKlPlN2at6native12_GLOBAL__N_18offset_tEEE10hipError_tPvRmT1_PNSt15iterator_traitsIS12_E10value_typeET2_T3_PNS13_IS18_E10value_typeET4_jRbjT5_S1E_jjP12ihipStream_tbEUljE_ZNSN_ISO_Lb1ESQ_SR_ST_SU_SY_EESZ_S10_S11_S12_S16_S17_S18_S1B_S1C_jS1D_jS1E_S1E_jjS1G_bEUljE0_EEESZ_S10_S11_S18_S1C_S1E_T6_T7_T9_mT8_S1G_bDpT10_ENKUlT_T0_E_clISt17integral_constantIbLb0EES1T_IbLb1EEEEDaS1P_S1Q_EUlS1P_E_NS1_11comp_targetILNS1_3genE10ELNS1_11target_archE1200ELNS1_3gpuE4ELNS1_3repE0EEENS1_30default_config_static_selectorELNS0_4arch9wavefront6targetE0EEEvS12_
    .private_segment_fixed_size: 0
    .sgpr_count:     57
    .sgpr_spill_count: 0
    .symbol:         _ZN7rocprim17ROCPRIM_400000_NS6detail17trampoline_kernelINS0_13select_configILj256ELj13ELNS0_17block_load_methodE3ELS4_3ELS4_3ELNS0_20block_scan_algorithmE0ELj4294967295EEENS1_25partition_config_selectorILNS1_17partition_subalgoE4EjNS0_10empty_typeEbEEZZNS1_14partition_implILS8_4ELb0ES6_15HIP_vector_typeIjLj2EENS0_17counting_iteratorIjlEEPS9_SG_NS0_5tupleIJPjSI_NS0_16reverse_iteratorISI_EEEEENSH_IJSG_SG_SG_EEES9_SI_JZNS1_25segmented_radix_sort_implINS0_14default_configELb1EPKsPsPKlPlN2at6native12_GLOBAL__N_18offset_tEEE10hipError_tPvRmT1_PNSt15iterator_traitsIS12_E10value_typeET2_T3_PNS13_IS18_E10value_typeET4_jRbjT5_S1E_jjP12ihipStream_tbEUljE_ZNSN_ISO_Lb1ESQ_SR_ST_SU_SY_EESZ_S10_S11_S12_S16_S17_S18_S1B_S1C_jS1D_jS1E_S1E_jjS1G_bEUljE0_EEESZ_S10_S11_S18_S1C_S1E_T6_T7_T9_mT8_S1G_bDpT10_ENKUlT_T0_E_clISt17integral_constantIbLb0EES1T_IbLb1EEEEDaS1P_S1Q_EUlS1P_E_NS1_11comp_targetILNS1_3genE10ELNS1_11target_archE1200ELNS1_3gpuE4ELNS1_3repE0EEENS1_30default_config_static_selectorELNS0_4arch9wavefront6targetE0EEEvS12_.kd
    .uniform_work_group_size: 1
    .uses_dynamic_stack: false
    .vgpr_count:     98
    .vgpr_spill_count: 0
    .wavefront_size: 32
    .workgroup_processor_mode: 1
  - .args:
      - .offset:         0
        .size:           184
        .value_kind:     by_value
    .group_segment_fixed_size: 0
    .kernarg_segment_align: 8
    .kernarg_segment_size: 184
    .language:       OpenCL C
    .language_version:
      - 2
      - 0
    .max_flat_workgroup_size: 256
    .name:           _ZN7rocprim17ROCPRIM_400000_NS6detail17trampoline_kernelINS0_13select_configILj256ELj13ELNS0_17block_load_methodE3ELS4_3ELS4_3ELNS0_20block_scan_algorithmE0ELj4294967295EEENS1_25partition_config_selectorILNS1_17partition_subalgoE4EjNS0_10empty_typeEbEEZZNS1_14partition_implILS8_4ELb0ES6_15HIP_vector_typeIjLj2EENS0_17counting_iteratorIjlEEPS9_SG_NS0_5tupleIJPjSI_NS0_16reverse_iteratorISI_EEEEENSH_IJSG_SG_SG_EEES9_SI_JZNS1_25segmented_radix_sort_implINS0_14default_configELb1EPKsPsPKlPlN2at6native12_GLOBAL__N_18offset_tEEE10hipError_tPvRmT1_PNSt15iterator_traitsIS12_E10value_typeET2_T3_PNS13_IS18_E10value_typeET4_jRbjT5_S1E_jjP12ihipStream_tbEUljE_ZNSN_ISO_Lb1ESQ_SR_ST_SU_SY_EESZ_S10_S11_S12_S16_S17_S18_S1B_S1C_jS1D_jS1E_S1E_jjS1G_bEUljE0_EEESZ_S10_S11_S18_S1C_S1E_T6_T7_T9_mT8_S1G_bDpT10_ENKUlT_T0_E_clISt17integral_constantIbLb0EES1T_IbLb1EEEEDaS1P_S1Q_EUlS1P_E_NS1_11comp_targetILNS1_3genE9ELNS1_11target_archE1100ELNS1_3gpuE3ELNS1_3repE0EEENS1_30default_config_static_selectorELNS0_4arch9wavefront6targetE0EEEvS12_
    .private_segment_fixed_size: 0
    .sgpr_count:     0
    .sgpr_spill_count: 0
    .symbol:         _ZN7rocprim17ROCPRIM_400000_NS6detail17trampoline_kernelINS0_13select_configILj256ELj13ELNS0_17block_load_methodE3ELS4_3ELS4_3ELNS0_20block_scan_algorithmE0ELj4294967295EEENS1_25partition_config_selectorILNS1_17partition_subalgoE4EjNS0_10empty_typeEbEEZZNS1_14partition_implILS8_4ELb0ES6_15HIP_vector_typeIjLj2EENS0_17counting_iteratorIjlEEPS9_SG_NS0_5tupleIJPjSI_NS0_16reverse_iteratorISI_EEEEENSH_IJSG_SG_SG_EEES9_SI_JZNS1_25segmented_radix_sort_implINS0_14default_configELb1EPKsPsPKlPlN2at6native12_GLOBAL__N_18offset_tEEE10hipError_tPvRmT1_PNSt15iterator_traitsIS12_E10value_typeET2_T3_PNS13_IS18_E10value_typeET4_jRbjT5_S1E_jjP12ihipStream_tbEUljE_ZNSN_ISO_Lb1ESQ_SR_ST_SU_SY_EESZ_S10_S11_S12_S16_S17_S18_S1B_S1C_jS1D_jS1E_S1E_jjS1G_bEUljE0_EEESZ_S10_S11_S18_S1C_S1E_T6_T7_T9_mT8_S1G_bDpT10_ENKUlT_T0_E_clISt17integral_constantIbLb0EES1T_IbLb1EEEEDaS1P_S1Q_EUlS1P_E_NS1_11comp_targetILNS1_3genE9ELNS1_11target_archE1100ELNS1_3gpuE3ELNS1_3repE0EEENS1_30default_config_static_selectorELNS0_4arch9wavefront6targetE0EEEvS12_.kd
    .uniform_work_group_size: 1
    .uses_dynamic_stack: false
    .vgpr_count:     0
    .vgpr_spill_count: 0
    .wavefront_size: 32
    .workgroup_processor_mode: 1
  - .args:
      - .offset:         0
        .size:           184
        .value_kind:     by_value
    .group_segment_fixed_size: 0
    .kernarg_segment_align: 8
    .kernarg_segment_size: 184
    .language:       OpenCL C
    .language_version:
      - 2
      - 0
    .max_flat_workgroup_size: 256
    .name:           _ZN7rocprim17ROCPRIM_400000_NS6detail17trampoline_kernelINS0_13select_configILj256ELj13ELNS0_17block_load_methodE3ELS4_3ELS4_3ELNS0_20block_scan_algorithmE0ELj4294967295EEENS1_25partition_config_selectorILNS1_17partition_subalgoE4EjNS0_10empty_typeEbEEZZNS1_14partition_implILS8_4ELb0ES6_15HIP_vector_typeIjLj2EENS0_17counting_iteratorIjlEEPS9_SG_NS0_5tupleIJPjSI_NS0_16reverse_iteratorISI_EEEEENSH_IJSG_SG_SG_EEES9_SI_JZNS1_25segmented_radix_sort_implINS0_14default_configELb1EPKsPsPKlPlN2at6native12_GLOBAL__N_18offset_tEEE10hipError_tPvRmT1_PNSt15iterator_traitsIS12_E10value_typeET2_T3_PNS13_IS18_E10value_typeET4_jRbjT5_S1E_jjP12ihipStream_tbEUljE_ZNSN_ISO_Lb1ESQ_SR_ST_SU_SY_EESZ_S10_S11_S12_S16_S17_S18_S1B_S1C_jS1D_jS1E_S1E_jjS1G_bEUljE0_EEESZ_S10_S11_S18_S1C_S1E_T6_T7_T9_mT8_S1G_bDpT10_ENKUlT_T0_E_clISt17integral_constantIbLb0EES1T_IbLb1EEEEDaS1P_S1Q_EUlS1P_E_NS1_11comp_targetILNS1_3genE8ELNS1_11target_archE1030ELNS1_3gpuE2ELNS1_3repE0EEENS1_30default_config_static_selectorELNS0_4arch9wavefront6targetE0EEEvS12_
    .private_segment_fixed_size: 0
    .sgpr_count:     0
    .sgpr_spill_count: 0
    .symbol:         _ZN7rocprim17ROCPRIM_400000_NS6detail17trampoline_kernelINS0_13select_configILj256ELj13ELNS0_17block_load_methodE3ELS4_3ELS4_3ELNS0_20block_scan_algorithmE0ELj4294967295EEENS1_25partition_config_selectorILNS1_17partition_subalgoE4EjNS0_10empty_typeEbEEZZNS1_14partition_implILS8_4ELb0ES6_15HIP_vector_typeIjLj2EENS0_17counting_iteratorIjlEEPS9_SG_NS0_5tupleIJPjSI_NS0_16reverse_iteratorISI_EEEEENSH_IJSG_SG_SG_EEES9_SI_JZNS1_25segmented_radix_sort_implINS0_14default_configELb1EPKsPsPKlPlN2at6native12_GLOBAL__N_18offset_tEEE10hipError_tPvRmT1_PNSt15iterator_traitsIS12_E10value_typeET2_T3_PNS13_IS18_E10value_typeET4_jRbjT5_S1E_jjP12ihipStream_tbEUljE_ZNSN_ISO_Lb1ESQ_SR_ST_SU_SY_EESZ_S10_S11_S12_S16_S17_S18_S1B_S1C_jS1D_jS1E_S1E_jjS1G_bEUljE0_EEESZ_S10_S11_S18_S1C_S1E_T6_T7_T9_mT8_S1G_bDpT10_ENKUlT_T0_E_clISt17integral_constantIbLb0EES1T_IbLb1EEEEDaS1P_S1Q_EUlS1P_E_NS1_11comp_targetILNS1_3genE8ELNS1_11target_archE1030ELNS1_3gpuE2ELNS1_3repE0EEENS1_30default_config_static_selectorELNS0_4arch9wavefront6targetE0EEEvS12_.kd
    .uniform_work_group_size: 1
    .uses_dynamic_stack: false
    .vgpr_count:     0
    .vgpr_spill_count: 0
    .wavefront_size: 32
    .workgroup_processor_mode: 1
  - .args:
      - .offset:         0
        .size:           144
        .value_kind:     by_value
    .group_segment_fixed_size: 0
    .kernarg_segment_align: 8
    .kernarg_segment_size: 144
    .language:       OpenCL C
    .language_version:
      - 2
      - 0
    .max_flat_workgroup_size: 256
    .name:           _ZN7rocprim17ROCPRIM_400000_NS6detail17trampoline_kernelINS0_13select_configILj256ELj13ELNS0_17block_load_methodE3ELS4_3ELS4_3ELNS0_20block_scan_algorithmE0ELj4294967295EEENS1_25partition_config_selectorILNS1_17partition_subalgoE3EjNS0_10empty_typeEbEEZZNS1_14partition_implILS8_3ELb0ES6_jNS0_17counting_iteratorIjlEEPS9_SE_NS0_5tupleIJPjSE_EEENSF_IJSE_SE_EEES9_SG_JZNS1_25segmented_radix_sort_implINS0_14default_configELb1EPKsPsPKlPlN2at6native12_GLOBAL__N_18offset_tEEE10hipError_tPvRmT1_PNSt15iterator_traitsISY_E10value_typeET2_T3_PNSZ_IS14_E10value_typeET4_jRbjT5_S1A_jjP12ihipStream_tbEUljE_EEESV_SW_SX_S14_S18_S1A_T6_T7_T9_mT8_S1C_bDpT10_ENKUlT_T0_E_clISt17integral_constantIbLb0EES1P_EEDaS1K_S1L_EUlS1K_E_NS1_11comp_targetILNS1_3genE0ELNS1_11target_archE4294967295ELNS1_3gpuE0ELNS1_3repE0EEENS1_30default_config_static_selectorELNS0_4arch9wavefront6targetE0EEEvSY_
    .private_segment_fixed_size: 0
    .sgpr_count:     0
    .sgpr_spill_count: 0
    .symbol:         _ZN7rocprim17ROCPRIM_400000_NS6detail17trampoline_kernelINS0_13select_configILj256ELj13ELNS0_17block_load_methodE3ELS4_3ELS4_3ELNS0_20block_scan_algorithmE0ELj4294967295EEENS1_25partition_config_selectorILNS1_17partition_subalgoE3EjNS0_10empty_typeEbEEZZNS1_14partition_implILS8_3ELb0ES6_jNS0_17counting_iteratorIjlEEPS9_SE_NS0_5tupleIJPjSE_EEENSF_IJSE_SE_EEES9_SG_JZNS1_25segmented_radix_sort_implINS0_14default_configELb1EPKsPsPKlPlN2at6native12_GLOBAL__N_18offset_tEEE10hipError_tPvRmT1_PNSt15iterator_traitsISY_E10value_typeET2_T3_PNSZ_IS14_E10value_typeET4_jRbjT5_S1A_jjP12ihipStream_tbEUljE_EEESV_SW_SX_S14_S18_S1A_T6_T7_T9_mT8_S1C_bDpT10_ENKUlT_T0_E_clISt17integral_constantIbLb0EES1P_EEDaS1K_S1L_EUlS1K_E_NS1_11comp_targetILNS1_3genE0ELNS1_11target_archE4294967295ELNS1_3gpuE0ELNS1_3repE0EEENS1_30default_config_static_selectorELNS0_4arch9wavefront6targetE0EEEvSY_.kd
    .uniform_work_group_size: 1
    .uses_dynamic_stack: false
    .vgpr_count:     0
    .vgpr_spill_count: 0
    .wavefront_size: 32
    .workgroup_processor_mode: 1
  - .args:
      - .offset:         0
        .size:           144
        .value_kind:     by_value
    .group_segment_fixed_size: 0
    .kernarg_segment_align: 8
    .kernarg_segment_size: 144
    .language:       OpenCL C
    .language_version:
      - 2
      - 0
    .max_flat_workgroup_size: 256
    .name:           _ZN7rocprim17ROCPRIM_400000_NS6detail17trampoline_kernelINS0_13select_configILj256ELj13ELNS0_17block_load_methodE3ELS4_3ELS4_3ELNS0_20block_scan_algorithmE0ELj4294967295EEENS1_25partition_config_selectorILNS1_17partition_subalgoE3EjNS0_10empty_typeEbEEZZNS1_14partition_implILS8_3ELb0ES6_jNS0_17counting_iteratorIjlEEPS9_SE_NS0_5tupleIJPjSE_EEENSF_IJSE_SE_EEES9_SG_JZNS1_25segmented_radix_sort_implINS0_14default_configELb1EPKsPsPKlPlN2at6native12_GLOBAL__N_18offset_tEEE10hipError_tPvRmT1_PNSt15iterator_traitsISY_E10value_typeET2_T3_PNSZ_IS14_E10value_typeET4_jRbjT5_S1A_jjP12ihipStream_tbEUljE_EEESV_SW_SX_S14_S18_S1A_T6_T7_T9_mT8_S1C_bDpT10_ENKUlT_T0_E_clISt17integral_constantIbLb0EES1P_EEDaS1K_S1L_EUlS1K_E_NS1_11comp_targetILNS1_3genE5ELNS1_11target_archE942ELNS1_3gpuE9ELNS1_3repE0EEENS1_30default_config_static_selectorELNS0_4arch9wavefront6targetE0EEEvSY_
    .private_segment_fixed_size: 0
    .sgpr_count:     0
    .sgpr_spill_count: 0
    .symbol:         _ZN7rocprim17ROCPRIM_400000_NS6detail17trampoline_kernelINS0_13select_configILj256ELj13ELNS0_17block_load_methodE3ELS4_3ELS4_3ELNS0_20block_scan_algorithmE0ELj4294967295EEENS1_25partition_config_selectorILNS1_17partition_subalgoE3EjNS0_10empty_typeEbEEZZNS1_14partition_implILS8_3ELb0ES6_jNS0_17counting_iteratorIjlEEPS9_SE_NS0_5tupleIJPjSE_EEENSF_IJSE_SE_EEES9_SG_JZNS1_25segmented_radix_sort_implINS0_14default_configELb1EPKsPsPKlPlN2at6native12_GLOBAL__N_18offset_tEEE10hipError_tPvRmT1_PNSt15iterator_traitsISY_E10value_typeET2_T3_PNSZ_IS14_E10value_typeET4_jRbjT5_S1A_jjP12ihipStream_tbEUljE_EEESV_SW_SX_S14_S18_S1A_T6_T7_T9_mT8_S1C_bDpT10_ENKUlT_T0_E_clISt17integral_constantIbLb0EES1P_EEDaS1K_S1L_EUlS1K_E_NS1_11comp_targetILNS1_3genE5ELNS1_11target_archE942ELNS1_3gpuE9ELNS1_3repE0EEENS1_30default_config_static_selectorELNS0_4arch9wavefront6targetE0EEEvSY_.kd
    .uniform_work_group_size: 1
    .uses_dynamic_stack: false
    .vgpr_count:     0
    .vgpr_spill_count: 0
    .wavefront_size: 32
    .workgroup_processor_mode: 1
  - .args:
      - .offset:         0
        .size:           144
        .value_kind:     by_value
    .group_segment_fixed_size: 0
    .kernarg_segment_align: 8
    .kernarg_segment_size: 144
    .language:       OpenCL C
    .language_version:
      - 2
      - 0
    .max_flat_workgroup_size: 256
    .name:           _ZN7rocprim17ROCPRIM_400000_NS6detail17trampoline_kernelINS0_13select_configILj256ELj13ELNS0_17block_load_methodE3ELS4_3ELS4_3ELNS0_20block_scan_algorithmE0ELj4294967295EEENS1_25partition_config_selectorILNS1_17partition_subalgoE3EjNS0_10empty_typeEbEEZZNS1_14partition_implILS8_3ELb0ES6_jNS0_17counting_iteratorIjlEEPS9_SE_NS0_5tupleIJPjSE_EEENSF_IJSE_SE_EEES9_SG_JZNS1_25segmented_radix_sort_implINS0_14default_configELb1EPKsPsPKlPlN2at6native12_GLOBAL__N_18offset_tEEE10hipError_tPvRmT1_PNSt15iterator_traitsISY_E10value_typeET2_T3_PNSZ_IS14_E10value_typeET4_jRbjT5_S1A_jjP12ihipStream_tbEUljE_EEESV_SW_SX_S14_S18_S1A_T6_T7_T9_mT8_S1C_bDpT10_ENKUlT_T0_E_clISt17integral_constantIbLb0EES1P_EEDaS1K_S1L_EUlS1K_E_NS1_11comp_targetILNS1_3genE4ELNS1_11target_archE910ELNS1_3gpuE8ELNS1_3repE0EEENS1_30default_config_static_selectorELNS0_4arch9wavefront6targetE0EEEvSY_
    .private_segment_fixed_size: 0
    .sgpr_count:     0
    .sgpr_spill_count: 0
    .symbol:         _ZN7rocprim17ROCPRIM_400000_NS6detail17trampoline_kernelINS0_13select_configILj256ELj13ELNS0_17block_load_methodE3ELS4_3ELS4_3ELNS0_20block_scan_algorithmE0ELj4294967295EEENS1_25partition_config_selectorILNS1_17partition_subalgoE3EjNS0_10empty_typeEbEEZZNS1_14partition_implILS8_3ELb0ES6_jNS0_17counting_iteratorIjlEEPS9_SE_NS0_5tupleIJPjSE_EEENSF_IJSE_SE_EEES9_SG_JZNS1_25segmented_radix_sort_implINS0_14default_configELb1EPKsPsPKlPlN2at6native12_GLOBAL__N_18offset_tEEE10hipError_tPvRmT1_PNSt15iterator_traitsISY_E10value_typeET2_T3_PNSZ_IS14_E10value_typeET4_jRbjT5_S1A_jjP12ihipStream_tbEUljE_EEESV_SW_SX_S14_S18_S1A_T6_T7_T9_mT8_S1C_bDpT10_ENKUlT_T0_E_clISt17integral_constantIbLb0EES1P_EEDaS1K_S1L_EUlS1K_E_NS1_11comp_targetILNS1_3genE4ELNS1_11target_archE910ELNS1_3gpuE8ELNS1_3repE0EEENS1_30default_config_static_selectorELNS0_4arch9wavefront6targetE0EEEvSY_.kd
    .uniform_work_group_size: 1
    .uses_dynamic_stack: false
    .vgpr_count:     0
    .vgpr_spill_count: 0
    .wavefront_size: 32
    .workgroup_processor_mode: 1
  - .args:
      - .offset:         0
        .size:           144
        .value_kind:     by_value
    .group_segment_fixed_size: 0
    .kernarg_segment_align: 8
    .kernarg_segment_size: 144
    .language:       OpenCL C
    .language_version:
      - 2
      - 0
    .max_flat_workgroup_size: 256
    .name:           _ZN7rocprim17ROCPRIM_400000_NS6detail17trampoline_kernelINS0_13select_configILj256ELj13ELNS0_17block_load_methodE3ELS4_3ELS4_3ELNS0_20block_scan_algorithmE0ELj4294967295EEENS1_25partition_config_selectorILNS1_17partition_subalgoE3EjNS0_10empty_typeEbEEZZNS1_14partition_implILS8_3ELb0ES6_jNS0_17counting_iteratorIjlEEPS9_SE_NS0_5tupleIJPjSE_EEENSF_IJSE_SE_EEES9_SG_JZNS1_25segmented_radix_sort_implINS0_14default_configELb1EPKsPsPKlPlN2at6native12_GLOBAL__N_18offset_tEEE10hipError_tPvRmT1_PNSt15iterator_traitsISY_E10value_typeET2_T3_PNSZ_IS14_E10value_typeET4_jRbjT5_S1A_jjP12ihipStream_tbEUljE_EEESV_SW_SX_S14_S18_S1A_T6_T7_T9_mT8_S1C_bDpT10_ENKUlT_T0_E_clISt17integral_constantIbLb0EES1P_EEDaS1K_S1L_EUlS1K_E_NS1_11comp_targetILNS1_3genE3ELNS1_11target_archE908ELNS1_3gpuE7ELNS1_3repE0EEENS1_30default_config_static_selectorELNS0_4arch9wavefront6targetE0EEEvSY_
    .private_segment_fixed_size: 0
    .sgpr_count:     0
    .sgpr_spill_count: 0
    .symbol:         _ZN7rocprim17ROCPRIM_400000_NS6detail17trampoline_kernelINS0_13select_configILj256ELj13ELNS0_17block_load_methodE3ELS4_3ELS4_3ELNS0_20block_scan_algorithmE0ELj4294967295EEENS1_25partition_config_selectorILNS1_17partition_subalgoE3EjNS0_10empty_typeEbEEZZNS1_14partition_implILS8_3ELb0ES6_jNS0_17counting_iteratorIjlEEPS9_SE_NS0_5tupleIJPjSE_EEENSF_IJSE_SE_EEES9_SG_JZNS1_25segmented_radix_sort_implINS0_14default_configELb1EPKsPsPKlPlN2at6native12_GLOBAL__N_18offset_tEEE10hipError_tPvRmT1_PNSt15iterator_traitsISY_E10value_typeET2_T3_PNSZ_IS14_E10value_typeET4_jRbjT5_S1A_jjP12ihipStream_tbEUljE_EEESV_SW_SX_S14_S18_S1A_T6_T7_T9_mT8_S1C_bDpT10_ENKUlT_T0_E_clISt17integral_constantIbLb0EES1P_EEDaS1K_S1L_EUlS1K_E_NS1_11comp_targetILNS1_3genE3ELNS1_11target_archE908ELNS1_3gpuE7ELNS1_3repE0EEENS1_30default_config_static_selectorELNS0_4arch9wavefront6targetE0EEEvSY_.kd
    .uniform_work_group_size: 1
    .uses_dynamic_stack: false
    .vgpr_count:     0
    .vgpr_spill_count: 0
    .wavefront_size: 32
    .workgroup_processor_mode: 1
  - .args:
      - .offset:         0
        .size:           144
        .value_kind:     by_value
    .group_segment_fixed_size: 0
    .kernarg_segment_align: 8
    .kernarg_segment_size: 144
    .language:       OpenCL C
    .language_version:
      - 2
      - 0
    .max_flat_workgroup_size: 256
    .name:           _ZN7rocprim17ROCPRIM_400000_NS6detail17trampoline_kernelINS0_13select_configILj256ELj13ELNS0_17block_load_methodE3ELS4_3ELS4_3ELNS0_20block_scan_algorithmE0ELj4294967295EEENS1_25partition_config_selectorILNS1_17partition_subalgoE3EjNS0_10empty_typeEbEEZZNS1_14partition_implILS8_3ELb0ES6_jNS0_17counting_iteratorIjlEEPS9_SE_NS0_5tupleIJPjSE_EEENSF_IJSE_SE_EEES9_SG_JZNS1_25segmented_radix_sort_implINS0_14default_configELb1EPKsPsPKlPlN2at6native12_GLOBAL__N_18offset_tEEE10hipError_tPvRmT1_PNSt15iterator_traitsISY_E10value_typeET2_T3_PNSZ_IS14_E10value_typeET4_jRbjT5_S1A_jjP12ihipStream_tbEUljE_EEESV_SW_SX_S14_S18_S1A_T6_T7_T9_mT8_S1C_bDpT10_ENKUlT_T0_E_clISt17integral_constantIbLb0EES1P_EEDaS1K_S1L_EUlS1K_E_NS1_11comp_targetILNS1_3genE2ELNS1_11target_archE906ELNS1_3gpuE6ELNS1_3repE0EEENS1_30default_config_static_selectorELNS0_4arch9wavefront6targetE0EEEvSY_
    .private_segment_fixed_size: 0
    .sgpr_count:     0
    .sgpr_spill_count: 0
    .symbol:         _ZN7rocprim17ROCPRIM_400000_NS6detail17trampoline_kernelINS0_13select_configILj256ELj13ELNS0_17block_load_methodE3ELS4_3ELS4_3ELNS0_20block_scan_algorithmE0ELj4294967295EEENS1_25partition_config_selectorILNS1_17partition_subalgoE3EjNS0_10empty_typeEbEEZZNS1_14partition_implILS8_3ELb0ES6_jNS0_17counting_iteratorIjlEEPS9_SE_NS0_5tupleIJPjSE_EEENSF_IJSE_SE_EEES9_SG_JZNS1_25segmented_radix_sort_implINS0_14default_configELb1EPKsPsPKlPlN2at6native12_GLOBAL__N_18offset_tEEE10hipError_tPvRmT1_PNSt15iterator_traitsISY_E10value_typeET2_T3_PNSZ_IS14_E10value_typeET4_jRbjT5_S1A_jjP12ihipStream_tbEUljE_EEESV_SW_SX_S14_S18_S1A_T6_T7_T9_mT8_S1C_bDpT10_ENKUlT_T0_E_clISt17integral_constantIbLb0EES1P_EEDaS1K_S1L_EUlS1K_E_NS1_11comp_targetILNS1_3genE2ELNS1_11target_archE906ELNS1_3gpuE6ELNS1_3repE0EEENS1_30default_config_static_selectorELNS0_4arch9wavefront6targetE0EEEvSY_.kd
    .uniform_work_group_size: 1
    .uses_dynamic_stack: false
    .vgpr_count:     0
    .vgpr_spill_count: 0
    .wavefront_size: 32
    .workgroup_processor_mode: 1
  - .args:
      - .offset:         0
        .size:           144
        .value_kind:     by_value
    .group_segment_fixed_size: 13320
    .kernarg_segment_align: 8
    .kernarg_segment_size: 144
    .language:       OpenCL C
    .language_version:
      - 2
      - 0
    .max_flat_workgroup_size: 256
    .name:           _ZN7rocprim17ROCPRIM_400000_NS6detail17trampoline_kernelINS0_13select_configILj256ELj13ELNS0_17block_load_methodE3ELS4_3ELS4_3ELNS0_20block_scan_algorithmE0ELj4294967295EEENS1_25partition_config_selectorILNS1_17partition_subalgoE3EjNS0_10empty_typeEbEEZZNS1_14partition_implILS8_3ELb0ES6_jNS0_17counting_iteratorIjlEEPS9_SE_NS0_5tupleIJPjSE_EEENSF_IJSE_SE_EEES9_SG_JZNS1_25segmented_radix_sort_implINS0_14default_configELb1EPKsPsPKlPlN2at6native12_GLOBAL__N_18offset_tEEE10hipError_tPvRmT1_PNSt15iterator_traitsISY_E10value_typeET2_T3_PNSZ_IS14_E10value_typeET4_jRbjT5_S1A_jjP12ihipStream_tbEUljE_EEESV_SW_SX_S14_S18_S1A_T6_T7_T9_mT8_S1C_bDpT10_ENKUlT_T0_E_clISt17integral_constantIbLb0EES1P_EEDaS1K_S1L_EUlS1K_E_NS1_11comp_targetILNS1_3genE10ELNS1_11target_archE1200ELNS1_3gpuE4ELNS1_3repE0EEENS1_30default_config_static_selectorELNS0_4arch9wavefront6targetE0EEEvSY_
    .private_segment_fixed_size: 0
    .sgpr_count:     28
    .sgpr_spill_count: 0
    .symbol:         _ZN7rocprim17ROCPRIM_400000_NS6detail17trampoline_kernelINS0_13select_configILj256ELj13ELNS0_17block_load_methodE3ELS4_3ELS4_3ELNS0_20block_scan_algorithmE0ELj4294967295EEENS1_25partition_config_selectorILNS1_17partition_subalgoE3EjNS0_10empty_typeEbEEZZNS1_14partition_implILS8_3ELb0ES6_jNS0_17counting_iteratorIjlEEPS9_SE_NS0_5tupleIJPjSE_EEENSF_IJSE_SE_EEES9_SG_JZNS1_25segmented_radix_sort_implINS0_14default_configELb1EPKsPsPKlPlN2at6native12_GLOBAL__N_18offset_tEEE10hipError_tPvRmT1_PNSt15iterator_traitsISY_E10value_typeET2_T3_PNSZ_IS14_E10value_typeET4_jRbjT5_S1A_jjP12ihipStream_tbEUljE_EEESV_SW_SX_S14_S18_S1A_T6_T7_T9_mT8_S1C_bDpT10_ENKUlT_T0_E_clISt17integral_constantIbLb0EES1P_EEDaS1K_S1L_EUlS1K_E_NS1_11comp_targetILNS1_3genE10ELNS1_11target_archE1200ELNS1_3gpuE4ELNS1_3repE0EEENS1_30default_config_static_selectorELNS0_4arch9wavefront6targetE0EEEvSY_.kd
    .uniform_work_group_size: 1
    .uses_dynamic_stack: false
    .vgpr_count:     69
    .vgpr_spill_count: 0
    .wavefront_size: 32
    .workgroup_processor_mode: 1
  - .args:
      - .offset:         0
        .size:           144
        .value_kind:     by_value
    .group_segment_fixed_size: 0
    .kernarg_segment_align: 8
    .kernarg_segment_size: 144
    .language:       OpenCL C
    .language_version:
      - 2
      - 0
    .max_flat_workgroup_size: 256
    .name:           _ZN7rocprim17ROCPRIM_400000_NS6detail17trampoline_kernelINS0_13select_configILj256ELj13ELNS0_17block_load_methodE3ELS4_3ELS4_3ELNS0_20block_scan_algorithmE0ELj4294967295EEENS1_25partition_config_selectorILNS1_17partition_subalgoE3EjNS0_10empty_typeEbEEZZNS1_14partition_implILS8_3ELb0ES6_jNS0_17counting_iteratorIjlEEPS9_SE_NS0_5tupleIJPjSE_EEENSF_IJSE_SE_EEES9_SG_JZNS1_25segmented_radix_sort_implINS0_14default_configELb1EPKsPsPKlPlN2at6native12_GLOBAL__N_18offset_tEEE10hipError_tPvRmT1_PNSt15iterator_traitsISY_E10value_typeET2_T3_PNSZ_IS14_E10value_typeET4_jRbjT5_S1A_jjP12ihipStream_tbEUljE_EEESV_SW_SX_S14_S18_S1A_T6_T7_T9_mT8_S1C_bDpT10_ENKUlT_T0_E_clISt17integral_constantIbLb0EES1P_EEDaS1K_S1L_EUlS1K_E_NS1_11comp_targetILNS1_3genE9ELNS1_11target_archE1100ELNS1_3gpuE3ELNS1_3repE0EEENS1_30default_config_static_selectorELNS0_4arch9wavefront6targetE0EEEvSY_
    .private_segment_fixed_size: 0
    .sgpr_count:     0
    .sgpr_spill_count: 0
    .symbol:         _ZN7rocprim17ROCPRIM_400000_NS6detail17trampoline_kernelINS0_13select_configILj256ELj13ELNS0_17block_load_methodE3ELS4_3ELS4_3ELNS0_20block_scan_algorithmE0ELj4294967295EEENS1_25partition_config_selectorILNS1_17partition_subalgoE3EjNS0_10empty_typeEbEEZZNS1_14partition_implILS8_3ELb0ES6_jNS0_17counting_iteratorIjlEEPS9_SE_NS0_5tupleIJPjSE_EEENSF_IJSE_SE_EEES9_SG_JZNS1_25segmented_radix_sort_implINS0_14default_configELb1EPKsPsPKlPlN2at6native12_GLOBAL__N_18offset_tEEE10hipError_tPvRmT1_PNSt15iterator_traitsISY_E10value_typeET2_T3_PNSZ_IS14_E10value_typeET4_jRbjT5_S1A_jjP12ihipStream_tbEUljE_EEESV_SW_SX_S14_S18_S1A_T6_T7_T9_mT8_S1C_bDpT10_ENKUlT_T0_E_clISt17integral_constantIbLb0EES1P_EEDaS1K_S1L_EUlS1K_E_NS1_11comp_targetILNS1_3genE9ELNS1_11target_archE1100ELNS1_3gpuE3ELNS1_3repE0EEENS1_30default_config_static_selectorELNS0_4arch9wavefront6targetE0EEEvSY_.kd
    .uniform_work_group_size: 1
    .uses_dynamic_stack: false
    .vgpr_count:     0
    .vgpr_spill_count: 0
    .wavefront_size: 32
    .workgroup_processor_mode: 1
  - .args:
      - .offset:         0
        .size:           144
        .value_kind:     by_value
    .group_segment_fixed_size: 0
    .kernarg_segment_align: 8
    .kernarg_segment_size: 144
    .language:       OpenCL C
    .language_version:
      - 2
      - 0
    .max_flat_workgroup_size: 256
    .name:           _ZN7rocprim17ROCPRIM_400000_NS6detail17trampoline_kernelINS0_13select_configILj256ELj13ELNS0_17block_load_methodE3ELS4_3ELS4_3ELNS0_20block_scan_algorithmE0ELj4294967295EEENS1_25partition_config_selectorILNS1_17partition_subalgoE3EjNS0_10empty_typeEbEEZZNS1_14partition_implILS8_3ELb0ES6_jNS0_17counting_iteratorIjlEEPS9_SE_NS0_5tupleIJPjSE_EEENSF_IJSE_SE_EEES9_SG_JZNS1_25segmented_radix_sort_implINS0_14default_configELb1EPKsPsPKlPlN2at6native12_GLOBAL__N_18offset_tEEE10hipError_tPvRmT1_PNSt15iterator_traitsISY_E10value_typeET2_T3_PNSZ_IS14_E10value_typeET4_jRbjT5_S1A_jjP12ihipStream_tbEUljE_EEESV_SW_SX_S14_S18_S1A_T6_T7_T9_mT8_S1C_bDpT10_ENKUlT_T0_E_clISt17integral_constantIbLb0EES1P_EEDaS1K_S1L_EUlS1K_E_NS1_11comp_targetILNS1_3genE8ELNS1_11target_archE1030ELNS1_3gpuE2ELNS1_3repE0EEENS1_30default_config_static_selectorELNS0_4arch9wavefront6targetE0EEEvSY_
    .private_segment_fixed_size: 0
    .sgpr_count:     0
    .sgpr_spill_count: 0
    .symbol:         _ZN7rocprim17ROCPRIM_400000_NS6detail17trampoline_kernelINS0_13select_configILj256ELj13ELNS0_17block_load_methodE3ELS4_3ELS4_3ELNS0_20block_scan_algorithmE0ELj4294967295EEENS1_25partition_config_selectorILNS1_17partition_subalgoE3EjNS0_10empty_typeEbEEZZNS1_14partition_implILS8_3ELb0ES6_jNS0_17counting_iteratorIjlEEPS9_SE_NS0_5tupleIJPjSE_EEENSF_IJSE_SE_EEES9_SG_JZNS1_25segmented_radix_sort_implINS0_14default_configELb1EPKsPsPKlPlN2at6native12_GLOBAL__N_18offset_tEEE10hipError_tPvRmT1_PNSt15iterator_traitsISY_E10value_typeET2_T3_PNSZ_IS14_E10value_typeET4_jRbjT5_S1A_jjP12ihipStream_tbEUljE_EEESV_SW_SX_S14_S18_S1A_T6_T7_T9_mT8_S1C_bDpT10_ENKUlT_T0_E_clISt17integral_constantIbLb0EES1P_EEDaS1K_S1L_EUlS1K_E_NS1_11comp_targetILNS1_3genE8ELNS1_11target_archE1030ELNS1_3gpuE2ELNS1_3repE0EEENS1_30default_config_static_selectorELNS0_4arch9wavefront6targetE0EEEvSY_.kd
    .uniform_work_group_size: 1
    .uses_dynamic_stack: false
    .vgpr_count:     0
    .vgpr_spill_count: 0
    .wavefront_size: 32
    .workgroup_processor_mode: 1
  - .args:
      - .offset:         0
        .size:           152
        .value_kind:     by_value
    .group_segment_fixed_size: 0
    .kernarg_segment_align: 8
    .kernarg_segment_size: 152
    .language:       OpenCL C
    .language_version:
      - 2
      - 0
    .max_flat_workgroup_size: 256
    .name:           _ZN7rocprim17ROCPRIM_400000_NS6detail17trampoline_kernelINS0_13select_configILj256ELj13ELNS0_17block_load_methodE3ELS4_3ELS4_3ELNS0_20block_scan_algorithmE0ELj4294967295EEENS1_25partition_config_selectorILNS1_17partition_subalgoE3EjNS0_10empty_typeEbEEZZNS1_14partition_implILS8_3ELb0ES6_jNS0_17counting_iteratorIjlEEPS9_SE_NS0_5tupleIJPjSE_EEENSF_IJSE_SE_EEES9_SG_JZNS1_25segmented_radix_sort_implINS0_14default_configELb1EPKsPsPKlPlN2at6native12_GLOBAL__N_18offset_tEEE10hipError_tPvRmT1_PNSt15iterator_traitsISY_E10value_typeET2_T3_PNSZ_IS14_E10value_typeET4_jRbjT5_S1A_jjP12ihipStream_tbEUljE_EEESV_SW_SX_S14_S18_S1A_T6_T7_T9_mT8_S1C_bDpT10_ENKUlT_T0_E_clISt17integral_constantIbLb1EES1P_EEDaS1K_S1L_EUlS1K_E_NS1_11comp_targetILNS1_3genE0ELNS1_11target_archE4294967295ELNS1_3gpuE0ELNS1_3repE0EEENS1_30default_config_static_selectorELNS0_4arch9wavefront6targetE0EEEvSY_
    .private_segment_fixed_size: 0
    .sgpr_count:     0
    .sgpr_spill_count: 0
    .symbol:         _ZN7rocprim17ROCPRIM_400000_NS6detail17trampoline_kernelINS0_13select_configILj256ELj13ELNS0_17block_load_methodE3ELS4_3ELS4_3ELNS0_20block_scan_algorithmE0ELj4294967295EEENS1_25partition_config_selectorILNS1_17partition_subalgoE3EjNS0_10empty_typeEbEEZZNS1_14partition_implILS8_3ELb0ES6_jNS0_17counting_iteratorIjlEEPS9_SE_NS0_5tupleIJPjSE_EEENSF_IJSE_SE_EEES9_SG_JZNS1_25segmented_radix_sort_implINS0_14default_configELb1EPKsPsPKlPlN2at6native12_GLOBAL__N_18offset_tEEE10hipError_tPvRmT1_PNSt15iterator_traitsISY_E10value_typeET2_T3_PNSZ_IS14_E10value_typeET4_jRbjT5_S1A_jjP12ihipStream_tbEUljE_EEESV_SW_SX_S14_S18_S1A_T6_T7_T9_mT8_S1C_bDpT10_ENKUlT_T0_E_clISt17integral_constantIbLb1EES1P_EEDaS1K_S1L_EUlS1K_E_NS1_11comp_targetILNS1_3genE0ELNS1_11target_archE4294967295ELNS1_3gpuE0ELNS1_3repE0EEENS1_30default_config_static_selectorELNS0_4arch9wavefront6targetE0EEEvSY_.kd
    .uniform_work_group_size: 1
    .uses_dynamic_stack: false
    .vgpr_count:     0
    .vgpr_spill_count: 0
    .wavefront_size: 32
    .workgroup_processor_mode: 1
  - .args:
      - .offset:         0
        .size:           152
        .value_kind:     by_value
    .group_segment_fixed_size: 0
    .kernarg_segment_align: 8
    .kernarg_segment_size: 152
    .language:       OpenCL C
    .language_version:
      - 2
      - 0
    .max_flat_workgroup_size: 256
    .name:           _ZN7rocprim17ROCPRIM_400000_NS6detail17trampoline_kernelINS0_13select_configILj256ELj13ELNS0_17block_load_methodE3ELS4_3ELS4_3ELNS0_20block_scan_algorithmE0ELj4294967295EEENS1_25partition_config_selectorILNS1_17partition_subalgoE3EjNS0_10empty_typeEbEEZZNS1_14partition_implILS8_3ELb0ES6_jNS0_17counting_iteratorIjlEEPS9_SE_NS0_5tupleIJPjSE_EEENSF_IJSE_SE_EEES9_SG_JZNS1_25segmented_radix_sort_implINS0_14default_configELb1EPKsPsPKlPlN2at6native12_GLOBAL__N_18offset_tEEE10hipError_tPvRmT1_PNSt15iterator_traitsISY_E10value_typeET2_T3_PNSZ_IS14_E10value_typeET4_jRbjT5_S1A_jjP12ihipStream_tbEUljE_EEESV_SW_SX_S14_S18_S1A_T6_T7_T9_mT8_S1C_bDpT10_ENKUlT_T0_E_clISt17integral_constantIbLb1EES1P_EEDaS1K_S1L_EUlS1K_E_NS1_11comp_targetILNS1_3genE5ELNS1_11target_archE942ELNS1_3gpuE9ELNS1_3repE0EEENS1_30default_config_static_selectorELNS0_4arch9wavefront6targetE0EEEvSY_
    .private_segment_fixed_size: 0
    .sgpr_count:     0
    .sgpr_spill_count: 0
    .symbol:         _ZN7rocprim17ROCPRIM_400000_NS6detail17trampoline_kernelINS0_13select_configILj256ELj13ELNS0_17block_load_methodE3ELS4_3ELS4_3ELNS0_20block_scan_algorithmE0ELj4294967295EEENS1_25partition_config_selectorILNS1_17partition_subalgoE3EjNS0_10empty_typeEbEEZZNS1_14partition_implILS8_3ELb0ES6_jNS0_17counting_iteratorIjlEEPS9_SE_NS0_5tupleIJPjSE_EEENSF_IJSE_SE_EEES9_SG_JZNS1_25segmented_radix_sort_implINS0_14default_configELb1EPKsPsPKlPlN2at6native12_GLOBAL__N_18offset_tEEE10hipError_tPvRmT1_PNSt15iterator_traitsISY_E10value_typeET2_T3_PNSZ_IS14_E10value_typeET4_jRbjT5_S1A_jjP12ihipStream_tbEUljE_EEESV_SW_SX_S14_S18_S1A_T6_T7_T9_mT8_S1C_bDpT10_ENKUlT_T0_E_clISt17integral_constantIbLb1EES1P_EEDaS1K_S1L_EUlS1K_E_NS1_11comp_targetILNS1_3genE5ELNS1_11target_archE942ELNS1_3gpuE9ELNS1_3repE0EEENS1_30default_config_static_selectorELNS0_4arch9wavefront6targetE0EEEvSY_.kd
    .uniform_work_group_size: 1
    .uses_dynamic_stack: false
    .vgpr_count:     0
    .vgpr_spill_count: 0
    .wavefront_size: 32
    .workgroup_processor_mode: 1
  - .args:
      - .offset:         0
        .size:           152
        .value_kind:     by_value
    .group_segment_fixed_size: 0
    .kernarg_segment_align: 8
    .kernarg_segment_size: 152
    .language:       OpenCL C
    .language_version:
      - 2
      - 0
    .max_flat_workgroup_size: 256
    .name:           _ZN7rocprim17ROCPRIM_400000_NS6detail17trampoline_kernelINS0_13select_configILj256ELj13ELNS0_17block_load_methodE3ELS4_3ELS4_3ELNS0_20block_scan_algorithmE0ELj4294967295EEENS1_25partition_config_selectorILNS1_17partition_subalgoE3EjNS0_10empty_typeEbEEZZNS1_14partition_implILS8_3ELb0ES6_jNS0_17counting_iteratorIjlEEPS9_SE_NS0_5tupleIJPjSE_EEENSF_IJSE_SE_EEES9_SG_JZNS1_25segmented_radix_sort_implINS0_14default_configELb1EPKsPsPKlPlN2at6native12_GLOBAL__N_18offset_tEEE10hipError_tPvRmT1_PNSt15iterator_traitsISY_E10value_typeET2_T3_PNSZ_IS14_E10value_typeET4_jRbjT5_S1A_jjP12ihipStream_tbEUljE_EEESV_SW_SX_S14_S18_S1A_T6_T7_T9_mT8_S1C_bDpT10_ENKUlT_T0_E_clISt17integral_constantIbLb1EES1P_EEDaS1K_S1L_EUlS1K_E_NS1_11comp_targetILNS1_3genE4ELNS1_11target_archE910ELNS1_3gpuE8ELNS1_3repE0EEENS1_30default_config_static_selectorELNS0_4arch9wavefront6targetE0EEEvSY_
    .private_segment_fixed_size: 0
    .sgpr_count:     0
    .sgpr_spill_count: 0
    .symbol:         _ZN7rocprim17ROCPRIM_400000_NS6detail17trampoline_kernelINS0_13select_configILj256ELj13ELNS0_17block_load_methodE3ELS4_3ELS4_3ELNS0_20block_scan_algorithmE0ELj4294967295EEENS1_25partition_config_selectorILNS1_17partition_subalgoE3EjNS0_10empty_typeEbEEZZNS1_14partition_implILS8_3ELb0ES6_jNS0_17counting_iteratorIjlEEPS9_SE_NS0_5tupleIJPjSE_EEENSF_IJSE_SE_EEES9_SG_JZNS1_25segmented_radix_sort_implINS0_14default_configELb1EPKsPsPKlPlN2at6native12_GLOBAL__N_18offset_tEEE10hipError_tPvRmT1_PNSt15iterator_traitsISY_E10value_typeET2_T3_PNSZ_IS14_E10value_typeET4_jRbjT5_S1A_jjP12ihipStream_tbEUljE_EEESV_SW_SX_S14_S18_S1A_T6_T7_T9_mT8_S1C_bDpT10_ENKUlT_T0_E_clISt17integral_constantIbLb1EES1P_EEDaS1K_S1L_EUlS1K_E_NS1_11comp_targetILNS1_3genE4ELNS1_11target_archE910ELNS1_3gpuE8ELNS1_3repE0EEENS1_30default_config_static_selectorELNS0_4arch9wavefront6targetE0EEEvSY_.kd
    .uniform_work_group_size: 1
    .uses_dynamic_stack: false
    .vgpr_count:     0
    .vgpr_spill_count: 0
    .wavefront_size: 32
    .workgroup_processor_mode: 1
  - .args:
      - .offset:         0
        .size:           152
        .value_kind:     by_value
    .group_segment_fixed_size: 0
    .kernarg_segment_align: 8
    .kernarg_segment_size: 152
    .language:       OpenCL C
    .language_version:
      - 2
      - 0
    .max_flat_workgroup_size: 256
    .name:           _ZN7rocprim17ROCPRIM_400000_NS6detail17trampoline_kernelINS0_13select_configILj256ELj13ELNS0_17block_load_methodE3ELS4_3ELS4_3ELNS0_20block_scan_algorithmE0ELj4294967295EEENS1_25partition_config_selectorILNS1_17partition_subalgoE3EjNS0_10empty_typeEbEEZZNS1_14partition_implILS8_3ELb0ES6_jNS0_17counting_iteratorIjlEEPS9_SE_NS0_5tupleIJPjSE_EEENSF_IJSE_SE_EEES9_SG_JZNS1_25segmented_radix_sort_implINS0_14default_configELb1EPKsPsPKlPlN2at6native12_GLOBAL__N_18offset_tEEE10hipError_tPvRmT1_PNSt15iterator_traitsISY_E10value_typeET2_T3_PNSZ_IS14_E10value_typeET4_jRbjT5_S1A_jjP12ihipStream_tbEUljE_EEESV_SW_SX_S14_S18_S1A_T6_T7_T9_mT8_S1C_bDpT10_ENKUlT_T0_E_clISt17integral_constantIbLb1EES1P_EEDaS1K_S1L_EUlS1K_E_NS1_11comp_targetILNS1_3genE3ELNS1_11target_archE908ELNS1_3gpuE7ELNS1_3repE0EEENS1_30default_config_static_selectorELNS0_4arch9wavefront6targetE0EEEvSY_
    .private_segment_fixed_size: 0
    .sgpr_count:     0
    .sgpr_spill_count: 0
    .symbol:         _ZN7rocprim17ROCPRIM_400000_NS6detail17trampoline_kernelINS0_13select_configILj256ELj13ELNS0_17block_load_methodE3ELS4_3ELS4_3ELNS0_20block_scan_algorithmE0ELj4294967295EEENS1_25partition_config_selectorILNS1_17partition_subalgoE3EjNS0_10empty_typeEbEEZZNS1_14partition_implILS8_3ELb0ES6_jNS0_17counting_iteratorIjlEEPS9_SE_NS0_5tupleIJPjSE_EEENSF_IJSE_SE_EEES9_SG_JZNS1_25segmented_radix_sort_implINS0_14default_configELb1EPKsPsPKlPlN2at6native12_GLOBAL__N_18offset_tEEE10hipError_tPvRmT1_PNSt15iterator_traitsISY_E10value_typeET2_T3_PNSZ_IS14_E10value_typeET4_jRbjT5_S1A_jjP12ihipStream_tbEUljE_EEESV_SW_SX_S14_S18_S1A_T6_T7_T9_mT8_S1C_bDpT10_ENKUlT_T0_E_clISt17integral_constantIbLb1EES1P_EEDaS1K_S1L_EUlS1K_E_NS1_11comp_targetILNS1_3genE3ELNS1_11target_archE908ELNS1_3gpuE7ELNS1_3repE0EEENS1_30default_config_static_selectorELNS0_4arch9wavefront6targetE0EEEvSY_.kd
    .uniform_work_group_size: 1
    .uses_dynamic_stack: false
    .vgpr_count:     0
    .vgpr_spill_count: 0
    .wavefront_size: 32
    .workgroup_processor_mode: 1
  - .args:
      - .offset:         0
        .size:           152
        .value_kind:     by_value
    .group_segment_fixed_size: 0
    .kernarg_segment_align: 8
    .kernarg_segment_size: 152
    .language:       OpenCL C
    .language_version:
      - 2
      - 0
    .max_flat_workgroup_size: 256
    .name:           _ZN7rocprim17ROCPRIM_400000_NS6detail17trampoline_kernelINS0_13select_configILj256ELj13ELNS0_17block_load_methodE3ELS4_3ELS4_3ELNS0_20block_scan_algorithmE0ELj4294967295EEENS1_25partition_config_selectorILNS1_17partition_subalgoE3EjNS0_10empty_typeEbEEZZNS1_14partition_implILS8_3ELb0ES6_jNS0_17counting_iteratorIjlEEPS9_SE_NS0_5tupleIJPjSE_EEENSF_IJSE_SE_EEES9_SG_JZNS1_25segmented_radix_sort_implINS0_14default_configELb1EPKsPsPKlPlN2at6native12_GLOBAL__N_18offset_tEEE10hipError_tPvRmT1_PNSt15iterator_traitsISY_E10value_typeET2_T3_PNSZ_IS14_E10value_typeET4_jRbjT5_S1A_jjP12ihipStream_tbEUljE_EEESV_SW_SX_S14_S18_S1A_T6_T7_T9_mT8_S1C_bDpT10_ENKUlT_T0_E_clISt17integral_constantIbLb1EES1P_EEDaS1K_S1L_EUlS1K_E_NS1_11comp_targetILNS1_3genE2ELNS1_11target_archE906ELNS1_3gpuE6ELNS1_3repE0EEENS1_30default_config_static_selectorELNS0_4arch9wavefront6targetE0EEEvSY_
    .private_segment_fixed_size: 0
    .sgpr_count:     0
    .sgpr_spill_count: 0
    .symbol:         _ZN7rocprim17ROCPRIM_400000_NS6detail17trampoline_kernelINS0_13select_configILj256ELj13ELNS0_17block_load_methodE3ELS4_3ELS4_3ELNS0_20block_scan_algorithmE0ELj4294967295EEENS1_25partition_config_selectorILNS1_17partition_subalgoE3EjNS0_10empty_typeEbEEZZNS1_14partition_implILS8_3ELb0ES6_jNS0_17counting_iteratorIjlEEPS9_SE_NS0_5tupleIJPjSE_EEENSF_IJSE_SE_EEES9_SG_JZNS1_25segmented_radix_sort_implINS0_14default_configELb1EPKsPsPKlPlN2at6native12_GLOBAL__N_18offset_tEEE10hipError_tPvRmT1_PNSt15iterator_traitsISY_E10value_typeET2_T3_PNSZ_IS14_E10value_typeET4_jRbjT5_S1A_jjP12ihipStream_tbEUljE_EEESV_SW_SX_S14_S18_S1A_T6_T7_T9_mT8_S1C_bDpT10_ENKUlT_T0_E_clISt17integral_constantIbLb1EES1P_EEDaS1K_S1L_EUlS1K_E_NS1_11comp_targetILNS1_3genE2ELNS1_11target_archE906ELNS1_3gpuE6ELNS1_3repE0EEENS1_30default_config_static_selectorELNS0_4arch9wavefront6targetE0EEEvSY_.kd
    .uniform_work_group_size: 1
    .uses_dynamic_stack: false
    .vgpr_count:     0
    .vgpr_spill_count: 0
    .wavefront_size: 32
    .workgroup_processor_mode: 1
  - .args:
      - .offset:         0
        .size:           152
        .value_kind:     by_value
    .group_segment_fixed_size: 0
    .kernarg_segment_align: 8
    .kernarg_segment_size: 152
    .language:       OpenCL C
    .language_version:
      - 2
      - 0
    .max_flat_workgroup_size: 256
    .name:           _ZN7rocprim17ROCPRIM_400000_NS6detail17trampoline_kernelINS0_13select_configILj256ELj13ELNS0_17block_load_methodE3ELS4_3ELS4_3ELNS0_20block_scan_algorithmE0ELj4294967295EEENS1_25partition_config_selectorILNS1_17partition_subalgoE3EjNS0_10empty_typeEbEEZZNS1_14partition_implILS8_3ELb0ES6_jNS0_17counting_iteratorIjlEEPS9_SE_NS0_5tupleIJPjSE_EEENSF_IJSE_SE_EEES9_SG_JZNS1_25segmented_radix_sort_implINS0_14default_configELb1EPKsPsPKlPlN2at6native12_GLOBAL__N_18offset_tEEE10hipError_tPvRmT1_PNSt15iterator_traitsISY_E10value_typeET2_T3_PNSZ_IS14_E10value_typeET4_jRbjT5_S1A_jjP12ihipStream_tbEUljE_EEESV_SW_SX_S14_S18_S1A_T6_T7_T9_mT8_S1C_bDpT10_ENKUlT_T0_E_clISt17integral_constantIbLb1EES1P_EEDaS1K_S1L_EUlS1K_E_NS1_11comp_targetILNS1_3genE10ELNS1_11target_archE1200ELNS1_3gpuE4ELNS1_3repE0EEENS1_30default_config_static_selectorELNS0_4arch9wavefront6targetE0EEEvSY_
    .private_segment_fixed_size: 0
    .sgpr_count:     0
    .sgpr_spill_count: 0
    .symbol:         _ZN7rocprim17ROCPRIM_400000_NS6detail17trampoline_kernelINS0_13select_configILj256ELj13ELNS0_17block_load_methodE3ELS4_3ELS4_3ELNS0_20block_scan_algorithmE0ELj4294967295EEENS1_25partition_config_selectorILNS1_17partition_subalgoE3EjNS0_10empty_typeEbEEZZNS1_14partition_implILS8_3ELb0ES6_jNS0_17counting_iteratorIjlEEPS9_SE_NS0_5tupleIJPjSE_EEENSF_IJSE_SE_EEES9_SG_JZNS1_25segmented_radix_sort_implINS0_14default_configELb1EPKsPsPKlPlN2at6native12_GLOBAL__N_18offset_tEEE10hipError_tPvRmT1_PNSt15iterator_traitsISY_E10value_typeET2_T3_PNSZ_IS14_E10value_typeET4_jRbjT5_S1A_jjP12ihipStream_tbEUljE_EEESV_SW_SX_S14_S18_S1A_T6_T7_T9_mT8_S1C_bDpT10_ENKUlT_T0_E_clISt17integral_constantIbLb1EES1P_EEDaS1K_S1L_EUlS1K_E_NS1_11comp_targetILNS1_3genE10ELNS1_11target_archE1200ELNS1_3gpuE4ELNS1_3repE0EEENS1_30default_config_static_selectorELNS0_4arch9wavefront6targetE0EEEvSY_.kd
    .uniform_work_group_size: 1
    .uses_dynamic_stack: false
    .vgpr_count:     0
    .vgpr_spill_count: 0
    .wavefront_size: 32
    .workgroup_processor_mode: 1
  - .args:
      - .offset:         0
        .size:           152
        .value_kind:     by_value
    .group_segment_fixed_size: 0
    .kernarg_segment_align: 8
    .kernarg_segment_size: 152
    .language:       OpenCL C
    .language_version:
      - 2
      - 0
    .max_flat_workgroup_size: 256
    .name:           _ZN7rocprim17ROCPRIM_400000_NS6detail17trampoline_kernelINS0_13select_configILj256ELj13ELNS0_17block_load_methodE3ELS4_3ELS4_3ELNS0_20block_scan_algorithmE0ELj4294967295EEENS1_25partition_config_selectorILNS1_17partition_subalgoE3EjNS0_10empty_typeEbEEZZNS1_14partition_implILS8_3ELb0ES6_jNS0_17counting_iteratorIjlEEPS9_SE_NS0_5tupleIJPjSE_EEENSF_IJSE_SE_EEES9_SG_JZNS1_25segmented_radix_sort_implINS0_14default_configELb1EPKsPsPKlPlN2at6native12_GLOBAL__N_18offset_tEEE10hipError_tPvRmT1_PNSt15iterator_traitsISY_E10value_typeET2_T3_PNSZ_IS14_E10value_typeET4_jRbjT5_S1A_jjP12ihipStream_tbEUljE_EEESV_SW_SX_S14_S18_S1A_T6_T7_T9_mT8_S1C_bDpT10_ENKUlT_T0_E_clISt17integral_constantIbLb1EES1P_EEDaS1K_S1L_EUlS1K_E_NS1_11comp_targetILNS1_3genE9ELNS1_11target_archE1100ELNS1_3gpuE3ELNS1_3repE0EEENS1_30default_config_static_selectorELNS0_4arch9wavefront6targetE0EEEvSY_
    .private_segment_fixed_size: 0
    .sgpr_count:     0
    .sgpr_spill_count: 0
    .symbol:         _ZN7rocprim17ROCPRIM_400000_NS6detail17trampoline_kernelINS0_13select_configILj256ELj13ELNS0_17block_load_methodE3ELS4_3ELS4_3ELNS0_20block_scan_algorithmE0ELj4294967295EEENS1_25partition_config_selectorILNS1_17partition_subalgoE3EjNS0_10empty_typeEbEEZZNS1_14partition_implILS8_3ELb0ES6_jNS0_17counting_iteratorIjlEEPS9_SE_NS0_5tupleIJPjSE_EEENSF_IJSE_SE_EEES9_SG_JZNS1_25segmented_radix_sort_implINS0_14default_configELb1EPKsPsPKlPlN2at6native12_GLOBAL__N_18offset_tEEE10hipError_tPvRmT1_PNSt15iterator_traitsISY_E10value_typeET2_T3_PNSZ_IS14_E10value_typeET4_jRbjT5_S1A_jjP12ihipStream_tbEUljE_EEESV_SW_SX_S14_S18_S1A_T6_T7_T9_mT8_S1C_bDpT10_ENKUlT_T0_E_clISt17integral_constantIbLb1EES1P_EEDaS1K_S1L_EUlS1K_E_NS1_11comp_targetILNS1_3genE9ELNS1_11target_archE1100ELNS1_3gpuE3ELNS1_3repE0EEENS1_30default_config_static_selectorELNS0_4arch9wavefront6targetE0EEEvSY_.kd
    .uniform_work_group_size: 1
    .uses_dynamic_stack: false
    .vgpr_count:     0
    .vgpr_spill_count: 0
    .wavefront_size: 32
    .workgroup_processor_mode: 1
  - .args:
      - .offset:         0
        .size:           152
        .value_kind:     by_value
    .group_segment_fixed_size: 0
    .kernarg_segment_align: 8
    .kernarg_segment_size: 152
    .language:       OpenCL C
    .language_version:
      - 2
      - 0
    .max_flat_workgroup_size: 256
    .name:           _ZN7rocprim17ROCPRIM_400000_NS6detail17trampoline_kernelINS0_13select_configILj256ELj13ELNS0_17block_load_methodE3ELS4_3ELS4_3ELNS0_20block_scan_algorithmE0ELj4294967295EEENS1_25partition_config_selectorILNS1_17partition_subalgoE3EjNS0_10empty_typeEbEEZZNS1_14partition_implILS8_3ELb0ES6_jNS0_17counting_iteratorIjlEEPS9_SE_NS0_5tupleIJPjSE_EEENSF_IJSE_SE_EEES9_SG_JZNS1_25segmented_radix_sort_implINS0_14default_configELb1EPKsPsPKlPlN2at6native12_GLOBAL__N_18offset_tEEE10hipError_tPvRmT1_PNSt15iterator_traitsISY_E10value_typeET2_T3_PNSZ_IS14_E10value_typeET4_jRbjT5_S1A_jjP12ihipStream_tbEUljE_EEESV_SW_SX_S14_S18_S1A_T6_T7_T9_mT8_S1C_bDpT10_ENKUlT_T0_E_clISt17integral_constantIbLb1EES1P_EEDaS1K_S1L_EUlS1K_E_NS1_11comp_targetILNS1_3genE8ELNS1_11target_archE1030ELNS1_3gpuE2ELNS1_3repE0EEENS1_30default_config_static_selectorELNS0_4arch9wavefront6targetE0EEEvSY_
    .private_segment_fixed_size: 0
    .sgpr_count:     0
    .sgpr_spill_count: 0
    .symbol:         _ZN7rocprim17ROCPRIM_400000_NS6detail17trampoline_kernelINS0_13select_configILj256ELj13ELNS0_17block_load_methodE3ELS4_3ELS4_3ELNS0_20block_scan_algorithmE0ELj4294967295EEENS1_25partition_config_selectorILNS1_17partition_subalgoE3EjNS0_10empty_typeEbEEZZNS1_14partition_implILS8_3ELb0ES6_jNS0_17counting_iteratorIjlEEPS9_SE_NS0_5tupleIJPjSE_EEENSF_IJSE_SE_EEES9_SG_JZNS1_25segmented_radix_sort_implINS0_14default_configELb1EPKsPsPKlPlN2at6native12_GLOBAL__N_18offset_tEEE10hipError_tPvRmT1_PNSt15iterator_traitsISY_E10value_typeET2_T3_PNSZ_IS14_E10value_typeET4_jRbjT5_S1A_jjP12ihipStream_tbEUljE_EEESV_SW_SX_S14_S18_S1A_T6_T7_T9_mT8_S1C_bDpT10_ENKUlT_T0_E_clISt17integral_constantIbLb1EES1P_EEDaS1K_S1L_EUlS1K_E_NS1_11comp_targetILNS1_3genE8ELNS1_11target_archE1030ELNS1_3gpuE2ELNS1_3repE0EEENS1_30default_config_static_selectorELNS0_4arch9wavefront6targetE0EEEvSY_.kd
    .uniform_work_group_size: 1
    .uses_dynamic_stack: false
    .vgpr_count:     0
    .vgpr_spill_count: 0
    .wavefront_size: 32
    .workgroup_processor_mode: 1
  - .args:
      - .offset:         0
        .size:           144
        .value_kind:     by_value
    .group_segment_fixed_size: 0
    .kernarg_segment_align: 8
    .kernarg_segment_size: 144
    .language:       OpenCL C
    .language_version:
      - 2
      - 0
    .max_flat_workgroup_size: 256
    .name:           _ZN7rocprim17ROCPRIM_400000_NS6detail17trampoline_kernelINS0_13select_configILj256ELj13ELNS0_17block_load_methodE3ELS4_3ELS4_3ELNS0_20block_scan_algorithmE0ELj4294967295EEENS1_25partition_config_selectorILNS1_17partition_subalgoE3EjNS0_10empty_typeEbEEZZNS1_14partition_implILS8_3ELb0ES6_jNS0_17counting_iteratorIjlEEPS9_SE_NS0_5tupleIJPjSE_EEENSF_IJSE_SE_EEES9_SG_JZNS1_25segmented_radix_sort_implINS0_14default_configELb1EPKsPsPKlPlN2at6native12_GLOBAL__N_18offset_tEEE10hipError_tPvRmT1_PNSt15iterator_traitsISY_E10value_typeET2_T3_PNSZ_IS14_E10value_typeET4_jRbjT5_S1A_jjP12ihipStream_tbEUljE_EEESV_SW_SX_S14_S18_S1A_T6_T7_T9_mT8_S1C_bDpT10_ENKUlT_T0_E_clISt17integral_constantIbLb1EES1O_IbLb0EEEEDaS1K_S1L_EUlS1K_E_NS1_11comp_targetILNS1_3genE0ELNS1_11target_archE4294967295ELNS1_3gpuE0ELNS1_3repE0EEENS1_30default_config_static_selectorELNS0_4arch9wavefront6targetE0EEEvSY_
    .private_segment_fixed_size: 0
    .sgpr_count:     0
    .sgpr_spill_count: 0
    .symbol:         _ZN7rocprim17ROCPRIM_400000_NS6detail17trampoline_kernelINS0_13select_configILj256ELj13ELNS0_17block_load_methodE3ELS4_3ELS4_3ELNS0_20block_scan_algorithmE0ELj4294967295EEENS1_25partition_config_selectorILNS1_17partition_subalgoE3EjNS0_10empty_typeEbEEZZNS1_14partition_implILS8_3ELb0ES6_jNS0_17counting_iteratorIjlEEPS9_SE_NS0_5tupleIJPjSE_EEENSF_IJSE_SE_EEES9_SG_JZNS1_25segmented_radix_sort_implINS0_14default_configELb1EPKsPsPKlPlN2at6native12_GLOBAL__N_18offset_tEEE10hipError_tPvRmT1_PNSt15iterator_traitsISY_E10value_typeET2_T3_PNSZ_IS14_E10value_typeET4_jRbjT5_S1A_jjP12ihipStream_tbEUljE_EEESV_SW_SX_S14_S18_S1A_T6_T7_T9_mT8_S1C_bDpT10_ENKUlT_T0_E_clISt17integral_constantIbLb1EES1O_IbLb0EEEEDaS1K_S1L_EUlS1K_E_NS1_11comp_targetILNS1_3genE0ELNS1_11target_archE4294967295ELNS1_3gpuE0ELNS1_3repE0EEENS1_30default_config_static_selectorELNS0_4arch9wavefront6targetE0EEEvSY_.kd
    .uniform_work_group_size: 1
    .uses_dynamic_stack: false
    .vgpr_count:     0
    .vgpr_spill_count: 0
    .wavefront_size: 32
    .workgroup_processor_mode: 1
  - .args:
      - .offset:         0
        .size:           144
        .value_kind:     by_value
    .group_segment_fixed_size: 0
    .kernarg_segment_align: 8
    .kernarg_segment_size: 144
    .language:       OpenCL C
    .language_version:
      - 2
      - 0
    .max_flat_workgroup_size: 256
    .name:           _ZN7rocprim17ROCPRIM_400000_NS6detail17trampoline_kernelINS0_13select_configILj256ELj13ELNS0_17block_load_methodE3ELS4_3ELS4_3ELNS0_20block_scan_algorithmE0ELj4294967295EEENS1_25partition_config_selectorILNS1_17partition_subalgoE3EjNS0_10empty_typeEbEEZZNS1_14partition_implILS8_3ELb0ES6_jNS0_17counting_iteratorIjlEEPS9_SE_NS0_5tupleIJPjSE_EEENSF_IJSE_SE_EEES9_SG_JZNS1_25segmented_radix_sort_implINS0_14default_configELb1EPKsPsPKlPlN2at6native12_GLOBAL__N_18offset_tEEE10hipError_tPvRmT1_PNSt15iterator_traitsISY_E10value_typeET2_T3_PNSZ_IS14_E10value_typeET4_jRbjT5_S1A_jjP12ihipStream_tbEUljE_EEESV_SW_SX_S14_S18_S1A_T6_T7_T9_mT8_S1C_bDpT10_ENKUlT_T0_E_clISt17integral_constantIbLb1EES1O_IbLb0EEEEDaS1K_S1L_EUlS1K_E_NS1_11comp_targetILNS1_3genE5ELNS1_11target_archE942ELNS1_3gpuE9ELNS1_3repE0EEENS1_30default_config_static_selectorELNS0_4arch9wavefront6targetE0EEEvSY_
    .private_segment_fixed_size: 0
    .sgpr_count:     0
    .sgpr_spill_count: 0
    .symbol:         _ZN7rocprim17ROCPRIM_400000_NS6detail17trampoline_kernelINS0_13select_configILj256ELj13ELNS0_17block_load_methodE3ELS4_3ELS4_3ELNS0_20block_scan_algorithmE0ELj4294967295EEENS1_25partition_config_selectorILNS1_17partition_subalgoE3EjNS0_10empty_typeEbEEZZNS1_14partition_implILS8_3ELb0ES6_jNS0_17counting_iteratorIjlEEPS9_SE_NS0_5tupleIJPjSE_EEENSF_IJSE_SE_EEES9_SG_JZNS1_25segmented_radix_sort_implINS0_14default_configELb1EPKsPsPKlPlN2at6native12_GLOBAL__N_18offset_tEEE10hipError_tPvRmT1_PNSt15iterator_traitsISY_E10value_typeET2_T3_PNSZ_IS14_E10value_typeET4_jRbjT5_S1A_jjP12ihipStream_tbEUljE_EEESV_SW_SX_S14_S18_S1A_T6_T7_T9_mT8_S1C_bDpT10_ENKUlT_T0_E_clISt17integral_constantIbLb1EES1O_IbLb0EEEEDaS1K_S1L_EUlS1K_E_NS1_11comp_targetILNS1_3genE5ELNS1_11target_archE942ELNS1_3gpuE9ELNS1_3repE0EEENS1_30default_config_static_selectorELNS0_4arch9wavefront6targetE0EEEvSY_.kd
    .uniform_work_group_size: 1
    .uses_dynamic_stack: false
    .vgpr_count:     0
    .vgpr_spill_count: 0
    .wavefront_size: 32
    .workgroup_processor_mode: 1
  - .args:
      - .offset:         0
        .size:           144
        .value_kind:     by_value
    .group_segment_fixed_size: 0
    .kernarg_segment_align: 8
    .kernarg_segment_size: 144
    .language:       OpenCL C
    .language_version:
      - 2
      - 0
    .max_flat_workgroup_size: 256
    .name:           _ZN7rocprim17ROCPRIM_400000_NS6detail17trampoline_kernelINS0_13select_configILj256ELj13ELNS0_17block_load_methodE3ELS4_3ELS4_3ELNS0_20block_scan_algorithmE0ELj4294967295EEENS1_25partition_config_selectorILNS1_17partition_subalgoE3EjNS0_10empty_typeEbEEZZNS1_14partition_implILS8_3ELb0ES6_jNS0_17counting_iteratorIjlEEPS9_SE_NS0_5tupleIJPjSE_EEENSF_IJSE_SE_EEES9_SG_JZNS1_25segmented_radix_sort_implINS0_14default_configELb1EPKsPsPKlPlN2at6native12_GLOBAL__N_18offset_tEEE10hipError_tPvRmT1_PNSt15iterator_traitsISY_E10value_typeET2_T3_PNSZ_IS14_E10value_typeET4_jRbjT5_S1A_jjP12ihipStream_tbEUljE_EEESV_SW_SX_S14_S18_S1A_T6_T7_T9_mT8_S1C_bDpT10_ENKUlT_T0_E_clISt17integral_constantIbLb1EES1O_IbLb0EEEEDaS1K_S1L_EUlS1K_E_NS1_11comp_targetILNS1_3genE4ELNS1_11target_archE910ELNS1_3gpuE8ELNS1_3repE0EEENS1_30default_config_static_selectorELNS0_4arch9wavefront6targetE0EEEvSY_
    .private_segment_fixed_size: 0
    .sgpr_count:     0
    .sgpr_spill_count: 0
    .symbol:         _ZN7rocprim17ROCPRIM_400000_NS6detail17trampoline_kernelINS0_13select_configILj256ELj13ELNS0_17block_load_methodE3ELS4_3ELS4_3ELNS0_20block_scan_algorithmE0ELj4294967295EEENS1_25partition_config_selectorILNS1_17partition_subalgoE3EjNS0_10empty_typeEbEEZZNS1_14partition_implILS8_3ELb0ES6_jNS0_17counting_iteratorIjlEEPS9_SE_NS0_5tupleIJPjSE_EEENSF_IJSE_SE_EEES9_SG_JZNS1_25segmented_radix_sort_implINS0_14default_configELb1EPKsPsPKlPlN2at6native12_GLOBAL__N_18offset_tEEE10hipError_tPvRmT1_PNSt15iterator_traitsISY_E10value_typeET2_T3_PNSZ_IS14_E10value_typeET4_jRbjT5_S1A_jjP12ihipStream_tbEUljE_EEESV_SW_SX_S14_S18_S1A_T6_T7_T9_mT8_S1C_bDpT10_ENKUlT_T0_E_clISt17integral_constantIbLb1EES1O_IbLb0EEEEDaS1K_S1L_EUlS1K_E_NS1_11comp_targetILNS1_3genE4ELNS1_11target_archE910ELNS1_3gpuE8ELNS1_3repE0EEENS1_30default_config_static_selectorELNS0_4arch9wavefront6targetE0EEEvSY_.kd
    .uniform_work_group_size: 1
    .uses_dynamic_stack: false
    .vgpr_count:     0
    .vgpr_spill_count: 0
    .wavefront_size: 32
    .workgroup_processor_mode: 1
  - .args:
      - .offset:         0
        .size:           144
        .value_kind:     by_value
    .group_segment_fixed_size: 0
    .kernarg_segment_align: 8
    .kernarg_segment_size: 144
    .language:       OpenCL C
    .language_version:
      - 2
      - 0
    .max_flat_workgroup_size: 256
    .name:           _ZN7rocprim17ROCPRIM_400000_NS6detail17trampoline_kernelINS0_13select_configILj256ELj13ELNS0_17block_load_methodE3ELS4_3ELS4_3ELNS0_20block_scan_algorithmE0ELj4294967295EEENS1_25partition_config_selectorILNS1_17partition_subalgoE3EjNS0_10empty_typeEbEEZZNS1_14partition_implILS8_3ELb0ES6_jNS0_17counting_iteratorIjlEEPS9_SE_NS0_5tupleIJPjSE_EEENSF_IJSE_SE_EEES9_SG_JZNS1_25segmented_radix_sort_implINS0_14default_configELb1EPKsPsPKlPlN2at6native12_GLOBAL__N_18offset_tEEE10hipError_tPvRmT1_PNSt15iterator_traitsISY_E10value_typeET2_T3_PNSZ_IS14_E10value_typeET4_jRbjT5_S1A_jjP12ihipStream_tbEUljE_EEESV_SW_SX_S14_S18_S1A_T6_T7_T9_mT8_S1C_bDpT10_ENKUlT_T0_E_clISt17integral_constantIbLb1EES1O_IbLb0EEEEDaS1K_S1L_EUlS1K_E_NS1_11comp_targetILNS1_3genE3ELNS1_11target_archE908ELNS1_3gpuE7ELNS1_3repE0EEENS1_30default_config_static_selectorELNS0_4arch9wavefront6targetE0EEEvSY_
    .private_segment_fixed_size: 0
    .sgpr_count:     0
    .sgpr_spill_count: 0
    .symbol:         _ZN7rocprim17ROCPRIM_400000_NS6detail17trampoline_kernelINS0_13select_configILj256ELj13ELNS0_17block_load_methodE3ELS4_3ELS4_3ELNS0_20block_scan_algorithmE0ELj4294967295EEENS1_25partition_config_selectorILNS1_17partition_subalgoE3EjNS0_10empty_typeEbEEZZNS1_14partition_implILS8_3ELb0ES6_jNS0_17counting_iteratorIjlEEPS9_SE_NS0_5tupleIJPjSE_EEENSF_IJSE_SE_EEES9_SG_JZNS1_25segmented_radix_sort_implINS0_14default_configELb1EPKsPsPKlPlN2at6native12_GLOBAL__N_18offset_tEEE10hipError_tPvRmT1_PNSt15iterator_traitsISY_E10value_typeET2_T3_PNSZ_IS14_E10value_typeET4_jRbjT5_S1A_jjP12ihipStream_tbEUljE_EEESV_SW_SX_S14_S18_S1A_T6_T7_T9_mT8_S1C_bDpT10_ENKUlT_T0_E_clISt17integral_constantIbLb1EES1O_IbLb0EEEEDaS1K_S1L_EUlS1K_E_NS1_11comp_targetILNS1_3genE3ELNS1_11target_archE908ELNS1_3gpuE7ELNS1_3repE0EEENS1_30default_config_static_selectorELNS0_4arch9wavefront6targetE0EEEvSY_.kd
    .uniform_work_group_size: 1
    .uses_dynamic_stack: false
    .vgpr_count:     0
    .vgpr_spill_count: 0
    .wavefront_size: 32
    .workgroup_processor_mode: 1
  - .args:
      - .offset:         0
        .size:           144
        .value_kind:     by_value
    .group_segment_fixed_size: 0
    .kernarg_segment_align: 8
    .kernarg_segment_size: 144
    .language:       OpenCL C
    .language_version:
      - 2
      - 0
    .max_flat_workgroup_size: 256
    .name:           _ZN7rocprim17ROCPRIM_400000_NS6detail17trampoline_kernelINS0_13select_configILj256ELj13ELNS0_17block_load_methodE3ELS4_3ELS4_3ELNS0_20block_scan_algorithmE0ELj4294967295EEENS1_25partition_config_selectorILNS1_17partition_subalgoE3EjNS0_10empty_typeEbEEZZNS1_14partition_implILS8_3ELb0ES6_jNS0_17counting_iteratorIjlEEPS9_SE_NS0_5tupleIJPjSE_EEENSF_IJSE_SE_EEES9_SG_JZNS1_25segmented_radix_sort_implINS0_14default_configELb1EPKsPsPKlPlN2at6native12_GLOBAL__N_18offset_tEEE10hipError_tPvRmT1_PNSt15iterator_traitsISY_E10value_typeET2_T3_PNSZ_IS14_E10value_typeET4_jRbjT5_S1A_jjP12ihipStream_tbEUljE_EEESV_SW_SX_S14_S18_S1A_T6_T7_T9_mT8_S1C_bDpT10_ENKUlT_T0_E_clISt17integral_constantIbLb1EES1O_IbLb0EEEEDaS1K_S1L_EUlS1K_E_NS1_11comp_targetILNS1_3genE2ELNS1_11target_archE906ELNS1_3gpuE6ELNS1_3repE0EEENS1_30default_config_static_selectorELNS0_4arch9wavefront6targetE0EEEvSY_
    .private_segment_fixed_size: 0
    .sgpr_count:     0
    .sgpr_spill_count: 0
    .symbol:         _ZN7rocprim17ROCPRIM_400000_NS6detail17trampoline_kernelINS0_13select_configILj256ELj13ELNS0_17block_load_methodE3ELS4_3ELS4_3ELNS0_20block_scan_algorithmE0ELj4294967295EEENS1_25partition_config_selectorILNS1_17partition_subalgoE3EjNS0_10empty_typeEbEEZZNS1_14partition_implILS8_3ELb0ES6_jNS0_17counting_iteratorIjlEEPS9_SE_NS0_5tupleIJPjSE_EEENSF_IJSE_SE_EEES9_SG_JZNS1_25segmented_radix_sort_implINS0_14default_configELb1EPKsPsPKlPlN2at6native12_GLOBAL__N_18offset_tEEE10hipError_tPvRmT1_PNSt15iterator_traitsISY_E10value_typeET2_T3_PNSZ_IS14_E10value_typeET4_jRbjT5_S1A_jjP12ihipStream_tbEUljE_EEESV_SW_SX_S14_S18_S1A_T6_T7_T9_mT8_S1C_bDpT10_ENKUlT_T0_E_clISt17integral_constantIbLb1EES1O_IbLb0EEEEDaS1K_S1L_EUlS1K_E_NS1_11comp_targetILNS1_3genE2ELNS1_11target_archE906ELNS1_3gpuE6ELNS1_3repE0EEENS1_30default_config_static_selectorELNS0_4arch9wavefront6targetE0EEEvSY_.kd
    .uniform_work_group_size: 1
    .uses_dynamic_stack: false
    .vgpr_count:     0
    .vgpr_spill_count: 0
    .wavefront_size: 32
    .workgroup_processor_mode: 1
  - .args:
      - .offset:         0
        .size:           144
        .value_kind:     by_value
    .group_segment_fixed_size: 0
    .kernarg_segment_align: 8
    .kernarg_segment_size: 144
    .language:       OpenCL C
    .language_version:
      - 2
      - 0
    .max_flat_workgroup_size: 256
    .name:           _ZN7rocprim17ROCPRIM_400000_NS6detail17trampoline_kernelINS0_13select_configILj256ELj13ELNS0_17block_load_methodE3ELS4_3ELS4_3ELNS0_20block_scan_algorithmE0ELj4294967295EEENS1_25partition_config_selectorILNS1_17partition_subalgoE3EjNS0_10empty_typeEbEEZZNS1_14partition_implILS8_3ELb0ES6_jNS0_17counting_iteratorIjlEEPS9_SE_NS0_5tupleIJPjSE_EEENSF_IJSE_SE_EEES9_SG_JZNS1_25segmented_radix_sort_implINS0_14default_configELb1EPKsPsPKlPlN2at6native12_GLOBAL__N_18offset_tEEE10hipError_tPvRmT1_PNSt15iterator_traitsISY_E10value_typeET2_T3_PNSZ_IS14_E10value_typeET4_jRbjT5_S1A_jjP12ihipStream_tbEUljE_EEESV_SW_SX_S14_S18_S1A_T6_T7_T9_mT8_S1C_bDpT10_ENKUlT_T0_E_clISt17integral_constantIbLb1EES1O_IbLb0EEEEDaS1K_S1L_EUlS1K_E_NS1_11comp_targetILNS1_3genE10ELNS1_11target_archE1200ELNS1_3gpuE4ELNS1_3repE0EEENS1_30default_config_static_selectorELNS0_4arch9wavefront6targetE0EEEvSY_
    .private_segment_fixed_size: 0
    .sgpr_count:     0
    .sgpr_spill_count: 0
    .symbol:         _ZN7rocprim17ROCPRIM_400000_NS6detail17trampoline_kernelINS0_13select_configILj256ELj13ELNS0_17block_load_methodE3ELS4_3ELS4_3ELNS0_20block_scan_algorithmE0ELj4294967295EEENS1_25partition_config_selectorILNS1_17partition_subalgoE3EjNS0_10empty_typeEbEEZZNS1_14partition_implILS8_3ELb0ES6_jNS0_17counting_iteratorIjlEEPS9_SE_NS0_5tupleIJPjSE_EEENSF_IJSE_SE_EEES9_SG_JZNS1_25segmented_radix_sort_implINS0_14default_configELb1EPKsPsPKlPlN2at6native12_GLOBAL__N_18offset_tEEE10hipError_tPvRmT1_PNSt15iterator_traitsISY_E10value_typeET2_T3_PNSZ_IS14_E10value_typeET4_jRbjT5_S1A_jjP12ihipStream_tbEUljE_EEESV_SW_SX_S14_S18_S1A_T6_T7_T9_mT8_S1C_bDpT10_ENKUlT_T0_E_clISt17integral_constantIbLb1EES1O_IbLb0EEEEDaS1K_S1L_EUlS1K_E_NS1_11comp_targetILNS1_3genE10ELNS1_11target_archE1200ELNS1_3gpuE4ELNS1_3repE0EEENS1_30default_config_static_selectorELNS0_4arch9wavefront6targetE0EEEvSY_.kd
    .uniform_work_group_size: 1
    .uses_dynamic_stack: false
    .vgpr_count:     0
    .vgpr_spill_count: 0
    .wavefront_size: 32
    .workgroup_processor_mode: 1
  - .args:
      - .offset:         0
        .size:           144
        .value_kind:     by_value
    .group_segment_fixed_size: 0
    .kernarg_segment_align: 8
    .kernarg_segment_size: 144
    .language:       OpenCL C
    .language_version:
      - 2
      - 0
    .max_flat_workgroup_size: 256
    .name:           _ZN7rocprim17ROCPRIM_400000_NS6detail17trampoline_kernelINS0_13select_configILj256ELj13ELNS0_17block_load_methodE3ELS4_3ELS4_3ELNS0_20block_scan_algorithmE0ELj4294967295EEENS1_25partition_config_selectorILNS1_17partition_subalgoE3EjNS0_10empty_typeEbEEZZNS1_14partition_implILS8_3ELb0ES6_jNS0_17counting_iteratorIjlEEPS9_SE_NS0_5tupleIJPjSE_EEENSF_IJSE_SE_EEES9_SG_JZNS1_25segmented_radix_sort_implINS0_14default_configELb1EPKsPsPKlPlN2at6native12_GLOBAL__N_18offset_tEEE10hipError_tPvRmT1_PNSt15iterator_traitsISY_E10value_typeET2_T3_PNSZ_IS14_E10value_typeET4_jRbjT5_S1A_jjP12ihipStream_tbEUljE_EEESV_SW_SX_S14_S18_S1A_T6_T7_T9_mT8_S1C_bDpT10_ENKUlT_T0_E_clISt17integral_constantIbLb1EES1O_IbLb0EEEEDaS1K_S1L_EUlS1K_E_NS1_11comp_targetILNS1_3genE9ELNS1_11target_archE1100ELNS1_3gpuE3ELNS1_3repE0EEENS1_30default_config_static_selectorELNS0_4arch9wavefront6targetE0EEEvSY_
    .private_segment_fixed_size: 0
    .sgpr_count:     0
    .sgpr_spill_count: 0
    .symbol:         _ZN7rocprim17ROCPRIM_400000_NS6detail17trampoline_kernelINS0_13select_configILj256ELj13ELNS0_17block_load_methodE3ELS4_3ELS4_3ELNS0_20block_scan_algorithmE0ELj4294967295EEENS1_25partition_config_selectorILNS1_17partition_subalgoE3EjNS0_10empty_typeEbEEZZNS1_14partition_implILS8_3ELb0ES6_jNS0_17counting_iteratorIjlEEPS9_SE_NS0_5tupleIJPjSE_EEENSF_IJSE_SE_EEES9_SG_JZNS1_25segmented_radix_sort_implINS0_14default_configELb1EPKsPsPKlPlN2at6native12_GLOBAL__N_18offset_tEEE10hipError_tPvRmT1_PNSt15iterator_traitsISY_E10value_typeET2_T3_PNSZ_IS14_E10value_typeET4_jRbjT5_S1A_jjP12ihipStream_tbEUljE_EEESV_SW_SX_S14_S18_S1A_T6_T7_T9_mT8_S1C_bDpT10_ENKUlT_T0_E_clISt17integral_constantIbLb1EES1O_IbLb0EEEEDaS1K_S1L_EUlS1K_E_NS1_11comp_targetILNS1_3genE9ELNS1_11target_archE1100ELNS1_3gpuE3ELNS1_3repE0EEENS1_30default_config_static_selectorELNS0_4arch9wavefront6targetE0EEEvSY_.kd
    .uniform_work_group_size: 1
    .uses_dynamic_stack: false
    .vgpr_count:     0
    .vgpr_spill_count: 0
    .wavefront_size: 32
    .workgroup_processor_mode: 1
  - .args:
      - .offset:         0
        .size:           144
        .value_kind:     by_value
    .group_segment_fixed_size: 0
    .kernarg_segment_align: 8
    .kernarg_segment_size: 144
    .language:       OpenCL C
    .language_version:
      - 2
      - 0
    .max_flat_workgroup_size: 256
    .name:           _ZN7rocprim17ROCPRIM_400000_NS6detail17trampoline_kernelINS0_13select_configILj256ELj13ELNS0_17block_load_methodE3ELS4_3ELS4_3ELNS0_20block_scan_algorithmE0ELj4294967295EEENS1_25partition_config_selectorILNS1_17partition_subalgoE3EjNS0_10empty_typeEbEEZZNS1_14partition_implILS8_3ELb0ES6_jNS0_17counting_iteratorIjlEEPS9_SE_NS0_5tupleIJPjSE_EEENSF_IJSE_SE_EEES9_SG_JZNS1_25segmented_radix_sort_implINS0_14default_configELb1EPKsPsPKlPlN2at6native12_GLOBAL__N_18offset_tEEE10hipError_tPvRmT1_PNSt15iterator_traitsISY_E10value_typeET2_T3_PNSZ_IS14_E10value_typeET4_jRbjT5_S1A_jjP12ihipStream_tbEUljE_EEESV_SW_SX_S14_S18_S1A_T6_T7_T9_mT8_S1C_bDpT10_ENKUlT_T0_E_clISt17integral_constantIbLb1EES1O_IbLb0EEEEDaS1K_S1L_EUlS1K_E_NS1_11comp_targetILNS1_3genE8ELNS1_11target_archE1030ELNS1_3gpuE2ELNS1_3repE0EEENS1_30default_config_static_selectorELNS0_4arch9wavefront6targetE0EEEvSY_
    .private_segment_fixed_size: 0
    .sgpr_count:     0
    .sgpr_spill_count: 0
    .symbol:         _ZN7rocprim17ROCPRIM_400000_NS6detail17trampoline_kernelINS0_13select_configILj256ELj13ELNS0_17block_load_methodE3ELS4_3ELS4_3ELNS0_20block_scan_algorithmE0ELj4294967295EEENS1_25partition_config_selectorILNS1_17partition_subalgoE3EjNS0_10empty_typeEbEEZZNS1_14partition_implILS8_3ELb0ES6_jNS0_17counting_iteratorIjlEEPS9_SE_NS0_5tupleIJPjSE_EEENSF_IJSE_SE_EEES9_SG_JZNS1_25segmented_radix_sort_implINS0_14default_configELb1EPKsPsPKlPlN2at6native12_GLOBAL__N_18offset_tEEE10hipError_tPvRmT1_PNSt15iterator_traitsISY_E10value_typeET2_T3_PNSZ_IS14_E10value_typeET4_jRbjT5_S1A_jjP12ihipStream_tbEUljE_EEESV_SW_SX_S14_S18_S1A_T6_T7_T9_mT8_S1C_bDpT10_ENKUlT_T0_E_clISt17integral_constantIbLb1EES1O_IbLb0EEEEDaS1K_S1L_EUlS1K_E_NS1_11comp_targetILNS1_3genE8ELNS1_11target_archE1030ELNS1_3gpuE2ELNS1_3repE0EEENS1_30default_config_static_selectorELNS0_4arch9wavefront6targetE0EEEvSY_.kd
    .uniform_work_group_size: 1
    .uses_dynamic_stack: false
    .vgpr_count:     0
    .vgpr_spill_count: 0
    .wavefront_size: 32
    .workgroup_processor_mode: 1
  - .args:
      - .offset:         0
        .size:           152
        .value_kind:     by_value
    .group_segment_fixed_size: 0
    .kernarg_segment_align: 8
    .kernarg_segment_size: 152
    .language:       OpenCL C
    .language_version:
      - 2
      - 0
    .max_flat_workgroup_size: 256
    .name:           _ZN7rocprim17ROCPRIM_400000_NS6detail17trampoline_kernelINS0_13select_configILj256ELj13ELNS0_17block_load_methodE3ELS4_3ELS4_3ELNS0_20block_scan_algorithmE0ELj4294967295EEENS1_25partition_config_selectorILNS1_17partition_subalgoE3EjNS0_10empty_typeEbEEZZNS1_14partition_implILS8_3ELb0ES6_jNS0_17counting_iteratorIjlEEPS9_SE_NS0_5tupleIJPjSE_EEENSF_IJSE_SE_EEES9_SG_JZNS1_25segmented_radix_sort_implINS0_14default_configELb1EPKsPsPKlPlN2at6native12_GLOBAL__N_18offset_tEEE10hipError_tPvRmT1_PNSt15iterator_traitsISY_E10value_typeET2_T3_PNSZ_IS14_E10value_typeET4_jRbjT5_S1A_jjP12ihipStream_tbEUljE_EEESV_SW_SX_S14_S18_S1A_T6_T7_T9_mT8_S1C_bDpT10_ENKUlT_T0_E_clISt17integral_constantIbLb0EES1O_IbLb1EEEEDaS1K_S1L_EUlS1K_E_NS1_11comp_targetILNS1_3genE0ELNS1_11target_archE4294967295ELNS1_3gpuE0ELNS1_3repE0EEENS1_30default_config_static_selectorELNS0_4arch9wavefront6targetE0EEEvSY_
    .private_segment_fixed_size: 0
    .sgpr_count:     0
    .sgpr_spill_count: 0
    .symbol:         _ZN7rocprim17ROCPRIM_400000_NS6detail17trampoline_kernelINS0_13select_configILj256ELj13ELNS0_17block_load_methodE3ELS4_3ELS4_3ELNS0_20block_scan_algorithmE0ELj4294967295EEENS1_25partition_config_selectorILNS1_17partition_subalgoE3EjNS0_10empty_typeEbEEZZNS1_14partition_implILS8_3ELb0ES6_jNS0_17counting_iteratorIjlEEPS9_SE_NS0_5tupleIJPjSE_EEENSF_IJSE_SE_EEES9_SG_JZNS1_25segmented_radix_sort_implINS0_14default_configELb1EPKsPsPKlPlN2at6native12_GLOBAL__N_18offset_tEEE10hipError_tPvRmT1_PNSt15iterator_traitsISY_E10value_typeET2_T3_PNSZ_IS14_E10value_typeET4_jRbjT5_S1A_jjP12ihipStream_tbEUljE_EEESV_SW_SX_S14_S18_S1A_T6_T7_T9_mT8_S1C_bDpT10_ENKUlT_T0_E_clISt17integral_constantIbLb0EES1O_IbLb1EEEEDaS1K_S1L_EUlS1K_E_NS1_11comp_targetILNS1_3genE0ELNS1_11target_archE4294967295ELNS1_3gpuE0ELNS1_3repE0EEENS1_30default_config_static_selectorELNS0_4arch9wavefront6targetE0EEEvSY_.kd
    .uniform_work_group_size: 1
    .uses_dynamic_stack: false
    .vgpr_count:     0
    .vgpr_spill_count: 0
    .wavefront_size: 32
    .workgroup_processor_mode: 1
  - .args:
      - .offset:         0
        .size:           152
        .value_kind:     by_value
    .group_segment_fixed_size: 0
    .kernarg_segment_align: 8
    .kernarg_segment_size: 152
    .language:       OpenCL C
    .language_version:
      - 2
      - 0
    .max_flat_workgroup_size: 256
    .name:           _ZN7rocprim17ROCPRIM_400000_NS6detail17trampoline_kernelINS0_13select_configILj256ELj13ELNS0_17block_load_methodE3ELS4_3ELS4_3ELNS0_20block_scan_algorithmE0ELj4294967295EEENS1_25partition_config_selectorILNS1_17partition_subalgoE3EjNS0_10empty_typeEbEEZZNS1_14partition_implILS8_3ELb0ES6_jNS0_17counting_iteratorIjlEEPS9_SE_NS0_5tupleIJPjSE_EEENSF_IJSE_SE_EEES9_SG_JZNS1_25segmented_radix_sort_implINS0_14default_configELb1EPKsPsPKlPlN2at6native12_GLOBAL__N_18offset_tEEE10hipError_tPvRmT1_PNSt15iterator_traitsISY_E10value_typeET2_T3_PNSZ_IS14_E10value_typeET4_jRbjT5_S1A_jjP12ihipStream_tbEUljE_EEESV_SW_SX_S14_S18_S1A_T6_T7_T9_mT8_S1C_bDpT10_ENKUlT_T0_E_clISt17integral_constantIbLb0EES1O_IbLb1EEEEDaS1K_S1L_EUlS1K_E_NS1_11comp_targetILNS1_3genE5ELNS1_11target_archE942ELNS1_3gpuE9ELNS1_3repE0EEENS1_30default_config_static_selectorELNS0_4arch9wavefront6targetE0EEEvSY_
    .private_segment_fixed_size: 0
    .sgpr_count:     0
    .sgpr_spill_count: 0
    .symbol:         _ZN7rocprim17ROCPRIM_400000_NS6detail17trampoline_kernelINS0_13select_configILj256ELj13ELNS0_17block_load_methodE3ELS4_3ELS4_3ELNS0_20block_scan_algorithmE0ELj4294967295EEENS1_25partition_config_selectorILNS1_17partition_subalgoE3EjNS0_10empty_typeEbEEZZNS1_14partition_implILS8_3ELb0ES6_jNS0_17counting_iteratorIjlEEPS9_SE_NS0_5tupleIJPjSE_EEENSF_IJSE_SE_EEES9_SG_JZNS1_25segmented_radix_sort_implINS0_14default_configELb1EPKsPsPKlPlN2at6native12_GLOBAL__N_18offset_tEEE10hipError_tPvRmT1_PNSt15iterator_traitsISY_E10value_typeET2_T3_PNSZ_IS14_E10value_typeET4_jRbjT5_S1A_jjP12ihipStream_tbEUljE_EEESV_SW_SX_S14_S18_S1A_T6_T7_T9_mT8_S1C_bDpT10_ENKUlT_T0_E_clISt17integral_constantIbLb0EES1O_IbLb1EEEEDaS1K_S1L_EUlS1K_E_NS1_11comp_targetILNS1_3genE5ELNS1_11target_archE942ELNS1_3gpuE9ELNS1_3repE0EEENS1_30default_config_static_selectorELNS0_4arch9wavefront6targetE0EEEvSY_.kd
    .uniform_work_group_size: 1
    .uses_dynamic_stack: false
    .vgpr_count:     0
    .vgpr_spill_count: 0
    .wavefront_size: 32
    .workgroup_processor_mode: 1
  - .args:
      - .offset:         0
        .size:           152
        .value_kind:     by_value
    .group_segment_fixed_size: 0
    .kernarg_segment_align: 8
    .kernarg_segment_size: 152
    .language:       OpenCL C
    .language_version:
      - 2
      - 0
    .max_flat_workgroup_size: 256
    .name:           _ZN7rocprim17ROCPRIM_400000_NS6detail17trampoline_kernelINS0_13select_configILj256ELj13ELNS0_17block_load_methodE3ELS4_3ELS4_3ELNS0_20block_scan_algorithmE0ELj4294967295EEENS1_25partition_config_selectorILNS1_17partition_subalgoE3EjNS0_10empty_typeEbEEZZNS1_14partition_implILS8_3ELb0ES6_jNS0_17counting_iteratorIjlEEPS9_SE_NS0_5tupleIJPjSE_EEENSF_IJSE_SE_EEES9_SG_JZNS1_25segmented_radix_sort_implINS0_14default_configELb1EPKsPsPKlPlN2at6native12_GLOBAL__N_18offset_tEEE10hipError_tPvRmT1_PNSt15iterator_traitsISY_E10value_typeET2_T3_PNSZ_IS14_E10value_typeET4_jRbjT5_S1A_jjP12ihipStream_tbEUljE_EEESV_SW_SX_S14_S18_S1A_T6_T7_T9_mT8_S1C_bDpT10_ENKUlT_T0_E_clISt17integral_constantIbLb0EES1O_IbLb1EEEEDaS1K_S1L_EUlS1K_E_NS1_11comp_targetILNS1_3genE4ELNS1_11target_archE910ELNS1_3gpuE8ELNS1_3repE0EEENS1_30default_config_static_selectorELNS0_4arch9wavefront6targetE0EEEvSY_
    .private_segment_fixed_size: 0
    .sgpr_count:     0
    .sgpr_spill_count: 0
    .symbol:         _ZN7rocprim17ROCPRIM_400000_NS6detail17trampoline_kernelINS0_13select_configILj256ELj13ELNS0_17block_load_methodE3ELS4_3ELS4_3ELNS0_20block_scan_algorithmE0ELj4294967295EEENS1_25partition_config_selectorILNS1_17partition_subalgoE3EjNS0_10empty_typeEbEEZZNS1_14partition_implILS8_3ELb0ES6_jNS0_17counting_iteratorIjlEEPS9_SE_NS0_5tupleIJPjSE_EEENSF_IJSE_SE_EEES9_SG_JZNS1_25segmented_radix_sort_implINS0_14default_configELb1EPKsPsPKlPlN2at6native12_GLOBAL__N_18offset_tEEE10hipError_tPvRmT1_PNSt15iterator_traitsISY_E10value_typeET2_T3_PNSZ_IS14_E10value_typeET4_jRbjT5_S1A_jjP12ihipStream_tbEUljE_EEESV_SW_SX_S14_S18_S1A_T6_T7_T9_mT8_S1C_bDpT10_ENKUlT_T0_E_clISt17integral_constantIbLb0EES1O_IbLb1EEEEDaS1K_S1L_EUlS1K_E_NS1_11comp_targetILNS1_3genE4ELNS1_11target_archE910ELNS1_3gpuE8ELNS1_3repE0EEENS1_30default_config_static_selectorELNS0_4arch9wavefront6targetE0EEEvSY_.kd
    .uniform_work_group_size: 1
    .uses_dynamic_stack: false
    .vgpr_count:     0
    .vgpr_spill_count: 0
    .wavefront_size: 32
    .workgroup_processor_mode: 1
  - .args:
      - .offset:         0
        .size:           152
        .value_kind:     by_value
    .group_segment_fixed_size: 0
    .kernarg_segment_align: 8
    .kernarg_segment_size: 152
    .language:       OpenCL C
    .language_version:
      - 2
      - 0
    .max_flat_workgroup_size: 256
    .name:           _ZN7rocprim17ROCPRIM_400000_NS6detail17trampoline_kernelINS0_13select_configILj256ELj13ELNS0_17block_load_methodE3ELS4_3ELS4_3ELNS0_20block_scan_algorithmE0ELj4294967295EEENS1_25partition_config_selectorILNS1_17partition_subalgoE3EjNS0_10empty_typeEbEEZZNS1_14partition_implILS8_3ELb0ES6_jNS0_17counting_iteratorIjlEEPS9_SE_NS0_5tupleIJPjSE_EEENSF_IJSE_SE_EEES9_SG_JZNS1_25segmented_radix_sort_implINS0_14default_configELb1EPKsPsPKlPlN2at6native12_GLOBAL__N_18offset_tEEE10hipError_tPvRmT1_PNSt15iterator_traitsISY_E10value_typeET2_T3_PNSZ_IS14_E10value_typeET4_jRbjT5_S1A_jjP12ihipStream_tbEUljE_EEESV_SW_SX_S14_S18_S1A_T6_T7_T9_mT8_S1C_bDpT10_ENKUlT_T0_E_clISt17integral_constantIbLb0EES1O_IbLb1EEEEDaS1K_S1L_EUlS1K_E_NS1_11comp_targetILNS1_3genE3ELNS1_11target_archE908ELNS1_3gpuE7ELNS1_3repE0EEENS1_30default_config_static_selectorELNS0_4arch9wavefront6targetE0EEEvSY_
    .private_segment_fixed_size: 0
    .sgpr_count:     0
    .sgpr_spill_count: 0
    .symbol:         _ZN7rocprim17ROCPRIM_400000_NS6detail17trampoline_kernelINS0_13select_configILj256ELj13ELNS0_17block_load_methodE3ELS4_3ELS4_3ELNS0_20block_scan_algorithmE0ELj4294967295EEENS1_25partition_config_selectorILNS1_17partition_subalgoE3EjNS0_10empty_typeEbEEZZNS1_14partition_implILS8_3ELb0ES6_jNS0_17counting_iteratorIjlEEPS9_SE_NS0_5tupleIJPjSE_EEENSF_IJSE_SE_EEES9_SG_JZNS1_25segmented_radix_sort_implINS0_14default_configELb1EPKsPsPKlPlN2at6native12_GLOBAL__N_18offset_tEEE10hipError_tPvRmT1_PNSt15iterator_traitsISY_E10value_typeET2_T3_PNSZ_IS14_E10value_typeET4_jRbjT5_S1A_jjP12ihipStream_tbEUljE_EEESV_SW_SX_S14_S18_S1A_T6_T7_T9_mT8_S1C_bDpT10_ENKUlT_T0_E_clISt17integral_constantIbLb0EES1O_IbLb1EEEEDaS1K_S1L_EUlS1K_E_NS1_11comp_targetILNS1_3genE3ELNS1_11target_archE908ELNS1_3gpuE7ELNS1_3repE0EEENS1_30default_config_static_selectorELNS0_4arch9wavefront6targetE0EEEvSY_.kd
    .uniform_work_group_size: 1
    .uses_dynamic_stack: false
    .vgpr_count:     0
    .vgpr_spill_count: 0
    .wavefront_size: 32
    .workgroup_processor_mode: 1
  - .args:
      - .offset:         0
        .size:           152
        .value_kind:     by_value
    .group_segment_fixed_size: 0
    .kernarg_segment_align: 8
    .kernarg_segment_size: 152
    .language:       OpenCL C
    .language_version:
      - 2
      - 0
    .max_flat_workgroup_size: 256
    .name:           _ZN7rocprim17ROCPRIM_400000_NS6detail17trampoline_kernelINS0_13select_configILj256ELj13ELNS0_17block_load_methodE3ELS4_3ELS4_3ELNS0_20block_scan_algorithmE0ELj4294967295EEENS1_25partition_config_selectorILNS1_17partition_subalgoE3EjNS0_10empty_typeEbEEZZNS1_14partition_implILS8_3ELb0ES6_jNS0_17counting_iteratorIjlEEPS9_SE_NS0_5tupleIJPjSE_EEENSF_IJSE_SE_EEES9_SG_JZNS1_25segmented_radix_sort_implINS0_14default_configELb1EPKsPsPKlPlN2at6native12_GLOBAL__N_18offset_tEEE10hipError_tPvRmT1_PNSt15iterator_traitsISY_E10value_typeET2_T3_PNSZ_IS14_E10value_typeET4_jRbjT5_S1A_jjP12ihipStream_tbEUljE_EEESV_SW_SX_S14_S18_S1A_T6_T7_T9_mT8_S1C_bDpT10_ENKUlT_T0_E_clISt17integral_constantIbLb0EES1O_IbLb1EEEEDaS1K_S1L_EUlS1K_E_NS1_11comp_targetILNS1_3genE2ELNS1_11target_archE906ELNS1_3gpuE6ELNS1_3repE0EEENS1_30default_config_static_selectorELNS0_4arch9wavefront6targetE0EEEvSY_
    .private_segment_fixed_size: 0
    .sgpr_count:     0
    .sgpr_spill_count: 0
    .symbol:         _ZN7rocprim17ROCPRIM_400000_NS6detail17trampoline_kernelINS0_13select_configILj256ELj13ELNS0_17block_load_methodE3ELS4_3ELS4_3ELNS0_20block_scan_algorithmE0ELj4294967295EEENS1_25partition_config_selectorILNS1_17partition_subalgoE3EjNS0_10empty_typeEbEEZZNS1_14partition_implILS8_3ELb0ES6_jNS0_17counting_iteratorIjlEEPS9_SE_NS0_5tupleIJPjSE_EEENSF_IJSE_SE_EEES9_SG_JZNS1_25segmented_radix_sort_implINS0_14default_configELb1EPKsPsPKlPlN2at6native12_GLOBAL__N_18offset_tEEE10hipError_tPvRmT1_PNSt15iterator_traitsISY_E10value_typeET2_T3_PNSZ_IS14_E10value_typeET4_jRbjT5_S1A_jjP12ihipStream_tbEUljE_EEESV_SW_SX_S14_S18_S1A_T6_T7_T9_mT8_S1C_bDpT10_ENKUlT_T0_E_clISt17integral_constantIbLb0EES1O_IbLb1EEEEDaS1K_S1L_EUlS1K_E_NS1_11comp_targetILNS1_3genE2ELNS1_11target_archE906ELNS1_3gpuE6ELNS1_3repE0EEENS1_30default_config_static_selectorELNS0_4arch9wavefront6targetE0EEEvSY_.kd
    .uniform_work_group_size: 1
    .uses_dynamic_stack: false
    .vgpr_count:     0
    .vgpr_spill_count: 0
    .wavefront_size: 32
    .workgroup_processor_mode: 1
  - .args:
      - .offset:         0
        .size:           152
        .value_kind:     by_value
    .group_segment_fixed_size: 13320
    .kernarg_segment_align: 8
    .kernarg_segment_size: 152
    .language:       OpenCL C
    .language_version:
      - 2
      - 0
    .max_flat_workgroup_size: 256
    .name:           _ZN7rocprim17ROCPRIM_400000_NS6detail17trampoline_kernelINS0_13select_configILj256ELj13ELNS0_17block_load_methodE3ELS4_3ELS4_3ELNS0_20block_scan_algorithmE0ELj4294967295EEENS1_25partition_config_selectorILNS1_17partition_subalgoE3EjNS0_10empty_typeEbEEZZNS1_14partition_implILS8_3ELb0ES6_jNS0_17counting_iteratorIjlEEPS9_SE_NS0_5tupleIJPjSE_EEENSF_IJSE_SE_EEES9_SG_JZNS1_25segmented_radix_sort_implINS0_14default_configELb1EPKsPsPKlPlN2at6native12_GLOBAL__N_18offset_tEEE10hipError_tPvRmT1_PNSt15iterator_traitsISY_E10value_typeET2_T3_PNSZ_IS14_E10value_typeET4_jRbjT5_S1A_jjP12ihipStream_tbEUljE_EEESV_SW_SX_S14_S18_S1A_T6_T7_T9_mT8_S1C_bDpT10_ENKUlT_T0_E_clISt17integral_constantIbLb0EES1O_IbLb1EEEEDaS1K_S1L_EUlS1K_E_NS1_11comp_targetILNS1_3genE10ELNS1_11target_archE1200ELNS1_3gpuE4ELNS1_3repE0EEENS1_30default_config_static_selectorELNS0_4arch9wavefront6targetE0EEEvSY_
    .private_segment_fixed_size: 0
    .sgpr_count:     28
    .sgpr_spill_count: 0
    .symbol:         _ZN7rocprim17ROCPRIM_400000_NS6detail17trampoline_kernelINS0_13select_configILj256ELj13ELNS0_17block_load_methodE3ELS4_3ELS4_3ELNS0_20block_scan_algorithmE0ELj4294967295EEENS1_25partition_config_selectorILNS1_17partition_subalgoE3EjNS0_10empty_typeEbEEZZNS1_14partition_implILS8_3ELb0ES6_jNS0_17counting_iteratorIjlEEPS9_SE_NS0_5tupleIJPjSE_EEENSF_IJSE_SE_EEES9_SG_JZNS1_25segmented_radix_sort_implINS0_14default_configELb1EPKsPsPKlPlN2at6native12_GLOBAL__N_18offset_tEEE10hipError_tPvRmT1_PNSt15iterator_traitsISY_E10value_typeET2_T3_PNSZ_IS14_E10value_typeET4_jRbjT5_S1A_jjP12ihipStream_tbEUljE_EEESV_SW_SX_S14_S18_S1A_T6_T7_T9_mT8_S1C_bDpT10_ENKUlT_T0_E_clISt17integral_constantIbLb0EES1O_IbLb1EEEEDaS1K_S1L_EUlS1K_E_NS1_11comp_targetILNS1_3genE10ELNS1_11target_archE1200ELNS1_3gpuE4ELNS1_3repE0EEENS1_30default_config_static_selectorELNS0_4arch9wavefront6targetE0EEEvSY_.kd
    .uniform_work_group_size: 1
    .uses_dynamic_stack: false
    .vgpr_count:     71
    .vgpr_spill_count: 0
    .wavefront_size: 32
    .workgroup_processor_mode: 1
  - .args:
      - .offset:         0
        .size:           152
        .value_kind:     by_value
    .group_segment_fixed_size: 0
    .kernarg_segment_align: 8
    .kernarg_segment_size: 152
    .language:       OpenCL C
    .language_version:
      - 2
      - 0
    .max_flat_workgroup_size: 256
    .name:           _ZN7rocprim17ROCPRIM_400000_NS6detail17trampoline_kernelINS0_13select_configILj256ELj13ELNS0_17block_load_methodE3ELS4_3ELS4_3ELNS0_20block_scan_algorithmE0ELj4294967295EEENS1_25partition_config_selectorILNS1_17partition_subalgoE3EjNS0_10empty_typeEbEEZZNS1_14partition_implILS8_3ELb0ES6_jNS0_17counting_iteratorIjlEEPS9_SE_NS0_5tupleIJPjSE_EEENSF_IJSE_SE_EEES9_SG_JZNS1_25segmented_radix_sort_implINS0_14default_configELb1EPKsPsPKlPlN2at6native12_GLOBAL__N_18offset_tEEE10hipError_tPvRmT1_PNSt15iterator_traitsISY_E10value_typeET2_T3_PNSZ_IS14_E10value_typeET4_jRbjT5_S1A_jjP12ihipStream_tbEUljE_EEESV_SW_SX_S14_S18_S1A_T6_T7_T9_mT8_S1C_bDpT10_ENKUlT_T0_E_clISt17integral_constantIbLb0EES1O_IbLb1EEEEDaS1K_S1L_EUlS1K_E_NS1_11comp_targetILNS1_3genE9ELNS1_11target_archE1100ELNS1_3gpuE3ELNS1_3repE0EEENS1_30default_config_static_selectorELNS0_4arch9wavefront6targetE0EEEvSY_
    .private_segment_fixed_size: 0
    .sgpr_count:     0
    .sgpr_spill_count: 0
    .symbol:         _ZN7rocprim17ROCPRIM_400000_NS6detail17trampoline_kernelINS0_13select_configILj256ELj13ELNS0_17block_load_methodE3ELS4_3ELS4_3ELNS0_20block_scan_algorithmE0ELj4294967295EEENS1_25partition_config_selectorILNS1_17partition_subalgoE3EjNS0_10empty_typeEbEEZZNS1_14partition_implILS8_3ELb0ES6_jNS0_17counting_iteratorIjlEEPS9_SE_NS0_5tupleIJPjSE_EEENSF_IJSE_SE_EEES9_SG_JZNS1_25segmented_radix_sort_implINS0_14default_configELb1EPKsPsPKlPlN2at6native12_GLOBAL__N_18offset_tEEE10hipError_tPvRmT1_PNSt15iterator_traitsISY_E10value_typeET2_T3_PNSZ_IS14_E10value_typeET4_jRbjT5_S1A_jjP12ihipStream_tbEUljE_EEESV_SW_SX_S14_S18_S1A_T6_T7_T9_mT8_S1C_bDpT10_ENKUlT_T0_E_clISt17integral_constantIbLb0EES1O_IbLb1EEEEDaS1K_S1L_EUlS1K_E_NS1_11comp_targetILNS1_3genE9ELNS1_11target_archE1100ELNS1_3gpuE3ELNS1_3repE0EEENS1_30default_config_static_selectorELNS0_4arch9wavefront6targetE0EEEvSY_.kd
    .uniform_work_group_size: 1
    .uses_dynamic_stack: false
    .vgpr_count:     0
    .vgpr_spill_count: 0
    .wavefront_size: 32
    .workgroup_processor_mode: 1
  - .args:
      - .offset:         0
        .size:           152
        .value_kind:     by_value
    .group_segment_fixed_size: 0
    .kernarg_segment_align: 8
    .kernarg_segment_size: 152
    .language:       OpenCL C
    .language_version:
      - 2
      - 0
    .max_flat_workgroup_size: 256
    .name:           _ZN7rocprim17ROCPRIM_400000_NS6detail17trampoline_kernelINS0_13select_configILj256ELj13ELNS0_17block_load_methodE3ELS4_3ELS4_3ELNS0_20block_scan_algorithmE0ELj4294967295EEENS1_25partition_config_selectorILNS1_17partition_subalgoE3EjNS0_10empty_typeEbEEZZNS1_14partition_implILS8_3ELb0ES6_jNS0_17counting_iteratorIjlEEPS9_SE_NS0_5tupleIJPjSE_EEENSF_IJSE_SE_EEES9_SG_JZNS1_25segmented_radix_sort_implINS0_14default_configELb1EPKsPsPKlPlN2at6native12_GLOBAL__N_18offset_tEEE10hipError_tPvRmT1_PNSt15iterator_traitsISY_E10value_typeET2_T3_PNSZ_IS14_E10value_typeET4_jRbjT5_S1A_jjP12ihipStream_tbEUljE_EEESV_SW_SX_S14_S18_S1A_T6_T7_T9_mT8_S1C_bDpT10_ENKUlT_T0_E_clISt17integral_constantIbLb0EES1O_IbLb1EEEEDaS1K_S1L_EUlS1K_E_NS1_11comp_targetILNS1_3genE8ELNS1_11target_archE1030ELNS1_3gpuE2ELNS1_3repE0EEENS1_30default_config_static_selectorELNS0_4arch9wavefront6targetE0EEEvSY_
    .private_segment_fixed_size: 0
    .sgpr_count:     0
    .sgpr_spill_count: 0
    .symbol:         _ZN7rocprim17ROCPRIM_400000_NS6detail17trampoline_kernelINS0_13select_configILj256ELj13ELNS0_17block_load_methodE3ELS4_3ELS4_3ELNS0_20block_scan_algorithmE0ELj4294967295EEENS1_25partition_config_selectorILNS1_17partition_subalgoE3EjNS0_10empty_typeEbEEZZNS1_14partition_implILS8_3ELb0ES6_jNS0_17counting_iteratorIjlEEPS9_SE_NS0_5tupleIJPjSE_EEENSF_IJSE_SE_EEES9_SG_JZNS1_25segmented_radix_sort_implINS0_14default_configELb1EPKsPsPKlPlN2at6native12_GLOBAL__N_18offset_tEEE10hipError_tPvRmT1_PNSt15iterator_traitsISY_E10value_typeET2_T3_PNSZ_IS14_E10value_typeET4_jRbjT5_S1A_jjP12ihipStream_tbEUljE_EEESV_SW_SX_S14_S18_S1A_T6_T7_T9_mT8_S1C_bDpT10_ENKUlT_T0_E_clISt17integral_constantIbLb0EES1O_IbLb1EEEEDaS1K_S1L_EUlS1K_E_NS1_11comp_targetILNS1_3genE8ELNS1_11target_archE1030ELNS1_3gpuE2ELNS1_3repE0EEENS1_30default_config_static_selectorELNS0_4arch9wavefront6targetE0EEEvSY_.kd
    .uniform_work_group_size: 1
    .uses_dynamic_stack: false
    .vgpr_count:     0
    .vgpr_spill_count: 0
    .wavefront_size: 32
    .workgroup_processor_mode: 1
  - .args:
      - .offset:         0
        .size:           96
        .value_kind:     by_value
    .group_segment_fixed_size: 0
    .kernarg_segment_align: 8
    .kernarg_segment_size: 96
    .language:       OpenCL C
    .language_version:
      - 2
      - 0
    .max_flat_workgroup_size: 256
    .name:           _ZN7rocprim17ROCPRIM_400000_NS6detail17trampoline_kernelINS0_14default_configENS1_36segmented_radix_sort_config_selectorIslEEZNS1_25segmented_radix_sort_implIS3_Lb1EPKsPsPKlPlN2at6native12_GLOBAL__N_18offset_tEEE10hipError_tPvRmT1_PNSt15iterator_traitsISK_E10value_typeET2_T3_PNSL_ISQ_E10value_typeET4_jRbjT5_SW_jjP12ihipStream_tbEUlT_E_NS1_11comp_targetILNS1_3genE0ELNS1_11target_archE4294967295ELNS1_3gpuE0ELNS1_3repE0EEENS1_30default_config_static_selectorELNS0_4arch9wavefront6targetE0EEEvSK_
    .private_segment_fixed_size: 0
    .sgpr_count:     0
    .sgpr_spill_count: 0
    .symbol:         _ZN7rocprim17ROCPRIM_400000_NS6detail17trampoline_kernelINS0_14default_configENS1_36segmented_radix_sort_config_selectorIslEEZNS1_25segmented_radix_sort_implIS3_Lb1EPKsPsPKlPlN2at6native12_GLOBAL__N_18offset_tEEE10hipError_tPvRmT1_PNSt15iterator_traitsISK_E10value_typeET2_T3_PNSL_ISQ_E10value_typeET4_jRbjT5_SW_jjP12ihipStream_tbEUlT_E_NS1_11comp_targetILNS1_3genE0ELNS1_11target_archE4294967295ELNS1_3gpuE0ELNS1_3repE0EEENS1_30default_config_static_selectorELNS0_4arch9wavefront6targetE0EEEvSK_.kd
    .uniform_work_group_size: 1
    .uses_dynamic_stack: false
    .vgpr_count:     0
    .vgpr_spill_count: 0
    .wavefront_size: 32
    .workgroup_processor_mode: 1
  - .args:
      - .offset:         0
        .size:           96
        .value_kind:     by_value
    .group_segment_fixed_size: 0
    .kernarg_segment_align: 8
    .kernarg_segment_size: 96
    .language:       OpenCL C
    .language_version:
      - 2
      - 0
    .max_flat_workgroup_size: 256
    .name:           _ZN7rocprim17ROCPRIM_400000_NS6detail17trampoline_kernelINS0_14default_configENS1_36segmented_radix_sort_config_selectorIslEEZNS1_25segmented_radix_sort_implIS3_Lb1EPKsPsPKlPlN2at6native12_GLOBAL__N_18offset_tEEE10hipError_tPvRmT1_PNSt15iterator_traitsISK_E10value_typeET2_T3_PNSL_ISQ_E10value_typeET4_jRbjT5_SW_jjP12ihipStream_tbEUlT_E_NS1_11comp_targetILNS1_3genE5ELNS1_11target_archE942ELNS1_3gpuE9ELNS1_3repE0EEENS1_30default_config_static_selectorELNS0_4arch9wavefront6targetE0EEEvSK_
    .private_segment_fixed_size: 0
    .sgpr_count:     0
    .sgpr_spill_count: 0
    .symbol:         _ZN7rocprim17ROCPRIM_400000_NS6detail17trampoline_kernelINS0_14default_configENS1_36segmented_radix_sort_config_selectorIslEEZNS1_25segmented_radix_sort_implIS3_Lb1EPKsPsPKlPlN2at6native12_GLOBAL__N_18offset_tEEE10hipError_tPvRmT1_PNSt15iterator_traitsISK_E10value_typeET2_T3_PNSL_ISQ_E10value_typeET4_jRbjT5_SW_jjP12ihipStream_tbEUlT_E_NS1_11comp_targetILNS1_3genE5ELNS1_11target_archE942ELNS1_3gpuE9ELNS1_3repE0EEENS1_30default_config_static_selectorELNS0_4arch9wavefront6targetE0EEEvSK_.kd
    .uniform_work_group_size: 1
    .uses_dynamic_stack: false
    .vgpr_count:     0
    .vgpr_spill_count: 0
    .wavefront_size: 32
    .workgroup_processor_mode: 1
  - .args:
      - .offset:         0
        .size:           96
        .value_kind:     by_value
    .group_segment_fixed_size: 0
    .kernarg_segment_align: 8
    .kernarg_segment_size: 96
    .language:       OpenCL C
    .language_version:
      - 2
      - 0
    .max_flat_workgroup_size: 256
    .name:           _ZN7rocprim17ROCPRIM_400000_NS6detail17trampoline_kernelINS0_14default_configENS1_36segmented_radix_sort_config_selectorIslEEZNS1_25segmented_radix_sort_implIS3_Lb1EPKsPsPKlPlN2at6native12_GLOBAL__N_18offset_tEEE10hipError_tPvRmT1_PNSt15iterator_traitsISK_E10value_typeET2_T3_PNSL_ISQ_E10value_typeET4_jRbjT5_SW_jjP12ihipStream_tbEUlT_E_NS1_11comp_targetILNS1_3genE4ELNS1_11target_archE910ELNS1_3gpuE8ELNS1_3repE0EEENS1_30default_config_static_selectorELNS0_4arch9wavefront6targetE0EEEvSK_
    .private_segment_fixed_size: 0
    .sgpr_count:     0
    .sgpr_spill_count: 0
    .symbol:         _ZN7rocprim17ROCPRIM_400000_NS6detail17trampoline_kernelINS0_14default_configENS1_36segmented_radix_sort_config_selectorIslEEZNS1_25segmented_radix_sort_implIS3_Lb1EPKsPsPKlPlN2at6native12_GLOBAL__N_18offset_tEEE10hipError_tPvRmT1_PNSt15iterator_traitsISK_E10value_typeET2_T3_PNSL_ISQ_E10value_typeET4_jRbjT5_SW_jjP12ihipStream_tbEUlT_E_NS1_11comp_targetILNS1_3genE4ELNS1_11target_archE910ELNS1_3gpuE8ELNS1_3repE0EEENS1_30default_config_static_selectorELNS0_4arch9wavefront6targetE0EEEvSK_.kd
    .uniform_work_group_size: 1
    .uses_dynamic_stack: false
    .vgpr_count:     0
    .vgpr_spill_count: 0
    .wavefront_size: 32
    .workgroup_processor_mode: 1
  - .args:
      - .offset:         0
        .size:           96
        .value_kind:     by_value
    .group_segment_fixed_size: 0
    .kernarg_segment_align: 8
    .kernarg_segment_size: 96
    .language:       OpenCL C
    .language_version:
      - 2
      - 0
    .max_flat_workgroup_size: 256
    .name:           _ZN7rocprim17ROCPRIM_400000_NS6detail17trampoline_kernelINS0_14default_configENS1_36segmented_radix_sort_config_selectorIslEEZNS1_25segmented_radix_sort_implIS3_Lb1EPKsPsPKlPlN2at6native12_GLOBAL__N_18offset_tEEE10hipError_tPvRmT1_PNSt15iterator_traitsISK_E10value_typeET2_T3_PNSL_ISQ_E10value_typeET4_jRbjT5_SW_jjP12ihipStream_tbEUlT_E_NS1_11comp_targetILNS1_3genE3ELNS1_11target_archE908ELNS1_3gpuE7ELNS1_3repE0EEENS1_30default_config_static_selectorELNS0_4arch9wavefront6targetE0EEEvSK_
    .private_segment_fixed_size: 0
    .sgpr_count:     0
    .sgpr_spill_count: 0
    .symbol:         _ZN7rocprim17ROCPRIM_400000_NS6detail17trampoline_kernelINS0_14default_configENS1_36segmented_radix_sort_config_selectorIslEEZNS1_25segmented_radix_sort_implIS3_Lb1EPKsPsPKlPlN2at6native12_GLOBAL__N_18offset_tEEE10hipError_tPvRmT1_PNSt15iterator_traitsISK_E10value_typeET2_T3_PNSL_ISQ_E10value_typeET4_jRbjT5_SW_jjP12ihipStream_tbEUlT_E_NS1_11comp_targetILNS1_3genE3ELNS1_11target_archE908ELNS1_3gpuE7ELNS1_3repE0EEENS1_30default_config_static_selectorELNS0_4arch9wavefront6targetE0EEEvSK_.kd
    .uniform_work_group_size: 1
    .uses_dynamic_stack: false
    .vgpr_count:     0
    .vgpr_spill_count: 0
    .wavefront_size: 32
    .workgroup_processor_mode: 1
  - .args:
      - .offset:         0
        .size:           96
        .value_kind:     by_value
    .group_segment_fixed_size: 0
    .kernarg_segment_align: 8
    .kernarg_segment_size: 96
    .language:       OpenCL C
    .language_version:
      - 2
      - 0
    .max_flat_workgroup_size: 256
    .name:           _ZN7rocprim17ROCPRIM_400000_NS6detail17trampoline_kernelINS0_14default_configENS1_36segmented_radix_sort_config_selectorIslEEZNS1_25segmented_radix_sort_implIS3_Lb1EPKsPsPKlPlN2at6native12_GLOBAL__N_18offset_tEEE10hipError_tPvRmT1_PNSt15iterator_traitsISK_E10value_typeET2_T3_PNSL_ISQ_E10value_typeET4_jRbjT5_SW_jjP12ihipStream_tbEUlT_E_NS1_11comp_targetILNS1_3genE2ELNS1_11target_archE906ELNS1_3gpuE6ELNS1_3repE0EEENS1_30default_config_static_selectorELNS0_4arch9wavefront6targetE0EEEvSK_
    .private_segment_fixed_size: 0
    .sgpr_count:     0
    .sgpr_spill_count: 0
    .symbol:         _ZN7rocprim17ROCPRIM_400000_NS6detail17trampoline_kernelINS0_14default_configENS1_36segmented_radix_sort_config_selectorIslEEZNS1_25segmented_radix_sort_implIS3_Lb1EPKsPsPKlPlN2at6native12_GLOBAL__N_18offset_tEEE10hipError_tPvRmT1_PNSt15iterator_traitsISK_E10value_typeET2_T3_PNSL_ISQ_E10value_typeET4_jRbjT5_SW_jjP12ihipStream_tbEUlT_E_NS1_11comp_targetILNS1_3genE2ELNS1_11target_archE906ELNS1_3gpuE6ELNS1_3repE0EEENS1_30default_config_static_selectorELNS0_4arch9wavefront6targetE0EEEvSK_.kd
    .uniform_work_group_size: 1
    .uses_dynamic_stack: false
    .vgpr_count:     0
    .vgpr_spill_count: 0
    .wavefront_size: 32
    .workgroup_processor_mode: 1
  - .args:
      - .offset:         0
        .size:           96
        .value_kind:     by_value
      - .offset:         96
        .size:           4
        .value_kind:     hidden_block_count_x
      - .offset:         100
        .size:           4
        .value_kind:     hidden_block_count_y
      - .offset:         104
        .size:           4
        .value_kind:     hidden_block_count_z
      - .offset:         108
        .size:           2
        .value_kind:     hidden_group_size_x
      - .offset:         110
        .size:           2
        .value_kind:     hidden_group_size_y
      - .offset:         112
        .size:           2
        .value_kind:     hidden_group_size_z
      - .offset:         114
        .size:           2
        .value_kind:     hidden_remainder_x
      - .offset:         116
        .size:           2
        .value_kind:     hidden_remainder_y
      - .offset:         118
        .size:           2
        .value_kind:     hidden_remainder_z
      - .offset:         136
        .size:           8
        .value_kind:     hidden_global_offset_x
      - .offset:         144
        .size:           8
        .value_kind:     hidden_global_offset_y
      - .offset:         152
        .size:           8
        .value_kind:     hidden_global_offset_z
      - .offset:         160
        .size:           2
        .value_kind:     hidden_grid_dims
    .group_segment_fixed_size: 17440
    .kernarg_segment_align: 8
    .kernarg_segment_size: 352
    .language:       OpenCL C
    .language_version:
      - 2
      - 0
    .max_flat_workgroup_size: 256
    .name:           _ZN7rocprim17ROCPRIM_400000_NS6detail17trampoline_kernelINS0_14default_configENS1_36segmented_radix_sort_config_selectorIslEEZNS1_25segmented_radix_sort_implIS3_Lb1EPKsPsPKlPlN2at6native12_GLOBAL__N_18offset_tEEE10hipError_tPvRmT1_PNSt15iterator_traitsISK_E10value_typeET2_T3_PNSL_ISQ_E10value_typeET4_jRbjT5_SW_jjP12ihipStream_tbEUlT_E_NS1_11comp_targetILNS1_3genE10ELNS1_11target_archE1201ELNS1_3gpuE5ELNS1_3repE0EEENS1_30default_config_static_selectorELNS0_4arch9wavefront6targetE0EEEvSK_
    .private_segment_fixed_size: 0
    .sgpr_count:     52
    .sgpr_spill_count: 0
    .symbol:         _ZN7rocprim17ROCPRIM_400000_NS6detail17trampoline_kernelINS0_14default_configENS1_36segmented_radix_sort_config_selectorIslEEZNS1_25segmented_radix_sort_implIS3_Lb1EPKsPsPKlPlN2at6native12_GLOBAL__N_18offset_tEEE10hipError_tPvRmT1_PNSt15iterator_traitsISK_E10value_typeET2_T3_PNSL_ISQ_E10value_typeET4_jRbjT5_SW_jjP12ihipStream_tbEUlT_E_NS1_11comp_targetILNS1_3genE10ELNS1_11target_archE1201ELNS1_3gpuE5ELNS1_3repE0EEENS1_30default_config_static_selectorELNS0_4arch9wavefront6targetE0EEEvSK_.kd
    .uniform_work_group_size: 1
    .uses_dynamic_stack: false
    .vgpr_count:     198
    .vgpr_spill_count: 0
    .wavefront_size: 32
    .workgroup_processor_mode: 1
  - .args:
      - .offset:         0
        .size:           96
        .value_kind:     by_value
    .group_segment_fixed_size: 0
    .kernarg_segment_align: 8
    .kernarg_segment_size: 96
    .language:       OpenCL C
    .language_version:
      - 2
      - 0
    .max_flat_workgroup_size: 128
    .name:           _ZN7rocprim17ROCPRIM_400000_NS6detail17trampoline_kernelINS0_14default_configENS1_36segmented_radix_sort_config_selectorIslEEZNS1_25segmented_radix_sort_implIS3_Lb1EPKsPsPKlPlN2at6native12_GLOBAL__N_18offset_tEEE10hipError_tPvRmT1_PNSt15iterator_traitsISK_E10value_typeET2_T3_PNSL_ISQ_E10value_typeET4_jRbjT5_SW_jjP12ihipStream_tbEUlT_E_NS1_11comp_targetILNS1_3genE10ELNS1_11target_archE1200ELNS1_3gpuE4ELNS1_3repE0EEENS1_30default_config_static_selectorELNS0_4arch9wavefront6targetE0EEEvSK_
    .private_segment_fixed_size: 0
    .sgpr_count:     0
    .sgpr_spill_count: 0
    .symbol:         _ZN7rocprim17ROCPRIM_400000_NS6detail17trampoline_kernelINS0_14default_configENS1_36segmented_radix_sort_config_selectorIslEEZNS1_25segmented_radix_sort_implIS3_Lb1EPKsPsPKlPlN2at6native12_GLOBAL__N_18offset_tEEE10hipError_tPvRmT1_PNSt15iterator_traitsISK_E10value_typeET2_T3_PNSL_ISQ_E10value_typeET4_jRbjT5_SW_jjP12ihipStream_tbEUlT_E_NS1_11comp_targetILNS1_3genE10ELNS1_11target_archE1200ELNS1_3gpuE4ELNS1_3repE0EEENS1_30default_config_static_selectorELNS0_4arch9wavefront6targetE0EEEvSK_.kd
    .uniform_work_group_size: 1
    .uses_dynamic_stack: false
    .vgpr_count:     0
    .vgpr_spill_count: 0
    .wavefront_size: 32
    .workgroup_processor_mode: 1
  - .args:
      - .offset:         0
        .size:           96
        .value_kind:     by_value
    .group_segment_fixed_size: 0
    .kernarg_segment_align: 8
    .kernarg_segment_size: 96
    .language:       OpenCL C
    .language_version:
      - 2
      - 0
    .max_flat_workgroup_size: 256
    .name:           _ZN7rocprim17ROCPRIM_400000_NS6detail17trampoline_kernelINS0_14default_configENS1_36segmented_radix_sort_config_selectorIslEEZNS1_25segmented_radix_sort_implIS3_Lb1EPKsPsPKlPlN2at6native12_GLOBAL__N_18offset_tEEE10hipError_tPvRmT1_PNSt15iterator_traitsISK_E10value_typeET2_T3_PNSL_ISQ_E10value_typeET4_jRbjT5_SW_jjP12ihipStream_tbEUlT_E_NS1_11comp_targetILNS1_3genE9ELNS1_11target_archE1100ELNS1_3gpuE3ELNS1_3repE0EEENS1_30default_config_static_selectorELNS0_4arch9wavefront6targetE0EEEvSK_
    .private_segment_fixed_size: 0
    .sgpr_count:     0
    .sgpr_spill_count: 0
    .symbol:         _ZN7rocprim17ROCPRIM_400000_NS6detail17trampoline_kernelINS0_14default_configENS1_36segmented_radix_sort_config_selectorIslEEZNS1_25segmented_radix_sort_implIS3_Lb1EPKsPsPKlPlN2at6native12_GLOBAL__N_18offset_tEEE10hipError_tPvRmT1_PNSt15iterator_traitsISK_E10value_typeET2_T3_PNSL_ISQ_E10value_typeET4_jRbjT5_SW_jjP12ihipStream_tbEUlT_E_NS1_11comp_targetILNS1_3genE9ELNS1_11target_archE1100ELNS1_3gpuE3ELNS1_3repE0EEENS1_30default_config_static_selectorELNS0_4arch9wavefront6targetE0EEEvSK_.kd
    .uniform_work_group_size: 1
    .uses_dynamic_stack: false
    .vgpr_count:     0
    .vgpr_spill_count: 0
    .wavefront_size: 32
    .workgroup_processor_mode: 1
  - .args:
      - .offset:         0
        .size:           96
        .value_kind:     by_value
    .group_segment_fixed_size: 0
    .kernarg_segment_align: 8
    .kernarg_segment_size: 96
    .language:       OpenCL C
    .language_version:
      - 2
      - 0
    .max_flat_workgroup_size: 256
    .name:           _ZN7rocprim17ROCPRIM_400000_NS6detail17trampoline_kernelINS0_14default_configENS1_36segmented_radix_sort_config_selectorIslEEZNS1_25segmented_radix_sort_implIS3_Lb1EPKsPsPKlPlN2at6native12_GLOBAL__N_18offset_tEEE10hipError_tPvRmT1_PNSt15iterator_traitsISK_E10value_typeET2_T3_PNSL_ISQ_E10value_typeET4_jRbjT5_SW_jjP12ihipStream_tbEUlT_E_NS1_11comp_targetILNS1_3genE8ELNS1_11target_archE1030ELNS1_3gpuE2ELNS1_3repE0EEENS1_30default_config_static_selectorELNS0_4arch9wavefront6targetE0EEEvSK_
    .private_segment_fixed_size: 0
    .sgpr_count:     0
    .sgpr_spill_count: 0
    .symbol:         _ZN7rocprim17ROCPRIM_400000_NS6detail17trampoline_kernelINS0_14default_configENS1_36segmented_radix_sort_config_selectorIslEEZNS1_25segmented_radix_sort_implIS3_Lb1EPKsPsPKlPlN2at6native12_GLOBAL__N_18offset_tEEE10hipError_tPvRmT1_PNSt15iterator_traitsISK_E10value_typeET2_T3_PNSL_ISQ_E10value_typeET4_jRbjT5_SW_jjP12ihipStream_tbEUlT_E_NS1_11comp_targetILNS1_3genE8ELNS1_11target_archE1030ELNS1_3gpuE2ELNS1_3repE0EEENS1_30default_config_static_selectorELNS0_4arch9wavefront6targetE0EEEvSK_.kd
    .uniform_work_group_size: 1
    .uses_dynamic_stack: false
    .vgpr_count:     0
    .vgpr_spill_count: 0
    .wavefront_size: 32
    .workgroup_processor_mode: 1
  - .args:
      - .offset:         0
        .size:           88
        .value_kind:     by_value
    .group_segment_fixed_size: 0
    .kernarg_segment_align: 8
    .kernarg_segment_size: 88
    .language:       OpenCL C
    .language_version:
      - 2
      - 0
    .max_flat_workgroup_size: 256
    .name:           _ZN7rocprim17ROCPRIM_400000_NS6detail17trampoline_kernelINS0_14default_configENS1_36segmented_radix_sort_config_selectorIslEEZNS1_25segmented_radix_sort_implIS3_Lb1EPKsPsPKlPlN2at6native12_GLOBAL__N_18offset_tEEE10hipError_tPvRmT1_PNSt15iterator_traitsISK_E10value_typeET2_T3_PNSL_ISQ_E10value_typeET4_jRbjT5_SW_jjP12ihipStream_tbEUlT_E0_NS1_11comp_targetILNS1_3genE0ELNS1_11target_archE4294967295ELNS1_3gpuE0ELNS1_3repE0EEENS1_60segmented_radix_sort_warp_sort_medium_config_static_selectorELNS0_4arch9wavefront6targetE0EEEvSK_
    .private_segment_fixed_size: 0
    .sgpr_count:     0
    .sgpr_spill_count: 0
    .symbol:         _ZN7rocprim17ROCPRIM_400000_NS6detail17trampoline_kernelINS0_14default_configENS1_36segmented_radix_sort_config_selectorIslEEZNS1_25segmented_radix_sort_implIS3_Lb1EPKsPsPKlPlN2at6native12_GLOBAL__N_18offset_tEEE10hipError_tPvRmT1_PNSt15iterator_traitsISK_E10value_typeET2_T3_PNSL_ISQ_E10value_typeET4_jRbjT5_SW_jjP12ihipStream_tbEUlT_E0_NS1_11comp_targetILNS1_3genE0ELNS1_11target_archE4294967295ELNS1_3gpuE0ELNS1_3repE0EEENS1_60segmented_radix_sort_warp_sort_medium_config_static_selectorELNS0_4arch9wavefront6targetE0EEEvSK_.kd
    .uniform_work_group_size: 1
    .uses_dynamic_stack: false
    .vgpr_count:     0
    .vgpr_spill_count: 0
    .wavefront_size: 32
    .workgroup_processor_mode: 1
  - .args:
      - .offset:         0
        .size:           88
        .value_kind:     by_value
    .group_segment_fixed_size: 0
    .kernarg_segment_align: 8
    .kernarg_segment_size: 88
    .language:       OpenCL C
    .language_version:
      - 2
      - 0
    .max_flat_workgroup_size: 256
    .name:           _ZN7rocprim17ROCPRIM_400000_NS6detail17trampoline_kernelINS0_14default_configENS1_36segmented_radix_sort_config_selectorIslEEZNS1_25segmented_radix_sort_implIS3_Lb1EPKsPsPKlPlN2at6native12_GLOBAL__N_18offset_tEEE10hipError_tPvRmT1_PNSt15iterator_traitsISK_E10value_typeET2_T3_PNSL_ISQ_E10value_typeET4_jRbjT5_SW_jjP12ihipStream_tbEUlT_E0_NS1_11comp_targetILNS1_3genE5ELNS1_11target_archE942ELNS1_3gpuE9ELNS1_3repE0EEENS1_60segmented_radix_sort_warp_sort_medium_config_static_selectorELNS0_4arch9wavefront6targetE0EEEvSK_
    .private_segment_fixed_size: 0
    .sgpr_count:     0
    .sgpr_spill_count: 0
    .symbol:         _ZN7rocprim17ROCPRIM_400000_NS6detail17trampoline_kernelINS0_14default_configENS1_36segmented_radix_sort_config_selectorIslEEZNS1_25segmented_radix_sort_implIS3_Lb1EPKsPsPKlPlN2at6native12_GLOBAL__N_18offset_tEEE10hipError_tPvRmT1_PNSt15iterator_traitsISK_E10value_typeET2_T3_PNSL_ISQ_E10value_typeET4_jRbjT5_SW_jjP12ihipStream_tbEUlT_E0_NS1_11comp_targetILNS1_3genE5ELNS1_11target_archE942ELNS1_3gpuE9ELNS1_3repE0EEENS1_60segmented_radix_sort_warp_sort_medium_config_static_selectorELNS0_4arch9wavefront6targetE0EEEvSK_.kd
    .uniform_work_group_size: 1
    .uses_dynamic_stack: false
    .vgpr_count:     0
    .vgpr_spill_count: 0
    .wavefront_size: 32
    .workgroup_processor_mode: 1
  - .args:
      - .offset:         0
        .size:           88
        .value_kind:     by_value
    .group_segment_fixed_size: 0
    .kernarg_segment_align: 8
    .kernarg_segment_size: 88
    .language:       OpenCL C
    .language_version:
      - 2
      - 0
    .max_flat_workgroup_size: 256
    .name:           _ZN7rocprim17ROCPRIM_400000_NS6detail17trampoline_kernelINS0_14default_configENS1_36segmented_radix_sort_config_selectorIslEEZNS1_25segmented_radix_sort_implIS3_Lb1EPKsPsPKlPlN2at6native12_GLOBAL__N_18offset_tEEE10hipError_tPvRmT1_PNSt15iterator_traitsISK_E10value_typeET2_T3_PNSL_ISQ_E10value_typeET4_jRbjT5_SW_jjP12ihipStream_tbEUlT_E0_NS1_11comp_targetILNS1_3genE4ELNS1_11target_archE910ELNS1_3gpuE8ELNS1_3repE0EEENS1_60segmented_radix_sort_warp_sort_medium_config_static_selectorELNS0_4arch9wavefront6targetE0EEEvSK_
    .private_segment_fixed_size: 0
    .sgpr_count:     0
    .sgpr_spill_count: 0
    .symbol:         _ZN7rocprim17ROCPRIM_400000_NS6detail17trampoline_kernelINS0_14default_configENS1_36segmented_radix_sort_config_selectorIslEEZNS1_25segmented_radix_sort_implIS3_Lb1EPKsPsPKlPlN2at6native12_GLOBAL__N_18offset_tEEE10hipError_tPvRmT1_PNSt15iterator_traitsISK_E10value_typeET2_T3_PNSL_ISQ_E10value_typeET4_jRbjT5_SW_jjP12ihipStream_tbEUlT_E0_NS1_11comp_targetILNS1_3genE4ELNS1_11target_archE910ELNS1_3gpuE8ELNS1_3repE0EEENS1_60segmented_radix_sort_warp_sort_medium_config_static_selectorELNS0_4arch9wavefront6targetE0EEEvSK_.kd
    .uniform_work_group_size: 1
    .uses_dynamic_stack: false
    .vgpr_count:     0
    .vgpr_spill_count: 0
    .wavefront_size: 32
    .workgroup_processor_mode: 1
  - .args:
      - .offset:         0
        .size:           88
        .value_kind:     by_value
    .group_segment_fixed_size: 0
    .kernarg_segment_align: 8
    .kernarg_segment_size: 88
    .language:       OpenCL C
    .language_version:
      - 2
      - 0
    .max_flat_workgroup_size: 256
    .name:           _ZN7rocprim17ROCPRIM_400000_NS6detail17trampoline_kernelINS0_14default_configENS1_36segmented_radix_sort_config_selectorIslEEZNS1_25segmented_radix_sort_implIS3_Lb1EPKsPsPKlPlN2at6native12_GLOBAL__N_18offset_tEEE10hipError_tPvRmT1_PNSt15iterator_traitsISK_E10value_typeET2_T3_PNSL_ISQ_E10value_typeET4_jRbjT5_SW_jjP12ihipStream_tbEUlT_E0_NS1_11comp_targetILNS1_3genE3ELNS1_11target_archE908ELNS1_3gpuE7ELNS1_3repE0EEENS1_60segmented_radix_sort_warp_sort_medium_config_static_selectorELNS0_4arch9wavefront6targetE0EEEvSK_
    .private_segment_fixed_size: 0
    .sgpr_count:     0
    .sgpr_spill_count: 0
    .symbol:         _ZN7rocprim17ROCPRIM_400000_NS6detail17trampoline_kernelINS0_14default_configENS1_36segmented_radix_sort_config_selectorIslEEZNS1_25segmented_radix_sort_implIS3_Lb1EPKsPsPKlPlN2at6native12_GLOBAL__N_18offset_tEEE10hipError_tPvRmT1_PNSt15iterator_traitsISK_E10value_typeET2_T3_PNSL_ISQ_E10value_typeET4_jRbjT5_SW_jjP12ihipStream_tbEUlT_E0_NS1_11comp_targetILNS1_3genE3ELNS1_11target_archE908ELNS1_3gpuE7ELNS1_3repE0EEENS1_60segmented_radix_sort_warp_sort_medium_config_static_selectorELNS0_4arch9wavefront6targetE0EEEvSK_.kd
    .uniform_work_group_size: 1
    .uses_dynamic_stack: false
    .vgpr_count:     0
    .vgpr_spill_count: 0
    .wavefront_size: 32
    .workgroup_processor_mode: 1
  - .args:
      - .offset:         0
        .size:           88
        .value_kind:     by_value
    .group_segment_fixed_size: 0
    .kernarg_segment_align: 8
    .kernarg_segment_size: 88
    .language:       OpenCL C
    .language_version:
      - 2
      - 0
    .max_flat_workgroup_size: 256
    .name:           _ZN7rocprim17ROCPRIM_400000_NS6detail17trampoline_kernelINS0_14default_configENS1_36segmented_radix_sort_config_selectorIslEEZNS1_25segmented_radix_sort_implIS3_Lb1EPKsPsPKlPlN2at6native12_GLOBAL__N_18offset_tEEE10hipError_tPvRmT1_PNSt15iterator_traitsISK_E10value_typeET2_T3_PNSL_ISQ_E10value_typeET4_jRbjT5_SW_jjP12ihipStream_tbEUlT_E0_NS1_11comp_targetILNS1_3genE2ELNS1_11target_archE906ELNS1_3gpuE6ELNS1_3repE0EEENS1_60segmented_radix_sort_warp_sort_medium_config_static_selectorELNS0_4arch9wavefront6targetE0EEEvSK_
    .private_segment_fixed_size: 0
    .sgpr_count:     0
    .sgpr_spill_count: 0
    .symbol:         _ZN7rocprim17ROCPRIM_400000_NS6detail17trampoline_kernelINS0_14default_configENS1_36segmented_radix_sort_config_selectorIslEEZNS1_25segmented_radix_sort_implIS3_Lb1EPKsPsPKlPlN2at6native12_GLOBAL__N_18offset_tEEE10hipError_tPvRmT1_PNSt15iterator_traitsISK_E10value_typeET2_T3_PNSL_ISQ_E10value_typeET4_jRbjT5_SW_jjP12ihipStream_tbEUlT_E0_NS1_11comp_targetILNS1_3genE2ELNS1_11target_archE906ELNS1_3gpuE6ELNS1_3repE0EEENS1_60segmented_radix_sort_warp_sort_medium_config_static_selectorELNS0_4arch9wavefront6targetE0EEEvSK_.kd
    .uniform_work_group_size: 1
    .uses_dynamic_stack: false
    .vgpr_count:     0
    .vgpr_spill_count: 0
    .wavefront_size: 32
    .workgroup_processor_mode: 1
  - .args:
      - .offset:         0
        .size:           88
        .value_kind:     by_value
      - .offset:         88
        .size:           4
        .value_kind:     hidden_block_count_x
      - .offset:         92
        .size:           4
        .value_kind:     hidden_block_count_y
      - .offset:         96
        .size:           4
        .value_kind:     hidden_block_count_z
      - .offset:         100
        .size:           2
        .value_kind:     hidden_group_size_x
      - .offset:         102
        .size:           2
        .value_kind:     hidden_group_size_y
      - .offset:         104
        .size:           2
        .value_kind:     hidden_group_size_z
      - .offset:         106
        .size:           2
        .value_kind:     hidden_remainder_x
      - .offset:         108
        .size:           2
        .value_kind:     hidden_remainder_y
      - .offset:         110
        .size:           2
        .value_kind:     hidden_remainder_z
      - .offset:         128
        .size:           8
        .value_kind:     hidden_global_offset_x
      - .offset:         136
        .size:           8
        .value_kind:     hidden_global_offset_y
      - .offset:         144
        .size:           8
        .value_kind:     hidden_global_offset_z
      - .offset:         152
        .size:           2
        .value_kind:     hidden_grid_dims
    .group_segment_fixed_size: 20480
    .kernarg_segment_align: 8
    .kernarg_segment_size: 344
    .language:       OpenCL C
    .language_version:
      - 2
      - 0
    .max_flat_workgroup_size: 256
    .name:           _ZN7rocprim17ROCPRIM_400000_NS6detail17trampoline_kernelINS0_14default_configENS1_36segmented_radix_sort_config_selectorIslEEZNS1_25segmented_radix_sort_implIS3_Lb1EPKsPsPKlPlN2at6native12_GLOBAL__N_18offset_tEEE10hipError_tPvRmT1_PNSt15iterator_traitsISK_E10value_typeET2_T3_PNSL_ISQ_E10value_typeET4_jRbjT5_SW_jjP12ihipStream_tbEUlT_E0_NS1_11comp_targetILNS1_3genE10ELNS1_11target_archE1201ELNS1_3gpuE5ELNS1_3repE0EEENS1_60segmented_radix_sort_warp_sort_medium_config_static_selectorELNS0_4arch9wavefront6targetE0EEEvSK_
    .private_segment_fixed_size: 0
    .sgpr_count:     46
    .sgpr_spill_count: 0
    .symbol:         _ZN7rocprim17ROCPRIM_400000_NS6detail17trampoline_kernelINS0_14default_configENS1_36segmented_radix_sort_config_selectorIslEEZNS1_25segmented_radix_sort_implIS3_Lb1EPKsPsPKlPlN2at6native12_GLOBAL__N_18offset_tEEE10hipError_tPvRmT1_PNSt15iterator_traitsISK_E10value_typeET2_T3_PNSL_ISQ_E10value_typeET4_jRbjT5_SW_jjP12ihipStream_tbEUlT_E0_NS1_11comp_targetILNS1_3genE10ELNS1_11target_archE1201ELNS1_3gpuE5ELNS1_3repE0EEENS1_60segmented_radix_sort_warp_sort_medium_config_static_selectorELNS0_4arch9wavefront6targetE0EEEvSK_.kd
    .uniform_work_group_size: 1
    .uses_dynamic_stack: false
    .vgpr_count:     81
    .vgpr_spill_count: 0
    .wavefront_size: 32
    .workgroup_processor_mode: 1
  - .args:
      - .offset:         0
        .size:           88
        .value_kind:     by_value
    .group_segment_fixed_size: 0
    .kernarg_segment_align: 8
    .kernarg_segment_size: 88
    .language:       OpenCL C
    .language_version:
      - 2
      - 0
    .max_flat_workgroup_size: 256
    .name:           _ZN7rocprim17ROCPRIM_400000_NS6detail17trampoline_kernelINS0_14default_configENS1_36segmented_radix_sort_config_selectorIslEEZNS1_25segmented_radix_sort_implIS3_Lb1EPKsPsPKlPlN2at6native12_GLOBAL__N_18offset_tEEE10hipError_tPvRmT1_PNSt15iterator_traitsISK_E10value_typeET2_T3_PNSL_ISQ_E10value_typeET4_jRbjT5_SW_jjP12ihipStream_tbEUlT_E0_NS1_11comp_targetILNS1_3genE10ELNS1_11target_archE1200ELNS1_3gpuE4ELNS1_3repE0EEENS1_60segmented_radix_sort_warp_sort_medium_config_static_selectorELNS0_4arch9wavefront6targetE0EEEvSK_
    .private_segment_fixed_size: 0
    .sgpr_count:     0
    .sgpr_spill_count: 0
    .symbol:         _ZN7rocprim17ROCPRIM_400000_NS6detail17trampoline_kernelINS0_14default_configENS1_36segmented_radix_sort_config_selectorIslEEZNS1_25segmented_radix_sort_implIS3_Lb1EPKsPsPKlPlN2at6native12_GLOBAL__N_18offset_tEEE10hipError_tPvRmT1_PNSt15iterator_traitsISK_E10value_typeET2_T3_PNSL_ISQ_E10value_typeET4_jRbjT5_SW_jjP12ihipStream_tbEUlT_E0_NS1_11comp_targetILNS1_3genE10ELNS1_11target_archE1200ELNS1_3gpuE4ELNS1_3repE0EEENS1_60segmented_radix_sort_warp_sort_medium_config_static_selectorELNS0_4arch9wavefront6targetE0EEEvSK_.kd
    .uniform_work_group_size: 1
    .uses_dynamic_stack: false
    .vgpr_count:     0
    .vgpr_spill_count: 0
    .wavefront_size: 32
    .workgroup_processor_mode: 1
  - .args:
      - .offset:         0
        .size:           88
        .value_kind:     by_value
    .group_segment_fixed_size: 0
    .kernarg_segment_align: 8
    .kernarg_segment_size: 88
    .language:       OpenCL C
    .language_version:
      - 2
      - 0
    .max_flat_workgroup_size: 256
    .name:           _ZN7rocprim17ROCPRIM_400000_NS6detail17trampoline_kernelINS0_14default_configENS1_36segmented_radix_sort_config_selectorIslEEZNS1_25segmented_radix_sort_implIS3_Lb1EPKsPsPKlPlN2at6native12_GLOBAL__N_18offset_tEEE10hipError_tPvRmT1_PNSt15iterator_traitsISK_E10value_typeET2_T3_PNSL_ISQ_E10value_typeET4_jRbjT5_SW_jjP12ihipStream_tbEUlT_E0_NS1_11comp_targetILNS1_3genE9ELNS1_11target_archE1100ELNS1_3gpuE3ELNS1_3repE0EEENS1_60segmented_radix_sort_warp_sort_medium_config_static_selectorELNS0_4arch9wavefront6targetE0EEEvSK_
    .private_segment_fixed_size: 0
    .sgpr_count:     0
    .sgpr_spill_count: 0
    .symbol:         _ZN7rocprim17ROCPRIM_400000_NS6detail17trampoline_kernelINS0_14default_configENS1_36segmented_radix_sort_config_selectorIslEEZNS1_25segmented_radix_sort_implIS3_Lb1EPKsPsPKlPlN2at6native12_GLOBAL__N_18offset_tEEE10hipError_tPvRmT1_PNSt15iterator_traitsISK_E10value_typeET2_T3_PNSL_ISQ_E10value_typeET4_jRbjT5_SW_jjP12ihipStream_tbEUlT_E0_NS1_11comp_targetILNS1_3genE9ELNS1_11target_archE1100ELNS1_3gpuE3ELNS1_3repE0EEENS1_60segmented_radix_sort_warp_sort_medium_config_static_selectorELNS0_4arch9wavefront6targetE0EEEvSK_.kd
    .uniform_work_group_size: 1
    .uses_dynamic_stack: false
    .vgpr_count:     0
    .vgpr_spill_count: 0
    .wavefront_size: 32
    .workgroup_processor_mode: 1
  - .args:
      - .offset:         0
        .size:           88
        .value_kind:     by_value
    .group_segment_fixed_size: 0
    .kernarg_segment_align: 8
    .kernarg_segment_size: 88
    .language:       OpenCL C
    .language_version:
      - 2
      - 0
    .max_flat_workgroup_size: 256
    .name:           _ZN7rocprim17ROCPRIM_400000_NS6detail17trampoline_kernelINS0_14default_configENS1_36segmented_radix_sort_config_selectorIslEEZNS1_25segmented_radix_sort_implIS3_Lb1EPKsPsPKlPlN2at6native12_GLOBAL__N_18offset_tEEE10hipError_tPvRmT1_PNSt15iterator_traitsISK_E10value_typeET2_T3_PNSL_ISQ_E10value_typeET4_jRbjT5_SW_jjP12ihipStream_tbEUlT_E0_NS1_11comp_targetILNS1_3genE8ELNS1_11target_archE1030ELNS1_3gpuE2ELNS1_3repE0EEENS1_60segmented_radix_sort_warp_sort_medium_config_static_selectorELNS0_4arch9wavefront6targetE0EEEvSK_
    .private_segment_fixed_size: 0
    .sgpr_count:     0
    .sgpr_spill_count: 0
    .symbol:         _ZN7rocprim17ROCPRIM_400000_NS6detail17trampoline_kernelINS0_14default_configENS1_36segmented_radix_sort_config_selectorIslEEZNS1_25segmented_radix_sort_implIS3_Lb1EPKsPsPKlPlN2at6native12_GLOBAL__N_18offset_tEEE10hipError_tPvRmT1_PNSt15iterator_traitsISK_E10value_typeET2_T3_PNSL_ISQ_E10value_typeET4_jRbjT5_SW_jjP12ihipStream_tbEUlT_E0_NS1_11comp_targetILNS1_3genE8ELNS1_11target_archE1030ELNS1_3gpuE2ELNS1_3repE0EEENS1_60segmented_radix_sort_warp_sort_medium_config_static_selectorELNS0_4arch9wavefront6targetE0EEEvSK_.kd
    .uniform_work_group_size: 1
    .uses_dynamic_stack: false
    .vgpr_count:     0
    .vgpr_spill_count: 0
    .wavefront_size: 32
    .workgroup_processor_mode: 1
  - .args:
      - .offset:         0
        .size:           88
        .value_kind:     by_value
    .group_segment_fixed_size: 0
    .kernarg_segment_align: 8
    .kernarg_segment_size: 88
    .language:       OpenCL C
    .language_version:
      - 2
      - 0
    .max_flat_workgroup_size: 256
    .name:           _ZN7rocprim17ROCPRIM_400000_NS6detail17trampoline_kernelINS0_14default_configENS1_36segmented_radix_sort_config_selectorIslEEZNS1_25segmented_radix_sort_implIS3_Lb1EPKsPsPKlPlN2at6native12_GLOBAL__N_18offset_tEEE10hipError_tPvRmT1_PNSt15iterator_traitsISK_E10value_typeET2_T3_PNSL_ISQ_E10value_typeET4_jRbjT5_SW_jjP12ihipStream_tbEUlT_E1_NS1_11comp_targetILNS1_3genE0ELNS1_11target_archE4294967295ELNS1_3gpuE0ELNS1_3repE0EEENS1_59segmented_radix_sort_warp_sort_small_config_static_selectorELNS0_4arch9wavefront6targetE0EEEvSK_
    .private_segment_fixed_size: 0
    .sgpr_count:     0
    .sgpr_spill_count: 0
    .symbol:         _ZN7rocprim17ROCPRIM_400000_NS6detail17trampoline_kernelINS0_14default_configENS1_36segmented_radix_sort_config_selectorIslEEZNS1_25segmented_radix_sort_implIS3_Lb1EPKsPsPKlPlN2at6native12_GLOBAL__N_18offset_tEEE10hipError_tPvRmT1_PNSt15iterator_traitsISK_E10value_typeET2_T3_PNSL_ISQ_E10value_typeET4_jRbjT5_SW_jjP12ihipStream_tbEUlT_E1_NS1_11comp_targetILNS1_3genE0ELNS1_11target_archE4294967295ELNS1_3gpuE0ELNS1_3repE0EEENS1_59segmented_radix_sort_warp_sort_small_config_static_selectorELNS0_4arch9wavefront6targetE0EEEvSK_.kd
    .uniform_work_group_size: 1
    .uses_dynamic_stack: false
    .vgpr_count:     0
    .vgpr_spill_count: 0
    .wavefront_size: 32
    .workgroup_processor_mode: 1
  - .args:
      - .offset:         0
        .size:           88
        .value_kind:     by_value
    .group_segment_fixed_size: 0
    .kernarg_segment_align: 8
    .kernarg_segment_size: 88
    .language:       OpenCL C
    .language_version:
      - 2
      - 0
    .max_flat_workgroup_size: 256
    .name:           _ZN7rocprim17ROCPRIM_400000_NS6detail17trampoline_kernelINS0_14default_configENS1_36segmented_radix_sort_config_selectorIslEEZNS1_25segmented_radix_sort_implIS3_Lb1EPKsPsPKlPlN2at6native12_GLOBAL__N_18offset_tEEE10hipError_tPvRmT1_PNSt15iterator_traitsISK_E10value_typeET2_T3_PNSL_ISQ_E10value_typeET4_jRbjT5_SW_jjP12ihipStream_tbEUlT_E1_NS1_11comp_targetILNS1_3genE5ELNS1_11target_archE942ELNS1_3gpuE9ELNS1_3repE0EEENS1_59segmented_radix_sort_warp_sort_small_config_static_selectorELNS0_4arch9wavefront6targetE0EEEvSK_
    .private_segment_fixed_size: 0
    .sgpr_count:     0
    .sgpr_spill_count: 0
    .symbol:         _ZN7rocprim17ROCPRIM_400000_NS6detail17trampoline_kernelINS0_14default_configENS1_36segmented_radix_sort_config_selectorIslEEZNS1_25segmented_radix_sort_implIS3_Lb1EPKsPsPKlPlN2at6native12_GLOBAL__N_18offset_tEEE10hipError_tPvRmT1_PNSt15iterator_traitsISK_E10value_typeET2_T3_PNSL_ISQ_E10value_typeET4_jRbjT5_SW_jjP12ihipStream_tbEUlT_E1_NS1_11comp_targetILNS1_3genE5ELNS1_11target_archE942ELNS1_3gpuE9ELNS1_3repE0EEENS1_59segmented_radix_sort_warp_sort_small_config_static_selectorELNS0_4arch9wavefront6targetE0EEEvSK_.kd
    .uniform_work_group_size: 1
    .uses_dynamic_stack: false
    .vgpr_count:     0
    .vgpr_spill_count: 0
    .wavefront_size: 32
    .workgroup_processor_mode: 1
  - .args:
      - .offset:         0
        .size:           88
        .value_kind:     by_value
    .group_segment_fixed_size: 0
    .kernarg_segment_align: 8
    .kernarg_segment_size: 88
    .language:       OpenCL C
    .language_version:
      - 2
      - 0
    .max_flat_workgroup_size: 256
    .name:           _ZN7rocprim17ROCPRIM_400000_NS6detail17trampoline_kernelINS0_14default_configENS1_36segmented_radix_sort_config_selectorIslEEZNS1_25segmented_radix_sort_implIS3_Lb1EPKsPsPKlPlN2at6native12_GLOBAL__N_18offset_tEEE10hipError_tPvRmT1_PNSt15iterator_traitsISK_E10value_typeET2_T3_PNSL_ISQ_E10value_typeET4_jRbjT5_SW_jjP12ihipStream_tbEUlT_E1_NS1_11comp_targetILNS1_3genE4ELNS1_11target_archE910ELNS1_3gpuE8ELNS1_3repE0EEENS1_59segmented_radix_sort_warp_sort_small_config_static_selectorELNS0_4arch9wavefront6targetE0EEEvSK_
    .private_segment_fixed_size: 0
    .sgpr_count:     0
    .sgpr_spill_count: 0
    .symbol:         _ZN7rocprim17ROCPRIM_400000_NS6detail17trampoline_kernelINS0_14default_configENS1_36segmented_radix_sort_config_selectorIslEEZNS1_25segmented_radix_sort_implIS3_Lb1EPKsPsPKlPlN2at6native12_GLOBAL__N_18offset_tEEE10hipError_tPvRmT1_PNSt15iterator_traitsISK_E10value_typeET2_T3_PNSL_ISQ_E10value_typeET4_jRbjT5_SW_jjP12ihipStream_tbEUlT_E1_NS1_11comp_targetILNS1_3genE4ELNS1_11target_archE910ELNS1_3gpuE8ELNS1_3repE0EEENS1_59segmented_radix_sort_warp_sort_small_config_static_selectorELNS0_4arch9wavefront6targetE0EEEvSK_.kd
    .uniform_work_group_size: 1
    .uses_dynamic_stack: false
    .vgpr_count:     0
    .vgpr_spill_count: 0
    .wavefront_size: 32
    .workgroup_processor_mode: 1
  - .args:
      - .offset:         0
        .size:           88
        .value_kind:     by_value
    .group_segment_fixed_size: 0
    .kernarg_segment_align: 8
    .kernarg_segment_size: 88
    .language:       OpenCL C
    .language_version:
      - 2
      - 0
    .max_flat_workgroup_size: 256
    .name:           _ZN7rocprim17ROCPRIM_400000_NS6detail17trampoline_kernelINS0_14default_configENS1_36segmented_radix_sort_config_selectorIslEEZNS1_25segmented_radix_sort_implIS3_Lb1EPKsPsPKlPlN2at6native12_GLOBAL__N_18offset_tEEE10hipError_tPvRmT1_PNSt15iterator_traitsISK_E10value_typeET2_T3_PNSL_ISQ_E10value_typeET4_jRbjT5_SW_jjP12ihipStream_tbEUlT_E1_NS1_11comp_targetILNS1_3genE3ELNS1_11target_archE908ELNS1_3gpuE7ELNS1_3repE0EEENS1_59segmented_radix_sort_warp_sort_small_config_static_selectorELNS0_4arch9wavefront6targetE0EEEvSK_
    .private_segment_fixed_size: 0
    .sgpr_count:     0
    .sgpr_spill_count: 0
    .symbol:         _ZN7rocprim17ROCPRIM_400000_NS6detail17trampoline_kernelINS0_14default_configENS1_36segmented_radix_sort_config_selectorIslEEZNS1_25segmented_radix_sort_implIS3_Lb1EPKsPsPKlPlN2at6native12_GLOBAL__N_18offset_tEEE10hipError_tPvRmT1_PNSt15iterator_traitsISK_E10value_typeET2_T3_PNSL_ISQ_E10value_typeET4_jRbjT5_SW_jjP12ihipStream_tbEUlT_E1_NS1_11comp_targetILNS1_3genE3ELNS1_11target_archE908ELNS1_3gpuE7ELNS1_3repE0EEENS1_59segmented_radix_sort_warp_sort_small_config_static_selectorELNS0_4arch9wavefront6targetE0EEEvSK_.kd
    .uniform_work_group_size: 1
    .uses_dynamic_stack: false
    .vgpr_count:     0
    .vgpr_spill_count: 0
    .wavefront_size: 32
    .workgroup_processor_mode: 1
  - .args:
      - .offset:         0
        .size:           88
        .value_kind:     by_value
    .group_segment_fixed_size: 0
    .kernarg_segment_align: 8
    .kernarg_segment_size: 88
    .language:       OpenCL C
    .language_version:
      - 2
      - 0
    .max_flat_workgroup_size: 256
    .name:           _ZN7rocprim17ROCPRIM_400000_NS6detail17trampoline_kernelINS0_14default_configENS1_36segmented_radix_sort_config_selectorIslEEZNS1_25segmented_radix_sort_implIS3_Lb1EPKsPsPKlPlN2at6native12_GLOBAL__N_18offset_tEEE10hipError_tPvRmT1_PNSt15iterator_traitsISK_E10value_typeET2_T3_PNSL_ISQ_E10value_typeET4_jRbjT5_SW_jjP12ihipStream_tbEUlT_E1_NS1_11comp_targetILNS1_3genE2ELNS1_11target_archE906ELNS1_3gpuE6ELNS1_3repE0EEENS1_59segmented_radix_sort_warp_sort_small_config_static_selectorELNS0_4arch9wavefront6targetE0EEEvSK_
    .private_segment_fixed_size: 0
    .sgpr_count:     0
    .sgpr_spill_count: 0
    .symbol:         _ZN7rocprim17ROCPRIM_400000_NS6detail17trampoline_kernelINS0_14default_configENS1_36segmented_radix_sort_config_selectorIslEEZNS1_25segmented_radix_sort_implIS3_Lb1EPKsPsPKlPlN2at6native12_GLOBAL__N_18offset_tEEE10hipError_tPvRmT1_PNSt15iterator_traitsISK_E10value_typeET2_T3_PNSL_ISQ_E10value_typeET4_jRbjT5_SW_jjP12ihipStream_tbEUlT_E1_NS1_11comp_targetILNS1_3genE2ELNS1_11target_archE906ELNS1_3gpuE6ELNS1_3repE0EEENS1_59segmented_radix_sort_warp_sort_small_config_static_selectorELNS0_4arch9wavefront6targetE0EEEvSK_.kd
    .uniform_work_group_size: 1
    .uses_dynamic_stack: false
    .vgpr_count:     0
    .vgpr_spill_count: 0
    .wavefront_size: 32
    .workgroup_processor_mode: 1
  - .args:
      - .offset:         0
        .size:           88
        .value_kind:     by_value
      - .offset:         88
        .size:           4
        .value_kind:     hidden_block_count_x
      - .offset:         92
        .size:           4
        .value_kind:     hidden_block_count_y
      - .offset:         96
        .size:           4
        .value_kind:     hidden_block_count_z
      - .offset:         100
        .size:           2
        .value_kind:     hidden_group_size_x
      - .offset:         102
        .size:           2
        .value_kind:     hidden_group_size_y
      - .offset:         104
        .size:           2
        .value_kind:     hidden_group_size_z
      - .offset:         106
        .size:           2
        .value_kind:     hidden_remainder_x
      - .offset:         108
        .size:           2
        .value_kind:     hidden_remainder_y
      - .offset:         110
        .size:           2
        .value_kind:     hidden_remainder_z
      - .offset:         128
        .size:           8
        .value_kind:     hidden_global_offset_x
      - .offset:         136
        .size:           8
        .value_kind:     hidden_global_offset_y
      - .offset:         144
        .size:           8
        .value_kind:     hidden_global_offset_z
      - .offset:         152
        .size:           2
        .value_kind:     hidden_grid_dims
    .group_segment_fixed_size: 10240
    .kernarg_segment_align: 8
    .kernarg_segment_size: 344
    .language:       OpenCL C
    .language_version:
      - 2
      - 0
    .max_flat_workgroup_size: 256
    .name:           _ZN7rocprim17ROCPRIM_400000_NS6detail17trampoline_kernelINS0_14default_configENS1_36segmented_radix_sort_config_selectorIslEEZNS1_25segmented_radix_sort_implIS3_Lb1EPKsPsPKlPlN2at6native12_GLOBAL__N_18offset_tEEE10hipError_tPvRmT1_PNSt15iterator_traitsISK_E10value_typeET2_T3_PNSL_ISQ_E10value_typeET4_jRbjT5_SW_jjP12ihipStream_tbEUlT_E1_NS1_11comp_targetILNS1_3genE10ELNS1_11target_archE1201ELNS1_3gpuE5ELNS1_3repE0EEENS1_59segmented_radix_sort_warp_sort_small_config_static_selectorELNS0_4arch9wavefront6targetE0EEEvSK_
    .private_segment_fixed_size: 0
    .sgpr_count:     35
    .sgpr_spill_count: 0
    .symbol:         _ZN7rocprim17ROCPRIM_400000_NS6detail17trampoline_kernelINS0_14default_configENS1_36segmented_radix_sort_config_selectorIslEEZNS1_25segmented_radix_sort_implIS3_Lb1EPKsPsPKlPlN2at6native12_GLOBAL__N_18offset_tEEE10hipError_tPvRmT1_PNSt15iterator_traitsISK_E10value_typeET2_T3_PNSL_ISQ_E10value_typeET4_jRbjT5_SW_jjP12ihipStream_tbEUlT_E1_NS1_11comp_targetILNS1_3genE10ELNS1_11target_archE1201ELNS1_3gpuE5ELNS1_3repE0EEENS1_59segmented_radix_sort_warp_sort_small_config_static_selectorELNS0_4arch9wavefront6targetE0EEEvSK_.kd
    .uniform_work_group_size: 1
    .uses_dynamic_stack: false
    .vgpr_count:     56
    .vgpr_spill_count: 0
    .wavefront_size: 32
    .workgroup_processor_mode: 1
  - .args:
      - .offset:         0
        .size:           88
        .value_kind:     by_value
    .group_segment_fixed_size: 0
    .kernarg_segment_align: 8
    .kernarg_segment_size: 88
    .language:       OpenCL C
    .language_version:
      - 2
      - 0
    .max_flat_workgroup_size: 256
    .name:           _ZN7rocprim17ROCPRIM_400000_NS6detail17trampoline_kernelINS0_14default_configENS1_36segmented_radix_sort_config_selectorIslEEZNS1_25segmented_radix_sort_implIS3_Lb1EPKsPsPKlPlN2at6native12_GLOBAL__N_18offset_tEEE10hipError_tPvRmT1_PNSt15iterator_traitsISK_E10value_typeET2_T3_PNSL_ISQ_E10value_typeET4_jRbjT5_SW_jjP12ihipStream_tbEUlT_E1_NS1_11comp_targetILNS1_3genE10ELNS1_11target_archE1200ELNS1_3gpuE4ELNS1_3repE0EEENS1_59segmented_radix_sort_warp_sort_small_config_static_selectorELNS0_4arch9wavefront6targetE0EEEvSK_
    .private_segment_fixed_size: 0
    .sgpr_count:     0
    .sgpr_spill_count: 0
    .symbol:         _ZN7rocprim17ROCPRIM_400000_NS6detail17trampoline_kernelINS0_14default_configENS1_36segmented_radix_sort_config_selectorIslEEZNS1_25segmented_radix_sort_implIS3_Lb1EPKsPsPKlPlN2at6native12_GLOBAL__N_18offset_tEEE10hipError_tPvRmT1_PNSt15iterator_traitsISK_E10value_typeET2_T3_PNSL_ISQ_E10value_typeET4_jRbjT5_SW_jjP12ihipStream_tbEUlT_E1_NS1_11comp_targetILNS1_3genE10ELNS1_11target_archE1200ELNS1_3gpuE4ELNS1_3repE0EEENS1_59segmented_radix_sort_warp_sort_small_config_static_selectorELNS0_4arch9wavefront6targetE0EEEvSK_.kd
    .uniform_work_group_size: 1
    .uses_dynamic_stack: false
    .vgpr_count:     0
    .vgpr_spill_count: 0
    .wavefront_size: 32
    .workgroup_processor_mode: 1
  - .args:
      - .offset:         0
        .size:           88
        .value_kind:     by_value
    .group_segment_fixed_size: 0
    .kernarg_segment_align: 8
    .kernarg_segment_size: 88
    .language:       OpenCL C
    .language_version:
      - 2
      - 0
    .max_flat_workgroup_size: 256
    .name:           _ZN7rocprim17ROCPRIM_400000_NS6detail17trampoline_kernelINS0_14default_configENS1_36segmented_radix_sort_config_selectorIslEEZNS1_25segmented_radix_sort_implIS3_Lb1EPKsPsPKlPlN2at6native12_GLOBAL__N_18offset_tEEE10hipError_tPvRmT1_PNSt15iterator_traitsISK_E10value_typeET2_T3_PNSL_ISQ_E10value_typeET4_jRbjT5_SW_jjP12ihipStream_tbEUlT_E1_NS1_11comp_targetILNS1_3genE9ELNS1_11target_archE1100ELNS1_3gpuE3ELNS1_3repE0EEENS1_59segmented_radix_sort_warp_sort_small_config_static_selectorELNS0_4arch9wavefront6targetE0EEEvSK_
    .private_segment_fixed_size: 0
    .sgpr_count:     0
    .sgpr_spill_count: 0
    .symbol:         _ZN7rocprim17ROCPRIM_400000_NS6detail17trampoline_kernelINS0_14default_configENS1_36segmented_radix_sort_config_selectorIslEEZNS1_25segmented_radix_sort_implIS3_Lb1EPKsPsPKlPlN2at6native12_GLOBAL__N_18offset_tEEE10hipError_tPvRmT1_PNSt15iterator_traitsISK_E10value_typeET2_T3_PNSL_ISQ_E10value_typeET4_jRbjT5_SW_jjP12ihipStream_tbEUlT_E1_NS1_11comp_targetILNS1_3genE9ELNS1_11target_archE1100ELNS1_3gpuE3ELNS1_3repE0EEENS1_59segmented_radix_sort_warp_sort_small_config_static_selectorELNS0_4arch9wavefront6targetE0EEEvSK_.kd
    .uniform_work_group_size: 1
    .uses_dynamic_stack: false
    .vgpr_count:     0
    .vgpr_spill_count: 0
    .wavefront_size: 32
    .workgroup_processor_mode: 1
  - .args:
      - .offset:         0
        .size:           88
        .value_kind:     by_value
    .group_segment_fixed_size: 0
    .kernarg_segment_align: 8
    .kernarg_segment_size: 88
    .language:       OpenCL C
    .language_version:
      - 2
      - 0
    .max_flat_workgroup_size: 256
    .name:           _ZN7rocprim17ROCPRIM_400000_NS6detail17trampoline_kernelINS0_14default_configENS1_36segmented_radix_sort_config_selectorIslEEZNS1_25segmented_radix_sort_implIS3_Lb1EPKsPsPKlPlN2at6native12_GLOBAL__N_18offset_tEEE10hipError_tPvRmT1_PNSt15iterator_traitsISK_E10value_typeET2_T3_PNSL_ISQ_E10value_typeET4_jRbjT5_SW_jjP12ihipStream_tbEUlT_E1_NS1_11comp_targetILNS1_3genE8ELNS1_11target_archE1030ELNS1_3gpuE2ELNS1_3repE0EEENS1_59segmented_radix_sort_warp_sort_small_config_static_selectorELNS0_4arch9wavefront6targetE0EEEvSK_
    .private_segment_fixed_size: 0
    .sgpr_count:     0
    .sgpr_spill_count: 0
    .symbol:         _ZN7rocprim17ROCPRIM_400000_NS6detail17trampoline_kernelINS0_14default_configENS1_36segmented_radix_sort_config_selectorIslEEZNS1_25segmented_radix_sort_implIS3_Lb1EPKsPsPKlPlN2at6native12_GLOBAL__N_18offset_tEEE10hipError_tPvRmT1_PNSt15iterator_traitsISK_E10value_typeET2_T3_PNSL_ISQ_E10value_typeET4_jRbjT5_SW_jjP12ihipStream_tbEUlT_E1_NS1_11comp_targetILNS1_3genE8ELNS1_11target_archE1030ELNS1_3gpuE2ELNS1_3repE0EEENS1_59segmented_radix_sort_warp_sort_small_config_static_selectorELNS0_4arch9wavefront6targetE0EEEvSK_.kd
    .uniform_work_group_size: 1
    .uses_dynamic_stack: false
    .vgpr_count:     0
    .vgpr_spill_count: 0
    .wavefront_size: 32
    .workgroup_processor_mode: 1
  - .args:
      - .offset:         0
        .size:           80
        .value_kind:     by_value
    .group_segment_fixed_size: 0
    .kernarg_segment_align: 8
    .kernarg_segment_size: 80
    .language:       OpenCL C
    .language_version:
      - 2
      - 0
    .max_flat_workgroup_size: 256
    .name:           _ZN7rocprim17ROCPRIM_400000_NS6detail17trampoline_kernelINS0_14default_configENS1_36segmented_radix_sort_config_selectorIslEEZNS1_25segmented_radix_sort_implIS3_Lb1EPKsPsPKlPlN2at6native12_GLOBAL__N_18offset_tEEE10hipError_tPvRmT1_PNSt15iterator_traitsISK_E10value_typeET2_T3_PNSL_ISQ_E10value_typeET4_jRbjT5_SW_jjP12ihipStream_tbEUlT_E2_NS1_11comp_targetILNS1_3genE0ELNS1_11target_archE4294967295ELNS1_3gpuE0ELNS1_3repE0EEENS1_30default_config_static_selectorELNS0_4arch9wavefront6targetE0EEEvSK_
    .private_segment_fixed_size: 0
    .sgpr_count:     0
    .sgpr_spill_count: 0
    .symbol:         _ZN7rocprim17ROCPRIM_400000_NS6detail17trampoline_kernelINS0_14default_configENS1_36segmented_radix_sort_config_selectorIslEEZNS1_25segmented_radix_sort_implIS3_Lb1EPKsPsPKlPlN2at6native12_GLOBAL__N_18offset_tEEE10hipError_tPvRmT1_PNSt15iterator_traitsISK_E10value_typeET2_T3_PNSL_ISQ_E10value_typeET4_jRbjT5_SW_jjP12ihipStream_tbEUlT_E2_NS1_11comp_targetILNS1_3genE0ELNS1_11target_archE4294967295ELNS1_3gpuE0ELNS1_3repE0EEENS1_30default_config_static_selectorELNS0_4arch9wavefront6targetE0EEEvSK_.kd
    .uniform_work_group_size: 1
    .uses_dynamic_stack: false
    .vgpr_count:     0
    .vgpr_spill_count: 0
    .wavefront_size: 32
    .workgroup_processor_mode: 1
  - .args:
      - .offset:         0
        .size:           80
        .value_kind:     by_value
    .group_segment_fixed_size: 0
    .kernarg_segment_align: 8
    .kernarg_segment_size: 80
    .language:       OpenCL C
    .language_version:
      - 2
      - 0
    .max_flat_workgroup_size: 256
    .name:           _ZN7rocprim17ROCPRIM_400000_NS6detail17trampoline_kernelINS0_14default_configENS1_36segmented_radix_sort_config_selectorIslEEZNS1_25segmented_radix_sort_implIS3_Lb1EPKsPsPKlPlN2at6native12_GLOBAL__N_18offset_tEEE10hipError_tPvRmT1_PNSt15iterator_traitsISK_E10value_typeET2_T3_PNSL_ISQ_E10value_typeET4_jRbjT5_SW_jjP12ihipStream_tbEUlT_E2_NS1_11comp_targetILNS1_3genE5ELNS1_11target_archE942ELNS1_3gpuE9ELNS1_3repE0EEENS1_30default_config_static_selectorELNS0_4arch9wavefront6targetE0EEEvSK_
    .private_segment_fixed_size: 0
    .sgpr_count:     0
    .sgpr_spill_count: 0
    .symbol:         _ZN7rocprim17ROCPRIM_400000_NS6detail17trampoline_kernelINS0_14default_configENS1_36segmented_radix_sort_config_selectorIslEEZNS1_25segmented_radix_sort_implIS3_Lb1EPKsPsPKlPlN2at6native12_GLOBAL__N_18offset_tEEE10hipError_tPvRmT1_PNSt15iterator_traitsISK_E10value_typeET2_T3_PNSL_ISQ_E10value_typeET4_jRbjT5_SW_jjP12ihipStream_tbEUlT_E2_NS1_11comp_targetILNS1_3genE5ELNS1_11target_archE942ELNS1_3gpuE9ELNS1_3repE0EEENS1_30default_config_static_selectorELNS0_4arch9wavefront6targetE0EEEvSK_.kd
    .uniform_work_group_size: 1
    .uses_dynamic_stack: false
    .vgpr_count:     0
    .vgpr_spill_count: 0
    .wavefront_size: 32
    .workgroup_processor_mode: 1
  - .args:
      - .offset:         0
        .size:           80
        .value_kind:     by_value
    .group_segment_fixed_size: 0
    .kernarg_segment_align: 8
    .kernarg_segment_size: 80
    .language:       OpenCL C
    .language_version:
      - 2
      - 0
    .max_flat_workgroup_size: 256
    .name:           _ZN7rocprim17ROCPRIM_400000_NS6detail17trampoline_kernelINS0_14default_configENS1_36segmented_radix_sort_config_selectorIslEEZNS1_25segmented_radix_sort_implIS3_Lb1EPKsPsPKlPlN2at6native12_GLOBAL__N_18offset_tEEE10hipError_tPvRmT1_PNSt15iterator_traitsISK_E10value_typeET2_T3_PNSL_ISQ_E10value_typeET4_jRbjT5_SW_jjP12ihipStream_tbEUlT_E2_NS1_11comp_targetILNS1_3genE4ELNS1_11target_archE910ELNS1_3gpuE8ELNS1_3repE0EEENS1_30default_config_static_selectorELNS0_4arch9wavefront6targetE0EEEvSK_
    .private_segment_fixed_size: 0
    .sgpr_count:     0
    .sgpr_spill_count: 0
    .symbol:         _ZN7rocprim17ROCPRIM_400000_NS6detail17trampoline_kernelINS0_14default_configENS1_36segmented_radix_sort_config_selectorIslEEZNS1_25segmented_radix_sort_implIS3_Lb1EPKsPsPKlPlN2at6native12_GLOBAL__N_18offset_tEEE10hipError_tPvRmT1_PNSt15iterator_traitsISK_E10value_typeET2_T3_PNSL_ISQ_E10value_typeET4_jRbjT5_SW_jjP12ihipStream_tbEUlT_E2_NS1_11comp_targetILNS1_3genE4ELNS1_11target_archE910ELNS1_3gpuE8ELNS1_3repE0EEENS1_30default_config_static_selectorELNS0_4arch9wavefront6targetE0EEEvSK_.kd
    .uniform_work_group_size: 1
    .uses_dynamic_stack: false
    .vgpr_count:     0
    .vgpr_spill_count: 0
    .wavefront_size: 32
    .workgroup_processor_mode: 1
  - .args:
      - .offset:         0
        .size:           80
        .value_kind:     by_value
    .group_segment_fixed_size: 0
    .kernarg_segment_align: 8
    .kernarg_segment_size: 80
    .language:       OpenCL C
    .language_version:
      - 2
      - 0
    .max_flat_workgroup_size: 256
    .name:           _ZN7rocprim17ROCPRIM_400000_NS6detail17trampoline_kernelINS0_14default_configENS1_36segmented_radix_sort_config_selectorIslEEZNS1_25segmented_radix_sort_implIS3_Lb1EPKsPsPKlPlN2at6native12_GLOBAL__N_18offset_tEEE10hipError_tPvRmT1_PNSt15iterator_traitsISK_E10value_typeET2_T3_PNSL_ISQ_E10value_typeET4_jRbjT5_SW_jjP12ihipStream_tbEUlT_E2_NS1_11comp_targetILNS1_3genE3ELNS1_11target_archE908ELNS1_3gpuE7ELNS1_3repE0EEENS1_30default_config_static_selectorELNS0_4arch9wavefront6targetE0EEEvSK_
    .private_segment_fixed_size: 0
    .sgpr_count:     0
    .sgpr_spill_count: 0
    .symbol:         _ZN7rocprim17ROCPRIM_400000_NS6detail17trampoline_kernelINS0_14default_configENS1_36segmented_radix_sort_config_selectorIslEEZNS1_25segmented_radix_sort_implIS3_Lb1EPKsPsPKlPlN2at6native12_GLOBAL__N_18offset_tEEE10hipError_tPvRmT1_PNSt15iterator_traitsISK_E10value_typeET2_T3_PNSL_ISQ_E10value_typeET4_jRbjT5_SW_jjP12ihipStream_tbEUlT_E2_NS1_11comp_targetILNS1_3genE3ELNS1_11target_archE908ELNS1_3gpuE7ELNS1_3repE0EEENS1_30default_config_static_selectorELNS0_4arch9wavefront6targetE0EEEvSK_.kd
    .uniform_work_group_size: 1
    .uses_dynamic_stack: false
    .vgpr_count:     0
    .vgpr_spill_count: 0
    .wavefront_size: 32
    .workgroup_processor_mode: 1
  - .args:
      - .offset:         0
        .size:           80
        .value_kind:     by_value
    .group_segment_fixed_size: 0
    .kernarg_segment_align: 8
    .kernarg_segment_size: 80
    .language:       OpenCL C
    .language_version:
      - 2
      - 0
    .max_flat_workgroup_size: 256
    .name:           _ZN7rocprim17ROCPRIM_400000_NS6detail17trampoline_kernelINS0_14default_configENS1_36segmented_radix_sort_config_selectorIslEEZNS1_25segmented_radix_sort_implIS3_Lb1EPKsPsPKlPlN2at6native12_GLOBAL__N_18offset_tEEE10hipError_tPvRmT1_PNSt15iterator_traitsISK_E10value_typeET2_T3_PNSL_ISQ_E10value_typeET4_jRbjT5_SW_jjP12ihipStream_tbEUlT_E2_NS1_11comp_targetILNS1_3genE2ELNS1_11target_archE906ELNS1_3gpuE6ELNS1_3repE0EEENS1_30default_config_static_selectorELNS0_4arch9wavefront6targetE0EEEvSK_
    .private_segment_fixed_size: 0
    .sgpr_count:     0
    .sgpr_spill_count: 0
    .symbol:         _ZN7rocprim17ROCPRIM_400000_NS6detail17trampoline_kernelINS0_14default_configENS1_36segmented_radix_sort_config_selectorIslEEZNS1_25segmented_radix_sort_implIS3_Lb1EPKsPsPKlPlN2at6native12_GLOBAL__N_18offset_tEEE10hipError_tPvRmT1_PNSt15iterator_traitsISK_E10value_typeET2_T3_PNSL_ISQ_E10value_typeET4_jRbjT5_SW_jjP12ihipStream_tbEUlT_E2_NS1_11comp_targetILNS1_3genE2ELNS1_11target_archE906ELNS1_3gpuE6ELNS1_3repE0EEENS1_30default_config_static_selectorELNS0_4arch9wavefront6targetE0EEEvSK_.kd
    .uniform_work_group_size: 1
    .uses_dynamic_stack: false
    .vgpr_count:     0
    .vgpr_spill_count: 0
    .wavefront_size: 32
    .workgroup_processor_mode: 1
  - .args:
      - .offset:         0
        .size:           80
        .value_kind:     by_value
      - .offset:         80
        .size:           4
        .value_kind:     hidden_block_count_x
      - .offset:         84
        .size:           4
        .value_kind:     hidden_block_count_y
      - .offset:         88
        .size:           4
        .value_kind:     hidden_block_count_z
      - .offset:         92
        .size:           2
        .value_kind:     hidden_group_size_x
      - .offset:         94
        .size:           2
        .value_kind:     hidden_group_size_y
      - .offset:         96
        .size:           2
        .value_kind:     hidden_group_size_z
      - .offset:         98
        .size:           2
        .value_kind:     hidden_remainder_x
      - .offset:         100
        .size:           2
        .value_kind:     hidden_remainder_y
      - .offset:         102
        .size:           2
        .value_kind:     hidden_remainder_z
      - .offset:         120
        .size:           8
        .value_kind:     hidden_global_offset_x
      - .offset:         128
        .size:           8
        .value_kind:     hidden_global_offset_y
      - .offset:         136
        .size:           8
        .value_kind:     hidden_global_offset_z
      - .offset:         144
        .size:           2
        .value_kind:     hidden_grid_dims
    .group_segment_fixed_size: 17440
    .kernarg_segment_align: 8
    .kernarg_segment_size: 336
    .language:       OpenCL C
    .language_version:
      - 2
      - 0
    .max_flat_workgroup_size: 256
    .name:           _ZN7rocprim17ROCPRIM_400000_NS6detail17trampoline_kernelINS0_14default_configENS1_36segmented_radix_sort_config_selectorIslEEZNS1_25segmented_radix_sort_implIS3_Lb1EPKsPsPKlPlN2at6native12_GLOBAL__N_18offset_tEEE10hipError_tPvRmT1_PNSt15iterator_traitsISK_E10value_typeET2_T3_PNSL_ISQ_E10value_typeET4_jRbjT5_SW_jjP12ihipStream_tbEUlT_E2_NS1_11comp_targetILNS1_3genE10ELNS1_11target_archE1201ELNS1_3gpuE5ELNS1_3repE0EEENS1_30default_config_static_selectorELNS0_4arch9wavefront6targetE0EEEvSK_
    .private_segment_fixed_size: 0
    .sgpr_count:     52
    .sgpr_spill_count: 0
    .symbol:         _ZN7rocprim17ROCPRIM_400000_NS6detail17trampoline_kernelINS0_14default_configENS1_36segmented_radix_sort_config_selectorIslEEZNS1_25segmented_radix_sort_implIS3_Lb1EPKsPsPKlPlN2at6native12_GLOBAL__N_18offset_tEEE10hipError_tPvRmT1_PNSt15iterator_traitsISK_E10value_typeET2_T3_PNSL_ISQ_E10value_typeET4_jRbjT5_SW_jjP12ihipStream_tbEUlT_E2_NS1_11comp_targetILNS1_3genE10ELNS1_11target_archE1201ELNS1_3gpuE5ELNS1_3repE0EEENS1_30default_config_static_selectorELNS0_4arch9wavefront6targetE0EEEvSK_.kd
    .uniform_work_group_size: 1
    .uses_dynamic_stack: false
    .vgpr_count:     198
    .vgpr_spill_count: 0
    .wavefront_size: 32
    .workgroup_processor_mode: 1
  - .args:
      - .offset:         0
        .size:           80
        .value_kind:     by_value
    .group_segment_fixed_size: 0
    .kernarg_segment_align: 8
    .kernarg_segment_size: 80
    .language:       OpenCL C
    .language_version:
      - 2
      - 0
    .max_flat_workgroup_size: 128
    .name:           _ZN7rocprim17ROCPRIM_400000_NS6detail17trampoline_kernelINS0_14default_configENS1_36segmented_radix_sort_config_selectorIslEEZNS1_25segmented_radix_sort_implIS3_Lb1EPKsPsPKlPlN2at6native12_GLOBAL__N_18offset_tEEE10hipError_tPvRmT1_PNSt15iterator_traitsISK_E10value_typeET2_T3_PNSL_ISQ_E10value_typeET4_jRbjT5_SW_jjP12ihipStream_tbEUlT_E2_NS1_11comp_targetILNS1_3genE10ELNS1_11target_archE1200ELNS1_3gpuE4ELNS1_3repE0EEENS1_30default_config_static_selectorELNS0_4arch9wavefront6targetE0EEEvSK_
    .private_segment_fixed_size: 0
    .sgpr_count:     0
    .sgpr_spill_count: 0
    .symbol:         _ZN7rocprim17ROCPRIM_400000_NS6detail17trampoline_kernelINS0_14default_configENS1_36segmented_radix_sort_config_selectorIslEEZNS1_25segmented_radix_sort_implIS3_Lb1EPKsPsPKlPlN2at6native12_GLOBAL__N_18offset_tEEE10hipError_tPvRmT1_PNSt15iterator_traitsISK_E10value_typeET2_T3_PNSL_ISQ_E10value_typeET4_jRbjT5_SW_jjP12ihipStream_tbEUlT_E2_NS1_11comp_targetILNS1_3genE10ELNS1_11target_archE1200ELNS1_3gpuE4ELNS1_3repE0EEENS1_30default_config_static_selectorELNS0_4arch9wavefront6targetE0EEEvSK_.kd
    .uniform_work_group_size: 1
    .uses_dynamic_stack: false
    .vgpr_count:     0
    .vgpr_spill_count: 0
    .wavefront_size: 32
    .workgroup_processor_mode: 1
  - .args:
      - .offset:         0
        .size:           80
        .value_kind:     by_value
    .group_segment_fixed_size: 0
    .kernarg_segment_align: 8
    .kernarg_segment_size: 80
    .language:       OpenCL C
    .language_version:
      - 2
      - 0
    .max_flat_workgroup_size: 256
    .name:           _ZN7rocprim17ROCPRIM_400000_NS6detail17trampoline_kernelINS0_14default_configENS1_36segmented_radix_sort_config_selectorIslEEZNS1_25segmented_radix_sort_implIS3_Lb1EPKsPsPKlPlN2at6native12_GLOBAL__N_18offset_tEEE10hipError_tPvRmT1_PNSt15iterator_traitsISK_E10value_typeET2_T3_PNSL_ISQ_E10value_typeET4_jRbjT5_SW_jjP12ihipStream_tbEUlT_E2_NS1_11comp_targetILNS1_3genE9ELNS1_11target_archE1100ELNS1_3gpuE3ELNS1_3repE0EEENS1_30default_config_static_selectorELNS0_4arch9wavefront6targetE0EEEvSK_
    .private_segment_fixed_size: 0
    .sgpr_count:     0
    .sgpr_spill_count: 0
    .symbol:         _ZN7rocprim17ROCPRIM_400000_NS6detail17trampoline_kernelINS0_14default_configENS1_36segmented_radix_sort_config_selectorIslEEZNS1_25segmented_radix_sort_implIS3_Lb1EPKsPsPKlPlN2at6native12_GLOBAL__N_18offset_tEEE10hipError_tPvRmT1_PNSt15iterator_traitsISK_E10value_typeET2_T3_PNSL_ISQ_E10value_typeET4_jRbjT5_SW_jjP12ihipStream_tbEUlT_E2_NS1_11comp_targetILNS1_3genE9ELNS1_11target_archE1100ELNS1_3gpuE3ELNS1_3repE0EEENS1_30default_config_static_selectorELNS0_4arch9wavefront6targetE0EEEvSK_.kd
    .uniform_work_group_size: 1
    .uses_dynamic_stack: false
    .vgpr_count:     0
    .vgpr_spill_count: 0
    .wavefront_size: 32
    .workgroup_processor_mode: 1
  - .args:
      - .offset:         0
        .size:           80
        .value_kind:     by_value
    .group_segment_fixed_size: 0
    .kernarg_segment_align: 8
    .kernarg_segment_size: 80
    .language:       OpenCL C
    .language_version:
      - 2
      - 0
    .max_flat_workgroup_size: 256
    .name:           _ZN7rocprim17ROCPRIM_400000_NS6detail17trampoline_kernelINS0_14default_configENS1_36segmented_radix_sort_config_selectorIslEEZNS1_25segmented_radix_sort_implIS3_Lb1EPKsPsPKlPlN2at6native12_GLOBAL__N_18offset_tEEE10hipError_tPvRmT1_PNSt15iterator_traitsISK_E10value_typeET2_T3_PNSL_ISQ_E10value_typeET4_jRbjT5_SW_jjP12ihipStream_tbEUlT_E2_NS1_11comp_targetILNS1_3genE8ELNS1_11target_archE1030ELNS1_3gpuE2ELNS1_3repE0EEENS1_30default_config_static_selectorELNS0_4arch9wavefront6targetE0EEEvSK_
    .private_segment_fixed_size: 0
    .sgpr_count:     0
    .sgpr_spill_count: 0
    .symbol:         _ZN7rocprim17ROCPRIM_400000_NS6detail17trampoline_kernelINS0_14default_configENS1_36segmented_radix_sort_config_selectorIslEEZNS1_25segmented_radix_sort_implIS3_Lb1EPKsPsPKlPlN2at6native12_GLOBAL__N_18offset_tEEE10hipError_tPvRmT1_PNSt15iterator_traitsISK_E10value_typeET2_T3_PNSL_ISQ_E10value_typeET4_jRbjT5_SW_jjP12ihipStream_tbEUlT_E2_NS1_11comp_targetILNS1_3genE8ELNS1_11target_archE1030ELNS1_3gpuE2ELNS1_3repE0EEENS1_30default_config_static_selectorELNS0_4arch9wavefront6targetE0EEEvSK_.kd
    .uniform_work_group_size: 1
    .uses_dynamic_stack: false
    .vgpr_count:     0
    .vgpr_spill_count: 0
    .wavefront_size: 32
    .workgroup_processor_mode: 1
  - .args:
      - .offset:         0
        .size:           176
        .value_kind:     by_value
    .group_segment_fixed_size: 0
    .kernarg_segment_align: 8
    .kernarg_segment_size: 176
    .language:       OpenCL C
    .language_version:
      - 2
      - 0
    .max_flat_workgroup_size: 256
    .name:           _ZN7rocprim17ROCPRIM_400000_NS6detail17trampoline_kernelINS0_13select_configILj256ELj13ELNS0_17block_load_methodE3ELS4_3ELS4_3ELNS0_20block_scan_algorithmE0ELj4294967295EEENS1_25partition_config_selectorILNS1_17partition_subalgoE4EjNS0_10empty_typeEbEEZZNS1_14partition_implILS8_4ELb0ES6_15HIP_vector_typeIjLj2EENS0_17counting_iteratorIjlEEPS9_SG_NS0_5tupleIJPjSI_NS0_16reverse_iteratorISI_EEEEENSH_IJSG_SG_SG_EEES9_SI_JZNS1_25segmented_radix_sort_implINS0_14default_configELb0EPKsPsPKlPlN2at6native12_GLOBAL__N_18offset_tEEE10hipError_tPvRmT1_PNSt15iterator_traitsIS12_E10value_typeET2_T3_PNS13_IS18_E10value_typeET4_jRbjT5_S1E_jjP12ihipStream_tbEUljE_ZNSN_ISO_Lb0ESQ_SR_ST_SU_SY_EESZ_S10_S11_S12_S16_S17_S18_S1B_S1C_jS1D_jS1E_S1E_jjS1G_bEUljE0_EEESZ_S10_S11_S18_S1C_S1E_T6_T7_T9_mT8_S1G_bDpT10_ENKUlT_T0_E_clISt17integral_constantIbLb0EES1U_EEDaS1P_S1Q_EUlS1P_E_NS1_11comp_targetILNS1_3genE0ELNS1_11target_archE4294967295ELNS1_3gpuE0ELNS1_3repE0EEENS1_30default_config_static_selectorELNS0_4arch9wavefront6targetE0EEEvS12_
    .private_segment_fixed_size: 0
    .sgpr_count:     0
    .sgpr_spill_count: 0
    .symbol:         _ZN7rocprim17ROCPRIM_400000_NS6detail17trampoline_kernelINS0_13select_configILj256ELj13ELNS0_17block_load_methodE3ELS4_3ELS4_3ELNS0_20block_scan_algorithmE0ELj4294967295EEENS1_25partition_config_selectorILNS1_17partition_subalgoE4EjNS0_10empty_typeEbEEZZNS1_14partition_implILS8_4ELb0ES6_15HIP_vector_typeIjLj2EENS0_17counting_iteratorIjlEEPS9_SG_NS0_5tupleIJPjSI_NS0_16reverse_iteratorISI_EEEEENSH_IJSG_SG_SG_EEES9_SI_JZNS1_25segmented_radix_sort_implINS0_14default_configELb0EPKsPsPKlPlN2at6native12_GLOBAL__N_18offset_tEEE10hipError_tPvRmT1_PNSt15iterator_traitsIS12_E10value_typeET2_T3_PNS13_IS18_E10value_typeET4_jRbjT5_S1E_jjP12ihipStream_tbEUljE_ZNSN_ISO_Lb0ESQ_SR_ST_SU_SY_EESZ_S10_S11_S12_S16_S17_S18_S1B_S1C_jS1D_jS1E_S1E_jjS1G_bEUljE0_EEESZ_S10_S11_S18_S1C_S1E_T6_T7_T9_mT8_S1G_bDpT10_ENKUlT_T0_E_clISt17integral_constantIbLb0EES1U_EEDaS1P_S1Q_EUlS1P_E_NS1_11comp_targetILNS1_3genE0ELNS1_11target_archE4294967295ELNS1_3gpuE0ELNS1_3repE0EEENS1_30default_config_static_selectorELNS0_4arch9wavefront6targetE0EEEvS12_.kd
    .uniform_work_group_size: 1
    .uses_dynamic_stack: false
    .vgpr_count:     0
    .vgpr_spill_count: 0
    .wavefront_size: 32
    .workgroup_processor_mode: 1
  - .args:
      - .offset:         0
        .size:           176
        .value_kind:     by_value
    .group_segment_fixed_size: 0
    .kernarg_segment_align: 8
    .kernarg_segment_size: 176
    .language:       OpenCL C
    .language_version:
      - 2
      - 0
    .max_flat_workgroup_size: 256
    .name:           _ZN7rocprim17ROCPRIM_400000_NS6detail17trampoline_kernelINS0_13select_configILj256ELj13ELNS0_17block_load_methodE3ELS4_3ELS4_3ELNS0_20block_scan_algorithmE0ELj4294967295EEENS1_25partition_config_selectorILNS1_17partition_subalgoE4EjNS0_10empty_typeEbEEZZNS1_14partition_implILS8_4ELb0ES6_15HIP_vector_typeIjLj2EENS0_17counting_iteratorIjlEEPS9_SG_NS0_5tupleIJPjSI_NS0_16reverse_iteratorISI_EEEEENSH_IJSG_SG_SG_EEES9_SI_JZNS1_25segmented_radix_sort_implINS0_14default_configELb0EPKsPsPKlPlN2at6native12_GLOBAL__N_18offset_tEEE10hipError_tPvRmT1_PNSt15iterator_traitsIS12_E10value_typeET2_T3_PNS13_IS18_E10value_typeET4_jRbjT5_S1E_jjP12ihipStream_tbEUljE_ZNSN_ISO_Lb0ESQ_SR_ST_SU_SY_EESZ_S10_S11_S12_S16_S17_S18_S1B_S1C_jS1D_jS1E_S1E_jjS1G_bEUljE0_EEESZ_S10_S11_S18_S1C_S1E_T6_T7_T9_mT8_S1G_bDpT10_ENKUlT_T0_E_clISt17integral_constantIbLb0EES1U_EEDaS1P_S1Q_EUlS1P_E_NS1_11comp_targetILNS1_3genE5ELNS1_11target_archE942ELNS1_3gpuE9ELNS1_3repE0EEENS1_30default_config_static_selectorELNS0_4arch9wavefront6targetE0EEEvS12_
    .private_segment_fixed_size: 0
    .sgpr_count:     0
    .sgpr_spill_count: 0
    .symbol:         _ZN7rocprim17ROCPRIM_400000_NS6detail17trampoline_kernelINS0_13select_configILj256ELj13ELNS0_17block_load_methodE3ELS4_3ELS4_3ELNS0_20block_scan_algorithmE0ELj4294967295EEENS1_25partition_config_selectorILNS1_17partition_subalgoE4EjNS0_10empty_typeEbEEZZNS1_14partition_implILS8_4ELb0ES6_15HIP_vector_typeIjLj2EENS0_17counting_iteratorIjlEEPS9_SG_NS0_5tupleIJPjSI_NS0_16reverse_iteratorISI_EEEEENSH_IJSG_SG_SG_EEES9_SI_JZNS1_25segmented_radix_sort_implINS0_14default_configELb0EPKsPsPKlPlN2at6native12_GLOBAL__N_18offset_tEEE10hipError_tPvRmT1_PNSt15iterator_traitsIS12_E10value_typeET2_T3_PNS13_IS18_E10value_typeET4_jRbjT5_S1E_jjP12ihipStream_tbEUljE_ZNSN_ISO_Lb0ESQ_SR_ST_SU_SY_EESZ_S10_S11_S12_S16_S17_S18_S1B_S1C_jS1D_jS1E_S1E_jjS1G_bEUljE0_EEESZ_S10_S11_S18_S1C_S1E_T6_T7_T9_mT8_S1G_bDpT10_ENKUlT_T0_E_clISt17integral_constantIbLb0EES1U_EEDaS1P_S1Q_EUlS1P_E_NS1_11comp_targetILNS1_3genE5ELNS1_11target_archE942ELNS1_3gpuE9ELNS1_3repE0EEENS1_30default_config_static_selectorELNS0_4arch9wavefront6targetE0EEEvS12_.kd
    .uniform_work_group_size: 1
    .uses_dynamic_stack: false
    .vgpr_count:     0
    .vgpr_spill_count: 0
    .wavefront_size: 32
    .workgroup_processor_mode: 1
  - .args:
      - .offset:         0
        .size:           176
        .value_kind:     by_value
    .group_segment_fixed_size: 0
    .kernarg_segment_align: 8
    .kernarg_segment_size: 176
    .language:       OpenCL C
    .language_version:
      - 2
      - 0
    .max_flat_workgroup_size: 256
    .name:           _ZN7rocprim17ROCPRIM_400000_NS6detail17trampoline_kernelINS0_13select_configILj256ELj13ELNS0_17block_load_methodE3ELS4_3ELS4_3ELNS0_20block_scan_algorithmE0ELj4294967295EEENS1_25partition_config_selectorILNS1_17partition_subalgoE4EjNS0_10empty_typeEbEEZZNS1_14partition_implILS8_4ELb0ES6_15HIP_vector_typeIjLj2EENS0_17counting_iteratorIjlEEPS9_SG_NS0_5tupleIJPjSI_NS0_16reverse_iteratorISI_EEEEENSH_IJSG_SG_SG_EEES9_SI_JZNS1_25segmented_radix_sort_implINS0_14default_configELb0EPKsPsPKlPlN2at6native12_GLOBAL__N_18offset_tEEE10hipError_tPvRmT1_PNSt15iterator_traitsIS12_E10value_typeET2_T3_PNS13_IS18_E10value_typeET4_jRbjT5_S1E_jjP12ihipStream_tbEUljE_ZNSN_ISO_Lb0ESQ_SR_ST_SU_SY_EESZ_S10_S11_S12_S16_S17_S18_S1B_S1C_jS1D_jS1E_S1E_jjS1G_bEUljE0_EEESZ_S10_S11_S18_S1C_S1E_T6_T7_T9_mT8_S1G_bDpT10_ENKUlT_T0_E_clISt17integral_constantIbLb0EES1U_EEDaS1P_S1Q_EUlS1P_E_NS1_11comp_targetILNS1_3genE4ELNS1_11target_archE910ELNS1_3gpuE8ELNS1_3repE0EEENS1_30default_config_static_selectorELNS0_4arch9wavefront6targetE0EEEvS12_
    .private_segment_fixed_size: 0
    .sgpr_count:     0
    .sgpr_spill_count: 0
    .symbol:         _ZN7rocprim17ROCPRIM_400000_NS6detail17trampoline_kernelINS0_13select_configILj256ELj13ELNS0_17block_load_methodE3ELS4_3ELS4_3ELNS0_20block_scan_algorithmE0ELj4294967295EEENS1_25partition_config_selectorILNS1_17partition_subalgoE4EjNS0_10empty_typeEbEEZZNS1_14partition_implILS8_4ELb0ES6_15HIP_vector_typeIjLj2EENS0_17counting_iteratorIjlEEPS9_SG_NS0_5tupleIJPjSI_NS0_16reverse_iteratorISI_EEEEENSH_IJSG_SG_SG_EEES9_SI_JZNS1_25segmented_radix_sort_implINS0_14default_configELb0EPKsPsPKlPlN2at6native12_GLOBAL__N_18offset_tEEE10hipError_tPvRmT1_PNSt15iterator_traitsIS12_E10value_typeET2_T3_PNS13_IS18_E10value_typeET4_jRbjT5_S1E_jjP12ihipStream_tbEUljE_ZNSN_ISO_Lb0ESQ_SR_ST_SU_SY_EESZ_S10_S11_S12_S16_S17_S18_S1B_S1C_jS1D_jS1E_S1E_jjS1G_bEUljE0_EEESZ_S10_S11_S18_S1C_S1E_T6_T7_T9_mT8_S1G_bDpT10_ENKUlT_T0_E_clISt17integral_constantIbLb0EES1U_EEDaS1P_S1Q_EUlS1P_E_NS1_11comp_targetILNS1_3genE4ELNS1_11target_archE910ELNS1_3gpuE8ELNS1_3repE0EEENS1_30default_config_static_selectorELNS0_4arch9wavefront6targetE0EEEvS12_.kd
    .uniform_work_group_size: 1
    .uses_dynamic_stack: false
    .vgpr_count:     0
    .vgpr_spill_count: 0
    .wavefront_size: 32
    .workgroup_processor_mode: 1
  - .args:
      - .offset:         0
        .size:           176
        .value_kind:     by_value
    .group_segment_fixed_size: 0
    .kernarg_segment_align: 8
    .kernarg_segment_size: 176
    .language:       OpenCL C
    .language_version:
      - 2
      - 0
    .max_flat_workgroup_size: 256
    .name:           _ZN7rocprim17ROCPRIM_400000_NS6detail17trampoline_kernelINS0_13select_configILj256ELj13ELNS0_17block_load_methodE3ELS4_3ELS4_3ELNS0_20block_scan_algorithmE0ELj4294967295EEENS1_25partition_config_selectorILNS1_17partition_subalgoE4EjNS0_10empty_typeEbEEZZNS1_14partition_implILS8_4ELb0ES6_15HIP_vector_typeIjLj2EENS0_17counting_iteratorIjlEEPS9_SG_NS0_5tupleIJPjSI_NS0_16reverse_iteratorISI_EEEEENSH_IJSG_SG_SG_EEES9_SI_JZNS1_25segmented_radix_sort_implINS0_14default_configELb0EPKsPsPKlPlN2at6native12_GLOBAL__N_18offset_tEEE10hipError_tPvRmT1_PNSt15iterator_traitsIS12_E10value_typeET2_T3_PNS13_IS18_E10value_typeET4_jRbjT5_S1E_jjP12ihipStream_tbEUljE_ZNSN_ISO_Lb0ESQ_SR_ST_SU_SY_EESZ_S10_S11_S12_S16_S17_S18_S1B_S1C_jS1D_jS1E_S1E_jjS1G_bEUljE0_EEESZ_S10_S11_S18_S1C_S1E_T6_T7_T9_mT8_S1G_bDpT10_ENKUlT_T0_E_clISt17integral_constantIbLb0EES1U_EEDaS1P_S1Q_EUlS1P_E_NS1_11comp_targetILNS1_3genE3ELNS1_11target_archE908ELNS1_3gpuE7ELNS1_3repE0EEENS1_30default_config_static_selectorELNS0_4arch9wavefront6targetE0EEEvS12_
    .private_segment_fixed_size: 0
    .sgpr_count:     0
    .sgpr_spill_count: 0
    .symbol:         _ZN7rocprim17ROCPRIM_400000_NS6detail17trampoline_kernelINS0_13select_configILj256ELj13ELNS0_17block_load_methodE3ELS4_3ELS4_3ELNS0_20block_scan_algorithmE0ELj4294967295EEENS1_25partition_config_selectorILNS1_17partition_subalgoE4EjNS0_10empty_typeEbEEZZNS1_14partition_implILS8_4ELb0ES6_15HIP_vector_typeIjLj2EENS0_17counting_iteratorIjlEEPS9_SG_NS0_5tupleIJPjSI_NS0_16reverse_iteratorISI_EEEEENSH_IJSG_SG_SG_EEES9_SI_JZNS1_25segmented_radix_sort_implINS0_14default_configELb0EPKsPsPKlPlN2at6native12_GLOBAL__N_18offset_tEEE10hipError_tPvRmT1_PNSt15iterator_traitsIS12_E10value_typeET2_T3_PNS13_IS18_E10value_typeET4_jRbjT5_S1E_jjP12ihipStream_tbEUljE_ZNSN_ISO_Lb0ESQ_SR_ST_SU_SY_EESZ_S10_S11_S12_S16_S17_S18_S1B_S1C_jS1D_jS1E_S1E_jjS1G_bEUljE0_EEESZ_S10_S11_S18_S1C_S1E_T6_T7_T9_mT8_S1G_bDpT10_ENKUlT_T0_E_clISt17integral_constantIbLb0EES1U_EEDaS1P_S1Q_EUlS1P_E_NS1_11comp_targetILNS1_3genE3ELNS1_11target_archE908ELNS1_3gpuE7ELNS1_3repE0EEENS1_30default_config_static_selectorELNS0_4arch9wavefront6targetE0EEEvS12_.kd
    .uniform_work_group_size: 1
    .uses_dynamic_stack: false
    .vgpr_count:     0
    .vgpr_spill_count: 0
    .wavefront_size: 32
    .workgroup_processor_mode: 1
  - .args:
      - .offset:         0
        .size:           176
        .value_kind:     by_value
    .group_segment_fixed_size: 0
    .kernarg_segment_align: 8
    .kernarg_segment_size: 176
    .language:       OpenCL C
    .language_version:
      - 2
      - 0
    .max_flat_workgroup_size: 256
    .name:           _ZN7rocprim17ROCPRIM_400000_NS6detail17trampoline_kernelINS0_13select_configILj256ELj13ELNS0_17block_load_methodE3ELS4_3ELS4_3ELNS0_20block_scan_algorithmE0ELj4294967295EEENS1_25partition_config_selectorILNS1_17partition_subalgoE4EjNS0_10empty_typeEbEEZZNS1_14partition_implILS8_4ELb0ES6_15HIP_vector_typeIjLj2EENS0_17counting_iteratorIjlEEPS9_SG_NS0_5tupleIJPjSI_NS0_16reverse_iteratorISI_EEEEENSH_IJSG_SG_SG_EEES9_SI_JZNS1_25segmented_radix_sort_implINS0_14default_configELb0EPKsPsPKlPlN2at6native12_GLOBAL__N_18offset_tEEE10hipError_tPvRmT1_PNSt15iterator_traitsIS12_E10value_typeET2_T3_PNS13_IS18_E10value_typeET4_jRbjT5_S1E_jjP12ihipStream_tbEUljE_ZNSN_ISO_Lb0ESQ_SR_ST_SU_SY_EESZ_S10_S11_S12_S16_S17_S18_S1B_S1C_jS1D_jS1E_S1E_jjS1G_bEUljE0_EEESZ_S10_S11_S18_S1C_S1E_T6_T7_T9_mT8_S1G_bDpT10_ENKUlT_T0_E_clISt17integral_constantIbLb0EES1U_EEDaS1P_S1Q_EUlS1P_E_NS1_11comp_targetILNS1_3genE2ELNS1_11target_archE906ELNS1_3gpuE6ELNS1_3repE0EEENS1_30default_config_static_selectorELNS0_4arch9wavefront6targetE0EEEvS12_
    .private_segment_fixed_size: 0
    .sgpr_count:     0
    .sgpr_spill_count: 0
    .symbol:         _ZN7rocprim17ROCPRIM_400000_NS6detail17trampoline_kernelINS0_13select_configILj256ELj13ELNS0_17block_load_methodE3ELS4_3ELS4_3ELNS0_20block_scan_algorithmE0ELj4294967295EEENS1_25partition_config_selectorILNS1_17partition_subalgoE4EjNS0_10empty_typeEbEEZZNS1_14partition_implILS8_4ELb0ES6_15HIP_vector_typeIjLj2EENS0_17counting_iteratorIjlEEPS9_SG_NS0_5tupleIJPjSI_NS0_16reverse_iteratorISI_EEEEENSH_IJSG_SG_SG_EEES9_SI_JZNS1_25segmented_radix_sort_implINS0_14default_configELb0EPKsPsPKlPlN2at6native12_GLOBAL__N_18offset_tEEE10hipError_tPvRmT1_PNSt15iterator_traitsIS12_E10value_typeET2_T3_PNS13_IS18_E10value_typeET4_jRbjT5_S1E_jjP12ihipStream_tbEUljE_ZNSN_ISO_Lb0ESQ_SR_ST_SU_SY_EESZ_S10_S11_S12_S16_S17_S18_S1B_S1C_jS1D_jS1E_S1E_jjS1G_bEUljE0_EEESZ_S10_S11_S18_S1C_S1E_T6_T7_T9_mT8_S1G_bDpT10_ENKUlT_T0_E_clISt17integral_constantIbLb0EES1U_EEDaS1P_S1Q_EUlS1P_E_NS1_11comp_targetILNS1_3genE2ELNS1_11target_archE906ELNS1_3gpuE6ELNS1_3repE0EEENS1_30default_config_static_selectorELNS0_4arch9wavefront6targetE0EEEvS12_.kd
    .uniform_work_group_size: 1
    .uses_dynamic_stack: false
    .vgpr_count:     0
    .vgpr_spill_count: 0
    .wavefront_size: 32
    .workgroup_processor_mode: 1
  - .args:
      - .offset:         0
        .size:           176
        .value_kind:     by_value
    .group_segment_fixed_size: 13328
    .kernarg_segment_align: 8
    .kernarg_segment_size: 176
    .language:       OpenCL C
    .language_version:
      - 2
      - 0
    .max_flat_workgroup_size: 256
    .name:           _ZN7rocprim17ROCPRIM_400000_NS6detail17trampoline_kernelINS0_13select_configILj256ELj13ELNS0_17block_load_methodE3ELS4_3ELS4_3ELNS0_20block_scan_algorithmE0ELj4294967295EEENS1_25partition_config_selectorILNS1_17partition_subalgoE4EjNS0_10empty_typeEbEEZZNS1_14partition_implILS8_4ELb0ES6_15HIP_vector_typeIjLj2EENS0_17counting_iteratorIjlEEPS9_SG_NS0_5tupleIJPjSI_NS0_16reverse_iteratorISI_EEEEENSH_IJSG_SG_SG_EEES9_SI_JZNS1_25segmented_radix_sort_implINS0_14default_configELb0EPKsPsPKlPlN2at6native12_GLOBAL__N_18offset_tEEE10hipError_tPvRmT1_PNSt15iterator_traitsIS12_E10value_typeET2_T3_PNS13_IS18_E10value_typeET4_jRbjT5_S1E_jjP12ihipStream_tbEUljE_ZNSN_ISO_Lb0ESQ_SR_ST_SU_SY_EESZ_S10_S11_S12_S16_S17_S18_S1B_S1C_jS1D_jS1E_S1E_jjS1G_bEUljE0_EEESZ_S10_S11_S18_S1C_S1E_T6_T7_T9_mT8_S1G_bDpT10_ENKUlT_T0_E_clISt17integral_constantIbLb0EES1U_EEDaS1P_S1Q_EUlS1P_E_NS1_11comp_targetILNS1_3genE10ELNS1_11target_archE1200ELNS1_3gpuE4ELNS1_3repE0EEENS1_30default_config_static_selectorELNS0_4arch9wavefront6targetE0EEEvS12_
    .private_segment_fixed_size: 0
    .sgpr_count:     60
    .sgpr_spill_count: 0
    .symbol:         _ZN7rocprim17ROCPRIM_400000_NS6detail17trampoline_kernelINS0_13select_configILj256ELj13ELNS0_17block_load_methodE3ELS4_3ELS4_3ELNS0_20block_scan_algorithmE0ELj4294967295EEENS1_25partition_config_selectorILNS1_17partition_subalgoE4EjNS0_10empty_typeEbEEZZNS1_14partition_implILS8_4ELb0ES6_15HIP_vector_typeIjLj2EENS0_17counting_iteratorIjlEEPS9_SG_NS0_5tupleIJPjSI_NS0_16reverse_iteratorISI_EEEEENSH_IJSG_SG_SG_EEES9_SI_JZNS1_25segmented_radix_sort_implINS0_14default_configELb0EPKsPsPKlPlN2at6native12_GLOBAL__N_18offset_tEEE10hipError_tPvRmT1_PNSt15iterator_traitsIS12_E10value_typeET2_T3_PNS13_IS18_E10value_typeET4_jRbjT5_S1E_jjP12ihipStream_tbEUljE_ZNSN_ISO_Lb0ESQ_SR_ST_SU_SY_EESZ_S10_S11_S12_S16_S17_S18_S1B_S1C_jS1D_jS1E_S1E_jjS1G_bEUljE0_EEESZ_S10_S11_S18_S1C_S1E_T6_T7_T9_mT8_S1G_bDpT10_ENKUlT_T0_E_clISt17integral_constantIbLb0EES1U_EEDaS1P_S1Q_EUlS1P_E_NS1_11comp_targetILNS1_3genE10ELNS1_11target_archE1200ELNS1_3gpuE4ELNS1_3repE0EEENS1_30default_config_static_selectorELNS0_4arch9wavefront6targetE0EEEvS12_.kd
    .uniform_work_group_size: 1
    .uses_dynamic_stack: false
    .vgpr_count:     93
    .vgpr_spill_count: 0
    .wavefront_size: 32
    .workgroup_processor_mode: 1
  - .args:
      - .offset:         0
        .size:           176
        .value_kind:     by_value
    .group_segment_fixed_size: 0
    .kernarg_segment_align: 8
    .kernarg_segment_size: 176
    .language:       OpenCL C
    .language_version:
      - 2
      - 0
    .max_flat_workgroup_size: 256
    .name:           _ZN7rocprim17ROCPRIM_400000_NS6detail17trampoline_kernelINS0_13select_configILj256ELj13ELNS0_17block_load_methodE3ELS4_3ELS4_3ELNS0_20block_scan_algorithmE0ELj4294967295EEENS1_25partition_config_selectorILNS1_17partition_subalgoE4EjNS0_10empty_typeEbEEZZNS1_14partition_implILS8_4ELb0ES6_15HIP_vector_typeIjLj2EENS0_17counting_iteratorIjlEEPS9_SG_NS0_5tupleIJPjSI_NS0_16reverse_iteratorISI_EEEEENSH_IJSG_SG_SG_EEES9_SI_JZNS1_25segmented_radix_sort_implINS0_14default_configELb0EPKsPsPKlPlN2at6native12_GLOBAL__N_18offset_tEEE10hipError_tPvRmT1_PNSt15iterator_traitsIS12_E10value_typeET2_T3_PNS13_IS18_E10value_typeET4_jRbjT5_S1E_jjP12ihipStream_tbEUljE_ZNSN_ISO_Lb0ESQ_SR_ST_SU_SY_EESZ_S10_S11_S12_S16_S17_S18_S1B_S1C_jS1D_jS1E_S1E_jjS1G_bEUljE0_EEESZ_S10_S11_S18_S1C_S1E_T6_T7_T9_mT8_S1G_bDpT10_ENKUlT_T0_E_clISt17integral_constantIbLb0EES1U_EEDaS1P_S1Q_EUlS1P_E_NS1_11comp_targetILNS1_3genE9ELNS1_11target_archE1100ELNS1_3gpuE3ELNS1_3repE0EEENS1_30default_config_static_selectorELNS0_4arch9wavefront6targetE0EEEvS12_
    .private_segment_fixed_size: 0
    .sgpr_count:     0
    .sgpr_spill_count: 0
    .symbol:         _ZN7rocprim17ROCPRIM_400000_NS6detail17trampoline_kernelINS0_13select_configILj256ELj13ELNS0_17block_load_methodE3ELS4_3ELS4_3ELNS0_20block_scan_algorithmE0ELj4294967295EEENS1_25partition_config_selectorILNS1_17partition_subalgoE4EjNS0_10empty_typeEbEEZZNS1_14partition_implILS8_4ELb0ES6_15HIP_vector_typeIjLj2EENS0_17counting_iteratorIjlEEPS9_SG_NS0_5tupleIJPjSI_NS0_16reverse_iteratorISI_EEEEENSH_IJSG_SG_SG_EEES9_SI_JZNS1_25segmented_radix_sort_implINS0_14default_configELb0EPKsPsPKlPlN2at6native12_GLOBAL__N_18offset_tEEE10hipError_tPvRmT1_PNSt15iterator_traitsIS12_E10value_typeET2_T3_PNS13_IS18_E10value_typeET4_jRbjT5_S1E_jjP12ihipStream_tbEUljE_ZNSN_ISO_Lb0ESQ_SR_ST_SU_SY_EESZ_S10_S11_S12_S16_S17_S18_S1B_S1C_jS1D_jS1E_S1E_jjS1G_bEUljE0_EEESZ_S10_S11_S18_S1C_S1E_T6_T7_T9_mT8_S1G_bDpT10_ENKUlT_T0_E_clISt17integral_constantIbLb0EES1U_EEDaS1P_S1Q_EUlS1P_E_NS1_11comp_targetILNS1_3genE9ELNS1_11target_archE1100ELNS1_3gpuE3ELNS1_3repE0EEENS1_30default_config_static_selectorELNS0_4arch9wavefront6targetE0EEEvS12_.kd
    .uniform_work_group_size: 1
    .uses_dynamic_stack: false
    .vgpr_count:     0
    .vgpr_spill_count: 0
    .wavefront_size: 32
    .workgroup_processor_mode: 1
  - .args:
      - .offset:         0
        .size:           176
        .value_kind:     by_value
    .group_segment_fixed_size: 0
    .kernarg_segment_align: 8
    .kernarg_segment_size: 176
    .language:       OpenCL C
    .language_version:
      - 2
      - 0
    .max_flat_workgroup_size: 256
    .name:           _ZN7rocprim17ROCPRIM_400000_NS6detail17trampoline_kernelINS0_13select_configILj256ELj13ELNS0_17block_load_methodE3ELS4_3ELS4_3ELNS0_20block_scan_algorithmE0ELj4294967295EEENS1_25partition_config_selectorILNS1_17partition_subalgoE4EjNS0_10empty_typeEbEEZZNS1_14partition_implILS8_4ELb0ES6_15HIP_vector_typeIjLj2EENS0_17counting_iteratorIjlEEPS9_SG_NS0_5tupleIJPjSI_NS0_16reverse_iteratorISI_EEEEENSH_IJSG_SG_SG_EEES9_SI_JZNS1_25segmented_radix_sort_implINS0_14default_configELb0EPKsPsPKlPlN2at6native12_GLOBAL__N_18offset_tEEE10hipError_tPvRmT1_PNSt15iterator_traitsIS12_E10value_typeET2_T3_PNS13_IS18_E10value_typeET4_jRbjT5_S1E_jjP12ihipStream_tbEUljE_ZNSN_ISO_Lb0ESQ_SR_ST_SU_SY_EESZ_S10_S11_S12_S16_S17_S18_S1B_S1C_jS1D_jS1E_S1E_jjS1G_bEUljE0_EEESZ_S10_S11_S18_S1C_S1E_T6_T7_T9_mT8_S1G_bDpT10_ENKUlT_T0_E_clISt17integral_constantIbLb0EES1U_EEDaS1P_S1Q_EUlS1P_E_NS1_11comp_targetILNS1_3genE8ELNS1_11target_archE1030ELNS1_3gpuE2ELNS1_3repE0EEENS1_30default_config_static_selectorELNS0_4arch9wavefront6targetE0EEEvS12_
    .private_segment_fixed_size: 0
    .sgpr_count:     0
    .sgpr_spill_count: 0
    .symbol:         _ZN7rocprim17ROCPRIM_400000_NS6detail17trampoline_kernelINS0_13select_configILj256ELj13ELNS0_17block_load_methodE3ELS4_3ELS4_3ELNS0_20block_scan_algorithmE0ELj4294967295EEENS1_25partition_config_selectorILNS1_17partition_subalgoE4EjNS0_10empty_typeEbEEZZNS1_14partition_implILS8_4ELb0ES6_15HIP_vector_typeIjLj2EENS0_17counting_iteratorIjlEEPS9_SG_NS0_5tupleIJPjSI_NS0_16reverse_iteratorISI_EEEEENSH_IJSG_SG_SG_EEES9_SI_JZNS1_25segmented_radix_sort_implINS0_14default_configELb0EPKsPsPKlPlN2at6native12_GLOBAL__N_18offset_tEEE10hipError_tPvRmT1_PNSt15iterator_traitsIS12_E10value_typeET2_T3_PNS13_IS18_E10value_typeET4_jRbjT5_S1E_jjP12ihipStream_tbEUljE_ZNSN_ISO_Lb0ESQ_SR_ST_SU_SY_EESZ_S10_S11_S12_S16_S17_S18_S1B_S1C_jS1D_jS1E_S1E_jjS1G_bEUljE0_EEESZ_S10_S11_S18_S1C_S1E_T6_T7_T9_mT8_S1G_bDpT10_ENKUlT_T0_E_clISt17integral_constantIbLb0EES1U_EEDaS1P_S1Q_EUlS1P_E_NS1_11comp_targetILNS1_3genE8ELNS1_11target_archE1030ELNS1_3gpuE2ELNS1_3repE0EEENS1_30default_config_static_selectorELNS0_4arch9wavefront6targetE0EEEvS12_.kd
    .uniform_work_group_size: 1
    .uses_dynamic_stack: false
    .vgpr_count:     0
    .vgpr_spill_count: 0
    .wavefront_size: 32
    .workgroup_processor_mode: 1
  - .args:
      - .offset:         0
        .size:           184
        .value_kind:     by_value
    .group_segment_fixed_size: 0
    .kernarg_segment_align: 8
    .kernarg_segment_size: 184
    .language:       OpenCL C
    .language_version:
      - 2
      - 0
    .max_flat_workgroup_size: 256
    .name:           _ZN7rocprim17ROCPRIM_400000_NS6detail17trampoline_kernelINS0_13select_configILj256ELj13ELNS0_17block_load_methodE3ELS4_3ELS4_3ELNS0_20block_scan_algorithmE0ELj4294967295EEENS1_25partition_config_selectorILNS1_17partition_subalgoE4EjNS0_10empty_typeEbEEZZNS1_14partition_implILS8_4ELb0ES6_15HIP_vector_typeIjLj2EENS0_17counting_iteratorIjlEEPS9_SG_NS0_5tupleIJPjSI_NS0_16reverse_iteratorISI_EEEEENSH_IJSG_SG_SG_EEES9_SI_JZNS1_25segmented_radix_sort_implINS0_14default_configELb0EPKsPsPKlPlN2at6native12_GLOBAL__N_18offset_tEEE10hipError_tPvRmT1_PNSt15iterator_traitsIS12_E10value_typeET2_T3_PNS13_IS18_E10value_typeET4_jRbjT5_S1E_jjP12ihipStream_tbEUljE_ZNSN_ISO_Lb0ESQ_SR_ST_SU_SY_EESZ_S10_S11_S12_S16_S17_S18_S1B_S1C_jS1D_jS1E_S1E_jjS1G_bEUljE0_EEESZ_S10_S11_S18_S1C_S1E_T6_T7_T9_mT8_S1G_bDpT10_ENKUlT_T0_E_clISt17integral_constantIbLb1EES1U_EEDaS1P_S1Q_EUlS1P_E_NS1_11comp_targetILNS1_3genE0ELNS1_11target_archE4294967295ELNS1_3gpuE0ELNS1_3repE0EEENS1_30default_config_static_selectorELNS0_4arch9wavefront6targetE0EEEvS12_
    .private_segment_fixed_size: 0
    .sgpr_count:     0
    .sgpr_spill_count: 0
    .symbol:         _ZN7rocprim17ROCPRIM_400000_NS6detail17trampoline_kernelINS0_13select_configILj256ELj13ELNS0_17block_load_methodE3ELS4_3ELS4_3ELNS0_20block_scan_algorithmE0ELj4294967295EEENS1_25partition_config_selectorILNS1_17partition_subalgoE4EjNS0_10empty_typeEbEEZZNS1_14partition_implILS8_4ELb0ES6_15HIP_vector_typeIjLj2EENS0_17counting_iteratorIjlEEPS9_SG_NS0_5tupleIJPjSI_NS0_16reverse_iteratorISI_EEEEENSH_IJSG_SG_SG_EEES9_SI_JZNS1_25segmented_radix_sort_implINS0_14default_configELb0EPKsPsPKlPlN2at6native12_GLOBAL__N_18offset_tEEE10hipError_tPvRmT1_PNSt15iterator_traitsIS12_E10value_typeET2_T3_PNS13_IS18_E10value_typeET4_jRbjT5_S1E_jjP12ihipStream_tbEUljE_ZNSN_ISO_Lb0ESQ_SR_ST_SU_SY_EESZ_S10_S11_S12_S16_S17_S18_S1B_S1C_jS1D_jS1E_S1E_jjS1G_bEUljE0_EEESZ_S10_S11_S18_S1C_S1E_T6_T7_T9_mT8_S1G_bDpT10_ENKUlT_T0_E_clISt17integral_constantIbLb1EES1U_EEDaS1P_S1Q_EUlS1P_E_NS1_11comp_targetILNS1_3genE0ELNS1_11target_archE4294967295ELNS1_3gpuE0ELNS1_3repE0EEENS1_30default_config_static_selectorELNS0_4arch9wavefront6targetE0EEEvS12_.kd
    .uniform_work_group_size: 1
    .uses_dynamic_stack: false
    .vgpr_count:     0
    .vgpr_spill_count: 0
    .wavefront_size: 32
    .workgroup_processor_mode: 1
  - .args:
      - .offset:         0
        .size:           184
        .value_kind:     by_value
    .group_segment_fixed_size: 0
    .kernarg_segment_align: 8
    .kernarg_segment_size: 184
    .language:       OpenCL C
    .language_version:
      - 2
      - 0
    .max_flat_workgroup_size: 256
    .name:           _ZN7rocprim17ROCPRIM_400000_NS6detail17trampoline_kernelINS0_13select_configILj256ELj13ELNS0_17block_load_methodE3ELS4_3ELS4_3ELNS0_20block_scan_algorithmE0ELj4294967295EEENS1_25partition_config_selectorILNS1_17partition_subalgoE4EjNS0_10empty_typeEbEEZZNS1_14partition_implILS8_4ELb0ES6_15HIP_vector_typeIjLj2EENS0_17counting_iteratorIjlEEPS9_SG_NS0_5tupleIJPjSI_NS0_16reverse_iteratorISI_EEEEENSH_IJSG_SG_SG_EEES9_SI_JZNS1_25segmented_radix_sort_implINS0_14default_configELb0EPKsPsPKlPlN2at6native12_GLOBAL__N_18offset_tEEE10hipError_tPvRmT1_PNSt15iterator_traitsIS12_E10value_typeET2_T3_PNS13_IS18_E10value_typeET4_jRbjT5_S1E_jjP12ihipStream_tbEUljE_ZNSN_ISO_Lb0ESQ_SR_ST_SU_SY_EESZ_S10_S11_S12_S16_S17_S18_S1B_S1C_jS1D_jS1E_S1E_jjS1G_bEUljE0_EEESZ_S10_S11_S18_S1C_S1E_T6_T7_T9_mT8_S1G_bDpT10_ENKUlT_T0_E_clISt17integral_constantIbLb1EES1U_EEDaS1P_S1Q_EUlS1P_E_NS1_11comp_targetILNS1_3genE5ELNS1_11target_archE942ELNS1_3gpuE9ELNS1_3repE0EEENS1_30default_config_static_selectorELNS0_4arch9wavefront6targetE0EEEvS12_
    .private_segment_fixed_size: 0
    .sgpr_count:     0
    .sgpr_spill_count: 0
    .symbol:         _ZN7rocprim17ROCPRIM_400000_NS6detail17trampoline_kernelINS0_13select_configILj256ELj13ELNS0_17block_load_methodE3ELS4_3ELS4_3ELNS0_20block_scan_algorithmE0ELj4294967295EEENS1_25partition_config_selectorILNS1_17partition_subalgoE4EjNS0_10empty_typeEbEEZZNS1_14partition_implILS8_4ELb0ES6_15HIP_vector_typeIjLj2EENS0_17counting_iteratorIjlEEPS9_SG_NS0_5tupleIJPjSI_NS0_16reverse_iteratorISI_EEEEENSH_IJSG_SG_SG_EEES9_SI_JZNS1_25segmented_radix_sort_implINS0_14default_configELb0EPKsPsPKlPlN2at6native12_GLOBAL__N_18offset_tEEE10hipError_tPvRmT1_PNSt15iterator_traitsIS12_E10value_typeET2_T3_PNS13_IS18_E10value_typeET4_jRbjT5_S1E_jjP12ihipStream_tbEUljE_ZNSN_ISO_Lb0ESQ_SR_ST_SU_SY_EESZ_S10_S11_S12_S16_S17_S18_S1B_S1C_jS1D_jS1E_S1E_jjS1G_bEUljE0_EEESZ_S10_S11_S18_S1C_S1E_T6_T7_T9_mT8_S1G_bDpT10_ENKUlT_T0_E_clISt17integral_constantIbLb1EES1U_EEDaS1P_S1Q_EUlS1P_E_NS1_11comp_targetILNS1_3genE5ELNS1_11target_archE942ELNS1_3gpuE9ELNS1_3repE0EEENS1_30default_config_static_selectorELNS0_4arch9wavefront6targetE0EEEvS12_.kd
    .uniform_work_group_size: 1
    .uses_dynamic_stack: false
    .vgpr_count:     0
    .vgpr_spill_count: 0
    .wavefront_size: 32
    .workgroup_processor_mode: 1
  - .args:
      - .offset:         0
        .size:           184
        .value_kind:     by_value
    .group_segment_fixed_size: 0
    .kernarg_segment_align: 8
    .kernarg_segment_size: 184
    .language:       OpenCL C
    .language_version:
      - 2
      - 0
    .max_flat_workgroup_size: 256
    .name:           _ZN7rocprim17ROCPRIM_400000_NS6detail17trampoline_kernelINS0_13select_configILj256ELj13ELNS0_17block_load_methodE3ELS4_3ELS4_3ELNS0_20block_scan_algorithmE0ELj4294967295EEENS1_25partition_config_selectorILNS1_17partition_subalgoE4EjNS0_10empty_typeEbEEZZNS1_14partition_implILS8_4ELb0ES6_15HIP_vector_typeIjLj2EENS0_17counting_iteratorIjlEEPS9_SG_NS0_5tupleIJPjSI_NS0_16reverse_iteratorISI_EEEEENSH_IJSG_SG_SG_EEES9_SI_JZNS1_25segmented_radix_sort_implINS0_14default_configELb0EPKsPsPKlPlN2at6native12_GLOBAL__N_18offset_tEEE10hipError_tPvRmT1_PNSt15iterator_traitsIS12_E10value_typeET2_T3_PNS13_IS18_E10value_typeET4_jRbjT5_S1E_jjP12ihipStream_tbEUljE_ZNSN_ISO_Lb0ESQ_SR_ST_SU_SY_EESZ_S10_S11_S12_S16_S17_S18_S1B_S1C_jS1D_jS1E_S1E_jjS1G_bEUljE0_EEESZ_S10_S11_S18_S1C_S1E_T6_T7_T9_mT8_S1G_bDpT10_ENKUlT_T0_E_clISt17integral_constantIbLb1EES1U_EEDaS1P_S1Q_EUlS1P_E_NS1_11comp_targetILNS1_3genE4ELNS1_11target_archE910ELNS1_3gpuE8ELNS1_3repE0EEENS1_30default_config_static_selectorELNS0_4arch9wavefront6targetE0EEEvS12_
    .private_segment_fixed_size: 0
    .sgpr_count:     0
    .sgpr_spill_count: 0
    .symbol:         _ZN7rocprim17ROCPRIM_400000_NS6detail17trampoline_kernelINS0_13select_configILj256ELj13ELNS0_17block_load_methodE3ELS4_3ELS4_3ELNS0_20block_scan_algorithmE0ELj4294967295EEENS1_25partition_config_selectorILNS1_17partition_subalgoE4EjNS0_10empty_typeEbEEZZNS1_14partition_implILS8_4ELb0ES6_15HIP_vector_typeIjLj2EENS0_17counting_iteratorIjlEEPS9_SG_NS0_5tupleIJPjSI_NS0_16reverse_iteratorISI_EEEEENSH_IJSG_SG_SG_EEES9_SI_JZNS1_25segmented_radix_sort_implINS0_14default_configELb0EPKsPsPKlPlN2at6native12_GLOBAL__N_18offset_tEEE10hipError_tPvRmT1_PNSt15iterator_traitsIS12_E10value_typeET2_T3_PNS13_IS18_E10value_typeET4_jRbjT5_S1E_jjP12ihipStream_tbEUljE_ZNSN_ISO_Lb0ESQ_SR_ST_SU_SY_EESZ_S10_S11_S12_S16_S17_S18_S1B_S1C_jS1D_jS1E_S1E_jjS1G_bEUljE0_EEESZ_S10_S11_S18_S1C_S1E_T6_T7_T9_mT8_S1G_bDpT10_ENKUlT_T0_E_clISt17integral_constantIbLb1EES1U_EEDaS1P_S1Q_EUlS1P_E_NS1_11comp_targetILNS1_3genE4ELNS1_11target_archE910ELNS1_3gpuE8ELNS1_3repE0EEENS1_30default_config_static_selectorELNS0_4arch9wavefront6targetE0EEEvS12_.kd
    .uniform_work_group_size: 1
    .uses_dynamic_stack: false
    .vgpr_count:     0
    .vgpr_spill_count: 0
    .wavefront_size: 32
    .workgroup_processor_mode: 1
  - .args:
      - .offset:         0
        .size:           184
        .value_kind:     by_value
    .group_segment_fixed_size: 0
    .kernarg_segment_align: 8
    .kernarg_segment_size: 184
    .language:       OpenCL C
    .language_version:
      - 2
      - 0
    .max_flat_workgroup_size: 256
    .name:           _ZN7rocprim17ROCPRIM_400000_NS6detail17trampoline_kernelINS0_13select_configILj256ELj13ELNS0_17block_load_methodE3ELS4_3ELS4_3ELNS0_20block_scan_algorithmE0ELj4294967295EEENS1_25partition_config_selectorILNS1_17partition_subalgoE4EjNS0_10empty_typeEbEEZZNS1_14partition_implILS8_4ELb0ES6_15HIP_vector_typeIjLj2EENS0_17counting_iteratorIjlEEPS9_SG_NS0_5tupleIJPjSI_NS0_16reverse_iteratorISI_EEEEENSH_IJSG_SG_SG_EEES9_SI_JZNS1_25segmented_radix_sort_implINS0_14default_configELb0EPKsPsPKlPlN2at6native12_GLOBAL__N_18offset_tEEE10hipError_tPvRmT1_PNSt15iterator_traitsIS12_E10value_typeET2_T3_PNS13_IS18_E10value_typeET4_jRbjT5_S1E_jjP12ihipStream_tbEUljE_ZNSN_ISO_Lb0ESQ_SR_ST_SU_SY_EESZ_S10_S11_S12_S16_S17_S18_S1B_S1C_jS1D_jS1E_S1E_jjS1G_bEUljE0_EEESZ_S10_S11_S18_S1C_S1E_T6_T7_T9_mT8_S1G_bDpT10_ENKUlT_T0_E_clISt17integral_constantIbLb1EES1U_EEDaS1P_S1Q_EUlS1P_E_NS1_11comp_targetILNS1_3genE3ELNS1_11target_archE908ELNS1_3gpuE7ELNS1_3repE0EEENS1_30default_config_static_selectorELNS0_4arch9wavefront6targetE0EEEvS12_
    .private_segment_fixed_size: 0
    .sgpr_count:     0
    .sgpr_spill_count: 0
    .symbol:         _ZN7rocprim17ROCPRIM_400000_NS6detail17trampoline_kernelINS0_13select_configILj256ELj13ELNS0_17block_load_methodE3ELS4_3ELS4_3ELNS0_20block_scan_algorithmE0ELj4294967295EEENS1_25partition_config_selectorILNS1_17partition_subalgoE4EjNS0_10empty_typeEbEEZZNS1_14partition_implILS8_4ELb0ES6_15HIP_vector_typeIjLj2EENS0_17counting_iteratorIjlEEPS9_SG_NS0_5tupleIJPjSI_NS0_16reverse_iteratorISI_EEEEENSH_IJSG_SG_SG_EEES9_SI_JZNS1_25segmented_radix_sort_implINS0_14default_configELb0EPKsPsPKlPlN2at6native12_GLOBAL__N_18offset_tEEE10hipError_tPvRmT1_PNSt15iterator_traitsIS12_E10value_typeET2_T3_PNS13_IS18_E10value_typeET4_jRbjT5_S1E_jjP12ihipStream_tbEUljE_ZNSN_ISO_Lb0ESQ_SR_ST_SU_SY_EESZ_S10_S11_S12_S16_S17_S18_S1B_S1C_jS1D_jS1E_S1E_jjS1G_bEUljE0_EEESZ_S10_S11_S18_S1C_S1E_T6_T7_T9_mT8_S1G_bDpT10_ENKUlT_T0_E_clISt17integral_constantIbLb1EES1U_EEDaS1P_S1Q_EUlS1P_E_NS1_11comp_targetILNS1_3genE3ELNS1_11target_archE908ELNS1_3gpuE7ELNS1_3repE0EEENS1_30default_config_static_selectorELNS0_4arch9wavefront6targetE0EEEvS12_.kd
    .uniform_work_group_size: 1
    .uses_dynamic_stack: false
    .vgpr_count:     0
    .vgpr_spill_count: 0
    .wavefront_size: 32
    .workgroup_processor_mode: 1
  - .args:
      - .offset:         0
        .size:           184
        .value_kind:     by_value
    .group_segment_fixed_size: 0
    .kernarg_segment_align: 8
    .kernarg_segment_size: 184
    .language:       OpenCL C
    .language_version:
      - 2
      - 0
    .max_flat_workgroup_size: 256
    .name:           _ZN7rocprim17ROCPRIM_400000_NS6detail17trampoline_kernelINS0_13select_configILj256ELj13ELNS0_17block_load_methodE3ELS4_3ELS4_3ELNS0_20block_scan_algorithmE0ELj4294967295EEENS1_25partition_config_selectorILNS1_17partition_subalgoE4EjNS0_10empty_typeEbEEZZNS1_14partition_implILS8_4ELb0ES6_15HIP_vector_typeIjLj2EENS0_17counting_iteratorIjlEEPS9_SG_NS0_5tupleIJPjSI_NS0_16reverse_iteratorISI_EEEEENSH_IJSG_SG_SG_EEES9_SI_JZNS1_25segmented_radix_sort_implINS0_14default_configELb0EPKsPsPKlPlN2at6native12_GLOBAL__N_18offset_tEEE10hipError_tPvRmT1_PNSt15iterator_traitsIS12_E10value_typeET2_T3_PNS13_IS18_E10value_typeET4_jRbjT5_S1E_jjP12ihipStream_tbEUljE_ZNSN_ISO_Lb0ESQ_SR_ST_SU_SY_EESZ_S10_S11_S12_S16_S17_S18_S1B_S1C_jS1D_jS1E_S1E_jjS1G_bEUljE0_EEESZ_S10_S11_S18_S1C_S1E_T6_T7_T9_mT8_S1G_bDpT10_ENKUlT_T0_E_clISt17integral_constantIbLb1EES1U_EEDaS1P_S1Q_EUlS1P_E_NS1_11comp_targetILNS1_3genE2ELNS1_11target_archE906ELNS1_3gpuE6ELNS1_3repE0EEENS1_30default_config_static_selectorELNS0_4arch9wavefront6targetE0EEEvS12_
    .private_segment_fixed_size: 0
    .sgpr_count:     0
    .sgpr_spill_count: 0
    .symbol:         _ZN7rocprim17ROCPRIM_400000_NS6detail17trampoline_kernelINS0_13select_configILj256ELj13ELNS0_17block_load_methodE3ELS4_3ELS4_3ELNS0_20block_scan_algorithmE0ELj4294967295EEENS1_25partition_config_selectorILNS1_17partition_subalgoE4EjNS0_10empty_typeEbEEZZNS1_14partition_implILS8_4ELb0ES6_15HIP_vector_typeIjLj2EENS0_17counting_iteratorIjlEEPS9_SG_NS0_5tupleIJPjSI_NS0_16reverse_iteratorISI_EEEEENSH_IJSG_SG_SG_EEES9_SI_JZNS1_25segmented_radix_sort_implINS0_14default_configELb0EPKsPsPKlPlN2at6native12_GLOBAL__N_18offset_tEEE10hipError_tPvRmT1_PNSt15iterator_traitsIS12_E10value_typeET2_T3_PNS13_IS18_E10value_typeET4_jRbjT5_S1E_jjP12ihipStream_tbEUljE_ZNSN_ISO_Lb0ESQ_SR_ST_SU_SY_EESZ_S10_S11_S12_S16_S17_S18_S1B_S1C_jS1D_jS1E_S1E_jjS1G_bEUljE0_EEESZ_S10_S11_S18_S1C_S1E_T6_T7_T9_mT8_S1G_bDpT10_ENKUlT_T0_E_clISt17integral_constantIbLb1EES1U_EEDaS1P_S1Q_EUlS1P_E_NS1_11comp_targetILNS1_3genE2ELNS1_11target_archE906ELNS1_3gpuE6ELNS1_3repE0EEENS1_30default_config_static_selectorELNS0_4arch9wavefront6targetE0EEEvS12_.kd
    .uniform_work_group_size: 1
    .uses_dynamic_stack: false
    .vgpr_count:     0
    .vgpr_spill_count: 0
    .wavefront_size: 32
    .workgroup_processor_mode: 1
  - .args:
      - .offset:         0
        .size:           184
        .value_kind:     by_value
    .group_segment_fixed_size: 0
    .kernarg_segment_align: 8
    .kernarg_segment_size: 184
    .language:       OpenCL C
    .language_version:
      - 2
      - 0
    .max_flat_workgroup_size: 256
    .name:           _ZN7rocprim17ROCPRIM_400000_NS6detail17trampoline_kernelINS0_13select_configILj256ELj13ELNS0_17block_load_methodE3ELS4_3ELS4_3ELNS0_20block_scan_algorithmE0ELj4294967295EEENS1_25partition_config_selectorILNS1_17partition_subalgoE4EjNS0_10empty_typeEbEEZZNS1_14partition_implILS8_4ELb0ES6_15HIP_vector_typeIjLj2EENS0_17counting_iteratorIjlEEPS9_SG_NS0_5tupleIJPjSI_NS0_16reverse_iteratorISI_EEEEENSH_IJSG_SG_SG_EEES9_SI_JZNS1_25segmented_radix_sort_implINS0_14default_configELb0EPKsPsPKlPlN2at6native12_GLOBAL__N_18offset_tEEE10hipError_tPvRmT1_PNSt15iterator_traitsIS12_E10value_typeET2_T3_PNS13_IS18_E10value_typeET4_jRbjT5_S1E_jjP12ihipStream_tbEUljE_ZNSN_ISO_Lb0ESQ_SR_ST_SU_SY_EESZ_S10_S11_S12_S16_S17_S18_S1B_S1C_jS1D_jS1E_S1E_jjS1G_bEUljE0_EEESZ_S10_S11_S18_S1C_S1E_T6_T7_T9_mT8_S1G_bDpT10_ENKUlT_T0_E_clISt17integral_constantIbLb1EES1U_EEDaS1P_S1Q_EUlS1P_E_NS1_11comp_targetILNS1_3genE10ELNS1_11target_archE1200ELNS1_3gpuE4ELNS1_3repE0EEENS1_30default_config_static_selectorELNS0_4arch9wavefront6targetE0EEEvS12_
    .private_segment_fixed_size: 0
    .sgpr_count:     0
    .sgpr_spill_count: 0
    .symbol:         _ZN7rocprim17ROCPRIM_400000_NS6detail17trampoline_kernelINS0_13select_configILj256ELj13ELNS0_17block_load_methodE3ELS4_3ELS4_3ELNS0_20block_scan_algorithmE0ELj4294967295EEENS1_25partition_config_selectorILNS1_17partition_subalgoE4EjNS0_10empty_typeEbEEZZNS1_14partition_implILS8_4ELb0ES6_15HIP_vector_typeIjLj2EENS0_17counting_iteratorIjlEEPS9_SG_NS0_5tupleIJPjSI_NS0_16reverse_iteratorISI_EEEEENSH_IJSG_SG_SG_EEES9_SI_JZNS1_25segmented_radix_sort_implINS0_14default_configELb0EPKsPsPKlPlN2at6native12_GLOBAL__N_18offset_tEEE10hipError_tPvRmT1_PNSt15iterator_traitsIS12_E10value_typeET2_T3_PNS13_IS18_E10value_typeET4_jRbjT5_S1E_jjP12ihipStream_tbEUljE_ZNSN_ISO_Lb0ESQ_SR_ST_SU_SY_EESZ_S10_S11_S12_S16_S17_S18_S1B_S1C_jS1D_jS1E_S1E_jjS1G_bEUljE0_EEESZ_S10_S11_S18_S1C_S1E_T6_T7_T9_mT8_S1G_bDpT10_ENKUlT_T0_E_clISt17integral_constantIbLb1EES1U_EEDaS1P_S1Q_EUlS1P_E_NS1_11comp_targetILNS1_3genE10ELNS1_11target_archE1200ELNS1_3gpuE4ELNS1_3repE0EEENS1_30default_config_static_selectorELNS0_4arch9wavefront6targetE0EEEvS12_.kd
    .uniform_work_group_size: 1
    .uses_dynamic_stack: false
    .vgpr_count:     0
    .vgpr_spill_count: 0
    .wavefront_size: 32
    .workgroup_processor_mode: 1
  - .args:
      - .offset:         0
        .size:           184
        .value_kind:     by_value
    .group_segment_fixed_size: 0
    .kernarg_segment_align: 8
    .kernarg_segment_size: 184
    .language:       OpenCL C
    .language_version:
      - 2
      - 0
    .max_flat_workgroup_size: 256
    .name:           _ZN7rocprim17ROCPRIM_400000_NS6detail17trampoline_kernelINS0_13select_configILj256ELj13ELNS0_17block_load_methodE3ELS4_3ELS4_3ELNS0_20block_scan_algorithmE0ELj4294967295EEENS1_25partition_config_selectorILNS1_17partition_subalgoE4EjNS0_10empty_typeEbEEZZNS1_14partition_implILS8_4ELb0ES6_15HIP_vector_typeIjLj2EENS0_17counting_iteratorIjlEEPS9_SG_NS0_5tupleIJPjSI_NS0_16reverse_iteratorISI_EEEEENSH_IJSG_SG_SG_EEES9_SI_JZNS1_25segmented_radix_sort_implINS0_14default_configELb0EPKsPsPKlPlN2at6native12_GLOBAL__N_18offset_tEEE10hipError_tPvRmT1_PNSt15iterator_traitsIS12_E10value_typeET2_T3_PNS13_IS18_E10value_typeET4_jRbjT5_S1E_jjP12ihipStream_tbEUljE_ZNSN_ISO_Lb0ESQ_SR_ST_SU_SY_EESZ_S10_S11_S12_S16_S17_S18_S1B_S1C_jS1D_jS1E_S1E_jjS1G_bEUljE0_EEESZ_S10_S11_S18_S1C_S1E_T6_T7_T9_mT8_S1G_bDpT10_ENKUlT_T0_E_clISt17integral_constantIbLb1EES1U_EEDaS1P_S1Q_EUlS1P_E_NS1_11comp_targetILNS1_3genE9ELNS1_11target_archE1100ELNS1_3gpuE3ELNS1_3repE0EEENS1_30default_config_static_selectorELNS0_4arch9wavefront6targetE0EEEvS12_
    .private_segment_fixed_size: 0
    .sgpr_count:     0
    .sgpr_spill_count: 0
    .symbol:         _ZN7rocprim17ROCPRIM_400000_NS6detail17trampoline_kernelINS0_13select_configILj256ELj13ELNS0_17block_load_methodE3ELS4_3ELS4_3ELNS0_20block_scan_algorithmE0ELj4294967295EEENS1_25partition_config_selectorILNS1_17partition_subalgoE4EjNS0_10empty_typeEbEEZZNS1_14partition_implILS8_4ELb0ES6_15HIP_vector_typeIjLj2EENS0_17counting_iteratorIjlEEPS9_SG_NS0_5tupleIJPjSI_NS0_16reverse_iteratorISI_EEEEENSH_IJSG_SG_SG_EEES9_SI_JZNS1_25segmented_radix_sort_implINS0_14default_configELb0EPKsPsPKlPlN2at6native12_GLOBAL__N_18offset_tEEE10hipError_tPvRmT1_PNSt15iterator_traitsIS12_E10value_typeET2_T3_PNS13_IS18_E10value_typeET4_jRbjT5_S1E_jjP12ihipStream_tbEUljE_ZNSN_ISO_Lb0ESQ_SR_ST_SU_SY_EESZ_S10_S11_S12_S16_S17_S18_S1B_S1C_jS1D_jS1E_S1E_jjS1G_bEUljE0_EEESZ_S10_S11_S18_S1C_S1E_T6_T7_T9_mT8_S1G_bDpT10_ENKUlT_T0_E_clISt17integral_constantIbLb1EES1U_EEDaS1P_S1Q_EUlS1P_E_NS1_11comp_targetILNS1_3genE9ELNS1_11target_archE1100ELNS1_3gpuE3ELNS1_3repE0EEENS1_30default_config_static_selectorELNS0_4arch9wavefront6targetE0EEEvS12_.kd
    .uniform_work_group_size: 1
    .uses_dynamic_stack: false
    .vgpr_count:     0
    .vgpr_spill_count: 0
    .wavefront_size: 32
    .workgroup_processor_mode: 1
  - .args:
      - .offset:         0
        .size:           184
        .value_kind:     by_value
    .group_segment_fixed_size: 0
    .kernarg_segment_align: 8
    .kernarg_segment_size: 184
    .language:       OpenCL C
    .language_version:
      - 2
      - 0
    .max_flat_workgroup_size: 256
    .name:           _ZN7rocprim17ROCPRIM_400000_NS6detail17trampoline_kernelINS0_13select_configILj256ELj13ELNS0_17block_load_methodE3ELS4_3ELS4_3ELNS0_20block_scan_algorithmE0ELj4294967295EEENS1_25partition_config_selectorILNS1_17partition_subalgoE4EjNS0_10empty_typeEbEEZZNS1_14partition_implILS8_4ELb0ES6_15HIP_vector_typeIjLj2EENS0_17counting_iteratorIjlEEPS9_SG_NS0_5tupleIJPjSI_NS0_16reverse_iteratorISI_EEEEENSH_IJSG_SG_SG_EEES9_SI_JZNS1_25segmented_radix_sort_implINS0_14default_configELb0EPKsPsPKlPlN2at6native12_GLOBAL__N_18offset_tEEE10hipError_tPvRmT1_PNSt15iterator_traitsIS12_E10value_typeET2_T3_PNS13_IS18_E10value_typeET4_jRbjT5_S1E_jjP12ihipStream_tbEUljE_ZNSN_ISO_Lb0ESQ_SR_ST_SU_SY_EESZ_S10_S11_S12_S16_S17_S18_S1B_S1C_jS1D_jS1E_S1E_jjS1G_bEUljE0_EEESZ_S10_S11_S18_S1C_S1E_T6_T7_T9_mT8_S1G_bDpT10_ENKUlT_T0_E_clISt17integral_constantIbLb1EES1U_EEDaS1P_S1Q_EUlS1P_E_NS1_11comp_targetILNS1_3genE8ELNS1_11target_archE1030ELNS1_3gpuE2ELNS1_3repE0EEENS1_30default_config_static_selectorELNS0_4arch9wavefront6targetE0EEEvS12_
    .private_segment_fixed_size: 0
    .sgpr_count:     0
    .sgpr_spill_count: 0
    .symbol:         _ZN7rocprim17ROCPRIM_400000_NS6detail17trampoline_kernelINS0_13select_configILj256ELj13ELNS0_17block_load_methodE3ELS4_3ELS4_3ELNS0_20block_scan_algorithmE0ELj4294967295EEENS1_25partition_config_selectorILNS1_17partition_subalgoE4EjNS0_10empty_typeEbEEZZNS1_14partition_implILS8_4ELb0ES6_15HIP_vector_typeIjLj2EENS0_17counting_iteratorIjlEEPS9_SG_NS0_5tupleIJPjSI_NS0_16reverse_iteratorISI_EEEEENSH_IJSG_SG_SG_EEES9_SI_JZNS1_25segmented_radix_sort_implINS0_14default_configELb0EPKsPsPKlPlN2at6native12_GLOBAL__N_18offset_tEEE10hipError_tPvRmT1_PNSt15iterator_traitsIS12_E10value_typeET2_T3_PNS13_IS18_E10value_typeET4_jRbjT5_S1E_jjP12ihipStream_tbEUljE_ZNSN_ISO_Lb0ESQ_SR_ST_SU_SY_EESZ_S10_S11_S12_S16_S17_S18_S1B_S1C_jS1D_jS1E_S1E_jjS1G_bEUljE0_EEESZ_S10_S11_S18_S1C_S1E_T6_T7_T9_mT8_S1G_bDpT10_ENKUlT_T0_E_clISt17integral_constantIbLb1EES1U_EEDaS1P_S1Q_EUlS1P_E_NS1_11comp_targetILNS1_3genE8ELNS1_11target_archE1030ELNS1_3gpuE2ELNS1_3repE0EEENS1_30default_config_static_selectorELNS0_4arch9wavefront6targetE0EEEvS12_.kd
    .uniform_work_group_size: 1
    .uses_dynamic_stack: false
    .vgpr_count:     0
    .vgpr_spill_count: 0
    .wavefront_size: 32
    .workgroup_processor_mode: 1
  - .args:
      - .offset:         0
        .size:           176
        .value_kind:     by_value
    .group_segment_fixed_size: 0
    .kernarg_segment_align: 8
    .kernarg_segment_size: 176
    .language:       OpenCL C
    .language_version:
      - 2
      - 0
    .max_flat_workgroup_size: 256
    .name:           _ZN7rocprim17ROCPRIM_400000_NS6detail17trampoline_kernelINS0_13select_configILj256ELj13ELNS0_17block_load_methodE3ELS4_3ELS4_3ELNS0_20block_scan_algorithmE0ELj4294967295EEENS1_25partition_config_selectorILNS1_17partition_subalgoE4EjNS0_10empty_typeEbEEZZNS1_14partition_implILS8_4ELb0ES6_15HIP_vector_typeIjLj2EENS0_17counting_iteratorIjlEEPS9_SG_NS0_5tupleIJPjSI_NS0_16reverse_iteratorISI_EEEEENSH_IJSG_SG_SG_EEES9_SI_JZNS1_25segmented_radix_sort_implINS0_14default_configELb0EPKsPsPKlPlN2at6native12_GLOBAL__N_18offset_tEEE10hipError_tPvRmT1_PNSt15iterator_traitsIS12_E10value_typeET2_T3_PNS13_IS18_E10value_typeET4_jRbjT5_S1E_jjP12ihipStream_tbEUljE_ZNSN_ISO_Lb0ESQ_SR_ST_SU_SY_EESZ_S10_S11_S12_S16_S17_S18_S1B_S1C_jS1D_jS1E_S1E_jjS1G_bEUljE0_EEESZ_S10_S11_S18_S1C_S1E_T6_T7_T9_mT8_S1G_bDpT10_ENKUlT_T0_E_clISt17integral_constantIbLb1EES1T_IbLb0EEEEDaS1P_S1Q_EUlS1P_E_NS1_11comp_targetILNS1_3genE0ELNS1_11target_archE4294967295ELNS1_3gpuE0ELNS1_3repE0EEENS1_30default_config_static_selectorELNS0_4arch9wavefront6targetE0EEEvS12_
    .private_segment_fixed_size: 0
    .sgpr_count:     0
    .sgpr_spill_count: 0
    .symbol:         _ZN7rocprim17ROCPRIM_400000_NS6detail17trampoline_kernelINS0_13select_configILj256ELj13ELNS0_17block_load_methodE3ELS4_3ELS4_3ELNS0_20block_scan_algorithmE0ELj4294967295EEENS1_25partition_config_selectorILNS1_17partition_subalgoE4EjNS0_10empty_typeEbEEZZNS1_14partition_implILS8_4ELb0ES6_15HIP_vector_typeIjLj2EENS0_17counting_iteratorIjlEEPS9_SG_NS0_5tupleIJPjSI_NS0_16reverse_iteratorISI_EEEEENSH_IJSG_SG_SG_EEES9_SI_JZNS1_25segmented_radix_sort_implINS0_14default_configELb0EPKsPsPKlPlN2at6native12_GLOBAL__N_18offset_tEEE10hipError_tPvRmT1_PNSt15iterator_traitsIS12_E10value_typeET2_T3_PNS13_IS18_E10value_typeET4_jRbjT5_S1E_jjP12ihipStream_tbEUljE_ZNSN_ISO_Lb0ESQ_SR_ST_SU_SY_EESZ_S10_S11_S12_S16_S17_S18_S1B_S1C_jS1D_jS1E_S1E_jjS1G_bEUljE0_EEESZ_S10_S11_S18_S1C_S1E_T6_T7_T9_mT8_S1G_bDpT10_ENKUlT_T0_E_clISt17integral_constantIbLb1EES1T_IbLb0EEEEDaS1P_S1Q_EUlS1P_E_NS1_11comp_targetILNS1_3genE0ELNS1_11target_archE4294967295ELNS1_3gpuE0ELNS1_3repE0EEENS1_30default_config_static_selectorELNS0_4arch9wavefront6targetE0EEEvS12_.kd
    .uniform_work_group_size: 1
    .uses_dynamic_stack: false
    .vgpr_count:     0
    .vgpr_spill_count: 0
    .wavefront_size: 32
    .workgroup_processor_mode: 1
  - .args:
      - .offset:         0
        .size:           176
        .value_kind:     by_value
    .group_segment_fixed_size: 0
    .kernarg_segment_align: 8
    .kernarg_segment_size: 176
    .language:       OpenCL C
    .language_version:
      - 2
      - 0
    .max_flat_workgroup_size: 256
    .name:           _ZN7rocprim17ROCPRIM_400000_NS6detail17trampoline_kernelINS0_13select_configILj256ELj13ELNS0_17block_load_methodE3ELS4_3ELS4_3ELNS0_20block_scan_algorithmE0ELj4294967295EEENS1_25partition_config_selectorILNS1_17partition_subalgoE4EjNS0_10empty_typeEbEEZZNS1_14partition_implILS8_4ELb0ES6_15HIP_vector_typeIjLj2EENS0_17counting_iteratorIjlEEPS9_SG_NS0_5tupleIJPjSI_NS0_16reverse_iteratorISI_EEEEENSH_IJSG_SG_SG_EEES9_SI_JZNS1_25segmented_radix_sort_implINS0_14default_configELb0EPKsPsPKlPlN2at6native12_GLOBAL__N_18offset_tEEE10hipError_tPvRmT1_PNSt15iterator_traitsIS12_E10value_typeET2_T3_PNS13_IS18_E10value_typeET4_jRbjT5_S1E_jjP12ihipStream_tbEUljE_ZNSN_ISO_Lb0ESQ_SR_ST_SU_SY_EESZ_S10_S11_S12_S16_S17_S18_S1B_S1C_jS1D_jS1E_S1E_jjS1G_bEUljE0_EEESZ_S10_S11_S18_S1C_S1E_T6_T7_T9_mT8_S1G_bDpT10_ENKUlT_T0_E_clISt17integral_constantIbLb1EES1T_IbLb0EEEEDaS1P_S1Q_EUlS1P_E_NS1_11comp_targetILNS1_3genE5ELNS1_11target_archE942ELNS1_3gpuE9ELNS1_3repE0EEENS1_30default_config_static_selectorELNS0_4arch9wavefront6targetE0EEEvS12_
    .private_segment_fixed_size: 0
    .sgpr_count:     0
    .sgpr_spill_count: 0
    .symbol:         _ZN7rocprim17ROCPRIM_400000_NS6detail17trampoline_kernelINS0_13select_configILj256ELj13ELNS0_17block_load_methodE3ELS4_3ELS4_3ELNS0_20block_scan_algorithmE0ELj4294967295EEENS1_25partition_config_selectorILNS1_17partition_subalgoE4EjNS0_10empty_typeEbEEZZNS1_14partition_implILS8_4ELb0ES6_15HIP_vector_typeIjLj2EENS0_17counting_iteratorIjlEEPS9_SG_NS0_5tupleIJPjSI_NS0_16reverse_iteratorISI_EEEEENSH_IJSG_SG_SG_EEES9_SI_JZNS1_25segmented_radix_sort_implINS0_14default_configELb0EPKsPsPKlPlN2at6native12_GLOBAL__N_18offset_tEEE10hipError_tPvRmT1_PNSt15iterator_traitsIS12_E10value_typeET2_T3_PNS13_IS18_E10value_typeET4_jRbjT5_S1E_jjP12ihipStream_tbEUljE_ZNSN_ISO_Lb0ESQ_SR_ST_SU_SY_EESZ_S10_S11_S12_S16_S17_S18_S1B_S1C_jS1D_jS1E_S1E_jjS1G_bEUljE0_EEESZ_S10_S11_S18_S1C_S1E_T6_T7_T9_mT8_S1G_bDpT10_ENKUlT_T0_E_clISt17integral_constantIbLb1EES1T_IbLb0EEEEDaS1P_S1Q_EUlS1P_E_NS1_11comp_targetILNS1_3genE5ELNS1_11target_archE942ELNS1_3gpuE9ELNS1_3repE0EEENS1_30default_config_static_selectorELNS0_4arch9wavefront6targetE0EEEvS12_.kd
    .uniform_work_group_size: 1
    .uses_dynamic_stack: false
    .vgpr_count:     0
    .vgpr_spill_count: 0
    .wavefront_size: 32
    .workgroup_processor_mode: 1
  - .args:
      - .offset:         0
        .size:           176
        .value_kind:     by_value
    .group_segment_fixed_size: 0
    .kernarg_segment_align: 8
    .kernarg_segment_size: 176
    .language:       OpenCL C
    .language_version:
      - 2
      - 0
    .max_flat_workgroup_size: 256
    .name:           _ZN7rocprim17ROCPRIM_400000_NS6detail17trampoline_kernelINS0_13select_configILj256ELj13ELNS0_17block_load_methodE3ELS4_3ELS4_3ELNS0_20block_scan_algorithmE0ELj4294967295EEENS1_25partition_config_selectorILNS1_17partition_subalgoE4EjNS0_10empty_typeEbEEZZNS1_14partition_implILS8_4ELb0ES6_15HIP_vector_typeIjLj2EENS0_17counting_iteratorIjlEEPS9_SG_NS0_5tupleIJPjSI_NS0_16reverse_iteratorISI_EEEEENSH_IJSG_SG_SG_EEES9_SI_JZNS1_25segmented_radix_sort_implINS0_14default_configELb0EPKsPsPKlPlN2at6native12_GLOBAL__N_18offset_tEEE10hipError_tPvRmT1_PNSt15iterator_traitsIS12_E10value_typeET2_T3_PNS13_IS18_E10value_typeET4_jRbjT5_S1E_jjP12ihipStream_tbEUljE_ZNSN_ISO_Lb0ESQ_SR_ST_SU_SY_EESZ_S10_S11_S12_S16_S17_S18_S1B_S1C_jS1D_jS1E_S1E_jjS1G_bEUljE0_EEESZ_S10_S11_S18_S1C_S1E_T6_T7_T9_mT8_S1G_bDpT10_ENKUlT_T0_E_clISt17integral_constantIbLb1EES1T_IbLb0EEEEDaS1P_S1Q_EUlS1P_E_NS1_11comp_targetILNS1_3genE4ELNS1_11target_archE910ELNS1_3gpuE8ELNS1_3repE0EEENS1_30default_config_static_selectorELNS0_4arch9wavefront6targetE0EEEvS12_
    .private_segment_fixed_size: 0
    .sgpr_count:     0
    .sgpr_spill_count: 0
    .symbol:         _ZN7rocprim17ROCPRIM_400000_NS6detail17trampoline_kernelINS0_13select_configILj256ELj13ELNS0_17block_load_methodE3ELS4_3ELS4_3ELNS0_20block_scan_algorithmE0ELj4294967295EEENS1_25partition_config_selectorILNS1_17partition_subalgoE4EjNS0_10empty_typeEbEEZZNS1_14partition_implILS8_4ELb0ES6_15HIP_vector_typeIjLj2EENS0_17counting_iteratorIjlEEPS9_SG_NS0_5tupleIJPjSI_NS0_16reverse_iteratorISI_EEEEENSH_IJSG_SG_SG_EEES9_SI_JZNS1_25segmented_radix_sort_implINS0_14default_configELb0EPKsPsPKlPlN2at6native12_GLOBAL__N_18offset_tEEE10hipError_tPvRmT1_PNSt15iterator_traitsIS12_E10value_typeET2_T3_PNS13_IS18_E10value_typeET4_jRbjT5_S1E_jjP12ihipStream_tbEUljE_ZNSN_ISO_Lb0ESQ_SR_ST_SU_SY_EESZ_S10_S11_S12_S16_S17_S18_S1B_S1C_jS1D_jS1E_S1E_jjS1G_bEUljE0_EEESZ_S10_S11_S18_S1C_S1E_T6_T7_T9_mT8_S1G_bDpT10_ENKUlT_T0_E_clISt17integral_constantIbLb1EES1T_IbLb0EEEEDaS1P_S1Q_EUlS1P_E_NS1_11comp_targetILNS1_3genE4ELNS1_11target_archE910ELNS1_3gpuE8ELNS1_3repE0EEENS1_30default_config_static_selectorELNS0_4arch9wavefront6targetE0EEEvS12_.kd
    .uniform_work_group_size: 1
    .uses_dynamic_stack: false
    .vgpr_count:     0
    .vgpr_spill_count: 0
    .wavefront_size: 32
    .workgroup_processor_mode: 1
  - .args:
      - .offset:         0
        .size:           176
        .value_kind:     by_value
    .group_segment_fixed_size: 0
    .kernarg_segment_align: 8
    .kernarg_segment_size: 176
    .language:       OpenCL C
    .language_version:
      - 2
      - 0
    .max_flat_workgroup_size: 256
    .name:           _ZN7rocprim17ROCPRIM_400000_NS6detail17trampoline_kernelINS0_13select_configILj256ELj13ELNS0_17block_load_methodE3ELS4_3ELS4_3ELNS0_20block_scan_algorithmE0ELj4294967295EEENS1_25partition_config_selectorILNS1_17partition_subalgoE4EjNS0_10empty_typeEbEEZZNS1_14partition_implILS8_4ELb0ES6_15HIP_vector_typeIjLj2EENS0_17counting_iteratorIjlEEPS9_SG_NS0_5tupleIJPjSI_NS0_16reverse_iteratorISI_EEEEENSH_IJSG_SG_SG_EEES9_SI_JZNS1_25segmented_radix_sort_implINS0_14default_configELb0EPKsPsPKlPlN2at6native12_GLOBAL__N_18offset_tEEE10hipError_tPvRmT1_PNSt15iterator_traitsIS12_E10value_typeET2_T3_PNS13_IS18_E10value_typeET4_jRbjT5_S1E_jjP12ihipStream_tbEUljE_ZNSN_ISO_Lb0ESQ_SR_ST_SU_SY_EESZ_S10_S11_S12_S16_S17_S18_S1B_S1C_jS1D_jS1E_S1E_jjS1G_bEUljE0_EEESZ_S10_S11_S18_S1C_S1E_T6_T7_T9_mT8_S1G_bDpT10_ENKUlT_T0_E_clISt17integral_constantIbLb1EES1T_IbLb0EEEEDaS1P_S1Q_EUlS1P_E_NS1_11comp_targetILNS1_3genE3ELNS1_11target_archE908ELNS1_3gpuE7ELNS1_3repE0EEENS1_30default_config_static_selectorELNS0_4arch9wavefront6targetE0EEEvS12_
    .private_segment_fixed_size: 0
    .sgpr_count:     0
    .sgpr_spill_count: 0
    .symbol:         _ZN7rocprim17ROCPRIM_400000_NS6detail17trampoline_kernelINS0_13select_configILj256ELj13ELNS0_17block_load_methodE3ELS4_3ELS4_3ELNS0_20block_scan_algorithmE0ELj4294967295EEENS1_25partition_config_selectorILNS1_17partition_subalgoE4EjNS0_10empty_typeEbEEZZNS1_14partition_implILS8_4ELb0ES6_15HIP_vector_typeIjLj2EENS0_17counting_iteratorIjlEEPS9_SG_NS0_5tupleIJPjSI_NS0_16reverse_iteratorISI_EEEEENSH_IJSG_SG_SG_EEES9_SI_JZNS1_25segmented_radix_sort_implINS0_14default_configELb0EPKsPsPKlPlN2at6native12_GLOBAL__N_18offset_tEEE10hipError_tPvRmT1_PNSt15iterator_traitsIS12_E10value_typeET2_T3_PNS13_IS18_E10value_typeET4_jRbjT5_S1E_jjP12ihipStream_tbEUljE_ZNSN_ISO_Lb0ESQ_SR_ST_SU_SY_EESZ_S10_S11_S12_S16_S17_S18_S1B_S1C_jS1D_jS1E_S1E_jjS1G_bEUljE0_EEESZ_S10_S11_S18_S1C_S1E_T6_T7_T9_mT8_S1G_bDpT10_ENKUlT_T0_E_clISt17integral_constantIbLb1EES1T_IbLb0EEEEDaS1P_S1Q_EUlS1P_E_NS1_11comp_targetILNS1_3genE3ELNS1_11target_archE908ELNS1_3gpuE7ELNS1_3repE0EEENS1_30default_config_static_selectorELNS0_4arch9wavefront6targetE0EEEvS12_.kd
    .uniform_work_group_size: 1
    .uses_dynamic_stack: false
    .vgpr_count:     0
    .vgpr_spill_count: 0
    .wavefront_size: 32
    .workgroup_processor_mode: 1
  - .args:
      - .offset:         0
        .size:           176
        .value_kind:     by_value
    .group_segment_fixed_size: 0
    .kernarg_segment_align: 8
    .kernarg_segment_size: 176
    .language:       OpenCL C
    .language_version:
      - 2
      - 0
    .max_flat_workgroup_size: 256
    .name:           _ZN7rocprim17ROCPRIM_400000_NS6detail17trampoline_kernelINS0_13select_configILj256ELj13ELNS0_17block_load_methodE3ELS4_3ELS4_3ELNS0_20block_scan_algorithmE0ELj4294967295EEENS1_25partition_config_selectorILNS1_17partition_subalgoE4EjNS0_10empty_typeEbEEZZNS1_14partition_implILS8_4ELb0ES6_15HIP_vector_typeIjLj2EENS0_17counting_iteratorIjlEEPS9_SG_NS0_5tupleIJPjSI_NS0_16reverse_iteratorISI_EEEEENSH_IJSG_SG_SG_EEES9_SI_JZNS1_25segmented_radix_sort_implINS0_14default_configELb0EPKsPsPKlPlN2at6native12_GLOBAL__N_18offset_tEEE10hipError_tPvRmT1_PNSt15iterator_traitsIS12_E10value_typeET2_T3_PNS13_IS18_E10value_typeET4_jRbjT5_S1E_jjP12ihipStream_tbEUljE_ZNSN_ISO_Lb0ESQ_SR_ST_SU_SY_EESZ_S10_S11_S12_S16_S17_S18_S1B_S1C_jS1D_jS1E_S1E_jjS1G_bEUljE0_EEESZ_S10_S11_S18_S1C_S1E_T6_T7_T9_mT8_S1G_bDpT10_ENKUlT_T0_E_clISt17integral_constantIbLb1EES1T_IbLb0EEEEDaS1P_S1Q_EUlS1P_E_NS1_11comp_targetILNS1_3genE2ELNS1_11target_archE906ELNS1_3gpuE6ELNS1_3repE0EEENS1_30default_config_static_selectorELNS0_4arch9wavefront6targetE0EEEvS12_
    .private_segment_fixed_size: 0
    .sgpr_count:     0
    .sgpr_spill_count: 0
    .symbol:         _ZN7rocprim17ROCPRIM_400000_NS6detail17trampoline_kernelINS0_13select_configILj256ELj13ELNS0_17block_load_methodE3ELS4_3ELS4_3ELNS0_20block_scan_algorithmE0ELj4294967295EEENS1_25partition_config_selectorILNS1_17partition_subalgoE4EjNS0_10empty_typeEbEEZZNS1_14partition_implILS8_4ELb0ES6_15HIP_vector_typeIjLj2EENS0_17counting_iteratorIjlEEPS9_SG_NS0_5tupleIJPjSI_NS0_16reverse_iteratorISI_EEEEENSH_IJSG_SG_SG_EEES9_SI_JZNS1_25segmented_radix_sort_implINS0_14default_configELb0EPKsPsPKlPlN2at6native12_GLOBAL__N_18offset_tEEE10hipError_tPvRmT1_PNSt15iterator_traitsIS12_E10value_typeET2_T3_PNS13_IS18_E10value_typeET4_jRbjT5_S1E_jjP12ihipStream_tbEUljE_ZNSN_ISO_Lb0ESQ_SR_ST_SU_SY_EESZ_S10_S11_S12_S16_S17_S18_S1B_S1C_jS1D_jS1E_S1E_jjS1G_bEUljE0_EEESZ_S10_S11_S18_S1C_S1E_T6_T7_T9_mT8_S1G_bDpT10_ENKUlT_T0_E_clISt17integral_constantIbLb1EES1T_IbLb0EEEEDaS1P_S1Q_EUlS1P_E_NS1_11comp_targetILNS1_3genE2ELNS1_11target_archE906ELNS1_3gpuE6ELNS1_3repE0EEENS1_30default_config_static_selectorELNS0_4arch9wavefront6targetE0EEEvS12_.kd
    .uniform_work_group_size: 1
    .uses_dynamic_stack: false
    .vgpr_count:     0
    .vgpr_spill_count: 0
    .wavefront_size: 32
    .workgroup_processor_mode: 1
  - .args:
      - .offset:         0
        .size:           176
        .value_kind:     by_value
    .group_segment_fixed_size: 0
    .kernarg_segment_align: 8
    .kernarg_segment_size: 176
    .language:       OpenCL C
    .language_version:
      - 2
      - 0
    .max_flat_workgroup_size: 256
    .name:           _ZN7rocprim17ROCPRIM_400000_NS6detail17trampoline_kernelINS0_13select_configILj256ELj13ELNS0_17block_load_methodE3ELS4_3ELS4_3ELNS0_20block_scan_algorithmE0ELj4294967295EEENS1_25partition_config_selectorILNS1_17partition_subalgoE4EjNS0_10empty_typeEbEEZZNS1_14partition_implILS8_4ELb0ES6_15HIP_vector_typeIjLj2EENS0_17counting_iteratorIjlEEPS9_SG_NS0_5tupleIJPjSI_NS0_16reverse_iteratorISI_EEEEENSH_IJSG_SG_SG_EEES9_SI_JZNS1_25segmented_radix_sort_implINS0_14default_configELb0EPKsPsPKlPlN2at6native12_GLOBAL__N_18offset_tEEE10hipError_tPvRmT1_PNSt15iterator_traitsIS12_E10value_typeET2_T3_PNS13_IS18_E10value_typeET4_jRbjT5_S1E_jjP12ihipStream_tbEUljE_ZNSN_ISO_Lb0ESQ_SR_ST_SU_SY_EESZ_S10_S11_S12_S16_S17_S18_S1B_S1C_jS1D_jS1E_S1E_jjS1G_bEUljE0_EEESZ_S10_S11_S18_S1C_S1E_T6_T7_T9_mT8_S1G_bDpT10_ENKUlT_T0_E_clISt17integral_constantIbLb1EES1T_IbLb0EEEEDaS1P_S1Q_EUlS1P_E_NS1_11comp_targetILNS1_3genE10ELNS1_11target_archE1200ELNS1_3gpuE4ELNS1_3repE0EEENS1_30default_config_static_selectorELNS0_4arch9wavefront6targetE0EEEvS12_
    .private_segment_fixed_size: 0
    .sgpr_count:     0
    .sgpr_spill_count: 0
    .symbol:         _ZN7rocprim17ROCPRIM_400000_NS6detail17trampoline_kernelINS0_13select_configILj256ELj13ELNS0_17block_load_methodE3ELS4_3ELS4_3ELNS0_20block_scan_algorithmE0ELj4294967295EEENS1_25partition_config_selectorILNS1_17partition_subalgoE4EjNS0_10empty_typeEbEEZZNS1_14partition_implILS8_4ELb0ES6_15HIP_vector_typeIjLj2EENS0_17counting_iteratorIjlEEPS9_SG_NS0_5tupleIJPjSI_NS0_16reverse_iteratorISI_EEEEENSH_IJSG_SG_SG_EEES9_SI_JZNS1_25segmented_radix_sort_implINS0_14default_configELb0EPKsPsPKlPlN2at6native12_GLOBAL__N_18offset_tEEE10hipError_tPvRmT1_PNSt15iterator_traitsIS12_E10value_typeET2_T3_PNS13_IS18_E10value_typeET4_jRbjT5_S1E_jjP12ihipStream_tbEUljE_ZNSN_ISO_Lb0ESQ_SR_ST_SU_SY_EESZ_S10_S11_S12_S16_S17_S18_S1B_S1C_jS1D_jS1E_S1E_jjS1G_bEUljE0_EEESZ_S10_S11_S18_S1C_S1E_T6_T7_T9_mT8_S1G_bDpT10_ENKUlT_T0_E_clISt17integral_constantIbLb1EES1T_IbLb0EEEEDaS1P_S1Q_EUlS1P_E_NS1_11comp_targetILNS1_3genE10ELNS1_11target_archE1200ELNS1_3gpuE4ELNS1_3repE0EEENS1_30default_config_static_selectorELNS0_4arch9wavefront6targetE0EEEvS12_.kd
    .uniform_work_group_size: 1
    .uses_dynamic_stack: false
    .vgpr_count:     0
    .vgpr_spill_count: 0
    .wavefront_size: 32
    .workgroup_processor_mode: 1
  - .args:
      - .offset:         0
        .size:           176
        .value_kind:     by_value
    .group_segment_fixed_size: 0
    .kernarg_segment_align: 8
    .kernarg_segment_size: 176
    .language:       OpenCL C
    .language_version:
      - 2
      - 0
    .max_flat_workgroup_size: 256
    .name:           _ZN7rocprim17ROCPRIM_400000_NS6detail17trampoline_kernelINS0_13select_configILj256ELj13ELNS0_17block_load_methodE3ELS4_3ELS4_3ELNS0_20block_scan_algorithmE0ELj4294967295EEENS1_25partition_config_selectorILNS1_17partition_subalgoE4EjNS0_10empty_typeEbEEZZNS1_14partition_implILS8_4ELb0ES6_15HIP_vector_typeIjLj2EENS0_17counting_iteratorIjlEEPS9_SG_NS0_5tupleIJPjSI_NS0_16reverse_iteratorISI_EEEEENSH_IJSG_SG_SG_EEES9_SI_JZNS1_25segmented_radix_sort_implINS0_14default_configELb0EPKsPsPKlPlN2at6native12_GLOBAL__N_18offset_tEEE10hipError_tPvRmT1_PNSt15iterator_traitsIS12_E10value_typeET2_T3_PNS13_IS18_E10value_typeET4_jRbjT5_S1E_jjP12ihipStream_tbEUljE_ZNSN_ISO_Lb0ESQ_SR_ST_SU_SY_EESZ_S10_S11_S12_S16_S17_S18_S1B_S1C_jS1D_jS1E_S1E_jjS1G_bEUljE0_EEESZ_S10_S11_S18_S1C_S1E_T6_T7_T9_mT8_S1G_bDpT10_ENKUlT_T0_E_clISt17integral_constantIbLb1EES1T_IbLb0EEEEDaS1P_S1Q_EUlS1P_E_NS1_11comp_targetILNS1_3genE9ELNS1_11target_archE1100ELNS1_3gpuE3ELNS1_3repE0EEENS1_30default_config_static_selectorELNS0_4arch9wavefront6targetE0EEEvS12_
    .private_segment_fixed_size: 0
    .sgpr_count:     0
    .sgpr_spill_count: 0
    .symbol:         _ZN7rocprim17ROCPRIM_400000_NS6detail17trampoline_kernelINS0_13select_configILj256ELj13ELNS0_17block_load_methodE3ELS4_3ELS4_3ELNS0_20block_scan_algorithmE0ELj4294967295EEENS1_25partition_config_selectorILNS1_17partition_subalgoE4EjNS0_10empty_typeEbEEZZNS1_14partition_implILS8_4ELb0ES6_15HIP_vector_typeIjLj2EENS0_17counting_iteratorIjlEEPS9_SG_NS0_5tupleIJPjSI_NS0_16reverse_iteratorISI_EEEEENSH_IJSG_SG_SG_EEES9_SI_JZNS1_25segmented_radix_sort_implINS0_14default_configELb0EPKsPsPKlPlN2at6native12_GLOBAL__N_18offset_tEEE10hipError_tPvRmT1_PNSt15iterator_traitsIS12_E10value_typeET2_T3_PNS13_IS18_E10value_typeET4_jRbjT5_S1E_jjP12ihipStream_tbEUljE_ZNSN_ISO_Lb0ESQ_SR_ST_SU_SY_EESZ_S10_S11_S12_S16_S17_S18_S1B_S1C_jS1D_jS1E_S1E_jjS1G_bEUljE0_EEESZ_S10_S11_S18_S1C_S1E_T6_T7_T9_mT8_S1G_bDpT10_ENKUlT_T0_E_clISt17integral_constantIbLb1EES1T_IbLb0EEEEDaS1P_S1Q_EUlS1P_E_NS1_11comp_targetILNS1_3genE9ELNS1_11target_archE1100ELNS1_3gpuE3ELNS1_3repE0EEENS1_30default_config_static_selectorELNS0_4arch9wavefront6targetE0EEEvS12_.kd
    .uniform_work_group_size: 1
    .uses_dynamic_stack: false
    .vgpr_count:     0
    .vgpr_spill_count: 0
    .wavefront_size: 32
    .workgroup_processor_mode: 1
  - .args:
      - .offset:         0
        .size:           176
        .value_kind:     by_value
    .group_segment_fixed_size: 0
    .kernarg_segment_align: 8
    .kernarg_segment_size: 176
    .language:       OpenCL C
    .language_version:
      - 2
      - 0
    .max_flat_workgroup_size: 256
    .name:           _ZN7rocprim17ROCPRIM_400000_NS6detail17trampoline_kernelINS0_13select_configILj256ELj13ELNS0_17block_load_methodE3ELS4_3ELS4_3ELNS0_20block_scan_algorithmE0ELj4294967295EEENS1_25partition_config_selectorILNS1_17partition_subalgoE4EjNS0_10empty_typeEbEEZZNS1_14partition_implILS8_4ELb0ES6_15HIP_vector_typeIjLj2EENS0_17counting_iteratorIjlEEPS9_SG_NS0_5tupleIJPjSI_NS0_16reverse_iteratorISI_EEEEENSH_IJSG_SG_SG_EEES9_SI_JZNS1_25segmented_radix_sort_implINS0_14default_configELb0EPKsPsPKlPlN2at6native12_GLOBAL__N_18offset_tEEE10hipError_tPvRmT1_PNSt15iterator_traitsIS12_E10value_typeET2_T3_PNS13_IS18_E10value_typeET4_jRbjT5_S1E_jjP12ihipStream_tbEUljE_ZNSN_ISO_Lb0ESQ_SR_ST_SU_SY_EESZ_S10_S11_S12_S16_S17_S18_S1B_S1C_jS1D_jS1E_S1E_jjS1G_bEUljE0_EEESZ_S10_S11_S18_S1C_S1E_T6_T7_T9_mT8_S1G_bDpT10_ENKUlT_T0_E_clISt17integral_constantIbLb1EES1T_IbLb0EEEEDaS1P_S1Q_EUlS1P_E_NS1_11comp_targetILNS1_3genE8ELNS1_11target_archE1030ELNS1_3gpuE2ELNS1_3repE0EEENS1_30default_config_static_selectorELNS0_4arch9wavefront6targetE0EEEvS12_
    .private_segment_fixed_size: 0
    .sgpr_count:     0
    .sgpr_spill_count: 0
    .symbol:         _ZN7rocprim17ROCPRIM_400000_NS6detail17trampoline_kernelINS0_13select_configILj256ELj13ELNS0_17block_load_methodE3ELS4_3ELS4_3ELNS0_20block_scan_algorithmE0ELj4294967295EEENS1_25partition_config_selectorILNS1_17partition_subalgoE4EjNS0_10empty_typeEbEEZZNS1_14partition_implILS8_4ELb0ES6_15HIP_vector_typeIjLj2EENS0_17counting_iteratorIjlEEPS9_SG_NS0_5tupleIJPjSI_NS0_16reverse_iteratorISI_EEEEENSH_IJSG_SG_SG_EEES9_SI_JZNS1_25segmented_radix_sort_implINS0_14default_configELb0EPKsPsPKlPlN2at6native12_GLOBAL__N_18offset_tEEE10hipError_tPvRmT1_PNSt15iterator_traitsIS12_E10value_typeET2_T3_PNS13_IS18_E10value_typeET4_jRbjT5_S1E_jjP12ihipStream_tbEUljE_ZNSN_ISO_Lb0ESQ_SR_ST_SU_SY_EESZ_S10_S11_S12_S16_S17_S18_S1B_S1C_jS1D_jS1E_S1E_jjS1G_bEUljE0_EEESZ_S10_S11_S18_S1C_S1E_T6_T7_T9_mT8_S1G_bDpT10_ENKUlT_T0_E_clISt17integral_constantIbLb1EES1T_IbLb0EEEEDaS1P_S1Q_EUlS1P_E_NS1_11comp_targetILNS1_3genE8ELNS1_11target_archE1030ELNS1_3gpuE2ELNS1_3repE0EEENS1_30default_config_static_selectorELNS0_4arch9wavefront6targetE0EEEvS12_.kd
    .uniform_work_group_size: 1
    .uses_dynamic_stack: false
    .vgpr_count:     0
    .vgpr_spill_count: 0
    .wavefront_size: 32
    .workgroup_processor_mode: 1
  - .args:
      - .offset:         0
        .size:           184
        .value_kind:     by_value
    .group_segment_fixed_size: 0
    .kernarg_segment_align: 8
    .kernarg_segment_size: 184
    .language:       OpenCL C
    .language_version:
      - 2
      - 0
    .max_flat_workgroup_size: 256
    .name:           _ZN7rocprim17ROCPRIM_400000_NS6detail17trampoline_kernelINS0_13select_configILj256ELj13ELNS0_17block_load_methodE3ELS4_3ELS4_3ELNS0_20block_scan_algorithmE0ELj4294967295EEENS1_25partition_config_selectorILNS1_17partition_subalgoE4EjNS0_10empty_typeEbEEZZNS1_14partition_implILS8_4ELb0ES6_15HIP_vector_typeIjLj2EENS0_17counting_iteratorIjlEEPS9_SG_NS0_5tupleIJPjSI_NS0_16reverse_iteratorISI_EEEEENSH_IJSG_SG_SG_EEES9_SI_JZNS1_25segmented_radix_sort_implINS0_14default_configELb0EPKsPsPKlPlN2at6native12_GLOBAL__N_18offset_tEEE10hipError_tPvRmT1_PNSt15iterator_traitsIS12_E10value_typeET2_T3_PNS13_IS18_E10value_typeET4_jRbjT5_S1E_jjP12ihipStream_tbEUljE_ZNSN_ISO_Lb0ESQ_SR_ST_SU_SY_EESZ_S10_S11_S12_S16_S17_S18_S1B_S1C_jS1D_jS1E_S1E_jjS1G_bEUljE0_EEESZ_S10_S11_S18_S1C_S1E_T6_T7_T9_mT8_S1G_bDpT10_ENKUlT_T0_E_clISt17integral_constantIbLb0EES1T_IbLb1EEEEDaS1P_S1Q_EUlS1P_E_NS1_11comp_targetILNS1_3genE0ELNS1_11target_archE4294967295ELNS1_3gpuE0ELNS1_3repE0EEENS1_30default_config_static_selectorELNS0_4arch9wavefront6targetE0EEEvS12_
    .private_segment_fixed_size: 0
    .sgpr_count:     0
    .sgpr_spill_count: 0
    .symbol:         _ZN7rocprim17ROCPRIM_400000_NS6detail17trampoline_kernelINS0_13select_configILj256ELj13ELNS0_17block_load_methodE3ELS4_3ELS4_3ELNS0_20block_scan_algorithmE0ELj4294967295EEENS1_25partition_config_selectorILNS1_17partition_subalgoE4EjNS0_10empty_typeEbEEZZNS1_14partition_implILS8_4ELb0ES6_15HIP_vector_typeIjLj2EENS0_17counting_iteratorIjlEEPS9_SG_NS0_5tupleIJPjSI_NS0_16reverse_iteratorISI_EEEEENSH_IJSG_SG_SG_EEES9_SI_JZNS1_25segmented_radix_sort_implINS0_14default_configELb0EPKsPsPKlPlN2at6native12_GLOBAL__N_18offset_tEEE10hipError_tPvRmT1_PNSt15iterator_traitsIS12_E10value_typeET2_T3_PNS13_IS18_E10value_typeET4_jRbjT5_S1E_jjP12ihipStream_tbEUljE_ZNSN_ISO_Lb0ESQ_SR_ST_SU_SY_EESZ_S10_S11_S12_S16_S17_S18_S1B_S1C_jS1D_jS1E_S1E_jjS1G_bEUljE0_EEESZ_S10_S11_S18_S1C_S1E_T6_T7_T9_mT8_S1G_bDpT10_ENKUlT_T0_E_clISt17integral_constantIbLb0EES1T_IbLb1EEEEDaS1P_S1Q_EUlS1P_E_NS1_11comp_targetILNS1_3genE0ELNS1_11target_archE4294967295ELNS1_3gpuE0ELNS1_3repE0EEENS1_30default_config_static_selectorELNS0_4arch9wavefront6targetE0EEEvS12_.kd
    .uniform_work_group_size: 1
    .uses_dynamic_stack: false
    .vgpr_count:     0
    .vgpr_spill_count: 0
    .wavefront_size: 32
    .workgroup_processor_mode: 1
  - .args:
      - .offset:         0
        .size:           184
        .value_kind:     by_value
    .group_segment_fixed_size: 0
    .kernarg_segment_align: 8
    .kernarg_segment_size: 184
    .language:       OpenCL C
    .language_version:
      - 2
      - 0
    .max_flat_workgroup_size: 256
    .name:           _ZN7rocprim17ROCPRIM_400000_NS6detail17trampoline_kernelINS0_13select_configILj256ELj13ELNS0_17block_load_methodE3ELS4_3ELS4_3ELNS0_20block_scan_algorithmE0ELj4294967295EEENS1_25partition_config_selectorILNS1_17partition_subalgoE4EjNS0_10empty_typeEbEEZZNS1_14partition_implILS8_4ELb0ES6_15HIP_vector_typeIjLj2EENS0_17counting_iteratorIjlEEPS9_SG_NS0_5tupleIJPjSI_NS0_16reverse_iteratorISI_EEEEENSH_IJSG_SG_SG_EEES9_SI_JZNS1_25segmented_radix_sort_implINS0_14default_configELb0EPKsPsPKlPlN2at6native12_GLOBAL__N_18offset_tEEE10hipError_tPvRmT1_PNSt15iterator_traitsIS12_E10value_typeET2_T3_PNS13_IS18_E10value_typeET4_jRbjT5_S1E_jjP12ihipStream_tbEUljE_ZNSN_ISO_Lb0ESQ_SR_ST_SU_SY_EESZ_S10_S11_S12_S16_S17_S18_S1B_S1C_jS1D_jS1E_S1E_jjS1G_bEUljE0_EEESZ_S10_S11_S18_S1C_S1E_T6_T7_T9_mT8_S1G_bDpT10_ENKUlT_T0_E_clISt17integral_constantIbLb0EES1T_IbLb1EEEEDaS1P_S1Q_EUlS1P_E_NS1_11comp_targetILNS1_3genE5ELNS1_11target_archE942ELNS1_3gpuE9ELNS1_3repE0EEENS1_30default_config_static_selectorELNS0_4arch9wavefront6targetE0EEEvS12_
    .private_segment_fixed_size: 0
    .sgpr_count:     0
    .sgpr_spill_count: 0
    .symbol:         _ZN7rocprim17ROCPRIM_400000_NS6detail17trampoline_kernelINS0_13select_configILj256ELj13ELNS0_17block_load_methodE3ELS4_3ELS4_3ELNS0_20block_scan_algorithmE0ELj4294967295EEENS1_25partition_config_selectorILNS1_17partition_subalgoE4EjNS0_10empty_typeEbEEZZNS1_14partition_implILS8_4ELb0ES6_15HIP_vector_typeIjLj2EENS0_17counting_iteratorIjlEEPS9_SG_NS0_5tupleIJPjSI_NS0_16reverse_iteratorISI_EEEEENSH_IJSG_SG_SG_EEES9_SI_JZNS1_25segmented_radix_sort_implINS0_14default_configELb0EPKsPsPKlPlN2at6native12_GLOBAL__N_18offset_tEEE10hipError_tPvRmT1_PNSt15iterator_traitsIS12_E10value_typeET2_T3_PNS13_IS18_E10value_typeET4_jRbjT5_S1E_jjP12ihipStream_tbEUljE_ZNSN_ISO_Lb0ESQ_SR_ST_SU_SY_EESZ_S10_S11_S12_S16_S17_S18_S1B_S1C_jS1D_jS1E_S1E_jjS1G_bEUljE0_EEESZ_S10_S11_S18_S1C_S1E_T6_T7_T9_mT8_S1G_bDpT10_ENKUlT_T0_E_clISt17integral_constantIbLb0EES1T_IbLb1EEEEDaS1P_S1Q_EUlS1P_E_NS1_11comp_targetILNS1_3genE5ELNS1_11target_archE942ELNS1_3gpuE9ELNS1_3repE0EEENS1_30default_config_static_selectorELNS0_4arch9wavefront6targetE0EEEvS12_.kd
    .uniform_work_group_size: 1
    .uses_dynamic_stack: false
    .vgpr_count:     0
    .vgpr_spill_count: 0
    .wavefront_size: 32
    .workgroup_processor_mode: 1
  - .args:
      - .offset:         0
        .size:           184
        .value_kind:     by_value
    .group_segment_fixed_size: 0
    .kernarg_segment_align: 8
    .kernarg_segment_size: 184
    .language:       OpenCL C
    .language_version:
      - 2
      - 0
    .max_flat_workgroup_size: 256
    .name:           _ZN7rocprim17ROCPRIM_400000_NS6detail17trampoline_kernelINS0_13select_configILj256ELj13ELNS0_17block_load_methodE3ELS4_3ELS4_3ELNS0_20block_scan_algorithmE0ELj4294967295EEENS1_25partition_config_selectorILNS1_17partition_subalgoE4EjNS0_10empty_typeEbEEZZNS1_14partition_implILS8_4ELb0ES6_15HIP_vector_typeIjLj2EENS0_17counting_iteratorIjlEEPS9_SG_NS0_5tupleIJPjSI_NS0_16reverse_iteratorISI_EEEEENSH_IJSG_SG_SG_EEES9_SI_JZNS1_25segmented_radix_sort_implINS0_14default_configELb0EPKsPsPKlPlN2at6native12_GLOBAL__N_18offset_tEEE10hipError_tPvRmT1_PNSt15iterator_traitsIS12_E10value_typeET2_T3_PNS13_IS18_E10value_typeET4_jRbjT5_S1E_jjP12ihipStream_tbEUljE_ZNSN_ISO_Lb0ESQ_SR_ST_SU_SY_EESZ_S10_S11_S12_S16_S17_S18_S1B_S1C_jS1D_jS1E_S1E_jjS1G_bEUljE0_EEESZ_S10_S11_S18_S1C_S1E_T6_T7_T9_mT8_S1G_bDpT10_ENKUlT_T0_E_clISt17integral_constantIbLb0EES1T_IbLb1EEEEDaS1P_S1Q_EUlS1P_E_NS1_11comp_targetILNS1_3genE4ELNS1_11target_archE910ELNS1_3gpuE8ELNS1_3repE0EEENS1_30default_config_static_selectorELNS0_4arch9wavefront6targetE0EEEvS12_
    .private_segment_fixed_size: 0
    .sgpr_count:     0
    .sgpr_spill_count: 0
    .symbol:         _ZN7rocprim17ROCPRIM_400000_NS6detail17trampoline_kernelINS0_13select_configILj256ELj13ELNS0_17block_load_methodE3ELS4_3ELS4_3ELNS0_20block_scan_algorithmE0ELj4294967295EEENS1_25partition_config_selectorILNS1_17partition_subalgoE4EjNS0_10empty_typeEbEEZZNS1_14partition_implILS8_4ELb0ES6_15HIP_vector_typeIjLj2EENS0_17counting_iteratorIjlEEPS9_SG_NS0_5tupleIJPjSI_NS0_16reverse_iteratorISI_EEEEENSH_IJSG_SG_SG_EEES9_SI_JZNS1_25segmented_radix_sort_implINS0_14default_configELb0EPKsPsPKlPlN2at6native12_GLOBAL__N_18offset_tEEE10hipError_tPvRmT1_PNSt15iterator_traitsIS12_E10value_typeET2_T3_PNS13_IS18_E10value_typeET4_jRbjT5_S1E_jjP12ihipStream_tbEUljE_ZNSN_ISO_Lb0ESQ_SR_ST_SU_SY_EESZ_S10_S11_S12_S16_S17_S18_S1B_S1C_jS1D_jS1E_S1E_jjS1G_bEUljE0_EEESZ_S10_S11_S18_S1C_S1E_T6_T7_T9_mT8_S1G_bDpT10_ENKUlT_T0_E_clISt17integral_constantIbLb0EES1T_IbLb1EEEEDaS1P_S1Q_EUlS1P_E_NS1_11comp_targetILNS1_3genE4ELNS1_11target_archE910ELNS1_3gpuE8ELNS1_3repE0EEENS1_30default_config_static_selectorELNS0_4arch9wavefront6targetE0EEEvS12_.kd
    .uniform_work_group_size: 1
    .uses_dynamic_stack: false
    .vgpr_count:     0
    .vgpr_spill_count: 0
    .wavefront_size: 32
    .workgroup_processor_mode: 1
  - .args:
      - .offset:         0
        .size:           184
        .value_kind:     by_value
    .group_segment_fixed_size: 0
    .kernarg_segment_align: 8
    .kernarg_segment_size: 184
    .language:       OpenCL C
    .language_version:
      - 2
      - 0
    .max_flat_workgroup_size: 256
    .name:           _ZN7rocprim17ROCPRIM_400000_NS6detail17trampoline_kernelINS0_13select_configILj256ELj13ELNS0_17block_load_methodE3ELS4_3ELS4_3ELNS0_20block_scan_algorithmE0ELj4294967295EEENS1_25partition_config_selectorILNS1_17partition_subalgoE4EjNS0_10empty_typeEbEEZZNS1_14partition_implILS8_4ELb0ES6_15HIP_vector_typeIjLj2EENS0_17counting_iteratorIjlEEPS9_SG_NS0_5tupleIJPjSI_NS0_16reverse_iteratorISI_EEEEENSH_IJSG_SG_SG_EEES9_SI_JZNS1_25segmented_radix_sort_implINS0_14default_configELb0EPKsPsPKlPlN2at6native12_GLOBAL__N_18offset_tEEE10hipError_tPvRmT1_PNSt15iterator_traitsIS12_E10value_typeET2_T3_PNS13_IS18_E10value_typeET4_jRbjT5_S1E_jjP12ihipStream_tbEUljE_ZNSN_ISO_Lb0ESQ_SR_ST_SU_SY_EESZ_S10_S11_S12_S16_S17_S18_S1B_S1C_jS1D_jS1E_S1E_jjS1G_bEUljE0_EEESZ_S10_S11_S18_S1C_S1E_T6_T7_T9_mT8_S1G_bDpT10_ENKUlT_T0_E_clISt17integral_constantIbLb0EES1T_IbLb1EEEEDaS1P_S1Q_EUlS1P_E_NS1_11comp_targetILNS1_3genE3ELNS1_11target_archE908ELNS1_3gpuE7ELNS1_3repE0EEENS1_30default_config_static_selectorELNS0_4arch9wavefront6targetE0EEEvS12_
    .private_segment_fixed_size: 0
    .sgpr_count:     0
    .sgpr_spill_count: 0
    .symbol:         _ZN7rocprim17ROCPRIM_400000_NS6detail17trampoline_kernelINS0_13select_configILj256ELj13ELNS0_17block_load_methodE3ELS4_3ELS4_3ELNS0_20block_scan_algorithmE0ELj4294967295EEENS1_25partition_config_selectorILNS1_17partition_subalgoE4EjNS0_10empty_typeEbEEZZNS1_14partition_implILS8_4ELb0ES6_15HIP_vector_typeIjLj2EENS0_17counting_iteratorIjlEEPS9_SG_NS0_5tupleIJPjSI_NS0_16reverse_iteratorISI_EEEEENSH_IJSG_SG_SG_EEES9_SI_JZNS1_25segmented_radix_sort_implINS0_14default_configELb0EPKsPsPKlPlN2at6native12_GLOBAL__N_18offset_tEEE10hipError_tPvRmT1_PNSt15iterator_traitsIS12_E10value_typeET2_T3_PNS13_IS18_E10value_typeET4_jRbjT5_S1E_jjP12ihipStream_tbEUljE_ZNSN_ISO_Lb0ESQ_SR_ST_SU_SY_EESZ_S10_S11_S12_S16_S17_S18_S1B_S1C_jS1D_jS1E_S1E_jjS1G_bEUljE0_EEESZ_S10_S11_S18_S1C_S1E_T6_T7_T9_mT8_S1G_bDpT10_ENKUlT_T0_E_clISt17integral_constantIbLb0EES1T_IbLb1EEEEDaS1P_S1Q_EUlS1P_E_NS1_11comp_targetILNS1_3genE3ELNS1_11target_archE908ELNS1_3gpuE7ELNS1_3repE0EEENS1_30default_config_static_selectorELNS0_4arch9wavefront6targetE0EEEvS12_.kd
    .uniform_work_group_size: 1
    .uses_dynamic_stack: false
    .vgpr_count:     0
    .vgpr_spill_count: 0
    .wavefront_size: 32
    .workgroup_processor_mode: 1
  - .args:
      - .offset:         0
        .size:           184
        .value_kind:     by_value
    .group_segment_fixed_size: 0
    .kernarg_segment_align: 8
    .kernarg_segment_size: 184
    .language:       OpenCL C
    .language_version:
      - 2
      - 0
    .max_flat_workgroup_size: 256
    .name:           _ZN7rocprim17ROCPRIM_400000_NS6detail17trampoline_kernelINS0_13select_configILj256ELj13ELNS0_17block_load_methodE3ELS4_3ELS4_3ELNS0_20block_scan_algorithmE0ELj4294967295EEENS1_25partition_config_selectorILNS1_17partition_subalgoE4EjNS0_10empty_typeEbEEZZNS1_14partition_implILS8_4ELb0ES6_15HIP_vector_typeIjLj2EENS0_17counting_iteratorIjlEEPS9_SG_NS0_5tupleIJPjSI_NS0_16reverse_iteratorISI_EEEEENSH_IJSG_SG_SG_EEES9_SI_JZNS1_25segmented_radix_sort_implINS0_14default_configELb0EPKsPsPKlPlN2at6native12_GLOBAL__N_18offset_tEEE10hipError_tPvRmT1_PNSt15iterator_traitsIS12_E10value_typeET2_T3_PNS13_IS18_E10value_typeET4_jRbjT5_S1E_jjP12ihipStream_tbEUljE_ZNSN_ISO_Lb0ESQ_SR_ST_SU_SY_EESZ_S10_S11_S12_S16_S17_S18_S1B_S1C_jS1D_jS1E_S1E_jjS1G_bEUljE0_EEESZ_S10_S11_S18_S1C_S1E_T6_T7_T9_mT8_S1G_bDpT10_ENKUlT_T0_E_clISt17integral_constantIbLb0EES1T_IbLb1EEEEDaS1P_S1Q_EUlS1P_E_NS1_11comp_targetILNS1_3genE2ELNS1_11target_archE906ELNS1_3gpuE6ELNS1_3repE0EEENS1_30default_config_static_selectorELNS0_4arch9wavefront6targetE0EEEvS12_
    .private_segment_fixed_size: 0
    .sgpr_count:     0
    .sgpr_spill_count: 0
    .symbol:         _ZN7rocprim17ROCPRIM_400000_NS6detail17trampoline_kernelINS0_13select_configILj256ELj13ELNS0_17block_load_methodE3ELS4_3ELS4_3ELNS0_20block_scan_algorithmE0ELj4294967295EEENS1_25partition_config_selectorILNS1_17partition_subalgoE4EjNS0_10empty_typeEbEEZZNS1_14partition_implILS8_4ELb0ES6_15HIP_vector_typeIjLj2EENS0_17counting_iteratorIjlEEPS9_SG_NS0_5tupleIJPjSI_NS0_16reverse_iteratorISI_EEEEENSH_IJSG_SG_SG_EEES9_SI_JZNS1_25segmented_radix_sort_implINS0_14default_configELb0EPKsPsPKlPlN2at6native12_GLOBAL__N_18offset_tEEE10hipError_tPvRmT1_PNSt15iterator_traitsIS12_E10value_typeET2_T3_PNS13_IS18_E10value_typeET4_jRbjT5_S1E_jjP12ihipStream_tbEUljE_ZNSN_ISO_Lb0ESQ_SR_ST_SU_SY_EESZ_S10_S11_S12_S16_S17_S18_S1B_S1C_jS1D_jS1E_S1E_jjS1G_bEUljE0_EEESZ_S10_S11_S18_S1C_S1E_T6_T7_T9_mT8_S1G_bDpT10_ENKUlT_T0_E_clISt17integral_constantIbLb0EES1T_IbLb1EEEEDaS1P_S1Q_EUlS1P_E_NS1_11comp_targetILNS1_3genE2ELNS1_11target_archE906ELNS1_3gpuE6ELNS1_3repE0EEENS1_30default_config_static_selectorELNS0_4arch9wavefront6targetE0EEEvS12_.kd
    .uniform_work_group_size: 1
    .uses_dynamic_stack: false
    .vgpr_count:     0
    .vgpr_spill_count: 0
    .wavefront_size: 32
    .workgroup_processor_mode: 1
  - .args:
      - .offset:         0
        .size:           184
        .value_kind:     by_value
    .group_segment_fixed_size: 13328
    .kernarg_segment_align: 8
    .kernarg_segment_size: 184
    .language:       OpenCL C
    .language_version:
      - 2
      - 0
    .max_flat_workgroup_size: 256
    .name:           _ZN7rocprim17ROCPRIM_400000_NS6detail17trampoline_kernelINS0_13select_configILj256ELj13ELNS0_17block_load_methodE3ELS4_3ELS4_3ELNS0_20block_scan_algorithmE0ELj4294967295EEENS1_25partition_config_selectorILNS1_17partition_subalgoE4EjNS0_10empty_typeEbEEZZNS1_14partition_implILS8_4ELb0ES6_15HIP_vector_typeIjLj2EENS0_17counting_iteratorIjlEEPS9_SG_NS0_5tupleIJPjSI_NS0_16reverse_iteratorISI_EEEEENSH_IJSG_SG_SG_EEES9_SI_JZNS1_25segmented_radix_sort_implINS0_14default_configELb0EPKsPsPKlPlN2at6native12_GLOBAL__N_18offset_tEEE10hipError_tPvRmT1_PNSt15iterator_traitsIS12_E10value_typeET2_T3_PNS13_IS18_E10value_typeET4_jRbjT5_S1E_jjP12ihipStream_tbEUljE_ZNSN_ISO_Lb0ESQ_SR_ST_SU_SY_EESZ_S10_S11_S12_S16_S17_S18_S1B_S1C_jS1D_jS1E_S1E_jjS1G_bEUljE0_EEESZ_S10_S11_S18_S1C_S1E_T6_T7_T9_mT8_S1G_bDpT10_ENKUlT_T0_E_clISt17integral_constantIbLb0EES1T_IbLb1EEEEDaS1P_S1Q_EUlS1P_E_NS1_11comp_targetILNS1_3genE10ELNS1_11target_archE1200ELNS1_3gpuE4ELNS1_3repE0EEENS1_30default_config_static_selectorELNS0_4arch9wavefront6targetE0EEEvS12_
    .private_segment_fixed_size: 0
    .sgpr_count:     57
    .sgpr_spill_count: 0
    .symbol:         _ZN7rocprim17ROCPRIM_400000_NS6detail17trampoline_kernelINS0_13select_configILj256ELj13ELNS0_17block_load_methodE3ELS4_3ELS4_3ELNS0_20block_scan_algorithmE0ELj4294967295EEENS1_25partition_config_selectorILNS1_17partition_subalgoE4EjNS0_10empty_typeEbEEZZNS1_14partition_implILS8_4ELb0ES6_15HIP_vector_typeIjLj2EENS0_17counting_iteratorIjlEEPS9_SG_NS0_5tupleIJPjSI_NS0_16reverse_iteratorISI_EEEEENSH_IJSG_SG_SG_EEES9_SI_JZNS1_25segmented_radix_sort_implINS0_14default_configELb0EPKsPsPKlPlN2at6native12_GLOBAL__N_18offset_tEEE10hipError_tPvRmT1_PNSt15iterator_traitsIS12_E10value_typeET2_T3_PNS13_IS18_E10value_typeET4_jRbjT5_S1E_jjP12ihipStream_tbEUljE_ZNSN_ISO_Lb0ESQ_SR_ST_SU_SY_EESZ_S10_S11_S12_S16_S17_S18_S1B_S1C_jS1D_jS1E_S1E_jjS1G_bEUljE0_EEESZ_S10_S11_S18_S1C_S1E_T6_T7_T9_mT8_S1G_bDpT10_ENKUlT_T0_E_clISt17integral_constantIbLb0EES1T_IbLb1EEEEDaS1P_S1Q_EUlS1P_E_NS1_11comp_targetILNS1_3genE10ELNS1_11target_archE1200ELNS1_3gpuE4ELNS1_3repE0EEENS1_30default_config_static_selectorELNS0_4arch9wavefront6targetE0EEEvS12_.kd
    .uniform_work_group_size: 1
    .uses_dynamic_stack: false
    .vgpr_count:     98
    .vgpr_spill_count: 0
    .wavefront_size: 32
    .workgroup_processor_mode: 1
  - .args:
      - .offset:         0
        .size:           184
        .value_kind:     by_value
    .group_segment_fixed_size: 0
    .kernarg_segment_align: 8
    .kernarg_segment_size: 184
    .language:       OpenCL C
    .language_version:
      - 2
      - 0
    .max_flat_workgroup_size: 256
    .name:           _ZN7rocprim17ROCPRIM_400000_NS6detail17trampoline_kernelINS0_13select_configILj256ELj13ELNS0_17block_load_methodE3ELS4_3ELS4_3ELNS0_20block_scan_algorithmE0ELj4294967295EEENS1_25partition_config_selectorILNS1_17partition_subalgoE4EjNS0_10empty_typeEbEEZZNS1_14partition_implILS8_4ELb0ES6_15HIP_vector_typeIjLj2EENS0_17counting_iteratorIjlEEPS9_SG_NS0_5tupleIJPjSI_NS0_16reverse_iteratorISI_EEEEENSH_IJSG_SG_SG_EEES9_SI_JZNS1_25segmented_radix_sort_implINS0_14default_configELb0EPKsPsPKlPlN2at6native12_GLOBAL__N_18offset_tEEE10hipError_tPvRmT1_PNSt15iterator_traitsIS12_E10value_typeET2_T3_PNS13_IS18_E10value_typeET4_jRbjT5_S1E_jjP12ihipStream_tbEUljE_ZNSN_ISO_Lb0ESQ_SR_ST_SU_SY_EESZ_S10_S11_S12_S16_S17_S18_S1B_S1C_jS1D_jS1E_S1E_jjS1G_bEUljE0_EEESZ_S10_S11_S18_S1C_S1E_T6_T7_T9_mT8_S1G_bDpT10_ENKUlT_T0_E_clISt17integral_constantIbLb0EES1T_IbLb1EEEEDaS1P_S1Q_EUlS1P_E_NS1_11comp_targetILNS1_3genE9ELNS1_11target_archE1100ELNS1_3gpuE3ELNS1_3repE0EEENS1_30default_config_static_selectorELNS0_4arch9wavefront6targetE0EEEvS12_
    .private_segment_fixed_size: 0
    .sgpr_count:     0
    .sgpr_spill_count: 0
    .symbol:         _ZN7rocprim17ROCPRIM_400000_NS6detail17trampoline_kernelINS0_13select_configILj256ELj13ELNS0_17block_load_methodE3ELS4_3ELS4_3ELNS0_20block_scan_algorithmE0ELj4294967295EEENS1_25partition_config_selectorILNS1_17partition_subalgoE4EjNS0_10empty_typeEbEEZZNS1_14partition_implILS8_4ELb0ES6_15HIP_vector_typeIjLj2EENS0_17counting_iteratorIjlEEPS9_SG_NS0_5tupleIJPjSI_NS0_16reverse_iteratorISI_EEEEENSH_IJSG_SG_SG_EEES9_SI_JZNS1_25segmented_radix_sort_implINS0_14default_configELb0EPKsPsPKlPlN2at6native12_GLOBAL__N_18offset_tEEE10hipError_tPvRmT1_PNSt15iterator_traitsIS12_E10value_typeET2_T3_PNS13_IS18_E10value_typeET4_jRbjT5_S1E_jjP12ihipStream_tbEUljE_ZNSN_ISO_Lb0ESQ_SR_ST_SU_SY_EESZ_S10_S11_S12_S16_S17_S18_S1B_S1C_jS1D_jS1E_S1E_jjS1G_bEUljE0_EEESZ_S10_S11_S18_S1C_S1E_T6_T7_T9_mT8_S1G_bDpT10_ENKUlT_T0_E_clISt17integral_constantIbLb0EES1T_IbLb1EEEEDaS1P_S1Q_EUlS1P_E_NS1_11comp_targetILNS1_3genE9ELNS1_11target_archE1100ELNS1_3gpuE3ELNS1_3repE0EEENS1_30default_config_static_selectorELNS0_4arch9wavefront6targetE0EEEvS12_.kd
    .uniform_work_group_size: 1
    .uses_dynamic_stack: false
    .vgpr_count:     0
    .vgpr_spill_count: 0
    .wavefront_size: 32
    .workgroup_processor_mode: 1
  - .args:
      - .offset:         0
        .size:           184
        .value_kind:     by_value
    .group_segment_fixed_size: 0
    .kernarg_segment_align: 8
    .kernarg_segment_size: 184
    .language:       OpenCL C
    .language_version:
      - 2
      - 0
    .max_flat_workgroup_size: 256
    .name:           _ZN7rocprim17ROCPRIM_400000_NS6detail17trampoline_kernelINS0_13select_configILj256ELj13ELNS0_17block_load_methodE3ELS4_3ELS4_3ELNS0_20block_scan_algorithmE0ELj4294967295EEENS1_25partition_config_selectorILNS1_17partition_subalgoE4EjNS0_10empty_typeEbEEZZNS1_14partition_implILS8_4ELb0ES6_15HIP_vector_typeIjLj2EENS0_17counting_iteratorIjlEEPS9_SG_NS0_5tupleIJPjSI_NS0_16reverse_iteratorISI_EEEEENSH_IJSG_SG_SG_EEES9_SI_JZNS1_25segmented_radix_sort_implINS0_14default_configELb0EPKsPsPKlPlN2at6native12_GLOBAL__N_18offset_tEEE10hipError_tPvRmT1_PNSt15iterator_traitsIS12_E10value_typeET2_T3_PNS13_IS18_E10value_typeET4_jRbjT5_S1E_jjP12ihipStream_tbEUljE_ZNSN_ISO_Lb0ESQ_SR_ST_SU_SY_EESZ_S10_S11_S12_S16_S17_S18_S1B_S1C_jS1D_jS1E_S1E_jjS1G_bEUljE0_EEESZ_S10_S11_S18_S1C_S1E_T6_T7_T9_mT8_S1G_bDpT10_ENKUlT_T0_E_clISt17integral_constantIbLb0EES1T_IbLb1EEEEDaS1P_S1Q_EUlS1P_E_NS1_11comp_targetILNS1_3genE8ELNS1_11target_archE1030ELNS1_3gpuE2ELNS1_3repE0EEENS1_30default_config_static_selectorELNS0_4arch9wavefront6targetE0EEEvS12_
    .private_segment_fixed_size: 0
    .sgpr_count:     0
    .sgpr_spill_count: 0
    .symbol:         _ZN7rocprim17ROCPRIM_400000_NS6detail17trampoline_kernelINS0_13select_configILj256ELj13ELNS0_17block_load_methodE3ELS4_3ELS4_3ELNS0_20block_scan_algorithmE0ELj4294967295EEENS1_25partition_config_selectorILNS1_17partition_subalgoE4EjNS0_10empty_typeEbEEZZNS1_14partition_implILS8_4ELb0ES6_15HIP_vector_typeIjLj2EENS0_17counting_iteratorIjlEEPS9_SG_NS0_5tupleIJPjSI_NS0_16reverse_iteratorISI_EEEEENSH_IJSG_SG_SG_EEES9_SI_JZNS1_25segmented_radix_sort_implINS0_14default_configELb0EPKsPsPKlPlN2at6native12_GLOBAL__N_18offset_tEEE10hipError_tPvRmT1_PNSt15iterator_traitsIS12_E10value_typeET2_T3_PNS13_IS18_E10value_typeET4_jRbjT5_S1E_jjP12ihipStream_tbEUljE_ZNSN_ISO_Lb0ESQ_SR_ST_SU_SY_EESZ_S10_S11_S12_S16_S17_S18_S1B_S1C_jS1D_jS1E_S1E_jjS1G_bEUljE0_EEESZ_S10_S11_S18_S1C_S1E_T6_T7_T9_mT8_S1G_bDpT10_ENKUlT_T0_E_clISt17integral_constantIbLb0EES1T_IbLb1EEEEDaS1P_S1Q_EUlS1P_E_NS1_11comp_targetILNS1_3genE8ELNS1_11target_archE1030ELNS1_3gpuE2ELNS1_3repE0EEENS1_30default_config_static_selectorELNS0_4arch9wavefront6targetE0EEEvS12_.kd
    .uniform_work_group_size: 1
    .uses_dynamic_stack: false
    .vgpr_count:     0
    .vgpr_spill_count: 0
    .wavefront_size: 32
    .workgroup_processor_mode: 1
  - .args:
      - .offset:         0
        .size:           144
        .value_kind:     by_value
    .group_segment_fixed_size: 0
    .kernarg_segment_align: 8
    .kernarg_segment_size: 144
    .language:       OpenCL C
    .language_version:
      - 2
      - 0
    .max_flat_workgroup_size: 256
    .name:           _ZN7rocprim17ROCPRIM_400000_NS6detail17trampoline_kernelINS0_13select_configILj256ELj13ELNS0_17block_load_methodE3ELS4_3ELS4_3ELNS0_20block_scan_algorithmE0ELj4294967295EEENS1_25partition_config_selectorILNS1_17partition_subalgoE3EjNS0_10empty_typeEbEEZZNS1_14partition_implILS8_3ELb0ES6_jNS0_17counting_iteratorIjlEEPS9_SE_NS0_5tupleIJPjSE_EEENSF_IJSE_SE_EEES9_SG_JZNS1_25segmented_radix_sort_implINS0_14default_configELb0EPKsPsPKlPlN2at6native12_GLOBAL__N_18offset_tEEE10hipError_tPvRmT1_PNSt15iterator_traitsISY_E10value_typeET2_T3_PNSZ_IS14_E10value_typeET4_jRbjT5_S1A_jjP12ihipStream_tbEUljE_EEESV_SW_SX_S14_S18_S1A_T6_T7_T9_mT8_S1C_bDpT10_ENKUlT_T0_E_clISt17integral_constantIbLb0EES1P_EEDaS1K_S1L_EUlS1K_E_NS1_11comp_targetILNS1_3genE0ELNS1_11target_archE4294967295ELNS1_3gpuE0ELNS1_3repE0EEENS1_30default_config_static_selectorELNS0_4arch9wavefront6targetE0EEEvSY_
    .private_segment_fixed_size: 0
    .sgpr_count:     0
    .sgpr_spill_count: 0
    .symbol:         _ZN7rocprim17ROCPRIM_400000_NS6detail17trampoline_kernelINS0_13select_configILj256ELj13ELNS0_17block_load_methodE3ELS4_3ELS4_3ELNS0_20block_scan_algorithmE0ELj4294967295EEENS1_25partition_config_selectorILNS1_17partition_subalgoE3EjNS0_10empty_typeEbEEZZNS1_14partition_implILS8_3ELb0ES6_jNS0_17counting_iteratorIjlEEPS9_SE_NS0_5tupleIJPjSE_EEENSF_IJSE_SE_EEES9_SG_JZNS1_25segmented_radix_sort_implINS0_14default_configELb0EPKsPsPKlPlN2at6native12_GLOBAL__N_18offset_tEEE10hipError_tPvRmT1_PNSt15iterator_traitsISY_E10value_typeET2_T3_PNSZ_IS14_E10value_typeET4_jRbjT5_S1A_jjP12ihipStream_tbEUljE_EEESV_SW_SX_S14_S18_S1A_T6_T7_T9_mT8_S1C_bDpT10_ENKUlT_T0_E_clISt17integral_constantIbLb0EES1P_EEDaS1K_S1L_EUlS1K_E_NS1_11comp_targetILNS1_3genE0ELNS1_11target_archE4294967295ELNS1_3gpuE0ELNS1_3repE0EEENS1_30default_config_static_selectorELNS0_4arch9wavefront6targetE0EEEvSY_.kd
    .uniform_work_group_size: 1
    .uses_dynamic_stack: false
    .vgpr_count:     0
    .vgpr_spill_count: 0
    .wavefront_size: 32
    .workgroup_processor_mode: 1
  - .args:
      - .offset:         0
        .size:           144
        .value_kind:     by_value
    .group_segment_fixed_size: 0
    .kernarg_segment_align: 8
    .kernarg_segment_size: 144
    .language:       OpenCL C
    .language_version:
      - 2
      - 0
    .max_flat_workgroup_size: 256
    .name:           _ZN7rocprim17ROCPRIM_400000_NS6detail17trampoline_kernelINS0_13select_configILj256ELj13ELNS0_17block_load_methodE3ELS4_3ELS4_3ELNS0_20block_scan_algorithmE0ELj4294967295EEENS1_25partition_config_selectorILNS1_17partition_subalgoE3EjNS0_10empty_typeEbEEZZNS1_14partition_implILS8_3ELb0ES6_jNS0_17counting_iteratorIjlEEPS9_SE_NS0_5tupleIJPjSE_EEENSF_IJSE_SE_EEES9_SG_JZNS1_25segmented_radix_sort_implINS0_14default_configELb0EPKsPsPKlPlN2at6native12_GLOBAL__N_18offset_tEEE10hipError_tPvRmT1_PNSt15iterator_traitsISY_E10value_typeET2_T3_PNSZ_IS14_E10value_typeET4_jRbjT5_S1A_jjP12ihipStream_tbEUljE_EEESV_SW_SX_S14_S18_S1A_T6_T7_T9_mT8_S1C_bDpT10_ENKUlT_T0_E_clISt17integral_constantIbLb0EES1P_EEDaS1K_S1L_EUlS1K_E_NS1_11comp_targetILNS1_3genE5ELNS1_11target_archE942ELNS1_3gpuE9ELNS1_3repE0EEENS1_30default_config_static_selectorELNS0_4arch9wavefront6targetE0EEEvSY_
    .private_segment_fixed_size: 0
    .sgpr_count:     0
    .sgpr_spill_count: 0
    .symbol:         _ZN7rocprim17ROCPRIM_400000_NS6detail17trampoline_kernelINS0_13select_configILj256ELj13ELNS0_17block_load_methodE3ELS4_3ELS4_3ELNS0_20block_scan_algorithmE0ELj4294967295EEENS1_25partition_config_selectorILNS1_17partition_subalgoE3EjNS0_10empty_typeEbEEZZNS1_14partition_implILS8_3ELb0ES6_jNS0_17counting_iteratorIjlEEPS9_SE_NS0_5tupleIJPjSE_EEENSF_IJSE_SE_EEES9_SG_JZNS1_25segmented_radix_sort_implINS0_14default_configELb0EPKsPsPKlPlN2at6native12_GLOBAL__N_18offset_tEEE10hipError_tPvRmT1_PNSt15iterator_traitsISY_E10value_typeET2_T3_PNSZ_IS14_E10value_typeET4_jRbjT5_S1A_jjP12ihipStream_tbEUljE_EEESV_SW_SX_S14_S18_S1A_T6_T7_T9_mT8_S1C_bDpT10_ENKUlT_T0_E_clISt17integral_constantIbLb0EES1P_EEDaS1K_S1L_EUlS1K_E_NS1_11comp_targetILNS1_3genE5ELNS1_11target_archE942ELNS1_3gpuE9ELNS1_3repE0EEENS1_30default_config_static_selectorELNS0_4arch9wavefront6targetE0EEEvSY_.kd
    .uniform_work_group_size: 1
    .uses_dynamic_stack: false
    .vgpr_count:     0
    .vgpr_spill_count: 0
    .wavefront_size: 32
    .workgroup_processor_mode: 1
  - .args:
      - .offset:         0
        .size:           144
        .value_kind:     by_value
    .group_segment_fixed_size: 0
    .kernarg_segment_align: 8
    .kernarg_segment_size: 144
    .language:       OpenCL C
    .language_version:
      - 2
      - 0
    .max_flat_workgroup_size: 256
    .name:           _ZN7rocprim17ROCPRIM_400000_NS6detail17trampoline_kernelINS0_13select_configILj256ELj13ELNS0_17block_load_methodE3ELS4_3ELS4_3ELNS0_20block_scan_algorithmE0ELj4294967295EEENS1_25partition_config_selectorILNS1_17partition_subalgoE3EjNS0_10empty_typeEbEEZZNS1_14partition_implILS8_3ELb0ES6_jNS0_17counting_iteratorIjlEEPS9_SE_NS0_5tupleIJPjSE_EEENSF_IJSE_SE_EEES9_SG_JZNS1_25segmented_radix_sort_implINS0_14default_configELb0EPKsPsPKlPlN2at6native12_GLOBAL__N_18offset_tEEE10hipError_tPvRmT1_PNSt15iterator_traitsISY_E10value_typeET2_T3_PNSZ_IS14_E10value_typeET4_jRbjT5_S1A_jjP12ihipStream_tbEUljE_EEESV_SW_SX_S14_S18_S1A_T6_T7_T9_mT8_S1C_bDpT10_ENKUlT_T0_E_clISt17integral_constantIbLb0EES1P_EEDaS1K_S1L_EUlS1K_E_NS1_11comp_targetILNS1_3genE4ELNS1_11target_archE910ELNS1_3gpuE8ELNS1_3repE0EEENS1_30default_config_static_selectorELNS0_4arch9wavefront6targetE0EEEvSY_
    .private_segment_fixed_size: 0
    .sgpr_count:     0
    .sgpr_spill_count: 0
    .symbol:         _ZN7rocprim17ROCPRIM_400000_NS6detail17trampoline_kernelINS0_13select_configILj256ELj13ELNS0_17block_load_methodE3ELS4_3ELS4_3ELNS0_20block_scan_algorithmE0ELj4294967295EEENS1_25partition_config_selectorILNS1_17partition_subalgoE3EjNS0_10empty_typeEbEEZZNS1_14partition_implILS8_3ELb0ES6_jNS0_17counting_iteratorIjlEEPS9_SE_NS0_5tupleIJPjSE_EEENSF_IJSE_SE_EEES9_SG_JZNS1_25segmented_radix_sort_implINS0_14default_configELb0EPKsPsPKlPlN2at6native12_GLOBAL__N_18offset_tEEE10hipError_tPvRmT1_PNSt15iterator_traitsISY_E10value_typeET2_T3_PNSZ_IS14_E10value_typeET4_jRbjT5_S1A_jjP12ihipStream_tbEUljE_EEESV_SW_SX_S14_S18_S1A_T6_T7_T9_mT8_S1C_bDpT10_ENKUlT_T0_E_clISt17integral_constantIbLb0EES1P_EEDaS1K_S1L_EUlS1K_E_NS1_11comp_targetILNS1_3genE4ELNS1_11target_archE910ELNS1_3gpuE8ELNS1_3repE0EEENS1_30default_config_static_selectorELNS0_4arch9wavefront6targetE0EEEvSY_.kd
    .uniform_work_group_size: 1
    .uses_dynamic_stack: false
    .vgpr_count:     0
    .vgpr_spill_count: 0
    .wavefront_size: 32
    .workgroup_processor_mode: 1
  - .args:
      - .offset:         0
        .size:           144
        .value_kind:     by_value
    .group_segment_fixed_size: 0
    .kernarg_segment_align: 8
    .kernarg_segment_size: 144
    .language:       OpenCL C
    .language_version:
      - 2
      - 0
    .max_flat_workgroup_size: 256
    .name:           _ZN7rocprim17ROCPRIM_400000_NS6detail17trampoline_kernelINS0_13select_configILj256ELj13ELNS0_17block_load_methodE3ELS4_3ELS4_3ELNS0_20block_scan_algorithmE0ELj4294967295EEENS1_25partition_config_selectorILNS1_17partition_subalgoE3EjNS0_10empty_typeEbEEZZNS1_14partition_implILS8_3ELb0ES6_jNS0_17counting_iteratorIjlEEPS9_SE_NS0_5tupleIJPjSE_EEENSF_IJSE_SE_EEES9_SG_JZNS1_25segmented_radix_sort_implINS0_14default_configELb0EPKsPsPKlPlN2at6native12_GLOBAL__N_18offset_tEEE10hipError_tPvRmT1_PNSt15iterator_traitsISY_E10value_typeET2_T3_PNSZ_IS14_E10value_typeET4_jRbjT5_S1A_jjP12ihipStream_tbEUljE_EEESV_SW_SX_S14_S18_S1A_T6_T7_T9_mT8_S1C_bDpT10_ENKUlT_T0_E_clISt17integral_constantIbLb0EES1P_EEDaS1K_S1L_EUlS1K_E_NS1_11comp_targetILNS1_3genE3ELNS1_11target_archE908ELNS1_3gpuE7ELNS1_3repE0EEENS1_30default_config_static_selectorELNS0_4arch9wavefront6targetE0EEEvSY_
    .private_segment_fixed_size: 0
    .sgpr_count:     0
    .sgpr_spill_count: 0
    .symbol:         _ZN7rocprim17ROCPRIM_400000_NS6detail17trampoline_kernelINS0_13select_configILj256ELj13ELNS0_17block_load_methodE3ELS4_3ELS4_3ELNS0_20block_scan_algorithmE0ELj4294967295EEENS1_25partition_config_selectorILNS1_17partition_subalgoE3EjNS0_10empty_typeEbEEZZNS1_14partition_implILS8_3ELb0ES6_jNS0_17counting_iteratorIjlEEPS9_SE_NS0_5tupleIJPjSE_EEENSF_IJSE_SE_EEES9_SG_JZNS1_25segmented_radix_sort_implINS0_14default_configELb0EPKsPsPKlPlN2at6native12_GLOBAL__N_18offset_tEEE10hipError_tPvRmT1_PNSt15iterator_traitsISY_E10value_typeET2_T3_PNSZ_IS14_E10value_typeET4_jRbjT5_S1A_jjP12ihipStream_tbEUljE_EEESV_SW_SX_S14_S18_S1A_T6_T7_T9_mT8_S1C_bDpT10_ENKUlT_T0_E_clISt17integral_constantIbLb0EES1P_EEDaS1K_S1L_EUlS1K_E_NS1_11comp_targetILNS1_3genE3ELNS1_11target_archE908ELNS1_3gpuE7ELNS1_3repE0EEENS1_30default_config_static_selectorELNS0_4arch9wavefront6targetE0EEEvSY_.kd
    .uniform_work_group_size: 1
    .uses_dynamic_stack: false
    .vgpr_count:     0
    .vgpr_spill_count: 0
    .wavefront_size: 32
    .workgroup_processor_mode: 1
  - .args:
      - .offset:         0
        .size:           144
        .value_kind:     by_value
    .group_segment_fixed_size: 0
    .kernarg_segment_align: 8
    .kernarg_segment_size: 144
    .language:       OpenCL C
    .language_version:
      - 2
      - 0
    .max_flat_workgroup_size: 256
    .name:           _ZN7rocprim17ROCPRIM_400000_NS6detail17trampoline_kernelINS0_13select_configILj256ELj13ELNS0_17block_load_methodE3ELS4_3ELS4_3ELNS0_20block_scan_algorithmE0ELj4294967295EEENS1_25partition_config_selectorILNS1_17partition_subalgoE3EjNS0_10empty_typeEbEEZZNS1_14partition_implILS8_3ELb0ES6_jNS0_17counting_iteratorIjlEEPS9_SE_NS0_5tupleIJPjSE_EEENSF_IJSE_SE_EEES9_SG_JZNS1_25segmented_radix_sort_implINS0_14default_configELb0EPKsPsPKlPlN2at6native12_GLOBAL__N_18offset_tEEE10hipError_tPvRmT1_PNSt15iterator_traitsISY_E10value_typeET2_T3_PNSZ_IS14_E10value_typeET4_jRbjT5_S1A_jjP12ihipStream_tbEUljE_EEESV_SW_SX_S14_S18_S1A_T6_T7_T9_mT8_S1C_bDpT10_ENKUlT_T0_E_clISt17integral_constantIbLb0EES1P_EEDaS1K_S1L_EUlS1K_E_NS1_11comp_targetILNS1_3genE2ELNS1_11target_archE906ELNS1_3gpuE6ELNS1_3repE0EEENS1_30default_config_static_selectorELNS0_4arch9wavefront6targetE0EEEvSY_
    .private_segment_fixed_size: 0
    .sgpr_count:     0
    .sgpr_spill_count: 0
    .symbol:         _ZN7rocprim17ROCPRIM_400000_NS6detail17trampoline_kernelINS0_13select_configILj256ELj13ELNS0_17block_load_methodE3ELS4_3ELS4_3ELNS0_20block_scan_algorithmE0ELj4294967295EEENS1_25partition_config_selectorILNS1_17partition_subalgoE3EjNS0_10empty_typeEbEEZZNS1_14partition_implILS8_3ELb0ES6_jNS0_17counting_iteratorIjlEEPS9_SE_NS0_5tupleIJPjSE_EEENSF_IJSE_SE_EEES9_SG_JZNS1_25segmented_radix_sort_implINS0_14default_configELb0EPKsPsPKlPlN2at6native12_GLOBAL__N_18offset_tEEE10hipError_tPvRmT1_PNSt15iterator_traitsISY_E10value_typeET2_T3_PNSZ_IS14_E10value_typeET4_jRbjT5_S1A_jjP12ihipStream_tbEUljE_EEESV_SW_SX_S14_S18_S1A_T6_T7_T9_mT8_S1C_bDpT10_ENKUlT_T0_E_clISt17integral_constantIbLb0EES1P_EEDaS1K_S1L_EUlS1K_E_NS1_11comp_targetILNS1_3genE2ELNS1_11target_archE906ELNS1_3gpuE6ELNS1_3repE0EEENS1_30default_config_static_selectorELNS0_4arch9wavefront6targetE0EEEvSY_.kd
    .uniform_work_group_size: 1
    .uses_dynamic_stack: false
    .vgpr_count:     0
    .vgpr_spill_count: 0
    .wavefront_size: 32
    .workgroup_processor_mode: 1
  - .args:
      - .offset:         0
        .size:           144
        .value_kind:     by_value
    .group_segment_fixed_size: 13320
    .kernarg_segment_align: 8
    .kernarg_segment_size: 144
    .language:       OpenCL C
    .language_version:
      - 2
      - 0
    .max_flat_workgroup_size: 256
    .name:           _ZN7rocprim17ROCPRIM_400000_NS6detail17trampoline_kernelINS0_13select_configILj256ELj13ELNS0_17block_load_methodE3ELS4_3ELS4_3ELNS0_20block_scan_algorithmE0ELj4294967295EEENS1_25partition_config_selectorILNS1_17partition_subalgoE3EjNS0_10empty_typeEbEEZZNS1_14partition_implILS8_3ELb0ES6_jNS0_17counting_iteratorIjlEEPS9_SE_NS0_5tupleIJPjSE_EEENSF_IJSE_SE_EEES9_SG_JZNS1_25segmented_radix_sort_implINS0_14default_configELb0EPKsPsPKlPlN2at6native12_GLOBAL__N_18offset_tEEE10hipError_tPvRmT1_PNSt15iterator_traitsISY_E10value_typeET2_T3_PNSZ_IS14_E10value_typeET4_jRbjT5_S1A_jjP12ihipStream_tbEUljE_EEESV_SW_SX_S14_S18_S1A_T6_T7_T9_mT8_S1C_bDpT10_ENKUlT_T0_E_clISt17integral_constantIbLb0EES1P_EEDaS1K_S1L_EUlS1K_E_NS1_11comp_targetILNS1_3genE10ELNS1_11target_archE1200ELNS1_3gpuE4ELNS1_3repE0EEENS1_30default_config_static_selectorELNS0_4arch9wavefront6targetE0EEEvSY_
    .private_segment_fixed_size: 0
    .sgpr_count:     28
    .sgpr_spill_count: 0
    .symbol:         _ZN7rocprim17ROCPRIM_400000_NS6detail17trampoline_kernelINS0_13select_configILj256ELj13ELNS0_17block_load_methodE3ELS4_3ELS4_3ELNS0_20block_scan_algorithmE0ELj4294967295EEENS1_25partition_config_selectorILNS1_17partition_subalgoE3EjNS0_10empty_typeEbEEZZNS1_14partition_implILS8_3ELb0ES6_jNS0_17counting_iteratorIjlEEPS9_SE_NS0_5tupleIJPjSE_EEENSF_IJSE_SE_EEES9_SG_JZNS1_25segmented_radix_sort_implINS0_14default_configELb0EPKsPsPKlPlN2at6native12_GLOBAL__N_18offset_tEEE10hipError_tPvRmT1_PNSt15iterator_traitsISY_E10value_typeET2_T3_PNSZ_IS14_E10value_typeET4_jRbjT5_S1A_jjP12ihipStream_tbEUljE_EEESV_SW_SX_S14_S18_S1A_T6_T7_T9_mT8_S1C_bDpT10_ENKUlT_T0_E_clISt17integral_constantIbLb0EES1P_EEDaS1K_S1L_EUlS1K_E_NS1_11comp_targetILNS1_3genE10ELNS1_11target_archE1200ELNS1_3gpuE4ELNS1_3repE0EEENS1_30default_config_static_selectorELNS0_4arch9wavefront6targetE0EEEvSY_.kd
    .uniform_work_group_size: 1
    .uses_dynamic_stack: false
    .vgpr_count:     69
    .vgpr_spill_count: 0
    .wavefront_size: 32
    .workgroup_processor_mode: 1
  - .args:
      - .offset:         0
        .size:           144
        .value_kind:     by_value
    .group_segment_fixed_size: 0
    .kernarg_segment_align: 8
    .kernarg_segment_size: 144
    .language:       OpenCL C
    .language_version:
      - 2
      - 0
    .max_flat_workgroup_size: 256
    .name:           _ZN7rocprim17ROCPRIM_400000_NS6detail17trampoline_kernelINS0_13select_configILj256ELj13ELNS0_17block_load_methodE3ELS4_3ELS4_3ELNS0_20block_scan_algorithmE0ELj4294967295EEENS1_25partition_config_selectorILNS1_17partition_subalgoE3EjNS0_10empty_typeEbEEZZNS1_14partition_implILS8_3ELb0ES6_jNS0_17counting_iteratorIjlEEPS9_SE_NS0_5tupleIJPjSE_EEENSF_IJSE_SE_EEES9_SG_JZNS1_25segmented_radix_sort_implINS0_14default_configELb0EPKsPsPKlPlN2at6native12_GLOBAL__N_18offset_tEEE10hipError_tPvRmT1_PNSt15iterator_traitsISY_E10value_typeET2_T3_PNSZ_IS14_E10value_typeET4_jRbjT5_S1A_jjP12ihipStream_tbEUljE_EEESV_SW_SX_S14_S18_S1A_T6_T7_T9_mT8_S1C_bDpT10_ENKUlT_T0_E_clISt17integral_constantIbLb0EES1P_EEDaS1K_S1L_EUlS1K_E_NS1_11comp_targetILNS1_3genE9ELNS1_11target_archE1100ELNS1_3gpuE3ELNS1_3repE0EEENS1_30default_config_static_selectorELNS0_4arch9wavefront6targetE0EEEvSY_
    .private_segment_fixed_size: 0
    .sgpr_count:     0
    .sgpr_spill_count: 0
    .symbol:         _ZN7rocprim17ROCPRIM_400000_NS6detail17trampoline_kernelINS0_13select_configILj256ELj13ELNS0_17block_load_methodE3ELS4_3ELS4_3ELNS0_20block_scan_algorithmE0ELj4294967295EEENS1_25partition_config_selectorILNS1_17partition_subalgoE3EjNS0_10empty_typeEbEEZZNS1_14partition_implILS8_3ELb0ES6_jNS0_17counting_iteratorIjlEEPS9_SE_NS0_5tupleIJPjSE_EEENSF_IJSE_SE_EEES9_SG_JZNS1_25segmented_radix_sort_implINS0_14default_configELb0EPKsPsPKlPlN2at6native12_GLOBAL__N_18offset_tEEE10hipError_tPvRmT1_PNSt15iterator_traitsISY_E10value_typeET2_T3_PNSZ_IS14_E10value_typeET4_jRbjT5_S1A_jjP12ihipStream_tbEUljE_EEESV_SW_SX_S14_S18_S1A_T6_T7_T9_mT8_S1C_bDpT10_ENKUlT_T0_E_clISt17integral_constantIbLb0EES1P_EEDaS1K_S1L_EUlS1K_E_NS1_11comp_targetILNS1_3genE9ELNS1_11target_archE1100ELNS1_3gpuE3ELNS1_3repE0EEENS1_30default_config_static_selectorELNS0_4arch9wavefront6targetE0EEEvSY_.kd
    .uniform_work_group_size: 1
    .uses_dynamic_stack: false
    .vgpr_count:     0
    .vgpr_spill_count: 0
    .wavefront_size: 32
    .workgroup_processor_mode: 1
  - .args:
      - .offset:         0
        .size:           144
        .value_kind:     by_value
    .group_segment_fixed_size: 0
    .kernarg_segment_align: 8
    .kernarg_segment_size: 144
    .language:       OpenCL C
    .language_version:
      - 2
      - 0
    .max_flat_workgroup_size: 256
    .name:           _ZN7rocprim17ROCPRIM_400000_NS6detail17trampoline_kernelINS0_13select_configILj256ELj13ELNS0_17block_load_methodE3ELS4_3ELS4_3ELNS0_20block_scan_algorithmE0ELj4294967295EEENS1_25partition_config_selectorILNS1_17partition_subalgoE3EjNS0_10empty_typeEbEEZZNS1_14partition_implILS8_3ELb0ES6_jNS0_17counting_iteratorIjlEEPS9_SE_NS0_5tupleIJPjSE_EEENSF_IJSE_SE_EEES9_SG_JZNS1_25segmented_radix_sort_implINS0_14default_configELb0EPKsPsPKlPlN2at6native12_GLOBAL__N_18offset_tEEE10hipError_tPvRmT1_PNSt15iterator_traitsISY_E10value_typeET2_T3_PNSZ_IS14_E10value_typeET4_jRbjT5_S1A_jjP12ihipStream_tbEUljE_EEESV_SW_SX_S14_S18_S1A_T6_T7_T9_mT8_S1C_bDpT10_ENKUlT_T0_E_clISt17integral_constantIbLb0EES1P_EEDaS1K_S1L_EUlS1K_E_NS1_11comp_targetILNS1_3genE8ELNS1_11target_archE1030ELNS1_3gpuE2ELNS1_3repE0EEENS1_30default_config_static_selectorELNS0_4arch9wavefront6targetE0EEEvSY_
    .private_segment_fixed_size: 0
    .sgpr_count:     0
    .sgpr_spill_count: 0
    .symbol:         _ZN7rocprim17ROCPRIM_400000_NS6detail17trampoline_kernelINS0_13select_configILj256ELj13ELNS0_17block_load_methodE3ELS4_3ELS4_3ELNS0_20block_scan_algorithmE0ELj4294967295EEENS1_25partition_config_selectorILNS1_17partition_subalgoE3EjNS0_10empty_typeEbEEZZNS1_14partition_implILS8_3ELb0ES6_jNS0_17counting_iteratorIjlEEPS9_SE_NS0_5tupleIJPjSE_EEENSF_IJSE_SE_EEES9_SG_JZNS1_25segmented_radix_sort_implINS0_14default_configELb0EPKsPsPKlPlN2at6native12_GLOBAL__N_18offset_tEEE10hipError_tPvRmT1_PNSt15iterator_traitsISY_E10value_typeET2_T3_PNSZ_IS14_E10value_typeET4_jRbjT5_S1A_jjP12ihipStream_tbEUljE_EEESV_SW_SX_S14_S18_S1A_T6_T7_T9_mT8_S1C_bDpT10_ENKUlT_T0_E_clISt17integral_constantIbLb0EES1P_EEDaS1K_S1L_EUlS1K_E_NS1_11comp_targetILNS1_3genE8ELNS1_11target_archE1030ELNS1_3gpuE2ELNS1_3repE0EEENS1_30default_config_static_selectorELNS0_4arch9wavefront6targetE0EEEvSY_.kd
    .uniform_work_group_size: 1
    .uses_dynamic_stack: false
    .vgpr_count:     0
    .vgpr_spill_count: 0
    .wavefront_size: 32
    .workgroup_processor_mode: 1
  - .args:
      - .offset:         0
        .size:           152
        .value_kind:     by_value
    .group_segment_fixed_size: 0
    .kernarg_segment_align: 8
    .kernarg_segment_size: 152
    .language:       OpenCL C
    .language_version:
      - 2
      - 0
    .max_flat_workgroup_size: 256
    .name:           _ZN7rocprim17ROCPRIM_400000_NS6detail17trampoline_kernelINS0_13select_configILj256ELj13ELNS0_17block_load_methodE3ELS4_3ELS4_3ELNS0_20block_scan_algorithmE0ELj4294967295EEENS1_25partition_config_selectorILNS1_17partition_subalgoE3EjNS0_10empty_typeEbEEZZNS1_14partition_implILS8_3ELb0ES6_jNS0_17counting_iteratorIjlEEPS9_SE_NS0_5tupleIJPjSE_EEENSF_IJSE_SE_EEES9_SG_JZNS1_25segmented_radix_sort_implINS0_14default_configELb0EPKsPsPKlPlN2at6native12_GLOBAL__N_18offset_tEEE10hipError_tPvRmT1_PNSt15iterator_traitsISY_E10value_typeET2_T3_PNSZ_IS14_E10value_typeET4_jRbjT5_S1A_jjP12ihipStream_tbEUljE_EEESV_SW_SX_S14_S18_S1A_T6_T7_T9_mT8_S1C_bDpT10_ENKUlT_T0_E_clISt17integral_constantIbLb1EES1P_EEDaS1K_S1L_EUlS1K_E_NS1_11comp_targetILNS1_3genE0ELNS1_11target_archE4294967295ELNS1_3gpuE0ELNS1_3repE0EEENS1_30default_config_static_selectorELNS0_4arch9wavefront6targetE0EEEvSY_
    .private_segment_fixed_size: 0
    .sgpr_count:     0
    .sgpr_spill_count: 0
    .symbol:         _ZN7rocprim17ROCPRIM_400000_NS6detail17trampoline_kernelINS0_13select_configILj256ELj13ELNS0_17block_load_methodE3ELS4_3ELS4_3ELNS0_20block_scan_algorithmE0ELj4294967295EEENS1_25partition_config_selectorILNS1_17partition_subalgoE3EjNS0_10empty_typeEbEEZZNS1_14partition_implILS8_3ELb0ES6_jNS0_17counting_iteratorIjlEEPS9_SE_NS0_5tupleIJPjSE_EEENSF_IJSE_SE_EEES9_SG_JZNS1_25segmented_radix_sort_implINS0_14default_configELb0EPKsPsPKlPlN2at6native12_GLOBAL__N_18offset_tEEE10hipError_tPvRmT1_PNSt15iterator_traitsISY_E10value_typeET2_T3_PNSZ_IS14_E10value_typeET4_jRbjT5_S1A_jjP12ihipStream_tbEUljE_EEESV_SW_SX_S14_S18_S1A_T6_T7_T9_mT8_S1C_bDpT10_ENKUlT_T0_E_clISt17integral_constantIbLb1EES1P_EEDaS1K_S1L_EUlS1K_E_NS1_11comp_targetILNS1_3genE0ELNS1_11target_archE4294967295ELNS1_3gpuE0ELNS1_3repE0EEENS1_30default_config_static_selectorELNS0_4arch9wavefront6targetE0EEEvSY_.kd
    .uniform_work_group_size: 1
    .uses_dynamic_stack: false
    .vgpr_count:     0
    .vgpr_spill_count: 0
    .wavefront_size: 32
    .workgroup_processor_mode: 1
  - .args:
      - .offset:         0
        .size:           152
        .value_kind:     by_value
    .group_segment_fixed_size: 0
    .kernarg_segment_align: 8
    .kernarg_segment_size: 152
    .language:       OpenCL C
    .language_version:
      - 2
      - 0
    .max_flat_workgroup_size: 256
    .name:           _ZN7rocprim17ROCPRIM_400000_NS6detail17trampoline_kernelINS0_13select_configILj256ELj13ELNS0_17block_load_methodE3ELS4_3ELS4_3ELNS0_20block_scan_algorithmE0ELj4294967295EEENS1_25partition_config_selectorILNS1_17partition_subalgoE3EjNS0_10empty_typeEbEEZZNS1_14partition_implILS8_3ELb0ES6_jNS0_17counting_iteratorIjlEEPS9_SE_NS0_5tupleIJPjSE_EEENSF_IJSE_SE_EEES9_SG_JZNS1_25segmented_radix_sort_implINS0_14default_configELb0EPKsPsPKlPlN2at6native12_GLOBAL__N_18offset_tEEE10hipError_tPvRmT1_PNSt15iterator_traitsISY_E10value_typeET2_T3_PNSZ_IS14_E10value_typeET4_jRbjT5_S1A_jjP12ihipStream_tbEUljE_EEESV_SW_SX_S14_S18_S1A_T6_T7_T9_mT8_S1C_bDpT10_ENKUlT_T0_E_clISt17integral_constantIbLb1EES1P_EEDaS1K_S1L_EUlS1K_E_NS1_11comp_targetILNS1_3genE5ELNS1_11target_archE942ELNS1_3gpuE9ELNS1_3repE0EEENS1_30default_config_static_selectorELNS0_4arch9wavefront6targetE0EEEvSY_
    .private_segment_fixed_size: 0
    .sgpr_count:     0
    .sgpr_spill_count: 0
    .symbol:         _ZN7rocprim17ROCPRIM_400000_NS6detail17trampoline_kernelINS0_13select_configILj256ELj13ELNS0_17block_load_methodE3ELS4_3ELS4_3ELNS0_20block_scan_algorithmE0ELj4294967295EEENS1_25partition_config_selectorILNS1_17partition_subalgoE3EjNS0_10empty_typeEbEEZZNS1_14partition_implILS8_3ELb0ES6_jNS0_17counting_iteratorIjlEEPS9_SE_NS0_5tupleIJPjSE_EEENSF_IJSE_SE_EEES9_SG_JZNS1_25segmented_radix_sort_implINS0_14default_configELb0EPKsPsPKlPlN2at6native12_GLOBAL__N_18offset_tEEE10hipError_tPvRmT1_PNSt15iterator_traitsISY_E10value_typeET2_T3_PNSZ_IS14_E10value_typeET4_jRbjT5_S1A_jjP12ihipStream_tbEUljE_EEESV_SW_SX_S14_S18_S1A_T6_T7_T9_mT8_S1C_bDpT10_ENKUlT_T0_E_clISt17integral_constantIbLb1EES1P_EEDaS1K_S1L_EUlS1K_E_NS1_11comp_targetILNS1_3genE5ELNS1_11target_archE942ELNS1_3gpuE9ELNS1_3repE0EEENS1_30default_config_static_selectorELNS0_4arch9wavefront6targetE0EEEvSY_.kd
    .uniform_work_group_size: 1
    .uses_dynamic_stack: false
    .vgpr_count:     0
    .vgpr_spill_count: 0
    .wavefront_size: 32
    .workgroup_processor_mode: 1
  - .args:
      - .offset:         0
        .size:           152
        .value_kind:     by_value
    .group_segment_fixed_size: 0
    .kernarg_segment_align: 8
    .kernarg_segment_size: 152
    .language:       OpenCL C
    .language_version:
      - 2
      - 0
    .max_flat_workgroup_size: 256
    .name:           _ZN7rocprim17ROCPRIM_400000_NS6detail17trampoline_kernelINS0_13select_configILj256ELj13ELNS0_17block_load_methodE3ELS4_3ELS4_3ELNS0_20block_scan_algorithmE0ELj4294967295EEENS1_25partition_config_selectorILNS1_17partition_subalgoE3EjNS0_10empty_typeEbEEZZNS1_14partition_implILS8_3ELb0ES6_jNS0_17counting_iteratorIjlEEPS9_SE_NS0_5tupleIJPjSE_EEENSF_IJSE_SE_EEES9_SG_JZNS1_25segmented_radix_sort_implINS0_14default_configELb0EPKsPsPKlPlN2at6native12_GLOBAL__N_18offset_tEEE10hipError_tPvRmT1_PNSt15iterator_traitsISY_E10value_typeET2_T3_PNSZ_IS14_E10value_typeET4_jRbjT5_S1A_jjP12ihipStream_tbEUljE_EEESV_SW_SX_S14_S18_S1A_T6_T7_T9_mT8_S1C_bDpT10_ENKUlT_T0_E_clISt17integral_constantIbLb1EES1P_EEDaS1K_S1L_EUlS1K_E_NS1_11comp_targetILNS1_3genE4ELNS1_11target_archE910ELNS1_3gpuE8ELNS1_3repE0EEENS1_30default_config_static_selectorELNS0_4arch9wavefront6targetE0EEEvSY_
    .private_segment_fixed_size: 0
    .sgpr_count:     0
    .sgpr_spill_count: 0
    .symbol:         _ZN7rocprim17ROCPRIM_400000_NS6detail17trampoline_kernelINS0_13select_configILj256ELj13ELNS0_17block_load_methodE3ELS4_3ELS4_3ELNS0_20block_scan_algorithmE0ELj4294967295EEENS1_25partition_config_selectorILNS1_17partition_subalgoE3EjNS0_10empty_typeEbEEZZNS1_14partition_implILS8_3ELb0ES6_jNS0_17counting_iteratorIjlEEPS9_SE_NS0_5tupleIJPjSE_EEENSF_IJSE_SE_EEES9_SG_JZNS1_25segmented_radix_sort_implINS0_14default_configELb0EPKsPsPKlPlN2at6native12_GLOBAL__N_18offset_tEEE10hipError_tPvRmT1_PNSt15iterator_traitsISY_E10value_typeET2_T3_PNSZ_IS14_E10value_typeET4_jRbjT5_S1A_jjP12ihipStream_tbEUljE_EEESV_SW_SX_S14_S18_S1A_T6_T7_T9_mT8_S1C_bDpT10_ENKUlT_T0_E_clISt17integral_constantIbLb1EES1P_EEDaS1K_S1L_EUlS1K_E_NS1_11comp_targetILNS1_3genE4ELNS1_11target_archE910ELNS1_3gpuE8ELNS1_3repE0EEENS1_30default_config_static_selectorELNS0_4arch9wavefront6targetE0EEEvSY_.kd
    .uniform_work_group_size: 1
    .uses_dynamic_stack: false
    .vgpr_count:     0
    .vgpr_spill_count: 0
    .wavefront_size: 32
    .workgroup_processor_mode: 1
  - .args:
      - .offset:         0
        .size:           152
        .value_kind:     by_value
    .group_segment_fixed_size: 0
    .kernarg_segment_align: 8
    .kernarg_segment_size: 152
    .language:       OpenCL C
    .language_version:
      - 2
      - 0
    .max_flat_workgroup_size: 256
    .name:           _ZN7rocprim17ROCPRIM_400000_NS6detail17trampoline_kernelINS0_13select_configILj256ELj13ELNS0_17block_load_methodE3ELS4_3ELS4_3ELNS0_20block_scan_algorithmE0ELj4294967295EEENS1_25partition_config_selectorILNS1_17partition_subalgoE3EjNS0_10empty_typeEbEEZZNS1_14partition_implILS8_3ELb0ES6_jNS0_17counting_iteratorIjlEEPS9_SE_NS0_5tupleIJPjSE_EEENSF_IJSE_SE_EEES9_SG_JZNS1_25segmented_radix_sort_implINS0_14default_configELb0EPKsPsPKlPlN2at6native12_GLOBAL__N_18offset_tEEE10hipError_tPvRmT1_PNSt15iterator_traitsISY_E10value_typeET2_T3_PNSZ_IS14_E10value_typeET4_jRbjT5_S1A_jjP12ihipStream_tbEUljE_EEESV_SW_SX_S14_S18_S1A_T6_T7_T9_mT8_S1C_bDpT10_ENKUlT_T0_E_clISt17integral_constantIbLb1EES1P_EEDaS1K_S1L_EUlS1K_E_NS1_11comp_targetILNS1_3genE3ELNS1_11target_archE908ELNS1_3gpuE7ELNS1_3repE0EEENS1_30default_config_static_selectorELNS0_4arch9wavefront6targetE0EEEvSY_
    .private_segment_fixed_size: 0
    .sgpr_count:     0
    .sgpr_spill_count: 0
    .symbol:         _ZN7rocprim17ROCPRIM_400000_NS6detail17trampoline_kernelINS0_13select_configILj256ELj13ELNS0_17block_load_methodE3ELS4_3ELS4_3ELNS0_20block_scan_algorithmE0ELj4294967295EEENS1_25partition_config_selectorILNS1_17partition_subalgoE3EjNS0_10empty_typeEbEEZZNS1_14partition_implILS8_3ELb0ES6_jNS0_17counting_iteratorIjlEEPS9_SE_NS0_5tupleIJPjSE_EEENSF_IJSE_SE_EEES9_SG_JZNS1_25segmented_radix_sort_implINS0_14default_configELb0EPKsPsPKlPlN2at6native12_GLOBAL__N_18offset_tEEE10hipError_tPvRmT1_PNSt15iterator_traitsISY_E10value_typeET2_T3_PNSZ_IS14_E10value_typeET4_jRbjT5_S1A_jjP12ihipStream_tbEUljE_EEESV_SW_SX_S14_S18_S1A_T6_T7_T9_mT8_S1C_bDpT10_ENKUlT_T0_E_clISt17integral_constantIbLb1EES1P_EEDaS1K_S1L_EUlS1K_E_NS1_11comp_targetILNS1_3genE3ELNS1_11target_archE908ELNS1_3gpuE7ELNS1_3repE0EEENS1_30default_config_static_selectorELNS0_4arch9wavefront6targetE0EEEvSY_.kd
    .uniform_work_group_size: 1
    .uses_dynamic_stack: false
    .vgpr_count:     0
    .vgpr_spill_count: 0
    .wavefront_size: 32
    .workgroup_processor_mode: 1
  - .args:
      - .offset:         0
        .size:           152
        .value_kind:     by_value
    .group_segment_fixed_size: 0
    .kernarg_segment_align: 8
    .kernarg_segment_size: 152
    .language:       OpenCL C
    .language_version:
      - 2
      - 0
    .max_flat_workgroup_size: 256
    .name:           _ZN7rocprim17ROCPRIM_400000_NS6detail17trampoline_kernelINS0_13select_configILj256ELj13ELNS0_17block_load_methodE3ELS4_3ELS4_3ELNS0_20block_scan_algorithmE0ELj4294967295EEENS1_25partition_config_selectorILNS1_17partition_subalgoE3EjNS0_10empty_typeEbEEZZNS1_14partition_implILS8_3ELb0ES6_jNS0_17counting_iteratorIjlEEPS9_SE_NS0_5tupleIJPjSE_EEENSF_IJSE_SE_EEES9_SG_JZNS1_25segmented_radix_sort_implINS0_14default_configELb0EPKsPsPKlPlN2at6native12_GLOBAL__N_18offset_tEEE10hipError_tPvRmT1_PNSt15iterator_traitsISY_E10value_typeET2_T3_PNSZ_IS14_E10value_typeET4_jRbjT5_S1A_jjP12ihipStream_tbEUljE_EEESV_SW_SX_S14_S18_S1A_T6_T7_T9_mT8_S1C_bDpT10_ENKUlT_T0_E_clISt17integral_constantIbLb1EES1P_EEDaS1K_S1L_EUlS1K_E_NS1_11comp_targetILNS1_3genE2ELNS1_11target_archE906ELNS1_3gpuE6ELNS1_3repE0EEENS1_30default_config_static_selectorELNS0_4arch9wavefront6targetE0EEEvSY_
    .private_segment_fixed_size: 0
    .sgpr_count:     0
    .sgpr_spill_count: 0
    .symbol:         _ZN7rocprim17ROCPRIM_400000_NS6detail17trampoline_kernelINS0_13select_configILj256ELj13ELNS0_17block_load_methodE3ELS4_3ELS4_3ELNS0_20block_scan_algorithmE0ELj4294967295EEENS1_25partition_config_selectorILNS1_17partition_subalgoE3EjNS0_10empty_typeEbEEZZNS1_14partition_implILS8_3ELb0ES6_jNS0_17counting_iteratorIjlEEPS9_SE_NS0_5tupleIJPjSE_EEENSF_IJSE_SE_EEES9_SG_JZNS1_25segmented_radix_sort_implINS0_14default_configELb0EPKsPsPKlPlN2at6native12_GLOBAL__N_18offset_tEEE10hipError_tPvRmT1_PNSt15iterator_traitsISY_E10value_typeET2_T3_PNSZ_IS14_E10value_typeET4_jRbjT5_S1A_jjP12ihipStream_tbEUljE_EEESV_SW_SX_S14_S18_S1A_T6_T7_T9_mT8_S1C_bDpT10_ENKUlT_T0_E_clISt17integral_constantIbLb1EES1P_EEDaS1K_S1L_EUlS1K_E_NS1_11comp_targetILNS1_3genE2ELNS1_11target_archE906ELNS1_3gpuE6ELNS1_3repE0EEENS1_30default_config_static_selectorELNS0_4arch9wavefront6targetE0EEEvSY_.kd
    .uniform_work_group_size: 1
    .uses_dynamic_stack: false
    .vgpr_count:     0
    .vgpr_spill_count: 0
    .wavefront_size: 32
    .workgroup_processor_mode: 1
  - .args:
      - .offset:         0
        .size:           152
        .value_kind:     by_value
    .group_segment_fixed_size: 0
    .kernarg_segment_align: 8
    .kernarg_segment_size: 152
    .language:       OpenCL C
    .language_version:
      - 2
      - 0
    .max_flat_workgroup_size: 256
    .name:           _ZN7rocprim17ROCPRIM_400000_NS6detail17trampoline_kernelINS0_13select_configILj256ELj13ELNS0_17block_load_methodE3ELS4_3ELS4_3ELNS0_20block_scan_algorithmE0ELj4294967295EEENS1_25partition_config_selectorILNS1_17partition_subalgoE3EjNS0_10empty_typeEbEEZZNS1_14partition_implILS8_3ELb0ES6_jNS0_17counting_iteratorIjlEEPS9_SE_NS0_5tupleIJPjSE_EEENSF_IJSE_SE_EEES9_SG_JZNS1_25segmented_radix_sort_implINS0_14default_configELb0EPKsPsPKlPlN2at6native12_GLOBAL__N_18offset_tEEE10hipError_tPvRmT1_PNSt15iterator_traitsISY_E10value_typeET2_T3_PNSZ_IS14_E10value_typeET4_jRbjT5_S1A_jjP12ihipStream_tbEUljE_EEESV_SW_SX_S14_S18_S1A_T6_T7_T9_mT8_S1C_bDpT10_ENKUlT_T0_E_clISt17integral_constantIbLb1EES1P_EEDaS1K_S1L_EUlS1K_E_NS1_11comp_targetILNS1_3genE10ELNS1_11target_archE1200ELNS1_3gpuE4ELNS1_3repE0EEENS1_30default_config_static_selectorELNS0_4arch9wavefront6targetE0EEEvSY_
    .private_segment_fixed_size: 0
    .sgpr_count:     0
    .sgpr_spill_count: 0
    .symbol:         _ZN7rocprim17ROCPRIM_400000_NS6detail17trampoline_kernelINS0_13select_configILj256ELj13ELNS0_17block_load_methodE3ELS4_3ELS4_3ELNS0_20block_scan_algorithmE0ELj4294967295EEENS1_25partition_config_selectorILNS1_17partition_subalgoE3EjNS0_10empty_typeEbEEZZNS1_14partition_implILS8_3ELb0ES6_jNS0_17counting_iteratorIjlEEPS9_SE_NS0_5tupleIJPjSE_EEENSF_IJSE_SE_EEES9_SG_JZNS1_25segmented_radix_sort_implINS0_14default_configELb0EPKsPsPKlPlN2at6native12_GLOBAL__N_18offset_tEEE10hipError_tPvRmT1_PNSt15iterator_traitsISY_E10value_typeET2_T3_PNSZ_IS14_E10value_typeET4_jRbjT5_S1A_jjP12ihipStream_tbEUljE_EEESV_SW_SX_S14_S18_S1A_T6_T7_T9_mT8_S1C_bDpT10_ENKUlT_T0_E_clISt17integral_constantIbLb1EES1P_EEDaS1K_S1L_EUlS1K_E_NS1_11comp_targetILNS1_3genE10ELNS1_11target_archE1200ELNS1_3gpuE4ELNS1_3repE0EEENS1_30default_config_static_selectorELNS0_4arch9wavefront6targetE0EEEvSY_.kd
    .uniform_work_group_size: 1
    .uses_dynamic_stack: false
    .vgpr_count:     0
    .vgpr_spill_count: 0
    .wavefront_size: 32
    .workgroup_processor_mode: 1
  - .args:
      - .offset:         0
        .size:           152
        .value_kind:     by_value
    .group_segment_fixed_size: 0
    .kernarg_segment_align: 8
    .kernarg_segment_size: 152
    .language:       OpenCL C
    .language_version:
      - 2
      - 0
    .max_flat_workgroup_size: 256
    .name:           _ZN7rocprim17ROCPRIM_400000_NS6detail17trampoline_kernelINS0_13select_configILj256ELj13ELNS0_17block_load_methodE3ELS4_3ELS4_3ELNS0_20block_scan_algorithmE0ELj4294967295EEENS1_25partition_config_selectorILNS1_17partition_subalgoE3EjNS0_10empty_typeEbEEZZNS1_14partition_implILS8_3ELb0ES6_jNS0_17counting_iteratorIjlEEPS9_SE_NS0_5tupleIJPjSE_EEENSF_IJSE_SE_EEES9_SG_JZNS1_25segmented_radix_sort_implINS0_14default_configELb0EPKsPsPKlPlN2at6native12_GLOBAL__N_18offset_tEEE10hipError_tPvRmT1_PNSt15iterator_traitsISY_E10value_typeET2_T3_PNSZ_IS14_E10value_typeET4_jRbjT5_S1A_jjP12ihipStream_tbEUljE_EEESV_SW_SX_S14_S18_S1A_T6_T7_T9_mT8_S1C_bDpT10_ENKUlT_T0_E_clISt17integral_constantIbLb1EES1P_EEDaS1K_S1L_EUlS1K_E_NS1_11comp_targetILNS1_3genE9ELNS1_11target_archE1100ELNS1_3gpuE3ELNS1_3repE0EEENS1_30default_config_static_selectorELNS0_4arch9wavefront6targetE0EEEvSY_
    .private_segment_fixed_size: 0
    .sgpr_count:     0
    .sgpr_spill_count: 0
    .symbol:         _ZN7rocprim17ROCPRIM_400000_NS6detail17trampoline_kernelINS0_13select_configILj256ELj13ELNS0_17block_load_methodE3ELS4_3ELS4_3ELNS0_20block_scan_algorithmE0ELj4294967295EEENS1_25partition_config_selectorILNS1_17partition_subalgoE3EjNS0_10empty_typeEbEEZZNS1_14partition_implILS8_3ELb0ES6_jNS0_17counting_iteratorIjlEEPS9_SE_NS0_5tupleIJPjSE_EEENSF_IJSE_SE_EEES9_SG_JZNS1_25segmented_radix_sort_implINS0_14default_configELb0EPKsPsPKlPlN2at6native12_GLOBAL__N_18offset_tEEE10hipError_tPvRmT1_PNSt15iterator_traitsISY_E10value_typeET2_T3_PNSZ_IS14_E10value_typeET4_jRbjT5_S1A_jjP12ihipStream_tbEUljE_EEESV_SW_SX_S14_S18_S1A_T6_T7_T9_mT8_S1C_bDpT10_ENKUlT_T0_E_clISt17integral_constantIbLb1EES1P_EEDaS1K_S1L_EUlS1K_E_NS1_11comp_targetILNS1_3genE9ELNS1_11target_archE1100ELNS1_3gpuE3ELNS1_3repE0EEENS1_30default_config_static_selectorELNS0_4arch9wavefront6targetE0EEEvSY_.kd
    .uniform_work_group_size: 1
    .uses_dynamic_stack: false
    .vgpr_count:     0
    .vgpr_spill_count: 0
    .wavefront_size: 32
    .workgroup_processor_mode: 1
  - .args:
      - .offset:         0
        .size:           152
        .value_kind:     by_value
    .group_segment_fixed_size: 0
    .kernarg_segment_align: 8
    .kernarg_segment_size: 152
    .language:       OpenCL C
    .language_version:
      - 2
      - 0
    .max_flat_workgroup_size: 256
    .name:           _ZN7rocprim17ROCPRIM_400000_NS6detail17trampoline_kernelINS0_13select_configILj256ELj13ELNS0_17block_load_methodE3ELS4_3ELS4_3ELNS0_20block_scan_algorithmE0ELj4294967295EEENS1_25partition_config_selectorILNS1_17partition_subalgoE3EjNS0_10empty_typeEbEEZZNS1_14partition_implILS8_3ELb0ES6_jNS0_17counting_iteratorIjlEEPS9_SE_NS0_5tupleIJPjSE_EEENSF_IJSE_SE_EEES9_SG_JZNS1_25segmented_radix_sort_implINS0_14default_configELb0EPKsPsPKlPlN2at6native12_GLOBAL__N_18offset_tEEE10hipError_tPvRmT1_PNSt15iterator_traitsISY_E10value_typeET2_T3_PNSZ_IS14_E10value_typeET4_jRbjT5_S1A_jjP12ihipStream_tbEUljE_EEESV_SW_SX_S14_S18_S1A_T6_T7_T9_mT8_S1C_bDpT10_ENKUlT_T0_E_clISt17integral_constantIbLb1EES1P_EEDaS1K_S1L_EUlS1K_E_NS1_11comp_targetILNS1_3genE8ELNS1_11target_archE1030ELNS1_3gpuE2ELNS1_3repE0EEENS1_30default_config_static_selectorELNS0_4arch9wavefront6targetE0EEEvSY_
    .private_segment_fixed_size: 0
    .sgpr_count:     0
    .sgpr_spill_count: 0
    .symbol:         _ZN7rocprim17ROCPRIM_400000_NS6detail17trampoline_kernelINS0_13select_configILj256ELj13ELNS0_17block_load_methodE3ELS4_3ELS4_3ELNS0_20block_scan_algorithmE0ELj4294967295EEENS1_25partition_config_selectorILNS1_17partition_subalgoE3EjNS0_10empty_typeEbEEZZNS1_14partition_implILS8_3ELb0ES6_jNS0_17counting_iteratorIjlEEPS9_SE_NS0_5tupleIJPjSE_EEENSF_IJSE_SE_EEES9_SG_JZNS1_25segmented_radix_sort_implINS0_14default_configELb0EPKsPsPKlPlN2at6native12_GLOBAL__N_18offset_tEEE10hipError_tPvRmT1_PNSt15iterator_traitsISY_E10value_typeET2_T3_PNSZ_IS14_E10value_typeET4_jRbjT5_S1A_jjP12ihipStream_tbEUljE_EEESV_SW_SX_S14_S18_S1A_T6_T7_T9_mT8_S1C_bDpT10_ENKUlT_T0_E_clISt17integral_constantIbLb1EES1P_EEDaS1K_S1L_EUlS1K_E_NS1_11comp_targetILNS1_3genE8ELNS1_11target_archE1030ELNS1_3gpuE2ELNS1_3repE0EEENS1_30default_config_static_selectorELNS0_4arch9wavefront6targetE0EEEvSY_.kd
    .uniform_work_group_size: 1
    .uses_dynamic_stack: false
    .vgpr_count:     0
    .vgpr_spill_count: 0
    .wavefront_size: 32
    .workgroup_processor_mode: 1
  - .args:
      - .offset:         0
        .size:           144
        .value_kind:     by_value
    .group_segment_fixed_size: 0
    .kernarg_segment_align: 8
    .kernarg_segment_size: 144
    .language:       OpenCL C
    .language_version:
      - 2
      - 0
    .max_flat_workgroup_size: 256
    .name:           _ZN7rocprim17ROCPRIM_400000_NS6detail17trampoline_kernelINS0_13select_configILj256ELj13ELNS0_17block_load_methodE3ELS4_3ELS4_3ELNS0_20block_scan_algorithmE0ELj4294967295EEENS1_25partition_config_selectorILNS1_17partition_subalgoE3EjNS0_10empty_typeEbEEZZNS1_14partition_implILS8_3ELb0ES6_jNS0_17counting_iteratorIjlEEPS9_SE_NS0_5tupleIJPjSE_EEENSF_IJSE_SE_EEES9_SG_JZNS1_25segmented_radix_sort_implINS0_14default_configELb0EPKsPsPKlPlN2at6native12_GLOBAL__N_18offset_tEEE10hipError_tPvRmT1_PNSt15iterator_traitsISY_E10value_typeET2_T3_PNSZ_IS14_E10value_typeET4_jRbjT5_S1A_jjP12ihipStream_tbEUljE_EEESV_SW_SX_S14_S18_S1A_T6_T7_T9_mT8_S1C_bDpT10_ENKUlT_T0_E_clISt17integral_constantIbLb1EES1O_IbLb0EEEEDaS1K_S1L_EUlS1K_E_NS1_11comp_targetILNS1_3genE0ELNS1_11target_archE4294967295ELNS1_3gpuE0ELNS1_3repE0EEENS1_30default_config_static_selectorELNS0_4arch9wavefront6targetE0EEEvSY_
    .private_segment_fixed_size: 0
    .sgpr_count:     0
    .sgpr_spill_count: 0
    .symbol:         _ZN7rocprim17ROCPRIM_400000_NS6detail17trampoline_kernelINS0_13select_configILj256ELj13ELNS0_17block_load_methodE3ELS4_3ELS4_3ELNS0_20block_scan_algorithmE0ELj4294967295EEENS1_25partition_config_selectorILNS1_17partition_subalgoE3EjNS0_10empty_typeEbEEZZNS1_14partition_implILS8_3ELb0ES6_jNS0_17counting_iteratorIjlEEPS9_SE_NS0_5tupleIJPjSE_EEENSF_IJSE_SE_EEES9_SG_JZNS1_25segmented_radix_sort_implINS0_14default_configELb0EPKsPsPKlPlN2at6native12_GLOBAL__N_18offset_tEEE10hipError_tPvRmT1_PNSt15iterator_traitsISY_E10value_typeET2_T3_PNSZ_IS14_E10value_typeET4_jRbjT5_S1A_jjP12ihipStream_tbEUljE_EEESV_SW_SX_S14_S18_S1A_T6_T7_T9_mT8_S1C_bDpT10_ENKUlT_T0_E_clISt17integral_constantIbLb1EES1O_IbLb0EEEEDaS1K_S1L_EUlS1K_E_NS1_11comp_targetILNS1_3genE0ELNS1_11target_archE4294967295ELNS1_3gpuE0ELNS1_3repE0EEENS1_30default_config_static_selectorELNS0_4arch9wavefront6targetE0EEEvSY_.kd
    .uniform_work_group_size: 1
    .uses_dynamic_stack: false
    .vgpr_count:     0
    .vgpr_spill_count: 0
    .wavefront_size: 32
    .workgroup_processor_mode: 1
  - .args:
      - .offset:         0
        .size:           144
        .value_kind:     by_value
    .group_segment_fixed_size: 0
    .kernarg_segment_align: 8
    .kernarg_segment_size: 144
    .language:       OpenCL C
    .language_version:
      - 2
      - 0
    .max_flat_workgroup_size: 256
    .name:           _ZN7rocprim17ROCPRIM_400000_NS6detail17trampoline_kernelINS0_13select_configILj256ELj13ELNS0_17block_load_methodE3ELS4_3ELS4_3ELNS0_20block_scan_algorithmE0ELj4294967295EEENS1_25partition_config_selectorILNS1_17partition_subalgoE3EjNS0_10empty_typeEbEEZZNS1_14partition_implILS8_3ELb0ES6_jNS0_17counting_iteratorIjlEEPS9_SE_NS0_5tupleIJPjSE_EEENSF_IJSE_SE_EEES9_SG_JZNS1_25segmented_radix_sort_implINS0_14default_configELb0EPKsPsPKlPlN2at6native12_GLOBAL__N_18offset_tEEE10hipError_tPvRmT1_PNSt15iterator_traitsISY_E10value_typeET2_T3_PNSZ_IS14_E10value_typeET4_jRbjT5_S1A_jjP12ihipStream_tbEUljE_EEESV_SW_SX_S14_S18_S1A_T6_T7_T9_mT8_S1C_bDpT10_ENKUlT_T0_E_clISt17integral_constantIbLb1EES1O_IbLb0EEEEDaS1K_S1L_EUlS1K_E_NS1_11comp_targetILNS1_3genE5ELNS1_11target_archE942ELNS1_3gpuE9ELNS1_3repE0EEENS1_30default_config_static_selectorELNS0_4arch9wavefront6targetE0EEEvSY_
    .private_segment_fixed_size: 0
    .sgpr_count:     0
    .sgpr_spill_count: 0
    .symbol:         _ZN7rocprim17ROCPRIM_400000_NS6detail17trampoline_kernelINS0_13select_configILj256ELj13ELNS0_17block_load_methodE3ELS4_3ELS4_3ELNS0_20block_scan_algorithmE0ELj4294967295EEENS1_25partition_config_selectorILNS1_17partition_subalgoE3EjNS0_10empty_typeEbEEZZNS1_14partition_implILS8_3ELb0ES6_jNS0_17counting_iteratorIjlEEPS9_SE_NS0_5tupleIJPjSE_EEENSF_IJSE_SE_EEES9_SG_JZNS1_25segmented_radix_sort_implINS0_14default_configELb0EPKsPsPKlPlN2at6native12_GLOBAL__N_18offset_tEEE10hipError_tPvRmT1_PNSt15iterator_traitsISY_E10value_typeET2_T3_PNSZ_IS14_E10value_typeET4_jRbjT5_S1A_jjP12ihipStream_tbEUljE_EEESV_SW_SX_S14_S18_S1A_T6_T7_T9_mT8_S1C_bDpT10_ENKUlT_T0_E_clISt17integral_constantIbLb1EES1O_IbLb0EEEEDaS1K_S1L_EUlS1K_E_NS1_11comp_targetILNS1_3genE5ELNS1_11target_archE942ELNS1_3gpuE9ELNS1_3repE0EEENS1_30default_config_static_selectorELNS0_4arch9wavefront6targetE0EEEvSY_.kd
    .uniform_work_group_size: 1
    .uses_dynamic_stack: false
    .vgpr_count:     0
    .vgpr_spill_count: 0
    .wavefront_size: 32
    .workgroup_processor_mode: 1
  - .args:
      - .offset:         0
        .size:           144
        .value_kind:     by_value
    .group_segment_fixed_size: 0
    .kernarg_segment_align: 8
    .kernarg_segment_size: 144
    .language:       OpenCL C
    .language_version:
      - 2
      - 0
    .max_flat_workgroup_size: 256
    .name:           _ZN7rocprim17ROCPRIM_400000_NS6detail17trampoline_kernelINS0_13select_configILj256ELj13ELNS0_17block_load_methodE3ELS4_3ELS4_3ELNS0_20block_scan_algorithmE0ELj4294967295EEENS1_25partition_config_selectorILNS1_17partition_subalgoE3EjNS0_10empty_typeEbEEZZNS1_14partition_implILS8_3ELb0ES6_jNS0_17counting_iteratorIjlEEPS9_SE_NS0_5tupleIJPjSE_EEENSF_IJSE_SE_EEES9_SG_JZNS1_25segmented_radix_sort_implINS0_14default_configELb0EPKsPsPKlPlN2at6native12_GLOBAL__N_18offset_tEEE10hipError_tPvRmT1_PNSt15iterator_traitsISY_E10value_typeET2_T3_PNSZ_IS14_E10value_typeET4_jRbjT5_S1A_jjP12ihipStream_tbEUljE_EEESV_SW_SX_S14_S18_S1A_T6_T7_T9_mT8_S1C_bDpT10_ENKUlT_T0_E_clISt17integral_constantIbLb1EES1O_IbLb0EEEEDaS1K_S1L_EUlS1K_E_NS1_11comp_targetILNS1_3genE4ELNS1_11target_archE910ELNS1_3gpuE8ELNS1_3repE0EEENS1_30default_config_static_selectorELNS0_4arch9wavefront6targetE0EEEvSY_
    .private_segment_fixed_size: 0
    .sgpr_count:     0
    .sgpr_spill_count: 0
    .symbol:         _ZN7rocprim17ROCPRIM_400000_NS6detail17trampoline_kernelINS0_13select_configILj256ELj13ELNS0_17block_load_methodE3ELS4_3ELS4_3ELNS0_20block_scan_algorithmE0ELj4294967295EEENS1_25partition_config_selectorILNS1_17partition_subalgoE3EjNS0_10empty_typeEbEEZZNS1_14partition_implILS8_3ELb0ES6_jNS0_17counting_iteratorIjlEEPS9_SE_NS0_5tupleIJPjSE_EEENSF_IJSE_SE_EEES9_SG_JZNS1_25segmented_radix_sort_implINS0_14default_configELb0EPKsPsPKlPlN2at6native12_GLOBAL__N_18offset_tEEE10hipError_tPvRmT1_PNSt15iterator_traitsISY_E10value_typeET2_T3_PNSZ_IS14_E10value_typeET4_jRbjT5_S1A_jjP12ihipStream_tbEUljE_EEESV_SW_SX_S14_S18_S1A_T6_T7_T9_mT8_S1C_bDpT10_ENKUlT_T0_E_clISt17integral_constantIbLb1EES1O_IbLb0EEEEDaS1K_S1L_EUlS1K_E_NS1_11comp_targetILNS1_3genE4ELNS1_11target_archE910ELNS1_3gpuE8ELNS1_3repE0EEENS1_30default_config_static_selectorELNS0_4arch9wavefront6targetE0EEEvSY_.kd
    .uniform_work_group_size: 1
    .uses_dynamic_stack: false
    .vgpr_count:     0
    .vgpr_spill_count: 0
    .wavefront_size: 32
    .workgroup_processor_mode: 1
  - .args:
      - .offset:         0
        .size:           144
        .value_kind:     by_value
    .group_segment_fixed_size: 0
    .kernarg_segment_align: 8
    .kernarg_segment_size: 144
    .language:       OpenCL C
    .language_version:
      - 2
      - 0
    .max_flat_workgroup_size: 256
    .name:           _ZN7rocprim17ROCPRIM_400000_NS6detail17trampoline_kernelINS0_13select_configILj256ELj13ELNS0_17block_load_methodE3ELS4_3ELS4_3ELNS0_20block_scan_algorithmE0ELj4294967295EEENS1_25partition_config_selectorILNS1_17partition_subalgoE3EjNS0_10empty_typeEbEEZZNS1_14partition_implILS8_3ELb0ES6_jNS0_17counting_iteratorIjlEEPS9_SE_NS0_5tupleIJPjSE_EEENSF_IJSE_SE_EEES9_SG_JZNS1_25segmented_radix_sort_implINS0_14default_configELb0EPKsPsPKlPlN2at6native12_GLOBAL__N_18offset_tEEE10hipError_tPvRmT1_PNSt15iterator_traitsISY_E10value_typeET2_T3_PNSZ_IS14_E10value_typeET4_jRbjT5_S1A_jjP12ihipStream_tbEUljE_EEESV_SW_SX_S14_S18_S1A_T6_T7_T9_mT8_S1C_bDpT10_ENKUlT_T0_E_clISt17integral_constantIbLb1EES1O_IbLb0EEEEDaS1K_S1L_EUlS1K_E_NS1_11comp_targetILNS1_3genE3ELNS1_11target_archE908ELNS1_3gpuE7ELNS1_3repE0EEENS1_30default_config_static_selectorELNS0_4arch9wavefront6targetE0EEEvSY_
    .private_segment_fixed_size: 0
    .sgpr_count:     0
    .sgpr_spill_count: 0
    .symbol:         _ZN7rocprim17ROCPRIM_400000_NS6detail17trampoline_kernelINS0_13select_configILj256ELj13ELNS0_17block_load_methodE3ELS4_3ELS4_3ELNS0_20block_scan_algorithmE0ELj4294967295EEENS1_25partition_config_selectorILNS1_17partition_subalgoE3EjNS0_10empty_typeEbEEZZNS1_14partition_implILS8_3ELb0ES6_jNS0_17counting_iteratorIjlEEPS9_SE_NS0_5tupleIJPjSE_EEENSF_IJSE_SE_EEES9_SG_JZNS1_25segmented_radix_sort_implINS0_14default_configELb0EPKsPsPKlPlN2at6native12_GLOBAL__N_18offset_tEEE10hipError_tPvRmT1_PNSt15iterator_traitsISY_E10value_typeET2_T3_PNSZ_IS14_E10value_typeET4_jRbjT5_S1A_jjP12ihipStream_tbEUljE_EEESV_SW_SX_S14_S18_S1A_T6_T7_T9_mT8_S1C_bDpT10_ENKUlT_T0_E_clISt17integral_constantIbLb1EES1O_IbLb0EEEEDaS1K_S1L_EUlS1K_E_NS1_11comp_targetILNS1_3genE3ELNS1_11target_archE908ELNS1_3gpuE7ELNS1_3repE0EEENS1_30default_config_static_selectorELNS0_4arch9wavefront6targetE0EEEvSY_.kd
    .uniform_work_group_size: 1
    .uses_dynamic_stack: false
    .vgpr_count:     0
    .vgpr_spill_count: 0
    .wavefront_size: 32
    .workgroup_processor_mode: 1
  - .args:
      - .offset:         0
        .size:           144
        .value_kind:     by_value
    .group_segment_fixed_size: 0
    .kernarg_segment_align: 8
    .kernarg_segment_size: 144
    .language:       OpenCL C
    .language_version:
      - 2
      - 0
    .max_flat_workgroup_size: 256
    .name:           _ZN7rocprim17ROCPRIM_400000_NS6detail17trampoline_kernelINS0_13select_configILj256ELj13ELNS0_17block_load_methodE3ELS4_3ELS4_3ELNS0_20block_scan_algorithmE0ELj4294967295EEENS1_25partition_config_selectorILNS1_17partition_subalgoE3EjNS0_10empty_typeEbEEZZNS1_14partition_implILS8_3ELb0ES6_jNS0_17counting_iteratorIjlEEPS9_SE_NS0_5tupleIJPjSE_EEENSF_IJSE_SE_EEES9_SG_JZNS1_25segmented_radix_sort_implINS0_14default_configELb0EPKsPsPKlPlN2at6native12_GLOBAL__N_18offset_tEEE10hipError_tPvRmT1_PNSt15iterator_traitsISY_E10value_typeET2_T3_PNSZ_IS14_E10value_typeET4_jRbjT5_S1A_jjP12ihipStream_tbEUljE_EEESV_SW_SX_S14_S18_S1A_T6_T7_T9_mT8_S1C_bDpT10_ENKUlT_T0_E_clISt17integral_constantIbLb1EES1O_IbLb0EEEEDaS1K_S1L_EUlS1K_E_NS1_11comp_targetILNS1_3genE2ELNS1_11target_archE906ELNS1_3gpuE6ELNS1_3repE0EEENS1_30default_config_static_selectorELNS0_4arch9wavefront6targetE0EEEvSY_
    .private_segment_fixed_size: 0
    .sgpr_count:     0
    .sgpr_spill_count: 0
    .symbol:         _ZN7rocprim17ROCPRIM_400000_NS6detail17trampoline_kernelINS0_13select_configILj256ELj13ELNS0_17block_load_methodE3ELS4_3ELS4_3ELNS0_20block_scan_algorithmE0ELj4294967295EEENS1_25partition_config_selectorILNS1_17partition_subalgoE3EjNS0_10empty_typeEbEEZZNS1_14partition_implILS8_3ELb0ES6_jNS0_17counting_iteratorIjlEEPS9_SE_NS0_5tupleIJPjSE_EEENSF_IJSE_SE_EEES9_SG_JZNS1_25segmented_radix_sort_implINS0_14default_configELb0EPKsPsPKlPlN2at6native12_GLOBAL__N_18offset_tEEE10hipError_tPvRmT1_PNSt15iterator_traitsISY_E10value_typeET2_T3_PNSZ_IS14_E10value_typeET4_jRbjT5_S1A_jjP12ihipStream_tbEUljE_EEESV_SW_SX_S14_S18_S1A_T6_T7_T9_mT8_S1C_bDpT10_ENKUlT_T0_E_clISt17integral_constantIbLb1EES1O_IbLb0EEEEDaS1K_S1L_EUlS1K_E_NS1_11comp_targetILNS1_3genE2ELNS1_11target_archE906ELNS1_3gpuE6ELNS1_3repE0EEENS1_30default_config_static_selectorELNS0_4arch9wavefront6targetE0EEEvSY_.kd
    .uniform_work_group_size: 1
    .uses_dynamic_stack: false
    .vgpr_count:     0
    .vgpr_spill_count: 0
    .wavefront_size: 32
    .workgroup_processor_mode: 1
  - .args:
      - .offset:         0
        .size:           144
        .value_kind:     by_value
    .group_segment_fixed_size: 0
    .kernarg_segment_align: 8
    .kernarg_segment_size: 144
    .language:       OpenCL C
    .language_version:
      - 2
      - 0
    .max_flat_workgroup_size: 256
    .name:           _ZN7rocprim17ROCPRIM_400000_NS6detail17trampoline_kernelINS0_13select_configILj256ELj13ELNS0_17block_load_methodE3ELS4_3ELS4_3ELNS0_20block_scan_algorithmE0ELj4294967295EEENS1_25partition_config_selectorILNS1_17partition_subalgoE3EjNS0_10empty_typeEbEEZZNS1_14partition_implILS8_3ELb0ES6_jNS0_17counting_iteratorIjlEEPS9_SE_NS0_5tupleIJPjSE_EEENSF_IJSE_SE_EEES9_SG_JZNS1_25segmented_radix_sort_implINS0_14default_configELb0EPKsPsPKlPlN2at6native12_GLOBAL__N_18offset_tEEE10hipError_tPvRmT1_PNSt15iterator_traitsISY_E10value_typeET2_T3_PNSZ_IS14_E10value_typeET4_jRbjT5_S1A_jjP12ihipStream_tbEUljE_EEESV_SW_SX_S14_S18_S1A_T6_T7_T9_mT8_S1C_bDpT10_ENKUlT_T0_E_clISt17integral_constantIbLb1EES1O_IbLb0EEEEDaS1K_S1L_EUlS1K_E_NS1_11comp_targetILNS1_3genE10ELNS1_11target_archE1200ELNS1_3gpuE4ELNS1_3repE0EEENS1_30default_config_static_selectorELNS0_4arch9wavefront6targetE0EEEvSY_
    .private_segment_fixed_size: 0
    .sgpr_count:     0
    .sgpr_spill_count: 0
    .symbol:         _ZN7rocprim17ROCPRIM_400000_NS6detail17trampoline_kernelINS0_13select_configILj256ELj13ELNS0_17block_load_methodE3ELS4_3ELS4_3ELNS0_20block_scan_algorithmE0ELj4294967295EEENS1_25partition_config_selectorILNS1_17partition_subalgoE3EjNS0_10empty_typeEbEEZZNS1_14partition_implILS8_3ELb0ES6_jNS0_17counting_iteratorIjlEEPS9_SE_NS0_5tupleIJPjSE_EEENSF_IJSE_SE_EEES9_SG_JZNS1_25segmented_radix_sort_implINS0_14default_configELb0EPKsPsPKlPlN2at6native12_GLOBAL__N_18offset_tEEE10hipError_tPvRmT1_PNSt15iterator_traitsISY_E10value_typeET2_T3_PNSZ_IS14_E10value_typeET4_jRbjT5_S1A_jjP12ihipStream_tbEUljE_EEESV_SW_SX_S14_S18_S1A_T6_T7_T9_mT8_S1C_bDpT10_ENKUlT_T0_E_clISt17integral_constantIbLb1EES1O_IbLb0EEEEDaS1K_S1L_EUlS1K_E_NS1_11comp_targetILNS1_3genE10ELNS1_11target_archE1200ELNS1_3gpuE4ELNS1_3repE0EEENS1_30default_config_static_selectorELNS0_4arch9wavefront6targetE0EEEvSY_.kd
    .uniform_work_group_size: 1
    .uses_dynamic_stack: false
    .vgpr_count:     0
    .vgpr_spill_count: 0
    .wavefront_size: 32
    .workgroup_processor_mode: 1
  - .args:
      - .offset:         0
        .size:           144
        .value_kind:     by_value
    .group_segment_fixed_size: 0
    .kernarg_segment_align: 8
    .kernarg_segment_size: 144
    .language:       OpenCL C
    .language_version:
      - 2
      - 0
    .max_flat_workgroup_size: 256
    .name:           _ZN7rocprim17ROCPRIM_400000_NS6detail17trampoline_kernelINS0_13select_configILj256ELj13ELNS0_17block_load_methodE3ELS4_3ELS4_3ELNS0_20block_scan_algorithmE0ELj4294967295EEENS1_25partition_config_selectorILNS1_17partition_subalgoE3EjNS0_10empty_typeEbEEZZNS1_14partition_implILS8_3ELb0ES6_jNS0_17counting_iteratorIjlEEPS9_SE_NS0_5tupleIJPjSE_EEENSF_IJSE_SE_EEES9_SG_JZNS1_25segmented_radix_sort_implINS0_14default_configELb0EPKsPsPKlPlN2at6native12_GLOBAL__N_18offset_tEEE10hipError_tPvRmT1_PNSt15iterator_traitsISY_E10value_typeET2_T3_PNSZ_IS14_E10value_typeET4_jRbjT5_S1A_jjP12ihipStream_tbEUljE_EEESV_SW_SX_S14_S18_S1A_T6_T7_T9_mT8_S1C_bDpT10_ENKUlT_T0_E_clISt17integral_constantIbLb1EES1O_IbLb0EEEEDaS1K_S1L_EUlS1K_E_NS1_11comp_targetILNS1_3genE9ELNS1_11target_archE1100ELNS1_3gpuE3ELNS1_3repE0EEENS1_30default_config_static_selectorELNS0_4arch9wavefront6targetE0EEEvSY_
    .private_segment_fixed_size: 0
    .sgpr_count:     0
    .sgpr_spill_count: 0
    .symbol:         _ZN7rocprim17ROCPRIM_400000_NS6detail17trampoline_kernelINS0_13select_configILj256ELj13ELNS0_17block_load_methodE3ELS4_3ELS4_3ELNS0_20block_scan_algorithmE0ELj4294967295EEENS1_25partition_config_selectorILNS1_17partition_subalgoE3EjNS0_10empty_typeEbEEZZNS1_14partition_implILS8_3ELb0ES6_jNS0_17counting_iteratorIjlEEPS9_SE_NS0_5tupleIJPjSE_EEENSF_IJSE_SE_EEES9_SG_JZNS1_25segmented_radix_sort_implINS0_14default_configELb0EPKsPsPKlPlN2at6native12_GLOBAL__N_18offset_tEEE10hipError_tPvRmT1_PNSt15iterator_traitsISY_E10value_typeET2_T3_PNSZ_IS14_E10value_typeET4_jRbjT5_S1A_jjP12ihipStream_tbEUljE_EEESV_SW_SX_S14_S18_S1A_T6_T7_T9_mT8_S1C_bDpT10_ENKUlT_T0_E_clISt17integral_constantIbLb1EES1O_IbLb0EEEEDaS1K_S1L_EUlS1K_E_NS1_11comp_targetILNS1_3genE9ELNS1_11target_archE1100ELNS1_3gpuE3ELNS1_3repE0EEENS1_30default_config_static_selectorELNS0_4arch9wavefront6targetE0EEEvSY_.kd
    .uniform_work_group_size: 1
    .uses_dynamic_stack: false
    .vgpr_count:     0
    .vgpr_spill_count: 0
    .wavefront_size: 32
    .workgroup_processor_mode: 1
  - .args:
      - .offset:         0
        .size:           144
        .value_kind:     by_value
    .group_segment_fixed_size: 0
    .kernarg_segment_align: 8
    .kernarg_segment_size: 144
    .language:       OpenCL C
    .language_version:
      - 2
      - 0
    .max_flat_workgroup_size: 256
    .name:           _ZN7rocprim17ROCPRIM_400000_NS6detail17trampoline_kernelINS0_13select_configILj256ELj13ELNS0_17block_load_methodE3ELS4_3ELS4_3ELNS0_20block_scan_algorithmE0ELj4294967295EEENS1_25partition_config_selectorILNS1_17partition_subalgoE3EjNS0_10empty_typeEbEEZZNS1_14partition_implILS8_3ELb0ES6_jNS0_17counting_iteratorIjlEEPS9_SE_NS0_5tupleIJPjSE_EEENSF_IJSE_SE_EEES9_SG_JZNS1_25segmented_radix_sort_implINS0_14default_configELb0EPKsPsPKlPlN2at6native12_GLOBAL__N_18offset_tEEE10hipError_tPvRmT1_PNSt15iterator_traitsISY_E10value_typeET2_T3_PNSZ_IS14_E10value_typeET4_jRbjT5_S1A_jjP12ihipStream_tbEUljE_EEESV_SW_SX_S14_S18_S1A_T6_T7_T9_mT8_S1C_bDpT10_ENKUlT_T0_E_clISt17integral_constantIbLb1EES1O_IbLb0EEEEDaS1K_S1L_EUlS1K_E_NS1_11comp_targetILNS1_3genE8ELNS1_11target_archE1030ELNS1_3gpuE2ELNS1_3repE0EEENS1_30default_config_static_selectorELNS0_4arch9wavefront6targetE0EEEvSY_
    .private_segment_fixed_size: 0
    .sgpr_count:     0
    .sgpr_spill_count: 0
    .symbol:         _ZN7rocprim17ROCPRIM_400000_NS6detail17trampoline_kernelINS0_13select_configILj256ELj13ELNS0_17block_load_methodE3ELS4_3ELS4_3ELNS0_20block_scan_algorithmE0ELj4294967295EEENS1_25partition_config_selectorILNS1_17partition_subalgoE3EjNS0_10empty_typeEbEEZZNS1_14partition_implILS8_3ELb0ES6_jNS0_17counting_iteratorIjlEEPS9_SE_NS0_5tupleIJPjSE_EEENSF_IJSE_SE_EEES9_SG_JZNS1_25segmented_radix_sort_implINS0_14default_configELb0EPKsPsPKlPlN2at6native12_GLOBAL__N_18offset_tEEE10hipError_tPvRmT1_PNSt15iterator_traitsISY_E10value_typeET2_T3_PNSZ_IS14_E10value_typeET4_jRbjT5_S1A_jjP12ihipStream_tbEUljE_EEESV_SW_SX_S14_S18_S1A_T6_T7_T9_mT8_S1C_bDpT10_ENKUlT_T0_E_clISt17integral_constantIbLb1EES1O_IbLb0EEEEDaS1K_S1L_EUlS1K_E_NS1_11comp_targetILNS1_3genE8ELNS1_11target_archE1030ELNS1_3gpuE2ELNS1_3repE0EEENS1_30default_config_static_selectorELNS0_4arch9wavefront6targetE0EEEvSY_.kd
    .uniform_work_group_size: 1
    .uses_dynamic_stack: false
    .vgpr_count:     0
    .vgpr_spill_count: 0
    .wavefront_size: 32
    .workgroup_processor_mode: 1
  - .args:
      - .offset:         0
        .size:           152
        .value_kind:     by_value
    .group_segment_fixed_size: 0
    .kernarg_segment_align: 8
    .kernarg_segment_size: 152
    .language:       OpenCL C
    .language_version:
      - 2
      - 0
    .max_flat_workgroup_size: 256
    .name:           _ZN7rocprim17ROCPRIM_400000_NS6detail17trampoline_kernelINS0_13select_configILj256ELj13ELNS0_17block_load_methodE3ELS4_3ELS4_3ELNS0_20block_scan_algorithmE0ELj4294967295EEENS1_25partition_config_selectorILNS1_17partition_subalgoE3EjNS0_10empty_typeEbEEZZNS1_14partition_implILS8_3ELb0ES6_jNS0_17counting_iteratorIjlEEPS9_SE_NS0_5tupleIJPjSE_EEENSF_IJSE_SE_EEES9_SG_JZNS1_25segmented_radix_sort_implINS0_14default_configELb0EPKsPsPKlPlN2at6native12_GLOBAL__N_18offset_tEEE10hipError_tPvRmT1_PNSt15iterator_traitsISY_E10value_typeET2_T3_PNSZ_IS14_E10value_typeET4_jRbjT5_S1A_jjP12ihipStream_tbEUljE_EEESV_SW_SX_S14_S18_S1A_T6_T7_T9_mT8_S1C_bDpT10_ENKUlT_T0_E_clISt17integral_constantIbLb0EES1O_IbLb1EEEEDaS1K_S1L_EUlS1K_E_NS1_11comp_targetILNS1_3genE0ELNS1_11target_archE4294967295ELNS1_3gpuE0ELNS1_3repE0EEENS1_30default_config_static_selectorELNS0_4arch9wavefront6targetE0EEEvSY_
    .private_segment_fixed_size: 0
    .sgpr_count:     0
    .sgpr_spill_count: 0
    .symbol:         _ZN7rocprim17ROCPRIM_400000_NS6detail17trampoline_kernelINS0_13select_configILj256ELj13ELNS0_17block_load_methodE3ELS4_3ELS4_3ELNS0_20block_scan_algorithmE0ELj4294967295EEENS1_25partition_config_selectorILNS1_17partition_subalgoE3EjNS0_10empty_typeEbEEZZNS1_14partition_implILS8_3ELb0ES6_jNS0_17counting_iteratorIjlEEPS9_SE_NS0_5tupleIJPjSE_EEENSF_IJSE_SE_EEES9_SG_JZNS1_25segmented_radix_sort_implINS0_14default_configELb0EPKsPsPKlPlN2at6native12_GLOBAL__N_18offset_tEEE10hipError_tPvRmT1_PNSt15iterator_traitsISY_E10value_typeET2_T3_PNSZ_IS14_E10value_typeET4_jRbjT5_S1A_jjP12ihipStream_tbEUljE_EEESV_SW_SX_S14_S18_S1A_T6_T7_T9_mT8_S1C_bDpT10_ENKUlT_T0_E_clISt17integral_constantIbLb0EES1O_IbLb1EEEEDaS1K_S1L_EUlS1K_E_NS1_11comp_targetILNS1_3genE0ELNS1_11target_archE4294967295ELNS1_3gpuE0ELNS1_3repE0EEENS1_30default_config_static_selectorELNS0_4arch9wavefront6targetE0EEEvSY_.kd
    .uniform_work_group_size: 1
    .uses_dynamic_stack: false
    .vgpr_count:     0
    .vgpr_spill_count: 0
    .wavefront_size: 32
    .workgroup_processor_mode: 1
  - .args:
      - .offset:         0
        .size:           152
        .value_kind:     by_value
    .group_segment_fixed_size: 0
    .kernarg_segment_align: 8
    .kernarg_segment_size: 152
    .language:       OpenCL C
    .language_version:
      - 2
      - 0
    .max_flat_workgroup_size: 256
    .name:           _ZN7rocprim17ROCPRIM_400000_NS6detail17trampoline_kernelINS0_13select_configILj256ELj13ELNS0_17block_load_methodE3ELS4_3ELS4_3ELNS0_20block_scan_algorithmE0ELj4294967295EEENS1_25partition_config_selectorILNS1_17partition_subalgoE3EjNS0_10empty_typeEbEEZZNS1_14partition_implILS8_3ELb0ES6_jNS0_17counting_iteratorIjlEEPS9_SE_NS0_5tupleIJPjSE_EEENSF_IJSE_SE_EEES9_SG_JZNS1_25segmented_radix_sort_implINS0_14default_configELb0EPKsPsPKlPlN2at6native12_GLOBAL__N_18offset_tEEE10hipError_tPvRmT1_PNSt15iterator_traitsISY_E10value_typeET2_T3_PNSZ_IS14_E10value_typeET4_jRbjT5_S1A_jjP12ihipStream_tbEUljE_EEESV_SW_SX_S14_S18_S1A_T6_T7_T9_mT8_S1C_bDpT10_ENKUlT_T0_E_clISt17integral_constantIbLb0EES1O_IbLb1EEEEDaS1K_S1L_EUlS1K_E_NS1_11comp_targetILNS1_3genE5ELNS1_11target_archE942ELNS1_3gpuE9ELNS1_3repE0EEENS1_30default_config_static_selectorELNS0_4arch9wavefront6targetE0EEEvSY_
    .private_segment_fixed_size: 0
    .sgpr_count:     0
    .sgpr_spill_count: 0
    .symbol:         _ZN7rocprim17ROCPRIM_400000_NS6detail17trampoline_kernelINS0_13select_configILj256ELj13ELNS0_17block_load_methodE3ELS4_3ELS4_3ELNS0_20block_scan_algorithmE0ELj4294967295EEENS1_25partition_config_selectorILNS1_17partition_subalgoE3EjNS0_10empty_typeEbEEZZNS1_14partition_implILS8_3ELb0ES6_jNS0_17counting_iteratorIjlEEPS9_SE_NS0_5tupleIJPjSE_EEENSF_IJSE_SE_EEES9_SG_JZNS1_25segmented_radix_sort_implINS0_14default_configELb0EPKsPsPKlPlN2at6native12_GLOBAL__N_18offset_tEEE10hipError_tPvRmT1_PNSt15iterator_traitsISY_E10value_typeET2_T3_PNSZ_IS14_E10value_typeET4_jRbjT5_S1A_jjP12ihipStream_tbEUljE_EEESV_SW_SX_S14_S18_S1A_T6_T7_T9_mT8_S1C_bDpT10_ENKUlT_T0_E_clISt17integral_constantIbLb0EES1O_IbLb1EEEEDaS1K_S1L_EUlS1K_E_NS1_11comp_targetILNS1_3genE5ELNS1_11target_archE942ELNS1_3gpuE9ELNS1_3repE0EEENS1_30default_config_static_selectorELNS0_4arch9wavefront6targetE0EEEvSY_.kd
    .uniform_work_group_size: 1
    .uses_dynamic_stack: false
    .vgpr_count:     0
    .vgpr_spill_count: 0
    .wavefront_size: 32
    .workgroup_processor_mode: 1
  - .args:
      - .offset:         0
        .size:           152
        .value_kind:     by_value
    .group_segment_fixed_size: 0
    .kernarg_segment_align: 8
    .kernarg_segment_size: 152
    .language:       OpenCL C
    .language_version:
      - 2
      - 0
    .max_flat_workgroup_size: 256
    .name:           _ZN7rocprim17ROCPRIM_400000_NS6detail17trampoline_kernelINS0_13select_configILj256ELj13ELNS0_17block_load_methodE3ELS4_3ELS4_3ELNS0_20block_scan_algorithmE0ELj4294967295EEENS1_25partition_config_selectorILNS1_17partition_subalgoE3EjNS0_10empty_typeEbEEZZNS1_14partition_implILS8_3ELb0ES6_jNS0_17counting_iteratorIjlEEPS9_SE_NS0_5tupleIJPjSE_EEENSF_IJSE_SE_EEES9_SG_JZNS1_25segmented_radix_sort_implINS0_14default_configELb0EPKsPsPKlPlN2at6native12_GLOBAL__N_18offset_tEEE10hipError_tPvRmT1_PNSt15iterator_traitsISY_E10value_typeET2_T3_PNSZ_IS14_E10value_typeET4_jRbjT5_S1A_jjP12ihipStream_tbEUljE_EEESV_SW_SX_S14_S18_S1A_T6_T7_T9_mT8_S1C_bDpT10_ENKUlT_T0_E_clISt17integral_constantIbLb0EES1O_IbLb1EEEEDaS1K_S1L_EUlS1K_E_NS1_11comp_targetILNS1_3genE4ELNS1_11target_archE910ELNS1_3gpuE8ELNS1_3repE0EEENS1_30default_config_static_selectorELNS0_4arch9wavefront6targetE0EEEvSY_
    .private_segment_fixed_size: 0
    .sgpr_count:     0
    .sgpr_spill_count: 0
    .symbol:         _ZN7rocprim17ROCPRIM_400000_NS6detail17trampoline_kernelINS0_13select_configILj256ELj13ELNS0_17block_load_methodE3ELS4_3ELS4_3ELNS0_20block_scan_algorithmE0ELj4294967295EEENS1_25partition_config_selectorILNS1_17partition_subalgoE3EjNS0_10empty_typeEbEEZZNS1_14partition_implILS8_3ELb0ES6_jNS0_17counting_iteratorIjlEEPS9_SE_NS0_5tupleIJPjSE_EEENSF_IJSE_SE_EEES9_SG_JZNS1_25segmented_radix_sort_implINS0_14default_configELb0EPKsPsPKlPlN2at6native12_GLOBAL__N_18offset_tEEE10hipError_tPvRmT1_PNSt15iterator_traitsISY_E10value_typeET2_T3_PNSZ_IS14_E10value_typeET4_jRbjT5_S1A_jjP12ihipStream_tbEUljE_EEESV_SW_SX_S14_S18_S1A_T6_T7_T9_mT8_S1C_bDpT10_ENKUlT_T0_E_clISt17integral_constantIbLb0EES1O_IbLb1EEEEDaS1K_S1L_EUlS1K_E_NS1_11comp_targetILNS1_3genE4ELNS1_11target_archE910ELNS1_3gpuE8ELNS1_3repE0EEENS1_30default_config_static_selectorELNS0_4arch9wavefront6targetE0EEEvSY_.kd
    .uniform_work_group_size: 1
    .uses_dynamic_stack: false
    .vgpr_count:     0
    .vgpr_spill_count: 0
    .wavefront_size: 32
    .workgroup_processor_mode: 1
  - .args:
      - .offset:         0
        .size:           152
        .value_kind:     by_value
    .group_segment_fixed_size: 0
    .kernarg_segment_align: 8
    .kernarg_segment_size: 152
    .language:       OpenCL C
    .language_version:
      - 2
      - 0
    .max_flat_workgroup_size: 256
    .name:           _ZN7rocprim17ROCPRIM_400000_NS6detail17trampoline_kernelINS0_13select_configILj256ELj13ELNS0_17block_load_methodE3ELS4_3ELS4_3ELNS0_20block_scan_algorithmE0ELj4294967295EEENS1_25partition_config_selectorILNS1_17partition_subalgoE3EjNS0_10empty_typeEbEEZZNS1_14partition_implILS8_3ELb0ES6_jNS0_17counting_iteratorIjlEEPS9_SE_NS0_5tupleIJPjSE_EEENSF_IJSE_SE_EEES9_SG_JZNS1_25segmented_radix_sort_implINS0_14default_configELb0EPKsPsPKlPlN2at6native12_GLOBAL__N_18offset_tEEE10hipError_tPvRmT1_PNSt15iterator_traitsISY_E10value_typeET2_T3_PNSZ_IS14_E10value_typeET4_jRbjT5_S1A_jjP12ihipStream_tbEUljE_EEESV_SW_SX_S14_S18_S1A_T6_T7_T9_mT8_S1C_bDpT10_ENKUlT_T0_E_clISt17integral_constantIbLb0EES1O_IbLb1EEEEDaS1K_S1L_EUlS1K_E_NS1_11comp_targetILNS1_3genE3ELNS1_11target_archE908ELNS1_3gpuE7ELNS1_3repE0EEENS1_30default_config_static_selectorELNS0_4arch9wavefront6targetE0EEEvSY_
    .private_segment_fixed_size: 0
    .sgpr_count:     0
    .sgpr_spill_count: 0
    .symbol:         _ZN7rocprim17ROCPRIM_400000_NS6detail17trampoline_kernelINS0_13select_configILj256ELj13ELNS0_17block_load_methodE3ELS4_3ELS4_3ELNS0_20block_scan_algorithmE0ELj4294967295EEENS1_25partition_config_selectorILNS1_17partition_subalgoE3EjNS0_10empty_typeEbEEZZNS1_14partition_implILS8_3ELb0ES6_jNS0_17counting_iteratorIjlEEPS9_SE_NS0_5tupleIJPjSE_EEENSF_IJSE_SE_EEES9_SG_JZNS1_25segmented_radix_sort_implINS0_14default_configELb0EPKsPsPKlPlN2at6native12_GLOBAL__N_18offset_tEEE10hipError_tPvRmT1_PNSt15iterator_traitsISY_E10value_typeET2_T3_PNSZ_IS14_E10value_typeET4_jRbjT5_S1A_jjP12ihipStream_tbEUljE_EEESV_SW_SX_S14_S18_S1A_T6_T7_T9_mT8_S1C_bDpT10_ENKUlT_T0_E_clISt17integral_constantIbLb0EES1O_IbLb1EEEEDaS1K_S1L_EUlS1K_E_NS1_11comp_targetILNS1_3genE3ELNS1_11target_archE908ELNS1_3gpuE7ELNS1_3repE0EEENS1_30default_config_static_selectorELNS0_4arch9wavefront6targetE0EEEvSY_.kd
    .uniform_work_group_size: 1
    .uses_dynamic_stack: false
    .vgpr_count:     0
    .vgpr_spill_count: 0
    .wavefront_size: 32
    .workgroup_processor_mode: 1
  - .args:
      - .offset:         0
        .size:           152
        .value_kind:     by_value
    .group_segment_fixed_size: 0
    .kernarg_segment_align: 8
    .kernarg_segment_size: 152
    .language:       OpenCL C
    .language_version:
      - 2
      - 0
    .max_flat_workgroup_size: 256
    .name:           _ZN7rocprim17ROCPRIM_400000_NS6detail17trampoline_kernelINS0_13select_configILj256ELj13ELNS0_17block_load_methodE3ELS4_3ELS4_3ELNS0_20block_scan_algorithmE0ELj4294967295EEENS1_25partition_config_selectorILNS1_17partition_subalgoE3EjNS0_10empty_typeEbEEZZNS1_14partition_implILS8_3ELb0ES6_jNS0_17counting_iteratorIjlEEPS9_SE_NS0_5tupleIJPjSE_EEENSF_IJSE_SE_EEES9_SG_JZNS1_25segmented_radix_sort_implINS0_14default_configELb0EPKsPsPKlPlN2at6native12_GLOBAL__N_18offset_tEEE10hipError_tPvRmT1_PNSt15iterator_traitsISY_E10value_typeET2_T3_PNSZ_IS14_E10value_typeET4_jRbjT5_S1A_jjP12ihipStream_tbEUljE_EEESV_SW_SX_S14_S18_S1A_T6_T7_T9_mT8_S1C_bDpT10_ENKUlT_T0_E_clISt17integral_constantIbLb0EES1O_IbLb1EEEEDaS1K_S1L_EUlS1K_E_NS1_11comp_targetILNS1_3genE2ELNS1_11target_archE906ELNS1_3gpuE6ELNS1_3repE0EEENS1_30default_config_static_selectorELNS0_4arch9wavefront6targetE0EEEvSY_
    .private_segment_fixed_size: 0
    .sgpr_count:     0
    .sgpr_spill_count: 0
    .symbol:         _ZN7rocprim17ROCPRIM_400000_NS6detail17trampoline_kernelINS0_13select_configILj256ELj13ELNS0_17block_load_methodE3ELS4_3ELS4_3ELNS0_20block_scan_algorithmE0ELj4294967295EEENS1_25partition_config_selectorILNS1_17partition_subalgoE3EjNS0_10empty_typeEbEEZZNS1_14partition_implILS8_3ELb0ES6_jNS0_17counting_iteratorIjlEEPS9_SE_NS0_5tupleIJPjSE_EEENSF_IJSE_SE_EEES9_SG_JZNS1_25segmented_radix_sort_implINS0_14default_configELb0EPKsPsPKlPlN2at6native12_GLOBAL__N_18offset_tEEE10hipError_tPvRmT1_PNSt15iterator_traitsISY_E10value_typeET2_T3_PNSZ_IS14_E10value_typeET4_jRbjT5_S1A_jjP12ihipStream_tbEUljE_EEESV_SW_SX_S14_S18_S1A_T6_T7_T9_mT8_S1C_bDpT10_ENKUlT_T0_E_clISt17integral_constantIbLb0EES1O_IbLb1EEEEDaS1K_S1L_EUlS1K_E_NS1_11comp_targetILNS1_3genE2ELNS1_11target_archE906ELNS1_3gpuE6ELNS1_3repE0EEENS1_30default_config_static_selectorELNS0_4arch9wavefront6targetE0EEEvSY_.kd
    .uniform_work_group_size: 1
    .uses_dynamic_stack: false
    .vgpr_count:     0
    .vgpr_spill_count: 0
    .wavefront_size: 32
    .workgroup_processor_mode: 1
  - .args:
      - .offset:         0
        .size:           152
        .value_kind:     by_value
    .group_segment_fixed_size: 13320
    .kernarg_segment_align: 8
    .kernarg_segment_size: 152
    .language:       OpenCL C
    .language_version:
      - 2
      - 0
    .max_flat_workgroup_size: 256
    .name:           _ZN7rocprim17ROCPRIM_400000_NS6detail17trampoline_kernelINS0_13select_configILj256ELj13ELNS0_17block_load_methodE3ELS4_3ELS4_3ELNS0_20block_scan_algorithmE0ELj4294967295EEENS1_25partition_config_selectorILNS1_17partition_subalgoE3EjNS0_10empty_typeEbEEZZNS1_14partition_implILS8_3ELb0ES6_jNS0_17counting_iteratorIjlEEPS9_SE_NS0_5tupleIJPjSE_EEENSF_IJSE_SE_EEES9_SG_JZNS1_25segmented_radix_sort_implINS0_14default_configELb0EPKsPsPKlPlN2at6native12_GLOBAL__N_18offset_tEEE10hipError_tPvRmT1_PNSt15iterator_traitsISY_E10value_typeET2_T3_PNSZ_IS14_E10value_typeET4_jRbjT5_S1A_jjP12ihipStream_tbEUljE_EEESV_SW_SX_S14_S18_S1A_T6_T7_T9_mT8_S1C_bDpT10_ENKUlT_T0_E_clISt17integral_constantIbLb0EES1O_IbLb1EEEEDaS1K_S1L_EUlS1K_E_NS1_11comp_targetILNS1_3genE10ELNS1_11target_archE1200ELNS1_3gpuE4ELNS1_3repE0EEENS1_30default_config_static_selectorELNS0_4arch9wavefront6targetE0EEEvSY_
    .private_segment_fixed_size: 0
    .sgpr_count:     28
    .sgpr_spill_count: 0
    .symbol:         _ZN7rocprim17ROCPRIM_400000_NS6detail17trampoline_kernelINS0_13select_configILj256ELj13ELNS0_17block_load_methodE3ELS4_3ELS4_3ELNS0_20block_scan_algorithmE0ELj4294967295EEENS1_25partition_config_selectorILNS1_17partition_subalgoE3EjNS0_10empty_typeEbEEZZNS1_14partition_implILS8_3ELb0ES6_jNS0_17counting_iteratorIjlEEPS9_SE_NS0_5tupleIJPjSE_EEENSF_IJSE_SE_EEES9_SG_JZNS1_25segmented_radix_sort_implINS0_14default_configELb0EPKsPsPKlPlN2at6native12_GLOBAL__N_18offset_tEEE10hipError_tPvRmT1_PNSt15iterator_traitsISY_E10value_typeET2_T3_PNSZ_IS14_E10value_typeET4_jRbjT5_S1A_jjP12ihipStream_tbEUljE_EEESV_SW_SX_S14_S18_S1A_T6_T7_T9_mT8_S1C_bDpT10_ENKUlT_T0_E_clISt17integral_constantIbLb0EES1O_IbLb1EEEEDaS1K_S1L_EUlS1K_E_NS1_11comp_targetILNS1_3genE10ELNS1_11target_archE1200ELNS1_3gpuE4ELNS1_3repE0EEENS1_30default_config_static_selectorELNS0_4arch9wavefront6targetE0EEEvSY_.kd
    .uniform_work_group_size: 1
    .uses_dynamic_stack: false
    .vgpr_count:     71
    .vgpr_spill_count: 0
    .wavefront_size: 32
    .workgroup_processor_mode: 1
  - .args:
      - .offset:         0
        .size:           152
        .value_kind:     by_value
    .group_segment_fixed_size: 0
    .kernarg_segment_align: 8
    .kernarg_segment_size: 152
    .language:       OpenCL C
    .language_version:
      - 2
      - 0
    .max_flat_workgroup_size: 256
    .name:           _ZN7rocprim17ROCPRIM_400000_NS6detail17trampoline_kernelINS0_13select_configILj256ELj13ELNS0_17block_load_methodE3ELS4_3ELS4_3ELNS0_20block_scan_algorithmE0ELj4294967295EEENS1_25partition_config_selectorILNS1_17partition_subalgoE3EjNS0_10empty_typeEbEEZZNS1_14partition_implILS8_3ELb0ES6_jNS0_17counting_iteratorIjlEEPS9_SE_NS0_5tupleIJPjSE_EEENSF_IJSE_SE_EEES9_SG_JZNS1_25segmented_radix_sort_implINS0_14default_configELb0EPKsPsPKlPlN2at6native12_GLOBAL__N_18offset_tEEE10hipError_tPvRmT1_PNSt15iterator_traitsISY_E10value_typeET2_T3_PNSZ_IS14_E10value_typeET4_jRbjT5_S1A_jjP12ihipStream_tbEUljE_EEESV_SW_SX_S14_S18_S1A_T6_T7_T9_mT8_S1C_bDpT10_ENKUlT_T0_E_clISt17integral_constantIbLb0EES1O_IbLb1EEEEDaS1K_S1L_EUlS1K_E_NS1_11comp_targetILNS1_3genE9ELNS1_11target_archE1100ELNS1_3gpuE3ELNS1_3repE0EEENS1_30default_config_static_selectorELNS0_4arch9wavefront6targetE0EEEvSY_
    .private_segment_fixed_size: 0
    .sgpr_count:     0
    .sgpr_spill_count: 0
    .symbol:         _ZN7rocprim17ROCPRIM_400000_NS6detail17trampoline_kernelINS0_13select_configILj256ELj13ELNS0_17block_load_methodE3ELS4_3ELS4_3ELNS0_20block_scan_algorithmE0ELj4294967295EEENS1_25partition_config_selectorILNS1_17partition_subalgoE3EjNS0_10empty_typeEbEEZZNS1_14partition_implILS8_3ELb0ES6_jNS0_17counting_iteratorIjlEEPS9_SE_NS0_5tupleIJPjSE_EEENSF_IJSE_SE_EEES9_SG_JZNS1_25segmented_radix_sort_implINS0_14default_configELb0EPKsPsPKlPlN2at6native12_GLOBAL__N_18offset_tEEE10hipError_tPvRmT1_PNSt15iterator_traitsISY_E10value_typeET2_T3_PNSZ_IS14_E10value_typeET4_jRbjT5_S1A_jjP12ihipStream_tbEUljE_EEESV_SW_SX_S14_S18_S1A_T6_T7_T9_mT8_S1C_bDpT10_ENKUlT_T0_E_clISt17integral_constantIbLb0EES1O_IbLb1EEEEDaS1K_S1L_EUlS1K_E_NS1_11comp_targetILNS1_3genE9ELNS1_11target_archE1100ELNS1_3gpuE3ELNS1_3repE0EEENS1_30default_config_static_selectorELNS0_4arch9wavefront6targetE0EEEvSY_.kd
    .uniform_work_group_size: 1
    .uses_dynamic_stack: false
    .vgpr_count:     0
    .vgpr_spill_count: 0
    .wavefront_size: 32
    .workgroup_processor_mode: 1
  - .args:
      - .offset:         0
        .size:           152
        .value_kind:     by_value
    .group_segment_fixed_size: 0
    .kernarg_segment_align: 8
    .kernarg_segment_size: 152
    .language:       OpenCL C
    .language_version:
      - 2
      - 0
    .max_flat_workgroup_size: 256
    .name:           _ZN7rocprim17ROCPRIM_400000_NS6detail17trampoline_kernelINS0_13select_configILj256ELj13ELNS0_17block_load_methodE3ELS4_3ELS4_3ELNS0_20block_scan_algorithmE0ELj4294967295EEENS1_25partition_config_selectorILNS1_17partition_subalgoE3EjNS0_10empty_typeEbEEZZNS1_14partition_implILS8_3ELb0ES6_jNS0_17counting_iteratorIjlEEPS9_SE_NS0_5tupleIJPjSE_EEENSF_IJSE_SE_EEES9_SG_JZNS1_25segmented_radix_sort_implINS0_14default_configELb0EPKsPsPKlPlN2at6native12_GLOBAL__N_18offset_tEEE10hipError_tPvRmT1_PNSt15iterator_traitsISY_E10value_typeET2_T3_PNSZ_IS14_E10value_typeET4_jRbjT5_S1A_jjP12ihipStream_tbEUljE_EEESV_SW_SX_S14_S18_S1A_T6_T7_T9_mT8_S1C_bDpT10_ENKUlT_T0_E_clISt17integral_constantIbLb0EES1O_IbLb1EEEEDaS1K_S1L_EUlS1K_E_NS1_11comp_targetILNS1_3genE8ELNS1_11target_archE1030ELNS1_3gpuE2ELNS1_3repE0EEENS1_30default_config_static_selectorELNS0_4arch9wavefront6targetE0EEEvSY_
    .private_segment_fixed_size: 0
    .sgpr_count:     0
    .sgpr_spill_count: 0
    .symbol:         _ZN7rocprim17ROCPRIM_400000_NS6detail17trampoline_kernelINS0_13select_configILj256ELj13ELNS0_17block_load_methodE3ELS4_3ELS4_3ELNS0_20block_scan_algorithmE0ELj4294967295EEENS1_25partition_config_selectorILNS1_17partition_subalgoE3EjNS0_10empty_typeEbEEZZNS1_14partition_implILS8_3ELb0ES6_jNS0_17counting_iteratorIjlEEPS9_SE_NS0_5tupleIJPjSE_EEENSF_IJSE_SE_EEES9_SG_JZNS1_25segmented_radix_sort_implINS0_14default_configELb0EPKsPsPKlPlN2at6native12_GLOBAL__N_18offset_tEEE10hipError_tPvRmT1_PNSt15iterator_traitsISY_E10value_typeET2_T3_PNSZ_IS14_E10value_typeET4_jRbjT5_S1A_jjP12ihipStream_tbEUljE_EEESV_SW_SX_S14_S18_S1A_T6_T7_T9_mT8_S1C_bDpT10_ENKUlT_T0_E_clISt17integral_constantIbLb0EES1O_IbLb1EEEEDaS1K_S1L_EUlS1K_E_NS1_11comp_targetILNS1_3genE8ELNS1_11target_archE1030ELNS1_3gpuE2ELNS1_3repE0EEENS1_30default_config_static_selectorELNS0_4arch9wavefront6targetE0EEEvSY_.kd
    .uniform_work_group_size: 1
    .uses_dynamic_stack: false
    .vgpr_count:     0
    .vgpr_spill_count: 0
    .wavefront_size: 32
    .workgroup_processor_mode: 1
  - .args:
      - .offset:         0
        .size:           96
        .value_kind:     by_value
    .group_segment_fixed_size: 0
    .kernarg_segment_align: 8
    .kernarg_segment_size: 96
    .language:       OpenCL C
    .language_version:
      - 2
      - 0
    .max_flat_workgroup_size: 256
    .name:           _ZN7rocprim17ROCPRIM_400000_NS6detail17trampoline_kernelINS0_14default_configENS1_36segmented_radix_sort_config_selectorIslEEZNS1_25segmented_radix_sort_implIS3_Lb0EPKsPsPKlPlN2at6native12_GLOBAL__N_18offset_tEEE10hipError_tPvRmT1_PNSt15iterator_traitsISK_E10value_typeET2_T3_PNSL_ISQ_E10value_typeET4_jRbjT5_SW_jjP12ihipStream_tbEUlT_E_NS1_11comp_targetILNS1_3genE0ELNS1_11target_archE4294967295ELNS1_3gpuE0ELNS1_3repE0EEENS1_30default_config_static_selectorELNS0_4arch9wavefront6targetE0EEEvSK_
    .private_segment_fixed_size: 0
    .sgpr_count:     0
    .sgpr_spill_count: 0
    .symbol:         _ZN7rocprim17ROCPRIM_400000_NS6detail17trampoline_kernelINS0_14default_configENS1_36segmented_radix_sort_config_selectorIslEEZNS1_25segmented_radix_sort_implIS3_Lb0EPKsPsPKlPlN2at6native12_GLOBAL__N_18offset_tEEE10hipError_tPvRmT1_PNSt15iterator_traitsISK_E10value_typeET2_T3_PNSL_ISQ_E10value_typeET4_jRbjT5_SW_jjP12ihipStream_tbEUlT_E_NS1_11comp_targetILNS1_3genE0ELNS1_11target_archE4294967295ELNS1_3gpuE0ELNS1_3repE0EEENS1_30default_config_static_selectorELNS0_4arch9wavefront6targetE0EEEvSK_.kd
    .uniform_work_group_size: 1
    .uses_dynamic_stack: false
    .vgpr_count:     0
    .vgpr_spill_count: 0
    .wavefront_size: 32
    .workgroup_processor_mode: 1
  - .args:
      - .offset:         0
        .size:           96
        .value_kind:     by_value
    .group_segment_fixed_size: 0
    .kernarg_segment_align: 8
    .kernarg_segment_size: 96
    .language:       OpenCL C
    .language_version:
      - 2
      - 0
    .max_flat_workgroup_size: 256
    .name:           _ZN7rocprim17ROCPRIM_400000_NS6detail17trampoline_kernelINS0_14default_configENS1_36segmented_radix_sort_config_selectorIslEEZNS1_25segmented_radix_sort_implIS3_Lb0EPKsPsPKlPlN2at6native12_GLOBAL__N_18offset_tEEE10hipError_tPvRmT1_PNSt15iterator_traitsISK_E10value_typeET2_T3_PNSL_ISQ_E10value_typeET4_jRbjT5_SW_jjP12ihipStream_tbEUlT_E_NS1_11comp_targetILNS1_3genE5ELNS1_11target_archE942ELNS1_3gpuE9ELNS1_3repE0EEENS1_30default_config_static_selectorELNS0_4arch9wavefront6targetE0EEEvSK_
    .private_segment_fixed_size: 0
    .sgpr_count:     0
    .sgpr_spill_count: 0
    .symbol:         _ZN7rocprim17ROCPRIM_400000_NS6detail17trampoline_kernelINS0_14default_configENS1_36segmented_radix_sort_config_selectorIslEEZNS1_25segmented_radix_sort_implIS3_Lb0EPKsPsPKlPlN2at6native12_GLOBAL__N_18offset_tEEE10hipError_tPvRmT1_PNSt15iterator_traitsISK_E10value_typeET2_T3_PNSL_ISQ_E10value_typeET4_jRbjT5_SW_jjP12ihipStream_tbEUlT_E_NS1_11comp_targetILNS1_3genE5ELNS1_11target_archE942ELNS1_3gpuE9ELNS1_3repE0EEENS1_30default_config_static_selectorELNS0_4arch9wavefront6targetE0EEEvSK_.kd
    .uniform_work_group_size: 1
    .uses_dynamic_stack: false
    .vgpr_count:     0
    .vgpr_spill_count: 0
    .wavefront_size: 32
    .workgroup_processor_mode: 1
  - .args:
      - .offset:         0
        .size:           96
        .value_kind:     by_value
    .group_segment_fixed_size: 0
    .kernarg_segment_align: 8
    .kernarg_segment_size: 96
    .language:       OpenCL C
    .language_version:
      - 2
      - 0
    .max_flat_workgroup_size: 256
    .name:           _ZN7rocprim17ROCPRIM_400000_NS6detail17trampoline_kernelINS0_14default_configENS1_36segmented_radix_sort_config_selectorIslEEZNS1_25segmented_radix_sort_implIS3_Lb0EPKsPsPKlPlN2at6native12_GLOBAL__N_18offset_tEEE10hipError_tPvRmT1_PNSt15iterator_traitsISK_E10value_typeET2_T3_PNSL_ISQ_E10value_typeET4_jRbjT5_SW_jjP12ihipStream_tbEUlT_E_NS1_11comp_targetILNS1_3genE4ELNS1_11target_archE910ELNS1_3gpuE8ELNS1_3repE0EEENS1_30default_config_static_selectorELNS0_4arch9wavefront6targetE0EEEvSK_
    .private_segment_fixed_size: 0
    .sgpr_count:     0
    .sgpr_spill_count: 0
    .symbol:         _ZN7rocprim17ROCPRIM_400000_NS6detail17trampoline_kernelINS0_14default_configENS1_36segmented_radix_sort_config_selectorIslEEZNS1_25segmented_radix_sort_implIS3_Lb0EPKsPsPKlPlN2at6native12_GLOBAL__N_18offset_tEEE10hipError_tPvRmT1_PNSt15iterator_traitsISK_E10value_typeET2_T3_PNSL_ISQ_E10value_typeET4_jRbjT5_SW_jjP12ihipStream_tbEUlT_E_NS1_11comp_targetILNS1_3genE4ELNS1_11target_archE910ELNS1_3gpuE8ELNS1_3repE0EEENS1_30default_config_static_selectorELNS0_4arch9wavefront6targetE0EEEvSK_.kd
    .uniform_work_group_size: 1
    .uses_dynamic_stack: false
    .vgpr_count:     0
    .vgpr_spill_count: 0
    .wavefront_size: 32
    .workgroup_processor_mode: 1
  - .args:
      - .offset:         0
        .size:           96
        .value_kind:     by_value
    .group_segment_fixed_size: 0
    .kernarg_segment_align: 8
    .kernarg_segment_size: 96
    .language:       OpenCL C
    .language_version:
      - 2
      - 0
    .max_flat_workgroup_size: 256
    .name:           _ZN7rocprim17ROCPRIM_400000_NS6detail17trampoline_kernelINS0_14default_configENS1_36segmented_radix_sort_config_selectorIslEEZNS1_25segmented_radix_sort_implIS3_Lb0EPKsPsPKlPlN2at6native12_GLOBAL__N_18offset_tEEE10hipError_tPvRmT1_PNSt15iterator_traitsISK_E10value_typeET2_T3_PNSL_ISQ_E10value_typeET4_jRbjT5_SW_jjP12ihipStream_tbEUlT_E_NS1_11comp_targetILNS1_3genE3ELNS1_11target_archE908ELNS1_3gpuE7ELNS1_3repE0EEENS1_30default_config_static_selectorELNS0_4arch9wavefront6targetE0EEEvSK_
    .private_segment_fixed_size: 0
    .sgpr_count:     0
    .sgpr_spill_count: 0
    .symbol:         _ZN7rocprim17ROCPRIM_400000_NS6detail17trampoline_kernelINS0_14default_configENS1_36segmented_radix_sort_config_selectorIslEEZNS1_25segmented_radix_sort_implIS3_Lb0EPKsPsPKlPlN2at6native12_GLOBAL__N_18offset_tEEE10hipError_tPvRmT1_PNSt15iterator_traitsISK_E10value_typeET2_T3_PNSL_ISQ_E10value_typeET4_jRbjT5_SW_jjP12ihipStream_tbEUlT_E_NS1_11comp_targetILNS1_3genE3ELNS1_11target_archE908ELNS1_3gpuE7ELNS1_3repE0EEENS1_30default_config_static_selectorELNS0_4arch9wavefront6targetE0EEEvSK_.kd
    .uniform_work_group_size: 1
    .uses_dynamic_stack: false
    .vgpr_count:     0
    .vgpr_spill_count: 0
    .wavefront_size: 32
    .workgroup_processor_mode: 1
  - .args:
      - .offset:         0
        .size:           96
        .value_kind:     by_value
    .group_segment_fixed_size: 0
    .kernarg_segment_align: 8
    .kernarg_segment_size: 96
    .language:       OpenCL C
    .language_version:
      - 2
      - 0
    .max_flat_workgroup_size: 256
    .name:           _ZN7rocprim17ROCPRIM_400000_NS6detail17trampoline_kernelINS0_14default_configENS1_36segmented_radix_sort_config_selectorIslEEZNS1_25segmented_radix_sort_implIS3_Lb0EPKsPsPKlPlN2at6native12_GLOBAL__N_18offset_tEEE10hipError_tPvRmT1_PNSt15iterator_traitsISK_E10value_typeET2_T3_PNSL_ISQ_E10value_typeET4_jRbjT5_SW_jjP12ihipStream_tbEUlT_E_NS1_11comp_targetILNS1_3genE2ELNS1_11target_archE906ELNS1_3gpuE6ELNS1_3repE0EEENS1_30default_config_static_selectorELNS0_4arch9wavefront6targetE0EEEvSK_
    .private_segment_fixed_size: 0
    .sgpr_count:     0
    .sgpr_spill_count: 0
    .symbol:         _ZN7rocprim17ROCPRIM_400000_NS6detail17trampoline_kernelINS0_14default_configENS1_36segmented_radix_sort_config_selectorIslEEZNS1_25segmented_radix_sort_implIS3_Lb0EPKsPsPKlPlN2at6native12_GLOBAL__N_18offset_tEEE10hipError_tPvRmT1_PNSt15iterator_traitsISK_E10value_typeET2_T3_PNSL_ISQ_E10value_typeET4_jRbjT5_SW_jjP12ihipStream_tbEUlT_E_NS1_11comp_targetILNS1_3genE2ELNS1_11target_archE906ELNS1_3gpuE6ELNS1_3repE0EEENS1_30default_config_static_selectorELNS0_4arch9wavefront6targetE0EEEvSK_.kd
    .uniform_work_group_size: 1
    .uses_dynamic_stack: false
    .vgpr_count:     0
    .vgpr_spill_count: 0
    .wavefront_size: 32
    .workgroup_processor_mode: 1
  - .args:
      - .offset:         0
        .size:           96
        .value_kind:     by_value
      - .offset:         96
        .size:           4
        .value_kind:     hidden_block_count_x
      - .offset:         100
        .size:           4
        .value_kind:     hidden_block_count_y
      - .offset:         104
        .size:           4
        .value_kind:     hidden_block_count_z
      - .offset:         108
        .size:           2
        .value_kind:     hidden_group_size_x
      - .offset:         110
        .size:           2
        .value_kind:     hidden_group_size_y
      - .offset:         112
        .size:           2
        .value_kind:     hidden_group_size_z
      - .offset:         114
        .size:           2
        .value_kind:     hidden_remainder_x
      - .offset:         116
        .size:           2
        .value_kind:     hidden_remainder_y
      - .offset:         118
        .size:           2
        .value_kind:     hidden_remainder_z
      - .offset:         136
        .size:           8
        .value_kind:     hidden_global_offset_x
      - .offset:         144
        .size:           8
        .value_kind:     hidden_global_offset_y
      - .offset:         152
        .size:           8
        .value_kind:     hidden_global_offset_z
      - .offset:         160
        .size:           2
        .value_kind:     hidden_grid_dims
    .group_segment_fixed_size: 17440
    .kernarg_segment_align: 8
    .kernarg_segment_size: 352
    .language:       OpenCL C
    .language_version:
      - 2
      - 0
    .max_flat_workgroup_size: 256
    .name:           _ZN7rocprim17ROCPRIM_400000_NS6detail17trampoline_kernelINS0_14default_configENS1_36segmented_radix_sort_config_selectorIslEEZNS1_25segmented_radix_sort_implIS3_Lb0EPKsPsPKlPlN2at6native12_GLOBAL__N_18offset_tEEE10hipError_tPvRmT1_PNSt15iterator_traitsISK_E10value_typeET2_T3_PNSL_ISQ_E10value_typeET4_jRbjT5_SW_jjP12ihipStream_tbEUlT_E_NS1_11comp_targetILNS1_3genE10ELNS1_11target_archE1201ELNS1_3gpuE5ELNS1_3repE0EEENS1_30default_config_static_selectorELNS0_4arch9wavefront6targetE0EEEvSK_
    .private_segment_fixed_size: 0
    .sgpr_count:     52
    .sgpr_spill_count: 0
    .symbol:         _ZN7rocprim17ROCPRIM_400000_NS6detail17trampoline_kernelINS0_14default_configENS1_36segmented_radix_sort_config_selectorIslEEZNS1_25segmented_radix_sort_implIS3_Lb0EPKsPsPKlPlN2at6native12_GLOBAL__N_18offset_tEEE10hipError_tPvRmT1_PNSt15iterator_traitsISK_E10value_typeET2_T3_PNSL_ISQ_E10value_typeET4_jRbjT5_SW_jjP12ihipStream_tbEUlT_E_NS1_11comp_targetILNS1_3genE10ELNS1_11target_archE1201ELNS1_3gpuE5ELNS1_3repE0EEENS1_30default_config_static_selectorELNS0_4arch9wavefront6targetE0EEEvSK_.kd
    .uniform_work_group_size: 1
    .uses_dynamic_stack: false
    .vgpr_count:     198
    .vgpr_spill_count: 0
    .wavefront_size: 32
    .workgroup_processor_mode: 1
  - .args:
      - .offset:         0
        .size:           96
        .value_kind:     by_value
    .group_segment_fixed_size: 0
    .kernarg_segment_align: 8
    .kernarg_segment_size: 96
    .language:       OpenCL C
    .language_version:
      - 2
      - 0
    .max_flat_workgroup_size: 128
    .name:           _ZN7rocprim17ROCPRIM_400000_NS6detail17trampoline_kernelINS0_14default_configENS1_36segmented_radix_sort_config_selectorIslEEZNS1_25segmented_radix_sort_implIS3_Lb0EPKsPsPKlPlN2at6native12_GLOBAL__N_18offset_tEEE10hipError_tPvRmT1_PNSt15iterator_traitsISK_E10value_typeET2_T3_PNSL_ISQ_E10value_typeET4_jRbjT5_SW_jjP12ihipStream_tbEUlT_E_NS1_11comp_targetILNS1_3genE10ELNS1_11target_archE1200ELNS1_3gpuE4ELNS1_3repE0EEENS1_30default_config_static_selectorELNS0_4arch9wavefront6targetE0EEEvSK_
    .private_segment_fixed_size: 0
    .sgpr_count:     0
    .sgpr_spill_count: 0
    .symbol:         _ZN7rocprim17ROCPRIM_400000_NS6detail17trampoline_kernelINS0_14default_configENS1_36segmented_radix_sort_config_selectorIslEEZNS1_25segmented_radix_sort_implIS3_Lb0EPKsPsPKlPlN2at6native12_GLOBAL__N_18offset_tEEE10hipError_tPvRmT1_PNSt15iterator_traitsISK_E10value_typeET2_T3_PNSL_ISQ_E10value_typeET4_jRbjT5_SW_jjP12ihipStream_tbEUlT_E_NS1_11comp_targetILNS1_3genE10ELNS1_11target_archE1200ELNS1_3gpuE4ELNS1_3repE0EEENS1_30default_config_static_selectorELNS0_4arch9wavefront6targetE0EEEvSK_.kd
    .uniform_work_group_size: 1
    .uses_dynamic_stack: false
    .vgpr_count:     0
    .vgpr_spill_count: 0
    .wavefront_size: 32
    .workgroup_processor_mode: 1
  - .args:
      - .offset:         0
        .size:           96
        .value_kind:     by_value
    .group_segment_fixed_size: 0
    .kernarg_segment_align: 8
    .kernarg_segment_size: 96
    .language:       OpenCL C
    .language_version:
      - 2
      - 0
    .max_flat_workgroup_size: 256
    .name:           _ZN7rocprim17ROCPRIM_400000_NS6detail17trampoline_kernelINS0_14default_configENS1_36segmented_radix_sort_config_selectorIslEEZNS1_25segmented_radix_sort_implIS3_Lb0EPKsPsPKlPlN2at6native12_GLOBAL__N_18offset_tEEE10hipError_tPvRmT1_PNSt15iterator_traitsISK_E10value_typeET2_T3_PNSL_ISQ_E10value_typeET4_jRbjT5_SW_jjP12ihipStream_tbEUlT_E_NS1_11comp_targetILNS1_3genE9ELNS1_11target_archE1100ELNS1_3gpuE3ELNS1_3repE0EEENS1_30default_config_static_selectorELNS0_4arch9wavefront6targetE0EEEvSK_
    .private_segment_fixed_size: 0
    .sgpr_count:     0
    .sgpr_spill_count: 0
    .symbol:         _ZN7rocprim17ROCPRIM_400000_NS6detail17trampoline_kernelINS0_14default_configENS1_36segmented_radix_sort_config_selectorIslEEZNS1_25segmented_radix_sort_implIS3_Lb0EPKsPsPKlPlN2at6native12_GLOBAL__N_18offset_tEEE10hipError_tPvRmT1_PNSt15iterator_traitsISK_E10value_typeET2_T3_PNSL_ISQ_E10value_typeET4_jRbjT5_SW_jjP12ihipStream_tbEUlT_E_NS1_11comp_targetILNS1_3genE9ELNS1_11target_archE1100ELNS1_3gpuE3ELNS1_3repE0EEENS1_30default_config_static_selectorELNS0_4arch9wavefront6targetE0EEEvSK_.kd
    .uniform_work_group_size: 1
    .uses_dynamic_stack: false
    .vgpr_count:     0
    .vgpr_spill_count: 0
    .wavefront_size: 32
    .workgroup_processor_mode: 1
  - .args:
      - .offset:         0
        .size:           96
        .value_kind:     by_value
    .group_segment_fixed_size: 0
    .kernarg_segment_align: 8
    .kernarg_segment_size: 96
    .language:       OpenCL C
    .language_version:
      - 2
      - 0
    .max_flat_workgroup_size: 256
    .name:           _ZN7rocprim17ROCPRIM_400000_NS6detail17trampoline_kernelINS0_14default_configENS1_36segmented_radix_sort_config_selectorIslEEZNS1_25segmented_radix_sort_implIS3_Lb0EPKsPsPKlPlN2at6native12_GLOBAL__N_18offset_tEEE10hipError_tPvRmT1_PNSt15iterator_traitsISK_E10value_typeET2_T3_PNSL_ISQ_E10value_typeET4_jRbjT5_SW_jjP12ihipStream_tbEUlT_E_NS1_11comp_targetILNS1_3genE8ELNS1_11target_archE1030ELNS1_3gpuE2ELNS1_3repE0EEENS1_30default_config_static_selectorELNS0_4arch9wavefront6targetE0EEEvSK_
    .private_segment_fixed_size: 0
    .sgpr_count:     0
    .sgpr_spill_count: 0
    .symbol:         _ZN7rocprim17ROCPRIM_400000_NS6detail17trampoline_kernelINS0_14default_configENS1_36segmented_radix_sort_config_selectorIslEEZNS1_25segmented_radix_sort_implIS3_Lb0EPKsPsPKlPlN2at6native12_GLOBAL__N_18offset_tEEE10hipError_tPvRmT1_PNSt15iterator_traitsISK_E10value_typeET2_T3_PNSL_ISQ_E10value_typeET4_jRbjT5_SW_jjP12ihipStream_tbEUlT_E_NS1_11comp_targetILNS1_3genE8ELNS1_11target_archE1030ELNS1_3gpuE2ELNS1_3repE0EEENS1_30default_config_static_selectorELNS0_4arch9wavefront6targetE0EEEvSK_.kd
    .uniform_work_group_size: 1
    .uses_dynamic_stack: false
    .vgpr_count:     0
    .vgpr_spill_count: 0
    .wavefront_size: 32
    .workgroup_processor_mode: 1
  - .args:
      - .offset:         0
        .size:           88
        .value_kind:     by_value
    .group_segment_fixed_size: 0
    .kernarg_segment_align: 8
    .kernarg_segment_size: 88
    .language:       OpenCL C
    .language_version:
      - 2
      - 0
    .max_flat_workgroup_size: 256
    .name:           _ZN7rocprim17ROCPRIM_400000_NS6detail17trampoline_kernelINS0_14default_configENS1_36segmented_radix_sort_config_selectorIslEEZNS1_25segmented_radix_sort_implIS3_Lb0EPKsPsPKlPlN2at6native12_GLOBAL__N_18offset_tEEE10hipError_tPvRmT1_PNSt15iterator_traitsISK_E10value_typeET2_T3_PNSL_ISQ_E10value_typeET4_jRbjT5_SW_jjP12ihipStream_tbEUlT_E0_NS1_11comp_targetILNS1_3genE0ELNS1_11target_archE4294967295ELNS1_3gpuE0ELNS1_3repE0EEENS1_60segmented_radix_sort_warp_sort_medium_config_static_selectorELNS0_4arch9wavefront6targetE0EEEvSK_
    .private_segment_fixed_size: 0
    .sgpr_count:     0
    .sgpr_spill_count: 0
    .symbol:         _ZN7rocprim17ROCPRIM_400000_NS6detail17trampoline_kernelINS0_14default_configENS1_36segmented_radix_sort_config_selectorIslEEZNS1_25segmented_radix_sort_implIS3_Lb0EPKsPsPKlPlN2at6native12_GLOBAL__N_18offset_tEEE10hipError_tPvRmT1_PNSt15iterator_traitsISK_E10value_typeET2_T3_PNSL_ISQ_E10value_typeET4_jRbjT5_SW_jjP12ihipStream_tbEUlT_E0_NS1_11comp_targetILNS1_3genE0ELNS1_11target_archE4294967295ELNS1_3gpuE0ELNS1_3repE0EEENS1_60segmented_radix_sort_warp_sort_medium_config_static_selectorELNS0_4arch9wavefront6targetE0EEEvSK_.kd
    .uniform_work_group_size: 1
    .uses_dynamic_stack: false
    .vgpr_count:     0
    .vgpr_spill_count: 0
    .wavefront_size: 32
    .workgroup_processor_mode: 1
  - .args:
      - .offset:         0
        .size:           88
        .value_kind:     by_value
    .group_segment_fixed_size: 0
    .kernarg_segment_align: 8
    .kernarg_segment_size: 88
    .language:       OpenCL C
    .language_version:
      - 2
      - 0
    .max_flat_workgroup_size: 256
    .name:           _ZN7rocprim17ROCPRIM_400000_NS6detail17trampoline_kernelINS0_14default_configENS1_36segmented_radix_sort_config_selectorIslEEZNS1_25segmented_radix_sort_implIS3_Lb0EPKsPsPKlPlN2at6native12_GLOBAL__N_18offset_tEEE10hipError_tPvRmT1_PNSt15iterator_traitsISK_E10value_typeET2_T3_PNSL_ISQ_E10value_typeET4_jRbjT5_SW_jjP12ihipStream_tbEUlT_E0_NS1_11comp_targetILNS1_3genE5ELNS1_11target_archE942ELNS1_3gpuE9ELNS1_3repE0EEENS1_60segmented_radix_sort_warp_sort_medium_config_static_selectorELNS0_4arch9wavefront6targetE0EEEvSK_
    .private_segment_fixed_size: 0
    .sgpr_count:     0
    .sgpr_spill_count: 0
    .symbol:         _ZN7rocprim17ROCPRIM_400000_NS6detail17trampoline_kernelINS0_14default_configENS1_36segmented_radix_sort_config_selectorIslEEZNS1_25segmented_radix_sort_implIS3_Lb0EPKsPsPKlPlN2at6native12_GLOBAL__N_18offset_tEEE10hipError_tPvRmT1_PNSt15iterator_traitsISK_E10value_typeET2_T3_PNSL_ISQ_E10value_typeET4_jRbjT5_SW_jjP12ihipStream_tbEUlT_E0_NS1_11comp_targetILNS1_3genE5ELNS1_11target_archE942ELNS1_3gpuE9ELNS1_3repE0EEENS1_60segmented_radix_sort_warp_sort_medium_config_static_selectorELNS0_4arch9wavefront6targetE0EEEvSK_.kd
    .uniform_work_group_size: 1
    .uses_dynamic_stack: false
    .vgpr_count:     0
    .vgpr_spill_count: 0
    .wavefront_size: 32
    .workgroup_processor_mode: 1
  - .args:
      - .offset:         0
        .size:           88
        .value_kind:     by_value
    .group_segment_fixed_size: 0
    .kernarg_segment_align: 8
    .kernarg_segment_size: 88
    .language:       OpenCL C
    .language_version:
      - 2
      - 0
    .max_flat_workgroup_size: 256
    .name:           _ZN7rocprim17ROCPRIM_400000_NS6detail17trampoline_kernelINS0_14default_configENS1_36segmented_radix_sort_config_selectorIslEEZNS1_25segmented_radix_sort_implIS3_Lb0EPKsPsPKlPlN2at6native12_GLOBAL__N_18offset_tEEE10hipError_tPvRmT1_PNSt15iterator_traitsISK_E10value_typeET2_T3_PNSL_ISQ_E10value_typeET4_jRbjT5_SW_jjP12ihipStream_tbEUlT_E0_NS1_11comp_targetILNS1_3genE4ELNS1_11target_archE910ELNS1_3gpuE8ELNS1_3repE0EEENS1_60segmented_radix_sort_warp_sort_medium_config_static_selectorELNS0_4arch9wavefront6targetE0EEEvSK_
    .private_segment_fixed_size: 0
    .sgpr_count:     0
    .sgpr_spill_count: 0
    .symbol:         _ZN7rocprim17ROCPRIM_400000_NS6detail17trampoline_kernelINS0_14default_configENS1_36segmented_radix_sort_config_selectorIslEEZNS1_25segmented_radix_sort_implIS3_Lb0EPKsPsPKlPlN2at6native12_GLOBAL__N_18offset_tEEE10hipError_tPvRmT1_PNSt15iterator_traitsISK_E10value_typeET2_T3_PNSL_ISQ_E10value_typeET4_jRbjT5_SW_jjP12ihipStream_tbEUlT_E0_NS1_11comp_targetILNS1_3genE4ELNS1_11target_archE910ELNS1_3gpuE8ELNS1_3repE0EEENS1_60segmented_radix_sort_warp_sort_medium_config_static_selectorELNS0_4arch9wavefront6targetE0EEEvSK_.kd
    .uniform_work_group_size: 1
    .uses_dynamic_stack: false
    .vgpr_count:     0
    .vgpr_spill_count: 0
    .wavefront_size: 32
    .workgroup_processor_mode: 1
  - .args:
      - .offset:         0
        .size:           88
        .value_kind:     by_value
    .group_segment_fixed_size: 0
    .kernarg_segment_align: 8
    .kernarg_segment_size: 88
    .language:       OpenCL C
    .language_version:
      - 2
      - 0
    .max_flat_workgroup_size: 256
    .name:           _ZN7rocprim17ROCPRIM_400000_NS6detail17trampoline_kernelINS0_14default_configENS1_36segmented_radix_sort_config_selectorIslEEZNS1_25segmented_radix_sort_implIS3_Lb0EPKsPsPKlPlN2at6native12_GLOBAL__N_18offset_tEEE10hipError_tPvRmT1_PNSt15iterator_traitsISK_E10value_typeET2_T3_PNSL_ISQ_E10value_typeET4_jRbjT5_SW_jjP12ihipStream_tbEUlT_E0_NS1_11comp_targetILNS1_3genE3ELNS1_11target_archE908ELNS1_3gpuE7ELNS1_3repE0EEENS1_60segmented_radix_sort_warp_sort_medium_config_static_selectorELNS0_4arch9wavefront6targetE0EEEvSK_
    .private_segment_fixed_size: 0
    .sgpr_count:     0
    .sgpr_spill_count: 0
    .symbol:         _ZN7rocprim17ROCPRIM_400000_NS6detail17trampoline_kernelINS0_14default_configENS1_36segmented_radix_sort_config_selectorIslEEZNS1_25segmented_radix_sort_implIS3_Lb0EPKsPsPKlPlN2at6native12_GLOBAL__N_18offset_tEEE10hipError_tPvRmT1_PNSt15iterator_traitsISK_E10value_typeET2_T3_PNSL_ISQ_E10value_typeET4_jRbjT5_SW_jjP12ihipStream_tbEUlT_E0_NS1_11comp_targetILNS1_3genE3ELNS1_11target_archE908ELNS1_3gpuE7ELNS1_3repE0EEENS1_60segmented_radix_sort_warp_sort_medium_config_static_selectorELNS0_4arch9wavefront6targetE0EEEvSK_.kd
    .uniform_work_group_size: 1
    .uses_dynamic_stack: false
    .vgpr_count:     0
    .vgpr_spill_count: 0
    .wavefront_size: 32
    .workgroup_processor_mode: 1
  - .args:
      - .offset:         0
        .size:           88
        .value_kind:     by_value
    .group_segment_fixed_size: 0
    .kernarg_segment_align: 8
    .kernarg_segment_size: 88
    .language:       OpenCL C
    .language_version:
      - 2
      - 0
    .max_flat_workgroup_size: 256
    .name:           _ZN7rocprim17ROCPRIM_400000_NS6detail17trampoline_kernelINS0_14default_configENS1_36segmented_radix_sort_config_selectorIslEEZNS1_25segmented_radix_sort_implIS3_Lb0EPKsPsPKlPlN2at6native12_GLOBAL__N_18offset_tEEE10hipError_tPvRmT1_PNSt15iterator_traitsISK_E10value_typeET2_T3_PNSL_ISQ_E10value_typeET4_jRbjT5_SW_jjP12ihipStream_tbEUlT_E0_NS1_11comp_targetILNS1_3genE2ELNS1_11target_archE906ELNS1_3gpuE6ELNS1_3repE0EEENS1_60segmented_radix_sort_warp_sort_medium_config_static_selectorELNS0_4arch9wavefront6targetE0EEEvSK_
    .private_segment_fixed_size: 0
    .sgpr_count:     0
    .sgpr_spill_count: 0
    .symbol:         _ZN7rocprim17ROCPRIM_400000_NS6detail17trampoline_kernelINS0_14default_configENS1_36segmented_radix_sort_config_selectorIslEEZNS1_25segmented_radix_sort_implIS3_Lb0EPKsPsPKlPlN2at6native12_GLOBAL__N_18offset_tEEE10hipError_tPvRmT1_PNSt15iterator_traitsISK_E10value_typeET2_T3_PNSL_ISQ_E10value_typeET4_jRbjT5_SW_jjP12ihipStream_tbEUlT_E0_NS1_11comp_targetILNS1_3genE2ELNS1_11target_archE906ELNS1_3gpuE6ELNS1_3repE0EEENS1_60segmented_radix_sort_warp_sort_medium_config_static_selectorELNS0_4arch9wavefront6targetE0EEEvSK_.kd
    .uniform_work_group_size: 1
    .uses_dynamic_stack: false
    .vgpr_count:     0
    .vgpr_spill_count: 0
    .wavefront_size: 32
    .workgroup_processor_mode: 1
  - .args:
      - .offset:         0
        .size:           88
        .value_kind:     by_value
      - .offset:         88
        .size:           4
        .value_kind:     hidden_block_count_x
      - .offset:         92
        .size:           4
        .value_kind:     hidden_block_count_y
      - .offset:         96
        .size:           4
        .value_kind:     hidden_block_count_z
      - .offset:         100
        .size:           2
        .value_kind:     hidden_group_size_x
      - .offset:         102
        .size:           2
        .value_kind:     hidden_group_size_y
      - .offset:         104
        .size:           2
        .value_kind:     hidden_group_size_z
      - .offset:         106
        .size:           2
        .value_kind:     hidden_remainder_x
      - .offset:         108
        .size:           2
        .value_kind:     hidden_remainder_y
      - .offset:         110
        .size:           2
        .value_kind:     hidden_remainder_z
      - .offset:         128
        .size:           8
        .value_kind:     hidden_global_offset_x
      - .offset:         136
        .size:           8
        .value_kind:     hidden_global_offset_y
      - .offset:         144
        .size:           8
        .value_kind:     hidden_global_offset_z
      - .offset:         152
        .size:           2
        .value_kind:     hidden_grid_dims
    .group_segment_fixed_size: 20480
    .kernarg_segment_align: 8
    .kernarg_segment_size: 344
    .language:       OpenCL C
    .language_version:
      - 2
      - 0
    .max_flat_workgroup_size: 256
    .name:           _ZN7rocprim17ROCPRIM_400000_NS6detail17trampoline_kernelINS0_14default_configENS1_36segmented_radix_sort_config_selectorIslEEZNS1_25segmented_radix_sort_implIS3_Lb0EPKsPsPKlPlN2at6native12_GLOBAL__N_18offset_tEEE10hipError_tPvRmT1_PNSt15iterator_traitsISK_E10value_typeET2_T3_PNSL_ISQ_E10value_typeET4_jRbjT5_SW_jjP12ihipStream_tbEUlT_E0_NS1_11comp_targetILNS1_3genE10ELNS1_11target_archE1201ELNS1_3gpuE5ELNS1_3repE0EEENS1_60segmented_radix_sort_warp_sort_medium_config_static_selectorELNS0_4arch9wavefront6targetE0EEEvSK_
    .private_segment_fixed_size: 0
    .sgpr_count:     46
    .sgpr_spill_count: 0
    .symbol:         _ZN7rocprim17ROCPRIM_400000_NS6detail17trampoline_kernelINS0_14default_configENS1_36segmented_radix_sort_config_selectorIslEEZNS1_25segmented_radix_sort_implIS3_Lb0EPKsPsPKlPlN2at6native12_GLOBAL__N_18offset_tEEE10hipError_tPvRmT1_PNSt15iterator_traitsISK_E10value_typeET2_T3_PNSL_ISQ_E10value_typeET4_jRbjT5_SW_jjP12ihipStream_tbEUlT_E0_NS1_11comp_targetILNS1_3genE10ELNS1_11target_archE1201ELNS1_3gpuE5ELNS1_3repE0EEENS1_60segmented_radix_sort_warp_sort_medium_config_static_selectorELNS0_4arch9wavefront6targetE0EEEvSK_.kd
    .uniform_work_group_size: 1
    .uses_dynamic_stack: false
    .vgpr_count:     81
    .vgpr_spill_count: 0
    .wavefront_size: 32
    .workgroup_processor_mode: 1
  - .args:
      - .offset:         0
        .size:           88
        .value_kind:     by_value
    .group_segment_fixed_size: 0
    .kernarg_segment_align: 8
    .kernarg_segment_size: 88
    .language:       OpenCL C
    .language_version:
      - 2
      - 0
    .max_flat_workgroup_size: 256
    .name:           _ZN7rocprim17ROCPRIM_400000_NS6detail17trampoline_kernelINS0_14default_configENS1_36segmented_radix_sort_config_selectorIslEEZNS1_25segmented_radix_sort_implIS3_Lb0EPKsPsPKlPlN2at6native12_GLOBAL__N_18offset_tEEE10hipError_tPvRmT1_PNSt15iterator_traitsISK_E10value_typeET2_T3_PNSL_ISQ_E10value_typeET4_jRbjT5_SW_jjP12ihipStream_tbEUlT_E0_NS1_11comp_targetILNS1_3genE10ELNS1_11target_archE1200ELNS1_3gpuE4ELNS1_3repE0EEENS1_60segmented_radix_sort_warp_sort_medium_config_static_selectorELNS0_4arch9wavefront6targetE0EEEvSK_
    .private_segment_fixed_size: 0
    .sgpr_count:     0
    .sgpr_spill_count: 0
    .symbol:         _ZN7rocprim17ROCPRIM_400000_NS6detail17trampoline_kernelINS0_14default_configENS1_36segmented_radix_sort_config_selectorIslEEZNS1_25segmented_radix_sort_implIS3_Lb0EPKsPsPKlPlN2at6native12_GLOBAL__N_18offset_tEEE10hipError_tPvRmT1_PNSt15iterator_traitsISK_E10value_typeET2_T3_PNSL_ISQ_E10value_typeET4_jRbjT5_SW_jjP12ihipStream_tbEUlT_E0_NS1_11comp_targetILNS1_3genE10ELNS1_11target_archE1200ELNS1_3gpuE4ELNS1_3repE0EEENS1_60segmented_radix_sort_warp_sort_medium_config_static_selectorELNS0_4arch9wavefront6targetE0EEEvSK_.kd
    .uniform_work_group_size: 1
    .uses_dynamic_stack: false
    .vgpr_count:     0
    .vgpr_spill_count: 0
    .wavefront_size: 32
    .workgroup_processor_mode: 1
  - .args:
      - .offset:         0
        .size:           88
        .value_kind:     by_value
    .group_segment_fixed_size: 0
    .kernarg_segment_align: 8
    .kernarg_segment_size: 88
    .language:       OpenCL C
    .language_version:
      - 2
      - 0
    .max_flat_workgroup_size: 256
    .name:           _ZN7rocprim17ROCPRIM_400000_NS6detail17trampoline_kernelINS0_14default_configENS1_36segmented_radix_sort_config_selectorIslEEZNS1_25segmented_radix_sort_implIS3_Lb0EPKsPsPKlPlN2at6native12_GLOBAL__N_18offset_tEEE10hipError_tPvRmT1_PNSt15iterator_traitsISK_E10value_typeET2_T3_PNSL_ISQ_E10value_typeET4_jRbjT5_SW_jjP12ihipStream_tbEUlT_E0_NS1_11comp_targetILNS1_3genE9ELNS1_11target_archE1100ELNS1_3gpuE3ELNS1_3repE0EEENS1_60segmented_radix_sort_warp_sort_medium_config_static_selectorELNS0_4arch9wavefront6targetE0EEEvSK_
    .private_segment_fixed_size: 0
    .sgpr_count:     0
    .sgpr_spill_count: 0
    .symbol:         _ZN7rocprim17ROCPRIM_400000_NS6detail17trampoline_kernelINS0_14default_configENS1_36segmented_radix_sort_config_selectorIslEEZNS1_25segmented_radix_sort_implIS3_Lb0EPKsPsPKlPlN2at6native12_GLOBAL__N_18offset_tEEE10hipError_tPvRmT1_PNSt15iterator_traitsISK_E10value_typeET2_T3_PNSL_ISQ_E10value_typeET4_jRbjT5_SW_jjP12ihipStream_tbEUlT_E0_NS1_11comp_targetILNS1_3genE9ELNS1_11target_archE1100ELNS1_3gpuE3ELNS1_3repE0EEENS1_60segmented_radix_sort_warp_sort_medium_config_static_selectorELNS0_4arch9wavefront6targetE0EEEvSK_.kd
    .uniform_work_group_size: 1
    .uses_dynamic_stack: false
    .vgpr_count:     0
    .vgpr_spill_count: 0
    .wavefront_size: 32
    .workgroup_processor_mode: 1
  - .args:
      - .offset:         0
        .size:           88
        .value_kind:     by_value
    .group_segment_fixed_size: 0
    .kernarg_segment_align: 8
    .kernarg_segment_size: 88
    .language:       OpenCL C
    .language_version:
      - 2
      - 0
    .max_flat_workgroup_size: 256
    .name:           _ZN7rocprim17ROCPRIM_400000_NS6detail17trampoline_kernelINS0_14default_configENS1_36segmented_radix_sort_config_selectorIslEEZNS1_25segmented_radix_sort_implIS3_Lb0EPKsPsPKlPlN2at6native12_GLOBAL__N_18offset_tEEE10hipError_tPvRmT1_PNSt15iterator_traitsISK_E10value_typeET2_T3_PNSL_ISQ_E10value_typeET4_jRbjT5_SW_jjP12ihipStream_tbEUlT_E0_NS1_11comp_targetILNS1_3genE8ELNS1_11target_archE1030ELNS1_3gpuE2ELNS1_3repE0EEENS1_60segmented_radix_sort_warp_sort_medium_config_static_selectorELNS0_4arch9wavefront6targetE0EEEvSK_
    .private_segment_fixed_size: 0
    .sgpr_count:     0
    .sgpr_spill_count: 0
    .symbol:         _ZN7rocprim17ROCPRIM_400000_NS6detail17trampoline_kernelINS0_14default_configENS1_36segmented_radix_sort_config_selectorIslEEZNS1_25segmented_radix_sort_implIS3_Lb0EPKsPsPKlPlN2at6native12_GLOBAL__N_18offset_tEEE10hipError_tPvRmT1_PNSt15iterator_traitsISK_E10value_typeET2_T3_PNSL_ISQ_E10value_typeET4_jRbjT5_SW_jjP12ihipStream_tbEUlT_E0_NS1_11comp_targetILNS1_3genE8ELNS1_11target_archE1030ELNS1_3gpuE2ELNS1_3repE0EEENS1_60segmented_radix_sort_warp_sort_medium_config_static_selectorELNS0_4arch9wavefront6targetE0EEEvSK_.kd
    .uniform_work_group_size: 1
    .uses_dynamic_stack: false
    .vgpr_count:     0
    .vgpr_spill_count: 0
    .wavefront_size: 32
    .workgroup_processor_mode: 1
  - .args:
      - .offset:         0
        .size:           88
        .value_kind:     by_value
    .group_segment_fixed_size: 0
    .kernarg_segment_align: 8
    .kernarg_segment_size: 88
    .language:       OpenCL C
    .language_version:
      - 2
      - 0
    .max_flat_workgroup_size: 256
    .name:           _ZN7rocprim17ROCPRIM_400000_NS6detail17trampoline_kernelINS0_14default_configENS1_36segmented_radix_sort_config_selectorIslEEZNS1_25segmented_radix_sort_implIS3_Lb0EPKsPsPKlPlN2at6native12_GLOBAL__N_18offset_tEEE10hipError_tPvRmT1_PNSt15iterator_traitsISK_E10value_typeET2_T3_PNSL_ISQ_E10value_typeET4_jRbjT5_SW_jjP12ihipStream_tbEUlT_E1_NS1_11comp_targetILNS1_3genE0ELNS1_11target_archE4294967295ELNS1_3gpuE0ELNS1_3repE0EEENS1_59segmented_radix_sort_warp_sort_small_config_static_selectorELNS0_4arch9wavefront6targetE0EEEvSK_
    .private_segment_fixed_size: 0
    .sgpr_count:     0
    .sgpr_spill_count: 0
    .symbol:         _ZN7rocprim17ROCPRIM_400000_NS6detail17trampoline_kernelINS0_14default_configENS1_36segmented_radix_sort_config_selectorIslEEZNS1_25segmented_radix_sort_implIS3_Lb0EPKsPsPKlPlN2at6native12_GLOBAL__N_18offset_tEEE10hipError_tPvRmT1_PNSt15iterator_traitsISK_E10value_typeET2_T3_PNSL_ISQ_E10value_typeET4_jRbjT5_SW_jjP12ihipStream_tbEUlT_E1_NS1_11comp_targetILNS1_3genE0ELNS1_11target_archE4294967295ELNS1_3gpuE0ELNS1_3repE0EEENS1_59segmented_radix_sort_warp_sort_small_config_static_selectorELNS0_4arch9wavefront6targetE0EEEvSK_.kd
    .uniform_work_group_size: 1
    .uses_dynamic_stack: false
    .vgpr_count:     0
    .vgpr_spill_count: 0
    .wavefront_size: 32
    .workgroup_processor_mode: 1
  - .args:
      - .offset:         0
        .size:           88
        .value_kind:     by_value
    .group_segment_fixed_size: 0
    .kernarg_segment_align: 8
    .kernarg_segment_size: 88
    .language:       OpenCL C
    .language_version:
      - 2
      - 0
    .max_flat_workgroup_size: 256
    .name:           _ZN7rocprim17ROCPRIM_400000_NS6detail17trampoline_kernelINS0_14default_configENS1_36segmented_radix_sort_config_selectorIslEEZNS1_25segmented_radix_sort_implIS3_Lb0EPKsPsPKlPlN2at6native12_GLOBAL__N_18offset_tEEE10hipError_tPvRmT1_PNSt15iterator_traitsISK_E10value_typeET2_T3_PNSL_ISQ_E10value_typeET4_jRbjT5_SW_jjP12ihipStream_tbEUlT_E1_NS1_11comp_targetILNS1_3genE5ELNS1_11target_archE942ELNS1_3gpuE9ELNS1_3repE0EEENS1_59segmented_radix_sort_warp_sort_small_config_static_selectorELNS0_4arch9wavefront6targetE0EEEvSK_
    .private_segment_fixed_size: 0
    .sgpr_count:     0
    .sgpr_spill_count: 0
    .symbol:         _ZN7rocprim17ROCPRIM_400000_NS6detail17trampoline_kernelINS0_14default_configENS1_36segmented_radix_sort_config_selectorIslEEZNS1_25segmented_radix_sort_implIS3_Lb0EPKsPsPKlPlN2at6native12_GLOBAL__N_18offset_tEEE10hipError_tPvRmT1_PNSt15iterator_traitsISK_E10value_typeET2_T3_PNSL_ISQ_E10value_typeET4_jRbjT5_SW_jjP12ihipStream_tbEUlT_E1_NS1_11comp_targetILNS1_3genE5ELNS1_11target_archE942ELNS1_3gpuE9ELNS1_3repE0EEENS1_59segmented_radix_sort_warp_sort_small_config_static_selectorELNS0_4arch9wavefront6targetE0EEEvSK_.kd
    .uniform_work_group_size: 1
    .uses_dynamic_stack: false
    .vgpr_count:     0
    .vgpr_spill_count: 0
    .wavefront_size: 32
    .workgroup_processor_mode: 1
  - .args:
      - .offset:         0
        .size:           88
        .value_kind:     by_value
    .group_segment_fixed_size: 0
    .kernarg_segment_align: 8
    .kernarg_segment_size: 88
    .language:       OpenCL C
    .language_version:
      - 2
      - 0
    .max_flat_workgroup_size: 256
    .name:           _ZN7rocprim17ROCPRIM_400000_NS6detail17trampoline_kernelINS0_14default_configENS1_36segmented_radix_sort_config_selectorIslEEZNS1_25segmented_radix_sort_implIS3_Lb0EPKsPsPKlPlN2at6native12_GLOBAL__N_18offset_tEEE10hipError_tPvRmT1_PNSt15iterator_traitsISK_E10value_typeET2_T3_PNSL_ISQ_E10value_typeET4_jRbjT5_SW_jjP12ihipStream_tbEUlT_E1_NS1_11comp_targetILNS1_3genE4ELNS1_11target_archE910ELNS1_3gpuE8ELNS1_3repE0EEENS1_59segmented_radix_sort_warp_sort_small_config_static_selectorELNS0_4arch9wavefront6targetE0EEEvSK_
    .private_segment_fixed_size: 0
    .sgpr_count:     0
    .sgpr_spill_count: 0
    .symbol:         _ZN7rocprim17ROCPRIM_400000_NS6detail17trampoline_kernelINS0_14default_configENS1_36segmented_radix_sort_config_selectorIslEEZNS1_25segmented_radix_sort_implIS3_Lb0EPKsPsPKlPlN2at6native12_GLOBAL__N_18offset_tEEE10hipError_tPvRmT1_PNSt15iterator_traitsISK_E10value_typeET2_T3_PNSL_ISQ_E10value_typeET4_jRbjT5_SW_jjP12ihipStream_tbEUlT_E1_NS1_11comp_targetILNS1_3genE4ELNS1_11target_archE910ELNS1_3gpuE8ELNS1_3repE0EEENS1_59segmented_radix_sort_warp_sort_small_config_static_selectorELNS0_4arch9wavefront6targetE0EEEvSK_.kd
    .uniform_work_group_size: 1
    .uses_dynamic_stack: false
    .vgpr_count:     0
    .vgpr_spill_count: 0
    .wavefront_size: 32
    .workgroup_processor_mode: 1
  - .args:
      - .offset:         0
        .size:           88
        .value_kind:     by_value
    .group_segment_fixed_size: 0
    .kernarg_segment_align: 8
    .kernarg_segment_size: 88
    .language:       OpenCL C
    .language_version:
      - 2
      - 0
    .max_flat_workgroup_size: 256
    .name:           _ZN7rocprim17ROCPRIM_400000_NS6detail17trampoline_kernelINS0_14default_configENS1_36segmented_radix_sort_config_selectorIslEEZNS1_25segmented_radix_sort_implIS3_Lb0EPKsPsPKlPlN2at6native12_GLOBAL__N_18offset_tEEE10hipError_tPvRmT1_PNSt15iterator_traitsISK_E10value_typeET2_T3_PNSL_ISQ_E10value_typeET4_jRbjT5_SW_jjP12ihipStream_tbEUlT_E1_NS1_11comp_targetILNS1_3genE3ELNS1_11target_archE908ELNS1_3gpuE7ELNS1_3repE0EEENS1_59segmented_radix_sort_warp_sort_small_config_static_selectorELNS0_4arch9wavefront6targetE0EEEvSK_
    .private_segment_fixed_size: 0
    .sgpr_count:     0
    .sgpr_spill_count: 0
    .symbol:         _ZN7rocprim17ROCPRIM_400000_NS6detail17trampoline_kernelINS0_14default_configENS1_36segmented_radix_sort_config_selectorIslEEZNS1_25segmented_radix_sort_implIS3_Lb0EPKsPsPKlPlN2at6native12_GLOBAL__N_18offset_tEEE10hipError_tPvRmT1_PNSt15iterator_traitsISK_E10value_typeET2_T3_PNSL_ISQ_E10value_typeET4_jRbjT5_SW_jjP12ihipStream_tbEUlT_E1_NS1_11comp_targetILNS1_3genE3ELNS1_11target_archE908ELNS1_3gpuE7ELNS1_3repE0EEENS1_59segmented_radix_sort_warp_sort_small_config_static_selectorELNS0_4arch9wavefront6targetE0EEEvSK_.kd
    .uniform_work_group_size: 1
    .uses_dynamic_stack: false
    .vgpr_count:     0
    .vgpr_spill_count: 0
    .wavefront_size: 32
    .workgroup_processor_mode: 1
  - .args:
      - .offset:         0
        .size:           88
        .value_kind:     by_value
    .group_segment_fixed_size: 0
    .kernarg_segment_align: 8
    .kernarg_segment_size: 88
    .language:       OpenCL C
    .language_version:
      - 2
      - 0
    .max_flat_workgroup_size: 256
    .name:           _ZN7rocprim17ROCPRIM_400000_NS6detail17trampoline_kernelINS0_14default_configENS1_36segmented_radix_sort_config_selectorIslEEZNS1_25segmented_radix_sort_implIS3_Lb0EPKsPsPKlPlN2at6native12_GLOBAL__N_18offset_tEEE10hipError_tPvRmT1_PNSt15iterator_traitsISK_E10value_typeET2_T3_PNSL_ISQ_E10value_typeET4_jRbjT5_SW_jjP12ihipStream_tbEUlT_E1_NS1_11comp_targetILNS1_3genE2ELNS1_11target_archE906ELNS1_3gpuE6ELNS1_3repE0EEENS1_59segmented_radix_sort_warp_sort_small_config_static_selectorELNS0_4arch9wavefront6targetE0EEEvSK_
    .private_segment_fixed_size: 0
    .sgpr_count:     0
    .sgpr_spill_count: 0
    .symbol:         _ZN7rocprim17ROCPRIM_400000_NS6detail17trampoline_kernelINS0_14default_configENS1_36segmented_radix_sort_config_selectorIslEEZNS1_25segmented_radix_sort_implIS3_Lb0EPKsPsPKlPlN2at6native12_GLOBAL__N_18offset_tEEE10hipError_tPvRmT1_PNSt15iterator_traitsISK_E10value_typeET2_T3_PNSL_ISQ_E10value_typeET4_jRbjT5_SW_jjP12ihipStream_tbEUlT_E1_NS1_11comp_targetILNS1_3genE2ELNS1_11target_archE906ELNS1_3gpuE6ELNS1_3repE0EEENS1_59segmented_radix_sort_warp_sort_small_config_static_selectorELNS0_4arch9wavefront6targetE0EEEvSK_.kd
    .uniform_work_group_size: 1
    .uses_dynamic_stack: false
    .vgpr_count:     0
    .vgpr_spill_count: 0
    .wavefront_size: 32
    .workgroup_processor_mode: 1
  - .args:
      - .offset:         0
        .size:           88
        .value_kind:     by_value
      - .offset:         88
        .size:           4
        .value_kind:     hidden_block_count_x
      - .offset:         92
        .size:           4
        .value_kind:     hidden_block_count_y
      - .offset:         96
        .size:           4
        .value_kind:     hidden_block_count_z
      - .offset:         100
        .size:           2
        .value_kind:     hidden_group_size_x
      - .offset:         102
        .size:           2
        .value_kind:     hidden_group_size_y
      - .offset:         104
        .size:           2
        .value_kind:     hidden_group_size_z
      - .offset:         106
        .size:           2
        .value_kind:     hidden_remainder_x
      - .offset:         108
        .size:           2
        .value_kind:     hidden_remainder_y
      - .offset:         110
        .size:           2
        .value_kind:     hidden_remainder_z
      - .offset:         128
        .size:           8
        .value_kind:     hidden_global_offset_x
      - .offset:         136
        .size:           8
        .value_kind:     hidden_global_offset_y
      - .offset:         144
        .size:           8
        .value_kind:     hidden_global_offset_z
      - .offset:         152
        .size:           2
        .value_kind:     hidden_grid_dims
    .group_segment_fixed_size: 10240
    .kernarg_segment_align: 8
    .kernarg_segment_size: 344
    .language:       OpenCL C
    .language_version:
      - 2
      - 0
    .max_flat_workgroup_size: 256
    .name:           _ZN7rocprim17ROCPRIM_400000_NS6detail17trampoline_kernelINS0_14default_configENS1_36segmented_radix_sort_config_selectorIslEEZNS1_25segmented_radix_sort_implIS3_Lb0EPKsPsPKlPlN2at6native12_GLOBAL__N_18offset_tEEE10hipError_tPvRmT1_PNSt15iterator_traitsISK_E10value_typeET2_T3_PNSL_ISQ_E10value_typeET4_jRbjT5_SW_jjP12ihipStream_tbEUlT_E1_NS1_11comp_targetILNS1_3genE10ELNS1_11target_archE1201ELNS1_3gpuE5ELNS1_3repE0EEENS1_59segmented_radix_sort_warp_sort_small_config_static_selectorELNS0_4arch9wavefront6targetE0EEEvSK_
    .private_segment_fixed_size: 0
    .sgpr_count:     35
    .sgpr_spill_count: 0
    .symbol:         _ZN7rocprim17ROCPRIM_400000_NS6detail17trampoline_kernelINS0_14default_configENS1_36segmented_radix_sort_config_selectorIslEEZNS1_25segmented_radix_sort_implIS3_Lb0EPKsPsPKlPlN2at6native12_GLOBAL__N_18offset_tEEE10hipError_tPvRmT1_PNSt15iterator_traitsISK_E10value_typeET2_T3_PNSL_ISQ_E10value_typeET4_jRbjT5_SW_jjP12ihipStream_tbEUlT_E1_NS1_11comp_targetILNS1_3genE10ELNS1_11target_archE1201ELNS1_3gpuE5ELNS1_3repE0EEENS1_59segmented_radix_sort_warp_sort_small_config_static_selectorELNS0_4arch9wavefront6targetE0EEEvSK_.kd
    .uniform_work_group_size: 1
    .uses_dynamic_stack: false
    .vgpr_count:     56
    .vgpr_spill_count: 0
    .wavefront_size: 32
    .workgroup_processor_mode: 1
  - .args:
      - .offset:         0
        .size:           88
        .value_kind:     by_value
    .group_segment_fixed_size: 0
    .kernarg_segment_align: 8
    .kernarg_segment_size: 88
    .language:       OpenCL C
    .language_version:
      - 2
      - 0
    .max_flat_workgroup_size: 256
    .name:           _ZN7rocprim17ROCPRIM_400000_NS6detail17trampoline_kernelINS0_14default_configENS1_36segmented_radix_sort_config_selectorIslEEZNS1_25segmented_radix_sort_implIS3_Lb0EPKsPsPKlPlN2at6native12_GLOBAL__N_18offset_tEEE10hipError_tPvRmT1_PNSt15iterator_traitsISK_E10value_typeET2_T3_PNSL_ISQ_E10value_typeET4_jRbjT5_SW_jjP12ihipStream_tbEUlT_E1_NS1_11comp_targetILNS1_3genE10ELNS1_11target_archE1200ELNS1_3gpuE4ELNS1_3repE0EEENS1_59segmented_radix_sort_warp_sort_small_config_static_selectorELNS0_4arch9wavefront6targetE0EEEvSK_
    .private_segment_fixed_size: 0
    .sgpr_count:     0
    .sgpr_spill_count: 0
    .symbol:         _ZN7rocprim17ROCPRIM_400000_NS6detail17trampoline_kernelINS0_14default_configENS1_36segmented_radix_sort_config_selectorIslEEZNS1_25segmented_radix_sort_implIS3_Lb0EPKsPsPKlPlN2at6native12_GLOBAL__N_18offset_tEEE10hipError_tPvRmT1_PNSt15iterator_traitsISK_E10value_typeET2_T3_PNSL_ISQ_E10value_typeET4_jRbjT5_SW_jjP12ihipStream_tbEUlT_E1_NS1_11comp_targetILNS1_3genE10ELNS1_11target_archE1200ELNS1_3gpuE4ELNS1_3repE0EEENS1_59segmented_radix_sort_warp_sort_small_config_static_selectorELNS0_4arch9wavefront6targetE0EEEvSK_.kd
    .uniform_work_group_size: 1
    .uses_dynamic_stack: false
    .vgpr_count:     0
    .vgpr_spill_count: 0
    .wavefront_size: 32
    .workgroup_processor_mode: 1
  - .args:
      - .offset:         0
        .size:           88
        .value_kind:     by_value
    .group_segment_fixed_size: 0
    .kernarg_segment_align: 8
    .kernarg_segment_size: 88
    .language:       OpenCL C
    .language_version:
      - 2
      - 0
    .max_flat_workgroup_size: 256
    .name:           _ZN7rocprim17ROCPRIM_400000_NS6detail17trampoline_kernelINS0_14default_configENS1_36segmented_radix_sort_config_selectorIslEEZNS1_25segmented_radix_sort_implIS3_Lb0EPKsPsPKlPlN2at6native12_GLOBAL__N_18offset_tEEE10hipError_tPvRmT1_PNSt15iterator_traitsISK_E10value_typeET2_T3_PNSL_ISQ_E10value_typeET4_jRbjT5_SW_jjP12ihipStream_tbEUlT_E1_NS1_11comp_targetILNS1_3genE9ELNS1_11target_archE1100ELNS1_3gpuE3ELNS1_3repE0EEENS1_59segmented_radix_sort_warp_sort_small_config_static_selectorELNS0_4arch9wavefront6targetE0EEEvSK_
    .private_segment_fixed_size: 0
    .sgpr_count:     0
    .sgpr_spill_count: 0
    .symbol:         _ZN7rocprim17ROCPRIM_400000_NS6detail17trampoline_kernelINS0_14default_configENS1_36segmented_radix_sort_config_selectorIslEEZNS1_25segmented_radix_sort_implIS3_Lb0EPKsPsPKlPlN2at6native12_GLOBAL__N_18offset_tEEE10hipError_tPvRmT1_PNSt15iterator_traitsISK_E10value_typeET2_T3_PNSL_ISQ_E10value_typeET4_jRbjT5_SW_jjP12ihipStream_tbEUlT_E1_NS1_11comp_targetILNS1_3genE9ELNS1_11target_archE1100ELNS1_3gpuE3ELNS1_3repE0EEENS1_59segmented_radix_sort_warp_sort_small_config_static_selectorELNS0_4arch9wavefront6targetE0EEEvSK_.kd
    .uniform_work_group_size: 1
    .uses_dynamic_stack: false
    .vgpr_count:     0
    .vgpr_spill_count: 0
    .wavefront_size: 32
    .workgroup_processor_mode: 1
  - .args:
      - .offset:         0
        .size:           88
        .value_kind:     by_value
    .group_segment_fixed_size: 0
    .kernarg_segment_align: 8
    .kernarg_segment_size: 88
    .language:       OpenCL C
    .language_version:
      - 2
      - 0
    .max_flat_workgroup_size: 256
    .name:           _ZN7rocprim17ROCPRIM_400000_NS6detail17trampoline_kernelINS0_14default_configENS1_36segmented_radix_sort_config_selectorIslEEZNS1_25segmented_radix_sort_implIS3_Lb0EPKsPsPKlPlN2at6native12_GLOBAL__N_18offset_tEEE10hipError_tPvRmT1_PNSt15iterator_traitsISK_E10value_typeET2_T3_PNSL_ISQ_E10value_typeET4_jRbjT5_SW_jjP12ihipStream_tbEUlT_E1_NS1_11comp_targetILNS1_3genE8ELNS1_11target_archE1030ELNS1_3gpuE2ELNS1_3repE0EEENS1_59segmented_radix_sort_warp_sort_small_config_static_selectorELNS0_4arch9wavefront6targetE0EEEvSK_
    .private_segment_fixed_size: 0
    .sgpr_count:     0
    .sgpr_spill_count: 0
    .symbol:         _ZN7rocprim17ROCPRIM_400000_NS6detail17trampoline_kernelINS0_14default_configENS1_36segmented_radix_sort_config_selectorIslEEZNS1_25segmented_radix_sort_implIS3_Lb0EPKsPsPKlPlN2at6native12_GLOBAL__N_18offset_tEEE10hipError_tPvRmT1_PNSt15iterator_traitsISK_E10value_typeET2_T3_PNSL_ISQ_E10value_typeET4_jRbjT5_SW_jjP12ihipStream_tbEUlT_E1_NS1_11comp_targetILNS1_3genE8ELNS1_11target_archE1030ELNS1_3gpuE2ELNS1_3repE0EEENS1_59segmented_radix_sort_warp_sort_small_config_static_selectorELNS0_4arch9wavefront6targetE0EEEvSK_.kd
    .uniform_work_group_size: 1
    .uses_dynamic_stack: false
    .vgpr_count:     0
    .vgpr_spill_count: 0
    .wavefront_size: 32
    .workgroup_processor_mode: 1
  - .args:
      - .offset:         0
        .size:           80
        .value_kind:     by_value
    .group_segment_fixed_size: 0
    .kernarg_segment_align: 8
    .kernarg_segment_size: 80
    .language:       OpenCL C
    .language_version:
      - 2
      - 0
    .max_flat_workgroup_size: 256
    .name:           _ZN7rocprim17ROCPRIM_400000_NS6detail17trampoline_kernelINS0_14default_configENS1_36segmented_radix_sort_config_selectorIslEEZNS1_25segmented_radix_sort_implIS3_Lb0EPKsPsPKlPlN2at6native12_GLOBAL__N_18offset_tEEE10hipError_tPvRmT1_PNSt15iterator_traitsISK_E10value_typeET2_T3_PNSL_ISQ_E10value_typeET4_jRbjT5_SW_jjP12ihipStream_tbEUlT_E2_NS1_11comp_targetILNS1_3genE0ELNS1_11target_archE4294967295ELNS1_3gpuE0ELNS1_3repE0EEENS1_30default_config_static_selectorELNS0_4arch9wavefront6targetE0EEEvSK_
    .private_segment_fixed_size: 0
    .sgpr_count:     0
    .sgpr_spill_count: 0
    .symbol:         _ZN7rocprim17ROCPRIM_400000_NS6detail17trampoline_kernelINS0_14default_configENS1_36segmented_radix_sort_config_selectorIslEEZNS1_25segmented_radix_sort_implIS3_Lb0EPKsPsPKlPlN2at6native12_GLOBAL__N_18offset_tEEE10hipError_tPvRmT1_PNSt15iterator_traitsISK_E10value_typeET2_T3_PNSL_ISQ_E10value_typeET4_jRbjT5_SW_jjP12ihipStream_tbEUlT_E2_NS1_11comp_targetILNS1_3genE0ELNS1_11target_archE4294967295ELNS1_3gpuE0ELNS1_3repE0EEENS1_30default_config_static_selectorELNS0_4arch9wavefront6targetE0EEEvSK_.kd
    .uniform_work_group_size: 1
    .uses_dynamic_stack: false
    .vgpr_count:     0
    .vgpr_spill_count: 0
    .wavefront_size: 32
    .workgroup_processor_mode: 1
  - .args:
      - .offset:         0
        .size:           80
        .value_kind:     by_value
    .group_segment_fixed_size: 0
    .kernarg_segment_align: 8
    .kernarg_segment_size: 80
    .language:       OpenCL C
    .language_version:
      - 2
      - 0
    .max_flat_workgroup_size: 256
    .name:           _ZN7rocprim17ROCPRIM_400000_NS6detail17trampoline_kernelINS0_14default_configENS1_36segmented_radix_sort_config_selectorIslEEZNS1_25segmented_radix_sort_implIS3_Lb0EPKsPsPKlPlN2at6native12_GLOBAL__N_18offset_tEEE10hipError_tPvRmT1_PNSt15iterator_traitsISK_E10value_typeET2_T3_PNSL_ISQ_E10value_typeET4_jRbjT5_SW_jjP12ihipStream_tbEUlT_E2_NS1_11comp_targetILNS1_3genE5ELNS1_11target_archE942ELNS1_3gpuE9ELNS1_3repE0EEENS1_30default_config_static_selectorELNS0_4arch9wavefront6targetE0EEEvSK_
    .private_segment_fixed_size: 0
    .sgpr_count:     0
    .sgpr_spill_count: 0
    .symbol:         _ZN7rocprim17ROCPRIM_400000_NS6detail17trampoline_kernelINS0_14default_configENS1_36segmented_radix_sort_config_selectorIslEEZNS1_25segmented_radix_sort_implIS3_Lb0EPKsPsPKlPlN2at6native12_GLOBAL__N_18offset_tEEE10hipError_tPvRmT1_PNSt15iterator_traitsISK_E10value_typeET2_T3_PNSL_ISQ_E10value_typeET4_jRbjT5_SW_jjP12ihipStream_tbEUlT_E2_NS1_11comp_targetILNS1_3genE5ELNS1_11target_archE942ELNS1_3gpuE9ELNS1_3repE0EEENS1_30default_config_static_selectorELNS0_4arch9wavefront6targetE0EEEvSK_.kd
    .uniform_work_group_size: 1
    .uses_dynamic_stack: false
    .vgpr_count:     0
    .vgpr_spill_count: 0
    .wavefront_size: 32
    .workgroup_processor_mode: 1
  - .args:
      - .offset:         0
        .size:           80
        .value_kind:     by_value
    .group_segment_fixed_size: 0
    .kernarg_segment_align: 8
    .kernarg_segment_size: 80
    .language:       OpenCL C
    .language_version:
      - 2
      - 0
    .max_flat_workgroup_size: 256
    .name:           _ZN7rocprim17ROCPRIM_400000_NS6detail17trampoline_kernelINS0_14default_configENS1_36segmented_radix_sort_config_selectorIslEEZNS1_25segmented_radix_sort_implIS3_Lb0EPKsPsPKlPlN2at6native12_GLOBAL__N_18offset_tEEE10hipError_tPvRmT1_PNSt15iterator_traitsISK_E10value_typeET2_T3_PNSL_ISQ_E10value_typeET4_jRbjT5_SW_jjP12ihipStream_tbEUlT_E2_NS1_11comp_targetILNS1_3genE4ELNS1_11target_archE910ELNS1_3gpuE8ELNS1_3repE0EEENS1_30default_config_static_selectorELNS0_4arch9wavefront6targetE0EEEvSK_
    .private_segment_fixed_size: 0
    .sgpr_count:     0
    .sgpr_spill_count: 0
    .symbol:         _ZN7rocprim17ROCPRIM_400000_NS6detail17trampoline_kernelINS0_14default_configENS1_36segmented_radix_sort_config_selectorIslEEZNS1_25segmented_radix_sort_implIS3_Lb0EPKsPsPKlPlN2at6native12_GLOBAL__N_18offset_tEEE10hipError_tPvRmT1_PNSt15iterator_traitsISK_E10value_typeET2_T3_PNSL_ISQ_E10value_typeET4_jRbjT5_SW_jjP12ihipStream_tbEUlT_E2_NS1_11comp_targetILNS1_3genE4ELNS1_11target_archE910ELNS1_3gpuE8ELNS1_3repE0EEENS1_30default_config_static_selectorELNS0_4arch9wavefront6targetE0EEEvSK_.kd
    .uniform_work_group_size: 1
    .uses_dynamic_stack: false
    .vgpr_count:     0
    .vgpr_spill_count: 0
    .wavefront_size: 32
    .workgroup_processor_mode: 1
  - .args:
      - .offset:         0
        .size:           80
        .value_kind:     by_value
    .group_segment_fixed_size: 0
    .kernarg_segment_align: 8
    .kernarg_segment_size: 80
    .language:       OpenCL C
    .language_version:
      - 2
      - 0
    .max_flat_workgroup_size: 256
    .name:           _ZN7rocprim17ROCPRIM_400000_NS6detail17trampoline_kernelINS0_14default_configENS1_36segmented_radix_sort_config_selectorIslEEZNS1_25segmented_radix_sort_implIS3_Lb0EPKsPsPKlPlN2at6native12_GLOBAL__N_18offset_tEEE10hipError_tPvRmT1_PNSt15iterator_traitsISK_E10value_typeET2_T3_PNSL_ISQ_E10value_typeET4_jRbjT5_SW_jjP12ihipStream_tbEUlT_E2_NS1_11comp_targetILNS1_3genE3ELNS1_11target_archE908ELNS1_3gpuE7ELNS1_3repE0EEENS1_30default_config_static_selectorELNS0_4arch9wavefront6targetE0EEEvSK_
    .private_segment_fixed_size: 0
    .sgpr_count:     0
    .sgpr_spill_count: 0
    .symbol:         _ZN7rocprim17ROCPRIM_400000_NS6detail17trampoline_kernelINS0_14default_configENS1_36segmented_radix_sort_config_selectorIslEEZNS1_25segmented_radix_sort_implIS3_Lb0EPKsPsPKlPlN2at6native12_GLOBAL__N_18offset_tEEE10hipError_tPvRmT1_PNSt15iterator_traitsISK_E10value_typeET2_T3_PNSL_ISQ_E10value_typeET4_jRbjT5_SW_jjP12ihipStream_tbEUlT_E2_NS1_11comp_targetILNS1_3genE3ELNS1_11target_archE908ELNS1_3gpuE7ELNS1_3repE0EEENS1_30default_config_static_selectorELNS0_4arch9wavefront6targetE0EEEvSK_.kd
    .uniform_work_group_size: 1
    .uses_dynamic_stack: false
    .vgpr_count:     0
    .vgpr_spill_count: 0
    .wavefront_size: 32
    .workgroup_processor_mode: 1
  - .args:
      - .offset:         0
        .size:           80
        .value_kind:     by_value
    .group_segment_fixed_size: 0
    .kernarg_segment_align: 8
    .kernarg_segment_size: 80
    .language:       OpenCL C
    .language_version:
      - 2
      - 0
    .max_flat_workgroup_size: 256
    .name:           _ZN7rocprim17ROCPRIM_400000_NS6detail17trampoline_kernelINS0_14default_configENS1_36segmented_radix_sort_config_selectorIslEEZNS1_25segmented_radix_sort_implIS3_Lb0EPKsPsPKlPlN2at6native12_GLOBAL__N_18offset_tEEE10hipError_tPvRmT1_PNSt15iterator_traitsISK_E10value_typeET2_T3_PNSL_ISQ_E10value_typeET4_jRbjT5_SW_jjP12ihipStream_tbEUlT_E2_NS1_11comp_targetILNS1_3genE2ELNS1_11target_archE906ELNS1_3gpuE6ELNS1_3repE0EEENS1_30default_config_static_selectorELNS0_4arch9wavefront6targetE0EEEvSK_
    .private_segment_fixed_size: 0
    .sgpr_count:     0
    .sgpr_spill_count: 0
    .symbol:         _ZN7rocprim17ROCPRIM_400000_NS6detail17trampoline_kernelINS0_14default_configENS1_36segmented_radix_sort_config_selectorIslEEZNS1_25segmented_radix_sort_implIS3_Lb0EPKsPsPKlPlN2at6native12_GLOBAL__N_18offset_tEEE10hipError_tPvRmT1_PNSt15iterator_traitsISK_E10value_typeET2_T3_PNSL_ISQ_E10value_typeET4_jRbjT5_SW_jjP12ihipStream_tbEUlT_E2_NS1_11comp_targetILNS1_3genE2ELNS1_11target_archE906ELNS1_3gpuE6ELNS1_3repE0EEENS1_30default_config_static_selectorELNS0_4arch9wavefront6targetE0EEEvSK_.kd
    .uniform_work_group_size: 1
    .uses_dynamic_stack: false
    .vgpr_count:     0
    .vgpr_spill_count: 0
    .wavefront_size: 32
    .workgroup_processor_mode: 1
  - .args:
      - .offset:         0
        .size:           80
        .value_kind:     by_value
      - .offset:         80
        .size:           4
        .value_kind:     hidden_block_count_x
      - .offset:         84
        .size:           4
        .value_kind:     hidden_block_count_y
      - .offset:         88
        .size:           4
        .value_kind:     hidden_block_count_z
      - .offset:         92
        .size:           2
        .value_kind:     hidden_group_size_x
      - .offset:         94
        .size:           2
        .value_kind:     hidden_group_size_y
      - .offset:         96
        .size:           2
        .value_kind:     hidden_group_size_z
      - .offset:         98
        .size:           2
        .value_kind:     hidden_remainder_x
      - .offset:         100
        .size:           2
        .value_kind:     hidden_remainder_y
      - .offset:         102
        .size:           2
        .value_kind:     hidden_remainder_z
      - .offset:         120
        .size:           8
        .value_kind:     hidden_global_offset_x
      - .offset:         128
        .size:           8
        .value_kind:     hidden_global_offset_y
      - .offset:         136
        .size:           8
        .value_kind:     hidden_global_offset_z
      - .offset:         144
        .size:           2
        .value_kind:     hidden_grid_dims
    .group_segment_fixed_size: 17440
    .kernarg_segment_align: 8
    .kernarg_segment_size: 336
    .language:       OpenCL C
    .language_version:
      - 2
      - 0
    .max_flat_workgroup_size: 256
    .name:           _ZN7rocprim17ROCPRIM_400000_NS6detail17trampoline_kernelINS0_14default_configENS1_36segmented_radix_sort_config_selectorIslEEZNS1_25segmented_radix_sort_implIS3_Lb0EPKsPsPKlPlN2at6native12_GLOBAL__N_18offset_tEEE10hipError_tPvRmT1_PNSt15iterator_traitsISK_E10value_typeET2_T3_PNSL_ISQ_E10value_typeET4_jRbjT5_SW_jjP12ihipStream_tbEUlT_E2_NS1_11comp_targetILNS1_3genE10ELNS1_11target_archE1201ELNS1_3gpuE5ELNS1_3repE0EEENS1_30default_config_static_selectorELNS0_4arch9wavefront6targetE0EEEvSK_
    .private_segment_fixed_size: 0
    .sgpr_count:     52
    .sgpr_spill_count: 0
    .symbol:         _ZN7rocprim17ROCPRIM_400000_NS6detail17trampoline_kernelINS0_14default_configENS1_36segmented_radix_sort_config_selectorIslEEZNS1_25segmented_radix_sort_implIS3_Lb0EPKsPsPKlPlN2at6native12_GLOBAL__N_18offset_tEEE10hipError_tPvRmT1_PNSt15iterator_traitsISK_E10value_typeET2_T3_PNSL_ISQ_E10value_typeET4_jRbjT5_SW_jjP12ihipStream_tbEUlT_E2_NS1_11comp_targetILNS1_3genE10ELNS1_11target_archE1201ELNS1_3gpuE5ELNS1_3repE0EEENS1_30default_config_static_selectorELNS0_4arch9wavefront6targetE0EEEvSK_.kd
    .uniform_work_group_size: 1
    .uses_dynamic_stack: false
    .vgpr_count:     198
    .vgpr_spill_count: 0
    .wavefront_size: 32
    .workgroup_processor_mode: 1
  - .args:
      - .offset:         0
        .size:           80
        .value_kind:     by_value
    .group_segment_fixed_size: 0
    .kernarg_segment_align: 8
    .kernarg_segment_size: 80
    .language:       OpenCL C
    .language_version:
      - 2
      - 0
    .max_flat_workgroup_size: 128
    .name:           _ZN7rocprim17ROCPRIM_400000_NS6detail17trampoline_kernelINS0_14default_configENS1_36segmented_radix_sort_config_selectorIslEEZNS1_25segmented_radix_sort_implIS3_Lb0EPKsPsPKlPlN2at6native12_GLOBAL__N_18offset_tEEE10hipError_tPvRmT1_PNSt15iterator_traitsISK_E10value_typeET2_T3_PNSL_ISQ_E10value_typeET4_jRbjT5_SW_jjP12ihipStream_tbEUlT_E2_NS1_11comp_targetILNS1_3genE10ELNS1_11target_archE1200ELNS1_3gpuE4ELNS1_3repE0EEENS1_30default_config_static_selectorELNS0_4arch9wavefront6targetE0EEEvSK_
    .private_segment_fixed_size: 0
    .sgpr_count:     0
    .sgpr_spill_count: 0
    .symbol:         _ZN7rocprim17ROCPRIM_400000_NS6detail17trampoline_kernelINS0_14default_configENS1_36segmented_radix_sort_config_selectorIslEEZNS1_25segmented_radix_sort_implIS3_Lb0EPKsPsPKlPlN2at6native12_GLOBAL__N_18offset_tEEE10hipError_tPvRmT1_PNSt15iterator_traitsISK_E10value_typeET2_T3_PNSL_ISQ_E10value_typeET4_jRbjT5_SW_jjP12ihipStream_tbEUlT_E2_NS1_11comp_targetILNS1_3genE10ELNS1_11target_archE1200ELNS1_3gpuE4ELNS1_3repE0EEENS1_30default_config_static_selectorELNS0_4arch9wavefront6targetE0EEEvSK_.kd
    .uniform_work_group_size: 1
    .uses_dynamic_stack: false
    .vgpr_count:     0
    .vgpr_spill_count: 0
    .wavefront_size: 32
    .workgroup_processor_mode: 1
  - .args:
      - .offset:         0
        .size:           80
        .value_kind:     by_value
    .group_segment_fixed_size: 0
    .kernarg_segment_align: 8
    .kernarg_segment_size: 80
    .language:       OpenCL C
    .language_version:
      - 2
      - 0
    .max_flat_workgroup_size: 256
    .name:           _ZN7rocprim17ROCPRIM_400000_NS6detail17trampoline_kernelINS0_14default_configENS1_36segmented_radix_sort_config_selectorIslEEZNS1_25segmented_radix_sort_implIS3_Lb0EPKsPsPKlPlN2at6native12_GLOBAL__N_18offset_tEEE10hipError_tPvRmT1_PNSt15iterator_traitsISK_E10value_typeET2_T3_PNSL_ISQ_E10value_typeET4_jRbjT5_SW_jjP12ihipStream_tbEUlT_E2_NS1_11comp_targetILNS1_3genE9ELNS1_11target_archE1100ELNS1_3gpuE3ELNS1_3repE0EEENS1_30default_config_static_selectorELNS0_4arch9wavefront6targetE0EEEvSK_
    .private_segment_fixed_size: 0
    .sgpr_count:     0
    .sgpr_spill_count: 0
    .symbol:         _ZN7rocprim17ROCPRIM_400000_NS6detail17trampoline_kernelINS0_14default_configENS1_36segmented_radix_sort_config_selectorIslEEZNS1_25segmented_radix_sort_implIS3_Lb0EPKsPsPKlPlN2at6native12_GLOBAL__N_18offset_tEEE10hipError_tPvRmT1_PNSt15iterator_traitsISK_E10value_typeET2_T3_PNSL_ISQ_E10value_typeET4_jRbjT5_SW_jjP12ihipStream_tbEUlT_E2_NS1_11comp_targetILNS1_3genE9ELNS1_11target_archE1100ELNS1_3gpuE3ELNS1_3repE0EEENS1_30default_config_static_selectorELNS0_4arch9wavefront6targetE0EEEvSK_.kd
    .uniform_work_group_size: 1
    .uses_dynamic_stack: false
    .vgpr_count:     0
    .vgpr_spill_count: 0
    .wavefront_size: 32
    .workgroup_processor_mode: 1
  - .args:
      - .offset:         0
        .size:           80
        .value_kind:     by_value
    .group_segment_fixed_size: 0
    .kernarg_segment_align: 8
    .kernarg_segment_size: 80
    .language:       OpenCL C
    .language_version:
      - 2
      - 0
    .max_flat_workgroup_size: 256
    .name:           _ZN7rocprim17ROCPRIM_400000_NS6detail17trampoline_kernelINS0_14default_configENS1_36segmented_radix_sort_config_selectorIslEEZNS1_25segmented_radix_sort_implIS3_Lb0EPKsPsPKlPlN2at6native12_GLOBAL__N_18offset_tEEE10hipError_tPvRmT1_PNSt15iterator_traitsISK_E10value_typeET2_T3_PNSL_ISQ_E10value_typeET4_jRbjT5_SW_jjP12ihipStream_tbEUlT_E2_NS1_11comp_targetILNS1_3genE8ELNS1_11target_archE1030ELNS1_3gpuE2ELNS1_3repE0EEENS1_30default_config_static_selectorELNS0_4arch9wavefront6targetE0EEEvSK_
    .private_segment_fixed_size: 0
    .sgpr_count:     0
    .sgpr_spill_count: 0
    .symbol:         _ZN7rocprim17ROCPRIM_400000_NS6detail17trampoline_kernelINS0_14default_configENS1_36segmented_radix_sort_config_selectorIslEEZNS1_25segmented_radix_sort_implIS3_Lb0EPKsPsPKlPlN2at6native12_GLOBAL__N_18offset_tEEE10hipError_tPvRmT1_PNSt15iterator_traitsISK_E10value_typeET2_T3_PNSL_ISQ_E10value_typeET4_jRbjT5_SW_jjP12ihipStream_tbEUlT_E2_NS1_11comp_targetILNS1_3genE8ELNS1_11target_archE1030ELNS1_3gpuE2ELNS1_3repE0EEENS1_30default_config_static_selectorELNS0_4arch9wavefront6targetE0EEEvSK_.kd
    .uniform_work_group_size: 1
    .uses_dynamic_stack: false
    .vgpr_count:     0
    .vgpr_spill_count: 0
    .wavefront_size: 32
    .workgroup_processor_mode: 1
  - .args:
      - .address_space:  global
        .offset:         0
        .size:           8
        .value_kind:     global_buffer
      - .address_space:  global
        .offset:         8
        .size:           8
        .value_kind:     global_buffer
      - .address_space:  global
        .offset:         16
        .size:           8
        .value_kind:     global_buffer
      - .address_space:  global
        .offset:         24
        .size:           8
        .value_kind:     global_buffer
      - .offset:         32
        .size:           4
        .value_kind:     by_value
      - .offset:         36
        .size:           4
        .value_kind:     by_value
      - .offset:         40
        .size:           4
        .value_kind:     hidden_block_count_x
      - .offset:         44
        .size:           4
        .value_kind:     hidden_block_count_y
      - .offset:         48
        .size:           4
        .value_kind:     hidden_block_count_z
      - .offset:         52
        .size:           2
        .value_kind:     hidden_group_size_x
      - .offset:         54
        .size:           2
        .value_kind:     hidden_group_size_y
      - .offset:         56
        .size:           2
        .value_kind:     hidden_group_size_z
      - .offset:         58
        .size:           2
        .value_kind:     hidden_remainder_x
      - .offset:         60
        .size:           2
        .value_kind:     hidden_remainder_y
      - .offset:         62
        .size:           2
        .value_kind:     hidden_remainder_z
      - .offset:         80
        .size:           8
        .value_kind:     hidden_global_offset_x
      - .offset:         88
        .size:           8
        .value_kind:     hidden_global_offset_y
      - .offset:         96
        .size:           8
        .value_kind:     hidden_global_offset_z
      - .offset:         104
        .size:           2
        .value_kind:     hidden_grid_dims
    .group_segment_fixed_size: 0
    .kernarg_segment_align: 8
    .kernarg_segment_size: 296
    .language:       OpenCL C
    .language_version:
      - 2
      - 0
    .max_flat_workgroup_size: 1024
    .name:           _ZN2at6native12_GLOBAL__N_123sort_postprocess_kernelIdEEvPKT_PS3_PlPK15HIP_vector_typeIiLj2EEii
    .private_segment_fixed_size: 0
    .sgpr_count:     21
    .sgpr_spill_count: 0
    .symbol:         _ZN2at6native12_GLOBAL__N_123sort_postprocess_kernelIdEEvPKT_PS3_PlPK15HIP_vector_typeIiLj2EEii.kd
    .uniform_work_group_size: 1
    .uses_dynamic_stack: false
    .vgpr_count:     14
    .vgpr_spill_count: 0
    .wavefront_size: 32
    .workgroup_processor_mode: 1
  - .args:
      - .offset:         0
        .size:           176
        .value_kind:     by_value
    .group_segment_fixed_size: 0
    .kernarg_segment_align: 8
    .kernarg_segment_size: 176
    .language:       OpenCL C
    .language_version:
      - 2
      - 0
    .max_flat_workgroup_size: 256
    .name:           _ZN7rocprim17ROCPRIM_400000_NS6detail17trampoline_kernelINS0_13select_configILj256ELj13ELNS0_17block_load_methodE3ELS4_3ELS4_3ELNS0_20block_scan_algorithmE0ELj4294967295EEENS1_25partition_config_selectorILNS1_17partition_subalgoE4EjNS0_10empty_typeEbEEZZNS1_14partition_implILS8_4ELb0ES6_15HIP_vector_typeIjLj2EENS0_17counting_iteratorIjlEEPS9_SG_NS0_5tupleIJPjSI_NS0_16reverse_iteratorISI_EEEEENSH_IJSG_SG_SG_EEES9_SI_JZNS1_25segmented_radix_sort_implINS0_14default_configELb1EPKdPdPKlPlN2at6native12_GLOBAL__N_18offset_tEEE10hipError_tPvRmT1_PNSt15iterator_traitsIS12_E10value_typeET2_T3_PNS13_IS18_E10value_typeET4_jRbjT5_S1E_jjP12ihipStream_tbEUljE_ZNSN_ISO_Lb1ESQ_SR_ST_SU_SY_EESZ_S10_S11_S12_S16_S17_S18_S1B_S1C_jS1D_jS1E_S1E_jjS1G_bEUljE0_EEESZ_S10_S11_S18_S1C_S1E_T6_T7_T9_mT8_S1G_bDpT10_ENKUlT_T0_E_clISt17integral_constantIbLb0EES1U_EEDaS1P_S1Q_EUlS1P_E_NS1_11comp_targetILNS1_3genE0ELNS1_11target_archE4294967295ELNS1_3gpuE0ELNS1_3repE0EEENS1_30default_config_static_selectorELNS0_4arch9wavefront6targetE0EEEvS12_
    .private_segment_fixed_size: 0
    .sgpr_count:     0
    .sgpr_spill_count: 0
    .symbol:         _ZN7rocprim17ROCPRIM_400000_NS6detail17trampoline_kernelINS0_13select_configILj256ELj13ELNS0_17block_load_methodE3ELS4_3ELS4_3ELNS0_20block_scan_algorithmE0ELj4294967295EEENS1_25partition_config_selectorILNS1_17partition_subalgoE4EjNS0_10empty_typeEbEEZZNS1_14partition_implILS8_4ELb0ES6_15HIP_vector_typeIjLj2EENS0_17counting_iteratorIjlEEPS9_SG_NS0_5tupleIJPjSI_NS0_16reverse_iteratorISI_EEEEENSH_IJSG_SG_SG_EEES9_SI_JZNS1_25segmented_radix_sort_implINS0_14default_configELb1EPKdPdPKlPlN2at6native12_GLOBAL__N_18offset_tEEE10hipError_tPvRmT1_PNSt15iterator_traitsIS12_E10value_typeET2_T3_PNS13_IS18_E10value_typeET4_jRbjT5_S1E_jjP12ihipStream_tbEUljE_ZNSN_ISO_Lb1ESQ_SR_ST_SU_SY_EESZ_S10_S11_S12_S16_S17_S18_S1B_S1C_jS1D_jS1E_S1E_jjS1G_bEUljE0_EEESZ_S10_S11_S18_S1C_S1E_T6_T7_T9_mT8_S1G_bDpT10_ENKUlT_T0_E_clISt17integral_constantIbLb0EES1U_EEDaS1P_S1Q_EUlS1P_E_NS1_11comp_targetILNS1_3genE0ELNS1_11target_archE4294967295ELNS1_3gpuE0ELNS1_3repE0EEENS1_30default_config_static_selectorELNS0_4arch9wavefront6targetE0EEEvS12_.kd
    .uniform_work_group_size: 1
    .uses_dynamic_stack: false
    .vgpr_count:     0
    .vgpr_spill_count: 0
    .wavefront_size: 32
    .workgroup_processor_mode: 1
  - .args:
      - .offset:         0
        .size:           176
        .value_kind:     by_value
    .group_segment_fixed_size: 0
    .kernarg_segment_align: 8
    .kernarg_segment_size: 176
    .language:       OpenCL C
    .language_version:
      - 2
      - 0
    .max_flat_workgroup_size: 256
    .name:           _ZN7rocprim17ROCPRIM_400000_NS6detail17trampoline_kernelINS0_13select_configILj256ELj13ELNS0_17block_load_methodE3ELS4_3ELS4_3ELNS0_20block_scan_algorithmE0ELj4294967295EEENS1_25partition_config_selectorILNS1_17partition_subalgoE4EjNS0_10empty_typeEbEEZZNS1_14partition_implILS8_4ELb0ES6_15HIP_vector_typeIjLj2EENS0_17counting_iteratorIjlEEPS9_SG_NS0_5tupleIJPjSI_NS0_16reverse_iteratorISI_EEEEENSH_IJSG_SG_SG_EEES9_SI_JZNS1_25segmented_radix_sort_implINS0_14default_configELb1EPKdPdPKlPlN2at6native12_GLOBAL__N_18offset_tEEE10hipError_tPvRmT1_PNSt15iterator_traitsIS12_E10value_typeET2_T3_PNS13_IS18_E10value_typeET4_jRbjT5_S1E_jjP12ihipStream_tbEUljE_ZNSN_ISO_Lb1ESQ_SR_ST_SU_SY_EESZ_S10_S11_S12_S16_S17_S18_S1B_S1C_jS1D_jS1E_S1E_jjS1G_bEUljE0_EEESZ_S10_S11_S18_S1C_S1E_T6_T7_T9_mT8_S1G_bDpT10_ENKUlT_T0_E_clISt17integral_constantIbLb0EES1U_EEDaS1P_S1Q_EUlS1P_E_NS1_11comp_targetILNS1_3genE5ELNS1_11target_archE942ELNS1_3gpuE9ELNS1_3repE0EEENS1_30default_config_static_selectorELNS0_4arch9wavefront6targetE0EEEvS12_
    .private_segment_fixed_size: 0
    .sgpr_count:     0
    .sgpr_spill_count: 0
    .symbol:         _ZN7rocprim17ROCPRIM_400000_NS6detail17trampoline_kernelINS0_13select_configILj256ELj13ELNS0_17block_load_methodE3ELS4_3ELS4_3ELNS0_20block_scan_algorithmE0ELj4294967295EEENS1_25partition_config_selectorILNS1_17partition_subalgoE4EjNS0_10empty_typeEbEEZZNS1_14partition_implILS8_4ELb0ES6_15HIP_vector_typeIjLj2EENS0_17counting_iteratorIjlEEPS9_SG_NS0_5tupleIJPjSI_NS0_16reverse_iteratorISI_EEEEENSH_IJSG_SG_SG_EEES9_SI_JZNS1_25segmented_radix_sort_implINS0_14default_configELb1EPKdPdPKlPlN2at6native12_GLOBAL__N_18offset_tEEE10hipError_tPvRmT1_PNSt15iterator_traitsIS12_E10value_typeET2_T3_PNS13_IS18_E10value_typeET4_jRbjT5_S1E_jjP12ihipStream_tbEUljE_ZNSN_ISO_Lb1ESQ_SR_ST_SU_SY_EESZ_S10_S11_S12_S16_S17_S18_S1B_S1C_jS1D_jS1E_S1E_jjS1G_bEUljE0_EEESZ_S10_S11_S18_S1C_S1E_T6_T7_T9_mT8_S1G_bDpT10_ENKUlT_T0_E_clISt17integral_constantIbLb0EES1U_EEDaS1P_S1Q_EUlS1P_E_NS1_11comp_targetILNS1_3genE5ELNS1_11target_archE942ELNS1_3gpuE9ELNS1_3repE0EEENS1_30default_config_static_selectorELNS0_4arch9wavefront6targetE0EEEvS12_.kd
    .uniform_work_group_size: 1
    .uses_dynamic_stack: false
    .vgpr_count:     0
    .vgpr_spill_count: 0
    .wavefront_size: 32
    .workgroup_processor_mode: 1
  - .args:
      - .offset:         0
        .size:           176
        .value_kind:     by_value
    .group_segment_fixed_size: 0
    .kernarg_segment_align: 8
    .kernarg_segment_size: 176
    .language:       OpenCL C
    .language_version:
      - 2
      - 0
    .max_flat_workgroup_size: 256
    .name:           _ZN7rocprim17ROCPRIM_400000_NS6detail17trampoline_kernelINS0_13select_configILj256ELj13ELNS0_17block_load_methodE3ELS4_3ELS4_3ELNS0_20block_scan_algorithmE0ELj4294967295EEENS1_25partition_config_selectorILNS1_17partition_subalgoE4EjNS0_10empty_typeEbEEZZNS1_14partition_implILS8_4ELb0ES6_15HIP_vector_typeIjLj2EENS0_17counting_iteratorIjlEEPS9_SG_NS0_5tupleIJPjSI_NS0_16reverse_iteratorISI_EEEEENSH_IJSG_SG_SG_EEES9_SI_JZNS1_25segmented_radix_sort_implINS0_14default_configELb1EPKdPdPKlPlN2at6native12_GLOBAL__N_18offset_tEEE10hipError_tPvRmT1_PNSt15iterator_traitsIS12_E10value_typeET2_T3_PNS13_IS18_E10value_typeET4_jRbjT5_S1E_jjP12ihipStream_tbEUljE_ZNSN_ISO_Lb1ESQ_SR_ST_SU_SY_EESZ_S10_S11_S12_S16_S17_S18_S1B_S1C_jS1D_jS1E_S1E_jjS1G_bEUljE0_EEESZ_S10_S11_S18_S1C_S1E_T6_T7_T9_mT8_S1G_bDpT10_ENKUlT_T0_E_clISt17integral_constantIbLb0EES1U_EEDaS1P_S1Q_EUlS1P_E_NS1_11comp_targetILNS1_3genE4ELNS1_11target_archE910ELNS1_3gpuE8ELNS1_3repE0EEENS1_30default_config_static_selectorELNS0_4arch9wavefront6targetE0EEEvS12_
    .private_segment_fixed_size: 0
    .sgpr_count:     0
    .sgpr_spill_count: 0
    .symbol:         _ZN7rocprim17ROCPRIM_400000_NS6detail17trampoline_kernelINS0_13select_configILj256ELj13ELNS0_17block_load_methodE3ELS4_3ELS4_3ELNS0_20block_scan_algorithmE0ELj4294967295EEENS1_25partition_config_selectorILNS1_17partition_subalgoE4EjNS0_10empty_typeEbEEZZNS1_14partition_implILS8_4ELb0ES6_15HIP_vector_typeIjLj2EENS0_17counting_iteratorIjlEEPS9_SG_NS0_5tupleIJPjSI_NS0_16reverse_iteratorISI_EEEEENSH_IJSG_SG_SG_EEES9_SI_JZNS1_25segmented_radix_sort_implINS0_14default_configELb1EPKdPdPKlPlN2at6native12_GLOBAL__N_18offset_tEEE10hipError_tPvRmT1_PNSt15iterator_traitsIS12_E10value_typeET2_T3_PNS13_IS18_E10value_typeET4_jRbjT5_S1E_jjP12ihipStream_tbEUljE_ZNSN_ISO_Lb1ESQ_SR_ST_SU_SY_EESZ_S10_S11_S12_S16_S17_S18_S1B_S1C_jS1D_jS1E_S1E_jjS1G_bEUljE0_EEESZ_S10_S11_S18_S1C_S1E_T6_T7_T9_mT8_S1G_bDpT10_ENKUlT_T0_E_clISt17integral_constantIbLb0EES1U_EEDaS1P_S1Q_EUlS1P_E_NS1_11comp_targetILNS1_3genE4ELNS1_11target_archE910ELNS1_3gpuE8ELNS1_3repE0EEENS1_30default_config_static_selectorELNS0_4arch9wavefront6targetE0EEEvS12_.kd
    .uniform_work_group_size: 1
    .uses_dynamic_stack: false
    .vgpr_count:     0
    .vgpr_spill_count: 0
    .wavefront_size: 32
    .workgroup_processor_mode: 1
  - .args:
      - .offset:         0
        .size:           176
        .value_kind:     by_value
    .group_segment_fixed_size: 0
    .kernarg_segment_align: 8
    .kernarg_segment_size: 176
    .language:       OpenCL C
    .language_version:
      - 2
      - 0
    .max_flat_workgroup_size: 256
    .name:           _ZN7rocprim17ROCPRIM_400000_NS6detail17trampoline_kernelINS0_13select_configILj256ELj13ELNS0_17block_load_methodE3ELS4_3ELS4_3ELNS0_20block_scan_algorithmE0ELj4294967295EEENS1_25partition_config_selectorILNS1_17partition_subalgoE4EjNS0_10empty_typeEbEEZZNS1_14partition_implILS8_4ELb0ES6_15HIP_vector_typeIjLj2EENS0_17counting_iteratorIjlEEPS9_SG_NS0_5tupleIJPjSI_NS0_16reverse_iteratorISI_EEEEENSH_IJSG_SG_SG_EEES9_SI_JZNS1_25segmented_radix_sort_implINS0_14default_configELb1EPKdPdPKlPlN2at6native12_GLOBAL__N_18offset_tEEE10hipError_tPvRmT1_PNSt15iterator_traitsIS12_E10value_typeET2_T3_PNS13_IS18_E10value_typeET4_jRbjT5_S1E_jjP12ihipStream_tbEUljE_ZNSN_ISO_Lb1ESQ_SR_ST_SU_SY_EESZ_S10_S11_S12_S16_S17_S18_S1B_S1C_jS1D_jS1E_S1E_jjS1G_bEUljE0_EEESZ_S10_S11_S18_S1C_S1E_T6_T7_T9_mT8_S1G_bDpT10_ENKUlT_T0_E_clISt17integral_constantIbLb0EES1U_EEDaS1P_S1Q_EUlS1P_E_NS1_11comp_targetILNS1_3genE3ELNS1_11target_archE908ELNS1_3gpuE7ELNS1_3repE0EEENS1_30default_config_static_selectorELNS0_4arch9wavefront6targetE0EEEvS12_
    .private_segment_fixed_size: 0
    .sgpr_count:     0
    .sgpr_spill_count: 0
    .symbol:         _ZN7rocprim17ROCPRIM_400000_NS6detail17trampoline_kernelINS0_13select_configILj256ELj13ELNS0_17block_load_methodE3ELS4_3ELS4_3ELNS0_20block_scan_algorithmE0ELj4294967295EEENS1_25partition_config_selectorILNS1_17partition_subalgoE4EjNS0_10empty_typeEbEEZZNS1_14partition_implILS8_4ELb0ES6_15HIP_vector_typeIjLj2EENS0_17counting_iteratorIjlEEPS9_SG_NS0_5tupleIJPjSI_NS0_16reverse_iteratorISI_EEEEENSH_IJSG_SG_SG_EEES9_SI_JZNS1_25segmented_radix_sort_implINS0_14default_configELb1EPKdPdPKlPlN2at6native12_GLOBAL__N_18offset_tEEE10hipError_tPvRmT1_PNSt15iterator_traitsIS12_E10value_typeET2_T3_PNS13_IS18_E10value_typeET4_jRbjT5_S1E_jjP12ihipStream_tbEUljE_ZNSN_ISO_Lb1ESQ_SR_ST_SU_SY_EESZ_S10_S11_S12_S16_S17_S18_S1B_S1C_jS1D_jS1E_S1E_jjS1G_bEUljE0_EEESZ_S10_S11_S18_S1C_S1E_T6_T7_T9_mT8_S1G_bDpT10_ENKUlT_T0_E_clISt17integral_constantIbLb0EES1U_EEDaS1P_S1Q_EUlS1P_E_NS1_11comp_targetILNS1_3genE3ELNS1_11target_archE908ELNS1_3gpuE7ELNS1_3repE0EEENS1_30default_config_static_selectorELNS0_4arch9wavefront6targetE0EEEvS12_.kd
    .uniform_work_group_size: 1
    .uses_dynamic_stack: false
    .vgpr_count:     0
    .vgpr_spill_count: 0
    .wavefront_size: 32
    .workgroup_processor_mode: 1
  - .args:
      - .offset:         0
        .size:           176
        .value_kind:     by_value
    .group_segment_fixed_size: 0
    .kernarg_segment_align: 8
    .kernarg_segment_size: 176
    .language:       OpenCL C
    .language_version:
      - 2
      - 0
    .max_flat_workgroup_size: 256
    .name:           _ZN7rocprim17ROCPRIM_400000_NS6detail17trampoline_kernelINS0_13select_configILj256ELj13ELNS0_17block_load_methodE3ELS4_3ELS4_3ELNS0_20block_scan_algorithmE0ELj4294967295EEENS1_25partition_config_selectorILNS1_17partition_subalgoE4EjNS0_10empty_typeEbEEZZNS1_14partition_implILS8_4ELb0ES6_15HIP_vector_typeIjLj2EENS0_17counting_iteratorIjlEEPS9_SG_NS0_5tupleIJPjSI_NS0_16reverse_iteratorISI_EEEEENSH_IJSG_SG_SG_EEES9_SI_JZNS1_25segmented_radix_sort_implINS0_14default_configELb1EPKdPdPKlPlN2at6native12_GLOBAL__N_18offset_tEEE10hipError_tPvRmT1_PNSt15iterator_traitsIS12_E10value_typeET2_T3_PNS13_IS18_E10value_typeET4_jRbjT5_S1E_jjP12ihipStream_tbEUljE_ZNSN_ISO_Lb1ESQ_SR_ST_SU_SY_EESZ_S10_S11_S12_S16_S17_S18_S1B_S1C_jS1D_jS1E_S1E_jjS1G_bEUljE0_EEESZ_S10_S11_S18_S1C_S1E_T6_T7_T9_mT8_S1G_bDpT10_ENKUlT_T0_E_clISt17integral_constantIbLb0EES1U_EEDaS1P_S1Q_EUlS1P_E_NS1_11comp_targetILNS1_3genE2ELNS1_11target_archE906ELNS1_3gpuE6ELNS1_3repE0EEENS1_30default_config_static_selectorELNS0_4arch9wavefront6targetE0EEEvS12_
    .private_segment_fixed_size: 0
    .sgpr_count:     0
    .sgpr_spill_count: 0
    .symbol:         _ZN7rocprim17ROCPRIM_400000_NS6detail17trampoline_kernelINS0_13select_configILj256ELj13ELNS0_17block_load_methodE3ELS4_3ELS4_3ELNS0_20block_scan_algorithmE0ELj4294967295EEENS1_25partition_config_selectorILNS1_17partition_subalgoE4EjNS0_10empty_typeEbEEZZNS1_14partition_implILS8_4ELb0ES6_15HIP_vector_typeIjLj2EENS0_17counting_iteratorIjlEEPS9_SG_NS0_5tupleIJPjSI_NS0_16reverse_iteratorISI_EEEEENSH_IJSG_SG_SG_EEES9_SI_JZNS1_25segmented_radix_sort_implINS0_14default_configELb1EPKdPdPKlPlN2at6native12_GLOBAL__N_18offset_tEEE10hipError_tPvRmT1_PNSt15iterator_traitsIS12_E10value_typeET2_T3_PNS13_IS18_E10value_typeET4_jRbjT5_S1E_jjP12ihipStream_tbEUljE_ZNSN_ISO_Lb1ESQ_SR_ST_SU_SY_EESZ_S10_S11_S12_S16_S17_S18_S1B_S1C_jS1D_jS1E_S1E_jjS1G_bEUljE0_EEESZ_S10_S11_S18_S1C_S1E_T6_T7_T9_mT8_S1G_bDpT10_ENKUlT_T0_E_clISt17integral_constantIbLb0EES1U_EEDaS1P_S1Q_EUlS1P_E_NS1_11comp_targetILNS1_3genE2ELNS1_11target_archE906ELNS1_3gpuE6ELNS1_3repE0EEENS1_30default_config_static_selectorELNS0_4arch9wavefront6targetE0EEEvS12_.kd
    .uniform_work_group_size: 1
    .uses_dynamic_stack: false
    .vgpr_count:     0
    .vgpr_spill_count: 0
    .wavefront_size: 32
    .workgroup_processor_mode: 1
  - .args:
      - .offset:         0
        .size:           176
        .value_kind:     by_value
    .group_segment_fixed_size: 13328
    .kernarg_segment_align: 8
    .kernarg_segment_size: 176
    .language:       OpenCL C
    .language_version:
      - 2
      - 0
    .max_flat_workgroup_size: 256
    .name:           _ZN7rocprim17ROCPRIM_400000_NS6detail17trampoline_kernelINS0_13select_configILj256ELj13ELNS0_17block_load_methodE3ELS4_3ELS4_3ELNS0_20block_scan_algorithmE0ELj4294967295EEENS1_25partition_config_selectorILNS1_17partition_subalgoE4EjNS0_10empty_typeEbEEZZNS1_14partition_implILS8_4ELb0ES6_15HIP_vector_typeIjLj2EENS0_17counting_iteratorIjlEEPS9_SG_NS0_5tupleIJPjSI_NS0_16reverse_iteratorISI_EEEEENSH_IJSG_SG_SG_EEES9_SI_JZNS1_25segmented_radix_sort_implINS0_14default_configELb1EPKdPdPKlPlN2at6native12_GLOBAL__N_18offset_tEEE10hipError_tPvRmT1_PNSt15iterator_traitsIS12_E10value_typeET2_T3_PNS13_IS18_E10value_typeET4_jRbjT5_S1E_jjP12ihipStream_tbEUljE_ZNSN_ISO_Lb1ESQ_SR_ST_SU_SY_EESZ_S10_S11_S12_S16_S17_S18_S1B_S1C_jS1D_jS1E_S1E_jjS1G_bEUljE0_EEESZ_S10_S11_S18_S1C_S1E_T6_T7_T9_mT8_S1G_bDpT10_ENKUlT_T0_E_clISt17integral_constantIbLb0EES1U_EEDaS1P_S1Q_EUlS1P_E_NS1_11comp_targetILNS1_3genE10ELNS1_11target_archE1200ELNS1_3gpuE4ELNS1_3repE0EEENS1_30default_config_static_selectorELNS0_4arch9wavefront6targetE0EEEvS12_
    .private_segment_fixed_size: 0
    .sgpr_count:     60
    .sgpr_spill_count: 0
    .symbol:         _ZN7rocprim17ROCPRIM_400000_NS6detail17trampoline_kernelINS0_13select_configILj256ELj13ELNS0_17block_load_methodE3ELS4_3ELS4_3ELNS0_20block_scan_algorithmE0ELj4294967295EEENS1_25partition_config_selectorILNS1_17partition_subalgoE4EjNS0_10empty_typeEbEEZZNS1_14partition_implILS8_4ELb0ES6_15HIP_vector_typeIjLj2EENS0_17counting_iteratorIjlEEPS9_SG_NS0_5tupleIJPjSI_NS0_16reverse_iteratorISI_EEEEENSH_IJSG_SG_SG_EEES9_SI_JZNS1_25segmented_radix_sort_implINS0_14default_configELb1EPKdPdPKlPlN2at6native12_GLOBAL__N_18offset_tEEE10hipError_tPvRmT1_PNSt15iterator_traitsIS12_E10value_typeET2_T3_PNS13_IS18_E10value_typeET4_jRbjT5_S1E_jjP12ihipStream_tbEUljE_ZNSN_ISO_Lb1ESQ_SR_ST_SU_SY_EESZ_S10_S11_S12_S16_S17_S18_S1B_S1C_jS1D_jS1E_S1E_jjS1G_bEUljE0_EEESZ_S10_S11_S18_S1C_S1E_T6_T7_T9_mT8_S1G_bDpT10_ENKUlT_T0_E_clISt17integral_constantIbLb0EES1U_EEDaS1P_S1Q_EUlS1P_E_NS1_11comp_targetILNS1_3genE10ELNS1_11target_archE1200ELNS1_3gpuE4ELNS1_3repE0EEENS1_30default_config_static_selectorELNS0_4arch9wavefront6targetE0EEEvS12_.kd
    .uniform_work_group_size: 1
    .uses_dynamic_stack: false
    .vgpr_count:     93
    .vgpr_spill_count: 0
    .wavefront_size: 32
    .workgroup_processor_mode: 1
  - .args:
      - .offset:         0
        .size:           176
        .value_kind:     by_value
    .group_segment_fixed_size: 0
    .kernarg_segment_align: 8
    .kernarg_segment_size: 176
    .language:       OpenCL C
    .language_version:
      - 2
      - 0
    .max_flat_workgroup_size: 256
    .name:           _ZN7rocprim17ROCPRIM_400000_NS6detail17trampoline_kernelINS0_13select_configILj256ELj13ELNS0_17block_load_methodE3ELS4_3ELS4_3ELNS0_20block_scan_algorithmE0ELj4294967295EEENS1_25partition_config_selectorILNS1_17partition_subalgoE4EjNS0_10empty_typeEbEEZZNS1_14partition_implILS8_4ELb0ES6_15HIP_vector_typeIjLj2EENS0_17counting_iteratorIjlEEPS9_SG_NS0_5tupleIJPjSI_NS0_16reverse_iteratorISI_EEEEENSH_IJSG_SG_SG_EEES9_SI_JZNS1_25segmented_radix_sort_implINS0_14default_configELb1EPKdPdPKlPlN2at6native12_GLOBAL__N_18offset_tEEE10hipError_tPvRmT1_PNSt15iterator_traitsIS12_E10value_typeET2_T3_PNS13_IS18_E10value_typeET4_jRbjT5_S1E_jjP12ihipStream_tbEUljE_ZNSN_ISO_Lb1ESQ_SR_ST_SU_SY_EESZ_S10_S11_S12_S16_S17_S18_S1B_S1C_jS1D_jS1E_S1E_jjS1G_bEUljE0_EEESZ_S10_S11_S18_S1C_S1E_T6_T7_T9_mT8_S1G_bDpT10_ENKUlT_T0_E_clISt17integral_constantIbLb0EES1U_EEDaS1P_S1Q_EUlS1P_E_NS1_11comp_targetILNS1_3genE9ELNS1_11target_archE1100ELNS1_3gpuE3ELNS1_3repE0EEENS1_30default_config_static_selectorELNS0_4arch9wavefront6targetE0EEEvS12_
    .private_segment_fixed_size: 0
    .sgpr_count:     0
    .sgpr_spill_count: 0
    .symbol:         _ZN7rocprim17ROCPRIM_400000_NS6detail17trampoline_kernelINS0_13select_configILj256ELj13ELNS0_17block_load_methodE3ELS4_3ELS4_3ELNS0_20block_scan_algorithmE0ELj4294967295EEENS1_25partition_config_selectorILNS1_17partition_subalgoE4EjNS0_10empty_typeEbEEZZNS1_14partition_implILS8_4ELb0ES6_15HIP_vector_typeIjLj2EENS0_17counting_iteratorIjlEEPS9_SG_NS0_5tupleIJPjSI_NS0_16reverse_iteratorISI_EEEEENSH_IJSG_SG_SG_EEES9_SI_JZNS1_25segmented_radix_sort_implINS0_14default_configELb1EPKdPdPKlPlN2at6native12_GLOBAL__N_18offset_tEEE10hipError_tPvRmT1_PNSt15iterator_traitsIS12_E10value_typeET2_T3_PNS13_IS18_E10value_typeET4_jRbjT5_S1E_jjP12ihipStream_tbEUljE_ZNSN_ISO_Lb1ESQ_SR_ST_SU_SY_EESZ_S10_S11_S12_S16_S17_S18_S1B_S1C_jS1D_jS1E_S1E_jjS1G_bEUljE0_EEESZ_S10_S11_S18_S1C_S1E_T6_T7_T9_mT8_S1G_bDpT10_ENKUlT_T0_E_clISt17integral_constantIbLb0EES1U_EEDaS1P_S1Q_EUlS1P_E_NS1_11comp_targetILNS1_3genE9ELNS1_11target_archE1100ELNS1_3gpuE3ELNS1_3repE0EEENS1_30default_config_static_selectorELNS0_4arch9wavefront6targetE0EEEvS12_.kd
    .uniform_work_group_size: 1
    .uses_dynamic_stack: false
    .vgpr_count:     0
    .vgpr_spill_count: 0
    .wavefront_size: 32
    .workgroup_processor_mode: 1
  - .args:
      - .offset:         0
        .size:           176
        .value_kind:     by_value
    .group_segment_fixed_size: 0
    .kernarg_segment_align: 8
    .kernarg_segment_size: 176
    .language:       OpenCL C
    .language_version:
      - 2
      - 0
    .max_flat_workgroup_size: 256
    .name:           _ZN7rocprim17ROCPRIM_400000_NS6detail17trampoline_kernelINS0_13select_configILj256ELj13ELNS0_17block_load_methodE3ELS4_3ELS4_3ELNS0_20block_scan_algorithmE0ELj4294967295EEENS1_25partition_config_selectorILNS1_17partition_subalgoE4EjNS0_10empty_typeEbEEZZNS1_14partition_implILS8_4ELb0ES6_15HIP_vector_typeIjLj2EENS0_17counting_iteratorIjlEEPS9_SG_NS0_5tupleIJPjSI_NS0_16reverse_iteratorISI_EEEEENSH_IJSG_SG_SG_EEES9_SI_JZNS1_25segmented_radix_sort_implINS0_14default_configELb1EPKdPdPKlPlN2at6native12_GLOBAL__N_18offset_tEEE10hipError_tPvRmT1_PNSt15iterator_traitsIS12_E10value_typeET2_T3_PNS13_IS18_E10value_typeET4_jRbjT5_S1E_jjP12ihipStream_tbEUljE_ZNSN_ISO_Lb1ESQ_SR_ST_SU_SY_EESZ_S10_S11_S12_S16_S17_S18_S1B_S1C_jS1D_jS1E_S1E_jjS1G_bEUljE0_EEESZ_S10_S11_S18_S1C_S1E_T6_T7_T9_mT8_S1G_bDpT10_ENKUlT_T0_E_clISt17integral_constantIbLb0EES1U_EEDaS1P_S1Q_EUlS1P_E_NS1_11comp_targetILNS1_3genE8ELNS1_11target_archE1030ELNS1_3gpuE2ELNS1_3repE0EEENS1_30default_config_static_selectorELNS0_4arch9wavefront6targetE0EEEvS12_
    .private_segment_fixed_size: 0
    .sgpr_count:     0
    .sgpr_spill_count: 0
    .symbol:         _ZN7rocprim17ROCPRIM_400000_NS6detail17trampoline_kernelINS0_13select_configILj256ELj13ELNS0_17block_load_methodE3ELS4_3ELS4_3ELNS0_20block_scan_algorithmE0ELj4294967295EEENS1_25partition_config_selectorILNS1_17partition_subalgoE4EjNS0_10empty_typeEbEEZZNS1_14partition_implILS8_4ELb0ES6_15HIP_vector_typeIjLj2EENS0_17counting_iteratorIjlEEPS9_SG_NS0_5tupleIJPjSI_NS0_16reverse_iteratorISI_EEEEENSH_IJSG_SG_SG_EEES9_SI_JZNS1_25segmented_radix_sort_implINS0_14default_configELb1EPKdPdPKlPlN2at6native12_GLOBAL__N_18offset_tEEE10hipError_tPvRmT1_PNSt15iterator_traitsIS12_E10value_typeET2_T3_PNS13_IS18_E10value_typeET4_jRbjT5_S1E_jjP12ihipStream_tbEUljE_ZNSN_ISO_Lb1ESQ_SR_ST_SU_SY_EESZ_S10_S11_S12_S16_S17_S18_S1B_S1C_jS1D_jS1E_S1E_jjS1G_bEUljE0_EEESZ_S10_S11_S18_S1C_S1E_T6_T7_T9_mT8_S1G_bDpT10_ENKUlT_T0_E_clISt17integral_constantIbLb0EES1U_EEDaS1P_S1Q_EUlS1P_E_NS1_11comp_targetILNS1_3genE8ELNS1_11target_archE1030ELNS1_3gpuE2ELNS1_3repE0EEENS1_30default_config_static_selectorELNS0_4arch9wavefront6targetE0EEEvS12_.kd
    .uniform_work_group_size: 1
    .uses_dynamic_stack: false
    .vgpr_count:     0
    .vgpr_spill_count: 0
    .wavefront_size: 32
    .workgroup_processor_mode: 1
  - .args:
      - .offset:         0
        .size:           184
        .value_kind:     by_value
    .group_segment_fixed_size: 0
    .kernarg_segment_align: 8
    .kernarg_segment_size: 184
    .language:       OpenCL C
    .language_version:
      - 2
      - 0
    .max_flat_workgroup_size: 256
    .name:           _ZN7rocprim17ROCPRIM_400000_NS6detail17trampoline_kernelINS0_13select_configILj256ELj13ELNS0_17block_load_methodE3ELS4_3ELS4_3ELNS0_20block_scan_algorithmE0ELj4294967295EEENS1_25partition_config_selectorILNS1_17partition_subalgoE4EjNS0_10empty_typeEbEEZZNS1_14partition_implILS8_4ELb0ES6_15HIP_vector_typeIjLj2EENS0_17counting_iteratorIjlEEPS9_SG_NS0_5tupleIJPjSI_NS0_16reverse_iteratorISI_EEEEENSH_IJSG_SG_SG_EEES9_SI_JZNS1_25segmented_radix_sort_implINS0_14default_configELb1EPKdPdPKlPlN2at6native12_GLOBAL__N_18offset_tEEE10hipError_tPvRmT1_PNSt15iterator_traitsIS12_E10value_typeET2_T3_PNS13_IS18_E10value_typeET4_jRbjT5_S1E_jjP12ihipStream_tbEUljE_ZNSN_ISO_Lb1ESQ_SR_ST_SU_SY_EESZ_S10_S11_S12_S16_S17_S18_S1B_S1C_jS1D_jS1E_S1E_jjS1G_bEUljE0_EEESZ_S10_S11_S18_S1C_S1E_T6_T7_T9_mT8_S1G_bDpT10_ENKUlT_T0_E_clISt17integral_constantIbLb1EES1U_EEDaS1P_S1Q_EUlS1P_E_NS1_11comp_targetILNS1_3genE0ELNS1_11target_archE4294967295ELNS1_3gpuE0ELNS1_3repE0EEENS1_30default_config_static_selectorELNS0_4arch9wavefront6targetE0EEEvS12_
    .private_segment_fixed_size: 0
    .sgpr_count:     0
    .sgpr_spill_count: 0
    .symbol:         _ZN7rocprim17ROCPRIM_400000_NS6detail17trampoline_kernelINS0_13select_configILj256ELj13ELNS0_17block_load_methodE3ELS4_3ELS4_3ELNS0_20block_scan_algorithmE0ELj4294967295EEENS1_25partition_config_selectorILNS1_17partition_subalgoE4EjNS0_10empty_typeEbEEZZNS1_14partition_implILS8_4ELb0ES6_15HIP_vector_typeIjLj2EENS0_17counting_iteratorIjlEEPS9_SG_NS0_5tupleIJPjSI_NS0_16reverse_iteratorISI_EEEEENSH_IJSG_SG_SG_EEES9_SI_JZNS1_25segmented_radix_sort_implINS0_14default_configELb1EPKdPdPKlPlN2at6native12_GLOBAL__N_18offset_tEEE10hipError_tPvRmT1_PNSt15iterator_traitsIS12_E10value_typeET2_T3_PNS13_IS18_E10value_typeET4_jRbjT5_S1E_jjP12ihipStream_tbEUljE_ZNSN_ISO_Lb1ESQ_SR_ST_SU_SY_EESZ_S10_S11_S12_S16_S17_S18_S1B_S1C_jS1D_jS1E_S1E_jjS1G_bEUljE0_EEESZ_S10_S11_S18_S1C_S1E_T6_T7_T9_mT8_S1G_bDpT10_ENKUlT_T0_E_clISt17integral_constantIbLb1EES1U_EEDaS1P_S1Q_EUlS1P_E_NS1_11comp_targetILNS1_3genE0ELNS1_11target_archE4294967295ELNS1_3gpuE0ELNS1_3repE0EEENS1_30default_config_static_selectorELNS0_4arch9wavefront6targetE0EEEvS12_.kd
    .uniform_work_group_size: 1
    .uses_dynamic_stack: false
    .vgpr_count:     0
    .vgpr_spill_count: 0
    .wavefront_size: 32
    .workgroup_processor_mode: 1
  - .args:
      - .offset:         0
        .size:           184
        .value_kind:     by_value
    .group_segment_fixed_size: 0
    .kernarg_segment_align: 8
    .kernarg_segment_size: 184
    .language:       OpenCL C
    .language_version:
      - 2
      - 0
    .max_flat_workgroup_size: 256
    .name:           _ZN7rocprim17ROCPRIM_400000_NS6detail17trampoline_kernelINS0_13select_configILj256ELj13ELNS0_17block_load_methodE3ELS4_3ELS4_3ELNS0_20block_scan_algorithmE0ELj4294967295EEENS1_25partition_config_selectorILNS1_17partition_subalgoE4EjNS0_10empty_typeEbEEZZNS1_14partition_implILS8_4ELb0ES6_15HIP_vector_typeIjLj2EENS0_17counting_iteratorIjlEEPS9_SG_NS0_5tupleIJPjSI_NS0_16reverse_iteratorISI_EEEEENSH_IJSG_SG_SG_EEES9_SI_JZNS1_25segmented_radix_sort_implINS0_14default_configELb1EPKdPdPKlPlN2at6native12_GLOBAL__N_18offset_tEEE10hipError_tPvRmT1_PNSt15iterator_traitsIS12_E10value_typeET2_T3_PNS13_IS18_E10value_typeET4_jRbjT5_S1E_jjP12ihipStream_tbEUljE_ZNSN_ISO_Lb1ESQ_SR_ST_SU_SY_EESZ_S10_S11_S12_S16_S17_S18_S1B_S1C_jS1D_jS1E_S1E_jjS1G_bEUljE0_EEESZ_S10_S11_S18_S1C_S1E_T6_T7_T9_mT8_S1G_bDpT10_ENKUlT_T0_E_clISt17integral_constantIbLb1EES1U_EEDaS1P_S1Q_EUlS1P_E_NS1_11comp_targetILNS1_3genE5ELNS1_11target_archE942ELNS1_3gpuE9ELNS1_3repE0EEENS1_30default_config_static_selectorELNS0_4arch9wavefront6targetE0EEEvS12_
    .private_segment_fixed_size: 0
    .sgpr_count:     0
    .sgpr_spill_count: 0
    .symbol:         _ZN7rocprim17ROCPRIM_400000_NS6detail17trampoline_kernelINS0_13select_configILj256ELj13ELNS0_17block_load_methodE3ELS4_3ELS4_3ELNS0_20block_scan_algorithmE0ELj4294967295EEENS1_25partition_config_selectorILNS1_17partition_subalgoE4EjNS0_10empty_typeEbEEZZNS1_14partition_implILS8_4ELb0ES6_15HIP_vector_typeIjLj2EENS0_17counting_iteratorIjlEEPS9_SG_NS0_5tupleIJPjSI_NS0_16reverse_iteratorISI_EEEEENSH_IJSG_SG_SG_EEES9_SI_JZNS1_25segmented_radix_sort_implINS0_14default_configELb1EPKdPdPKlPlN2at6native12_GLOBAL__N_18offset_tEEE10hipError_tPvRmT1_PNSt15iterator_traitsIS12_E10value_typeET2_T3_PNS13_IS18_E10value_typeET4_jRbjT5_S1E_jjP12ihipStream_tbEUljE_ZNSN_ISO_Lb1ESQ_SR_ST_SU_SY_EESZ_S10_S11_S12_S16_S17_S18_S1B_S1C_jS1D_jS1E_S1E_jjS1G_bEUljE0_EEESZ_S10_S11_S18_S1C_S1E_T6_T7_T9_mT8_S1G_bDpT10_ENKUlT_T0_E_clISt17integral_constantIbLb1EES1U_EEDaS1P_S1Q_EUlS1P_E_NS1_11comp_targetILNS1_3genE5ELNS1_11target_archE942ELNS1_3gpuE9ELNS1_3repE0EEENS1_30default_config_static_selectorELNS0_4arch9wavefront6targetE0EEEvS12_.kd
    .uniform_work_group_size: 1
    .uses_dynamic_stack: false
    .vgpr_count:     0
    .vgpr_spill_count: 0
    .wavefront_size: 32
    .workgroup_processor_mode: 1
  - .args:
      - .offset:         0
        .size:           184
        .value_kind:     by_value
    .group_segment_fixed_size: 0
    .kernarg_segment_align: 8
    .kernarg_segment_size: 184
    .language:       OpenCL C
    .language_version:
      - 2
      - 0
    .max_flat_workgroup_size: 256
    .name:           _ZN7rocprim17ROCPRIM_400000_NS6detail17trampoline_kernelINS0_13select_configILj256ELj13ELNS0_17block_load_methodE3ELS4_3ELS4_3ELNS0_20block_scan_algorithmE0ELj4294967295EEENS1_25partition_config_selectorILNS1_17partition_subalgoE4EjNS0_10empty_typeEbEEZZNS1_14partition_implILS8_4ELb0ES6_15HIP_vector_typeIjLj2EENS0_17counting_iteratorIjlEEPS9_SG_NS0_5tupleIJPjSI_NS0_16reverse_iteratorISI_EEEEENSH_IJSG_SG_SG_EEES9_SI_JZNS1_25segmented_radix_sort_implINS0_14default_configELb1EPKdPdPKlPlN2at6native12_GLOBAL__N_18offset_tEEE10hipError_tPvRmT1_PNSt15iterator_traitsIS12_E10value_typeET2_T3_PNS13_IS18_E10value_typeET4_jRbjT5_S1E_jjP12ihipStream_tbEUljE_ZNSN_ISO_Lb1ESQ_SR_ST_SU_SY_EESZ_S10_S11_S12_S16_S17_S18_S1B_S1C_jS1D_jS1E_S1E_jjS1G_bEUljE0_EEESZ_S10_S11_S18_S1C_S1E_T6_T7_T9_mT8_S1G_bDpT10_ENKUlT_T0_E_clISt17integral_constantIbLb1EES1U_EEDaS1P_S1Q_EUlS1P_E_NS1_11comp_targetILNS1_3genE4ELNS1_11target_archE910ELNS1_3gpuE8ELNS1_3repE0EEENS1_30default_config_static_selectorELNS0_4arch9wavefront6targetE0EEEvS12_
    .private_segment_fixed_size: 0
    .sgpr_count:     0
    .sgpr_spill_count: 0
    .symbol:         _ZN7rocprim17ROCPRIM_400000_NS6detail17trampoline_kernelINS0_13select_configILj256ELj13ELNS0_17block_load_methodE3ELS4_3ELS4_3ELNS0_20block_scan_algorithmE0ELj4294967295EEENS1_25partition_config_selectorILNS1_17partition_subalgoE4EjNS0_10empty_typeEbEEZZNS1_14partition_implILS8_4ELb0ES6_15HIP_vector_typeIjLj2EENS0_17counting_iteratorIjlEEPS9_SG_NS0_5tupleIJPjSI_NS0_16reverse_iteratorISI_EEEEENSH_IJSG_SG_SG_EEES9_SI_JZNS1_25segmented_radix_sort_implINS0_14default_configELb1EPKdPdPKlPlN2at6native12_GLOBAL__N_18offset_tEEE10hipError_tPvRmT1_PNSt15iterator_traitsIS12_E10value_typeET2_T3_PNS13_IS18_E10value_typeET4_jRbjT5_S1E_jjP12ihipStream_tbEUljE_ZNSN_ISO_Lb1ESQ_SR_ST_SU_SY_EESZ_S10_S11_S12_S16_S17_S18_S1B_S1C_jS1D_jS1E_S1E_jjS1G_bEUljE0_EEESZ_S10_S11_S18_S1C_S1E_T6_T7_T9_mT8_S1G_bDpT10_ENKUlT_T0_E_clISt17integral_constantIbLb1EES1U_EEDaS1P_S1Q_EUlS1P_E_NS1_11comp_targetILNS1_3genE4ELNS1_11target_archE910ELNS1_3gpuE8ELNS1_3repE0EEENS1_30default_config_static_selectorELNS0_4arch9wavefront6targetE0EEEvS12_.kd
    .uniform_work_group_size: 1
    .uses_dynamic_stack: false
    .vgpr_count:     0
    .vgpr_spill_count: 0
    .wavefront_size: 32
    .workgroup_processor_mode: 1
  - .args:
      - .offset:         0
        .size:           184
        .value_kind:     by_value
    .group_segment_fixed_size: 0
    .kernarg_segment_align: 8
    .kernarg_segment_size: 184
    .language:       OpenCL C
    .language_version:
      - 2
      - 0
    .max_flat_workgroup_size: 256
    .name:           _ZN7rocprim17ROCPRIM_400000_NS6detail17trampoline_kernelINS0_13select_configILj256ELj13ELNS0_17block_load_methodE3ELS4_3ELS4_3ELNS0_20block_scan_algorithmE0ELj4294967295EEENS1_25partition_config_selectorILNS1_17partition_subalgoE4EjNS0_10empty_typeEbEEZZNS1_14partition_implILS8_4ELb0ES6_15HIP_vector_typeIjLj2EENS0_17counting_iteratorIjlEEPS9_SG_NS0_5tupleIJPjSI_NS0_16reverse_iteratorISI_EEEEENSH_IJSG_SG_SG_EEES9_SI_JZNS1_25segmented_radix_sort_implINS0_14default_configELb1EPKdPdPKlPlN2at6native12_GLOBAL__N_18offset_tEEE10hipError_tPvRmT1_PNSt15iterator_traitsIS12_E10value_typeET2_T3_PNS13_IS18_E10value_typeET4_jRbjT5_S1E_jjP12ihipStream_tbEUljE_ZNSN_ISO_Lb1ESQ_SR_ST_SU_SY_EESZ_S10_S11_S12_S16_S17_S18_S1B_S1C_jS1D_jS1E_S1E_jjS1G_bEUljE0_EEESZ_S10_S11_S18_S1C_S1E_T6_T7_T9_mT8_S1G_bDpT10_ENKUlT_T0_E_clISt17integral_constantIbLb1EES1U_EEDaS1P_S1Q_EUlS1P_E_NS1_11comp_targetILNS1_3genE3ELNS1_11target_archE908ELNS1_3gpuE7ELNS1_3repE0EEENS1_30default_config_static_selectorELNS0_4arch9wavefront6targetE0EEEvS12_
    .private_segment_fixed_size: 0
    .sgpr_count:     0
    .sgpr_spill_count: 0
    .symbol:         _ZN7rocprim17ROCPRIM_400000_NS6detail17trampoline_kernelINS0_13select_configILj256ELj13ELNS0_17block_load_methodE3ELS4_3ELS4_3ELNS0_20block_scan_algorithmE0ELj4294967295EEENS1_25partition_config_selectorILNS1_17partition_subalgoE4EjNS0_10empty_typeEbEEZZNS1_14partition_implILS8_4ELb0ES6_15HIP_vector_typeIjLj2EENS0_17counting_iteratorIjlEEPS9_SG_NS0_5tupleIJPjSI_NS0_16reverse_iteratorISI_EEEEENSH_IJSG_SG_SG_EEES9_SI_JZNS1_25segmented_radix_sort_implINS0_14default_configELb1EPKdPdPKlPlN2at6native12_GLOBAL__N_18offset_tEEE10hipError_tPvRmT1_PNSt15iterator_traitsIS12_E10value_typeET2_T3_PNS13_IS18_E10value_typeET4_jRbjT5_S1E_jjP12ihipStream_tbEUljE_ZNSN_ISO_Lb1ESQ_SR_ST_SU_SY_EESZ_S10_S11_S12_S16_S17_S18_S1B_S1C_jS1D_jS1E_S1E_jjS1G_bEUljE0_EEESZ_S10_S11_S18_S1C_S1E_T6_T7_T9_mT8_S1G_bDpT10_ENKUlT_T0_E_clISt17integral_constantIbLb1EES1U_EEDaS1P_S1Q_EUlS1P_E_NS1_11comp_targetILNS1_3genE3ELNS1_11target_archE908ELNS1_3gpuE7ELNS1_3repE0EEENS1_30default_config_static_selectorELNS0_4arch9wavefront6targetE0EEEvS12_.kd
    .uniform_work_group_size: 1
    .uses_dynamic_stack: false
    .vgpr_count:     0
    .vgpr_spill_count: 0
    .wavefront_size: 32
    .workgroup_processor_mode: 1
  - .args:
      - .offset:         0
        .size:           184
        .value_kind:     by_value
    .group_segment_fixed_size: 0
    .kernarg_segment_align: 8
    .kernarg_segment_size: 184
    .language:       OpenCL C
    .language_version:
      - 2
      - 0
    .max_flat_workgroup_size: 256
    .name:           _ZN7rocprim17ROCPRIM_400000_NS6detail17trampoline_kernelINS0_13select_configILj256ELj13ELNS0_17block_load_methodE3ELS4_3ELS4_3ELNS0_20block_scan_algorithmE0ELj4294967295EEENS1_25partition_config_selectorILNS1_17partition_subalgoE4EjNS0_10empty_typeEbEEZZNS1_14partition_implILS8_4ELb0ES6_15HIP_vector_typeIjLj2EENS0_17counting_iteratorIjlEEPS9_SG_NS0_5tupleIJPjSI_NS0_16reverse_iteratorISI_EEEEENSH_IJSG_SG_SG_EEES9_SI_JZNS1_25segmented_radix_sort_implINS0_14default_configELb1EPKdPdPKlPlN2at6native12_GLOBAL__N_18offset_tEEE10hipError_tPvRmT1_PNSt15iterator_traitsIS12_E10value_typeET2_T3_PNS13_IS18_E10value_typeET4_jRbjT5_S1E_jjP12ihipStream_tbEUljE_ZNSN_ISO_Lb1ESQ_SR_ST_SU_SY_EESZ_S10_S11_S12_S16_S17_S18_S1B_S1C_jS1D_jS1E_S1E_jjS1G_bEUljE0_EEESZ_S10_S11_S18_S1C_S1E_T6_T7_T9_mT8_S1G_bDpT10_ENKUlT_T0_E_clISt17integral_constantIbLb1EES1U_EEDaS1P_S1Q_EUlS1P_E_NS1_11comp_targetILNS1_3genE2ELNS1_11target_archE906ELNS1_3gpuE6ELNS1_3repE0EEENS1_30default_config_static_selectorELNS0_4arch9wavefront6targetE0EEEvS12_
    .private_segment_fixed_size: 0
    .sgpr_count:     0
    .sgpr_spill_count: 0
    .symbol:         _ZN7rocprim17ROCPRIM_400000_NS6detail17trampoline_kernelINS0_13select_configILj256ELj13ELNS0_17block_load_methodE3ELS4_3ELS4_3ELNS0_20block_scan_algorithmE0ELj4294967295EEENS1_25partition_config_selectorILNS1_17partition_subalgoE4EjNS0_10empty_typeEbEEZZNS1_14partition_implILS8_4ELb0ES6_15HIP_vector_typeIjLj2EENS0_17counting_iteratorIjlEEPS9_SG_NS0_5tupleIJPjSI_NS0_16reverse_iteratorISI_EEEEENSH_IJSG_SG_SG_EEES9_SI_JZNS1_25segmented_radix_sort_implINS0_14default_configELb1EPKdPdPKlPlN2at6native12_GLOBAL__N_18offset_tEEE10hipError_tPvRmT1_PNSt15iterator_traitsIS12_E10value_typeET2_T3_PNS13_IS18_E10value_typeET4_jRbjT5_S1E_jjP12ihipStream_tbEUljE_ZNSN_ISO_Lb1ESQ_SR_ST_SU_SY_EESZ_S10_S11_S12_S16_S17_S18_S1B_S1C_jS1D_jS1E_S1E_jjS1G_bEUljE0_EEESZ_S10_S11_S18_S1C_S1E_T6_T7_T9_mT8_S1G_bDpT10_ENKUlT_T0_E_clISt17integral_constantIbLb1EES1U_EEDaS1P_S1Q_EUlS1P_E_NS1_11comp_targetILNS1_3genE2ELNS1_11target_archE906ELNS1_3gpuE6ELNS1_3repE0EEENS1_30default_config_static_selectorELNS0_4arch9wavefront6targetE0EEEvS12_.kd
    .uniform_work_group_size: 1
    .uses_dynamic_stack: false
    .vgpr_count:     0
    .vgpr_spill_count: 0
    .wavefront_size: 32
    .workgroup_processor_mode: 1
  - .args:
      - .offset:         0
        .size:           184
        .value_kind:     by_value
    .group_segment_fixed_size: 0
    .kernarg_segment_align: 8
    .kernarg_segment_size: 184
    .language:       OpenCL C
    .language_version:
      - 2
      - 0
    .max_flat_workgroup_size: 256
    .name:           _ZN7rocprim17ROCPRIM_400000_NS6detail17trampoline_kernelINS0_13select_configILj256ELj13ELNS0_17block_load_methodE3ELS4_3ELS4_3ELNS0_20block_scan_algorithmE0ELj4294967295EEENS1_25partition_config_selectorILNS1_17partition_subalgoE4EjNS0_10empty_typeEbEEZZNS1_14partition_implILS8_4ELb0ES6_15HIP_vector_typeIjLj2EENS0_17counting_iteratorIjlEEPS9_SG_NS0_5tupleIJPjSI_NS0_16reverse_iteratorISI_EEEEENSH_IJSG_SG_SG_EEES9_SI_JZNS1_25segmented_radix_sort_implINS0_14default_configELb1EPKdPdPKlPlN2at6native12_GLOBAL__N_18offset_tEEE10hipError_tPvRmT1_PNSt15iterator_traitsIS12_E10value_typeET2_T3_PNS13_IS18_E10value_typeET4_jRbjT5_S1E_jjP12ihipStream_tbEUljE_ZNSN_ISO_Lb1ESQ_SR_ST_SU_SY_EESZ_S10_S11_S12_S16_S17_S18_S1B_S1C_jS1D_jS1E_S1E_jjS1G_bEUljE0_EEESZ_S10_S11_S18_S1C_S1E_T6_T7_T9_mT8_S1G_bDpT10_ENKUlT_T0_E_clISt17integral_constantIbLb1EES1U_EEDaS1P_S1Q_EUlS1P_E_NS1_11comp_targetILNS1_3genE10ELNS1_11target_archE1200ELNS1_3gpuE4ELNS1_3repE0EEENS1_30default_config_static_selectorELNS0_4arch9wavefront6targetE0EEEvS12_
    .private_segment_fixed_size: 0
    .sgpr_count:     0
    .sgpr_spill_count: 0
    .symbol:         _ZN7rocprim17ROCPRIM_400000_NS6detail17trampoline_kernelINS0_13select_configILj256ELj13ELNS0_17block_load_methodE3ELS4_3ELS4_3ELNS0_20block_scan_algorithmE0ELj4294967295EEENS1_25partition_config_selectorILNS1_17partition_subalgoE4EjNS0_10empty_typeEbEEZZNS1_14partition_implILS8_4ELb0ES6_15HIP_vector_typeIjLj2EENS0_17counting_iteratorIjlEEPS9_SG_NS0_5tupleIJPjSI_NS0_16reverse_iteratorISI_EEEEENSH_IJSG_SG_SG_EEES9_SI_JZNS1_25segmented_radix_sort_implINS0_14default_configELb1EPKdPdPKlPlN2at6native12_GLOBAL__N_18offset_tEEE10hipError_tPvRmT1_PNSt15iterator_traitsIS12_E10value_typeET2_T3_PNS13_IS18_E10value_typeET4_jRbjT5_S1E_jjP12ihipStream_tbEUljE_ZNSN_ISO_Lb1ESQ_SR_ST_SU_SY_EESZ_S10_S11_S12_S16_S17_S18_S1B_S1C_jS1D_jS1E_S1E_jjS1G_bEUljE0_EEESZ_S10_S11_S18_S1C_S1E_T6_T7_T9_mT8_S1G_bDpT10_ENKUlT_T0_E_clISt17integral_constantIbLb1EES1U_EEDaS1P_S1Q_EUlS1P_E_NS1_11comp_targetILNS1_3genE10ELNS1_11target_archE1200ELNS1_3gpuE4ELNS1_3repE0EEENS1_30default_config_static_selectorELNS0_4arch9wavefront6targetE0EEEvS12_.kd
    .uniform_work_group_size: 1
    .uses_dynamic_stack: false
    .vgpr_count:     0
    .vgpr_spill_count: 0
    .wavefront_size: 32
    .workgroup_processor_mode: 1
  - .args:
      - .offset:         0
        .size:           184
        .value_kind:     by_value
    .group_segment_fixed_size: 0
    .kernarg_segment_align: 8
    .kernarg_segment_size: 184
    .language:       OpenCL C
    .language_version:
      - 2
      - 0
    .max_flat_workgroup_size: 256
    .name:           _ZN7rocprim17ROCPRIM_400000_NS6detail17trampoline_kernelINS0_13select_configILj256ELj13ELNS0_17block_load_methodE3ELS4_3ELS4_3ELNS0_20block_scan_algorithmE0ELj4294967295EEENS1_25partition_config_selectorILNS1_17partition_subalgoE4EjNS0_10empty_typeEbEEZZNS1_14partition_implILS8_4ELb0ES6_15HIP_vector_typeIjLj2EENS0_17counting_iteratorIjlEEPS9_SG_NS0_5tupleIJPjSI_NS0_16reverse_iteratorISI_EEEEENSH_IJSG_SG_SG_EEES9_SI_JZNS1_25segmented_radix_sort_implINS0_14default_configELb1EPKdPdPKlPlN2at6native12_GLOBAL__N_18offset_tEEE10hipError_tPvRmT1_PNSt15iterator_traitsIS12_E10value_typeET2_T3_PNS13_IS18_E10value_typeET4_jRbjT5_S1E_jjP12ihipStream_tbEUljE_ZNSN_ISO_Lb1ESQ_SR_ST_SU_SY_EESZ_S10_S11_S12_S16_S17_S18_S1B_S1C_jS1D_jS1E_S1E_jjS1G_bEUljE0_EEESZ_S10_S11_S18_S1C_S1E_T6_T7_T9_mT8_S1G_bDpT10_ENKUlT_T0_E_clISt17integral_constantIbLb1EES1U_EEDaS1P_S1Q_EUlS1P_E_NS1_11comp_targetILNS1_3genE9ELNS1_11target_archE1100ELNS1_3gpuE3ELNS1_3repE0EEENS1_30default_config_static_selectorELNS0_4arch9wavefront6targetE0EEEvS12_
    .private_segment_fixed_size: 0
    .sgpr_count:     0
    .sgpr_spill_count: 0
    .symbol:         _ZN7rocprim17ROCPRIM_400000_NS6detail17trampoline_kernelINS0_13select_configILj256ELj13ELNS0_17block_load_methodE3ELS4_3ELS4_3ELNS0_20block_scan_algorithmE0ELj4294967295EEENS1_25partition_config_selectorILNS1_17partition_subalgoE4EjNS0_10empty_typeEbEEZZNS1_14partition_implILS8_4ELb0ES6_15HIP_vector_typeIjLj2EENS0_17counting_iteratorIjlEEPS9_SG_NS0_5tupleIJPjSI_NS0_16reverse_iteratorISI_EEEEENSH_IJSG_SG_SG_EEES9_SI_JZNS1_25segmented_radix_sort_implINS0_14default_configELb1EPKdPdPKlPlN2at6native12_GLOBAL__N_18offset_tEEE10hipError_tPvRmT1_PNSt15iterator_traitsIS12_E10value_typeET2_T3_PNS13_IS18_E10value_typeET4_jRbjT5_S1E_jjP12ihipStream_tbEUljE_ZNSN_ISO_Lb1ESQ_SR_ST_SU_SY_EESZ_S10_S11_S12_S16_S17_S18_S1B_S1C_jS1D_jS1E_S1E_jjS1G_bEUljE0_EEESZ_S10_S11_S18_S1C_S1E_T6_T7_T9_mT8_S1G_bDpT10_ENKUlT_T0_E_clISt17integral_constantIbLb1EES1U_EEDaS1P_S1Q_EUlS1P_E_NS1_11comp_targetILNS1_3genE9ELNS1_11target_archE1100ELNS1_3gpuE3ELNS1_3repE0EEENS1_30default_config_static_selectorELNS0_4arch9wavefront6targetE0EEEvS12_.kd
    .uniform_work_group_size: 1
    .uses_dynamic_stack: false
    .vgpr_count:     0
    .vgpr_spill_count: 0
    .wavefront_size: 32
    .workgroup_processor_mode: 1
  - .args:
      - .offset:         0
        .size:           184
        .value_kind:     by_value
    .group_segment_fixed_size: 0
    .kernarg_segment_align: 8
    .kernarg_segment_size: 184
    .language:       OpenCL C
    .language_version:
      - 2
      - 0
    .max_flat_workgroup_size: 256
    .name:           _ZN7rocprim17ROCPRIM_400000_NS6detail17trampoline_kernelINS0_13select_configILj256ELj13ELNS0_17block_load_methodE3ELS4_3ELS4_3ELNS0_20block_scan_algorithmE0ELj4294967295EEENS1_25partition_config_selectorILNS1_17partition_subalgoE4EjNS0_10empty_typeEbEEZZNS1_14partition_implILS8_4ELb0ES6_15HIP_vector_typeIjLj2EENS0_17counting_iteratorIjlEEPS9_SG_NS0_5tupleIJPjSI_NS0_16reverse_iteratorISI_EEEEENSH_IJSG_SG_SG_EEES9_SI_JZNS1_25segmented_radix_sort_implINS0_14default_configELb1EPKdPdPKlPlN2at6native12_GLOBAL__N_18offset_tEEE10hipError_tPvRmT1_PNSt15iterator_traitsIS12_E10value_typeET2_T3_PNS13_IS18_E10value_typeET4_jRbjT5_S1E_jjP12ihipStream_tbEUljE_ZNSN_ISO_Lb1ESQ_SR_ST_SU_SY_EESZ_S10_S11_S12_S16_S17_S18_S1B_S1C_jS1D_jS1E_S1E_jjS1G_bEUljE0_EEESZ_S10_S11_S18_S1C_S1E_T6_T7_T9_mT8_S1G_bDpT10_ENKUlT_T0_E_clISt17integral_constantIbLb1EES1U_EEDaS1P_S1Q_EUlS1P_E_NS1_11comp_targetILNS1_3genE8ELNS1_11target_archE1030ELNS1_3gpuE2ELNS1_3repE0EEENS1_30default_config_static_selectorELNS0_4arch9wavefront6targetE0EEEvS12_
    .private_segment_fixed_size: 0
    .sgpr_count:     0
    .sgpr_spill_count: 0
    .symbol:         _ZN7rocprim17ROCPRIM_400000_NS6detail17trampoline_kernelINS0_13select_configILj256ELj13ELNS0_17block_load_methodE3ELS4_3ELS4_3ELNS0_20block_scan_algorithmE0ELj4294967295EEENS1_25partition_config_selectorILNS1_17partition_subalgoE4EjNS0_10empty_typeEbEEZZNS1_14partition_implILS8_4ELb0ES6_15HIP_vector_typeIjLj2EENS0_17counting_iteratorIjlEEPS9_SG_NS0_5tupleIJPjSI_NS0_16reverse_iteratorISI_EEEEENSH_IJSG_SG_SG_EEES9_SI_JZNS1_25segmented_radix_sort_implINS0_14default_configELb1EPKdPdPKlPlN2at6native12_GLOBAL__N_18offset_tEEE10hipError_tPvRmT1_PNSt15iterator_traitsIS12_E10value_typeET2_T3_PNS13_IS18_E10value_typeET4_jRbjT5_S1E_jjP12ihipStream_tbEUljE_ZNSN_ISO_Lb1ESQ_SR_ST_SU_SY_EESZ_S10_S11_S12_S16_S17_S18_S1B_S1C_jS1D_jS1E_S1E_jjS1G_bEUljE0_EEESZ_S10_S11_S18_S1C_S1E_T6_T7_T9_mT8_S1G_bDpT10_ENKUlT_T0_E_clISt17integral_constantIbLb1EES1U_EEDaS1P_S1Q_EUlS1P_E_NS1_11comp_targetILNS1_3genE8ELNS1_11target_archE1030ELNS1_3gpuE2ELNS1_3repE0EEENS1_30default_config_static_selectorELNS0_4arch9wavefront6targetE0EEEvS12_.kd
    .uniform_work_group_size: 1
    .uses_dynamic_stack: false
    .vgpr_count:     0
    .vgpr_spill_count: 0
    .wavefront_size: 32
    .workgroup_processor_mode: 1
  - .args:
      - .offset:         0
        .size:           176
        .value_kind:     by_value
    .group_segment_fixed_size: 0
    .kernarg_segment_align: 8
    .kernarg_segment_size: 176
    .language:       OpenCL C
    .language_version:
      - 2
      - 0
    .max_flat_workgroup_size: 256
    .name:           _ZN7rocprim17ROCPRIM_400000_NS6detail17trampoline_kernelINS0_13select_configILj256ELj13ELNS0_17block_load_methodE3ELS4_3ELS4_3ELNS0_20block_scan_algorithmE0ELj4294967295EEENS1_25partition_config_selectorILNS1_17partition_subalgoE4EjNS0_10empty_typeEbEEZZNS1_14partition_implILS8_4ELb0ES6_15HIP_vector_typeIjLj2EENS0_17counting_iteratorIjlEEPS9_SG_NS0_5tupleIJPjSI_NS0_16reverse_iteratorISI_EEEEENSH_IJSG_SG_SG_EEES9_SI_JZNS1_25segmented_radix_sort_implINS0_14default_configELb1EPKdPdPKlPlN2at6native12_GLOBAL__N_18offset_tEEE10hipError_tPvRmT1_PNSt15iterator_traitsIS12_E10value_typeET2_T3_PNS13_IS18_E10value_typeET4_jRbjT5_S1E_jjP12ihipStream_tbEUljE_ZNSN_ISO_Lb1ESQ_SR_ST_SU_SY_EESZ_S10_S11_S12_S16_S17_S18_S1B_S1C_jS1D_jS1E_S1E_jjS1G_bEUljE0_EEESZ_S10_S11_S18_S1C_S1E_T6_T7_T9_mT8_S1G_bDpT10_ENKUlT_T0_E_clISt17integral_constantIbLb1EES1T_IbLb0EEEEDaS1P_S1Q_EUlS1P_E_NS1_11comp_targetILNS1_3genE0ELNS1_11target_archE4294967295ELNS1_3gpuE0ELNS1_3repE0EEENS1_30default_config_static_selectorELNS0_4arch9wavefront6targetE0EEEvS12_
    .private_segment_fixed_size: 0
    .sgpr_count:     0
    .sgpr_spill_count: 0
    .symbol:         _ZN7rocprim17ROCPRIM_400000_NS6detail17trampoline_kernelINS0_13select_configILj256ELj13ELNS0_17block_load_methodE3ELS4_3ELS4_3ELNS0_20block_scan_algorithmE0ELj4294967295EEENS1_25partition_config_selectorILNS1_17partition_subalgoE4EjNS0_10empty_typeEbEEZZNS1_14partition_implILS8_4ELb0ES6_15HIP_vector_typeIjLj2EENS0_17counting_iteratorIjlEEPS9_SG_NS0_5tupleIJPjSI_NS0_16reverse_iteratorISI_EEEEENSH_IJSG_SG_SG_EEES9_SI_JZNS1_25segmented_radix_sort_implINS0_14default_configELb1EPKdPdPKlPlN2at6native12_GLOBAL__N_18offset_tEEE10hipError_tPvRmT1_PNSt15iterator_traitsIS12_E10value_typeET2_T3_PNS13_IS18_E10value_typeET4_jRbjT5_S1E_jjP12ihipStream_tbEUljE_ZNSN_ISO_Lb1ESQ_SR_ST_SU_SY_EESZ_S10_S11_S12_S16_S17_S18_S1B_S1C_jS1D_jS1E_S1E_jjS1G_bEUljE0_EEESZ_S10_S11_S18_S1C_S1E_T6_T7_T9_mT8_S1G_bDpT10_ENKUlT_T0_E_clISt17integral_constantIbLb1EES1T_IbLb0EEEEDaS1P_S1Q_EUlS1P_E_NS1_11comp_targetILNS1_3genE0ELNS1_11target_archE4294967295ELNS1_3gpuE0ELNS1_3repE0EEENS1_30default_config_static_selectorELNS0_4arch9wavefront6targetE0EEEvS12_.kd
    .uniform_work_group_size: 1
    .uses_dynamic_stack: false
    .vgpr_count:     0
    .vgpr_spill_count: 0
    .wavefront_size: 32
    .workgroup_processor_mode: 1
  - .args:
      - .offset:         0
        .size:           176
        .value_kind:     by_value
    .group_segment_fixed_size: 0
    .kernarg_segment_align: 8
    .kernarg_segment_size: 176
    .language:       OpenCL C
    .language_version:
      - 2
      - 0
    .max_flat_workgroup_size: 256
    .name:           _ZN7rocprim17ROCPRIM_400000_NS6detail17trampoline_kernelINS0_13select_configILj256ELj13ELNS0_17block_load_methodE3ELS4_3ELS4_3ELNS0_20block_scan_algorithmE0ELj4294967295EEENS1_25partition_config_selectorILNS1_17partition_subalgoE4EjNS0_10empty_typeEbEEZZNS1_14partition_implILS8_4ELb0ES6_15HIP_vector_typeIjLj2EENS0_17counting_iteratorIjlEEPS9_SG_NS0_5tupleIJPjSI_NS0_16reverse_iteratorISI_EEEEENSH_IJSG_SG_SG_EEES9_SI_JZNS1_25segmented_radix_sort_implINS0_14default_configELb1EPKdPdPKlPlN2at6native12_GLOBAL__N_18offset_tEEE10hipError_tPvRmT1_PNSt15iterator_traitsIS12_E10value_typeET2_T3_PNS13_IS18_E10value_typeET4_jRbjT5_S1E_jjP12ihipStream_tbEUljE_ZNSN_ISO_Lb1ESQ_SR_ST_SU_SY_EESZ_S10_S11_S12_S16_S17_S18_S1B_S1C_jS1D_jS1E_S1E_jjS1G_bEUljE0_EEESZ_S10_S11_S18_S1C_S1E_T6_T7_T9_mT8_S1G_bDpT10_ENKUlT_T0_E_clISt17integral_constantIbLb1EES1T_IbLb0EEEEDaS1P_S1Q_EUlS1P_E_NS1_11comp_targetILNS1_3genE5ELNS1_11target_archE942ELNS1_3gpuE9ELNS1_3repE0EEENS1_30default_config_static_selectorELNS0_4arch9wavefront6targetE0EEEvS12_
    .private_segment_fixed_size: 0
    .sgpr_count:     0
    .sgpr_spill_count: 0
    .symbol:         _ZN7rocprim17ROCPRIM_400000_NS6detail17trampoline_kernelINS0_13select_configILj256ELj13ELNS0_17block_load_methodE3ELS4_3ELS4_3ELNS0_20block_scan_algorithmE0ELj4294967295EEENS1_25partition_config_selectorILNS1_17partition_subalgoE4EjNS0_10empty_typeEbEEZZNS1_14partition_implILS8_4ELb0ES6_15HIP_vector_typeIjLj2EENS0_17counting_iteratorIjlEEPS9_SG_NS0_5tupleIJPjSI_NS0_16reverse_iteratorISI_EEEEENSH_IJSG_SG_SG_EEES9_SI_JZNS1_25segmented_radix_sort_implINS0_14default_configELb1EPKdPdPKlPlN2at6native12_GLOBAL__N_18offset_tEEE10hipError_tPvRmT1_PNSt15iterator_traitsIS12_E10value_typeET2_T3_PNS13_IS18_E10value_typeET4_jRbjT5_S1E_jjP12ihipStream_tbEUljE_ZNSN_ISO_Lb1ESQ_SR_ST_SU_SY_EESZ_S10_S11_S12_S16_S17_S18_S1B_S1C_jS1D_jS1E_S1E_jjS1G_bEUljE0_EEESZ_S10_S11_S18_S1C_S1E_T6_T7_T9_mT8_S1G_bDpT10_ENKUlT_T0_E_clISt17integral_constantIbLb1EES1T_IbLb0EEEEDaS1P_S1Q_EUlS1P_E_NS1_11comp_targetILNS1_3genE5ELNS1_11target_archE942ELNS1_3gpuE9ELNS1_3repE0EEENS1_30default_config_static_selectorELNS0_4arch9wavefront6targetE0EEEvS12_.kd
    .uniform_work_group_size: 1
    .uses_dynamic_stack: false
    .vgpr_count:     0
    .vgpr_spill_count: 0
    .wavefront_size: 32
    .workgroup_processor_mode: 1
  - .args:
      - .offset:         0
        .size:           176
        .value_kind:     by_value
    .group_segment_fixed_size: 0
    .kernarg_segment_align: 8
    .kernarg_segment_size: 176
    .language:       OpenCL C
    .language_version:
      - 2
      - 0
    .max_flat_workgroup_size: 256
    .name:           _ZN7rocprim17ROCPRIM_400000_NS6detail17trampoline_kernelINS0_13select_configILj256ELj13ELNS0_17block_load_methodE3ELS4_3ELS4_3ELNS0_20block_scan_algorithmE0ELj4294967295EEENS1_25partition_config_selectorILNS1_17partition_subalgoE4EjNS0_10empty_typeEbEEZZNS1_14partition_implILS8_4ELb0ES6_15HIP_vector_typeIjLj2EENS0_17counting_iteratorIjlEEPS9_SG_NS0_5tupleIJPjSI_NS0_16reverse_iteratorISI_EEEEENSH_IJSG_SG_SG_EEES9_SI_JZNS1_25segmented_radix_sort_implINS0_14default_configELb1EPKdPdPKlPlN2at6native12_GLOBAL__N_18offset_tEEE10hipError_tPvRmT1_PNSt15iterator_traitsIS12_E10value_typeET2_T3_PNS13_IS18_E10value_typeET4_jRbjT5_S1E_jjP12ihipStream_tbEUljE_ZNSN_ISO_Lb1ESQ_SR_ST_SU_SY_EESZ_S10_S11_S12_S16_S17_S18_S1B_S1C_jS1D_jS1E_S1E_jjS1G_bEUljE0_EEESZ_S10_S11_S18_S1C_S1E_T6_T7_T9_mT8_S1G_bDpT10_ENKUlT_T0_E_clISt17integral_constantIbLb1EES1T_IbLb0EEEEDaS1P_S1Q_EUlS1P_E_NS1_11comp_targetILNS1_3genE4ELNS1_11target_archE910ELNS1_3gpuE8ELNS1_3repE0EEENS1_30default_config_static_selectorELNS0_4arch9wavefront6targetE0EEEvS12_
    .private_segment_fixed_size: 0
    .sgpr_count:     0
    .sgpr_spill_count: 0
    .symbol:         _ZN7rocprim17ROCPRIM_400000_NS6detail17trampoline_kernelINS0_13select_configILj256ELj13ELNS0_17block_load_methodE3ELS4_3ELS4_3ELNS0_20block_scan_algorithmE0ELj4294967295EEENS1_25partition_config_selectorILNS1_17partition_subalgoE4EjNS0_10empty_typeEbEEZZNS1_14partition_implILS8_4ELb0ES6_15HIP_vector_typeIjLj2EENS0_17counting_iteratorIjlEEPS9_SG_NS0_5tupleIJPjSI_NS0_16reverse_iteratorISI_EEEEENSH_IJSG_SG_SG_EEES9_SI_JZNS1_25segmented_radix_sort_implINS0_14default_configELb1EPKdPdPKlPlN2at6native12_GLOBAL__N_18offset_tEEE10hipError_tPvRmT1_PNSt15iterator_traitsIS12_E10value_typeET2_T3_PNS13_IS18_E10value_typeET4_jRbjT5_S1E_jjP12ihipStream_tbEUljE_ZNSN_ISO_Lb1ESQ_SR_ST_SU_SY_EESZ_S10_S11_S12_S16_S17_S18_S1B_S1C_jS1D_jS1E_S1E_jjS1G_bEUljE0_EEESZ_S10_S11_S18_S1C_S1E_T6_T7_T9_mT8_S1G_bDpT10_ENKUlT_T0_E_clISt17integral_constantIbLb1EES1T_IbLb0EEEEDaS1P_S1Q_EUlS1P_E_NS1_11comp_targetILNS1_3genE4ELNS1_11target_archE910ELNS1_3gpuE8ELNS1_3repE0EEENS1_30default_config_static_selectorELNS0_4arch9wavefront6targetE0EEEvS12_.kd
    .uniform_work_group_size: 1
    .uses_dynamic_stack: false
    .vgpr_count:     0
    .vgpr_spill_count: 0
    .wavefront_size: 32
    .workgroup_processor_mode: 1
  - .args:
      - .offset:         0
        .size:           176
        .value_kind:     by_value
    .group_segment_fixed_size: 0
    .kernarg_segment_align: 8
    .kernarg_segment_size: 176
    .language:       OpenCL C
    .language_version:
      - 2
      - 0
    .max_flat_workgroup_size: 256
    .name:           _ZN7rocprim17ROCPRIM_400000_NS6detail17trampoline_kernelINS0_13select_configILj256ELj13ELNS0_17block_load_methodE3ELS4_3ELS4_3ELNS0_20block_scan_algorithmE0ELj4294967295EEENS1_25partition_config_selectorILNS1_17partition_subalgoE4EjNS0_10empty_typeEbEEZZNS1_14partition_implILS8_4ELb0ES6_15HIP_vector_typeIjLj2EENS0_17counting_iteratorIjlEEPS9_SG_NS0_5tupleIJPjSI_NS0_16reverse_iteratorISI_EEEEENSH_IJSG_SG_SG_EEES9_SI_JZNS1_25segmented_radix_sort_implINS0_14default_configELb1EPKdPdPKlPlN2at6native12_GLOBAL__N_18offset_tEEE10hipError_tPvRmT1_PNSt15iterator_traitsIS12_E10value_typeET2_T3_PNS13_IS18_E10value_typeET4_jRbjT5_S1E_jjP12ihipStream_tbEUljE_ZNSN_ISO_Lb1ESQ_SR_ST_SU_SY_EESZ_S10_S11_S12_S16_S17_S18_S1B_S1C_jS1D_jS1E_S1E_jjS1G_bEUljE0_EEESZ_S10_S11_S18_S1C_S1E_T6_T7_T9_mT8_S1G_bDpT10_ENKUlT_T0_E_clISt17integral_constantIbLb1EES1T_IbLb0EEEEDaS1P_S1Q_EUlS1P_E_NS1_11comp_targetILNS1_3genE3ELNS1_11target_archE908ELNS1_3gpuE7ELNS1_3repE0EEENS1_30default_config_static_selectorELNS0_4arch9wavefront6targetE0EEEvS12_
    .private_segment_fixed_size: 0
    .sgpr_count:     0
    .sgpr_spill_count: 0
    .symbol:         _ZN7rocprim17ROCPRIM_400000_NS6detail17trampoline_kernelINS0_13select_configILj256ELj13ELNS0_17block_load_methodE3ELS4_3ELS4_3ELNS0_20block_scan_algorithmE0ELj4294967295EEENS1_25partition_config_selectorILNS1_17partition_subalgoE4EjNS0_10empty_typeEbEEZZNS1_14partition_implILS8_4ELb0ES6_15HIP_vector_typeIjLj2EENS0_17counting_iteratorIjlEEPS9_SG_NS0_5tupleIJPjSI_NS0_16reverse_iteratorISI_EEEEENSH_IJSG_SG_SG_EEES9_SI_JZNS1_25segmented_radix_sort_implINS0_14default_configELb1EPKdPdPKlPlN2at6native12_GLOBAL__N_18offset_tEEE10hipError_tPvRmT1_PNSt15iterator_traitsIS12_E10value_typeET2_T3_PNS13_IS18_E10value_typeET4_jRbjT5_S1E_jjP12ihipStream_tbEUljE_ZNSN_ISO_Lb1ESQ_SR_ST_SU_SY_EESZ_S10_S11_S12_S16_S17_S18_S1B_S1C_jS1D_jS1E_S1E_jjS1G_bEUljE0_EEESZ_S10_S11_S18_S1C_S1E_T6_T7_T9_mT8_S1G_bDpT10_ENKUlT_T0_E_clISt17integral_constantIbLb1EES1T_IbLb0EEEEDaS1P_S1Q_EUlS1P_E_NS1_11comp_targetILNS1_3genE3ELNS1_11target_archE908ELNS1_3gpuE7ELNS1_3repE0EEENS1_30default_config_static_selectorELNS0_4arch9wavefront6targetE0EEEvS12_.kd
    .uniform_work_group_size: 1
    .uses_dynamic_stack: false
    .vgpr_count:     0
    .vgpr_spill_count: 0
    .wavefront_size: 32
    .workgroup_processor_mode: 1
  - .args:
      - .offset:         0
        .size:           176
        .value_kind:     by_value
    .group_segment_fixed_size: 0
    .kernarg_segment_align: 8
    .kernarg_segment_size: 176
    .language:       OpenCL C
    .language_version:
      - 2
      - 0
    .max_flat_workgroup_size: 256
    .name:           _ZN7rocprim17ROCPRIM_400000_NS6detail17trampoline_kernelINS0_13select_configILj256ELj13ELNS0_17block_load_methodE3ELS4_3ELS4_3ELNS0_20block_scan_algorithmE0ELj4294967295EEENS1_25partition_config_selectorILNS1_17partition_subalgoE4EjNS0_10empty_typeEbEEZZNS1_14partition_implILS8_4ELb0ES6_15HIP_vector_typeIjLj2EENS0_17counting_iteratorIjlEEPS9_SG_NS0_5tupleIJPjSI_NS0_16reverse_iteratorISI_EEEEENSH_IJSG_SG_SG_EEES9_SI_JZNS1_25segmented_radix_sort_implINS0_14default_configELb1EPKdPdPKlPlN2at6native12_GLOBAL__N_18offset_tEEE10hipError_tPvRmT1_PNSt15iterator_traitsIS12_E10value_typeET2_T3_PNS13_IS18_E10value_typeET4_jRbjT5_S1E_jjP12ihipStream_tbEUljE_ZNSN_ISO_Lb1ESQ_SR_ST_SU_SY_EESZ_S10_S11_S12_S16_S17_S18_S1B_S1C_jS1D_jS1E_S1E_jjS1G_bEUljE0_EEESZ_S10_S11_S18_S1C_S1E_T6_T7_T9_mT8_S1G_bDpT10_ENKUlT_T0_E_clISt17integral_constantIbLb1EES1T_IbLb0EEEEDaS1P_S1Q_EUlS1P_E_NS1_11comp_targetILNS1_3genE2ELNS1_11target_archE906ELNS1_3gpuE6ELNS1_3repE0EEENS1_30default_config_static_selectorELNS0_4arch9wavefront6targetE0EEEvS12_
    .private_segment_fixed_size: 0
    .sgpr_count:     0
    .sgpr_spill_count: 0
    .symbol:         _ZN7rocprim17ROCPRIM_400000_NS6detail17trampoline_kernelINS0_13select_configILj256ELj13ELNS0_17block_load_methodE3ELS4_3ELS4_3ELNS0_20block_scan_algorithmE0ELj4294967295EEENS1_25partition_config_selectorILNS1_17partition_subalgoE4EjNS0_10empty_typeEbEEZZNS1_14partition_implILS8_4ELb0ES6_15HIP_vector_typeIjLj2EENS0_17counting_iteratorIjlEEPS9_SG_NS0_5tupleIJPjSI_NS0_16reverse_iteratorISI_EEEEENSH_IJSG_SG_SG_EEES9_SI_JZNS1_25segmented_radix_sort_implINS0_14default_configELb1EPKdPdPKlPlN2at6native12_GLOBAL__N_18offset_tEEE10hipError_tPvRmT1_PNSt15iterator_traitsIS12_E10value_typeET2_T3_PNS13_IS18_E10value_typeET4_jRbjT5_S1E_jjP12ihipStream_tbEUljE_ZNSN_ISO_Lb1ESQ_SR_ST_SU_SY_EESZ_S10_S11_S12_S16_S17_S18_S1B_S1C_jS1D_jS1E_S1E_jjS1G_bEUljE0_EEESZ_S10_S11_S18_S1C_S1E_T6_T7_T9_mT8_S1G_bDpT10_ENKUlT_T0_E_clISt17integral_constantIbLb1EES1T_IbLb0EEEEDaS1P_S1Q_EUlS1P_E_NS1_11comp_targetILNS1_3genE2ELNS1_11target_archE906ELNS1_3gpuE6ELNS1_3repE0EEENS1_30default_config_static_selectorELNS0_4arch9wavefront6targetE0EEEvS12_.kd
    .uniform_work_group_size: 1
    .uses_dynamic_stack: false
    .vgpr_count:     0
    .vgpr_spill_count: 0
    .wavefront_size: 32
    .workgroup_processor_mode: 1
  - .args:
      - .offset:         0
        .size:           176
        .value_kind:     by_value
    .group_segment_fixed_size: 0
    .kernarg_segment_align: 8
    .kernarg_segment_size: 176
    .language:       OpenCL C
    .language_version:
      - 2
      - 0
    .max_flat_workgroup_size: 256
    .name:           _ZN7rocprim17ROCPRIM_400000_NS6detail17trampoline_kernelINS0_13select_configILj256ELj13ELNS0_17block_load_methodE3ELS4_3ELS4_3ELNS0_20block_scan_algorithmE0ELj4294967295EEENS1_25partition_config_selectorILNS1_17partition_subalgoE4EjNS0_10empty_typeEbEEZZNS1_14partition_implILS8_4ELb0ES6_15HIP_vector_typeIjLj2EENS0_17counting_iteratorIjlEEPS9_SG_NS0_5tupleIJPjSI_NS0_16reverse_iteratorISI_EEEEENSH_IJSG_SG_SG_EEES9_SI_JZNS1_25segmented_radix_sort_implINS0_14default_configELb1EPKdPdPKlPlN2at6native12_GLOBAL__N_18offset_tEEE10hipError_tPvRmT1_PNSt15iterator_traitsIS12_E10value_typeET2_T3_PNS13_IS18_E10value_typeET4_jRbjT5_S1E_jjP12ihipStream_tbEUljE_ZNSN_ISO_Lb1ESQ_SR_ST_SU_SY_EESZ_S10_S11_S12_S16_S17_S18_S1B_S1C_jS1D_jS1E_S1E_jjS1G_bEUljE0_EEESZ_S10_S11_S18_S1C_S1E_T6_T7_T9_mT8_S1G_bDpT10_ENKUlT_T0_E_clISt17integral_constantIbLb1EES1T_IbLb0EEEEDaS1P_S1Q_EUlS1P_E_NS1_11comp_targetILNS1_3genE10ELNS1_11target_archE1200ELNS1_3gpuE4ELNS1_3repE0EEENS1_30default_config_static_selectorELNS0_4arch9wavefront6targetE0EEEvS12_
    .private_segment_fixed_size: 0
    .sgpr_count:     0
    .sgpr_spill_count: 0
    .symbol:         _ZN7rocprim17ROCPRIM_400000_NS6detail17trampoline_kernelINS0_13select_configILj256ELj13ELNS0_17block_load_methodE3ELS4_3ELS4_3ELNS0_20block_scan_algorithmE0ELj4294967295EEENS1_25partition_config_selectorILNS1_17partition_subalgoE4EjNS0_10empty_typeEbEEZZNS1_14partition_implILS8_4ELb0ES6_15HIP_vector_typeIjLj2EENS0_17counting_iteratorIjlEEPS9_SG_NS0_5tupleIJPjSI_NS0_16reverse_iteratorISI_EEEEENSH_IJSG_SG_SG_EEES9_SI_JZNS1_25segmented_radix_sort_implINS0_14default_configELb1EPKdPdPKlPlN2at6native12_GLOBAL__N_18offset_tEEE10hipError_tPvRmT1_PNSt15iterator_traitsIS12_E10value_typeET2_T3_PNS13_IS18_E10value_typeET4_jRbjT5_S1E_jjP12ihipStream_tbEUljE_ZNSN_ISO_Lb1ESQ_SR_ST_SU_SY_EESZ_S10_S11_S12_S16_S17_S18_S1B_S1C_jS1D_jS1E_S1E_jjS1G_bEUljE0_EEESZ_S10_S11_S18_S1C_S1E_T6_T7_T9_mT8_S1G_bDpT10_ENKUlT_T0_E_clISt17integral_constantIbLb1EES1T_IbLb0EEEEDaS1P_S1Q_EUlS1P_E_NS1_11comp_targetILNS1_3genE10ELNS1_11target_archE1200ELNS1_3gpuE4ELNS1_3repE0EEENS1_30default_config_static_selectorELNS0_4arch9wavefront6targetE0EEEvS12_.kd
    .uniform_work_group_size: 1
    .uses_dynamic_stack: false
    .vgpr_count:     0
    .vgpr_spill_count: 0
    .wavefront_size: 32
    .workgroup_processor_mode: 1
  - .args:
      - .offset:         0
        .size:           176
        .value_kind:     by_value
    .group_segment_fixed_size: 0
    .kernarg_segment_align: 8
    .kernarg_segment_size: 176
    .language:       OpenCL C
    .language_version:
      - 2
      - 0
    .max_flat_workgroup_size: 256
    .name:           _ZN7rocprim17ROCPRIM_400000_NS6detail17trampoline_kernelINS0_13select_configILj256ELj13ELNS0_17block_load_methodE3ELS4_3ELS4_3ELNS0_20block_scan_algorithmE0ELj4294967295EEENS1_25partition_config_selectorILNS1_17partition_subalgoE4EjNS0_10empty_typeEbEEZZNS1_14partition_implILS8_4ELb0ES6_15HIP_vector_typeIjLj2EENS0_17counting_iteratorIjlEEPS9_SG_NS0_5tupleIJPjSI_NS0_16reverse_iteratorISI_EEEEENSH_IJSG_SG_SG_EEES9_SI_JZNS1_25segmented_radix_sort_implINS0_14default_configELb1EPKdPdPKlPlN2at6native12_GLOBAL__N_18offset_tEEE10hipError_tPvRmT1_PNSt15iterator_traitsIS12_E10value_typeET2_T3_PNS13_IS18_E10value_typeET4_jRbjT5_S1E_jjP12ihipStream_tbEUljE_ZNSN_ISO_Lb1ESQ_SR_ST_SU_SY_EESZ_S10_S11_S12_S16_S17_S18_S1B_S1C_jS1D_jS1E_S1E_jjS1G_bEUljE0_EEESZ_S10_S11_S18_S1C_S1E_T6_T7_T9_mT8_S1G_bDpT10_ENKUlT_T0_E_clISt17integral_constantIbLb1EES1T_IbLb0EEEEDaS1P_S1Q_EUlS1P_E_NS1_11comp_targetILNS1_3genE9ELNS1_11target_archE1100ELNS1_3gpuE3ELNS1_3repE0EEENS1_30default_config_static_selectorELNS0_4arch9wavefront6targetE0EEEvS12_
    .private_segment_fixed_size: 0
    .sgpr_count:     0
    .sgpr_spill_count: 0
    .symbol:         _ZN7rocprim17ROCPRIM_400000_NS6detail17trampoline_kernelINS0_13select_configILj256ELj13ELNS0_17block_load_methodE3ELS4_3ELS4_3ELNS0_20block_scan_algorithmE0ELj4294967295EEENS1_25partition_config_selectorILNS1_17partition_subalgoE4EjNS0_10empty_typeEbEEZZNS1_14partition_implILS8_4ELb0ES6_15HIP_vector_typeIjLj2EENS0_17counting_iteratorIjlEEPS9_SG_NS0_5tupleIJPjSI_NS0_16reverse_iteratorISI_EEEEENSH_IJSG_SG_SG_EEES9_SI_JZNS1_25segmented_radix_sort_implINS0_14default_configELb1EPKdPdPKlPlN2at6native12_GLOBAL__N_18offset_tEEE10hipError_tPvRmT1_PNSt15iterator_traitsIS12_E10value_typeET2_T3_PNS13_IS18_E10value_typeET4_jRbjT5_S1E_jjP12ihipStream_tbEUljE_ZNSN_ISO_Lb1ESQ_SR_ST_SU_SY_EESZ_S10_S11_S12_S16_S17_S18_S1B_S1C_jS1D_jS1E_S1E_jjS1G_bEUljE0_EEESZ_S10_S11_S18_S1C_S1E_T6_T7_T9_mT8_S1G_bDpT10_ENKUlT_T0_E_clISt17integral_constantIbLb1EES1T_IbLb0EEEEDaS1P_S1Q_EUlS1P_E_NS1_11comp_targetILNS1_3genE9ELNS1_11target_archE1100ELNS1_3gpuE3ELNS1_3repE0EEENS1_30default_config_static_selectorELNS0_4arch9wavefront6targetE0EEEvS12_.kd
    .uniform_work_group_size: 1
    .uses_dynamic_stack: false
    .vgpr_count:     0
    .vgpr_spill_count: 0
    .wavefront_size: 32
    .workgroup_processor_mode: 1
  - .args:
      - .offset:         0
        .size:           176
        .value_kind:     by_value
    .group_segment_fixed_size: 0
    .kernarg_segment_align: 8
    .kernarg_segment_size: 176
    .language:       OpenCL C
    .language_version:
      - 2
      - 0
    .max_flat_workgroup_size: 256
    .name:           _ZN7rocprim17ROCPRIM_400000_NS6detail17trampoline_kernelINS0_13select_configILj256ELj13ELNS0_17block_load_methodE3ELS4_3ELS4_3ELNS0_20block_scan_algorithmE0ELj4294967295EEENS1_25partition_config_selectorILNS1_17partition_subalgoE4EjNS0_10empty_typeEbEEZZNS1_14partition_implILS8_4ELb0ES6_15HIP_vector_typeIjLj2EENS0_17counting_iteratorIjlEEPS9_SG_NS0_5tupleIJPjSI_NS0_16reverse_iteratorISI_EEEEENSH_IJSG_SG_SG_EEES9_SI_JZNS1_25segmented_radix_sort_implINS0_14default_configELb1EPKdPdPKlPlN2at6native12_GLOBAL__N_18offset_tEEE10hipError_tPvRmT1_PNSt15iterator_traitsIS12_E10value_typeET2_T3_PNS13_IS18_E10value_typeET4_jRbjT5_S1E_jjP12ihipStream_tbEUljE_ZNSN_ISO_Lb1ESQ_SR_ST_SU_SY_EESZ_S10_S11_S12_S16_S17_S18_S1B_S1C_jS1D_jS1E_S1E_jjS1G_bEUljE0_EEESZ_S10_S11_S18_S1C_S1E_T6_T7_T9_mT8_S1G_bDpT10_ENKUlT_T0_E_clISt17integral_constantIbLb1EES1T_IbLb0EEEEDaS1P_S1Q_EUlS1P_E_NS1_11comp_targetILNS1_3genE8ELNS1_11target_archE1030ELNS1_3gpuE2ELNS1_3repE0EEENS1_30default_config_static_selectorELNS0_4arch9wavefront6targetE0EEEvS12_
    .private_segment_fixed_size: 0
    .sgpr_count:     0
    .sgpr_spill_count: 0
    .symbol:         _ZN7rocprim17ROCPRIM_400000_NS6detail17trampoline_kernelINS0_13select_configILj256ELj13ELNS0_17block_load_methodE3ELS4_3ELS4_3ELNS0_20block_scan_algorithmE0ELj4294967295EEENS1_25partition_config_selectorILNS1_17partition_subalgoE4EjNS0_10empty_typeEbEEZZNS1_14partition_implILS8_4ELb0ES6_15HIP_vector_typeIjLj2EENS0_17counting_iteratorIjlEEPS9_SG_NS0_5tupleIJPjSI_NS0_16reverse_iteratorISI_EEEEENSH_IJSG_SG_SG_EEES9_SI_JZNS1_25segmented_radix_sort_implINS0_14default_configELb1EPKdPdPKlPlN2at6native12_GLOBAL__N_18offset_tEEE10hipError_tPvRmT1_PNSt15iterator_traitsIS12_E10value_typeET2_T3_PNS13_IS18_E10value_typeET4_jRbjT5_S1E_jjP12ihipStream_tbEUljE_ZNSN_ISO_Lb1ESQ_SR_ST_SU_SY_EESZ_S10_S11_S12_S16_S17_S18_S1B_S1C_jS1D_jS1E_S1E_jjS1G_bEUljE0_EEESZ_S10_S11_S18_S1C_S1E_T6_T7_T9_mT8_S1G_bDpT10_ENKUlT_T0_E_clISt17integral_constantIbLb1EES1T_IbLb0EEEEDaS1P_S1Q_EUlS1P_E_NS1_11comp_targetILNS1_3genE8ELNS1_11target_archE1030ELNS1_3gpuE2ELNS1_3repE0EEENS1_30default_config_static_selectorELNS0_4arch9wavefront6targetE0EEEvS12_.kd
    .uniform_work_group_size: 1
    .uses_dynamic_stack: false
    .vgpr_count:     0
    .vgpr_spill_count: 0
    .wavefront_size: 32
    .workgroup_processor_mode: 1
  - .args:
      - .offset:         0
        .size:           184
        .value_kind:     by_value
    .group_segment_fixed_size: 0
    .kernarg_segment_align: 8
    .kernarg_segment_size: 184
    .language:       OpenCL C
    .language_version:
      - 2
      - 0
    .max_flat_workgroup_size: 256
    .name:           _ZN7rocprim17ROCPRIM_400000_NS6detail17trampoline_kernelINS0_13select_configILj256ELj13ELNS0_17block_load_methodE3ELS4_3ELS4_3ELNS0_20block_scan_algorithmE0ELj4294967295EEENS1_25partition_config_selectorILNS1_17partition_subalgoE4EjNS0_10empty_typeEbEEZZNS1_14partition_implILS8_4ELb0ES6_15HIP_vector_typeIjLj2EENS0_17counting_iteratorIjlEEPS9_SG_NS0_5tupleIJPjSI_NS0_16reverse_iteratorISI_EEEEENSH_IJSG_SG_SG_EEES9_SI_JZNS1_25segmented_radix_sort_implINS0_14default_configELb1EPKdPdPKlPlN2at6native12_GLOBAL__N_18offset_tEEE10hipError_tPvRmT1_PNSt15iterator_traitsIS12_E10value_typeET2_T3_PNS13_IS18_E10value_typeET4_jRbjT5_S1E_jjP12ihipStream_tbEUljE_ZNSN_ISO_Lb1ESQ_SR_ST_SU_SY_EESZ_S10_S11_S12_S16_S17_S18_S1B_S1C_jS1D_jS1E_S1E_jjS1G_bEUljE0_EEESZ_S10_S11_S18_S1C_S1E_T6_T7_T9_mT8_S1G_bDpT10_ENKUlT_T0_E_clISt17integral_constantIbLb0EES1T_IbLb1EEEEDaS1P_S1Q_EUlS1P_E_NS1_11comp_targetILNS1_3genE0ELNS1_11target_archE4294967295ELNS1_3gpuE0ELNS1_3repE0EEENS1_30default_config_static_selectorELNS0_4arch9wavefront6targetE0EEEvS12_
    .private_segment_fixed_size: 0
    .sgpr_count:     0
    .sgpr_spill_count: 0
    .symbol:         _ZN7rocprim17ROCPRIM_400000_NS6detail17trampoline_kernelINS0_13select_configILj256ELj13ELNS0_17block_load_methodE3ELS4_3ELS4_3ELNS0_20block_scan_algorithmE0ELj4294967295EEENS1_25partition_config_selectorILNS1_17partition_subalgoE4EjNS0_10empty_typeEbEEZZNS1_14partition_implILS8_4ELb0ES6_15HIP_vector_typeIjLj2EENS0_17counting_iteratorIjlEEPS9_SG_NS0_5tupleIJPjSI_NS0_16reverse_iteratorISI_EEEEENSH_IJSG_SG_SG_EEES9_SI_JZNS1_25segmented_radix_sort_implINS0_14default_configELb1EPKdPdPKlPlN2at6native12_GLOBAL__N_18offset_tEEE10hipError_tPvRmT1_PNSt15iterator_traitsIS12_E10value_typeET2_T3_PNS13_IS18_E10value_typeET4_jRbjT5_S1E_jjP12ihipStream_tbEUljE_ZNSN_ISO_Lb1ESQ_SR_ST_SU_SY_EESZ_S10_S11_S12_S16_S17_S18_S1B_S1C_jS1D_jS1E_S1E_jjS1G_bEUljE0_EEESZ_S10_S11_S18_S1C_S1E_T6_T7_T9_mT8_S1G_bDpT10_ENKUlT_T0_E_clISt17integral_constantIbLb0EES1T_IbLb1EEEEDaS1P_S1Q_EUlS1P_E_NS1_11comp_targetILNS1_3genE0ELNS1_11target_archE4294967295ELNS1_3gpuE0ELNS1_3repE0EEENS1_30default_config_static_selectorELNS0_4arch9wavefront6targetE0EEEvS12_.kd
    .uniform_work_group_size: 1
    .uses_dynamic_stack: false
    .vgpr_count:     0
    .vgpr_spill_count: 0
    .wavefront_size: 32
    .workgroup_processor_mode: 1
  - .args:
      - .offset:         0
        .size:           184
        .value_kind:     by_value
    .group_segment_fixed_size: 0
    .kernarg_segment_align: 8
    .kernarg_segment_size: 184
    .language:       OpenCL C
    .language_version:
      - 2
      - 0
    .max_flat_workgroup_size: 256
    .name:           _ZN7rocprim17ROCPRIM_400000_NS6detail17trampoline_kernelINS0_13select_configILj256ELj13ELNS0_17block_load_methodE3ELS4_3ELS4_3ELNS0_20block_scan_algorithmE0ELj4294967295EEENS1_25partition_config_selectorILNS1_17partition_subalgoE4EjNS0_10empty_typeEbEEZZNS1_14partition_implILS8_4ELb0ES6_15HIP_vector_typeIjLj2EENS0_17counting_iteratorIjlEEPS9_SG_NS0_5tupleIJPjSI_NS0_16reverse_iteratorISI_EEEEENSH_IJSG_SG_SG_EEES9_SI_JZNS1_25segmented_radix_sort_implINS0_14default_configELb1EPKdPdPKlPlN2at6native12_GLOBAL__N_18offset_tEEE10hipError_tPvRmT1_PNSt15iterator_traitsIS12_E10value_typeET2_T3_PNS13_IS18_E10value_typeET4_jRbjT5_S1E_jjP12ihipStream_tbEUljE_ZNSN_ISO_Lb1ESQ_SR_ST_SU_SY_EESZ_S10_S11_S12_S16_S17_S18_S1B_S1C_jS1D_jS1E_S1E_jjS1G_bEUljE0_EEESZ_S10_S11_S18_S1C_S1E_T6_T7_T9_mT8_S1G_bDpT10_ENKUlT_T0_E_clISt17integral_constantIbLb0EES1T_IbLb1EEEEDaS1P_S1Q_EUlS1P_E_NS1_11comp_targetILNS1_3genE5ELNS1_11target_archE942ELNS1_3gpuE9ELNS1_3repE0EEENS1_30default_config_static_selectorELNS0_4arch9wavefront6targetE0EEEvS12_
    .private_segment_fixed_size: 0
    .sgpr_count:     0
    .sgpr_spill_count: 0
    .symbol:         _ZN7rocprim17ROCPRIM_400000_NS6detail17trampoline_kernelINS0_13select_configILj256ELj13ELNS0_17block_load_methodE3ELS4_3ELS4_3ELNS0_20block_scan_algorithmE0ELj4294967295EEENS1_25partition_config_selectorILNS1_17partition_subalgoE4EjNS0_10empty_typeEbEEZZNS1_14partition_implILS8_4ELb0ES6_15HIP_vector_typeIjLj2EENS0_17counting_iteratorIjlEEPS9_SG_NS0_5tupleIJPjSI_NS0_16reverse_iteratorISI_EEEEENSH_IJSG_SG_SG_EEES9_SI_JZNS1_25segmented_radix_sort_implINS0_14default_configELb1EPKdPdPKlPlN2at6native12_GLOBAL__N_18offset_tEEE10hipError_tPvRmT1_PNSt15iterator_traitsIS12_E10value_typeET2_T3_PNS13_IS18_E10value_typeET4_jRbjT5_S1E_jjP12ihipStream_tbEUljE_ZNSN_ISO_Lb1ESQ_SR_ST_SU_SY_EESZ_S10_S11_S12_S16_S17_S18_S1B_S1C_jS1D_jS1E_S1E_jjS1G_bEUljE0_EEESZ_S10_S11_S18_S1C_S1E_T6_T7_T9_mT8_S1G_bDpT10_ENKUlT_T0_E_clISt17integral_constantIbLb0EES1T_IbLb1EEEEDaS1P_S1Q_EUlS1P_E_NS1_11comp_targetILNS1_3genE5ELNS1_11target_archE942ELNS1_3gpuE9ELNS1_3repE0EEENS1_30default_config_static_selectorELNS0_4arch9wavefront6targetE0EEEvS12_.kd
    .uniform_work_group_size: 1
    .uses_dynamic_stack: false
    .vgpr_count:     0
    .vgpr_spill_count: 0
    .wavefront_size: 32
    .workgroup_processor_mode: 1
  - .args:
      - .offset:         0
        .size:           184
        .value_kind:     by_value
    .group_segment_fixed_size: 0
    .kernarg_segment_align: 8
    .kernarg_segment_size: 184
    .language:       OpenCL C
    .language_version:
      - 2
      - 0
    .max_flat_workgroup_size: 256
    .name:           _ZN7rocprim17ROCPRIM_400000_NS6detail17trampoline_kernelINS0_13select_configILj256ELj13ELNS0_17block_load_methodE3ELS4_3ELS4_3ELNS0_20block_scan_algorithmE0ELj4294967295EEENS1_25partition_config_selectorILNS1_17partition_subalgoE4EjNS0_10empty_typeEbEEZZNS1_14partition_implILS8_4ELb0ES6_15HIP_vector_typeIjLj2EENS0_17counting_iteratorIjlEEPS9_SG_NS0_5tupleIJPjSI_NS0_16reverse_iteratorISI_EEEEENSH_IJSG_SG_SG_EEES9_SI_JZNS1_25segmented_radix_sort_implINS0_14default_configELb1EPKdPdPKlPlN2at6native12_GLOBAL__N_18offset_tEEE10hipError_tPvRmT1_PNSt15iterator_traitsIS12_E10value_typeET2_T3_PNS13_IS18_E10value_typeET4_jRbjT5_S1E_jjP12ihipStream_tbEUljE_ZNSN_ISO_Lb1ESQ_SR_ST_SU_SY_EESZ_S10_S11_S12_S16_S17_S18_S1B_S1C_jS1D_jS1E_S1E_jjS1G_bEUljE0_EEESZ_S10_S11_S18_S1C_S1E_T6_T7_T9_mT8_S1G_bDpT10_ENKUlT_T0_E_clISt17integral_constantIbLb0EES1T_IbLb1EEEEDaS1P_S1Q_EUlS1P_E_NS1_11comp_targetILNS1_3genE4ELNS1_11target_archE910ELNS1_3gpuE8ELNS1_3repE0EEENS1_30default_config_static_selectorELNS0_4arch9wavefront6targetE0EEEvS12_
    .private_segment_fixed_size: 0
    .sgpr_count:     0
    .sgpr_spill_count: 0
    .symbol:         _ZN7rocprim17ROCPRIM_400000_NS6detail17trampoline_kernelINS0_13select_configILj256ELj13ELNS0_17block_load_methodE3ELS4_3ELS4_3ELNS0_20block_scan_algorithmE0ELj4294967295EEENS1_25partition_config_selectorILNS1_17partition_subalgoE4EjNS0_10empty_typeEbEEZZNS1_14partition_implILS8_4ELb0ES6_15HIP_vector_typeIjLj2EENS0_17counting_iteratorIjlEEPS9_SG_NS0_5tupleIJPjSI_NS0_16reverse_iteratorISI_EEEEENSH_IJSG_SG_SG_EEES9_SI_JZNS1_25segmented_radix_sort_implINS0_14default_configELb1EPKdPdPKlPlN2at6native12_GLOBAL__N_18offset_tEEE10hipError_tPvRmT1_PNSt15iterator_traitsIS12_E10value_typeET2_T3_PNS13_IS18_E10value_typeET4_jRbjT5_S1E_jjP12ihipStream_tbEUljE_ZNSN_ISO_Lb1ESQ_SR_ST_SU_SY_EESZ_S10_S11_S12_S16_S17_S18_S1B_S1C_jS1D_jS1E_S1E_jjS1G_bEUljE0_EEESZ_S10_S11_S18_S1C_S1E_T6_T7_T9_mT8_S1G_bDpT10_ENKUlT_T0_E_clISt17integral_constantIbLb0EES1T_IbLb1EEEEDaS1P_S1Q_EUlS1P_E_NS1_11comp_targetILNS1_3genE4ELNS1_11target_archE910ELNS1_3gpuE8ELNS1_3repE0EEENS1_30default_config_static_selectorELNS0_4arch9wavefront6targetE0EEEvS12_.kd
    .uniform_work_group_size: 1
    .uses_dynamic_stack: false
    .vgpr_count:     0
    .vgpr_spill_count: 0
    .wavefront_size: 32
    .workgroup_processor_mode: 1
  - .args:
      - .offset:         0
        .size:           184
        .value_kind:     by_value
    .group_segment_fixed_size: 0
    .kernarg_segment_align: 8
    .kernarg_segment_size: 184
    .language:       OpenCL C
    .language_version:
      - 2
      - 0
    .max_flat_workgroup_size: 256
    .name:           _ZN7rocprim17ROCPRIM_400000_NS6detail17trampoline_kernelINS0_13select_configILj256ELj13ELNS0_17block_load_methodE3ELS4_3ELS4_3ELNS0_20block_scan_algorithmE0ELj4294967295EEENS1_25partition_config_selectorILNS1_17partition_subalgoE4EjNS0_10empty_typeEbEEZZNS1_14partition_implILS8_4ELb0ES6_15HIP_vector_typeIjLj2EENS0_17counting_iteratorIjlEEPS9_SG_NS0_5tupleIJPjSI_NS0_16reverse_iteratorISI_EEEEENSH_IJSG_SG_SG_EEES9_SI_JZNS1_25segmented_radix_sort_implINS0_14default_configELb1EPKdPdPKlPlN2at6native12_GLOBAL__N_18offset_tEEE10hipError_tPvRmT1_PNSt15iterator_traitsIS12_E10value_typeET2_T3_PNS13_IS18_E10value_typeET4_jRbjT5_S1E_jjP12ihipStream_tbEUljE_ZNSN_ISO_Lb1ESQ_SR_ST_SU_SY_EESZ_S10_S11_S12_S16_S17_S18_S1B_S1C_jS1D_jS1E_S1E_jjS1G_bEUljE0_EEESZ_S10_S11_S18_S1C_S1E_T6_T7_T9_mT8_S1G_bDpT10_ENKUlT_T0_E_clISt17integral_constantIbLb0EES1T_IbLb1EEEEDaS1P_S1Q_EUlS1P_E_NS1_11comp_targetILNS1_3genE3ELNS1_11target_archE908ELNS1_3gpuE7ELNS1_3repE0EEENS1_30default_config_static_selectorELNS0_4arch9wavefront6targetE0EEEvS12_
    .private_segment_fixed_size: 0
    .sgpr_count:     0
    .sgpr_spill_count: 0
    .symbol:         _ZN7rocprim17ROCPRIM_400000_NS6detail17trampoline_kernelINS0_13select_configILj256ELj13ELNS0_17block_load_methodE3ELS4_3ELS4_3ELNS0_20block_scan_algorithmE0ELj4294967295EEENS1_25partition_config_selectorILNS1_17partition_subalgoE4EjNS0_10empty_typeEbEEZZNS1_14partition_implILS8_4ELb0ES6_15HIP_vector_typeIjLj2EENS0_17counting_iteratorIjlEEPS9_SG_NS0_5tupleIJPjSI_NS0_16reverse_iteratorISI_EEEEENSH_IJSG_SG_SG_EEES9_SI_JZNS1_25segmented_radix_sort_implINS0_14default_configELb1EPKdPdPKlPlN2at6native12_GLOBAL__N_18offset_tEEE10hipError_tPvRmT1_PNSt15iterator_traitsIS12_E10value_typeET2_T3_PNS13_IS18_E10value_typeET4_jRbjT5_S1E_jjP12ihipStream_tbEUljE_ZNSN_ISO_Lb1ESQ_SR_ST_SU_SY_EESZ_S10_S11_S12_S16_S17_S18_S1B_S1C_jS1D_jS1E_S1E_jjS1G_bEUljE0_EEESZ_S10_S11_S18_S1C_S1E_T6_T7_T9_mT8_S1G_bDpT10_ENKUlT_T0_E_clISt17integral_constantIbLb0EES1T_IbLb1EEEEDaS1P_S1Q_EUlS1P_E_NS1_11comp_targetILNS1_3genE3ELNS1_11target_archE908ELNS1_3gpuE7ELNS1_3repE0EEENS1_30default_config_static_selectorELNS0_4arch9wavefront6targetE0EEEvS12_.kd
    .uniform_work_group_size: 1
    .uses_dynamic_stack: false
    .vgpr_count:     0
    .vgpr_spill_count: 0
    .wavefront_size: 32
    .workgroup_processor_mode: 1
  - .args:
      - .offset:         0
        .size:           184
        .value_kind:     by_value
    .group_segment_fixed_size: 0
    .kernarg_segment_align: 8
    .kernarg_segment_size: 184
    .language:       OpenCL C
    .language_version:
      - 2
      - 0
    .max_flat_workgroup_size: 256
    .name:           _ZN7rocprim17ROCPRIM_400000_NS6detail17trampoline_kernelINS0_13select_configILj256ELj13ELNS0_17block_load_methodE3ELS4_3ELS4_3ELNS0_20block_scan_algorithmE0ELj4294967295EEENS1_25partition_config_selectorILNS1_17partition_subalgoE4EjNS0_10empty_typeEbEEZZNS1_14partition_implILS8_4ELb0ES6_15HIP_vector_typeIjLj2EENS0_17counting_iteratorIjlEEPS9_SG_NS0_5tupleIJPjSI_NS0_16reverse_iteratorISI_EEEEENSH_IJSG_SG_SG_EEES9_SI_JZNS1_25segmented_radix_sort_implINS0_14default_configELb1EPKdPdPKlPlN2at6native12_GLOBAL__N_18offset_tEEE10hipError_tPvRmT1_PNSt15iterator_traitsIS12_E10value_typeET2_T3_PNS13_IS18_E10value_typeET4_jRbjT5_S1E_jjP12ihipStream_tbEUljE_ZNSN_ISO_Lb1ESQ_SR_ST_SU_SY_EESZ_S10_S11_S12_S16_S17_S18_S1B_S1C_jS1D_jS1E_S1E_jjS1G_bEUljE0_EEESZ_S10_S11_S18_S1C_S1E_T6_T7_T9_mT8_S1G_bDpT10_ENKUlT_T0_E_clISt17integral_constantIbLb0EES1T_IbLb1EEEEDaS1P_S1Q_EUlS1P_E_NS1_11comp_targetILNS1_3genE2ELNS1_11target_archE906ELNS1_3gpuE6ELNS1_3repE0EEENS1_30default_config_static_selectorELNS0_4arch9wavefront6targetE0EEEvS12_
    .private_segment_fixed_size: 0
    .sgpr_count:     0
    .sgpr_spill_count: 0
    .symbol:         _ZN7rocprim17ROCPRIM_400000_NS6detail17trampoline_kernelINS0_13select_configILj256ELj13ELNS0_17block_load_methodE3ELS4_3ELS4_3ELNS0_20block_scan_algorithmE0ELj4294967295EEENS1_25partition_config_selectorILNS1_17partition_subalgoE4EjNS0_10empty_typeEbEEZZNS1_14partition_implILS8_4ELb0ES6_15HIP_vector_typeIjLj2EENS0_17counting_iteratorIjlEEPS9_SG_NS0_5tupleIJPjSI_NS0_16reverse_iteratorISI_EEEEENSH_IJSG_SG_SG_EEES9_SI_JZNS1_25segmented_radix_sort_implINS0_14default_configELb1EPKdPdPKlPlN2at6native12_GLOBAL__N_18offset_tEEE10hipError_tPvRmT1_PNSt15iterator_traitsIS12_E10value_typeET2_T3_PNS13_IS18_E10value_typeET4_jRbjT5_S1E_jjP12ihipStream_tbEUljE_ZNSN_ISO_Lb1ESQ_SR_ST_SU_SY_EESZ_S10_S11_S12_S16_S17_S18_S1B_S1C_jS1D_jS1E_S1E_jjS1G_bEUljE0_EEESZ_S10_S11_S18_S1C_S1E_T6_T7_T9_mT8_S1G_bDpT10_ENKUlT_T0_E_clISt17integral_constantIbLb0EES1T_IbLb1EEEEDaS1P_S1Q_EUlS1P_E_NS1_11comp_targetILNS1_3genE2ELNS1_11target_archE906ELNS1_3gpuE6ELNS1_3repE0EEENS1_30default_config_static_selectorELNS0_4arch9wavefront6targetE0EEEvS12_.kd
    .uniform_work_group_size: 1
    .uses_dynamic_stack: false
    .vgpr_count:     0
    .vgpr_spill_count: 0
    .wavefront_size: 32
    .workgroup_processor_mode: 1
  - .args:
      - .offset:         0
        .size:           184
        .value_kind:     by_value
    .group_segment_fixed_size: 13328
    .kernarg_segment_align: 8
    .kernarg_segment_size: 184
    .language:       OpenCL C
    .language_version:
      - 2
      - 0
    .max_flat_workgroup_size: 256
    .name:           _ZN7rocprim17ROCPRIM_400000_NS6detail17trampoline_kernelINS0_13select_configILj256ELj13ELNS0_17block_load_methodE3ELS4_3ELS4_3ELNS0_20block_scan_algorithmE0ELj4294967295EEENS1_25partition_config_selectorILNS1_17partition_subalgoE4EjNS0_10empty_typeEbEEZZNS1_14partition_implILS8_4ELb0ES6_15HIP_vector_typeIjLj2EENS0_17counting_iteratorIjlEEPS9_SG_NS0_5tupleIJPjSI_NS0_16reverse_iteratorISI_EEEEENSH_IJSG_SG_SG_EEES9_SI_JZNS1_25segmented_radix_sort_implINS0_14default_configELb1EPKdPdPKlPlN2at6native12_GLOBAL__N_18offset_tEEE10hipError_tPvRmT1_PNSt15iterator_traitsIS12_E10value_typeET2_T3_PNS13_IS18_E10value_typeET4_jRbjT5_S1E_jjP12ihipStream_tbEUljE_ZNSN_ISO_Lb1ESQ_SR_ST_SU_SY_EESZ_S10_S11_S12_S16_S17_S18_S1B_S1C_jS1D_jS1E_S1E_jjS1G_bEUljE0_EEESZ_S10_S11_S18_S1C_S1E_T6_T7_T9_mT8_S1G_bDpT10_ENKUlT_T0_E_clISt17integral_constantIbLb0EES1T_IbLb1EEEEDaS1P_S1Q_EUlS1P_E_NS1_11comp_targetILNS1_3genE10ELNS1_11target_archE1200ELNS1_3gpuE4ELNS1_3repE0EEENS1_30default_config_static_selectorELNS0_4arch9wavefront6targetE0EEEvS12_
    .private_segment_fixed_size: 0
    .sgpr_count:     57
    .sgpr_spill_count: 0
    .symbol:         _ZN7rocprim17ROCPRIM_400000_NS6detail17trampoline_kernelINS0_13select_configILj256ELj13ELNS0_17block_load_methodE3ELS4_3ELS4_3ELNS0_20block_scan_algorithmE0ELj4294967295EEENS1_25partition_config_selectorILNS1_17partition_subalgoE4EjNS0_10empty_typeEbEEZZNS1_14partition_implILS8_4ELb0ES6_15HIP_vector_typeIjLj2EENS0_17counting_iteratorIjlEEPS9_SG_NS0_5tupleIJPjSI_NS0_16reverse_iteratorISI_EEEEENSH_IJSG_SG_SG_EEES9_SI_JZNS1_25segmented_radix_sort_implINS0_14default_configELb1EPKdPdPKlPlN2at6native12_GLOBAL__N_18offset_tEEE10hipError_tPvRmT1_PNSt15iterator_traitsIS12_E10value_typeET2_T3_PNS13_IS18_E10value_typeET4_jRbjT5_S1E_jjP12ihipStream_tbEUljE_ZNSN_ISO_Lb1ESQ_SR_ST_SU_SY_EESZ_S10_S11_S12_S16_S17_S18_S1B_S1C_jS1D_jS1E_S1E_jjS1G_bEUljE0_EEESZ_S10_S11_S18_S1C_S1E_T6_T7_T9_mT8_S1G_bDpT10_ENKUlT_T0_E_clISt17integral_constantIbLb0EES1T_IbLb1EEEEDaS1P_S1Q_EUlS1P_E_NS1_11comp_targetILNS1_3genE10ELNS1_11target_archE1200ELNS1_3gpuE4ELNS1_3repE0EEENS1_30default_config_static_selectorELNS0_4arch9wavefront6targetE0EEEvS12_.kd
    .uniform_work_group_size: 1
    .uses_dynamic_stack: false
    .vgpr_count:     98
    .vgpr_spill_count: 0
    .wavefront_size: 32
    .workgroup_processor_mode: 1
  - .args:
      - .offset:         0
        .size:           184
        .value_kind:     by_value
    .group_segment_fixed_size: 0
    .kernarg_segment_align: 8
    .kernarg_segment_size: 184
    .language:       OpenCL C
    .language_version:
      - 2
      - 0
    .max_flat_workgroup_size: 256
    .name:           _ZN7rocprim17ROCPRIM_400000_NS6detail17trampoline_kernelINS0_13select_configILj256ELj13ELNS0_17block_load_methodE3ELS4_3ELS4_3ELNS0_20block_scan_algorithmE0ELj4294967295EEENS1_25partition_config_selectorILNS1_17partition_subalgoE4EjNS0_10empty_typeEbEEZZNS1_14partition_implILS8_4ELb0ES6_15HIP_vector_typeIjLj2EENS0_17counting_iteratorIjlEEPS9_SG_NS0_5tupleIJPjSI_NS0_16reverse_iteratorISI_EEEEENSH_IJSG_SG_SG_EEES9_SI_JZNS1_25segmented_radix_sort_implINS0_14default_configELb1EPKdPdPKlPlN2at6native12_GLOBAL__N_18offset_tEEE10hipError_tPvRmT1_PNSt15iterator_traitsIS12_E10value_typeET2_T3_PNS13_IS18_E10value_typeET4_jRbjT5_S1E_jjP12ihipStream_tbEUljE_ZNSN_ISO_Lb1ESQ_SR_ST_SU_SY_EESZ_S10_S11_S12_S16_S17_S18_S1B_S1C_jS1D_jS1E_S1E_jjS1G_bEUljE0_EEESZ_S10_S11_S18_S1C_S1E_T6_T7_T9_mT8_S1G_bDpT10_ENKUlT_T0_E_clISt17integral_constantIbLb0EES1T_IbLb1EEEEDaS1P_S1Q_EUlS1P_E_NS1_11comp_targetILNS1_3genE9ELNS1_11target_archE1100ELNS1_3gpuE3ELNS1_3repE0EEENS1_30default_config_static_selectorELNS0_4arch9wavefront6targetE0EEEvS12_
    .private_segment_fixed_size: 0
    .sgpr_count:     0
    .sgpr_spill_count: 0
    .symbol:         _ZN7rocprim17ROCPRIM_400000_NS6detail17trampoline_kernelINS0_13select_configILj256ELj13ELNS0_17block_load_methodE3ELS4_3ELS4_3ELNS0_20block_scan_algorithmE0ELj4294967295EEENS1_25partition_config_selectorILNS1_17partition_subalgoE4EjNS0_10empty_typeEbEEZZNS1_14partition_implILS8_4ELb0ES6_15HIP_vector_typeIjLj2EENS0_17counting_iteratorIjlEEPS9_SG_NS0_5tupleIJPjSI_NS0_16reverse_iteratorISI_EEEEENSH_IJSG_SG_SG_EEES9_SI_JZNS1_25segmented_radix_sort_implINS0_14default_configELb1EPKdPdPKlPlN2at6native12_GLOBAL__N_18offset_tEEE10hipError_tPvRmT1_PNSt15iterator_traitsIS12_E10value_typeET2_T3_PNS13_IS18_E10value_typeET4_jRbjT5_S1E_jjP12ihipStream_tbEUljE_ZNSN_ISO_Lb1ESQ_SR_ST_SU_SY_EESZ_S10_S11_S12_S16_S17_S18_S1B_S1C_jS1D_jS1E_S1E_jjS1G_bEUljE0_EEESZ_S10_S11_S18_S1C_S1E_T6_T7_T9_mT8_S1G_bDpT10_ENKUlT_T0_E_clISt17integral_constantIbLb0EES1T_IbLb1EEEEDaS1P_S1Q_EUlS1P_E_NS1_11comp_targetILNS1_3genE9ELNS1_11target_archE1100ELNS1_3gpuE3ELNS1_3repE0EEENS1_30default_config_static_selectorELNS0_4arch9wavefront6targetE0EEEvS12_.kd
    .uniform_work_group_size: 1
    .uses_dynamic_stack: false
    .vgpr_count:     0
    .vgpr_spill_count: 0
    .wavefront_size: 32
    .workgroup_processor_mode: 1
  - .args:
      - .offset:         0
        .size:           184
        .value_kind:     by_value
    .group_segment_fixed_size: 0
    .kernarg_segment_align: 8
    .kernarg_segment_size: 184
    .language:       OpenCL C
    .language_version:
      - 2
      - 0
    .max_flat_workgroup_size: 256
    .name:           _ZN7rocprim17ROCPRIM_400000_NS6detail17trampoline_kernelINS0_13select_configILj256ELj13ELNS0_17block_load_methodE3ELS4_3ELS4_3ELNS0_20block_scan_algorithmE0ELj4294967295EEENS1_25partition_config_selectorILNS1_17partition_subalgoE4EjNS0_10empty_typeEbEEZZNS1_14partition_implILS8_4ELb0ES6_15HIP_vector_typeIjLj2EENS0_17counting_iteratorIjlEEPS9_SG_NS0_5tupleIJPjSI_NS0_16reverse_iteratorISI_EEEEENSH_IJSG_SG_SG_EEES9_SI_JZNS1_25segmented_radix_sort_implINS0_14default_configELb1EPKdPdPKlPlN2at6native12_GLOBAL__N_18offset_tEEE10hipError_tPvRmT1_PNSt15iterator_traitsIS12_E10value_typeET2_T3_PNS13_IS18_E10value_typeET4_jRbjT5_S1E_jjP12ihipStream_tbEUljE_ZNSN_ISO_Lb1ESQ_SR_ST_SU_SY_EESZ_S10_S11_S12_S16_S17_S18_S1B_S1C_jS1D_jS1E_S1E_jjS1G_bEUljE0_EEESZ_S10_S11_S18_S1C_S1E_T6_T7_T9_mT8_S1G_bDpT10_ENKUlT_T0_E_clISt17integral_constantIbLb0EES1T_IbLb1EEEEDaS1P_S1Q_EUlS1P_E_NS1_11comp_targetILNS1_3genE8ELNS1_11target_archE1030ELNS1_3gpuE2ELNS1_3repE0EEENS1_30default_config_static_selectorELNS0_4arch9wavefront6targetE0EEEvS12_
    .private_segment_fixed_size: 0
    .sgpr_count:     0
    .sgpr_spill_count: 0
    .symbol:         _ZN7rocprim17ROCPRIM_400000_NS6detail17trampoline_kernelINS0_13select_configILj256ELj13ELNS0_17block_load_methodE3ELS4_3ELS4_3ELNS0_20block_scan_algorithmE0ELj4294967295EEENS1_25partition_config_selectorILNS1_17partition_subalgoE4EjNS0_10empty_typeEbEEZZNS1_14partition_implILS8_4ELb0ES6_15HIP_vector_typeIjLj2EENS0_17counting_iteratorIjlEEPS9_SG_NS0_5tupleIJPjSI_NS0_16reverse_iteratorISI_EEEEENSH_IJSG_SG_SG_EEES9_SI_JZNS1_25segmented_radix_sort_implINS0_14default_configELb1EPKdPdPKlPlN2at6native12_GLOBAL__N_18offset_tEEE10hipError_tPvRmT1_PNSt15iterator_traitsIS12_E10value_typeET2_T3_PNS13_IS18_E10value_typeET4_jRbjT5_S1E_jjP12ihipStream_tbEUljE_ZNSN_ISO_Lb1ESQ_SR_ST_SU_SY_EESZ_S10_S11_S12_S16_S17_S18_S1B_S1C_jS1D_jS1E_S1E_jjS1G_bEUljE0_EEESZ_S10_S11_S18_S1C_S1E_T6_T7_T9_mT8_S1G_bDpT10_ENKUlT_T0_E_clISt17integral_constantIbLb0EES1T_IbLb1EEEEDaS1P_S1Q_EUlS1P_E_NS1_11comp_targetILNS1_3genE8ELNS1_11target_archE1030ELNS1_3gpuE2ELNS1_3repE0EEENS1_30default_config_static_selectorELNS0_4arch9wavefront6targetE0EEEvS12_.kd
    .uniform_work_group_size: 1
    .uses_dynamic_stack: false
    .vgpr_count:     0
    .vgpr_spill_count: 0
    .wavefront_size: 32
    .workgroup_processor_mode: 1
  - .args:
      - .offset:         0
        .size:           144
        .value_kind:     by_value
    .group_segment_fixed_size: 0
    .kernarg_segment_align: 8
    .kernarg_segment_size: 144
    .language:       OpenCL C
    .language_version:
      - 2
      - 0
    .max_flat_workgroup_size: 256
    .name:           _ZN7rocprim17ROCPRIM_400000_NS6detail17trampoline_kernelINS0_13select_configILj256ELj13ELNS0_17block_load_methodE3ELS4_3ELS4_3ELNS0_20block_scan_algorithmE0ELj4294967295EEENS1_25partition_config_selectorILNS1_17partition_subalgoE3EjNS0_10empty_typeEbEEZZNS1_14partition_implILS8_3ELb0ES6_jNS0_17counting_iteratorIjlEEPS9_SE_NS0_5tupleIJPjSE_EEENSF_IJSE_SE_EEES9_SG_JZNS1_25segmented_radix_sort_implINS0_14default_configELb1EPKdPdPKlPlN2at6native12_GLOBAL__N_18offset_tEEE10hipError_tPvRmT1_PNSt15iterator_traitsISY_E10value_typeET2_T3_PNSZ_IS14_E10value_typeET4_jRbjT5_S1A_jjP12ihipStream_tbEUljE_EEESV_SW_SX_S14_S18_S1A_T6_T7_T9_mT8_S1C_bDpT10_ENKUlT_T0_E_clISt17integral_constantIbLb0EES1P_EEDaS1K_S1L_EUlS1K_E_NS1_11comp_targetILNS1_3genE0ELNS1_11target_archE4294967295ELNS1_3gpuE0ELNS1_3repE0EEENS1_30default_config_static_selectorELNS0_4arch9wavefront6targetE0EEEvSY_
    .private_segment_fixed_size: 0
    .sgpr_count:     0
    .sgpr_spill_count: 0
    .symbol:         _ZN7rocprim17ROCPRIM_400000_NS6detail17trampoline_kernelINS0_13select_configILj256ELj13ELNS0_17block_load_methodE3ELS4_3ELS4_3ELNS0_20block_scan_algorithmE0ELj4294967295EEENS1_25partition_config_selectorILNS1_17partition_subalgoE3EjNS0_10empty_typeEbEEZZNS1_14partition_implILS8_3ELb0ES6_jNS0_17counting_iteratorIjlEEPS9_SE_NS0_5tupleIJPjSE_EEENSF_IJSE_SE_EEES9_SG_JZNS1_25segmented_radix_sort_implINS0_14default_configELb1EPKdPdPKlPlN2at6native12_GLOBAL__N_18offset_tEEE10hipError_tPvRmT1_PNSt15iterator_traitsISY_E10value_typeET2_T3_PNSZ_IS14_E10value_typeET4_jRbjT5_S1A_jjP12ihipStream_tbEUljE_EEESV_SW_SX_S14_S18_S1A_T6_T7_T9_mT8_S1C_bDpT10_ENKUlT_T0_E_clISt17integral_constantIbLb0EES1P_EEDaS1K_S1L_EUlS1K_E_NS1_11comp_targetILNS1_3genE0ELNS1_11target_archE4294967295ELNS1_3gpuE0ELNS1_3repE0EEENS1_30default_config_static_selectorELNS0_4arch9wavefront6targetE0EEEvSY_.kd
    .uniform_work_group_size: 1
    .uses_dynamic_stack: false
    .vgpr_count:     0
    .vgpr_spill_count: 0
    .wavefront_size: 32
    .workgroup_processor_mode: 1
  - .args:
      - .offset:         0
        .size:           144
        .value_kind:     by_value
    .group_segment_fixed_size: 0
    .kernarg_segment_align: 8
    .kernarg_segment_size: 144
    .language:       OpenCL C
    .language_version:
      - 2
      - 0
    .max_flat_workgroup_size: 256
    .name:           _ZN7rocprim17ROCPRIM_400000_NS6detail17trampoline_kernelINS0_13select_configILj256ELj13ELNS0_17block_load_methodE3ELS4_3ELS4_3ELNS0_20block_scan_algorithmE0ELj4294967295EEENS1_25partition_config_selectorILNS1_17partition_subalgoE3EjNS0_10empty_typeEbEEZZNS1_14partition_implILS8_3ELb0ES6_jNS0_17counting_iteratorIjlEEPS9_SE_NS0_5tupleIJPjSE_EEENSF_IJSE_SE_EEES9_SG_JZNS1_25segmented_radix_sort_implINS0_14default_configELb1EPKdPdPKlPlN2at6native12_GLOBAL__N_18offset_tEEE10hipError_tPvRmT1_PNSt15iterator_traitsISY_E10value_typeET2_T3_PNSZ_IS14_E10value_typeET4_jRbjT5_S1A_jjP12ihipStream_tbEUljE_EEESV_SW_SX_S14_S18_S1A_T6_T7_T9_mT8_S1C_bDpT10_ENKUlT_T0_E_clISt17integral_constantIbLb0EES1P_EEDaS1K_S1L_EUlS1K_E_NS1_11comp_targetILNS1_3genE5ELNS1_11target_archE942ELNS1_3gpuE9ELNS1_3repE0EEENS1_30default_config_static_selectorELNS0_4arch9wavefront6targetE0EEEvSY_
    .private_segment_fixed_size: 0
    .sgpr_count:     0
    .sgpr_spill_count: 0
    .symbol:         _ZN7rocprim17ROCPRIM_400000_NS6detail17trampoline_kernelINS0_13select_configILj256ELj13ELNS0_17block_load_methodE3ELS4_3ELS4_3ELNS0_20block_scan_algorithmE0ELj4294967295EEENS1_25partition_config_selectorILNS1_17partition_subalgoE3EjNS0_10empty_typeEbEEZZNS1_14partition_implILS8_3ELb0ES6_jNS0_17counting_iteratorIjlEEPS9_SE_NS0_5tupleIJPjSE_EEENSF_IJSE_SE_EEES9_SG_JZNS1_25segmented_radix_sort_implINS0_14default_configELb1EPKdPdPKlPlN2at6native12_GLOBAL__N_18offset_tEEE10hipError_tPvRmT1_PNSt15iterator_traitsISY_E10value_typeET2_T3_PNSZ_IS14_E10value_typeET4_jRbjT5_S1A_jjP12ihipStream_tbEUljE_EEESV_SW_SX_S14_S18_S1A_T6_T7_T9_mT8_S1C_bDpT10_ENKUlT_T0_E_clISt17integral_constantIbLb0EES1P_EEDaS1K_S1L_EUlS1K_E_NS1_11comp_targetILNS1_3genE5ELNS1_11target_archE942ELNS1_3gpuE9ELNS1_3repE0EEENS1_30default_config_static_selectorELNS0_4arch9wavefront6targetE0EEEvSY_.kd
    .uniform_work_group_size: 1
    .uses_dynamic_stack: false
    .vgpr_count:     0
    .vgpr_spill_count: 0
    .wavefront_size: 32
    .workgroup_processor_mode: 1
  - .args:
      - .offset:         0
        .size:           144
        .value_kind:     by_value
    .group_segment_fixed_size: 0
    .kernarg_segment_align: 8
    .kernarg_segment_size: 144
    .language:       OpenCL C
    .language_version:
      - 2
      - 0
    .max_flat_workgroup_size: 256
    .name:           _ZN7rocprim17ROCPRIM_400000_NS6detail17trampoline_kernelINS0_13select_configILj256ELj13ELNS0_17block_load_methodE3ELS4_3ELS4_3ELNS0_20block_scan_algorithmE0ELj4294967295EEENS1_25partition_config_selectorILNS1_17partition_subalgoE3EjNS0_10empty_typeEbEEZZNS1_14partition_implILS8_3ELb0ES6_jNS0_17counting_iteratorIjlEEPS9_SE_NS0_5tupleIJPjSE_EEENSF_IJSE_SE_EEES9_SG_JZNS1_25segmented_radix_sort_implINS0_14default_configELb1EPKdPdPKlPlN2at6native12_GLOBAL__N_18offset_tEEE10hipError_tPvRmT1_PNSt15iterator_traitsISY_E10value_typeET2_T3_PNSZ_IS14_E10value_typeET4_jRbjT5_S1A_jjP12ihipStream_tbEUljE_EEESV_SW_SX_S14_S18_S1A_T6_T7_T9_mT8_S1C_bDpT10_ENKUlT_T0_E_clISt17integral_constantIbLb0EES1P_EEDaS1K_S1L_EUlS1K_E_NS1_11comp_targetILNS1_3genE4ELNS1_11target_archE910ELNS1_3gpuE8ELNS1_3repE0EEENS1_30default_config_static_selectorELNS0_4arch9wavefront6targetE0EEEvSY_
    .private_segment_fixed_size: 0
    .sgpr_count:     0
    .sgpr_spill_count: 0
    .symbol:         _ZN7rocprim17ROCPRIM_400000_NS6detail17trampoline_kernelINS0_13select_configILj256ELj13ELNS0_17block_load_methodE3ELS4_3ELS4_3ELNS0_20block_scan_algorithmE0ELj4294967295EEENS1_25partition_config_selectorILNS1_17partition_subalgoE3EjNS0_10empty_typeEbEEZZNS1_14partition_implILS8_3ELb0ES6_jNS0_17counting_iteratorIjlEEPS9_SE_NS0_5tupleIJPjSE_EEENSF_IJSE_SE_EEES9_SG_JZNS1_25segmented_radix_sort_implINS0_14default_configELb1EPKdPdPKlPlN2at6native12_GLOBAL__N_18offset_tEEE10hipError_tPvRmT1_PNSt15iterator_traitsISY_E10value_typeET2_T3_PNSZ_IS14_E10value_typeET4_jRbjT5_S1A_jjP12ihipStream_tbEUljE_EEESV_SW_SX_S14_S18_S1A_T6_T7_T9_mT8_S1C_bDpT10_ENKUlT_T0_E_clISt17integral_constantIbLb0EES1P_EEDaS1K_S1L_EUlS1K_E_NS1_11comp_targetILNS1_3genE4ELNS1_11target_archE910ELNS1_3gpuE8ELNS1_3repE0EEENS1_30default_config_static_selectorELNS0_4arch9wavefront6targetE0EEEvSY_.kd
    .uniform_work_group_size: 1
    .uses_dynamic_stack: false
    .vgpr_count:     0
    .vgpr_spill_count: 0
    .wavefront_size: 32
    .workgroup_processor_mode: 1
  - .args:
      - .offset:         0
        .size:           144
        .value_kind:     by_value
    .group_segment_fixed_size: 0
    .kernarg_segment_align: 8
    .kernarg_segment_size: 144
    .language:       OpenCL C
    .language_version:
      - 2
      - 0
    .max_flat_workgroup_size: 256
    .name:           _ZN7rocprim17ROCPRIM_400000_NS6detail17trampoline_kernelINS0_13select_configILj256ELj13ELNS0_17block_load_methodE3ELS4_3ELS4_3ELNS0_20block_scan_algorithmE0ELj4294967295EEENS1_25partition_config_selectorILNS1_17partition_subalgoE3EjNS0_10empty_typeEbEEZZNS1_14partition_implILS8_3ELb0ES6_jNS0_17counting_iteratorIjlEEPS9_SE_NS0_5tupleIJPjSE_EEENSF_IJSE_SE_EEES9_SG_JZNS1_25segmented_radix_sort_implINS0_14default_configELb1EPKdPdPKlPlN2at6native12_GLOBAL__N_18offset_tEEE10hipError_tPvRmT1_PNSt15iterator_traitsISY_E10value_typeET2_T3_PNSZ_IS14_E10value_typeET4_jRbjT5_S1A_jjP12ihipStream_tbEUljE_EEESV_SW_SX_S14_S18_S1A_T6_T7_T9_mT8_S1C_bDpT10_ENKUlT_T0_E_clISt17integral_constantIbLb0EES1P_EEDaS1K_S1L_EUlS1K_E_NS1_11comp_targetILNS1_3genE3ELNS1_11target_archE908ELNS1_3gpuE7ELNS1_3repE0EEENS1_30default_config_static_selectorELNS0_4arch9wavefront6targetE0EEEvSY_
    .private_segment_fixed_size: 0
    .sgpr_count:     0
    .sgpr_spill_count: 0
    .symbol:         _ZN7rocprim17ROCPRIM_400000_NS6detail17trampoline_kernelINS0_13select_configILj256ELj13ELNS0_17block_load_methodE3ELS4_3ELS4_3ELNS0_20block_scan_algorithmE0ELj4294967295EEENS1_25partition_config_selectorILNS1_17partition_subalgoE3EjNS0_10empty_typeEbEEZZNS1_14partition_implILS8_3ELb0ES6_jNS0_17counting_iteratorIjlEEPS9_SE_NS0_5tupleIJPjSE_EEENSF_IJSE_SE_EEES9_SG_JZNS1_25segmented_radix_sort_implINS0_14default_configELb1EPKdPdPKlPlN2at6native12_GLOBAL__N_18offset_tEEE10hipError_tPvRmT1_PNSt15iterator_traitsISY_E10value_typeET2_T3_PNSZ_IS14_E10value_typeET4_jRbjT5_S1A_jjP12ihipStream_tbEUljE_EEESV_SW_SX_S14_S18_S1A_T6_T7_T9_mT8_S1C_bDpT10_ENKUlT_T0_E_clISt17integral_constantIbLb0EES1P_EEDaS1K_S1L_EUlS1K_E_NS1_11comp_targetILNS1_3genE3ELNS1_11target_archE908ELNS1_3gpuE7ELNS1_3repE0EEENS1_30default_config_static_selectorELNS0_4arch9wavefront6targetE0EEEvSY_.kd
    .uniform_work_group_size: 1
    .uses_dynamic_stack: false
    .vgpr_count:     0
    .vgpr_spill_count: 0
    .wavefront_size: 32
    .workgroup_processor_mode: 1
  - .args:
      - .offset:         0
        .size:           144
        .value_kind:     by_value
    .group_segment_fixed_size: 0
    .kernarg_segment_align: 8
    .kernarg_segment_size: 144
    .language:       OpenCL C
    .language_version:
      - 2
      - 0
    .max_flat_workgroup_size: 256
    .name:           _ZN7rocprim17ROCPRIM_400000_NS6detail17trampoline_kernelINS0_13select_configILj256ELj13ELNS0_17block_load_methodE3ELS4_3ELS4_3ELNS0_20block_scan_algorithmE0ELj4294967295EEENS1_25partition_config_selectorILNS1_17partition_subalgoE3EjNS0_10empty_typeEbEEZZNS1_14partition_implILS8_3ELb0ES6_jNS0_17counting_iteratorIjlEEPS9_SE_NS0_5tupleIJPjSE_EEENSF_IJSE_SE_EEES9_SG_JZNS1_25segmented_radix_sort_implINS0_14default_configELb1EPKdPdPKlPlN2at6native12_GLOBAL__N_18offset_tEEE10hipError_tPvRmT1_PNSt15iterator_traitsISY_E10value_typeET2_T3_PNSZ_IS14_E10value_typeET4_jRbjT5_S1A_jjP12ihipStream_tbEUljE_EEESV_SW_SX_S14_S18_S1A_T6_T7_T9_mT8_S1C_bDpT10_ENKUlT_T0_E_clISt17integral_constantIbLb0EES1P_EEDaS1K_S1L_EUlS1K_E_NS1_11comp_targetILNS1_3genE2ELNS1_11target_archE906ELNS1_3gpuE6ELNS1_3repE0EEENS1_30default_config_static_selectorELNS0_4arch9wavefront6targetE0EEEvSY_
    .private_segment_fixed_size: 0
    .sgpr_count:     0
    .sgpr_spill_count: 0
    .symbol:         _ZN7rocprim17ROCPRIM_400000_NS6detail17trampoline_kernelINS0_13select_configILj256ELj13ELNS0_17block_load_methodE3ELS4_3ELS4_3ELNS0_20block_scan_algorithmE0ELj4294967295EEENS1_25partition_config_selectorILNS1_17partition_subalgoE3EjNS0_10empty_typeEbEEZZNS1_14partition_implILS8_3ELb0ES6_jNS0_17counting_iteratorIjlEEPS9_SE_NS0_5tupleIJPjSE_EEENSF_IJSE_SE_EEES9_SG_JZNS1_25segmented_radix_sort_implINS0_14default_configELb1EPKdPdPKlPlN2at6native12_GLOBAL__N_18offset_tEEE10hipError_tPvRmT1_PNSt15iterator_traitsISY_E10value_typeET2_T3_PNSZ_IS14_E10value_typeET4_jRbjT5_S1A_jjP12ihipStream_tbEUljE_EEESV_SW_SX_S14_S18_S1A_T6_T7_T9_mT8_S1C_bDpT10_ENKUlT_T0_E_clISt17integral_constantIbLb0EES1P_EEDaS1K_S1L_EUlS1K_E_NS1_11comp_targetILNS1_3genE2ELNS1_11target_archE906ELNS1_3gpuE6ELNS1_3repE0EEENS1_30default_config_static_selectorELNS0_4arch9wavefront6targetE0EEEvSY_.kd
    .uniform_work_group_size: 1
    .uses_dynamic_stack: false
    .vgpr_count:     0
    .vgpr_spill_count: 0
    .wavefront_size: 32
    .workgroup_processor_mode: 1
  - .args:
      - .offset:         0
        .size:           144
        .value_kind:     by_value
    .group_segment_fixed_size: 13320
    .kernarg_segment_align: 8
    .kernarg_segment_size: 144
    .language:       OpenCL C
    .language_version:
      - 2
      - 0
    .max_flat_workgroup_size: 256
    .name:           _ZN7rocprim17ROCPRIM_400000_NS6detail17trampoline_kernelINS0_13select_configILj256ELj13ELNS0_17block_load_methodE3ELS4_3ELS4_3ELNS0_20block_scan_algorithmE0ELj4294967295EEENS1_25partition_config_selectorILNS1_17partition_subalgoE3EjNS0_10empty_typeEbEEZZNS1_14partition_implILS8_3ELb0ES6_jNS0_17counting_iteratorIjlEEPS9_SE_NS0_5tupleIJPjSE_EEENSF_IJSE_SE_EEES9_SG_JZNS1_25segmented_radix_sort_implINS0_14default_configELb1EPKdPdPKlPlN2at6native12_GLOBAL__N_18offset_tEEE10hipError_tPvRmT1_PNSt15iterator_traitsISY_E10value_typeET2_T3_PNSZ_IS14_E10value_typeET4_jRbjT5_S1A_jjP12ihipStream_tbEUljE_EEESV_SW_SX_S14_S18_S1A_T6_T7_T9_mT8_S1C_bDpT10_ENKUlT_T0_E_clISt17integral_constantIbLb0EES1P_EEDaS1K_S1L_EUlS1K_E_NS1_11comp_targetILNS1_3genE10ELNS1_11target_archE1200ELNS1_3gpuE4ELNS1_3repE0EEENS1_30default_config_static_selectorELNS0_4arch9wavefront6targetE0EEEvSY_
    .private_segment_fixed_size: 0
    .sgpr_count:     28
    .sgpr_spill_count: 0
    .symbol:         _ZN7rocprim17ROCPRIM_400000_NS6detail17trampoline_kernelINS0_13select_configILj256ELj13ELNS0_17block_load_methodE3ELS4_3ELS4_3ELNS0_20block_scan_algorithmE0ELj4294967295EEENS1_25partition_config_selectorILNS1_17partition_subalgoE3EjNS0_10empty_typeEbEEZZNS1_14partition_implILS8_3ELb0ES6_jNS0_17counting_iteratorIjlEEPS9_SE_NS0_5tupleIJPjSE_EEENSF_IJSE_SE_EEES9_SG_JZNS1_25segmented_radix_sort_implINS0_14default_configELb1EPKdPdPKlPlN2at6native12_GLOBAL__N_18offset_tEEE10hipError_tPvRmT1_PNSt15iterator_traitsISY_E10value_typeET2_T3_PNSZ_IS14_E10value_typeET4_jRbjT5_S1A_jjP12ihipStream_tbEUljE_EEESV_SW_SX_S14_S18_S1A_T6_T7_T9_mT8_S1C_bDpT10_ENKUlT_T0_E_clISt17integral_constantIbLb0EES1P_EEDaS1K_S1L_EUlS1K_E_NS1_11comp_targetILNS1_3genE10ELNS1_11target_archE1200ELNS1_3gpuE4ELNS1_3repE0EEENS1_30default_config_static_selectorELNS0_4arch9wavefront6targetE0EEEvSY_.kd
    .uniform_work_group_size: 1
    .uses_dynamic_stack: false
    .vgpr_count:     69
    .vgpr_spill_count: 0
    .wavefront_size: 32
    .workgroup_processor_mode: 1
  - .args:
      - .offset:         0
        .size:           144
        .value_kind:     by_value
    .group_segment_fixed_size: 0
    .kernarg_segment_align: 8
    .kernarg_segment_size: 144
    .language:       OpenCL C
    .language_version:
      - 2
      - 0
    .max_flat_workgroup_size: 256
    .name:           _ZN7rocprim17ROCPRIM_400000_NS6detail17trampoline_kernelINS0_13select_configILj256ELj13ELNS0_17block_load_methodE3ELS4_3ELS4_3ELNS0_20block_scan_algorithmE0ELj4294967295EEENS1_25partition_config_selectorILNS1_17partition_subalgoE3EjNS0_10empty_typeEbEEZZNS1_14partition_implILS8_3ELb0ES6_jNS0_17counting_iteratorIjlEEPS9_SE_NS0_5tupleIJPjSE_EEENSF_IJSE_SE_EEES9_SG_JZNS1_25segmented_radix_sort_implINS0_14default_configELb1EPKdPdPKlPlN2at6native12_GLOBAL__N_18offset_tEEE10hipError_tPvRmT1_PNSt15iterator_traitsISY_E10value_typeET2_T3_PNSZ_IS14_E10value_typeET4_jRbjT5_S1A_jjP12ihipStream_tbEUljE_EEESV_SW_SX_S14_S18_S1A_T6_T7_T9_mT8_S1C_bDpT10_ENKUlT_T0_E_clISt17integral_constantIbLb0EES1P_EEDaS1K_S1L_EUlS1K_E_NS1_11comp_targetILNS1_3genE9ELNS1_11target_archE1100ELNS1_3gpuE3ELNS1_3repE0EEENS1_30default_config_static_selectorELNS0_4arch9wavefront6targetE0EEEvSY_
    .private_segment_fixed_size: 0
    .sgpr_count:     0
    .sgpr_spill_count: 0
    .symbol:         _ZN7rocprim17ROCPRIM_400000_NS6detail17trampoline_kernelINS0_13select_configILj256ELj13ELNS0_17block_load_methodE3ELS4_3ELS4_3ELNS0_20block_scan_algorithmE0ELj4294967295EEENS1_25partition_config_selectorILNS1_17partition_subalgoE3EjNS0_10empty_typeEbEEZZNS1_14partition_implILS8_3ELb0ES6_jNS0_17counting_iteratorIjlEEPS9_SE_NS0_5tupleIJPjSE_EEENSF_IJSE_SE_EEES9_SG_JZNS1_25segmented_radix_sort_implINS0_14default_configELb1EPKdPdPKlPlN2at6native12_GLOBAL__N_18offset_tEEE10hipError_tPvRmT1_PNSt15iterator_traitsISY_E10value_typeET2_T3_PNSZ_IS14_E10value_typeET4_jRbjT5_S1A_jjP12ihipStream_tbEUljE_EEESV_SW_SX_S14_S18_S1A_T6_T7_T9_mT8_S1C_bDpT10_ENKUlT_T0_E_clISt17integral_constantIbLb0EES1P_EEDaS1K_S1L_EUlS1K_E_NS1_11comp_targetILNS1_3genE9ELNS1_11target_archE1100ELNS1_3gpuE3ELNS1_3repE0EEENS1_30default_config_static_selectorELNS0_4arch9wavefront6targetE0EEEvSY_.kd
    .uniform_work_group_size: 1
    .uses_dynamic_stack: false
    .vgpr_count:     0
    .vgpr_spill_count: 0
    .wavefront_size: 32
    .workgroup_processor_mode: 1
  - .args:
      - .offset:         0
        .size:           144
        .value_kind:     by_value
    .group_segment_fixed_size: 0
    .kernarg_segment_align: 8
    .kernarg_segment_size: 144
    .language:       OpenCL C
    .language_version:
      - 2
      - 0
    .max_flat_workgroup_size: 256
    .name:           _ZN7rocprim17ROCPRIM_400000_NS6detail17trampoline_kernelINS0_13select_configILj256ELj13ELNS0_17block_load_methodE3ELS4_3ELS4_3ELNS0_20block_scan_algorithmE0ELj4294967295EEENS1_25partition_config_selectorILNS1_17partition_subalgoE3EjNS0_10empty_typeEbEEZZNS1_14partition_implILS8_3ELb0ES6_jNS0_17counting_iteratorIjlEEPS9_SE_NS0_5tupleIJPjSE_EEENSF_IJSE_SE_EEES9_SG_JZNS1_25segmented_radix_sort_implINS0_14default_configELb1EPKdPdPKlPlN2at6native12_GLOBAL__N_18offset_tEEE10hipError_tPvRmT1_PNSt15iterator_traitsISY_E10value_typeET2_T3_PNSZ_IS14_E10value_typeET4_jRbjT5_S1A_jjP12ihipStream_tbEUljE_EEESV_SW_SX_S14_S18_S1A_T6_T7_T9_mT8_S1C_bDpT10_ENKUlT_T0_E_clISt17integral_constantIbLb0EES1P_EEDaS1K_S1L_EUlS1K_E_NS1_11comp_targetILNS1_3genE8ELNS1_11target_archE1030ELNS1_3gpuE2ELNS1_3repE0EEENS1_30default_config_static_selectorELNS0_4arch9wavefront6targetE0EEEvSY_
    .private_segment_fixed_size: 0
    .sgpr_count:     0
    .sgpr_spill_count: 0
    .symbol:         _ZN7rocprim17ROCPRIM_400000_NS6detail17trampoline_kernelINS0_13select_configILj256ELj13ELNS0_17block_load_methodE3ELS4_3ELS4_3ELNS0_20block_scan_algorithmE0ELj4294967295EEENS1_25partition_config_selectorILNS1_17partition_subalgoE3EjNS0_10empty_typeEbEEZZNS1_14partition_implILS8_3ELb0ES6_jNS0_17counting_iteratorIjlEEPS9_SE_NS0_5tupleIJPjSE_EEENSF_IJSE_SE_EEES9_SG_JZNS1_25segmented_radix_sort_implINS0_14default_configELb1EPKdPdPKlPlN2at6native12_GLOBAL__N_18offset_tEEE10hipError_tPvRmT1_PNSt15iterator_traitsISY_E10value_typeET2_T3_PNSZ_IS14_E10value_typeET4_jRbjT5_S1A_jjP12ihipStream_tbEUljE_EEESV_SW_SX_S14_S18_S1A_T6_T7_T9_mT8_S1C_bDpT10_ENKUlT_T0_E_clISt17integral_constantIbLb0EES1P_EEDaS1K_S1L_EUlS1K_E_NS1_11comp_targetILNS1_3genE8ELNS1_11target_archE1030ELNS1_3gpuE2ELNS1_3repE0EEENS1_30default_config_static_selectorELNS0_4arch9wavefront6targetE0EEEvSY_.kd
    .uniform_work_group_size: 1
    .uses_dynamic_stack: false
    .vgpr_count:     0
    .vgpr_spill_count: 0
    .wavefront_size: 32
    .workgroup_processor_mode: 1
  - .args:
      - .offset:         0
        .size:           152
        .value_kind:     by_value
    .group_segment_fixed_size: 0
    .kernarg_segment_align: 8
    .kernarg_segment_size: 152
    .language:       OpenCL C
    .language_version:
      - 2
      - 0
    .max_flat_workgroup_size: 256
    .name:           _ZN7rocprim17ROCPRIM_400000_NS6detail17trampoline_kernelINS0_13select_configILj256ELj13ELNS0_17block_load_methodE3ELS4_3ELS4_3ELNS0_20block_scan_algorithmE0ELj4294967295EEENS1_25partition_config_selectorILNS1_17partition_subalgoE3EjNS0_10empty_typeEbEEZZNS1_14partition_implILS8_3ELb0ES6_jNS0_17counting_iteratorIjlEEPS9_SE_NS0_5tupleIJPjSE_EEENSF_IJSE_SE_EEES9_SG_JZNS1_25segmented_radix_sort_implINS0_14default_configELb1EPKdPdPKlPlN2at6native12_GLOBAL__N_18offset_tEEE10hipError_tPvRmT1_PNSt15iterator_traitsISY_E10value_typeET2_T3_PNSZ_IS14_E10value_typeET4_jRbjT5_S1A_jjP12ihipStream_tbEUljE_EEESV_SW_SX_S14_S18_S1A_T6_T7_T9_mT8_S1C_bDpT10_ENKUlT_T0_E_clISt17integral_constantIbLb1EES1P_EEDaS1K_S1L_EUlS1K_E_NS1_11comp_targetILNS1_3genE0ELNS1_11target_archE4294967295ELNS1_3gpuE0ELNS1_3repE0EEENS1_30default_config_static_selectorELNS0_4arch9wavefront6targetE0EEEvSY_
    .private_segment_fixed_size: 0
    .sgpr_count:     0
    .sgpr_spill_count: 0
    .symbol:         _ZN7rocprim17ROCPRIM_400000_NS6detail17trampoline_kernelINS0_13select_configILj256ELj13ELNS0_17block_load_methodE3ELS4_3ELS4_3ELNS0_20block_scan_algorithmE0ELj4294967295EEENS1_25partition_config_selectorILNS1_17partition_subalgoE3EjNS0_10empty_typeEbEEZZNS1_14partition_implILS8_3ELb0ES6_jNS0_17counting_iteratorIjlEEPS9_SE_NS0_5tupleIJPjSE_EEENSF_IJSE_SE_EEES9_SG_JZNS1_25segmented_radix_sort_implINS0_14default_configELb1EPKdPdPKlPlN2at6native12_GLOBAL__N_18offset_tEEE10hipError_tPvRmT1_PNSt15iterator_traitsISY_E10value_typeET2_T3_PNSZ_IS14_E10value_typeET4_jRbjT5_S1A_jjP12ihipStream_tbEUljE_EEESV_SW_SX_S14_S18_S1A_T6_T7_T9_mT8_S1C_bDpT10_ENKUlT_T0_E_clISt17integral_constantIbLb1EES1P_EEDaS1K_S1L_EUlS1K_E_NS1_11comp_targetILNS1_3genE0ELNS1_11target_archE4294967295ELNS1_3gpuE0ELNS1_3repE0EEENS1_30default_config_static_selectorELNS0_4arch9wavefront6targetE0EEEvSY_.kd
    .uniform_work_group_size: 1
    .uses_dynamic_stack: false
    .vgpr_count:     0
    .vgpr_spill_count: 0
    .wavefront_size: 32
    .workgroup_processor_mode: 1
  - .args:
      - .offset:         0
        .size:           152
        .value_kind:     by_value
    .group_segment_fixed_size: 0
    .kernarg_segment_align: 8
    .kernarg_segment_size: 152
    .language:       OpenCL C
    .language_version:
      - 2
      - 0
    .max_flat_workgroup_size: 256
    .name:           _ZN7rocprim17ROCPRIM_400000_NS6detail17trampoline_kernelINS0_13select_configILj256ELj13ELNS0_17block_load_methodE3ELS4_3ELS4_3ELNS0_20block_scan_algorithmE0ELj4294967295EEENS1_25partition_config_selectorILNS1_17partition_subalgoE3EjNS0_10empty_typeEbEEZZNS1_14partition_implILS8_3ELb0ES6_jNS0_17counting_iteratorIjlEEPS9_SE_NS0_5tupleIJPjSE_EEENSF_IJSE_SE_EEES9_SG_JZNS1_25segmented_radix_sort_implINS0_14default_configELb1EPKdPdPKlPlN2at6native12_GLOBAL__N_18offset_tEEE10hipError_tPvRmT1_PNSt15iterator_traitsISY_E10value_typeET2_T3_PNSZ_IS14_E10value_typeET4_jRbjT5_S1A_jjP12ihipStream_tbEUljE_EEESV_SW_SX_S14_S18_S1A_T6_T7_T9_mT8_S1C_bDpT10_ENKUlT_T0_E_clISt17integral_constantIbLb1EES1P_EEDaS1K_S1L_EUlS1K_E_NS1_11comp_targetILNS1_3genE5ELNS1_11target_archE942ELNS1_3gpuE9ELNS1_3repE0EEENS1_30default_config_static_selectorELNS0_4arch9wavefront6targetE0EEEvSY_
    .private_segment_fixed_size: 0
    .sgpr_count:     0
    .sgpr_spill_count: 0
    .symbol:         _ZN7rocprim17ROCPRIM_400000_NS6detail17trampoline_kernelINS0_13select_configILj256ELj13ELNS0_17block_load_methodE3ELS4_3ELS4_3ELNS0_20block_scan_algorithmE0ELj4294967295EEENS1_25partition_config_selectorILNS1_17partition_subalgoE3EjNS0_10empty_typeEbEEZZNS1_14partition_implILS8_3ELb0ES6_jNS0_17counting_iteratorIjlEEPS9_SE_NS0_5tupleIJPjSE_EEENSF_IJSE_SE_EEES9_SG_JZNS1_25segmented_radix_sort_implINS0_14default_configELb1EPKdPdPKlPlN2at6native12_GLOBAL__N_18offset_tEEE10hipError_tPvRmT1_PNSt15iterator_traitsISY_E10value_typeET2_T3_PNSZ_IS14_E10value_typeET4_jRbjT5_S1A_jjP12ihipStream_tbEUljE_EEESV_SW_SX_S14_S18_S1A_T6_T7_T9_mT8_S1C_bDpT10_ENKUlT_T0_E_clISt17integral_constantIbLb1EES1P_EEDaS1K_S1L_EUlS1K_E_NS1_11comp_targetILNS1_3genE5ELNS1_11target_archE942ELNS1_3gpuE9ELNS1_3repE0EEENS1_30default_config_static_selectorELNS0_4arch9wavefront6targetE0EEEvSY_.kd
    .uniform_work_group_size: 1
    .uses_dynamic_stack: false
    .vgpr_count:     0
    .vgpr_spill_count: 0
    .wavefront_size: 32
    .workgroup_processor_mode: 1
  - .args:
      - .offset:         0
        .size:           152
        .value_kind:     by_value
    .group_segment_fixed_size: 0
    .kernarg_segment_align: 8
    .kernarg_segment_size: 152
    .language:       OpenCL C
    .language_version:
      - 2
      - 0
    .max_flat_workgroup_size: 256
    .name:           _ZN7rocprim17ROCPRIM_400000_NS6detail17trampoline_kernelINS0_13select_configILj256ELj13ELNS0_17block_load_methodE3ELS4_3ELS4_3ELNS0_20block_scan_algorithmE0ELj4294967295EEENS1_25partition_config_selectorILNS1_17partition_subalgoE3EjNS0_10empty_typeEbEEZZNS1_14partition_implILS8_3ELb0ES6_jNS0_17counting_iteratorIjlEEPS9_SE_NS0_5tupleIJPjSE_EEENSF_IJSE_SE_EEES9_SG_JZNS1_25segmented_radix_sort_implINS0_14default_configELb1EPKdPdPKlPlN2at6native12_GLOBAL__N_18offset_tEEE10hipError_tPvRmT1_PNSt15iterator_traitsISY_E10value_typeET2_T3_PNSZ_IS14_E10value_typeET4_jRbjT5_S1A_jjP12ihipStream_tbEUljE_EEESV_SW_SX_S14_S18_S1A_T6_T7_T9_mT8_S1C_bDpT10_ENKUlT_T0_E_clISt17integral_constantIbLb1EES1P_EEDaS1K_S1L_EUlS1K_E_NS1_11comp_targetILNS1_3genE4ELNS1_11target_archE910ELNS1_3gpuE8ELNS1_3repE0EEENS1_30default_config_static_selectorELNS0_4arch9wavefront6targetE0EEEvSY_
    .private_segment_fixed_size: 0
    .sgpr_count:     0
    .sgpr_spill_count: 0
    .symbol:         _ZN7rocprim17ROCPRIM_400000_NS6detail17trampoline_kernelINS0_13select_configILj256ELj13ELNS0_17block_load_methodE3ELS4_3ELS4_3ELNS0_20block_scan_algorithmE0ELj4294967295EEENS1_25partition_config_selectorILNS1_17partition_subalgoE3EjNS0_10empty_typeEbEEZZNS1_14partition_implILS8_3ELb0ES6_jNS0_17counting_iteratorIjlEEPS9_SE_NS0_5tupleIJPjSE_EEENSF_IJSE_SE_EEES9_SG_JZNS1_25segmented_radix_sort_implINS0_14default_configELb1EPKdPdPKlPlN2at6native12_GLOBAL__N_18offset_tEEE10hipError_tPvRmT1_PNSt15iterator_traitsISY_E10value_typeET2_T3_PNSZ_IS14_E10value_typeET4_jRbjT5_S1A_jjP12ihipStream_tbEUljE_EEESV_SW_SX_S14_S18_S1A_T6_T7_T9_mT8_S1C_bDpT10_ENKUlT_T0_E_clISt17integral_constantIbLb1EES1P_EEDaS1K_S1L_EUlS1K_E_NS1_11comp_targetILNS1_3genE4ELNS1_11target_archE910ELNS1_3gpuE8ELNS1_3repE0EEENS1_30default_config_static_selectorELNS0_4arch9wavefront6targetE0EEEvSY_.kd
    .uniform_work_group_size: 1
    .uses_dynamic_stack: false
    .vgpr_count:     0
    .vgpr_spill_count: 0
    .wavefront_size: 32
    .workgroup_processor_mode: 1
  - .args:
      - .offset:         0
        .size:           152
        .value_kind:     by_value
    .group_segment_fixed_size: 0
    .kernarg_segment_align: 8
    .kernarg_segment_size: 152
    .language:       OpenCL C
    .language_version:
      - 2
      - 0
    .max_flat_workgroup_size: 256
    .name:           _ZN7rocprim17ROCPRIM_400000_NS6detail17trampoline_kernelINS0_13select_configILj256ELj13ELNS0_17block_load_methodE3ELS4_3ELS4_3ELNS0_20block_scan_algorithmE0ELj4294967295EEENS1_25partition_config_selectorILNS1_17partition_subalgoE3EjNS0_10empty_typeEbEEZZNS1_14partition_implILS8_3ELb0ES6_jNS0_17counting_iteratorIjlEEPS9_SE_NS0_5tupleIJPjSE_EEENSF_IJSE_SE_EEES9_SG_JZNS1_25segmented_radix_sort_implINS0_14default_configELb1EPKdPdPKlPlN2at6native12_GLOBAL__N_18offset_tEEE10hipError_tPvRmT1_PNSt15iterator_traitsISY_E10value_typeET2_T3_PNSZ_IS14_E10value_typeET4_jRbjT5_S1A_jjP12ihipStream_tbEUljE_EEESV_SW_SX_S14_S18_S1A_T6_T7_T9_mT8_S1C_bDpT10_ENKUlT_T0_E_clISt17integral_constantIbLb1EES1P_EEDaS1K_S1L_EUlS1K_E_NS1_11comp_targetILNS1_3genE3ELNS1_11target_archE908ELNS1_3gpuE7ELNS1_3repE0EEENS1_30default_config_static_selectorELNS0_4arch9wavefront6targetE0EEEvSY_
    .private_segment_fixed_size: 0
    .sgpr_count:     0
    .sgpr_spill_count: 0
    .symbol:         _ZN7rocprim17ROCPRIM_400000_NS6detail17trampoline_kernelINS0_13select_configILj256ELj13ELNS0_17block_load_methodE3ELS4_3ELS4_3ELNS0_20block_scan_algorithmE0ELj4294967295EEENS1_25partition_config_selectorILNS1_17partition_subalgoE3EjNS0_10empty_typeEbEEZZNS1_14partition_implILS8_3ELb0ES6_jNS0_17counting_iteratorIjlEEPS9_SE_NS0_5tupleIJPjSE_EEENSF_IJSE_SE_EEES9_SG_JZNS1_25segmented_radix_sort_implINS0_14default_configELb1EPKdPdPKlPlN2at6native12_GLOBAL__N_18offset_tEEE10hipError_tPvRmT1_PNSt15iterator_traitsISY_E10value_typeET2_T3_PNSZ_IS14_E10value_typeET4_jRbjT5_S1A_jjP12ihipStream_tbEUljE_EEESV_SW_SX_S14_S18_S1A_T6_T7_T9_mT8_S1C_bDpT10_ENKUlT_T0_E_clISt17integral_constantIbLb1EES1P_EEDaS1K_S1L_EUlS1K_E_NS1_11comp_targetILNS1_3genE3ELNS1_11target_archE908ELNS1_3gpuE7ELNS1_3repE0EEENS1_30default_config_static_selectorELNS0_4arch9wavefront6targetE0EEEvSY_.kd
    .uniform_work_group_size: 1
    .uses_dynamic_stack: false
    .vgpr_count:     0
    .vgpr_spill_count: 0
    .wavefront_size: 32
    .workgroup_processor_mode: 1
  - .args:
      - .offset:         0
        .size:           152
        .value_kind:     by_value
    .group_segment_fixed_size: 0
    .kernarg_segment_align: 8
    .kernarg_segment_size: 152
    .language:       OpenCL C
    .language_version:
      - 2
      - 0
    .max_flat_workgroup_size: 256
    .name:           _ZN7rocprim17ROCPRIM_400000_NS6detail17trampoline_kernelINS0_13select_configILj256ELj13ELNS0_17block_load_methodE3ELS4_3ELS4_3ELNS0_20block_scan_algorithmE0ELj4294967295EEENS1_25partition_config_selectorILNS1_17partition_subalgoE3EjNS0_10empty_typeEbEEZZNS1_14partition_implILS8_3ELb0ES6_jNS0_17counting_iteratorIjlEEPS9_SE_NS0_5tupleIJPjSE_EEENSF_IJSE_SE_EEES9_SG_JZNS1_25segmented_radix_sort_implINS0_14default_configELb1EPKdPdPKlPlN2at6native12_GLOBAL__N_18offset_tEEE10hipError_tPvRmT1_PNSt15iterator_traitsISY_E10value_typeET2_T3_PNSZ_IS14_E10value_typeET4_jRbjT5_S1A_jjP12ihipStream_tbEUljE_EEESV_SW_SX_S14_S18_S1A_T6_T7_T9_mT8_S1C_bDpT10_ENKUlT_T0_E_clISt17integral_constantIbLb1EES1P_EEDaS1K_S1L_EUlS1K_E_NS1_11comp_targetILNS1_3genE2ELNS1_11target_archE906ELNS1_3gpuE6ELNS1_3repE0EEENS1_30default_config_static_selectorELNS0_4arch9wavefront6targetE0EEEvSY_
    .private_segment_fixed_size: 0
    .sgpr_count:     0
    .sgpr_spill_count: 0
    .symbol:         _ZN7rocprim17ROCPRIM_400000_NS6detail17trampoline_kernelINS0_13select_configILj256ELj13ELNS0_17block_load_methodE3ELS4_3ELS4_3ELNS0_20block_scan_algorithmE0ELj4294967295EEENS1_25partition_config_selectorILNS1_17partition_subalgoE3EjNS0_10empty_typeEbEEZZNS1_14partition_implILS8_3ELb0ES6_jNS0_17counting_iteratorIjlEEPS9_SE_NS0_5tupleIJPjSE_EEENSF_IJSE_SE_EEES9_SG_JZNS1_25segmented_radix_sort_implINS0_14default_configELb1EPKdPdPKlPlN2at6native12_GLOBAL__N_18offset_tEEE10hipError_tPvRmT1_PNSt15iterator_traitsISY_E10value_typeET2_T3_PNSZ_IS14_E10value_typeET4_jRbjT5_S1A_jjP12ihipStream_tbEUljE_EEESV_SW_SX_S14_S18_S1A_T6_T7_T9_mT8_S1C_bDpT10_ENKUlT_T0_E_clISt17integral_constantIbLb1EES1P_EEDaS1K_S1L_EUlS1K_E_NS1_11comp_targetILNS1_3genE2ELNS1_11target_archE906ELNS1_3gpuE6ELNS1_3repE0EEENS1_30default_config_static_selectorELNS0_4arch9wavefront6targetE0EEEvSY_.kd
    .uniform_work_group_size: 1
    .uses_dynamic_stack: false
    .vgpr_count:     0
    .vgpr_spill_count: 0
    .wavefront_size: 32
    .workgroup_processor_mode: 1
  - .args:
      - .offset:         0
        .size:           152
        .value_kind:     by_value
    .group_segment_fixed_size: 0
    .kernarg_segment_align: 8
    .kernarg_segment_size: 152
    .language:       OpenCL C
    .language_version:
      - 2
      - 0
    .max_flat_workgroup_size: 256
    .name:           _ZN7rocprim17ROCPRIM_400000_NS6detail17trampoline_kernelINS0_13select_configILj256ELj13ELNS0_17block_load_methodE3ELS4_3ELS4_3ELNS0_20block_scan_algorithmE0ELj4294967295EEENS1_25partition_config_selectorILNS1_17partition_subalgoE3EjNS0_10empty_typeEbEEZZNS1_14partition_implILS8_3ELb0ES6_jNS0_17counting_iteratorIjlEEPS9_SE_NS0_5tupleIJPjSE_EEENSF_IJSE_SE_EEES9_SG_JZNS1_25segmented_radix_sort_implINS0_14default_configELb1EPKdPdPKlPlN2at6native12_GLOBAL__N_18offset_tEEE10hipError_tPvRmT1_PNSt15iterator_traitsISY_E10value_typeET2_T3_PNSZ_IS14_E10value_typeET4_jRbjT5_S1A_jjP12ihipStream_tbEUljE_EEESV_SW_SX_S14_S18_S1A_T6_T7_T9_mT8_S1C_bDpT10_ENKUlT_T0_E_clISt17integral_constantIbLb1EES1P_EEDaS1K_S1L_EUlS1K_E_NS1_11comp_targetILNS1_3genE10ELNS1_11target_archE1200ELNS1_3gpuE4ELNS1_3repE0EEENS1_30default_config_static_selectorELNS0_4arch9wavefront6targetE0EEEvSY_
    .private_segment_fixed_size: 0
    .sgpr_count:     0
    .sgpr_spill_count: 0
    .symbol:         _ZN7rocprim17ROCPRIM_400000_NS6detail17trampoline_kernelINS0_13select_configILj256ELj13ELNS0_17block_load_methodE3ELS4_3ELS4_3ELNS0_20block_scan_algorithmE0ELj4294967295EEENS1_25partition_config_selectorILNS1_17partition_subalgoE3EjNS0_10empty_typeEbEEZZNS1_14partition_implILS8_3ELb0ES6_jNS0_17counting_iteratorIjlEEPS9_SE_NS0_5tupleIJPjSE_EEENSF_IJSE_SE_EEES9_SG_JZNS1_25segmented_radix_sort_implINS0_14default_configELb1EPKdPdPKlPlN2at6native12_GLOBAL__N_18offset_tEEE10hipError_tPvRmT1_PNSt15iterator_traitsISY_E10value_typeET2_T3_PNSZ_IS14_E10value_typeET4_jRbjT5_S1A_jjP12ihipStream_tbEUljE_EEESV_SW_SX_S14_S18_S1A_T6_T7_T9_mT8_S1C_bDpT10_ENKUlT_T0_E_clISt17integral_constantIbLb1EES1P_EEDaS1K_S1L_EUlS1K_E_NS1_11comp_targetILNS1_3genE10ELNS1_11target_archE1200ELNS1_3gpuE4ELNS1_3repE0EEENS1_30default_config_static_selectorELNS0_4arch9wavefront6targetE0EEEvSY_.kd
    .uniform_work_group_size: 1
    .uses_dynamic_stack: false
    .vgpr_count:     0
    .vgpr_spill_count: 0
    .wavefront_size: 32
    .workgroup_processor_mode: 1
  - .args:
      - .offset:         0
        .size:           152
        .value_kind:     by_value
    .group_segment_fixed_size: 0
    .kernarg_segment_align: 8
    .kernarg_segment_size: 152
    .language:       OpenCL C
    .language_version:
      - 2
      - 0
    .max_flat_workgroup_size: 256
    .name:           _ZN7rocprim17ROCPRIM_400000_NS6detail17trampoline_kernelINS0_13select_configILj256ELj13ELNS0_17block_load_methodE3ELS4_3ELS4_3ELNS0_20block_scan_algorithmE0ELj4294967295EEENS1_25partition_config_selectorILNS1_17partition_subalgoE3EjNS0_10empty_typeEbEEZZNS1_14partition_implILS8_3ELb0ES6_jNS0_17counting_iteratorIjlEEPS9_SE_NS0_5tupleIJPjSE_EEENSF_IJSE_SE_EEES9_SG_JZNS1_25segmented_radix_sort_implINS0_14default_configELb1EPKdPdPKlPlN2at6native12_GLOBAL__N_18offset_tEEE10hipError_tPvRmT1_PNSt15iterator_traitsISY_E10value_typeET2_T3_PNSZ_IS14_E10value_typeET4_jRbjT5_S1A_jjP12ihipStream_tbEUljE_EEESV_SW_SX_S14_S18_S1A_T6_T7_T9_mT8_S1C_bDpT10_ENKUlT_T0_E_clISt17integral_constantIbLb1EES1P_EEDaS1K_S1L_EUlS1K_E_NS1_11comp_targetILNS1_3genE9ELNS1_11target_archE1100ELNS1_3gpuE3ELNS1_3repE0EEENS1_30default_config_static_selectorELNS0_4arch9wavefront6targetE0EEEvSY_
    .private_segment_fixed_size: 0
    .sgpr_count:     0
    .sgpr_spill_count: 0
    .symbol:         _ZN7rocprim17ROCPRIM_400000_NS6detail17trampoline_kernelINS0_13select_configILj256ELj13ELNS0_17block_load_methodE3ELS4_3ELS4_3ELNS0_20block_scan_algorithmE0ELj4294967295EEENS1_25partition_config_selectorILNS1_17partition_subalgoE3EjNS0_10empty_typeEbEEZZNS1_14partition_implILS8_3ELb0ES6_jNS0_17counting_iteratorIjlEEPS9_SE_NS0_5tupleIJPjSE_EEENSF_IJSE_SE_EEES9_SG_JZNS1_25segmented_radix_sort_implINS0_14default_configELb1EPKdPdPKlPlN2at6native12_GLOBAL__N_18offset_tEEE10hipError_tPvRmT1_PNSt15iterator_traitsISY_E10value_typeET2_T3_PNSZ_IS14_E10value_typeET4_jRbjT5_S1A_jjP12ihipStream_tbEUljE_EEESV_SW_SX_S14_S18_S1A_T6_T7_T9_mT8_S1C_bDpT10_ENKUlT_T0_E_clISt17integral_constantIbLb1EES1P_EEDaS1K_S1L_EUlS1K_E_NS1_11comp_targetILNS1_3genE9ELNS1_11target_archE1100ELNS1_3gpuE3ELNS1_3repE0EEENS1_30default_config_static_selectorELNS0_4arch9wavefront6targetE0EEEvSY_.kd
    .uniform_work_group_size: 1
    .uses_dynamic_stack: false
    .vgpr_count:     0
    .vgpr_spill_count: 0
    .wavefront_size: 32
    .workgroup_processor_mode: 1
  - .args:
      - .offset:         0
        .size:           152
        .value_kind:     by_value
    .group_segment_fixed_size: 0
    .kernarg_segment_align: 8
    .kernarg_segment_size: 152
    .language:       OpenCL C
    .language_version:
      - 2
      - 0
    .max_flat_workgroup_size: 256
    .name:           _ZN7rocprim17ROCPRIM_400000_NS6detail17trampoline_kernelINS0_13select_configILj256ELj13ELNS0_17block_load_methodE3ELS4_3ELS4_3ELNS0_20block_scan_algorithmE0ELj4294967295EEENS1_25partition_config_selectorILNS1_17partition_subalgoE3EjNS0_10empty_typeEbEEZZNS1_14partition_implILS8_3ELb0ES6_jNS0_17counting_iteratorIjlEEPS9_SE_NS0_5tupleIJPjSE_EEENSF_IJSE_SE_EEES9_SG_JZNS1_25segmented_radix_sort_implINS0_14default_configELb1EPKdPdPKlPlN2at6native12_GLOBAL__N_18offset_tEEE10hipError_tPvRmT1_PNSt15iterator_traitsISY_E10value_typeET2_T3_PNSZ_IS14_E10value_typeET4_jRbjT5_S1A_jjP12ihipStream_tbEUljE_EEESV_SW_SX_S14_S18_S1A_T6_T7_T9_mT8_S1C_bDpT10_ENKUlT_T0_E_clISt17integral_constantIbLb1EES1P_EEDaS1K_S1L_EUlS1K_E_NS1_11comp_targetILNS1_3genE8ELNS1_11target_archE1030ELNS1_3gpuE2ELNS1_3repE0EEENS1_30default_config_static_selectorELNS0_4arch9wavefront6targetE0EEEvSY_
    .private_segment_fixed_size: 0
    .sgpr_count:     0
    .sgpr_spill_count: 0
    .symbol:         _ZN7rocprim17ROCPRIM_400000_NS6detail17trampoline_kernelINS0_13select_configILj256ELj13ELNS0_17block_load_methodE3ELS4_3ELS4_3ELNS0_20block_scan_algorithmE0ELj4294967295EEENS1_25partition_config_selectorILNS1_17partition_subalgoE3EjNS0_10empty_typeEbEEZZNS1_14partition_implILS8_3ELb0ES6_jNS0_17counting_iteratorIjlEEPS9_SE_NS0_5tupleIJPjSE_EEENSF_IJSE_SE_EEES9_SG_JZNS1_25segmented_radix_sort_implINS0_14default_configELb1EPKdPdPKlPlN2at6native12_GLOBAL__N_18offset_tEEE10hipError_tPvRmT1_PNSt15iterator_traitsISY_E10value_typeET2_T3_PNSZ_IS14_E10value_typeET4_jRbjT5_S1A_jjP12ihipStream_tbEUljE_EEESV_SW_SX_S14_S18_S1A_T6_T7_T9_mT8_S1C_bDpT10_ENKUlT_T0_E_clISt17integral_constantIbLb1EES1P_EEDaS1K_S1L_EUlS1K_E_NS1_11comp_targetILNS1_3genE8ELNS1_11target_archE1030ELNS1_3gpuE2ELNS1_3repE0EEENS1_30default_config_static_selectorELNS0_4arch9wavefront6targetE0EEEvSY_.kd
    .uniform_work_group_size: 1
    .uses_dynamic_stack: false
    .vgpr_count:     0
    .vgpr_spill_count: 0
    .wavefront_size: 32
    .workgroup_processor_mode: 1
  - .args:
      - .offset:         0
        .size:           144
        .value_kind:     by_value
    .group_segment_fixed_size: 0
    .kernarg_segment_align: 8
    .kernarg_segment_size: 144
    .language:       OpenCL C
    .language_version:
      - 2
      - 0
    .max_flat_workgroup_size: 256
    .name:           _ZN7rocprim17ROCPRIM_400000_NS6detail17trampoline_kernelINS0_13select_configILj256ELj13ELNS0_17block_load_methodE3ELS4_3ELS4_3ELNS0_20block_scan_algorithmE0ELj4294967295EEENS1_25partition_config_selectorILNS1_17partition_subalgoE3EjNS0_10empty_typeEbEEZZNS1_14partition_implILS8_3ELb0ES6_jNS0_17counting_iteratorIjlEEPS9_SE_NS0_5tupleIJPjSE_EEENSF_IJSE_SE_EEES9_SG_JZNS1_25segmented_radix_sort_implINS0_14default_configELb1EPKdPdPKlPlN2at6native12_GLOBAL__N_18offset_tEEE10hipError_tPvRmT1_PNSt15iterator_traitsISY_E10value_typeET2_T3_PNSZ_IS14_E10value_typeET4_jRbjT5_S1A_jjP12ihipStream_tbEUljE_EEESV_SW_SX_S14_S18_S1A_T6_T7_T9_mT8_S1C_bDpT10_ENKUlT_T0_E_clISt17integral_constantIbLb1EES1O_IbLb0EEEEDaS1K_S1L_EUlS1K_E_NS1_11comp_targetILNS1_3genE0ELNS1_11target_archE4294967295ELNS1_3gpuE0ELNS1_3repE0EEENS1_30default_config_static_selectorELNS0_4arch9wavefront6targetE0EEEvSY_
    .private_segment_fixed_size: 0
    .sgpr_count:     0
    .sgpr_spill_count: 0
    .symbol:         _ZN7rocprim17ROCPRIM_400000_NS6detail17trampoline_kernelINS0_13select_configILj256ELj13ELNS0_17block_load_methodE3ELS4_3ELS4_3ELNS0_20block_scan_algorithmE0ELj4294967295EEENS1_25partition_config_selectorILNS1_17partition_subalgoE3EjNS0_10empty_typeEbEEZZNS1_14partition_implILS8_3ELb0ES6_jNS0_17counting_iteratorIjlEEPS9_SE_NS0_5tupleIJPjSE_EEENSF_IJSE_SE_EEES9_SG_JZNS1_25segmented_radix_sort_implINS0_14default_configELb1EPKdPdPKlPlN2at6native12_GLOBAL__N_18offset_tEEE10hipError_tPvRmT1_PNSt15iterator_traitsISY_E10value_typeET2_T3_PNSZ_IS14_E10value_typeET4_jRbjT5_S1A_jjP12ihipStream_tbEUljE_EEESV_SW_SX_S14_S18_S1A_T6_T7_T9_mT8_S1C_bDpT10_ENKUlT_T0_E_clISt17integral_constantIbLb1EES1O_IbLb0EEEEDaS1K_S1L_EUlS1K_E_NS1_11comp_targetILNS1_3genE0ELNS1_11target_archE4294967295ELNS1_3gpuE0ELNS1_3repE0EEENS1_30default_config_static_selectorELNS0_4arch9wavefront6targetE0EEEvSY_.kd
    .uniform_work_group_size: 1
    .uses_dynamic_stack: false
    .vgpr_count:     0
    .vgpr_spill_count: 0
    .wavefront_size: 32
    .workgroup_processor_mode: 1
  - .args:
      - .offset:         0
        .size:           144
        .value_kind:     by_value
    .group_segment_fixed_size: 0
    .kernarg_segment_align: 8
    .kernarg_segment_size: 144
    .language:       OpenCL C
    .language_version:
      - 2
      - 0
    .max_flat_workgroup_size: 256
    .name:           _ZN7rocprim17ROCPRIM_400000_NS6detail17trampoline_kernelINS0_13select_configILj256ELj13ELNS0_17block_load_methodE3ELS4_3ELS4_3ELNS0_20block_scan_algorithmE0ELj4294967295EEENS1_25partition_config_selectorILNS1_17partition_subalgoE3EjNS0_10empty_typeEbEEZZNS1_14partition_implILS8_3ELb0ES6_jNS0_17counting_iteratorIjlEEPS9_SE_NS0_5tupleIJPjSE_EEENSF_IJSE_SE_EEES9_SG_JZNS1_25segmented_radix_sort_implINS0_14default_configELb1EPKdPdPKlPlN2at6native12_GLOBAL__N_18offset_tEEE10hipError_tPvRmT1_PNSt15iterator_traitsISY_E10value_typeET2_T3_PNSZ_IS14_E10value_typeET4_jRbjT5_S1A_jjP12ihipStream_tbEUljE_EEESV_SW_SX_S14_S18_S1A_T6_T7_T9_mT8_S1C_bDpT10_ENKUlT_T0_E_clISt17integral_constantIbLb1EES1O_IbLb0EEEEDaS1K_S1L_EUlS1K_E_NS1_11comp_targetILNS1_3genE5ELNS1_11target_archE942ELNS1_3gpuE9ELNS1_3repE0EEENS1_30default_config_static_selectorELNS0_4arch9wavefront6targetE0EEEvSY_
    .private_segment_fixed_size: 0
    .sgpr_count:     0
    .sgpr_spill_count: 0
    .symbol:         _ZN7rocprim17ROCPRIM_400000_NS6detail17trampoline_kernelINS0_13select_configILj256ELj13ELNS0_17block_load_methodE3ELS4_3ELS4_3ELNS0_20block_scan_algorithmE0ELj4294967295EEENS1_25partition_config_selectorILNS1_17partition_subalgoE3EjNS0_10empty_typeEbEEZZNS1_14partition_implILS8_3ELb0ES6_jNS0_17counting_iteratorIjlEEPS9_SE_NS0_5tupleIJPjSE_EEENSF_IJSE_SE_EEES9_SG_JZNS1_25segmented_radix_sort_implINS0_14default_configELb1EPKdPdPKlPlN2at6native12_GLOBAL__N_18offset_tEEE10hipError_tPvRmT1_PNSt15iterator_traitsISY_E10value_typeET2_T3_PNSZ_IS14_E10value_typeET4_jRbjT5_S1A_jjP12ihipStream_tbEUljE_EEESV_SW_SX_S14_S18_S1A_T6_T7_T9_mT8_S1C_bDpT10_ENKUlT_T0_E_clISt17integral_constantIbLb1EES1O_IbLb0EEEEDaS1K_S1L_EUlS1K_E_NS1_11comp_targetILNS1_3genE5ELNS1_11target_archE942ELNS1_3gpuE9ELNS1_3repE0EEENS1_30default_config_static_selectorELNS0_4arch9wavefront6targetE0EEEvSY_.kd
    .uniform_work_group_size: 1
    .uses_dynamic_stack: false
    .vgpr_count:     0
    .vgpr_spill_count: 0
    .wavefront_size: 32
    .workgroup_processor_mode: 1
  - .args:
      - .offset:         0
        .size:           144
        .value_kind:     by_value
    .group_segment_fixed_size: 0
    .kernarg_segment_align: 8
    .kernarg_segment_size: 144
    .language:       OpenCL C
    .language_version:
      - 2
      - 0
    .max_flat_workgroup_size: 256
    .name:           _ZN7rocprim17ROCPRIM_400000_NS6detail17trampoline_kernelINS0_13select_configILj256ELj13ELNS0_17block_load_methodE3ELS4_3ELS4_3ELNS0_20block_scan_algorithmE0ELj4294967295EEENS1_25partition_config_selectorILNS1_17partition_subalgoE3EjNS0_10empty_typeEbEEZZNS1_14partition_implILS8_3ELb0ES6_jNS0_17counting_iteratorIjlEEPS9_SE_NS0_5tupleIJPjSE_EEENSF_IJSE_SE_EEES9_SG_JZNS1_25segmented_radix_sort_implINS0_14default_configELb1EPKdPdPKlPlN2at6native12_GLOBAL__N_18offset_tEEE10hipError_tPvRmT1_PNSt15iterator_traitsISY_E10value_typeET2_T3_PNSZ_IS14_E10value_typeET4_jRbjT5_S1A_jjP12ihipStream_tbEUljE_EEESV_SW_SX_S14_S18_S1A_T6_T7_T9_mT8_S1C_bDpT10_ENKUlT_T0_E_clISt17integral_constantIbLb1EES1O_IbLb0EEEEDaS1K_S1L_EUlS1K_E_NS1_11comp_targetILNS1_3genE4ELNS1_11target_archE910ELNS1_3gpuE8ELNS1_3repE0EEENS1_30default_config_static_selectorELNS0_4arch9wavefront6targetE0EEEvSY_
    .private_segment_fixed_size: 0
    .sgpr_count:     0
    .sgpr_spill_count: 0
    .symbol:         _ZN7rocprim17ROCPRIM_400000_NS6detail17trampoline_kernelINS0_13select_configILj256ELj13ELNS0_17block_load_methodE3ELS4_3ELS4_3ELNS0_20block_scan_algorithmE0ELj4294967295EEENS1_25partition_config_selectorILNS1_17partition_subalgoE3EjNS0_10empty_typeEbEEZZNS1_14partition_implILS8_3ELb0ES6_jNS0_17counting_iteratorIjlEEPS9_SE_NS0_5tupleIJPjSE_EEENSF_IJSE_SE_EEES9_SG_JZNS1_25segmented_radix_sort_implINS0_14default_configELb1EPKdPdPKlPlN2at6native12_GLOBAL__N_18offset_tEEE10hipError_tPvRmT1_PNSt15iterator_traitsISY_E10value_typeET2_T3_PNSZ_IS14_E10value_typeET4_jRbjT5_S1A_jjP12ihipStream_tbEUljE_EEESV_SW_SX_S14_S18_S1A_T6_T7_T9_mT8_S1C_bDpT10_ENKUlT_T0_E_clISt17integral_constantIbLb1EES1O_IbLb0EEEEDaS1K_S1L_EUlS1K_E_NS1_11comp_targetILNS1_3genE4ELNS1_11target_archE910ELNS1_3gpuE8ELNS1_3repE0EEENS1_30default_config_static_selectorELNS0_4arch9wavefront6targetE0EEEvSY_.kd
    .uniform_work_group_size: 1
    .uses_dynamic_stack: false
    .vgpr_count:     0
    .vgpr_spill_count: 0
    .wavefront_size: 32
    .workgroup_processor_mode: 1
  - .args:
      - .offset:         0
        .size:           144
        .value_kind:     by_value
    .group_segment_fixed_size: 0
    .kernarg_segment_align: 8
    .kernarg_segment_size: 144
    .language:       OpenCL C
    .language_version:
      - 2
      - 0
    .max_flat_workgroup_size: 256
    .name:           _ZN7rocprim17ROCPRIM_400000_NS6detail17trampoline_kernelINS0_13select_configILj256ELj13ELNS0_17block_load_methodE3ELS4_3ELS4_3ELNS0_20block_scan_algorithmE0ELj4294967295EEENS1_25partition_config_selectorILNS1_17partition_subalgoE3EjNS0_10empty_typeEbEEZZNS1_14partition_implILS8_3ELb0ES6_jNS0_17counting_iteratorIjlEEPS9_SE_NS0_5tupleIJPjSE_EEENSF_IJSE_SE_EEES9_SG_JZNS1_25segmented_radix_sort_implINS0_14default_configELb1EPKdPdPKlPlN2at6native12_GLOBAL__N_18offset_tEEE10hipError_tPvRmT1_PNSt15iterator_traitsISY_E10value_typeET2_T3_PNSZ_IS14_E10value_typeET4_jRbjT5_S1A_jjP12ihipStream_tbEUljE_EEESV_SW_SX_S14_S18_S1A_T6_T7_T9_mT8_S1C_bDpT10_ENKUlT_T0_E_clISt17integral_constantIbLb1EES1O_IbLb0EEEEDaS1K_S1L_EUlS1K_E_NS1_11comp_targetILNS1_3genE3ELNS1_11target_archE908ELNS1_3gpuE7ELNS1_3repE0EEENS1_30default_config_static_selectorELNS0_4arch9wavefront6targetE0EEEvSY_
    .private_segment_fixed_size: 0
    .sgpr_count:     0
    .sgpr_spill_count: 0
    .symbol:         _ZN7rocprim17ROCPRIM_400000_NS6detail17trampoline_kernelINS0_13select_configILj256ELj13ELNS0_17block_load_methodE3ELS4_3ELS4_3ELNS0_20block_scan_algorithmE0ELj4294967295EEENS1_25partition_config_selectorILNS1_17partition_subalgoE3EjNS0_10empty_typeEbEEZZNS1_14partition_implILS8_3ELb0ES6_jNS0_17counting_iteratorIjlEEPS9_SE_NS0_5tupleIJPjSE_EEENSF_IJSE_SE_EEES9_SG_JZNS1_25segmented_radix_sort_implINS0_14default_configELb1EPKdPdPKlPlN2at6native12_GLOBAL__N_18offset_tEEE10hipError_tPvRmT1_PNSt15iterator_traitsISY_E10value_typeET2_T3_PNSZ_IS14_E10value_typeET4_jRbjT5_S1A_jjP12ihipStream_tbEUljE_EEESV_SW_SX_S14_S18_S1A_T6_T7_T9_mT8_S1C_bDpT10_ENKUlT_T0_E_clISt17integral_constantIbLb1EES1O_IbLb0EEEEDaS1K_S1L_EUlS1K_E_NS1_11comp_targetILNS1_3genE3ELNS1_11target_archE908ELNS1_3gpuE7ELNS1_3repE0EEENS1_30default_config_static_selectorELNS0_4arch9wavefront6targetE0EEEvSY_.kd
    .uniform_work_group_size: 1
    .uses_dynamic_stack: false
    .vgpr_count:     0
    .vgpr_spill_count: 0
    .wavefront_size: 32
    .workgroup_processor_mode: 1
  - .args:
      - .offset:         0
        .size:           144
        .value_kind:     by_value
    .group_segment_fixed_size: 0
    .kernarg_segment_align: 8
    .kernarg_segment_size: 144
    .language:       OpenCL C
    .language_version:
      - 2
      - 0
    .max_flat_workgroup_size: 256
    .name:           _ZN7rocprim17ROCPRIM_400000_NS6detail17trampoline_kernelINS0_13select_configILj256ELj13ELNS0_17block_load_methodE3ELS4_3ELS4_3ELNS0_20block_scan_algorithmE0ELj4294967295EEENS1_25partition_config_selectorILNS1_17partition_subalgoE3EjNS0_10empty_typeEbEEZZNS1_14partition_implILS8_3ELb0ES6_jNS0_17counting_iteratorIjlEEPS9_SE_NS0_5tupleIJPjSE_EEENSF_IJSE_SE_EEES9_SG_JZNS1_25segmented_radix_sort_implINS0_14default_configELb1EPKdPdPKlPlN2at6native12_GLOBAL__N_18offset_tEEE10hipError_tPvRmT1_PNSt15iterator_traitsISY_E10value_typeET2_T3_PNSZ_IS14_E10value_typeET4_jRbjT5_S1A_jjP12ihipStream_tbEUljE_EEESV_SW_SX_S14_S18_S1A_T6_T7_T9_mT8_S1C_bDpT10_ENKUlT_T0_E_clISt17integral_constantIbLb1EES1O_IbLb0EEEEDaS1K_S1L_EUlS1K_E_NS1_11comp_targetILNS1_3genE2ELNS1_11target_archE906ELNS1_3gpuE6ELNS1_3repE0EEENS1_30default_config_static_selectorELNS0_4arch9wavefront6targetE0EEEvSY_
    .private_segment_fixed_size: 0
    .sgpr_count:     0
    .sgpr_spill_count: 0
    .symbol:         _ZN7rocprim17ROCPRIM_400000_NS6detail17trampoline_kernelINS0_13select_configILj256ELj13ELNS0_17block_load_methodE3ELS4_3ELS4_3ELNS0_20block_scan_algorithmE0ELj4294967295EEENS1_25partition_config_selectorILNS1_17partition_subalgoE3EjNS0_10empty_typeEbEEZZNS1_14partition_implILS8_3ELb0ES6_jNS0_17counting_iteratorIjlEEPS9_SE_NS0_5tupleIJPjSE_EEENSF_IJSE_SE_EEES9_SG_JZNS1_25segmented_radix_sort_implINS0_14default_configELb1EPKdPdPKlPlN2at6native12_GLOBAL__N_18offset_tEEE10hipError_tPvRmT1_PNSt15iterator_traitsISY_E10value_typeET2_T3_PNSZ_IS14_E10value_typeET4_jRbjT5_S1A_jjP12ihipStream_tbEUljE_EEESV_SW_SX_S14_S18_S1A_T6_T7_T9_mT8_S1C_bDpT10_ENKUlT_T0_E_clISt17integral_constantIbLb1EES1O_IbLb0EEEEDaS1K_S1L_EUlS1K_E_NS1_11comp_targetILNS1_3genE2ELNS1_11target_archE906ELNS1_3gpuE6ELNS1_3repE0EEENS1_30default_config_static_selectorELNS0_4arch9wavefront6targetE0EEEvSY_.kd
    .uniform_work_group_size: 1
    .uses_dynamic_stack: false
    .vgpr_count:     0
    .vgpr_spill_count: 0
    .wavefront_size: 32
    .workgroup_processor_mode: 1
  - .args:
      - .offset:         0
        .size:           144
        .value_kind:     by_value
    .group_segment_fixed_size: 0
    .kernarg_segment_align: 8
    .kernarg_segment_size: 144
    .language:       OpenCL C
    .language_version:
      - 2
      - 0
    .max_flat_workgroup_size: 256
    .name:           _ZN7rocprim17ROCPRIM_400000_NS6detail17trampoline_kernelINS0_13select_configILj256ELj13ELNS0_17block_load_methodE3ELS4_3ELS4_3ELNS0_20block_scan_algorithmE0ELj4294967295EEENS1_25partition_config_selectorILNS1_17partition_subalgoE3EjNS0_10empty_typeEbEEZZNS1_14partition_implILS8_3ELb0ES6_jNS0_17counting_iteratorIjlEEPS9_SE_NS0_5tupleIJPjSE_EEENSF_IJSE_SE_EEES9_SG_JZNS1_25segmented_radix_sort_implINS0_14default_configELb1EPKdPdPKlPlN2at6native12_GLOBAL__N_18offset_tEEE10hipError_tPvRmT1_PNSt15iterator_traitsISY_E10value_typeET2_T3_PNSZ_IS14_E10value_typeET4_jRbjT5_S1A_jjP12ihipStream_tbEUljE_EEESV_SW_SX_S14_S18_S1A_T6_T7_T9_mT8_S1C_bDpT10_ENKUlT_T0_E_clISt17integral_constantIbLb1EES1O_IbLb0EEEEDaS1K_S1L_EUlS1K_E_NS1_11comp_targetILNS1_3genE10ELNS1_11target_archE1200ELNS1_3gpuE4ELNS1_3repE0EEENS1_30default_config_static_selectorELNS0_4arch9wavefront6targetE0EEEvSY_
    .private_segment_fixed_size: 0
    .sgpr_count:     0
    .sgpr_spill_count: 0
    .symbol:         _ZN7rocprim17ROCPRIM_400000_NS6detail17trampoline_kernelINS0_13select_configILj256ELj13ELNS0_17block_load_methodE3ELS4_3ELS4_3ELNS0_20block_scan_algorithmE0ELj4294967295EEENS1_25partition_config_selectorILNS1_17partition_subalgoE3EjNS0_10empty_typeEbEEZZNS1_14partition_implILS8_3ELb0ES6_jNS0_17counting_iteratorIjlEEPS9_SE_NS0_5tupleIJPjSE_EEENSF_IJSE_SE_EEES9_SG_JZNS1_25segmented_radix_sort_implINS0_14default_configELb1EPKdPdPKlPlN2at6native12_GLOBAL__N_18offset_tEEE10hipError_tPvRmT1_PNSt15iterator_traitsISY_E10value_typeET2_T3_PNSZ_IS14_E10value_typeET4_jRbjT5_S1A_jjP12ihipStream_tbEUljE_EEESV_SW_SX_S14_S18_S1A_T6_T7_T9_mT8_S1C_bDpT10_ENKUlT_T0_E_clISt17integral_constantIbLb1EES1O_IbLb0EEEEDaS1K_S1L_EUlS1K_E_NS1_11comp_targetILNS1_3genE10ELNS1_11target_archE1200ELNS1_3gpuE4ELNS1_3repE0EEENS1_30default_config_static_selectorELNS0_4arch9wavefront6targetE0EEEvSY_.kd
    .uniform_work_group_size: 1
    .uses_dynamic_stack: false
    .vgpr_count:     0
    .vgpr_spill_count: 0
    .wavefront_size: 32
    .workgroup_processor_mode: 1
  - .args:
      - .offset:         0
        .size:           144
        .value_kind:     by_value
    .group_segment_fixed_size: 0
    .kernarg_segment_align: 8
    .kernarg_segment_size: 144
    .language:       OpenCL C
    .language_version:
      - 2
      - 0
    .max_flat_workgroup_size: 256
    .name:           _ZN7rocprim17ROCPRIM_400000_NS6detail17trampoline_kernelINS0_13select_configILj256ELj13ELNS0_17block_load_methodE3ELS4_3ELS4_3ELNS0_20block_scan_algorithmE0ELj4294967295EEENS1_25partition_config_selectorILNS1_17partition_subalgoE3EjNS0_10empty_typeEbEEZZNS1_14partition_implILS8_3ELb0ES6_jNS0_17counting_iteratorIjlEEPS9_SE_NS0_5tupleIJPjSE_EEENSF_IJSE_SE_EEES9_SG_JZNS1_25segmented_radix_sort_implINS0_14default_configELb1EPKdPdPKlPlN2at6native12_GLOBAL__N_18offset_tEEE10hipError_tPvRmT1_PNSt15iterator_traitsISY_E10value_typeET2_T3_PNSZ_IS14_E10value_typeET4_jRbjT5_S1A_jjP12ihipStream_tbEUljE_EEESV_SW_SX_S14_S18_S1A_T6_T7_T9_mT8_S1C_bDpT10_ENKUlT_T0_E_clISt17integral_constantIbLb1EES1O_IbLb0EEEEDaS1K_S1L_EUlS1K_E_NS1_11comp_targetILNS1_3genE9ELNS1_11target_archE1100ELNS1_3gpuE3ELNS1_3repE0EEENS1_30default_config_static_selectorELNS0_4arch9wavefront6targetE0EEEvSY_
    .private_segment_fixed_size: 0
    .sgpr_count:     0
    .sgpr_spill_count: 0
    .symbol:         _ZN7rocprim17ROCPRIM_400000_NS6detail17trampoline_kernelINS0_13select_configILj256ELj13ELNS0_17block_load_methodE3ELS4_3ELS4_3ELNS0_20block_scan_algorithmE0ELj4294967295EEENS1_25partition_config_selectorILNS1_17partition_subalgoE3EjNS0_10empty_typeEbEEZZNS1_14partition_implILS8_3ELb0ES6_jNS0_17counting_iteratorIjlEEPS9_SE_NS0_5tupleIJPjSE_EEENSF_IJSE_SE_EEES9_SG_JZNS1_25segmented_radix_sort_implINS0_14default_configELb1EPKdPdPKlPlN2at6native12_GLOBAL__N_18offset_tEEE10hipError_tPvRmT1_PNSt15iterator_traitsISY_E10value_typeET2_T3_PNSZ_IS14_E10value_typeET4_jRbjT5_S1A_jjP12ihipStream_tbEUljE_EEESV_SW_SX_S14_S18_S1A_T6_T7_T9_mT8_S1C_bDpT10_ENKUlT_T0_E_clISt17integral_constantIbLb1EES1O_IbLb0EEEEDaS1K_S1L_EUlS1K_E_NS1_11comp_targetILNS1_3genE9ELNS1_11target_archE1100ELNS1_3gpuE3ELNS1_3repE0EEENS1_30default_config_static_selectorELNS0_4arch9wavefront6targetE0EEEvSY_.kd
    .uniform_work_group_size: 1
    .uses_dynamic_stack: false
    .vgpr_count:     0
    .vgpr_spill_count: 0
    .wavefront_size: 32
    .workgroup_processor_mode: 1
  - .args:
      - .offset:         0
        .size:           144
        .value_kind:     by_value
    .group_segment_fixed_size: 0
    .kernarg_segment_align: 8
    .kernarg_segment_size: 144
    .language:       OpenCL C
    .language_version:
      - 2
      - 0
    .max_flat_workgroup_size: 256
    .name:           _ZN7rocprim17ROCPRIM_400000_NS6detail17trampoline_kernelINS0_13select_configILj256ELj13ELNS0_17block_load_methodE3ELS4_3ELS4_3ELNS0_20block_scan_algorithmE0ELj4294967295EEENS1_25partition_config_selectorILNS1_17partition_subalgoE3EjNS0_10empty_typeEbEEZZNS1_14partition_implILS8_3ELb0ES6_jNS0_17counting_iteratorIjlEEPS9_SE_NS0_5tupleIJPjSE_EEENSF_IJSE_SE_EEES9_SG_JZNS1_25segmented_radix_sort_implINS0_14default_configELb1EPKdPdPKlPlN2at6native12_GLOBAL__N_18offset_tEEE10hipError_tPvRmT1_PNSt15iterator_traitsISY_E10value_typeET2_T3_PNSZ_IS14_E10value_typeET4_jRbjT5_S1A_jjP12ihipStream_tbEUljE_EEESV_SW_SX_S14_S18_S1A_T6_T7_T9_mT8_S1C_bDpT10_ENKUlT_T0_E_clISt17integral_constantIbLb1EES1O_IbLb0EEEEDaS1K_S1L_EUlS1K_E_NS1_11comp_targetILNS1_3genE8ELNS1_11target_archE1030ELNS1_3gpuE2ELNS1_3repE0EEENS1_30default_config_static_selectorELNS0_4arch9wavefront6targetE0EEEvSY_
    .private_segment_fixed_size: 0
    .sgpr_count:     0
    .sgpr_spill_count: 0
    .symbol:         _ZN7rocprim17ROCPRIM_400000_NS6detail17trampoline_kernelINS0_13select_configILj256ELj13ELNS0_17block_load_methodE3ELS4_3ELS4_3ELNS0_20block_scan_algorithmE0ELj4294967295EEENS1_25partition_config_selectorILNS1_17partition_subalgoE3EjNS0_10empty_typeEbEEZZNS1_14partition_implILS8_3ELb0ES6_jNS0_17counting_iteratorIjlEEPS9_SE_NS0_5tupleIJPjSE_EEENSF_IJSE_SE_EEES9_SG_JZNS1_25segmented_radix_sort_implINS0_14default_configELb1EPKdPdPKlPlN2at6native12_GLOBAL__N_18offset_tEEE10hipError_tPvRmT1_PNSt15iterator_traitsISY_E10value_typeET2_T3_PNSZ_IS14_E10value_typeET4_jRbjT5_S1A_jjP12ihipStream_tbEUljE_EEESV_SW_SX_S14_S18_S1A_T6_T7_T9_mT8_S1C_bDpT10_ENKUlT_T0_E_clISt17integral_constantIbLb1EES1O_IbLb0EEEEDaS1K_S1L_EUlS1K_E_NS1_11comp_targetILNS1_3genE8ELNS1_11target_archE1030ELNS1_3gpuE2ELNS1_3repE0EEENS1_30default_config_static_selectorELNS0_4arch9wavefront6targetE0EEEvSY_.kd
    .uniform_work_group_size: 1
    .uses_dynamic_stack: false
    .vgpr_count:     0
    .vgpr_spill_count: 0
    .wavefront_size: 32
    .workgroup_processor_mode: 1
  - .args:
      - .offset:         0
        .size:           152
        .value_kind:     by_value
    .group_segment_fixed_size: 0
    .kernarg_segment_align: 8
    .kernarg_segment_size: 152
    .language:       OpenCL C
    .language_version:
      - 2
      - 0
    .max_flat_workgroup_size: 256
    .name:           _ZN7rocprim17ROCPRIM_400000_NS6detail17trampoline_kernelINS0_13select_configILj256ELj13ELNS0_17block_load_methodE3ELS4_3ELS4_3ELNS0_20block_scan_algorithmE0ELj4294967295EEENS1_25partition_config_selectorILNS1_17partition_subalgoE3EjNS0_10empty_typeEbEEZZNS1_14partition_implILS8_3ELb0ES6_jNS0_17counting_iteratorIjlEEPS9_SE_NS0_5tupleIJPjSE_EEENSF_IJSE_SE_EEES9_SG_JZNS1_25segmented_radix_sort_implINS0_14default_configELb1EPKdPdPKlPlN2at6native12_GLOBAL__N_18offset_tEEE10hipError_tPvRmT1_PNSt15iterator_traitsISY_E10value_typeET2_T3_PNSZ_IS14_E10value_typeET4_jRbjT5_S1A_jjP12ihipStream_tbEUljE_EEESV_SW_SX_S14_S18_S1A_T6_T7_T9_mT8_S1C_bDpT10_ENKUlT_T0_E_clISt17integral_constantIbLb0EES1O_IbLb1EEEEDaS1K_S1L_EUlS1K_E_NS1_11comp_targetILNS1_3genE0ELNS1_11target_archE4294967295ELNS1_3gpuE0ELNS1_3repE0EEENS1_30default_config_static_selectorELNS0_4arch9wavefront6targetE0EEEvSY_
    .private_segment_fixed_size: 0
    .sgpr_count:     0
    .sgpr_spill_count: 0
    .symbol:         _ZN7rocprim17ROCPRIM_400000_NS6detail17trampoline_kernelINS0_13select_configILj256ELj13ELNS0_17block_load_methodE3ELS4_3ELS4_3ELNS0_20block_scan_algorithmE0ELj4294967295EEENS1_25partition_config_selectorILNS1_17partition_subalgoE3EjNS0_10empty_typeEbEEZZNS1_14partition_implILS8_3ELb0ES6_jNS0_17counting_iteratorIjlEEPS9_SE_NS0_5tupleIJPjSE_EEENSF_IJSE_SE_EEES9_SG_JZNS1_25segmented_radix_sort_implINS0_14default_configELb1EPKdPdPKlPlN2at6native12_GLOBAL__N_18offset_tEEE10hipError_tPvRmT1_PNSt15iterator_traitsISY_E10value_typeET2_T3_PNSZ_IS14_E10value_typeET4_jRbjT5_S1A_jjP12ihipStream_tbEUljE_EEESV_SW_SX_S14_S18_S1A_T6_T7_T9_mT8_S1C_bDpT10_ENKUlT_T0_E_clISt17integral_constantIbLb0EES1O_IbLb1EEEEDaS1K_S1L_EUlS1K_E_NS1_11comp_targetILNS1_3genE0ELNS1_11target_archE4294967295ELNS1_3gpuE0ELNS1_3repE0EEENS1_30default_config_static_selectorELNS0_4arch9wavefront6targetE0EEEvSY_.kd
    .uniform_work_group_size: 1
    .uses_dynamic_stack: false
    .vgpr_count:     0
    .vgpr_spill_count: 0
    .wavefront_size: 32
    .workgroup_processor_mode: 1
  - .args:
      - .offset:         0
        .size:           152
        .value_kind:     by_value
    .group_segment_fixed_size: 0
    .kernarg_segment_align: 8
    .kernarg_segment_size: 152
    .language:       OpenCL C
    .language_version:
      - 2
      - 0
    .max_flat_workgroup_size: 256
    .name:           _ZN7rocprim17ROCPRIM_400000_NS6detail17trampoline_kernelINS0_13select_configILj256ELj13ELNS0_17block_load_methodE3ELS4_3ELS4_3ELNS0_20block_scan_algorithmE0ELj4294967295EEENS1_25partition_config_selectorILNS1_17partition_subalgoE3EjNS0_10empty_typeEbEEZZNS1_14partition_implILS8_3ELb0ES6_jNS0_17counting_iteratorIjlEEPS9_SE_NS0_5tupleIJPjSE_EEENSF_IJSE_SE_EEES9_SG_JZNS1_25segmented_radix_sort_implINS0_14default_configELb1EPKdPdPKlPlN2at6native12_GLOBAL__N_18offset_tEEE10hipError_tPvRmT1_PNSt15iterator_traitsISY_E10value_typeET2_T3_PNSZ_IS14_E10value_typeET4_jRbjT5_S1A_jjP12ihipStream_tbEUljE_EEESV_SW_SX_S14_S18_S1A_T6_T7_T9_mT8_S1C_bDpT10_ENKUlT_T0_E_clISt17integral_constantIbLb0EES1O_IbLb1EEEEDaS1K_S1L_EUlS1K_E_NS1_11comp_targetILNS1_3genE5ELNS1_11target_archE942ELNS1_3gpuE9ELNS1_3repE0EEENS1_30default_config_static_selectorELNS0_4arch9wavefront6targetE0EEEvSY_
    .private_segment_fixed_size: 0
    .sgpr_count:     0
    .sgpr_spill_count: 0
    .symbol:         _ZN7rocprim17ROCPRIM_400000_NS6detail17trampoline_kernelINS0_13select_configILj256ELj13ELNS0_17block_load_methodE3ELS4_3ELS4_3ELNS0_20block_scan_algorithmE0ELj4294967295EEENS1_25partition_config_selectorILNS1_17partition_subalgoE3EjNS0_10empty_typeEbEEZZNS1_14partition_implILS8_3ELb0ES6_jNS0_17counting_iteratorIjlEEPS9_SE_NS0_5tupleIJPjSE_EEENSF_IJSE_SE_EEES9_SG_JZNS1_25segmented_radix_sort_implINS0_14default_configELb1EPKdPdPKlPlN2at6native12_GLOBAL__N_18offset_tEEE10hipError_tPvRmT1_PNSt15iterator_traitsISY_E10value_typeET2_T3_PNSZ_IS14_E10value_typeET4_jRbjT5_S1A_jjP12ihipStream_tbEUljE_EEESV_SW_SX_S14_S18_S1A_T6_T7_T9_mT8_S1C_bDpT10_ENKUlT_T0_E_clISt17integral_constantIbLb0EES1O_IbLb1EEEEDaS1K_S1L_EUlS1K_E_NS1_11comp_targetILNS1_3genE5ELNS1_11target_archE942ELNS1_3gpuE9ELNS1_3repE0EEENS1_30default_config_static_selectorELNS0_4arch9wavefront6targetE0EEEvSY_.kd
    .uniform_work_group_size: 1
    .uses_dynamic_stack: false
    .vgpr_count:     0
    .vgpr_spill_count: 0
    .wavefront_size: 32
    .workgroup_processor_mode: 1
  - .args:
      - .offset:         0
        .size:           152
        .value_kind:     by_value
    .group_segment_fixed_size: 0
    .kernarg_segment_align: 8
    .kernarg_segment_size: 152
    .language:       OpenCL C
    .language_version:
      - 2
      - 0
    .max_flat_workgroup_size: 256
    .name:           _ZN7rocprim17ROCPRIM_400000_NS6detail17trampoline_kernelINS0_13select_configILj256ELj13ELNS0_17block_load_methodE3ELS4_3ELS4_3ELNS0_20block_scan_algorithmE0ELj4294967295EEENS1_25partition_config_selectorILNS1_17partition_subalgoE3EjNS0_10empty_typeEbEEZZNS1_14partition_implILS8_3ELb0ES6_jNS0_17counting_iteratorIjlEEPS9_SE_NS0_5tupleIJPjSE_EEENSF_IJSE_SE_EEES9_SG_JZNS1_25segmented_radix_sort_implINS0_14default_configELb1EPKdPdPKlPlN2at6native12_GLOBAL__N_18offset_tEEE10hipError_tPvRmT1_PNSt15iterator_traitsISY_E10value_typeET2_T3_PNSZ_IS14_E10value_typeET4_jRbjT5_S1A_jjP12ihipStream_tbEUljE_EEESV_SW_SX_S14_S18_S1A_T6_T7_T9_mT8_S1C_bDpT10_ENKUlT_T0_E_clISt17integral_constantIbLb0EES1O_IbLb1EEEEDaS1K_S1L_EUlS1K_E_NS1_11comp_targetILNS1_3genE4ELNS1_11target_archE910ELNS1_3gpuE8ELNS1_3repE0EEENS1_30default_config_static_selectorELNS0_4arch9wavefront6targetE0EEEvSY_
    .private_segment_fixed_size: 0
    .sgpr_count:     0
    .sgpr_spill_count: 0
    .symbol:         _ZN7rocprim17ROCPRIM_400000_NS6detail17trampoline_kernelINS0_13select_configILj256ELj13ELNS0_17block_load_methodE3ELS4_3ELS4_3ELNS0_20block_scan_algorithmE0ELj4294967295EEENS1_25partition_config_selectorILNS1_17partition_subalgoE3EjNS0_10empty_typeEbEEZZNS1_14partition_implILS8_3ELb0ES6_jNS0_17counting_iteratorIjlEEPS9_SE_NS0_5tupleIJPjSE_EEENSF_IJSE_SE_EEES9_SG_JZNS1_25segmented_radix_sort_implINS0_14default_configELb1EPKdPdPKlPlN2at6native12_GLOBAL__N_18offset_tEEE10hipError_tPvRmT1_PNSt15iterator_traitsISY_E10value_typeET2_T3_PNSZ_IS14_E10value_typeET4_jRbjT5_S1A_jjP12ihipStream_tbEUljE_EEESV_SW_SX_S14_S18_S1A_T6_T7_T9_mT8_S1C_bDpT10_ENKUlT_T0_E_clISt17integral_constantIbLb0EES1O_IbLb1EEEEDaS1K_S1L_EUlS1K_E_NS1_11comp_targetILNS1_3genE4ELNS1_11target_archE910ELNS1_3gpuE8ELNS1_3repE0EEENS1_30default_config_static_selectorELNS0_4arch9wavefront6targetE0EEEvSY_.kd
    .uniform_work_group_size: 1
    .uses_dynamic_stack: false
    .vgpr_count:     0
    .vgpr_spill_count: 0
    .wavefront_size: 32
    .workgroup_processor_mode: 1
  - .args:
      - .offset:         0
        .size:           152
        .value_kind:     by_value
    .group_segment_fixed_size: 0
    .kernarg_segment_align: 8
    .kernarg_segment_size: 152
    .language:       OpenCL C
    .language_version:
      - 2
      - 0
    .max_flat_workgroup_size: 256
    .name:           _ZN7rocprim17ROCPRIM_400000_NS6detail17trampoline_kernelINS0_13select_configILj256ELj13ELNS0_17block_load_methodE3ELS4_3ELS4_3ELNS0_20block_scan_algorithmE0ELj4294967295EEENS1_25partition_config_selectorILNS1_17partition_subalgoE3EjNS0_10empty_typeEbEEZZNS1_14partition_implILS8_3ELb0ES6_jNS0_17counting_iteratorIjlEEPS9_SE_NS0_5tupleIJPjSE_EEENSF_IJSE_SE_EEES9_SG_JZNS1_25segmented_radix_sort_implINS0_14default_configELb1EPKdPdPKlPlN2at6native12_GLOBAL__N_18offset_tEEE10hipError_tPvRmT1_PNSt15iterator_traitsISY_E10value_typeET2_T3_PNSZ_IS14_E10value_typeET4_jRbjT5_S1A_jjP12ihipStream_tbEUljE_EEESV_SW_SX_S14_S18_S1A_T6_T7_T9_mT8_S1C_bDpT10_ENKUlT_T0_E_clISt17integral_constantIbLb0EES1O_IbLb1EEEEDaS1K_S1L_EUlS1K_E_NS1_11comp_targetILNS1_3genE3ELNS1_11target_archE908ELNS1_3gpuE7ELNS1_3repE0EEENS1_30default_config_static_selectorELNS0_4arch9wavefront6targetE0EEEvSY_
    .private_segment_fixed_size: 0
    .sgpr_count:     0
    .sgpr_spill_count: 0
    .symbol:         _ZN7rocprim17ROCPRIM_400000_NS6detail17trampoline_kernelINS0_13select_configILj256ELj13ELNS0_17block_load_methodE3ELS4_3ELS4_3ELNS0_20block_scan_algorithmE0ELj4294967295EEENS1_25partition_config_selectorILNS1_17partition_subalgoE3EjNS0_10empty_typeEbEEZZNS1_14partition_implILS8_3ELb0ES6_jNS0_17counting_iteratorIjlEEPS9_SE_NS0_5tupleIJPjSE_EEENSF_IJSE_SE_EEES9_SG_JZNS1_25segmented_radix_sort_implINS0_14default_configELb1EPKdPdPKlPlN2at6native12_GLOBAL__N_18offset_tEEE10hipError_tPvRmT1_PNSt15iterator_traitsISY_E10value_typeET2_T3_PNSZ_IS14_E10value_typeET4_jRbjT5_S1A_jjP12ihipStream_tbEUljE_EEESV_SW_SX_S14_S18_S1A_T6_T7_T9_mT8_S1C_bDpT10_ENKUlT_T0_E_clISt17integral_constantIbLb0EES1O_IbLb1EEEEDaS1K_S1L_EUlS1K_E_NS1_11comp_targetILNS1_3genE3ELNS1_11target_archE908ELNS1_3gpuE7ELNS1_3repE0EEENS1_30default_config_static_selectorELNS0_4arch9wavefront6targetE0EEEvSY_.kd
    .uniform_work_group_size: 1
    .uses_dynamic_stack: false
    .vgpr_count:     0
    .vgpr_spill_count: 0
    .wavefront_size: 32
    .workgroup_processor_mode: 1
  - .args:
      - .offset:         0
        .size:           152
        .value_kind:     by_value
    .group_segment_fixed_size: 0
    .kernarg_segment_align: 8
    .kernarg_segment_size: 152
    .language:       OpenCL C
    .language_version:
      - 2
      - 0
    .max_flat_workgroup_size: 256
    .name:           _ZN7rocprim17ROCPRIM_400000_NS6detail17trampoline_kernelINS0_13select_configILj256ELj13ELNS0_17block_load_methodE3ELS4_3ELS4_3ELNS0_20block_scan_algorithmE0ELj4294967295EEENS1_25partition_config_selectorILNS1_17partition_subalgoE3EjNS0_10empty_typeEbEEZZNS1_14partition_implILS8_3ELb0ES6_jNS0_17counting_iteratorIjlEEPS9_SE_NS0_5tupleIJPjSE_EEENSF_IJSE_SE_EEES9_SG_JZNS1_25segmented_radix_sort_implINS0_14default_configELb1EPKdPdPKlPlN2at6native12_GLOBAL__N_18offset_tEEE10hipError_tPvRmT1_PNSt15iterator_traitsISY_E10value_typeET2_T3_PNSZ_IS14_E10value_typeET4_jRbjT5_S1A_jjP12ihipStream_tbEUljE_EEESV_SW_SX_S14_S18_S1A_T6_T7_T9_mT8_S1C_bDpT10_ENKUlT_T0_E_clISt17integral_constantIbLb0EES1O_IbLb1EEEEDaS1K_S1L_EUlS1K_E_NS1_11comp_targetILNS1_3genE2ELNS1_11target_archE906ELNS1_3gpuE6ELNS1_3repE0EEENS1_30default_config_static_selectorELNS0_4arch9wavefront6targetE0EEEvSY_
    .private_segment_fixed_size: 0
    .sgpr_count:     0
    .sgpr_spill_count: 0
    .symbol:         _ZN7rocprim17ROCPRIM_400000_NS6detail17trampoline_kernelINS0_13select_configILj256ELj13ELNS0_17block_load_methodE3ELS4_3ELS4_3ELNS0_20block_scan_algorithmE0ELj4294967295EEENS1_25partition_config_selectorILNS1_17partition_subalgoE3EjNS0_10empty_typeEbEEZZNS1_14partition_implILS8_3ELb0ES6_jNS0_17counting_iteratorIjlEEPS9_SE_NS0_5tupleIJPjSE_EEENSF_IJSE_SE_EEES9_SG_JZNS1_25segmented_radix_sort_implINS0_14default_configELb1EPKdPdPKlPlN2at6native12_GLOBAL__N_18offset_tEEE10hipError_tPvRmT1_PNSt15iterator_traitsISY_E10value_typeET2_T3_PNSZ_IS14_E10value_typeET4_jRbjT5_S1A_jjP12ihipStream_tbEUljE_EEESV_SW_SX_S14_S18_S1A_T6_T7_T9_mT8_S1C_bDpT10_ENKUlT_T0_E_clISt17integral_constantIbLb0EES1O_IbLb1EEEEDaS1K_S1L_EUlS1K_E_NS1_11comp_targetILNS1_3genE2ELNS1_11target_archE906ELNS1_3gpuE6ELNS1_3repE0EEENS1_30default_config_static_selectorELNS0_4arch9wavefront6targetE0EEEvSY_.kd
    .uniform_work_group_size: 1
    .uses_dynamic_stack: false
    .vgpr_count:     0
    .vgpr_spill_count: 0
    .wavefront_size: 32
    .workgroup_processor_mode: 1
  - .args:
      - .offset:         0
        .size:           152
        .value_kind:     by_value
    .group_segment_fixed_size: 13320
    .kernarg_segment_align: 8
    .kernarg_segment_size: 152
    .language:       OpenCL C
    .language_version:
      - 2
      - 0
    .max_flat_workgroup_size: 256
    .name:           _ZN7rocprim17ROCPRIM_400000_NS6detail17trampoline_kernelINS0_13select_configILj256ELj13ELNS0_17block_load_methodE3ELS4_3ELS4_3ELNS0_20block_scan_algorithmE0ELj4294967295EEENS1_25partition_config_selectorILNS1_17partition_subalgoE3EjNS0_10empty_typeEbEEZZNS1_14partition_implILS8_3ELb0ES6_jNS0_17counting_iteratorIjlEEPS9_SE_NS0_5tupleIJPjSE_EEENSF_IJSE_SE_EEES9_SG_JZNS1_25segmented_radix_sort_implINS0_14default_configELb1EPKdPdPKlPlN2at6native12_GLOBAL__N_18offset_tEEE10hipError_tPvRmT1_PNSt15iterator_traitsISY_E10value_typeET2_T3_PNSZ_IS14_E10value_typeET4_jRbjT5_S1A_jjP12ihipStream_tbEUljE_EEESV_SW_SX_S14_S18_S1A_T6_T7_T9_mT8_S1C_bDpT10_ENKUlT_T0_E_clISt17integral_constantIbLb0EES1O_IbLb1EEEEDaS1K_S1L_EUlS1K_E_NS1_11comp_targetILNS1_3genE10ELNS1_11target_archE1200ELNS1_3gpuE4ELNS1_3repE0EEENS1_30default_config_static_selectorELNS0_4arch9wavefront6targetE0EEEvSY_
    .private_segment_fixed_size: 0
    .sgpr_count:     28
    .sgpr_spill_count: 0
    .symbol:         _ZN7rocprim17ROCPRIM_400000_NS6detail17trampoline_kernelINS0_13select_configILj256ELj13ELNS0_17block_load_methodE3ELS4_3ELS4_3ELNS0_20block_scan_algorithmE0ELj4294967295EEENS1_25partition_config_selectorILNS1_17partition_subalgoE3EjNS0_10empty_typeEbEEZZNS1_14partition_implILS8_3ELb0ES6_jNS0_17counting_iteratorIjlEEPS9_SE_NS0_5tupleIJPjSE_EEENSF_IJSE_SE_EEES9_SG_JZNS1_25segmented_radix_sort_implINS0_14default_configELb1EPKdPdPKlPlN2at6native12_GLOBAL__N_18offset_tEEE10hipError_tPvRmT1_PNSt15iterator_traitsISY_E10value_typeET2_T3_PNSZ_IS14_E10value_typeET4_jRbjT5_S1A_jjP12ihipStream_tbEUljE_EEESV_SW_SX_S14_S18_S1A_T6_T7_T9_mT8_S1C_bDpT10_ENKUlT_T0_E_clISt17integral_constantIbLb0EES1O_IbLb1EEEEDaS1K_S1L_EUlS1K_E_NS1_11comp_targetILNS1_3genE10ELNS1_11target_archE1200ELNS1_3gpuE4ELNS1_3repE0EEENS1_30default_config_static_selectorELNS0_4arch9wavefront6targetE0EEEvSY_.kd
    .uniform_work_group_size: 1
    .uses_dynamic_stack: false
    .vgpr_count:     71
    .vgpr_spill_count: 0
    .wavefront_size: 32
    .workgroup_processor_mode: 1
  - .args:
      - .offset:         0
        .size:           152
        .value_kind:     by_value
    .group_segment_fixed_size: 0
    .kernarg_segment_align: 8
    .kernarg_segment_size: 152
    .language:       OpenCL C
    .language_version:
      - 2
      - 0
    .max_flat_workgroup_size: 256
    .name:           _ZN7rocprim17ROCPRIM_400000_NS6detail17trampoline_kernelINS0_13select_configILj256ELj13ELNS0_17block_load_methodE3ELS4_3ELS4_3ELNS0_20block_scan_algorithmE0ELj4294967295EEENS1_25partition_config_selectorILNS1_17partition_subalgoE3EjNS0_10empty_typeEbEEZZNS1_14partition_implILS8_3ELb0ES6_jNS0_17counting_iteratorIjlEEPS9_SE_NS0_5tupleIJPjSE_EEENSF_IJSE_SE_EEES9_SG_JZNS1_25segmented_radix_sort_implINS0_14default_configELb1EPKdPdPKlPlN2at6native12_GLOBAL__N_18offset_tEEE10hipError_tPvRmT1_PNSt15iterator_traitsISY_E10value_typeET2_T3_PNSZ_IS14_E10value_typeET4_jRbjT5_S1A_jjP12ihipStream_tbEUljE_EEESV_SW_SX_S14_S18_S1A_T6_T7_T9_mT8_S1C_bDpT10_ENKUlT_T0_E_clISt17integral_constantIbLb0EES1O_IbLb1EEEEDaS1K_S1L_EUlS1K_E_NS1_11comp_targetILNS1_3genE9ELNS1_11target_archE1100ELNS1_3gpuE3ELNS1_3repE0EEENS1_30default_config_static_selectorELNS0_4arch9wavefront6targetE0EEEvSY_
    .private_segment_fixed_size: 0
    .sgpr_count:     0
    .sgpr_spill_count: 0
    .symbol:         _ZN7rocprim17ROCPRIM_400000_NS6detail17trampoline_kernelINS0_13select_configILj256ELj13ELNS0_17block_load_methodE3ELS4_3ELS4_3ELNS0_20block_scan_algorithmE0ELj4294967295EEENS1_25partition_config_selectorILNS1_17partition_subalgoE3EjNS0_10empty_typeEbEEZZNS1_14partition_implILS8_3ELb0ES6_jNS0_17counting_iteratorIjlEEPS9_SE_NS0_5tupleIJPjSE_EEENSF_IJSE_SE_EEES9_SG_JZNS1_25segmented_radix_sort_implINS0_14default_configELb1EPKdPdPKlPlN2at6native12_GLOBAL__N_18offset_tEEE10hipError_tPvRmT1_PNSt15iterator_traitsISY_E10value_typeET2_T3_PNSZ_IS14_E10value_typeET4_jRbjT5_S1A_jjP12ihipStream_tbEUljE_EEESV_SW_SX_S14_S18_S1A_T6_T7_T9_mT8_S1C_bDpT10_ENKUlT_T0_E_clISt17integral_constantIbLb0EES1O_IbLb1EEEEDaS1K_S1L_EUlS1K_E_NS1_11comp_targetILNS1_3genE9ELNS1_11target_archE1100ELNS1_3gpuE3ELNS1_3repE0EEENS1_30default_config_static_selectorELNS0_4arch9wavefront6targetE0EEEvSY_.kd
    .uniform_work_group_size: 1
    .uses_dynamic_stack: false
    .vgpr_count:     0
    .vgpr_spill_count: 0
    .wavefront_size: 32
    .workgroup_processor_mode: 1
  - .args:
      - .offset:         0
        .size:           152
        .value_kind:     by_value
    .group_segment_fixed_size: 0
    .kernarg_segment_align: 8
    .kernarg_segment_size: 152
    .language:       OpenCL C
    .language_version:
      - 2
      - 0
    .max_flat_workgroup_size: 256
    .name:           _ZN7rocprim17ROCPRIM_400000_NS6detail17trampoline_kernelINS0_13select_configILj256ELj13ELNS0_17block_load_methodE3ELS4_3ELS4_3ELNS0_20block_scan_algorithmE0ELj4294967295EEENS1_25partition_config_selectorILNS1_17partition_subalgoE3EjNS0_10empty_typeEbEEZZNS1_14partition_implILS8_3ELb0ES6_jNS0_17counting_iteratorIjlEEPS9_SE_NS0_5tupleIJPjSE_EEENSF_IJSE_SE_EEES9_SG_JZNS1_25segmented_radix_sort_implINS0_14default_configELb1EPKdPdPKlPlN2at6native12_GLOBAL__N_18offset_tEEE10hipError_tPvRmT1_PNSt15iterator_traitsISY_E10value_typeET2_T3_PNSZ_IS14_E10value_typeET4_jRbjT5_S1A_jjP12ihipStream_tbEUljE_EEESV_SW_SX_S14_S18_S1A_T6_T7_T9_mT8_S1C_bDpT10_ENKUlT_T0_E_clISt17integral_constantIbLb0EES1O_IbLb1EEEEDaS1K_S1L_EUlS1K_E_NS1_11comp_targetILNS1_3genE8ELNS1_11target_archE1030ELNS1_3gpuE2ELNS1_3repE0EEENS1_30default_config_static_selectorELNS0_4arch9wavefront6targetE0EEEvSY_
    .private_segment_fixed_size: 0
    .sgpr_count:     0
    .sgpr_spill_count: 0
    .symbol:         _ZN7rocprim17ROCPRIM_400000_NS6detail17trampoline_kernelINS0_13select_configILj256ELj13ELNS0_17block_load_methodE3ELS4_3ELS4_3ELNS0_20block_scan_algorithmE0ELj4294967295EEENS1_25partition_config_selectorILNS1_17partition_subalgoE3EjNS0_10empty_typeEbEEZZNS1_14partition_implILS8_3ELb0ES6_jNS0_17counting_iteratorIjlEEPS9_SE_NS0_5tupleIJPjSE_EEENSF_IJSE_SE_EEES9_SG_JZNS1_25segmented_radix_sort_implINS0_14default_configELb1EPKdPdPKlPlN2at6native12_GLOBAL__N_18offset_tEEE10hipError_tPvRmT1_PNSt15iterator_traitsISY_E10value_typeET2_T3_PNSZ_IS14_E10value_typeET4_jRbjT5_S1A_jjP12ihipStream_tbEUljE_EEESV_SW_SX_S14_S18_S1A_T6_T7_T9_mT8_S1C_bDpT10_ENKUlT_T0_E_clISt17integral_constantIbLb0EES1O_IbLb1EEEEDaS1K_S1L_EUlS1K_E_NS1_11comp_targetILNS1_3genE8ELNS1_11target_archE1030ELNS1_3gpuE2ELNS1_3repE0EEENS1_30default_config_static_selectorELNS0_4arch9wavefront6targetE0EEEvSY_.kd
    .uniform_work_group_size: 1
    .uses_dynamic_stack: false
    .vgpr_count:     0
    .vgpr_spill_count: 0
    .wavefront_size: 32
    .workgroup_processor_mode: 1
  - .args:
      - .offset:         0
        .size:           96
        .value_kind:     by_value
    .group_segment_fixed_size: 0
    .kernarg_segment_align: 8
    .kernarg_segment_size: 96
    .language:       OpenCL C
    .language_version:
      - 2
      - 0
    .max_flat_workgroup_size: 256
    .name:           _ZN7rocprim17ROCPRIM_400000_NS6detail17trampoline_kernelINS0_14default_configENS1_36segmented_radix_sort_config_selectorIdlEEZNS1_25segmented_radix_sort_implIS3_Lb1EPKdPdPKlPlN2at6native12_GLOBAL__N_18offset_tEEE10hipError_tPvRmT1_PNSt15iterator_traitsISK_E10value_typeET2_T3_PNSL_ISQ_E10value_typeET4_jRbjT5_SW_jjP12ihipStream_tbEUlT_E_NS1_11comp_targetILNS1_3genE0ELNS1_11target_archE4294967295ELNS1_3gpuE0ELNS1_3repE0EEENS1_30default_config_static_selectorELNS0_4arch9wavefront6targetE0EEEvSK_
    .private_segment_fixed_size: 0
    .sgpr_count:     0
    .sgpr_spill_count: 0
    .symbol:         _ZN7rocprim17ROCPRIM_400000_NS6detail17trampoline_kernelINS0_14default_configENS1_36segmented_radix_sort_config_selectorIdlEEZNS1_25segmented_radix_sort_implIS3_Lb1EPKdPdPKlPlN2at6native12_GLOBAL__N_18offset_tEEE10hipError_tPvRmT1_PNSt15iterator_traitsISK_E10value_typeET2_T3_PNSL_ISQ_E10value_typeET4_jRbjT5_SW_jjP12ihipStream_tbEUlT_E_NS1_11comp_targetILNS1_3genE0ELNS1_11target_archE4294967295ELNS1_3gpuE0ELNS1_3repE0EEENS1_30default_config_static_selectorELNS0_4arch9wavefront6targetE0EEEvSK_.kd
    .uniform_work_group_size: 1
    .uses_dynamic_stack: false
    .vgpr_count:     0
    .vgpr_spill_count: 0
    .wavefront_size: 32
    .workgroup_processor_mode: 1
  - .args:
      - .offset:         0
        .size:           96
        .value_kind:     by_value
    .group_segment_fixed_size: 0
    .kernarg_segment_align: 8
    .kernarg_segment_size: 96
    .language:       OpenCL C
    .language_version:
      - 2
      - 0
    .max_flat_workgroup_size: 256
    .name:           _ZN7rocprim17ROCPRIM_400000_NS6detail17trampoline_kernelINS0_14default_configENS1_36segmented_radix_sort_config_selectorIdlEEZNS1_25segmented_radix_sort_implIS3_Lb1EPKdPdPKlPlN2at6native12_GLOBAL__N_18offset_tEEE10hipError_tPvRmT1_PNSt15iterator_traitsISK_E10value_typeET2_T3_PNSL_ISQ_E10value_typeET4_jRbjT5_SW_jjP12ihipStream_tbEUlT_E_NS1_11comp_targetILNS1_3genE5ELNS1_11target_archE942ELNS1_3gpuE9ELNS1_3repE0EEENS1_30default_config_static_selectorELNS0_4arch9wavefront6targetE0EEEvSK_
    .private_segment_fixed_size: 0
    .sgpr_count:     0
    .sgpr_spill_count: 0
    .symbol:         _ZN7rocprim17ROCPRIM_400000_NS6detail17trampoline_kernelINS0_14default_configENS1_36segmented_radix_sort_config_selectorIdlEEZNS1_25segmented_radix_sort_implIS3_Lb1EPKdPdPKlPlN2at6native12_GLOBAL__N_18offset_tEEE10hipError_tPvRmT1_PNSt15iterator_traitsISK_E10value_typeET2_T3_PNSL_ISQ_E10value_typeET4_jRbjT5_SW_jjP12ihipStream_tbEUlT_E_NS1_11comp_targetILNS1_3genE5ELNS1_11target_archE942ELNS1_3gpuE9ELNS1_3repE0EEENS1_30default_config_static_selectorELNS0_4arch9wavefront6targetE0EEEvSK_.kd
    .uniform_work_group_size: 1
    .uses_dynamic_stack: false
    .vgpr_count:     0
    .vgpr_spill_count: 0
    .wavefront_size: 32
    .workgroup_processor_mode: 1
  - .args:
      - .offset:         0
        .size:           96
        .value_kind:     by_value
    .group_segment_fixed_size: 0
    .kernarg_segment_align: 8
    .kernarg_segment_size: 96
    .language:       OpenCL C
    .language_version:
      - 2
      - 0
    .max_flat_workgroup_size: 256
    .name:           _ZN7rocprim17ROCPRIM_400000_NS6detail17trampoline_kernelINS0_14default_configENS1_36segmented_radix_sort_config_selectorIdlEEZNS1_25segmented_radix_sort_implIS3_Lb1EPKdPdPKlPlN2at6native12_GLOBAL__N_18offset_tEEE10hipError_tPvRmT1_PNSt15iterator_traitsISK_E10value_typeET2_T3_PNSL_ISQ_E10value_typeET4_jRbjT5_SW_jjP12ihipStream_tbEUlT_E_NS1_11comp_targetILNS1_3genE4ELNS1_11target_archE910ELNS1_3gpuE8ELNS1_3repE0EEENS1_30default_config_static_selectorELNS0_4arch9wavefront6targetE0EEEvSK_
    .private_segment_fixed_size: 0
    .sgpr_count:     0
    .sgpr_spill_count: 0
    .symbol:         _ZN7rocprim17ROCPRIM_400000_NS6detail17trampoline_kernelINS0_14default_configENS1_36segmented_radix_sort_config_selectorIdlEEZNS1_25segmented_radix_sort_implIS3_Lb1EPKdPdPKlPlN2at6native12_GLOBAL__N_18offset_tEEE10hipError_tPvRmT1_PNSt15iterator_traitsISK_E10value_typeET2_T3_PNSL_ISQ_E10value_typeET4_jRbjT5_SW_jjP12ihipStream_tbEUlT_E_NS1_11comp_targetILNS1_3genE4ELNS1_11target_archE910ELNS1_3gpuE8ELNS1_3repE0EEENS1_30default_config_static_selectorELNS0_4arch9wavefront6targetE0EEEvSK_.kd
    .uniform_work_group_size: 1
    .uses_dynamic_stack: false
    .vgpr_count:     0
    .vgpr_spill_count: 0
    .wavefront_size: 32
    .workgroup_processor_mode: 1
  - .args:
      - .offset:         0
        .size:           96
        .value_kind:     by_value
    .group_segment_fixed_size: 0
    .kernarg_segment_align: 8
    .kernarg_segment_size: 96
    .language:       OpenCL C
    .language_version:
      - 2
      - 0
    .max_flat_workgroup_size: 256
    .name:           _ZN7rocprim17ROCPRIM_400000_NS6detail17trampoline_kernelINS0_14default_configENS1_36segmented_radix_sort_config_selectorIdlEEZNS1_25segmented_radix_sort_implIS3_Lb1EPKdPdPKlPlN2at6native12_GLOBAL__N_18offset_tEEE10hipError_tPvRmT1_PNSt15iterator_traitsISK_E10value_typeET2_T3_PNSL_ISQ_E10value_typeET4_jRbjT5_SW_jjP12ihipStream_tbEUlT_E_NS1_11comp_targetILNS1_3genE3ELNS1_11target_archE908ELNS1_3gpuE7ELNS1_3repE0EEENS1_30default_config_static_selectorELNS0_4arch9wavefront6targetE0EEEvSK_
    .private_segment_fixed_size: 0
    .sgpr_count:     0
    .sgpr_spill_count: 0
    .symbol:         _ZN7rocprim17ROCPRIM_400000_NS6detail17trampoline_kernelINS0_14default_configENS1_36segmented_radix_sort_config_selectorIdlEEZNS1_25segmented_radix_sort_implIS3_Lb1EPKdPdPKlPlN2at6native12_GLOBAL__N_18offset_tEEE10hipError_tPvRmT1_PNSt15iterator_traitsISK_E10value_typeET2_T3_PNSL_ISQ_E10value_typeET4_jRbjT5_SW_jjP12ihipStream_tbEUlT_E_NS1_11comp_targetILNS1_3genE3ELNS1_11target_archE908ELNS1_3gpuE7ELNS1_3repE0EEENS1_30default_config_static_selectorELNS0_4arch9wavefront6targetE0EEEvSK_.kd
    .uniform_work_group_size: 1
    .uses_dynamic_stack: false
    .vgpr_count:     0
    .vgpr_spill_count: 0
    .wavefront_size: 32
    .workgroup_processor_mode: 1
  - .args:
      - .offset:         0
        .size:           96
        .value_kind:     by_value
    .group_segment_fixed_size: 0
    .kernarg_segment_align: 8
    .kernarg_segment_size: 96
    .language:       OpenCL C
    .language_version:
      - 2
      - 0
    .max_flat_workgroup_size: 256
    .name:           _ZN7rocprim17ROCPRIM_400000_NS6detail17trampoline_kernelINS0_14default_configENS1_36segmented_radix_sort_config_selectorIdlEEZNS1_25segmented_radix_sort_implIS3_Lb1EPKdPdPKlPlN2at6native12_GLOBAL__N_18offset_tEEE10hipError_tPvRmT1_PNSt15iterator_traitsISK_E10value_typeET2_T3_PNSL_ISQ_E10value_typeET4_jRbjT5_SW_jjP12ihipStream_tbEUlT_E_NS1_11comp_targetILNS1_3genE2ELNS1_11target_archE906ELNS1_3gpuE6ELNS1_3repE0EEENS1_30default_config_static_selectorELNS0_4arch9wavefront6targetE0EEEvSK_
    .private_segment_fixed_size: 0
    .sgpr_count:     0
    .sgpr_spill_count: 0
    .symbol:         _ZN7rocprim17ROCPRIM_400000_NS6detail17trampoline_kernelINS0_14default_configENS1_36segmented_radix_sort_config_selectorIdlEEZNS1_25segmented_radix_sort_implIS3_Lb1EPKdPdPKlPlN2at6native12_GLOBAL__N_18offset_tEEE10hipError_tPvRmT1_PNSt15iterator_traitsISK_E10value_typeET2_T3_PNSL_ISQ_E10value_typeET4_jRbjT5_SW_jjP12ihipStream_tbEUlT_E_NS1_11comp_targetILNS1_3genE2ELNS1_11target_archE906ELNS1_3gpuE6ELNS1_3repE0EEENS1_30default_config_static_selectorELNS0_4arch9wavefront6targetE0EEEvSK_.kd
    .uniform_work_group_size: 1
    .uses_dynamic_stack: false
    .vgpr_count:     0
    .vgpr_spill_count: 0
    .wavefront_size: 32
    .workgroup_processor_mode: 1
  - .args:
      - .offset:         0
        .size:           96
        .value_kind:     by_value
      - .offset:         96
        .size:           4
        .value_kind:     hidden_block_count_x
      - .offset:         100
        .size:           4
        .value_kind:     hidden_block_count_y
      - .offset:         104
        .size:           4
        .value_kind:     hidden_block_count_z
      - .offset:         108
        .size:           2
        .value_kind:     hidden_group_size_x
      - .offset:         110
        .size:           2
        .value_kind:     hidden_group_size_y
      - .offset:         112
        .size:           2
        .value_kind:     hidden_group_size_z
      - .offset:         114
        .size:           2
        .value_kind:     hidden_remainder_x
      - .offset:         116
        .size:           2
        .value_kind:     hidden_remainder_y
      - .offset:         118
        .size:           2
        .value_kind:     hidden_remainder_z
      - .offset:         136
        .size:           8
        .value_kind:     hidden_global_offset_x
      - .offset:         144
        .size:           8
        .value_kind:     hidden_global_offset_y
      - .offset:         152
        .size:           8
        .value_kind:     hidden_global_offset_z
      - .offset:         160
        .size:           2
        .value_kind:     hidden_grid_dims
    .group_segment_fixed_size: 33824
    .kernarg_segment_align: 8
    .kernarg_segment_size: 352
    .language:       OpenCL C
    .language_version:
      - 2
      - 0
    .max_flat_workgroup_size: 256
    .name:           _ZN7rocprim17ROCPRIM_400000_NS6detail17trampoline_kernelINS0_14default_configENS1_36segmented_radix_sort_config_selectorIdlEEZNS1_25segmented_radix_sort_implIS3_Lb1EPKdPdPKlPlN2at6native12_GLOBAL__N_18offset_tEEE10hipError_tPvRmT1_PNSt15iterator_traitsISK_E10value_typeET2_T3_PNSL_ISQ_E10value_typeET4_jRbjT5_SW_jjP12ihipStream_tbEUlT_E_NS1_11comp_targetILNS1_3genE10ELNS1_11target_archE1201ELNS1_3gpuE5ELNS1_3repE0EEENS1_30default_config_static_selectorELNS0_4arch9wavefront6targetE0EEEvSK_
    .private_segment_fixed_size: 176
    .sgpr_count:     62
    .sgpr_spill_count: 0
    .symbol:         _ZN7rocprim17ROCPRIM_400000_NS6detail17trampoline_kernelINS0_14default_configENS1_36segmented_radix_sort_config_selectorIdlEEZNS1_25segmented_radix_sort_implIS3_Lb1EPKdPdPKlPlN2at6native12_GLOBAL__N_18offset_tEEE10hipError_tPvRmT1_PNSt15iterator_traitsISK_E10value_typeET2_T3_PNSL_ISQ_E10value_typeET4_jRbjT5_SW_jjP12ihipStream_tbEUlT_E_NS1_11comp_targetILNS1_3genE10ELNS1_11target_archE1201ELNS1_3gpuE5ELNS1_3repE0EEENS1_30default_config_static_selectorELNS0_4arch9wavefront6targetE0EEEvSK_.kd
    .uniform_work_group_size: 1
    .uses_dynamic_stack: false
    .vgpr_count:     248
    .vgpr_spill_count: 0
    .wavefront_size: 32
    .workgroup_processor_mode: 1
  - .args:
      - .offset:         0
        .size:           96
        .value_kind:     by_value
    .group_segment_fixed_size: 0
    .kernarg_segment_align: 8
    .kernarg_segment_size: 96
    .language:       OpenCL C
    .language_version:
      - 2
      - 0
    .max_flat_workgroup_size: 128
    .name:           _ZN7rocprim17ROCPRIM_400000_NS6detail17trampoline_kernelINS0_14default_configENS1_36segmented_radix_sort_config_selectorIdlEEZNS1_25segmented_radix_sort_implIS3_Lb1EPKdPdPKlPlN2at6native12_GLOBAL__N_18offset_tEEE10hipError_tPvRmT1_PNSt15iterator_traitsISK_E10value_typeET2_T3_PNSL_ISQ_E10value_typeET4_jRbjT5_SW_jjP12ihipStream_tbEUlT_E_NS1_11comp_targetILNS1_3genE10ELNS1_11target_archE1200ELNS1_3gpuE4ELNS1_3repE0EEENS1_30default_config_static_selectorELNS0_4arch9wavefront6targetE0EEEvSK_
    .private_segment_fixed_size: 0
    .sgpr_count:     0
    .sgpr_spill_count: 0
    .symbol:         _ZN7rocprim17ROCPRIM_400000_NS6detail17trampoline_kernelINS0_14default_configENS1_36segmented_radix_sort_config_selectorIdlEEZNS1_25segmented_radix_sort_implIS3_Lb1EPKdPdPKlPlN2at6native12_GLOBAL__N_18offset_tEEE10hipError_tPvRmT1_PNSt15iterator_traitsISK_E10value_typeET2_T3_PNSL_ISQ_E10value_typeET4_jRbjT5_SW_jjP12ihipStream_tbEUlT_E_NS1_11comp_targetILNS1_3genE10ELNS1_11target_archE1200ELNS1_3gpuE4ELNS1_3repE0EEENS1_30default_config_static_selectorELNS0_4arch9wavefront6targetE0EEEvSK_.kd
    .uniform_work_group_size: 1
    .uses_dynamic_stack: false
    .vgpr_count:     0
    .vgpr_spill_count: 0
    .wavefront_size: 32
    .workgroup_processor_mode: 1
  - .args:
      - .offset:         0
        .size:           96
        .value_kind:     by_value
    .group_segment_fixed_size: 0
    .kernarg_segment_align: 8
    .kernarg_segment_size: 96
    .language:       OpenCL C
    .language_version:
      - 2
      - 0
    .max_flat_workgroup_size: 256
    .name:           _ZN7rocprim17ROCPRIM_400000_NS6detail17trampoline_kernelINS0_14default_configENS1_36segmented_radix_sort_config_selectorIdlEEZNS1_25segmented_radix_sort_implIS3_Lb1EPKdPdPKlPlN2at6native12_GLOBAL__N_18offset_tEEE10hipError_tPvRmT1_PNSt15iterator_traitsISK_E10value_typeET2_T3_PNSL_ISQ_E10value_typeET4_jRbjT5_SW_jjP12ihipStream_tbEUlT_E_NS1_11comp_targetILNS1_3genE9ELNS1_11target_archE1100ELNS1_3gpuE3ELNS1_3repE0EEENS1_30default_config_static_selectorELNS0_4arch9wavefront6targetE0EEEvSK_
    .private_segment_fixed_size: 0
    .sgpr_count:     0
    .sgpr_spill_count: 0
    .symbol:         _ZN7rocprim17ROCPRIM_400000_NS6detail17trampoline_kernelINS0_14default_configENS1_36segmented_radix_sort_config_selectorIdlEEZNS1_25segmented_radix_sort_implIS3_Lb1EPKdPdPKlPlN2at6native12_GLOBAL__N_18offset_tEEE10hipError_tPvRmT1_PNSt15iterator_traitsISK_E10value_typeET2_T3_PNSL_ISQ_E10value_typeET4_jRbjT5_SW_jjP12ihipStream_tbEUlT_E_NS1_11comp_targetILNS1_3genE9ELNS1_11target_archE1100ELNS1_3gpuE3ELNS1_3repE0EEENS1_30default_config_static_selectorELNS0_4arch9wavefront6targetE0EEEvSK_.kd
    .uniform_work_group_size: 1
    .uses_dynamic_stack: false
    .vgpr_count:     0
    .vgpr_spill_count: 0
    .wavefront_size: 32
    .workgroup_processor_mode: 1
  - .args:
      - .offset:         0
        .size:           96
        .value_kind:     by_value
    .group_segment_fixed_size: 0
    .kernarg_segment_align: 8
    .kernarg_segment_size: 96
    .language:       OpenCL C
    .language_version:
      - 2
      - 0
    .max_flat_workgroup_size: 256
    .name:           _ZN7rocprim17ROCPRIM_400000_NS6detail17trampoline_kernelINS0_14default_configENS1_36segmented_radix_sort_config_selectorIdlEEZNS1_25segmented_radix_sort_implIS3_Lb1EPKdPdPKlPlN2at6native12_GLOBAL__N_18offset_tEEE10hipError_tPvRmT1_PNSt15iterator_traitsISK_E10value_typeET2_T3_PNSL_ISQ_E10value_typeET4_jRbjT5_SW_jjP12ihipStream_tbEUlT_E_NS1_11comp_targetILNS1_3genE8ELNS1_11target_archE1030ELNS1_3gpuE2ELNS1_3repE0EEENS1_30default_config_static_selectorELNS0_4arch9wavefront6targetE0EEEvSK_
    .private_segment_fixed_size: 0
    .sgpr_count:     0
    .sgpr_spill_count: 0
    .symbol:         _ZN7rocprim17ROCPRIM_400000_NS6detail17trampoline_kernelINS0_14default_configENS1_36segmented_radix_sort_config_selectorIdlEEZNS1_25segmented_radix_sort_implIS3_Lb1EPKdPdPKlPlN2at6native12_GLOBAL__N_18offset_tEEE10hipError_tPvRmT1_PNSt15iterator_traitsISK_E10value_typeET2_T3_PNSL_ISQ_E10value_typeET4_jRbjT5_SW_jjP12ihipStream_tbEUlT_E_NS1_11comp_targetILNS1_3genE8ELNS1_11target_archE1030ELNS1_3gpuE2ELNS1_3repE0EEENS1_30default_config_static_selectorELNS0_4arch9wavefront6targetE0EEEvSK_.kd
    .uniform_work_group_size: 1
    .uses_dynamic_stack: false
    .vgpr_count:     0
    .vgpr_spill_count: 0
    .wavefront_size: 32
    .workgroup_processor_mode: 1
  - .args:
      - .offset:         0
        .size:           88
        .value_kind:     by_value
    .group_segment_fixed_size: 0
    .kernarg_segment_align: 8
    .kernarg_segment_size: 88
    .language:       OpenCL C
    .language_version:
      - 2
      - 0
    .max_flat_workgroup_size: 256
    .name:           _ZN7rocprim17ROCPRIM_400000_NS6detail17trampoline_kernelINS0_14default_configENS1_36segmented_radix_sort_config_selectorIdlEEZNS1_25segmented_radix_sort_implIS3_Lb1EPKdPdPKlPlN2at6native12_GLOBAL__N_18offset_tEEE10hipError_tPvRmT1_PNSt15iterator_traitsISK_E10value_typeET2_T3_PNSL_ISQ_E10value_typeET4_jRbjT5_SW_jjP12ihipStream_tbEUlT_E0_NS1_11comp_targetILNS1_3genE0ELNS1_11target_archE4294967295ELNS1_3gpuE0ELNS1_3repE0EEENS1_60segmented_radix_sort_warp_sort_medium_config_static_selectorELNS0_4arch9wavefront6targetE0EEEvSK_
    .private_segment_fixed_size: 0
    .sgpr_count:     0
    .sgpr_spill_count: 0
    .symbol:         _ZN7rocprim17ROCPRIM_400000_NS6detail17trampoline_kernelINS0_14default_configENS1_36segmented_radix_sort_config_selectorIdlEEZNS1_25segmented_radix_sort_implIS3_Lb1EPKdPdPKlPlN2at6native12_GLOBAL__N_18offset_tEEE10hipError_tPvRmT1_PNSt15iterator_traitsISK_E10value_typeET2_T3_PNSL_ISQ_E10value_typeET4_jRbjT5_SW_jjP12ihipStream_tbEUlT_E0_NS1_11comp_targetILNS1_3genE0ELNS1_11target_archE4294967295ELNS1_3gpuE0ELNS1_3repE0EEENS1_60segmented_radix_sort_warp_sort_medium_config_static_selectorELNS0_4arch9wavefront6targetE0EEEvSK_.kd
    .uniform_work_group_size: 1
    .uses_dynamic_stack: false
    .vgpr_count:     0
    .vgpr_spill_count: 0
    .wavefront_size: 32
    .workgroup_processor_mode: 1
  - .args:
      - .offset:         0
        .size:           88
        .value_kind:     by_value
    .group_segment_fixed_size: 0
    .kernarg_segment_align: 8
    .kernarg_segment_size: 88
    .language:       OpenCL C
    .language_version:
      - 2
      - 0
    .max_flat_workgroup_size: 256
    .name:           _ZN7rocprim17ROCPRIM_400000_NS6detail17trampoline_kernelINS0_14default_configENS1_36segmented_radix_sort_config_selectorIdlEEZNS1_25segmented_radix_sort_implIS3_Lb1EPKdPdPKlPlN2at6native12_GLOBAL__N_18offset_tEEE10hipError_tPvRmT1_PNSt15iterator_traitsISK_E10value_typeET2_T3_PNSL_ISQ_E10value_typeET4_jRbjT5_SW_jjP12ihipStream_tbEUlT_E0_NS1_11comp_targetILNS1_3genE5ELNS1_11target_archE942ELNS1_3gpuE9ELNS1_3repE0EEENS1_60segmented_radix_sort_warp_sort_medium_config_static_selectorELNS0_4arch9wavefront6targetE0EEEvSK_
    .private_segment_fixed_size: 0
    .sgpr_count:     0
    .sgpr_spill_count: 0
    .symbol:         _ZN7rocprim17ROCPRIM_400000_NS6detail17trampoline_kernelINS0_14default_configENS1_36segmented_radix_sort_config_selectorIdlEEZNS1_25segmented_radix_sort_implIS3_Lb1EPKdPdPKlPlN2at6native12_GLOBAL__N_18offset_tEEE10hipError_tPvRmT1_PNSt15iterator_traitsISK_E10value_typeET2_T3_PNSL_ISQ_E10value_typeET4_jRbjT5_SW_jjP12ihipStream_tbEUlT_E0_NS1_11comp_targetILNS1_3genE5ELNS1_11target_archE942ELNS1_3gpuE9ELNS1_3repE0EEENS1_60segmented_radix_sort_warp_sort_medium_config_static_selectorELNS0_4arch9wavefront6targetE0EEEvSK_.kd
    .uniform_work_group_size: 1
    .uses_dynamic_stack: false
    .vgpr_count:     0
    .vgpr_spill_count: 0
    .wavefront_size: 32
    .workgroup_processor_mode: 1
  - .args:
      - .offset:         0
        .size:           88
        .value_kind:     by_value
    .group_segment_fixed_size: 0
    .kernarg_segment_align: 8
    .kernarg_segment_size: 88
    .language:       OpenCL C
    .language_version:
      - 2
      - 0
    .max_flat_workgroup_size: 256
    .name:           _ZN7rocprim17ROCPRIM_400000_NS6detail17trampoline_kernelINS0_14default_configENS1_36segmented_radix_sort_config_selectorIdlEEZNS1_25segmented_radix_sort_implIS3_Lb1EPKdPdPKlPlN2at6native12_GLOBAL__N_18offset_tEEE10hipError_tPvRmT1_PNSt15iterator_traitsISK_E10value_typeET2_T3_PNSL_ISQ_E10value_typeET4_jRbjT5_SW_jjP12ihipStream_tbEUlT_E0_NS1_11comp_targetILNS1_3genE4ELNS1_11target_archE910ELNS1_3gpuE8ELNS1_3repE0EEENS1_60segmented_radix_sort_warp_sort_medium_config_static_selectorELNS0_4arch9wavefront6targetE0EEEvSK_
    .private_segment_fixed_size: 0
    .sgpr_count:     0
    .sgpr_spill_count: 0
    .symbol:         _ZN7rocprim17ROCPRIM_400000_NS6detail17trampoline_kernelINS0_14default_configENS1_36segmented_radix_sort_config_selectorIdlEEZNS1_25segmented_radix_sort_implIS3_Lb1EPKdPdPKlPlN2at6native12_GLOBAL__N_18offset_tEEE10hipError_tPvRmT1_PNSt15iterator_traitsISK_E10value_typeET2_T3_PNSL_ISQ_E10value_typeET4_jRbjT5_SW_jjP12ihipStream_tbEUlT_E0_NS1_11comp_targetILNS1_3genE4ELNS1_11target_archE910ELNS1_3gpuE8ELNS1_3repE0EEENS1_60segmented_radix_sort_warp_sort_medium_config_static_selectorELNS0_4arch9wavefront6targetE0EEEvSK_.kd
    .uniform_work_group_size: 1
    .uses_dynamic_stack: false
    .vgpr_count:     0
    .vgpr_spill_count: 0
    .wavefront_size: 32
    .workgroup_processor_mode: 1
  - .args:
      - .offset:         0
        .size:           88
        .value_kind:     by_value
    .group_segment_fixed_size: 0
    .kernarg_segment_align: 8
    .kernarg_segment_size: 88
    .language:       OpenCL C
    .language_version:
      - 2
      - 0
    .max_flat_workgroup_size: 256
    .name:           _ZN7rocprim17ROCPRIM_400000_NS6detail17trampoline_kernelINS0_14default_configENS1_36segmented_radix_sort_config_selectorIdlEEZNS1_25segmented_radix_sort_implIS3_Lb1EPKdPdPKlPlN2at6native12_GLOBAL__N_18offset_tEEE10hipError_tPvRmT1_PNSt15iterator_traitsISK_E10value_typeET2_T3_PNSL_ISQ_E10value_typeET4_jRbjT5_SW_jjP12ihipStream_tbEUlT_E0_NS1_11comp_targetILNS1_3genE3ELNS1_11target_archE908ELNS1_3gpuE7ELNS1_3repE0EEENS1_60segmented_radix_sort_warp_sort_medium_config_static_selectorELNS0_4arch9wavefront6targetE0EEEvSK_
    .private_segment_fixed_size: 0
    .sgpr_count:     0
    .sgpr_spill_count: 0
    .symbol:         _ZN7rocprim17ROCPRIM_400000_NS6detail17trampoline_kernelINS0_14default_configENS1_36segmented_radix_sort_config_selectorIdlEEZNS1_25segmented_radix_sort_implIS3_Lb1EPKdPdPKlPlN2at6native12_GLOBAL__N_18offset_tEEE10hipError_tPvRmT1_PNSt15iterator_traitsISK_E10value_typeET2_T3_PNSL_ISQ_E10value_typeET4_jRbjT5_SW_jjP12ihipStream_tbEUlT_E0_NS1_11comp_targetILNS1_3genE3ELNS1_11target_archE908ELNS1_3gpuE7ELNS1_3repE0EEENS1_60segmented_radix_sort_warp_sort_medium_config_static_selectorELNS0_4arch9wavefront6targetE0EEEvSK_.kd
    .uniform_work_group_size: 1
    .uses_dynamic_stack: false
    .vgpr_count:     0
    .vgpr_spill_count: 0
    .wavefront_size: 32
    .workgroup_processor_mode: 1
  - .args:
      - .offset:         0
        .size:           88
        .value_kind:     by_value
    .group_segment_fixed_size: 0
    .kernarg_segment_align: 8
    .kernarg_segment_size: 88
    .language:       OpenCL C
    .language_version:
      - 2
      - 0
    .max_flat_workgroup_size: 256
    .name:           _ZN7rocprim17ROCPRIM_400000_NS6detail17trampoline_kernelINS0_14default_configENS1_36segmented_radix_sort_config_selectorIdlEEZNS1_25segmented_radix_sort_implIS3_Lb1EPKdPdPKlPlN2at6native12_GLOBAL__N_18offset_tEEE10hipError_tPvRmT1_PNSt15iterator_traitsISK_E10value_typeET2_T3_PNSL_ISQ_E10value_typeET4_jRbjT5_SW_jjP12ihipStream_tbEUlT_E0_NS1_11comp_targetILNS1_3genE2ELNS1_11target_archE906ELNS1_3gpuE6ELNS1_3repE0EEENS1_60segmented_radix_sort_warp_sort_medium_config_static_selectorELNS0_4arch9wavefront6targetE0EEEvSK_
    .private_segment_fixed_size: 0
    .sgpr_count:     0
    .sgpr_spill_count: 0
    .symbol:         _ZN7rocprim17ROCPRIM_400000_NS6detail17trampoline_kernelINS0_14default_configENS1_36segmented_radix_sort_config_selectorIdlEEZNS1_25segmented_radix_sort_implIS3_Lb1EPKdPdPKlPlN2at6native12_GLOBAL__N_18offset_tEEE10hipError_tPvRmT1_PNSt15iterator_traitsISK_E10value_typeET2_T3_PNSL_ISQ_E10value_typeET4_jRbjT5_SW_jjP12ihipStream_tbEUlT_E0_NS1_11comp_targetILNS1_3genE2ELNS1_11target_archE906ELNS1_3gpuE6ELNS1_3repE0EEENS1_60segmented_radix_sort_warp_sort_medium_config_static_selectorELNS0_4arch9wavefront6targetE0EEEvSK_.kd
    .uniform_work_group_size: 1
    .uses_dynamic_stack: false
    .vgpr_count:     0
    .vgpr_spill_count: 0
    .wavefront_size: 32
    .workgroup_processor_mode: 1
  - .args:
      - .offset:         0
        .size:           88
        .value_kind:     by_value
      - .offset:         88
        .size:           4
        .value_kind:     hidden_block_count_x
      - .offset:         92
        .size:           4
        .value_kind:     hidden_block_count_y
      - .offset:         96
        .size:           4
        .value_kind:     hidden_block_count_z
      - .offset:         100
        .size:           2
        .value_kind:     hidden_group_size_x
      - .offset:         102
        .size:           2
        .value_kind:     hidden_group_size_y
      - .offset:         104
        .size:           2
        .value_kind:     hidden_group_size_z
      - .offset:         106
        .size:           2
        .value_kind:     hidden_remainder_x
      - .offset:         108
        .size:           2
        .value_kind:     hidden_remainder_y
      - .offset:         110
        .size:           2
        .value_kind:     hidden_remainder_z
      - .offset:         128
        .size:           8
        .value_kind:     hidden_global_offset_x
      - .offset:         136
        .size:           8
        .value_kind:     hidden_global_offset_y
      - .offset:         144
        .size:           8
        .value_kind:     hidden_global_offset_z
      - .offset:         152
        .size:           2
        .value_kind:     hidden_grid_dims
    .group_segment_fixed_size: 32768
    .kernarg_segment_align: 8
    .kernarg_segment_size: 344
    .language:       OpenCL C
    .language_version:
      - 2
      - 0
    .max_flat_workgroup_size: 256
    .name:           _ZN7rocprim17ROCPRIM_400000_NS6detail17trampoline_kernelINS0_14default_configENS1_36segmented_radix_sort_config_selectorIdlEEZNS1_25segmented_radix_sort_implIS3_Lb1EPKdPdPKlPlN2at6native12_GLOBAL__N_18offset_tEEE10hipError_tPvRmT1_PNSt15iterator_traitsISK_E10value_typeET2_T3_PNSL_ISQ_E10value_typeET4_jRbjT5_SW_jjP12ihipStream_tbEUlT_E0_NS1_11comp_targetILNS1_3genE10ELNS1_11target_archE1201ELNS1_3gpuE5ELNS1_3repE0EEENS1_60segmented_radix_sort_warp_sort_medium_config_static_selectorELNS0_4arch9wavefront6targetE0EEEvSK_
    .private_segment_fixed_size: 0
    .sgpr_count:     46
    .sgpr_spill_count: 0
    .symbol:         _ZN7rocprim17ROCPRIM_400000_NS6detail17trampoline_kernelINS0_14default_configENS1_36segmented_radix_sort_config_selectorIdlEEZNS1_25segmented_radix_sort_implIS3_Lb1EPKdPdPKlPlN2at6native12_GLOBAL__N_18offset_tEEE10hipError_tPvRmT1_PNSt15iterator_traitsISK_E10value_typeET2_T3_PNSL_ISQ_E10value_typeET4_jRbjT5_SW_jjP12ihipStream_tbEUlT_E0_NS1_11comp_targetILNS1_3genE10ELNS1_11target_archE1201ELNS1_3gpuE5ELNS1_3repE0EEENS1_60segmented_radix_sort_warp_sort_medium_config_static_selectorELNS0_4arch9wavefront6targetE0EEEvSK_.kd
    .uniform_work_group_size: 1
    .uses_dynamic_stack: false
    .vgpr_count:     104
    .vgpr_spill_count: 0
    .wavefront_size: 32
    .workgroup_processor_mode: 1
  - .args:
      - .offset:         0
        .size:           88
        .value_kind:     by_value
    .group_segment_fixed_size: 0
    .kernarg_segment_align: 8
    .kernarg_segment_size: 88
    .language:       OpenCL C
    .language_version:
      - 2
      - 0
    .max_flat_workgroup_size: 256
    .name:           _ZN7rocprim17ROCPRIM_400000_NS6detail17trampoline_kernelINS0_14default_configENS1_36segmented_radix_sort_config_selectorIdlEEZNS1_25segmented_radix_sort_implIS3_Lb1EPKdPdPKlPlN2at6native12_GLOBAL__N_18offset_tEEE10hipError_tPvRmT1_PNSt15iterator_traitsISK_E10value_typeET2_T3_PNSL_ISQ_E10value_typeET4_jRbjT5_SW_jjP12ihipStream_tbEUlT_E0_NS1_11comp_targetILNS1_3genE10ELNS1_11target_archE1200ELNS1_3gpuE4ELNS1_3repE0EEENS1_60segmented_radix_sort_warp_sort_medium_config_static_selectorELNS0_4arch9wavefront6targetE0EEEvSK_
    .private_segment_fixed_size: 0
    .sgpr_count:     0
    .sgpr_spill_count: 0
    .symbol:         _ZN7rocprim17ROCPRIM_400000_NS6detail17trampoline_kernelINS0_14default_configENS1_36segmented_radix_sort_config_selectorIdlEEZNS1_25segmented_radix_sort_implIS3_Lb1EPKdPdPKlPlN2at6native12_GLOBAL__N_18offset_tEEE10hipError_tPvRmT1_PNSt15iterator_traitsISK_E10value_typeET2_T3_PNSL_ISQ_E10value_typeET4_jRbjT5_SW_jjP12ihipStream_tbEUlT_E0_NS1_11comp_targetILNS1_3genE10ELNS1_11target_archE1200ELNS1_3gpuE4ELNS1_3repE0EEENS1_60segmented_radix_sort_warp_sort_medium_config_static_selectorELNS0_4arch9wavefront6targetE0EEEvSK_.kd
    .uniform_work_group_size: 1
    .uses_dynamic_stack: false
    .vgpr_count:     0
    .vgpr_spill_count: 0
    .wavefront_size: 32
    .workgroup_processor_mode: 1
  - .args:
      - .offset:         0
        .size:           88
        .value_kind:     by_value
    .group_segment_fixed_size: 0
    .kernarg_segment_align: 8
    .kernarg_segment_size: 88
    .language:       OpenCL C
    .language_version:
      - 2
      - 0
    .max_flat_workgroup_size: 256
    .name:           _ZN7rocprim17ROCPRIM_400000_NS6detail17trampoline_kernelINS0_14default_configENS1_36segmented_radix_sort_config_selectorIdlEEZNS1_25segmented_radix_sort_implIS3_Lb1EPKdPdPKlPlN2at6native12_GLOBAL__N_18offset_tEEE10hipError_tPvRmT1_PNSt15iterator_traitsISK_E10value_typeET2_T3_PNSL_ISQ_E10value_typeET4_jRbjT5_SW_jjP12ihipStream_tbEUlT_E0_NS1_11comp_targetILNS1_3genE9ELNS1_11target_archE1100ELNS1_3gpuE3ELNS1_3repE0EEENS1_60segmented_radix_sort_warp_sort_medium_config_static_selectorELNS0_4arch9wavefront6targetE0EEEvSK_
    .private_segment_fixed_size: 0
    .sgpr_count:     0
    .sgpr_spill_count: 0
    .symbol:         _ZN7rocprim17ROCPRIM_400000_NS6detail17trampoline_kernelINS0_14default_configENS1_36segmented_radix_sort_config_selectorIdlEEZNS1_25segmented_radix_sort_implIS3_Lb1EPKdPdPKlPlN2at6native12_GLOBAL__N_18offset_tEEE10hipError_tPvRmT1_PNSt15iterator_traitsISK_E10value_typeET2_T3_PNSL_ISQ_E10value_typeET4_jRbjT5_SW_jjP12ihipStream_tbEUlT_E0_NS1_11comp_targetILNS1_3genE9ELNS1_11target_archE1100ELNS1_3gpuE3ELNS1_3repE0EEENS1_60segmented_radix_sort_warp_sort_medium_config_static_selectorELNS0_4arch9wavefront6targetE0EEEvSK_.kd
    .uniform_work_group_size: 1
    .uses_dynamic_stack: false
    .vgpr_count:     0
    .vgpr_spill_count: 0
    .wavefront_size: 32
    .workgroup_processor_mode: 1
  - .args:
      - .offset:         0
        .size:           88
        .value_kind:     by_value
    .group_segment_fixed_size: 0
    .kernarg_segment_align: 8
    .kernarg_segment_size: 88
    .language:       OpenCL C
    .language_version:
      - 2
      - 0
    .max_flat_workgroup_size: 256
    .name:           _ZN7rocprim17ROCPRIM_400000_NS6detail17trampoline_kernelINS0_14default_configENS1_36segmented_radix_sort_config_selectorIdlEEZNS1_25segmented_radix_sort_implIS3_Lb1EPKdPdPKlPlN2at6native12_GLOBAL__N_18offset_tEEE10hipError_tPvRmT1_PNSt15iterator_traitsISK_E10value_typeET2_T3_PNSL_ISQ_E10value_typeET4_jRbjT5_SW_jjP12ihipStream_tbEUlT_E0_NS1_11comp_targetILNS1_3genE8ELNS1_11target_archE1030ELNS1_3gpuE2ELNS1_3repE0EEENS1_60segmented_radix_sort_warp_sort_medium_config_static_selectorELNS0_4arch9wavefront6targetE0EEEvSK_
    .private_segment_fixed_size: 0
    .sgpr_count:     0
    .sgpr_spill_count: 0
    .symbol:         _ZN7rocprim17ROCPRIM_400000_NS6detail17trampoline_kernelINS0_14default_configENS1_36segmented_radix_sort_config_selectorIdlEEZNS1_25segmented_radix_sort_implIS3_Lb1EPKdPdPKlPlN2at6native12_GLOBAL__N_18offset_tEEE10hipError_tPvRmT1_PNSt15iterator_traitsISK_E10value_typeET2_T3_PNSL_ISQ_E10value_typeET4_jRbjT5_SW_jjP12ihipStream_tbEUlT_E0_NS1_11comp_targetILNS1_3genE8ELNS1_11target_archE1030ELNS1_3gpuE2ELNS1_3repE0EEENS1_60segmented_radix_sort_warp_sort_medium_config_static_selectorELNS0_4arch9wavefront6targetE0EEEvSK_.kd
    .uniform_work_group_size: 1
    .uses_dynamic_stack: false
    .vgpr_count:     0
    .vgpr_spill_count: 0
    .wavefront_size: 32
    .workgroup_processor_mode: 1
  - .args:
      - .offset:         0
        .size:           88
        .value_kind:     by_value
    .group_segment_fixed_size: 0
    .kernarg_segment_align: 8
    .kernarg_segment_size: 88
    .language:       OpenCL C
    .language_version:
      - 2
      - 0
    .max_flat_workgroup_size: 256
    .name:           _ZN7rocprim17ROCPRIM_400000_NS6detail17trampoline_kernelINS0_14default_configENS1_36segmented_radix_sort_config_selectorIdlEEZNS1_25segmented_radix_sort_implIS3_Lb1EPKdPdPKlPlN2at6native12_GLOBAL__N_18offset_tEEE10hipError_tPvRmT1_PNSt15iterator_traitsISK_E10value_typeET2_T3_PNSL_ISQ_E10value_typeET4_jRbjT5_SW_jjP12ihipStream_tbEUlT_E1_NS1_11comp_targetILNS1_3genE0ELNS1_11target_archE4294967295ELNS1_3gpuE0ELNS1_3repE0EEENS1_59segmented_radix_sort_warp_sort_small_config_static_selectorELNS0_4arch9wavefront6targetE0EEEvSK_
    .private_segment_fixed_size: 0
    .sgpr_count:     0
    .sgpr_spill_count: 0
    .symbol:         _ZN7rocprim17ROCPRIM_400000_NS6detail17trampoline_kernelINS0_14default_configENS1_36segmented_radix_sort_config_selectorIdlEEZNS1_25segmented_radix_sort_implIS3_Lb1EPKdPdPKlPlN2at6native12_GLOBAL__N_18offset_tEEE10hipError_tPvRmT1_PNSt15iterator_traitsISK_E10value_typeET2_T3_PNSL_ISQ_E10value_typeET4_jRbjT5_SW_jjP12ihipStream_tbEUlT_E1_NS1_11comp_targetILNS1_3genE0ELNS1_11target_archE4294967295ELNS1_3gpuE0ELNS1_3repE0EEENS1_59segmented_radix_sort_warp_sort_small_config_static_selectorELNS0_4arch9wavefront6targetE0EEEvSK_.kd
    .uniform_work_group_size: 1
    .uses_dynamic_stack: false
    .vgpr_count:     0
    .vgpr_spill_count: 0
    .wavefront_size: 32
    .workgroup_processor_mode: 1
  - .args:
      - .offset:         0
        .size:           88
        .value_kind:     by_value
    .group_segment_fixed_size: 0
    .kernarg_segment_align: 8
    .kernarg_segment_size: 88
    .language:       OpenCL C
    .language_version:
      - 2
      - 0
    .max_flat_workgroup_size: 256
    .name:           _ZN7rocprim17ROCPRIM_400000_NS6detail17trampoline_kernelINS0_14default_configENS1_36segmented_radix_sort_config_selectorIdlEEZNS1_25segmented_radix_sort_implIS3_Lb1EPKdPdPKlPlN2at6native12_GLOBAL__N_18offset_tEEE10hipError_tPvRmT1_PNSt15iterator_traitsISK_E10value_typeET2_T3_PNSL_ISQ_E10value_typeET4_jRbjT5_SW_jjP12ihipStream_tbEUlT_E1_NS1_11comp_targetILNS1_3genE5ELNS1_11target_archE942ELNS1_3gpuE9ELNS1_3repE0EEENS1_59segmented_radix_sort_warp_sort_small_config_static_selectorELNS0_4arch9wavefront6targetE0EEEvSK_
    .private_segment_fixed_size: 0
    .sgpr_count:     0
    .sgpr_spill_count: 0
    .symbol:         _ZN7rocprim17ROCPRIM_400000_NS6detail17trampoline_kernelINS0_14default_configENS1_36segmented_radix_sort_config_selectorIdlEEZNS1_25segmented_radix_sort_implIS3_Lb1EPKdPdPKlPlN2at6native12_GLOBAL__N_18offset_tEEE10hipError_tPvRmT1_PNSt15iterator_traitsISK_E10value_typeET2_T3_PNSL_ISQ_E10value_typeET4_jRbjT5_SW_jjP12ihipStream_tbEUlT_E1_NS1_11comp_targetILNS1_3genE5ELNS1_11target_archE942ELNS1_3gpuE9ELNS1_3repE0EEENS1_59segmented_radix_sort_warp_sort_small_config_static_selectorELNS0_4arch9wavefront6targetE0EEEvSK_.kd
    .uniform_work_group_size: 1
    .uses_dynamic_stack: false
    .vgpr_count:     0
    .vgpr_spill_count: 0
    .wavefront_size: 32
    .workgroup_processor_mode: 1
  - .args:
      - .offset:         0
        .size:           88
        .value_kind:     by_value
    .group_segment_fixed_size: 0
    .kernarg_segment_align: 8
    .kernarg_segment_size: 88
    .language:       OpenCL C
    .language_version:
      - 2
      - 0
    .max_flat_workgroup_size: 256
    .name:           _ZN7rocprim17ROCPRIM_400000_NS6detail17trampoline_kernelINS0_14default_configENS1_36segmented_radix_sort_config_selectorIdlEEZNS1_25segmented_radix_sort_implIS3_Lb1EPKdPdPKlPlN2at6native12_GLOBAL__N_18offset_tEEE10hipError_tPvRmT1_PNSt15iterator_traitsISK_E10value_typeET2_T3_PNSL_ISQ_E10value_typeET4_jRbjT5_SW_jjP12ihipStream_tbEUlT_E1_NS1_11comp_targetILNS1_3genE4ELNS1_11target_archE910ELNS1_3gpuE8ELNS1_3repE0EEENS1_59segmented_radix_sort_warp_sort_small_config_static_selectorELNS0_4arch9wavefront6targetE0EEEvSK_
    .private_segment_fixed_size: 0
    .sgpr_count:     0
    .sgpr_spill_count: 0
    .symbol:         _ZN7rocprim17ROCPRIM_400000_NS6detail17trampoline_kernelINS0_14default_configENS1_36segmented_radix_sort_config_selectorIdlEEZNS1_25segmented_radix_sort_implIS3_Lb1EPKdPdPKlPlN2at6native12_GLOBAL__N_18offset_tEEE10hipError_tPvRmT1_PNSt15iterator_traitsISK_E10value_typeET2_T3_PNSL_ISQ_E10value_typeET4_jRbjT5_SW_jjP12ihipStream_tbEUlT_E1_NS1_11comp_targetILNS1_3genE4ELNS1_11target_archE910ELNS1_3gpuE8ELNS1_3repE0EEENS1_59segmented_radix_sort_warp_sort_small_config_static_selectorELNS0_4arch9wavefront6targetE0EEEvSK_.kd
    .uniform_work_group_size: 1
    .uses_dynamic_stack: false
    .vgpr_count:     0
    .vgpr_spill_count: 0
    .wavefront_size: 32
    .workgroup_processor_mode: 1
  - .args:
      - .offset:         0
        .size:           88
        .value_kind:     by_value
    .group_segment_fixed_size: 0
    .kernarg_segment_align: 8
    .kernarg_segment_size: 88
    .language:       OpenCL C
    .language_version:
      - 2
      - 0
    .max_flat_workgroup_size: 256
    .name:           _ZN7rocprim17ROCPRIM_400000_NS6detail17trampoline_kernelINS0_14default_configENS1_36segmented_radix_sort_config_selectorIdlEEZNS1_25segmented_radix_sort_implIS3_Lb1EPKdPdPKlPlN2at6native12_GLOBAL__N_18offset_tEEE10hipError_tPvRmT1_PNSt15iterator_traitsISK_E10value_typeET2_T3_PNSL_ISQ_E10value_typeET4_jRbjT5_SW_jjP12ihipStream_tbEUlT_E1_NS1_11comp_targetILNS1_3genE3ELNS1_11target_archE908ELNS1_3gpuE7ELNS1_3repE0EEENS1_59segmented_radix_sort_warp_sort_small_config_static_selectorELNS0_4arch9wavefront6targetE0EEEvSK_
    .private_segment_fixed_size: 0
    .sgpr_count:     0
    .sgpr_spill_count: 0
    .symbol:         _ZN7rocprim17ROCPRIM_400000_NS6detail17trampoline_kernelINS0_14default_configENS1_36segmented_radix_sort_config_selectorIdlEEZNS1_25segmented_radix_sort_implIS3_Lb1EPKdPdPKlPlN2at6native12_GLOBAL__N_18offset_tEEE10hipError_tPvRmT1_PNSt15iterator_traitsISK_E10value_typeET2_T3_PNSL_ISQ_E10value_typeET4_jRbjT5_SW_jjP12ihipStream_tbEUlT_E1_NS1_11comp_targetILNS1_3genE3ELNS1_11target_archE908ELNS1_3gpuE7ELNS1_3repE0EEENS1_59segmented_radix_sort_warp_sort_small_config_static_selectorELNS0_4arch9wavefront6targetE0EEEvSK_.kd
    .uniform_work_group_size: 1
    .uses_dynamic_stack: false
    .vgpr_count:     0
    .vgpr_spill_count: 0
    .wavefront_size: 32
    .workgroup_processor_mode: 1
  - .args:
      - .offset:         0
        .size:           88
        .value_kind:     by_value
    .group_segment_fixed_size: 0
    .kernarg_segment_align: 8
    .kernarg_segment_size: 88
    .language:       OpenCL C
    .language_version:
      - 2
      - 0
    .max_flat_workgroup_size: 256
    .name:           _ZN7rocprim17ROCPRIM_400000_NS6detail17trampoline_kernelINS0_14default_configENS1_36segmented_radix_sort_config_selectorIdlEEZNS1_25segmented_radix_sort_implIS3_Lb1EPKdPdPKlPlN2at6native12_GLOBAL__N_18offset_tEEE10hipError_tPvRmT1_PNSt15iterator_traitsISK_E10value_typeET2_T3_PNSL_ISQ_E10value_typeET4_jRbjT5_SW_jjP12ihipStream_tbEUlT_E1_NS1_11comp_targetILNS1_3genE2ELNS1_11target_archE906ELNS1_3gpuE6ELNS1_3repE0EEENS1_59segmented_radix_sort_warp_sort_small_config_static_selectorELNS0_4arch9wavefront6targetE0EEEvSK_
    .private_segment_fixed_size: 0
    .sgpr_count:     0
    .sgpr_spill_count: 0
    .symbol:         _ZN7rocprim17ROCPRIM_400000_NS6detail17trampoline_kernelINS0_14default_configENS1_36segmented_radix_sort_config_selectorIdlEEZNS1_25segmented_radix_sort_implIS3_Lb1EPKdPdPKlPlN2at6native12_GLOBAL__N_18offset_tEEE10hipError_tPvRmT1_PNSt15iterator_traitsISK_E10value_typeET2_T3_PNSL_ISQ_E10value_typeET4_jRbjT5_SW_jjP12ihipStream_tbEUlT_E1_NS1_11comp_targetILNS1_3genE2ELNS1_11target_archE906ELNS1_3gpuE6ELNS1_3repE0EEENS1_59segmented_radix_sort_warp_sort_small_config_static_selectorELNS0_4arch9wavefront6targetE0EEEvSK_.kd
    .uniform_work_group_size: 1
    .uses_dynamic_stack: false
    .vgpr_count:     0
    .vgpr_spill_count: 0
    .wavefront_size: 32
    .workgroup_processor_mode: 1
  - .args:
      - .offset:         0
        .size:           88
        .value_kind:     by_value
      - .offset:         88
        .size:           4
        .value_kind:     hidden_block_count_x
      - .offset:         92
        .size:           4
        .value_kind:     hidden_block_count_y
      - .offset:         96
        .size:           4
        .value_kind:     hidden_block_count_z
      - .offset:         100
        .size:           2
        .value_kind:     hidden_group_size_x
      - .offset:         102
        .size:           2
        .value_kind:     hidden_group_size_y
      - .offset:         104
        .size:           2
        .value_kind:     hidden_group_size_z
      - .offset:         106
        .size:           2
        .value_kind:     hidden_remainder_x
      - .offset:         108
        .size:           2
        .value_kind:     hidden_remainder_y
      - .offset:         110
        .size:           2
        .value_kind:     hidden_remainder_z
      - .offset:         128
        .size:           8
        .value_kind:     hidden_global_offset_x
      - .offset:         136
        .size:           8
        .value_kind:     hidden_global_offset_y
      - .offset:         144
        .size:           8
        .value_kind:     hidden_global_offset_z
      - .offset:         152
        .size:           2
        .value_kind:     hidden_grid_dims
    .group_segment_fixed_size: 16384
    .kernarg_segment_align: 8
    .kernarg_segment_size: 344
    .language:       OpenCL C
    .language_version:
      - 2
      - 0
    .max_flat_workgroup_size: 256
    .name:           _ZN7rocprim17ROCPRIM_400000_NS6detail17trampoline_kernelINS0_14default_configENS1_36segmented_radix_sort_config_selectorIdlEEZNS1_25segmented_radix_sort_implIS3_Lb1EPKdPdPKlPlN2at6native12_GLOBAL__N_18offset_tEEE10hipError_tPvRmT1_PNSt15iterator_traitsISK_E10value_typeET2_T3_PNSL_ISQ_E10value_typeET4_jRbjT5_SW_jjP12ihipStream_tbEUlT_E1_NS1_11comp_targetILNS1_3genE10ELNS1_11target_archE1201ELNS1_3gpuE5ELNS1_3repE0EEENS1_59segmented_radix_sort_warp_sort_small_config_static_selectorELNS0_4arch9wavefront6targetE0EEEvSK_
    .private_segment_fixed_size: 0
    .sgpr_count:     35
    .sgpr_spill_count: 0
    .symbol:         _ZN7rocprim17ROCPRIM_400000_NS6detail17trampoline_kernelINS0_14default_configENS1_36segmented_radix_sort_config_selectorIdlEEZNS1_25segmented_radix_sort_implIS3_Lb1EPKdPdPKlPlN2at6native12_GLOBAL__N_18offset_tEEE10hipError_tPvRmT1_PNSt15iterator_traitsISK_E10value_typeET2_T3_PNSL_ISQ_E10value_typeET4_jRbjT5_SW_jjP12ihipStream_tbEUlT_E1_NS1_11comp_targetILNS1_3genE10ELNS1_11target_archE1201ELNS1_3gpuE5ELNS1_3repE0EEENS1_59segmented_radix_sort_warp_sort_small_config_static_selectorELNS0_4arch9wavefront6targetE0EEEvSK_.kd
    .uniform_work_group_size: 1
    .uses_dynamic_stack: false
    .vgpr_count:     68
    .vgpr_spill_count: 0
    .wavefront_size: 32
    .workgroup_processor_mode: 1
  - .args:
      - .offset:         0
        .size:           88
        .value_kind:     by_value
    .group_segment_fixed_size: 0
    .kernarg_segment_align: 8
    .kernarg_segment_size: 88
    .language:       OpenCL C
    .language_version:
      - 2
      - 0
    .max_flat_workgroup_size: 256
    .name:           _ZN7rocprim17ROCPRIM_400000_NS6detail17trampoline_kernelINS0_14default_configENS1_36segmented_radix_sort_config_selectorIdlEEZNS1_25segmented_radix_sort_implIS3_Lb1EPKdPdPKlPlN2at6native12_GLOBAL__N_18offset_tEEE10hipError_tPvRmT1_PNSt15iterator_traitsISK_E10value_typeET2_T3_PNSL_ISQ_E10value_typeET4_jRbjT5_SW_jjP12ihipStream_tbEUlT_E1_NS1_11comp_targetILNS1_3genE10ELNS1_11target_archE1200ELNS1_3gpuE4ELNS1_3repE0EEENS1_59segmented_radix_sort_warp_sort_small_config_static_selectorELNS0_4arch9wavefront6targetE0EEEvSK_
    .private_segment_fixed_size: 0
    .sgpr_count:     0
    .sgpr_spill_count: 0
    .symbol:         _ZN7rocprim17ROCPRIM_400000_NS6detail17trampoline_kernelINS0_14default_configENS1_36segmented_radix_sort_config_selectorIdlEEZNS1_25segmented_radix_sort_implIS3_Lb1EPKdPdPKlPlN2at6native12_GLOBAL__N_18offset_tEEE10hipError_tPvRmT1_PNSt15iterator_traitsISK_E10value_typeET2_T3_PNSL_ISQ_E10value_typeET4_jRbjT5_SW_jjP12ihipStream_tbEUlT_E1_NS1_11comp_targetILNS1_3genE10ELNS1_11target_archE1200ELNS1_3gpuE4ELNS1_3repE0EEENS1_59segmented_radix_sort_warp_sort_small_config_static_selectorELNS0_4arch9wavefront6targetE0EEEvSK_.kd
    .uniform_work_group_size: 1
    .uses_dynamic_stack: false
    .vgpr_count:     0
    .vgpr_spill_count: 0
    .wavefront_size: 32
    .workgroup_processor_mode: 1
  - .args:
      - .offset:         0
        .size:           88
        .value_kind:     by_value
    .group_segment_fixed_size: 0
    .kernarg_segment_align: 8
    .kernarg_segment_size: 88
    .language:       OpenCL C
    .language_version:
      - 2
      - 0
    .max_flat_workgroup_size: 256
    .name:           _ZN7rocprim17ROCPRIM_400000_NS6detail17trampoline_kernelINS0_14default_configENS1_36segmented_radix_sort_config_selectorIdlEEZNS1_25segmented_radix_sort_implIS3_Lb1EPKdPdPKlPlN2at6native12_GLOBAL__N_18offset_tEEE10hipError_tPvRmT1_PNSt15iterator_traitsISK_E10value_typeET2_T3_PNSL_ISQ_E10value_typeET4_jRbjT5_SW_jjP12ihipStream_tbEUlT_E1_NS1_11comp_targetILNS1_3genE9ELNS1_11target_archE1100ELNS1_3gpuE3ELNS1_3repE0EEENS1_59segmented_radix_sort_warp_sort_small_config_static_selectorELNS0_4arch9wavefront6targetE0EEEvSK_
    .private_segment_fixed_size: 0
    .sgpr_count:     0
    .sgpr_spill_count: 0
    .symbol:         _ZN7rocprim17ROCPRIM_400000_NS6detail17trampoline_kernelINS0_14default_configENS1_36segmented_radix_sort_config_selectorIdlEEZNS1_25segmented_radix_sort_implIS3_Lb1EPKdPdPKlPlN2at6native12_GLOBAL__N_18offset_tEEE10hipError_tPvRmT1_PNSt15iterator_traitsISK_E10value_typeET2_T3_PNSL_ISQ_E10value_typeET4_jRbjT5_SW_jjP12ihipStream_tbEUlT_E1_NS1_11comp_targetILNS1_3genE9ELNS1_11target_archE1100ELNS1_3gpuE3ELNS1_3repE0EEENS1_59segmented_radix_sort_warp_sort_small_config_static_selectorELNS0_4arch9wavefront6targetE0EEEvSK_.kd
    .uniform_work_group_size: 1
    .uses_dynamic_stack: false
    .vgpr_count:     0
    .vgpr_spill_count: 0
    .wavefront_size: 32
    .workgroup_processor_mode: 1
  - .args:
      - .offset:         0
        .size:           88
        .value_kind:     by_value
    .group_segment_fixed_size: 0
    .kernarg_segment_align: 8
    .kernarg_segment_size: 88
    .language:       OpenCL C
    .language_version:
      - 2
      - 0
    .max_flat_workgroup_size: 256
    .name:           _ZN7rocprim17ROCPRIM_400000_NS6detail17trampoline_kernelINS0_14default_configENS1_36segmented_radix_sort_config_selectorIdlEEZNS1_25segmented_radix_sort_implIS3_Lb1EPKdPdPKlPlN2at6native12_GLOBAL__N_18offset_tEEE10hipError_tPvRmT1_PNSt15iterator_traitsISK_E10value_typeET2_T3_PNSL_ISQ_E10value_typeET4_jRbjT5_SW_jjP12ihipStream_tbEUlT_E1_NS1_11comp_targetILNS1_3genE8ELNS1_11target_archE1030ELNS1_3gpuE2ELNS1_3repE0EEENS1_59segmented_radix_sort_warp_sort_small_config_static_selectorELNS0_4arch9wavefront6targetE0EEEvSK_
    .private_segment_fixed_size: 0
    .sgpr_count:     0
    .sgpr_spill_count: 0
    .symbol:         _ZN7rocprim17ROCPRIM_400000_NS6detail17trampoline_kernelINS0_14default_configENS1_36segmented_radix_sort_config_selectorIdlEEZNS1_25segmented_radix_sort_implIS3_Lb1EPKdPdPKlPlN2at6native12_GLOBAL__N_18offset_tEEE10hipError_tPvRmT1_PNSt15iterator_traitsISK_E10value_typeET2_T3_PNSL_ISQ_E10value_typeET4_jRbjT5_SW_jjP12ihipStream_tbEUlT_E1_NS1_11comp_targetILNS1_3genE8ELNS1_11target_archE1030ELNS1_3gpuE2ELNS1_3repE0EEENS1_59segmented_radix_sort_warp_sort_small_config_static_selectorELNS0_4arch9wavefront6targetE0EEEvSK_.kd
    .uniform_work_group_size: 1
    .uses_dynamic_stack: false
    .vgpr_count:     0
    .vgpr_spill_count: 0
    .wavefront_size: 32
    .workgroup_processor_mode: 1
  - .args:
      - .offset:         0
        .size:           80
        .value_kind:     by_value
    .group_segment_fixed_size: 0
    .kernarg_segment_align: 8
    .kernarg_segment_size: 80
    .language:       OpenCL C
    .language_version:
      - 2
      - 0
    .max_flat_workgroup_size: 256
    .name:           _ZN7rocprim17ROCPRIM_400000_NS6detail17trampoline_kernelINS0_14default_configENS1_36segmented_radix_sort_config_selectorIdlEEZNS1_25segmented_radix_sort_implIS3_Lb1EPKdPdPKlPlN2at6native12_GLOBAL__N_18offset_tEEE10hipError_tPvRmT1_PNSt15iterator_traitsISK_E10value_typeET2_T3_PNSL_ISQ_E10value_typeET4_jRbjT5_SW_jjP12ihipStream_tbEUlT_E2_NS1_11comp_targetILNS1_3genE0ELNS1_11target_archE4294967295ELNS1_3gpuE0ELNS1_3repE0EEENS1_30default_config_static_selectorELNS0_4arch9wavefront6targetE0EEEvSK_
    .private_segment_fixed_size: 0
    .sgpr_count:     0
    .sgpr_spill_count: 0
    .symbol:         _ZN7rocprim17ROCPRIM_400000_NS6detail17trampoline_kernelINS0_14default_configENS1_36segmented_radix_sort_config_selectorIdlEEZNS1_25segmented_radix_sort_implIS3_Lb1EPKdPdPKlPlN2at6native12_GLOBAL__N_18offset_tEEE10hipError_tPvRmT1_PNSt15iterator_traitsISK_E10value_typeET2_T3_PNSL_ISQ_E10value_typeET4_jRbjT5_SW_jjP12ihipStream_tbEUlT_E2_NS1_11comp_targetILNS1_3genE0ELNS1_11target_archE4294967295ELNS1_3gpuE0ELNS1_3repE0EEENS1_30default_config_static_selectorELNS0_4arch9wavefront6targetE0EEEvSK_.kd
    .uniform_work_group_size: 1
    .uses_dynamic_stack: false
    .vgpr_count:     0
    .vgpr_spill_count: 0
    .wavefront_size: 32
    .workgroup_processor_mode: 1
  - .args:
      - .offset:         0
        .size:           80
        .value_kind:     by_value
    .group_segment_fixed_size: 0
    .kernarg_segment_align: 8
    .kernarg_segment_size: 80
    .language:       OpenCL C
    .language_version:
      - 2
      - 0
    .max_flat_workgroup_size: 256
    .name:           _ZN7rocprim17ROCPRIM_400000_NS6detail17trampoline_kernelINS0_14default_configENS1_36segmented_radix_sort_config_selectorIdlEEZNS1_25segmented_radix_sort_implIS3_Lb1EPKdPdPKlPlN2at6native12_GLOBAL__N_18offset_tEEE10hipError_tPvRmT1_PNSt15iterator_traitsISK_E10value_typeET2_T3_PNSL_ISQ_E10value_typeET4_jRbjT5_SW_jjP12ihipStream_tbEUlT_E2_NS1_11comp_targetILNS1_3genE5ELNS1_11target_archE942ELNS1_3gpuE9ELNS1_3repE0EEENS1_30default_config_static_selectorELNS0_4arch9wavefront6targetE0EEEvSK_
    .private_segment_fixed_size: 0
    .sgpr_count:     0
    .sgpr_spill_count: 0
    .symbol:         _ZN7rocprim17ROCPRIM_400000_NS6detail17trampoline_kernelINS0_14default_configENS1_36segmented_radix_sort_config_selectorIdlEEZNS1_25segmented_radix_sort_implIS3_Lb1EPKdPdPKlPlN2at6native12_GLOBAL__N_18offset_tEEE10hipError_tPvRmT1_PNSt15iterator_traitsISK_E10value_typeET2_T3_PNSL_ISQ_E10value_typeET4_jRbjT5_SW_jjP12ihipStream_tbEUlT_E2_NS1_11comp_targetILNS1_3genE5ELNS1_11target_archE942ELNS1_3gpuE9ELNS1_3repE0EEENS1_30default_config_static_selectorELNS0_4arch9wavefront6targetE0EEEvSK_.kd
    .uniform_work_group_size: 1
    .uses_dynamic_stack: false
    .vgpr_count:     0
    .vgpr_spill_count: 0
    .wavefront_size: 32
    .workgroup_processor_mode: 1
  - .args:
      - .offset:         0
        .size:           80
        .value_kind:     by_value
    .group_segment_fixed_size: 0
    .kernarg_segment_align: 8
    .kernarg_segment_size: 80
    .language:       OpenCL C
    .language_version:
      - 2
      - 0
    .max_flat_workgroup_size: 256
    .name:           _ZN7rocprim17ROCPRIM_400000_NS6detail17trampoline_kernelINS0_14default_configENS1_36segmented_radix_sort_config_selectorIdlEEZNS1_25segmented_radix_sort_implIS3_Lb1EPKdPdPKlPlN2at6native12_GLOBAL__N_18offset_tEEE10hipError_tPvRmT1_PNSt15iterator_traitsISK_E10value_typeET2_T3_PNSL_ISQ_E10value_typeET4_jRbjT5_SW_jjP12ihipStream_tbEUlT_E2_NS1_11comp_targetILNS1_3genE4ELNS1_11target_archE910ELNS1_3gpuE8ELNS1_3repE0EEENS1_30default_config_static_selectorELNS0_4arch9wavefront6targetE0EEEvSK_
    .private_segment_fixed_size: 0
    .sgpr_count:     0
    .sgpr_spill_count: 0
    .symbol:         _ZN7rocprim17ROCPRIM_400000_NS6detail17trampoline_kernelINS0_14default_configENS1_36segmented_radix_sort_config_selectorIdlEEZNS1_25segmented_radix_sort_implIS3_Lb1EPKdPdPKlPlN2at6native12_GLOBAL__N_18offset_tEEE10hipError_tPvRmT1_PNSt15iterator_traitsISK_E10value_typeET2_T3_PNSL_ISQ_E10value_typeET4_jRbjT5_SW_jjP12ihipStream_tbEUlT_E2_NS1_11comp_targetILNS1_3genE4ELNS1_11target_archE910ELNS1_3gpuE8ELNS1_3repE0EEENS1_30default_config_static_selectorELNS0_4arch9wavefront6targetE0EEEvSK_.kd
    .uniform_work_group_size: 1
    .uses_dynamic_stack: false
    .vgpr_count:     0
    .vgpr_spill_count: 0
    .wavefront_size: 32
    .workgroup_processor_mode: 1
  - .args:
      - .offset:         0
        .size:           80
        .value_kind:     by_value
    .group_segment_fixed_size: 0
    .kernarg_segment_align: 8
    .kernarg_segment_size: 80
    .language:       OpenCL C
    .language_version:
      - 2
      - 0
    .max_flat_workgroup_size: 256
    .name:           _ZN7rocprim17ROCPRIM_400000_NS6detail17trampoline_kernelINS0_14default_configENS1_36segmented_radix_sort_config_selectorIdlEEZNS1_25segmented_radix_sort_implIS3_Lb1EPKdPdPKlPlN2at6native12_GLOBAL__N_18offset_tEEE10hipError_tPvRmT1_PNSt15iterator_traitsISK_E10value_typeET2_T3_PNSL_ISQ_E10value_typeET4_jRbjT5_SW_jjP12ihipStream_tbEUlT_E2_NS1_11comp_targetILNS1_3genE3ELNS1_11target_archE908ELNS1_3gpuE7ELNS1_3repE0EEENS1_30default_config_static_selectorELNS0_4arch9wavefront6targetE0EEEvSK_
    .private_segment_fixed_size: 0
    .sgpr_count:     0
    .sgpr_spill_count: 0
    .symbol:         _ZN7rocprim17ROCPRIM_400000_NS6detail17trampoline_kernelINS0_14default_configENS1_36segmented_radix_sort_config_selectorIdlEEZNS1_25segmented_radix_sort_implIS3_Lb1EPKdPdPKlPlN2at6native12_GLOBAL__N_18offset_tEEE10hipError_tPvRmT1_PNSt15iterator_traitsISK_E10value_typeET2_T3_PNSL_ISQ_E10value_typeET4_jRbjT5_SW_jjP12ihipStream_tbEUlT_E2_NS1_11comp_targetILNS1_3genE3ELNS1_11target_archE908ELNS1_3gpuE7ELNS1_3repE0EEENS1_30default_config_static_selectorELNS0_4arch9wavefront6targetE0EEEvSK_.kd
    .uniform_work_group_size: 1
    .uses_dynamic_stack: false
    .vgpr_count:     0
    .vgpr_spill_count: 0
    .wavefront_size: 32
    .workgroup_processor_mode: 1
  - .args:
      - .offset:         0
        .size:           80
        .value_kind:     by_value
    .group_segment_fixed_size: 0
    .kernarg_segment_align: 8
    .kernarg_segment_size: 80
    .language:       OpenCL C
    .language_version:
      - 2
      - 0
    .max_flat_workgroup_size: 256
    .name:           _ZN7rocprim17ROCPRIM_400000_NS6detail17trampoline_kernelINS0_14default_configENS1_36segmented_radix_sort_config_selectorIdlEEZNS1_25segmented_radix_sort_implIS3_Lb1EPKdPdPKlPlN2at6native12_GLOBAL__N_18offset_tEEE10hipError_tPvRmT1_PNSt15iterator_traitsISK_E10value_typeET2_T3_PNSL_ISQ_E10value_typeET4_jRbjT5_SW_jjP12ihipStream_tbEUlT_E2_NS1_11comp_targetILNS1_3genE2ELNS1_11target_archE906ELNS1_3gpuE6ELNS1_3repE0EEENS1_30default_config_static_selectorELNS0_4arch9wavefront6targetE0EEEvSK_
    .private_segment_fixed_size: 0
    .sgpr_count:     0
    .sgpr_spill_count: 0
    .symbol:         _ZN7rocprim17ROCPRIM_400000_NS6detail17trampoline_kernelINS0_14default_configENS1_36segmented_radix_sort_config_selectorIdlEEZNS1_25segmented_radix_sort_implIS3_Lb1EPKdPdPKlPlN2at6native12_GLOBAL__N_18offset_tEEE10hipError_tPvRmT1_PNSt15iterator_traitsISK_E10value_typeET2_T3_PNSL_ISQ_E10value_typeET4_jRbjT5_SW_jjP12ihipStream_tbEUlT_E2_NS1_11comp_targetILNS1_3genE2ELNS1_11target_archE906ELNS1_3gpuE6ELNS1_3repE0EEENS1_30default_config_static_selectorELNS0_4arch9wavefront6targetE0EEEvSK_.kd
    .uniform_work_group_size: 1
    .uses_dynamic_stack: false
    .vgpr_count:     0
    .vgpr_spill_count: 0
    .wavefront_size: 32
    .workgroup_processor_mode: 1
  - .args:
      - .offset:         0
        .size:           80
        .value_kind:     by_value
      - .offset:         80
        .size:           4
        .value_kind:     hidden_block_count_x
      - .offset:         84
        .size:           4
        .value_kind:     hidden_block_count_y
      - .offset:         88
        .size:           4
        .value_kind:     hidden_block_count_z
      - .offset:         92
        .size:           2
        .value_kind:     hidden_group_size_x
      - .offset:         94
        .size:           2
        .value_kind:     hidden_group_size_y
      - .offset:         96
        .size:           2
        .value_kind:     hidden_group_size_z
      - .offset:         98
        .size:           2
        .value_kind:     hidden_remainder_x
      - .offset:         100
        .size:           2
        .value_kind:     hidden_remainder_y
      - .offset:         102
        .size:           2
        .value_kind:     hidden_remainder_z
      - .offset:         120
        .size:           8
        .value_kind:     hidden_global_offset_x
      - .offset:         128
        .size:           8
        .value_kind:     hidden_global_offset_y
      - .offset:         136
        .size:           8
        .value_kind:     hidden_global_offset_z
      - .offset:         144
        .size:           2
        .value_kind:     hidden_grid_dims
    .group_segment_fixed_size: 33824
    .kernarg_segment_align: 8
    .kernarg_segment_size: 336
    .language:       OpenCL C
    .language_version:
      - 2
      - 0
    .max_flat_workgroup_size: 256
    .name:           _ZN7rocprim17ROCPRIM_400000_NS6detail17trampoline_kernelINS0_14default_configENS1_36segmented_radix_sort_config_selectorIdlEEZNS1_25segmented_radix_sort_implIS3_Lb1EPKdPdPKlPlN2at6native12_GLOBAL__N_18offset_tEEE10hipError_tPvRmT1_PNSt15iterator_traitsISK_E10value_typeET2_T3_PNSL_ISQ_E10value_typeET4_jRbjT5_SW_jjP12ihipStream_tbEUlT_E2_NS1_11comp_targetILNS1_3genE10ELNS1_11target_archE1201ELNS1_3gpuE5ELNS1_3repE0EEENS1_30default_config_static_selectorELNS0_4arch9wavefront6targetE0EEEvSK_
    .private_segment_fixed_size: 176
    .sgpr_count:     62
    .sgpr_spill_count: 0
    .symbol:         _ZN7rocprim17ROCPRIM_400000_NS6detail17trampoline_kernelINS0_14default_configENS1_36segmented_radix_sort_config_selectorIdlEEZNS1_25segmented_radix_sort_implIS3_Lb1EPKdPdPKlPlN2at6native12_GLOBAL__N_18offset_tEEE10hipError_tPvRmT1_PNSt15iterator_traitsISK_E10value_typeET2_T3_PNSL_ISQ_E10value_typeET4_jRbjT5_SW_jjP12ihipStream_tbEUlT_E2_NS1_11comp_targetILNS1_3genE10ELNS1_11target_archE1201ELNS1_3gpuE5ELNS1_3repE0EEENS1_30default_config_static_selectorELNS0_4arch9wavefront6targetE0EEEvSK_.kd
    .uniform_work_group_size: 1
    .uses_dynamic_stack: false
    .vgpr_count:     248
    .vgpr_spill_count: 0
    .wavefront_size: 32
    .workgroup_processor_mode: 1
  - .args:
      - .offset:         0
        .size:           80
        .value_kind:     by_value
    .group_segment_fixed_size: 0
    .kernarg_segment_align: 8
    .kernarg_segment_size: 80
    .language:       OpenCL C
    .language_version:
      - 2
      - 0
    .max_flat_workgroup_size: 128
    .name:           _ZN7rocprim17ROCPRIM_400000_NS6detail17trampoline_kernelINS0_14default_configENS1_36segmented_radix_sort_config_selectorIdlEEZNS1_25segmented_radix_sort_implIS3_Lb1EPKdPdPKlPlN2at6native12_GLOBAL__N_18offset_tEEE10hipError_tPvRmT1_PNSt15iterator_traitsISK_E10value_typeET2_T3_PNSL_ISQ_E10value_typeET4_jRbjT5_SW_jjP12ihipStream_tbEUlT_E2_NS1_11comp_targetILNS1_3genE10ELNS1_11target_archE1200ELNS1_3gpuE4ELNS1_3repE0EEENS1_30default_config_static_selectorELNS0_4arch9wavefront6targetE0EEEvSK_
    .private_segment_fixed_size: 0
    .sgpr_count:     0
    .sgpr_spill_count: 0
    .symbol:         _ZN7rocprim17ROCPRIM_400000_NS6detail17trampoline_kernelINS0_14default_configENS1_36segmented_radix_sort_config_selectorIdlEEZNS1_25segmented_radix_sort_implIS3_Lb1EPKdPdPKlPlN2at6native12_GLOBAL__N_18offset_tEEE10hipError_tPvRmT1_PNSt15iterator_traitsISK_E10value_typeET2_T3_PNSL_ISQ_E10value_typeET4_jRbjT5_SW_jjP12ihipStream_tbEUlT_E2_NS1_11comp_targetILNS1_3genE10ELNS1_11target_archE1200ELNS1_3gpuE4ELNS1_3repE0EEENS1_30default_config_static_selectorELNS0_4arch9wavefront6targetE0EEEvSK_.kd
    .uniform_work_group_size: 1
    .uses_dynamic_stack: false
    .vgpr_count:     0
    .vgpr_spill_count: 0
    .wavefront_size: 32
    .workgroup_processor_mode: 1
  - .args:
      - .offset:         0
        .size:           80
        .value_kind:     by_value
    .group_segment_fixed_size: 0
    .kernarg_segment_align: 8
    .kernarg_segment_size: 80
    .language:       OpenCL C
    .language_version:
      - 2
      - 0
    .max_flat_workgroup_size: 256
    .name:           _ZN7rocprim17ROCPRIM_400000_NS6detail17trampoline_kernelINS0_14default_configENS1_36segmented_radix_sort_config_selectorIdlEEZNS1_25segmented_radix_sort_implIS3_Lb1EPKdPdPKlPlN2at6native12_GLOBAL__N_18offset_tEEE10hipError_tPvRmT1_PNSt15iterator_traitsISK_E10value_typeET2_T3_PNSL_ISQ_E10value_typeET4_jRbjT5_SW_jjP12ihipStream_tbEUlT_E2_NS1_11comp_targetILNS1_3genE9ELNS1_11target_archE1100ELNS1_3gpuE3ELNS1_3repE0EEENS1_30default_config_static_selectorELNS0_4arch9wavefront6targetE0EEEvSK_
    .private_segment_fixed_size: 0
    .sgpr_count:     0
    .sgpr_spill_count: 0
    .symbol:         _ZN7rocprim17ROCPRIM_400000_NS6detail17trampoline_kernelINS0_14default_configENS1_36segmented_radix_sort_config_selectorIdlEEZNS1_25segmented_radix_sort_implIS3_Lb1EPKdPdPKlPlN2at6native12_GLOBAL__N_18offset_tEEE10hipError_tPvRmT1_PNSt15iterator_traitsISK_E10value_typeET2_T3_PNSL_ISQ_E10value_typeET4_jRbjT5_SW_jjP12ihipStream_tbEUlT_E2_NS1_11comp_targetILNS1_3genE9ELNS1_11target_archE1100ELNS1_3gpuE3ELNS1_3repE0EEENS1_30default_config_static_selectorELNS0_4arch9wavefront6targetE0EEEvSK_.kd
    .uniform_work_group_size: 1
    .uses_dynamic_stack: false
    .vgpr_count:     0
    .vgpr_spill_count: 0
    .wavefront_size: 32
    .workgroup_processor_mode: 1
  - .args:
      - .offset:         0
        .size:           80
        .value_kind:     by_value
    .group_segment_fixed_size: 0
    .kernarg_segment_align: 8
    .kernarg_segment_size: 80
    .language:       OpenCL C
    .language_version:
      - 2
      - 0
    .max_flat_workgroup_size: 256
    .name:           _ZN7rocprim17ROCPRIM_400000_NS6detail17trampoline_kernelINS0_14default_configENS1_36segmented_radix_sort_config_selectorIdlEEZNS1_25segmented_radix_sort_implIS3_Lb1EPKdPdPKlPlN2at6native12_GLOBAL__N_18offset_tEEE10hipError_tPvRmT1_PNSt15iterator_traitsISK_E10value_typeET2_T3_PNSL_ISQ_E10value_typeET4_jRbjT5_SW_jjP12ihipStream_tbEUlT_E2_NS1_11comp_targetILNS1_3genE8ELNS1_11target_archE1030ELNS1_3gpuE2ELNS1_3repE0EEENS1_30default_config_static_selectorELNS0_4arch9wavefront6targetE0EEEvSK_
    .private_segment_fixed_size: 0
    .sgpr_count:     0
    .sgpr_spill_count: 0
    .symbol:         _ZN7rocprim17ROCPRIM_400000_NS6detail17trampoline_kernelINS0_14default_configENS1_36segmented_radix_sort_config_selectorIdlEEZNS1_25segmented_radix_sort_implIS3_Lb1EPKdPdPKlPlN2at6native12_GLOBAL__N_18offset_tEEE10hipError_tPvRmT1_PNSt15iterator_traitsISK_E10value_typeET2_T3_PNSL_ISQ_E10value_typeET4_jRbjT5_SW_jjP12ihipStream_tbEUlT_E2_NS1_11comp_targetILNS1_3genE8ELNS1_11target_archE1030ELNS1_3gpuE2ELNS1_3repE0EEENS1_30default_config_static_selectorELNS0_4arch9wavefront6targetE0EEEvSK_.kd
    .uniform_work_group_size: 1
    .uses_dynamic_stack: false
    .vgpr_count:     0
    .vgpr_spill_count: 0
    .wavefront_size: 32
    .workgroup_processor_mode: 1
  - .args:
      - .offset:         0
        .size:           176
        .value_kind:     by_value
    .group_segment_fixed_size: 0
    .kernarg_segment_align: 8
    .kernarg_segment_size: 176
    .language:       OpenCL C
    .language_version:
      - 2
      - 0
    .max_flat_workgroup_size: 256
    .name:           _ZN7rocprim17ROCPRIM_400000_NS6detail17trampoline_kernelINS0_13select_configILj256ELj13ELNS0_17block_load_methodE3ELS4_3ELS4_3ELNS0_20block_scan_algorithmE0ELj4294967295EEENS1_25partition_config_selectorILNS1_17partition_subalgoE4EjNS0_10empty_typeEbEEZZNS1_14partition_implILS8_4ELb0ES6_15HIP_vector_typeIjLj2EENS0_17counting_iteratorIjlEEPS9_SG_NS0_5tupleIJPjSI_NS0_16reverse_iteratorISI_EEEEENSH_IJSG_SG_SG_EEES9_SI_JZNS1_25segmented_radix_sort_implINS0_14default_configELb0EPKdPdPKlPlN2at6native12_GLOBAL__N_18offset_tEEE10hipError_tPvRmT1_PNSt15iterator_traitsIS12_E10value_typeET2_T3_PNS13_IS18_E10value_typeET4_jRbjT5_S1E_jjP12ihipStream_tbEUljE_ZNSN_ISO_Lb0ESQ_SR_ST_SU_SY_EESZ_S10_S11_S12_S16_S17_S18_S1B_S1C_jS1D_jS1E_S1E_jjS1G_bEUljE0_EEESZ_S10_S11_S18_S1C_S1E_T6_T7_T9_mT8_S1G_bDpT10_ENKUlT_T0_E_clISt17integral_constantIbLb0EES1U_EEDaS1P_S1Q_EUlS1P_E_NS1_11comp_targetILNS1_3genE0ELNS1_11target_archE4294967295ELNS1_3gpuE0ELNS1_3repE0EEENS1_30default_config_static_selectorELNS0_4arch9wavefront6targetE0EEEvS12_
    .private_segment_fixed_size: 0
    .sgpr_count:     0
    .sgpr_spill_count: 0
    .symbol:         _ZN7rocprim17ROCPRIM_400000_NS6detail17trampoline_kernelINS0_13select_configILj256ELj13ELNS0_17block_load_methodE3ELS4_3ELS4_3ELNS0_20block_scan_algorithmE0ELj4294967295EEENS1_25partition_config_selectorILNS1_17partition_subalgoE4EjNS0_10empty_typeEbEEZZNS1_14partition_implILS8_4ELb0ES6_15HIP_vector_typeIjLj2EENS0_17counting_iteratorIjlEEPS9_SG_NS0_5tupleIJPjSI_NS0_16reverse_iteratorISI_EEEEENSH_IJSG_SG_SG_EEES9_SI_JZNS1_25segmented_radix_sort_implINS0_14default_configELb0EPKdPdPKlPlN2at6native12_GLOBAL__N_18offset_tEEE10hipError_tPvRmT1_PNSt15iterator_traitsIS12_E10value_typeET2_T3_PNS13_IS18_E10value_typeET4_jRbjT5_S1E_jjP12ihipStream_tbEUljE_ZNSN_ISO_Lb0ESQ_SR_ST_SU_SY_EESZ_S10_S11_S12_S16_S17_S18_S1B_S1C_jS1D_jS1E_S1E_jjS1G_bEUljE0_EEESZ_S10_S11_S18_S1C_S1E_T6_T7_T9_mT8_S1G_bDpT10_ENKUlT_T0_E_clISt17integral_constantIbLb0EES1U_EEDaS1P_S1Q_EUlS1P_E_NS1_11comp_targetILNS1_3genE0ELNS1_11target_archE4294967295ELNS1_3gpuE0ELNS1_3repE0EEENS1_30default_config_static_selectorELNS0_4arch9wavefront6targetE0EEEvS12_.kd
    .uniform_work_group_size: 1
    .uses_dynamic_stack: false
    .vgpr_count:     0
    .vgpr_spill_count: 0
    .wavefront_size: 32
    .workgroup_processor_mode: 1
  - .args:
      - .offset:         0
        .size:           176
        .value_kind:     by_value
    .group_segment_fixed_size: 0
    .kernarg_segment_align: 8
    .kernarg_segment_size: 176
    .language:       OpenCL C
    .language_version:
      - 2
      - 0
    .max_flat_workgroup_size: 256
    .name:           _ZN7rocprim17ROCPRIM_400000_NS6detail17trampoline_kernelINS0_13select_configILj256ELj13ELNS0_17block_load_methodE3ELS4_3ELS4_3ELNS0_20block_scan_algorithmE0ELj4294967295EEENS1_25partition_config_selectorILNS1_17partition_subalgoE4EjNS0_10empty_typeEbEEZZNS1_14partition_implILS8_4ELb0ES6_15HIP_vector_typeIjLj2EENS0_17counting_iteratorIjlEEPS9_SG_NS0_5tupleIJPjSI_NS0_16reverse_iteratorISI_EEEEENSH_IJSG_SG_SG_EEES9_SI_JZNS1_25segmented_radix_sort_implINS0_14default_configELb0EPKdPdPKlPlN2at6native12_GLOBAL__N_18offset_tEEE10hipError_tPvRmT1_PNSt15iterator_traitsIS12_E10value_typeET2_T3_PNS13_IS18_E10value_typeET4_jRbjT5_S1E_jjP12ihipStream_tbEUljE_ZNSN_ISO_Lb0ESQ_SR_ST_SU_SY_EESZ_S10_S11_S12_S16_S17_S18_S1B_S1C_jS1D_jS1E_S1E_jjS1G_bEUljE0_EEESZ_S10_S11_S18_S1C_S1E_T6_T7_T9_mT8_S1G_bDpT10_ENKUlT_T0_E_clISt17integral_constantIbLb0EES1U_EEDaS1P_S1Q_EUlS1P_E_NS1_11comp_targetILNS1_3genE5ELNS1_11target_archE942ELNS1_3gpuE9ELNS1_3repE0EEENS1_30default_config_static_selectorELNS0_4arch9wavefront6targetE0EEEvS12_
    .private_segment_fixed_size: 0
    .sgpr_count:     0
    .sgpr_spill_count: 0
    .symbol:         _ZN7rocprim17ROCPRIM_400000_NS6detail17trampoline_kernelINS0_13select_configILj256ELj13ELNS0_17block_load_methodE3ELS4_3ELS4_3ELNS0_20block_scan_algorithmE0ELj4294967295EEENS1_25partition_config_selectorILNS1_17partition_subalgoE4EjNS0_10empty_typeEbEEZZNS1_14partition_implILS8_4ELb0ES6_15HIP_vector_typeIjLj2EENS0_17counting_iteratorIjlEEPS9_SG_NS0_5tupleIJPjSI_NS0_16reverse_iteratorISI_EEEEENSH_IJSG_SG_SG_EEES9_SI_JZNS1_25segmented_radix_sort_implINS0_14default_configELb0EPKdPdPKlPlN2at6native12_GLOBAL__N_18offset_tEEE10hipError_tPvRmT1_PNSt15iterator_traitsIS12_E10value_typeET2_T3_PNS13_IS18_E10value_typeET4_jRbjT5_S1E_jjP12ihipStream_tbEUljE_ZNSN_ISO_Lb0ESQ_SR_ST_SU_SY_EESZ_S10_S11_S12_S16_S17_S18_S1B_S1C_jS1D_jS1E_S1E_jjS1G_bEUljE0_EEESZ_S10_S11_S18_S1C_S1E_T6_T7_T9_mT8_S1G_bDpT10_ENKUlT_T0_E_clISt17integral_constantIbLb0EES1U_EEDaS1P_S1Q_EUlS1P_E_NS1_11comp_targetILNS1_3genE5ELNS1_11target_archE942ELNS1_3gpuE9ELNS1_3repE0EEENS1_30default_config_static_selectorELNS0_4arch9wavefront6targetE0EEEvS12_.kd
    .uniform_work_group_size: 1
    .uses_dynamic_stack: false
    .vgpr_count:     0
    .vgpr_spill_count: 0
    .wavefront_size: 32
    .workgroup_processor_mode: 1
  - .args:
      - .offset:         0
        .size:           176
        .value_kind:     by_value
    .group_segment_fixed_size: 0
    .kernarg_segment_align: 8
    .kernarg_segment_size: 176
    .language:       OpenCL C
    .language_version:
      - 2
      - 0
    .max_flat_workgroup_size: 256
    .name:           _ZN7rocprim17ROCPRIM_400000_NS6detail17trampoline_kernelINS0_13select_configILj256ELj13ELNS0_17block_load_methodE3ELS4_3ELS4_3ELNS0_20block_scan_algorithmE0ELj4294967295EEENS1_25partition_config_selectorILNS1_17partition_subalgoE4EjNS0_10empty_typeEbEEZZNS1_14partition_implILS8_4ELb0ES6_15HIP_vector_typeIjLj2EENS0_17counting_iteratorIjlEEPS9_SG_NS0_5tupleIJPjSI_NS0_16reverse_iteratorISI_EEEEENSH_IJSG_SG_SG_EEES9_SI_JZNS1_25segmented_radix_sort_implINS0_14default_configELb0EPKdPdPKlPlN2at6native12_GLOBAL__N_18offset_tEEE10hipError_tPvRmT1_PNSt15iterator_traitsIS12_E10value_typeET2_T3_PNS13_IS18_E10value_typeET4_jRbjT5_S1E_jjP12ihipStream_tbEUljE_ZNSN_ISO_Lb0ESQ_SR_ST_SU_SY_EESZ_S10_S11_S12_S16_S17_S18_S1B_S1C_jS1D_jS1E_S1E_jjS1G_bEUljE0_EEESZ_S10_S11_S18_S1C_S1E_T6_T7_T9_mT8_S1G_bDpT10_ENKUlT_T0_E_clISt17integral_constantIbLb0EES1U_EEDaS1P_S1Q_EUlS1P_E_NS1_11comp_targetILNS1_3genE4ELNS1_11target_archE910ELNS1_3gpuE8ELNS1_3repE0EEENS1_30default_config_static_selectorELNS0_4arch9wavefront6targetE0EEEvS12_
    .private_segment_fixed_size: 0
    .sgpr_count:     0
    .sgpr_spill_count: 0
    .symbol:         _ZN7rocprim17ROCPRIM_400000_NS6detail17trampoline_kernelINS0_13select_configILj256ELj13ELNS0_17block_load_methodE3ELS4_3ELS4_3ELNS0_20block_scan_algorithmE0ELj4294967295EEENS1_25partition_config_selectorILNS1_17partition_subalgoE4EjNS0_10empty_typeEbEEZZNS1_14partition_implILS8_4ELb0ES6_15HIP_vector_typeIjLj2EENS0_17counting_iteratorIjlEEPS9_SG_NS0_5tupleIJPjSI_NS0_16reverse_iteratorISI_EEEEENSH_IJSG_SG_SG_EEES9_SI_JZNS1_25segmented_radix_sort_implINS0_14default_configELb0EPKdPdPKlPlN2at6native12_GLOBAL__N_18offset_tEEE10hipError_tPvRmT1_PNSt15iterator_traitsIS12_E10value_typeET2_T3_PNS13_IS18_E10value_typeET4_jRbjT5_S1E_jjP12ihipStream_tbEUljE_ZNSN_ISO_Lb0ESQ_SR_ST_SU_SY_EESZ_S10_S11_S12_S16_S17_S18_S1B_S1C_jS1D_jS1E_S1E_jjS1G_bEUljE0_EEESZ_S10_S11_S18_S1C_S1E_T6_T7_T9_mT8_S1G_bDpT10_ENKUlT_T0_E_clISt17integral_constantIbLb0EES1U_EEDaS1P_S1Q_EUlS1P_E_NS1_11comp_targetILNS1_3genE4ELNS1_11target_archE910ELNS1_3gpuE8ELNS1_3repE0EEENS1_30default_config_static_selectorELNS0_4arch9wavefront6targetE0EEEvS12_.kd
    .uniform_work_group_size: 1
    .uses_dynamic_stack: false
    .vgpr_count:     0
    .vgpr_spill_count: 0
    .wavefront_size: 32
    .workgroup_processor_mode: 1
  - .args:
      - .offset:         0
        .size:           176
        .value_kind:     by_value
    .group_segment_fixed_size: 0
    .kernarg_segment_align: 8
    .kernarg_segment_size: 176
    .language:       OpenCL C
    .language_version:
      - 2
      - 0
    .max_flat_workgroup_size: 256
    .name:           _ZN7rocprim17ROCPRIM_400000_NS6detail17trampoline_kernelINS0_13select_configILj256ELj13ELNS0_17block_load_methodE3ELS4_3ELS4_3ELNS0_20block_scan_algorithmE0ELj4294967295EEENS1_25partition_config_selectorILNS1_17partition_subalgoE4EjNS0_10empty_typeEbEEZZNS1_14partition_implILS8_4ELb0ES6_15HIP_vector_typeIjLj2EENS0_17counting_iteratorIjlEEPS9_SG_NS0_5tupleIJPjSI_NS0_16reverse_iteratorISI_EEEEENSH_IJSG_SG_SG_EEES9_SI_JZNS1_25segmented_radix_sort_implINS0_14default_configELb0EPKdPdPKlPlN2at6native12_GLOBAL__N_18offset_tEEE10hipError_tPvRmT1_PNSt15iterator_traitsIS12_E10value_typeET2_T3_PNS13_IS18_E10value_typeET4_jRbjT5_S1E_jjP12ihipStream_tbEUljE_ZNSN_ISO_Lb0ESQ_SR_ST_SU_SY_EESZ_S10_S11_S12_S16_S17_S18_S1B_S1C_jS1D_jS1E_S1E_jjS1G_bEUljE0_EEESZ_S10_S11_S18_S1C_S1E_T6_T7_T9_mT8_S1G_bDpT10_ENKUlT_T0_E_clISt17integral_constantIbLb0EES1U_EEDaS1P_S1Q_EUlS1P_E_NS1_11comp_targetILNS1_3genE3ELNS1_11target_archE908ELNS1_3gpuE7ELNS1_3repE0EEENS1_30default_config_static_selectorELNS0_4arch9wavefront6targetE0EEEvS12_
    .private_segment_fixed_size: 0
    .sgpr_count:     0
    .sgpr_spill_count: 0
    .symbol:         _ZN7rocprim17ROCPRIM_400000_NS6detail17trampoline_kernelINS0_13select_configILj256ELj13ELNS0_17block_load_methodE3ELS4_3ELS4_3ELNS0_20block_scan_algorithmE0ELj4294967295EEENS1_25partition_config_selectorILNS1_17partition_subalgoE4EjNS0_10empty_typeEbEEZZNS1_14partition_implILS8_4ELb0ES6_15HIP_vector_typeIjLj2EENS0_17counting_iteratorIjlEEPS9_SG_NS0_5tupleIJPjSI_NS0_16reverse_iteratorISI_EEEEENSH_IJSG_SG_SG_EEES9_SI_JZNS1_25segmented_radix_sort_implINS0_14default_configELb0EPKdPdPKlPlN2at6native12_GLOBAL__N_18offset_tEEE10hipError_tPvRmT1_PNSt15iterator_traitsIS12_E10value_typeET2_T3_PNS13_IS18_E10value_typeET4_jRbjT5_S1E_jjP12ihipStream_tbEUljE_ZNSN_ISO_Lb0ESQ_SR_ST_SU_SY_EESZ_S10_S11_S12_S16_S17_S18_S1B_S1C_jS1D_jS1E_S1E_jjS1G_bEUljE0_EEESZ_S10_S11_S18_S1C_S1E_T6_T7_T9_mT8_S1G_bDpT10_ENKUlT_T0_E_clISt17integral_constantIbLb0EES1U_EEDaS1P_S1Q_EUlS1P_E_NS1_11comp_targetILNS1_3genE3ELNS1_11target_archE908ELNS1_3gpuE7ELNS1_3repE0EEENS1_30default_config_static_selectorELNS0_4arch9wavefront6targetE0EEEvS12_.kd
    .uniform_work_group_size: 1
    .uses_dynamic_stack: false
    .vgpr_count:     0
    .vgpr_spill_count: 0
    .wavefront_size: 32
    .workgroup_processor_mode: 1
  - .args:
      - .offset:         0
        .size:           176
        .value_kind:     by_value
    .group_segment_fixed_size: 0
    .kernarg_segment_align: 8
    .kernarg_segment_size: 176
    .language:       OpenCL C
    .language_version:
      - 2
      - 0
    .max_flat_workgroup_size: 256
    .name:           _ZN7rocprim17ROCPRIM_400000_NS6detail17trampoline_kernelINS0_13select_configILj256ELj13ELNS0_17block_load_methodE3ELS4_3ELS4_3ELNS0_20block_scan_algorithmE0ELj4294967295EEENS1_25partition_config_selectorILNS1_17partition_subalgoE4EjNS0_10empty_typeEbEEZZNS1_14partition_implILS8_4ELb0ES6_15HIP_vector_typeIjLj2EENS0_17counting_iteratorIjlEEPS9_SG_NS0_5tupleIJPjSI_NS0_16reverse_iteratorISI_EEEEENSH_IJSG_SG_SG_EEES9_SI_JZNS1_25segmented_radix_sort_implINS0_14default_configELb0EPKdPdPKlPlN2at6native12_GLOBAL__N_18offset_tEEE10hipError_tPvRmT1_PNSt15iterator_traitsIS12_E10value_typeET2_T3_PNS13_IS18_E10value_typeET4_jRbjT5_S1E_jjP12ihipStream_tbEUljE_ZNSN_ISO_Lb0ESQ_SR_ST_SU_SY_EESZ_S10_S11_S12_S16_S17_S18_S1B_S1C_jS1D_jS1E_S1E_jjS1G_bEUljE0_EEESZ_S10_S11_S18_S1C_S1E_T6_T7_T9_mT8_S1G_bDpT10_ENKUlT_T0_E_clISt17integral_constantIbLb0EES1U_EEDaS1P_S1Q_EUlS1P_E_NS1_11comp_targetILNS1_3genE2ELNS1_11target_archE906ELNS1_3gpuE6ELNS1_3repE0EEENS1_30default_config_static_selectorELNS0_4arch9wavefront6targetE0EEEvS12_
    .private_segment_fixed_size: 0
    .sgpr_count:     0
    .sgpr_spill_count: 0
    .symbol:         _ZN7rocprim17ROCPRIM_400000_NS6detail17trampoline_kernelINS0_13select_configILj256ELj13ELNS0_17block_load_methodE3ELS4_3ELS4_3ELNS0_20block_scan_algorithmE0ELj4294967295EEENS1_25partition_config_selectorILNS1_17partition_subalgoE4EjNS0_10empty_typeEbEEZZNS1_14partition_implILS8_4ELb0ES6_15HIP_vector_typeIjLj2EENS0_17counting_iteratorIjlEEPS9_SG_NS0_5tupleIJPjSI_NS0_16reverse_iteratorISI_EEEEENSH_IJSG_SG_SG_EEES9_SI_JZNS1_25segmented_radix_sort_implINS0_14default_configELb0EPKdPdPKlPlN2at6native12_GLOBAL__N_18offset_tEEE10hipError_tPvRmT1_PNSt15iterator_traitsIS12_E10value_typeET2_T3_PNS13_IS18_E10value_typeET4_jRbjT5_S1E_jjP12ihipStream_tbEUljE_ZNSN_ISO_Lb0ESQ_SR_ST_SU_SY_EESZ_S10_S11_S12_S16_S17_S18_S1B_S1C_jS1D_jS1E_S1E_jjS1G_bEUljE0_EEESZ_S10_S11_S18_S1C_S1E_T6_T7_T9_mT8_S1G_bDpT10_ENKUlT_T0_E_clISt17integral_constantIbLb0EES1U_EEDaS1P_S1Q_EUlS1P_E_NS1_11comp_targetILNS1_3genE2ELNS1_11target_archE906ELNS1_3gpuE6ELNS1_3repE0EEENS1_30default_config_static_selectorELNS0_4arch9wavefront6targetE0EEEvS12_.kd
    .uniform_work_group_size: 1
    .uses_dynamic_stack: false
    .vgpr_count:     0
    .vgpr_spill_count: 0
    .wavefront_size: 32
    .workgroup_processor_mode: 1
  - .args:
      - .offset:         0
        .size:           176
        .value_kind:     by_value
    .group_segment_fixed_size: 13328
    .kernarg_segment_align: 8
    .kernarg_segment_size: 176
    .language:       OpenCL C
    .language_version:
      - 2
      - 0
    .max_flat_workgroup_size: 256
    .name:           _ZN7rocprim17ROCPRIM_400000_NS6detail17trampoline_kernelINS0_13select_configILj256ELj13ELNS0_17block_load_methodE3ELS4_3ELS4_3ELNS0_20block_scan_algorithmE0ELj4294967295EEENS1_25partition_config_selectorILNS1_17partition_subalgoE4EjNS0_10empty_typeEbEEZZNS1_14partition_implILS8_4ELb0ES6_15HIP_vector_typeIjLj2EENS0_17counting_iteratorIjlEEPS9_SG_NS0_5tupleIJPjSI_NS0_16reverse_iteratorISI_EEEEENSH_IJSG_SG_SG_EEES9_SI_JZNS1_25segmented_radix_sort_implINS0_14default_configELb0EPKdPdPKlPlN2at6native12_GLOBAL__N_18offset_tEEE10hipError_tPvRmT1_PNSt15iterator_traitsIS12_E10value_typeET2_T3_PNS13_IS18_E10value_typeET4_jRbjT5_S1E_jjP12ihipStream_tbEUljE_ZNSN_ISO_Lb0ESQ_SR_ST_SU_SY_EESZ_S10_S11_S12_S16_S17_S18_S1B_S1C_jS1D_jS1E_S1E_jjS1G_bEUljE0_EEESZ_S10_S11_S18_S1C_S1E_T6_T7_T9_mT8_S1G_bDpT10_ENKUlT_T0_E_clISt17integral_constantIbLb0EES1U_EEDaS1P_S1Q_EUlS1P_E_NS1_11comp_targetILNS1_3genE10ELNS1_11target_archE1200ELNS1_3gpuE4ELNS1_3repE0EEENS1_30default_config_static_selectorELNS0_4arch9wavefront6targetE0EEEvS12_
    .private_segment_fixed_size: 0
    .sgpr_count:     60
    .sgpr_spill_count: 0
    .symbol:         _ZN7rocprim17ROCPRIM_400000_NS6detail17trampoline_kernelINS0_13select_configILj256ELj13ELNS0_17block_load_methodE3ELS4_3ELS4_3ELNS0_20block_scan_algorithmE0ELj4294967295EEENS1_25partition_config_selectorILNS1_17partition_subalgoE4EjNS0_10empty_typeEbEEZZNS1_14partition_implILS8_4ELb0ES6_15HIP_vector_typeIjLj2EENS0_17counting_iteratorIjlEEPS9_SG_NS0_5tupleIJPjSI_NS0_16reverse_iteratorISI_EEEEENSH_IJSG_SG_SG_EEES9_SI_JZNS1_25segmented_radix_sort_implINS0_14default_configELb0EPKdPdPKlPlN2at6native12_GLOBAL__N_18offset_tEEE10hipError_tPvRmT1_PNSt15iterator_traitsIS12_E10value_typeET2_T3_PNS13_IS18_E10value_typeET4_jRbjT5_S1E_jjP12ihipStream_tbEUljE_ZNSN_ISO_Lb0ESQ_SR_ST_SU_SY_EESZ_S10_S11_S12_S16_S17_S18_S1B_S1C_jS1D_jS1E_S1E_jjS1G_bEUljE0_EEESZ_S10_S11_S18_S1C_S1E_T6_T7_T9_mT8_S1G_bDpT10_ENKUlT_T0_E_clISt17integral_constantIbLb0EES1U_EEDaS1P_S1Q_EUlS1P_E_NS1_11comp_targetILNS1_3genE10ELNS1_11target_archE1200ELNS1_3gpuE4ELNS1_3repE0EEENS1_30default_config_static_selectorELNS0_4arch9wavefront6targetE0EEEvS12_.kd
    .uniform_work_group_size: 1
    .uses_dynamic_stack: false
    .vgpr_count:     93
    .vgpr_spill_count: 0
    .wavefront_size: 32
    .workgroup_processor_mode: 1
  - .args:
      - .offset:         0
        .size:           176
        .value_kind:     by_value
    .group_segment_fixed_size: 0
    .kernarg_segment_align: 8
    .kernarg_segment_size: 176
    .language:       OpenCL C
    .language_version:
      - 2
      - 0
    .max_flat_workgroup_size: 256
    .name:           _ZN7rocprim17ROCPRIM_400000_NS6detail17trampoline_kernelINS0_13select_configILj256ELj13ELNS0_17block_load_methodE3ELS4_3ELS4_3ELNS0_20block_scan_algorithmE0ELj4294967295EEENS1_25partition_config_selectorILNS1_17partition_subalgoE4EjNS0_10empty_typeEbEEZZNS1_14partition_implILS8_4ELb0ES6_15HIP_vector_typeIjLj2EENS0_17counting_iteratorIjlEEPS9_SG_NS0_5tupleIJPjSI_NS0_16reverse_iteratorISI_EEEEENSH_IJSG_SG_SG_EEES9_SI_JZNS1_25segmented_radix_sort_implINS0_14default_configELb0EPKdPdPKlPlN2at6native12_GLOBAL__N_18offset_tEEE10hipError_tPvRmT1_PNSt15iterator_traitsIS12_E10value_typeET2_T3_PNS13_IS18_E10value_typeET4_jRbjT5_S1E_jjP12ihipStream_tbEUljE_ZNSN_ISO_Lb0ESQ_SR_ST_SU_SY_EESZ_S10_S11_S12_S16_S17_S18_S1B_S1C_jS1D_jS1E_S1E_jjS1G_bEUljE0_EEESZ_S10_S11_S18_S1C_S1E_T6_T7_T9_mT8_S1G_bDpT10_ENKUlT_T0_E_clISt17integral_constantIbLb0EES1U_EEDaS1P_S1Q_EUlS1P_E_NS1_11comp_targetILNS1_3genE9ELNS1_11target_archE1100ELNS1_3gpuE3ELNS1_3repE0EEENS1_30default_config_static_selectorELNS0_4arch9wavefront6targetE0EEEvS12_
    .private_segment_fixed_size: 0
    .sgpr_count:     0
    .sgpr_spill_count: 0
    .symbol:         _ZN7rocprim17ROCPRIM_400000_NS6detail17trampoline_kernelINS0_13select_configILj256ELj13ELNS0_17block_load_methodE3ELS4_3ELS4_3ELNS0_20block_scan_algorithmE0ELj4294967295EEENS1_25partition_config_selectorILNS1_17partition_subalgoE4EjNS0_10empty_typeEbEEZZNS1_14partition_implILS8_4ELb0ES6_15HIP_vector_typeIjLj2EENS0_17counting_iteratorIjlEEPS9_SG_NS0_5tupleIJPjSI_NS0_16reverse_iteratorISI_EEEEENSH_IJSG_SG_SG_EEES9_SI_JZNS1_25segmented_radix_sort_implINS0_14default_configELb0EPKdPdPKlPlN2at6native12_GLOBAL__N_18offset_tEEE10hipError_tPvRmT1_PNSt15iterator_traitsIS12_E10value_typeET2_T3_PNS13_IS18_E10value_typeET4_jRbjT5_S1E_jjP12ihipStream_tbEUljE_ZNSN_ISO_Lb0ESQ_SR_ST_SU_SY_EESZ_S10_S11_S12_S16_S17_S18_S1B_S1C_jS1D_jS1E_S1E_jjS1G_bEUljE0_EEESZ_S10_S11_S18_S1C_S1E_T6_T7_T9_mT8_S1G_bDpT10_ENKUlT_T0_E_clISt17integral_constantIbLb0EES1U_EEDaS1P_S1Q_EUlS1P_E_NS1_11comp_targetILNS1_3genE9ELNS1_11target_archE1100ELNS1_3gpuE3ELNS1_3repE0EEENS1_30default_config_static_selectorELNS0_4arch9wavefront6targetE0EEEvS12_.kd
    .uniform_work_group_size: 1
    .uses_dynamic_stack: false
    .vgpr_count:     0
    .vgpr_spill_count: 0
    .wavefront_size: 32
    .workgroup_processor_mode: 1
  - .args:
      - .offset:         0
        .size:           176
        .value_kind:     by_value
    .group_segment_fixed_size: 0
    .kernarg_segment_align: 8
    .kernarg_segment_size: 176
    .language:       OpenCL C
    .language_version:
      - 2
      - 0
    .max_flat_workgroup_size: 256
    .name:           _ZN7rocprim17ROCPRIM_400000_NS6detail17trampoline_kernelINS0_13select_configILj256ELj13ELNS0_17block_load_methodE3ELS4_3ELS4_3ELNS0_20block_scan_algorithmE0ELj4294967295EEENS1_25partition_config_selectorILNS1_17partition_subalgoE4EjNS0_10empty_typeEbEEZZNS1_14partition_implILS8_4ELb0ES6_15HIP_vector_typeIjLj2EENS0_17counting_iteratorIjlEEPS9_SG_NS0_5tupleIJPjSI_NS0_16reverse_iteratorISI_EEEEENSH_IJSG_SG_SG_EEES9_SI_JZNS1_25segmented_radix_sort_implINS0_14default_configELb0EPKdPdPKlPlN2at6native12_GLOBAL__N_18offset_tEEE10hipError_tPvRmT1_PNSt15iterator_traitsIS12_E10value_typeET2_T3_PNS13_IS18_E10value_typeET4_jRbjT5_S1E_jjP12ihipStream_tbEUljE_ZNSN_ISO_Lb0ESQ_SR_ST_SU_SY_EESZ_S10_S11_S12_S16_S17_S18_S1B_S1C_jS1D_jS1E_S1E_jjS1G_bEUljE0_EEESZ_S10_S11_S18_S1C_S1E_T6_T7_T9_mT8_S1G_bDpT10_ENKUlT_T0_E_clISt17integral_constantIbLb0EES1U_EEDaS1P_S1Q_EUlS1P_E_NS1_11comp_targetILNS1_3genE8ELNS1_11target_archE1030ELNS1_3gpuE2ELNS1_3repE0EEENS1_30default_config_static_selectorELNS0_4arch9wavefront6targetE0EEEvS12_
    .private_segment_fixed_size: 0
    .sgpr_count:     0
    .sgpr_spill_count: 0
    .symbol:         _ZN7rocprim17ROCPRIM_400000_NS6detail17trampoline_kernelINS0_13select_configILj256ELj13ELNS0_17block_load_methodE3ELS4_3ELS4_3ELNS0_20block_scan_algorithmE0ELj4294967295EEENS1_25partition_config_selectorILNS1_17partition_subalgoE4EjNS0_10empty_typeEbEEZZNS1_14partition_implILS8_4ELb0ES6_15HIP_vector_typeIjLj2EENS0_17counting_iteratorIjlEEPS9_SG_NS0_5tupleIJPjSI_NS0_16reverse_iteratorISI_EEEEENSH_IJSG_SG_SG_EEES9_SI_JZNS1_25segmented_radix_sort_implINS0_14default_configELb0EPKdPdPKlPlN2at6native12_GLOBAL__N_18offset_tEEE10hipError_tPvRmT1_PNSt15iterator_traitsIS12_E10value_typeET2_T3_PNS13_IS18_E10value_typeET4_jRbjT5_S1E_jjP12ihipStream_tbEUljE_ZNSN_ISO_Lb0ESQ_SR_ST_SU_SY_EESZ_S10_S11_S12_S16_S17_S18_S1B_S1C_jS1D_jS1E_S1E_jjS1G_bEUljE0_EEESZ_S10_S11_S18_S1C_S1E_T6_T7_T9_mT8_S1G_bDpT10_ENKUlT_T0_E_clISt17integral_constantIbLb0EES1U_EEDaS1P_S1Q_EUlS1P_E_NS1_11comp_targetILNS1_3genE8ELNS1_11target_archE1030ELNS1_3gpuE2ELNS1_3repE0EEENS1_30default_config_static_selectorELNS0_4arch9wavefront6targetE0EEEvS12_.kd
    .uniform_work_group_size: 1
    .uses_dynamic_stack: false
    .vgpr_count:     0
    .vgpr_spill_count: 0
    .wavefront_size: 32
    .workgroup_processor_mode: 1
  - .args:
      - .offset:         0
        .size:           184
        .value_kind:     by_value
    .group_segment_fixed_size: 0
    .kernarg_segment_align: 8
    .kernarg_segment_size: 184
    .language:       OpenCL C
    .language_version:
      - 2
      - 0
    .max_flat_workgroup_size: 256
    .name:           _ZN7rocprim17ROCPRIM_400000_NS6detail17trampoline_kernelINS0_13select_configILj256ELj13ELNS0_17block_load_methodE3ELS4_3ELS4_3ELNS0_20block_scan_algorithmE0ELj4294967295EEENS1_25partition_config_selectorILNS1_17partition_subalgoE4EjNS0_10empty_typeEbEEZZNS1_14partition_implILS8_4ELb0ES6_15HIP_vector_typeIjLj2EENS0_17counting_iteratorIjlEEPS9_SG_NS0_5tupleIJPjSI_NS0_16reverse_iteratorISI_EEEEENSH_IJSG_SG_SG_EEES9_SI_JZNS1_25segmented_radix_sort_implINS0_14default_configELb0EPKdPdPKlPlN2at6native12_GLOBAL__N_18offset_tEEE10hipError_tPvRmT1_PNSt15iterator_traitsIS12_E10value_typeET2_T3_PNS13_IS18_E10value_typeET4_jRbjT5_S1E_jjP12ihipStream_tbEUljE_ZNSN_ISO_Lb0ESQ_SR_ST_SU_SY_EESZ_S10_S11_S12_S16_S17_S18_S1B_S1C_jS1D_jS1E_S1E_jjS1G_bEUljE0_EEESZ_S10_S11_S18_S1C_S1E_T6_T7_T9_mT8_S1G_bDpT10_ENKUlT_T0_E_clISt17integral_constantIbLb1EES1U_EEDaS1P_S1Q_EUlS1P_E_NS1_11comp_targetILNS1_3genE0ELNS1_11target_archE4294967295ELNS1_3gpuE0ELNS1_3repE0EEENS1_30default_config_static_selectorELNS0_4arch9wavefront6targetE0EEEvS12_
    .private_segment_fixed_size: 0
    .sgpr_count:     0
    .sgpr_spill_count: 0
    .symbol:         _ZN7rocprim17ROCPRIM_400000_NS6detail17trampoline_kernelINS0_13select_configILj256ELj13ELNS0_17block_load_methodE3ELS4_3ELS4_3ELNS0_20block_scan_algorithmE0ELj4294967295EEENS1_25partition_config_selectorILNS1_17partition_subalgoE4EjNS0_10empty_typeEbEEZZNS1_14partition_implILS8_4ELb0ES6_15HIP_vector_typeIjLj2EENS0_17counting_iteratorIjlEEPS9_SG_NS0_5tupleIJPjSI_NS0_16reverse_iteratorISI_EEEEENSH_IJSG_SG_SG_EEES9_SI_JZNS1_25segmented_radix_sort_implINS0_14default_configELb0EPKdPdPKlPlN2at6native12_GLOBAL__N_18offset_tEEE10hipError_tPvRmT1_PNSt15iterator_traitsIS12_E10value_typeET2_T3_PNS13_IS18_E10value_typeET4_jRbjT5_S1E_jjP12ihipStream_tbEUljE_ZNSN_ISO_Lb0ESQ_SR_ST_SU_SY_EESZ_S10_S11_S12_S16_S17_S18_S1B_S1C_jS1D_jS1E_S1E_jjS1G_bEUljE0_EEESZ_S10_S11_S18_S1C_S1E_T6_T7_T9_mT8_S1G_bDpT10_ENKUlT_T0_E_clISt17integral_constantIbLb1EES1U_EEDaS1P_S1Q_EUlS1P_E_NS1_11comp_targetILNS1_3genE0ELNS1_11target_archE4294967295ELNS1_3gpuE0ELNS1_3repE0EEENS1_30default_config_static_selectorELNS0_4arch9wavefront6targetE0EEEvS12_.kd
    .uniform_work_group_size: 1
    .uses_dynamic_stack: false
    .vgpr_count:     0
    .vgpr_spill_count: 0
    .wavefront_size: 32
    .workgroup_processor_mode: 1
  - .args:
      - .offset:         0
        .size:           184
        .value_kind:     by_value
    .group_segment_fixed_size: 0
    .kernarg_segment_align: 8
    .kernarg_segment_size: 184
    .language:       OpenCL C
    .language_version:
      - 2
      - 0
    .max_flat_workgroup_size: 256
    .name:           _ZN7rocprim17ROCPRIM_400000_NS6detail17trampoline_kernelINS0_13select_configILj256ELj13ELNS0_17block_load_methodE3ELS4_3ELS4_3ELNS0_20block_scan_algorithmE0ELj4294967295EEENS1_25partition_config_selectorILNS1_17partition_subalgoE4EjNS0_10empty_typeEbEEZZNS1_14partition_implILS8_4ELb0ES6_15HIP_vector_typeIjLj2EENS0_17counting_iteratorIjlEEPS9_SG_NS0_5tupleIJPjSI_NS0_16reverse_iteratorISI_EEEEENSH_IJSG_SG_SG_EEES9_SI_JZNS1_25segmented_radix_sort_implINS0_14default_configELb0EPKdPdPKlPlN2at6native12_GLOBAL__N_18offset_tEEE10hipError_tPvRmT1_PNSt15iterator_traitsIS12_E10value_typeET2_T3_PNS13_IS18_E10value_typeET4_jRbjT5_S1E_jjP12ihipStream_tbEUljE_ZNSN_ISO_Lb0ESQ_SR_ST_SU_SY_EESZ_S10_S11_S12_S16_S17_S18_S1B_S1C_jS1D_jS1E_S1E_jjS1G_bEUljE0_EEESZ_S10_S11_S18_S1C_S1E_T6_T7_T9_mT8_S1G_bDpT10_ENKUlT_T0_E_clISt17integral_constantIbLb1EES1U_EEDaS1P_S1Q_EUlS1P_E_NS1_11comp_targetILNS1_3genE5ELNS1_11target_archE942ELNS1_3gpuE9ELNS1_3repE0EEENS1_30default_config_static_selectorELNS0_4arch9wavefront6targetE0EEEvS12_
    .private_segment_fixed_size: 0
    .sgpr_count:     0
    .sgpr_spill_count: 0
    .symbol:         _ZN7rocprim17ROCPRIM_400000_NS6detail17trampoline_kernelINS0_13select_configILj256ELj13ELNS0_17block_load_methodE3ELS4_3ELS4_3ELNS0_20block_scan_algorithmE0ELj4294967295EEENS1_25partition_config_selectorILNS1_17partition_subalgoE4EjNS0_10empty_typeEbEEZZNS1_14partition_implILS8_4ELb0ES6_15HIP_vector_typeIjLj2EENS0_17counting_iteratorIjlEEPS9_SG_NS0_5tupleIJPjSI_NS0_16reverse_iteratorISI_EEEEENSH_IJSG_SG_SG_EEES9_SI_JZNS1_25segmented_radix_sort_implINS0_14default_configELb0EPKdPdPKlPlN2at6native12_GLOBAL__N_18offset_tEEE10hipError_tPvRmT1_PNSt15iterator_traitsIS12_E10value_typeET2_T3_PNS13_IS18_E10value_typeET4_jRbjT5_S1E_jjP12ihipStream_tbEUljE_ZNSN_ISO_Lb0ESQ_SR_ST_SU_SY_EESZ_S10_S11_S12_S16_S17_S18_S1B_S1C_jS1D_jS1E_S1E_jjS1G_bEUljE0_EEESZ_S10_S11_S18_S1C_S1E_T6_T7_T9_mT8_S1G_bDpT10_ENKUlT_T0_E_clISt17integral_constantIbLb1EES1U_EEDaS1P_S1Q_EUlS1P_E_NS1_11comp_targetILNS1_3genE5ELNS1_11target_archE942ELNS1_3gpuE9ELNS1_3repE0EEENS1_30default_config_static_selectorELNS0_4arch9wavefront6targetE0EEEvS12_.kd
    .uniform_work_group_size: 1
    .uses_dynamic_stack: false
    .vgpr_count:     0
    .vgpr_spill_count: 0
    .wavefront_size: 32
    .workgroup_processor_mode: 1
  - .args:
      - .offset:         0
        .size:           184
        .value_kind:     by_value
    .group_segment_fixed_size: 0
    .kernarg_segment_align: 8
    .kernarg_segment_size: 184
    .language:       OpenCL C
    .language_version:
      - 2
      - 0
    .max_flat_workgroup_size: 256
    .name:           _ZN7rocprim17ROCPRIM_400000_NS6detail17trampoline_kernelINS0_13select_configILj256ELj13ELNS0_17block_load_methodE3ELS4_3ELS4_3ELNS0_20block_scan_algorithmE0ELj4294967295EEENS1_25partition_config_selectorILNS1_17partition_subalgoE4EjNS0_10empty_typeEbEEZZNS1_14partition_implILS8_4ELb0ES6_15HIP_vector_typeIjLj2EENS0_17counting_iteratorIjlEEPS9_SG_NS0_5tupleIJPjSI_NS0_16reverse_iteratorISI_EEEEENSH_IJSG_SG_SG_EEES9_SI_JZNS1_25segmented_radix_sort_implINS0_14default_configELb0EPKdPdPKlPlN2at6native12_GLOBAL__N_18offset_tEEE10hipError_tPvRmT1_PNSt15iterator_traitsIS12_E10value_typeET2_T3_PNS13_IS18_E10value_typeET4_jRbjT5_S1E_jjP12ihipStream_tbEUljE_ZNSN_ISO_Lb0ESQ_SR_ST_SU_SY_EESZ_S10_S11_S12_S16_S17_S18_S1B_S1C_jS1D_jS1E_S1E_jjS1G_bEUljE0_EEESZ_S10_S11_S18_S1C_S1E_T6_T7_T9_mT8_S1G_bDpT10_ENKUlT_T0_E_clISt17integral_constantIbLb1EES1U_EEDaS1P_S1Q_EUlS1P_E_NS1_11comp_targetILNS1_3genE4ELNS1_11target_archE910ELNS1_3gpuE8ELNS1_3repE0EEENS1_30default_config_static_selectorELNS0_4arch9wavefront6targetE0EEEvS12_
    .private_segment_fixed_size: 0
    .sgpr_count:     0
    .sgpr_spill_count: 0
    .symbol:         _ZN7rocprim17ROCPRIM_400000_NS6detail17trampoline_kernelINS0_13select_configILj256ELj13ELNS0_17block_load_methodE3ELS4_3ELS4_3ELNS0_20block_scan_algorithmE0ELj4294967295EEENS1_25partition_config_selectorILNS1_17partition_subalgoE4EjNS0_10empty_typeEbEEZZNS1_14partition_implILS8_4ELb0ES6_15HIP_vector_typeIjLj2EENS0_17counting_iteratorIjlEEPS9_SG_NS0_5tupleIJPjSI_NS0_16reverse_iteratorISI_EEEEENSH_IJSG_SG_SG_EEES9_SI_JZNS1_25segmented_radix_sort_implINS0_14default_configELb0EPKdPdPKlPlN2at6native12_GLOBAL__N_18offset_tEEE10hipError_tPvRmT1_PNSt15iterator_traitsIS12_E10value_typeET2_T3_PNS13_IS18_E10value_typeET4_jRbjT5_S1E_jjP12ihipStream_tbEUljE_ZNSN_ISO_Lb0ESQ_SR_ST_SU_SY_EESZ_S10_S11_S12_S16_S17_S18_S1B_S1C_jS1D_jS1E_S1E_jjS1G_bEUljE0_EEESZ_S10_S11_S18_S1C_S1E_T6_T7_T9_mT8_S1G_bDpT10_ENKUlT_T0_E_clISt17integral_constantIbLb1EES1U_EEDaS1P_S1Q_EUlS1P_E_NS1_11comp_targetILNS1_3genE4ELNS1_11target_archE910ELNS1_3gpuE8ELNS1_3repE0EEENS1_30default_config_static_selectorELNS0_4arch9wavefront6targetE0EEEvS12_.kd
    .uniform_work_group_size: 1
    .uses_dynamic_stack: false
    .vgpr_count:     0
    .vgpr_spill_count: 0
    .wavefront_size: 32
    .workgroup_processor_mode: 1
  - .args:
      - .offset:         0
        .size:           184
        .value_kind:     by_value
    .group_segment_fixed_size: 0
    .kernarg_segment_align: 8
    .kernarg_segment_size: 184
    .language:       OpenCL C
    .language_version:
      - 2
      - 0
    .max_flat_workgroup_size: 256
    .name:           _ZN7rocprim17ROCPRIM_400000_NS6detail17trampoline_kernelINS0_13select_configILj256ELj13ELNS0_17block_load_methodE3ELS4_3ELS4_3ELNS0_20block_scan_algorithmE0ELj4294967295EEENS1_25partition_config_selectorILNS1_17partition_subalgoE4EjNS0_10empty_typeEbEEZZNS1_14partition_implILS8_4ELb0ES6_15HIP_vector_typeIjLj2EENS0_17counting_iteratorIjlEEPS9_SG_NS0_5tupleIJPjSI_NS0_16reverse_iteratorISI_EEEEENSH_IJSG_SG_SG_EEES9_SI_JZNS1_25segmented_radix_sort_implINS0_14default_configELb0EPKdPdPKlPlN2at6native12_GLOBAL__N_18offset_tEEE10hipError_tPvRmT1_PNSt15iterator_traitsIS12_E10value_typeET2_T3_PNS13_IS18_E10value_typeET4_jRbjT5_S1E_jjP12ihipStream_tbEUljE_ZNSN_ISO_Lb0ESQ_SR_ST_SU_SY_EESZ_S10_S11_S12_S16_S17_S18_S1B_S1C_jS1D_jS1E_S1E_jjS1G_bEUljE0_EEESZ_S10_S11_S18_S1C_S1E_T6_T7_T9_mT8_S1G_bDpT10_ENKUlT_T0_E_clISt17integral_constantIbLb1EES1U_EEDaS1P_S1Q_EUlS1P_E_NS1_11comp_targetILNS1_3genE3ELNS1_11target_archE908ELNS1_3gpuE7ELNS1_3repE0EEENS1_30default_config_static_selectorELNS0_4arch9wavefront6targetE0EEEvS12_
    .private_segment_fixed_size: 0
    .sgpr_count:     0
    .sgpr_spill_count: 0
    .symbol:         _ZN7rocprim17ROCPRIM_400000_NS6detail17trampoline_kernelINS0_13select_configILj256ELj13ELNS0_17block_load_methodE3ELS4_3ELS4_3ELNS0_20block_scan_algorithmE0ELj4294967295EEENS1_25partition_config_selectorILNS1_17partition_subalgoE4EjNS0_10empty_typeEbEEZZNS1_14partition_implILS8_4ELb0ES6_15HIP_vector_typeIjLj2EENS0_17counting_iteratorIjlEEPS9_SG_NS0_5tupleIJPjSI_NS0_16reverse_iteratorISI_EEEEENSH_IJSG_SG_SG_EEES9_SI_JZNS1_25segmented_radix_sort_implINS0_14default_configELb0EPKdPdPKlPlN2at6native12_GLOBAL__N_18offset_tEEE10hipError_tPvRmT1_PNSt15iterator_traitsIS12_E10value_typeET2_T3_PNS13_IS18_E10value_typeET4_jRbjT5_S1E_jjP12ihipStream_tbEUljE_ZNSN_ISO_Lb0ESQ_SR_ST_SU_SY_EESZ_S10_S11_S12_S16_S17_S18_S1B_S1C_jS1D_jS1E_S1E_jjS1G_bEUljE0_EEESZ_S10_S11_S18_S1C_S1E_T6_T7_T9_mT8_S1G_bDpT10_ENKUlT_T0_E_clISt17integral_constantIbLb1EES1U_EEDaS1P_S1Q_EUlS1P_E_NS1_11comp_targetILNS1_3genE3ELNS1_11target_archE908ELNS1_3gpuE7ELNS1_3repE0EEENS1_30default_config_static_selectorELNS0_4arch9wavefront6targetE0EEEvS12_.kd
    .uniform_work_group_size: 1
    .uses_dynamic_stack: false
    .vgpr_count:     0
    .vgpr_spill_count: 0
    .wavefront_size: 32
    .workgroup_processor_mode: 1
  - .args:
      - .offset:         0
        .size:           184
        .value_kind:     by_value
    .group_segment_fixed_size: 0
    .kernarg_segment_align: 8
    .kernarg_segment_size: 184
    .language:       OpenCL C
    .language_version:
      - 2
      - 0
    .max_flat_workgroup_size: 256
    .name:           _ZN7rocprim17ROCPRIM_400000_NS6detail17trampoline_kernelINS0_13select_configILj256ELj13ELNS0_17block_load_methodE3ELS4_3ELS4_3ELNS0_20block_scan_algorithmE0ELj4294967295EEENS1_25partition_config_selectorILNS1_17partition_subalgoE4EjNS0_10empty_typeEbEEZZNS1_14partition_implILS8_4ELb0ES6_15HIP_vector_typeIjLj2EENS0_17counting_iteratorIjlEEPS9_SG_NS0_5tupleIJPjSI_NS0_16reverse_iteratorISI_EEEEENSH_IJSG_SG_SG_EEES9_SI_JZNS1_25segmented_radix_sort_implINS0_14default_configELb0EPKdPdPKlPlN2at6native12_GLOBAL__N_18offset_tEEE10hipError_tPvRmT1_PNSt15iterator_traitsIS12_E10value_typeET2_T3_PNS13_IS18_E10value_typeET4_jRbjT5_S1E_jjP12ihipStream_tbEUljE_ZNSN_ISO_Lb0ESQ_SR_ST_SU_SY_EESZ_S10_S11_S12_S16_S17_S18_S1B_S1C_jS1D_jS1E_S1E_jjS1G_bEUljE0_EEESZ_S10_S11_S18_S1C_S1E_T6_T7_T9_mT8_S1G_bDpT10_ENKUlT_T0_E_clISt17integral_constantIbLb1EES1U_EEDaS1P_S1Q_EUlS1P_E_NS1_11comp_targetILNS1_3genE2ELNS1_11target_archE906ELNS1_3gpuE6ELNS1_3repE0EEENS1_30default_config_static_selectorELNS0_4arch9wavefront6targetE0EEEvS12_
    .private_segment_fixed_size: 0
    .sgpr_count:     0
    .sgpr_spill_count: 0
    .symbol:         _ZN7rocprim17ROCPRIM_400000_NS6detail17trampoline_kernelINS0_13select_configILj256ELj13ELNS0_17block_load_methodE3ELS4_3ELS4_3ELNS0_20block_scan_algorithmE0ELj4294967295EEENS1_25partition_config_selectorILNS1_17partition_subalgoE4EjNS0_10empty_typeEbEEZZNS1_14partition_implILS8_4ELb0ES6_15HIP_vector_typeIjLj2EENS0_17counting_iteratorIjlEEPS9_SG_NS0_5tupleIJPjSI_NS0_16reverse_iteratorISI_EEEEENSH_IJSG_SG_SG_EEES9_SI_JZNS1_25segmented_radix_sort_implINS0_14default_configELb0EPKdPdPKlPlN2at6native12_GLOBAL__N_18offset_tEEE10hipError_tPvRmT1_PNSt15iterator_traitsIS12_E10value_typeET2_T3_PNS13_IS18_E10value_typeET4_jRbjT5_S1E_jjP12ihipStream_tbEUljE_ZNSN_ISO_Lb0ESQ_SR_ST_SU_SY_EESZ_S10_S11_S12_S16_S17_S18_S1B_S1C_jS1D_jS1E_S1E_jjS1G_bEUljE0_EEESZ_S10_S11_S18_S1C_S1E_T6_T7_T9_mT8_S1G_bDpT10_ENKUlT_T0_E_clISt17integral_constantIbLb1EES1U_EEDaS1P_S1Q_EUlS1P_E_NS1_11comp_targetILNS1_3genE2ELNS1_11target_archE906ELNS1_3gpuE6ELNS1_3repE0EEENS1_30default_config_static_selectorELNS0_4arch9wavefront6targetE0EEEvS12_.kd
    .uniform_work_group_size: 1
    .uses_dynamic_stack: false
    .vgpr_count:     0
    .vgpr_spill_count: 0
    .wavefront_size: 32
    .workgroup_processor_mode: 1
  - .args:
      - .offset:         0
        .size:           184
        .value_kind:     by_value
    .group_segment_fixed_size: 0
    .kernarg_segment_align: 8
    .kernarg_segment_size: 184
    .language:       OpenCL C
    .language_version:
      - 2
      - 0
    .max_flat_workgroup_size: 256
    .name:           _ZN7rocprim17ROCPRIM_400000_NS6detail17trampoline_kernelINS0_13select_configILj256ELj13ELNS0_17block_load_methodE3ELS4_3ELS4_3ELNS0_20block_scan_algorithmE0ELj4294967295EEENS1_25partition_config_selectorILNS1_17partition_subalgoE4EjNS0_10empty_typeEbEEZZNS1_14partition_implILS8_4ELb0ES6_15HIP_vector_typeIjLj2EENS0_17counting_iteratorIjlEEPS9_SG_NS0_5tupleIJPjSI_NS0_16reverse_iteratorISI_EEEEENSH_IJSG_SG_SG_EEES9_SI_JZNS1_25segmented_radix_sort_implINS0_14default_configELb0EPKdPdPKlPlN2at6native12_GLOBAL__N_18offset_tEEE10hipError_tPvRmT1_PNSt15iterator_traitsIS12_E10value_typeET2_T3_PNS13_IS18_E10value_typeET4_jRbjT5_S1E_jjP12ihipStream_tbEUljE_ZNSN_ISO_Lb0ESQ_SR_ST_SU_SY_EESZ_S10_S11_S12_S16_S17_S18_S1B_S1C_jS1D_jS1E_S1E_jjS1G_bEUljE0_EEESZ_S10_S11_S18_S1C_S1E_T6_T7_T9_mT8_S1G_bDpT10_ENKUlT_T0_E_clISt17integral_constantIbLb1EES1U_EEDaS1P_S1Q_EUlS1P_E_NS1_11comp_targetILNS1_3genE10ELNS1_11target_archE1200ELNS1_3gpuE4ELNS1_3repE0EEENS1_30default_config_static_selectorELNS0_4arch9wavefront6targetE0EEEvS12_
    .private_segment_fixed_size: 0
    .sgpr_count:     0
    .sgpr_spill_count: 0
    .symbol:         _ZN7rocprim17ROCPRIM_400000_NS6detail17trampoline_kernelINS0_13select_configILj256ELj13ELNS0_17block_load_methodE3ELS4_3ELS4_3ELNS0_20block_scan_algorithmE0ELj4294967295EEENS1_25partition_config_selectorILNS1_17partition_subalgoE4EjNS0_10empty_typeEbEEZZNS1_14partition_implILS8_4ELb0ES6_15HIP_vector_typeIjLj2EENS0_17counting_iteratorIjlEEPS9_SG_NS0_5tupleIJPjSI_NS0_16reverse_iteratorISI_EEEEENSH_IJSG_SG_SG_EEES9_SI_JZNS1_25segmented_radix_sort_implINS0_14default_configELb0EPKdPdPKlPlN2at6native12_GLOBAL__N_18offset_tEEE10hipError_tPvRmT1_PNSt15iterator_traitsIS12_E10value_typeET2_T3_PNS13_IS18_E10value_typeET4_jRbjT5_S1E_jjP12ihipStream_tbEUljE_ZNSN_ISO_Lb0ESQ_SR_ST_SU_SY_EESZ_S10_S11_S12_S16_S17_S18_S1B_S1C_jS1D_jS1E_S1E_jjS1G_bEUljE0_EEESZ_S10_S11_S18_S1C_S1E_T6_T7_T9_mT8_S1G_bDpT10_ENKUlT_T0_E_clISt17integral_constantIbLb1EES1U_EEDaS1P_S1Q_EUlS1P_E_NS1_11comp_targetILNS1_3genE10ELNS1_11target_archE1200ELNS1_3gpuE4ELNS1_3repE0EEENS1_30default_config_static_selectorELNS0_4arch9wavefront6targetE0EEEvS12_.kd
    .uniform_work_group_size: 1
    .uses_dynamic_stack: false
    .vgpr_count:     0
    .vgpr_spill_count: 0
    .wavefront_size: 32
    .workgroup_processor_mode: 1
  - .args:
      - .offset:         0
        .size:           184
        .value_kind:     by_value
    .group_segment_fixed_size: 0
    .kernarg_segment_align: 8
    .kernarg_segment_size: 184
    .language:       OpenCL C
    .language_version:
      - 2
      - 0
    .max_flat_workgroup_size: 256
    .name:           _ZN7rocprim17ROCPRIM_400000_NS6detail17trampoline_kernelINS0_13select_configILj256ELj13ELNS0_17block_load_methodE3ELS4_3ELS4_3ELNS0_20block_scan_algorithmE0ELj4294967295EEENS1_25partition_config_selectorILNS1_17partition_subalgoE4EjNS0_10empty_typeEbEEZZNS1_14partition_implILS8_4ELb0ES6_15HIP_vector_typeIjLj2EENS0_17counting_iteratorIjlEEPS9_SG_NS0_5tupleIJPjSI_NS0_16reverse_iteratorISI_EEEEENSH_IJSG_SG_SG_EEES9_SI_JZNS1_25segmented_radix_sort_implINS0_14default_configELb0EPKdPdPKlPlN2at6native12_GLOBAL__N_18offset_tEEE10hipError_tPvRmT1_PNSt15iterator_traitsIS12_E10value_typeET2_T3_PNS13_IS18_E10value_typeET4_jRbjT5_S1E_jjP12ihipStream_tbEUljE_ZNSN_ISO_Lb0ESQ_SR_ST_SU_SY_EESZ_S10_S11_S12_S16_S17_S18_S1B_S1C_jS1D_jS1E_S1E_jjS1G_bEUljE0_EEESZ_S10_S11_S18_S1C_S1E_T6_T7_T9_mT8_S1G_bDpT10_ENKUlT_T0_E_clISt17integral_constantIbLb1EES1U_EEDaS1P_S1Q_EUlS1P_E_NS1_11comp_targetILNS1_3genE9ELNS1_11target_archE1100ELNS1_3gpuE3ELNS1_3repE0EEENS1_30default_config_static_selectorELNS0_4arch9wavefront6targetE0EEEvS12_
    .private_segment_fixed_size: 0
    .sgpr_count:     0
    .sgpr_spill_count: 0
    .symbol:         _ZN7rocprim17ROCPRIM_400000_NS6detail17trampoline_kernelINS0_13select_configILj256ELj13ELNS0_17block_load_methodE3ELS4_3ELS4_3ELNS0_20block_scan_algorithmE0ELj4294967295EEENS1_25partition_config_selectorILNS1_17partition_subalgoE4EjNS0_10empty_typeEbEEZZNS1_14partition_implILS8_4ELb0ES6_15HIP_vector_typeIjLj2EENS0_17counting_iteratorIjlEEPS9_SG_NS0_5tupleIJPjSI_NS0_16reverse_iteratorISI_EEEEENSH_IJSG_SG_SG_EEES9_SI_JZNS1_25segmented_radix_sort_implINS0_14default_configELb0EPKdPdPKlPlN2at6native12_GLOBAL__N_18offset_tEEE10hipError_tPvRmT1_PNSt15iterator_traitsIS12_E10value_typeET2_T3_PNS13_IS18_E10value_typeET4_jRbjT5_S1E_jjP12ihipStream_tbEUljE_ZNSN_ISO_Lb0ESQ_SR_ST_SU_SY_EESZ_S10_S11_S12_S16_S17_S18_S1B_S1C_jS1D_jS1E_S1E_jjS1G_bEUljE0_EEESZ_S10_S11_S18_S1C_S1E_T6_T7_T9_mT8_S1G_bDpT10_ENKUlT_T0_E_clISt17integral_constantIbLb1EES1U_EEDaS1P_S1Q_EUlS1P_E_NS1_11comp_targetILNS1_3genE9ELNS1_11target_archE1100ELNS1_3gpuE3ELNS1_3repE0EEENS1_30default_config_static_selectorELNS0_4arch9wavefront6targetE0EEEvS12_.kd
    .uniform_work_group_size: 1
    .uses_dynamic_stack: false
    .vgpr_count:     0
    .vgpr_spill_count: 0
    .wavefront_size: 32
    .workgroup_processor_mode: 1
  - .args:
      - .offset:         0
        .size:           184
        .value_kind:     by_value
    .group_segment_fixed_size: 0
    .kernarg_segment_align: 8
    .kernarg_segment_size: 184
    .language:       OpenCL C
    .language_version:
      - 2
      - 0
    .max_flat_workgroup_size: 256
    .name:           _ZN7rocprim17ROCPRIM_400000_NS6detail17trampoline_kernelINS0_13select_configILj256ELj13ELNS0_17block_load_methodE3ELS4_3ELS4_3ELNS0_20block_scan_algorithmE0ELj4294967295EEENS1_25partition_config_selectorILNS1_17partition_subalgoE4EjNS0_10empty_typeEbEEZZNS1_14partition_implILS8_4ELb0ES6_15HIP_vector_typeIjLj2EENS0_17counting_iteratorIjlEEPS9_SG_NS0_5tupleIJPjSI_NS0_16reverse_iteratorISI_EEEEENSH_IJSG_SG_SG_EEES9_SI_JZNS1_25segmented_radix_sort_implINS0_14default_configELb0EPKdPdPKlPlN2at6native12_GLOBAL__N_18offset_tEEE10hipError_tPvRmT1_PNSt15iterator_traitsIS12_E10value_typeET2_T3_PNS13_IS18_E10value_typeET4_jRbjT5_S1E_jjP12ihipStream_tbEUljE_ZNSN_ISO_Lb0ESQ_SR_ST_SU_SY_EESZ_S10_S11_S12_S16_S17_S18_S1B_S1C_jS1D_jS1E_S1E_jjS1G_bEUljE0_EEESZ_S10_S11_S18_S1C_S1E_T6_T7_T9_mT8_S1G_bDpT10_ENKUlT_T0_E_clISt17integral_constantIbLb1EES1U_EEDaS1P_S1Q_EUlS1P_E_NS1_11comp_targetILNS1_3genE8ELNS1_11target_archE1030ELNS1_3gpuE2ELNS1_3repE0EEENS1_30default_config_static_selectorELNS0_4arch9wavefront6targetE0EEEvS12_
    .private_segment_fixed_size: 0
    .sgpr_count:     0
    .sgpr_spill_count: 0
    .symbol:         _ZN7rocprim17ROCPRIM_400000_NS6detail17trampoline_kernelINS0_13select_configILj256ELj13ELNS0_17block_load_methodE3ELS4_3ELS4_3ELNS0_20block_scan_algorithmE0ELj4294967295EEENS1_25partition_config_selectorILNS1_17partition_subalgoE4EjNS0_10empty_typeEbEEZZNS1_14partition_implILS8_4ELb0ES6_15HIP_vector_typeIjLj2EENS0_17counting_iteratorIjlEEPS9_SG_NS0_5tupleIJPjSI_NS0_16reverse_iteratorISI_EEEEENSH_IJSG_SG_SG_EEES9_SI_JZNS1_25segmented_radix_sort_implINS0_14default_configELb0EPKdPdPKlPlN2at6native12_GLOBAL__N_18offset_tEEE10hipError_tPvRmT1_PNSt15iterator_traitsIS12_E10value_typeET2_T3_PNS13_IS18_E10value_typeET4_jRbjT5_S1E_jjP12ihipStream_tbEUljE_ZNSN_ISO_Lb0ESQ_SR_ST_SU_SY_EESZ_S10_S11_S12_S16_S17_S18_S1B_S1C_jS1D_jS1E_S1E_jjS1G_bEUljE0_EEESZ_S10_S11_S18_S1C_S1E_T6_T7_T9_mT8_S1G_bDpT10_ENKUlT_T0_E_clISt17integral_constantIbLb1EES1U_EEDaS1P_S1Q_EUlS1P_E_NS1_11comp_targetILNS1_3genE8ELNS1_11target_archE1030ELNS1_3gpuE2ELNS1_3repE0EEENS1_30default_config_static_selectorELNS0_4arch9wavefront6targetE0EEEvS12_.kd
    .uniform_work_group_size: 1
    .uses_dynamic_stack: false
    .vgpr_count:     0
    .vgpr_spill_count: 0
    .wavefront_size: 32
    .workgroup_processor_mode: 1
  - .args:
      - .offset:         0
        .size:           176
        .value_kind:     by_value
    .group_segment_fixed_size: 0
    .kernarg_segment_align: 8
    .kernarg_segment_size: 176
    .language:       OpenCL C
    .language_version:
      - 2
      - 0
    .max_flat_workgroup_size: 256
    .name:           _ZN7rocprim17ROCPRIM_400000_NS6detail17trampoline_kernelINS0_13select_configILj256ELj13ELNS0_17block_load_methodE3ELS4_3ELS4_3ELNS0_20block_scan_algorithmE0ELj4294967295EEENS1_25partition_config_selectorILNS1_17partition_subalgoE4EjNS0_10empty_typeEbEEZZNS1_14partition_implILS8_4ELb0ES6_15HIP_vector_typeIjLj2EENS0_17counting_iteratorIjlEEPS9_SG_NS0_5tupleIJPjSI_NS0_16reverse_iteratorISI_EEEEENSH_IJSG_SG_SG_EEES9_SI_JZNS1_25segmented_radix_sort_implINS0_14default_configELb0EPKdPdPKlPlN2at6native12_GLOBAL__N_18offset_tEEE10hipError_tPvRmT1_PNSt15iterator_traitsIS12_E10value_typeET2_T3_PNS13_IS18_E10value_typeET4_jRbjT5_S1E_jjP12ihipStream_tbEUljE_ZNSN_ISO_Lb0ESQ_SR_ST_SU_SY_EESZ_S10_S11_S12_S16_S17_S18_S1B_S1C_jS1D_jS1E_S1E_jjS1G_bEUljE0_EEESZ_S10_S11_S18_S1C_S1E_T6_T7_T9_mT8_S1G_bDpT10_ENKUlT_T0_E_clISt17integral_constantIbLb1EES1T_IbLb0EEEEDaS1P_S1Q_EUlS1P_E_NS1_11comp_targetILNS1_3genE0ELNS1_11target_archE4294967295ELNS1_3gpuE0ELNS1_3repE0EEENS1_30default_config_static_selectorELNS0_4arch9wavefront6targetE0EEEvS12_
    .private_segment_fixed_size: 0
    .sgpr_count:     0
    .sgpr_spill_count: 0
    .symbol:         _ZN7rocprim17ROCPRIM_400000_NS6detail17trampoline_kernelINS0_13select_configILj256ELj13ELNS0_17block_load_methodE3ELS4_3ELS4_3ELNS0_20block_scan_algorithmE0ELj4294967295EEENS1_25partition_config_selectorILNS1_17partition_subalgoE4EjNS0_10empty_typeEbEEZZNS1_14partition_implILS8_4ELb0ES6_15HIP_vector_typeIjLj2EENS0_17counting_iteratorIjlEEPS9_SG_NS0_5tupleIJPjSI_NS0_16reverse_iteratorISI_EEEEENSH_IJSG_SG_SG_EEES9_SI_JZNS1_25segmented_radix_sort_implINS0_14default_configELb0EPKdPdPKlPlN2at6native12_GLOBAL__N_18offset_tEEE10hipError_tPvRmT1_PNSt15iterator_traitsIS12_E10value_typeET2_T3_PNS13_IS18_E10value_typeET4_jRbjT5_S1E_jjP12ihipStream_tbEUljE_ZNSN_ISO_Lb0ESQ_SR_ST_SU_SY_EESZ_S10_S11_S12_S16_S17_S18_S1B_S1C_jS1D_jS1E_S1E_jjS1G_bEUljE0_EEESZ_S10_S11_S18_S1C_S1E_T6_T7_T9_mT8_S1G_bDpT10_ENKUlT_T0_E_clISt17integral_constantIbLb1EES1T_IbLb0EEEEDaS1P_S1Q_EUlS1P_E_NS1_11comp_targetILNS1_3genE0ELNS1_11target_archE4294967295ELNS1_3gpuE0ELNS1_3repE0EEENS1_30default_config_static_selectorELNS0_4arch9wavefront6targetE0EEEvS12_.kd
    .uniform_work_group_size: 1
    .uses_dynamic_stack: false
    .vgpr_count:     0
    .vgpr_spill_count: 0
    .wavefront_size: 32
    .workgroup_processor_mode: 1
  - .args:
      - .offset:         0
        .size:           176
        .value_kind:     by_value
    .group_segment_fixed_size: 0
    .kernarg_segment_align: 8
    .kernarg_segment_size: 176
    .language:       OpenCL C
    .language_version:
      - 2
      - 0
    .max_flat_workgroup_size: 256
    .name:           _ZN7rocprim17ROCPRIM_400000_NS6detail17trampoline_kernelINS0_13select_configILj256ELj13ELNS0_17block_load_methodE3ELS4_3ELS4_3ELNS0_20block_scan_algorithmE0ELj4294967295EEENS1_25partition_config_selectorILNS1_17partition_subalgoE4EjNS0_10empty_typeEbEEZZNS1_14partition_implILS8_4ELb0ES6_15HIP_vector_typeIjLj2EENS0_17counting_iteratorIjlEEPS9_SG_NS0_5tupleIJPjSI_NS0_16reverse_iteratorISI_EEEEENSH_IJSG_SG_SG_EEES9_SI_JZNS1_25segmented_radix_sort_implINS0_14default_configELb0EPKdPdPKlPlN2at6native12_GLOBAL__N_18offset_tEEE10hipError_tPvRmT1_PNSt15iterator_traitsIS12_E10value_typeET2_T3_PNS13_IS18_E10value_typeET4_jRbjT5_S1E_jjP12ihipStream_tbEUljE_ZNSN_ISO_Lb0ESQ_SR_ST_SU_SY_EESZ_S10_S11_S12_S16_S17_S18_S1B_S1C_jS1D_jS1E_S1E_jjS1G_bEUljE0_EEESZ_S10_S11_S18_S1C_S1E_T6_T7_T9_mT8_S1G_bDpT10_ENKUlT_T0_E_clISt17integral_constantIbLb1EES1T_IbLb0EEEEDaS1P_S1Q_EUlS1P_E_NS1_11comp_targetILNS1_3genE5ELNS1_11target_archE942ELNS1_3gpuE9ELNS1_3repE0EEENS1_30default_config_static_selectorELNS0_4arch9wavefront6targetE0EEEvS12_
    .private_segment_fixed_size: 0
    .sgpr_count:     0
    .sgpr_spill_count: 0
    .symbol:         _ZN7rocprim17ROCPRIM_400000_NS6detail17trampoline_kernelINS0_13select_configILj256ELj13ELNS0_17block_load_methodE3ELS4_3ELS4_3ELNS0_20block_scan_algorithmE0ELj4294967295EEENS1_25partition_config_selectorILNS1_17partition_subalgoE4EjNS0_10empty_typeEbEEZZNS1_14partition_implILS8_4ELb0ES6_15HIP_vector_typeIjLj2EENS0_17counting_iteratorIjlEEPS9_SG_NS0_5tupleIJPjSI_NS0_16reverse_iteratorISI_EEEEENSH_IJSG_SG_SG_EEES9_SI_JZNS1_25segmented_radix_sort_implINS0_14default_configELb0EPKdPdPKlPlN2at6native12_GLOBAL__N_18offset_tEEE10hipError_tPvRmT1_PNSt15iterator_traitsIS12_E10value_typeET2_T3_PNS13_IS18_E10value_typeET4_jRbjT5_S1E_jjP12ihipStream_tbEUljE_ZNSN_ISO_Lb0ESQ_SR_ST_SU_SY_EESZ_S10_S11_S12_S16_S17_S18_S1B_S1C_jS1D_jS1E_S1E_jjS1G_bEUljE0_EEESZ_S10_S11_S18_S1C_S1E_T6_T7_T9_mT8_S1G_bDpT10_ENKUlT_T0_E_clISt17integral_constantIbLb1EES1T_IbLb0EEEEDaS1P_S1Q_EUlS1P_E_NS1_11comp_targetILNS1_3genE5ELNS1_11target_archE942ELNS1_3gpuE9ELNS1_3repE0EEENS1_30default_config_static_selectorELNS0_4arch9wavefront6targetE0EEEvS12_.kd
    .uniform_work_group_size: 1
    .uses_dynamic_stack: false
    .vgpr_count:     0
    .vgpr_spill_count: 0
    .wavefront_size: 32
    .workgroup_processor_mode: 1
  - .args:
      - .offset:         0
        .size:           176
        .value_kind:     by_value
    .group_segment_fixed_size: 0
    .kernarg_segment_align: 8
    .kernarg_segment_size: 176
    .language:       OpenCL C
    .language_version:
      - 2
      - 0
    .max_flat_workgroup_size: 256
    .name:           _ZN7rocprim17ROCPRIM_400000_NS6detail17trampoline_kernelINS0_13select_configILj256ELj13ELNS0_17block_load_methodE3ELS4_3ELS4_3ELNS0_20block_scan_algorithmE0ELj4294967295EEENS1_25partition_config_selectorILNS1_17partition_subalgoE4EjNS0_10empty_typeEbEEZZNS1_14partition_implILS8_4ELb0ES6_15HIP_vector_typeIjLj2EENS0_17counting_iteratorIjlEEPS9_SG_NS0_5tupleIJPjSI_NS0_16reverse_iteratorISI_EEEEENSH_IJSG_SG_SG_EEES9_SI_JZNS1_25segmented_radix_sort_implINS0_14default_configELb0EPKdPdPKlPlN2at6native12_GLOBAL__N_18offset_tEEE10hipError_tPvRmT1_PNSt15iterator_traitsIS12_E10value_typeET2_T3_PNS13_IS18_E10value_typeET4_jRbjT5_S1E_jjP12ihipStream_tbEUljE_ZNSN_ISO_Lb0ESQ_SR_ST_SU_SY_EESZ_S10_S11_S12_S16_S17_S18_S1B_S1C_jS1D_jS1E_S1E_jjS1G_bEUljE0_EEESZ_S10_S11_S18_S1C_S1E_T6_T7_T9_mT8_S1G_bDpT10_ENKUlT_T0_E_clISt17integral_constantIbLb1EES1T_IbLb0EEEEDaS1P_S1Q_EUlS1P_E_NS1_11comp_targetILNS1_3genE4ELNS1_11target_archE910ELNS1_3gpuE8ELNS1_3repE0EEENS1_30default_config_static_selectorELNS0_4arch9wavefront6targetE0EEEvS12_
    .private_segment_fixed_size: 0
    .sgpr_count:     0
    .sgpr_spill_count: 0
    .symbol:         _ZN7rocprim17ROCPRIM_400000_NS6detail17trampoline_kernelINS0_13select_configILj256ELj13ELNS0_17block_load_methodE3ELS4_3ELS4_3ELNS0_20block_scan_algorithmE0ELj4294967295EEENS1_25partition_config_selectorILNS1_17partition_subalgoE4EjNS0_10empty_typeEbEEZZNS1_14partition_implILS8_4ELb0ES6_15HIP_vector_typeIjLj2EENS0_17counting_iteratorIjlEEPS9_SG_NS0_5tupleIJPjSI_NS0_16reverse_iteratorISI_EEEEENSH_IJSG_SG_SG_EEES9_SI_JZNS1_25segmented_radix_sort_implINS0_14default_configELb0EPKdPdPKlPlN2at6native12_GLOBAL__N_18offset_tEEE10hipError_tPvRmT1_PNSt15iterator_traitsIS12_E10value_typeET2_T3_PNS13_IS18_E10value_typeET4_jRbjT5_S1E_jjP12ihipStream_tbEUljE_ZNSN_ISO_Lb0ESQ_SR_ST_SU_SY_EESZ_S10_S11_S12_S16_S17_S18_S1B_S1C_jS1D_jS1E_S1E_jjS1G_bEUljE0_EEESZ_S10_S11_S18_S1C_S1E_T6_T7_T9_mT8_S1G_bDpT10_ENKUlT_T0_E_clISt17integral_constantIbLb1EES1T_IbLb0EEEEDaS1P_S1Q_EUlS1P_E_NS1_11comp_targetILNS1_3genE4ELNS1_11target_archE910ELNS1_3gpuE8ELNS1_3repE0EEENS1_30default_config_static_selectorELNS0_4arch9wavefront6targetE0EEEvS12_.kd
    .uniform_work_group_size: 1
    .uses_dynamic_stack: false
    .vgpr_count:     0
    .vgpr_spill_count: 0
    .wavefront_size: 32
    .workgroup_processor_mode: 1
  - .args:
      - .offset:         0
        .size:           176
        .value_kind:     by_value
    .group_segment_fixed_size: 0
    .kernarg_segment_align: 8
    .kernarg_segment_size: 176
    .language:       OpenCL C
    .language_version:
      - 2
      - 0
    .max_flat_workgroup_size: 256
    .name:           _ZN7rocprim17ROCPRIM_400000_NS6detail17trampoline_kernelINS0_13select_configILj256ELj13ELNS0_17block_load_methodE3ELS4_3ELS4_3ELNS0_20block_scan_algorithmE0ELj4294967295EEENS1_25partition_config_selectorILNS1_17partition_subalgoE4EjNS0_10empty_typeEbEEZZNS1_14partition_implILS8_4ELb0ES6_15HIP_vector_typeIjLj2EENS0_17counting_iteratorIjlEEPS9_SG_NS0_5tupleIJPjSI_NS0_16reverse_iteratorISI_EEEEENSH_IJSG_SG_SG_EEES9_SI_JZNS1_25segmented_radix_sort_implINS0_14default_configELb0EPKdPdPKlPlN2at6native12_GLOBAL__N_18offset_tEEE10hipError_tPvRmT1_PNSt15iterator_traitsIS12_E10value_typeET2_T3_PNS13_IS18_E10value_typeET4_jRbjT5_S1E_jjP12ihipStream_tbEUljE_ZNSN_ISO_Lb0ESQ_SR_ST_SU_SY_EESZ_S10_S11_S12_S16_S17_S18_S1B_S1C_jS1D_jS1E_S1E_jjS1G_bEUljE0_EEESZ_S10_S11_S18_S1C_S1E_T6_T7_T9_mT8_S1G_bDpT10_ENKUlT_T0_E_clISt17integral_constantIbLb1EES1T_IbLb0EEEEDaS1P_S1Q_EUlS1P_E_NS1_11comp_targetILNS1_3genE3ELNS1_11target_archE908ELNS1_3gpuE7ELNS1_3repE0EEENS1_30default_config_static_selectorELNS0_4arch9wavefront6targetE0EEEvS12_
    .private_segment_fixed_size: 0
    .sgpr_count:     0
    .sgpr_spill_count: 0
    .symbol:         _ZN7rocprim17ROCPRIM_400000_NS6detail17trampoline_kernelINS0_13select_configILj256ELj13ELNS0_17block_load_methodE3ELS4_3ELS4_3ELNS0_20block_scan_algorithmE0ELj4294967295EEENS1_25partition_config_selectorILNS1_17partition_subalgoE4EjNS0_10empty_typeEbEEZZNS1_14partition_implILS8_4ELb0ES6_15HIP_vector_typeIjLj2EENS0_17counting_iteratorIjlEEPS9_SG_NS0_5tupleIJPjSI_NS0_16reverse_iteratorISI_EEEEENSH_IJSG_SG_SG_EEES9_SI_JZNS1_25segmented_radix_sort_implINS0_14default_configELb0EPKdPdPKlPlN2at6native12_GLOBAL__N_18offset_tEEE10hipError_tPvRmT1_PNSt15iterator_traitsIS12_E10value_typeET2_T3_PNS13_IS18_E10value_typeET4_jRbjT5_S1E_jjP12ihipStream_tbEUljE_ZNSN_ISO_Lb0ESQ_SR_ST_SU_SY_EESZ_S10_S11_S12_S16_S17_S18_S1B_S1C_jS1D_jS1E_S1E_jjS1G_bEUljE0_EEESZ_S10_S11_S18_S1C_S1E_T6_T7_T9_mT8_S1G_bDpT10_ENKUlT_T0_E_clISt17integral_constantIbLb1EES1T_IbLb0EEEEDaS1P_S1Q_EUlS1P_E_NS1_11comp_targetILNS1_3genE3ELNS1_11target_archE908ELNS1_3gpuE7ELNS1_3repE0EEENS1_30default_config_static_selectorELNS0_4arch9wavefront6targetE0EEEvS12_.kd
    .uniform_work_group_size: 1
    .uses_dynamic_stack: false
    .vgpr_count:     0
    .vgpr_spill_count: 0
    .wavefront_size: 32
    .workgroup_processor_mode: 1
  - .args:
      - .offset:         0
        .size:           176
        .value_kind:     by_value
    .group_segment_fixed_size: 0
    .kernarg_segment_align: 8
    .kernarg_segment_size: 176
    .language:       OpenCL C
    .language_version:
      - 2
      - 0
    .max_flat_workgroup_size: 256
    .name:           _ZN7rocprim17ROCPRIM_400000_NS6detail17trampoline_kernelINS0_13select_configILj256ELj13ELNS0_17block_load_methodE3ELS4_3ELS4_3ELNS0_20block_scan_algorithmE0ELj4294967295EEENS1_25partition_config_selectorILNS1_17partition_subalgoE4EjNS0_10empty_typeEbEEZZNS1_14partition_implILS8_4ELb0ES6_15HIP_vector_typeIjLj2EENS0_17counting_iteratorIjlEEPS9_SG_NS0_5tupleIJPjSI_NS0_16reverse_iteratorISI_EEEEENSH_IJSG_SG_SG_EEES9_SI_JZNS1_25segmented_radix_sort_implINS0_14default_configELb0EPKdPdPKlPlN2at6native12_GLOBAL__N_18offset_tEEE10hipError_tPvRmT1_PNSt15iterator_traitsIS12_E10value_typeET2_T3_PNS13_IS18_E10value_typeET4_jRbjT5_S1E_jjP12ihipStream_tbEUljE_ZNSN_ISO_Lb0ESQ_SR_ST_SU_SY_EESZ_S10_S11_S12_S16_S17_S18_S1B_S1C_jS1D_jS1E_S1E_jjS1G_bEUljE0_EEESZ_S10_S11_S18_S1C_S1E_T6_T7_T9_mT8_S1G_bDpT10_ENKUlT_T0_E_clISt17integral_constantIbLb1EES1T_IbLb0EEEEDaS1P_S1Q_EUlS1P_E_NS1_11comp_targetILNS1_3genE2ELNS1_11target_archE906ELNS1_3gpuE6ELNS1_3repE0EEENS1_30default_config_static_selectorELNS0_4arch9wavefront6targetE0EEEvS12_
    .private_segment_fixed_size: 0
    .sgpr_count:     0
    .sgpr_spill_count: 0
    .symbol:         _ZN7rocprim17ROCPRIM_400000_NS6detail17trampoline_kernelINS0_13select_configILj256ELj13ELNS0_17block_load_methodE3ELS4_3ELS4_3ELNS0_20block_scan_algorithmE0ELj4294967295EEENS1_25partition_config_selectorILNS1_17partition_subalgoE4EjNS0_10empty_typeEbEEZZNS1_14partition_implILS8_4ELb0ES6_15HIP_vector_typeIjLj2EENS0_17counting_iteratorIjlEEPS9_SG_NS0_5tupleIJPjSI_NS0_16reverse_iteratorISI_EEEEENSH_IJSG_SG_SG_EEES9_SI_JZNS1_25segmented_radix_sort_implINS0_14default_configELb0EPKdPdPKlPlN2at6native12_GLOBAL__N_18offset_tEEE10hipError_tPvRmT1_PNSt15iterator_traitsIS12_E10value_typeET2_T3_PNS13_IS18_E10value_typeET4_jRbjT5_S1E_jjP12ihipStream_tbEUljE_ZNSN_ISO_Lb0ESQ_SR_ST_SU_SY_EESZ_S10_S11_S12_S16_S17_S18_S1B_S1C_jS1D_jS1E_S1E_jjS1G_bEUljE0_EEESZ_S10_S11_S18_S1C_S1E_T6_T7_T9_mT8_S1G_bDpT10_ENKUlT_T0_E_clISt17integral_constantIbLb1EES1T_IbLb0EEEEDaS1P_S1Q_EUlS1P_E_NS1_11comp_targetILNS1_3genE2ELNS1_11target_archE906ELNS1_3gpuE6ELNS1_3repE0EEENS1_30default_config_static_selectorELNS0_4arch9wavefront6targetE0EEEvS12_.kd
    .uniform_work_group_size: 1
    .uses_dynamic_stack: false
    .vgpr_count:     0
    .vgpr_spill_count: 0
    .wavefront_size: 32
    .workgroup_processor_mode: 1
  - .args:
      - .offset:         0
        .size:           176
        .value_kind:     by_value
    .group_segment_fixed_size: 0
    .kernarg_segment_align: 8
    .kernarg_segment_size: 176
    .language:       OpenCL C
    .language_version:
      - 2
      - 0
    .max_flat_workgroup_size: 256
    .name:           _ZN7rocprim17ROCPRIM_400000_NS6detail17trampoline_kernelINS0_13select_configILj256ELj13ELNS0_17block_load_methodE3ELS4_3ELS4_3ELNS0_20block_scan_algorithmE0ELj4294967295EEENS1_25partition_config_selectorILNS1_17partition_subalgoE4EjNS0_10empty_typeEbEEZZNS1_14partition_implILS8_4ELb0ES6_15HIP_vector_typeIjLj2EENS0_17counting_iteratorIjlEEPS9_SG_NS0_5tupleIJPjSI_NS0_16reverse_iteratorISI_EEEEENSH_IJSG_SG_SG_EEES9_SI_JZNS1_25segmented_radix_sort_implINS0_14default_configELb0EPKdPdPKlPlN2at6native12_GLOBAL__N_18offset_tEEE10hipError_tPvRmT1_PNSt15iterator_traitsIS12_E10value_typeET2_T3_PNS13_IS18_E10value_typeET4_jRbjT5_S1E_jjP12ihipStream_tbEUljE_ZNSN_ISO_Lb0ESQ_SR_ST_SU_SY_EESZ_S10_S11_S12_S16_S17_S18_S1B_S1C_jS1D_jS1E_S1E_jjS1G_bEUljE0_EEESZ_S10_S11_S18_S1C_S1E_T6_T7_T9_mT8_S1G_bDpT10_ENKUlT_T0_E_clISt17integral_constantIbLb1EES1T_IbLb0EEEEDaS1P_S1Q_EUlS1P_E_NS1_11comp_targetILNS1_3genE10ELNS1_11target_archE1200ELNS1_3gpuE4ELNS1_3repE0EEENS1_30default_config_static_selectorELNS0_4arch9wavefront6targetE0EEEvS12_
    .private_segment_fixed_size: 0
    .sgpr_count:     0
    .sgpr_spill_count: 0
    .symbol:         _ZN7rocprim17ROCPRIM_400000_NS6detail17trampoline_kernelINS0_13select_configILj256ELj13ELNS0_17block_load_methodE3ELS4_3ELS4_3ELNS0_20block_scan_algorithmE0ELj4294967295EEENS1_25partition_config_selectorILNS1_17partition_subalgoE4EjNS0_10empty_typeEbEEZZNS1_14partition_implILS8_4ELb0ES6_15HIP_vector_typeIjLj2EENS0_17counting_iteratorIjlEEPS9_SG_NS0_5tupleIJPjSI_NS0_16reverse_iteratorISI_EEEEENSH_IJSG_SG_SG_EEES9_SI_JZNS1_25segmented_radix_sort_implINS0_14default_configELb0EPKdPdPKlPlN2at6native12_GLOBAL__N_18offset_tEEE10hipError_tPvRmT1_PNSt15iterator_traitsIS12_E10value_typeET2_T3_PNS13_IS18_E10value_typeET4_jRbjT5_S1E_jjP12ihipStream_tbEUljE_ZNSN_ISO_Lb0ESQ_SR_ST_SU_SY_EESZ_S10_S11_S12_S16_S17_S18_S1B_S1C_jS1D_jS1E_S1E_jjS1G_bEUljE0_EEESZ_S10_S11_S18_S1C_S1E_T6_T7_T9_mT8_S1G_bDpT10_ENKUlT_T0_E_clISt17integral_constantIbLb1EES1T_IbLb0EEEEDaS1P_S1Q_EUlS1P_E_NS1_11comp_targetILNS1_3genE10ELNS1_11target_archE1200ELNS1_3gpuE4ELNS1_3repE0EEENS1_30default_config_static_selectorELNS0_4arch9wavefront6targetE0EEEvS12_.kd
    .uniform_work_group_size: 1
    .uses_dynamic_stack: false
    .vgpr_count:     0
    .vgpr_spill_count: 0
    .wavefront_size: 32
    .workgroup_processor_mode: 1
  - .args:
      - .offset:         0
        .size:           176
        .value_kind:     by_value
    .group_segment_fixed_size: 0
    .kernarg_segment_align: 8
    .kernarg_segment_size: 176
    .language:       OpenCL C
    .language_version:
      - 2
      - 0
    .max_flat_workgroup_size: 256
    .name:           _ZN7rocprim17ROCPRIM_400000_NS6detail17trampoline_kernelINS0_13select_configILj256ELj13ELNS0_17block_load_methodE3ELS4_3ELS4_3ELNS0_20block_scan_algorithmE0ELj4294967295EEENS1_25partition_config_selectorILNS1_17partition_subalgoE4EjNS0_10empty_typeEbEEZZNS1_14partition_implILS8_4ELb0ES6_15HIP_vector_typeIjLj2EENS0_17counting_iteratorIjlEEPS9_SG_NS0_5tupleIJPjSI_NS0_16reverse_iteratorISI_EEEEENSH_IJSG_SG_SG_EEES9_SI_JZNS1_25segmented_radix_sort_implINS0_14default_configELb0EPKdPdPKlPlN2at6native12_GLOBAL__N_18offset_tEEE10hipError_tPvRmT1_PNSt15iterator_traitsIS12_E10value_typeET2_T3_PNS13_IS18_E10value_typeET4_jRbjT5_S1E_jjP12ihipStream_tbEUljE_ZNSN_ISO_Lb0ESQ_SR_ST_SU_SY_EESZ_S10_S11_S12_S16_S17_S18_S1B_S1C_jS1D_jS1E_S1E_jjS1G_bEUljE0_EEESZ_S10_S11_S18_S1C_S1E_T6_T7_T9_mT8_S1G_bDpT10_ENKUlT_T0_E_clISt17integral_constantIbLb1EES1T_IbLb0EEEEDaS1P_S1Q_EUlS1P_E_NS1_11comp_targetILNS1_3genE9ELNS1_11target_archE1100ELNS1_3gpuE3ELNS1_3repE0EEENS1_30default_config_static_selectorELNS0_4arch9wavefront6targetE0EEEvS12_
    .private_segment_fixed_size: 0
    .sgpr_count:     0
    .sgpr_spill_count: 0
    .symbol:         _ZN7rocprim17ROCPRIM_400000_NS6detail17trampoline_kernelINS0_13select_configILj256ELj13ELNS0_17block_load_methodE3ELS4_3ELS4_3ELNS0_20block_scan_algorithmE0ELj4294967295EEENS1_25partition_config_selectorILNS1_17partition_subalgoE4EjNS0_10empty_typeEbEEZZNS1_14partition_implILS8_4ELb0ES6_15HIP_vector_typeIjLj2EENS0_17counting_iteratorIjlEEPS9_SG_NS0_5tupleIJPjSI_NS0_16reverse_iteratorISI_EEEEENSH_IJSG_SG_SG_EEES9_SI_JZNS1_25segmented_radix_sort_implINS0_14default_configELb0EPKdPdPKlPlN2at6native12_GLOBAL__N_18offset_tEEE10hipError_tPvRmT1_PNSt15iterator_traitsIS12_E10value_typeET2_T3_PNS13_IS18_E10value_typeET4_jRbjT5_S1E_jjP12ihipStream_tbEUljE_ZNSN_ISO_Lb0ESQ_SR_ST_SU_SY_EESZ_S10_S11_S12_S16_S17_S18_S1B_S1C_jS1D_jS1E_S1E_jjS1G_bEUljE0_EEESZ_S10_S11_S18_S1C_S1E_T6_T7_T9_mT8_S1G_bDpT10_ENKUlT_T0_E_clISt17integral_constantIbLb1EES1T_IbLb0EEEEDaS1P_S1Q_EUlS1P_E_NS1_11comp_targetILNS1_3genE9ELNS1_11target_archE1100ELNS1_3gpuE3ELNS1_3repE0EEENS1_30default_config_static_selectorELNS0_4arch9wavefront6targetE0EEEvS12_.kd
    .uniform_work_group_size: 1
    .uses_dynamic_stack: false
    .vgpr_count:     0
    .vgpr_spill_count: 0
    .wavefront_size: 32
    .workgroup_processor_mode: 1
  - .args:
      - .offset:         0
        .size:           176
        .value_kind:     by_value
    .group_segment_fixed_size: 0
    .kernarg_segment_align: 8
    .kernarg_segment_size: 176
    .language:       OpenCL C
    .language_version:
      - 2
      - 0
    .max_flat_workgroup_size: 256
    .name:           _ZN7rocprim17ROCPRIM_400000_NS6detail17trampoline_kernelINS0_13select_configILj256ELj13ELNS0_17block_load_methodE3ELS4_3ELS4_3ELNS0_20block_scan_algorithmE0ELj4294967295EEENS1_25partition_config_selectorILNS1_17partition_subalgoE4EjNS0_10empty_typeEbEEZZNS1_14partition_implILS8_4ELb0ES6_15HIP_vector_typeIjLj2EENS0_17counting_iteratorIjlEEPS9_SG_NS0_5tupleIJPjSI_NS0_16reverse_iteratorISI_EEEEENSH_IJSG_SG_SG_EEES9_SI_JZNS1_25segmented_radix_sort_implINS0_14default_configELb0EPKdPdPKlPlN2at6native12_GLOBAL__N_18offset_tEEE10hipError_tPvRmT1_PNSt15iterator_traitsIS12_E10value_typeET2_T3_PNS13_IS18_E10value_typeET4_jRbjT5_S1E_jjP12ihipStream_tbEUljE_ZNSN_ISO_Lb0ESQ_SR_ST_SU_SY_EESZ_S10_S11_S12_S16_S17_S18_S1B_S1C_jS1D_jS1E_S1E_jjS1G_bEUljE0_EEESZ_S10_S11_S18_S1C_S1E_T6_T7_T9_mT8_S1G_bDpT10_ENKUlT_T0_E_clISt17integral_constantIbLb1EES1T_IbLb0EEEEDaS1P_S1Q_EUlS1P_E_NS1_11comp_targetILNS1_3genE8ELNS1_11target_archE1030ELNS1_3gpuE2ELNS1_3repE0EEENS1_30default_config_static_selectorELNS0_4arch9wavefront6targetE0EEEvS12_
    .private_segment_fixed_size: 0
    .sgpr_count:     0
    .sgpr_spill_count: 0
    .symbol:         _ZN7rocprim17ROCPRIM_400000_NS6detail17trampoline_kernelINS0_13select_configILj256ELj13ELNS0_17block_load_methodE3ELS4_3ELS4_3ELNS0_20block_scan_algorithmE0ELj4294967295EEENS1_25partition_config_selectorILNS1_17partition_subalgoE4EjNS0_10empty_typeEbEEZZNS1_14partition_implILS8_4ELb0ES6_15HIP_vector_typeIjLj2EENS0_17counting_iteratorIjlEEPS9_SG_NS0_5tupleIJPjSI_NS0_16reverse_iteratorISI_EEEEENSH_IJSG_SG_SG_EEES9_SI_JZNS1_25segmented_radix_sort_implINS0_14default_configELb0EPKdPdPKlPlN2at6native12_GLOBAL__N_18offset_tEEE10hipError_tPvRmT1_PNSt15iterator_traitsIS12_E10value_typeET2_T3_PNS13_IS18_E10value_typeET4_jRbjT5_S1E_jjP12ihipStream_tbEUljE_ZNSN_ISO_Lb0ESQ_SR_ST_SU_SY_EESZ_S10_S11_S12_S16_S17_S18_S1B_S1C_jS1D_jS1E_S1E_jjS1G_bEUljE0_EEESZ_S10_S11_S18_S1C_S1E_T6_T7_T9_mT8_S1G_bDpT10_ENKUlT_T0_E_clISt17integral_constantIbLb1EES1T_IbLb0EEEEDaS1P_S1Q_EUlS1P_E_NS1_11comp_targetILNS1_3genE8ELNS1_11target_archE1030ELNS1_3gpuE2ELNS1_3repE0EEENS1_30default_config_static_selectorELNS0_4arch9wavefront6targetE0EEEvS12_.kd
    .uniform_work_group_size: 1
    .uses_dynamic_stack: false
    .vgpr_count:     0
    .vgpr_spill_count: 0
    .wavefront_size: 32
    .workgroup_processor_mode: 1
  - .args:
      - .offset:         0
        .size:           184
        .value_kind:     by_value
    .group_segment_fixed_size: 0
    .kernarg_segment_align: 8
    .kernarg_segment_size: 184
    .language:       OpenCL C
    .language_version:
      - 2
      - 0
    .max_flat_workgroup_size: 256
    .name:           _ZN7rocprim17ROCPRIM_400000_NS6detail17trampoline_kernelINS0_13select_configILj256ELj13ELNS0_17block_load_methodE3ELS4_3ELS4_3ELNS0_20block_scan_algorithmE0ELj4294967295EEENS1_25partition_config_selectorILNS1_17partition_subalgoE4EjNS0_10empty_typeEbEEZZNS1_14partition_implILS8_4ELb0ES6_15HIP_vector_typeIjLj2EENS0_17counting_iteratorIjlEEPS9_SG_NS0_5tupleIJPjSI_NS0_16reverse_iteratorISI_EEEEENSH_IJSG_SG_SG_EEES9_SI_JZNS1_25segmented_radix_sort_implINS0_14default_configELb0EPKdPdPKlPlN2at6native12_GLOBAL__N_18offset_tEEE10hipError_tPvRmT1_PNSt15iterator_traitsIS12_E10value_typeET2_T3_PNS13_IS18_E10value_typeET4_jRbjT5_S1E_jjP12ihipStream_tbEUljE_ZNSN_ISO_Lb0ESQ_SR_ST_SU_SY_EESZ_S10_S11_S12_S16_S17_S18_S1B_S1C_jS1D_jS1E_S1E_jjS1G_bEUljE0_EEESZ_S10_S11_S18_S1C_S1E_T6_T7_T9_mT8_S1G_bDpT10_ENKUlT_T0_E_clISt17integral_constantIbLb0EES1T_IbLb1EEEEDaS1P_S1Q_EUlS1P_E_NS1_11comp_targetILNS1_3genE0ELNS1_11target_archE4294967295ELNS1_3gpuE0ELNS1_3repE0EEENS1_30default_config_static_selectorELNS0_4arch9wavefront6targetE0EEEvS12_
    .private_segment_fixed_size: 0
    .sgpr_count:     0
    .sgpr_spill_count: 0
    .symbol:         _ZN7rocprim17ROCPRIM_400000_NS6detail17trampoline_kernelINS0_13select_configILj256ELj13ELNS0_17block_load_methodE3ELS4_3ELS4_3ELNS0_20block_scan_algorithmE0ELj4294967295EEENS1_25partition_config_selectorILNS1_17partition_subalgoE4EjNS0_10empty_typeEbEEZZNS1_14partition_implILS8_4ELb0ES6_15HIP_vector_typeIjLj2EENS0_17counting_iteratorIjlEEPS9_SG_NS0_5tupleIJPjSI_NS0_16reverse_iteratorISI_EEEEENSH_IJSG_SG_SG_EEES9_SI_JZNS1_25segmented_radix_sort_implINS0_14default_configELb0EPKdPdPKlPlN2at6native12_GLOBAL__N_18offset_tEEE10hipError_tPvRmT1_PNSt15iterator_traitsIS12_E10value_typeET2_T3_PNS13_IS18_E10value_typeET4_jRbjT5_S1E_jjP12ihipStream_tbEUljE_ZNSN_ISO_Lb0ESQ_SR_ST_SU_SY_EESZ_S10_S11_S12_S16_S17_S18_S1B_S1C_jS1D_jS1E_S1E_jjS1G_bEUljE0_EEESZ_S10_S11_S18_S1C_S1E_T6_T7_T9_mT8_S1G_bDpT10_ENKUlT_T0_E_clISt17integral_constantIbLb0EES1T_IbLb1EEEEDaS1P_S1Q_EUlS1P_E_NS1_11comp_targetILNS1_3genE0ELNS1_11target_archE4294967295ELNS1_3gpuE0ELNS1_3repE0EEENS1_30default_config_static_selectorELNS0_4arch9wavefront6targetE0EEEvS12_.kd
    .uniform_work_group_size: 1
    .uses_dynamic_stack: false
    .vgpr_count:     0
    .vgpr_spill_count: 0
    .wavefront_size: 32
    .workgroup_processor_mode: 1
  - .args:
      - .offset:         0
        .size:           184
        .value_kind:     by_value
    .group_segment_fixed_size: 0
    .kernarg_segment_align: 8
    .kernarg_segment_size: 184
    .language:       OpenCL C
    .language_version:
      - 2
      - 0
    .max_flat_workgroup_size: 256
    .name:           _ZN7rocprim17ROCPRIM_400000_NS6detail17trampoline_kernelINS0_13select_configILj256ELj13ELNS0_17block_load_methodE3ELS4_3ELS4_3ELNS0_20block_scan_algorithmE0ELj4294967295EEENS1_25partition_config_selectorILNS1_17partition_subalgoE4EjNS0_10empty_typeEbEEZZNS1_14partition_implILS8_4ELb0ES6_15HIP_vector_typeIjLj2EENS0_17counting_iteratorIjlEEPS9_SG_NS0_5tupleIJPjSI_NS0_16reverse_iteratorISI_EEEEENSH_IJSG_SG_SG_EEES9_SI_JZNS1_25segmented_radix_sort_implINS0_14default_configELb0EPKdPdPKlPlN2at6native12_GLOBAL__N_18offset_tEEE10hipError_tPvRmT1_PNSt15iterator_traitsIS12_E10value_typeET2_T3_PNS13_IS18_E10value_typeET4_jRbjT5_S1E_jjP12ihipStream_tbEUljE_ZNSN_ISO_Lb0ESQ_SR_ST_SU_SY_EESZ_S10_S11_S12_S16_S17_S18_S1B_S1C_jS1D_jS1E_S1E_jjS1G_bEUljE0_EEESZ_S10_S11_S18_S1C_S1E_T6_T7_T9_mT8_S1G_bDpT10_ENKUlT_T0_E_clISt17integral_constantIbLb0EES1T_IbLb1EEEEDaS1P_S1Q_EUlS1P_E_NS1_11comp_targetILNS1_3genE5ELNS1_11target_archE942ELNS1_3gpuE9ELNS1_3repE0EEENS1_30default_config_static_selectorELNS0_4arch9wavefront6targetE0EEEvS12_
    .private_segment_fixed_size: 0
    .sgpr_count:     0
    .sgpr_spill_count: 0
    .symbol:         _ZN7rocprim17ROCPRIM_400000_NS6detail17trampoline_kernelINS0_13select_configILj256ELj13ELNS0_17block_load_methodE3ELS4_3ELS4_3ELNS0_20block_scan_algorithmE0ELj4294967295EEENS1_25partition_config_selectorILNS1_17partition_subalgoE4EjNS0_10empty_typeEbEEZZNS1_14partition_implILS8_4ELb0ES6_15HIP_vector_typeIjLj2EENS0_17counting_iteratorIjlEEPS9_SG_NS0_5tupleIJPjSI_NS0_16reverse_iteratorISI_EEEEENSH_IJSG_SG_SG_EEES9_SI_JZNS1_25segmented_radix_sort_implINS0_14default_configELb0EPKdPdPKlPlN2at6native12_GLOBAL__N_18offset_tEEE10hipError_tPvRmT1_PNSt15iterator_traitsIS12_E10value_typeET2_T3_PNS13_IS18_E10value_typeET4_jRbjT5_S1E_jjP12ihipStream_tbEUljE_ZNSN_ISO_Lb0ESQ_SR_ST_SU_SY_EESZ_S10_S11_S12_S16_S17_S18_S1B_S1C_jS1D_jS1E_S1E_jjS1G_bEUljE0_EEESZ_S10_S11_S18_S1C_S1E_T6_T7_T9_mT8_S1G_bDpT10_ENKUlT_T0_E_clISt17integral_constantIbLb0EES1T_IbLb1EEEEDaS1P_S1Q_EUlS1P_E_NS1_11comp_targetILNS1_3genE5ELNS1_11target_archE942ELNS1_3gpuE9ELNS1_3repE0EEENS1_30default_config_static_selectorELNS0_4arch9wavefront6targetE0EEEvS12_.kd
    .uniform_work_group_size: 1
    .uses_dynamic_stack: false
    .vgpr_count:     0
    .vgpr_spill_count: 0
    .wavefront_size: 32
    .workgroup_processor_mode: 1
  - .args:
      - .offset:         0
        .size:           184
        .value_kind:     by_value
    .group_segment_fixed_size: 0
    .kernarg_segment_align: 8
    .kernarg_segment_size: 184
    .language:       OpenCL C
    .language_version:
      - 2
      - 0
    .max_flat_workgroup_size: 256
    .name:           _ZN7rocprim17ROCPRIM_400000_NS6detail17trampoline_kernelINS0_13select_configILj256ELj13ELNS0_17block_load_methodE3ELS4_3ELS4_3ELNS0_20block_scan_algorithmE0ELj4294967295EEENS1_25partition_config_selectorILNS1_17partition_subalgoE4EjNS0_10empty_typeEbEEZZNS1_14partition_implILS8_4ELb0ES6_15HIP_vector_typeIjLj2EENS0_17counting_iteratorIjlEEPS9_SG_NS0_5tupleIJPjSI_NS0_16reverse_iteratorISI_EEEEENSH_IJSG_SG_SG_EEES9_SI_JZNS1_25segmented_radix_sort_implINS0_14default_configELb0EPKdPdPKlPlN2at6native12_GLOBAL__N_18offset_tEEE10hipError_tPvRmT1_PNSt15iterator_traitsIS12_E10value_typeET2_T3_PNS13_IS18_E10value_typeET4_jRbjT5_S1E_jjP12ihipStream_tbEUljE_ZNSN_ISO_Lb0ESQ_SR_ST_SU_SY_EESZ_S10_S11_S12_S16_S17_S18_S1B_S1C_jS1D_jS1E_S1E_jjS1G_bEUljE0_EEESZ_S10_S11_S18_S1C_S1E_T6_T7_T9_mT8_S1G_bDpT10_ENKUlT_T0_E_clISt17integral_constantIbLb0EES1T_IbLb1EEEEDaS1P_S1Q_EUlS1P_E_NS1_11comp_targetILNS1_3genE4ELNS1_11target_archE910ELNS1_3gpuE8ELNS1_3repE0EEENS1_30default_config_static_selectorELNS0_4arch9wavefront6targetE0EEEvS12_
    .private_segment_fixed_size: 0
    .sgpr_count:     0
    .sgpr_spill_count: 0
    .symbol:         _ZN7rocprim17ROCPRIM_400000_NS6detail17trampoline_kernelINS0_13select_configILj256ELj13ELNS0_17block_load_methodE3ELS4_3ELS4_3ELNS0_20block_scan_algorithmE0ELj4294967295EEENS1_25partition_config_selectorILNS1_17partition_subalgoE4EjNS0_10empty_typeEbEEZZNS1_14partition_implILS8_4ELb0ES6_15HIP_vector_typeIjLj2EENS0_17counting_iteratorIjlEEPS9_SG_NS0_5tupleIJPjSI_NS0_16reverse_iteratorISI_EEEEENSH_IJSG_SG_SG_EEES9_SI_JZNS1_25segmented_radix_sort_implINS0_14default_configELb0EPKdPdPKlPlN2at6native12_GLOBAL__N_18offset_tEEE10hipError_tPvRmT1_PNSt15iterator_traitsIS12_E10value_typeET2_T3_PNS13_IS18_E10value_typeET4_jRbjT5_S1E_jjP12ihipStream_tbEUljE_ZNSN_ISO_Lb0ESQ_SR_ST_SU_SY_EESZ_S10_S11_S12_S16_S17_S18_S1B_S1C_jS1D_jS1E_S1E_jjS1G_bEUljE0_EEESZ_S10_S11_S18_S1C_S1E_T6_T7_T9_mT8_S1G_bDpT10_ENKUlT_T0_E_clISt17integral_constantIbLb0EES1T_IbLb1EEEEDaS1P_S1Q_EUlS1P_E_NS1_11comp_targetILNS1_3genE4ELNS1_11target_archE910ELNS1_3gpuE8ELNS1_3repE0EEENS1_30default_config_static_selectorELNS0_4arch9wavefront6targetE0EEEvS12_.kd
    .uniform_work_group_size: 1
    .uses_dynamic_stack: false
    .vgpr_count:     0
    .vgpr_spill_count: 0
    .wavefront_size: 32
    .workgroup_processor_mode: 1
  - .args:
      - .offset:         0
        .size:           184
        .value_kind:     by_value
    .group_segment_fixed_size: 0
    .kernarg_segment_align: 8
    .kernarg_segment_size: 184
    .language:       OpenCL C
    .language_version:
      - 2
      - 0
    .max_flat_workgroup_size: 256
    .name:           _ZN7rocprim17ROCPRIM_400000_NS6detail17trampoline_kernelINS0_13select_configILj256ELj13ELNS0_17block_load_methodE3ELS4_3ELS4_3ELNS0_20block_scan_algorithmE0ELj4294967295EEENS1_25partition_config_selectorILNS1_17partition_subalgoE4EjNS0_10empty_typeEbEEZZNS1_14partition_implILS8_4ELb0ES6_15HIP_vector_typeIjLj2EENS0_17counting_iteratorIjlEEPS9_SG_NS0_5tupleIJPjSI_NS0_16reverse_iteratorISI_EEEEENSH_IJSG_SG_SG_EEES9_SI_JZNS1_25segmented_radix_sort_implINS0_14default_configELb0EPKdPdPKlPlN2at6native12_GLOBAL__N_18offset_tEEE10hipError_tPvRmT1_PNSt15iterator_traitsIS12_E10value_typeET2_T3_PNS13_IS18_E10value_typeET4_jRbjT5_S1E_jjP12ihipStream_tbEUljE_ZNSN_ISO_Lb0ESQ_SR_ST_SU_SY_EESZ_S10_S11_S12_S16_S17_S18_S1B_S1C_jS1D_jS1E_S1E_jjS1G_bEUljE0_EEESZ_S10_S11_S18_S1C_S1E_T6_T7_T9_mT8_S1G_bDpT10_ENKUlT_T0_E_clISt17integral_constantIbLb0EES1T_IbLb1EEEEDaS1P_S1Q_EUlS1P_E_NS1_11comp_targetILNS1_3genE3ELNS1_11target_archE908ELNS1_3gpuE7ELNS1_3repE0EEENS1_30default_config_static_selectorELNS0_4arch9wavefront6targetE0EEEvS12_
    .private_segment_fixed_size: 0
    .sgpr_count:     0
    .sgpr_spill_count: 0
    .symbol:         _ZN7rocprim17ROCPRIM_400000_NS6detail17trampoline_kernelINS0_13select_configILj256ELj13ELNS0_17block_load_methodE3ELS4_3ELS4_3ELNS0_20block_scan_algorithmE0ELj4294967295EEENS1_25partition_config_selectorILNS1_17partition_subalgoE4EjNS0_10empty_typeEbEEZZNS1_14partition_implILS8_4ELb0ES6_15HIP_vector_typeIjLj2EENS0_17counting_iteratorIjlEEPS9_SG_NS0_5tupleIJPjSI_NS0_16reverse_iteratorISI_EEEEENSH_IJSG_SG_SG_EEES9_SI_JZNS1_25segmented_radix_sort_implINS0_14default_configELb0EPKdPdPKlPlN2at6native12_GLOBAL__N_18offset_tEEE10hipError_tPvRmT1_PNSt15iterator_traitsIS12_E10value_typeET2_T3_PNS13_IS18_E10value_typeET4_jRbjT5_S1E_jjP12ihipStream_tbEUljE_ZNSN_ISO_Lb0ESQ_SR_ST_SU_SY_EESZ_S10_S11_S12_S16_S17_S18_S1B_S1C_jS1D_jS1E_S1E_jjS1G_bEUljE0_EEESZ_S10_S11_S18_S1C_S1E_T6_T7_T9_mT8_S1G_bDpT10_ENKUlT_T0_E_clISt17integral_constantIbLb0EES1T_IbLb1EEEEDaS1P_S1Q_EUlS1P_E_NS1_11comp_targetILNS1_3genE3ELNS1_11target_archE908ELNS1_3gpuE7ELNS1_3repE0EEENS1_30default_config_static_selectorELNS0_4arch9wavefront6targetE0EEEvS12_.kd
    .uniform_work_group_size: 1
    .uses_dynamic_stack: false
    .vgpr_count:     0
    .vgpr_spill_count: 0
    .wavefront_size: 32
    .workgroup_processor_mode: 1
  - .args:
      - .offset:         0
        .size:           184
        .value_kind:     by_value
    .group_segment_fixed_size: 0
    .kernarg_segment_align: 8
    .kernarg_segment_size: 184
    .language:       OpenCL C
    .language_version:
      - 2
      - 0
    .max_flat_workgroup_size: 256
    .name:           _ZN7rocprim17ROCPRIM_400000_NS6detail17trampoline_kernelINS0_13select_configILj256ELj13ELNS0_17block_load_methodE3ELS4_3ELS4_3ELNS0_20block_scan_algorithmE0ELj4294967295EEENS1_25partition_config_selectorILNS1_17partition_subalgoE4EjNS0_10empty_typeEbEEZZNS1_14partition_implILS8_4ELb0ES6_15HIP_vector_typeIjLj2EENS0_17counting_iteratorIjlEEPS9_SG_NS0_5tupleIJPjSI_NS0_16reverse_iteratorISI_EEEEENSH_IJSG_SG_SG_EEES9_SI_JZNS1_25segmented_radix_sort_implINS0_14default_configELb0EPKdPdPKlPlN2at6native12_GLOBAL__N_18offset_tEEE10hipError_tPvRmT1_PNSt15iterator_traitsIS12_E10value_typeET2_T3_PNS13_IS18_E10value_typeET4_jRbjT5_S1E_jjP12ihipStream_tbEUljE_ZNSN_ISO_Lb0ESQ_SR_ST_SU_SY_EESZ_S10_S11_S12_S16_S17_S18_S1B_S1C_jS1D_jS1E_S1E_jjS1G_bEUljE0_EEESZ_S10_S11_S18_S1C_S1E_T6_T7_T9_mT8_S1G_bDpT10_ENKUlT_T0_E_clISt17integral_constantIbLb0EES1T_IbLb1EEEEDaS1P_S1Q_EUlS1P_E_NS1_11comp_targetILNS1_3genE2ELNS1_11target_archE906ELNS1_3gpuE6ELNS1_3repE0EEENS1_30default_config_static_selectorELNS0_4arch9wavefront6targetE0EEEvS12_
    .private_segment_fixed_size: 0
    .sgpr_count:     0
    .sgpr_spill_count: 0
    .symbol:         _ZN7rocprim17ROCPRIM_400000_NS6detail17trampoline_kernelINS0_13select_configILj256ELj13ELNS0_17block_load_methodE3ELS4_3ELS4_3ELNS0_20block_scan_algorithmE0ELj4294967295EEENS1_25partition_config_selectorILNS1_17partition_subalgoE4EjNS0_10empty_typeEbEEZZNS1_14partition_implILS8_4ELb0ES6_15HIP_vector_typeIjLj2EENS0_17counting_iteratorIjlEEPS9_SG_NS0_5tupleIJPjSI_NS0_16reverse_iteratorISI_EEEEENSH_IJSG_SG_SG_EEES9_SI_JZNS1_25segmented_radix_sort_implINS0_14default_configELb0EPKdPdPKlPlN2at6native12_GLOBAL__N_18offset_tEEE10hipError_tPvRmT1_PNSt15iterator_traitsIS12_E10value_typeET2_T3_PNS13_IS18_E10value_typeET4_jRbjT5_S1E_jjP12ihipStream_tbEUljE_ZNSN_ISO_Lb0ESQ_SR_ST_SU_SY_EESZ_S10_S11_S12_S16_S17_S18_S1B_S1C_jS1D_jS1E_S1E_jjS1G_bEUljE0_EEESZ_S10_S11_S18_S1C_S1E_T6_T7_T9_mT8_S1G_bDpT10_ENKUlT_T0_E_clISt17integral_constantIbLb0EES1T_IbLb1EEEEDaS1P_S1Q_EUlS1P_E_NS1_11comp_targetILNS1_3genE2ELNS1_11target_archE906ELNS1_3gpuE6ELNS1_3repE0EEENS1_30default_config_static_selectorELNS0_4arch9wavefront6targetE0EEEvS12_.kd
    .uniform_work_group_size: 1
    .uses_dynamic_stack: false
    .vgpr_count:     0
    .vgpr_spill_count: 0
    .wavefront_size: 32
    .workgroup_processor_mode: 1
  - .args:
      - .offset:         0
        .size:           184
        .value_kind:     by_value
    .group_segment_fixed_size: 13328
    .kernarg_segment_align: 8
    .kernarg_segment_size: 184
    .language:       OpenCL C
    .language_version:
      - 2
      - 0
    .max_flat_workgroup_size: 256
    .name:           _ZN7rocprim17ROCPRIM_400000_NS6detail17trampoline_kernelINS0_13select_configILj256ELj13ELNS0_17block_load_methodE3ELS4_3ELS4_3ELNS0_20block_scan_algorithmE0ELj4294967295EEENS1_25partition_config_selectorILNS1_17partition_subalgoE4EjNS0_10empty_typeEbEEZZNS1_14partition_implILS8_4ELb0ES6_15HIP_vector_typeIjLj2EENS0_17counting_iteratorIjlEEPS9_SG_NS0_5tupleIJPjSI_NS0_16reverse_iteratorISI_EEEEENSH_IJSG_SG_SG_EEES9_SI_JZNS1_25segmented_radix_sort_implINS0_14default_configELb0EPKdPdPKlPlN2at6native12_GLOBAL__N_18offset_tEEE10hipError_tPvRmT1_PNSt15iterator_traitsIS12_E10value_typeET2_T3_PNS13_IS18_E10value_typeET4_jRbjT5_S1E_jjP12ihipStream_tbEUljE_ZNSN_ISO_Lb0ESQ_SR_ST_SU_SY_EESZ_S10_S11_S12_S16_S17_S18_S1B_S1C_jS1D_jS1E_S1E_jjS1G_bEUljE0_EEESZ_S10_S11_S18_S1C_S1E_T6_T7_T9_mT8_S1G_bDpT10_ENKUlT_T0_E_clISt17integral_constantIbLb0EES1T_IbLb1EEEEDaS1P_S1Q_EUlS1P_E_NS1_11comp_targetILNS1_3genE10ELNS1_11target_archE1200ELNS1_3gpuE4ELNS1_3repE0EEENS1_30default_config_static_selectorELNS0_4arch9wavefront6targetE0EEEvS12_
    .private_segment_fixed_size: 0
    .sgpr_count:     57
    .sgpr_spill_count: 0
    .symbol:         _ZN7rocprim17ROCPRIM_400000_NS6detail17trampoline_kernelINS0_13select_configILj256ELj13ELNS0_17block_load_methodE3ELS4_3ELS4_3ELNS0_20block_scan_algorithmE0ELj4294967295EEENS1_25partition_config_selectorILNS1_17partition_subalgoE4EjNS0_10empty_typeEbEEZZNS1_14partition_implILS8_4ELb0ES6_15HIP_vector_typeIjLj2EENS0_17counting_iteratorIjlEEPS9_SG_NS0_5tupleIJPjSI_NS0_16reverse_iteratorISI_EEEEENSH_IJSG_SG_SG_EEES9_SI_JZNS1_25segmented_radix_sort_implINS0_14default_configELb0EPKdPdPKlPlN2at6native12_GLOBAL__N_18offset_tEEE10hipError_tPvRmT1_PNSt15iterator_traitsIS12_E10value_typeET2_T3_PNS13_IS18_E10value_typeET4_jRbjT5_S1E_jjP12ihipStream_tbEUljE_ZNSN_ISO_Lb0ESQ_SR_ST_SU_SY_EESZ_S10_S11_S12_S16_S17_S18_S1B_S1C_jS1D_jS1E_S1E_jjS1G_bEUljE0_EEESZ_S10_S11_S18_S1C_S1E_T6_T7_T9_mT8_S1G_bDpT10_ENKUlT_T0_E_clISt17integral_constantIbLb0EES1T_IbLb1EEEEDaS1P_S1Q_EUlS1P_E_NS1_11comp_targetILNS1_3genE10ELNS1_11target_archE1200ELNS1_3gpuE4ELNS1_3repE0EEENS1_30default_config_static_selectorELNS0_4arch9wavefront6targetE0EEEvS12_.kd
    .uniform_work_group_size: 1
    .uses_dynamic_stack: false
    .vgpr_count:     98
    .vgpr_spill_count: 0
    .wavefront_size: 32
    .workgroup_processor_mode: 1
  - .args:
      - .offset:         0
        .size:           184
        .value_kind:     by_value
    .group_segment_fixed_size: 0
    .kernarg_segment_align: 8
    .kernarg_segment_size: 184
    .language:       OpenCL C
    .language_version:
      - 2
      - 0
    .max_flat_workgroup_size: 256
    .name:           _ZN7rocprim17ROCPRIM_400000_NS6detail17trampoline_kernelINS0_13select_configILj256ELj13ELNS0_17block_load_methodE3ELS4_3ELS4_3ELNS0_20block_scan_algorithmE0ELj4294967295EEENS1_25partition_config_selectorILNS1_17partition_subalgoE4EjNS0_10empty_typeEbEEZZNS1_14partition_implILS8_4ELb0ES6_15HIP_vector_typeIjLj2EENS0_17counting_iteratorIjlEEPS9_SG_NS0_5tupleIJPjSI_NS0_16reverse_iteratorISI_EEEEENSH_IJSG_SG_SG_EEES9_SI_JZNS1_25segmented_radix_sort_implINS0_14default_configELb0EPKdPdPKlPlN2at6native12_GLOBAL__N_18offset_tEEE10hipError_tPvRmT1_PNSt15iterator_traitsIS12_E10value_typeET2_T3_PNS13_IS18_E10value_typeET4_jRbjT5_S1E_jjP12ihipStream_tbEUljE_ZNSN_ISO_Lb0ESQ_SR_ST_SU_SY_EESZ_S10_S11_S12_S16_S17_S18_S1B_S1C_jS1D_jS1E_S1E_jjS1G_bEUljE0_EEESZ_S10_S11_S18_S1C_S1E_T6_T7_T9_mT8_S1G_bDpT10_ENKUlT_T0_E_clISt17integral_constantIbLb0EES1T_IbLb1EEEEDaS1P_S1Q_EUlS1P_E_NS1_11comp_targetILNS1_3genE9ELNS1_11target_archE1100ELNS1_3gpuE3ELNS1_3repE0EEENS1_30default_config_static_selectorELNS0_4arch9wavefront6targetE0EEEvS12_
    .private_segment_fixed_size: 0
    .sgpr_count:     0
    .sgpr_spill_count: 0
    .symbol:         _ZN7rocprim17ROCPRIM_400000_NS6detail17trampoline_kernelINS0_13select_configILj256ELj13ELNS0_17block_load_methodE3ELS4_3ELS4_3ELNS0_20block_scan_algorithmE0ELj4294967295EEENS1_25partition_config_selectorILNS1_17partition_subalgoE4EjNS0_10empty_typeEbEEZZNS1_14partition_implILS8_4ELb0ES6_15HIP_vector_typeIjLj2EENS0_17counting_iteratorIjlEEPS9_SG_NS0_5tupleIJPjSI_NS0_16reverse_iteratorISI_EEEEENSH_IJSG_SG_SG_EEES9_SI_JZNS1_25segmented_radix_sort_implINS0_14default_configELb0EPKdPdPKlPlN2at6native12_GLOBAL__N_18offset_tEEE10hipError_tPvRmT1_PNSt15iterator_traitsIS12_E10value_typeET2_T3_PNS13_IS18_E10value_typeET4_jRbjT5_S1E_jjP12ihipStream_tbEUljE_ZNSN_ISO_Lb0ESQ_SR_ST_SU_SY_EESZ_S10_S11_S12_S16_S17_S18_S1B_S1C_jS1D_jS1E_S1E_jjS1G_bEUljE0_EEESZ_S10_S11_S18_S1C_S1E_T6_T7_T9_mT8_S1G_bDpT10_ENKUlT_T0_E_clISt17integral_constantIbLb0EES1T_IbLb1EEEEDaS1P_S1Q_EUlS1P_E_NS1_11comp_targetILNS1_3genE9ELNS1_11target_archE1100ELNS1_3gpuE3ELNS1_3repE0EEENS1_30default_config_static_selectorELNS0_4arch9wavefront6targetE0EEEvS12_.kd
    .uniform_work_group_size: 1
    .uses_dynamic_stack: false
    .vgpr_count:     0
    .vgpr_spill_count: 0
    .wavefront_size: 32
    .workgroup_processor_mode: 1
  - .args:
      - .offset:         0
        .size:           184
        .value_kind:     by_value
    .group_segment_fixed_size: 0
    .kernarg_segment_align: 8
    .kernarg_segment_size: 184
    .language:       OpenCL C
    .language_version:
      - 2
      - 0
    .max_flat_workgroup_size: 256
    .name:           _ZN7rocprim17ROCPRIM_400000_NS6detail17trampoline_kernelINS0_13select_configILj256ELj13ELNS0_17block_load_methodE3ELS4_3ELS4_3ELNS0_20block_scan_algorithmE0ELj4294967295EEENS1_25partition_config_selectorILNS1_17partition_subalgoE4EjNS0_10empty_typeEbEEZZNS1_14partition_implILS8_4ELb0ES6_15HIP_vector_typeIjLj2EENS0_17counting_iteratorIjlEEPS9_SG_NS0_5tupleIJPjSI_NS0_16reverse_iteratorISI_EEEEENSH_IJSG_SG_SG_EEES9_SI_JZNS1_25segmented_radix_sort_implINS0_14default_configELb0EPKdPdPKlPlN2at6native12_GLOBAL__N_18offset_tEEE10hipError_tPvRmT1_PNSt15iterator_traitsIS12_E10value_typeET2_T3_PNS13_IS18_E10value_typeET4_jRbjT5_S1E_jjP12ihipStream_tbEUljE_ZNSN_ISO_Lb0ESQ_SR_ST_SU_SY_EESZ_S10_S11_S12_S16_S17_S18_S1B_S1C_jS1D_jS1E_S1E_jjS1G_bEUljE0_EEESZ_S10_S11_S18_S1C_S1E_T6_T7_T9_mT8_S1G_bDpT10_ENKUlT_T0_E_clISt17integral_constantIbLb0EES1T_IbLb1EEEEDaS1P_S1Q_EUlS1P_E_NS1_11comp_targetILNS1_3genE8ELNS1_11target_archE1030ELNS1_3gpuE2ELNS1_3repE0EEENS1_30default_config_static_selectorELNS0_4arch9wavefront6targetE0EEEvS12_
    .private_segment_fixed_size: 0
    .sgpr_count:     0
    .sgpr_spill_count: 0
    .symbol:         _ZN7rocprim17ROCPRIM_400000_NS6detail17trampoline_kernelINS0_13select_configILj256ELj13ELNS0_17block_load_methodE3ELS4_3ELS4_3ELNS0_20block_scan_algorithmE0ELj4294967295EEENS1_25partition_config_selectorILNS1_17partition_subalgoE4EjNS0_10empty_typeEbEEZZNS1_14partition_implILS8_4ELb0ES6_15HIP_vector_typeIjLj2EENS0_17counting_iteratorIjlEEPS9_SG_NS0_5tupleIJPjSI_NS0_16reverse_iteratorISI_EEEEENSH_IJSG_SG_SG_EEES9_SI_JZNS1_25segmented_radix_sort_implINS0_14default_configELb0EPKdPdPKlPlN2at6native12_GLOBAL__N_18offset_tEEE10hipError_tPvRmT1_PNSt15iterator_traitsIS12_E10value_typeET2_T3_PNS13_IS18_E10value_typeET4_jRbjT5_S1E_jjP12ihipStream_tbEUljE_ZNSN_ISO_Lb0ESQ_SR_ST_SU_SY_EESZ_S10_S11_S12_S16_S17_S18_S1B_S1C_jS1D_jS1E_S1E_jjS1G_bEUljE0_EEESZ_S10_S11_S18_S1C_S1E_T6_T7_T9_mT8_S1G_bDpT10_ENKUlT_T0_E_clISt17integral_constantIbLb0EES1T_IbLb1EEEEDaS1P_S1Q_EUlS1P_E_NS1_11comp_targetILNS1_3genE8ELNS1_11target_archE1030ELNS1_3gpuE2ELNS1_3repE0EEENS1_30default_config_static_selectorELNS0_4arch9wavefront6targetE0EEEvS12_.kd
    .uniform_work_group_size: 1
    .uses_dynamic_stack: false
    .vgpr_count:     0
    .vgpr_spill_count: 0
    .wavefront_size: 32
    .workgroup_processor_mode: 1
  - .args:
      - .offset:         0
        .size:           144
        .value_kind:     by_value
    .group_segment_fixed_size: 0
    .kernarg_segment_align: 8
    .kernarg_segment_size: 144
    .language:       OpenCL C
    .language_version:
      - 2
      - 0
    .max_flat_workgroup_size: 256
    .name:           _ZN7rocprim17ROCPRIM_400000_NS6detail17trampoline_kernelINS0_13select_configILj256ELj13ELNS0_17block_load_methodE3ELS4_3ELS4_3ELNS0_20block_scan_algorithmE0ELj4294967295EEENS1_25partition_config_selectorILNS1_17partition_subalgoE3EjNS0_10empty_typeEbEEZZNS1_14partition_implILS8_3ELb0ES6_jNS0_17counting_iteratorIjlEEPS9_SE_NS0_5tupleIJPjSE_EEENSF_IJSE_SE_EEES9_SG_JZNS1_25segmented_radix_sort_implINS0_14default_configELb0EPKdPdPKlPlN2at6native12_GLOBAL__N_18offset_tEEE10hipError_tPvRmT1_PNSt15iterator_traitsISY_E10value_typeET2_T3_PNSZ_IS14_E10value_typeET4_jRbjT5_S1A_jjP12ihipStream_tbEUljE_EEESV_SW_SX_S14_S18_S1A_T6_T7_T9_mT8_S1C_bDpT10_ENKUlT_T0_E_clISt17integral_constantIbLb0EES1P_EEDaS1K_S1L_EUlS1K_E_NS1_11comp_targetILNS1_3genE0ELNS1_11target_archE4294967295ELNS1_3gpuE0ELNS1_3repE0EEENS1_30default_config_static_selectorELNS0_4arch9wavefront6targetE0EEEvSY_
    .private_segment_fixed_size: 0
    .sgpr_count:     0
    .sgpr_spill_count: 0
    .symbol:         _ZN7rocprim17ROCPRIM_400000_NS6detail17trampoline_kernelINS0_13select_configILj256ELj13ELNS0_17block_load_methodE3ELS4_3ELS4_3ELNS0_20block_scan_algorithmE0ELj4294967295EEENS1_25partition_config_selectorILNS1_17partition_subalgoE3EjNS0_10empty_typeEbEEZZNS1_14partition_implILS8_3ELb0ES6_jNS0_17counting_iteratorIjlEEPS9_SE_NS0_5tupleIJPjSE_EEENSF_IJSE_SE_EEES9_SG_JZNS1_25segmented_radix_sort_implINS0_14default_configELb0EPKdPdPKlPlN2at6native12_GLOBAL__N_18offset_tEEE10hipError_tPvRmT1_PNSt15iterator_traitsISY_E10value_typeET2_T3_PNSZ_IS14_E10value_typeET4_jRbjT5_S1A_jjP12ihipStream_tbEUljE_EEESV_SW_SX_S14_S18_S1A_T6_T7_T9_mT8_S1C_bDpT10_ENKUlT_T0_E_clISt17integral_constantIbLb0EES1P_EEDaS1K_S1L_EUlS1K_E_NS1_11comp_targetILNS1_3genE0ELNS1_11target_archE4294967295ELNS1_3gpuE0ELNS1_3repE0EEENS1_30default_config_static_selectorELNS0_4arch9wavefront6targetE0EEEvSY_.kd
    .uniform_work_group_size: 1
    .uses_dynamic_stack: false
    .vgpr_count:     0
    .vgpr_spill_count: 0
    .wavefront_size: 32
    .workgroup_processor_mode: 1
  - .args:
      - .offset:         0
        .size:           144
        .value_kind:     by_value
    .group_segment_fixed_size: 0
    .kernarg_segment_align: 8
    .kernarg_segment_size: 144
    .language:       OpenCL C
    .language_version:
      - 2
      - 0
    .max_flat_workgroup_size: 256
    .name:           _ZN7rocprim17ROCPRIM_400000_NS6detail17trampoline_kernelINS0_13select_configILj256ELj13ELNS0_17block_load_methodE3ELS4_3ELS4_3ELNS0_20block_scan_algorithmE0ELj4294967295EEENS1_25partition_config_selectorILNS1_17partition_subalgoE3EjNS0_10empty_typeEbEEZZNS1_14partition_implILS8_3ELb0ES6_jNS0_17counting_iteratorIjlEEPS9_SE_NS0_5tupleIJPjSE_EEENSF_IJSE_SE_EEES9_SG_JZNS1_25segmented_radix_sort_implINS0_14default_configELb0EPKdPdPKlPlN2at6native12_GLOBAL__N_18offset_tEEE10hipError_tPvRmT1_PNSt15iterator_traitsISY_E10value_typeET2_T3_PNSZ_IS14_E10value_typeET4_jRbjT5_S1A_jjP12ihipStream_tbEUljE_EEESV_SW_SX_S14_S18_S1A_T6_T7_T9_mT8_S1C_bDpT10_ENKUlT_T0_E_clISt17integral_constantIbLb0EES1P_EEDaS1K_S1L_EUlS1K_E_NS1_11comp_targetILNS1_3genE5ELNS1_11target_archE942ELNS1_3gpuE9ELNS1_3repE0EEENS1_30default_config_static_selectorELNS0_4arch9wavefront6targetE0EEEvSY_
    .private_segment_fixed_size: 0
    .sgpr_count:     0
    .sgpr_spill_count: 0
    .symbol:         _ZN7rocprim17ROCPRIM_400000_NS6detail17trampoline_kernelINS0_13select_configILj256ELj13ELNS0_17block_load_methodE3ELS4_3ELS4_3ELNS0_20block_scan_algorithmE0ELj4294967295EEENS1_25partition_config_selectorILNS1_17partition_subalgoE3EjNS0_10empty_typeEbEEZZNS1_14partition_implILS8_3ELb0ES6_jNS0_17counting_iteratorIjlEEPS9_SE_NS0_5tupleIJPjSE_EEENSF_IJSE_SE_EEES9_SG_JZNS1_25segmented_radix_sort_implINS0_14default_configELb0EPKdPdPKlPlN2at6native12_GLOBAL__N_18offset_tEEE10hipError_tPvRmT1_PNSt15iterator_traitsISY_E10value_typeET2_T3_PNSZ_IS14_E10value_typeET4_jRbjT5_S1A_jjP12ihipStream_tbEUljE_EEESV_SW_SX_S14_S18_S1A_T6_T7_T9_mT8_S1C_bDpT10_ENKUlT_T0_E_clISt17integral_constantIbLb0EES1P_EEDaS1K_S1L_EUlS1K_E_NS1_11comp_targetILNS1_3genE5ELNS1_11target_archE942ELNS1_3gpuE9ELNS1_3repE0EEENS1_30default_config_static_selectorELNS0_4arch9wavefront6targetE0EEEvSY_.kd
    .uniform_work_group_size: 1
    .uses_dynamic_stack: false
    .vgpr_count:     0
    .vgpr_spill_count: 0
    .wavefront_size: 32
    .workgroup_processor_mode: 1
  - .args:
      - .offset:         0
        .size:           144
        .value_kind:     by_value
    .group_segment_fixed_size: 0
    .kernarg_segment_align: 8
    .kernarg_segment_size: 144
    .language:       OpenCL C
    .language_version:
      - 2
      - 0
    .max_flat_workgroup_size: 256
    .name:           _ZN7rocprim17ROCPRIM_400000_NS6detail17trampoline_kernelINS0_13select_configILj256ELj13ELNS0_17block_load_methodE3ELS4_3ELS4_3ELNS0_20block_scan_algorithmE0ELj4294967295EEENS1_25partition_config_selectorILNS1_17partition_subalgoE3EjNS0_10empty_typeEbEEZZNS1_14partition_implILS8_3ELb0ES6_jNS0_17counting_iteratorIjlEEPS9_SE_NS0_5tupleIJPjSE_EEENSF_IJSE_SE_EEES9_SG_JZNS1_25segmented_radix_sort_implINS0_14default_configELb0EPKdPdPKlPlN2at6native12_GLOBAL__N_18offset_tEEE10hipError_tPvRmT1_PNSt15iterator_traitsISY_E10value_typeET2_T3_PNSZ_IS14_E10value_typeET4_jRbjT5_S1A_jjP12ihipStream_tbEUljE_EEESV_SW_SX_S14_S18_S1A_T6_T7_T9_mT8_S1C_bDpT10_ENKUlT_T0_E_clISt17integral_constantIbLb0EES1P_EEDaS1K_S1L_EUlS1K_E_NS1_11comp_targetILNS1_3genE4ELNS1_11target_archE910ELNS1_3gpuE8ELNS1_3repE0EEENS1_30default_config_static_selectorELNS0_4arch9wavefront6targetE0EEEvSY_
    .private_segment_fixed_size: 0
    .sgpr_count:     0
    .sgpr_spill_count: 0
    .symbol:         _ZN7rocprim17ROCPRIM_400000_NS6detail17trampoline_kernelINS0_13select_configILj256ELj13ELNS0_17block_load_methodE3ELS4_3ELS4_3ELNS0_20block_scan_algorithmE0ELj4294967295EEENS1_25partition_config_selectorILNS1_17partition_subalgoE3EjNS0_10empty_typeEbEEZZNS1_14partition_implILS8_3ELb0ES6_jNS0_17counting_iteratorIjlEEPS9_SE_NS0_5tupleIJPjSE_EEENSF_IJSE_SE_EEES9_SG_JZNS1_25segmented_radix_sort_implINS0_14default_configELb0EPKdPdPKlPlN2at6native12_GLOBAL__N_18offset_tEEE10hipError_tPvRmT1_PNSt15iterator_traitsISY_E10value_typeET2_T3_PNSZ_IS14_E10value_typeET4_jRbjT5_S1A_jjP12ihipStream_tbEUljE_EEESV_SW_SX_S14_S18_S1A_T6_T7_T9_mT8_S1C_bDpT10_ENKUlT_T0_E_clISt17integral_constantIbLb0EES1P_EEDaS1K_S1L_EUlS1K_E_NS1_11comp_targetILNS1_3genE4ELNS1_11target_archE910ELNS1_3gpuE8ELNS1_3repE0EEENS1_30default_config_static_selectorELNS0_4arch9wavefront6targetE0EEEvSY_.kd
    .uniform_work_group_size: 1
    .uses_dynamic_stack: false
    .vgpr_count:     0
    .vgpr_spill_count: 0
    .wavefront_size: 32
    .workgroup_processor_mode: 1
  - .args:
      - .offset:         0
        .size:           144
        .value_kind:     by_value
    .group_segment_fixed_size: 0
    .kernarg_segment_align: 8
    .kernarg_segment_size: 144
    .language:       OpenCL C
    .language_version:
      - 2
      - 0
    .max_flat_workgroup_size: 256
    .name:           _ZN7rocprim17ROCPRIM_400000_NS6detail17trampoline_kernelINS0_13select_configILj256ELj13ELNS0_17block_load_methodE3ELS4_3ELS4_3ELNS0_20block_scan_algorithmE0ELj4294967295EEENS1_25partition_config_selectorILNS1_17partition_subalgoE3EjNS0_10empty_typeEbEEZZNS1_14partition_implILS8_3ELb0ES6_jNS0_17counting_iteratorIjlEEPS9_SE_NS0_5tupleIJPjSE_EEENSF_IJSE_SE_EEES9_SG_JZNS1_25segmented_radix_sort_implINS0_14default_configELb0EPKdPdPKlPlN2at6native12_GLOBAL__N_18offset_tEEE10hipError_tPvRmT1_PNSt15iterator_traitsISY_E10value_typeET2_T3_PNSZ_IS14_E10value_typeET4_jRbjT5_S1A_jjP12ihipStream_tbEUljE_EEESV_SW_SX_S14_S18_S1A_T6_T7_T9_mT8_S1C_bDpT10_ENKUlT_T0_E_clISt17integral_constantIbLb0EES1P_EEDaS1K_S1L_EUlS1K_E_NS1_11comp_targetILNS1_3genE3ELNS1_11target_archE908ELNS1_3gpuE7ELNS1_3repE0EEENS1_30default_config_static_selectorELNS0_4arch9wavefront6targetE0EEEvSY_
    .private_segment_fixed_size: 0
    .sgpr_count:     0
    .sgpr_spill_count: 0
    .symbol:         _ZN7rocprim17ROCPRIM_400000_NS6detail17trampoline_kernelINS0_13select_configILj256ELj13ELNS0_17block_load_methodE3ELS4_3ELS4_3ELNS0_20block_scan_algorithmE0ELj4294967295EEENS1_25partition_config_selectorILNS1_17partition_subalgoE3EjNS0_10empty_typeEbEEZZNS1_14partition_implILS8_3ELb0ES6_jNS0_17counting_iteratorIjlEEPS9_SE_NS0_5tupleIJPjSE_EEENSF_IJSE_SE_EEES9_SG_JZNS1_25segmented_radix_sort_implINS0_14default_configELb0EPKdPdPKlPlN2at6native12_GLOBAL__N_18offset_tEEE10hipError_tPvRmT1_PNSt15iterator_traitsISY_E10value_typeET2_T3_PNSZ_IS14_E10value_typeET4_jRbjT5_S1A_jjP12ihipStream_tbEUljE_EEESV_SW_SX_S14_S18_S1A_T6_T7_T9_mT8_S1C_bDpT10_ENKUlT_T0_E_clISt17integral_constantIbLb0EES1P_EEDaS1K_S1L_EUlS1K_E_NS1_11comp_targetILNS1_3genE3ELNS1_11target_archE908ELNS1_3gpuE7ELNS1_3repE0EEENS1_30default_config_static_selectorELNS0_4arch9wavefront6targetE0EEEvSY_.kd
    .uniform_work_group_size: 1
    .uses_dynamic_stack: false
    .vgpr_count:     0
    .vgpr_spill_count: 0
    .wavefront_size: 32
    .workgroup_processor_mode: 1
  - .args:
      - .offset:         0
        .size:           144
        .value_kind:     by_value
    .group_segment_fixed_size: 0
    .kernarg_segment_align: 8
    .kernarg_segment_size: 144
    .language:       OpenCL C
    .language_version:
      - 2
      - 0
    .max_flat_workgroup_size: 256
    .name:           _ZN7rocprim17ROCPRIM_400000_NS6detail17trampoline_kernelINS0_13select_configILj256ELj13ELNS0_17block_load_methodE3ELS4_3ELS4_3ELNS0_20block_scan_algorithmE0ELj4294967295EEENS1_25partition_config_selectorILNS1_17partition_subalgoE3EjNS0_10empty_typeEbEEZZNS1_14partition_implILS8_3ELb0ES6_jNS0_17counting_iteratorIjlEEPS9_SE_NS0_5tupleIJPjSE_EEENSF_IJSE_SE_EEES9_SG_JZNS1_25segmented_radix_sort_implINS0_14default_configELb0EPKdPdPKlPlN2at6native12_GLOBAL__N_18offset_tEEE10hipError_tPvRmT1_PNSt15iterator_traitsISY_E10value_typeET2_T3_PNSZ_IS14_E10value_typeET4_jRbjT5_S1A_jjP12ihipStream_tbEUljE_EEESV_SW_SX_S14_S18_S1A_T6_T7_T9_mT8_S1C_bDpT10_ENKUlT_T0_E_clISt17integral_constantIbLb0EES1P_EEDaS1K_S1L_EUlS1K_E_NS1_11comp_targetILNS1_3genE2ELNS1_11target_archE906ELNS1_3gpuE6ELNS1_3repE0EEENS1_30default_config_static_selectorELNS0_4arch9wavefront6targetE0EEEvSY_
    .private_segment_fixed_size: 0
    .sgpr_count:     0
    .sgpr_spill_count: 0
    .symbol:         _ZN7rocprim17ROCPRIM_400000_NS6detail17trampoline_kernelINS0_13select_configILj256ELj13ELNS0_17block_load_methodE3ELS4_3ELS4_3ELNS0_20block_scan_algorithmE0ELj4294967295EEENS1_25partition_config_selectorILNS1_17partition_subalgoE3EjNS0_10empty_typeEbEEZZNS1_14partition_implILS8_3ELb0ES6_jNS0_17counting_iteratorIjlEEPS9_SE_NS0_5tupleIJPjSE_EEENSF_IJSE_SE_EEES9_SG_JZNS1_25segmented_radix_sort_implINS0_14default_configELb0EPKdPdPKlPlN2at6native12_GLOBAL__N_18offset_tEEE10hipError_tPvRmT1_PNSt15iterator_traitsISY_E10value_typeET2_T3_PNSZ_IS14_E10value_typeET4_jRbjT5_S1A_jjP12ihipStream_tbEUljE_EEESV_SW_SX_S14_S18_S1A_T6_T7_T9_mT8_S1C_bDpT10_ENKUlT_T0_E_clISt17integral_constantIbLb0EES1P_EEDaS1K_S1L_EUlS1K_E_NS1_11comp_targetILNS1_3genE2ELNS1_11target_archE906ELNS1_3gpuE6ELNS1_3repE0EEENS1_30default_config_static_selectorELNS0_4arch9wavefront6targetE0EEEvSY_.kd
    .uniform_work_group_size: 1
    .uses_dynamic_stack: false
    .vgpr_count:     0
    .vgpr_spill_count: 0
    .wavefront_size: 32
    .workgroup_processor_mode: 1
  - .args:
      - .offset:         0
        .size:           144
        .value_kind:     by_value
    .group_segment_fixed_size: 13320
    .kernarg_segment_align: 8
    .kernarg_segment_size: 144
    .language:       OpenCL C
    .language_version:
      - 2
      - 0
    .max_flat_workgroup_size: 256
    .name:           _ZN7rocprim17ROCPRIM_400000_NS6detail17trampoline_kernelINS0_13select_configILj256ELj13ELNS0_17block_load_methodE3ELS4_3ELS4_3ELNS0_20block_scan_algorithmE0ELj4294967295EEENS1_25partition_config_selectorILNS1_17partition_subalgoE3EjNS0_10empty_typeEbEEZZNS1_14partition_implILS8_3ELb0ES6_jNS0_17counting_iteratorIjlEEPS9_SE_NS0_5tupleIJPjSE_EEENSF_IJSE_SE_EEES9_SG_JZNS1_25segmented_radix_sort_implINS0_14default_configELb0EPKdPdPKlPlN2at6native12_GLOBAL__N_18offset_tEEE10hipError_tPvRmT1_PNSt15iterator_traitsISY_E10value_typeET2_T3_PNSZ_IS14_E10value_typeET4_jRbjT5_S1A_jjP12ihipStream_tbEUljE_EEESV_SW_SX_S14_S18_S1A_T6_T7_T9_mT8_S1C_bDpT10_ENKUlT_T0_E_clISt17integral_constantIbLb0EES1P_EEDaS1K_S1L_EUlS1K_E_NS1_11comp_targetILNS1_3genE10ELNS1_11target_archE1200ELNS1_3gpuE4ELNS1_3repE0EEENS1_30default_config_static_selectorELNS0_4arch9wavefront6targetE0EEEvSY_
    .private_segment_fixed_size: 0
    .sgpr_count:     28
    .sgpr_spill_count: 0
    .symbol:         _ZN7rocprim17ROCPRIM_400000_NS6detail17trampoline_kernelINS0_13select_configILj256ELj13ELNS0_17block_load_methodE3ELS4_3ELS4_3ELNS0_20block_scan_algorithmE0ELj4294967295EEENS1_25partition_config_selectorILNS1_17partition_subalgoE3EjNS0_10empty_typeEbEEZZNS1_14partition_implILS8_3ELb0ES6_jNS0_17counting_iteratorIjlEEPS9_SE_NS0_5tupleIJPjSE_EEENSF_IJSE_SE_EEES9_SG_JZNS1_25segmented_radix_sort_implINS0_14default_configELb0EPKdPdPKlPlN2at6native12_GLOBAL__N_18offset_tEEE10hipError_tPvRmT1_PNSt15iterator_traitsISY_E10value_typeET2_T3_PNSZ_IS14_E10value_typeET4_jRbjT5_S1A_jjP12ihipStream_tbEUljE_EEESV_SW_SX_S14_S18_S1A_T6_T7_T9_mT8_S1C_bDpT10_ENKUlT_T0_E_clISt17integral_constantIbLb0EES1P_EEDaS1K_S1L_EUlS1K_E_NS1_11comp_targetILNS1_3genE10ELNS1_11target_archE1200ELNS1_3gpuE4ELNS1_3repE0EEENS1_30default_config_static_selectorELNS0_4arch9wavefront6targetE0EEEvSY_.kd
    .uniform_work_group_size: 1
    .uses_dynamic_stack: false
    .vgpr_count:     69
    .vgpr_spill_count: 0
    .wavefront_size: 32
    .workgroup_processor_mode: 1
  - .args:
      - .offset:         0
        .size:           144
        .value_kind:     by_value
    .group_segment_fixed_size: 0
    .kernarg_segment_align: 8
    .kernarg_segment_size: 144
    .language:       OpenCL C
    .language_version:
      - 2
      - 0
    .max_flat_workgroup_size: 256
    .name:           _ZN7rocprim17ROCPRIM_400000_NS6detail17trampoline_kernelINS0_13select_configILj256ELj13ELNS0_17block_load_methodE3ELS4_3ELS4_3ELNS0_20block_scan_algorithmE0ELj4294967295EEENS1_25partition_config_selectorILNS1_17partition_subalgoE3EjNS0_10empty_typeEbEEZZNS1_14partition_implILS8_3ELb0ES6_jNS0_17counting_iteratorIjlEEPS9_SE_NS0_5tupleIJPjSE_EEENSF_IJSE_SE_EEES9_SG_JZNS1_25segmented_radix_sort_implINS0_14default_configELb0EPKdPdPKlPlN2at6native12_GLOBAL__N_18offset_tEEE10hipError_tPvRmT1_PNSt15iterator_traitsISY_E10value_typeET2_T3_PNSZ_IS14_E10value_typeET4_jRbjT5_S1A_jjP12ihipStream_tbEUljE_EEESV_SW_SX_S14_S18_S1A_T6_T7_T9_mT8_S1C_bDpT10_ENKUlT_T0_E_clISt17integral_constantIbLb0EES1P_EEDaS1K_S1L_EUlS1K_E_NS1_11comp_targetILNS1_3genE9ELNS1_11target_archE1100ELNS1_3gpuE3ELNS1_3repE0EEENS1_30default_config_static_selectorELNS0_4arch9wavefront6targetE0EEEvSY_
    .private_segment_fixed_size: 0
    .sgpr_count:     0
    .sgpr_spill_count: 0
    .symbol:         _ZN7rocprim17ROCPRIM_400000_NS6detail17trampoline_kernelINS0_13select_configILj256ELj13ELNS0_17block_load_methodE3ELS4_3ELS4_3ELNS0_20block_scan_algorithmE0ELj4294967295EEENS1_25partition_config_selectorILNS1_17partition_subalgoE3EjNS0_10empty_typeEbEEZZNS1_14partition_implILS8_3ELb0ES6_jNS0_17counting_iteratorIjlEEPS9_SE_NS0_5tupleIJPjSE_EEENSF_IJSE_SE_EEES9_SG_JZNS1_25segmented_radix_sort_implINS0_14default_configELb0EPKdPdPKlPlN2at6native12_GLOBAL__N_18offset_tEEE10hipError_tPvRmT1_PNSt15iterator_traitsISY_E10value_typeET2_T3_PNSZ_IS14_E10value_typeET4_jRbjT5_S1A_jjP12ihipStream_tbEUljE_EEESV_SW_SX_S14_S18_S1A_T6_T7_T9_mT8_S1C_bDpT10_ENKUlT_T0_E_clISt17integral_constantIbLb0EES1P_EEDaS1K_S1L_EUlS1K_E_NS1_11comp_targetILNS1_3genE9ELNS1_11target_archE1100ELNS1_3gpuE3ELNS1_3repE0EEENS1_30default_config_static_selectorELNS0_4arch9wavefront6targetE0EEEvSY_.kd
    .uniform_work_group_size: 1
    .uses_dynamic_stack: false
    .vgpr_count:     0
    .vgpr_spill_count: 0
    .wavefront_size: 32
    .workgroup_processor_mode: 1
  - .args:
      - .offset:         0
        .size:           144
        .value_kind:     by_value
    .group_segment_fixed_size: 0
    .kernarg_segment_align: 8
    .kernarg_segment_size: 144
    .language:       OpenCL C
    .language_version:
      - 2
      - 0
    .max_flat_workgroup_size: 256
    .name:           _ZN7rocprim17ROCPRIM_400000_NS6detail17trampoline_kernelINS0_13select_configILj256ELj13ELNS0_17block_load_methodE3ELS4_3ELS4_3ELNS0_20block_scan_algorithmE0ELj4294967295EEENS1_25partition_config_selectorILNS1_17partition_subalgoE3EjNS0_10empty_typeEbEEZZNS1_14partition_implILS8_3ELb0ES6_jNS0_17counting_iteratorIjlEEPS9_SE_NS0_5tupleIJPjSE_EEENSF_IJSE_SE_EEES9_SG_JZNS1_25segmented_radix_sort_implINS0_14default_configELb0EPKdPdPKlPlN2at6native12_GLOBAL__N_18offset_tEEE10hipError_tPvRmT1_PNSt15iterator_traitsISY_E10value_typeET2_T3_PNSZ_IS14_E10value_typeET4_jRbjT5_S1A_jjP12ihipStream_tbEUljE_EEESV_SW_SX_S14_S18_S1A_T6_T7_T9_mT8_S1C_bDpT10_ENKUlT_T0_E_clISt17integral_constantIbLb0EES1P_EEDaS1K_S1L_EUlS1K_E_NS1_11comp_targetILNS1_3genE8ELNS1_11target_archE1030ELNS1_3gpuE2ELNS1_3repE0EEENS1_30default_config_static_selectorELNS0_4arch9wavefront6targetE0EEEvSY_
    .private_segment_fixed_size: 0
    .sgpr_count:     0
    .sgpr_spill_count: 0
    .symbol:         _ZN7rocprim17ROCPRIM_400000_NS6detail17trampoline_kernelINS0_13select_configILj256ELj13ELNS0_17block_load_methodE3ELS4_3ELS4_3ELNS0_20block_scan_algorithmE0ELj4294967295EEENS1_25partition_config_selectorILNS1_17partition_subalgoE3EjNS0_10empty_typeEbEEZZNS1_14partition_implILS8_3ELb0ES6_jNS0_17counting_iteratorIjlEEPS9_SE_NS0_5tupleIJPjSE_EEENSF_IJSE_SE_EEES9_SG_JZNS1_25segmented_radix_sort_implINS0_14default_configELb0EPKdPdPKlPlN2at6native12_GLOBAL__N_18offset_tEEE10hipError_tPvRmT1_PNSt15iterator_traitsISY_E10value_typeET2_T3_PNSZ_IS14_E10value_typeET4_jRbjT5_S1A_jjP12ihipStream_tbEUljE_EEESV_SW_SX_S14_S18_S1A_T6_T7_T9_mT8_S1C_bDpT10_ENKUlT_T0_E_clISt17integral_constantIbLb0EES1P_EEDaS1K_S1L_EUlS1K_E_NS1_11comp_targetILNS1_3genE8ELNS1_11target_archE1030ELNS1_3gpuE2ELNS1_3repE0EEENS1_30default_config_static_selectorELNS0_4arch9wavefront6targetE0EEEvSY_.kd
    .uniform_work_group_size: 1
    .uses_dynamic_stack: false
    .vgpr_count:     0
    .vgpr_spill_count: 0
    .wavefront_size: 32
    .workgroup_processor_mode: 1
  - .args:
      - .offset:         0
        .size:           152
        .value_kind:     by_value
    .group_segment_fixed_size: 0
    .kernarg_segment_align: 8
    .kernarg_segment_size: 152
    .language:       OpenCL C
    .language_version:
      - 2
      - 0
    .max_flat_workgroup_size: 256
    .name:           _ZN7rocprim17ROCPRIM_400000_NS6detail17trampoline_kernelINS0_13select_configILj256ELj13ELNS0_17block_load_methodE3ELS4_3ELS4_3ELNS0_20block_scan_algorithmE0ELj4294967295EEENS1_25partition_config_selectorILNS1_17partition_subalgoE3EjNS0_10empty_typeEbEEZZNS1_14partition_implILS8_3ELb0ES6_jNS0_17counting_iteratorIjlEEPS9_SE_NS0_5tupleIJPjSE_EEENSF_IJSE_SE_EEES9_SG_JZNS1_25segmented_radix_sort_implINS0_14default_configELb0EPKdPdPKlPlN2at6native12_GLOBAL__N_18offset_tEEE10hipError_tPvRmT1_PNSt15iterator_traitsISY_E10value_typeET2_T3_PNSZ_IS14_E10value_typeET4_jRbjT5_S1A_jjP12ihipStream_tbEUljE_EEESV_SW_SX_S14_S18_S1A_T6_T7_T9_mT8_S1C_bDpT10_ENKUlT_T0_E_clISt17integral_constantIbLb1EES1P_EEDaS1K_S1L_EUlS1K_E_NS1_11comp_targetILNS1_3genE0ELNS1_11target_archE4294967295ELNS1_3gpuE0ELNS1_3repE0EEENS1_30default_config_static_selectorELNS0_4arch9wavefront6targetE0EEEvSY_
    .private_segment_fixed_size: 0
    .sgpr_count:     0
    .sgpr_spill_count: 0
    .symbol:         _ZN7rocprim17ROCPRIM_400000_NS6detail17trampoline_kernelINS0_13select_configILj256ELj13ELNS0_17block_load_methodE3ELS4_3ELS4_3ELNS0_20block_scan_algorithmE0ELj4294967295EEENS1_25partition_config_selectorILNS1_17partition_subalgoE3EjNS0_10empty_typeEbEEZZNS1_14partition_implILS8_3ELb0ES6_jNS0_17counting_iteratorIjlEEPS9_SE_NS0_5tupleIJPjSE_EEENSF_IJSE_SE_EEES9_SG_JZNS1_25segmented_radix_sort_implINS0_14default_configELb0EPKdPdPKlPlN2at6native12_GLOBAL__N_18offset_tEEE10hipError_tPvRmT1_PNSt15iterator_traitsISY_E10value_typeET2_T3_PNSZ_IS14_E10value_typeET4_jRbjT5_S1A_jjP12ihipStream_tbEUljE_EEESV_SW_SX_S14_S18_S1A_T6_T7_T9_mT8_S1C_bDpT10_ENKUlT_T0_E_clISt17integral_constantIbLb1EES1P_EEDaS1K_S1L_EUlS1K_E_NS1_11comp_targetILNS1_3genE0ELNS1_11target_archE4294967295ELNS1_3gpuE0ELNS1_3repE0EEENS1_30default_config_static_selectorELNS0_4arch9wavefront6targetE0EEEvSY_.kd
    .uniform_work_group_size: 1
    .uses_dynamic_stack: false
    .vgpr_count:     0
    .vgpr_spill_count: 0
    .wavefront_size: 32
    .workgroup_processor_mode: 1
  - .args:
      - .offset:         0
        .size:           152
        .value_kind:     by_value
    .group_segment_fixed_size: 0
    .kernarg_segment_align: 8
    .kernarg_segment_size: 152
    .language:       OpenCL C
    .language_version:
      - 2
      - 0
    .max_flat_workgroup_size: 256
    .name:           _ZN7rocprim17ROCPRIM_400000_NS6detail17trampoline_kernelINS0_13select_configILj256ELj13ELNS0_17block_load_methodE3ELS4_3ELS4_3ELNS0_20block_scan_algorithmE0ELj4294967295EEENS1_25partition_config_selectorILNS1_17partition_subalgoE3EjNS0_10empty_typeEbEEZZNS1_14partition_implILS8_3ELb0ES6_jNS0_17counting_iteratorIjlEEPS9_SE_NS0_5tupleIJPjSE_EEENSF_IJSE_SE_EEES9_SG_JZNS1_25segmented_radix_sort_implINS0_14default_configELb0EPKdPdPKlPlN2at6native12_GLOBAL__N_18offset_tEEE10hipError_tPvRmT1_PNSt15iterator_traitsISY_E10value_typeET2_T3_PNSZ_IS14_E10value_typeET4_jRbjT5_S1A_jjP12ihipStream_tbEUljE_EEESV_SW_SX_S14_S18_S1A_T6_T7_T9_mT8_S1C_bDpT10_ENKUlT_T0_E_clISt17integral_constantIbLb1EES1P_EEDaS1K_S1L_EUlS1K_E_NS1_11comp_targetILNS1_3genE5ELNS1_11target_archE942ELNS1_3gpuE9ELNS1_3repE0EEENS1_30default_config_static_selectorELNS0_4arch9wavefront6targetE0EEEvSY_
    .private_segment_fixed_size: 0
    .sgpr_count:     0
    .sgpr_spill_count: 0
    .symbol:         _ZN7rocprim17ROCPRIM_400000_NS6detail17trampoline_kernelINS0_13select_configILj256ELj13ELNS0_17block_load_methodE3ELS4_3ELS4_3ELNS0_20block_scan_algorithmE0ELj4294967295EEENS1_25partition_config_selectorILNS1_17partition_subalgoE3EjNS0_10empty_typeEbEEZZNS1_14partition_implILS8_3ELb0ES6_jNS0_17counting_iteratorIjlEEPS9_SE_NS0_5tupleIJPjSE_EEENSF_IJSE_SE_EEES9_SG_JZNS1_25segmented_radix_sort_implINS0_14default_configELb0EPKdPdPKlPlN2at6native12_GLOBAL__N_18offset_tEEE10hipError_tPvRmT1_PNSt15iterator_traitsISY_E10value_typeET2_T3_PNSZ_IS14_E10value_typeET4_jRbjT5_S1A_jjP12ihipStream_tbEUljE_EEESV_SW_SX_S14_S18_S1A_T6_T7_T9_mT8_S1C_bDpT10_ENKUlT_T0_E_clISt17integral_constantIbLb1EES1P_EEDaS1K_S1L_EUlS1K_E_NS1_11comp_targetILNS1_3genE5ELNS1_11target_archE942ELNS1_3gpuE9ELNS1_3repE0EEENS1_30default_config_static_selectorELNS0_4arch9wavefront6targetE0EEEvSY_.kd
    .uniform_work_group_size: 1
    .uses_dynamic_stack: false
    .vgpr_count:     0
    .vgpr_spill_count: 0
    .wavefront_size: 32
    .workgroup_processor_mode: 1
  - .args:
      - .offset:         0
        .size:           152
        .value_kind:     by_value
    .group_segment_fixed_size: 0
    .kernarg_segment_align: 8
    .kernarg_segment_size: 152
    .language:       OpenCL C
    .language_version:
      - 2
      - 0
    .max_flat_workgroup_size: 256
    .name:           _ZN7rocprim17ROCPRIM_400000_NS6detail17trampoline_kernelINS0_13select_configILj256ELj13ELNS0_17block_load_methodE3ELS4_3ELS4_3ELNS0_20block_scan_algorithmE0ELj4294967295EEENS1_25partition_config_selectorILNS1_17partition_subalgoE3EjNS0_10empty_typeEbEEZZNS1_14partition_implILS8_3ELb0ES6_jNS0_17counting_iteratorIjlEEPS9_SE_NS0_5tupleIJPjSE_EEENSF_IJSE_SE_EEES9_SG_JZNS1_25segmented_radix_sort_implINS0_14default_configELb0EPKdPdPKlPlN2at6native12_GLOBAL__N_18offset_tEEE10hipError_tPvRmT1_PNSt15iterator_traitsISY_E10value_typeET2_T3_PNSZ_IS14_E10value_typeET4_jRbjT5_S1A_jjP12ihipStream_tbEUljE_EEESV_SW_SX_S14_S18_S1A_T6_T7_T9_mT8_S1C_bDpT10_ENKUlT_T0_E_clISt17integral_constantIbLb1EES1P_EEDaS1K_S1L_EUlS1K_E_NS1_11comp_targetILNS1_3genE4ELNS1_11target_archE910ELNS1_3gpuE8ELNS1_3repE0EEENS1_30default_config_static_selectorELNS0_4arch9wavefront6targetE0EEEvSY_
    .private_segment_fixed_size: 0
    .sgpr_count:     0
    .sgpr_spill_count: 0
    .symbol:         _ZN7rocprim17ROCPRIM_400000_NS6detail17trampoline_kernelINS0_13select_configILj256ELj13ELNS0_17block_load_methodE3ELS4_3ELS4_3ELNS0_20block_scan_algorithmE0ELj4294967295EEENS1_25partition_config_selectorILNS1_17partition_subalgoE3EjNS0_10empty_typeEbEEZZNS1_14partition_implILS8_3ELb0ES6_jNS0_17counting_iteratorIjlEEPS9_SE_NS0_5tupleIJPjSE_EEENSF_IJSE_SE_EEES9_SG_JZNS1_25segmented_radix_sort_implINS0_14default_configELb0EPKdPdPKlPlN2at6native12_GLOBAL__N_18offset_tEEE10hipError_tPvRmT1_PNSt15iterator_traitsISY_E10value_typeET2_T3_PNSZ_IS14_E10value_typeET4_jRbjT5_S1A_jjP12ihipStream_tbEUljE_EEESV_SW_SX_S14_S18_S1A_T6_T7_T9_mT8_S1C_bDpT10_ENKUlT_T0_E_clISt17integral_constantIbLb1EES1P_EEDaS1K_S1L_EUlS1K_E_NS1_11comp_targetILNS1_3genE4ELNS1_11target_archE910ELNS1_3gpuE8ELNS1_3repE0EEENS1_30default_config_static_selectorELNS0_4arch9wavefront6targetE0EEEvSY_.kd
    .uniform_work_group_size: 1
    .uses_dynamic_stack: false
    .vgpr_count:     0
    .vgpr_spill_count: 0
    .wavefront_size: 32
    .workgroup_processor_mode: 1
  - .args:
      - .offset:         0
        .size:           152
        .value_kind:     by_value
    .group_segment_fixed_size: 0
    .kernarg_segment_align: 8
    .kernarg_segment_size: 152
    .language:       OpenCL C
    .language_version:
      - 2
      - 0
    .max_flat_workgroup_size: 256
    .name:           _ZN7rocprim17ROCPRIM_400000_NS6detail17trampoline_kernelINS0_13select_configILj256ELj13ELNS0_17block_load_methodE3ELS4_3ELS4_3ELNS0_20block_scan_algorithmE0ELj4294967295EEENS1_25partition_config_selectorILNS1_17partition_subalgoE3EjNS0_10empty_typeEbEEZZNS1_14partition_implILS8_3ELb0ES6_jNS0_17counting_iteratorIjlEEPS9_SE_NS0_5tupleIJPjSE_EEENSF_IJSE_SE_EEES9_SG_JZNS1_25segmented_radix_sort_implINS0_14default_configELb0EPKdPdPKlPlN2at6native12_GLOBAL__N_18offset_tEEE10hipError_tPvRmT1_PNSt15iterator_traitsISY_E10value_typeET2_T3_PNSZ_IS14_E10value_typeET4_jRbjT5_S1A_jjP12ihipStream_tbEUljE_EEESV_SW_SX_S14_S18_S1A_T6_T7_T9_mT8_S1C_bDpT10_ENKUlT_T0_E_clISt17integral_constantIbLb1EES1P_EEDaS1K_S1L_EUlS1K_E_NS1_11comp_targetILNS1_3genE3ELNS1_11target_archE908ELNS1_3gpuE7ELNS1_3repE0EEENS1_30default_config_static_selectorELNS0_4arch9wavefront6targetE0EEEvSY_
    .private_segment_fixed_size: 0
    .sgpr_count:     0
    .sgpr_spill_count: 0
    .symbol:         _ZN7rocprim17ROCPRIM_400000_NS6detail17trampoline_kernelINS0_13select_configILj256ELj13ELNS0_17block_load_methodE3ELS4_3ELS4_3ELNS0_20block_scan_algorithmE0ELj4294967295EEENS1_25partition_config_selectorILNS1_17partition_subalgoE3EjNS0_10empty_typeEbEEZZNS1_14partition_implILS8_3ELb0ES6_jNS0_17counting_iteratorIjlEEPS9_SE_NS0_5tupleIJPjSE_EEENSF_IJSE_SE_EEES9_SG_JZNS1_25segmented_radix_sort_implINS0_14default_configELb0EPKdPdPKlPlN2at6native12_GLOBAL__N_18offset_tEEE10hipError_tPvRmT1_PNSt15iterator_traitsISY_E10value_typeET2_T3_PNSZ_IS14_E10value_typeET4_jRbjT5_S1A_jjP12ihipStream_tbEUljE_EEESV_SW_SX_S14_S18_S1A_T6_T7_T9_mT8_S1C_bDpT10_ENKUlT_T0_E_clISt17integral_constantIbLb1EES1P_EEDaS1K_S1L_EUlS1K_E_NS1_11comp_targetILNS1_3genE3ELNS1_11target_archE908ELNS1_3gpuE7ELNS1_3repE0EEENS1_30default_config_static_selectorELNS0_4arch9wavefront6targetE0EEEvSY_.kd
    .uniform_work_group_size: 1
    .uses_dynamic_stack: false
    .vgpr_count:     0
    .vgpr_spill_count: 0
    .wavefront_size: 32
    .workgroup_processor_mode: 1
  - .args:
      - .offset:         0
        .size:           152
        .value_kind:     by_value
    .group_segment_fixed_size: 0
    .kernarg_segment_align: 8
    .kernarg_segment_size: 152
    .language:       OpenCL C
    .language_version:
      - 2
      - 0
    .max_flat_workgroup_size: 256
    .name:           _ZN7rocprim17ROCPRIM_400000_NS6detail17trampoline_kernelINS0_13select_configILj256ELj13ELNS0_17block_load_methodE3ELS4_3ELS4_3ELNS0_20block_scan_algorithmE0ELj4294967295EEENS1_25partition_config_selectorILNS1_17partition_subalgoE3EjNS0_10empty_typeEbEEZZNS1_14partition_implILS8_3ELb0ES6_jNS0_17counting_iteratorIjlEEPS9_SE_NS0_5tupleIJPjSE_EEENSF_IJSE_SE_EEES9_SG_JZNS1_25segmented_radix_sort_implINS0_14default_configELb0EPKdPdPKlPlN2at6native12_GLOBAL__N_18offset_tEEE10hipError_tPvRmT1_PNSt15iterator_traitsISY_E10value_typeET2_T3_PNSZ_IS14_E10value_typeET4_jRbjT5_S1A_jjP12ihipStream_tbEUljE_EEESV_SW_SX_S14_S18_S1A_T6_T7_T9_mT8_S1C_bDpT10_ENKUlT_T0_E_clISt17integral_constantIbLb1EES1P_EEDaS1K_S1L_EUlS1K_E_NS1_11comp_targetILNS1_3genE2ELNS1_11target_archE906ELNS1_3gpuE6ELNS1_3repE0EEENS1_30default_config_static_selectorELNS0_4arch9wavefront6targetE0EEEvSY_
    .private_segment_fixed_size: 0
    .sgpr_count:     0
    .sgpr_spill_count: 0
    .symbol:         _ZN7rocprim17ROCPRIM_400000_NS6detail17trampoline_kernelINS0_13select_configILj256ELj13ELNS0_17block_load_methodE3ELS4_3ELS4_3ELNS0_20block_scan_algorithmE0ELj4294967295EEENS1_25partition_config_selectorILNS1_17partition_subalgoE3EjNS0_10empty_typeEbEEZZNS1_14partition_implILS8_3ELb0ES6_jNS0_17counting_iteratorIjlEEPS9_SE_NS0_5tupleIJPjSE_EEENSF_IJSE_SE_EEES9_SG_JZNS1_25segmented_radix_sort_implINS0_14default_configELb0EPKdPdPKlPlN2at6native12_GLOBAL__N_18offset_tEEE10hipError_tPvRmT1_PNSt15iterator_traitsISY_E10value_typeET2_T3_PNSZ_IS14_E10value_typeET4_jRbjT5_S1A_jjP12ihipStream_tbEUljE_EEESV_SW_SX_S14_S18_S1A_T6_T7_T9_mT8_S1C_bDpT10_ENKUlT_T0_E_clISt17integral_constantIbLb1EES1P_EEDaS1K_S1L_EUlS1K_E_NS1_11comp_targetILNS1_3genE2ELNS1_11target_archE906ELNS1_3gpuE6ELNS1_3repE0EEENS1_30default_config_static_selectorELNS0_4arch9wavefront6targetE0EEEvSY_.kd
    .uniform_work_group_size: 1
    .uses_dynamic_stack: false
    .vgpr_count:     0
    .vgpr_spill_count: 0
    .wavefront_size: 32
    .workgroup_processor_mode: 1
  - .args:
      - .offset:         0
        .size:           152
        .value_kind:     by_value
    .group_segment_fixed_size: 0
    .kernarg_segment_align: 8
    .kernarg_segment_size: 152
    .language:       OpenCL C
    .language_version:
      - 2
      - 0
    .max_flat_workgroup_size: 256
    .name:           _ZN7rocprim17ROCPRIM_400000_NS6detail17trampoline_kernelINS0_13select_configILj256ELj13ELNS0_17block_load_methodE3ELS4_3ELS4_3ELNS0_20block_scan_algorithmE0ELj4294967295EEENS1_25partition_config_selectorILNS1_17partition_subalgoE3EjNS0_10empty_typeEbEEZZNS1_14partition_implILS8_3ELb0ES6_jNS0_17counting_iteratorIjlEEPS9_SE_NS0_5tupleIJPjSE_EEENSF_IJSE_SE_EEES9_SG_JZNS1_25segmented_radix_sort_implINS0_14default_configELb0EPKdPdPKlPlN2at6native12_GLOBAL__N_18offset_tEEE10hipError_tPvRmT1_PNSt15iterator_traitsISY_E10value_typeET2_T3_PNSZ_IS14_E10value_typeET4_jRbjT5_S1A_jjP12ihipStream_tbEUljE_EEESV_SW_SX_S14_S18_S1A_T6_T7_T9_mT8_S1C_bDpT10_ENKUlT_T0_E_clISt17integral_constantIbLb1EES1P_EEDaS1K_S1L_EUlS1K_E_NS1_11comp_targetILNS1_3genE10ELNS1_11target_archE1200ELNS1_3gpuE4ELNS1_3repE0EEENS1_30default_config_static_selectorELNS0_4arch9wavefront6targetE0EEEvSY_
    .private_segment_fixed_size: 0
    .sgpr_count:     0
    .sgpr_spill_count: 0
    .symbol:         _ZN7rocprim17ROCPRIM_400000_NS6detail17trampoline_kernelINS0_13select_configILj256ELj13ELNS0_17block_load_methodE3ELS4_3ELS4_3ELNS0_20block_scan_algorithmE0ELj4294967295EEENS1_25partition_config_selectorILNS1_17partition_subalgoE3EjNS0_10empty_typeEbEEZZNS1_14partition_implILS8_3ELb0ES6_jNS0_17counting_iteratorIjlEEPS9_SE_NS0_5tupleIJPjSE_EEENSF_IJSE_SE_EEES9_SG_JZNS1_25segmented_radix_sort_implINS0_14default_configELb0EPKdPdPKlPlN2at6native12_GLOBAL__N_18offset_tEEE10hipError_tPvRmT1_PNSt15iterator_traitsISY_E10value_typeET2_T3_PNSZ_IS14_E10value_typeET4_jRbjT5_S1A_jjP12ihipStream_tbEUljE_EEESV_SW_SX_S14_S18_S1A_T6_T7_T9_mT8_S1C_bDpT10_ENKUlT_T0_E_clISt17integral_constantIbLb1EES1P_EEDaS1K_S1L_EUlS1K_E_NS1_11comp_targetILNS1_3genE10ELNS1_11target_archE1200ELNS1_3gpuE4ELNS1_3repE0EEENS1_30default_config_static_selectorELNS0_4arch9wavefront6targetE0EEEvSY_.kd
    .uniform_work_group_size: 1
    .uses_dynamic_stack: false
    .vgpr_count:     0
    .vgpr_spill_count: 0
    .wavefront_size: 32
    .workgroup_processor_mode: 1
  - .args:
      - .offset:         0
        .size:           152
        .value_kind:     by_value
    .group_segment_fixed_size: 0
    .kernarg_segment_align: 8
    .kernarg_segment_size: 152
    .language:       OpenCL C
    .language_version:
      - 2
      - 0
    .max_flat_workgroup_size: 256
    .name:           _ZN7rocprim17ROCPRIM_400000_NS6detail17trampoline_kernelINS0_13select_configILj256ELj13ELNS0_17block_load_methodE3ELS4_3ELS4_3ELNS0_20block_scan_algorithmE0ELj4294967295EEENS1_25partition_config_selectorILNS1_17partition_subalgoE3EjNS0_10empty_typeEbEEZZNS1_14partition_implILS8_3ELb0ES6_jNS0_17counting_iteratorIjlEEPS9_SE_NS0_5tupleIJPjSE_EEENSF_IJSE_SE_EEES9_SG_JZNS1_25segmented_radix_sort_implINS0_14default_configELb0EPKdPdPKlPlN2at6native12_GLOBAL__N_18offset_tEEE10hipError_tPvRmT1_PNSt15iterator_traitsISY_E10value_typeET2_T3_PNSZ_IS14_E10value_typeET4_jRbjT5_S1A_jjP12ihipStream_tbEUljE_EEESV_SW_SX_S14_S18_S1A_T6_T7_T9_mT8_S1C_bDpT10_ENKUlT_T0_E_clISt17integral_constantIbLb1EES1P_EEDaS1K_S1L_EUlS1K_E_NS1_11comp_targetILNS1_3genE9ELNS1_11target_archE1100ELNS1_3gpuE3ELNS1_3repE0EEENS1_30default_config_static_selectorELNS0_4arch9wavefront6targetE0EEEvSY_
    .private_segment_fixed_size: 0
    .sgpr_count:     0
    .sgpr_spill_count: 0
    .symbol:         _ZN7rocprim17ROCPRIM_400000_NS6detail17trampoline_kernelINS0_13select_configILj256ELj13ELNS0_17block_load_methodE3ELS4_3ELS4_3ELNS0_20block_scan_algorithmE0ELj4294967295EEENS1_25partition_config_selectorILNS1_17partition_subalgoE3EjNS0_10empty_typeEbEEZZNS1_14partition_implILS8_3ELb0ES6_jNS0_17counting_iteratorIjlEEPS9_SE_NS0_5tupleIJPjSE_EEENSF_IJSE_SE_EEES9_SG_JZNS1_25segmented_radix_sort_implINS0_14default_configELb0EPKdPdPKlPlN2at6native12_GLOBAL__N_18offset_tEEE10hipError_tPvRmT1_PNSt15iterator_traitsISY_E10value_typeET2_T3_PNSZ_IS14_E10value_typeET4_jRbjT5_S1A_jjP12ihipStream_tbEUljE_EEESV_SW_SX_S14_S18_S1A_T6_T7_T9_mT8_S1C_bDpT10_ENKUlT_T0_E_clISt17integral_constantIbLb1EES1P_EEDaS1K_S1L_EUlS1K_E_NS1_11comp_targetILNS1_3genE9ELNS1_11target_archE1100ELNS1_3gpuE3ELNS1_3repE0EEENS1_30default_config_static_selectorELNS0_4arch9wavefront6targetE0EEEvSY_.kd
    .uniform_work_group_size: 1
    .uses_dynamic_stack: false
    .vgpr_count:     0
    .vgpr_spill_count: 0
    .wavefront_size: 32
    .workgroup_processor_mode: 1
  - .args:
      - .offset:         0
        .size:           152
        .value_kind:     by_value
    .group_segment_fixed_size: 0
    .kernarg_segment_align: 8
    .kernarg_segment_size: 152
    .language:       OpenCL C
    .language_version:
      - 2
      - 0
    .max_flat_workgroup_size: 256
    .name:           _ZN7rocprim17ROCPRIM_400000_NS6detail17trampoline_kernelINS0_13select_configILj256ELj13ELNS0_17block_load_methodE3ELS4_3ELS4_3ELNS0_20block_scan_algorithmE0ELj4294967295EEENS1_25partition_config_selectorILNS1_17partition_subalgoE3EjNS0_10empty_typeEbEEZZNS1_14partition_implILS8_3ELb0ES6_jNS0_17counting_iteratorIjlEEPS9_SE_NS0_5tupleIJPjSE_EEENSF_IJSE_SE_EEES9_SG_JZNS1_25segmented_radix_sort_implINS0_14default_configELb0EPKdPdPKlPlN2at6native12_GLOBAL__N_18offset_tEEE10hipError_tPvRmT1_PNSt15iterator_traitsISY_E10value_typeET2_T3_PNSZ_IS14_E10value_typeET4_jRbjT5_S1A_jjP12ihipStream_tbEUljE_EEESV_SW_SX_S14_S18_S1A_T6_T7_T9_mT8_S1C_bDpT10_ENKUlT_T0_E_clISt17integral_constantIbLb1EES1P_EEDaS1K_S1L_EUlS1K_E_NS1_11comp_targetILNS1_3genE8ELNS1_11target_archE1030ELNS1_3gpuE2ELNS1_3repE0EEENS1_30default_config_static_selectorELNS0_4arch9wavefront6targetE0EEEvSY_
    .private_segment_fixed_size: 0
    .sgpr_count:     0
    .sgpr_spill_count: 0
    .symbol:         _ZN7rocprim17ROCPRIM_400000_NS6detail17trampoline_kernelINS0_13select_configILj256ELj13ELNS0_17block_load_methodE3ELS4_3ELS4_3ELNS0_20block_scan_algorithmE0ELj4294967295EEENS1_25partition_config_selectorILNS1_17partition_subalgoE3EjNS0_10empty_typeEbEEZZNS1_14partition_implILS8_3ELb0ES6_jNS0_17counting_iteratorIjlEEPS9_SE_NS0_5tupleIJPjSE_EEENSF_IJSE_SE_EEES9_SG_JZNS1_25segmented_radix_sort_implINS0_14default_configELb0EPKdPdPKlPlN2at6native12_GLOBAL__N_18offset_tEEE10hipError_tPvRmT1_PNSt15iterator_traitsISY_E10value_typeET2_T3_PNSZ_IS14_E10value_typeET4_jRbjT5_S1A_jjP12ihipStream_tbEUljE_EEESV_SW_SX_S14_S18_S1A_T6_T7_T9_mT8_S1C_bDpT10_ENKUlT_T0_E_clISt17integral_constantIbLb1EES1P_EEDaS1K_S1L_EUlS1K_E_NS1_11comp_targetILNS1_3genE8ELNS1_11target_archE1030ELNS1_3gpuE2ELNS1_3repE0EEENS1_30default_config_static_selectorELNS0_4arch9wavefront6targetE0EEEvSY_.kd
    .uniform_work_group_size: 1
    .uses_dynamic_stack: false
    .vgpr_count:     0
    .vgpr_spill_count: 0
    .wavefront_size: 32
    .workgroup_processor_mode: 1
  - .args:
      - .offset:         0
        .size:           144
        .value_kind:     by_value
    .group_segment_fixed_size: 0
    .kernarg_segment_align: 8
    .kernarg_segment_size: 144
    .language:       OpenCL C
    .language_version:
      - 2
      - 0
    .max_flat_workgroup_size: 256
    .name:           _ZN7rocprim17ROCPRIM_400000_NS6detail17trampoline_kernelINS0_13select_configILj256ELj13ELNS0_17block_load_methodE3ELS4_3ELS4_3ELNS0_20block_scan_algorithmE0ELj4294967295EEENS1_25partition_config_selectorILNS1_17partition_subalgoE3EjNS0_10empty_typeEbEEZZNS1_14partition_implILS8_3ELb0ES6_jNS0_17counting_iteratorIjlEEPS9_SE_NS0_5tupleIJPjSE_EEENSF_IJSE_SE_EEES9_SG_JZNS1_25segmented_radix_sort_implINS0_14default_configELb0EPKdPdPKlPlN2at6native12_GLOBAL__N_18offset_tEEE10hipError_tPvRmT1_PNSt15iterator_traitsISY_E10value_typeET2_T3_PNSZ_IS14_E10value_typeET4_jRbjT5_S1A_jjP12ihipStream_tbEUljE_EEESV_SW_SX_S14_S18_S1A_T6_T7_T9_mT8_S1C_bDpT10_ENKUlT_T0_E_clISt17integral_constantIbLb1EES1O_IbLb0EEEEDaS1K_S1L_EUlS1K_E_NS1_11comp_targetILNS1_3genE0ELNS1_11target_archE4294967295ELNS1_3gpuE0ELNS1_3repE0EEENS1_30default_config_static_selectorELNS0_4arch9wavefront6targetE0EEEvSY_
    .private_segment_fixed_size: 0
    .sgpr_count:     0
    .sgpr_spill_count: 0
    .symbol:         _ZN7rocprim17ROCPRIM_400000_NS6detail17trampoline_kernelINS0_13select_configILj256ELj13ELNS0_17block_load_methodE3ELS4_3ELS4_3ELNS0_20block_scan_algorithmE0ELj4294967295EEENS1_25partition_config_selectorILNS1_17partition_subalgoE3EjNS0_10empty_typeEbEEZZNS1_14partition_implILS8_3ELb0ES6_jNS0_17counting_iteratorIjlEEPS9_SE_NS0_5tupleIJPjSE_EEENSF_IJSE_SE_EEES9_SG_JZNS1_25segmented_radix_sort_implINS0_14default_configELb0EPKdPdPKlPlN2at6native12_GLOBAL__N_18offset_tEEE10hipError_tPvRmT1_PNSt15iterator_traitsISY_E10value_typeET2_T3_PNSZ_IS14_E10value_typeET4_jRbjT5_S1A_jjP12ihipStream_tbEUljE_EEESV_SW_SX_S14_S18_S1A_T6_T7_T9_mT8_S1C_bDpT10_ENKUlT_T0_E_clISt17integral_constantIbLb1EES1O_IbLb0EEEEDaS1K_S1L_EUlS1K_E_NS1_11comp_targetILNS1_3genE0ELNS1_11target_archE4294967295ELNS1_3gpuE0ELNS1_3repE0EEENS1_30default_config_static_selectorELNS0_4arch9wavefront6targetE0EEEvSY_.kd
    .uniform_work_group_size: 1
    .uses_dynamic_stack: false
    .vgpr_count:     0
    .vgpr_spill_count: 0
    .wavefront_size: 32
    .workgroup_processor_mode: 1
  - .args:
      - .offset:         0
        .size:           144
        .value_kind:     by_value
    .group_segment_fixed_size: 0
    .kernarg_segment_align: 8
    .kernarg_segment_size: 144
    .language:       OpenCL C
    .language_version:
      - 2
      - 0
    .max_flat_workgroup_size: 256
    .name:           _ZN7rocprim17ROCPRIM_400000_NS6detail17trampoline_kernelINS0_13select_configILj256ELj13ELNS0_17block_load_methodE3ELS4_3ELS4_3ELNS0_20block_scan_algorithmE0ELj4294967295EEENS1_25partition_config_selectorILNS1_17partition_subalgoE3EjNS0_10empty_typeEbEEZZNS1_14partition_implILS8_3ELb0ES6_jNS0_17counting_iteratorIjlEEPS9_SE_NS0_5tupleIJPjSE_EEENSF_IJSE_SE_EEES9_SG_JZNS1_25segmented_radix_sort_implINS0_14default_configELb0EPKdPdPKlPlN2at6native12_GLOBAL__N_18offset_tEEE10hipError_tPvRmT1_PNSt15iterator_traitsISY_E10value_typeET2_T3_PNSZ_IS14_E10value_typeET4_jRbjT5_S1A_jjP12ihipStream_tbEUljE_EEESV_SW_SX_S14_S18_S1A_T6_T7_T9_mT8_S1C_bDpT10_ENKUlT_T0_E_clISt17integral_constantIbLb1EES1O_IbLb0EEEEDaS1K_S1L_EUlS1K_E_NS1_11comp_targetILNS1_3genE5ELNS1_11target_archE942ELNS1_3gpuE9ELNS1_3repE0EEENS1_30default_config_static_selectorELNS0_4arch9wavefront6targetE0EEEvSY_
    .private_segment_fixed_size: 0
    .sgpr_count:     0
    .sgpr_spill_count: 0
    .symbol:         _ZN7rocprim17ROCPRIM_400000_NS6detail17trampoline_kernelINS0_13select_configILj256ELj13ELNS0_17block_load_methodE3ELS4_3ELS4_3ELNS0_20block_scan_algorithmE0ELj4294967295EEENS1_25partition_config_selectorILNS1_17partition_subalgoE3EjNS0_10empty_typeEbEEZZNS1_14partition_implILS8_3ELb0ES6_jNS0_17counting_iteratorIjlEEPS9_SE_NS0_5tupleIJPjSE_EEENSF_IJSE_SE_EEES9_SG_JZNS1_25segmented_radix_sort_implINS0_14default_configELb0EPKdPdPKlPlN2at6native12_GLOBAL__N_18offset_tEEE10hipError_tPvRmT1_PNSt15iterator_traitsISY_E10value_typeET2_T3_PNSZ_IS14_E10value_typeET4_jRbjT5_S1A_jjP12ihipStream_tbEUljE_EEESV_SW_SX_S14_S18_S1A_T6_T7_T9_mT8_S1C_bDpT10_ENKUlT_T0_E_clISt17integral_constantIbLb1EES1O_IbLb0EEEEDaS1K_S1L_EUlS1K_E_NS1_11comp_targetILNS1_3genE5ELNS1_11target_archE942ELNS1_3gpuE9ELNS1_3repE0EEENS1_30default_config_static_selectorELNS0_4arch9wavefront6targetE0EEEvSY_.kd
    .uniform_work_group_size: 1
    .uses_dynamic_stack: false
    .vgpr_count:     0
    .vgpr_spill_count: 0
    .wavefront_size: 32
    .workgroup_processor_mode: 1
  - .args:
      - .offset:         0
        .size:           144
        .value_kind:     by_value
    .group_segment_fixed_size: 0
    .kernarg_segment_align: 8
    .kernarg_segment_size: 144
    .language:       OpenCL C
    .language_version:
      - 2
      - 0
    .max_flat_workgroup_size: 256
    .name:           _ZN7rocprim17ROCPRIM_400000_NS6detail17trampoline_kernelINS0_13select_configILj256ELj13ELNS0_17block_load_methodE3ELS4_3ELS4_3ELNS0_20block_scan_algorithmE0ELj4294967295EEENS1_25partition_config_selectorILNS1_17partition_subalgoE3EjNS0_10empty_typeEbEEZZNS1_14partition_implILS8_3ELb0ES6_jNS0_17counting_iteratorIjlEEPS9_SE_NS0_5tupleIJPjSE_EEENSF_IJSE_SE_EEES9_SG_JZNS1_25segmented_radix_sort_implINS0_14default_configELb0EPKdPdPKlPlN2at6native12_GLOBAL__N_18offset_tEEE10hipError_tPvRmT1_PNSt15iterator_traitsISY_E10value_typeET2_T3_PNSZ_IS14_E10value_typeET4_jRbjT5_S1A_jjP12ihipStream_tbEUljE_EEESV_SW_SX_S14_S18_S1A_T6_T7_T9_mT8_S1C_bDpT10_ENKUlT_T0_E_clISt17integral_constantIbLb1EES1O_IbLb0EEEEDaS1K_S1L_EUlS1K_E_NS1_11comp_targetILNS1_3genE4ELNS1_11target_archE910ELNS1_3gpuE8ELNS1_3repE0EEENS1_30default_config_static_selectorELNS0_4arch9wavefront6targetE0EEEvSY_
    .private_segment_fixed_size: 0
    .sgpr_count:     0
    .sgpr_spill_count: 0
    .symbol:         _ZN7rocprim17ROCPRIM_400000_NS6detail17trampoline_kernelINS0_13select_configILj256ELj13ELNS0_17block_load_methodE3ELS4_3ELS4_3ELNS0_20block_scan_algorithmE0ELj4294967295EEENS1_25partition_config_selectorILNS1_17partition_subalgoE3EjNS0_10empty_typeEbEEZZNS1_14partition_implILS8_3ELb0ES6_jNS0_17counting_iteratorIjlEEPS9_SE_NS0_5tupleIJPjSE_EEENSF_IJSE_SE_EEES9_SG_JZNS1_25segmented_radix_sort_implINS0_14default_configELb0EPKdPdPKlPlN2at6native12_GLOBAL__N_18offset_tEEE10hipError_tPvRmT1_PNSt15iterator_traitsISY_E10value_typeET2_T3_PNSZ_IS14_E10value_typeET4_jRbjT5_S1A_jjP12ihipStream_tbEUljE_EEESV_SW_SX_S14_S18_S1A_T6_T7_T9_mT8_S1C_bDpT10_ENKUlT_T0_E_clISt17integral_constantIbLb1EES1O_IbLb0EEEEDaS1K_S1L_EUlS1K_E_NS1_11comp_targetILNS1_3genE4ELNS1_11target_archE910ELNS1_3gpuE8ELNS1_3repE0EEENS1_30default_config_static_selectorELNS0_4arch9wavefront6targetE0EEEvSY_.kd
    .uniform_work_group_size: 1
    .uses_dynamic_stack: false
    .vgpr_count:     0
    .vgpr_spill_count: 0
    .wavefront_size: 32
    .workgroup_processor_mode: 1
  - .args:
      - .offset:         0
        .size:           144
        .value_kind:     by_value
    .group_segment_fixed_size: 0
    .kernarg_segment_align: 8
    .kernarg_segment_size: 144
    .language:       OpenCL C
    .language_version:
      - 2
      - 0
    .max_flat_workgroup_size: 256
    .name:           _ZN7rocprim17ROCPRIM_400000_NS6detail17trampoline_kernelINS0_13select_configILj256ELj13ELNS0_17block_load_methodE3ELS4_3ELS4_3ELNS0_20block_scan_algorithmE0ELj4294967295EEENS1_25partition_config_selectorILNS1_17partition_subalgoE3EjNS0_10empty_typeEbEEZZNS1_14partition_implILS8_3ELb0ES6_jNS0_17counting_iteratorIjlEEPS9_SE_NS0_5tupleIJPjSE_EEENSF_IJSE_SE_EEES9_SG_JZNS1_25segmented_radix_sort_implINS0_14default_configELb0EPKdPdPKlPlN2at6native12_GLOBAL__N_18offset_tEEE10hipError_tPvRmT1_PNSt15iterator_traitsISY_E10value_typeET2_T3_PNSZ_IS14_E10value_typeET4_jRbjT5_S1A_jjP12ihipStream_tbEUljE_EEESV_SW_SX_S14_S18_S1A_T6_T7_T9_mT8_S1C_bDpT10_ENKUlT_T0_E_clISt17integral_constantIbLb1EES1O_IbLb0EEEEDaS1K_S1L_EUlS1K_E_NS1_11comp_targetILNS1_3genE3ELNS1_11target_archE908ELNS1_3gpuE7ELNS1_3repE0EEENS1_30default_config_static_selectorELNS0_4arch9wavefront6targetE0EEEvSY_
    .private_segment_fixed_size: 0
    .sgpr_count:     0
    .sgpr_spill_count: 0
    .symbol:         _ZN7rocprim17ROCPRIM_400000_NS6detail17trampoline_kernelINS0_13select_configILj256ELj13ELNS0_17block_load_methodE3ELS4_3ELS4_3ELNS0_20block_scan_algorithmE0ELj4294967295EEENS1_25partition_config_selectorILNS1_17partition_subalgoE3EjNS0_10empty_typeEbEEZZNS1_14partition_implILS8_3ELb0ES6_jNS0_17counting_iteratorIjlEEPS9_SE_NS0_5tupleIJPjSE_EEENSF_IJSE_SE_EEES9_SG_JZNS1_25segmented_radix_sort_implINS0_14default_configELb0EPKdPdPKlPlN2at6native12_GLOBAL__N_18offset_tEEE10hipError_tPvRmT1_PNSt15iterator_traitsISY_E10value_typeET2_T3_PNSZ_IS14_E10value_typeET4_jRbjT5_S1A_jjP12ihipStream_tbEUljE_EEESV_SW_SX_S14_S18_S1A_T6_T7_T9_mT8_S1C_bDpT10_ENKUlT_T0_E_clISt17integral_constantIbLb1EES1O_IbLb0EEEEDaS1K_S1L_EUlS1K_E_NS1_11comp_targetILNS1_3genE3ELNS1_11target_archE908ELNS1_3gpuE7ELNS1_3repE0EEENS1_30default_config_static_selectorELNS0_4arch9wavefront6targetE0EEEvSY_.kd
    .uniform_work_group_size: 1
    .uses_dynamic_stack: false
    .vgpr_count:     0
    .vgpr_spill_count: 0
    .wavefront_size: 32
    .workgroup_processor_mode: 1
  - .args:
      - .offset:         0
        .size:           144
        .value_kind:     by_value
    .group_segment_fixed_size: 0
    .kernarg_segment_align: 8
    .kernarg_segment_size: 144
    .language:       OpenCL C
    .language_version:
      - 2
      - 0
    .max_flat_workgroup_size: 256
    .name:           _ZN7rocprim17ROCPRIM_400000_NS6detail17trampoline_kernelINS0_13select_configILj256ELj13ELNS0_17block_load_methodE3ELS4_3ELS4_3ELNS0_20block_scan_algorithmE0ELj4294967295EEENS1_25partition_config_selectorILNS1_17partition_subalgoE3EjNS0_10empty_typeEbEEZZNS1_14partition_implILS8_3ELb0ES6_jNS0_17counting_iteratorIjlEEPS9_SE_NS0_5tupleIJPjSE_EEENSF_IJSE_SE_EEES9_SG_JZNS1_25segmented_radix_sort_implINS0_14default_configELb0EPKdPdPKlPlN2at6native12_GLOBAL__N_18offset_tEEE10hipError_tPvRmT1_PNSt15iterator_traitsISY_E10value_typeET2_T3_PNSZ_IS14_E10value_typeET4_jRbjT5_S1A_jjP12ihipStream_tbEUljE_EEESV_SW_SX_S14_S18_S1A_T6_T7_T9_mT8_S1C_bDpT10_ENKUlT_T0_E_clISt17integral_constantIbLb1EES1O_IbLb0EEEEDaS1K_S1L_EUlS1K_E_NS1_11comp_targetILNS1_3genE2ELNS1_11target_archE906ELNS1_3gpuE6ELNS1_3repE0EEENS1_30default_config_static_selectorELNS0_4arch9wavefront6targetE0EEEvSY_
    .private_segment_fixed_size: 0
    .sgpr_count:     0
    .sgpr_spill_count: 0
    .symbol:         _ZN7rocprim17ROCPRIM_400000_NS6detail17trampoline_kernelINS0_13select_configILj256ELj13ELNS0_17block_load_methodE3ELS4_3ELS4_3ELNS0_20block_scan_algorithmE0ELj4294967295EEENS1_25partition_config_selectorILNS1_17partition_subalgoE3EjNS0_10empty_typeEbEEZZNS1_14partition_implILS8_3ELb0ES6_jNS0_17counting_iteratorIjlEEPS9_SE_NS0_5tupleIJPjSE_EEENSF_IJSE_SE_EEES9_SG_JZNS1_25segmented_radix_sort_implINS0_14default_configELb0EPKdPdPKlPlN2at6native12_GLOBAL__N_18offset_tEEE10hipError_tPvRmT1_PNSt15iterator_traitsISY_E10value_typeET2_T3_PNSZ_IS14_E10value_typeET4_jRbjT5_S1A_jjP12ihipStream_tbEUljE_EEESV_SW_SX_S14_S18_S1A_T6_T7_T9_mT8_S1C_bDpT10_ENKUlT_T0_E_clISt17integral_constantIbLb1EES1O_IbLb0EEEEDaS1K_S1L_EUlS1K_E_NS1_11comp_targetILNS1_3genE2ELNS1_11target_archE906ELNS1_3gpuE6ELNS1_3repE0EEENS1_30default_config_static_selectorELNS0_4arch9wavefront6targetE0EEEvSY_.kd
    .uniform_work_group_size: 1
    .uses_dynamic_stack: false
    .vgpr_count:     0
    .vgpr_spill_count: 0
    .wavefront_size: 32
    .workgroup_processor_mode: 1
  - .args:
      - .offset:         0
        .size:           144
        .value_kind:     by_value
    .group_segment_fixed_size: 0
    .kernarg_segment_align: 8
    .kernarg_segment_size: 144
    .language:       OpenCL C
    .language_version:
      - 2
      - 0
    .max_flat_workgroup_size: 256
    .name:           _ZN7rocprim17ROCPRIM_400000_NS6detail17trampoline_kernelINS0_13select_configILj256ELj13ELNS0_17block_load_methodE3ELS4_3ELS4_3ELNS0_20block_scan_algorithmE0ELj4294967295EEENS1_25partition_config_selectorILNS1_17partition_subalgoE3EjNS0_10empty_typeEbEEZZNS1_14partition_implILS8_3ELb0ES6_jNS0_17counting_iteratorIjlEEPS9_SE_NS0_5tupleIJPjSE_EEENSF_IJSE_SE_EEES9_SG_JZNS1_25segmented_radix_sort_implINS0_14default_configELb0EPKdPdPKlPlN2at6native12_GLOBAL__N_18offset_tEEE10hipError_tPvRmT1_PNSt15iterator_traitsISY_E10value_typeET2_T3_PNSZ_IS14_E10value_typeET4_jRbjT5_S1A_jjP12ihipStream_tbEUljE_EEESV_SW_SX_S14_S18_S1A_T6_T7_T9_mT8_S1C_bDpT10_ENKUlT_T0_E_clISt17integral_constantIbLb1EES1O_IbLb0EEEEDaS1K_S1L_EUlS1K_E_NS1_11comp_targetILNS1_3genE10ELNS1_11target_archE1200ELNS1_3gpuE4ELNS1_3repE0EEENS1_30default_config_static_selectorELNS0_4arch9wavefront6targetE0EEEvSY_
    .private_segment_fixed_size: 0
    .sgpr_count:     0
    .sgpr_spill_count: 0
    .symbol:         _ZN7rocprim17ROCPRIM_400000_NS6detail17trampoline_kernelINS0_13select_configILj256ELj13ELNS0_17block_load_methodE3ELS4_3ELS4_3ELNS0_20block_scan_algorithmE0ELj4294967295EEENS1_25partition_config_selectorILNS1_17partition_subalgoE3EjNS0_10empty_typeEbEEZZNS1_14partition_implILS8_3ELb0ES6_jNS0_17counting_iteratorIjlEEPS9_SE_NS0_5tupleIJPjSE_EEENSF_IJSE_SE_EEES9_SG_JZNS1_25segmented_radix_sort_implINS0_14default_configELb0EPKdPdPKlPlN2at6native12_GLOBAL__N_18offset_tEEE10hipError_tPvRmT1_PNSt15iterator_traitsISY_E10value_typeET2_T3_PNSZ_IS14_E10value_typeET4_jRbjT5_S1A_jjP12ihipStream_tbEUljE_EEESV_SW_SX_S14_S18_S1A_T6_T7_T9_mT8_S1C_bDpT10_ENKUlT_T0_E_clISt17integral_constantIbLb1EES1O_IbLb0EEEEDaS1K_S1L_EUlS1K_E_NS1_11comp_targetILNS1_3genE10ELNS1_11target_archE1200ELNS1_3gpuE4ELNS1_3repE0EEENS1_30default_config_static_selectorELNS0_4arch9wavefront6targetE0EEEvSY_.kd
    .uniform_work_group_size: 1
    .uses_dynamic_stack: false
    .vgpr_count:     0
    .vgpr_spill_count: 0
    .wavefront_size: 32
    .workgroup_processor_mode: 1
  - .args:
      - .offset:         0
        .size:           144
        .value_kind:     by_value
    .group_segment_fixed_size: 0
    .kernarg_segment_align: 8
    .kernarg_segment_size: 144
    .language:       OpenCL C
    .language_version:
      - 2
      - 0
    .max_flat_workgroup_size: 256
    .name:           _ZN7rocprim17ROCPRIM_400000_NS6detail17trampoline_kernelINS0_13select_configILj256ELj13ELNS0_17block_load_methodE3ELS4_3ELS4_3ELNS0_20block_scan_algorithmE0ELj4294967295EEENS1_25partition_config_selectorILNS1_17partition_subalgoE3EjNS0_10empty_typeEbEEZZNS1_14partition_implILS8_3ELb0ES6_jNS0_17counting_iteratorIjlEEPS9_SE_NS0_5tupleIJPjSE_EEENSF_IJSE_SE_EEES9_SG_JZNS1_25segmented_radix_sort_implINS0_14default_configELb0EPKdPdPKlPlN2at6native12_GLOBAL__N_18offset_tEEE10hipError_tPvRmT1_PNSt15iterator_traitsISY_E10value_typeET2_T3_PNSZ_IS14_E10value_typeET4_jRbjT5_S1A_jjP12ihipStream_tbEUljE_EEESV_SW_SX_S14_S18_S1A_T6_T7_T9_mT8_S1C_bDpT10_ENKUlT_T0_E_clISt17integral_constantIbLb1EES1O_IbLb0EEEEDaS1K_S1L_EUlS1K_E_NS1_11comp_targetILNS1_3genE9ELNS1_11target_archE1100ELNS1_3gpuE3ELNS1_3repE0EEENS1_30default_config_static_selectorELNS0_4arch9wavefront6targetE0EEEvSY_
    .private_segment_fixed_size: 0
    .sgpr_count:     0
    .sgpr_spill_count: 0
    .symbol:         _ZN7rocprim17ROCPRIM_400000_NS6detail17trampoline_kernelINS0_13select_configILj256ELj13ELNS0_17block_load_methodE3ELS4_3ELS4_3ELNS0_20block_scan_algorithmE0ELj4294967295EEENS1_25partition_config_selectorILNS1_17partition_subalgoE3EjNS0_10empty_typeEbEEZZNS1_14partition_implILS8_3ELb0ES6_jNS0_17counting_iteratorIjlEEPS9_SE_NS0_5tupleIJPjSE_EEENSF_IJSE_SE_EEES9_SG_JZNS1_25segmented_radix_sort_implINS0_14default_configELb0EPKdPdPKlPlN2at6native12_GLOBAL__N_18offset_tEEE10hipError_tPvRmT1_PNSt15iterator_traitsISY_E10value_typeET2_T3_PNSZ_IS14_E10value_typeET4_jRbjT5_S1A_jjP12ihipStream_tbEUljE_EEESV_SW_SX_S14_S18_S1A_T6_T7_T9_mT8_S1C_bDpT10_ENKUlT_T0_E_clISt17integral_constantIbLb1EES1O_IbLb0EEEEDaS1K_S1L_EUlS1K_E_NS1_11comp_targetILNS1_3genE9ELNS1_11target_archE1100ELNS1_3gpuE3ELNS1_3repE0EEENS1_30default_config_static_selectorELNS0_4arch9wavefront6targetE0EEEvSY_.kd
    .uniform_work_group_size: 1
    .uses_dynamic_stack: false
    .vgpr_count:     0
    .vgpr_spill_count: 0
    .wavefront_size: 32
    .workgroup_processor_mode: 1
  - .args:
      - .offset:         0
        .size:           144
        .value_kind:     by_value
    .group_segment_fixed_size: 0
    .kernarg_segment_align: 8
    .kernarg_segment_size: 144
    .language:       OpenCL C
    .language_version:
      - 2
      - 0
    .max_flat_workgroup_size: 256
    .name:           _ZN7rocprim17ROCPRIM_400000_NS6detail17trampoline_kernelINS0_13select_configILj256ELj13ELNS0_17block_load_methodE3ELS4_3ELS4_3ELNS0_20block_scan_algorithmE0ELj4294967295EEENS1_25partition_config_selectorILNS1_17partition_subalgoE3EjNS0_10empty_typeEbEEZZNS1_14partition_implILS8_3ELb0ES6_jNS0_17counting_iteratorIjlEEPS9_SE_NS0_5tupleIJPjSE_EEENSF_IJSE_SE_EEES9_SG_JZNS1_25segmented_radix_sort_implINS0_14default_configELb0EPKdPdPKlPlN2at6native12_GLOBAL__N_18offset_tEEE10hipError_tPvRmT1_PNSt15iterator_traitsISY_E10value_typeET2_T3_PNSZ_IS14_E10value_typeET4_jRbjT5_S1A_jjP12ihipStream_tbEUljE_EEESV_SW_SX_S14_S18_S1A_T6_T7_T9_mT8_S1C_bDpT10_ENKUlT_T0_E_clISt17integral_constantIbLb1EES1O_IbLb0EEEEDaS1K_S1L_EUlS1K_E_NS1_11comp_targetILNS1_3genE8ELNS1_11target_archE1030ELNS1_3gpuE2ELNS1_3repE0EEENS1_30default_config_static_selectorELNS0_4arch9wavefront6targetE0EEEvSY_
    .private_segment_fixed_size: 0
    .sgpr_count:     0
    .sgpr_spill_count: 0
    .symbol:         _ZN7rocprim17ROCPRIM_400000_NS6detail17trampoline_kernelINS0_13select_configILj256ELj13ELNS0_17block_load_methodE3ELS4_3ELS4_3ELNS0_20block_scan_algorithmE0ELj4294967295EEENS1_25partition_config_selectorILNS1_17partition_subalgoE3EjNS0_10empty_typeEbEEZZNS1_14partition_implILS8_3ELb0ES6_jNS0_17counting_iteratorIjlEEPS9_SE_NS0_5tupleIJPjSE_EEENSF_IJSE_SE_EEES9_SG_JZNS1_25segmented_radix_sort_implINS0_14default_configELb0EPKdPdPKlPlN2at6native12_GLOBAL__N_18offset_tEEE10hipError_tPvRmT1_PNSt15iterator_traitsISY_E10value_typeET2_T3_PNSZ_IS14_E10value_typeET4_jRbjT5_S1A_jjP12ihipStream_tbEUljE_EEESV_SW_SX_S14_S18_S1A_T6_T7_T9_mT8_S1C_bDpT10_ENKUlT_T0_E_clISt17integral_constantIbLb1EES1O_IbLb0EEEEDaS1K_S1L_EUlS1K_E_NS1_11comp_targetILNS1_3genE8ELNS1_11target_archE1030ELNS1_3gpuE2ELNS1_3repE0EEENS1_30default_config_static_selectorELNS0_4arch9wavefront6targetE0EEEvSY_.kd
    .uniform_work_group_size: 1
    .uses_dynamic_stack: false
    .vgpr_count:     0
    .vgpr_spill_count: 0
    .wavefront_size: 32
    .workgroup_processor_mode: 1
  - .args:
      - .offset:         0
        .size:           152
        .value_kind:     by_value
    .group_segment_fixed_size: 0
    .kernarg_segment_align: 8
    .kernarg_segment_size: 152
    .language:       OpenCL C
    .language_version:
      - 2
      - 0
    .max_flat_workgroup_size: 256
    .name:           _ZN7rocprim17ROCPRIM_400000_NS6detail17trampoline_kernelINS0_13select_configILj256ELj13ELNS0_17block_load_methodE3ELS4_3ELS4_3ELNS0_20block_scan_algorithmE0ELj4294967295EEENS1_25partition_config_selectorILNS1_17partition_subalgoE3EjNS0_10empty_typeEbEEZZNS1_14partition_implILS8_3ELb0ES6_jNS0_17counting_iteratorIjlEEPS9_SE_NS0_5tupleIJPjSE_EEENSF_IJSE_SE_EEES9_SG_JZNS1_25segmented_radix_sort_implINS0_14default_configELb0EPKdPdPKlPlN2at6native12_GLOBAL__N_18offset_tEEE10hipError_tPvRmT1_PNSt15iterator_traitsISY_E10value_typeET2_T3_PNSZ_IS14_E10value_typeET4_jRbjT5_S1A_jjP12ihipStream_tbEUljE_EEESV_SW_SX_S14_S18_S1A_T6_T7_T9_mT8_S1C_bDpT10_ENKUlT_T0_E_clISt17integral_constantIbLb0EES1O_IbLb1EEEEDaS1K_S1L_EUlS1K_E_NS1_11comp_targetILNS1_3genE0ELNS1_11target_archE4294967295ELNS1_3gpuE0ELNS1_3repE0EEENS1_30default_config_static_selectorELNS0_4arch9wavefront6targetE0EEEvSY_
    .private_segment_fixed_size: 0
    .sgpr_count:     0
    .sgpr_spill_count: 0
    .symbol:         _ZN7rocprim17ROCPRIM_400000_NS6detail17trampoline_kernelINS0_13select_configILj256ELj13ELNS0_17block_load_methodE3ELS4_3ELS4_3ELNS0_20block_scan_algorithmE0ELj4294967295EEENS1_25partition_config_selectorILNS1_17partition_subalgoE3EjNS0_10empty_typeEbEEZZNS1_14partition_implILS8_3ELb0ES6_jNS0_17counting_iteratorIjlEEPS9_SE_NS0_5tupleIJPjSE_EEENSF_IJSE_SE_EEES9_SG_JZNS1_25segmented_radix_sort_implINS0_14default_configELb0EPKdPdPKlPlN2at6native12_GLOBAL__N_18offset_tEEE10hipError_tPvRmT1_PNSt15iterator_traitsISY_E10value_typeET2_T3_PNSZ_IS14_E10value_typeET4_jRbjT5_S1A_jjP12ihipStream_tbEUljE_EEESV_SW_SX_S14_S18_S1A_T6_T7_T9_mT8_S1C_bDpT10_ENKUlT_T0_E_clISt17integral_constantIbLb0EES1O_IbLb1EEEEDaS1K_S1L_EUlS1K_E_NS1_11comp_targetILNS1_3genE0ELNS1_11target_archE4294967295ELNS1_3gpuE0ELNS1_3repE0EEENS1_30default_config_static_selectorELNS0_4arch9wavefront6targetE0EEEvSY_.kd
    .uniform_work_group_size: 1
    .uses_dynamic_stack: false
    .vgpr_count:     0
    .vgpr_spill_count: 0
    .wavefront_size: 32
    .workgroup_processor_mode: 1
  - .args:
      - .offset:         0
        .size:           152
        .value_kind:     by_value
    .group_segment_fixed_size: 0
    .kernarg_segment_align: 8
    .kernarg_segment_size: 152
    .language:       OpenCL C
    .language_version:
      - 2
      - 0
    .max_flat_workgroup_size: 256
    .name:           _ZN7rocprim17ROCPRIM_400000_NS6detail17trampoline_kernelINS0_13select_configILj256ELj13ELNS0_17block_load_methodE3ELS4_3ELS4_3ELNS0_20block_scan_algorithmE0ELj4294967295EEENS1_25partition_config_selectorILNS1_17partition_subalgoE3EjNS0_10empty_typeEbEEZZNS1_14partition_implILS8_3ELb0ES6_jNS0_17counting_iteratorIjlEEPS9_SE_NS0_5tupleIJPjSE_EEENSF_IJSE_SE_EEES9_SG_JZNS1_25segmented_radix_sort_implINS0_14default_configELb0EPKdPdPKlPlN2at6native12_GLOBAL__N_18offset_tEEE10hipError_tPvRmT1_PNSt15iterator_traitsISY_E10value_typeET2_T3_PNSZ_IS14_E10value_typeET4_jRbjT5_S1A_jjP12ihipStream_tbEUljE_EEESV_SW_SX_S14_S18_S1A_T6_T7_T9_mT8_S1C_bDpT10_ENKUlT_T0_E_clISt17integral_constantIbLb0EES1O_IbLb1EEEEDaS1K_S1L_EUlS1K_E_NS1_11comp_targetILNS1_3genE5ELNS1_11target_archE942ELNS1_3gpuE9ELNS1_3repE0EEENS1_30default_config_static_selectorELNS0_4arch9wavefront6targetE0EEEvSY_
    .private_segment_fixed_size: 0
    .sgpr_count:     0
    .sgpr_spill_count: 0
    .symbol:         _ZN7rocprim17ROCPRIM_400000_NS6detail17trampoline_kernelINS0_13select_configILj256ELj13ELNS0_17block_load_methodE3ELS4_3ELS4_3ELNS0_20block_scan_algorithmE0ELj4294967295EEENS1_25partition_config_selectorILNS1_17partition_subalgoE3EjNS0_10empty_typeEbEEZZNS1_14partition_implILS8_3ELb0ES6_jNS0_17counting_iteratorIjlEEPS9_SE_NS0_5tupleIJPjSE_EEENSF_IJSE_SE_EEES9_SG_JZNS1_25segmented_radix_sort_implINS0_14default_configELb0EPKdPdPKlPlN2at6native12_GLOBAL__N_18offset_tEEE10hipError_tPvRmT1_PNSt15iterator_traitsISY_E10value_typeET2_T3_PNSZ_IS14_E10value_typeET4_jRbjT5_S1A_jjP12ihipStream_tbEUljE_EEESV_SW_SX_S14_S18_S1A_T6_T7_T9_mT8_S1C_bDpT10_ENKUlT_T0_E_clISt17integral_constantIbLb0EES1O_IbLb1EEEEDaS1K_S1L_EUlS1K_E_NS1_11comp_targetILNS1_3genE5ELNS1_11target_archE942ELNS1_3gpuE9ELNS1_3repE0EEENS1_30default_config_static_selectorELNS0_4arch9wavefront6targetE0EEEvSY_.kd
    .uniform_work_group_size: 1
    .uses_dynamic_stack: false
    .vgpr_count:     0
    .vgpr_spill_count: 0
    .wavefront_size: 32
    .workgroup_processor_mode: 1
  - .args:
      - .offset:         0
        .size:           152
        .value_kind:     by_value
    .group_segment_fixed_size: 0
    .kernarg_segment_align: 8
    .kernarg_segment_size: 152
    .language:       OpenCL C
    .language_version:
      - 2
      - 0
    .max_flat_workgroup_size: 256
    .name:           _ZN7rocprim17ROCPRIM_400000_NS6detail17trampoline_kernelINS0_13select_configILj256ELj13ELNS0_17block_load_methodE3ELS4_3ELS4_3ELNS0_20block_scan_algorithmE0ELj4294967295EEENS1_25partition_config_selectorILNS1_17partition_subalgoE3EjNS0_10empty_typeEbEEZZNS1_14partition_implILS8_3ELb0ES6_jNS0_17counting_iteratorIjlEEPS9_SE_NS0_5tupleIJPjSE_EEENSF_IJSE_SE_EEES9_SG_JZNS1_25segmented_radix_sort_implINS0_14default_configELb0EPKdPdPKlPlN2at6native12_GLOBAL__N_18offset_tEEE10hipError_tPvRmT1_PNSt15iterator_traitsISY_E10value_typeET2_T3_PNSZ_IS14_E10value_typeET4_jRbjT5_S1A_jjP12ihipStream_tbEUljE_EEESV_SW_SX_S14_S18_S1A_T6_T7_T9_mT8_S1C_bDpT10_ENKUlT_T0_E_clISt17integral_constantIbLb0EES1O_IbLb1EEEEDaS1K_S1L_EUlS1K_E_NS1_11comp_targetILNS1_3genE4ELNS1_11target_archE910ELNS1_3gpuE8ELNS1_3repE0EEENS1_30default_config_static_selectorELNS0_4arch9wavefront6targetE0EEEvSY_
    .private_segment_fixed_size: 0
    .sgpr_count:     0
    .sgpr_spill_count: 0
    .symbol:         _ZN7rocprim17ROCPRIM_400000_NS6detail17trampoline_kernelINS0_13select_configILj256ELj13ELNS0_17block_load_methodE3ELS4_3ELS4_3ELNS0_20block_scan_algorithmE0ELj4294967295EEENS1_25partition_config_selectorILNS1_17partition_subalgoE3EjNS0_10empty_typeEbEEZZNS1_14partition_implILS8_3ELb0ES6_jNS0_17counting_iteratorIjlEEPS9_SE_NS0_5tupleIJPjSE_EEENSF_IJSE_SE_EEES9_SG_JZNS1_25segmented_radix_sort_implINS0_14default_configELb0EPKdPdPKlPlN2at6native12_GLOBAL__N_18offset_tEEE10hipError_tPvRmT1_PNSt15iterator_traitsISY_E10value_typeET2_T3_PNSZ_IS14_E10value_typeET4_jRbjT5_S1A_jjP12ihipStream_tbEUljE_EEESV_SW_SX_S14_S18_S1A_T6_T7_T9_mT8_S1C_bDpT10_ENKUlT_T0_E_clISt17integral_constantIbLb0EES1O_IbLb1EEEEDaS1K_S1L_EUlS1K_E_NS1_11comp_targetILNS1_3genE4ELNS1_11target_archE910ELNS1_3gpuE8ELNS1_3repE0EEENS1_30default_config_static_selectorELNS0_4arch9wavefront6targetE0EEEvSY_.kd
    .uniform_work_group_size: 1
    .uses_dynamic_stack: false
    .vgpr_count:     0
    .vgpr_spill_count: 0
    .wavefront_size: 32
    .workgroup_processor_mode: 1
  - .args:
      - .offset:         0
        .size:           152
        .value_kind:     by_value
    .group_segment_fixed_size: 0
    .kernarg_segment_align: 8
    .kernarg_segment_size: 152
    .language:       OpenCL C
    .language_version:
      - 2
      - 0
    .max_flat_workgroup_size: 256
    .name:           _ZN7rocprim17ROCPRIM_400000_NS6detail17trampoline_kernelINS0_13select_configILj256ELj13ELNS0_17block_load_methodE3ELS4_3ELS4_3ELNS0_20block_scan_algorithmE0ELj4294967295EEENS1_25partition_config_selectorILNS1_17partition_subalgoE3EjNS0_10empty_typeEbEEZZNS1_14partition_implILS8_3ELb0ES6_jNS0_17counting_iteratorIjlEEPS9_SE_NS0_5tupleIJPjSE_EEENSF_IJSE_SE_EEES9_SG_JZNS1_25segmented_radix_sort_implINS0_14default_configELb0EPKdPdPKlPlN2at6native12_GLOBAL__N_18offset_tEEE10hipError_tPvRmT1_PNSt15iterator_traitsISY_E10value_typeET2_T3_PNSZ_IS14_E10value_typeET4_jRbjT5_S1A_jjP12ihipStream_tbEUljE_EEESV_SW_SX_S14_S18_S1A_T6_T7_T9_mT8_S1C_bDpT10_ENKUlT_T0_E_clISt17integral_constantIbLb0EES1O_IbLb1EEEEDaS1K_S1L_EUlS1K_E_NS1_11comp_targetILNS1_3genE3ELNS1_11target_archE908ELNS1_3gpuE7ELNS1_3repE0EEENS1_30default_config_static_selectorELNS0_4arch9wavefront6targetE0EEEvSY_
    .private_segment_fixed_size: 0
    .sgpr_count:     0
    .sgpr_spill_count: 0
    .symbol:         _ZN7rocprim17ROCPRIM_400000_NS6detail17trampoline_kernelINS0_13select_configILj256ELj13ELNS0_17block_load_methodE3ELS4_3ELS4_3ELNS0_20block_scan_algorithmE0ELj4294967295EEENS1_25partition_config_selectorILNS1_17partition_subalgoE3EjNS0_10empty_typeEbEEZZNS1_14partition_implILS8_3ELb0ES6_jNS0_17counting_iteratorIjlEEPS9_SE_NS0_5tupleIJPjSE_EEENSF_IJSE_SE_EEES9_SG_JZNS1_25segmented_radix_sort_implINS0_14default_configELb0EPKdPdPKlPlN2at6native12_GLOBAL__N_18offset_tEEE10hipError_tPvRmT1_PNSt15iterator_traitsISY_E10value_typeET2_T3_PNSZ_IS14_E10value_typeET4_jRbjT5_S1A_jjP12ihipStream_tbEUljE_EEESV_SW_SX_S14_S18_S1A_T6_T7_T9_mT8_S1C_bDpT10_ENKUlT_T0_E_clISt17integral_constantIbLb0EES1O_IbLb1EEEEDaS1K_S1L_EUlS1K_E_NS1_11comp_targetILNS1_3genE3ELNS1_11target_archE908ELNS1_3gpuE7ELNS1_3repE0EEENS1_30default_config_static_selectorELNS0_4arch9wavefront6targetE0EEEvSY_.kd
    .uniform_work_group_size: 1
    .uses_dynamic_stack: false
    .vgpr_count:     0
    .vgpr_spill_count: 0
    .wavefront_size: 32
    .workgroup_processor_mode: 1
  - .args:
      - .offset:         0
        .size:           152
        .value_kind:     by_value
    .group_segment_fixed_size: 0
    .kernarg_segment_align: 8
    .kernarg_segment_size: 152
    .language:       OpenCL C
    .language_version:
      - 2
      - 0
    .max_flat_workgroup_size: 256
    .name:           _ZN7rocprim17ROCPRIM_400000_NS6detail17trampoline_kernelINS0_13select_configILj256ELj13ELNS0_17block_load_methodE3ELS4_3ELS4_3ELNS0_20block_scan_algorithmE0ELj4294967295EEENS1_25partition_config_selectorILNS1_17partition_subalgoE3EjNS0_10empty_typeEbEEZZNS1_14partition_implILS8_3ELb0ES6_jNS0_17counting_iteratorIjlEEPS9_SE_NS0_5tupleIJPjSE_EEENSF_IJSE_SE_EEES9_SG_JZNS1_25segmented_radix_sort_implINS0_14default_configELb0EPKdPdPKlPlN2at6native12_GLOBAL__N_18offset_tEEE10hipError_tPvRmT1_PNSt15iterator_traitsISY_E10value_typeET2_T3_PNSZ_IS14_E10value_typeET4_jRbjT5_S1A_jjP12ihipStream_tbEUljE_EEESV_SW_SX_S14_S18_S1A_T6_T7_T9_mT8_S1C_bDpT10_ENKUlT_T0_E_clISt17integral_constantIbLb0EES1O_IbLb1EEEEDaS1K_S1L_EUlS1K_E_NS1_11comp_targetILNS1_3genE2ELNS1_11target_archE906ELNS1_3gpuE6ELNS1_3repE0EEENS1_30default_config_static_selectorELNS0_4arch9wavefront6targetE0EEEvSY_
    .private_segment_fixed_size: 0
    .sgpr_count:     0
    .sgpr_spill_count: 0
    .symbol:         _ZN7rocprim17ROCPRIM_400000_NS6detail17trampoline_kernelINS0_13select_configILj256ELj13ELNS0_17block_load_methodE3ELS4_3ELS4_3ELNS0_20block_scan_algorithmE0ELj4294967295EEENS1_25partition_config_selectorILNS1_17partition_subalgoE3EjNS0_10empty_typeEbEEZZNS1_14partition_implILS8_3ELb0ES6_jNS0_17counting_iteratorIjlEEPS9_SE_NS0_5tupleIJPjSE_EEENSF_IJSE_SE_EEES9_SG_JZNS1_25segmented_radix_sort_implINS0_14default_configELb0EPKdPdPKlPlN2at6native12_GLOBAL__N_18offset_tEEE10hipError_tPvRmT1_PNSt15iterator_traitsISY_E10value_typeET2_T3_PNSZ_IS14_E10value_typeET4_jRbjT5_S1A_jjP12ihipStream_tbEUljE_EEESV_SW_SX_S14_S18_S1A_T6_T7_T9_mT8_S1C_bDpT10_ENKUlT_T0_E_clISt17integral_constantIbLb0EES1O_IbLb1EEEEDaS1K_S1L_EUlS1K_E_NS1_11comp_targetILNS1_3genE2ELNS1_11target_archE906ELNS1_3gpuE6ELNS1_3repE0EEENS1_30default_config_static_selectorELNS0_4arch9wavefront6targetE0EEEvSY_.kd
    .uniform_work_group_size: 1
    .uses_dynamic_stack: false
    .vgpr_count:     0
    .vgpr_spill_count: 0
    .wavefront_size: 32
    .workgroup_processor_mode: 1
  - .args:
      - .offset:         0
        .size:           152
        .value_kind:     by_value
    .group_segment_fixed_size: 13320
    .kernarg_segment_align: 8
    .kernarg_segment_size: 152
    .language:       OpenCL C
    .language_version:
      - 2
      - 0
    .max_flat_workgroup_size: 256
    .name:           _ZN7rocprim17ROCPRIM_400000_NS6detail17trampoline_kernelINS0_13select_configILj256ELj13ELNS0_17block_load_methodE3ELS4_3ELS4_3ELNS0_20block_scan_algorithmE0ELj4294967295EEENS1_25partition_config_selectorILNS1_17partition_subalgoE3EjNS0_10empty_typeEbEEZZNS1_14partition_implILS8_3ELb0ES6_jNS0_17counting_iteratorIjlEEPS9_SE_NS0_5tupleIJPjSE_EEENSF_IJSE_SE_EEES9_SG_JZNS1_25segmented_radix_sort_implINS0_14default_configELb0EPKdPdPKlPlN2at6native12_GLOBAL__N_18offset_tEEE10hipError_tPvRmT1_PNSt15iterator_traitsISY_E10value_typeET2_T3_PNSZ_IS14_E10value_typeET4_jRbjT5_S1A_jjP12ihipStream_tbEUljE_EEESV_SW_SX_S14_S18_S1A_T6_T7_T9_mT8_S1C_bDpT10_ENKUlT_T0_E_clISt17integral_constantIbLb0EES1O_IbLb1EEEEDaS1K_S1L_EUlS1K_E_NS1_11comp_targetILNS1_3genE10ELNS1_11target_archE1200ELNS1_3gpuE4ELNS1_3repE0EEENS1_30default_config_static_selectorELNS0_4arch9wavefront6targetE0EEEvSY_
    .private_segment_fixed_size: 0
    .sgpr_count:     28
    .sgpr_spill_count: 0
    .symbol:         _ZN7rocprim17ROCPRIM_400000_NS6detail17trampoline_kernelINS0_13select_configILj256ELj13ELNS0_17block_load_methodE3ELS4_3ELS4_3ELNS0_20block_scan_algorithmE0ELj4294967295EEENS1_25partition_config_selectorILNS1_17partition_subalgoE3EjNS0_10empty_typeEbEEZZNS1_14partition_implILS8_3ELb0ES6_jNS0_17counting_iteratorIjlEEPS9_SE_NS0_5tupleIJPjSE_EEENSF_IJSE_SE_EEES9_SG_JZNS1_25segmented_radix_sort_implINS0_14default_configELb0EPKdPdPKlPlN2at6native12_GLOBAL__N_18offset_tEEE10hipError_tPvRmT1_PNSt15iterator_traitsISY_E10value_typeET2_T3_PNSZ_IS14_E10value_typeET4_jRbjT5_S1A_jjP12ihipStream_tbEUljE_EEESV_SW_SX_S14_S18_S1A_T6_T7_T9_mT8_S1C_bDpT10_ENKUlT_T0_E_clISt17integral_constantIbLb0EES1O_IbLb1EEEEDaS1K_S1L_EUlS1K_E_NS1_11comp_targetILNS1_3genE10ELNS1_11target_archE1200ELNS1_3gpuE4ELNS1_3repE0EEENS1_30default_config_static_selectorELNS0_4arch9wavefront6targetE0EEEvSY_.kd
    .uniform_work_group_size: 1
    .uses_dynamic_stack: false
    .vgpr_count:     71
    .vgpr_spill_count: 0
    .wavefront_size: 32
    .workgroup_processor_mode: 1
  - .args:
      - .offset:         0
        .size:           152
        .value_kind:     by_value
    .group_segment_fixed_size: 0
    .kernarg_segment_align: 8
    .kernarg_segment_size: 152
    .language:       OpenCL C
    .language_version:
      - 2
      - 0
    .max_flat_workgroup_size: 256
    .name:           _ZN7rocprim17ROCPRIM_400000_NS6detail17trampoline_kernelINS0_13select_configILj256ELj13ELNS0_17block_load_methodE3ELS4_3ELS4_3ELNS0_20block_scan_algorithmE0ELj4294967295EEENS1_25partition_config_selectorILNS1_17partition_subalgoE3EjNS0_10empty_typeEbEEZZNS1_14partition_implILS8_3ELb0ES6_jNS0_17counting_iteratorIjlEEPS9_SE_NS0_5tupleIJPjSE_EEENSF_IJSE_SE_EEES9_SG_JZNS1_25segmented_radix_sort_implINS0_14default_configELb0EPKdPdPKlPlN2at6native12_GLOBAL__N_18offset_tEEE10hipError_tPvRmT1_PNSt15iterator_traitsISY_E10value_typeET2_T3_PNSZ_IS14_E10value_typeET4_jRbjT5_S1A_jjP12ihipStream_tbEUljE_EEESV_SW_SX_S14_S18_S1A_T6_T7_T9_mT8_S1C_bDpT10_ENKUlT_T0_E_clISt17integral_constantIbLb0EES1O_IbLb1EEEEDaS1K_S1L_EUlS1K_E_NS1_11comp_targetILNS1_3genE9ELNS1_11target_archE1100ELNS1_3gpuE3ELNS1_3repE0EEENS1_30default_config_static_selectorELNS0_4arch9wavefront6targetE0EEEvSY_
    .private_segment_fixed_size: 0
    .sgpr_count:     0
    .sgpr_spill_count: 0
    .symbol:         _ZN7rocprim17ROCPRIM_400000_NS6detail17trampoline_kernelINS0_13select_configILj256ELj13ELNS0_17block_load_methodE3ELS4_3ELS4_3ELNS0_20block_scan_algorithmE0ELj4294967295EEENS1_25partition_config_selectorILNS1_17partition_subalgoE3EjNS0_10empty_typeEbEEZZNS1_14partition_implILS8_3ELb0ES6_jNS0_17counting_iteratorIjlEEPS9_SE_NS0_5tupleIJPjSE_EEENSF_IJSE_SE_EEES9_SG_JZNS1_25segmented_radix_sort_implINS0_14default_configELb0EPKdPdPKlPlN2at6native12_GLOBAL__N_18offset_tEEE10hipError_tPvRmT1_PNSt15iterator_traitsISY_E10value_typeET2_T3_PNSZ_IS14_E10value_typeET4_jRbjT5_S1A_jjP12ihipStream_tbEUljE_EEESV_SW_SX_S14_S18_S1A_T6_T7_T9_mT8_S1C_bDpT10_ENKUlT_T0_E_clISt17integral_constantIbLb0EES1O_IbLb1EEEEDaS1K_S1L_EUlS1K_E_NS1_11comp_targetILNS1_3genE9ELNS1_11target_archE1100ELNS1_3gpuE3ELNS1_3repE0EEENS1_30default_config_static_selectorELNS0_4arch9wavefront6targetE0EEEvSY_.kd
    .uniform_work_group_size: 1
    .uses_dynamic_stack: false
    .vgpr_count:     0
    .vgpr_spill_count: 0
    .wavefront_size: 32
    .workgroup_processor_mode: 1
  - .args:
      - .offset:         0
        .size:           152
        .value_kind:     by_value
    .group_segment_fixed_size: 0
    .kernarg_segment_align: 8
    .kernarg_segment_size: 152
    .language:       OpenCL C
    .language_version:
      - 2
      - 0
    .max_flat_workgroup_size: 256
    .name:           _ZN7rocprim17ROCPRIM_400000_NS6detail17trampoline_kernelINS0_13select_configILj256ELj13ELNS0_17block_load_methodE3ELS4_3ELS4_3ELNS0_20block_scan_algorithmE0ELj4294967295EEENS1_25partition_config_selectorILNS1_17partition_subalgoE3EjNS0_10empty_typeEbEEZZNS1_14partition_implILS8_3ELb0ES6_jNS0_17counting_iteratorIjlEEPS9_SE_NS0_5tupleIJPjSE_EEENSF_IJSE_SE_EEES9_SG_JZNS1_25segmented_radix_sort_implINS0_14default_configELb0EPKdPdPKlPlN2at6native12_GLOBAL__N_18offset_tEEE10hipError_tPvRmT1_PNSt15iterator_traitsISY_E10value_typeET2_T3_PNSZ_IS14_E10value_typeET4_jRbjT5_S1A_jjP12ihipStream_tbEUljE_EEESV_SW_SX_S14_S18_S1A_T6_T7_T9_mT8_S1C_bDpT10_ENKUlT_T0_E_clISt17integral_constantIbLb0EES1O_IbLb1EEEEDaS1K_S1L_EUlS1K_E_NS1_11comp_targetILNS1_3genE8ELNS1_11target_archE1030ELNS1_3gpuE2ELNS1_3repE0EEENS1_30default_config_static_selectorELNS0_4arch9wavefront6targetE0EEEvSY_
    .private_segment_fixed_size: 0
    .sgpr_count:     0
    .sgpr_spill_count: 0
    .symbol:         _ZN7rocprim17ROCPRIM_400000_NS6detail17trampoline_kernelINS0_13select_configILj256ELj13ELNS0_17block_load_methodE3ELS4_3ELS4_3ELNS0_20block_scan_algorithmE0ELj4294967295EEENS1_25partition_config_selectorILNS1_17partition_subalgoE3EjNS0_10empty_typeEbEEZZNS1_14partition_implILS8_3ELb0ES6_jNS0_17counting_iteratorIjlEEPS9_SE_NS0_5tupleIJPjSE_EEENSF_IJSE_SE_EEES9_SG_JZNS1_25segmented_radix_sort_implINS0_14default_configELb0EPKdPdPKlPlN2at6native12_GLOBAL__N_18offset_tEEE10hipError_tPvRmT1_PNSt15iterator_traitsISY_E10value_typeET2_T3_PNSZ_IS14_E10value_typeET4_jRbjT5_S1A_jjP12ihipStream_tbEUljE_EEESV_SW_SX_S14_S18_S1A_T6_T7_T9_mT8_S1C_bDpT10_ENKUlT_T0_E_clISt17integral_constantIbLb0EES1O_IbLb1EEEEDaS1K_S1L_EUlS1K_E_NS1_11comp_targetILNS1_3genE8ELNS1_11target_archE1030ELNS1_3gpuE2ELNS1_3repE0EEENS1_30default_config_static_selectorELNS0_4arch9wavefront6targetE0EEEvSY_.kd
    .uniform_work_group_size: 1
    .uses_dynamic_stack: false
    .vgpr_count:     0
    .vgpr_spill_count: 0
    .wavefront_size: 32
    .workgroup_processor_mode: 1
  - .args:
      - .offset:         0
        .size:           96
        .value_kind:     by_value
    .group_segment_fixed_size: 0
    .kernarg_segment_align: 8
    .kernarg_segment_size: 96
    .language:       OpenCL C
    .language_version:
      - 2
      - 0
    .max_flat_workgroup_size: 256
    .name:           _ZN7rocprim17ROCPRIM_400000_NS6detail17trampoline_kernelINS0_14default_configENS1_36segmented_radix_sort_config_selectorIdlEEZNS1_25segmented_radix_sort_implIS3_Lb0EPKdPdPKlPlN2at6native12_GLOBAL__N_18offset_tEEE10hipError_tPvRmT1_PNSt15iterator_traitsISK_E10value_typeET2_T3_PNSL_ISQ_E10value_typeET4_jRbjT5_SW_jjP12ihipStream_tbEUlT_E_NS1_11comp_targetILNS1_3genE0ELNS1_11target_archE4294967295ELNS1_3gpuE0ELNS1_3repE0EEENS1_30default_config_static_selectorELNS0_4arch9wavefront6targetE0EEEvSK_
    .private_segment_fixed_size: 0
    .sgpr_count:     0
    .sgpr_spill_count: 0
    .symbol:         _ZN7rocprim17ROCPRIM_400000_NS6detail17trampoline_kernelINS0_14default_configENS1_36segmented_radix_sort_config_selectorIdlEEZNS1_25segmented_radix_sort_implIS3_Lb0EPKdPdPKlPlN2at6native12_GLOBAL__N_18offset_tEEE10hipError_tPvRmT1_PNSt15iterator_traitsISK_E10value_typeET2_T3_PNSL_ISQ_E10value_typeET4_jRbjT5_SW_jjP12ihipStream_tbEUlT_E_NS1_11comp_targetILNS1_3genE0ELNS1_11target_archE4294967295ELNS1_3gpuE0ELNS1_3repE0EEENS1_30default_config_static_selectorELNS0_4arch9wavefront6targetE0EEEvSK_.kd
    .uniform_work_group_size: 1
    .uses_dynamic_stack: false
    .vgpr_count:     0
    .vgpr_spill_count: 0
    .wavefront_size: 32
    .workgroup_processor_mode: 1
  - .args:
      - .offset:         0
        .size:           96
        .value_kind:     by_value
    .group_segment_fixed_size: 0
    .kernarg_segment_align: 8
    .kernarg_segment_size: 96
    .language:       OpenCL C
    .language_version:
      - 2
      - 0
    .max_flat_workgroup_size: 256
    .name:           _ZN7rocprim17ROCPRIM_400000_NS6detail17trampoline_kernelINS0_14default_configENS1_36segmented_radix_sort_config_selectorIdlEEZNS1_25segmented_radix_sort_implIS3_Lb0EPKdPdPKlPlN2at6native12_GLOBAL__N_18offset_tEEE10hipError_tPvRmT1_PNSt15iterator_traitsISK_E10value_typeET2_T3_PNSL_ISQ_E10value_typeET4_jRbjT5_SW_jjP12ihipStream_tbEUlT_E_NS1_11comp_targetILNS1_3genE5ELNS1_11target_archE942ELNS1_3gpuE9ELNS1_3repE0EEENS1_30default_config_static_selectorELNS0_4arch9wavefront6targetE0EEEvSK_
    .private_segment_fixed_size: 0
    .sgpr_count:     0
    .sgpr_spill_count: 0
    .symbol:         _ZN7rocprim17ROCPRIM_400000_NS6detail17trampoline_kernelINS0_14default_configENS1_36segmented_radix_sort_config_selectorIdlEEZNS1_25segmented_radix_sort_implIS3_Lb0EPKdPdPKlPlN2at6native12_GLOBAL__N_18offset_tEEE10hipError_tPvRmT1_PNSt15iterator_traitsISK_E10value_typeET2_T3_PNSL_ISQ_E10value_typeET4_jRbjT5_SW_jjP12ihipStream_tbEUlT_E_NS1_11comp_targetILNS1_3genE5ELNS1_11target_archE942ELNS1_3gpuE9ELNS1_3repE0EEENS1_30default_config_static_selectorELNS0_4arch9wavefront6targetE0EEEvSK_.kd
    .uniform_work_group_size: 1
    .uses_dynamic_stack: false
    .vgpr_count:     0
    .vgpr_spill_count: 0
    .wavefront_size: 32
    .workgroup_processor_mode: 1
  - .args:
      - .offset:         0
        .size:           96
        .value_kind:     by_value
    .group_segment_fixed_size: 0
    .kernarg_segment_align: 8
    .kernarg_segment_size: 96
    .language:       OpenCL C
    .language_version:
      - 2
      - 0
    .max_flat_workgroup_size: 256
    .name:           _ZN7rocprim17ROCPRIM_400000_NS6detail17trampoline_kernelINS0_14default_configENS1_36segmented_radix_sort_config_selectorIdlEEZNS1_25segmented_radix_sort_implIS3_Lb0EPKdPdPKlPlN2at6native12_GLOBAL__N_18offset_tEEE10hipError_tPvRmT1_PNSt15iterator_traitsISK_E10value_typeET2_T3_PNSL_ISQ_E10value_typeET4_jRbjT5_SW_jjP12ihipStream_tbEUlT_E_NS1_11comp_targetILNS1_3genE4ELNS1_11target_archE910ELNS1_3gpuE8ELNS1_3repE0EEENS1_30default_config_static_selectorELNS0_4arch9wavefront6targetE0EEEvSK_
    .private_segment_fixed_size: 0
    .sgpr_count:     0
    .sgpr_spill_count: 0
    .symbol:         _ZN7rocprim17ROCPRIM_400000_NS6detail17trampoline_kernelINS0_14default_configENS1_36segmented_radix_sort_config_selectorIdlEEZNS1_25segmented_radix_sort_implIS3_Lb0EPKdPdPKlPlN2at6native12_GLOBAL__N_18offset_tEEE10hipError_tPvRmT1_PNSt15iterator_traitsISK_E10value_typeET2_T3_PNSL_ISQ_E10value_typeET4_jRbjT5_SW_jjP12ihipStream_tbEUlT_E_NS1_11comp_targetILNS1_3genE4ELNS1_11target_archE910ELNS1_3gpuE8ELNS1_3repE0EEENS1_30default_config_static_selectorELNS0_4arch9wavefront6targetE0EEEvSK_.kd
    .uniform_work_group_size: 1
    .uses_dynamic_stack: false
    .vgpr_count:     0
    .vgpr_spill_count: 0
    .wavefront_size: 32
    .workgroup_processor_mode: 1
  - .args:
      - .offset:         0
        .size:           96
        .value_kind:     by_value
    .group_segment_fixed_size: 0
    .kernarg_segment_align: 8
    .kernarg_segment_size: 96
    .language:       OpenCL C
    .language_version:
      - 2
      - 0
    .max_flat_workgroup_size: 256
    .name:           _ZN7rocprim17ROCPRIM_400000_NS6detail17trampoline_kernelINS0_14default_configENS1_36segmented_radix_sort_config_selectorIdlEEZNS1_25segmented_radix_sort_implIS3_Lb0EPKdPdPKlPlN2at6native12_GLOBAL__N_18offset_tEEE10hipError_tPvRmT1_PNSt15iterator_traitsISK_E10value_typeET2_T3_PNSL_ISQ_E10value_typeET4_jRbjT5_SW_jjP12ihipStream_tbEUlT_E_NS1_11comp_targetILNS1_3genE3ELNS1_11target_archE908ELNS1_3gpuE7ELNS1_3repE0EEENS1_30default_config_static_selectorELNS0_4arch9wavefront6targetE0EEEvSK_
    .private_segment_fixed_size: 0
    .sgpr_count:     0
    .sgpr_spill_count: 0
    .symbol:         _ZN7rocprim17ROCPRIM_400000_NS6detail17trampoline_kernelINS0_14default_configENS1_36segmented_radix_sort_config_selectorIdlEEZNS1_25segmented_radix_sort_implIS3_Lb0EPKdPdPKlPlN2at6native12_GLOBAL__N_18offset_tEEE10hipError_tPvRmT1_PNSt15iterator_traitsISK_E10value_typeET2_T3_PNSL_ISQ_E10value_typeET4_jRbjT5_SW_jjP12ihipStream_tbEUlT_E_NS1_11comp_targetILNS1_3genE3ELNS1_11target_archE908ELNS1_3gpuE7ELNS1_3repE0EEENS1_30default_config_static_selectorELNS0_4arch9wavefront6targetE0EEEvSK_.kd
    .uniform_work_group_size: 1
    .uses_dynamic_stack: false
    .vgpr_count:     0
    .vgpr_spill_count: 0
    .wavefront_size: 32
    .workgroup_processor_mode: 1
  - .args:
      - .offset:         0
        .size:           96
        .value_kind:     by_value
    .group_segment_fixed_size: 0
    .kernarg_segment_align: 8
    .kernarg_segment_size: 96
    .language:       OpenCL C
    .language_version:
      - 2
      - 0
    .max_flat_workgroup_size: 256
    .name:           _ZN7rocprim17ROCPRIM_400000_NS6detail17trampoline_kernelINS0_14default_configENS1_36segmented_radix_sort_config_selectorIdlEEZNS1_25segmented_radix_sort_implIS3_Lb0EPKdPdPKlPlN2at6native12_GLOBAL__N_18offset_tEEE10hipError_tPvRmT1_PNSt15iterator_traitsISK_E10value_typeET2_T3_PNSL_ISQ_E10value_typeET4_jRbjT5_SW_jjP12ihipStream_tbEUlT_E_NS1_11comp_targetILNS1_3genE2ELNS1_11target_archE906ELNS1_3gpuE6ELNS1_3repE0EEENS1_30default_config_static_selectorELNS0_4arch9wavefront6targetE0EEEvSK_
    .private_segment_fixed_size: 0
    .sgpr_count:     0
    .sgpr_spill_count: 0
    .symbol:         _ZN7rocprim17ROCPRIM_400000_NS6detail17trampoline_kernelINS0_14default_configENS1_36segmented_radix_sort_config_selectorIdlEEZNS1_25segmented_radix_sort_implIS3_Lb0EPKdPdPKlPlN2at6native12_GLOBAL__N_18offset_tEEE10hipError_tPvRmT1_PNSt15iterator_traitsISK_E10value_typeET2_T3_PNSL_ISQ_E10value_typeET4_jRbjT5_SW_jjP12ihipStream_tbEUlT_E_NS1_11comp_targetILNS1_3genE2ELNS1_11target_archE906ELNS1_3gpuE6ELNS1_3repE0EEENS1_30default_config_static_selectorELNS0_4arch9wavefront6targetE0EEEvSK_.kd
    .uniform_work_group_size: 1
    .uses_dynamic_stack: false
    .vgpr_count:     0
    .vgpr_spill_count: 0
    .wavefront_size: 32
    .workgroup_processor_mode: 1
  - .args:
      - .offset:         0
        .size:           96
        .value_kind:     by_value
      - .offset:         96
        .size:           4
        .value_kind:     hidden_block_count_x
      - .offset:         100
        .size:           4
        .value_kind:     hidden_block_count_y
      - .offset:         104
        .size:           4
        .value_kind:     hidden_block_count_z
      - .offset:         108
        .size:           2
        .value_kind:     hidden_group_size_x
      - .offset:         110
        .size:           2
        .value_kind:     hidden_group_size_y
      - .offset:         112
        .size:           2
        .value_kind:     hidden_group_size_z
      - .offset:         114
        .size:           2
        .value_kind:     hidden_remainder_x
      - .offset:         116
        .size:           2
        .value_kind:     hidden_remainder_y
      - .offset:         118
        .size:           2
        .value_kind:     hidden_remainder_z
      - .offset:         136
        .size:           8
        .value_kind:     hidden_global_offset_x
      - .offset:         144
        .size:           8
        .value_kind:     hidden_global_offset_y
      - .offset:         152
        .size:           8
        .value_kind:     hidden_global_offset_z
      - .offset:         160
        .size:           2
        .value_kind:     hidden_grid_dims
    .group_segment_fixed_size: 33824
    .kernarg_segment_align: 8
    .kernarg_segment_size: 352
    .language:       OpenCL C
    .language_version:
      - 2
      - 0
    .max_flat_workgroup_size: 256
    .name:           _ZN7rocprim17ROCPRIM_400000_NS6detail17trampoline_kernelINS0_14default_configENS1_36segmented_radix_sort_config_selectorIdlEEZNS1_25segmented_radix_sort_implIS3_Lb0EPKdPdPKlPlN2at6native12_GLOBAL__N_18offset_tEEE10hipError_tPvRmT1_PNSt15iterator_traitsISK_E10value_typeET2_T3_PNSL_ISQ_E10value_typeET4_jRbjT5_SW_jjP12ihipStream_tbEUlT_E_NS1_11comp_targetILNS1_3genE10ELNS1_11target_archE1201ELNS1_3gpuE5ELNS1_3repE0EEENS1_30default_config_static_selectorELNS0_4arch9wavefront6targetE0EEEvSK_
    .private_segment_fixed_size: 176
    .sgpr_count:     64
    .sgpr_spill_count: 0
    .symbol:         _ZN7rocprim17ROCPRIM_400000_NS6detail17trampoline_kernelINS0_14default_configENS1_36segmented_radix_sort_config_selectorIdlEEZNS1_25segmented_radix_sort_implIS3_Lb0EPKdPdPKlPlN2at6native12_GLOBAL__N_18offset_tEEE10hipError_tPvRmT1_PNSt15iterator_traitsISK_E10value_typeET2_T3_PNSL_ISQ_E10value_typeET4_jRbjT5_SW_jjP12ihipStream_tbEUlT_E_NS1_11comp_targetILNS1_3genE10ELNS1_11target_archE1201ELNS1_3gpuE5ELNS1_3repE0EEENS1_30default_config_static_selectorELNS0_4arch9wavefront6targetE0EEEvSK_.kd
    .uniform_work_group_size: 1
    .uses_dynamic_stack: false
    .vgpr_count:     248
    .vgpr_spill_count: 0
    .wavefront_size: 32
    .workgroup_processor_mode: 1
  - .args:
      - .offset:         0
        .size:           96
        .value_kind:     by_value
    .group_segment_fixed_size: 0
    .kernarg_segment_align: 8
    .kernarg_segment_size: 96
    .language:       OpenCL C
    .language_version:
      - 2
      - 0
    .max_flat_workgroup_size: 128
    .name:           _ZN7rocprim17ROCPRIM_400000_NS6detail17trampoline_kernelINS0_14default_configENS1_36segmented_radix_sort_config_selectorIdlEEZNS1_25segmented_radix_sort_implIS3_Lb0EPKdPdPKlPlN2at6native12_GLOBAL__N_18offset_tEEE10hipError_tPvRmT1_PNSt15iterator_traitsISK_E10value_typeET2_T3_PNSL_ISQ_E10value_typeET4_jRbjT5_SW_jjP12ihipStream_tbEUlT_E_NS1_11comp_targetILNS1_3genE10ELNS1_11target_archE1200ELNS1_3gpuE4ELNS1_3repE0EEENS1_30default_config_static_selectorELNS0_4arch9wavefront6targetE0EEEvSK_
    .private_segment_fixed_size: 0
    .sgpr_count:     0
    .sgpr_spill_count: 0
    .symbol:         _ZN7rocprim17ROCPRIM_400000_NS6detail17trampoline_kernelINS0_14default_configENS1_36segmented_radix_sort_config_selectorIdlEEZNS1_25segmented_radix_sort_implIS3_Lb0EPKdPdPKlPlN2at6native12_GLOBAL__N_18offset_tEEE10hipError_tPvRmT1_PNSt15iterator_traitsISK_E10value_typeET2_T3_PNSL_ISQ_E10value_typeET4_jRbjT5_SW_jjP12ihipStream_tbEUlT_E_NS1_11comp_targetILNS1_3genE10ELNS1_11target_archE1200ELNS1_3gpuE4ELNS1_3repE0EEENS1_30default_config_static_selectorELNS0_4arch9wavefront6targetE0EEEvSK_.kd
    .uniform_work_group_size: 1
    .uses_dynamic_stack: false
    .vgpr_count:     0
    .vgpr_spill_count: 0
    .wavefront_size: 32
    .workgroup_processor_mode: 1
  - .args:
      - .offset:         0
        .size:           96
        .value_kind:     by_value
    .group_segment_fixed_size: 0
    .kernarg_segment_align: 8
    .kernarg_segment_size: 96
    .language:       OpenCL C
    .language_version:
      - 2
      - 0
    .max_flat_workgroup_size: 256
    .name:           _ZN7rocprim17ROCPRIM_400000_NS6detail17trampoline_kernelINS0_14default_configENS1_36segmented_radix_sort_config_selectorIdlEEZNS1_25segmented_radix_sort_implIS3_Lb0EPKdPdPKlPlN2at6native12_GLOBAL__N_18offset_tEEE10hipError_tPvRmT1_PNSt15iterator_traitsISK_E10value_typeET2_T3_PNSL_ISQ_E10value_typeET4_jRbjT5_SW_jjP12ihipStream_tbEUlT_E_NS1_11comp_targetILNS1_3genE9ELNS1_11target_archE1100ELNS1_3gpuE3ELNS1_3repE0EEENS1_30default_config_static_selectorELNS0_4arch9wavefront6targetE0EEEvSK_
    .private_segment_fixed_size: 0
    .sgpr_count:     0
    .sgpr_spill_count: 0
    .symbol:         _ZN7rocprim17ROCPRIM_400000_NS6detail17trampoline_kernelINS0_14default_configENS1_36segmented_radix_sort_config_selectorIdlEEZNS1_25segmented_radix_sort_implIS3_Lb0EPKdPdPKlPlN2at6native12_GLOBAL__N_18offset_tEEE10hipError_tPvRmT1_PNSt15iterator_traitsISK_E10value_typeET2_T3_PNSL_ISQ_E10value_typeET4_jRbjT5_SW_jjP12ihipStream_tbEUlT_E_NS1_11comp_targetILNS1_3genE9ELNS1_11target_archE1100ELNS1_3gpuE3ELNS1_3repE0EEENS1_30default_config_static_selectorELNS0_4arch9wavefront6targetE0EEEvSK_.kd
    .uniform_work_group_size: 1
    .uses_dynamic_stack: false
    .vgpr_count:     0
    .vgpr_spill_count: 0
    .wavefront_size: 32
    .workgroup_processor_mode: 1
  - .args:
      - .offset:         0
        .size:           96
        .value_kind:     by_value
    .group_segment_fixed_size: 0
    .kernarg_segment_align: 8
    .kernarg_segment_size: 96
    .language:       OpenCL C
    .language_version:
      - 2
      - 0
    .max_flat_workgroup_size: 256
    .name:           _ZN7rocprim17ROCPRIM_400000_NS6detail17trampoline_kernelINS0_14default_configENS1_36segmented_radix_sort_config_selectorIdlEEZNS1_25segmented_radix_sort_implIS3_Lb0EPKdPdPKlPlN2at6native12_GLOBAL__N_18offset_tEEE10hipError_tPvRmT1_PNSt15iterator_traitsISK_E10value_typeET2_T3_PNSL_ISQ_E10value_typeET4_jRbjT5_SW_jjP12ihipStream_tbEUlT_E_NS1_11comp_targetILNS1_3genE8ELNS1_11target_archE1030ELNS1_3gpuE2ELNS1_3repE0EEENS1_30default_config_static_selectorELNS0_4arch9wavefront6targetE0EEEvSK_
    .private_segment_fixed_size: 0
    .sgpr_count:     0
    .sgpr_spill_count: 0
    .symbol:         _ZN7rocprim17ROCPRIM_400000_NS6detail17trampoline_kernelINS0_14default_configENS1_36segmented_radix_sort_config_selectorIdlEEZNS1_25segmented_radix_sort_implIS3_Lb0EPKdPdPKlPlN2at6native12_GLOBAL__N_18offset_tEEE10hipError_tPvRmT1_PNSt15iterator_traitsISK_E10value_typeET2_T3_PNSL_ISQ_E10value_typeET4_jRbjT5_SW_jjP12ihipStream_tbEUlT_E_NS1_11comp_targetILNS1_3genE8ELNS1_11target_archE1030ELNS1_3gpuE2ELNS1_3repE0EEENS1_30default_config_static_selectorELNS0_4arch9wavefront6targetE0EEEvSK_.kd
    .uniform_work_group_size: 1
    .uses_dynamic_stack: false
    .vgpr_count:     0
    .vgpr_spill_count: 0
    .wavefront_size: 32
    .workgroup_processor_mode: 1
  - .args:
      - .offset:         0
        .size:           88
        .value_kind:     by_value
    .group_segment_fixed_size: 0
    .kernarg_segment_align: 8
    .kernarg_segment_size: 88
    .language:       OpenCL C
    .language_version:
      - 2
      - 0
    .max_flat_workgroup_size: 256
    .name:           _ZN7rocprim17ROCPRIM_400000_NS6detail17trampoline_kernelINS0_14default_configENS1_36segmented_radix_sort_config_selectorIdlEEZNS1_25segmented_radix_sort_implIS3_Lb0EPKdPdPKlPlN2at6native12_GLOBAL__N_18offset_tEEE10hipError_tPvRmT1_PNSt15iterator_traitsISK_E10value_typeET2_T3_PNSL_ISQ_E10value_typeET4_jRbjT5_SW_jjP12ihipStream_tbEUlT_E0_NS1_11comp_targetILNS1_3genE0ELNS1_11target_archE4294967295ELNS1_3gpuE0ELNS1_3repE0EEENS1_60segmented_radix_sort_warp_sort_medium_config_static_selectorELNS0_4arch9wavefront6targetE0EEEvSK_
    .private_segment_fixed_size: 0
    .sgpr_count:     0
    .sgpr_spill_count: 0
    .symbol:         _ZN7rocprim17ROCPRIM_400000_NS6detail17trampoline_kernelINS0_14default_configENS1_36segmented_radix_sort_config_selectorIdlEEZNS1_25segmented_radix_sort_implIS3_Lb0EPKdPdPKlPlN2at6native12_GLOBAL__N_18offset_tEEE10hipError_tPvRmT1_PNSt15iterator_traitsISK_E10value_typeET2_T3_PNSL_ISQ_E10value_typeET4_jRbjT5_SW_jjP12ihipStream_tbEUlT_E0_NS1_11comp_targetILNS1_3genE0ELNS1_11target_archE4294967295ELNS1_3gpuE0ELNS1_3repE0EEENS1_60segmented_radix_sort_warp_sort_medium_config_static_selectorELNS0_4arch9wavefront6targetE0EEEvSK_.kd
    .uniform_work_group_size: 1
    .uses_dynamic_stack: false
    .vgpr_count:     0
    .vgpr_spill_count: 0
    .wavefront_size: 32
    .workgroup_processor_mode: 1
  - .args:
      - .offset:         0
        .size:           88
        .value_kind:     by_value
    .group_segment_fixed_size: 0
    .kernarg_segment_align: 8
    .kernarg_segment_size: 88
    .language:       OpenCL C
    .language_version:
      - 2
      - 0
    .max_flat_workgroup_size: 256
    .name:           _ZN7rocprim17ROCPRIM_400000_NS6detail17trampoline_kernelINS0_14default_configENS1_36segmented_radix_sort_config_selectorIdlEEZNS1_25segmented_radix_sort_implIS3_Lb0EPKdPdPKlPlN2at6native12_GLOBAL__N_18offset_tEEE10hipError_tPvRmT1_PNSt15iterator_traitsISK_E10value_typeET2_T3_PNSL_ISQ_E10value_typeET4_jRbjT5_SW_jjP12ihipStream_tbEUlT_E0_NS1_11comp_targetILNS1_3genE5ELNS1_11target_archE942ELNS1_3gpuE9ELNS1_3repE0EEENS1_60segmented_radix_sort_warp_sort_medium_config_static_selectorELNS0_4arch9wavefront6targetE0EEEvSK_
    .private_segment_fixed_size: 0
    .sgpr_count:     0
    .sgpr_spill_count: 0
    .symbol:         _ZN7rocprim17ROCPRIM_400000_NS6detail17trampoline_kernelINS0_14default_configENS1_36segmented_radix_sort_config_selectorIdlEEZNS1_25segmented_radix_sort_implIS3_Lb0EPKdPdPKlPlN2at6native12_GLOBAL__N_18offset_tEEE10hipError_tPvRmT1_PNSt15iterator_traitsISK_E10value_typeET2_T3_PNSL_ISQ_E10value_typeET4_jRbjT5_SW_jjP12ihipStream_tbEUlT_E0_NS1_11comp_targetILNS1_3genE5ELNS1_11target_archE942ELNS1_3gpuE9ELNS1_3repE0EEENS1_60segmented_radix_sort_warp_sort_medium_config_static_selectorELNS0_4arch9wavefront6targetE0EEEvSK_.kd
    .uniform_work_group_size: 1
    .uses_dynamic_stack: false
    .vgpr_count:     0
    .vgpr_spill_count: 0
    .wavefront_size: 32
    .workgroup_processor_mode: 1
  - .args:
      - .offset:         0
        .size:           88
        .value_kind:     by_value
    .group_segment_fixed_size: 0
    .kernarg_segment_align: 8
    .kernarg_segment_size: 88
    .language:       OpenCL C
    .language_version:
      - 2
      - 0
    .max_flat_workgroup_size: 256
    .name:           _ZN7rocprim17ROCPRIM_400000_NS6detail17trampoline_kernelINS0_14default_configENS1_36segmented_radix_sort_config_selectorIdlEEZNS1_25segmented_radix_sort_implIS3_Lb0EPKdPdPKlPlN2at6native12_GLOBAL__N_18offset_tEEE10hipError_tPvRmT1_PNSt15iterator_traitsISK_E10value_typeET2_T3_PNSL_ISQ_E10value_typeET4_jRbjT5_SW_jjP12ihipStream_tbEUlT_E0_NS1_11comp_targetILNS1_3genE4ELNS1_11target_archE910ELNS1_3gpuE8ELNS1_3repE0EEENS1_60segmented_radix_sort_warp_sort_medium_config_static_selectorELNS0_4arch9wavefront6targetE0EEEvSK_
    .private_segment_fixed_size: 0
    .sgpr_count:     0
    .sgpr_spill_count: 0
    .symbol:         _ZN7rocprim17ROCPRIM_400000_NS6detail17trampoline_kernelINS0_14default_configENS1_36segmented_radix_sort_config_selectorIdlEEZNS1_25segmented_radix_sort_implIS3_Lb0EPKdPdPKlPlN2at6native12_GLOBAL__N_18offset_tEEE10hipError_tPvRmT1_PNSt15iterator_traitsISK_E10value_typeET2_T3_PNSL_ISQ_E10value_typeET4_jRbjT5_SW_jjP12ihipStream_tbEUlT_E0_NS1_11comp_targetILNS1_3genE4ELNS1_11target_archE910ELNS1_3gpuE8ELNS1_3repE0EEENS1_60segmented_radix_sort_warp_sort_medium_config_static_selectorELNS0_4arch9wavefront6targetE0EEEvSK_.kd
    .uniform_work_group_size: 1
    .uses_dynamic_stack: false
    .vgpr_count:     0
    .vgpr_spill_count: 0
    .wavefront_size: 32
    .workgroup_processor_mode: 1
  - .args:
      - .offset:         0
        .size:           88
        .value_kind:     by_value
    .group_segment_fixed_size: 0
    .kernarg_segment_align: 8
    .kernarg_segment_size: 88
    .language:       OpenCL C
    .language_version:
      - 2
      - 0
    .max_flat_workgroup_size: 256
    .name:           _ZN7rocprim17ROCPRIM_400000_NS6detail17trampoline_kernelINS0_14default_configENS1_36segmented_radix_sort_config_selectorIdlEEZNS1_25segmented_radix_sort_implIS3_Lb0EPKdPdPKlPlN2at6native12_GLOBAL__N_18offset_tEEE10hipError_tPvRmT1_PNSt15iterator_traitsISK_E10value_typeET2_T3_PNSL_ISQ_E10value_typeET4_jRbjT5_SW_jjP12ihipStream_tbEUlT_E0_NS1_11comp_targetILNS1_3genE3ELNS1_11target_archE908ELNS1_3gpuE7ELNS1_3repE0EEENS1_60segmented_radix_sort_warp_sort_medium_config_static_selectorELNS0_4arch9wavefront6targetE0EEEvSK_
    .private_segment_fixed_size: 0
    .sgpr_count:     0
    .sgpr_spill_count: 0
    .symbol:         _ZN7rocprim17ROCPRIM_400000_NS6detail17trampoline_kernelINS0_14default_configENS1_36segmented_radix_sort_config_selectorIdlEEZNS1_25segmented_radix_sort_implIS3_Lb0EPKdPdPKlPlN2at6native12_GLOBAL__N_18offset_tEEE10hipError_tPvRmT1_PNSt15iterator_traitsISK_E10value_typeET2_T3_PNSL_ISQ_E10value_typeET4_jRbjT5_SW_jjP12ihipStream_tbEUlT_E0_NS1_11comp_targetILNS1_3genE3ELNS1_11target_archE908ELNS1_3gpuE7ELNS1_3repE0EEENS1_60segmented_radix_sort_warp_sort_medium_config_static_selectorELNS0_4arch9wavefront6targetE0EEEvSK_.kd
    .uniform_work_group_size: 1
    .uses_dynamic_stack: false
    .vgpr_count:     0
    .vgpr_spill_count: 0
    .wavefront_size: 32
    .workgroup_processor_mode: 1
  - .args:
      - .offset:         0
        .size:           88
        .value_kind:     by_value
    .group_segment_fixed_size: 0
    .kernarg_segment_align: 8
    .kernarg_segment_size: 88
    .language:       OpenCL C
    .language_version:
      - 2
      - 0
    .max_flat_workgroup_size: 256
    .name:           _ZN7rocprim17ROCPRIM_400000_NS6detail17trampoline_kernelINS0_14default_configENS1_36segmented_radix_sort_config_selectorIdlEEZNS1_25segmented_radix_sort_implIS3_Lb0EPKdPdPKlPlN2at6native12_GLOBAL__N_18offset_tEEE10hipError_tPvRmT1_PNSt15iterator_traitsISK_E10value_typeET2_T3_PNSL_ISQ_E10value_typeET4_jRbjT5_SW_jjP12ihipStream_tbEUlT_E0_NS1_11comp_targetILNS1_3genE2ELNS1_11target_archE906ELNS1_3gpuE6ELNS1_3repE0EEENS1_60segmented_radix_sort_warp_sort_medium_config_static_selectorELNS0_4arch9wavefront6targetE0EEEvSK_
    .private_segment_fixed_size: 0
    .sgpr_count:     0
    .sgpr_spill_count: 0
    .symbol:         _ZN7rocprim17ROCPRIM_400000_NS6detail17trampoline_kernelINS0_14default_configENS1_36segmented_radix_sort_config_selectorIdlEEZNS1_25segmented_radix_sort_implIS3_Lb0EPKdPdPKlPlN2at6native12_GLOBAL__N_18offset_tEEE10hipError_tPvRmT1_PNSt15iterator_traitsISK_E10value_typeET2_T3_PNSL_ISQ_E10value_typeET4_jRbjT5_SW_jjP12ihipStream_tbEUlT_E0_NS1_11comp_targetILNS1_3genE2ELNS1_11target_archE906ELNS1_3gpuE6ELNS1_3repE0EEENS1_60segmented_radix_sort_warp_sort_medium_config_static_selectorELNS0_4arch9wavefront6targetE0EEEvSK_.kd
    .uniform_work_group_size: 1
    .uses_dynamic_stack: false
    .vgpr_count:     0
    .vgpr_spill_count: 0
    .wavefront_size: 32
    .workgroup_processor_mode: 1
  - .args:
      - .offset:         0
        .size:           88
        .value_kind:     by_value
      - .offset:         88
        .size:           4
        .value_kind:     hidden_block_count_x
      - .offset:         92
        .size:           4
        .value_kind:     hidden_block_count_y
      - .offset:         96
        .size:           4
        .value_kind:     hidden_block_count_z
      - .offset:         100
        .size:           2
        .value_kind:     hidden_group_size_x
      - .offset:         102
        .size:           2
        .value_kind:     hidden_group_size_y
      - .offset:         104
        .size:           2
        .value_kind:     hidden_group_size_z
      - .offset:         106
        .size:           2
        .value_kind:     hidden_remainder_x
      - .offset:         108
        .size:           2
        .value_kind:     hidden_remainder_y
      - .offset:         110
        .size:           2
        .value_kind:     hidden_remainder_z
      - .offset:         128
        .size:           8
        .value_kind:     hidden_global_offset_x
      - .offset:         136
        .size:           8
        .value_kind:     hidden_global_offset_y
      - .offset:         144
        .size:           8
        .value_kind:     hidden_global_offset_z
      - .offset:         152
        .size:           2
        .value_kind:     hidden_grid_dims
    .group_segment_fixed_size: 32768
    .kernarg_segment_align: 8
    .kernarg_segment_size: 344
    .language:       OpenCL C
    .language_version:
      - 2
      - 0
    .max_flat_workgroup_size: 256
    .name:           _ZN7rocprim17ROCPRIM_400000_NS6detail17trampoline_kernelINS0_14default_configENS1_36segmented_radix_sort_config_selectorIdlEEZNS1_25segmented_radix_sort_implIS3_Lb0EPKdPdPKlPlN2at6native12_GLOBAL__N_18offset_tEEE10hipError_tPvRmT1_PNSt15iterator_traitsISK_E10value_typeET2_T3_PNSL_ISQ_E10value_typeET4_jRbjT5_SW_jjP12ihipStream_tbEUlT_E0_NS1_11comp_targetILNS1_3genE10ELNS1_11target_archE1201ELNS1_3gpuE5ELNS1_3repE0EEENS1_60segmented_radix_sort_warp_sort_medium_config_static_selectorELNS0_4arch9wavefront6targetE0EEEvSK_
    .private_segment_fixed_size: 0
    .sgpr_count:     46
    .sgpr_spill_count: 0
    .symbol:         _ZN7rocprim17ROCPRIM_400000_NS6detail17trampoline_kernelINS0_14default_configENS1_36segmented_radix_sort_config_selectorIdlEEZNS1_25segmented_radix_sort_implIS3_Lb0EPKdPdPKlPlN2at6native12_GLOBAL__N_18offset_tEEE10hipError_tPvRmT1_PNSt15iterator_traitsISK_E10value_typeET2_T3_PNSL_ISQ_E10value_typeET4_jRbjT5_SW_jjP12ihipStream_tbEUlT_E0_NS1_11comp_targetILNS1_3genE10ELNS1_11target_archE1201ELNS1_3gpuE5ELNS1_3repE0EEENS1_60segmented_radix_sort_warp_sort_medium_config_static_selectorELNS0_4arch9wavefront6targetE0EEEvSK_.kd
    .uniform_work_group_size: 1
    .uses_dynamic_stack: false
    .vgpr_count:     104
    .vgpr_spill_count: 0
    .wavefront_size: 32
    .workgroup_processor_mode: 1
  - .args:
      - .offset:         0
        .size:           88
        .value_kind:     by_value
    .group_segment_fixed_size: 0
    .kernarg_segment_align: 8
    .kernarg_segment_size: 88
    .language:       OpenCL C
    .language_version:
      - 2
      - 0
    .max_flat_workgroup_size: 256
    .name:           _ZN7rocprim17ROCPRIM_400000_NS6detail17trampoline_kernelINS0_14default_configENS1_36segmented_radix_sort_config_selectorIdlEEZNS1_25segmented_radix_sort_implIS3_Lb0EPKdPdPKlPlN2at6native12_GLOBAL__N_18offset_tEEE10hipError_tPvRmT1_PNSt15iterator_traitsISK_E10value_typeET2_T3_PNSL_ISQ_E10value_typeET4_jRbjT5_SW_jjP12ihipStream_tbEUlT_E0_NS1_11comp_targetILNS1_3genE10ELNS1_11target_archE1200ELNS1_3gpuE4ELNS1_3repE0EEENS1_60segmented_radix_sort_warp_sort_medium_config_static_selectorELNS0_4arch9wavefront6targetE0EEEvSK_
    .private_segment_fixed_size: 0
    .sgpr_count:     0
    .sgpr_spill_count: 0
    .symbol:         _ZN7rocprim17ROCPRIM_400000_NS6detail17trampoline_kernelINS0_14default_configENS1_36segmented_radix_sort_config_selectorIdlEEZNS1_25segmented_radix_sort_implIS3_Lb0EPKdPdPKlPlN2at6native12_GLOBAL__N_18offset_tEEE10hipError_tPvRmT1_PNSt15iterator_traitsISK_E10value_typeET2_T3_PNSL_ISQ_E10value_typeET4_jRbjT5_SW_jjP12ihipStream_tbEUlT_E0_NS1_11comp_targetILNS1_3genE10ELNS1_11target_archE1200ELNS1_3gpuE4ELNS1_3repE0EEENS1_60segmented_radix_sort_warp_sort_medium_config_static_selectorELNS0_4arch9wavefront6targetE0EEEvSK_.kd
    .uniform_work_group_size: 1
    .uses_dynamic_stack: false
    .vgpr_count:     0
    .vgpr_spill_count: 0
    .wavefront_size: 32
    .workgroup_processor_mode: 1
  - .args:
      - .offset:         0
        .size:           88
        .value_kind:     by_value
    .group_segment_fixed_size: 0
    .kernarg_segment_align: 8
    .kernarg_segment_size: 88
    .language:       OpenCL C
    .language_version:
      - 2
      - 0
    .max_flat_workgroup_size: 256
    .name:           _ZN7rocprim17ROCPRIM_400000_NS6detail17trampoline_kernelINS0_14default_configENS1_36segmented_radix_sort_config_selectorIdlEEZNS1_25segmented_radix_sort_implIS3_Lb0EPKdPdPKlPlN2at6native12_GLOBAL__N_18offset_tEEE10hipError_tPvRmT1_PNSt15iterator_traitsISK_E10value_typeET2_T3_PNSL_ISQ_E10value_typeET4_jRbjT5_SW_jjP12ihipStream_tbEUlT_E0_NS1_11comp_targetILNS1_3genE9ELNS1_11target_archE1100ELNS1_3gpuE3ELNS1_3repE0EEENS1_60segmented_radix_sort_warp_sort_medium_config_static_selectorELNS0_4arch9wavefront6targetE0EEEvSK_
    .private_segment_fixed_size: 0
    .sgpr_count:     0
    .sgpr_spill_count: 0
    .symbol:         _ZN7rocprim17ROCPRIM_400000_NS6detail17trampoline_kernelINS0_14default_configENS1_36segmented_radix_sort_config_selectorIdlEEZNS1_25segmented_radix_sort_implIS3_Lb0EPKdPdPKlPlN2at6native12_GLOBAL__N_18offset_tEEE10hipError_tPvRmT1_PNSt15iterator_traitsISK_E10value_typeET2_T3_PNSL_ISQ_E10value_typeET4_jRbjT5_SW_jjP12ihipStream_tbEUlT_E0_NS1_11comp_targetILNS1_3genE9ELNS1_11target_archE1100ELNS1_3gpuE3ELNS1_3repE0EEENS1_60segmented_radix_sort_warp_sort_medium_config_static_selectorELNS0_4arch9wavefront6targetE0EEEvSK_.kd
    .uniform_work_group_size: 1
    .uses_dynamic_stack: false
    .vgpr_count:     0
    .vgpr_spill_count: 0
    .wavefront_size: 32
    .workgroup_processor_mode: 1
  - .args:
      - .offset:         0
        .size:           88
        .value_kind:     by_value
    .group_segment_fixed_size: 0
    .kernarg_segment_align: 8
    .kernarg_segment_size: 88
    .language:       OpenCL C
    .language_version:
      - 2
      - 0
    .max_flat_workgroup_size: 256
    .name:           _ZN7rocprim17ROCPRIM_400000_NS6detail17trampoline_kernelINS0_14default_configENS1_36segmented_radix_sort_config_selectorIdlEEZNS1_25segmented_radix_sort_implIS3_Lb0EPKdPdPKlPlN2at6native12_GLOBAL__N_18offset_tEEE10hipError_tPvRmT1_PNSt15iterator_traitsISK_E10value_typeET2_T3_PNSL_ISQ_E10value_typeET4_jRbjT5_SW_jjP12ihipStream_tbEUlT_E0_NS1_11comp_targetILNS1_3genE8ELNS1_11target_archE1030ELNS1_3gpuE2ELNS1_3repE0EEENS1_60segmented_radix_sort_warp_sort_medium_config_static_selectorELNS0_4arch9wavefront6targetE0EEEvSK_
    .private_segment_fixed_size: 0
    .sgpr_count:     0
    .sgpr_spill_count: 0
    .symbol:         _ZN7rocprim17ROCPRIM_400000_NS6detail17trampoline_kernelINS0_14default_configENS1_36segmented_radix_sort_config_selectorIdlEEZNS1_25segmented_radix_sort_implIS3_Lb0EPKdPdPKlPlN2at6native12_GLOBAL__N_18offset_tEEE10hipError_tPvRmT1_PNSt15iterator_traitsISK_E10value_typeET2_T3_PNSL_ISQ_E10value_typeET4_jRbjT5_SW_jjP12ihipStream_tbEUlT_E0_NS1_11comp_targetILNS1_3genE8ELNS1_11target_archE1030ELNS1_3gpuE2ELNS1_3repE0EEENS1_60segmented_radix_sort_warp_sort_medium_config_static_selectorELNS0_4arch9wavefront6targetE0EEEvSK_.kd
    .uniform_work_group_size: 1
    .uses_dynamic_stack: false
    .vgpr_count:     0
    .vgpr_spill_count: 0
    .wavefront_size: 32
    .workgroup_processor_mode: 1
  - .args:
      - .offset:         0
        .size:           88
        .value_kind:     by_value
    .group_segment_fixed_size: 0
    .kernarg_segment_align: 8
    .kernarg_segment_size: 88
    .language:       OpenCL C
    .language_version:
      - 2
      - 0
    .max_flat_workgroup_size: 256
    .name:           _ZN7rocprim17ROCPRIM_400000_NS6detail17trampoline_kernelINS0_14default_configENS1_36segmented_radix_sort_config_selectorIdlEEZNS1_25segmented_radix_sort_implIS3_Lb0EPKdPdPKlPlN2at6native12_GLOBAL__N_18offset_tEEE10hipError_tPvRmT1_PNSt15iterator_traitsISK_E10value_typeET2_T3_PNSL_ISQ_E10value_typeET4_jRbjT5_SW_jjP12ihipStream_tbEUlT_E1_NS1_11comp_targetILNS1_3genE0ELNS1_11target_archE4294967295ELNS1_3gpuE0ELNS1_3repE0EEENS1_59segmented_radix_sort_warp_sort_small_config_static_selectorELNS0_4arch9wavefront6targetE0EEEvSK_
    .private_segment_fixed_size: 0
    .sgpr_count:     0
    .sgpr_spill_count: 0
    .symbol:         _ZN7rocprim17ROCPRIM_400000_NS6detail17trampoline_kernelINS0_14default_configENS1_36segmented_radix_sort_config_selectorIdlEEZNS1_25segmented_radix_sort_implIS3_Lb0EPKdPdPKlPlN2at6native12_GLOBAL__N_18offset_tEEE10hipError_tPvRmT1_PNSt15iterator_traitsISK_E10value_typeET2_T3_PNSL_ISQ_E10value_typeET4_jRbjT5_SW_jjP12ihipStream_tbEUlT_E1_NS1_11comp_targetILNS1_3genE0ELNS1_11target_archE4294967295ELNS1_3gpuE0ELNS1_3repE0EEENS1_59segmented_radix_sort_warp_sort_small_config_static_selectorELNS0_4arch9wavefront6targetE0EEEvSK_.kd
    .uniform_work_group_size: 1
    .uses_dynamic_stack: false
    .vgpr_count:     0
    .vgpr_spill_count: 0
    .wavefront_size: 32
    .workgroup_processor_mode: 1
  - .args:
      - .offset:         0
        .size:           88
        .value_kind:     by_value
    .group_segment_fixed_size: 0
    .kernarg_segment_align: 8
    .kernarg_segment_size: 88
    .language:       OpenCL C
    .language_version:
      - 2
      - 0
    .max_flat_workgroup_size: 256
    .name:           _ZN7rocprim17ROCPRIM_400000_NS6detail17trampoline_kernelINS0_14default_configENS1_36segmented_radix_sort_config_selectorIdlEEZNS1_25segmented_radix_sort_implIS3_Lb0EPKdPdPKlPlN2at6native12_GLOBAL__N_18offset_tEEE10hipError_tPvRmT1_PNSt15iterator_traitsISK_E10value_typeET2_T3_PNSL_ISQ_E10value_typeET4_jRbjT5_SW_jjP12ihipStream_tbEUlT_E1_NS1_11comp_targetILNS1_3genE5ELNS1_11target_archE942ELNS1_3gpuE9ELNS1_3repE0EEENS1_59segmented_radix_sort_warp_sort_small_config_static_selectorELNS0_4arch9wavefront6targetE0EEEvSK_
    .private_segment_fixed_size: 0
    .sgpr_count:     0
    .sgpr_spill_count: 0
    .symbol:         _ZN7rocprim17ROCPRIM_400000_NS6detail17trampoline_kernelINS0_14default_configENS1_36segmented_radix_sort_config_selectorIdlEEZNS1_25segmented_radix_sort_implIS3_Lb0EPKdPdPKlPlN2at6native12_GLOBAL__N_18offset_tEEE10hipError_tPvRmT1_PNSt15iterator_traitsISK_E10value_typeET2_T3_PNSL_ISQ_E10value_typeET4_jRbjT5_SW_jjP12ihipStream_tbEUlT_E1_NS1_11comp_targetILNS1_3genE5ELNS1_11target_archE942ELNS1_3gpuE9ELNS1_3repE0EEENS1_59segmented_radix_sort_warp_sort_small_config_static_selectorELNS0_4arch9wavefront6targetE0EEEvSK_.kd
    .uniform_work_group_size: 1
    .uses_dynamic_stack: false
    .vgpr_count:     0
    .vgpr_spill_count: 0
    .wavefront_size: 32
    .workgroup_processor_mode: 1
  - .args:
      - .offset:         0
        .size:           88
        .value_kind:     by_value
    .group_segment_fixed_size: 0
    .kernarg_segment_align: 8
    .kernarg_segment_size: 88
    .language:       OpenCL C
    .language_version:
      - 2
      - 0
    .max_flat_workgroup_size: 256
    .name:           _ZN7rocprim17ROCPRIM_400000_NS6detail17trampoline_kernelINS0_14default_configENS1_36segmented_radix_sort_config_selectorIdlEEZNS1_25segmented_radix_sort_implIS3_Lb0EPKdPdPKlPlN2at6native12_GLOBAL__N_18offset_tEEE10hipError_tPvRmT1_PNSt15iterator_traitsISK_E10value_typeET2_T3_PNSL_ISQ_E10value_typeET4_jRbjT5_SW_jjP12ihipStream_tbEUlT_E1_NS1_11comp_targetILNS1_3genE4ELNS1_11target_archE910ELNS1_3gpuE8ELNS1_3repE0EEENS1_59segmented_radix_sort_warp_sort_small_config_static_selectorELNS0_4arch9wavefront6targetE0EEEvSK_
    .private_segment_fixed_size: 0
    .sgpr_count:     0
    .sgpr_spill_count: 0
    .symbol:         _ZN7rocprim17ROCPRIM_400000_NS6detail17trampoline_kernelINS0_14default_configENS1_36segmented_radix_sort_config_selectorIdlEEZNS1_25segmented_radix_sort_implIS3_Lb0EPKdPdPKlPlN2at6native12_GLOBAL__N_18offset_tEEE10hipError_tPvRmT1_PNSt15iterator_traitsISK_E10value_typeET2_T3_PNSL_ISQ_E10value_typeET4_jRbjT5_SW_jjP12ihipStream_tbEUlT_E1_NS1_11comp_targetILNS1_3genE4ELNS1_11target_archE910ELNS1_3gpuE8ELNS1_3repE0EEENS1_59segmented_radix_sort_warp_sort_small_config_static_selectorELNS0_4arch9wavefront6targetE0EEEvSK_.kd
    .uniform_work_group_size: 1
    .uses_dynamic_stack: false
    .vgpr_count:     0
    .vgpr_spill_count: 0
    .wavefront_size: 32
    .workgroup_processor_mode: 1
  - .args:
      - .offset:         0
        .size:           88
        .value_kind:     by_value
    .group_segment_fixed_size: 0
    .kernarg_segment_align: 8
    .kernarg_segment_size: 88
    .language:       OpenCL C
    .language_version:
      - 2
      - 0
    .max_flat_workgroup_size: 256
    .name:           _ZN7rocprim17ROCPRIM_400000_NS6detail17trampoline_kernelINS0_14default_configENS1_36segmented_radix_sort_config_selectorIdlEEZNS1_25segmented_radix_sort_implIS3_Lb0EPKdPdPKlPlN2at6native12_GLOBAL__N_18offset_tEEE10hipError_tPvRmT1_PNSt15iterator_traitsISK_E10value_typeET2_T3_PNSL_ISQ_E10value_typeET4_jRbjT5_SW_jjP12ihipStream_tbEUlT_E1_NS1_11comp_targetILNS1_3genE3ELNS1_11target_archE908ELNS1_3gpuE7ELNS1_3repE0EEENS1_59segmented_radix_sort_warp_sort_small_config_static_selectorELNS0_4arch9wavefront6targetE0EEEvSK_
    .private_segment_fixed_size: 0
    .sgpr_count:     0
    .sgpr_spill_count: 0
    .symbol:         _ZN7rocprim17ROCPRIM_400000_NS6detail17trampoline_kernelINS0_14default_configENS1_36segmented_radix_sort_config_selectorIdlEEZNS1_25segmented_radix_sort_implIS3_Lb0EPKdPdPKlPlN2at6native12_GLOBAL__N_18offset_tEEE10hipError_tPvRmT1_PNSt15iterator_traitsISK_E10value_typeET2_T3_PNSL_ISQ_E10value_typeET4_jRbjT5_SW_jjP12ihipStream_tbEUlT_E1_NS1_11comp_targetILNS1_3genE3ELNS1_11target_archE908ELNS1_3gpuE7ELNS1_3repE0EEENS1_59segmented_radix_sort_warp_sort_small_config_static_selectorELNS0_4arch9wavefront6targetE0EEEvSK_.kd
    .uniform_work_group_size: 1
    .uses_dynamic_stack: false
    .vgpr_count:     0
    .vgpr_spill_count: 0
    .wavefront_size: 32
    .workgroup_processor_mode: 1
  - .args:
      - .offset:         0
        .size:           88
        .value_kind:     by_value
    .group_segment_fixed_size: 0
    .kernarg_segment_align: 8
    .kernarg_segment_size: 88
    .language:       OpenCL C
    .language_version:
      - 2
      - 0
    .max_flat_workgroup_size: 256
    .name:           _ZN7rocprim17ROCPRIM_400000_NS6detail17trampoline_kernelINS0_14default_configENS1_36segmented_radix_sort_config_selectorIdlEEZNS1_25segmented_radix_sort_implIS3_Lb0EPKdPdPKlPlN2at6native12_GLOBAL__N_18offset_tEEE10hipError_tPvRmT1_PNSt15iterator_traitsISK_E10value_typeET2_T3_PNSL_ISQ_E10value_typeET4_jRbjT5_SW_jjP12ihipStream_tbEUlT_E1_NS1_11comp_targetILNS1_3genE2ELNS1_11target_archE906ELNS1_3gpuE6ELNS1_3repE0EEENS1_59segmented_radix_sort_warp_sort_small_config_static_selectorELNS0_4arch9wavefront6targetE0EEEvSK_
    .private_segment_fixed_size: 0
    .sgpr_count:     0
    .sgpr_spill_count: 0
    .symbol:         _ZN7rocprim17ROCPRIM_400000_NS6detail17trampoline_kernelINS0_14default_configENS1_36segmented_radix_sort_config_selectorIdlEEZNS1_25segmented_radix_sort_implIS3_Lb0EPKdPdPKlPlN2at6native12_GLOBAL__N_18offset_tEEE10hipError_tPvRmT1_PNSt15iterator_traitsISK_E10value_typeET2_T3_PNSL_ISQ_E10value_typeET4_jRbjT5_SW_jjP12ihipStream_tbEUlT_E1_NS1_11comp_targetILNS1_3genE2ELNS1_11target_archE906ELNS1_3gpuE6ELNS1_3repE0EEENS1_59segmented_radix_sort_warp_sort_small_config_static_selectorELNS0_4arch9wavefront6targetE0EEEvSK_.kd
    .uniform_work_group_size: 1
    .uses_dynamic_stack: false
    .vgpr_count:     0
    .vgpr_spill_count: 0
    .wavefront_size: 32
    .workgroup_processor_mode: 1
  - .args:
      - .offset:         0
        .size:           88
        .value_kind:     by_value
      - .offset:         88
        .size:           4
        .value_kind:     hidden_block_count_x
      - .offset:         92
        .size:           4
        .value_kind:     hidden_block_count_y
      - .offset:         96
        .size:           4
        .value_kind:     hidden_block_count_z
      - .offset:         100
        .size:           2
        .value_kind:     hidden_group_size_x
      - .offset:         102
        .size:           2
        .value_kind:     hidden_group_size_y
      - .offset:         104
        .size:           2
        .value_kind:     hidden_group_size_z
      - .offset:         106
        .size:           2
        .value_kind:     hidden_remainder_x
      - .offset:         108
        .size:           2
        .value_kind:     hidden_remainder_y
      - .offset:         110
        .size:           2
        .value_kind:     hidden_remainder_z
      - .offset:         128
        .size:           8
        .value_kind:     hidden_global_offset_x
      - .offset:         136
        .size:           8
        .value_kind:     hidden_global_offset_y
      - .offset:         144
        .size:           8
        .value_kind:     hidden_global_offset_z
      - .offset:         152
        .size:           2
        .value_kind:     hidden_grid_dims
    .group_segment_fixed_size: 16384
    .kernarg_segment_align: 8
    .kernarg_segment_size: 344
    .language:       OpenCL C
    .language_version:
      - 2
      - 0
    .max_flat_workgroup_size: 256
    .name:           _ZN7rocprim17ROCPRIM_400000_NS6detail17trampoline_kernelINS0_14default_configENS1_36segmented_radix_sort_config_selectorIdlEEZNS1_25segmented_radix_sort_implIS3_Lb0EPKdPdPKlPlN2at6native12_GLOBAL__N_18offset_tEEE10hipError_tPvRmT1_PNSt15iterator_traitsISK_E10value_typeET2_T3_PNSL_ISQ_E10value_typeET4_jRbjT5_SW_jjP12ihipStream_tbEUlT_E1_NS1_11comp_targetILNS1_3genE10ELNS1_11target_archE1201ELNS1_3gpuE5ELNS1_3repE0EEENS1_59segmented_radix_sort_warp_sort_small_config_static_selectorELNS0_4arch9wavefront6targetE0EEEvSK_
    .private_segment_fixed_size: 0
    .sgpr_count:     35
    .sgpr_spill_count: 0
    .symbol:         _ZN7rocprim17ROCPRIM_400000_NS6detail17trampoline_kernelINS0_14default_configENS1_36segmented_radix_sort_config_selectorIdlEEZNS1_25segmented_radix_sort_implIS3_Lb0EPKdPdPKlPlN2at6native12_GLOBAL__N_18offset_tEEE10hipError_tPvRmT1_PNSt15iterator_traitsISK_E10value_typeET2_T3_PNSL_ISQ_E10value_typeET4_jRbjT5_SW_jjP12ihipStream_tbEUlT_E1_NS1_11comp_targetILNS1_3genE10ELNS1_11target_archE1201ELNS1_3gpuE5ELNS1_3repE0EEENS1_59segmented_radix_sort_warp_sort_small_config_static_selectorELNS0_4arch9wavefront6targetE0EEEvSK_.kd
    .uniform_work_group_size: 1
    .uses_dynamic_stack: false
    .vgpr_count:     68
    .vgpr_spill_count: 0
    .wavefront_size: 32
    .workgroup_processor_mode: 1
  - .args:
      - .offset:         0
        .size:           88
        .value_kind:     by_value
    .group_segment_fixed_size: 0
    .kernarg_segment_align: 8
    .kernarg_segment_size: 88
    .language:       OpenCL C
    .language_version:
      - 2
      - 0
    .max_flat_workgroup_size: 256
    .name:           _ZN7rocprim17ROCPRIM_400000_NS6detail17trampoline_kernelINS0_14default_configENS1_36segmented_radix_sort_config_selectorIdlEEZNS1_25segmented_radix_sort_implIS3_Lb0EPKdPdPKlPlN2at6native12_GLOBAL__N_18offset_tEEE10hipError_tPvRmT1_PNSt15iterator_traitsISK_E10value_typeET2_T3_PNSL_ISQ_E10value_typeET4_jRbjT5_SW_jjP12ihipStream_tbEUlT_E1_NS1_11comp_targetILNS1_3genE10ELNS1_11target_archE1200ELNS1_3gpuE4ELNS1_3repE0EEENS1_59segmented_radix_sort_warp_sort_small_config_static_selectorELNS0_4arch9wavefront6targetE0EEEvSK_
    .private_segment_fixed_size: 0
    .sgpr_count:     0
    .sgpr_spill_count: 0
    .symbol:         _ZN7rocprim17ROCPRIM_400000_NS6detail17trampoline_kernelINS0_14default_configENS1_36segmented_radix_sort_config_selectorIdlEEZNS1_25segmented_radix_sort_implIS3_Lb0EPKdPdPKlPlN2at6native12_GLOBAL__N_18offset_tEEE10hipError_tPvRmT1_PNSt15iterator_traitsISK_E10value_typeET2_T3_PNSL_ISQ_E10value_typeET4_jRbjT5_SW_jjP12ihipStream_tbEUlT_E1_NS1_11comp_targetILNS1_3genE10ELNS1_11target_archE1200ELNS1_3gpuE4ELNS1_3repE0EEENS1_59segmented_radix_sort_warp_sort_small_config_static_selectorELNS0_4arch9wavefront6targetE0EEEvSK_.kd
    .uniform_work_group_size: 1
    .uses_dynamic_stack: false
    .vgpr_count:     0
    .vgpr_spill_count: 0
    .wavefront_size: 32
    .workgroup_processor_mode: 1
  - .args:
      - .offset:         0
        .size:           88
        .value_kind:     by_value
    .group_segment_fixed_size: 0
    .kernarg_segment_align: 8
    .kernarg_segment_size: 88
    .language:       OpenCL C
    .language_version:
      - 2
      - 0
    .max_flat_workgroup_size: 256
    .name:           _ZN7rocprim17ROCPRIM_400000_NS6detail17trampoline_kernelINS0_14default_configENS1_36segmented_radix_sort_config_selectorIdlEEZNS1_25segmented_radix_sort_implIS3_Lb0EPKdPdPKlPlN2at6native12_GLOBAL__N_18offset_tEEE10hipError_tPvRmT1_PNSt15iterator_traitsISK_E10value_typeET2_T3_PNSL_ISQ_E10value_typeET4_jRbjT5_SW_jjP12ihipStream_tbEUlT_E1_NS1_11comp_targetILNS1_3genE9ELNS1_11target_archE1100ELNS1_3gpuE3ELNS1_3repE0EEENS1_59segmented_radix_sort_warp_sort_small_config_static_selectorELNS0_4arch9wavefront6targetE0EEEvSK_
    .private_segment_fixed_size: 0
    .sgpr_count:     0
    .sgpr_spill_count: 0
    .symbol:         _ZN7rocprim17ROCPRIM_400000_NS6detail17trampoline_kernelINS0_14default_configENS1_36segmented_radix_sort_config_selectorIdlEEZNS1_25segmented_radix_sort_implIS3_Lb0EPKdPdPKlPlN2at6native12_GLOBAL__N_18offset_tEEE10hipError_tPvRmT1_PNSt15iterator_traitsISK_E10value_typeET2_T3_PNSL_ISQ_E10value_typeET4_jRbjT5_SW_jjP12ihipStream_tbEUlT_E1_NS1_11comp_targetILNS1_3genE9ELNS1_11target_archE1100ELNS1_3gpuE3ELNS1_3repE0EEENS1_59segmented_radix_sort_warp_sort_small_config_static_selectorELNS0_4arch9wavefront6targetE0EEEvSK_.kd
    .uniform_work_group_size: 1
    .uses_dynamic_stack: false
    .vgpr_count:     0
    .vgpr_spill_count: 0
    .wavefront_size: 32
    .workgroup_processor_mode: 1
  - .args:
      - .offset:         0
        .size:           88
        .value_kind:     by_value
    .group_segment_fixed_size: 0
    .kernarg_segment_align: 8
    .kernarg_segment_size: 88
    .language:       OpenCL C
    .language_version:
      - 2
      - 0
    .max_flat_workgroup_size: 256
    .name:           _ZN7rocprim17ROCPRIM_400000_NS6detail17trampoline_kernelINS0_14default_configENS1_36segmented_radix_sort_config_selectorIdlEEZNS1_25segmented_radix_sort_implIS3_Lb0EPKdPdPKlPlN2at6native12_GLOBAL__N_18offset_tEEE10hipError_tPvRmT1_PNSt15iterator_traitsISK_E10value_typeET2_T3_PNSL_ISQ_E10value_typeET4_jRbjT5_SW_jjP12ihipStream_tbEUlT_E1_NS1_11comp_targetILNS1_3genE8ELNS1_11target_archE1030ELNS1_3gpuE2ELNS1_3repE0EEENS1_59segmented_radix_sort_warp_sort_small_config_static_selectorELNS0_4arch9wavefront6targetE0EEEvSK_
    .private_segment_fixed_size: 0
    .sgpr_count:     0
    .sgpr_spill_count: 0
    .symbol:         _ZN7rocprim17ROCPRIM_400000_NS6detail17trampoline_kernelINS0_14default_configENS1_36segmented_radix_sort_config_selectorIdlEEZNS1_25segmented_radix_sort_implIS3_Lb0EPKdPdPKlPlN2at6native12_GLOBAL__N_18offset_tEEE10hipError_tPvRmT1_PNSt15iterator_traitsISK_E10value_typeET2_T3_PNSL_ISQ_E10value_typeET4_jRbjT5_SW_jjP12ihipStream_tbEUlT_E1_NS1_11comp_targetILNS1_3genE8ELNS1_11target_archE1030ELNS1_3gpuE2ELNS1_3repE0EEENS1_59segmented_radix_sort_warp_sort_small_config_static_selectorELNS0_4arch9wavefront6targetE0EEEvSK_.kd
    .uniform_work_group_size: 1
    .uses_dynamic_stack: false
    .vgpr_count:     0
    .vgpr_spill_count: 0
    .wavefront_size: 32
    .workgroup_processor_mode: 1
  - .args:
      - .offset:         0
        .size:           80
        .value_kind:     by_value
    .group_segment_fixed_size: 0
    .kernarg_segment_align: 8
    .kernarg_segment_size: 80
    .language:       OpenCL C
    .language_version:
      - 2
      - 0
    .max_flat_workgroup_size: 256
    .name:           _ZN7rocprim17ROCPRIM_400000_NS6detail17trampoline_kernelINS0_14default_configENS1_36segmented_radix_sort_config_selectorIdlEEZNS1_25segmented_radix_sort_implIS3_Lb0EPKdPdPKlPlN2at6native12_GLOBAL__N_18offset_tEEE10hipError_tPvRmT1_PNSt15iterator_traitsISK_E10value_typeET2_T3_PNSL_ISQ_E10value_typeET4_jRbjT5_SW_jjP12ihipStream_tbEUlT_E2_NS1_11comp_targetILNS1_3genE0ELNS1_11target_archE4294967295ELNS1_3gpuE0ELNS1_3repE0EEENS1_30default_config_static_selectorELNS0_4arch9wavefront6targetE0EEEvSK_
    .private_segment_fixed_size: 0
    .sgpr_count:     0
    .sgpr_spill_count: 0
    .symbol:         _ZN7rocprim17ROCPRIM_400000_NS6detail17trampoline_kernelINS0_14default_configENS1_36segmented_radix_sort_config_selectorIdlEEZNS1_25segmented_radix_sort_implIS3_Lb0EPKdPdPKlPlN2at6native12_GLOBAL__N_18offset_tEEE10hipError_tPvRmT1_PNSt15iterator_traitsISK_E10value_typeET2_T3_PNSL_ISQ_E10value_typeET4_jRbjT5_SW_jjP12ihipStream_tbEUlT_E2_NS1_11comp_targetILNS1_3genE0ELNS1_11target_archE4294967295ELNS1_3gpuE0ELNS1_3repE0EEENS1_30default_config_static_selectorELNS0_4arch9wavefront6targetE0EEEvSK_.kd
    .uniform_work_group_size: 1
    .uses_dynamic_stack: false
    .vgpr_count:     0
    .vgpr_spill_count: 0
    .wavefront_size: 32
    .workgroup_processor_mode: 1
  - .args:
      - .offset:         0
        .size:           80
        .value_kind:     by_value
    .group_segment_fixed_size: 0
    .kernarg_segment_align: 8
    .kernarg_segment_size: 80
    .language:       OpenCL C
    .language_version:
      - 2
      - 0
    .max_flat_workgroup_size: 256
    .name:           _ZN7rocprim17ROCPRIM_400000_NS6detail17trampoline_kernelINS0_14default_configENS1_36segmented_radix_sort_config_selectorIdlEEZNS1_25segmented_radix_sort_implIS3_Lb0EPKdPdPKlPlN2at6native12_GLOBAL__N_18offset_tEEE10hipError_tPvRmT1_PNSt15iterator_traitsISK_E10value_typeET2_T3_PNSL_ISQ_E10value_typeET4_jRbjT5_SW_jjP12ihipStream_tbEUlT_E2_NS1_11comp_targetILNS1_3genE5ELNS1_11target_archE942ELNS1_3gpuE9ELNS1_3repE0EEENS1_30default_config_static_selectorELNS0_4arch9wavefront6targetE0EEEvSK_
    .private_segment_fixed_size: 0
    .sgpr_count:     0
    .sgpr_spill_count: 0
    .symbol:         _ZN7rocprim17ROCPRIM_400000_NS6detail17trampoline_kernelINS0_14default_configENS1_36segmented_radix_sort_config_selectorIdlEEZNS1_25segmented_radix_sort_implIS3_Lb0EPKdPdPKlPlN2at6native12_GLOBAL__N_18offset_tEEE10hipError_tPvRmT1_PNSt15iterator_traitsISK_E10value_typeET2_T3_PNSL_ISQ_E10value_typeET4_jRbjT5_SW_jjP12ihipStream_tbEUlT_E2_NS1_11comp_targetILNS1_3genE5ELNS1_11target_archE942ELNS1_3gpuE9ELNS1_3repE0EEENS1_30default_config_static_selectorELNS0_4arch9wavefront6targetE0EEEvSK_.kd
    .uniform_work_group_size: 1
    .uses_dynamic_stack: false
    .vgpr_count:     0
    .vgpr_spill_count: 0
    .wavefront_size: 32
    .workgroup_processor_mode: 1
  - .args:
      - .offset:         0
        .size:           80
        .value_kind:     by_value
    .group_segment_fixed_size: 0
    .kernarg_segment_align: 8
    .kernarg_segment_size: 80
    .language:       OpenCL C
    .language_version:
      - 2
      - 0
    .max_flat_workgroup_size: 256
    .name:           _ZN7rocprim17ROCPRIM_400000_NS6detail17trampoline_kernelINS0_14default_configENS1_36segmented_radix_sort_config_selectorIdlEEZNS1_25segmented_radix_sort_implIS3_Lb0EPKdPdPKlPlN2at6native12_GLOBAL__N_18offset_tEEE10hipError_tPvRmT1_PNSt15iterator_traitsISK_E10value_typeET2_T3_PNSL_ISQ_E10value_typeET4_jRbjT5_SW_jjP12ihipStream_tbEUlT_E2_NS1_11comp_targetILNS1_3genE4ELNS1_11target_archE910ELNS1_3gpuE8ELNS1_3repE0EEENS1_30default_config_static_selectorELNS0_4arch9wavefront6targetE0EEEvSK_
    .private_segment_fixed_size: 0
    .sgpr_count:     0
    .sgpr_spill_count: 0
    .symbol:         _ZN7rocprim17ROCPRIM_400000_NS6detail17trampoline_kernelINS0_14default_configENS1_36segmented_radix_sort_config_selectorIdlEEZNS1_25segmented_radix_sort_implIS3_Lb0EPKdPdPKlPlN2at6native12_GLOBAL__N_18offset_tEEE10hipError_tPvRmT1_PNSt15iterator_traitsISK_E10value_typeET2_T3_PNSL_ISQ_E10value_typeET4_jRbjT5_SW_jjP12ihipStream_tbEUlT_E2_NS1_11comp_targetILNS1_3genE4ELNS1_11target_archE910ELNS1_3gpuE8ELNS1_3repE0EEENS1_30default_config_static_selectorELNS0_4arch9wavefront6targetE0EEEvSK_.kd
    .uniform_work_group_size: 1
    .uses_dynamic_stack: false
    .vgpr_count:     0
    .vgpr_spill_count: 0
    .wavefront_size: 32
    .workgroup_processor_mode: 1
  - .args:
      - .offset:         0
        .size:           80
        .value_kind:     by_value
    .group_segment_fixed_size: 0
    .kernarg_segment_align: 8
    .kernarg_segment_size: 80
    .language:       OpenCL C
    .language_version:
      - 2
      - 0
    .max_flat_workgroup_size: 256
    .name:           _ZN7rocprim17ROCPRIM_400000_NS6detail17trampoline_kernelINS0_14default_configENS1_36segmented_radix_sort_config_selectorIdlEEZNS1_25segmented_radix_sort_implIS3_Lb0EPKdPdPKlPlN2at6native12_GLOBAL__N_18offset_tEEE10hipError_tPvRmT1_PNSt15iterator_traitsISK_E10value_typeET2_T3_PNSL_ISQ_E10value_typeET4_jRbjT5_SW_jjP12ihipStream_tbEUlT_E2_NS1_11comp_targetILNS1_3genE3ELNS1_11target_archE908ELNS1_3gpuE7ELNS1_3repE0EEENS1_30default_config_static_selectorELNS0_4arch9wavefront6targetE0EEEvSK_
    .private_segment_fixed_size: 0
    .sgpr_count:     0
    .sgpr_spill_count: 0
    .symbol:         _ZN7rocprim17ROCPRIM_400000_NS6detail17trampoline_kernelINS0_14default_configENS1_36segmented_radix_sort_config_selectorIdlEEZNS1_25segmented_radix_sort_implIS3_Lb0EPKdPdPKlPlN2at6native12_GLOBAL__N_18offset_tEEE10hipError_tPvRmT1_PNSt15iterator_traitsISK_E10value_typeET2_T3_PNSL_ISQ_E10value_typeET4_jRbjT5_SW_jjP12ihipStream_tbEUlT_E2_NS1_11comp_targetILNS1_3genE3ELNS1_11target_archE908ELNS1_3gpuE7ELNS1_3repE0EEENS1_30default_config_static_selectorELNS0_4arch9wavefront6targetE0EEEvSK_.kd
    .uniform_work_group_size: 1
    .uses_dynamic_stack: false
    .vgpr_count:     0
    .vgpr_spill_count: 0
    .wavefront_size: 32
    .workgroup_processor_mode: 1
  - .args:
      - .offset:         0
        .size:           80
        .value_kind:     by_value
    .group_segment_fixed_size: 0
    .kernarg_segment_align: 8
    .kernarg_segment_size: 80
    .language:       OpenCL C
    .language_version:
      - 2
      - 0
    .max_flat_workgroup_size: 256
    .name:           _ZN7rocprim17ROCPRIM_400000_NS6detail17trampoline_kernelINS0_14default_configENS1_36segmented_radix_sort_config_selectorIdlEEZNS1_25segmented_radix_sort_implIS3_Lb0EPKdPdPKlPlN2at6native12_GLOBAL__N_18offset_tEEE10hipError_tPvRmT1_PNSt15iterator_traitsISK_E10value_typeET2_T3_PNSL_ISQ_E10value_typeET4_jRbjT5_SW_jjP12ihipStream_tbEUlT_E2_NS1_11comp_targetILNS1_3genE2ELNS1_11target_archE906ELNS1_3gpuE6ELNS1_3repE0EEENS1_30default_config_static_selectorELNS0_4arch9wavefront6targetE0EEEvSK_
    .private_segment_fixed_size: 0
    .sgpr_count:     0
    .sgpr_spill_count: 0
    .symbol:         _ZN7rocprim17ROCPRIM_400000_NS6detail17trampoline_kernelINS0_14default_configENS1_36segmented_radix_sort_config_selectorIdlEEZNS1_25segmented_radix_sort_implIS3_Lb0EPKdPdPKlPlN2at6native12_GLOBAL__N_18offset_tEEE10hipError_tPvRmT1_PNSt15iterator_traitsISK_E10value_typeET2_T3_PNSL_ISQ_E10value_typeET4_jRbjT5_SW_jjP12ihipStream_tbEUlT_E2_NS1_11comp_targetILNS1_3genE2ELNS1_11target_archE906ELNS1_3gpuE6ELNS1_3repE0EEENS1_30default_config_static_selectorELNS0_4arch9wavefront6targetE0EEEvSK_.kd
    .uniform_work_group_size: 1
    .uses_dynamic_stack: false
    .vgpr_count:     0
    .vgpr_spill_count: 0
    .wavefront_size: 32
    .workgroup_processor_mode: 1
  - .args:
      - .offset:         0
        .size:           80
        .value_kind:     by_value
      - .offset:         80
        .size:           4
        .value_kind:     hidden_block_count_x
      - .offset:         84
        .size:           4
        .value_kind:     hidden_block_count_y
      - .offset:         88
        .size:           4
        .value_kind:     hidden_block_count_z
      - .offset:         92
        .size:           2
        .value_kind:     hidden_group_size_x
      - .offset:         94
        .size:           2
        .value_kind:     hidden_group_size_y
      - .offset:         96
        .size:           2
        .value_kind:     hidden_group_size_z
      - .offset:         98
        .size:           2
        .value_kind:     hidden_remainder_x
      - .offset:         100
        .size:           2
        .value_kind:     hidden_remainder_y
      - .offset:         102
        .size:           2
        .value_kind:     hidden_remainder_z
      - .offset:         120
        .size:           8
        .value_kind:     hidden_global_offset_x
      - .offset:         128
        .size:           8
        .value_kind:     hidden_global_offset_y
      - .offset:         136
        .size:           8
        .value_kind:     hidden_global_offset_z
      - .offset:         144
        .size:           2
        .value_kind:     hidden_grid_dims
    .group_segment_fixed_size: 33824
    .kernarg_segment_align: 8
    .kernarg_segment_size: 336
    .language:       OpenCL C
    .language_version:
      - 2
      - 0
    .max_flat_workgroup_size: 256
    .name:           _ZN7rocprim17ROCPRIM_400000_NS6detail17trampoline_kernelINS0_14default_configENS1_36segmented_radix_sort_config_selectorIdlEEZNS1_25segmented_radix_sort_implIS3_Lb0EPKdPdPKlPlN2at6native12_GLOBAL__N_18offset_tEEE10hipError_tPvRmT1_PNSt15iterator_traitsISK_E10value_typeET2_T3_PNSL_ISQ_E10value_typeET4_jRbjT5_SW_jjP12ihipStream_tbEUlT_E2_NS1_11comp_targetILNS1_3genE10ELNS1_11target_archE1201ELNS1_3gpuE5ELNS1_3repE0EEENS1_30default_config_static_selectorELNS0_4arch9wavefront6targetE0EEEvSK_
    .private_segment_fixed_size: 176
    .sgpr_count:     64
    .sgpr_spill_count: 0
    .symbol:         _ZN7rocprim17ROCPRIM_400000_NS6detail17trampoline_kernelINS0_14default_configENS1_36segmented_radix_sort_config_selectorIdlEEZNS1_25segmented_radix_sort_implIS3_Lb0EPKdPdPKlPlN2at6native12_GLOBAL__N_18offset_tEEE10hipError_tPvRmT1_PNSt15iterator_traitsISK_E10value_typeET2_T3_PNSL_ISQ_E10value_typeET4_jRbjT5_SW_jjP12ihipStream_tbEUlT_E2_NS1_11comp_targetILNS1_3genE10ELNS1_11target_archE1201ELNS1_3gpuE5ELNS1_3repE0EEENS1_30default_config_static_selectorELNS0_4arch9wavefront6targetE0EEEvSK_.kd
    .uniform_work_group_size: 1
    .uses_dynamic_stack: false
    .vgpr_count:     248
    .vgpr_spill_count: 0
    .wavefront_size: 32
    .workgroup_processor_mode: 1
  - .args:
      - .offset:         0
        .size:           80
        .value_kind:     by_value
    .group_segment_fixed_size: 0
    .kernarg_segment_align: 8
    .kernarg_segment_size: 80
    .language:       OpenCL C
    .language_version:
      - 2
      - 0
    .max_flat_workgroup_size: 128
    .name:           _ZN7rocprim17ROCPRIM_400000_NS6detail17trampoline_kernelINS0_14default_configENS1_36segmented_radix_sort_config_selectorIdlEEZNS1_25segmented_radix_sort_implIS3_Lb0EPKdPdPKlPlN2at6native12_GLOBAL__N_18offset_tEEE10hipError_tPvRmT1_PNSt15iterator_traitsISK_E10value_typeET2_T3_PNSL_ISQ_E10value_typeET4_jRbjT5_SW_jjP12ihipStream_tbEUlT_E2_NS1_11comp_targetILNS1_3genE10ELNS1_11target_archE1200ELNS1_3gpuE4ELNS1_3repE0EEENS1_30default_config_static_selectorELNS0_4arch9wavefront6targetE0EEEvSK_
    .private_segment_fixed_size: 0
    .sgpr_count:     0
    .sgpr_spill_count: 0
    .symbol:         _ZN7rocprim17ROCPRIM_400000_NS6detail17trampoline_kernelINS0_14default_configENS1_36segmented_radix_sort_config_selectorIdlEEZNS1_25segmented_radix_sort_implIS3_Lb0EPKdPdPKlPlN2at6native12_GLOBAL__N_18offset_tEEE10hipError_tPvRmT1_PNSt15iterator_traitsISK_E10value_typeET2_T3_PNSL_ISQ_E10value_typeET4_jRbjT5_SW_jjP12ihipStream_tbEUlT_E2_NS1_11comp_targetILNS1_3genE10ELNS1_11target_archE1200ELNS1_3gpuE4ELNS1_3repE0EEENS1_30default_config_static_selectorELNS0_4arch9wavefront6targetE0EEEvSK_.kd
    .uniform_work_group_size: 1
    .uses_dynamic_stack: false
    .vgpr_count:     0
    .vgpr_spill_count: 0
    .wavefront_size: 32
    .workgroup_processor_mode: 1
  - .args:
      - .offset:         0
        .size:           80
        .value_kind:     by_value
    .group_segment_fixed_size: 0
    .kernarg_segment_align: 8
    .kernarg_segment_size: 80
    .language:       OpenCL C
    .language_version:
      - 2
      - 0
    .max_flat_workgroup_size: 256
    .name:           _ZN7rocprim17ROCPRIM_400000_NS6detail17trampoline_kernelINS0_14default_configENS1_36segmented_radix_sort_config_selectorIdlEEZNS1_25segmented_radix_sort_implIS3_Lb0EPKdPdPKlPlN2at6native12_GLOBAL__N_18offset_tEEE10hipError_tPvRmT1_PNSt15iterator_traitsISK_E10value_typeET2_T3_PNSL_ISQ_E10value_typeET4_jRbjT5_SW_jjP12ihipStream_tbEUlT_E2_NS1_11comp_targetILNS1_3genE9ELNS1_11target_archE1100ELNS1_3gpuE3ELNS1_3repE0EEENS1_30default_config_static_selectorELNS0_4arch9wavefront6targetE0EEEvSK_
    .private_segment_fixed_size: 0
    .sgpr_count:     0
    .sgpr_spill_count: 0
    .symbol:         _ZN7rocprim17ROCPRIM_400000_NS6detail17trampoline_kernelINS0_14default_configENS1_36segmented_radix_sort_config_selectorIdlEEZNS1_25segmented_radix_sort_implIS3_Lb0EPKdPdPKlPlN2at6native12_GLOBAL__N_18offset_tEEE10hipError_tPvRmT1_PNSt15iterator_traitsISK_E10value_typeET2_T3_PNSL_ISQ_E10value_typeET4_jRbjT5_SW_jjP12ihipStream_tbEUlT_E2_NS1_11comp_targetILNS1_3genE9ELNS1_11target_archE1100ELNS1_3gpuE3ELNS1_3repE0EEENS1_30default_config_static_selectorELNS0_4arch9wavefront6targetE0EEEvSK_.kd
    .uniform_work_group_size: 1
    .uses_dynamic_stack: false
    .vgpr_count:     0
    .vgpr_spill_count: 0
    .wavefront_size: 32
    .workgroup_processor_mode: 1
  - .args:
      - .offset:         0
        .size:           80
        .value_kind:     by_value
    .group_segment_fixed_size: 0
    .kernarg_segment_align: 8
    .kernarg_segment_size: 80
    .language:       OpenCL C
    .language_version:
      - 2
      - 0
    .max_flat_workgroup_size: 256
    .name:           _ZN7rocprim17ROCPRIM_400000_NS6detail17trampoline_kernelINS0_14default_configENS1_36segmented_radix_sort_config_selectorIdlEEZNS1_25segmented_radix_sort_implIS3_Lb0EPKdPdPKlPlN2at6native12_GLOBAL__N_18offset_tEEE10hipError_tPvRmT1_PNSt15iterator_traitsISK_E10value_typeET2_T3_PNSL_ISQ_E10value_typeET4_jRbjT5_SW_jjP12ihipStream_tbEUlT_E2_NS1_11comp_targetILNS1_3genE8ELNS1_11target_archE1030ELNS1_3gpuE2ELNS1_3repE0EEENS1_30default_config_static_selectorELNS0_4arch9wavefront6targetE0EEEvSK_
    .private_segment_fixed_size: 0
    .sgpr_count:     0
    .sgpr_spill_count: 0
    .symbol:         _ZN7rocprim17ROCPRIM_400000_NS6detail17trampoline_kernelINS0_14default_configENS1_36segmented_radix_sort_config_selectorIdlEEZNS1_25segmented_radix_sort_implIS3_Lb0EPKdPdPKlPlN2at6native12_GLOBAL__N_18offset_tEEE10hipError_tPvRmT1_PNSt15iterator_traitsISK_E10value_typeET2_T3_PNSL_ISQ_E10value_typeET4_jRbjT5_SW_jjP12ihipStream_tbEUlT_E2_NS1_11comp_targetILNS1_3genE8ELNS1_11target_archE1030ELNS1_3gpuE2ELNS1_3repE0EEENS1_30default_config_static_selectorELNS0_4arch9wavefront6targetE0EEEvSK_.kd
    .uniform_work_group_size: 1
    .uses_dynamic_stack: false
    .vgpr_count:     0
    .vgpr_spill_count: 0
    .wavefront_size: 32
    .workgroup_processor_mode: 1
  - .args:
      - .address_space:  global
        .offset:         0
        .size:           8
        .value_kind:     global_buffer
      - .address_space:  global
        .offset:         8
        .size:           8
        .value_kind:     global_buffer
      - .address_space:  global
        .offset:         16
        .size:           8
        .value_kind:     global_buffer
      - .address_space:  global
        .offset:         24
        .size:           8
        .value_kind:     global_buffer
      - .offset:         32
        .size:           4
        .value_kind:     by_value
      - .offset:         36
        .size:           4
        .value_kind:     by_value
      - .offset:         40
        .size:           4
        .value_kind:     hidden_block_count_x
      - .offset:         44
        .size:           4
        .value_kind:     hidden_block_count_y
      - .offset:         48
        .size:           4
        .value_kind:     hidden_block_count_z
      - .offset:         52
        .size:           2
        .value_kind:     hidden_group_size_x
      - .offset:         54
        .size:           2
        .value_kind:     hidden_group_size_y
      - .offset:         56
        .size:           2
        .value_kind:     hidden_group_size_z
      - .offset:         58
        .size:           2
        .value_kind:     hidden_remainder_x
      - .offset:         60
        .size:           2
        .value_kind:     hidden_remainder_y
      - .offset:         62
        .size:           2
        .value_kind:     hidden_remainder_z
      - .offset:         80
        .size:           8
        .value_kind:     hidden_global_offset_x
      - .offset:         88
        .size:           8
        .value_kind:     hidden_global_offset_y
      - .offset:         96
        .size:           8
        .value_kind:     hidden_global_offset_z
      - .offset:         104
        .size:           2
        .value_kind:     hidden_grid_dims
    .group_segment_fixed_size: 0
    .kernarg_segment_align: 8
    .kernarg_segment_size: 296
    .language:       OpenCL C
    .language_version:
      - 2
      - 0
    .max_flat_workgroup_size: 1024
    .name:           _ZN2at6native12_GLOBAL__N_123sort_postprocess_kernelIfEEvPKT_PS3_PlPK15HIP_vector_typeIiLj2EEii
    .private_segment_fixed_size: 0
    .sgpr_count:     21
    .sgpr_spill_count: 0
    .symbol:         _ZN2at6native12_GLOBAL__N_123sort_postprocess_kernelIfEEvPKT_PS3_PlPK15HIP_vector_typeIiLj2EEii.kd
    .uniform_work_group_size: 1
    .uses_dynamic_stack: false
    .vgpr_count:     16
    .vgpr_spill_count: 0
    .wavefront_size: 32
    .workgroup_processor_mode: 1
  - .args:
      - .offset:         0
        .size:           176
        .value_kind:     by_value
    .group_segment_fixed_size: 0
    .kernarg_segment_align: 8
    .kernarg_segment_size: 176
    .language:       OpenCL C
    .language_version:
      - 2
      - 0
    .max_flat_workgroup_size: 256
    .name:           _ZN7rocprim17ROCPRIM_400000_NS6detail17trampoline_kernelINS0_13select_configILj256ELj13ELNS0_17block_load_methodE3ELS4_3ELS4_3ELNS0_20block_scan_algorithmE0ELj4294967295EEENS1_25partition_config_selectorILNS1_17partition_subalgoE4EjNS0_10empty_typeEbEEZZNS1_14partition_implILS8_4ELb0ES6_15HIP_vector_typeIjLj2EENS0_17counting_iteratorIjlEEPS9_SG_NS0_5tupleIJPjSI_NS0_16reverse_iteratorISI_EEEEENSH_IJSG_SG_SG_EEES9_SI_JZNS1_25segmented_radix_sort_implINS0_14default_configELb1EPKfPfPKlPlN2at6native12_GLOBAL__N_18offset_tEEE10hipError_tPvRmT1_PNSt15iterator_traitsIS12_E10value_typeET2_T3_PNS13_IS18_E10value_typeET4_jRbjT5_S1E_jjP12ihipStream_tbEUljE_ZNSN_ISO_Lb1ESQ_SR_ST_SU_SY_EESZ_S10_S11_S12_S16_S17_S18_S1B_S1C_jS1D_jS1E_S1E_jjS1G_bEUljE0_EEESZ_S10_S11_S18_S1C_S1E_T6_T7_T9_mT8_S1G_bDpT10_ENKUlT_T0_E_clISt17integral_constantIbLb0EES1U_EEDaS1P_S1Q_EUlS1P_E_NS1_11comp_targetILNS1_3genE0ELNS1_11target_archE4294967295ELNS1_3gpuE0ELNS1_3repE0EEENS1_30default_config_static_selectorELNS0_4arch9wavefront6targetE0EEEvS12_
    .private_segment_fixed_size: 0
    .sgpr_count:     0
    .sgpr_spill_count: 0
    .symbol:         _ZN7rocprim17ROCPRIM_400000_NS6detail17trampoline_kernelINS0_13select_configILj256ELj13ELNS0_17block_load_methodE3ELS4_3ELS4_3ELNS0_20block_scan_algorithmE0ELj4294967295EEENS1_25partition_config_selectorILNS1_17partition_subalgoE4EjNS0_10empty_typeEbEEZZNS1_14partition_implILS8_4ELb0ES6_15HIP_vector_typeIjLj2EENS0_17counting_iteratorIjlEEPS9_SG_NS0_5tupleIJPjSI_NS0_16reverse_iteratorISI_EEEEENSH_IJSG_SG_SG_EEES9_SI_JZNS1_25segmented_radix_sort_implINS0_14default_configELb1EPKfPfPKlPlN2at6native12_GLOBAL__N_18offset_tEEE10hipError_tPvRmT1_PNSt15iterator_traitsIS12_E10value_typeET2_T3_PNS13_IS18_E10value_typeET4_jRbjT5_S1E_jjP12ihipStream_tbEUljE_ZNSN_ISO_Lb1ESQ_SR_ST_SU_SY_EESZ_S10_S11_S12_S16_S17_S18_S1B_S1C_jS1D_jS1E_S1E_jjS1G_bEUljE0_EEESZ_S10_S11_S18_S1C_S1E_T6_T7_T9_mT8_S1G_bDpT10_ENKUlT_T0_E_clISt17integral_constantIbLb0EES1U_EEDaS1P_S1Q_EUlS1P_E_NS1_11comp_targetILNS1_3genE0ELNS1_11target_archE4294967295ELNS1_3gpuE0ELNS1_3repE0EEENS1_30default_config_static_selectorELNS0_4arch9wavefront6targetE0EEEvS12_.kd
    .uniform_work_group_size: 1
    .uses_dynamic_stack: false
    .vgpr_count:     0
    .vgpr_spill_count: 0
    .wavefront_size: 32
    .workgroup_processor_mode: 1
  - .args:
      - .offset:         0
        .size:           176
        .value_kind:     by_value
    .group_segment_fixed_size: 0
    .kernarg_segment_align: 8
    .kernarg_segment_size: 176
    .language:       OpenCL C
    .language_version:
      - 2
      - 0
    .max_flat_workgroup_size: 256
    .name:           _ZN7rocprim17ROCPRIM_400000_NS6detail17trampoline_kernelINS0_13select_configILj256ELj13ELNS0_17block_load_methodE3ELS4_3ELS4_3ELNS0_20block_scan_algorithmE0ELj4294967295EEENS1_25partition_config_selectorILNS1_17partition_subalgoE4EjNS0_10empty_typeEbEEZZNS1_14partition_implILS8_4ELb0ES6_15HIP_vector_typeIjLj2EENS0_17counting_iteratorIjlEEPS9_SG_NS0_5tupleIJPjSI_NS0_16reverse_iteratorISI_EEEEENSH_IJSG_SG_SG_EEES9_SI_JZNS1_25segmented_radix_sort_implINS0_14default_configELb1EPKfPfPKlPlN2at6native12_GLOBAL__N_18offset_tEEE10hipError_tPvRmT1_PNSt15iterator_traitsIS12_E10value_typeET2_T3_PNS13_IS18_E10value_typeET4_jRbjT5_S1E_jjP12ihipStream_tbEUljE_ZNSN_ISO_Lb1ESQ_SR_ST_SU_SY_EESZ_S10_S11_S12_S16_S17_S18_S1B_S1C_jS1D_jS1E_S1E_jjS1G_bEUljE0_EEESZ_S10_S11_S18_S1C_S1E_T6_T7_T9_mT8_S1G_bDpT10_ENKUlT_T0_E_clISt17integral_constantIbLb0EES1U_EEDaS1P_S1Q_EUlS1P_E_NS1_11comp_targetILNS1_3genE5ELNS1_11target_archE942ELNS1_3gpuE9ELNS1_3repE0EEENS1_30default_config_static_selectorELNS0_4arch9wavefront6targetE0EEEvS12_
    .private_segment_fixed_size: 0
    .sgpr_count:     0
    .sgpr_spill_count: 0
    .symbol:         _ZN7rocprim17ROCPRIM_400000_NS6detail17trampoline_kernelINS0_13select_configILj256ELj13ELNS0_17block_load_methodE3ELS4_3ELS4_3ELNS0_20block_scan_algorithmE0ELj4294967295EEENS1_25partition_config_selectorILNS1_17partition_subalgoE4EjNS0_10empty_typeEbEEZZNS1_14partition_implILS8_4ELb0ES6_15HIP_vector_typeIjLj2EENS0_17counting_iteratorIjlEEPS9_SG_NS0_5tupleIJPjSI_NS0_16reverse_iteratorISI_EEEEENSH_IJSG_SG_SG_EEES9_SI_JZNS1_25segmented_radix_sort_implINS0_14default_configELb1EPKfPfPKlPlN2at6native12_GLOBAL__N_18offset_tEEE10hipError_tPvRmT1_PNSt15iterator_traitsIS12_E10value_typeET2_T3_PNS13_IS18_E10value_typeET4_jRbjT5_S1E_jjP12ihipStream_tbEUljE_ZNSN_ISO_Lb1ESQ_SR_ST_SU_SY_EESZ_S10_S11_S12_S16_S17_S18_S1B_S1C_jS1D_jS1E_S1E_jjS1G_bEUljE0_EEESZ_S10_S11_S18_S1C_S1E_T6_T7_T9_mT8_S1G_bDpT10_ENKUlT_T0_E_clISt17integral_constantIbLb0EES1U_EEDaS1P_S1Q_EUlS1P_E_NS1_11comp_targetILNS1_3genE5ELNS1_11target_archE942ELNS1_3gpuE9ELNS1_3repE0EEENS1_30default_config_static_selectorELNS0_4arch9wavefront6targetE0EEEvS12_.kd
    .uniform_work_group_size: 1
    .uses_dynamic_stack: false
    .vgpr_count:     0
    .vgpr_spill_count: 0
    .wavefront_size: 32
    .workgroup_processor_mode: 1
  - .args:
      - .offset:         0
        .size:           176
        .value_kind:     by_value
    .group_segment_fixed_size: 0
    .kernarg_segment_align: 8
    .kernarg_segment_size: 176
    .language:       OpenCL C
    .language_version:
      - 2
      - 0
    .max_flat_workgroup_size: 256
    .name:           _ZN7rocprim17ROCPRIM_400000_NS6detail17trampoline_kernelINS0_13select_configILj256ELj13ELNS0_17block_load_methodE3ELS4_3ELS4_3ELNS0_20block_scan_algorithmE0ELj4294967295EEENS1_25partition_config_selectorILNS1_17partition_subalgoE4EjNS0_10empty_typeEbEEZZNS1_14partition_implILS8_4ELb0ES6_15HIP_vector_typeIjLj2EENS0_17counting_iteratorIjlEEPS9_SG_NS0_5tupleIJPjSI_NS0_16reverse_iteratorISI_EEEEENSH_IJSG_SG_SG_EEES9_SI_JZNS1_25segmented_radix_sort_implINS0_14default_configELb1EPKfPfPKlPlN2at6native12_GLOBAL__N_18offset_tEEE10hipError_tPvRmT1_PNSt15iterator_traitsIS12_E10value_typeET2_T3_PNS13_IS18_E10value_typeET4_jRbjT5_S1E_jjP12ihipStream_tbEUljE_ZNSN_ISO_Lb1ESQ_SR_ST_SU_SY_EESZ_S10_S11_S12_S16_S17_S18_S1B_S1C_jS1D_jS1E_S1E_jjS1G_bEUljE0_EEESZ_S10_S11_S18_S1C_S1E_T6_T7_T9_mT8_S1G_bDpT10_ENKUlT_T0_E_clISt17integral_constantIbLb0EES1U_EEDaS1P_S1Q_EUlS1P_E_NS1_11comp_targetILNS1_3genE4ELNS1_11target_archE910ELNS1_3gpuE8ELNS1_3repE0EEENS1_30default_config_static_selectorELNS0_4arch9wavefront6targetE0EEEvS12_
    .private_segment_fixed_size: 0
    .sgpr_count:     0
    .sgpr_spill_count: 0
    .symbol:         _ZN7rocprim17ROCPRIM_400000_NS6detail17trampoline_kernelINS0_13select_configILj256ELj13ELNS0_17block_load_methodE3ELS4_3ELS4_3ELNS0_20block_scan_algorithmE0ELj4294967295EEENS1_25partition_config_selectorILNS1_17partition_subalgoE4EjNS0_10empty_typeEbEEZZNS1_14partition_implILS8_4ELb0ES6_15HIP_vector_typeIjLj2EENS0_17counting_iteratorIjlEEPS9_SG_NS0_5tupleIJPjSI_NS0_16reverse_iteratorISI_EEEEENSH_IJSG_SG_SG_EEES9_SI_JZNS1_25segmented_radix_sort_implINS0_14default_configELb1EPKfPfPKlPlN2at6native12_GLOBAL__N_18offset_tEEE10hipError_tPvRmT1_PNSt15iterator_traitsIS12_E10value_typeET2_T3_PNS13_IS18_E10value_typeET4_jRbjT5_S1E_jjP12ihipStream_tbEUljE_ZNSN_ISO_Lb1ESQ_SR_ST_SU_SY_EESZ_S10_S11_S12_S16_S17_S18_S1B_S1C_jS1D_jS1E_S1E_jjS1G_bEUljE0_EEESZ_S10_S11_S18_S1C_S1E_T6_T7_T9_mT8_S1G_bDpT10_ENKUlT_T0_E_clISt17integral_constantIbLb0EES1U_EEDaS1P_S1Q_EUlS1P_E_NS1_11comp_targetILNS1_3genE4ELNS1_11target_archE910ELNS1_3gpuE8ELNS1_3repE0EEENS1_30default_config_static_selectorELNS0_4arch9wavefront6targetE0EEEvS12_.kd
    .uniform_work_group_size: 1
    .uses_dynamic_stack: false
    .vgpr_count:     0
    .vgpr_spill_count: 0
    .wavefront_size: 32
    .workgroup_processor_mode: 1
  - .args:
      - .offset:         0
        .size:           176
        .value_kind:     by_value
    .group_segment_fixed_size: 0
    .kernarg_segment_align: 8
    .kernarg_segment_size: 176
    .language:       OpenCL C
    .language_version:
      - 2
      - 0
    .max_flat_workgroup_size: 256
    .name:           _ZN7rocprim17ROCPRIM_400000_NS6detail17trampoline_kernelINS0_13select_configILj256ELj13ELNS0_17block_load_methodE3ELS4_3ELS4_3ELNS0_20block_scan_algorithmE0ELj4294967295EEENS1_25partition_config_selectorILNS1_17partition_subalgoE4EjNS0_10empty_typeEbEEZZNS1_14partition_implILS8_4ELb0ES6_15HIP_vector_typeIjLj2EENS0_17counting_iteratorIjlEEPS9_SG_NS0_5tupleIJPjSI_NS0_16reverse_iteratorISI_EEEEENSH_IJSG_SG_SG_EEES9_SI_JZNS1_25segmented_radix_sort_implINS0_14default_configELb1EPKfPfPKlPlN2at6native12_GLOBAL__N_18offset_tEEE10hipError_tPvRmT1_PNSt15iterator_traitsIS12_E10value_typeET2_T3_PNS13_IS18_E10value_typeET4_jRbjT5_S1E_jjP12ihipStream_tbEUljE_ZNSN_ISO_Lb1ESQ_SR_ST_SU_SY_EESZ_S10_S11_S12_S16_S17_S18_S1B_S1C_jS1D_jS1E_S1E_jjS1G_bEUljE0_EEESZ_S10_S11_S18_S1C_S1E_T6_T7_T9_mT8_S1G_bDpT10_ENKUlT_T0_E_clISt17integral_constantIbLb0EES1U_EEDaS1P_S1Q_EUlS1P_E_NS1_11comp_targetILNS1_3genE3ELNS1_11target_archE908ELNS1_3gpuE7ELNS1_3repE0EEENS1_30default_config_static_selectorELNS0_4arch9wavefront6targetE0EEEvS12_
    .private_segment_fixed_size: 0
    .sgpr_count:     0
    .sgpr_spill_count: 0
    .symbol:         _ZN7rocprim17ROCPRIM_400000_NS6detail17trampoline_kernelINS0_13select_configILj256ELj13ELNS0_17block_load_methodE3ELS4_3ELS4_3ELNS0_20block_scan_algorithmE0ELj4294967295EEENS1_25partition_config_selectorILNS1_17partition_subalgoE4EjNS0_10empty_typeEbEEZZNS1_14partition_implILS8_4ELb0ES6_15HIP_vector_typeIjLj2EENS0_17counting_iteratorIjlEEPS9_SG_NS0_5tupleIJPjSI_NS0_16reverse_iteratorISI_EEEEENSH_IJSG_SG_SG_EEES9_SI_JZNS1_25segmented_radix_sort_implINS0_14default_configELb1EPKfPfPKlPlN2at6native12_GLOBAL__N_18offset_tEEE10hipError_tPvRmT1_PNSt15iterator_traitsIS12_E10value_typeET2_T3_PNS13_IS18_E10value_typeET4_jRbjT5_S1E_jjP12ihipStream_tbEUljE_ZNSN_ISO_Lb1ESQ_SR_ST_SU_SY_EESZ_S10_S11_S12_S16_S17_S18_S1B_S1C_jS1D_jS1E_S1E_jjS1G_bEUljE0_EEESZ_S10_S11_S18_S1C_S1E_T6_T7_T9_mT8_S1G_bDpT10_ENKUlT_T0_E_clISt17integral_constantIbLb0EES1U_EEDaS1P_S1Q_EUlS1P_E_NS1_11comp_targetILNS1_3genE3ELNS1_11target_archE908ELNS1_3gpuE7ELNS1_3repE0EEENS1_30default_config_static_selectorELNS0_4arch9wavefront6targetE0EEEvS12_.kd
    .uniform_work_group_size: 1
    .uses_dynamic_stack: false
    .vgpr_count:     0
    .vgpr_spill_count: 0
    .wavefront_size: 32
    .workgroup_processor_mode: 1
  - .args:
      - .offset:         0
        .size:           176
        .value_kind:     by_value
    .group_segment_fixed_size: 0
    .kernarg_segment_align: 8
    .kernarg_segment_size: 176
    .language:       OpenCL C
    .language_version:
      - 2
      - 0
    .max_flat_workgroup_size: 256
    .name:           _ZN7rocprim17ROCPRIM_400000_NS6detail17trampoline_kernelINS0_13select_configILj256ELj13ELNS0_17block_load_methodE3ELS4_3ELS4_3ELNS0_20block_scan_algorithmE0ELj4294967295EEENS1_25partition_config_selectorILNS1_17partition_subalgoE4EjNS0_10empty_typeEbEEZZNS1_14partition_implILS8_4ELb0ES6_15HIP_vector_typeIjLj2EENS0_17counting_iteratorIjlEEPS9_SG_NS0_5tupleIJPjSI_NS0_16reverse_iteratorISI_EEEEENSH_IJSG_SG_SG_EEES9_SI_JZNS1_25segmented_radix_sort_implINS0_14default_configELb1EPKfPfPKlPlN2at6native12_GLOBAL__N_18offset_tEEE10hipError_tPvRmT1_PNSt15iterator_traitsIS12_E10value_typeET2_T3_PNS13_IS18_E10value_typeET4_jRbjT5_S1E_jjP12ihipStream_tbEUljE_ZNSN_ISO_Lb1ESQ_SR_ST_SU_SY_EESZ_S10_S11_S12_S16_S17_S18_S1B_S1C_jS1D_jS1E_S1E_jjS1G_bEUljE0_EEESZ_S10_S11_S18_S1C_S1E_T6_T7_T9_mT8_S1G_bDpT10_ENKUlT_T0_E_clISt17integral_constantIbLb0EES1U_EEDaS1P_S1Q_EUlS1P_E_NS1_11comp_targetILNS1_3genE2ELNS1_11target_archE906ELNS1_3gpuE6ELNS1_3repE0EEENS1_30default_config_static_selectorELNS0_4arch9wavefront6targetE0EEEvS12_
    .private_segment_fixed_size: 0
    .sgpr_count:     0
    .sgpr_spill_count: 0
    .symbol:         _ZN7rocprim17ROCPRIM_400000_NS6detail17trampoline_kernelINS0_13select_configILj256ELj13ELNS0_17block_load_methodE3ELS4_3ELS4_3ELNS0_20block_scan_algorithmE0ELj4294967295EEENS1_25partition_config_selectorILNS1_17partition_subalgoE4EjNS0_10empty_typeEbEEZZNS1_14partition_implILS8_4ELb0ES6_15HIP_vector_typeIjLj2EENS0_17counting_iteratorIjlEEPS9_SG_NS0_5tupleIJPjSI_NS0_16reverse_iteratorISI_EEEEENSH_IJSG_SG_SG_EEES9_SI_JZNS1_25segmented_radix_sort_implINS0_14default_configELb1EPKfPfPKlPlN2at6native12_GLOBAL__N_18offset_tEEE10hipError_tPvRmT1_PNSt15iterator_traitsIS12_E10value_typeET2_T3_PNS13_IS18_E10value_typeET4_jRbjT5_S1E_jjP12ihipStream_tbEUljE_ZNSN_ISO_Lb1ESQ_SR_ST_SU_SY_EESZ_S10_S11_S12_S16_S17_S18_S1B_S1C_jS1D_jS1E_S1E_jjS1G_bEUljE0_EEESZ_S10_S11_S18_S1C_S1E_T6_T7_T9_mT8_S1G_bDpT10_ENKUlT_T0_E_clISt17integral_constantIbLb0EES1U_EEDaS1P_S1Q_EUlS1P_E_NS1_11comp_targetILNS1_3genE2ELNS1_11target_archE906ELNS1_3gpuE6ELNS1_3repE0EEENS1_30default_config_static_selectorELNS0_4arch9wavefront6targetE0EEEvS12_.kd
    .uniform_work_group_size: 1
    .uses_dynamic_stack: false
    .vgpr_count:     0
    .vgpr_spill_count: 0
    .wavefront_size: 32
    .workgroup_processor_mode: 1
  - .args:
      - .offset:         0
        .size:           176
        .value_kind:     by_value
    .group_segment_fixed_size: 13328
    .kernarg_segment_align: 8
    .kernarg_segment_size: 176
    .language:       OpenCL C
    .language_version:
      - 2
      - 0
    .max_flat_workgroup_size: 256
    .name:           _ZN7rocprim17ROCPRIM_400000_NS6detail17trampoline_kernelINS0_13select_configILj256ELj13ELNS0_17block_load_methodE3ELS4_3ELS4_3ELNS0_20block_scan_algorithmE0ELj4294967295EEENS1_25partition_config_selectorILNS1_17partition_subalgoE4EjNS0_10empty_typeEbEEZZNS1_14partition_implILS8_4ELb0ES6_15HIP_vector_typeIjLj2EENS0_17counting_iteratorIjlEEPS9_SG_NS0_5tupleIJPjSI_NS0_16reverse_iteratorISI_EEEEENSH_IJSG_SG_SG_EEES9_SI_JZNS1_25segmented_radix_sort_implINS0_14default_configELb1EPKfPfPKlPlN2at6native12_GLOBAL__N_18offset_tEEE10hipError_tPvRmT1_PNSt15iterator_traitsIS12_E10value_typeET2_T3_PNS13_IS18_E10value_typeET4_jRbjT5_S1E_jjP12ihipStream_tbEUljE_ZNSN_ISO_Lb1ESQ_SR_ST_SU_SY_EESZ_S10_S11_S12_S16_S17_S18_S1B_S1C_jS1D_jS1E_S1E_jjS1G_bEUljE0_EEESZ_S10_S11_S18_S1C_S1E_T6_T7_T9_mT8_S1G_bDpT10_ENKUlT_T0_E_clISt17integral_constantIbLb0EES1U_EEDaS1P_S1Q_EUlS1P_E_NS1_11comp_targetILNS1_3genE10ELNS1_11target_archE1200ELNS1_3gpuE4ELNS1_3repE0EEENS1_30default_config_static_selectorELNS0_4arch9wavefront6targetE0EEEvS12_
    .private_segment_fixed_size: 0
    .sgpr_count:     60
    .sgpr_spill_count: 0
    .symbol:         _ZN7rocprim17ROCPRIM_400000_NS6detail17trampoline_kernelINS0_13select_configILj256ELj13ELNS0_17block_load_methodE3ELS4_3ELS4_3ELNS0_20block_scan_algorithmE0ELj4294967295EEENS1_25partition_config_selectorILNS1_17partition_subalgoE4EjNS0_10empty_typeEbEEZZNS1_14partition_implILS8_4ELb0ES6_15HIP_vector_typeIjLj2EENS0_17counting_iteratorIjlEEPS9_SG_NS0_5tupleIJPjSI_NS0_16reverse_iteratorISI_EEEEENSH_IJSG_SG_SG_EEES9_SI_JZNS1_25segmented_radix_sort_implINS0_14default_configELb1EPKfPfPKlPlN2at6native12_GLOBAL__N_18offset_tEEE10hipError_tPvRmT1_PNSt15iterator_traitsIS12_E10value_typeET2_T3_PNS13_IS18_E10value_typeET4_jRbjT5_S1E_jjP12ihipStream_tbEUljE_ZNSN_ISO_Lb1ESQ_SR_ST_SU_SY_EESZ_S10_S11_S12_S16_S17_S18_S1B_S1C_jS1D_jS1E_S1E_jjS1G_bEUljE0_EEESZ_S10_S11_S18_S1C_S1E_T6_T7_T9_mT8_S1G_bDpT10_ENKUlT_T0_E_clISt17integral_constantIbLb0EES1U_EEDaS1P_S1Q_EUlS1P_E_NS1_11comp_targetILNS1_3genE10ELNS1_11target_archE1200ELNS1_3gpuE4ELNS1_3repE0EEENS1_30default_config_static_selectorELNS0_4arch9wavefront6targetE0EEEvS12_.kd
    .uniform_work_group_size: 1
    .uses_dynamic_stack: false
    .vgpr_count:     93
    .vgpr_spill_count: 0
    .wavefront_size: 32
    .workgroup_processor_mode: 1
  - .args:
      - .offset:         0
        .size:           176
        .value_kind:     by_value
    .group_segment_fixed_size: 0
    .kernarg_segment_align: 8
    .kernarg_segment_size: 176
    .language:       OpenCL C
    .language_version:
      - 2
      - 0
    .max_flat_workgroup_size: 256
    .name:           _ZN7rocprim17ROCPRIM_400000_NS6detail17trampoline_kernelINS0_13select_configILj256ELj13ELNS0_17block_load_methodE3ELS4_3ELS4_3ELNS0_20block_scan_algorithmE0ELj4294967295EEENS1_25partition_config_selectorILNS1_17partition_subalgoE4EjNS0_10empty_typeEbEEZZNS1_14partition_implILS8_4ELb0ES6_15HIP_vector_typeIjLj2EENS0_17counting_iteratorIjlEEPS9_SG_NS0_5tupleIJPjSI_NS0_16reverse_iteratorISI_EEEEENSH_IJSG_SG_SG_EEES9_SI_JZNS1_25segmented_radix_sort_implINS0_14default_configELb1EPKfPfPKlPlN2at6native12_GLOBAL__N_18offset_tEEE10hipError_tPvRmT1_PNSt15iterator_traitsIS12_E10value_typeET2_T3_PNS13_IS18_E10value_typeET4_jRbjT5_S1E_jjP12ihipStream_tbEUljE_ZNSN_ISO_Lb1ESQ_SR_ST_SU_SY_EESZ_S10_S11_S12_S16_S17_S18_S1B_S1C_jS1D_jS1E_S1E_jjS1G_bEUljE0_EEESZ_S10_S11_S18_S1C_S1E_T6_T7_T9_mT8_S1G_bDpT10_ENKUlT_T0_E_clISt17integral_constantIbLb0EES1U_EEDaS1P_S1Q_EUlS1P_E_NS1_11comp_targetILNS1_3genE9ELNS1_11target_archE1100ELNS1_3gpuE3ELNS1_3repE0EEENS1_30default_config_static_selectorELNS0_4arch9wavefront6targetE0EEEvS12_
    .private_segment_fixed_size: 0
    .sgpr_count:     0
    .sgpr_spill_count: 0
    .symbol:         _ZN7rocprim17ROCPRIM_400000_NS6detail17trampoline_kernelINS0_13select_configILj256ELj13ELNS0_17block_load_methodE3ELS4_3ELS4_3ELNS0_20block_scan_algorithmE0ELj4294967295EEENS1_25partition_config_selectorILNS1_17partition_subalgoE4EjNS0_10empty_typeEbEEZZNS1_14partition_implILS8_4ELb0ES6_15HIP_vector_typeIjLj2EENS0_17counting_iteratorIjlEEPS9_SG_NS0_5tupleIJPjSI_NS0_16reverse_iteratorISI_EEEEENSH_IJSG_SG_SG_EEES9_SI_JZNS1_25segmented_radix_sort_implINS0_14default_configELb1EPKfPfPKlPlN2at6native12_GLOBAL__N_18offset_tEEE10hipError_tPvRmT1_PNSt15iterator_traitsIS12_E10value_typeET2_T3_PNS13_IS18_E10value_typeET4_jRbjT5_S1E_jjP12ihipStream_tbEUljE_ZNSN_ISO_Lb1ESQ_SR_ST_SU_SY_EESZ_S10_S11_S12_S16_S17_S18_S1B_S1C_jS1D_jS1E_S1E_jjS1G_bEUljE0_EEESZ_S10_S11_S18_S1C_S1E_T6_T7_T9_mT8_S1G_bDpT10_ENKUlT_T0_E_clISt17integral_constantIbLb0EES1U_EEDaS1P_S1Q_EUlS1P_E_NS1_11comp_targetILNS1_3genE9ELNS1_11target_archE1100ELNS1_3gpuE3ELNS1_3repE0EEENS1_30default_config_static_selectorELNS0_4arch9wavefront6targetE0EEEvS12_.kd
    .uniform_work_group_size: 1
    .uses_dynamic_stack: false
    .vgpr_count:     0
    .vgpr_spill_count: 0
    .wavefront_size: 32
    .workgroup_processor_mode: 1
  - .args:
      - .offset:         0
        .size:           176
        .value_kind:     by_value
    .group_segment_fixed_size: 0
    .kernarg_segment_align: 8
    .kernarg_segment_size: 176
    .language:       OpenCL C
    .language_version:
      - 2
      - 0
    .max_flat_workgroup_size: 256
    .name:           _ZN7rocprim17ROCPRIM_400000_NS6detail17trampoline_kernelINS0_13select_configILj256ELj13ELNS0_17block_load_methodE3ELS4_3ELS4_3ELNS0_20block_scan_algorithmE0ELj4294967295EEENS1_25partition_config_selectorILNS1_17partition_subalgoE4EjNS0_10empty_typeEbEEZZNS1_14partition_implILS8_4ELb0ES6_15HIP_vector_typeIjLj2EENS0_17counting_iteratorIjlEEPS9_SG_NS0_5tupleIJPjSI_NS0_16reverse_iteratorISI_EEEEENSH_IJSG_SG_SG_EEES9_SI_JZNS1_25segmented_radix_sort_implINS0_14default_configELb1EPKfPfPKlPlN2at6native12_GLOBAL__N_18offset_tEEE10hipError_tPvRmT1_PNSt15iterator_traitsIS12_E10value_typeET2_T3_PNS13_IS18_E10value_typeET4_jRbjT5_S1E_jjP12ihipStream_tbEUljE_ZNSN_ISO_Lb1ESQ_SR_ST_SU_SY_EESZ_S10_S11_S12_S16_S17_S18_S1B_S1C_jS1D_jS1E_S1E_jjS1G_bEUljE0_EEESZ_S10_S11_S18_S1C_S1E_T6_T7_T9_mT8_S1G_bDpT10_ENKUlT_T0_E_clISt17integral_constantIbLb0EES1U_EEDaS1P_S1Q_EUlS1P_E_NS1_11comp_targetILNS1_3genE8ELNS1_11target_archE1030ELNS1_3gpuE2ELNS1_3repE0EEENS1_30default_config_static_selectorELNS0_4arch9wavefront6targetE0EEEvS12_
    .private_segment_fixed_size: 0
    .sgpr_count:     0
    .sgpr_spill_count: 0
    .symbol:         _ZN7rocprim17ROCPRIM_400000_NS6detail17trampoline_kernelINS0_13select_configILj256ELj13ELNS0_17block_load_methodE3ELS4_3ELS4_3ELNS0_20block_scan_algorithmE0ELj4294967295EEENS1_25partition_config_selectorILNS1_17partition_subalgoE4EjNS0_10empty_typeEbEEZZNS1_14partition_implILS8_4ELb0ES6_15HIP_vector_typeIjLj2EENS0_17counting_iteratorIjlEEPS9_SG_NS0_5tupleIJPjSI_NS0_16reverse_iteratorISI_EEEEENSH_IJSG_SG_SG_EEES9_SI_JZNS1_25segmented_radix_sort_implINS0_14default_configELb1EPKfPfPKlPlN2at6native12_GLOBAL__N_18offset_tEEE10hipError_tPvRmT1_PNSt15iterator_traitsIS12_E10value_typeET2_T3_PNS13_IS18_E10value_typeET4_jRbjT5_S1E_jjP12ihipStream_tbEUljE_ZNSN_ISO_Lb1ESQ_SR_ST_SU_SY_EESZ_S10_S11_S12_S16_S17_S18_S1B_S1C_jS1D_jS1E_S1E_jjS1G_bEUljE0_EEESZ_S10_S11_S18_S1C_S1E_T6_T7_T9_mT8_S1G_bDpT10_ENKUlT_T0_E_clISt17integral_constantIbLb0EES1U_EEDaS1P_S1Q_EUlS1P_E_NS1_11comp_targetILNS1_3genE8ELNS1_11target_archE1030ELNS1_3gpuE2ELNS1_3repE0EEENS1_30default_config_static_selectorELNS0_4arch9wavefront6targetE0EEEvS12_.kd
    .uniform_work_group_size: 1
    .uses_dynamic_stack: false
    .vgpr_count:     0
    .vgpr_spill_count: 0
    .wavefront_size: 32
    .workgroup_processor_mode: 1
  - .args:
      - .offset:         0
        .size:           184
        .value_kind:     by_value
    .group_segment_fixed_size: 0
    .kernarg_segment_align: 8
    .kernarg_segment_size: 184
    .language:       OpenCL C
    .language_version:
      - 2
      - 0
    .max_flat_workgroup_size: 256
    .name:           _ZN7rocprim17ROCPRIM_400000_NS6detail17trampoline_kernelINS0_13select_configILj256ELj13ELNS0_17block_load_methodE3ELS4_3ELS4_3ELNS0_20block_scan_algorithmE0ELj4294967295EEENS1_25partition_config_selectorILNS1_17partition_subalgoE4EjNS0_10empty_typeEbEEZZNS1_14partition_implILS8_4ELb0ES6_15HIP_vector_typeIjLj2EENS0_17counting_iteratorIjlEEPS9_SG_NS0_5tupleIJPjSI_NS0_16reverse_iteratorISI_EEEEENSH_IJSG_SG_SG_EEES9_SI_JZNS1_25segmented_radix_sort_implINS0_14default_configELb1EPKfPfPKlPlN2at6native12_GLOBAL__N_18offset_tEEE10hipError_tPvRmT1_PNSt15iterator_traitsIS12_E10value_typeET2_T3_PNS13_IS18_E10value_typeET4_jRbjT5_S1E_jjP12ihipStream_tbEUljE_ZNSN_ISO_Lb1ESQ_SR_ST_SU_SY_EESZ_S10_S11_S12_S16_S17_S18_S1B_S1C_jS1D_jS1E_S1E_jjS1G_bEUljE0_EEESZ_S10_S11_S18_S1C_S1E_T6_T7_T9_mT8_S1G_bDpT10_ENKUlT_T0_E_clISt17integral_constantIbLb1EES1U_EEDaS1P_S1Q_EUlS1P_E_NS1_11comp_targetILNS1_3genE0ELNS1_11target_archE4294967295ELNS1_3gpuE0ELNS1_3repE0EEENS1_30default_config_static_selectorELNS0_4arch9wavefront6targetE0EEEvS12_
    .private_segment_fixed_size: 0
    .sgpr_count:     0
    .sgpr_spill_count: 0
    .symbol:         _ZN7rocprim17ROCPRIM_400000_NS6detail17trampoline_kernelINS0_13select_configILj256ELj13ELNS0_17block_load_methodE3ELS4_3ELS4_3ELNS0_20block_scan_algorithmE0ELj4294967295EEENS1_25partition_config_selectorILNS1_17partition_subalgoE4EjNS0_10empty_typeEbEEZZNS1_14partition_implILS8_4ELb0ES6_15HIP_vector_typeIjLj2EENS0_17counting_iteratorIjlEEPS9_SG_NS0_5tupleIJPjSI_NS0_16reverse_iteratorISI_EEEEENSH_IJSG_SG_SG_EEES9_SI_JZNS1_25segmented_radix_sort_implINS0_14default_configELb1EPKfPfPKlPlN2at6native12_GLOBAL__N_18offset_tEEE10hipError_tPvRmT1_PNSt15iterator_traitsIS12_E10value_typeET2_T3_PNS13_IS18_E10value_typeET4_jRbjT5_S1E_jjP12ihipStream_tbEUljE_ZNSN_ISO_Lb1ESQ_SR_ST_SU_SY_EESZ_S10_S11_S12_S16_S17_S18_S1B_S1C_jS1D_jS1E_S1E_jjS1G_bEUljE0_EEESZ_S10_S11_S18_S1C_S1E_T6_T7_T9_mT8_S1G_bDpT10_ENKUlT_T0_E_clISt17integral_constantIbLb1EES1U_EEDaS1P_S1Q_EUlS1P_E_NS1_11comp_targetILNS1_3genE0ELNS1_11target_archE4294967295ELNS1_3gpuE0ELNS1_3repE0EEENS1_30default_config_static_selectorELNS0_4arch9wavefront6targetE0EEEvS12_.kd
    .uniform_work_group_size: 1
    .uses_dynamic_stack: false
    .vgpr_count:     0
    .vgpr_spill_count: 0
    .wavefront_size: 32
    .workgroup_processor_mode: 1
  - .args:
      - .offset:         0
        .size:           184
        .value_kind:     by_value
    .group_segment_fixed_size: 0
    .kernarg_segment_align: 8
    .kernarg_segment_size: 184
    .language:       OpenCL C
    .language_version:
      - 2
      - 0
    .max_flat_workgroup_size: 256
    .name:           _ZN7rocprim17ROCPRIM_400000_NS6detail17trampoline_kernelINS0_13select_configILj256ELj13ELNS0_17block_load_methodE3ELS4_3ELS4_3ELNS0_20block_scan_algorithmE0ELj4294967295EEENS1_25partition_config_selectorILNS1_17partition_subalgoE4EjNS0_10empty_typeEbEEZZNS1_14partition_implILS8_4ELb0ES6_15HIP_vector_typeIjLj2EENS0_17counting_iteratorIjlEEPS9_SG_NS0_5tupleIJPjSI_NS0_16reverse_iteratorISI_EEEEENSH_IJSG_SG_SG_EEES9_SI_JZNS1_25segmented_radix_sort_implINS0_14default_configELb1EPKfPfPKlPlN2at6native12_GLOBAL__N_18offset_tEEE10hipError_tPvRmT1_PNSt15iterator_traitsIS12_E10value_typeET2_T3_PNS13_IS18_E10value_typeET4_jRbjT5_S1E_jjP12ihipStream_tbEUljE_ZNSN_ISO_Lb1ESQ_SR_ST_SU_SY_EESZ_S10_S11_S12_S16_S17_S18_S1B_S1C_jS1D_jS1E_S1E_jjS1G_bEUljE0_EEESZ_S10_S11_S18_S1C_S1E_T6_T7_T9_mT8_S1G_bDpT10_ENKUlT_T0_E_clISt17integral_constantIbLb1EES1U_EEDaS1P_S1Q_EUlS1P_E_NS1_11comp_targetILNS1_3genE5ELNS1_11target_archE942ELNS1_3gpuE9ELNS1_3repE0EEENS1_30default_config_static_selectorELNS0_4arch9wavefront6targetE0EEEvS12_
    .private_segment_fixed_size: 0
    .sgpr_count:     0
    .sgpr_spill_count: 0
    .symbol:         _ZN7rocprim17ROCPRIM_400000_NS6detail17trampoline_kernelINS0_13select_configILj256ELj13ELNS0_17block_load_methodE3ELS4_3ELS4_3ELNS0_20block_scan_algorithmE0ELj4294967295EEENS1_25partition_config_selectorILNS1_17partition_subalgoE4EjNS0_10empty_typeEbEEZZNS1_14partition_implILS8_4ELb0ES6_15HIP_vector_typeIjLj2EENS0_17counting_iteratorIjlEEPS9_SG_NS0_5tupleIJPjSI_NS0_16reverse_iteratorISI_EEEEENSH_IJSG_SG_SG_EEES9_SI_JZNS1_25segmented_radix_sort_implINS0_14default_configELb1EPKfPfPKlPlN2at6native12_GLOBAL__N_18offset_tEEE10hipError_tPvRmT1_PNSt15iterator_traitsIS12_E10value_typeET2_T3_PNS13_IS18_E10value_typeET4_jRbjT5_S1E_jjP12ihipStream_tbEUljE_ZNSN_ISO_Lb1ESQ_SR_ST_SU_SY_EESZ_S10_S11_S12_S16_S17_S18_S1B_S1C_jS1D_jS1E_S1E_jjS1G_bEUljE0_EEESZ_S10_S11_S18_S1C_S1E_T6_T7_T9_mT8_S1G_bDpT10_ENKUlT_T0_E_clISt17integral_constantIbLb1EES1U_EEDaS1P_S1Q_EUlS1P_E_NS1_11comp_targetILNS1_3genE5ELNS1_11target_archE942ELNS1_3gpuE9ELNS1_3repE0EEENS1_30default_config_static_selectorELNS0_4arch9wavefront6targetE0EEEvS12_.kd
    .uniform_work_group_size: 1
    .uses_dynamic_stack: false
    .vgpr_count:     0
    .vgpr_spill_count: 0
    .wavefront_size: 32
    .workgroup_processor_mode: 1
  - .args:
      - .offset:         0
        .size:           184
        .value_kind:     by_value
    .group_segment_fixed_size: 0
    .kernarg_segment_align: 8
    .kernarg_segment_size: 184
    .language:       OpenCL C
    .language_version:
      - 2
      - 0
    .max_flat_workgroup_size: 256
    .name:           _ZN7rocprim17ROCPRIM_400000_NS6detail17trampoline_kernelINS0_13select_configILj256ELj13ELNS0_17block_load_methodE3ELS4_3ELS4_3ELNS0_20block_scan_algorithmE0ELj4294967295EEENS1_25partition_config_selectorILNS1_17partition_subalgoE4EjNS0_10empty_typeEbEEZZNS1_14partition_implILS8_4ELb0ES6_15HIP_vector_typeIjLj2EENS0_17counting_iteratorIjlEEPS9_SG_NS0_5tupleIJPjSI_NS0_16reverse_iteratorISI_EEEEENSH_IJSG_SG_SG_EEES9_SI_JZNS1_25segmented_radix_sort_implINS0_14default_configELb1EPKfPfPKlPlN2at6native12_GLOBAL__N_18offset_tEEE10hipError_tPvRmT1_PNSt15iterator_traitsIS12_E10value_typeET2_T3_PNS13_IS18_E10value_typeET4_jRbjT5_S1E_jjP12ihipStream_tbEUljE_ZNSN_ISO_Lb1ESQ_SR_ST_SU_SY_EESZ_S10_S11_S12_S16_S17_S18_S1B_S1C_jS1D_jS1E_S1E_jjS1G_bEUljE0_EEESZ_S10_S11_S18_S1C_S1E_T6_T7_T9_mT8_S1G_bDpT10_ENKUlT_T0_E_clISt17integral_constantIbLb1EES1U_EEDaS1P_S1Q_EUlS1P_E_NS1_11comp_targetILNS1_3genE4ELNS1_11target_archE910ELNS1_3gpuE8ELNS1_3repE0EEENS1_30default_config_static_selectorELNS0_4arch9wavefront6targetE0EEEvS12_
    .private_segment_fixed_size: 0
    .sgpr_count:     0
    .sgpr_spill_count: 0
    .symbol:         _ZN7rocprim17ROCPRIM_400000_NS6detail17trampoline_kernelINS0_13select_configILj256ELj13ELNS0_17block_load_methodE3ELS4_3ELS4_3ELNS0_20block_scan_algorithmE0ELj4294967295EEENS1_25partition_config_selectorILNS1_17partition_subalgoE4EjNS0_10empty_typeEbEEZZNS1_14partition_implILS8_4ELb0ES6_15HIP_vector_typeIjLj2EENS0_17counting_iteratorIjlEEPS9_SG_NS0_5tupleIJPjSI_NS0_16reverse_iteratorISI_EEEEENSH_IJSG_SG_SG_EEES9_SI_JZNS1_25segmented_radix_sort_implINS0_14default_configELb1EPKfPfPKlPlN2at6native12_GLOBAL__N_18offset_tEEE10hipError_tPvRmT1_PNSt15iterator_traitsIS12_E10value_typeET2_T3_PNS13_IS18_E10value_typeET4_jRbjT5_S1E_jjP12ihipStream_tbEUljE_ZNSN_ISO_Lb1ESQ_SR_ST_SU_SY_EESZ_S10_S11_S12_S16_S17_S18_S1B_S1C_jS1D_jS1E_S1E_jjS1G_bEUljE0_EEESZ_S10_S11_S18_S1C_S1E_T6_T7_T9_mT8_S1G_bDpT10_ENKUlT_T0_E_clISt17integral_constantIbLb1EES1U_EEDaS1P_S1Q_EUlS1P_E_NS1_11comp_targetILNS1_3genE4ELNS1_11target_archE910ELNS1_3gpuE8ELNS1_3repE0EEENS1_30default_config_static_selectorELNS0_4arch9wavefront6targetE0EEEvS12_.kd
    .uniform_work_group_size: 1
    .uses_dynamic_stack: false
    .vgpr_count:     0
    .vgpr_spill_count: 0
    .wavefront_size: 32
    .workgroup_processor_mode: 1
  - .args:
      - .offset:         0
        .size:           184
        .value_kind:     by_value
    .group_segment_fixed_size: 0
    .kernarg_segment_align: 8
    .kernarg_segment_size: 184
    .language:       OpenCL C
    .language_version:
      - 2
      - 0
    .max_flat_workgroup_size: 256
    .name:           _ZN7rocprim17ROCPRIM_400000_NS6detail17trampoline_kernelINS0_13select_configILj256ELj13ELNS0_17block_load_methodE3ELS4_3ELS4_3ELNS0_20block_scan_algorithmE0ELj4294967295EEENS1_25partition_config_selectorILNS1_17partition_subalgoE4EjNS0_10empty_typeEbEEZZNS1_14partition_implILS8_4ELb0ES6_15HIP_vector_typeIjLj2EENS0_17counting_iteratorIjlEEPS9_SG_NS0_5tupleIJPjSI_NS0_16reverse_iteratorISI_EEEEENSH_IJSG_SG_SG_EEES9_SI_JZNS1_25segmented_radix_sort_implINS0_14default_configELb1EPKfPfPKlPlN2at6native12_GLOBAL__N_18offset_tEEE10hipError_tPvRmT1_PNSt15iterator_traitsIS12_E10value_typeET2_T3_PNS13_IS18_E10value_typeET4_jRbjT5_S1E_jjP12ihipStream_tbEUljE_ZNSN_ISO_Lb1ESQ_SR_ST_SU_SY_EESZ_S10_S11_S12_S16_S17_S18_S1B_S1C_jS1D_jS1E_S1E_jjS1G_bEUljE0_EEESZ_S10_S11_S18_S1C_S1E_T6_T7_T9_mT8_S1G_bDpT10_ENKUlT_T0_E_clISt17integral_constantIbLb1EES1U_EEDaS1P_S1Q_EUlS1P_E_NS1_11comp_targetILNS1_3genE3ELNS1_11target_archE908ELNS1_3gpuE7ELNS1_3repE0EEENS1_30default_config_static_selectorELNS0_4arch9wavefront6targetE0EEEvS12_
    .private_segment_fixed_size: 0
    .sgpr_count:     0
    .sgpr_spill_count: 0
    .symbol:         _ZN7rocprim17ROCPRIM_400000_NS6detail17trampoline_kernelINS0_13select_configILj256ELj13ELNS0_17block_load_methodE3ELS4_3ELS4_3ELNS0_20block_scan_algorithmE0ELj4294967295EEENS1_25partition_config_selectorILNS1_17partition_subalgoE4EjNS0_10empty_typeEbEEZZNS1_14partition_implILS8_4ELb0ES6_15HIP_vector_typeIjLj2EENS0_17counting_iteratorIjlEEPS9_SG_NS0_5tupleIJPjSI_NS0_16reverse_iteratorISI_EEEEENSH_IJSG_SG_SG_EEES9_SI_JZNS1_25segmented_radix_sort_implINS0_14default_configELb1EPKfPfPKlPlN2at6native12_GLOBAL__N_18offset_tEEE10hipError_tPvRmT1_PNSt15iterator_traitsIS12_E10value_typeET2_T3_PNS13_IS18_E10value_typeET4_jRbjT5_S1E_jjP12ihipStream_tbEUljE_ZNSN_ISO_Lb1ESQ_SR_ST_SU_SY_EESZ_S10_S11_S12_S16_S17_S18_S1B_S1C_jS1D_jS1E_S1E_jjS1G_bEUljE0_EEESZ_S10_S11_S18_S1C_S1E_T6_T7_T9_mT8_S1G_bDpT10_ENKUlT_T0_E_clISt17integral_constantIbLb1EES1U_EEDaS1P_S1Q_EUlS1P_E_NS1_11comp_targetILNS1_3genE3ELNS1_11target_archE908ELNS1_3gpuE7ELNS1_3repE0EEENS1_30default_config_static_selectorELNS0_4arch9wavefront6targetE0EEEvS12_.kd
    .uniform_work_group_size: 1
    .uses_dynamic_stack: false
    .vgpr_count:     0
    .vgpr_spill_count: 0
    .wavefront_size: 32
    .workgroup_processor_mode: 1
  - .args:
      - .offset:         0
        .size:           184
        .value_kind:     by_value
    .group_segment_fixed_size: 0
    .kernarg_segment_align: 8
    .kernarg_segment_size: 184
    .language:       OpenCL C
    .language_version:
      - 2
      - 0
    .max_flat_workgroup_size: 256
    .name:           _ZN7rocprim17ROCPRIM_400000_NS6detail17trampoline_kernelINS0_13select_configILj256ELj13ELNS0_17block_load_methodE3ELS4_3ELS4_3ELNS0_20block_scan_algorithmE0ELj4294967295EEENS1_25partition_config_selectorILNS1_17partition_subalgoE4EjNS0_10empty_typeEbEEZZNS1_14partition_implILS8_4ELb0ES6_15HIP_vector_typeIjLj2EENS0_17counting_iteratorIjlEEPS9_SG_NS0_5tupleIJPjSI_NS0_16reverse_iteratorISI_EEEEENSH_IJSG_SG_SG_EEES9_SI_JZNS1_25segmented_radix_sort_implINS0_14default_configELb1EPKfPfPKlPlN2at6native12_GLOBAL__N_18offset_tEEE10hipError_tPvRmT1_PNSt15iterator_traitsIS12_E10value_typeET2_T3_PNS13_IS18_E10value_typeET4_jRbjT5_S1E_jjP12ihipStream_tbEUljE_ZNSN_ISO_Lb1ESQ_SR_ST_SU_SY_EESZ_S10_S11_S12_S16_S17_S18_S1B_S1C_jS1D_jS1E_S1E_jjS1G_bEUljE0_EEESZ_S10_S11_S18_S1C_S1E_T6_T7_T9_mT8_S1G_bDpT10_ENKUlT_T0_E_clISt17integral_constantIbLb1EES1U_EEDaS1P_S1Q_EUlS1P_E_NS1_11comp_targetILNS1_3genE2ELNS1_11target_archE906ELNS1_3gpuE6ELNS1_3repE0EEENS1_30default_config_static_selectorELNS0_4arch9wavefront6targetE0EEEvS12_
    .private_segment_fixed_size: 0
    .sgpr_count:     0
    .sgpr_spill_count: 0
    .symbol:         _ZN7rocprim17ROCPRIM_400000_NS6detail17trampoline_kernelINS0_13select_configILj256ELj13ELNS0_17block_load_methodE3ELS4_3ELS4_3ELNS0_20block_scan_algorithmE0ELj4294967295EEENS1_25partition_config_selectorILNS1_17partition_subalgoE4EjNS0_10empty_typeEbEEZZNS1_14partition_implILS8_4ELb0ES6_15HIP_vector_typeIjLj2EENS0_17counting_iteratorIjlEEPS9_SG_NS0_5tupleIJPjSI_NS0_16reverse_iteratorISI_EEEEENSH_IJSG_SG_SG_EEES9_SI_JZNS1_25segmented_radix_sort_implINS0_14default_configELb1EPKfPfPKlPlN2at6native12_GLOBAL__N_18offset_tEEE10hipError_tPvRmT1_PNSt15iterator_traitsIS12_E10value_typeET2_T3_PNS13_IS18_E10value_typeET4_jRbjT5_S1E_jjP12ihipStream_tbEUljE_ZNSN_ISO_Lb1ESQ_SR_ST_SU_SY_EESZ_S10_S11_S12_S16_S17_S18_S1B_S1C_jS1D_jS1E_S1E_jjS1G_bEUljE0_EEESZ_S10_S11_S18_S1C_S1E_T6_T7_T9_mT8_S1G_bDpT10_ENKUlT_T0_E_clISt17integral_constantIbLb1EES1U_EEDaS1P_S1Q_EUlS1P_E_NS1_11comp_targetILNS1_3genE2ELNS1_11target_archE906ELNS1_3gpuE6ELNS1_3repE0EEENS1_30default_config_static_selectorELNS0_4arch9wavefront6targetE0EEEvS12_.kd
    .uniform_work_group_size: 1
    .uses_dynamic_stack: false
    .vgpr_count:     0
    .vgpr_spill_count: 0
    .wavefront_size: 32
    .workgroup_processor_mode: 1
  - .args:
      - .offset:         0
        .size:           184
        .value_kind:     by_value
    .group_segment_fixed_size: 0
    .kernarg_segment_align: 8
    .kernarg_segment_size: 184
    .language:       OpenCL C
    .language_version:
      - 2
      - 0
    .max_flat_workgroup_size: 256
    .name:           _ZN7rocprim17ROCPRIM_400000_NS6detail17trampoline_kernelINS0_13select_configILj256ELj13ELNS0_17block_load_methodE3ELS4_3ELS4_3ELNS0_20block_scan_algorithmE0ELj4294967295EEENS1_25partition_config_selectorILNS1_17partition_subalgoE4EjNS0_10empty_typeEbEEZZNS1_14partition_implILS8_4ELb0ES6_15HIP_vector_typeIjLj2EENS0_17counting_iteratorIjlEEPS9_SG_NS0_5tupleIJPjSI_NS0_16reverse_iteratorISI_EEEEENSH_IJSG_SG_SG_EEES9_SI_JZNS1_25segmented_radix_sort_implINS0_14default_configELb1EPKfPfPKlPlN2at6native12_GLOBAL__N_18offset_tEEE10hipError_tPvRmT1_PNSt15iterator_traitsIS12_E10value_typeET2_T3_PNS13_IS18_E10value_typeET4_jRbjT5_S1E_jjP12ihipStream_tbEUljE_ZNSN_ISO_Lb1ESQ_SR_ST_SU_SY_EESZ_S10_S11_S12_S16_S17_S18_S1B_S1C_jS1D_jS1E_S1E_jjS1G_bEUljE0_EEESZ_S10_S11_S18_S1C_S1E_T6_T7_T9_mT8_S1G_bDpT10_ENKUlT_T0_E_clISt17integral_constantIbLb1EES1U_EEDaS1P_S1Q_EUlS1P_E_NS1_11comp_targetILNS1_3genE10ELNS1_11target_archE1200ELNS1_3gpuE4ELNS1_3repE0EEENS1_30default_config_static_selectorELNS0_4arch9wavefront6targetE0EEEvS12_
    .private_segment_fixed_size: 0
    .sgpr_count:     0
    .sgpr_spill_count: 0
    .symbol:         _ZN7rocprim17ROCPRIM_400000_NS6detail17trampoline_kernelINS0_13select_configILj256ELj13ELNS0_17block_load_methodE3ELS4_3ELS4_3ELNS0_20block_scan_algorithmE0ELj4294967295EEENS1_25partition_config_selectorILNS1_17partition_subalgoE4EjNS0_10empty_typeEbEEZZNS1_14partition_implILS8_4ELb0ES6_15HIP_vector_typeIjLj2EENS0_17counting_iteratorIjlEEPS9_SG_NS0_5tupleIJPjSI_NS0_16reverse_iteratorISI_EEEEENSH_IJSG_SG_SG_EEES9_SI_JZNS1_25segmented_radix_sort_implINS0_14default_configELb1EPKfPfPKlPlN2at6native12_GLOBAL__N_18offset_tEEE10hipError_tPvRmT1_PNSt15iterator_traitsIS12_E10value_typeET2_T3_PNS13_IS18_E10value_typeET4_jRbjT5_S1E_jjP12ihipStream_tbEUljE_ZNSN_ISO_Lb1ESQ_SR_ST_SU_SY_EESZ_S10_S11_S12_S16_S17_S18_S1B_S1C_jS1D_jS1E_S1E_jjS1G_bEUljE0_EEESZ_S10_S11_S18_S1C_S1E_T6_T7_T9_mT8_S1G_bDpT10_ENKUlT_T0_E_clISt17integral_constantIbLb1EES1U_EEDaS1P_S1Q_EUlS1P_E_NS1_11comp_targetILNS1_3genE10ELNS1_11target_archE1200ELNS1_3gpuE4ELNS1_3repE0EEENS1_30default_config_static_selectorELNS0_4arch9wavefront6targetE0EEEvS12_.kd
    .uniform_work_group_size: 1
    .uses_dynamic_stack: false
    .vgpr_count:     0
    .vgpr_spill_count: 0
    .wavefront_size: 32
    .workgroup_processor_mode: 1
  - .args:
      - .offset:         0
        .size:           184
        .value_kind:     by_value
    .group_segment_fixed_size: 0
    .kernarg_segment_align: 8
    .kernarg_segment_size: 184
    .language:       OpenCL C
    .language_version:
      - 2
      - 0
    .max_flat_workgroup_size: 256
    .name:           _ZN7rocprim17ROCPRIM_400000_NS6detail17trampoline_kernelINS0_13select_configILj256ELj13ELNS0_17block_load_methodE3ELS4_3ELS4_3ELNS0_20block_scan_algorithmE0ELj4294967295EEENS1_25partition_config_selectorILNS1_17partition_subalgoE4EjNS0_10empty_typeEbEEZZNS1_14partition_implILS8_4ELb0ES6_15HIP_vector_typeIjLj2EENS0_17counting_iteratorIjlEEPS9_SG_NS0_5tupleIJPjSI_NS0_16reverse_iteratorISI_EEEEENSH_IJSG_SG_SG_EEES9_SI_JZNS1_25segmented_radix_sort_implINS0_14default_configELb1EPKfPfPKlPlN2at6native12_GLOBAL__N_18offset_tEEE10hipError_tPvRmT1_PNSt15iterator_traitsIS12_E10value_typeET2_T3_PNS13_IS18_E10value_typeET4_jRbjT5_S1E_jjP12ihipStream_tbEUljE_ZNSN_ISO_Lb1ESQ_SR_ST_SU_SY_EESZ_S10_S11_S12_S16_S17_S18_S1B_S1C_jS1D_jS1E_S1E_jjS1G_bEUljE0_EEESZ_S10_S11_S18_S1C_S1E_T6_T7_T9_mT8_S1G_bDpT10_ENKUlT_T0_E_clISt17integral_constantIbLb1EES1U_EEDaS1P_S1Q_EUlS1P_E_NS1_11comp_targetILNS1_3genE9ELNS1_11target_archE1100ELNS1_3gpuE3ELNS1_3repE0EEENS1_30default_config_static_selectorELNS0_4arch9wavefront6targetE0EEEvS12_
    .private_segment_fixed_size: 0
    .sgpr_count:     0
    .sgpr_spill_count: 0
    .symbol:         _ZN7rocprim17ROCPRIM_400000_NS6detail17trampoline_kernelINS0_13select_configILj256ELj13ELNS0_17block_load_methodE3ELS4_3ELS4_3ELNS0_20block_scan_algorithmE0ELj4294967295EEENS1_25partition_config_selectorILNS1_17partition_subalgoE4EjNS0_10empty_typeEbEEZZNS1_14partition_implILS8_4ELb0ES6_15HIP_vector_typeIjLj2EENS0_17counting_iteratorIjlEEPS9_SG_NS0_5tupleIJPjSI_NS0_16reverse_iteratorISI_EEEEENSH_IJSG_SG_SG_EEES9_SI_JZNS1_25segmented_radix_sort_implINS0_14default_configELb1EPKfPfPKlPlN2at6native12_GLOBAL__N_18offset_tEEE10hipError_tPvRmT1_PNSt15iterator_traitsIS12_E10value_typeET2_T3_PNS13_IS18_E10value_typeET4_jRbjT5_S1E_jjP12ihipStream_tbEUljE_ZNSN_ISO_Lb1ESQ_SR_ST_SU_SY_EESZ_S10_S11_S12_S16_S17_S18_S1B_S1C_jS1D_jS1E_S1E_jjS1G_bEUljE0_EEESZ_S10_S11_S18_S1C_S1E_T6_T7_T9_mT8_S1G_bDpT10_ENKUlT_T0_E_clISt17integral_constantIbLb1EES1U_EEDaS1P_S1Q_EUlS1P_E_NS1_11comp_targetILNS1_3genE9ELNS1_11target_archE1100ELNS1_3gpuE3ELNS1_3repE0EEENS1_30default_config_static_selectorELNS0_4arch9wavefront6targetE0EEEvS12_.kd
    .uniform_work_group_size: 1
    .uses_dynamic_stack: false
    .vgpr_count:     0
    .vgpr_spill_count: 0
    .wavefront_size: 32
    .workgroup_processor_mode: 1
  - .args:
      - .offset:         0
        .size:           184
        .value_kind:     by_value
    .group_segment_fixed_size: 0
    .kernarg_segment_align: 8
    .kernarg_segment_size: 184
    .language:       OpenCL C
    .language_version:
      - 2
      - 0
    .max_flat_workgroup_size: 256
    .name:           _ZN7rocprim17ROCPRIM_400000_NS6detail17trampoline_kernelINS0_13select_configILj256ELj13ELNS0_17block_load_methodE3ELS4_3ELS4_3ELNS0_20block_scan_algorithmE0ELj4294967295EEENS1_25partition_config_selectorILNS1_17partition_subalgoE4EjNS0_10empty_typeEbEEZZNS1_14partition_implILS8_4ELb0ES6_15HIP_vector_typeIjLj2EENS0_17counting_iteratorIjlEEPS9_SG_NS0_5tupleIJPjSI_NS0_16reverse_iteratorISI_EEEEENSH_IJSG_SG_SG_EEES9_SI_JZNS1_25segmented_radix_sort_implINS0_14default_configELb1EPKfPfPKlPlN2at6native12_GLOBAL__N_18offset_tEEE10hipError_tPvRmT1_PNSt15iterator_traitsIS12_E10value_typeET2_T3_PNS13_IS18_E10value_typeET4_jRbjT5_S1E_jjP12ihipStream_tbEUljE_ZNSN_ISO_Lb1ESQ_SR_ST_SU_SY_EESZ_S10_S11_S12_S16_S17_S18_S1B_S1C_jS1D_jS1E_S1E_jjS1G_bEUljE0_EEESZ_S10_S11_S18_S1C_S1E_T6_T7_T9_mT8_S1G_bDpT10_ENKUlT_T0_E_clISt17integral_constantIbLb1EES1U_EEDaS1P_S1Q_EUlS1P_E_NS1_11comp_targetILNS1_3genE8ELNS1_11target_archE1030ELNS1_3gpuE2ELNS1_3repE0EEENS1_30default_config_static_selectorELNS0_4arch9wavefront6targetE0EEEvS12_
    .private_segment_fixed_size: 0
    .sgpr_count:     0
    .sgpr_spill_count: 0
    .symbol:         _ZN7rocprim17ROCPRIM_400000_NS6detail17trampoline_kernelINS0_13select_configILj256ELj13ELNS0_17block_load_methodE3ELS4_3ELS4_3ELNS0_20block_scan_algorithmE0ELj4294967295EEENS1_25partition_config_selectorILNS1_17partition_subalgoE4EjNS0_10empty_typeEbEEZZNS1_14partition_implILS8_4ELb0ES6_15HIP_vector_typeIjLj2EENS0_17counting_iteratorIjlEEPS9_SG_NS0_5tupleIJPjSI_NS0_16reverse_iteratorISI_EEEEENSH_IJSG_SG_SG_EEES9_SI_JZNS1_25segmented_radix_sort_implINS0_14default_configELb1EPKfPfPKlPlN2at6native12_GLOBAL__N_18offset_tEEE10hipError_tPvRmT1_PNSt15iterator_traitsIS12_E10value_typeET2_T3_PNS13_IS18_E10value_typeET4_jRbjT5_S1E_jjP12ihipStream_tbEUljE_ZNSN_ISO_Lb1ESQ_SR_ST_SU_SY_EESZ_S10_S11_S12_S16_S17_S18_S1B_S1C_jS1D_jS1E_S1E_jjS1G_bEUljE0_EEESZ_S10_S11_S18_S1C_S1E_T6_T7_T9_mT8_S1G_bDpT10_ENKUlT_T0_E_clISt17integral_constantIbLb1EES1U_EEDaS1P_S1Q_EUlS1P_E_NS1_11comp_targetILNS1_3genE8ELNS1_11target_archE1030ELNS1_3gpuE2ELNS1_3repE0EEENS1_30default_config_static_selectorELNS0_4arch9wavefront6targetE0EEEvS12_.kd
    .uniform_work_group_size: 1
    .uses_dynamic_stack: false
    .vgpr_count:     0
    .vgpr_spill_count: 0
    .wavefront_size: 32
    .workgroup_processor_mode: 1
  - .args:
      - .offset:         0
        .size:           176
        .value_kind:     by_value
    .group_segment_fixed_size: 0
    .kernarg_segment_align: 8
    .kernarg_segment_size: 176
    .language:       OpenCL C
    .language_version:
      - 2
      - 0
    .max_flat_workgroup_size: 256
    .name:           _ZN7rocprim17ROCPRIM_400000_NS6detail17trampoline_kernelINS0_13select_configILj256ELj13ELNS0_17block_load_methodE3ELS4_3ELS4_3ELNS0_20block_scan_algorithmE0ELj4294967295EEENS1_25partition_config_selectorILNS1_17partition_subalgoE4EjNS0_10empty_typeEbEEZZNS1_14partition_implILS8_4ELb0ES6_15HIP_vector_typeIjLj2EENS0_17counting_iteratorIjlEEPS9_SG_NS0_5tupleIJPjSI_NS0_16reverse_iteratorISI_EEEEENSH_IJSG_SG_SG_EEES9_SI_JZNS1_25segmented_radix_sort_implINS0_14default_configELb1EPKfPfPKlPlN2at6native12_GLOBAL__N_18offset_tEEE10hipError_tPvRmT1_PNSt15iterator_traitsIS12_E10value_typeET2_T3_PNS13_IS18_E10value_typeET4_jRbjT5_S1E_jjP12ihipStream_tbEUljE_ZNSN_ISO_Lb1ESQ_SR_ST_SU_SY_EESZ_S10_S11_S12_S16_S17_S18_S1B_S1C_jS1D_jS1E_S1E_jjS1G_bEUljE0_EEESZ_S10_S11_S18_S1C_S1E_T6_T7_T9_mT8_S1G_bDpT10_ENKUlT_T0_E_clISt17integral_constantIbLb1EES1T_IbLb0EEEEDaS1P_S1Q_EUlS1P_E_NS1_11comp_targetILNS1_3genE0ELNS1_11target_archE4294967295ELNS1_3gpuE0ELNS1_3repE0EEENS1_30default_config_static_selectorELNS0_4arch9wavefront6targetE0EEEvS12_
    .private_segment_fixed_size: 0
    .sgpr_count:     0
    .sgpr_spill_count: 0
    .symbol:         _ZN7rocprim17ROCPRIM_400000_NS6detail17trampoline_kernelINS0_13select_configILj256ELj13ELNS0_17block_load_methodE3ELS4_3ELS4_3ELNS0_20block_scan_algorithmE0ELj4294967295EEENS1_25partition_config_selectorILNS1_17partition_subalgoE4EjNS0_10empty_typeEbEEZZNS1_14partition_implILS8_4ELb0ES6_15HIP_vector_typeIjLj2EENS0_17counting_iteratorIjlEEPS9_SG_NS0_5tupleIJPjSI_NS0_16reverse_iteratorISI_EEEEENSH_IJSG_SG_SG_EEES9_SI_JZNS1_25segmented_radix_sort_implINS0_14default_configELb1EPKfPfPKlPlN2at6native12_GLOBAL__N_18offset_tEEE10hipError_tPvRmT1_PNSt15iterator_traitsIS12_E10value_typeET2_T3_PNS13_IS18_E10value_typeET4_jRbjT5_S1E_jjP12ihipStream_tbEUljE_ZNSN_ISO_Lb1ESQ_SR_ST_SU_SY_EESZ_S10_S11_S12_S16_S17_S18_S1B_S1C_jS1D_jS1E_S1E_jjS1G_bEUljE0_EEESZ_S10_S11_S18_S1C_S1E_T6_T7_T9_mT8_S1G_bDpT10_ENKUlT_T0_E_clISt17integral_constantIbLb1EES1T_IbLb0EEEEDaS1P_S1Q_EUlS1P_E_NS1_11comp_targetILNS1_3genE0ELNS1_11target_archE4294967295ELNS1_3gpuE0ELNS1_3repE0EEENS1_30default_config_static_selectorELNS0_4arch9wavefront6targetE0EEEvS12_.kd
    .uniform_work_group_size: 1
    .uses_dynamic_stack: false
    .vgpr_count:     0
    .vgpr_spill_count: 0
    .wavefront_size: 32
    .workgroup_processor_mode: 1
  - .args:
      - .offset:         0
        .size:           176
        .value_kind:     by_value
    .group_segment_fixed_size: 0
    .kernarg_segment_align: 8
    .kernarg_segment_size: 176
    .language:       OpenCL C
    .language_version:
      - 2
      - 0
    .max_flat_workgroup_size: 256
    .name:           _ZN7rocprim17ROCPRIM_400000_NS6detail17trampoline_kernelINS0_13select_configILj256ELj13ELNS0_17block_load_methodE3ELS4_3ELS4_3ELNS0_20block_scan_algorithmE0ELj4294967295EEENS1_25partition_config_selectorILNS1_17partition_subalgoE4EjNS0_10empty_typeEbEEZZNS1_14partition_implILS8_4ELb0ES6_15HIP_vector_typeIjLj2EENS0_17counting_iteratorIjlEEPS9_SG_NS0_5tupleIJPjSI_NS0_16reverse_iteratorISI_EEEEENSH_IJSG_SG_SG_EEES9_SI_JZNS1_25segmented_radix_sort_implINS0_14default_configELb1EPKfPfPKlPlN2at6native12_GLOBAL__N_18offset_tEEE10hipError_tPvRmT1_PNSt15iterator_traitsIS12_E10value_typeET2_T3_PNS13_IS18_E10value_typeET4_jRbjT5_S1E_jjP12ihipStream_tbEUljE_ZNSN_ISO_Lb1ESQ_SR_ST_SU_SY_EESZ_S10_S11_S12_S16_S17_S18_S1B_S1C_jS1D_jS1E_S1E_jjS1G_bEUljE0_EEESZ_S10_S11_S18_S1C_S1E_T6_T7_T9_mT8_S1G_bDpT10_ENKUlT_T0_E_clISt17integral_constantIbLb1EES1T_IbLb0EEEEDaS1P_S1Q_EUlS1P_E_NS1_11comp_targetILNS1_3genE5ELNS1_11target_archE942ELNS1_3gpuE9ELNS1_3repE0EEENS1_30default_config_static_selectorELNS0_4arch9wavefront6targetE0EEEvS12_
    .private_segment_fixed_size: 0
    .sgpr_count:     0
    .sgpr_spill_count: 0
    .symbol:         _ZN7rocprim17ROCPRIM_400000_NS6detail17trampoline_kernelINS0_13select_configILj256ELj13ELNS0_17block_load_methodE3ELS4_3ELS4_3ELNS0_20block_scan_algorithmE0ELj4294967295EEENS1_25partition_config_selectorILNS1_17partition_subalgoE4EjNS0_10empty_typeEbEEZZNS1_14partition_implILS8_4ELb0ES6_15HIP_vector_typeIjLj2EENS0_17counting_iteratorIjlEEPS9_SG_NS0_5tupleIJPjSI_NS0_16reverse_iteratorISI_EEEEENSH_IJSG_SG_SG_EEES9_SI_JZNS1_25segmented_radix_sort_implINS0_14default_configELb1EPKfPfPKlPlN2at6native12_GLOBAL__N_18offset_tEEE10hipError_tPvRmT1_PNSt15iterator_traitsIS12_E10value_typeET2_T3_PNS13_IS18_E10value_typeET4_jRbjT5_S1E_jjP12ihipStream_tbEUljE_ZNSN_ISO_Lb1ESQ_SR_ST_SU_SY_EESZ_S10_S11_S12_S16_S17_S18_S1B_S1C_jS1D_jS1E_S1E_jjS1G_bEUljE0_EEESZ_S10_S11_S18_S1C_S1E_T6_T7_T9_mT8_S1G_bDpT10_ENKUlT_T0_E_clISt17integral_constantIbLb1EES1T_IbLb0EEEEDaS1P_S1Q_EUlS1P_E_NS1_11comp_targetILNS1_3genE5ELNS1_11target_archE942ELNS1_3gpuE9ELNS1_3repE0EEENS1_30default_config_static_selectorELNS0_4arch9wavefront6targetE0EEEvS12_.kd
    .uniform_work_group_size: 1
    .uses_dynamic_stack: false
    .vgpr_count:     0
    .vgpr_spill_count: 0
    .wavefront_size: 32
    .workgroup_processor_mode: 1
  - .args:
      - .offset:         0
        .size:           176
        .value_kind:     by_value
    .group_segment_fixed_size: 0
    .kernarg_segment_align: 8
    .kernarg_segment_size: 176
    .language:       OpenCL C
    .language_version:
      - 2
      - 0
    .max_flat_workgroup_size: 256
    .name:           _ZN7rocprim17ROCPRIM_400000_NS6detail17trampoline_kernelINS0_13select_configILj256ELj13ELNS0_17block_load_methodE3ELS4_3ELS4_3ELNS0_20block_scan_algorithmE0ELj4294967295EEENS1_25partition_config_selectorILNS1_17partition_subalgoE4EjNS0_10empty_typeEbEEZZNS1_14partition_implILS8_4ELb0ES6_15HIP_vector_typeIjLj2EENS0_17counting_iteratorIjlEEPS9_SG_NS0_5tupleIJPjSI_NS0_16reverse_iteratorISI_EEEEENSH_IJSG_SG_SG_EEES9_SI_JZNS1_25segmented_radix_sort_implINS0_14default_configELb1EPKfPfPKlPlN2at6native12_GLOBAL__N_18offset_tEEE10hipError_tPvRmT1_PNSt15iterator_traitsIS12_E10value_typeET2_T3_PNS13_IS18_E10value_typeET4_jRbjT5_S1E_jjP12ihipStream_tbEUljE_ZNSN_ISO_Lb1ESQ_SR_ST_SU_SY_EESZ_S10_S11_S12_S16_S17_S18_S1B_S1C_jS1D_jS1E_S1E_jjS1G_bEUljE0_EEESZ_S10_S11_S18_S1C_S1E_T6_T7_T9_mT8_S1G_bDpT10_ENKUlT_T0_E_clISt17integral_constantIbLb1EES1T_IbLb0EEEEDaS1P_S1Q_EUlS1P_E_NS1_11comp_targetILNS1_3genE4ELNS1_11target_archE910ELNS1_3gpuE8ELNS1_3repE0EEENS1_30default_config_static_selectorELNS0_4arch9wavefront6targetE0EEEvS12_
    .private_segment_fixed_size: 0
    .sgpr_count:     0
    .sgpr_spill_count: 0
    .symbol:         _ZN7rocprim17ROCPRIM_400000_NS6detail17trampoline_kernelINS0_13select_configILj256ELj13ELNS0_17block_load_methodE3ELS4_3ELS4_3ELNS0_20block_scan_algorithmE0ELj4294967295EEENS1_25partition_config_selectorILNS1_17partition_subalgoE4EjNS0_10empty_typeEbEEZZNS1_14partition_implILS8_4ELb0ES6_15HIP_vector_typeIjLj2EENS0_17counting_iteratorIjlEEPS9_SG_NS0_5tupleIJPjSI_NS0_16reverse_iteratorISI_EEEEENSH_IJSG_SG_SG_EEES9_SI_JZNS1_25segmented_radix_sort_implINS0_14default_configELb1EPKfPfPKlPlN2at6native12_GLOBAL__N_18offset_tEEE10hipError_tPvRmT1_PNSt15iterator_traitsIS12_E10value_typeET2_T3_PNS13_IS18_E10value_typeET4_jRbjT5_S1E_jjP12ihipStream_tbEUljE_ZNSN_ISO_Lb1ESQ_SR_ST_SU_SY_EESZ_S10_S11_S12_S16_S17_S18_S1B_S1C_jS1D_jS1E_S1E_jjS1G_bEUljE0_EEESZ_S10_S11_S18_S1C_S1E_T6_T7_T9_mT8_S1G_bDpT10_ENKUlT_T0_E_clISt17integral_constantIbLb1EES1T_IbLb0EEEEDaS1P_S1Q_EUlS1P_E_NS1_11comp_targetILNS1_3genE4ELNS1_11target_archE910ELNS1_3gpuE8ELNS1_3repE0EEENS1_30default_config_static_selectorELNS0_4arch9wavefront6targetE0EEEvS12_.kd
    .uniform_work_group_size: 1
    .uses_dynamic_stack: false
    .vgpr_count:     0
    .vgpr_spill_count: 0
    .wavefront_size: 32
    .workgroup_processor_mode: 1
  - .args:
      - .offset:         0
        .size:           176
        .value_kind:     by_value
    .group_segment_fixed_size: 0
    .kernarg_segment_align: 8
    .kernarg_segment_size: 176
    .language:       OpenCL C
    .language_version:
      - 2
      - 0
    .max_flat_workgroup_size: 256
    .name:           _ZN7rocprim17ROCPRIM_400000_NS6detail17trampoline_kernelINS0_13select_configILj256ELj13ELNS0_17block_load_methodE3ELS4_3ELS4_3ELNS0_20block_scan_algorithmE0ELj4294967295EEENS1_25partition_config_selectorILNS1_17partition_subalgoE4EjNS0_10empty_typeEbEEZZNS1_14partition_implILS8_4ELb0ES6_15HIP_vector_typeIjLj2EENS0_17counting_iteratorIjlEEPS9_SG_NS0_5tupleIJPjSI_NS0_16reverse_iteratorISI_EEEEENSH_IJSG_SG_SG_EEES9_SI_JZNS1_25segmented_radix_sort_implINS0_14default_configELb1EPKfPfPKlPlN2at6native12_GLOBAL__N_18offset_tEEE10hipError_tPvRmT1_PNSt15iterator_traitsIS12_E10value_typeET2_T3_PNS13_IS18_E10value_typeET4_jRbjT5_S1E_jjP12ihipStream_tbEUljE_ZNSN_ISO_Lb1ESQ_SR_ST_SU_SY_EESZ_S10_S11_S12_S16_S17_S18_S1B_S1C_jS1D_jS1E_S1E_jjS1G_bEUljE0_EEESZ_S10_S11_S18_S1C_S1E_T6_T7_T9_mT8_S1G_bDpT10_ENKUlT_T0_E_clISt17integral_constantIbLb1EES1T_IbLb0EEEEDaS1P_S1Q_EUlS1P_E_NS1_11comp_targetILNS1_3genE3ELNS1_11target_archE908ELNS1_3gpuE7ELNS1_3repE0EEENS1_30default_config_static_selectorELNS0_4arch9wavefront6targetE0EEEvS12_
    .private_segment_fixed_size: 0
    .sgpr_count:     0
    .sgpr_spill_count: 0
    .symbol:         _ZN7rocprim17ROCPRIM_400000_NS6detail17trampoline_kernelINS0_13select_configILj256ELj13ELNS0_17block_load_methodE3ELS4_3ELS4_3ELNS0_20block_scan_algorithmE0ELj4294967295EEENS1_25partition_config_selectorILNS1_17partition_subalgoE4EjNS0_10empty_typeEbEEZZNS1_14partition_implILS8_4ELb0ES6_15HIP_vector_typeIjLj2EENS0_17counting_iteratorIjlEEPS9_SG_NS0_5tupleIJPjSI_NS0_16reverse_iteratorISI_EEEEENSH_IJSG_SG_SG_EEES9_SI_JZNS1_25segmented_radix_sort_implINS0_14default_configELb1EPKfPfPKlPlN2at6native12_GLOBAL__N_18offset_tEEE10hipError_tPvRmT1_PNSt15iterator_traitsIS12_E10value_typeET2_T3_PNS13_IS18_E10value_typeET4_jRbjT5_S1E_jjP12ihipStream_tbEUljE_ZNSN_ISO_Lb1ESQ_SR_ST_SU_SY_EESZ_S10_S11_S12_S16_S17_S18_S1B_S1C_jS1D_jS1E_S1E_jjS1G_bEUljE0_EEESZ_S10_S11_S18_S1C_S1E_T6_T7_T9_mT8_S1G_bDpT10_ENKUlT_T0_E_clISt17integral_constantIbLb1EES1T_IbLb0EEEEDaS1P_S1Q_EUlS1P_E_NS1_11comp_targetILNS1_3genE3ELNS1_11target_archE908ELNS1_3gpuE7ELNS1_3repE0EEENS1_30default_config_static_selectorELNS0_4arch9wavefront6targetE0EEEvS12_.kd
    .uniform_work_group_size: 1
    .uses_dynamic_stack: false
    .vgpr_count:     0
    .vgpr_spill_count: 0
    .wavefront_size: 32
    .workgroup_processor_mode: 1
  - .args:
      - .offset:         0
        .size:           176
        .value_kind:     by_value
    .group_segment_fixed_size: 0
    .kernarg_segment_align: 8
    .kernarg_segment_size: 176
    .language:       OpenCL C
    .language_version:
      - 2
      - 0
    .max_flat_workgroup_size: 256
    .name:           _ZN7rocprim17ROCPRIM_400000_NS6detail17trampoline_kernelINS0_13select_configILj256ELj13ELNS0_17block_load_methodE3ELS4_3ELS4_3ELNS0_20block_scan_algorithmE0ELj4294967295EEENS1_25partition_config_selectorILNS1_17partition_subalgoE4EjNS0_10empty_typeEbEEZZNS1_14partition_implILS8_4ELb0ES6_15HIP_vector_typeIjLj2EENS0_17counting_iteratorIjlEEPS9_SG_NS0_5tupleIJPjSI_NS0_16reverse_iteratorISI_EEEEENSH_IJSG_SG_SG_EEES9_SI_JZNS1_25segmented_radix_sort_implINS0_14default_configELb1EPKfPfPKlPlN2at6native12_GLOBAL__N_18offset_tEEE10hipError_tPvRmT1_PNSt15iterator_traitsIS12_E10value_typeET2_T3_PNS13_IS18_E10value_typeET4_jRbjT5_S1E_jjP12ihipStream_tbEUljE_ZNSN_ISO_Lb1ESQ_SR_ST_SU_SY_EESZ_S10_S11_S12_S16_S17_S18_S1B_S1C_jS1D_jS1E_S1E_jjS1G_bEUljE0_EEESZ_S10_S11_S18_S1C_S1E_T6_T7_T9_mT8_S1G_bDpT10_ENKUlT_T0_E_clISt17integral_constantIbLb1EES1T_IbLb0EEEEDaS1P_S1Q_EUlS1P_E_NS1_11comp_targetILNS1_3genE2ELNS1_11target_archE906ELNS1_3gpuE6ELNS1_3repE0EEENS1_30default_config_static_selectorELNS0_4arch9wavefront6targetE0EEEvS12_
    .private_segment_fixed_size: 0
    .sgpr_count:     0
    .sgpr_spill_count: 0
    .symbol:         _ZN7rocprim17ROCPRIM_400000_NS6detail17trampoline_kernelINS0_13select_configILj256ELj13ELNS0_17block_load_methodE3ELS4_3ELS4_3ELNS0_20block_scan_algorithmE0ELj4294967295EEENS1_25partition_config_selectorILNS1_17partition_subalgoE4EjNS0_10empty_typeEbEEZZNS1_14partition_implILS8_4ELb0ES6_15HIP_vector_typeIjLj2EENS0_17counting_iteratorIjlEEPS9_SG_NS0_5tupleIJPjSI_NS0_16reverse_iteratorISI_EEEEENSH_IJSG_SG_SG_EEES9_SI_JZNS1_25segmented_radix_sort_implINS0_14default_configELb1EPKfPfPKlPlN2at6native12_GLOBAL__N_18offset_tEEE10hipError_tPvRmT1_PNSt15iterator_traitsIS12_E10value_typeET2_T3_PNS13_IS18_E10value_typeET4_jRbjT5_S1E_jjP12ihipStream_tbEUljE_ZNSN_ISO_Lb1ESQ_SR_ST_SU_SY_EESZ_S10_S11_S12_S16_S17_S18_S1B_S1C_jS1D_jS1E_S1E_jjS1G_bEUljE0_EEESZ_S10_S11_S18_S1C_S1E_T6_T7_T9_mT8_S1G_bDpT10_ENKUlT_T0_E_clISt17integral_constantIbLb1EES1T_IbLb0EEEEDaS1P_S1Q_EUlS1P_E_NS1_11comp_targetILNS1_3genE2ELNS1_11target_archE906ELNS1_3gpuE6ELNS1_3repE0EEENS1_30default_config_static_selectorELNS0_4arch9wavefront6targetE0EEEvS12_.kd
    .uniform_work_group_size: 1
    .uses_dynamic_stack: false
    .vgpr_count:     0
    .vgpr_spill_count: 0
    .wavefront_size: 32
    .workgroup_processor_mode: 1
  - .args:
      - .offset:         0
        .size:           176
        .value_kind:     by_value
    .group_segment_fixed_size: 0
    .kernarg_segment_align: 8
    .kernarg_segment_size: 176
    .language:       OpenCL C
    .language_version:
      - 2
      - 0
    .max_flat_workgroup_size: 256
    .name:           _ZN7rocprim17ROCPRIM_400000_NS6detail17trampoline_kernelINS0_13select_configILj256ELj13ELNS0_17block_load_methodE3ELS4_3ELS4_3ELNS0_20block_scan_algorithmE0ELj4294967295EEENS1_25partition_config_selectorILNS1_17partition_subalgoE4EjNS0_10empty_typeEbEEZZNS1_14partition_implILS8_4ELb0ES6_15HIP_vector_typeIjLj2EENS0_17counting_iteratorIjlEEPS9_SG_NS0_5tupleIJPjSI_NS0_16reverse_iteratorISI_EEEEENSH_IJSG_SG_SG_EEES9_SI_JZNS1_25segmented_radix_sort_implINS0_14default_configELb1EPKfPfPKlPlN2at6native12_GLOBAL__N_18offset_tEEE10hipError_tPvRmT1_PNSt15iterator_traitsIS12_E10value_typeET2_T3_PNS13_IS18_E10value_typeET4_jRbjT5_S1E_jjP12ihipStream_tbEUljE_ZNSN_ISO_Lb1ESQ_SR_ST_SU_SY_EESZ_S10_S11_S12_S16_S17_S18_S1B_S1C_jS1D_jS1E_S1E_jjS1G_bEUljE0_EEESZ_S10_S11_S18_S1C_S1E_T6_T7_T9_mT8_S1G_bDpT10_ENKUlT_T0_E_clISt17integral_constantIbLb1EES1T_IbLb0EEEEDaS1P_S1Q_EUlS1P_E_NS1_11comp_targetILNS1_3genE10ELNS1_11target_archE1200ELNS1_3gpuE4ELNS1_3repE0EEENS1_30default_config_static_selectorELNS0_4arch9wavefront6targetE0EEEvS12_
    .private_segment_fixed_size: 0
    .sgpr_count:     0
    .sgpr_spill_count: 0
    .symbol:         _ZN7rocprim17ROCPRIM_400000_NS6detail17trampoline_kernelINS0_13select_configILj256ELj13ELNS0_17block_load_methodE3ELS4_3ELS4_3ELNS0_20block_scan_algorithmE0ELj4294967295EEENS1_25partition_config_selectorILNS1_17partition_subalgoE4EjNS0_10empty_typeEbEEZZNS1_14partition_implILS8_4ELb0ES6_15HIP_vector_typeIjLj2EENS0_17counting_iteratorIjlEEPS9_SG_NS0_5tupleIJPjSI_NS0_16reverse_iteratorISI_EEEEENSH_IJSG_SG_SG_EEES9_SI_JZNS1_25segmented_radix_sort_implINS0_14default_configELb1EPKfPfPKlPlN2at6native12_GLOBAL__N_18offset_tEEE10hipError_tPvRmT1_PNSt15iterator_traitsIS12_E10value_typeET2_T3_PNS13_IS18_E10value_typeET4_jRbjT5_S1E_jjP12ihipStream_tbEUljE_ZNSN_ISO_Lb1ESQ_SR_ST_SU_SY_EESZ_S10_S11_S12_S16_S17_S18_S1B_S1C_jS1D_jS1E_S1E_jjS1G_bEUljE0_EEESZ_S10_S11_S18_S1C_S1E_T6_T7_T9_mT8_S1G_bDpT10_ENKUlT_T0_E_clISt17integral_constantIbLb1EES1T_IbLb0EEEEDaS1P_S1Q_EUlS1P_E_NS1_11comp_targetILNS1_3genE10ELNS1_11target_archE1200ELNS1_3gpuE4ELNS1_3repE0EEENS1_30default_config_static_selectorELNS0_4arch9wavefront6targetE0EEEvS12_.kd
    .uniform_work_group_size: 1
    .uses_dynamic_stack: false
    .vgpr_count:     0
    .vgpr_spill_count: 0
    .wavefront_size: 32
    .workgroup_processor_mode: 1
  - .args:
      - .offset:         0
        .size:           176
        .value_kind:     by_value
    .group_segment_fixed_size: 0
    .kernarg_segment_align: 8
    .kernarg_segment_size: 176
    .language:       OpenCL C
    .language_version:
      - 2
      - 0
    .max_flat_workgroup_size: 256
    .name:           _ZN7rocprim17ROCPRIM_400000_NS6detail17trampoline_kernelINS0_13select_configILj256ELj13ELNS0_17block_load_methodE3ELS4_3ELS4_3ELNS0_20block_scan_algorithmE0ELj4294967295EEENS1_25partition_config_selectorILNS1_17partition_subalgoE4EjNS0_10empty_typeEbEEZZNS1_14partition_implILS8_4ELb0ES6_15HIP_vector_typeIjLj2EENS0_17counting_iteratorIjlEEPS9_SG_NS0_5tupleIJPjSI_NS0_16reverse_iteratorISI_EEEEENSH_IJSG_SG_SG_EEES9_SI_JZNS1_25segmented_radix_sort_implINS0_14default_configELb1EPKfPfPKlPlN2at6native12_GLOBAL__N_18offset_tEEE10hipError_tPvRmT1_PNSt15iterator_traitsIS12_E10value_typeET2_T3_PNS13_IS18_E10value_typeET4_jRbjT5_S1E_jjP12ihipStream_tbEUljE_ZNSN_ISO_Lb1ESQ_SR_ST_SU_SY_EESZ_S10_S11_S12_S16_S17_S18_S1B_S1C_jS1D_jS1E_S1E_jjS1G_bEUljE0_EEESZ_S10_S11_S18_S1C_S1E_T6_T7_T9_mT8_S1G_bDpT10_ENKUlT_T0_E_clISt17integral_constantIbLb1EES1T_IbLb0EEEEDaS1P_S1Q_EUlS1P_E_NS1_11comp_targetILNS1_3genE9ELNS1_11target_archE1100ELNS1_3gpuE3ELNS1_3repE0EEENS1_30default_config_static_selectorELNS0_4arch9wavefront6targetE0EEEvS12_
    .private_segment_fixed_size: 0
    .sgpr_count:     0
    .sgpr_spill_count: 0
    .symbol:         _ZN7rocprim17ROCPRIM_400000_NS6detail17trampoline_kernelINS0_13select_configILj256ELj13ELNS0_17block_load_methodE3ELS4_3ELS4_3ELNS0_20block_scan_algorithmE0ELj4294967295EEENS1_25partition_config_selectorILNS1_17partition_subalgoE4EjNS0_10empty_typeEbEEZZNS1_14partition_implILS8_4ELb0ES6_15HIP_vector_typeIjLj2EENS0_17counting_iteratorIjlEEPS9_SG_NS0_5tupleIJPjSI_NS0_16reverse_iteratorISI_EEEEENSH_IJSG_SG_SG_EEES9_SI_JZNS1_25segmented_radix_sort_implINS0_14default_configELb1EPKfPfPKlPlN2at6native12_GLOBAL__N_18offset_tEEE10hipError_tPvRmT1_PNSt15iterator_traitsIS12_E10value_typeET2_T3_PNS13_IS18_E10value_typeET4_jRbjT5_S1E_jjP12ihipStream_tbEUljE_ZNSN_ISO_Lb1ESQ_SR_ST_SU_SY_EESZ_S10_S11_S12_S16_S17_S18_S1B_S1C_jS1D_jS1E_S1E_jjS1G_bEUljE0_EEESZ_S10_S11_S18_S1C_S1E_T6_T7_T9_mT8_S1G_bDpT10_ENKUlT_T0_E_clISt17integral_constantIbLb1EES1T_IbLb0EEEEDaS1P_S1Q_EUlS1P_E_NS1_11comp_targetILNS1_3genE9ELNS1_11target_archE1100ELNS1_3gpuE3ELNS1_3repE0EEENS1_30default_config_static_selectorELNS0_4arch9wavefront6targetE0EEEvS12_.kd
    .uniform_work_group_size: 1
    .uses_dynamic_stack: false
    .vgpr_count:     0
    .vgpr_spill_count: 0
    .wavefront_size: 32
    .workgroup_processor_mode: 1
  - .args:
      - .offset:         0
        .size:           176
        .value_kind:     by_value
    .group_segment_fixed_size: 0
    .kernarg_segment_align: 8
    .kernarg_segment_size: 176
    .language:       OpenCL C
    .language_version:
      - 2
      - 0
    .max_flat_workgroup_size: 256
    .name:           _ZN7rocprim17ROCPRIM_400000_NS6detail17trampoline_kernelINS0_13select_configILj256ELj13ELNS0_17block_load_methodE3ELS4_3ELS4_3ELNS0_20block_scan_algorithmE0ELj4294967295EEENS1_25partition_config_selectorILNS1_17partition_subalgoE4EjNS0_10empty_typeEbEEZZNS1_14partition_implILS8_4ELb0ES6_15HIP_vector_typeIjLj2EENS0_17counting_iteratorIjlEEPS9_SG_NS0_5tupleIJPjSI_NS0_16reverse_iteratorISI_EEEEENSH_IJSG_SG_SG_EEES9_SI_JZNS1_25segmented_radix_sort_implINS0_14default_configELb1EPKfPfPKlPlN2at6native12_GLOBAL__N_18offset_tEEE10hipError_tPvRmT1_PNSt15iterator_traitsIS12_E10value_typeET2_T3_PNS13_IS18_E10value_typeET4_jRbjT5_S1E_jjP12ihipStream_tbEUljE_ZNSN_ISO_Lb1ESQ_SR_ST_SU_SY_EESZ_S10_S11_S12_S16_S17_S18_S1B_S1C_jS1D_jS1E_S1E_jjS1G_bEUljE0_EEESZ_S10_S11_S18_S1C_S1E_T6_T7_T9_mT8_S1G_bDpT10_ENKUlT_T0_E_clISt17integral_constantIbLb1EES1T_IbLb0EEEEDaS1P_S1Q_EUlS1P_E_NS1_11comp_targetILNS1_3genE8ELNS1_11target_archE1030ELNS1_3gpuE2ELNS1_3repE0EEENS1_30default_config_static_selectorELNS0_4arch9wavefront6targetE0EEEvS12_
    .private_segment_fixed_size: 0
    .sgpr_count:     0
    .sgpr_spill_count: 0
    .symbol:         _ZN7rocprim17ROCPRIM_400000_NS6detail17trampoline_kernelINS0_13select_configILj256ELj13ELNS0_17block_load_methodE3ELS4_3ELS4_3ELNS0_20block_scan_algorithmE0ELj4294967295EEENS1_25partition_config_selectorILNS1_17partition_subalgoE4EjNS0_10empty_typeEbEEZZNS1_14partition_implILS8_4ELb0ES6_15HIP_vector_typeIjLj2EENS0_17counting_iteratorIjlEEPS9_SG_NS0_5tupleIJPjSI_NS0_16reverse_iteratorISI_EEEEENSH_IJSG_SG_SG_EEES9_SI_JZNS1_25segmented_radix_sort_implINS0_14default_configELb1EPKfPfPKlPlN2at6native12_GLOBAL__N_18offset_tEEE10hipError_tPvRmT1_PNSt15iterator_traitsIS12_E10value_typeET2_T3_PNS13_IS18_E10value_typeET4_jRbjT5_S1E_jjP12ihipStream_tbEUljE_ZNSN_ISO_Lb1ESQ_SR_ST_SU_SY_EESZ_S10_S11_S12_S16_S17_S18_S1B_S1C_jS1D_jS1E_S1E_jjS1G_bEUljE0_EEESZ_S10_S11_S18_S1C_S1E_T6_T7_T9_mT8_S1G_bDpT10_ENKUlT_T0_E_clISt17integral_constantIbLb1EES1T_IbLb0EEEEDaS1P_S1Q_EUlS1P_E_NS1_11comp_targetILNS1_3genE8ELNS1_11target_archE1030ELNS1_3gpuE2ELNS1_3repE0EEENS1_30default_config_static_selectorELNS0_4arch9wavefront6targetE0EEEvS12_.kd
    .uniform_work_group_size: 1
    .uses_dynamic_stack: false
    .vgpr_count:     0
    .vgpr_spill_count: 0
    .wavefront_size: 32
    .workgroup_processor_mode: 1
  - .args:
      - .offset:         0
        .size:           184
        .value_kind:     by_value
    .group_segment_fixed_size: 0
    .kernarg_segment_align: 8
    .kernarg_segment_size: 184
    .language:       OpenCL C
    .language_version:
      - 2
      - 0
    .max_flat_workgroup_size: 256
    .name:           _ZN7rocprim17ROCPRIM_400000_NS6detail17trampoline_kernelINS0_13select_configILj256ELj13ELNS0_17block_load_methodE3ELS4_3ELS4_3ELNS0_20block_scan_algorithmE0ELj4294967295EEENS1_25partition_config_selectorILNS1_17partition_subalgoE4EjNS0_10empty_typeEbEEZZNS1_14partition_implILS8_4ELb0ES6_15HIP_vector_typeIjLj2EENS0_17counting_iteratorIjlEEPS9_SG_NS0_5tupleIJPjSI_NS0_16reverse_iteratorISI_EEEEENSH_IJSG_SG_SG_EEES9_SI_JZNS1_25segmented_radix_sort_implINS0_14default_configELb1EPKfPfPKlPlN2at6native12_GLOBAL__N_18offset_tEEE10hipError_tPvRmT1_PNSt15iterator_traitsIS12_E10value_typeET2_T3_PNS13_IS18_E10value_typeET4_jRbjT5_S1E_jjP12ihipStream_tbEUljE_ZNSN_ISO_Lb1ESQ_SR_ST_SU_SY_EESZ_S10_S11_S12_S16_S17_S18_S1B_S1C_jS1D_jS1E_S1E_jjS1G_bEUljE0_EEESZ_S10_S11_S18_S1C_S1E_T6_T7_T9_mT8_S1G_bDpT10_ENKUlT_T0_E_clISt17integral_constantIbLb0EES1T_IbLb1EEEEDaS1P_S1Q_EUlS1P_E_NS1_11comp_targetILNS1_3genE0ELNS1_11target_archE4294967295ELNS1_3gpuE0ELNS1_3repE0EEENS1_30default_config_static_selectorELNS0_4arch9wavefront6targetE0EEEvS12_
    .private_segment_fixed_size: 0
    .sgpr_count:     0
    .sgpr_spill_count: 0
    .symbol:         _ZN7rocprim17ROCPRIM_400000_NS6detail17trampoline_kernelINS0_13select_configILj256ELj13ELNS0_17block_load_methodE3ELS4_3ELS4_3ELNS0_20block_scan_algorithmE0ELj4294967295EEENS1_25partition_config_selectorILNS1_17partition_subalgoE4EjNS0_10empty_typeEbEEZZNS1_14partition_implILS8_4ELb0ES6_15HIP_vector_typeIjLj2EENS0_17counting_iteratorIjlEEPS9_SG_NS0_5tupleIJPjSI_NS0_16reverse_iteratorISI_EEEEENSH_IJSG_SG_SG_EEES9_SI_JZNS1_25segmented_radix_sort_implINS0_14default_configELb1EPKfPfPKlPlN2at6native12_GLOBAL__N_18offset_tEEE10hipError_tPvRmT1_PNSt15iterator_traitsIS12_E10value_typeET2_T3_PNS13_IS18_E10value_typeET4_jRbjT5_S1E_jjP12ihipStream_tbEUljE_ZNSN_ISO_Lb1ESQ_SR_ST_SU_SY_EESZ_S10_S11_S12_S16_S17_S18_S1B_S1C_jS1D_jS1E_S1E_jjS1G_bEUljE0_EEESZ_S10_S11_S18_S1C_S1E_T6_T7_T9_mT8_S1G_bDpT10_ENKUlT_T0_E_clISt17integral_constantIbLb0EES1T_IbLb1EEEEDaS1P_S1Q_EUlS1P_E_NS1_11comp_targetILNS1_3genE0ELNS1_11target_archE4294967295ELNS1_3gpuE0ELNS1_3repE0EEENS1_30default_config_static_selectorELNS0_4arch9wavefront6targetE0EEEvS12_.kd
    .uniform_work_group_size: 1
    .uses_dynamic_stack: false
    .vgpr_count:     0
    .vgpr_spill_count: 0
    .wavefront_size: 32
    .workgroup_processor_mode: 1
  - .args:
      - .offset:         0
        .size:           184
        .value_kind:     by_value
    .group_segment_fixed_size: 0
    .kernarg_segment_align: 8
    .kernarg_segment_size: 184
    .language:       OpenCL C
    .language_version:
      - 2
      - 0
    .max_flat_workgroup_size: 256
    .name:           _ZN7rocprim17ROCPRIM_400000_NS6detail17trampoline_kernelINS0_13select_configILj256ELj13ELNS0_17block_load_methodE3ELS4_3ELS4_3ELNS0_20block_scan_algorithmE0ELj4294967295EEENS1_25partition_config_selectorILNS1_17partition_subalgoE4EjNS0_10empty_typeEbEEZZNS1_14partition_implILS8_4ELb0ES6_15HIP_vector_typeIjLj2EENS0_17counting_iteratorIjlEEPS9_SG_NS0_5tupleIJPjSI_NS0_16reverse_iteratorISI_EEEEENSH_IJSG_SG_SG_EEES9_SI_JZNS1_25segmented_radix_sort_implINS0_14default_configELb1EPKfPfPKlPlN2at6native12_GLOBAL__N_18offset_tEEE10hipError_tPvRmT1_PNSt15iterator_traitsIS12_E10value_typeET2_T3_PNS13_IS18_E10value_typeET4_jRbjT5_S1E_jjP12ihipStream_tbEUljE_ZNSN_ISO_Lb1ESQ_SR_ST_SU_SY_EESZ_S10_S11_S12_S16_S17_S18_S1B_S1C_jS1D_jS1E_S1E_jjS1G_bEUljE0_EEESZ_S10_S11_S18_S1C_S1E_T6_T7_T9_mT8_S1G_bDpT10_ENKUlT_T0_E_clISt17integral_constantIbLb0EES1T_IbLb1EEEEDaS1P_S1Q_EUlS1P_E_NS1_11comp_targetILNS1_3genE5ELNS1_11target_archE942ELNS1_3gpuE9ELNS1_3repE0EEENS1_30default_config_static_selectorELNS0_4arch9wavefront6targetE0EEEvS12_
    .private_segment_fixed_size: 0
    .sgpr_count:     0
    .sgpr_spill_count: 0
    .symbol:         _ZN7rocprim17ROCPRIM_400000_NS6detail17trampoline_kernelINS0_13select_configILj256ELj13ELNS0_17block_load_methodE3ELS4_3ELS4_3ELNS0_20block_scan_algorithmE0ELj4294967295EEENS1_25partition_config_selectorILNS1_17partition_subalgoE4EjNS0_10empty_typeEbEEZZNS1_14partition_implILS8_4ELb0ES6_15HIP_vector_typeIjLj2EENS0_17counting_iteratorIjlEEPS9_SG_NS0_5tupleIJPjSI_NS0_16reverse_iteratorISI_EEEEENSH_IJSG_SG_SG_EEES9_SI_JZNS1_25segmented_radix_sort_implINS0_14default_configELb1EPKfPfPKlPlN2at6native12_GLOBAL__N_18offset_tEEE10hipError_tPvRmT1_PNSt15iterator_traitsIS12_E10value_typeET2_T3_PNS13_IS18_E10value_typeET4_jRbjT5_S1E_jjP12ihipStream_tbEUljE_ZNSN_ISO_Lb1ESQ_SR_ST_SU_SY_EESZ_S10_S11_S12_S16_S17_S18_S1B_S1C_jS1D_jS1E_S1E_jjS1G_bEUljE0_EEESZ_S10_S11_S18_S1C_S1E_T6_T7_T9_mT8_S1G_bDpT10_ENKUlT_T0_E_clISt17integral_constantIbLb0EES1T_IbLb1EEEEDaS1P_S1Q_EUlS1P_E_NS1_11comp_targetILNS1_3genE5ELNS1_11target_archE942ELNS1_3gpuE9ELNS1_3repE0EEENS1_30default_config_static_selectorELNS0_4arch9wavefront6targetE0EEEvS12_.kd
    .uniform_work_group_size: 1
    .uses_dynamic_stack: false
    .vgpr_count:     0
    .vgpr_spill_count: 0
    .wavefront_size: 32
    .workgroup_processor_mode: 1
  - .args:
      - .offset:         0
        .size:           184
        .value_kind:     by_value
    .group_segment_fixed_size: 0
    .kernarg_segment_align: 8
    .kernarg_segment_size: 184
    .language:       OpenCL C
    .language_version:
      - 2
      - 0
    .max_flat_workgroup_size: 256
    .name:           _ZN7rocprim17ROCPRIM_400000_NS6detail17trampoline_kernelINS0_13select_configILj256ELj13ELNS0_17block_load_methodE3ELS4_3ELS4_3ELNS0_20block_scan_algorithmE0ELj4294967295EEENS1_25partition_config_selectorILNS1_17partition_subalgoE4EjNS0_10empty_typeEbEEZZNS1_14partition_implILS8_4ELb0ES6_15HIP_vector_typeIjLj2EENS0_17counting_iteratorIjlEEPS9_SG_NS0_5tupleIJPjSI_NS0_16reverse_iteratorISI_EEEEENSH_IJSG_SG_SG_EEES9_SI_JZNS1_25segmented_radix_sort_implINS0_14default_configELb1EPKfPfPKlPlN2at6native12_GLOBAL__N_18offset_tEEE10hipError_tPvRmT1_PNSt15iterator_traitsIS12_E10value_typeET2_T3_PNS13_IS18_E10value_typeET4_jRbjT5_S1E_jjP12ihipStream_tbEUljE_ZNSN_ISO_Lb1ESQ_SR_ST_SU_SY_EESZ_S10_S11_S12_S16_S17_S18_S1B_S1C_jS1D_jS1E_S1E_jjS1G_bEUljE0_EEESZ_S10_S11_S18_S1C_S1E_T6_T7_T9_mT8_S1G_bDpT10_ENKUlT_T0_E_clISt17integral_constantIbLb0EES1T_IbLb1EEEEDaS1P_S1Q_EUlS1P_E_NS1_11comp_targetILNS1_3genE4ELNS1_11target_archE910ELNS1_3gpuE8ELNS1_3repE0EEENS1_30default_config_static_selectorELNS0_4arch9wavefront6targetE0EEEvS12_
    .private_segment_fixed_size: 0
    .sgpr_count:     0
    .sgpr_spill_count: 0
    .symbol:         _ZN7rocprim17ROCPRIM_400000_NS6detail17trampoline_kernelINS0_13select_configILj256ELj13ELNS0_17block_load_methodE3ELS4_3ELS4_3ELNS0_20block_scan_algorithmE0ELj4294967295EEENS1_25partition_config_selectorILNS1_17partition_subalgoE4EjNS0_10empty_typeEbEEZZNS1_14partition_implILS8_4ELb0ES6_15HIP_vector_typeIjLj2EENS0_17counting_iteratorIjlEEPS9_SG_NS0_5tupleIJPjSI_NS0_16reverse_iteratorISI_EEEEENSH_IJSG_SG_SG_EEES9_SI_JZNS1_25segmented_radix_sort_implINS0_14default_configELb1EPKfPfPKlPlN2at6native12_GLOBAL__N_18offset_tEEE10hipError_tPvRmT1_PNSt15iterator_traitsIS12_E10value_typeET2_T3_PNS13_IS18_E10value_typeET4_jRbjT5_S1E_jjP12ihipStream_tbEUljE_ZNSN_ISO_Lb1ESQ_SR_ST_SU_SY_EESZ_S10_S11_S12_S16_S17_S18_S1B_S1C_jS1D_jS1E_S1E_jjS1G_bEUljE0_EEESZ_S10_S11_S18_S1C_S1E_T6_T7_T9_mT8_S1G_bDpT10_ENKUlT_T0_E_clISt17integral_constantIbLb0EES1T_IbLb1EEEEDaS1P_S1Q_EUlS1P_E_NS1_11comp_targetILNS1_3genE4ELNS1_11target_archE910ELNS1_3gpuE8ELNS1_3repE0EEENS1_30default_config_static_selectorELNS0_4arch9wavefront6targetE0EEEvS12_.kd
    .uniform_work_group_size: 1
    .uses_dynamic_stack: false
    .vgpr_count:     0
    .vgpr_spill_count: 0
    .wavefront_size: 32
    .workgroup_processor_mode: 1
  - .args:
      - .offset:         0
        .size:           184
        .value_kind:     by_value
    .group_segment_fixed_size: 0
    .kernarg_segment_align: 8
    .kernarg_segment_size: 184
    .language:       OpenCL C
    .language_version:
      - 2
      - 0
    .max_flat_workgroup_size: 256
    .name:           _ZN7rocprim17ROCPRIM_400000_NS6detail17trampoline_kernelINS0_13select_configILj256ELj13ELNS0_17block_load_methodE3ELS4_3ELS4_3ELNS0_20block_scan_algorithmE0ELj4294967295EEENS1_25partition_config_selectorILNS1_17partition_subalgoE4EjNS0_10empty_typeEbEEZZNS1_14partition_implILS8_4ELb0ES6_15HIP_vector_typeIjLj2EENS0_17counting_iteratorIjlEEPS9_SG_NS0_5tupleIJPjSI_NS0_16reverse_iteratorISI_EEEEENSH_IJSG_SG_SG_EEES9_SI_JZNS1_25segmented_radix_sort_implINS0_14default_configELb1EPKfPfPKlPlN2at6native12_GLOBAL__N_18offset_tEEE10hipError_tPvRmT1_PNSt15iterator_traitsIS12_E10value_typeET2_T3_PNS13_IS18_E10value_typeET4_jRbjT5_S1E_jjP12ihipStream_tbEUljE_ZNSN_ISO_Lb1ESQ_SR_ST_SU_SY_EESZ_S10_S11_S12_S16_S17_S18_S1B_S1C_jS1D_jS1E_S1E_jjS1G_bEUljE0_EEESZ_S10_S11_S18_S1C_S1E_T6_T7_T9_mT8_S1G_bDpT10_ENKUlT_T0_E_clISt17integral_constantIbLb0EES1T_IbLb1EEEEDaS1P_S1Q_EUlS1P_E_NS1_11comp_targetILNS1_3genE3ELNS1_11target_archE908ELNS1_3gpuE7ELNS1_3repE0EEENS1_30default_config_static_selectorELNS0_4arch9wavefront6targetE0EEEvS12_
    .private_segment_fixed_size: 0
    .sgpr_count:     0
    .sgpr_spill_count: 0
    .symbol:         _ZN7rocprim17ROCPRIM_400000_NS6detail17trampoline_kernelINS0_13select_configILj256ELj13ELNS0_17block_load_methodE3ELS4_3ELS4_3ELNS0_20block_scan_algorithmE0ELj4294967295EEENS1_25partition_config_selectorILNS1_17partition_subalgoE4EjNS0_10empty_typeEbEEZZNS1_14partition_implILS8_4ELb0ES6_15HIP_vector_typeIjLj2EENS0_17counting_iteratorIjlEEPS9_SG_NS0_5tupleIJPjSI_NS0_16reverse_iteratorISI_EEEEENSH_IJSG_SG_SG_EEES9_SI_JZNS1_25segmented_radix_sort_implINS0_14default_configELb1EPKfPfPKlPlN2at6native12_GLOBAL__N_18offset_tEEE10hipError_tPvRmT1_PNSt15iterator_traitsIS12_E10value_typeET2_T3_PNS13_IS18_E10value_typeET4_jRbjT5_S1E_jjP12ihipStream_tbEUljE_ZNSN_ISO_Lb1ESQ_SR_ST_SU_SY_EESZ_S10_S11_S12_S16_S17_S18_S1B_S1C_jS1D_jS1E_S1E_jjS1G_bEUljE0_EEESZ_S10_S11_S18_S1C_S1E_T6_T7_T9_mT8_S1G_bDpT10_ENKUlT_T0_E_clISt17integral_constantIbLb0EES1T_IbLb1EEEEDaS1P_S1Q_EUlS1P_E_NS1_11comp_targetILNS1_3genE3ELNS1_11target_archE908ELNS1_3gpuE7ELNS1_3repE0EEENS1_30default_config_static_selectorELNS0_4arch9wavefront6targetE0EEEvS12_.kd
    .uniform_work_group_size: 1
    .uses_dynamic_stack: false
    .vgpr_count:     0
    .vgpr_spill_count: 0
    .wavefront_size: 32
    .workgroup_processor_mode: 1
  - .args:
      - .offset:         0
        .size:           184
        .value_kind:     by_value
    .group_segment_fixed_size: 0
    .kernarg_segment_align: 8
    .kernarg_segment_size: 184
    .language:       OpenCL C
    .language_version:
      - 2
      - 0
    .max_flat_workgroup_size: 256
    .name:           _ZN7rocprim17ROCPRIM_400000_NS6detail17trampoline_kernelINS0_13select_configILj256ELj13ELNS0_17block_load_methodE3ELS4_3ELS4_3ELNS0_20block_scan_algorithmE0ELj4294967295EEENS1_25partition_config_selectorILNS1_17partition_subalgoE4EjNS0_10empty_typeEbEEZZNS1_14partition_implILS8_4ELb0ES6_15HIP_vector_typeIjLj2EENS0_17counting_iteratorIjlEEPS9_SG_NS0_5tupleIJPjSI_NS0_16reverse_iteratorISI_EEEEENSH_IJSG_SG_SG_EEES9_SI_JZNS1_25segmented_radix_sort_implINS0_14default_configELb1EPKfPfPKlPlN2at6native12_GLOBAL__N_18offset_tEEE10hipError_tPvRmT1_PNSt15iterator_traitsIS12_E10value_typeET2_T3_PNS13_IS18_E10value_typeET4_jRbjT5_S1E_jjP12ihipStream_tbEUljE_ZNSN_ISO_Lb1ESQ_SR_ST_SU_SY_EESZ_S10_S11_S12_S16_S17_S18_S1B_S1C_jS1D_jS1E_S1E_jjS1G_bEUljE0_EEESZ_S10_S11_S18_S1C_S1E_T6_T7_T9_mT8_S1G_bDpT10_ENKUlT_T0_E_clISt17integral_constantIbLb0EES1T_IbLb1EEEEDaS1P_S1Q_EUlS1P_E_NS1_11comp_targetILNS1_3genE2ELNS1_11target_archE906ELNS1_3gpuE6ELNS1_3repE0EEENS1_30default_config_static_selectorELNS0_4arch9wavefront6targetE0EEEvS12_
    .private_segment_fixed_size: 0
    .sgpr_count:     0
    .sgpr_spill_count: 0
    .symbol:         _ZN7rocprim17ROCPRIM_400000_NS6detail17trampoline_kernelINS0_13select_configILj256ELj13ELNS0_17block_load_methodE3ELS4_3ELS4_3ELNS0_20block_scan_algorithmE0ELj4294967295EEENS1_25partition_config_selectorILNS1_17partition_subalgoE4EjNS0_10empty_typeEbEEZZNS1_14partition_implILS8_4ELb0ES6_15HIP_vector_typeIjLj2EENS0_17counting_iteratorIjlEEPS9_SG_NS0_5tupleIJPjSI_NS0_16reverse_iteratorISI_EEEEENSH_IJSG_SG_SG_EEES9_SI_JZNS1_25segmented_radix_sort_implINS0_14default_configELb1EPKfPfPKlPlN2at6native12_GLOBAL__N_18offset_tEEE10hipError_tPvRmT1_PNSt15iterator_traitsIS12_E10value_typeET2_T3_PNS13_IS18_E10value_typeET4_jRbjT5_S1E_jjP12ihipStream_tbEUljE_ZNSN_ISO_Lb1ESQ_SR_ST_SU_SY_EESZ_S10_S11_S12_S16_S17_S18_S1B_S1C_jS1D_jS1E_S1E_jjS1G_bEUljE0_EEESZ_S10_S11_S18_S1C_S1E_T6_T7_T9_mT8_S1G_bDpT10_ENKUlT_T0_E_clISt17integral_constantIbLb0EES1T_IbLb1EEEEDaS1P_S1Q_EUlS1P_E_NS1_11comp_targetILNS1_3genE2ELNS1_11target_archE906ELNS1_3gpuE6ELNS1_3repE0EEENS1_30default_config_static_selectorELNS0_4arch9wavefront6targetE0EEEvS12_.kd
    .uniform_work_group_size: 1
    .uses_dynamic_stack: false
    .vgpr_count:     0
    .vgpr_spill_count: 0
    .wavefront_size: 32
    .workgroup_processor_mode: 1
  - .args:
      - .offset:         0
        .size:           184
        .value_kind:     by_value
    .group_segment_fixed_size: 13328
    .kernarg_segment_align: 8
    .kernarg_segment_size: 184
    .language:       OpenCL C
    .language_version:
      - 2
      - 0
    .max_flat_workgroup_size: 256
    .name:           _ZN7rocprim17ROCPRIM_400000_NS6detail17trampoline_kernelINS0_13select_configILj256ELj13ELNS0_17block_load_methodE3ELS4_3ELS4_3ELNS0_20block_scan_algorithmE0ELj4294967295EEENS1_25partition_config_selectorILNS1_17partition_subalgoE4EjNS0_10empty_typeEbEEZZNS1_14partition_implILS8_4ELb0ES6_15HIP_vector_typeIjLj2EENS0_17counting_iteratorIjlEEPS9_SG_NS0_5tupleIJPjSI_NS0_16reverse_iteratorISI_EEEEENSH_IJSG_SG_SG_EEES9_SI_JZNS1_25segmented_radix_sort_implINS0_14default_configELb1EPKfPfPKlPlN2at6native12_GLOBAL__N_18offset_tEEE10hipError_tPvRmT1_PNSt15iterator_traitsIS12_E10value_typeET2_T3_PNS13_IS18_E10value_typeET4_jRbjT5_S1E_jjP12ihipStream_tbEUljE_ZNSN_ISO_Lb1ESQ_SR_ST_SU_SY_EESZ_S10_S11_S12_S16_S17_S18_S1B_S1C_jS1D_jS1E_S1E_jjS1G_bEUljE0_EEESZ_S10_S11_S18_S1C_S1E_T6_T7_T9_mT8_S1G_bDpT10_ENKUlT_T0_E_clISt17integral_constantIbLb0EES1T_IbLb1EEEEDaS1P_S1Q_EUlS1P_E_NS1_11comp_targetILNS1_3genE10ELNS1_11target_archE1200ELNS1_3gpuE4ELNS1_3repE0EEENS1_30default_config_static_selectorELNS0_4arch9wavefront6targetE0EEEvS12_
    .private_segment_fixed_size: 0
    .sgpr_count:     57
    .sgpr_spill_count: 0
    .symbol:         _ZN7rocprim17ROCPRIM_400000_NS6detail17trampoline_kernelINS0_13select_configILj256ELj13ELNS0_17block_load_methodE3ELS4_3ELS4_3ELNS0_20block_scan_algorithmE0ELj4294967295EEENS1_25partition_config_selectorILNS1_17partition_subalgoE4EjNS0_10empty_typeEbEEZZNS1_14partition_implILS8_4ELb0ES6_15HIP_vector_typeIjLj2EENS0_17counting_iteratorIjlEEPS9_SG_NS0_5tupleIJPjSI_NS0_16reverse_iteratorISI_EEEEENSH_IJSG_SG_SG_EEES9_SI_JZNS1_25segmented_radix_sort_implINS0_14default_configELb1EPKfPfPKlPlN2at6native12_GLOBAL__N_18offset_tEEE10hipError_tPvRmT1_PNSt15iterator_traitsIS12_E10value_typeET2_T3_PNS13_IS18_E10value_typeET4_jRbjT5_S1E_jjP12ihipStream_tbEUljE_ZNSN_ISO_Lb1ESQ_SR_ST_SU_SY_EESZ_S10_S11_S12_S16_S17_S18_S1B_S1C_jS1D_jS1E_S1E_jjS1G_bEUljE0_EEESZ_S10_S11_S18_S1C_S1E_T6_T7_T9_mT8_S1G_bDpT10_ENKUlT_T0_E_clISt17integral_constantIbLb0EES1T_IbLb1EEEEDaS1P_S1Q_EUlS1P_E_NS1_11comp_targetILNS1_3genE10ELNS1_11target_archE1200ELNS1_3gpuE4ELNS1_3repE0EEENS1_30default_config_static_selectorELNS0_4arch9wavefront6targetE0EEEvS12_.kd
    .uniform_work_group_size: 1
    .uses_dynamic_stack: false
    .vgpr_count:     98
    .vgpr_spill_count: 0
    .wavefront_size: 32
    .workgroup_processor_mode: 1
  - .args:
      - .offset:         0
        .size:           184
        .value_kind:     by_value
    .group_segment_fixed_size: 0
    .kernarg_segment_align: 8
    .kernarg_segment_size: 184
    .language:       OpenCL C
    .language_version:
      - 2
      - 0
    .max_flat_workgroup_size: 256
    .name:           _ZN7rocprim17ROCPRIM_400000_NS6detail17trampoline_kernelINS0_13select_configILj256ELj13ELNS0_17block_load_methodE3ELS4_3ELS4_3ELNS0_20block_scan_algorithmE0ELj4294967295EEENS1_25partition_config_selectorILNS1_17partition_subalgoE4EjNS0_10empty_typeEbEEZZNS1_14partition_implILS8_4ELb0ES6_15HIP_vector_typeIjLj2EENS0_17counting_iteratorIjlEEPS9_SG_NS0_5tupleIJPjSI_NS0_16reverse_iteratorISI_EEEEENSH_IJSG_SG_SG_EEES9_SI_JZNS1_25segmented_radix_sort_implINS0_14default_configELb1EPKfPfPKlPlN2at6native12_GLOBAL__N_18offset_tEEE10hipError_tPvRmT1_PNSt15iterator_traitsIS12_E10value_typeET2_T3_PNS13_IS18_E10value_typeET4_jRbjT5_S1E_jjP12ihipStream_tbEUljE_ZNSN_ISO_Lb1ESQ_SR_ST_SU_SY_EESZ_S10_S11_S12_S16_S17_S18_S1B_S1C_jS1D_jS1E_S1E_jjS1G_bEUljE0_EEESZ_S10_S11_S18_S1C_S1E_T6_T7_T9_mT8_S1G_bDpT10_ENKUlT_T0_E_clISt17integral_constantIbLb0EES1T_IbLb1EEEEDaS1P_S1Q_EUlS1P_E_NS1_11comp_targetILNS1_3genE9ELNS1_11target_archE1100ELNS1_3gpuE3ELNS1_3repE0EEENS1_30default_config_static_selectorELNS0_4arch9wavefront6targetE0EEEvS12_
    .private_segment_fixed_size: 0
    .sgpr_count:     0
    .sgpr_spill_count: 0
    .symbol:         _ZN7rocprim17ROCPRIM_400000_NS6detail17trampoline_kernelINS0_13select_configILj256ELj13ELNS0_17block_load_methodE3ELS4_3ELS4_3ELNS0_20block_scan_algorithmE0ELj4294967295EEENS1_25partition_config_selectorILNS1_17partition_subalgoE4EjNS0_10empty_typeEbEEZZNS1_14partition_implILS8_4ELb0ES6_15HIP_vector_typeIjLj2EENS0_17counting_iteratorIjlEEPS9_SG_NS0_5tupleIJPjSI_NS0_16reverse_iteratorISI_EEEEENSH_IJSG_SG_SG_EEES9_SI_JZNS1_25segmented_radix_sort_implINS0_14default_configELb1EPKfPfPKlPlN2at6native12_GLOBAL__N_18offset_tEEE10hipError_tPvRmT1_PNSt15iterator_traitsIS12_E10value_typeET2_T3_PNS13_IS18_E10value_typeET4_jRbjT5_S1E_jjP12ihipStream_tbEUljE_ZNSN_ISO_Lb1ESQ_SR_ST_SU_SY_EESZ_S10_S11_S12_S16_S17_S18_S1B_S1C_jS1D_jS1E_S1E_jjS1G_bEUljE0_EEESZ_S10_S11_S18_S1C_S1E_T6_T7_T9_mT8_S1G_bDpT10_ENKUlT_T0_E_clISt17integral_constantIbLb0EES1T_IbLb1EEEEDaS1P_S1Q_EUlS1P_E_NS1_11comp_targetILNS1_3genE9ELNS1_11target_archE1100ELNS1_3gpuE3ELNS1_3repE0EEENS1_30default_config_static_selectorELNS0_4arch9wavefront6targetE0EEEvS12_.kd
    .uniform_work_group_size: 1
    .uses_dynamic_stack: false
    .vgpr_count:     0
    .vgpr_spill_count: 0
    .wavefront_size: 32
    .workgroup_processor_mode: 1
  - .args:
      - .offset:         0
        .size:           184
        .value_kind:     by_value
    .group_segment_fixed_size: 0
    .kernarg_segment_align: 8
    .kernarg_segment_size: 184
    .language:       OpenCL C
    .language_version:
      - 2
      - 0
    .max_flat_workgroup_size: 256
    .name:           _ZN7rocprim17ROCPRIM_400000_NS6detail17trampoline_kernelINS0_13select_configILj256ELj13ELNS0_17block_load_methodE3ELS4_3ELS4_3ELNS0_20block_scan_algorithmE0ELj4294967295EEENS1_25partition_config_selectorILNS1_17partition_subalgoE4EjNS0_10empty_typeEbEEZZNS1_14partition_implILS8_4ELb0ES6_15HIP_vector_typeIjLj2EENS0_17counting_iteratorIjlEEPS9_SG_NS0_5tupleIJPjSI_NS0_16reverse_iteratorISI_EEEEENSH_IJSG_SG_SG_EEES9_SI_JZNS1_25segmented_radix_sort_implINS0_14default_configELb1EPKfPfPKlPlN2at6native12_GLOBAL__N_18offset_tEEE10hipError_tPvRmT1_PNSt15iterator_traitsIS12_E10value_typeET2_T3_PNS13_IS18_E10value_typeET4_jRbjT5_S1E_jjP12ihipStream_tbEUljE_ZNSN_ISO_Lb1ESQ_SR_ST_SU_SY_EESZ_S10_S11_S12_S16_S17_S18_S1B_S1C_jS1D_jS1E_S1E_jjS1G_bEUljE0_EEESZ_S10_S11_S18_S1C_S1E_T6_T7_T9_mT8_S1G_bDpT10_ENKUlT_T0_E_clISt17integral_constantIbLb0EES1T_IbLb1EEEEDaS1P_S1Q_EUlS1P_E_NS1_11comp_targetILNS1_3genE8ELNS1_11target_archE1030ELNS1_3gpuE2ELNS1_3repE0EEENS1_30default_config_static_selectorELNS0_4arch9wavefront6targetE0EEEvS12_
    .private_segment_fixed_size: 0
    .sgpr_count:     0
    .sgpr_spill_count: 0
    .symbol:         _ZN7rocprim17ROCPRIM_400000_NS6detail17trampoline_kernelINS0_13select_configILj256ELj13ELNS0_17block_load_methodE3ELS4_3ELS4_3ELNS0_20block_scan_algorithmE0ELj4294967295EEENS1_25partition_config_selectorILNS1_17partition_subalgoE4EjNS0_10empty_typeEbEEZZNS1_14partition_implILS8_4ELb0ES6_15HIP_vector_typeIjLj2EENS0_17counting_iteratorIjlEEPS9_SG_NS0_5tupleIJPjSI_NS0_16reverse_iteratorISI_EEEEENSH_IJSG_SG_SG_EEES9_SI_JZNS1_25segmented_radix_sort_implINS0_14default_configELb1EPKfPfPKlPlN2at6native12_GLOBAL__N_18offset_tEEE10hipError_tPvRmT1_PNSt15iterator_traitsIS12_E10value_typeET2_T3_PNS13_IS18_E10value_typeET4_jRbjT5_S1E_jjP12ihipStream_tbEUljE_ZNSN_ISO_Lb1ESQ_SR_ST_SU_SY_EESZ_S10_S11_S12_S16_S17_S18_S1B_S1C_jS1D_jS1E_S1E_jjS1G_bEUljE0_EEESZ_S10_S11_S18_S1C_S1E_T6_T7_T9_mT8_S1G_bDpT10_ENKUlT_T0_E_clISt17integral_constantIbLb0EES1T_IbLb1EEEEDaS1P_S1Q_EUlS1P_E_NS1_11comp_targetILNS1_3genE8ELNS1_11target_archE1030ELNS1_3gpuE2ELNS1_3repE0EEENS1_30default_config_static_selectorELNS0_4arch9wavefront6targetE0EEEvS12_.kd
    .uniform_work_group_size: 1
    .uses_dynamic_stack: false
    .vgpr_count:     0
    .vgpr_spill_count: 0
    .wavefront_size: 32
    .workgroup_processor_mode: 1
  - .args:
      - .offset:         0
        .size:           144
        .value_kind:     by_value
    .group_segment_fixed_size: 0
    .kernarg_segment_align: 8
    .kernarg_segment_size: 144
    .language:       OpenCL C
    .language_version:
      - 2
      - 0
    .max_flat_workgroup_size: 256
    .name:           _ZN7rocprim17ROCPRIM_400000_NS6detail17trampoline_kernelINS0_13select_configILj256ELj13ELNS0_17block_load_methodE3ELS4_3ELS4_3ELNS0_20block_scan_algorithmE0ELj4294967295EEENS1_25partition_config_selectorILNS1_17partition_subalgoE3EjNS0_10empty_typeEbEEZZNS1_14partition_implILS8_3ELb0ES6_jNS0_17counting_iteratorIjlEEPS9_SE_NS0_5tupleIJPjSE_EEENSF_IJSE_SE_EEES9_SG_JZNS1_25segmented_radix_sort_implINS0_14default_configELb1EPKfPfPKlPlN2at6native12_GLOBAL__N_18offset_tEEE10hipError_tPvRmT1_PNSt15iterator_traitsISY_E10value_typeET2_T3_PNSZ_IS14_E10value_typeET4_jRbjT5_S1A_jjP12ihipStream_tbEUljE_EEESV_SW_SX_S14_S18_S1A_T6_T7_T9_mT8_S1C_bDpT10_ENKUlT_T0_E_clISt17integral_constantIbLb0EES1P_EEDaS1K_S1L_EUlS1K_E_NS1_11comp_targetILNS1_3genE0ELNS1_11target_archE4294967295ELNS1_3gpuE0ELNS1_3repE0EEENS1_30default_config_static_selectorELNS0_4arch9wavefront6targetE0EEEvSY_
    .private_segment_fixed_size: 0
    .sgpr_count:     0
    .sgpr_spill_count: 0
    .symbol:         _ZN7rocprim17ROCPRIM_400000_NS6detail17trampoline_kernelINS0_13select_configILj256ELj13ELNS0_17block_load_methodE3ELS4_3ELS4_3ELNS0_20block_scan_algorithmE0ELj4294967295EEENS1_25partition_config_selectorILNS1_17partition_subalgoE3EjNS0_10empty_typeEbEEZZNS1_14partition_implILS8_3ELb0ES6_jNS0_17counting_iteratorIjlEEPS9_SE_NS0_5tupleIJPjSE_EEENSF_IJSE_SE_EEES9_SG_JZNS1_25segmented_radix_sort_implINS0_14default_configELb1EPKfPfPKlPlN2at6native12_GLOBAL__N_18offset_tEEE10hipError_tPvRmT1_PNSt15iterator_traitsISY_E10value_typeET2_T3_PNSZ_IS14_E10value_typeET4_jRbjT5_S1A_jjP12ihipStream_tbEUljE_EEESV_SW_SX_S14_S18_S1A_T6_T7_T9_mT8_S1C_bDpT10_ENKUlT_T0_E_clISt17integral_constantIbLb0EES1P_EEDaS1K_S1L_EUlS1K_E_NS1_11comp_targetILNS1_3genE0ELNS1_11target_archE4294967295ELNS1_3gpuE0ELNS1_3repE0EEENS1_30default_config_static_selectorELNS0_4arch9wavefront6targetE0EEEvSY_.kd
    .uniform_work_group_size: 1
    .uses_dynamic_stack: false
    .vgpr_count:     0
    .vgpr_spill_count: 0
    .wavefront_size: 32
    .workgroup_processor_mode: 1
  - .args:
      - .offset:         0
        .size:           144
        .value_kind:     by_value
    .group_segment_fixed_size: 0
    .kernarg_segment_align: 8
    .kernarg_segment_size: 144
    .language:       OpenCL C
    .language_version:
      - 2
      - 0
    .max_flat_workgroup_size: 256
    .name:           _ZN7rocprim17ROCPRIM_400000_NS6detail17trampoline_kernelINS0_13select_configILj256ELj13ELNS0_17block_load_methodE3ELS4_3ELS4_3ELNS0_20block_scan_algorithmE0ELj4294967295EEENS1_25partition_config_selectorILNS1_17partition_subalgoE3EjNS0_10empty_typeEbEEZZNS1_14partition_implILS8_3ELb0ES6_jNS0_17counting_iteratorIjlEEPS9_SE_NS0_5tupleIJPjSE_EEENSF_IJSE_SE_EEES9_SG_JZNS1_25segmented_radix_sort_implINS0_14default_configELb1EPKfPfPKlPlN2at6native12_GLOBAL__N_18offset_tEEE10hipError_tPvRmT1_PNSt15iterator_traitsISY_E10value_typeET2_T3_PNSZ_IS14_E10value_typeET4_jRbjT5_S1A_jjP12ihipStream_tbEUljE_EEESV_SW_SX_S14_S18_S1A_T6_T7_T9_mT8_S1C_bDpT10_ENKUlT_T0_E_clISt17integral_constantIbLb0EES1P_EEDaS1K_S1L_EUlS1K_E_NS1_11comp_targetILNS1_3genE5ELNS1_11target_archE942ELNS1_3gpuE9ELNS1_3repE0EEENS1_30default_config_static_selectorELNS0_4arch9wavefront6targetE0EEEvSY_
    .private_segment_fixed_size: 0
    .sgpr_count:     0
    .sgpr_spill_count: 0
    .symbol:         _ZN7rocprim17ROCPRIM_400000_NS6detail17trampoline_kernelINS0_13select_configILj256ELj13ELNS0_17block_load_methodE3ELS4_3ELS4_3ELNS0_20block_scan_algorithmE0ELj4294967295EEENS1_25partition_config_selectorILNS1_17partition_subalgoE3EjNS0_10empty_typeEbEEZZNS1_14partition_implILS8_3ELb0ES6_jNS0_17counting_iteratorIjlEEPS9_SE_NS0_5tupleIJPjSE_EEENSF_IJSE_SE_EEES9_SG_JZNS1_25segmented_radix_sort_implINS0_14default_configELb1EPKfPfPKlPlN2at6native12_GLOBAL__N_18offset_tEEE10hipError_tPvRmT1_PNSt15iterator_traitsISY_E10value_typeET2_T3_PNSZ_IS14_E10value_typeET4_jRbjT5_S1A_jjP12ihipStream_tbEUljE_EEESV_SW_SX_S14_S18_S1A_T6_T7_T9_mT8_S1C_bDpT10_ENKUlT_T0_E_clISt17integral_constantIbLb0EES1P_EEDaS1K_S1L_EUlS1K_E_NS1_11comp_targetILNS1_3genE5ELNS1_11target_archE942ELNS1_3gpuE9ELNS1_3repE0EEENS1_30default_config_static_selectorELNS0_4arch9wavefront6targetE0EEEvSY_.kd
    .uniform_work_group_size: 1
    .uses_dynamic_stack: false
    .vgpr_count:     0
    .vgpr_spill_count: 0
    .wavefront_size: 32
    .workgroup_processor_mode: 1
  - .args:
      - .offset:         0
        .size:           144
        .value_kind:     by_value
    .group_segment_fixed_size: 0
    .kernarg_segment_align: 8
    .kernarg_segment_size: 144
    .language:       OpenCL C
    .language_version:
      - 2
      - 0
    .max_flat_workgroup_size: 256
    .name:           _ZN7rocprim17ROCPRIM_400000_NS6detail17trampoline_kernelINS0_13select_configILj256ELj13ELNS0_17block_load_methodE3ELS4_3ELS4_3ELNS0_20block_scan_algorithmE0ELj4294967295EEENS1_25partition_config_selectorILNS1_17partition_subalgoE3EjNS0_10empty_typeEbEEZZNS1_14partition_implILS8_3ELb0ES6_jNS0_17counting_iteratorIjlEEPS9_SE_NS0_5tupleIJPjSE_EEENSF_IJSE_SE_EEES9_SG_JZNS1_25segmented_radix_sort_implINS0_14default_configELb1EPKfPfPKlPlN2at6native12_GLOBAL__N_18offset_tEEE10hipError_tPvRmT1_PNSt15iterator_traitsISY_E10value_typeET2_T3_PNSZ_IS14_E10value_typeET4_jRbjT5_S1A_jjP12ihipStream_tbEUljE_EEESV_SW_SX_S14_S18_S1A_T6_T7_T9_mT8_S1C_bDpT10_ENKUlT_T0_E_clISt17integral_constantIbLb0EES1P_EEDaS1K_S1L_EUlS1K_E_NS1_11comp_targetILNS1_3genE4ELNS1_11target_archE910ELNS1_3gpuE8ELNS1_3repE0EEENS1_30default_config_static_selectorELNS0_4arch9wavefront6targetE0EEEvSY_
    .private_segment_fixed_size: 0
    .sgpr_count:     0
    .sgpr_spill_count: 0
    .symbol:         _ZN7rocprim17ROCPRIM_400000_NS6detail17trampoline_kernelINS0_13select_configILj256ELj13ELNS0_17block_load_methodE3ELS4_3ELS4_3ELNS0_20block_scan_algorithmE0ELj4294967295EEENS1_25partition_config_selectorILNS1_17partition_subalgoE3EjNS0_10empty_typeEbEEZZNS1_14partition_implILS8_3ELb0ES6_jNS0_17counting_iteratorIjlEEPS9_SE_NS0_5tupleIJPjSE_EEENSF_IJSE_SE_EEES9_SG_JZNS1_25segmented_radix_sort_implINS0_14default_configELb1EPKfPfPKlPlN2at6native12_GLOBAL__N_18offset_tEEE10hipError_tPvRmT1_PNSt15iterator_traitsISY_E10value_typeET2_T3_PNSZ_IS14_E10value_typeET4_jRbjT5_S1A_jjP12ihipStream_tbEUljE_EEESV_SW_SX_S14_S18_S1A_T6_T7_T9_mT8_S1C_bDpT10_ENKUlT_T0_E_clISt17integral_constantIbLb0EES1P_EEDaS1K_S1L_EUlS1K_E_NS1_11comp_targetILNS1_3genE4ELNS1_11target_archE910ELNS1_3gpuE8ELNS1_3repE0EEENS1_30default_config_static_selectorELNS0_4arch9wavefront6targetE0EEEvSY_.kd
    .uniform_work_group_size: 1
    .uses_dynamic_stack: false
    .vgpr_count:     0
    .vgpr_spill_count: 0
    .wavefront_size: 32
    .workgroup_processor_mode: 1
  - .args:
      - .offset:         0
        .size:           144
        .value_kind:     by_value
    .group_segment_fixed_size: 0
    .kernarg_segment_align: 8
    .kernarg_segment_size: 144
    .language:       OpenCL C
    .language_version:
      - 2
      - 0
    .max_flat_workgroup_size: 256
    .name:           _ZN7rocprim17ROCPRIM_400000_NS6detail17trampoline_kernelINS0_13select_configILj256ELj13ELNS0_17block_load_methodE3ELS4_3ELS4_3ELNS0_20block_scan_algorithmE0ELj4294967295EEENS1_25partition_config_selectorILNS1_17partition_subalgoE3EjNS0_10empty_typeEbEEZZNS1_14partition_implILS8_3ELb0ES6_jNS0_17counting_iteratorIjlEEPS9_SE_NS0_5tupleIJPjSE_EEENSF_IJSE_SE_EEES9_SG_JZNS1_25segmented_radix_sort_implINS0_14default_configELb1EPKfPfPKlPlN2at6native12_GLOBAL__N_18offset_tEEE10hipError_tPvRmT1_PNSt15iterator_traitsISY_E10value_typeET2_T3_PNSZ_IS14_E10value_typeET4_jRbjT5_S1A_jjP12ihipStream_tbEUljE_EEESV_SW_SX_S14_S18_S1A_T6_T7_T9_mT8_S1C_bDpT10_ENKUlT_T0_E_clISt17integral_constantIbLb0EES1P_EEDaS1K_S1L_EUlS1K_E_NS1_11comp_targetILNS1_3genE3ELNS1_11target_archE908ELNS1_3gpuE7ELNS1_3repE0EEENS1_30default_config_static_selectorELNS0_4arch9wavefront6targetE0EEEvSY_
    .private_segment_fixed_size: 0
    .sgpr_count:     0
    .sgpr_spill_count: 0
    .symbol:         _ZN7rocprim17ROCPRIM_400000_NS6detail17trampoline_kernelINS0_13select_configILj256ELj13ELNS0_17block_load_methodE3ELS4_3ELS4_3ELNS0_20block_scan_algorithmE0ELj4294967295EEENS1_25partition_config_selectorILNS1_17partition_subalgoE3EjNS0_10empty_typeEbEEZZNS1_14partition_implILS8_3ELb0ES6_jNS0_17counting_iteratorIjlEEPS9_SE_NS0_5tupleIJPjSE_EEENSF_IJSE_SE_EEES9_SG_JZNS1_25segmented_radix_sort_implINS0_14default_configELb1EPKfPfPKlPlN2at6native12_GLOBAL__N_18offset_tEEE10hipError_tPvRmT1_PNSt15iterator_traitsISY_E10value_typeET2_T3_PNSZ_IS14_E10value_typeET4_jRbjT5_S1A_jjP12ihipStream_tbEUljE_EEESV_SW_SX_S14_S18_S1A_T6_T7_T9_mT8_S1C_bDpT10_ENKUlT_T0_E_clISt17integral_constantIbLb0EES1P_EEDaS1K_S1L_EUlS1K_E_NS1_11comp_targetILNS1_3genE3ELNS1_11target_archE908ELNS1_3gpuE7ELNS1_3repE0EEENS1_30default_config_static_selectorELNS0_4arch9wavefront6targetE0EEEvSY_.kd
    .uniform_work_group_size: 1
    .uses_dynamic_stack: false
    .vgpr_count:     0
    .vgpr_spill_count: 0
    .wavefront_size: 32
    .workgroup_processor_mode: 1
  - .args:
      - .offset:         0
        .size:           144
        .value_kind:     by_value
    .group_segment_fixed_size: 0
    .kernarg_segment_align: 8
    .kernarg_segment_size: 144
    .language:       OpenCL C
    .language_version:
      - 2
      - 0
    .max_flat_workgroup_size: 256
    .name:           _ZN7rocprim17ROCPRIM_400000_NS6detail17trampoline_kernelINS0_13select_configILj256ELj13ELNS0_17block_load_methodE3ELS4_3ELS4_3ELNS0_20block_scan_algorithmE0ELj4294967295EEENS1_25partition_config_selectorILNS1_17partition_subalgoE3EjNS0_10empty_typeEbEEZZNS1_14partition_implILS8_3ELb0ES6_jNS0_17counting_iteratorIjlEEPS9_SE_NS0_5tupleIJPjSE_EEENSF_IJSE_SE_EEES9_SG_JZNS1_25segmented_radix_sort_implINS0_14default_configELb1EPKfPfPKlPlN2at6native12_GLOBAL__N_18offset_tEEE10hipError_tPvRmT1_PNSt15iterator_traitsISY_E10value_typeET2_T3_PNSZ_IS14_E10value_typeET4_jRbjT5_S1A_jjP12ihipStream_tbEUljE_EEESV_SW_SX_S14_S18_S1A_T6_T7_T9_mT8_S1C_bDpT10_ENKUlT_T0_E_clISt17integral_constantIbLb0EES1P_EEDaS1K_S1L_EUlS1K_E_NS1_11comp_targetILNS1_3genE2ELNS1_11target_archE906ELNS1_3gpuE6ELNS1_3repE0EEENS1_30default_config_static_selectorELNS0_4arch9wavefront6targetE0EEEvSY_
    .private_segment_fixed_size: 0
    .sgpr_count:     0
    .sgpr_spill_count: 0
    .symbol:         _ZN7rocprim17ROCPRIM_400000_NS6detail17trampoline_kernelINS0_13select_configILj256ELj13ELNS0_17block_load_methodE3ELS4_3ELS4_3ELNS0_20block_scan_algorithmE0ELj4294967295EEENS1_25partition_config_selectorILNS1_17partition_subalgoE3EjNS0_10empty_typeEbEEZZNS1_14partition_implILS8_3ELb0ES6_jNS0_17counting_iteratorIjlEEPS9_SE_NS0_5tupleIJPjSE_EEENSF_IJSE_SE_EEES9_SG_JZNS1_25segmented_radix_sort_implINS0_14default_configELb1EPKfPfPKlPlN2at6native12_GLOBAL__N_18offset_tEEE10hipError_tPvRmT1_PNSt15iterator_traitsISY_E10value_typeET2_T3_PNSZ_IS14_E10value_typeET4_jRbjT5_S1A_jjP12ihipStream_tbEUljE_EEESV_SW_SX_S14_S18_S1A_T6_T7_T9_mT8_S1C_bDpT10_ENKUlT_T0_E_clISt17integral_constantIbLb0EES1P_EEDaS1K_S1L_EUlS1K_E_NS1_11comp_targetILNS1_3genE2ELNS1_11target_archE906ELNS1_3gpuE6ELNS1_3repE0EEENS1_30default_config_static_selectorELNS0_4arch9wavefront6targetE0EEEvSY_.kd
    .uniform_work_group_size: 1
    .uses_dynamic_stack: false
    .vgpr_count:     0
    .vgpr_spill_count: 0
    .wavefront_size: 32
    .workgroup_processor_mode: 1
  - .args:
      - .offset:         0
        .size:           144
        .value_kind:     by_value
    .group_segment_fixed_size: 13320
    .kernarg_segment_align: 8
    .kernarg_segment_size: 144
    .language:       OpenCL C
    .language_version:
      - 2
      - 0
    .max_flat_workgroup_size: 256
    .name:           _ZN7rocprim17ROCPRIM_400000_NS6detail17trampoline_kernelINS0_13select_configILj256ELj13ELNS0_17block_load_methodE3ELS4_3ELS4_3ELNS0_20block_scan_algorithmE0ELj4294967295EEENS1_25partition_config_selectorILNS1_17partition_subalgoE3EjNS0_10empty_typeEbEEZZNS1_14partition_implILS8_3ELb0ES6_jNS0_17counting_iteratorIjlEEPS9_SE_NS0_5tupleIJPjSE_EEENSF_IJSE_SE_EEES9_SG_JZNS1_25segmented_radix_sort_implINS0_14default_configELb1EPKfPfPKlPlN2at6native12_GLOBAL__N_18offset_tEEE10hipError_tPvRmT1_PNSt15iterator_traitsISY_E10value_typeET2_T3_PNSZ_IS14_E10value_typeET4_jRbjT5_S1A_jjP12ihipStream_tbEUljE_EEESV_SW_SX_S14_S18_S1A_T6_T7_T9_mT8_S1C_bDpT10_ENKUlT_T0_E_clISt17integral_constantIbLb0EES1P_EEDaS1K_S1L_EUlS1K_E_NS1_11comp_targetILNS1_3genE10ELNS1_11target_archE1200ELNS1_3gpuE4ELNS1_3repE0EEENS1_30default_config_static_selectorELNS0_4arch9wavefront6targetE0EEEvSY_
    .private_segment_fixed_size: 0
    .sgpr_count:     28
    .sgpr_spill_count: 0
    .symbol:         _ZN7rocprim17ROCPRIM_400000_NS6detail17trampoline_kernelINS0_13select_configILj256ELj13ELNS0_17block_load_methodE3ELS4_3ELS4_3ELNS0_20block_scan_algorithmE0ELj4294967295EEENS1_25partition_config_selectorILNS1_17partition_subalgoE3EjNS0_10empty_typeEbEEZZNS1_14partition_implILS8_3ELb0ES6_jNS0_17counting_iteratorIjlEEPS9_SE_NS0_5tupleIJPjSE_EEENSF_IJSE_SE_EEES9_SG_JZNS1_25segmented_radix_sort_implINS0_14default_configELb1EPKfPfPKlPlN2at6native12_GLOBAL__N_18offset_tEEE10hipError_tPvRmT1_PNSt15iterator_traitsISY_E10value_typeET2_T3_PNSZ_IS14_E10value_typeET4_jRbjT5_S1A_jjP12ihipStream_tbEUljE_EEESV_SW_SX_S14_S18_S1A_T6_T7_T9_mT8_S1C_bDpT10_ENKUlT_T0_E_clISt17integral_constantIbLb0EES1P_EEDaS1K_S1L_EUlS1K_E_NS1_11comp_targetILNS1_3genE10ELNS1_11target_archE1200ELNS1_3gpuE4ELNS1_3repE0EEENS1_30default_config_static_selectorELNS0_4arch9wavefront6targetE0EEEvSY_.kd
    .uniform_work_group_size: 1
    .uses_dynamic_stack: false
    .vgpr_count:     69
    .vgpr_spill_count: 0
    .wavefront_size: 32
    .workgroup_processor_mode: 1
  - .args:
      - .offset:         0
        .size:           144
        .value_kind:     by_value
    .group_segment_fixed_size: 0
    .kernarg_segment_align: 8
    .kernarg_segment_size: 144
    .language:       OpenCL C
    .language_version:
      - 2
      - 0
    .max_flat_workgroup_size: 256
    .name:           _ZN7rocprim17ROCPRIM_400000_NS6detail17trampoline_kernelINS0_13select_configILj256ELj13ELNS0_17block_load_methodE3ELS4_3ELS4_3ELNS0_20block_scan_algorithmE0ELj4294967295EEENS1_25partition_config_selectorILNS1_17partition_subalgoE3EjNS0_10empty_typeEbEEZZNS1_14partition_implILS8_3ELb0ES6_jNS0_17counting_iteratorIjlEEPS9_SE_NS0_5tupleIJPjSE_EEENSF_IJSE_SE_EEES9_SG_JZNS1_25segmented_radix_sort_implINS0_14default_configELb1EPKfPfPKlPlN2at6native12_GLOBAL__N_18offset_tEEE10hipError_tPvRmT1_PNSt15iterator_traitsISY_E10value_typeET2_T3_PNSZ_IS14_E10value_typeET4_jRbjT5_S1A_jjP12ihipStream_tbEUljE_EEESV_SW_SX_S14_S18_S1A_T6_T7_T9_mT8_S1C_bDpT10_ENKUlT_T0_E_clISt17integral_constantIbLb0EES1P_EEDaS1K_S1L_EUlS1K_E_NS1_11comp_targetILNS1_3genE9ELNS1_11target_archE1100ELNS1_3gpuE3ELNS1_3repE0EEENS1_30default_config_static_selectorELNS0_4arch9wavefront6targetE0EEEvSY_
    .private_segment_fixed_size: 0
    .sgpr_count:     0
    .sgpr_spill_count: 0
    .symbol:         _ZN7rocprim17ROCPRIM_400000_NS6detail17trampoline_kernelINS0_13select_configILj256ELj13ELNS0_17block_load_methodE3ELS4_3ELS4_3ELNS0_20block_scan_algorithmE0ELj4294967295EEENS1_25partition_config_selectorILNS1_17partition_subalgoE3EjNS0_10empty_typeEbEEZZNS1_14partition_implILS8_3ELb0ES6_jNS0_17counting_iteratorIjlEEPS9_SE_NS0_5tupleIJPjSE_EEENSF_IJSE_SE_EEES9_SG_JZNS1_25segmented_radix_sort_implINS0_14default_configELb1EPKfPfPKlPlN2at6native12_GLOBAL__N_18offset_tEEE10hipError_tPvRmT1_PNSt15iterator_traitsISY_E10value_typeET2_T3_PNSZ_IS14_E10value_typeET4_jRbjT5_S1A_jjP12ihipStream_tbEUljE_EEESV_SW_SX_S14_S18_S1A_T6_T7_T9_mT8_S1C_bDpT10_ENKUlT_T0_E_clISt17integral_constantIbLb0EES1P_EEDaS1K_S1L_EUlS1K_E_NS1_11comp_targetILNS1_3genE9ELNS1_11target_archE1100ELNS1_3gpuE3ELNS1_3repE0EEENS1_30default_config_static_selectorELNS0_4arch9wavefront6targetE0EEEvSY_.kd
    .uniform_work_group_size: 1
    .uses_dynamic_stack: false
    .vgpr_count:     0
    .vgpr_spill_count: 0
    .wavefront_size: 32
    .workgroup_processor_mode: 1
  - .args:
      - .offset:         0
        .size:           144
        .value_kind:     by_value
    .group_segment_fixed_size: 0
    .kernarg_segment_align: 8
    .kernarg_segment_size: 144
    .language:       OpenCL C
    .language_version:
      - 2
      - 0
    .max_flat_workgroup_size: 256
    .name:           _ZN7rocprim17ROCPRIM_400000_NS6detail17trampoline_kernelINS0_13select_configILj256ELj13ELNS0_17block_load_methodE3ELS4_3ELS4_3ELNS0_20block_scan_algorithmE0ELj4294967295EEENS1_25partition_config_selectorILNS1_17partition_subalgoE3EjNS0_10empty_typeEbEEZZNS1_14partition_implILS8_3ELb0ES6_jNS0_17counting_iteratorIjlEEPS9_SE_NS0_5tupleIJPjSE_EEENSF_IJSE_SE_EEES9_SG_JZNS1_25segmented_radix_sort_implINS0_14default_configELb1EPKfPfPKlPlN2at6native12_GLOBAL__N_18offset_tEEE10hipError_tPvRmT1_PNSt15iterator_traitsISY_E10value_typeET2_T3_PNSZ_IS14_E10value_typeET4_jRbjT5_S1A_jjP12ihipStream_tbEUljE_EEESV_SW_SX_S14_S18_S1A_T6_T7_T9_mT8_S1C_bDpT10_ENKUlT_T0_E_clISt17integral_constantIbLb0EES1P_EEDaS1K_S1L_EUlS1K_E_NS1_11comp_targetILNS1_3genE8ELNS1_11target_archE1030ELNS1_3gpuE2ELNS1_3repE0EEENS1_30default_config_static_selectorELNS0_4arch9wavefront6targetE0EEEvSY_
    .private_segment_fixed_size: 0
    .sgpr_count:     0
    .sgpr_spill_count: 0
    .symbol:         _ZN7rocprim17ROCPRIM_400000_NS6detail17trampoline_kernelINS0_13select_configILj256ELj13ELNS0_17block_load_methodE3ELS4_3ELS4_3ELNS0_20block_scan_algorithmE0ELj4294967295EEENS1_25partition_config_selectorILNS1_17partition_subalgoE3EjNS0_10empty_typeEbEEZZNS1_14partition_implILS8_3ELb0ES6_jNS0_17counting_iteratorIjlEEPS9_SE_NS0_5tupleIJPjSE_EEENSF_IJSE_SE_EEES9_SG_JZNS1_25segmented_radix_sort_implINS0_14default_configELb1EPKfPfPKlPlN2at6native12_GLOBAL__N_18offset_tEEE10hipError_tPvRmT1_PNSt15iterator_traitsISY_E10value_typeET2_T3_PNSZ_IS14_E10value_typeET4_jRbjT5_S1A_jjP12ihipStream_tbEUljE_EEESV_SW_SX_S14_S18_S1A_T6_T7_T9_mT8_S1C_bDpT10_ENKUlT_T0_E_clISt17integral_constantIbLb0EES1P_EEDaS1K_S1L_EUlS1K_E_NS1_11comp_targetILNS1_3genE8ELNS1_11target_archE1030ELNS1_3gpuE2ELNS1_3repE0EEENS1_30default_config_static_selectorELNS0_4arch9wavefront6targetE0EEEvSY_.kd
    .uniform_work_group_size: 1
    .uses_dynamic_stack: false
    .vgpr_count:     0
    .vgpr_spill_count: 0
    .wavefront_size: 32
    .workgroup_processor_mode: 1
  - .args:
      - .offset:         0
        .size:           152
        .value_kind:     by_value
    .group_segment_fixed_size: 0
    .kernarg_segment_align: 8
    .kernarg_segment_size: 152
    .language:       OpenCL C
    .language_version:
      - 2
      - 0
    .max_flat_workgroup_size: 256
    .name:           _ZN7rocprim17ROCPRIM_400000_NS6detail17trampoline_kernelINS0_13select_configILj256ELj13ELNS0_17block_load_methodE3ELS4_3ELS4_3ELNS0_20block_scan_algorithmE0ELj4294967295EEENS1_25partition_config_selectorILNS1_17partition_subalgoE3EjNS0_10empty_typeEbEEZZNS1_14partition_implILS8_3ELb0ES6_jNS0_17counting_iteratorIjlEEPS9_SE_NS0_5tupleIJPjSE_EEENSF_IJSE_SE_EEES9_SG_JZNS1_25segmented_radix_sort_implINS0_14default_configELb1EPKfPfPKlPlN2at6native12_GLOBAL__N_18offset_tEEE10hipError_tPvRmT1_PNSt15iterator_traitsISY_E10value_typeET2_T3_PNSZ_IS14_E10value_typeET4_jRbjT5_S1A_jjP12ihipStream_tbEUljE_EEESV_SW_SX_S14_S18_S1A_T6_T7_T9_mT8_S1C_bDpT10_ENKUlT_T0_E_clISt17integral_constantIbLb1EES1P_EEDaS1K_S1L_EUlS1K_E_NS1_11comp_targetILNS1_3genE0ELNS1_11target_archE4294967295ELNS1_3gpuE0ELNS1_3repE0EEENS1_30default_config_static_selectorELNS0_4arch9wavefront6targetE0EEEvSY_
    .private_segment_fixed_size: 0
    .sgpr_count:     0
    .sgpr_spill_count: 0
    .symbol:         _ZN7rocprim17ROCPRIM_400000_NS6detail17trampoline_kernelINS0_13select_configILj256ELj13ELNS0_17block_load_methodE3ELS4_3ELS4_3ELNS0_20block_scan_algorithmE0ELj4294967295EEENS1_25partition_config_selectorILNS1_17partition_subalgoE3EjNS0_10empty_typeEbEEZZNS1_14partition_implILS8_3ELb0ES6_jNS0_17counting_iteratorIjlEEPS9_SE_NS0_5tupleIJPjSE_EEENSF_IJSE_SE_EEES9_SG_JZNS1_25segmented_radix_sort_implINS0_14default_configELb1EPKfPfPKlPlN2at6native12_GLOBAL__N_18offset_tEEE10hipError_tPvRmT1_PNSt15iterator_traitsISY_E10value_typeET2_T3_PNSZ_IS14_E10value_typeET4_jRbjT5_S1A_jjP12ihipStream_tbEUljE_EEESV_SW_SX_S14_S18_S1A_T6_T7_T9_mT8_S1C_bDpT10_ENKUlT_T0_E_clISt17integral_constantIbLb1EES1P_EEDaS1K_S1L_EUlS1K_E_NS1_11comp_targetILNS1_3genE0ELNS1_11target_archE4294967295ELNS1_3gpuE0ELNS1_3repE0EEENS1_30default_config_static_selectorELNS0_4arch9wavefront6targetE0EEEvSY_.kd
    .uniform_work_group_size: 1
    .uses_dynamic_stack: false
    .vgpr_count:     0
    .vgpr_spill_count: 0
    .wavefront_size: 32
    .workgroup_processor_mode: 1
  - .args:
      - .offset:         0
        .size:           152
        .value_kind:     by_value
    .group_segment_fixed_size: 0
    .kernarg_segment_align: 8
    .kernarg_segment_size: 152
    .language:       OpenCL C
    .language_version:
      - 2
      - 0
    .max_flat_workgroup_size: 256
    .name:           _ZN7rocprim17ROCPRIM_400000_NS6detail17trampoline_kernelINS0_13select_configILj256ELj13ELNS0_17block_load_methodE3ELS4_3ELS4_3ELNS0_20block_scan_algorithmE0ELj4294967295EEENS1_25partition_config_selectorILNS1_17partition_subalgoE3EjNS0_10empty_typeEbEEZZNS1_14partition_implILS8_3ELb0ES6_jNS0_17counting_iteratorIjlEEPS9_SE_NS0_5tupleIJPjSE_EEENSF_IJSE_SE_EEES9_SG_JZNS1_25segmented_radix_sort_implINS0_14default_configELb1EPKfPfPKlPlN2at6native12_GLOBAL__N_18offset_tEEE10hipError_tPvRmT1_PNSt15iterator_traitsISY_E10value_typeET2_T3_PNSZ_IS14_E10value_typeET4_jRbjT5_S1A_jjP12ihipStream_tbEUljE_EEESV_SW_SX_S14_S18_S1A_T6_T7_T9_mT8_S1C_bDpT10_ENKUlT_T0_E_clISt17integral_constantIbLb1EES1P_EEDaS1K_S1L_EUlS1K_E_NS1_11comp_targetILNS1_3genE5ELNS1_11target_archE942ELNS1_3gpuE9ELNS1_3repE0EEENS1_30default_config_static_selectorELNS0_4arch9wavefront6targetE0EEEvSY_
    .private_segment_fixed_size: 0
    .sgpr_count:     0
    .sgpr_spill_count: 0
    .symbol:         _ZN7rocprim17ROCPRIM_400000_NS6detail17trampoline_kernelINS0_13select_configILj256ELj13ELNS0_17block_load_methodE3ELS4_3ELS4_3ELNS0_20block_scan_algorithmE0ELj4294967295EEENS1_25partition_config_selectorILNS1_17partition_subalgoE3EjNS0_10empty_typeEbEEZZNS1_14partition_implILS8_3ELb0ES6_jNS0_17counting_iteratorIjlEEPS9_SE_NS0_5tupleIJPjSE_EEENSF_IJSE_SE_EEES9_SG_JZNS1_25segmented_radix_sort_implINS0_14default_configELb1EPKfPfPKlPlN2at6native12_GLOBAL__N_18offset_tEEE10hipError_tPvRmT1_PNSt15iterator_traitsISY_E10value_typeET2_T3_PNSZ_IS14_E10value_typeET4_jRbjT5_S1A_jjP12ihipStream_tbEUljE_EEESV_SW_SX_S14_S18_S1A_T6_T7_T9_mT8_S1C_bDpT10_ENKUlT_T0_E_clISt17integral_constantIbLb1EES1P_EEDaS1K_S1L_EUlS1K_E_NS1_11comp_targetILNS1_3genE5ELNS1_11target_archE942ELNS1_3gpuE9ELNS1_3repE0EEENS1_30default_config_static_selectorELNS0_4arch9wavefront6targetE0EEEvSY_.kd
    .uniform_work_group_size: 1
    .uses_dynamic_stack: false
    .vgpr_count:     0
    .vgpr_spill_count: 0
    .wavefront_size: 32
    .workgroup_processor_mode: 1
  - .args:
      - .offset:         0
        .size:           152
        .value_kind:     by_value
    .group_segment_fixed_size: 0
    .kernarg_segment_align: 8
    .kernarg_segment_size: 152
    .language:       OpenCL C
    .language_version:
      - 2
      - 0
    .max_flat_workgroup_size: 256
    .name:           _ZN7rocprim17ROCPRIM_400000_NS6detail17trampoline_kernelINS0_13select_configILj256ELj13ELNS0_17block_load_methodE3ELS4_3ELS4_3ELNS0_20block_scan_algorithmE0ELj4294967295EEENS1_25partition_config_selectorILNS1_17partition_subalgoE3EjNS0_10empty_typeEbEEZZNS1_14partition_implILS8_3ELb0ES6_jNS0_17counting_iteratorIjlEEPS9_SE_NS0_5tupleIJPjSE_EEENSF_IJSE_SE_EEES9_SG_JZNS1_25segmented_radix_sort_implINS0_14default_configELb1EPKfPfPKlPlN2at6native12_GLOBAL__N_18offset_tEEE10hipError_tPvRmT1_PNSt15iterator_traitsISY_E10value_typeET2_T3_PNSZ_IS14_E10value_typeET4_jRbjT5_S1A_jjP12ihipStream_tbEUljE_EEESV_SW_SX_S14_S18_S1A_T6_T7_T9_mT8_S1C_bDpT10_ENKUlT_T0_E_clISt17integral_constantIbLb1EES1P_EEDaS1K_S1L_EUlS1K_E_NS1_11comp_targetILNS1_3genE4ELNS1_11target_archE910ELNS1_3gpuE8ELNS1_3repE0EEENS1_30default_config_static_selectorELNS0_4arch9wavefront6targetE0EEEvSY_
    .private_segment_fixed_size: 0
    .sgpr_count:     0
    .sgpr_spill_count: 0
    .symbol:         _ZN7rocprim17ROCPRIM_400000_NS6detail17trampoline_kernelINS0_13select_configILj256ELj13ELNS0_17block_load_methodE3ELS4_3ELS4_3ELNS0_20block_scan_algorithmE0ELj4294967295EEENS1_25partition_config_selectorILNS1_17partition_subalgoE3EjNS0_10empty_typeEbEEZZNS1_14partition_implILS8_3ELb0ES6_jNS0_17counting_iteratorIjlEEPS9_SE_NS0_5tupleIJPjSE_EEENSF_IJSE_SE_EEES9_SG_JZNS1_25segmented_radix_sort_implINS0_14default_configELb1EPKfPfPKlPlN2at6native12_GLOBAL__N_18offset_tEEE10hipError_tPvRmT1_PNSt15iterator_traitsISY_E10value_typeET2_T3_PNSZ_IS14_E10value_typeET4_jRbjT5_S1A_jjP12ihipStream_tbEUljE_EEESV_SW_SX_S14_S18_S1A_T6_T7_T9_mT8_S1C_bDpT10_ENKUlT_T0_E_clISt17integral_constantIbLb1EES1P_EEDaS1K_S1L_EUlS1K_E_NS1_11comp_targetILNS1_3genE4ELNS1_11target_archE910ELNS1_3gpuE8ELNS1_3repE0EEENS1_30default_config_static_selectorELNS0_4arch9wavefront6targetE0EEEvSY_.kd
    .uniform_work_group_size: 1
    .uses_dynamic_stack: false
    .vgpr_count:     0
    .vgpr_spill_count: 0
    .wavefront_size: 32
    .workgroup_processor_mode: 1
  - .args:
      - .offset:         0
        .size:           152
        .value_kind:     by_value
    .group_segment_fixed_size: 0
    .kernarg_segment_align: 8
    .kernarg_segment_size: 152
    .language:       OpenCL C
    .language_version:
      - 2
      - 0
    .max_flat_workgroup_size: 256
    .name:           _ZN7rocprim17ROCPRIM_400000_NS6detail17trampoline_kernelINS0_13select_configILj256ELj13ELNS0_17block_load_methodE3ELS4_3ELS4_3ELNS0_20block_scan_algorithmE0ELj4294967295EEENS1_25partition_config_selectorILNS1_17partition_subalgoE3EjNS0_10empty_typeEbEEZZNS1_14partition_implILS8_3ELb0ES6_jNS0_17counting_iteratorIjlEEPS9_SE_NS0_5tupleIJPjSE_EEENSF_IJSE_SE_EEES9_SG_JZNS1_25segmented_radix_sort_implINS0_14default_configELb1EPKfPfPKlPlN2at6native12_GLOBAL__N_18offset_tEEE10hipError_tPvRmT1_PNSt15iterator_traitsISY_E10value_typeET2_T3_PNSZ_IS14_E10value_typeET4_jRbjT5_S1A_jjP12ihipStream_tbEUljE_EEESV_SW_SX_S14_S18_S1A_T6_T7_T9_mT8_S1C_bDpT10_ENKUlT_T0_E_clISt17integral_constantIbLb1EES1P_EEDaS1K_S1L_EUlS1K_E_NS1_11comp_targetILNS1_3genE3ELNS1_11target_archE908ELNS1_3gpuE7ELNS1_3repE0EEENS1_30default_config_static_selectorELNS0_4arch9wavefront6targetE0EEEvSY_
    .private_segment_fixed_size: 0
    .sgpr_count:     0
    .sgpr_spill_count: 0
    .symbol:         _ZN7rocprim17ROCPRIM_400000_NS6detail17trampoline_kernelINS0_13select_configILj256ELj13ELNS0_17block_load_methodE3ELS4_3ELS4_3ELNS0_20block_scan_algorithmE0ELj4294967295EEENS1_25partition_config_selectorILNS1_17partition_subalgoE3EjNS0_10empty_typeEbEEZZNS1_14partition_implILS8_3ELb0ES6_jNS0_17counting_iteratorIjlEEPS9_SE_NS0_5tupleIJPjSE_EEENSF_IJSE_SE_EEES9_SG_JZNS1_25segmented_radix_sort_implINS0_14default_configELb1EPKfPfPKlPlN2at6native12_GLOBAL__N_18offset_tEEE10hipError_tPvRmT1_PNSt15iterator_traitsISY_E10value_typeET2_T3_PNSZ_IS14_E10value_typeET4_jRbjT5_S1A_jjP12ihipStream_tbEUljE_EEESV_SW_SX_S14_S18_S1A_T6_T7_T9_mT8_S1C_bDpT10_ENKUlT_T0_E_clISt17integral_constantIbLb1EES1P_EEDaS1K_S1L_EUlS1K_E_NS1_11comp_targetILNS1_3genE3ELNS1_11target_archE908ELNS1_3gpuE7ELNS1_3repE0EEENS1_30default_config_static_selectorELNS0_4arch9wavefront6targetE0EEEvSY_.kd
    .uniform_work_group_size: 1
    .uses_dynamic_stack: false
    .vgpr_count:     0
    .vgpr_spill_count: 0
    .wavefront_size: 32
    .workgroup_processor_mode: 1
  - .args:
      - .offset:         0
        .size:           152
        .value_kind:     by_value
    .group_segment_fixed_size: 0
    .kernarg_segment_align: 8
    .kernarg_segment_size: 152
    .language:       OpenCL C
    .language_version:
      - 2
      - 0
    .max_flat_workgroup_size: 256
    .name:           _ZN7rocprim17ROCPRIM_400000_NS6detail17trampoline_kernelINS0_13select_configILj256ELj13ELNS0_17block_load_methodE3ELS4_3ELS4_3ELNS0_20block_scan_algorithmE0ELj4294967295EEENS1_25partition_config_selectorILNS1_17partition_subalgoE3EjNS0_10empty_typeEbEEZZNS1_14partition_implILS8_3ELb0ES6_jNS0_17counting_iteratorIjlEEPS9_SE_NS0_5tupleIJPjSE_EEENSF_IJSE_SE_EEES9_SG_JZNS1_25segmented_radix_sort_implINS0_14default_configELb1EPKfPfPKlPlN2at6native12_GLOBAL__N_18offset_tEEE10hipError_tPvRmT1_PNSt15iterator_traitsISY_E10value_typeET2_T3_PNSZ_IS14_E10value_typeET4_jRbjT5_S1A_jjP12ihipStream_tbEUljE_EEESV_SW_SX_S14_S18_S1A_T6_T7_T9_mT8_S1C_bDpT10_ENKUlT_T0_E_clISt17integral_constantIbLb1EES1P_EEDaS1K_S1L_EUlS1K_E_NS1_11comp_targetILNS1_3genE2ELNS1_11target_archE906ELNS1_3gpuE6ELNS1_3repE0EEENS1_30default_config_static_selectorELNS0_4arch9wavefront6targetE0EEEvSY_
    .private_segment_fixed_size: 0
    .sgpr_count:     0
    .sgpr_spill_count: 0
    .symbol:         _ZN7rocprim17ROCPRIM_400000_NS6detail17trampoline_kernelINS0_13select_configILj256ELj13ELNS0_17block_load_methodE3ELS4_3ELS4_3ELNS0_20block_scan_algorithmE0ELj4294967295EEENS1_25partition_config_selectorILNS1_17partition_subalgoE3EjNS0_10empty_typeEbEEZZNS1_14partition_implILS8_3ELb0ES6_jNS0_17counting_iteratorIjlEEPS9_SE_NS0_5tupleIJPjSE_EEENSF_IJSE_SE_EEES9_SG_JZNS1_25segmented_radix_sort_implINS0_14default_configELb1EPKfPfPKlPlN2at6native12_GLOBAL__N_18offset_tEEE10hipError_tPvRmT1_PNSt15iterator_traitsISY_E10value_typeET2_T3_PNSZ_IS14_E10value_typeET4_jRbjT5_S1A_jjP12ihipStream_tbEUljE_EEESV_SW_SX_S14_S18_S1A_T6_T7_T9_mT8_S1C_bDpT10_ENKUlT_T0_E_clISt17integral_constantIbLb1EES1P_EEDaS1K_S1L_EUlS1K_E_NS1_11comp_targetILNS1_3genE2ELNS1_11target_archE906ELNS1_3gpuE6ELNS1_3repE0EEENS1_30default_config_static_selectorELNS0_4arch9wavefront6targetE0EEEvSY_.kd
    .uniform_work_group_size: 1
    .uses_dynamic_stack: false
    .vgpr_count:     0
    .vgpr_spill_count: 0
    .wavefront_size: 32
    .workgroup_processor_mode: 1
  - .args:
      - .offset:         0
        .size:           152
        .value_kind:     by_value
    .group_segment_fixed_size: 0
    .kernarg_segment_align: 8
    .kernarg_segment_size: 152
    .language:       OpenCL C
    .language_version:
      - 2
      - 0
    .max_flat_workgroup_size: 256
    .name:           _ZN7rocprim17ROCPRIM_400000_NS6detail17trampoline_kernelINS0_13select_configILj256ELj13ELNS0_17block_load_methodE3ELS4_3ELS4_3ELNS0_20block_scan_algorithmE0ELj4294967295EEENS1_25partition_config_selectorILNS1_17partition_subalgoE3EjNS0_10empty_typeEbEEZZNS1_14partition_implILS8_3ELb0ES6_jNS0_17counting_iteratorIjlEEPS9_SE_NS0_5tupleIJPjSE_EEENSF_IJSE_SE_EEES9_SG_JZNS1_25segmented_radix_sort_implINS0_14default_configELb1EPKfPfPKlPlN2at6native12_GLOBAL__N_18offset_tEEE10hipError_tPvRmT1_PNSt15iterator_traitsISY_E10value_typeET2_T3_PNSZ_IS14_E10value_typeET4_jRbjT5_S1A_jjP12ihipStream_tbEUljE_EEESV_SW_SX_S14_S18_S1A_T6_T7_T9_mT8_S1C_bDpT10_ENKUlT_T0_E_clISt17integral_constantIbLb1EES1P_EEDaS1K_S1L_EUlS1K_E_NS1_11comp_targetILNS1_3genE10ELNS1_11target_archE1200ELNS1_3gpuE4ELNS1_3repE0EEENS1_30default_config_static_selectorELNS0_4arch9wavefront6targetE0EEEvSY_
    .private_segment_fixed_size: 0
    .sgpr_count:     0
    .sgpr_spill_count: 0
    .symbol:         _ZN7rocprim17ROCPRIM_400000_NS6detail17trampoline_kernelINS0_13select_configILj256ELj13ELNS0_17block_load_methodE3ELS4_3ELS4_3ELNS0_20block_scan_algorithmE0ELj4294967295EEENS1_25partition_config_selectorILNS1_17partition_subalgoE3EjNS0_10empty_typeEbEEZZNS1_14partition_implILS8_3ELb0ES6_jNS0_17counting_iteratorIjlEEPS9_SE_NS0_5tupleIJPjSE_EEENSF_IJSE_SE_EEES9_SG_JZNS1_25segmented_radix_sort_implINS0_14default_configELb1EPKfPfPKlPlN2at6native12_GLOBAL__N_18offset_tEEE10hipError_tPvRmT1_PNSt15iterator_traitsISY_E10value_typeET2_T3_PNSZ_IS14_E10value_typeET4_jRbjT5_S1A_jjP12ihipStream_tbEUljE_EEESV_SW_SX_S14_S18_S1A_T6_T7_T9_mT8_S1C_bDpT10_ENKUlT_T0_E_clISt17integral_constantIbLb1EES1P_EEDaS1K_S1L_EUlS1K_E_NS1_11comp_targetILNS1_3genE10ELNS1_11target_archE1200ELNS1_3gpuE4ELNS1_3repE0EEENS1_30default_config_static_selectorELNS0_4arch9wavefront6targetE0EEEvSY_.kd
    .uniform_work_group_size: 1
    .uses_dynamic_stack: false
    .vgpr_count:     0
    .vgpr_spill_count: 0
    .wavefront_size: 32
    .workgroup_processor_mode: 1
  - .args:
      - .offset:         0
        .size:           152
        .value_kind:     by_value
    .group_segment_fixed_size: 0
    .kernarg_segment_align: 8
    .kernarg_segment_size: 152
    .language:       OpenCL C
    .language_version:
      - 2
      - 0
    .max_flat_workgroup_size: 256
    .name:           _ZN7rocprim17ROCPRIM_400000_NS6detail17trampoline_kernelINS0_13select_configILj256ELj13ELNS0_17block_load_methodE3ELS4_3ELS4_3ELNS0_20block_scan_algorithmE0ELj4294967295EEENS1_25partition_config_selectorILNS1_17partition_subalgoE3EjNS0_10empty_typeEbEEZZNS1_14partition_implILS8_3ELb0ES6_jNS0_17counting_iteratorIjlEEPS9_SE_NS0_5tupleIJPjSE_EEENSF_IJSE_SE_EEES9_SG_JZNS1_25segmented_radix_sort_implINS0_14default_configELb1EPKfPfPKlPlN2at6native12_GLOBAL__N_18offset_tEEE10hipError_tPvRmT1_PNSt15iterator_traitsISY_E10value_typeET2_T3_PNSZ_IS14_E10value_typeET4_jRbjT5_S1A_jjP12ihipStream_tbEUljE_EEESV_SW_SX_S14_S18_S1A_T6_T7_T9_mT8_S1C_bDpT10_ENKUlT_T0_E_clISt17integral_constantIbLb1EES1P_EEDaS1K_S1L_EUlS1K_E_NS1_11comp_targetILNS1_3genE9ELNS1_11target_archE1100ELNS1_3gpuE3ELNS1_3repE0EEENS1_30default_config_static_selectorELNS0_4arch9wavefront6targetE0EEEvSY_
    .private_segment_fixed_size: 0
    .sgpr_count:     0
    .sgpr_spill_count: 0
    .symbol:         _ZN7rocprim17ROCPRIM_400000_NS6detail17trampoline_kernelINS0_13select_configILj256ELj13ELNS0_17block_load_methodE3ELS4_3ELS4_3ELNS0_20block_scan_algorithmE0ELj4294967295EEENS1_25partition_config_selectorILNS1_17partition_subalgoE3EjNS0_10empty_typeEbEEZZNS1_14partition_implILS8_3ELb0ES6_jNS0_17counting_iteratorIjlEEPS9_SE_NS0_5tupleIJPjSE_EEENSF_IJSE_SE_EEES9_SG_JZNS1_25segmented_radix_sort_implINS0_14default_configELb1EPKfPfPKlPlN2at6native12_GLOBAL__N_18offset_tEEE10hipError_tPvRmT1_PNSt15iterator_traitsISY_E10value_typeET2_T3_PNSZ_IS14_E10value_typeET4_jRbjT5_S1A_jjP12ihipStream_tbEUljE_EEESV_SW_SX_S14_S18_S1A_T6_T7_T9_mT8_S1C_bDpT10_ENKUlT_T0_E_clISt17integral_constantIbLb1EES1P_EEDaS1K_S1L_EUlS1K_E_NS1_11comp_targetILNS1_3genE9ELNS1_11target_archE1100ELNS1_3gpuE3ELNS1_3repE0EEENS1_30default_config_static_selectorELNS0_4arch9wavefront6targetE0EEEvSY_.kd
    .uniform_work_group_size: 1
    .uses_dynamic_stack: false
    .vgpr_count:     0
    .vgpr_spill_count: 0
    .wavefront_size: 32
    .workgroup_processor_mode: 1
  - .args:
      - .offset:         0
        .size:           152
        .value_kind:     by_value
    .group_segment_fixed_size: 0
    .kernarg_segment_align: 8
    .kernarg_segment_size: 152
    .language:       OpenCL C
    .language_version:
      - 2
      - 0
    .max_flat_workgroup_size: 256
    .name:           _ZN7rocprim17ROCPRIM_400000_NS6detail17trampoline_kernelINS0_13select_configILj256ELj13ELNS0_17block_load_methodE3ELS4_3ELS4_3ELNS0_20block_scan_algorithmE0ELj4294967295EEENS1_25partition_config_selectorILNS1_17partition_subalgoE3EjNS0_10empty_typeEbEEZZNS1_14partition_implILS8_3ELb0ES6_jNS0_17counting_iteratorIjlEEPS9_SE_NS0_5tupleIJPjSE_EEENSF_IJSE_SE_EEES9_SG_JZNS1_25segmented_radix_sort_implINS0_14default_configELb1EPKfPfPKlPlN2at6native12_GLOBAL__N_18offset_tEEE10hipError_tPvRmT1_PNSt15iterator_traitsISY_E10value_typeET2_T3_PNSZ_IS14_E10value_typeET4_jRbjT5_S1A_jjP12ihipStream_tbEUljE_EEESV_SW_SX_S14_S18_S1A_T6_T7_T9_mT8_S1C_bDpT10_ENKUlT_T0_E_clISt17integral_constantIbLb1EES1P_EEDaS1K_S1L_EUlS1K_E_NS1_11comp_targetILNS1_3genE8ELNS1_11target_archE1030ELNS1_3gpuE2ELNS1_3repE0EEENS1_30default_config_static_selectorELNS0_4arch9wavefront6targetE0EEEvSY_
    .private_segment_fixed_size: 0
    .sgpr_count:     0
    .sgpr_spill_count: 0
    .symbol:         _ZN7rocprim17ROCPRIM_400000_NS6detail17trampoline_kernelINS0_13select_configILj256ELj13ELNS0_17block_load_methodE3ELS4_3ELS4_3ELNS0_20block_scan_algorithmE0ELj4294967295EEENS1_25partition_config_selectorILNS1_17partition_subalgoE3EjNS0_10empty_typeEbEEZZNS1_14partition_implILS8_3ELb0ES6_jNS0_17counting_iteratorIjlEEPS9_SE_NS0_5tupleIJPjSE_EEENSF_IJSE_SE_EEES9_SG_JZNS1_25segmented_radix_sort_implINS0_14default_configELb1EPKfPfPKlPlN2at6native12_GLOBAL__N_18offset_tEEE10hipError_tPvRmT1_PNSt15iterator_traitsISY_E10value_typeET2_T3_PNSZ_IS14_E10value_typeET4_jRbjT5_S1A_jjP12ihipStream_tbEUljE_EEESV_SW_SX_S14_S18_S1A_T6_T7_T9_mT8_S1C_bDpT10_ENKUlT_T0_E_clISt17integral_constantIbLb1EES1P_EEDaS1K_S1L_EUlS1K_E_NS1_11comp_targetILNS1_3genE8ELNS1_11target_archE1030ELNS1_3gpuE2ELNS1_3repE0EEENS1_30default_config_static_selectorELNS0_4arch9wavefront6targetE0EEEvSY_.kd
    .uniform_work_group_size: 1
    .uses_dynamic_stack: false
    .vgpr_count:     0
    .vgpr_spill_count: 0
    .wavefront_size: 32
    .workgroup_processor_mode: 1
  - .args:
      - .offset:         0
        .size:           144
        .value_kind:     by_value
    .group_segment_fixed_size: 0
    .kernarg_segment_align: 8
    .kernarg_segment_size: 144
    .language:       OpenCL C
    .language_version:
      - 2
      - 0
    .max_flat_workgroup_size: 256
    .name:           _ZN7rocprim17ROCPRIM_400000_NS6detail17trampoline_kernelINS0_13select_configILj256ELj13ELNS0_17block_load_methodE3ELS4_3ELS4_3ELNS0_20block_scan_algorithmE0ELj4294967295EEENS1_25partition_config_selectorILNS1_17partition_subalgoE3EjNS0_10empty_typeEbEEZZNS1_14partition_implILS8_3ELb0ES6_jNS0_17counting_iteratorIjlEEPS9_SE_NS0_5tupleIJPjSE_EEENSF_IJSE_SE_EEES9_SG_JZNS1_25segmented_radix_sort_implINS0_14default_configELb1EPKfPfPKlPlN2at6native12_GLOBAL__N_18offset_tEEE10hipError_tPvRmT1_PNSt15iterator_traitsISY_E10value_typeET2_T3_PNSZ_IS14_E10value_typeET4_jRbjT5_S1A_jjP12ihipStream_tbEUljE_EEESV_SW_SX_S14_S18_S1A_T6_T7_T9_mT8_S1C_bDpT10_ENKUlT_T0_E_clISt17integral_constantIbLb1EES1O_IbLb0EEEEDaS1K_S1L_EUlS1K_E_NS1_11comp_targetILNS1_3genE0ELNS1_11target_archE4294967295ELNS1_3gpuE0ELNS1_3repE0EEENS1_30default_config_static_selectorELNS0_4arch9wavefront6targetE0EEEvSY_
    .private_segment_fixed_size: 0
    .sgpr_count:     0
    .sgpr_spill_count: 0
    .symbol:         _ZN7rocprim17ROCPRIM_400000_NS6detail17trampoline_kernelINS0_13select_configILj256ELj13ELNS0_17block_load_methodE3ELS4_3ELS4_3ELNS0_20block_scan_algorithmE0ELj4294967295EEENS1_25partition_config_selectorILNS1_17partition_subalgoE3EjNS0_10empty_typeEbEEZZNS1_14partition_implILS8_3ELb0ES6_jNS0_17counting_iteratorIjlEEPS9_SE_NS0_5tupleIJPjSE_EEENSF_IJSE_SE_EEES9_SG_JZNS1_25segmented_radix_sort_implINS0_14default_configELb1EPKfPfPKlPlN2at6native12_GLOBAL__N_18offset_tEEE10hipError_tPvRmT1_PNSt15iterator_traitsISY_E10value_typeET2_T3_PNSZ_IS14_E10value_typeET4_jRbjT5_S1A_jjP12ihipStream_tbEUljE_EEESV_SW_SX_S14_S18_S1A_T6_T7_T9_mT8_S1C_bDpT10_ENKUlT_T0_E_clISt17integral_constantIbLb1EES1O_IbLb0EEEEDaS1K_S1L_EUlS1K_E_NS1_11comp_targetILNS1_3genE0ELNS1_11target_archE4294967295ELNS1_3gpuE0ELNS1_3repE0EEENS1_30default_config_static_selectorELNS0_4arch9wavefront6targetE0EEEvSY_.kd
    .uniform_work_group_size: 1
    .uses_dynamic_stack: false
    .vgpr_count:     0
    .vgpr_spill_count: 0
    .wavefront_size: 32
    .workgroup_processor_mode: 1
  - .args:
      - .offset:         0
        .size:           144
        .value_kind:     by_value
    .group_segment_fixed_size: 0
    .kernarg_segment_align: 8
    .kernarg_segment_size: 144
    .language:       OpenCL C
    .language_version:
      - 2
      - 0
    .max_flat_workgroup_size: 256
    .name:           _ZN7rocprim17ROCPRIM_400000_NS6detail17trampoline_kernelINS0_13select_configILj256ELj13ELNS0_17block_load_methodE3ELS4_3ELS4_3ELNS0_20block_scan_algorithmE0ELj4294967295EEENS1_25partition_config_selectorILNS1_17partition_subalgoE3EjNS0_10empty_typeEbEEZZNS1_14partition_implILS8_3ELb0ES6_jNS0_17counting_iteratorIjlEEPS9_SE_NS0_5tupleIJPjSE_EEENSF_IJSE_SE_EEES9_SG_JZNS1_25segmented_radix_sort_implINS0_14default_configELb1EPKfPfPKlPlN2at6native12_GLOBAL__N_18offset_tEEE10hipError_tPvRmT1_PNSt15iterator_traitsISY_E10value_typeET2_T3_PNSZ_IS14_E10value_typeET4_jRbjT5_S1A_jjP12ihipStream_tbEUljE_EEESV_SW_SX_S14_S18_S1A_T6_T7_T9_mT8_S1C_bDpT10_ENKUlT_T0_E_clISt17integral_constantIbLb1EES1O_IbLb0EEEEDaS1K_S1L_EUlS1K_E_NS1_11comp_targetILNS1_3genE5ELNS1_11target_archE942ELNS1_3gpuE9ELNS1_3repE0EEENS1_30default_config_static_selectorELNS0_4arch9wavefront6targetE0EEEvSY_
    .private_segment_fixed_size: 0
    .sgpr_count:     0
    .sgpr_spill_count: 0
    .symbol:         _ZN7rocprim17ROCPRIM_400000_NS6detail17trampoline_kernelINS0_13select_configILj256ELj13ELNS0_17block_load_methodE3ELS4_3ELS4_3ELNS0_20block_scan_algorithmE0ELj4294967295EEENS1_25partition_config_selectorILNS1_17partition_subalgoE3EjNS0_10empty_typeEbEEZZNS1_14partition_implILS8_3ELb0ES6_jNS0_17counting_iteratorIjlEEPS9_SE_NS0_5tupleIJPjSE_EEENSF_IJSE_SE_EEES9_SG_JZNS1_25segmented_radix_sort_implINS0_14default_configELb1EPKfPfPKlPlN2at6native12_GLOBAL__N_18offset_tEEE10hipError_tPvRmT1_PNSt15iterator_traitsISY_E10value_typeET2_T3_PNSZ_IS14_E10value_typeET4_jRbjT5_S1A_jjP12ihipStream_tbEUljE_EEESV_SW_SX_S14_S18_S1A_T6_T7_T9_mT8_S1C_bDpT10_ENKUlT_T0_E_clISt17integral_constantIbLb1EES1O_IbLb0EEEEDaS1K_S1L_EUlS1K_E_NS1_11comp_targetILNS1_3genE5ELNS1_11target_archE942ELNS1_3gpuE9ELNS1_3repE0EEENS1_30default_config_static_selectorELNS0_4arch9wavefront6targetE0EEEvSY_.kd
    .uniform_work_group_size: 1
    .uses_dynamic_stack: false
    .vgpr_count:     0
    .vgpr_spill_count: 0
    .wavefront_size: 32
    .workgroup_processor_mode: 1
  - .args:
      - .offset:         0
        .size:           144
        .value_kind:     by_value
    .group_segment_fixed_size: 0
    .kernarg_segment_align: 8
    .kernarg_segment_size: 144
    .language:       OpenCL C
    .language_version:
      - 2
      - 0
    .max_flat_workgroup_size: 256
    .name:           _ZN7rocprim17ROCPRIM_400000_NS6detail17trampoline_kernelINS0_13select_configILj256ELj13ELNS0_17block_load_methodE3ELS4_3ELS4_3ELNS0_20block_scan_algorithmE0ELj4294967295EEENS1_25partition_config_selectorILNS1_17partition_subalgoE3EjNS0_10empty_typeEbEEZZNS1_14partition_implILS8_3ELb0ES6_jNS0_17counting_iteratorIjlEEPS9_SE_NS0_5tupleIJPjSE_EEENSF_IJSE_SE_EEES9_SG_JZNS1_25segmented_radix_sort_implINS0_14default_configELb1EPKfPfPKlPlN2at6native12_GLOBAL__N_18offset_tEEE10hipError_tPvRmT1_PNSt15iterator_traitsISY_E10value_typeET2_T3_PNSZ_IS14_E10value_typeET4_jRbjT5_S1A_jjP12ihipStream_tbEUljE_EEESV_SW_SX_S14_S18_S1A_T6_T7_T9_mT8_S1C_bDpT10_ENKUlT_T0_E_clISt17integral_constantIbLb1EES1O_IbLb0EEEEDaS1K_S1L_EUlS1K_E_NS1_11comp_targetILNS1_3genE4ELNS1_11target_archE910ELNS1_3gpuE8ELNS1_3repE0EEENS1_30default_config_static_selectorELNS0_4arch9wavefront6targetE0EEEvSY_
    .private_segment_fixed_size: 0
    .sgpr_count:     0
    .sgpr_spill_count: 0
    .symbol:         _ZN7rocprim17ROCPRIM_400000_NS6detail17trampoline_kernelINS0_13select_configILj256ELj13ELNS0_17block_load_methodE3ELS4_3ELS4_3ELNS0_20block_scan_algorithmE0ELj4294967295EEENS1_25partition_config_selectorILNS1_17partition_subalgoE3EjNS0_10empty_typeEbEEZZNS1_14partition_implILS8_3ELb0ES6_jNS0_17counting_iteratorIjlEEPS9_SE_NS0_5tupleIJPjSE_EEENSF_IJSE_SE_EEES9_SG_JZNS1_25segmented_radix_sort_implINS0_14default_configELb1EPKfPfPKlPlN2at6native12_GLOBAL__N_18offset_tEEE10hipError_tPvRmT1_PNSt15iterator_traitsISY_E10value_typeET2_T3_PNSZ_IS14_E10value_typeET4_jRbjT5_S1A_jjP12ihipStream_tbEUljE_EEESV_SW_SX_S14_S18_S1A_T6_T7_T9_mT8_S1C_bDpT10_ENKUlT_T0_E_clISt17integral_constantIbLb1EES1O_IbLb0EEEEDaS1K_S1L_EUlS1K_E_NS1_11comp_targetILNS1_3genE4ELNS1_11target_archE910ELNS1_3gpuE8ELNS1_3repE0EEENS1_30default_config_static_selectorELNS0_4arch9wavefront6targetE0EEEvSY_.kd
    .uniform_work_group_size: 1
    .uses_dynamic_stack: false
    .vgpr_count:     0
    .vgpr_spill_count: 0
    .wavefront_size: 32
    .workgroup_processor_mode: 1
  - .args:
      - .offset:         0
        .size:           144
        .value_kind:     by_value
    .group_segment_fixed_size: 0
    .kernarg_segment_align: 8
    .kernarg_segment_size: 144
    .language:       OpenCL C
    .language_version:
      - 2
      - 0
    .max_flat_workgroup_size: 256
    .name:           _ZN7rocprim17ROCPRIM_400000_NS6detail17trampoline_kernelINS0_13select_configILj256ELj13ELNS0_17block_load_methodE3ELS4_3ELS4_3ELNS0_20block_scan_algorithmE0ELj4294967295EEENS1_25partition_config_selectorILNS1_17partition_subalgoE3EjNS0_10empty_typeEbEEZZNS1_14partition_implILS8_3ELb0ES6_jNS0_17counting_iteratorIjlEEPS9_SE_NS0_5tupleIJPjSE_EEENSF_IJSE_SE_EEES9_SG_JZNS1_25segmented_radix_sort_implINS0_14default_configELb1EPKfPfPKlPlN2at6native12_GLOBAL__N_18offset_tEEE10hipError_tPvRmT1_PNSt15iterator_traitsISY_E10value_typeET2_T3_PNSZ_IS14_E10value_typeET4_jRbjT5_S1A_jjP12ihipStream_tbEUljE_EEESV_SW_SX_S14_S18_S1A_T6_T7_T9_mT8_S1C_bDpT10_ENKUlT_T0_E_clISt17integral_constantIbLb1EES1O_IbLb0EEEEDaS1K_S1L_EUlS1K_E_NS1_11comp_targetILNS1_3genE3ELNS1_11target_archE908ELNS1_3gpuE7ELNS1_3repE0EEENS1_30default_config_static_selectorELNS0_4arch9wavefront6targetE0EEEvSY_
    .private_segment_fixed_size: 0
    .sgpr_count:     0
    .sgpr_spill_count: 0
    .symbol:         _ZN7rocprim17ROCPRIM_400000_NS6detail17trampoline_kernelINS0_13select_configILj256ELj13ELNS0_17block_load_methodE3ELS4_3ELS4_3ELNS0_20block_scan_algorithmE0ELj4294967295EEENS1_25partition_config_selectorILNS1_17partition_subalgoE3EjNS0_10empty_typeEbEEZZNS1_14partition_implILS8_3ELb0ES6_jNS0_17counting_iteratorIjlEEPS9_SE_NS0_5tupleIJPjSE_EEENSF_IJSE_SE_EEES9_SG_JZNS1_25segmented_radix_sort_implINS0_14default_configELb1EPKfPfPKlPlN2at6native12_GLOBAL__N_18offset_tEEE10hipError_tPvRmT1_PNSt15iterator_traitsISY_E10value_typeET2_T3_PNSZ_IS14_E10value_typeET4_jRbjT5_S1A_jjP12ihipStream_tbEUljE_EEESV_SW_SX_S14_S18_S1A_T6_T7_T9_mT8_S1C_bDpT10_ENKUlT_T0_E_clISt17integral_constantIbLb1EES1O_IbLb0EEEEDaS1K_S1L_EUlS1K_E_NS1_11comp_targetILNS1_3genE3ELNS1_11target_archE908ELNS1_3gpuE7ELNS1_3repE0EEENS1_30default_config_static_selectorELNS0_4arch9wavefront6targetE0EEEvSY_.kd
    .uniform_work_group_size: 1
    .uses_dynamic_stack: false
    .vgpr_count:     0
    .vgpr_spill_count: 0
    .wavefront_size: 32
    .workgroup_processor_mode: 1
  - .args:
      - .offset:         0
        .size:           144
        .value_kind:     by_value
    .group_segment_fixed_size: 0
    .kernarg_segment_align: 8
    .kernarg_segment_size: 144
    .language:       OpenCL C
    .language_version:
      - 2
      - 0
    .max_flat_workgroup_size: 256
    .name:           _ZN7rocprim17ROCPRIM_400000_NS6detail17trampoline_kernelINS0_13select_configILj256ELj13ELNS0_17block_load_methodE3ELS4_3ELS4_3ELNS0_20block_scan_algorithmE0ELj4294967295EEENS1_25partition_config_selectorILNS1_17partition_subalgoE3EjNS0_10empty_typeEbEEZZNS1_14partition_implILS8_3ELb0ES6_jNS0_17counting_iteratorIjlEEPS9_SE_NS0_5tupleIJPjSE_EEENSF_IJSE_SE_EEES9_SG_JZNS1_25segmented_radix_sort_implINS0_14default_configELb1EPKfPfPKlPlN2at6native12_GLOBAL__N_18offset_tEEE10hipError_tPvRmT1_PNSt15iterator_traitsISY_E10value_typeET2_T3_PNSZ_IS14_E10value_typeET4_jRbjT5_S1A_jjP12ihipStream_tbEUljE_EEESV_SW_SX_S14_S18_S1A_T6_T7_T9_mT8_S1C_bDpT10_ENKUlT_T0_E_clISt17integral_constantIbLb1EES1O_IbLb0EEEEDaS1K_S1L_EUlS1K_E_NS1_11comp_targetILNS1_3genE2ELNS1_11target_archE906ELNS1_3gpuE6ELNS1_3repE0EEENS1_30default_config_static_selectorELNS0_4arch9wavefront6targetE0EEEvSY_
    .private_segment_fixed_size: 0
    .sgpr_count:     0
    .sgpr_spill_count: 0
    .symbol:         _ZN7rocprim17ROCPRIM_400000_NS6detail17trampoline_kernelINS0_13select_configILj256ELj13ELNS0_17block_load_methodE3ELS4_3ELS4_3ELNS0_20block_scan_algorithmE0ELj4294967295EEENS1_25partition_config_selectorILNS1_17partition_subalgoE3EjNS0_10empty_typeEbEEZZNS1_14partition_implILS8_3ELb0ES6_jNS0_17counting_iteratorIjlEEPS9_SE_NS0_5tupleIJPjSE_EEENSF_IJSE_SE_EEES9_SG_JZNS1_25segmented_radix_sort_implINS0_14default_configELb1EPKfPfPKlPlN2at6native12_GLOBAL__N_18offset_tEEE10hipError_tPvRmT1_PNSt15iterator_traitsISY_E10value_typeET2_T3_PNSZ_IS14_E10value_typeET4_jRbjT5_S1A_jjP12ihipStream_tbEUljE_EEESV_SW_SX_S14_S18_S1A_T6_T7_T9_mT8_S1C_bDpT10_ENKUlT_T0_E_clISt17integral_constantIbLb1EES1O_IbLb0EEEEDaS1K_S1L_EUlS1K_E_NS1_11comp_targetILNS1_3genE2ELNS1_11target_archE906ELNS1_3gpuE6ELNS1_3repE0EEENS1_30default_config_static_selectorELNS0_4arch9wavefront6targetE0EEEvSY_.kd
    .uniform_work_group_size: 1
    .uses_dynamic_stack: false
    .vgpr_count:     0
    .vgpr_spill_count: 0
    .wavefront_size: 32
    .workgroup_processor_mode: 1
  - .args:
      - .offset:         0
        .size:           144
        .value_kind:     by_value
    .group_segment_fixed_size: 0
    .kernarg_segment_align: 8
    .kernarg_segment_size: 144
    .language:       OpenCL C
    .language_version:
      - 2
      - 0
    .max_flat_workgroup_size: 256
    .name:           _ZN7rocprim17ROCPRIM_400000_NS6detail17trampoline_kernelINS0_13select_configILj256ELj13ELNS0_17block_load_methodE3ELS4_3ELS4_3ELNS0_20block_scan_algorithmE0ELj4294967295EEENS1_25partition_config_selectorILNS1_17partition_subalgoE3EjNS0_10empty_typeEbEEZZNS1_14partition_implILS8_3ELb0ES6_jNS0_17counting_iteratorIjlEEPS9_SE_NS0_5tupleIJPjSE_EEENSF_IJSE_SE_EEES9_SG_JZNS1_25segmented_radix_sort_implINS0_14default_configELb1EPKfPfPKlPlN2at6native12_GLOBAL__N_18offset_tEEE10hipError_tPvRmT1_PNSt15iterator_traitsISY_E10value_typeET2_T3_PNSZ_IS14_E10value_typeET4_jRbjT5_S1A_jjP12ihipStream_tbEUljE_EEESV_SW_SX_S14_S18_S1A_T6_T7_T9_mT8_S1C_bDpT10_ENKUlT_T0_E_clISt17integral_constantIbLb1EES1O_IbLb0EEEEDaS1K_S1L_EUlS1K_E_NS1_11comp_targetILNS1_3genE10ELNS1_11target_archE1200ELNS1_3gpuE4ELNS1_3repE0EEENS1_30default_config_static_selectorELNS0_4arch9wavefront6targetE0EEEvSY_
    .private_segment_fixed_size: 0
    .sgpr_count:     0
    .sgpr_spill_count: 0
    .symbol:         _ZN7rocprim17ROCPRIM_400000_NS6detail17trampoline_kernelINS0_13select_configILj256ELj13ELNS0_17block_load_methodE3ELS4_3ELS4_3ELNS0_20block_scan_algorithmE0ELj4294967295EEENS1_25partition_config_selectorILNS1_17partition_subalgoE3EjNS0_10empty_typeEbEEZZNS1_14partition_implILS8_3ELb0ES6_jNS0_17counting_iteratorIjlEEPS9_SE_NS0_5tupleIJPjSE_EEENSF_IJSE_SE_EEES9_SG_JZNS1_25segmented_radix_sort_implINS0_14default_configELb1EPKfPfPKlPlN2at6native12_GLOBAL__N_18offset_tEEE10hipError_tPvRmT1_PNSt15iterator_traitsISY_E10value_typeET2_T3_PNSZ_IS14_E10value_typeET4_jRbjT5_S1A_jjP12ihipStream_tbEUljE_EEESV_SW_SX_S14_S18_S1A_T6_T7_T9_mT8_S1C_bDpT10_ENKUlT_T0_E_clISt17integral_constantIbLb1EES1O_IbLb0EEEEDaS1K_S1L_EUlS1K_E_NS1_11comp_targetILNS1_3genE10ELNS1_11target_archE1200ELNS1_3gpuE4ELNS1_3repE0EEENS1_30default_config_static_selectorELNS0_4arch9wavefront6targetE0EEEvSY_.kd
    .uniform_work_group_size: 1
    .uses_dynamic_stack: false
    .vgpr_count:     0
    .vgpr_spill_count: 0
    .wavefront_size: 32
    .workgroup_processor_mode: 1
  - .args:
      - .offset:         0
        .size:           144
        .value_kind:     by_value
    .group_segment_fixed_size: 0
    .kernarg_segment_align: 8
    .kernarg_segment_size: 144
    .language:       OpenCL C
    .language_version:
      - 2
      - 0
    .max_flat_workgroup_size: 256
    .name:           _ZN7rocprim17ROCPRIM_400000_NS6detail17trampoline_kernelINS0_13select_configILj256ELj13ELNS0_17block_load_methodE3ELS4_3ELS4_3ELNS0_20block_scan_algorithmE0ELj4294967295EEENS1_25partition_config_selectorILNS1_17partition_subalgoE3EjNS0_10empty_typeEbEEZZNS1_14partition_implILS8_3ELb0ES6_jNS0_17counting_iteratorIjlEEPS9_SE_NS0_5tupleIJPjSE_EEENSF_IJSE_SE_EEES9_SG_JZNS1_25segmented_radix_sort_implINS0_14default_configELb1EPKfPfPKlPlN2at6native12_GLOBAL__N_18offset_tEEE10hipError_tPvRmT1_PNSt15iterator_traitsISY_E10value_typeET2_T3_PNSZ_IS14_E10value_typeET4_jRbjT5_S1A_jjP12ihipStream_tbEUljE_EEESV_SW_SX_S14_S18_S1A_T6_T7_T9_mT8_S1C_bDpT10_ENKUlT_T0_E_clISt17integral_constantIbLb1EES1O_IbLb0EEEEDaS1K_S1L_EUlS1K_E_NS1_11comp_targetILNS1_3genE9ELNS1_11target_archE1100ELNS1_3gpuE3ELNS1_3repE0EEENS1_30default_config_static_selectorELNS0_4arch9wavefront6targetE0EEEvSY_
    .private_segment_fixed_size: 0
    .sgpr_count:     0
    .sgpr_spill_count: 0
    .symbol:         _ZN7rocprim17ROCPRIM_400000_NS6detail17trampoline_kernelINS0_13select_configILj256ELj13ELNS0_17block_load_methodE3ELS4_3ELS4_3ELNS0_20block_scan_algorithmE0ELj4294967295EEENS1_25partition_config_selectorILNS1_17partition_subalgoE3EjNS0_10empty_typeEbEEZZNS1_14partition_implILS8_3ELb0ES6_jNS0_17counting_iteratorIjlEEPS9_SE_NS0_5tupleIJPjSE_EEENSF_IJSE_SE_EEES9_SG_JZNS1_25segmented_radix_sort_implINS0_14default_configELb1EPKfPfPKlPlN2at6native12_GLOBAL__N_18offset_tEEE10hipError_tPvRmT1_PNSt15iterator_traitsISY_E10value_typeET2_T3_PNSZ_IS14_E10value_typeET4_jRbjT5_S1A_jjP12ihipStream_tbEUljE_EEESV_SW_SX_S14_S18_S1A_T6_T7_T9_mT8_S1C_bDpT10_ENKUlT_T0_E_clISt17integral_constantIbLb1EES1O_IbLb0EEEEDaS1K_S1L_EUlS1K_E_NS1_11comp_targetILNS1_3genE9ELNS1_11target_archE1100ELNS1_3gpuE3ELNS1_3repE0EEENS1_30default_config_static_selectorELNS0_4arch9wavefront6targetE0EEEvSY_.kd
    .uniform_work_group_size: 1
    .uses_dynamic_stack: false
    .vgpr_count:     0
    .vgpr_spill_count: 0
    .wavefront_size: 32
    .workgroup_processor_mode: 1
  - .args:
      - .offset:         0
        .size:           144
        .value_kind:     by_value
    .group_segment_fixed_size: 0
    .kernarg_segment_align: 8
    .kernarg_segment_size: 144
    .language:       OpenCL C
    .language_version:
      - 2
      - 0
    .max_flat_workgroup_size: 256
    .name:           _ZN7rocprim17ROCPRIM_400000_NS6detail17trampoline_kernelINS0_13select_configILj256ELj13ELNS0_17block_load_methodE3ELS4_3ELS4_3ELNS0_20block_scan_algorithmE0ELj4294967295EEENS1_25partition_config_selectorILNS1_17partition_subalgoE3EjNS0_10empty_typeEbEEZZNS1_14partition_implILS8_3ELb0ES6_jNS0_17counting_iteratorIjlEEPS9_SE_NS0_5tupleIJPjSE_EEENSF_IJSE_SE_EEES9_SG_JZNS1_25segmented_radix_sort_implINS0_14default_configELb1EPKfPfPKlPlN2at6native12_GLOBAL__N_18offset_tEEE10hipError_tPvRmT1_PNSt15iterator_traitsISY_E10value_typeET2_T3_PNSZ_IS14_E10value_typeET4_jRbjT5_S1A_jjP12ihipStream_tbEUljE_EEESV_SW_SX_S14_S18_S1A_T6_T7_T9_mT8_S1C_bDpT10_ENKUlT_T0_E_clISt17integral_constantIbLb1EES1O_IbLb0EEEEDaS1K_S1L_EUlS1K_E_NS1_11comp_targetILNS1_3genE8ELNS1_11target_archE1030ELNS1_3gpuE2ELNS1_3repE0EEENS1_30default_config_static_selectorELNS0_4arch9wavefront6targetE0EEEvSY_
    .private_segment_fixed_size: 0
    .sgpr_count:     0
    .sgpr_spill_count: 0
    .symbol:         _ZN7rocprim17ROCPRIM_400000_NS6detail17trampoline_kernelINS0_13select_configILj256ELj13ELNS0_17block_load_methodE3ELS4_3ELS4_3ELNS0_20block_scan_algorithmE0ELj4294967295EEENS1_25partition_config_selectorILNS1_17partition_subalgoE3EjNS0_10empty_typeEbEEZZNS1_14partition_implILS8_3ELb0ES6_jNS0_17counting_iteratorIjlEEPS9_SE_NS0_5tupleIJPjSE_EEENSF_IJSE_SE_EEES9_SG_JZNS1_25segmented_radix_sort_implINS0_14default_configELb1EPKfPfPKlPlN2at6native12_GLOBAL__N_18offset_tEEE10hipError_tPvRmT1_PNSt15iterator_traitsISY_E10value_typeET2_T3_PNSZ_IS14_E10value_typeET4_jRbjT5_S1A_jjP12ihipStream_tbEUljE_EEESV_SW_SX_S14_S18_S1A_T6_T7_T9_mT8_S1C_bDpT10_ENKUlT_T0_E_clISt17integral_constantIbLb1EES1O_IbLb0EEEEDaS1K_S1L_EUlS1K_E_NS1_11comp_targetILNS1_3genE8ELNS1_11target_archE1030ELNS1_3gpuE2ELNS1_3repE0EEENS1_30default_config_static_selectorELNS0_4arch9wavefront6targetE0EEEvSY_.kd
    .uniform_work_group_size: 1
    .uses_dynamic_stack: false
    .vgpr_count:     0
    .vgpr_spill_count: 0
    .wavefront_size: 32
    .workgroup_processor_mode: 1
  - .args:
      - .offset:         0
        .size:           152
        .value_kind:     by_value
    .group_segment_fixed_size: 0
    .kernarg_segment_align: 8
    .kernarg_segment_size: 152
    .language:       OpenCL C
    .language_version:
      - 2
      - 0
    .max_flat_workgroup_size: 256
    .name:           _ZN7rocprim17ROCPRIM_400000_NS6detail17trampoline_kernelINS0_13select_configILj256ELj13ELNS0_17block_load_methodE3ELS4_3ELS4_3ELNS0_20block_scan_algorithmE0ELj4294967295EEENS1_25partition_config_selectorILNS1_17partition_subalgoE3EjNS0_10empty_typeEbEEZZNS1_14partition_implILS8_3ELb0ES6_jNS0_17counting_iteratorIjlEEPS9_SE_NS0_5tupleIJPjSE_EEENSF_IJSE_SE_EEES9_SG_JZNS1_25segmented_radix_sort_implINS0_14default_configELb1EPKfPfPKlPlN2at6native12_GLOBAL__N_18offset_tEEE10hipError_tPvRmT1_PNSt15iterator_traitsISY_E10value_typeET2_T3_PNSZ_IS14_E10value_typeET4_jRbjT5_S1A_jjP12ihipStream_tbEUljE_EEESV_SW_SX_S14_S18_S1A_T6_T7_T9_mT8_S1C_bDpT10_ENKUlT_T0_E_clISt17integral_constantIbLb0EES1O_IbLb1EEEEDaS1K_S1L_EUlS1K_E_NS1_11comp_targetILNS1_3genE0ELNS1_11target_archE4294967295ELNS1_3gpuE0ELNS1_3repE0EEENS1_30default_config_static_selectorELNS0_4arch9wavefront6targetE0EEEvSY_
    .private_segment_fixed_size: 0
    .sgpr_count:     0
    .sgpr_spill_count: 0
    .symbol:         _ZN7rocprim17ROCPRIM_400000_NS6detail17trampoline_kernelINS0_13select_configILj256ELj13ELNS0_17block_load_methodE3ELS4_3ELS4_3ELNS0_20block_scan_algorithmE0ELj4294967295EEENS1_25partition_config_selectorILNS1_17partition_subalgoE3EjNS0_10empty_typeEbEEZZNS1_14partition_implILS8_3ELb0ES6_jNS0_17counting_iteratorIjlEEPS9_SE_NS0_5tupleIJPjSE_EEENSF_IJSE_SE_EEES9_SG_JZNS1_25segmented_radix_sort_implINS0_14default_configELb1EPKfPfPKlPlN2at6native12_GLOBAL__N_18offset_tEEE10hipError_tPvRmT1_PNSt15iterator_traitsISY_E10value_typeET2_T3_PNSZ_IS14_E10value_typeET4_jRbjT5_S1A_jjP12ihipStream_tbEUljE_EEESV_SW_SX_S14_S18_S1A_T6_T7_T9_mT8_S1C_bDpT10_ENKUlT_T0_E_clISt17integral_constantIbLb0EES1O_IbLb1EEEEDaS1K_S1L_EUlS1K_E_NS1_11comp_targetILNS1_3genE0ELNS1_11target_archE4294967295ELNS1_3gpuE0ELNS1_3repE0EEENS1_30default_config_static_selectorELNS0_4arch9wavefront6targetE0EEEvSY_.kd
    .uniform_work_group_size: 1
    .uses_dynamic_stack: false
    .vgpr_count:     0
    .vgpr_spill_count: 0
    .wavefront_size: 32
    .workgroup_processor_mode: 1
  - .args:
      - .offset:         0
        .size:           152
        .value_kind:     by_value
    .group_segment_fixed_size: 0
    .kernarg_segment_align: 8
    .kernarg_segment_size: 152
    .language:       OpenCL C
    .language_version:
      - 2
      - 0
    .max_flat_workgroup_size: 256
    .name:           _ZN7rocprim17ROCPRIM_400000_NS6detail17trampoline_kernelINS0_13select_configILj256ELj13ELNS0_17block_load_methodE3ELS4_3ELS4_3ELNS0_20block_scan_algorithmE0ELj4294967295EEENS1_25partition_config_selectorILNS1_17partition_subalgoE3EjNS0_10empty_typeEbEEZZNS1_14partition_implILS8_3ELb0ES6_jNS0_17counting_iteratorIjlEEPS9_SE_NS0_5tupleIJPjSE_EEENSF_IJSE_SE_EEES9_SG_JZNS1_25segmented_radix_sort_implINS0_14default_configELb1EPKfPfPKlPlN2at6native12_GLOBAL__N_18offset_tEEE10hipError_tPvRmT1_PNSt15iterator_traitsISY_E10value_typeET2_T3_PNSZ_IS14_E10value_typeET4_jRbjT5_S1A_jjP12ihipStream_tbEUljE_EEESV_SW_SX_S14_S18_S1A_T6_T7_T9_mT8_S1C_bDpT10_ENKUlT_T0_E_clISt17integral_constantIbLb0EES1O_IbLb1EEEEDaS1K_S1L_EUlS1K_E_NS1_11comp_targetILNS1_3genE5ELNS1_11target_archE942ELNS1_3gpuE9ELNS1_3repE0EEENS1_30default_config_static_selectorELNS0_4arch9wavefront6targetE0EEEvSY_
    .private_segment_fixed_size: 0
    .sgpr_count:     0
    .sgpr_spill_count: 0
    .symbol:         _ZN7rocprim17ROCPRIM_400000_NS6detail17trampoline_kernelINS0_13select_configILj256ELj13ELNS0_17block_load_methodE3ELS4_3ELS4_3ELNS0_20block_scan_algorithmE0ELj4294967295EEENS1_25partition_config_selectorILNS1_17partition_subalgoE3EjNS0_10empty_typeEbEEZZNS1_14partition_implILS8_3ELb0ES6_jNS0_17counting_iteratorIjlEEPS9_SE_NS0_5tupleIJPjSE_EEENSF_IJSE_SE_EEES9_SG_JZNS1_25segmented_radix_sort_implINS0_14default_configELb1EPKfPfPKlPlN2at6native12_GLOBAL__N_18offset_tEEE10hipError_tPvRmT1_PNSt15iterator_traitsISY_E10value_typeET2_T3_PNSZ_IS14_E10value_typeET4_jRbjT5_S1A_jjP12ihipStream_tbEUljE_EEESV_SW_SX_S14_S18_S1A_T6_T7_T9_mT8_S1C_bDpT10_ENKUlT_T0_E_clISt17integral_constantIbLb0EES1O_IbLb1EEEEDaS1K_S1L_EUlS1K_E_NS1_11comp_targetILNS1_3genE5ELNS1_11target_archE942ELNS1_3gpuE9ELNS1_3repE0EEENS1_30default_config_static_selectorELNS0_4arch9wavefront6targetE0EEEvSY_.kd
    .uniform_work_group_size: 1
    .uses_dynamic_stack: false
    .vgpr_count:     0
    .vgpr_spill_count: 0
    .wavefront_size: 32
    .workgroup_processor_mode: 1
  - .args:
      - .offset:         0
        .size:           152
        .value_kind:     by_value
    .group_segment_fixed_size: 0
    .kernarg_segment_align: 8
    .kernarg_segment_size: 152
    .language:       OpenCL C
    .language_version:
      - 2
      - 0
    .max_flat_workgroup_size: 256
    .name:           _ZN7rocprim17ROCPRIM_400000_NS6detail17trampoline_kernelINS0_13select_configILj256ELj13ELNS0_17block_load_methodE3ELS4_3ELS4_3ELNS0_20block_scan_algorithmE0ELj4294967295EEENS1_25partition_config_selectorILNS1_17partition_subalgoE3EjNS0_10empty_typeEbEEZZNS1_14partition_implILS8_3ELb0ES6_jNS0_17counting_iteratorIjlEEPS9_SE_NS0_5tupleIJPjSE_EEENSF_IJSE_SE_EEES9_SG_JZNS1_25segmented_radix_sort_implINS0_14default_configELb1EPKfPfPKlPlN2at6native12_GLOBAL__N_18offset_tEEE10hipError_tPvRmT1_PNSt15iterator_traitsISY_E10value_typeET2_T3_PNSZ_IS14_E10value_typeET4_jRbjT5_S1A_jjP12ihipStream_tbEUljE_EEESV_SW_SX_S14_S18_S1A_T6_T7_T9_mT8_S1C_bDpT10_ENKUlT_T0_E_clISt17integral_constantIbLb0EES1O_IbLb1EEEEDaS1K_S1L_EUlS1K_E_NS1_11comp_targetILNS1_3genE4ELNS1_11target_archE910ELNS1_3gpuE8ELNS1_3repE0EEENS1_30default_config_static_selectorELNS0_4arch9wavefront6targetE0EEEvSY_
    .private_segment_fixed_size: 0
    .sgpr_count:     0
    .sgpr_spill_count: 0
    .symbol:         _ZN7rocprim17ROCPRIM_400000_NS6detail17trampoline_kernelINS0_13select_configILj256ELj13ELNS0_17block_load_methodE3ELS4_3ELS4_3ELNS0_20block_scan_algorithmE0ELj4294967295EEENS1_25partition_config_selectorILNS1_17partition_subalgoE3EjNS0_10empty_typeEbEEZZNS1_14partition_implILS8_3ELb0ES6_jNS0_17counting_iteratorIjlEEPS9_SE_NS0_5tupleIJPjSE_EEENSF_IJSE_SE_EEES9_SG_JZNS1_25segmented_radix_sort_implINS0_14default_configELb1EPKfPfPKlPlN2at6native12_GLOBAL__N_18offset_tEEE10hipError_tPvRmT1_PNSt15iterator_traitsISY_E10value_typeET2_T3_PNSZ_IS14_E10value_typeET4_jRbjT5_S1A_jjP12ihipStream_tbEUljE_EEESV_SW_SX_S14_S18_S1A_T6_T7_T9_mT8_S1C_bDpT10_ENKUlT_T0_E_clISt17integral_constantIbLb0EES1O_IbLb1EEEEDaS1K_S1L_EUlS1K_E_NS1_11comp_targetILNS1_3genE4ELNS1_11target_archE910ELNS1_3gpuE8ELNS1_3repE0EEENS1_30default_config_static_selectorELNS0_4arch9wavefront6targetE0EEEvSY_.kd
    .uniform_work_group_size: 1
    .uses_dynamic_stack: false
    .vgpr_count:     0
    .vgpr_spill_count: 0
    .wavefront_size: 32
    .workgroup_processor_mode: 1
  - .args:
      - .offset:         0
        .size:           152
        .value_kind:     by_value
    .group_segment_fixed_size: 0
    .kernarg_segment_align: 8
    .kernarg_segment_size: 152
    .language:       OpenCL C
    .language_version:
      - 2
      - 0
    .max_flat_workgroup_size: 256
    .name:           _ZN7rocprim17ROCPRIM_400000_NS6detail17trampoline_kernelINS0_13select_configILj256ELj13ELNS0_17block_load_methodE3ELS4_3ELS4_3ELNS0_20block_scan_algorithmE0ELj4294967295EEENS1_25partition_config_selectorILNS1_17partition_subalgoE3EjNS0_10empty_typeEbEEZZNS1_14partition_implILS8_3ELb0ES6_jNS0_17counting_iteratorIjlEEPS9_SE_NS0_5tupleIJPjSE_EEENSF_IJSE_SE_EEES9_SG_JZNS1_25segmented_radix_sort_implINS0_14default_configELb1EPKfPfPKlPlN2at6native12_GLOBAL__N_18offset_tEEE10hipError_tPvRmT1_PNSt15iterator_traitsISY_E10value_typeET2_T3_PNSZ_IS14_E10value_typeET4_jRbjT5_S1A_jjP12ihipStream_tbEUljE_EEESV_SW_SX_S14_S18_S1A_T6_T7_T9_mT8_S1C_bDpT10_ENKUlT_T0_E_clISt17integral_constantIbLb0EES1O_IbLb1EEEEDaS1K_S1L_EUlS1K_E_NS1_11comp_targetILNS1_3genE3ELNS1_11target_archE908ELNS1_3gpuE7ELNS1_3repE0EEENS1_30default_config_static_selectorELNS0_4arch9wavefront6targetE0EEEvSY_
    .private_segment_fixed_size: 0
    .sgpr_count:     0
    .sgpr_spill_count: 0
    .symbol:         _ZN7rocprim17ROCPRIM_400000_NS6detail17trampoline_kernelINS0_13select_configILj256ELj13ELNS0_17block_load_methodE3ELS4_3ELS4_3ELNS0_20block_scan_algorithmE0ELj4294967295EEENS1_25partition_config_selectorILNS1_17partition_subalgoE3EjNS0_10empty_typeEbEEZZNS1_14partition_implILS8_3ELb0ES6_jNS0_17counting_iteratorIjlEEPS9_SE_NS0_5tupleIJPjSE_EEENSF_IJSE_SE_EEES9_SG_JZNS1_25segmented_radix_sort_implINS0_14default_configELb1EPKfPfPKlPlN2at6native12_GLOBAL__N_18offset_tEEE10hipError_tPvRmT1_PNSt15iterator_traitsISY_E10value_typeET2_T3_PNSZ_IS14_E10value_typeET4_jRbjT5_S1A_jjP12ihipStream_tbEUljE_EEESV_SW_SX_S14_S18_S1A_T6_T7_T9_mT8_S1C_bDpT10_ENKUlT_T0_E_clISt17integral_constantIbLb0EES1O_IbLb1EEEEDaS1K_S1L_EUlS1K_E_NS1_11comp_targetILNS1_3genE3ELNS1_11target_archE908ELNS1_3gpuE7ELNS1_3repE0EEENS1_30default_config_static_selectorELNS0_4arch9wavefront6targetE0EEEvSY_.kd
    .uniform_work_group_size: 1
    .uses_dynamic_stack: false
    .vgpr_count:     0
    .vgpr_spill_count: 0
    .wavefront_size: 32
    .workgroup_processor_mode: 1
  - .args:
      - .offset:         0
        .size:           152
        .value_kind:     by_value
    .group_segment_fixed_size: 0
    .kernarg_segment_align: 8
    .kernarg_segment_size: 152
    .language:       OpenCL C
    .language_version:
      - 2
      - 0
    .max_flat_workgroup_size: 256
    .name:           _ZN7rocprim17ROCPRIM_400000_NS6detail17trampoline_kernelINS0_13select_configILj256ELj13ELNS0_17block_load_methodE3ELS4_3ELS4_3ELNS0_20block_scan_algorithmE0ELj4294967295EEENS1_25partition_config_selectorILNS1_17partition_subalgoE3EjNS0_10empty_typeEbEEZZNS1_14partition_implILS8_3ELb0ES6_jNS0_17counting_iteratorIjlEEPS9_SE_NS0_5tupleIJPjSE_EEENSF_IJSE_SE_EEES9_SG_JZNS1_25segmented_radix_sort_implINS0_14default_configELb1EPKfPfPKlPlN2at6native12_GLOBAL__N_18offset_tEEE10hipError_tPvRmT1_PNSt15iterator_traitsISY_E10value_typeET2_T3_PNSZ_IS14_E10value_typeET4_jRbjT5_S1A_jjP12ihipStream_tbEUljE_EEESV_SW_SX_S14_S18_S1A_T6_T7_T9_mT8_S1C_bDpT10_ENKUlT_T0_E_clISt17integral_constantIbLb0EES1O_IbLb1EEEEDaS1K_S1L_EUlS1K_E_NS1_11comp_targetILNS1_3genE2ELNS1_11target_archE906ELNS1_3gpuE6ELNS1_3repE0EEENS1_30default_config_static_selectorELNS0_4arch9wavefront6targetE0EEEvSY_
    .private_segment_fixed_size: 0
    .sgpr_count:     0
    .sgpr_spill_count: 0
    .symbol:         _ZN7rocprim17ROCPRIM_400000_NS6detail17trampoline_kernelINS0_13select_configILj256ELj13ELNS0_17block_load_methodE3ELS4_3ELS4_3ELNS0_20block_scan_algorithmE0ELj4294967295EEENS1_25partition_config_selectorILNS1_17partition_subalgoE3EjNS0_10empty_typeEbEEZZNS1_14partition_implILS8_3ELb0ES6_jNS0_17counting_iteratorIjlEEPS9_SE_NS0_5tupleIJPjSE_EEENSF_IJSE_SE_EEES9_SG_JZNS1_25segmented_radix_sort_implINS0_14default_configELb1EPKfPfPKlPlN2at6native12_GLOBAL__N_18offset_tEEE10hipError_tPvRmT1_PNSt15iterator_traitsISY_E10value_typeET2_T3_PNSZ_IS14_E10value_typeET4_jRbjT5_S1A_jjP12ihipStream_tbEUljE_EEESV_SW_SX_S14_S18_S1A_T6_T7_T9_mT8_S1C_bDpT10_ENKUlT_T0_E_clISt17integral_constantIbLb0EES1O_IbLb1EEEEDaS1K_S1L_EUlS1K_E_NS1_11comp_targetILNS1_3genE2ELNS1_11target_archE906ELNS1_3gpuE6ELNS1_3repE0EEENS1_30default_config_static_selectorELNS0_4arch9wavefront6targetE0EEEvSY_.kd
    .uniform_work_group_size: 1
    .uses_dynamic_stack: false
    .vgpr_count:     0
    .vgpr_spill_count: 0
    .wavefront_size: 32
    .workgroup_processor_mode: 1
  - .args:
      - .offset:         0
        .size:           152
        .value_kind:     by_value
    .group_segment_fixed_size: 13320
    .kernarg_segment_align: 8
    .kernarg_segment_size: 152
    .language:       OpenCL C
    .language_version:
      - 2
      - 0
    .max_flat_workgroup_size: 256
    .name:           _ZN7rocprim17ROCPRIM_400000_NS6detail17trampoline_kernelINS0_13select_configILj256ELj13ELNS0_17block_load_methodE3ELS4_3ELS4_3ELNS0_20block_scan_algorithmE0ELj4294967295EEENS1_25partition_config_selectorILNS1_17partition_subalgoE3EjNS0_10empty_typeEbEEZZNS1_14partition_implILS8_3ELb0ES6_jNS0_17counting_iteratorIjlEEPS9_SE_NS0_5tupleIJPjSE_EEENSF_IJSE_SE_EEES9_SG_JZNS1_25segmented_radix_sort_implINS0_14default_configELb1EPKfPfPKlPlN2at6native12_GLOBAL__N_18offset_tEEE10hipError_tPvRmT1_PNSt15iterator_traitsISY_E10value_typeET2_T3_PNSZ_IS14_E10value_typeET4_jRbjT5_S1A_jjP12ihipStream_tbEUljE_EEESV_SW_SX_S14_S18_S1A_T6_T7_T9_mT8_S1C_bDpT10_ENKUlT_T0_E_clISt17integral_constantIbLb0EES1O_IbLb1EEEEDaS1K_S1L_EUlS1K_E_NS1_11comp_targetILNS1_3genE10ELNS1_11target_archE1200ELNS1_3gpuE4ELNS1_3repE0EEENS1_30default_config_static_selectorELNS0_4arch9wavefront6targetE0EEEvSY_
    .private_segment_fixed_size: 0
    .sgpr_count:     28
    .sgpr_spill_count: 0
    .symbol:         _ZN7rocprim17ROCPRIM_400000_NS6detail17trampoline_kernelINS0_13select_configILj256ELj13ELNS0_17block_load_methodE3ELS4_3ELS4_3ELNS0_20block_scan_algorithmE0ELj4294967295EEENS1_25partition_config_selectorILNS1_17partition_subalgoE3EjNS0_10empty_typeEbEEZZNS1_14partition_implILS8_3ELb0ES6_jNS0_17counting_iteratorIjlEEPS9_SE_NS0_5tupleIJPjSE_EEENSF_IJSE_SE_EEES9_SG_JZNS1_25segmented_radix_sort_implINS0_14default_configELb1EPKfPfPKlPlN2at6native12_GLOBAL__N_18offset_tEEE10hipError_tPvRmT1_PNSt15iterator_traitsISY_E10value_typeET2_T3_PNSZ_IS14_E10value_typeET4_jRbjT5_S1A_jjP12ihipStream_tbEUljE_EEESV_SW_SX_S14_S18_S1A_T6_T7_T9_mT8_S1C_bDpT10_ENKUlT_T0_E_clISt17integral_constantIbLb0EES1O_IbLb1EEEEDaS1K_S1L_EUlS1K_E_NS1_11comp_targetILNS1_3genE10ELNS1_11target_archE1200ELNS1_3gpuE4ELNS1_3repE0EEENS1_30default_config_static_selectorELNS0_4arch9wavefront6targetE0EEEvSY_.kd
    .uniform_work_group_size: 1
    .uses_dynamic_stack: false
    .vgpr_count:     71
    .vgpr_spill_count: 0
    .wavefront_size: 32
    .workgroup_processor_mode: 1
  - .args:
      - .offset:         0
        .size:           152
        .value_kind:     by_value
    .group_segment_fixed_size: 0
    .kernarg_segment_align: 8
    .kernarg_segment_size: 152
    .language:       OpenCL C
    .language_version:
      - 2
      - 0
    .max_flat_workgroup_size: 256
    .name:           _ZN7rocprim17ROCPRIM_400000_NS6detail17trampoline_kernelINS0_13select_configILj256ELj13ELNS0_17block_load_methodE3ELS4_3ELS4_3ELNS0_20block_scan_algorithmE0ELj4294967295EEENS1_25partition_config_selectorILNS1_17partition_subalgoE3EjNS0_10empty_typeEbEEZZNS1_14partition_implILS8_3ELb0ES6_jNS0_17counting_iteratorIjlEEPS9_SE_NS0_5tupleIJPjSE_EEENSF_IJSE_SE_EEES9_SG_JZNS1_25segmented_radix_sort_implINS0_14default_configELb1EPKfPfPKlPlN2at6native12_GLOBAL__N_18offset_tEEE10hipError_tPvRmT1_PNSt15iterator_traitsISY_E10value_typeET2_T3_PNSZ_IS14_E10value_typeET4_jRbjT5_S1A_jjP12ihipStream_tbEUljE_EEESV_SW_SX_S14_S18_S1A_T6_T7_T9_mT8_S1C_bDpT10_ENKUlT_T0_E_clISt17integral_constantIbLb0EES1O_IbLb1EEEEDaS1K_S1L_EUlS1K_E_NS1_11comp_targetILNS1_3genE9ELNS1_11target_archE1100ELNS1_3gpuE3ELNS1_3repE0EEENS1_30default_config_static_selectorELNS0_4arch9wavefront6targetE0EEEvSY_
    .private_segment_fixed_size: 0
    .sgpr_count:     0
    .sgpr_spill_count: 0
    .symbol:         _ZN7rocprim17ROCPRIM_400000_NS6detail17trampoline_kernelINS0_13select_configILj256ELj13ELNS0_17block_load_methodE3ELS4_3ELS4_3ELNS0_20block_scan_algorithmE0ELj4294967295EEENS1_25partition_config_selectorILNS1_17partition_subalgoE3EjNS0_10empty_typeEbEEZZNS1_14partition_implILS8_3ELb0ES6_jNS0_17counting_iteratorIjlEEPS9_SE_NS0_5tupleIJPjSE_EEENSF_IJSE_SE_EEES9_SG_JZNS1_25segmented_radix_sort_implINS0_14default_configELb1EPKfPfPKlPlN2at6native12_GLOBAL__N_18offset_tEEE10hipError_tPvRmT1_PNSt15iterator_traitsISY_E10value_typeET2_T3_PNSZ_IS14_E10value_typeET4_jRbjT5_S1A_jjP12ihipStream_tbEUljE_EEESV_SW_SX_S14_S18_S1A_T6_T7_T9_mT8_S1C_bDpT10_ENKUlT_T0_E_clISt17integral_constantIbLb0EES1O_IbLb1EEEEDaS1K_S1L_EUlS1K_E_NS1_11comp_targetILNS1_3genE9ELNS1_11target_archE1100ELNS1_3gpuE3ELNS1_3repE0EEENS1_30default_config_static_selectorELNS0_4arch9wavefront6targetE0EEEvSY_.kd
    .uniform_work_group_size: 1
    .uses_dynamic_stack: false
    .vgpr_count:     0
    .vgpr_spill_count: 0
    .wavefront_size: 32
    .workgroup_processor_mode: 1
  - .args:
      - .offset:         0
        .size:           152
        .value_kind:     by_value
    .group_segment_fixed_size: 0
    .kernarg_segment_align: 8
    .kernarg_segment_size: 152
    .language:       OpenCL C
    .language_version:
      - 2
      - 0
    .max_flat_workgroup_size: 256
    .name:           _ZN7rocprim17ROCPRIM_400000_NS6detail17trampoline_kernelINS0_13select_configILj256ELj13ELNS0_17block_load_methodE3ELS4_3ELS4_3ELNS0_20block_scan_algorithmE0ELj4294967295EEENS1_25partition_config_selectorILNS1_17partition_subalgoE3EjNS0_10empty_typeEbEEZZNS1_14partition_implILS8_3ELb0ES6_jNS0_17counting_iteratorIjlEEPS9_SE_NS0_5tupleIJPjSE_EEENSF_IJSE_SE_EEES9_SG_JZNS1_25segmented_radix_sort_implINS0_14default_configELb1EPKfPfPKlPlN2at6native12_GLOBAL__N_18offset_tEEE10hipError_tPvRmT1_PNSt15iterator_traitsISY_E10value_typeET2_T3_PNSZ_IS14_E10value_typeET4_jRbjT5_S1A_jjP12ihipStream_tbEUljE_EEESV_SW_SX_S14_S18_S1A_T6_T7_T9_mT8_S1C_bDpT10_ENKUlT_T0_E_clISt17integral_constantIbLb0EES1O_IbLb1EEEEDaS1K_S1L_EUlS1K_E_NS1_11comp_targetILNS1_3genE8ELNS1_11target_archE1030ELNS1_3gpuE2ELNS1_3repE0EEENS1_30default_config_static_selectorELNS0_4arch9wavefront6targetE0EEEvSY_
    .private_segment_fixed_size: 0
    .sgpr_count:     0
    .sgpr_spill_count: 0
    .symbol:         _ZN7rocprim17ROCPRIM_400000_NS6detail17trampoline_kernelINS0_13select_configILj256ELj13ELNS0_17block_load_methodE3ELS4_3ELS4_3ELNS0_20block_scan_algorithmE0ELj4294967295EEENS1_25partition_config_selectorILNS1_17partition_subalgoE3EjNS0_10empty_typeEbEEZZNS1_14partition_implILS8_3ELb0ES6_jNS0_17counting_iteratorIjlEEPS9_SE_NS0_5tupleIJPjSE_EEENSF_IJSE_SE_EEES9_SG_JZNS1_25segmented_radix_sort_implINS0_14default_configELb1EPKfPfPKlPlN2at6native12_GLOBAL__N_18offset_tEEE10hipError_tPvRmT1_PNSt15iterator_traitsISY_E10value_typeET2_T3_PNSZ_IS14_E10value_typeET4_jRbjT5_S1A_jjP12ihipStream_tbEUljE_EEESV_SW_SX_S14_S18_S1A_T6_T7_T9_mT8_S1C_bDpT10_ENKUlT_T0_E_clISt17integral_constantIbLb0EES1O_IbLb1EEEEDaS1K_S1L_EUlS1K_E_NS1_11comp_targetILNS1_3genE8ELNS1_11target_archE1030ELNS1_3gpuE2ELNS1_3repE0EEENS1_30default_config_static_selectorELNS0_4arch9wavefront6targetE0EEEvSY_.kd
    .uniform_work_group_size: 1
    .uses_dynamic_stack: false
    .vgpr_count:     0
    .vgpr_spill_count: 0
    .wavefront_size: 32
    .workgroup_processor_mode: 1
  - .args:
      - .offset:         0
        .size:           96
        .value_kind:     by_value
    .group_segment_fixed_size: 0
    .kernarg_segment_align: 8
    .kernarg_segment_size: 96
    .language:       OpenCL C
    .language_version:
      - 2
      - 0
    .max_flat_workgroup_size: 256
    .name:           _ZN7rocprim17ROCPRIM_400000_NS6detail17trampoline_kernelINS0_14default_configENS1_36segmented_radix_sort_config_selectorIflEEZNS1_25segmented_radix_sort_implIS3_Lb1EPKfPfPKlPlN2at6native12_GLOBAL__N_18offset_tEEE10hipError_tPvRmT1_PNSt15iterator_traitsISK_E10value_typeET2_T3_PNSL_ISQ_E10value_typeET4_jRbjT5_SW_jjP12ihipStream_tbEUlT_E_NS1_11comp_targetILNS1_3genE0ELNS1_11target_archE4294967295ELNS1_3gpuE0ELNS1_3repE0EEENS1_30default_config_static_selectorELNS0_4arch9wavefront6targetE0EEEvSK_
    .private_segment_fixed_size: 0
    .sgpr_count:     0
    .sgpr_spill_count: 0
    .symbol:         _ZN7rocprim17ROCPRIM_400000_NS6detail17trampoline_kernelINS0_14default_configENS1_36segmented_radix_sort_config_selectorIflEEZNS1_25segmented_radix_sort_implIS3_Lb1EPKfPfPKlPlN2at6native12_GLOBAL__N_18offset_tEEE10hipError_tPvRmT1_PNSt15iterator_traitsISK_E10value_typeET2_T3_PNSL_ISQ_E10value_typeET4_jRbjT5_SW_jjP12ihipStream_tbEUlT_E_NS1_11comp_targetILNS1_3genE0ELNS1_11target_archE4294967295ELNS1_3gpuE0ELNS1_3repE0EEENS1_30default_config_static_selectorELNS0_4arch9wavefront6targetE0EEEvSK_.kd
    .uniform_work_group_size: 1
    .uses_dynamic_stack: false
    .vgpr_count:     0
    .vgpr_spill_count: 0
    .wavefront_size: 32
    .workgroup_processor_mode: 1
  - .args:
      - .offset:         0
        .size:           96
        .value_kind:     by_value
    .group_segment_fixed_size: 0
    .kernarg_segment_align: 8
    .kernarg_segment_size: 96
    .language:       OpenCL C
    .language_version:
      - 2
      - 0
    .max_flat_workgroup_size: 256
    .name:           _ZN7rocprim17ROCPRIM_400000_NS6detail17trampoline_kernelINS0_14default_configENS1_36segmented_radix_sort_config_selectorIflEEZNS1_25segmented_radix_sort_implIS3_Lb1EPKfPfPKlPlN2at6native12_GLOBAL__N_18offset_tEEE10hipError_tPvRmT1_PNSt15iterator_traitsISK_E10value_typeET2_T3_PNSL_ISQ_E10value_typeET4_jRbjT5_SW_jjP12ihipStream_tbEUlT_E_NS1_11comp_targetILNS1_3genE5ELNS1_11target_archE942ELNS1_3gpuE9ELNS1_3repE0EEENS1_30default_config_static_selectorELNS0_4arch9wavefront6targetE0EEEvSK_
    .private_segment_fixed_size: 0
    .sgpr_count:     0
    .sgpr_spill_count: 0
    .symbol:         _ZN7rocprim17ROCPRIM_400000_NS6detail17trampoline_kernelINS0_14default_configENS1_36segmented_radix_sort_config_selectorIflEEZNS1_25segmented_radix_sort_implIS3_Lb1EPKfPfPKlPlN2at6native12_GLOBAL__N_18offset_tEEE10hipError_tPvRmT1_PNSt15iterator_traitsISK_E10value_typeET2_T3_PNSL_ISQ_E10value_typeET4_jRbjT5_SW_jjP12ihipStream_tbEUlT_E_NS1_11comp_targetILNS1_3genE5ELNS1_11target_archE942ELNS1_3gpuE9ELNS1_3repE0EEENS1_30default_config_static_selectorELNS0_4arch9wavefront6targetE0EEEvSK_.kd
    .uniform_work_group_size: 1
    .uses_dynamic_stack: false
    .vgpr_count:     0
    .vgpr_spill_count: 0
    .wavefront_size: 32
    .workgroup_processor_mode: 1
  - .args:
      - .offset:         0
        .size:           96
        .value_kind:     by_value
    .group_segment_fixed_size: 0
    .kernarg_segment_align: 8
    .kernarg_segment_size: 96
    .language:       OpenCL C
    .language_version:
      - 2
      - 0
    .max_flat_workgroup_size: 256
    .name:           _ZN7rocprim17ROCPRIM_400000_NS6detail17trampoline_kernelINS0_14default_configENS1_36segmented_radix_sort_config_selectorIflEEZNS1_25segmented_radix_sort_implIS3_Lb1EPKfPfPKlPlN2at6native12_GLOBAL__N_18offset_tEEE10hipError_tPvRmT1_PNSt15iterator_traitsISK_E10value_typeET2_T3_PNSL_ISQ_E10value_typeET4_jRbjT5_SW_jjP12ihipStream_tbEUlT_E_NS1_11comp_targetILNS1_3genE4ELNS1_11target_archE910ELNS1_3gpuE8ELNS1_3repE0EEENS1_30default_config_static_selectorELNS0_4arch9wavefront6targetE0EEEvSK_
    .private_segment_fixed_size: 0
    .sgpr_count:     0
    .sgpr_spill_count: 0
    .symbol:         _ZN7rocprim17ROCPRIM_400000_NS6detail17trampoline_kernelINS0_14default_configENS1_36segmented_radix_sort_config_selectorIflEEZNS1_25segmented_radix_sort_implIS3_Lb1EPKfPfPKlPlN2at6native12_GLOBAL__N_18offset_tEEE10hipError_tPvRmT1_PNSt15iterator_traitsISK_E10value_typeET2_T3_PNSL_ISQ_E10value_typeET4_jRbjT5_SW_jjP12ihipStream_tbEUlT_E_NS1_11comp_targetILNS1_3genE4ELNS1_11target_archE910ELNS1_3gpuE8ELNS1_3repE0EEENS1_30default_config_static_selectorELNS0_4arch9wavefront6targetE0EEEvSK_.kd
    .uniform_work_group_size: 1
    .uses_dynamic_stack: false
    .vgpr_count:     0
    .vgpr_spill_count: 0
    .wavefront_size: 32
    .workgroup_processor_mode: 1
  - .args:
      - .offset:         0
        .size:           96
        .value_kind:     by_value
    .group_segment_fixed_size: 0
    .kernarg_segment_align: 8
    .kernarg_segment_size: 96
    .language:       OpenCL C
    .language_version:
      - 2
      - 0
    .max_flat_workgroup_size: 256
    .name:           _ZN7rocprim17ROCPRIM_400000_NS6detail17trampoline_kernelINS0_14default_configENS1_36segmented_radix_sort_config_selectorIflEEZNS1_25segmented_radix_sort_implIS3_Lb1EPKfPfPKlPlN2at6native12_GLOBAL__N_18offset_tEEE10hipError_tPvRmT1_PNSt15iterator_traitsISK_E10value_typeET2_T3_PNSL_ISQ_E10value_typeET4_jRbjT5_SW_jjP12ihipStream_tbEUlT_E_NS1_11comp_targetILNS1_3genE3ELNS1_11target_archE908ELNS1_3gpuE7ELNS1_3repE0EEENS1_30default_config_static_selectorELNS0_4arch9wavefront6targetE0EEEvSK_
    .private_segment_fixed_size: 0
    .sgpr_count:     0
    .sgpr_spill_count: 0
    .symbol:         _ZN7rocprim17ROCPRIM_400000_NS6detail17trampoline_kernelINS0_14default_configENS1_36segmented_radix_sort_config_selectorIflEEZNS1_25segmented_radix_sort_implIS3_Lb1EPKfPfPKlPlN2at6native12_GLOBAL__N_18offset_tEEE10hipError_tPvRmT1_PNSt15iterator_traitsISK_E10value_typeET2_T3_PNSL_ISQ_E10value_typeET4_jRbjT5_SW_jjP12ihipStream_tbEUlT_E_NS1_11comp_targetILNS1_3genE3ELNS1_11target_archE908ELNS1_3gpuE7ELNS1_3repE0EEENS1_30default_config_static_selectorELNS0_4arch9wavefront6targetE0EEEvSK_.kd
    .uniform_work_group_size: 1
    .uses_dynamic_stack: false
    .vgpr_count:     0
    .vgpr_spill_count: 0
    .wavefront_size: 32
    .workgroup_processor_mode: 1
  - .args:
      - .offset:         0
        .size:           96
        .value_kind:     by_value
    .group_segment_fixed_size: 0
    .kernarg_segment_align: 8
    .kernarg_segment_size: 96
    .language:       OpenCL C
    .language_version:
      - 2
      - 0
    .max_flat_workgroup_size: 256
    .name:           _ZN7rocprim17ROCPRIM_400000_NS6detail17trampoline_kernelINS0_14default_configENS1_36segmented_radix_sort_config_selectorIflEEZNS1_25segmented_radix_sort_implIS3_Lb1EPKfPfPKlPlN2at6native12_GLOBAL__N_18offset_tEEE10hipError_tPvRmT1_PNSt15iterator_traitsISK_E10value_typeET2_T3_PNSL_ISQ_E10value_typeET4_jRbjT5_SW_jjP12ihipStream_tbEUlT_E_NS1_11comp_targetILNS1_3genE2ELNS1_11target_archE906ELNS1_3gpuE6ELNS1_3repE0EEENS1_30default_config_static_selectorELNS0_4arch9wavefront6targetE0EEEvSK_
    .private_segment_fixed_size: 0
    .sgpr_count:     0
    .sgpr_spill_count: 0
    .symbol:         _ZN7rocprim17ROCPRIM_400000_NS6detail17trampoline_kernelINS0_14default_configENS1_36segmented_radix_sort_config_selectorIflEEZNS1_25segmented_radix_sort_implIS3_Lb1EPKfPfPKlPlN2at6native12_GLOBAL__N_18offset_tEEE10hipError_tPvRmT1_PNSt15iterator_traitsISK_E10value_typeET2_T3_PNSL_ISQ_E10value_typeET4_jRbjT5_SW_jjP12ihipStream_tbEUlT_E_NS1_11comp_targetILNS1_3genE2ELNS1_11target_archE906ELNS1_3gpuE6ELNS1_3repE0EEENS1_30default_config_static_selectorELNS0_4arch9wavefront6targetE0EEEvSK_.kd
    .uniform_work_group_size: 1
    .uses_dynamic_stack: false
    .vgpr_count:     0
    .vgpr_spill_count: 0
    .wavefront_size: 32
    .workgroup_processor_mode: 1
  - .args:
      - .offset:         0
        .size:           96
        .value_kind:     by_value
      - .offset:         96
        .size:           4
        .value_kind:     hidden_block_count_x
      - .offset:         100
        .size:           4
        .value_kind:     hidden_block_count_y
      - .offset:         104
        .size:           4
        .value_kind:     hidden_block_count_z
      - .offset:         108
        .size:           2
        .value_kind:     hidden_group_size_x
      - .offset:         110
        .size:           2
        .value_kind:     hidden_group_size_y
      - .offset:         112
        .size:           2
        .value_kind:     hidden_group_size_z
      - .offset:         114
        .size:           2
        .value_kind:     hidden_remainder_x
      - .offset:         116
        .size:           2
        .value_kind:     hidden_remainder_y
      - .offset:         118
        .size:           2
        .value_kind:     hidden_remainder_z
      - .offset:         136
        .size:           8
        .value_kind:     hidden_global_offset_x
      - .offset:         144
        .size:           8
        .value_kind:     hidden_global_offset_y
      - .offset:         152
        .size:           8
        .value_kind:     hidden_global_offset_z
      - .offset:         160
        .size:           2
        .value_kind:     hidden_grid_dims
    .group_segment_fixed_size: 33824
    .kernarg_segment_align: 8
    .kernarg_segment_size: 352
    .language:       OpenCL C
    .language_version:
      - 2
      - 0
    .max_flat_workgroup_size: 256
    .name:           _ZN7rocprim17ROCPRIM_400000_NS6detail17trampoline_kernelINS0_14default_configENS1_36segmented_radix_sort_config_selectorIflEEZNS1_25segmented_radix_sort_implIS3_Lb1EPKfPfPKlPlN2at6native12_GLOBAL__N_18offset_tEEE10hipError_tPvRmT1_PNSt15iterator_traitsISK_E10value_typeET2_T3_PNSL_ISQ_E10value_typeET4_jRbjT5_SW_jjP12ihipStream_tbEUlT_E_NS1_11comp_targetILNS1_3genE10ELNS1_11target_archE1201ELNS1_3gpuE5ELNS1_3repE0EEENS1_30default_config_static_selectorELNS0_4arch9wavefront6targetE0EEEvSK_
    .private_segment_fixed_size: 100
    .sgpr_count:     60
    .sgpr_spill_count: 0
    .symbol:         _ZN7rocprim17ROCPRIM_400000_NS6detail17trampoline_kernelINS0_14default_configENS1_36segmented_radix_sort_config_selectorIflEEZNS1_25segmented_radix_sort_implIS3_Lb1EPKfPfPKlPlN2at6native12_GLOBAL__N_18offset_tEEE10hipError_tPvRmT1_PNSt15iterator_traitsISK_E10value_typeET2_T3_PNSL_ISQ_E10value_typeET4_jRbjT5_SW_jjP12ihipStream_tbEUlT_E_NS1_11comp_targetILNS1_3genE10ELNS1_11target_archE1201ELNS1_3gpuE5ELNS1_3repE0EEENS1_30default_config_static_selectorELNS0_4arch9wavefront6targetE0EEEvSK_.kd
    .uniform_work_group_size: 1
    .uses_dynamic_stack: false
    .vgpr_count:     248
    .vgpr_spill_count: 0
    .wavefront_size: 32
    .workgroup_processor_mode: 1
  - .args:
      - .offset:         0
        .size:           96
        .value_kind:     by_value
    .group_segment_fixed_size: 0
    .kernarg_segment_align: 8
    .kernarg_segment_size: 96
    .language:       OpenCL C
    .language_version:
      - 2
      - 0
    .max_flat_workgroup_size: 128
    .name:           _ZN7rocprim17ROCPRIM_400000_NS6detail17trampoline_kernelINS0_14default_configENS1_36segmented_radix_sort_config_selectorIflEEZNS1_25segmented_radix_sort_implIS3_Lb1EPKfPfPKlPlN2at6native12_GLOBAL__N_18offset_tEEE10hipError_tPvRmT1_PNSt15iterator_traitsISK_E10value_typeET2_T3_PNSL_ISQ_E10value_typeET4_jRbjT5_SW_jjP12ihipStream_tbEUlT_E_NS1_11comp_targetILNS1_3genE10ELNS1_11target_archE1200ELNS1_3gpuE4ELNS1_3repE0EEENS1_30default_config_static_selectorELNS0_4arch9wavefront6targetE0EEEvSK_
    .private_segment_fixed_size: 0
    .sgpr_count:     0
    .sgpr_spill_count: 0
    .symbol:         _ZN7rocprim17ROCPRIM_400000_NS6detail17trampoline_kernelINS0_14default_configENS1_36segmented_radix_sort_config_selectorIflEEZNS1_25segmented_radix_sort_implIS3_Lb1EPKfPfPKlPlN2at6native12_GLOBAL__N_18offset_tEEE10hipError_tPvRmT1_PNSt15iterator_traitsISK_E10value_typeET2_T3_PNSL_ISQ_E10value_typeET4_jRbjT5_SW_jjP12ihipStream_tbEUlT_E_NS1_11comp_targetILNS1_3genE10ELNS1_11target_archE1200ELNS1_3gpuE4ELNS1_3repE0EEENS1_30default_config_static_selectorELNS0_4arch9wavefront6targetE0EEEvSK_.kd
    .uniform_work_group_size: 1
    .uses_dynamic_stack: false
    .vgpr_count:     0
    .vgpr_spill_count: 0
    .wavefront_size: 32
    .workgroup_processor_mode: 1
  - .args:
      - .offset:         0
        .size:           96
        .value_kind:     by_value
    .group_segment_fixed_size: 0
    .kernarg_segment_align: 8
    .kernarg_segment_size: 96
    .language:       OpenCL C
    .language_version:
      - 2
      - 0
    .max_flat_workgroup_size: 256
    .name:           _ZN7rocprim17ROCPRIM_400000_NS6detail17trampoline_kernelINS0_14default_configENS1_36segmented_radix_sort_config_selectorIflEEZNS1_25segmented_radix_sort_implIS3_Lb1EPKfPfPKlPlN2at6native12_GLOBAL__N_18offset_tEEE10hipError_tPvRmT1_PNSt15iterator_traitsISK_E10value_typeET2_T3_PNSL_ISQ_E10value_typeET4_jRbjT5_SW_jjP12ihipStream_tbEUlT_E_NS1_11comp_targetILNS1_3genE9ELNS1_11target_archE1100ELNS1_3gpuE3ELNS1_3repE0EEENS1_30default_config_static_selectorELNS0_4arch9wavefront6targetE0EEEvSK_
    .private_segment_fixed_size: 0
    .sgpr_count:     0
    .sgpr_spill_count: 0
    .symbol:         _ZN7rocprim17ROCPRIM_400000_NS6detail17trampoline_kernelINS0_14default_configENS1_36segmented_radix_sort_config_selectorIflEEZNS1_25segmented_radix_sort_implIS3_Lb1EPKfPfPKlPlN2at6native12_GLOBAL__N_18offset_tEEE10hipError_tPvRmT1_PNSt15iterator_traitsISK_E10value_typeET2_T3_PNSL_ISQ_E10value_typeET4_jRbjT5_SW_jjP12ihipStream_tbEUlT_E_NS1_11comp_targetILNS1_3genE9ELNS1_11target_archE1100ELNS1_3gpuE3ELNS1_3repE0EEENS1_30default_config_static_selectorELNS0_4arch9wavefront6targetE0EEEvSK_.kd
    .uniform_work_group_size: 1
    .uses_dynamic_stack: false
    .vgpr_count:     0
    .vgpr_spill_count: 0
    .wavefront_size: 32
    .workgroup_processor_mode: 1
  - .args:
      - .offset:         0
        .size:           96
        .value_kind:     by_value
    .group_segment_fixed_size: 0
    .kernarg_segment_align: 8
    .kernarg_segment_size: 96
    .language:       OpenCL C
    .language_version:
      - 2
      - 0
    .max_flat_workgroup_size: 256
    .name:           _ZN7rocprim17ROCPRIM_400000_NS6detail17trampoline_kernelINS0_14default_configENS1_36segmented_radix_sort_config_selectorIflEEZNS1_25segmented_radix_sort_implIS3_Lb1EPKfPfPKlPlN2at6native12_GLOBAL__N_18offset_tEEE10hipError_tPvRmT1_PNSt15iterator_traitsISK_E10value_typeET2_T3_PNSL_ISQ_E10value_typeET4_jRbjT5_SW_jjP12ihipStream_tbEUlT_E_NS1_11comp_targetILNS1_3genE8ELNS1_11target_archE1030ELNS1_3gpuE2ELNS1_3repE0EEENS1_30default_config_static_selectorELNS0_4arch9wavefront6targetE0EEEvSK_
    .private_segment_fixed_size: 0
    .sgpr_count:     0
    .sgpr_spill_count: 0
    .symbol:         _ZN7rocprim17ROCPRIM_400000_NS6detail17trampoline_kernelINS0_14default_configENS1_36segmented_radix_sort_config_selectorIflEEZNS1_25segmented_radix_sort_implIS3_Lb1EPKfPfPKlPlN2at6native12_GLOBAL__N_18offset_tEEE10hipError_tPvRmT1_PNSt15iterator_traitsISK_E10value_typeET2_T3_PNSL_ISQ_E10value_typeET4_jRbjT5_SW_jjP12ihipStream_tbEUlT_E_NS1_11comp_targetILNS1_3genE8ELNS1_11target_archE1030ELNS1_3gpuE2ELNS1_3repE0EEENS1_30default_config_static_selectorELNS0_4arch9wavefront6targetE0EEEvSK_.kd
    .uniform_work_group_size: 1
    .uses_dynamic_stack: false
    .vgpr_count:     0
    .vgpr_spill_count: 0
    .wavefront_size: 32
    .workgroup_processor_mode: 1
  - .args:
      - .offset:         0
        .size:           88
        .value_kind:     by_value
    .group_segment_fixed_size: 0
    .kernarg_segment_align: 8
    .kernarg_segment_size: 88
    .language:       OpenCL C
    .language_version:
      - 2
      - 0
    .max_flat_workgroup_size: 256
    .name:           _ZN7rocprim17ROCPRIM_400000_NS6detail17trampoline_kernelINS0_14default_configENS1_36segmented_radix_sort_config_selectorIflEEZNS1_25segmented_radix_sort_implIS3_Lb1EPKfPfPKlPlN2at6native12_GLOBAL__N_18offset_tEEE10hipError_tPvRmT1_PNSt15iterator_traitsISK_E10value_typeET2_T3_PNSL_ISQ_E10value_typeET4_jRbjT5_SW_jjP12ihipStream_tbEUlT_E0_NS1_11comp_targetILNS1_3genE0ELNS1_11target_archE4294967295ELNS1_3gpuE0ELNS1_3repE0EEENS1_60segmented_radix_sort_warp_sort_medium_config_static_selectorELNS0_4arch9wavefront6targetE0EEEvSK_
    .private_segment_fixed_size: 0
    .sgpr_count:     0
    .sgpr_spill_count: 0
    .symbol:         _ZN7rocprim17ROCPRIM_400000_NS6detail17trampoline_kernelINS0_14default_configENS1_36segmented_radix_sort_config_selectorIflEEZNS1_25segmented_radix_sort_implIS3_Lb1EPKfPfPKlPlN2at6native12_GLOBAL__N_18offset_tEEE10hipError_tPvRmT1_PNSt15iterator_traitsISK_E10value_typeET2_T3_PNSL_ISQ_E10value_typeET4_jRbjT5_SW_jjP12ihipStream_tbEUlT_E0_NS1_11comp_targetILNS1_3genE0ELNS1_11target_archE4294967295ELNS1_3gpuE0ELNS1_3repE0EEENS1_60segmented_radix_sort_warp_sort_medium_config_static_selectorELNS0_4arch9wavefront6targetE0EEEvSK_.kd
    .uniform_work_group_size: 1
    .uses_dynamic_stack: false
    .vgpr_count:     0
    .vgpr_spill_count: 0
    .wavefront_size: 32
    .workgroup_processor_mode: 1
  - .args:
      - .offset:         0
        .size:           88
        .value_kind:     by_value
    .group_segment_fixed_size: 0
    .kernarg_segment_align: 8
    .kernarg_segment_size: 88
    .language:       OpenCL C
    .language_version:
      - 2
      - 0
    .max_flat_workgroup_size: 256
    .name:           _ZN7rocprim17ROCPRIM_400000_NS6detail17trampoline_kernelINS0_14default_configENS1_36segmented_radix_sort_config_selectorIflEEZNS1_25segmented_radix_sort_implIS3_Lb1EPKfPfPKlPlN2at6native12_GLOBAL__N_18offset_tEEE10hipError_tPvRmT1_PNSt15iterator_traitsISK_E10value_typeET2_T3_PNSL_ISQ_E10value_typeET4_jRbjT5_SW_jjP12ihipStream_tbEUlT_E0_NS1_11comp_targetILNS1_3genE5ELNS1_11target_archE942ELNS1_3gpuE9ELNS1_3repE0EEENS1_60segmented_radix_sort_warp_sort_medium_config_static_selectorELNS0_4arch9wavefront6targetE0EEEvSK_
    .private_segment_fixed_size: 0
    .sgpr_count:     0
    .sgpr_spill_count: 0
    .symbol:         _ZN7rocprim17ROCPRIM_400000_NS6detail17trampoline_kernelINS0_14default_configENS1_36segmented_radix_sort_config_selectorIflEEZNS1_25segmented_radix_sort_implIS3_Lb1EPKfPfPKlPlN2at6native12_GLOBAL__N_18offset_tEEE10hipError_tPvRmT1_PNSt15iterator_traitsISK_E10value_typeET2_T3_PNSL_ISQ_E10value_typeET4_jRbjT5_SW_jjP12ihipStream_tbEUlT_E0_NS1_11comp_targetILNS1_3genE5ELNS1_11target_archE942ELNS1_3gpuE9ELNS1_3repE0EEENS1_60segmented_radix_sort_warp_sort_medium_config_static_selectorELNS0_4arch9wavefront6targetE0EEEvSK_.kd
    .uniform_work_group_size: 1
    .uses_dynamic_stack: false
    .vgpr_count:     0
    .vgpr_spill_count: 0
    .wavefront_size: 32
    .workgroup_processor_mode: 1
  - .args:
      - .offset:         0
        .size:           88
        .value_kind:     by_value
    .group_segment_fixed_size: 0
    .kernarg_segment_align: 8
    .kernarg_segment_size: 88
    .language:       OpenCL C
    .language_version:
      - 2
      - 0
    .max_flat_workgroup_size: 256
    .name:           _ZN7rocprim17ROCPRIM_400000_NS6detail17trampoline_kernelINS0_14default_configENS1_36segmented_radix_sort_config_selectorIflEEZNS1_25segmented_radix_sort_implIS3_Lb1EPKfPfPKlPlN2at6native12_GLOBAL__N_18offset_tEEE10hipError_tPvRmT1_PNSt15iterator_traitsISK_E10value_typeET2_T3_PNSL_ISQ_E10value_typeET4_jRbjT5_SW_jjP12ihipStream_tbEUlT_E0_NS1_11comp_targetILNS1_3genE4ELNS1_11target_archE910ELNS1_3gpuE8ELNS1_3repE0EEENS1_60segmented_radix_sort_warp_sort_medium_config_static_selectorELNS0_4arch9wavefront6targetE0EEEvSK_
    .private_segment_fixed_size: 0
    .sgpr_count:     0
    .sgpr_spill_count: 0
    .symbol:         _ZN7rocprim17ROCPRIM_400000_NS6detail17trampoline_kernelINS0_14default_configENS1_36segmented_radix_sort_config_selectorIflEEZNS1_25segmented_radix_sort_implIS3_Lb1EPKfPfPKlPlN2at6native12_GLOBAL__N_18offset_tEEE10hipError_tPvRmT1_PNSt15iterator_traitsISK_E10value_typeET2_T3_PNSL_ISQ_E10value_typeET4_jRbjT5_SW_jjP12ihipStream_tbEUlT_E0_NS1_11comp_targetILNS1_3genE4ELNS1_11target_archE910ELNS1_3gpuE8ELNS1_3repE0EEENS1_60segmented_radix_sort_warp_sort_medium_config_static_selectorELNS0_4arch9wavefront6targetE0EEEvSK_.kd
    .uniform_work_group_size: 1
    .uses_dynamic_stack: false
    .vgpr_count:     0
    .vgpr_spill_count: 0
    .wavefront_size: 32
    .workgroup_processor_mode: 1
  - .args:
      - .offset:         0
        .size:           88
        .value_kind:     by_value
    .group_segment_fixed_size: 0
    .kernarg_segment_align: 8
    .kernarg_segment_size: 88
    .language:       OpenCL C
    .language_version:
      - 2
      - 0
    .max_flat_workgroup_size: 256
    .name:           _ZN7rocprim17ROCPRIM_400000_NS6detail17trampoline_kernelINS0_14default_configENS1_36segmented_radix_sort_config_selectorIflEEZNS1_25segmented_radix_sort_implIS3_Lb1EPKfPfPKlPlN2at6native12_GLOBAL__N_18offset_tEEE10hipError_tPvRmT1_PNSt15iterator_traitsISK_E10value_typeET2_T3_PNSL_ISQ_E10value_typeET4_jRbjT5_SW_jjP12ihipStream_tbEUlT_E0_NS1_11comp_targetILNS1_3genE3ELNS1_11target_archE908ELNS1_3gpuE7ELNS1_3repE0EEENS1_60segmented_radix_sort_warp_sort_medium_config_static_selectorELNS0_4arch9wavefront6targetE0EEEvSK_
    .private_segment_fixed_size: 0
    .sgpr_count:     0
    .sgpr_spill_count: 0
    .symbol:         _ZN7rocprim17ROCPRIM_400000_NS6detail17trampoline_kernelINS0_14default_configENS1_36segmented_radix_sort_config_selectorIflEEZNS1_25segmented_radix_sort_implIS3_Lb1EPKfPfPKlPlN2at6native12_GLOBAL__N_18offset_tEEE10hipError_tPvRmT1_PNSt15iterator_traitsISK_E10value_typeET2_T3_PNSL_ISQ_E10value_typeET4_jRbjT5_SW_jjP12ihipStream_tbEUlT_E0_NS1_11comp_targetILNS1_3genE3ELNS1_11target_archE908ELNS1_3gpuE7ELNS1_3repE0EEENS1_60segmented_radix_sort_warp_sort_medium_config_static_selectorELNS0_4arch9wavefront6targetE0EEEvSK_.kd
    .uniform_work_group_size: 1
    .uses_dynamic_stack: false
    .vgpr_count:     0
    .vgpr_spill_count: 0
    .wavefront_size: 32
    .workgroup_processor_mode: 1
  - .args:
      - .offset:         0
        .size:           88
        .value_kind:     by_value
    .group_segment_fixed_size: 0
    .kernarg_segment_align: 8
    .kernarg_segment_size: 88
    .language:       OpenCL C
    .language_version:
      - 2
      - 0
    .max_flat_workgroup_size: 256
    .name:           _ZN7rocprim17ROCPRIM_400000_NS6detail17trampoline_kernelINS0_14default_configENS1_36segmented_radix_sort_config_selectorIflEEZNS1_25segmented_radix_sort_implIS3_Lb1EPKfPfPKlPlN2at6native12_GLOBAL__N_18offset_tEEE10hipError_tPvRmT1_PNSt15iterator_traitsISK_E10value_typeET2_T3_PNSL_ISQ_E10value_typeET4_jRbjT5_SW_jjP12ihipStream_tbEUlT_E0_NS1_11comp_targetILNS1_3genE2ELNS1_11target_archE906ELNS1_3gpuE6ELNS1_3repE0EEENS1_60segmented_radix_sort_warp_sort_medium_config_static_selectorELNS0_4arch9wavefront6targetE0EEEvSK_
    .private_segment_fixed_size: 0
    .sgpr_count:     0
    .sgpr_spill_count: 0
    .symbol:         _ZN7rocprim17ROCPRIM_400000_NS6detail17trampoline_kernelINS0_14default_configENS1_36segmented_radix_sort_config_selectorIflEEZNS1_25segmented_radix_sort_implIS3_Lb1EPKfPfPKlPlN2at6native12_GLOBAL__N_18offset_tEEE10hipError_tPvRmT1_PNSt15iterator_traitsISK_E10value_typeET2_T3_PNSL_ISQ_E10value_typeET4_jRbjT5_SW_jjP12ihipStream_tbEUlT_E0_NS1_11comp_targetILNS1_3genE2ELNS1_11target_archE906ELNS1_3gpuE6ELNS1_3repE0EEENS1_60segmented_radix_sort_warp_sort_medium_config_static_selectorELNS0_4arch9wavefront6targetE0EEEvSK_.kd
    .uniform_work_group_size: 1
    .uses_dynamic_stack: false
    .vgpr_count:     0
    .vgpr_spill_count: 0
    .wavefront_size: 32
    .workgroup_processor_mode: 1
  - .args:
      - .offset:         0
        .size:           88
        .value_kind:     by_value
      - .offset:         88
        .size:           4
        .value_kind:     hidden_block_count_x
      - .offset:         92
        .size:           4
        .value_kind:     hidden_block_count_y
      - .offset:         96
        .size:           4
        .value_kind:     hidden_block_count_z
      - .offset:         100
        .size:           2
        .value_kind:     hidden_group_size_x
      - .offset:         102
        .size:           2
        .value_kind:     hidden_group_size_y
      - .offset:         104
        .size:           2
        .value_kind:     hidden_group_size_z
      - .offset:         106
        .size:           2
        .value_kind:     hidden_remainder_x
      - .offset:         108
        .size:           2
        .value_kind:     hidden_remainder_y
      - .offset:         110
        .size:           2
        .value_kind:     hidden_remainder_z
      - .offset:         128
        .size:           8
        .value_kind:     hidden_global_offset_x
      - .offset:         136
        .size:           8
        .value_kind:     hidden_global_offset_y
      - .offset:         144
        .size:           8
        .value_kind:     hidden_global_offset_z
      - .offset:         152
        .size:           2
        .value_kind:     hidden_grid_dims
    .group_segment_fixed_size: 24576
    .kernarg_segment_align: 8
    .kernarg_segment_size: 344
    .language:       OpenCL C
    .language_version:
      - 2
      - 0
    .max_flat_workgroup_size: 256
    .name:           _ZN7rocprim17ROCPRIM_400000_NS6detail17trampoline_kernelINS0_14default_configENS1_36segmented_radix_sort_config_selectorIflEEZNS1_25segmented_radix_sort_implIS3_Lb1EPKfPfPKlPlN2at6native12_GLOBAL__N_18offset_tEEE10hipError_tPvRmT1_PNSt15iterator_traitsISK_E10value_typeET2_T3_PNSL_ISQ_E10value_typeET4_jRbjT5_SW_jjP12ihipStream_tbEUlT_E0_NS1_11comp_targetILNS1_3genE10ELNS1_11target_archE1201ELNS1_3gpuE5ELNS1_3repE0EEENS1_60segmented_radix_sort_warp_sort_medium_config_static_selectorELNS0_4arch9wavefront6targetE0EEEvSK_
    .private_segment_fixed_size: 0
    .sgpr_count:     46
    .sgpr_spill_count: 0
    .symbol:         _ZN7rocprim17ROCPRIM_400000_NS6detail17trampoline_kernelINS0_14default_configENS1_36segmented_radix_sort_config_selectorIflEEZNS1_25segmented_radix_sort_implIS3_Lb1EPKfPfPKlPlN2at6native12_GLOBAL__N_18offset_tEEE10hipError_tPvRmT1_PNSt15iterator_traitsISK_E10value_typeET2_T3_PNSL_ISQ_E10value_typeET4_jRbjT5_SW_jjP12ihipStream_tbEUlT_E0_NS1_11comp_targetILNS1_3genE10ELNS1_11target_archE1201ELNS1_3gpuE5ELNS1_3repE0EEENS1_60segmented_radix_sort_warp_sort_medium_config_static_selectorELNS0_4arch9wavefront6targetE0EEEvSK_.kd
    .uniform_work_group_size: 1
    .uses_dynamic_stack: false
    .vgpr_count:     81
    .vgpr_spill_count: 0
    .wavefront_size: 32
    .workgroup_processor_mode: 1
  - .args:
      - .offset:         0
        .size:           88
        .value_kind:     by_value
    .group_segment_fixed_size: 0
    .kernarg_segment_align: 8
    .kernarg_segment_size: 88
    .language:       OpenCL C
    .language_version:
      - 2
      - 0
    .max_flat_workgroup_size: 256
    .name:           _ZN7rocprim17ROCPRIM_400000_NS6detail17trampoline_kernelINS0_14default_configENS1_36segmented_radix_sort_config_selectorIflEEZNS1_25segmented_radix_sort_implIS3_Lb1EPKfPfPKlPlN2at6native12_GLOBAL__N_18offset_tEEE10hipError_tPvRmT1_PNSt15iterator_traitsISK_E10value_typeET2_T3_PNSL_ISQ_E10value_typeET4_jRbjT5_SW_jjP12ihipStream_tbEUlT_E0_NS1_11comp_targetILNS1_3genE10ELNS1_11target_archE1200ELNS1_3gpuE4ELNS1_3repE0EEENS1_60segmented_radix_sort_warp_sort_medium_config_static_selectorELNS0_4arch9wavefront6targetE0EEEvSK_
    .private_segment_fixed_size: 0
    .sgpr_count:     0
    .sgpr_spill_count: 0
    .symbol:         _ZN7rocprim17ROCPRIM_400000_NS6detail17trampoline_kernelINS0_14default_configENS1_36segmented_radix_sort_config_selectorIflEEZNS1_25segmented_radix_sort_implIS3_Lb1EPKfPfPKlPlN2at6native12_GLOBAL__N_18offset_tEEE10hipError_tPvRmT1_PNSt15iterator_traitsISK_E10value_typeET2_T3_PNSL_ISQ_E10value_typeET4_jRbjT5_SW_jjP12ihipStream_tbEUlT_E0_NS1_11comp_targetILNS1_3genE10ELNS1_11target_archE1200ELNS1_3gpuE4ELNS1_3repE0EEENS1_60segmented_radix_sort_warp_sort_medium_config_static_selectorELNS0_4arch9wavefront6targetE0EEEvSK_.kd
    .uniform_work_group_size: 1
    .uses_dynamic_stack: false
    .vgpr_count:     0
    .vgpr_spill_count: 0
    .wavefront_size: 32
    .workgroup_processor_mode: 1
  - .args:
      - .offset:         0
        .size:           88
        .value_kind:     by_value
    .group_segment_fixed_size: 0
    .kernarg_segment_align: 8
    .kernarg_segment_size: 88
    .language:       OpenCL C
    .language_version:
      - 2
      - 0
    .max_flat_workgroup_size: 256
    .name:           _ZN7rocprim17ROCPRIM_400000_NS6detail17trampoline_kernelINS0_14default_configENS1_36segmented_radix_sort_config_selectorIflEEZNS1_25segmented_radix_sort_implIS3_Lb1EPKfPfPKlPlN2at6native12_GLOBAL__N_18offset_tEEE10hipError_tPvRmT1_PNSt15iterator_traitsISK_E10value_typeET2_T3_PNSL_ISQ_E10value_typeET4_jRbjT5_SW_jjP12ihipStream_tbEUlT_E0_NS1_11comp_targetILNS1_3genE9ELNS1_11target_archE1100ELNS1_3gpuE3ELNS1_3repE0EEENS1_60segmented_radix_sort_warp_sort_medium_config_static_selectorELNS0_4arch9wavefront6targetE0EEEvSK_
    .private_segment_fixed_size: 0
    .sgpr_count:     0
    .sgpr_spill_count: 0
    .symbol:         _ZN7rocprim17ROCPRIM_400000_NS6detail17trampoline_kernelINS0_14default_configENS1_36segmented_radix_sort_config_selectorIflEEZNS1_25segmented_radix_sort_implIS3_Lb1EPKfPfPKlPlN2at6native12_GLOBAL__N_18offset_tEEE10hipError_tPvRmT1_PNSt15iterator_traitsISK_E10value_typeET2_T3_PNSL_ISQ_E10value_typeET4_jRbjT5_SW_jjP12ihipStream_tbEUlT_E0_NS1_11comp_targetILNS1_3genE9ELNS1_11target_archE1100ELNS1_3gpuE3ELNS1_3repE0EEENS1_60segmented_radix_sort_warp_sort_medium_config_static_selectorELNS0_4arch9wavefront6targetE0EEEvSK_.kd
    .uniform_work_group_size: 1
    .uses_dynamic_stack: false
    .vgpr_count:     0
    .vgpr_spill_count: 0
    .wavefront_size: 32
    .workgroup_processor_mode: 1
  - .args:
      - .offset:         0
        .size:           88
        .value_kind:     by_value
    .group_segment_fixed_size: 0
    .kernarg_segment_align: 8
    .kernarg_segment_size: 88
    .language:       OpenCL C
    .language_version:
      - 2
      - 0
    .max_flat_workgroup_size: 256
    .name:           _ZN7rocprim17ROCPRIM_400000_NS6detail17trampoline_kernelINS0_14default_configENS1_36segmented_radix_sort_config_selectorIflEEZNS1_25segmented_radix_sort_implIS3_Lb1EPKfPfPKlPlN2at6native12_GLOBAL__N_18offset_tEEE10hipError_tPvRmT1_PNSt15iterator_traitsISK_E10value_typeET2_T3_PNSL_ISQ_E10value_typeET4_jRbjT5_SW_jjP12ihipStream_tbEUlT_E0_NS1_11comp_targetILNS1_3genE8ELNS1_11target_archE1030ELNS1_3gpuE2ELNS1_3repE0EEENS1_60segmented_radix_sort_warp_sort_medium_config_static_selectorELNS0_4arch9wavefront6targetE0EEEvSK_
    .private_segment_fixed_size: 0
    .sgpr_count:     0
    .sgpr_spill_count: 0
    .symbol:         _ZN7rocprim17ROCPRIM_400000_NS6detail17trampoline_kernelINS0_14default_configENS1_36segmented_radix_sort_config_selectorIflEEZNS1_25segmented_radix_sort_implIS3_Lb1EPKfPfPKlPlN2at6native12_GLOBAL__N_18offset_tEEE10hipError_tPvRmT1_PNSt15iterator_traitsISK_E10value_typeET2_T3_PNSL_ISQ_E10value_typeET4_jRbjT5_SW_jjP12ihipStream_tbEUlT_E0_NS1_11comp_targetILNS1_3genE8ELNS1_11target_archE1030ELNS1_3gpuE2ELNS1_3repE0EEENS1_60segmented_radix_sort_warp_sort_medium_config_static_selectorELNS0_4arch9wavefront6targetE0EEEvSK_.kd
    .uniform_work_group_size: 1
    .uses_dynamic_stack: false
    .vgpr_count:     0
    .vgpr_spill_count: 0
    .wavefront_size: 32
    .workgroup_processor_mode: 1
  - .args:
      - .offset:         0
        .size:           88
        .value_kind:     by_value
    .group_segment_fixed_size: 0
    .kernarg_segment_align: 8
    .kernarg_segment_size: 88
    .language:       OpenCL C
    .language_version:
      - 2
      - 0
    .max_flat_workgroup_size: 256
    .name:           _ZN7rocprim17ROCPRIM_400000_NS6detail17trampoline_kernelINS0_14default_configENS1_36segmented_radix_sort_config_selectorIflEEZNS1_25segmented_radix_sort_implIS3_Lb1EPKfPfPKlPlN2at6native12_GLOBAL__N_18offset_tEEE10hipError_tPvRmT1_PNSt15iterator_traitsISK_E10value_typeET2_T3_PNSL_ISQ_E10value_typeET4_jRbjT5_SW_jjP12ihipStream_tbEUlT_E1_NS1_11comp_targetILNS1_3genE0ELNS1_11target_archE4294967295ELNS1_3gpuE0ELNS1_3repE0EEENS1_59segmented_radix_sort_warp_sort_small_config_static_selectorELNS0_4arch9wavefront6targetE0EEEvSK_
    .private_segment_fixed_size: 0
    .sgpr_count:     0
    .sgpr_spill_count: 0
    .symbol:         _ZN7rocprim17ROCPRIM_400000_NS6detail17trampoline_kernelINS0_14default_configENS1_36segmented_radix_sort_config_selectorIflEEZNS1_25segmented_radix_sort_implIS3_Lb1EPKfPfPKlPlN2at6native12_GLOBAL__N_18offset_tEEE10hipError_tPvRmT1_PNSt15iterator_traitsISK_E10value_typeET2_T3_PNSL_ISQ_E10value_typeET4_jRbjT5_SW_jjP12ihipStream_tbEUlT_E1_NS1_11comp_targetILNS1_3genE0ELNS1_11target_archE4294967295ELNS1_3gpuE0ELNS1_3repE0EEENS1_59segmented_radix_sort_warp_sort_small_config_static_selectorELNS0_4arch9wavefront6targetE0EEEvSK_.kd
    .uniform_work_group_size: 1
    .uses_dynamic_stack: false
    .vgpr_count:     0
    .vgpr_spill_count: 0
    .wavefront_size: 32
    .workgroup_processor_mode: 1
  - .args:
      - .offset:         0
        .size:           88
        .value_kind:     by_value
    .group_segment_fixed_size: 0
    .kernarg_segment_align: 8
    .kernarg_segment_size: 88
    .language:       OpenCL C
    .language_version:
      - 2
      - 0
    .max_flat_workgroup_size: 256
    .name:           _ZN7rocprim17ROCPRIM_400000_NS6detail17trampoline_kernelINS0_14default_configENS1_36segmented_radix_sort_config_selectorIflEEZNS1_25segmented_radix_sort_implIS3_Lb1EPKfPfPKlPlN2at6native12_GLOBAL__N_18offset_tEEE10hipError_tPvRmT1_PNSt15iterator_traitsISK_E10value_typeET2_T3_PNSL_ISQ_E10value_typeET4_jRbjT5_SW_jjP12ihipStream_tbEUlT_E1_NS1_11comp_targetILNS1_3genE5ELNS1_11target_archE942ELNS1_3gpuE9ELNS1_3repE0EEENS1_59segmented_radix_sort_warp_sort_small_config_static_selectorELNS0_4arch9wavefront6targetE0EEEvSK_
    .private_segment_fixed_size: 0
    .sgpr_count:     0
    .sgpr_spill_count: 0
    .symbol:         _ZN7rocprim17ROCPRIM_400000_NS6detail17trampoline_kernelINS0_14default_configENS1_36segmented_radix_sort_config_selectorIflEEZNS1_25segmented_radix_sort_implIS3_Lb1EPKfPfPKlPlN2at6native12_GLOBAL__N_18offset_tEEE10hipError_tPvRmT1_PNSt15iterator_traitsISK_E10value_typeET2_T3_PNSL_ISQ_E10value_typeET4_jRbjT5_SW_jjP12ihipStream_tbEUlT_E1_NS1_11comp_targetILNS1_3genE5ELNS1_11target_archE942ELNS1_3gpuE9ELNS1_3repE0EEENS1_59segmented_radix_sort_warp_sort_small_config_static_selectorELNS0_4arch9wavefront6targetE0EEEvSK_.kd
    .uniform_work_group_size: 1
    .uses_dynamic_stack: false
    .vgpr_count:     0
    .vgpr_spill_count: 0
    .wavefront_size: 32
    .workgroup_processor_mode: 1
  - .args:
      - .offset:         0
        .size:           88
        .value_kind:     by_value
    .group_segment_fixed_size: 0
    .kernarg_segment_align: 8
    .kernarg_segment_size: 88
    .language:       OpenCL C
    .language_version:
      - 2
      - 0
    .max_flat_workgroup_size: 256
    .name:           _ZN7rocprim17ROCPRIM_400000_NS6detail17trampoline_kernelINS0_14default_configENS1_36segmented_radix_sort_config_selectorIflEEZNS1_25segmented_radix_sort_implIS3_Lb1EPKfPfPKlPlN2at6native12_GLOBAL__N_18offset_tEEE10hipError_tPvRmT1_PNSt15iterator_traitsISK_E10value_typeET2_T3_PNSL_ISQ_E10value_typeET4_jRbjT5_SW_jjP12ihipStream_tbEUlT_E1_NS1_11comp_targetILNS1_3genE4ELNS1_11target_archE910ELNS1_3gpuE8ELNS1_3repE0EEENS1_59segmented_radix_sort_warp_sort_small_config_static_selectorELNS0_4arch9wavefront6targetE0EEEvSK_
    .private_segment_fixed_size: 0
    .sgpr_count:     0
    .sgpr_spill_count: 0
    .symbol:         _ZN7rocprim17ROCPRIM_400000_NS6detail17trampoline_kernelINS0_14default_configENS1_36segmented_radix_sort_config_selectorIflEEZNS1_25segmented_radix_sort_implIS3_Lb1EPKfPfPKlPlN2at6native12_GLOBAL__N_18offset_tEEE10hipError_tPvRmT1_PNSt15iterator_traitsISK_E10value_typeET2_T3_PNSL_ISQ_E10value_typeET4_jRbjT5_SW_jjP12ihipStream_tbEUlT_E1_NS1_11comp_targetILNS1_3genE4ELNS1_11target_archE910ELNS1_3gpuE8ELNS1_3repE0EEENS1_59segmented_radix_sort_warp_sort_small_config_static_selectorELNS0_4arch9wavefront6targetE0EEEvSK_.kd
    .uniform_work_group_size: 1
    .uses_dynamic_stack: false
    .vgpr_count:     0
    .vgpr_spill_count: 0
    .wavefront_size: 32
    .workgroup_processor_mode: 1
  - .args:
      - .offset:         0
        .size:           88
        .value_kind:     by_value
    .group_segment_fixed_size: 0
    .kernarg_segment_align: 8
    .kernarg_segment_size: 88
    .language:       OpenCL C
    .language_version:
      - 2
      - 0
    .max_flat_workgroup_size: 256
    .name:           _ZN7rocprim17ROCPRIM_400000_NS6detail17trampoline_kernelINS0_14default_configENS1_36segmented_radix_sort_config_selectorIflEEZNS1_25segmented_radix_sort_implIS3_Lb1EPKfPfPKlPlN2at6native12_GLOBAL__N_18offset_tEEE10hipError_tPvRmT1_PNSt15iterator_traitsISK_E10value_typeET2_T3_PNSL_ISQ_E10value_typeET4_jRbjT5_SW_jjP12ihipStream_tbEUlT_E1_NS1_11comp_targetILNS1_3genE3ELNS1_11target_archE908ELNS1_3gpuE7ELNS1_3repE0EEENS1_59segmented_radix_sort_warp_sort_small_config_static_selectorELNS0_4arch9wavefront6targetE0EEEvSK_
    .private_segment_fixed_size: 0
    .sgpr_count:     0
    .sgpr_spill_count: 0
    .symbol:         _ZN7rocprim17ROCPRIM_400000_NS6detail17trampoline_kernelINS0_14default_configENS1_36segmented_radix_sort_config_selectorIflEEZNS1_25segmented_radix_sort_implIS3_Lb1EPKfPfPKlPlN2at6native12_GLOBAL__N_18offset_tEEE10hipError_tPvRmT1_PNSt15iterator_traitsISK_E10value_typeET2_T3_PNSL_ISQ_E10value_typeET4_jRbjT5_SW_jjP12ihipStream_tbEUlT_E1_NS1_11comp_targetILNS1_3genE3ELNS1_11target_archE908ELNS1_3gpuE7ELNS1_3repE0EEENS1_59segmented_radix_sort_warp_sort_small_config_static_selectorELNS0_4arch9wavefront6targetE0EEEvSK_.kd
    .uniform_work_group_size: 1
    .uses_dynamic_stack: false
    .vgpr_count:     0
    .vgpr_spill_count: 0
    .wavefront_size: 32
    .workgroup_processor_mode: 1
  - .args:
      - .offset:         0
        .size:           88
        .value_kind:     by_value
    .group_segment_fixed_size: 0
    .kernarg_segment_align: 8
    .kernarg_segment_size: 88
    .language:       OpenCL C
    .language_version:
      - 2
      - 0
    .max_flat_workgroup_size: 256
    .name:           _ZN7rocprim17ROCPRIM_400000_NS6detail17trampoline_kernelINS0_14default_configENS1_36segmented_radix_sort_config_selectorIflEEZNS1_25segmented_radix_sort_implIS3_Lb1EPKfPfPKlPlN2at6native12_GLOBAL__N_18offset_tEEE10hipError_tPvRmT1_PNSt15iterator_traitsISK_E10value_typeET2_T3_PNSL_ISQ_E10value_typeET4_jRbjT5_SW_jjP12ihipStream_tbEUlT_E1_NS1_11comp_targetILNS1_3genE2ELNS1_11target_archE906ELNS1_3gpuE6ELNS1_3repE0EEENS1_59segmented_radix_sort_warp_sort_small_config_static_selectorELNS0_4arch9wavefront6targetE0EEEvSK_
    .private_segment_fixed_size: 0
    .sgpr_count:     0
    .sgpr_spill_count: 0
    .symbol:         _ZN7rocprim17ROCPRIM_400000_NS6detail17trampoline_kernelINS0_14default_configENS1_36segmented_radix_sort_config_selectorIflEEZNS1_25segmented_radix_sort_implIS3_Lb1EPKfPfPKlPlN2at6native12_GLOBAL__N_18offset_tEEE10hipError_tPvRmT1_PNSt15iterator_traitsISK_E10value_typeET2_T3_PNSL_ISQ_E10value_typeET4_jRbjT5_SW_jjP12ihipStream_tbEUlT_E1_NS1_11comp_targetILNS1_3genE2ELNS1_11target_archE906ELNS1_3gpuE6ELNS1_3repE0EEENS1_59segmented_radix_sort_warp_sort_small_config_static_selectorELNS0_4arch9wavefront6targetE0EEEvSK_.kd
    .uniform_work_group_size: 1
    .uses_dynamic_stack: false
    .vgpr_count:     0
    .vgpr_spill_count: 0
    .wavefront_size: 32
    .workgroup_processor_mode: 1
  - .args:
      - .offset:         0
        .size:           88
        .value_kind:     by_value
      - .offset:         88
        .size:           4
        .value_kind:     hidden_block_count_x
      - .offset:         92
        .size:           4
        .value_kind:     hidden_block_count_y
      - .offset:         96
        .size:           4
        .value_kind:     hidden_block_count_z
      - .offset:         100
        .size:           2
        .value_kind:     hidden_group_size_x
      - .offset:         102
        .size:           2
        .value_kind:     hidden_group_size_y
      - .offset:         104
        .size:           2
        .value_kind:     hidden_group_size_z
      - .offset:         106
        .size:           2
        .value_kind:     hidden_remainder_x
      - .offset:         108
        .size:           2
        .value_kind:     hidden_remainder_y
      - .offset:         110
        .size:           2
        .value_kind:     hidden_remainder_z
      - .offset:         128
        .size:           8
        .value_kind:     hidden_global_offset_x
      - .offset:         136
        .size:           8
        .value_kind:     hidden_global_offset_y
      - .offset:         144
        .size:           8
        .value_kind:     hidden_global_offset_z
      - .offset:         152
        .size:           2
        .value_kind:     hidden_grid_dims
    .group_segment_fixed_size: 12288
    .kernarg_segment_align: 8
    .kernarg_segment_size: 344
    .language:       OpenCL C
    .language_version:
      - 2
      - 0
    .max_flat_workgroup_size: 256
    .name:           _ZN7rocprim17ROCPRIM_400000_NS6detail17trampoline_kernelINS0_14default_configENS1_36segmented_radix_sort_config_selectorIflEEZNS1_25segmented_radix_sort_implIS3_Lb1EPKfPfPKlPlN2at6native12_GLOBAL__N_18offset_tEEE10hipError_tPvRmT1_PNSt15iterator_traitsISK_E10value_typeET2_T3_PNSL_ISQ_E10value_typeET4_jRbjT5_SW_jjP12ihipStream_tbEUlT_E1_NS1_11comp_targetILNS1_3genE10ELNS1_11target_archE1201ELNS1_3gpuE5ELNS1_3repE0EEENS1_59segmented_radix_sort_warp_sort_small_config_static_selectorELNS0_4arch9wavefront6targetE0EEEvSK_
    .private_segment_fixed_size: 0
    .sgpr_count:     35
    .sgpr_spill_count: 0
    .symbol:         _ZN7rocprim17ROCPRIM_400000_NS6detail17trampoline_kernelINS0_14default_configENS1_36segmented_radix_sort_config_selectorIflEEZNS1_25segmented_radix_sort_implIS3_Lb1EPKfPfPKlPlN2at6native12_GLOBAL__N_18offset_tEEE10hipError_tPvRmT1_PNSt15iterator_traitsISK_E10value_typeET2_T3_PNSL_ISQ_E10value_typeET4_jRbjT5_SW_jjP12ihipStream_tbEUlT_E1_NS1_11comp_targetILNS1_3genE10ELNS1_11target_archE1201ELNS1_3gpuE5ELNS1_3repE0EEENS1_59segmented_radix_sort_warp_sort_small_config_static_selectorELNS0_4arch9wavefront6targetE0EEEvSK_.kd
    .uniform_work_group_size: 1
    .uses_dynamic_stack: false
    .vgpr_count:     66
    .vgpr_spill_count: 0
    .wavefront_size: 32
    .workgroup_processor_mode: 1
  - .args:
      - .offset:         0
        .size:           88
        .value_kind:     by_value
    .group_segment_fixed_size: 0
    .kernarg_segment_align: 8
    .kernarg_segment_size: 88
    .language:       OpenCL C
    .language_version:
      - 2
      - 0
    .max_flat_workgroup_size: 256
    .name:           _ZN7rocprim17ROCPRIM_400000_NS6detail17trampoline_kernelINS0_14default_configENS1_36segmented_radix_sort_config_selectorIflEEZNS1_25segmented_radix_sort_implIS3_Lb1EPKfPfPKlPlN2at6native12_GLOBAL__N_18offset_tEEE10hipError_tPvRmT1_PNSt15iterator_traitsISK_E10value_typeET2_T3_PNSL_ISQ_E10value_typeET4_jRbjT5_SW_jjP12ihipStream_tbEUlT_E1_NS1_11comp_targetILNS1_3genE10ELNS1_11target_archE1200ELNS1_3gpuE4ELNS1_3repE0EEENS1_59segmented_radix_sort_warp_sort_small_config_static_selectorELNS0_4arch9wavefront6targetE0EEEvSK_
    .private_segment_fixed_size: 0
    .sgpr_count:     0
    .sgpr_spill_count: 0
    .symbol:         _ZN7rocprim17ROCPRIM_400000_NS6detail17trampoline_kernelINS0_14default_configENS1_36segmented_radix_sort_config_selectorIflEEZNS1_25segmented_radix_sort_implIS3_Lb1EPKfPfPKlPlN2at6native12_GLOBAL__N_18offset_tEEE10hipError_tPvRmT1_PNSt15iterator_traitsISK_E10value_typeET2_T3_PNSL_ISQ_E10value_typeET4_jRbjT5_SW_jjP12ihipStream_tbEUlT_E1_NS1_11comp_targetILNS1_3genE10ELNS1_11target_archE1200ELNS1_3gpuE4ELNS1_3repE0EEENS1_59segmented_radix_sort_warp_sort_small_config_static_selectorELNS0_4arch9wavefront6targetE0EEEvSK_.kd
    .uniform_work_group_size: 1
    .uses_dynamic_stack: false
    .vgpr_count:     0
    .vgpr_spill_count: 0
    .wavefront_size: 32
    .workgroup_processor_mode: 1
  - .args:
      - .offset:         0
        .size:           88
        .value_kind:     by_value
    .group_segment_fixed_size: 0
    .kernarg_segment_align: 8
    .kernarg_segment_size: 88
    .language:       OpenCL C
    .language_version:
      - 2
      - 0
    .max_flat_workgroup_size: 256
    .name:           _ZN7rocprim17ROCPRIM_400000_NS6detail17trampoline_kernelINS0_14default_configENS1_36segmented_radix_sort_config_selectorIflEEZNS1_25segmented_radix_sort_implIS3_Lb1EPKfPfPKlPlN2at6native12_GLOBAL__N_18offset_tEEE10hipError_tPvRmT1_PNSt15iterator_traitsISK_E10value_typeET2_T3_PNSL_ISQ_E10value_typeET4_jRbjT5_SW_jjP12ihipStream_tbEUlT_E1_NS1_11comp_targetILNS1_3genE9ELNS1_11target_archE1100ELNS1_3gpuE3ELNS1_3repE0EEENS1_59segmented_radix_sort_warp_sort_small_config_static_selectorELNS0_4arch9wavefront6targetE0EEEvSK_
    .private_segment_fixed_size: 0
    .sgpr_count:     0
    .sgpr_spill_count: 0
    .symbol:         _ZN7rocprim17ROCPRIM_400000_NS6detail17trampoline_kernelINS0_14default_configENS1_36segmented_radix_sort_config_selectorIflEEZNS1_25segmented_radix_sort_implIS3_Lb1EPKfPfPKlPlN2at6native12_GLOBAL__N_18offset_tEEE10hipError_tPvRmT1_PNSt15iterator_traitsISK_E10value_typeET2_T3_PNSL_ISQ_E10value_typeET4_jRbjT5_SW_jjP12ihipStream_tbEUlT_E1_NS1_11comp_targetILNS1_3genE9ELNS1_11target_archE1100ELNS1_3gpuE3ELNS1_3repE0EEENS1_59segmented_radix_sort_warp_sort_small_config_static_selectorELNS0_4arch9wavefront6targetE0EEEvSK_.kd
    .uniform_work_group_size: 1
    .uses_dynamic_stack: false
    .vgpr_count:     0
    .vgpr_spill_count: 0
    .wavefront_size: 32
    .workgroup_processor_mode: 1
  - .args:
      - .offset:         0
        .size:           88
        .value_kind:     by_value
    .group_segment_fixed_size: 0
    .kernarg_segment_align: 8
    .kernarg_segment_size: 88
    .language:       OpenCL C
    .language_version:
      - 2
      - 0
    .max_flat_workgroup_size: 256
    .name:           _ZN7rocprim17ROCPRIM_400000_NS6detail17trampoline_kernelINS0_14default_configENS1_36segmented_radix_sort_config_selectorIflEEZNS1_25segmented_radix_sort_implIS3_Lb1EPKfPfPKlPlN2at6native12_GLOBAL__N_18offset_tEEE10hipError_tPvRmT1_PNSt15iterator_traitsISK_E10value_typeET2_T3_PNSL_ISQ_E10value_typeET4_jRbjT5_SW_jjP12ihipStream_tbEUlT_E1_NS1_11comp_targetILNS1_3genE8ELNS1_11target_archE1030ELNS1_3gpuE2ELNS1_3repE0EEENS1_59segmented_radix_sort_warp_sort_small_config_static_selectorELNS0_4arch9wavefront6targetE0EEEvSK_
    .private_segment_fixed_size: 0
    .sgpr_count:     0
    .sgpr_spill_count: 0
    .symbol:         _ZN7rocprim17ROCPRIM_400000_NS6detail17trampoline_kernelINS0_14default_configENS1_36segmented_radix_sort_config_selectorIflEEZNS1_25segmented_radix_sort_implIS3_Lb1EPKfPfPKlPlN2at6native12_GLOBAL__N_18offset_tEEE10hipError_tPvRmT1_PNSt15iterator_traitsISK_E10value_typeET2_T3_PNSL_ISQ_E10value_typeET4_jRbjT5_SW_jjP12ihipStream_tbEUlT_E1_NS1_11comp_targetILNS1_3genE8ELNS1_11target_archE1030ELNS1_3gpuE2ELNS1_3repE0EEENS1_59segmented_radix_sort_warp_sort_small_config_static_selectorELNS0_4arch9wavefront6targetE0EEEvSK_.kd
    .uniform_work_group_size: 1
    .uses_dynamic_stack: false
    .vgpr_count:     0
    .vgpr_spill_count: 0
    .wavefront_size: 32
    .workgroup_processor_mode: 1
  - .args:
      - .offset:         0
        .size:           80
        .value_kind:     by_value
    .group_segment_fixed_size: 0
    .kernarg_segment_align: 8
    .kernarg_segment_size: 80
    .language:       OpenCL C
    .language_version:
      - 2
      - 0
    .max_flat_workgroup_size: 256
    .name:           _ZN7rocprim17ROCPRIM_400000_NS6detail17trampoline_kernelINS0_14default_configENS1_36segmented_radix_sort_config_selectorIflEEZNS1_25segmented_radix_sort_implIS3_Lb1EPKfPfPKlPlN2at6native12_GLOBAL__N_18offset_tEEE10hipError_tPvRmT1_PNSt15iterator_traitsISK_E10value_typeET2_T3_PNSL_ISQ_E10value_typeET4_jRbjT5_SW_jjP12ihipStream_tbEUlT_E2_NS1_11comp_targetILNS1_3genE0ELNS1_11target_archE4294967295ELNS1_3gpuE0ELNS1_3repE0EEENS1_30default_config_static_selectorELNS0_4arch9wavefront6targetE0EEEvSK_
    .private_segment_fixed_size: 0
    .sgpr_count:     0
    .sgpr_spill_count: 0
    .symbol:         _ZN7rocprim17ROCPRIM_400000_NS6detail17trampoline_kernelINS0_14default_configENS1_36segmented_radix_sort_config_selectorIflEEZNS1_25segmented_radix_sort_implIS3_Lb1EPKfPfPKlPlN2at6native12_GLOBAL__N_18offset_tEEE10hipError_tPvRmT1_PNSt15iterator_traitsISK_E10value_typeET2_T3_PNSL_ISQ_E10value_typeET4_jRbjT5_SW_jjP12ihipStream_tbEUlT_E2_NS1_11comp_targetILNS1_3genE0ELNS1_11target_archE4294967295ELNS1_3gpuE0ELNS1_3repE0EEENS1_30default_config_static_selectorELNS0_4arch9wavefront6targetE0EEEvSK_.kd
    .uniform_work_group_size: 1
    .uses_dynamic_stack: false
    .vgpr_count:     0
    .vgpr_spill_count: 0
    .wavefront_size: 32
    .workgroup_processor_mode: 1
  - .args:
      - .offset:         0
        .size:           80
        .value_kind:     by_value
    .group_segment_fixed_size: 0
    .kernarg_segment_align: 8
    .kernarg_segment_size: 80
    .language:       OpenCL C
    .language_version:
      - 2
      - 0
    .max_flat_workgroup_size: 256
    .name:           _ZN7rocprim17ROCPRIM_400000_NS6detail17trampoline_kernelINS0_14default_configENS1_36segmented_radix_sort_config_selectorIflEEZNS1_25segmented_radix_sort_implIS3_Lb1EPKfPfPKlPlN2at6native12_GLOBAL__N_18offset_tEEE10hipError_tPvRmT1_PNSt15iterator_traitsISK_E10value_typeET2_T3_PNSL_ISQ_E10value_typeET4_jRbjT5_SW_jjP12ihipStream_tbEUlT_E2_NS1_11comp_targetILNS1_3genE5ELNS1_11target_archE942ELNS1_3gpuE9ELNS1_3repE0EEENS1_30default_config_static_selectorELNS0_4arch9wavefront6targetE0EEEvSK_
    .private_segment_fixed_size: 0
    .sgpr_count:     0
    .sgpr_spill_count: 0
    .symbol:         _ZN7rocprim17ROCPRIM_400000_NS6detail17trampoline_kernelINS0_14default_configENS1_36segmented_radix_sort_config_selectorIflEEZNS1_25segmented_radix_sort_implIS3_Lb1EPKfPfPKlPlN2at6native12_GLOBAL__N_18offset_tEEE10hipError_tPvRmT1_PNSt15iterator_traitsISK_E10value_typeET2_T3_PNSL_ISQ_E10value_typeET4_jRbjT5_SW_jjP12ihipStream_tbEUlT_E2_NS1_11comp_targetILNS1_3genE5ELNS1_11target_archE942ELNS1_3gpuE9ELNS1_3repE0EEENS1_30default_config_static_selectorELNS0_4arch9wavefront6targetE0EEEvSK_.kd
    .uniform_work_group_size: 1
    .uses_dynamic_stack: false
    .vgpr_count:     0
    .vgpr_spill_count: 0
    .wavefront_size: 32
    .workgroup_processor_mode: 1
  - .args:
      - .offset:         0
        .size:           80
        .value_kind:     by_value
    .group_segment_fixed_size: 0
    .kernarg_segment_align: 8
    .kernarg_segment_size: 80
    .language:       OpenCL C
    .language_version:
      - 2
      - 0
    .max_flat_workgroup_size: 256
    .name:           _ZN7rocprim17ROCPRIM_400000_NS6detail17trampoline_kernelINS0_14default_configENS1_36segmented_radix_sort_config_selectorIflEEZNS1_25segmented_radix_sort_implIS3_Lb1EPKfPfPKlPlN2at6native12_GLOBAL__N_18offset_tEEE10hipError_tPvRmT1_PNSt15iterator_traitsISK_E10value_typeET2_T3_PNSL_ISQ_E10value_typeET4_jRbjT5_SW_jjP12ihipStream_tbEUlT_E2_NS1_11comp_targetILNS1_3genE4ELNS1_11target_archE910ELNS1_3gpuE8ELNS1_3repE0EEENS1_30default_config_static_selectorELNS0_4arch9wavefront6targetE0EEEvSK_
    .private_segment_fixed_size: 0
    .sgpr_count:     0
    .sgpr_spill_count: 0
    .symbol:         _ZN7rocprim17ROCPRIM_400000_NS6detail17trampoline_kernelINS0_14default_configENS1_36segmented_radix_sort_config_selectorIflEEZNS1_25segmented_radix_sort_implIS3_Lb1EPKfPfPKlPlN2at6native12_GLOBAL__N_18offset_tEEE10hipError_tPvRmT1_PNSt15iterator_traitsISK_E10value_typeET2_T3_PNSL_ISQ_E10value_typeET4_jRbjT5_SW_jjP12ihipStream_tbEUlT_E2_NS1_11comp_targetILNS1_3genE4ELNS1_11target_archE910ELNS1_3gpuE8ELNS1_3repE0EEENS1_30default_config_static_selectorELNS0_4arch9wavefront6targetE0EEEvSK_.kd
    .uniform_work_group_size: 1
    .uses_dynamic_stack: false
    .vgpr_count:     0
    .vgpr_spill_count: 0
    .wavefront_size: 32
    .workgroup_processor_mode: 1
  - .args:
      - .offset:         0
        .size:           80
        .value_kind:     by_value
    .group_segment_fixed_size: 0
    .kernarg_segment_align: 8
    .kernarg_segment_size: 80
    .language:       OpenCL C
    .language_version:
      - 2
      - 0
    .max_flat_workgroup_size: 256
    .name:           _ZN7rocprim17ROCPRIM_400000_NS6detail17trampoline_kernelINS0_14default_configENS1_36segmented_radix_sort_config_selectorIflEEZNS1_25segmented_radix_sort_implIS3_Lb1EPKfPfPKlPlN2at6native12_GLOBAL__N_18offset_tEEE10hipError_tPvRmT1_PNSt15iterator_traitsISK_E10value_typeET2_T3_PNSL_ISQ_E10value_typeET4_jRbjT5_SW_jjP12ihipStream_tbEUlT_E2_NS1_11comp_targetILNS1_3genE3ELNS1_11target_archE908ELNS1_3gpuE7ELNS1_3repE0EEENS1_30default_config_static_selectorELNS0_4arch9wavefront6targetE0EEEvSK_
    .private_segment_fixed_size: 0
    .sgpr_count:     0
    .sgpr_spill_count: 0
    .symbol:         _ZN7rocprim17ROCPRIM_400000_NS6detail17trampoline_kernelINS0_14default_configENS1_36segmented_radix_sort_config_selectorIflEEZNS1_25segmented_radix_sort_implIS3_Lb1EPKfPfPKlPlN2at6native12_GLOBAL__N_18offset_tEEE10hipError_tPvRmT1_PNSt15iterator_traitsISK_E10value_typeET2_T3_PNSL_ISQ_E10value_typeET4_jRbjT5_SW_jjP12ihipStream_tbEUlT_E2_NS1_11comp_targetILNS1_3genE3ELNS1_11target_archE908ELNS1_3gpuE7ELNS1_3repE0EEENS1_30default_config_static_selectorELNS0_4arch9wavefront6targetE0EEEvSK_.kd
    .uniform_work_group_size: 1
    .uses_dynamic_stack: false
    .vgpr_count:     0
    .vgpr_spill_count: 0
    .wavefront_size: 32
    .workgroup_processor_mode: 1
  - .args:
      - .offset:         0
        .size:           80
        .value_kind:     by_value
    .group_segment_fixed_size: 0
    .kernarg_segment_align: 8
    .kernarg_segment_size: 80
    .language:       OpenCL C
    .language_version:
      - 2
      - 0
    .max_flat_workgroup_size: 256
    .name:           _ZN7rocprim17ROCPRIM_400000_NS6detail17trampoline_kernelINS0_14default_configENS1_36segmented_radix_sort_config_selectorIflEEZNS1_25segmented_radix_sort_implIS3_Lb1EPKfPfPKlPlN2at6native12_GLOBAL__N_18offset_tEEE10hipError_tPvRmT1_PNSt15iterator_traitsISK_E10value_typeET2_T3_PNSL_ISQ_E10value_typeET4_jRbjT5_SW_jjP12ihipStream_tbEUlT_E2_NS1_11comp_targetILNS1_3genE2ELNS1_11target_archE906ELNS1_3gpuE6ELNS1_3repE0EEENS1_30default_config_static_selectorELNS0_4arch9wavefront6targetE0EEEvSK_
    .private_segment_fixed_size: 0
    .sgpr_count:     0
    .sgpr_spill_count: 0
    .symbol:         _ZN7rocprim17ROCPRIM_400000_NS6detail17trampoline_kernelINS0_14default_configENS1_36segmented_radix_sort_config_selectorIflEEZNS1_25segmented_radix_sort_implIS3_Lb1EPKfPfPKlPlN2at6native12_GLOBAL__N_18offset_tEEE10hipError_tPvRmT1_PNSt15iterator_traitsISK_E10value_typeET2_T3_PNSL_ISQ_E10value_typeET4_jRbjT5_SW_jjP12ihipStream_tbEUlT_E2_NS1_11comp_targetILNS1_3genE2ELNS1_11target_archE906ELNS1_3gpuE6ELNS1_3repE0EEENS1_30default_config_static_selectorELNS0_4arch9wavefront6targetE0EEEvSK_.kd
    .uniform_work_group_size: 1
    .uses_dynamic_stack: false
    .vgpr_count:     0
    .vgpr_spill_count: 0
    .wavefront_size: 32
    .workgroup_processor_mode: 1
  - .args:
      - .offset:         0
        .size:           80
        .value_kind:     by_value
      - .offset:         80
        .size:           4
        .value_kind:     hidden_block_count_x
      - .offset:         84
        .size:           4
        .value_kind:     hidden_block_count_y
      - .offset:         88
        .size:           4
        .value_kind:     hidden_block_count_z
      - .offset:         92
        .size:           2
        .value_kind:     hidden_group_size_x
      - .offset:         94
        .size:           2
        .value_kind:     hidden_group_size_y
      - .offset:         96
        .size:           2
        .value_kind:     hidden_group_size_z
      - .offset:         98
        .size:           2
        .value_kind:     hidden_remainder_x
      - .offset:         100
        .size:           2
        .value_kind:     hidden_remainder_y
      - .offset:         102
        .size:           2
        .value_kind:     hidden_remainder_z
      - .offset:         120
        .size:           8
        .value_kind:     hidden_global_offset_x
      - .offset:         128
        .size:           8
        .value_kind:     hidden_global_offset_y
      - .offset:         136
        .size:           8
        .value_kind:     hidden_global_offset_z
      - .offset:         144
        .size:           2
        .value_kind:     hidden_grid_dims
    .group_segment_fixed_size: 33824
    .kernarg_segment_align: 8
    .kernarg_segment_size: 336
    .language:       OpenCL C
    .language_version:
      - 2
      - 0
    .max_flat_workgroup_size: 256
    .name:           _ZN7rocprim17ROCPRIM_400000_NS6detail17trampoline_kernelINS0_14default_configENS1_36segmented_radix_sort_config_selectorIflEEZNS1_25segmented_radix_sort_implIS3_Lb1EPKfPfPKlPlN2at6native12_GLOBAL__N_18offset_tEEE10hipError_tPvRmT1_PNSt15iterator_traitsISK_E10value_typeET2_T3_PNSL_ISQ_E10value_typeET4_jRbjT5_SW_jjP12ihipStream_tbEUlT_E2_NS1_11comp_targetILNS1_3genE10ELNS1_11target_archE1201ELNS1_3gpuE5ELNS1_3repE0EEENS1_30default_config_static_selectorELNS0_4arch9wavefront6targetE0EEEvSK_
    .private_segment_fixed_size: 100
    .sgpr_count:     60
    .sgpr_spill_count: 0
    .symbol:         _ZN7rocprim17ROCPRIM_400000_NS6detail17trampoline_kernelINS0_14default_configENS1_36segmented_radix_sort_config_selectorIflEEZNS1_25segmented_radix_sort_implIS3_Lb1EPKfPfPKlPlN2at6native12_GLOBAL__N_18offset_tEEE10hipError_tPvRmT1_PNSt15iterator_traitsISK_E10value_typeET2_T3_PNSL_ISQ_E10value_typeET4_jRbjT5_SW_jjP12ihipStream_tbEUlT_E2_NS1_11comp_targetILNS1_3genE10ELNS1_11target_archE1201ELNS1_3gpuE5ELNS1_3repE0EEENS1_30default_config_static_selectorELNS0_4arch9wavefront6targetE0EEEvSK_.kd
    .uniform_work_group_size: 1
    .uses_dynamic_stack: false
    .vgpr_count:     248
    .vgpr_spill_count: 0
    .wavefront_size: 32
    .workgroup_processor_mode: 1
  - .args:
      - .offset:         0
        .size:           80
        .value_kind:     by_value
    .group_segment_fixed_size: 0
    .kernarg_segment_align: 8
    .kernarg_segment_size: 80
    .language:       OpenCL C
    .language_version:
      - 2
      - 0
    .max_flat_workgroup_size: 128
    .name:           _ZN7rocprim17ROCPRIM_400000_NS6detail17trampoline_kernelINS0_14default_configENS1_36segmented_radix_sort_config_selectorIflEEZNS1_25segmented_radix_sort_implIS3_Lb1EPKfPfPKlPlN2at6native12_GLOBAL__N_18offset_tEEE10hipError_tPvRmT1_PNSt15iterator_traitsISK_E10value_typeET2_T3_PNSL_ISQ_E10value_typeET4_jRbjT5_SW_jjP12ihipStream_tbEUlT_E2_NS1_11comp_targetILNS1_3genE10ELNS1_11target_archE1200ELNS1_3gpuE4ELNS1_3repE0EEENS1_30default_config_static_selectorELNS0_4arch9wavefront6targetE0EEEvSK_
    .private_segment_fixed_size: 0
    .sgpr_count:     0
    .sgpr_spill_count: 0
    .symbol:         _ZN7rocprim17ROCPRIM_400000_NS6detail17trampoline_kernelINS0_14default_configENS1_36segmented_radix_sort_config_selectorIflEEZNS1_25segmented_radix_sort_implIS3_Lb1EPKfPfPKlPlN2at6native12_GLOBAL__N_18offset_tEEE10hipError_tPvRmT1_PNSt15iterator_traitsISK_E10value_typeET2_T3_PNSL_ISQ_E10value_typeET4_jRbjT5_SW_jjP12ihipStream_tbEUlT_E2_NS1_11comp_targetILNS1_3genE10ELNS1_11target_archE1200ELNS1_3gpuE4ELNS1_3repE0EEENS1_30default_config_static_selectorELNS0_4arch9wavefront6targetE0EEEvSK_.kd
    .uniform_work_group_size: 1
    .uses_dynamic_stack: false
    .vgpr_count:     0
    .vgpr_spill_count: 0
    .wavefront_size: 32
    .workgroup_processor_mode: 1
  - .args:
      - .offset:         0
        .size:           80
        .value_kind:     by_value
    .group_segment_fixed_size: 0
    .kernarg_segment_align: 8
    .kernarg_segment_size: 80
    .language:       OpenCL C
    .language_version:
      - 2
      - 0
    .max_flat_workgroup_size: 256
    .name:           _ZN7rocprim17ROCPRIM_400000_NS6detail17trampoline_kernelINS0_14default_configENS1_36segmented_radix_sort_config_selectorIflEEZNS1_25segmented_radix_sort_implIS3_Lb1EPKfPfPKlPlN2at6native12_GLOBAL__N_18offset_tEEE10hipError_tPvRmT1_PNSt15iterator_traitsISK_E10value_typeET2_T3_PNSL_ISQ_E10value_typeET4_jRbjT5_SW_jjP12ihipStream_tbEUlT_E2_NS1_11comp_targetILNS1_3genE9ELNS1_11target_archE1100ELNS1_3gpuE3ELNS1_3repE0EEENS1_30default_config_static_selectorELNS0_4arch9wavefront6targetE0EEEvSK_
    .private_segment_fixed_size: 0
    .sgpr_count:     0
    .sgpr_spill_count: 0
    .symbol:         _ZN7rocprim17ROCPRIM_400000_NS6detail17trampoline_kernelINS0_14default_configENS1_36segmented_radix_sort_config_selectorIflEEZNS1_25segmented_radix_sort_implIS3_Lb1EPKfPfPKlPlN2at6native12_GLOBAL__N_18offset_tEEE10hipError_tPvRmT1_PNSt15iterator_traitsISK_E10value_typeET2_T3_PNSL_ISQ_E10value_typeET4_jRbjT5_SW_jjP12ihipStream_tbEUlT_E2_NS1_11comp_targetILNS1_3genE9ELNS1_11target_archE1100ELNS1_3gpuE3ELNS1_3repE0EEENS1_30default_config_static_selectorELNS0_4arch9wavefront6targetE0EEEvSK_.kd
    .uniform_work_group_size: 1
    .uses_dynamic_stack: false
    .vgpr_count:     0
    .vgpr_spill_count: 0
    .wavefront_size: 32
    .workgroup_processor_mode: 1
  - .args:
      - .offset:         0
        .size:           80
        .value_kind:     by_value
    .group_segment_fixed_size: 0
    .kernarg_segment_align: 8
    .kernarg_segment_size: 80
    .language:       OpenCL C
    .language_version:
      - 2
      - 0
    .max_flat_workgroup_size: 256
    .name:           _ZN7rocprim17ROCPRIM_400000_NS6detail17trampoline_kernelINS0_14default_configENS1_36segmented_radix_sort_config_selectorIflEEZNS1_25segmented_radix_sort_implIS3_Lb1EPKfPfPKlPlN2at6native12_GLOBAL__N_18offset_tEEE10hipError_tPvRmT1_PNSt15iterator_traitsISK_E10value_typeET2_T3_PNSL_ISQ_E10value_typeET4_jRbjT5_SW_jjP12ihipStream_tbEUlT_E2_NS1_11comp_targetILNS1_3genE8ELNS1_11target_archE1030ELNS1_3gpuE2ELNS1_3repE0EEENS1_30default_config_static_selectorELNS0_4arch9wavefront6targetE0EEEvSK_
    .private_segment_fixed_size: 0
    .sgpr_count:     0
    .sgpr_spill_count: 0
    .symbol:         _ZN7rocprim17ROCPRIM_400000_NS6detail17trampoline_kernelINS0_14default_configENS1_36segmented_radix_sort_config_selectorIflEEZNS1_25segmented_radix_sort_implIS3_Lb1EPKfPfPKlPlN2at6native12_GLOBAL__N_18offset_tEEE10hipError_tPvRmT1_PNSt15iterator_traitsISK_E10value_typeET2_T3_PNSL_ISQ_E10value_typeET4_jRbjT5_SW_jjP12ihipStream_tbEUlT_E2_NS1_11comp_targetILNS1_3genE8ELNS1_11target_archE1030ELNS1_3gpuE2ELNS1_3repE0EEENS1_30default_config_static_selectorELNS0_4arch9wavefront6targetE0EEEvSK_.kd
    .uniform_work_group_size: 1
    .uses_dynamic_stack: false
    .vgpr_count:     0
    .vgpr_spill_count: 0
    .wavefront_size: 32
    .workgroup_processor_mode: 1
  - .args:
      - .offset:         0
        .size:           176
        .value_kind:     by_value
    .group_segment_fixed_size: 0
    .kernarg_segment_align: 8
    .kernarg_segment_size: 176
    .language:       OpenCL C
    .language_version:
      - 2
      - 0
    .max_flat_workgroup_size: 256
    .name:           _ZN7rocprim17ROCPRIM_400000_NS6detail17trampoline_kernelINS0_13select_configILj256ELj13ELNS0_17block_load_methodE3ELS4_3ELS4_3ELNS0_20block_scan_algorithmE0ELj4294967295EEENS1_25partition_config_selectorILNS1_17partition_subalgoE4EjNS0_10empty_typeEbEEZZNS1_14partition_implILS8_4ELb0ES6_15HIP_vector_typeIjLj2EENS0_17counting_iteratorIjlEEPS9_SG_NS0_5tupleIJPjSI_NS0_16reverse_iteratorISI_EEEEENSH_IJSG_SG_SG_EEES9_SI_JZNS1_25segmented_radix_sort_implINS0_14default_configELb0EPKfPfPKlPlN2at6native12_GLOBAL__N_18offset_tEEE10hipError_tPvRmT1_PNSt15iterator_traitsIS12_E10value_typeET2_T3_PNS13_IS18_E10value_typeET4_jRbjT5_S1E_jjP12ihipStream_tbEUljE_ZNSN_ISO_Lb0ESQ_SR_ST_SU_SY_EESZ_S10_S11_S12_S16_S17_S18_S1B_S1C_jS1D_jS1E_S1E_jjS1G_bEUljE0_EEESZ_S10_S11_S18_S1C_S1E_T6_T7_T9_mT8_S1G_bDpT10_ENKUlT_T0_E_clISt17integral_constantIbLb0EES1U_EEDaS1P_S1Q_EUlS1P_E_NS1_11comp_targetILNS1_3genE0ELNS1_11target_archE4294967295ELNS1_3gpuE0ELNS1_3repE0EEENS1_30default_config_static_selectorELNS0_4arch9wavefront6targetE0EEEvS12_
    .private_segment_fixed_size: 0
    .sgpr_count:     0
    .sgpr_spill_count: 0
    .symbol:         _ZN7rocprim17ROCPRIM_400000_NS6detail17trampoline_kernelINS0_13select_configILj256ELj13ELNS0_17block_load_methodE3ELS4_3ELS4_3ELNS0_20block_scan_algorithmE0ELj4294967295EEENS1_25partition_config_selectorILNS1_17partition_subalgoE4EjNS0_10empty_typeEbEEZZNS1_14partition_implILS8_4ELb0ES6_15HIP_vector_typeIjLj2EENS0_17counting_iteratorIjlEEPS9_SG_NS0_5tupleIJPjSI_NS0_16reverse_iteratorISI_EEEEENSH_IJSG_SG_SG_EEES9_SI_JZNS1_25segmented_radix_sort_implINS0_14default_configELb0EPKfPfPKlPlN2at6native12_GLOBAL__N_18offset_tEEE10hipError_tPvRmT1_PNSt15iterator_traitsIS12_E10value_typeET2_T3_PNS13_IS18_E10value_typeET4_jRbjT5_S1E_jjP12ihipStream_tbEUljE_ZNSN_ISO_Lb0ESQ_SR_ST_SU_SY_EESZ_S10_S11_S12_S16_S17_S18_S1B_S1C_jS1D_jS1E_S1E_jjS1G_bEUljE0_EEESZ_S10_S11_S18_S1C_S1E_T6_T7_T9_mT8_S1G_bDpT10_ENKUlT_T0_E_clISt17integral_constantIbLb0EES1U_EEDaS1P_S1Q_EUlS1P_E_NS1_11comp_targetILNS1_3genE0ELNS1_11target_archE4294967295ELNS1_3gpuE0ELNS1_3repE0EEENS1_30default_config_static_selectorELNS0_4arch9wavefront6targetE0EEEvS12_.kd
    .uniform_work_group_size: 1
    .uses_dynamic_stack: false
    .vgpr_count:     0
    .vgpr_spill_count: 0
    .wavefront_size: 32
    .workgroup_processor_mode: 1
  - .args:
      - .offset:         0
        .size:           176
        .value_kind:     by_value
    .group_segment_fixed_size: 0
    .kernarg_segment_align: 8
    .kernarg_segment_size: 176
    .language:       OpenCL C
    .language_version:
      - 2
      - 0
    .max_flat_workgroup_size: 256
    .name:           _ZN7rocprim17ROCPRIM_400000_NS6detail17trampoline_kernelINS0_13select_configILj256ELj13ELNS0_17block_load_methodE3ELS4_3ELS4_3ELNS0_20block_scan_algorithmE0ELj4294967295EEENS1_25partition_config_selectorILNS1_17partition_subalgoE4EjNS0_10empty_typeEbEEZZNS1_14partition_implILS8_4ELb0ES6_15HIP_vector_typeIjLj2EENS0_17counting_iteratorIjlEEPS9_SG_NS0_5tupleIJPjSI_NS0_16reverse_iteratorISI_EEEEENSH_IJSG_SG_SG_EEES9_SI_JZNS1_25segmented_radix_sort_implINS0_14default_configELb0EPKfPfPKlPlN2at6native12_GLOBAL__N_18offset_tEEE10hipError_tPvRmT1_PNSt15iterator_traitsIS12_E10value_typeET2_T3_PNS13_IS18_E10value_typeET4_jRbjT5_S1E_jjP12ihipStream_tbEUljE_ZNSN_ISO_Lb0ESQ_SR_ST_SU_SY_EESZ_S10_S11_S12_S16_S17_S18_S1B_S1C_jS1D_jS1E_S1E_jjS1G_bEUljE0_EEESZ_S10_S11_S18_S1C_S1E_T6_T7_T9_mT8_S1G_bDpT10_ENKUlT_T0_E_clISt17integral_constantIbLb0EES1U_EEDaS1P_S1Q_EUlS1P_E_NS1_11comp_targetILNS1_3genE5ELNS1_11target_archE942ELNS1_3gpuE9ELNS1_3repE0EEENS1_30default_config_static_selectorELNS0_4arch9wavefront6targetE0EEEvS12_
    .private_segment_fixed_size: 0
    .sgpr_count:     0
    .sgpr_spill_count: 0
    .symbol:         _ZN7rocprim17ROCPRIM_400000_NS6detail17trampoline_kernelINS0_13select_configILj256ELj13ELNS0_17block_load_methodE3ELS4_3ELS4_3ELNS0_20block_scan_algorithmE0ELj4294967295EEENS1_25partition_config_selectorILNS1_17partition_subalgoE4EjNS0_10empty_typeEbEEZZNS1_14partition_implILS8_4ELb0ES6_15HIP_vector_typeIjLj2EENS0_17counting_iteratorIjlEEPS9_SG_NS0_5tupleIJPjSI_NS0_16reverse_iteratorISI_EEEEENSH_IJSG_SG_SG_EEES9_SI_JZNS1_25segmented_radix_sort_implINS0_14default_configELb0EPKfPfPKlPlN2at6native12_GLOBAL__N_18offset_tEEE10hipError_tPvRmT1_PNSt15iterator_traitsIS12_E10value_typeET2_T3_PNS13_IS18_E10value_typeET4_jRbjT5_S1E_jjP12ihipStream_tbEUljE_ZNSN_ISO_Lb0ESQ_SR_ST_SU_SY_EESZ_S10_S11_S12_S16_S17_S18_S1B_S1C_jS1D_jS1E_S1E_jjS1G_bEUljE0_EEESZ_S10_S11_S18_S1C_S1E_T6_T7_T9_mT8_S1G_bDpT10_ENKUlT_T0_E_clISt17integral_constantIbLb0EES1U_EEDaS1P_S1Q_EUlS1P_E_NS1_11comp_targetILNS1_3genE5ELNS1_11target_archE942ELNS1_3gpuE9ELNS1_3repE0EEENS1_30default_config_static_selectorELNS0_4arch9wavefront6targetE0EEEvS12_.kd
    .uniform_work_group_size: 1
    .uses_dynamic_stack: false
    .vgpr_count:     0
    .vgpr_spill_count: 0
    .wavefront_size: 32
    .workgroup_processor_mode: 1
  - .args:
      - .offset:         0
        .size:           176
        .value_kind:     by_value
    .group_segment_fixed_size: 0
    .kernarg_segment_align: 8
    .kernarg_segment_size: 176
    .language:       OpenCL C
    .language_version:
      - 2
      - 0
    .max_flat_workgroup_size: 256
    .name:           _ZN7rocprim17ROCPRIM_400000_NS6detail17trampoline_kernelINS0_13select_configILj256ELj13ELNS0_17block_load_methodE3ELS4_3ELS4_3ELNS0_20block_scan_algorithmE0ELj4294967295EEENS1_25partition_config_selectorILNS1_17partition_subalgoE4EjNS0_10empty_typeEbEEZZNS1_14partition_implILS8_4ELb0ES6_15HIP_vector_typeIjLj2EENS0_17counting_iteratorIjlEEPS9_SG_NS0_5tupleIJPjSI_NS0_16reverse_iteratorISI_EEEEENSH_IJSG_SG_SG_EEES9_SI_JZNS1_25segmented_radix_sort_implINS0_14default_configELb0EPKfPfPKlPlN2at6native12_GLOBAL__N_18offset_tEEE10hipError_tPvRmT1_PNSt15iterator_traitsIS12_E10value_typeET2_T3_PNS13_IS18_E10value_typeET4_jRbjT5_S1E_jjP12ihipStream_tbEUljE_ZNSN_ISO_Lb0ESQ_SR_ST_SU_SY_EESZ_S10_S11_S12_S16_S17_S18_S1B_S1C_jS1D_jS1E_S1E_jjS1G_bEUljE0_EEESZ_S10_S11_S18_S1C_S1E_T6_T7_T9_mT8_S1G_bDpT10_ENKUlT_T0_E_clISt17integral_constantIbLb0EES1U_EEDaS1P_S1Q_EUlS1P_E_NS1_11comp_targetILNS1_3genE4ELNS1_11target_archE910ELNS1_3gpuE8ELNS1_3repE0EEENS1_30default_config_static_selectorELNS0_4arch9wavefront6targetE0EEEvS12_
    .private_segment_fixed_size: 0
    .sgpr_count:     0
    .sgpr_spill_count: 0
    .symbol:         _ZN7rocprim17ROCPRIM_400000_NS6detail17trampoline_kernelINS0_13select_configILj256ELj13ELNS0_17block_load_methodE3ELS4_3ELS4_3ELNS0_20block_scan_algorithmE0ELj4294967295EEENS1_25partition_config_selectorILNS1_17partition_subalgoE4EjNS0_10empty_typeEbEEZZNS1_14partition_implILS8_4ELb0ES6_15HIP_vector_typeIjLj2EENS0_17counting_iteratorIjlEEPS9_SG_NS0_5tupleIJPjSI_NS0_16reverse_iteratorISI_EEEEENSH_IJSG_SG_SG_EEES9_SI_JZNS1_25segmented_radix_sort_implINS0_14default_configELb0EPKfPfPKlPlN2at6native12_GLOBAL__N_18offset_tEEE10hipError_tPvRmT1_PNSt15iterator_traitsIS12_E10value_typeET2_T3_PNS13_IS18_E10value_typeET4_jRbjT5_S1E_jjP12ihipStream_tbEUljE_ZNSN_ISO_Lb0ESQ_SR_ST_SU_SY_EESZ_S10_S11_S12_S16_S17_S18_S1B_S1C_jS1D_jS1E_S1E_jjS1G_bEUljE0_EEESZ_S10_S11_S18_S1C_S1E_T6_T7_T9_mT8_S1G_bDpT10_ENKUlT_T0_E_clISt17integral_constantIbLb0EES1U_EEDaS1P_S1Q_EUlS1P_E_NS1_11comp_targetILNS1_3genE4ELNS1_11target_archE910ELNS1_3gpuE8ELNS1_3repE0EEENS1_30default_config_static_selectorELNS0_4arch9wavefront6targetE0EEEvS12_.kd
    .uniform_work_group_size: 1
    .uses_dynamic_stack: false
    .vgpr_count:     0
    .vgpr_spill_count: 0
    .wavefront_size: 32
    .workgroup_processor_mode: 1
  - .args:
      - .offset:         0
        .size:           176
        .value_kind:     by_value
    .group_segment_fixed_size: 0
    .kernarg_segment_align: 8
    .kernarg_segment_size: 176
    .language:       OpenCL C
    .language_version:
      - 2
      - 0
    .max_flat_workgroup_size: 256
    .name:           _ZN7rocprim17ROCPRIM_400000_NS6detail17trampoline_kernelINS0_13select_configILj256ELj13ELNS0_17block_load_methodE3ELS4_3ELS4_3ELNS0_20block_scan_algorithmE0ELj4294967295EEENS1_25partition_config_selectorILNS1_17partition_subalgoE4EjNS0_10empty_typeEbEEZZNS1_14partition_implILS8_4ELb0ES6_15HIP_vector_typeIjLj2EENS0_17counting_iteratorIjlEEPS9_SG_NS0_5tupleIJPjSI_NS0_16reverse_iteratorISI_EEEEENSH_IJSG_SG_SG_EEES9_SI_JZNS1_25segmented_radix_sort_implINS0_14default_configELb0EPKfPfPKlPlN2at6native12_GLOBAL__N_18offset_tEEE10hipError_tPvRmT1_PNSt15iterator_traitsIS12_E10value_typeET2_T3_PNS13_IS18_E10value_typeET4_jRbjT5_S1E_jjP12ihipStream_tbEUljE_ZNSN_ISO_Lb0ESQ_SR_ST_SU_SY_EESZ_S10_S11_S12_S16_S17_S18_S1B_S1C_jS1D_jS1E_S1E_jjS1G_bEUljE0_EEESZ_S10_S11_S18_S1C_S1E_T6_T7_T9_mT8_S1G_bDpT10_ENKUlT_T0_E_clISt17integral_constantIbLb0EES1U_EEDaS1P_S1Q_EUlS1P_E_NS1_11comp_targetILNS1_3genE3ELNS1_11target_archE908ELNS1_3gpuE7ELNS1_3repE0EEENS1_30default_config_static_selectorELNS0_4arch9wavefront6targetE0EEEvS12_
    .private_segment_fixed_size: 0
    .sgpr_count:     0
    .sgpr_spill_count: 0
    .symbol:         _ZN7rocprim17ROCPRIM_400000_NS6detail17trampoline_kernelINS0_13select_configILj256ELj13ELNS0_17block_load_methodE3ELS4_3ELS4_3ELNS0_20block_scan_algorithmE0ELj4294967295EEENS1_25partition_config_selectorILNS1_17partition_subalgoE4EjNS0_10empty_typeEbEEZZNS1_14partition_implILS8_4ELb0ES6_15HIP_vector_typeIjLj2EENS0_17counting_iteratorIjlEEPS9_SG_NS0_5tupleIJPjSI_NS0_16reverse_iteratorISI_EEEEENSH_IJSG_SG_SG_EEES9_SI_JZNS1_25segmented_radix_sort_implINS0_14default_configELb0EPKfPfPKlPlN2at6native12_GLOBAL__N_18offset_tEEE10hipError_tPvRmT1_PNSt15iterator_traitsIS12_E10value_typeET2_T3_PNS13_IS18_E10value_typeET4_jRbjT5_S1E_jjP12ihipStream_tbEUljE_ZNSN_ISO_Lb0ESQ_SR_ST_SU_SY_EESZ_S10_S11_S12_S16_S17_S18_S1B_S1C_jS1D_jS1E_S1E_jjS1G_bEUljE0_EEESZ_S10_S11_S18_S1C_S1E_T6_T7_T9_mT8_S1G_bDpT10_ENKUlT_T0_E_clISt17integral_constantIbLb0EES1U_EEDaS1P_S1Q_EUlS1P_E_NS1_11comp_targetILNS1_3genE3ELNS1_11target_archE908ELNS1_3gpuE7ELNS1_3repE0EEENS1_30default_config_static_selectorELNS0_4arch9wavefront6targetE0EEEvS12_.kd
    .uniform_work_group_size: 1
    .uses_dynamic_stack: false
    .vgpr_count:     0
    .vgpr_spill_count: 0
    .wavefront_size: 32
    .workgroup_processor_mode: 1
  - .args:
      - .offset:         0
        .size:           176
        .value_kind:     by_value
    .group_segment_fixed_size: 0
    .kernarg_segment_align: 8
    .kernarg_segment_size: 176
    .language:       OpenCL C
    .language_version:
      - 2
      - 0
    .max_flat_workgroup_size: 256
    .name:           _ZN7rocprim17ROCPRIM_400000_NS6detail17trampoline_kernelINS0_13select_configILj256ELj13ELNS0_17block_load_methodE3ELS4_3ELS4_3ELNS0_20block_scan_algorithmE0ELj4294967295EEENS1_25partition_config_selectorILNS1_17partition_subalgoE4EjNS0_10empty_typeEbEEZZNS1_14partition_implILS8_4ELb0ES6_15HIP_vector_typeIjLj2EENS0_17counting_iteratorIjlEEPS9_SG_NS0_5tupleIJPjSI_NS0_16reverse_iteratorISI_EEEEENSH_IJSG_SG_SG_EEES9_SI_JZNS1_25segmented_radix_sort_implINS0_14default_configELb0EPKfPfPKlPlN2at6native12_GLOBAL__N_18offset_tEEE10hipError_tPvRmT1_PNSt15iterator_traitsIS12_E10value_typeET2_T3_PNS13_IS18_E10value_typeET4_jRbjT5_S1E_jjP12ihipStream_tbEUljE_ZNSN_ISO_Lb0ESQ_SR_ST_SU_SY_EESZ_S10_S11_S12_S16_S17_S18_S1B_S1C_jS1D_jS1E_S1E_jjS1G_bEUljE0_EEESZ_S10_S11_S18_S1C_S1E_T6_T7_T9_mT8_S1G_bDpT10_ENKUlT_T0_E_clISt17integral_constantIbLb0EES1U_EEDaS1P_S1Q_EUlS1P_E_NS1_11comp_targetILNS1_3genE2ELNS1_11target_archE906ELNS1_3gpuE6ELNS1_3repE0EEENS1_30default_config_static_selectorELNS0_4arch9wavefront6targetE0EEEvS12_
    .private_segment_fixed_size: 0
    .sgpr_count:     0
    .sgpr_spill_count: 0
    .symbol:         _ZN7rocprim17ROCPRIM_400000_NS6detail17trampoline_kernelINS0_13select_configILj256ELj13ELNS0_17block_load_methodE3ELS4_3ELS4_3ELNS0_20block_scan_algorithmE0ELj4294967295EEENS1_25partition_config_selectorILNS1_17partition_subalgoE4EjNS0_10empty_typeEbEEZZNS1_14partition_implILS8_4ELb0ES6_15HIP_vector_typeIjLj2EENS0_17counting_iteratorIjlEEPS9_SG_NS0_5tupleIJPjSI_NS0_16reverse_iteratorISI_EEEEENSH_IJSG_SG_SG_EEES9_SI_JZNS1_25segmented_radix_sort_implINS0_14default_configELb0EPKfPfPKlPlN2at6native12_GLOBAL__N_18offset_tEEE10hipError_tPvRmT1_PNSt15iterator_traitsIS12_E10value_typeET2_T3_PNS13_IS18_E10value_typeET4_jRbjT5_S1E_jjP12ihipStream_tbEUljE_ZNSN_ISO_Lb0ESQ_SR_ST_SU_SY_EESZ_S10_S11_S12_S16_S17_S18_S1B_S1C_jS1D_jS1E_S1E_jjS1G_bEUljE0_EEESZ_S10_S11_S18_S1C_S1E_T6_T7_T9_mT8_S1G_bDpT10_ENKUlT_T0_E_clISt17integral_constantIbLb0EES1U_EEDaS1P_S1Q_EUlS1P_E_NS1_11comp_targetILNS1_3genE2ELNS1_11target_archE906ELNS1_3gpuE6ELNS1_3repE0EEENS1_30default_config_static_selectorELNS0_4arch9wavefront6targetE0EEEvS12_.kd
    .uniform_work_group_size: 1
    .uses_dynamic_stack: false
    .vgpr_count:     0
    .vgpr_spill_count: 0
    .wavefront_size: 32
    .workgroup_processor_mode: 1
  - .args:
      - .offset:         0
        .size:           176
        .value_kind:     by_value
    .group_segment_fixed_size: 13328
    .kernarg_segment_align: 8
    .kernarg_segment_size: 176
    .language:       OpenCL C
    .language_version:
      - 2
      - 0
    .max_flat_workgroup_size: 256
    .name:           _ZN7rocprim17ROCPRIM_400000_NS6detail17trampoline_kernelINS0_13select_configILj256ELj13ELNS0_17block_load_methodE3ELS4_3ELS4_3ELNS0_20block_scan_algorithmE0ELj4294967295EEENS1_25partition_config_selectorILNS1_17partition_subalgoE4EjNS0_10empty_typeEbEEZZNS1_14partition_implILS8_4ELb0ES6_15HIP_vector_typeIjLj2EENS0_17counting_iteratorIjlEEPS9_SG_NS0_5tupleIJPjSI_NS0_16reverse_iteratorISI_EEEEENSH_IJSG_SG_SG_EEES9_SI_JZNS1_25segmented_radix_sort_implINS0_14default_configELb0EPKfPfPKlPlN2at6native12_GLOBAL__N_18offset_tEEE10hipError_tPvRmT1_PNSt15iterator_traitsIS12_E10value_typeET2_T3_PNS13_IS18_E10value_typeET4_jRbjT5_S1E_jjP12ihipStream_tbEUljE_ZNSN_ISO_Lb0ESQ_SR_ST_SU_SY_EESZ_S10_S11_S12_S16_S17_S18_S1B_S1C_jS1D_jS1E_S1E_jjS1G_bEUljE0_EEESZ_S10_S11_S18_S1C_S1E_T6_T7_T9_mT8_S1G_bDpT10_ENKUlT_T0_E_clISt17integral_constantIbLb0EES1U_EEDaS1P_S1Q_EUlS1P_E_NS1_11comp_targetILNS1_3genE10ELNS1_11target_archE1200ELNS1_3gpuE4ELNS1_3repE0EEENS1_30default_config_static_selectorELNS0_4arch9wavefront6targetE0EEEvS12_
    .private_segment_fixed_size: 0
    .sgpr_count:     60
    .sgpr_spill_count: 0
    .symbol:         _ZN7rocprim17ROCPRIM_400000_NS6detail17trampoline_kernelINS0_13select_configILj256ELj13ELNS0_17block_load_methodE3ELS4_3ELS4_3ELNS0_20block_scan_algorithmE0ELj4294967295EEENS1_25partition_config_selectorILNS1_17partition_subalgoE4EjNS0_10empty_typeEbEEZZNS1_14partition_implILS8_4ELb0ES6_15HIP_vector_typeIjLj2EENS0_17counting_iteratorIjlEEPS9_SG_NS0_5tupleIJPjSI_NS0_16reverse_iteratorISI_EEEEENSH_IJSG_SG_SG_EEES9_SI_JZNS1_25segmented_radix_sort_implINS0_14default_configELb0EPKfPfPKlPlN2at6native12_GLOBAL__N_18offset_tEEE10hipError_tPvRmT1_PNSt15iterator_traitsIS12_E10value_typeET2_T3_PNS13_IS18_E10value_typeET4_jRbjT5_S1E_jjP12ihipStream_tbEUljE_ZNSN_ISO_Lb0ESQ_SR_ST_SU_SY_EESZ_S10_S11_S12_S16_S17_S18_S1B_S1C_jS1D_jS1E_S1E_jjS1G_bEUljE0_EEESZ_S10_S11_S18_S1C_S1E_T6_T7_T9_mT8_S1G_bDpT10_ENKUlT_T0_E_clISt17integral_constantIbLb0EES1U_EEDaS1P_S1Q_EUlS1P_E_NS1_11comp_targetILNS1_3genE10ELNS1_11target_archE1200ELNS1_3gpuE4ELNS1_3repE0EEENS1_30default_config_static_selectorELNS0_4arch9wavefront6targetE0EEEvS12_.kd
    .uniform_work_group_size: 1
    .uses_dynamic_stack: false
    .vgpr_count:     93
    .vgpr_spill_count: 0
    .wavefront_size: 32
    .workgroup_processor_mode: 1
  - .args:
      - .offset:         0
        .size:           176
        .value_kind:     by_value
    .group_segment_fixed_size: 0
    .kernarg_segment_align: 8
    .kernarg_segment_size: 176
    .language:       OpenCL C
    .language_version:
      - 2
      - 0
    .max_flat_workgroup_size: 256
    .name:           _ZN7rocprim17ROCPRIM_400000_NS6detail17trampoline_kernelINS0_13select_configILj256ELj13ELNS0_17block_load_methodE3ELS4_3ELS4_3ELNS0_20block_scan_algorithmE0ELj4294967295EEENS1_25partition_config_selectorILNS1_17partition_subalgoE4EjNS0_10empty_typeEbEEZZNS1_14partition_implILS8_4ELb0ES6_15HIP_vector_typeIjLj2EENS0_17counting_iteratorIjlEEPS9_SG_NS0_5tupleIJPjSI_NS0_16reverse_iteratorISI_EEEEENSH_IJSG_SG_SG_EEES9_SI_JZNS1_25segmented_radix_sort_implINS0_14default_configELb0EPKfPfPKlPlN2at6native12_GLOBAL__N_18offset_tEEE10hipError_tPvRmT1_PNSt15iterator_traitsIS12_E10value_typeET2_T3_PNS13_IS18_E10value_typeET4_jRbjT5_S1E_jjP12ihipStream_tbEUljE_ZNSN_ISO_Lb0ESQ_SR_ST_SU_SY_EESZ_S10_S11_S12_S16_S17_S18_S1B_S1C_jS1D_jS1E_S1E_jjS1G_bEUljE0_EEESZ_S10_S11_S18_S1C_S1E_T6_T7_T9_mT8_S1G_bDpT10_ENKUlT_T0_E_clISt17integral_constantIbLb0EES1U_EEDaS1P_S1Q_EUlS1P_E_NS1_11comp_targetILNS1_3genE9ELNS1_11target_archE1100ELNS1_3gpuE3ELNS1_3repE0EEENS1_30default_config_static_selectorELNS0_4arch9wavefront6targetE0EEEvS12_
    .private_segment_fixed_size: 0
    .sgpr_count:     0
    .sgpr_spill_count: 0
    .symbol:         _ZN7rocprim17ROCPRIM_400000_NS6detail17trampoline_kernelINS0_13select_configILj256ELj13ELNS0_17block_load_methodE3ELS4_3ELS4_3ELNS0_20block_scan_algorithmE0ELj4294967295EEENS1_25partition_config_selectorILNS1_17partition_subalgoE4EjNS0_10empty_typeEbEEZZNS1_14partition_implILS8_4ELb0ES6_15HIP_vector_typeIjLj2EENS0_17counting_iteratorIjlEEPS9_SG_NS0_5tupleIJPjSI_NS0_16reverse_iteratorISI_EEEEENSH_IJSG_SG_SG_EEES9_SI_JZNS1_25segmented_radix_sort_implINS0_14default_configELb0EPKfPfPKlPlN2at6native12_GLOBAL__N_18offset_tEEE10hipError_tPvRmT1_PNSt15iterator_traitsIS12_E10value_typeET2_T3_PNS13_IS18_E10value_typeET4_jRbjT5_S1E_jjP12ihipStream_tbEUljE_ZNSN_ISO_Lb0ESQ_SR_ST_SU_SY_EESZ_S10_S11_S12_S16_S17_S18_S1B_S1C_jS1D_jS1E_S1E_jjS1G_bEUljE0_EEESZ_S10_S11_S18_S1C_S1E_T6_T7_T9_mT8_S1G_bDpT10_ENKUlT_T0_E_clISt17integral_constantIbLb0EES1U_EEDaS1P_S1Q_EUlS1P_E_NS1_11comp_targetILNS1_3genE9ELNS1_11target_archE1100ELNS1_3gpuE3ELNS1_3repE0EEENS1_30default_config_static_selectorELNS0_4arch9wavefront6targetE0EEEvS12_.kd
    .uniform_work_group_size: 1
    .uses_dynamic_stack: false
    .vgpr_count:     0
    .vgpr_spill_count: 0
    .wavefront_size: 32
    .workgroup_processor_mode: 1
  - .args:
      - .offset:         0
        .size:           176
        .value_kind:     by_value
    .group_segment_fixed_size: 0
    .kernarg_segment_align: 8
    .kernarg_segment_size: 176
    .language:       OpenCL C
    .language_version:
      - 2
      - 0
    .max_flat_workgroup_size: 256
    .name:           _ZN7rocprim17ROCPRIM_400000_NS6detail17trampoline_kernelINS0_13select_configILj256ELj13ELNS0_17block_load_methodE3ELS4_3ELS4_3ELNS0_20block_scan_algorithmE0ELj4294967295EEENS1_25partition_config_selectorILNS1_17partition_subalgoE4EjNS0_10empty_typeEbEEZZNS1_14partition_implILS8_4ELb0ES6_15HIP_vector_typeIjLj2EENS0_17counting_iteratorIjlEEPS9_SG_NS0_5tupleIJPjSI_NS0_16reverse_iteratorISI_EEEEENSH_IJSG_SG_SG_EEES9_SI_JZNS1_25segmented_radix_sort_implINS0_14default_configELb0EPKfPfPKlPlN2at6native12_GLOBAL__N_18offset_tEEE10hipError_tPvRmT1_PNSt15iterator_traitsIS12_E10value_typeET2_T3_PNS13_IS18_E10value_typeET4_jRbjT5_S1E_jjP12ihipStream_tbEUljE_ZNSN_ISO_Lb0ESQ_SR_ST_SU_SY_EESZ_S10_S11_S12_S16_S17_S18_S1B_S1C_jS1D_jS1E_S1E_jjS1G_bEUljE0_EEESZ_S10_S11_S18_S1C_S1E_T6_T7_T9_mT8_S1G_bDpT10_ENKUlT_T0_E_clISt17integral_constantIbLb0EES1U_EEDaS1P_S1Q_EUlS1P_E_NS1_11comp_targetILNS1_3genE8ELNS1_11target_archE1030ELNS1_3gpuE2ELNS1_3repE0EEENS1_30default_config_static_selectorELNS0_4arch9wavefront6targetE0EEEvS12_
    .private_segment_fixed_size: 0
    .sgpr_count:     0
    .sgpr_spill_count: 0
    .symbol:         _ZN7rocprim17ROCPRIM_400000_NS6detail17trampoline_kernelINS0_13select_configILj256ELj13ELNS0_17block_load_methodE3ELS4_3ELS4_3ELNS0_20block_scan_algorithmE0ELj4294967295EEENS1_25partition_config_selectorILNS1_17partition_subalgoE4EjNS0_10empty_typeEbEEZZNS1_14partition_implILS8_4ELb0ES6_15HIP_vector_typeIjLj2EENS0_17counting_iteratorIjlEEPS9_SG_NS0_5tupleIJPjSI_NS0_16reverse_iteratorISI_EEEEENSH_IJSG_SG_SG_EEES9_SI_JZNS1_25segmented_radix_sort_implINS0_14default_configELb0EPKfPfPKlPlN2at6native12_GLOBAL__N_18offset_tEEE10hipError_tPvRmT1_PNSt15iterator_traitsIS12_E10value_typeET2_T3_PNS13_IS18_E10value_typeET4_jRbjT5_S1E_jjP12ihipStream_tbEUljE_ZNSN_ISO_Lb0ESQ_SR_ST_SU_SY_EESZ_S10_S11_S12_S16_S17_S18_S1B_S1C_jS1D_jS1E_S1E_jjS1G_bEUljE0_EEESZ_S10_S11_S18_S1C_S1E_T6_T7_T9_mT8_S1G_bDpT10_ENKUlT_T0_E_clISt17integral_constantIbLb0EES1U_EEDaS1P_S1Q_EUlS1P_E_NS1_11comp_targetILNS1_3genE8ELNS1_11target_archE1030ELNS1_3gpuE2ELNS1_3repE0EEENS1_30default_config_static_selectorELNS0_4arch9wavefront6targetE0EEEvS12_.kd
    .uniform_work_group_size: 1
    .uses_dynamic_stack: false
    .vgpr_count:     0
    .vgpr_spill_count: 0
    .wavefront_size: 32
    .workgroup_processor_mode: 1
  - .args:
      - .offset:         0
        .size:           184
        .value_kind:     by_value
    .group_segment_fixed_size: 0
    .kernarg_segment_align: 8
    .kernarg_segment_size: 184
    .language:       OpenCL C
    .language_version:
      - 2
      - 0
    .max_flat_workgroup_size: 256
    .name:           _ZN7rocprim17ROCPRIM_400000_NS6detail17trampoline_kernelINS0_13select_configILj256ELj13ELNS0_17block_load_methodE3ELS4_3ELS4_3ELNS0_20block_scan_algorithmE0ELj4294967295EEENS1_25partition_config_selectorILNS1_17partition_subalgoE4EjNS0_10empty_typeEbEEZZNS1_14partition_implILS8_4ELb0ES6_15HIP_vector_typeIjLj2EENS0_17counting_iteratorIjlEEPS9_SG_NS0_5tupleIJPjSI_NS0_16reverse_iteratorISI_EEEEENSH_IJSG_SG_SG_EEES9_SI_JZNS1_25segmented_radix_sort_implINS0_14default_configELb0EPKfPfPKlPlN2at6native12_GLOBAL__N_18offset_tEEE10hipError_tPvRmT1_PNSt15iterator_traitsIS12_E10value_typeET2_T3_PNS13_IS18_E10value_typeET4_jRbjT5_S1E_jjP12ihipStream_tbEUljE_ZNSN_ISO_Lb0ESQ_SR_ST_SU_SY_EESZ_S10_S11_S12_S16_S17_S18_S1B_S1C_jS1D_jS1E_S1E_jjS1G_bEUljE0_EEESZ_S10_S11_S18_S1C_S1E_T6_T7_T9_mT8_S1G_bDpT10_ENKUlT_T0_E_clISt17integral_constantIbLb1EES1U_EEDaS1P_S1Q_EUlS1P_E_NS1_11comp_targetILNS1_3genE0ELNS1_11target_archE4294967295ELNS1_3gpuE0ELNS1_3repE0EEENS1_30default_config_static_selectorELNS0_4arch9wavefront6targetE0EEEvS12_
    .private_segment_fixed_size: 0
    .sgpr_count:     0
    .sgpr_spill_count: 0
    .symbol:         _ZN7rocprim17ROCPRIM_400000_NS6detail17trampoline_kernelINS0_13select_configILj256ELj13ELNS0_17block_load_methodE3ELS4_3ELS4_3ELNS0_20block_scan_algorithmE0ELj4294967295EEENS1_25partition_config_selectorILNS1_17partition_subalgoE4EjNS0_10empty_typeEbEEZZNS1_14partition_implILS8_4ELb0ES6_15HIP_vector_typeIjLj2EENS0_17counting_iteratorIjlEEPS9_SG_NS0_5tupleIJPjSI_NS0_16reverse_iteratorISI_EEEEENSH_IJSG_SG_SG_EEES9_SI_JZNS1_25segmented_radix_sort_implINS0_14default_configELb0EPKfPfPKlPlN2at6native12_GLOBAL__N_18offset_tEEE10hipError_tPvRmT1_PNSt15iterator_traitsIS12_E10value_typeET2_T3_PNS13_IS18_E10value_typeET4_jRbjT5_S1E_jjP12ihipStream_tbEUljE_ZNSN_ISO_Lb0ESQ_SR_ST_SU_SY_EESZ_S10_S11_S12_S16_S17_S18_S1B_S1C_jS1D_jS1E_S1E_jjS1G_bEUljE0_EEESZ_S10_S11_S18_S1C_S1E_T6_T7_T9_mT8_S1G_bDpT10_ENKUlT_T0_E_clISt17integral_constantIbLb1EES1U_EEDaS1P_S1Q_EUlS1P_E_NS1_11comp_targetILNS1_3genE0ELNS1_11target_archE4294967295ELNS1_3gpuE0ELNS1_3repE0EEENS1_30default_config_static_selectorELNS0_4arch9wavefront6targetE0EEEvS12_.kd
    .uniform_work_group_size: 1
    .uses_dynamic_stack: false
    .vgpr_count:     0
    .vgpr_spill_count: 0
    .wavefront_size: 32
    .workgroup_processor_mode: 1
  - .args:
      - .offset:         0
        .size:           184
        .value_kind:     by_value
    .group_segment_fixed_size: 0
    .kernarg_segment_align: 8
    .kernarg_segment_size: 184
    .language:       OpenCL C
    .language_version:
      - 2
      - 0
    .max_flat_workgroup_size: 256
    .name:           _ZN7rocprim17ROCPRIM_400000_NS6detail17trampoline_kernelINS0_13select_configILj256ELj13ELNS0_17block_load_methodE3ELS4_3ELS4_3ELNS0_20block_scan_algorithmE0ELj4294967295EEENS1_25partition_config_selectorILNS1_17partition_subalgoE4EjNS0_10empty_typeEbEEZZNS1_14partition_implILS8_4ELb0ES6_15HIP_vector_typeIjLj2EENS0_17counting_iteratorIjlEEPS9_SG_NS0_5tupleIJPjSI_NS0_16reverse_iteratorISI_EEEEENSH_IJSG_SG_SG_EEES9_SI_JZNS1_25segmented_radix_sort_implINS0_14default_configELb0EPKfPfPKlPlN2at6native12_GLOBAL__N_18offset_tEEE10hipError_tPvRmT1_PNSt15iterator_traitsIS12_E10value_typeET2_T3_PNS13_IS18_E10value_typeET4_jRbjT5_S1E_jjP12ihipStream_tbEUljE_ZNSN_ISO_Lb0ESQ_SR_ST_SU_SY_EESZ_S10_S11_S12_S16_S17_S18_S1B_S1C_jS1D_jS1E_S1E_jjS1G_bEUljE0_EEESZ_S10_S11_S18_S1C_S1E_T6_T7_T9_mT8_S1G_bDpT10_ENKUlT_T0_E_clISt17integral_constantIbLb1EES1U_EEDaS1P_S1Q_EUlS1P_E_NS1_11comp_targetILNS1_3genE5ELNS1_11target_archE942ELNS1_3gpuE9ELNS1_3repE0EEENS1_30default_config_static_selectorELNS0_4arch9wavefront6targetE0EEEvS12_
    .private_segment_fixed_size: 0
    .sgpr_count:     0
    .sgpr_spill_count: 0
    .symbol:         _ZN7rocprim17ROCPRIM_400000_NS6detail17trampoline_kernelINS0_13select_configILj256ELj13ELNS0_17block_load_methodE3ELS4_3ELS4_3ELNS0_20block_scan_algorithmE0ELj4294967295EEENS1_25partition_config_selectorILNS1_17partition_subalgoE4EjNS0_10empty_typeEbEEZZNS1_14partition_implILS8_4ELb0ES6_15HIP_vector_typeIjLj2EENS0_17counting_iteratorIjlEEPS9_SG_NS0_5tupleIJPjSI_NS0_16reverse_iteratorISI_EEEEENSH_IJSG_SG_SG_EEES9_SI_JZNS1_25segmented_radix_sort_implINS0_14default_configELb0EPKfPfPKlPlN2at6native12_GLOBAL__N_18offset_tEEE10hipError_tPvRmT1_PNSt15iterator_traitsIS12_E10value_typeET2_T3_PNS13_IS18_E10value_typeET4_jRbjT5_S1E_jjP12ihipStream_tbEUljE_ZNSN_ISO_Lb0ESQ_SR_ST_SU_SY_EESZ_S10_S11_S12_S16_S17_S18_S1B_S1C_jS1D_jS1E_S1E_jjS1G_bEUljE0_EEESZ_S10_S11_S18_S1C_S1E_T6_T7_T9_mT8_S1G_bDpT10_ENKUlT_T0_E_clISt17integral_constantIbLb1EES1U_EEDaS1P_S1Q_EUlS1P_E_NS1_11comp_targetILNS1_3genE5ELNS1_11target_archE942ELNS1_3gpuE9ELNS1_3repE0EEENS1_30default_config_static_selectorELNS0_4arch9wavefront6targetE0EEEvS12_.kd
    .uniform_work_group_size: 1
    .uses_dynamic_stack: false
    .vgpr_count:     0
    .vgpr_spill_count: 0
    .wavefront_size: 32
    .workgroup_processor_mode: 1
  - .args:
      - .offset:         0
        .size:           184
        .value_kind:     by_value
    .group_segment_fixed_size: 0
    .kernarg_segment_align: 8
    .kernarg_segment_size: 184
    .language:       OpenCL C
    .language_version:
      - 2
      - 0
    .max_flat_workgroup_size: 256
    .name:           _ZN7rocprim17ROCPRIM_400000_NS6detail17trampoline_kernelINS0_13select_configILj256ELj13ELNS0_17block_load_methodE3ELS4_3ELS4_3ELNS0_20block_scan_algorithmE0ELj4294967295EEENS1_25partition_config_selectorILNS1_17partition_subalgoE4EjNS0_10empty_typeEbEEZZNS1_14partition_implILS8_4ELb0ES6_15HIP_vector_typeIjLj2EENS0_17counting_iteratorIjlEEPS9_SG_NS0_5tupleIJPjSI_NS0_16reverse_iteratorISI_EEEEENSH_IJSG_SG_SG_EEES9_SI_JZNS1_25segmented_radix_sort_implINS0_14default_configELb0EPKfPfPKlPlN2at6native12_GLOBAL__N_18offset_tEEE10hipError_tPvRmT1_PNSt15iterator_traitsIS12_E10value_typeET2_T3_PNS13_IS18_E10value_typeET4_jRbjT5_S1E_jjP12ihipStream_tbEUljE_ZNSN_ISO_Lb0ESQ_SR_ST_SU_SY_EESZ_S10_S11_S12_S16_S17_S18_S1B_S1C_jS1D_jS1E_S1E_jjS1G_bEUljE0_EEESZ_S10_S11_S18_S1C_S1E_T6_T7_T9_mT8_S1G_bDpT10_ENKUlT_T0_E_clISt17integral_constantIbLb1EES1U_EEDaS1P_S1Q_EUlS1P_E_NS1_11comp_targetILNS1_3genE4ELNS1_11target_archE910ELNS1_3gpuE8ELNS1_3repE0EEENS1_30default_config_static_selectorELNS0_4arch9wavefront6targetE0EEEvS12_
    .private_segment_fixed_size: 0
    .sgpr_count:     0
    .sgpr_spill_count: 0
    .symbol:         _ZN7rocprim17ROCPRIM_400000_NS6detail17trampoline_kernelINS0_13select_configILj256ELj13ELNS0_17block_load_methodE3ELS4_3ELS4_3ELNS0_20block_scan_algorithmE0ELj4294967295EEENS1_25partition_config_selectorILNS1_17partition_subalgoE4EjNS0_10empty_typeEbEEZZNS1_14partition_implILS8_4ELb0ES6_15HIP_vector_typeIjLj2EENS0_17counting_iteratorIjlEEPS9_SG_NS0_5tupleIJPjSI_NS0_16reverse_iteratorISI_EEEEENSH_IJSG_SG_SG_EEES9_SI_JZNS1_25segmented_radix_sort_implINS0_14default_configELb0EPKfPfPKlPlN2at6native12_GLOBAL__N_18offset_tEEE10hipError_tPvRmT1_PNSt15iterator_traitsIS12_E10value_typeET2_T3_PNS13_IS18_E10value_typeET4_jRbjT5_S1E_jjP12ihipStream_tbEUljE_ZNSN_ISO_Lb0ESQ_SR_ST_SU_SY_EESZ_S10_S11_S12_S16_S17_S18_S1B_S1C_jS1D_jS1E_S1E_jjS1G_bEUljE0_EEESZ_S10_S11_S18_S1C_S1E_T6_T7_T9_mT8_S1G_bDpT10_ENKUlT_T0_E_clISt17integral_constantIbLb1EES1U_EEDaS1P_S1Q_EUlS1P_E_NS1_11comp_targetILNS1_3genE4ELNS1_11target_archE910ELNS1_3gpuE8ELNS1_3repE0EEENS1_30default_config_static_selectorELNS0_4arch9wavefront6targetE0EEEvS12_.kd
    .uniform_work_group_size: 1
    .uses_dynamic_stack: false
    .vgpr_count:     0
    .vgpr_spill_count: 0
    .wavefront_size: 32
    .workgroup_processor_mode: 1
  - .args:
      - .offset:         0
        .size:           184
        .value_kind:     by_value
    .group_segment_fixed_size: 0
    .kernarg_segment_align: 8
    .kernarg_segment_size: 184
    .language:       OpenCL C
    .language_version:
      - 2
      - 0
    .max_flat_workgroup_size: 256
    .name:           _ZN7rocprim17ROCPRIM_400000_NS6detail17trampoline_kernelINS0_13select_configILj256ELj13ELNS0_17block_load_methodE3ELS4_3ELS4_3ELNS0_20block_scan_algorithmE0ELj4294967295EEENS1_25partition_config_selectorILNS1_17partition_subalgoE4EjNS0_10empty_typeEbEEZZNS1_14partition_implILS8_4ELb0ES6_15HIP_vector_typeIjLj2EENS0_17counting_iteratorIjlEEPS9_SG_NS0_5tupleIJPjSI_NS0_16reverse_iteratorISI_EEEEENSH_IJSG_SG_SG_EEES9_SI_JZNS1_25segmented_radix_sort_implINS0_14default_configELb0EPKfPfPKlPlN2at6native12_GLOBAL__N_18offset_tEEE10hipError_tPvRmT1_PNSt15iterator_traitsIS12_E10value_typeET2_T3_PNS13_IS18_E10value_typeET4_jRbjT5_S1E_jjP12ihipStream_tbEUljE_ZNSN_ISO_Lb0ESQ_SR_ST_SU_SY_EESZ_S10_S11_S12_S16_S17_S18_S1B_S1C_jS1D_jS1E_S1E_jjS1G_bEUljE0_EEESZ_S10_S11_S18_S1C_S1E_T6_T7_T9_mT8_S1G_bDpT10_ENKUlT_T0_E_clISt17integral_constantIbLb1EES1U_EEDaS1P_S1Q_EUlS1P_E_NS1_11comp_targetILNS1_3genE3ELNS1_11target_archE908ELNS1_3gpuE7ELNS1_3repE0EEENS1_30default_config_static_selectorELNS0_4arch9wavefront6targetE0EEEvS12_
    .private_segment_fixed_size: 0
    .sgpr_count:     0
    .sgpr_spill_count: 0
    .symbol:         _ZN7rocprim17ROCPRIM_400000_NS6detail17trampoline_kernelINS0_13select_configILj256ELj13ELNS0_17block_load_methodE3ELS4_3ELS4_3ELNS0_20block_scan_algorithmE0ELj4294967295EEENS1_25partition_config_selectorILNS1_17partition_subalgoE4EjNS0_10empty_typeEbEEZZNS1_14partition_implILS8_4ELb0ES6_15HIP_vector_typeIjLj2EENS0_17counting_iteratorIjlEEPS9_SG_NS0_5tupleIJPjSI_NS0_16reverse_iteratorISI_EEEEENSH_IJSG_SG_SG_EEES9_SI_JZNS1_25segmented_radix_sort_implINS0_14default_configELb0EPKfPfPKlPlN2at6native12_GLOBAL__N_18offset_tEEE10hipError_tPvRmT1_PNSt15iterator_traitsIS12_E10value_typeET2_T3_PNS13_IS18_E10value_typeET4_jRbjT5_S1E_jjP12ihipStream_tbEUljE_ZNSN_ISO_Lb0ESQ_SR_ST_SU_SY_EESZ_S10_S11_S12_S16_S17_S18_S1B_S1C_jS1D_jS1E_S1E_jjS1G_bEUljE0_EEESZ_S10_S11_S18_S1C_S1E_T6_T7_T9_mT8_S1G_bDpT10_ENKUlT_T0_E_clISt17integral_constantIbLb1EES1U_EEDaS1P_S1Q_EUlS1P_E_NS1_11comp_targetILNS1_3genE3ELNS1_11target_archE908ELNS1_3gpuE7ELNS1_3repE0EEENS1_30default_config_static_selectorELNS0_4arch9wavefront6targetE0EEEvS12_.kd
    .uniform_work_group_size: 1
    .uses_dynamic_stack: false
    .vgpr_count:     0
    .vgpr_spill_count: 0
    .wavefront_size: 32
    .workgroup_processor_mode: 1
  - .args:
      - .offset:         0
        .size:           184
        .value_kind:     by_value
    .group_segment_fixed_size: 0
    .kernarg_segment_align: 8
    .kernarg_segment_size: 184
    .language:       OpenCL C
    .language_version:
      - 2
      - 0
    .max_flat_workgroup_size: 256
    .name:           _ZN7rocprim17ROCPRIM_400000_NS6detail17trampoline_kernelINS0_13select_configILj256ELj13ELNS0_17block_load_methodE3ELS4_3ELS4_3ELNS0_20block_scan_algorithmE0ELj4294967295EEENS1_25partition_config_selectorILNS1_17partition_subalgoE4EjNS0_10empty_typeEbEEZZNS1_14partition_implILS8_4ELb0ES6_15HIP_vector_typeIjLj2EENS0_17counting_iteratorIjlEEPS9_SG_NS0_5tupleIJPjSI_NS0_16reverse_iteratorISI_EEEEENSH_IJSG_SG_SG_EEES9_SI_JZNS1_25segmented_radix_sort_implINS0_14default_configELb0EPKfPfPKlPlN2at6native12_GLOBAL__N_18offset_tEEE10hipError_tPvRmT1_PNSt15iterator_traitsIS12_E10value_typeET2_T3_PNS13_IS18_E10value_typeET4_jRbjT5_S1E_jjP12ihipStream_tbEUljE_ZNSN_ISO_Lb0ESQ_SR_ST_SU_SY_EESZ_S10_S11_S12_S16_S17_S18_S1B_S1C_jS1D_jS1E_S1E_jjS1G_bEUljE0_EEESZ_S10_S11_S18_S1C_S1E_T6_T7_T9_mT8_S1G_bDpT10_ENKUlT_T0_E_clISt17integral_constantIbLb1EES1U_EEDaS1P_S1Q_EUlS1P_E_NS1_11comp_targetILNS1_3genE2ELNS1_11target_archE906ELNS1_3gpuE6ELNS1_3repE0EEENS1_30default_config_static_selectorELNS0_4arch9wavefront6targetE0EEEvS12_
    .private_segment_fixed_size: 0
    .sgpr_count:     0
    .sgpr_spill_count: 0
    .symbol:         _ZN7rocprim17ROCPRIM_400000_NS6detail17trampoline_kernelINS0_13select_configILj256ELj13ELNS0_17block_load_methodE3ELS4_3ELS4_3ELNS0_20block_scan_algorithmE0ELj4294967295EEENS1_25partition_config_selectorILNS1_17partition_subalgoE4EjNS0_10empty_typeEbEEZZNS1_14partition_implILS8_4ELb0ES6_15HIP_vector_typeIjLj2EENS0_17counting_iteratorIjlEEPS9_SG_NS0_5tupleIJPjSI_NS0_16reverse_iteratorISI_EEEEENSH_IJSG_SG_SG_EEES9_SI_JZNS1_25segmented_radix_sort_implINS0_14default_configELb0EPKfPfPKlPlN2at6native12_GLOBAL__N_18offset_tEEE10hipError_tPvRmT1_PNSt15iterator_traitsIS12_E10value_typeET2_T3_PNS13_IS18_E10value_typeET4_jRbjT5_S1E_jjP12ihipStream_tbEUljE_ZNSN_ISO_Lb0ESQ_SR_ST_SU_SY_EESZ_S10_S11_S12_S16_S17_S18_S1B_S1C_jS1D_jS1E_S1E_jjS1G_bEUljE0_EEESZ_S10_S11_S18_S1C_S1E_T6_T7_T9_mT8_S1G_bDpT10_ENKUlT_T0_E_clISt17integral_constantIbLb1EES1U_EEDaS1P_S1Q_EUlS1P_E_NS1_11comp_targetILNS1_3genE2ELNS1_11target_archE906ELNS1_3gpuE6ELNS1_3repE0EEENS1_30default_config_static_selectorELNS0_4arch9wavefront6targetE0EEEvS12_.kd
    .uniform_work_group_size: 1
    .uses_dynamic_stack: false
    .vgpr_count:     0
    .vgpr_spill_count: 0
    .wavefront_size: 32
    .workgroup_processor_mode: 1
  - .args:
      - .offset:         0
        .size:           184
        .value_kind:     by_value
    .group_segment_fixed_size: 0
    .kernarg_segment_align: 8
    .kernarg_segment_size: 184
    .language:       OpenCL C
    .language_version:
      - 2
      - 0
    .max_flat_workgroup_size: 256
    .name:           _ZN7rocprim17ROCPRIM_400000_NS6detail17trampoline_kernelINS0_13select_configILj256ELj13ELNS0_17block_load_methodE3ELS4_3ELS4_3ELNS0_20block_scan_algorithmE0ELj4294967295EEENS1_25partition_config_selectorILNS1_17partition_subalgoE4EjNS0_10empty_typeEbEEZZNS1_14partition_implILS8_4ELb0ES6_15HIP_vector_typeIjLj2EENS0_17counting_iteratorIjlEEPS9_SG_NS0_5tupleIJPjSI_NS0_16reverse_iteratorISI_EEEEENSH_IJSG_SG_SG_EEES9_SI_JZNS1_25segmented_radix_sort_implINS0_14default_configELb0EPKfPfPKlPlN2at6native12_GLOBAL__N_18offset_tEEE10hipError_tPvRmT1_PNSt15iterator_traitsIS12_E10value_typeET2_T3_PNS13_IS18_E10value_typeET4_jRbjT5_S1E_jjP12ihipStream_tbEUljE_ZNSN_ISO_Lb0ESQ_SR_ST_SU_SY_EESZ_S10_S11_S12_S16_S17_S18_S1B_S1C_jS1D_jS1E_S1E_jjS1G_bEUljE0_EEESZ_S10_S11_S18_S1C_S1E_T6_T7_T9_mT8_S1G_bDpT10_ENKUlT_T0_E_clISt17integral_constantIbLb1EES1U_EEDaS1P_S1Q_EUlS1P_E_NS1_11comp_targetILNS1_3genE10ELNS1_11target_archE1200ELNS1_3gpuE4ELNS1_3repE0EEENS1_30default_config_static_selectorELNS0_4arch9wavefront6targetE0EEEvS12_
    .private_segment_fixed_size: 0
    .sgpr_count:     0
    .sgpr_spill_count: 0
    .symbol:         _ZN7rocprim17ROCPRIM_400000_NS6detail17trampoline_kernelINS0_13select_configILj256ELj13ELNS0_17block_load_methodE3ELS4_3ELS4_3ELNS0_20block_scan_algorithmE0ELj4294967295EEENS1_25partition_config_selectorILNS1_17partition_subalgoE4EjNS0_10empty_typeEbEEZZNS1_14partition_implILS8_4ELb0ES6_15HIP_vector_typeIjLj2EENS0_17counting_iteratorIjlEEPS9_SG_NS0_5tupleIJPjSI_NS0_16reverse_iteratorISI_EEEEENSH_IJSG_SG_SG_EEES9_SI_JZNS1_25segmented_radix_sort_implINS0_14default_configELb0EPKfPfPKlPlN2at6native12_GLOBAL__N_18offset_tEEE10hipError_tPvRmT1_PNSt15iterator_traitsIS12_E10value_typeET2_T3_PNS13_IS18_E10value_typeET4_jRbjT5_S1E_jjP12ihipStream_tbEUljE_ZNSN_ISO_Lb0ESQ_SR_ST_SU_SY_EESZ_S10_S11_S12_S16_S17_S18_S1B_S1C_jS1D_jS1E_S1E_jjS1G_bEUljE0_EEESZ_S10_S11_S18_S1C_S1E_T6_T7_T9_mT8_S1G_bDpT10_ENKUlT_T0_E_clISt17integral_constantIbLb1EES1U_EEDaS1P_S1Q_EUlS1P_E_NS1_11comp_targetILNS1_3genE10ELNS1_11target_archE1200ELNS1_3gpuE4ELNS1_3repE0EEENS1_30default_config_static_selectorELNS0_4arch9wavefront6targetE0EEEvS12_.kd
    .uniform_work_group_size: 1
    .uses_dynamic_stack: false
    .vgpr_count:     0
    .vgpr_spill_count: 0
    .wavefront_size: 32
    .workgroup_processor_mode: 1
  - .args:
      - .offset:         0
        .size:           184
        .value_kind:     by_value
    .group_segment_fixed_size: 0
    .kernarg_segment_align: 8
    .kernarg_segment_size: 184
    .language:       OpenCL C
    .language_version:
      - 2
      - 0
    .max_flat_workgroup_size: 256
    .name:           _ZN7rocprim17ROCPRIM_400000_NS6detail17trampoline_kernelINS0_13select_configILj256ELj13ELNS0_17block_load_methodE3ELS4_3ELS4_3ELNS0_20block_scan_algorithmE0ELj4294967295EEENS1_25partition_config_selectorILNS1_17partition_subalgoE4EjNS0_10empty_typeEbEEZZNS1_14partition_implILS8_4ELb0ES6_15HIP_vector_typeIjLj2EENS0_17counting_iteratorIjlEEPS9_SG_NS0_5tupleIJPjSI_NS0_16reverse_iteratorISI_EEEEENSH_IJSG_SG_SG_EEES9_SI_JZNS1_25segmented_radix_sort_implINS0_14default_configELb0EPKfPfPKlPlN2at6native12_GLOBAL__N_18offset_tEEE10hipError_tPvRmT1_PNSt15iterator_traitsIS12_E10value_typeET2_T3_PNS13_IS18_E10value_typeET4_jRbjT5_S1E_jjP12ihipStream_tbEUljE_ZNSN_ISO_Lb0ESQ_SR_ST_SU_SY_EESZ_S10_S11_S12_S16_S17_S18_S1B_S1C_jS1D_jS1E_S1E_jjS1G_bEUljE0_EEESZ_S10_S11_S18_S1C_S1E_T6_T7_T9_mT8_S1G_bDpT10_ENKUlT_T0_E_clISt17integral_constantIbLb1EES1U_EEDaS1P_S1Q_EUlS1P_E_NS1_11comp_targetILNS1_3genE9ELNS1_11target_archE1100ELNS1_3gpuE3ELNS1_3repE0EEENS1_30default_config_static_selectorELNS0_4arch9wavefront6targetE0EEEvS12_
    .private_segment_fixed_size: 0
    .sgpr_count:     0
    .sgpr_spill_count: 0
    .symbol:         _ZN7rocprim17ROCPRIM_400000_NS6detail17trampoline_kernelINS0_13select_configILj256ELj13ELNS0_17block_load_methodE3ELS4_3ELS4_3ELNS0_20block_scan_algorithmE0ELj4294967295EEENS1_25partition_config_selectorILNS1_17partition_subalgoE4EjNS0_10empty_typeEbEEZZNS1_14partition_implILS8_4ELb0ES6_15HIP_vector_typeIjLj2EENS0_17counting_iteratorIjlEEPS9_SG_NS0_5tupleIJPjSI_NS0_16reverse_iteratorISI_EEEEENSH_IJSG_SG_SG_EEES9_SI_JZNS1_25segmented_radix_sort_implINS0_14default_configELb0EPKfPfPKlPlN2at6native12_GLOBAL__N_18offset_tEEE10hipError_tPvRmT1_PNSt15iterator_traitsIS12_E10value_typeET2_T3_PNS13_IS18_E10value_typeET4_jRbjT5_S1E_jjP12ihipStream_tbEUljE_ZNSN_ISO_Lb0ESQ_SR_ST_SU_SY_EESZ_S10_S11_S12_S16_S17_S18_S1B_S1C_jS1D_jS1E_S1E_jjS1G_bEUljE0_EEESZ_S10_S11_S18_S1C_S1E_T6_T7_T9_mT8_S1G_bDpT10_ENKUlT_T0_E_clISt17integral_constantIbLb1EES1U_EEDaS1P_S1Q_EUlS1P_E_NS1_11comp_targetILNS1_3genE9ELNS1_11target_archE1100ELNS1_3gpuE3ELNS1_3repE0EEENS1_30default_config_static_selectorELNS0_4arch9wavefront6targetE0EEEvS12_.kd
    .uniform_work_group_size: 1
    .uses_dynamic_stack: false
    .vgpr_count:     0
    .vgpr_spill_count: 0
    .wavefront_size: 32
    .workgroup_processor_mode: 1
  - .args:
      - .offset:         0
        .size:           184
        .value_kind:     by_value
    .group_segment_fixed_size: 0
    .kernarg_segment_align: 8
    .kernarg_segment_size: 184
    .language:       OpenCL C
    .language_version:
      - 2
      - 0
    .max_flat_workgroup_size: 256
    .name:           _ZN7rocprim17ROCPRIM_400000_NS6detail17trampoline_kernelINS0_13select_configILj256ELj13ELNS0_17block_load_methodE3ELS4_3ELS4_3ELNS0_20block_scan_algorithmE0ELj4294967295EEENS1_25partition_config_selectorILNS1_17partition_subalgoE4EjNS0_10empty_typeEbEEZZNS1_14partition_implILS8_4ELb0ES6_15HIP_vector_typeIjLj2EENS0_17counting_iteratorIjlEEPS9_SG_NS0_5tupleIJPjSI_NS0_16reverse_iteratorISI_EEEEENSH_IJSG_SG_SG_EEES9_SI_JZNS1_25segmented_radix_sort_implINS0_14default_configELb0EPKfPfPKlPlN2at6native12_GLOBAL__N_18offset_tEEE10hipError_tPvRmT1_PNSt15iterator_traitsIS12_E10value_typeET2_T3_PNS13_IS18_E10value_typeET4_jRbjT5_S1E_jjP12ihipStream_tbEUljE_ZNSN_ISO_Lb0ESQ_SR_ST_SU_SY_EESZ_S10_S11_S12_S16_S17_S18_S1B_S1C_jS1D_jS1E_S1E_jjS1G_bEUljE0_EEESZ_S10_S11_S18_S1C_S1E_T6_T7_T9_mT8_S1G_bDpT10_ENKUlT_T0_E_clISt17integral_constantIbLb1EES1U_EEDaS1P_S1Q_EUlS1P_E_NS1_11comp_targetILNS1_3genE8ELNS1_11target_archE1030ELNS1_3gpuE2ELNS1_3repE0EEENS1_30default_config_static_selectorELNS0_4arch9wavefront6targetE0EEEvS12_
    .private_segment_fixed_size: 0
    .sgpr_count:     0
    .sgpr_spill_count: 0
    .symbol:         _ZN7rocprim17ROCPRIM_400000_NS6detail17trampoline_kernelINS0_13select_configILj256ELj13ELNS0_17block_load_methodE3ELS4_3ELS4_3ELNS0_20block_scan_algorithmE0ELj4294967295EEENS1_25partition_config_selectorILNS1_17partition_subalgoE4EjNS0_10empty_typeEbEEZZNS1_14partition_implILS8_4ELb0ES6_15HIP_vector_typeIjLj2EENS0_17counting_iteratorIjlEEPS9_SG_NS0_5tupleIJPjSI_NS0_16reverse_iteratorISI_EEEEENSH_IJSG_SG_SG_EEES9_SI_JZNS1_25segmented_radix_sort_implINS0_14default_configELb0EPKfPfPKlPlN2at6native12_GLOBAL__N_18offset_tEEE10hipError_tPvRmT1_PNSt15iterator_traitsIS12_E10value_typeET2_T3_PNS13_IS18_E10value_typeET4_jRbjT5_S1E_jjP12ihipStream_tbEUljE_ZNSN_ISO_Lb0ESQ_SR_ST_SU_SY_EESZ_S10_S11_S12_S16_S17_S18_S1B_S1C_jS1D_jS1E_S1E_jjS1G_bEUljE0_EEESZ_S10_S11_S18_S1C_S1E_T6_T7_T9_mT8_S1G_bDpT10_ENKUlT_T0_E_clISt17integral_constantIbLb1EES1U_EEDaS1P_S1Q_EUlS1P_E_NS1_11comp_targetILNS1_3genE8ELNS1_11target_archE1030ELNS1_3gpuE2ELNS1_3repE0EEENS1_30default_config_static_selectorELNS0_4arch9wavefront6targetE0EEEvS12_.kd
    .uniform_work_group_size: 1
    .uses_dynamic_stack: false
    .vgpr_count:     0
    .vgpr_spill_count: 0
    .wavefront_size: 32
    .workgroup_processor_mode: 1
  - .args:
      - .offset:         0
        .size:           176
        .value_kind:     by_value
    .group_segment_fixed_size: 0
    .kernarg_segment_align: 8
    .kernarg_segment_size: 176
    .language:       OpenCL C
    .language_version:
      - 2
      - 0
    .max_flat_workgroup_size: 256
    .name:           _ZN7rocprim17ROCPRIM_400000_NS6detail17trampoline_kernelINS0_13select_configILj256ELj13ELNS0_17block_load_methodE3ELS4_3ELS4_3ELNS0_20block_scan_algorithmE0ELj4294967295EEENS1_25partition_config_selectorILNS1_17partition_subalgoE4EjNS0_10empty_typeEbEEZZNS1_14partition_implILS8_4ELb0ES6_15HIP_vector_typeIjLj2EENS0_17counting_iteratorIjlEEPS9_SG_NS0_5tupleIJPjSI_NS0_16reverse_iteratorISI_EEEEENSH_IJSG_SG_SG_EEES9_SI_JZNS1_25segmented_radix_sort_implINS0_14default_configELb0EPKfPfPKlPlN2at6native12_GLOBAL__N_18offset_tEEE10hipError_tPvRmT1_PNSt15iterator_traitsIS12_E10value_typeET2_T3_PNS13_IS18_E10value_typeET4_jRbjT5_S1E_jjP12ihipStream_tbEUljE_ZNSN_ISO_Lb0ESQ_SR_ST_SU_SY_EESZ_S10_S11_S12_S16_S17_S18_S1B_S1C_jS1D_jS1E_S1E_jjS1G_bEUljE0_EEESZ_S10_S11_S18_S1C_S1E_T6_T7_T9_mT8_S1G_bDpT10_ENKUlT_T0_E_clISt17integral_constantIbLb1EES1T_IbLb0EEEEDaS1P_S1Q_EUlS1P_E_NS1_11comp_targetILNS1_3genE0ELNS1_11target_archE4294967295ELNS1_3gpuE0ELNS1_3repE0EEENS1_30default_config_static_selectorELNS0_4arch9wavefront6targetE0EEEvS12_
    .private_segment_fixed_size: 0
    .sgpr_count:     0
    .sgpr_spill_count: 0
    .symbol:         _ZN7rocprim17ROCPRIM_400000_NS6detail17trampoline_kernelINS0_13select_configILj256ELj13ELNS0_17block_load_methodE3ELS4_3ELS4_3ELNS0_20block_scan_algorithmE0ELj4294967295EEENS1_25partition_config_selectorILNS1_17partition_subalgoE4EjNS0_10empty_typeEbEEZZNS1_14partition_implILS8_4ELb0ES6_15HIP_vector_typeIjLj2EENS0_17counting_iteratorIjlEEPS9_SG_NS0_5tupleIJPjSI_NS0_16reverse_iteratorISI_EEEEENSH_IJSG_SG_SG_EEES9_SI_JZNS1_25segmented_radix_sort_implINS0_14default_configELb0EPKfPfPKlPlN2at6native12_GLOBAL__N_18offset_tEEE10hipError_tPvRmT1_PNSt15iterator_traitsIS12_E10value_typeET2_T3_PNS13_IS18_E10value_typeET4_jRbjT5_S1E_jjP12ihipStream_tbEUljE_ZNSN_ISO_Lb0ESQ_SR_ST_SU_SY_EESZ_S10_S11_S12_S16_S17_S18_S1B_S1C_jS1D_jS1E_S1E_jjS1G_bEUljE0_EEESZ_S10_S11_S18_S1C_S1E_T6_T7_T9_mT8_S1G_bDpT10_ENKUlT_T0_E_clISt17integral_constantIbLb1EES1T_IbLb0EEEEDaS1P_S1Q_EUlS1P_E_NS1_11comp_targetILNS1_3genE0ELNS1_11target_archE4294967295ELNS1_3gpuE0ELNS1_3repE0EEENS1_30default_config_static_selectorELNS0_4arch9wavefront6targetE0EEEvS12_.kd
    .uniform_work_group_size: 1
    .uses_dynamic_stack: false
    .vgpr_count:     0
    .vgpr_spill_count: 0
    .wavefront_size: 32
    .workgroup_processor_mode: 1
  - .args:
      - .offset:         0
        .size:           176
        .value_kind:     by_value
    .group_segment_fixed_size: 0
    .kernarg_segment_align: 8
    .kernarg_segment_size: 176
    .language:       OpenCL C
    .language_version:
      - 2
      - 0
    .max_flat_workgroup_size: 256
    .name:           _ZN7rocprim17ROCPRIM_400000_NS6detail17trampoline_kernelINS0_13select_configILj256ELj13ELNS0_17block_load_methodE3ELS4_3ELS4_3ELNS0_20block_scan_algorithmE0ELj4294967295EEENS1_25partition_config_selectorILNS1_17partition_subalgoE4EjNS0_10empty_typeEbEEZZNS1_14partition_implILS8_4ELb0ES6_15HIP_vector_typeIjLj2EENS0_17counting_iteratorIjlEEPS9_SG_NS0_5tupleIJPjSI_NS0_16reverse_iteratorISI_EEEEENSH_IJSG_SG_SG_EEES9_SI_JZNS1_25segmented_radix_sort_implINS0_14default_configELb0EPKfPfPKlPlN2at6native12_GLOBAL__N_18offset_tEEE10hipError_tPvRmT1_PNSt15iterator_traitsIS12_E10value_typeET2_T3_PNS13_IS18_E10value_typeET4_jRbjT5_S1E_jjP12ihipStream_tbEUljE_ZNSN_ISO_Lb0ESQ_SR_ST_SU_SY_EESZ_S10_S11_S12_S16_S17_S18_S1B_S1C_jS1D_jS1E_S1E_jjS1G_bEUljE0_EEESZ_S10_S11_S18_S1C_S1E_T6_T7_T9_mT8_S1G_bDpT10_ENKUlT_T0_E_clISt17integral_constantIbLb1EES1T_IbLb0EEEEDaS1P_S1Q_EUlS1P_E_NS1_11comp_targetILNS1_3genE5ELNS1_11target_archE942ELNS1_3gpuE9ELNS1_3repE0EEENS1_30default_config_static_selectorELNS0_4arch9wavefront6targetE0EEEvS12_
    .private_segment_fixed_size: 0
    .sgpr_count:     0
    .sgpr_spill_count: 0
    .symbol:         _ZN7rocprim17ROCPRIM_400000_NS6detail17trampoline_kernelINS0_13select_configILj256ELj13ELNS0_17block_load_methodE3ELS4_3ELS4_3ELNS0_20block_scan_algorithmE0ELj4294967295EEENS1_25partition_config_selectorILNS1_17partition_subalgoE4EjNS0_10empty_typeEbEEZZNS1_14partition_implILS8_4ELb0ES6_15HIP_vector_typeIjLj2EENS0_17counting_iteratorIjlEEPS9_SG_NS0_5tupleIJPjSI_NS0_16reverse_iteratorISI_EEEEENSH_IJSG_SG_SG_EEES9_SI_JZNS1_25segmented_radix_sort_implINS0_14default_configELb0EPKfPfPKlPlN2at6native12_GLOBAL__N_18offset_tEEE10hipError_tPvRmT1_PNSt15iterator_traitsIS12_E10value_typeET2_T3_PNS13_IS18_E10value_typeET4_jRbjT5_S1E_jjP12ihipStream_tbEUljE_ZNSN_ISO_Lb0ESQ_SR_ST_SU_SY_EESZ_S10_S11_S12_S16_S17_S18_S1B_S1C_jS1D_jS1E_S1E_jjS1G_bEUljE0_EEESZ_S10_S11_S18_S1C_S1E_T6_T7_T9_mT8_S1G_bDpT10_ENKUlT_T0_E_clISt17integral_constantIbLb1EES1T_IbLb0EEEEDaS1P_S1Q_EUlS1P_E_NS1_11comp_targetILNS1_3genE5ELNS1_11target_archE942ELNS1_3gpuE9ELNS1_3repE0EEENS1_30default_config_static_selectorELNS0_4arch9wavefront6targetE0EEEvS12_.kd
    .uniform_work_group_size: 1
    .uses_dynamic_stack: false
    .vgpr_count:     0
    .vgpr_spill_count: 0
    .wavefront_size: 32
    .workgroup_processor_mode: 1
  - .args:
      - .offset:         0
        .size:           176
        .value_kind:     by_value
    .group_segment_fixed_size: 0
    .kernarg_segment_align: 8
    .kernarg_segment_size: 176
    .language:       OpenCL C
    .language_version:
      - 2
      - 0
    .max_flat_workgroup_size: 256
    .name:           _ZN7rocprim17ROCPRIM_400000_NS6detail17trampoline_kernelINS0_13select_configILj256ELj13ELNS0_17block_load_methodE3ELS4_3ELS4_3ELNS0_20block_scan_algorithmE0ELj4294967295EEENS1_25partition_config_selectorILNS1_17partition_subalgoE4EjNS0_10empty_typeEbEEZZNS1_14partition_implILS8_4ELb0ES6_15HIP_vector_typeIjLj2EENS0_17counting_iteratorIjlEEPS9_SG_NS0_5tupleIJPjSI_NS0_16reverse_iteratorISI_EEEEENSH_IJSG_SG_SG_EEES9_SI_JZNS1_25segmented_radix_sort_implINS0_14default_configELb0EPKfPfPKlPlN2at6native12_GLOBAL__N_18offset_tEEE10hipError_tPvRmT1_PNSt15iterator_traitsIS12_E10value_typeET2_T3_PNS13_IS18_E10value_typeET4_jRbjT5_S1E_jjP12ihipStream_tbEUljE_ZNSN_ISO_Lb0ESQ_SR_ST_SU_SY_EESZ_S10_S11_S12_S16_S17_S18_S1B_S1C_jS1D_jS1E_S1E_jjS1G_bEUljE0_EEESZ_S10_S11_S18_S1C_S1E_T6_T7_T9_mT8_S1G_bDpT10_ENKUlT_T0_E_clISt17integral_constantIbLb1EES1T_IbLb0EEEEDaS1P_S1Q_EUlS1P_E_NS1_11comp_targetILNS1_3genE4ELNS1_11target_archE910ELNS1_3gpuE8ELNS1_3repE0EEENS1_30default_config_static_selectorELNS0_4arch9wavefront6targetE0EEEvS12_
    .private_segment_fixed_size: 0
    .sgpr_count:     0
    .sgpr_spill_count: 0
    .symbol:         _ZN7rocprim17ROCPRIM_400000_NS6detail17trampoline_kernelINS0_13select_configILj256ELj13ELNS0_17block_load_methodE3ELS4_3ELS4_3ELNS0_20block_scan_algorithmE0ELj4294967295EEENS1_25partition_config_selectorILNS1_17partition_subalgoE4EjNS0_10empty_typeEbEEZZNS1_14partition_implILS8_4ELb0ES6_15HIP_vector_typeIjLj2EENS0_17counting_iteratorIjlEEPS9_SG_NS0_5tupleIJPjSI_NS0_16reverse_iteratorISI_EEEEENSH_IJSG_SG_SG_EEES9_SI_JZNS1_25segmented_radix_sort_implINS0_14default_configELb0EPKfPfPKlPlN2at6native12_GLOBAL__N_18offset_tEEE10hipError_tPvRmT1_PNSt15iterator_traitsIS12_E10value_typeET2_T3_PNS13_IS18_E10value_typeET4_jRbjT5_S1E_jjP12ihipStream_tbEUljE_ZNSN_ISO_Lb0ESQ_SR_ST_SU_SY_EESZ_S10_S11_S12_S16_S17_S18_S1B_S1C_jS1D_jS1E_S1E_jjS1G_bEUljE0_EEESZ_S10_S11_S18_S1C_S1E_T6_T7_T9_mT8_S1G_bDpT10_ENKUlT_T0_E_clISt17integral_constantIbLb1EES1T_IbLb0EEEEDaS1P_S1Q_EUlS1P_E_NS1_11comp_targetILNS1_3genE4ELNS1_11target_archE910ELNS1_3gpuE8ELNS1_3repE0EEENS1_30default_config_static_selectorELNS0_4arch9wavefront6targetE0EEEvS12_.kd
    .uniform_work_group_size: 1
    .uses_dynamic_stack: false
    .vgpr_count:     0
    .vgpr_spill_count: 0
    .wavefront_size: 32
    .workgroup_processor_mode: 1
  - .args:
      - .offset:         0
        .size:           176
        .value_kind:     by_value
    .group_segment_fixed_size: 0
    .kernarg_segment_align: 8
    .kernarg_segment_size: 176
    .language:       OpenCL C
    .language_version:
      - 2
      - 0
    .max_flat_workgroup_size: 256
    .name:           _ZN7rocprim17ROCPRIM_400000_NS6detail17trampoline_kernelINS0_13select_configILj256ELj13ELNS0_17block_load_methodE3ELS4_3ELS4_3ELNS0_20block_scan_algorithmE0ELj4294967295EEENS1_25partition_config_selectorILNS1_17partition_subalgoE4EjNS0_10empty_typeEbEEZZNS1_14partition_implILS8_4ELb0ES6_15HIP_vector_typeIjLj2EENS0_17counting_iteratorIjlEEPS9_SG_NS0_5tupleIJPjSI_NS0_16reverse_iteratorISI_EEEEENSH_IJSG_SG_SG_EEES9_SI_JZNS1_25segmented_radix_sort_implINS0_14default_configELb0EPKfPfPKlPlN2at6native12_GLOBAL__N_18offset_tEEE10hipError_tPvRmT1_PNSt15iterator_traitsIS12_E10value_typeET2_T3_PNS13_IS18_E10value_typeET4_jRbjT5_S1E_jjP12ihipStream_tbEUljE_ZNSN_ISO_Lb0ESQ_SR_ST_SU_SY_EESZ_S10_S11_S12_S16_S17_S18_S1B_S1C_jS1D_jS1E_S1E_jjS1G_bEUljE0_EEESZ_S10_S11_S18_S1C_S1E_T6_T7_T9_mT8_S1G_bDpT10_ENKUlT_T0_E_clISt17integral_constantIbLb1EES1T_IbLb0EEEEDaS1P_S1Q_EUlS1P_E_NS1_11comp_targetILNS1_3genE3ELNS1_11target_archE908ELNS1_3gpuE7ELNS1_3repE0EEENS1_30default_config_static_selectorELNS0_4arch9wavefront6targetE0EEEvS12_
    .private_segment_fixed_size: 0
    .sgpr_count:     0
    .sgpr_spill_count: 0
    .symbol:         _ZN7rocprim17ROCPRIM_400000_NS6detail17trampoline_kernelINS0_13select_configILj256ELj13ELNS0_17block_load_methodE3ELS4_3ELS4_3ELNS0_20block_scan_algorithmE0ELj4294967295EEENS1_25partition_config_selectorILNS1_17partition_subalgoE4EjNS0_10empty_typeEbEEZZNS1_14partition_implILS8_4ELb0ES6_15HIP_vector_typeIjLj2EENS0_17counting_iteratorIjlEEPS9_SG_NS0_5tupleIJPjSI_NS0_16reverse_iteratorISI_EEEEENSH_IJSG_SG_SG_EEES9_SI_JZNS1_25segmented_radix_sort_implINS0_14default_configELb0EPKfPfPKlPlN2at6native12_GLOBAL__N_18offset_tEEE10hipError_tPvRmT1_PNSt15iterator_traitsIS12_E10value_typeET2_T3_PNS13_IS18_E10value_typeET4_jRbjT5_S1E_jjP12ihipStream_tbEUljE_ZNSN_ISO_Lb0ESQ_SR_ST_SU_SY_EESZ_S10_S11_S12_S16_S17_S18_S1B_S1C_jS1D_jS1E_S1E_jjS1G_bEUljE0_EEESZ_S10_S11_S18_S1C_S1E_T6_T7_T9_mT8_S1G_bDpT10_ENKUlT_T0_E_clISt17integral_constantIbLb1EES1T_IbLb0EEEEDaS1P_S1Q_EUlS1P_E_NS1_11comp_targetILNS1_3genE3ELNS1_11target_archE908ELNS1_3gpuE7ELNS1_3repE0EEENS1_30default_config_static_selectorELNS0_4arch9wavefront6targetE0EEEvS12_.kd
    .uniform_work_group_size: 1
    .uses_dynamic_stack: false
    .vgpr_count:     0
    .vgpr_spill_count: 0
    .wavefront_size: 32
    .workgroup_processor_mode: 1
  - .args:
      - .offset:         0
        .size:           176
        .value_kind:     by_value
    .group_segment_fixed_size: 0
    .kernarg_segment_align: 8
    .kernarg_segment_size: 176
    .language:       OpenCL C
    .language_version:
      - 2
      - 0
    .max_flat_workgroup_size: 256
    .name:           _ZN7rocprim17ROCPRIM_400000_NS6detail17trampoline_kernelINS0_13select_configILj256ELj13ELNS0_17block_load_methodE3ELS4_3ELS4_3ELNS0_20block_scan_algorithmE0ELj4294967295EEENS1_25partition_config_selectorILNS1_17partition_subalgoE4EjNS0_10empty_typeEbEEZZNS1_14partition_implILS8_4ELb0ES6_15HIP_vector_typeIjLj2EENS0_17counting_iteratorIjlEEPS9_SG_NS0_5tupleIJPjSI_NS0_16reverse_iteratorISI_EEEEENSH_IJSG_SG_SG_EEES9_SI_JZNS1_25segmented_radix_sort_implINS0_14default_configELb0EPKfPfPKlPlN2at6native12_GLOBAL__N_18offset_tEEE10hipError_tPvRmT1_PNSt15iterator_traitsIS12_E10value_typeET2_T3_PNS13_IS18_E10value_typeET4_jRbjT5_S1E_jjP12ihipStream_tbEUljE_ZNSN_ISO_Lb0ESQ_SR_ST_SU_SY_EESZ_S10_S11_S12_S16_S17_S18_S1B_S1C_jS1D_jS1E_S1E_jjS1G_bEUljE0_EEESZ_S10_S11_S18_S1C_S1E_T6_T7_T9_mT8_S1G_bDpT10_ENKUlT_T0_E_clISt17integral_constantIbLb1EES1T_IbLb0EEEEDaS1P_S1Q_EUlS1P_E_NS1_11comp_targetILNS1_3genE2ELNS1_11target_archE906ELNS1_3gpuE6ELNS1_3repE0EEENS1_30default_config_static_selectorELNS0_4arch9wavefront6targetE0EEEvS12_
    .private_segment_fixed_size: 0
    .sgpr_count:     0
    .sgpr_spill_count: 0
    .symbol:         _ZN7rocprim17ROCPRIM_400000_NS6detail17trampoline_kernelINS0_13select_configILj256ELj13ELNS0_17block_load_methodE3ELS4_3ELS4_3ELNS0_20block_scan_algorithmE0ELj4294967295EEENS1_25partition_config_selectorILNS1_17partition_subalgoE4EjNS0_10empty_typeEbEEZZNS1_14partition_implILS8_4ELb0ES6_15HIP_vector_typeIjLj2EENS0_17counting_iteratorIjlEEPS9_SG_NS0_5tupleIJPjSI_NS0_16reverse_iteratorISI_EEEEENSH_IJSG_SG_SG_EEES9_SI_JZNS1_25segmented_radix_sort_implINS0_14default_configELb0EPKfPfPKlPlN2at6native12_GLOBAL__N_18offset_tEEE10hipError_tPvRmT1_PNSt15iterator_traitsIS12_E10value_typeET2_T3_PNS13_IS18_E10value_typeET4_jRbjT5_S1E_jjP12ihipStream_tbEUljE_ZNSN_ISO_Lb0ESQ_SR_ST_SU_SY_EESZ_S10_S11_S12_S16_S17_S18_S1B_S1C_jS1D_jS1E_S1E_jjS1G_bEUljE0_EEESZ_S10_S11_S18_S1C_S1E_T6_T7_T9_mT8_S1G_bDpT10_ENKUlT_T0_E_clISt17integral_constantIbLb1EES1T_IbLb0EEEEDaS1P_S1Q_EUlS1P_E_NS1_11comp_targetILNS1_3genE2ELNS1_11target_archE906ELNS1_3gpuE6ELNS1_3repE0EEENS1_30default_config_static_selectorELNS0_4arch9wavefront6targetE0EEEvS12_.kd
    .uniform_work_group_size: 1
    .uses_dynamic_stack: false
    .vgpr_count:     0
    .vgpr_spill_count: 0
    .wavefront_size: 32
    .workgroup_processor_mode: 1
  - .args:
      - .offset:         0
        .size:           176
        .value_kind:     by_value
    .group_segment_fixed_size: 0
    .kernarg_segment_align: 8
    .kernarg_segment_size: 176
    .language:       OpenCL C
    .language_version:
      - 2
      - 0
    .max_flat_workgroup_size: 256
    .name:           _ZN7rocprim17ROCPRIM_400000_NS6detail17trampoline_kernelINS0_13select_configILj256ELj13ELNS0_17block_load_methodE3ELS4_3ELS4_3ELNS0_20block_scan_algorithmE0ELj4294967295EEENS1_25partition_config_selectorILNS1_17partition_subalgoE4EjNS0_10empty_typeEbEEZZNS1_14partition_implILS8_4ELb0ES6_15HIP_vector_typeIjLj2EENS0_17counting_iteratorIjlEEPS9_SG_NS0_5tupleIJPjSI_NS0_16reverse_iteratorISI_EEEEENSH_IJSG_SG_SG_EEES9_SI_JZNS1_25segmented_radix_sort_implINS0_14default_configELb0EPKfPfPKlPlN2at6native12_GLOBAL__N_18offset_tEEE10hipError_tPvRmT1_PNSt15iterator_traitsIS12_E10value_typeET2_T3_PNS13_IS18_E10value_typeET4_jRbjT5_S1E_jjP12ihipStream_tbEUljE_ZNSN_ISO_Lb0ESQ_SR_ST_SU_SY_EESZ_S10_S11_S12_S16_S17_S18_S1B_S1C_jS1D_jS1E_S1E_jjS1G_bEUljE0_EEESZ_S10_S11_S18_S1C_S1E_T6_T7_T9_mT8_S1G_bDpT10_ENKUlT_T0_E_clISt17integral_constantIbLb1EES1T_IbLb0EEEEDaS1P_S1Q_EUlS1P_E_NS1_11comp_targetILNS1_3genE10ELNS1_11target_archE1200ELNS1_3gpuE4ELNS1_3repE0EEENS1_30default_config_static_selectorELNS0_4arch9wavefront6targetE0EEEvS12_
    .private_segment_fixed_size: 0
    .sgpr_count:     0
    .sgpr_spill_count: 0
    .symbol:         _ZN7rocprim17ROCPRIM_400000_NS6detail17trampoline_kernelINS0_13select_configILj256ELj13ELNS0_17block_load_methodE3ELS4_3ELS4_3ELNS0_20block_scan_algorithmE0ELj4294967295EEENS1_25partition_config_selectorILNS1_17partition_subalgoE4EjNS0_10empty_typeEbEEZZNS1_14partition_implILS8_4ELb0ES6_15HIP_vector_typeIjLj2EENS0_17counting_iteratorIjlEEPS9_SG_NS0_5tupleIJPjSI_NS0_16reverse_iteratorISI_EEEEENSH_IJSG_SG_SG_EEES9_SI_JZNS1_25segmented_radix_sort_implINS0_14default_configELb0EPKfPfPKlPlN2at6native12_GLOBAL__N_18offset_tEEE10hipError_tPvRmT1_PNSt15iterator_traitsIS12_E10value_typeET2_T3_PNS13_IS18_E10value_typeET4_jRbjT5_S1E_jjP12ihipStream_tbEUljE_ZNSN_ISO_Lb0ESQ_SR_ST_SU_SY_EESZ_S10_S11_S12_S16_S17_S18_S1B_S1C_jS1D_jS1E_S1E_jjS1G_bEUljE0_EEESZ_S10_S11_S18_S1C_S1E_T6_T7_T9_mT8_S1G_bDpT10_ENKUlT_T0_E_clISt17integral_constantIbLb1EES1T_IbLb0EEEEDaS1P_S1Q_EUlS1P_E_NS1_11comp_targetILNS1_3genE10ELNS1_11target_archE1200ELNS1_3gpuE4ELNS1_3repE0EEENS1_30default_config_static_selectorELNS0_4arch9wavefront6targetE0EEEvS12_.kd
    .uniform_work_group_size: 1
    .uses_dynamic_stack: false
    .vgpr_count:     0
    .vgpr_spill_count: 0
    .wavefront_size: 32
    .workgroup_processor_mode: 1
  - .args:
      - .offset:         0
        .size:           176
        .value_kind:     by_value
    .group_segment_fixed_size: 0
    .kernarg_segment_align: 8
    .kernarg_segment_size: 176
    .language:       OpenCL C
    .language_version:
      - 2
      - 0
    .max_flat_workgroup_size: 256
    .name:           _ZN7rocprim17ROCPRIM_400000_NS6detail17trampoline_kernelINS0_13select_configILj256ELj13ELNS0_17block_load_methodE3ELS4_3ELS4_3ELNS0_20block_scan_algorithmE0ELj4294967295EEENS1_25partition_config_selectorILNS1_17partition_subalgoE4EjNS0_10empty_typeEbEEZZNS1_14partition_implILS8_4ELb0ES6_15HIP_vector_typeIjLj2EENS0_17counting_iteratorIjlEEPS9_SG_NS0_5tupleIJPjSI_NS0_16reverse_iteratorISI_EEEEENSH_IJSG_SG_SG_EEES9_SI_JZNS1_25segmented_radix_sort_implINS0_14default_configELb0EPKfPfPKlPlN2at6native12_GLOBAL__N_18offset_tEEE10hipError_tPvRmT1_PNSt15iterator_traitsIS12_E10value_typeET2_T3_PNS13_IS18_E10value_typeET4_jRbjT5_S1E_jjP12ihipStream_tbEUljE_ZNSN_ISO_Lb0ESQ_SR_ST_SU_SY_EESZ_S10_S11_S12_S16_S17_S18_S1B_S1C_jS1D_jS1E_S1E_jjS1G_bEUljE0_EEESZ_S10_S11_S18_S1C_S1E_T6_T7_T9_mT8_S1G_bDpT10_ENKUlT_T0_E_clISt17integral_constantIbLb1EES1T_IbLb0EEEEDaS1P_S1Q_EUlS1P_E_NS1_11comp_targetILNS1_3genE9ELNS1_11target_archE1100ELNS1_3gpuE3ELNS1_3repE0EEENS1_30default_config_static_selectorELNS0_4arch9wavefront6targetE0EEEvS12_
    .private_segment_fixed_size: 0
    .sgpr_count:     0
    .sgpr_spill_count: 0
    .symbol:         _ZN7rocprim17ROCPRIM_400000_NS6detail17trampoline_kernelINS0_13select_configILj256ELj13ELNS0_17block_load_methodE3ELS4_3ELS4_3ELNS0_20block_scan_algorithmE0ELj4294967295EEENS1_25partition_config_selectorILNS1_17partition_subalgoE4EjNS0_10empty_typeEbEEZZNS1_14partition_implILS8_4ELb0ES6_15HIP_vector_typeIjLj2EENS0_17counting_iteratorIjlEEPS9_SG_NS0_5tupleIJPjSI_NS0_16reverse_iteratorISI_EEEEENSH_IJSG_SG_SG_EEES9_SI_JZNS1_25segmented_radix_sort_implINS0_14default_configELb0EPKfPfPKlPlN2at6native12_GLOBAL__N_18offset_tEEE10hipError_tPvRmT1_PNSt15iterator_traitsIS12_E10value_typeET2_T3_PNS13_IS18_E10value_typeET4_jRbjT5_S1E_jjP12ihipStream_tbEUljE_ZNSN_ISO_Lb0ESQ_SR_ST_SU_SY_EESZ_S10_S11_S12_S16_S17_S18_S1B_S1C_jS1D_jS1E_S1E_jjS1G_bEUljE0_EEESZ_S10_S11_S18_S1C_S1E_T6_T7_T9_mT8_S1G_bDpT10_ENKUlT_T0_E_clISt17integral_constantIbLb1EES1T_IbLb0EEEEDaS1P_S1Q_EUlS1P_E_NS1_11comp_targetILNS1_3genE9ELNS1_11target_archE1100ELNS1_3gpuE3ELNS1_3repE0EEENS1_30default_config_static_selectorELNS0_4arch9wavefront6targetE0EEEvS12_.kd
    .uniform_work_group_size: 1
    .uses_dynamic_stack: false
    .vgpr_count:     0
    .vgpr_spill_count: 0
    .wavefront_size: 32
    .workgroup_processor_mode: 1
  - .args:
      - .offset:         0
        .size:           176
        .value_kind:     by_value
    .group_segment_fixed_size: 0
    .kernarg_segment_align: 8
    .kernarg_segment_size: 176
    .language:       OpenCL C
    .language_version:
      - 2
      - 0
    .max_flat_workgroup_size: 256
    .name:           _ZN7rocprim17ROCPRIM_400000_NS6detail17trampoline_kernelINS0_13select_configILj256ELj13ELNS0_17block_load_methodE3ELS4_3ELS4_3ELNS0_20block_scan_algorithmE0ELj4294967295EEENS1_25partition_config_selectorILNS1_17partition_subalgoE4EjNS0_10empty_typeEbEEZZNS1_14partition_implILS8_4ELb0ES6_15HIP_vector_typeIjLj2EENS0_17counting_iteratorIjlEEPS9_SG_NS0_5tupleIJPjSI_NS0_16reverse_iteratorISI_EEEEENSH_IJSG_SG_SG_EEES9_SI_JZNS1_25segmented_radix_sort_implINS0_14default_configELb0EPKfPfPKlPlN2at6native12_GLOBAL__N_18offset_tEEE10hipError_tPvRmT1_PNSt15iterator_traitsIS12_E10value_typeET2_T3_PNS13_IS18_E10value_typeET4_jRbjT5_S1E_jjP12ihipStream_tbEUljE_ZNSN_ISO_Lb0ESQ_SR_ST_SU_SY_EESZ_S10_S11_S12_S16_S17_S18_S1B_S1C_jS1D_jS1E_S1E_jjS1G_bEUljE0_EEESZ_S10_S11_S18_S1C_S1E_T6_T7_T9_mT8_S1G_bDpT10_ENKUlT_T0_E_clISt17integral_constantIbLb1EES1T_IbLb0EEEEDaS1P_S1Q_EUlS1P_E_NS1_11comp_targetILNS1_3genE8ELNS1_11target_archE1030ELNS1_3gpuE2ELNS1_3repE0EEENS1_30default_config_static_selectorELNS0_4arch9wavefront6targetE0EEEvS12_
    .private_segment_fixed_size: 0
    .sgpr_count:     0
    .sgpr_spill_count: 0
    .symbol:         _ZN7rocprim17ROCPRIM_400000_NS6detail17trampoline_kernelINS0_13select_configILj256ELj13ELNS0_17block_load_methodE3ELS4_3ELS4_3ELNS0_20block_scan_algorithmE0ELj4294967295EEENS1_25partition_config_selectorILNS1_17partition_subalgoE4EjNS0_10empty_typeEbEEZZNS1_14partition_implILS8_4ELb0ES6_15HIP_vector_typeIjLj2EENS0_17counting_iteratorIjlEEPS9_SG_NS0_5tupleIJPjSI_NS0_16reverse_iteratorISI_EEEEENSH_IJSG_SG_SG_EEES9_SI_JZNS1_25segmented_radix_sort_implINS0_14default_configELb0EPKfPfPKlPlN2at6native12_GLOBAL__N_18offset_tEEE10hipError_tPvRmT1_PNSt15iterator_traitsIS12_E10value_typeET2_T3_PNS13_IS18_E10value_typeET4_jRbjT5_S1E_jjP12ihipStream_tbEUljE_ZNSN_ISO_Lb0ESQ_SR_ST_SU_SY_EESZ_S10_S11_S12_S16_S17_S18_S1B_S1C_jS1D_jS1E_S1E_jjS1G_bEUljE0_EEESZ_S10_S11_S18_S1C_S1E_T6_T7_T9_mT8_S1G_bDpT10_ENKUlT_T0_E_clISt17integral_constantIbLb1EES1T_IbLb0EEEEDaS1P_S1Q_EUlS1P_E_NS1_11comp_targetILNS1_3genE8ELNS1_11target_archE1030ELNS1_3gpuE2ELNS1_3repE0EEENS1_30default_config_static_selectorELNS0_4arch9wavefront6targetE0EEEvS12_.kd
    .uniform_work_group_size: 1
    .uses_dynamic_stack: false
    .vgpr_count:     0
    .vgpr_spill_count: 0
    .wavefront_size: 32
    .workgroup_processor_mode: 1
  - .args:
      - .offset:         0
        .size:           184
        .value_kind:     by_value
    .group_segment_fixed_size: 0
    .kernarg_segment_align: 8
    .kernarg_segment_size: 184
    .language:       OpenCL C
    .language_version:
      - 2
      - 0
    .max_flat_workgroup_size: 256
    .name:           _ZN7rocprim17ROCPRIM_400000_NS6detail17trampoline_kernelINS0_13select_configILj256ELj13ELNS0_17block_load_methodE3ELS4_3ELS4_3ELNS0_20block_scan_algorithmE0ELj4294967295EEENS1_25partition_config_selectorILNS1_17partition_subalgoE4EjNS0_10empty_typeEbEEZZNS1_14partition_implILS8_4ELb0ES6_15HIP_vector_typeIjLj2EENS0_17counting_iteratorIjlEEPS9_SG_NS0_5tupleIJPjSI_NS0_16reverse_iteratorISI_EEEEENSH_IJSG_SG_SG_EEES9_SI_JZNS1_25segmented_radix_sort_implINS0_14default_configELb0EPKfPfPKlPlN2at6native12_GLOBAL__N_18offset_tEEE10hipError_tPvRmT1_PNSt15iterator_traitsIS12_E10value_typeET2_T3_PNS13_IS18_E10value_typeET4_jRbjT5_S1E_jjP12ihipStream_tbEUljE_ZNSN_ISO_Lb0ESQ_SR_ST_SU_SY_EESZ_S10_S11_S12_S16_S17_S18_S1B_S1C_jS1D_jS1E_S1E_jjS1G_bEUljE0_EEESZ_S10_S11_S18_S1C_S1E_T6_T7_T9_mT8_S1G_bDpT10_ENKUlT_T0_E_clISt17integral_constantIbLb0EES1T_IbLb1EEEEDaS1P_S1Q_EUlS1P_E_NS1_11comp_targetILNS1_3genE0ELNS1_11target_archE4294967295ELNS1_3gpuE0ELNS1_3repE0EEENS1_30default_config_static_selectorELNS0_4arch9wavefront6targetE0EEEvS12_
    .private_segment_fixed_size: 0
    .sgpr_count:     0
    .sgpr_spill_count: 0
    .symbol:         _ZN7rocprim17ROCPRIM_400000_NS6detail17trampoline_kernelINS0_13select_configILj256ELj13ELNS0_17block_load_methodE3ELS4_3ELS4_3ELNS0_20block_scan_algorithmE0ELj4294967295EEENS1_25partition_config_selectorILNS1_17partition_subalgoE4EjNS0_10empty_typeEbEEZZNS1_14partition_implILS8_4ELb0ES6_15HIP_vector_typeIjLj2EENS0_17counting_iteratorIjlEEPS9_SG_NS0_5tupleIJPjSI_NS0_16reverse_iteratorISI_EEEEENSH_IJSG_SG_SG_EEES9_SI_JZNS1_25segmented_radix_sort_implINS0_14default_configELb0EPKfPfPKlPlN2at6native12_GLOBAL__N_18offset_tEEE10hipError_tPvRmT1_PNSt15iterator_traitsIS12_E10value_typeET2_T3_PNS13_IS18_E10value_typeET4_jRbjT5_S1E_jjP12ihipStream_tbEUljE_ZNSN_ISO_Lb0ESQ_SR_ST_SU_SY_EESZ_S10_S11_S12_S16_S17_S18_S1B_S1C_jS1D_jS1E_S1E_jjS1G_bEUljE0_EEESZ_S10_S11_S18_S1C_S1E_T6_T7_T9_mT8_S1G_bDpT10_ENKUlT_T0_E_clISt17integral_constantIbLb0EES1T_IbLb1EEEEDaS1P_S1Q_EUlS1P_E_NS1_11comp_targetILNS1_3genE0ELNS1_11target_archE4294967295ELNS1_3gpuE0ELNS1_3repE0EEENS1_30default_config_static_selectorELNS0_4arch9wavefront6targetE0EEEvS12_.kd
    .uniform_work_group_size: 1
    .uses_dynamic_stack: false
    .vgpr_count:     0
    .vgpr_spill_count: 0
    .wavefront_size: 32
    .workgroup_processor_mode: 1
  - .args:
      - .offset:         0
        .size:           184
        .value_kind:     by_value
    .group_segment_fixed_size: 0
    .kernarg_segment_align: 8
    .kernarg_segment_size: 184
    .language:       OpenCL C
    .language_version:
      - 2
      - 0
    .max_flat_workgroup_size: 256
    .name:           _ZN7rocprim17ROCPRIM_400000_NS6detail17trampoline_kernelINS0_13select_configILj256ELj13ELNS0_17block_load_methodE3ELS4_3ELS4_3ELNS0_20block_scan_algorithmE0ELj4294967295EEENS1_25partition_config_selectorILNS1_17partition_subalgoE4EjNS0_10empty_typeEbEEZZNS1_14partition_implILS8_4ELb0ES6_15HIP_vector_typeIjLj2EENS0_17counting_iteratorIjlEEPS9_SG_NS0_5tupleIJPjSI_NS0_16reverse_iteratorISI_EEEEENSH_IJSG_SG_SG_EEES9_SI_JZNS1_25segmented_radix_sort_implINS0_14default_configELb0EPKfPfPKlPlN2at6native12_GLOBAL__N_18offset_tEEE10hipError_tPvRmT1_PNSt15iterator_traitsIS12_E10value_typeET2_T3_PNS13_IS18_E10value_typeET4_jRbjT5_S1E_jjP12ihipStream_tbEUljE_ZNSN_ISO_Lb0ESQ_SR_ST_SU_SY_EESZ_S10_S11_S12_S16_S17_S18_S1B_S1C_jS1D_jS1E_S1E_jjS1G_bEUljE0_EEESZ_S10_S11_S18_S1C_S1E_T6_T7_T9_mT8_S1G_bDpT10_ENKUlT_T0_E_clISt17integral_constantIbLb0EES1T_IbLb1EEEEDaS1P_S1Q_EUlS1P_E_NS1_11comp_targetILNS1_3genE5ELNS1_11target_archE942ELNS1_3gpuE9ELNS1_3repE0EEENS1_30default_config_static_selectorELNS0_4arch9wavefront6targetE0EEEvS12_
    .private_segment_fixed_size: 0
    .sgpr_count:     0
    .sgpr_spill_count: 0
    .symbol:         _ZN7rocprim17ROCPRIM_400000_NS6detail17trampoline_kernelINS0_13select_configILj256ELj13ELNS0_17block_load_methodE3ELS4_3ELS4_3ELNS0_20block_scan_algorithmE0ELj4294967295EEENS1_25partition_config_selectorILNS1_17partition_subalgoE4EjNS0_10empty_typeEbEEZZNS1_14partition_implILS8_4ELb0ES6_15HIP_vector_typeIjLj2EENS0_17counting_iteratorIjlEEPS9_SG_NS0_5tupleIJPjSI_NS0_16reverse_iteratorISI_EEEEENSH_IJSG_SG_SG_EEES9_SI_JZNS1_25segmented_radix_sort_implINS0_14default_configELb0EPKfPfPKlPlN2at6native12_GLOBAL__N_18offset_tEEE10hipError_tPvRmT1_PNSt15iterator_traitsIS12_E10value_typeET2_T3_PNS13_IS18_E10value_typeET4_jRbjT5_S1E_jjP12ihipStream_tbEUljE_ZNSN_ISO_Lb0ESQ_SR_ST_SU_SY_EESZ_S10_S11_S12_S16_S17_S18_S1B_S1C_jS1D_jS1E_S1E_jjS1G_bEUljE0_EEESZ_S10_S11_S18_S1C_S1E_T6_T7_T9_mT8_S1G_bDpT10_ENKUlT_T0_E_clISt17integral_constantIbLb0EES1T_IbLb1EEEEDaS1P_S1Q_EUlS1P_E_NS1_11comp_targetILNS1_3genE5ELNS1_11target_archE942ELNS1_3gpuE9ELNS1_3repE0EEENS1_30default_config_static_selectorELNS0_4arch9wavefront6targetE0EEEvS12_.kd
    .uniform_work_group_size: 1
    .uses_dynamic_stack: false
    .vgpr_count:     0
    .vgpr_spill_count: 0
    .wavefront_size: 32
    .workgroup_processor_mode: 1
  - .args:
      - .offset:         0
        .size:           184
        .value_kind:     by_value
    .group_segment_fixed_size: 0
    .kernarg_segment_align: 8
    .kernarg_segment_size: 184
    .language:       OpenCL C
    .language_version:
      - 2
      - 0
    .max_flat_workgroup_size: 256
    .name:           _ZN7rocprim17ROCPRIM_400000_NS6detail17trampoline_kernelINS0_13select_configILj256ELj13ELNS0_17block_load_methodE3ELS4_3ELS4_3ELNS0_20block_scan_algorithmE0ELj4294967295EEENS1_25partition_config_selectorILNS1_17partition_subalgoE4EjNS0_10empty_typeEbEEZZNS1_14partition_implILS8_4ELb0ES6_15HIP_vector_typeIjLj2EENS0_17counting_iteratorIjlEEPS9_SG_NS0_5tupleIJPjSI_NS0_16reverse_iteratorISI_EEEEENSH_IJSG_SG_SG_EEES9_SI_JZNS1_25segmented_radix_sort_implINS0_14default_configELb0EPKfPfPKlPlN2at6native12_GLOBAL__N_18offset_tEEE10hipError_tPvRmT1_PNSt15iterator_traitsIS12_E10value_typeET2_T3_PNS13_IS18_E10value_typeET4_jRbjT5_S1E_jjP12ihipStream_tbEUljE_ZNSN_ISO_Lb0ESQ_SR_ST_SU_SY_EESZ_S10_S11_S12_S16_S17_S18_S1B_S1C_jS1D_jS1E_S1E_jjS1G_bEUljE0_EEESZ_S10_S11_S18_S1C_S1E_T6_T7_T9_mT8_S1G_bDpT10_ENKUlT_T0_E_clISt17integral_constantIbLb0EES1T_IbLb1EEEEDaS1P_S1Q_EUlS1P_E_NS1_11comp_targetILNS1_3genE4ELNS1_11target_archE910ELNS1_3gpuE8ELNS1_3repE0EEENS1_30default_config_static_selectorELNS0_4arch9wavefront6targetE0EEEvS12_
    .private_segment_fixed_size: 0
    .sgpr_count:     0
    .sgpr_spill_count: 0
    .symbol:         _ZN7rocprim17ROCPRIM_400000_NS6detail17trampoline_kernelINS0_13select_configILj256ELj13ELNS0_17block_load_methodE3ELS4_3ELS4_3ELNS0_20block_scan_algorithmE0ELj4294967295EEENS1_25partition_config_selectorILNS1_17partition_subalgoE4EjNS0_10empty_typeEbEEZZNS1_14partition_implILS8_4ELb0ES6_15HIP_vector_typeIjLj2EENS0_17counting_iteratorIjlEEPS9_SG_NS0_5tupleIJPjSI_NS0_16reverse_iteratorISI_EEEEENSH_IJSG_SG_SG_EEES9_SI_JZNS1_25segmented_radix_sort_implINS0_14default_configELb0EPKfPfPKlPlN2at6native12_GLOBAL__N_18offset_tEEE10hipError_tPvRmT1_PNSt15iterator_traitsIS12_E10value_typeET2_T3_PNS13_IS18_E10value_typeET4_jRbjT5_S1E_jjP12ihipStream_tbEUljE_ZNSN_ISO_Lb0ESQ_SR_ST_SU_SY_EESZ_S10_S11_S12_S16_S17_S18_S1B_S1C_jS1D_jS1E_S1E_jjS1G_bEUljE0_EEESZ_S10_S11_S18_S1C_S1E_T6_T7_T9_mT8_S1G_bDpT10_ENKUlT_T0_E_clISt17integral_constantIbLb0EES1T_IbLb1EEEEDaS1P_S1Q_EUlS1P_E_NS1_11comp_targetILNS1_3genE4ELNS1_11target_archE910ELNS1_3gpuE8ELNS1_3repE0EEENS1_30default_config_static_selectorELNS0_4arch9wavefront6targetE0EEEvS12_.kd
    .uniform_work_group_size: 1
    .uses_dynamic_stack: false
    .vgpr_count:     0
    .vgpr_spill_count: 0
    .wavefront_size: 32
    .workgroup_processor_mode: 1
  - .args:
      - .offset:         0
        .size:           184
        .value_kind:     by_value
    .group_segment_fixed_size: 0
    .kernarg_segment_align: 8
    .kernarg_segment_size: 184
    .language:       OpenCL C
    .language_version:
      - 2
      - 0
    .max_flat_workgroup_size: 256
    .name:           _ZN7rocprim17ROCPRIM_400000_NS6detail17trampoline_kernelINS0_13select_configILj256ELj13ELNS0_17block_load_methodE3ELS4_3ELS4_3ELNS0_20block_scan_algorithmE0ELj4294967295EEENS1_25partition_config_selectorILNS1_17partition_subalgoE4EjNS0_10empty_typeEbEEZZNS1_14partition_implILS8_4ELb0ES6_15HIP_vector_typeIjLj2EENS0_17counting_iteratorIjlEEPS9_SG_NS0_5tupleIJPjSI_NS0_16reverse_iteratorISI_EEEEENSH_IJSG_SG_SG_EEES9_SI_JZNS1_25segmented_radix_sort_implINS0_14default_configELb0EPKfPfPKlPlN2at6native12_GLOBAL__N_18offset_tEEE10hipError_tPvRmT1_PNSt15iterator_traitsIS12_E10value_typeET2_T3_PNS13_IS18_E10value_typeET4_jRbjT5_S1E_jjP12ihipStream_tbEUljE_ZNSN_ISO_Lb0ESQ_SR_ST_SU_SY_EESZ_S10_S11_S12_S16_S17_S18_S1B_S1C_jS1D_jS1E_S1E_jjS1G_bEUljE0_EEESZ_S10_S11_S18_S1C_S1E_T6_T7_T9_mT8_S1G_bDpT10_ENKUlT_T0_E_clISt17integral_constantIbLb0EES1T_IbLb1EEEEDaS1P_S1Q_EUlS1P_E_NS1_11comp_targetILNS1_3genE3ELNS1_11target_archE908ELNS1_3gpuE7ELNS1_3repE0EEENS1_30default_config_static_selectorELNS0_4arch9wavefront6targetE0EEEvS12_
    .private_segment_fixed_size: 0
    .sgpr_count:     0
    .sgpr_spill_count: 0
    .symbol:         _ZN7rocprim17ROCPRIM_400000_NS6detail17trampoline_kernelINS0_13select_configILj256ELj13ELNS0_17block_load_methodE3ELS4_3ELS4_3ELNS0_20block_scan_algorithmE0ELj4294967295EEENS1_25partition_config_selectorILNS1_17partition_subalgoE4EjNS0_10empty_typeEbEEZZNS1_14partition_implILS8_4ELb0ES6_15HIP_vector_typeIjLj2EENS0_17counting_iteratorIjlEEPS9_SG_NS0_5tupleIJPjSI_NS0_16reverse_iteratorISI_EEEEENSH_IJSG_SG_SG_EEES9_SI_JZNS1_25segmented_radix_sort_implINS0_14default_configELb0EPKfPfPKlPlN2at6native12_GLOBAL__N_18offset_tEEE10hipError_tPvRmT1_PNSt15iterator_traitsIS12_E10value_typeET2_T3_PNS13_IS18_E10value_typeET4_jRbjT5_S1E_jjP12ihipStream_tbEUljE_ZNSN_ISO_Lb0ESQ_SR_ST_SU_SY_EESZ_S10_S11_S12_S16_S17_S18_S1B_S1C_jS1D_jS1E_S1E_jjS1G_bEUljE0_EEESZ_S10_S11_S18_S1C_S1E_T6_T7_T9_mT8_S1G_bDpT10_ENKUlT_T0_E_clISt17integral_constantIbLb0EES1T_IbLb1EEEEDaS1P_S1Q_EUlS1P_E_NS1_11comp_targetILNS1_3genE3ELNS1_11target_archE908ELNS1_3gpuE7ELNS1_3repE0EEENS1_30default_config_static_selectorELNS0_4arch9wavefront6targetE0EEEvS12_.kd
    .uniform_work_group_size: 1
    .uses_dynamic_stack: false
    .vgpr_count:     0
    .vgpr_spill_count: 0
    .wavefront_size: 32
    .workgroup_processor_mode: 1
  - .args:
      - .offset:         0
        .size:           184
        .value_kind:     by_value
    .group_segment_fixed_size: 0
    .kernarg_segment_align: 8
    .kernarg_segment_size: 184
    .language:       OpenCL C
    .language_version:
      - 2
      - 0
    .max_flat_workgroup_size: 256
    .name:           _ZN7rocprim17ROCPRIM_400000_NS6detail17trampoline_kernelINS0_13select_configILj256ELj13ELNS0_17block_load_methodE3ELS4_3ELS4_3ELNS0_20block_scan_algorithmE0ELj4294967295EEENS1_25partition_config_selectorILNS1_17partition_subalgoE4EjNS0_10empty_typeEbEEZZNS1_14partition_implILS8_4ELb0ES6_15HIP_vector_typeIjLj2EENS0_17counting_iteratorIjlEEPS9_SG_NS0_5tupleIJPjSI_NS0_16reverse_iteratorISI_EEEEENSH_IJSG_SG_SG_EEES9_SI_JZNS1_25segmented_radix_sort_implINS0_14default_configELb0EPKfPfPKlPlN2at6native12_GLOBAL__N_18offset_tEEE10hipError_tPvRmT1_PNSt15iterator_traitsIS12_E10value_typeET2_T3_PNS13_IS18_E10value_typeET4_jRbjT5_S1E_jjP12ihipStream_tbEUljE_ZNSN_ISO_Lb0ESQ_SR_ST_SU_SY_EESZ_S10_S11_S12_S16_S17_S18_S1B_S1C_jS1D_jS1E_S1E_jjS1G_bEUljE0_EEESZ_S10_S11_S18_S1C_S1E_T6_T7_T9_mT8_S1G_bDpT10_ENKUlT_T0_E_clISt17integral_constantIbLb0EES1T_IbLb1EEEEDaS1P_S1Q_EUlS1P_E_NS1_11comp_targetILNS1_3genE2ELNS1_11target_archE906ELNS1_3gpuE6ELNS1_3repE0EEENS1_30default_config_static_selectorELNS0_4arch9wavefront6targetE0EEEvS12_
    .private_segment_fixed_size: 0
    .sgpr_count:     0
    .sgpr_spill_count: 0
    .symbol:         _ZN7rocprim17ROCPRIM_400000_NS6detail17trampoline_kernelINS0_13select_configILj256ELj13ELNS0_17block_load_methodE3ELS4_3ELS4_3ELNS0_20block_scan_algorithmE0ELj4294967295EEENS1_25partition_config_selectorILNS1_17partition_subalgoE4EjNS0_10empty_typeEbEEZZNS1_14partition_implILS8_4ELb0ES6_15HIP_vector_typeIjLj2EENS0_17counting_iteratorIjlEEPS9_SG_NS0_5tupleIJPjSI_NS0_16reverse_iteratorISI_EEEEENSH_IJSG_SG_SG_EEES9_SI_JZNS1_25segmented_radix_sort_implINS0_14default_configELb0EPKfPfPKlPlN2at6native12_GLOBAL__N_18offset_tEEE10hipError_tPvRmT1_PNSt15iterator_traitsIS12_E10value_typeET2_T3_PNS13_IS18_E10value_typeET4_jRbjT5_S1E_jjP12ihipStream_tbEUljE_ZNSN_ISO_Lb0ESQ_SR_ST_SU_SY_EESZ_S10_S11_S12_S16_S17_S18_S1B_S1C_jS1D_jS1E_S1E_jjS1G_bEUljE0_EEESZ_S10_S11_S18_S1C_S1E_T6_T7_T9_mT8_S1G_bDpT10_ENKUlT_T0_E_clISt17integral_constantIbLb0EES1T_IbLb1EEEEDaS1P_S1Q_EUlS1P_E_NS1_11comp_targetILNS1_3genE2ELNS1_11target_archE906ELNS1_3gpuE6ELNS1_3repE0EEENS1_30default_config_static_selectorELNS0_4arch9wavefront6targetE0EEEvS12_.kd
    .uniform_work_group_size: 1
    .uses_dynamic_stack: false
    .vgpr_count:     0
    .vgpr_spill_count: 0
    .wavefront_size: 32
    .workgroup_processor_mode: 1
  - .args:
      - .offset:         0
        .size:           184
        .value_kind:     by_value
    .group_segment_fixed_size: 13328
    .kernarg_segment_align: 8
    .kernarg_segment_size: 184
    .language:       OpenCL C
    .language_version:
      - 2
      - 0
    .max_flat_workgroup_size: 256
    .name:           _ZN7rocprim17ROCPRIM_400000_NS6detail17trampoline_kernelINS0_13select_configILj256ELj13ELNS0_17block_load_methodE3ELS4_3ELS4_3ELNS0_20block_scan_algorithmE0ELj4294967295EEENS1_25partition_config_selectorILNS1_17partition_subalgoE4EjNS0_10empty_typeEbEEZZNS1_14partition_implILS8_4ELb0ES6_15HIP_vector_typeIjLj2EENS0_17counting_iteratorIjlEEPS9_SG_NS0_5tupleIJPjSI_NS0_16reverse_iteratorISI_EEEEENSH_IJSG_SG_SG_EEES9_SI_JZNS1_25segmented_radix_sort_implINS0_14default_configELb0EPKfPfPKlPlN2at6native12_GLOBAL__N_18offset_tEEE10hipError_tPvRmT1_PNSt15iterator_traitsIS12_E10value_typeET2_T3_PNS13_IS18_E10value_typeET4_jRbjT5_S1E_jjP12ihipStream_tbEUljE_ZNSN_ISO_Lb0ESQ_SR_ST_SU_SY_EESZ_S10_S11_S12_S16_S17_S18_S1B_S1C_jS1D_jS1E_S1E_jjS1G_bEUljE0_EEESZ_S10_S11_S18_S1C_S1E_T6_T7_T9_mT8_S1G_bDpT10_ENKUlT_T0_E_clISt17integral_constantIbLb0EES1T_IbLb1EEEEDaS1P_S1Q_EUlS1P_E_NS1_11comp_targetILNS1_3genE10ELNS1_11target_archE1200ELNS1_3gpuE4ELNS1_3repE0EEENS1_30default_config_static_selectorELNS0_4arch9wavefront6targetE0EEEvS12_
    .private_segment_fixed_size: 0
    .sgpr_count:     57
    .sgpr_spill_count: 0
    .symbol:         _ZN7rocprim17ROCPRIM_400000_NS6detail17trampoline_kernelINS0_13select_configILj256ELj13ELNS0_17block_load_methodE3ELS4_3ELS4_3ELNS0_20block_scan_algorithmE0ELj4294967295EEENS1_25partition_config_selectorILNS1_17partition_subalgoE4EjNS0_10empty_typeEbEEZZNS1_14partition_implILS8_4ELb0ES6_15HIP_vector_typeIjLj2EENS0_17counting_iteratorIjlEEPS9_SG_NS0_5tupleIJPjSI_NS0_16reverse_iteratorISI_EEEEENSH_IJSG_SG_SG_EEES9_SI_JZNS1_25segmented_radix_sort_implINS0_14default_configELb0EPKfPfPKlPlN2at6native12_GLOBAL__N_18offset_tEEE10hipError_tPvRmT1_PNSt15iterator_traitsIS12_E10value_typeET2_T3_PNS13_IS18_E10value_typeET4_jRbjT5_S1E_jjP12ihipStream_tbEUljE_ZNSN_ISO_Lb0ESQ_SR_ST_SU_SY_EESZ_S10_S11_S12_S16_S17_S18_S1B_S1C_jS1D_jS1E_S1E_jjS1G_bEUljE0_EEESZ_S10_S11_S18_S1C_S1E_T6_T7_T9_mT8_S1G_bDpT10_ENKUlT_T0_E_clISt17integral_constantIbLb0EES1T_IbLb1EEEEDaS1P_S1Q_EUlS1P_E_NS1_11comp_targetILNS1_3genE10ELNS1_11target_archE1200ELNS1_3gpuE4ELNS1_3repE0EEENS1_30default_config_static_selectorELNS0_4arch9wavefront6targetE0EEEvS12_.kd
    .uniform_work_group_size: 1
    .uses_dynamic_stack: false
    .vgpr_count:     98
    .vgpr_spill_count: 0
    .wavefront_size: 32
    .workgroup_processor_mode: 1
  - .args:
      - .offset:         0
        .size:           184
        .value_kind:     by_value
    .group_segment_fixed_size: 0
    .kernarg_segment_align: 8
    .kernarg_segment_size: 184
    .language:       OpenCL C
    .language_version:
      - 2
      - 0
    .max_flat_workgroup_size: 256
    .name:           _ZN7rocprim17ROCPRIM_400000_NS6detail17trampoline_kernelINS0_13select_configILj256ELj13ELNS0_17block_load_methodE3ELS4_3ELS4_3ELNS0_20block_scan_algorithmE0ELj4294967295EEENS1_25partition_config_selectorILNS1_17partition_subalgoE4EjNS0_10empty_typeEbEEZZNS1_14partition_implILS8_4ELb0ES6_15HIP_vector_typeIjLj2EENS0_17counting_iteratorIjlEEPS9_SG_NS0_5tupleIJPjSI_NS0_16reverse_iteratorISI_EEEEENSH_IJSG_SG_SG_EEES9_SI_JZNS1_25segmented_radix_sort_implINS0_14default_configELb0EPKfPfPKlPlN2at6native12_GLOBAL__N_18offset_tEEE10hipError_tPvRmT1_PNSt15iterator_traitsIS12_E10value_typeET2_T3_PNS13_IS18_E10value_typeET4_jRbjT5_S1E_jjP12ihipStream_tbEUljE_ZNSN_ISO_Lb0ESQ_SR_ST_SU_SY_EESZ_S10_S11_S12_S16_S17_S18_S1B_S1C_jS1D_jS1E_S1E_jjS1G_bEUljE0_EEESZ_S10_S11_S18_S1C_S1E_T6_T7_T9_mT8_S1G_bDpT10_ENKUlT_T0_E_clISt17integral_constantIbLb0EES1T_IbLb1EEEEDaS1P_S1Q_EUlS1P_E_NS1_11comp_targetILNS1_3genE9ELNS1_11target_archE1100ELNS1_3gpuE3ELNS1_3repE0EEENS1_30default_config_static_selectorELNS0_4arch9wavefront6targetE0EEEvS12_
    .private_segment_fixed_size: 0
    .sgpr_count:     0
    .sgpr_spill_count: 0
    .symbol:         _ZN7rocprim17ROCPRIM_400000_NS6detail17trampoline_kernelINS0_13select_configILj256ELj13ELNS0_17block_load_methodE3ELS4_3ELS4_3ELNS0_20block_scan_algorithmE0ELj4294967295EEENS1_25partition_config_selectorILNS1_17partition_subalgoE4EjNS0_10empty_typeEbEEZZNS1_14partition_implILS8_4ELb0ES6_15HIP_vector_typeIjLj2EENS0_17counting_iteratorIjlEEPS9_SG_NS0_5tupleIJPjSI_NS0_16reverse_iteratorISI_EEEEENSH_IJSG_SG_SG_EEES9_SI_JZNS1_25segmented_radix_sort_implINS0_14default_configELb0EPKfPfPKlPlN2at6native12_GLOBAL__N_18offset_tEEE10hipError_tPvRmT1_PNSt15iterator_traitsIS12_E10value_typeET2_T3_PNS13_IS18_E10value_typeET4_jRbjT5_S1E_jjP12ihipStream_tbEUljE_ZNSN_ISO_Lb0ESQ_SR_ST_SU_SY_EESZ_S10_S11_S12_S16_S17_S18_S1B_S1C_jS1D_jS1E_S1E_jjS1G_bEUljE0_EEESZ_S10_S11_S18_S1C_S1E_T6_T7_T9_mT8_S1G_bDpT10_ENKUlT_T0_E_clISt17integral_constantIbLb0EES1T_IbLb1EEEEDaS1P_S1Q_EUlS1P_E_NS1_11comp_targetILNS1_3genE9ELNS1_11target_archE1100ELNS1_3gpuE3ELNS1_3repE0EEENS1_30default_config_static_selectorELNS0_4arch9wavefront6targetE0EEEvS12_.kd
    .uniform_work_group_size: 1
    .uses_dynamic_stack: false
    .vgpr_count:     0
    .vgpr_spill_count: 0
    .wavefront_size: 32
    .workgroup_processor_mode: 1
  - .args:
      - .offset:         0
        .size:           184
        .value_kind:     by_value
    .group_segment_fixed_size: 0
    .kernarg_segment_align: 8
    .kernarg_segment_size: 184
    .language:       OpenCL C
    .language_version:
      - 2
      - 0
    .max_flat_workgroup_size: 256
    .name:           _ZN7rocprim17ROCPRIM_400000_NS6detail17trampoline_kernelINS0_13select_configILj256ELj13ELNS0_17block_load_methodE3ELS4_3ELS4_3ELNS0_20block_scan_algorithmE0ELj4294967295EEENS1_25partition_config_selectorILNS1_17partition_subalgoE4EjNS0_10empty_typeEbEEZZNS1_14partition_implILS8_4ELb0ES6_15HIP_vector_typeIjLj2EENS0_17counting_iteratorIjlEEPS9_SG_NS0_5tupleIJPjSI_NS0_16reverse_iteratorISI_EEEEENSH_IJSG_SG_SG_EEES9_SI_JZNS1_25segmented_radix_sort_implINS0_14default_configELb0EPKfPfPKlPlN2at6native12_GLOBAL__N_18offset_tEEE10hipError_tPvRmT1_PNSt15iterator_traitsIS12_E10value_typeET2_T3_PNS13_IS18_E10value_typeET4_jRbjT5_S1E_jjP12ihipStream_tbEUljE_ZNSN_ISO_Lb0ESQ_SR_ST_SU_SY_EESZ_S10_S11_S12_S16_S17_S18_S1B_S1C_jS1D_jS1E_S1E_jjS1G_bEUljE0_EEESZ_S10_S11_S18_S1C_S1E_T6_T7_T9_mT8_S1G_bDpT10_ENKUlT_T0_E_clISt17integral_constantIbLb0EES1T_IbLb1EEEEDaS1P_S1Q_EUlS1P_E_NS1_11comp_targetILNS1_3genE8ELNS1_11target_archE1030ELNS1_3gpuE2ELNS1_3repE0EEENS1_30default_config_static_selectorELNS0_4arch9wavefront6targetE0EEEvS12_
    .private_segment_fixed_size: 0
    .sgpr_count:     0
    .sgpr_spill_count: 0
    .symbol:         _ZN7rocprim17ROCPRIM_400000_NS6detail17trampoline_kernelINS0_13select_configILj256ELj13ELNS0_17block_load_methodE3ELS4_3ELS4_3ELNS0_20block_scan_algorithmE0ELj4294967295EEENS1_25partition_config_selectorILNS1_17partition_subalgoE4EjNS0_10empty_typeEbEEZZNS1_14partition_implILS8_4ELb0ES6_15HIP_vector_typeIjLj2EENS0_17counting_iteratorIjlEEPS9_SG_NS0_5tupleIJPjSI_NS0_16reverse_iteratorISI_EEEEENSH_IJSG_SG_SG_EEES9_SI_JZNS1_25segmented_radix_sort_implINS0_14default_configELb0EPKfPfPKlPlN2at6native12_GLOBAL__N_18offset_tEEE10hipError_tPvRmT1_PNSt15iterator_traitsIS12_E10value_typeET2_T3_PNS13_IS18_E10value_typeET4_jRbjT5_S1E_jjP12ihipStream_tbEUljE_ZNSN_ISO_Lb0ESQ_SR_ST_SU_SY_EESZ_S10_S11_S12_S16_S17_S18_S1B_S1C_jS1D_jS1E_S1E_jjS1G_bEUljE0_EEESZ_S10_S11_S18_S1C_S1E_T6_T7_T9_mT8_S1G_bDpT10_ENKUlT_T0_E_clISt17integral_constantIbLb0EES1T_IbLb1EEEEDaS1P_S1Q_EUlS1P_E_NS1_11comp_targetILNS1_3genE8ELNS1_11target_archE1030ELNS1_3gpuE2ELNS1_3repE0EEENS1_30default_config_static_selectorELNS0_4arch9wavefront6targetE0EEEvS12_.kd
    .uniform_work_group_size: 1
    .uses_dynamic_stack: false
    .vgpr_count:     0
    .vgpr_spill_count: 0
    .wavefront_size: 32
    .workgroup_processor_mode: 1
  - .args:
      - .offset:         0
        .size:           144
        .value_kind:     by_value
    .group_segment_fixed_size: 0
    .kernarg_segment_align: 8
    .kernarg_segment_size: 144
    .language:       OpenCL C
    .language_version:
      - 2
      - 0
    .max_flat_workgroup_size: 256
    .name:           _ZN7rocprim17ROCPRIM_400000_NS6detail17trampoline_kernelINS0_13select_configILj256ELj13ELNS0_17block_load_methodE3ELS4_3ELS4_3ELNS0_20block_scan_algorithmE0ELj4294967295EEENS1_25partition_config_selectorILNS1_17partition_subalgoE3EjNS0_10empty_typeEbEEZZNS1_14partition_implILS8_3ELb0ES6_jNS0_17counting_iteratorIjlEEPS9_SE_NS0_5tupleIJPjSE_EEENSF_IJSE_SE_EEES9_SG_JZNS1_25segmented_radix_sort_implINS0_14default_configELb0EPKfPfPKlPlN2at6native12_GLOBAL__N_18offset_tEEE10hipError_tPvRmT1_PNSt15iterator_traitsISY_E10value_typeET2_T3_PNSZ_IS14_E10value_typeET4_jRbjT5_S1A_jjP12ihipStream_tbEUljE_EEESV_SW_SX_S14_S18_S1A_T6_T7_T9_mT8_S1C_bDpT10_ENKUlT_T0_E_clISt17integral_constantIbLb0EES1P_EEDaS1K_S1L_EUlS1K_E_NS1_11comp_targetILNS1_3genE0ELNS1_11target_archE4294967295ELNS1_3gpuE0ELNS1_3repE0EEENS1_30default_config_static_selectorELNS0_4arch9wavefront6targetE0EEEvSY_
    .private_segment_fixed_size: 0
    .sgpr_count:     0
    .sgpr_spill_count: 0
    .symbol:         _ZN7rocprim17ROCPRIM_400000_NS6detail17trampoline_kernelINS0_13select_configILj256ELj13ELNS0_17block_load_methodE3ELS4_3ELS4_3ELNS0_20block_scan_algorithmE0ELj4294967295EEENS1_25partition_config_selectorILNS1_17partition_subalgoE3EjNS0_10empty_typeEbEEZZNS1_14partition_implILS8_3ELb0ES6_jNS0_17counting_iteratorIjlEEPS9_SE_NS0_5tupleIJPjSE_EEENSF_IJSE_SE_EEES9_SG_JZNS1_25segmented_radix_sort_implINS0_14default_configELb0EPKfPfPKlPlN2at6native12_GLOBAL__N_18offset_tEEE10hipError_tPvRmT1_PNSt15iterator_traitsISY_E10value_typeET2_T3_PNSZ_IS14_E10value_typeET4_jRbjT5_S1A_jjP12ihipStream_tbEUljE_EEESV_SW_SX_S14_S18_S1A_T6_T7_T9_mT8_S1C_bDpT10_ENKUlT_T0_E_clISt17integral_constantIbLb0EES1P_EEDaS1K_S1L_EUlS1K_E_NS1_11comp_targetILNS1_3genE0ELNS1_11target_archE4294967295ELNS1_3gpuE0ELNS1_3repE0EEENS1_30default_config_static_selectorELNS0_4arch9wavefront6targetE0EEEvSY_.kd
    .uniform_work_group_size: 1
    .uses_dynamic_stack: false
    .vgpr_count:     0
    .vgpr_spill_count: 0
    .wavefront_size: 32
    .workgroup_processor_mode: 1
  - .args:
      - .offset:         0
        .size:           144
        .value_kind:     by_value
    .group_segment_fixed_size: 0
    .kernarg_segment_align: 8
    .kernarg_segment_size: 144
    .language:       OpenCL C
    .language_version:
      - 2
      - 0
    .max_flat_workgroup_size: 256
    .name:           _ZN7rocprim17ROCPRIM_400000_NS6detail17trampoline_kernelINS0_13select_configILj256ELj13ELNS0_17block_load_methodE3ELS4_3ELS4_3ELNS0_20block_scan_algorithmE0ELj4294967295EEENS1_25partition_config_selectorILNS1_17partition_subalgoE3EjNS0_10empty_typeEbEEZZNS1_14partition_implILS8_3ELb0ES6_jNS0_17counting_iteratorIjlEEPS9_SE_NS0_5tupleIJPjSE_EEENSF_IJSE_SE_EEES9_SG_JZNS1_25segmented_radix_sort_implINS0_14default_configELb0EPKfPfPKlPlN2at6native12_GLOBAL__N_18offset_tEEE10hipError_tPvRmT1_PNSt15iterator_traitsISY_E10value_typeET2_T3_PNSZ_IS14_E10value_typeET4_jRbjT5_S1A_jjP12ihipStream_tbEUljE_EEESV_SW_SX_S14_S18_S1A_T6_T7_T9_mT8_S1C_bDpT10_ENKUlT_T0_E_clISt17integral_constantIbLb0EES1P_EEDaS1K_S1L_EUlS1K_E_NS1_11comp_targetILNS1_3genE5ELNS1_11target_archE942ELNS1_3gpuE9ELNS1_3repE0EEENS1_30default_config_static_selectorELNS0_4arch9wavefront6targetE0EEEvSY_
    .private_segment_fixed_size: 0
    .sgpr_count:     0
    .sgpr_spill_count: 0
    .symbol:         _ZN7rocprim17ROCPRIM_400000_NS6detail17trampoline_kernelINS0_13select_configILj256ELj13ELNS0_17block_load_methodE3ELS4_3ELS4_3ELNS0_20block_scan_algorithmE0ELj4294967295EEENS1_25partition_config_selectorILNS1_17partition_subalgoE3EjNS0_10empty_typeEbEEZZNS1_14partition_implILS8_3ELb0ES6_jNS0_17counting_iteratorIjlEEPS9_SE_NS0_5tupleIJPjSE_EEENSF_IJSE_SE_EEES9_SG_JZNS1_25segmented_radix_sort_implINS0_14default_configELb0EPKfPfPKlPlN2at6native12_GLOBAL__N_18offset_tEEE10hipError_tPvRmT1_PNSt15iterator_traitsISY_E10value_typeET2_T3_PNSZ_IS14_E10value_typeET4_jRbjT5_S1A_jjP12ihipStream_tbEUljE_EEESV_SW_SX_S14_S18_S1A_T6_T7_T9_mT8_S1C_bDpT10_ENKUlT_T0_E_clISt17integral_constantIbLb0EES1P_EEDaS1K_S1L_EUlS1K_E_NS1_11comp_targetILNS1_3genE5ELNS1_11target_archE942ELNS1_3gpuE9ELNS1_3repE0EEENS1_30default_config_static_selectorELNS0_4arch9wavefront6targetE0EEEvSY_.kd
    .uniform_work_group_size: 1
    .uses_dynamic_stack: false
    .vgpr_count:     0
    .vgpr_spill_count: 0
    .wavefront_size: 32
    .workgroup_processor_mode: 1
  - .args:
      - .offset:         0
        .size:           144
        .value_kind:     by_value
    .group_segment_fixed_size: 0
    .kernarg_segment_align: 8
    .kernarg_segment_size: 144
    .language:       OpenCL C
    .language_version:
      - 2
      - 0
    .max_flat_workgroup_size: 256
    .name:           _ZN7rocprim17ROCPRIM_400000_NS6detail17trampoline_kernelINS0_13select_configILj256ELj13ELNS0_17block_load_methodE3ELS4_3ELS4_3ELNS0_20block_scan_algorithmE0ELj4294967295EEENS1_25partition_config_selectorILNS1_17partition_subalgoE3EjNS0_10empty_typeEbEEZZNS1_14partition_implILS8_3ELb0ES6_jNS0_17counting_iteratorIjlEEPS9_SE_NS0_5tupleIJPjSE_EEENSF_IJSE_SE_EEES9_SG_JZNS1_25segmented_radix_sort_implINS0_14default_configELb0EPKfPfPKlPlN2at6native12_GLOBAL__N_18offset_tEEE10hipError_tPvRmT1_PNSt15iterator_traitsISY_E10value_typeET2_T3_PNSZ_IS14_E10value_typeET4_jRbjT5_S1A_jjP12ihipStream_tbEUljE_EEESV_SW_SX_S14_S18_S1A_T6_T7_T9_mT8_S1C_bDpT10_ENKUlT_T0_E_clISt17integral_constantIbLb0EES1P_EEDaS1K_S1L_EUlS1K_E_NS1_11comp_targetILNS1_3genE4ELNS1_11target_archE910ELNS1_3gpuE8ELNS1_3repE0EEENS1_30default_config_static_selectorELNS0_4arch9wavefront6targetE0EEEvSY_
    .private_segment_fixed_size: 0
    .sgpr_count:     0
    .sgpr_spill_count: 0
    .symbol:         _ZN7rocprim17ROCPRIM_400000_NS6detail17trampoline_kernelINS0_13select_configILj256ELj13ELNS0_17block_load_methodE3ELS4_3ELS4_3ELNS0_20block_scan_algorithmE0ELj4294967295EEENS1_25partition_config_selectorILNS1_17partition_subalgoE3EjNS0_10empty_typeEbEEZZNS1_14partition_implILS8_3ELb0ES6_jNS0_17counting_iteratorIjlEEPS9_SE_NS0_5tupleIJPjSE_EEENSF_IJSE_SE_EEES9_SG_JZNS1_25segmented_radix_sort_implINS0_14default_configELb0EPKfPfPKlPlN2at6native12_GLOBAL__N_18offset_tEEE10hipError_tPvRmT1_PNSt15iterator_traitsISY_E10value_typeET2_T3_PNSZ_IS14_E10value_typeET4_jRbjT5_S1A_jjP12ihipStream_tbEUljE_EEESV_SW_SX_S14_S18_S1A_T6_T7_T9_mT8_S1C_bDpT10_ENKUlT_T0_E_clISt17integral_constantIbLb0EES1P_EEDaS1K_S1L_EUlS1K_E_NS1_11comp_targetILNS1_3genE4ELNS1_11target_archE910ELNS1_3gpuE8ELNS1_3repE0EEENS1_30default_config_static_selectorELNS0_4arch9wavefront6targetE0EEEvSY_.kd
    .uniform_work_group_size: 1
    .uses_dynamic_stack: false
    .vgpr_count:     0
    .vgpr_spill_count: 0
    .wavefront_size: 32
    .workgroup_processor_mode: 1
  - .args:
      - .offset:         0
        .size:           144
        .value_kind:     by_value
    .group_segment_fixed_size: 0
    .kernarg_segment_align: 8
    .kernarg_segment_size: 144
    .language:       OpenCL C
    .language_version:
      - 2
      - 0
    .max_flat_workgroup_size: 256
    .name:           _ZN7rocprim17ROCPRIM_400000_NS6detail17trampoline_kernelINS0_13select_configILj256ELj13ELNS0_17block_load_methodE3ELS4_3ELS4_3ELNS0_20block_scan_algorithmE0ELj4294967295EEENS1_25partition_config_selectorILNS1_17partition_subalgoE3EjNS0_10empty_typeEbEEZZNS1_14partition_implILS8_3ELb0ES6_jNS0_17counting_iteratorIjlEEPS9_SE_NS0_5tupleIJPjSE_EEENSF_IJSE_SE_EEES9_SG_JZNS1_25segmented_radix_sort_implINS0_14default_configELb0EPKfPfPKlPlN2at6native12_GLOBAL__N_18offset_tEEE10hipError_tPvRmT1_PNSt15iterator_traitsISY_E10value_typeET2_T3_PNSZ_IS14_E10value_typeET4_jRbjT5_S1A_jjP12ihipStream_tbEUljE_EEESV_SW_SX_S14_S18_S1A_T6_T7_T9_mT8_S1C_bDpT10_ENKUlT_T0_E_clISt17integral_constantIbLb0EES1P_EEDaS1K_S1L_EUlS1K_E_NS1_11comp_targetILNS1_3genE3ELNS1_11target_archE908ELNS1_3gpuE7ELNS1_3repE0EEENS1_30default_config_static_selectorELNS0_4arch9wavefront6targetE0EEEvSY_
    .private_segment_fixed_size: 0
    .sgpr_count:     0
    .sgpr_spill_count: 0
    .symbol:         _ZN7rocprim17ROCPRIM_400000_NS6detail17trampoline_kernelINS0_13select_configILj256ELj13ELNS0_17block_load_methodE3ELS4_3ELS4_3ELNS0_20block_scan_algorithmE0ELj4294967295EEENS1_25partition_config_selectorILNS1_17partition_subalgoE3EjNS0_10empty_typeEbEEZZNS1_14partition_implILS8_3ELb0ES6_jNS0_17counting_iteratorIjlEEPS9_SE_NS0_5tupleIJPjSE_EEENSF_IJSE_SE_EEES9_SG_JZNS1_25segmented_radix_sort_implINS0_14default_configELb0EPKfPfPKlPlN2at6native12_GLOBAL__N_18offset_tEEE10hipError_tPvRmT1_PNSt15iterator_traitsISY_E10value_typeET2_T3_PNSZ_IS14_E10value_typeET4_jRbjT5_S1A_jjP12ihipStream_tbEUljE_EEESV_SW_SX_S14_S18_S1A_T6_T7_T9_mT8_S1C_bDpT10_ENKUlT_T0_E_clISt17integral_constantIbLb0EES1P_EEDaS1K_S1L_EUlS1K_E_NS1_11comp_targetILNS1_3genE3ELNS1_11target_archE908ELNS1_3gpuE7ELNS1_3repE0EEENS1_30default_config_static_selectorELNS0_4arch9wavefront6targetE0EEEvSY_.kd
    .uniform_work_group_size: 1
    .uses_dynamic_stack: false
    .vgpr_count:     0
    .vgpr_spill_count: 0
    .wavefront_size: 32
    .workgroup_processor_mode: 1
  - .args:
      - .offset:         0
        .size:           144
        .value_kind:     by_value
    .group_segment_fixed_size: 0
    .kernarg_segment_align: 8
    .kernarg_segment_size: 144
    .language:       OpenCL C
    .language_version:
      - 2
      - 0
    .max_flat_workgroup_size: 256
    .name:           _ZN7rocprim17ROCPRIM_400000_NS6detail17trampoline_kernelINS0_13select_configILj256ELj13ELNS0_17block_load_methodE3ELS4_3ELS4_3ELNS0_20block_scan_algorithmE0ELj4294967295EEENS1_25partition_config_selectorILNS1_17partition_subalgoE3EjNS0_10empty_typeEbEEZZNS1_14partition_implILS8_3ELb0ES6_jNS0_17counting_iteratorIjlEEPS9_SE_NS0_5tupleIJPjSE_EEENSF_IJSE_SE_EEES9_SG_JZNS1_25segmented_radix_sort_implINS0_14default_configELb0EPKfPfPKlPlN2at6native12_GLOBAL__N_18offset_tEEE10hipError_tPvRmT1_PNSt15iterator_traitsISY_E10value_typeET2_T3_PNSZ_IS14_E10value_typeET4_jRbjT5_S1A_jjP12ihipStream_tbEUljE_EEESV_SW_SX_S14_S18_S1A_T6_T7_T9_mT8_S1C_bDpT10_ENKUlT_T0_E_clISt17integral_constantIbLb0EES1P_EEDaS1K_S1L_EUlS1K_E_NS1_11comp_targetILNS1_3genE2ELNS1_11target_archE906ELNS1_3gpuE6ELNS1_3repE0EEENS1_30default_config_static_selectorELNS0_4arch9wavefront6targetE0EEEvSY_
    .private_segment_fixed_size: 0
    .sgpr_count:     0
    .sgpr_spill_count: 0
    .symbol:         _ZN7rocprim17ROCPRIM_400000_NS6detail17trampoline_kernelINS0_13select_configILj256ELj13ELNS0_17block_load_methodE3ELS4_3ELS4_3ELNS0_20block_scan_algorithmE0ELj4294967295EEENS1_25partition_config_selectorILNS1_17partition_subalgoE3EjNS0_10empty_typeEbEEZZNS1_14partition_implILS8_3ELb0ES6_jNS0_17counting_iteratorIjlEEPS9_SE_NS0_5tupleIJPjSE_EEENSF_IJSE_SE_EEES9_SG_JZNS1_25segmented_radix_sort_implINS0_14default_configELb0EPKfPfPKlPlN2at6native12_GLOBAL__N_18offset_tEEE10hipError_tPvRmT1_PNSt15iterator_traitsISY_E10value_typeET2_T3_PNSZ_IS14_E10value_typeET4_jRbjT5_S1A_jjP12ihipStream_tbEUljE_EEESV_SW_SX_S14_S18_S1A_T6_T7_T9_mT8_S1C_bDpT10_ENKUlT_T0_E_clISt17integral_constantIbLb0EES1P_EEDaS1K_S1L_EUlS1K_E_NS1_11comp_targetILNS1_3genE2ELNS1_11target_archE906ELNS1_3gpuE6ELNS1_3repE0EEENS1_30default_config_static_selectorELNS0_4arch9wavefront6targetE0EEEvSY_.kd
    .uniform_work_group_size: 1
    .uses_dynamic_stack: false
    .vgpr_count:     0
    .vgpr_spill_count: 0
    .wavefront_size: 32
    .workgroup_processor_mode: 1
  - .args:
      - .offset:         0
        .size:           144
        .value_kind:     by_value
    .group_segment_fixed_size: 13320
    .kernarg_segment_align: 8
    .kernarg_segment_size: 144
    .language:       OpenCL C
    .language_version:
      - 2
      - 0
    .max_flat_workgroup_size: 256
    .name:           _ZN7rocprim17ROCPRIM_400000_NS6detail17trampoline_kernelINS0_13select_configILj256ELj13ELNS0_17block_load_methodE3ELS4_3ELS4_3ELNS0_20block_scan_algorithmE0ELj4294967295EEENS1_25partition_config_selectorILNS1_17partition_subalgoE3EjNS0_10empty_typeEbEEZZNS1_14partition_implILS8_3ELb0ES6_jNS0_17counting_iteratorIjlEEPS9_SE_NS0_5tupleIJPjSE_EEENSF_IJSE_SE_EEES9_SG_JZNS1_25segmented_radix_sort_implINS0_14default_configELb0EPKfPfPKlPlN2at6native12_GLOBAL__N_18offset_tEEE10hipError_tPvRmT1_PNSt15iterator_traitsISY_E10value_typeET2_T3_PNSZ_IS14_E10value_typeET4_jRbjT5_S1A_jjP12ihipStream_tbEUljE_EEESV_SW_SX_S14_S18_S1A_T6_T7_T9_mT8_S1C_bDpT10_ENKUlT_T0_E_clISt17integral_constantIbLb0EES1P_EEDaS1K_S1L_EUlS1K_E_NS1_11comp_targetILNS1_3genE10ELNS1_11target_archE1200ELNS1_3gpuE4ELNS1_3repE0EEENS1_30default_config_static_selectorELNS0_4arch9wavefront6targetE0EEEvSY_
    .private_segment_fixed_size: 0
    .sgpr_count:     28
    .sgpr_spill_count: 0
    .symbol:         _ZN7rocprim17ROCPRIM_400000_NS6detail17trampoline_kernelINS0_13select_configILj256ELj13ELNS0_17block_load_methodE3ELS4_3ELS4_3ELNS0_20block_scan_algorithmE0ELj4294967295EEENS1_25partition_config_selectorILNS1_17partition_subalgoE3EjNS0_10empty_typeEbEEZZNS1_14partition_implILS8_3ELb0ES6_jNS0_17counting_iteratorIjlEEPS9_SE_NS0_5tupleIJPjSE_EEENSF_IJSE_SE_EEES9_SG_JZNS1_25segmented_radix_sort_implINS0_14default_configELb0EPKfPfPKlPlN2at6native12_GLOBAL__N_18offset_tEEE10hipError_tPvRmT1_PNSt15iterator_traitsISY_E10value_typeET2_T3_PNSZ_IS14_E10value_typeET4_jRbjT5_S1A_jjP12ihipStream_tbEUljE_EEESV_SW_SX_S14_S18_S1A_T6_T7_T9_mT8_S1C_bDpT10_ENKUlT_T0_E_clISt17integral_constantIbLb0EES1P_EEDaS1K_S1L_EUlS1K_E_NS1_11comp_targetILNS1_3genE10ELNS1_11target_archE1200ELNS1_3gpuE4ELNS1_3repE0EEENS1_30default_config_static_selectorELNS0_4arch9wavefront6targetE0EEEvSY_.kd
    .uniform_work_group_size: 1
    .uses_dynamic_stack: false
    .vgpr_count:     69
    .vgpr_spill_count: 0
    .wavefront_size: 32
    .workgroup_processor_mode: 1
  - .args:
      - .offset:         0
        .size:           144
        .value_kind:     by_value
    .group_segment_fixed_size: 0
    .kernarg_segment_align: 8
    .kernarg_segment_size: 144
    .language:       OpenCL C
    .language_version:
      - 2
      - 0
    .max_flat_workgroup_size: 256
    .name:           _ZN7rocprim17ROCPRIM_400000_NS6detail17trampoline_kernelINS0_13select_configILj256ELj13ELNS0_17block_load_methodE3ELS4_3ELS4_3ELNS0_20block_scan_algorithmE0ELj4294967295EEENS1_25partition_config_selectorILNS1_17partition_subalgoE3EjNS0_10empty_typeEbEEZZNS1_14partition_implILS8_3ELb0ES6_jNS0_17counting_iteratorIjlEEPS9_SE_NS0_5tupleIJPjSE_EEENSF_IJSE_SE_EEES9_SG_JZNS1_25segmented_radix_sort_implINS0_14default_configELb0EPKfPfPKlPlN2at6native12_GLOBAL__N_18offset_tEEE10hipError_tPvRmT1_PNSt15iterator_traitsISY_E10value_typeET2_T3_PNSZ_IS14_E10value_typeET4_jRbjT5_S1A_jjP12ihipStream_tbEUljE_EEESV_SW_SX_S14_S18_S1A_T6_T7_T9_mT8_S1C_bDpT10_ENKUlT_T0_E_clISt17integral_constantIbLb0EES1P_EEDaS1K_S1L_EUlS1K_E_NS1_11comp_targetILNS1_3genE9ELNS1_11target_archE1100ELNS1_3gpuE3ELNS1_3repE0EEENS1_30default_config_static_selectorELNS0_4arch9wavefront6targetE0EEEvSY_
    .private_segment_fixed_size: 0
    .sgpr_count:     0
    .sgpr_spill_count: 0
    .symbol:         _ZN7rocprim17ROCPRIM_400000_NS6detail17trampoline_kernelINS0_13select_configILj256ELj13ELNS0_17block_load_methodE3ELS4_3ELS4_3ELNS0_20block_scan_algorithmE0ELj4294967295EEENS1_25partition_config_selectorILNS1_17partition_subalgoE3EjNS0_10empty_typeEbEEZZNS1_14partition_implILS8_3ELb0ES6_jNS0_17counting_iteratorIjlEEPS9_SE_NS0_5tupleIJPjSE_EEENSF_IJSE_SE_EEES9_SG_JZNS1_25segmented_radix_sort_implINS0_14default_configELb0EPKfPfPKlPlN2at6native12_GLOBAL__N_18offset_tEEE10hipError_tPvRmT1_PNSt15iterator_traitsISY_E10value_typeET2_T3_PNSZ_IS14_E10value_typeET4_jRbjT5_S1A_jjP12ihipStream_tbEUljE_EEESV_SW_SX_S14_S18_S1A_T6_T7_T9_mT8_S1C_bDpT10_ENKUlT_T0_E_clISt17integral_constantIbLb0EES1P_EEDaS1K_S1L_EUlS1K_E_NS1_11comp_targetILNS1_3genE9ELNS1_11target_archE1100ELNS1_3gpuE3ELNS1_3repE0EEENS1_30default_config_static_selectorELNS0_4arch9wavefront6targetE0EEEvSY_.kd
    .uniform_work_group_size: 1
    .uses_dynamic_stack: false
    .vgpr_count:     0
    .vgpr_spill_count: 0
    .wavefront_size: 32
    .workgroup_processor_mode: 1
  - .args:
      - .offset:         0
        .size:           144
        .value_kind:     by_value
    .group_segment_fixed_size: 0
    .kernarg_segment_align: 8
    .kernarg_segment_size: 144
    .language:       OpenCL C
    .language_version:
      - 2
      - 0
    .max_flat_workgroup_size: 256
    .name:           _ZN7rocprim17ROCPRIM_400000_NS6detail17trampoline_kernelINS0_13select_configILj256ELj13ELNS0_17block_load_methodE3ELS4_3ELS4_3ELNS0_20block_scan_algorithmE0ELj4294967295EEENS1_25partition_config_selectorILNS1_17partition_subalgoE3EjNS0_10empty_typeEbEEZZNS1_14partition_implILS8_3ELb0ES6_jNS0_17counting_iteratorIjlEEPS9_SE_NS0_5tupleIJPjSE_EEENSF_IJSE_SE_EEES9_SG_JZNS1_25segmented_radix_sort_implINS0_14default_configELb0EPKfPfPKlPlN2at6native12_GLOBAL__N_18offset_tEEE10hipError_tPvRmT1_PNSt15iterator_traitsISY_E10value_typeET2_T3_PNSZ_IS14_E10value_typeET4_jRbjT5_S1A_jjP12ihipStream_tbEUljE_EEESV_SW_SX_S14_S18_S1A_T6_T7_T9_mT8_S1C_bDpT10_ENKUlT_T0_E_clISt17integral_constantIbLb0EES1P_EEDaS1K_S1L_EUlS1K_E_NS1_11comp_targetILNS1_3genE8ELNS1_11target_archE1030ELNS1_3gpuE2ELNS1_3repE0EEENS1_30default_config_static_selectorELNS0_4arch9wavefront6targetE0EEEvSY_
    .private_segment_fixed_size: 0
    .sgpr_count:     0
    .sgpr_spill_count: 0
    .symbol:         _ZN7rocprim17ROCPRIM_400000_NS6detail17trampoline_kernelINS0_13select_configILj256ELj13ELNS0_17block_load_methodE3ELS4_3ELS4_3ELNS0_20block_scan_algorithmE0ELj4294967295EEENS1_25partition_config_selectorILNS1_17partition_subalgoE3EjNS0_10empty_typeEbEEZZNS1_14partition_implILS8_3ELb0ES6_jNS0_17counting_iteratorIjlEEPS9_SE_NS0_5tupleIJPjSE_EEENSF_IJSE_SE_EEES9_SG_JZNS1_25segmented_radix_sort_implINS0_14default_configELb0EPKfPfPKlPlN2at6native12_GLOBAL__N_18offset_tEEE10hipError_tPvRmT1_PNSt15iterator_traitsISY_E10value_typeET2_T3_PNSZ_IS14_E10value_typeET4_jRbjT5_S1A_jjP12ihipStream_tbEUljE_EEESV_SW_SX_S14_S18_S1A_T6_T7_T9_mT8_S1C_bDpT10_ENKUlT_T0_E_clISt17integral_constantIbLb0EES1P_EEDaS1K_S1L_EUlS1K_E_NS1_11comp_targetILNS1_3genE8ELNS1_11target_archE1030ELNS1_3gpuE2ELNS1_3repE0EEENS1_30default_config_static_selectorELNS0_4arch9wavefront6targetE0EEEvSY_.kd
    .uniform_work_group_size: 1
    .uses_dynamic_stack: false
    .vgpr_count:     0
    .vgpr_spill_count: 0
    .wavefront_size: 32
    .workgroup_processor_mode: 1
  - .args:
      - .offset:         0
        .size:           152
        .value_kind:     by_value
    .group_segment_fixed_size: 0
    .kernarg_segment_align: 8
    .kernarg_segment_size: 152
    .language:       OpenCL C
    .language_version:
      - 2
      - 0
    .max_flat_workgroup_size: 256
    .name:           _ZN7rocprim17ROCPRIM_400000_NS6detail17trampoline_kernelINS0_13select_configILj256ELj13ELNS0_17block_load_methodE3ELS4_3ELS4_3ELNS0_20block_scan_algorithmE0ELj4294967295EEENS1_25partition_config_selectorILNS1_17partition_subalgoE3EjNS0_10empty_typeEbEEZZNS1_14partition_implILS8_3ELb0ES6_jNS0_17counting_iteratorIjlEEPS9_SE_NS0_5tupleIJPjSE_EEENSF_IJSE_SE_EEES9_SG_JZNS1_25segmented_radix_sort_implINS0_14default_configELb0EPKfPfPKlPlN2at6native12_GLOBAL__N_18offset_tEEE10hipError_tPvRmT1_PNSt15iterator_traitsISY_E10value_typeET2_T3_PNSZ_IS14_E10value_typeET4_jRbjT5_S1A_jjP12ihipStream_tbEUljE_EEESV_SW_SX_S14_S18_S1A_T6_T7_T9_mT8_S1C_bDpT10_ENKUlT_T0_E_clISt17integral_constantIbLb1EES1P_EEDaS1K_S1L_EUlS1K_E_NS1_11comp_targetILNS1_3genE0ELNS1_11target_archE4294967295ELNS1_3gpuE0ELNS1_3repE0EEENS1_30default_config_static_selectorELNS0_4arch9wavefront6targetE0EEEvSY_
    .private_segment_fixed_size: 0
    .sgpr_count:     0
    .sgpr_spill_count: 0
    .symbol:         _ZN7rocprim17ROCPRIM_400000_NS6detail17trampoline_kernelINS0_13select_configILj256ELj13ELNS0_17block_load_methodE3ELS4_3ELS4_3ELNS0_20block_scan_algorithmE0ELj4294967295EEENS1_25partition_config_selectorILNS1_17partition_subalgoE3EjNS0_10empty_typeEbEEZZNS1_14partition_implILS8_3ELb0ES6_jNS0_17counting_iteratorIjlEEPS9_SE_NS0_5tupleIJPjSE_EEENSF_IJSE_SE_EEES9_SG_JZNS1_25segmented_radix_sort_implINS0_14default_configELb0EPKfPfPKlPlN2at6native12_GLOBAL__N_18offset_tEEE10hipError_tPvRmT1_PNSt15iterator_traitsISY_E10value_typeET2_T3_PNSZ_IS14_E10value_typeET4_jRbjT5_S1A_jjP12ihipStream_tbEUljE_EEESV_SW_SX_S14_S18_S1A_T6_T7_T9_mT8_S1C_bDpT10_ENKUlT_T0_E_clISt17integral_constantIbLb1EES1P_EEDaS1K_S1L_EUlS1K_E_NS1_11comp_targetILNS1_3genE0ELNS1_11target_archE4294967295ELNS1_3gpuE0ELNS1_3repE0EEENS1_30default_config_static_selectorELNS0_4arch9wavefront6targetE0EEEvSY_.kd
    .uniform_work_group_size: 1
    .uses_dynamic_stack: false
    .vgpr_count:     0
    .vgpr_spill_count: 0
    .wavefront_size: 32
    .workgroup_processor_mode: 1
  - .args:
      - .offset:         0
        .size:           152
        .value_kind:     by_value
    .group_segment_fixed_size: 0
    .kernarg_segment_align: 8
    .kernarg_segment_size: 152
    .language:       OpenCL C
    .language_version:
      - 2
      - 0
    .max_flat_workgroup_size: 256
    .name:           _ZN7rocprim17ROCPRIM_400000_NS6detail17trampoline_kernelINS0_13select_configILj256ELj13ELNS0_17block_load_methodE3ELS4_3ELS4_3ELNS0_20block_scan_algorithmE0ELj4294967295EEENS1_25partition_config_selectorILNS1_17partition_subalgoE3EjNS0_10empty_typeEbEEZZNS1_14partition_implILS8_3ELb0ES6_jNS0_17counting_iteratorIjlEEPS9_SE_NS0_5tupleIJPjSE_EEENSF_IJSE_SE_EEES9_SG_JZNS1_25segmented_radix_sort_implINS0_14default_configELb0EPKfPfPKlPlN2at6native12_GLOBAL__N_18offset_tEEE10hipError_tPvRmT1_PNSt15iterator_traitsISY_E10value_typeET2_T3_PNSZ_IS14_E10value_typeET4_jRbjT5_S1A_jjP12ihipStream_tbEUljE_EEESV_SW_SX_S14_S18_S1A_T6_T7_T9_mT8_S1C_bDpT10_ENKUlT_T0_E_clISt17integral_constantIbLb1EES1P_EEDaS1K_S1L_EUlS1K_E_NS1_11comp_targetILNS1_3genE5ELNS1_11target_archE942ELNS1_3gpuE9ELNS1_3repE0EEENS1_30default_config_static_selectorELNS0_4arch9wavefront6targetE0EEEvSY_
    .private_segment_fixed_size: 0
    .sgpr_count:     0
    .sgpr_spill_count: 0
    .symbol:         _ZN7rocprim17ROCPRIM_400000_NS6detail17trampoline_kernelINS0_13select_configILj256ELj13ELNS0_17block_load_methodE3ELS4_3ELS4_3ELNS0_20block_scan_algorithmE0ELj4294967295EEENS1_25partition_config_selectorILNS1_17partition_subalgoE3EjNS0_10empty_typeEbEEZZNS1_14partition_implILS8_3ELb0ES6_jNS0_17counting_iteratorIjlEEPS9_SE_NS0_5tupleIJPjSE_EEENSF_IJSE_SE_EEES9_SG_JZNS1_25segmented_radix_sort_implINS0_14default_configELb0EPKfPfPKlPlN2at6native12_GLOBAL__N_18offset_tEEE10hipError_tPvRmT1_PNSt15iterator_traitsISY_E10value_typeET2_T3_PNSZ_IS14_E10value_typeET4_jRbjT5_S1A_jjP12ihipStream_tbEUljE_EEESV_SW_SX_S14_S18_S1A_T6_T7_T9_mT8_S1C_bDpT10_ENKUlT_T0_E_clISt17integral_constantIbLb1EES1P_EEDaS1K_S1L_EUlS1K_E_NS1_11comp_targetILNS1_3genE5ELNS1_11target_archE942ELNS1_3gpuE9ELNS1_3repE0EEENS1_30default_config_static_selectorELNS0_4arch9wavefront6targetE0EEEvSY_.kd
    .uniform_work_group_size: 1
    .uses_dynamic_stack: false
    .vgpr_count:     0
    .vgpr_spill_count: 0
    .wavefront_size: 32
    .workgroup_processor_mode: 1
  - .args:
      - .offset:         0
        .size:           152
        .value_kind:     by_value
    .group_segment_fixed_size: 0
    .kernarg_segment_align: 8
    .kernarg_segment_size: 152
    .language:       OpenCL C
    .language_version:
      - 2
      - 0
    .max_flat_workgroup_size: 256
    .name:           _ZN7rocprim17ROCPRIM_400000_NS6detail17trampoline_kernelINS0_13select_configILj256ELj13ELNS0_17block_load_methodE3ELS4_3ELS4_3ELNS0_20block_scan_algorithmE0ELj4294967295EEENS1_25partition_config_selectorILNS1_17partition_subalgoE3EjNS0_10empty_typeEbEEZZNS1_14partition_implILS8_3ELb0ES6_jNS0_17counting_iteratorIjlEEPS9_SE_NS0_5tupleIJPjSE_EEENSF_IJSE_SE_EEES9_SG_JZNS1_25segmented_radix_sort_implINS0_14default_configELb0EPKfPfPKlPlN2at6native12_GLOBAL__N_18offset_tEEE10hipError_tPvRmT1_PNSt15iterator_traitsISY_E10value_typeET2_T3_PNSZ_IS14_E10value_typeET4_jRbjT5_S1A_jjP12ihipStream_tbEUljE_EEESV_SW_SX_S14_S18_S1A_T6_T7_T9_mT8_S1C_bDpT10_ENKUlT_T0_E_clISt17integral_constantIbLb1EES1P_EEDaS1K_S1L_EUlS1K_E_NS1_11comp_targetILNS1_3genE4ELNS1_11target_archE910ELNS1_3gpuE8ELNS1_3repE0EEENS1_30default_config_static_selectorELNS0_4arch9wavefront6targetE0EEEvSY_
    .private_segment_fixed_size: 0
    .sgpr_count:     0
    .sgpr_spill_count: 0
    .symbol:         _ZN7rocprim17ROCPRIM_400000_NS6detail17trampoline_kernelINS0_13select_configILj256ELj13ELNS0_17block_load_methodE3ELS4_3ELS4_3ELNS0_20block_scan_algorithmE0ELj4294967295EEENS1_25partition_config_selectorILNS1_17partition_subalgoE3EjNS0_10empty_typeEbEEZZNS1_14partition_implILS8_3ELb0ES6_jNS0_17counting_iteratorIjlEEPS9_SE_NS0_5tupleIJPjSE_EEENSF_IJSE_SE_EEES9_SG_JZNS1_25segmented_radix_sort_implINS0_14default_configELb0EPKfPfPKlPlN2at6native12_GLOBAL__N_18offset_tEEE10hipError_tPvRmT1_PNSt15iterator_traitsISY_E10value_typeET2_T3_PNSZ_IS14_E10value_typeET4_jRbjT5_S1A_jjP12ihipStream_tbEUljE_EEESV_SW_SX_S14_S18_S1A_T6_T7_T9_mT8_S1C_bDpT10_ENKUlT_T0_E_clISt17integral_constantIbLb1EES1P_EEDaS1K_S1L_EUlS1K_E_NS1_11comp_targetILNS1_3genE4ELNS1_11target_archE910ELNS1_3gpuE8ELNS1_3repE0EEENS1_30default_config_static_selectorELNS0_4arch9wavefront6targetE0EEEvSY_.kd
    .uniform_work_group_size: 1
    .uses_dynamic_stack: false
    .vgpr_count:     0
    .vgpr_spill_count: 0
    .wavefront_size: 32
    .workgroup_processor_mode: 1
  - .args:
      - .offset:         0
        .size:           152
        .value_kind:     by_value
    .group_segment_fixed_size: 0
    .kernarg_segment_align: 8
    .kernarg_segment_size: 152
    .language:       OpenCL C
    .language_version:
      - 2
      - 0
    .max_flat_workgroup_size: 256
    .name:           _ZN7rocprim17ROCPRIM_400000_NS6detail17trampoline_kernelINS0_13select_configILj256ELj13ELNS0_17block_load_methodE3ELS4_3ELS4_3ELNS0_20block_scan_algorithmE0ELj4294967295EEENS1_25partition_config_selectorILNS1_17partition_subalgoE3EjNS0_10empty_typeEbEEZZNS1_14partition_implILS8_3ELb0ES6_jNS0_17counting_iteratorIjlEEPS9_SE_NS0_5tupleIJPjSE_EEENSF_IJSE_SE_EEES9_SG_JZNS1_25segmented_radix_sort_implINS0_14default_configELb0EPKfPfPKlPlN2at6native12_GLOBAL__N_18offset_tEEE10hipError_tPvRmT1_PNSt15iterator_traitsISY_E10value_typeET2_T3_PNSZ_IS14_E10value_typeET4_jRbjT5_S1A_jjP12ihipStream_tbEUljE_EEESV_SW_SX_S14_S18_S1A_T6_T7_T9_mT8_S1C_bDpT10_ENKUlT_T0_E_clISt17integral_constantIbLb1EES1P_EEDaS1K_S1L_EUlS1K_E_NS1_11comp_targetILNS1_3genE3ELNS1_11target_archE908ELNS1_3gpuE7ELNS1_3repE0EEENS1_30default_config_static_selectorELNS0_4arch9wavefront6targetE0EEEvSY_
    .private_segment_fixed_size: 0
    .sgpr_count:     0
    .sgpr_spill_count: 0
    .symbol:         _ZN7rocprim17ROCPRIM_400000_NS6detail17trampoline_kernelINS0_13select_configILj256ELj13ELNS0_17block_load_methodE3ELS4_3ELS4_3ELNS0_20block_scan_algorithmE0ELj4294967295EEENS1_25partition_config_selectorILNS1_17partition_subalgoE3EjNS0_10empty_typeEbEEZZNS1_14partition_implILS8_3ELb0ES6_jNS0_17counting_iteratorIjlEEPS9_SE_NS0_5tupleIJPjSE_EEENSF_IJSE_SE_EEES9_SG_JZNS1_25segmented_radix_sort_implINS0_14default_configELb0EPKfPfPKlPlN2at6native12_GLOBAL__N_18offset_tEEE10hipError_tPvRmT1_PNSt15iterator_traitsISY_E10value_typeET2_T3_PNSZ_IS14_E10value_typeET4_jRbjT5_S1A_jjP12ihipStream_tbEUljE_EEESV_SW_SX_S14_S18_S1A_T6_T7_T9_mT8_S1C_bDpT10_ENKUlT_T0_E_clISt17integral_constantIbLb1EES1P_EEDaS1K_S1L_EUlS1K_E_NS1_11comp_targetILNS1_3genE3ELNS1_11target_archE908ELNS1_3gpuE7ELNS1_3repE0EEENS1_30default_config_static_selectorELNS0_4arch9wavefront6targetE0EEEvSY_.kd
    .uniform_work_group_size: 1
    .uses_dynamic_stack: false
    .vgpr_count:     0
    .vgpr_spill_count: 0
    .wavefront_size: 32
    .workgroup_processor_mode: 1
  - .args:
      - .offset:         0
        .size:           152
        .value_kind:     by_value
    .group_segment_fixed_size: 0
    .kernarg_segment_align: 8
    .kernarg_segment_size: 152
    .language:       OpenCL C
    .language_version:
      - 2
      - 0
    .max_flat_workgroup_size: 256
    .name:           _ZN7rocprim17ROCPRIM_400000_NS6detail17trampoline_kernelINS0_13select_configILj256ELj13ELNS0_17block_load_methodE3ELS4_3ELS4_3ELNS0_20block_scan_algorithmE0ELj4294967295EEENS1_25partition_config_selectorILNS1_17partition_subalgoE3EjNS0_10empty_typeEbEEZZNS1_14partition_implILS8_3ELb0ES6_jNS0_17counting_iteratorIjlEEPS9_SE_NS0_5tupleIJPjSE_EEENSF_IJSE_SE_EEES9_SG_JZNS1_25segmented_radix_sort_implINS0_14default_configELb0EPKfPfPKlPlN2at6native12_GLOBAL__N_18offset_tEEE10hipError_tPvRmT1_PNSt15iterator_traitsISY_E10value_typeET2_T3_PNSZ_IS14_E10value_typeET4_jRbjT5_S1A_jjP12ihipStream_tbEUljE_EEESV_SW_SX_S14_S18_S1A_T6_T7_T9_mT8_S1C_bDpT10_ENKUlT_T0_E_clISt17integral_constantIbLb1EES1P_EEDaS1K_S1L_EUlS1K_E_NS1_11comp_targetILNS1_3genE2ELNS1_11target_archE906ELNS1_3gpuE6ELNS1_3repE0EEENS1_30default_config_static_selectorELNS0_4arch9wavefront6targetE0EEEvSY_
    .private_segment_fixed_size: 0
    .sgpr_count:     0
    .sgpr_spill_count: 0
    .symbol:         _ZN7rocprim17ROCPRIM_400000_NS6detail17trampoline_kernelINS0_13select_configILj256ELj13ELNS0_17block_load_methodE3ELS4_3ELS4_3ELNS0_20block_scan_algorithmE0ELj4294967295EEENS1_25partition_config_selectorILNS1_17partition_subalgoE3EjNS0_10empty_typeEbEEZZNS1_14partition_implILS8_3ELb0ES6_jNS0_17counting_iteratorIjlEEPS9_SE_NS0_5tupleIJPjSE_EEENSF_IJSE_SE_EEES9_SG_JZNS1_25segmented_radix_sort_implINS0_14default_configELb0EPKfPfPKlPlN2at6native12_GLOBAL__N_18offset_tEEE10hipError_tPvRmT1_PNSt15iterator_traitsISY_E10value_typeET2_T3_PNSZ_IS14_E10value_typeET4_jRbjT5_S1A_jjP12ihipStream_tbEUljE_EEESV_SW_SX_S14_S18_S1A_T6_T7_T9_mT8_S1C_bDpT10_ENKUlT_T0_E_clISt17integral_constantIbLb1EES1P_EEDaS1K_S1L_EUlS1K_E_NS1_11comp_targetILNS1_3genE2ELNS1_11target_archE906ELNS1_3gpuE6ELNS1_3repE0EEENS1_30default_config_static_selectorELNS0_4arch9wavefront6targetE0EEEvSY_.kd
    .uniform_work_group_size: 1
    .uses_dynamic_stack: false
    .vgpr_count:     0
    .vgpr_spill_count: 0
    .wavefront_size: 32
    .workgroup_processor_mode: 1
  - .args:
      - .offset:         0
        .size:           152
        .value_kind:     by_value
    .group_segment_fixed_size: 0
    .kernarg_segment_align: 8
    .kernarg_segment_size: 152
    .language:       OpenCL C
    .language_version:
      - 2
      - 0
    .max_flat_workgroup_size: 256
    .name:           _ZN7rocprim17ROCPRIM_400000_NS6detail17trampoline_kernelINS0_13select_configILj256ELj13ELNS0_17block_load_methodE3ELS4_3ELS4_3ELNS0_20block_scan_algorithmE0ELj4294967295EEENS1_25partition_config_selectorILNS1_17partition_subalgoE3EjNS0_10empty_typeEbEEZZNS1_14partition_implILS8_3ELb0ES6_jNS0_17counting_iteratorIjlEEPS9_SE_NS0_5tupleIJPjSE_EEENSF_IJSE_SE_EEES9_SG_JZNS1_25segmented_radix_sort_implINS0_14default_configELb0EPKfPfPKlPlN2at6native12_GLOBAL__N_18offset_tEEE10hipError_tPvRmT1_PNSt15iterator_traitsISY_E10value_typeET2_T3_PNSZ_IS14_E10value_typeET4_jRbjT5_S1A_jjP12ihipStream_tbEUljE_EEESV_SW_SX_S14_S18_S1A_T6_T7_T9_mT8_S1C_bDpT10_ENKUlT_T0_E_clISt17integral_constantIbLb1EES1P_EEDaS1K_S1L_EUlS1K_E_NS1_11comp_targetILNS1_3genE10ELNS1_11target_archE1200ELNS1_3gpuE4ELNS1_3repE0EEENS1_30default_config_static_selectorELNS0_4arch9wavefront6targetE0EEEvSY_
    .private_segment_fixed_size: 0
    .sgpr_count:     0
    .sgpr_spill_count: 0
    .symbol:         _ZN7rocprim17ROCPRIM_400000_NS6detail17trampoline_kernelINS0_13select_configILj256ELj13ELNS0_17block_load_methodE3ELS4_3ELS4_3ELNS0_20block_scan_algorithmE0ELj4294967295EEENS1_25partition_config_selectorILNS1_17partition_subalgoE3EjNS0_10empty_typeEbEEZZNS1_14partition_implILS8_3ELb0ES6_jNS0_17counting_iteratorIjlEEPS9_SE_NS0_5tupleIJPjSE_EEENSF_IJSE_SE_EEES9_SG_JZNS1_25segmented_radix_sort_implINS0_14default_configELb0EPKfPfPKlPlN2at6native12_GLOBAL__N_18offset_tEEE10hipError_tPvRmT1_PNSt15iterator_traitsISY_E10value_typeET2_T3_PNSZ_IS14_E10value_typeET4_jRbjT5_S1A_jjP12ihipStream_tbEUljE_EEESV_SW_SX_S14_S18_S1A_T6_T7_T9_mT8_S1C_bDpT10_ENKUlT_T0_E_clISt17integral_constantIbLb1EES1P_EEDaS1K_S1L_EUlS1K_E_NS1_11comp_targetILNS1_3genE10ELNS1_11target_archE1200ELNS1_3gpuE4ELNS1_3repE0EEENS1_30default_config_static_selectorELNS0_4arch9wavefront6targetE0EEEvSY_.kd
    .uniform_work_group_size: 1
    .uses_dynamic_stack: false
    .vgpr_count:     0
    .vgpr_spill_count: 0
    .wavefront_size: 32
    .workgroup_processor_mode: 1
  - .args:
      - .offset:         0
        .size:           152
        .value_kind:     by_value
    .group_segment_fixed_size: 0
    .kernarg_segment_align: 8
    .kernarg_segment_size: 152
    .language:       OpenCL C
    .language_version:
      - 2
      - 0
    .max_flat_workgroup_size: 256
    .name:           _ZN7rocprim17ROCPRIM_400000_NS6detail17trampoline_kernelINS0_13select_configILj256ELj13ELNS0_17block_load_methodE3ELS4_3ELS4_3ELNS0_20block_scan_algorithmE0ELj4294967295EEENS1_25partition_config_selectorILNS1_17partition_subalgoE3EjNS0_10empty_typeEbEEZZNS1_14partition_implILS8_3ELb0ES6_jNS0_17counting_iteratorIjlEEPS9_SE_NS0_5tupleIJPjSE_EEENSF_IJSE_SE_EEES9_SG_JZNS1_25segmented_radix_sort_implINS0_14default_configELb0EPKfPfPKlPlN2at6native12_GLOBAL__N_18offset_tEEE10hipError_tPvRmT1_PNSt15iterator_traitsISY_E10value_typeET2_T3_PNSZ_IS14_E10value_typeET4_jRbjT5_S1A_jjP12ihipStream_tbEUljE_EEESV_SW_SX_S14_S18_S1A_T6_T7_T9_mT8_S1C_bDpT10_ENKUlT_T0_E_clISt17integral_constantIbLb1EES1P_EEDaS1K_S1L_EUlS1K_E_NS1_11comp_targetILNS1_3genE9ELNS1_11target_archE1100ELNS1_3gpuE3ELNS1_3repE0EEENS1_30default_config_static_selectorELNS0_4arch9wavefront6targetE0EEEvSY_
    .private_segment_fixed_size: 0
    .sgpr_count:     0
    .sgpr_spill_count: 0
    .symbol:         _ZN7rocprim17ROCPRIM_400000_NS6detail17trampoline_kernelINS0_13select_configILj256ELj13ELNS0_17block_load_methodE3ELS4_3ELS4_3ELNS0_20block_scan_algorithmE0ELj4294967295EEENS1_25partition_config_selectorILNS1_17partition_subalgoE3EjNS0_10empty_typeEbEEZZNS1_14partition_implILS8_3ELb0ES6_jNS0_17counting_iteratorIjlEEPS9_SE_NS0_5tupleIJPjSE_EEENSF_IJSE_SE_EEES9_SG_JZNS1_25segmented_radix_sort_implINS0_14default_configELb0EPKfPfPKlPlN2at6native12_GLOBAL__N_18offset_tEEE10hipError_tPvRmT1_PNSt15iterator_traitsISY_E10value_typeET2_T3_PNSZ_IS14_E10value_typeET4_jRbjT5_S1A_jjP12ihipStream_tbEUljE_EEESV_SW_SX_S14_S18_S1A_T6_T7_T9_mT8_S1C_bDpT10_ENKUlT_T0_E_clISt17integral_constantIbLb1EES1P_EEDaS1K_S1L_EUlS1K_E_NS1_11comp_targetILNS1_3genE9ELNS1_11target_archE1100ELNS1_3gpuE3ELNS1_3repE0EEENS1_30default_config_static_selectorELNS0_4arch9wavefront6targetE0EEEvSY_.kd
    .uniform_work_group_size: 1
    .uses_dynamic_stack: false
    .vgpr_count:     0
    .vgpr_spill_count: 0
    .wavefront_size: 32
    .workgroup_processor_mode: 1
  - .args:
      - .offset:         0
        .size:           152
        .value_kind:     by_value
    .group_segment_fixed_size: 0
    .kernarg_segment_align: 8
    .kernarg_segment_size: 152
    .language:       OpenCL C
    .language_version:
      - 2
      - 0
    .max_flat_workgroup_size: 256
    .name:           _ZN7rocprim17ROCPRIM_400000_NS6detail17trampoline_kernelINS0_13select_configILj256ELj13ELNS0_17block_load_methodE3ELS4_3ELS4_3ELNS0_20block_scan_algorithmE0ELj4294967295EEENS1_25partition_config_selectorILNS1_17partition_subalgoE3EjNS0_10empty_typeEbEEZZNS1_14partition_implILS8_3ELb0ES6_jNS0_17counting_iteratorIjlEEPS9_SE_NS0_5tupleIJPjSE_EEENSF_IJSE_SE_EEES9_SG_JZNS1_25segmented_radix_sort_implINS0_14default_configELb0EPKfPfPKlPlN2at6native12_GLOBAL__N_18offset_tEEE10hipError_tPvRmT1_PNSt15iterator_traitsISY_E10value_typeET2_T3_PNSZ_IS14_E10value_typeET4_jRbjT5_S1A_jjP12ihipStream_tbEUljE_EEESV_SW_SX_S14_S18_S1A_T6_T7_T9_mT8_S1C_bDpT10_ENKUlT_T0_E_clISt17integral_constantIbLb1EES1P_EEDaS1K_S1L_EUlS1K_E_NS1_11comp_targetILNS1_3genE8ELNS1_11target_archE1030ELNS1_3gpuE2ELNS1_3repE0EEENS1_30default_config_static_selectorELNS0_4arch9wavefront6targetE0EEEvSY_
    .private_segment_fixed_size: 0
    .sgpr_count:     0
    .sgpr_spill_count: 0
    .symbol:         _ZN7rocprim17ROCPRIM_400000_NS6detail17trampoline_kernelINS0_13select_configILj256ELj13ELNS0_17block_load_methodE3ELS4_3ELS4_3ELNS0_20block_scan_algorithmE0ELj4294967295EEENS1_25partition_config_selectorILNS1_17partition_subalgoE3EjNS0_10empty_typeEbEEZZNS1_14partition_implILS8_3ELb0ES6_jNS0_17counting_iteratorIjlEEPS9_SE_NS0_5tupleIJPjSE_EEENSF_IJSE_SE_EEES9_SG_JZNS1_25segmented_radix_sort_implINS0_14default_configELb0EPKfPfPKlPlN2at6native12_GLOBAL__N_18offset_tEEE10hipError_tPvRmT1_PNSt15iterator_traitsISY_E10value_typeET2_T3_PNSZ_IS14_E10value_typeET4_jRbjT5_S1A_jjP12ihipStream_tbEUljE_EEESV_SW_SX_S14_S18_S1A_T6_T7_T9_mT8_S1C_bDpT10_ENKUlT_T0_E_clISt17integral_constantIbLb1EES1P_EEDaS1K_S1L_EUlS1K_E_NS1_11comp_targetILNS1_3genE8ELNS1_11target_archE1030ELNS1_3gpuE2ELNS1_3repE0EEENS1_30default_config_static_selectorELNS0_4arch9wavefront6targetE0EEEvSY_.kd
    .uniform_work_group_size: 1
    .uses_dynamic_stack: false
    .vgpr_count:     0
    .vgpr_spill_count: 0
    .wavefront_size: 32
    .workgroup_processor_mode: 1
  - .args:
      - .offset:         0
        .size:           144
        .value_kind:     by_value
    .group_segment_fixed_size: 0
    .kernarg_segment_align: 8
    .kernarg_segment_size: 144
    .language:       OpenCL C
    .language_version:
      - 2
      - 0
    .max_flat_workgroup_size: 256
    .name:           _ZN7rocprim17ROCPRIM_400000_NS6detail17trampoline_kernelINS0_13select_configILj256ELj13ELNS0_17block_load_methodE3ELS4_3ELS4_3ELNS0_20block_scan_algorithmE0ELj4294967295EEENS1_25partition_config_selectorILNS1_17partition_subalgoE3EjNS0_10empty_typeEbEEZZNS1_14partition_implILS8_3ELb0ES6_jNS0_17counting_iteratorIjlEEPS9_SE_NS0_5tupleIJPjSE_EEENSF_IJSE_SE_EEES9_SG_JZNS1_25segmented_radix_sort_implINS0_14default_configELb0EPKfPfPKlPlN2at6native12_GLOBAL__N_18offset_tEEE10hipError_tPvRmT1_PNSt15iterator_traitsISY_E10value_typeET2_T3_PNSZ_IS14_E10value_typeET4_jRbjT5_S1A_jjP12ihipStream_tbEUljE_EEESV_SW_SX_S14_S18_S1A_T6_T7_T9_mT8_S1C_bDpT10_ENKUlT_T0_E_clISt17integral_constantIbLb1EES1O_IbLb0EEEEDaS1K_S1L_EUlS1K_E_NS1_11comp_targetILNS1_3genE0ELNS1_11target_archE4294967295ELNS1_3gpuE0ELNS1_3repE0EEENS1_30default_config_static_selectorELNS0_4arch9wavefront6targetE0EEEvSY_
    .private_segment_fixed_size: 0
    .sgpr_count:     0
    .sgpr_spill_count: 0
    .symbol:         _ZN7rocprim17ROCPRIM_400000_NS6detail17trampoline_kernelINS0_13select_configILj256ELj13ELNS0_17block_load_methodE3ELS4_3ELS4_3ELNS0_20block_scan_algorithmE0ELj4294967295EEENS1_25partition_config_selectorILNS1_17partition_subalgoE3EjNS0_10empty_typeEbEEZZNS1_14partition_implILS8_3ELb0ES6_jNS0_17counting_iteratorIjlEEPS9_SE_NS0_5tupleIJPjSE_EEENSF_IJSE_SE_EEES9_SG_JZNS1_25segmented_radix_sort_implINS0_14default_configELb0EPKfPfPKlPlN2at6native12_GLOBAL__N_18offset_tEEE10hipError_tPvRmT1_PNSt15iterator_traitsISY_E10value_typeET2_T3_PNSZ_IS14_E10value_typeET4_jRbjT5_S1A_jjP12ihipStream_tbEUljE_EEESV_SW_SX_S14_S18_S1A_T6_T7_T9_mT8_S1C_bDpT10_ENKUlT_T0_E_clISt17integral_constantIbLb1EES1O_IbLb0EEEEDaS1K_S1L_EUlS1K_E_NS1_11comp_targetILNS1_3genE0ELNS1_11target_archE4294967295ELNS1_3gpuE0ELNS1_3repE0EEENS1_30default_config_static_selectorELNS0_4arch9wavefront6targetE0EEEvSY_.kd
    .uniform_work_group_size: 1
    .uses_dynamic_stack: false
    .vgpr_count:     0
    .vgpr_spill_count: 0
    .wavefront_size: 32
    .workgroup_processor_mode: 1
  - .args:
      - .offset:         0
        .size:           144
        .value_kind:     by_value
    .group_segment_fixed_size: 0
    .kernarg_segment_align: 8
    .kernarg_segment_size: 144
    .language:       OpenCL C
    .language_version:
      - 2
      - 0
    .max_flat_workgroup_size: 256
    .name:           _ZN7rocprim17ROCPRIM_400000_NS6detail17trampoline_kernelINS0_13select_configILj256ELj13ELNS0_17block_load_methodE3ELS4_3ELS4_3ELNS0_20block_scan_algorithmE0ELj4294967295EEENS1_25partition_config_selectorILNS1_17partition_subalgoE3EjNS0_10empty_typeEbEEZZNS1_14partition_implILS8_3ELb0ES6_jNS0_17counting_iteratorIjlEEPS9_SE_NS0_5tupleIJPjSE_EEENSF_IJSE_SE_EEES9_SG_JZNS1_25segmented_radix_sort_implINS0_14default_configELb0EPKfPfPKlPlN2at6native12_GLOBAL__N_18offset_tEEE10hipError_tPvRmT1_PNSt15iterator_traitsISY_E10value_typeET2_T3_PNSZ_IS14_E10value_typeET4_jRbjT5_S1A_jjP12ihipStream_tbEUljE_EEESV_SW_SX_S14_S18_S1A_T6_T7_T9_mT8_S1C_bDpT10_ENKUlT_T0_E_clISt17integral_constantIbLb1EES1O_IbLb0EEEEDaS1K_S1L_EUlS1K_E_NS1_11comp_targetILNS1_3genE5ELNS1_11target_archE942ELNS1_3gpuE9ELNS1_3repE0EEENS1_30default_config_static_selectorELNS0_4arch9wavefront6targetE0EEEvSY_
    .private_segment_fixed_size: 0
    .sgpr_count:     0
    .sgpr_spill_count: 0
    .symbol:         _ZN7rocprim17ROCPRIM_400000_NS6detail17trampoline_kernelINS0_13select_configILj256ELj13ELNS0_17block_load_methodE3ELS4_3ELS4_3ELNS0_20block_scan_algorithmE0ELj4294967295EEENS1_25partition_config_selectorILNS1_17partition_subalgoE3EjNS0_10empty_typeEbEEZZNS1_14partition_implILS8_3ELb0ES6_jNS0_17counting_iteratorIjlEEPS9_SE_NS0_5tupleIJPjSE_EEENSF_IJSE_SE_EEES9_SG_JZNS1_25segmented_radix_sort_implINS0_14default_configELb0EPKfPfPKlPlN2at6native12_GLOBAL__N_18offset_tEEE10hipError_tPvRmT1_PNSt15iterator_traitsISY_E10value_typeET2_T3_PNSZ_IS14_E10value_typeET4_jRbjT5_S1A_jjP12ihipStream_tbEUljE_EEESV_SW_SX_S14_S18_S1A_T6_T7_T9_mT8_S1C_bDpT10_ENKUlT_T0_E_clISt17integral_constantIbLb1EES1O_IbLb0EEEEDaS1K_S1L_EUlS1K_E_NS1_11comp_targetILNS1_3genE5ELNS1_11target_archE942ELNS1_3gpuE9ELNS1_3repE0EEENS1_30default_config_static_selectorELNS0_4arch9wavefront6targetE0EEEvSY_.kd
    .uniform_work_group_size: 1
    .uses_dynamic_stack: false
    .vgpr_count:     0
    .vgpr_spill_count: 0
    .wavefront_size: 32
    .workgroup_processor_mode: 1
  - .args:
      - .offset:         0
        .size:           144
        .value_kind:     by_value
    .group_segment_fixed_size: 0
    .kernarg_segment_align: 8
    .kernarg_segment_size: 144
    .language:       OpenCL C
    .language_version:
      - 2
      - 0
    .max_flat_workgroup_size: 256
    .name:           _ZN7rocprim17ROCPRIM_400000_NS6detail17trampoline_kernelINS0_13select_configILj256ELj13ELNS0_17block_load_methodE3ELS4_3ELS4_3ELNS0_20block_scan_algorithmE0ELj4294967295EEENS1_25partition_config_selectorILNS1_17partition_subalgoE3EjNS0_10empty_typeEbEEZZNS1_14partition_implILS8_3ELb0ES6_jNS0_17counting_iteratorIjlEEPS9_SE_NS0_5tupleIJPjSE_EEENSF_IJSE_SE_EEES9_SG_JZNS1_25segmented_radix_sort_implINS0_14default_configELb0EPKfPfPKlPlN2at6native12_GLOBAL__N_18offset_tEEE10hipError_tPvRmT1_PNSt15iterator_traitsISY_E10value_typeET2_T3_PNSZ_IS14_E10value_typeET4_jRbjT5_S1A_jjP12ihipStream_tbEUljE_EEESV_SW_SX_S14_S18_S1A_T6_T7_T9_mT8_S1C_bDpT10_ENKUlT_T0_E_clISt17integral_constantIbLb1EES1O_IbLb0EEEEDaS1K_S1L_EUlS1K_E_NS1_11comp_targetILNS1_3genE4ELNS1_11target_archE910ELNS1_3gpuE8ELNS1_3repE0EEENS1_30default_config_static_selectorELNS0_4arch9wavefront6targetE0EEEvSY_
    .private_segment_fixed_size: 0
    .sgpr_count:     0
    .sgpr_spill_count: 0
    .symbol:         _ZN7rocprim17ROCPRIM_400000_NS6detail17trampoline_kernelINS0_13select_configILj256ELj13ELNS0_17block_load_methodE3ELS4_3ELS4_3ELNS0_20block_scan_algorithmE0ELj4294967295EEENS1_25partition_config_selectorILNS1_17partition_subalgoE3EjNS0_10empty_typeEbEEZZNS1_14partition_implILS8_3ELb0ES6_jNS0_17counting_iteratorIjlEEPS9_SE_NS0_5tupleIJPjSE_EEENSF_IJSE_SE_EEES9_SG_JZNS1_25segmented_radix_sort_implINS0_14default_configELb0EPKfPfPKlPlN2at6native12_GLOBAL__N_18offset_tEEE10hipError_tPvRmT1_PNSt15iterator_traitsISY_E10value_typeET2_T3_PNSZ_IS14_E10value_typeET4_jRbjT5_S1A_jjP12ihipStream_tbEUljE_EEESV_SW_SX_S14_S18_S1A_T6_T7_T9_mT8_S1C_bDpT10_ENKUlT_T0_E_clISt17integral_constantIbLb1EES1O_IbLb0EEEEDaS1K_S1L_EUlS1K_E_NS1_11comp_targetILNS1_3genE4ELNS1_11target_archE910ELNS1_3gpuE8ELNS1_3repE0EEENS1_30default_config_static_selectorELNS0_4arch9wavefront6targetE0EEEvSY_.kd
    .uniform_work_group_size: 1
    .uses_dynamic_stack: false
    .vgpr_count:     0
    .vgpr_spill_count: 0
    .wavefront_size: 32
    .workgroup_processor_mode: 1
  - .args:
      - .offset:         0
        .size:           144
        .value_kind:     by_value
    .group_segment_fixed_size: 0
    .kernarg_segment_align: 8
    .kernarg_segment_size: 144
    .language:       OpenCL C
    .language_version:
      - 2
      - 0
    .max_flat_workgroup_size: 256
    .name:           _ZN7rocprim17ROCPRIM_400000_NS6detail17trampoline_kernelINS0_13select_configILj256ELj13ELNS0_17block_load_methodE3ELS4_3ELS4_3ELNS0_20block_scan_algorithmE0ELj4294967295EEENS1_25partition_config_selectorILNS1_17partition_subalgoE3EjNS0_10empty_typeEbEEZZNS1_14partition_implILS8_3ELb0ES6_jNS0_17counting_iteratorIjlEEPS9_SE_NS0_5tupleIJPjSE_EEENSF_IJSE_SE_EEES9_SG_JZNS1_25segmented_radix_sort_implINS0_14default_configELb0EPKfPfPKlPlN2at6native12_GLOBAL__N_18offset_tEEE10hipError_tPvRmT1_PNSt15iterator_traitsISY_E10value_typeET2_T3_PNSZ_IS14_E10value_typeET4_jRbjT5_S1A_jjP12ihipStream_tbEUljE_EEESV_SW_SX_S14_S18_S1A_T6_T7_T9_mT8_S1C_bDpT10_ENKUlT_T0_E_clISt17integral_constantIbLb1EES1O_IbLb0EEEEDaS1K_S1L_EUlS1K_E_NS1_11comp_targetILNS1_3genE3ELNS1_11target_archE908ELNS1_3gpuE7ELNS1_3repE0EEENS1_30default_config_static_selectorELNS0_4arch9wavefront6targetE0EEEvSY_
    .private_segment_fixed_size: 0
    .sgpr_count:     0
    .sgpr_spill_count: 0
    .symbol:         _ZN7rocprim17ROCPRIM_400000_NS6detail17trampoline_kernelINS0_13select_configILj256ELj13ELNS0_17block_load_methodE3ELS4_3ELS4_3ELNS0_20block_scan_algorithmE0ELj4294967295EEENS1_25partition_config_selectorILNS1_17partition_subalgoE3EjNS0_10empty_typeEbEEZZNS1_14partition_implILS8_3ELb0ES6_jNS0_17counting_iteratorIjlEEPS9_SE_NS0_5tupleIJPjSE_EEENSF_IJSE_SE_EEES9_SG_JZNS1_25segmented_radix_sort_implINS0_14default_configELb0EPKfPfPKlPlN2at6native12_GLOBAL__N_18offset_tEEE10hipError_tPvRmT1_PNSt15iterator_traitsISY_E10value_typeET2_T3_PNSZ_IS14_E10value_typeET4_jRbjT5_S1A_jjP12ihipStream_tbEUljE_EEESV_SW_SX_S14_S18_S1A_T6_T7_T9_mT8_S1C_bDpT10_ENKUlT_T0_E_clISt17integral_constantIbLb1EES1O_IbLb0EEEEDaS1K_S1L_EUlS1K_E_NS1_11comp_targetILNS1_3genE3ELNS1_11target_archE908ELNS1_3gpuE7ELNS1_3repE0EEENS1_30default_config_static_selectorELNS0_4arch9wavefront6targetE0EEEvSY_.kd
    .uniform_work_group_size: 1
    .uses_dynamic_stack: false
    .vgpr_count:     0
    .vgpr_spill_count: 0
    .wavefront_size: 32
    .workgroup_processor_mode: 1
  - .args:
      - .offset:         0
        .size:           144
        .value_kind:     by_value
    .group_segment_fixed_size: 0
    .kernarg_segment_align: 8
    .kernarg_segment_size: 144
    .language:       OpenCL C
    .language_version:
      - 2
      - 0
    .max_flat_workgroup_size: 256
    .name:           _ZN7rocprim17ROCPRIM_400000_NS6detail17trampoline_kernelINS0_13select_configILj256ELj13ELNS0_17block_load_methodE3ELS4_3ELS4_3ELNS0_20block_scan_algorithmE0ELj4294967295EEENS1_25partition_config_selectorILNS1_17partition_subalgoE3EjNS0_10empty_typeEbEEZZNS1_14partition_implILS8_3ELb0ES6_jNS0_17counting_iteratorIjlEEPS9_SE_NS0_5tupleIJPjSE_EEENSF_IJSE_SE_EEES9_SG_JZNS1_25segmented_radix_sort_implINS0_14default_configELb0EPKfPfPKlPlN2at6native12_GLOBAL__N_18offset_tEEE10hipError_tPvRmT1_PNSt15iterator_traitsISY_E10value_typeET2_T3_PNSZ_IS14_E10value_typeET4_jRbjT5_S1A_jjP12ihipStream_tbEUljE_EEESV_SW_SX_S14_S18_S1A_T6_T7_T9_mT8_S1C_bDpT10_ENKUlT_T0_E_clISt17integral_constantIbLb1EES1O_IbLb0EEEEDaS1K_S1L_EUlS1K_E_NS1_11comp_targetILNS1_3genE2ELNS1_11target_archE906ELNS1_3gpuE6ELNS1_3repE0EEENS1_30default_config_static_selectorELNS0_4arch9wavefront6targetE0EEEvSY_
    .private_segment_fixed_size: 0
    .sgpr_count:     0
    .sgpr_spill_count: 0
    .symbol:         _ZN7rocprim17ROCPRIM_400000_NS6detail17trampoline_kernelINS0_13select_configILj256ELj13ELNS0_17block_load_methodE3ELS4_3ELS4_3ELNS0_20block_scan_algorithmE0ELj4294967295EEENS1_25partition_config_selectorILNS1_17partition_subalgoE3EjNS0_10empty_typeEbEEZZNS1_14partition_implILS8_3ELb0ES6_jNS0_17counting_iteratorIjlEEPS9_SE_NS0_5tupleIJPjSE_EEENSF_IJSE_SE_EEES9_SG_JZNS1_25segmented_radix_sort_implINS0_14default_configELb0EPKfPfPKlPlN2at6native12_GLOBAL__N_18offset_tEEE10hipError_tPvRmT1_PNSt15iterator_traitsISY_E10value_typeET2_T3_PNSZ_IS14_E10value_typeET4_jRbjT5_S1A_jjP12ihipStream_tbEUljE_EEESV_SW_SX_S14_S18_S1A_T6_T7_T9_mT8_S1C_bDpT10_ENKUlT_T0_E_clISt17integral_constantIbLb1EES1O_IbLb0EEEEDaS1K_S1L_EUlS1K_E_NS1_11comp_targetILNS1_3genE2ELNS1_11target_archE906ELNS1_3gpuE6ELNS1_3repE0EEENS1_30default_config_static_selectorELNS0_4arch9wavefront6targetE0EEEvSY_.kd
    .uniform_work_group_size: 1
    .uses_dynamic_stack: false
    .vgpr_count:     0
    .vgpr_spill_count: 0
    .wavefront_size: 32
    .workgroup_processor_mode: 1
  - .args:
      - .offset:         0
        .size:           144
        .value_kind:     by_value
    .group_segment_fixed_size: 0
    .kernarg_segment_align: 8
    .kernarg_segment_size: 144
    .language:       OpenCL C
    .language_version:
      - 2
      - 0
    .max_flat_workgroup_size: 256
    .name:           _ZN7rocprim17ROCPRIM_400000_NS6detail17trampoline_kernelINS0_13select_configILj256ELj13ELNS0_17block_load_methodE3ELS4_3ELS4_3ELNS0_20block_scan_algorithmE0ELj4294967295EEENS1_25partition_config_selectorILNS1_17partition_subalgoE3EjNS0_10empty_typeEbEEZZNS1_14partition_implILS8_3ELb0ES6_jNS0_17counting_iteratorIjlEEPS9_SE_NS0_5tupleIJPjSE_EEENSF_IJSE_SE_EEES9_SG_JZNS1_25segmented_radix_sort_implINS0_14default_configELb0EPKfPfPKlPlN2at6native12_GLOBAL__N_18offset_tEEE10hipError_tPvRmT1_PNSt15iterator_traitsISY_E10value_typeET2_T3_PNSZ_IS14_E10value_typeET4_jRbjT5_S1A_jjP12ihipStream_tbEUljE_EEESV_SW_SX_S14_S18_S1A_T6_T7_T9_mT8_S1C_bDpT10_ENKUlT_T0_E_clISt17integral_constantIbLb1EES1O_IbLb0EEEEDaS1K_S1L_EUlS1K_E_NS1_11comp_targetILNS1_3genE10ELNS1_11target_archE1200ELNS1_3gpuE4ELNS1_3repE0EEENS1_30default_config_static_selectorELNS0_4arch9wavefront6targetE0EEEvSY_
    .private_segment_fixed_size: 0
    .sgpr_count:     0
    .sgpr_spill_count: 0
    .symbol:         _ZN7rocprim17ROCPRIM_400000_NS6detail17trampoline_kernelINS0_13select_configILj256ELj13ELNS0_17block_load_methodE3ELS4_3ELS4_3ELNS0_20block_scan_algorithmE0ELj4294967295EEENS1_25partition_config_selectorILNS1_17partition_subalgoE3EjNS0_10empty_typeEbEEZZNS1_14partition_implILS8_3ELb0ES6_jNS0_17counting_iteratorIjlEEPS9_SE_NS0_5tupleIJPjSE_EEENSF_IJSE_SE_EEES9_SG_JZNS1_25segmented_radix_sort_implINS0_14default_configELb0EPKfPfPKlPlN2at6native12_GLOBAL__N_18offset_tEEE10hipError_tPvRmT1_PNSt15iterator_traitsISY_E10value_typeET2_T3_PNSZ_IS14_E10value_typeET4_jRbjT5_S1A_jjP12ihipStream_tbEUljE_EEESV_SW_SX_S14_S18_S1A_T6_T7_T9_mT8_S1C_bDpT10_ENKUlT_T0_E_clISt17integral_constantIbLb1EES1O_IbLb0EEEEDaS1K_S1L_EUlS1K_E_NS1_11comp_targetILNS1_3genE10ELNS1_11target_archE1200ELNS1_3gpuE4ELNS1_3repE0EEENS1_30default_config_static_selectorELNS0_4arch9wavefront6targetE0EEEvSY_.kd
    .uniform_work_group_size: 1
    .uses_dynamic_stack: false
    .vgpr_count:     0
    .vgpr_spill_count: 0
    .wavefront_size: 32
    .workgroup_processor_mode: 1
  - .args:
      - .offset:         0
        .size:           144
        .value_kind:     by_value
    .group_segment_fixed_size: 0
    .kernarg_segment_align: 8
    .kernarg_segment_size: 144
    .language:       OpenCL C
    .language_version:
      - 2
      - 0
    .max_flat_workgroup_size: 256
    .name:           _ZN7rocprim17ROCPRIM_400000_NS6detail17trampoline_kernelINS0_13select_configILj256ELj13ELNS0_17block_load_methodE3ELS4_3ELS4_3ELNS0_20block_scan_algorithmE0ELj4294967295EEENS1_25partition_config_selectorILNS1_17partition_subalgoE3EjNS0_10empty_typeEbEEZZNS1_14partition_implILS8_3ELb0ES6_jNS0_17counting_iteratorIjlEEPS9_SE_NS0_5tupleIJPjSE_EEENSF_IJSE_SE_EEES9_SG_JZNS1_25segmented_radix_sort_implINS0_14default_configELb0EPKfPfPKlPlN2at6native12_GLOBAL__N_18offset_tEEE10hipError_tPvRmT1_PNSt15iterator_traitsISY_E10value_typeET2_T3_PNSZ_IS14_E10value_typeET4_jRbjT5_S1A_jjP12ihipStream_tbEUljE_EEESV_SW_SX_S14_S18_S1A_T6_T7_T9_mT8_S1C_bDpT10_ENKUlT_T0_E_clISt17integral_constantIbLb1EES1O_IbLb0EEEEDaS1K_S1L_EUlS1K_E_NS1_11comp_targetILNS1_3genE9ELNS1_11target_archE1100ELNS1_3gpuE3ELNS1_3repE0EEENS1_30default_config_static_selectorELNS0_4arch9wavefront6targetE0EEEvSY_
    .private_segment_fixed_size: 0
    .sgpr_count:     0
    .sgpr_spill_count: 0
    .symbol:         _ZN7rocprim17ROCPRIM_400000_NS6detail17trampoline_kernelINS0_13select_configILj256ELj13ELNS0_17block_load_methodE3ELS4_3ELS4_3ELNS0_20block_scan_algorithmE0ELj4294967295EEENS1_25partition_config_selectorILNS1_17partition_subalgoE3EjNS0_10empty_typeEbEEZZNS1_14partition_implILS8_3ELb0ES6_jNS0_17counting_iteratorIjlEEPS9_SE_NS0_5tupleIJPjSE_EEENSF_IJSE_SE_EEES9_SG_JZNS1_25segmented_radix_sort_implINS0_14default_configELb0EPKfPfPKlPlN2at6native12_GLOBAL__N_18offset_tEEE10hipError_tPvRmT1_PNSt15iterator_traitsISY_E10value_typeET2_T3_PNSZ_IS14_E10value_typeET4_jRbjT5_S1A_jjP12ihipStream_tbEUljE_EEESV_SW_SX_S14_S18_S1A_T6_T7_T9_mT8_S1C_bDpT10_ENKUlT_T0_E_clISt17integral_constantIbLb1EES1O_IbLb0EEEEDaS1K_S1L_EUlS1K_E_NS1_11comp_targetILNS1_3genE9ELNS1_11target_archE1100ELNS1_3gpuE3ELNS1_3repE0EEENS1_30default_config_static_selectorELNS0_4arch9wavefront6targetE0EEEvSY_.kd
    .uniform_work_group_size: 1
    .uses_dynamic_stack: false
    .vgpr_count:     0
    .vgpr_spill_count: 0
    .wavefront_size: 32
    .workgroup_processor_mode: 1
  - .args:
      - .offset:         0
        .size:           144
        .value_kind:     by_value
    .group_segment_fixed_size: 0
    .kernarg_segment_align: 8
    .kernarg_segment_size: 144
    .language:       OpenCL C
    .language_version:
      - 2
      - 0
    .max_flat_workgroup_size: 256
    .name:           _ZN7rocprim17ROCPRIM_400000_NS6detail17trampoline_kernelINS0_13select_configILj256ELj13ELNS0_17block_load_methodE3ELS4_3ELS4_3ELNS0_20block_scan_algorithmE0ELj4294967295EEENS1_25partition_config_selectorILNS1_17partition_subalgoE3EjNS0_10empty_typeEbEEZZNS1_14partition_implILS8_3ELb0ES6_jNS0_17counting_iteratorIjlEEPS9_SE_NS0_5tupleIJPjSE_EEENSF_IJSE_SE_EEES9_SG_JZNS1_25segmented_radix_sort_implINS0_14default_configELb0EPKfPfPKlPlN2at6native12_GLOBAL__N_18offset_tEEE10hipError_tPvRmT1_PNSt15iterator_traitsISY_E10value_typeET2_T3_PNSZ_IS14_E10value_typeET4_jRbjT5_S1A_jjP12ihipStream_tbEUljE_EEESV_SW_SX_S14_S18_S1A_T6_T7_T9_mT8_S1C_bDpT10_ENKUlT_T0_E_clISt17integral_constantIbLb1EES1O_IbLb0EEEEDaS1K_S1L_EUlS1K_E_NS1_11comp_targetILNS1_3genE8ELNS1_11target_archE1030ELNS1_3gpuE2ELNS1_3repE0EEENS1_30default_config_static_selectorELNS0_4arch9wavefront6targetE0EEEvSY_
    .private_segment_fixed_size: 0
    .sgpr_count:     0
    .sgpr_spill_count: 0
    .symbol:         _ZN7rocprim17ROCPRIM_400000_NS6detail17trampoline_kernelINS0_13select_configILj256ELj13ELNS0_17block_load_methodE3ELS4_3ELS4_3ELNS0_20block_scan_algorithmE0ELj4294967295EEENS1_25partition_config_selectorILNS1_17partition_subalgoE3EjNS0_10empty_typeEbEEZZNS1_14partition_implILS8_3ELb0ES6_jNS0_17counting_iteratorIjlEEPS9_SE_NS0_5tupleIJPjSE_EEENSF_IJSE_SE_EEES9_SG_JZNS1_25segmented_radix_sort_implINS0_14default_configELb0EPKfPfPKlPlN2at6native12_GLOBAL__N_18offset_tEEE10hipError_tPvRmT1_PNSt15iterator_traitsISY_E10value_typeET2_T3_PNSZ_IS14_E10value_typeET4_jRbjT5_S1A_jjP12ihipStream_tbEUljE_EEESV_SW_SX_S14_S18_S1A_T6_T7_T9_mT8_S1C_bDpT10_ENKUlT_T0_E_clISt17integral_constantIbLb1EES1O_IbLb0EEEEDaS1K_S1L_EUlS1K_E_NS1_11comp_targetILNS1_3genE8ELNS1_11target_archE1030ELNS1_3gpuE2ELNS1_3repE0EEENS1_30default_config_static_selectorELNS0_4arch9wavefront6targetE0EEEvSY_.kd
    .uniform_work_group_size: 1
    .uses_dynamic_stack: false
    .vgpr_count:     0
    .vgpr_spill_count: 0
    .wavefront_size: 32
    .workgroup_processor_mode: 1
  - .args:
      - .offset:         0
        .size:           152
        .value_kind:     by_value
    .group_segment_fixed_size: 0
    .kernarg_segment_align: 8
    .kernarg_segment_size: 152
    .language:       OpenCL C
    .language_version:
      - 2
      - 0
    .max_flat_workgroup_size: 256
    .name:           _ZN7rocprim17ROCPRIM_400000_NS6detail17trampoline_kernelINS0_13select_configILj256ELj13ELNS0_17block_load_methodE3ELS4_3ELS4_3ELNS0_20block_scan_algorithmE0ELj4294967295EEENS1_25partition_config_selectorILNS1_17partition_subalgoE3EjNS0_10empty_typeEbEEZZNS1_14partition_implILS8_3ELb0ES6_jNS0_17counting_iteratorIjlEEPS9_SE_NS0_5tupleIJPjSE_EEENSF_IJSE_SE_EEES9_SG_JZNS1_25segmented_radix_sort_implINS0_14default_configELb0EPKfPfPKlPlN2at6native12_GLOBAL__N_18offset_tEEE10hipError_tPvRmT1_PNSt15iterator_traitsISY_E10value_typeET2_T3_PNSZ_IS14_E10value_typeET4_jRbjT5_S1A_jjP12ihipStream_tbEUljE_EEESV_SW_SX_S14_S18_S1A_T6_T7_T9_mT8_S1C_bDpT10_ENKUlT_T0_E_clISt17integral_constantIbLb0EES1O_IbLb1EEEEDaS1K_S1L_EUlS1K_E_NS1_11comp_targetILNS1_3genE0ELNS1_11target_archE4294967295ELNS1_3gpuE0ELNS1_3repE0EEENS1_30default_config_static_selectorELNS0_4arch9wavefront6targetE0EEEvSY_
    .private_segment_fixed_size: 0
    .sgpr_count:     0
    .sgpr_spill_count: 0
    .symbol:         _ZN7rocprim17ROCPRIM_400000_NS6detail17trampoline_kernelINS0_13select_configILj256ELj13ELNS0_17block_load_methodE3ELS4_3ELS4_3ELNS0_20block_scan_algorithmE0ELj4294967295EEENS1_25partition_config_selectorILNS1_17partition_subalgoE3EjNS0_10empty_typeEbEEZZNS1_14partition_implILS8_3ELb0ES6_jNS0_17counting_iteratorIjlEEPS9_SE_NS0_5tupleIJPjSE_EEENSF_IJSE_SE_EEES9_SG_JZNS1_25segmented_radix_sort_implINS0_14default_configELb0EPKfPfPKlPlN2at6native12_GLOBAL__N_18offset_tEEE10hipError_tPvRmT1_PNSt15iterator_traitsISY_E10value_typeET2_T3_PNSZ_IS14_E10value_typeET4_jRbjT5_S1A_jjP12ihipStream_tbEUljE_EEESV_SW_SX_S14_S18_S1A_T6_T7_T9_mT8_S1C_bDpT10_ENKUlT_T0_E_clISt17integral_constantIbLb0EES1O_IbLb1EEEEDaS1K_S1L_EUlS1K_E_NS1_11comp_targetILNS1_3genE0ELNS1_11target_archE4294967295ELNS1_3gpuE0ELNS1_3repE0EEENS1_30default_config_static_selectorELNS0_4arch9wavefront6targetE0EEEvSY_.kd
    .uniform_work_group_size: 1
    .uses_dynamic_stack: false
    .vgpr_count:     0
    .vgpr_spill_count: 0
    .wavefront_size: 32
    .workgroup_processor_mode: 1
  - .args:
      - .offset:         0
        .size:           152
        .value_kind:     by_value
    .group_segment_fixed_size: 0
    .kernarg_segment_align: 8
    .kernarg_segment_size: 152
    .language:       OpenCL C
    .language_version:
      - 2
      - 0
    .max_flat_workgroup_size: 256
    .name:           _ZN7rocprim17ROCPRIM_400000_NS6detail17trampoline_kernelINS0_13select_configILj256ELj13ELNS0_17block_load_methodE3ELS4_3ELS4_3ELNS0_20block_scan_algorithmE0ELj4294967295EEENS1_25partition_config_selectorILNS1_17partition_subalgoE3EjNS0_10empty_typeEbEEZZNS1_14partition_implILS8_3ELb0ES6_jNS0_17counting_iteratorIjlEEPS9_SE_NS0_5tupleIJPjSE_EEENSF_IJSE_SE_EEES9_SG_JZNS1_25segmented_radix_sort_implINS0_14default_configELb0EPKfPfPKlPlN2at6native12_GLOBAL__N_18offset_tEEE10hipError_tPvRmT1_PNSt15iterator_traitsISY_E10value_typeET2_T3_PNSZ_IS14_E10value_typeET4_jRbjT5_S1A_jjP12ihipStream_tbEUljE_EEESV_SW_SX_S14_S18_S1A_T6_T7_T9_mT8_S1C_bDpT10_ENKUlT_T0_E_clISt17integral_constantIbLb0EES1O_IbLb1EEEEDaS1K_S1L_EUlS1K_E_NS1_11comp_targetILNS1_3genE5ELNS1_11target_archE942ELNS1_3gpuE9ELNS1_3repE0EEENS1_30default_config_static_selectorELNS0_4arch9wavefront6targetE0EEEvSY_
    .private_segment_fixed_size: 0
    .sgpr_count:     0
    .sgpr_spill_count: 0
    .symbol:         _ZN7rocprim17ROCPRIM_400000_NS6detail17trampoline_kernelINS0_13select_configILj256ELj13ELNS0_17block_load_methodE3ELS4_3ELS4_3ELNS0_20block_scan_algorithmE0ELj4294967295EEENS1_25partition_config_selectorILNS1_17partition_subalgoE3EjNS0_10empty_typeEbEEZZNS1_14partition_implILS8_3ELb0ES6_jNS0_17counting_iteratorIjlEEPS9_SE_NS0_5tupleIJPjSE_EEENSF_IJSE_SE_EEES9_SG_JZNS1_25segmented_radix_sort_implINS0_14default_configELb0EPKfPfPKlPlN2at6native12_GLOBAL__N_18offset_tEEE10hipError_tPvRmT1_PNSt15iterator_traitsISY_E10value_typeET2_T3_PNSZ_IS14_E10value_typeET4_jRbjT5_S1A_jjP12ihipStream_tbEUljE_EEESV_SW_SX_S14_S18_S1A_T6_T7_T9_mT8_S1C_bDpT10_ENKUlT_T0_E_clISt17integral_constantIbLb0EES1O_IbLb1EEEEDaS1K_S1L_EUlS1K_E_NS1_11comp_targetILNS1_3genE5ELNS1_11target_archE942ELNS1_3gpuE9ELNS1_3repE0EEENS1_30default_config_static_selectorELNS0_4arch9wavefront6targetE0EEEvSY_.kd
    .uniform_work_group_size: 1
    .uses_dynamic_stack: false
    .vgpr_count:     0
    .vgpr_spill_count: 0
    .wavefront_size: 32
    .workgroup_processor_mode: 1
  - .args:
      - .offset:         0
        .size:           152
        .value_kind:     by_value
    .group_segment_fixed_size: 0
    .kernarg_segment_align: 8
    .kernarg_segment_size: 152
    .language:       OpenCL C
    .language_version:
      - 2
      - 0
    .max_flat_workgroup_size: 256
    .name:           _ZN7rocprim17ROCPRIM_400000_NS6detail17trampoline_kernelINS0_13select_configILj256ELj13ELNS0_17block_load_methodE3ELS4_3ELS4_3ELNS0_20block_scan_algorithmE0ELj4294967295EEENS1_25partition_config_selectorILNS1_17partition_subalgoE3EjNS0_10empty_typeEbEEZZNS1_14partition_implILS8_3ELb0ES6_jNS0_17counting_iteratorIjlEEPS9_SE_NS0_5tupleIJPjSE_EEENSF_IJSE_SE_EEES9_SG_JZNS1_25segmented_radix_sort_implINS0_14default_configELb0EPKfPfPKlPlN2at6native12_GLOBAL__N_18offset_tEEE10hipError_tPvRmT1_PNSt15iterator_traitsISY_E10value_typeET2_T3_PNSZ_IS14_E10value_typeET4_jRbjT5_S1A_jjP12ihipStream_tbEUljE_EEESV_SW_SX_S14_S18_S1A_T6_T7_T9_mT8_S1C_bDpT10_ENKUlT_T0_E_clISt17integral_constantIbLb0EES1O_IbLb1EEEEDaS1K_S1L_EUlS1K_E_NS1_11comp_targetILNS1_3genE4ELNS1_11target_archE910ELNS1_3gpuE8ELNS1_3repE0EEENS1_30default_config_static_selectorELNS0_4arch9wavefront6targetE0EEEvSY_
    .private_segment_fixed_size: 0
    .sgpr_count:     0
    .sgpr_spill_count: 0
    .symbol:         _ZN7rocprim17ROCPRIM_400000_NS6detail17trampoline_kernelINS0_13select_configILj256ELj13ELNS0_17block_load_methodE3ELS4_3ELS4_3ELNS0_20block_scan_algorithmE0ELj4294967295EEENS1_25partition_config_selectorILNS1_17partition_subalgoE3EjNS0_10empty_typeEbEEZZNS1_14partition_implILS8_3ELb0ES6_jNS0_17counting_iteratorIjlEEPS9_SE_NS0_5tupleIJPjSE_EEENSF_IJSE_SE_EEES9_SG_JZNS1_25segmented_radix_sort_implINS0_14default_configELb0EPKfPfPKlPlN2at6native12_GLOBAL__N_18offset_tEEE10hipError_tPvRmT1_PNSt15iterator_traitsISY_E10value_typeET2_T3_PNSZ_IS14_E10value_typeET4_jRbjT5_S1A_jjP12ihipStream_tbEUljE_EEESV_SW_SX_S14_S18_S1A_T6_T7_T9_mT8_S1C_bDpT10_ENKUlT_T0_E_clISt17integral_constantIbLb0EES1O_IbLb1EEEEDaS1K_S1L_EUlS1K_E_NS1_11comp_targetILNS1_3genE4ELNS1_11target_archE910ELNS1_3gpuE8ELNS1_3repE0EEENS1_30default_config_static_selectorELNS0_4arch9wavefront6targetE0EEEvSY_.kd
    .uniform_work_group_size: 1
    .uses_dynamic_stack: false
    .vgpr_count:     0
    .vgpr_spill_count: 0
    .wavefront_size: 32
    .workgroup_processor_mode: 1
  - .args:
      - .offset:         0
        .size:           152
        .value_kind:     by_value
    .group_segment_fixed_size: 0
    .kernarg_segment_align: 8
    .kernarg_segment_size: 152
    .language:       OpenCL C
    .language_version:
      - 2
      - 0
    .max_flat_workgroup_size: 256
    .name:           _ZN7rocprim17ROCPRIM_400000_NS6detail17trampoline_kernelINS0_13select_configILj256ELj13ELNS0_17block_load_methodE3ELS4_3ELS4_3ELNS0_20block_scan_algorithmE0ELj4294967295EEENS1_25partition_config_selectorILNS1_17partition_subalgoE3EjNS0_10empty_typeEbEEZZNS1_14partition_implILS8_3ELb0ES6_jNS0_17counting_iteratorIjlEEPS9_SE_NS0_5tupleIJPjSE_EEENSF_IJSE_SE_EEES9_SG_JZNS1_25segmented_radix_sort_implINS0_14default_configELb0EPKfPfPKlPlN2at6native12_GLOBAL__N_18offset_tEEE10hipError_tPvRmT1_PNSt15iterator_traitsISY_E10value_typeET2_T3_PNSZ_IS14_E10value_typeET4_jRbjT5_S1A_jjP12ihipStream_tbEUljE_EEESV_SW_SX_S14_S18_S1A_T6_T7_T9_mT8_S1C_bDpT10_ENKUlT_T0_E_clISt17integral_constantIbLb0EES1O_IbLb1EEEEDaS1K_S1L_EUlS1K_E_NS1_11comp_targetILNS1_3genE3ELNS1_11target_archE908ELNS1_3gpuE7ELNS1_3repE0EEENS1_30default_config_static_selectorELNS0_4arch9wavefront6targetE0EEEvSY_
    .private_segment_fixed_size: 0
    .sgpr_count:     0
    .sgpr_spill_count: 0
    .symbol:         _ZN7rocprim17ROCPRIM_400000_NS6detail17trampoline_kernelINS0_13select_configILj256ELj13ELNS0_17block_load_methodE3ELS4_3ELS4_3ELNS0_20block_scan_algorithmE0ELj4294967295EEENS1_25partition_config_selectorILNS1_17partition_subalgoE3EjNS0_10empty_typeEbEEZZNS1_14partition_implILS8_3ELb0ES6_jNS0_17counting_iteratorIjlEEPS9_SE_NS0_5tupleIJPjSE_EEENSF_IJSE_SE_EEES9_SG_JZNS1_25segmented_radix_sort_implINS0_14default_configELb0EPKfPfPKlPlN2at6native12_GLOBAL__N_18offset_tEEE10hipError_tPvRmT1_PNSt15iterator_traitsISY_E10value_typeET2_T3_PNSZ_IS14_E10value_typeET4_jRbjT5_S1A_jjP12ihipStream_tbEUljE_EEESV_SW_SX_S14_S18_S1A_T6_T7_T9_mT8_S1C_bDpT10_ENKUlT_T0_E_clISt17integral_constantIbLb0EES1O_IbLb1EEEEDaS1K_S1L_EUlS1K_E_NS1_11comp_targetILNS1_3genE3ELNS1_11target_archE908ELNS1_3gpuE7ELNS1_3repE0EEENS1_30default_config_static_selectorELNS0_4arch9wavefront6targetE0EEEvSY_.kd
    .uniform_work_group_size: 1
    .uses_dynamic_stack: false
    .vgpr_count:     0
    .vgpr_spill_count: 0
    .wavefront_size: 32
    .workgroup_processor_mode: 1
  - .args:
      - .offset:         0
        .size:           152
        .value_kind:     by_value
    .group_segment_fixed_size: 0
    .kernarg_segment_align: 8
    .kernarg_segment_size: 152
    .language:       OpenCL C
    .language_version:
      - 2
      - 0
    .max_flat_workgroup_size: 256
    .name:           _ZN7rocprim17ROCPRIM_400000_NS6detail17trampoline_kernelINS0_13select_configILj256ELj13ELNS0_17block_load_methodE3ELS4_3ELS4_3ELNS0_20block_scan_algorithmE0ELj4294967295EEENS1_25partition_config_selectorILNS1_17partition_subalgoE3EjNS0_10empty_typeEbEEZZNS1_14partition_implILS8_3ELb0ES6_jNS0_17counting_iteratorIjlEEPS9_SE_NS0_5tupleIJPjSE_EEENSF_IJSE_SE_EEES9_SG_JZNS1_25segmented_radix_sort_implINS0_14default_configELb0EPKfPfPKlPlN2at6native12_GLOBAL__N_18offset_tEEE10hipError_tPvRmT1_PNSt15iterator_traitsISY_E10value_typeET2_T3_PNSZ_IS14_E10value_typeET4_jRbjT5_S1A_jjP12ihipStream_tbEUljE_EEESV_SW_SX_S14_S18_S1A_T6_T7_T9_mT8_S1C_bDpT10_ENKUlT_T0_E_clISt17integral_constantIbLb0EES1O_IbLb1EEEEDaS1K_S1L_EUlS1K_E_NS1_11comp_targetILNS1_3genE2ELNS1_11target_archE906ELNS1_3gpuE6ELNS1_3repE0EEENS1_30default_config_static_selectorELNS0_4arch9wavefront6targetE0EEEvSY_
    .private_segment_fixed_size: 0
    .sgpr_count:     0
    .sgpr_spill_count: 0
    .symbol:         _ZN7rocprim17ROCPRIM_400000_NS6detail17trampoline_kernelINS0_13select_configILj256ELj13ELNS0_17block_load_methodE3ELS4_3ELS4_3ELNS0_20block_scan_algorithmE0ELj4294967295EEENS1_25partition_config_selectorILNS1_17partition_subalgoE3EjNS0_10empty_typeEbEEZZNS1_14partition_implILS8_3ELb0ES6_jNS0_17counting_iteratorIjlEEPS9_SE_NS0_5tupleIJPjSE_EEENSF_IJSE_SE_EEES9_SG_JZNS1_25segmented_radix_sort_implINS0_14default_configELb0EPKfPfPKlPlN2at6native12_GLOBAL__N_18offset_tEEE10hipError_tPvRmT1_PNSt15iterator_traitsISY_E10value_typeET2_T3_PNSZ_IS14_E10value_typeET4_jRbjT5_S1A_jjP12ihipStream_tbEUljE_EEESV_SW_SX_S14_S18_S1A_T6_T7_T9_mT8_S1C_bDpT10_ENKUlT_T0_E_clISt17integral_constantIbLb0EES1O_IbLb1EEEEDaS1K_S1L_EUlS1K_E_NS1_11comp_targetILNS1_3genE2ELNS1_11target_archE906ELNS1_3gpuE6ELNS1_3repE0EEENS1_30default_config_static_selectorELNS0_4arch9wavefront6targetE0EEEvSY_.kd
    .uniform_work_group_size: 1
    .uses_dynamic_stack: false
    .vgpr_count:     0
    .vgpr_spill_count: 0
    .wavefront_size: 32
    .workgroup_processor_mode: 1
  - .args:
      - .offset:         0
        .size:           152
        .value_kind:     by_value
    .group_segment_fixed_size: 13320
    .kernarg_segment_align: 8
    .kernarg_segment_size: 152
    .language:       OpenCL C
    .language_version:
      - 2
      - 0
    .max_flat_workgroup_size: 256
    .name:           _ZN7rocprim17ROCPRIM_400000_NS6detail17trampoline_kernelINS0_13select_configILj256ELj13ELNS0_17block_load_methodE3ELS4_3ELS4_3ELNS0_20block_scan_algorithmE0ELj4294967295EEENS1_25partition_config_selectorILNS1_17partition_subalgoE3EjNS0_10empty_typeEbEEZZNS1_14partition_implILS8_3ELb0ES6_jNS0_17counting_iteratorIjlEEPS9_SE_NS0_5tupleIJPjSE_EEENSF_IJSE_SE_EEES9_SG_JZNS1_25segmented_radix_sort_implINS0_14default_configELb0EPKfPfPKlPlN2at6native12_GLOBAL__N_18offset_tEEE10hipError_tPvRmT1_PNSt15iterator_traitsISY_E10value_typeET2_T3_PNSZ_IS14_E10value_typeET4_jRbjT5_S1A_jjP12ihipStream_tbEUljE_EEESV_SW_SX_S14_S18_S1A_T6_T7_T9_mT8_S1C_bDpT10_ENKUlT_T0_E_clISt17integral_constantIbLb0EES1O_IbLb1EEEEDaS1K_S1L_EUlS1K_E_NS1_11comp_targetILNS1_3genE10ELNS1_11target_archE1200ELNS1_3gpuE4ELNS1_3repE0EEENS1_30default_config_static_selectorELNS0_4arch9wavefront6targetE0EEEvSY_
    .private_segment_fixed_size: 0
    .sgpr_count:     28
    .sgpr_spill_count: 0
    .symbol:         _ZN7rocprim17ROCPRIM_400000_NS6detail17trampoline_kernelINS0_13select_configILj256ELj13ELNS0_17block_load_methodE3ELS4_3ELS4_3ELNS0_20block_scan_algorithmE0ELj4294967295EEENS1_25partition_config_selectorILNS1_17partition_subalgoE3EjNS0_10empty_typeEbEEZZNS1_14partition_implILS8_3ELb0ES6_jNS0_17counting_iteratorIjlEEPS9_SE_NS0_5tupleIJPjSE_EEENSF_IJSE_SE_EEES9_SG_JZNS1_25segmented_radix_sort_implINS0_14default_configELb0EPKfPfPKlPlN2at6native12_GLOBAL__N_18offset_tEEE10hipError_tPvRmT1_PNSt15iterator_traitsISY_E10value_typeET2_T3_PNSZ_IS14_E10value_typeET4_jRbjT5_S1A_jjP12ihipStream_tbEUljE_EEESV_SW_SX_S14_S18_S1A_T6_T7_T9_mT8_S1C_bDpT10_ENKUlT_T0_E_clISt17integral_constantIbLb0EES1O_IbLb1EEEEDaS1K_S1L_EUlS1K_E_NS1_11comp_targetILNS1_3genE10ELNS1_11target_archE1200ELNS1_3gpuE4ELNS1_3repE0EEENS1_30default_config_static_selectorELNS0_4arch9wavefront6targetE0EEEvSY_.kd
    .uniform_work_group_size: 1
    .uses_dynamic_stack: false
    .vgpr_count:     71
    .vgpr_spill_count: 0
    .wavefront_size: 32
    .workgroup_processor_mode: 1
  - .args:
      - .offset:         0
        .size:           152
        .value_kind:     by_value
    .group_segment_fixed_size: 0
    .kernarg_segment_align: 8
    .kernarg_segment_size: 152
    .language:       OpenCL C
    .language_version:
      - 2
      - 0
    .max_flat_workgroup_size: 256
    .name:           _ZN7rocprim17ROCPRIM_400000_NS6detail17trampoline_kernelINS0_13select_configILj256ELj13ELNS0_17block_load_methodE3ELS4_3ELS4_3ELNS0_20block_scan_algorithmE0ELj4294967295EEENS1_25partition_config_selectorILNS1_17partition_subalgoE3EjNS0_10empty_typeEbEEZZNS1_14partition_implILS8_3ELb0ES6_jNS0_17counting_iteratorIjlEEPS9_SE_NS0_5tupleIJPjSE_EEENSF_IJSE_SE_EEES9_SG_JZNS1_25segmented_radix_sort_implINS0_14default_configELb0EPKfPfPKlPlN2at6native12_GLOBAL__N_18offset_tEEE10hipError_tPvRmT1_PNSt15iterator_traitsISY_E10value_typeET2_T3_PNSZ_IS14_E10value_typeET4_jRbjT5_S1A_jjP12ihipStream_tbEUljE_EEESV_SW_SX_S14_S18_S1A_T6_T7_T9_mT8_S1C_bDpT10_ENKUlT_T0_E_clISt17integral_constantIbLb0EES1O_IbLb1EEEEDaS1K_S1L_EUlS1K_E_NS1_11comp_targetILNS1_3genE9ELNS1_11target_archE1100ELNS1_3gpuE3ELNS1_3repE0EEENS1_30default_config_static_selectorELNS0_4arch9wavefront6targetE0EEEvSY_
    .private_segment_fixed_size: 0
    .sgpr_count:     0
    .sgpr_spill_count: 0
    .symbol:         _ZN7rocprim17ROCPRIM_400000_NS6detail17trampoline_kernelINS0_13select_configILj256ELj13ELNS0_17block_load_methodE3ELS4_3ELS4_3ELNS0_20block_scan_algorithmE0ELj4294967295EEENS1_25partition_config_selectorILNS1_17partition_subalgoE3EjNS0_10empty_typeEbEEZZNS1_14partition_implILS8_3ELb0ES6_jNS0_17counting_iteratorIjlEEPS9_SE_NS0_5tupleIJPjSE_EEENSF_IJSE_SE_EEES9_SG_JZNS1_25segmented_radix_sort_implINS0_14default_configELb0EPKfPfPKlPlN2at6native12_GLOBAL__N_18offset_tEEE10hipError_tPvRmT1_PNSt15iterator_traitsISY_E10value_typeET2_T3_PNSZ_IS14_E10value_typeET4_jRbjT5_S1A_jjP12ihipStream_tbEUljE_EEESV_SW_SX_S14_S18_S1A_T6_T7_T9_mT8_S1C_bDpT10_ENKUlT_T0_E_clISt17integral_constantIbLb0EES1O_IbLb1EEEEDaS1K_S1L_EUlS1K_E_NS1_11comp_targetILNS1_3genE9ELNS1_11target_archE1100ELNS1_3gpuE3ELNS1_3repE0EEENS1_30default_config_static_selectorELNS0_4arch9wavefront6targetE0EEEvSY_.kd
    .uniform_work_group_size: 1
    .uses_dynamic_stack: false
    .vgpr_count:     0
    .vgpr_spill_count: 0
    .wavefront_size: 32
    .workgroup_processor_mode: 1
  - .args:
      - .offset:         0
        .size:           152
        .value_kind:     by_value
    .group_segment_fixed_size: 0
    .kernarg_segment_align: 8
    .kernarg_segment_size: 152
    .language:       OpenCL C
    .language_version:
      - 2
      - 0
    .max_flat_workgroup_size: 256
    .name:           _ZN7rocprim17ROCPRIM_400000_NS6detail17trampoline_kernelINS0_13select_configILj256ELj13ELNS0_17block_load_methodE3ELS4_3ELS4_3ELNS0_20block_scan_algorithmE0ELj4294967295EEENS1_25partition_config_selectorILNS1_17partition_subalgoE3EjNS0_10empty_typeEbEEZZNS1_14partition_implILS8_3ELb0ES6_jNS0_17counting_iteratorIjlEEPS9_SE_NS0_5tupleIJPjSE_EEENSF_IJSE_SE_EEES9_SG_JZNS1_25segmented_radix_sort_implINS0_14default_configELb0EPKfPfPKlPlN2at6native12_GLOBAL__N_18offset_tEEE10hipError_tPvRmT1_PNSt15iterator_traitsISY_E10value_typeET2_T3_PNSZ_IS14_E10value_typeET4_jRbjT5_S1A_jjP12ihipStream_tbEUljE_EEESV_SW_SX_S14_S18_S1A_T6_T7_T9_mT8_S1C_bDpT10_ENKUlT_T0_E_clISt17integral_constantIbLb0EES1O_IbLb1EEEEDaS1K_S1L_EUlS1K_E_NS1_11comp_targetILNS1_3genE8ELNS1_11target_archE1030ELNS1_3gpuE2ELNS1_3repE0EEENS1_30default_config_static_selectorELNS0_4arch9wavefront6targetE0EEEvSY_
    .private_segment_fixed_size: 0
    .sgpr_count:     0
    .sgpr_spill_count: 0
    .symbol:         _ZN7rocprim17ROCPRIM_400000_NS6detail17trampoline_kernelINS0_13select_configILj256ELj13ELNS0_17block_load_methodE3ELS4_3ELS4_3ELNS0_20block_scan_algorithmE0ELj4294967295EEENS1_25partition_config_selectorILNS1_17partition_subalgoE3EjNS0_10empty_typeEbEEZZNS1_14partition_implILS8_3ELb0ES6_jNS0_17counting_iteratorIjlEEPS9_SE_NS0_5tupleIJPjSE_EEENSF_IJSE_SE_EEES9_SG_JZNS1_25segmented_radix_sort_implINS0_14default_configELb0EPKfPfPKlPlN2at6native12_GLOBAL__N_18offset_tEEE10hipError_tPvRmT1_PNSt15iterator_traitsISY_E10value_typeET2_T3_PNSZ_IS14_E10value_typeET4_jRbjT5_S1A_jjP12ihipStream_tbEUljE_EEESV_SW_SX_S14_S18_S1A_T6_T7_T9_mT8_S1C_bDpT10_ENKUlT_T0_E_clISt17integral_constantIbLb0EES1O_IbLb1EEEEDaS1K_S1L_EUlS1K_E_NS1_11comp_targetILNS1_3genE8ELNS1_11target_archE1030ELNS1_3gpuE2ELNS1_3repE0EEENS1_30default_config_static_selectorELNS0_4arch9wavefront6targetE0EEEvSY_.kd
    .uniform_work_group_size: 1
    .uses_dynamic_stack: false
    .vgpr_count:     0
    .vgpr_spill_count: 0
    .wavefront_size: 32
    .workgroup_processor_mode: 1
  - .args:
      - .offset:         0
        .size:           96
        .value_kind:     by_value
    .group_segment_fixed_size: 0
    .kernarg_segment_align: 8
    .kernarg_segment_size: 96
    .language:       OpenCL C
    .language_version:
      - 2
      - 0
    .max_flat_workgroup_size: 256
    .name:           _ZN7rocprim17ROCPRIM_400000_NS6detail17trampoline_kernelINS0_14default_configENS1_36segmented_radix_sort_config_selectorIflEEZNS1_25segmented_radix_sort_implIS3_Lb0EPKfPfPKlPlN2at6native12_GLOBAL__N_18offset_tEEE10hipError_tPvRmT1_PNSt15iterator_traitsISK_E10value_typeET2_T3_PNSL_ISQ_E10value_typeET4_jRbjT5_SW_jjP12ihipStream_tbEUlT_E_NS1_11comp_targetILNS1_3genE0ELNS1_11target_archE4294967295ELNS1_3gpuE0ELNS1_3repE0EEENS1_30default_config_static_selectorELNS0_4arch9wavefront6targetE0EEEvSK_
    .private_segment_fixed_size: 0
    .sgpr_count:     0
    .sgpr_spill_count: 0
    .symbol:         _ZN7rocprim17ROCPRIM_400000_NS6detail17trampoline_kernelINS0_14default_configENS1_36segmented_radix_sort_config_selectorIflEEZNS1_25segmented_radix_sort_implIS3_Lb0EPKfPfPKlPlN2at6native12_GLOBAL__N_18offset_tEEE10hipError_tPvRmT1_PNSt15iterator_traitsISK_E10value_typeET2_T3_PNSL_ISQ_E10value_typeET4_jRbjT5_SW_jjP12ihipStream_tbEUlT_E_NS1_11comp_targetILNS1_3genE0ELNS1_11target_archE4294967295ELNS1_3gpuE0ELNS1_3repE0EEENS1_30default_config_static_selectorELNS0_4arch9wavefront6targetE0EEEvSK_.kd
    .uniform_work_group_size: 1
    .uses_dynamic_stack: false
    .vgpr_count:     0
    .vgpr_spill_count: 0
    .wavefront_size: 32
    .workgroup_processor_mode: 1
  - .args:
      - .offset:         0
        .size:           96
        .value_kind:     by_value
    .group_segment_fixed_size: 0
    .kernarg_segment_align: 8
    .kernarg_segment_size: 96
    .language:       OpenCL C
    .language_version:
      - 2
      - 0
    .max_flat_workgroup_size: 256
    .name:           _ZN7rocprim17ROCPRIM_400000_NS6detail17trampoline_kernelINS0_14default_configENS1_36segmented_radix_sort_config_selectorIflEEZNS1_25segmented_radix_sort_implIS3_Lb0EPKfPfPKlPlN2at6native12_GLOBAL__N_18offset_tEEE10hipError_tPvRmT1_PNSt15iterator_traitsISK_E10value_typeET2_T3_PNSL_ISQ_E10value_typeET4_jRbjT5_SW_jjP12ihipStream_tbEUlT_E_NS1_11comp_targetILNS1_3genE5ELNS1_11target_archE942ELNS1_3gpuE9ELNS1_3repE0EEENS1_30default_config_static_selectorELNS0_4arch9wavefront6targetE0EEEvSK_
    .private_segment_fixed_size: 0
    .sgpr_count:     0
    .sgpr_spill_count: 0
    .symbol:         _ZN7rocprim17ROCPRIM_400000_NS6detail17trampoline_kernelINS0_14default_configENS1_36segmented_radix_sort_config_selectorIflEEZNS1_25segmented_radix_sort_implIS3_Lb0EPKfPfPKlPlN2at6native12_GLOBAL__N_18offset_tEEE10hipError_tPvRmT1_PNSt15iterator_traitsISK_E10value_typeET2_T3_PNSL_ISQ_E10value_typeET4_jRbjT5_SW_jjP12ihipStream_tbEUlT_E_NS1_11comp_targetILNS1_3genE5ELNS1_11target_archE942ELNS1_3gpuE9ELNS1_3repE0EEENS1_30default_config_static_selectorELNS0_4arch9wavefront6targetE0EEEvSK_.kd
    .uniform_work_group_size: 1
    .uses_dynamic_stack: false
    .vgpr_count:     0
    .vgpr_spill_count: 0
    .wavefront_size: 32
    .workgroup_processor_mode: 1
  - .args:
      - .offset:         0
        .size:           96
        .value_kind:     by_value
    .group_segment_fixed_size: 0
    .kernarg_segment_align: 8
    .kernarg_segment_size: 96
    .language:       OpenCL C
    .language_version:
      - 2
      - 0
    .max_flat_workgroup_size: 256
    .name:           _ZN7rocprim17ROCPRIM_400000_NS6detail17trampoline_kernelINS0_14default_configENS1_36segmented_radix_sort_config_selectorIflEEZNS1_25segmented_radix_sort_implIS3_Lb0EPKfPfPKlPlN2at6native12_GLOBAL__N_18offset_tEEE10hipError_tPvRmT1_PNSt15iterator_traitsISK_E10value_typeET2_T3_PNSL_ISQ_E10value_typeET4_jRbjT5_SW_jjP12ihipStream_tbEUlT_E_NS1_11comp_targetILNS1_3genE4ELNS1_11target_archE910ELNS1_3gpuE8ELNS1_3repE0EEENS1_30default_config_static_selectorELNS0_4arch9wavefront6targetE0EEEvSK_
    .private_segment_fixed_size: 0
    .sgpr_count:     0
    .sgpr_spill_count: 0
    .symbol:         _ZN7rocprim17ROCPRIM_400000_NS6detail17trampoline_kernelINS0_14default_configENS1_36segmented_radix_sort_config_selectorIflEEZNS1_25segmented_radix_sort_implIS3_Lb0EPKfPfPKlPlN2at6native12_GLOBAL__N_18offset_tEEE10hipError_tPvRmT1_PNSt15iterator_traitsISK_E10value_typeET2_T3_PNSL_ISQ_E10value_typeET4_jRbjT5_SW_jjP12ihipStream_tbEUlT_E_NS1_11comp_targetILNS1_3genE4ELNS1_11target_archE910ELNS1_3gpuE8ELNS1_3repE0EEENS1_30default_config_static_selectorELNS0_4arch9wavefront6targetE0EEEvSK_.kd
    .uniform_work_group_size: 1
    .uses_dynamic_stack: false
    .vgpr_count:     0
    .vgpr_spill_count: 0
    .wavefront_size: 32
    .workgroup_processor_mode: 1
  - .args:
      - .offset:         0
        .size:           96
        .value_kind:     by_value
    .group_segment_fixed_size: 0
    .kernarg_segment_align: 8
    .kernarg_segment_size: 96
    .language:       OpenCL C
    .language_version:
      - 2
      - 0
    .max_flat_workgroup_size: 256
    .name:           _ZN7rocprim17ROCPRIM_400000_NS6detail17trampoline_kernelINS0_14default_configENS1_36segmented_radix_sort_config_selectorIflEEZNS1_25segmented_radix_sort_implIS3_Lb0EPKfPfPKlPlN2at6native12_GLOBAL__N_18offset_tEEE10hipError_tPvRmT1_PNSt15iterator_traitsISK_E10value_typeET2_T3_PNSL_ISQ_E10value_typeET4_jRbjT5_SW_jjP12ihipStream_tbEUlT_E_NS1_11comp_targetILNS1_3genE3ELNS1_11target_archE908ELNS1_3gpuE7ELNS1_3repE0EEENS1_30default_config_static_selectorELNS0_4arch9wavefront6targetE0EEEvSK_
    .private_segment_fixed_size: 0
    .sgpr_count:     0
    .sgpr_spill_count: 0
    .symbol:         _ZN7rocprim17ROCPRIM_400000_NS6detail17trampoline_kernelINS0_14default_configENS1_36segmented_radix_sort_config_selectorIflEEZNS1_25segmented_radix_sort_implIS3_Lb0EPKfPfPKlPlN2at6native12_GLOBAL__N_18offset_tEEE10hipError_tPvRmT1_PNSt15iterator_traitsISK_E10value_typeET2_T3_PNSL_ISQ_E10value_typeET4_jRbjT5_SW_jjP12ihipStream_tbEUlT_E_NS1_11comp_targetILNS1_3genE3ELNS1_11target_archE908ELNS1_3gpuE7ELNS1_3repE0EEENS1_30default_config_static_selectorELNS0_4arch9wavefront6targetE0EEEvSK_.kd
    .uniform_work_group_size: 1
    .uses_dynamic_stack: false
    .vgpr_count:     0
    .vgpr_spill_count: 0
    .wavefront_size: 32
    .workgroup_processor_mode: 1
  - .args:
      - .offset:         0
        .size:           96
        .value_kind:     by_value
    .group_segment_fixed_size: 0
    .kernarg_segment_align: 8
    .kernarg_segment_size: 96
    .language:       OpenCL C
    .language_version:
      - 2
      - 0
    .max_flat_workgroup_size: 256
    .name:           _ZN7rocprim17ROCPRIM_400000_NS6detail17trampoline_kernelINS0_14default_configENS1_36segmented_radix_sort_config_selectorIflEEZNS1_25segmented_radix_sort_implIS3_Lb0EPKfPfPKlPlN2at6native12_GLOBAL__N_18offset_tEEE10hipError_tPvRmT1_PNSt15iterator_traitsISK_E10value_typeET2_T3_PNSL_ISQ_E10value_typeET4_jRbjT5_SW_jjP12ihipStream_tbEUlT_E_NS1_11comp_targetILNS1_3genE2ELNS1_11target_archE906ELNS1_3gpuE6ELNS1_3repE0EEENS1_30default_config_static_selectorELNS0_4arch9wavefront6targetE0EEEvSK_
    .private_segment_fixed_size: 0
    .sgpr_count:     0
    .sgpr_spill_count: 0
    .symbol:         _ZN7rocprim17ROCPRIM_400000_NS6detail17trampoline_kernelINS0_14default_configENS1_36segmented_radix_sort_config_selectorIflEEZNS1_25segmented_radix_sort_implIS3_Lb0EPKfPfPKlPlN2at6native12_GLOBAL__N_18offset_tEEE10hipError_tPvRmT1_PNSt15iterator_traitsISK_E10value_typeET2_T3_PNSL_ISQ_E10value_typeET4_jRbjT5_SW_jjP12ihipStream_tbEUlT_E_NS1_11comp_targetILNS1_3genE2ELNS1_11target_archE906ELNS1_3gpuE6ELNS1_3repE0EEENS1_30default_config_static_selectorELNS0_4arch9wavefront6targetE0EEEvSK_.kd
    .uniform_work_group_size: 1
    .uses_dynamic_stack: false
    .vgpr_count:     0
    .vgpr_spill_count: 0
    .wavefront_size: 32
    .workgroup_processor_mode: 1
  - .args:
      - .offset:         0
        .size:           96
        .value_kind:     by_value
      - .offset:         96
        .size:           4
        .value_kind:     hidden_block_count_x
      - .offset:         100
        .size:           4
        .value_kind:     hidden_block_count_y
      - .offset:         104
        .size:           4
        .value_kind:     hidden_block_count_z
      - .offset:         108
        .size:           2
        .value_kind:     hidden_group_size_x
      - .offset:         110
        .size:           2
        .value_kind:     hidden_group_size_y
      - .offset:         112
        .size:           2
        .value_kind:     hidden_group_size_z
      - .offset:         114
        .size:           2
        .value_kind:     hidden_remainder_x
      - .offset:         116
        .size:           2
        .value_kind:     hidden_remainder_y
      - .offset:         118
        .size:           2
        .value_kind:     hidden_remainder_z
      - .offset:         136
        .size:           8
        .value_kind:     hidden_global_offset_x
      - .offset:         144
        .size:           8
        .value_kind:     hidden_global_offset_y
      - .offset:         152
        .size:           8
        .value_kind:     hidden_global_offset_z
      - .offset:         160
        .size:           2
        .value_kind:     hidden_grid_dims
    .group_segment_fixed_size: 33824
    .kernarg_segment_align: 8
    .kernarg_segment_size: 352
    .language:       OpenCL C
    .language_version:
      - 2
      - 0
    .max_flat_workgroup_size: 256
    .name:           _ZN7rocprim17ROCPRIM_400000_NS6detail17trampoline_kernelINS0_14default_configENS1_36segmented_radix_sort_config_selectorIflEEZNS1_25segmented_radix_sort_implIS3_Lb0EPKfPfPKlPlN2at6native12_GLOBAL__N_18offset_tEEE10hipError_tPvRmT1_PNSt15iterator_traitsISK_E10value_typeET2_T3_PNSL_ISQ_E10value_typeET4_jRbjT5_SW_jjP12ihipStream_tbEUlT_E_NS1_11comp_targetILNS1_3genE10ELNS1_11target_archE1201ELNS1_3gpuE5ELNS1_3repE0EEENS1_30default_config_static_selectorELNS0_4arch9wavefront6targetE0EEEvSK_
    .private_segment_fixed_size: 100
    .sgpr_count:     60
    .sgpr_spill_count: 0
    .symbol:         _ZN7rocprim17ROCPRIM_400000_NS6detail17trampoline_kernelINS0_14default_configENS1_36segmented_radix_sort_config_selectorIflEEZNS1_25segmented_radix_sort_implIS3_Lb0EPKfPfPKlPlN2at6native12_GLOBAL__N_18offset_tEEE10hipError_tPvRmT1_PNSt15iterator_traitsISK_E10value_typeET2_T3_PNSL_ISQ_E10value_typeET4_jRbjT5_SW_jjP12ihipStream_tbEUlT_E_NS1_11comp_targetILNS1_3genE10ELNS1_11target_archE1201ELNS1_3gpuE5ELNS1_3repE0EEENS1_30default_config_static_selectorELNS0_4arch9wavefront6targetE0EEEvSK_.kd
    .uniform_work_group_size: 1
    .uses_dynamic_stack: false
    .vgpr_count:     248
    .vgpr_spill_count: 0
    .wavefront_size: 32
    .workgroup_processor_mode: 1
  - .args:
      - .offset:         0
        .size:           96
        .value_kind:     by_value
    .group_segment_fixed_size: 0
    .kernarg_segment_align: 8
    .kernarg_segment_size: 96
    .language:       OpenCL C
    .language_version:
      - 2
      - 0
    .max_flat_workgroup_size: 128
    .name:           _ZN7rocprim17ROCPRIM_400000_NS6detail17trampoline_kernelINS0_14default_configENS1_36segmented_radix_sort_config_selectorIflEEZNS1_25segmented_radix_sort_implIS3_Lb0EPKfPfPKlPlN2at6native12_GLOBAL__N_18offset_tEEE10hipError_tPvRmT1_PNSt15iterator_traitsISK_E10value_typeET2_T3_PNSL_ISQ_E10value_typeET4_jRbjT5_SW_jjP12ihipStream_tbEUlT_E_NS1_11comp_targetILNS1_3genE10ELNS1_11target_archE1200ELNS1_3gpuE4ELNS1_3repE0EEENS1_30default_config_static_selectorELNS0_4arch9wavefront6targetE0EEEvSK_
    .private_segment_fixed_size: 0
    .sgpr_count:     0
    .sgpr_spill_count: 0
    .symbol:         _ZN7rocprim17ROCPRIM_400000_NS6detail17trampoline_kernelINS0_14default_configENS1_36segmented_radix_sort_config_selectorIflEEZNS1_25segmented_radix_sort_implIS3_Lb0EPKfPfPKlPlN2at6native12_GLOBAL__N_18offset_tEEE10hipError_tPvRmT1_PNSt15iterator_traitsISK_E10value_typeET2_T3_PNSL_ISQ_E10value_typeET4_jRbjT5_SW_jjP12ihipStream_tbEUlT_E_NS1_11comp_targetILNS1_3genE10ELNS1_11target_archE1200ELNS1_3gpuE4ELNS1_3repE0EEENS1_30default_config_static_selectorELNS0_4arch9wavefront6targetE0EEEvSK_.kd
    .uniform_work_group_size: 1
    .uses_dynamic_stack: false
    .vgpr_count:     0
    .vgpr_spill_count: 0
    .wavefront_size: 32
    .workgroup_processor_mode: 1
  - .args:
      - .offset:         0
        .size:           96
        .value_kind:     by_value
    .group_segment_fixed_size: 0
    .kernarg_segment_align: 8
    .kernarg_segment_size: 96
    .language:       OpenCL C
    .language_version:
      - 2
      - 0
    .max_flat_workgroup_size: 256
    .name:           _ZN7rocprim17ROCPRIM_400000_NS6detail17trampoline_kernelINS0_14default_configENS1_36segmented_radix_sort_config_selectorIflEEZNS1_25segmented_radix_sort_implIS3_Lb0EPKfPfPKlPlN2at6native12_GLOBAL__N_18offset_tEEE10hipError_tPvRmT1_PNSt15iterator_traitsISK_E10value_typeET2_T3_PNSL_ISQ_E10value_typeET4_jRbjT5_SW_jjP12ihipStream_tbEUlT_E_NS1_11comp_targetILNS1_3genE9ELNS1_11target_archE1100ELNS1_3gpuE3ELNS1_3repE0EEENS1_30default_config_static_selectorELNS0_4arch9wavefront6targetE0EEEvSK_
    .private_segment_fixed_size: 0
    .sgpr_count:     0
    .sgpr_spill_count: 0
    .symbol:         _ZN7rocprim17ROCPRIM_400000_NS6detail17trampoline_kernelINS0_14default_configENS1_36segmented_radix_sort_config_selectorIflEEZNS1_25segmented_radix_sort_implIS3_Lb0EPKfPfPKlPlN2at6native12_GLOBAL__N_18offset_tEEE10hipError_tPvRmT1_PNSt15iterator_traitsISK_E10value_typeET2_T3_PNSL_ISQ_E10value_typeET4_jRbjT5_SW_jjP12ihipStream_tbEUlT_E_NS1_11comp_targetILNS1_3genE9ELNS1_11target_archE1100ELNS1_3gpuE3ELNS1_3repE0EEENS1_30default_config_static_selectorELNS0_4arch9wavefront6targetE0EEEvSK_.kd
    .uniform_work_group_size: 1
    .uses_dynamic_stack: false
    .vgpr_count:     0
    .vgpr_spill_count: 0
    .wavefront_size: 32
    .workgroup_processor_mode: 1
  - .args:
      - .offset:         0
        .size:           96
        .value_kind:     by_value
    .group_segment_fixed_size: 0
    .kernarg_segment_align: 8
    .kernarg_segment_size: 96
    .language:       OpenCL C
    .language_version:
      - 2
      - 0
    .max_flat_workgroup_size: 256
    .name:           _ZN7rocprim17ROCPRIM_400000_NS6detail17trampoline_kernelINS0_14default_configENS1_36segmented_radix_sort_config_selectorIflEEZNS1_25segmented_radix_sort_implIS3_Lb0EPKfPfPKlPlN2at6native12_GLOBAL__N_18offset_tEEE10hipError_tPvRmT1_PNSt15iterator_traitsISK_E10value_typeET2_T3_PNSL_ISQ_E10value_typeET4_jRbjT5_SW_jjP12ihipStream_tbEUlT_E_NS1_11comp_targetILNS1_3genE8ELNS1_11target_archE1030ELNS1_3gpuE2ELNS1_3repE0EEENS1_30default_config_static_selectorELNS0_4arch9wavefront6targetE0EEEvSK_
    .private_segment_fixed_size: 0
    .sgpr_count:     0
    .sgpr_spill_count: 0
    .symbol:         _ZN7rocprim17ROCPRIM_400000_NS6detail17trampoline_kernelINS0_14default_configENS1_36segmented_radix_sort_config_selectorIflEEZNS1_25segmented_radix_sort_implIS3_Lb0EPKfPfPKlPlN2at6native12_GLOBAL__N_18offset_tEEE10hipError_tPvRmT1_PNSt15iterator_traitsISK_E10value_typeET2_T3_PNSL_ISQ_E10value_typeET4_jRbjT5_SW_jjP12ihipStream_tbEUlT_E_NS1_11comp_targetILNS1_3genE8ELNS1_11target_archE1030ELNS1_3gpuE2ELNS1_3repE0EEENS1_30default_config_static_selectorELNS0_4arch9wavefront6targetE0EEEvSK_.kd
    .uniform_work_group_size: 1
    .uses_dynamic_stack: false
    .vgpr_count:     0
    .vgpr_spill_count: 0
    .wavefront_size: 32
    .workgroup_processor_mode: 1
  - .args:
      - .offset:         0
        .size:           88
        .value_kind:     by_value
    .group_segment_fixed_size: 0
    .kernarg_segment_align: 8
    .kernarg_segment_size: 88
    .language:       OpenCL C
    .language_version:
      - 2
      - 0
    .max_flat_workgroup_size: 256
    .name:           _ZN7rocprim17ROCPRIM_400000_NS6detail17trampoline_kernelINS0_14default_configENS1_36segmented_radix_sort_config_selectorIflEEZNS1_25segmented_radix_sort_implIS3_Lb0EPKfPfPKlPlN2at6native12_GLOBAL__N_18offset_tEEE10hipError_tPvRmT1_PNSt15iterator_traitsISK_E10value_typeET2_T3_PNSL_ISQ_E10value_typeET4_jRbjT5_SW_jjP12ihipStream_tbEUlT_E0_NS1_11comp_targetILNS1_3genE0ELNS1_11target_archE4294967295ELNS1_3gpuE0ELNS1_3repE0EEENS1_60segmented_radix_sort_warp_sort_medium_config_static_selectorELNS0_4arch9wavefront6targetE0EEEvSK_
    .private_segment_fixed_size: 0
    .sgpr_count:     0
    .sgpr_spill_count: 0
    .symbol:         _ZN7rocprim17ROCPRIM_400000_NS6detail17trampoline_kernelINS0_14default_configENS1_36segmented_radix_sort_config_selectorIflEEZNS1_25segmented_radix_sort_implIS3_Lb0EPKfPfPKlPlN2at6native12_GLOBAL__N_18offset_tEEE10hipError_tPvRmT1_PNSt15iterator_traitsISK_E10value_typeET2_T3_PNSL_ISQ_E10value_typeET4_jRbjT5_SW_jjP12ihipStream_tbEUlT_E0_NS1_11comp_targetILNS1_3genE0ELNS1_11target_archE4294967295ELNS1_3gpuE0ELNS1_3repE0EEENS1_60segmented_radix_sort_warp_sort_medium_config_static_selectorELNS0_4arch9wavefront6targetE0EEEvSK_.kd
    .uniform_work_group_size: 1
    .uses_dynamic_stack: false
    .vgpr_count:     0
    .vgpr_spill_count: 0
    .wavefront_size: 32
    .workgroup_processor_mode: 1
  - .args:
      - .offset:         0
        .size:           88
        .value_kind:     by_value
    .group_segment_fixed_size: 0
    .kernarg_segment_align: 8
    .kernarg_segment_size: 88
    .language:       OpenCL C
    .language_version:
      - 2
      - 0
    .max_flat_workgroup_size: 256
    .name:           _ZN7rocprim17ROCPRIM_400000_NS6detail17trampoline_kernelINS0_14default_configENS1_36segmented_radix_sort_config_selectorIflEEZNS1_25segmented_radix_sort_implIS3_Lb0EPKfPfPKlPlN2at6native12_GLOBAL__N_18offset_tEEE10hipError_tPvRmT1_PNSt15iterator_traitsISK_E10value_typeET2_T3_PNSL_ISQ_E10value_typeET4_jRbjT5_SW_jjP12ihipStream_tbEUlT_E0_NS1_11comp_targetILNS1_3genE5ELNS1_11target_archE942ELNS1_3gpuE9ELNS1_3repE0EEENS1_60segmented_radix_sort_warp_sort_medium_config_static_selectorELNS0_4arch9wavefront6targetE0EEEvSK_
    .private_segment_fixed_size: 0
    .sgpr_count:     0
    .sgpr_spill_count: 0
    .symbol:         _ZN7rocprim17ROCPRIM_400000_NS6detail17trampoline_kernelINS0_14default_configENS1_36segmented_radix_sort_config_selectorIflEEZNS1_25segmented_radix_sort_implIS3_Lb0EPKfPfPKlPlN2at6native12_GLOBAL__N_18offset_tEEE10hipError_tPvRmT1_PNSt15iterator_traitsISK_E10value_typeET2_T3_PNSL_ISQ_E10value_typeET4_jRbjT5_SW_jjP12ihipStream_tbEUlT_E0_NS1_11comp_targetILNS1_3genE5ELNS1_11target_archE942ELNS1_3gpuE9ELNS1_3repE0EEENS1_60segmented_radix_sort_warp_sort_medium_config_static_selectorELNS0_4arch9wavefront6targetE0EEEvSK_.kd
    .uniform_work_group_size: 1
    .uses_dynamic_stack: false
    .vgpr_count:     0
    .vgpr_spill_count: 0
    .wavefront_size: 32
    .workgroup_processor_mode: 1
  - .args:
      - .offset:         0
        .size:           88
        .value_kind:     by_value
    .group_segment_fixed_size: 0
    .kernarg_segment_align: 8
    .kernarg_segment_size: 88
    .language:       OpenCL C
    .language_version:
      - 2
      - 0
    .max_flat_workgroup_size: 256
    .name:           _ZN7rocprim17ROCPRIM_400000_NS6detail17trampoline_kernelINS0_14default_configENS1_36segmented_radix_sort_config_selectorIflEEZNS1_25segmented_radix_sort_implIS3_Lb0EPKfPfPKlPlN2at6native12_GLOBAL__N_18offset_tEEE10hipError_tPvRmT1_PNSt15iterator_traitsISK_E10value_typeET2_T3_PNSL_ISQ_E10value_typeET4_jRbjT5_SW_jjP12ihipStream_tbEUlT_E0_NS1_11comp_targetILNS1_3genE4ELNS1_11target_archE910ELNS1_3gpuE8ELNS1_3repE0EEENS1_60segmented_radix_sort_warp_sort_medium_config_static_selectorELNS0_4arch9wavefront6targetE0EEEvSK_
    .private_segment_fixed_size: 0
    .sgpr_count:     0
    .sgpr_spill_count: 0
    .symbol:         _ZN7rocprim17ROCPRIM_400000_NS6detail17trampoline_kernelINS0_14default_configENS1_36segmented_radix_sort_config_selectorIflEEZNS1_25segmented_radix_sort_implIS3_Lb0EPKfPfPKlPlN2at6native12_GLOBAL__N_18offset_tEEE10hipError_tPvRmT1_PNSt15iterator_traitsISK_E10value_typeET2_T3_PNSL_ISQ_E10value_typeET4_jRbjT5_SW_jjP12ihipStream_tbEUlT_E0_NS1_11comp_targetILNS1_3genE4ELNS1_11target_archE910ELNS1_3gpuE8ELNS1_3repE0EEENS1_60segmented_radix_sort_warp_sort_medium_config_static_selectorELNS0_4arch9wavefront6targetE0EEEvSK_.kd
    .uniform_work_group_size: 1
    .uses_dynamic_stack: false
    .vgpr_count:     0
    .vgpr_spill_count: 0
    .wavefront_size: 32
    .workgroup_processor_mode: 1
  - .args:
      - .offset:         0
        .size:           88
        .value_kind:     by_value
    .group_segment_fixed_size: 0
    .kernarg_segment_align: 8
    .kernarg_segment_size: 88
    .language:       OpenCL C
    .language_version:
      - 2
      - 0
    .max_flat_workgroup_size: 256
    .name:           _ZN7rocprim17ROCPRIM_400000_NS6detail17trampoline_kernelINS0_14default_configENS1_36segmented_radix_sort_config_selectorIflEEZNS1_25segmented_radix_sort_implIS3_Lb0EPKfPfPKlPlN2at6native12_GLOBAL__N_18offset_tEEE10hipError_tPvRmT1_PNSt15iterator_traitsISK_E10value_typeET2_T3_PNSL_ISQ_E10value_typeET4_jRbjT5_SW_jjP12ihipStream_tbEUlT_E0_NS1_11comp_targetILNS1_3genE3ELNS1_11target_archE908ELNS1_3gpuE7ELNS1_3repE0EEENS1_60segmented_radix_sort_warp_sort_medium_config_static_selectorELNS0_4arch9wavefront6targetE0EEEvSK_
    .private_segment_fixed_size: 0
    .sgpr_count:     0
    .sgpr_spill_count: 0
    .symbol:         _ZN7rocprim17ROCPRIM_400000_NS6detail17trampoline_kernelINS0_14default_configENS1_36segmented_radix_sort_config_selectorIflEEZNS1_25segmented_radix_sort_implIS3_Lb0EPKfPfPKlPlN2at6native12_GLOBAL__N_18offset_tEEE10hipError_tPvRmT1_PNSt15iterator_traitsISK_E10value_typeET2_T3_PNSL_ISQ_E10value_typeET4_jRbjT5_SW_jjP12ihipStream_tbEUlT_E0_NS1_11comp_targetILNS1_3genE3ELNS1_11target_archE908ELNS1_3gpuE7ELNS1_3repE0EEENS1_60segmented_radix_sort_warp_sort_medium_config_static_selectorELNS0_4arch9wavefront6targetE0EEEvSK_.kd
    .uniform_work_group_size: 1
    .uses_dynamic_stack: false
    .vgpr_count:     0
    .vgpr_spill_count: 0
    .wavefront_size: 32
    .workgroup_processor_mode: 1
  - .args:
      - .offset:         0
        .size:           88
        .value_kind:     by_value
    .group_segment_fixed_size: 0
    .kernarg_segment_align: 8
    .kernarg_segment_size: 88
    .language:       OpenCL C
    .language_version:
      - 2
      - 0
    .max_flat_workgroup_size: 256
    .name:           _ZN7rocprim17ROCPRIM_400000_NS6detail17trampoline_kernelINS0_14default_configENS1_36segmented_radix_sort_config_selectorIflEEZNS1_25segmented_radix_sort_implIS3_Lb0EPKfPfPKlPlN2at6native12_GLOBAL__N_18offset_tEEE10hipError_tPvRmT1_PNSt15iterator_traitsISK_E10value_typeET2_T3_PNSL_ISQ_E10value_typeET4_jRbjT5_SW_jjP12ihipStream_tbEUlT_E0_NS1_11comp_targetILNS1_3genE2ELNS1_11target_archE906ELNS1_3gpuE6ELNS1_3repE0EEENS1_60segmented_radix_sort_warp_sort_medium_config_static_selectorELNS0_4arch9wavefront6targetE0EEEvSK_
    .private_segment_fixed_size: 0
    .sgpr_count:     0
    .sgpr_spill_count: 0
    .symbol:         _ZN7rocprim17ROCPRIM_400000_NS6detail17trampoline_kernelINS0_14default_configENS1_36segmented_radix_sort_config_selectorIflEEZNS1_25segmented_radix_sort_implIS3_Lb0EPKfPfPKlPlN2at6native12_GLOBAL__N_18offset_tEEE10hipError_tPvRmT1_PNSt15iterator_traitsISK_E10value_typeET2_T3_PNSL_ISQ_E10value_typeET4_jRbjT5_SW_jjP12ihipStream_tbEUlT_E0_NS1_11comp_targetILNS1_3genE2ELNS1_11target_archE906ELNS1_3gpuE6ELNS1_3repE0EEENS1_60segmented_radix_sort_warp_sort_medium_config_static_selectorELNS0_4arch9wavefront6targetE0EEEvSK_.kd
    .uniform_work_group_size: 1
    .uses_dynamic_stack: false
    .vgpr_count:     0
    .vgpr_spill_count: 0
    .wavefront_size: 32
    .workgroup_processor_mode: 1
  - .args:
      - .offset:         0
        .size:           88
        .value_kind:     by_value
      - .offset:         88
        .size:           4
        .value_kind:     hidden_block_count_x
      - .offset:         92
        .size:           4
        .value_kind:     hidden_block_count_y
      - .offset:         96
        .size:           4
        .value_kind:     hidden_block_count_z
      - .offset:         100
        .size:           2
        .value_kind:     hidden_group_size_x
      - .offset:         102
        .size:           2
        .value_kind:     hidden_group_size_y
      - .offset:         104
        .size:           2
        .value_kind:     hidden_group_size_z
      - .offset:         106
        .size:           2
        .value_kind:     hidden_remainder_x
      - .offset:         108
        .size:           2
        .value_kind:     hidden_remainder_y
      - .offset:         110
        .size:           2
        .value_kind:     hidden_remainder_z
      - .offset:         128
        .size:           8
        .value_kind:     hidden_global_offset_x
      - .offset:         136
        .size:           8
        .value_kind:     hidden_global_offset_y
      - .offset:         144
        .size:           8
        .value_kind:     hidden_global_offset_z
      - .offset:         152
        .size:           2
        .value_kind:     hidden_grid_dims
    .group_segment_fixed_size: 24576
    .kernarg_segment_align: 8
    .kernarg_segment_size: 344
    .language:       OpenCL C
    .language_version:
      - 2
      - 0
    .max_flat_workgroup_size: 256
    .name:           _ZN7rocprim17ROCPRIM_400000_NS6detail17trampoline_kernelINS0_14default_configENS1_36segmented_radix_sort_config_selectorIflEEZNS1_25segmented_radix_sort_implIS3_Lb0EPKfPfPKlPlN2at6native12_GLOBAL__N_18offset_tEEE10hipError_tPvRmT1_PNSt15iterator_traitsISK_E10value_typeET2_T3_PNSL_ISQ_E10value_typeET4_jRbjT5_SW_jjP12ihipStream_tbEUlT_E0_NS1_11comp_targetILNS1_3genE10ELNS1_11target_archE1201ELNS1_3gpuE5ELNS1_3repE0EEENS1_60segmented_radix_sort_warp_sort_medium_config_static_selectorELNS0_4arch9wavefront6targetE0EEEvSK_
    .private_segment_fixed_size: 0
    .sgpr_count:     46
    .sgpr_spill_count: 0
    .symbol:         _ZN7rocprim17ROCPRIM_400000_NS6detail17trampoline_kernelINS0_14default_configENS1_36segmented_radix_sort_config_selectorIflEEZNS1_25segmented_radix_sort_implIS3_Lb0EPKfPfPKlPlN2at6native12_GLOBAL__N_18offset_tEEE10hipError_tPvRmT1_PNSt15iterator_traitsISK_E10value_typeET2_T3_PNSL_ISQ_E10value_typeET4_jRbjT5_SW_jjP12ihipStream_tbEUlT_E0_NS1_11comp_targetILNS1_3genE10ELNS1_11target_archE1201ELNS1_3gpuE5ELNS1_3repE0EEENS1_60segmented_radix_sort_warp_sort_medium_config_static_selectorELNS0_4arch9wavefront6targetE0EEEvSK_.kd
    .uniform_work_group_size: 1
    .uses_dynamic_stack: false
    .vgpr_count:     81
    .vgpr_spill_count: 0
    .wavefront_size: 32
    .workgroup_processor_mode: 1
  - .args:
      - .offset:         0
        .size:           88
        .value_kind:     by_value
    .group_segment_fixed_size: 0
    .kernarg_segment_align: 8
    .kernarg_segment_size: 88
    .language:       OpenCL C
    .language_version:
      - 2
      - 0
    .max_flat_workgroup_size: 256
    .name:           _ZN7rocprim17ROCPRIM_400000_NS6detail17trampoline_kernelINS0_14default_configENS1_36segmented_radix_sort_config_selectorIflEEZNS1_25segmented_radix_sort_implIS3_Lb0EPKfPfPKlPlN2at6native12_GLOBAL__N_18offset_tEEE10hipError_tPvRmT1_PNSt15iterator_traitsISK_E10value_typeET2_T3_PNSL_ISQ_E10value_typeET4_jRbjT5_SW_jjP12ihipStream_tbEUlT_E0_NS1_11comp_targetILNS1_3genE10ELNS1_11target_archE1200ELNS1_3gpuE4ELNS1_3repE0EEENS1_60segmented_radix_sort_warp_sort_medium_config_static_selectorELNS0_4arch9wavefront6targetE0EEEvSK_
    .private_segment_fixed_size: 0
    .sgpr_count:     0
    .sgpr_spill_count: 0
    .symbol:         _ZN7rocprim17ROCPRIM_400000_NS6detail17trampoline_kernelINS0_14default_configENS1_36segmented_radix_sort_config_selectorIflEEZNS1_25segmented_radix_sort_implIS3_Lb0EPKfPfPKlPlN2at6native12_GLOBAL__N_18offset_tEEE10hipError_tPvRmT1_PNSt15iterator_traitsISK_E10value_typeET2_T3_PNSL_ISQ_E10value_typeET4_jRbjT5_SW_jjP12ihipStream_tbEUlT_E0_NS1_11comp_targetILNS1_3genE10ELNS1_11target_archE1200ELNS1_3gpuE4ELNS1_3repE0EEENS1_60segmented_radix_sort_warp_sort_medium_config_static_selectorELNS0_4arch9wavefront6targetE0EEEvSK_.kd
    .uniform_work_group_size: 1
    .uses_dynamic_stack: false
    .vgpr_count:     0
    .vgpr_spill_count: 0
    .wavefront_size: 32
    .workgroup_processor_mode: 1
  - .args:
      - .offset:         0
        .size:           88
        .value_kind:     by_value
    .group_segment_fixed_size: 0
    .kernarg_segment_align: 8
    .kernarg_segment_size: 88
    .language:       OpenCL C
    .language_version:
      - 2
      - 0
    .max_flat_workgroup_size: 256
    .name:           _ZN7rocprim17ROCPRIM_400000_NS6detail17trampoline_kernelINS0_14default_configENS1_36segmented_radix_sort_config_selectorIflEEZNS1_25segmented_radix_sort_implIS3_Lb0EPKfPfPKlPlN2at6native12_GLOBAL__N_18offset_tEEE10hipError_tPvRmT1_PNSt15iterator_traitsISK_E10value_typeET2_T3_PNSL_ISQ_E10value_typeET4_jRbjT5_SW_jjP12ihipStream_tbEUlT_E0_NS1_11comp_targetILNS1_3genE9ELNS1_11target_archE1100ELNS1_3gpuE3ELNS1_3repE0EEENS1_60segmented_radix_sort_warp_sort_medium_config_static_selectorELNS0_4arch9wavefront6targetE0EEEvSK_
    .private_segment_fixed_size: 0
    .sgpr_count:     0
    .sgpr_spill_count: 0
    .symbol:         _ZN7rocprim17ROCPRIM_400000_NS6detail17trampoline_kernelINS0_14default_configENS1_36segmented_radix_sort_config_selectorIflEEZNS1_25segmented_radix_sort_implIS3_Lb0EPKfPfPKlPlN2at6native12_GLOBAL__N_18offset_tEEE10hipError_tPvRmT1_PNSt15iterator_traitsISK_E10value_typeET2_T3_PNSL_ISQ_E10value_typeET4_jRbjT5_SW_jjP12ihipStream_tbEUlT_E0_NS1_11comp_targetILNS1_3genE9ELNS1_11target_archE1100ELNS1_3gpuE3ELNS1_3repE0EEENS1_60segmented_radix_sort_warp_sort_medium_config_static_selectorELNS0_4arch9wavefront6targetE0EEEvSK_.kd
    .uniform_work_group_size: 1
    .uses_dynamic_stack: false
    .vgpr_count:     0
    .vgpr_spill_count: 0
    .wavefront_size: 32
    .workgroup_processor_mode: 1
  - .args:
      - .offset:         0
        .size:           88
        .value_kind:     by_value
    .group_segment_fixed_size: 0
    .kernarg_segment_align: 8
    .kernarg_segment_size: 88
    .language:       OpenCL C
    .language_version:
      - 2
      - 0
    .max_flat_workgroup_size: 256
    .name:           _ZN7rocprim17ROCPRIM_400000_NS6detail17trampoline_kernelINS0_14default_configENS1_36segmented_radix_sort_config_selectorIflEEZNS1_25segmented_radix_sort_implIS3_Lb0EPKfPfPKlPlN2at6native12_GLOBAL__N_18offset_tEEE10hipError_tPvRmT1_PNSt15iterator_traitsISK_E10value_typeET2_T3_PNSL_ISQ_E10value_typeET4_jRbjT5_SW_jjP12ihipStream_tbEUlT_E0_NS1_11comp_targetILNS1_3genE8ELNS1_11target_archE1030ELNS1_3gpuE2ELNS1_3repE0EEENS1_60segmented_radix_sort_warp_sort_medium_config_static_selectorELNS0_4arch9wavefront6targetE0EEEvSK_
    .private_segment_fixed_size: 0
    .sgpr_count:     0
    .sgpr_spill_count: 0
    .symbol:         _ZN7rocprim17ROCPRIM_400000_NS6detail17trampoline_kernelINS0_14default_configENS1_36segmented_radix_sort_config_selectorIflEEZNS1_25segmented_radix_sort_implIS3_Lb0EPKfPfPKlPlN2at6native12_GLOBAL__N_18offset_tEEE10hipError_tPvRmT1_PNSt15iterator_traitsISK_E10value_typeET2_T3_PNSL_ISQ_E10value_typeET4_jRbjT5_SW_jjP12ihipStream_tbEUlT_E0_NS1_11comp_targetILNS1_3genE8ELNS1_11target_archE1030ELNS1_3gpuE2ELNS1_3repE0EEENS1_60segmented_radix_sort_warp_sort_medium_config_static_selectorELNS0_4arch9wavefront6targetE0EEEvSK_.kd
    .uniform_work_group_size: 1
    .uses_dynamic_stack: false
    .vgpr_count:     0
    .vgpr_spill_count: 0
    .wavefront_size: 32
    .workgroup_processor_mode: 1
  - .args:
      - .offset:         0
        .size:           88
        .value_kind:     by_value
    .group_segment_fixed_size: 0
    .kernarg_segment_align: 8
    .kernarg_segment_size: 88
    .language:       OpenCL C
    .language_version:
      - 2
      - 0
    .max_flat_workgroup_size: 256
    .name:           _ZN7rocprim17ROCPRIM_400000_NS6detail17trampoline_kernelINS0_14default_configENS1_36segmented_radix_sort_config_selectorIflEEZNS1_25segmented_radix_sort_implIS3_Lb0EPKfPfPKlPlN2at6native12_GLOBAL__N_18offset_tEEE10hipError_tPvRmT1_PNSt15iterator_traitsISK_E10value_typeET2_T3_PNSL_ISQ_E10value_typeET4_jRbjT5_SW_jjP12ihipStream_tbEUlT_E1_NS1_11comp_targetILNS1_3genE0ELNS1_11target_archE4294967295ELNS1_3gpuE0ELNS1_3repE0EEENS1_59segmented_radix_sort_warp_sort_small_config_static_selectorELNS0_4arch9wavefront6targetE0EEEvSK_
    .private_segment_fixed_size: 0
    .sgpr_count:     0
    .sgpr_spill_count: 0
    .symbol:         _ZN7rocprim17ROCPRIM_400000_NS6detail17trampoline_kernelINS0_14default_configENS1_36segmented_radix_sort_config_selectorIflEEZNS1_25segmented_radix_sort_implIS3_Lb0EPKfPfPKlPlN2at6native12_GLOBAL__N_18offset_tEEE10hipError_tPvRmT1_PNSt15iterator_traitsISK_E10value_typeET2_T3_PNSL_ISQ_E10value_typeET4_jRbjT5_SW_jjP12ihipStream_tbEUlT_E1_NS1_11comp_targetILNS1_3genE0ELNS1_11target_archE4294967295ELNS1_3gpuE0ELNS1_3repE0EEENS1_59segmented_radix_sort_warp_sort_small_config_static_selectorELNS0_4arch9wavefront6targetE0EEEvSK_.kd
    .uniform_work_group_size: 1
    .uses_dynamic_stack: false
    .vgpr_count:     0
    .vgpr_spill_count: 0
    .wavefront_size: 32
    .workgroup_processor_mode: 1
  - .args:
      - .offset:         0
        .size:           88
        .value_kind:     by_value
    .group_segment_fixed_size: 0
    .kernarg_segment_align: 8
    .kernarg_segment_size: 88
    .language:       OpenCL C
    .language_version:
      - 2
      - 0
    .max_flat_workgroup_size: 256
    .name:           _ZN7rocprim17ROCPRIM_400000_NS6detail17trampoline_kernelINS0_14default_configENS1_36segmented_radix_sort_config_selectorIflEEZNS1_25segmented_radix_sort_implIS3_Lb0EPKfPfPKlPlN2at6native12_GLOBAL__N_18offset_tEEE10hipError_tPvRmT1_PNSt15iterator_traitsISK_E10value_typeET2_T3_PNSL_ISQ_E10value_typeET4_jRbjT5_SW_jjP12ihipStream_tbEUlT_E1_NS1_11comp_targetILNS1_3genE5ELNS1_11target_archE942ELNS1_3gpuE9ELNS1_3repE0EEENS1_59segmented_radix_sort_warp_sort_small_config_static_selectorELNS0_4arch9wavefront6targetE0EEEvSK_
    .private_segment_fixed_size: 0
    .sgpr_count:     0
    .sgpr_spill_count: 0
    .symbol:         _ZN7rocprim17ROCPRIM_400000_NS6detail17trampoline_kernelINS0_14default_configENS1_36segmented_radix_sort_config_selectorIflEEZNS1_25segmented_radix_sort_implIS3_Lb0EPKfPfPKlPlN2at6native12_GLOBAL__N_18offset_tEEE10hipError_tPvRmT1_PNSt15iterator_traitsISK_E10value_typeET2_T3_PNSL_ISQ_E10value_typeET4_jRbjT5_SW_jjP12ihipStream_tbEUlT_E1_NS1_11comp_targetILNS1_3genE5ELNS1_11target_archE942ELNS1_3gpuE9ELNS1_3repE0EEENS1_59segmented_radix_sort_warp_sort_small_config_static_selectorELNS0_4arch9wavefront6targetE0EEEvSK_.kd
    .uniform_work_group_size: 1
    .uses_dynamic_stack: false
    .vgpr_count:     0
    .vgpr_spill_count: 0
    .wavefront_size: 32
    .workgroup_processor_mode: 1
  - .args:
      - .offset:         0
        .size:           88
        .value_kind:     by_value
    .group_segment_fixed_size: 0
    .kernarg_segment_align: 8
    .kernarg_segment_size: 88
    .language:       OpenCL C
    .language_version:
      - 2
      - 0
    .max_flat_workgroup_size: 256
    .name:           _ZN7rocprim17ROCPRIM_400000_NS6detail17trampoline_kernelINS0_14default_configENS1_36segmented_radix_sort_config_selectorIflEEZNS1_25segmented_radix_sort_implIS3_Lb0EPKfPfPKlPlN2at6native12_GLOBAL__N_18offset_tEEE10hipError_tPvRmT1_PNSt15iterator_traitsISK_E10value_typeET2_T3_PNSL_ISQ_E10value_typeET4_jRbjT5_SW_jjP12ihipStream_tbEUlT_E1_NS1_11comp_targetILNS1_3genE4ELNS1_11target_archE910ELNS1_3gpuE8ELNS1_3repE0EEENS1_59segmented_radix_sort_warp_sort_small_config_static_selectorELNS0_4arch9wavefront6targetE0EEEvSK_
    .private_segment_fixed_size: 0
    .sgpr_count:     0
    .sgpr_spill_count: 0
    .symbol:         _ZN7rocprim17ROCPRIM_400000_NS6detail17trampoline_kernelINS0_14default_configENS1_36segmented_radix_sort_config_selectorIflEEZNS1_25segmented_radix_sort_implIS3_Lb0EPKfPfPKlPlN2at6native12_GLOBAL__N_18offset_tEEE10hipError_tPvRmT1_PNSt15iterator_traitsISK_E10value_typeET2_T3_PNSL_ISQ_E10value_typeET4_jRbjT5_SW_jjP12ihipStream_tbEUlT_E1_NS1_11comp_targetILNS1_3genE4ELNS1_11target_archE910ELNS1_3gpuE8ELNS1_3repE0EEENS1_59segmented_radix_sort_warp_sort_small_config_static_selectorELNS0_4arch9wavefront6targetE0EEEvSK_.kd
    .uniform_work_group_size: 1
    .uses_dynamic_stack: false
    .vgpr_count:     0
    .vgpr_spill_count: 0
    .wavefront_size: 32
    .workgroup_processor_mode: 1
  - .args:
      - .offset:         0
        .size:           88
        .value_kind:     by_value
    .group_segment_fixed_size: 0
    .kernarg_segment_align: 8
    .kernarg_segment_size: 88
    .language:       OpenCL C
    .language_version:
      - 2
      - 0
    .max_flat_workgroup_size: 256
    .name:           _ZN7rocprim17ROCPRIM_400000_NS6detail17trampoline_kernelINS0_14default_configENS1_36segmented_radix_sort_config_selectorIflEEZNS1_25segmented_radix_sort_implIS3_Lb0EPKfPfPKlPlN2at6native12_GLOBAL__N_18offset_tEEE10hipError_tPvRmT1_PNSt15iterator_traitsISK_E10value_typeET2_T3_PNSL_ISQ_E10value_typeET4_jRbjT5_SW_jjP12ihipStream_tbEUlT_E1_NS1_11comp_targetILNS1_3genE3ELNS1_11target_archE908ELNS1_3gpuE7ELNS1_3repE0EEENS1_59segmented_radix_sort_warp_sort_small_config_static_selectorELNS0_4arch9wavefront6targetE0EEEvSK_
    .private_segment_fixed_size: 0
    .sgpr_count:     0
    .sgpr_spill_count: 0
    .symbol:         _ZN7rocprim17ROCPRIM_400000_NS6detail17trampoline_kernelINS0_14default_configENS1_36segmented_radix_sort_config_selectorIflEEZNS1_25segmented_radix_sort_implIS3_Lb0EPKfPfPKlPlN2at6native12_GLOBAL__N_18offset_tEEE10hipError_tPvRmT1_PNSt15iterator_traitsISK_E10value_typeET2_T3_PNSL_ISQ_E10value_typeET4_jRbjT5_SW_jjP12ihipStream_tbEUlT_E1_NS1_11comp_targetILNS1_3genE3ELNS1_11target_archE908ELNS1_3gpuE7ELNS1_3repE0EEENS1_59segmented_radix_sort_warp_sort_small_config_static_selectorELNS0_4arch9wavefront6targetE0EEEvSK_.kd
    .uniform_work_group_size: 1
    .uses_dynamic_stack: false
    .vgpr_count:     0
    .vgpr_spill_count: 0
    .wavefront_size: 32
    .workgroup_processor_mode: 1
  - .args:
      - .offset:         0
        .size:           88
        .value_kind:     by_value
    .group_segment_fixed_size: 0
    .kernarg_segment_align: 8
    .kernarg_segment_size: 88
    .language:       OpenCL C
    .language_version:
      - 2
      - 0
    .max_flat_workgroup_size: 256
    .name:           _ZN7rocprim17ROCPRIM_400000_NS6detail17trampoline_kernelINS0_14default_configENS1_36segmented_radix_sort_config_selectorIflEEZNS1_25segmented_radix_sort_implIS3_Lb0EPKfPfPKlPlN2at6native12_GLOBAL__N_18offset_tEEE10hipError_tPvRmT1_PNSt15iterator_traitsISK_E10value_typeET2_T3_PNSL_ISQ_E10value_typeET4_jRbjT5_SW_jjP12ihipStream_tbEUlT_E1_NS1_11comp_targetILNS1_3genE2ELNS1_11target_archE906ELNS1_3gpuE6ELNS1_3repE0EEENS1_59segmented_radix_sort_warp_sort_small_config_static_selectorELNS0_4arch9wavefront6targetE0EEEvSK_
    .private_segment_fixed_size: 0
    .sgpr_count:     0
    .sgpr_spill_count: 0
    .symbol:         _ZN7rocprim17ROCPRIM_400000_NS6detail17trampoline_kernelINS0_14default_configENS1_36segmented_radix_sort_config_selectorIflEEZNS1_25segmented_radix_sort_implIS3_Lb0EPKfPfPKlPlN2at6native12_GLOBAL__N_18offset_tEEE10hipError_tPvRmT1_PNSt15iterator_traitsISK_E10value_typeET2_T3_PNSL_ISQ_E10value_typeET4_jRbjT5_SW_jjP12ihipStream_tbEUlT_E1_NS1_11comp_targetILNS1_3genE2ELNS1_11target_archE906ELNS1_3gpuE6ELNS1_3repE0EEENS1_59segmented_radix_sort_warp_sort_small_config_static_selectorELNS0_4arch9wavefront6targetE0EEEvSK_.kd
    .uniform_work_group_size: 1
    .uses_dynamic_stack: false
    .vgpr_count:     0
    .vgpr_spill_count: 0
    .wavefront_size: 32
    .workgroup_processor_mode: 1
  - .args:
      - .offset:         0
        .size:           88
        .value_kind:     by_value
      - .offset:         88
        .size:           4
        .value_kind:     hidden_block_count_x
      - .offset:         92
        .size:           4
        .value_kind:     hidden_block_count_y
      - .offset:         96
        .size:           4
        .value_kind:     hidden_block_count_z
      - .offset:         100
        .size:           2
        .value_kind:     hidden_group_size_x
      - .offset:         102
        .size:           2
        .value_kind:     hidden_group_size_y
      - .offset:         104
        .size:           2
        .value_kind:     hidden_group_size_z
      - .offset:         106
        .size:           2
        .value_kind:     hidden_remainder_x
      - .offset:         108
        .size:           2
        .value_kind:     hidden_remainder_y
      - .offset:         110
        .size:           2
        .value_kind:     hidden_remainder_z
      - .offset:         128
        .size:           8
        .value_kind:     hidden_global_offset_x
      - .offset:         136
        .size:           8
        .value_kind:     hidden_global_offset_y
      - .offset:         144
        .size:           8
        .value_kind:     hidden_global_offset_z
      - .offset:         152
        .size:           2
        .value_kind:     hidden_grid_dims
    .group_segment_fixed_size: 12288
    .kernarg_segment_align: 8
    .kernarg_segment_size: 344
    .language:       OpenCL C
    .language_version:
      - 2
      - 0
    .max_flat_workgroup_size: 256
    .name:           _ZN7rocprim17ROCPRIM_400000_NS6detail17trampoline_kernelINS0_14default_configENS1_36segmented_radix_sort_config_selectorIflEEZNS1_25segmented_radix_sort_implIS3_Lb0EPKfPfPKlPlN2at6native12_GLOBAL__N_18offset_tEEE10hipError_tPvRmT1_PNSt15iterator_traitsISK_E10value_typeET2_T3_PNSL_ISQ_E10value_typeET4_jRbjT5_SW_jjP12ihipStream_tbEUlT_E1_NS1_11comp_targetILNS1_3genE10ELNS1_11target_archE1201ELNS1_3gpuE5ELNS1_3repE0EEENS1_59segmented_radix_sort_warp_sort_small_config_static_selectorELNS0_4arch9wavefront6targetE0EEEvSK_
    .private_segment_fixed_size: 0
    .sgpr_count:     35
    .sgpr_spill_count: 0
    .symbol:         _ZN7rocprim17ROCPRIM_400000_NS6detail17trampoline_kernelINS0_14default_configENS1_36segmented_radix_sort_config_selectorIflEEZNS1_25segmented_radix_sort_implIS3_Lb0EPKfPfPKlPlN2at6native12_GLOBAL__N_18offset_tEEE10hipError_tPvRmT1_PNSt15iterator_traitsISK_E10value_typeET2_T3_PNSL_ISQ_E10value_typeET4_jRbjT5_SW_jjP12ihipStream_tbEUlT_E1_NS1_11comp_targetILNS1_3genE10ELNS1_11target_archE1201ELNS1_3gpuE5ELNS1_3repE0EEENS1_59segmented_radix_sort_warp_sort_small_config_static_selectorELNS0_4arch9wavefront6targetE0EEEvSK_.kd
    .uniform_work_group_size: 1
    .uses_dynamic_stack: false
    .vgpr_count:     66
    .vgpr_spill_count: 0
    .wavefront_size: 32
    .workgroup_processor_mode: 1
  - .args:
      - .offset:         0
        .size:           88
        .value_kind:     by_value
    .group_segment_fixed_size: 0
    .kernarg_segment_align: 8
    .kernarg_segment_size: 88
    .language:       OpenCL C
    .language_version:
      - 2
      - 0
    .max_flat_workgroup_size: 256
    .name:           _ZN7rocprim17ROCPRIM_400000_NS6detail17trampoline_kernelINS0_14default_configENS1_36segmented_radix_sort_config_selectorIflEEZNS1_25segmented_radix_sort_implIS3_Lb0EPKfPfPKlPlN2at6native12_GLOBAL__N_18offset_tEEE10hipError_tPvRmT1_PNSt15iterator_traitsISK_E10value_typeET2_T3_PNSL_ISQ_E10value_typeET4_jRbjT5_SW_jjP12ihipStream_tbEUlT_E1_NS1_11comp_targetILNS1_3genE10ELNS1_11target_archE1200ELNS1_3gpuE4ELNS1_3repE0EEENS1_59segmented_radix_sort_warp_sort_small_config_static_selectorELNS0_4arch9wavefront6targetE0EEEvSK_
    .private_segment_fixed_size: 0
    .sgpr_count:     0
    .sgpr_spill_count: 0
    .symbol:         _ZN7rocprim17ROCPRIM_400000_NS6detail17trampoline_kernelINS0_14default_configENS1_36segmented_radix_sort_config_selectorIflEEZNS1_25segmented_radix_sort_implIS3_Lb0EPKfPfPKlPlN2at6native12_GLOBAL__N_18offset_tEEE10hipError_tPvRmT1_PNSt15iterator_traitsISK_E10value_typeET2_T3_PNSL_ISQ_E10value_typeET4_jRbjT5_SW_jjP12ihipStream_tbEUlT_E1_NS1_11comp_targetILNS1_3genE10ELNS1_11target_archE1200ELNS1_3gpuE4ELNS1_3repE0EEENS1_59segmented_radix_sort_warp_sort_small_config_static_selectorELNS0_4arch9wavefront6targetE0EEEvSK_.kd
    .uniform_work_group_size: 1
    .uses_dynamic_stack: false
    .vgpr_count:     0
    .vgpr_spill_count: 0
    .wavefront_size: 32
    .workgroup_processor_mode: 1
  - .args:
      - .offset:         0
        .size:           88
        .value_kind:     by_value
    .group_segment_fixed_size: 0
    .kernarg_segment_align: 8
    .kernarg_segment_size: 88
    .language:       OpenCL C
    .language_version:
      - 2
      - 0
    .max_flat_workgroup_size: 256
    .name:           _ZN7rocprim17ROCPRIM_400000_NS6detail17trampoline_kernelINS0_14default_configENS1_36segmented_radix_sort_config_selectorIflEEZNS1_25segmented_radix_sort_implIS3_Lb0EPKfPfPKlPlN2at6native12_GLOBAL__N_18offset_tEEE10hipError_tPvRmT1_PNSt15iterator_traitsISK_E10value_typeET2_T3_PNSL_ISQ_E10value_typeET4_jRbjT5_SW_jjP12ihipStream_tbEUlT_E1_NS1_11comp_targetILNS1_3genE9ELNS1_11target_archE1100ELNS1_3gpuE3ELNS1_3repE0EEENS1_59segmented_radix_sort_warp_sort_small_config_static_selectorELNS0_4arch9wavefront6targetE0EEEvSK_
    .private_segment_fixed_size: 0
    .sgpr_count:     0
    .sgpr_spill_count: 0
    .symbol:         _ZN7rocprim17ROCPRIM_400000_NS6detail17trampoline_kernelINS0_14default_configENS1_36segmented_radix_sort_config_selectorIflEEZNS1_25segmented_radix_sort_implIS3_Lb0EPKfPfPKlPlN2at6native12_GLOBAL__N_18offset_tEEE10hipError_tPvRmT1_PNSt15iterator_traitsISK_E10value_typeET2_T3_PNSL_ISQ_E10value_typeET4_jRbjT5_SW_jjP12ihipStream_tbEUlT_E1_NS1_11comp_targetILNS1_3genE9ELNS1_11target_archE1100ELNS1_3gpuE3ELNS1_3repE0EEENS1_59segmented_radix_sort_warp_sort_small_config_static_selectorELNS0_4arch9wavefront6targetE0EEEvSK_.kd
    .uniform_work_group_size: 1
    .uses_dynamic_stack: false
    .vgpr_count:     0
    .vgpr_spill_count: 0
    .wavefront_size: 32
    .workgroup_processor_mode: 1
  - .args:
      - .offset:         0
        .size:           88
        .value_kind:     by_value
    .group_segment_fixed_size: 0
    .kernarg_segment_align: 8
    .kernarg_segment_size: 88
    .language:       OpenCL C
    .language_version:
      - 2
      - 0
    .max_flat_workgroup_size: 256
    .name:           _ZN7rocprim17ROCPRIM_400000_NS6detail17trampoline_kernelINS0_14default_configENS1_36segmented_radix_sort_config_selectorIflEEZNS1_25segmented_radix_sort_implIS3_Lb0EPKfPfPKlPlN2at6native12_GLOBAL__N_18offset_tEEE10hipError_tPvRmT1_PNSt15iterator_traitsISK_E10value_typeET2_T3_PNSL_ISQ_E10value_typeET4_jRbjT5_SW_jjP12ihipStream_tbEUlT_E1_NS1_11comp_targetILNS1_3genE8ELNS1_11target_archE1030ELNS1_3gpuE2ELNS1_3repE0EEENS1_59segmented_radix_sort_warp_sort_small_config_static_selectorELNS0_4arch9wavefront6targetE0EEEvSK_
    .private_segment_fixed_size: 0
    .sgpr_count:     0
    .sgpr_spill_count: 0
    .symbol:         _ZN7rocprim17ROCPRIM_400000_NS6detail17trampoline_kernelINS0_14default_configENS1_36segmented_radix_sort_config_selectorIflEEZNS1_25segmented_radix_sort_implIS3_Lb0EPKfPfPKlPlN2at6native12_GLOBAL__N_18offset_tEEE10hipError_tPvRmT1_PNSt15iterator_traitsISK_E10value_typeET2_T3_PNSL_ISQ_E10value_typeET4_jRbjT5_SW_jjP12ihipStream_tbEUlT_E1_NS1_11comp_targetILNS1_3genE8ELNS1_11target_archE1030ELNS1_3gpuE2ELNS1_3repE0EEENS1_59segmented_radix_sort_warp_sort_small_config_static_selectorELNS0_4arch9wavefront6targetE0EEEvSK_.kd
    .uniform_work_group_size: 1
    .uses_dynamic_stack: false
    .vgpr_count:     0
    .vgpr_spill_count: 0
    .wavefront_size: 32
    .workgroup_processor_mode: 1
  - .args:
      - .offset:         0
        .size:           80
        .value_kind:     by_value
    .group_segment_fixed_size: 0
    .kernarg_segment_align: 8
    .kernarg_segment_size: 80
    .language:       OpenCL C
    .language_version:
      - 2
      - 0
    .max_flat_workgroup_size: 256
    .name:           _ZN7rocprim17ROCPRIM_400000_NS6detail17trampoline_kernelINS0_14default_configENS1_36segmented_radix_sort_config_selectorIflEEZNS1_25segmented_radix_sort_implIS3_Lb0EPKfPfPKlPlN2at6native12_GLOBAL__N_18offset_tEEE10hipError_tPvRmT1_PNSt15iterator_traitsISK_E10value_typeET2_T3_PNSL_ISQ_E10value_typeET4_jRbjT5_SW_jjP12ihipStream_tbEUlT_E2_NS1_11comp_targetILNS1_3genE0ELNS1_11target_archE4294967295ELNS1_3gpuE0ELNS1_3repE0EEENS1_30default_config_static_selectorELNS0_4arch9wavefront6targetE0EEEvSK_
    .private_segment_fixed_size: 0
    .sgpr_count:     0
    .sgpr_spill_count: 0
    .symbol:         _ZN7rocprim17ROCPRIM_400000_NS6detail17trampoline_kernelINS0_14default_configENS1_36segmented_radix_sort_config_selectorIflEEZNS1_25segmented_radix_sort_implIS3_Lb0EPKfPfPKlPlN2at6native12_GLOBAL__N_18offset_tEEE10hipError_tPvRmT1_PNSt15iterator_traitsISK_E10value_typeET2_T3_PNSL_ISQ_E10value_typeET4_jRbjT5_SW_jjP12ihipStream_tbEUlT_E2_NS1_11comp_targetILNS1_3genE0ELNS1_11target_archE4294967295ELNS1_3gpuE0ELNS1_3repE0EEENS1_30default_config_static_selectorELNS0_4arch9wavefront6targetE0EEEvSK_.kd
    .uniform_work_group_size: 1
    .uses_dynamic_stack: false
    .vgpr_count:     0
    .vgpr_spill_count: 0
    .wavefront_size: 32
    .workgroup_processor_mode: 1
  - .args:
      - .offset:         0
        .size:           80
        .value_kind:     by_value
    .group_segment_fixed_size: 0
    .kernarg_segment_align: 8
    .kernarg_segment_size: 80
    .language:       OpenCL C
    .language_version:
      - 2
      - 0
    .max_flat_workgroup_size: 256
    .name:           _ZN7rocprim17ROCPRIM_400000_NS6detail17trampoline_kernelINS0_14default_configENS1_36segmented_radix_sort_config_selectorIflEEZNS1_25segmented_radix_sort_implIS3_Lb0EPKfPfPKlPlN2at6native12_GLOBAL__N_18offset_tEEE10hipError_tPvRmT1_PNSt15iterator_traitsISK_E10value_typeET2_T3_PNSL_ISQ_E10value_typeET4_jRbjT5_SW_jjP12ihipStream_tbEUlT_E2_NS1_11comp_targetILNS1_3genE5ELNS1_11target_archE942ELNS1_3gpuE9ELNS1_3repE0EEENS1_30default_config_static_selectorELNS0_4arch9wavefront6targetE0EEEvSK_
    .private_segment_fixed_size: 0
    .sgpr_count:     0
    .sgpr_spill_count: 0
    .symbol:         _ZN7rocprim17ROCPRIM_400000_NS6detail17trampoline_kernelINS0_14default_configENS1_36segmented_radix_sort_config_selectorIflEEZNS1_25segmented_radix_sort_implIS3_Lb0EPKfPfPKlPlN2at6native12_GLOBAL__N_18offset_tEEE10hipError_tPvRmT1_PNSt15iterator_traitsISK_E10value_typeET2_T3_PNSL_ISQ_E10value_typeET4_jRbjT5_SW_jjP12ihipStream_tbEUlT_E2_NS1_11comp_targetILNS1_3genE5ELNS1_11target_archE942ELNS1_3gpuE9ELNS1_3repE0EEENS1_30default_config_static_selectorELNS0_4arch9wavefront6targetE0EEEvSK_.kd
    .uniform_work_group_size: 1
    .uses_dynamic_stack: false
    .vgpr_count:     0
    .vgpr_spill_count: 0
    .wavefront_size: 32
    .workgroup_processor_mode: 1
  - .args:
      - .offset:         0
        .size:           80
        .value_kind:     by_value
    .group_segment_fixed_size: 0
    .kernarg_segment_align: 8
    .kernarg_segment_size: 80
    .language:       OpenCL C
    .language_version:
      - 2
      - 0
    .max_flat_workgroup_size: 256
    .name:           _ZN7rocprim17ROCPRIM_400000_NS6detail17trampoline_kernelINS0_14default_configENS1_36segmented_radix_sort_config_selectorIflEEZNS1_25segmented_radix_sort_implIS3_Lb0EPKfPfPKlPlN2at6native12_GLOBAL__N_18offset_tEEE10hipError_tPvRmT1_PNSt15iterator_traitsISK_E10value_typeET2_T3_PNSL_ISQ_E10value_typeET4_jRbjT5_SW_jjP12ihipStream_tbEUlT_E2_NS1_11comp_targetILNS1_3genE4ELNS1_11target_archE910ELNS1_3gpuE8ELNS1_3repE0EEENS1_30default_config_static_selectorELNS0_4arch9wavefront6targetE0EEEvSK_
    .private_segment_fixed_size: 0
    .sgpr_count:     0
    .sgpr_spill_count: 0
    .symbol:         _ZN7rocprim17ROCPRIM_400000_NS6detail17trampoline_kernelINS0_14default_configENS1_36segmented_radix_sort_config_selectorIflEEZNS1_25segmented_radix_sort_implIS3_Lb0EPKfPfPKlPlN2at6native12_GLOBAL__N_18offset_tEEE10hipError_tPvRmT1_PNSt15iterator_traitsISK_E10value_typeET2_T3_PNSL_ISQ_E10value_typeET4_jRbjT5_SW_jjP12ihipStream_tbEUlT_E2_NS1_11comp_targetILNS1_3genE4ELNS1_11target_archE910ELNS1_3gpuE8ELNS1_3repE0EEENS1_30default_config_static_selectorELNS0_4arch9wavefront6targetE0EEEvSK_.kd
    .uniform_work_group_size: 1
    .uses_dynamic_stack: false
    .vgpr_count:     0
    .vgpr_spill_count: 0
    .wavefront_size: 32
    .workgroup_processor_mode: 1
  - .args:
      - .offset:         0
        .size:           80
        .value_kind:     by_value
    .group_segment_fixed_size: 0
    .kernarg_segment_align: 8
    .kernarg_segment_size: 80
    .language:       OpenCL C
    .language_version:
      - 2
      - 0
    .max_flat_workgroup_size: 256
    .name:           _ZN7rocprim17ROCPRIM_400000_NS6detail17trampoline_kernelINS0_14default_configENS1_36segmented_radix_sort_config_selectorIflEEZNS1_25segmented_radix_sort_implIS3_Lb0EPKfPfPKlPlN2at6native12_GLOBAL__N_18offset_tEEE10hipError_tPvRmT1_PNSt15iterator_traitsISK_E10value_typeET2_T3_PNSL_ISQ_E10value_typeET4_jRbjT5_SW_jjP12ihipStream_tbEUlT_E2_NS1_11comp_targetILNS1_3genE3ELNS1_11target_archE908ELNS1_3gpuE7ELNS1_3repE0EEENS1_30default_config_static_selectorELNS0_4arch9wavefront6targetE0EEEvSK_
    .private_segment_fixed_size: 0
    .sgpr_count:     0
    .sgpr_spill_count: 0
    .symbol:         _ZN7rocprim17ROCPRIM_400000_NS6detail17trampoline_kernelINS0_14default_configENS1_36segmented_radix_sort_config_selectorIflEEZNS1_25segmented_radix_sort_implIS3_Lb0EPKfPfPKlPlN2at6native12_GLOBAL__N_18offset_tEEE10hipError_tPvRmT1_PNSt15iterator_traitsISK_E10value_typeET2_T3_PNSL_ISQ_E10value_typeET4_jRbjT5_SW_jjP12ihipStream_tbEUlT_E2_NS1_11comp_targetILNS1_3genE3ELNS1_11target_archE908ELNS1_3gpuE7ELNS1_3repE0EEENS1_30default_config_static_selectorELNS0_4arch9wavefront6targetE0EEEvSK_.kd
    .uniform_work_group_size: 1
    .uses_dynamic_stack: false
    .vgpr_count:     0
    .vgpr_spill_count: 0
    .wavefront_size: 32
    .workgroup_processor_mode: 1
  - .args:
      - .offset:         0
        .size:           80
        .value_kind:     by_value
    .group_segment_fixed_size: 0
    .kernarg_segment_align: 8
    .kernarg_segment_size: 80
    .language:       OpenCL C
    .language_version:
      - 2
      - 0
    .max_flat_workgroup_size: 256
    .name:           _ZN7rocprim17ROCPRIM_400000_NS6detail17trampoline_kernelINS0_14default_configENS1_36segmented_radix_sort_config_selectorIflEEZNS1_25segmented_radix_sort_implIS3_Lb0EPKfPfPKlPlN2at6native12_GLOBAL__N_18offset_tEEE10hipError_tPvRmT1_PNSt15iterator_traitsISK_E10value_typeET2_T3_PNSL_ISQ_E10value_typeET4_jRbjT5_SW_jjP12ihipStream_tbEUlT_E2_NS1_11comp_targetILNS1_3genE2ELNS1_11target_archE906ELNS1_3gpuE6ELNS1_3repE0EEENS1_30default_config_static_selectorELNS0_4arch9wavefront6targetE0EEEvSK_
    .private_segment_fixed_size: 0
    .sgpr_count:     0
    .sgpr_spill_count: 0
    .symbol:         _ZN7rocprim17ROCPRIM_400000_NS6detail17trampoline_kernelINS0_14default_configENS1_36segmented_radix_sort_config_selectorIflEEZNS1_25segmented_radix_sort_implIS3_Lb0EPKfPfPKlPlN2at6native12_GLOBAL__N_18offset_tEEE10hipError_tPvRmT1_PNSt15iterator_traitsISK_E10value_typeET2_T3_PNSL_ISQ_E10value_typeET4_jRbjT5_SW_jjP12ihipStream_tbEUlT_E2_NS1_11comp_targetILNS1_3genE2ELNS1_11target_archE906ELNS1_3gpuE6ELNS1_3repE0EEENS1_30default_config_static_selectorELNS0_4arch9wavefront6targetE0EEEvSK_.kd
    .uniform_work_group_size: 1
    .uses_dynamic_stack: false
    .vgpr_count:     0
    .vgpr_spill_count: 0
    .wavefront_size: 32
    .workgroup_processor_mode: 1
  - .args:
      - .offset:         0
        .size:           80
        .value_kind:     by_value
      - .offset:         80
        .size:           4
        .value_kind:     hidden_block_count_x
      - .offset:         84
        .size:           4
        .value_kind:     hidden_block_count_y
      - .offset:         88
        .size:           4
        .value_kind:     hidden_block_count_z
      - .offset:         92
        .size:           2
        .value_kind:     hidden_group_size_x
      - .offset:         94
        .size:           2
        .value_kind:     hidden_group_size_y
      - .offset:         96
        .size:           2
        .value_kind:     hidden_group_size_z
      - .offset:         98
        .size:           2
        .value_kind:     hidden_remainder_x
      - .offset:         100
        .size:           2
        .value_kind:     hidden_remainder_y
      - .offset:         102
        .size:           2
        .value_kind:     hidden_remainder_z
      - .offset:         120
        .size:           8
        .value_kind:     hidden_global_offset_x
      - .offset:         128
        .size:           8
        .value_kind:     hidden_global_offset_y
      - .offset:         136
        .size:           8
        .value_kind:     hidden_global_offset_z
      - .offset:         144
        .size:           2
        .value_kind:     hidden_grid_dims
    .group_segment_fixed_size: 33824
    .kernarg_segment_align: 8
    .kernarg_segment_size: 336
    .language:       OpenCL C
    .language_version:
      - 2
      - 0
    .max_flat_workgroup_size: 256
    .name:           _ZN7rocprim17ROCPRIM_400000_NS6detail17trampoline_kernelINS0_14default_configENS1_36segmented_radix_sort_config_selectorIflEEZNS1_25segmented_radix_sort_implIS3_Lb0EPKfPfPKlPlN2at6native12_GLOBAL__N_18offset_tEEE10hipError_tPvRmT1_PNSt15iterator_traitsISK_E10value_typeET2_T3_PNSL_ISQ_E10value_typeET4_jRbjT5_SW_jjP12ihipStream_tbEUlT_E2_NS1_11comp_targetILNS1_3genE10ELNS1_11target_archE1201ELNS1_3gpuE5ELNS1_3repE0EEENS1_30default_config_static_selectorELNS0_4arch9wavefront6targetE0EEEvSK_
    .private_segment_fixed_size: 100
    .sgpr_count:     60
    .sgpr_spill_count: 0
    .symbol:         _ZN7rocprim17ROCPRIM_400000_NS6detail17trampoline_kernelINS0_14default_configENS1_36segmented_radix_sort_config_selectorIflEEZNS1_25segmented_radix_sort_implIS3_Lb0EPKfPfPKlPlN2at6native12_GLOBAL__N_18offset_tEEE10hipError_tPvRmT1_PNSt15iterator_traitsISK_E10value_typeET2_T3_PNSL_ISQ_E10value_typeET4_jRbjT5_SW_jjP12ihipStream_tbEUlT_E2_NS1_11comp_targetILNS1_3genE10ELNS1_11target_archE1201ELNS1_3gpuE5ELNS1_3repE0EEENS1_30default_config_static_selectorELNS0_4arch9wavefront6targetE0EEEvSK_.kd
    .uniform_work_group_size: 1
    .uses_dynamic_stack: false
    .vgpr_count:     248
    .vgpr_spill_count: 0
    .wavefront_size: 32
    .workgroup_processor_mode: 1
  - .args:
      - .offset:         0
        .size:           80
        .value_kind:     by_value
    .group_segment_fixed_size: 0
    .kernarg_segment_align: 8
    .kernarg_segment_size: 80
    .language:       OpenCL C
    .language_version:
      - 2
      - 0
    .max_flat_workgroup_size: 128
    .name:           _ZN7rocprim17ROCPRIM_400000_NS6detail17trampoline_kernelINS0_14default_configENS1_36segmented_radix_sort_config_selectorIflEEZNS1_25segmented_radix_sort_implIS3_Lb0EPKfPfPKlPlN2at6native12_GLOBAL__N_18offset_tEEE10hipError_tPvRmT1_PNSt15iterator_traitsISK_E10value_typeET2_T3_PNSL_ISQ_E10value_typeET4_jRbjT5_SW_jjP12ihipStream_tbEUlT_E2_NS1_11comp_targetILNS1_3genE10ELNS1_11target_archE1200ELNS1_3gpuE4ELNS1_3repE0EEENS1_30default_config_static_selectorELNS0_4arch9wavefront6targetE0EEEvSK_
    .private_segment_fixed_size: 0
    .sgpr_count:     0
    .sgpr_spill_count: 0
    .symbol:         _ZN7rocprim17ROCPRIM_400000_NS6detail17trampoline_kernelINS0_14default_configENS1_36segmented_radix_sort_config_selectorIflEEZNS1_25segmented_radix_sort_implIS3_Lb0EPKfPfPKlPlN2at6native12_GLOBAL__N_18offset_tEEE10hipError_tPvRmT1_PNSt15iterator_traitsISK_E10value_typeET2_T3_PNSL_ISQ_E10value_typeET4_jRbjT5_SW_jjP12ihipStream_tbEUlT_E2_NS1_11comp_targetILNS1_3genE10ELNS1_11target_archE1200ELNS1_3gpuE4ELNS1_3repE0EEENS1_30default_config_static_selectorELNS0_4arch9wavefront6targetE0EEEvSK_.kd
    .uniform_work_group_size: 1
    .uses_dynamic_stack: false
    .vgpr_count:     0
    .vgpr_spill_count: 0
    .wavefront_size: 32
    .workgroup_processor_mode: 1
  - .args:
      - .offset:         0
        .size:           80
        .value_kind:     by_value
    .group_segment_fixed_size: 0
    .kernarg_segment_align: 8
    .kernarg_segment_size: 80
    .language:       OpenCL C
    .language_version:
      - 2
      - 0
    .max_flat_workgroup_size: 256
    .name:           _ZN7rocprim17ROCPRIM_400000_NS6detail17trampoline_kernelINS0_14default_configENS1_36segmented_radix_sort_config_selectorIflEEZNS1_25segmented_radix_sort_implIS3_Lb0EPKfPfPKlPlN2at6native12_GLOBAL__N_18offset_tEEE10hipError_tPvRmT1_PNSt15iterator_traitsISK_E10value_typeET2_T3_PNSL_ISQ_E10value_typeET4_jRbjT5_SW_jjP12ihipStream_tbEUlT_E2_NS1_11comp_targetILNS1_3genE9ELNS1_11target_archE1100ELNS1_3gpuE3ELNS1_3repE0EEENS1_30default_config_static_selectorELNS0_4arch9wavefront6targetE0EEEvSK_
    .private_segment_fixed_size: 0
    .sgpr_count:     0
    .sgpr_spill_count: 0
    .symbol:         _ZN7rocprim17ROCPRIM_400000_NS6detail17trampoline_kernelINS0_14default_configENS1_36segmented_radix_sort_config_selectorIflEEZNS1_25segmented_radix_sort_implIS3_Lb0EPKfPfPKlPlN2at6native12_GLOBAL__N_18offset_tEEE10hipError_tPvRmT1_PNSt15iterator_traitsISK_E10value_typeET2_T3_PNSL_ISQ_E10value_typeET4_jRbjT5_SW_jjP12ihipStream_tbEUlT_E2_NS1_11comp_targetILNS1_3genE9ELNS1_11target_archE1100ELNS1_3gpuE3ELNS1_3repE0EEENS1_30default_config_static_selectorELNS0_4arch9wavefront6targetE0EEEvSK_.kd
    .uniform_work_group_size: 1
    .uses_dynamic_stack: false
    .vgpr_count:     0
    .vgpr_spill_count: 0
    .wavefront_size: 32
    .workgroup_processor_mode: 1
  - .args:
      - .offset:         0
        .size:           80
        .value_kind:     by_value
    .group_segment_fixed_size: 0
    .kernarg_segment_align: 8
    .kernarg_segment_size: 80
    .language:       OpenCL C
    .language_version:
      - 2
      - 0
    .max_flat_workgroup_size: 256
    .name:           _ZN7rocprim17ROCPRIM_400000_NS6detail17trampoline_kernelINS0_14default_configENS1_36segmented_radix_sort_config_selectorIflEEZNS1_25segmented_radix_sort_implIS3_Lb0EPKfPfPKlPlN2at6native12_GLOBAL__N_18offset_tEEE10hipError_tPvRmT1_PNSt15iterator_traitsISK_E10value_typeET2_T3_PNSL_ISQ_E10value_typeET4_jRbjT5_SW_jjP12ihipStream_tbEUlT_E2_NS1_11comp_targetILNS1_3genE8ELNS1_11target_archE1030ELNS1_3gpuE2ELNS1_3repE0EEENS1_30default_config_static_selectorELNS0_4arch9wavefront6targetE0EEEvSK_
    .private_segment_fixed_size: 0
    .sgpr_count:     0
    .sgpr_spill_count: 0
    .symbol:         _ZN7rocprim17ROCPRIM_400000_NS6detail17trampoline_kernelINS0_14default_configENS1_36segmented_radix_sort_config_selectorIflEEZNS1_25segmented_radix_sort_implIS3_Lb0EPKfPfPKlPlN2at6native12_GLOBAL__N_18offset_tEEE10hipError_tPvRmT1_PNSt15iterator_traitsISK_E10value_typeET2_T3_PNSL_ISQ_E10value_typeET4_jRbjT5_SW_jjP12ihipStream_tbEUlT_E2_NS1_11comp_targetILNS1_3genE8ELNS1_11target_archE1030ELNS1_3gpuE2ELNS1_3repE0EEENS1_30default_config_static_selectorELNS0_4arch9wavefront6targetE0EEEvSK_.kd
    .uniform_work_group_size: 1
    .uses_dynamic_stack: false
    .vgpr_count:     0
    .vgpr_spill_count: 0
    .wavefront_size: 32
    .workgroup_processor_mode: 1
  - .args:
      - .address_space:  global
        .offset:         0
        .size:           8
        .value_kind:     global_buffer
      - .address_space:  global
        .offset:         8
        .size:           8
        .value_kind:     global_buffer
      - .address_space:  global
        .offset:         16
        .size:           8
        .value_kind:     global_buffer
      - .address_space:  global
        .offset:         24
        .size:           8
        .value_kind:     global_buffer
      - .offset:         32
        .size:           4
        .value_kind:     by_value
      - .offset:         36
        .size:           4
        .value_kind:     by_value
      - .offset:         40
        .size:           4
        .value_kind:     hidden_block_count_x
      - .offset:         44
        .size:           4
        .value_kind:     hidden_block_count_y
      - .offset:         48
        .size:           4
        .value_kind:     hidden_block_count_z
      - .offset:         52
        .size:           2
        .value_kind:     hidden_group_size_x
      - .offset:         54
        .size:           2
        .value_kind:     hidden_group_size_y
      - .offset:         56
        .size:           2
        .value_kind:     hidden_group_size_z
      - .offset:         58
        .size:           2
        .value_kind:     hidden_remainder_x
      - .offset:         60
        .size:           2
        .value_kind:     hidden_remainder_y
      - .offset:         62
        .size:           2
        .value_kind:     hidden_remainder_z
      - .offset:         80
        .size:           8
        .value_kind:     hidden_global_offset_x
      - .offset:         88
        .size:           8
        .value_kind:     hidden_global_offset_y
      - .offset:         96
        .size:           8
        .value_kind:     hidden_global_offset_z
      - .offset:         104
        .size:           2
        .value_kind:     hidden_grid_dims
    .group_segment_fixed_size: 0
    .kernarg_segment_align: 8
    .kernarg_segment_size: 296
    .language:       OpenCL C
    .language_version:
      - 2
      - 0
    .max_flat_workgroup_size: 1024
    .name:           _ZN2at6native12_GLOBAL__N_123sort_postprocess_kernelIbEEvPKT_PS3_PlPK15HIP_vector_typeIiLj2EEii
    .private_segment_fixed_size: 0
    .sgpr_count:     21
    .sgpr_spill_count: 0
    .symbol:         _ZN2at6native12_GLOBAL__N_123sort_postprocess_kernelIbEEvPKT_PS3_PlPK15HIP_vector_typeIiLj2EEii.kd
    .uniform_work_group_size: 1
    .uses_dynamic_stack: false
    .vgpr_count:     15
    .vgpr_spill_count: 0
    .wavefront_size: 32
    .workgroup_processor_mode: 1
  - .args:
      - .offset:         0
        .size:           176
        .value_kind:     by_value
    .group_segment_fixed_size: 0
    .kernarg_segment_align: 8
    .kernarg_segment_size: 176
    .language:       OpenCL C
    .language_version:
      - 2
      - 0
    .max_flat_workgroup_size: 256
    .name:           _ZN7rocprim17ROCPRIM_400000_NS6detail17trampoline_kernelINS0_13select_configILj256ELj13ELNS0_17block_load_methodE3ELS4_3ELS4_3ELNS0_20block_scan_algorithmE0ELj4294967295EEENS1_25partition_config_selectorILNS1_17partition_subalgoE4EjNS0_10empty_typeEbEEZZNS1_14partition_implILS8_4ELb0ES6_15HIP_vector_typeIjLj2EENS0_17counting_iteratorIjlEEPS9_SG_NS0_5tupleIJPjSI_NS0_16reverse_iteratorISI_EEEEENSH_IJSG_SG_SG_EEES9_SI_JZNS1_25segmented_radix_sort_implINS0_14default_configELb1EPKbPbPKlPlN2at6native12_GLOBAL__N_18offset_tEEE10hipError_tPvRmT1_PNSt15iterator_traitsIS12_E10value_typeET2_T3_PNS13_IS18_E10value_typeET4_jRbjT5_S1E_jjP12ihipStream_tbEUljE_ZNSN_ISO_Lb1ESQ_SR_ST_SU_SY_EESZ_S10_S11_S12_S16_S17_S18_S1B_S1C_jS1D_jS1E_S1E_jjS1G_bEUljE0_EEESZ_S10_S11_S18_S1C_S1E_T6_T7_T9_mT8_S1G_bDpT10_ENKUlT_T0_E_clISt17integral_constantIbLb0EES1U_EEDaS1P_S1Q_EUlS1P_E_NS1_11comp_targetILNS1_3genE0ELNS1_11target_archE4294967295ELNS1_3gpuE0ELNS1_3repE0EEENS1_30default_config_static_selectorELNS0_4arch9wavefront6targetE0EEEvS12_
    .private_segment_fixed_size: 0
    .sgpr_count:     0
    .sgpr_spill_count: 0
    .symbol:         _ZN7rocprim17ROCPRIM_400000_NS6detail17trampoline_kernelINS0_13select_configILj256ELj13ELNS0_17block_load_methodE3ELS4_3ELS4_3ELNS0_20block_scan_algorithmE0ELj4294967295EEENS1_25partition_config_selectorILNS1_17partition_subalgoE4EjNS0_10empty_typeEbEEZZNS1_14partition_implILS8_4ELb0ES6_15HIP_vector_typeIjLj2EENS0_17counting_iteratorIjlEEPS9_SG_NS0_5tupleIJPjSI_NS0_16reverse_iteratorISI_EEEEENSH_IJSG_SG_SG_EEES9_SI_JZNS1_25segmented_radix_sort_implINS0_14default_configELb1EPKbPbPKlPlN2at6native12_GLOBAL__N_18offset_tEEE10hipError_tPvRmT1_PNSt15iterator_traitsIS12_E10value_typeET2_T3_PNS13_IS18_E10value_typeET4_jRbjT5_S1E_jjP12ihipStream_tbEUljE_ZNSN_ISO_Lb1ESQ_SR_ST_SU_SY_EESZ_S10_S11_S12_S16_S17_S18_S1B_S1C_jS1D_jS1E_S1E_jjS1G_bEUljE0_EEESZ_S10_S11_S18_S1C_S1E_T6_T7_T9_mT8_S1G_bDpT10_ENKUlT_T0_E_clISt17integral_constantIbLb0EES1U_EEDaS1P_S1Q_EUlS1P_E_NS1_11comp_targetILNS1_3genE0ELNS1_11target_archE4294967295ELNS1_3gpuE0ELNS1_3repE0EEENS1_30default_config_static_selectorELNS0_4arch9wavefront6targetE0EEEvS12_.kd
    .uniform_work_group_size: 1
    .uses_dynamic_stack: false
    .vgpr_count:     0
    .vgpr_spill_count: 0
    .wavefront_size: 32
    .workgroup_processor_mode: 1
  - .args:
      - .offset:         0
        .size:           176
        .value_kind:     by_value
    .group_segment_fixed_size: 0
    .kernarg_segment_align: 8
    .kernarg_segment_size: 176
    .language:       OpenCL C
    .language_version:
      - 2
      - 0
    .max_flat_workgroup_size: 256
    .name:           _ZN7rocprim17ROCPRIM_400000_NS6detail17trampoline_kernelINS0_13select_configILj256ELj13ELNS0_17block_load_methodE3ELS4_3ELS4_3ELNS0_20block_scan_algorithmE0ELj4294967295EEENS1_25partition_config_selectorILNS1_17partition_subalgoE4EjNS0_10empty_typeEbEEZZNS1_14partition_implILS8_4ELb0ES6_15HIP_vector_typeIjLj2EENS0_17counting_iteratorIjlEEPS9_SG_NS0_5tupleIJPjSI_NS0_16reverse_iteratorISI_EEEEENSH_IJSG_SG_SG_EEES9_SI_JZNS1_25segmented_radix_sort_implINS0_14default_configELb1EPKbPbPKlPlN2at6native12_GLOBAL__N_18offset_tEEE10hipError_tPvRmT1_PNSt15iterator_traitsIS12_E10value_typeET2_T3_PNS13_IS18_E10value_typeET4_jRbjT5_S1E_jjP12ihipStream_tbEUljE_ZNSN_ISO_Lb1ESQ_SR_ST_SU_SY_EESZ_S10_S11_S12_S16_S17_S18_S1B_S1C_jS1D_jS1E_S1E_jjS1G_bEUljE0_EEESZ_S10_S11_S18_S1C_S1E_T6_T7_T9_mT8_S1G_bDpT10_ENKUlT_T0_E_clISt17integral_constantIbLb0EES1U_EEDaS1P_S1Q_EUlS1P_E_NS1_11comp_targetILNS1_3genE5ELNS1_11target_archE942ELNS1_3gpuE9ELNS1_3repE0EEENS1_30default_config_static_selectorELNS0_4arch9wavefront6targetE0EEEvS12_
    .private_segment_fixed_size: 0
    .sgpr_count:     0
    .sgpr_spill_count: 0
    .symbol:         _ZN7rocprim17ROCPRIM_400000_NS6detail17trampoline_kernelINS0_13select_configILj256ELj13ELNS0_17block_load_methodE3ELS4_3ELS4_3ELNS0_20block_scan_algorithmE0ELj4294967295EEENS1_25partition_config_selectorILNS1_17partition_subalgoE4EjNS0_10empty_typeEbEEZZNS1_14partition_implILS8_4ELb0ES6_15HIP_vector_typeIjLj2EENS0_17counting_iteratorIjlEEPS9_SG_NS0_5tupleIJPjSI_NS0_16reverse_iteratorISI_EEEEENSH_IJSG_SG_SG_EEES9_SI_JZNS1_25segmented_radix_sort_implINS0_14default_configELb1EPKbPbPKlPlN2at6native12_GLOBAL__N_18offset_tEEE10hipError_tPvRmT1_PNSt15iterator_traitsIS12_E10value_typeET2_T3_PNS13_IS18_E10value_typeET4_jRbjT5_S1E_jjP12ihipStream_tbEUljE_ZNSN_ISO_Lb1ESQ_SR_ST_SU_SY_EESZ_S10_S11_S12_S16_S17_S18_S1B_S1C_jS1D_jS1E_S1E_jjS1G_bEUljE0_EEESZ_S10_S11_S18_S1C_S1E_T6_T7_T9_mT8_S1G_bDpT10_ENKUlT_T0_E_clISt17integral_constantIbLb0EES1U_EEDaS1P_S1Q_EUlS1P_E_NS1_11comp_targetILNS1_3genE5ELNS1_11target_archE942ELNS1_3gpuE9ELNS1_3repE0EEENS1_30default_config_static_selectorELNS0_4arch9wavefront6targetE0EEEvS12_.kd
    .uniform_work_group_size: 1
    .uses_dynamic_stack: false
    .vgpr_count:     0
    .vgpr_spill_count: 0
    .wavefront_size: 32
    .workgroup_processor_mode: 1
  - .args:
      - .offset:         0
        .size:           176
        .value_kind:     by_value
    .group_segment_fixed_size: 0
    .kernarg_segment_align: 8
    .kernarg_segment_size: 176
    .language:       OpenCL C
    .language_version:
      - 2
      - 0
    .max_flat_workgroup_size: 256
    .name:           _ZN7rocprim17ROCPRIM_400000_NS6detail17trampoline_kernelINS0_13select_configILj256ELj13ELNS0_17block_load_methodE3ELS4_3ELS4_3ELNS0_20block_scan_algorithmE0ELj4294967295EEENS1_25partition_config_selectorILNS1_17partition_subalgoE4EjNS0_10empty_typeEbEEZZNS1_14partition_implILS8_4ELb0ES6_15HIP_vector_typeIjLj2EENS0_17counting_iteratorIjlEEPS9_SG_NS0_5tupleIJPjSI_NS0_16reverse_iteratorISI_EEEEENSH_IJSG_SG_SG_EEES9_SI_JZNS1_25segmented_radix_sort_implINS0_14default_configELb1EPKbPbPKlPlN2at6native12_GLOBAL__N_18offset_tEEE10hipError_tPvRmT1_PNSt15iterator_traitsIS12_E10value_typeET2_T3_PNS13_IS18_E10value_typeET4_jRbjT5_S1E_jjP12ihipStream_tbEUljE_ZNSN_ISO_Lb1ESQ_SR_ST_SU_SY_EESZ_S10_S11_S12_S16_S17_S18_S1B_S1C_jS1D_jS1E_S1E_jjS1G_bEUljE0_EEESZ_S10_S11_S18_S1C_S1E_T6_T7_T9_mT8_S1G_bDpT10_ENKUlT_T0_E_clISt17integral_constantIbLb0EES1U_EEDaS1P_S1Q_EUlS1P_E_NS1_11comp_targetILNS1_3genE4ELNS1_11target_archE910ELNS1_3gpuE8ELNS1_3repE0EEENS1_30default_config_static_selectorELNS0_4arch9wavefront6targetE0EEEvS12_
    .private_segment_fixed_size: 0
    .sgpr_count:     0
    .sgpr_spill_count: 0
    .symbol:         _ZN7rocprim17ROCPRIM_400000_NS6detail17trampoline_kernelINS0_13select_configILj256ELj13ELNS0_17block_load_methodE3ELS4_3ELS4_3ELNS0_20block_scan_algorithmE0ELj4294967295EEENS1_25partition_config_selectorILNS1_17partition_subalgoE4EjNS0_10empty_typeEbEEZZNS1_14partition_implILS8_4ELb0ES6_15HIP_vector_typeIjLj2EENS0_17counting_iteratorIjlEEPS9_SG_NS0_5tupleIJPjSI_NS0_16reverse_iteratorISI_EEEEENSH_IJSG_SG_SG_EEES9_SI_JZNS1_25segmented_radix_sort_implINS0_14default_configELb1EPKbPbPKlPlN2at6native12_GLOBAL__N_18offset_tEEE10hipError_tPvRmT1_PNSt15iterator_traitsIS12_E10value_typeET2_T3_PNS13_IS18_E10value_typeET4_jRbjT5_S1E_jjP12ihipStream_tbEUljE_ZNSN_ISO_Lb1ESQ_SR_ST_SU_SY_EESZ_S10_S11_S12_S16_S17_S18_S1B_S1C_jS1D_jS1E_S1E_jjS1G_bEUljE0_EEESZ_S10_S11_S18_S1C_S1E_T6_T7_T9_mT8_S1G_bDpT10_ENKUlT_T0_E_clISt17integral_constantIbLb0EES1U_EEDaS1P_S1Q_EUlS1P_E_NS1_11comp_targetILNS1_3genE4ELNS1_11target_archE910ELNS1_3gpuE8ELNS1_3repE0EEENS1_30default_config_static_selectorELNS0_4arch9wavefront6targetE0EEEvS12_.kd
    .uniform_work_group_size: 1
    .uses_dynamic_stack: false
    .vgpr_count:     0
    .vgpr_spill_count: 0
    .wavefront_size: 32
    .workgroup_processor_mode: 1
  - .args:
      - .offset:         0
        .size:           176
        .value_kind:     by_value
    .group_segment_fixed_size: 0
    .kernarg_segment_align: 8
    .kernarg_segment_size: 176
    .language:       OpenCL C
    .language_version:
      - 2
      - 0
    .max_flat_workgroup_size: 256
    .name:           _ZN7rocprim17ROCPRIM_400000_NS6detail17trampoline_kernelINS0_13select_configILj256ELj13ELNS0_17block_load_methodE3ELS4_3ELS4_3ELNS0_20block_scan_algorithmE0ELj4294967295EEENS1_25partition_config_selectorILNS1_17partition_subalgoE4EjNS0_10empty_typeEbEEZZNS1_14partition_implILS8_4ELb0ES6_15HIP_vector_typeIjLj2EENS0_17counting_iteratorIjlEEPS9_SG_NS0_5tupleIJPjSI_NS0_16reverse_iteratorISI_EEEEENSH_IJSG_SG_SG_EEES9_SI_JZNS1_25segmented_radix_sort_implINS0_14default_configELb1EPKbPbPKlPlN2at6native12_GLOBAL__N_18offset_tEEE10hipError_tPvRmT1_PNSt15iterator_traitsIS12_E10value_typeET2_T3_PNS13_IS18_E10value_typeET4_jRbjT5_S1E_jjP12ihipStream_tbEUljE_ZNSN_ISO_Lb1ESQ_SR_ST_SU_SY_EESZ_S10_S11_S12_S16_S17_S18_S1B_S1C_jS1D_jS1E_S1E_jjS1G_bEUljE0_EEESZ_S10_S11_S18_S1C_S1E_T6_T7_T9_mT8_S1G_bDpT10_ENKUlT_T0_E_clISt17integral_constantIbLb0EES1U_EEDaS1P_S1Q_EUlS1P_E_NS1_11comp_targetILNS1_3genE3ELNS1_11target_archE908ELNS1_3gpuE7ELNS1_3repE0EEENS1_30default_config_static_selectorELNS0_4arch9wavefront6targetE0EEEvS12_
    .private_segment_fixed_size: 0
    .sgpr_count:     0
    .sgpr_spill_count: 0
    .symbol:         _ZN7rocprim17ROCPRIM_400000_NS6detail17trampoline_kernelINS0_13select_configILj256ELj13ELNS0_17block_load_methodE3ELS4_3ELS4_3ELNS0_20block_scan_algorithmE0ELj4294967295EEENS1_25partition_config_selectorILNS1_17partition_subalgoE4EjNS0_10empty_typeEbEEZZNS1_14partition_implILS8_4ELb0ES6_15HIP_vector_typeIjLj2EENS0_17counting_iteratorIjlEEPS9_SG_NS0_5tupleIJPjSI_NS0_16reverse_iteratorISI_EEEEENSH_IJSG_SG_SG_EEES9_SI_JZNS1_25segmented_radix_sort_implINS0_14default_configELb1EPKbPbPKlPlN2at6native12_GLOBAL__N_18offset_tEEE10hipError_tPvRmT1_PNSt15iterator_traitsIS12_E10value_typeET2_T3_PNS13_IS18_E10value_typeET4_jRbjT5_S1E_jjP12ihipStream_tbEUljE_ZNSN_ISO_Lb1ESQ_SR_ST_SU_SY_EESZ_S10_S11_S12_S16_S17_S18_S1B_S1C_jS1D_jS1E_S1E_jjS1G_bEUljE0_EEESZ_S10_S11_S18_S1C_S1E_T6_T7_T9_mT8_S1G_bDpT10_ENKUlT_T0_E_clISt17integral_constantIbLb0EES1U_EEDaS1P_S1Q_EUlS1P_E_NS1_11comp_targetILNS1_3genE3ELNS1_11target_archE908ELNS1_3gpuE7ELNS1_3repE0EEENS1_30default_config_static_selectorELNS0_4arch9wavefront6targetE0EEEvS12_.kd
    .uniform_work_group_size: 1
    .uses_dynamic_stack: false
    .vgpr_count:     0
    .vgpr_spill_count: 0
    .wavefront_size: 32
    .workgroup_processor_mode: 1
  - .args:
      - .offset:         0
        .size:           176
        .value_kind:     by_value
    .group_segment_fixed_size: 0
    .kernarg_segment_align: 8
    .kernarg_segment_size: 176
    .language:       OpenCL C
    .language_version:
      - 2
      - 0
    .max_flat_workgroup_size: 256
    .name:           _ZN7rocprim17ROCPRIM_400000_NS6detail17trampoline_kernelINS0_13select_configILj256ELj13ELNS0_17block_load_methodE3ELS4_3ELS4_3ELNS0_20block_scan_algorithmE0ELj4294967295EEENS1_25partition_config_selectorILNS1_17partition_subalgoE4EjNS0_10empty_typeEbEEZZNS1_14partition_implILS8_4ELb0ES6_15HIP_vector_typeIjLj2EENS0_17counting_iteratorIjlEEPS9_SG_NS0_5tupleIJPjSI_NS0_16reverse_iteratorISI_EEEEENSH_IJSG_SG_SG_EEES9_SI_JZNS1_25segmented_radix_sort_implINS0_14default_configELb1EPKbPbPKlPlN2at6native12_GLOBAL__N_18offset_tEEE10hipError_tPvRmT1_PNSt15iterator_traitsIS12_E10value_typeET2_T3_PNS13_IS18_E10value_typeET4_jRbjT5_S1E_jjP12ihipStream_tbEUljE_ZNSN_ISO_Lb1ESQ_SR_ST_SU_SY_EESZ_S10_S11_S12_S16_S17_S18_S1B_S1C_jS1D_jS1E_S1E_jjS1G_bEUljE0_EEESZ_S10_S11_S18_S1C_S1E_T6_T7_T9_mT8_S1G_bDpT10_ENKUlT_T0_E_clISt17integral_constantIbLb0EES1U_EEDaS1P_S1Q_EUlS1P_E_NS1_11comp_targetILNS1_3genE2ELNS1_11target_archE906ELNS1_3gpuE6ELNS1_3repE0EEENS1_30default_config_static_selectorELNS0_4arch9wavefront6targetE0EEEvS12_
    .private_segment_fixed_size: 0
    .sgpr_count:     0
    .sgpr_spill_count: 0
    .symbol:         _ZN7rocprim17ROCPRIM_400000_NS6detail17trampoline_kernelINS0_13select_configILj256ELj13ELNS0_17block_load_methodE3ELS4_3ELS4_3ELNS0_20block_scan_algorithmE0ELj4294967295EEENS1_25partition_config_selectorILNS1_17partition_subalgoE4EjNS0_10empty_typeEbEEZZNS1_14partition_implILS8_4ELb0ES6_15HIP_vector_typeIjLj2EENS0_17counting_iteratorIjlEEPS9_SG_NS0_5tupleIJPjSI_NS0_16reverse_iteratorISI_EEEEENSH_IJSG_SG_SG_EEES9_SI_JZNS1_25segmented_radix_sort_implINS0_14default_configELb1EPKbPbPKlPlN2at6native12_GLOBAL__N_18offset_tEEE10hipError_tPvRmT1_PNSt15iterator_traitsIS12_E10value_typeET2_T3_PNS13_IS18_E10value_typeET4_jRbjT5_S1E_jjP12ihipStream_tbEUljE_ZNSN_ISO_Lb1ESQ_SR_ST_SU_SY_EESZ_S10_S11_S12_S16_S17_S18_S1B_S1C_jS1D_jS1E_S1E_jjS1G_bEUljE0_EEESZ_S10_S11_S18_S1C_S1E_T6_T7_T9_mT8_S1G_bDpT10_ENKUlT_T0_E_clISt17integral_constantIbLb0EES1U_EEDaS1P_S1Q_EUlS1P_E_NS1_11comp_targetILNS1_3genE2ELNS1_11target_archE906ELNS1_3gpuE6ELNS1_3repE0EEENS1_30default_config_static_selectorELNS0_4arch9wavefront6targetE0EEEvS12_.kd
    .uniform_work_group_size: 1
    .uses_dynamic_stack: false
    .vgpr_count:     0
    .vgpr_spill_count: 0
    .wavefront_size: 32
    .workgroup_processor_mode: 1
  - .args:
      - .offset:         0
        .size:           176
        .value_kind:     by_value
    .group_segment_fixed_size: 13328
    .kernarg_segment_align: 8
    .kernarg_segment_size: 176
    .language:       OpenCL C
    .language_version:
      - 2
      - 0
    .max_flat_workgroup_size: 256
    .name:           _ZN7rocprim17ROCPRIM_400000_NS6detail17trampoline_kernelINS0_13select_configILj256ELj13ELNS0_17block_load_methodE3ELS4_3ELS4_3ELNS0_20block_scan_algorithmE0ELj4294967295EEENS1_25partition_config_selectorILNS1_17partition_subalgoE4EjNS0_10empty_typeEbEEZZNS1_14partition_implILS8_4ELb0ES6_15HIP_vector_typeIjLj2EENS0_17counting_iteratorIjlEEPS9_SG_NS0_5tupleIJPjSI_NS0_16reverse_iteratorISI_EEEEENSH_IJSG_SG_SG_EEES9_SI_JZNS1_25segmented_radix_sort_implINS0_14default_configELb1EPKbPbPKlPlN2at6native12_GLOBAL__N_18offset_tEEE10hipError_tPvRmT1_PNSt15iterator_traitsIS12_E10value_typeET2_T3_PNS13_IS18_E10value_typeET4_jRbjT5_S1E_jjP12ihipStream_tbEUljE_ZNSN_ISO_Lb1ESQ_SR_ST_SU_SY_EESZ_S10_S11_S12_S16_S17_S18_S1B_S1C_jS1D_jS1E_S1E_jjS1G_bEUljE0_EEESZ_S10_S11_S18_S1C_S1E_T6_T7_T9_mT8_S1G_bDpT10_ENKUlT_T0_E_clISt17integral_constantIbLb0EES1U_EEDaS1P_S1Q_EUlS1P_E_NS1_11comp_targetILNS1_3genE10ELNS1_11target_archE1200ELNS1_3gpuE4ELNS1_3repE0EEENS1_30default_config_static_selectorELNS0_4arch9wavefront6targetE0EEEvS12_
    .private_segment_fixed_size: 0
    .sgpr_count:     60
    .sgpr_spill_count: 0
    .symbol:         _ZN7rocprim17ROCPRIM_400000_NS6detail17trampoline_kernelINS0_13select_configILj256ELj13ELNS0_17block_load_methodE3ELS4_3ELS4_3ELNS0_20block_scan_algorithmE0ELj4294967295EEENS1_25partition_config_selectorILNS1_17partition_subalgoE4EjNS0_10empty_typeEbEEZZNS1_14partition_implILS8_4ELb0ES6_15HIP_vector_typeIjLj2EENS0_17counting_iteratorIjlEEPS9_SG_NS0_5tupleIJPjSI_NS0_16reverse_iteratorISI_EEEEENSH_IJSG_SG_SG_EEES9_SI_JZNS1_25segmented_radix_sort_implINS0_14default_configELb1EPKbPbPKlPlN2at6native12_GLOBAL__N_18offset_tEEE10hipError_tPvRmT1_PNSt15iterator_traitsIS12_E10value_typeET2_T3_PNS13_IS18_E10value_typeET4_jRbjT5_S1E_jjP12ihipStream_tbEUljE_ZNSN_ISO_Lb1ESQ_SR_ST_SU_SY_EESZ_S10_S11_S12_S16_S17_S18_S1B_S1C_jS1D_jS1E_S1E_jjS1G_bEUljE0_EEESZ_S10_S11_S18_S1C_S1E_T6_T7_T9_mT8_S1G_bDpT10_ENKUlT_T0_E_clISt17integral_constantIbLb0EES1U_EEDaS1P_S1Q_EUlS1P_E_NS1_11comp_targetILNS1_3genE10ELNS1_11target_archE1200ELNS1_3gpuE4ELNS1_3repE0EEENS1_30default_config_static_selectorELNS0_4arch9wavefront6targetE0EEEvS12_.kd
    .uniform_work_group_size: 1
    .uses_dynamic_stack: false
    .vgpr_count:     93
    .vgpr_spill_count: 0
    .wavefront_size: 32
    .workgroup_processor_mode: 1
  - .args:
      - .offset:         0
        .size:           176
        .value_kind:     by_value
    .group_segment_fixed_size: 0
    .kernarg_segment_align: 8
    .kernarg_segment_size: 176
    .language:       OpenCL C
    .language_version:
      - 2
      - 0
    .max_flat_workgroup_size: 256
    .name:           _ZN7rocprim17ROCPRIM_400000_NS6detail17trampoline_kernelINS0_13select_configILj256ELj13ELNS0_17block_load_methodE3ELS4_3ELS4_3ELNS0_20block_scan_algorithmE0ELj4294967295EEENS1_25partition_config_selectorILNS1_17partition_subalgoE4EjNS0_10empty_typeEbEEZZNS1_14partition_implILS8_4ELb0ES6_15HIP_vector_typeIjLj2EENS0_17counting_iteratorIjlEEPS9_SG_NS0_5tupleIJPjSI_NS0_16reverse_iteratorISI_EEEEENSH_IJSG_SG_SG_EEES9_SI_JZNS1_25segmented_radix_sort_implINS0_14default_configELb1EPKbPbPKlPlN2at6native12_GLOBAL__N_18offset_tEEE10hipError_tPvRmT1_PNSt15iterator_traitsIS12_E10value_typeET2_T3_PNS13_IS18_E10value_typeET4_jRbjT5_S1E_jjP12ihipStream_tbEUljE_ZNSN_ISO_Lb1ESQ_SR_ST_SU_SY_EESZ_S10_S11_S12_S16_S17_S18_S1B_S1C_jS1D_jS1E_S1E_jjS1G_bEUljE0_EEESZ_S10_S11_S18_S1C_S1E_T6_T7_T9_mT8_S1G_bDpT10_ENKUlT_T0_E_clISt17integral_constantIbLb0EES1U_EEDaS1P_S1Q_EUlS1P_E_NS1_11comp_targetILNS1_3genE9ELNS1_11target_archE1100ELNS1_3gpuE3ELNS1_3repE0EEENS1_30default_config_static_selectorELNS0_4arch9wavefront6targetE0EEEvS12_
    .private_segment_fixed_size: 0
    .sgpr_count:     0
    .sgpr_spill_count: 0
    .symbol:         _ZN7rocprim17ROCPRIM_400000_NS6detail17trampoline_kernelINS0_13select_configILj256ELj13ELNS0_17block_load_methodE3ELS4_3ELS4_3ELNS0_20block_scan_algorithmE0ELj4294967295EEENS1_25partition_config_selectorILNS1_17partition_subalgoE4EjNS0_10empty_typeEbEEZZNS1_14partition_implILS8_4ELb0ES6_15HIP_vector_typeIjLj2EENS0_17counting_iteratorIjlEEPS9_SG_NS0_5tupleIJPjSI_NS0_16reverse_iteratorISI_EEEEENSH_IJSG_SG_SG_EEES9_SI_JZNS1_25segmented_radix_sort_implINS0_14default_configELb1EPKbPbPKlPlN2at6native12_GLOBAL__N_18offset_tEEE10hipError_tPvRmT1_PNSt15iterator_traitsIS12_E10value_typeET2_T3_PNS13_IS18_E10value_typeET4_jRbjT5_S1E_jjP12ihipStream_tbEUljE_ZNSN_ISO_Lb1ESQ_SR_ST_SU_SY_EESZ_S10_S11_S12_S16_S17_S18_S1B_S1C_jS1D_jS1E_S1E_jjS1G_bEUljE0_EEESZ_S10_S11_S18_S1C_S1E_T6_T7_T9_mT8_S1G_bDpT10_ENKUlT_T0_E_clISt17integral_constantIbLb0EES1U_EEDaS1P_S1Q_EUlS1P_E_NS1_11comp_targetILNS1_3genE9ELNS1_11target_archE1100ELNS1_3gpuE3ELNS1_3repE0EEENS1_30default_config_static_selectorELNS0_4arch9wavefront6targetE0EEEvS12_.kd
    .uniform_work_group_size: 1
    .uses_dynamic_stack: false
    .vgpr_count:     0
    .vgpr_spill_count: 0
    .wavefront_size: 32
    .workgroup_processor_mode: 1
  - .args:
      - .offset:         0
        .size:           176
        .value_kind:     by_value
    .group_segment_fixed_size: 0
    .kernarg_segment_align: 8
    .kernarg_segment_size: 176
    .language:       OpenCL C
    .language_version:
      - 2
      - 0
    .max_flat_workgroup_size: 256
    .name:           _ZN7rocprim17ROCPRIM_400000_NS6detail17trampoline_kernelINS0_13select_configILj256ELj13ELNS0_17block_load_methodE3ELS4_3ELS4_3ELNS0_20block_scan_algorithmE0ELj4294967295EEENS1_25partition_config_selectorILNS1_17partition_subalgoE4EjNS0_10empty_typeEbEEZZNS1_14partition_implILS8_4ELb0ES6_15HIP_vector_typeIjLj2EENS0_17counting_iteratorIjlEEPS9_SG_NS0_5tupleIJPjSI_NS0_16reverse_iteratorISI_EEEEENSH_IJSG_SG_SG_EEES9_SI_JZNS1_25segmented_radix_sort_implINS0_14default_configELb1EPKbPbPKlPlN2at6native12_GLOBAL__N_18offset_tEEE10hipError_tPvRmT1_PNSt15iterator_traitsIS12_E10value_typeET2_T3_PNS13_IS18_E10value_typeET4_jRbjT5_S1E_jjP12ihipStream_tbEUljE_ZNSN_ISO_Lb1ESQ_SR_ST_SU_SY_EESZ_S10_S11_S12_S16_S17_S18_S1B_S1C_jS1D_jS1E_S1E_jjS1G_bEUljE0_EEESZ_S10_S11_S18_S1C_S1E_T6_T7_T9_mT8_S1G_bDpT10_ENKUlT_T0_E_clISt17integral_constantIbLb0EES1U_EEDaS1P_S1Q_EUlS1P_E_NS1_11comp_targetILNS1_3genE8ELNS1_11target_archE1030ELNS1_3gpuE2ELNS1_3repE0EEENS1_30default_config_static_selectorELNS0_4arch9wavefront6targetE0EEEvS12_
    .private_segment_fixed_size: 0
    .sgpr_count:     0
    .sgpr_spill_count: 0
    .symbol:         _ZN7rocprim17ROCPRIM_400000_NS6detail17trampoline_kernelINS0_13select_configILj256ELj13ELNS0_17block_load_methodE3ELS4_3ELS4_3ELNS0_20block_scan_algorithmE0ELj4294967295EEENS1_25partition_config_selectorILNS1_17partition_subalgoE4EjNS0_10empty_typeEbEEZZNS1_14partition_implILS8_4ELb0ES6_15HIP_vector_typeIjLj2EENS0_17counting_iteratorIjlEEPS9_SG_NS0_5tupleIJPjSI_NS0_16reverse_iteratorISI_EEEEENSH_IJSG_SG_SG_EEES9_SI_JZNS1_25segmented_radix_sort_implINS0_14default_configELb1EPKbPbPKlPlN2at6native12_GLOBAL__N_18offset_tEEE10hipError_tPvRmT1_PNSt15iterator_traitsIS12_E10value_typeET2_T3_PNS13_IS18_E10value_typeET4_jRbjT5_S1E_jjP12ihipStream_tbEUljE_ZNSN_ISO_Lb1ESQ_SR_ST_SU_SY_EESZ_S10_S11_S12_S16_S17_S18_S1B_S1C_jS1D_jS1E_S1E_jjS1G_bEUljE0_EEESZ_S10_S11_S18_S1C_S1E_T6_T7_T9_mT8_S1G_bDpT10_ENKUlT_T0_E_clISt17integral_constantIbLb0EES1U_EEDaS1P_S1Q_EUlS1P_E_NS1_11comp_targetILNS1_3genE8ELNS1_11target_archE1030ELNS1_3gpuE2ELNS1_3repE0EEENS1_30default_config_static_selectorELNS0_4arch9wavefront6targetE0EEEvS12_.kd
    .uniform_work_group_size: 1
    .uses_dynamic_stack: false
    .vgpr_count:     0
    .vgpr_spill_count: 0
    .wavefront_size: 32
    .workgroup_processor_mode: 1
  - .args:
      - .offset:         0
        .size:           184
        .value_kind:     by_value
    .group_segment_fixed_size: 0
    .kernarg_segment_align: 8
    .kernarg_segment_size: 184
    .language:       OpenCL C
    .language_version:
      - 2
      - 0
    .max_flat_workgroup_size: 256
    .name:           _ZN7rocprim17ROCPRIM_400000_NS6detail17trampoline_kernelINS0_13select_configILj256ELj13ELNS0_17block_load_methodE3ELS4_3ELS4_3ELNS0_20block_scan_algorithmE0ELj4294967295EEENS1_25partition_config_selectorILNS1_17partition_subalgoE4EjNS0_10empty_typeEbEEZZNS1_14partition_implILS8_4ELb0ES6_15HIP_vector_typeIjLj2EENS0_17counting_iteratorIjlEEPS9_SG_NS0_5tupleIJPjSI_NS0_16reverse_iteratorISI_EEEEENSH_IJSG_SG_SG_EEES9_SI_JZNS1_25segmented_radix_sort_implINS0_14default_configELb1EPKbPbPKlPlN2at6native12_GLOBAL__N_18offset_tEEE10hipError_tPvRmT1_PNSt15iterator_traitsIS12_E10value_typeET2_T3_PNS13_IS18_E10value_typeET4_jRbjT5_S1E_jjP12ihipStream_tbEUljE_ZNSN_ISO_Lb1ESQ_SR_ST_SU_SY_EESZ_S10_S11_S12_S16_S17_S18_S1B_S1C_jS1D_jS1E_S1E_jjS1G_bEUljE0_EEESZ_S10_S11_S18_S1C_S1E_T6_T7_T9_mT8_S1G_bDpT10_ENKUlT_T0_E_clISt17integral_constantIbLb1EES1U_EEDaS1P_S1Q_EUlS1P_E_NS1_11comp_targetILNS1_3genE0ELNS1_11target_archE4294967295ELNS1_3gpuE0ELNS1_3repE0EEENS1_30default_config_static_selectorELNS0_4arch9wavefront6targetE0EEEvS12_
    .private_segment_fixed_size: 0
    .sgpr_count:     0
    .sgpr_spill_count: 0
    .symbol:         _ZN7rocprim17ROCPRIM_400000_NS6detail17trampoline_kernelINS0_13select_configILj256ELj13ELNS0_17block_load_methodE3ELS4_3ELS4_3ELNS0_20block_scan_algorithmE0ELj4294967295EEENS1_25partition_config_selectorILNS1_17partition_subalgoE4EjNS0_10empty_typeEbEEZZNS1_14partition_implILS8_4ELb0ES6_15HIP_vector_typeIjLj2EENS0_17counting_iteratorIjlEEPS9_SG_NS0_5tupleIJPjSI_NS0_16reverse_iteratorISI_EEEEENSH_IJSG_SG_SG_EEES9_SI_JZNS1_25segmented_radix_sort_implINS0_14default_configELb1EPKbPbPKlPlN2at6native12_GLOBAL__N_18offset_tEEE10hipError_tPvRmT1_PNSt15iterator_traitsIS12_E10value_typeET2_T3_PNS13_IS18_E10value_typeET4_jRbjT5_S1E_jjP12ihipStream_tbEUljE_ZNSN_ISO_Lb1ESQ_SR_ST_SU_SY_EESZ_S10_S11_S12_S16_S17_S18_S1B_S1C_jS1D_jS1E_S1E_jjS1G_bEUljE0_EEESZ_S10_S11_S18_S1C_S1E_T6_T7_T9_mT8_S1G_bDpT10_ENKUlT_T0_E_clISt17integral_constantIbLb1EES1U_EEDaS1P_S1Q_EUlS1P_E_NS1_11comp_targetILNS1_3genE0ELNS1_11target_archE4294967295ELNS1_3gpuE0ELNS1_3repE0EEENS1_30default_config_static_selectorELNS0_4arch9wavefront6targetE0EEEvS12_.kd
    .uniform_work_group_size: 1
    .uses_dynamic_stack: false
    .vgpr_count:     0
    .vgpr_spill_count: 0
    .wavefront_size: 32
    .workgroup_processor_mode: 1
  - .args:
      - .offset:         0
        .size:           184
        .value_kind:     by_value
    .group_segment_fixed_size: 0
    .kernarg_segment_align: 8
    .kernarg_segment_size: 184
    .language:       OpenCL C
    .language_version:
      - 2
      - 0
    .max_flat_workgroup_size: 256
    .name:           _ZN7rocprim17ROCPRIM_400000_NS6detail17trampoline_kernelINS0_13select_configILj256ELj13ELNS0_17block_load_methodE3ELS4_3ELS4_3ELNS0_20block_scan_algorithmE0ELj4294967295EEENS1_25partition_config_selectorILNS1_17partition_subalgoE4EjNS0_10empty_typeEbEEZZNS1_14partition_implILS8_4ELb0ES6_15HIP_vector_typeIjLj2EENS0_17counting_iteratorIjlEEPS9_SG_NS0_5tupleIJPjSI_NS0_16reverse_iteratorISI_EEEEENSH_IJSG_SG_SG_EEES9_SI_JZNS1_25segmented_radix_sort_implINS0_14default_configELb1EPKbPbPKlPlN2at6native12_GLOBAL__N_18offset_tEEE10hipError_tPvRmT1_PNSt15iterator_traitsIS12_E10value_typeET2_T3_PNS13_IS18_E10value_typeET4_jRbjT5_S1E_jjP12ihipStream_tbEUljE_ZNSN_ISO_Lb1ESQ_SR_ST_SU_SY_EESZ_S10_S11_S12_S16_S17_S18_S1B_S1C_jS1D_jS1E_S1E_jjS1G_bEUljE0_EEESZ_S10_S11_S18_S1C_S1E_T6_T7_T9_mT8_S1G_bDpT10_ENKUlT_T0_E_clISt17integral_constantIbLb1EES1U_EEDaS1P_S1Q_EUlS1P_E_NS1_11comp_targetILNS1_3genE5ELNS1_11target_archE942ELNS1_3gpuE9ELNS1_3repE0EEENS1_30default_config_static_selectorELNS0_4arch9wavefront6targetE0EEEvS12_
    .private_segment_fixed_size: 0
    .sgpr_count:     0
    .sgpr_spill_count: 0
    .symbol:         _ZN7rocprim17ROCPRIM_400000_NS6detail17trampoline_kernelINS0_13select_configILj256ELj13ELNS0_17block_load_methodE3ELS4_3ELS4_3ELNS0_20block_scan_algorithmE0ELj4294967295EEENS1_25partition_config_selectorILNS1_17partition_subalgoE4EjNS0_10empty_typeEbEEZZNS1_14partition_implILS8_4ELb0ES6_15HIP_vector_typeIjLj2EENS0_17counting_iteratorIjlEEPS9_SG_NS0_5tupleIJPjSI_NS0_16reverse_iteratorISI_EEEEENSH_IJSG_SG_SG_EEES9_SI_JZNS1_25segmented_radix_sort_implINS0_14default_configELb1EPKbPbPKlPlN2at6native12_GLOBAL__N_18offset_tEEE10hipError_tPvRmT1_PNSt15iterator_traitsIS12_E10value_typeET2_T3_PNS13_IS18_E10value_typeET4_jRbjT5_S1E_jjP12ihipStream_tbEUljE_ZNSN_ISO_Lb1ESQ_SR_ST_SU_SY_EESZ_S10_S11_S12_S16_S17_S18_S1B_S1C_jS1D_jS1E_S1E_jjS1G_bEUljE0_EEESZ_S10_S11_S18_S1C_S1E_T6_T7_T9_mT8_S1G_bDpT10_ENKUlT_T0_E_clISt17integral_constantIbLb1EES1U_EEDaS1P_S1Q_EUlS1P_E_NS1_11comp_targetILNS1_3genE5ELNS1_11target_archE942ELNS1_3gpuE9ELNS1_3repE0EEENS1_30default_config_static_selectorELNS0_4arch9wavefront6targetE0EEEvS12_.kd
    .uniform_work_group_size: 1
    .uses_dynamic_stack: false
    .vgpr_count:     0
    .vgpr_spill_count: 0
    .wavefront_size: 32
    .workgroup_processor_mode: 1
  - .args:
      - .offset:         0
        .size:           184
        .value_kind:     by_value
    .group_segment_fixed_size: 0
    .kernarg_segment_align: 8
    .kernarg_segment_size: 184
    .language:       OpenCL C
    .language_version:
      - 2
      - 0
    .max_flat_workgroup_size: 256
    .name:           _ZN7rocprim17ROCPRIM_400000_NS6detail17trampoline_kernelINS0_13select_configILj256ELj13ELNS0_17block_load_methodE3ELS4_3ELS4_3ELNS0_20block_scan_algorithmE0ELj4294967295EEENS1_25partition_config_selectorILNS1_17partition_subalgoE4EjNS0_10empty_typeEbEEZZNS1_14partition_implILS8_4ELb0ES6_15HIP_vector_typeIjLj2EENS0_17counting_iteratorIjlEEPS9_SG_NS0_5tupleIJPjSI_NS0_16reverse_iteratorISI_EEEEENSH_IJSG_SG_SG_EEES9_SI_JZNS1_25segmented_radix_sort_implINS0_14default_configELb1EPKbPbPKlPlN2at6native12_GLOBAL__N_18offset_tEEE10hipError_tPvRmT1_PNSt15iterator_traitsIS12_E10value_typeET2_T3_PNS13_IS18_E10value_typeET4_jRbjT5_S1E_jjP12ihipStream_tbEUljE_ZNSN_ISO_Lb1ESQ_SR_ST_SU_SY_EESZ_S10_S11_S12_S16_S17_S18_S1B_S1C_jS1D_jS1E_S1E_jjS1G_bEUljE0_EEESZ_S10_S11_S18_S1C_S1E_T6_T7_T9_mT8_S1G_bDpT10_ENKUlT_T0_E_clISt17integral_constantIbLb1EES1U_EEDaS1P_S1Q_EUlS1P_E_NS1_11comp_targetILNS1_3genE4ELNS1_11target_archE910ELNS1_3gpuE8ELNS1_3repE0EEENS1_30default_config_static_selectorELNS0_4arch9wavefront6targetE0EEEvS12_
    .private_segment_fixed_size: 0
    .sgpr_count:     0
    .sgpr_spill_count: 0
    .symbol:         _ZN7rocprim17ROCPRIM_400000_NS6detail17trampoline_kernelINS0_13select_configILj256ELj13ELNS0_17block_load_methodE3ELS4_3ELS4_3ELNS0_20block_scan_algorithmE0ELj4294967295EEENS1_25partition_config_selectorILNS1_17partition_subalgoE4EjNS0_10empty_typeEbEEZZNS1_14partition_implILS8_4ELb0ES6_15HIP_vector_typeIjLj2EENS0_17counting_iteratorIjlEEPS9_SG_NS0_5tupleIJPjSI_NS0_16reverse_iteratorISI_EEEEENSH_IJSG_SG_SG_EEES9_SI_JZNS1_25segmented_radix_sort_implINS0_14default_configELb1EPKbPbPKlPlN2at6native12_GLOBAL__N_18offset_tEEE10hipError_tPvRmT1_PNSt15iterator_traitsIS12_E10value_typeET2_T3_PNS13_IS18_E10value_typeET4_jRbjT5_S1E_jjP12ihipStream_tbEUljE_ZNSN_ISO_Lb1ESQ_SR_ST_SU_SY_EESZ_S10_S11_S12_S16_S17_S18_S1B_S1C_jS1D_jS1E_S1E_jjS1G_bEUljE0_EEESZ_S10_S11_S18_S1C_S1E_T6_T7_T9_mT8_S1G_bDpT10_ENKUlT_T0_E_clISt17integral_constantIbLb1EES1U_EEDaS1P_S1Q_EUlS1P_E_NS1_11comp_targetILNS1_3genE4ELNS1_11target_archE910ELNS1_3gpuE8ELNS1_3repE0EEENS1_30default_config_static_selectorELNS0_4arch9wavefront6targetE0EEEvS12_.kd
    .uniform_work_group_size: 1
    .uses_dynamic_stack: false
    .vgpr_count:     0
    .vgpr_spill_count: 0
    .wavefront_size: 32
    .workgroup_processor_mode: 1
  - .args:
      - .offset:         0
        .size:           184
        .value_kind:     by_value
    .group_segment_fixed_size: 0
    .kernarg_segment_align: 8
    .kernarg_segment_size: 184
    .language:       OpenCL C
    .language_version:
      - 2
      - 0
    .max_flat_workgroup_size: 256
    .name:           _ZN7rocprim17ROCPRIM_400000_NS6detail17trampoline_kernelINS0_13select_configILj256ELj13ELNS0_17block_load_methodE3ELS4_3ELS4_3ELNS0_20block_scan_algorithmE0ELj4294967295EEENS1_25partition_config_selectorILNS1_17partition_subalgoE4EjNS0_10empty_typeEbEEZZNS1_14partition_implILS8_4ELb0ES6_15HIP_vector_typeIjLj2EENS0_17counting_iteratorIjlEEPS9_SG_NS0_5tupleIJPjSI_NS0_16reverse_iteratorISI_EEEEENSH_IJSG_SG_SG_EEES9_SI_JZNS1_25segmented_radix_sort_implINS0_14default_configELb1EPKbPbPKlPlN2at6native12_GLOBAL__N_18offset_tEEE10hipError_tPvRmT1_PNSt15iterator_traitsIS12_E10value_typeET2_T3_PNS13_IS18_E10value_typeET4_jRbjT5_S1E_jjP12ihipStream_tbEUljE_ZNSN_ISO_Lb1ESQ_SR_ST_SU_SY_EESZ_S10_S11_S12_S16_S17_S18_S1B_S1C_jS1D_jS1E_S1E_jjS1G_bEUljE0_EEESZ_S10_S11_S18_S1C_S1E_T6_T7_T9_mT8_S1G_bDpT10_ENKUlT_T0_E_clISt17integral_constantIbLb1EES1U_EEDaS1P_S1Q_EUlS1P_E_NS1_11comp_targetILNS1_3genE3ELNS1_11target_archE908ELNS1_3gpuE7ELNS1_3repE0EEENS1_30default_config_static_selectorELNS0_4arch9wavefront6targetE0EEEvS12_
    .private_segment_fixed_size: 0
    .sgpr_count:     0
    .sgpr_spill_count: 0
    .symbol:         _ZN7rocprim17ROCPRIM_400000_NS6detail17trampoline_kernelINS0_13select_configILj256ELj13ELNS0_17block_load_methodE3ELS4_3ELS4_3ELNS0_20block_scan_algorithmE0ELj4294967295EEENS1_25partition_config_selectorILNS1_17partition_subalgoE4EjNS0_10empty_typeEbEEZZNS1_14partition_implILS8_4ELb0ES6_15HIP_vector_typeIjLj2EENS0_17counting_iteratorIjlEEPS9_SG_NS0_5tupleIJPjSI_NS0_16reverse_iteratorISI_EEEEENSH_IJSG_SG_SG_EEES9_SI_JZNS1_25segmented_radix_sort_implINS0_14default_configELb1EPKbPbPKlPlN2at6native12_GLOBAL__N_18offset_tEEE10hipError_tPvRmT1_PNSt15iterator_traitsIS12_E10value_typeET2_T3_PNS13_IS18_E10value_typeET4_jRbjT5_S1E_jjP12ihipStream_tbEUljE_ZNSN_ISO_Lb1ESQ_SR_ST_SU_SY_EESZ_S10_S11_S12_S16_S17_S18_S1B_S1C_jS1D_jS1E_S1E_jjS1G_bEUljE0_EEESZ_S10_S11_S18_S1C_S1E_T6_T7_T9_mT8_S1G_bDpT10_ENKUlT_T0_E_clISt17integral_constantIbLb1EES1U_EEDaS1P_S1Q_EUlS1P_E_NS1_11comp_targetILNS1_3genE3ELNS1_11target_archE908ELNS1_3gpuE7ELNS1_3repE0EEENS1_30default_config_static_selectorELNS0_4arch9wavefront6targetE0EEEvS12_.kd
    .uniform_work_group_size: 1
    .uses_dynamic_stack: false
    .vgpr_count:     0
    .vgpr_spill_count: 0
    .wavefront_size: 32
    .workgroup_processor_mode: 1
  - .args:
      - .offset:         0
        .size:           184
        .value_kind:     by_value
    .group_segment_fixed_size: 0
    .kernarg_segment_align: 8
    .kernarg_segment_size: 184
    .language:       OpenCL C
    .language_version:
      - 2
      - 0
    .max_flat_workgroup_size: 256
    .name:           _ZN7rocprim17ROCPRIM_400000_NS6detail17trampoline_kernelINS0_13select_configILj256ELj13ELNS0_17block_load_methodE3ELS4_3ELS4_3ELNS0_20block_scan_algorithmE0ELj4294967295EEENS1_25partition_config_selectorILNS1_17partition_subalgoE4EjNS0_10empty_typeEbEEZZNS1_14partition_implILS8_4ELb0ES6_15HIP_vector_typeIjLj2EENS0_17counting_iteratorIjlEEPS9_SG_NS0_5tupleIJPjSI_NS0_16reverse_iteratorISI_EEEEENSH_IJSG_SG_SG_EEES9_SI_JZNS1_25segmented_radix_sort_implINS0_14default_configELb1EPKbPbPKlPlN2at6native12_GLOBAL__N_18offset_tEEE10hipError_tPvRmT1_PNSt15iterator_traitsIS12_E10value_typeET2_T3_PNS13_IS18_E10value_typeET4_jRbjT5_S1E_jjP12ihipStream_tbEUljE_ZNSN_ISO_Lb1ESQ_SR_ST_SU_SY_EESZ_S10_S11_S12_S16_S17_S18_S1B_S1C_jS1D_jS1E_S1E_jjS1G_bEUljE0_EEESZ_S10_S11_S18_S1C_S1E_T6_T7_T9_mT8_S1G_bDpT10_ENKUlT_T0_E_clISt17integral_constantIbLb1EES1U_EEDaS1P_S1Q_EUlS1P_E_NS1_11comp_targetILNS1_3genE2ELNS1_11target_archE906ELNS1_3gpuE6ELNS1_3repE0EEENS1_30default_config_static_selectorELNS0_4arch9wavefront6targetE0EEEvS12_
    .private_segment_fixed_size: 0
    .sgpr_count:     0
    .sgpr_spill_count: 0
    .symbol:         _ZN7rocprim17ROCPRIM_400000_NS6detail17trampoline_kernelINS0_13select_configILj256ELj13ELNS0_17block_load_methodE3ELS4_3ELS4_3ELNS0_20block_scan_algorithmE0ELj4294967295EEENS1_25partition_config_selectorILNS1_17partition_subalgoE4EjNS0_10empty_typeEbEEZZNS1_14partition_implILS8_4ELb0ES6_15HIP_vector_typeIjLj2EENS0_17counting_iteratorIjlEEPS9_SG_NS0_5tupleIJPjSI_NS0_16reverse_iteratorISI_EEEEENSH_IJSG_SG_SG_EEES9_SI_JZNS1_25segmented_radix_sort_implINS0_14default_configELb1EPKbPbPKlPlN2at6native12_GLOBAL__N_18offset_tEEE10hipError_tPvRmT1_PNSt15iterator_traitsIS12_E10value_typeET2_T3_PNS13_IS18_E10value_typeET4_jRbjT5_S1E_jjP12ihipStream_tbEUljE_ZNSN_ISO_Lb1ESQ_SR_ST_SU_SY_EESZ_S10_S11_S12_S16_S17_S18_S1B_S1C_jS1D_jS1E_S1E_jjS1G_bEUljE0_EEESZ_S10_S11_S18_S1C_S1E_T6_T7_T9_mT8_S1G_bDpT10_ENKUlT_T0_E_clISt17integral_constantIbLb1EES1U_EEDaS1P_S1Q_EUlS1P_E_NS1_11comp_targetILNS1_3genE2ELNS1_11target_archE906ELNS1_3gpuE6ELNS1_3repE0EEENS1_30default_config_static_selectorELNS0_4arch9wavefront6targetE0EEEvS12_.kd
    .uniform_work_group_size: 1
    .uses_dynamic_stack: false
    .vgpr_count:     0
    .vgpr_spill_count: 0
    .wavefront_size: 32
    .workgroup_processor_mode: 1
  - .args:
      - .offset:         0
        .size:           184
        .value_kind:     by_value
    .group_segment_fixed_size: 0
    .kernarg_segment_align: 8
    .kernarg_segment_size: 184
    .language:       OpenCL C
    .language_version:
      - 2
      - 0
    .max_flat_workgroup_size: 256
    .name:           _ZN7rocprim17ROCPRIM_400000_NS6detail17trampoline_kernelINS0_13select_configILj256ELj13ELNS0_17block_load_methodE3ELS4_3ELS4_3ELNS0_20block_scan_algorithmE0ELj4294967295EEENS1_25partition_config_selectorILNS1_17partition_subalgoE4EjNS0_10empty_typeEbEEZZNS1_14partition_implILS8_4ELb0ES6_15HIP_vector_typeIjLj2EENS0_17counting_iteratorIjlEEPS9_SG_NS0_5tupleIJPjSI_NS0_16reverse_iteratorISI_EEEEENSH_IJSG_SG_SG_EEES9_SI_JZNS1_25segmented_radix_sort_implINS0_14default_configELb1EPKbPbPKlPlN2at6native12_GLOBAL__N_18offset_tEEE10hipError_tPvRmT1_PNSt15iterator_traitsIS12_E10value_typeET2_T3_PNS13_IS18_E10value_typeET4_jRbjT5_S1E_jjP12ihipStream_tbEUljE_ZNSN_ISO_Lb1ESQ_SR_ST_SU_SY_EESZ_S10_S11_S12_S16_S17_S18_S1B_S1C_jS1D_jS1E_S1E_jjS1G_bEUljE0_EEESZ_S10_S11_S18_S1C_S1E_T6_T7_T9_mT8_S1G_bDpT10_ENKUlT_T0_E_clISt17integral_constantIbLb1EES1U_EEDaS1P_S1Q_EUlS1P_E_NS1_11comp_targetILNS1_3genE10ELNS1_11target_archE1200ELNS1_3gpuE4ELNS1_3repE0EEENS1_30default_config_static_selectorELNS0_4arch9wavefront6targetE0EEEvS12_
    .private_segment_fixed_size: 0
    .sgpr_count:     0
    .sgpr_spill_count: 0
    .symbol:         _ZN7rocprim17ROCPRIM_400000_NS6detail17trampoline_kernelINS0_13select_configILj256ELj13ELNS0_17block_load_methodE3ELS4_3ELS4_3ELNS0_20block_scan_algorithmE0ELj4294967295EEENS1_25partition_config_selectorILNS1_17partition_subalgoE4EjNS0_10empty_typeEbEEZZNS1_14partition_implILS8_4ELb0ES6_15HIP_vector_typeIjLj2EENS0_17counting_iteratorIjlEEPS9_SG_NS0_5tupleIJPjSI_NS0_16reverse_iteratorISI_EEEEENSH_IJSG_SG_SG_EEES9_SI_JZNS1_25segmented_radix_sort_implINS0_14default_configELb1EPKbPbPKlPlN2at6native12_GLOBAL__N_18offset_tEEE10hipError_tPvRmT1_PNSt15iterator_traitsIS12_E10value_typeET2_T3_PNS13_IS18_E10value_typeET4_jRbjT5_S1E_jjP12ihipStream_tbEUljE_ZNSN_ISO_Lb1ESQ_SR_ST_SU_SY_EESZ_S10_S11_S12_S16_S17_S18_S1B_S1C_jS1D_jS1E_S1E_jjS1G_bEUljE0_EEESZ_S10_S11_S18_S1C_S1E_T6_T7_T9_mT8_S1G_bDpT10_ENKUlT_T0_E_clISt17integral_constantIbLb1EES1U_EEDaS1P_S1Q_EUlS1P_E_NS1_11comp_targetILNS1_3genE10ELNS1_11target_archE1200ELNS1_3gpuE4ELNS1_3repE0EEENS1_30default_config_static_selectorELNS0_4arch9wavefront6targetE0EEEvS12_.kd
    .uniform_work_group_size: 1
    .uses_dynamic_stack: false
    .vgpr_count:     0
    .vgpr_spill_count: 0
    .wavefront_size: 32
    .workgroup_processor_mode: 1
  - .args:
      - .offset:         0
        .size:           184
        .value_kind:     by_value
    .group_segment_fixed_size: 0
    .kernarg_segment_align: 8
    .kernarg_segment_size: 184
    .language:       OpenCL C
    .language_version:
      - 2
      - 0
    .max_flat_workgroup_size: 256
    .name:           _ZN7rocprim17ROCPRIM_400000_NS6detail17trampoline_kernelINS0_13select_configILj256ELj13ELNS0_17block_load_methodE3ELS4_3ELS4_3ELNS0_20block_scan_algorithmE0ELj4294967295EEENS1_25partition_config_selectorILNS1_17partition_subalgoE4EjNS0_10empty_typeEbEEZZNS1_14partition_implILS8_4ELb0ES6_15HIP_vector_typeIjLj2EENS0_17counting_iteratorIjlEEPS9_SG_NS0_5tupleIJPjSI_NS0_16reverse_iteratorISI_EEEEENSH_IJSG_SG_SG_EEES9_SI_JZNS1_25segmented_radix_sort_implINS0_14default_configELb1EPKbPbPKlPlN2at6native12_GLOBAL__N_18offset_tEEE10hipError_tPvRmT1_PNSt15iterator_traitsIS12_E10value_typeET2_T3_PNS13_IS18_E10value_typeET4_jRbjT5_S1E_jjP12ihipStream_tbEUljE_ZNSN_ISO_Lb1ESQ_SR_ST_SU_SY_EESZ_S10_S11_S12_S16_S17_S18_S1B_S1C_jS1D_jS1E_S1E_jjS1G_bEUljE0_EEESZ_S10_S11_S18_S1C_S1E_T6_T7_T9_mT8_S1G_bDpT10_ENKUlT_T0_E_clISt17integral_constantIbLb1EES1U_EEDaS1P_S1Q_EUlS1P_E_NS1_11comp_targetILNS1_3genE9ELNS1_11target_archE1100ELNS1_3gpuE3ELNS1_3repE0EEENS1_30default_config_static_selectorELNS0_4arch9wavefront6targetE0EEEvS12_
    .private_segment_fixed_size: 0
    .sgpr_count:     0
    .sgpr_spill_count: 0
    .symbol:         _ZN7rocprim17ROCPRIM_400000_NS6detail17trampoline_kernelINS0_13select_configILj256ELj13ELNS0_17block_load_methodE3ELS4_3ELS4_3ELNS0_20block_scan_algorithmE0ELj4294967295EEENS1_25partition_config_selectorILNS1_17partition_subalgoE4EjNS0_10empty_typeEbEEZZNS1_14partition_implILS8_4ELb0ES6_15HIP_vector_typeIjLj2EENS0_17counting_iteratorIjlEEPS9_SG_NS0_5tupleIJPjSI_NS0_16reverse_iteratorISI_EEEEENSH_IJSG_SG_SG_EEES9_SI_JZNS1_25segmented_radix_sort_implINS0_14default_configELb1EPKbPbPKlPlN2at6native12_GLOBAL__N_18offset_tEEE10hipError_tPvRmT1_PNSt15iterator_traitsIS12_E10value_typeET2_T3_PNS13_IS18_E10value_typeET4_jRbjT5_S1E_jjP12ihipStream_tbEUljE_ZNSN_ISO_Lb1ESQ_SR_ST_SU_SY_EESZ_S10_S11_S12_S16_S17_S18_S1B_S1C_jS1D_jS1E_S1E_jjS1G_bEUljE0_EEESZ_S10_S11_S18_S1C_S1E_T6_T7_T9_mT8_S1G_bDpT10_ENKUlT_T0_E_clISt17integral_constantIbLb1EES1U_EEDaS1P_S1Q_EUlS1P_E_NS1_11comp_targetILNS1_3genE9ELNS1_11target_archE1100ELNS1_3gpuE3ELNS1_3repE0EEENS1_30default_config_static_selectorELNS0_4arch9wavefront6targetE0EEEvS12_.kd
    .uniform_work_group_size: 1
    .uses_dynamic_stack: false
    .vgpr_count:     0
    .vgpr_spill_count: 0
    .wavefront_size: 32
    .workgroup_processor_mode: 1
  - .args:
      - .offset:         0
        .size:           184
        .value_kind:     by_value
    .group_segment_fixed_size: 0
    .kernarg_segment_align: 8
    .kernarg_segment_size: 184
    .language:       OpenCL C
    .language_version:
      - 2
      - 0
    .max_flat_workgroup_size: 256
    .name:           _ZN7rocprim17ROCPRIM_400000_NS6detail17trampoline_kernelINS0_13select_configILj256ELj13ELNS0_17block_load_methodE3ELS4_3ELS4_3ELNS0_20block_scan_algorithmE0ELj4294967295EEENS1_25partition_config_selectorILNS1_17partition_subalgoE4EjNS0_10empty_typeEbEEZZNS1_14partition_implILS8_4ELb0ES6_15HIP_vector_typeIjLj2EENS0_17counting_iteratorIjlEEPS9_SG_NS0_5tupleIJPjSI_NS0_16reverse_iteratorISI_EEEEENSH_IJSG_SG_SG_EEES9_SI_JZNS1_25segmented_radix_sort_implINS0_14default_configELb1EPKbPbPKlPlN2at6native12_GLOBAL__N_18offset_tEEE10hipError_tPvRmT1_PNSt15iterator_traitsIS12_E10value_typeET2_T3_PNS13_IS18_E10value_typeET4_jRbjT5_S1E_jjP12ihipStream_tbEUljE_ZNSN_ISO_Lb1ESQ_SR_ST_SU_SY_EESZ_S10_S11_S12_S16_S17_S18_S1B_S1C_jS1D_jS1E_S1E_jjS1G_bEUljE0_EEESZ_S10_S11_S18_S1C_S1E_T6_T7_T9_mT8_S1G_bDpT10_ENKUlT_T0_E_clISt17integral_constantIbLb1EES1U_EEDaS1P_S1Q_EUlS1P_E_NS1_11comp_targetILNS1_3genE8ELNS1_11target_archE1030ELNS1_3gpuE2ELNS1_3repE0EEENS1_30default_config_static_selectorELNS0_4arch9wavefront6targetE0EEEvS12_
    .private_segment_fixed_size: 0
    .sgpr_count:     0
    .sgpr_spill_count: 0
    .symbol:         _ZN7rocprim17ROCPRIM_400000_NS6detail17trampoline_kernelINS0_13select_configILj256ELj13ELNS0_17block_load_methodE3ELS4_3ELS4_3ELNS0_20block_scan_algorithmE0ELj4294967295EEENS1_25partition_config_selectorILNS1_17partition_subalgoE4EjNS0_10empty_typeEbEEZZNS1_14partition_implILS8_4ELb0ES6_15HIP_vector_typeIjLj2EENS0_17counting_iteratorIjlEEPS9_SG_NS0_5tupleIJPjSI_NS0_16reverse_iteratorISI_EEEEENSH_IJSG_SG_SG_EEES9_SI_JZNS1_25segmented_radix_sort_implINS0_14default_configELb1EPKbPbPKlPlN2at6native12_GLOBAL__N_18offset_tEEE10hipError_tPvRmT1_PNSt15iterator_traitsIS12_E10value_typeET2_T3_PNS13_IS18_E10value_typeET4_jRbjT5_S1E_jjP12ihipStream_tbEUljE_ZNSN_ISO_Lb1ESQ_SR_ST_SU_SY_EESZ_S10_S11_S12_S16_S17_S18_S1B_S1C_jS1D_jS1E_S1E_jjS1G_bEUljE0_EEESZ_S10_S11_S18_S1C_S1E_T6_T7_T9_mT8_S1G_bDpT10_ENKUlT_T0_E_clISt17integral_constantIbLb1EES1U_EEDaS1P_S1Q_EUlS1P_E_NS1_11comp_targetILNS1_3genE8ELNS1_11target_archE1030ELNS1_3gpuE2ELNS1_3repE0EEENS1_30default_config_static_selectorELNS0_4arch9wavefront6targetE0EEEvS12_.kd
    .uniform_work_group_size: 1
    .uses_dynamic_stack: false
    .vgpr_count:     0
    .vgpr_spill_count: 0
    .wavefront_size: 32
    .workgroup_processor_mode: 1
  - .args:
      - .offset:         0
        .size:           176
        .value_kind:     by_value
    .group_segment_fixed_size: 0
    .kernarg_segment_align: 8
    .kernarg_segment_size: 176
    .language:       OpenCL C
    .language_version:
      - 2
      - 0
    .max_flat_workgroup_size: 256
    .name:           _ZN7rocprim17ROCPRIM_400000_NS6detail17trampoline_kernelINS0_13select_configILj256ELj13ELNS0_17block_load_methodE3ELS4_3ELS4_3ELNS0_20block_scan_algorithmE0ELj4294967295EEENS1_25partition_config_selectorILNS1_17partition_subalgoE4EjNS0_10empty_typeEbEEZZNS1_14partition_implILS8_4ELb0ES6_15HIP_vector_typeIjLj2EENS0_17counting_iteratorIjlEEPS9_SG_NS0_5tupleIJPjSI_NS0_16reverse_iteratorISI_EEEEENSH_IJSG_SG_SG_EEES9_SI_JZNS1_25segmented_radix_sort_implINS0_14default_configELb1EPKbPbPKlPlN2at6native12_GLOBAL__N_18offset_tEEE10hipError_tPvRmT1_PNSt15iterator_traitsIS12_E10value_typeET2_T3_PNS13_IS18_E10value_typeET4_jRbjT5_S1E_jjP12ihipStream_tbEUljE_ZNSN_ISO_Lb1ESQ_SR_ST_SU_SY_EESZ_S10_S11_S12_S16_S17_S18_S1B_S1C_jS1D_jS1E_S1E_jjS1G_bEUljE0_EEESZ_S10_S11_S18_S1C_S1E_T6_T7_T9_mT8_S1G_bDpT10_ENKUlT_T0_E_clISt17integral_constantIbLb1EES1T_IbLb0EEEEDaS1P_S1Q_EUlS1P_E_NS1_11comp_targetILNS1_3genE0ELNS1_11target_archE4294967295ELNS1_3gpuE0ELNS1_3repE0EEENS1_30default_config_static_selectorELNS0_4arch9wavefront6targetE0EEEvS12_
    .private_segment_fixed_size: 0
    .sgpr_count:     0
    .sgpr_spill_count: 0
    .symbol:         _ZN7rocprim17ROCPRIM_400000_NS6detail17trampoline_kernelINS0_13select_configILj256ELj13ELNS0_17block_load_methodE3ELS4_3ELS4_3ELNS0_20block_scan_algorithmE0ELj4294967295EEENS1_25partition_config_selectorILNS1_17partition_subalgoE4EjNS0_10empty_typeEbEEZZNS1_14partition_implILS8_4ELb0ES6_15HIP_vector_typeIjLj2EENS0_17counting_iteratorIjlEEPS9_SG_NS0_5tupleIJPjSI_NS0_16reverse_iteratorISI_EEEEENSH_IJSG_SG_SG_EEES9_SI_JZNS1_25segmented_radix_sort_implINS0_14default_configELb1EPKbPbPKlPlN2at6native12_GLOBAL__N_18offset_tEEE10hipError_tPvRmT1_PNSt15iterator_traitsIS12_E10value_typeET2_T3_PNS13_IS18_E10value_typeET4_jRbjT5_S1E_jjP12ihipStream_tbEUljE_ZNSN_ISO_Lb1ESQ_SR_ST_SU_SY_EESZ_S10_S11_S12_S16_S17_S18_S1B_S1C_jS1D_jS1E_S1E_jjS1G_bEUljE0_EEESZ_S10_S11_S18_S1C_S1E_T6_T7_T9_mT8_S1G_bDpT10_ENKUlT_T0_E_clISt17integral_constantIbLb1EES1T_IbLb0EEEEDaS1P_S1Q_EUlS1P_E_NS1_11comp_targetILNS1_3genE0ELNS1_11target_archE4294967295ELNS1_3gpuE0ELNS1_3repE0EEENS1_30default_config_static_selectorELNS0_4arch9wavefront6targetE0EEEvS12_.kd
    .uniform_work_group_size: 1
    .uses_dynamic_stack: false
    .vgpr_count:     0
    .vgpr_spill_count: 0
    .wavefront_size: 32
    .workgroup_processor_mode: 1
  - .args:
      - .offset:         0
        .size:           176
        .value_kind:     by_value
    .group_segment_fixed_size: 0
    .kernarg_segment_align: 8
    .kernarg_segment_size: 176
    .language:       OpenCL C
    .language_version:
      - 2
      - 0
    .max_flat_workgroup_size: 256
    .name:           _ZN7rocprim17ROCPRIM_400000_NS6detail17trampoline_kernelINS0_13select_configILj256ELj13ELNS0_17block_load_methodE3ELS4_3ELS4_3ELNS0_20block_scan_algorithmE0ELj4294967295EEENS1_25partition_config_selectorILNS1_17partition_subalgoE4EjNS0_10empty_typeEbEEZZNS1_14partition_implILS8_4ELb0ES6_15HIP_vector_typeIjLj2EENS0_17counting_iteratorIjlEEPS9_SG_NS0_5tupleIJPjSI_NS0_16reverse_iteratorISI_EEEEENSH_IJSG_SG_SG_EEES9_SI_JZNS1_25segmented_radix_sort_implINS0_14default_configELb1EPKbPbPKlPlN2at6native12_GLOBAL__N_18offset_tEEE10hipError_tPvRmT1_PNSt15iterator_traitsIS12_E10value_typeET2_T3_PNS13_IS18_E10value_typeET4_jRbjT5_S1E_jjP12ihipStream_tbEUljE_ZNSN_ISO_Lb1ESQ_SR_ST_SU_SY_EESZ_S10_S11_S12_S16_S17_S18_S1B_S1C_jS1D_jS1E_S1E_jjS1G_bEUljE0_EEESZ_S10_S11_S18_S1C_S1E_T6_T7_T9_mT8_S1G_bDpT10_ENKUlT_T0_E_clISt17integral_constantIbLb1EES1T_IbLb0EEEEDaS1P_S1Q_EUlS1P_E_NS1_11comp_targetILNS1_3genE5ELNS1_11target_archE942ELNS1_3gpuE9ELNS1_3repE0EEENS1_30default_config_static_selectorELNS0_4arch9wavefront6targetE0EEEvS12_
    .private_segment_fixed_size: 0
    .sgpr_count:     0
    .sgpr_spill_count: 0
    .symbol:         _ZN7rocprim17ROCPRIM_400000_NS6detail17trampoline_kernelINS0_13select_configILj256ELj13ELNS0_17block_load_methodE3ELS4_3ELS4_3ELNS0_20block_scan_algorithmE0ELj4294967295EEENS1_25partition_config_selectorILNS1_17partition_subalgoE4EjNS0_10empty_typeEbEEZZNS1_14partition_implILS8_4ELb0ES6_15HIP_vector_typeIjLj2EENS0_17counting_iteratorIjlEEPS9_SG_NS0_5tupleIJPjSI_NS0_16reverse_iteratorISI_EEEEENSH_IJSG_SG_SG_EEES9_SI_JZNS1_25segmented_radix_sort_implINS0_14default_configELb1EPKbPbPKlPlN2at6native12_GLOBAL__N_18offset_tEEE10hipError_tPvRmT1_PNSt15iterator_traitsIS12_E10value_typeET2_T3_PNS13_IS18_E10value_typeET4_jRbjT5_S1E_jjP12ihipStream_tbEUljE_ZNSN_ISO_Lb1ESQ_SR_ST_SU_SY_EESZ_S10_S11_S12_S16_S17_S18_S1B_S1C_jS1D_jS1E_S1E_jjS1G_bEUljE0_EEESZ_S10_S11_S18_S1C_S1E_T6_T7_T9_mT8_S1G_bDpT10_ENKUlT_T0_E_clISt17integral_constantIbLb1EES1T_IbLb0EEEEDaS1P_S1Q_EUlS1P_E_NS1_11comp_targetILNS1_3genE5ELNS1_11target_archE942ELNS1_3gpuE9ELNS1_3repE0EEENS1_30default_config_static_selectorELNS0_4arch9wavefront6targetE0EEEvS12_.kd
    .uniform_work_group_size: 1
    .uses_dynamic_stack: false
    .vgpr_count:     0
    .vgpr_spill_count: 0
    .wavefront_size: 32
    .workgroup_processor_mode: 1
  - .args:
      - .offset:         0
        .size:           176
        .value_kind:     by_value
    .group_segment_fixed_size: 0
    .kernarg_segment_align: 8
    .kernarg_segment_size: 176
    .language:       OpenCL C
    .language_version:
      - 2
      - 0
    .max_flat_workgroup_size: 256
    .name:           _ZN7rocprim17ROCPRIM_400000_NS6detail17trampoline_kernelINS0_13select_configILj256ELj13ELNS0_17block_load_methodE3ELS4_3ELS4_3ELNS0_20block_scan_algorithmE0ELj4294967295EEENS1_25partition_config_selectorILNS1_17partition_subalgoE4EjNS0_10empty_typeEbEEZZNS1_14partition_implILS8_4ELb0ES6_15HIP_vector_typeIjLj2EENS0_17counting_iteratorIjlEEPS9_SG_NS0_5tupleIJPjSI_NS0_16reverse_iteratorISI_EEEEENSH_IJSG_SG_SG_EEES9_SI_JZNS1_25segmented_radix_sort_implINS0_14default_configELb1EPKbPbPKlPlN2at6native12_GLOBAL__N_18offset_tEEE10hipError_tPvRmT1_PNSt15iterator_traitsIS12_E10value_typeET2_T3_PNS13_IS18_E10value_typeET4_jRbjT5_S1E_jjP12ihipStream_tbEUljE_ZNSN_ISO_Lb1ESQ_SR_ST_SU_SY_EESZ_S10_S11_S12_S16_S17_S18_S1B_S1C_jS1D_jS1E_S1E_jjS1G_bEUljE0_EEESZ_S10_S11_S18_S1C_S1E_T6_T7_T9_mT8_S1G_bDpT10_ENKUlT_T0_E_clISt17integral_constantIbLb1EES1T_IbLb0EEEEDaS1P_S1Q_EUlS1P_E_NS1_11comp_targetILNS1_3genE4ELNS1_11target_archE910ELNS1_3gpuE8ELNS1_3repE0EEENS1_30default_config_static_selectorELNS0_4arch9wavefront6targetE0EEEvS12_
    .private_segment_fixed_size: 0
    .sgpr_count:     0
    .sgpr_spill_count: 0
    .symbol:         _ZN7rocprim17ROCPRIM_400000_NS6detail17trampoline_kernelINS0_13select_configILj256ELj13ELNS0_17block_load_methodE3ELS4_3ELS4_3ELNS0_20block_scan_algorithmE0ELj4294967295EEENS1_25partition_config_selectorILNS1_17partition_subalgoE4EjNS0_10empty_typeEbEEZZNS1_14partition_implILS8_4ELb0ES6_15HIP_vector_typeIjLj2EENS0_17counting_iteratorIjlEEPS9_SG_NS0_5tupleIJPjSI_NS0_16reverse_iteratorISI_EEEEENSH_IJSG_SG_SG_EEES9_SI_JZNS1_25segmented_radix_sort_implINS0_14default_configELb1EPKbPbPKlPlN2at6native12_GLOBAL__N_18offset_tEEE10hipError_tPvRmT1_PNSt15iterator_traitsIS12_E10value_typeET2_T3_PNS13_IS18_E10value_typeET4_jRbjT5_S1E_jjP12ihipStream_tbEUljE_ZNSN_ISO_Lb1ESQ_SR_ST_SU_SY_EESZ_S10_S11_S12_S16_S17_S18_S1B_S1C_jS1D_jS1E_S1E_jjS1G_bEUljE0_EEESZ_S10_S11_S18_S1C_S1E_T6_T7_T9_mT8_S1G_bDpT10_ENKUlT_T0_E_clISt17integral_constantIbLb1EES1T_IbLb0EEEEDaS1P_S1Q_EUlS1P_E_NS1_11comp_targetILNS1_3genE4ELNS1_11target_archE910ELNS1_3gpuE8ELNS1_3repE0EEENS1_30default_config_static_selectorELNS0_4arch9wavefront6targetE0EEEvS12_.kd
    .uniform_work_group_size: 1
    .uses_dynamic_stack: false
    .vgpr_count:     0
    .vgpr_spill_count: 0
    .wavefront_size: 32
    .workgroup_processor_mode: 1
  - .args:
      - .offset:         0
        .size:           176
        .value_kind:     by_value
    .group_segment_fixed_size: 0
    .kernarg_segment_align: 8
    .kernarg_segment_size: 176
    .language:       OpenCL C
    .language_version:
      - 2
      - 0
    .max_flat_workgroup_size: 256
    .name:           _ZN7rocprim17ROCPRIM_400000_NS6detail17trampoline_kernelINS0_13select_configILj256ELj13ELNS0_17block_load_methodE3ELS4_3ELS4_3ELNS0_20block_scan_algorithmE0ELj4294967295EEENS1_25partition_config_selectorILNS1_17partition_subalgoE4EjNS0_10empty_typeEbEEZZNS1_14partition_implILS8_4ELb0ES6_15HIP_vector_typeIjLj2EENS0_17counting_iteratorIjlEEPS9_SG_NS0_5tupleIJPjSI_NS0_16reverse_iteratorISI_EEEEENSH_IJSG_SG_SG_EEES9_SI_JZNS1_25segmented_radix_sort_implINS0_14default_configELb1EPKbPbPKlPlN2at6native12_GLOBAL__N_18offset_tEEE10hipError_tPvRmT1_PNSt15iterator_traitsIS12_E10value_typeET2_T3_PNS13_IS18_E10value_typeET4_jRbjT5_S1E_jjP12ihipStream_tbEUljE_ZNSN_ISO_Lb1ESQ_SR_ST_SU_SY_EESZ_S10_S11_S12_S16_S17_S18_S1B_S1C_jS1D_jS1E_S1E_jjS1G_bEUljE0_EEESZ_S10_S11_S18_S1C_S1E_T6_T7_T9_mT8_S1G_bDpT10_ENKUlT_T0_E_clISt17integral_constantIbLb1EES1T_IbLb0EEEEDaS1P_S1Q_EUlS1P_E_NS1_11comp_targetILNS1_3genE3ELNS1_11target_archE908ELNS1_3gpuE7ELNS1_3repE0EEENS1_30default_config_static_selectorELNS0_4arch9wavefront6targetE0EEEvS12_
    .private_segment_fixed_size: 0
    .sgpr_count:     0
    .sgpr_spill_count: 0
    .symbol:         _ZN7rocprim17ROCPRIM_400000_NS6detail17trampoline_kernelINS0_13select_configILj256ELj13ELNS0_17block_load_methodE3ELS4_3ELS4_3ELNS0_20block_scan_algorithmE0ELj4294967295EEENS1_25partition_config_selectorILNS1_17partition_subalgoE4EjNS0_10empty_typeEbEEZZNS1_14partition_implILS8_4ELb0ES6_15HIP_vector_typeIjLj2EENS0_17counting_iteratorIjlEEPS9_SG_NS0_5tupleIJPjSI_NS0_16reverse_iteratorISI_EEEEENSH_IJSG_SG_SG_EEES9_SI_JZNS1_25segmented_radix_sort_implINS0_14default_configELb1EPKbPbPKlPlN2at6native12_GLOBAL__N_18offset_tEEE10hipError_tPvRmT1_PNSt15iterator_traitsIS12_E10value_typeET2_T3_PNS13_IS18_E10value_typeET4_jRbjT5_S1E_jjP12ihipStream_tbEUljE_ZNSN_ISO_Lb1ESQ_SR_ST_SU_SY_EESZ_S10_S11_S12_S16_S17_S18_S1B_S1C_jS1D_jS1E_S1E_jjS1G_bEUljE0_EEESZ_S10_S11_S18_S1C_S1E_T6_T7_T9_mT8_S1G_bDpT10_ENKUlT_T0_E_clISt17integral_constantIbLb1EES1T_IbLb0EEEEDaS1P_S1Q_EUlS1P_E_NS1_11comp_targetILNS1_3genE3ELNS1_11target_archE908ELNS1_3gpuE7ELNS1_3repE0EEENS1_30default_config_static_selectorELNS0_4arch9wavefront6targetE0EEEvS12_.kd
    .uniform_work_group_size: 1
    .uses_dynamic_stack: false
    .vgpr_count:     0
    .vgpr_spill_count: 0
    .wavefront_size: 32
    .workgroup_processor_mode: 1
  - .args:
      - .offset:         0
        .size:           176
        .value_kind:     by_value
    .group_segment_fixed_size: 0
    .kernarg_segment_align: 8
    .kernarg_segment_size: 176
    .language:       OpenCL C
    .language_version:
      - 2
      - 0
    .max_flat_workgroup_size: 256
    .name:           _ZN7rocprim17ROCPRIM_400000_NS6detail17trampoline_kernelINS0_13select_configILj256ELj13ELNS0_17block_load_methodE3ELS4_3ELS4_3ELNS0_20block_scan_algorithmE0ELj4294967295EEENS1_25partition_config_selectorILNS1_17partition_subalgoE4EjNS0_10empty_typeEbEEZZNS1_14partition_implILS8_4ELb0ES6_15HIP_vector_typeIjLj2EENS0_17counting_iteratorIjlEEPS9_SG_NS0_5tupleIJPjSI_NS0_16reverse_iteratorISI_EEEEENSH_IJSG_SG_SG_EEES9_SI_JZNS1_25segmented_radix_sort_implINS0_14default_configELb1EPKbPbPKlPlN2at6native12_GLOBAL__N_18offset_tEEE10hipError_tPvRmT1_PNSt15iterator_traitsIS12_E10value_typeET2_T3_PNS13_IS18_E10value_typeET4_jRbjT5_S1E_jjP12ihipStream_tbEUljE_ZNSN_ISO_Lb1ESQ_SR_ST_SU_SY_EESZ_S10_S11_S12_S16_S17_S18_S1B_S1C_jS1D_jS1E_S1E_jjS1G_bEUljE0_EEESZ_S10_S11_S18_S1C_S1E_T6_T7_T9_mT8_S1G_bDpT10_ENKUlT_T0_E_clISt17integral_constantIbLb1EES1T_IbLb0EEEEDaS1P_S1Q_EUlS1P_E_NS1_11comp_targetILNS1_3genE2ELNS1_11target_archE906ELNS1_3gpuE6ELNS1_3repE0EEENS1_30default_config_static_selectorELNS0_4arch9wavefront6targetE0EEEvS12_
    .private_segment_fixed_size: 0
    .sgpr_count:     0
    .sgpr_spill_count: 0
    .symbol:         _ZN7rocprim17ROCPRIM_400000_NS6detail17trampoline_kernelINS0_13select_configILj256ELj13ELNS0_17block_load_methodE3ELS4_3ELS4_3ELNS0_20block_scan_algorithmE0ELj4294967295EEENS1_25partition_config_selectorILNS1_17partition_subalgoE4EjNS0_10empty_typeEbEEZZNS1_14partition_implILS8_4ELb0ES6_15HIP_vector_typeIjLj2EENS0_17counting_iteratorIjlEEPS9_SG_NS0_5tupleIJPjSI_NS0_16reverse_iteratorISI_EEEEENSH_IJSG_SG_SG_EEES9_SI_JZNS1_25segmented_radix_sort_implINS0_14default_configELb1EPKbPbPKlPlN2at6native12_GLOBAL__N_18offset_tEEE10hipError_tPvRmT1_PNSt15iterator_traitsIS12_E10value_typeET2_T3_PNS13_IS18_E10value_typeET4_jRbjT5_S1E_jjP12ihipStream_tbEUljE_ZNSN_ISO_Lb1ESQ_SR_ST_SU_SY_EESZ_S10_S11_S12_S16_S17_S18_S1B_S1C_jS1D_jS1E_S1E_jjS1G_bEUljE0_EEESZ_S10_S11_S18_S1C_S1E_T6_T7_T9_mT8_S1G_bDpT10_ENKUlT_T0_E_clISt17integral_constantIbLb1EES1T_IbLb0EEEEDaS1P_S1Q_EUlS1P_E_NS1_11comp_targetILNS1_3genE2ELNS1_11target_archE906ELNS1_3gpuE6ELNS1_3repE0EEENS1_30default_config_static_selectorELNS0_4arch9wavefront6targetE0EEEvS12_.kd
    .uniform_work_group_size: 1
    .uses_dynamic_stack: false
    .vgpr_count:     0
    .vgpr_spill_count: 0
    .wavefront_size: 32
    .workgroup_processor_mode: 1
  - .args:
      - .offset:         0
        .size:           176
        .value_kind:     by_value
    .group_segment_fixed_size: 0
    .kernarg_segment_align: 8
    .kernarg_segment_size: 176
    .language:       OpenCL C
    .language_version:
      - 2
      - 0
    .max_flat_workgroup_size: 256
    .name:           _ZN7rocprim17ROCPRIM_400000_NS6detail17trampoline_kernelINS0_13select_configILj256ELj13ELNS0_17block_load_methodE3ELS4_3ELS4_3ELNS0_20block_scan_algorithmE0ELj4294967295EEENS1_25partition_config_selectorILNS1_17partition_subalgoE4EjNS0_10empty_typeEbEEZZNS1_14partition_implILS8_4ELb0ES6_15HIP_vector_typeIjLj2EENS0_17counting_iteratorIjlEEPS9_SG_NS0_5tupleIJPjSI_NS0_16reverse_iteratorISI_EEEEENSH_IJSG_SG_SG_EEES9_SI_JZNS1_25segmented_radix_sort_implINS0_14default_configELb1EPKbPbPKlPlN2at6native12_GLOBAL__N_18offset_tEEE10hipError_tPvRmT1_PNSt15iterator_traitsIS12_E10value_typeET2_T3_PNS13_IS18_E10value_typeET4_jRbjT5_S1E_jjP12ihipStream_tbEUljE_ZNSN_ISO_Lb1ESQ_SR_ST_SU_SY_EESZ_S10_S11_S12_S16_S17_S18_S1B_S1C_jS1D_jS1E_S1E_jjS1G_bEUljE0_EEESZ_S10_S11_S18_S1C_S1E_T6_T7_T9_mT8_S1G_bDpT10_ENKUlT_T0_E_clISt17integral_constantIbLb1EES1T_IbLb0EEEEDaS1P_S1Q_EUlS1P_E_NS1_11comp_targetILNS1_3genE10ELNS1_11target_archE1200ELNS1_3gpuE4ELNS1_3repE0EEENS1_30default_config_static_selectorELNS0_4arch9wavefront6targetE0EEEvS12_
    .private_segment_fixed_size: 0
    .sgpr_count:     0
    .sgpr_spill_count: 0
    .symbol:         _ZN7rocprim17ROCPRIM_400000_NS6detail17trampoline_kernelINS0_13select_configILj256ELj13ELNS0_17block_load_methodE3ELS4_3ELS4_3ELNS0_20block_scan_algorithmE0ELj4294967295EEENS1_25partition_config_selectorILNS1_17partition_subalgoE4EjNS0_10empty_typeEbEEZZNS1_14partition_implILS8_4ELb0ES6_15HIP_vector_typeIjLj2EENS0_17counting_iteratorIjlEEPS9_SG_NS0_5tupleIJPjSI_NS0_16reverse_iteratorISI_EEEEENSH_IJSG_SG_SG_EEES9_SI_JZNS1_25segmented_radix_sort_implINS0_14default_configELb1EPKbPbPKlPlN2at6native12_GLOBAL__N_18offset_tEEE10hipError_tPvRmT1_PNSt15iterator_traitsIS12_E10value_typeET2_T3_PNS13_IS18_E10value_typeET4_jRbjT5_S1E_jjP12ihipStream_tbEUljE_ZNSN_ISO_Lb1ESQ_SR_ST_SU_SY_EESZ_S10_S11_S12_S16_S17_S18_S1B_S1C_jS1D_jS1E_S1E_jjS1G_bEUljE0_EEESZ_S10_S11_S18_S1C_S1E_T6_T7_T9_mT8_S1G_bDpT10_ENKUlT_T0_E_clISt17integral_constantIbLb1EES1T_IbLb0EEEEDaS1P_S1Q_EUlS1P_E_NS1_11comp_targetILNS1_3genE10ELNS1_11target_archE1200ELNS1_3gpuE4ELNS1_3repE0EEENS1_30default_config_static_selectorELNS0_4arch9wavefront6targetE0EEEvS12_.kd
    .uniform_work_group_size: 1
    .uses_dynamic_stack: false
    .vgpr_count:     0
    .vgpr_spill_count: 0
    .wavefront_size: 32
    .workgroup_processor_mode: 1
  - .args:
      - .offset:         0
        .size:           176
        .value_kind:     by_value
    .group_segment_fixed_size: 0
    .kernarg_segment_align: 8
    .kernarg_segment_size: 176
    .language:       OpenCL C
    .language_version:
      - 2
      - 0
    .max_flat_workgroup_size: 256
    .name:           _ZN7rocprim17ROCPRIM_400000_NS6detail17trampoline_kernelINS0_13select_configILj256ELj13ELNS0_17block_load_methodE3ELS4_3ELS4_3ELNS0_20block_scan_algorithmE0ELj4294967295EEENS1_25partition_config_selectorILNS1_17partition_subalgoE4EjNS0_10empty_typeEbEEZZNS1_14partition_implILS8_4ELb0ES6_15HIP_vector_typeIjLj2EENS0_17counting_iteratorIjlEEPS9_SG_NS0_5tupleIJPjSI_NS0_16reverse_iteratorISI_EEEEENSH_IJSG_SG_SG_EEES9_SI_JZNS1_25segmented_radix_sort_implINS0_14default_configELb1EPKbPbPKlPlN2at6native12_GLOBAL__N_18offset_tEEE10hipError_tPvRmT1_PNSt15iterator_traitsIS12_E10value_typeET2_T3_PNS13_IS18_E10value_typeET4_jRbjT5_S1E_jjP12ihipStream_tbEUljE_ZNSN_ISO_Lb1ESQ_SR_ST_SU_SY_EESZ_S10_S11_S12_S16_S17_S18_S1B_S1C_jS1D_jS1E_S1E_jjS1G_bEUljE0_EEESZ_S10_S11_S18_S1C_S1E_T6_T7_T9_mT8_S1G_bDpT10_ENKUlT_T0_E_clISt17integral_constantIbLb1EES1T_IbLb0EEEEDaS1P_S1Q_EUlS1P_E_NS1_11comp_targetILNS1_3genE9ELNS1_11target_archE1100ELNS1_3gpuE3ELNS1_3repE0EEENS1_30default_config_static_selectorELNS0_4arch9wavefront6targetE0EEEvS12_
    .private_segment_fixed_size: 0
    .sgpr_count:     0
    .sgpr_spill_count: 0
    .symbol:         _ZN7rocprim17ROCPRIM_400000_NS6detail17trampoline_kernelINS0_13select_configILj256ELj13ELNS0_17block_load_methodE3ELS4_3ELS4_3ELNS0_20block_scan_algorithmE0ELj4294967295EEENS1_25partition_config_selectorILNS1_17partition_subalgoE4EjNS0_10empty_typeEbEEZZNS1_14partition_implILS8_4ELb0ES6_15HIP_vector_typeIjLj2EENS0_17counting_iteratorIjlEEPS9_SG_NS0_5tupleIJPjSI_NS0_16reverse_iteratorISI_EEEEENSH_IJSG_SG_SG_EEES9_SI_JZNS1_25segmented_radix_sort_implINS0_14default_configELb1EPKbPbPKlPlN2at6native12_GLOBAL__N_18offset_tEEE10hipError_tPvRmT1_PNSt15iterator_traitsIS12_E10value_typeET2_T3_PNS13_IS18_E10value_typeET4_jRbjT5_S1E_jjP12ihipStream_tbEUljE_ZNSN_ISO_Lb1ESQ_SR_ST_SU_SY_EESZ_S10_S11_S12_S16_S17_S18_S1B_S1C_jS1D_jS1E_S1E_jjS1G_bEUljE0_EEESZ_S10_S11_S18_S1C_S1E_T6_T7_T9_mT8_S1G_bDpT10_ENKUlT_T0_E_clISt17integral_constantIbLb1EES1T_IbLb0EEEEDaS1P_S1Q_EUlS1P_E_NS1_11comp_targetILNS1_3genE9ELNS1_11target_archE1100ELNS1_3gpuE3ELNS1_3repE0EEENS1_30default_config_static_selectorELNS0_4arch9wavefront6targetE0EEEvS12_.kd
    .uniform_work_group_size: 1
    .uses_dynamic_stack: false
    .vgpr_count:     0
    .vgpr_spill_count: 0
    .wavefront_size: 32
    .workgroup_processor_mode: 1
  - .args:
      - .offset:         0
        .size:           176
        .value_kind:     by_value
    .group_segment_fixed_size: 0
    .kernarg_segment_align: 8
    .kernarg_segment_size: 176
    .language:       OpenCL C
    .language_version:
      - 2
      - 0
    .max_flat_workgroup_size: 256
    .name:           _ZN7rocprim17ROCPRIM_400000_NS6detail17trampoline_kernelINS0_13select_configILj256ELj13ELNS0_17block_load_methodE3ELS4_3ELS4_3ELNS0_20block_scan_algorithmE0ELj4294967295EEENS1_25partition_config_selectorILNS1_17partition_subalgoE4EjNS0_10empty_typeEbEEZZNS1_14partition_implILS8_4ELb0ES6_15HIP_vector_typeIjLj2EENS0_17counting_iteratorIjlEEPS9_SG_NS0_5tupleIJPjSI_NS0_16reverse_iteratorISI_EEEEENSH_IJSG_SG_SG_EEES9_SI_JZNS1_25segmented_radix_sort_implINS0_14default_configELb1EPKbPbPKlPlN2at6native12_GLOBAL__N_18offset_tEEE10hipError_tPvRmT1_PNSt15iterator_traitsIS12_E10value_typeET2_T3_PNS13_IS18_E10value_typeET4_jRbjT5_S1E_jjP12ihipStream_tbEUljE_ZNSN_ISO_Lb1ESQ_SR_ST_SU_SY_EESZ_S10_S11_S12_S16_S17_S18_S1B_S1C_jS1D_jS1E_S1E_jjS1G_bEUljE0_EEESZ_S10_S11_S18_S1C_S1E_T6_T7_T9_mT8_S1G_bDpT10_ENKUlT_T0_E_clISt17integral_constantIbLb1EES1T_IbLb0EEEEDaS1P_S1Q_EUlS1P_E_NS1_11comp_targetILNS1_3genE8ELNS1_11target_archE1030ELNS1_3gpuE2ELNS1_3repE0EEENS1_30default_config_static_selectorELNS0_4arch9wavefront6targetE0EEEvS12_
    .private_segment_fixed_size: 0
    .sgpr_count:     0
    .sgpr_spill_count: 0
    .symbol:         _ZN7rocprim17ROCPRIM_400000_NS6detail17trampoline_kernelINS0_13select_configILj256ELj13ELNS0_17block_load_methodE3ELS4_3ELS4_3ELNS0_20block_scan_algorithmE0ELj4294967295EEENS1_25partition_config_selectorILNS1_17partition_subalgoE4EjNS0_10empty_typeEbEEZZNS1_14partition_implILS8_4ELb0ES6_15HIP_vector_typeIjLj2EENS0_17counting_iteratorIjlEEPS9_SG_NS0_5tupleIJPjSI_NS0_16reverse_iteratorISI_EEEEENSH_IJSG_SG_SG_EEES9_SI_JZNS1_25segmented_radix_sort_implINS0_14default_configELb1EPKbPbPKlPlN2at6native12_GLOBAL__N_18offset_tEEE10hipError_tPvRmT1_PNSt15iterator_traitsIS12_E10value_typeET2_T3_PNS13_IS18_E10value_typeET4_jRbjT5_S1E_jjP12ihipStream_tbEUljE_ZNSN_ISO_Lb1ESQ_SR_ST_SU_SY_EESZ_S10_S11_S12_S16_S17_S18_S1B_S1C_jS1D_jS1E_S1E_jjS1G_bEUljE0_EEESZ_S10_S11_S18_S1C_S1E_T6_T7_T9_mT8_S1G_bDpT10_ENKUlT_T0_E_clISt17integral_constantIbLb1EES1T_IbLb0EEEEDaS1P_S1Q_EUlS1P_E_NS1_11comp_targetILNS1_3genE8ELNS1_11target_archE1030ELNS1_3gpuE2ELNS1_3repE0EEENS1_30default_config_static_selectorELNS0_4arch9wavefront6targetE0EEEvS12_.kd
    .uniform_work_group_size: 1
    .uses_dynamic_stack: false
    .vgpr_count:     0
    .vgpr_spill_count: 0
    .wavefront_size: 32
    .workgroup_processor_mode: 1
  - .args:
      - .offset:         0
        .size:           184
        .value_kind:     by_value
    .group_segment_fixed_size: 0
    .kernarg_segment_align: 8
    .kernarg_segment_size: 184
    .language:       OpenCL C
    .language_version:
      - 2
      - 0
    .max_flat_workgroup_size: 256
    .name:           _ZN7rocprim17ROCPRIM_400000_NS6detail17trampoline_kernelINS0_13select_configILj256ELj13ELNS0_17block_load_methodE3ELS4_3ELS4_3ELNS0_20block_scan_algorithmE0ELj4294967295EEENS1_25partition_config_selectorILNS1_17partition_subalgoE4EjNS0_10empty_typeEbEEZZNS1_14partition_implILS8_4ELb0ES6_15HIP_vector_typeIjLj2EENS0_17counting_iteratorIjlEEPS9_SG_NS0_5tupleIJPjSI_NS0_16reverse_iteratorISI_EEEEENSH_IJSG_SG_SG_EEES9_SI_JZNS1_25segmented_radix_sort_implINS0_14default_configELb1EPKbPbPKlPlN2at6native12_GLOBAL__N_18offset_tEEE10hipError_tPvRmT1_PNSt15iterator_traitsIS12_E10value_typeET2_T3_PNS13_IS18_E10value_typeET4_jRbjT5_S1E_jjP12ihipStream_tbEUljE_ZNSN_ISO_Lb1ESQ_SR_ST_SU_SY_EESZ_S10_S11_S12_S16_S17_S18_S1B_S1C_jS1D_jS1E_S1E_jjS1G_bEUljE0_EEESZ_S10_S11_S18_S1C_S1E_T6_T7_T9_mT8_S1G_bDpT10_ENKUlT_T0_E_clISt17integral_constantIbLb0EES1T_IbLb1EEEEDaS1P_S1Q_EUlS1P_E_NS1_11comp_targetILNS1_3genE0ELNS1_11target_archE4294967295ELNS1_3gpuE0ELNS1_3repE0EEENS1_30default_config_static_selectorELNS0_4arch9wavefront6targetE0EEEvS12_
    .private_segment_fixed_size: 0
    .sgpr_count:     0
    .sgpr_spill_count: 0
    .symbol:         _ZN7rocprim17ROCPRIM_400000_NS6detail17trampoline_kernelINS0_13select_configILj256ELj13ELNS0_17block_load_methodE3ELS4_3ELS4_3ELNS0_20block_scan_algorithmE0ELj4294967295EEENS1_25partition_config_selectorILNS1_17partition_subalgoE4EjNS0_10empty_typeEbEEZZNS1_14partition_implILS8_4ELb0ES6_15HIP_vector_typeIjLj2EENS0_17counting_iteratorIjlEEPS9_SG_NS0_5tupleIJPjSI_NS0_16reverse_iteratorISI_EEEEENSH_IJSG_SG_SG_EEES9_SI_JZNS1_25segmented_radix_sort_implINS0_14default_configELb1EPKbPbPKlPlN2at6native12_GLOBAL__N_18offset_tEEE10hipError_tPvRmT1_PNSt15iterator_traitsIS12_E10value_typeET2_T3_PNS13_IS18_E10value_typeET4_jRbjT5_S1E_jjP12ihipStream_tbEUljE_ZNSN_ISO_Lb1ESQ_SR_ST_SU_SY_EESZ_S10_S11_S12_S16_S17_S18_S1B_S1C_jS1D_jS1E_S1E_jjS1G_bEUljE0_EEESZ_S10_S11_S18_S1C_S1E_T6_T7_T9_mT8_S1G_bDpT10_ENKUlT_T0_E_clISt17integral_constantIbLb0EES1T_IbLb1EEEEDaS1P_S1Q_EUlS1P_E_NS1_11comp_targetILNS1_3genE0ELNS1_11target_archE4294967295ELNS1_3gpuE0ELNS1_3repE0EEENS1_30default_config_static_selectorELNS0_4arch9wavefront6targetE0EEEvS12_.kd
    .uniform_work_group_size: 1
    .uses_dynamic_stack: false
    .vgpr_count:     0
    .vgpr_spill_count: 0
    .wavefront_size: 32
    .workgroup_processor_mode: 1
  - .args:
      - .offset:         0
        .size:           184
        .value_kind:     by_value
    .group_segment_fixed_size: 0
    .kernarg_segment_align: 8
    .kernarg_segment_size: 184
    .language:       OpenCL C
    .language_version:
      - 2
      - 0
    .max_flat_workgroup_size: 256
    .name:           _ZN7rocprim17ROCPRIM_400000_NS6detail17trampoline_kernelINS0_13select_configILj256ELj13ELNS0_17block_load_methodE3ELS4_3ELS4_3ELNS0_20block_scan_algorithmE0ELj4294967295EEENS1_25partition_config_selectorILNS1_17partition_subalgoE4EjNS0_10empty_typeEbEEZZNS1_14partition_implILS8_4ELb0ES6_15HIP_vector_typeIjLj2EENS0_17counting_iteratorIjlEEPS9_SG_NS0_5tupleIJPjSI_NS0_16reverse_iteratorISI_EEEEENSH_IJSG_SG_SG_EEES9_SI_JZNS1_25segmented_radix_sort_implINS0_14default_configELb1EPKbPbPKlPlN2at6native12_GLOBAL__N_18offset_tEEE10hipError_tPvRmT1_PNSt15iterator_traitsIS12_E10value_typeET2_T3_PNS13_IS18_E10value_typeET4_jRbjT5_S1E_jjP12ihipStream_tbEUljE_ZNSN_ISO_Lb1ESQ_SR_ST_SU_SY_EESZ_S10_S11_S12_S16_S17_S18_S1B_S1C_jS1D_jS1E_S1E_jjS1G_bEUljE0_EEESZ_S10_S11_S18_S1C_S1E_T6_T7_T9_mT8_S1G_bDpT10_ENKUlT_T0_E_clISt17integral_constantIbLb0EES1T_IbLb1EEEEDaS1P_S1Q_EUlS1P_E_NS1_11comp_targetILNS1_3genE5ELNS1_11target_archE942ELNS1_3gpuE9ELNS1_3repE0EEENS1_30default_config_static_selectorELNS0_4arch9wavefront6targetE0EEEvS12_
    .private_segment_fixed_size: 0
    .sgpr_count:     0
    .sgpr_spill_count: 0
    .symbol:         _ZN7rocprim17ROCPRIM_400000_NS6detail17trampoline_kernelINS0_13select_configILj256ELj13ELNS0_17block_load_methodE3ELS4_3ELS4_3ELNS0_20block_scan_algorithmE0ELj4294967295EEENS1_25partition_config_selectorILNS1_17partition_subalgoE4EjNS0_10empty_typeEbEEZZNS1_14partition_implILS8_4ELb0ES6_15HIP_vector_typeIjLj2EENS0_17counting_iteratorIjlEEPS9_SG_NS0_5tupleIJPjSI_NS0_16reverse_iteratorISI_EEEEENSH_IJSG_SG_SG_EEES9_SI_JZNS1_25segmented_radix_sort_implINS0_14default_configELb1EPKbPbPKlPlN2at6native12_GLOBAL__N_18offset_tEEE10hipError_tPvRmT1_PNSt15iterator_traitsIS12_E10value_typeET2_T3_PNS13_IS18_E10value_typeET4_jRbjT5_S1E_jjP12ihipStream_tbEUljE_ZNSN_ISO_Lb1ESQ_SR_ST_SU_SY_EESZ_S10_S11_S12_S16_S17_S18_S1B_S1C_jS1D_jS1E_S1E_jjS1G_bEUljE0_EEESZ_S10_S11_S18_S1C_S1E_T6_T7_T9_mT8_S1G_bDpT10_ENKUlT_T0_E_clISt17integral_constantIbLb0EES1T_IbLb1EEEEDaS1P_S1Q_EUlS1P_E_NS1_11comp_targetILNS1_3genE5ELNS1_11target_archE942ELNS1_3gpuE9ELNS1_3repE0EEENS1_30default_config_static_selectorELNS0_4arch9wavefront6targetE0EEEvS12_.kd
    .uniform_work_group_size: 1
    .uses_dynamic_stack: false
    .vgpr_count:     0
    .vgpr_spill_count: 0
    .wavefront_size: 32
    .workgroup_processor_mode: 1
  - .args:
      - .offset:         0
        .size:           184
        .value_kind:     by_value
    .group_segment_fixed_size: 0
    .kernarg_segment_align: 8
    .kernarg_segment_size: 184
    .language:       OpenCL C
    .language_version:
      - 2
      - 0
    .max_flat_workgroup_size: 256
    .name:           _ZN7rocprim17ROCPRIM_400000_NS6detail17trampoline_kernelINS0_13select_configILj256ELj13ELNS0_17block_load_methodE3ELS4_3ELS4_3ELNS0_20block_scan_algorithmE0ELj4294967295EEENS1_25partition_config_selectorILNS1_17partition_subalgoE4EjNS0_10empty_typeEbEEZZNS1_14partition_implILS8_4ELb0ES6_15HIP_vector_typeIjLj2EENS0_17counting_iteratorIjlEEPS9_SG_NS0_5tupleIJPjSI_NS0_16reverse_iteratorISI_EEEEENSH_IJSG_SG_SG_EEES9_SI_JZNS1_25segmented_radix_sort_implINS0_14default_configELb1EPKbPbPKlPlN2at6native12_GLOBAL__N_18offset_tEEE10hipError_tPvRmT1_PNSt15iterator_traitsIS12_E10value_typeET2_T3_PNS13_IS18_E10value_typeET4_jRbjT5_S1E_jjP12ihipStream_tbEUljE_ZNSN_ISO_Lb1ESQ_SR_ST_SU_SY_EESZ_S10_S11_S12_S16_S17_S18_S1B_S1C_jS1D_jS1E_S1E_jjS1G_bEUljE0_EEESZ_S10_S11_S18_S1C_S1E_T6_T7_T9_mT8_S1G_bDpT10_ENKUlT_T0_E_clISt17integral_constantIbLb0EES1T_IbLb1EEEEDaS1P_S1Q_EUlS1P_E_NS1_11comp_targetILNS1_3genE4ELNS1_11target_archE910ELNS1_3gpuE8ELNS1_3repE0EEENS1_30default_config_static_selectorELNS0_4arch9wavefront6targetE0EEEvS12_
    .private_segment_fixed_size: 0
    .sgpr_count:     0
    .sgpr_spill_count: 0
    .symbol:         _ZN7rocprim17ROCPRIM_400000_NS6detail17trampoline_kernelINS0_13select_configILj256ELj13ELNS0_17block_load_methodE3ELS4_3ELS4_3ELNS0_20block_scan_algorithmE0ELj4294967295EEENS1_25partition_config_selectorILNS1_17partition_subalgoE4EjNS0_10empty_typeEbEEZZNS1_14partition_implILS8_4ELb0ES6_15HIP_vector_typeIjLj2EENS0_17counting_iteratorIjlEEPS9_SG_NS0_5tupleIJPjSI_NS0_16reverse_iteratorISI_EEEEENSH_IJSG_SG_SG_EEES9_SI_JZNS1_25segmented_radix_sort_implINS0_14default_configELb1EPKbPbPKlPlN2at6native12_GLOBAL__N_18offset_tEEE10hipError_tPvRmT1_PNSt15iterator_traitsIS12_E10value_typeET2_T3_PNS13_IS18_E10value_typeET4_jRbjT5_S1E_jjP12ihipStream_tbEUljE_ZNSN_ISO_Lb1ESQ_SR_ST_SU_SY_EESZ_S10_S11_S12_S16_S17_S18_S1B_S1C_jS1D_jS1E_S1E_jjS1G_bEUljE0_EEESZ_S10_S11_S18_S1C_S1E_T6_T7_T9_mT8_S1G_bDpT10_ENKUlT_T0_E_clISt17integral_constantIbLb0EES1T_IbLb1EEEEDaS1P_S1Q_EUlS1P_E_NS1_11comp_targetILNS1_3genE4ELNS1_11target_archE910ELNS1_3gpuE8ELNS1_3repE0EEENS1_30default_config_static_selectorELNS0_4arch9wavefront6targetE0EEEvS12_.kd
    .uniform_work_group_size: 1
    .uses_dynamic_stack: false
    .vgpr_count:     0
    .vgpr_spill_count: 0
    .wavefront_size: 32
    .workgroup_processor_mode: 1
  - .args:
      - .offset:         0
        .size:           184
        .value_kind:     by_value
    .group_segment_fixed_size: 0
    .kernarg_segment_align: 8
    .kernarg_segment_size: 184
    .language:       OpenCL C
    .language_version:
      - 2
      - 0
    .max_flat_workgroup_size: 256
    .name:           _ZN7rocprim17ROCPRIM_400000_NS6detail17trampoline_kernelINS0_13select_configILj256ELj13ELNS0_17block_load_methodE3ELS4_3ELS4_3ELNS0_20block_scan_algorithmE0ELj4294967295EEENS1_25partition_config_selectorILNS1_17partition_subalgoE4EjNS0_10empty_typeEbEEZZNS1_14partition_implILS8_4ELb0ES6_15HIP_vector_typeIjLj2EENS0_17counting_iteratorIjlEEPS9_SG_NS0_5tupleIJPjSI_NS0_16reverse_iteratorISI_EEEEENSH_IJSG_SG_SG_EEES9_SI_JZNS1_25segmented_radix_sort_implINS0_14default_configELb1EPKbPbPKlPlN2at6native12_GLOBAL__N_18offset_tEEE10hipError_tPvRmT1_PNSt15iterator_traitsIS12_E10value_typeET2_T3_PNS13_IS18_E10value_typeET4_jRbjT5_S1E_jjP12ihipStream_tbEUljE_ZNSN_ISO_Lb1ESQ_SR_ST_SU_SY_EESZ_S10_S11_S12_S16_S17_S18_S1B_S1C_jS1D_jS1E_S1E_jjS1G_bEUljE0_EEESZ_S10_S11_S18_S1C_S1E_T6_T7_T9_mT8_S1G_bDpT10_ENKUlT_T0_E_clISt17integral_constantIbLb0EES1T_IbLb1EEEEDaS1P_S1Q_EUlS1P_E_NS1_11comp_targetILNS1_3genE3ELNS1_11target_archE908ELNS1_3gpuE7ELNS1_3repE0EEENS1_30default_config_static_selectorELNS0_4arch9wavefront6targetE0EEEvS12_
    .private_segment_fixed_size: 0
    .sgpr_count:     0
    .sgpr_spill_count: 0
    .symbol:         _ZN7rocprim17ROCPRIM_400000_NS6detail17trampoline_kernelINS0_13select_configILj256ELj13ELNS0_17block_load_methodE3ELS4_3ELS4_3ELNS0_20block_scan_algorithmE0ELj4294967295EEENS1_25partition_config_selectorILNS1_17partition_subalgoE4EjNS0_10empty_typeEbEEZZNS1_14partition_implILS8_4ELb0ES6_15HIP_vector_typeIjLj2EENS0_17counting_iteratorIjlEEPS9_SG_NS0_5tupleIJPjSI_NS0_16reverse_iteratorISI_EEEEENSH_IJSG_SG_SG_EEES9_SI_JZNS1_25segmented_radix_sort_implINS0_14default_configELb1EPKbPbPKlPlN2at6native12_GLOBAL__N_18offset_tEEE10hipError_tPvRmT1_PNSt15iterator_traitsIS12_E10value_typeET2_T3_PNS13_IS18_E10value_typeET4_jRbjT5_S1E_jjP12ihipStream_tbEUljE_ZNSN_ISO_Lb1ESQ_SR_ST_SU_SY_EESZ_S10_S11_S12_S16_S17_S18_S1B_S1C_jS1D_jS1E_S1E_jjS1G_bEUljE0_EEESZ_S10_S11_S18_S1C_S1E_T6_T7_T9_mT8_S1G_bDpT10_ENKUlT_T0_E_clISt17integral_constantIbLb0EES1T_IbLb1EEEEDaS1P_S1Q_EUlS1P_E_NS1_11comp_targetILNS1_3genE3ELNS1_11target_archE908ELNS1_3gpuE7ELNS1_3repE0EEENS1_30default_config_static_selectorELNS0_4arch9wavefront6targetE0EEEvS12_.kd
    .uniform_work_group_size: 1
    .uses_dynamic_stack: false
    .vgpr_count:     0
    .vgpr_spill_count: 0
    .wavefront_size: 32
    .workgroup_processor_mode: 1
  - .args:
      - .offset:         0
        .size:           184
        .value_kind:     by_value
    .group_segment_fixed_size: 0
    .kernarg_segment_align: 8
    .kernarg_segment_size: 184
    .language:       OpenCL C
    .language_version:
      - 2
      - 0
    .max_flat_workgroup_size: 256
    .name:           _ZN7rocprim17ROCPRIM_400000_NS6detail17trampoline_kernelINS0_13select_configILj256ELj13ELNS0_17block_load_methodE3ELS4_3ELS4_3ELNS0_20block_scan_algorithmE0ELj4294967295EEENS1_25partition_config_selectorILNS1_17partition_subalgoE4EjNS0_10empty_typeEbEEZZNS1_14partition_implILS8_4ELb0ES6_15HIP_vector_typeIjLj2EENS0_17counting_iteratorIjlEEPS9_SG_NS0_5tupleIJPjSI_NS0_16reverse_iteratorISI_EEEEENSH_IJSG_SG_SG_EEES9_SI_JZNS1_25segmented_radix_sort_implINS0_14default_configELb1EPKbPbPKlPlN2at6native12_GLOBAL__N_18offset_tEEE10hipError_tPvRmT1_PNSt15iterator_traitsIS12_E10value_typeET2_T3_PNS13_IS18_E10value_typeET4_jRbjT5_S1E_jjP12ihipStream_tbEUljE_ZNSN_ISO_Lb1ESQ_SR_ST_SU_SY_EESZ_S10_S11_S12_S16_S17_S18_S1B_S1C_jS1D_jS1E_S1E_jjS1G_bEUljE0_EEESZ_S10_S11_S18_S1C_S1E_T6_T7_T9_mT8_S1G_bDpT10_ENKUlT_T0_E_clISt17integral_constantIbLb0EES1T_IbLb1EEEEDaS1P_S1Q_EUlS1P_E_NS1_11comp_targetILNS1_3genE2ELNS1_11target_archE906ELNS1_3gpuE6ELNS1_3repE0EEENS1_30default_config_static_selectorELNS0_4arch9wavefront6targetE0EEEvS12_
    .private_segment_fixed_size: 0
    .sgpr_count:     0
    .sgpr_spill_count: 0
    .symbol:         _ZN7rocprim17ROCPRIM_400000_NS6detail17trampoline_kernelINS0_13select_configILj256ELj13ELNS0_17block_load_methodE3ELS4_3ELS4_3ELNS0_20block_scan_algorithmE0ELj4294967295EEENS1_25partition_config_selectorILNS1_17partition_subalgoE4EjNS0_10empty_typeEbEEZZNS1_14partition_implILS8_4ELb0ES6_15HIP_vector_typeIjLj2EENS0_17counting_iteratorIjlEEPS9_SG_NS0_5tupleIJPjSI_NS0_16reverse_iteratorISI_EEEEENSH_IJSG_SG_SG_EEES9_SI_JZNS1_25segmented_radix_sort_implINS0_14default_configELb1EPKbPbPKlPlN2at6native12_GLOBAL__N_18offset_tEEE10hipError_tPvRmT1_PNSt15iterator_traitsIS12_E10value_typeET2_T3_PNS13_IS18_E10value_typeET4_jRbjT5_S1E_jjP12ihipStream_tbEUljE_ZNSN_ISO_Lb1ESQ_SR_ST_SU_SY_EESZ_S10_S11_S12_S16_S17_S18_S1B_S1C_jS1D_jS1E_S1E_jjS1G_bEUljE0_EEESZ_S10_S11_S18_S1C_S1E_T6_T7_T9_mT8_S1G_bDpT10_ENKUlT_T0_E_clISt17integral_constantIbLb0EES1T_IbLb1EEEEDaS1P_S1Q_EUlS1P_E_NS1_11comp_targetILNS1_3genE2ELNS1_11target_archE906ELNS1_3gpuE6ELNS1_3repE0EEENS1_30default_config_static_selectorELNS0_4arch9wavefront6targetE0EEEvS12_.kd
    .uniform_work_group_size: 1
    .uses_dynamic_stack: false
    .vgpr_count:     0
    .vgpr_spill_count: 0
    .wavefront_size: 32
    .workgroup_processor_mode: 1
  - .args:
      - .offset:         0
        .size:           184
        .value_kind:     by_value
    .group_segment_fixed_size: 13328
    .kernarg_segment_align: 8
    .kernarg_segment_size: 184
    .language:       OpenCL C
    .language_version:
      - 2
      - 0
    .max_flat_workgroup_size: 256
    .name:           _ZN7rocprim17ROCPRIM_400000_NS6detail17trampoline_kernelINS0_13select_configILj256ELj13ELNS0_17block_load_methodE3ELS4_3ELS4_3ELNS0_20block_scan_algorithmE0ELj4294967295EEENS1_25partition_config_selectorILNS1_17partition_subalgoE4EjNS0_10empty_typeEbEEZZNS1_14partition_implILS8_4ELb0ES6_15HIP_vector_typeIjLj2EENS0_17counting_iteratorIjlEEPS9_SG_NS0_5tupleIJPjSI_NS0_16reverse_iteratorISI_EEEEENSH_IJSG_SG_SG_EEES9_SI_JZNS1_25segmented_radix_sort_implINS0_14default_configELb1EPKbPbPKlPlN2at6native12_GLOBAL__N_18offset_tEEE10hipError_tPvRmT1_PNSt15iterator_traitsIS12_E10value_typeET2_T3_PNS13_IS18_E10value_typeET4_jRbjT5_S1E_jjP12ihipStream_tbEUljE_ZNSN_ISO_Lb1ESQ_SR_ST_SU_SY_EESZ_S10_S11_S12_S16_S17_S18_S1B_S1C_jS1D_jS1E_S1E_jjS1G_bEUljE0_EEESZ_S10_S11_S18_S1C_S1E_T6_T7_T9_mT8_S1G_bDpT10_ENKUlT_T0_E_clISt17integral_constantIbLb0EES1T_IbLb1EEEEDaS1P_S1Q_EUlS1P_E_NS1_11comp_targetILNS1_3genE10ELNS1_11target_archE1200ELNS1_3gpuE4ELNS1_3repE0EEENS1_30default_config_static_selectorELNS0_4arch9wavefront6targetE0EEEvS12_
    .private_segment_fixed_size: 0
    .sgpr_count:     57
    .sgpr_spill_count: 0
    .symbol:         _ZN7rocprim17ROCPRIM_400000_NS6detail17trampoline_kernelINS0_13select_configILj256ELj13ELNS0_17block_load_methodE3ELS4_3ELS4_3ELNS0_20block_scan_algorithmE0ELj4294967295EEENS1_25partition_config_selectorILNS1_17partition_subalgoE4EjNS0_10empty_typeEbEEZZNS1_14partition_implILS8_4ELb0ES6_15HIP_vector_typeIjLj2EENS0_17counting_iteratorIjlEEPS9_SG_NS0_5tupleIJPjSI_NS0_16reverse_iteratorISI_EEEEENSH_IJSG_SG_SG_EEES9_SI_JZNS1_25segmented_radix_sort_implINS0_14default_configELb1EPKbPbPKlPlN2at6native12_GLOBAL__N_18offset_tEEE10hipError_tPvRmT1_PNSt15iterator_traitsIS12_E10value_typeET2_T3_PNS13_IS18_E10value_typeET4_jRbjT5_S1E_jjP12ihipStream_tbEUljE_ZNSN_ISO_Lb1ESQ_SR_ST_SU_SY_EESZ_S10_S11_S12_S16_S17_S18_S1B_S1C_jS1D_jS1E_S1E_jjS1G_bEUljE0_EEESZ_S10_S11_S18_S1C_S1E_T6_T7_T9_mT8_S1G_bDpT10_ENKUlT_T0_E_clISt17integral_constantIbLb0EES1T_IbLb1EEEEDaS1P_S1Q_EUlS1P_E_NS1_11comp_targetILNS1_3genE10ELNS1_11target_archE1200ELNS1_3gpuE4ELNS1_3repE0EEENS1_30default_config_static_selectorELNS0_4arch9wavefront6targetE0EEEvS12_.kd
    .uniform_work_group_size: 1
    .uses_dynamic_stack: false
    .vgpr_count:     98
    .vgpr_spill_count: 0
    .wavefront_size: 32
    .workgroup_processor_mode: 1
  - .args:
      - .offset:         0
        .size:           184
        .value_kind:     by_value
    .group_segment_fixed_size: 0
    .kernarg_segment_align: 8
    .kernarg_segment_size: 184
    .language:       OpenCL C
    .language_version:
      - 2
      - 0
    .max_flat_workgroup_size: 256
    .name:           _ZN7rocprim17ROCPRIM_400000_NS6detail17trampoline_kernelINS0_13select_configILj256ELj13ELNS0_17block_load_methodE3ELS4_3ELS4_3ELNS0_20block_scan_algorithmE0ELj4294967295EEENS1_25partition_config_selectorILNS1_17partition_subalgoE4EjNS0_10empty_typeEbEEZZNS1_14partition_implILS8_4ELb0ES6_15HIP_vector_typeIjLj2EENS0_17counting_iteratorIjlEEPS9_SG_NS0_5tupleIJPjSI_NS0_16reverse_iteratorISI_EEEEENSH_IJSG_SG_SG_EEES9_SI_JZNS1_25segmented_radix_sort_implINS0_14default_configELb1EPKbPbPKlPlN2at6native12_GLOBAL__N_18offset_tEEE10hipError_tPvRmT1_PNSt15iterator_traitsIS12_E10value_typeET2_T3_PNS13_IS18_E10value_typeET4_jRbjT5_S1E_jjP12ihipStream_tbEUljE_ZNSN_ISO_Lb1ESQ_SR_ST_SU_SY_EESZ_S10_S11_S12_S16_S17_S18_S1B_S1C_jS1D_jS1E_S1E_jjS1G_bEUljE0_EEESZ_S10_S11_S18_S1C_S1E_T6_T7_T9_mT8_S1G_bDpT10_ENKUlT_T0_E_clISt17integral_constantIbLb0EES1T_IbLb1EEEEDaS1P_S1Q_EUlS1P_E_NS1_11comp_targetILNS1_3genE9ELNS1_11target_archE1100ELNS1_3gpuE3ELNS1_3repE0EEENS1_30default_config_static_selectorELNS0_4arch9wavefront6targetE0EEEvS12_
    .private_segment_fixed_size: 0
    .sgpr_count:     0
    .sgpr_spill_count: 0
    .symbol:         _ZN7rocprim17ROCPRIM_400000_NS6detail17trampoline_kernelINS0_13select_configILj256ELj13ELNS0_17block_load_methodE3ELS4_3ELS4_3ELNS0_20block_scan_algorithmE0ELj4294967295EEENS1_25partition_config_selectorILNS1_17partition_subalgoE4EjNS0_10empty_typeEbEEZZNS1_14partition_implILS8_4ELb0ES6_15HIP_vector_typeIjLj2EENS0_17counting_iteratorIjlEEPS9_SG_NS0_5tupleIJPjSI_NS0_16reverse_iteratorISI_EEEEENSH_IJSG_SG_SG_EEES9_SI_JZNS1_25segmented_radix_sort_implINS0_14default_configELb1EPKbPbPKlPlN2at6native12_GLOBAL__N_18offset_tEEE10hipError_tPvRmT1_PNSt15iterator_traitsIS12_E10value_typeET2_T3_PNS13_IS18_E10value_typeET4_jRbjT5_S1E_jjP12ihipStream_tbEUljE_ZNSN_ISO_Lb1ESQ_SR_ST_SU_SY_EESZ_S10_S11_S12_S16_S17_S18_S1B_S1C_jS1D_jS1E_S1E_jjS1G_bEUljE0_EEESZ_S10_S11_S18_S1C_S1E_T6_T7_T9_mT8_S1G_bDpT10_ENKUlT_T0_E_clISt17integral_constantIbLb0EES1T_IbLb1EEEEDaS1P_S1Q_EUlS1P_E_NS1_11comp_targetILNS1_3genE9ELNS1_11target_archE1100ELNS1_3gpuE3ELNS1_3repE0EEENS1_30default_config_static_selectorELNS0_4arch9wavefront6targetE0EEEvS12_.kd
    .uniform_work_group_size: 1
    .uses_dynamic_stack: false
    .vgpr_count:     0
    .vgpr_spill_count: 0
    .wavefront_size: 32
    .workgroup_processor_mode: 1
  - .args:
      - .offset:         0
        .size:           184
        .value_kind:     by_value
    .group_segment_fixed_size: 0
    .kernarg_segment_align: 8
    .kernarg_segment_size: 184
    .language:       OpenCL C
    .language_version:
      - 2
      - 0
    .max_flat_workgroup_size: 256
    .name:           _ZN7rocprim17ROCPRIM_400000_NS6detail17trampoline_kernelINS0_13select_configILj256ELj13ELNS0_17block_load_methodE3ELS4_3ELS4_3ELNS0_20block_scan_algorithmE0ELj4294967295EEENS1_25partition_config_selectorILNS1_17partition_subalgoE4EjNS0_10empty_typeEbEEZZNS1_14partition_implILS8_4ELb0ES6_15HIP_vector_typeIjLj2EENS0_17counting_iteratorIjlEEPS9_SG_NS0_5tupleIJPjSI_NS0_16reverse_iteratorISI_EEEEENSH_IJSG_SG_SG_EEES9_SI_JZNS1_25segmented_radix_sort_implINS0_14default_configELb1EPKbPbPKlPlN2at6native12_GLOBAL__N_18offset_tEEE10hipError_tPvRmT1_PNSt15iterator_traitsIS12_E10value_typeET2_T3_PNS13_IS18_E10value_typeET4_jRbjT5_S1E_jjP12ihipStream_tbEUljE_ZNSN_ISO_Lb1ESQ_SR_ST_SU_SY_EESZ_S10_S11_S12_S16_S17_S18_S1B_S1C_jS1D_jS1E_S1E_jjS1G_bEUljE0_EEESZ_S10_S11_S18_S1C_S1E_T6_T7_T9_mT8_S1G_bDpT10_ENKUlT_T0_E_clISt17integral_constantIbLb0EES1T_IbLb1EEEEDaS1P_S1Q_EUlS1P_E_NS1_11comp_targetILNS1_3genE8ELNS1_11target_archE1030ELNS1_3gpuE2ELNS1_3repE0EEENS1_30default_config_static_selectorELNS0_4arch9wavefront6targetE0EEEvS12_
    .private_segment_fixed_size: 0
    .sgpr_count:     0
    .sgpr_spill_count: 0
    .symbol:         _ZN7rocprim17ROCPRIM_400000_NS6detail17trampoline_kernelINS0_13select_configILj256ELj13ELNS0_17block_load_methodE3ELS4_3ELS4_3ELNS0_20block_scan_algorithmE0ELj4294967295EEENS1_25partition_config_selectorILNS1_17partition_subalgoE4EjNS0_10empty_typeEbEEZZNS1_14partition_implILS8_4ELb0ES6_15HIP_vector_typeIjLj2EENS0_17counting_iteratorIjlEEPS9_SG_NS0_5tupleIJPjSI_NS0_16reverse_iteratorISI_EEEEENSH_IJSG_SG_SG_EEES9_SI_JZNS1_25segmented_radix_sort_implINS0_14default_configELb1EPKbPbPKlPlN2at6native12_GLOBAL__N_18offset_tEEE10hipError_tPvRmT1_PNSt15iterator_traitsIS12_E10value_typeET2_T3_PNS13_IS18_E10value_typeET4_jRbjT5_S1E_jjP12ihipStream_tbEUljE_ZNSN_ISO_Lb1ESQ_SR_ST_SU_SY_EESZ_S10_S11_S12_S16_S17_S18_S1B_S1C_jS1D_jS1E_S1E_jjS1G_bEUljE0_EEESZ_S10_S11_S18_S1C_S1E_T6_T7_T9_mT8_S1G_bDpT10_ENKUlT_T0_E_clISt17integral_constantIbLb0EES1T_IbLb1EEEEDaS1P_S1Q_EUlS1P_E_NS1_11comp_targetILNS1_3genE8ELNS1_11target_archE1030ELNS1_3gpuE2ELNS1_3repE0EEENS1_30default_config_static_selectorELNS0_4arch9wavefront6targetE0EEEvS12_.kd
    .uniform_work_group_size: 1
    .uses_dynamic_stack: false
    .vgpr_count:     0
    .vgpr_spill_count: 0
    .wavefront_size: 32
    .workgroup_processor_mode: 1
  - .args:
      - .offset:         0
        .size:           144
        .value_kind:     by_value
    .group_segment_fixed_size: 0
    .kernarg_segment_align: 8
    .kernarg_segment_size: 144
    .language:       OpenCL C
    .language_version:
      - 2
      - 0
    .max_flat_workgroup_size: 256
    .name:           _ZN7rocprim17ROCPRIM_400000_NS6detail17trampoline_kernelINS0_13select_configILj256ELj13ELNS0_17block_load_methodE3ELS4_3ELS4_3ELNS0_20block_scan_algorithmE0ELj4294967295EEENS1_25partition_config_selectorILNS1_17partition_subalgoE3EjNS0_10empty_typeEbEEZZNS1_14partition_implILS8_3ELb0ES6_jNS0_17counting_iteratorIjlEEPS9_SE_NS0_5tupleIJPjSE_EEENSF_IJSE_SE_EEES9_SG_JZNS1_25segmented_radix_sort_implINS0_14default_configELb1EPKbPbPKlPlN2at6native12_GLOBAL__N_18offset_tEEE10hipError_tPvRmT1_PNSt15iterator_traitsISY_E10value_typeET2_T3_PNSZ_IS14_E10value_typeET4_jRbjT5_S1A_jjP12ihipStream_tbEUljE_EEESV_SW_SX_S14_S18_S1A_T6_T7_T9_mT8_S1C_bDpT10_ENKUlT_T0_E_clISt17integral_constantIbLb0EES1P_EEDaS1K_S1L_EUlS1K_E_NS1_11comp_targetILNS1_3genE0ELNS1_11target_archE4294967295ELNS1_3gpuE0ELNS1_3repE0EEENS1_30default_config_static_selectorELNS0_4arch9wavefront6targetE0EEEvSY_
    .private_segment_fixed_size: 0
    .sgpr_count:     0
    .sgpr_spill_count: 0
    .symbol:         _ZN7rocprim17ROCPRIM_400000_NS6detail17trampoline_kernelINS0_13select_configILj256ELj13ELNS0_17block_load_methodE3ELS4_3ELS4_3ELNS0_20block_scan_algorithmE0ELj4294967295EEENS1_25partition_config_selectorILNS1_17partition_subalgoE3EjNS0_10empty_typeEbEEZZNS1_14partition_implILS8_3ELb0ES6_jNS0_17counting_iteratorIjlEEPS9_SE_NS0_5tupleIJPjSE_EEENSF_IJSE_SE_EEES9_SG_JZNS1_25segmented_radix_sort_implINS0_14default_configELb1EPKbPbPKlPlN2at6native12_GLOBAL__N_18offset_tEEE10hipError_tPvRmT1_PNSt15iterator_traitsISY_E10value_typeET2_T3_PNSZ_IS14_E10value_typeET4_jRbjT5_S1A_jjP12ihipStream_tbEUljE_EEESV_SW_SX_S14_S18_S1A_T6_T7_T9_mT8_S1C_bDpT10_ENKUlT_T0_E_clISt17integral_constantIbLb0EES1P_EEDaS1K_S1L_EUlS1K_E_NS1_11comp_targetILNS1_3genE0ELNS1_11target_archE4294967295ELNS1_3gpuE0ELNS1_3repE0EEENS1_30default_config_static_selectorELNS0_4arch9wavefront6targetE0EEEvSY_.kd
    .uniform_work_group_size: 1
    .uses_dynamic_stack: false
    .vgpr_count:     0
    .vgpr_spill_count: 0
    .wavefront_size: 32
    .workgroup_processor_mode: 1
  - .args:
      - .offset:         0
        .size:           144
        .value_kind:     by_value
    .group_segment_fixed_size: 0
    .kernarg_segment_align: 8
    .kernarg_segment_size: 144
    .language:       OpenCL C
    .language_version:
      - 2
      - 0
    .max_flat_workgroup_size: 256
    .name:           _ZN7rocprim17ROCPRIM_400000_NS6detail17trampoline_kernelINS0_13select_configILj256ELj13ELNS0_17block_load_methodE3ELS4_3ELS4_3ELNS0_20block_scan_algorithmE0ELj4294967295EEENS1_25partition_config_selectorILNS1_17partition_subalgoE3EjNS0_10empty_typeEbEEZZNS1_14partition_implILS8_3ELb0ES6_jNS0_17counting_iteratorIjlEEPS9_SE_NS0_5tupleIJPjSE_EEENSF_IJSE_SE_EEES9_SG_JZNS1_25segmented_radix_sort_implINS0_14default_configELb1EPKbPbPKlPlN2at6native12_GLOBAL__N_18offset_tEEE10hipError_tPvRmT1_PNSt15iterator_traitsISY_E10value_typeET2_T3_PNSZ_IS14_E10value_typeET4_jRbjT5_S1A_jjP12ihipStream_tbEUljE_EEESV_SW_SX_S14_S18_S1A_T6_T7_T9_mT8_S1C_bDpT10_ENKUlT_T0_E_clISt17integral_constantIbLb0EES1P_EEDaS1K_S1L_EUlS1K_E_NS1_11comp_targetILNS1_3genE5ELNS1_11target_archE942ELNS1_3gpuE9ELNS1_3repE0EEENS1_30default_config_static_selectorELNS0_4arch9wavefront6targetE0EEEvSY_
    .private_segment_fixed_size: 0
    .sgpr_count:     0
    .sgpr_spill_count: 0
    .symbol:         _ZN7rocprim17ROCPRIM_400000_NS6detail17trampoline_kernelINS0_13select_configILj256ELj13ELNS0_17block_load_methodE3ELS4_3ELS4_3ELNS0_20block_scan_algorithmE0ELj4294967295EEENS1_25partition_config_selectorILNS1_17partition_subalgoE3EjNS0_10empty_typeEbEEZZNS1_14partition_implILS8_3ELb0ES6_jNS0_17counting_iteratorIjlEEPS9_SE_NS0_5tupleIJPjSE_EEENSF_IJSE_SE_EEES9_SG_JZNS1_25segmented_radix_sort_implINS0_14default_configELb1EPKbPbPKlPlN2at6native12_GLOBAL__N_18offset_tEEE10hipError_tPvRmT1_PNSt15iterator_traitsISY_E10value_typeET2_T3_PNSZ_IS14_E10value_typeET4_jRbjT5_S1A_jjP12ihipStream_tbEUljE_EEESV_SW_SX_S14_S18_S1A_T6_T7_T9_mT8_S1C_bDpT10_ENKUlT_T0_E_clISt17integral_constantIbLb0EES1P_EEDaS1K_S1L_EUlS1K_E_NS1_11comp_targetILNS1_3genE5ELNS1_11target_archE942ELNS1_3gpuE9ELNS1_3repE0EEENS1_30default_config_static_selectorELNS0_4arch9wavefront6targetE0EEEvSY_.kd
    .uniform_work_group_size: 1
    .uses_dynamic_stack: false
    .vgpr_count:     0
    .vgpr_spill_count: 0
    .wavefront_size: 32
    .workgroup_processor_mode: 1
  - .args:
      - .offset:         0
        .size:           144
        .value_kind:     by_value
    .group_segment_fixed_size: 0
    .kernarg_segment_align: 8
    .kernarg_segment_size: 144
    .language:       OpenCL C
    .language_version:
      - 2
      - 0
    .max_flat_workgroup_size: 256
    .name:           _ZN7rocprim17ROCPRIM_400000_NS6detail17trampoline_kernelINS0_13select_configILj256ELj13ELNS0_17block_load_methodE3ELS4_3ELS4_3ELNS0_20block_scan_algorithmE0ELj4294967295EEENS1_25partition_config_selectorILNS1_17partition_subalgoE3EjNS0_10empty_typeEbEEZZNS1_14partition_implILS8_3ELb0ES6_jNS0_17counting_iteratorIjlEEPS9_SE_NS0_5tupleIJPjSE_EEENSF_IJSE_SE_EEES9_SG_JZNS1_25segmented_radix_sort_implINS0_14default_configELb1EPKbPbPKlPlN2at6native12_GLOBAL__N_18offset_tEEE10hipError_tPvRmT1_PNSt15iterator_traitsISY_E10value_typeET2_T3_PNSZ_IS14_E10value_typeET4_jRbjT5_S1A_jjP12ihipStream_tbEUljE_EEESV_SW_SX_S14_S18_S1A_T6_T7_T9_mT8_S1C_bDpT10_ENKUlT_T0_E_clISt17integral_constantIbLb0EES1P_EEDaS1K_S1L_EUlS1K_E_NS1_11comp_targetILNS1_3genE4ELNS1_11target_archE910ELNS1_3gpuE8ELNS1_3repE0EEENS1_30default_config_static_selectorELNS0_4arch9wavefront6targetE0EEEvSY_
    .private_segment_fixed_size: 0
    .sgpr_count:     0
    .sgpr_spill_count: 0
    .symbol:         _ZN7rocprim17ROCPRIM_400000_NS6detail17trampoline_kernelINS0_13select_configILj256ELj13ELNS0_17block_load_methodE3ELS4_3ELS4_3ELNS0_20block_scan_algorithmE0ELj4294967295EEENS1_25partition_config_selectorILNS1_17partition_subalgoE3EjNS0_10empty_typeEbEEZZNS1_14partition_implILS8_3ELb0ES6_jNS0_17counting_iteratorIjlEEPS9_SE_NS0_5tupleIJPjSE_EEENSF_IJSE_SE_EEES9_SG_JZNS1_25segmented_radix_sort_implINS0_14default_configELb1EPKbPbPKlPlN2at6native12_GLOBAL__N_18offset_tEEE10hipError_tPvRmT1_PNSt15iterator_traitsISY_E10value_typeET2_T3_PNSZ_IS14_E10value_typeET4_jRbjT5_S1A_jjP12ihipStream_tbEUljE_EEESV_SW_SX_S14_S18_S1A_T6_T7_T9_mT8_S1C_bDpT10_ENKUlT_T0_E_clISt17integral_constantIbLb0EES1P_EEDaS1K_S1L_EUlS1K_E_NS1_11comp_targetILNS1_3genE4ELNS1_11target_archE910ELNS1_3gpuE8ELNS1_3repE0EEENS1_30default_config_static_selectorELNS0_4arch9wavefront6targetE0EEEvSY_.kd
    .uniform_work_group_size: 1
    .uses_dynamic_stack: false
    .vgpr_count:     0
    .vgpr_spill_count: 0
    .wavefront_size: 32
    .workgroup_processor_mode: 1
  - .args:
      - .offset:         0
        .size:           144
        .value_kind:     by_value
    .group_segment_fixed_size: 0
    .kernarg_segment_align: 8
    .kernarg_segment_size: 144
    .language:       OpenCL C
    .language_version:
      - 2
      - 0
    .max_flat_workgroup_size: 256
    .name:           _ZN7rocprim17ROCPRIM_400000_NS6detail17trampoline_kernelINS0_13select_configILj256ELj13ELNS0_17block_load_methodE3ELS4_3ELS4_3ELNS0_20block_scan_algorithmE0ELj4294967295EEENS1_25partition_config_selectorILNS1_17partition_subalgoE3EjNS0_10empty_typeEbEEZZNS1_14partition_implILS8_3ELb0ES6_jNS0_17counting_iteratorIjlEEPS9_SE_NS0_5tupleIJPjSE_EEENSF_IJSE_SE_EEES9_SG_JZNS1_25segmented_radix_sort_implINS0_14default_configELb1EPKbPbPKlPlN2at6native12_GLOBAL__N_18offset_tEEE10hipError_tPvRmT1_PNSt15iterator_traitsISY_E10value_typeET2_T3_PNSZ_IS14_E10value_typeET4_jRbjT5_S1A_jjP12ihipStream_tbEUljE_EEESV_SW_SX_S14_S18_S1A_T6_T7_T9_mT8_S1C_bDpT10_ENKUlT_T0_E_clISt17integral_constantIbLb0EES1P_EEDaS1K_S1L_EUlS1K_E_NS1_11comp_targetILNS1_3genE3ELNS1_11target_archE908ELNS1_3gpuE7ELNS1_3repE0EEENS1_30default_config_static_selectorELNS0_4arch9wavefront6targetE0EEEvSY_
    .private_segment_fixed_size: 0
    .sgpr_count:     0
    .sgpr_spill_count: 0
    .symbol:         _ZN7rocprim17ROCPRIM_400000_NS6detail17trampoline_kernelINS0_13select_configILj256ELj13ELNS0_17block_load_methodE3ELS4_3ELS4_3ELNS0_20block_scan_algorithmE0ELj4294967295EEENS1_25partition_config_selectorILNS1_17partition_subalgoE3EjNS0_10empty_typeEbEEZZNS1_14partition_implILS8_3ELb0ES6_jNS0_17counting_iteratorIjlEEPS9_SE_NS0_5tupleIJPjSE_EEENSF_IJSE_SE_EEES9_SG_JZNS1_25segmented_radix_sort_implINS0_14default_configELb1EPKbPbPKlPlN2at6native12_GLOBAL__N_18offset_tEEE10hipError_tPvRmT1_PNSt15iterator_traitsISY_E10value_typeET2_T3_PNSZ_IS14_E10value_typeET4_jRbjT5_S1A_jjP12ihipStream_tbEUljE_EEESV_SW_SX_S14_S18_S1A_T6_T7_T9_mT8_S1C_bDpT10_ENKUlT_T0_E_clISt17integral_constantIbLb0EES1P_EEDaS1K_S1L_EUlS1K_E_NS1_11comp_targetILNS1_3genE3ELNS1_11target_archE908ELNS1_3gpuE7ELNS1_3repE0EEENS1_30default_config_static_selectorELNS0_4arch9wavefront6targetE0EEEvSY_.kd
    .uniform_work_group_size: 1
    .uses_dynamic_stack: false
    .vgpr_count:     0
    .vgpr_spill_count: 0
    .wavefront_size: 32
    .workgroup_processor_mode: 1
  - .args:
      - .offset:         0
        .size:           144
        .value_kind:     by_value
    .group_segment_fixed_size: 0
    .kernarg_segment_align: 8
    .kernarg_segment_size: 144
    .language:       OpenCL C
    .language_version:
      - 2
      - 0
    .max_flat_workgroup_size: 256
    .name:           _ZN7rocprim17ROCPRIM_400000_NS6detail17trampoline_kernelINS0_13select_configILj256ELj13ELNS0_17block_load_methodE3ELS4_3ELS4_3ELNS0_20block_scan_algorithmE0ELj4294967295EEENS1_25partition_config_selectorILNS1_17partition_subalgoE3EjNS0_10empty_typeEbEEZZNS1_14partition_implILS8_3ELb0ES6_jNS0_17counting_iteratorIjlEEPS9_SE_NS0_5tupleIJPjSE_EEENSF_IJSE_SE_EEES9_SG_JZNS1_25segmented_radix_sort_implINS0_14default_configELb1EPKbPbPKlPlN2at6native12_GLOBAL__N_18offset_tEEE10hipError_tPvRmT1_PNSt15iterator_traitsISY_E10value_typeET2_T3_PNSZ_IS14_E10value_typeET4_jRbjT5_S1A_jjP12ihipStream_tbEUljE_EEESV_SW_SX_S14_S18_S1A_T6_T7_T9_mT8_S1C_bDpT10_ENKUlT_T0_E_clISt17integral_constantIbLb0EES1P_EEDaS1K_S1L_EUlS1K_E_NS1_11comp_targetILNS1_3genE2ELNS1_11target_archE906ELNS1_3gpuE6ELNS1_3repE0EEENS1_30default_config_static_selectorELNS0_4arch9wavefront6targetE0EEEvSY_
    .private_segment_fixed_size: 0
    .sgpr_count:     0
    .sgpr_spill_count: 0
    .symbol:         _ZN7rocprim17ROCPRIM_400000_NS6detail17trampoline_kernelINS0_13select_configILj256ELj13ELNS0_17block_load_methodE3ELS4_3ELS4_3ELNS0_20block_scan_algorithmE0ELj4294967295EEENS1_25partition_config_selectorILNS1_17partition_subalgoE3EjNS0_10empty_typeEbEEZZNS1_14partition_implILS8_3ELb0ES6_jNS0_17counting_iteratorIjlEEPS9_SE_NS0_5tupleIJPjSE_EEENSF_IJSE_SE_EEES9_SG_JZNS1_25segmented_radix_sort_implINS0_14default_configELb1EPKbPbPKlPlN2at6native12_GLOBAL__N_18offset_tEEE10hipError_tPvRmT1_PNSt15iterator_traitsISY_E10value_typeET2_T3_PNSZ_IS14_E10value_typeET4_jRbjT5_S1A_jjP12ihipStream_tbEUljE_EEESV_SW_SX_S14_S18_S1A_T6_T7_T9_mT8_S1C_bDpT10_ENKUlT_T0_E_clISt17integral_constantIbLb0EES1P_EEDaS1K_S1L_EUlS1K_E_NS1_11comp_targetILNS1_3genE2ELNS1_11target_archE906ELNS1_3gpuE6ELNS1_3repE0EEENS1_30default_config_static_selectorELNS0_4arch9wavefront6targetE0EEEvSY_.kd
    .uniform_work_group_size: 1
    .uses_dynamic_stack: false
    .vgpr_count:     0
    .vgpr_spill_count: 0
    .wavefront_size: 32
    .workgroup_processor_mode: 1
  - .args:
      - .offset:         0
        .size:           144
        .value_kind:     by_value
    .group_segment_fixed_size: 13320
    .kernarg_segment_align: 8
    .kernarg_segment_size: 144
    .language:       OpenCL C
    .language_version:
      - 2
      - 0
    .max_flat_workgroup_size: 256
    .name:           _ZN7rocprim17ROCPRIM_400000_NS6detail17trampoline_kernelINS0_13select_configILj256ELj13ELNS0_17block_load_methodE3ELS4_3ELS4_3ELNS0_20block_scan_algorithmE0ELj4294967295EEENS1_25partition_config_selectorILNS1_17partition_subalgoE3EjNS0_10empty_typeEbEEZZNS1_14partition_implILS8_3ELb0ES6_jNS0_17counting_iteratorIjlEEPS9_SE_NS0_5tupleIJPjSE_EEENSF_IJSE_SE_EEES9_SG_JZNS1_25segmented_radix_sort_implINS0_14default_configELb1EPKbPbPKlPlN2at6native12_GLOBAL__N_18offset_tEEE10hipError_tPvRmT1_PNSt15iterator_traitsISY_E10value_typeET2_T3_PNSZ_IS14_E10value_typeET4_jRbjT5_S1A_jjP12ihipStream_tbEUljE_EEESV_SW_SX_S14_S18_S1A_T6_T7_T9_mT8_S1C_bDpT10_ENKUlT_T0_E_clISt17integral_constantIbLb0EES1P_EEDaS1K_S1L_EUlS1K_E_NS1_11comp_targetILNS1_3genE10ELNS1_11target_archE1200ELNS1_3gpuE4ELNS1_3repE0EEENS1_30default_config_static_selectorELNS0_4arch9wavefront6targetE0EEEvSY_
    .private_segment_fixed_size: 0
    .sgpr_count:     28
    .sgpr_spill_count: 0
    .symbol:         _ZN7rocprim17ROCPRIM_400000_NS6detail17trampoline_kernelINS0_13select_configILj256ELj13ELNS0_17block_load_methodE3ELS4_3ELS4_3ELNS0_20block_scan_algorithmE0ELj4294967295EEENS1_25partition_config_selectorILNS1_17partition_subalgoE3EjNS0_10empty_typeEbEEZZNS1_14partition_implILS8_3ELb0ES6_jNS0_17counting_iteratorIjlEEPS9_SE_NS0_5tupleIJPjSE_EEENSF_IJSE_SE_EEES9_SG_JZNS1_25segmented_radix_sort_implINS0_14default_configELb1EPKbPbPKlPlN2at6native12_GLOBAL__N_18offset_tEEE10hipError_tPvRmT1_PNSt15iterator_traitsISY_E10value_typeET2_T3_PNSZ_IS14_E10value_typeET4_jRbjT5_S1A_jjP12ihipStream_tbEUljE_EEESV_SW_SX_S14_S18_S1A_T6_T7_T9_mT8_S1C_bDpT10_ENKUlT_T0_E_clISt17integral_constantIbLb0EES1P_EEDaS1K_S1L_EUlS1K_E_NS1_11comp_targetILNS1_3genE10ELNS1_11target_archE1200ELNS1_3gpuE4ELNS1_3repE0EEENS1_30default_config_static_selectorELNS0_4arch9wavefront6targetE0EEEvSY_.kd
    .uniform_work_group_size: 1
    .uses_dynamic_stack: false
    .vgpr_count:     69
    .vgpr_spill_count: 0
    .wavefront_size: 32
    .workgroup_processor_mode: 1
  - .args:
      - .offset:         0
        .size:           144
        .value_kind:     by_value
    .group_segment_fixed_size: 0
    .kernarg_segment_align: 8
    .kernarg_segment_size: 144
    .language:       OpenCL C
    .language_version:
      - 2
      - 0
    .max_flat_workgroup_size: 256
    .name:           _ZN7rocprim17ROCPRIM_400000_NS6detail17trampoline_kernelINS0_13select_configILj256ELj13ELNS0_17block_load_methodE3ELS4_3ELS4_3ELNS0_20block_scan_algorithmE0ELj4294967295EEENS1_25partition_config_selectorILNS1_17partition_subalgoE3EjNS0_10empty_typeEbEEZZNS1_14partition_implILS8_3ELb0ES6_jNS0_17counting_iteratorIjlEEPS9_SE_NS0_5tupleIJPjSE_EEENSF_IJSE_SE_EEES9_SG_JZNS1_25segmented_radix_sort_implINS0_14default_configELb1EPKbPbPKlPlN2at6native12_GLOBAL__N_18offset_tEEE10hipError_tPvRmT1_PNSt15iterator_traitsISY_E10value_typeET2_T3_PNSZ_IS14_E10value_typeET4_jRbjT5_S1A_jjP12ihipStream_tbEUljE_EEESV_SW_SX_S14_S18_S1A_T6_T7_T9_mT8_S1C_bDpT10_ENKUlT_T0_E_clISt17integral_constantIbLb0EES1P_EEDaS1K_S1L_EUlS1K_E_NS1_11comp_targetILNS1_3genE9ELNS1_11target_archE1100ELNS1_3gpuE3ELNS1_3repE0EEENS1_30default_config_static_selectorELNS0_4arch9wavefront6targetE0EEEvSY_
    .private_segment_fixed_size: 0
    .sgpr_count:     0
    .sgpr_spill_count: 0
    .symbol:         _ZN7rocprim17ROCPRIM_400000_NS6detail17trampoline_kernelINS0_13select_configILj256ELj13ELNS0_17block_load_methodE3ELS4_3ELS4_3ELNS0_20block_scan_algorithmE0ELj4294967295EEENS1_25partition_config_selectorILNS1_17partition_subalgoE3EjNS0_10empty_typeEbEEZZNS1_14partition_implILS8_3ELb0ES6_jNS0_17counting_iteratorIjlEEPS9_SE_NS0_5tupleIJPjSE_EEENSF_IJSE_SE_EEES9_SG_JZNS1_25segmented_radix_sort_implINS0_14default_configELb1EPKbPbPKlPlN2at6native12_GLOBAL__N_18offset_tEEE10hipError_tPvRmT1_PNSt15iterator_traitsISY_E10value_typeET2_T3_PNSZ_IS14_E10value_typeET4_jRbjT5_S1A_jjP12ihipStream_tbEUljE_EEESV_SW_SX_S14_S18_S1A_T6_T7_T9_mT8_S1C_bDpT10_ENKUlT_T0_E_clISt17integral_constantIbLb0EES1P_EEDaS1K_S1L_EUlS1K_E_NS1_11comp_targetILNS1_3genE9ELNS1_11target_archE1100ELNS1_3gpuE3ELNS1_3repE0EEENS1_30default_config_static_selectorELNS0_4arch9wavefront6targetE0EEEvSY_.kd
    .uniform_work_group_size: 1
    .uses_dynamic_stack: false
    .vgpr_count:     0
    .vgpr_spill_count: 0
    .wavefront_size: 32
    .workgroup_processor_mode: 1
  - .args:
      - .offset:         0
        .size:           144
        .value_kind:     by_value
    .group_segment_fixed_size: 0
    .kernarg_segment_align: 8
    .kernarg_segment_size: 144
    .language:       OpenCL C
    .language_version:
      - 2
      - 0
    .max_flat_workgroup_size: 256
    .name:           _ZN7rocprim17ROCPRIM_400000_NS6detail17trampoline_kernelINS0_13select_configILj256ELj13ELNS0_17block_load_methodE3ELS4_3ELS4_3ELNS0_20block_scan_algorithmE0ELj4294967295EEENS1_25partition_config_selectorILNS1_17partition_subalgoE3EjNS0_10empty_typeEbEEZZNS1_14partition_implILS8_3ELb0ES6_jNS0_17counting_iteratorIjlEEPS9_SE_NS0_5tupleIJPjSE_EEENSF_IJSE_SE_EEES9_SG_JZNS1_25segmented_radix_sort_implINS0_14default_configELb1EPKbPbPKlPlN2at6native12_GLOBAL__N_18offset_tEEE10hipError_tPvRmT1_PNSt15iterator_traitsISY_E10value_typeET2_T3_PNSZ_IS14_E10value_typeET4_jRbjT5_S1A_jjP12ihipStream_tbEUljE_EEESV_SW_SX_S14_S18_S1A_T6_T7_T9_mT8_S1C_bDpT10_ENKUlT_T0_E_clISt17integral_constantIbLb0EES1P_EEDaS1K_S1L_EUlS1K_E_NS1_11comp_targetILNS1_3genE8ELNS1_11target_archE1030ELNS1_3gpuE2ELNS1_3repE0EEENS1_30default_config_static_selectorELNS0_4arch9wavefront6targetE0EEEvSY_
    .private_segment_fixed_size: 0
    .sgpr_count:     0
    .sgpr_spill_count: 0
    .symbol:         _ZN7rocprim17ROCPRIM_400000_NS6detail17trampoline_kernelINS0_13select_configILj256ELj13ELNS0_17block_load_methodE3ELS4_3ELS4_3ELNS0_20block_scan_algorithmE0ELj4294967295EEENS1_25partition_config_selectorILNS1_17partition_subalgoE3EjNS0_10empty_typeEbEEZZNS1_14partition_implILS8_3ELb0ES6_jNS0_17counting_iteratorIjlEEPS9_SE_NS0_5tupleIJPjSE_EEENSF_IJSE_SE_EEES9_SG_JZNS1_25segmented_radix_sort_implINS0_14default_configELb1EPKbPbPKlPlN2at6native12_GLOBAL__N_18offset_tEEE10hipError_tPvRmT1_PNSt15iterator_traitsISY_E10value_typeET2_T3_PNSZ_IS14_E10value_typeET4_jRbjT5_S1A_jjP12ihipStream_tbEUljE_EEESV_SW_SX_S14_S18_S1A_T6_T7_T9_mT8_S1C_bDpT10_ENKUlT_T0_E_clISt17integral_constantIbLb0EES1P_EEDaS1K_S1L_EUlS1K_E_NS1_11comp_targetILNS1_3genE8ELNS1_11target_archE1030ELNS1_3gpuE2ELNS1_3repE0EEENS1_30default_config_static_selectorELNS0_4arch9wavefront6targetE0EEEvSY_.kd
    .uniform_work_group_size: 1
    .uses_dynamic_stack: false
    .vgpr_count:     0
    .vgpr_spill_count: 0
    .wavefront_size: 32
    .workgroup_processor_mode: 1
  - .args:
      - .offset:         0
        .size:           152
        .value_kind:     by_value
    .group_segment_fixed_size: 0
    .kernarg_segment_align: 8
    .kernarg_segment_size: 152
    .language:       OpenCL C
    .language_version:
      - 2
      - 0
    .max_flat_workgroup_size: 256
    .name:           _ZN7rocprim17ROCPRIM_400000_NS6detail17trampoline_kernelINS0_13select_configILj256ELj13ELNS0_17block_load_methodE3ELS4_3ELS4_3ELNS0_20block_scan_algorithmE0ELj4294967295EEENS1_25partition_config_selectorILNS1_17partition_subalgoE3EjNS0_10empty_typeEbEEZZNS1_14partition_implILS8_3ELb0ES6_jNS0_17counting_iteratorIjlEEPS9_SE_NS0_5tupleIJPjSE_EEENSF_IJSE_SE_EEES9_SG_JZNS1_25segmented_radix_sort_implINS0_14default_configELb1EPKbPbPKlPlN2at6native12_GLOBAL__N_18offset_tEEE10hipError_tPvRmT1_PNSt15iterator_traitsISY_E10value_typeET2_T3_PNSZ_IS14_E10value_typeET4_jRbjT5_S1A_jjP12ihipStream_tbEUljE_EEESV_SW_SX_S14_S18_S1A_T6_T7_T9_mT8_S1C_bDpT10_ENKUlT_T0_E_clISt17integral_constantIbLb1EES1P_EEDaS1K_S1L_EUlS1K_E_NS1_11comp_targetILNS1_3genE0ELNS1_11target_archE4294967295ELNS1_3gpuE0ELNS1_3repE0EEENS1_30default_config_static_selectorELNS0_4arch9wavefront6targetE0EEEvSY_
    .private_segment_fixed_size: 0
    .sgpr_count:     0
    .sgpr_spill_count: 0
    .symbol:         _ZN7rocprim17ROCPRIM_400000_NS6detail17trampoline_kernelINS0_13select_configILj256ELj13ELNS0_17block_load_methodE3ELS4_3ELS4_3ELNS0_20block_scan_algorithmE0ELj4294967295EEENS1_25partition_config_selectorILNS1_17partition_subalgoE3EjNS0_10empty_typeEbEEZZNS1_14partition_implILS8_3ELb0ES6_jNS0_17counting_iteratorIjlEEPS9_SE_NS0_5tupleIJPjSE_EEENSF_IJSE_SE_EEES9_SG_JZNS1_25segmented_radix_sort_implINS0_14default_configELb1EPKbPbPKlPlN2at6native12_GLOBAL__N_18offset_tEEE10hipError_tPvRmT1_PNSt15iterator_traitsISY_E10value_typeET2_T3_PNSZ_IS14_E10value_typeET4_jRbjT5_S1A_jjP12ihipStream_tbEUljE_EEESV_SW_SX_S14_S18_S1A_T6_T7_T9_mT8_S1C_bDpT10_ENKUlT_T0_E_clISt17integral_constantIbLb1EES1P_EEDaS1K_S1L_EUlS1K_E_NS1_11comp_targetILNS1_3genE0ELNS1_11target_archE4294967295ELNS1_3gpuE0ELNS1_3repE0EEENS1_30default_config_static_selectorELNS0_4arch9wavefront6targetE0EEEvSY_.kd
    .uniform_work_group_size: 1
    .uses_dynamic_stack: false
    .vgpr_count:     0
    .vgpr_spill_count: 0
    .wavefront_size: 32
    .workgroup_processor_mode: 1
  - .args:
      - .offset:         0
        .size:           152
        .value_kind:     by_value
    .group_segment_fixed_size: 0
    .kernarg_segment_align: 8
    .kernarg_segment_size: 152
    .language:       OpenCL C
    .language_version:
      - 2
      - 0
    .max_flat_workgroup_size: 256
    .name:           _ZN7rocprim17ROCPRIM_400000_NS6detail17trampoline_kernelINS0_13select_configILj256ELj13ELNS0_17block_load_methodE3ELS4_3ELS4_3ELNS0_20block_scan_algorithmE0ELj4294967295EEENS1_25partition_config_selectorILNS1_17partition_subalgoE3EjNS0_10empty_typeEbEEZZNS1_14partition_implILS8_3ELb0ES6_jNS0_17counting_iteratorIjlEEPS9_SE_NS0_5tupleIJPjSE_EEENSF_IJSE_SE_EEES9_SG_JZNS1_25segmented_radix_sort_implINS0_14default_configELb1EPKbPbPKlPlN2at6native12_GLOBAL__N_18offset_tEEE10hipError_tPvRmT1_PNSt15iterator_traitsISY_E10value_typeET2_T3_PNSZ_IS14_E10value_typeET4_jRbjT5_S1A_jjP12ihipStream_tbEUljE_EEESV_SW_SX_S14_S18_S1A_T6_T7_T9_mT8_S1C_bDpT10_ENKUlT_T0_E_clISt17integral_constantIbLb1EES1P_EEDaS1K_S1L_EUlS1K_E_NS1_11comp_targetILNS1_3genE5ELNS1_11target_archE942ELNS1_3gpuE9ELNS1_3repE0EEENS1_30default_config_static_selectorELNS0_4arch9wavefront6targetE0EEEvSY_
    .private_segment_fixed_size: 0
    .sgpr_count:     0
    .sgpr_spill_count: 0
    .symbol:         _ZN7rocprim17ROCPRIM_400000_NS6detail17trampoline_kernelINS0_13select_configILj256ELj13ELNS0_17block_load_methodE3ELS4_3ELS4_3ELNS0_20block_scan_algorithmE0ELj4294967295EEENS1_25partition_config_selectorILNS1_17partition_subalgoE3EjNS0_10empty_typeEbEEZZNS1_14partition_implILS8_3ELb0ES6_jNS0_17counting_iteratorIjlEEPS9_SE_NS0_5tupleIJPjSE_EEENSF_IJSE_SE_EEES9_SG_JZNS1_25segmented_radix_sort_implINS0_14default_configELb1EPKbPbPKlPlN2at6native12_GLOBAL__N_18offset_tEEE10hipError_tPvRmT1_PNSt15iterator_traitsISY_E10value_typeET2_T3_PNSZ_IS14_E10value_typeET4_jRbjT5_S1A_jjP12ihipStream_tbEUljE_EEESV_SW_SX_S14_S18_S1A_T6_T7_T9_mT8_S1C_bDpT10_ENKUlT_T0_E_clISt17integral_constantIbLb1EES1P_EEDaS1K_S1L_EUlS1K_E_NS1_11comp_targetILNS1_3genE5ELNS1_11target_archE942ELNS1_3gpuE9ELNS1_3repE0EEENS1_30default_config_static_selectorELNS0_4arch9wavefront6targetE0EEEvSY_.kd
    .uniform_work_group_size: 1
    .uses_dynamic_stack: false
    .vgpr_count:     0
    .vgpr_spill_count: 0
    .wavefront_size: 32
    .workgroup_processor_mode: 1
  - .args:
      - .offset:         0
        .size:           152
        .value_kind:     by_value
    .group_segment_fixed_size: 0
    .kernarg_segment_align: 8
    .kernarg_segment_size: 152
    .language:       OpenCL C
    .language_version:
      - 2
      - 0
    .max_flat_workgroup_size: 256
    .name:           _ZN7rocprim17ROCPRIM_400000_NS6detail17trampoline_kernelINS0_13select_configILj256ELj13ELNS0_17block_load_methodE3ELS4_3ELS4_3ELNS0_20block_scan_algorithmE0ELj4294967295EEENS1_25partition_config_selectorILNS1_17partition_subalgoE3EjNS0_10empty_typeEbEEZZNS1_14partition_implILS8_3ELb0ES6_jNS0_17counting_iteratorIjlEEPS9_SE_NS0_5tupleIJPjSE_EEENSF_IJSE_SE_EEES9_SG_JZNS1_25segmented_radix_sort_implINS0_14default_configELb1EPKbPbPKlPlN2at6native12_GLOBAL__N_18offset_tEEE10hipError_tPvRmT1_PNSt15iterator_traitsISY_E10value_typeET2_T3_PNSZ_IS14_E10value_typeET4_jRbjT5_S1A_jjP12ihipStream_tbEUljE_EEESV_SW_SX_S14_S18_S1A_T6_T7_T9_mT8_S1C_bDpT10_ENKUlT_T0_E_clISt17integral_constantIbLb1EES1P_EEDaS1K_S1L_EUlS1K_E_NS1_11comp_targetILNS1_3genE4ELNS1_11target_archE910ELNS1_3gpuE8ELNS1_3repE0EEENS1_30default_config_static_selectorELNS0_4arch9wavefront6targetE0EEEvSY_
    .private_segment_fixed_size: 0
    .sgpr_count:     0
    .sgpr_spill_count: 0
    .symbol:         _ZN7rocprim17ROCPRIM_400000_NS6detail17trampoline_kernelINS0_13select_configILj256ELj13ELNS0_17block_load_methodE3ELS4_3ELS4_3ELNS0_20block_scan_algorithmE0ELj4294967295EEENS1_25partition_config_selectorILNS1_17partition_subalgoE3EjNS0_10empty_typeEbEEZZNS1_14partition_implILS8_3ELb0ES6_jNS0_17counting_iteratorIjlEEPS9_SE_NS0_5tupleIJPjSE_EEENSF_IJSE_SE_EEES9_SG_JZNS1_25segmented_radix_sort_implINS0_14default_configELb1EPKbPbPKlPlN2at6native12_GLOBAL__N_18offset_tEEE10hipError_tPvRmT1_PNSt15iterator_traitsISY_E10value_typeET2_T3_PNSZ_IS14_E10value_typeET4_jRbjT5_S1A_jjP12ihipStream_tbEUljE_EEESV_SW_SX_S14_S18_S1A_T6_T7_T9_mT8_S1C_bDpT10_ENKUlT_T0_E_clISt17integral_constantIbLb1EES1P_EEDaS1K_S1L_EUlS1K_E_NS1_11comp_targetILNS1_3genE4ELNS1_11target_archE910ELNS1_3gpuE8ELNS1_3repE0EEENS1_30default_config_static_selectorELNS0_4arch9wavefront6targetE0EEEvSY_.kd
    .uniform_work_group_size: 1
    .uses_dynamic_stack: false
    .vgpr_count:     0
    .vgpr_spill_count: 0
    .wavefront_size: 32
    .workgroup_processor_mode: 1
  - .args:
      - .offset:         0
        .size:           152
        .value_kind:     by_value
    .group_segment_fixed_size: 0
    .kernarg_segment_align: 8
    .kernarg_segment_size: 152
    .language:       OpenCL C
    .language_version:
      - 2
      - 0
    .max_flat_workgroup_size: 256
    .name:           _ZN7rocprim17ROCPRIM_400000_NS6detail17trampoline_kernelINS0_13select_configILj256ELj13ELNS0_17block_load_methodE3ELS4_3ELS4_3ELNS0_20block_scan_algorithmE0ELj4294967295EEENS1_25partition_config_selectorILNS1_17partition_subalgoE3EjNS0_10empty_typeEbEEZZNS1_14partition_implILS8_3ELb0ES6_jNS0_17counting_iteratorIjlEEPS9_SE_NS0_5tupleIJPjSE_EEENSF_IJSE_SE_EEES9_SG_JZNS1_25segmented_radix_sort_implINS0_14default_configELb1EPKbPbPKlPlN2at6native12_GLOBAL__N_18offset_tEEE10hipError_tPvRmT1_PNSt15iterator_traitsISY_E10value_typeET2_T3_PNSZ_IS14_E10value_typeET4_jRbjT5_S1A_jjP12ihipStream_tbEUljE_EEESV_SW_SX_S14_S18_S1A_T6_T7_T9_mT8_S1C_bDpT10_ENKUlT_T0_E_clISt17integral_constantIbLb1EES1P_EEDaS1K_S1L_EUlS1K_E_NS1_11comp_targetILNS1_3genE3ELNS1_11target_archE908ELNS1_3gpuE7ELNS1_3repE0EEENS1_30default_config_static_selectorELNS0_4arch9wavefront6targetE0EEEvSY_
    .private_segment_fixed_size: 0
    .sgpr_count:     0
    .sgpr_spill_count: 0
    .symbol:         _ZN7rocprim17ROCPRIM_400000_NS6detail17trampoline_kernelINS0_13select_configILj256ELj13ELNS0_17block_load_methodE3ELS4_3ELS4_3ELNS0_20block_scan_algorithmE0ELj4294967295EEENS1_25partition_config_selectorILNS1_17partition_subalgoE3EjNS0_10empty_typeEbEEZZNS1_14partition_implILS8_3ELb0ES6_jNS0_17counting_iteratorIjlEEPS9_SE_NS0_5tupleIJPjSE_EEENSF_IJSE_SE_EEES9_SG_JZNS1_25segmented_radix_sort_implINS0_14default_configELb1EPKbPbPKlPlN2at6native12_GLOBAL__N_18offset_tEEE10hipError_tPvRmT1_PNSt15iterator_traitsISY_E10value_typeET2_T3_PNSZ_IS14_E10value_typeET4_jRbjT5_S1A_jjP12ihipStream_tbEUljE_EEESV_SW_SX_S14_S18_S1A_T6_T7_T9_mT8_S1C_bDpT10_ENKUlT_T0_E_clISt17integral_constantIbLb1EES1P_EEDaS1K_S1L_EUlS1K_E_NS1_11comp_targetILNS1_3genE3ELNS1_11target_archE908ELNS1_3gpuE7ELNS1_3repE0EEENS1_30default_config_static_selectorELNS0_4arch9wavefront6targetE0EEEvSY_.kd
    .uniform_work_group_size: 1
    .uses_dynamic_stack: false
    .vgpr_count:     0
    .vgpr_spill_count: 0
    .wavefront_size: 32
    .workgroup_processor_mode: 1
  - .args:
      - .offset:         0
        .size:           152
        .value_kind:     by_value
    .group_segment_fixed_size: 0
    .kernarg_segment_align: 8
    .kernarg_segment_size: 152
    .language:       OpenCL C
    .language_version:
      - 2
      - 0
    .max_flat_workgroup_size: 256
    .name:           _ZN7rocprim17ROCPRIM_400000_NS6detail17trampoline_kernelINS0_13select_configILj256ELj13ELNS0_17block_load_methodE3ELS4_3ELS4_3ELNS0_20block_scan_algorithmE0ELj4294967295EEENS1_25partition_config_selectorILNS1_17partition_subalgoE3EjNS0_10empty_typeEbEEZZNS1_14partition_implILS8_3ELb0ES6_jNS0_17counting_iteratorIjlEEPS9_SE_NS0_5tupleIJPjSE_EEENSF_IJSE_SE_EEES9_SG_JZNS1_25segmented_radix_sort_implINS0_14default_configELb1EPKbPbPKlPlN2at6native12_GLOBAL__N_18offset_tEEE10hipError_tPvRmT1_PNSt15iterator_traitsISY_E10value_typeET2_T3_PNSZ_IS14_E10value_typeET4_jRbjT5_S1A_jjP12ihipStream_tbEUljE_EEESV_SW_SX_S14_S18_S1A_T6_T7_T9_mT8_S1C_bDpT10_ENKUlT_T0_E_clISt17integral_constantIbLb1EES1P_EEDaS1K_S1L_EUlS1K_E_NS1_11comp_targetILNS1_3genE2ELNS1_11target_archE906ELNS1_3gpuE6ELNS1_3repE0EEENS1_30default_config_static_selectorELNS0_4arch9wavefront6targetE0EEEvSY_
    .private_segment_fixed_size: 0
    .sgpr_count:     0
    .sgpr_spill_count: 0
    .symbol:         _ZN7rocprim17ROCPRIM_400000_NS6detail17trampoline_kernelINS0_13select_configILj256ELj13ELNS0_17block_load_methodE3ELS4_3ELS4_3ELNS0_20block_scan_algorithmE0ELj4294967295EEENS1_25partition_config_selectorILNS1_17partition_subalgoE3EjNS0_10empty_typeEbEEZZNS1_14partition_implILS8_3ELb0ES6_jNS0_17counting_iteratorIjlEEPS9_SE_NS0_5tupleIJPjSE_EEENSF_IJSE_SE_EEES9_SG_JZNS1_25segmented_radix_sort_implINS0_14default_configELb1EPKbPbPKlPlN2at6native12_GLOBAL__N_18offset_tEEE10hipError_tPvRmT1_PNSt15iterator_traitsISY_E10value_typeET2_T3_PNSZ_IS14_E10value_typeET4_jRbjT5_S1A_jjP12ihipStream_tbEUljE_EEESV_SW_SX_S14_S18_S1A_T6_T7_T9_mT8_S1C_bDpT10_ENKUlT_T0_E_clISt17integral_constantIbLb1EES1P_EEDaS1K_S1L_EUlS1K_E_NS1_11comp_targetILNS1_3genE2ELNS1_11target_archE906ELNS1_3gpuE6ELNS1_3repE0EEENS1_30default_config_static_selectorELNS0_4arch9wavefront6targetE0EEEvSY_.kd
    .uniform_work_group_size: 1
    .uses_dynamic_stack: false
    .vgpr_count:     0
    .vgpr_spill_count: 0
    .wavefront_size: 32
    .workgroup_processor_mode: 1
  - .args:
      - .offset:         0
        .size:           152
        .value_kind:     by_value
    .group_segment_fixed_size: 0
    .kernarg_segment_align: 8
    .kernarg_segment_size: 152
    .language:       OpenCL C
    .language_version:
      - 2
      - 0
    .max_flat_workgroup_size: 256
    .name:           _ZN7rocprim17ROCPRIM_400000_NS6detail17trampoline_kernelINS0_13select_configILj256ELj13ELNS0_17block_load_methodE3ELS4_3ELS4_3ELNS0_20block_scan_algorithmE0ELj4294967295EEENS1_25partition_config_selectorILNS1_17partition_subalgoE3EjNS0_10empty_typeEbEEZZNS1_14partition_implILS8_3ELb0ES6_jNS0_17counting_iteratorIjlEEPS9_SE_NS0_5tupleIJPjSE_EEENSF_IJSE_SE_EEES9_SG_JZNS1_25segmented_radix_sort_implINS0_14default_configELb1EPKbPbPKlPlN2at6native12_GLOBAL__N_18offset_tEEE10hipError_tPvRmT1_PNSt15iterator_traitsISY_E10value_typeET2_T3_PNSZ_IS14_E10value_typeET4_jRbjT5_S1A_jjP12ihipStream_tbEUljE_EEESV_SW_SX_S14_S18_S1A_T6_T7_T9_mT8_S1C_bDpT10_ENKUlT_T0_E_clISt17integral_constantIbLb1EES1P_EEDaS1K_S1L_EUlS1K_E_NS1_11comp_targetILNS1_3genE10ELNS1_11target_archE1200ELNS1_3gpuE4ELNS1_3repE0EEENS1_30default_config_static_selectorELNS0_4arch9wavefront6targetE0EEEvSY_
    .private_segment_fixed_size: 0
    .sgpr_count:     0
    .sgpr_spill_count: 0
    .symbol:         _ZN7rocprim17ROCPRIM_400000_NS6detail17trampoline_kernelINS0_13select_configILj256ELj13ELNS0_17block_load_methodE3ELS4_3ELS4_3ELNS0_20block_scan_algorithmE0ELj4294967295EEENS1_25partition_config_selectorILNS1_17partition_subalgoE3EjNS0_10empty_typeEbEEZZNS1_14partition_implILS8_3ELb0ES6_jNS0_17counting_iteratorIjlEEPS9_SE_NS0_5tupleIJPjSE_EEENSF_IJSE_SE_EEES9_SG_JZNS1_25segmented_radix_sort_implINS0_14default_configELb1EPKbPbPKlPlN2at6native12_GLOBAL__N_18offset_tEEE10hipError_tPvRmT1_PNSt15iterator_traitsISY_E10value_typeET2_T3_PNSZ_IS14_E10value_typeET4_jRbjT5_S1A_jjP12ihipStream_tbEUljE_EEESV_SW_SX_S14_S18_S1A_T6_T7_T9_mT8_S1C_bDpT10_ENKUlT_T0_E_clISt17integral_constantIbLb1EES1P_EEDaS1K_S1L_EUlS1K_E_NS1_11comp_targetILNS1_3genE10ELNS1_11target_archE1200ELNS1_3gpuE4ELNS1_3repE0EEENS1_30default_config_static_selectorELNS0_4arch9wavefront6targetE0EEEvSY_.kd
    .uniform_work_group_size: 1
    .uses_dynamic_stack: false
    .vgpr_count:     0
    .vgpr_spill_count: 0
    .wavefront_size: 32
    .workgroup_processor_mode: 1
  - .args:
      - .offset:         0
        .size:           152
        .value_kind:     by_value
    .group_segment_fixed_size: 0
    .kernarg_segment_align: 8
    .kernarg_segment_size: 152
    .language:       OpenCL C
    .language_version:
      - 2
      - 0
    .max_flat_workgroup_size: 256
    .name:           _ZN7rocprim17ROCPRIM_400000_NS6detail17trampoline_kernelINS0_13select_configILj256ELj13ELNS0_17block_load_methodE3ELS4_3ELS4_3ELNS0_20block_scan_algorithmE0ELj4294967295EEENS1_25partition_config_selectorILNS1_17partition_subalgoE3EjNS0_10empty_typeEbEEZZNS1_14partition_implILS8_3ELb0ES6_jNS0_17counting_iteratorIjlEEPS9_SE_NS0_5tupleIJPjSE_EEENSF_IJSE_SE_EEES9_SG_JZNS1_25segmented_radix_sort_implINS0_14default_configELb1EPKbPbPKlPlN2at6native12_GLOBAL__N_18offset_tEEE10hipError_tPvRmT1_PNSt15iterator_traitsISY_E10value_typeET2_T3_PNSZ_IS14_E10value_typeET4_jRbjT5_S1A_jjP12ihipStream_tbEUljE_EEESV_SW_SX_S14_S18_S1A_T6_T7_T9_mT8_S1C_bDpT10_ENKUlT_T0_E_clISt17integral_constantIbLb1EES1P_EEDaS1K_S1L_EUlS1K_E_NS1_11comp_targetILNS1_3genE9ELNS1_11target_archE1100ELNS1_3gpuE3ELNS1_3repE0EEENS1_30default_config_static_selectorELNS0_4arch9wavefront6targetE0EEEvSY_
    .private_segment_fixed_size: 0
    .sgpr_count:     0
    .sgpr_spill_count: 0
    .symbol:         _ZN7rocprim17ROCPRIM_400000_NS6detail17trampoline_kernelINS0_13select_configILj256ELj13ELNS0_17block_load_methodE3ELS4_3ELS4_3ELNS0_20block_scan_algorithmE0ELj4294967295EEENS1_25partition_config_selectorILNS1_17partition_subalgoE3EjNS0_10empty_typeEbEEZZNS1_14partition_implILS8_3ELb0ES6_jNS0_17counting_iteratorIjlEEPS9_SE_NS0_5tupleIJPjSE_EEENSF_IJSE_SE_EEES9_SG_JZNS1_25segmented_radix_sort_implINS0_14default_configELb1EPKbPbPKlPlN2at6native12_GLOBAL__N_18offset_tEEE10hipError_tPvRmT1_PNSt15iterator_traitsISY_E10value_typeET2_T3_PNSZ_IS14_E10value_typeET4_jRbjT5_S1A_jjP12ihipStream_tbEUljE_EEESV_SW_SX_S14_S18_S1A_T6_T7_T9_mT8_S1C_bDpT10_ENKUlT_T0_E_clISt17integral_constantIbLb1EES1P_EEDaS1K_S1L_EUlS1K_E_NS1_11comp_targetILNS1_3genE9ELNS1_11target_archE1100ELNS1_3gpuE3ELNS1_3repE0EEENS1_30default_config_static_selectorELNS0_4arch9wavefront6targetE0EEEvSY_.kd
    .uniform_work_group_size: 1
    .uses_dynamic_stack: false
    .vgpr_count:     0
    .vgpr_spill_count: 0
    .wavefront_size: 32
    .workgroup_processor_mode: 1
  - .args:
      - .offset:         0
        .size:           152
        .value_kind:     by_value
    .group_segment_fixed_size: 0
    .kernarg_segment_align: 8
    .kernarg_segment_size: 152
    .language:       OpenCL C
    .language_version:
      - 2
      - 0
    .max_flat_workgroup_size: 256
    .name:           _ZN7rocprim17ROCPRIM_400000_NS6detail17trampoline_kernelINS0_13select_configILj256ELj13ELNS0_17block_load_methodE3ELS4_3ELS4_3ELNS0_20block_scan_algorithmE0ELj4294967295EEENS1_25partition_config_selectorILNS1_17partition_subalgoE3EjNS0_10empty_typeEbEEZZNS1_14partition_implILS8_3ELb0ES6_jNS0_17counting_iteratorIjlEEPS9_SE_NS0_5tupleIJPjSE_EEENSF_IJSE_SE_EEES9_SG_JZNS1_25segmented_radix_sort_implINS0_14default_configELb1EPKbPbPKlPlN2at6native12_GLOBAL__N_18offset_tEEE10hipError_tPvRmT1_PNSt15iterator_traitsISY_E10value_typeET2_T3_PNSZ_IS14_E10value_typeET4_jRbjT5_S1A_jjP12ihipStream_tbEUljE_EEESV_SW_SX_S14_S18_S1A_T6_T7_T9_mT8_S1C_bDpT10_ENKUlT_T0_E_clISt17integral_constantIbLb1EES1P_EEDaS1K_S1L_EUlS1K_E_NS1_11comp_targetILNS1_3genE8ELNS1_11target_archE1030ELNS1_3gpuE2ELNS1_3repE0EEENS1_30default_config_static_selectorELNS0_4arch9wavefront6targetE0EEEvSY_
    .private_segment_fixed_size: 0
    .sgpr_count:     0
    .sgpr_spill_count: 0
    .symbol:         _ZN7rocprim17ROCPRIM_400000_NS6detail17trampoline_kernelINS0_13select_configILj256ELj13ELNS0_17block_load_methodE3ELS4_3ELS4_3ELNS0_20block_scan_algorithmE0ELj4294967295EEENS1_25partition_config_selectorILNS1_17partition_subalgoE3EjNS0_10empty_typeEbEEZZNS1_14partition_implILS8_3ELb0ES6_jNS0_17counting_iteratorIjlEEPS9_SE_NS0_5tupleIJPjSE_EEENSF_IJSE_SE_EEES9_SG_JZNS1_25segmented_radix_sort_implINS0_14default_configELb1EPKbPbPKlPlN2at6native12_GLOBAL__N_18offset_tEEE10hipError_tPvRmT1_PNSt15iterator_traitsISY_E10value_typeET2_T3_PNSZ_IS14_E10value_typeET4_jRbjT5_S1A_jjP12ihipStream_tbEUljE_EEESV_SW_SX_S14_S18_S1A_T6_T7_T9_mT8_S1C_bDpT10_ENKUlT_T0_E_clISt17integral_constantIbLb1EES1P_EEDaS1K_S1L_EUlS1K_E_NS1_11comp_targetILNS1_3genE8ELNS1_11target_archE1030ELNS1_3gpuE2ELNS1_3repE0EEENS1_30default_config_static_selectorELNS0_4arch9wavefront6targetE0EEEvSY_.kd
    .uniform_work_group_size: 1
    .uses_dynamic_stack: false
    .vgpr_count:     0
    .vgpr_spill_count: 0
    .wavefront_size: 32
    .workgroup_processor_mode: 1
  - .args:
      - .offset:         0
        .size:           144
        .value_kind:     by_value
    .group_segment_fixed_size: 0
    .kernarg_segment_align: 8
    .kernarg_segment_size: 144
    .language:       OpenCL C
    .language_version:
      - 2
      - 0
    .max_flat_workgroup_size: 256
    .name:           _ZN7rocprim17ROCPRIM_400000_NS6detail17trampoline_kernelINS0_13select_configILj256ELj13ELNS0_17block_load_methodE3ELS4_3ELS4_3ELNS0_20block_scan_algorithmE0ELj4294967295EEENS1_25partition_config_selectorILNS1_17partition_subalgoE3EjNS0_10empty_typeEbEEZZNS1_14partition_implILS8_3ELb0ES6_jNS0_17counting_iteratorIjlEEPS9_SE_NS0_5tupleIJPjSE_EEENSF_IJSE_SE_EEES9_SG_JZNS1_25segmented_radix_sort_implINS0_14default_configELb1EPKbPbPKlPlN2at6native12_GLOBAL__N_18offset_tEEE10hipError_tPvRmT1_PNSt15iterator_traitsISY_E10value_typeET2_T3_PNSZ_IS14_E10value_typeET4_jRbjT5_S1A_jjP12ihipStream_tbEUljE_EEESV_SW_SX_S14_S18_S1A_T6_T7_T9_mT8_S1C_bDpT10_ENKUlT_T0_E_clISt17integral_constantIbLb1EES1O_IbLb0EEEEDaS1K_S1L_EUlS1K_E_NS1_11comp_targetILNS1_3genE0ELNS1_11target_archE4294967295ELNS1_3gpuE0ELNS1_3repE0EEENS1_30default_config_static_selectorELNS0_4arch9wavefront6targetE0EEEvSY_
    .private_segment_fixed_size: 0
    .sgpr_count:     0
    .sgpr_spill_count: 0
    .symbol:         _ZN7rocprim17ROCPRIM_400000_NS6detail17trampoline_kernelINS0_13select_configILj256ELj13ELNS0_17block_load_methodE3ELS4_3ELS4_3ELNS0_20block_scan_algorithmE0ELj4294967295EEENS1_25partition_config_selectorILNS1_17partition_subalgoE3EjNS0_10empty_typeEbEEZZNS1_14partition_implILS8_3ELb0ES6_jNS0_17counting_iteratorIjlEEPS9_SE_NS0_5tupleIJPjSE_EEENSF_IJSE_SE_EEES9_SG_JZNS1_25segmented_radix_sort_implINS0_14default_configELb1EPKbPbPKlPlN2at6native12_GLOBAL__N_18offset_tEEE10hipError_tPvRmT1_PNSt15iterator_traitsISY_E10value_typeET2_T3_PNSZ_IS14_E10value_typeET4_jRbjT5_S1A_jjP12ihipStream_tbEUljE_EEESV_SW_SX_S14_S18_S1A_T6_T7_T9_mT8_S1C_bDpT10_ENKUlT_T0_E_clISt17integral_constantIbLb1EES1O_IbLb0EEEEDaS1K_S1L_EUlS1K_E_NS1_11comp_targetILNS1_3genE0ELNS1_11target_archE4294967295ELNS1_3gpuE0ELNS1_3repE0EEENS1_30default_config_static_selectorELNS0_4arch9wavefront6targetE0EEEvSY_.kd
    .uniform_work_group_size: 1
    .uses_dynamic_stack: false
    .vgpr_count:     0
    .vgpr_spill_count: 0
    .wavefront_size: 32
    .workgroup_processor_mode: 1
  - .args:
      - .offset:         0
        .size:           144
        .value_kind:     by_value
    .group_segment_fixed_size: 0
    .kernarg_segment_align: 8
    .kernarg_segment_size: 144
    .language:       OpenCL C
    .language_version:
      - 2
      - 0
    .max_flat_workgroup_size: 256
    .name:           _ZN7rocprim17ROCPRIM_400000_NS6detail17trampoline_kernelINS0_13select_configILj256ELj13ELNS0_17block_load_methodE3ELS4_3ELS4_3ELNS0_20block_scan_algorithmE0ELj4294967295EEENS1_25partition_config_selectorILNS1_17partition_subalgoE3EjNS0_10empty_typeEbEEZZNS1_14partition_implILS8_3ELb0ES6_jNS0_17counting_iteratorIjlEEPS9_SE_NS0_5tupleIJPjSE_EEENSF_IJSE_SE_EEES9_SG_JZNS1_25segmented_radix_sort_implINS0_14default_configELb1EPKbPbPKlPlN2at6native12_GLOBAL__N_18offset_tEEE10hipError_tPvRmT1_PNSt15iterator_traitsISY_E10value_typeET2_T3_PNSZ_IS14_E10value_typeET4_jRbjT5_S1A_jjP12ihipStream_tbEUljE_EEESV_SW_SX_S14_S18_S1A_T6_T7_T9_mT8_S1C_bDpT10_ENKUlT_T0_E_clISt17integral_constantIbLb1EES1O_IbLb0EEEEDaS1K_S1L_EUlS1K_E_NS1_11comp_targetILNS1_3genE5ELNS1_11target_archE942ELNS1_3gpuE9ELNS1_3repE0EEENS1_30default_config_static_selectorELNS0_4arch9wavefront6targetE0EEEvSY_
    .private_segment_fixed_size: 0
    .sgpr_count:     0
    .sgpr_spill_count: 0
    .symbol:         _ZN7rocprim17ROCPRIM_400000_NS6detail17trampoline_kernelINS0_13select_configILj256ELj13ELNS0_17block_load_methodE3ELS4_3ELS4_3ELNS0_20block_scan_algorithmE0ELj4294967295EEENS1_25partition_config_selectorILNS1_17partition_subalgoE3EjNS0_10empty_typeEbEEZZNS1_14partition_implILS8_3ELb0ES6_jNS0_17counting_iteratorIjlEEPS9_SE_NS0_5tupleIJPjSE_EEENSF_IJSE_SE_EEES9_SG_JZNS1_25segmented_radix_sort_implINS0_14default_configELb1EPKbPbPKlPlN2at6native12_GLOBAL__N_18offset_tEEE10hipError_tPvRmT1_PNSt15iterator_traitsISY_E10value_typeET2_T3_PNSZ_IS14_E10value_typeET4_jRbjT5_S1A_jjP12ihipStream_tbEUljE_EEESV_SW_SX_S14_S18_S1A_T6_T7_T9_mT8_S1C_bDpT10_ENKUlT_T0_E_clISt17integral_constantIbLb1EES1O_IbLb0EEEEDaS1K_S1L_EUlS1K_E_NS1_11comp_targetILNS1_3genE5ELNS1_11target_archE942ELNS1_3gpuE9ELNS1_3repE0EEENS1_30default_config_static_selectorELNS0_4arch9wavefront6targetE0EEEvSY_.kd
    .uniform_work_group_size: 1
    .uses_dynamic_stack: false
    .vgpr_count:     0
    .vgpr_spill_count: 0
    .wavefront_size: 32
    .workgroup_processor_mode: 1
  - .args:
      - .offset:         0
        .size:           144
        .value_kind:     by_value
    .group_segment_fixed_size: 0
    .kernarg_segment_align: 8
    .kernarg_segment_size: 144
    .language:       OpenCL C
    .language_version:
      - 2
      - 0
    .max_flat_workgroup_size: 256
    .name:           _ZN7rocprim17ROCPRIM_400000_NS6detail17trampoline_kernelINS0_13select_configILj256ELj13ELNS0_17block_load_methodE3ELS4_3ELS4_3ELNS0_20block_scan_algorithmE0ELj4294967295EEENS1_25partition_config_selectorILNS1_17partition_subalgoE3EjNS0_10empty_typeEbEEZZNS1_14partition_implILS8_3ELb0ES6_jNS0_17counting_iteratorIjlEEPS9_SE_NS0_5tupleIJPjSE_EEENSF_IJSE_SE_EEES9_SG_JZNS1_25segmented_radix_sort_implINS0_14default_configELb1EPKbPbPKlPlN2at6native12_GLOBAL__N_18offset_tEEE10hipError_tPvRmT1_PNSt15iterator_traitsISY_E10value_typeET2_T3_PNSZ_IS14_E10value_typeET4_jRbjT5_S1A_jjP12ihipStream_tbEUljE_EEESV_SW_SX_S14_S18_S1A_T6_T7_T9_mT8_S1C_bDpT10_ENKUlT_T0_E_clISt17integral_constantIbLb1EES1O_IbLb0EEEEDaS1K_S1L_EUlS1K_E_NS1_11comp_targetILNS1_3genE4ELNS1_11target_archE910ELNS1_3gpuE8ELNS1_3repE0EEENS1_30default_config_static_selectorELNS0_4arch9wavefront6targetE0EEEvSY_
    .private_segment_fixed_size: 0
    .sgpr_count:     0
    .sgpr_spill_count: 0
    .symbol:         _ZN7rocprim17ROCPRIM_400000_NS6detail17trampoline_kernelINS0_13select_configILj256ELj13ELNS0_17block_load_methodE3ELS4_3ELS4_3ELNS0_20block_scan_algorithmE0ELj4294967295EEENS1_25partition_config_selectorILNS1_17partition_subalgoE3EjNS0_10empty_typeEbEEZZNS1_14partition_implILS8_3ELb0ES6_jNS0_17counting_iteratorIjlEEPS9_SE_NS0_5tupleIJPjSE_EEENSF_IJSE_SE_EEES9_SG_JZNS1_25segmented_radix_sort_implINS0_14default_configELb1EPKbPbPKlPlN2at6native12_GLOBAL__N_18offset_tEEE10hipError_tPvRmT1_PNSt15iterator_traitsISY_E10value_typeET2_T3_PNSZ_IS14_E10value_typeET4_jRbjT5_S1A_jjP12ihipStream_tbEUljE_EEESV_SW_SX_S14_S18_S1A_T6_T7_T9_mT8_S1C_bDpT10_ENKUlT_T0_E_clISt17integral_constantIbLb1EES1O_IbLb0EEEEDaS1K_S1L_EUlS1K_E_NS1_11comp_targetILNS1_3genE4ELNS1_11target_archE910ELNS1_3gpuE8ELNS1_3repE0EEENS1_30default_config_static_selectorELNS0_4arch9wavefront6targetE0EEEvSY_.kd
    .uniform_work_group_size: 1
    .uses_dynamic_stack: false
    .vgpr_count:     0
    .vgpr_spill_count: 0
    .wavefront_size: 32
    .workgroup_processor_mode: 1
  - .args:
      - .offset:         0
        .size:           144
        .value_kind:     by_value
    .group_segment_fixed_size: 0
    .kernarg_segment_align: 8
    .kernarg_segment_size: 144
    .language:       OpenCL C
    .language_version:
      - 2
      - 0
    .max_flat_workgroup_size: 256
    .name:           _ZN7rocprim17ROCPRIM_400000_NS6detail17trampoline_kernelINS0_13select_configILj256ELj13ELNS0_17block_load_methodE3ELS4_3ELS4_3ELNS0_20block_scan_algorithmE0ELj4294967295EEENS1_25partition_config_selectorILNS1_17partition_subalgoE3EjNS0_10empty_typeEbEEZZNS1_14partition_implILS8_3ELb0ES6_jNS0_17counting_iteratorIjlEEPS9_SE_NS0_5tupleIJPjSE_EEENSF_IJSE_SE_EEES9_SG_JZNS1_25segmented_radix_sort_implINS0_14default_configELb1EPKbPbPKlPlN2at6native12_GLOBAL__N_18offset_tEEE10hipError_tPvRmT1_PNSt15iterator_traitsISY_E10value_typeET2_T3_PNSZ_IS14_E10value_typeET4_jRbjT5_S1A_jjP12ihipStream_tbEUljE_EEESV_SW_SX_S14_S18_S1A_T6_T7_T9_mT8_S1C_bDpT10_ENKUlT_T0_E_clISt17integral_constantIbLb1EES1O_IbLb0EEEEDaS1K_S1L_EUlS1K_E_NS1_11comp_targetILNS1_3genE3ELNS1_11target_archE908ELNS1_3gpuE7ELNS1_3repE0EEENS1_30default_config_static_selectorELNS0_4arch9wavefront6targetE0EEEvSY_
    .private_segment_fixed_size: 0
    .sgpr_count:     0
    .sgpr_spill_count: 0
    .symbol:         _ZN7rocprim17ROCPRIM_400000_NS6detail17trampoline_kernelINS0_13select_configILj256ELj13ELNS0_17block_load_methodE3ELS4_3ELS4_3ELNS0_20block_scan_algorithmE0ELj4294967295EEENS1_25partition_config_selectorILNS1_17partition_subalgoE3EjNS0_10empty_typeEbEEZZNS1_14partition_implILS8_3ELb0ES6_jNS0_17counting_iteratorIjlEEPS9_SE_NS0_5tupleIJPjSE_EEENSF_IJSE_SE_EEES9_SG_JZNS1_25segmented_radix_sort_implINS0_14default_configELb1EPKbPbPKlPlN2at6native12_GLOBAL__N_18offset_tEEE10hipError_tPvRmT1_PNSt15iterator_traitsISY_E10value_typeET2_T3_PNSZ_IS14_E10value_typeET4_jRbjT5_S1A_jjP12ihipStream_tbEUljE_EEESV_SW_SX_S14_S18_S1A_T6_T7_T9_mT8_S1C_bDpT10_ENKUlT_T0_E_clISt17integral_constantIbLb1EES1O_IbLb0EEEEDaS1K_S1L_EUlS1K_E_NS1_11comp_targetILNS1_3genE3ELNS1_11target_archE908ELNS1_3gpuE7ELNS1_3repE0EEENS1_30default_config_static_selectorELNS0_4arch9wavefront6targetE0EEEvSY_.kd
    .uniform_work_group_size: 1
    .uses_dynamic_stack: false
    .vgpr_count:     0
    .vgpr_spill_count: 0
    .wavefront_size: 32
    .workgroup_processor_mode: 1
  - .args:
      - .offset:         0
        .size:           144
        .value_kind:     by_value
    .group_segment_fixed_size: 0
    .kernarg_segment_align: 8
    .kernarg_segment_size: 144
    .language:       OpenCL C
    .language_version:
      - 2
      - 0
    .max_flat_workgroup_size: 256
    .name:           _ZN7rocprim17ROCPRIM_400000_NS6detail17trampoline_kernelINS0_13select_configILj256ELj13ELNS0_17block_load_methodE3ELS4_3ELS4_3ELNS0_20block_scan_algorithmE0ELj4294967295EEENS1_25partition_config_selectorILNS1_17partition_subalgoE3EjNS0_10empty_typeEbEEZZNS1_14partition_implILS8_3ELb0ES6_jNS0_17counting_iteratorIjlEEPS9_SE_NS0_5tupleIJPjSE_EEENSF_IJSE_SE_EEES9_SG_JZNS1_25segmented_radix_sort_implINS0_14default_configELb1EPKbPbPKlPlN2at6native12_GLOBAL__N_18offset_tEEE10hipError_tPvRmT1_PNSt15iterator_traitsISY_E10value_typeET2_T3_PNSZ_IS14_E10value_typeET4_jRbjT5_S1A_jjP12ihipStream_tbEUljE_EEESV_SW_SX_S14_S18_S1A_T6_T7_T9_mT8_S1C_bDpT10_ENKUlT_T0_E_clISt17integral_constantIbLb1EES1O_IbLb0EEEEDaS1K_S1L_EUlS1K_E_NS1_11comp_targetILNS1_3genE2ELNS1_11target_archE906ELNS1_3gpuE6ELNS1_3repE0EEENS1_30default_config_static_selectorELNS0_4arch9wavefront6targetE0EEEvSY_
    .private_segment_fixed_size: 0
    .sgpr_count:     0
    .sgpr_spill_count: 0
    .symbol:         _ZN7rocprim17ROCPRIM_400000_NS6detail17trampoline_kernelINS0_13select_configILj256ELj13ELNS0_17block_load_methodE3ELS4_3ELS4_3ELNS0_20block_scan_algorithmE0ELj4294967295EEENS1_25partition_config_selectorILNS1_17partition_subalgoE3EjNS0_10empty_typeEbEEZZNS1_14partition_implILS8_3ELb0ES6_jNS0_17counting_iteratorIjlEEPS9_SE_NS0_5tupleIJPjSE_EEENSF_IJSE_SE_EEES9_SG_JZNS1_25segmented_radix_sort_implINS0_14default_configELb1EPKbPbPKlPlN2at6native12_GLOBAL__N_18offset_tEEE10hipError_tPvRmT1_PNSt15iterator_traitsISY_E10value_typeET2_T3_PNSZ_IS14_E10value_typeET4_jRbjT5_S1A_jjP12ihipStream_tbEUljE_EEESV_SW_SX_S14_S18_S1A_T6_T7_T9_mT8_S1C_bDpT10_ENKUlT_T0_E_clISt17integral_constantIbLb1EES1O_IbLb0EEEEDaS1K_S1L_EUlS1K_E_NS1_11comp_targetILNS1_3genE2ELNS1_11target_archE906ELNS1_3gpuE6ELNS1_3repE0EEENS1_30default_config_static_selectorELNS0_4arch9wavefront6targetE0EEEvSY_.kd
    .uniform_work_group_size: 1
    .uses_dynamic_stack: false
    .vgpr_count:     0
    .vgpr_spill_count: 0
    .wavefront_size: 32
    .workgroup_processor_mode: 1
  - .args:
      - .offset:         0
        .size:           144
        .value_kind:     by_value
    .group_segment_fixed_size: 0
    .kernarg_segment_align: 8
    .kernarg_segment_size: 144
    .language:       OpenCL C
    .language_version:
      - 2
      - 0
    .max_flat_workgroup_size: 256
    .name:           _ZN7rocprim17ROCPRIM_400000_NS6detail17trampoline_kernelINS0_13select_configILj256ELj13ELNS0_17block_load_methodE3ELS4_3ELS4_3ELNS0_20block_scan_algorithmE0ELj4294967295EEENS1_25partition_config_selectorILNS1_17partition_subalgoE3EjNS0_10empty_typeEbEEZZNS1_14partition_implILS8_3ELb0ES6_jNS0_17counting_iteratorIjlEEPS9_SE_NS0_5tupleIJPjSE_EEENSF_IJSE_SE_EEES9_SG_JZNS1_25segmented_radix_sort_implINS0_14default_configELb1EPKbPbPKlPlN2at6native12_GLOBAL__N_18offset_tEEE10hipError_tPvRmT1_PNSt15iterator_traitsISY_E10value_typeET2_T3_PNSZ_IS14_E10value_typeET4_jRbjT5_S1A_jjP12ihipStream_tbEUljE_EEESV_SW_SX_S14_S18_S1A_T6_T7_T9_mT8_S1C_bDpT10_ENKUlT_T0_E_clISt17integral_constantIbLb1EES1O_IbLb0EEEEDaS1K_S1L_EUlS1K_E_NS1_11comp_targetILNS1_3genE10ELNS1_11target_archE1200ELNS1_3gpuE4ELNS1_3repE0EEENS1_30default_config_static_selectorELNS0_4arch9wavefront6targetE0EEEvSY_
    .private_segment_fixed_size: 0
    .sgpr_count:     0
    .sgpr_spill_count: 0
    .symbol:         _ZN7rocprim17ROCPRIM_400000_NS6detail17trampoline_kernelINS0_13select_configILj256ELj13ELNS0_17block_load_methodE3ELS4_3ELS4_3ELNS0_20block_scan_algorithmE0ELj4294967295EEENS1_25partition_config_selectorILNS1_17partition_subalgoE3EjNS0_10empty_typeEbEEZZNS1_14partition_implILS8_3ELb0ES6_jNS0_17counting_iteratorIjlEEPS9_SE_NS0_5tupleIJPjSE_EEENSF_IJSE_SE_EEES9_SG_JZNS1_25segmented_radix_sort_implINS0_14default_configELb1EPKbPbPKlPlN2at6native12_GLOBAL__N_18offset_tEEE10hipError_tPvRmT1_PNSt15iterator_traitsISY_E10value_typeET2_T3_PNSZ_IS14_E10value_typeET4_jRbjT5_S1A_jjP12ihipStream_tbEUljE_EEESV_SW_SX_S14_S18_S1A_T6_T7_T9_mT8_S1C_bDpT10_ENKUlT_T0_E_clISt17integral_constantIbLb1EES1O_IbLb0EEEEDaS1K_S1L_EUlS1K_E_NS1_11comp_targetILNS1_3genE10ELNS1_11target_archE1200ELNS1_3gpuE4ELNS1_3repE0EEENS1_30default_config_static_selectorELNS0_4arch9wavefront6targetE0EEEvSY_.kd
    .uniform_work_group_size: 1
    .uses_dynamic_stack: false
    .vgpr_count:     0
    .vgpr_spill_count: 0
    .wavefront_size: 32
    .workgroup_processor_mode: 1
  - .args:
      - .offset:         0
        .size:           144
        .value_kind:     by_value
    .group_segment_fixed_size: 0
    .kernarg_segment_align: 8
    .kernarg_segment_size: 144
    .language:       OpenCL C
    .language_version:
      - 2
      - 0
    .max_flat_workgroup_size: 256
    .name:           _ZN7rocprim17ROCPRIM_400000_NS6detail17trampoline_kernelINS0_13select_configILj256ELj13ELNS0_17block_load_methodE3ELS4_3ELS4_3ELNS0_20block_scan_algorithmE0ELj4294967295EEENS1_25partition_config_selectorILNS1_17partition_subalgoE3EjNS0_10empty_typeEbEEZZNS1_14partition_implILS8_3ELb0ES6_jNS0_17counting_iteratorIjlEEPS9_SE_NS0_5tupleIJPjSE_EEENSF_IJSE_SE_EEES9_SG_JZNS1_25segmented_radix_sort_implINS0_14default_configELb1EPKbPbPKlPlN2at6native12_GLOBAL__N_18offset_tEEE10hipError_tPvRmT1_PNSt15iterator_traitsISY_E10value_typeET2_T3_PNSZ_IS14_E10value_typeET4_jRbjT5_S1A_jjP12ihipStream_tbEUljE_EEESV_SW_SX_S14_S18_S1A_T6_T7_T9_mT8_S1C_bDpT10_ENKUlT_T0_E_clISt17integral_constantIbLb1EES1O_IbLb0EEEEDaS1K_S1L_EUlS1K_E_NS1_11comp_targetILNS1_3genE9ELNS1_11target_archE1100ELNS1_3gpuE3ELNS1_3repE0EEENS1_30default_config_static_selectorELNS0_4arch9wavefront6targetE0EEEvSY_
    .private_segment_fixed_size: 0
    .sgpr_count:     0
    .sgpr_spill_count: 0
    .symbol:         _ZN7rocprim17ROCPRIM_400000_NS6detail17trampoline_kernelINS0_13select_configILj256ELj13ELNS0_17block_load_methodE3ELS4_3ELS4_3ELNS0_20block_scan_algorithmE0ELj4294967295EEENS1_25partition_config_selectorILNS1_17partition_subalgoE3EjNS0_10empty_typeEbEEZZNS1_14partition_implILS8_3ELb0ES6_jNS0_17counting_iteratorIjlEEPS9_SE_NS0_5tupleIJPjSE_EEENSF_IJSE_SE_EEES9_SG_JZNS1_25segmented_radix_sort_implINS0_14default_configELb1EPKbPbPKlPlN2at6native12_GLOBAL__N_18offset_tEEE10hipError_tPvRmT1_PNSt15iterator_traitsISY_E10value_typeET2_T3_PNSZ_IS14_E10value_typeET4_jRbjT5_S1A_jjP12ihipStream_tbEUljE_EEESV_SW_SX_S14_S18_S1A_T6_T7_T9_mT8_S1C_bDpT10_ENKUlT_T0_E_clISt17integral_constantIbLb1EES1O_IbLb0EEEEDaS1K_S1L_EUlS1K_E_NS1_11comp_targetILNS1_3genE9ELNS1_11target_archE1100ELNS1_3gpuE3ELNS1_3repE0EEENS1_30default_config_static_selectorELNS0_4arch9wavefront6targetE0EEEvSY_.kd
    .uniform_work_group_size: 1
    .uses_dynamic_stack: false
    .vgpr_count:     0
    .vgpr_spill_count: 0
    .wavefront_size: 32
    .workgroup_processor_mode: 1
  - .args:
      - .offset:         0
        .size:           144
        .value_kind:     by_value
    .group_segment_fixed_size: 0
    .kernarg_segment_align: 8
    .kernarg_segment_size: 144
    .language:       OpenCL C
    .language_version:
      - 2
      - 0
    .max_flat_workgroup_size: 256
    .name:           _ZN7rocprim17ROCPRIM_400000_NS6detail17trampoline_kernelINS0_13select_configILj256ELj13ELNS0_17block_load_methodE3ELS4_3ELS4_3ELNS0_20block_scan_algorithmE0ELj4294967295EEENS1_25partition_config_selectorILNS1_17partition_subalgoE3EjNS0_10empty_typeEbEEZZNS1_14partition_implILS8_3ELb0ES6_jNS0_17counting_iteratorIjlEEPS9_SE_NS0_5tupleIJPjSE_EEENSF_IJSE_SE_EEES9_SG_JZNS1_25segmented_radix_sort_implINS0_14default_configELb1EPKbPbPKlPlN2at6native12_GLOBAL__N_18offset_tEEE10hipError_tPvRmT1_PNSt15iterator_traitsISY_E10value_typeET2_T3_PNSZ_IS14_E10value_typeET4_jRbjT5_S1A_jjP12ihipStream_tbEUljE_EEESV_SW_SX_S14_S18_S1A_T6_T7_T9_mT8_S1C_bDpT10_ENKUlT_T0_E_clISt17integral_constantIbLb1EES1O_IbLb0EEEEDaS1K_S1L_EUlS1K_E_NS1_11comp_targetILNS1_3genE8ELNS1_11target_archE1030ELNS1_3gpuE2ELNS1_3repE0EEENS1_30default_config_static_selectorELNS0_4arch9wavefront6targetE0EEEvSY_
    .private_segment_fixed_size: 0
    .sgpr_count:     0
    .sgpr_spill_count: 0
    .symbol:         _ZN7rocprim17ROCPRIM_400000_NS6detail17trampoline_kernelINS0_13select_configILj256ELj13ELNS0_17block_load_methodE3ELS4_3ELS4_3ELNS0_20block_scan_algorithmE0ELj4294967295EEENS1_25partition_config_selectorILNS1_17partition_subalgoE3EjNS0_10empty_typeEbEEZZNS1_14partition_implILS8_3ELb0ES6_jNS0_17counting_iteratorIjlEEPS9_SE_NS0_5tupleIJPjSE_EEENSF_IJSE_SE_EEES9_SG_JZNS1_25segmented_radix_sort_implINS0_14default_configELb1EPKbPbPKlPlN2at6native12_GLOBAL__N_18offset_tEEE10hipError_tPvRmT1_PNSt15iterator_traitsISY_E10value_typeET2_T3_PNSZ_IS14_E10value_typeET4_jRbjT5_S1A_jjP12ihipStream_tbEUljE_EEESV_SW_SX_S14_S18_S1A_T6_T7_T9_mT8_S1C_bDpT10_ENKUlT_T0_E_clISt17integral_constantIbLb1EES1O_IbLb0EEEEDaS1K_S1L_EUlS1K_E_NS1_11comp_targetILNS1_3genE8ELNS1_11target_archE1030ELNS1_3gpuE2ELNS1_3repE0EEENS1_30default_config_static_selectorELNS0_4arch9wavefront6targetE0EEEvSY_.kd
    .uniform_work_group_size: 1
    .uses_dynamic_stack: false
    .vgpr_count:     0
    .vgpr_spill_count: 0
    .wavefront_size: 32
    .workgroup_processor_mode: 1
  - .args:
      - .offset:         0
        .size:           152
        .value_kind:     by_value
    .group_segment_fixed_size: 0
    .kernarg_segment_align: 8
    .kernarg_segment_size: 152
    .language:       OpenCL C
    .language_version:
      - 2
      - 0
    .max_flat_workgroup_size: 256
    .name:           _ZN7rocprim17ROCPRIM_400000_NS6detail17trampoline_kernelINS0_13select_configILj256ELj13ELNS0_17block_load_methodE3ELS4_3ELS4_3ELNS0_20block_scan_algorithmE0ELj4294967295EEENS1_25partition_config_selectorILNS1_17partition_subalgoE3EjNS0_10empty_typeEbEEZZNS1_14partition_implILS8_3ELb0ES6_jNS0_17counting_iteratorIjlEEPS9_SE_NS0_5tupleIJPjSE_EEENSF_IJSE_SE_EEES9_SG_JZNS1_25segmented_radix_sort_implINS0_14default_configELb1EPKbPbPKlPlN2at6native12_GLOBAL__N_18offset_tEEE10hipError_tPvRmT1_PNSt15iterator_traitsISY_E10value_typeET2_T3_PNSZ_IS14_E10value_typeET4_jRbjT5_S1A_jjP12ihipStream_tbEUljE_EEESV_SW_SX_S14_S18_S1A_T6_T7_T9_mT8_S1C_bDpT10_ENKUlT_T0_E_clISt17integral_constantIbLb0EES1O_IbLb1EEEEDaS1K_S1L_EUlS1K_E_NS1_11comp_targetILNS1_3genE0ELNS1_11target_archE4294967295ELNS1_3gpuE0ELNS1_3repE0EEENS1_30default_config_static_selectorELNS0_4arch9wavefront6targetE0EEEvSY_
    .private_segment_fixed_size: 0
    .sgpr_count:     0
    .sgpr_spill_count: 0
    .symbol:         _ZN7rocprim17ROCPRIM_400000_NS6detail17trampoline_kernelINS0_13select_configILj256ELj13ELNS0_17block_load_methodE3ELS4_3ELS4_3ELNS0_20block_scan_algorithmE0ELj4294967295EEENS1_25partition_config_selectorILNS1_17partition_subalgoE3EjNS0_10empty_typeEbEEZZNS1_14partition_implILS8_3ELb0ES6_jNS0_17counting_iteratorIjlEEPS9_SE_NS0_5tupleIJPjSE_EEENSF_IJSE_SE_EEES9_SG_JZNS1_25segmented_radix_sort_implINS0_14default_configELb1EPKbPbPKlPlN2at6native12_GLOBAL__N_18offset_tEEE10hipError_tPvRmT1_PNSt15iterator_traitsISY_E10value_typeET2_T3_PNSZ_IS14_E10value_typeET4_jRbjT5_S1A_jjP12ihipStream_tbEUljE_EEESV_SW_SX_S14_S18_S1A_T6_T7_T9_mT8_S1C_bDpT10_ENKUlT_T0_E_clISt17integral_constantIbLb0EES1O_IbLb1EEEEDaS1K_S1L_EUlS1K_E_NS1_11comp_targetILNS1_3genE0ELNS1_11target_archE4294967295ELNS1_3gpuE0ELNS1_3repE0EEENS1_30default_config_static_selectorELNS0_4arch9wavefront6targetE0EEEvSY_.kd
    .uniform_work_group_size: 1
    .uses_dynamic_stack: false
    .vgpr_count:     0
    .vgpr_spill_count: 0
    .wavefront_size: 32
    .workgroup_processor_mode: 1
  - .args:
      - .offset:         0
        .size:           152
        .value_kind:     by_value
    .group_segment_fixed_size: 0
    .kernarg_segment_align: 8
    .kernarg_segment_size: 152
    .language:       OpenCL C
    .language_version:
      - 2
      - 0
    .max_flat_workgroup_size: 256
    .name:           _ZN7rocprim17ROCPRIM_400000_NS6detail17trampoline_kernelINS0_13select_configILj256ELj13ELNS0_17block_load_methodE3ELS4_3ELS4_3ELNS0_20block_scan_algorithmE0ELj4294967295EEENS1_25partition_config_selectorILNS1_17partition_subalgoE3EjNS0_10empty_typeEbEEZZNS1_14partition_implILS8_3ELb0ES6_jNS0_17counting_iteratorIjlEEPS9_SE_NS0_5tupleIJPjSE_EEENSF_IJSE_SE_EEES9_SG_JZNS1_25segmented_radix_sort_implINS0_14default_configELb1EPKbPbPKlPlN2at6native12_GLOBAL__N_18offset_tEEE10hipError_tPvRmT1_PNSt15iterator_traitsISY_E10value_typeET2_T3_PNSZ_IS14_E10value_typeET4_jRbjT5_S1A_jjP12ihipStream_tbEUljE_EEESV_SW_SX_S14_S18_S1A_T6_T7_T9_mT8_S1C_bDpT10_ENKUlT_T0_E_clISt17integral_constantIbLb0EES1O_IbLb1EEEEDaS1K_S1L_EUlS1K_E_NS1_11comp_targetILNS1_3genE5ELNS1_11target_archE942ELNS1_3gpuE9ELNS1_3repE0EEENS1_30default_config_static_selectorELNS0_4arch9wavefront6targetE0EEEvSY_
    .private_segment_fixed_size: 0
    .sgpr_count:     0
    .sgpr_spill_count: 0
    .symbol:         _ZN7rocprim17ROCPRIM_400000_NS6detail17trampoline_kernelINS0_13select_configILj256ELj13ELNS0_17block_load_methodE3ELS4_3ELS4_3ELNS0_20block_scan_algorithmE0ELj4294967295EEENS1_25partition_config_selectorILNS1_17partition_subalgoE3EjNS0_10empty_typeEbEEZZNS1_14partition_implILS8_3ELb0ES6_jNS0_17counting_iteratorIjlEEPS9_SE_NS0_5tupleIJPjSE_EEENSF_IJSE_SE_EEES9_SG_JZNS1_25segmented_radix_sort_implINS0_14default_configELb1EPKbPbPKlPlN2at6native12_GLOBAL__N_18offset_tEEE10hipError_tPvRmT1_PNSt15iterator_traitsISY_E10value_typeET2_T3_PNSZ_IS14_E10value_typeET4_jRbjT5_S1A_jjP12ihipStream_tbEUljE_EEESV_SW_SX_S14_S18_S1A_T6_T7_T9_mT8_S1C_bDpT10_ENKUlT_T0_E_clISt17integral_constantIbLb0EES1O_IbLb1EEEEDaS1K_S1L_EUlS1K_E_NS1_11comp_targetILNS1_3genE5ELNS1_11target_archE942ELNS1_3gpuE9ELNS1_3repE0EEENS1_30default_config_static_selectorELNS0_4arch9wavefront6targetE0EEEvSY_.kd
    .uniform_work_group_size: 1
    .uses_dynamic_stack: false
    .vgpr_count:     0
    .vgpr_spill_count: 0
    .wavefront_size: 32
    .workgroup_processor_mode: 1
  - .args:
      - .offset:         0
        .size:           152
        .value_kind:     by_value
    .group_segment_fixed_size: 0
    .kernarg_segment_align: 8
    .kernarg_segment_size: 152
    .language:       OpenCL C
    .language_version:
      - 2
      - 0
    .max_flat_workgroup_size: 256
    .name:           _ZN7rocprim17ROCPRIM_400000_NS6detail17trampoline_kernelINS0_13select_configILj256ELj13ELNS0_17block_load_methodE3ELS4_3ELS4_3ELNS0_20block_scan_algorithmE0ELj4294967295EEENS1_25partition_config_selectorILNS1_17partition_subalgoE3EjNS0_10empty_typeEbEEZZNS1_14partition_implILS8_3ELb0ES6_jNS0_17counting_iteratorIjlEEPS9_SE_NS0_5tupleIJPjSE_EEENSF_IJSE_SE_EEES9_SG_JZNS1_25segmented_radix_sort_implINS0_14default_configELb1EPKbPbPKlPlN2at6native12_GLOBAL__N_18offset_tEEE10hipError_tPvRmT1_PNSt15iterator_traitsISY_E10value_typeET2_T3_PNSZ_IS14_E10value_typeET4_jRbjT5_S1A_jjP12ihipStream_tbEUljE_EEESV_SW_SX_S14_S18_S1A_T6_T7_T9_mT8_S1C_bDpT10_ENKUlT_T0_E_clISt17integral_constantIbLb0EES1O_IbLb1EEEEDaS1K_S1L_EUlS1K_E_NS1_11comp_targetILNS1_3genE4ELNS1_11target_archE910ELNS1_3gpuE8ELNS1_3repE0EEENS1_30default_config_static_selectorELNS0_4arch9wavefront6targetE0EEEvSY_
    .private_segment_fixed_size: 0
    .sgpr_count:     0
    .sgpr_spill_count: 0
    .symbol:         _ZN7rocprim17ROCPRIM_400000_NS6detail17trampoline_kernelINS0_13select_configILj256ELj13ELNS0_17block_load_methodE3ELS4_3ELS4_3ELNS0_20block_scan_algorithmE0ELj4294967295EEENS1_25partition_config_selectorILNS1_17partition_subalgoE3EjNS0_10empty_typeEbEEZZNS1_14partition_implILS8_3ELb0ES6_jNS0_17counting_iteratorIjlEEPS9_SE_NS0_5tupleIJPjSE_EEENSF_IJSE_SE_EEES9_SG_JZNS1_25segmented_radix_sort_implINS0_14default_configELb1EPKbPbPKlPlN2at6native12_GLOBAL__N_18offset_tEEE10hipError_tPvRmT1_PNSt15iterator_traitsISY_E10value_typeET2_T3_PNSZ_IS14_E10value_typeET4_jRbjT5_S1A_jjP12ihipStream_tbEUljE_EEESV_SW_SX_S14_S18_S1A_T6_T7_T9_mT8_S1C_bDpT10_ENKUlT_T0_E_clISt17integral_constantIbLb0EES1O_IbLb1EEEEDaS1K_S1L_EUlS1K_E_NS1_11comp_targetILNS1_3genE4ELNS1_11target_archE910ELNS1_3gpuE8ELNS1_3repE0EEENS1_30default_config_static_selectorELNS0_4arch9wavefront6targetE0EEEvSY_.kd
    .uniform_work_group_size: 1
    .uses_dynamic_stack: false
    .vgpr_count:     0
    .vgpr_spill_count: 0
    .wavefront_size: 32
    .workgroup_processor_mode: 1
  - .args:
      - .offset:         0
        .size:           152
        .value_kind:     by_value
    .group_segment_fixed_size: 0
    .kernarg_segment_align: 8
    .kernarg_segment_size: 152
    .language:       OpenCL C
    .language_version:
      - 2
      - 0
    .max_flat_workgroup_size: 256
    .name:           _ZN7rocprim17ROCPRIM_400000_NS6detail17trampoline_kernelINS0_13select_configILj256ELj13ELNS0_17block_load_methodE3ELS4_3ELS4_3ELNS0_20block_scan_algorithmE0ELj4294967295EEENS1_25partition_config_selectorILNS1_17partition_subalgoE3EjNS0_10empty_typeEbEEZZNS1_14partition_implILS8_3ELb0ES6_jNS0_17counting_iteratorIjlEEPS9_SE_NS0_5tupleIJPjSE_EEENSF_IJSE_SE_EEES9_SG_JZNS1_25segmented_radix_sort_implINS0_14default_configELb1EPKbPbPKlPlN2at6native12_GLOBAL__N_18offset_tEEE10hipError_tPvRmT1_PNSt15iterator_traitsISY_E10value_typeET2_T3_PNSZ_IS14_E10value_typeET4_jRbjT5_S1A_jjP12ihipStream_tbEUljE_EEESV_SW_SX_S14_S18_S1A_T6_T7_T9_mT8_S1C_bDpT10_ENKUlT_T0_E_clISt17integral_constantIbLb0EES1O_IbLb1EEEEDaS1K_S1L_EUlS1K_E_NS1_11comp_targetILNS1_3genE3ELNS1_11target_archE908ELNS1_3gpuE7ELNS1_3repE0EEENS1_30default_config_static_selectorELNS0_4arch9wavefront6targetE0EEEvSY_
    .private_segment_fixed_size: 0
    .sgpr_count:     0
    .sgpr_spill_count: 0
    .symbol:         _ZN7rocprim17ROCPRIM_400000_NS6detail17trampoline_kernelINS0_13select_configILj256ELj13ELNS0_17block_load_methodE3ELS4_3ELS4_3ELNS0_20block_scan_algorithmE0ELj4294967295EEENS1_25partition_config_selectorILNS1_17partition_subalgoE3EjNS0_10empty_typeEbEEZZNS1_14partition_implILS8_3ELb0ES6_jNS0_17counting_iteratorIjlEEPS9_SE_NS0_5tupleIJPjSE_EEENSF_IJSE_SE_EEES9_SG_JZNS1_25segmented_radix_sort_implINS0_14default_configELb1EPKbPbPKlPlN2at6native12_GLOBAL__N_18offset_tEEE10hipError_tPvRmT1_PNSt15iterator_traitsISY_E10value_typeET2_T3_PNSZ_IS14_E10value_typeET4_jRbjT5_S1A_jjP12ihipStream_tbEUljE_EEESV_SW_SX_S14_S18_S1A_T6_T7_T9_mT8_S1C_bDpT10_ENKUlT_T0_E_clISt17integral_constantIbLb0EES1O_IbLb1EEEEDaS1K_S1L_EUlS1K_E_NS1_11comp_targetILNS1_3genE3ELNS1_11target_archE908ELNS1_3gpuE7ELNS1_3repE0EEENS1_30default_config_static_selectorELNS0_4arch9wavefront6targetE0EEEvSY_.kd
    .uniform_work_group_size: 1
    .uses_dynamic_stack: false
    .vgpr_count:     0
    .vgpr_spill_count: 0
    .wavefront_size: 32
    .workgroup_processor_mode: 1
  - .args:
      - .offset:         0
        .size:           152
        .value_kind:     by_value
    .group_segment_fixed_size: 0
    .kernarg_segment_align: 8
    .kernarg_segment_size: 152
    .language:       OpenCL C
    .language_version:
      - 2
      - 0
    .max_flat_workgroup_size: 256
    .name:           _ZN7rocprim17ROCPRIM_400000_NS6detail17trampoline_kernelINS0_13select_configILj256ELj13ELNS0_17block_load_methodE3ELS4_3ELS4_3ELNS0_20block_scan_algorithmE0ELj4294967295EEENS1_25partition_config_selectorILNS1_17partition_subalgoE3EjNS0_10empty_typeEbEEZZNS1_14partition_implILS8_3ELb0ES6_jNS0_17counting_iteratorIjlEEPS9_SE_NS0_5tupleIJPjSE_EEENSF_IJSE_SE_EEES9_SG_JZNS1_25segmented_radix_sort_implINS0_14default_configELb1EPKbPbPKlPlN2at6native12_GLOBAL__N_18offset_tEEE10hipError_tPvRmT1_PNSt15iterator_traitsISY_E10value_typeET2_T3_PNSZ_IS14_E10value_typeET4_jRbjT5_S1A_jjP12ihipStream_tbEUljE_EEESV_SW_SX_S14_S18_S1A_T6_T7_T9_mT8_S1C_bDpT10_ENKUlT_T0_E_clISt17integral_constantIbLb0EES1O_IbLb1EEEEDaS1K_S1L_EUlS1K_E_NS1_11comp_targetILNS1_3genE2ELNS1_11target_archE906ELNS1_3gpuE6ELNS1_3repE0EEENS1_30default_config_static_selectorELNS0_4arch9wavefront6targetE0EEEvSY_
    .private_segment_fixed_size: 0
    .sgpr_count:     0
    .sgpr_spill_count: 0
    .symbol:         _ZN7rocprim17ROCPRIM_400000_NS6detail17trampoline_kernelINS0_13select_configILj256ELj13ELNS0_17block_load_methodE3ELS4_3ELS4_3ELNS0_20block_scan_algorithmE0ELj4294967295EEENS1_25partition_config_selectorILNS1_17partition_subalgoE3EjNS0_10empty_typeEbEEZZNS1_14partition_implILS8_3ELb0ES6_jNS0_17counting_iteratorIjlEEPS9_SE_NS0_5tupleIJPjSE_EEENSF_IJSE_SE_EEES9_SG_JZNS1_25segmented_radix_sort_implINS0_14default_configELb1EPKbPbPKlPlN2at6native12_GLOBAL__N_18offset_tEEE10hipError_tPvRmT1_PNSt15iterator_traitsISY_E10value_typeET2_T3_PNSZ_IS14_E10value_typeET4_jRbjT5_S1A_jjP12ihipStream_tbEUljE_EEESV_SW_SX_S14_S18_S1A_T6_T7_T9_mT8_S1C_bDpT10_ENKUlT_T0_E_clISt17integral_constantIbLb0EES1O_IbLb1EEEEDaS1K_S1L_EUlS1K_E_NS1_11comp_targetILNS1_3genE2ELNS1_11target_archE906ELNS1_3gpuE6ELNS1_3repE0EEENS1_30default_config_static_selectorELNS0_4arch9wavefront6targetE0EEEvSY_.kd
    .uniform_work_group_size: 1
    .uses_dynamic_stack: false
    .vgpr_count:     0
    .vgpr_spill_count: 0
    .wavefront_size: 32
    .workgroup_processor_mode: 1
  - .args:
      - .offset:         0
        .size:           152
        .value_kind:     by_value
    .group_segment_fixed_size: 13320
    .kernarg_segment_align: 8
    .kernarg_segment_size: 152
    .language:       OpenCL C
    .language_version:
      - 2
      - 0
    .max_flat_workgroup_size: 256
    .name:           _ZN7rocprim17ROCPRIM_400000_NS6detail17trampoline_kernelINS0_13select_configILj256ELj13ELNS0_17block_load_methodE3ELS4_3ELS4_3ELNS0_20block_scan_algorithmE0ELj4294967295EEENS1_25partition_config_selectorILNS1_17partition_subalgoE3EjNS0_10empty_typeEbEEZZNS1_14partition_implILS8_3ELb0ES6_jNS0_17counting_iteratorIjlEEPS9_SE_NS0_5tupleIJPjSE_EEENSF_IJSE_SE_EEES9_SG_JZNS1_25segmented_radix_sort_implINS0_14default_configELb1EPKbPbPKlPlN2at6native12_GLOBAL__N_18offset_tEEE10hipError_tPvRmT1_PNSt15iterator_traitsISY_E10value_typeET2_T3_PNSZ_IS14_E10value_typeET4_jRbjT5_S1A_jjP12ihipStream_tbEUljE_EEESV_SW_SX_S14_S18_S1A_T6_T7_T9_mT8_S1C_bDpT10_ENKUlT_T0_E_clISt17integral_constantIbLb0EES1O_IbLb1EEEEDaS1K_S1L_EUlS1K_E_NS1_11comp_targetILNS1_3genE10ELNS1_11target_archE1200ELNS1_3gpuE4ELNS1_3repE0EEENS1_30default_config_static_selectorELNS0_4arch9wavefront6targetE0EEEvSY_
    .private_segment_fixed_size: 0
    .sgpr_count:     28
    .sgpr_spill_count: 0
    .symbol:         _ZN7rocprim17ROCPRIM_400000_NS6detail17trampoline_kernelINS0_13select_configILj256ELj13ELNS0_17block_load_methodE3ELS4_3ELS4_3ELNS0_20block_scan_algorithmE0ELj4294967295EEENS1_25partition_config_selectorILNS1_17partition_subalgoE3EjNS0_10empty_typeEbEEZZNS1_14partition_implILS8_3ELb0ES6_jNS0_17counting_iteratorIjlEEPS9_SE_NS0_5tupleIJPjSE_EEENSF_IJSE_SE_EEES9_SG_JZNS1_25segmented_radix_sort_implINS0_14default_configELb1EPKbPbPKlPlN2at6native12_GLOBAL__N_18offset_tEEE10hipError_tPvRmT1_PNSt15iterator_traitsISY_E10value_typeET2_T3_PNSZ_IS14_E10value_typeET4_jRbjT5_S1A_jjP12ihipStream_tbEUljE_EEESV_SW_SX_S14_S18_S1A_T6_T7_T9_mT8_S1C_bDpT10_ENKUlT_T0_E_clISt17integral_constantIbLb0EES1O_IbLb1EEEEDaS1K_S1L_EUlS1K_E_NS1_11comp_targetILNS1_3genE10ELNS1_11target_archE1200ELNS1_3gpuE4ELNS1_3repE0EEENS1_30default_config_static_selectorELNS0_4arch9wavefront6targetE0EEEvSY_.kd
    .uniform_work_group_size: 1
    .uses_dynamic_stack: false
    .vgpr_count:     71
    .vgpr_spill_count: 0
    .wavefront_size: 32
    .workgroup_processor_mode: 1
  - .args:
      - .offset:         0
        .size:           152
        .value_kind:     by_value
    .group_segment_fixed_size: 0
    .kernarg_segment_align: 8
    .kernarg_segment_size: 152
    .language:       OpenCL C
    .language_version:
      - 2
      - 0
    .max_flat_workgroup_size: 256
    .name:           _ZN7rocprim17ROCPRIM_400000_NS6detail17trampoline_kernelINS0_13select_configILj256ELj13ELNS0_17block_load_methodE3ELS4_3ELS4_3ELNS0_20block_scan_algorithmE0ELj4294967295EEENS1_25partition_config_selectorILNS1_17partition_subalgoE3EjNS0_10empty_typeEbEEZZNS1_14partition_implILS8_3ELb0ES6_jNS0_17counting_iteratorIjlEEPS9_SE_NS0_5tupleIJPjSE_EEENSF_IJSE_SE_EEES9_SG_JZNS1_25segmented_radix_sort_implINS0_14default_configELb1EPKbPbPKlPlN2at6native12_GLOBAL__N_18offset_tEEE10hipError_tPvRmT1_PNSt15iterator_traitsISY_E10value_typeET2_T3_PNSZ_IS14_E10value_typeET4_jRbjT5_S1A_jjP12ihipStream_tbEUljE_EEESV_SW_SX_S14_S18_S1A_T6_T7_T9_mT8_S1C_bDpT10_ENKUlT_T0_E_clISt17integral_constantIbLb0EES1O_IbLb1EEEEDaS1K_S1L_EUlS1K_E_NS1_11comp_targetILNS1_3genE9ELNS1_11target_archE1100ELNS1_3gpuE3ELNS1_3repE0EEENS1_30default_config_static_selectorELNS0_4arch9wavefront6targetE0EEEvSY_
    .private_segment_fixed_size: 0
    .sgpr_count:     0
    .sgpr_spill_count: 0
    .symbol:         _ZN7rocprim17ROCPRIM_400000_NS6detail17trampoline_kernelINS0_13select_configILj256ELj13ELNS0_17block_load_methodE3ELS4_3ELS4_3ELNS0_20block_scan_algorithmE0ELj4294967295EEENS1_25partition_config_selectorILNS1_17partition_subalgoE3EjNS0_10empty_typeEbEEZZNS1_14partition_implILS8_3ELb0ES6_jNS0_17counting_iteratorIjlEEPS9_SE_NS0_5tupleIJPjSE_EEENSF_IJSE_SE_EEES9_SG_JZNS1_25segmented_radix_sort_implINS0_14default_configELb1EPKbPbPKlPlN2at6native12_GLOBAL__N_18offset_tEEE10hipError_tPvRmT1_PNSt15iterator_traitsISY_E10value_typeET2_T3_PNSZ_IS14_E10value_typeET4_jRbjT5_S1A_jjP12ihipStream_tbEUljE_EEESV_SW_SX_S14_S18_S1A_T6_T7_T9_mT8_S1C_bDpT10_ENKUlT_T0_E_clISt17integral_constantIbLb0EES1O_IbLb1EEEEDaS1K_S1L_EUlS1K_E_NS1_11comp_targetILNS1_3genE9ELNS1_11target_archE1100ELNS1_3gpuE3ELNS1_3repE0EEENS1_30default_config_static_selectorELNS0_4arch9wavefront6targetE0EEEvSY_.kd
    .uniform_work_group_size: 1
    .uses_dynamic_stack: false
    .vgpr_count:     0
    .vgpr_spill_count: 0
    .wavefront_size: 32
    .workgroup_processor_mode: 1
  - .args:
      - .offset:         0
        .size:           152
        .value_kind:     by_value
    .group_segment_fixed_size: 0
    .kernarg_segment_align: 8
    .kernarg_segment_size: 152
    .language:       OpenCL C
    .language_version:
      - 2
      - 0
    .max_flat_workgroup_size: 256
    .name:           _ZN7rocprim17ROCPRIM_400000_NS6detail17trampoline_kernelINS0_13select_configILj256ELj13ELNS0_17block_load_methodE3ELS4_3ELS4_3ELNS0_20block_scan_algorithmE0ELj4294967295EEENS1_25partition_config_selectorILNS1_17partition_subalgoE3EjNS0_10empty_typeEbEEZZNS1_14partition_implILS8_3ELb0ES6_jNS0_17counting_iteratorIjlEEPS9_SE_NS0_5tupleIJPjSE_EEENSF_IJSE_SE_EEES9_SG_JZNS1_25segmented_radix_sort_implINS0_14default_configELb1EPKbPbPKlPlN2at6native12_GLOBAL__N_18offset_tEEE10hipError_tPvRmT1_PNSt15iterator_traitsISY_E10value_typeET2_T3_PNSZ_IS14_E10value_typeET4_jRbjT5_S1A_jjP12ihipStream_tbEUljE_EEESV_SW_SX_S14_S18_S1A_T6_T7_T9_mT8_S1C_bDpT10_ENKUlT_T0_E_clISt17integral_constantIbLb0EES1O_IbLb1EEEEDaS1K_S1L_EUlS1K_E_NS1_11comp_targetILNS1_3genE8ELNS1_11target_archE1030ELNS1_3gpuE2ELNS1_3repE0EEENS1_30default_config_static_selectorELNS0_4arch9wavefront6targetE0EEEvSY_
    .private_segment_fixed_size: 0
    .sgpr_count:     0
    .sgpr_spill_count: 0
    .symbol:         _ZN7rocprim17ROCPRIM_400000_NS6detail17trampoline_kernelINS0_13select_configILj256ELj13ELNS0_17block_load_methodE3ELS4_3ELS4_3ELNS0_20block_scan_algorithmE0ELj4294967295EEENS1_25partition_config_selectorILNS1_17partition_subalgoE3EjNS0_10empty_typeEbEEZZNS1_14partition_implILS8_3ELb0ES6_jNS0_17counting_iteratorIjlEEPS9_SE_NS0_5tupleIJPjSE_EEENSF_IJSE_SE_EEES9_SG_JZNS1_25segmented_radix_sort_implINS0_14default_configELb1EPKbPbPKlPlN2at6native12_GLOBAL__N_18offset_tEEE10hipError_tPvRmT1_PNSt15iterator_traitsISY_E10value_typeET2_T3_PNSZ_IS14_E10value_typeET4_jRbjT5_S1A_jjP12ihipStream_tbEUljE_EEESV_SW_SX_S14_S18_S1A_T6_T7_T9_mT8_S1C_bDpT10_ENKUlT_T0_E_clISt17integral_constantIbLb0EES1O_IbLb1EEEEDaS1K_S1L_EUlS1K_E_NS1_11comp_targetILNS1_3genE8ELNS1_11target_archE1030ELNS1_3gpuE2ELNS1_3repE0EEENS1_30default_config_static_selectorELNS0_4arch9wavefront6targetE0EEEvSY_.kd
    .uniform_work_group_size: 1
    .uses_dynamic_stack: false
    .vgpr_count:     0
    .vgpr_spill_count: 0
    .wavefront_size: 32
    .workgroup_processor_mode: 1
  - .args:
      - .offset:         0
        .size:           96
        .value_kind:     by_value
    .group_segment_fixed_size: 0
    .kernarg_segment_align: 8
    .kernarg_segment_size: 96
    .language:       OpenCL C
    .language_version:
      - 2
      - 0
    .max_flat_workgroup_size: 256
    .name:           _ZN7rocprim17ROCPRIM_400000_NS6detail17trampoline_kernelINS0_14default_configENS1_36segmented_radix_sort_config_selectorIblEEZNS1_25segmented_radix_sort_implIS3_Lb1EPKbPbPKlPlN2at6native12_GLOBAL__N_18offset_tEEE10hipError_tPvRmT1_PNSt15iterator_traitsISK_E10value_typeET2_T3_PNSL_ISQ_E10value_typeET4_jRbjT5_SW_jjP12ihipStream_tbEUlT_E_NS1_11comp_targetILNS1_3genE0ELNS1_11target_archE4294967295ELNS1_3gpuE0ELNS1_3repE0EEENS1_30default_config_static_selectorELNS0_4arch9wavefront6targetE0EEEvSK_
    .private_segment_fixed_size: 0
    .sgpr_count:     0
    .sgpr_spill_count: 0
    .symbol:         _ZN7rocprim17ROCPRIM_400000_NS6detail17trampoline_kernelINS0_14default_configENS1_36segmented_radix_sort_config_selectorIblEEZNS1_25segmented_radix_sort_implIS3_Lb1EPKbPbPKlPlN2at6native12_GLOBAL__N_18offset_tEEE10hipError_tPvRmT1_PNSt15iterator_traitsISK_E10value_typeET2_T3_PNSL_ISQ_E10value_typeET4_jRbjT5_SW_jjP12ihipStream_tbEUlT_E_NS1_11comp_targetILNS1_3genE0ELNS1_11target_archE4294967295ELNS1_3gpuE0ELNS1_3repE0EEENS1_30default_config_static_selectorELNS0_4arch9wavefront6targetE0EEEvSK_.kd
    .uniform_work_group_size: 1
    .uses_dynamic_stack: false
    .vgpr_count:     0
    .vgpr_spill_count: 0
    .wavefront_size: 32
    .workgroup_processor_mode: 1
  - .args:
      - .offset:         0
        .size:           96
        .value_kind:     by_value
    .group_segment_fixed_size: 0
    .kernarg_segment_align: 8
    .kernarg_segment_size: 96
    .language:       OpenCL C
    .language_version:
      - 2
      - 0
    .max_flat_workgroup_size: 256
    .name:           _ZN7rocprim17ROCPRIM_400000_NS6detail17trampoline_kernelINS0_14default_configENS1_36segmented_radix_sort_config_selectorIblEEZNS1_25segmented_radix_sort_implIS3_Lb1EPKbPbPKlPlN2at6native12_GLOBAL__N_18offset_tEEE10hipError_tPvRmT1_PNSt15iterator_traitsISK_E10value_typeET2_T3_PNSL_ISQ_E10value_typeET4_jRbjT5_SW_jjP12ihipStream_tbEUlT_E_NS1_11comp_targetILNS1_3genE5ELNS1_11target_archE942ELNS1_3gpuE9ELNS1_3repE0EEENS1_30default_config_static_selectorELNS0_4arch9wavefront6targetE0EEEvSK_
    .private_segment_fixed_size: 0
    .sgpr_count:     0
    .sgpr_spill_count: 0
    .symbol:         _ZN7rocprim17ROCPRIM_400000_NS6detail17trampoline_kernelINS0_14default_configENS1_36segmented_radix_sort_config_selectorIblEEZNS1_25segmented_radix_sort_implIS3_Lb1EPKbPbPKlPlN2at6native12_GLOBAL__N_18offset_tEEE10hipError_tPvRmT1_PNSt15iterator_traitsISK_E10value_typeET2_T3_PNSL_ISQ_E10value_typeET4_jRbjT5_SW_jjP12ihipStream_tbEUlT_E_NS1_11comp_targetILNS1_3genE5ELNS1_11target_archE942ELNS1_3gpuE9ELNS1_3repE0EEENS1_30default_config_static_selectorELNS0_4arch9wavefront6targetE0EEEvSK_.kd
    .uniform_work_group_size: 1
    .uses_dynamic_stack: false
    .vgpr_count:     0
    .vgpr_spill_count: 0
    .wavefront_size: 32
    .workgroup_processor_mode: 1
  - .args:
      - .offset:         0
        .size:           96
        .value_kind:     by_value
    .group_segment_fixed_size: 0
    .kernarg_segment_align: 8
    .kernarg_segment_size: 96
    .language:       OpenCL C
    .language_version:
      - 2
      - 0
    .max_flat_workgroup_size: 256
    .name:           _ZN7rocprim17ROCPRIM_400000_NS6detail17trampoline_kernelINS0_14default_configENS1_36segmented_radix_sort_config_selectorIblEEZNS1_25segmented_radix_sort_implIS3_Lb1EPKbPbPKlPlN2at6native12_GLOBAL__N_18offset_tEEE10hipError_tPvRmT1_PNSt15iterator_traitsISK_E10value_typeET2_T3_PNSL_ISQ_E10value_typeET4_jRbjT5_SW_jjP12ihipStream_tbEUlT_E_NS1_11comp_targetILNS1_3genE4ELNS1_11target_archE910ELNS1_3gpuE8ELNS1_3repE0EEENS1_30default_config_static_selectorELNS0_4arch9wavefront6targetE0EEEvSK_
    .private_segment_fixed_size: 0
    .sgpr_count:     0
    .sgpr_spill_count: 0
    .symbol:         _ZN7rocprim17ROCPRIM_400000_NS6detail17trampoline_kernelINS0_14default_configENS1_36segmented_radix_sort_config_selectorIblEEZNS1_25segmented_radix_sort_implIS3_Lb1EPKbPbPKlPlN2at6native12_GLOBAL__N_18offset_tEEE10hipError_tPvRmT1_PNSt15iterator_traitsISK_E10value_typeET2_T3_PNSL_ISQ_E10value_typeET4_jRbjT5_SW_jjP12ihipStream_tbEUlT_E_NS1_11comp_targetILNS1_3genE4ELNS1_11target_archE910ELNS1_3gpuE8ELNS1_3repE0EEENS1_30default_config_static_selectorELNS0_4arch9wavefront6targetE0EEEvSK_.kd
    .uniform_work_group_size: 1
    .uses_dynamic_stack: false
    .vgpr_count:     0
    .vgpr_spill_count: 0
    .wavefront_size: 32
    .workgroup_processor_mode: 1
  - .args:
      - .offset:         0
        .size:           96
        .value_kind:     by_value
    .group_segment_fixed_size: 0
    .kernarg_segment_align: 8
    .kernarg_segment_size: 96
    .language:       OpenCL C
    .language_version:
      - 2
      - 0
    .max_flat_workgroup_size: 256
    .name:           _ZN7rocprim17ROCPRIM_400000_NS6detail17trampoline_kernelINS0_14default_configENS1_36segmented_radix_sort_config_selectorIblEEZNS1_25segmented_radix_sort_implIS3_Lb1EPKbPbPKlPlN2at6native12_GLOBAL__N_18offset_tEEE10hipError_tPvRmT1_PNSt15iterator_traitsISK_E10value_typeET2_T3_PNSL_ISQ_E10value_typeET4_jRbjT5_SW_jjP12ihipStream_tbEUlT_E_NS1_11comp_targetILNS1_3genE3ELNS1_11target_archE908ELNS1_3gpuE7ELNS1_3repE0EEENS1_30default_config_static_selectorELNS0_4arch9wavefront6targetE0EEEvSK_
    .private_segment_fixed_size: 0
    .sgpr_count:     0
    .sgpr_spill_count: 0
    .symbol:         _ZN7rocprim17ROCPRIM_400000_NS6detail17trampoline_kernelINS0_14default_configENS1_36segmented_radix_sort_config_selectorIblEEZNS1_25segmented_radix_sort_implIS3_Lb1EPKbPbPKlPlN2at6native12_GLOBAL__N_18offset_tEEE10hipError_tPvRmT1_PNSt15iterator_traitsISK_E10value_typeET2_T3_PNSL_ISQ_E10value_typeET4_jRbjT5_SW_jjP12ihipStream_tbEUlT_E_NS1_11comp_targetILNS1_3genE3ELNS1_11target_archE908ELNS1_3gpuE7ELNS1_3repE0EEENS1_30default_config_static_selectorELNS0_4arch9wavefront6targetE0EEEvSK_.kd
    .uniform_work_group_size: 1
    .uses_dynamic_stack: false
    .vgpr_count:     0
    .vgpr_spill_count: 0
    .wavefront_size: 32
    .workgroup_processor_mode: 1
  - .args:
      - .offset:         0
        .size:           96
        .value_kind:     by_value
    .group_segment_fixed_size: 0
    .kernarg_segment_align: 8
    .kernarg_segment_size: 96
    .language:       OpenCL C
    .language_version:
      - 2
      - 0
    .max_flat_workgroup_size: 256
    .name:           _ZN7rocprim17ROCPRIM_400000_NS6detail17trampoline_kernelINS0_14default_configENS1_36segmented_radix_sort_config_selectorIblEEZNS1_25segmented_radix_sort_implIS3_Lb1EPKbPbPKlPlN2at6native12_GLOBAL__N_18offset_tEEE10hipError_tPvRmT1_PNSt15iterator_traitsISK_E10value_typeET2_T3_PNSL_ISQ_E10value_typeET4_jRbjT5_SW_jjP12ihipStream_tbEUlT_E_NS1_11comp_targetILNS1_3genE2ELNS1_11target_archE906ELNS1_3gpuE6ELNS1_3repE0EEENS1_30default_config_static_selectorELNS0_4arch9wavefront6targetE0EEEvSK_
    .private_segment_fixed_size: 0
    .sgpr_count:     0
    .sgpr_spill_count: 0
    .symbol:         _ZN7rocprim17ROCPRIM_400000_NS6detail17trampoline_kernelINS0_14default_configENS1_36segmented_radix_sort_config_selectorIblEEZNS1_25segmented_radix_sort_implIS3_Lb1EPKbPbPKlPlN2at6native12_GLOBAL__N_18offset_tEEE10hipError_tPvRmT1_PNSt15iterator_traitsISK_E10value_typeET2_T3_PNSL_ISQ_E10value_typeET4_jRbjT5_SW_jjP12ihipStream_tbEUlT_E_NS1_11comp_targetILNS1_3genE2ELNS1_11target_archE906ELNS1_3gpuE6ELNS1_3repE0EEENS1_30default_config_static_selectorELNS0_4arch9wavefront6targetE0EEEvSK_.kd
    .uniform_work_group_size: 1
    .uses_dynamic_stack: false
    .vgpr_count:     0
    .vgpr_spill_count: 0
    .wavefront_size: 32
    .workgroup_processor_mode: 1
  - .args:
      - .offset:         0
        .size:           96
        .value_kind:     by_value
      - .offset:         96
        .size:           4
        .value_kind:     hidden_block_count_x
      - .offset:         100
        .size:           4
        .value_kind:     hidden_block_count_y
      - .offset:         104
        .size:           4
        .value_kind:     hidden_block_count_z
      - .offset:         108
        .size:           2
        .value_kind:     hidden_group_size_x
      - .offset:         110
        .size:           2
        .value_kind:     hidden_group_size_y
      - .offset:         112
        .size:           2
        .value_kind:     hidden_group_size_z
      - .offset:         114
        .size:           2
        .value_kind:     hidden_remainder_x
      - .offset:         116
        .size:           2
        .value_kind:     hidden_remainder_y
      - .offset:         118
        .size:           2
        .value_kind:     hidden_remainder_z
      - .offset:         136
        .size:           8
        .value_kind:     hidden_global_offset_x
      - .offset:         144
        .size:           8
        .value_kind:     hidden_global_offset_y
      - .offset:         152
        .size:           8
        .value_kind:     hidden_global_offset_z
      - .offset:         160
        .size:           2
        .value_kind:     hidden_grid_dims
    .group_segment_fixed_size: 17440
    .kernarg_segment_align: 8
    .kernarg_segment_size: 352
    .language:       OpenCL C
    .language_version:
      - 2
      - 0
    .max_flat_workgroup_size: 256
    .name:           _ZN7rocprim17ROCPRIM_400000_NS6detail17trampoline_kernelINS0_14default_configENS1_36segmented_radix_sort_config_selectorIblEEZNS1_25segmented_radix_sort_implIS3_Lb1EPKbPbPKlPlN2at6native12_GLOBAL__N_18offset_tEEE10hipError_tPvRmT1_PNSt15iterator_traitsISK_E10value_typeET2_T3_PNSL_ISQ_E10value_typeET4_jRbjT5_SW_jjP12ihipStream_tbEUlT_E_NS1_11comp_targetILNS1_3genE10ELNS1_11target_archE1201ELNS1_3gpuE5ELNS1_3repE0EEENS1_30default_config_static_selectorELNS0_4arch9wavefront6targetE0EEEvSK_
    .private_segment_fixed_size: 0
    .sgpr_count:     52
    .sgpr_spill_count: 0
    .symbol:         _ZN7rocprim17ROCPRIM_400000_NS6detail17trampoline_kernelINS0_14default_configENS1_36segmented_radix_sort_config_selectorIblEEZNS1_25segmented_radix_sort_implIS3_Lb1EPKbPbPKlPlN2at6native12_GLOBAL__N_18offset_tEEE10hipError_tPvRmT1_PNSt15iterator_traitsISK_E10value_typeET2_T3_PNSL_ISQ_E10value_typeET4_jRbjT5_SW_jjP12ihipStream_tbEUlT_E_NS1_11comp_targetILNS1_3genE10ELNS1_11target_archE1201ELNS1_3gpuE5ELNS1_3repE0EEENS1_30default_config_static_selectorELNS0_4arch9wavefront6targetE0EEEvSK_.kd
    .uniform_work_group_size: 1
    .uses_dynamic_stack: false
    .vgpr_count:     197
    .vgpr_spill_count: 0
    .wavefront_size: 32
    .workgroup_processor_mode: 1
  - .args:
      - .offset:         0
        .size:           96
        .value_kind:     by_value
    .group_segment_fixed_size: 0
    .kernarg_segment_align: 8
    .kernarg_segment_size: 96
    .language:       OpenCL C
    .language_version:
      - 2
      - 0
    .max_flat_workgroup_size: 128
    .name:           _ZN7rocprim17ROCPRIM_400000_NS6detail17trampoline_kernelINS0_14default_configENS1_36segmented_radix_sort_config_selectorIblEEZNS1_25segmented_radix_sort_implIS3_Lb1EPKbPbPKlPlN2at6native12_GLOBAL__N_18offset_tEEE10hipError_tPvRmT1_PNSt15iterator_traitsISK_E10value_typeET2_T3_PNSL_ISQ_E10value_typeET4_jRbjT5_SW_jjP12ihipStream_tbEUlT_E_NS1_11comp_targetILNS1_3genE10ELNS1_11target_archE1200ELNS1_3gpuE4ELNS1_3repE0EEENS1_30default_config_static_selectorELNS0_4arch9wavefront6targetE0EEEvSK_
    .private_segment_fixed_size: 0
    .sgpr_count:     0
    .sgpr_spill_count: 0
    .symbol:         _ZN7rocprim17ROCPRIM_400000_NS6detail17trampoline_kernelINS0_14default_configENS1_36segmented_radix_sort_config_selectorIblEEZNS1_25segmented_radix_sort_implIS3_Lb1EPKbPbPKlPlN2at6native12_GLOBAL__N_18offset_tEEE10hipError_tPvRmT1_PNSt15iterator_traitsISK_E10value_typeET2_T3_PNSL_ISQ_E10value_typeET4_jRbjT5_SW_jjP12ihipStream_tbEUlT_E_NS1_11comp_targetILNS1_3genE10ELNS1_11target_archE1200ELNS1_3gpuE4ELNS1_3repE0EEENS1_30default_config_static_selectorELNS0_4arch9wavefront6targetE0EEEvSK_.kd
    .uniform_work_group_size: 1
    .uses_dynamic_stack: false
    .vgpr_count:     0
    .vgpr_spill_count: 0
    .wavefront_size: 32
    .workgroup_processor_mode: 1
  - .args:
      - .offset:         0
        .size:           96
        .value_kind:     by_value
    .group_segment_fixed_size: 0
    .kernarg_segment_align: 8
    .kernarg_segment_size: 96
    .language:       OpenCL C
    .language_version:
      - 2
      - 0
    .max_flat_workgroup_size: 256
    .name:           _ZN7rocprim17ROCPRIM_400000_NS6detail17trampoline_kernelINS0_14default_configENS1_36segmented_radix_sort_config_selectorIblEEZNS1_25segmented_radix_sort_implIS3_Lb1EPKbPbPKlPlN2at6native12_GLOBAL__N_18offset_tEEE10hipError_tPvRmT1_PNSt15iterator_traitsISK_E10value_typeET2_T3_PNSL_ISQ_E10value_typeET4_jRbjT5_SW_jjP12ihipStream_tbEUlT_E_NS1_11comp_targetILNS1_3genE9ELNS1_11target_archE1100ELNS1_3gpuE3ELNS1_3repE0EEENS1_30default_config_static_selectorELNS0_4arch9wavefront6targetE0EEEvSK_
    .private_segment_fixed_size: 0
    .sgpr_count:     0
    .sgpr_spill_count: 0
    .symbol:         _ZN7rocprim17ROCPRIM_400000_NS6detail17trampoline_kernelINS0_14default_configENS1_36segmented_radix_sort_config_selectorIblEEZNS1_25segmented_radix_sort_implIS3_Lb1EPKbPbPKlPlN2at6native12_GLOBAL__N_18offset_tEEE10hipError_tPvRmT1_PNSt15iterator_traitsISK_E10value_typeET2_T3_PNSL_ISQ_E10value_typeET4_jRbjT5_SW_jjP12ihipStream_tbEUlT_E_NS1_11comp_targetILNS1_3genE9ELNS1_11target_archE1100ELNS1_3gpuE3ELNS1_3repE0EEENS1_30default_config_static_selectorELNS0_4arch9wavefront6targetE0EEEvSK_.kd
    .uniform_work_group_size: 1
    .uses_dynamic_stack: false
    .vgpr_count:     0
    .vgpr_spill_count: 0
    .wavefront_size: 32
    .workgroup_processor_mode: 1
  - .args:
      - .offset:         0
        .size:           96
        .value_kind:     by_value
    .group_segment_fixed_size: 0
    .kernarg_segment_align: 8
    .kernarg_segment_size: 96
    .language:       OpenCL C
    .language_version:
      - 2
      - 0
    .max_flat_workgroup_size: 256
    .name:           _ZN7rocprim17ROCPRIM_400000_NS6detail17trampoline_kernelINS0_14default_configENS1_36segmented_radix_sort_config_selectorIblEEZNS1_25segmented_radix_sort_implIS3_Lb1EPKbPbPKlPlN2at6native12_GLOBAL__N_18offset_tEEE10hipError_tPvRmT1_PNSt15iterator_traitsISK_E10value_typeET2_T3_PNSL_ISQ_E10value_typeET4_jRbjT5_SW_jjP12ihipStream_tbEUlT_E_NS1_11comp_targetILNS1_3genE8ELNS1_11target_archE1030ELNS1_3gpuE2ELNS1_3repE0EEENS1_30default_config_static_selectorELNS0_4arch9wavefront6targetE0EEEvSK_
    .private_segment_fixed_size: 0
    .sgpr_count:     0
    .sgpr_spill_count: 0
    .symbol:         _ZN7rocprim17ROCPRIM_400000_NS6detail17trampoline_kernelINS0_14default_configENS1_36segmented_radix_sort_config_selectorIblEEZNS1_25segmented_radix_sort_implIS3_Lb1EPKbPbPKlPlN2at6native12_GLOBAL__N_18offset_tEEE10hipError_tPvRmT1_PNSt15iterator_traitsISK_E10value_typeET2_T3_PNSL_ISQ_E10value_typeET4_jRbjT5_SW_jjP12ihipStream_tbEUlT_E_NS1_11comp_targetILNS1_3genE8ELNS1_11target_archE1030ELNS1_3gpuE2ELNS1_3repE0EEENS1_30default_config_static_selectorELNS0_4arch9wavefront6targetE0EEEvSK_.kd
    .uniform_work_group_size: 1
    .uses_dynamic_stack: false
    .vgpr_count:     0
    .vgpr_spill_count: 0
    .wavefront_size: 32
    .workgroup_processor_mode: 1
  - .args:
      - .offset:         0
        .size:           88
        .value_kind:     by_value
    .group_segment_fixed_size: 0
    .kernarg_segment_align: 8
    .kernarg_segment_size: 88
    .language:       OpenCL C
    .language_version:
      - 2
      - 0
    .max_flat_workgroup_size: 256
    .name:           _ZN7rocprim17ROCPRIM_400000_NS6detail17trampoline_kernelINS0_14default_configENS1_36segmented_radix_sort_config_selectorIblEEZNS1_25segmented_radix_sort_implIS3_Lb1EPKbPbPKlPlN2at6native12_GLOBAL__N_18offset_tEEE10hipError_tPvRmT1_PNSt15iterator_traitsISK_E10value_typeET2_T3_PNSL_ISQ_E10value_typeET4_jRbjT5_SW_jjP12ihipStream_tbEUlT_E0_NS1_11comp_targetILNS1_3genE0ELNS1_11target_archE4294967295ELNS1_3gpuE0ELNS1_3repE0EEENS1_60segmented_radix_sort_warp_sort_medium_config_static_selectorELNS0_4arch9wavefront6targetE0EEEvSK_
    .private_segment_fixed_size: 0
    .sgpr_count:     0
    .sgpr_spill_count: 0
    .symbol:         _ZN7rocprim17ROCPRIM_400000_NS6detail17trampoline_kernelINS0_14default_configENS1_36segmented_radix_sort_config_selectorIblEEZNS1_25segmented_radix_sort_implIS3_Lb1EPKbPbPKlPlN2at6native12_GLOBAL__N_18offset_tEEE10hipError_tPvRmT1_PNSt15iterator_traitsISK_E10value_typeET2_T3_PNSL_ISQ_E10value_typeET4_jRbjT5_SW_jjP12ihipStream_tbEUlT_E0_NS1_11comp_targetILNS1_3genE0ELNS1_11target_archE4294967295ELNS1_3gpuE0ELNS1_3repE0EEENS1_60segmented_radix_sort_warp_sort_medium_config_static_selectorELNS0_4arch9wavefront6targetE0EEEvSK_.kd
    .uniform_work_group_size: 1
    .uses_dynamic_stack: false
    .vgpr_count:     0
    .vgpr_spill_count: 0
    .wavefront_size: 32
    .workgroup_processor_mode: 1
  - .args:
      - .offset:         0
        .size:           88
        .value_kind:     by_value
    .group_segment_fixed_size: 0
    .kernarg_segment_align: 8
    .kernarg_segment_size: 88
    .language:       OpenCL C
    .language_version:
      - 2
      - 0
    .max_flat_workgroup_size: 256
    .name:           _ZN7rocprim17ROCPRIM_400000_NS6detail17trampoline_kernelINS0_14default_configENS1_36segmented_radix_sort_config_selectorIblEEZNS1_25segmented_radix_sort_implIS3_Lb1EPKbPbPKlPlN2at6native12_GLOBAL__N_18offset_tEEE10hipError_tPvRmT1_PNSt15iterator_traitsISK_E10value_typeET2_T3_PNSL_ISQ_E10value_typeET4_jRbjT5_SW_jjP12ihipStream_tbEUlT_E0_NS1_11comp_targetILNS1_3genE5ELNS1_11target_archE942ELNS1_3gpuE9ELNS1_3repE0EEENS1_60segmented_radix_sort_warp_sort_medium_config_static_selectorELNS0_4arch9wavefront6targetE0EEEvSK_
    .private_segment_fixed_size: 0
    .sgpr_count:     0
    .sgpr_spill_count: 0
    .symbol:         _ZN7rocprim17ROCPRIM_400000_NS6detail17trampoline_kernelINS0_14default_configENS1_36segmented_radix_sort_config_selectorIblEEZNS1_25segmented_radix_sort_implIS3_Lb1EPKbPbPKlPlN2at6native12_GLOBAL__N_18offset_tEEE10hipError_tPvRmT1_PNSt15iterator_traitsISK_E10value_typeET2_T3_PNSL_ISQ_E10value_typeET4_jRbjT5_SW_jjP12ihipStream_tbEUlT_E0_NS1_11comp_targetILNS1_3genE5ELNS1_11target_archE942ELNS1_3gpuE9ELNS1_3repE0EEENS1_60segmented_radix_sort_warp_sort_medium_config_static_selectorELNS0_4arch9wavefront6targetE0EEEvSK_.kd
    .uniform_work_group_size: 1
    .uses_dynamic_stack: false
    .vgpr_count:     0
    .vgpr_spill_count: 0
    .wavefront_size: 32
    .workgroup_processor_mode: 1
  - .args:
      - .offset:         0
        .size:           88
        .value_kind:     by_value
    .group_segment_fixed_size: 0
    .kernarg_segment_align: 8
    .kernarg_segment_size: 88
    .language:       OpenCL C
    .language_version:
      - 2
      - 0
    .max_flat_workgroup_size: 256
    .name:           _ZN7rocprim17ROCPRIM_400000_NS6detail17trampoline_kernelINS0_14default_configENS1_36segmented_radix_sort_config_selectorIblEEZNS1_25segmented_radix_sort_implIS3_Lb1EPKbPbPKlPlN2at6native12_GLOBAL__N_18offset_tEEE10hipError_tPvRmT1_PNSt15iterator_traitsISK_E10value_typeET2_T3_PNSL_ISQ_E10value_typeET4_jRbjT5_SW_jjP12ihipStream_tbEUlT_E0_NS1_11comp_targetILNS1_3genE4ELNS1_11target_archE910ELNS1_3gpuE8ELNS1_3repE0EEENS1_60segmented_radix_sort_warp_sort_medium_config_static_selectorELNS0_4arch9wavefront6targetE0EEEvSK_
    .private_segment_fixed_size: 0
    .sgpr_count:     0
    .sgpr_spill_count: 0
    .symbol:         _ZN7rocprim17ROCPRIM_400000_NS6detail17trampoline_kernelINS0_14default_configENS1_36segmented_radix_sort_config_selectorIblEEZNS1_25segmented_radix_sort_implIS3_Lb1EPKbPbPKlPlN2at6native12_GLOBAL__N_18offset_tEEE10hipError_tPvRmT1_PNSt15iterator_traitsISK_E10value_typeET2_T3_PNSL_ISQ_E10value_typeET4_jRbjT5_SW_jjP12ihipStream_tbEUlT_E0_NS1_11comp_targetILNS1_3genE4ELNS1_11target_archE910ELNS1_3gpuE8ELNS1_3repE0EEENS1_60segmented_radix_sort_warp_sort_medium_config_static_selectorELNS0_4arch9wavefront6targetE0EEEvSK_.kd
    .uniform_work_group_size: 1
    .uses_dynamic_stack: false
    .vgpr_count:     0
    .vgpr_spill_count: 0
    .wavefront_size: 32
    .workgroup_processor_mode: 1
  - .args:
      - .offset:         0
        .size:           88
        .value_kind:     by_value
    .group_segment_fixed_size: 0
    .kernarg_segment_align: 8
    .kernarg_segment_size: 88
    .language:       OpenCL C
    .language_version:
      - 2
      - 0
    .max_flat_workgroup_size: 256
    .name:           _ZN7rocprim17ROCPRIM_400000_NS6detail17trampoline_kernelINS0_14default_configENS1_36segmented_radix_sort_config_selectorIblEEZNS1_25segmented_radix_sort_implIS3_Lb1EPKbPbPKlPlN2at6native12_GLOBAL__N_18offset_tEEE10hipError_tPvRmT1_PNSt15iterator_traitsISK_E10value_typeET2_T3_PNSL_ISQ_E10value_typeET4_jRbjT5_SW_jjP12ihipStream_tbEUlT_E0_NS1_11comp_targetILNS1_3genE3ELNS1_11target_archE908ELNS1_3gpuE7ELNS1_3repE0EEENS1_60segmented_radix_sort_warp_sort_medium_config_static_selectorELNS0_4arch9wavefront6targetE0EEEvSK_
    .private_segment_fixed_size: 0
    .sgpr_count:     0
    .sgpr_spill_count: 0
    .symbol:         _ZN7rocprim17ROCPRIM_400000_NS6detail17trampoline_kernelINS0_14default_configENS1_36segmented_radix_sort_config_selectorIblEEZNS1_25segmented_radix_sort_implIS3_Lb1EPKbPbPKlPlN2at6native12_GLOBAL__N_18offset_tEEE10hipError_tPvRmT1_PNSt15iterator_traitsISK_E10value_typeET2_T3_PNSL_ISQ_E10value_typeET4_jRbjT5_SW_jjP12ihipStream_tbEUlT_E0_NS1_11comp_targetILNS1_3genE3ELNS1_11target_archE908ELNS1_3gpuE7ELNS1_3repE0EEENS1_60segmented_radix_sort_warp_sort_medium_config_static_selectorELNS0_4arch9wavefront6targetE0EEEvSK_.kd
    .uniform_work_group_size: 1
    .uses_dynamic_stack: false
    .vgpr_count:     0
    .vgpr_spill_count: 0
    .wavefront_size: 32
    .workgroup_processor_mode: 1
  - .args:
      - .offset:         0
        .size:           88
        .value_kind:     by_value
    .group_segment_fixed_size: 0
    .kernarg_segment_align: 8
    .kernarg_segment_size: 88
    .language:       OpenCL C
    .language_version:
      - 2
      - 0
    .max_flat_workgroup_size: 256
    .name:           _ZN7rocprim17ROCPRIM_400000_NS6detail17trampoline_kernelINS0_14default_configENS1_36segmented_radix_sort_config_selectorIblEEZNS1_25segmented_radix_sort_implIS3_Lb1EPKbPbPKlPlN2at6native12_GLOBAL__N_18offset_tEEE10hipError_tPvRmT1_PNSt15iterator_traitsISK_E10value_typeET2_T3_PNSL_ISQ_E10value_typeET4_jRbjT5_SW_jjP12ihipStream_tbEUlT_E0_NS1_11comp_targetILNS1_3genE2ELNS1_11target_archE906ELNS1_3gpuE6ELNS1_3repE0EEENS1_60segmented_radix_sort_warp_sort_medium_config_static_selectorELNS0_4arch9wavefront6targetE0EEEvSK_
    .private_segment_fixed_size: 0
    .sgpr_count:     0
    .sgpr_spill_count: 0
    .symbol:         _ZN7rocprim17ROCPRIM_400000_NS6detail17trampoline_kernelINS0_14default_configENS1_36segmented_radix_sort_config_selectorIblEEZNS1_25segmented_radix_sort_implIS3_Lb1EPKbPbPKlPlN2at6native12_GLOBAL__N_18offset_tEEE10hipError_tPvRmT1_PNSt15iterator_traitsISK_E10value_typeET2_T3_PNSL_ISQ_E10value_typeET4_jRbjT5_SW_jjP12ihipStream_tbEUlT_E0_NS1_11comp_targetILNS1_3genE2ELNS1_11target_archE906ELNS1_3gpuE6ELNS1_3repE0EEENS1_60segmented_radix_sort_warp_sort_medium_config_static_selectorELNS0_4arch9wavefront6targetE0EEEvSK_.kd
    .uniform_work_group_size: 1
    .uses_dynamic_stack: false
    .vgpr_count:     0
    .vgpr_spill_count: 0
    .wavefront_size: 32
    .workgroup_processor_mode: 1
  - .args:
      - .offset:         0
        .size:           88
        .value_kind:     by_value
      - .offset:         88
        .size:           4
        .value_kind:     hidden_block_count_x
      - .offset:         92
        .size:           4
        .value_kind:     hidden_block_count_y
      - .offset:         96
        .size:           4
        .value_kind:     hidden_block_count_z
      - .offset:         100
        .size:           2
        .value_kind:     hidden_group_size_x
      - .offset:         102
        .size:           2
        .value_kind:     hidden_group_size_y
      - .offset:         104
        .size:           2
        .value_kind:     hidden_group_size_z
      - .offset:         106
        .size:           2
        .value_kind:     hidden_remainder_x
      - .offset:         108
        .size:           2
        .value_kind:     hidden_remainder_y
      - .offset:         110
        .size:           2
        .value_kind:     hidden_remainder_z
      - .offset:         128
        .size:           8
        .value_kind:     hidden_global_offset_x
      - .offset:         136
        .size:           8
        .value_kind:     hidden_global_offset_y
      - .offset:         144
        .size:           8
        .value_kind:     hidden_global_offset_z
      - .offset:         152
        .size:           2
        .value_kind:     hidden_grid_dims
    .group_segment_fixed_size: 18432
    .kernarg_segment_align: 8
    .kernarg_segment_size: 344
    .language:       OpenCL C
    .language_version:
      - 2
      - 0
    .max_flat_workgroup_size: 256
    .name:           _ZN7rocprim17ROCPRIM_400000_NS6detail17trampoline_kernelINS0_14default_configENS1_36segmented_radix_sort_config_selectorIblEEZNS1_25segmented_radix_sort_implIS3_Lb1EPKbPbPKlPlN2at6native12_GLOBAL__N_18offset_tEEE10hipError_tPvRmT1_PNSt15iterator_traitsISK_E10value_typeET2_T3_PNSL_ISQ_E10value_typeET4_jRbjT5_SW_jjP12ihipStream_tbEUlT_E0_NS1_11comp_targetILNS1_3genE10ELNS1_11target_archE1201ELNS1_3gpuE5ELNS1_3repE0EEENS1_60segmented_radix_sort_warp_sort_medium_config_static_selectorELNS0_4arch9wavefront6targetE0EEEvSK_
    .private_segment_fixed_size: 12
    .sgpr_count:     46
    .sgpr_spill_count: 0
    .symbol:         _ZN7rocprim17ROCPRIM_400000_NS6detail17trampoline_kernelINS0_14default_configENS1_36segmented_radix_sort_config_selectorIblEEZNS1_25segmented_radix_sort_implIS3_Lb1EPKbPbPKlPlN2at6native12_GLOBAL__N_18offset_tEEE10hipError_tPvRmT1_PNSt15iterator_traitsISK_E10value_typeET2_T3_PNSL_ISQ_E10value_typeET4_jRbjT5_SW_jjP12ihipStream_tbEUlT_E0_NS1_11comp_targetILNS1_3genE10ELNS1_11target_archE1201ELNS1_3gpuE5ELNS1_3repE0EEENS1_60segmented_radix_sort_warp_sort_medium_config_static_selectorELNS0_4arch9wavefront6targetE0EEEvSK_.kd
    .uniform_work_group_size: 1
    .uses_dynamic_stack: false
    .vgpr_count:     71
    .vgpr_spill_count: 0
    .wavefront_size: 32
    .workgroup_processor_mode: 1
  - .args:
      - .offset:         0
        .size:           88
        .value_kind:     by_value
    .group_segment_fixed_size: 0
    .kernarg_segment_align: 8
    .kernarg_segment_size: 88
    .language:       OpenCL C
    .language_version:
      - 2
      - 0
    .max_flat_workgroup_size: 256
    .name:           _ZN7rocprim17ROCPRIM_400000_NS6detail17trampoline_kernelINS0_14default_configENS1_36segmented_radix_sort_config_selectorIblEEZNS1_25segmented_radix_sort_implIS3_Lb1EPKbPbPKlPlN2at6native12_GLOBAL__N_18offset_tEEE10hipError_tPvRmT1_PNSt15iterator_traitsISK_E10value_typeET2_T3_PNSL_ISQ_E10value_typeET4_jRbjT5_SW_jjP12ihipStream_tbEUlT_E0_NS1_11comp_targetILNS1_3genE10ELNS1_11target_archE1200ELNS1_3gpuE4ELNS1_3repE0EEENS1_60segmented_radix_sort_warp_sort_medium_config_static_selectorELNS0_4arch9wavefront6targetE0EEEvSK_
    .private_segment_fixed_size: 0
    .sgpr_count:     0
    .sgpr_spill_count: 0
    .symbol:         _ZN7rocprim17ROCPRIM_400000_NS6detail17trampoline_kernelINS0_14default_configENS1_36segmented_radix_sort_config_selectorIblEEZNS1_25segmented_radix_sort_implIS3_Lb1EPKbPbPKlPlN2at6native12_GLOBAL__N_18offset_tEEE10hipError_tPvRmT1_PNSt15iterator_traitsISK_E10value_typeET2_T3_PNSL_ISQ_E10value_typeET4_jRbjT5_SW_jjP12ihipStream_tbEUlT_E0_NS1_11comp_targetILNS1_3genE10ELNS1_11target_archE1200ELNS1_3gpuE4ELNS1_3repE0EEENS1_60segmented_radix_sort_warp_sort_medium_config_static_selectorELNS0_4arch9wavefront6targetE0EEEvSK_.kd
    .uniform_work_group_size: 1
    .uses_dynamic_stack: false
    .vgpr_count:     0
    .vgpr_spill_count: 0
    .wavefront_size: 32
    .workgroup_processor_mode: 1
  - .args:
      - .offset:         0
        .size:           88
        .value_kind:     by_value
    .group_segment_fixed_size: 0
    .kernarg_segment_align: 8
    .kernarg_segment_size: 88
    .language:       OpenCL C
    .language_version:
      - 2
      - 0
    .max_flat_workgroup_size: 256
    .name:           _ZN7rocprim17ROCPRIM_400000_NS6detail17trampoline_kernelINS0_14default_configENS1_36segmented_radix_sort_config_selectorIblEEZNS1_25segmented_radix_sort_implIS3_Lb1EPKbPbPKlPlN2at6native12_GLOBAL__N_18offset_tEEE10hipError_tPvRmT1_PNSt15iterator_traitsISK_E10value_typeET2_T3_PNSL_ISQ_E10value_typeET4_jRbjT5_SW_jjP12ihipStream_tbEUlT_E0_NS1_11comp_targetILNS1_3genE9ELNS1_11target_archE1100ELNS1_3gpuE3ELNS1_3repE0EEENS1_60segmented_radix_sort_warp_sort_medium_config_static_selectorELNS0_4arch9wavefront6targetE0EEEvSK_
    .private_segment_fixed_size: 0
    .sgpr_count:     0
    .sgpr_spill_count: 0
    .symbol:         _ZN7rocprim17ROCPRIM_400000_NS6detail17trampoline_kernelINS0_14default_configENS1_36segmented_radix_sort_config_selectorIblEEZNS1_25segmented_radix_sort_implIS3_Lb1EPKbPbPKlPlN2at6native12_GLOBAL__N_18offset_tEEE10hipError_tPvRmT1_PNSt15iterator_traitsISK_E10value_typeET2_T3_PNSL_ISQ_E10value_typeET4_jRbjT5_SW_jjP12ihipStream_tbEUlT_E0_NS1_11comp_targetILNS1_3genE9ELNS1_11target_archE1100ELNS1_3gpuE3ELNS1_3repE0EEENS1_60segmented_radix_sort_warp_sort_medium_config_static_selectorELNS0_4arch9wavefront6targetE0EEEvSK_.kd
    .uniform_work_group_size: 1
    .uses_dynamic_stack: false
    .vgpr_count:     0
    .vgpr_spill_count: 0
    .wavefront_size: 32
    .workgroup_processor_mode: 1
  - .args:
      - .offset:         0
        .size:           88
        .value_kind:     by_value
    .group_segment_fixed_size: 0
    .kernarg_segment_align: 8
    .kernarg_segment_size: 88
    .language:       OpenCL C
    .language_version:
      - 2
      - 0
    .max_flat_workgroup_size: 256
    .name:           _ZN7rocprim17ROCPRIM_400000_NS6detail17trampoline_kernelINS0_14default_configENS1_36segmented_radix_sort_config_selectorIblEEZNS1_25segmented_radix_sort_implIS3_Lb1EPKbPbPKlPlN2at6native12_GLOBAL__N_18offset_tEEE10hipError_tPvRmT1_PNSt15iterator_traitsISK_E10value_typeET2_T3_PNSL_ISQ_E10value_typeET4_jRbjT5_SW_jjP12ihipStream_tbEUlT_E0_NS1_11comp_targetILNS1_3genE8ELNS1_11target_archE1030ELNS1_3gpuE2ELNS1_3repE0EEENS1_60segmented_radix_sort_warp_sort_medium_config_static_selectorELNS0_4arch9wavefront6targetE0EEEvSK_
    .private_segment_fixed_size: 0
    .sgpr_count:     0
    .sgpr_spill_count: 0
    .symbol:         _ZN7rocprim17ROCPRIM_400000_NS6detail17trampoline_kernelINS0_14default_configENS1_36segmented_radix_sort_config_selectorIblEEZNS1_25segmented_radix_sort_implIS3_Lb1EPKbPbPKlPlN2at6native12_GLOBAL__N_18offset_tEEE10hipError_tPvRmT1_PNSt15iterator_traitsISK_E10value_typeET2_T3_PNSL_ISQ_E10value_typeET4_jRbjT5_SW_jjP12ihipStream_tbEUlT_E0_NS1_11comp_targetILNS1_3genE8ELNS1_11target_archE1030ELNS1_3gpuE2ELNS1_3repE0EEENS1_60segmented_radix_sort_warp_sort_medium_config_static_selectorELNS0_4arch9wavefront6targetE0EEEvSK_.kd
    .uniform_work_group_size: 1
    .uses_dynamic_stack: false
    .vgpr_count:     0
    .vgpr_spill_count: 0
    .wavefront_size: 32
    .workgroup_processor_mode: 1
  - .args:
      - .offset:         0
        .size:           88
        .value_kind:     by_value
    .group_segment_fixed_size: 0
    .kernarg_segment_align: 8
    .kernarg_segment_size: 88
    .language:       OpenCL C
    .language_version:
      - 2
      - 0
    .max_flat_workgroup_size: 256
    .name:           _ZN7rocprim17ROCPRIM_400000_NS6detail17trampoline_kernelINS0_14default_configENS1_36segmented_radix_sort_config_selectorIblEEZNS1_25segmented_radix_sort_implIS3_Lb1EPKbPbPKlPlN2at6native12_GLOBAL__N_18offset_tEEE10hipError_tPvRmT1_PNSt15iterator_traitsISK_E10value_typeET2_T3_PNSL_ISQ_E10value_typeET4_jRbjT5_SW_jjP12ihipStream_tbEUlT_E1_NS1_11comp_targetILNS1_3genE0ELNS1_11target_archE4294967295ELNS1_3gpuE0ELNS1_3repE0EEENS1_59segmented_radix_sort_warp_sort_small_config_static_selectorELNS0_4arch9wavefront6targetE0EEEvSK_
    .private_segment_fixed_size: 0
    .sgpr_count:     0
    .sgpr_spill_count: 0
    .symbol:         _ZN7rocprim17ROCPRIM_400000_NS6detail17trampoline_kernelINS0_14default_configENS1_36segmented_radix_sort_config_selectorIblEEZNS1_25segmented_radix_sort_implIS3_Lb1EPKbPbPKlPlN2at6native12_GLOBAL__N_18offset_tEEE10hipError_tPvRmT1_PNSt15iterator_traitsISK_E10value_typeET2_T3_PNSL_ISQ_E10value_typeET4_jRbjT5_SW_jjP12ihipStream_tbEUlT_E1_NS1_11comp_targetILNS1_3genE0ELNS1_11target_archE4294967295ELNS1_3gpuE0ELNS1_3repE0EEENS1_59segmented_radix_sort_warp_sort_small_config_static_selectorELNS0_4arch9wavefront6targetE0EEEvSK_.kd
    .uniform_work_group_size: 1
    .uses_dynamic_stack: false
    .vgpr_count:     0
    .vgpr_spill_count: 0
    .wavefront_size: 32
    .workgroup_processor_mode: 1
  - .args:
      - .offset:         0
        .size:           88
        .value_kind:     by_value
    .group_segment_fixed_size: 0
    .kernarg_segment_align: 8
    .kernarg_segment_size: 88
    .language:       OpenCL C
    .language_version:
      - 2
      - 0
    .max_flat_workgroup_size: 256
    .name:           _ZN7rocprim17ROCPRIM_400000_NS6detail17trampoline_kernelINS0_14default_configENS1_36segmented_radix_sort_config_selectorIblEEZNS1_25segmented_radix_sort_implIS3_Lb1EPKbPbPKlPlN2at6native12_GLOBAL__N_18offset_tEEE10hipError_tPvRmT1_PNSt15iterator_traitsISK_E10value_typeET2_T3_PNSL_ISQ_E10value_typeET4_jRbjT5_SW_jjP12ihipStream_tbEUlT_E1_NS1_11comp_targetILNS1_3genE5ELNS1_11target_archE942ELNS1_3gpuE9ELNS1_3repE0EEENS1_59segmented_radix_sort_warp_sort_small_config_static_selectorELNS0_4arch9wavefront6targetE0EEEvSK_
    .private_segment_fixed_size: 0
    .sgpr_count:     0
    .sgpr_spill_count: 0
    .symbol:         _ZN7rocprim17ROCPRIM_400000_NS6detail17trampoline_kernelINS0_14default_configENS1_36segmented_radix_sort_config_selectorIblEEZNS1_25segmented_radix_sort_implIS3_Lb1EPKbPbPKlPlN2at6native12_GLOBAL__N_18offset_tEEE10hipError_tPvRmT1_PNSt15iterator_traitsISK_E10value_typeET2_T3_PNSL_ISQ_E10value_typeET4_jRbjT5_SW_jjP12ihipStream_tbEUlT_E1_NS1_11comp_targetILNS1_3genE5ELNS1_11target_archE942ELNS1_3gpuE9ELNS1_3repE0EEENS1_59segmented_radix_sort_warp_sort_small_config_static_selectorELNS0_4arch9wavefront6targetE0EEEvSK_.kd
    .uniform_work_group_size: 1
    .uses_dynamic_stack: false
    .vgpr_count:     0
    .vgpr_spill_count: 0
    .wavefront_size: 32
    .workgroup_processor_mode: 1
  - .args:
      - .offset:         0
        .size:           88
        .value_kind:     by_value
    .group_segment_fixed_size: 0
    .kernarg_segment_align: 8
    .kernarg_segment_size: 88
    .language:       OpenCL C
    .language_version:
      - 2
      - 0
    .max_flat_workgroup_size: 256
    .name:           _ZN7rocprim17ROCPRIM_400000_NS6detail17trampoline_kernelINS0_14default_configENS1_36segmented_radix_sort_config_selectorIblEEZNS1_25segmented_radix_sort_implIS3_Lb1EPKbPbPKlPlN2at6native12_GLOBAL__N_18offset_tEEE10hipError_tPvRmT1_PNSt15iterator_traitsISK_E10value_typeET2_T3_PNSL_ISQ_E10value_typeET4_jRbjT5_SW_jjP12ihipStream_tbEUlT_E1_NS1_11comp_targetILNS1_3genE4ELNS1_11target_archE910ELNS1_3gpuE8ELNS1_3repE0EEENS1_59segmented_radix_sort_warp_sort_small_config_static_selectorELNS0_4arch9wavefront6targetE0EEEvSK_
    .private_segment_fixed_size: 0
    .sgpr_count:     0
    .sgpr_spill_count: 0
    .symbol:         _ZN7rocprim17ROCPRIM_400000_NS6detail17trampoline_kernelINS0_14default_configENS1_36segmented_radix_sort_config_selectorIblEEZNS1_25segmented_radix_sort_implIS3_Lb1EPKbPbPKlPlN2at6native12_GLOBAL__N_18offset_tEEE10hipError_tPvRmT1_PNSt15iterator_traitsISK_E10value_typeET2_T3_PNSL_ISQ_E10value_typeET4_jRbjT5_SW_jjP12ihipStream_tbEUlT_E1_NS1_11comp_targetILNS1_3genE4ELNS1_11target_archE910ELNS1_3gpuE8ELNS1_3repE0EEENS1_59segmented_radix_sort_warp_sort_small_config_static_selectorELNS0_4arch9wavefront6targetE0EEEvSK_.kd
    .uniform_work_group_size: 1
    .uses_dynamic_stack: false
    .vgpr_count:     0
    .vgpr_spill_count: 0
    .wavefront_size: 32
    .workgroup_processor_mode: 1
  - .args:
      - .offset:         0
        .size:           88
        .value_kind:     by_value
    .group_segment_fixed_size: 0
    .kernarg_segment_align: 8
    .kernarg_segment_size: 88
    .language:       OpenCL C
    .language_version:
      - 2
      - 0
    .max_flat_workgroup_size: 256
    .name:           _ZN7rocprim17ROCPRIM_400000_NS6detail17trampoline_kernelINS0_14default_configENS1_36segmented_radix_sort_config_selectorIblEEZNS1_25segmented_radix_sort_implIS3_Lb1EPKbPbPKlPlN2at6native12_GLOBAL__N_18offset_tEEE10hipError_tPvRmT1_PNSt15iterator_traitsISK_E10value_typeET2_T3_PNSL_ISQ_E10value_typeET4_jRbjT5_SW_jjP12ihipStream_tbEUlT_E1_NS1_11comp_targetILNS1_3genE3ELNS1_11target_archE908ELNS1_3gpuE7ELNS1_3repE0EEENS1_59segmented_radix_sort_warp_sort_small_config_static_selectorELNS0_4arch9wavefront6targetE0EEEvSK_
    .private_segment_fixed_size: 0
    .sgpr_count:     0
    .sgpr_spill_count: 0
    .symbol:         _ZN7rocprim17ROCPRIM_400000_NS6detail17trampoline_kernelINS0_14default_configENS1_36segmented_radix_sort_config_selectorIblEEZNS1_25segmented_radix_sort_implIS3_Lb1EPKbPbPKlPlN2at6native12_GLOBAL__N_18offset_tEEE10hipError_tPvRmT1_PNSt15iterator_traitsISK_E10value_typeET2_T3_PNSL_ISQ_E10value_typeET4_jRbjT5_SW_jjP12ihipStream_tbEUlT_E1_NS1_11comp_targetILNS1_3genE3ELNS1_11target_archE908ELNS1_3gpuE7ELNS1_3repE0EEENS1_59segmented_radix_sort_warp_sort_small_config_static_selectorELNS0_4arch9wavefront6targetE0EEEvSK_.kd
    .uniform_work_group_size: 1
    .uses_dynamic_stack: false
    .vgpr_count:     0
    .vgpr_spill_count: 0
    .wavefront_size: 32
    .workgroup_processor_mode: 1
  - .args:
      - .offset:         0
        .size:           88
        .value_kind:     by_value
    .group_segment_fixed_size: 0
    .kernarg_segment_align: 8
    .kernarg_segment_size: 88
    .language:       OpenCL C
    .language_version:
      - 2
      - 0
    .max_flat_workgroup_size: 256
    .name:           _ZN7rocprim17ROCPRIM_400000_NS6detail17trampoline_kernelINS0_14default_configENS1_36segmented_radix_sort_config_selectorIblEEZNS1_25segmented_radix_sort_implIS3_Lb1EPKbPbPKlPlN2at6native12_GLOBAL__N_18offset_tEEE10hipError_tPvRmT1_PNSt15iterator_traitsISK_E10value_typeET2_T3_PNSL_ISQ_E10value_typeET4_jRbjT5_SW_jjP12ihipStream_tbEUlT_E1_NS1_11comp_targetILNS1_3genE2ELNS1_11target_archE906ELNS1_3gpuE6ELNS1_3repE0EEENS1_59segmented_radix_sort_warp_sort_small_config_static_selectorELNS0_4arch9wavefront6targetE0EEEvSK_
    .private_segment_fixed_size: 0
    .sgpr_count:     0
    .sgpr_spill_count: 0
    .symbol:         _ZN7rocprim17ROCPRIM_400000_NS6detail17trampoline_kernelINS0_14default_configENS1_36segmented_radix_sort_config_selectorIblEEZNS1_25segmented_radix_sort_implIS3_Lb1EPKbPbPKlPlN2at6native12_GLOBAL__N_18offset_tEEE10hipError_tPvRmT1_PNSt15iterator_traitsISK_E10value_typeET2_T3_PNSL_ISQ_E10value_typeET4_jRbjT5_SW_jjP12ihipStream_tbEUlT_E1_NS1_11comp_targetILNS1_3genE2ELNS1_11target_archE906ELNS1_3gpuE6ELNS1_3repE0EEENS1_59segmented_radix_sort_warp_sort_small_config_static_selectorELNS0_4arch9wavefront6targetE0EEEvSK_.kd
    .uniform_work_group_size: 1
    .uses_dynamic_stack: false
    .vgpr_count:     0
    .vgpr_spill_count: 0
    .wavefront_size: 32
    .workgroup_processor_mode: 1
  - .args:
      - .offset:         0
        .size:           88
        .value_kind:     by_value
      - .offset:         88
        .size:           4
        .value_kind:     hidden_block_count_x
      - .offset:         92
        .size:           4
        .value_kind:     hidden_block_count_y
      - .offset:         96
        .size:           4
        .value_kind:     hidden_block_count_z
      - .offset:         100
        .size:           2
        .value_kind:     hidden_group_size_x
      - .offset:         102
        .size:           2
        .value_kind:     hidden_group_size_y
      - .offset:         104
        .size:           2
        .value_kind:     hidden_group_size_z
      - .offset:         106
        .size:           2
        .value_kind:     hidden_remainder_x
      - .offset:         108
        .size:           2
        .value_kind:     hidden_remainder_y
      - .offset:         110
        .size:           2
        .value_kind:     hidden_remainder_z
      - .offset:         128
        .size:           8
        .value_kind:     hidden_global_offset_x
      - .offset:         136
        .size:           8
        .value_kind:     hidden_global_offset_y
      - .offset:         144
        .size:           8
        .value_kind:     hidden_global_offset_z
      - .offset:         152
        .size:           2
        .value_kind:     hidden_grid_dims
    .group_segment_fixed_size: 9216
    .kernarg_segment_align: 8
    .kernarg_segment_size: 344
    .language:       OpenCL C
    .language_version:
      - 2
      - 0
    .max_flat_workgroup_size: 256
    .name:           _ZN7rocprim17ROCPRIM_400000_NS6detail17trampoline_kernelINS0_14default_configENS1_36segmented_radix_sort_config_selectorIblEEZNS1_25segmented_radix_sort_implIS3_Lb1EPKbPbPKlPlN2at6native12_GLOBAL__N_18offset_tEEE10hipError_tPvRmT1_PNSt15iterator_traitsISK_E10value_typeET2_T3_PNSL_ISQ_E10value_typeET4_jRbjT5_SW_jjP12ihipStream_tbEUlT_E1_NS1_11comp_targetILNS1_3genE10ELNS1_11target_archE1201ELNS1_3gpuE5ELNS1_3repE0EEENS1_59segmented_radix_sort_warp_sort_small_config_static_selectorELNS0_4arch9wavefront6targetE0EEEvSK_
    .private_segment_fixed_size: 12
    .sgpr_count:     35
    .sgpr_spill_count: 0
    .symbol:         _ZN7rocprim17ROCPRIM_400000_NS6detail17trampoline_kernelINS0_14default_configENS1_36segmented_radix_sort_config_selectorIblEEZNS1_25segmented_radix_sort_implIS3_Lb1EPKbPbPKlPlN2at6native12_GLOBAL__N_18offset_tEEE10hipError_tPvRmT1_PNSt15iterator_traitsISK_E10value_typeET2_T3_PNSL_ISQ_E10value_typeET4_jRbjT5_SW_jjP12ihipStream_tbEUlT_E1_NS1_11comp_targetILNS1_3genE10ELNS1_11target_archE1201ELNS1_3gpuE5ELNS1_3repE0EEENS1_59segmented_radix_sort_warp_sort_small_config_static_selectorELNS0_4arch9wavefront6targetE0EEEvSK_.kd
    .uniform_work_group_size: 1
    .uses_dynamic_stack: false
    .vgpr_count:     54
    .vgpr_spill_count: 0
    .wavefront_size: 32
    .workgroup_processor_mode: 1
  - .args:
      - .offset:         0
        .size:           88
        .value_kind:     by_value
    .group_segment_fixed_size: 0
    .kernarg_segment_align: 8
    .kernarg_segment_size: 88
    .language:       OpenCL C
    .language_version:
      - 2
      - 0
    .max_flat_workgroup_size: 256
    .name:           _ZN7rocprim17ROCPRIM_400000_NS6detail17trampoline_kernelINS0_14default_configENS1_36segmented_radix_sort_config_selectorIblEEZNS1_25segmented_radix_sort_implIS3_Lb1EPKbPbPKlPlN2at6native12_GLOBAL__N_18offset_tEEE10hipError_tPvRmT1_PNSt15iterator_traitsISK_E10value_typeET2_T3_PNSL_ISQ_E10value_typeET4_jRbjT5_SW_jjP12ihipStream_tbEUlT_E1_NS1_11comp_targetILNS1_3genE10ELNS1_11target_archE1200ELNS1_3gpuE4ELNS1_3repE0EEENS1_59segmented_radix_sort_warp_sort_small_config_static_selectorELNS0_4arch9wavefront6targetE0EEEvSK_
    .private_segment_fixed_size: 0
    .sgpr_count:     0
    .sgpr_spill_count: 0
    .symbol:         _ZN7rocprim17ROCPRIM_400000_NS6detail17trampoline_kernelINS0_14default_configENS1_36segmented_radix_sort_config_selectorIblEEZNS1_25segmented_radix_sort_implIS3_Lb1EPKbPbPKlPlN2at6native12_GLOBAL__N_18offset_tEEE10hipError_tPvRmT1_PNSt15iterator_traitsISK_E10value_typeET2_T3_PNSL_ISQ_E10value_typeET4_jRbjT5_SW_jjP12ihipStream_tbEUlT_E1_NS1_11comp_targetILNS1_3genE10ELNS1_11target_archE1200ELNS1_3gpuE4ELNS1_3repE0EEENS1_59segmented_radix_sort_warp_sort_small_config_static_selectorELNS0_4arch9wavefront6targetE0EEEvSK_.kd
    .uniform_work_group_size: 1
    .uses_dynamic_stack: false
    .vgpr_count:     0
    .vgpr_spill_count: 0
    .wavefront_size: 32
    .workgroup_processor_mode: 1
  - .args:
      - .offset:         0
        .size:           88
        .value_kind:     by_value
    .group_segment_fixed_size: 0
    .kernarg_segment_align: 8
    .kernarg_segment_size: 88
    .language:       OpenCL C
    .language_version:
      - 2
      - 0
    .max_flat_workgroup_size: 256
    .name:           _ZN7rocprim17ROCPRIM_400000_NS6detail17trampoline_kernelINS0_14default_configENS1_36segmented_radix_sort_config_selectorIblEEZNS1_25segmented_radix_sort_implIS3_Lb1EPKbPbPKlPlN2at6native12_GLOBAL__N_18offset_tEEE10hipError_tPvRmT1_PNSt15iterator_traitsISK_E10value_typeET2_T3_PNSL_ISQ_E10value_typeET4_jRbjT5_SW_jjP12ihipStream_tbEUlT_E1_NS1_11comp_targetILNS1_3genE9ELNS1_11target_archE1100ELNS1_3gpuE3ELNS1_3repE0EEENS1_59segmented_radix_sort_warp_sort_small_config_static_selectorELNS0_4arch9wavefront6targetE0EEEvSK_
    .private_segment_fixed_size: 0
    .sgpr_count:     0
    .sgpr_spill_count: 0
    .symbol:         _ZN7rocprim17ROCPRIM_400000_NS6detail17trampoline_kernelINS0_14default_configENS1_36segmented_radix_sort_config_selectorIblEEZNS1_25segmented_radix_sort_implIS3_Lb1EPKbPbPKlPlN2at6native12_GLOBAL__N_18offset_tEEE10hipError_tPvRmT1_PNSt15iterator_traitsISK_E10value_typeET2_T3_PNSL_ISQ_E10value_typeET4_jRbjT5_SW_jjP12ihipStream_tbEUlT_E1_NS1_11comp_targetILNS1_3genE9ELNS1_11target_archE1100ELNS1_3gpuE3ELNS1_3repE0EEENS1_59segmented_radix_sort_warp_sort_small_config_static_selectorELNS0_4arch9wavefront6targetE0EEEvSK_.kd
    .uniform_work_group_size: 1
    .uses_dynamic_stack: false
    .vgpr_count:     0
    .vgpr_spill_count: 0
    .wavefront_size: 32
    .workgroup_processor_mode: 1
  - .args:
      - .offset:         0
        .size:           88
        .value_kind:     by_value
    .group_segment_fixed_size: 0
    .kernarg_segment_align: 8
    .kernarg_segment_size: 88
    .language:       OpenCL C
    .language_version:
      - 2
      - 0
    .max_flat_workgroup_size: 256
    .name:           _ZN7rocprim17ROCPRIM_400000_NS6detail17trampoline_kernelINS0_14default_configENS1_36segmented_radix_sort_config_selectorIblEEZNS1_25segmented_radix_sort_implIS3_Lb1EPKbPbPKlPlN2at6native12_GLOBAL__N_18offset_tEEE10hipError_tPvRmT1_PNSt15iterator_traitsISK_E10value_typeET2_T3_PNSL_ISQ_E10value_typeET4_jRbjT5_SW_jjP12ihipStream_tbEUlT_E1_NS1_11comp_targetILNS1_3genE8ELNS1_11target_archE1030ELNS1_3gpuE2ELNS1_3repE0EEENS1_59segmented_radix_sort_warp_sort_small_config_static_selectorELNS0_4arch9wavefront6targetE0EEEvSK_
    .private_segment_fixed_size: 0
    .sgpr_count:     0
    .sgpr_spill_count: 0
    .symbol:         _ZN7rocprim17ROCPRIM_400000_NS6detail17trampoline_kernelINS0_14default_configENS1_36segmented_radix_sort_config_selectorIblEEZNS1_25segmented_radix_sort_implIS3_Lb1EPKbPbPKlPlN2at6native12_GLOBAL__N_18offset_tEEE10hipError_tPvRmT1_PNSt15iterator_traitsISK_E10value_typeET2_T3_PNSL_ISQ_E10value_typeET4_jRbjT5_SW_jjP12ihipStream_tbEUlT_E1_NS1_11comp_targetILNS1_3genE8ELNS1_11target_archE1030ELNS1_3gpuE2ELNS1_3repE0EEENS1_59segmented_radix_sort_warp_sort_small_config_static_selectorELNS0_4arch9wavefront6targetE0EEEvSK_.kd
    .uniform_work_group_size: 1
    .uses_dynamic_stack: false
    .vgpr_count:     0
    .vgpr_spill_count: 0
    .wavefront_size: 32
    .workgroup_processor_mode: 1
  - .args:
      - .offset:         0
        .size:           80
        .value_kind:     by_value
    .group_segment_fixed_size: 0
    .kernarg_segment_align: 8
    .kernarg_segment_size: 80
    .language:       OpenCL C
    .language_version:
      - 2
      - 0
    .max_flat_workgroup_size: 256
    .name:           _ZN7rocprim17ROCPRIM_400000_NS6detail17trampoline_kernelINS0_14default_configENS1_36segmented_radix_sort_config_selectorIblEEZNS1_25segmented_radix_sort_implIS3_Lb1EPKbPbPKlPlN2at6native12_GLOBAL__N_18offset_tEEE10hipError_tPvRmT1_PNSt15iterator_traitsISK_E10value_typeET2_T3_PNSL_ISQ_E10value_typeET4_jRbjT5_SW_jjP12ihipStream_tbEUlT_E2_NS1_11comp_targetILNS1_3genE0ELNS1_11target_archE4294967295ELNS1_3gpuE0ELNS1_3repE0EEENS1_30default_config_static_selectorELNS0_4arch9wavefront6targetE0EEEvSK_
    .private_segment_fixed_size: 0
    .sgpr_count:     0
    .sgpr_spill_count: 0
    .symbol:         _ZN7rocprim17ROCPRIM_400000_NS6detail17trampoline_kernelINS0_14default_configENS1_36segmented_radix_sort_config_selectorIblEEZNS1_25segmented_radix_sort_implIS3_Lb1EPKbPbPKlPlN2at6native12_GLOBAL__N_18offset_tEEE10hipError_tPvRmT1_PNSt15iterator_traitsISK_E10value_typeET2_T3_PNSL_ISQ_E10value_typeET4_jRbjT5_SW_jjP12ihipStream_tbEUlT_E2_NS1_11comp_targetILNS1_3genE0ELNS1_11target_archE4294967295ELNS1_3gpuE0ELNS1_3repE0EEENS1_30default_config_static_selectorELNS0_4arch9wavefront6targetE0EEEvSK_.kd
    .uniform_work_group_size: 1
    .uses_dynamic_stack: false
    .vgpr_count:     0
    .vgpr_spill_count: 0
    .wavefront_size: 32
    .workgroup_processor_mode: 1
  - .args:
      - .offset:         0
        .size:           80
        .value_kind:     by_value
    .group_segment_fixed_size: 0
    .kernarg_segment_align: 8
    .kernarg_segment_size: 80
    .language:       OpenCL C
    .language_version:
      - 2
      - 0
    .max_flat_workgroup_size: 256
    .name:           _ZN7rocprim17ROCPRIM_400000_NS6detail17trampoline_kernelINS0_14default_configENS1_36segmented_radix_sort_config_selectorIblEEZNS1_25segmented_radix_sort_implIS3_Lb1EPKbPbPKlPlN2at6native12_GLOBAL__N_18offset_tEEE10hipError_tPvRmT1_PNSt15iterator_traitsISK_E10value_typeET2_T3_PNSL_ISQ_E10value_typeET4_jRbjT5_SW_jjP12ihipStream_tbEUlT_E2_NS1_11comp_targetILNS1_3genE5ELNS1_11target_archE942ELNS1_3gpuE9ELNS1_3repE0EEENS1_30default_config_static_selectorELNS0_4arch9wavefront6targetE0EEEvSK_
    .private_segment_fixed_size: 0
    .sgpr_count:     0
    .sgpr_spill_count: 0
    .symbol:         _ZN7rocprim17ROCPRIM_400000_NS6detail17trampoline_kernelINS0_14default_configENS1_36segmented_radix_sort_config_selectorIblEEZNS1_25segmented_radix_sort_implIS3_Lb1EPKbPbPKlPlN2at6native12_GLOBAL__N_18offset_tEEE10hipError_tPvRmT1_PNSt15iterator_traitsISK_E10value_typeET2_T3_PNSL_ISQ_E10value_typeET4_jRbjT5_SW_jjP12ihipStream_tbEUlT_E2_NS1_11comp_targetILNS1_3genE5ELNS1_11target_archE942ELNS1_3gpuE9ELNS1_3repE0EEENS1_30default_config_static_selectorELNS0_4arch9wavefront6targetE0EEEvSK_.kd
    .uniform_work_group_size: 1
    .uses_dynamic_stack: false
    .vgpr_count:     0
    .vgpr_spill_count: 0
    .wavefront_size: 32
    .workgroup_processor_mode: 1
  - .args:
      - .offset:         0
        .size:           80
        .value_kind:     by_value
    .group_segment_fixed_size: 0
    .kernarg_segment_align: 8
    .kernarg_segment_size: 80
    .language:       OpenCL C
    .language_version:
      - 2
      - 0
    .max_flat_workgroup_size: 256
    .name:           _ZN7rocprim17ROCPRIM_400000_NS6detail17trampoline_kernelINS0_14default_configENS1_36segmented_radix_sort_config_selectorIblEEZNS1_25segmented_radix_sort_implIS3_Lb1EPKbPbPKlPlN2at6native12_GLOBAL__N_18offset_tEEE10hipError_tPvRmT1_PNSt15iterator_traitsISK_E10value_typeET2_T3_PNSL_ISQ_E10value_typeET4_jRbjT5_SW_jjP12ihipStream_tbEUlT_E2_NS1_11comp_targetILNS1_3genE4ELNS1_11target_archE910ELNS1_3gpuE8ELNS1_3repE0EEENS1_30default_config_static_selectorELNS0_4arch9wavefront6targetE0EEEvSK_
    .private_segment_fixed_size: 0
    .sgpr_count:     0
    .sgpr_spill_count: 0
    .symbol:         _ZN7rocprim17ROCPRIM_400000_NS6detail17trampoline_kernelINS0_14default_configENS1_36segmented_radix_sort_config_selectorIblEEZNS1_25segmented_radix_sort_implIS3_Lb1EPKbPbPKlPlN2at6native12_GLOBAL__N_18offset_tEEE10hipError_tPvRmT1_PNSt15iterator_traitsISK_E10value_typeET2_T3_PNSL_ISQ_E10value_typeET4_jRbjT5_SW_jjP12ihipStream_tbEUlT_E2_NS1_11comp_targetILNS1_3genE4ELNS1_11target_archE910ELNS1_3gpuE8ELNS1_3repE0EEENS1_30default_config_static_selectorELNS0_4arch9wavefront6targetE0EEEvSK_.kd
    .uniform_work_group_size: 1
    .uses_dynamic_stack: false
    .vgpr_count:     0
    .vgpr_spill_count: 0
    .wavefront_size: 32
    .workgroup_processor_mode: 1
  - .args:
      - .offset:         0
        .size:           80
        .value_kind:     by_value
    .group_segment_fixed_size: 0
    .kernarg_segment_align: 8
    .kernarg_segment_size: 80
    .language:       OpenCL C
    .language_version:
      - 2
      - 0
    .max_flat_workgroup_size: 256
    .name:           _ZN7rocprim17ROCPRIM_400000_NS6detail17trampoline_kernelINS0_14default_configENS1_36segmented_radix_sort_config_selectorIblEEZNS1_25segmented_radix_sort_implIS3_Lb1EPKbPbPKlPlN2at6native12_GLOBAL__N_18offset_tEEE10hipError_tPvRmT1_PNSt15iterator_traitsISK_E10value_typeET2_T3_PNSL_ISQ_E10value_typeET4_jRbjT5_SW_jjP12ihipStream_tbEUlT_E2_NS1_11comp_targetILNS1_3genE3ELNS1_11target_archE908ELNS1_3gpuE7ELNS1_3repE0EEENS1_30default_config_static_selectorELNS0_4arch9wavefront6targetE0EEEvSK_
    .private_segment_fixed_size: 0
    .sgpr_count:     0
    .sgpr_spill_count: 0
    .symbol:         _ZN7rocprim17ROCPRIM_400000_NS6detail17trampoline_kernelINS0_14default_configENS1_36segmented_radix_sort_config_selectorIblEEZNS1_25segmented_radix_sort_implIS3_Lb1EPKbPbPKlPlN2at6native12_GLOBAL__N_18offset_tEEE10hipError_tPvRmT1_PNSt15iterator_traitsISK_E10value_typeET2_T3_PNSL_ISQ_E10value_typeET4_jRbjT5_SW_jjP12ihipStream_tbEUlT_E2_NS1_11comp_targetILNS1_3genE3ELNS1_11target_archE908ELNS1_3gpuE7ELNS1_3repE0EEENS1_30default_config_static_selectorELNS0_4arch9wavefront6targetE0EEEvSK_.kd
    .uniform_work_group_size: 1
    .uses_dynamic_stack: false
    .vgpr_count:     0
    .vgpr_spill_count: 0
    .wavefront_size: 32
    .workgroup_processor_mode: 1
  - .args:
      - .offset:         0
        .size:           80
        .value_kind:     by_value
    .group_segment_fixed_size: 0
    .kernarg_segment_align: 8
    .kernarg_segment_size: 80
    .language:       OpenCL C
    .language_version:
      - 2
      - 0
    .max_flat_workgroup_size: 256
    .name:           _ZN7rocprim17ROCPRIM_400000_NS6detail17trampoline_kernelINS0_14default_configENS1_36segmented_radix_sort_config_selectorIblEEZNS1_25segmented_radix_sort_implIS3_Lb1EPKbPbPKlPlN2at6native12_GLOBAL__N_18offset_tEEE10hipError_tPvRmT1_PNSt15iterator_traitsISK_E10value_typeET2_T3_PNSL_ISQ_E10value_typeET4_jRbjT5_SW_jjP12ihipStream_tbEUlT_E2_NS1_11comp_targetILNS1_3genE2ELNS1_11target_archE906ELNS1_3gpuE6ELNS1_3repE0EEENS1_30default_config_static_selectorELNS0_4arch9wavefront6targetE0EEEvSK_
    .private_segment_fixed_size: 0
    .sgpr_count:     0
    .sgpr_spill_count: 0
    .symbol:         _ZN7rocprim17ROCPRIM_400000_NS6detail17trampoline_kernelINS0_14default_configENS1_36segmented_radix_sort_config_selectorIblEEZNS1_25segmented_radix_sort_implIS3_Lb1EPKbPbPKlPlN2at6native12_GLOBAL__N_18offset_tEEE10hipError_tPvRmT1_PNSt15iterator_traitsISK_E10value_typeET2_T3_PNSL_ISQ_E10value_typeET4_jRbjT5_SW_jjP12ihipStream_tbEUlT_E2_NS1_11comp_targetILNS1_3genE2ELNS1_11target_archE906ELNS1_3gpuE6ELNS1_3repE0EEENS1_30default_config_static_selectorELNS0_4arch9wavefront6targetE0EEEvSK_.kd
    .uniform_work_group_size: 1
    .uses_dynamic_stack: false
    .vgpr_count:     0
    .vgpr_spill_count: 0
    .wavefront_size: 32
    .workgroup_processor_mode: 1
  - .args:
      - .offset:         0
        .size:           80
        .value_kind:     by_value
      - .offset:         80
        .size:           4
        .value_kind:     hidden_block_count_x
      - .offset:         84
        .size:           4
        .value_kind:     hidden_block_count_y
      - .offset:         88
        .size:           4
        .value_kind:     hidden_block_count_z
      - .offset:         92
        .size:           2
        .value_kind:     hidden_group_size_x
      - .offset:         94
        .size:           2
        .value_kind:     hidden_group_size_y
      - .offset:         96
        .size:           2
        .value_kind:     hidden_group_size_z
      - .offset:         98
        .size:           2
        .value_kind:     hidden_remainder_x
      - .offset:         100
        .size:           2
        .value_kind:     hidden_remainder_y
      - .offset:         102
        .size:           2
        .value_kind:     hidden_remainder_z
      - .offset:         120
        .size:           8
        .value_kind:     hidden_global_offset_x
      - .offset:         128
        .size:           8
        .value_kind:     hidden_global_offset_y
      - .offset:         136
        .size:           8
        .value_kind:     hidden_global_offset_z
      - .offset:         144
        .size:           2
        .value_kind:     hidden_grid_dims
    .group_segment_fixed_size: 17440
    .kernarg_segment_align: 8
    .kernarg_segment_size: 336
    .language:       OpenCL C
    .language_version:
      - 2
      - 0
    .max_flat_workgroup_size: 256
    .name:           _ZN7rocprim17ROCPRIM_400000_NS6detail17trampoline_kernelINS0_14default_configENS1_36segmented_radix_sort_config_selectorIblEEZNS1_25segmented_radix_sort_implIS3_Lb1EPKbPbPKlPlN2at6native12_GLOBAL__N_18offset_tEEE10hipError_tPvRmT1_PNSt15iterator_traitsISK_E10value_typeET2_T3_PNSL_ISQ_E10value_typeET4_jRbjT5_SW_jjP12ihipStream_tbEUlT_E2_NS1_11comp_targetILNS1_3genE10ELNS1_11target_archE1201ELNS1_3gpuE5ELNS1_3repE0EEENS1_30default_config_static_selectorELNS0_4arch9wavefront6targetE0EEEvSK_
    .private_segment_fixed_size: 12
    .sgpr_count:     52
    .sgpr_spill_count: 0
    .symbol:         _ZN7rocprim17ROCPRIM_400000_NS6detail17trampoline_kernelINS0_14default_configENS1_36segmented_radix_sort_config_selectorIblEEZNS1_25segmented_radix_sort_implIS3_Lb1EPKbPbPKlPlN2at6native12_GLOBAL__N_18offset_tEEE10hipError_tPvRmT1_PNSt15iterator_traitsISK_E10value_typeET2_T3_PNSL_ISQ_E10value_typeET4_jRbjT5_SW_jjP12ihipStream_tbEUlT_E2_NS1_11comp_targetILNS1_3genE10ELNS1_11target_archE1201ELNS1_3gpuE5ELNS1_3repE0EEENS1_30default_config_static_selectorELNS0_4arch9wavefront6targetE0EEEvSK_.kd
    .uniform_work_group_size: 1
    .uses_dynamic_stack: false
    .vgpr_count:     197
    .vgpr_spill_count: 0
    .wavefront_size: 32
    .workgroup_processor_mode: 1
  - .args:
      - .offset:         0
        .size:           80
        .value_kind:     by_value
    .group_segment_fixed_size: 0
    .kernarg_segment_align: 8
    .kernarg_segment_size: 80
    .language:       OpenCL C
    .language_version:
      - 2
      - 0
    .max_flat_workgroup_size: 128
    .name:           _ZN7rocprim17ROCPRIM_400000_NS6detail17trampoline_kernelINS0_14default_configENS1_36segmented_radix_sort_config_selectorIblEEZNS1_25segmented_radix_sort_implIS3_Lb1EPKbPbPKlPlN2at6native12_GLOBAL__N_18offset_tEEE10hipError_tPvRmT1_PNSt15iterator_traitsISK_E10value_typeET2_T3_PNSL_ISQ_E10value_typeET4_jRbjT5_SW_jjP12ihipStream_tbEUlT_E2_NS1_11comp_targetILNS1_3genE10ELNS1_11target_archE1200ELNS1_3gpuE4ELNS1_3repE0EEENS1_30default_config_static_selectorELNS0_4arch9wavefront6targetE0EEEvSK_
    .private_segment_fixed_size: 0
    .sgpr_count:     0
    .sgpr_spill_count: 0
    .symbol:         _ZN7rocprim17ROCPRIM_400000_NS6detail17trampoline_kernelINS0_14default_configENS1_36segmented_radix_sort_config_selectorIblEEZNS1_25segmented_radix_sort_implIS3_Lb1EPKbPbPKlPlN2at6native12_GLOBAL__N_18offset_tEEE10hipError_tPvRmT1_PNSt15iterator_traitsISK_E10value_typeET2_T3_PNSL_ISQ_E10value_typeET4_jRbjT5_SW_jjP12ihipStream_tbEUlT_E2_NS1_11comp_targetILNS1_3genE10ELNS1_11target_archE1200ELNS1_3gpuE4ELNS1_3repE0EEENS1_30default_config_static_selectorELNS0_4arch9wavefront6targetE0EEEvSK_.kd
    .uniform_work_group_size: 1
    .uses_dynamic_stack: false
    .vgpr_count:     0
    .vgpr_spill_count: 0
    .wavefront_size: 32
    .workgroup_processor_mode: 1
  - .args:
      - .offset:         0
        .size:           80
        .value_kind:     by_value
    .group_segment_fixed_size: 0
    .kernarg_segment_align: 8
    .kernarg_segment_size: 80
    .language:       OpenCL C
    .language_version:
      - 2
      - 0
    .max_flat_workgroup_size: 256
    .name:           _ZN7rocprim17ROCPRIM_400000_NS6detail17trampoline_kernelINS0_14default_configENS1_36segmented_radix_sort_config_selectorIblEEZNS1_25segmented_radix_sort_implIS3_Lb1EPKbPbPKlPlN2at6native12_GLOBAL__N_18offset_tEEE10hipError_tPvRmT1_PNSt15iterator_traitsISK_E10value_typeET2_T3_PNSL_ISQ_E10value_typeET4_jRbjT5_SW_jjP12ihipStream_tbEUlT_E2_NS1_11comp_targetILNS1_3genE9ELNS1_11target_archE1100ELNS1_3gpuE3ELNS1_3repE0EEENS1_30default_config_static_selectorELNS0_4arch9wavefront6targetE0EEEvSK_
    .private_segment_fixed_size: 0
    .sgpr_count:     0
    .sgpr_spill_count: 0
    .symbol:         _ZN7rocprim17ROCPRIM_400000_NS6detail17trampoline_kernelINS0_14default_configENS1_36segmented_radix_sort_config_selectorIblEEZNS1_25segmented_radix_sort_implIS3_Lb1EPKbPbPKlPlN2at6native12_GLOBAL__N_18offset_tEEE10hipError_tPvRmT1_PNSt15iterator_traitsISK_E10value_typeET2_T3_PNSL_ISQ_E10value_typeET4_jRbjT5_SW_jjP12ihipStream_tbEUlT_E2_NS1_11comp_targetILNS1_3genE9ELNS1_11target_archE1100ELNS1_3gpuE3ELNS1_3repE0EEENS1_30default_config_static_selectorELNS0_4arch9wavefront6targetE0EEEvSK_.kd
    .uniform_work_group_size: 1
    .uses_dynamic_stack: false
    .vgpr_count:     0
    .vgpr_spill_count: 0
    .wavefront_size: 32
    .workgroup_processor_mode: 1
  - .args:
      - .offset:         0
        .size:           80
        .value_kind:     by_value
    .group_segment_fixed_size: 0
    .kernarg_segment_align: 8
    .kernarg_segment_size: 80
    .language:       OpenCL C
    .language_version:
      - 2
      - 0
    .max_flat_workgroup_size: 256
    .name:           _ZN7rocprim17ROCPRIM_400000_NS6detail17trampoline_kernelINS0_14default_configENS1_36segmented_radix_sort_config_selectorIblEEZNS1_25segmented_radix_sort_implIS3_Lb1EPKbPbPKlPlN2at6native12_GLOBAL__N_18offset_tEEE10hipError_tPvRmT1_PNSt15iterator_traitsISK_E10value_typeET2_T3_PNSL_ISQ_E10value_typeET4_jRbjT5_SW_jjP12ihipStream_tbEUlT_E2_NS1_11comp_targetILNS1_3genE8ELNS1_11target_archE1030ELNS1_3gpuE2ELNS1_3repE0EEENS1_30default_config_static_selectorELNS0_4arch9wavefront6targetE0EEEvSK_
    .private_segment_fixed_size: 0
    .sgpr_count:     0
    .sgpr_spill_count: 0
    .symbol:         _ZN7rocprim17ROCPRIM_400000_NS6detail17trampoline_kernelINS0_14default_configENS1_36segmented_radix_sort_config_selectorIblEEZNS1_25segmented_radix_sort_implIS3_Lb1EPKbPbPKlPlN2at6native12_GLOBAL__N_18offset_tEEE10hipError_tPvRmT1_PNSt15iterator_traitsISK_E10value_typeET2_T3_PNSL_ISQ_E10value_typeET4_jRbjT5_SW_jjP12ihipStream_tbEUlT_E2_NS1_11comp_targetILNS1_3genE8ELNS1_11target_archE1030ELNS1_3gpuE2ELNS1_3repE0EEENS1_30default_config_static_selectorELNS0_4arch9wavefront6targetE0EEEvSK_.kd
    .uniform_work_group_size: 1
    .uses_dynamic_stack: false
    .vgpr_count:     0
    .vgpr_spill_count: 0
    .wavefront_size: 32
    .workgroup_processor_mode: 1
  - .args:
      - .offset:         0
        .size:           176
        .value_kind:     by_value
    .group_segment_fixed_size: 0
    .kernarg_segment_align: 8
    .kernarg_segment_size: 176
    .language:       OpenCL C
    .language_version:
      - 2
      - 0
    .max_flat_workgroup_size: 256
    .name:           _ZN7rocprim17ROCPRIM_400000_NS6detail17trampoline_kernelINS0_13select_configILj256ELj13ELNS0_17block_load_methodE3ELS4_3ELS4_3ELNS0_20block_scan_algorithmE0ELj4294967295EEENS1_25partition_config_selectorILNS1_17partition_subalgoE4EjNS0_10empty_typeEbEEZZNS1_14partition_implILS8_4ELb0ES6_15HIP_vector_typeIjLj2EENS0_17counting_iteratorIjlEEPS9_SG_NS0_5tupleIJPjSI_NS0_16reverse_iteratorISI_EEEEENSH_IJSG_SG_SG_EEES9_SI_JZNS1_25segmented_radix_sort_implINS0_14default_configELb0EPKbPbPKlPlN2at6native12_GLOBAL__N_18offset_tEEE10hipError_tPvRmT1_PNSt15iterator_traitsIS12_E10value_typeET2_T3_PNS13_IS18_E10value_typeET4_jRbjT5_S1E_jjP12ihipStream_tbEUljE_ZNSN_ISO_Lb0ESQ_SR_ST_SU_SY_EESZ_S10_S11_S12_S16_S17_S18_S1B_S1C_jS1D_jS1E_S1E_jjS1G_bEUljE0_EEESZ_S10_S11_S18_S1C_S1E_T6_T7_T9_mT8_S1G_bDpT10_ENKUlT_T0_E_clISt17integral_constantIbLb0EES1U_EEDaS1P_S1Q_EUlS1P_E_NS1_11comp_targetILNS1_3genE0ELNS1_11target_archE4294967295ELNS1_3gpuE0ELNS1_3repE0EEENS1_30default_config_static_selectorELNS0_4arch9wavefront6targetE0EEEvS12_
    .private_segment_fixed_size: 0
    .sgpr_count:     0
    .sgpr_spill_count: 0
    .symbol:         _ZN7rocprim17ROCPRIM_400000_NS6detail17trampoline_kernelINS0_13select_configILj256ELj13ELNS0_17block_load_methodE3ELS4_3ELS4_3ELNS0_20block_scan_algorithmE0ELj4294967295EEENS1_25partition_config_selectorILNS1_17partition_subalgoE4EjNS0_10empty_typeEbEEZZNS1_14partition_implILS8_4ELb0ES6_15HIP_vector_typeIjLj2EENS0_17counting_iteratorIjlEEPS9_SG_NS0_5tupleIJPjSI_NS0_16reverse_iteratorISI_EEEEENSH_IJSG_SG_SG_EEES9_SI_JZNS1_25segmented_radix_sort_implINS0_14default_configELb0EPKbPbPKlPlN2at6native12_GLOBAL__N_18offset_tEEE10hipError_tPvRmT1_PNSt15iterator_traitsIS12_E10value_typeET2_T3_PNS13_IS18_E10value_typeET4_jRbjT5_S1E_jjP12ihipStream_tbEUljE_ZNSN_ISO_Lb0ESQ_SR_ST_SU_SY_EESZ_S10_S11_S12_S16_S17_S18_S1B_S1C_jS1D_jS1E_S1E_jjS1G_bEUljE0_EEESZ_S10_S11_S18_S1C_S1E_T6_T7_T9_mT8_S1G_bDpT10_ENKUlT_T0_E_clISt17integral_constantIbLb0EES1U_EEDaS1P_S1Q_EUlS1P_E_NS1_11comp_targetILNS1_3genE0ELNS1_11target_archE4294967295ELNS1_3gpuE0ELNS1_3repE0EEENS1_30default_config_static_selectorELNS0_4arch9wavefront6targetE0EEEvS12_.kd
    .uniform_work_group_size: 1
    .uses_dynamic_stack: false
    .vgpr_count:     0
    .vgpr_spill_count: 0
    .wavefront_size: 32
    .workgroup_processor_mode: 1
  - .args:
      - .offset:         0
        .size:           176
        .value_kind:     by_value
    .group_segment_fixed_size: 0
    .kernarg_segment_align: 8
    .kernarg_segment_size: 176
    .language:       OpenCL C
    .language_version:
      - 2
      - 0
    .max_flat_workgroup_size: 256
    .name:           _ZN7rocprim17ROCPRIM_400000_NS6detail17trampoline_kernelINS0_13select_configILj256ELj13ELNS0_17block_load_methodE3ELS4_3ELS4_3ELNS0_20block_scan_algorithmE0ELj4294967295EEENS1_25partition_config_selectorILNS1_17partition_subalgoE4EjNS0_10empty_typeEbEEZZNS1_14partition_implILS8_4ELb0ES6_15HIP_vector_typeIjLj2EENS0_17counting_iteratorIjlEEPS9_SG_NS0_5tupleIJPjSI_NS0_16reverse_iteratorISI_EEEEENSH_IJSG_SG_SG_EEES9_SI_JZNS1_25segmented_radix_sort_implINS0_14default_configELb0EPKbPbPKlPlN2at6native12_GLOBAL__N_18offset_tEEE10hipError_tPvRmT1_PNSt15iterator_traitsIS12_E10value_typeET2_T3_PNS13_IS18_E10value_typeET4_jRbjT5_S1E_jjP12ihipStream_tbEUljE_ZNSN_ISO_Lb0ESQ_SR_ST_SU_SY_EESZ_S10_S11_S12_S16_S17_S18_S1B_S1C_jS1D_jS1E_S1E_jjS1G_bEUljE0_EEESZ_S10_S11_S18_S1C_S1E_T6_T7_T9_mT8_S1G_bDpT10_ENKUlT_T0_E_clISt17integral_constantIbLb0EES1U_EEDaS1P_S1Q_EUlS1P_E_NS1_11comp_targetILNS1_3genE5ELNS1_11target_archE942ELNS1_3gpuE9ELNS1_3repE0EEENS1_30default_config_static_selectorELNS0_4arch9wavefront6targetE0EEEvS12_
    .private_segment_fixed_size: 0
    .sgpr_count:     0
    .sgpr_spill_count: 0
    .symbol:         _ZN7rocprim17ROCPRIM_400000_NS6detail17trampoline_kernelINS0_13select_configILj256ELj13ELNS0_17block_load_methodE3ELS4_3ELS4_3ELNS0_20block_scan_algorithmE0ELj4294967295EEENS1_25partition_config_selectorILNS1_17partition_subalgoE4EjNS0_10empty_typeEbEEZZNS1_14partition_implILS8_4ELb0ES6_15HIP_vector_typeIjLj2EENS0_17counting_iteratorIjlEEPS9_SG_NS0_5tupleIJPjSI_NS0_16reverse_iteratorISI_EEEEENSH_IJSG_SG_SG_EEES9_SI_JZNS1_25segmented_radix_sort_implINS0_14default_configELb0EPKbPbPKlPlN2at6native12_GLOBAL__N_18offset_tEEE10hipError_tPvRmT1_PNSt15iterator_traitsIS12_E10value_typeET2_T3_PNS13_IS18_E10value_typeET4_jRbjT5_S1E_jjP12ihipStream_tbEUljE_ZNSN_ISO_Lb0ESQ_SR_ST_SU_SY_EESZ_S10_S11_S12_S16_S17_S18_S1B_S1C_jS1D_jS1E_S1E_jjS1G_bEUljE0_EEESZ_S10_S11_S18_S1C_S1E_T6_T7_T9_mT8_S1G_bDpT10_ENKUlT_T0_E_clISt17integral_constantIbLb0EES1U_EEDaS1P_S1Q_EUlS1P_E_NS1_11comp_targetILNS1_3genE5ELNS1_11target_archE942ELNS1_3gpuE9ELNS1_3repE0EEENS1_30default_config_static_selectorELNS0_4arch9wavefront6targetE0EEEvS12_.kd
    .uniform_work_group_size: 1
    .uses_dynamic_stack: false
    .vgpr_count:     0
    .vgpr_spill_count: 0
    .wavefront_size: 32
    .workgroup_processor_mode: 1
  - .args:
      - .offset:         0
        .size:           176
        .value_kind:     by_value
    .group_segment_fixed_size: 0
    .kernarg_segment_align: 8
    .kernarg_segment_size: 176
    .language:       OpenCL C
    .language_version:
      - 2
      - 0
    .max_flat_workgroup_size: 256
    .name:           _ZN7rocprim17ROCPRIM_400000_NS6detail17trampoline_kernelINS0_13select_configILj256ELj13ELNS0_17block_load_methodE3ELS4_3ELS4_3ELNS0_20block_scan_algorithmE0ELj4294967295EEENS1_25partition_config_selectorILNS1_17partition_subalgoE4EjNS0_10empty_typeEbEEZZNS1_14partition_implILS8_4ELb0ES6_15HIP_vector_typeIjLj2EENS0_17counting_iteratorIjlEEPS9_SG_NS0_5tupleIJPjSI_NS0_16reverse_iteratorISI_EEEEENSH_IJSG_SG_SG_EEES9_SI_JZNS1_25segmented_radix_sort_implINS0_14default_configELb0EPKbPbPKlPlN2at6native12_GLOBAL__N_18offset_tEEE10hipError_tPvRmT1_PNSt15iterator_traitsIS12_E10value_typeET2_T3_PNS13_IS18_E10value_typeET4_jRbjT5_S1E_jjP12ihipStream_tbEUljE_ZNSN_ISO_Lb0ESQ_SR_ST_SU_SY_EESZ_S10_S11_S12_S16_S17_S18_S1B_S1C_jS1D_jS1E_S1E_jjS1G_bEUljE0_EEESZ_S10_S11_S18_S1C_S1E_T6_T7_T9_mT8_S1G_bDpT10_ENKUlT_T0_E_clISt17integral_constantIbLb0EES1U_EEDaS1P_S1Q_EUlS1P_E_NS1_11comp_targetILNS1_3genE4ELNS1_11target_archE910ELNS1_3gpuE8ELNS1_3repE0EEENS1_30default_config_static_selectorELNS0_4arch9wavefront6targetE0EEEvS12_
    .private_segment_fixed_size: 0
    .sgpr_count:     0
    .sgpr_spill_count: 0
    .symbol:         _ZN7rocprim17ROCPRIM_400000_NS6detail17trampoline_kernelINS0_13select_configILj256ELj13ELNS0_17block_load_methodE3ELS4_3ELS4_3ELNS0_20block_scan_algorithmE0ELj4294967295EEENS1_25partition_config_selectorILNS1_17partition_subalgoE4EjNS0_10empty_typeEbEEZZNS1_14partition_implILS8_4ELb0ES6_15HIP_vector_typeIjLj2EENS0_17counting_iteratorIjlEEPS9_SG_NS0_5tupleIJPjSI_NS0_16reverse_iteratorISI_EEEEENSH_IJSG_SG_SG_EEES9_SI_JZNS1_25segmented_radix_sort_implINS0_14default_configELb0EPKbPbPKlPlN2at6native12_GLOBAL__N_18offset_tEEE10hipError_tPvRmT1_PNSt15iterator_traitsIS12_E10value_typeET2_T3_PNS13_IS18_E10value_typeET4_jRbjT5_S1E_jjP12ihipStream_tbEUljE_ZNSN_ISO_Lb0ESQ_SR_ST_SU_SY_EESZ_S10_S11_S12_S16_S17_S18_S1B_S1C_jS1D_jS1E_S1E_jjS1G_bEUljE0_EEESZ_S10_S11_S18_S1C_S1E_T6_T7_T9_mT8_S1G_bDpT10_ENKUlT_T0_E_clISt17integral_constantIbLb0EES1U_EEDaS1P_S1Q_EUlS1P_E_NS1_11comp_targetILNS1_3genE4ELNS1_11target_archE910ELNS1_3gpuE8ELNS1_3repE0EEENS1_30default_config_static_selectorELNS0_4arch9wavefront6targetE0EEEvS12_.kd
    .uniform_work_group_size: 1
    .uses_dynamic_stack: false
    .vgpr_count:     0
    .vgpr_spill_count: 0
    .wavefront_size: 32
    .workgroup_processor_mode: 1
  - .args:
      - .offset:         0
        .size:           176
        .value_kind:     by_value
    .group_segment_fixed_size: 0
    .kernarg_segment_align: 8
    .kernarg_segment_size: 176
    .language:       OpenCL C
    .language_version:
      - 2
      - 0
    .max_flat_workgroup_size: 256
    .name:           _ZN7rocprim17ROCPRIM_400000_NS6detail17trampoline_kernelINS0_13select_configILj256ELj13ELNS0_17block_load_methodE3ELS4_3ELS4_3ELNS0_20block_scan_algorithmE0ELj4294967295EEENS1_25partition_config_selectorILNS1_17partition_subalgoE4EjNS0_10empty_typeEbEEZZNS1_14partition_implILS8_4ELb0ES6_15HIP_vector_typeIjLj2EENS0_17counting_iteratorIjlEEPS9_SG_NS0_5tupleIJPjSI_NS0_16reverse_iteratorISI_EEEEENSH_IJSG_SG_SG_EEES9_SI_JZNS1_25segmented_radix_sort_implINS0_14default_configELb0EPKbPbPKlPlN2at6native12_GLOBAL__N_18offset_tEEE10hipError_tPvRmT1_PNSt15iterator_traitsIS12_E10value_typeET2_T3_PNS13_IS18_E10value_typeET4_jRbjT5_S1E_jjP12ihipStream_tbEUljE_ZNSN_ISO_Lb0ESQ_SR_ST_SU_SY_EESZ_S10_S11_S12_S16_S17_S18_S1B_S1C_jS1D_jS1E_S1E_jjS1G_bEUljE0_EEESZ_S10_S11_S18_S1C_S1E_T6_T7_T9_mT8_S1G_bDpT10_ENKUlT_T0_E_clISt17integral_constantIbLb0EES1U_EEDaS1P_S1Q_EUlS1P_E_NS1_11comp_targetILNS1_3genE3ELNS1_11target_archE908ELNS1_3gpuE7ELNS1_3repE0EEENS1_30default_config_static_selectorELNS0_4arch9wavefront6targetE0EEEvS12_
    .private_segment_fixed_size: 0
    .sgpr_count:     0
    .sgpr_spill_count: 0
    .symbol:         _ZN7rocprim17ROCPRIM_400000_NS6detail17trampoline_kernelINS0_13select_configILj256ELj13ELNS0_17block_load_methodE3ELS4_3ELS4_3ELNS0_20block_scan_algorithmE0ELj4294967295EEENS1_25partition_config_selectorILNS1_17partition_subalgoE4EjNS0_10empty_typeEbEEZZNS1_14partition_implILS8_4ELb0ES6_15HIP_vector_typeIjLj2EENS0_17counting_iteratorIjlEEPS9_SG_NS0_5tupleIJPjSI_NS0_16reverse_iteratorISI_EEEEENSH_IJSG_SG_SG_EEES9_SI_JZNS1_25segmented_radix_sort_implINS0_14default_configELb0EPKbPbPKlPlN2at6native12_GLOBAL__N_18offset_tEEE10hipError_tPvRmT1_PNSt15iterator_traitsIS12_E10value_typeET2_T3_PNS13_IS18_E10value_typeET4_jRbjT5_S1E_jjP12ihipStream_tbEUljE_ZNSN_ISO_Lb0ESQ_SR_ST_SU_SY_EESZ_S10_S11_S12_S16_S17_S18_S1B_S1C_jS1D_jS1E_S1E_jjS1G_bEUljE0_EEESZ_S10_S11_S18_S1C_S1E_T6_T7_T9_mT8_S1G_bDpT10_ENKUlT_T0_E_clISt17integral_constantIbLb0EES1U_EEDaS1P_S1Q_EUlS1P_E_NS1_11comp_targetILNS1_3genE3ELNS1_11target_archE908ELNS1_3gpuE7ELNS1_3repE0EEENS1_30default_config_static_selectorELNS0_4arch9wavefront6targetE0EEEvS12_.kd
    .uniform_work_group_size: 1
    .uses_dynamic_stack: false
    .vgpr_count:     0
    .vgpr_spill_count: 0
    .wavefront_size: 32
    .workgroup_processor_mode: 1
  - .args:
      - .offset:         0
        .size:           176
        .value_kind:     by_value
    .group_segment_fixed_size: 0
    .kernarg_segment_align: 8
    .kernarg_segment_size: 176
    .language:       OpenCL C
    .language_version:
      - 2
      - 0
    .max_flat_workgroup_size: 256
    .name:           _ZN7rocprim17ROCPRIM_400000_NS6detail17trampoline_kernelINS0_13select_configILj256ELj13ELNS0_17block_load_methodE3ELS4_3ELS4_3ELNS0_20block_scan_algorithmE0ELj4294967295EEENS1_25partition_config_selectorILNS1_17partition_subalgoE4EjNS0_10empty_typeEbEEZZNS1_14partition_implILS8_4ELb0ES6_15HIP_vector_typeIjLj2EENS0_17counting_iteratorIjlEEPS9_SG_NS0_5tupleIJPjSI_NS0_16reverse_iteratorISI_EEEEENSH_IJSG_SG_SG_EEES9_SI_JZNS1_25segmented_radix_sort_implINS0_14default_configELb0EPKbPbPKlPlN2at6native12_GLOBAL__N_18offset_tEEE10hipError_tPvRmT1_PNSt15iterator_traitsIS12_E10value_typeET2_T3_PNS13_IS18_E10value_typeET4_jRbjT5_S1E_jjP12ihipStream_tbEUljE_ZNSN_ISO_Lb0ESQ_SR_ST_SU_SY_EESZ_S10_S11_S12_S16_S17_S18_S1B_S1C_jS1D_jS1E_S1E_jjS1G_bEUljE0_EEESZ_S10_S11_S18_S1C_S1E_T6_T7_T9_mT8_S1G_bDpT10_ENKUlT_T0_E_clISt17integral_constantIbLb0EES1U_EEDaS1P_S1Q_EUlS1P_E_NS1_11comp_targetILNS1_3genE2ELNS1_11target_archE906ELNS1_3gpuE6ELNS1_3repE0EEENS1_30default_config_static_selectorELNS0_4arch9wavefront6targetE0EEEvS12_
    .private_segment_fixed_size: 0
    .sgpr_count:     0
    .sgpr_spill_count: 0
    .symbol:         _ZN7rocprim17ROCPRIM_400000_NS6detail17trampoline_kernelINS0_13select_configILj256ELj13ELNS0_17block_load_methodE3ELS4_3ELS4_3ELNS0_20block_scan_algorithmE0ELj4294967295EEENS1_25partition_config_selectorILNS1_17partition_subalgoE4EjNS0_10empty_typeEbEEZZNS1_14partition_implILS8_4ELb0ES6_15HIP_vector_typeIjLj2EENS0_17counting_iteratorIjlEEPS9_SG_NS0_5tupleIJPjSI_NS0_16reverse_iteratorISI_EEEEENSH_IJSG_SG_SG_EEES9_SI_JZNS1_25segmented_radix_sort_implINS0_14default_configELb0EPKbPbPKlPlN2at6native12_GLOBAL__N_18offset_tEEE10hipError_tPvRmT1_PNSt15iterator_traitsIS12_E10value_typeET2_T3_PNS13_IS18_E10value_typeET4_jRbjT5_S1E_jjP12ihipStream_tbEUljE_ZNSN_ISO_Lb0ESQ_SR_ST_SU_SY_EESZ_S10_S11_S12_S16_S17_S18_S1B_S1C_jS1D_jS1E_S1E_jjS1G_bEUljE0_EEESZ_S10_S11_S18_S1C_S1E_T6_T7_T9_mT8_S1G_bDpT10_ENKUlT_T0_E_clISt17integral_constantIbLb0EES1U_EEDaS1P_S1Q_EUlS1P_E_NS1_11comp_targetILNS1_3genE2ELNS1_11target_archE906ELNS1_3gpuE6ELNS1_3repE0EEENS1_30default_config_static_selectorELNS0_4arch9wavefront6targetE0EEEvS12_.kd
    .uniform_work_group_size: 1
    .uses_dynamic_stack: false
    .vgpr_count:     0
    .vgpr_spill_count: 0
    .wavefront_size: 32
    .workgroup_processor_mode: 1
  - .args:
      - .offset:         0
        .size:           176
        .value_kind:     by_value
    .group_segment_fixed_size: 13328
    .kernarg_segment_align: 8
    .kernarg_segment_size: 176
    .language:       OpenCL C
    .language_version:
      - 2
      - 0
    .max_flat_workgroup_size: 256
    .name:           _ZN7rocprim17ROCPRIM_400000_NS6detail17trampoline_kernelINS0_13select_configILj256ELj13ELNS0_17block_load_methodE3ELS4_3ELS4_3ELNS0_20block_scan_algorithmE0ELj4294967295EEENS1_25partition_config_selectorILNS1_17partition_subalgoE4EjNS0_10empty_typeEbEEZZNS1_14partition_implILS8_4ELb0ES6_15HIP_vector_typeIjLj2EENS0_17counting_iteratorIjlEEPS9_SG_NS0_5tupleIJPjSI_NS0_16reverse_iteratorISI_EEEEENSH_IJSG_SG_SG_EEES9_SI_JZNS1_25segmented_radix_sort_implINS0_14default_configELb0EPKbPbPKlPlN2at6native12_GLOBAL__N_18offset_tEEE10hipError_tPvRmT1_PNSt15iterator_traitsIS12_E10value_typeET2_T3_PNS13_IS18_E10value_typeET4_jRbjT5_S1E_jjP12ihipStream_tbEUljE_ZNSN_ISO_Lb0ESQ_SR_ST_SU_SY_EESZ_S10_S11_S12_S16_S17_S18_S1B_S1C_jS1D_jS1E_S1E_jjS1G_bEUljE0_EEESZ_S10_S11_S18_S1C_S1E_T6_T7_T9_mT8_S1G_bDpT10_ENKUlT_T0_E_clISt17integral_constantIbLb0EES1U_EEDaS1P_S1Q_EUlS1P_E_NS1_11comp_targetILNS1_3genE10ELNS1_11target_archE1200ELNS1_3gpuE4ELNS1_3repE0EEENS1_30default_config_static_selectorELNS0_4arch9wavefront6targetE0EEEvS12_
    .private_segment_fixed_size: 0
    .sgpr_count:     60
    .sgpr_spill_count: 0
    .symbol:         _ZN7rocprim17ROCPRIM_400000_NS6detail17trampoline_kernelINS0_13select_configILj256ELj13ELNS0_17block_load_methodE3ELS4_3ELS4_3ELNS0_20block_scan_algorithmE0ELj4294967295EEENS1_25partition_config_selectorILNS1_17partition_subalgoE4EjNS0_10empty_typeEbEEZZNS1_14partition_implILS8_4ELb0ES6_15HIP_vector_typeIjLj2EENS0_17counting_iteratorIjlEEPS9_SG_NS0_5tupleIJPjSI_NS0_16reverse_iteratorISI_EEEEENSH_IJSG_SG_SG_EEES9_SI_JZNS1_25segmented_radix_sort_implINS0_14default_configELb0EPKbPbPKlPlN2at6native12_GLOBAL__N_18offset_tEEE10hipError_tPvRmT1_PNSt15iterator_traitsIS12_E10value_typeET2_T3_PNS13_IS18_E10value_typeET4_jRbjT5_S1E_jjP12ihipStream_tbEUljE_ZNSN_ISO_Lb0ESQ_SR_ST_SU_SY_EESZ_S10_S11_S12_S16_S17_S18_S1B_S1C_jS1D_jS1E_S1E_jjS1G_bEUljE0_EEESZ_S10_S11_S18_S1C_S1E_T6_T7_T9_mT8_S1G_bDpT10_ENKUlT_T0_E_clISt17integral_constantIbLb0EES1U_EEDaS1P_S1Q_EUlS1P_E_NS1_11comp_targetILNS1_3genE10ELNS1_11target_archE1200ELNS1_3gpuE4ELNS1_3repE0EEENS1_30default_config_static_selectorELNS0_4arch9wavefront6targetE0EEEvS12_.kd
    .uniform_work_group_size: 1
    .uses_dynamic_stack: false
    .vgpr_count:     93
    .vgpr_spill_count: 0
    .wavefront_size: 32
    .workgroup_processor_mode: 1
  - .args:
      - .offset:         0
        .size:           176
        .value_kind:     by_value
    .group_segment_fixed_size: 0
    .kernarg_segment_align: 8
    .kernarg_segment_size: 176
    .language:       OpenCL C
    .language_version:
      - 2
      - 0
    .max_flat_workgroup_size: 256
    .name:           _ZN7rocprim17ROCPRIM_400000_NS6detail17trampoline_kernelINS0_13select_configILj256ELj13ELNS0_17block_load_methodE3ELS4_3ELS4_3ELNS0_20block_scan_algorithmE0ELj4294967295EEENS1_25partition_config_selectorILNS1_17partition_subalgoE4EjNS0_10empty_typeEbEEZZNS1_14partition_implILS8_4ELb0ES6_15HIP_vector_typeIjLj2EENS0_17counting_iteratorIjlEEPS9_SG_NS0_5tupleIJPjSI_NS0_16reverse_iteratorISI_EEEEENSH_IJSG_SG_SG_EEES9_SI_JZNS1_25segmented_radix_sort_implINS0_14default_configELb0EPKbPbPKlPlN2at6native12_GLOBAL__N_18offset_tEEE10hipError_tPvRmT1_PNSt15iterator_traitsIS12_E10value_typeET2_T3_PNS13_IS18_E10value_typeET4_jRbjT5_S1E_jjP12ihipStream_tbEUljE_ZNSN_ISO_Lb0ESQ_SR_ST_SU_SY_EESZ_S10_S11_S12_S16_S17_S18_S1B_S1C_jS1D_jS1E_S1E_jjS1G_bEUljE0_EEESZ_S10_S11_S18_S1C_S1E_T6_T7_T9_mT8_S1G_bDpT10_ENKUlT_T0_E_clISt17integral_constantIbLb0EES1U_EEDaS1P_S1Q_EUlS1P_E_NS1_11comp_targetILNS1_3genE9ELNS1_11target_archE1100ELNS1_3gpuE3ELNS1_3repE0EEENS1_30default_config_static_selectorELNS0_4arch9wavefront6targetE0EEEvS12_
    .private_segment_fixed_size: 0
    .sgpr_count:     0
    .sgpr_spill_count: 0
    .symbol:         _ZN7rocprim17ROCPRIM_400000_NS6detail17trampoline_kernelINS0_13select_configILj256ELj13ELNS0_17block_load_methodE3ELS4_3ELS4_3ELNS0_20block_scan_algorithmE0ELj4294967295EEENS1_25partition_config_selectorILNS1_17partition_subalgoE4EjNS0_10empty_typeEbEEZZNS1_14partition_implILS8_4ELb0ES6_15HIP_vector_typeIjLj2EENS0_17counting_iteratorIjlEEPS9_SG_NS0_5tupleIJPjSI_NS0_16reverse_iteratorISI_EEEEENSH_IJSG_SG_SG_EEES9_SI_JZNS1_25segmented_radix_sort_implINS0_14default_configELb0EPKbPbPKlPlN2at6native12_GLOBAL__N_18offset_tEEE10hipError_tPvRmT1_PNSt15iterator_traitsIS12_E10value_typeET2_T3_PNS13_IS18_E10value_typeET4_jRbjT5_S1E_jjP12ihipStream_tbEUljE_ZNSN_ISO_Lb0ESQ_SR_ST_SU_SY_EESZ_S10_S11_S12_S16_S17_S18_S1B_S1C_jS1D_jS1E_S1E_jjS1G_bEUljE0_EEESZ_S10_S11_S18_S1C_S1E_T6_T7_T9_mT8_S1G_bDpT10_ENKUlT_T0_E_clISt17integral_constantIbLb0EES1U_EEDaS1P_S1Q_EUlS1P_E_NS1_11comp_targetILNS1_3genE9ELNS1_11target_archE1100ELNS1_3gpuE3ELNS1_3repE0EEENS1_30default_config_static_selectorELNS0_4arch9wavefront6targetE0EEEvS12_.kd
    .uniform_work_group_size: 1
    .uses_dynamic_stack: false
    .vgpr_count:     0
    .vgpr_spill_count: 0
    .wavefront_size: 32
    .workgroup_processor_mode: 1
  - .args:
      - .offset:         0
        .size:           176
        .value_kind:     by_value
    .group_segment_fixed_size: 0
    .kernarg_segment_align: 8
    .kernarg_segment_size: 176
    .language:       OpenCL C
    .language_version:
      - 2
      - 0
    .max_flat_workgroup_size: 256
    .name:           _ZN7rocprim17ROCPRIM_400000_NS6detail17trampoline_kernelINS0_13select_configILj256ELj13ELNS0_17block_load_methodE3ELS4_3ELS4_3ELNS0_20block_scan_algorithmE0ELj4294967295EEENS1_25partition_config_selectorILNS1_17partition_subalgoE4EjNS0_10empty_typeEbEEZZNS1_14partition_implILS8_4ELb0ES6_15HIP_vector_typeIjLj2EENS0_17counting_iteratorIjlEEPS9_SG_NS0_5tupleIJPjSI_NS0_16reverse_iteratorISI_EEEEENSH_IJSG_SG_SG_EEES9_SI_JZNS1_25segmented_radix_sort_implINS0_14default_configELb0EPKbPbPKlPlN2at6native12_GLOBAL__N_18offset_tEEE10hipError_tPvRmT1_PNSt15iterator_traitsIS12_E10value_typeET2_T3_PNS13_IS18_E10value_typeET4_jRbjT5_S1E_jjP12ihipStream_tbEUljE_ZNSN_ISO_Lb0ESQ_SR_ST_SU_SY_EESZ_S10_S11_S12_S16_S17_S18_S1B_S1C_jS1D_jS1E_S1E_jjS1G_bEUljE0_EEESZ_S10_S11_S18_S1C_S1E_T6_T7_T9_mT8_S1G_bDpT10_ENKUlT_T0_E_clISt17integral_constantIbLb0EES1U_EEDaS1P_S1Q_EUlS1P_E_NS1_11comp_targetILNS1_3genE8ELNS1_11target_archE1030ELNS1_3gpuE2ELNS1_3repE0EEENS1_30default_config_static_selectorELNS0_4arch9wavefront6targetE0EEEvS12_
    .private_segment_fixed_size: 0
    .sgpr_count:     0
    .sgpr_spill_count: 0
    .symbol:         _ZN7rocprim17ROCPRIM_400000_NS6detail17trampoline_kernelINS0_13select_configILj256ELj13ELNS0_17block_load_methodE3ELS4_3ELS4_3ELNS0_20block_scan_algorithmE0ELj4294967295EEENS1_25partition_config_selectorILNS1_17partition_subalgoE4EjNS0_10empty_typeEbEEZZNS1_14partition_implILS8_4ELb0ES6_15HIP_vector_typeIjLj2EENS0_17counting_iteratorIjlEEPS9_SG_NS0_5tupleIJPjSI_NS0_16reverse_iteratorISI_EEEEENSH_IJSG_SG_SG_EEES9_SI_JZNS1_25segmented_radix_sort_implINS0_14default_configELb0EPKbPbPKlPlN2at6native12_GLOBAL__N_18offset_tEEE10hipError_tPvRmT1_PNSt15iterator_traitsIS12_E10value_typeET2_T3_PNS13_IS18_E10value_typeET4_jRbjT5_S1E_jjP12ihipStream_tbEUljE_ZNSN_ISO_Lb0ESQ_SR_ST_SU_SY_EESZ_S10_S11_S12_S16_S17_S18_S1B_S1C_jS1D_jS1E_S1E_jjS1G_bEUljE0_EEESZ_S10_S11_S18_S1C_S1E_T6_T7_T9_mT8_S1G_bDpT10_ENKUlT_T0_E_clISt17integral_constantIbLb0EES1U_EEDaS1P_S1Q_EUlS1P_E_NS1_11comp_targetILNS1_3genE8ELNS1_11target_archE1030ELNS1_3gpuE2ELNS1_3repE0EEENS1_30default_config_static_selectorELNS0_4arch9wavefront6targetE0EEEvS12_.kd
    .uniform_work_group_size: 1
    .uses_dynamic_stack: false
    .vgpr_count:     0
    .vgpr_spill_count: 0
    .wavefront_size: 32
    .workgroup_processor_mode: 1
  - .args:
      - .offset:         0
        .size:           184
        .value_kind:     by_value
    .group_segment_fixed_size: 0
    .kernarg_segment_align: 8
    .kernarg_segment_size: 184
    .language:       OpenCL C
    .language_version:
      - 2
      - 0
    .max_flat_workgroup_size: 256
    .name:           _ZN7rocprim17ROCPRIM_400000_NS6detail17trampoline_kernelINS0_13select_configILj256ELj13ELNS0_17block_load_methodE3ELS4_3ELS4_3ELNS0_20block_scan_algorithmE0ELj4294967295EEENS1_25partition_config_selectorILNS1_17partition_subalgoE4EjNS0_10empty_typeEbEEZZNS1_14partition_implILS8_4ELb0ES6_15HIP_vector_typeIjLj2EENS0_17counting_iteratorIjlEEPS9_SG_NS0_5tupleIJPjSI_NS0_16reverse_iteratorISI_EEEEENSH_IJSG_SG_SG_EEES9_SI_JZNS1_25segmented_radix_sort_implINS0_14default_configELb0EPKbPbPKlPlN2at6native12_GLOBAL__N_18offset_tEEE10hipError_tPvRmT1_PNSt15iterator_traitsIS12_E10value_typeET2_T3_PNS13_IS18_E10value_typeET4_jRbjT5_S1E_jjP12ihipStream_tbEUljE_ZNSN_ISO_Lb0ESQ_SR_ST_SU_SY_EESZ_S10_S11_S12_S16_S17_S18_S1B_S1C_jS1D_jS1E_S1E_jjS1G_bEUljE0_EEESZ_S10_S11_S18_S1C_S1E_T6_T7_T9_mT8_S1G_bDpT10_ENKUlT_T0_E_clISt17integral_constantIbLb1EES1U_EEDaS1P_S1Q_EUlS1P_E_NS1_11comp_targetILNS1_3genE0ELNS1_11target_archE4294967295ELNS1_3gpuE0ELNS1_3repE0EEENS1_30default_config_static_selectorELNS0_4arch9wavefront6targetE0EEEvS12_
    .private_segment_fixed_size: 0
    .sgpr_count:     0
    .sgpr_spill_count: 0
    .symbol:         _ZN7rocprim17ROCPRIM_400000_NS6detail17trampoline_kernelINS0_13select_configILj256ELj13ELNS0_17block_load_methodE3ELS4_3ELS4_3ELNS0_20block_scan_algorithmE0ELj4294967295EEENS1_25partition_config_selectorILNS1_17partition_subalgoE4EjNS0_10empty_typeEbEEZZNS1_14partition_implILS8_4ELb0ES6_15HIP_vector_typeIjLj2EENS0_17counting_iteratorIjlEEPS9_SG_NS0_5tupleIJPjSI_NS0_16reverse_iteratorISI_EEEEENSH_IJSG_SG_SG_EEES9_SI_JZNS1_25segmented_radix_sort_implINS0_14default_configELb0EPKbPbPKlPlN2at6native12_GLOBAL__N_18offset_tEEE10hipError_tPvRmT1_PNSt15iterator_traitsIS12_E10value_typeET2_T3_PNS13_IS18_E10value_typeET4_jRbjT5_S1E_jjP12ihipStream_tbEUljE_ZNSN_ISO_Lb0ESQ_SR_ST_SU_SY_EESZ_S10_S11_S12_S16_S17_S18_S1B_S1C_jS1D_jS1E_S1E_jjS1G_bEUljE0_EEESZ_S10_S11_S18_S1C_S1E_T6_T7_T9_mT8_S1G_bDpT10_ENKUlT_T0_E_clISt17integral_constantIbLb1EES1U_EEDaS1P_S1Q_EUlS1P_E_NS1_11comp_targetILNS1_3genE0ELNS1_11target_archE4294967295ELNS1_3gpuE0ELNS1_3repE0EEENS1_30default_config_static_selectorELNS0_4arch9wavefront6targetE0EEEvS12_.kd
    .uniform_work_group_size: 1
    .uses_dynamic_stack: false
    .vgpr_count:     0
    .vgpr_spill_count: 0
    .wavefront_size: 32
    .workgroup_processor_mode: 1
  - .args:
      - .offset:         0
        .size:           184
        .value_kind:     by_value
    .group_segment_fixed_size: 0
    .kernarg_segment_align: 8
    .kernarg_segment_size: 184
    .language:       OpenCL C
    .language_version:
      - 2
      - 0
    .max_flat_workgroup_size: 256
    .name:           _ZN7rocprim17ROCPRIM_400000_NS6detail17trampoline_kernelINS0_13select_configILj256ELj13ELNS0_17block_load_methodE3ELS4_3ELS4_3ELNS0_20block_scan_algorithmE0ELj4294967295EEENS1_25partition_config_selectorILNS1_17partition_subalgoE4EjNS0_10empty_typeEbEEZZNS1_14partition_implILS8_4ELb0ES6_15HIP_vector_typeIjLj2EENS0_17counting_iteratorIjlEEPS9_SG_NS0_5tupleIJPjSI_NS0_16reverse_iteratorISI_EEEEENSH_IJSG_SG_SG_EEES9_SI_JZNS1_25segmented_radix_sort_implINS0_14default_configELb0EPKbPbPKlPlN2at6native12_GLOBAL__N_18offset_tEEE10hipError_tPvRmT1_PNSt15iterator_traitsIS12_E10value_typeET2_T3_PNS13_IS18_E10value_typeET4_jRbjT5_S1E_jjP12ihipStream_tbEUljE_ZNSN_ISO_Lb0ESQ_SR_ST_SU_SY_EESZ_S10_S11_S12_S16_S17_S18_S1B_S1C_jS1D_jS1E_S1E_jjS1G_bEUljE0_EEESZ_S10_S11_S18_S1C_S1E_T6_T7_T9_mT8_S1G_bDpT10_ENKUlT_T0_E_clISt17integral_constantIbLb1EES1U_EEDaS1P_S1Q_EUlS1P_E_NS1_11comp_targetILNS1_3genE5ELNS1_11target_archE942ELNS1_3gpuE9ELNS1_3repE0EEENS1_30default_config_static_selectorELNS0_4arch9wavefront6targetE0EEEvS12_
    .private_segment_fixed_size: 0
    .sgpr_count:     0
    .sgpr_spill_count: 0
    .symbol:         _ZN7rocprim17ROCPRIM_400000_NS6detail17trampoline_kernelINS0_13select_configILj256ELj13ELNS0_17block_load_methodE3ELS4_3ELS4_3ELNS0_20block_scan_algorithmE0ELj4294967295EEENS1_25partition_config_selectorILNS1_17partition_subalgoE4EjNS0_10empty_typeEbEEZZNS1_14partition_implILS8_4ELb0ES6_15HIP_vector_typeIjLj2EENS0_17counting_iteratorIjlEEPS9_SG_NS0_5tupleIJPjSI_NS0_16reverse_iteratorISI_EEEEENSH_IJSG_SG_SG_EEES9_SI_JZNS1_25segmented_radix_sort_implINS0_14default_configELb0EPKbPbPKlPlN2at6native12_GLOBAL__N_18offset_tEEE10hipError_tPvRmT1_PNSt15iterator_traitsIS12_E10value_typeET2_T3_PNS13_IS18_E10value_typeET4_jRbjT5_S1E_jjP12ihipStream_tbEUljE_ZNSN_ISO_Lb0ESQ_SR_ST_SU_SY_EESZ_S10_S11_S12_S16_S17_S18_S1B_S1C_jS1D_jS1E_S1E_jjS1G_bEUljE0_EEESZ_S10_S11_S18_S1C_S1E_T6_T7_T9_mT8_S1G_bDpT10_ENKUlT_T0_E_clISt17integral_constantIbLb1EES1U_EEDaS1P_S1Q_EUlS1P_E_NS1_11comp_targetILNS1_3genE5ELNS1_11target_archE942ELNS1_3gpuE9ELNS1_3repE0EEENS1_30default_config_static_selectorELNS0_4arch9wavefront6targetE0EEEvS12_.kd
    .uniform_work_group_size: 1
    .uses_dynamic_stack: false
    .vgpr_count:     0
    .vgpr_spill_count: 0
    .wavefront_size: 32
    .workgroup_processor_mode: 1
  - .args:
      - .offset:         0
        .size:           184
        .value_kind:     by_value
    .group_segment_fixed_size: 0
    .kernarg_segment_align: 8
    .kernarg_segment_size: 184
    .language:       OpenCL C
    .language_version:
      - 2
      - 0
    .max_flat_workgroup_size: 256
    .name:           _ZN7rocprim17ROCPRIM_400000_NS6detail17trampoline_kernelINS0_13select_configILj256ELj13ELNS0_17block_load_methodE3ELS4_3ELS4_3ELNS0_20block_scan_algorithmE0ELj4294967295EEENS1_25partition_config_selectorILNS1_17partition_subalgoE4EjNS0_10empty_typeEbEEZZNS1_14partition_implILS8_4ELb0ES6_15HIP_vector_typeIjLj2EENS0_17counting_iteratorIjlEEPS9_SG_NS0_5tupleIJPjSI_NS0_16reverse_iteratorISI_EEEEENSH_IJSG_SG_SG_EEES9_SI_JZNS1_25segmented_radix_sort_implINS0_14default_configELb0EPKbPbPKlPlN2at6native12_GLOBAL__N_18offset_tEEE10hipError_tPvRmT1_PNSt15iterator_traitsIS12_E10value_typeET2_T3_PNS13_IS18_E10value_typeET4_jRbjT5_S1E_jjP12ihipStream_tbEUljE_ZNSN_ISO_Lb0ESQ_SR_ST_SU_SY_EESZ_S10_S11_S12_S16_S17_S18_S1B_S1C_jS1D_jS1E_S1E_jjS1G_bEUljE0_EEESZ_S10_S11_S18_S1C_S1E_T6_T7_T9_mT8_S1G_bDpT10_ENKUlT_T0_E_clISt17integral_constantIbLb1EES1U_EEDaS1P_S1Q_EUlS1P_E_NS1_11comp_targetILNS1_3genE4ELNS1_11target_archE910ELNS1_3gpuE8ELNS1_3repE0EEENS1_30default_config_static_selectorELNS0_4arch9wavefront6targetE0EEEvS12_
    .private_segment_fixed_size: 0
    .sgpr_count:     0
    .sgpr_spill_count: 0
    .symbol:         _ZN7rocprim17ROCPRIM_400000_NS6detail17trampoline_kernelINS0_13select_configILj256ELj13ELNS0_17block_load_methodE3ELS4_3ELS4_3ELNS0_20block_scan_algorithmE0ELj4294967295EEENS1_25partition_config_selectorILNS1_17partition_subalgoE4EjNS0_10empty_typeEbEEZZNS1_14partition_implILS8_4ELb0ES6_15HIP_vector_typeIjLj2EENS0_17counting_iteratorIjlEEPS9_SG_NS0_5tupleIJPjSI_NS0_16reverse_iteratorISI_EEEEENSH_IJSG_SG_SG_EEES9_SI_JZNS1_25segmented_radix_sort_implINS0_14default_configELb0EPKbPbPKlPlN2at6native12_GLOBAL__N_18offset_tEEE10hipError_tPvRmT1_PNSt15iterator_traitsIS12_E10value_typeET2_T3_PNS13_IS18_E10value_typeET4_jRbjT5_S1E_jjP12ihipStream_tbEUljE_ZNSN_ISO_Lb0ESQ_SR_ST_SU_SY_EESZ_S10_S11_S12_S16_S17_S18_S1B_S1C_jS1D_jS1E_S1E_jjS1G_bEUljE0_EEESZ_S10_S11_S18_S1C_S1E_T6_T7_T9_mT8_S1G_bDpT10_ENKUlT_T0_E_clISt17integral_constantIbLb1EES1U_EEDaS1P_S1Q_EUlS1P_E_NS1_11comp_targetILNS1_3genE4ELNS1_11target_archE910ELNS1_3gpuE8ELNS1_3repE0EEENS1_30default_config_static_selectorELNS0_4arch9wavefront6targetE0EEEvS12_.kd
    .uniform_work_group_size: 1
    .uses_dynamic_stack: false
    .vgpr_count:     0
    .vgpr_spill_count: 0
    .wavefront_size: 32
    .workgroup_processor_mode: 1
  - .args:
      - .offset:         0
        .size:           184
        .value_kind:     by_value
    .group_segment_fixed_size: 0
    .kernarg_segment_align: 8
    .kernarg_segment_size: 184
    .language:       OpenCL C
    .language_version:
      - 2
      - 0
    .max_flat_workgroup_size: 256
    .name:           _ZN7rocprim17ROCPRIM_400000_NS6detail17trampoline_kernelINS0_13select_configILj256ELj13ELNS0_17block_load_methodE3ELS4_3ELS4_3ELNS0_20block_scan_algorithmE0ELj4294967295EEENS1_25partition_config_selectorILNS1_17partition_subalgoE4EjNS0_10empty_typeEbEEZZNS1_14partition_implILS8_4ELb0ES6_15HIP_vector_typeIjLj2EENS0_17counting_iteratorIjlEEPS9_SG_NS0_5tupleIJPjSI_NS0_16reverse_iteratorISI_EEEEENSH_IJSG_SG_SG_EEES9_SI_JZNS1_25segmented_radix_sort_implINS0_14default_configELb0EPKbPbPKlPlN2at6native12_GLOBAL__N_18offset_tEEE10hipError_tPvRmT1_PNSt15iterator_traitsIS12_E10value_typeET2_T3_PNS13_IS18_E10value_typeET4_jRbjT5_S1E_jjP12ihipStream_tbEUljE_ZNSN_ISO_Lb0ESQ_SR_ST_SU_SY_EESZ_S10_S11_S12_S16_S17_S18_S1B_S1C_jS1D_jS1E_S1E_jjS1G_bEUljE0_EEESZ_S10_S11_S18_S1C_S1E_T6_T7_T9_mT8_S1G_bDpT10_ENKUlT_T0_E_clISt17integral_constantIbLb1EES1U_EEDaS1P_S1Q_EUlS1P_E_NS1_11comp_targetILNS1_3genE3ELNS1_11target_archE908ELNS1_3gpuE7ELNS1_3repE0EEENS1_30default_config_static_selectorELNS0_4arch9wavefront6targetE0EEEvS12_
    .private_segment_fixed_size: 0
    .sgpr_count:     0
    .sgpr_spill_count: 0
    .symbol:         _ZN7rocprim17ROCPRIM_400000_NS6detail17trampoline_kernelINS0_13select_configILj256ELj13ELNS0_17block_load_methodE3ELS4_3ELS4_3ELNS0_20block_scan_algorithmE0ELj4294967295EEENS1_25partition_config_selectorILNS1_17partition_subalgoE4EjNS0_10empty_typeEbEEZZNS1_14partition_implILS8_4ELb0ES6_15HIP_vector_typeIjLj2EENS0_17counting_iteratorIjlEEPS9_SG_NS0_5tupleIJPjSI_NS0_16reverse_iteratorISI_EEEEENSH_IJSG_SG_SG_EEES9_SI_JZNS1_25segmented_radix_sort_implINS0_14default_configELb0EPKbPbPKlPlN2at6native12_GLOBAL__N_18offset_tEEE10hipError_tPvRmT1_PNSt15iterator_traitsIS12_E10value_typeET2_T3_PNS13_IS18_E10value_typeET4_jRbjT5_S1E_jjP12ihipStream_tbEUljE_ZNSN_ISO_Lb0ESQ_SR_ST_SU_SY_EESZ_S10_S11_S12_S16_S17_S18_S1B_S1C_jS1D_jS1E_S1E_jjS1G_bEUljE0_EEESZ_S10_S11_S18_S1C_S1E_T6_T7_T9_mT8_S1G_bDpT10_ENKUlT_T0_E_clISt17integral_constantIbLb1EES1U_EEDaS1P_S1Q_EUlS1P_E_NS1_11comp_targetILNS1_3genE3ELNS1_11target_archE908ELNS1_3gpuE7ELNS1_3repE0EEENS1_30default_config_static_selectorELNS0_4arch9wavefront6targetE0EEEvS12_.kd
    .uniform_work_group_size: 1
    .uses_dynamic_stack: false
    .vgpr_count:     0
    .vgpr_spill_count: 0
    .wavefront_size: 32
    .workgroup_processor_mode: 1
  - .args:
      - .offset:         0
        .size:           184
        .value_kind:     by_value
    .group_segment_fixed_size: 0
    .kernarg_segment_align: 8
    .kernarg_segment_size: 184
    .language:       OpenCL C
    .language_version:
      - 2
      - 0
    .max_flat_workgroup_size: 256
    .name:           _ZN7rocprim17ROCPRIM_400000_NS6detail17trampoline_kernelINS0_13select_configILj256ELj13ELNS0_17block_load_methodE3ELS4_3ELS4_3ELNS0_20block_scan_algorithmE0ELj4294967295EEENS1_25partition_config_selectorILNS1_17partition_subalgoE4EjNS0_10empty_typeEbEEZZNS1_14partition_implILS8_4ELb0ES6_15HIP_vector_typeIjLj2EENS0_17counting_iteratorIjlEEPS9_SG_NS0_5tupleIJPjSI_NS0_16reverse_iteratorISI_EEEEENSH_IJSG_SG_SG_EEES9_SI_JZNS1_25segmented_radix_sort_implINS0_14default_configELb0EPKbPbPKlPlN2at6native12_GLOBAL__N_18offset_tEEE10hipError_tPvRmT1_PNSt15iterator_traitsIS12_E10value_typeET2_T3_PNS13_IS18_E10value_typeET4_jRbjT5_S1E_jjP12ihipStream_tbEUljE_ZNSN_ISO_Lb0ESQ_SR_ST_SU_SY_EESZ_S10_S11_S12_S16_S17_S18_S1B_S1C_jS1D_jS1E_S1E_jjS1G_bEUljE0_EEESZ_S10_S11_S18_S1C_S1E_T6_T7_T9_mT8_S1G_bDpT10_ENKUlT_T0_E_clISt17integral_constantIbLb1EES1U_EEDaS1P_S1Q_EUlS1P_E_NS1_11comp_targetILNS1_3genE2ELNS1_11target_archE906ELNS1_3gpuE6ELNS1_3repE0EEENS1_30default_config_static_selectorELNS0_4arch9wavefront6targetE0EEEvS12_
    .private_segment_fixed_size: 0
    .sgpr_count:     0
    .sgpr_spill_count: 0
    .symbol:         _ZN7rocprim17ROCPRIM_400000_NS6detail17trampoline_kernelINS0_13select_configILj256ELj13ELNS0_17block_load_methodE3ELS4_3ELS4_3ELNS0_20block_scan_algorithmE0ELj4294967295EEENS1_25partition_config_selectorILNS1_17partition_subalgoE4EjNS0_10empty_typeEbEEZZNS1_14partition_implILS8_4ELb0ES6_15HIP_vector_typeIjLj2EENS0_17counting_iteratorIjlEEPS9_SG_NS0_5tupleIJPjSI_NS0_16reverse_iteratorISI_EEEEENSH_IJSG_SG_SG_EEES9_SI_JZNS1_25segmented_radix_sort_implINS0_14default_configELb0EPKbPbPKlPlN2at6native12_GLOBAL__N_18offset_tEEE10hipError_tPvRmT1_PNSt15iterator_traitsIS12_E10value_typeET2_T3_PNS13_IS18_E10value_typeET4_jRbjT5_S1E_jjP12ihipStream_tbEUljE_ZNSN_ISO_Lb0ESQ_SR_ST_SU_SY_EESZ_S10_S11_S12_S16_S17_S18_S1B_S1C_jS1D_jS1E_S1E_jjS1G_bEUljE0_EEESZ_S10_S11_S18_S1C_S1E_T6_T7_T9_mT8_S1G_bDpT10_ENKUlT_T0_E_clISt17integral_constantIbLb1EES1U_EEDaS1P_S1Q_EUlS1P_E_NS1_11comp_targetILNS1_3genE2ELNS1_11target_archE906ELNS1_3gpuE6ELNS1_3repE0EEENS1_30default_config_static_selectorELNS0_4arch9wavefront6targetE0EEEvS12_.kd
    .uniform_work_group_size: 1
    .uses_dynamic_stack: false
    .vgpr_count:     0
    .vgpr_spill_count: 0
    .wavefront_size: 32
    .workgroup_processor_mode: 1
  - .args:
      - .offset:         0
        .size:           184
        .value_kind:     by_value
    .group_segment_fixed_size: 0
    .kernarg_segment_align: 8
    .kernarg_segment_size: 184
    .language:       OpenCL C
    .language_version:
      - 2
      - 0
    .max_flat_workgroup_size: 256
    .name:           _ZN7rocprim17ROCPRIM_400000_NS6detail17trampoline_kernelINS0_13select_configILj256ELj13ELNS0_17block_load_methodE3ELS4_3ELS4_3ELNS0_20block_scan_algorithmE0ELj4294967295EEENS1_25partition_config_selectorILNS1_17partition_subalgoE4EjNS0_10empty_typeEbEEZZNS1_14partition_implILS8_4ELb0ES6_15HIP_vector_typeIjLj2EENS0_17counting_iteratorIjlEEPS9_SG_NS0_5tupleIJPjSI_NS0_16reverse_iteratorISI_EEEEENSH_IJSG_SG_SG_EEES9_SI_JZNS1_25segmented_radix_sort_implINS0_14default_configELb0EPKbPbPKlPlN2at6native12_GLOBAL__N_18offset_tEEE10hipError_tPvRmT1_PNSt15iterator_traitsIS12_E10value_typeET2_T3_PNS13_IS18_E10value_typeET4_jRbjT5_S1E_jjP12ihipStream_tbEUljE_ZNSN_ISO_Lb0ESQ_SR_ST_SU_SY_EESZ_S10_S11_S12_S16_S17_S18_S1B_S1C_jS1D_jS1E_S1E_jjS1G_bEUljE0_EEESZ_S10_S11_S18_S1C_S1E_T6_T7_T9_mT8_S1G_bDpT10_ENKUlT_T0_E_clISt17integral_constantIbLb1EES1U_EEDaS1P_S1Q_EUlS1P_E_NS1_11comp_targetILNS1_3genE10ELNS1_11target_archE1200ELNS1_3gpuE4ELNS1_3repE0EEENS1_30default_config_static_selectorELNS0_4arch9wavefront6targetE0EEEvS12_
    .private_segment_fixed_size: 0
    .sgpr_count:     0
    .sgpr_spill_count: 0
    .symbol:         _ZN7rocprim17ROCPRIM_400000_NS6detail17trampoline_kernelINS0_13select_configILj256ELj13ELNS0_17block_load_methodE3ELS4_3ELS4_3ELNS0_20block_scan_algorithmE0ELj4294967295EEENS1_25partition_config_selectorILNS1_17partition_subalgoE4EjNS0_10empty_typeEbEEZZNS1_14partition_implILS8_4ELb0ES6_15HIP_vector_typeIjLj2EENS0_17counting_iteratorIjlEEPS9_SG_NS0_5tupleIJPjSI_NS0_16reverse_iteratorISI_EEEEENSH_IJSG_SG_SG_EEES9_SI_JZNS1_25segmented_radix_sort_implINS0_14default_configELb0EPKbPbPKlPlN2at6native12_GLOBAL__N_18offset_tEEE10hipError_tPvRmT1_PNSt15iterator_traitsIS12_E10value_typeET2_T3_PNS13_IS18_E10value_typeET4_jRbjT5_S1E_jjP12ihipStream_tbEUljE_ZNSN_ISO_Lb0ESQ_SR_ST_SU_SY_EESZ_S10_S11_S12_S16_S17_S18_S1B_S1C_jS1D_jS1E_S1E_jjS1G_bEUljE0_EEESZ_S10_S11_S18_S1C_S1E_T6_T7_T9_mT8_S1G_bDpT10_ENKUlT_T0_E_clISt17integral_constantIbLb1EES1U_EEDaS1P_S1Q_EUlS1P_E_NS1_11comp_targetILNS1_3genE10ELNS1_11target_archE1200ELNS1_3gpuE4ELNS1_3repE0EEENS1_30default_config_static_selectorELNS0_4arch9wavefront6targetE0EEEvS12_.kd
    .uniform_work_group_size: 1
    .uses_dynamic_stack: false
    .vgpr_count:     0
    .vgpr_spill_count: 0
    .wavefront_size: 32
    .workgroup_processor_mode: 1
  - .args:
      - .offset:         0
        .size:           184
        .value_kind:     by_value
    .group_segment_fixed_size: 0
    .kernarg_segment_align: 8
    .kernarg_segment_size: 184
    .language:       OpenCL C
    .language_version:
      - 2
      - 0
    .max_flat_workgroup_size: 256
    .name:           _ZN7rocprim17ROCPRIM_400000_NS6detail17trampoline_kernelINS0_13select_configILj256ELj13ELNS0_17block_load_methodE3ELS4_3ELS4_3ELNS0_20block_scan_algorithmE0ELj4294967295EEENS1_25partition_config_selectorILNS1_17partition_subalgoE4EjNS0_10empty_typeEbEEZZNS1_14partition_implILS8_4ELb0ES6_15HIP_vector_typeIjLj2EENS0_17counting_iteratorIjlEEPS9_SG_NS0_5tupleIJPjSI_NS0_16reverse_iteratorISI_EEEEENSH_IJSG_SG_SG_EEES9_SI_JZNS1_25segmented_radix_sort_implINS0_14default_configELb0EPKbPbPKlPlN2at6native12_GLOBAL__N_18offset_tEEE10hipError_tPvRmT1_PNSt15iterator_traitsIS12_E10value_typeET2_T3_PNS13_IS18_E10value_typeET4_jRbjT5_S1E_jjP12ihipStream_tbEUljE_ZNSN_ISO_Lb0ESQ_SR_ST_SU_SY_EESZ_S10_S11_S12_S16_S17_S18_S1B_S1C_jS1D_jS1E_S1E_jjS1G_bEUljE0_EEESZ_S10_S11_S18_S1C_S1E_T6_T7_T9_mT8_S1G_bDpT10_ENKUlT_T0_E_clISt17integral_constantIbLb1EES1U_EEDaS1P_S1Q_EUlS1P_E_NS1_11comp_targetILNS1_3genE9ELNS1_11target_archE1100ELNS1_3gpuE3ELNS1_3repE0EEENS1_30default_config_static_selectorELNS0_4arch9wavefront6targetE0EEEvS12_
    .private_segment_fixed_size: 0
    .sgpr_count:     0
    .sgpr_spill_count: 0
    .symbol:         _ZN7rocprim17ROCPRIM_400000_NS6detail17trampoline_kernelINS0_13select_configILj256ELj13ELNS0_17block_load_methodE3ELS4_3ELS4_3ELNS0_20block_scan_algorithmE0ELj4294967295EEENS1_25partition_config_selectorILNS1_17partition_subalgoE4EjNS0_10empty_typeEbEEZZNS1_14partition_implILS8_4ELb0ES6_15HIP_vector_typeIjLj2EENS0_17counting_iteratorIjlEEPS9_SG_NS0_5tupleIJPjSI_NS0_16reverse_iteratorISI_EEEEENSH_IJSG_SG_SG_EEES9_SI_JZNS1_25segmented_radix_sort_implINS0_14default_configELb0EPKbPbPKlPlN2at6native12_GLOBAL__N_18offset_tEEE10hipError_tPvRmT1_PNSt15iterator_traitsIS12_E10value_typeET2_T3_PNS13_IS18_E10value_typeET4_jRbjT5_S1E_jjP12ihipStream_tbEUljE_ZNSN_ISO_Lb0ESQ_SR_ST_SU_SY_EESZ_S10_S11_S12_S16_S17_S18_S1B_S1C_jS1D_jS1E_S1E_jjS1G_bEUljE0_EEESZ_S10_S11_S18_S1C_S1E_T6_T7_T9_mT8_S1G_bDpT10_ENKUlT_T0_E_clISt17integral_constantIbLb1EES1U_EEDaS1P_S1Q_EUlS1P_E_NS1_11comp_targetILNS1_3genE9ELNS1_11target_archE1100ELNS1_3gpuE3ELNS1_3repE0EEENS1_30default_config_static_selectorELNS0_4arch9wavefront6targetE0EEEvS12_.kd
    .uniform_work_group_size: 1
    .uses_dynamic_stack: false
    .vgpr_count:     0
    .vgpr_spill_count: 0
    .wavefront_size: 32
    .workgroup_processor_mode: 1
  - .args:
      - .offset:         0
        .size:           184
        .value_kind:     by_value
    .group_segment_fixed_size: 0
    .kernarg_segment_align: 8
    .kernarg_segment_size: 184
    .language:       OpenCL C
    .language_version:
      - 2
      - 0
    .max_flat_workgroup_size: 256
    .name:           _ZN7rocprim17ROCPRIM_400000_NS6detail17trampoline_kernelINS0_13select_configILj256ELj13ELNS0_17block_load_methodE3ELS4_3ELS4_3ELNS0_20block_scan_algorithmE0ELj4294967295EEENS1_25partition_config_selectorILNS1_17partition_subalgoE4EjNS0_10empty_typeEbEEZZNS1_14partition_implILS8_4ELb0ES6_15HIP_vector_typeIjLj2EENS0_17counting_iteratorIjlEEPS9_SG_NS0_5tupleIJPjSI_NS0_16reverse_iteratorISI_EEEEENSH_IJSG_SG_SG_EEES9_SI_JZNS1_25segmented_radix_sort_implINS0_14default_configELb0EPKbPbPKlPlN2at6native12_GLOBAL__N_18offset_tEEE10hipError_tPvRmT1_PNSt15iterator_traitsIS12_E10value_typeET2_T3_PNS13_IS18_E10value_typeET4_jRbjT5_S1E_jjP12ihipStream_tbEUljE_ZNSN_ISO_Lb0ESQ_SR_ST_SU_SY_EESZ_S10_S11_S12_S16_S17_S18_S1B_S1C_jS1D_jS1E_S1E_jjS1G_bEUljE0_EEESZ_S10_S11_S18_S1C_S1E_T6_T7_T9_mT8_S1G_bDpT10_ENKUlT_T0_E_clISt17integral_constantIbLb1EES1U_EEDaS1P_S1Q_EUlS1P_E_NS1_11comp_targetILNS1_3genE8ELNS1_11target_archE1030ELNS1_3gpuE2ELNS1_3repE0EEENS1_30default_config_static_selectorELNS0_4arch9wavefront6targetE0EEEvS12_
    .private_segment_fixed_size: 0
    .sgpr_count:     0
    .sgpr_spill_count: 0
    .symbol:         _ZN7rocprim17ROCPRIM_400000_NS6detail17trampoline_kernelINS0_13select_configILj256ELj13ELNS0_17block_load_methodE3ELS4_3ELS4_3ELNS0_20block_scan_algorithmE0ELj4294967295EEENS1_25partition_config_selectorILNS1_17partition_subalgoE4EjNS0_10empty_typeEbEEZZNS1_14partition_implILS8_4ELb0ES6_15HIP_vector_typeIjLj2EENS0_17counting_iteratorIjlEEPS9_SG_NS0_5tupleIJPjSI_NS0_16reverse_iteratorISI_EEEEENSH_IJSG_SG_SG_EEES9_SI_JZNS1_25segmented_radix_sort_implINS0_14default_configELb0EPKbPbPKlPlN2at6native12_GLOBAL__N_18offset_tEEE10hipError_tPvRmT1_PNSt15iterator_traitsIS12_E10value_typeET2_T3_PNS13_IS18_E10value_typeET4_jRbjT5_S1E_jjP12ihipStream_tbEUljE_ZNSN_ISO_Lb0ESQ_SR_ST_SU_SY_EESZ_S10_S11_S12_S16_S17_S18_S1B_S1C_jS1D_jS1E_S1E_jjS1G_bEUljE0_EEESZ_S10_S11_S18_S1C_S1E_T6_T7_T9_mT8_S1G_bDpT10_ENKUlT_T0_E_clISt17integral_constantIbLb1EES1U_EEDaS1P_S1Q_EUlS1P_E_NS1_11comp_targetILNS1_3genE8ELNS1_11target_archE1030ELNS1_3gpuE2ELNS1_3repE0EEENS1_30default_config_static_selectorELNS0_4arch9wavefront6targetE0EEEvS12_.kd
    .uniform_work_group_size: 1
    .uses_dynamic_stack: false
    .vgpr_count:     0
    .vgpr_spill_count: 0
    .wavefront_size: 32
    .workgroup_processor_mode: 1
  - .args:
      - .offset:         0
        .size:           176
        .value_kind:     by_value
    .group_segment_fixed_size: 0
    .kernarg_segment_align: 8
    .kernarg_segment_size: 176
    .language:       OpenCL C
    .language_version:
      - 2
      - 0
    .max_flat_workgroup_size: 256
    .name:           _ZN7rocprim17ROCPRIM_400000_NS6detail17trampoline_kernelINS0_13select_configILj256ELj13ELNS0_17block_load_methodE3ELS4_3ELS4_3ELNS0_20block_scan_algorithmE0ELj4294967295EEENS1_25partition_config_selectorILNS1_17partition_subalgoE4EjNS0_10empty_typeEbEEZZNS1_14partition_implILS8_4ELb0ES6_15HIP_vector_typeIjLj2EENS0_17counting_iteratorIjlEEPS9_SG_NS0_5tupleIJPjSI_NS0_16reverse_iteratorISI_EEEEENSH_IJSG_SG_SG_EEES9_SI_JZNS1_25segmented_radix_sort_implINS0_14default_configELb0EPKbPbPKlPlN2at6native12_GLOBAL__N_18offset_tEEE10hipError_tPvRmT1_PNSt15iterator_traitsIS12_E10value_typeET2_T3_PNS13_IS18_E10value_typeET4_jRbjT5_S1E_jjP12ihipStream_tbEUljE_ZNSN_ISO_Lb0ESQ_SR_ST_SU_SY_EESZ_S10_S11_S12_S16_S17_S18_S1B_S1C_jS1D_jS1E_S1E_jjS1G_bEUljE0_EEESZ_S10_S11_S18_S1C_S1E_T6_T7_T9_mT8_S1G_bDpT10_ENKUlT_T0_E_clISt17integral_constantIbLb1EES1T_IbLb0EEEEDaS1P_S1Q_EUlS1P_E_NS1_11comp_targetILNS1_3genE0ELNS1_11target_archE4294967295ELNS1_3gpuE0ELNS1_3repE0EEENS1_30default_config_static_selectorELNS0_4arch9wavefront6targetE0EEEvS12_
    .private_segment_fixed_size: 0
    .sgpr_count:     0
    .sgpr_spill_count: 0
    .symbol:         _ZN7rocprim17ROCPRIM_400000_NS6detail17trampoline_kernelINS0_13select_configILj256ELj13ELNS0_17block_load_methodE3ELS4_3ELS4_3ELNS0_20block_scan_algorithmE0ELj4294967295EEENS1_25partition_config_selectorILNS1_17partition_subalgoE4EjNS0_10empty_typeEbEEZZNS1_14partition_implILS8_4ELb0ES6_15HIP_vector_typeIjLj2EENS0_17counting_iteratorIjlEEPS9_SG_NS0_5tupleIJPjSI_NS0_16reverse_iteratorISI_EEEEENSH_IJSG_SG_SG_EEES9_SI_JZNS1_25segmented_radix_sort_implINS0_14default_configELb0EPKbPbPKlPlN2at6native12_GLOBAL__N_18offset_tEEE10hipError_tPvRmT1_PNSt15iterator_traitsIS12_E10value_typeET2_T3_PNS13_IS18_E10value_typeET4_jRbjT5_S1E_jjP12ihipStream_tbEUljE_ZNSN_ISO_Lb0ESQ_SR_ST_SU_SY_EESZ_S10_S11_S12_S16_S17_S18_S1B_S1C_jS1D_jS1E_S1E_jjS1G_bEUljE0_EEESZ_S10_S11_S18_S1C_S1E_T6_T7_T9_mT8_S1G_bDpT10_ENKUlT_T0_E_clISt17integral_constantIbLb1EES1T_IbLb0EEEEDaS1P_S1Q_EUlS1P_E_NS1_11comp_targetILNS1_3genE0ELNS1_11target_archE4294967295ELNS1_3gpuE0ELNS1_3repE0EEENS1_30default_config_static_selectorELNS0_4arch9wavefront6targetE0EEEvS12_.kd
    .uniform_work_group_size: 1
    .uses_dynamic_stack: false
    .vgpr_count:     0
    .vgpr_spill_count: 0
    .wavefront_size: 32
    .workgroup_processor_mode: 1
  - .args:
      - .offset:         0
        .size:           176
        .value_kind:     by_value
    .group_segment_fixed_size: 0
    .kernarg_segment_align: 8
    .kernarg_segment_size: 176
    .language:       OpenCL C
    .language_version:
      - 2
      - 0
    .max_flat_workgroup_size: 256
    .name:           _ZN7rocprim17ROCPRIM_400000_NS6detail17trampoline_kernelINS0_13select_configILj256ELj13ELNS0_17block_load_methodE3ELS4_3ELS4_3ELNS0_20block_scan_algorithmE0ELj4294967295EEENS1_25partition_config_selectorILNS1_17partition_subalgoE4EjNS0_10empty_typeEbEEZZNS1_14partition_implILS8_4ELb0ES6_15HIP_vector_typeIjLj2EENS0_17counting_iteratorIjlEEPS9_SG_NS0_5tupleIJPjSI_NS0_16reverse_iteratorISI_EEEEENSH_IJSG_SG_SG_EEES9_SI_JZNS1_25segmented_radix_sort_implINS0_14default_configELb0EPKbPbPKlPlN2at6native12_GLOBAL__N_18offset_tEEE10hipError_tPvRmT1_PNSt15iterator_traitsIS12_E10value_typeET2_T3_PNS13_IS18_E10value_typeET4_jRbjT5_S1E_jjP12ihipStream_tbEUljE_ZNSN_ISO_Lb0ESQ_SR_ST_SU_SY_EESZ_S10_S11_S12_S16_S17_S18_S1B_S1C_jS1D_jS1E_S1E_jjS1G_bEUljE0_EEESZ_S10_S11_S18_S1C_S1E_T6_T7_T9_mT8_S1G_bDpT10_ENKUlT_T0_E_clISt17integral_constantIbLb1EES1T_IbLb0EEEEDaS1P_S1Q_EUlS1P_E_NS1_11comp_targetILNS1_3genE5ELNS1_11target_archE942ELNS1_3gpuE9ELNS1_3repE0EEENS1_30default_config_static_selectorELNS0_4arch9wavefront6targetE0EEEvS12_
    .private_segment_fixed_size: 0
    .sgpr_count:     0
    .sgpr_spill_count: 0
    .symbol:         _ZN7rocprim17ROCPRIM_400000_NS6detail17trampoline_kernelINS0_13select_configILj256ELj13ELNS0_17block_load_methodE3ELS4_3ELS4_3ELNS0_20block_scan_algorithmE0ELj4294967295EEENS1_25partition_config_selectorILNS1_17partition_subalgoE4EjNS0_10empty_typeEbEEZZNS1_14partition_implILS8_4ELb0ES6_15HIP_vector_typeIjLj2EENS0_17counting_iteratorIjlEEPS9_SG_NS0_5tupleIJPjSI_NS0_16reverse_iteratorISI_EEEEENSH_IJSG_SG_SG_EEES9_SI_JZNS1_25segmented_radix_sort_implINS0_14default_configELb0EPKbPbPKlPlN2at6native12_GLOBAL__N_18offset_tEEE10hipError_tPvRmT1_PNSt15iterator_traitsIS12_E10value_typeET2_T3_PNS13_IS18_E10value_typeET4_jRbjT5_S1E_jjP12ihipStream_tbEUljE_ZNSN_ISO_Lb0ESQ_SR_ST_SU_SY_EESZ_S10_S11_S12_S16_S17_S18_S1B_S1C_jS1D_jS1E_S1E_jjS1G_bEUljE0_EEESZ_S10_S11_S18_S1C_S1E_T6_T7_T9_mT8_S1G_bDpT10_ENKUlT_T0_E_clISt17integral_constantIbLb1EES1T_IbLb0EEEEDaS1P_S1Q_EUlS1P_E_NS1_11comp_targetILNS1_3genE5ELNS1_11target_archE942ELNS1_3gpuE9ELNS1_3repE0EEENS1_30default_config_static_selectorELNS0_4arch9wavefront6targetE0EEEvS12_.kd
    .uniform_work_group_size: 1
    .uses_dynamic_stack: false
    .vgpr_count:     0
    .vgpr_spill_count: 0
    .wavefront_size: 32
    .workgroup_processor_mode: 1
  - .args:
      - .offset:         0
        .size:           176
        .value_kind:     by_value
    .group_segment_fixed_size: 0
    .kernarg_segment_align: 8
    .kernarg_segment_size: 176
    .language:       OpenCL C
    .language_version:
      - 2
      - 0
    .max_flat_workgroup_size: 256
    .name:           _ZN7rocprim17ROCPRIM_400000_NS6detail17trampoline_kernelINS0_13select_configILj256ELj13ELNS0_17block_load_methodE3ELS4_3ELS4_3ELNS0_20block_scan_algorithmE0ELj4294967295EEENS1_25partition_config_selectorILNS1_17partition_subalgoE4EjNS0_10empty_typeEbEEZZNS1_14partition_implILS8_4ELb0ES6_15HIP_vector_typeIjLj2EENS0_17counting_iteratorIjlEEPS9_SG_NS0_5tupleIJPjSI_NS0_16reverse_iteratorISI_EEEEENSH_IJSG_SG_SG_EEES9_SI_JZNS1_25segmented_radix_sort_implINS0_14default_configELb0EPKbPbPKlPlN2at6native12_GLOBAL__N_18offset_tEEE10hipError_tPvRmT1_PNSt15iterator_traitsIS12_E10value_typeET2_T3_PNS13_IS18_E10value_typeET4_jRbjT5_S1E_jjP12ihipStream_tbEUljE_ZNSN_ISO_Lb0ESQ_SR_ST_SU_SY_EESZ_S10_S11_S12_S16_S17_S18_S1B_S1C_jS1D_jS1E_S1E_jjS1G_bEUljE0_EEESZ_S10_S11_S18_S1C_S1E_T6_T7_T9_mT8_S1G_bDpT10_ENKUlT_T0_E_clISt17integral_constantIbLb1EES1T_IbLb0EEEEDaS1P_S1Q_EUlS1P_E_NS1_11comp_targetILNS1_3genE4ELNS1_11target_archE910ELNS1_3gpuE8ELNS1_3repE0EEENS1_30default_config_static_selectorELNS0_4arch9wavefront6targetE0EEEvS12_
    .private_segment_fixed_size: 0
    .sgpr_count:     0
    .sgpr_spill_count: 0
    .symbol:         _ZN7rocprim17ROCPRIM_400000_NS6detail17trampoline_kernelINS0_13select_configILj256ELj13ELNS0_17block_load_methodE3ELS4_3ELS4_3ELNS0_20block_scan_algorithmE0ELj4294967295EEENS1_25partition_config_selectorILNS1_17partition_subalgoE4EjNS0_10empty_typeEbEEZZNS1_14partition_implILS8_4ELb0ES6_15HIP_vector_typeIjLj2EENS0_17counting_iteratorIjlEEPS9_SG_NS0_5tupleIJPjSI_NS0_16reverse_iteratorISI_EEEEENSH_IJSG_SG_SG_EEES9_SI_JZNS1_25segmented_radix_sort_implINS0_14default_configELb0EPKbPbPKlPlN2at6native12_GLOBAL__N_18offset_tEEE10hipError_tPvRmT1_PNSt15iterator_traitsIS12_E10value_typeET2_T3_PNS13_IS18_E10value_typeET4_jRbjT5_S1E_jjP12ihipStream_tbEUljE_ZNSN_ISO_Lb0ESQ_SR_ST_SU_SY_EESZ_S10_S11_S12_S16_S17_S18_S1B_S1C_jS1D_jS1E_S1E_jjS1G_bEUljE0_EEESZ_S10_S11_S18_S1C_S1E_T6_T7_T9_mT8_S1G_bDpT10_ENKUlT_T0_E_clISt17integral_constantIbLb1EES1T_IbLb0EEEEDaS1P_S1Q_EUlS1P_E_NS1_11comp_targetILNS1_3genE4ELNS1_11target_archE910ELNS1_3gpuE8ELNS1_3repE0EEENS1_30default_config_static_selectorELNS0_4arch9wavefront6targetE0EEEvS12_.kd
    .uniform_work_group_size: 1
    .uses_dynamic_stack: false
    .vgpr_count:     0
    .vgpr_spill_count: 0
    .wavefront_size: 32
    .workgroup_processor_mode: 1
  - .args:
      - .offset:         0
        .size:           176
        .value_kind:     by_value
    .group_segment_fixed_size: 0
    .kernarg_segment_align: 8
    .kernarg_segment_size: 176
    .language:       OpenCL C
    .language_version:
      - 2
      - 0
    .max_flat_workgroup_size: 256
    .name:           _ZN7rocprim17ROCPRIM_400000_NS6detail17trampoline_kernelINS0_13select_configILj256ELj13ELNS0_17block_load_methodE3ELS4_3ELS4_3ELNS0_20block_scan_algorithmE0ELj4294967295EEENS1_25partition_config_selectorILNS1_17partition_subalgoE4EjNS0_10empty_typeEbEEZZNS1_14partition_implILS8_4ELb0ES6_15HIP_vector_typeIjLj2EENS0_17counting_iteratorIjlEEPS9_SG_NS0_5tupleIJPjSI_NS0_16reverse_iteratorISI_EEEEENSH_IJSG_SG_SG_EEES9_SI_JZNS1_25segmented_radix_sort_implINS0_14default_configELb0EPKbPbPKlPlN2at6native12_GLOBAL__N_18offset_tEEE10hipError_tPvRmT1_PNSt15iterator_traitsIS12_E10value_typeET2_T3_PNS13_IS18_E10value_typeET4_jRbjT5_S1E_jjP12ihipStream_tbEUljE_ZNSN_ISO_Lb0ESQ_SR_ST_SU_SY_EESZ_S10_S11_S12_S16_S17_S18_S1B_S1C_jS1D_jS1E_S1E_jjS1G_bEUljE0_EEESZ_S10_S11_S18_S1C_S1E_T6_T7_T9_mT8_S1G_bDpT10_ENKUlT_T0_E_clISt17integral_constantIbLb1EES1T_IbLb0EEEEDaS1P_S1Q_EUlS1P_E_NS1_11comp_targetILNS1_3genE3ELNS1_11target_archE908ELNS1_3gpuE7ELNS1_3repE0EEENS1_30default_config_static_selectorELNS0_4arch9wavefront6targetE0EEEvS12_
    .private_segment_fixed_size: 0
    .sgpr_count:     0
    .sgpr_spill_count: 0
    .symbol:         _ZN7rocprim17ROCPRIM_400000_NS6detail17trampoline_kernelINS0_13select_configILj256ELj13ELNS0_17block_load_methodE3ELS4_3ELS4_3ELNS0_20block_scan_algorithmE0ELj4294967295EEENS1_25partition_config_selectorILNS1_17partition_subalgoE4EjNS0_10empty_typeEbEEZZNS1_14partition_implILS8_4ELb0ES6_15HIP_vector_typeIjLj2EENS0_17counting_iteratorIjlEEPS9_SG_NS0_5tupleIJPjSI_NS0_16reverse_iteratorISI_EEEEENSH_IJSG_SG_SG_EEES9_SI_JZNS1_25segmented_radix_sort_implINS0_14default_configELb0EPKbPbPKlPlN2at6native12_GLOBAL__N_18offset_tEEE10hipError_tPvRmT1_PNSt15iterator_traitsIS12_E10value_typeET2_T3_PNS13_IS18_E10value_typeET4_jRbjT5_S1E_jjP12ihipStream_tbEUljE_ZNSN_ISO_Lb0ESQ_SR_ST_SU_SY_EESZ_S10_S11_S12_S16_S17_S18_S1B_S1C_jS1D_jS1E_S1E_jjS1G_bEUljE0_EEESZ_S10_S11_S18_S1C_S1E_T6_T7_T9_mT8_S1G_bDpT10_ENKUlT_T0_E_clISt17integral_constantIbLb1EES1T_IbLb0EEEEDaS1P_S1Q_EUlS1P_E_NS1_11comp_targetILNS1_3genE3ELNS1_11target_archE908ELNS1_3gpuE7ELNS1_3repE0EEENS1_30default_config_static_selectorELNS0_4arch9wavefront6targetE0EEEvS12_.kd
    .uniform_work_group_size: 1
    .uses_dynamic_stack: false
    .vgpr_count:     0
    .vgpr_spill_count: 0
    .wavefront_size: 32
    .workgroup_processor_mode: 1
  - .args:
      - .offset:         0
        .size:           176
        .value_kind:     by_value
    .group_segment_fixed_size: 0
    .kernarg_segment_align: 8
    .kernarg_segment_size: 176
    .language:       OpenCL C
    .language_version:
      - 2
      - 0
    .max_flat_workgroup_size: 256
    .name:           _ZN7rocprim17ROCPRIM_400000_NS6detail17trampoline_kernelINS0_13select_configILj256ELj13ELNS0_17block_load_methodE3ELS4_3ELS4_3ELNS0_20block_scan_algorithmE0ELj4294967295EEENS1_25partition_config_selectorILNS1_17partition_subalgoE4EjNS0_10empty_typeEbEEZZNS1_14partition_implILS8_4ELb0ES6_15HIP_vector_typeIjLj2EENS0_17counting_iteratorIjlEEPS9_SG_NS0_5tupleIJPjSI_NS0_16reverse_iteratorISI_EEEEENSH_IJSG_SG_SG_EEES9_SI_JZNS1_25segmented_radix_sort_implINS0_14default_configELb0EPKbPbPKlPlN2at6native12_GLOBAL__N_18offset_tEEE10hipError_tPvRmT1_PNSt15iterator_traitsIS12_E10value_typeET2_T3_PNS13_IS18_E10value_typeET4_jRbjT5_S1E_jjP12ihipStream_tbEUljE_ZNSN_ISO_Lb0ESQ_SR_ST_SU_SY_EESZ_S10_S11_S12_S16_S17_S18_S1B_S1C_jS1D_jS1E_S1E_jjS1G_bEUljE0_EEESZ_S10_S11_S18_S1C_S1E_T6_T7_T9_mT8_S1G_bDpT10_ENKUlT_T0_E_clISt17integral_constantIbLb1EES1T_IbLb0EEEEDaS1P_S1Q_EUlS1P_E_NS1_11comp_targetILNS1_3genE2ELNS1_11target_archE906ELNS1_3gpuE6ELNS1_3repE0EEENS1_30default_config_static_selectorELNS0_4arch9wavefront6targetE0EEEvS12_
    .private_segment_fixed_size: 0
    .sgpr_count:     0
    .sgpr_spill_count: 0
    .symbol:         _ZN7rocprim17ROCPRIM_400000_NS6detail17trampoline_kernelINS0_13select_configILj256ELj13ELNS0_17block_load_methodE3ELS4_3ELS4_3ELNS0_20block_scan_algorithmE0ELj4294967295EEENS1_25partition_config_selectorILNS1_17partition_subalgoE4EjNS0_10empty_typeEbEEZZNS1_14partition_implILS8_4ELb0ES6_15HIP_vector_typeIjLj2EENS0_17counting_iteratorIjlEEPS9_SG_NS0_5tupleIJPjSI_NS0_16reverse_iteratorISI_EEEEENSH_IJSG_SG_SG_EEES9_SI_JZNS1_25segmented_radix_sort_implINS0_14default_configELb0EPKbPbPKlPlN2at6native12_GLOBAL__N_18offset_tEEE10hipError_tPvRmT1_PNSt15iterator_traitsIS12_E10value_typeET2_T3_PNS13_IS18_E10value_typeET4_jRbjT5_S1E_jjP12ihipStream_tbEUljE_ZNSN_ISO_Lb0ESQ_SR_ST_SU_SY_EESZ_S10_S11_S12_S16_S17_S18_S1B_S1C_jS1D_jS1E_S1E_jjS1G_bEUljE0_EEESZ_S10_S11_S18_S1C_S1E_T6_T7_T9_mT8_S1G_bDpT10_ENKUlT_T0_E_clISt17integral_constantIbLb1EES1T_IbLb0EEEEDaS1P_S1Q_EUlS1P_E_NS1_11comp_targetILNS1_3genE2ELNS1_11target_archE906ELNS1_3gpuE6ELNS1_3repE0EEENS1_30default_config_static_selectorELNS0_4arch9wavefront6targetE0EEEvS12_.kd
    .uniform_work_group_size: 1
    .uses_dynamic_stack: false
    .vgpr_count:     0
    .vgpr_spill_count: 0
    .wavefront_size: 32
    .workgroup_processor_mode: 1
  - .args:
      - .offset:         0
        .size:           176
        .value_kind:     by_value
    .group_segment_fixed_size: 0
    .kernarg_segment_align: 8
    .kernarg_segment_size: 176
    .language:       OpenCL C
    .language_version:
      - 2
      - 0
    .max_flat_workgroup_size: 256
    .name:           _ZN7rocprim17ROCPRIM_400000_NS6detail17trampoline_kernelINS0_13select_configILj256ELj13ELNS0_17block_load_methodE3ELS4_3ELS4_3ELNS0_20block_scan_algorithmE0ELj4294967295EEENS1_25partition_config_selectorILNS1_17partition_subalgoE4EjNS0_10empty_typeEbEEZZNS1_14partition_implILS8_4ELb0ES6_15HIP_vector_typeIjLj2EENS0_17counting_iteratorIjlEEPS9_SG_NS0_5tupleIJPjSI_NS0_16reverse_iteratorISI_EEEEENSH_IJSG_SG_SG_EEES9_SI_JZNS1_25segmented_radix_sort_implINS0_14default_configELb0EPKbPbPKlPlN2at6native12_GLOBAL__N_18offset_tEEE10hipError_tPvRmT1_PNSt15iterator_traitsIS12_E10value_typeET2_T3_PNS13_IS18_E10value_typeET4_jRbjT5_S1E_jjP12ihipStream_tbEUljE_ZNSN_ISO_Lb0ESQ_SR_ST_SU_SY_EESZ_S10_S11_S12_S16_S17_S18_S1B_S1C_jS1D_jS1E_S1E_jjS1G_bEUljE0_EEESZ_S10_S11_S18_S1C_S1E_T6_T7_T9_mT8_S1G_bDpT10_ENKUlT_T0_E_clISt17integral_constantIbLb1EES1T_IbLb0EEEEDaS1P_S1Q_EUlS1P_E_NS1_11comp_targetILNS1_3genE10ELNS1_11target_archE1200ELNS1_3gpuE4ELNS1_3repE0EEENS1_30default_config_static_selectorELNS0_4arch9wavefront6targetE0EEEvS12_
    .private_segment_fixed_size: 0
    .sgpr_count:     0
    .sgpr_spill_count: 0
    .symbol:         _ZN7rocprim17ROCPRIM_400000_NS6detail17trampoline_kernelINS0_13select_configILj256ELj13ELNS0_17block_load_methodE3ELS4_3ELS4_3ELNS0_20block_scan_algorithmE0ELj4294967295EEENS1_25partition_config_selectorILNS1_17partition_subalgoE4EjNS0_10empty_typeEbEEZZNS1_14partition_implILS8_4ELb0ES6_15HIP_vector_typeIjLj2EENS0_17counting_iteratorIjlEEPS9_SG_NS0_5tupleIJPjSI_NS0_16reverse_iteratorISI_EEEEENSH_IJSG_SG_SG_EEES9_SI_JZNS1_25segmented_radix_sort_implINS0_14default_configELb0EPKbPbPKlPlN2at6native12_GLOBAL__N_18offset_tEEE10hipError_tPvRmT1_PNSt15iterator_traitsIS12_E10value_typeET2_T3_PNS13_IS18_E10value_typeET4_jRbjT5_S1E_jjP12ihipStream_tbEUljE_ZNSN_ISO_Lb0ESQ_SR_ST_SU_SY_EESZ_S10_S11_S12_S16_S17_S18_S1B_S1C_jS1D_jS1E_S1E_jjS1G_bEUljE0_EEESZ_S10_S11_S18_S1C_S1E_T6_T7_T9_mT8_S1G_bDpT10_ENKUlT_T0_E_clISt17integral_constantIbLb1EES1T_IbLb0EEEEDaS1P_S1Q_EUlS1P_E_NS1_11comp_targetILNS1_3genE10ELNS1_11target_archE1200ELNS1_3gpuE4ELNS1_3repE0EEENS1_30default_config_static_selectorELNS0_4arch9wavefront6targetE0EEEvS12_.kd
    .uniform_work_group_size: 1
    .uses_dynamic_stack: false
    .vgpr_count:     0
    .vgpr_spill_count: 0
    .wavefront_size: 32
    .workgroup_processor_mode: 1
  - .args:
      - .offset:         0
        .size:           176
        .value_kind:     by_value
    .group_segment_fixed_size: 0
    .kernarg_segment_align: 8
    .kernarg_segment_size: 176
    .language:       OpenCL C
    .language_version:
      - 2
      - 0
    .max_flat_workgroup_size: 256
    .name:           _ZN7rocprim17ROCPRIM_400000_NS6detail17trampoline_kernelINS0_13select_configILj256ELj13ELNS0_17block_load_methodE3ELS4_3ELS4_3ELNS0_20block_scan_algorithmE0ELj4294967295EEENS1_25partition_config_selectorILNS1_17partition_subalgoE4EjNS0_10empty_typeEbEEZZNS1_14partition_implILS8_4ELb0ES6_15HIP_vector_typeIjLj2EENS0_17counting_iteratorIjlEEPS9_SG_NS0_5tupleIJPjSI_NS0_16reverse_iteratorISI_EEEEENSH_IJSG_SG_SG_EEES9_SI_JZNS1_25segmented_radix_sort_implINS0_14default_configELb0EPKbPbPKlPlN2at6native12_GLOBAL__N_18offset_tEEE10hipError_tPvRmT1_PNSt15iterator_traitsIS12_E10value_typeET2_T3_PNS13_IS18_E10value_typeET4_jRbjT5_S1E_jjP12ihipStream_tbEUljE_ZNSN_ISO_Lb0ESQ_SR_ST_SU_SY_EESZ_S10_S11_S12_S16_S17_S18_S1B_S1C_jS1D_jS1E_S1E_jjS1G_bEUljE0_EEESZ_S10_S11_S18_S1C_S1E_T6_T7_T9_mT8_S1G_bDpT10_ENKUlT_T0_E_clISt17integral_constantIbLb1EES1T_IbLb0EEEEDaS1P_S1Q_EUlS1P_E_NS1_11comp_targetILNS1_3genE9ELNS1_11target_archE1100ELNS1_3gpuE3ELNS1_3repE0EEENS1_30default_config_static_selectorELNS0_4arch9wavefront6targetE0EEEvS12_
    .private_segment_fixed_size: 0
    .sgpr_count:     0
    .sgpr_spill_count: 0
    .symbol:         _ZN7rocprim17ROCPRIM_400000_NS6detail17trampoline_kernelINS0_13select_configILj256ELj13ELNS0_17block_load_methodE3ELS4_3ELS4_3ELNS0_20block_scan_algorithmE0ELj4294967295EEENS1_25partition_config_selectorILNS1_17partition_subalgoE4EjNS0_10empty_typeEbEEZZNS1_14partition_implILS8_4ELb0ES6_15HIP_vector_typeIjLj2EENS0_17counting_iteratorIjlEEPS9_SG_NS0_5tupleIJPjSI_NS0_16reverse_iteratorISI_EEEEENSH_IJSG_SG_SG_EEES9_SI_JZNS1_25segmented_radix_sort_implINS0_14default_configELb0EPKbPbPKlPlN2at6native12_GLOBAL__N_18offset_tEEE10hipError_tPvRmT1_PNSt15iterator_traitsIS12_E10value_typeET2_T3_PNS13_IS18_E10value_typeET4_jRbjT5_S1E_jjP12ihipStream_tbEUljE_ZNSN_ISO_Lb0ESQ_SR_ST_SU_SY_EESZ_S10_S11_S12_S16_S17_S18_S1B_S1C_jS1D_jS1E_S1E_jjS1G_bEUljE0_EEESZ_S10_S11_S18_S1C_S1E_T6_T7_T9_mT8_S1G_bDpT10_ENKUlT_T0_E_clISt17integral_constantIbLb1EES1T_IbLb0EEEEDaS1P_S1Q_EUlS1P_E_NS1_11comp_targetILNS1_3genE9ELNS1_11target_archE1100ELNS1_3gpuE3ELNS1_3repE0EEENS1_30default_config_static_selectorELNS0_4arch9wavefront6targetE0EEEvS12_.kd
    .uniform_work_group_size: 1
    .uses_dynamic_stack: false
    .vgpr_count:     0
    .vgpr_spill_count: 0
    .wavefront_size: 32
    .workgroup_processor_mode: 1
  - .args:
      - .offset:         0
        .size:           176
        .value_kind:     by_value
    .group_segment_fixed_size: 0
    .kernarg_segment_align: 8
    .kernarg_segment_size: 176
    .language:       OpenCL C
    .language_version:
      - 2
      - 0
    .max_flat_workgroup_size: 256
    .name:           _ZN7rocprim17ROCPRIM_400000_NS6detail17trampoline_kernelINS0_13select_configILj256ELj13ELNS0_17block_load_methodE3ELS4_3ELS4_3ELNS0_20block_scan_algorithmE0ELj4294967295EEENS1_25partition_config_selectorILNS1_17partition_subalgoE4EjNS0_10empty_typeEbEEZZNS1_14partition_implILS8_4ELb0ES6_15HIP_vector_typeIjLj2EENS0_17counting_iteratorIjlEEPS9_SG_NS0_5tupleIJPjSI_NS0_16reverse_iteratorISI_EEEEENSH_IJSG_SG_SG_EEES9_SI_JZNS1_25segmented_radix_sort_implINS0_14default_configELb0EPKbPbPKlPlN2at6native12_GLOBAL__N_18offset_tEEE10hipError_tPvRmT1_PNSt15iterator_traitsIS12_E10value_typeET2_T3_PNS13_IS18_E10value_typeET4_jRbjT5_S1E_jjP12ihipStream_tbEUljE_ZNSN_ISO_Lb0ESQ_SR_ST_SU_SY_EESZ_S10_S11_S12_S16_S17_S18_S1B_S1C_jS1D_jS1E_S1E_jjS1G_bEUljE0_EEESZ_S10_S11_S18_S1C_S1E_T6_T7_T9_mT8_S1G_bDpT10_ENKUlT_T0_E_clISt17integral_constantIbLb1EES1T_IbLb0EEEEDaS1P_S1Q_EUlS1P_E_NS1_11comp_targetILNS1_3genE8ELNS1_11target_archE1030ELNS1_3gpuE2ELNS1_3repE0EEENS1_30default_config_static_selectorELNS0_4arch9wavefront6targetE0EEEvS12_
    .private_segment_fixed_size: 0
    .sgpr_count:     0
    .sgpr_spill_count: 0
    .symbol:         _ZN7rocprim17ROCPRIM_400000_NS6detail17trampoline_kernelINS0_13select_configILj256ELj13ELNS0_17block_load_methodE3ELS4_3ELS4_3ELNS0_20block_scan_algorithmE0ELj4294967295EEENS1_25partition_config_selectorILNS1_17partition_subalgoE4EjNS0_10empty_typeEbEEZZNS1_14partition_implILS8_4ELb0ES6_15HIP_vector_typeIjLj2EENS0_17counting_iteratorIjlEEPS9_SG_NS0_5tupleIJPjSI_NS0_16reverse_iteratorISI_EEEEENSH_IJSG_SG_SG_EEES9_SI_JZNS1_25segmented_radix_sort_implINS0_14default_configELb0EPKbPbPKlPlN2at6native12_GLOBAL__N_18offset_tEEE10hipError_tPvRmT1_PNSt15iterator_traitsIS12_E10value_typeET2_T3_PNS13_IS18_E10value_typeET4_jRbjT5_S1E_jjP12ihipStream_tbEUljE_ZNSN_ISO_Lb0ESQ_SR_ST_SU_SY_EESZ_S10_S11_S12_S16_S17_S18_S1B_S1C_jS1D_jS1E_S1E_jjS1G_bEUljE0_EEESZ_S10_S11_S18_S1C_S1E_T6_T7_T9_mT8_S1G_bDpT10_ENKUlT_T0_E_clISt17integral_constantIbLb1EES1T_IbLb0EEEEDaS1P_S1Q_EUlS1P_E_NS1_11comp_targetILNS1_3genE8ELNS1_11target_archE1030ELNS1_3gpuE2ELNS1_3repE0EEENS1_30default_config_static_selectorELNS0_4arch9wavefront6targetE0EEEvS12_.kd
    .uniform_work_group_size: 1
    .uses_dynamic_stack: false
    .vgpr_count:     0
    .vgpr_spill_count: 0
    .wavefront_size: 32
    .workgroup_processor_mode: 1
  - .args:
      - .offset:         0
        .size:           184
        .value_kind:     by_value
    .group_segment_fixed_size: 0
    .kernarg_segment_align: 8
    .kernarg_segment_size: 184
    .language:       OpenCL C
    .language_version:
      - 2
      - 0
    .max_flat_workgroup_size: 256
    .name:           _ZN7rocprim17ROCPRIM_400000_NS6detail17trampoline_kernelINS0_13select_configILj256ELj13ELNS0_17block_load_methodE3ELS4_3ELS4_3ELNS0_20block_scan_algorithmE0ELj4294967295EEENS1_25partition_config_selectorILNS1_17partition_subalgoE4EjNS0_10empty_typeEbEEZZNS1_14partition_implILS8_4ELb0ES6_15HIP_vector_typeIjLj2EENS0_17counting_iteratorIjlEEPS9_SG_NS0_5tupleIJPjSI_NS0_16reverse_iteratorISI_EEEEENSH_IJSG_SG_SG_EEES9_SI_JZNS1_25segmented_radix_sort_implINS0_14default_configELb0EPKbPbPKlPlN2at6native12_GLOBAL__N_18offset_tEEE10hipError_tPvRmT1_PNSt15iterator_traitsIS12_E10value_typeET2_T3_PNS13_IS18_E10value_typeET4_jRbjT5_S1E_jjP12ihipStream_tbEUljE_ZNSN_ISO_Lb0ESQ_SR_ST_SU_SY_EESZ_S10_S11_S12_S16_S17_S18_S1B_S1C_jS1D_jS1E_S1E_jjS1G_bEUljE0_EEESZ_S10_S11_S18_S1C_S1E_T6_T7_T9_mT8_S1G_bDpT10_ENKUlT_T0_E_clISt17integral_constantIbLb0EES1T_IbLb1EEEEDaS1P_S1Q_EUlS1P_E_NS1_11comp_targetILNS1_3genE0ELNS1_11target_archE4294967295ELNS1_3gpuE0ELNS1_3repE0EEENS1_30default_config_static_selectorELNS0_4arch9wavefront6targetE0EEEvS12_
    .private_segment_fixed_size: 0
    .sgpr_count:     0
    .sgpr_spill_count: 0
    .symbol:         _ZN7rocprim17ROCPRIM_400000_NS6detail17trampoline_kernelINS0_13select_configILj256ELj13ELNS0_17block_load_methodE3ELS4_3ELS4_3ELNS0_20block_scan_algorithmE0ELj4294967295EEENS1_25partition_config_selectorILNS1_17partition_subalgoE4EjNS0_10empty_typeEbEEZZNS1_14partition_implILS8_4ELb0ES6_15HIP_vector_typeIjLj2EENS0_17counting_iteratorIjlEEPS9_SG_NS0_5tupleIJPjSI_NS0_16reverse_iteratorISI_EEEEENSH_IJSG_SG_SG_EEES9_SI_JZNS1_25segmented_radix_sort_implINS0_14default_configELb0EPKbPbPKlPlN2at6native12_GLOBAL__N_18offset_tEEE10hipError_tPvRmT1_PNSt15iterator_traitsIS12_E10value_typeET2_T3_PNS13_IS18_E10value_typeET4_jRbjT5_S1E_jjP12ihipStream_tbEUljE_ZNSN_ISO_Lb0ESQ_SR_ST_SU_SY_EESZ_S10_S11_S12_S16_S17_S18_S1B_S1C_jS1D_jS1E_S1E_jjS1G_bEUljE0_EEESZ_S10_S11_S18_S1C_S1E_T6_T7_T9_mT8_S1G_bDpT10_ENKUlT_T0_E_clISt17integral_constantIbLb0EES1T_IbLb1EEEEDaS1P_S1Q_EUlS1P_E_NS1_11comp_targetILNS1_3genE0ELNS1_11target_archE4294967295ELNS1_3gpuE0ELNS1_3repE0EEENS1_30default_config_static_selectorELNS0_4arch9wavefront6targetE0EEEvS12_.kd
    .uniform_work_group_size: 1
    .uses_dynamic_stack: false
    .vgpr_count:     0
    .vgpr_spill_count: 0
    .wavefront_size: 32
    .workgroup_processor_mode: 1
  - .args:
      - .offset:         0
        .size:           184
        .value_kind:     by_value
    .group_segment_fixed_size: 0
    .kernarg_segment_align: 8
    .kernarg_segment_size: 184
    .language:       OpenCL C
    .language_version:
      - 2
      - 0
    .max_flat_workgroup_size: 256
    .name:           _ZN7rocprim17ROCPRIM_400000_NS6detail17trampoline_kernelINS0_13select_configILj256ELj13ELNS0_17block_load_methodE3ELS4_3ELS4_3ELNS0_20block_scan_algorithmE0ELj4294967295EEENS1_25partition_config_selectorILNS1_17partition_subalgoE4EjNS0_10empty_typeEbEEZZNS1_14partition_implILS8_4ELb0ES6_15HIP_vector_typeIjLj2EENS0_17counting_iteratorIjlEEPS9_SG_NS0_5tupleIJPjSI_NS0_16reverse_iteratorISI_EEEEENSH_IJSG_SG_SG_EEES9_SI_JZNS1_25segmented_radix_sort_implINS0_14default_configELb0EPKbPbPKlPlN2at6native12_GLOBAL__N_18offset_tEEE10hipError_tPvRmT1_PNSt15iterator_traitsIS12_E10value_typeET2_T3_PNS13_IS18_E10value_typeET4_jRbjT5_S1E_jjP12ihipStream_tbEUljE_ZNSN_ISO_Lb0ESQ_SR_ST_SU_SY_EESZ_S10_S11_S12_S16_S17_S18_S1B_S1C_jS1D_jS1E_S1E_jjS1G_bEUljE0_EEESZ_S10_S11_S18_S1C_S1E_T6_T7_T9_mT8_S1G_bDpT10_ENKUlT_T0_E_clISt17integral_constantIbLb0EES1T_IbLb1EEEEDaS1P_S1Q_EUlS1P_E_NS1_11comp_targetILNS1_3genE5ELNS1_11target_archE942ELNS1_3gpuE9ELNS1_3repE0EEENS1_30default_config_static_selectorELNS0_4arch9wavefront6targetE0EEEvS12_
    .private_segment_fixed_size: 0
    .sgpr_count:     0
    .sgpr_spill_count: 0
    .symbol:         _ZN7rocprim17ROCPRIM_400000_NS6detail17trampoline_kernelINS0_13select_configILj256ELj13ELNS0_17block_load_methodE3ELS4_3ELS4_3ELNS0_20block_scan_algorithmE0ELj4294967295EEENS1_25partition_config_selectorILNS1_17partition_subalgoE4EjNS0_10empty_typeEbEEZZNS1_14partition_implILS8_4ELb0ES6_15HIP_vector_typeIjLj2EENS0_17counting_iteratorIjlEEPS9_SG_NS0_5tupleIJPjSI_NS0_16reverse_iteratorISI_EEEEENSH_IJSG_SG_SG_EEES9_SI_JZNS1_25segmented_radix_sort_implINS0_14default_configELb0EPKbPbPKlPlN2at6native12_GLOBAL__N_18offset_tEEE10hipError_tPvRmT1_PNSt15iterator_traitsIS12_E10value_typeET2_T3_PNS13_IS18_E10value_typeET4_jRbjT5_S1E_jjP12ihipStream_tbEUljE_ZNSN_ISO_Lb0ESQ_SR_ST_SU_SY_EESZ_S10_S11_S12_S16_S17_S18_S1B_S1C_jS1D_jS1E_S1E_jjS1G_bEUljE0_EEESZ_S10_S11_S18_S1C_S1E_T6_T7_T9_mT8_S1G_bDpT10_ENKUlT_T0_E_clISt17integral_constantIbLb0EES1T_IbLb1EEEEDaS1P_S1Q_EUlS1P_E_NS1_11comp_targetILNS1_3genE5ELNS1_11target_archE942ELNS1_3gpuE9ELNS1_3repE0EEENS1_30default_config_static_selectorELNS0_4arch9wavefront6targetE0EEEvS12_.kd
    .uniform_work_group_size: 1
    .uses_dynamic_stack: false
    .vgpr_count:     0
    .vgpr_spill_count: 0
    .wavefront_size: 32
    .workgroup_processor_mode: 1
  - .args:
      - .offset:         0
        .size:           184
        .value_kind:     by_value
    .group_segment_fixed_size: 0
    .kernarg_segment_align: 8
    .kernarg_segment_size: 184
    .language:       OpenCL C
    .language_version:
      - 2
      - 0
    .max_flat_workgroup_size: 256
    .name:           _ZN7rocprim17ROCPRIM_400000_NS6detail17trampoline_kernelINS0_13select_configILj256ELj13ELNS0_17block_load_methodE3ELS4_3ELS4_3ELNS0_20block_scan_algorithmE0ELj4294967295EEENS1_25partition_config_selectorILNS1_17partition_subalgoE4EjNS0_10empty_typeEbEEZZNS1_14partition_implILS8_4ELb0ES6_15HIP_vector_typeIjLj2EENS0_17counting_iteratorIjlEEPS9_SG_NS0_5tupleIJPjSI_NS0_16reverse_iteratorISI_EEEEENSH_IJSG_SG_SG_EEES9_SI_JZNS1_25segmented_radix_sort_implINS0_14default_configELb0EPKbPbPKlPlN2at6native12_GLOBAL__N_18offset_tEEE10hipError_tPvRmT1_PNSt15iterator_traitsIS12_E10value_typeET2_T3_PNS13_IS18_E10value_typeET4_jRbjT5_S1E_jjP12ihipStream_tbEUljE_ZNSN_ISO_Lb0ESQ_SR_ST_SU_SY_EESZ_S10_S11_S12_S16_S17_S18_S1B_S1C_jS1D_jS1E_S1E_jjS1G_bEUljE0_EEESZ_S10_S11_S18_S1C_S1E_T6_T7_T9_mT8_S1G_bDpT10_ENKUlT_T0_E_clISt17integral_constantIbLb0EES1T_IbLb1EEEEDaS1P_S1Q_EUlS1P_E_NS1_11comp_targetILNS1_3genE4ELNS1_11target_archE910ELNS1_3gpuE8ELNS1_3repE0EEENS1_30default_config_static_selectorELNS0_4arch9wavefront6targetE0EEEvS12_
    .private_segment_fixed_size: 0
    .sgpr_count:     0
    .sgpr_spill_count: 0
    .symbol:         _ZN7rocprim17ROCPRIM_400000_NS6detail17trampoline_kernelINS0_13select_configILj256ELj13ELNS0_17block_load_methodE3ELS4_3ELS4_3ELNS0_20block_scan_algorithmE0ELj4294967295EEENS1_25partition_config_selectorILNS1_17partition_subalgoE4EjNS0_10empty_typeEbEEZZNS1_14partition_implILS8_4ELb0ES6_15HIP_vector_typeIjLj2EENS0_17counting_iteratorIjlEEPS9_SG_NS0_5tupleIJPjSI_NS0_16reverse_iteratorISI_EEEEENSH_IJSG_SG_SG_EEES9_SI_JZNS1_25segmented_radix_sort_implINS0_14default_configELb0EPKbPbPKlPlN2at6native12_GLOBAL__N_18offset_tEEE10hipError_tPvRmT1_PNSt15iterator_traitsIS12_E10value_typeET2_T3_PNS13_IS18_E10value_typeET4_jRbjT5_S1E_jjP12ihipStream_tbEUljE_ZNSN_ISO_Lb0ESQ_SR_ST_SU_SY_EESZ_S10_S11_S12_S16_S17_S18_S1B_S1C_jS1D_jS1E_S1E_jjS1G_bEUljE0_EEESZ_S10_S11_S18_S1C_S1E_T6_T7_T9_mT8_S1G_bDpT10_ENKUlT_T0_E_clISt17integral_constantIbLb0EES1T_IbLb1EEEEDaS1P_S1Q_EUlS1P_E_NS1_11comp_targetILNS1_3genE4ELNS1_11target_archE910ELNS1_3gpuE8ELNS1_3repE0EEENS1_30default_config_static_selectorELNS0_4arch9wavefront6targetE0EEEvS12_.kd
    .uniform_work_group_size: 1
    .uses_dynamic_stack: false
    .vgpr_count:     0
    .vgpr_spill_count: 0
    .wavefront_size: 32
    .workgroup_processor_mode: 1
  - .args:
      - .offset:         0
        .size:           184
        .value_kind:     by_value
    .group_segment_fixed_size: 0
    .kernarg_segment_align: 8
    .kernarg_segment_size: 184
    .language:       OpenCL C
    .language_version:
      - 2
      - 0
    .max_flat_workgroup_size: 256
    .name:           _ZN7rocprim17ROCPRIM_400000_NS6detail17trampoline_kernelINS0_13select_configILj256ELj13ELNS0_17block_load_methodE3ELS4_3ELS4_3ELNS0_20block_scan_algorithmE0ELj4294967295EEENS1_25partition_config_selectorILNS1_17partition_subalgoE4EjNS0_10empty_typeEbEEZZNS1_14partition_implILS8_4ELb0ES6_15HIP_vector_typeIjLj2EENS0_17counting_iteratorIjlEEPS9_SG_NS0_5tupleIJPjSI_NS0_16reverse_iteratorISI_EEEEENSH_IJSG_SG_SG_EEES9_SI_JZNS1_25segmented_radix_sort_implINS0_14default_configELb0EPKbPbPKlPlN2at6native12_GLOBAL__N_18offset_tEEE10hipError_tPvRmT1_PNSt15iterator_traitsIS12_E10value_typeET2_T3_PNS13_IS18_E10value_typeET4_jRbjT5_S1E_jjP12ihipStream_tbEUljE_ZNSN_ISO_Lb0ESQ_SR_ST_SU_SY_EESZ_S10_S11_S12_S16_S17_S18_S1B_S1C_jS1D_jS1E_S1E_jjS1G_bEUljE0_EEESZ_S10_S11_S18_S1C_S1E_T6_T7_T9_mT8_S1G_bDpT10_ENKUlT_T0_E_clISt17integral_constantIbLb0EES1T_IbLb1EEEEDaS1P_S1Q_EUlS1P_E_NS1_11comp_targetILNS1_3genE3ELNS1_11target_archE908ELNS1_3gpuE7ELNS1_3repE0EEENS1_30default_config_static_selectorELNS0_4arch9wavefront6targetE0EEEvS12_
    .private_segment_fixed_size: 0
    .sgpr_count:     0
    .sgpr_spill_count: 0
    .symbol:         _ZN7rocprim17ROCPRIM_400000_NS6detail17trampoline_kernelINS0_13select_configILj256ELj13ELNS0_17block_load_methodE3ELS4_3ELS4_3ELNS0_20block_scan_algorithmE0ELj4294967295EEENS1_25partition_config_selectorILNS1_17partition_subalgoE4EjNS0_10empty_typeEbEEZZNS1_14partition_implILS8_4ELb0ES6_15HIP_vector_typeIjLj2EENS0_17counting_iteratorIjlEEPS9_SG_NS0_5tupleIJPjSI_NS0_16reverse_iteratorISI_EEEEENSH_IJSG_SG_SG_EEES9_SI_JZNS1_25segmented_radix_sort_implINS0_14default_configELb0EPKbPbPKlPlN2at6native12_GLOBAL__N_18offset_tEEE10hipError_tPvRmT1_PNSt15iterator_traitsIS12_E10value_typeET2_T3_PNS13_IS18_E10value_typeET4_jRbjT5_S1E_jjP12ihipStream_tbEUljE_ZNSN_ISO_Lb0ESQ_SR_ST_SU_SY_EESZ_S10_S11_S12_S16_S17_S18_S1B_S1C_jS1D_jS1E_S1E_jjS1G_bEUljE0_EEESZ_S10_S11_S18_S1C_S1E_T6_T7_T9_mT8_S1G_bDpT10_ENKUlT_T0_E_clISt17integral_constantIbLb0EES1T_IbLb1EEEEDaS1P_S1Q_EUlS1P_E_NS1_11comp_targetILNS1_3genE3ELNS1_11target_archE908ELNS1_3gpuE7ELNS1_3repE0EEENS1_30default_config_static_selectorELNS0_4arch9wavefront6targetE0EEEvS12_.kd
    .uniform_work_group_size: 1
    .uses_dynamic_stack: false
    .vgpr_count:     0
    .vgpr_spill_count: 0
    .wavefront_size: 32
    .workgroup_processor_mode: 1
  - .args:
      - .offset:         0
        .size:           184
        .value_kind:     by_value
    .group_segment_fixed_size: 0
    .kernarg_segment_align: 8
    .kernarg_segment_size: 184
    .language:       OpenCL C
    .language_version:
      - 2
      - 0
    .max_flat_workgroup_size: 256
    .name:           _ZN7rocprim17ROCPRIM_400000_NS6detail17trampoline_kernelINS0_13select_configILj256ELj13ELNS0_17block_load_methodE3ELS4_3ELS4_3ELNS0_20block_scan_algorithmE0ELj4294967295EEENS1_25partition_config_selectorILNS1_17partition_subalgoE4EjNS0_10empty_typeEbEEZZNS1_14partition_implILS8_4ELb0ES6_15HIP_vector_typeIjLj2EENS0_17counting_iteratorIjlEEPS9_SG_NS0_5tupleIJPjSI_NS0_16reverse_iteratorISI_EEEEENSH_IJSG_SG_SG_EEES9_SI_JZNS1_25segmented_radix_sort_implINS0_14default_configELb0EPKbPbPKlPlN2at6native12_GLOBAL__N_18offset_tEEE10hipError_tPvRmT1_PNSt15iterator_traitsIS12_E10value_typeET2_T3_PNS13_IS18_E10value_typeET4_jRbjT5_S1E_jjP12ihipStream_tbEUljE_ZNSN_ISO_Lb0ESQ_SR_ST_SU_SY_EESZ_S10_S11_S12_S16_S17_S18_S1B_S1C_jS1D_jS1E_S1E_jjS1G_bEUljE0_EEESZ_S10_S11_S18_S1C_S1E_T6_T7_T9_mT8_S1G_bDpT10_ENKUlT_T0_E_clISt17integral_constantIbLb0EES1T_IbLb1EEEEDaS1P_S1Q_EUlS1P_E_NS1_11comp_targetILNS1_3genE2ELNS1_11target_archE906ELNS1_3gpuE6ELNS1_3repE0EEENS1_30default_config_static_selectorELNS0_4arch9wavefront6targetE0EEEvS12_
    .private_segment_fixed_size: 0
    .sgpr_count:     0
    .sgpr_spill_count: 0
    .symbol:         _ZN7rocprim17ROCPRIM_400000_NS6detail17trampoline_kernelINS0_13select_configILj256ELj13ELNS0_17block_load_methodE3ELS4_3ELS4_3ELNS0_20block_scan_algorithmE0ELj4294967295EEENS1_25partition_config_selectorILNS1_17partition_subalgoE4EjNS0_10empty_typeEbEEZZNS1_14partition_implILS8_4ELb0ES6_15HIP_vector_typeIjLj2EENS0_17counting_iteratorIjlEEPS9_SG_NS0_5tupleIJPjSI_NS0_16reverse_iteratorISI_EEEEENSH_IJSG_SG_SG_EEES9_SI_JZNS1_25segmented_radix_sort_implINS0_14default_configELb0EPKbPbPKlPlN2at6native12_GLOBAL__N_18offset_tEEE10hipError_tPvRmT1_PNSt15iterator_traitsIS12_E10value_typeET2_T3_PNS13_IS18_E10value_typeET4_jRbjT5_S1E_jjP12ihipStream_tbEUljE_ZNSN_ISO_Lb0ESQ_SR_ST_SU_SY_EESZ_S10_S11_S12_S16_S17_S18_S1B_S1C_jS1D_jS1E_S1E_jjS1G_bEUljE0_EEESZ_S10_S11_S18_S1C_S1E_T6_T7_T9_mT8_S1G_bDpT10_ENKUlT_T0_E_clISt17integral_constantIbLb0EES1T_IbLb1EEEEDaS1P_S1Q_EUlS1P_E_NS1_11comp_targetILNS1_3genE2ELNS1_11target_archE906ELNS1_3gpuE6ELNS1_3repE0EEENS1_30default_config_static_selectorELNS0_4arch9wavefront6targetE0EEEvS12_.kd
    .uniform_work_group_size: 1
    .uses_dynamic_stack: false
    .vgpr_count:     0
    .vgpr_spill_count: 0
    .wavefront_size: 32
    .workgroup_processor_mode: 1
  - .args:
      - .offset:         0
        .size:           184
        .value_kind:     by_value
    .group_segment_fixed_size: 13328
    .kernarg_segment_align: 8
    .kernarg_segment_size: 184
    .language:       OpenCL C
    .language_version:
      - 2
      - 0
    .max_flat_workgroup_size: 256
    .name:           _ZN7rocprim17ROCPRIM_400000_NS6detail17trampoline_kernelINS0_13select_configILj256ELj13ELNS0_17block_load_methodE3ELS4_3ELS4_3ELNS0_20block_scan_algorithmE0ELj4294967295EEENS1_25partition_config_selectorILNS1_17partition_subalgoE4EjNS0_10empty_typeEbEEZZNS1_14partition_implILS8_4ELb0ES6_15HIP_vector_typeIjLj2EENS0_17counting_iteratorIjlEEPS9_SG_NS0_5tupleIJPjSI_NS0_16reverse_iteratorISI_EEEEENSH_IJSG_SG_SG_EEES9_SI_JZNS1_25segmented_radix_sort_implINS0_14default_configELb0EPKbPbPKlPlN2at6native12_GLOBAL__N_18offset_tEEE10hipError_tPvRmT1_PNSt15iterator_traitsIS12_E10value_typeET2_T3_PNS13_IS18_E10value_typeET4_jRbjT5_S1E_jjP12ihipStream_tbEUljE_ZNSN_ISO_Lb0ESQ_SR_ST_SU_SY_EESZ_S10_S11_S12_S16_S17_S18_S1B_S1C_jS1D_jS1E_S1E_jjS1G_bEUljE0_EEESZ_S10_S11_S18_S1C_S1E_T6_T7_T9_mT8_S1G_bDpT10_ENKUlT_T0_E_clISt17integral_constantIbLb0EES1T_IbLb1EEEEDaS1P_S1Q_EUlS1P_E_NS1_11comp_targetILNS1_3genE10ELNS1_11target_archE1200ELNS1_3gpuE4ELNS1_3repE0EEENS1_30default_config_static_selectorELNS0_4arch9wavefront6targetE0EEEvS12_
    .private_segment_fixed_size: 0
    .sgpr_count:     57
    .sgpr_spill_count: 0
    .symbol:         _ZN7rocprim17ROCPRIM_400000_NS6detail17trampoline_kernelINS0_13select_configILj256ELj13ELNS0_17block_load_methodE3ELS4_3ELS4_3ELNS0_20block_scan_algorithmE0ELj4294967295EEENS1_25partition_config_selectorILNS1_17partition_subalgoE4EjNS0_10empty_typeEbEEZZNS1_14partition_implILS8_4ELb0ES6_15HIP_vector_typeIjLj2EENS0_17counting_iteratorIjlEEPS9_SG_NS0_5tupleIJPjSI_NS0_16reverse_iteratorISI_EEEEENSH_IJSG_SG_SG_EEES9_SI_JZNS1_25segmented_radix_sort_implINS0_14default_configELb0EPKbPbPKlPlN2at6native12_GLOBAL__N_18offset_tEEE10hipError_tPvRmT1_PNSt15iterator_traitsIS12_E10value_typeET2_T3_PNS13_IS18_E10value_typeET4_jRbjT5_S1E_jjP12ihipStream_tbEUljE_ZNSN_ISO_Lb0ESQ_SR_ST_SU_SY_EESZ_S10_S11_S12_S16_S17_S18_S1B_S1C_jS1D_jS1E_S1E_jjS1G_bEUljE0_EEESZ_S10_S11_S18_S1C_S1E_T6_T7_T9_mT8_S1G_bDpT10_ENKUlT_T0_E_clISt17integral_constantIbLb0EES1T_IbLb1EEEEDaS1P_S1Q_EUlS1P_E_NS1_11comp_targetILNS1_3genE10ELNS1_11target_archE1200ELNS1_3gpuE4ELNS1_3repE0EEENS1_30default_config_static_selectorELNS0_4arch9wavefront6targetE0EEEvS12_.kd
    .uniform_work_group_size: 1
    .uses_dynamic_stack: false
    .vgpr_count:     98
    .vgpr_spill_count: 0
    .wavefront_size: 32
    .workgroup_processor_mode: 1
  - .args:
      - .offset:         0
        .size:           184
        .value_kind:     by_value
    .group_segment_fixed_size: 0
    .kernarg_segment_align: 8
    .kernarg_segment_size: 184
    .language:       OpenCL C
    .language_version:
      - 2
      - 0
    .max_flat_workgroup_size: 256
    .name:           _ZN7rocprim17ROCPRIM_400000_NS6detail17trampoline_kernelINS0_13select_configILj256ELj13ELNS0_17block_load_methodE3ELS4_3ELS4_3ELNS0_20block_scan_algorithmE0ELj4294967295EEENS1_25partition_config_selectorILNS1_17partition_subalgoE4EjNS0_10empty_typeEbEEZZNS1_14partition_implILS8_4ELb0ES6_15HIP_vector_typeIjLj2EENS0_17counting_iteratorIjlEEPS9_SG_NS0_5tupleIJPjSI_NS0_16reverse_iteratorISI_EEEEENSH_IJSG_SG_SG_EEES9_SI_JZNS1_25segmented_radix_sort_implINS0_14default_configELb0EPKbPbPKlPlN2at6native12_GLOBAL__N_18offset_tEEE10hipError_tPvRmT1_PNSt15iterator_traitsIS12_E10value_typeET2_T3_PNS13_IS18_E10value_typeET4_jRbjT5_S1E_jjP12ihipStream_tbEUljE_ZNSN_ISO_Lb0ESQ_SR_ST_SU_SY_EESZ_S10_S11_S12_S16_S17_S18_S1B_S1C_jS1D_jS1E_S1E_jjS1G_bEUljE0_EEESZ_S10_S11_S18_S1C_S1E_T6_T7_T9_mT8_S1G_bDpT10_ENKUlT_T0_E_clISt17integral_constantIbLb0EES1T_IbLb1EEEEDaS1P_S1Q_EUlS1P_E_NS1_11comp_targetILNS1_3genE9ELNS1_11target_archE1100ELNS1_3gpuE3ELNS1_3repE0EEENS1_30default_config_static_selectorELNS0_4arch9wavefront6targetE0EEEvS12_
    .private_segment_fixed_size: 0
    .sgpr_count:     0
    .sgpr_spill_count: 0
    .symbol:         _ZN7rocprim17ROCPRIM_400000_NS6detail17trampoline_kernelINS0_13select_configILj256ELj13ELNS0_17block_load_methodE3ELS4_3ELS4_3ELNS0_20block_scan_algorithmE0ELj4294967295EEENS1_25partition_config_selectorILNS1_17partition_subalgoE4EjNS0_10empty_typeEbEEZZNS1_14partition_implILS8_4ELb0ES6_15HIP_vector_typeIjLj2EENS0_17counting_iteratorIjlEEPS9_SG_NS0_5tupleIJPjSI_NS0_16reverse_iteratorISI_EEEEENSH_IJSG_SG_SG_EEES9_SI_JZNS1_25segmented_radix_sort_implINS0_14default_configELb0EPKbPbPKlPlN2at6native12_GLOBAL__N_18offset_tEEE10hipError_tPvRmT1_PNSt15iterator_traitsIS12_E10value_typeET2_T3_PNS13_IS18_E10value_typeET4_jRbjT5_S1E_jjP12ihipStream_tbEUljE_ZNSN_ISO_Lb0ESQ_SR_ST_SU_SY_EESZ_S10_S11_S12_S16_S17_S18_S1B_S1C_jS1D_jS1E_S1E_jjS1G_bEUljE0_EEESZ_S10_S11_S18_S1C_S1E_T6_T7_T9_mT8_S1G_bDpT10_ENKUlT_T0_E_clISt17integral_constantIbLb0EES1T_IbLb1EEEEDaS1P_S1Q_EUlS1P_E_NS1_11comp_targetILNS1_3genE9ELNS1_11target_archE1100ELNS1_3gpuE3ELNS1_3repE0EEENS1_30default_config_static_selectorELNS0_4arch9wavefront6targetE0EEEvS12_.kd
    .uniform_work_group_size: 1
    .uses_dynamic_stack: false
    .vgpr_count:     0
    .vgpr_spill_count: 0
    .wavefront_size: 32
    .workgroup_processor_mode: 1
  - .args:
      - .offset:         0
        .size:           184
        .value_kind:     by_value
    .group_segment_fixed_size: 0
    .kernarg_segment_align: 8
    .kernarg_segment_size: 184
    .language:       OpenCL C
    .language_version:
      - 2
      - 0
    .max_flat_workgroup_size: 256
    .name:           _ZN7rocprim17ROCPRIM_400000_NS6detail17trampoline_kernelINS0_13select_configILj256ELj13ELNS0_17block_load_methodE3ELS4_3ELS4_3ELNS0_20block_scan_algorithmE0ELj4294967295EEENS1_25partition_config_selectorILNS1_17partition_subalgoE4EjNS0_10empty_typeEbEEZZNS1_14partition_implILS8_4ELb0ES6_15HIP_vector_typeIjLj2EENS0_17counting_iteratorIjlEEPS9_SG_NS0_5tupleIJPjSI_NS0_16reverse_iteratorISI_EEEEENSH_IJSG_SG_SG_EEES9_SI_JZNS1_25segmented_radix_sort_implINS0_14default_configELb0EPKbPbPKlPlN2at6native12_GLOBAL__N_18offset_tEEE10hipError_tPvRmT1_PNSt15iterator_traitsIS12_E10value_typeET2_T3_PNS13_IS18_E10value_typeET4_jRbjT5_S1E_jjP12ihipStream_tbEUljE_ZNSN_ISO_Lb0ESQ_SR_ST_SU_SY_EESZ_S10_S11_S12_S16_S17_S18_S1B_S1C_jS1D_jS1E_S1E_jjS1G_bEUljE0_EEESZ_S10_S11_S18_S1C_S1E_T6_T7_T9_mT8_S1G_bDpT10_ENKUlT_T0_E_clISt17integral_constantIbLb0EES1T_IbLb1EEEEDaS1P_S1Q_EUlS1P_E_NS1_11comp_targetILNS1_3genE8ELNS1_11target_archE1030ELNS1_3gpuE2ELNS1_3repE0EEENS1_30default_config_static_selectorELNS0_4arch9wavefront6targetE0EEEvS12_
    .private_segment_fixed_size: 0
    .sgpr_count:     0
    .sgpr_spill_count: 0
    .symbol:         _ZN7rocprim17ROCPRIM_400000_NS6detail17trampoline_kernelINS0_13select_configILj256ELj13ELNS0_17block_load_methodE3ELS4_3ELS4_3ELNS0_20block_scan_algorithmE0ELj4294967295EEENS1_25partition_config_selectorILNS1_17partition_subalgoE4EjNS0_10empty_typeEbEEZZNS1_14partition_implILS8_4ELb0ES6_15HIP_vector_typeIjLj2EENS0_17counting_iteratorIjlEEPS9_SG_NS0_5tupleIJPjSI_NS0_16reverse_iteratorISI_EEEEENSH_IJSG_SG_SG_EEES9_SI_JZNS1_25segmented_radix_sort_implINS0_14default_configELb0EPKbPbPKlPlN2at6native12_GLOBAL__N_18offset_tEEE10hipError_tPvRmT1_PNSt15iterator_traitsIS12_E10value_typeET2_T3_PNS13_IS18_E10value_typeET4_jRbjT5_S1E_jjP12ihipStream_tbEUljE_ZNSN_ISO_Lb0ESQ_SR_ST_SU_SY_EESZ_S10_S11_S12_S16_S17_S18_S1B_S1C_jS1D_jS1E_S1E_jjS1G_bEUljE0_EEESZ_S10_S11_S18_S1C_S1E_T6_T7_T9_mT8_S1G_bDpT10_ENKUlT_T0_E_clISt17integral_constantIbLb0EES1T_IbLb1EEEEDaS1P_S1Q_EUlS1P_E_NS1_11comp_targetILNS1_3genE8ELNS1_11target_archE1030ELNS1_3gpuE2ELNS1_3repE0EEENS1_30default_config_static_selectorELNS0_4arch9wavefront6targetE0EEEvS12_.kd
    .uniform_work_group_size: 1
    .uses_dynamic_stack: false
    .vgpr_count:     0
    .vgpr_spill_count: 0
    .wavefront_size: 32
    .workgroup_processor_mode: 1
  - .args:
      - .offset:         0
        .size:           144
        .value_kind:     by_value
    .group_segment_fixed_size: 0
    .kernarg_segment_align: 8
    .kernarg_segment_size: 144
    .language:       OpenCL C
    .language_version:
      - 2
      - 0
    .max_flat_workgroup_size: 256
    .name:           _ZN7rocprim17ROCPRIM_400000_NS6detail17trampoline_kernelINS0_13select_configILj256ELj13ELNS0_17block_load_methodE3ELS4_3ELS4_3ELNS0_20block_scan_algorithmE0ELj4294967295EEENS1_25partition_config_selectorILNS1_17partition_subalgoE3EjNS0_10empty_typeEbEEZZNS1_14partition_implILS8_3ELb0ES6_jNS0_17counting_iteratorIjlEEPS9_SE_NS0_5tupleIJPjSE_EEENSF_IJSE_SE_EEES9_SG_JZNS1_25segmented_radix_sort_implINS0_14default_configELb0EPKbPbPKlPlN2at6native12_GLOBAL__N_18offset_tEEE10hipError_tPvRmT1_PNSt15iterator_traitsISY_E10value_typeET2_T3_PNSZ_IS14_E10value_typeET4_jRbjT5_S1A_jjP12ihipStream_tbEUljE_EEESV_SW_SX_S14_S18_S1A_T6_T7_T9_mT8_S1C_bDpT10_ENKUlT_T0_E_clISt17integral_constantIbLb0EES1P_EEDaS1K_S1L_EUlS1K_E_NS1_11comp_targetILNS1_3genE0ELNS1_11target_archE4294967295ELNS1_3gpuE0ELNS1_3repE0EEENS1_30default_config_static_selectorELNS0_4arch9wavefront6targetE0EEEvSY_
    .private_segment_fixed_size: 0
    .sgpr_count:     0
    .sgpr_spill_count: 0
    .symbol:         _ZN7rocprim17ROCPRIM_400000_NS6detail17trampoline_kernelINS0_13select_configILj256ELj13ELNS0_17block_load_methodE3ELS4_3ELS4_3ELNS0_20block_scan_algorithmE0ELj4294967295EEENS1_25partition_config_selectorILNS1_17partition_subalgoE3EjNS0_10empty_typeEbEEZZNS1_14partition_implILS8_3ELb0ES6_jNS0_17counting_iteratorIjlEEPS9_SE_NS0_5tupleIJPjSE_EEENSF_IJSE_SE_EEES9_SG_JZNS1_25segmented_radix_sort_implINS0_14default_configELb0EPKbPbPKlPlN2at6native12_GLOBAL__N_18offset_tEEE10hipError_tPvRmT1_PNSt15iterator_traitsISY_E10value_typeET2_T3_PNSZ_IS14_E10value_typeET4_jRbjT5_S1A_jjP12ihipStream_tbEUljE_EEESV_SW_SX_S14_S18_S1A_T6_T7_T9_mT8_S1C_bDpT10_ENKUlT_T0_E_clISt17integral_constantIbLb0EES1P_EEDaS1K_S1L_EUlS1K_E_NS1_11comp_targetILNS1_3genE0ELNS1_11target_archE4294967295ELNS1_3gpuE0ELNS1_3repE0EEENS1_30default_config_static_selectorELNS0_4arch9wavefront6targetE0EEEvSY_.kd
    .uniform_work_group_size: 1
    .uses_dynamic_stack: false
    .vgpr_count:     0
    .vgpr_spill_count: 0
    .wavefront_size: 32
    .workgroup_processor_mode: 1
  - .args:
      - .offset:         0
        .size:           144
        .value_kind:     by_value
    .group_segment_fixed_size: 0
    .kernarg_segment_align: 8
    .kernarg_segment_size: 144
    .language:       OpenCL C
    .language_version:
      - 2
      - 0
    .max_flat_workgroup_size: 256
    .name:           _ZN7rocprim17ROCPRIM_400000_NS6detail17trampoline_kernelINS0_13select_configILj256ELj13ELNS0_17block_load_methodE3ELS4_3ELS4_3ELNS0_20block_scan_algorithmE0ELj4294967295EEENS1_25partition_config_selectorILNS1_17partition_subalgoE3EjNS0_10empty_typeEbEEZZNS1_14partition_implILS8_3ELb0ES6_jNS0_17counting_iteratorIjlEEPS9_SE_NS0_5tupleIJPjSE_EEENSF_IJSE_SE_EEES9_SG_JZNS1_25segmented_radix_sort_implINS0_14default_configELb0EPKbPbPKlPlN2at6native12_GLOBAL__N_18offset_tEEE10hipError_tPvRmT1_PNSt15iterator_traitsISY_E10value_typeET2_T3_PNSZ_IS14_E10value_typeET4_jRbjT5_S1A_jjP12ihipStream_tbEUljE_EEESV_SW_SX_S14_S18_S1A_T6_T7_T9_mT8_S1C_bDpT10_ENKUlT_T0_E_clISt17integral_constantIbLb0EES1P_EEDaS1K_S1L_EUlS1K_E_NS1_11comp_targetILNS1_3genE5ELNS1_11target_archE942ELNS1_3gpuE9ELNS1_3repE0EEENS1_30default_config_static_selectorELNS0_4arch9wavefront6targetE0EEEvSY_
    .private_segment_fixed_size: 0
    .sgpr_count:     0
    .sgpr_spill_count: 0
    .symbol:         _ZN7rocprim17ROCPRIM_400000_NS6detail17trampoline_kernelINS0_13select_configILj256ELj13ELNS0_17block_load_methodE3ELS4_3ELS4_3ELNS0_20block_scan_algorithmE0ELj4294967295EEENS1_25partition_config_selectorILNS1_17partition_subalgoE3EjNS0_10empty_typeEbEEZZNS1_14partition_implILS8_3ELb0ES6_jNS0_17counting_iteratorIjlEEPS9_SE_NS0_5tupleIJPjSE_EEENSF_IJSE_SE_EEES9_SG_JZNS1_25segmented_radix_sort_implINS0_14default_configELb0EPKbPbPKlPlN2at6native12_GLOBAL__N_18offset_tEEE10hipError_tPvRmT1_PNSt15iterator_traitsISY_E10value_typeET2_T3_PNSZ_IS14_E10value_typeET4_jRbjT5_S1A_jjP12ihipStream_tbEUljE_EEESV_SW_SX_S14_S18_S1A_T6_T7_T9_mT8_S1C_bDpT10_ENKUlT_T0_E_clISt17integral_constantIbLb0EES1P_EEDaS1K_S1L_EUlS1K_E_NS1_11comp_targetILNS1_3genE5ELNS1_11target_archE942ELNS1_3gpuE9ELNS1_3repE0EEENS1_30default_config_static_selectorELNS0_4arch9wavefront6targetE0EEEvSY_.kd
    .uniform_work_group_size: 1
    .uses_dynamic_stack: false
    .vgpr_count:     0
    .vgpr_spill_count: 0
    .wavefront_size: 32
    .workgroup_processor_mode: 1
  - .args:
      - .offset:         0
        .size:           144
        .value_kind:     by_value
    .group_segment_fixed_size: 0
    .kernarg_segment_align: 8
    .kernarg_segment_size: 144
    .language:       OpenCL C
    .language_version:
      - 2
      - 0
    .max_flat_workgroup_size: 256
    .name:           _ZN7rocprim17ROCPRIM_400000_NS6detail17trampoline_kernelINS0_13select_configILj256ELj13ELNS0_17block_load_methodE3ELS4_3ELS4_3ELNS0_20block_scan_algorithmE0ELj4294967295EEENS1_25partition_config_selectorILNS1_17partition_subalgoE3EjNS0_10empty_typeEbEEZZNS1_14partition_implILS8_3ELb0ES6_jNS0_17counting_iteratorIjlEEPS9_SE_NS0_5tupleIJPjSE_EEENSF_IJSE_SE_EEES9_SG_JZNS1_25segmented_radix_sort_implINS0_14default_configELb0EPKbPbPKlPlN2at6native12_GLOBAL__N_18offset_tEEE10hipError_tPvRmT1_PNSt15iterator_traitsISY_E10value_typeET2_T3_PNSZ_IS14_E10value_typeET4_jRbjT5_S1A_jjP12ihipStream_tbEUljE_EEESV_SW_SX_S14_S18_S1A_T6_T7_T9_mT8_S1C_bDpT10_ENKUlT_T0_E_clISt17integral_constantIbLb0EES1P_EEDaS1K_S1L_EUlS1K_E_NS1_11comp_targetILNS1_3genE4ELNS1_11target_archE910ELNS1_3gpuE8ELNS1_3repE0EEENS1_30default_config_static_selectorELNS0_4arch9wavefront6targetE0EEEvSY_
    .private_segment_fixed_size: 0
    .sgpr_count:     0
    .sgpr_spill_count: 0
    .symbol:         _ZN7rocprim17ROCPRIM_400000_NS6detail17trampoline_kernelINS0_13select_configILj256ELj13ELNS0_17block_load_methodE3ELS4_3ELS4_3ELNS0_20block_scan_algorithmE0ELj4294967295EEENS1_25partition_config_selectorILNS1_17partition_subalgoE3EjNS0_10empty_typeEbEEZZNS1_14partition_implILS8_3ELb0ES6_jNS0_17counting_iteratorIjlEEPS9_SE_NS0_5tupleIJPjSE_EEENSF_IJSE_SE_EEES9_SG_JZNS1_25segmented_radix_sort_implINS0_14default_configELb0EPKbPbPKlPlN2at6native12_GLOBAL__N_18offset_tEEE10hipError_tPvRmT1_PNSt15iterator_traitsISY_E10value_typeET2_T3_PNSZ_IS14_E10value_typeET4_jRbjT5_S1A_jjP12ihipStream_tbEUljE_EEESV_SW_SX_S14_S18_S1A_T6_T7_T9_mT8_S1C_bDpT10_ENKUlT_T0_E_clISt17integral_constantIbLb0EES1P_EEDaS1K_S1L_EUlS1K_E_NS1_11comp_targetILNS1_3genE4ELNS1_11target_archE910ELNS1_3gpuE8ELNS1_3repE0EEENS1_30default_config_static_selectorELNS0_4arch9wavefront6targetE0EEEvSY_.kd
    .uniform_work_group_size: 1
    .uses_dynamic_stack: false
    .vgpr_count:     0
    .vgpr_spill_count: 0
    .wavefront_size: 32
    .workgroup_processor_mode: 1
  - .args:
      - .offset:         0
        .size:           144
        .value_kind:     by_value
    .group_segment_fixed_size: 0
    .kernarg_segment_align: 8
    .kernarg_segment_size: 144
    .language:       OpenCL C
    .language_version:
      - 2
      - 0
    .max_flat_workgroup_size: 256
    .name:           _ZN7rocprim17ROCPRIM_400000_NS6detail17trampoline_kernelINS0_13select_configILj256ELj13ELNS0_17block_load_methodE3ELS4_3ELS4_3ELNS0_20block_scan_algorithmE0ELj4294967295EEENS1_25partition_config_selectorILNS1_17partition_subalgoE3EjNS0_10empty_typeEbEEZZNS1_14partition_implILS8_3ELb0ES6_jNS0_17counting_iteratorIjlEEPS9_SE_NS0_5tupleIJPjSE_EEENSF_IJSE_SE_EEES9_SG_JZNS1_25segmented_radix_sort_implINS0_14default_configELb0EPKbPbPKlPlN2at6native12_GLOBAL__N_18offset_tEEE10hipError_tPvRmT1_PNSt15iterator_traitsISY_E10value_typeET2_T3_PNSZ_IS14_E10value_typeET4_jRbjT5_S1A_jjP12ihipStream_tbEUljE_EEESV_SW_SX_S14_S18_S1A_T6_T7_T9_mT8_S1C_bDpT10_ENKUlT_T0_E_clISt17integral_constantIbLb0EES1P_EEDaS1K_S1L_EUlS1K_E_NS1_11comp_targetILNS1_3genE3ELNS1_11target_archE908ELNS1_3gpuE7ELNS1_3repE0EEENS1_30default_config_static_selectorELNS0_4arch9wavefront6targetE0EEEvSY_
    .private_segment_fixed_size: 0
    .sgpr_count:     0
    .sgpr_spill_count: 0
    .symbol:         _ZN7rocprim17ROCPRIM_400000_NS6detail17trampoline_kernelINS0_13select_configILj256ELj13ELNS0_17block_load_methodE3ELS4_3ELS4_3ELNS0_20block_scan_algorithmE0ELj4294967295EEENS1_25partition_config_selectorILNS1_17partition_subalgoE3EjNS0_10empty_typeEbEEZZNS1_14partition_implILS8_3ELb0ES6_jNS0_17counting_iteratorIjlEEPS9_SE_NS0_5tupleIJPjSE_EEENSF_IJSE_SE_EEES9_SG_JZNS1_25segmented_radix_sort_implINS0_14default_configELb0EPKbPbPKlPlN2at6native12_GLOBAL__N_18offset_tEEE10hipError_tPvRmT1_PNSt15iterator_traitsISY_E10value_typeET2_T3_PNSZ_IS14_E10value_typeET4_jRbjT5_S1A_jjP12ihipStream_tbEUljE_EEESV_SW_SX_S14_S18_S1A_T6_T7_T9_mT8_S1C_bDpT10_ENKUlT_T0_E_clISt17integral_constantIbLb0EES1P_EEDaS1K_S1L_EUlS1K_E_NS1_11comp_targetILNS1_3genE3ELNS1_11target_archE908ELNS1_3gpuE7ELNS1_3repE0EEENS1_30default_config_static_selectorELNS0_4arch9wavefront6targetE0EEEvSY_.kd
    .uniform_work_group_size: 1
    .uses_dynamic_stack: false
    .vgpr_count:     0
    .vgpr_spill_count: 0
    .wavefront_size: 32
    .workgroup_processor_mode: 1
  - .args:
      - .offset:         0
        .size:           144
        .value_kind:     by_value
    .group_segment_fixed_size: 0
    .kernarg_segment_align: 8
    .kernarg_segment_size: 144
    .language:       OpenCL C
    .language_version:
      - 2
      - 0
    .max_flat_workgroup_size: 256
    .name:           _ZN7rocprim17ROCPRIM_400000_NS6detail17trampoline_kernelINS0_13select_configILj256ELj13ELNS0_17block_load_methodE3ELS4_3ELS4_3ELNS0_20block_scan_algorithmE0ELj4294967295EEENS1_25partition_config_selectorILNS1_17partition_subalgoE3EjNS0_10empty_typeEbEEZZNS1_14partition_implILS8_3ELb0ES6_jNS0_17counting_iteratorIjlEEPS9_SE_NS0_5tupleIJPjSE_EEENSF_IJSE_SE_EEES9_SG_JZNS1_25segmented_radix_sort_implINS0_14default_configELb0EPKbPbPKlPlN2at6native12_GLOBAL__N_18offset_tEEE10hipError_tPvRmT1_PNSt15iterator_traitsISY_E10value_typeET2_T3_PNSZ_IS14_E10value_typeET4_jRbjT5_S1A_jjP12ihipStream_tbEUljE_EEESV_SW_SX_S14_S18_S1A_T6_T7_T9_mT8_S1C_bDpT10_ENKUlT_T0_E_clISt17integral_constantIbLb0EES1P_EEDaS1K_S1L_EUlS1K_E_NS1_11comp_targetILNS1_3genE2ELNS1_11target_archE906ELNS1_3gpuE6ELNS1_3repE0EEENS1_30default_config_static_selectorELNS0_4arch9wavefront6targetE0EEEvSY_
    .private_segment_fixed_size: 0
    .sgpr_count:     0
    .sgpr_spill_count: 0
    .symbol:         _ZN7rocprim17ROCPRIM_400000_NS6detail17trampoline_kernelINS0_13select_configILj256ELj13ELNS0_17block_load_methodE3ELS4_3ELS4_3ELNS0_20block_scan_algorithmE0ELj4294967295EEENS1_25partition_config_selectorILNS1_17partition_subalgoE3EjNS0_10empty_typeEbEEZZNS1_14partition_implILS8_3ELb0ES6_jNS0_17counting_iteratorIjlEEPS9_SE_NS0_5tupleIJPjSE_EEENSF_IJSE_SE_EEES9_SG_JZNS1_25segmented_radix_sort_implINS0_14default_configELb0EPKbPbPKlPlN2at6native12_GLOBAL__N_18offset_tEEE10hipError_tPvRmT1_PNSt15iterator_traitsISY_E10value_typeET2_T3_PNSZ_IS14_E10value_typeET4_jRbjT5_S1A_jjP12ihipStream_tbEUljE_EEESV_SW_SX_S14_S18_S1A_T6_T7_T9_mT8_S1C_bDpT10_ENKUlT_T0_E_clISt17integral_constantIbLb0EES1P_EEDaS1K_S1L_EUlS1K_E_NS1_11comp_targetILNS1_3genE2ELNS1_11target_archE906ELNS1_3gpuE6ELNS1_3repE0EEENS1_30default_config_static_selectorELNS0_4arch9wavefront6targetE0EEEvSY_.kd
    .uniform_work_group_size: 1
    .uses_dynamic_stack: false
    .vgpr_count:     0
    .vgpr_spill_count: 0
    .wavefront_size: 32
    .workgroup_processor_mode: 1
  - .args:
      - .offset:         0
        .size:           144
        .value_kind:     by_value
    .group_segment_fixed_size: 13320
    .kernarg_segment_align: 8
    .kernarg_segment_size: 144
    .language:       OpenCL C
    .language_version:
      - 2
      - 0
    .max_flat_workgroup_size: 256
    .name:           _ZN7rocprim17ROCPRIM_400000_NS6detail17trampoline_kernelINS0_13select_configILj256ELj13ELNS0_17block_load_methodE3ELS4_3ELS4_3ELNS0_20block_scan_algorithmE0ELj4294967295EEENS1_25partition_config_selectorILNS1_17partition_subalgoE3EjNS0_10empty_typeEbEEZZNS1_14partition_implILS8_3ELb0ES6_jNS0_17counting_iteratorIjlEEPS9_SE_NS0_5tupleIJPjSE_EEENSF_IJSE_SE_EEES9_SG_JZNS1_25segmented_radix_sort_implINS0_14default_configELb0EPKbPbPKlPlN2at6native12_GLOBAL__N_18offset_tEEE10hipError_tPvRmT1_PNSt15iterator_traitsISY_E10value_typeET2_T3_PNSZ_IS14_E10value_typeET4_jRbjT5_S1A_jjP12ihipStream_tbEUljE_EEESV_SW_SX_S14_S18_S1A_T6_T7_T9_mT8_S1C_bDpT10_ENKUlT_T0_E_clISt17integral_constantIbLb0EES1P_EEDaS1K_S1L_EUlS1K_E_NS1_11comp_targetILNS1_3genE10ELNS1_11target_archE1200ELNS1_3gpuE4ELNS1_3repE0EEENS1_30default_config_static_selectorELNS0_4arch9wavefront6targetE0EEEvSY_
    .private_segment_fixed_size: 0
    .sgpr_count:     28
    .sgpr_spill_count: 0
    .symbol:         _ZN7rocprim17ROCPRIM_400000_NS6detail17trampoline_kernelINS0_13select_configILj256ELj13ELNS0_17block_load_methodE3ELS4_3ELS4_3ELNS0_20block_scan_algorithmE0ELj4294967295EEENS1_25partition_config_selectorILNS1_17partition_subalgoE3EjNS0_10empty_typeEbEEZZNS1_14partition_implILS8_3ELb0ES6_jNS0_17counting_iteratorIjlEEPS9_SE_NS0_5tupleIJPjSE_EEENSF_IJSE_SE_EEES9_SG_JZNS1_25segmented_radix_sort_implINS0_14default_configELb0EPKbPbPKlPlN2at6native12_GLOBAL__N_18offset_tEEE10hipError_tPvRmT1_PNSt15iterator_traitsISY_E10value_typeET2_T3_PNSZ_IS14_E10value_typeET4_jRbjT5_S1A_jjP12ihipStream_tbEUljE_EEESV_SW_SX_S14_S18_S1A_T6_T7_T9_mT8_S1C_bDpT10_ENKUlT_T0_E_clISt17integral_constantIbLb0EES1P_EEDaS1K_S1L_EUlS1K_E_NS1_11comp_targetILNS1_3genE10ELNS1_11target_archE1200ELNS1_3gpuE4ELNS1_3repE0EEENS1_30default_config_static_selectorELNS0_4arch9wavefront6targetE0EEEvSY_.kd
    .uniform_work_group_size: 1
    .uses_dynamic_stack: false
    .vgpr_count:     69
    .vgpr_spill_count: 0
    .wavefront_size: 32
    .workgroup_processor_mode: 1
  - .args:
      - .offset:         0
        .size:           144
        .value_kind:     by_value
    .group_segment_fixed_size: 0
    .kernarg_segment_align: 8
    .kernarg_segment_size: 144
    .language:       OpenCL C
    .language_version:
      - 2
      - 0
    .max_flat_workgroup_size: 256
    .name:           _ZN7rocprim17ROCPRIM_400000_NS6detail17trampoline_kernelINS0_13select_configILj256ELj13ELNS0_17block_load_methodE3ELS4_3ELS4_3ELNS0_20block_scan_algorithmE0ELj4294967295EEENS1_25partition_config_selectorILNS1_17partition_subalgoE3EjNS0_10empty_typeEbEEZZNS1_14partition_implILS8_3ELb0ES6_jNS0_17counting_iteratorIjlEEPS9_SE_NS0_5tupleIJPjSE_EEENSF_IJSE_SE_EEES9_SG_JZNS1_25segmented_radix_sort_implINS0_14default_configELb0EPKbPbPKlPlN2at6native12_GLOBAL__N_18offset_tEEE10hipError_tPvRmT1_PNSt15iterator_traitsISY_E10value_typeET2_T3_PNSZ_IS14_E10value_typeET4_jRbjT5_S1A_jjP12ihipStream_tbEUljE_EEESV_SW_SX_S14_S18_S1A_T6_T7_T9_mT8_S1C_bDpT10_ENKUlT_T0_E_clISt17integral_constantIbLb0EES1P_EEDaS1K_S1L_EUlS1K_E_NS1_11comp_targetILNS1_3genE9ELNS1_11target_archE1100ELNS1_3gpuE3ELNS1_3repE0EEENS1_30default_config_static_selectorELNS0_4arch9wavefront6targetE0EEEvSY_
    .private_segment_fixed_size: 0
    .sgpr_count:     0
    .sgpr_spill_count: 0
    .symbol:         _ZN7rocprim17ROCPRIM_400000_NS6detail17trampoline_kernelINS0_13select_configILj256ELj13ELNS0_17block_load_methodE3ELS4_3ELS4_3ELNS0_20block_scan_algorithmE0ELj4294967295EEENS1_25partition_config_selectorILNS1_17partition_subalgoE3EjNS0_10empty_typeEbEEZZNS1_14partition_implILS8_3ELb0ES6_jNS0_17counting_iteratorIjlEEPS9_SE_NS0_5tupleIJPjSE_EEENSF_IJSE_SE_EEES9_SG_JZNS1_25segmented_radix_sort_implINS0_14default_configELb0EPKbPbPKlPlN2at6native12_GLOBAL__N_18offset_tEEE10hipError_tPvRmT1_PNSt15iterator_traitsISY_E10value_typeET2_T3_PNSZ_IS14_E10value_typeET4_jRbjT5_S1A_jjP12ihipStream_tbEUljE_EEESV_SW_SX_S14_S18_S1A_T6_T7_T9_mT8_S1C_bDpT10_ENKUlT_T0_E_clISt17integral_constantIbLb0EES1P_EEDaS1K_S1L_EUlS1K_E_NS1_11comp_targetILNS1_3genE9ELNS1_11target_archE1100ELNS1_3gpuE3ELNS1_3repE0EEENS1_30default_config_static_selectorELNS0_4arch9wavefront6targetE0EEEvSY_.kd
    .uniform_work_group_size: 1
    .uses_dynamic_stack: false
    .vgpr_count:     0
    .vgpr_spill_count: 0
    .wavefront_size: 32
    .workgroup_processor_mode: 1
  - .args:
      - .offset:         0
        .size:           144
        .value_kind:     by_value
    .group_segment_fixed_size: 0
    .kernarg_segment_align: 8
    .kernarg_segment_size: 144
    .language:       OpenCL C
    .language_version:
      - 2
      - 0
    .max_flat_workgroup_size: 256
    .name:           _ZN7rocprim17ROCPRIM_400000_NS6detail17trampoline_kernelINS0_13select_configILj256ELj13ELNS0_17block_load_methodE3ELS4_3ELS4_3ELNS0_20block_scan_algorithmE0ELj4294967295EEENS1_25partition_config_selectorILNS1_17partition_subalgoE3EjNS0_10empty_typeEbEEZZNS1_14partition_implILS8_3ELb0ES6_jNS0_17counting_iteratorIjlEEPS9_SE_NS0_5tupleIJPjSE_EEENSF_IJSE_SE_EEES9_SG_JZNS1_25segmented_radix_sort_implINS0_14default_configELb0EPKbPbPKlPlN2at6native12_GLOBAL__N_18offset_tEEE10hipError_tPvRmT1_PNSt15iterator_traitsISY_E10value_typeET2_T3_PNSZ_IS14_E10value_typeET4_jRbjT5_S1A_jjP12ihipStream_tbEUljE_EEESV_SW_SX_S14_S18_S1A_T6_T7_T9_mT8_S1C_bDpT10_ENKUlT_T0_E_clISt17integral_constantIbLb0EES1P_EEDaS1K_S1L_EUlS1K_E_NS1_11comp_targetILNS1_3genE8ELNS1_11target_archE1030ELNS1_3gpuE2ELNS1_3repE0EEENS1_30default_config_static_selectorELNS0_4arch9wavefront6targetE0EEEvSY_
    .private_segment_fixed_size: 0
    .sgpr_count:     0
    .sgpr_spill_count: 0
    .symbol:         _ZN7rocprim17ROCPRIM_400000_NS6detail17trampoline_kernelINS0_13select_configILj256ELj13ELNS0_17block_load_methodE3ELS4_3ELS4_3ELNS0_20block_scan_algorithmE0ELj4294967295EEENS1_25partition_config_selectorILNS1_17partition_subalgoE3EjNS0_10empty_typeEbEEZZNS1_14partition_implILS8_3ELb0ES6_jNS0_17counting_iteratorIjlEEPS9_SE_NS0_5tupleIJPjSE_EEENSF_IJSE_SE_EEES9_SG_JZNS1_25segmented_radix_sort_implINS0_14default_configELb0EPKbPbPKlPlN2at6native12_GLOBAL__N_18offset_tEEE10hipError_tPvRmT1_PNSt15iterator_traitsISY_E10value_typeET2_T3_PNSZ_IS14_E10value_typeET4_jRbjT5_S1A_jjP12ihipStream_tbEUljE_EEESV_SW_SX_S14_S18_S1A_T6_T7_T9_mT8_S1C_bDpT10_ENKUlT_T0_E_clISt17integral_constantIbLb0EES1P_EEDaS1K_S1L_EUlS1K_E_NS1_11comp_targetILNS1_3genE8ELNS1_11target_archE1030ELNS1_3gpuE2ELNS1_3repE0EEENS1_30default_config_static_selectorELNS0_4arch9wavefront6targetE0EEEvSY_.kd
    .uniform_work_group_size: 1
    .uses_dynamic_stack: false
    .vgpr_count:     0
    .vgpr_spill_count: 0
    .wavefront_size: 32
    .workgroup_processor_mode: 1
  - .args:
      - .offset:         0
        .size:           152
        .value_kind:     by_value
    .group_segment_fixed_size: 0
    .kernarg_segment_align: 8
    .kernarg_segment_size: 152
    .language:       OpenCL C
    .language_version:
      - 2
      - 0
    .max_flat_workgroup_size: 256
    .name:           _ZN7rocprim17ROCPRIM_400000_NS6detail17trampoline_kernelINS0_13select_configILj256ELj13ELNS0_17block_load_methodE3ELS4_3ELS4_3ELNS0_20block_scan_algorithmE0ELj4294967295EEENS1_25partition_config_selectorILNS1_17partition_subalgoE3EjNS0_10empty_typeEbEEZZNS1_14partition_implILS8_3ELb0ES6_jNS0_17counting_iteratorIjlEEPS9_SE_NS0_5tupleIJPjSE_EEENSF_IJSE_SE_EEES9_SG_JZNS1_25segmented_radix_sort_implINS0_14default_configELb0EPKbPbPKlPlN2at6native12_GLOBAL__N_18offset_tEEE10hipError_tPvRmT1_PNSt15iterator_traitsISY_E10value_typeET2_T3_PNSZ_IS14_E10value_typeET4_jRbjT5_S1A_jjP12ihipStream_tbEUljE_EEESV_SW_SX_S14_S18_S1A_T6_T7_T9_mT8_S1C_bDpT10_ENKUlT_T0_E_clISt17integral_constantIbLb1EES1P_EEDaS1K_S1L_EUlS1K_E_NS1_11comp_targetILNS1_3genE0ELNS1_11target_archE4294967295ELNS1_3gpuE0ELNS1_3repE0EEENS1_30default_config_static_selectorELNS0_4arch9wavefront6targetE0EEEvSY_
    .private_segment_fixed_size: 0
    .sgpr_count:     0
    .sgpr_spill_count: 0
    .symbol:         _ZN7rocprim17ROCPRIM_400000_NS6detail17trampoline_kernelINS0_13select_configILj256ELj13ELNS0_17block_load_methodE3ELS4_3ELS4_3ELNS0_20block_scan_algorithmE0ELj4294967295EEENS1_25partition_config_selectorILNS1_17partition_subalgoE3EjNS0_10empty_typeEbEEZZNS1_14partition_implILS8_3ELb0ES6_jNS0_17counting_iteratorIjlEEPS9_SE_NS0_5tupleIJPjSE_EEENSF_IJSE_SE_EEES9_SG_JZNS1_25segmented_radix_sort_implINS0_14default_configELb0EPKbPbPKlPlN2at6native12_GLOBAL__N_18offset_tEEE10hipError_tPvRmT1_PNSt15iterator_traitsISY_E10value_typeET2_T3_PNSZ_IS14_E10value_typeET4_jRbjT5_S1A_jjP12ihipStream_tbEUljE_EEESV_SW_SX_S14_S18_S1A_T6_T7_T9_mT8_S1C_bDpT10_ENKUlT_T0_E_clISt17integral_constantIbLb1EES1P_EEDaS1K_S1L_EUlS1K_E_NS1_11comp_targetILNS1_3genE0ELNS1_11target_archE4294967295ELNS1_3gpuE0ELNS1_3repE0EEENS1_30default_config_static_selectorELNS0_4arch9wavefront6targetE0EEEvSY_.kd
    .uniform_work_group_size: 1
    .uses_dynamic_stack: false
    .vgpr_count:     0
    .vgpr_spill_count: 0
    .wavefront_size: 32
    .workgroup_processor_mode: 1
  - .args:
      - .offset:         0
        .size:           152
        .value_kind:     by_value
    .group_segment_fixed_size: 0
    .kernarg_segment_align: 8
    .kernarg_segment_size: 152
    .language:       OpenCL C
    .language_version:
      - 2
      - 0
    .max_flat_workgroup_size: 256
    .name:           _ZN7rocprim17ROCPRIM_400000_NS6detail17trampoline_kernelINS0_13select_configILj256ELj13ELNS0_17block_load_methodE3ELS4_3ELS4_3ELNS0_20block_scan_algorithmE0ELj4294967295EEENS1_25partition_config_selectorILNS1_17partition_subalgoE3EjNS0_10empty_typeEbEEZZNS1_14partition_implILS8_3ELb0ES6_jNS0_17counting_iteratorIjlEEPS9_SE_NS0_5tupleIJPjSE_EEENSF_IJSE_SE_EEES9_SG_JZNS1_25segmented_radix_sort_implINS0_14default_configELb0EPKbPbPKlPlN2at6native12_GLOBAL__N_18offset_tEEE10hipError_tPvRmT1_PNSt15iterator_traitsISY_E10value_typeET2_T3_PNSZ_IS14_E10value_typeET4_jRbjT5_S1A_jjP12ihipStream_tbEUljE_EEESV_SW_SX_S14_S18_S1A_T6_T7_T9_mT8_S1C_bDpT10_ENKUlT_T0_E_clISt17integral_constantIbLb1EES1P_EEDaS1K_S1L_EUlS1K_E_NS1_11comp_targetILNS1_3genE5ELNS1_11target_archE942ELNS1_3gpuE9ELNS1_3repE0EEENS1_30default_config_static_selectorELNS0_4arch9wavefront6targetE0EEEvSY_
    .private_segment_fixed_size: 0
    .sgpr_count:     0
    .sgpr_spill_count: 0
    .symbol:         _ZN7rocprim17ROCPRIM_400000_NS6detail17trampoline_kernelINS0_13select_configILj256ELj13ELNS0_17block_load_methodE3ELS4_3ELS4_3ELNS0_20block_scan_algorithmE0ELj4294967295EEENS1_25partition_config_selectorILNS1_17partition_subalgoE3EjNS0_10empty_typeEbEEZZNS1_14partition_implILS8_3ELb0ES6_jNS0_17counting_iteratorIjlEEPS9_SE_NS0_5tupleIJPjSE_EEENSF_IJSE_SE_EEES9_SG_JZNS1_25segmented_radix_sort_implINS0_14default_configELb0EPKbPbPKlPlN2at6native12_GLOBAL__N_18offset_tEEE10hipError_tPvRmT1_PNSt15iterator_traitsISY_E10value_typeET2_T3_PNSZ_IS14_E10value_typeET4_jRbjT5_S1A_jjP12ihipStream_tbEUljE_EEESV_SW_SX_S14_S18_S1A_T6_T7_T9_mT8_S1C_bDpT10_ENKUlT_T0_E_clISt17integral_constantIbLb1EES1P_EEDaS1K_S1L_EUlS1K_E_NS1_11comp_targetILNS1_3genE5ELNS1_11target_archE942ELNS1_3gpuE9ELNS1_3repE0EEENS1_30default_config_static_selectorELNS0_4arch9wavefront6targetE0EEEvSY_.kd
    .uniform_work_group_size: 1
    .uses_dynamic_stack: false
    .vgpr_count:     0
    .vgpr_spill_count: 0
    .wavefront_size: 32
    .workgroup_processor_mode: 1
  - .args:
      - .offset:         0
        .size:           152
        .value_kind:     by_value
    .group_segment_fixed_size: 0
    .kernarg_segment_align: 8
    .kernarg_segment_size: 152
    .language:       OpenCL C
    .language_version:
      - 2
      - 0
    .max_flat_workgroup_size: 256
    .name:           _ZN7rocprim17ROCPRIM_400000_NS6detail17trampoline_kernelINS0_13select_configILj256ELj13ELNS0_17block_load_methodE3ELS4_3ELS4_3ELNS0_20block_scan_algorithmE0ELj4294967295EEENS1_25partition_config_selectorILNS1_17partition_subalgoE3EjNS0_10empty_typeEbEEZZNS1_14partition_implILS8_3ELb0ES6_jNS0_17counting_iteratorIjlEEPS9_SE_NS0_5tupleIJPjSE_EEENSF_IJSE_SE_EEES9_SG_JZNS1_25segmented_radix_sort_implINS0_14default_configELb0EPKbPbPKlPlN2at6native12_GLOBAL__N_18offset_tEEE10hipError_tPvRmT1_PNSt15iterator_traitsISY_E10value_typeET2_T3_PNSZ_IS14_E10value_typeET4_jRbjT5_S1A_jjP12ihipStream_tbEUljE_EEESV_SW_SX_S14_S18_S1A_T6_T7_T9_mT8_S1C_bDpT10_ENKUlT_T0_E_clISt17integral_constantIbLb1EES1P_EEDaS1K_S1L_EUlS1K_E_NS1_11comp_targetILNS1_3genE4ELNS1_11target_archE910ELNS1_3gpuE8ELNS1_3repE0EEENS1_30default_config_static_selectorELNS0_4arch9wavefront6targetE0EEEvSY_
    .private_segment_fixed_size: 0
    .sgpr_count:     0
    .sgpr_spill_count: 0
    .symbol:         _ZN7rocprim17ROCPRIM_400000_NS6detail17trampoline_kernelINS0_13select_configILj256ELj13ELNS0_17block_load_methodE3ELS4_3ELS4_3ELNS0_20block_scan_algorithmE0ELj4294967295EEENS1_25partition_config_selectorILNS1_17partition_subalgoE3EjNS0_10empty_typeEbEEZZNS1_14partition_implILS8_3ELb0ES6_jNS0_17counting_iteratorIjlEEPS9_SE_NS0_5tupleIJPjSE_EEENSF_IJSE_SE_EEES9_SG_JZNS1_25segmented_radix_sort_implINS0_14default_configELb0EPKbPbPKlPlN2at6native12_GLOBAL__N_18offset_tEEE10hipError_tPvRmT1_PNSt15iterator_traitsISY_E10value_typeET2_T3_PNSZ_IS14_E10value_typeET4_jRbjT5_S1A_jjP12ihipStream_tbEUljE_EEESV_SW_SX_S14_S18_S1A_T6_T7_T9_mT8_S1C_bDpT10_ENKUlT_T0_E_clISt17integral_constantIbLb1EES1P_EEDaS1K_S1L_EUlS1K_E_NS1_11comp_targetILNS1_3genE4ELNS1_11target_archE910ELNS1_3gpuE8ELNS1_3repE0EEENS1_30default_config_static_selectorELNS0_4arch9wavefront6targetE0EEEvSY_.kd
    .uniform_work_group_size: 1
    .uses_dynamic_stack: false
    .vgpr_count:     0
    .vgpr_spill_count: 0
    .wavefront_size: 32
    .workgroup_processor_mode: 1
  - .args:
      - .offset:         0
        .size:           152
        .value_kind:     by_value
    .group_segment_fixed_size: 0
    .kernarg_segment_align: 8
    .kernarg_segment_size: 152
    .language:       OpenCL C
    .language_version:
      - 2
      - 0
    .max_flat_workgroup_size: 256
    .name:           _ZN7rocprim17ROCPRIM_400000_NS6detail17trampoline_kernelINS0_13select_configILj256ELj13ELNS0_17block_load_methodE3ELS4_3ELS4_3ELNS0_20block_scan_algorithmE0ELj4294967295EEENS1_25partition_config_selectorILNS1_17partition_subalgoE3EjNS0_10empty_typeEbEEZZNS1_14partition_implILS8_3ELb0ES6_jNS0_17counting_iteratorIjlEEPS9_SE_NS0_5tupleIJPjSE_EEENSF_IJSE_SE_EEES9_SG_JZNS1_25segmented_radix_sort_implINS0_14default_configELb0EPKbPbPKlPlN2at6native12_GLOBAL__N_18offset_tEEE10hipError_tPvRmT1_PNSt15iterator_traitsISY_E10value_typeET2_T3_PNSZ_IS14_E10value_typeET4_jRbjT5_S1A_jjP12ihipStream_tbEUljE_EEESV_SW_SX_S14_S18_S1A_T6_T7_T9_mT8_S1C_bDpT10_ENKUlT_T0_E_clISt17integral_constantIbLb1EES1P_EEDaS1K_S1L_EUlS1K_E_NS1_11comp_targetILNS1_3genE3ELNS1_11target_archE908ELNS1_3gpuE7ELNS1_3repE0EEENS1_30default_config_static_selectorELNS0_4arch9wavefront6targetE0EEEvSY_
    .private_segment_fixed_size: 0
    .sgpr_count:     0
    .sgpr_spill_count: 0
    .symbol:         _ZN7rocprim17ROCPRIM_400000_NS6detail17trampoline_kernelINS0_13select_configILj256ELj13ELNS0_17block_load_methodE3ELS4_3ELS4_3ELNS0_20block_scan_algorithmE0ELj4294967295EEENS1_25partition_config_selectorILNS1_17partition_subalgoE3EjNS0_10empty_typeEbEEZZNS1_14partition_implILS8_3ELb0ES6_jNS0_17counting_iteratorIjlEEPS9_SE_NS0_5tupleIJPjSE_EEENSF_IJSE_SE_EEES9_SG_JZNS1_25segmented_radix_sort_implINS0_14default_configELb0EPKbPbPKlPlN2at6native12_GLOBAL__N_18offset_tEEE10hipError_tPvRmT1_PNSt15iterator_traitsISY_E10value_typeET2_T3_PNSZ_IS14_E10value_typeET4_jRbjT5_S1A_jjP12ihipStream_tbEUljE_EEESV_SW_SX_S14_S18_S1A_T6_T7_T9_mT8_S1C_bDpT10_ENKUlT_T0_E_clISt17integral_constantIbLb1EES1P_EEDaS1K_S1L_EUlS1K_E_NS1_11comp_targetILNS1_3genE3ELNS1_11target_archE908ELNS1_3gpuE7ELNS1_3repE0EEENS1_30default_config_static_selectorELNS0_4arch9wavefront6targetE0EEEvSY_.kd
    .uniform_work_group_size: 1
    .uses_dynamic_stack: false
    .vgpr_count:     0
    .vgpr_spill_count: 0
    .wavefront_size: 32
    .workgroup_processor_mode: 1
  - .args:
      - .offset:         0
        .size:           152
        .value_kind:     by_value
    .group_segment_fixed_size: 0
    .kernarg_segment_align: 8
    .kernarg_segment_size: 152
    .language:       OpenCL C
    .language_version:
      - 2
      - 0
    .max_flat_workgroup_size: 256
    .name:           _ZN7rocprim17ROCPRIM_400000_NS6detail17trampoline_kernelINS0_13select_configILj256ELj13ELNS0_17block_load_methodE3ELS4_3ELS4_3ELNS0_20block_scan_algorithmE0ELj4294967295EEENS1_25partition_config_selectorILNS1_17partition_subalgoE3EjNS0_10empty_typeEbEEZZNS1_14partition_implILS8_3ELb0ES6_jNS0_17counting_iteratorIjlEEPS9_SE_NS0_5tupleIJPjSE_EEENSF_IJSE_SE_EEES9_SG_JZNS1_25segmented_radix_sort_implINS0_14default_configELb0EPKbPbPKlPlN2at6native12_GLOBAL__N_18offset_tEEE10hipError_tPvRmT1_PNSt15iterator_traitsISY_E10value_typeET2_T3_PNSZ_IS14_E10value_typeET4_jRbjT5_S1A_jjP12ihipStream_tbEUljE_EEESV_SW_SX_S14_S18_S1A_T6_T7_T9_mT8_S1C_bDpT10_ENKUlT_T0_E_clISt17integral_constantIbLb1EES1P_EEDaS1K_S1L_EUlS1K_E_NS1_11comp_targetILNS1_3genE2ELNS1_11target_archE906ELNS1_3gpuE6ELNS1_3repE0EEENS1_30default_config_static_selectorELNS0_4arch9wavefront6targetE0EEEvSY_
    .private_segment_fixed_size: 0
    .sgpr_count:     0
    .sgpr_spill_count: 0
    .symbol:         _ZN7rocprim17ROCPRIM_400000_NS6detail17trampoline_kernelINS0_13select_configILj256ELj13ELNS0_17block_load_methodE3ELS4_3ELS4_3ELNS0_20block_scan_algorithmE0ELj4294967295EEENS1_25partition_config_selectorILNS1_17partition_subalgoE3EjNS0_10empty_typeEbEEZZNS1_14partition_implILS8_3ELb0ES6_jNS0_17counting_iteratorIjlEEPS9_SE_NS0_5tupleIJPjSE_EEENSF_IJSE_SE_EEES9_SG_JZNS1_25segmented_radix_sort_implINS0_14default_configELb0EPKbPbPKlPlN2at6native12_GLOBAL__N_18offset_tEEE10hipError_tPvRmT1_PNSt15iterator_traitsISY_E10value_typeET2_T3_PNSZ_IS14_E10value_typeET4_jRbjT5_S1A_jjP12ihipStream_tbEUljE_EEESV_SW_SX_S14_S18_S1A_T6_T7_T9_mT8_S1C_bDpT10_ENKUlT_T0_E_clISt17integral_constantIbLb1EES1P_EEDaS1K_S1L_EUlS1K_E_NS1_11comp_targetILNS1_3genE2ELNS1_11target_archE906ELNS1_3gpuE6ELNS1_3repE0EEENS1_30default_config_static_selectorELNS0_4arch9wavefront6targetE0EEEvSY_.kd
    .uniform_work_group_size: 1
    .uses_dynamic_stack: false
    .vgpr_count:     0
    .vgpr_spill_count: 0
    .wavefront_size: 32
    .workgroup_processor_mode: 1
  - .args:
      - .offset:         0
        .size:           152
        .value_kind:     by_value
    .group_segment_fixed_size: 0
    .kernarg_segment_align: 8
    .kernarg_segment_size: 152
    .language:       OpenCL C
    .language_version:
      - 2
      - 0
    .max_flat_workgroup_size: 256
    .name:           _ZN7rocprim17ROCPRIM_400000_NS6detail17trampoline_kernelINS0_13select_configILj256ELj13ELNS0_17block_load_methodE3ELS4_3ELS4_3ELNS0_20block_scan_algorithmE0ELj4294967295EEENS1_25partition_config_selectorILNS1_17partition_subalgoE3EjNS0_10empty_typeEbEEZZNS1_14partition_implILS8_3ELb0ES6_jNS0_17counting_iteratorIjlEEPS9_SE_NS0_5tupleIJPjSE_EEENSF_IJSE_SE_EEES9_SG_JZNS1_25segmented_radix_sort_implINS0_14default_configELb0EPKbPbPKlPlN2at6native12_GLOBAL__N_18offset_tEEE10hipError_tPvRmT1_PNSt15iterator_traitsISY_E10value_typeET2_T3_PNSZ_IS14_E10value_typeET4_jRbjT5_S1A_jjP12ihipStream_tbEUljE_EEESV_SW_SX_S14_S18_S1A_T6_T7_T9_mT8_S1C_bDpT10_ENKUlT_T0_E_clISt17integral_constantIbLb1EES1P_EEDaS1K_S1L_EUlS1K_E_NS1_11comp_targetILNS1_3genE10ELNS1_11target_archE1200ELNS1_3gpuE4ELNS1_3repE0EEENS1_30default_config_static_selectorELNS0_4arch9wavefront6targetE0EEEvSY_
    .private_segment_fixed_size: 0
    .sgpr_count:     0
    .sgpr_spill_count: 0
    .symbol:         _ZN7rocprim17ROCPRIM_400000_NS6detail17trampoline_kernelINS0_13select_configILj256ELj13ELNS0_17block_load_methodE3ELS4_3ELS4_3ELNS0_20block_scan_algorithmE0ELj4294967295EEENS1_25partition_config_selectorILNS1_17partition_subalgoE3EjNS0_10empty_typeEbEEZZNS1_14partition_implILS8_3ELb0ES6_jNS0_17counting_iteratorIjlEEPS9_SE_NS0_5tupleIJPjSE_EEENSF_IJSE_SE_EEES9_SG_JZNS1_25segmented_radix_sort_implINS0_14default_configELb0EPKbPbPKlPlN2at6native12_GLOBAL__N_18offset_tEEE10hipError_tPvRmT1_PNSt15iterator_traitsISY_E10value_typeET2_T3_PNSZ_IS14_E10value_typeET4_jRbjT5_S1A_jjP12ihipStream_tbEUljE_EEESV_SW_SX_S14_S18_S1A_T6_T7_T9_mT8_S1C_bDpT10_ENKUlT_T0_E_clISt17integral_constantIbLb1EES1P_EEDaS1K_S1L_EUlS1K_E_NS1_11comp_targetILNS1_3genE10ELNS1_11target_archE1200ELNS1_3gpuE4ELNS1_3repE0EEENS1_30default_config_static_selectorELNS0_4arch9wavefront6targetE0EEEvSY_.kd
    .uniform_work_group_size: 1
    .uses_dynamic_stack: false
    .vgpr_count:     0
    .vgpr_spill_count: 0
    .wavefront_size: 32
    .workgroup_processor_mode: 1
  - .args:
      - .offset:         0
        .size:           152
        .value_kind:     by_value
    .group_segment_fixed_size: 0
    .kernarg_segment_align: 8
    .kernarg_segment_size: 152
    .language:       OpenCL C
    .language_version:
      - 2
      - 0
    .max_flat_workgroup_size: 256
    .name:           _ZN7rocprim17ROCPRIM_400000_NS6detail17trampoline_kernelINS0_13select_configILj256ELj13ELNS0_17block_load_methodE3ELS4_3ELS4_3ELNS0_20block_scan_algorithmE0ELj4294967295EEENS1_25partition_config_selectorILNS1_17partition_subalgoE3EjNS0_10empty_typeEbEEZZNS1_14partition_implILS8_3ELb0ES6_jNS0_17counting_iteratorIjlEEPS9_SE_NS0_5tupleIJPjSE_EEENSF_IJSE_SE_EEES9_SG_JZNS1_25segmented_radix_sort_implINS0_14default_configELb0EPKbPbPKlPlN2at6native12_GLOBAL__N_18offset_tEEE10hipError_tPvRmT1_PNSt15iterator_traitsISY_E10value_typeET2_T3_PNSZ_IS14_E10value_typeET4_jRbjT5_S1A_jjP12ihipStream_tbEUljE_EEESV_SW_SX_S14_S18_S1A_T6_T7_T9_mT8_S1C_bDpT10_ENKUlT_T0_E_clISt17integral_constantIbLb1EES1P_EEDaS1K_S1L_EUlS1K_E_NS1_11comp_targetILNS1_3genE9ELNS1_11target_archE1100ELNS1_3gpuE3ELNS1_3repE0EEENS1_30default_config_static_selectorELNS0_4arch9wavefront6targetE0EEEvSY_
    .private_segment_fixed_size: 0
    .sgpr_count:     0
    .sgpr_spill_count: 0
    .symbol:         _ZN7rocprim17ROCPRIM_400000_NS6detail17trampoline_kernelINS0_13select_configILj256ELj13ELNS0_17block_load_methodE3ELS4_3ELS4_3ELNS0_20block_scan_algorithmE0ELj4294967295EEENS1_25partition_config_selectorILNS1_17partition_subalgoE3EjNS0_10empty_typeEbEEZZNS1_14partition_implILS8_3ELb0ES6_jNS0_17counting_iteratorIjlEEPS9_SE_NS0_5tupleIJPjSE_EEENSF_IJSE_SE_EEES9_SG_JZNS1_25segmented_radix_sort_implINS0_14default_configELb0EPKbPbPKlPlN2at6native12_GLOBAL__N_18offset_tEEE10hipError_tPvRmT1_PNSt15iterator_traitsISY_E10value_typeET2_T3_PNSZ_IS14_E10value_typeET4_jRbjT5_S1A_jjP12ihipStream_tbEUljE_EEESV_SW_SX_S14_S18_S1A_T6_T7_T9_mT8_S1C_bDpT10_ENKUlT_T0_E_clISt17integral_constantIbLb1EES1P_EEDaS1K_S1L_EUlS1K_E_NS1_11comp_targetILNS1_3genE9ELNS1_11target_archE1100ELNS1_3gpuE3ELNS1_3repE0EEENS1_30default_config_static_selectorELNS0_4arch9wavefront6targetE0EEEvSY_.kd
    .uniform_work_group_size: 1
    .uses_dynamic_stack: false
    .vgpr_count:     0
    .vgpr_spill_count: 0
    .wavefront_size: 32
    .workgroup_processor_mode: 1
  - .args:
      - .offset:         0
        .size:           152
        .value_kind:     by_value
    .group_segment_fixed_size: 0
    .kernarg_segment_align: 8
    .kernarg_segment_size: 152
    .language:       OpenCL C
    .language_version:
      - 2
      - 0
    .max_flat_workgroup_size: 256
    .name:           _ZN7rocprim17ROCPRIM_400000_NS6detail17trampoline_kernelINS0_13select_configILj256ELj13ELNS0_17block_load_methodE3ELS4_3ELS4_3ELNS0_20block_scan_algorithmE0ELj4294967295EEENS1_25partition_config_selectorILNS1_17partition_subalgoE3EjNS0_10empty_typeEbEEZZNS1_14partition_implILS8_3ELb0ES6_jNS0_17counting_iteratorIjlEEPS9_SE_NS0_5tupleIJPjSE_EEENSF_IJSE_SE_EEES9_SG_JZNS1_25segmented_radix_sort_implINS0_14default_configELb0EPKbPbPKlPlN2at6native12_GLOBAL__N_18offset_tEEE10hipError_tPvRmT1_PNSt15iterator_traitsISY_E10value_typeET2_T3_PNSZ_IS14_E10value_typeET4_jRbjT5_S1A_jjP12ihipStream_tbEUljE_EEESV_SW_SX_S14_S18_S1A_T6_T7_T9_mT8_S1C_bDpT10_ENKUlT_T0_E_clISt17integral_constantIbLb1EES1P_EEDaS1K_S1L_EUlS1K_E_NS1_11comp_targetILNS1_3genE8ELNS1_11target_archE1030ELNS1_3gpuE2ELNS1_3repE0EEENS1_30default_config_static_selectorELNS0_4arch9wavefront6targetE0EEEvSY_
    .private_segment_fixed_size: 0
    .sgpr_count:     0
    .sgpr_spill_count: 0
    .symbol:         _ZN7rocprim17ROCPRIM_400000_NS6detail17trampoline_kernelINS0_13select_configILj256ELj13ELNS0_17block_load_methodE3ELS4_3ELS4_3ELNS0_20block_scan_algorithmE0ELj4294967295EEENS1_25partition_config_selectorILNS1_17partition_subalgoE3EjNS0_10empty_typeEbEEZZNS1_14partition_implILS8_3ELb0ES6_jNS0_17counting_iteratorIjlEEPS9_SE_NS0_5tupleIJPjSE_EEENSF_IJSE_SE_EEES9_SG_JZNS1_25segmented_radix_sort_implINS0_14default_configELb0EPKbPbPKlPlN2at6native12_GLOBAL__N_18offset_tEEE10hipError_tPvRmT1_PNSt15iterator_traitsISY_E10value_typeET2_T3_PNSZ_IS14_E10value_typeET4_jRbjT5_S1A_jjP12ihipStream_tbEUljE_EEESV_SW_SX_S14_S18_S1A_T6_T7_T9_mT8_S1C_bDpT10_ENKUlT_T0_E_clISt17integral_constantIbLb1EES1P_EEDaS1K_S1L_EUlS1K_E_NS1_11comp_targetILNS1_3genE8ELNS1_11target_archE1030ELNS1_3gpuE2ELNS1_3repE0EEENS1_30default_config_static_selectorELNS0_4arch9wavefront6targetE0EEEvSY_.kd
    .uniform_work_group_size: 1
    .uses_dynamic_stack: false
    .vgpr_count:     0
    .vgpr_spill_count: 0
    .wavefront_size: 32
    .workgroup_processor_mode: 1
  - .args:
      - .offset:         0
        .size:           144
        .value_kind:     by_value
    .group_segment_fixed_size: 0
    .kernarg_segment_align: 8
    .kernarg_segment_size: 144
    .language:       OpenCL C
    .language_version:
      - 2
      - 0
    .max_flat_workgroup_size: 256
    .name:           _ZN7rocprim17ROCPRIM_400000_NS6detail17trampoline_kernelINS0_13select_configILj256ELj13ELNS0_17block_load_methodE3ELS4_3ELS4_3ELNS0_20block_scan_algorithmE0ELj4294967295EEENS1_25partition_config_selectorILNS1_17partition_subalgoE3EjNS0_10empty_typeEbEEZZNS1_14partition_implILS8_3ELb0ES6_jNS0_17counting_iteratorIjlEEPS9_SE_NS0_5tupleIJPjSE_EEENSF_IJSE_SE_EEES9_SG_JZNS1_25segmented_radix_sort_implINS0_14default_configELb0EPKbPbPKlPlN2at6native12_GLOBAL__N_18offset_tEEE10hipError_tPvRmT1_PNSt15iterator_traitsISY_E10value_typeET2_T3_PNSZ_IS14_E10value_typeET4_jRbjT5_S1A_jjP12ihipStream_tbEUljE_EEESV_SW_SX_S14_S18_S1A_T6_T7_T9_mT8_S1C_bDpT10_ENKUlT_T0_E_clISt17integral_constantIbLb1EES1O_IbLb0EEEEDaS1K_S1L_EUlS1K_E_NS1_11comp_targetILNS1_3genE0ELNS1_11target_archE4294967295ELNS1_3gpuE0ELNS1_3repE0EEENS1_30default_config_static_selectorELNS0_4arch9wavefront6targetE0EEEvSY_
    .private_segment_fixed_size: 0
    .sgpr_count:     0
    .sgpr_spill_count: 0
    .symbol:         _ZN7rocprim17ROCPRIM_400000_NS6detail17trampoline_kernelINS0_13select_configILj256ELj13ELNS0_17block_load_methodE3ELS4_3ELS4_3ELNS0_20block_scan_algorithmE0ELj4294967295EEENS1_25partition_config_selectorILNS1_17partition_subalgoE3EjNS0_10empty_typeEbEEZZNS1_14partition_implILS8_3ELb0ES6_jNS0_17counting_iteratorIjlEEPS9_SE_NS0_5tupleIJPjSE_EEENSF_IJSE_SE_EEES9_SG_JZNS1_25segmented_radix_sort_implINS0_14default_configELb0EPKbPbPKlPlN2at6native12_GLOBAL__N_18offset_tEEE10hipError_tPvRmT1_PNSt15iterator_traitsISY_E10value_typeET2_T3_PNSZ_IS14_E10value_typeET4_jRbjT5_S1A_jjP12ihipStream_tbEUljE_EEESV_SW_SX_S14_S18_S1A_T6_T7_T9_mT8_S1C_bDpT10_ENKUlT_T0_E_clISt17integral_constantIbLb1EES1O_IbLb0EEEEDaS1K_S1L_EUlS1K_E_NS1_11comp_targetILNS1_3genE0ELNS1_11target_archE4294967295ELNS1_3gpuE0ELNS1_3repE0EEENS1_30default_config_static_selectorELNS0_4arch9wavefront6targetE0EEEvSY_.kd
    .uniform_work_group_size: 1
    .uses_dynamic_stack: false
    .vgpr_count:     0
    .vgpr_spill_count: 0
    .wavefront_size: 32
    .workgroup_processor_mode: 1
  - .args:
      - .offset:         0
        .size:           144
        .value_kind:     by_value
    .group_segment_fixed_size: 0
    .kernarg_segment_align: 8
    .kernarg_segment_size: 144
    .language:       OpenCL C
    .language_version:
      - 2
      - 0
    .max_flat_workgroup_size: 256
    .name:           _ZN7rocprim17ROCPRIM_400000_NS6detail17trampoline_kernelINS0_13select_configILj256ELj13ELNS0_17block_load_methodE3ELS4_3ELS4_3ELNS0_20block_scan_algorithmE0ELj4294967295EEENS1_25partition_config_selectorILNS1_17partition_subalgoE3EjNS0_10empty_typeEbEEZZNS1_14partition_implILS8_3ELb0ES6_jNS0_17counting_iteratorIjlEEPS9_SE_NS0_5tupleIJPjSE_EEENSF_IJSE_SE_EEES9_SG_JZNS1_25segmented_radix_sort_implINS0_14default_configELb0EPKbPbPKlPlN2at6native12_GLOBAL__N_18offset_tEEE10hipError_tPvRmT1_PNSt15iterator_traitsISY_E10value_typeET2_T3_PNSZ_IS14_E10value_typeET4_jRbjT5_S1A_jjP12ihipStream_tbEUljE_EEESV_SW_SX_S14_S18_S1A_T6_T7_T9_mT8_S1C_bDpT10_ENKUlT_T0_E_clISt17integral_constantIbLb1EES1O_IbLb0EEEEDaS1K_S1L_EUlS1K_E_NS1_11comp_targetILNS1_3genE5ELNS1_11target_archE942ELNS1_3gpuE9ELNS1_3repE0EEENS1_30default_config_static_selectorELNS0_4arch9wavefront6targetE0EEEvSY_
    .private_segment_fixed_size: 0
    .sgpr_count:     0
    .sgpr_spill_count: 0
    .symbol:         _ZN7rocprim17ROCPRIM_400000_NS6detail17trampoline_kernelINS0_13select_configILj256ELj13ELNS0_17block_load_methodE3ELS4_3ELS4_3ELNS0_20block_scan_algorithmE0ELj4294967295EEENS1_25partition_config_selectorILNS1_17partition_subalgoE3EjNS0_10empty_typeEbEEZZNS1_14partition_implILS8_3ELb0ES6_jNS0_17counting_iteratorIjlEEPS9_SE_NS0_5tupleIJPjSE_EEENSF_IJSE_SE_EEES9_SG_JZNS1_25segmented_radix_sort_implINS0_14default_configELb0EPKbPbPKlPlN2at6native12_GLOBAL__N_18offset_tEEE10hipError_tPvRmT1_PNSt15iterator_traitsISY_E10value_typeET2_T3_PNSZ_IS14_E10value_typeET4_jRbjT5_S1A_jjP12ihipStream_tbEUljE_EEESV_SW_SX_S14_S18_S1A_T6_T7_T9_mT8_S1C_bDpT10_ENKUlT_T0_E_clISt17integral_constantIbLb1EES1O_IbLb0EEEEDaS1K_S1L_EUlS1K_E_NS1_11comp_targetILNS1_3genE5ELNS1_11target_archE942ELNS1_3gpuE9ELNS1_3repE0EEENS1_30default_config_static_selectorELNS0_4arch9wavefront6targetE0EEEvSY_.kd
    .uniform_work_group_size: 1
    .uses_dynamic_stack: false
    .vgpr_count:     0
    .vgpr_spill_count: 0
    .wavefront_size: 32
    .workgroup_processor_mode: 1
  - .args:
      - .offset:         0
        .size:           144
        .value_kind:     by_value
    .group_segment_fixed_size: 0
    .kernarg_segment_align: 8
    .kernarg_segment_size: 144
    .language:       OpenCL C
    .language_version:
      - 2
      - 0
    .max_flat_workgroup_size: 256
    .name:           _ZN7rocprim17ROCPRIM_400000_NS6detail17trampoline_kernelINS0_13select_configILj256ELj13ELNS0_17block_load_methodE3ELS4_3ELS4_3ELNS0_20block_scan_algorithmE0ELj4294967295EEENS1_25partition_config_selectorILNS1_17partition_subalgoE3EjNS0_10empty_typeEbEEZZNS1_14partition_implILS8_3ELb0ES6_jNS0_17counting_iteratorIjlEEPS9_SE_NS0_5tupleIJPjSE_EEENSF_IJSE_SE_EEES9_SG_JZNS1_25segmented_radix_sort_implINS0_14default_configELb0EPKbPbPKlPlN2at6native12_GLOBAL__N_18offset_tEEE10hipError_tPvRmT1_PNSt15iterator_traitsISY_E10value_typeET2_T3_PNSZ_IS14_E10value_typeET4_jRbjT5_S1A_jjP12ihipStream_tbEUljE_EEESV_SW_SX_S14_S18_S1A_T6_T7_T9_mT8_S1C_bDpT10_ENKUlT_T0_E_clISt17integral_constantIbLb1EES1O_IbLb0EEEEDaS1K_S1L_EUlS1K_E_NS1_11comp_targetILNS1_3genE4ELNS1_11target_archE910ELNS1_3gpuE8ELNS1_3repE0EEENS1_30default_config_static_selectorELNS0_4arch9wavefront6targetE0EEEvSY_
    .private_segment_fixed_size: 0
    .sgpr_count:     0
    .sgpr_spill_count: 0
    .symbol:         _ZN7rocprim17ROCPRIM_400000_NS6detail17trampoline_kernelINS0_13select_configILj256ELj13ELNS0_17block_load_methodE3ELS4_3ELS4_3ELNS0_20block_scan_algorithmE0ELj4294967295EEENS1_25partition_config_selectorILNS1_17partition_subalgoE3EjNS0_10empty_typeEbEEZZNS1_14partition_implILS8_3ELb0ES6_jNS0_17counting_iteratorIjlEEPS9_SE_NS0_5tupleIJPjSE_EEENSF_IJSE_SE_EEES9_SG_JZNS1_25segmented_radix_sort_implINS0_14default_configELb0EPKbPbPKlPlN2at6native12_GLOBAL__N_18offset_tEEE10hipError_tPvRmT1_PNSt15iterator_traitsISY_E10value_typeET2_T3_PNSZ_IS14_E10value_typeET4_jRbjT5_S1A_jjP12ihipStream_tbEUljE_EEESV_SW_SX_S14_S18_S1A_T6_T7_T9_mT8_S1C_bDpT10_ENKUlT_T0_E_clISt17integral_constantIbLb1EES1O_IbLb0EEEEDaS1K_S1L_EUlS1K_E_NS1_11comp_targetILNS1_3genE4ELNS1_11target_archE910ELNS1_3gpuE8ELNS1_3repE0EEENS1_30default_config_static_selectorELNS0_4arch9wavefront6targetE0EEEvSY_.kd
    .uniform_work_group_size: 1
    .uses_dynamic_stack: false
    .vgpr_count:     0
    .vgpr_spill_count: 0
    .wavefront_size: 32
    .workgroup_processor_mode: 1
  - .args:
      - .offset:         0
        .size:           144
        .value_kind:     by_value
    .group_segment_fixed_size: 0
    .kernarg_segment_align: 8
    .kernarg_segment_size: 144
    .language:       OpenCL C
    .language_version:
      - 2
      - 0
    .max_flat_workgroup_size: 256
    .name:           _ZN7rocprim17ROCPRIM_400000_NS6detail17trampoline_kernelINS0_13select_configILj256ELj13ELNS0_17block_load_methodE3ELS4_3ELS4_3ELNS0_20block_scan_algorithmE0ELj4294967295EEENS1_25partition_config_selectorILNS1_17partition_subalgoE3EjNS0_10empty_typeEbEEZZNS1_14partition_implILS8_3ELb0ES6_jNS0_17counting_iteratorIjlEEPS9_SE_NS0_5tupleIJPjSE_EEENSF_IJSE_SE_EEES9_SG_JZNS1_25segmented_radix_sort_implINS0_14default_configELb0EPKbPbPKlPlN2at6native12_GLOBAL__N_18offset_tEEE10hipError_tPvRmT1_PNSt15iterator_traitsISY_E10value_typeET2_T3_PNSZ_IS14_E10value_typeET4_jRbjT5_S1A_jjP12ihipStream_tbEUljE_EEESV_SW_SX_S14_S18_S1A_T6_T7_T9_mT8_S1C_bDpT10_ENKUlT_T0_E_clISt17integral_constantIbLb1EES1O_IbLb0EEEEDaS1K_S1L_EUlS1K_E_NS1_11comp_targetILNS1_3genE3ELNS1_11target_archE908ELNS1_3gpuE7ELNS1_3repE0EEENS1_30default_config_static_selectorELNS0_4arch9wavefront6targetE0EEEvSY_
    .private_segment_fixed_size: 0
    .sgpr_count:     0
    .sgpr_spill_count: 0
    .symbol:         _ZN7rocprim17ROCPRIM_400000_NS6detail17trampoline_kernelINS0_13select_configILj256ELj13ELNS0_17block_load_methodE3ELS4_3ELS4_3ELNS0_20block_scan_algorithmE0ELj4294967295EEENS1_25partition_config_selectorILNS1_17partition_subalgoE3EjNS0_10empty_typeEbEEZZNS1_14partition_implILS8_3ELb0ES6_jNS0_17counting_iteratorIjlEEPS9_SE_NS0_5tupleIJPjSE_EEENSF_IJSE_SE_EEES9_SG_JZNS1_25segmented_radix_sort_implINS0_14default_configELb0EPKbPbPKlPlN2at6native12_GLOBAL__N_18offset_tEEE10hipError_tPvRmT1_PNSt15iterator_traitsISY_E10value_typeET2_T3_PNSZ_IS14_E10value_typeET4_jRbjT5_S1A_jjP12ihipStream_tbEUljE_EEESV_SW_SX_S14_S18_S1A_T6_T7_T9_mT8_S1C_bDpT10_ENKUlT_T0_E_clISt17integral_constantIbLb1EES1O_IbLb0EEEEDaS1K_S1L_EUlS1K_E_NS1_11comp_targetILNS1_3genE3ELNS1_11target_archE908ELNS1_3gpuE7ELNS1_3repE0EEENS1_30default_config_static_selectorELNS0_4arch9wavefront6targetE0EEEvSY_.kd
    .uniform_work_group_size: 1
    .uses_dynamic_stack: false
    .vgpr_count:     0
    .vgpr_spill_count: 0
    .wavefront_size: 32
    .workgroup_processor_mode: 1
  - .args:
      - .offset:         0
        .size:           144
        .value_kind:     by_value
    .group_segment_fixed_size: 0
    .kernarg_segment_align: 8
    .kernarg_segment_size: 144
    .language:       OpenCL C
    .language_version:
      - 2
      - 0
    .max_flat_workgroup_size: 256
    .name:           _ZN7rocprim17ROCPRIM_400000_NS6detail17trampoline_kernelINS0_13select_configILj256ELj13ELNS0_17block_load_methodE3ELS4_3ELS4_3ELNS0_20block_scan_algorithmE0ELj4294967295EEENS1_25partition_config_selectorILNS1_17partition_subalgoE3EjNS0_10empty_typeEbEEZZNS1_14partition_implILS8_3ELb0ES6_jNS0_17counting_iteratorIjlEEPS9_SE_NS0_5tupleIJPjSE_EEENSF_IJSE_SE_EEES9_SG_JZNS1_25segmented_radix_sort_implINS0_14default_configELb0EPKbPbPKlPlN2at6native12_GLOBAL__N_18offset_tEEE10hipError_tPvRmT1_PNSt15iterator_traitsISY_E10value_typeET2_T3_PNSZ_IS14_E10value_typeET4_jRbjT5_S1A_jjP12ihipStream_tbEUljE_EEESV_SW_SX_S14_S18_S1A_T6_T7_T9_mT8_S1C_bDpT10_ENKUlT_T0_E_clISt17integral_constantIbLb1EES1O_IbLb0EEEEDaS1K_S1L_EUlS1K_E_NS1_11comp_targetILNS1_3genE2ELNS1_11target_archE906ELNS1_3gpuE6ELNS1_3repE0EEENS1_30default_config_static_selectorELNS0_4arch9wavefront6targetE0EEEvSY_
    .private_segment_fixed_size: 0
    .sgpr_count:     0
    .sgpr_spill_count: 0
    .symbol:         _ZN7rocprim17ROCPRIM_400000_NS6detail17trampoline_kernelINS0_13select_configILj256ELj13ELNS0_17block_load_methodE3ELS4_3ELS4_3ELNS0_20block_scan_algorithmE0ELj4294967295EEENS1_25partition_config_selectorILNS1_17partition_subalgoE3EjNS0_10empty_typeEbEEZZNS1_14partition_implILS8_3ELb0ES6_jNS0_17counting_iteratorIjlEEPS9_SE_NS0_5tupleIJPjSE_EEENSF_IJSE_SE_EEES9_SG_JZNS1_25segmented_radix_sort_implINS0_14default_configELb0EPKbPbPKlPlN2at6native12_GLOBAL__N_18offset_tEEE10hipError_tPvRmT1_PNSt15iterator_traitsISY_E10value_typeET2_T3_PNSZ_IS14_E10value_typeET4_jRbjT5_S1A_jjP12ihipStream_tbEUljE_EEESV_SW_SX_S14_S18_S1A_T6_T7_T9_mT8_S1C_bDpT10_ENKUlT_T0_E_clISt17integral_constantIbLb1EES1O_IbLb0EEEEDaS1K_S1L_EUlS1K_E_NS1_11comp_targetILNS1_3genE2ELNS1_11target_archE906ELNS1_3gpuE6ELNS1_3repE0EEENS1_30default_config_static_selectorELNS0_4arch9wavefront6targetE0EEEvSY_.kd
    .uniform_work_group_size: 1
    .uses_dynamic_stack: false
    .vgpr_count:     0
    .vgpr_spill_count: 0
    .wavefront_size: 32
    .workgroup_processor_mode: 1
  - .args:
      - .offset:         0
        .size:           144
        .value_kind:     by_value
    .group_segment_fixed_size: 0
    .kernarg_segment_align: 8
    .kernarg_segment_size: 144
    .language:       OpenCL C
    .language_version:
      - 2
      - 0
    .max_flat_workgroup_size: 256
    .name:           _ZN7rocprim17ROCPRIM_400000_NS6detail17trampoline_kernelINS0_13select_configILj256ELj13ELNS0_17block_load_methodE3ELS4_3ELS4_3ELNS0_20block_scan_algorithmE0ELj4294967295EEENS1_25partition_config_selectorILNS1_17partition_subalgoE3EjNS0_10empty_typeEbEEZZNS1_14partition_implILS8_3ELb0ES6_jNS0_17counting_iteratorIjlEEPS9_SE_NS0_5tupleIJPjSE_EEENSF_IJSE_SE_EEES9_SG_JZNS1_25segmented_radix_sort_implINS0_14default_configELb0EPKbPbPKlPlN2at6native12_GLOBAL__N_18offset_tEEE10hipError_tPvRmT1_PNSt15iterator_traitsISY_E10value_typeET2_T3_PNSZ_IS14_E10value_typeET4_jRbjT5_S1A_jjP12ihipStream_tbEUljE_EEESV_SW_SX_S14_S18_S1A_T6_T7_T9_mT8_S1C_bDpT10_ENKUlT_T0_E_clISt17integral_constantIbLb1EES1O_IbLb0EEEEDaS1K_S1L_EUlS1K_E_NS1_11comp_targetILNS1_3genE10ELNS1_11target_archE1200ELNS1_3gpuE4ELNS1_3repE0EEENS1_30default_config_static_selectorELNS0_4arch9wavefront6targetE0EEEvSY_
    .private_segment_fixed_size: 0
    .sgpr_count:     0
    .sgpr_spill_count: 0
    .symbol:         _ZN7rocprim17ROCPRIM_400000_NS6detail17trampoline_kernelINS0_13select_configILj256ELj13ELNS0_17block_load_methodE3ELS4_3ELS4_3ELNS0_20block_scan_algorithmE0ELj4294967295EEENS1_25partition_config_selectorILNS1_17partition_subalgoE3EjNS0_10empty_typeEbEEZZNS1_14partition_implILS8_3ELb0ES6_jNS0_17counting_iteratorIjlEEPS9_SE_NS0_5tupleIJPjSE_EEENSF_IJSE_SE_EEES9_SG_JZNS1_25segmented_radix_sort_implINS0_14default_configELb0EPKbPbPKlPlN2at6native12_GLOBAL__N_18offset_tEEE10hipError_tPvRmT1_PNSt15iterator_traitsISY_E10value_typeET2_T3_PNSZ_IS14_E10value_typeET4_jRbjT5_S1A_jjP12ihipStream_tbEUljE_EEESV_SW_SX_S14_S18_S1A_T6_T7_T9_mT8_S1C_bDpT10_ENKUlT_T0_E_clISt17integral_constantIbLb1EES1O_IbLb0EEEEDaS1K_S1L_EUlS1K_E_NS1_11comp_targetILNS1_3genE10ELNS1_11target_archE1200ELNS1_3gpuE4ELNS1_3repE0EEENS1_30default_config_static_selectorELNS0_4arch9wavefront6targetE0EEEvSY_.kd
    .uniform_work_group_size: 1
    .uses_dynamic_stack: false
    .vgpr_count:     0
    .vgpr_spill_count: 0
    .wavefront_size: 32
    .workgroup_processor_mode: 1
  - .args:
      - .offset:         0
        .size:           144
        .value_kind:     by_value
    .group_segment_fixed_size: 0
    .kernarg_segment_align: 8
    .kernarg_segment_size: 144
    .language:       OpenCL C
    .language_version:
      - 2
      - 0
    .max_flat_workgroup_size: 256
    .name:           _ZN7rocprim17ROCPRIM_400000_NS6detail17trampoline_kernelINS0_13select_configILj256ELj13ELNS0_17block_load_methodE3ELS4_3ELS4_3ELNS0_20block_scan_algorithmE0ELj4294967295EEENS1_25partition_config_selectorILNS1_17partition_subalgoE3EjNS0_10empty_typeEbEEZZNS1_14partition_implILS8_3ELb0ES6_jNS0_17counting_iteratorIjlEEPS9_SE_NS0_5tupleIJPjSE_EEENSF_IJSE_SE_EEES9_SG_JZNS1_25segmented_radix_sort_implINS0_14default_configELb0EPKbPbPKlPlN2at6native12_GLOBAL__N_18offset_tEEE10hipError_tPvRmT1_PNSt15iterator_traitsISY_E10value_typeET2_T3_PNSZ_IS14_E10value_typeET4_jRbjT5_S1A_jjP12ihipStream_tbEUljE_EEESV_SW_SX_S14_S18_S1A_T6_T7_T9_mT8_S1C_bDpT10_ENKUlT_T0_E_clISt17integral_constantIbLb1EES1O_IbLb0EEEEDaS1K_S1L_EUlS1K_E_NS1_11comp_targetILNS1_3genE9ELNS1_11target_archE1100ELNS1_3gpuE3ELNS1_3repE0EEENS1_30default_config_static_selectorELNS0_4arch9wavefront6targetE0EEEvSY_
    .private_segment_fixed_size: 0
    .sgpr_count:     0
    .sgpr_spill_count: 0
    .symbol:         _ZN7rocprim17ROCPRIM_400000_NS6detail17trampoline_kernelINS0_13select_configILj256ELj13ELNS0_17block_load_methodE3ELS4_3ELS4_3ELNS0_20block_scan_algorithmE0ELj4294967295EEENS1_25partition_config_selectorILNS1_17partition_subalgoE3EjNS0_10empty_typeEbEEZZNS1_14partition_implILS8_3ELb0ES6_jNS0_17counting_iteratorIjlEEPS9_SE_NS0_5tupleIJPjSE_EEENSF_IJSE_SE_EEES9_SG_JZNS1_25segmented_radix_sort_implINS0_14default_configELb0EPKbPbPKlPlN2at6native12_GLOBAL__N_18offset_tEEE10hipError_tPvRmT1_PNSt15iterator_traitsISY_E10value_typeET2_T3_PNSZ_IS14_E10value_typeET4_jRbjT5_S1A_jjP12ihipStream_tbEUljE_EEESV_SW_SX_S14_S18_S1A_T6_T7_T9_mT8_S1C_bDpT10_ENKUlT_T0_E_clISt17integral_constantIbLb1EES1O_IbLb0EEEEDaS1K_S1L_EUlS1K_E_NS1_11comp_targetILNS1_3genE9ELNS1_11target_archE1100ELNS1_3gpuE3ELNS1_3repE0EEENS1_30default_config_static_selectorELNS0_4arch9wavefront6targetE0EEEvSY_.kd
    .uniform_work_group_size: 1
    .uses_dynamic_stack: false
    .vgpr_count:     0
    .vgpr_spill_count: 0
    .wavefront_size: 32
    .workgroup_processor_mode: 1
  - .args:
      - .offset:         0
        .size:           144
        .value_kind:     by_value
    .group_segment_fixed_size: 0
    .kernarg_segment_align: 8
    .kernarg_segment_size: 144
    .language:       OpenCL C
    .language_version:
      - 2
      - 0
    .max_flat_workgroup_size: 256
    .name:           _ZN7rocprim17ROCPRIM_400000_NS6detail17trampoline_kernelINS0_13select_configILj256ELj13ELNS0_17block_load_methodE3ELS4_3ELS4_3ELNS0_20block_scan_algorithmE0ELj4294967295EEENS1_25partition_config_selectorILNS1_17partition_subalgoE3EjNS0_10empty_typeEbEEZZNS1_14partition_implILS8_3ELb0ES6_jNS0_17counting_iteratorIjlEEPS9_SE_NS0_5tupleIJPjSE_EEENSF_IJSE_SE_EEES9_SG_JZNS1_25segmented_radix_sort_implINS0_14default_configELb0EPKbPbPKlPlN2at6native12_GLOBAL__N_18offset_tEEE10hipError_tPvRmT1_PNSt15iterator_traitsISY_E10value_typeET2_T3_PNSZ_IS14_E10value_typeET4_jRbjT5_S1A_jjP12ihipStream_tbEUljE_EEESV_SW_SX_S14_S18_S1A_T6_T7_T9_mT8_S1C_bDpT10_ENKUlT_T0_E_clISt17integral_constantIbLb1EES1O_IbLb0EEEEDaS1K_S1L_EUlS1K_E_NS1_11comp_targetILNS1_3genE8ELNS1_11target_archE1030ELNS1_3gpuE2ELNS1_3repE0EEENS1_30default_config_static_selectorELNS0_4arch9wavefront6targetE0EEEvSY_
    .private_segment_fixed_size: 0
    .sgpr_count:     0
    .sgpr_spill_count: 0
    .symbol:         _ZN7rocprim17ROCPRIM_400000_NS6detail17trampoline_kernelINS0_13select_configILj256ELj13ELNS0_17block_load_methodE3ELS4_3ELS4_3ELNS0_20block_scan_algorithmE0ELj4294967295EEENS1_25partition_config_selectorILNS1_17partition_subalgoE3EjNS0_10empty_typeEbEEZZNS1_14partition_implILS8_3ELb0ES6_jNS0_17counting_iteratorIjlEEPS9_SE_NS0_5tupleIJPjSE_EEENSF_IJSE_SE_EEES9_SG_JZNS1_25segmented_radix_sort_implINS0_14default_configELb0EPKbPbPKlPlN2at6native12_GLOBAL__N_18offset_tEEE10hipError_tPvRmT1_PNSt15iterator_traitsISY_E10value_typeET2_T3_PNSZ_IS14_E10value_typeET4_jRbjT5_S1A_jjP12ihipStream_tbEUljE_EEESV_SW_SX_S14_S18_S1A_T6_T7_T9_mT8_S1C_bDpT10_ENKUlT_T0_E_clISt17integral_constantIbLb1EES1O_IbLb0EEEEDaS1K_S1L_EUlS1K_E_NS1_11comp_targetILNS1_3genE8ELNS1_11target_archE1030ELNS1_3gpuE2ELNS1_3repE0EEENS1_30default_config_static_selectorELNS0_4arch9wavefront6targetE0EEEvSY_.kd
    .uniform_work_group_size: 1
    .uses_dynamic_stack: false
    .vgpr_count:     0
    .vgpr_spill_count: 0
    .wavefront_size: 32
    .workgroup_processor_mode: 1
  - .args:
      - .offset:         0
        .size:           152
        .value_kind:     by_value
    .group_segment_fixed_size: 0
    .kernarg_segment_align: 8
    .kernarg_segment_size: 152
    .language:       OpenCL C
    .language_version:
      - 2
      - 0
    .max_flat_workgroup_size: 256
    .name:           _ZN7rocprim17ROCPRIM_400000_NS6detail17trampoline_kernelINS0_13select_configILj256ELj13ELNS0_17block_load_methodE3ELS4_3ELS4_3ELNS0_20block_scan_algorithmE0ELj4294967295EEENS1_25partition_config_selectorILNS1_17partition_subalgoE3EjNS0_10empty_typeEbEEZZNS1_14partition_implILS8_3ELb0ES6_jNS0_17counting_iteratorIjlEEPS9_SE_NS0_5tupleIJPjSE_EEENSF_IJSE_SE_EEES9_SG_JZNS1_25segmented_radix_sort_implINS0_14default_configELb0EPKbPbPKlPlN2at6native12_GLOBAL__N_18offset_tEEE10hipError_tPvRmT1_PNSt15iterator_traitsISY_E10value_typeET2_T3_PNSZ_IS14_E10value_typeET4_jRbjT5_S1A_jjP12ihipStream_tbEUljE_EEESV_SW_SX_S14_S18_S1A_T6_T7_T9_mT8_S1C_bDpT10_ENKUlT_T0_E_clISt17integral_constantIbLb0EES1O_IbLb1EEEEDaS1K_S1L_EUlS1K_E_NS1_11comp_targetILNS1_3genE0ELNS1_11target_archE4294967295ELNS1_3gpuE0ELNS1_3repE0EEENS1_30default_config_static_selectorELNS0_4arch9wavefront6targetE0EEEvSY_
    .private_segment_fixed_size: 0
    .sgpr_count:     0
    .sgpr_spill_count: 0
    .symbol:         _ZN7rocprim17ROCPRIM_400000_NS6detail17trampoline_kernelINS0_13select_configILj256ELj13ELNS0_17block_load_methodE3ELS4_3ELS4_3ELNS0_20block_scan_algorithmE0ELj4294967295EEENS1_25partition_config_selectorILNS1_17partition_subalgoE3EjNS0_10empty_typeEbEEZZNS1_14partition_implILS8_3ELb0ES6_jNS0_17counting_iteratorIjlEEPS9_SE_NS0_5tupleIJPjSE_EEENSF_IJSE_SE_EEES9_SG_JZNS1_25segmented_radix_sort_implINS0_14default_configELb0EPKbPbPKlPlN2at6native12_GLOBAL__N_18offset_tEEE10hipError_tPvRmT1_PNSt15iterator_traitsISY_E10value_typeET2_T3_PNSZ_IS14_E10value_typeET4_jRbjT5_S1A_jjP12ihipStream_tbEUljE_EEESV_SW_SX_S14_S18_S1A_T6_T7_T9_mT8_S1C_bDpT10_ENKUlT_T0_E_clISt17integral_constantIbLb0EES1O_IbLb1EEEEDaS1K_S1L_EUlS1K_E_NS1_11comp_targetILNS1_3genE0ELNS1_11target_archE4294967295ELNS1_3gpuE0ELNS1_3repE0EEENS1_30default_config_static_selectorELNS0_4arch9wavefront6targetE0EEEvSY_.kd
    .uniform_work_group_size: 1
    .uses_dynamic_stack: false
    .vgpr_count:     0
    .vgpr_spill_count: 0
    .wavefront_size: 32
    .workgroup_processor_mode: 1
  - .args:
      - .offset:         0
        .size:           152
        .value_kind:     by_value
    .group_segment_fixed_size: 0
    .kernarg_segment_align: 8
    .kernarg_segment_size: 152
    .language:       OpenCL C
    .language_version:
      - 2
      - 0
    .max_flat_workgroup_size: 256
    .name:           _ZN7rocprim17ROCPRIM_400000_NS6detail17trampoline_kernelINS0_13select_configILj256ELj13ELNS0_17block_load_methodE3ELS4_3ELS4_3ELNS0_20block_scan_algorithmE0ELj4294967295EEENS1_25partition_config_selectorILNS1_17partition_subalgoE3EjNS0_10empty_typeEbEEZZNS1_14partition_implILS8_3ELb0ES6_jNS0_17counting_iteratorIjlEEPS9_SE_NS0_5tupleIJPjSE_EEENSF_IJSE_SE_EEES9_SG_JZNS1_25segmented_radix_sort_implINS0_14default_configELb0EPKbPbPKlPlN2at6native12_GLOBAL__N_18offset_tEEE10hipError_tPvRmT1_PNSt15iterator_traitsISY_E10value_typeET2_T3_PNSZ_IS14_E10value_typeET4_jRbjT5_S1A_jjP12ihipStream_tbEUljE_EEESV_SW_SX_S14_S18_S1A_T6_T7_T9_mT8_S1C_bDpT10_ENKUlT_T0_E_clISt17integral_constantIbLb0EES1O_IbLb1EEEEDaS1K_S1L_EUlS1K_E_NS1_11comp_targetILNS1_3genE5ELNS1_11target_archE942ELNS1_3gpuE9ELNS1_3repE0EEENS1_30default_config_static_selectorELNS0_4arch9wavefront6targetE0EEEvSY_
    .private_segment_fixed_size: 0
    .sgpr_count:     0
    .sgpr_spill_count: 0
    .symbol:         _ZN7rocprim17ROCPRIM_400000_NS6detail17trampoline_kernelINS0_13select_configILj256ELj13ELNS0_17block_load_methodE3ELS4_3ELS4_3ELNS0_20block_scan_algorithmE0ELj4294967295EEENS1_25partition_config_selectorILNS1_17partition_subalgoE3EjNS0_10empty_typeEbEEZZNS1_14partition_implILS8_3ELb0ES6_jNS0_17counting_iteratorIjlEEPS9_SE_NS0_5tupleIJPjSE_EEENSF_IJSE_SE_EEES9_SG_JZNS1_25segmented_radix_sort_implINS0_14default_configELb0EPKbPbPKlPlN2at6native12_GLOBAL__N_18offset_tEEE10hipError_tPvRmT1_PNSt15iterator_traitsISY_E10value_typeET2_T3_PNSZ_IS14_E10value_typeET4_jRbjT5_S1A_jjP12ihipStream_tbEUljE_EEESV_SW_SX_S14_S18_S1A_T6_T7_T9_mT8_S1C_bDpT10_ENKUlT_T0_E_clISt17integral_constantIbLb0EES1O_IbLb1EEEEDaS1K_S1L_EUlS1K_E_NS1_11comp_targetILNS1_3genE5ELNS1_11target_archE942ELNS1_3gpuE9ELNS1_3repE0EEENS1_30default_config_static_selectorELNS0_4arch9wavefront6targetE0EEEvSY_.kd
    .uniform_work_group_size: 1
    .uses_dynamic_stack: false
    .vgpr_count:     0
    .vgpr_spill_count: 0
    .wavefront_size: 32
    .workgroup_processor_mode: 1
  - .args:
      - .offset:         0
        .size:           152
        .value_kind:     by_value
    .group_segment_fixed_size: 0
    .kernarg_segment_align: 8
    .kernarg_segment_size: 152
    .language:       OpenCL C
    .language_version:
      - 2
      - 0
    .max_flat_workgroup_size: 256
    .name:           _ZN7rocprim17ROCPRIM_400000_NS6detail17trampoline_kernelINS0_13select_configILj256ELj13ELNS0_17block_load_methodE3ELS4_3ELS4_3ELNS0_20block_scan_algorithmE0ELj4294967295EEENS1_25partition_config_selectorILNS1_17partition_subalgoE3EjNS0_10empty_typeEbEEZZNS1_14partition_implILS8_3ELb0ES6_jNS0_17counting_iteratorIjlEEPS9_SE_NS0_5tupleIJPjSE_EEENSF_IJSE_SE_EEES9_SG_JZNS1_25segmented_radix_sort_implINS0_14default_configELb0EPKbPbPKlPlN2at6native12_GLOBAL__N_18offset_tEEE10hipError_tPvRmT1_PNSt15iterator_traitsISY_E10value_typeET2_T3_PNSZ_IS14_E10value_typeET4_jRbjT5_S1A_jjP12ihipStream_tbEUljE_EEESV_SW_SX_S14_S18_S1A_T6_T7_T9_mT8_S1C_bDpT10_ENKUlT_T0_E_clISt17integral_constantIbLb0EES1O_IbLb1EEEEDaS1K_S1L_EUlS1K_E_NS1_11comp_targetILNS1_3genE4ELNS1_11target_archE910ELNS1_3gpuE8ELNS1_3repE0EEENS1_30default_config_static_selectorELNS0_4arch9wavefront6targetE0EEEvSY_
    .private_segment_fixed_size: 0
    .sgpr_count:     0
    .sgpr_spill_count: 0
    .symbol:         _ZN7rocprim17ROCPRIM_400000_NS6detail17trampoline_kernelINS0_13select_configILj256ELj13ELNS0_17block_load_methodE3ELS4_3ELS4_3ELNS0_20block_scan_algorithmE0ELj4294967295EEENS1_25partition_config_selectorILNS1_17partition_subalgoE3EjNS0_10empty_typeEbEEZZNS1_14partition_implILS8_3ELb0ES6_jNS0_17counting_iteratorIjlEEPS9_SE_NS0_5tupleIJPjSE_EEENSF_IJSE_SE_EEES9_SG_JZNS1_25segmented_radix_sort_implINS0_14default_configELb0EPKbPbPKlPlN2at6native12_GLOBAL__N_18offset_tEEE10hipError_tPvRmT1_PNSt15iterator_traitsISY_E10value_typeET2_T3_PNSZ_IS14_E10value_typeET4_jRbjT5_S1A_jjP12ihipStream_tbEUljE_EEESV_SW_SX_S14_S18_S1A_T6_T7_T9_mT8_S1C_bDpT10_ENKUlT_T0_E_clISt17integral_constantIbLb0EES1O_IbLb1EEEEDaS1K_S1L_EUlS1K_E_NS1_11comp_targetILNS1_3genE4ELNS1_11target_archE910ELNS1_3gpuE8ELNS1_3repE0EEENS1_30default_config_static_selectorELNS0_4arch9wavefront6targetE0EEEvSY_.kd
    .uniform_work_group_size: 1
    .uses_dynamic_stack: false
    .vgpr_count:     0
    .vgpr_spill_count: 0
    .wavefront_size: 32
    .workgroup_processor_mode: 1
  - .args:
      - .offset:         0
        .size:           152
        .value_kind:     by_value
    .group_segment_fixed_size: 0
    .kernarg_segment_align: 8
    .kernarg_segment_size: 152
    .language:       OpenCL C
    .language_version:
      - 2
      - 0
    .max_flat_workgroup_size: 256
    .name:           _ZN7rocprim17ROCPRIM_400000_NS6detail17trampoline_kernelINS0_13select_configILj256ELj13ELNS0_17block_load_methodE3ELS4_3ELS4_3ELNS0_20block_scan_algorithmE0ELj4294967295EEENS1_25partition_config_selectorILNS1_17partition_subalgoE3EjNS0_10empty_typeEbEEZZNS1_14partition_implILS8_3ELb0ES6_jNS0_17counting_iteratorIjlEEPS9_SE_NS0_5tupleIJPjSE_EEENSF_IJSE_SE_EEES9_SG_JZNS1_25segmented_radix_sort_implINS0_14default_configELb0EPKbPbPKlPlN2at6native12_GLOBAL__N_18offset_tEEE10hipError_tPvRmT1_PNSt15iterator_traitsISY_E10value_typeET2_T3_PNSZ_IS14_E10value_typeET4_jRbjT5_S1A_jjP12ihipStream_tbEUljE_EEESV_SW_SX_S14_S18_S1A_T6_T7_T9_mT8_S1C_bDpT10_ENKUlT_T0_E_clISt17integral_constantIbLb0EES1O_IbLb1EEEEDaS1K_S1L_EUlS1K_E_NS1_11comp_targetILNS1_3genE3ELNS1_11target_archE908ELNS1_3gpuE7ELNS1_3repE0EEENS1_30default_config_static_selectorELNS0_4arch9wavefront6targetE0EEEvSY_
    .private_segment_fixed_size: 0
    .sgpr_count:     0
    .sgpr_spill_count: 0
    .symbol:         _ZN7rocprim17ROCPRIM_400000_NS6detail17trampoline_kernelINS0_13select_configILj256ELj13ELNS0_17block_load_methodE3ELS4_3ELS4_3ELNS0_20block_scan_algorithmE0ELj4294967295EEENS1_25partition_config_selectorILNS1_17partition_subalgoE3EjNS0_10empty_typeEbEEZZNS1_14partition_implILS8_3ELb0ES6_jNS0_17counting_iteratorIjlEEPS9_SE_NS0_5tupleIJPjSE_EEENSF_IJSE_SE_EEES9_SG_JZNS1_25segmented_radix_sort_implINS0_14default_configELb0EPKbPbPKlPlN2at6native12_GLOBAL__N_18offset_tEEE10hipError_tPvRmT1_PNSt15iterator_traitsISY_E10value_typeET2_T3_PNSZ_IS14_E10value_typeET4_jRbjT5_S1A_jjP12ihipStream_tbEUljE_EEESV_SW_SX_S14_S18_S1A_T6_T7_T9_mT8_S1C_bDpT10_ENKUlT_T0_E_clISt17integral_constantIbLb0EES1O_IbLb1EEEEDaS1K_S1L_EUlS1K_E_NS1_11comp_targetILNS1_3genE3ELNS1_11target_archE908ELNS1_3gpuE7ELNS1_3repE0EEENS1_30default_config_static_selectorELNS0_4arch9wavefront6targetE0EEEvSY_.kd
    .uniform_work_group_size: 1
    .uses_dynamic_stack: false
    .vgpr_count:     0
    .vgpr_spill_count: 0
    .wavefront_size: 32
    .workgroup_processor_mode: 1
  - .args:
      - .offset:         0
        .size:           152
        .value_kind:     by_value
    .group_segment_fixed_size: 0
    .kernarg_segment_align: 8
    .kernarg_segment_size: 152
    .language:       OpenCL C
    .language_version:
      - 2
      - 0
    .max_flat_workgroup_size: 256
    .name:           _ZN7rocprim17ROCPRIM_400000_NS6detail17trampoline_kernelINS0_13select_configILj256ELj13ELNS0_17block_load_methodE3ELS4_3ELS4_3ELNS0_20block_scan_algorithmE0ELj4294967295EEENS1_25partition_config_selectorILNS1_17partition_subalgoE3EjNS0_10empty_typeEbEEZZNS1_14partition_implILS8_3ELb0ES6_jNS0_17counting_iteratorIjlEEPS9_SE_NS0_5tupleIJPjSE_EEENSF_IJSE_SE_EEES9_SG_JZNS1_25segmented_radix_sort_implINS0_14default_configELb0EPKbPbPKlPlN2at6native12_GLOBAL__N_18offset_tEEE10hipError_tPvRmT1_PNSt15iterator_traitsISY_E10value_typeET2_T3_PNSZ_IS14_E10value_typeET4_jRbjT5_S1A_jjP12ihipStream_tbEUljE_EEESV_SW_SX_S14_S18_S1A_T6_T7_T9_mT8_S1C_bDpT10_ENKUlT_T0_E_clISt17integral_constantIbLb0EES1O_IbLb1EEEEDaS1K_S1L_EUlS1K_E_NS1_11comp_targetILNS1_3genE2ELNS1_11target_archE906ELNS1_3gpuE6ELNS1_3repE0EEENS1_30default_config_static_selectorELNS0_4arch9wavefront6targetE0EEEvSY_
    .private_segment_fixed_size: 0
    .sgpr_count:     0
    .sgpr_spill_count: 0
    .symbol:         _ZN7rocprim17ROCPRIM_400000_NS6detail17trampoline_kernelINS0_13select_configILj256ELj13ELNS0_17block_load_methodE3ELS4_3ELS4_3ELNS0_20block_scan_algorithmE0ELj4294967295EEENS1_25partition_config_selectorILNS1_17partition_subalgoE3EjNS0_10empty_typeEbEEZZNS1_14partition_implILS8_3ELb0ES6_jNS0_17counting_iteratorIjlEEPS9_SE_NS0_5tupleIJPjSE_EEENSF_IJSE_SE_EEES9_SG_JZNS1_25segmented_radix_sort_implINS0_14default_configELb0EPKbPbPKlPlN2at6native12_GLOBAL__N_18offset_tEEE10hipError_tPvRmT1_PNSt15iterator_traitsISY_E10value_typeET2_T3_PNSZ_IS14_E10value_typeET4_jRbjT5_S1A_jjP12ihipStream_tbEUljE_EEESV_SW_SX_S14_S18_S1A_T6_T7_T9_mT8_S1C_bDpT10_ENKUlT_T0_E_clISt17integral_constantIbLb0EES1O_IbLb1EEEEDaS1K_S1L_EUlS1K_E_NS1_11comp_targetILNS1_3genE2ELNS1_11target_archE906ELNS1_3gpuE6ELNS1_3repE0EEENS1_30default_config_static_selectorELNS0_4arch9wavefront6targetE0EEEvSY_.kd
    .uniform_work_group_size: 1
    .uses_dynamic_stack: false
    .vgpr_count:     0
    .vgpr_spill_count: 0
    .wavefront_size: 32
    .workgroup_processor_mode: 1
  - .args:
      - .offset:         0
        .size:           152
        .value_kind:     by_value
    .group_segment_fixed_size: 13320
    .kernarg_segment_align: 8
    .kernarg_segment_size: 152
    .language:       OpenCL C
    .language_version:
      - 2
      - 0
    .max_flat_workgroup_size: 256
    .name:           _ZN7rocprim17ROCPRIM_400000_NS6detail17trampoline_kernelINS0_13select_configILj256ELj13ELNS0_17block_load_methodE3ELS4_3ELS4_3ELNS0_20block_scan_algorithmE0ELj4294967295EEENS1_25partition_config_selectorILNS1_17partition_subalgoE3EjNS0_10empty_typeEbEEZZNS1_14partition_implILS8_3ELb0ES6_jNS0_17counting_iteratorIjlEEPS9_SE_NS0_5tupleIJPjSE_EEENSF_IJSE_SE_EEES9_SG_JZNS1_25segmented_radix_sort_implINS0_14default_configELb0EPKbPbPKlPlN2at6native12_GLOBAL__N_18offset_tEEE10hipError_tPvRmT1_PNSt15iterator_traitsISY_E10value_typeET2_T3_PNSZ_IS14_E10value_typeET4_jRbjT5_S1A_jjP12ihipStream_tbEUljE_EEESV_SW_SX_S14_S18_S1A_T6_T7_T9_mT8_S1C_bDpT10_ENKUlT_T0_E_clISt17integral_constantIbLb0EES1O_IbLb1EEEEDaS1K_S1L_EUlS1K_E_NS1_11comp_targetILNS1_3genE10ELNS1_11target_archE1200ELNS1_3gpuE4ELNS1_3repE0EEENS1_30default_config_static_selectorELNS0_4arch9wavefront6targetE0EEEvSY_
    .private_segment_fixed_size: 0
    .sgpr_count:     28
    .sgpr_spill_count: 0
    .symbol:         _ZN7rocprim17ROCPRIM_400000_NS6detail17trampoline_kernelINS0_13select_configILj256ELj13ELNS0_17block_load_methodE3ELS4_3ELS4_3ELNS0_20block_scan_algorithmE0ELj4294967295EEENS1_25partition_config_selectorILNS1_17partition_subalgoE3EjNS0_10empty_typeEbEEZZNS1_14partition_implILS8_3ELb0ES6_jNS0_17counting_iteratorIjlEEPS9_SE_NS0_5tupleIJPjSE_EEENSF_IJSE_SE_EEES9_SG_JZNS1_25segmented_radix_sort_implINS0_14default_configELb0EPKbPbPKlPlN2at6native12_GLOBAL__N_18offset_tEEE10hipError_tPvRmT1_PNSt15iterator_traitsISY_E10value_typeET2_T3_PNSZ_IS14_E10value_typeET4_jRbjT5_S1A_jjP12ihipStream_tbEUljE_EEESV_SW_SX_S14_S18_S1A_T6_T7_T9_mT8_S1C_bDpT10_ENKUlT_T0_E_clISt17integral_constantIbLb0EES1O_IbLb1EEEEDaS1K_S1L_EUlS1K_E_NS1_11comp_targetILNS1_3genE10ELNS1_11target_archE1200ELNS1_3gpuE4ELNS1_3repE0EEENS1_30default_config_static_selectorELNS0_4arch9wavefront6targetE0EEEvSY_.kd
    .uniform_work_group_size: 1
    .uses_dynamic_stack: false
    .vgpr_count:     71
    .vgpr_spill_count: 0
    .wavefront_size: 32
    .workgroup_processor_mode: 1
  - .args:
      - .offset:         0
        .size:           152
        .value_kind:     by_value
    .group_segment_fixed_size: 0
    .kernarg_segment_align: 8
    .kernarg_segment_size: 152
    .language:       OpenCL C
    .language_version:
      - 2
      - 0
    .max_flat_workgroup_size: 256
    .name:           _ZN7rocprim17ROCPRIM_400000_NS6detail17trampoline_kernelINS0_13select_configILj256ELj13ELNS0_17block_load_methodE3ELS4_3ELS4_3ELNS0_20block_scan_algorithmE0ELj4294967295EEENS1_25partition_config_selectorILNS1_17partition_subalgoE3EjNS0_10empty_typeEbEEZZNS1_14partition_implILS8_3ELb0ES6_jNS0_17counting_iteratorIjlEEPS9_SE_NS0_5tupleIJPjSE_EEENSF_IJSE_SE_EEES9_SG_JZNS1_25segmented_radix_sort_implINS0_14default_configELb0EPKbPbPKlPlN2at6native12_GLOBAL__N_18offset_tEEE10hipError_tPvRmT1_PNSt15iterator_traitsISY_E10value_typeET2_T3_PNSZ_IS14_E10value_typeET4_jRbjT5_S1A_jjP12ihipStream_tbEUljE_EEESV_SW_SX_S14_S18_S1A_T6_T7_T9_mT8_S1C_bDpT10_ENKUlT_T0_E_clISt17integral_constantIbLb0EES1O_IbLb1EEEEDaS1K_S1L_EUlS1K_E_NS1_11comp_targetILNS1_3genE9ELNS1_11target_archE1100ELNS1_3gpuE3ELNS1_3repE0EEENS1_30default_config_static_selectorELNS0_4arch9wavefront6targetE0EEEvSY_
    .private_segment_fixed_size: 0
    .sgpr_count:     0
    .sgpr_spill_count: 0
    .symbol:         _ZN7rocprim17ROCPRIM_400000_NS6detail17trampoline_kernelINS0_13select_configILj256ELj13ELNS0_17block_load_methodE3ELS4_3ELS4_3ELNS0_20block_scan_algorithmE0ELj4294967295EEENS1_25partition_config_selectorILNS1_17partition_subalgoE3EjNS0_10empty_typeEbEEZZNS1_14partition_implILS8_3ELb0ES6_jNS0_17counting_iteratorIjlEEPS9_SE_NS0_5tupleIJPjSE_EEENSF_IJSE_SE_EEES9_SG_JZNS1_25segmented_radix_sort_implINS0_14default_configELb0EPKbPbPKlPlN2at6native12_GLOBAL__N_18offset_tEEE10hipError_tPvRmT1_PNSt15iterator_traitsISY_E10value_typeET2_T3_PNSZ_IS14_E10value_typeET4_jRbjT5_S1A_jjP12ihipStream_tbEUljE_EEESV_SW_SX_S14_S18_S1A_T6_T7_T9_mT8_S1C_bDpT10_ENKUlT_T0_E_clISt17integral_constantIbLb0EES1O_IbLb1EEEEDaS1K_S1L_EUlS1K_E_NS1_11comp_targetILNS1_3genE9ELNS1_11target_archE1100ELNS1_3gpuE3ELNS1_3repE0EEENS1_30default_config_static_selectorELNS0_4arch9wavefront6targetE0EEEvSY_.kd
    .uniform_work_group_size: 1
    .uses_dynamic_stack: false
    .vgpr_count:     0
    .vgpr_spill_count: 0
    .wavefront_size: 32
    .workgroup_processor_mode: 1
  - .args:
      - .offset:         0
        .size:           152
        .value_kind:     by_value
    .group_segment_fixed_size: 0
    .kernarg_segment_align: 8
    .kernarg_segment_size: 152
    .language:       OpenCL C
    .language_version:
      - 2
      - 0
    .max_flat_workgroup_size: 256
    .name:           _ZN7rocprim17ROCPRIM_400000_NS6detail17trampoline_kernelINS0_13select_configILj256ELj13ELNS0_17block_load_methodE3ELS4_3ELS4_3ELNS0_20block_scan_algorithmE0ELj4294967295EEENS1_25partition_config_selectorILNS1_17partition_subalgoE3EjNS0_10empty_typeEbEEZZNS1_14partition_implILS8_3ELb0ES6_jNS0_17counting_iteratorIjlEEPS9_SE_NS0_5tupleIJPjSE_EEENSF_IJSE_SE_EEES9_SG_JZNS1_25segmented_radix_sort_implINS0_14default_configELb0EPKbPbPKlPlN2at6native12_GLOBAL__N_18offset_tEEE10hipError_tPvRmT1_PNSt15iterator_traitsISY_E10value_typeET2_T3_PNSZ_IS14_E10value_typeET4_jRbjT5_S1A_jjP12ihipStream_tbEUljE_EEESV_SW_SX_S14_S18_S1A_T6_T7_T9_mT8_S1C_bDpT10_ENKUlT_T0_E_clISt17integral_constantIbLb0EES1O_IbLb1EEEEDaS1K_S1L_EUlS1K_E_NS1_11comp_targetILNS1_3genE8ELNS1_11target_archE1030ELNS1_3gpuE2ELNS1_3repE0EEENS1_30default_config_static_selectorELNS0_4arch9wavefront6targetE0EEEvSY_
    .private_segment_fixed_size: 0
    .sgpr_count:     0
    .sgpr_spill_count: 0
    .symbol:         _ZN7rocprim17ROCPRIM_400000_NS6detail17trampoline_kernelINS0_13select_configILj256ELj13ELNS0_17block_load_methodE3ELS4_3ELS4_3ELNS0_20block_scan_algorithmE0ELj4294967295EEENS1_25partition_config_selectorILNS1_17partition_subalgoE3EjNS0_10empty_typeEbEEZZNS1_14partition_implILS8_3ELb0ES6_jNS0_17counting_iteratorIjlEEPS9_SE_NS0_5tupleIJPjSE_EEENSF_IJSE_SE_EEES9_SG_JZNS1_25segmented_radix_sort_implINS0_14default_configELb0EPKbPbPKlPlN2at6native12_GLOBAL__N_18offset_tEEE10hipError_tPvRmT1_PNSt15iterator_traitsISY_E10value_typeET2_T3_PNSZ_IS14_E10value_typeET4_jRbjT5_S1A_jjP12ihipStream_tbEUljE_EEESV_SW_SX_S14_S18_S1A_T6_T7_T9_mT8_S1C_bDpT10_ENKUlT_T0_E_clISt17integral_constantIbLb0EES1O_IbLb1EEEEDaS1K_S1L_EUlS1K_E_NS1_11comp_targetILNS1_3genE8ELNS1_11target_archE1030ELNS1_3gpuE2ELNS1_3repE0EEENS1_30default_config_static_selectorELNS0_4arch9wavefront6targetE0EEEvSY_.kd
    .uniform_work_group_size: 1
    .uses_dynamic_stack: false
    .vgpr_count:     0
    .vgpr_spill_count: 0
    .wavefront_size: 32
    .workgroup_processor_mode: 1
  - .args:
      - .offset:         0
        .size:           96
        .value_kind:     by_value
    .group_segment_fixed_size: 0
    .kernarg_segment_align: 8
    .kernarg_segment_size: 96
    .language:       OpenCL C
    .language_version:
      - 2
      - 0
    .max_flat_workgroup_size: 256
    .name:           _ZN7rocprim17ROCPRIM_400000_NS6detail17trampoline_kernelINS0_14default_configENS1_36segmented_radix_sort_config_selectorIblEEZNS1_25segmented_radix_sort_implIS3_Lb0EPKbPbPKlPlN2at6native12_GLOBAL__N_18offset_tEEE10hipError_tPvRmT1_PNSt15iterator_traitsISK_E10value_typeET2_T3_PNSL_ISQ_E10value_typeET4_jRbjT5_SW_jjP12ihipStream_tbEUlT_E_NS1_11comp_targetILNS1_3genE0ELNS1_11target_archE4294967295ELNS1_3gpuE0ELNS1_3repE0EEENS1_30default_config_static_selectorELNS0_4arch9wavefront6targetE0EEEvSK_
    .private_segment_fixed_size: 0
    .sgpr_count:     0
    .sgpr_spill_count: 0
    .symbol:         _ZN7rocprim17ROCPRIM_400000_NS6detail17trampoline_kernelINS0_14default_configENS1_36segmented_radix_sort_config_selectorIblEEZNS1_25segmented_radix_sort_implIS3_Lb0EPKbPbPKlPlN2at6native12_GLOBAL__N_18offset_tEEE10hipError_tPvRmT1_PNSt15iterator_traitsISK_E10value_typeET2_T3_PNSL_ISQ_E10value_typeET4_jRbjT5_SW_jjP12ihipStream_tbEUlT_E_NS1_11comp_targetILNS1_3genE0ELNS1_11target_archE4294967295ELNS1_3gpuE0ELNS1_3repE0EEENS1_30default_config_static_selectorELNS0_4arch9wavefront6targetE0EEEvSK_.kd
    .uniform_work_group_size: 1
    .uses_dynamic_stack: false
    .vgpr_count:     0
    .vgpr_spill_count: 0
    .wavefront_size: 32
    .workgroup_processor_mode: 1
  - .args:
      - .offset:         0
        .size:           96
        .value_kind:     by_value
    .group_segment_fixed_size: 0
    .kernarg_segment_align: 8
    .kernarg_segment_size: 96
    .language:       OpenCL C
    .language_version:
      - 2
      - 0
    .max_flat_workgroup_size: 256
    .name:           _ZN7rocprim17ROCPRIM_400000_NS6detail17trampoline_kernelINS0_14default_configENS1_36segmented_radix_sort_config_selectorIblEEZNS1_25segmented_radix_sort_implIS3_Lb0EPKbPbPKlPlN2at6native12_GLOBAL__N_18offset_tEEE10hipError_tPvRmT1_PNSt15iterator_traitsISK_E10value_typeET2_T3_PNSL_ISQ_E10value_typeET4_jRbjT5_SW_jjP12ihipStream_tbEUlT_E_NS1_11comp_targetILNS1_3genE5ELNS1_11target_archE942ELNS1_3gpuE9ELNS1_3repE0EEENS1_30default_config_static_selectorELNS0_4arch9wavefront6targetE0EEEvSK_
    .private_segment_fixed_size: 0
    .sgpr_count:     0
    .sgpr_spill_count: 0
    .symbol:         _ZN7rocprim17ROCPRIM_400000_NS6detail17trampoline_kernelINS0_14default_configENS1_36segmented_radix_sort_config_selectorIblEEZNS1_25segmented_radix_sort_implIS3_Lb0EPKbPbPKlPlN2at6native12_GLOBAL__N_18offset_tEEE10hipError_tPvRmT1_PNSt15iterator_traitsISK_E10value_typeET2_T3_PNSL_ISQ_E10value_typeET4_jRbjT5_SW_jjP12ihipStream_tbEUlT_E_NS1_11comp_targetILNS1_3genE5ELNS1_11target_archE942ELNS1_3gpuE9ELNS1_3repE0EEENS1_30default_config_static_selectorELNS0_4arch9wavefront6targetE0EEEvSK_.kd
    .uniform_work_group_size: 1
    .uses_dynamic_stack: false
    .vgpr_count:     0
    .vgpr_spill_count: 0
    .wavefront_size: 32
    .workgroup_processor_mode: 1
  - .args:
      - .offset:         0
        .size:           96
        .value_kind:     by_value
    .group_segment_fixed_size: 0
    .kernarg_segment_align: 8
    .kernarg_segment_size: 96
    .language:       OpenCL C
    .language_version:
      - 2
      - 0
    .max_flat_workgroup_size: 256
    .name:           _ZN7rocprim17ROCPRIM_400000_NS6detail17trampoline_kernelINS0_14default_configENS1_36segmented_radix_sort_config_selectorIblEEZNS1_25segmented_radix_sort_implIS3_Lb0EPKbPbPKlPlN2at6native12_GLOBAL__N_18offset_tEEE10hipError_tPvRmT1_PNSt15iterator_traitsISK_E10value_typeET2_T3_PNSL_ISQ_E10value_typeET4_jRbjT5_SW_jjP12ihipStream_tbEUlT_E_NS1_11comp_targetILNS1_3genE4ELNS1_11target_archE910ELNS1_3gpuE8ELNS1_3repE0EEENS1_30default_config_static_selectorELNS0_4arch9wavefront6targetE0EEEvSK_
    .private_segment_fixed_size: 0
    .sgpr_count:     0
    .sgpr_spill_count: 0
    .symbol:         _ZN7rocprim17ROCPRIM_400000_NS6detail17trampoline_kernelINS0_14default_configENS1_36segmented_radix_sort_config_selectorIblEEZNS1_25segmented_radix_sort_implIS3_Lb0EPKbPbPKlPlN2at6native12_GLOBAL__N_18offset_tEEE10hipError_tPvRmT1_PNSt15iterator_traitsISK_E10value_typeET2_T3_PNSL_ISQ_E10value_typeET4_jRbjT5_SW_jjP12ihipStream_tbEUlT_E_NS1_11comp_targetILNS1_3genE4ELNS1_11target_archE910ELNS1_3gpuE8ELNS1_3repE0EEENS1_30default_config_static_selectorELNS0_4arch9wavefront6targetE0EEEvSK_.kd
    .uniform_work_group_size: 1
    .uses_dynamic_stack: false
    .vgpr_count:     0
    .vgpr_spill_count: 0
    .wavefront_size: 32
    .workgroup_processor_mode: 1
  - .args:
      - .offset:         0
        .size:           96
        .value_kind:     by_value
    .group_segment_fixed_size: 0
    .kernarg_segment_align: 8
    .kernarg_segment_size: 96
    .language:       OpenCL C
    .language_version:
      - 2
      - 0
    .max_flat_workgroup_size: 256
    .name:           _ZN7rocprim17ROCPRIM_400000_NS6detail17trampoline_kernelINS0_14default_configENS1_36segmented_radix_sort_config_selectorIblEEZNS1_25segmented_radix_sort_implIS3_Lb0EPKbPbPKlPlN2at6native12_GLOBAL__N_18offset_tEEE10hipError_tPvRmT1_PNSt15iterator_traitsISK_E10value_typeET2_T3_PNSL_ISQ_E10value_typeET4_jRbjT5_SW_jjP12ihipStream_tbEUlT_E_NS1_11comp_targetILNS1_3genE3ELNS1_11target_archE908ELNS1_3gpuE7ELNS1_3repE0EEENS1_30default_config_static_selectorELNS0_4arch9wavefront6targetE0EEEvSK_
    .private_segment_fixed_size: 0
    .sgpr_count:     0
    .sgpr_spill_count: 0
    .symbol:         _ZN7rocprim17ROCPRIM_400000_NS6detail17trampoline_kernelINS0_14default_configENS1_36segmented_radix_sort_config_selectorIblEEZNS1_25segmented_radix_sort_implIS3_Lb0EPKbPbPKlPlN2at6native12_GLOBAL__N_18offset_tEEE10hipError_tPvRmT1_PNSt15iterator_traitsISK_E10value_typeET2_T3_PNSL_ISQ_E10value_typeET4_jRbjT5_SW_jjP12ihipStream_tbEUlT_E_NS1_11comp_targetILNS1_3genE3ELNS1_11target_archE908ELNS1_3gpuE7ELNS1_3repE0EEENS1_30default_config_static_selectorELNS0_4arch9wavefront6targetE0EEEvSK_.kd
    .uniform_work_group_size: 1
    .uses_dynamic_stack: false
    .vgpr_count:     0
    .vgpr_spill_count: 0
    .wavefront_size: 32
    .workgroup_processor_mode: 1
  - .args:
      - .offset:         0
        .size:           96
        .value_kind:     by_value
    .group_segment_fixed_size: 0
    .kernarg_segment_align: 8
    .kernarg_segment_size: 96
    .language:       OpenCL C
    .language_version:
      - 2
      - 0
    .max_flat_workgroup_size: 256
    .name:           _ZN7rocprim17ROCPRIM_400000_NS6detail17trampoline_kernelINS0_14default_configENS1_36segmented_radix_sort_config_selectorIblEEZNS1_25segmented_radix_sort_implIS3_Lb0EPKbPbPKlPlN2at6native12_GLOBAL__N_18offset_tEEE10hipError_tPvRmT1_PNSt15iterator_traitsISK_E10value_typeET2_T3_PNSL_ISQ_E10value_typeET4_jRbjT5_SW_jjP12ihipStream_tbEUlT_E_NS1_11comp_targetILNS1_3genE2ELNS1_11target_archE906ELNS1_3gpuE6ELNS1_3repE0EEENS1_30default_config_static_selectorELNS0_4arch9wavefront6targetE0EEEvSK_
    .private_segment_fixed_size: 0
    .sgpr_count:     0
    .sgpr_spill_count: 0
    .symbol:         _ZN7rocprim17ROCPRIM_400000_NS6detail17trampoline_kernelINS0_14default_configENS1_36segmented_radix_sort_config_selectorIblEEZNS1_25segmented_radix_sort_implIS3_Lb0EPKbPbPKlPlN2at6native12_GLOBAL__N_18offset_tEEE10hipError_tPvRmT1_PNSt15iterator_traitsISK_E10value_typeET2_T3_PNSL_ISQ_E10value_typeET4_jRbjT5_SW_jjP12ihipStream_tbEUlT_E_NS1_11comp_targetILNS1_3genE2ELNS1_11target_archE906ELNS1_3gpuE6ELNS1_3repE0EEENS1_30default_config_static_selectorELNS0_4arch9wavefront6targetE0EEEvSK_.kd
    .uniform_work_group_size: 1
    .uses_dynamic_stack: false
    .vgpr_count:     0
    .vgpr_spill_count: 0
    .wavefront_size: 32
    .workgroup_processor_mode: 1
  - .args:
      - .offset:         0
        .size:           96
        .value_kind:     by_value
      - .offset:         96
        .size:           4
        .value_kind:     hidden_block_count_x
      - .offset:         100
        .size:           4
        .value_kind:     hidden_block_count_y
      - .offset:         104
        .size:           4
        .value_kind:     hidden_block_count_z
      - .offset:         108
        .size:           2
        .value_kind:     hidden_group_size_x
      - .offset:         110
        .size:           2
        .value_kind:     hidden_group_size_y
      - .offset:         112
        .size:           2
        .value_kind:     hidden_group_size_z
      - .offset:         114
        .size:           2
        .value_kind:     hidden_remainder_x
      - .offset:         116
        .size:           2
        .value_kind:     hidden_remainder_y
      - .offset:         118
        .size:           2
        .value_kind:     hidden_remainder_z
      - .offset:         136
        .size:           8
        .value_kind:     hidden_global_offset_x
      - .offset:         144
        .size:           8
        .value_kind:     hidden_global_offset_y
      - .offset:         152
        .size:           8
        .value_kind:     hidden_global_offset_z
      - .offset:         160
        .size:           2
        .value_kind:     hidden_grid_dims
    .group_segment_fixed_size: 17440
    .kernarg_segment_align: 8
    .kernarg_segment_size: 352
    .language:       OpenCL C
    .language_version:
      - 2
      - 0
    .max_flat_workgroup_size: 256
    .name:           _ZN7rocprim17ROCPRIM_400000_NS6detail17trampoline_kernelINS0_14default_configENS1_36segmented_radix_sort_config_selectorIblEEZNS1_25segmented_radix_sort_implIS3_Lb0EPKbPbPKlPlN2at6native12_GLOBAL__N_18offset_tEEE10hipError_tPvRmT1_PNSt15iterator_traitsISK_E10value_typeET2_T3_PNSL_ISQ_E10value_typeET4_jRbjT5_SW_jjP12ihipStream_tbEUlT_E_NS1_11comp_targetILNS1_3genE10ELNS1_11target_archE1201ELNS1_3gpuE5ELNS1_3repE0EEENS1_30default_config_static_selectorELNS0_4arch9wavefront6targetE0EEEvSK_
    .private_segment_fixed_size: 0
    .sgpr_count:     52
    .sgpr_spill_count: 0
    .symbol:         _ZN7rocprim17ROCPRIM_400000_NS6detail17trampoline_kernelINS0_14default_configENS1_36segmented_radix_sort_config_selectorIblEEZNS1_25segmented_radix_sort_implIS3_Lb0EPKbPbPKlPlN2at6native12_GLOBAL__N_18offset_tEEE10hipError_tPvRmT1_PNSt15iterator_traitsISK_E10value_typeET2_T3_PNSL_ISQ_E10value_typeET4_jRbjT5_SW_jjP12ihipStream_tbEUlT_E_NS1_11comp_targetILNS1_3genE10ELNS1_11target_archE1201ELNS1_3gpuE5ELNS1_3repE0EEENS1_30default_config_static_selectorELNS0_4arch9wavefront6targetE0EEEvSK_.kd
    .uniform_work_group_size: 1
    .uses_dynamic_stack: false
    .vgpr_count:     197
    .vgpr_spill_count: 0
    .wavefront_size: 32
    .workgroup_processor_mode: 1
  - .args:
      - .offset:         0
        .size:           96
        .value_kind:     by_value
    .group_segment_fixed_size: 0
    .kernarg_segment_align: 8
    .kernarg_segment_size: 96
    .language:       OpenCL C
    .language_version:
      - 2
      - 0
    .max_flat_workgroup_size: 128
    .name:           _ZN7rocprim17ROCPRIM_400000_NS6detail17trampoline_kernelINS0_14default_configENS1_36segmented_radix_sort_config_selectorIblEEZNS1_25segmented_radix_sort_implIS3_Lb0EPKbPbPKlPlN2at6native12_GLOBAL__N_18offset_tEEE10hipError_tPvRmT1_PNSt15iterator_traitsISK_E10value_typeET2_T3_PNSL_ISQ_E10value_typeET4_jRbjT5_SW_jjP12ihipStream_tbEUlT_E_NS1_11comp_targetILNS1_3genE10ELNS1_11target_archE1200ELNS1_3gpuE4ELNS1_3repE0EEENS1_30default_config_static_selectorELNS0_4arch9wavefront6targetE0EEEvSK_
    .private_segment_fixed_size: 0
    .sgpr_count:     0
    .sgpr_spill_count: 0
    .symbol:         _ZN7rocprim17ROCPRIM_400000_NS6detail17trampoline_kernelINS0_14default_configENS1_36segmented_radix_sort_config_selectorIblEEZNS1_25segmented_radix_sort_implIS3_Lb0EPKbPbPKlPlN2at6native12_GLOBAL__N_18offset_tEEE10hipError_tPvRmT1_PNSt15iterator_traitsISK_E10value_typeET2_T3_PNSL_ISQ_E10value_typeET4_jRbjT5_SW_jjP12ihipStream_tbEUlT_E_NS1_11comp_targetILNS1_3genE10ELNS1_11target_archE1200ELNS1_3gpuE4ELNS1_3repE0EEENS1_30default_config_static_selectorELNS0_4arch9wavefront6targetE0EEEvSK_.kd
    .uniform_work_group_size: 1
    .uses_dynamic_stack: false
    .vgpr_count:     0
    .vgpr_spill_count: 0
    .wavefront_size: 32
    .workgroup_processor_mode: 1
  - .args:
      - .offset:         0
        .size:           96
        .value_kind:     by_value
    .group_segment_fixed_size: 0
    .kernarg_segment_align: 8
    .kernarg_segment_size: 96
    .language:       OpenCL C
    .language_version:
      - 2
      - 0
    .max_flat_workgroup_size: 256
    .name:           _ZN7rocprim17ROCPRIM_400000_NS6detail17trampoline_kernelINS0_14default_configENS1_36segmented_radix_sort_config_selectorIblEEZNS1_25segmented_radix_sort_implIS3_Lb0EPKbPbPKlPlN2at6native12_GLOBAL__N_18offset_tEEE10hipError_tPvRmT1_PNSt15iterator_traitsISK_E10value_typeET2_T3_PNSL_ISQ_E10value_typeET4_jRbjT5_SW_jjP12ihipStream_tbEUlT_E_NS1_11comp_targetILNS1_3genE9ELNS1_11target_archE1100ELNS1_3gpuE3ELNS1_3repE0EEENS1_30default_config_static_selectorELNS0_4arch9wavefront6targetE0EEEvSK_
    .private_segment_fixed_size: 0
    .sgpr_count:     0
    .sgpr_spill_count: 0
    .symbol:         _ZN7rocprim17ROCPRIM_400000_NS6detail17trampoline_kernelINS0_14default_configENS1_36segmented_radix_sort_config_selectorIblEEZNS1_25segmented_radix_sort_implIS3_Lb0EPKbPbPKlPlN2at6native12_GLOBAL__N_18offset_tEEE10hipError_tPvRmT1_PNSt15iterator_traitsISK_E10value_typeET2_T3_PNSL_ISQ_E10value_typeET4_jRbjT5_SW_jjP12ihipStream_tbEUlT_E_NS1_11comp_targetILNS1_3genE9ELNS1_11target_archE1100ELNS1_3gpuE3ELNS1_3repE0EEENS1_30default_config_static_selectorELNS0_4arch9wavefront6targetE0EEEvSK_.kd
    .uniform_work_group_size: 1
    .uses_dynamic_stack: false
    .vgpr_count:     0
    .vgpr_spill_count: 0
    .wavefront_size: 32
    .workgroup_processor_mode: 1
  - .args:
      - .offset:         0
        .size:           96
        .value_kind:     by_value
    .group_segment_fixed_size: 0
    .kernarg_segment_align: 8
    .kernarg_segment_size: 96
    .language:       OpenCL C
    .language_version:
      - 2
      - 0
    .max_flat_workgroup_size: 256
    .name:           _ZN7rocprim17ROCPRIM_400000_NS6detail17trampoline_kernelINS0_14default_configENS1_36segmented_radix_sort_config_selectorIblEEZNS1_25segmented_radix_sort_implIS3_Lb0EPKbPbPKlPlN2at6native12_GLOBAL__N_18offset_tEEE10hipError_tPvRmT1_PNSt15iterator_traitsISK_E10value_typeET2_T3_PNSL_ISQ_E10value_typeET4_jRbjT5_SW_jjP12ihipStream_tbEUlT_E_NS1_11comp_targetILNS1_3genE8ELNS1_11target_archE1030ELNS1_3gpuE2ELNS1_3repE0EEENS1_30default_config_static_selectorELNS0_4arch9wavefront6targetE0EEEvSK_
    .private_segment_fixed_size: 0
    .sgpr_count:     0
    .sgpr_spill_count: 0
    .symbol:         _ZN7rocprim17ROCPRIM_400000_NS6detail17trampoline_kernelINS0_14default_configENS1_36segmented_radix_sort_config_selectorIblEEZNS1_25segmented_radix_sort_implIS3_Lb0EPKbPbPKlPlN2at6native12_GLOBAL__N_18offset_tEEE10hipError_tPvRmT1_PNSt15iterator_traitsISK_E10value_typeET2_T3_PNSL_ISQ_E10value_typeET4_jRbjT5_SW_jjP12ihipStream_tbEUlT_E_NS1_11comp_targetILNS1_3genE8ELNS1_11target_archE1030ELNS1_3gpuE2ELNS1_3repE0EEENS1_30default_config_static_selectorELNS0_4arch9wavefront6targetE0EEEvSK_.kd
    .uniform_work_group_size: 1
    .uses_dynamic_stack: false
    .vgpr_count:     0
    .vgpr_spill_count: 0
    .wavefront_size: 32
    .workgroup_processor_mode: 1
  - .args:
      - .offset:         0
        .size:           88
        .value_kind:     by_value
    .group_segment_fixed_size: 0
    .kernarg_segment_align: 8
    .kernarg_segment_size: 88
    .language:       OpenCL C
    .language_version:
      - 2
      - 0
    .max_flat_workgroup_size: 256
    .name:           _ZN7rocprim17ROCPRIM_400000_NS6detail17trampoline_kernelINS0_14default_configENS1_36segmented_radix_sort_config_selectorIblEEZNS1_25segmented_radix_sort_implIS3_Lb0EPKbPbPKlPlN2at6native12_GLOBAL__N_18offset_tEEE10hipError_tPvRmT1_PNSt15iterator_traitsISK_E10value_typeET2_T3_PNSL_ISQ_E10value_typeET4_jRbjT5_SW_jjP12ihipStream_tbEUlT_E0_NS1_11comp_targetILNS1_3genE0ELNS1_11target_archE4294967295ELNS1_3gpuE0ELNS1_3repE0EEENS1_60segmented_radix_sort_warp_sort_medium_config_static_selectorELNS0_4arch9wavefront6targetE0EEEvSK_
    .private_segment_fixed_size: 0
    .sgpr_count:     0
    .sgpr_spill_count: 0
    .symbol:         _ZN7rocprim17ROCPRIM_400000_NS6detail17trampoline_kernelINS0_14default_configENS1_36segmented_radix_sort_config_selectorIblEEZNS1_25segmented_radix_sort_implIS3_Lb0EPKbPbPKlPlN2at6native12_GLOBAL__N_18offset_tEEE10hipError_tPvRmT1_PNSt15iterator_traitsISK_E10value_typeET2_T3_PNSL_ISQ_E10value_typeET4_jRbjT5_SW_jjP12ihipStream_tbEUlT_E0_NS1_11comp_targetILNS1_3genE0ELNS1_11target_archE4294967295ELNS1_3gpuE0ELNS1_3repE0EEENS1_60segmented_radix_sort_warp_sort_medium_config_static_selectorELNS0_4arch9wavefront6targetE0EEEvSK_.kd
    .uniform_work_group_size: 1
    .uses_dynamic_stack: false
    .vgpr_count:     0
    .vgpr_spill_count: 0
    .wavefront_size: 32
    .workgroup_processor_mode: 1
  - .args:
      - .offset:         0
        .size:           88
        .value_kind:     by_value
    .group_segment_fixed_size: 0
    .kernarg_segment_align: 8
    .kernarg_segment_size: 88
    .language:       OpenCL C
    .language_version:
      - 2
      - 0
    .max_flat_workgroup_size: 256
    .name:           _ZN7rocprim17ROCPRIM_400000_NS6detail17trampoline_kernelINS0_14default_configENS1_36segmented_radix_sort_config_selectorIblEEZNS1_25segmented_radix_sort_implIS3_Lb0EPKbPbPKlPlN2at6native12_GLOBAL__N_18offset_tEEE10hipError_tPvRmT1_PNSt15iterator_traitsISK_E10value_typeET2_T3_PNSL_ISQ_E10value_typeET4_jRbjT5_SW_jjP12ihipStream_tbEUlT_E0_NS1_11comp_targetILNS1_3genE5ELNS1_11target_archE942ELNS1_3gpuE9ELNS1_3repE0EEENS1_60segmented_radix_sort_warp_sort_medium_config_static_selectorELNS0_4arch9wavefront6targetE0EEEvSK_
    .private_segment_fixed_size: 0
    .sgpr_count:     0
    .sgpr_spill_count: 0
    .symbol:         _ZN7rocprim17ROCPRIM_400000_NS6detail17trampoline_kernelINS0_14default_configENS1_36segmented_radix_sort_config_selectorIblEEZNS1_25segmented_radix_sort_implIS3_Lb0EPKbPbPKlPlN2at6native12_GLOBAL__N_18offset_tEEE10hipError_tPvRmT1_PNSt15iterator_traitsISK_E10value_typeET2_T3_PNSL_ISQ_E10value_typeET4_jRbjT5_SW_jjP12ihipStream_tbEUlT_E0_NS1_11comp_targetILNS1_3genE5ELNS1_11target_archE942ELNS1_3gpuE9ELNS1_3repE0EEENS1_60segmented_radix_sort_warp_sort_medium_config_static_selectorELNS0_4arch9wavefront6targetE0EEEvSK_.kd
    .uniform_work_group_size: 1
    .uses_dynamic_stack: false
    .vgpr_count:     0
    .vgpr_spill_count: 0
    .wavefront_size: 32
    .workgroup_processor_mode: 1
  - .args:
      - .offset:         0
        .size:           88
        .value_kind:     by_value
    .group_segment_fixed_size: 0
    .kernarg_segment_align: 8
    .kernarg_segment_size: 88
    .language:       OpenCL C
    .language_version:
      - 2
      - 0
    .max_flat_workgroup_size: 256
    .name:           _ZN7rocprim17ROCPRIM_400000_NS6detail17trampoline_kernelINS0_14default_configENS1_36segmented_radix_sort_config_selectorIblEEZNS1_25segmented_radix_sort_implIS3_Lb0EPKbPbPKlPlN2at6native12_GLOBAL__N_18offset_tEEE10hipError_tPvRmT1_PNSt15iterator_traitsISK_E10value_typeET2_T3_PNSL_ISQ_E10value_typeET4_jRbjT5_SW_jjP12ihipStream_tbEUlT_E0_NS1_11comp_targetILNS1_3genE4ELNS1_11target_archE910ELNS1_3gpuE8ELNS1_3repE0EEENS1_60segmented_radix_sort_warp_sort_medium_config_static_selectorELNS0_4arch9wavefront6targetE0EEEvSK_
    .private_segment_fixed_size: 0
    .sgpr_count:     0
    .sgpr_spill_count: 0
    .symbol:         _ZN7rocprim17ROCPRIM_400000_NS6detail17trampoline_kernelINS0_14default_configENS1_36segmented_radix_sort_config_selectorIblEEZNS1_25segmented_radix_sort_implIS3_Lb0EPKbPbPKlPlN2at6native12_GLOBAL__N_18offset_tEEE10hipError_tPvRmT1_PNSt15iterator_traitsISK_E10value_typeET2_T3_PNSL_ISQ_E10value_typeET4_jRbjT5_SW_jjP12ihipStream_tbEUlT_E0_NS1_11comp_targetILNS1_3genE4ELNS1_11target_archE910ELNS1_3gpuE8ELNS1_3repE0EEENS1_60segmented_radix_sort_warp_sort_medium_config_static_selectorELNS0_4arch9wavefront6targetE0EEEvSK_.kd
    .uniform_work_group_size: 1
    .uses_dynamic_stack: false
    .vgpr_count:     0
    .vgpr_spill_count: 0
    .wavefront_size: 32
    .workgroup_processor_mode: 1
  - .args:
      - .offset:         0
        .size:           88
        .value_kind:     by_value
    .group_segment_fixed_size: 0
    .kernarg_segment_align: 8
    .kernarg_segment_size: 88
    .language:       OpenCL C
    .language_version:
      - 2
      - 0
    .max_flat_workgroup_size: 256
    .name:           _ZN7rocprim17ROCPRIM_400000_NS6detail17trampoline_kernelINS0_14default_configENS1_36segmented_radix_sort_config_selectorIblEEZNS1_25segmented_radix_sort_implIS3_Lb0EPKbPbPKlPlN2at6native12_GLOBAL__N_18offset_tEEE10hipError_tPvRmT1_PNSt15iterator_traitsISK_E10value_typeET2_T3_PNSL_ISQ_E10value_typeET4_jRbjT5_SW_jjP12ihipStream_tbEUlT_E0_NS1_11comp_targetILNS1_3genE3ELNS1_11target_archE908ELNS1_3gpuE7ELNS1_3repE0EEENS1_60segmented_radix_sort_warp_sort_medium_config_static_selectorELNS0_4arch9wavefront6targetE0EEEvSK_
    .private_segment_fixed_size: 0
    .sgpr_count:     0
    .sgpr_spill_count: 0
    .symbol:         _ZN7rocprim17ROCPRIM_400000_NS6detail17trampoline_kernelINS0_14default_configENS1_36segmented_radix_sort_config_selectorIblEEZNS1_25segmented_radix_sort_implIS3_Lb0EPKbPbPKlPlN2at6native12_GLOBAL__N_18offset_tEEE10hipError_tPvRmT1_PNSt15iterator_traitsISK_E10value_typeET2_T3_PNSL_ISQ_E10value_typeET4_jRbjT5_SW_jjP12ihipStream_tbEUlT_E0_NS1_11comp_targetILNS1_3genE3ELNS1_11target_archE908ELNS1_3gpuE7ELNS1_3repE0EEENS1_60segmented_radix_sort_warp_sort_medium_config_static_selectorELNS0_4arch9wavefront6targetE0EEEvSK_.kd
    .uniform_work_group_size: 1
    .uses_dynamic_stack: false
    .vgpr_count:     0
    .vgpr_spill_count: 0
    .wavefront_size: 32
    .workgroup_processor_mode: 1
  - .args:
      - .offset:         0
        .size:           88
        .value_kind:     by_value
    .group_segment_fixed_size: 0
    .kernarg_segment_align: 8
    .kernarg_segment_size: 88
    .language:       OpenCL C
    .language_version:
      - 2
      - 0
    .max_flat_workgroup_size: 256
    .name:           _ZN7rocprim17ROCPRIM_400000_NS6detail17trampoline_kernelINS0_14default_configENS1_36segmented_radix_sort_config_selectorIblEEZNS1_25segmented_radix_sort_implIS3_Lb0EPKbPbPKlPlN2at6native12_GLOBAL__N_18offset_tEEE10hipError_tPvRmT1_PNSt15iterator_traitsISK_E10value_typeET2_T3_PNSL_ISQ_E10value_typeET4_jRbjT5_SW_jjP12ihipStream_tbEUlT_E0_NS1_11comp_targetILNS1_3genE2ELNS1_11target_archE906ELNS1_3gpuE6ELNS1_3repE0EEENS1_60segmented_radix_sort_warp_sort_medium_config_static_selectorELNS0_4arch9wavefront6targetE0EEEvSK_
    .private_segment_fixed_size: 0
    .sgpr_count:     0
    .sgpr_spill_count: 0
    .symbol:         _ZN7rocprim17ROCPRIM_400000_NS6detail17trampoline_kernelINS0_14default_configENS1_36segmented_radix_sort_config_selectorIblEEZNS1_25segmented_radix_sort_implIS3_Lb0EPKbPbPKlPlN2at6native12_GLOBAL__N_18offset_tEEE10hipError_tPvRmT1_PNSt15iterator_traitsISK_E10value_typeET2_T3_PNSL_ISQ_E10value_typeET4_jRbjT5_SW_jjP12ihipStream_tbEUlT_E0_NS1_11comp_targetILNS1_3genE2ELNS1_11target_archE906ELNS1_3gpuE6ELNS1_3repE0EEENS1_60segmented_radix_sort_warp_sort_medium_config_static_selectorELNS0_4arch9wavefront6targetE0EEEvSK_.kd
    .uniform_work_group_size: 1
    .uses_dynamic_stack: false
    .vgpr_count:     0
    .vgpr_spill_count: 0
    .wavefront_size: 32
    .workgroup_processor_mode: 1
  - .args:
      - .offset:         0
        .size:           88
        .value_kind:     by_value
      - .offset:         88
        .size:           4
        .value_kind:     hidden_block_count_x
      - .offset:         92
        .size:           4
        .value_kind:     hidden_block_count_y
      - .offset:         96
        .size:           4
        .value_kind:     hidden_block_count_z
      - .offset:         100
        .size:           2
        .value_kind:     hidden_group_size_x
      - .offset:         102
        .size:           2
        .value_kind:     hidden_group_size_y
      - .offset:         104
        .size:           2
        .value_kind:     hidden_group_size_z
      - .offset:         106
        .size:           2
        .value_kind:     hidden_remainder_x
      - .offset:         108
        .size:           2
        .value_kind:     hidden_remainder_y
      - .offset:         110
        .size:           2
        .value_kind:     hidden_remainder_z
      - .offset:         128
        .size:           8
        .value_kind:     hidden_global_offset_x
      - .offset:         136
        .size:           8
        .value_kind:     hidden_global_offset_y
      - .offset:         144
        .size:           8
        .value_kind:     hidden_global_offset_z
      - .offset:         152
        .size:           2
        .value_kind:     hidden_grid_dims
    .group_segment_fixed_size: 18432
    .kernarg_segment_align: 8
    .kernarg_segment_size: 344
    .language:       OpenCL C
    .language_version:
      - 2
      - 0
    .max_flat_workgroup_size: 256
    .name:           _ZN7rocprim17ROCPRIM_400000_NS6detail17trampoline_kernelINS0_14default_configENS1_36segmented_radix_sort_config_selectorIblEEZNS1_25segmented_radix_sort_implIS3_Lb0EPKbPbPKlPlN2at6native12_GLOBAL__N_18offset_tEEE10hipError_tPvRmT1_PNSt15iterator_traitsISK_E10value_typeET2_T3_PNSL_ISQ_E10value_typeET4_jRbjT5_SW_jjP12ihipStream_tbEUlT_E0_NS1_11comp_targetILNS1_3genE10ELNS1_11target_archE1201ELNS1_3gpuE5ELNS1_3repE0EEENS1_60segmented_radix_sort_warp_sort_medium_config_static_selectorELNS0_4arch9wavefront6targetE0EEEvSK_
    .private_segment_fixed_size: 12
    .sgpr_count:     46
    .sgpr_spill_count: 0
    .symbol:         _ZN7rocprim17ROCPRIM_400000_NS6detail17trampoline_kernelINS0_14default_configENS1_36segmented_radix_sort_config_selectorIblEEZNS1_25segmented_radix_sort_implIS3_Lb0EPKbPbPKlPlN2at6native12_GLOBAL__N_18offset_tEEE10hipError_tPvRmT1_PNSt15iterator_traitsISK_E10value_typeET2_T3_PNSL_ISQ_E10value_typeET4_jRbjT5_SW_jjP12ihipStream_tbEUlT_E0_NS1_11comp_targetILNS1_3genE10ELNS1_11target_archE1201ELNS1_3gpuE5ELNS1_3repE0EEENS1_60segmented_radix_sort_warp_sort_medium_config_static_selectorELNS0_4arch9wavefront6targetE0EEEvSK_.kd
    .uniform_work_group_size: 1
    .uses_dynamic_stack: false
    .vgpr_count:     71
    .vgpr_spill_count: 0
    .wavefront_size: 32
    .workgroup_processor_mode: 1
  - .args:
      - .offset:         0
        .size:           88
        .value_kind:     by_value
    .group_segment_fixed_size: 0
    .kernarg_segment_align: 8
    .kernarg_segment_size: 88
    .language:       OpenCL C
    .language_version:
      - 2
      - 0
    .max_flat_workgroup_size: 256
    .name:           _ZN7rocprim17ROCPRIM_400000_NS6detail17trampoline_kernelINS0_14default_configENS1_36segmented_radix_sort_config_selectorIblEEZNS1_25segmented_radix_sort_implIS3_Lb0EPKbPbPKlPlN2at6native12_GLOBAL__N_18offset_tEEE10hipError_tPvRmT1_PNSt15iterator_traitsISK_E10value_typeET2_T3_PNSL_ISQ_E10value_typeET4_jRbjT5_SW_jjP12ihipStream_tbEUlT_E0_NS1_11comp_targetILNS1_3genE10ELNS1_11target_archE1200ELNS1_3gpuE4ELNS1_3repE0EEENS1_60segmented_radix_sort_warp_sort_medium_config_static_selectorELNS0_4arch9wavefront6targetE0EEEvSK_
    .private_segment_fixed_size: 0
    .sgpr_count:     0
    .sgpr_spill_count: 0
    .symbol:         _ZN7rocprim17ROCPRIM_400000_NS6detail17trampoline_kernelINS0_14default_configENS1_36segmented_radix_sort_config_selectorIblEEZNS1_25segmented_radix_sort_implIS3_Lb0EPKbPbPKlPlN2at6native12_GLOBAL__N_18offset_tEEE10hipError_tPvRmT1_PNSt15iterator_traitsISK_E10value_typeET2_T3_PNSL_ISQ_E10value_typeET4_jRbjT5_SW_jjP12ihipStream_tbEUlT_E0_NS1_11comp_targetILNS1_3genE10ELNS1_11target_archE1200ELNS1_3gpuE4ELNS1_3repE0EEENS1_60segmented_radix_sort_warp_sort_medium_config_static_selectorELNS0_4arch9wavefront6targetE0EEEvSK_.kd
    .uniform_work_group_size: 1
    .uses_dynamic_stack: false
    .vgpr_count:     0
    .vgpr_spill_count: 0
    .wavefront_size: 32
    .workgroup_processor_mode: 1
  - .args:
      - .offset:         0
        .size:           88
        .value_kind:     by_value
    .group_segment_fixed_size: 0
    .kernarg_segment_align: 8
    .kernarg_segment_size: 88
    .language:       OpenCL C
    .language_version:
      - 2
      - 0
    .max_flat_workgroup_size: 256
    .name:           _ZN7rocprim17ROCPRIM_400000_NS6detail17trampoline_kernelINS0_14default_configENS1_36segmented_radix_sort_config_selectorIblEEZNS1_25segmented_radix_sort_implIS3_Lb0EPKbPbPKlPlN2at6native12_GLOBAL__N_18offset_tEEE10hipError_tPvRmT1_PNSt15iterator_traitsISK_E10value_typeET2_T3_PNSL_ISQ_E10value_typeET4_jRbjT5_SW_jjP12ihipStream_tbEUlT_E0_NS1_11comp_targetILNS1_3genE9ELNS1_11target_archE1100ELNS1_3gpuE3ELNS1_3repE0EEENS1_60segmented_radix_sort_warp_sort_medium_config_static_selectorELNS0_4arch9wavefront6targetE0EEEvSK_
    .private_segment_fixed_size: 0
    .sgpr_count:     0
    .sgpr_spill_count: 0
    .symbol:         _ZN7rocprim17ROCPRIM_400000_NS6detail17trampoline_kernelINS0_14default_configENS1_36segmented_radix_sort_config_selectorIblEEZNS1_25segmented_radix_sort_implIS3_Lb0EPKbPbPKlPlN2at6native12_GLOBAL__N_18offset_tEEE10hipError_tPvRmT1_PNSt15iterator_traitsISK_E10value_typeET2_T3_PNSL_ISQ_E10value_typeET4_jRbjT5_SW_jjP12ihipStream_tbEUlT_E0_NS1_11comp_targetILNS1_3genE9ELNS1_11target_archE1100ELNS1_3gpuE3ELNS1_3repE0EEENS1_60segmented_radix_sort_warp_sort_medium_config_static_selectorELNS0_4arch9wavefront6targetE0EEEvSK_.kd
    .uniform_work_group_size: 1
    .uses_dynamic_stack: false
    .vgpr_count:     0
    .vgpr_spill_count: 0
    .wavefront_size: 32
    .workgroup_processor_mode: 1
  - .args:
      - .offset:         0
        .size:           88
        .value_kind:     by_value
    .group_segment_fixed_size: 0
    .kernarg_segment_align: 8
    .kernarg_segment_size: 88
    .language:       OpenCL C
    .language_version:
      - 2
      - 0
    .max_flat_workgroup_size: 256
    .name:           _ZN7rocprim17ROCPRIM_400000_NS6detail17trampoline_kernelINS0_14default_configENS1_36segmented_radix_sort_config_selectorIblEEZNS1_25segmented_radix_sort_implIS3_Lb0EPKbPbPKlPlN2at6native12_GLOBAL__N_18offset_tEEE10hipError_tPvRmT1_PNSt15iterator_traitsISK_E10value_typeET2_T3_PNSL_ISQ_E10value_typeET4_jRbjT5_SW_jjP12ihipStream_tbEUlT_E0_NS1_11comp_targetILNS1_3genE8ELNS1_11target_archE1030ELNS1_3gpuE2ELNS1_3repE0EEENS1_60segmented_radix_sort_warp_sort_medium_config_static_selectorELNS0_4arch9wavefront6targetE0EEEvSK_
    .private_segment_fixed_size: 0
    .sgpr_count:     0
    .sgpr_spill_count: 0
    .symbol:         _ZN7rocprim17ROCPRIM_400000_NS6detail17trampoline_kernelINS0_14default_configENS1_36segmented_radix_sort_config_selectorIblEEZNS1_25segmented_radix_sort_implIS3_Lb0EPKbPbPKlPlN2at6native12_GLOBAL__N_18offset_tEEE10hipError_tPvRmT1_PNSt15iterator_traitsISK_E10value_typeET2_T3_PNSL_ISQ_E10value_typeET4_jRbjT5_SW_jjP12ihipStream_tbEUlT_E0_NS1_11comp_targetILNS1_3genE8ELNS1_11target_archE1030ELNS1_3gpuE2ELNS1_3repE0EEENS1_60segmented_radix_sort_warp_sort_medium_config_static_selectorELNS0_4arch9wavefront6targetE0EEEvSK_.kd
    .uniform_work_group_size: 1
    .uses_dynamic_stack: false
    .vgpr_count:     0
    .vgpr_spill_count: 0
    .wavefront_size: 32
    .workgroup_processor_mode: 1
  - .args:
      - .offset:         0
        .size:           88
        .value_kind:     by_value
    .group_segment_fixed_size: 0
    .kernarg_segment_align: 8
    .kernarg_segment_size: 88
    .language:       OpenCL C
    .language_version:
      - 2
      - 0
    .max_flat_workgroup_size: 256
    .name:           _ZN7rocprim17ROCPRIM_400000_NS6detail17trampoline_kernelINS0_14default_configENS1_36segmented_radix_sort_config_selectorIblEEZNS1_25segmented_radix_sort_implIS3_Lb0EPKbPbPKlPlN2at6native12_GLOBAL__N_18offset_tEEE10hipError_tPvRmT1_PNSt15iterator_traitsISK_E10value_typeET2_T3_PNSL_ISQ_E10value_typeET4_jRbjT5_SW_jjP12ihipStream_tbEUlT_E1_NS1_11comp_targetILNS1_3genE0ELNS1_11target_archE4294967295ELNS1_3gpuE0ELNS1_3repE0EEENS1_59segmented_radix_sort_warp_sort_small_config_static_selectorELNS0_4arch9wavefront6targetE0EEEvSK_
    .private_segment_fixed_size: 0
    .sgpr_count:     0
    .sgpr_spill_count: 0
    .symbol:         _ZN7rocprim17ROCPRIM_400000_NS6detail17trampoline_kernelINS0_14default_configENS1_36segmented_radix_sort_config_selectorIblEEZNS1_25segmented_radix_sort_implIS3_Lb0EPKbPbPKlPlN2at6native12_GLOBAL__N_18offset_tEEE10hipError_tPvRmT1_PNSt15iterator_traitsISK_E10value_typeET2_T3_PNSL_ISQ_E10value_typeET4_jRbjT5_SW_jjP12ihipStream_tbEUlT_E1_NS1_11comp_targetILNS1_3genE0ELNS1_11target_archE4294967295ELNS1_3gpuE0ELNS1_3repE0EEENS1_59segmented_radix_sort_warp_sort_small_config_static_selectorELNS0_4arch9wavefront6targetE0EEEvSK_.kd
    .uniform_work_group_size: 1
    .uses_dynamic_stack: false
    .vgpr_count:     0
    .vgpr_spill_count: 0
    .wavefront_size: 32
    .workgroup_processor_mode: 1
  - .args:
      - .offset:         0
        .size:           88
        .value_kind:     by_value
    .group_segment_fixed_size: 0
    .kernarg_segment_align: 8
    .kernarg_segment_size: 88
    .language:       OpenCL C
    .language_version:
      - 2
      - 0
    .max_flat_workgroup_size: 256
    .name:           _ZN7rocprim17ROCPRIM_400000_NS6detail17trampoline_kernelINS0_14default_configENS1_36segmented_radix_sort_config_selectorIblEEZNS1_25segmented_radix_sort_implIS3_Lb0EPKbPbPKlPlN2at6native12_GLOBAL__N_18offset_tEEE10hipError_tPvRmT1_PNSt15iterator_traitsISK_E10value_typeET2_T3_PNSL_ISQ_E10value_typeET4_jRbjT5_SW_jjP12ihipStream_tbEUlT_E1_NS1_11comp_targetILNS1_3genE5ELNS1_11target_archE942ELNS1_3gpuE9ELNS1_3repE0EEENS1_59segmented_radix_sort_warp_sort_small_config_static_selectorELNS0_4arch9wavefront6targetE0EEEvSK_
    .private_segment_fixed_size: 0
    .sgpr_count:     0
    .sgpr_spill_count: 0
    .symbol:         _ZN7rocprim17ROCPRIM_400000_NS6detail17trampoline_kernelINS0_14default_configENS1_36segmented_radix_sort_config_selectorIblEEZNS1_25segmented_radix_sort_implIS3_Lb0EPKbPbPKlPlN2at6native12_GLOBAL__N_18offset_tEEE10hipError_tPvRmT1_PNSt15iterator_traitsISK_E10value_typeET2_T3_PNSL_ISQ_E10value_typeET4_jRbjT5_SW_jjP12ihipStream_tbEUlT_E1_NS1_11comp_targetILNS1_3genE5ELNS1_11target_archE942ELNS1_3gpuE9ELNS1_3repE0EEENS1_59segmented_radix_sort_warp_sort_small_config_static_selectorELNS0_4arch9wavefront6targetE0EEEvSK_.kd
    .uniform_work_group_size: 1
    .uses_dynamic_stack: false
    .vgpr_count:     0
    .vgpr_spill_count: 0
    .wavefront_size: 32
    .workgroup_processor_mode: 1
  - .args:
      - .offset:         0
        .size:           88
        .value_kind:     by_value
    .group_segment_fixed_size: 0
    .kernarg_segment_align: 8
    .kernarg_segment_size: 88
    .language:       OpenCL C
    .language_version:
      - 2
      - 0
    .max_flat_workgroup_size: 256
    .name:           _ZN7rocprim17ROCPRIM_400000_NS6detail17trampoline_kernelINS0_14default_configENS1_36segmented_radix_sort_config_selectorIblEEZNS1_25segmented_radix_sort_implIS3_Lb0EPKbPbPKlPlN2at6native12_GLOBAL__N_18offset_tEEE10hipError_tPvRmT1_PNSt15iterator_traitsISK_E10value_typeET2_T3_PNSL_ISQ_E10value_typeET4_jRbjT5_SW_jjP12ihipStream_tbEUlT_E1_NS1_11comp_targetILNS1_3genE4ELNS1_11target_archE910ELNS1_3gpuE8ELNS1_3repE0EEENS1_59segmented_radix_sort_warp_sort_small_config_static_selectorELNS0_4arch9wavefront6targetE0EEEvSK_
    .private_segment_fixed_size: 0
    .sgpr_count:     0
    .sgpr_spill_count: 0
    .symbol:         _ZN7rocprim17ROCPRIM_400000_NS6detail17trampoline_kernelINS0_14default_configENS1_36segmented_radix_sort_config_selectorIblEEZNS1_25segmented_radix_sort_implIS3_Lb0EPKbPbPKlPlN2at6native12_GLOBAL__N_18offset_tEEE10hipError_tPvRmT1_PNSt15iterator_traitsISK_E10value_typeET2_T3_PNSL_ISQ_E10value_typeET4_jRbjT5_SW_jjP12ihipStream_tbEUlT_E1_NS1_11comp_targetILNS1_3genE4ELNS1_11target_archE910ELNS1_3gpuE8ELNS1_3repE0EEENS1_59segmented_radix_sort_warp_sort_small_config_static_selectorELNS0_4arch9wavefront6targetE0EEEvSK_.kd
    .uniform_work_group_size: 1
    .uses_dynamic_stack: false
    .vgpr_count:     0
    .vgpr_spill_count: 0
    .wavefront_size: 32
    .workgroup_processor_mode: 1
  - .args:
      - .offset:         0
        .size:           88
        .value_kind:     by_value
    .group_segment_fixed_size: 0
    .kernarg_segment_align: 8
    .kernarg_segment_size: 88
    .language:       OpenCL C
    .language_version:
      - 2
      - 0
    .max_flat_workgroup_size: 256
    .name:           _ZN7rocprim17ROCPRIM_400000_NS6detail17trampoline_kernelINS0_14default_configENS1_36segmented_radix_sort_config_selectorIblEEZNS1_25segmented_radix_sort_implIS3_Lb0EPKbPbPKlPlN2at6native12_GLOBAL__N_18offset_tEEE10hipError_tPvRmT1_PNSt15iterator_traitsISK_E10value_typeET2_T3_PNSL_ISQ_E10value_typeET4_jRbjT5_SW_jjP12ihipStream_tbEUlT_E1_NS1_11comp_targetILNS1_3genE3ELNS1_11target_archE908ELNS1_3gpuE7ELNS1_3repE0EEENS1_59segmented_radix_sort_warp_sort_small_config_static_selectorELNS0_4arch9wavefront6targetE0EEEvSK_
    .private_segment_fixed_size: 0
    .sgpr_count:     0
    .sgpr_spill_count: 0
    .symbol:         _ZN7rocprim17ROCPRIM_400000_NS6detail17trampoline_kernelINS0_14default_configENS1_36segmented_radix_sort_config_selectorIblEEZNS1_25segmented_radix_sort_implIS3_Lb0EPKbPbPKlPlN2at6native12_GLOBAL__N_18offset_tEEE10hipError_tPvRmT1_PNSt15iterator_traitsISK_E10value_typeET2_T3_PNSL_ISQ_E10value_typeET4_jRbjT5_SW_jjP12ihipStream_tbEUlT_E1_NS1_11comp_targetILNS1_3genE3ELNS1_11target_archE908ELNS1_3gpuE7ELNS1_3repE0EEENS1_59segmented_radix_sort_warp_sort_small_config_static_selectorELNS0_4arch9wavefront6targetE0EEEvSK_.kd
    .uniform_work_group_size: 1
    .uses_dynamic_stack: false
    .vgpr_count:     0
    .vgpr_spill_count: 0
    .wavefront_size: 32
    .workgroup_processor_mode: 1
  - .args:
      - .offset:         0
        .size:           88
        .value_kind:     by_value
    .group_segment_fixed_size: 0
    .kernarg_segment_align: 8
    .kernarg_segment_size: 88
    .language:       OpenCL C
    .language_version:
      - 2
      - 0
    .max_flat_workgroup_size: 256
    .name:           _ZN7rocprim17ROCPRIM_400000_NS6detail17trampoline_kernelINS0_14default_configENS1_36segmented_radix_sort_config_selectorIblEEZNS1_25segmented_radix_sort_implIS3_Lb0EPKbPbPKlPlN2at6native12_GLOBAL__N_18offset_tEEE10hipError_tPvRmT1_PNSt15iterator_traitsISK_E10value_typeET2_T3_PNSL_ISQ_E10value_typeET4_jRbjT5_SW_jjP12ihipStream_tbEUlT_E1_NS1_11comp_targetILNS1_3genE2ELNS1_11target_archE906ELNS1_3gpuE6ELNS1_3repE0EEENS1_59segmented_radix_sort_warp_sort_small_config_static_selectorELNS0_4arch9wavefront6targetE0EEEvSK_
    .private_segment_fixed_size: 0
    .sgpr_count:     0
    .sgpr_spill_count: 0
    .symbol:         _ZN7rocprim17ROCPRIM_400000_NS6detail17trampoline_kernelINS0_14default_configENS1_36segmented_radix_sort_config_selectorIblEEZNS1_25segmented_radix_sort_implIS3_Lb0EPKbPbPKlPlN2at6native12_GLOBAL__N_18offset_tEEE10hipError_tPvRmT1_PNSt15iterator_traitsISK_E10value_typeET2_T3_PNSL_ISQ_E10value_typeET4_jRbjT5_SW_jjP12ihipStream_tbEUlT_E1_NS1_11comp_targetILNS1_3genE2ELNS1_11target_archE906ELNS1_3gpuE6ELNS1_3repE0EEENS1_59segmented_radix_sort_warp_sort_small_config_static_selectorELNS0_4arch9wavefront6targetE0EEEvSK_.kd
    .uniform_work_group_size: 1
    .uses_dynamic_stack: false
    .vgpr_count:     0
    .vgpr_spill_count: 0
    .wavefront_size: 32
    .workgroup_processor_mode: 1
  - .args:
      - .offset:         0
        .size:           88
        .value_kind:     by_value
      - .offset:         88
        .size:           4
        .value_kind:     hidden_block_count_x
      - .offset:         92
        .size:           4
        .value_kind:     hidden_block_count_y
      - .offset:         96
        .size:           4
        .value_kind:     hidden_block_count_z
      - .offset:         100
        .size:           2
        .value_kind:     hidden_group_size_x
      - .offset:         102
        .size:           2
        .value_kind:     hidden_group_size_y
      - .offset:         104
        .size:           2
        .value_kind:     hidden_group_size_z
      - .offset:         106
        .size:           2
        .value_kind:     hidden_remainder_x
      - .offset:         108
        .size:           2
        .value_kind:     hidden_remainder_y
      - .offset:         110
        .size:           2
        .value_kind:     hidden_remainder_z
      - .offset:         128
        .size:           8
        .value_kind:     hidden_global_offset_x
      - .offset:         136
        .size:           8
        .value_kind:     hidden_global_offset_y
      - .offset:         144
        .size:           8
        .value_kind:     hidden_global_offset_z
      - .offset:         152
        .size:           2
        .value_kind:     hidden_grid_dims
    .group_segment_fixed_size: 9216
    .kernarg_segment_align: 8
    .kernarg_segment_size: 344
    .language:       OpenCL C
    .language_version:
      - 2
      - 0
    .max_flat_workgroup_size: 256
    .name:           _ZN7rocprim17ROCPRIM_400000_NS6detail17trampoline_kernelINS0_14default_configENS1_36segmented_radix_sort_config_selectorIblEEZNS1_25segmented_radix_sort_implIS3_Lb0EPKbPbPKlPlN2at6native12_GLOBAL__N_18offset_tEEE10hipError_tPvRmT1_PNSt15iterator_traitsISK_E10value_typeET2_T3_PNSL_ISQ_E10value_typeET4_jRbjT5_SW_jjP12ihipStream_tbEUlT_E1_NS1_11comp_targetILNS1_3genE10ELNS1_11target_archE1201ELNS1_3gpuE5ELNS1_3repE0EEENS1_59segmented_radix_sort_warp_sort_small_config_static_selectorELNS0_4arch9wavefront6targetE0EEEvSK_
    .private_segment_fixed_size: 12
    .sgpr_count:     35
    .sgpr_spill_count: 0
    .symbol:         _ZN7rocprim17ROCPRIM_400000_NS6detail17trampoline_kernelINS0_14default_configENS1_36segmented_radix_sort_config_selectorIblEEZNS1_25segmented_radix_sort_implIS3_Lb0EPKbPbPKlPlN2at6native12_GLOBAL__N_18offset_tEEE10hipError_tPvRmT1_PNSt15iterator_traitsISK_E10value_typeET2_T3_PNSL_ISQ_E10value_typeET4_jRbjT5_SW_jjP12ihipStream_tbEUlT_E1_NS1_11comp_targetILNS1_3genE10ELNS1_11target_archE1201ELNS1_3gpuE5ELNS1_3repE0EEENS1_59segmented_radix_sort_warp_sort_small_config_static_selectorELNS0_4arch9wavefront6targetE0EEEvSK_.kd
    .uniform_work_group_size: 1
    .uses_dynamic_stack: false
    .vgpr_count:     54
    .vgpr_spill_count: 0
    .wavefront_size: 32
    .workgroup_processor_mode: 1
  - .args:
      - .offset:         0
        .size:           88
        .value_kind:     by_value
    .group_segment_fixed_size: 0
    .kernarg_segment_align: 8
    .kernarg_segment_size: 88
    .language:       OpenCL C
    .language_version:
      - 2
      - 0
    .max_flat_workgroup_size: 256
    .name:           _ZN7rocprim17ROCPRIM_400000_NS6detail17trampoline_kernelINS0_14default_configENS1_36segmented_radix_sort_config_selectorIblEEZNS1_25segmented_radix_sort_implIS3_Lb0EPKbPbPKlPlN2at6native12_GLOBAL__N_18offset_tEEE10hipError_tPvRmT1_PNSt15iterator_traitsISK_E10value_typeET2_T3_PNSL_ISQ_E10value_typeET4_jRbjT5_SW_jjP12ihipStream_tbEUlT_E1_NS1_11comp_targetILNS1_3genE10ELNS1_11target_archE1200ELNS1_3gpuE4ELNS1_3repE0EEENS1_59segmented_radix_sort_warp_sort_small_config_static_selectorELNS0_4arch9wavefront6targetE0EEEvSK_
    .private_segment_fixed_size: 0
    .sgpr_count:     0
    .sgpr_spill_count: 0
    .symbol:         _ZN7rocprim17ROCPRIM_400000_NS6detail17trampoline_kernelINS0_14default_configENS1_36segmented_radix_sort_config_selectorIblEEZNS1_25segmented_radix_sort_implIS3_Lb0EPKbPbPKlPlN2at6native12_GLOBAL__N_18offset_tEEE10hipError_tPvRmT1_PNSt15iterator_traitsISK_E10value_typeET2_T3_PNSL_ISQ_E10value_typeET4_jRbjT5_SW_jjP12ihipStream_tbEUlT_E1_NS1_11comp_targetILNS1_3genE10ELNS1_11target_archE1200ELNS1_3gpuE4ELNS1_3repE0EEENS1_59segmented_radix_sort_warp_sort_small_config_static_selectorELNS0_4arch9wavefront6targetE0EEEvSK_.kd
    .uniform_work_group_size: 1
    .uses_dynamic_stack: false
    .vgpr_count:     0
    .vgpr_spill_count: 0
    .wavefront_size: 32
    .workgroup_processor_mode: 1
  - .args:
      - .offset:         0
        .size:           88
        .value_kind:     by_value
    .group_segment_fixed_size: 0
    .kernarg_segment_align: 8
    .kernarg_segment_size: 88
    .language:       OpenCL C
    .language_version:
      - 2
      - 0
    .max_flat_workgroup_size: 256
    .name:           _ZN7rocprim17ROCPRIM_400000_NS6detail17trampoline_kernelINS0_14default_configENS1_36segmented_radix_sort_config_selectorIblEEZNS1_25segmented_radix_sort_implIS3_Lb0EPKbPbPKlPlN2at6native12_GLOBAL__N_18offset_tEEE10hipError_tPvRmT1_PNSt15iterator_traitsISK_E10value_typeET2_T3_PNSL_ISQ_E10value_typeET4_jRbjT5_SW_jjP12ihipStream_tbEUlT_E1_NS1_11comp_targetILNS1_3genE9ELNS1_11target_archE1100ELNS1_3gpuE3ELNS1_3repE0EEENS1_59segmented_radix_sort_warp_sort_small_config_static_selectorELNS0_4arch9wavefront6targetE0EEEvSK_
    .private_segment_fixed_size: 0
    .sgpr_count:     0
    .sgpr_spill_count: 0
    .symbol:         _ZN7rocprim17ROCPRIM_400000_NS6detail17trampoline_kernelINS0_14default_configENS1_36segmented_radix_sort_config_selectorIblEEZNS1_25segmented_radix_sort_implIS3_Lb0EPKbPbPKlPlN2at6native12_GLOBAL__N_18offset_tEEE10hipError_tPvRmT1_PNSt15iterator_traitsISK_E10value_typeET2_T3_PNSL_ISQ_E10value_typeET4_jRbjT5_SW_jjP12ihipStream_tbEUlT_E1_NS1_11comp_targetILNS1_3genE9ELNS1_11target_archE1100ELNS1_3gpuE3ELNS1_3repE0EEENS1_59segmented_radix_sort_warp_sort_small_config_static_selectorELNS0_4arch9wavefront6targetE0EEEvSK_.kd
    .uniform_work_group_size: 1
    .uses_dynamic_stack: false
    .vgpr_count:     0
    .vgpr_spill_count: 0
    .wavefront_size: 32
    .workgroup_processor_mode: 1
  - .args:
      - .offset:         0
        .size:           88
        .value_kind:     by_value
    .group_segment_fixed_size: 0
    .kernarg_segment_align: 8
    .kernarg_segment_size: 88
    .language:       OpenCL C
    .language_version:
      - 2
      - 0
    .max_flat_workgroup_size: 256
    .name:           _ZN7rocprim17ROCPRIM_400000_NS6detail17trampoline_kernelINS0_14default_configENS1_36segmented_radix_sort_config_selectorIblEEZNS1_25segmented_radix_sort_implIS3_Lb0EPKbPbPKlPlN2at6native12_GLOBAL__N_18offset_tEEE10hipError_tPvRmT1_PNSt15iterator_traitsISK_E10value_typeET2_T3_PNSL_ISQ_E10value_typeET4_jRbjT5_SW_jjP12ihipStream_tbEUlT_E1_NS1_11comp_targetILNS1_3genE8ELNS1_11target_archE1030ELNS1_3gpuE2ELNS1_3repE0EEENS1_59segmented_radix_sort_warp_sort_small_config_static_selectorELNS0_4arch9wavefront6targetE0EEEvSK_
    .private_segment_fixed_size: 0
    .sgpr_count:     0
    .sgpr_spill_count: 0
    .symbol:         _ZN7rocprim17ROCPRIM_400000_NS6detail17trampoline_kernelINS0_14default_configENS1_36segmented_radix_sort_config_selectorIblEEZNS1_25segmented_radix_sort_implIS3_Lb0EPKbPbPKlPlN2at6native12_GLOBAL__N_18offset_tEEE10hipError_tPvRmT1_PNSt15iterator_traitsISK_E10value_typeET2_T3_PNSL_ISQ_E10value_typeET4_jRbjT5_SW_jjP12ihipStream_tbEUlT_E1_NS1_11comp_targetILNS1_3genE8ELNS1_11target_archE1030ELNS1_3gpuE2ELNS1_3repE0EEENS1_59segmented_radix_sort_warp_sort_small_config_static_selectorELNS0_4arch9wavefront6targetE0EEEvSK_.kd
    .uniform_work_group_size: 1
    .uses_dynamic_stack: false
    .vgpr_count:     0
    .vgpr_spill_count: 0
    .wavefront_size: 32
    .workgroup_processor_mode: 1
  - .args:
      - .offset:         0
        .size:           80
        .value_kind:     by_value
    .group_segment_fixed_size: 0
    .kernarg_segment_align: 8
    .kernarg_segment_size: 80
    .language:       OpenCL C
    .language_version:
      - 2
      - 0
    .max_flat_workgroup_size: 256
    .name:           _ZN7rocprim17ROCPRIM_400000_NS6detail17trampoline_kernelINS0_14default_configENS1_36segmented_radix_sort_config_selectorIblEEZNS1_25segmented_radix_sort_implIS3_Lb0EPKbPbPKlPlN2at6native12_GLOBAL__N_18offset_tEEE10hipError_tPvRmT1_PNSt15iterator_traitsISK_E10value_typeET2_T3_PNSL_ISQ_E10value_typeET4_jRbjT5_SW_jjP12ihipStream_tbEUlT_E2_NS1_11comp_targetILNS1_3genE0ELNS1_11target_archE4294967295ELNS1_3gpuE0ELNS1_3repE0EEENS1_30default_config_static_selectorELNS0_4arch9wavefront6targetE0EEEvSK_
    .private_segment_fixed_size: 0
    .sgpr_count:     0
    .sgpr_spill_count: 0
    .symbol:         _ZN7rocprim17ROCPRIM_400000_NS6detail17trampoline_kernelINS0_14default_configENS1_36segmented_radix_sort_config_selectorIblEEZNS1_25segmented_radix_sort_implIS3_Lb0EPKbPbPKlPlN2at6native12_GLOBAL__N_18offset_tEEE10hipError_tPvRmT1_PNSt15iterator_traitsISK_E10value_typeET2_T3_PNSL_ISQ_E10value_typeET4_jRbjT5_SW_jjP12ihipStream_tbEUlT_E2_NS1_11comp_targetILNS1_3genE0ELNS1_11target_archE4294967295ELNS1_3gpuE0ELNS1_3repE0EEENS1_30default_config_static_selectorELNS0_4arch9wavefront6targetE0EEEvSK_.kd
    .uniform_work_group_size: 1
    .uses_dynamic_stack: false
    .vgpr_count:     0
    .vgpr_spill_count: 0
    .wavefront_size: 32
    .workgroup_processor_mode: 1
  - .args:
      - .offset:         0
        .size:           80
        .value_kind:     by_value
    .group_segment_fixed_size: 0
    .kernarg_segment_align: 8
    .kernarg_segment_size: 80
    .language:       OpenCL C
    .language_version:
      - 2
      - 0
    .max_flat_workgroup_size: 256
    .name:           _ZN7rocprim17ROCPRIM_400000_NS6detail17trampoline_kernelINS0_14default_configENS1_36segmented_radix_sort_config_selectorIblEEZNS1_25segmented_radix_sort_implIS3_Lb0EPKbPbPKlPlN2at6native12_GLOBAL__N_18offset_tEEE10hipError_tPvRmT1_PNSt15iterator_traitsISK_E10value_typeET2_T3_PNSL_ISQ_E10value_typeET4_jRbjT5_SW_jjP12ihipStream_tbEUlT_E2_NS1_11comp_targetILNS1_3genE5ELNS1_11target_archE942ELNS1_3gpuE9ELNS1_3repE0EEENS1_30default_config_static_selectorELNS0_4arch9wavefront6targetE0EEEvSK_
    .private_segment_fixed_size: 0
    .sgpr_count:     0
    .sgpr_spill_count: 0
    .symbol:         _ZN7rocprim17ROCPRIM_400000_NS6detail17trampoline_kernelINS0_14default_configENS1_36segmented_radix_sort_config_selectorIblEEZNS1_25segmented_radix_sort_implIS3_Lb0EPKbPbPKlPlN2at6native12_GLOBAL__N_18offset_tEEE10hipError_tPvRmT1_PNSt15iterator_traitsISK_E10value_typeET2_T3_PNSL_ISQ_E10value_typeET4_jRbjT5_SW_jjP12ihipStream_tbEUlT_E2_NS1_11comp_targetILNS1_3genE5ELNS1_11target_archE942ELNS1_3gpuE9ELNS1_3repE0EEENS1_30default_config_static_selectorELNS0_4arch9wavefront6targetE0EEEvSK_.kd
    .uniform_work_group_size: 1
    .uses_dynamic_stack: false
    .vgpr_count:     0
    .vgpr_spill_count: 0
    .wavefront_size: 32
    .workgroup_processor_mode: 1
  - .args:
      - .offset:         0
        .size:           80
        .value_kind:     by_value
    .group_segment_fixed_size: 0
    .kernarg_segment_align: 8
    .kernarg_segment_size: 80
    .language:       OpenCL C
    .language_version:
      - 2
      - 0
    .max_flat_workgroup_size: 256
    .name:           _ZN7rocprim17ROCPRIM_400000_NS6detail17trampoline_kernelINS0_14default_configENS1_36segmented_radix_sort_config_selectorIblEEZNS1_25segmented_radix_sort_implIS3_Lb0EPKbPbPKlPlN2at6native12_GLOBAL__N_18offset_tEEE10hipError_tPvRmT1_PNSt15iterator_traitsISK_E10value_typeET2_T3_PNSL_ISQ_E10value_typeET4_jRbjT5_SW_jjP12ihipStream_tbEUlT_E2_NS1_11comp_targetILNS1_3genE4ELNS1_11target_archE910ELNS1_3gpuE8ELNS1_3repE0EEENS1_30default_config_static_selectorELNS0_4arch9wavefront6targetE0EEEvSK_
    .private_segment_fixed_size: 0
    .sgpr_count:     0
    .sgpr_spill_count: 0
    .symbol:         _ZN7rocprim17ROCPRIM_400000_NS6detail17trampoline_kernelINS0_14default_configENS1_36segmented_radix_sort_config_selectorIblEEZNS1_25segmented_radix_sort_implIS3_Lb0EPKbPbPKlPlN2at6native12_GLOBAL__N_18offset_tEEE10hipError_tPvRmT1_PNSt15iterator_traitsISK_E10value_typeET2_T3_PNSL_ISQ_E10value_typeET4_jRbjT5_SW_jjP12ihipStream_tbEUlT_E2_NS1_11comp_targetILNS1_3genE4ELNS1_11target_archE910ELNS1_3gpuE8ELNS1_3repE0EEENS1_30default_config_static_selectorELNS0_4arch9wavefront6targetE0EEEvSK_.kd
    .uniform_work_group_size: 1
    .uses_dynamic_stack: false
    .vgpr_count:     0
    .vgpr_spill_count: 0
    .wavefront_size: 32
    .workgroup_processor_mode: 1
  - .args:
      - .offset:         0
        .size:           80
        .value_kind:     by_value
    .group_segment_fixed_size: 0
    .kernarg_segment_align: 8
    .kernarg_segment_size: 80
    .language:       OpenCL C
    .language_version:
      - 2
      - 0
    .max_flat_workgroup_size: 256
    .name:           _ZN7rocprim17ROCPRIM_400000_NS6detail17trampoline_kernelINS0_14default_configENS1_36segmented_radix_sort_config_selectorIblEEZNS1_25segmented_radix_sort_implIS3_Lb0EPKbPbPKlPlN2at6native12_GLOBAL__N_18offset_tEEE10hipError_tPvRmT1_PNSt15iterator_traitsISK_E10value_typeET2_T3_PNSL_ISQ_E10value_typeET4_jRbjT5_SW_jjP12ihipStream_tbEUlT_E2_NS1_11comp_targetILNS1_3genE3ELNS1_11target_archE908ELNS1_3gpuE7ELNS1_3repE0EEENS1_30default_config_static_selectorELNS0_4arch9wavefront6targetE0EEEvSK_
    .private_segment_fixed_size: 0
    .sgpr_count:     0
    .sgpr_spill_count: 0
    .symbol:         _ZN7rocprim17ROCPRIM_400000_NS6detail17trampoline_kernelINS0_14default_configENS1_36segmented_radix_sort_config_selectorIblEEZNS1_25segmented_radix_sort_implIS3_Lb0EPKbPbPKlPlN2at6native12_GLOBAL__N_18offset_tEEE10hipError_tPvRmT1_PNSt15iterator_traitsISK_E10value_typeET2_T3_PNSL_ISQ_E10value_typeET4_jRbjT5_SW_jjP12ihipStream_tbEUlT_E2_NS1_11comp_targetILNS1_3genE3ELNS1_11target_archE908ELNS1_3gpuE7ELNS1_3repE0EEENS1_30default_config_static_selectorELNS0_4arch9wavefront6targetE0EEEvSK_.kd
    .uniform_work_group_size: 1
    .uses_dynamic_stack: false
    .vgpr_count:     0
    .vgpr_spill_count: 0
    .wavefront_size: 32
    .workgroup_processor_mode: 1
  - .args:
      - .offset:         0
        .size:           80
        .value_kind:     by_value
    .group_segment_fixed_size: 0
    .kernarg_segment_align: 8
    .kernarg_segment_size: 80
    .language:       OpenCL C
    .language_version:
      - 2
      - 0
    .max_flat_workgroup_size: 256
    .name:           _ZN7rocprim17ROCPRIM_400000_NS6detail17trampoline_kernelINS0_14default_configENS1_36segmented_radix_sort_config_selectorIblEEZNS1_25segmented_radix_sort_implIS3_Lb0EPKbPbPKlPlN2at6native12_GLOBAL__N_18offset_tEEE10hipError_tPvRmT1_PNSt15iterator_traitsISK_E10value_typeET2_T3_PNSL_ISQ_E10value_typeET4_jRbjT5_SW_jjP12ihipStream_tbEUlT_E2_NS1_11comp_targetILNS1_3genE2ELNS1_11target_archE906ELNS1_3gpuE6ELNS1_3repE0EEENS1_30default_config_static_selectorELNS0_4arch9wavefront6targetE0EEEvSK_
    .private_segment_fixed_size: 0
    .sgpr_count:     0
    .sgpr_spill_count: 0
    .symbol:         _ZN7rocprim17ROCPRIM_400000_NS6detail17trampoline_kernelINS0_14default_configENS1_36segmented_radix_sort_config_selectorIblEEZNS1_25segmented_radix_sort_implIS3_Lb0EPKbPbPKlPlN2at6native12_GLOBAL__N_18offset_tEEE10hipError_tPvRmT1_PNSt15iterator_traitsISK_E10value_typeET2_T3_PNSL_ISQ_E10value_typeET4_jRbjT5_SW_jjP12ihipStream_tbEUlT_E2_NS1_11comp_targetILNS1_3genE2ELNS1_11target_archE906ELNS1_3gpuE6ELNS1_3repE0EEENS1_30default_config_static_selectorELNS0_4arch9wavefront6targetE0EEEvSK_.kd
    .uniform_work_group_size: 1
    .uses_dynamic_stack: false
    .vgpr_count:     0
    .vgpr_spill_count: 0
    .wavefront_size: 32
    .workgroup_processor_mode: 1
  - .args:
      - .offset:         0
        .size:           80
        .value_kind:     by_value
      - .offset:         80
        .size:           4
        .value_kind:     hidden_block_count_x
      - .offset:         84
        .size:           4
        .value_kind:     hidden_block_count_y
      - .offset:         88
        .size:           4
        .value_kind:     hidden_block_count_z
      - .offset:         92
        .size:           2
        .value_kind:     hidden_group_size_x
      - .offset:         94
        .size:           2
        .value_kind:     hidden_group_size_y
      - .offset:         96
        .size:           2
        .value_kind:     hidden_group_size_z
      - .offset:         98
        .size:           2
        .value_kind:     hidden_remainder_x
      - .offset:         100
        .size:           2
        .value_kind:     hidden_remainder_y
      - .offset:         102
        .size:           2
        .value_kind:     hidden_remainder_z
      - .offset:         120
        .size:           8
        .value_kind:     hidden_global_offset_x
      - .offset:         128
        .size:           8
        .value_kind:     hidden_global_offset_y
      - .offset:         136
        .size:           8
        .value_kind:     hidden_global_offset_z
      - .offset:         144
        .size:           2
        .value_kind:     hidden_grid_dims
    .group_segment_fixed_size: 17440
    .kernarg_segment_align: 8
    .kernarg_segment_size: 336
    .language:       OpenCL C
    .language_version:
      - 2
      - 0
    .max_flat_workgroup_size: 256
    .name:           _ZN7rocprim17ROCPRIM_400000_NS6detail17trampoline_kernelINS0_14default_configENS1_36segmented_radix_sort_config_selectorIblEEZNS1_25segmented_radix_sort_implIS3_Lb0EPKbPbPKlPlN2at6native12_GLOBAL__N_18offset_tEEE10hipError_tPvRmT1_PNSt15iterator_traitsISK_E10value_typeET2_T3_PNSL_ISQ_E10value_typeET4_jRbjT5_SW_jjP12ihipStream_tbEUlT_E2_NS1_11comp_targetILNS1_3genE10ELNS1_11target_archE1201ELNS1_3gpuE5ELNS1_3repE0EEENS1_30default_config_static_selectorELNS0_4arch9wavefront6targetE0EEEvSK_
    .private_segment_fixed_size: 12
    .sgpr_count:     52
    .sgpr_spill_count: 0
    .symbol:         _ZN7rocprim17ROCPRIM_400000_NS6detail17trampoline_kernelINS0_14default_configENS1_36segmented_radix_sort_config_selectorIblEEZNS1_25segmented_radix_sort_implIS3_Lb0EPKbPbPKlPlN2at6native12_GLOBAL__N_18offset_tEEE10hipError_tPvRmT1_PNSt15iterator_traitsISK_E10value_typeET2_T3_PNSL_ISQ_E10value_typeET4_jRbjT5_SW_jjP12ihipStream_tbEUlT_E2_NS1_11comp_targetILNS1_3genE10ELNS1_11target_archE1201ELNS1_3gpuE5ELNS1_3repE0EEENS1_30default_config_static_selectorELNS0_4arch9wavefront6targetE0EEEvSK_.kd
    .uniform_work_group_size: 1
    .uses_dynamic_stack: false
    .vgpr_count:     197
    .vgpr_spill_count: 0
    .wavefront_size: 32
    .workgroup_processor_mode: 1
  - .args:
      - .offset:         0
        .size:           80
        .value_kind:     by_value
    .group_segment_fixed_size: 0
    .kernarg_segment_align: 8
    .kernarg_segment_size: 80
    .language:       OpenCL C
    .language_version:
      - 2
      - 0
    .max_flat_workgroup_size: 128
    .name:           _ZN7rocprim17ROCPRIM_400000_NS6detail17trampoline_kernelINS0_14default_configENS1_36segmented_radix_sort_config_selectorIblEEZNS1_25segmented_radix_sort_implIS3_Lb0EPKbPbPKlPlN2at6native12_GLOBAL__N_18offset_tEEE10hipError_tPvRmT1_PNSt15iterator_traitsISK_E10value_typeET2_T3_PNSL_ISQ_E10value_typeET4_jRbjT5_SW_jjP12ihipStream_tbEUlT_E2_NS1_11comp_targetILNS1_3genE10ELNS1_11target_archE1200ELNS1_3gpuE4ELNS1_3repE0EEENS1_30default_config_static_selectorELNS0_4arch9wavefront6targetE0EEEvSK_
    .private_segment_fixed_size: 0
    .sgpr_count:     0
    .sgpr_spill_count: 0
    .symbol:         _ZN7rocprim17ROCPRIM_400000_NS6detail17trampoline_kernelINS0_14default_configENS1_36segmented_radix_sort_config_selectorIblEEZNS1_25segmented_radix_sort_implIS3_Lb0EPKbPbPKlPlN2at6native12_GLOBAL__N_18offset_tEEE10hipError_tPvRmT1_PNSt15iterator_traitsISK_E10value_typeET2_T3_PNSL_ISQ_E10value_typeET4_jRbjT5_SW_jjP12ihipStream_tbEUlT_E2_NS1_11comp_targetILNS1_3genE10ELNS1_11target_archE1200ELNS1_3gpuE4ELNS1_3repE0EEENS1_30default_config_static_selectorELNS0_4arch9wavefront6targetE0EEEvSK_.kd
    .uniform_work_group_size: 1
    .uses_dynamic_stack: false
    .vgpr_count:     0
    .vgpr_spill_count: 0
    .wavefront_size: 32
    .workgroup_processor_mode: 1
  - .args:
      - .offset:         0
        .size:           80
        .value_kind:     by_value
    .group_segment_fixed_size: 0
    .kernarg_segment_align: 8
    .kernarg_segment_size: 80
    .language:       OpenCL C
    .language_version:
      - 2
      - 0
    .max_flat_workgroup_size: 256
    .name:           _ZN7rocprim17ROCPRIM_400000_NS6detail17trampoline_kernelINS0_14default_configENS1_36segmented_radix_sort_config_selectorIblEEZNS1_25segmented_radix_sort_implIS3_Lb0EPKbPbPKlPlN2at6native12_GLOBAL__N_18offset_tEEE10hipError_tPvRmT1_PNSt15iterator_traitsISK_E10value_typeET2_T3_PNSL_ISQ_E10value_typeET4_jRbjT5_SW_jjP12ihipStream_tbEUlT_E2_NS1_11comp_targetILNS1_3genE9ELNS1_11target_archE1100ELNS1_3gpuE3ELNS1_3repE0EEENS1_30default_config_static_selectorELNS0_4arch9wavefront6targetE0EEEvSK_
    .private_segment_fixed_size: 0
    .sgpr_count:     0
    .sgpr_spill_count: 0
    .symbol:         _ZN7rocprim17ROCPRIM_400000_NS6detail17trampoline_kernelINS0_14default_configENS1_36segmented_radix_sort_config_selectorIblEEZNS1_25segmented_radix_sort_implIS3_Lb0EPKbPbPKlPlN2at6native12_GLOBAL__N_18offset_tEEE10hipError_tPvRmT1_PNSt15iterator_traitsISK_E10value_typeET2_T3_PNSL_ISQ_E10value_typeET4_jRbjT5_SW_jjP12ihipStream_tbEUlT_E2_NS1_11comp_targetILNS1_3genE9ELNS1_11target_archE1100ELNS1_3gpuE3ELNS1_3repE0EEENS1_30default_config_static_selectorELNS0_4arch9wavefront6targetE0EEEvSK_.kd
    .uniform_work_group_size: 1
    .uses_dynamic_stack: false
    .vgpr_count:     0
    .vgpr_spill_count: 0
    .wavefront_size: 32
    .workgroup_processor_mode: 1
  - .args:
      - .offset:         0
        .size:           80
        .value_kind:     by_value
    .group_segment_fixed_size: 0
    .kernarg_segment_align: 8
    .kernarg_segment_size: 80
    .language:       OpenCL C
    .language_version:
      - 2
      - 0
    .max_flat_workgroup_size: 256
    .name:           _ZN7rocprim17ROCPRIM_400000_NS6detail17trampoline_kernelINS0_14default_configENS1_36segmented_radix_sort_config_selectorIblEEZNS1_25segmented_radix_sort_implIS3_Lb0EPKbPbPKlPlN2at6native12_GLOBAL__N_18offset_tEEE10hipError_tPvRmT1_PNSt15iterator_traitsISK_E10value_typeET2_T3_PNSL_ISQ_E10value_typeET4_jRbjT5_SW_jjP12ihipStream_tbEUlT_E2_NS1_11comp_targetILNS1_3genE8ELNS1_11target_archE1030ELNS1_3gpuE2ELNS1_3repE0EEENS1_30default_config_static_selectorELNS0_4arch9wavefront6targetE0EEEvSK_
    .private_segment_fixed_size: 0
    .sgpr_count:     0
    .sgpr_spill_count: 0
    .symbol:         _ZN7rocprim17ROCPRIM_400000_NS6detail17trampoline_kernelINS0_14default_configENS1_36segmented_radix_sort_config_selectorIblEEZNS1_25segmented_radix_sort_implIS3_Lb0EPKbPbPKlPlN2at6native12_GLOBAL__N_18offset_tEEE10hipError_tPvRmT1_PNSt15iterator_traitsISK_E10value_typeET2_T3_PNSL_ISQ_E10value_typeET4_jRbjT5_SW_jjP12ihipStream_tbEUlT_E2_NS1_11comp_targetILNS1_3genE8ELNS1_11target_archE1030ELNS1_3gpuE2ELNS1_3repE0EEENS1_30default_config_static_selectorELNS0_4arch9wavefront6targetE0EEEvSK_.kd
    .uniform_work_group_size: 1
    .uses_dynamic_stack: false
    .vgpr_count:     0
    .vgpr_spill_count: 0
    .wavefront_size: 32
    .workgroup_processor_mode: 1
  - .args:
      - .address_space:  global
        .offset:         0
        .size:           8
        .value_kind:     global_buffer
      - .address_space:  global
        .offset:         8
        .size:           8
        .value_kind:     global_buffer
      - .address_space:  global
        .offset:         16
        .size:           8
        .value_kind:     global_buffer
      - .address_space:  global
        .offset:         24
        .size:           8
        .value_kind:     global_buffer
      - .offset:         32
        .size:           4
        .value_kind:     by_value
      - .offset:         36
        .size:           4
        .value_kind:     by_value
      - .offset:         40
        .size:           4
        .value_kind:     hidden_block_count_x
      - .offset:         44
        .size:           4
        .value_kind:     hidden_block_count_y
      - .offset:         48
        .size:           4
        .value_kind:     hidden_block_count_z
      - .offset:         52
        .size:           2
        .value_kind:     hidden_group_size_x
      - .offset:         54
        .size:           2
        .value_kind:     hidden_group_size_y
      - .offset:         56
        .size:           2
        .value_kind:     hidden_group_size_z
      - .offset:         58
        .size:           2
        .value_kind:     hidden_remainder_x
      - .offset:         60
        .size:           2
        .value_kind:     hidden_remainder_y
      - .offset:         62
        .size:           2
        .value_kind:     hidden_remainder_z
      - .offset:         80
        .size:           8
        .value_kind:     hidden_global_offset_x
      - .offset:         88
        .size:           8
        .value_kind:     hidden_global_offset_y
      - .offset:         96
        .size:           8
        .value_kind:     hidden_global_offset_z
      - .offset:         104
        .size:           2
        .value_kind:     hidden_grid_dims
    .group_segment_fixed_size: 0
    .kernarg_segment_align: 8
    .kernarg_segment_size: 296
    .language:       OpenCL C
    .language_version:
      - 2
      - 0
    .max_flat_workgroup_size: 1024
    .name:           _ZN2at6native12_GLOBAL__N_123sort_postprocess_kernelIN3c104HalfEEEvPKT_PS5_PlPK15HIP_vector_typeIiLj2EEii
    .private_segment_fixed_size: 0
    .sgpr_count:     21
    .sgpr_spill_count: 0
    .symbol:         _ZN2at6native12_GLOBAL__N_123sort_postprocess_kernelIN3c104HalfEEEvPKT_PS5_PlPK15HIP_vector_typeIiLj2EEii.kd
    .uniform_work_group_size: 1
    .uses_dynamic_stack: false
    .vgpr_count:     16
    .vgpr_spill_count: 0
    .wavefront_size: 32
    .workgroup_processor_mode: 1
  - .args:
      - .offset:         0
        .size:           176
        .value_kind:     by_value
    .group_segment_fixed_size: 0
    .kernarg_segment_align: 8
    .kernarg_segment_size: 176
    .language:       OpenCL C
    .language_version:
      - 2
      - 0
    .max_flat_workgroup_size: 256
    .name:           _ZN7rocprim17ROCPRIM_400000_NS6detail17trampoline_kernelINS0_13select_configILj256ELj13ELNS0_17block_load_methodE3ELS4_3ELS4_3ELNS0_20block_scan_algorithmE0ELj4294967295EEENS1_25partition_config_selectorILNS1_17partition_subalgoE4EjNS0_10empty_typeEbEEZZNS1_14partition_implILS8_4ELb0ES6_15HIP_vector_typeIjLj2EENS0_17counting_iteratorIjlEEPS9_SG_NS0_5tupleIJPjSI_NS0_16reverse_iteratorISI_EEEEENSH_IJSG_SG_SG_EEES9_SI_JZNS1_25segmented_radix_sort_implINS0_14default_configELb1EPK6__halfPSP_PKlPlN2at6native12_GLOBAL__N_18offset_tEEE10hipError_tPvRmT1_PNSt15iterator_traitsIS13_E10value_typeET2_T3_PNS14_IS19_E10value_typeET4_jRbjT5_S1F_jjP12ihipStream_tbEUljE_ZNSN_ISO_Lb1ESR_SS_SU_SV_SZ_EES10_S11_S12_S13_S17_S18_S19_S1C_S1D_jS1E_jS1F_S1F_jjS1H_bEUljE0_EEES10_S11_S12_S19_S1D_S1F_T6_T7_T9_mT8_S1H_bDpT10_ENKUlT_T0_E_clISt17integral_constantIbLb0EES1V_EEDaS1Q_S1R_EUlS1Q_E_NS1_11comp_targetILNS1_3genE0ELNS1_11target_archE4294967295ELNS1_3gpuE0ELNS1_3repE0EEENS1_30default_config_static_selectorELNS0_4arch9wavefront6targetE0EEEvS13_
    .private_segment_fixed_size: 0
    .sgpr_count:     0
    .sgpr_spill_count: 0
    .symbol:         _ZN7rocprim17ROCPRIM_400000_NS6detail17trampoline_kernelINS0_13select_configILj256ELj13ELNS0_17block_load_methodE3ELS4_3ELS4_3ELNS0_20block_scan_algorithmE0ELj4294967295EEENS1_25partition_config_selectorILNS1_17partition_subalgoE4EjNS0_10empty_typeEbEEZZNS1_14partition_implILS8_4ELb0ES6_15HIP_vector_typeIjLj2EENS0_17counting_iteratorIjlEEPS9_SG_NS0_5tupleIJPjSI_NS0_16reverse_iteratorISI_EEEEENSH_IJSG_SG_SG_EEES9_SI_JZNS1_25segmented_radix_sort_implINS0_14default_configELb1EPK6__halfPSP_PKlPlN2at6native12_GLOBAL__N_18offset_tEEE10hipError_tPvRmT1_PNSt15iterator_traitsIS13_E10value_typeET2_T3_PNS14_IS19_E10value_typeET4_jRbjT5_S1F_jjP12ihipStream_tbEUljE_ZNSN_ISO_Lb1ESR_SS_SU_SV_SZ_EES10_S11_S12_S13_S17_S18_S19_S1C_S1D_jS1E_jS1F_S1F_jjS1H_bEUljE0_EEES10_S11_S12_S19_S1D_S1F_T6_T7_T9_mT8_S1H_bDpT10_ENKUlT_T0_E_clISt17integral_constantIbLb0EES1V_EEDaS1Q_S1R_EUlS1Q_E_NS1_11comp_targetILNS1_3genE0ELNS1_11target_archE4294967295ELNS1_3gpuE0ELNS1_3repE0EEENS1_30default_config_static_selectorELNS0_4arch9wavefront6targetE0EEEvS13_.kd
    .uniform_work_group_size: 1
    .uses_dynamic_stack: false
    .vgpr_count:     0
    .vgpr_spill_count: 0
    .wavefront_size: 32
    .workgroup_processor_mode: 1
  - .args:
      - .offset:         0
        .size:           176
        .value_kind:     by_value
    .group_segment_fixed_size: 0
    .kernarg_segment_align: 8
    .kernarg_segment_size: 176
    .language:       OpenCL C
    .language_version:
      - 2
      - 0
    .max_flat_workgroup_size: 256
    .name:           _ZN7rocprim17ROCPRIM_400000_NS6detail17trampoline_kernelINS0_13select_configILj256ELj13ELNS0_17block_load_methodE3ELS4_3ELS4_3ELNS0_20block_scan_algorithmE0ELj4294967295EEENS1_25partition_config_selectorILNS1_17partition_subalgoE4EjNS0_10empty_typeEbEEZZNS1_14partition_implILS8_4ELb0ES6_15HIP_vector_typeIjLj2EENS0_17counting_iteratorIjlEEPS9_SG_NS0_5tupleIJPjSI_NS0_16reverse_iteratorISI_EEEEENSH_IJSG_SG_SG_EEES9_SI_JZNS1_25segmented_radix_sort_implINS0_14default_configELb1EPK6__halfPSP_PKlPlN2at6native12_GLOBAL__N_18offset_tEEE10hipError_tPvRmT1_PNSt15iterator_traitsIS13_E10value_typeET2_T3_PNS14_IS19_E10value_typeET4_jRbjT5_S1F_jjP12ihipStream_tbEUljE_ZNSN_ISO_Lb1ESR_SS_SU_SV_SZ_EES10_S11_S12_S13_S17_S18_S19_S1C_S1D_jS1E_jS1F_S1F_jjS1H_bEUljE0_EEES10_S11_S12_S19_S1D_S1F_T6_T7_T9_mT8_S1H_bDpT10_ENKUlT_T0_E_clISt17integral_constantIbLb0EES1V_EEDaS1Q_S1R_EUlS1Q_E_NS1_11comp_targetILNS1_3genE5ELNS1_11target_archE942ELNS1_3gpuE9ELNS1_3repE0EEENS1_30default_config_static_selectorELNS0_4arch9wavefront6targetE0EEEvS13_
    .private_segment_fixed_size: 0
    .sgpr_count:     0
    .sgpr_spill_count: 0
    .symbol:         _ZN7rocprim17ROCPRIM_400000_NS6detail17trampoline_kernelINS0_13select_configILj256ELj13ELNS0_17block_load_methodE3ELS4_3ELS4_3ELNS0_20block_scan_algorithmE0ELj4294967295EEENS1_25partition_config_selectorILNS1_17partition_subalgoE4EjNS0_10empty_typeEbEEZZNS1_14partition_implILS8_4ELb0ES6_15HIP_vector_typeIjLj2EENS0_17counting_iteratorIjlEEPS9_SG_NS0_5tupleIJPjSI_NS0_16reverse_iteratorISI_EEEEENSH_IJSG_SG_SG_EEES9_SI_JZNS1_25segmented_radix_sort_implINS0_14default_configELb1EPK6__halfPSP_PKlPlN2at6native12_GLOBAL__N_18offset_tEEE10hipError_tPvRmT1_PNSt15iterator_traitsIS13_E10value_typeET2_T3_PNS14_IS19_E10value_typeET4_jRbjT5_S1F_jjP12ihipStream_tbEUljE_ZNSN_ISO_Lb1ESR_SS_SU_SV_SZ_EES10_S11_S12_S13_S17_S18_S19_S1C_S1D_jS1E_jS1F_S1F_jjS1H_bEUljE0_EEES10_S11_S12_S19_S1D_S1F_T6_T7_T9_mT8_S1H_bDpT10_ENKUlT_T0_E_clISt17integral_constantIbLb0EES1V_EEDaS1Q_S1R_EUlS1Q_E_NS1_11comp_targetILNS1_3genE5ELNS1_11target_archE942ELNS1_3gpuE9ELNS1_3repE0EEENS1_30default_config_static_selectorELNS0_4arch9wavefront6targetE0EEEvS13_.kd
    .uniform_work_group_size: 1
    .uses_dynamic_stack: false
    .vgpr_count:     0
    .vgpr_spill_count: 0
    .wavefront_size: 32
    .workgroup_processor_mode: 1
  - .args:
      - .offset:         0
        .size:           176
        .value_kind:     by_value
    .group_segment_fixed_size: 0
    .kernarg_segment_align: 8
    .kernarg_segment_size: 176
    .language:       OpenCL C
    .language_version:
      - 2
      - 0
    .max_flat_workgroup_size: 256
    .name:           _ZN7rocprim17ROCPRIM_400000_NS6detail17trampoline_kernelINS0_13select_configILj256ELj13ELNS0_17block_load_methodE3ELS4_3ELS4_3ELNS0_20block_scan_algorithmE0ELj4294967295EEENS1_25partition_config_selectorILNS1_17partition_subalgoE4EjNS0_10empty_typeEbEEZZNS1_14partition_implILS8_4ELb0ES6_15HIP_vector_typeIjLj2EENS0_17counting_iteratorIjlEEPS9_SG_NS0_5tupleIJPjSI_NS0_16reverse_iteratorISI_EEEEENSH_IJSG_SG_SG_EEES9_SI_JZNS1_25segmented_radix_sort_implINS0_14default_configELb1EPK6__halfPSP_PKlPlN2at6native12_GLOBAL__N_18offset_tEEE10hipError_tPvRmT1_PNSt15iterator_traitsIS13_E10value_typeET2_T3_PNS14_IS19_E10value_typeET4_jRbjT5_S1F_jjP12ihipStream_tbEUljE_ZNSN_ISO_Lb1ESR_SS_SU_SV_SZ_EES10_S11_S12_S13_S17_S18_S19_S1C_S1D_jS1E_jS1F_S1F_jjS1H_bEUljE0_EEES10_S11_S12_S19_S1D_S1F_T6_T7_T9_mT8_S1H_bDpT10_ENKUlT_T0_E_clISt17integral_constantIbLb0EES1V_EEDaS1Q_S1R_EUlS1Q_E_NS1_11comp_targetILNS1_3genE4ELNS1_11target_archE910ELNS1_3gpuE8ELNS1_3repE0EEENS1_30default_config_static_selectorELNS0_4arch9wavefront6targetE0EEEvS13_
    .private_segment_fixed_size: 0
    .sgpr_count:     0
    .sgpr_spill_count: 0
    .symbol:         _ZN7rocprim17ROCPRIM_400000_NS6detail17trampoline_kernelINS0_13select_configILj256ELj13ELNS0_17block_load_methodE3ELS4_3ELS4_3ELNS0_20block_scan_algorithmE0ELj4294967295EEENS1_25partition_config_selectorILNS1_17partition_subalgoE4EjNS0_10empty_typeEbEEZZNS1_14partition_implILS8_4ELb0ES6_15HIP_vector_typeIjLj2EENS0_17counting_iteratorIjlEEPS9_SG_NS0_5tupleIJPjSI_NS0_16reverse_iteratorISI_EEEEENSH_IJSG_SG_SG_EEES9_SI_JZNS1_25segmented_radix_sort_implINS0_14default_configELb1EPK6__halfPSP_PKlPlN2at6native12_GLOBAL__N_18offset_tEEE10hipError_tPvRmT1_PNSt15iterator_traitsIS13_E10value_typeET2_T3_PNS14_IS19_E10value_typeET4_jRbjT5_S1F_jjP12ihipStream_tbEUljE_ZNSN_ISO_Lb1ESR_SS_SU_SV_SZ_EES10_S11_S12_S13_S17_S18_S19_S1C_S1D_jS1E_jS1F_S1F_jjS1H_bEUljE0_EEES10_S11_S12_S19_S1D_S1F_T6_T7_T9_mT8_S1H_bDpT10_ENKUlT_T0_E_clISt17integral_constantIbLb0EES1V_EEDaS1Q_S1R_EUlS1Q_E_NS1_11comp_targetILNS1_3genE4ELNS1_11target_archE910ELNS1_3gpuE8ELNS1_3repE0EEENS1_30default_config_static_selectorELNS0_4arch9wavefront6targetE0EEEvS13_.kd
    .uniform_work_group_size: 1
    .uses_dynamic_stack: false
    .vgpr_count:     0
    .vgpr_spill_count: 0
    .wavefront_size: 32
    .workgroup_processor_mode: 1
  - .args:
      - .offset:         0
        .size:           176
        .value_kind:     by_value
    .group_segment_fixed_size: 0
    .kernarg_segment_align: 8
    .kernarg_segment_size: 176
    .language:       OpenCL C
    .language_version:
      - 2
      - 0
    .max_flat_workgroup_size: 256
    .name:           _ZN7rocprim17ROCPRIM_400000_NS6detail17trampoline_kernelINS0_13select_configILj256ELj13ELNS0_17block_load_methodE3ELS4_3ELS4_3ELNS0_20block_scan_algorithmE0ELj4294967295EEENS1_25partition_config_selectorILNS1_17partition_subalgoE4EjNS0_10empty_typeEbEEZZNS1_14partition_implILS8_4ELb0ES6_15HIP_vector_typeIjLj2EENS0_17counting_iteratorIjlEEPS9_SG_NS0_5tupleIJPjSI_NS0_16reverse_iteratorISI_EEEEENSH_IJSG_SG_SG_EEES9_SI_JZNS1_25segmented_radix_sort_implINS0_14default_configELb1EPK6__halfPSP_PKlPlN2at6native12_GLOBAL__N_18offset_tEEE10hipError_tPvRmT1_PNSt15iterator_traitsIS13_E10value_typeET2_T3_PNS14_IS19_E10value_typeET4_jRbjT5_S1F_jjP12ihipStream_tbEUljE_ZNSN_ISO_Lb1ESR_SS_SU_SV_SZ_EES10_S11_S12_S13_S17_S18_S19_S1C_S1D_jS1E_jS1F_S1F_jjS1H_bEUljE0_EEES10_S11_S12_S19_S1D_S1F_T6_T7_T9_mT8_S1H_bDpT10_ENKUlT_T0_E_clISt17integral_constantIbLb0EES1V_EEDaS1Q_S1R_EUlS1Q_E_NS1_11comp_targetILNS1_3genE3ELNS1_11target_archE908ELNS1_3gpuE7ELNS1_3repE0EEENS1_30default_config_static_selectorELNS0_4arch9wavefront6targetE0EEEvS13_
    .private_segment_fixed_size: 0
    .sgpr_count:     0
    .sgpr_spill_count: 0
    .symbol:         _ZN7rocprim17ROCPRIM_400000_NS6detail17trampoline_kernelINS0_13select_configILj256ELj13ELNS0_17block_load_methodE3ELS4_3ELS4_3ELNS0_20block_scan_algorithmE0ELj4294967295EEENS1_25partition_config_selectorILNS1_17partition_subalgoE4EjNS0_10empty_typeEbEEZZNS1_14partition_implILS8_4ELb0ES6_15HIP_vector_typeIjLj2EENS0_17counting_iteratorIjlEEPS9_SG_NS0_5tupleIJPjSI_NS0_16reverse_iteratorISI_EEEEENSH_IJSG_SG_SG_EEES9_SI_JZNS1_25segmented_radix_sort_implINS0_14default_configELb1EPK6__halfPSP_PKlPlN2at6native12_GLOBAL__N_18offset_tEEE10hipError_tPvRmT1_PNSt15iterator_traitsIS13_E10value_typeET2_T3_PNS14_IS19_E10value_typeET4_jRbjT5_S1F_jjP12ihipStream_tbEUljE_ZNSN_ISO_Lb1ESR_SS_SU_SV_SZ_EES10_S11_S12_S13_S17_S18_S19_S1C_S1D_jS1E_jS1F_S1F_jjS1H_bEUljE0_EEES10_S11_S12_S19_S1D_S1F_T6_T7_T9_mT8_S1H_bDpT10_ENKUlT_T0_E_clISt17integral_constantIbLb0EES1V_EEDaS1Q_S1R_EUlS1Q_E_NS1_11comp_targetILNS1_3genE3ELNS1_11target_archE908ELNS1_3gpuE7ELNS1_3repE0EEENS1_30default_config_static_selectorELNS0_4arch9wavefront6targetE0EEEvS13_.kd
    .uniform_work_group_size: 1
    .uses_dynamic_stack: false
    .vgpr_count:     0
    .vgpr_spill_count: 0
    .wavefront_size: 32
    .workgroup_processor_mode: 1
  - .args:
      - .offset:         0
        .size:           176
        .value_kind:     by_value
    .group_segment_fixed_size: 0
    .kernarg_segment_align: 8
    .kernarg_segment_size: 176
    .language:       OpenCL C
    .language_version:
      - 2
      - 0
    .max_flat_workgroup_size: 256
    .name:           _ZN7rocprim17ROCPRIM_400000_NS6detail17trampoline_kernelINS0_13select_configILj256ELj13ELNS0_17block_load_methodE3ELS4_3ELS4_3ELNS0_20block_scan_algorithmE0ELj4294967295EEENS1_25partition_config_selectorILNS1_17partition_subalgoE4EjNS0_10empty_typeEbEEZZNS1_14partition_implILS8_4ELb0ES6_15HIP_vector_typeIjLj2EENS0_17counting_iteratorIjlEEPS9_SG_NS0_5tupleIJPjSI_NS0_16reverse_iteratorISI_EEEEENSH_IJSG_SG_SG_EEES9_SI_JZNS1_25segmented_radix_sort_implINS0_14default_configELb1EPK6__halfPSP_PKlPlN2at6native12_GLOBAL__N_18offset_tEEE10hipError_tPvRmT1_PNSt15iterator_traitsIS13_E10value_typeET2_T3_PNS14_IS19_E10value_typeET4_jRbjT5_S1F_jjP12ihipStream_tbEUljE_ZNSN_ISO_Lb1ESR_SS_SU_SV_SZ_EES10_S11_S12_S13_S17_S18_S19_S1C_S1D_jS1E_jS1F_S1F_jjS1H_bEUljE0_EEES10_S11_S12_S19_S1D_S1F_T6_T7_T9_mT8_S1H_bDpT10_ENKUlT_T0_E_clISt17integral_constantIbLb0EES1V_EEDaS1Q_S1R_EUlS1Q_E_NS1_11comp_targetILNS1_3genE2ELNS1_11target_archE906ELNS1_3gpuE6ELNS1_3repE0EEENS1_30default_config_static_selectorELNS0_4arch9wavefront6targetE0EEEvS13_
    .private_segment_fixed_size: 0
    .sgpr_count:     0
    .sgpr_spill_count: 0
    .symbol:         _ZN7rocprim17ROCPRIM_400000_NS6detail17trampoline_kernelINS0_13select_configILj256ELj13ELNS0_17block_load_methodE3ELS4_3ELS4_3ELNS0_20block_scan_algorithmE0ELj4294967295EEENS1_25partition_config_selectorILNS1_17partition_subalgoE4EjNS0_10empty_typeEbEEZZNS1_14partition_implILS8_4ELb0ES6_15HIP_vector_typeIjLj2EENS0_17counting_iteratorIjlEEPS9_SG_NS0_5tupleIJPjSI_NS0_16reverse_iteratorISI_EEEEENSH_IJSG_SG_SG_EEES9_SI_JZNS1_25segmented_radix_sort_implINS0_14default_configELb1EPK6__halfPSP_PKlPlN2at6native12_GLOBAL__N_18offset_tEEE10hipError_tPvRmT1_PNSt15iterator_traitsIS13_E10value_typeET2_T3_PNS14_IS19_E10value_typeET4_jRbjT5_S1F_jjP12ihipStream_tbEUljE_ZNSN_ISO_Lb1ESR_SS_SU_SV_SZ_EES10_S11_S12_S13_S17_S18_S19_S1C_S1D_jS1E_jS1F_S1F_jjS1H_bEUljE0_EEES10_S11_S12_S19_S1D_S1F_T6_T7_T9_mT8_S1H_bDpT10_ENKUlT_T0_E_clISt17integral_constantIbLb0EES1V_EEDaS1Q_S1R_EUlS1Q_E_NS1_11comp_targetILNS1_3genE2ELNS1_11target_archE906ELNS1_3gpuE6ELNS1_3repE0EEENS1_30default_config_static_selectorELNS0_4arch9wavefront6targetE0EEEvS13_.kd
    .uniform_work_group_size: 1
    .uses_dynamic_stack: false
    .vgpr_count:     0
    .vgpr_spill_count: 0
    .wavefront_size: 32
    .workgroup_processor_mode: 1
  - .args:
      - .offset:         0
        .size:           176
        .value_kind:     by_value
    .group_segment_fixed_size: 13328
    .kernarg_segment_align: 8
    .kernarg_segment_size: 176
    .language:       OpenCL C
    .language_version:
      - 2
      - 0
    .max_flat_workgroup_size: 256
    .name:           _ZN7rocprim17ROCPRIM_400000_NS6detail17trampoline_kernelINS0_13select_configILj256ELj13ELNS0_17block_load_methodE3ELS4_3ELS4_3ELNS0_20block_scan_algorithmE0ELj4294967295EEENS1_25partition_config_selectorILNS1_17partition_subalgoE4EjNS0_10empty_typeEbEEZZNS1_14partition_implILS8_4ELb0ES6_15HIP_vector_typeIjLj2EENS0_17counting_iteratorIjlEEPS9_SG_NS0_5tupleIJPjSI_NS0_16reverse_iteratorISI_EEEEENSH_IJSG_SG_SG_EEES9_SI_JZNS1_25segmented_radix_sort_implINS0_14default_configELb1EPK6__halfPSP_PKlPlN2at6native12_GLOBAL__N_18offset_tEEE10hipError_tPvRmT1_PNSt15iterator_traitsIS13_E10value_typeET2_T3_PNS14_IS19_E10value_typeET4_jRbjT5_S1F_jjP12ihipStream_tbEUljE_ZNSN_ISO_Lb1ESR_SS_SU_SV_SZ_EES10_S11_S12_S13_S17_S18_S19_S1C_S1D_jS1E_jS1F_S1F_jjS1H_bEUljE0_EEES10_S11_S12_S19_S1D_S1F_T6_T7_T9_mT8_S1H_bDpT10_ENKUlT_T0_E_clISt17integral_constantIbLb0EES1V_EEDaS1Q_S1R_EUlS1Q_E_NS1_11comp_targetILNS1_3genE10ELNS1_11target_archE1200ELNS1_3gpuE4ELNS1_3repE0EEENS1_30default_config_static_selectorELNS0_4arch9wavefront6targetE0EEEvS13_
    .private_segment_fixed_size: 0
    .sgpr_count:     60
    .sgpr_spill_count: 0
    .symbol:         _ZN7rocprim17ROCPRIM_400000_NS6detail17trampoline_kernelINS0_13select_configILj256ELj13ELNS0_17block_load_methodE3ELS4_3ELS4_3ELNS0_20block_scan_algorithmE0ELj4294967295EEENS1_25partition_config_selectorILNS1_17partition_subalgoE4EjNS0_10empty_typeEbEEZZNS1_14partition_implILS8_4ELb0ES6_15HIP_vector_typeIjLj2EENS0_17counting_iteratorIjlEEPS9_SG_NS0_5tupleIJPjSI_NS0_16reverse_iteratorISI_EEEEENSH_IJSG_SG_SG_EEES9_SI_JZNS1_25segmented_radix_sort_implINS0_14default_configELb1EPK6__halfPSP_PKlPlN2at6native12_GLOBAL__N_18offset_tEEE10hipError_tPvRmT1_PNSt15iterator_traitsIS13_E10value_typeET2_T3_PNS14_IS19_E10value_typeET4_jRbjT5_S1F_jjP12ihipStream_tbEUljE_ZNSN_ISO_Lb1ESR_SS_SU_SV_SZ_EES10_S11_S12_S13_S17_S18_S19_S1C_S1D_jS1E_jS1F_S1F_jjS1H_bEUljE0_EEES10_S11_S12_S19_S1D_S1F_T6_T7_T9_mT8_S1H_bDpT10_ENKUlT_T0_E_clISt17integral_constantIbLb0EES1V_EEDaS1Q_S1R_EUlS1Q_E_NS1_11comp_targetILNS1_3genE10ELNS1_11target_archE1200ELNS1_3gpuE4ELNS1_3repE0EEENS1_30default_config_static_selectorELNS0_4arch9wavefront6targetE0EEEvS13_.kd
    .uniform_work_group_size: 1
    .uses_dynamic_stack: false
    .vgpr_count:     93
    .vgpr_spill_count: 0
    .wavefront_size: 32
    .workgroup_processor_mode: 1
  - .args:
      - .offset:         0
        .size:           176
        .value_kind:     by_value
    .group_segment_fixed_size: 0
    .kernarg_segment_align: 8
    .kernarg_segment_size: 176
    .language:       OpenCL C
    .language_version:
      - 2
      - 0
    .max_flat_workgroup_size: 256
    .name:           _ZN7rocprim17ROCPRIM_400000_NS6detail17trampoline_kernelINS0_13select_configILj256ELj13ELNS0_17block_load_methodE3ELS4_3ELS4_3ELNS0_20block_scan_algorithmE0ELj4294967295EEENS1_25partition_config_selectorILNS1_17partition_subalgoE4EjNS0_10empty_typeEbEEZZNS1_14partition_implILS8_4ELb0ES6_15HIP_vector_typeIjLj2EENS0_17counting_iteratorIjlEEPS9_SG_NS0_5tupleIJPjSI_NS0_16reverse_iteratorISI_EEEEENSH_IJSG_SG_SG_EEES9_SI_JZNS1_25segmented_radix_sort_implINS0_14default_configELb1EPK6__halfPSP_PKlPlN2at6native12_GLOBAL__N_18offset_tEEE10hipError_tPvRmT1_PNSt15iterator_traitsIS13_E10value_typeET2_T3_PNS14_IS19_E10value_typeET4_jRbjT5_S1F_jjP12ihipStream_tbEUljE_ZNSN_ISO_Lb1ESR_SS_SU_SV_SZ_EES10_S11_S12_S13_S17_S18_S19_S1C_S1D_jS1E_jS1F_S1F_jjS1H_bEUljE0_EEES10_S11_S12_S19_S1D_S1F_T6_T7_T9_mT8_S1H_bDpT10_ENKUlT_T0_E_clISt17integral_constantIbLb0EES1V_EEDaS1Q_S1R_EUlS1Q_E_NS1_11comp_targetILNS1_3genE9ELNS1_11target_archE1100ELNS1_3gpuE3ELNS1_3repE0EEENS1_30default_config_static_selectorELNS0_4arch9wavefront6targetE0EEEvS13_
    .private_segment_fixed_size: 0
    .sgpr_count:     0
    .sgpr_spill_count: 0
    .symbol:         _ZN7rocprim17ROCPRIM_400000_NS6detail17trampoline_kernelINS0_13select_configILj256ELj13ELNS0_17block_load_methodE3ELS4_3ELS4_3ELNS0_20block_scan_algorithmE0ELj4294967295EEENS1_25partition_config_selectorILNS1_17partition_subalgoE4EjNS0_10empty_typeEbEEZZNS1_14partition_implILS8_4ELb0ES6_15HIP_vector_typeIjLj2EENS0_17counting_iteratorIjlEEPS9_SG_NS0_5tupleIJPjSI_NS0_16reverse_iteratorISI_EEEEENSH_IJSG_SG_SG_EEES9_SI_JZNS1_25segmented_radix_sort_implINS0_14default_configELb1EPK6__halfPSP_PKlPlN2at6native12_GLOBAL__N_18offset_tEEE10hipError_tPvRmT1_PNSt15iterator_traitsIS13_E10value_typeET2_T3_PNS14_IS19_E10value_typeET4_jRbjT5_S1F_jjP12ihipStream_tbEUljE_ZNSN_ISO_Lb1ESR_SS_SU_SV_SZ_EES10_S11_S12_S13_S17_S18_S19_S1C_S1D_jS1E_jS1F_S1F_jjS1H_bEUljE0_EEES10_S11_S12_S19_S1D_S1F_T6_T7_T9_mT8_S1H_bDpT10_ENKUlT_T0_E_clISt17integral_constantIbLb0EES1V_EEDaS1Q_S1R_EUlS1Q_E_NS1_11comp_targetILNS1_3genE9ELNS1_11target_archE1100ELNS1_3gpuE3ELNS1_3repE0EEENS1_30default_config_static_selectorELNS0_4arch9wavefront6targetE0EEEvS13_.kd
    .uniform_work_group_size: 1
    .uses_dynamic_stack: false
    .vgpr_count:     0
    .vgpr_spill_count: 0
    .wavefront_size: 32
    .workgroup_processor_mode: 1
  - .args:
      - .offset:         0
        .size:           176
        .value_kind:     by_value
    .group_segment_fixed_size: 0
    .kernarg_segment_align: 8
    .kernarg_segment_size: 176
    .language:       OpenCL C
    .language_version:
      - 2
      - 0
    .max_flat_workgroup_size: 256
    .name:           _ZN7rocprim17ROCPRIM_400000_NS6detail17trampoline_kernelINS0_13select_configILj256ELj13ELNS0_17block_load_methodE3ELS4_3ELS4_3ELNS0_20block_scan_algorithmE0ELj4294967295EEENS1_25partition_config_selectorILNS1_17partition_subalgoE4EjNS0_10empty_typeEbEEZZNS1_14partition_implILS8_4ELb0ES6_15HIP_vector_typeIjLj2EENS0_17counting_iteratorIjlEEPS9_SG_NS0_5tupleIJPjSI_NS0_16reverse_iteratorISI_EEEEENSH_IJSG_SG_SG_EEES9_SI_JZNS1_25segmented_radix_sort_implINS0_14default_configELb1EPK6__halfPSP_PKlPlN2at6native12_GLOBAL__N_18offset_tEEE10hipError_tPvRmT1_PNSt15iterator_traitsIS13_E10value_typeET2_T3_PNS14_IS19_E10value_typeET4_jRbjT5_S1F_jjP12ihipStream_tbEUljE_ZNSN_ISO_Lb1ESR_SS_SU_SV_SZ_EES10_S11_S12_S13_S17_S18_S19_S1C_S1D_jS1E_jS1F_S1F_jjS1H_bEUljE0_EEES10_S11_S12_S19_S1D_S1F_T6_T7_T9_mT8_S1H_bDpT10_ENKUlT_T0_E_clISt17integral_constantIbLb0EES1V_EEDaS1Q_S1R_EUlS1Q_E_NS1_11comp_targetILNS1_3genE8ELNS1_11target_archE1030ELNS1_3gpuE2ELNS1_3repE0EEENS1_30default_config_static_selectorELNS0_4arch9wavefront6targetE0EEEvS13_
    .private_segment_fixed_size: 0
    .sgpr_count:     0
    .sgpr_spill_count: 0
    .symbol:         _ZN7rocprim17ROCPRIM_400000_NS6detail17trampoline_kernelINS0_13select_configILj256ELj13ELNS0_17block_load_methodE3ELS4_3ELS4_3ELNS0_20block_scan_algorithmE0ELj4294967295EEENS1_25partition_config_selectorILNS1_17partition_subalgoE4EjNS0_10empty_typeEbEEZZNS1_14partition_implILS8_4ELb0ES6_15HIP_vector_typeIjLj2EENS0_17counting_iteratorIjlEEPS9_SG_NS0_5tupleIJPjSI_NS0_16reverse_iteratorISI_EEEEENSH_IJSG_SG_SG_EEES9_SI_JZNS1_25segmented_radix_sort_implINS0_14default_configELb1EPK6__halfPSP_PKlPlN2at6native12_GLOBAL__N_18offset_tEEE10hipError_tPvRmT1_PNSt15iterator_traitsIS13_E10value_typeET2_T3_PNS14_IS19_E10value_typeET4_jRbjT5_S1F_jjP12ihipStream_tbEUljE_ZNSN_ISO_Lb1ESR_SS_SU_SV_SZ_EES10_S11_S12_S13_S17_S18_S19_S1C_S1D_jS1E_jS1F_S1F_jjS1H_bEUljE0_EEES10_S11_S12_S19_S1D_S1F_T6_T7_T9_mT8_S1H_bDpT10_ENKUlT_T0_E_clISt17integral_constantIbLb0EES1V_EEDaS1Q_S1R_EUlS1Q_E_NS1_11comp_targetILNS1_3genE8ELNS1_11target_archE1030ELNS1_3gpuE2ELNS1_3repE0EEENS1_30default_config_static_selectorELNS0_4arch9wavefront6targetE0EEEvS13_.kd
    .uniform_work_group_size: 1
    .uses_dynamic_stack: false
    .vgpr_count:     0
    .vgpr_spill_count: 0
    .wavefront_size: 32
    .workgroup_processor_mode: 1
  - .args:
      - .offset:         0
        .size:           184
        .value_kind:     by_value
    .group_segment_fixed_size: 0
    .kernarg_segment_align: 8
    .kernarg_segment_size: 184
    .language:       OpenCL C
    .language_version:
      - 2
      - 0
    .max_flat_workgroup_size: 256
    .name:           _ZN7rocprim17ROCPRIM_400000_NS6detail17trampoline_kernelINS0_13select_configILj256ELj13ELNS0_17block_load_methodE3ELS4_3ELS4_3ELNS0_20block_scan_algorithmE0ELj4294967295EEENS1_25partition_config_selectorILNS1_17partition_subalgoE4EjNS0_10empty_typeEbEEZZNS1_14partition_implILS8_4ELb0ES6_15HIP_vector_typeIjLj2EENS0_17counting_iteratorIjlEEPS9_SG_NS0_5tupleIJPjSI_NS0_16reverse_iteratorISI_EEEEENSH_IJSG_SG_SG_EEES9_SI_JZNS1_25segmented_radix_sort_implINS0_14default_configELb1EPK6__halfPSP_PKlPlN2at6native12_GLOBAL__N_18offset_tEEE10hipError_tPvRmT1_PNSt15iterator_traitsIS13_E10value_typeET2_T3_PNS14_IS19_E10value_typeET4_jRbjT5_S1F_jjP12ihipStream_tbEUljE_ZNSN_ISO_Lb1ESR_SS_SU_SV_SZ_EES10_S11_S12_S13_S17_S18_S19_S1C_S1D_jS1E_jS1F_S1F_jjS1H_bEUljE0_EEES10_S11_S12_S19_S1D_S1F_T6_T7_T9_mT8_S1H_bDpT10_ENKUlT_T0_E_clISt17integral_constantIbLb1EES1V_EEDaS1Q_S1R_EUlS1Q_E_NS1_11comp_targetILNS1_3genE0ELNS1_11target_archE4294967295ELNS1_3gpuE0ELNS1_3repE0EEENS1_30default_config_static_selectorELNS0_4arch9wavefront6targetE0EEEvS13_
    .private_segment_fixed_size: 0
    .sgpr_count:     0
    .sgpr_spill_count: 0
    .symbol:         _ZN7rocprim17ROCPRIM_400000_NS6detail17trampoline_kernelINS0_13select_configILj256ELj13ELNS0_17block_load_methodE3ELS4_3ELS4_3ELNS0_20block_scan_algorithmE0ELj4294967295EEENS1_25partition_config_selectorILNS1_17partition_subalgoE4EjNS0_10empty_typeEbEEZZNS1_14partition_implILS8_4ELb0ES6_15HIP_vector_typeIjLj2EENS0_17counting_iteratorIjlEEPS9_SG_NS0_5tupleIJPjSI_NS0_16reverse_iteratorISI_EEEEENSH_IJSG_SG_SG_EEES9_SI_JZNS1_25segmented_radix_sort_implINS0_14default_configELb1EPK6__halfPSP_PKlPlN2at6native12_GLOBAL__N_18offset_tEEE10hipError_tPvRmT1_PNSt15iterator_traitsIS13_E10value_typeET2_T3_PNS14_IS19_E10value_typeET4_jRbjT5_S1F_jjP12ihipStream_tbEUljE_ZNSN_ISO_Lb1ESR_SS_SU_SV_SZ_EES10_S11_S12_S13_S17_S18_S19_S1C_S1D_jS1E_jS1F_S1F_jjS1H_bEUljE0_EEES10_S11_S12_S19_S1D_S1F_T6_T7_T9_mT8_S1H_bDpT10_ENKUlT_T0_E_clISt17integral_constantIbLb1EES1V_EEDaS1Q_S1R_EUlS1Q_E_NS1_11comp_targetILNS1_3genE0ELNS1_11target_archE4294967295ELNS1_3gpuE0ELNS1_3repE0EEENS1_30default_config_static_selectorELNS0_4arch9wavefront6targetE0EEEvS13_.kd
    .uniform_work_group_size: 1
    .uses_dynamic_stack: false
    .vgpr_count:     0
    .vgpr_spill_count: 0
    .wavefront_size: 32
    .workgroup_processor_mode: 1
  - .args:
      - .offset:         0
        .size:           184
        .value_kind:     by_value
    .group_segment_fixed_size: 0
    .kernarg_segment_align: 8
    .kernarg_segment_size: 184
    .language:       OpenCL C
    .language_version:
      - 2
      - 0
    .max_flat_workgroup_size: 256
    .name:           _ZN7rocprim17ROCPRIM_400000_NS6detail17trampoline_kernelINS0_13select_configILj256ELj13ELNS0_17block_load_methodE3ELS4_3ELS4_3ELNS0_20block_scan_algorithmE0ELj4294967295EEENS1_25partition_config_selectorILNS1_17partition_subalgoE4EjNS0_10empty_typeEbEEZZNS1_14partition_implILS8_4ELb0ES6_15HIP_vector_typeIjLj2EENS0_17counting_iteratorIjlEEPS9_SG_NS0_5tupleIJPjSI_NS0_16reverse_iteratorISI_EEEEENSH_IJSG_SG_SG_EEES9_SI_JZNS1_25segmented_radix_sort_implINS0_14default_configELb1EPK6__halfPSP_PKlPlN2at6native12_GLOBAL__N_18offset_tEEE10hipError_tPvRmT1_PNSt15iterator_traitsIS13_E10value_typeET2_T3_PNS14_IS19_E10value_typeET4_jRbjT5_S1F_jjP12ihipStream_tbEUljE_ZNSN_ISO_Lb1ESR_SS_SU_SV_SZ_EES10_S11_S12_S13_S17_S18_S19_S1C_S1D_jS1E_jS1F_S1F_jjS1H_bEUljE0_EEES10_S11_S12_S19_S1D_S1F_T6_T7_T9_mT8_S1H_bDpT10_ENKUlT_T0_E_clISt17integral_constantIbLb1EES1V_EEDaS1Q_S1R_EUlS1Q_E_NS1_11comp_targetILNS1_3genE5ELNS1_11target_archE942ELNS1_3gpuE9ELNS1_3repE0EEENS1_30default_config_static_selectorELNS0_4arch9wavefront6targetE0EEEvS13_
    .private_segment_fixed_size: 0
    .sgpr_count:     0
    .sgpr_spill_count: 0
    .symbol:         _ZN7rocprim17ROCPRIM_400000_NS6detail17trampoline_kernelINS0_13select_configILj256ELj13ELNS0_17block_load_methodE3ELS4_3ELS4_3ELNS0_20block_scan_algorithmE0ELj4294967295EEENS1_25partition_config_selectorILNS1_17partition_subalgoE4EjNS0_10empty_typeEbEEZZNS1_14partition_implILS8_4ELb0ES6_15HIP_vector_typeIjLj2EENS0_17counting_iteratorIjlEEPS9_SG_NS0_5tupleIJPjSI_NS0_16reverse_iteratorISI_EEEEENSH_IJSG_SG_SG_EEES9_SI_JZNS1_25segmented_radix_sort_implINS0_14default_configELb1EPK6__halfPSP_PKlPlN2at6native12_GLOBAL__N_18offset_tEEE10hipError_tPvRmT1_PNSt15iterator_traitsIS13_E10value_typeET2_T3_PNS14_IS19_E10value_typeET4_jRbjT5_S1F_jjP12ihipStream_tbEUljE_ZNSN_ISO_Lb1ESR_SS_SU_SV_SZ_EES10_S11_S12_S13_S17_S18_S19_S1C_S1D_jS1E_jS1F_S1F_jjS1H_bEUljE0_EEES10_S11_S12_S19_S1D_S1F_T6_T7_T9_mT8_S1H_bDpT10_ENKUlT_T0_E_clISt17integral_constantIbLb1EES1V_EEDaS1Q_S1R_EUlS1Q_E_NS1_11comp_targetILNS1_3genE5ELNS1_11target_archE942ELNS1_3gpuE9ELNS1_3repE0EEENS1_30default_config_static_selectorELNS0_4arch9wavefront6targetE0EEEvS13_.kd
    .uniform_work_group_size: 1
    .uses_dynamic_stack: false
    .vgpr_count:     0
    .vgpr_spill_count: 0
    .wavefront_size: 32
    .workgroup_processor_mode: 1
  - .args:
      - .offset:         0
        .size:           184
        .value_kind:     by_value
    .group_segment_fixed_size: 0
    .kernarg_segment_align: 8
    .kernarg_segment_size: 184
    .language:       OpenCL C
    .language_version:
      - 2
      - 0
    .max_flat_workgroup_size: 256
    .name:           _ZN7rocprim17ROCPRIM_400000_NS6detail17trampoline_kernelINS0_13select_configILj256ELj13ELNS0_17block_load_methodE3ELS4_3ELS4_3ELNS0_20block_scan_algorithmE0ELj4294967295EEENS1_25partition_config_selectorILNS1_17partition_subalgoE4EjNS0_10empty_typeEbEEZZNS1_14partition_implILS8_4ELb0ES6_15HIP_vector_typeIjLj2EENS0_17counting_iteratorIjlEEPS9_SG_NS0_5tupleIJPjSI_NS0_16reverse_iteratorISI_EEEEENSH_IJSG_SG_SG_EEES9_SI_JZNS1_25segmented_radix_sort_implINS0_14default_configELb1EPK6__halfPSP_PKlPlN2at6native12_GLOBAL__N_18offset_tEEE10hipError_tPvRmT1_PNSt15iterator_traitsIS13_E10value_typeET2_T3_PNS14_IS19_E10value_typeET4_jRbjT5_S1F_jjP12ihipStream_tbEUljE_ZNSN_ISO_Lb1ESR_SS_SU_SV_SZ_EES10_S11_S12_S13_S17_S18_S19_S1C_S1D_jS1E_jS1F_S1F_jjS1H_bEUljE0_EEES10_S11_S12_S19_S1D_S1F_T6_T7_T9_mT8_S1H_bDpT10_ENKUlT_T0_E_clISt17integral_constantIbLb1EES1V_EEDaS1Q_S1R_EUlS1Q_E_NS1_11comp_targetILNS1_3genE4ELNS1_11target_archE910ELNS1_3gpuE8ELNS1_3repE0EEENS1_30default_config_static_selectorELNS0_4arch9wavefront6targetE0EEEvS13_
    .private_segment_fixed_size: 0
    .sgpr_count:     0
    .sgpr_spill_count: 0
    .symbol:         _ZN7rocprim17ROCPRIM_400000_NS6detail17trampoline_kernelINS0_13select_configILj256ELj13ELNS0_17block_load_methodE3ELS4_3ELS4_3ELNS0_20block_scan_algorithmE0ELj4294967295EEENS1_25partition_config_selectorILNS1_17partition_subalgoE4EjNS0_10empty_typeEbEEZZNS1_14partition_implILS8_4ELb0ES6_15HIP_vector_typeIjLj2EENS0_17counting_iteratorIjlEEPS9_SG_NS0_5tupleIJPjSI_NS0_16reverse_iteratorISI_EEEEENSH_IJSG_SG_SG_EEES9_SI_JZNS1_25segmented_radix_sort_implINS0_14default_configELb1EPK6__halfPSP_PKlPlN2at6native12_GLOBAL__N_18offset_tEEE10hipError_tPvRmT1_PNSt15iterator_traitsIS13_E10value_typeET2_T3_PNS14_IS19_E10value_typeET4_jRbjT5_S1F_jjP12ihipStream_tbEUljE_ZNSN_ISO_Lb1ESR_SS_SU_SV_SZ_EES10_S11_S12_S13_S17_S18_S19_S1C_S1D_jS1E_jS1F_S1F_jjS1H_bEUljE0_EEES10_S11_S12_S19_S1D_S1F_T6_T7_T9_mT8_S1H_bDpT10_ENKUlT_T0_E_clISt17integral_constantIbLb1EES1V_EEDaS1Q_S1R_EUlS1Q_E_NS1_11comp_targetILNS1_3genE4ELNS1_11target_archE910ELNS1_3gpuE8ELNS1_3repE0EEENS1_30default_config_static_selectorELNS0_4arch9wavefront6targetE0EEEvS13_.kd
    .uniform_work_group_size: 1
    .uses_dynamic_stack: false
    .vgpr_count:     0
    .vgpr_spill_count: 0
    .wavefront_size: 32
    .workgroup_processor_mode: 1
  - .args:
      - .offset:         0
        .size:           184
        .value_kind:     by_value
    .group_segment_fixed_size: 0
    .kernarg_segment_align: 8
    .kernarg_segment_size: 184
    .language:       OpenCL C
    .language_version:
      - 2
      - 0
    .max_flat_workgroup_size: 256
    .name:           _ZN7rocprim17ROCPRIM_400000_NS6detail17trampoline_kernelINS0_13select_configILj256ELj13ELNS0_17block_load_methodE3ELS4_3ELS4_3ELNS0_20block_scan_algorithmE0ELj4294967295EEENS1_25partition_config_selectorILNS1_17partition_subalgoE4EjNS0_10empty_typeEbEEZZNS1_14partition_implILS8_4ELb0ES6_15HIP_vector_typeIjLj2EENS0_17counting_iteratorIjlEEPS9_SG_NS0_5tupleIJPjSI_NS0_16reverse_iteratorISI_EEEEENSH_IJSG_SG_SG_EEES9_SI_JZNS1_25segmented_radix_sort_implINS0_14default_configELb1EPK6__halfPSP_PKlPlN2at6native12_GLOBAL__N_18offset_tEEE10hipError_tPvRmT1_PNSt15iterator_traitsIS13_E10value_typeET2_T3_PNS14_IS19_E10value_typeET4_jRbjT5_S1F_jjP12ihipStream_tbEUljE_ZNSN_ISO_Lb1ESR_SS_SU_SV_SZ_EES10_S11_S12_S13_S17_S18_S19_S1C_S1D_jS1E_jS1F_S1F_jjS1H_bEUljE0_EEES10_S11_S12_S19_S1D_S1F_T6_T7_T9_mT8_S1H_bDpT10_ENKUlT_T0_E_clISt17integral_constantIbLb1EES1V_EEDaS1Q_S1R_EUlS1Q_E_NS1_11comp_targetILNS1_3genE3ELNS1_11target_archE908ELNS1_3gpuE7ELNS1_3repE0EEENS1_30default_config_static_selectorELNS0_4arch9wavefront6targetE0EEEvS13_
    .private_segment_fixed_size: 0
    .sgpr_count:     0
    .sgpr_spill_count: 0
    .symbol:         _ZN7rocprim17ROCPRIM_400000_NS6detail17trampoline_kernelINS0_13select_configILj256ELj13ELNS0_17block_load_methodE3ELS4_3ELS4_3ELNS0_20block_scan_algorithmE0ELj4294967295EEENS1_25partition_config_selectorILNS1_17partition_subalgoE4EjNS0_10empty_typeEbEEZZNS1_14partition_implILS8_4ELb0ES6_15HIP_vector_typeIjLj2EENS0_17counting_iteratorIjlEEPS9_SG_NS0_5tupleIJPjSI_NS0_16reverse_iteratorISI_EEEEENSH_IJSG_SG_SG_EEES9_SI_JZNS1_25segmented_radix_sort_implINS0_14default_configELb1EPK6__halfPSP_PKlPlN2at6native12_GLOBAL__N_18offset_tEEE10hipError_tPvRmT1_PNSt15iterator_traitsIS13_E10value_typeET2_T3_PNS14_IS19_E10value_typeET4_jRbjT5_S1F_jjP12ihipStream_tbEUljE_ZNSN_ISO_Lb1ESR_SS_SU_SV_SZ_EES10_S11_S12_S13_S17_S18_S19_S1C_S1D_jS1E_jS1F_S1F_jjS1H_bEUljE0_EEES10_S11_S12_S19_S1D_S1F_T6_T7_T9_mT8_S1H_bDpT10_ENKUlT_T0_E_clISt17integral_constantIbLb1EES1V_EEDaS1Q_S1R_EUlS1Q_E_NS1_11comp_targetILNS1_3genE3ELNS1_11target_archE908ELNS1_3gpuE7ELNS1_3repE0EEENS1_30default_config_static_selectorELNS0_4arch9wavefront6targetE0EEEvS13_.kd
    .uniform_work_group_size: 1
    .uses_dynamic_stack: false
    .vgpr_count:     0
    .vgpr_spill_count: 0
    .wavefront_size: 32
    .workgroup_processor_mode: 1
  - .args:
      - .offset:         0
        .size:           184
        .value_kind:     by_value
    .group_segment_fixed_size: 0
    .kernarg_segment_align: 8
    .kernarg_segment_size: 184
    .language:       OpenCL C
    .language_version:
      - 2
      - 0
    .max_flat_workgroup_size: 256
    .name:           _ZN7rocprim17ROCPRIM_400000_NS6detail17trampoline_kernelINS0_13select_configILj256ELj13ELNS0_17block_load_methodE3ELS4_3ELS4_3ELNS0_20block_scan_algorithmE0ELj4294967295EEENS1_25partition_config_selectorILNS1_17partition_subalgoE4EjNS0_10empty_typeEbEEZZNS1_14partition_implILS8_4ELb0ES6_15HIP_vector_typeIjLj2EENS0_17counting_iteratorIjlEEPS9_SG_NS0_5tupleIJPjSI_NS0_16reverse_iteratorISI_EEEEENSH_IJSG_SG_SG_EEES9_SI_JZNS1_25segmented_radix_sort_implINS0_14default_configELb1EPK6__halfPSP_PKlPlN2at6native12_GLOBAL__N_18offset_tEEE10hipError_tPvRmT1_PNSt15iterator_traitsIS13_E10value_typeET2_T3_PNS14_IS19_E10value_typeET4_jRbjT5_S1F_jjP12ihipStream_tbEUljE_ZNSN_ISO_Lb1ESR_SS_SU_SV_SZ_EES10_S11_S12_S13_S17_S18_S19_S1C_S1D_jS1E_jS1F_S1F_jjS1H_bEUljE0_EEES10_S11_S12_S19_S1D_S1F_T6_T7_T9_mT8_S1H_bDpT10_ENKUlT_T0_E_clISt17integral_constantIbLb1EES1V_EEDaS1Q_S1R_EUlS1Q_E_NS1_11comp_targetILNS1_3genE2ELNS1_11target_archE906ELNS1_3gpuE6ELNS1_3repE0EEENS1_30default_config_static_selectorELNS0_4arch9wavefront6targetE0EEEvS13_
    .private_segment_fixed_size: 0
    .sgpr_count:     0
    .sgpr_spill_count: 0
    .symbol:         _ZN7rocprim17ROCPRIM_400000_NS6detail17trampoline_kernelINS0_13select_configILj256ELj13ELNS0_17block_load_methodE3ELS4_3ELS4_3ELNS0_20block_scan_algorithmE0ELj4294967295EEENS1_25partition_config_selectorILNS1_17partition_subalgoE4EjNS0_10empty_typeEbEEZZNS1_14partition_implILS8_4ELb0ES6_15HIP_vector_typeIjLj2EENS0_17counting_iteratorIjlEEPS9_SG_NS0_5tupleIJPjSI_NS0_16reverse_iteratorISI_EEEEENSH_IJSG_SG_SG_EEES9_SI_JZNS1_25segmented_radix_sort_implINS0_14default_configELb1EPK6__halfPSP_PKlPlN2at6native12_GLOBAL__N_18offset_tEEE10hipError_tPvRmT1_PNSt15iterator_traitsIS13_E10value_typeET2_T3_PNS14_IS19_E10value_typeET4_jRbjT5_S1F_jjP12ihipStream_tbEUljE_ZNSN_ISO_Lb1ESR_SS_SU_SV_SZ_EES10_S11_S12_S13_S17_S18_S19_S1C_S1D_jS1E_jS1F_S1F_jjS1H_bEUljE0_EEES10_S11_S12_S19_S1D_S1F_T6_T7_T9_mT8_S1H_bDpT10_ENKUlT_T0_E_clISt17integral_constantIbLb1EES1V_EEDaS1Q_S1R_EUlS1Q_E_NS1_11comp_targetILNS1_3genE2ELNS1_11target_archE906ELNS1_3gpuE6ELNS1_3repE0EEENS1_30default_config_static_selectorELNS0_4arch9wavefront6targetE0EEEvS13_.kd
    .uniform_work_group_size: 1
    .uses_dynamic_stack: false
    .vgpr_count:     0
    .vgpr_spill_count: 0
    .wavefront_size: 32
    .workgroup_processor_mode: 1
  - .args:
      - .offset:         0
        .size:           184
        .value_kind:     by_value
    .group_segment_fixed_size: 0
    .kernarg_segment_align: 8
    .kernarg_segment_size: 184
    .language:       OpenCL C
    .language_version:
      - 2
      - 0
    .max_flat_workgroup_size: 256
    .name:           _ZN7rocprim17ROCPRIM_400000_NS6detail17trampoline_kernelINS0_13select_configILj256ELj13ELNS0_17block_load_methodE3ELS4_3ELS4_3ELNS0_20block_scan_algorithmE0ELj4294967295EEENS1_25partition_config_selectorILNS1_17partition_subalgoE4EjNS0_10empty_typeEbEEZZNS1_14partition_implILS8_4ELb0ES6_15HIP_vector_typeIjLj2EENS0_17counting_iteratorIjlEEPS9_SG_NS0_5tupleIJPjSI_NS0_16reverse_iteratorISI_EEEEENSH_IJSG_SG_SG_EEES9_SI_JZNS1_25segmented_radix_sort_implINS0_14default_configELb1EPK6__halfPSP_PKlPlN2at6native12_GLOBAL__N_18offset_tEEE10hipError_tPvRmT1_PNSt15iterator_traitsIS13_E10value_typeET2_T3_PNS14_IS19_E10value_typeET4_jRbjT5_S1F_jjP12ihipStream_tbEUljE_ZNSN_ISO_Lb1ESR_SS_SU_SV_SZ_EES10_S11_S12_S13_S17_S18_S19_S1C_S1D_jS1E_jS1F_S1F_jjS1H_bEUljE0_EEES10_S11_S12_S19_S1D_S1F_T6_T7_T9_mT8_S1H_bDpT10_ENKUlT_T0_E_clISt17integral_constantIbLb1EES1V_EEDaS1Q_S1R_EUlS1Q_E_NS1_11comp_targetILNS1_3genE10ELNS1_11target_archE1200ELNS1_3gpuE4ELNS1_3repE0EEENS1_30default_config_static_selectorELNS0_4arch9wavefront6targetE0EEEvS13_
    .private_segment_fixed_size: 0
    .sgpr_count:     0
    .sgpr_spill_count: 0
    .symbol:         _ZN7rocprim17ROCPRIM_400000_NS6detail17trampoline_kernelINS0_13select_configILj256ELj13ELNS0_17block_load_methodE3ELS4_3ELS4_3ELNS0_20block_scan_algorithmE0ELj4294967295EEENS1_25partition_config_selectorILNS1_17partition_subalgoE4EjNS0_10empty_typeEbEEZZNS1_14partition_implILS8_4ELb0ES6_15HIP_vector_typeIjLj2EENS0_17counting_iteratorIjlEEPS9_SG_NS0_5tupleIJPjSI_NS0_16reverse_iteratorISI_EEEEENSH_IJSG_SG_SG_EEES9_SI_JZNS1_25segmented_radix_sort_implINS0_14default_configELb1EPK6__halfPSP_PKlPlN2at6native12_GLOBAL__N_18offset_tEEE10hipError_tPvRmT1_PNSt15iterator_traitsIS13_E10value_typeET2_T3_PNS14_IS19_E10value_typeET4_jRbjT5_S1F_jjP12ihipStream_tbEUljE_ZNSN_ISO_Lb1ESR_SS_SU_SV_SZ_EES10_S11_S12_S13_S17_S18_S19_S1C_S1D_jS1E_jS1F_S1F_jjS1H_bEUljE0_EEES10_S11_S12_S19_S1D_S1F_T6_T7_T9_mT8_S1H_bDpT10_ENKUlT_T0_E_clISt17integral_constantIbLb1EES1V_EEDaS1Q_S1R_EUlS1Q_E_NS1_11comp_targetILNS1_3genE10ELNS1_11target_archE1200ELNS1_3gpuE4ELNS1_3repE0EEENS1_30default_config_static_selectorELNS0_4arch9wavefront6targetE0EEEvS13_.kd
    .uniform_work_group_size: 1
    .uses_dynamic_stack: false
    .vgpr_count:     0
    .vgpr_spill_count: 0
    .wavefront_size: 32
    .workgroup_processor_mode: 1
  - .args:
      - .offset:         0
        .size:           184
        .value_kind:     by_value
    .group_segment_fixed_size: 0
    .kernarg_segment_align: 8
    .kernarg_segment_size: 184
    .language:       OpenCL C
    .language_version:
      - 2
      - 0
    .max_flat_workgroup_size: 256
    .name:           _ZN7rocprim17ROCPRIM_400000_NS6detail17trampoline_kernelINS0_13select_configILj256ELj13ELNS0_17block_load_methodE3ELS4_3ELS4_3ELNS0_20block_scan_algorithmE0ELj4294967295EEENS1_25partition_config_selectorILNS1_17partition_subalgoE4EjNS0_10empty_typeEbEEZZNS1_14partition_implILS8_4ELb0ES6_15HIP_vector_typeIjLj2EENS0_17counting_iteratorIjlEEPS9_SG_NS0_5tupleIJPjSI_NS0_16reverse_iteratorISI_EEEEENSH_IJSG_SG_SG_EEES9_SI_JZNS1_25segmented_radix_sort_implINS0_14default_configELb1EPK6__halfPSP_PKlPlN2at6native12_GLOBAL__N_18offset_tEEE10hipError_tPvRmT1_PNSt15iterator_traitsIS13_E10value_typeET2_T3_PNS14_IS19_E10value_typeET4_jRbjT5_S1F_jjP12ihipStream_tbEUljE_ZNSN_ISO_Lb1ESR_SS_SU_SV_SZ_EES10_S11_S12_S13_S17_S18_S19_S1C_S1D_jS1E_jS1F_S1F_jjS1H_bEUljE0_EEES10_S11_S12_S19_S1D_S1F_T6_T7_T9_mT8_S1H_bDpT10_ENKUlT_T0_E_clISt17integral_constantIbLb1EES1V_EEDaS1Q_S1R_EUlS1Q_E_NS1_11comp_targetILNS1_3genE9ELNS1_11target_archE1100ELNS1_3gpuE3ELNS1_3repE0EEENS1_30default_config_static_selectorELNS0_4arch9wavefront6targetE0EEEvS13_
    .private_segment_fixed_size: 0
    .sgpr_count:     0
    .sgpr_spill_count: 0
    .symbol:         _ZN7rocprim17ROCPRIM_400000_NS6detail17trampoline_kernelINS0_13select_configILj256ELj13ELNS0_17block_load_methodE3ELS4_3ELS4_3ELNS0_20block_scan_algorithmE0ELj4294967295EEENS1_25partition_config_selectorILNS1_17partition_subalgoE4EjNS0_10empty_typeEbEEZZNS1_14partition_implILS8_4ELb0ES6_15HIP_vector_typeIjLj2EENS0_17counting_iteratorIjlEEPS9_SG_NS0_5tupleIJPjSI_NS0_16reverse_iteratorISI_EEEEENSH_IJSG_SG_SG_EEES9_SI_JZNS1_25segmented_radix_sort_implINS0_14default_configELb1EPK6__halfPSP_PKlPlN2at6native12_GLOBAL__N_18offset_tEEE10hipError_tPvRmT1_PNSt15iterator_traitsIS13_E10value_typeET2_T3_PNS14_IS19_E10value_typeET4_jRbjT5_S1F_jjP12ihipStream_tbEUljE_ZNSN_ISO_Lb1ESR_SS_SU_SV_SZ_EES10_S11_S12_S13_S17_S18_S19_S1C_S1D_jS1E_jS1F_S1F_jjS1H_bEUljE0_EEES10_S11_S12_S19_S1D_S1F_T6_T7_T9_mT8_S1H_bDpT10_ENKUlT_T0_E_clISt17integral_constantIbLb1EES1V_EEDaS1Q_S1R_EUlS1Q_E_NS1_11comp_targetILNS1_3genE9ELNS1_11target_archE1100ELNS1_3gpuE3ELNS1_3repE0EEENS1_30default_config_static_selectorELNS0_4arch9wavefront6targetE0EEEvS13_.kd
    .uniform_work_group_size: 1
    .uses_dynamic_stack: false
    .vgpr_count:     0
    .vgpr_spill_count: 0
    .wavefront_size: 32
    .workgroup_processor_mode: 1
  - .args:
      - .offset:         0
        .size:           184
        .value_kind:     by_value
    .group_segment_fixed_size: 0
    .kernarg_segment_align: 8
    .kernarg_segment_size: 184
    .language:       OpenCL C
    .language_version:
      - 2
      - 0
    .max_flat_workgroup_size: 256
    .name:           _ZN7rocprim17ROCPRIM_400000_NS6detail17trampoline_kernelINS0_13select_configILj256ELj13ELNS0_17block_load_methodE3ELS4_3ELS4_3ELNS0_20block_scan_algorithmE0ELj4294967295EEENS1_25partition_config_selectorILNS1_17partition_subalgoE4EjNS0_10empty_typeEbEEZZNS1_14partition_implILS8_4ELb0ES6_15HIP_vector_typeIjLj2EENS0_17counting_iteratorIjlEEPS9_SG_NS0_5tupleIJPjSI_NS0_16reverse_iteratorISI_EEEEENSH_IJSG_SG_SG_EEES9_SI_JZNS1_25segmented_radix_sort_implINS0_14default_configELb1EPK6__halfPSP_PKlPlN2at6native12_GLOBAL__N_18offset_tEEE10hipError_tPvRmT1_PNSt15iterator_traitsIS13_E10value_typeET2_T3_PNS14_IS19_E10value_typeET4_jRbjT5_S1F_jjP12ihipStream_tbEUljE_ZNSN_ISO_Lb1ESR_SS_SU_SV_SZ_EES10_S11_S12_S13_S17_S18_S19_S1C_S1D_jS1E_jS1F_S1F_jjS1H_bEUljE0_EEES10_S11_S12_S19_S1D_S1F_T6_T7_T9_mT8_S1H_bDpT10_ENKUlT_T0_E_clISt17integral_constantIbLb1EES1V_EEDaS1Q_S1R_EUlS1Q_E_NS1_11comp_targetILNS1_3genE8ELNS1_11target_archE1030ELNS1_3gpuE2ELNS1_3repE0EEENS1_30default_config_static_selectorELNS0_4arch9wavefront6targetE0EEEvS13_
    .private_segment_fixed_size: 0
    .sgpr_count:     0
    .sgpr_spill_count: 0
    .symbol:         _ZN7rocprim17ROCPRIM_400000_NS6detail17trampoline_kernelINS0_13select_configILj256ELj13ELNS0_17block_load_methodE3ELS4_3ELS4_3ELNS0_20block_scan_algorithmE0ELj4294967295EEENS1_25partition_config_selectorILNS1_17partition_subalgoE4EjNS0_10empty_typeEbEEZZNS1_14partition_implILS8_4ELb0ES6_15HIP_vector_typeIjLj2EENS0_17counting_iteratorIjlEEPS9_SG_NS0_5tupleIJPjSI_NS0_16reverse_iteratorISI_EEEEENSH_IJSG_SG_SG_EEES9_SI_JZNS1_25segmented_radix_sort_implINS0_14default_configELb1EPK6__halfPSP_PKlPlN2at6native12_GLOBAL__N_18offset_tEEE10hipError_tPvRmT1_PNSt15iterator_traitsIS13_E10value_typeET2_T3_PNS14_IS19_E10value_typeET4_jRbjT5_S1F_jjP12ihipStream_tbEUljE_ZNSN_ISO_Lb1ESR_SS_SU_SV_SZ_EES10_S11_S12_S13_S17_S18_S19_S1C_S1D_jS1E_jS1F_S1F_jjS1H_bEUljE0_EEES10_S11_S12_S19_S1D_S1F_T6_T7_T9_mT8_S1H_bDpT10_ENKUlT_T0_E_clISt17integral_constantIbLb1EES1V_EEDaS1Q_S1R_EUlS1Q_E_NS1_11comp_targetILNS1_3genE8ELNS1_11target_archE1030ELNS1_3gpuE2ELNS1_3repE0EEENS1_30default_config_static_selectorELNS0_4arch9wavefront6targetE0EEEvS13_.kd
    .uniform_work_group_size: 1
    .uses_dynamic_stack: false
    .vgpr_count:     0
    .vgpr_spill_count: 0
    .wavefront_size: 32
    .workgroup_processor_mode: 1
  - .args:
      - .offset:         0
        .size:           176
        .value_kind:     by_value
    .group_segment_fixed_size: 0
    .kernarg_segment_align: 8
    .kernarg_segment_size: 176
    .language:       OpenCL C
    .language_version:
      - 2
      - 0
    .max_flat_workgroup_size: 256
    .name:           _ZN7rocprim17ROCPRIM_400000_NS6detail17trampoline_kernelINS0_13select_configILj256ELj13ELNS0_17block_load_methodE3ELS4_3ELS4_3ELNS0_20block_scan_algorithmE0ELj4294967295EEENS1_25partition_config_selectorILNS1_17partition_subalgoE4EjNS0_10empty_typeEbEEZZNS1_14partition_implILS8_4ELb0ES6_15HIP_vector_typeIjLj2EENS0_17counting_iteratorIjlEEPS9_SG_NS0_5tupleIJPjSI_NS0_16reverse_iteratorISI_EEEEENSH_IJSG_SG_SG_EEES9_SI_JZNS1_25segmented_radix_sort_implINS0_14default_configELb1EPK6__halfPSP_PKlPlN2at6native12_GLOBAL__N_18offset_tEEE10hipError_tPvRmT1_PNSt15iterator_traitsIS13_E10value_typeET2_T3_PNS14_IS19_E10value_typeET4_jRbjT5_S1F_jjP12ihipStream_tbEUljE_ZNSN_ISO_Lb1ESR_SS_SU_SV_SZ_EES10_S11_S12_S13_S17_S18_S19_S1C_S1D_jS1E_jS1F_S1F_jjS1H_bEUljE0_EEES10_S11_S12_S19_S1D_S1F_T6_T7_T9_mT8_S1H_bDpT10_ENKUlT_T0_E_clISt17integral_constantIbLb1EES1U_IbLb0EEEEDaS1Q_S1R_EUlS1Q_E_NS1_11comp_targetILNS1_3genE0ELNS1_11target_archE4294967295ELNS1_3gpuE0ELNS1_3repE0EEENS1_30default_config_static_selectorELNS0_4arch9wavefront6targetE0EEEvS13_
    .private_segment_fixed_size: 0
    .sgpr_count:     0
    .sgpr_spill_count: 0
    .symbol:         _ZN7rocprim17ROCPRIM_400000_NS6detail17trampoline_kernelINS0_13select_configILj256ELj13ELNS0_17block_load_methodE3ELS4_3ELS4_3ELNS0_20block_scan_algorithmE0ELj4294967295EEENS1_25partition_config_selectorILNS1_17partition_subalgoE4EjNS0_10empty_typeEbEEZZNS1_14partition_implILS8_4ELb0ES6_15HIP_vector_typeIjLj2EENS0_17counting_iteratorIjlEEPS9_SG_NS0_5tupleIJPjSI_NS0_16reverse_iteratorISI_EEEEENSH_IJSG_SG_SG_EEES9_SI_JZNS1_25segmented_radix_sort_implINS0_14default_configELb1EPK6__halfPSP_PKlPlN2at6native12_GLOBAL__N_18offset_tEEE10hipError_tPvRmT1_PNSt15iterator_traitsIS13_E10value_typeET2_T3_PNS14_IS19_E10value_typeET4_jRbjT5_S1F_jjP12ihipStream_tbEUljE_ZNSN_ISO_Lb1ESR_SS_SU_SV_SZ_EES10_S11_S12_S13_S17_S18_S19_S1C_S1D_jS1E_jS1F_S1F_jjS1H_bEUljE0_EEES10_S11_S12_S19_S1D_S1F_T6_T7_T9_mT8_S1H_bDpT10_ENKUlT_T0_E_clISt17integral_constantIbLb1EES1U_IbLb0EEEEDaS1Q_S1R_EUlS1Q_E_NS1_11comp_targetILNS1_3genE0ELNS1_11target_archE4294967295ELNS1_3gpuE0ELNS1_3repE0EEENS1_30default_config_static_selectorELNS0_4arch9wavefront6targetE0EEEvS13_.kd
    .uniform_work_group_size: 1
    .uses_dynamic_stack: false
    .vgpr_count:     0
    .vgpr_spill_count: 0
    .wavefront_size: 32
    .workgroup_processor_mode: 1
  - .args:
      - .offset:         0
        .size:           176
        .value_kind:     by_value
    .group_segment_fixed_size: 0
    .kernarg_segment_align: 8
    .kernarg_segment_size: 176
    .language:       OpenCL C
    .language_version:
      - 2
      - 0
    .max_flat_workgroup_size: 256
    .name:           _ZN7rocprim17ROCPRIM_400000_NS6detail17trampoline_kernelINS0_13select_configILj256ELj13ELNS0_17block_load_methodE3ELS4_3ELS4_3ELNS0_20block_scan_algorithmE0ELj4294967295EEENS1_25partition_config_selectorILNS1_17partition_subalgoE4EjNS0_10empty_typeEbEEZZNS1_14partition_implILS8_4ELb0ES6_15HIP_vector_typeIjLj2EENS0_17counting_iteratorIjlEEPS9_SG_NS0_5tupleIJPjSI_NS0_16reverse_iteratorISI_EEEEENSH_IJSG_SG_SG_EEES9_SI_JZNS1_25segmented_radix_sort_implINS0_14default_configELb1EPK6__halfPSP_PKlPlN2at6native12_GLOBAL__N_18offset_tEEE10hipError_tPvRmT1_PNSt15iterator_traitsIS13_E10value_typeET2_T3_PNS14_IS19_E10value_typeET4_jRbjT5_S1F_jjP12ihipStream_tbEUljE_ZNSN_ISO_Lb1ESR_SS_SU_SV_SZ_EES10_S11_S12_S13_S17_S18_S19_S1C_S1D_jS1E_jS1F_S1F_jjS1H_bEUljE0_EEES10_S11_S12_S19_S1D_S1F_T6_T7_T9_mT8_S1H_bDpT10_ENKUlT_T0_E_clISt17integral_constantIbLb1EES1U_IbLb0EEEEDaS1Q_S1R_EUlS1Q_E_NS1_11comp_targetILNS1_3genE5ELNS1_11target_archE942ELNS1_3gpuE9ELNS1_3repE0EEENS1_30default_config_static_selectorELNS0_4arch9wavefront6targetE0EEEvS13_
    .private_segment_fixed_size: 0
    .sgpr_count:     0
    .sgpr_spill_count: 0
    .symbol:         _ZN7rocprim17ROCPRIM_400000_NS6detail17trampoline_kernelINS0_13select_configILj256ELj13ELNS0_17block_load_methodE3ELS4_3ELS4_3ELNS0_20block_scan_algorithmE0ELj4294967295EEENS1_25partition_config_selectorILNS1_17partition_subalgoE4EjNS0_10empty_typeEbEEZZNS1_14partition_implILS8_4ELb0ES6_15HIP_vector_typeIjLj2EENS0_17counting_iteratorIjlEEPS9_SG_NS0_5tupleIJPjSI_NS0_16reverse_iteratorISI_EEEEENSH_IJSG_SG_SG_EEES9_SI_JZNS1_25segmented_radix_sort_implINS0_14default_configELb1EPK6__halfPSP_PKlPlN2at6native12_GLOBAL__N_18offset_tEEE10hipError_tPvRmT1_PNSt15iterator_traitsIS13_E10value_typeET2_T3_PNS14_IS19_E10value_typeET4_jRbjT5_S1F_jjP12ihipStream_tbEUljE_ZNSN_ISO_Lb1ESR_SS_SU_SV_SZ_EES10_S11_S12_S13_S17_S18_S19_S1C_S1D_jS1E_jS1F_S1F_jjS1H_bEUljE0_EEES10_S11_S12_S19_S1D_S1F_T6_T7_T9_mT8_S1H_bDpT10_ENKUlT_T0_E_clISt17integral_constantIbLb1EES1U_IbLb0EEEEDaS1Q_S1R_EUlS1Q_E_NS1_11comp_targetILNS1_3genE5ELNS1_11target_archE942ELNS1_3gpuE9ELNS1_3repE0EEENS1_30default_config_static_selectorELNS0_4arch9wavefront6targetE0EEEvS13_.kd
    .uniform_work_group_size: 1
    .uses_dynamic_stack: false
    .vgpr_count:     0
    .vgpr_spill_count: 0
    .wavefront_size: 32
    .workgroup_processor_mode: 1
  - .args:
      - .offset:         0
        .size:           176
        .value_kind:     by_value
    .group_segment_fixed_size: 0
    .kernarg_segment_align: 8
    .kernarg_segment_size: 176
    .language:       OpenCL C
    .language_version:
      - 2
      - 0
    .max_flat_workgroup_size: 256
    .name:           _ZN7rocprim17ROCPRIM_400000_NS6detail17trampoline_kernelINS0_13select_configILj256ELj13ELNS0_17block_load_methodE3ELS4_3ELS4_3ELNS0_20block_scan_algorithmE0ELj4294967295EEENS1_25partition_config_selectorILNS1_17partition_subalgoE4EjNS0_10empty_typeEbEEZZNS1_14partition_implILS8_4ELb0ES6_15HIP_vector_typeIjLj2EENS0_17counting_iteratorIjlEEPS9_SG_NS0_5tupleIJPjSI_NS0_16reverse_iteratorISI_EEEEENSH_IJSG_SG_SG_EEES9_SI_JZNS1_25segmented_radix_sort_implINS0_14default_configELb1EPK6__halfPSP_PKlPlN2at6native12_GLOBAL__N_18offset_tEEE10hipError_tPvRmT1_PNSt15iterator_traitsIS13_E10value_typeET2_T3_PNS14_IS19_E10value_typeET4_jRbjT5_S1F_jjP12ihipStream_tbEUljE_ZNSN_ISO_Lb1ESR_SS_SU_SV_SZ_EES10_S11_S12_S13_S17_S18_S19_S1C_S1D_jS1E_jS1F_S1F_jjS1H_bEUljE0_EEES10_S11_S12_S19_S1D_S1F_T6_T7_T9_mT8_S1H_bDpT10_ENKUlT_T0_E_clISt17integral_constantIbLb1EES1U_IbLb0EEEEDaS1Q_S1R_EUlS1Q_E_NS1_11comp_targetILNS1_3genE4ELNS1_11target_archE910ELNS1_3gpuE8ELNS1_3repE0EEENS1_30default_config_static_selectorELNS0_4arch9wavefront6targetE0EEEvS13_
    .private_segment_fixed_size: 0
    .sgpr_count:     0
    .sgpr_spill_count: 0
    .symbol:         _ZN7rocprim17ROCPRIM_400000_NS6detail17trampoline_kernelINS0_13select_configILj256ELj13ELNS0_17block_load_methodE3ELS4_3ELS4_3ELNS0_20block_scan_algorithmE0ELj4294967295EEENS1_25partition_config_selectorILNS1_17partition_subalgoE4EjNS0_10empty_typeEbEEZZNS1_14partition_implILS8_4ELb0ES6_15HIP_vector_typeIjLj2EENS0_17counting_iteratorIjlEEPS9_SG_NS0_5tupleIJPjSI_NS0_16reverse_iteratorISI_EEEEENSH_IJSG_SG_SG_EEES9_SI_JZNS1_25segmented_radix_sort_implINS0_14default_configELb1EPK6__halfPSP_PKlPlN2at6native12_GLOBAL__N_18offset_tEEE10hipError_tPvRmT1_PNSt15iterator_traitsIS13_E10value_typeET2_T3_PNS14_IS19_E10value_typeET4_jRbjT5_S1F_jjP12ihipStream_tbEUljE_ZNSN_ISO_Lb1ESR_SS_SU_SV_SZ_EES10_S11_S12_S13_S17_S18_S19_S1C_S1D_jS1E_jS1F_S1F_jjS1H_bEUljE0_EEES10_S11_S12_S19_S1D_S1F_T6_T7_T9_mT8_S1H_bDpT10_ENKUlT_T0_E_clISt17integral_constantIbLb1EES1U_IbLb0EEEEDaS1Q_S1R_EUlS1Q_E_NS1_11comp_targetILNS1_3genE4ELNS1_11target_archE910ELNS1_3gpuE8ELNS1_3repE0EEENS1_30default_config_static_selectorELNS0_4arch9wavefront6targetE0EEEvS13_.kd
    .uniform_work_group_size: 1
    .uses_dynamic_stack: false
    .vgpr_count:     0
    .vgpr_spill_count: 0
    .wavefront_size: 32
    .workgroup_processor_mode: 1
  - .args:
      - .offset:         0
        .size:           176
        .value_kind:     by_value
    .group_segment_fixed_size: 0
    .kernarg_segment_align: 8
    .kernarg_segment_size: 176
    .language:       OpenCL C
    .language_version:
      - 2
      - 0
    .max_flat_workgroup_size: 256
    .name:           _ZN7rocprim17ROCPRIM_400000_NS6detail17trampoline_kernelINS0_13select_configILj256ELj13ELNS0_17block_load_methodE3ELS4_3ELS4_3ELNS0_20block_scan_algorithmE0ELj4294967295EEENS1_25partition_config_selectorILNS1_17partition_subalgoE4EjNS0_10empty_typeEbEEZZNS1_14partition_implILS8_4ELb0ES6_15HIP_vector_typeIjLj2EENS0_17counting_iteratorIjlEEPS9_SG_NS0_5tupleIJPjSI_NS0_16reverse_iteratorISI_EEEEENSH_IJSG_SG_SG_EEES9_SI_JZNS1_25segmented_radix_sort_implINS0_14default_configELb1EPK6__halfPSP_PKlPlN2at6native12_GLOBAL__N_18offset_tEEE10hipError_tPvRmT1_PNSt15iterator_traitsIS13_E10value_typeET2_T3_PNS14_IS19_E10value_typeET4_jRbjT5_S1F_jjP12ihipStream_tbEUljE_ZNSN_ISO_Lb1ESR_SS_SU_SV_SZ_EES10_S11_S12_S13_S17_S18_S19_S1C_S1D_jS1E_jS1F_S1F_jjS1H_bEUljE0_EEES10_S11_S12_S19_S1D_S1F_T6_T7_T9_mT8_S1H_bDpT10_ENKUlT_T0_E_clISt17integral_constantIbLb1EES1U_IbLb0EEEEDaS1Q_S1R_EUlS1Q_E_NS1_11comp_targetILNS1_3genE3ELNS1_11target_archE908ELNS1_3gpuE7ELNS1_3repE0EEENS1_30default_config_static_selectorELNS0_4arch9wavefront6targetE0EEEvS13_
    .private_segment_fixed_size: 0
    .sgpr_count:     0
    .sgpr_spill_count: 0
    .symbol:         _ZN7rocprim17ROCPRIM_400000_NS6detail17trampoline_kernelINS0_13select_configILj256ELj13ELNS0_17block_load_methodE3ELS4_3ELS4_3ELNS0_20block_scan_algorithmE0ELj4294967295EEENS1_25partition_config_selectorILNS1_17partition_subalgoE4EjNS0_10empty_typeEbEEZZNS1_14partition_implILS8_4ELb0ES6_15HIP_vector_typeIjLj2EENS0_17counting_iteratorIjlEEPS9_SG_NS0_5tupleIJPjSI_NS0_16reverse_iteratorISI_EEEEENSH_IJSG_SG_SG_EEES9_SI_JZNS1_25segmented_radix_sort_implINS0_14default_configELb1EPK6__halfPSP_PKlPlN2at6native12_GLOBAL__N_18offset_tEEE10hipError_tPvRmT1_PNSt15iterator_traitsIS13_E10value_typeET2_T3_PNS14_IS19_E10value_typeET4_jRbjT5_S1F_jjP12ihipStream_tbEUljE_ZNSN_ISO_Lb1ESR_SS_SU_SV_SZ_EES10_S11_S12_S13_S17_S18_S19_S1C_S1D_jS1E_jS1F_S1F_jjS1H_bEUljE0_EEES10_S11_S12_S19_S1D_S1F_T6_T7_T9_mT8_S1H_bDpT10_ENKUlT_T0_E_clISt17integral_constantIbLb1EES1U_IbLb0EEEEDaS1Q_S1R_EUlS1Q_E_NS1_11comp_targetILNS1_3genE3ELNS1_11target_archE908ELNS1_3gpuE7ELNS1_3repE0EEENS1_30default_config_static_selectorELNS0_4arch9wavefront6targetE0EEEvS13_.kd
    .uniform_work_group_size: 1
    .uses_dynamic_stack: false
    .vgpr_count:     0
    .vgpr_spill_count: 0
    .wavefront_size: 32
    .workgroup_processor_mode: 1
  - .args:
      - .offset:         0
        .size:           176
        .value_kind:     by_value
    .group_segment_fixed_size: 0
    .kernarg_segment_align: 8
    .kernarg_segment_size: 176
    .language:       OpenCL C
    .language_version:
      - 2
      - 0
    .max_flat_workgroup_size: 256
    .name:           _ZN7rocprim17ROCPRIM_400000_NS6detail17trampoline_kernelINS0_13select_configILj256ELj13ELNS0_17block_load_methodE3ELS4_3ELS4_3ELNS0_20block_scan_algorithmE0ELj4294967295EEENS1_25partition_config_selectorILNS1_17partition_subalgoE4EjNS0_10empty_typeEbEEZZNS1_14partition_implILS8_4ELb0ES6_15HIP_vector_typeIjLj2EENS0_17counting_iteratorIjlEEPS9_SG_NS0_5tupleIJPjSI_NS0_16reverse_iteratorISI_EEEEENSH_IJSG_SG_SG_EEES9_SI_JZNS1_25segmented_radix_sort_implINS0_14default_configELb1EPK6__halfPSP_PKlPlN2at6native12_GLOBAL__N_18offset_tEEE10hipError_tPvRmT1_PNSt15iterator_traitsIS13_E10value_typeET2_T3_PNS14_IS19_E10value_typeET4_jRbjT5_S1F_jjP12ihipStream_tbEUljE_ZNSN_ISO_Lb1ESR_SS_SU_SV_SZ_EES10_S11_S12_S13_S17_S18_S19_S1C_S1D_jS1E_jS1F_S1F_jjS1H_bEUljE0_EEES10_S11_S12_S19_S1D_S1F_T6_T7_T9_mT8_S1H_bDpT10_ENKUlT_T0_E_clISt17integral_constantIbLb1EES1U_IbLb0EEEEDaS1Q_S1R_EUlS1Q_E_NS1_11comp_targetILNS1_3genE2ELNS1_11target_archE906ELNS1_3gpuE6ELNS1_3repE0EEENS1_30default_config_static_selectorELNS0_4arch9wavefront6targetE0EEEvS13_
    .private_segment_fixed_size: 0
    .sgpr_count:     0
    .sgpr_spill_count: 0
    .symbol:         _ZN7rocprim17ROCPRIM_400000_NS6detail17trampoline_kernelINS0_13select_configILj256ELj13ELNS0_17block_load_methodE3ELS4_3ELS4_3ELNS0_20block_scan_algorithmE0ELj4294967295EEENS1_25partition_config_selectorILNS1_17partition_subalgoE4EjNS0_10empty_typeEbEEZZNS1_14partition_implILS8_4ELb0ES6_15HIP_vector_typeIjLj2EENS0_17counting_iteratorIjlEEPS9_SG_NS0_5tupleIJPjSI_NS0_16reverse_iteratorISI_EEEEENSH_IJSG_SG_SG_EEES9_SI_JZNS1_25segmented_radix_sort_implINS0_14default_configELb1EPK6__halfPSP_PKlPlN2at6native12_GLOBAL__N_18offset_tEEE10hipError_tPvRmT1_PNSt15iterator_traitsIS13_E10value_typeET2_T3_PNS14_IS19_E10value_typeET4_jRbjT5_S1F_jjP12ihipStream_tbEUljE_ZNSN_ISO_Lb1ESR_SS_SU_SV_SZ_EES10_S11_S12_S13_S17_S18_S19_S1C_S1D_jS1E_jS1F_S1F_jjS1H_bEUljE0_EEES10_S11_S12_S19_S1D_S1F_T6_T7_T9_mT8_S1H_bDpT10_ENKUlT_T0_E_clISt17integral_constantIbLb1EES1U_IbLb0EEEEDaS1Q_S1R_EUlS1Q_E_NS1_11comp_targetILNS1_3genE2ELNS1_11target_archE906ELNS1_3gpuE6ELNS1_3repE0EEENS1_30default_config_static_selectorELNS0_4arch9wavefront6targetE0EEEvS13_.kd
    .uniform_work_group_size: 1
    .uses_dynamic_stack: false
    .vgpr_count:     0
    .vgpr_spill_count: 0
    .wavefront_size: 32
    .workgroup_processor_mode: 1
  - .args:
      - .offset:         0
        .size:           176
        .value_kind:     by_value
    .group_segment_fixed_size: 0
    .kernarg_segment_align: 8
    .kernarg_segment_size: 176
    .language:       OpenCL C
    .language_version:
      - 2
      - 0
    .max_flat_workgroup_size: 256
    .name:           _ZN7rocprim17ROCPRIM_400000_NS6detail17trampoline_kernelINS0_13select_configILj256ELj13ELNS0_17block_load_methodE3ELS4_3ELS4_3ELNS0_20block_scan_algorithmE0ELj4294967295EEENS1_25partition_config_selectorILNS1_17partition_subalgoE4EjNS0_10empty_typeEbEEZZNS1_14partition_implILS8_4ELb0ES6_15HIP_vector_typeIjLj2EENS0_17counting_iteratorIjlEEPS9_SG_NS0_5tupleIJPjSI_NS0_16reverse_iteratorISI_EEEEENSH_IJSG_SG_SG_EEES9_SI_JZNS1_25segmented_radix_sort_implINS0_14default_configELb1EPK6__halfPSP_PKlPlN2at6native12_GLOBAL__N_18offset_tEEE10hipError_tPvRmT1_PNSt15iterator_traitsIS13_E10value_typeET2_T3_PNS14_IS19_E10value_typeET4_jRbjT5_S1F_jjP12ihipStream_tbEUljE_ZNSN_ISO_Lb1ESR_SS_SU_SV_SZ_EES10_S11_S12_S13_S17_S18_S19_S1C_S1D_jS1E_jS1F_S1F_jjS1H_bEUljE0_EEES10_S11_S12_S19_S1D_S1F_T6_T7_T9_mT8_S1H_bDpT10_ENKUlT_T0_E_clISt17integral_constantIbLb1EES1U_IbLb0EEEEDaS1Q_S1R_EUlS1Q_E_NS1_11comp_targetILNS1_3genE10ELNS1_11target_archE1200ELNS1_3gpuE4ELNS1_3repE0EEENS1_30default_config_static_selectorELNS0_4arch9wavefront6targetE0EEEvS13_
    .private_segment_fixed_size: 0
    .sgpr_count:     0
    .sgpr_spill_count: 0
    .symbol:         _ZN7rocprim17ROCPRIM_400000_NS6detail17trampoline_kernelINS0_13select_configILj256ELj13ELNS0_17block_load_methodE3ELS4_3ELS4_3ELNS0_20block_scan_algorithmE0ELj4294967295EEENS1_25partition_config_selectorILNS1_17partition_subalgoE4EjNS0_10empty_typeEbEEZZNS1_14partition_implILS8_4ELb0ES6_15HIP_vector_typeIjLj2EENS0_17counting_iteratorIjlEEPS9_SG_NS0_5tupleIJPjSI_NS0_16reverse_iteratorISI_EEEEENSH_IJSG_SG_SG_EEES9_SI_JZNS1_25segmented_radix_sort_implINS0_14default_configELb1EPK6__halfPSP_PKlPlN2at6native12_GLOBAL__N_18offset_tEEE10hipError_tPvRmT1_PNSt15iterator_traitsIS13_E10value_typeET2_T3_PNS14_IS19_E10value_typeET4_jRbjT5_S1F_jjP12ihipStream_tbEUljE_ZNSN_ISO_Lb1ESR_SS_SU_SV_SZ_EES10_S11_S12_S13_S17_S18_S19_S1C_S1D_jS1E_jS1F_S1F_jjS1H_bEUljE0_EEES10_S11_S12_S19_S1D_S1F_T6_T7_T9_mT8_S1H_bDpT10_ENKUlT_T0_E_clISt17integral_constantIbLb1EES1U_IbLb0EEEEDaS1Q_S1R_EUlS1Q_E_NS1_11comp_targetILNS1_3genE10ELNS1_11target_archE1200ELNS1_3gpuE4ELNS1_3repE0EEENS1_30default_config_static_selectorELNS0_4arch9wavefront6targetE0EEEvS13_.kd
    .uniform_work_group_size: 1
    .uses_dynamic_stack: false
    .vgpr_count:     0
    .vgpr_spill_count: 0
    .wavefront_size: 32
    .workgroup_processor_mode: 1
  - .args:
      - .offset:         0
        .size:           176
        .value_kind:     by_value
    .group_segment_fixed_size: 0
    .kernarg_segment_align: 8
    .kernarg_segment_size: 176
    .language:       OpenCL C
    .language_version:
      - 2
      - 0
    .max_flat_workgroup_size: 256
    .name:           _ZN7rocprim17ROCPRIM_400000_NS6detail17trampoline_kernelINS0_13select_configILj256ELj13ELNS0_17block_load_methodE3ELS4_3ELS4_3ELNS0_20block_scan_algorithmE0ELj4294967295EEENS1_25partition_config_selectorILNS1_17partition_subalgoE4EjNS0_10empty_typeEbEEZZNS1_14partition_implILS8_4ELb0ES6_15HIP_vector_typeIjLj2EENS0_17counting_iteratorIjlEEPS9_SG_NS0_5tupleIJPjSI_NS0_16reverse_iteratorISI_EEEEENSH_IJSG_SG_SG_EEES9_SI_JZNS1_25segmented_radix_sort_implINS0_14default_configELb1EPK6__halfPSP_PKlPlN2at6native12_GLOBAL__N_18offset_tEEE10hipError_tPvRmT1_PNSt15iterator_traitsIS13_E10value_typeET2_T3_PNS14_IS19_E10value_typeET4_jRbjT5_S1F_jjP12ihipStream_tbEUljE_ZNSN_ISO_Lb1ESR_SS_SU_SV_SZ_EES10_S11_S12_S13_S17_S18_S19_S1C_S1D_jS1E_jS1F_S1F_jjS1H_bEUljE0_EEES10_S11_S12_S19_S1D_S1F_T6_T7_T9_mT8_S1H_bDpT10_ENKUlT_T0_E_clISt17integral_constantIbLb1EES1U_IbLb0EEEEDaS1Q_S1R_EUlS1Q_E_NS1_11comp_targetILNS1_3genE9ELNS1_11target_archE1100ELNS1_3gpuE3ELNS1_3repE0EEENS1_30default_config_static_selectorELNS0_4arch9wavefront6targetE0EEEvS13_
    .private_segment_fixed_size: 0
    .sgpr_count:     0
    .sgpr_spill_count: 0
    .symbol:         _ZN7rocprim17ROCPRIM_400000_NS6detail17trampoline_kernelINS0_13select_configILj256ELj13ELNS0_17block_load_methodE3ELS4_3ELS4_3ELNS0_20block_scan_algorithmE0ELj4294967295EEENS1_25partition_config_selectorILNS1_17partition_subalgoE4EjNS0_10empty_typeEbEEZZNS1_14partition_implILS8_4ELb0ES6_15HIP_vector_typeIjLj2EENS0_17counting_iteratorIjlEEPS9_SG_NS0_5tupleIJPjSI_NS0_16reverse_iteratorISI_EEEEENSH_IJSG_SG_SG_EEES9_SI_JZNS1_25segmented_radix_sort_implINS0_14default_configELb1EPK6__halfPSP_PKlPlN2at6native12_GLOBAL__N_18offset_tEEE10hipError_tPvRmT1_PNSt15iterator_traitsIS13_E10value_typeET2_T3_PNS14_IS19_E10value_typeET4_jRbjT5_S1F_jjP12ihipStream_tbEUljE_ZNSN_ISO_Lb1ESR_SS_SU_SV_SZ_EES10_S11_S12_S13_S17_S18_S19_S1C_S1D_jS1E_jS1F_S1F_jjS1H_bEUljE0_EEES10_S11_S12_S19_S1D_S1F_T6_T7_T9_mT8_S1H_bDpT10_ENKUlT_T0_E_clISt17integral_constantIbLb1EES1U_IbLb0EEEEDaS1Q_S1R_EUlS1Q_E_NS1_11comp_targetILNS1_3genE9ELNS1_11target_archE1100ELNS1_3gpuE3ELNS1_3repE0EEENS1_30default_config_static_selectorELNS0_4arch9wavefront6targetE0EEEvS13_.kd
    .uniform_work_group_size: 1
    .uses_dynamic_stack: false
    .vgpr_count:     0
    .vgpr_spill_count: 0
    .wavefront_size: 32
    .workgroup_processor_mode: 1
  - .args:
      - .offset:         0
        .size:           176
        .value_kind:     by_value
    .group_segment_fixed_size: 0
    .kernarg_segment_align: 8
    .kernarg_segment_size: 176
    .language:       OpenCL C
    .language_version:
      - 2
      - 0
    .max_flat_workgroup_size: 256
    .name:           _ZN7rocprim17ROCPRIM_400000_NS6detail17trampoline_kernelINS0_13select_configILj256ELj13ELNS0_17block_load_methodE3ELS4_3ELS4_3ELNS0_20block_scan_algorithmE0ELj4294967295EEENS1_25partition_config_selectorILNS1_17partition_subalgoE4EjNS0_10empty_typeEbEEZZNS1_14partition_implILS8_4ELb0ES6_15HIP_vector_typeIjLj2EENS0_17counting_iteratorIjlEEPS9_SG_NS0_5tupleIJPjSI_NS0_16reverse_iteratorISI_EEEEENSH_IJSG_SG_SG_EEES9_SI_JZNS1_25segmented_radix_sort_implINS0_14default_configELb1EPK6__halfPSP_PKlPlN2at6native12_GLOBAL__N_18offset_tEEE10hipError_tPvRmT1_PNSt15iterator_traitsIS13_E10value_typeET2_T3_PNS14_IS19_E10value_typeET4_jRbjT5_S1F_jjP12ihipStream_tbEUljE_ZNSN_ISO_Lb1ESR_SS_SU_SV_SZ_EES10_S11_S12_S13_S17_S18_S19_S1C_S1D_jS1E_jS1F_S1F_jjS1H_bEUljE0_EEES10_S11_S12_S19_S1D_S1F_T6_T7_T9_mT8_S1H_bDpT10_ENKUlT_T0_E_clISt17integral_constantIbLb1EES1U_IbLb0EEEEDaS1Q_S1R_EUlS1Q_E_NS1_11comp_targetILNS1_3genE8ELNS1_11target_archE1030ELNS1_3gpuE2ELNS1_3repE0EEENS1_30default_config_static_selectorELNS0_4arch9wavefront6targetE0EEEvS13_
    .private_segment_fixed_size: 0
    .sgpr_count:     0
    .sgpr_spill_count: 0
    .symbol:         _ZN7rocprim17ROCPRIM_400000_NS6detail17trampoline_kernelINS0_13select_configILj256ELj13ELNS0_17block_load_methodE3ELS4_3ELS4_3ELNS0_20block_scan_algorithmE0ELj4294967295EEENS1_25partition_config_selectorILNS1_17partition_subalgoE4EjNS0_10empty_typeEbEEZZNS1_14partition_implILS8_4ELb0ES6_15HIP_vector_typeIjLj2EENS0_17counting_iteratorIjlEEPS9_SG_NS0_5tupleIJPjSI_NS0_16reverse_iteratorISI_EEEEENSH_IJSG_SG_SG_EEES9_SI_JZNS1_25segmented_radix_sort_implINS0_14default_configELb1EPK6__halfPSP_PKlPlN2at6native12_GLOBAL__N_18offset_tEEE10hipError_tPvRmT1_PNSt15iterator_traitsIS13_E10value_typeET2_T3_PNS14_IS19_E10value_typeET4_jRbjT5_S1F_jjP12ihipStream_tbEUljE_ZNSN_ISO_Lb1ESR_SS_SU_SV_SZ_EES10_S11_S12_S13_S17_S18_S19_S1C_S1D_jS1E_jS1F_S1F_jjS1H_bEUljE0_EEES10_S11_S12_S19_S1D_S1F_T6_T7_T9_mT8_S1H_bDpT10_ENKUlT_T0_E_clISt17integral_constantIbLb1EES1U_IbLb0EEEEDaS1Q_S1R_EUlS1Q_E_NS1_11comp_targetILNS1_3genE8ELNS1_11target_archE1030ELNS1_3gpuE2ELNS1_3repE0EEENS1_30default_config_static_selectorELNS0_4arch9wavefront6targetE0EEEvS13_.kd
    .uniform_work_group_size: 1
    .uses_dynamic_stack: false
    .vgpr_count:     0
    .vgpr_spill_count: 0
    .wavefront_size: 32
    .workgroup_processor_mode: 1
  - .args:
      - .offset:         0
        .size:           184
        .value_kind:     by_value
    .group_segment_fixed_size: 0
    .kernarg_segment_align: 8
    .kernarg_segment_size: 184
    .language:       OpenCL C
    .language_version:
      - 2
      - 0
    .max_flat_workgroup_size: 256
    .name:           _ZN7rocprim17ROCPRIM_400000_NS6detail17trampoline_kernelINS0_13select_configILj256ELj13ELNS0_17block_load_methodE3ELS4_3ELS4_3ELNS0_20block_scan_algorithmE0ELj4294967295EEENS1_25partition_config_selectorILNS1_17partition_subalgoE4EjNS0_10empty_typeEbEEZZNS1_14partition_implILS8_4ELb0ES6_15HIP_vector_typeIjLj2EENS0_17counting_iteratorIjlEEPS9_SG_NS0_5tupleIJPjSI_NS0_16reverse_iteratorISI_EEEEENSH_IJSG_SG_SG_EEES9_SI_JZNS1_25segmented_radix_sort_implINS0_14default_configELb1EPK6__halfPSP_PKlPlN2at6native12_GLOBAL__N_18offset_tEEE10hipError_tPvRmT1_PNSt15iterator_traitsIS13_E10value_typeET2_T3_PNS14_IS19_E10value_typeET4_jRbjT5_S1F_jjP12ihipStream_tbEUljE_ZNSN_ISO_Lb1ESR_SS_SU_SV_SZ_EES10_S11_S12_S13_S17_S18_S19_S1C_S1D_jS1E_jS1F_S1F_jjS1H_bEUljE0_EEES10_S11_S12_S19_S1D_S1F_T6_T7_T9_mT8_S1H_bDpT10_ENKUlT_T0_E_clISt17integral_constantIbLb0EES1U_IbLb1EEEEDaS1Q_S1R_EUlS1Q_E_NS1_11comp_targetILNS1_3genE0ELNS1_11target_archE4294967295ELNS1_3gpuE0ELNS1_3repE0EEENS1_30default_config_static_selectorELNS0_4arch9wavefront6targetE0EEEvS13_
    .private_segment_fixed_size: 0
    .sgpr_count:     0
    .sgpr_spill_count: 0
    .symbol:         _ZN7rocprim17ROCPRIM_400000_NS6detail17trampoline_kernelINS0_13select_configILj256ELj13ELNS0_17block_load_methodE3ELS4_3ELS4_3ELNS0_20block_scan_algorithmE0ELj4294967295EEENS1_25partition_config_selectorILNS1_17partition_subalgoE4EjNS0_10empty_typeEbEEZZNS1_14partition_implILS8_4ELb0ES6_15HIP_vector_typeIjLj2EENS0_17counting_iteratorIjlEEPS9_SG_NS0_5tupleIJPjSI_NS0_16reverse_iteratorISI_EEEEENSH_IJSG_SG_SG_EEES9_SI_JZNS1_25segmented_radix_sort_implINS0_14default_configELb1EPK6__halfPSP_PKlPlN2at6native12_GLOBAL__N_18offset_tEEE10hipError_tPvRmT1_PNSt15iterator_traitsIS13_E10value_typeET2_T3_PNS14_IS19_E10value_typeET4_jRbjT5_S1F_jjP12ihipStream_tbEUljE_ZNSN_ISO_Lb1ESR_SS_SU_SV_SZ_EES10_S11_S12_S13_S17_S18_S19_S1C_S1D_jS1E_jS1F_S1F_jjS1H_bEUljE0_EEES10_S11_S12_S19_S1D_S1F_T6_T7_T9_mT8_S1H_bDpT10_ENKUlT_T0_E_clISt17integral_constantIbLb0EES1U_IbLb1EEEEDaS1Q_S1R_EUlS1Q_E_NS1_11comp_targetILNS1_3genE0ELNS1_11target_archE4294967295ELNS1_3gpuE0ELNS1_3repE0EEENS1_30default_config_static_selectorELNS0_4arch9wavefront6targetE0EEEvS13_.kd
    .uniform_work_group_size: 1
    .uses_dynamic_stack: false
    .vgpr_count:     0
    .vgpr_spill_count: 0
    .wavefront_size: 32
    .workgroup_processor_mode: 1
  - .args:
      - .offset:         0
        .size:           184
        .value_kind:     by_value
    .group_segment_fixed_size: 0
    .kernarg_segment_align: 8
    .kernarg_segment_size: 184
    .language:       OpenCL C
    .language_version:
      - 2
      - 0
    .max_flat_workgroup_size: 256
    .name:           _ZN7rocprim17ROCPRIM_400000_NS6detail17trampoline_kernelINS0_13select_configILj256ELj13ELNS0_17block_load_methodE3ELS4_3ELS4_3ELNS0_20block_scan_algorithmE0ELj4294967295EEENS1_25partition_config_selectorILNS1_17partition_subalgoE4EjNS0_10empty_typeEbEEZZNS1_14partition_implILS8_4ELb0ES6_15HIP_vector_typeIjLj2EENS0_17counting_iteratorIjlEEPS9_SG_NS0_5tupleIJPjSI_NS0_16reverse_iteratorISI_EEEEENSH_IJSG_SG_SG_EEES9_SI_JZNS1_25segmented_radix_sort_implINS0_14default_configELb1EPK6__halfPSP_PKlPlN2at6native12_GLOBAL__N_18offset_tEEE10hipError_tPvRmT1_PNSt15iterator_traitsIS13_E10value_typeET2_T3_PNS14_IS19_E10value_typeET4_jRbjT5_S1F_jjP12ihipStream_tbEUljE_ZNSN_ISO_Lb1ESR_SS_SU_SV_SZ_EES10_S11_S12_S13_S17_S18_S19_S1C_S1D_jS1E_jS1F_S1F_jjS1H_bEUljE0_EEES10_S11_S12_S19_S1D_S1F_T6_T7_T9_mT8_S1H_bDpT10_ENKUlT_T0_E_clISt17integral_constantIbLb0EES1U_IbLb1EEEEDaS1Q_S1R_EUlS1Q_E_NS1_11comp_targetILNS1_3genE5ELNS1_11target_archE942ELNS1_3gpuE9ELNS1_3repE0EEENS1_30default_config_static_selectorELNS0_4arch9wavefront6targetE0EEEvS13_
    .private_segment_fixed_size: 0
    .sgpr_count:     0
    .sgpr_spill_count: 0
    .symbol:         _ZN7rocprim17ROCPRIM_400000_NS6detail17trampoline_kernelINS0_13select_configILj256ELj13ELNS0_17block_load_methodE3ELS4_3ELS4_3ELNS0_20block_scan_algorithmE0ELj4294967295EEENS1_25partition_config_selectorILNS1_17partition_subalgoE4EjNS0_10empty_typeEbEEZZNS1_14partition_implILS8_4ELb0ES6_15HIP_vector_typeIjLj2EENS0_17counting_iteratorIjlEEPS9_SG_NS0_5tupleIJPjSI_NS0_16reverse_iteratorISI_EEEEENSH_IJSG_SG_SG_EEES9_SI_JZNS1_25segmented_radix_sort_implINS0_14default_configELb1EPK6__halfPSP_PKlPlN2at6native12_GLOBAL__N_18offset_tEEE10hipError_tPvRmT1_PNSt15iterator_traitsIS13_E10value_typeET2_T3_PNS14_IS19_E10value_typeET4_jRbjT5_S1F_jjP12ihipStream_tbEUljE_ZNSN_ISO_Lb1ESR_SS_SU_SV_SZ_EES10_S11_S12_S13_S17_S18_S19_S1C_S1D_jS1E_jS1F_S1F_jjS1H_bEUljE0_EEES10_S11_S12_S19_S1D_S1F_T6_T7_T9_mT8_S1H_bDpT10_ENKUlT_T0_E_clISt17integral_constantIbLb0EES1U_IbLb1EEEEDaS1Q_S1R_EUlS1Q_E_NS1_11comp_targetILNS1_3genE5ELNS1_11target_archE942ELNS1_3gpuE9ELNS1_3repE0EEENS1_30default_config_static_selectorELNS0_4arch9wavefront6targetE0EEEvS13_.kd
    .uniform_work_group_size: 1
    .uses_dynamic_stack: false
    .vgpr_count:     0
    .vgpr_spill_count: 0
    .wavefront_size: 32
    .workgroup_processor_mode: 1
  - .args:
      - .offset:         0
        .size:           184
        .value_kind:     by_value
    .group_segment_fixed_size: 0
    .kernarg_segment_align: 8
    .kernarg_segment_size: 184
    .language:       OpenCL C
    .language_version:
      - 2
      - 0
    .max_flat_workgroup_size: 256
    .name:           _ZN7rocprim17ROCPRIM_400000_NS6detail17trampoline_kernelINS0_13select_configILj256ELj13ELNS0_17block_load_methodE3ELS4_3ELS4_3ELNS0_20block_scan_algorithmE0ELj4294967295EEENS1_25partition_config_selectorILNS1_17partition_subalgoE4EjNS0_10empty_typeEbEEZZNS1_14partition_implILS8_4ELb0ES6_15HIP_vector_typeIjLj2EENS0_17counting_iteratorIjlEEPS9_SG_NS0_5tupleIJPjSI_NS0_16reverse_iteratorISI_EEEEENSH_IJSG_SG_SG_EEES9_SI_JZNS1_25segmented_radix_sort_implINS0_14default_configELb1EPK6__halfPSP_PKlPlN2at6native12_GLOBAL__N_18offset_tEEE10hipError_tPvRmT1_PNSt15iterator_traitsIS13_E10value_typeET2_T3_PNS14_IS19_E10value_typeET4_jRbjT5_S1F_jjP12ihipStream_tbEUljE_ZNSN_ISO_Lb1ESR_SS_SU_SV_SZ_EES10_S11_S12_S13_S17_S18_S19_S1C_S1D_jS1E_jS1F_S1F_jjS1H_bEUljE0_EEES10_S11_S12_S19_S1D_S1F_T6_T7_T9_mT8_S1H_bDpT10_ENKUlT_T0_E_clISt17integral_constantIbLb0EES1U_IbLb1EEEEDaS1Q_S1R_EUlS1Q_E_NS1_11comp_targetILNS1_3genE4ELNS1_11target_archE910ELNS1_3gpuE8ELNS1_3repE0EEENS1_30default_config_static_selectorELNS0_4arch9wavefront6targetE0EEEvS13_
    .private_segment_fixed_size: 0
    .sgpr_count:     0
    .sgpr_spill_count: 0
    .symbol:         _ZN7rocprim17ROCPRIM_400000_NS6detail17trampoline_kernelINS0_13select_configILj256ELj13ELNS0_17block_load_methodE3ELS4_3ELS4_3ELNS0_20block_scan_algorithmE0ELj4294967295EEENS1_25partition_config_selectorILNS1_17partition_subalgoE4EjNS0_10empty_typeEbEEZZNS1_14partition_implILS8_4ELb0ES6_15HIP_vector_typeIjLj2EENS0_17counting_iteratorIjlEEPS9_SG_NS0_5tupleIJPjSI_NS0_16reverse_iteratorISI_EEEEENSH_IJSG_SG_SG_EEES9_SI_JZNS1_25segmented_radix_sort_implINS0_14default_configELb1EPK6__halfPSP_PKlPlN2at6native12_GLOBAL__N_18offset_tEEE10hipError_tPvRmT1_PNSt15iterator_traitsIS13_E10value_typeET2_T3_PNS14_IS19_E10value_typeET4_jRbjT5_S1F_jjP12ihipStream_tbEUljE_ZNSN_ISO_Lb1ESR_SS_SU_SV_SZ_EES10_S11_S12_S13_S17_S18_S19_S1C_S1D_jS1E_jS1F_S1F_jjS1H_bEUljE0_EEES10_S11_S12_S19_S1D_S1F_T6_T7_T9_mT8_S1H_bDpT10_ENKUlT_T0_E_clISt17integral_constantIbLb0EES1U_IbLb1EEEEDaS1Q_S1R_EUlS1Q_E_NS1_11comp_targetILNS1_3genE4ELNS1_11target_archE910ELNS1_3gpuE8ELNS1_3repE0EEENS1_30default_config_static_selectorELNS0_4arch9wavefront6targetE0EEEvS13_.kd
    .uniform_work_group_size: 1
    .uses_dynamic_stack: false
    .vgpr_count:     0
    .vgpr_spill_count: 0
    .wavefront_size: 32
    .workgroup_processor_mode: 1
  - .args:
      - .offset:         0
        .size:           184
        .value_kind:     by_value
    .group_segment_fixed_size: 0
    .kernarg_segment_align: 8
    .kernarg_segment_size: 184
    .language:       OpenCL C
    .language_version:
      - 2
      - 0
    .max_flat_workgroup_size: 256
    .name:           _ZN7rocprim17ROCPRIM_400000_NS6detail17trampoline_kernelINS0_13select_configILj256ELj13ELNS0_17block_load_methodE3ELS4_3ELS4_3ELNS0_20block_scan_algorithmE0ELj4294967295EEENS1_25partition_config_selectorILNS1_17partition_subalgoE4EjNS0_10empty_typeEbEEZZNS1_14partition_implILS8_4ELb0ES6_15HIP_vector_typeIjLj2EENS0_17counting_iteratorIjlEEPS9_SG_NS0_5tupleIJPjSI_NS0_16reverse_iteratorISI_EEEEENSH_IJSG_SG_SG_EEES9_SI_JZNS1_25segmented_radix_sort_implINS0_14default_configELb1EPK6__halfPSP_PKlPlN2at6native12_GLOBAL__N_18offset_tEEE10hipError_tPvRmT1_PNSt15iterator_traitsIS13_E10value_typeET2_T3_PNS14_IS19_E10value_typeET4_jRbjT5_S1F_jjP12ihipStream_tbEUljE_ZNSN_ISO_Lb1ESR_SS_SU_SV_SZ_EES10_S11_S12_S13_S17_S18_S19_S1C_S1D_jS1E_jS1F_S1F_jjS1H_bEUljE0_EEES10_S11_S12_S19_S1D_S1F_T6_T7_T9_mT8_S1H_bDpT10_ENKUlT_T0_E_clISt17integral_constantIbLb0EES1U_IbLb1EEEEDaS1Q_S1R_EUlS1Q_E_NS1_11comp_targetILNS1_3genE3ELNS1_11target_archE908ELNS1_3gpuE7ELNS1_3repE0EEENS1_30default_config_static_selectorELNS0_4arch9wavefront6targetE0EEEvS13_
    .private_segment_fixed_size: 0
    .sgpr_count:     0
    .sgpr_spill_count: 0
    .symbol:         _ZN7rocprim17ROCPRIM_400000_NS6detail17trampoline_kernelINS0_13select_configILj256ELj13ELNS0_17block_load_methodE3ELS4_3ELS4_3ELNS0_20block_scan_algorithmE0ELj4294967295EEENS1_25partition_config_selectorILNS1_17partition_subalgoE4EjNS0_10empty_typeEbEEZZNS1_14partition_implILS8_4ELb0ES6_15HIP_vector_typeIjLj2EENS0_17counting_iteratorIjlEEPS9_SG_NS0_5tupleIJPjSI_NS0_16reverse_iteratorISI_EEEEENSH_IJSG_SG_SG_EEES9_SI_JZNS1_25segmented_radix_sort_implINS0_14default_configELb1EPK6__halfPSP_PKlPlN2at6native12_GLOBAL__N_18offset_tEEE10hipError_tPvRmT1_PNSt15iterator_traitsIS13_E10value_typeET2_T3_PNS14_IS19_E10value_typeET4_jRbjT5_S1F_jjP12ihipStream_tbEUljE_ZNSN_ISO_Lb1ESR_SS_SU_SV_SZ_EES10_S11_S12_S13_S17_S18_S19_S1C_S1D_jS1E_jS1F_S1F_jjS1H_bEUljE0_EEES10_S11_S12_S19_S1D_S1F_T6_T7_T9_mT8_S1H_bDpT10_ENKUlT_T0_E_clISt17integral_constantIbLb0EES1U_IbLb1EEEEDaS1Q_S1R_EUlS1Q_E_NS1_11comp_targetILNS1_3genE3ELNS1_11target_archE908ELNS1_3gpuE7ELNS1_3repE0EEENS1_30default_config_static_selectorELNS0_4arch9wavefront6targetE0EEEvS13_.kd
    .uniform_work_group_size: 1
    .uses_dynamic_stack: false
    .vgpr_count:     0
    .vgpr_spill_count: 0
    .wavefront_size: 32
    .workgroup_processor_mode: 1
  - .args:
      - .offset:         0
        .size:           184
        .value_kind:     by_value
    .group_segment_fixed_size: 0
    .kernarg_segment_align: 8
    .kernarg_segment_size: 184
    .language:       OpenCL C
    .language_version:
      - 2
      - 0
    .max_flat_workgroup_size: 256
    .name:           _ZN7rocprim17ROCPRIM_400000_NS6detail17trampoline_kernelINS0_13select_configILj256ELj13ELNS0_17block_load_methodE3ELS4_3ELS4_3ELNS0_20block_scan_algorithmE0ELj4294967295EEENS1_25partition_config_selectorILNS1_17partition_subalgoE4EjNS0_10empty_typeEbEEZZNS1_14partition_implILS8_4ELb0ES6_15HIP_vector_typeIjLj2EENS0_17counting_iteratorIjlEEPS9_SG_NS0_5tupleIJPjSI_NS0_16reverse_iteratorISI_EEEEENSH_IJSG_SG_SG_EEES9_SI_JZNS1_25segmented_radix_sort_implINS0_14default_configELb1EPK6__halfPSP_PKlPlN2at6native12_GLOBAL__N_18offset_tEEE10hipError_tPvRmT1_PNSt15iterator_traitsIS13_E10value_typeET2_T3_PNS14_IS19_E10value_typeET4_jRbjT5_S1F_jjP12ihipStream_tbEUljE_ZNSN_ISO_Lb1ESR_SS_SU_SV_SZ_EES10_S11_S12_S13_S17_S18_S19_S1C_S1D_jS1E_jS1F_S1F_jjS1H_bEUljE0_EEES10_S11_S12_S19_S1D_S1F_T6_T7_T9_mT8_S1H_bDpT10_ENKUlT_T0_E_clISt17integral_constantIbLb0EES1U_IbLb1EEEEDaS1Q_S1R_EUlS1Q_E_NS1_11comp_targetILNS1_3genE2ELNS1_11target_archE906ELNS1_3gpuE6ELNS1_3repE0EEENS1_30default_config_static_selectorELNS0_4arch9wavefront6targetE0EEEvS13_
    .private_segment_fixed_size: 0
    .sgpr_count:     0
    .sgpr_spill_count: 0
    .symbol:         _ZN7rocprim17ROCPRIM_400000_NS6detail17trampoline_kernelINS0_13select_configILj256ELj13ELNS0_17block_load_methodE3ELS4_3ELS4_3ELNS0_20block_scan_algorithmE0ELj4294967295EEENS1_25partition_config_selectorILNS1_17partition_subalgoE4EjNS0_10empty_typeEbEEZZNS1_14partition_implILS8_4ELb0ES6_15HIP_vector_typeIjLj2EENS0_17counting_iteratorIjlEEPS9_SG_NS0_5tupleIJPjSI_NS0_16reverse_iteratorISI_EEEEENSH_IJSG_SG_SG_EEES9_SI_JZNS1_25segmented_radix_sort_implINS0_14default_configELb1EPK6__halfPSP_PKlPlN2at6native12_GLOBAL__N_18offset_tEEE10hipError_tPvRmT1_PNSt15iterator_traitsIS13_E10value_typeET2_T3_PNS14_IS19_E10value_typeET4_jRbjT5_S1F_jjP12ihipStream_tbEUljE_ZNSN_ISO_Lb1ESR_SS_SU_SV_SZ_EES10_S11_S12_S13_S17_S18_S19_S1C_S1D_jS1E_jS1F_S1F_jjS1H_bEUljE0_EEES10_S11_S12_S19_S1D_S1F_T6_T7_T9_mT8_S1H_bDpT10_ENKUlT_T0_E_clISt17integral_constantIbLb0EES1U_IbLb1EEEEDaS1Q_S1R_EUlS1Q_E_NS1_11comp_targetILNS1_3genE2ELNS1_11target_archE906ELNS1_3gpuE6ELNS1_3repE0EEENS1_30default_config_static_selectorELNS0_4arch9wavefront6targetE0EEEvS13_.kd
    .uniform_work_group_size: 1
    .uses_dynamic_stack: false
    .vgpr_count:     0
    .vgpr_spill_count: 0
    .wavefront_size: 32
    .workgroup_processor_mode: 1
  - .args:
      - .offset:         0
        .size:           184
        .value_kind:     by_value
    .group_segment_fixed_size: 13328
    .kernarg_segment_align: 8
    .kernarg_segment_size: 184
    .language:       OpenCL C
    .language_version:
      - 2
      - 0
    .max_flat_workgroup_size: 256
    .name:           _ZN7rocprim17ROCPRIM_400000_NS6detail17trampoline_kernelINS0_13select_configILj256ELj13ELNS0_17block_load_methodE3ELS4_3ELS4_3ELNS0_20block_scan_algorithmE0ELj4294967295EEENS1_25partition_config_selectorILNS1_17partition_subalgoE4EjNS0_10empty_typeEbEEZZNS1_14partition_implILS8_4ELb0ES6_15HIP_vector_typeIjLj2EENS0_17counting_iteratorIjlEEPS9_SG_NS0_5tupleIJPjSI_NS0_16reverse_iteratorISI_EEEEENSH_IJSG_SG_SG_EEES9_SI_JZNS1_25segmented_radix_sort_implINS0_14default_configELb1EPK6__halfPSP_PKlPlN2at6native12_GLOBAL__N_18offset_tEEE10hipError_tPvRmT1_PNSt15iterator_traitsIS13_E10value_typeET2_T3_PNS14_IS19_E10value_typeET4_jRbjT5_S1F_jjP12ihipStream_tbEUljE_ZNSN_ISO_Lb1ESR_SS_SU_SV_SZ_EES10_S11_S12_S13_S17_S18_S19_S1C_S1D_jS1E_jS1F_S1F_jjS1H_bEUljE0_EEES10_S11_S12_S19_S1D_S1F_T6_T7_T9_mT8_S1H_bDpT10_ENKUlT_T0_E_clISt17integral_constantIbLb0EES1U_IbLb1EEEEDaS1Q_S1R_EUlS1Q_E_NS1_11comp_targetILNS1_3genE10ELNS1_11target_archE1200ELNS1_3gpuE4ELNS1_3repE0EEENS1_30default_config_static_selectorELNS0_4arch9wavefront6targetE0EEEvS13_
    .private_segment_fixed_size: 0
    .sgpr_count:     57
    .sgpr_spill_count: 0
    .symbol:         _ZN7rocprim17ROCPRIM_400000_NS6detail17trampoline_kernelINS0_13select_configILj256ELj13ELNS0_17block_load_methodE3ELS4_3ELS4_3ELNS0_20block_scan_algorithmE0ELj4294967295EEENS1_25partition_config_selectorILNS1_17partition_subalgoE4EjNS0_10empty_typeEbEEZZNS1_14partition_implILS8_4ELb0ES6_15HIP_vector_typeIjLj2EENS0_17counting_iteratorIjlEEPS9_SG_NS0_5tupleIJPjSI_NS0_16reverse_iteratorISI_EEEEENSH_IJSG_SG_SG_EEES9_SI_JZNS1_25segmented_radix_sort_implINS0_14default_configELb1EPK6__halfPSP_PKlPlN2at6native12_GLOBAL__N_18offset_tEEE10hipError_tPvRmT1_PNSt15iterator_traitsIS13_E10value_typeET2_T3_PNS14_IS19_E10value_typeET4_jRbjT5_S1F_jjP12ihipStream_tbEUljE_ZNSN_ISO_Lb1ESR_SS_SU_SV_SZ_EES10_S11_S12_S13_S17_S18_S19_S1C_S1D_jS1E_jS1F_S1F_jjS1H_bEUljE0_EEES10_S11_S12_S19_S1D_S1F_T6_T7_T9_mT8_S1H_bDpT10_ENKUlT_T0_E_clISt17integral_constantIbLb0EES1U_IbLb1EEEEDaS1Q_S1R_EUlS1Q_E_NS1_11comp_targetILNS1_3genE10ELNS1_11target_archE1200ELNS1_3gpuE4ELNS1_3repE0EEENS1_30default_config_static_selectorELNS0_4arch9wavefront6targetE0EEEvS13_.kd
    .uniform_work_group_size: 1
    .uses_dynamic_stack: false
    .vgpr_count:     98
    .vgpr_spill_count: 0
    .wavefront_size: 32
    .workgroup_processor_mode: 1
  - .args:
      - .offset:         0
        .size:           184
        .value_kind:     by_value
    .group_segment_fixed_size: 0
    .kernarg_segment_align: 8
    .kernarg_segment_size: 184
    .language:       OpenCL C
    .language_version:
      - 2
      - 0
    .max_flat_workgroup_size: 256
    .name:           _ZN7rocprim17ROCPRIM_400000_NS6detail17trampoline_kernelINS0_13select_configILj256ELj13ELNS0_17block_load_methodE3ELS4_3ELS4_3ELNS0_20block_scan_algorithmE0ELj4294967295EEENS1_25partition_config_selectorILNS1_17partition_subalgoE4EjNS0_10empty_typeEbEEZZNS1_14partition_implILS8_4ELb0ES6_15HIP_vector_typeIjLj2EENS0_17counting_iteratorIjlEEPS9_SG_NS0_5tupleIJPjSI_NS0_16reverse_iteratorISI_EEEEENSH_IJSG_SG_SG_EEES9_SI_JZNS1_25segmented_radix_sort_implINS0_14default_configELb1EPK6__halfPSP_PKlPlN2at6native12_GLOBAL__N_18offset_tEEE10hipError_tPvRmT1_PNSt15iterator_traitsIS13_E10value_typeET2_T3_PNS14_IS19_E10value_typeET4_jRbjT5_S1F_jjP12ihipStream_tbEUljE_ZNSN_ISO_Lb1ESR_SS_SU_SV_SZ_EES10_S11_S12_S13_S17_S18_S19_S1C_S1D_jS1E_jS1F_S1F_jjS1H_bEUljE0_EEES10_S11_S12_S19_S1D_S1F_T6_T7_T9_mT8_S1H_bDpT10_ENKUlT_T0_E_clISt17integral_constantIbLb0EES1U_IbLb1EEEEDaS1Q_S1R_EUlS1Q_E_NS1_11comp_targetILNS1_3genE9ELNS1_11target_archE1100ELNS1_3gpuE3ELNS1_3repE0EEENS1_30default_config_static_selectorELNS0_4arch9wavefront6targetE0EEEvS13_
    .private_segment_fixed_size: 0
    .sgpr_count:     0
    .sgpr_spill_count: 0
    .symbol:         _ZN7rocprim17ROCPRIM_400000_NS6detail17trampoline_kernelINS0_13select_configILj256ELj13ELNS0_17block_load_methodE3ELS4_3ELS4_3ELNS0_20block_scan_algorithmE0ELj4294967295EEENS1_25partition_config_selectorILNS1_17partition_subalgoE4EjNS0_10empty_typeEbEEZZNS1_14partition_implILS8_4ELb0ES6_15HIP_vector_typeIjLj2EENS0_17counting_iteratorIjlEEPS9_SG_NS0_5tupleIJPjSI_NS0_16reverse_iteratorISI_EEEEENSH_IJSG_SG_SG_EEES9_SI_JZNS1_25segmented_radix_sort_implINS0_14default_configELb1EPK6__halfPSP_PKlPlN2at6native12_GLOBAL__N_18offset_tEEE10hipError_tPvRmT1_PNSt15iterator_traitsIS13_E10value_typeET2_T3_PNS14_IS19_E10value_typeET4_jRbjT5_S1F_jjP12ihipStream_tbEUljE_ZNSN_ISO_Lb1ESR_SS_SU_SV_SZ_EES10_S11_S12_S13_S17_S18_S19_S1C_S1D_jS1E_jS1F_S1F_jjS1H_bEUljE0_EEES10_S11_S12_S19_S1D_S1F_T6_T7_T9_mT8_S1H_bDpT10_ENKUlT_T0_E_clISt17integral_constantIbLb0EES1U_IbLb1EEEEDaS1Q_S1R_EUlS1Q_E_NS1_11comp_targetILNS1_3genE9ELNS1_11target_archE1100ELNS1_3gpuE3ELNS1_3repE0EEENS1_30default_config_static_selectorELNS0_4arch9wavefront6targetE0EEEvS13_.kd
    .uniform_work_group_size: 1
    .uses_dynamic_stack: false
    .vgpr_count:     0
    .vgpr_spill_count: 0
    .wavefront_size: 32
    .workgroup_processor_mode: 1
  - .args:
      - .offset:         0
        .size:           184
        .value_kind:     by_value
    .group_segment_fixed_size: 0
    .kernarg_segment_align: 8
    .kernarg_segment_size: 184
    .language:       OpenCL C
    .language_version:
      - 2
      - 0
    .max_flat_workgroup_size: 256
    .name:           _ZN7rocprim17ROCPRIM_400000_NS6detail17trampoline_kernelINS0_13select_configILj256ELj13ELNS0_17block_load_methodE3ELS4_3ELS4_3ELNS0_20block_scan_algorithmE0ELj4294967295EEENS1_25partition_config_selectorILNS1_17partition_subalgoE4EjNS0_10empty_typeEbEEZZNS1_14partition_implILS8_4ELb0ES6_15HIP_vector_typeIjLj2EENS0_17counting_iteratorIjlEEPS9_SG_NS0_5tupleIJPjSI_NS0_16reverse_iteratorISI_EEEEENSH_IJSG_SG_SG_EEES9_SI_JZNS1_25segmented_radix_sort_implINS0_14default_configELb1EPK6__halfPSP_PKlPlN2at6native12_GLOBAL__N_18offset_tEEE10hipError_tPvRmT1_PNSt15iterator_traitsIS13_E10value_typeET2_T3_PNS14_IS19_E10value_typeET4_jRbjT5_S1F_jjP12ihipStream_tbEUljE_ZNSN_ISO_Lb1ESR_SS_SU_SV_SZ_EES10_S11_S12_S13_S17_S18_S19_S1C_S1D_jS1E_jS1F_S1F_jjS1H_bEUljE0_EEES10_S11_S12_S19_S1D_S1F_T6_T7_T9_mT8_S1H_bDpT10_ENKUlT_T0_E_clISt17integral_constantIbLb0EES1U_IbLb1EEEEDaS1Q_S1R_EUlS1Q_E_NS1_11comp_targetILNS1_3genE8ELNS1_11target_archE1030ELNS1_3gpuE2ELNS1_3repE0EEENS1_30default_config_static_selectorELNS0_4arch9wavefront6targetE0EEEvS13_
    .private_segment_fixed_size: 0
    .sgpr_count:     0
    .sgpr_spill_count: 0
    .symbol:         _ZN7rocprim17ROCPRIM_400000_NS6detail17trampoline_kernelINS0_13select_configILj256ELj13ELNS0_17block_load_methodE3ELS4_3ELS4_3ELNS0_20block_scan_algorithmE0ELj4294967295EEENS1_25partition_config_selectorILNS1_17partition_subalgoE4EjNS0_10empty_typeEbEEZZNS1_14partition_implILS8_4ELb0ES6_15HIP_vector_typeIjLj2EENS0_17counting_iteratorIjlEEPS9_SG_NS0_5tupleIJPjSI_NS0_16reverse_iteratorISI_EEEEENSH_IJSG_SG_SG_EEES9_SI_JZNS1_25segmented_radix_sort_implINS0_14default_configELb1EPK6__halfPSP_PKlPlN2at6native12_GLOBAL__N_18offset_tEEE10hipError_tPvRmT1_PNSt15iterator_traitsIS13_E10value_typeET2_T3_PNS14_IS19_E10value_typeET4_jRbjT5_S1F_jjP12ihipStream_tbEUljE_ZNSN_ISO_Lb1ESR_SS_SU_SV_SZ_EES10_S11_S12_S13_S17_S18_S19_S1C_S1D_jS1E_jS1F_S1F_jjS1H_bEUljE0_EEES10_S11_S12_S19_S1D_S1F_T6_T7_T9_mT8_S1H_bDpT10_ENKUlT_T0_E_clISt17integral_constantIbLb0EES1U_IbLb1EEEEDaS1Q_S1R_EUlS1Q_E_NS1_11comp_targetILNS1_3genE8ELNS1_11target_archE1030ELNS1_3gpuE2ELNS1_3repE0EEENS1_30default_config_static_selectorELNS0_4arch9wavefront6targetE0EEEvS13_.kd
    .uniform_work_group_size: 1
    .uses_dynamic_stack: false
    .vgpr_count:     0
    .vgpr_spill_count: 0
    .wavefront_size: 32
    .workgroup_processor_mode: 1
  - .args:
      - .offset:         0
        .size:           144
        .value_kind:     by_value
    .group_segment_fixed_size: 0
    .kernarg_segment_align: 8
    .kernarg_segment_size: 144
    .language:       OpenCL C
    .language_version:
      - 2
      - 0
    .max_flat_workgroup_size: 256
    .name:           _ZN7rocprim17ROCPRIM_400000_NS6detail17trampoline_kernelINS0_13select_configILj256ELj13ELNS0_17block_load_methodE3ELS4_3ELS4_3ELNS0_20block_scan_algorithmE0ELj4294967295EEENS1_25partition_config_selectorILNS1_17partition_subalgoE3EjNS0_10empty_typeEbEEZZNS1_14partition_implILS8_3ELb0ES6_jNS0_17counting_iteratorIjlEEPS9_SE_NS0_5tupleIJPjSE_EEENSF_IJSE_SE_EEES9_SG_JZNS1_25segmented_radix_sort_implINS0_14default_configELb1EPK6__halfPSL_PKlPlN2at6native12_GLOBAL__N_18offset_tEEE10hipError_tPvRmT1_PNSt15iterator_traitsISZ_E10value_typeET2_T3_PNS10_IS15_E10value_typeET4_jRbjT5_S1B_jjP12ihipStream_tbEUljE_EEESW_SX_SY_S15_S19_S1B_T6_T7_T9_mT8_S1D_bDpT10_ENKUlT_T0_E_clISt17integral_constantIbLb0EES1Q_EEDaS1L_S1M_EUlS1L_E_NS1_11comp_targetILNS1_3genE0ELNS1_11target_archE4294967295ELNS1_3gpuE0ELNS1_3repE0EEENS1_30default_config_static_selectorELNS0_4arch9wavefront6targetE0EEEvSZ_
    .private_segment_fixed_size: 0
    .sgpr_count:     0
    .sgpr_spill_count: 0
    .symbol:         _ZN7rocprim17ROCPRIM_400000_NS6detail17trampoline_kernelINS0_13select_configILj256ELj13ELNS0_17block_load_methodE3ELS4_3ELS4_3ELNS0_20block_scan_algorithmE0ELj4294967295EEENS1_25partition_config_selectorILNS1_17partition_subalgoE3EjNS0_10empty_typeEbEEZZNS1_14partition_implILS8_3ELb0ES6_jNS0_17counting_iteratorIjlEEPS9_SE_NS0_5tupleIJPjSE_EEENSF_IJSE_SE_EEES9_SG_JZNS1_25segmented_radix_sort_implINS0_14default_configELb1EPK6__halfPSL_PKlPlN2at6native12_GLOBAL__N_18offset_tEEE10hipError_tPvRmT1_PNSt15iterator_traitsISZ_E10value_typeET2_T3_PNS10_IS15_E10value_typeET4_jRbjT5_S1B_jjP12ihipStream_tbEUljE_EEESW_SX_SY_S15_S19_S1B_T6_T7_T9_mT8_S1D_bDpT10_ENKUlT_T0_E_clISt17integral_constantIbLb0EES1Q_EEDaS1L_S1M_EUlS1L_E_NS1_11comp_targetILNS1_3genE0ELNS1_11target_archE4294967295ELNS1_3gpuE0ELNS1_3repE0EEENS1_30default_config_static_selectorELNS0_4arch9wavefront6targetE0EEEvSZ_.kd
    .uniform_work_group_size: 1
    .uses_dynamic_stack: false
    .vgpr_count:     0
    .vgpr_spill_count: 0
    .wavefront_size: 32
    .workgroup_processor_mode: 1
  - .args:
      - .offset:         0
        .size:           144
        .value_kind:     by_value
    .group_segment_fixed_size: 0
    .kernarg_segment_align: 8
    .kernarg_segment_size: 144
    .language:       OpenCL C
    .language_version:
      - 2
      - 0
    .max_flat_workgroup_size: 256
    .name:           _ZN7rocprim17ROCPRIM_400000_NS6detail17trampoline_kernelINS0_13select_configILj256ELj13ELNS0_17block_load_methodE3ELS4_3ELS4_3ELNS0_20block_scan_algorithmE0ELj4294967295EEENS1_25partition_config_selectorILNS1_17partition_subalgoE3EjNS0_10empty_typeEbEEZZNS1_14partition_implILS8_3ELb0ES6_jNS0_17counting_iteratorIjlEEPS9_SE_NS0_5tupleIJPjSE_EEENSF_IJSE_SE_EEES9_SG_JZNS1_25segmented_radix_sort_implINS0_14default_configELb1EPK6__halfPSL_PKlPlN2at6native12_GLOBAL__N_18offset_tEEE10hipError_tPvRmT1_PNSt15iterator_traitsISZ_E10value_typeET2_T3_PNS10_IS15_E10value_typeET4_jRbjT5_S1B_jjP12ihipStream_tbEUljE_EEESW_SX_SY_S15_S19_S1B_T6_T7_T9_mT8_S1D_bDpT10_ENKUlT_T0_E_clISt17integral_constantIbLb0EES1Q_EEDaS1L_S1M_EUlS1L_E_NS1_11comp_targetILNS1_3genE5ELNS1_11target_archE942ELNS1_3gpuE9ELNS1_3repE0EEENS1_30default_config_static_selectorELNS0_4arch9wavefront6targetE0EEEvSZ_
    .private_segment_fixed_size: 0
    .sgpr_count:     0
    .sgpr_spill_count: 0
    .symbol:         _ZN7rocprim17ROCPRIM_400000_NS6detail17trampoline_kernelINS0_13select_configILj256ELj13ELNS0_17block_load_methodE3ELS4_3ELS4_3ELNS0_20block_scan_algorithmE0ELj4294967295EEENS1_25partition_config_selectorILNS1_17partition_subalgoE3EjNS0_10empty_typeEbEEZZNS1_14partition_implILS8_3ELb0ES6_jNS0_17counting_iteratorIjlEEPS9_SE_NS0_5tupleIJPjSE_EEENSF_IJSE_SE_EEES9_SG_JZNS1_25segmented_radix_sort_implINS0_14default_configELb1EPK6__halfPSL_PKlPlN2at6native12_GLOBAL__N_18offset_tEEE10hipError_tPvRmT1_PNSt15iterator_traitsISZ_E10value_typeET2_T3_PNS10_IS15_E10value_typeET4_jRbjT5_S1B_jjP12ihipStream_tbEUljE_EEESW_SX_SY_S15_S19_S1B_T6_T7_T9_mT8_S1D_bDpT10_ENKUlT_T0_E_clISt17integral_constantIbLb0EES1Q_EEDaS1L_S1M_EUlS1L_E_NS1_11comp_targetILNS1_3genE5ELNS1_11target_archE942ELNS1_3gpuE9ELNS1_3repE0EEENS1_30default_config_static_selectorELNS0_4arch9wavefront6targetE0EEEvSZ_.kd
    .uniform_work_group_size: 1
    .uses_dynamic_stack: false
    .vgpr_count:     0
    .vgpr_spill_count: 0
    .wavefront_size: 32
    .workgroup_processor_mode: 1
  - .args:
      - .offset:         0
        .size:           144
        .value_kind:     by_value
    .group_segment_fixed_size: 0
    .kernarg_segment_align: 8
    .kernarg_segment_size: 144
    .language:       OpenCL C
    .language_version:
      - 2
      - 0
    .max_flat_workgroup_size: 256
    .name:           _ZN7rocprim17ROCPRIM_400000_NS6detail17trampoline_kernelINS0_13select_configILj256ELj13ELNS0_17block_load_methodE3ELS4_3ELS4_3ELNS0_20block_scan_algorithmE0ELj4294967295EEENS1_25partition_config_selectorILNS1_17partition_subalgoE3EjNS0_10empty_typeEbEEZZNS1_14partition_implILS8_3ELb0ES6_jNS0_17counting_iteratorIjlEEPS9_SE_NS0_5tupleIJPjSE_EEENSF_IJSE_SE_EEES9_SG_JZNS1_25segmented_radix_sort_implINS0_14default_configELb1EPK6__halfPSL_PKlPlN2at6native12_GLOBAL__N_18offset_tEEE10hipError_tPvRmT1_PNSt15iterator_traitsISZ_E10value_typeET2_T3_PNS10_IS15_E10value_typeET4_jRbjT5_S1B_jjP12ihipStream_tbEUljE_EEESW_SX_SY_S15_S19_S1B_T6_T7_T9_mT8_S1D_bDpT10_ENKUlT_T0_E_clISt17integral_constantIbLb0EES1Q_EEDaS1L_S1M_EUlS1L_E_NS1_11comp_targetILNS1_3genE4ELNS1_11target_archE910ELNS1_3gpuE8ELNS1_3repE0EEENS1_30default_config_static_selectorELNS0_4arch9wavefront6targetE0EEEvSZ_
    .private_segment_fixed_size: 0
    .sgpr_count:     0
    .sgpr_spill_count: 0
    .symbol:         _ZN7rocprim17ROCPRIM_400000_NS6detail17trampoline_kernelINS0_13select_configILj256ELj13ELNS0_17block_load_methodE3ELS4_3ELS4_3ELNS0_20block_scan_algorithmE0ELj4294967295EEENS1_25partition_config_selectorILNS1_17partition_subalgoE3EjNS0_10empty_typeEbEEZZNS1_14partition_implILS8_3ELb0ES6_jNS0_17counting_iteratorIjlEEPS9_SE_NS0_5tupleIJPjSE_EEENSF_IJSE_SE_EEES9_SG_JZNS1_25segmented_radix_sort_implINS0_14default_configELb1EPK6__halfPSL_PKlPlN2at6native12_GLOBAL__N_18offset_tEEE10hipError_tPvRmT1_PNSt15iterator_traitsISZ_E10value_typeET2_T3_PNS10_IS15_E10value_typeET4_jRbjT5_S1B_jjP12ihipStream_tbEUljE_EEESW_SX_SY_S15_S19_S1B_T6_T7_T9_mT8_S1D_bDpT10_ENKUlT_T0_E_clISt17integral_constantIbLb0EES1Q_EEDaS1L_S1M_EUlS1L_E_NS1_11comp_targetILNS1_3genE4ELNS1_11target_archE910ELNS1_3gpuE8ELNS1_3repE0EEENS1_30default_config_static_selectorELNS0_4arch9wavefront6targetE0EEEvSZ_.kd
    .uniform_work_group_size: 1
    .uses_dynamic_stack: false
    .vgpr_count:     0
    .vgpr_spill_count: 0
    .wavefront_size: 32
    .workgroup_processor_mode: 1
  - .args:
      - .offset:         0
        .size:           144
        .value_kind:     by_value
    .group_segment_fixed_size: 0
    .kernarg_segment_align: 8
    .kernarg_segment_size: 144
    .language:       OpenCL C
    .language_version:
      - 2
      - 0
    .max_flat_workgroup_size: 256
    .name:           _ZN7rocprim17ROCPRIM_400000_NS6detail17trampoline_kernelINS0_13select_configILj256ELj13ELNS0_17block_load_methodE3ELS4_3ELS4_3ELNS0_20block_scan_algorithmE0ELj4294967295EEENS1_25partition_config_selectorILNS1_17partition_subalgoE3EjNS0_10empty_typeEbEEZZNS1_14partition_implILS8_3ELb0ES6_jNS0_17counting_iteratorIjlEEPS9_SE_NS0_5tupleIJPjSE_EEENSF_IJSE_SE_EEES9_SG_JZNS1_25segmented_radix_sort_implINS0_14default_configELb1EPK6__halfPSL_PKlPlN2at6native12_GLOBAL__N_18offset_tEEE10hipError_tPvRmT1_PNSt15iterator_traitsISZ_E10value_typeET2_T3_PNS10_IS15_E10value_typeET4_jRbjT5_S1B_jjP12ihipStream_tbEUljE_EEESW_SX_SY_S15_S19_S1B_T6_T7_T9_mT8_S1D_bDpT10_ENKUlT_T0_E_clISt17integral_constantIbLb0EES1Q_EEDaS1L_S1M_EUlS1L_E_NS1_11comp_targetILNS1_3genE3ELNS1_11target_archE908ELNS1_3gpuE7ELNS1_3repE0EEENS1_30default_config_static_selectorELNS0_4arch9wavefront6targetE0EEEvSZ_
    .private_segment_fixed_size: 0
    .sgpr_count:     0
    .sgpr_spill_count: 0
    .symbol:         _ZN7rocprim17ROCPRIM_400000_NS6detail17trampoline_kernelINS0_13select_configILj256ELj13ELNS0_17block_load_methodE3ELS4_3ELS4_3ELNS0_20block_scan_algorithmE0ELj4294967295EEENS1_25partition_config_selectorILNS1_17partition_subalgoE3EjNS0_10empty_typeEbEEZZNS1_14partition_implILS8_3ELb0ES6_jNS0_17counting_iteratorIjlEEPS9_SE_NS0_5tupleIJPjSE_EEENSF_IJSE_SE_EEES9_SG_JZNS1_25segmented_radix_sort_implINS0_14default_configELb1EPK6__halfPSL_PKlPlN2at6native12_GLOBAL__N_18offset_tEEE10hipError_tPvRmT1_PNSt15iterator_traitsISZ_E10value_typeET2_T3_PNS10_IS15_E10value_typeET4_jRbjT5_S1B_jjP12ihipStream_tbEUljE_EEESW_SX_SY_S15_S19_S1B_T6_T7_T9_mT8_S1D_bDpT10_ENKUlT_T0_E_clISt17integral_constantIbLb0EES1Q_EEDaS1L_S1M_EUlS1L_E_NS1_11comp_targetILNS1_3genE3ELNS1_11target_archE908ELNS1_3gpuE7ELNS1_3repE0EEENS1_30default_config_static_selectorELNS0_4arch9wavefront6targetE0EEEvSZ_.kd
    .uniform_work_group_size: 1
    .uses_dynamic_stack: false
    .vgpr_count:     0
    .vgpr_spill_count: 0
    .wavefront_size: 32
    .workgroup_processor_mode: 1
  - .args:
      - .offset:         0
        .size:           144
        .value_kind:     by_value
    .group_segment_fixed_size: 0
    .kernarg_segment_align: 8
    .kernarg_segment_size: 144
    .language:       OpenCL C
    .language_version:
      - 2
      - 0
    .max_flat_workgroup_size: 256
    .name:           _ZN7rocprim17ROCPRIM_400000_NS6detail17trampoline_kernelINS0_13select_configILj256ELj13ELNS0_17block_load_methodE3ELS4_3ELS4_3ELNS0_20block_scan_algorithmE0ELj4294967295EEENS1_25partition_config_selectorILNS1_17partition_subalgoE3EjNS0_10empty_typeEbEEZZNS1_14partition_implILS8_3ELb0ES6_jNS0_17counting_iteratorIjlEEPS9_SE_NS0_5tupleIJPjSE_EEENSF_IJSE_SE_EEES9_SG_JZNS1_25segmented_radix_sort_implINS0_14default_configELb1EPK6__halfPSL_PKlPlN2at6native12_GLOBAL__N_18offset_tEEE10hipError_tPvRmT1_PNSt15iterator_traitsISZ_E10value_typeET2_T3_PNS10_IS15_E10value_typeET4_jRbjT5_S1B_jjP12ihipStream_tbEUljE_EEESW_SX_SY_S15_S19_S1B_T6_T7_T9_mT8_S1D_bDpT10_ENKUlT_T0_E_clISt17integral_constantIbLb0EES1Q_EEDaS1L_S1M_EUlS1L_E_NS1_11comp_targetILNS1_3genE2ELNS1_11target_archE906ELNS1_3gpuE6ELNS1_3repE0EEENS1_30default_config_static_selectorELNS0_4arch9wavefront6targetE0EEEvSZ_
    .private_segment_fixed_size: 0
    .sgpr_count:     0
    .sgpr_spill_count: 0
    .symbol:         _ZN7rocprim17ROCPRIM_400000_NS6detail17trampoline_kernelINS0_13select_configILj256ELj13ELNS0_17block_load_methodE3ELS4_3ELS4_3ELNS0_20block_scan_algorithmE0ELj4294967295EEENS1_25partition_config_selectorILNS1_17partition_subalgoE3EjNS0_10empty_typeEbEEZZNS1_14partition_implILS8_3ELb0ES6_jNS0_17counting_iteratorIjlEEPS9_SE_NS0_5tupleIJPjSE_EEENSF_IJSE_SE_EEES9_SG_JZNS1_25segmented_radix_sort_implINS0_14default_configELb1EPK6__halfPSL_PKlPlN2at6native12_GLOBAL__N_18offset_tEEE10hipError_tPvRmT1_PNSt15iterator_traitsISZ_E10value_typeET2_T3_PNS10_IS15_E10value_typeET4_jRbjT5_S1B_jjP12ihipStream_tbEUljE_EEESW_SX_SY_S15_S19_S1B_T6_T7_T9_mT8_S1D_bDpT10_ENKUlT_T0_E_clISt17integral_constantIbLb0EES1Q_EEDaS1L_S1M_EUlS1L_E_NS1_11comp_targetILNS1_3genE2ELNS1_11target_archE906ELNS1_3gpuE6ELNS1_3repE0EEENS1_30default_config_static_selectorELNS0_4arch9wavefront6targetE0EEEvSZ_.kd
    .uniform_work_group_size: 1
    .uses_dynamic_stack: false
    .vgpr_count:     0
    .vgpr_spill_count: 0
    .wavefront_size: 32
    .workgroup_processor_mode: 1
  - .args:
      - .offset:         0
        .size:           144
        .value_kind:     by_value
    .group_segment_fixed_size: 13320
    .kernarg_segment_align: 8
    .kernarg_segment_size: 144
    .language:       OpenCL C
    .language_version:
      - 2
      - 0
    .max_flat_workgroup_size: 256
    .name:           _ZN7rocprim17ROCPRIM_400000_NS6detail17trampoline_kernelINS0_13select_configILj256ELj13ELNS0_17block_load_methodE3ELS4_3ELS4_3ELNS0_20block_scan_algorithmE0ELj4294967295EEENS1_25partition_config_selectorILNS1_17partition_subalgoE3EjNS0_10empty_typeEbEEZZNS1_14partition_implILS8_3ELb0ES6_jNS0_17counting_iteratorIjlEEPS9_SE_NS0_5tupleIJPjSE_EEENSF_IJSE_SE_EEES9_SG_JZNS1_25segmented_radix_sort_implINS0_14default_configELb1EPK6__halfPSL_PKlPlN2at6native12_GLOBAL__N_18offset_tEEE10hipError_tPvRmT1_PNSt15iterator_traitsISZ_E10value_typeET2_T3_PNS10_IS15_E10value_typeET4_jRbjT5_S1B_jjP12ihipStream_tbEUljE_EEESW_SX_SY_S15_S19_S1B_T6_T7_T9_mT8_S1D_bDpT10_ENKUlT_T0_E_clISt17integral_constantIbLb0EES1Q_EEDaS1L_S1M_EUlS1L_E_NS1_11comp_targetILNS1_3genE10ELNS1_11target_archE1200ELNS1_3gpuE4ELNS1_3repE0EEENS1_30default_config_static_selectorELNS0_4arch9wavefront6targetE0EEEvSZ_
    .private_segment_fixed_size: 0
    .sgpr_count:     28
    .sgpr_spill_count: 0
    .symbol:         _ZN7rocprim17ROCPRIM_400000_NS6detail17trampoline_kernelINS0_13select_configILj256ELj13ELNS0_17block_load_methodE3ELS4_3ELS4_3ELNS0_20block_scan_algorithmE0ELj4294967295EEENS1_25partition_config_selectorILNS1_17partition_subalgoE3EjNS0_10empty_typeEbEEZZNS1_14partition_implILS8_3ELb0ES6_jNS0_17counting_iteratorIjlEEPS9_SE_NS0_5tupleIJPjSE_EEENSF_IJSE_SE_EEES9_SG_JZNS1_25segmented_radix_sort_implINS0_14default_configELb1EPK6__halfPSL_PKlPlN2at6native12_GLOBAL__N_18offset_tEEE10hipError_tPvRmT1_PNSt15iterator_traitsISZ_E10value_typeET2_T3_PNS10_IS15_E10value_typeET4_jRbjT5_S1B_jjP12ihipStream_tbEUljE_EEESW_SX_SY_S15_S19_S1B_T6_T7_T9_mT8_S1D_bDpT10_ENKUlT_T0_E_clISt17integral_constantIbLb0EES1Q_EEDaS1L_S1M_EUlS1L_E_NS1_11comp_targetILNS1_3genE10ELNS1_11target_archE1200ELNS1_3gpuE4ELNS1_3repE0EEENS1_30default_config_static_selectorELNS0_4arch9wavefront6targetE0EEEvSZ_.kd
    .uniform_work_group_size: 1
    .uses_dynamic_stack: false
    .vgpr_count:     69
    .vgpr_spill_count: 0
    .wavefront_size: 32
    .workgroup_processor_mode: 1
  - .args:
      - .offset:         0
        .size:           144
        .value_kind:     by_value
    .group_segment_fixed_size: 0
    .kernarg_segment_align: 8
    .kernarg_segment_size: 144
    .language:       OpenCL C
    .language_version:
      - 2
      - 0
    .max_flat_workgroup_size: 256
    .name:           _ZN7rocprim17ROCPRIM_400000_NS6detail17trampoline_kernelINS0_13select_configILj256ELj13ELNS0_17block_load_methodE3ELS4_3ELS4_3ELNS0_20block_scan_algorithmE0ELj4294967295EEENS1_25partition_config_selectorILNS1_17partition_subalgoE3EjNS0_10empty_typeEbEEZZNS1_14partition_implILS8_3ELb0ES6_jNS0_17counting_iteratorIjlEEPS9_SE_NS0_5tupleIJPjSE_EEENSF_IJSE_SE_EEES9_SG_JZNS1_25segmented_radix_sort_implINS0_14default_configELb1EPK6__halfPSL_PKlPlN2at6native12_GLOBAL__N_18offset_tEEE10hipError_tPvRmT1_PNSt15iterator_traitsISZ_E10value_typeET2_T3_PNS10_IS15_E10value_typeET4_jRbjT5_S1B_jjP12ihipStream_tbEUljE_EEESW_SX_SY_S15_S19_S1B_T6_T7_T9_mT8_S1D_bDpT10_ENKUlT_T0_E_clISt17integral_constantIbLb0EES1Q_EEDaS1L_S1M_EUlS1L_E_NS1_11comp_targetILNS1_3genE9ELNS1_11target_archE1100ELNS1_3gpuE3ELNS1_3repE0EEENS1_30default_config_static_selectorELNS0_4arch9wavefront6targetE0EEEvSZ_
    .private_segment_fixed_size: 0
    .sgpr_count:     0
    .sgpr_spill_count: 0
    .symbol:         _ZN7rocprim17ROCPRIM_400000_NS6detail17trampoline_kernelINS0_13select_configILj256ELj13ELNS0_17block_load_methodE3ELS4_3ELS4_3ELNS0_20block_scan_algorithmE0ELj4294967295EEENS1_25partition_config_selectorILNS1_17partition_subalgoE3EjNS0_10empty_typeEbEEZZNS1_14partition_implILS8_3ELb0ES6_jNS0_17counting_iteratorIjlEEPS9_SE_NS0_5tupleIJPjSE_EEENSF_IJSE_SE_EEES9_SG_JZNS1_25segmented_radix_sort_implINS0_14default_configELb1EPK6__halfPSL_PKlPlN2at6native12_GLOBAL__N_18offset_tEEE10hipError_tPvRmT1_PNSt15iterator_traitsISZ_E10value_typeET2_T3_PNS10_IS15_E10value_typeET4_jRbjT5_S1B_jjP12ihipStream_tbEUljE_EEESW_SX_SY_S15_S19_S1B_T6_T7_T9_mT8_S1D_bDpT10_ENKUlT_T0_E_clISt17integral_constantIbLb0EES1Q_EEDaS1L_S1M_EUlS1L_E_NS1_11comp_targetILNS1_3genE9ELNS1_11target_archE1100ELNS1_3gpuE3ELNS1_3repE0EEENS1_30default_config_static_selectorELNS0_4arch9wavefront6targetE0EEEvSZ_.kd
    .uniform_work_group_size: 1
    .uses_dynamic_stack: false
    .vgpr_count:     0
    .vgpr_spill_count: 0
    .wavefront_size: 32
    .workgroup_processor_mode: 1
  - .args:
      - .offset:         0
        .size:           144
        .value_kind:     by_value
    .group_segment_fixed_size: 0
    .kernarg_segment_align: 8
    .kernarg_segment_size: 144
    .language:       OpenCL C
    .language_version:
      - 2
      - 0
    .max_flat_workgroup_size: 256
    .name:           _ZN7rocprim17ROCPRIM_400000_NS6detail17trampoline_kernelINS0_13select_configILj256ELj13ELNS0_17block_load_methodE3ELS4_3ELS4_3ELNS0_20block_scan_algorithmE0ELj4294967295EEENS1_25partition_config_selectorILNS1_17partition_subalgoE3EjNS0_10empty_typeEbEEZZNS1_14partition_implILS8_3ELb0ES6_jNS0_17counting_iteratorIjlEEPS9_SE_NS0_5tupleIJPjSE_EEENSF_IJSE_SE_EEES9_SG_JZNS1_25segmented_radix_sort_implINS0_14default_configELb1EPK6__halfPSL_PKlPlN2at6native12_GLOBAL__N_18offset_tEEE10hipError_tPvRmT1_PNSt15iterator_traitsISZ_E10value_typeET2_T3_PNS10_IS15_E10value_typeET4_jRbjT5_S1B_jjP12ihipStream_tbEUljE_EEESW_SX_SY_S15_S19_S1B_T6_T7_T9_mT8_S1D_bDpT10_ENKUlT_T0_E_clISt17integral_constantIbLb0EES1Q_EEDaS1L_S1M_EUlS1L_E_NS1_11comp_targetILNS1_3genE8ELNS1_11target_archE1030ELNS1_3gpuE2ELNS1_3repE0EEENS1_30default_config_static_selectorELNS0_4arch9wavefront6targetE0EEEvSZ_
    .private_segment_fixed_size: 0
    .sgpr_count:     0
    .sgpr_spill_count: 0
    .symbol:         _ZN7rocprim17ROCPRIM_400000_NS6detail17trampoline_kernelINS0_13select_configILj256ELj13ELNS0_17block_load_methodE3ELS4_3ELS4_3ELNS0_20block_scan_algorithmE0ELj4294967295EEENS1_25partition_config_selectorILNS1_17partition_subalgoE3EjNS0_10empty_typeEbEEZZNS1_14partition_implILS8_3ELb0ES6_jNS0_17counting_iteratorIjlEEPS9_SE_NS0_5tupleIJPjSE_EEENSF_IJSE_SE_EEES9_SG_JZNS1_25segmented_radix_sort_implINS0_14default_configELb1EPK6__halfPSL_PKlPlN2at6native12_GLOBAL__N_18offset_tEEE10hipError_tPvRmT1_PNSt15iterator_traitsISZ_E10value_typeET2_T3_PNS10_IS15_E10value_typeET4_jRbjT5_S1B_jjP12ihipStream_tbEUljE_EEESW_SX_SY_S15_S19_S1B_T6_T7_T9_mT8_S1D_bDpT10_ENKUlT_T0_E_clISt17integral_constantIbLb0EES1Q_EEDaS1L_S1M_EUlS1L_E_NS1_11comp_targetILNS1_3genE8ELNS1_11target_archE1030ELNS1_3gpuE2ELNS1_3repE0EEENS1_30default_config_static_selectorELNS0_4arch9wavefront6targetE0EEEvSZ_.kd
    .uniform_work_group_size: 1
    .uses_dynamic_stack: false
    .vgpr_count:     0
    .vgpr_spill_count: 0
    .wavefront_size: 32
    .workgroup_processor_mode: 1
  - .args:
      - .offset:         0
        .size:           152
        .value_kind:     by_value
    .group_segment_fixed_size: 0
    .kernarg_segment_align: 8
    .kernarg_segment_size: 152
    .language:       OpenCL C
    .language_version:
      - 2
      - 0
    .max_flat_workgroup_size: 256
    .name:           _ZN7rocprim17ROCPRIM_400000_NS6detail17trampoline_kernelINS0_13select_configILj256ELj13ELNS0_17block_load_methodE3ELS4_3ELS4_3ELNS0_20block_scan_algorithmE0ELj4294967295EEENS1_25partition_config_selectorILNS1_17partition_subalgoE3EjNS0_10empty_typeEbEEZZNS1_14partition_implILS8_3ELb0ES6_jNS0_17counting_iteratorIjlEEPS9_SE_NS0_5tupleIJPjSE_EEENSF_IJSE_SE_EEES9_SG_JZNS1_25segmented_radix_sort_implINS0_14default_configELb1EPK6__halfPSL_PKlPlN2at6native12_GLOBAL__N_18offset_tEEE10hipError_tPvRmT1_PNSt15iterator_traitsISZ_E10value_typeET2_T3_PNS10_IS15_E10value_typeET4_jRbjT5_S1B_jjP12ihipStream_tbEUljE_EEESW_SX_SY_S15_S19_S1B_T6_T7_T9_mT8_S1D_bDpT10_ENKUlT_T0_E_clISt17integral_constantIbLb1EES1Q_EEDaS1L_S1M_EUlS1L_E_NS1_11comp_targetILNS1_3genE0ELNS1_11target_archE4294967295ELNS1_3gpuE0ELNS1_3repE0EEENS1_30default_config_static_selectorELNS0_4arch9wavefront6targetE0EEEvSZ_
    .private_segment_fixed_size: 0
    .sgpr_count:     0
    .sgpr_spill_count: 0
    .symbol:         _ZN7rocprim17ROCPRIM_400000_NS6detail17trampoline_kernelINS0_13select_configILj256ELj13ELNS0_17block_load_methodE3ELS4_3ELS4_3ELNS0_20block_scan_algorithmE0ELj4294967295EEENS1_25partition_config_selectorILNS1_17partition_subalgoE3EjNS0_10empty_typeEbEEZZNS1_14partition_implILS8_3ELb0ES6_jNS0_17counting_iteratorIjlEEPS9_SE_NS0_5tupleIJPjSE_EEENSF_IJSE_SE_EEES9_SG_JZNS1_25segmented_radix_sort_implINS0_14default_configELb1EPK6__halfPSL_PKlPlN2at6native12_GLOBAL__N_18offset_tEEE10hipError_tPvRmT1_PNSt15iterator_traitsISZ_E10value_typeET2_T3_PNS10_IS15_E10value_typeET4_jRbjT5_S1B_jjP12ihipStream_tbEUljE_EEESW_SX_SY_S15_S19_S1B_T6_T7_T9_mT8_S1D_bDpT10_ENKUlT_T0_E_clISt17integral_constantIbLb1EES1Q_EEDaS1L_S1M_EUlS1L_E_NS1_11comp_targetILNS1_3genE0ELNS1_11target_archE4294967295ELNS1_3gpuE0ELNS1_3repE0EEENS1_30default_config_static_selectorELNS0_4arch9wavefront6targetE0EEEvSZ_.kd
    .uniform_work_group_size: 1
    .uses_dynamic_stack: false
    .vgpr_count:     0
    .vgpr_spill_count: 0
    .wavefront_size: 32
    .workgroup_processor_mode: 1
  - .args:
      - .offset:         0
        .size:           152
        .value_kind:     by_value
    .group_segment_fixed_size: 0
    .kernarg_segment_align: 8
    .kernarg_segment_size: 152
    .language:       OpenCL C
    .language_version:
      - 2
      - 0
    .max_flat_workgroup_size: 256
    .name:           _ZN7rocprim17ROCPRIM_400000_NS6detail17trampoline_kernelINS0_13select_configILj256ELj13ELNS0_17block_load_methodE3ELS4_3ELS4_3ELNS0_20block_scan_algorithmE0ELj4294967295EEENS1_25partition_config_selectorILNS1_17partition_subalgoE3EjNS0_10empty_typeEbEEZZNS1_14partition_implILS8_3ELb0ES6_jNS0_17counting_iteratorIjlEEPS9_SE_NS0_5tupleIJPjSE_EEENSF_IJSE_SE_EEES9_SG_JZNS1_25segmented_radix_sort_implINS0_14default_configELb1EPK6__halfPSL_PKlPlN2at6native12_GLOBAL__N_18offset_tEEE10hipError_tPvRmT1_PNSt15iterator_traitsISZ_E10value_typeET2_T3_PNS10_IS15_E10value_typeET4_jRbjT5_S1B_jjP12ihipStream_tbEUljE_EEESW_SX_SY_S15_S19_S1B_T6_T7_T9_mT8_S1D_bDpT10_ENKUlT_T0_E_clISt17integral_constantIbLb1EES1Q_EEDaS1L_S1M_EUlS1L_E_NS1_11comp_targetILNS1_3genE5ELNS1_11target_archE942ELNS1_3gpuE9ELNS1_3repE0EEENS1_30default_config_static_selectorELNS0_4arch9wavefront6targetE0EEEvSZ_
    .private_segment_fixed_size: 0
    .sgpr_count:     0
    .sgpr_spill_count: 0
    .symbol:         _ZN7rocprim17ROCPRIM_400000_NS6detail17trampoline_kernelINS0_13select_configILj256ELj13ELNS0_17block_load_methodE3ELS4_3ELS4_3ELNS0_20block_scan_algorithmE0ELj4294967295EEENS1_25partition_config_selectorILNS1_17partition_subalgoE3EjNS0_10empty_typeEbEEZZNS1_14partition_implILS8_3ELb0ES6_jNS0_17counting_iteratorIjlEEPS9_SE_NS0_5tupleIJPjSE_EEENSF_IJSE_SE_EEES9_SG_JZNS1_25segmented_radix_sort_implINS0_14default_configELb1EPK6__halfPSL_PKlPlN2at6native12_GLOBAL__N_18offset_tEEE10hipError_tPvRmT1_PNSt15iterator_traitsISZ_E10value_typeET2_T3_PNS10_IS15_E10value_typeET4_jRbjT5_S1B_jjP12ihipStream_tbEUljE_EEESW_SX_SY_S15_S19_S1B_T6_T7_T9_mT8_S1D_bDpT10_ENKUlT_T0_E_clISt17integral_constantIbLb1EES1Q_EEDaS1L_S1M_EUlS1L_E_NS1_11comp_targetILNS1_3genE5ELNS1_11target_archE942ELNS1_3gpuE9ELNS1_3repE0EEENS1_30default_config_static_selectorELNS0_4arch9wavefront6targetE0EEEvSZ_.kd
    .uniform_work_group_size: 1
    .uses_dynamic_stack: false
    .vgpr_count:     0
    .vgpr_spill_count: 0
    .wavefront_size: 32
    .workgroup_processor_mode: 1
  - .args:
      - .offset:         0
        .size:           152
        .value_kind:     by_value
    .group_segment_fixed_size: 0
    .kernarg_segment_align: 8
    .kernarg_segment_size: 152
    .language:       OpenCL C
    .language_version:
      - 2
      - 0
    .max_flat_workgroup_size: 256
    .name:           _ZN7rocprim17ROCPRIM_400000_NS6detail17trampoline_kernelINS0_13select_configILj256ELj13ELNS0_17block_load_methodE3ELS4_3ELS4_3ELNS0_20block_scan_algorithmE0ELj4294967295EEENS1_25partition_config_selectorILNS1_17partition_subalgoE3EjNS0_10empty_typeEbEEZZNS1_14partition_implILS8_3ELb0ES6_jNS0_17counting_iteratorIjlEEPS9_SE_NS0_5tupleIJPjSE_EEENSF_IJSE_SE_EEES9_SG_JZNS1_25segmented_radix_sort_implINS0_14default_configELb1EPK6__halfPSL_PKlPlN2at6native12_GLOBAL__N_18offset_tEEE10hipError_tPvRmT1_PNSt15iterator_traitsISZ_E10value_typeET2_T3_PNS10_IS15_E10value_typeET4_jRbjT5_S1B_jjP12ihipStream_tbEUljE_EEESW_SX_SY_S15_S19_S1B_T6_T7_T9_mT8_S1D_bDpT10_ENKUlT_T0_E_clISt17integral_constantIbLb1EES1Q_EEDaS1L_S1M_EUlS1L_E_NS1_11comp_targetILNS1_3genE4ELNS1_11target_archE910ELNS1_3gpuE8ELNS1_3repE0EEENS1_30default_config_static_selectorELNS0_4arch9wavefront6targetE0EEEvSZ_
    .private_segment_fixed_size: 0
    .sgpr_count:     0
    .sgpr_spill_count: 0
    .symbol:         _ZN7rocprim17ROCPRIM_400000_NS6detail17trampoline_kernelINS0_13select_configILj256ELj13ELNS0_17block_load_methodE3ELS4_3ELS4_3ELNS0_20block_scan_algorithmE0ELj4294967295EEENS1_25partition_config_selectorILNS1_17partition_subalgoE3EjNS0_10empty_typeEbEEZZNS1_14partition_implILS8_3ELb0ES6_jNS0_17counting_iteratorIjlEEPS9_SE_NS0_5tupleIJPjSE_EEENSF_IJSE_SE_EEES9_SG_JZNS1_25segmented_radix_sort_implINS0_14default_configELb1EPK6__halfPSL_PKlPlN2at6native12_GLOBAL__N_18offset_tEEE10hipError_tPvRmT1_PNSt15iterator_traitsISZ_E10value_typeET2_T3_PNS10_IS15_E10value_typeET4_jRbjT5_S1B_jjP12ihipStream_tbEUljE_EEESW_SX_SY_S15_S19_S1B_T6_T7_T9_mT8_S1D_bDpT10_ENKUlT_T0_E_clISt17integral_constantIbLb1EES1Q_EEDaS1L_S1M_EUlS1L_E_NS1_11comp_targetILNS1_3genE4ELNS1_11target_archE910ELNS1_3gpuE8ELNS1_3repE0EEENS1_30default_config_static_selectorELNS0_4arch9wavefront6targetE0EEEvSZ_.kd
    .uniform_work_group_size: 1
    .uses_dynamic_stack: false
    .vgpr_count:     0
    .vgpr_spill_count: 0
    .wavefront_size: 32
    .workgroup_processor_mode: 1
  - .args:
      - .offset:         0
        .size:           152
        .value_kind:     by_value
    .group_segment_fixed_size: 0
    .kernarg_segment_align: 8
    .kernarg_segment_size: 152
    .language:       OpenCL C
    .language_version:
      - 2
      - 0
    .max_flat_workgroup_size: 256
    .name:           _ZN7rocprim17ROCPRIM_400000_NS6detail17trampoline_kernelINS0_13select_configILj256ELj13ELNS0_17block_load_methodE3ELS4_3ELS4_3ELNS0_20block_scan_algorithmE0ELj4294967295EEENS1_25partition_config_selectorILNS1_17partition_subalgoE3EjNS0_10empty_typeEbEEZZNS1_14partition_implILS8_3ELb0ES6_jNS0_17counting_iteratorIjlEEPS9_SE_NS0_5tupleIJPjSE_EEENSF_IJSE_SE_EEES9_SG_JZNS1_25segmented_radix_sort_implINS0_14default_configELb1EPK6__halfPSL_PKlPlN2at6native12_GLOBAL__N_18offset_tEEE10hipError_tPvRmT1_PNSt15iterator_traitsISZ_E10value_typeET2_T3_PNS10_IS15_E10value_typeET4_jRbjT5_S1B_jjP12ihipStream_tbEUljE_EEESW_SX_SY_S15_S19_S1B_T6_T7_T9_mT8_S1D_bDpT10_ENKUlT_T0_E_clISt17integral_constantIbLb1EES1Q_EEDaS1L_S1M_EUlS1L_E_NS1_11comp_targetILNS1_3genE3ELNS1_11target_archE908ELNS1_3gpuE7ELNS1_3repE0EEENS1_30default_config_static_selectorELNS0_4arch9wavefront6targetE0EEEvSZ_
    .private_segment_fixed_size: 0
    .sgpr_count:     0
    .sgpr_spill_count: 0
    .symbol:         _ZN7rocprim17ROCPRIM_400000_NS6detail17trampoline_kernelINS0_13select_configILj256ELj13ELNS0_17block_load_methodE3ELS4_3ELS4_3ELNS0_20block_scan_algorithmE0ELj4294967295EEENS1_25partition_config_selectorILNS1_17partition_subalgoE3EjNS0_10empty_typeEbEEZZNS1_14partition_implILS8_3ELb0ES6_jNS0_17counting_iteratorIjlEEPS9_SE_NS0_5tupleIJPjSE_EEENSF_IJSE_SE_EEES9_SG_JZNS1_25segmented_radix_sort_implINS0_14default_configELb1EPK6__halfPSL_PKlPlN2at6native12_GLOBAL__N_18offset_tEEE10hipError_tPvRmT1_PNSt15iterator_traitsISZ_E10value_typeET2_T3_PNS10_IS15_E10value_typeET4_jRbjT5_S1B_jjP12ihipStream_tbEUljE_EEESW_SX_SY_S15_S19_S1B_T6_T7_T9_mT8_S1D_bDpT10_ENKUlT_T0_E_clISt17integral_constantIbLb1EES1Q_EEDaS1L_S1M_EUlS1L_E_NS1_11comp_targetILNS1_3genE3ELNS1_11target_archE908ELNS1_3gpuE7ELNS1_3repE0EEENS1_30default_config_static_selectorELNS0_4arch9wavefront6targetE0EEEvSZ_.kd
    .uniform_work_group_size: 1
    .uses_dynamic_stack: false
    .vgpr_count:     0
    .vgpr_spill_count: 0
    .wavefront_size: 32
    .workgroup_processor_mode: 1
  - .args:
      - .offset:         0
        .size:           152
        .value_kind:     by_value
    .group_segment_fixed_size: 0
    .kernarg_segment_align: 8
    .kernarg_segment_size: 152
    .language:       OpenCL C
    .language_version:
      - 2
      - 0
    .max_flat_workgroup_size: 256
    .name:           _ZN7rocprim17ROCPRIM_400000_NS6detail17trampoline_kernelINS0_13select_configILj256ELj13ELNS0_17block_load_methodE3ELS4_3ELS4_3ELNS0_20block_scan_algorithmE0ELj4294967295EEENS1_25partition_config_selectorILNS1_17partition_subalgoE3EjNS0_10empty_typeEbEEZZNS1_14partition_implILS8_3ELb0ES6_jNS0_17counting_iteratorIjlEEPS9_SE_NS0_5tupleIJPjSE_EEENSF_IJSE_SE_EEES9_SG_JZNS1_25segmented_radix_sort_implINS0_14default_configELb1EPK6__halfPSL_PKlPlN2at6native12_GLOBAL__N_18offset_tEEE10hipError_tPvRmT1_PNSt15iterator_traitsISZ_E10value_typeET2_T3_PNS10_IS15_E10value_typeET4_jRbjT5_S1B_jjP12ihipStream_tbEUljE_EEESW_SX_SY_S15_S19_S1B_T6_T7_T9_mT8_S1D_bDpT10_ENKUlT_T0_E_clISt17integral_constantIbLb1EES1Q_EEDaS1L_S1M_EUlS1L_E_NS1_11comp_targetILNS1_3genE2ELNS1_11target_archE906ELNS1_3gpuE6ELNS1_3repE0EEENS1_30default_config_static_selectorELNS0_4arch9wavefront6targetE0EEEvSZ_
    .private_segment_fixed_size: 0
    .sgpr_count:     0
    .sgpr_spill_count: 0
    .symbol:         _ZN7rocprim17ROCPRIM_400000_NS6detail17trampoline_kernelINS0_13select_configILj256ELj13ELNS0_17block_load_methodE3ELS4_3ELS4_3ELNS0_20block_scan_algorithmE0ELj4294967295EEENS1_25partition_config_selectorILNS1_17partition_subalgoE3EjNS0_10empty_typeEbEEZZNS1_14partition_implILS8_3ELb0ES6_jNS0_17counting_iteratorIjlEEPS9_SE_NS0_5tupleIJPjSE_EEENSF_IJSE_SE_EEES9_SG_JZNS1_25segmented_radix_sort_implINS0_14default_configELb1EPK6__halfPSL_PKlPlN2at6native12_GLOBAL__N_18offset_tEEE10hipError_tPvRmT1_PNSt15iterator_traitsISZ_E10value_typeET2_T3_PNS10_IS15_E10value_typeET4_jRbjT5_S1B_jjP12ihipStream_tbEUljE_EEESW_SX_SY_S15_S19_S1B_T6_T7_T9_mT8_S1D_bDpT10_ENKUlT_T0_E_clISt17integral_constantIbLb1EES1Q_EEDaS1L_S1M_EUlS1L_E_NS1_11comp_targetILNS1_3genE2ELNS1_11target_archE906ELNS1_3gpuE6ELNS1_3repE0EEENS1_30default_config_static_selectorELNS0_4arch9wavefront6targetE0EEEvSZ_.kd
    .uniform_work_group_size: 1
    .uses_dynamic_stack: false
    .vgpr_count:     0
    .vgpr_spill_count: 0
    .wavefront_size: 32
    .workgroup_processor_mode: 1
  - .args:
      - .offset:         0
        .size:           152
        .value_kind:     by_value
    .group_segment_fixed_size: 0
    .kernarg_segment_align: 8
    .kernarg_segment_size: 152
    .language:       OpenCL C
    .language_version:
      - 2
      - 0
    .max_flat_workgroup_size: 256
    .name:           _ZN7rocprim17ROCPRIM_400000_NS6detail17trampoline_kernelINS0_13select_configILj256ELj13ELNS0_17block_load_methodE3ELS4_3ELS4_3ELNS0_20block_scan_algorithmE0ELj4294967295EEENS1_25partition_config_selectorILNS1_17partition_subalgoE3EjNS0_10empty_typeEbEEZZNS1_14partition_implILS8_3ELb0ES6_jNS0_17counting_iteratorIjlEEPS9_SE_NS0_5tupleIJPjSE_EEENSF_IJSE_SE_EEES9_SG_JZNS1_25segmented_radix_sort_implINS0_14default_configELb1EPK6__halfPSL_PKlPlN2at6native12_GLOBAL__N_18offset_tEEE10hipError_tPvRmT1_PNSt15iterator_traitsISZ_E10value_typeET2_T3_PNS10_IS15_E10value_typeET4_jRbjT5_S1B_jjP12ihipStream_tbEUljE_EEESW_SX_SY_S15_S19_S1B_T6_T7_T9_mT8_S1D_bDpT10_ENKUlT_T0_E_clISt17integral_constantIbLb1EES1Q_EEDaS1L_S1M_EUlS1L_E_NS1_11comp_targetILNS1_3genE10ELNS1_11target_archE1200ELNS1_3gpuE4ELNS1_3repE0EEENS1_30default_config_static_selectorELNS0_4arch9wavefront6targetE0EEEvSZ_
    .private_segment_fixed_size: 0
    .sgpr_count:     0
    .sgpr_spill_count: 0
    .symbol:         _ZN7rocprim17ROCPRIM_400000_NS6detail17trampoline_kernelINS0_13select_configILj256ELj13ELNS0_17block_load_methodE3ELS4_3ELS4_3ELNS0_20block_scan_algorithmE0ELj4294967295EEENS1_25partition_config_selectorILNS1_17partition_subalgoE3EjNS0_10empty_typeEbEEZZNS1_14partition_implILS8_3ELb0ES6_jNS0_17counting_iteratorIjlEEPS9_SE_NS0_5tupleIJPjSE_EEENSF_IJSE_SE_EEES9_SG_JZNS1_25segmented_radix_sort_implINS0_14default_configELb1EPK6__halfPSL_PKlPlN2at6native12_GLOBAL__N_18offset_tEEE10hipError_tPvRmT1_PNSt15iterator_traitsISZ_E10value_typeET2_T3_PNS10_IS15_E10value_typeET4_jRbjT5_S1B_jjP12ihipStream_tbEUljE_EEESW_SX_SY_S15_S19_S1B_T6_T7_T9_mT8_S1D_bDpT10_ENKUlT_T0_E_clISt17integral_constantIbLb1EES1Q_EEDaS1L_S1M_EUlS1L_E_NS1_11comp_targetILNS1_3genE10ELNS1_11target_archE1200ELNS1_3gpuE4ELNS1_3repE0EEENS1_30default_config_static_selectorELNS0_4arch9wavefront6targetE0EEEvSZ_.kd
    .uniform_work_group_size: 1
    .uses_dynamic_stack: false
    .vgpr_count:     0
    .vgpr_spill_count: 0
    .wavefront_size: 32
    .workgroup_processor_mode: 1
  - .args:
      - .offset:         0
        .size:           152
        .value_kind:     by_value
    .group_segment_fixed_size: 0
    .kernarg_segment_align: 8
    .kernarg_segment_size: 152
    .language:       OpenCL C
    .language_version:
      - 2
      - 0
    .max_flat_workgroup_size: 256
    .name:           _ZN7rocprim17ROCPRIM_400000_NS6detail17trampoline_kernelINS0_13select_configILj256ELj13ELNS0_17block_load_methodE3ELS4_3ELS4_3ELNS0_20block_scan_algorithmE0ELj4294967295EEENS1_25partition_config_selectorILNS1_17partition_subalgoE3EjNS0_10empty_typeEbEEZZNS1_14partition_implILS8_3ELb0ES6_jNS0_17counting_iteratorIjlEEPS9_SE_NS0_5tupleIJPjSE_EEENSF_IJSE_SE_EEES9_SG_JZNS1_25segmented_radix_sort_implINS0_14default_configELb1EPK6__halfPSL_PKlPlN2at6native12_GLOBAL__N_18offset_tEEE10hipError_tPvRmT1_PNSt15iterator_traitsISZ_E10value_typeET2_T3_PNS10_IS15_E10value_typeET4_jRbjT5_S1B_jjP12ihipStream_tbEUljE_EEESW_SX_SY_S15_S19_S1B_T6_T7_T9_mT8_S1D_bDpT10_ENKUlT_T0_E_clISt17integral_constantIbLb1EES1Q_EEDaS1L_S1M_EUlS1L_E_NS1_11comp_targetILNS1_3genE9ELNS1_11target_archE1100ELNS1_3gpuE3ELNS1_3repE0EEENS1_30default_config_static_selectorELNS0_4arch9wavefront6targetE0EEEvSZ_
    .private_segment_fixed_size: 0
    .sgpr_count:     0
    .sgpr_spill_count: 0
    .symbol:         _ZN7rocprim17ROCPRIM_400000_NS6detail17trampoline_kernelINS0_13select_configILj256ELj13ELNS0_17block_load_methodE3ELS4_3ELS4_3ELNS0_20block_scan_algorithmE0ELj4294967295EEENS1_25partition_config_selectorILNS1_17partition_subalgoE3EjNS0_10empty_typeEbEEZZNS1_14partition_implILS8_3ELb0ES6_jNS0_17counting_iteratorIjlEEPS9_SE_NS0_5tupleIJPjSE_EEENSF_IJSE_SE_EEES9_SG_JZNS1_25segmented_radix_sort_implINS0_14default_configELb1EPK6__halfPSL_PKlPlN2at6native12_GLOBAL__N_18offset_tEEE10hipError_tPvRmT1_PNSt15iterator_traitsISZ_E10value_typeET2_T3_PNS10_IS15_E10value_typeET4_jRbjT5_S1B_jjP12ihipStream_tbEUljE_EEESW_SX_SY_S15_S19_S1B_T6_T7_T9_mT8_S1D_bDpT10_ENKUlT_T0_E_clISt17integral_constantIbLb1EES1Q_EEDaS1L_S1M_EUlS1L_E_NS1_11comp_targetILNS1_3genE9ELNS1_11target_archE1100ELNS1_3gpuE3ELNS1_3repE0EEENS1_30default_config_static_selectorELNS0_4arch9wavefront6targetE0EEEvSZ_.kd
    .uniform_work_group_size: 1
    .uses_dynamic_stack: false
    .vgpr_count:     0
    .vgpr_spill_count: 0
    .wavefront_size: 32
    .workgroup_processor_mode: 1
  - .args:
      - .offset:         0
        .size:           152
        .value_kind:     by_value
    .group_segment_fixed_size: 0
    .kernarg_segment_align: 8
    .kernarg_segment_size: 152
    .language:       OpenCL C
    .language_version:
      - 2
      - 0
    .max_flat_workgroup_size: 256
    .name:           _ZN7rocprim17ROCPRIM_400000_NS6detail17trampoline_kernelINS0_13select_configILj256ELj13ELNS0_17block_load_methodE3ELS4_3ELS4_3ELNS0_20block_scan_algorithmE0ELj4294967295EEENS1_25partition_config_selectorILNS1_17partition_subalgoE3EjNS0_10empty_typeEbEEZZNS1_14partition_implILS8_3ELb0ES6_jNS0_17counting_iteratorIjlEEPS9_SE_NS0_5tupleIJPjSE_EEENSF_IJSE_SE_EEES9_SG_JZNS1_25segmented_radix_sort_implINS0_14default_configELb1EPK6__halfPSL_PKlPlN2at6native12_GLOBAL__N_18offset_tEEE10hipError_tPvRmT1_PNSt15iterator_traitsISZ_E10value_typeET2_T3_PNS10_IS15_E10value_typeET4_jRbjT5_S1B_jjP12ihipStream_tbEUljE_EEESW_SX_SY_S15_S19_S1B_T6_T7_T9_mT8_S1D_bDpT10_ENKUlT_T0_E_clISt17integral_constantIbLb1EES1Q_EEDaS1L_S1M_EUlS1L_E_NS1_11comp_targetILNS1_3genE8ELNS1_11target_archE1030ELNS1_3gpuE2ELNS1_3repE0EEENS1_30default_config_static_selectorELNS0_4arch9wavefront6targetE0EEEvSZ_
    .private_segment_fixed_size: 0
    .sgpr_count:     0
    .sgpr_spill_count: 0
    .symbol:         _ZN7rocprim17ROCPRIM_400000_NS6detail17trampoline_kernelINS0_13select_configILj256ELj13ELNS0_17block_load_methodE3ELS4_3ELS4_3ELNS0_20block_scan_algorithmE0ELj4294967295EEENS1_25partition_config_selectorILNS1_17partition_subalgoE3EjNS0_10empty_typeEbEEZZNS1_14partition_implILS8_3ELb0ES6_jNS0_17counting_iteratorIjlEEPS9_SE_NS0_5tupleIJPjSE_EEENSF_IJSE_SE_EEES9_SG_JZNS1_25segmented_radix_sort_implINS0_14default_configELb1EPK6__halfPSL_PKlPlN2at6native12_GLOBAL__N_18offset_tEEE10hipError_tPvRmT1_PNSt15iterator_traitsISZ_E10value_typeET2_T3_PNS10_IS15_E10value_typeET4_jRbjT5_S1B_jjP12ihipStream_tbEUljE_EEESW_SX_SY_S15_S19_S1B_T6_T7_T9_mT8_S1D_bDpT10_ENKUlT_T0_E_clISt17integral_constantIbLb1EES1Q_EEDaS1L_S1M_EUlS1L_E_NS1_11comp_targetILNS1_3genE8ELNS1_11target_archE1030ELNS1_3gpuE2ELNS1_3repE0EEENS1_30default_config_static_selectorELNS0_4arch9wavefront6targetE0EEEvSZ_.kd
    .uniform_work_group_size: 1
    .uses_dynamic_stack: false
    .vgpr_count:     0
    .vgpr_spill_count: 0
    .wavefront_size: 32
    .workgroup_processor_mode: 1
  - .args:
      - .offset:         0
        .size:           144
        .value_kind:     by_value
    .group_segment_fixed_size: 0
    .kernarg_segment_align: 8
    .kernarg_segment_size: 144
    .language:       OpenCL C
    .language_version:
      - 2
      - 0
    .max_flat_workgroup_size: 256
    .name:           _ZN7rocprim17ROCPRIM_400000_NS6detail17trampoline_kernelINS0_13select_configILj256ELj13ELNS0_17block_load_methodE3ELS4_3ELS4_3ELNS0_20block_scan_algorithmE0ELj4294967295EEENS1_25partition_config_selectorILNS1_17partition_subalgoE3EjNS0_10empty_typeEbEEZZNS1_14partition_implILS8_3ELb0ES6_jNS0_17counting_iteratorIjlEEPS9_SE_NS0_5tupleIJPjSE_EEENSF_IJSE_SE_EEES9_SG_JZNS1_25segmented_radix_sort_implINS0_14default_configELb1EPK6__halfPSL_PKlPlN2at6native12_GLOBAL__N_18offset_tEEE10hipError_tPvRmT1_PNSt15iterator_traitsISZ_E10value_typeET2_T3_PNS10_IS15_E10value_typeET4_jRbjT5_S1B_jjP12ihipStream_tbEUljE_EEESW_SX_SY_S15_S19_S1B_T6_T7_T9_mT8_S1D_bDpT10_ENKUlT_T0_E_clISt17integral_constantIbLb1EES1P_IbLb0EEEEDaS1L_S1M_EUlS1L_E_NS1_11comp_targetILNS1_3genE0ELNS1_11target_archE4294967295ELNS1_3gpuE0ELNS1_3repE0EEENS1_30default_config_static_selectorELNS0_4arch9wavefront6targetE0EEEvSZ_
    .private_segment_fixed_size: 0
    .sgpr_count:     0
    .sgpr_spill_count: 0
    .symbol:         _ZN7rocprim17ROCPRIM_400000_NS6detail17trampoline_kernelINS0_13select_configILj256ELj13ELNS0_17block_load_methodE3ELS4_3ELS4_3ELNS0_20block_scan_algorithmE0ELj4294967295EEENS1_25partition_config_selectorILNS1_17partition_subalgoE3EjNS0_10empty_typeEbEEZZNS1_14partition_implILS8_3ELb0ES6_jNS0_17counting_iteratorIjlEEPS9_SE_NS0_5tupleIJPjSE_EEENSF_IJSE_SE_EEES9_SG_JZNS1_25segmented_radix_sort_implINS0_14default_configELb1EPK6__halfPSL_PKlPlN2at6native12_GLOBAL__N_18offset_tEEE10hipError_tPvRmT1_PNSt15iterator_traitsISZ_E10value_typeET2_T3_PNS10_IS15_E10value_typeET4_jRbjT5_S1B_jjP12ihipStream_tbEUljE_EEESW_SX_SY_S15_S19_S1B_T6_T7_T9_mT8_S1D_bDpT10_ENKUlT_T0_E_clISt17integral_constantIbLb1EES1P_IbLb0EEEEDaS1L_S1M_EUlS1L_E_NS1_11comp_targetILNS1_3genE0ELNS1_11target_archE4294967295ELNS1_3gpuE0ELNS1_3repE0EEENS1_30default_config_static_selectorELNS0_4arch9wavefront6targetE0EEEvSZ_.kd
    .uniform_work_group_size: 1
    .uses_dynamic_stack: false
    .vgpr_count:     0
    .vgpr_spill_count: 0
    .wavefront_size: 32
    .workgroup_processor_mode: 1
  - .args:
      - .offset:         0
        .size:           144
        .value_kind:     by_value
    .group_segment_fixed_size: 0
    .kernarg_segment_align: 8
    .kernarg_segment_size: 144
    .language:       OpenCL C
    .language_version:
      - 2
      - 0
    .max_flat_workgroup_size: 256
    .name:           _ZN7rocprim17ROCPRIM_400000_NS6detail17trampoline_kernelINS0_13select_configILj256ELj13ELNS0_17block_load_methodE3ELS4_3ELS4_3ELNS0_20block_scan_algorithmE0ELj4294967295EEENS1_25partition_config_selectorILNS1_17partition_subalgoE3EjNS0_10empty_typeEbEEZZNS1_14partition_implILS8_3ELb0ES6_jNS0_17counting_iteratorIjlEEPS9_SE_NS0_5tupleIJPjSE_EEENSF_IJSE_SE_EEES9_SG_JZNS1_25segmented_radix_sort_implINS0_14default_configELb1EPK6__halfPSL_PKlPlN2at6native12_GLOBAL__N_18offset_tEEE10hipError_tPvRmT1_PNSt15iterator_traitsISZ_E10value_typeET2_T3_PNS10_IS15_E10value_typeET4_jRbjT5_S1B_jjP12ihipStream_tbEUljE_EEESW_SX_SY_S15_S19_S1B_T6_T7_T9_mT8_S1D_bDpT10_ENKUlT_T0_E_clISt17integral_constantIbLb1EES1P_IbLb0EEEEDaS1L_S1M_EUlS1L_E_NS1_11comp_targetILNS1_3genE5ELNS1_11target_archE942ELNS1_3gpuE9ELNS1_3repE0EEENS1_30default_config_static_selectorELNS0_4arch9wavefront6targetE0EEEvSZ_
    .private_segment_fixed_size: 0
    .sgpr_count:     0
    .sgpr_spill_count: 0
    .symbol:         _ZN7rocprim17ROCPRIM_400000_NS6detail17trampoline_kernelINS0_13select_configILj256ELj13ELNS0_17block_load_methodE3ELS4_3ELS4_3ELNS0_20block_scan_algorithmE0ELj4294967295EEENS1_25partition_config_selectorILNS1_17partition_subalgoE3EjNS0_10empty_typeEbEEZZNS1_14partition_implILS8_3ELb0ES6_jNS0_17counting_iteratorIjlEEPS9_SE_NS0_5tupleIJPjSE_EEENSF_IJSE_SE_EEES9_SG_JZNS1_25segmented_radix_sort_implINS0_14default_configELb1EPK6__halfPSL_PKlPlN2at6native12_GLOBAL__N_18offset_tEEE10hipError_tPvRmT1_PNSt15iterator_traitsISZ_E10value_typeET2_T3_PNS10_IS15_E10value_typeET4_jRbjT5_S1B_jjP12ihipStream_tbEUljE_EEESW_SX_SY_S15_S19_S1B_T6_T7_T9_mT8_S1D_bDpT10_ENKUlT_T0_E_clISt17integral_constantIbLb1EES1P_IbLb0EEEEDaS1L_S1M_EUlS1L_E_NS1_11comp_targetILNS1_3genE5ELNS1_11target_archE942ELNS1_3gpuE9ELNS1_3repE0EEENS1_30default_config_static_selectorELNS0_4arch9wavefront6targetE0EEEvSZ_.kd
    .uniform_work_group_size: 1
    .uses_dynamic_stack: false
    .vgpr_count:     0
    .vgpr_spill_count: 0
    .wavefront_size: 32
    .workgroup_processor_mode: 1
  - .args:
      - .offset:         0
        .size:           144
        .value_kind:     by_value
    .group_segment_fixed_size: 0
    .kernarg_segment_align: 8
    .kernarg_segment_size: 144
    .language:       OpenCL C
    .language_version:
      - 2
      - 0
    .max_flat_workgroup_size: 256
    .name:           _ZN7rocprim17ROCPRIM_400000_NS6detail17trampoline_kernelINS0_13select_configILj256ELj13ELNS0_17block_load_methodE3ELS4_3ELS4_3ELNS0_20block_scan_algorithmE0ELj4294967295EEENS1_25partition_config_selectorILNS1_17partition_subalgoE3EjNS0_10empty_typeEbEEZZNS1_14partition_implILS8_3ELb0ES6_jNS0_17counting_iteratorIjlEEPS9_SE_NS0_5tupleIJPjSE_EEENSF_IJSE_SE_EEES9_SG_JZNS1_25segmented_radix_sort_implINS0_14default_configELb1EPK6__halfPSL_PKlPlN2at6native12_GLOBAL__N_18offset_tEEE10hipError_tPvRmT1_PNSt15iterator_traitsISZ_E10value_typeET2_T3_PNS10_IS15_E10value_typeET4_jRbjT5_S1B_jjP12ihipStream_tbEUljE_EEESW_SX_SY_S15_S19_S1B_T6_T7_T9_mT8_S1D_bDpT10_ENKUlT_T0_E_clISt17integral_constantIbLb1EES1P_IbLb0EEEEDaS1L_S1M_EUlS1L_E_NS1_11comp_targetILNS1_3genE4ELNS1_11target_archE910ELNS1_3gpuE8ELNS1_3repE0EEENS1_30default_config_static_selectorELNS0_4arch9wavefront6targetE0EEEvSZ_
    .private_segment_fixed_size: 0
    .sgpr_count:     0
    .sgpr_spill_count: 0
    .symbol:         _ZN7rocprim17ROCPRIM_400000_NS6detail17trampoline_kernelINS0_13select_configILj256ELj13ELNS0_17block_load_methodE3ELS4_3ELS4_3ELNS0_20block_scan_algorithmE0ELj4294967295EEENS1_25partition_config_selectorILNS1_17partition_subalgoE3EjNS0_10empty_typeEbEEZZNS1_14partition_implILS8_3ELb0ES6_jNS0_17counting_iteratorIjlEEPS9_SE_NS0_5tupleIJPjSE_EEENSF_IJSE_SE_EEES9_SG_JZNS1_25segmented_radix_sort_implINS0_14default_configELb1EPK6__halfPSL_PKlPlN2at6native12_GLOBAL__N_18offset_tEEE10hipError_tPvRmT1_PNSt15iterator_traitsISZ_E10value_typeET2_T3_PNS10_IS15_E10value_typeET4_jRbjT5_S1B_jjP12ihipStream_tbEUljE_EEESW_SX_SY_S15_S19_S1B_T6_T7_T9_mT8_S1D_bDpT10_ENKUlT_T0_E_clISt17integral_constantIbLb1EES1P_IbLb0EEEEDaS1L_S1M_EUlS1L_E_NS1_11comp_targetILNS1_3genE4ELNS1_11target_archE910ELNS1_3gpuE8ELNS1_3repE0EEENS1_30default_config_static_selectorELNS0_4arch9wavefront6targetE0EEEvSZ_.kd
    .uniform_work_group_size: 1
    .uses_dynamic_stack: false
    .vgpr_count:     0
    .vgpr_spill_count: 0
    .wavefront_size: 32
    .workgroup_processor_mode: 1
  - .args:
      - .offset:         0
        .size:           144
        .value_kind:     by_value
    .group_segment_fixed_size: 0
    .kernarg_segment_align: 8
    .kernarg_segment_size: 144
    .language:       OpenCL C
    .language_version:
      - 2
      - 0
    .max_flat_workgroup_size: 256
    .name:           _ZN7rocprim17ROCPRIM_400000_NS6detail17trampoline_kernelINS0_13select_configILj256ELj13ELNS0_17block_load_methodE3ELS4_3ELS4_3ELNS0_20block_scan_algorithmE0ELj4294967295EEENS1_25partition_config_selectorILNS1_17partition_subalgoE3EjNS0_10empty_typeEbEEZZNS1_14partition_implILS8_3ELb0ES6_jNS0_17counting_iteratorIjlEEPS9_SE_NS0_5tupleIJPjSE_EEENSF_IJSE_SE_EEES9_SG_JZNS1_25segmented_radix_sort_implINS0_14default_configELb1EPK6__halfPSL_PKlPlN2at6native12_GLOBAL__N_18offset_tEEE10hipError_tPvRmT1_PNSt15iterator_traitsISZ_E10value_typeET2_T3_PNS10_IS15_E10value_typeET4_jRbjT5_S1B_jjP12ihipStream_tbEUljE_EEESW_SX_SY_S15_S19_S1B_T6_T7_T9_mT8_S1D_bDpT10_ENKUlT_T0_E_clISt17integral_constantIbLb1EES1P_IbLb0EEEEDaS1L_S1M_EUlS1L_E_NS1_11comp_targetILNS1_3genE3ELNS1_11target_archE908ELNS1_3gpuE7ELNS1_3repE0EEENS1_30default_config_static_selectorELNS0_4arch9wavefront6targetE0EEEvSZ_
    .private_segment_fixed_size: 0
    .sgpr_count:     0
    .sgpr_spill_count: 0
    .symbol:         _ZN7rocprim17ROCPRIM_400000_NS6detail17trampoline_kernelINS0_13select_configILj256ELj13ELNS0_17block_load_methodE3ELS4_3ELS4_3ELNS0_20block_scan_algorithmE0ELj4294967295EEENS1_25partition_config_selectorILNS1_17partition_subalgoE3EjNS0_10empty_typeEbEEZZNS1_14partition_implILS8_3ELb0ES6_jNS0_17counting_iteratorIjlEEPS9_SE_NS0_5tupleIJPjSE_EEENSF_IJSE_SE_EEES9_SG_JZNS1_25segmented_radix_sort_implINS0_14default_configELb1EPK6__halfPSL_PKlPlN2at6native12_GLOBAL__N_18offset_tEEE10hipError_tPvRmT1_PNSt15iterator_traitsISZ_E10value_typeET2_T3_PNS10_IS15_E10value_typeET4_jRbjT5_S1B_jjP12ihipStream_tbEUljE_EEESW_SX_SY_S15_S19_S1B_T6_T7_T9_mT8_S1D_bDpT10_ENKUlT_T0_E_clISt17integral_constantIbLb1EES1P_IbLb0EEEEDaS1L_S1M_EUlS1L_E_NS1_11comp_targetILNS1_3genE3ELNS1_11target_archE908ELNS1_3gpuE7ELNS1_3repE0EEENS1_30default_config_static_selectorELNS0_4arch9wavefront6targetE0EEEvSZ_.kd
    .uniform_work_group_size: 1
    .uses_dynamic_stack: false
    .vgpr_count:     0
    .vgpr_spill_count: 0
    .wavefront_size: 32
    .workgroup_processor_mode: 1
  - .args:
      - .offset:         0
        .size:           144
        .value_kind:     by_value
    .group_segment_fixed_size: 0
    .kernarg_segment_align: 8
    .kernarg_segment_size: 144
    .language:       OpenCL C
    .language_version:
      - 2
      - 0
    .max_flat_workgroup_size: 256
    .name:           _ZN7rocprim17ROCPRIM_400000_NS6detail17trampoline_kernelINS0_13select_configILj256ELj13ELNS0_17block_load_methodE3ELS4_3ELS4_3ELNS0_20block_scan_algorithmE0ELj4294967295EEENS1_25partition_config_selectorILNS1_17partition_subalgoE3EjNS0_10empty_typeEbEEZZNS1_14partition_implILS8_3ELb0ES6_jNS0_17counting_iteratorIjlEEPS9_SE_NS0_5tupleIJPjSE_EEENSF_IJSE_SE_EEES9_SG_JZNS1_25segmented_radix_sort_implINS0_14default_configELb1EPK6__halfPSL_PKlPlN2at6native12_GLOBAL__N_18offset_tEEE10hipError_tPvRmT1_PNSt15iterator_traitsISZ_E10value_typeET2_T3_PNS10_IS15_E10value_typeET4_jRbjT5_S1B_jjP12ihipStream_tbEUljE_EEESW_SX_SY_S15_S19_S1B_T6_T7_T9_mT8_S1D_bDpT10_ENKUlT_T0_E_clISt17integral_constantIbLb1EES1P_IbLb0EEEEDaS1L_S1M_EUlS1L_E_NS1_11comp_targetILNS1_3genE2ELNS1_11target_archE906ELNS1_3gpuE6ELNS1_3repE0EEENS1_30default_config_static_selectorELNS0_4arch9wavefront6targetE0EEEvSZ_
    .private_segment_fixed_size: 0
    .sgpr_count:     0
    .sgpr_spill_count: 0
    .symbol:         _ZN7rocprim17ROCPRIM_400000_NS6detail17trampoline_kernelINS0_13select_configILj256ELj13ELNS0_17block_load_methodE3ELS4_3ELS4_3ELNS0_20block_scan_algorithmE0ELj4294967295EEENS1_25partition_config_selectorILNS1_17partition_subalgoE3EjNS0_10empty_typeEbEEZZNS1_14partition_implILS8_3ELb0ES6_jNS0_17counting_iteratorIjlEEPS9_SE_NS0_5tupleIJPjSE_EEENSF_IJSE_SE_EEES9_SG_JZNS1_25segmented_radix_sort_implINS0_14default_configELb1EPK6__halfPSL_PKlPlN2at6native12_GLOBAL__N_18offset_tEEE10hipError_tPvRmT1_PNSt15iterator_traitsISZ_E10value_typeET2_T3_PNS10_IS15_E10value_typeET4_jRbjT5_S1B_jjP12ihipStream_tbEUljE_EEESW_SX_SY_S15_S19_S1B_T6_T7_T9_mT8_S1D_bDpT10_ENKUlT_T0_E_clISt17integral_constantIbLb1EES1P_IbLb0EEEEDaS1L_S1M_EUlS1L_E_NS1_11comp_targetILNS1_3genE2ELNS1_11target_archE906ELNS1_3gpuE6ELNS1_3repE0EEENS1_30default_config_static_selectorELNS0_4arch9wavefront6targetE0EEEvSZ_.kd
    .uniform_work_group_size: 1
    .uses_dynamic_stack: false
    .vgpr_count:     0
    .vgpr_spill_count: 0
    .wavefront_size: 32
    .workgroup_processor_mode: 1
  - .args:
      - .offset:         0
        .size:           144
        .value_kind:     by_value
    .group_segment_fixed_size: 0
    .kernarg_segment_align: 8
    .kernarg_segment_size: 144
    .language:       OpenCL C
    .language_version:
      - 2
      - 0
    .max_flat_workgroup_size: 256
    .name:           _ZN7rocprim17ROCPRIM_400000_NS6detail17trampoline_kernelINS0_13select_configILj256ELj13ELNS0_17block_load_methodE3ELS4_3ELS4_3ELNS0_20block_scan_algorithmE0ELj4294967295EEENS1_25partition_config_selectorILNS1_17partition_subalgoE3EjNS0_10empty_typeEbEEZZNS1_14partition_implILS8_3ELb0ES6_jNS0_17counting_iteratorIjlEEPS9_SE_NS0_5tupleIJPjSE_EEENSF_IJSE_SE_EEES9_SG_JZNS1_25segmented_radix_sort_implINS0_14default_configELb1EPK6__halfPSL_PKlPlN2at6native12_GLOBAL__N_18offset_tEEE10hipError_tPvRmT1_PNSt15iterator_traitsISZ_E10value_typeET2_T3_PNS10_IS15_E10value_typeET4_jRbjT5_S1B_jjP12ihipStream_tbEUljE_EEESW_SX_SY_S15_S19_S1B_T6_T7_T9_mT8_S1D_bDpT10_ENKUlT_T0_E_clISt17integral_constantIbLb1EES1P_IbLb0EEEEDaS1L_S1M_EUlS1L_E_NS1_11comp_targetILNS1_3genE10ELNS1_11target_archE1200ELNS1_3gpuE4ELNS1_3repE0EEENS1_30default_config_static_selectorELNS0_4arch9wavefront6targetE0EEEvSZ_
    .private_segment_fixed_size: 0
    .sgpr_count:     0
    .sgpr_spill_count: 0
    .symbol:         _ZN7rocprim17ROCPRIM_400000_NS6detail17trampoline_kernelINS0_13select_configILj256ELj13ELNS0_17block_load_methodE3ELS4_3ELS4_3ELNS0_20block_scan_algorithmE0ELj4294967295EEENS1_25partition_config_selectorILNS1_17partition_subalgoE3EjNS0_10empty_typeEbEEZZNS1_14partition_implILS8_3ELb0ES6_jNS0_17counting_iteratorIjlEEPS9_SE_NS0_5tupleIJPjSE_EEENSF_IJSE_SE_EEES9_SG_JZNS1_25segmented_radix_sort_implINS0_14default_configELb1EPK6__halfPSL_PKlPlN2at6native12_GLOBAL__N_18offset_tEEE10hipError_tPvRmT1_PNSt15iterator_traitsISZ_E10value_typeET2_T3_PNS10_IS15_E10value_typeET4_jRbjT5_S1B_jjP12ihipStream_tbEUljE_EEESW_SX_SY_S15_S19_S1B_T6_T7_T9_mT8_S1D_bDpT10_ENKUlT_T0_E_clISt17integral_constantIbLb1EES1P_IbLb0EEEEDaS1L_S1M_EUlS1L_E_NS1_11comp_targetILNS1_3genE10ELNS1_11target_archE1200ELNS1_3gpuE4ELNS1_3repE0EEENS1_30default_config_static_selectorELNS0_4arch9wavefront6targetE0EEEvSZ_.kd
    .uniform_work_group_size: 1
    .uses_dynamic_stack: false
    .vgpr_count:     0
    .vgpr_spill_count: 0
    .wavefront_size: 32
    .workgroup_processor_mode: 1
  - .args:
      - .offset:         0
        .size:           144
        .value_kind:     by_value
    .group_segment_fixed_size: 0
    .kernarg_segment_align: 8
    .kernarg_segment_size: 144
    .language:       OpenCL C
    .language_version:
      - 2
      - 0
    .max_flat_workgroup_size: 256
    .name:           _ZN7rocprim17ROCPRIM_400000_NS6detail17trampoline_kernelINS0_13select_configILj256ELj13ELNS0_17block_load_methodE3ELS4_3ELS4_3ELNS0_20block_scan_algorithmE0ELj4294967295EEENS1_25partition_config_selectorILNS1_17partition_subalgoE3EjNS0_10empty_typeEbEEZZNS1_14partition_implILS8_3ELb0ES6_jNS0_17counting_iteratorIjlEEPS9_SE_NS0_5tupleIJPjSE_EEENSF_IJSE_SE_EEES9_SG_JZNS1_25segmented_radix_sort_implINS0_14default_configELb1EPK6__halfPSL_PKlPlN2at6native12_GLOBAL__N_18offset_tEEE10hipError_tPvRmT1_PNSt15iterator_traitsISZ_E10value_typeET2_T3_PNS10_IS15_E10value_typeET4_jRbjT5_S1B_jjP12ihipStream_tbEUljE_EEESW_SX_SY_S15_S19_S1B_T6_T7_T9_mT8_S1D_bDpT10_ENKUlT_T0_E_clISt17integral_constantIbLb1EES1P_IbLb0EEEEDaS1L_S1M_EUlS1L_E_NS1_11comp_targetILNS1_3genE9ELNS1_11target_archE1100ELNS1_3gpuE3ELNS1_3repE0EEENS1_30default_config_static_selectorELNS0_4arch9wavefront6targetE0EEEvSZ_
    .private_segment_fixed_size: 0
    .sgpr_count:     0
    .sgpr_spill_count: 0
    .symbol:         _ZN7rocprim17ROCPRIM_400000_NS6detail17trampoline_kernelINS0_13select_configILj256ELj13ELNS0_17block_load_methodE3ELS4_3ELS4_3ELNS0_20block_scan_algorithmE0ELj4294967295EEENS1_25partition_config_selectorILNS1_17partition_subalgoE3EjNS0_10empty_typeEbEEZZNS1_14partition_implILS8_3ELb0ES6_jNS0_17counting_iteratorIjlEEPS9_SE_NS0_5tupleIJPjSE_EEENSF_IJSE_SE_EEES9_SG_JZNS1_25segmented_radix_sort_implINS0_14default_configELb1EPK6__halfPSL_PKlPlN2at6native12_GLOBAL__N_18offset_tEEE10hipError_tPvRmT1_PNSt15iterator_traitsISZ_E10value_typeET2_T3_PNS10_IS15_E10value_typeET4_jRbjT5_S1B_jjP12ihipStream_tbEUljE_EEESW_SX_SY_S15_S19_S1B_T6_T7_T9_mT8_S1D_bDpT10_ENKUlT_T0_E_clISt17integral_constantIbLb1EES1P_IbLb0EEEEDaS1L_S1M_EUlS1L_E_NS1_11comp_targetILNS1_3genE9ELNS1_11target_archE1100ELNS1_3gpuE3ELNS1_3repE0EEENS1_30default_config_static_selectorELNS0_4arch9wavefront6targetE0EEEvSZ_.kd
    .uniform_work_group_size: 1
    .uses_dynamic_stack: false
    .vgpr_count:     0
    .vgpr_spill_count: 0
    .wavefront_size: 32
    .workgroup_processor_mode: 1
  - .args:
      - .offset:         0
        .size:           144
        .value_kind:     by_value
    .group_segment_fixed_size: 0
    .kernarg_segment_align: 8
    .kernarg_segment_size: 144
    .language:       OpenCL C
    .language_version:
      - 2
      - 0
    .max_flat_workgroup_size: 256
    .name:           _ZN7rocprim17ROCPRIM_400000_NS6detail17trampoline_kernelINS0_13select_configILj256ELj13ELNS0_17block_load_methodE3ELS4_3ELS4_3ELNS0_20block_scan_algorithmE0ELj4294967295EEENS1_25partition_config_selectorILNS1_17partition_subalgoE3EjNS0_10empty_typeEbEEZZNS1_14partition_implILS8_3ELb0ES6_jNS0_17counting_iteratorIjlEEPS9_SE_NS0_5tupleIJPjSE_EEENSF_IJSE_SE_EEES9_SG_JZNS1_25segmented_radix_sort_implINS0_14default_configELb1EPK6__halfPSL_PKlPlN2at6native12_GLOBAL__N_18offset_tEEE10hipError_tPvRmT1_PNSt15iterator_traitsISZ_E10value_typeET2_T3_PNS10_IS15_E10value_typeET4_jRbjT5_S1B_jjP12ihipStream_tbEUljE_EEESW_SX_SY_S15_S19_S1B_T6_T7_T9_mT8_S1D_bDpT10_ENKUlT_T0_E_clISt17integral_constantIbLb1EES1P_IbLb0EEEEDaS1L_S1M_EUlS1L_E_NS1_11comp_targetILNS1_3genE8ELNS1_11target_archE1030ELNS1_3gpuE2ELNS1_3repE0EEENS1_30default_config_static_selectorELNS0_4arch9wavefront6targetE0EEEvSZ_
    .private_segment_fixed_size: 0
    .sgpr_count:     0
    .sgpr_spill_count: 0
    .symbol:         _ZN7rocprim17ROCPRIM_400000_NS6detail17trampoline_kernelINS0_13select_configILj256ELj13ELNS0_17block_load_methodE3ELS4_3ELS4_3ELNS0_20block_scan_algorithmE0ELj4294967295EEENS1_25partition_config_selectorILNS1_17partition_subalgoE3EjNS0_10empty_typeEbEEZZNS1_14partition_implILS8_3ELb0ES6_jNS0_17counting_iteratorIjlEEPS9_SE_NS0_5tupleIJPjSE_EEENSF_IJSE_SE_EEES9_SG_JZNS1_25segmented_radix_sort_implINS0_14default_configELb1EPK6__halfPSL_PKlPlN2at6native12_GLOBAL__N_18offset_tEEE10hipError_tPvRmT1_PNSt15iterator_traitsISZ_E10value_typeET2_T3_PNS10_IS15_E10value_typeET4_jRbjT5_S1B_jjP12ihipStream_tbEUljE_EEESW_SX_SY_S15_S19_S1B_T6_T7_T9_mT8_S1D_bDpT10_ENKUlT_T0_E_clISt17integral_constantIbLb1EES1P_IbLb0EEEEDaS1L_S1M_EUlS1L_E_NS1_11comp_targetILNS1_3genE8ELNS1_11target_archE1030ELNS1_3gpuE2ELNS1_3repE0EEENS1_30default_config_static_selectorELNS0_4arch9wavefront6targetE0EEEvSZ_.kd
    .uniform_work_group_size: 1
    .uses_dynamic_stack: false
    .vgpr_count:     0
    .vgpr_spill_count: 0
    .wavefront_size: 32
    .workgroup_processor_mode: 1
  - .args:
      - .offset:         0
        .size:           152
        .value_kind:     by_value
    .group_segment_fixed_size: 0
    .kernarg_segment_align: 8
    .kernarg_segment_size: 152
    .language:       OpenCL C
    .language_version:
      - 2
      - 0
    .max_flat_workgroup_size: 256
    .name:           _ZN7rocprim17ROCPRIM_400000_NS6detail17trampoline_kernelINS0_13select_configILj256ELj13ELNS0_17block_load_methodE3ELS4_3ELS4_3ELNS0_20block_scan_algorithmE0ELj4294967295EEENS1_25partition_config_selectorILNS1_17partition_subalgoE3EjNS0_10empty_typeEbEEZZNS1_14partition_implILS8_3ELb0ES6_jNS0_17counting_iteratorIjlEEPS9_SE_NS0_5tupleIJPjSE_EEENSF_IJSE_SE_EEES9_SG_JZNS1_25segmented_radix_sort_implINS0_14default_configELb1EPK6__halfPSL_PKlPlN2at6native12_GLOBAL__N_18offset_tEEE10hipError_tPvRmT1_PNSt15iterator_traitsISZ_E10value_typeET2_T3_PNS10_IS15_E10value_typeET4_jRbjT5_S1B_jjP12ihipStream_tbEUljE_EEESW_SX_SY_S15_S19_S1B_T6_T7_T9_mT8_S1D_bDpT10_ENKUlT_T0_E_clISt17integral_constantIbLb0EES1P_IbLb1EEEEDaS1L_S1M_EUlS1L_E_NS1_11comp_targetILNS1_3genE0ELNS1_11target_archE4294967295ELNS1_3gpuE0ELNS1_3repE0EEENS1_30default_config_static_selectorELNS0_4arch9wavefront6targetE0EEEvSZ_
    .private_segment_fixed_size: 0
    .sgpr_count:     0
    .sgpr_spill_count: 0
    .symbol:         _ZN7rocprim17ROCPRIM_400000_NS6detail17trampoline_kernelINS0_13select_configILj256ELj13ELNS0_17block_load_methodE3ELS4_3ELS4_3ELNS0_20block_scan_algorithmE0ELj4294967295EEENS1_25partition_config_selectorILNS1_17partition_subalgoE3EjNS0_10empty_typeEbEEZZNS1_14partition_implILS8_3ELb0ES6_jNS0_17counting_iteratorIjlEEPS9_SE_NS0_5tupleIJPjSE_EEENSF_IJSE_SE_EEES9_SG_JZNS1_25segmented_radix_sort_implINS0_14default_configELb1EPK6__halfPSL_PKlPlN2at6native12_GLOBAL__N_18offset_tEEE10hipError_tPvRmT1_PNSt15iterator_traitsISZ_E10value_typeET2_T3_PNS10_IS15_E10value_typeET4_jRbjT5_S1B_jjP12ihipStream_tbEUljE_EEESW_SX_SY_S15_S19_S1B_T6_T7_T9_mT8_S1D_bDpT10_ENKUlT_T0_E_clISt17integral_constantIbLb0EES1P_IbLb1EEEEDaS1L_S1M_EUlS1L_E_NS1_11comp_targetILNS1_3genE0ELNS1_11target_archE4294967295ELNS1_3gpuE0ELNS1_3repE0EEENS1_30default_config_static_selectorELNS0_4arch9wavefront6targetE0EEEvSZ_.kd
    .uniform_work_group_size: 1
    .uses_dynamic_stack: false
    .vgpr_count:     0
    .vgpr_spill_count: 0
    .wavefront_size: 32
    .workgroup_processor_mode: 1
  - .args:
      - .offset:         0
        .size:           152
        .value_kind:     by_value
    .group_segment_fixed_size: 0
    .kernarg_segment_align: 8
    .kernarg_segment_size: 152
    .language:       OpenCL C
    .language_version:
      - 2
      - 0
    .max_flat_workgroup_size: 256
    .name:           _ZN7rocprim17ROCPRIM_400000_NS6detail17trampoline_kernelINS0_13select_configILj256ELj13ELNS0_17block_load_methodE3ELS4_3ELS4_3ELNS0_20block_scan_algorithmE0ELj4294967295EEENS1_25partition_config_selectorILNS1_17partition_subalgoE3EjNS0_10empty_typeEbEEZZNS1_14partition_implILS8_3ELb0ES6_jNS0_17counting_iteratorIjlEEPS9_SE_NS0_5tupleIJPjSE_EEENSF_IJSE_SE_EEES9_SG_JZNS1_25segmented_radix_sort_implINS0_14default_configELb1EPK6__halfPSL_PKlPlN2at6native12_GLOBAL__N_18offset_tEEE10hipError_tPvRmT1_PNSt15iterator_traitsISZ_E10value_typeET2_T3_PNS10_IS15_E10value_typeET4_jRbjT5_S1B_jjP12ihipStream_tbEUljE_EEESW_SX_SY_S15_S19_S1B_T6_T7_T9_mT8_S1D_bDpT10_ENKUlT_T0_E_clISt17integral_constantIbLb0EES1P_IbLb1EEEEDaS1L_S1M_EUlS1L_E_NS1_11comp_targetILNS1_3genE5ELNS1_11target_archE942ELNS1_3gpuE9ELNS1_3repE0EEENS1_30default_config_static_selectorELNS0_4arch9wavefront6targetE0EEEvSZ_
    .private_segment_fixed_size: 0
    .sgpr_count:     0
    .sgpr_spill_count: 0
    .symbol:         _ZN7rocprim17ROCPRIM_400000_NS6detail17trampoline_kernelINS0_13select_configILj256ELj13ELNS0_17block_load_methodE3ELS4_3ELS4_3ELNS0_20block_scan_algorithmE0ELj4294967295EEENS1_25partition_config_selectorILNS1_17partition_subalgoE3EjNS0_10empty_typeEbEEZZNS1_14partition_implILS8_3ELb0ES6_jNS0_17counting_iteratorIjlEEPS9_SE_NS0_5tupleIJPjSE_EEENSF_IJSE_SE_EEES9_SG_JZNS1_25segmented_radix_sort_implINS0_14default_configELb1EPK6__halfPSL_PKlPlN2at6native12_GLOBAL__N_18offset_tEEE10hipError_tPvRmT1_PNSt15iterator_traitsISZ_E10value_typeET2_T3_PNS10_IS15_E10value_typeET4_jRbjT5_S1B_jjP12ihipStream_tbEUljE_EEESW_SX_SY_S15_S19_S1B_T6_T7_T9_mT8_S1D_bDpT10_ENKUlT_T0_E_clISt17integral_constantIbLb0EES1P_IbLb1EEEEDaS1L_S1M_EUlS1L_E_NS1_11comp_targetILNS1_3genE5ELNS1_11target_archE942ELNS1_3gpuE9ELNS1_3repE0EEENS1_30default_config_static_selectorELNS0_4arch9wavefront6targetE0EEEvSZ_.kd
    .uniform_work_group_size: 1
    .uses_dynamic_stack: false
    .vgpr_count:     0
    .vgpr_spill_count: 0
    .wavefront_size: 32
    .workgroup_processor_mode: 1
  - .args:
      - .offset:         0
        .size:           152
        .value_kind:     by_value
    .group_segment_fixed_size: 0
    .kernarg_segment_align: 8
    .kernarg_segment_size: 152
    .language:       OpenCL C
    .language_version:
      - 2
      - 0
    .max_flat_workgroup_size: 256
    .name:           _ZN7rocprim17ROCPRIM_400000_NS6detail17trampoline_kernelINS0_13select_configILj256ELj13ELNS0_17block_load_methodE3ELS4_3ELS4_3ELNS0_20block_scan_algorithmE0ELj4294967295EEENS1_25partition_config_selectorILNS1_17partition_subalgoE3EjNS0_10empty_typeEbEEZZNS1_14partition_implILS8_3ELb0ES6_jNS0_17counting_iteratorIjlEEPS9_SE_NS0_5tupleIJPjSE_EEENSF_IJSE_SE_EEES9_SG_JZNS1_25segmented_radix_sort_implINS0_14default_configELb1EPK6__halfPSL_PKlPlN2at6native12_GLOBAL__N_18offset_tEEE10hipError_tPvRmT1_PNSt15iterator_traitsISZ_E10value_typeET2_T3_PNS10_IS15_E10value_typeET4_jRbjT5_S1B_jjP12ihipStream_tbEUljE_EEESW_SX_SY_S15_S19_S1B_T6_T7_T9_mT8_S1D_bDpT10_ENKUlT_T0_E_clISt17integral_constantIbLb0EES1P_IbLb1EEEEDaS1L_S1M_EUlS1L_E_NS1_11comp_targetILNS1_3genE4ELNS1_11target_archE910ELNS1_3gpuE8ELNS1_3repE0EEENS1_30default_config_static_selectorELNS0_4arch9wavefront6targetE0EEEvSZ_
    .private_segment_fixed_size: 0
    .sgpr_count:     0
    .sgpr_spill_count: 0
    .symbol:         _ZN7rocprim17ROCPRIM_400000_NS6detail17trampoline_kernelINS0_13select_configILj256ELj13ELNS0_17block_load_methodE3ELS4_3ELS4_3ELNS0_20block_scan_algorithmE0ELj4294967295EEENS1_25partition_config_selectorILNS1_17partition_subalgoE3EjNS0_10empty_typeEbEEZZNS1_14partition_implILS8_3ELb0ES6_jNS0_17counting_iteratorIjlEEPS9_SE_NS0_5tupleIJPjSE_EEENSF_IJSE_SE_EEES9_SG_JZNS1_25segmented_radix_sort_implINS0_14default_configELb1EPK6__halfPSL_PKlPlN2at6native12_GLOBAL__N_18offset_tEEE10hipError_tPvRmT1_PNSt15iterator_traitsISZ_E10value_typeET2_T3_PNS10_IS15_E10value_typeET4_jRbjT5_S1B_jjP12ihipStream_tbEUljE_EEESW_SX_SY_S15_S19_S1B_T6_T7_T9_mT8_S1D_bDpT10_ENKUlT_T0_E_clISt17integral_constantIbLb0EES1P_IbLb1EEEEDaS1L_S1M_EUlS1L_E_NS1_11comp_targetILNS1_3genE4ELNS1_11target_archE910ELNS1_3gpuE8ELNS1_3repE0EEENS1_30default_config_static_selectorELNS0_4arch9wavefront6targetE0EEEvSZ_.kd
    .uniform_work_group_size: 1
    .uses_dynamic_stack: false
    .vgpr_count:     0
    .vgpr_spill_count: 0
    .wavefront_size: 32
    .workgroup_processor_mode: 1
  - .args:
      - .offset:         0
        .size:           152
        .value_kind:     by_value
    .group_segment_fixed_size: 0
    .kernarg_segment_align: 8
    .kernarg_segment_size: 152
    .language:       OpenCL C
    .language_version:
      - 2
      - 0
    .max_flat_workgroup_size: 256
    .name:           _ZN7rocprim17ROCPRIM_400000_NS6detail17trampoline_kernelINS0_13select_configILj256ELj13ELNS0_17block_load_methodE3ELS4_3ELS4_3ELNS0_20block_scan_algorithmE0ELj4294967295EEENS1_25partition_config_selectorILNS1_17partition_subalgoE3EjNS0_10empty_typeEbEEZZNS1_14partition_implILS8_3ELb0ES6_jNS0_17counting_iteratorIjlEEPS9_SE_NS0_5tupleIJPjSE_EEENSF_IJSE_SE_EEES9_SG_JZNS1_25segmented_radix_sort_implINS0_14default_configELb1EPK6__halfPSL_PKlPlN2at6native12_GLOBAL__N_18offset_tEEE10hipError_tPvRmT1_PNSt15iterator_traitsISZ_E10value_typeET2_T3_PNS10_IS15_E10value_typeET4_jRbjT5_S1B_jjP12ihipStream_tbEUljE_EEESW_SX_SY_S15_S19_S1B_T6_T7_T9_mT8_S1D_bDpT10_ENKUlT_T0_E_clISt17integral_constantIbLb0EES1P_IbLb1EEEEDaS1L_S1M_EUlS1L_E_NS1_11comp_targetILNS1_3genE3ELNS1_11target_archE908ELNS1_3gpuE7ELNS1_3repE0EEENS1_30default_config_static_selectorELNS0_4arch9wavefront6targetE0EEEvSZ_
    .private_segment_fixed_size: 0
    .sgpr_count:     0
    .sgpr_spill_count: 0
    .symbol:         _ZN7rocprim17ROCPRIM_400000_NS6detail17trampoline_kernelINS0_13select_configILj256ELj13ELNS0_17block_load_methodE3ELS4_3ELS4_3ELNS0_20block_scan_algorithmE0ELj4294967295EEENS1_25partition_config_selectorILNS1_17partition_subalgoE3EjNS0_10empty_typeEbEEZZNS1_14partition_implILS8_3ELb0ES6_jNS0_17counting_iteratorIjlEEPS9_SE_NS0_5tupleIJPjSE_EEENSF_IJSE_SE_EEES9_SG_JZNS1_25segmented_radix_sort_implINS0_14default_configELb1EPK6__halfPSL_PKlPlN2at6native12_GLOBAL__N_18offset_tEEE10hipError_tPvRmT1_PNSt15iterator_traitsISZ_E10value_typeET2_T3_PNS10_IS15_E10value_typeET4_jRbjT5_S1B_jjP12ihipStream_tbEUljE_EEESW_SX_SY_S15_S19_S1B_T6_T7_T9_mT8_S1D_bDpT10_ENKUlT_T0_E_clISt17integral_constantIbLb0EES1P_IbLb1EEEEDaS1L_S1M_EUlS1L_E_NS1_11comp_targetILNS1_3genE3ELNS1_11target_archE908ELNS1_3gpuE7ELNS1_3repE0EEENS1_30default_config_static_selectorELNS0_4arch9wavefront6targetE0EEEvSZ_.kd
    .uniform_work_group_size: 1
    .uses_dynamic_stack: false
    .vgpr_count:     0
    .vgpr_spill_count: 0
    .wavefront_size: 32
    .workgroup_processor_mode: 1
  - .args:
      - .offset:         0
        .size:           152
        .value_kind:     by_value
    .group_segment_fixed_size: 0
    .kernarg_segment_align: 8
    .kernarg_segment_size: 152
    .language:       OpenCL C
    .language_version:
      - 2
      - 0
    .max_flat_workgroup_size: 256
    .name:           _ZN7rocprim17ROCPRIM_400000_NS6detail17trampoline_kernelINS0_13select_configILj256ELj13ELNS0_17block_load_methodE3ELS4_3ELS4_3ELNS0_20block_scan_algorithmE0ELj4294967295EEENS1_25partition_config_selectorILNS1_17partition_subalgoE3EjNS0_10empty_typeEbEEZZNS1_14partition_implILS8_3ELb0ES6_jNS0_17counting_iteratorIjlEEPS9_SE_NS0_5tupleIJPjSE_EEENSF_IJSE_SE_EEES9_SG_JZNS1_25segmented_radix_sort_implINS0_14default_configELb1EPK6__halfPSL_PKlPlN2at6native12_GLOBAL__N_18offset_tEEE10hipError_tPvRmT1_PNSt15iterator_traitsISZ_E10value_typeET2_T3_PNS10_IS15_E10value_typeET4_jRbjT5_S1B_jjP12ihipStream_tbEUljE_EEESW_SX_SY_S15_S19_S1B_T6_T7_T9_mT8_S1D_bDpT10_ENKUlT_T0_E_clISt17integral_constantIbLb0EES1P_IbLb1EEEEDaS1L_S1M_EUlS1L_E_NS1_11comp_targetILNS1_3genE2ELNS1_11target_archE906ELNS1_3gpuE6ELNS1_3repE0EEENS1_30default_config_static_selectorELNS0_4arch9wavefront6targetE0EEEvSZ_
    .private_segment_fixed_size: 0
    .sgpr_count:     0
    .sgpr_spill_count: 0
    .symbol:         _ZN7rocprim17ROCPRIM_400000_NS6detail17trampoline_kernelINS0_13select_configILj256ELj13ELNS0_17block_load_methodE3ELS4_3ELS4_3ELNS0_20block_scan_algorithmE0ELj4294967295EEENS1_25partition_config_selectorILNS1_17partition_subalgoE3EjNS0_10empty_typeEbEEZZNS1_14partition_implILS8_3ELb0ES6_jNS0_17counting_iteratorIjlEEPS9_SE_NS0_5tupleIJPjSE_EEENSF_IJSE_SE_EEES9_SG_JZNS1_25segmented_radix_sort_implINS0_14default_configELb1EPK6__halfPSL_PKlPlN2at6native12_GLOBAL__N_18offset_tEEE10hipError_tPvRmT1_PNSt15iterator_traitsISZ_E10value_typeET2_T3_PNS10_IS15_E10value_typeET4_jRbjT5_S1B_jjP12ihipStream_tbEUljE_EEESW_SX_SY_S15_S19_S1B_T6_T7_T9_mT8_S1D_bDpT10_ENKUlT_T0_E_clISt17integral_constantIbLb0EES1P_IbLb1EEEEDaS1L_S1M_EUlS1L_E_NS1_11comp_targetILNS1_3genE2ELNS1_11target_archE906ELNS1_3gpuE6ELNS1_3repE0EEENS1_30default_config_static_selectorELNS0_4arch9wavefront6targetE0EEEvSZ_.kd
    .uniform_work_group_size: 1
    .uses_dynamic_stack: false
    .vgpr_count:     0
    .vgpr_spill_count: 0
    .wavefront_size: 32
    .workgroup_processor_mode: 1
  - .args:
      - .offset:         0
        .size:           152
        .value_kind:     by_value
    .group_segment_fixed_size: 13320
    .kernarg_segment_align: 8
    .kernarg_segment_size: 152
    .language:       OpenCL C
    .language_version:
      - 2
      - 0
    .max_flat_workgroup_size: 256
    .name:           _ZN7rocprim17ROCPRIM_400000_NS6detail17trampoline_kernelINS0_13select_configILj256ELj13ELNS0_17block_load_methodE3ELS4_3ELS4_3ELNS0_20block_scan_algorithmE0ELj4294967295EEENS1_25partition_config_selectorILNS1_17partition_subalgoE3EjNS0_10empty_typeEbEEZZNS1_14partition_implILS8_3ELb0ES6_jNS0_17counting_iteratorIjlEEPS9_SE_NS0_5tupleIJPjSE_EEENSF_IJSE_SE_EEES9_SG_JZNS1_25segmented_radix_sort_implINS0_14default_configELb1EPK6__halfPSL_PKlPlN2at6native12_GLOBAL__N_18offset_tEEE10hipError_tPvRmT1_PNSt15iterator_traitsISZ_E10value_typeET2_T3_PNS10_IS15_E10value_typeET4_jRbjT5_S1B_jjP12ihipStream_tbEUljE_EEESW_SX_SY_S15_S19_S1B_T6_T7_T9_mT8_S1D_bDpT10_ENKUlT_T0_E_clISt17integral_constantIbLb0EES1P_IbLb1EEEEDaS1L_S1M_EUlS1L_E_NS1_11comp_targetILNS1_3genE10ELNS1_11target_archE1200ELNS1_3gpuE4ELNS1_3repE0EEENS1_30default_config_static_selectorELNS0_4arch9wavefront6targetE0EEEvSZ_
    .private_segment_fixed_size: 0
    .sgpr_count:     28
    .sgpr_spill_count: 0
    .symbol:         _ZN7rocprim17ROCPRIM_400000_NS6detail17trampoline_kernelINS0_13select_configILj256ELj13ELNS0_17block_load_methodE3ELS4_3ELS4_3ELNS0_20block_scan_algorithmE0ELj4294967295EEENS1_25partition_config_selectorILNS1_17partition_subalgoE3EjNS0_10empty_typeEbEEZZNS1_14partition_implILS8_3ELb0ES6_jNS0_17counting_iteratorIjlEEPS9_SE_NS0_5tupleIJPjSE_EEENSF_IJSE_SE_EEES9_SG_JZNS1_25segmented_radix_sort_implINS0_14default_configELb1EPK6__halfPSL_PKlPlN2at6native12_GLOBAL__N_18offset_tEEE10hipError_tPvRmT1_PNSt15iterator_traitsISZ_E10value_typeET2_T3_PNS10_IS15_E10value_typeET4_jRbjT5_S1B_jjP12ihipStream_tbEUljE_EEESW_SX_SY_S15_S19_S1B_T6_T7_T9_mT8_S1D_bDpT10_ENKUlT_T0_E_clISt17integral_constantIbLb0EES1P_IbLb1EEEEDaS1L_S1M_EUlS1L_E_NS1_11comp_targetILNS1_3genE10ELNS1_11target_archE1200ELNS1_3gpuE4ELNS1_3repE0EEENS1_30default_config_static_selectorELNS0_4arch9wavefront6targetE0EEEvSZ_.kd
    .uniform_work_group_size: 1
    .uses_dynamic_stack: false
    .vgpr_count:     71
    .vgpr_spill_count: 0
    .wavefront_size: 32
    .workgroup_processor_mode: 1
  - .args:
      - .offset:         0
        .size:           152
        .value_kind:     by_value
    .group_segment_fixed_size: 0
    .kernarg_segment_align: 8
    .kernarg_segment_size: 152
    .language:       OpenCL C
    .language_version:
      - 2
      - 0
    .max_flat_workgroup_size: 256
    .name:           _ZN7rocprim17ROCPRIM_400000_NS6detail17trampoline_kernelINS0_13select_configILj256ELj13ELNS0_17block_load_methodE3ELS4_3ELS4_3ELNS0_20block_scan_algorithmE0ELj4294967295EEENS1_25partition_config_selectorILNS1_17partition_subalgoE3EjNS0_10empty_typeEbEEZZNS1_14partition_implILS8_3ELb0ES6_jNS0_17counting_iteratorIjlEEPS9_SE_NS0_5tupleIJPjSE_EEENSF_IJSE_SE_EEES9_SG_JZNS1_25segmented_radix_sort_implINS0_14default_configELb1EPK6__halfPSL_PKlPlN2at6native12_GLOBAL__N_18offset_tEEE10hipError_tPvRmT1_PNSt15iterator_traitsISZ_E10value_typeET2_T3_PNS10_IS15_E10value_typeET4_jRbjT5_S1B_jjP12ihipStream_tbEUljE_EEESW_SX_SY_S15_S19_S1B_T6_T7_T9_mT8_S1D_bDpT10_ENKUlT_T0_E_clISt17integral_constantIbLb0EES1P_IbLb1EEEEDaS1L_S1M_EUlS1L_E_NS1_11comp_targetILNS1_3genE9ELNS1_11target_archE1100ELNS1_3gpuE3ELNS1_3repE0EEENS1_30default_config_static_selectorELNS0_4arch9wavefront6targetE0EEEvSZ_
    .private_segment_fixed_size: 0
    .sgpr_count:     0
    .sgpr_spill_count: 0
    .symbol:         _ZN7rocprim17ROCPRIM_400000_NS6detail17trampoline_kernelINS0_13select_configILj256ELj13ELNS0_17block_load_methodE3ELS4_3ELS4_3ELNS0_20block_scan_algorithmE0ELj4294967295EEENS1_25partition_config_selectorILNS1_17partition_subalgoE3EjNS0_10empty_typeEbEEZZNS1_14partition_implILS8_3ELb0ES6_jNS0_17counting_iteratorIjlEEPS9_SE_NS0_5tupleIJPjSE_EEENSF_IJSE_SE_EEES9_SG_JZNS1_25segmented_radix_sort_implINS0_14default_configELb1EPK6__halfPSL_PKlPlN2at6native12_GLOBAL__N_18offset_tEEE10hipError_tPvRmT1_PNSt15iterator_traitsISZ_E10value_typeET2_T3_PNS10_IS15_E10value_typeET4_jRbjT5_S1B_jjP12ihipStream_tbEUljE_EEESW_SX_SY_S15_S19_S1B_T6_T7_T9_mT8_S1D_bDpT10_ENKUlT_T0_E_clISt17integral_constantIbLb0EES1P_IbLb1EEEEDaS1L_S1M_EUlS1L_E_NS1_11comp_targetILNS1_3genE9ELNS1_11target_archE1100ELNS1_3gpuE3ELNS1_3repE0EEENS1_30default_config_static_selectorELNS0_4arch9wavefront6targetE0EEEvSZ_.kd
    .uniform_work_group_size: 1
    .uses_dynamic_stack: false
    .vgpr_count:     0
    .vgpr_spill_count: 0
    .wavefront_size: 32
    .workgroup_processor_mode: 1
  - .args:
      - .offset:         0
        .size:           152
        .value_kind:     by_value
    .group_segment_fixed_size: 0
    .kernarg_segment_align: 8
    .kernarg_segment_size: 152
    .language:       OpenCL C
    .language_version:
      - 2
      - 0
    .max_flat_workgroup_size: 256
    .name:           _ZN7rocprim17ROCPRIM_400000_NS6detail17trampoline_kernelINS0_13select_configILj256ELj13ELNS0_17block_load_methodE3ELS4_3ELS4_3ELNS0_20block_scan_algorithmE0ELj4294967295EEENS1_25partition_config_selectorILNS1_17partition_subalgoE3EjNS0_10empty_typeEbEEZZNS1_14partition_implILS8_3ELb0ES6_jNS0_17counting_iteratorIjlEEPS9_SE_NS0_5tupleIJPjSE_EEENSF_IJSE_SE_EEES9_SG_JZNS1_25segmented_radix_sort_implINS0_14default_configELb1EPK6__halfPSL_PKlPlN2at6native12_GLOBAL__N_18offset_tEEE10hipError_tPvRmT1_PNSt15iterator_traitsISZ_E10value_typeET2_T3_PNS10_IS15_E10value_typeET4_jRbjT5_S1B_jjP12ihipStream_tbEUljE_EEESW_SX_SY_S15_S19_S1B_T6_T7_T9_mT8_S1D_bDpT10_ENKUlT_T0_E_clISt17integral_constantIbLb0EES1P_IbLb1EEEEDaS1L_S1M_EUlS1L_E_NS1_11comp_targetILNS1_3genE8ELNS1_11target_archE1030ELNS1_3gpuE2ELNS1_3repE0EEENS1_30default_config_static_selectorELNS0_4arch9wavefront6targetE0EEEvSZ_
    .private_segment_fixed_size: 0
    .sgpr_count:     0
    .sgpr_spill_count: 0
    .symbol:         _ZN7rocprim17ROCPRIM_400000_NS6detail17trampoline_kernelINS0_13select_configILj256ELj13ELNS0_17block_load_methodE3ELS4_3ELS4_3ELNS0_20block_scan_algorithmE0ELj4294967295EEENS1_25partition_config_selectorILNS1_17partition_subalgoE3EjNS0_10empty_typeEbEEZZNS1_14partition_implILS8_3ELb0ES6_jNS0_17counting_iteratorIjlEEPS9_SE_NS0_5tupleIJPjSE_EEENSF_IJSE_SE_EEES9_SG_JZNS1_25segmented_radix_sort_implINS0_14default_configELb1EPK6__halfPSL_PKlPlN2at6native12_GLOBAL__N_18offset_tEEE10hipError_tPvRmT1_PNSt15iterator_traitsISZ_E10value_typeET2_T3_PNS10_IS15_E10value_typeET4_jRbjT5_S1B_jjP12ihipStream_tbEUljE_EEESW_SX_SY_S15_S19_S1B_T6_T7_T9_mT8_S1D_bDpT10_ENKUlT_T0_E_clISt17integral_constantIbLb0EES1P_IbLb1EEEEDaS1L_S1M_EUlS1L_E_NS1_11comp_targetILNS1_3genE8ELNS1_11target_archE1030ELNS1_3gpuE2ELNS1_3repE0EEENS1_30default_config_static_selectorELNS0_4arch9wavefront6targetE0EEEvSZ_.kd
    .uniform_work_group_size: 1
    .uses_dynamic_stack: false
    .vgpr_count:     0
    .vgpr_spill_count: 0
    .wavefront_size: 32
    .workgroup_processor_mode: 1
  - .args:
      - .offset:         0
        .size:           96
        .value_kind:     by_value
    .group_segment_fixed_size: 0
    .kernarg_segment_align: 8
    .kernarg_segment_size: 96
    .language:       OpenCL C
    .language_version:
      - 2
      - 0
    .max_flat_workgroup_size: 256
    .name:           _ZN7rocprim17ROCPRIM_400000_NS6detail17trampoline_kernelINS0_14default_configENS1_36segmented_radix_sort_config_selectorI6__halflEEZNS1_25segmented_radix_sort_implIS3_Lb1EPKS5_PS5_PKlPlN2at6native12_GLOBAL__N_18offset_tEEE10hipError_tPvRmT1_PNSt15iterator_traitsISL_E10value_typeET2_T3_PNSM_ISR_E10value_typeET4_jRbjT5_SX_jjP12ihipStream_tbEUlT_E_NS1_11comp_targetILNS1_3genE0ELNS1_11target_archE4294967295ELNS1_3gpuE0ELNS1_3repE0EEENS1_30default_config_static_selectorELNS0_4arch9wavefront6targetE0EEEvSL_
    .private_segment_fixed_size: 0
    .sgpr_count:     0
    .sgpr_spill_count: 0
    .symbol:         _ZN7rocprim17ROCPRIM_400000_NS6detail17trampoline_kernelINS0_14default_configENS1_36segmented_radix_sort_config_selectorI6__halflEEZNS1_25segmented_radix_sort_implIS3_Lb1EPKS5_PS5_PKlPlN2at6native12_GLOBAL__N_18offset_tEEE10hipError_tPvRmT1_PNSt15iterator_traitsISL_E10value_typeET2_T3_PNSM_ISR_E10value_typeET4_jRbjT5_SX_jjP12ihipStream_tbEUlT_E_NS1_11comp_targetILNS1_3genE0ELNS1_11target_archE4294967295ELNS1_3gpuE0ELNS1_3repE0EEENS1_30default_config_static_selectorELNS0_4arch9wavefront6targetE0EEEvSL_.kd
    .uniform_work_group_size: 1
    .uses_dynamic_stack: false
    .vgpr_count:     0
    .vgpr_spill_count: 0
    .wavefront_size: 32
    .workgroup_processor_mode: 1
  - .args:
      - .offset:         0
        .size:           96
        .value_kind:     by_value
    .group_segment_fixed_size: 0
    .kernarg_segment_align: 8
    .kernarg_segment_size: 96
    .language:       OpenCL C
    .language_version:
      - 2
      - 0
    .max_flat_workgroup_size: 256
    .name:           _ZN7rocprim17ROCPRIM_400000_NS6detail17trampoline_kernelINS0_14default_configENS1_36segmented_radix_sort_config_selectorI6__halflEEZNS1_25segmented_radix_sort_implIS3_Lb1EPKS5_PS5_PKlPlN2at6native12_GLOBAL__N_18offset_tEEE10hipError_tPvRmT1_PNSt15iterator_traitsISL_E10value_typeET2_T3_PNSM_ISR_E10value_typeET4_jRbjT5_SX_jjP12ihipStream_tbEUlT_E_NS1_11comp_targetILNS1_3genE5ELNS1_11target_archE942ELNS1_3gpuE9ELNS1_3repE0EEENS1_30default_config_static_selectorELNS0_4arch9wavefront6targetE0EEEvSL_
    .private_segment_fixed_size: 0
    .sgpr_count:     0
    .sgpr_spill_count: 0
    .symbol:         _ZN7rocprim17ROCPRIM_400000_NS6detail17trampoline_kernelINS0_14default_configENS1_36segmented_radix_sort_config_selectorI6__halflEEZNS1_25segmented_radix_sort_implIS3_Lb1EPKS5_PS5_PKlPlN2at6native12_GLOBAL__N_18offset_tEEE10hipError_tPvRmT1_PNSt15iterator_traitsISL_E10value_typeET2_T3_PNSM_ISR_E10value_typeET4_jRbjT5_SX_jjP12ihipStream_tbEUlT_E_NS1_11comp_targetILNS1_3genE5ELNS1_11target_archE942ELNS1_3gpuE9ELNS1_3repE0EEENS1_30default_config_static_selectorELNS0_4arch9wavefront6targetE0EEEvSL_.kd
    .uniform_work_group_size: 1
    .uses_dynamic_stack: false
    .vgpr_count:     0
    .vgpr_spill_count: 0
    .wavefront_size: 32
    .workgroup_processor_mode: 1
  - .args:
      - .offset:         0
        .size:           96
        .value_kind:     by_value
    .group_segment_fixed_size: 0
    .kernarg_segment_align: 8
    .kernarg_segment_size: 96
    .language:       OpenCL C
    .language_version:
      - 2
      - 0
    .max_flat_workgroup_size: 256
    .name:           _ZN7rocprim17ROCPRIM_400000_NS6detail17trampoline_kernelINS0_14default_configENS1_36segmented_radix_sort_config_selectorI6__halflEEZNS1_25segmented_radix_sort_implIS3_Lb1EPKS5_PS5_PKlPlN2at6native12_GLOBAL__N_18offset_tEEE10hipError_tPvRmT1_PNSt15iterator_traitsISL_E10value_typeET2_T3_PNSM_ISR_E10value_typeET4_jRbjT5_SX_jjP12ihipStream_tbEUlT_E_NS1_11comp_targetILNS1_3genE4ELNS1_11target_archE910ELNS1_3gpuE8ELNS1_3repE0EEENS1_30default_config_static_selectorELNS0_4arch9wavefront6targetE0EEEvSL_
    .private_segment_fixed_size: 0
    .sgpr_count:     0
    .sgpr_spill_count: 0
    .symbol:         _ZN7rocprim17ROCPRIM_400000_NS6detail17trampoline_kernelINS0_14default_configENS1_36segmented_radix_sort_config_selectorI6__halflEEZNS1_25segmented_radix_sort_implIS3_Lb1EPKS5_PS5_PKlPlN2at6native12_GLOBAL__N_18offset_tEEE10hipError_tPvRmT1_PNSt15iterator_traitsISL_E10value_typeET2_T3_PNSM_ISR_E10value_typeET4_jRbjT5_SX_jjP12ihipStream_tbEUlT_E_NS1_11comp_targetILNS1_3genE4ELNS1_11target_archE910ELNS1_3gpuE8ELNS1_3repE0EEENS1_30default_config_static_selectorELNS0_4arch9wavefront6targetE0EEEvSL_.kd
    .uniform_work_group_size: 1
    .uses_dynamic_stack: false
    .vgpr_count:     0
    .vgpr_spill_count: 0
    .wavefront_size: 32
    .workgroup_processor_mode: 1
  - .args:
      - .offset:         0
        .size:           96
        .value_kind:     by_value
    .group_segment_fixed_size: 0
    .kernarg_segment_align: 8
    .kernarg_segment_size: 96
    .language:       OpenCL C
    .language_version:
      - 2
      - 0
    .max_flat_workgroup_size: 256
    .name:           _ZN7rocprim17ROCPRIM_400000_NS6detail17trampoline_kernelINS0_14default_configENS1_36segmented_radix_sort_config_selectorI6__halflEEZNS1_25segmented_radix_sort_implIS3_Lb1EPKS5_PS5_PKlPlN2at6native12_GLOBAL__N_18offset_tEEE10hipError_tPvRmT1_PNSt15iterator_traitsISL_E10value_typeET2_T3_PNSM_ISR_E10value_typeET4_jRbjT5_SX_jjP12ihipStream_tbEUlT_E_NS1_11comp_targetILNS1_3genE3ELNS1_11target_archE908ELNS1_3gpuE7ELNS1_3repE0EEENS1_30default_config_static_selectorELNS0_4arch9wavefront6targetE0EEEvSL_
    .private_segment_fixed_size: 0
    .sgpr_count:     0
    .sgpr_spill_count: 0
    .symbol:         _ZN7rocprim17ROCPRIM_400000_NS6detail17trampoline_kernelINS0_14default_configENS1_36segmented_radix_sort_config_selectorI6__halflEEZNS1_25segmented_radix_sort_implIS3_Lb1EPKS5_PS5_PKlPlN2at6native12_GLOBAL__N_18offset_tEEE10hipError_tPvRmT1_PNSt15iterator_traitsISL_E10value_typeET2_T3_PNSM_ISR_E10value_typeET4_jRbjT5_SX_jjP12ihipStream_tbEUlT_E_NS1_11comp_targetILNS1_3genE3ELNS1_11target_archE908ELNS1_3gpuE7ELNS1_3repE0EEENS1_30default_config_static_selectorELNS0_4arch9wavefront6targetE0EEEvSL_.kd
    .uniform_work_group_size: 1
    .uses_dynamic_stack: false
    .vgpr_count:     0
    .vgpr_spill_count: 0
    .wavefront_size: 32
    .workgroup_processor_mode: 1
  - .args:
      - .offset:         0
        .size:           96
        .value_kind:     by_value
    .group_segment_fixed_size: 0
    .kernarg_segment_align: 8
    .kernarg_segment_size: 96
    .language:       OpenCL C
    .language_version:
      - 2
      - 0
    .max_flat_workgroup_size: 256
    .name:           _ZN7rocprim17ROCPRIM_400000_NS6detail17trampoline_kernelINS0_14default_configENS1_36segmented_radix_sort_config_selectorI6__halflEEZNS1_25segmented_radix_sort_implIS3_Lb1EPKS5_PS5_PKlPlN2at6native12_GLOBAL__N_18offset_tEEE10hipError_tPvRmT1_PNSt15iterator_traitsISL_E10value_typeET2_T3_PNSM_ISR_E10value_typeET4_jRbjT5_SX_jjP12ihipStream_tbEUlT_E_NS1_11comp_targetILNS1_3genE2ELNS1_11target_archE906ELNS1_3gpuE6ELNS1_3repE0EEENS1_30default_config_static_selectorELNS0_4arch9wavefront6targetE0EEEvSL_
    .private_segment_fixed_size: 0
    .sgpr_count:     0
    .sgpr_spill_count: 0
    .symbol:         _ZN7rocprim17ROCPRIM_400000_NS6detail17trampoline_kernelINS0_14default_configENS1_36segmented_radix_sort_config_selectorI6__halflEEZNS1_25segmented_radix_sort_implIS3_Lb1EPKS5_PS5_PKlPlN2at6native12_GLOBAL__N_18offset_tEEE10hipError_tPvRmT1_PNSt15iterator_traitsISL_E10value_typeET2_T3_PNSM_ISR_E10value_typeET4_jRbjT5_SX_jjP12ihipStream_tbEUlT_E_NS1_11comp_targetILNS1_3genE2ELNS1_11target_archE906ELNS1_3gpuE6ELNS1_3repE0EEENS1_30default_config_static_selectorELNS0_4arch9wavefront6targetE0EEEvSL_.kd
    .uniform_work_group_size: 1
    .uses_dynamic_stack: false
    .vgpr_count:     0
    .vgpr_spill_count: 0
    .wavefront_size: 32
    .workgroup_processor_mode: 1
  - .args:
      - .offset:         0
        .size:           96
        .value_kind:     by_value
      - .offset:         96
        .size:           4
        .value_kind:     hidden_block_count_x
      - .offset:         100
        .size:           4
        .value_kind:     hidden_block_count_y
      - .offset:         104
        .size:           4
        .value_kind:     hidden_block_count_z
      - .offset:         108
        .size:           2
        .value_kind:     hidden_group_size_x
      - .offset:         110
        .size:           2
        .value_kind:     hidden_group_size_y
      - .offset:         112
        .size:           2
        .value_kind:     hidden_group_size_z
      - .offset:         114
        .size:           2
        .value_kind:     hidden_remainder_x
      - .offset:         116
        .size:           2
        .value_kind:     hidden_remainder_y
      - .offset:         118
        .size:           2
        .value_kind:     hidden_remainder_z
      - .offset:         136
        .size:           8
        .value_kind:     hidden_global_offset_x
      - .offset:         144
        .size:           8
        .value_kind:     hidden_global_offset_y
      - .offset:         152
        .size:           8
        .value_kind:     hidden_global_offset_z
      - .offset:         160
        .size:           2
        .value_kind:     hidden_grid_dims
    .group_segment_fixed_size: 17440
    .kernarg_segment_align: 8
    .kernarg_segment_size: 352
    .language:       OpenCL C
    .language_version:
      - 2
      - 0
    .max_flat_workgroup_size: 256
    .name:           _ZN7rocprim17ROCPRIM_400000_NS6detail17trampoline_kernelINS0_14default_configENS1_36segmented_radix_sort_config_selectorI6__halflEEZNS1_25segmented_radix_sort_implIS3_Lb1EPKS5_PS5_PKlPlN2at6native12_GLOBAL__N_18offset_tEEE10hipError_tPvRmT1_PNSt15iterator_traitsISL_E10value_typeET2_T3_PNSM_ISR_E10value_typeET4_jRbjT5_SX_jjP12ihipStream_tbEUlT_E_NS1_11comp_targetILNS1_3genE10ELNS1_11target_archE1201ELNS1_3gpuE5ELNS1_3repE0EEENS1_30default_config_static_selectorELNS0_4arch9wavefront6targetE0EEEvSL_
    .private_segment_fixed_size: 0
    .sgpr_count:     52
    .sgpr_spill_count: 0
    .symbol:         _ZN7rocprim17ROCPRIM_400000_NS6detail17trampoline_kernelINS0_14default_configENS1_36segmented_radix_sort_config_selectorI6__halflEEZNS1_25segmented_radix_sort_implIS3_Lb1EPKS5_PS5_PKlPlN2at6native12_GLOBAL__N_18offset_tEEE10hipError_tPvRmT1_PNSt15iterator_traitsISL_E10value_typeET2_T3_PNSM_ISR_E10value_typeET4_jRbjT5_SX_jjP12ihipStream_tbEUlT_E_NS1_11comp_targetILNS1_3genE10ELNS1_11target_archE1201ELNS1_3gpuE5ELNS1_3repE0EEENS1_30default_config_static_selectorELNS0_4arch9wavefront6targetE0EEEvSL_.kd
    .uniform_work_group_size: 1
    .uses_dynamic_stack: false
    .vgpr_count:     198
    .vgpr_spill_count: 0
    .wavefront_size: 32
    .workgroup_processor_mode: 1
  - .args:
      - .offset:         0
        .size:           96
        .value_kind:     by_value
    .group_segment_fixed_size: 0
    .kernarg_segment_align: 8
    .kernarg_segment_size: 96
    .language:       OpenCL C
    .language_version:
      - 2
      - 0
    .max_flat_workgroup_size: 128
    .name:           _ZN7rocprim17ROCPRIM_400000_NS6detail17trampoline_kernelINS0_14default_configENS1_36segmented_radix_sort_config_selectorI6__halflEEZNS1_25segmented_radix_sort_implIS3_Lb1EPKS5_PS5_PKlPlN2at6native12_GLOBAL__N_18offset_tEEE10hipError_tPvRmT1_PNSt15iterator_traitsISL_E10value_typeET2_T3_PNSM_ISR_E10value_typeET4_jRbjT5_SX_jjP12ihipStream_tbEUlT_E_NS1_11comp_targetILNS1_3genE10ELNS1_11target_archE1200ELNS1_3gpuE4ELNS1_3repE0EEENS1_30default_config_static_selectorELNS0_4arch9wavefront6targetE0EEEvSL_
    .private_segment_fixed_size: 0
    .sgpr_count:     0
    .sgpr_spill_count: 0
    .symbol:         _ZN7rocprim17ROCPRIM_400000_NS6detail17trampoline_kernelINS0_14default_configENS1_36segmented_radix_sort_config_selectorI6__halflEEZNS1_25segmented_radix_sort_implIS3_Lb1EPKS5_PS5_PKlPlN2at6native12_GLOBAL__N_18offset_tEEE10hipError_tPvRmT1_PNSt15iterator_traitsISL_E10value_typeET2_T3_PNSM_ISR_E10value_typeET4_jRbjT5_SX_jjP12ihipStream_tbEUlT_E_NS1_11comp_targetILNS1_3genE10ELNS1_11target_archE1200ELNS1_3gpuE4ELNS1_3repE0EEENS1_30default_config_static_selectorELNS0_4arch9wavefront6targetE0EEEvSL_.kd
    .uniform_work_group_size: 1
    .uses_dynamic_stack: false
    .vgpr_count:     0
    .vgpr_spill_count: 0
    .wavefront_size: 32
    .workgroup_processor_mode: 1
  - .args:
      - .offset:         0
        .size:           96
        .value_kind:     by_value
    .group_segment_fixed_size: 0
    .kernarg_segment_align: 8
    .kernarg_segment_size: 96
    .language:       OpenCL C
    .language_version:
      - 2
      - 0
    .max_flat_workgroup_size: 256
    .name:           _ZN7rocprim17ROCPRIM_400000_NS6detail17trampoline_kernelINS0_14default_configENS1_36segmented_radix_sort_config_selectorI6__halflEEZNS1_25segmented_radix_sort_implIS3_Lb1EPKS5_PS5_PKlPlN2at6native12_GLOBAL__N_18offset_tEEE10hipError_tPvRmT1_PNSt15iterator_traitsISL_E10value_typeET2_T3_PNSM_ISR_E10value_typeET4_jRbjT5_SX_jjP12ihipStream_tbEUlT_E_NS1_11comp_targetILNS1_3genE9ELNS1_11target_archE1100ELNS1_3gpuE3ELNS1_3repE0EEENS1_30default_config_static_selectorELNS0_4arch9wavefront6targetE0EEEvSL_
    .private_segment_fixed_size: 0
    .sgpr_count:     0
    .sgpr_spill_count: 0
    .symbol:         _ZN7rocprim17ROCPRIM_400000_NS6detail17trampoline_kernelINS0_14default_configENS1_36segmented_radix_sort_config_selectorI6__halflEEZNS1_25segmented_radix_sort_implIS3_Lb1EPKS5_PS5_PKlPlN2at6native12_GLOBAL__N_18offset_tEEE10hipError_tPvRmT1_PNSt15iterator_traitsISL_E10value_typeET2_T3_PNSM_ISR_E10value_typeET4_jRbjT5_SX_jjP12ihipStream_tbEUlT_E_NS1_11comp_targetILNS1_3genE9ELNS1_11target_archE1100ELNS1_3gpuE3ELNS1_3repE0EEENS1_30default_config_static_selectorELNS0_4arch9wavefront6targetE0EEEvSL_.kd
    .uniform_work_group_size: 1
    .uses_dynamic_stack: false
    .vgpr_count:     0
    .vgpr_spill_count: 0
    .wavefront_size: 32
    .workgroup_processor_mode: 1
  - .args:
      - .offset:         0
        .size:           96
        .value_kind:     by_value
    .group_segment_fixed_size: 0
    .kernarg_segment_align: 8
    .kernarg_segment_size: 96
    .language:       OpenCL C
    .language_version:
      - 2
      - 0
    .max_flat_workgroup_size: 256
    .name:           _ZN7rocprim17ROCPRIM_400000_NS6detail17trampoline_kernelINS0_14default_configENS1_36segmented_radix_sort_config_selectorI6__halflEEZNS1_25segmented_radix_sort_implIS3_Lb1EPKS5_PS5_PKlPlN2at6native12_GLOBAL__N_18offset_tEEE10hipError_tPvRmT1_PNSt15iterator_traitsISL_E10value_typeET2_T3_PNSM_ISR_E10value_typeET4_jRbjT5_SX_jjP12ihipStream_tbEUlT_E_NS1_11comp_targetILNS1_3genE8ELNS1_11target_archE1030ELNS1_3gpuE2ELNS1_3repE0EEENS1_30default_config_static_selectorELNS0_4arch9wavefront6targetE0EEEvSL_
    .private_segment_fixed_size: 0
    .sgpr_count:     0
    .sgpr_spill_count: 0
    .symbol:         _ZN7rocprim17ROCPRIM_400000_NS6detail17trampoline_kernelINS0_14default_configENS1_36segmented_radix_sort_config_selectorI6__halflEEZNS1_25segmented_radix_sort_implIS3_Lb1EPKS5_PS5_PKlPlN2at6native12_GLOBAL__N_18offset_tEEE10hipError_tPvRmT1_PNSt15iterator_traitsISL_E10value_typeET2_T3_PNSM_ISR_E10value_typeET4_jRbjT5_SX_jjP12ihipStream_tbEUlT_E_NS1_11comp_targetILNS1_3genE8ELNS1_11target_archE1030ELNS1_3gpuE2ELNS1_3repE0EEENS1_30default_config_static_selectorELNS0_4arch9wavefront6targetE0EEEvSL_.kd
    .uniform_work_group_size: 1
    .uses_dynamic_stack: false
    .vgpr_count:     0
    .vgpr_spill_count: 0
    .wavefront_size: 32
    .workgroup_processor_mode: 1
  - .args:
      - .offset:         0
        .size:           88
        .value_kind:     by_value
    .group_segment_fixed_size: 0
    .kernarg_segment_align: 8
    .kernarg_segment_size: 88
    .language:       OpenCL C
    .language_version:
      - 2
      - 0
    .max_flat_workgroup_size: 256
    .name:           _ZN7rocprim17ROCPRIM_400000_NS6detail17trampoline_kernelINS0_14default_configENS1_36segmented_radix_sort_config_selectorI6__halflEEZNS1_25segmented_radix_sort_implIS3_Lb1EPKS5_PS5_PKlPlN2at6native12_GLOBAL__N_18offset_tEEE10hipError_tPvRmT1_PNSt15iterator_traitsISL_E10value_typeET2_T3_PNSM_ISR_E10value_typeET4_jRbjT5_SX_jjP12ihipStream_tbEUlT_E0_NS1_11comp_targetILNS1_3genE0ELNS1_11target_archE4294967295ELNS1_3gpuE0ELNS1_3repE0EEENS1_60segmented_radix_sort_warp_sort_medium_config_static_selectorELNS0_4arch9wavefront6targetE0EEEvSL_
    .private_segment_fixed_size: 0
    .sgpr_count:     0
    .sgpr_spill_count: 0
    .symbol:         _ZN7rocprim17ROCPRIM_400000_NS6detail17trampoline_kernelINS0_14default_configENS1_36segmented_radix_sort_config_selectorI6__halflEEZNS1_25segmented_radix_sort_implIS3_Lb1EPKS5_PS5_PKlPlN2at6native12_GLOBAL__N_18offset_tEEE10hipError_tPvRmT1_PNSt15iterator_traitsISL_E10value_typeET2_T3_PNSM_ISR_E10value_typeET4_jRbjT5_SX_jjP12ihipStream_tbEUlT_E0_NS1_11comp_targetILNS1_3genE0ELNS1_11target_archE4294967295ELNS1_3gpuE0ELNS1_3repE0EEENS1_60segmented_radix_sort_warp_sort_medium_config_static_selectorELNS0_4arch9wavefront6targetE0EEEvSL_.kd
    .uniform_work_group_size: 1
    .uses_dynamic_stack: false
    .vgpr_count:     0
    .vgpr_spill_count: 0
    .wavefront_size: 32
    .workgroup_processor_mode: 1
  - .args:
      - .offset:         0
        .size:           88
        .value_kind:     by_value
    .group_segment_fixed_size: 0
    .kernarg_segment_align: 8
    .kernarg_segment_size: 88
    .language:       OpenCL C
    .language_version:
      - 2
      - 0
    .max_flat_workgroup_size: 256
    .name:           _ZN7rocprim17ROCPRIM_400000_NS6detail17trampoline_kernelINS0_14default_configENS1_36segmented_radix_sort_config_selectorI6__halflEEZNS1_25segmented_radix_sort_implIS3_Lb1EPKS5_PS5_PKlPlN2at6native12_GLOBAL__N_18offset_tEEE10hipError_tPvRmT1_PNSt15iterator_traitsISL_E10value_typeET2_T3_PNSM_ISR_E10value_typeET4_jRbjT5_SX_jjP12ihipStream_tbEUlT_E0_NS1_11comp_targetILNS1_3genE5ELNS1_11target_archE942ELNS1_3gpuE9ELNS1_3repE0EEENS1_60segmented_radix_sort_warp_sort_medium_config_static_selectorELNS0_4arch9wavefront6targetE0EEEvSL_
    .private_segment_fixed_size: 0
    .sgpr_count:     0
    .sgpr_spill_count: 0
    .symbol:         _ZN7rocprim17ROCPRIM_400000_NS6detail17trampoline_kernelINS0_14default_configENS1_36segmented_radix_sort_config_selectorI6__halflEEZNS1_25segmented_radix_sort_implIS3_Lb1EPKS5_PS5_PKlPlN2at6native12_GLOBAL__N_18offset_tEEE10hipError_tPvRmT1_PNSt15iterator_traitsISL_E10value_typeET2_T3_PNSM_ISR_E10value_typeET4_jRbjT5_SX_jjP12ihipStream_tbEUlT_E0_NS1_11comp_targetILNS1_3genE5ELNS1_11target_archE942ELNS1_3gpuE9ELNS1_3repE0EEENS1_60segmented_radix_sort_warp_sort_medium_config_static_selectorELNS0_4arch9wavefront6targetE0EEEvSL_.kd
    .uniform_work_group_size: 1
    .uses_dynamic_stack: false
    .vgpr_count:     0
    .vgpr_spill_count: 0
    .wavefront_size: 32
    .workgroup_processor_mode: 1
  - .args:
      - .offset:         0
        .size:           88
        .value_kind:     by_value
    .group_segment_fixed_size: 0
    .kernarg_segment_align: 8
    .kernarg_segment_size: 88
    .language:       OpenCL C
    .language_version:
      - 2
      - 0
    .max_flat_workgroup_size: 256
    .name:           _ZN7rocprim17ROCPRIM_400000_NS6detail17trampoline_kernelINS0_14default_configENS1_36segmented_radix_sort_config_selectorI6__halflEEZNS1_25segmented_radix_sort_implIS3_Lb1EPKS5_PS5_PKlPlN2at6native12_GLOBAL__N_18offset_tEEE10hipError_tPvRmT1_PNSt15iterator_traitsISL_E10value_typeET2_T3_PNSM_ISR_E10value_typeET4_jRbjT5_SX_jjP12ihipStream_tbEUlT_E0_NS1_11comp_targetILNS1_3genE4ELNS1_11target_archE910ELNS1_3gpuE8ELNS1_3repE0EEENS1_60segmented_radix_sort_warp_sort_medium_config_static_selectorELNS0_4arch9wavefront6targetE0EEEvSL_
    .private_segment_fixed_size: 0
    .sgpr_count:     0
    .sgpr_spill_count: 0
    .symbol:         _ZN7rocprim17ROCPRIM_400000_NS6detail17trampoline_kernelINS0_14default_configENS1_36segmented_radix_sort_config_selectorI6__halflEEZNS1_25segmented_radix_sort_implIS3_Lb1EPKS5_PS5_PKlPlN2at6native12_GLOBAL__N_18offset_tEEE10hipError_tPvRmT1_PNSt15iterator_traitsISL_E10value_typeET2_T3_PNSM_ISR_E10value_typeET4_jRbjT5_SX_jjP12ihipStream_tbEUlT_E0_NS1_11comp_targetILNS1_3genE4ELNS1_11target_archE910ELNS1_3gpuE8ELNS1_3repE0EEENS1_60segmented_radix_sort_warp_sort_medium_config_static_selectorELNS0_4arch9wavefront6targetE0EEEvSL_.kd
    .uniform_work_group_size: 1
    .uses_dynamic_stack: false
    .vgpr_count:     0
    .vgpr_spill_count: 0
    .wavefront_size: 32
    .workgroup_processor_mode: 1
  - .args:
      - .offset:         0
        .size:           88
        .value_kind:     by_value
    .group_segment_fixed_size: 0
    .kernarg_segment_align: 8
    .kernarg_segment_size: 88
    .language:       OpenCL C
    .language_version:
      - 2
      - 0
    .max_flat_workgroup_size: 256
    .name:           _ZN7rocprim17ROCPRIM_400000_NS6detail17trampoline_kernelINS0_14default_configENS1_36segmented_radix_sort_config_selectorI6__halflEEZNS1_25segmented_radix_sort_implIS3_Lb1EPKS5_PS5_PKlPlN2at6native12_GLOBAL__N_18offset_tEEE10hipError_tPvRmT1_PNSt15iterator_traitsISL_E10value_typeET2_T3_PNSM_ISR_E10value_typeET4_jRbjT5_SX_jjP12ihipStream_tbEUlT_E0_NS1_11comp_targetILNS1_3genE3ELNS1_11target_archE908ELNS1_3gpuE7ELNS1_3repE0EEENS1_60segmented_radix_sort_warp_sort_medium_config_static_selectorELNS0_4arch9wavefront6targetE0EEEvSL_
    .private_segment_fixed_size: 0
    .sgpr_count:     0
    .sgpr_spill_count: 0
    .symbol:         _ZN7rocprim17ROCPRIM_400000_NS6detail17trampoline_kernelINS0_14default_configENS1_36segmented_radix_sort_config_selectorI6__halflEEZNS1_25segmented_radix_sort_implIS3_Lb1EPKS5_PS5_PKlPlN2at6native12_GLOBAL__N_18offset_tEEE10hipError_tPvRmT1_PNSt15iterator_traitsISL_E10value_typeET2_T3_PNSM_ISR_E10value_typeET4_jRbjT5_SX_jjP12ihipStream_tbEUlT_E0_NS1_11comp_targetILNS1_3genE3ELNS1_11target_archE908ELNS1_3gpuE7ELNS1_3repE0EEENS1_60segmented_radix_sort_warp_sort_medium_config_static_selectorELNS0_4arch9wavefront6targetE0EEEvSL_.kd
    .uniform_work_group_size: 1
    .uses_dynamic_stack: false
    .vgpr_count:     0
    .vgpr_spill_count: 0
    .wavefront_size: 32
    .workgroup_processor_mode: 1
  - .args:
      - .offset:         0
        .size:           88
        .value_kind:     by_value
    .group_segment_fixed_size: 0
    .kernarg_segment_align: 8
    .kernarg_segment_size: 88
    .language:       OpenCL C
    .language_version:
      - 2
      - 0
    .max_flat_workgroup_size: 256
    .name:           _ZN7rocprim17ROCPRIM_400000_NS6detail17trampoline_kernelINS0_14default_configENS1_36segmented_radix_sort_config_selectorI6__halflEEZNS1_25segmented_radix_sort_implIS3_Lb1EPKS5_PS5_PKlPlN2at6native12_GLOBAL__N_18offset_tEEE10hipError_tPvRmT1_PNSt15iterator_traitsISL_E10value_typeET2_T3_PNSM_ISR_E10value_typeET4_jRbjT5_SX_jjP12ihipStream_tbEUlT_E0_NS1_11comp_targetILNS1_3genE2ELNS1_11target_archE906ELNS1_3gpuE6ELNS1_3repE0EEENS1_60segmented_radix_sort_warp_sort_medium_config_static_selectorELNS0_4arch9wavefront6targetE0EEEvSL_
    .private_segment_fixed_size: 0
    .sgpr_count:     0
    .sgpr_spill_count: 0
    .symbol:         _ZN7rocprim17ROCPRIM_400000_NS6detail17trampoline_kernelINS0_14default_configENS1_36segmented_radix_sort_config_selectorI6__halflEEZNS1_25segmented_radix_sort_implIS3_Lb1EPKS5_PS5_PKlPlN2at6native12_GLOBAL__N_18offset_tEEE10hipError_tPvRmT1_PNSt15iterator_traitsISL_E10value_typeET2_T3_PNSM_ISR_E10value_typeET4_jRbjT5_SX_jjP12ihipStream_tbEUlT_E0_NS1_11comp_targetILNS1_3genE2ELNS1_11target_archE906ELNS1_3gpuE6ELNS1_3repE0EEENS1_60segmented_radix_sort_warp_sort_medium_config_static_selectorELNS0_4arch9wavefront6targetE0EEEvSL_.kd
    .uniform_work_group_size: 1
    .uses_dynamic_stack: false
    .vgpr_count:     0
    .vgpr_spill_count: 0
    .wavefront_size: 32
    .workgroup_processor_mode: 1
  - .args:
      - .offset:         0
        .size:           88
        .value_kind:     by_value
      - .offset:         88
        .size:           4
        .value_kind:     hidden_block_count_x
      - .offset:         92
        .size:           4
        .value_kind:     hidden_block_count_y
      - .offset:         96
        .size:           4
        .value_kind:     hidden_block_count_z
      - .offset:         100
        .size:           2
        .value_kind:     hidden_group_size_x
      - .offset:         102
        .size:           2
        .value_kind:     hidden_group_size_y
      - .offset:         104
        .size:           2
        .value_kind:     hidden_group_size_z
      - .offset:         106
        .size:           2
        .value_kind:     hidden_remainder_x
      - .offset:         108
        .size:           2
        .value_kind:     hidden_remainder_y
      - .offset:         110
        .size:           2
        .value_kind:     hidden_remainder_z
      - .offset:         128
        .size:           8
        .value_kind:     hidden_global_offset_x
      - .offset:         136
        .size:           8
        .value_kind:     hidden_global_offset_y
      - .offset:         144
        .size:           8
        .value_kind:     hidden_global_offset_z
      - .offset:         152
        .size:           2
        .value_kind:     hidden_grid_dims
    .group_segment_fixed_size: 20480
    .kernarg_segment_align: 8
    .kernarg_segment_size: 344
    .language:       OpenCL C
    .language_version:
      - 2
      - 0
    .max_flat_workgroup_size: 256
    .name:           _ZN7rocprim17ROCPRIM_400000_NS6detail17trampoline_kernelINS0_14default_configENS1_36segmented_radix_sort_config_selectorI6__halflEEZNS1_25segmented_radix_sort_implIS3_Lb1EPKS5_PS5_PKlPlN2at6native12_GLOBAL__N_18offset_tEEE10hipError_tPvRmT1_PNSt15iterator_traitsISL_E10value_typeET2_T3_PNSM_ISR_E10value_typeET4_jRbjT5_SX_jjP12ihipStream_tbEUlT_E0_NS1_11comp_targetILNS1_3genE10ELNS1_11target_archE1201ELNS1_3gpuE5ELNS1_3repE0EEENS1_60segmented_radix_sort_warp_sort_medium_config_static_selectorELNS0_4arch9wavefront6targetE0EEEvSL_
    .private_segment_fixed_size: 0
    .sgpr_count:     46
    .sgpr_spill_count: 0
    .symbol:         _ZN7rocprim17ROCPRIM_400000_NS6detail17trampoline_kernelINS0_14default_configENS1_36segmented_radix_sort_config_selectorI6__halflEEZNS1_25segmented_radix_sort_implIS3_Lb1EPKS5_PS5_PKlPlN2at6native12_GLOBAL__N_18offset_tEEE10hipError_tPvRmT1_PNSt15iterator_traitsISL_E10value_typeET2_T3_PNSM_ISR_E10value_typeET4_jRbjT5_SX_jjP12ihipStream_tbEUlT_E0_NS1_11comp_targetILNS1_3genE10ELNS1_11target_archE1201ELNS1_3gpuE5ELNS1_3repE0EEENS1_60segmented_radix_sort_warp_sort_medium_config_static_selectorELNS0_4arch9wavefront6targetE0EEEvSL_.kd
    .uniform_work_group_size: 1
    .uses_dynamic_stack: false
    .vgpr_count:     70
    .vgpr_spill_count: 0
    .wavefront_size: 32
    .workgroup_processor_mode: 1
  - .args:
      - .offset:         0
        .size:           88
        .value_kind:     by_value
    .group_segment_fixed_size: 0
    .kernarg_segment_align: 8
    .kernarg_segment_size: 88
    .language:       OpenCL C
    .language_version:
      - 2
      - 0
    .max_flat_workgroup_size: 256
    .name:           _ZN7rocprim17ROCPRIM_400000_NS6detail17trampoline_kernelINS0_14default_configENS1_36segmented_radix_sort_config_selectorI6__halflEEZNS1_25segmented_radix_sort_implIS3_Lb1EPKS5_PS5_PKlPlN2at6native12_GLOBAL__N_18offset_tEEE10hipError_tPvRmT1_PNSt15iterator_traitsISL_E10value_typeET2_T3_PNSM_ISR_E10value_typeET4_jRbjT5_SX_jjP12ihipStream_tbEUlT_E0_NS1_11comp_targetILNS1_3genE10ELNS1_11target_archE1200ELNS1_3gpuE4ELNS1_3repE0EEENS1_60segmented_radix_sort_warp_sort_medium_config_static_selectorELNS0_4arch9wavefront6targetE0EEEvSL_
    .private_segment_fixed_size: 0
    .sgpr_count:     0
    .sgpr_spill_count: 0
    .symbol:         _ZN7rocprim17ROCPRIM_400000_NS6detail17trampoline_kernelINS0_14default_configENS1_36segmented_radix_sort_config_selectorI6__halflEEZNS1_25segmented_radix_sort_implIS3_Lb1EPKS5_PS5_PKlPlN2at6native12_GLOBAL__N_18offset_tEEE10hipError_tPvRmT1_PNSt15iterator_traitsISL_E10value_typeET2_T3_PNSM_ISR_E10value_typeET4_jRbjT5_SX_jjP12ihipStream_tbEUlT_E0_NS1_11comp_targetILNS1_3genE10ELNS1_11target_archE1200ELNS1_3gpuE4ELNS1_3repE0EEENS1_60segmented_radix_sort_warp_sort_medium_config_static_selectorELNS0_4arch9wavefront6targetE0EEEvSL_.kd
    .uniform_work_group_size: 1
    .uses_dynamic_stack: false
    .vgpr_count:     0
    .vgpr_spill_count: 0
    .wavefront_size: 32
    .workgroup_processor_mode: 1
  - .args:
      - .offset:         0
        .size:           88
        .value_kind:     by_value
    .group_segment_fixed_size: 0
    .kernarg_segment_align: 8
    .kernarg_segment_size: 88
    .language:       OpenCL C
    .language_version:
      - 2
      - 0
    .max_flat_workgroup_size: 256
    .name:           _ZN7rocprim17ROCPRIM_400000_NS6detail17trampoline_kernelINS0_14default_configENS1_36segmented_radix_sort_config_selectorI6__halflEEZNS1_25segmented_radix_sort_implIS3_Lb1EPKS5_PS5_PKlPlN2at6native12_GLOBAL__N_18offset_tEEE10hipError_tPvRmT1_PNSt15iterator_traitsISL_E10value_typeET2_T3_PNSM_ISR_E10value_typeET4_jRbjT5_SX_jjP12ihipStream_tbEUlT_E0_NS1_11comp_targetILNS1_3genE9ELNS1_11target_archE1100ELNS1_3gpuE3ELNS1_3repE0EEENS1_60segmented_radix_sort_warp_sort_medium_config_static_selectorELNS0_4arch9wavefront6targetE0EEEvSL_
    .private_segment_fixed_size: 0
    .sgpr_count:     0
    .sgpr_spill_count: 0
    .symbol:         _ZN7rocprim17ROCPRIM_400000_NS6detail17trampoline_kernelINS0_14default_configENS1_36segmented_radix_sort_config_selectorI6__halflEEZNS1_25segmented_radix_sort_implIS3_Lb1EPKS5_PS5_PKlPlN2at6native12_GLOBAL__N_18offset_tEEE10hipError_tPvRmT1_PNSt15iterator_traitsISL_E10value_typeET2_T3_PNSM_ISR_E10value_typeET4_jRbjT5_SX_jjP12ihipStream_tbEUlT_E0_NS1_11comp_targetILNS1_3genE9ELNS1_11target_archE1100ELNS1_3gpuE3ELNS1_3repE0EEENS1_60segmented_radix_sort_warp_sort_medium_config_static_selectorELNS0_4arch9wavefront6targetE0EEEvSL_.kd
    .uniform_work_group_size: 1
    .uses_dynamic_stack: false
    .vgpr_count:     0
    .vgpr_spill_count: 0
    .wavefront_size: 32
    .workgroup_processor_mode: 1
  - .args:
      - .offset:         0
        .size:           88
        .value_kind:     by_value
    .group_segment_fixed_size: 0
    .kernarg_segment_align: 8
    .kernarg_segment_size: 88
    .language:       OpenCL C
    .language_version:
      - 2
      - 0
    .max_flat_workgroup_size: 256
    .name:           _ZN7rocprim17ROCPRIM_400000_NS6detail17trampoline_kernelINS0_14default_configENS1_36segmented_radix_sort_config_selectorI6__halflEEZNS1_25segmented_radix_sort_implIS3_Lb1EPKS5_PS5_PKlPlN2at6native12_GLOBAL__N_18offset_tEEE10hipError_tPvRmT1_PNSt15iterator_traitsISL_E10value_typeET2_T3_PNSM_ISR_E10value_typeET4_jRbjT5_SX_jjP12ihipStream_tbEUlT_E0_NS1_11comp_targetILNS1_3genE8ELNS1_11target_archE1030ELNS1_3gpuE2ELNS1_3repE0EEENS1_60segmented_radix_sort_warp_sort_medium_config_static_selectorELNS0_4arch9wavefront6targetE0EEEvSL_
    .private_segment_fixed_size: 0
    .sgpr_count:     0
    .sgpr_spill_count: 0
    .symbol:         _ZN7rocprim17ROCPRIM_400000_NS6detail17trampoline_kernelINS0_14default_configENS1_36segmented_radix_sort_config_selectorI6__halflEEZNS1_25segmented_radix_sort_implIS3_Lb1EPKS5_PS5_PKlPlN2at6native12_GLOBAL__N_18offset_tEEE10hipError_tPvRmT1_PNSt15iterator_traitsISL_E10value_typeET2_T3_PNSM_ISR_E10value_typeET4_jRbjT5_SX_jjP12ihipStream_tbEUlT_E0_NS1_11comp_targetILNS1_3genE8ELNS1_11target_archE1030ELNS1_3gpuE2ELNS1_3repE0EEENS1_60segmented_radix_sort_warp_sort_medium_config_static_selectorELNS0_4arch9wavefront6targetE0EEEvSL_.kd
    .uniform_work_group_size: 1
    .uses_dynamic_stack: false
    .vgpr_count:     0
    .vgpr_spill_count: 0
    .wavefront_size: 32
    .workgroup_processor_mode: 1
  - .args:
      - .offset:         0
        .size:           88
        .value_kind:     by_value
    .group_segment_fixed_size: 0
    .kernarg_segment_align: 8
    .kernarg_segment_size: 88
    .language:       OpenCL C
    .language_version:
      - 2
      - 0
    .max_flat_workgroup_size: 256
    .name:           _ZN7rocprim17ROCPRIM_400000_NS6detail17trampoline_kernelINS0_14default_configENS1_36segmented_radix_sort_config_selectorI6__halflEEZNS1_25segmented_radix_sort_implIS3_Lb1EPKS5_PS5_PKlPlN2at6native12_GLOBAL__N_18offset_tEEE10hipError_tPvRmT1_PNSt15iterator_traitsISL_E10value_typeET2_T3_PNSM_ISR_E10value_typeET4_jRbjT5_SX_jjP12ihipStream_tbEUlT_E1_NS1_11comp_targetILNS1_3genE0ELNS1_11target_archE4294967295ELNS1_3gpuE0ELNS1_3repE0EEENS1_59segmented_radix_sort_warp_sort_small_config_static_selectorELNS0_4arch9wavefront6targetE0EEEvSL_
    .private_segment_fixed_size: 0
    .sgpr_count:     0
    .sgpr_spill_count: 0
    .symbol:         _ZN7rocprim17ROCPRIM_400000_NS6detail17trampoline_kernelINS0_14default_configENS1_36segmented_radix_sort_config_selectorI6__halflEEZNS1_25segmented_radix_sort_implIS3_Lb1EPKS5_PS5_PKlPlN2at6native12_GLOBAL__N_18offset_tEEE10hipError_tPvRmT1_PNSt15iterator_traitsISL_E10value_typeET2_T3_PNSM_ISR_E10value_typeET4_jRbjT5_SX_jjP12ihipStream_tbEUlT_E1_NS1_11comp_targetILNS1_3genE0ELNS1_11target_archE4294967295ELNS1_3gpuE0ELNS1_3repE0EEENS1_59segmented_radix_sort_warp_sort_small_config_static_selectorELNS0_4arch9wavefront6targetE0EEEvSL_.kd
    .uniform_work_group_size: 1
    .uses_dynamic_stack: false
    .vgpr_count:     0
    .vgpr_spill_count: 0
    .wavefront_size: 32
    .workgroup_processor_mode: 1
  - .args:
      - .offset:         0
        .size:           88
        .value_kind:     by_value
    .group_segment_fixed_size: 0
    .kernarg_segment_align: 8
    .kernarg_segment_size: 88
    .language:       OpenCL C
    .language_version:
      - 2
      - 0
    .max_flat_workgroup_size: 256
    .name:           _ZN7rocprim17ROCPRIM_400000_NS6detail17trampoline_kernelINS0_14default_configENS1_36segmented_radix_sort_config_selectorI6__halflEEZNS1_25segmented_radix_sort_implIS3_Lb1EPKS5_PS5_PKlPlN2at6native12_GLOBAL__N_18offset_tEEE10hipError_tPvRmT1_PNSt15iterator_traitsISL_E10value_typeET2_T3_PNSM_ISR_E10value_typeET4_jRbjT5_SX_jjP12ihipStream_tbEUlT_E1_NS1_11comp_targetILNS1_3genE5ELNS1_11target_archE942ELNS1_3gpuE9ELNS1_3repE0EEENS1_59segmented_radix_sort_warp_sort_small_config_static_selectorELNS0_4arch9wavefront6targetE0EEEvSL_
    .private_segment_fixed_size: 0
    .sgpr_count:     0
    .sgpr_spill_count: 0
    .symbol:         _ZN7rocprim17ROCPRIM_400000_NS6detail17trampoline_kernelINS0_14default_configENS1_36segmented_radix_sort_config_selectorI6__halflEEZNS1_25segmented_radix_sort_implIS3_Lb1EPKS5_PS5_PKlPlN2at6native12_GLOBAL__N_18offset_tEEE10hipError_tPvRmT1_PNSt15iterator_traitsISL_E10value_typeET2_T3_PNSM_ISR_E10value_typeET4_jRbjT5_SX_jjP12ihipStream_tbEUlT_E1_NS1_11comp_targetILNS1_3genE5ELNS1_11target_archE942ELNS1_3gpuE9ELNS1_3repE0EEENS1_59segmented_radix_sort_warp_sort_small_config_static_selectorELNS0_4arch9wavefront6targetE0EEEvSL_.kd
    .uniform_work_group_size: 1
    .uses_dynamic_stack: false
    .vgpr_count:     0
    .vgpr_spill_count: 0
    .wavefront_size: 32
    .workgroup_processor_mode: 1
  - .args:
      - .offset:         0
        .size:           88
        .value_kind:     by_value
    .group_segment_fixed_size: 0
    .kernarg_segment_align: 8
    .kernarg_segment_size: 88
    .language:       OpenCL C
    .language_version:
      - 2
      - 0
    .max_flat_workgroup_size: 256
    .name:           _ZN7rocprim17ROCPRIM_400000_NS6detail17trampoline_kernelINS0_14default_configENS1_36segmented_radix_sort_config_selectorI6__halflEEZNS1_25segmented_radix_sort_implIS3_Lb1EPKS5_PS5_PKlPlN2at6native12_GLOBAL__N_18offset_tEEE10hipError_tPvRmT1_PNSt15iterator_traitsISL_E10value_typeET2_T3_PNSM_ISR_E10value_typeET4_jRbjT5_SX_jjP12ihipStream_tbEUlT_E1_NS1_11comp_targetILNS1_3genE4ELNS1_11target_archE910ELNS1_3gpuE8ELNS1_3repE0EEENS1_59segmented_radix_sort_warp_sort_small_config_static_selectorELNS0_4arch9wavefront6targetE0EEEvSL_
    .private_segment_fixed_size: 0
    .sgpr_count:     0
    .sgpr_spill_count: 0
    .symbol:         _ZN7rocprim17ROCPRIM_400000_NS6detail17trampoline_kernelINS0_14default_configENS1_36segmented_radix_sort_config_selectorI6__halflEEZNS1_25segmented_radix_sort_implIS3_Lb1EPKS5_PS5_PKlPlN2at6native12_GLOBAL__N_18offset_tEEE10hipError_tPvRmT1_PNSt15iterator_traitsISL_E10value_typeET2_T3_PNSM_ISR_E10value_typeET4_jRbjT5_SX_jjP12ihipStream_tbEUlT_E1_NS1_11comp_targetILNS1_3genE4ELNS1_11target_archE910ELNS1_3gpuE8ELNS1_3repE0EEENS1_59segmented_radix_sort_warp_sort_small_config_static_selectorELNS0_4arch9wavefront6targetE0EEEvSL_.kd
    .uniform_work_group_size: 1
    .uses_dynamic_stack: false
    .vgpr_count:     0
    .vgpr_spill_count: 0
    .wavefront_size: 32
    .workgroup_processor_mode: 1
  - .args:
      - .offset:         0
        .size:           88
        .value_kind:     by_value
    .group_segment_fixed_size: 0
    .kernarg_segment_align: 8
    .kernarg_segment_size: 88
    .language:       OpenCL C
    .language_version:
      - 2
      - 0
    .max_flat_workgroup_size: 256
    .name:           _ZN7rocprim17ROCPRIM_400000_NS6detail17trampoline_kernelINS0_14default_configENS1_36segmented_radix_sort_config_selectorI6__halflEEZNS1_25segmented_radix_sort_implIS3_Lb1EPKS5_PS5_PKlPlN2at6native12_GLOBAL__N_18offset_tEEE10hipError_tPvRmT1_PNSt15iterator_traitsISL_E10value_typeET2_T3_PNSM_ISR_E10value_typeET4_jRbjT5_SX_jjP12ihipStream_tbEUlT_E1_NS1_11comp_targetILNS1_3genE3ELNS1_11target_archE908ELNS1_3gpuE7ELNS1_3repE0EEENS1_59segmented_radix_sort_warp_sort_small_config_static_selectorELNS0_4arch9wavefront6targetE0EEEvSL_
    .private_segment_fixed_size: 0
    .sgpr_count:     0
    .sgpr_spill_count: 0
    .symbol:         _ZN7rocprim17ROCPRIM_400000_NS6detail17trampoline_kernelINS0_14default_configENS1_36segmented_radix_sort_config_selectorI6__halflEEZNS1_25segmented_radix_sort_implIS3_Lb1EPKS5_PS5_PKlPlN2at6native12_GLOBAL__N_18offset_tEEE10hipError_tPvRmT1_PNSt15iterator_traitsISL_E10value_typeET2_T3_PNSM_ISR_E10value_typeET4_jRbjT5_SX_jjP12ihipStream_tbEUlT_E1_NS1_11comp_targetILNS1_3genE3ELNS1_11target_archE908ELNS1_3gpuE7ELNS1_3repE0EEENS1_59segmented_radix_sort_warp_sort_small_config_static_selectorELNS0_4arch9wavefront6targetE0EEEvSL_.kd
    .uniform_work_group_size: 1
    .uses_dynamic_stack: false
    .vgpr_count:     0
    .vgpr_spill_count: 0
    .wavefront_size: 32
    .workgroup_processor_mode: 1
  - .args:
      - .offset:         0
        .size:           88
        .value_kind:     by_value
    .group_segment_fixed_size: 0
    .kernarg_segment_align: 8
    .kernarg_segment_size: 88
    .language:       OpenCL C
    .language_version:
      - 2
      - 0
    .max_flat_workgroup_size: 256
    .name:           _ZN7rocprim17ROCPRIM_400000_NS6detail17trampoline_kernelINS0_14default_configENS1_36segmented_radix_sort_config_selectorI6__halflEEZNS1_25segmented_radix_sort_implIS3_Lb1EPKS5_PS5_PKlPlN2at6native12_GLOBAL__N_18offset_tEEE10hipError_tPvRmT1_PNSt15iterator_traitsISL_E10value_typeET2_T3_PNSM_ISR_E10value_typeET4_jRbjT5_SX_jjP12ihipStream_tbEUlT_E1_NS1_11comp_targetILNS1_3genE2ELNS1_11target_archE906ELNS1_3gpuE6ELNS1_3repE0EEENS1_59segmented_radix_sort_warp_sort_small_config_static_selectorELNS0_4arch9wavefront6targetE0EEEvSL_
    .private_segment_fixed_size: 0
    .sgpr_count:     0
    .sgpr_spill_count: 0
    .symbol:         _ZN7rocprim17ROCPRIM_400000_NS6detail17trampoline_kernelINS0_14default_configENS1_36segmented_radix_sort_config_selectorI6__halflEEZNS1_25segmented_radix_sort_implIS3_Lb1EPKS5_PS5_PKlPlN2at6native12_GLOBAL__N_18offset_tEEE10hipError_tPvRmT1_PNSt15iterator_traitsISL_E10value_typeET2_T3_PNSM_ISR_E10value_typeET4_jRbjT5_SX_jjP12ihipStream_tbEUlT_E1_NS1_11comp_targetILNS1_3genE2ELNS1_11target_archE906ELNS1_3gpuE6ELNS1_3repE0EEENS1_59segmented_radix_sort_warp_sort_small_config_static_selectorELNS0_4arch9wavefront6targetE0EEEvSL_.kd
    .uniform_work_group_size: 1
    .uses_dynamic_stack: false
    .vgpr_count:     0
    .vgpr_spill_count: 0
    .wavefront_size: 32
    .workgroup_processor_mode: 1
  - .args:
      - .offset:         0
        .size:           88
        .value_kind:     by_value
      - .offset:         88
        .size:           4
        .value_kind:     hidden_block_count_x
      - .offset:         92
        .size:           4
        .value_kind:     hidden_block_count_y
      - .offset:         96
        .size:           4
        .value_kind:     hidden_block_count_z
      - .offset:         100
        .size:           2
        .value_kind:     hidden_group_size_x
      - .offset:         102
        .size:           2
        .value_kind:     hidden_group_size_y
      - .offset:         104
        .size:           2
        .value_kind:     hidden_group_size_z
      - .offset:         106
        .size:           2
        .value_kind:     hidden_remainder_x
      - .offset:         108
        .size:           2
        .value_kind:     hidden_remainder_y
      - .offset:         110
        .size:           2
        .value_kind:     hidden_remainder_z
      - .offset:         128
        .size:           8
        .value_kind:     hidden_global_offset_x
      - .offset:         136
        .size:           8
        .value_kind:     hidden_global_offset_y
      - .offset:         144
        .size:           8
        .value_kind:     hidden_global_offset_z
      - .offset:         152
        .size:           2
        .value_kind:     hidden_grid_dims
    .group_segment_fixed_size: 10240
    .kernarg_segment_align: 8
    .kernarg_segment_size: 344
    .language:       OpenCL C
    .language_version:
      - 2
      - 0
    .max_flat_workgroup_size: 256
    .name:           _ZN7rocprim17ROCPRIM_400000_NS6detail17trampoline_kernelINS0_14default_configENS1_36segmented_radix_sort_config_selectorI6__halflEEZNS1_25segmented_radix_sort_implIS3_Lb1EPKS5_PS5_PKlPlN2at6native12_GLOBAL__N_18offset_tEEE10hipError_tPvRmT1_PNSt15iterator_traitsISL_E10value_typeET2_T3_PNSM_ISR_E10value_typeET4_jRbjT5_SX_jjP12ihipStream_tbEUlT_E1_NS1_11comp_targetILNS1_3genE10ELNS1_11target_archE1201ELNS1_3gpuE5ELNS1_3repE0EEENS1_59segmented_radix_sort_warp_sort_small_config_static_selectorELNS0_4arch9wavefront6targetE0EEEvSL_
    .private_segment_fixed_size: 0
    .sgpr_count:     35
    .sgpr_spill_count: 0
    .symbol:         _ZN7rocprim17ROCPRIM_400000_NS6detail17trampoline_kernelINS0_14default_configENS1_36segmented_radix_sort_config_selectorI6__halflEEZNS1_25segmented_radix_sort_implIS3_Lb1EPKS5_PS5_PKlPlN2at6native12_GLOBAL__N_18offset_tEEE10hipError_tPvRmT1_PNSt15iterator_traitsISL_E10value_typeET2_T3_PNSM_ISR_E10value_typeET4_jRbjT5_SX_jjP12ihipStream_tbEUlT_E1_NS1_11comp_targetILNS1_3genE10ELNS1_11target_archE1201ELNS1_3gpuE5ELNS1_3repE0EEENS1_59segmented_radix_sort_warp_sort_small_config_static_selectorELNS0_4arch9wavefront6targetE0EEEvSL_.kd
    .uniform_work_group_size: 1
    .uses_dynamic_stack: false
    .vgpr_count:     66
    .vgpr_spill_count: 0
    .wavefront_size: 32
    .workgroup_processor_mode: 1
  - .args:
      - .offset:         0
        .size:           88
        .value_kind:     by_value
    .group_segment_fixed_size: 0
    .kernarg_segment_align: 8
    .kernarg_segment_size: 88
    .language:       OpenCL C
    .language_version:
      - 2
      - 0
    .max_flat_workgroup_size: 256
    .name:           _ZN7rocprim17ROCPRIM_400000_NS6detail17trampoline_kernelINS0_14default_configENS1_36segmented_radix_sort_config_selectorI6__halflEEZNS1_25segmented_radix_sort_implIS3_Lb1EPKS5_PS5_PKlPlN2at6native12_GLOBAL__N_18offset_tEEE10hipError_tPvRmT1_PNSt15iterator_traitsISL_E10value_typeET2_T3_PNSM_ISR_E10value_typeET4_jRbjT5_SX_jjP12ihipStream_tbEUlT_E1_NS1_11comp_targetILNS1_3genE10ELNS1_11target_archE1200ELNS1_3gpuE4ELNS1_3repE0EEENS1_59segmented_radix_sort_warp_sort_small_config_static_selectorELNS0_4arch9wavefront6targetE0EEEvSL_
    .private_segment_fixed_size: 0
    .sgpr_count:     0
    .sgpr_spill_count: 0
    .symbol:         _ZN7rocprim17ROCPRIM_400000_NS6detail17trampoline_kernelINS0_14default_configENS1_36segmented_radix_sort_config_selectorI6__halflEEZNS1_25segmented_radix_sort_implIS3_Lb1EPKS5_PS5_PKlPlN2at6native12_GLOBAL__N_18offset_tEEE10hipError_tPvRmT1_PNSt15iterator_traitsISL_E10value_typeET2_T3_PNSM_ISR_E10value_typeET4_jRbjT5_SX_jjP12ihipStream_tbEUlT_E1_NS1_11comp_targetILNS1_3genE10ELNS1_11target_archE1200ELNS1_3gpuE4ELNS1_3repE0EEENS1_59segmented_radix_sort_warp_sort_small_config_static_selectorELNS0_4arch9wavefront6targetE0EEEvSL_.kd
    .uniform_work_group_size: 1
    .uses_dynamic_stack: false
    .vgpr_count:     0
    .vgpr_spill_count: 0
    .wavefront_size: 32
    .workgroup_processor_mode: 1
  - .args:
      - .offset:         0
        .size:           88
        .value_kind:     by_value
    .group_segment_fixed_size: 0
    .kernarg_segment_align: 8
    .kernarg_segment_size: 88
    .language:       OpenCL C
    .language_version:
      - 2
      - 0
    .max_flat_workgroup_size: 256
    .name:           _ZN7rocprim17ROCPRIM_400000_NS6detail17trampoline_kernelINS0_14default_configENS1_36segmented_radix_sort_config_selectorI6__halflEEZNS1_25segmented_radix_sort_implIS3_Lb1EPKS5_PS5_PKlPlN2at6native12_GLOBAL__N_18offset_tEEE10hipError_tPvRmT1_PNSt15iterator_traitsISL_E10value_typeET2_T3_PNSM_ISR_E10value_typeET4_jRbjT5_SX_jjP12ihipStream_tbEUlT_E1_NS1_11comp_targetILNS1_3genE9ELNS1_11target_archE1100ELNS1_3gpuE3ELNS1_3repE0EEENS1_59segmented_radix_sort_warp_sort_small_config_static_selectorELNS0_4arch9wavefront6targetE0EEEvSL_
    .private_segment_fixed_size: 0
    .sgpr_count:     0
    .sgpr_spill_count: 0
    .symbol:         _ZN7rocprim17ROCPRIM_400000_NS6detail17trampoline_kernelINS0_14default_configENS1_36segmented_radix_sort_config_selectorI6__halflEEZNS1_25segmented_radix_sort_implIS3_Lb1EPKS5_PS5_PKlPlN2at6native12_GLOBAL__N_18offset_tEEE10hipError_tPvRmT1_PNSt15iterator_traitsISL_E10value_typeET2_T3_PNSM_ISR_E10value_typeET4_jRbjT5_SX_jjP12ihipStream_tbEUlT_E1_NS1_11comp_targetILNS1_3genE9ELNS1_11target_archE1100ELNS1_3gpuE3ELNS1_3repE0EEENS1_59segmented_radix_sort_warp_sort_small_config_static_selectorELNS0_4arch9wavefront6targetE0EEEvSL_.kd
    .uniform_work_group_size: 1
    .uses_dynamic_stack: false
    .vgpr_count:     0
    .vgpr_spill_count: 0
    .wavefront_size: 32
    .workgroup_processor_mode: 1
  - .args:
      - .offset:         0
        .size:           88
        .value_kind:     by_value
    .group_segment_fixed_size: 0
    .kernarg_segment_align: 8
    .kernarg_segment_size: 88
    .language:       OpenCL C
    .language_version:
      - 2
      - 0
    .max_flat_workgroup_size: 256
    .name:           _ZN7rocprim17ROCPRIM_400000_NS6detail17trampoline_kernelINS0_14default_configENS1_36segmented_radix_sort_config_selectorI6__halflEEZNS1_25segmented_radix_sort_implIS3_Lb1EPKS5_PS5_PKlPlN2at6native12_GLOBAL__N_18offset_tEEE10hipError_tPvRmT1_PNSt15iterator_traitsISL_E10value_typeET2_T3_PNSM_ISR_E10value_typeET4_jRbjT5_SX_jjP12ihipStream_tbEUlT_E1_NS1_11comp_targetILNS1_3genE8ELNS1_11target_archE1030ELNS1_3gpuE2ELNS1_3repE0EEENS1_59segmented_radix_sort_warp_sort_small_config_static_selectorELNS0_4arch9wavefront6targetE0EEEvSL_
    .private_segment_fixed_size: 0
    .sgpr_count:     0
    .sgpr_spill_count: 0
    .symbol:         _ZN7rocprim17ROCPRIM_400000_NS6detail17trampoline_kernelINS0_14default_configENS1_36segmented_radix_sort_config_selectorI6__halflEEZNS1_25segmented_radix_sort_implIS3_Lb1EPKS5_PS5_PKlPlN2at6native12_GLOBAL__N_18offset_tEEE10hipError_tPvRmT1_PNSt15iterator_traitsISL_E10value_typeET2_T3_PNSM_ISR_E10value_typeET4_jRbjT5_SX_jjP12ihipStream_tbEUlT_E1_NS1_11comp_targetILNS1_3genE8ELNS1_11target_archE1030ELNS1_3gpuE2ELNS1_3repE0EEENS1_59segmented_radix_sort_warp_sort_small_config_static_selectorELNS0_4arch9wavefront6targetE0EEEvSL_.kd
    .uniform_work_group_size: 1
    .uses_dynamic_stack: false
    .vgpr_count:     0
    .vgpr_spill_count: 0
    .wavefront_size: 32
    .workgroup_processor_mode: 1
  - .args:
      - .offset:         0
        .size:           80
        .value_kind:     by_value
    .group_segment_fixed_size: 0
    .kernarg_segment_align: 8
    .kernarg_segment_size: 80
    .language:       OpenCL C
    .language_version:
      - 2
      - 0
    .max_flat_workgroup_size: 256
    .name:           _ZN7rocprim17ROCPRIM_400000_NS6detail17trampoline_kernelINS0_14default_configENS1_36segmented_radix_sort_config_selectorI6__halflEEZNS1_25segmented_radix_sort_implIS3_Lb1EPKS5_PS5_PKlPlN2at6native12_GLOBAL__N_18offset_tEEE10hipError_tPvRmT1_PNSt15iterator_traitsISL_E10value_typeET2_T3_PNSM_ISR_E10value_typeET4_jRbjT5_SX_jjP12ihipStream_tbEUlT_E2_NS1_11comp_targetILNS1_3genE0ELNS1_11target_archE4294967295ELNS1_3gpuE0ELNS1_3repE0EEENS1_30default_config_static_selectorELNS0_4arch9wavefront6targetE0EEEvSL_
    .private_segment_fixed_size: 0
    .sgpr_count:     0
    .sgpr_spill_count: 0
    .symbol:         _ZN7rocprim17ROCPRIM_400000_NS6detail17trampoline_kernelINS0_14default_configENS1_36segmented_radix_sort_config_selectorI6__halflEEZNS1_25segmented_radix_sort_implIS3_Lb1EPKS5_PS5_PKlPlN2at6native12_GLOBAL__N_18offset_tEEE10hipError_tPvRmT1_PNSt15iterator_traitsISL_E10value_typeET2_T3_PNSM_ISR_E10value_typeET4_jRbjT5_SX_jjP12ihipStream_tbEUlT_E2_NS1_11comp_targetILNS1_3genE0ELNS1_11target_archE4294967295ELNS1_3gpuE0ELNS1_3repE0EEENS1_30default_config_static_selectorELNS0_4arch9wavefront6targetE0EEEvSL_.kd
    .uniform_work_group_size: 1
    .uses_dynamic_stack: false
    .vgpr_count:     0
    .vgpr_spill_count: 0
    .wavefront_size: 32
    .workgroup_processor_mode: 1
  - .args:
      - .offset:         0
        .size:           80
        .value_kind:     by_value
    .group_segment_fixed_size: 0
    .kernarg_segment_align: 8
    .kernarg_segment_size: 80
    .language:       OpenCL C
    .language_version:
      - 2
      - 0
    .max_flat_workgroup_size: 256
    .name:           _ZN7rocprim17ROCPRIM_400000_NS6detail17trampoline_kernelINS0_14default_configENS1_36segmented_radix_sort_config_selectorI6__halflEEZNS1_25segmented_radix_sort_implIS3_Lb1EPKS5_PS5_PKlPlN2at6native12_GLOBAL__N_18offset_tEEE10hipError_tPvRmT1_PNSt15iterator_traitsISL_E10value_typeET2_T3_PNSM_ISR_E10value_typeET4_jRbjT5_SX_jjP12ihipStream_tbEUlT_E2_NS1_11comp_targetILNS1_3genE5ELNS1_11target_archE942ELNS1_3gpuE9ELNS1_3repE0EEENS1_30default_config_static_selectorELNS0_4arch9wavefront6targetE0EEEvSL_
    .private_segment_fixed_size: 0
    .sgpr_count:     0
    .sgpr_spill_count: 0
    .symbol:         _ZN7rocprim17ROCPRIM_400000_NS6detail17trampoline_kernelINS0_14default_configENS1_36segmented_radix_sort_config_selectorI6__halflEEZNS1_25segmented_radix_sort_implIS3_Lb1EPKS5_PS5_PKlPlN2at6native12_GLOBAL__N_18offset_tEEE10hipError_tPvRmT1_PNSt15iterator_traitsISL_E10value_typeET2_T3_PNSM_ISR_E10value_typeET4_jRbjT5_SX_jjP12ihipStream_tbEUlT_E2_NS1_11comp_targetILNS1_3genE5ELNS1_11target_archE942ELNS1_3gpuE9ELNS1_3repE0EEENS1_30default_config_static_selectorELNS0_4arch9wavefront6targetE0EEEvSL_.kd
    .uniform_work_group_size: 1
    .uses_dynamic_stack: false
    .vgpr_count:     0
    .vgpr_spill_count: 0
    .wavefront_size: 32
    .workgroup_processor_mode: 1
  - .args:
      - .offset:         0
        .size:           80
        .value_kind:     by_value
    .group_segment_fixed_size: 0
    .kernarg_segment_align: 8
    .kernarg_segment_size: 80
    .language:       OpenCL C
    .language_version:
      - 2
      - 0
    .max_flat_workgroup_size: 256
    .name:           _ZN7rocprim17ROCPRIM_400000_NS6detail17trampoline_kernelINS0_14default_configENS1_36segmented_radix_sort_config_selectorI6__halflEEZNS1_25segmented_radix_sort_implIS3_Lb1EPKS5_PS5_PKlPlN2at6native12_GLOBAL__N_18offset_tEEE10hipError_tPvRmT1_PNSt15iterator_traitsISL_E10value_typeET2_T3_PNSM_ISR_E10value_typeET4_jRbjT5_SX_jjP12ihipStream_tbEUlT_E2_NS1_11comp_targetILNS1_3genE4ELNS1_11target_archE910ELNS1_3gpuE8ELNS1_3repE0EEENS1_30default_config_static_selectorELNS0_4arch9wavefront6targetE0EEEvSL_
    .private_segment_fixed_size: 0
    .sgpr_count:     0
    .sgpr_spill_count: 0
    .symbol:         _ZN7rocprim17ROCPRIM_400000_NS6detail17trampoline_kernelINS0_14default_configENS1_36segmented_radix_sort_config_selectorI6__halflEEZNS1_25segmented_radix_sort_implIS3_Lb1EPKS5_PS5_PKlPlN2at6native12_GLOBAL__N_18offset_tEEE10hipError_tPvRmT1_PNSt15iterator_traitsISL_E10value_typeET2_T3_PNSM_ISR_E10value_typeET4_jRbjT5_SX_jjP12ihipStream_tbEUlT_E2_NS1_11comp_targetILNS1_3genE4ELNS1_11target_archE910ELNS1_3gpuE8ELNS1_3repE0EEENS1_30default_config_static_selectorELNS0_4arch9wavefront6targetE0EEEvSL_.kd
    .uniform_work_group_size: 1
    .uses_dynamic_stack: false
    .vgpr_count:     0
    .vgpr_spill_count: 0
    .wavefront_size: 32
    .workgroup_processor_mode: 1
  - .args:
      - .offset:         0
        .size:           80
        .value_kind:     by_value
    .group_segment_fixed_size: 0
    .kernarg_segment_align: 8
    .kernarg_segment_size: 80
    .language:       OpenCL C
    .language_version:
      - 2
      - 0
    .max_flat_workgroup_size: 256
    .name:           _ZN7rocprim17ROCPRIM_400000_NS6detail17trampoline_kernelINS0_14default_configENS1_36segmented_radix_sort_config_selectorI6__halflEEZNS1_25segmented_radix_sort_implIS3_Lb1EPKS5_PS5_PKlPlN2at6native12_GLOBAL__N_18offset_tEEE10hipError_tPvRmT1_PNSt15iterator_traitsISL_E10value_typeET2_T3_PNSM_ISR_E10value_typeET4_jRbjT5_SX_jjP12ihipStream_tbEUlT_E2_NS1_11comp_targetILNS1_3genE3ELNS1_11target_archE908ELNS1_3gpuE7ELNS1_3repE0EEENS1_30default_config_static_selectorELNS0_4arch9wavefront6targetE0EEEvSL_
    .private_segment_fixed_size: 0
    .sgpr_count:     0
    .sgpr_spill_count: 0
    .symbol:         _ZN7rocprim17ROCPRIM_400000_NS6detail17trampoline_kernelINS0_14default_configENS1_36segmented_radix_sort_config_selectorI6__halflEEZNS1_25segmented_radix_sort_implIS3_Lb1EPKS5_PS5_PKlPlN2at6native12_GLOBAL__N_18offset_tEEE10hipError_tPvRmT1_PNSt15iterator_traitsISL_E10value_typeET2_T3_PNSM_ISR_E10value_typeET4_jRbjT5_SX_jjP12ihipStream_tbEUlT_E2_NS1_11comp_targetILNS1_3genE3ELNS1_11target_archE908ELNS1_3gpuE7ELNS1_3repE0EEENS1_30default_config_static_selectorELNS0_4arch9wavefront6targetE0EEEvSL_.kd
    .uniform_work_group_size: 1
    .uses_dynamic_stack: false
    .vgpr_count:     0
    .vgpr_spill_count: 0
    .wavefront_size: 32
    .workgroup_processor_mode: 1
  - .args:
      - .offset:         0
        .size:           80
        .value_kind:     by_value
    .group_segment_fixed_size: 0
    .kernarg_segment_align: 8
    .kernarg_segment_size: 80
    .language:       OpenCL C
    .language_version:
      - 2
      - 0
    .max_flat_workgroup_size: 256
    .name:           _ZN7rocprim17ROCPRIM_400000_NS6detail17trampoline_kernelINS0_14default_configENS1_36segmented_radix_sort_config_selectorI6__halflEEZNS1_25segmented_radix_sort_implIS3_Lb1EPKS5_PS5_PKlPlN2at6native12_GLOBAL__N_18offset_tEEE10hipError_tPvRmT1_PNSt15iterator_traitsISL_E10value_typeET2_T3_PNSM_ISR_E10value_typeET4_jRbjT5_SX_jjP12ihipStream_tbEUlT_E2_NS1_11comp_targetILNS1_3genE2ELNS1_11target_archE906ELNS1_3gpuE6ELNS1_3repE0EEENS1_30default_config_static_selectorELNS0_4arch9wavefront6targetE0EEEvSL_
    .private_segment_fixed_size: 0
    .sgpr_count:     0
    .sgpr_spill_count: 0
    .symbol:         _ZN7rocprim17ROCPRIM_400000_NS6detail17trampoline_kernelINS0_14default_configENS1_36segmented_radix_sort_config_selectorI6__halflEEZNS1_25segmented_radix_sort_implIS3_Lb1EPKS5_PS5_PKlPlN2at6native12_GLOBAL__N_18offset_tEEE10hipError_tPvRmT1_PNSt15iterator_traitsISL_E10value_typeET2_T3_PNSM_ISR_E10value_typeET4_jRbjT5_SX_jjP12ihipStream_tbEUlT_E2_NS1_11comp_targetILNS1_3genE2ELNS1_11target_archE906ELNS1_3gpuE6ELNS1_3repE0EEENS1_30default_config_static_selectorELNS0_4arch9wavefront6targetE0EEEvSL_.kd
    .uniform_work_group_size: 1
    .uses_dynamic_stack: false
    .vgpr_count:     0
    .vgpr_spill_count: 0
    .wavefront_size: 32
    .workgroup_processor_mode: 1
  - .args:
      - .offset:         0
        .size:           80
        .value_kind:     by_value
      - .offset:         80
        .size:           4
        .value_kind:     hidden_block_count_x
      - .offset:         84
        .size:           4
        .value_kind:     hidden_block_count_y
      - .offset:         88
        .size:           4
        .value_kind:     hidden_block_count_z
      - .offset:         92
        .size:           2
        .value_kind:     hidden_group_size_x
      - .offset:         94
        .size:           2
        .value_kind:     hidden_group_size_y
      - .offset:         96
        .size:           2
        .value_kind:     hidden_group_size_z
      - .offset:         98
        .size:           2
        .value_kind:     hidden_remainder_x
      - .offset:         100
        .size:           2
        .value_kind:     hidden_remainder_y
      - .offset:         102
        .size:           2
        .value_kind:     hidden_remainder_z
      - .offset:         120
        .size:           8
        .value_kind:     hidden_global_offset_x
      - .offset:         128
        .size:           8
        .value_kind:     hidden_global_offset_y
      - .offset:         136
        .size:           8
        .value_kind:     hidden_global_offset_z
      - .offset:         144
        .size:           2
        .value_kind:     hidden_grid_dims
    .group_segment_fixed_size: 17440
    .kernarg_segment_align: 8
    .kernarg_segment_size: 336
    .language:       OpenCL C
    .language_version:
      - 2
      - 0
    .max_flat_workgroup_size: 256
    .name:           _ZN7rocprim17ROCPRIM_400000_NS6detail17trampoline_kernelINS0_14default_configENS1_36segmented_radix_sort_config_selectorI6__halflEEZNS1_25segmented_radix_sort_implIS3_Lb1EPKS5_PS5_PKlPlN2at6native12_GLOBAL__N_18offset_tEEE10hipError_tPvRmT1_PNSt15iterator_traitsISL_E10value_typeET2_T3_PNSM_ISR_E10value_typeET4_jRbjT5_SX_jjP12ihipStream_tbEUlT_E2_NS1_11comp_targetILNS1_3genE10ELNS1_11target_archE1201ELNS1_3gpuE5ELNS1_3repE0EEENS1_30default_config_static_selectorELNS0_4arch9wavefront6targetE0EEEvSL_
    .private_segment_fixed_size: 0
    .sgpr_count:     52
    .sgpr_spill_count: 0
    .symbol:         _ZN7rocprim17ROCPRIM_400000_NS6detail17trampoline_kernelINS0_14default_configENS1_36segmented_radix_sort_config_selectorI6__halflEEZNS1_25segmented_radix_sort_implIS3_Lb1EPKS5_PS5_PKlPlN2at6native12_GLOBAL__N_18offset_tEEE10hipError_tPvRmT1_PNSt15iterator_traitsISL_E10value_typeET2_T3_PNSM_ISR_E10value_typeET4_jRbjT5_SX_jjP12ihipStream_tbEUlT_E2_NS1_11comp_targetILNS1_3genE10ELNS1_11target_archE1201ELNS1_3gpuE5ELNS1_3repE0EEENS1_30default_config_static_selectorELNS0_4arch9wavefront6targetE0EEEvSL_.kd
    .uniform_work_group_size: 1
    .uses_dynamic_stack: false
    .vgpr_count:     198
    .vgpr_spill_count: 0
    .wavefront_size: 32
    .workgroup_processor_mode: 1
  - .args:
      - .offset:         0
        .size:           80
        .value_kind:     by_value
    .group_segment_fixed_size: 0
    .kernarg_segment_align: 8
    .kernarg_segment_size: 80
    .language:       OpenCL C
    .language_version:
      - 2
      - 0
    .max_flat_workgroup_size: 128
    .name:           _ZN7rocprim17ROCPRIM_400000_NS6detail17trampoline_kernelINS0_14default_configENS1_36segmented_radix_sort_config_selectorI6__halflEEZNS1_25segmented_radix_sort_implIS3_Lb1EPKS5_PS5_PKlPlN2at6native12_GLOBAL__N_18offset_tEEE10hipError_tPvRmT1_PNSt15iterator_traitsISL_E10value_typeET2_T3_PNSM_ISR_E10value_typeET4_jRbjT5_SX_jjP12ihipStream_tbEUlT_E2_NS1_11comp_targetILNS1_3genE10ELNS1_11target_archE1200ELNS1_3gpuE4ELNS1_3repE0EEENS1_30default_config_static_selectorELNS0_4arch9wavefront6targetE0EEEvSL_
    .private_segment_fixed_size: 0
    .sgpr_count:     0
    .sgpr_spill_count: 0
    .symbol:         _ZN7rocprim17ROCPRIM_400000_NS6detail17trampoline_kernelINS0_14default_configENS1_36segmented_radix_sort_config_selectorI6__halflEEZNS1_25segmented_radix_sort_implIS3_Lb1EPKS5_PS5_PKlPlN2at6native12_GLOBAL__N_18offset_tEEE10hipError_tPvRmT1_PNSt15iterator_traitsISL_E10value_typeET2_T3_PNSM_ISR_E10value_typeET4_jRbjT5_SX_jjP12ihipStream_tbEUlT_E2_NS1_11comp_targetILNS1_3genE10ELNS1_11target_archE1200ELNS1_3gpuE4ELNS1_3repE0EEENS1_30default_config_static_selectorELNS0_4arch9wavefront6targetE0EEEvSL_.kd
    .uniform_work_group_size: 1
    .uses_dynamic_stack: false
    .vgpr_count:     0
    .vgpr_spill_count: 0
    .wavefront_size: 32
    .workgroup_processor_mode: 1
  - .args:
      - .offset:         0
        .size:           80
        .value_kind:     by_value
    .group_segment_fixed_size: 0
    .kernarg_segment_align: 8
    .kernarg_segment_size: 80
    .language:       OpenCL C
    .language_version:
      - 2
      - 0
    .max_flat_workgroup_size: 256
    .name:           _ZN7rocprim17ROCPRIM_400000_NS6detail17trampoline_kernelINS0_14default_configENS1_36segmented_radix_sort_config_selectorI6__halflEEZNS1_25segmented_radix_sort_implIS3_Lb1EPKS5_PS5_PKlPlN2at6native12_GLOBAL__N_18offset_tEEE10hipError_tPvRmT1_PNSt15iterator_traitsISL_E10value_typeET2_T3_PNSM_ISR_E10value_typeET4_jRbjT5_SX_jjP12ihipStream_tbEUlT_E2_NS1_11comp_targetILNS1_3genE9ELNS1_11target_archE1100ELNS1_3gpuE3ELNS1_3repE0EEENS1_30default_config_static_selectorELNS0_4arch9wavefront6targetE0EEEvSL_
    .private_segment_fixed_size: 0
    .sgpr_count:     0
    .sgpr_spill_count: 0
    .symbol:         _ZN7rocprim17ROCPRIM_400000_NS6detail17trampoline_kernelINS0_14default_configENS1_36segmented_radix_sort_config_selectorI6__halflEEZNS1_25segmented_radix_sort_implIS3_Lb1EPKS5_PS5_PKlPlN2at6native12_GLOBAL__N_18offset_tEEE10hipError_tPvRmT1_PNSt15iterator_traitsISL_E10value_typeET2_T3_PNSM_ISR_E10value_typeET4_jRbjT5_SX_jjP12ihipStream_tbEUlT_E2_NS1_11comp_targetILNS1_3genE9ELNS1_11target_archE1100ELNS1_3gpuE3ELNS1_3repE0EEENS1_30default_config_static_selectorELNS0_4arch9wavefront6targetE0EEEvSL_.kd
    .uniform_work_group_size: 1
    .uses_dynamic_stack: false
    .vgpr_count:     0
    .vgpr_spill_count: 0
    .wavefront_size: 32
    .workgroup_processor_mode: 1
  - .args:
      - .offset:         0
        .size:           80
        .value_kind:     by_value
    .group_segment_fixed_size: 0
    .kernarg_segment_align: 8
    .kernarg_segment_size: 80
    .language:       OpenCL C
    .language_version:
      - 2
      - 0
    .max_flat_workgroup_size: 256
    .name:           _ZN7rocprim17ROCPRIM_400000_NS6detail17trampoline_kernelINS0_14default_configENS1_36segmented_radix_sort_config_selectorI6__halflEEZNS1_25segmented_radix_sort_implIS3_Lb1EPKS5_PS5_PKlPlN2at6native12_GLOBAL__N_18offset_tEEE10hipError_tPvRmT1_PNSt15iterator_traitsISL_E10value_typeET2_T3_PNSM_ISR_E10value_typeET4_jRbjT5_SX_jjP12ihipStream_tbEUlT_E2_NS1_11comp_targetILNS1_3genE8ELNS1_11target_archE1030ELNS1_3gpuE2ELNS1_3repE0EEENS1_30default_config_static_selectorELNS0_4arch9wavefront6targetE0EEEvSL_
    .private_segment_fixed_size: 0
    .sgpr_count:     0
    .sgpr_spill_count: 0
    .symbol:         _ZN7rocprim17ROCPRIM_400000_NS6detail17trampoline_kernelINS0_14default_configENS1_36segmented_radix_sort_config_selectorI6__halflEEZNS1_25segmented_radix_sort_implIS3_Lb1EPKS5_PS5_PKlPlN2at6native12_GLOBAL__N_18offset_tEEE10hipError_tPvRmT1_PNSt15iterator_traitsISL_E10value_typeET2_T3_PNSM_ISR_E10value_typeET4_jRbjT5_SX_jjP12ihipStream_tbEUlT_E2_NS1_11comp_targetILNS1_3genE8ELNS1_11target_archE1030ELNS1_3gpuE2ELNS1_3repE0EEENS1_30default_config_static_selectorELNS0_4arch9wavefront6targetE0EEEvSL_.kd
    .uniform_work_group_size: 1
    .uses_dynamic_stack: false
    .vgpr_count:     0
    .vgpr_spill_count: 0
    .wavefront_size: 32
    .workgroup_processor_mode: 1
  - .args:
      - .offset:         0
        .size:           176
        .value_kind:     by_value
    .group_segment_fixed_size: 0
    .kernarg_segment_align: 8
    .kernarg_segment_size: 176
    .language:       OpenCL C
    .language_version:
      - 2
      - 0
    .max_flat_workgroup_size: 256
    .name:           _ZN7rocprim17ROCPRIM_400000_NS6detail17trampoline_kernelINS0_13select_configILj256ELj13ELNS0_17block_load_methodE3ELS4_3ELS4_3ELNS0_20block_scan_algorithmE0ELj4294967295EEENS1_25partition_config_selectorILNS1_17partition_subalgoE4EjNS0_10empty_typeEbEEZZNS1_14partition_implILS8_4ELb0ES6_15HIP_vector_typeIjLj2EENS0_17counting_iteratorIjlEEPS9_SG_NS0_5tupleIJPjSI_NS0_16reverse_iteratorISI_EEEEENSH_IJSG_SG_SG_EEES9_SI_JZNS1_25segmented_radix_sort_implINS0_14default_configELb0EPK6__halfPSP_PKlPlN2at6native12_GLOBAL__N_18offset_tEEE10hipError_tPvRmT1_PNSt15iterator_traitsIS13_E10value_typeET2_T3_PNS14_IS19_E10value_typeET4_jRbjT5_S1F_jjP12ihipStream_tbEUljE_ZNSN_ISO_Lb0ESR_SS_SU_SV_SZ_EES10_S11_S12_S13_S17_S18_S19_S1C_S1D_jS1E_jS1F_S1F_jjS1H_bEUljE0_EEES10_S11_S12_S19_S1D_S1F_T6_T7_T9_mT8_S1H_bDpT10_ENKUlT_T0_E_clISt17integral_constantIbLb0EES1V_EEDaS1Q_S1R_EUlS1Q_E_NS1_11comp_targetILNS1_3genE0ELNS1_11target_archE4294967295ELNS1_3gpuE0ELNS1_3repE0EEENS1_30default_config_static_selectorELNS0_4arch9wavefront6targetE0EEEvS13_
    .private_segment_fixed_size: 0
    .sgpr_count:     0
    .sgpr_spill_count: 0
    .symbol:         _ZN7rocprim17ROCPRIM_400000_NS6detail17trampoline_kernelINS0_13select_configILj256ELj13ELNS0_17block_load_methodE3ELS4_3ELS4_3ELNS0_20block_scan_algorithmE0ELj4294967295EEENS1_25partition_config_selectorILNS1_17partition_subalgoE4EjNS0_10empty_typeEbEEZZNS1_14partition_implILS8_4ELb0ES6_15HIP_vector_typeIjLj2EENS0_17counting_iteratorIjlEEPS9_SG_NS0_5tupleIJPjSI_NS0_16reverse_iteratorISI_EEEEENSH_IJSG_SG_SG_EEES9_SI_JZNS1_25segmented_radix_sort_implINS0_14default_configELb0EPK6__halfPSP_PKlPlN2at6native12_GLOBAL__N_18offset_tEEE10hipError_tPvRmT1_PNSt15iterator_traitsIS13_E10value_typeET2_T3_PNS14_IS19_E10value_typeET4_jRbjT5_S1F_jjP12ihipStream_tbEUljE_ZNSN_ISO_Lb0ESR_SS_SU_SV_SZ_EES10_S11_S12_S13_S17_S18_S19_S1C_S1D_jS1E_jS1F_S1F_jjS1H_bEUljE0_EEES10_S11_S12_S19_S1D_S1F_T6_T7_T9_mT8_S1H_bDpT10_ENKUlT_T0_E_clISt17integral_constantIbLb0EES1V_EEDaS1Q_S1R_EUlS1Q_E_NS1_11comp_targetILNS1_3genE0ELNS1_11target_archE4294967295ELNS1_3gpuE0ELNS1_3repE0EEENS1_30default_config_static_selectorELNS0_4arch9wavefront6targetE0EEEvS13_.kd
    .uniform_work_group_size: 1
    .uses_dynamic_stack: false
    .vgpr_count:     0
    .vgpr_spill_count: 0
    .wavefront_size: 32
    .workgroup_processor_mode: 1
  - .args:
      - .offset:         0
        .size:           176
        .value_kind:     by_value
    .group_segment_fixed_size: 0
    .kernarg_segment_align: 8
    .kernarg_segment_size: 176
    .language:       OpenCL C
    .language_version:
      - 2
      - 0
    .max_flat_workgroup_size: 256
    .name:           _ZN7rocprim17ROCPRIM_400000_NS6detail17trampoline_kernelINS0_13select_configILj256ELj13ELNS0_17block_load_methodE3ELS4_3ELS4_3ELNS0_20block_scan_algorithmE0ELj4294967295EEENS1_25partition_config_selectorILNS1_17partition_subalgoE4EjNS0_10empty_typeEbEEZZNS1_14partition_implILS8_4ELb0ES6_15HIP_vector_typeIjLj2EENS0_17counting_iteratorIjlEEPS9_SG_NS0_5tupleIJPjSI_NS0_16reverse_iteratorISI_EEEEENSH_IJSG_SG_SG_EEES9_SI_JZNS1_25segmented_radix_sort_implINS0_14default_configELb0EPK6__halfPSP_PKlPlN2at6native12_GLOBAL__N_18offset_tEEE10hipError_tPvRmT1_PNSt15iterator_traitsIS13_E10value_typeET2_T3_PNS14_IS19_E10value_typeET4_jRbjT5_S1F_jjP12ihipStream_tbEUljE_ZNSN_ISO_Lb0ESR_SS_SU_SV_SZ_EES10_S11_S12_S13_S17_S18_S19_S1C_S1D_jS1E_jS1F_S1F_jjS1H_bEUljE0_EEES10_S11_S12_S19_S1D_S1F_T6_T7_T9_mT8_S1H_bDpT10_ENKUlT_T0_E_clISt17integral_constantIbLb0EES1V_EEDaS1Q_S1R_EUlS1Q_E_NS1_11comp_targetILNS1_3genE5ELNS1_11target_archE942ELNS1_3gpuE9ELNS1_3repE0EEENS1_30default_config_static_selectorELNS0_4arch9wavefront6targetE0EEEvS13_
    .private_segment_fixed_size: 0
    .sgpr_count:     0
    .sgpr_spill_count: 0
    .symbol:         _ZN7rocprim17ROCPRIM_400000_NS6detail17trampoline_kernelINS0_13select_configILj256ELj13ELNS0_17block_load_methodE3ELS4_3ELS4_3ELNS0_20block_scan_algorithmE0ELj4294967295EEENS1_25partition_config_selectorILNS1_17partition_subalgoE4EjNS0_10empty_typeEbEEZZNS1_14partition_implILS8_4ELb0ES6_15HIP_vector_typeIjLj2EENS0_17counting_iteratorIjlEEPS9_SG_NS0_5tupleIJPjSI_NS0_16reverse_iteratorISI_EEEEENSH_IJSG_SG_SG_EEES9_SI_JZNS1_25segmented_radix_sort_implINS0_14default_configELb0EPK6__halfPSP_PKlPlN2at6native12_GLOBAL__N_18offset_tEEE10hipError_tPvRmT1_PNSt15iterator_traitsIS13_E10value_typeET2_T3_PNS14_IS19_E10value_typeET4_jRbjT5_S1F_jjP12ihipStream_tbEUljE_ZNSN_ISO_Lb0ESR_SS_SU_SV_SZ_EES10_S11_S12_S13_S17_S18_S19_S1C_S1D_jS1E_jS1F_S1F_jjS1H_bEUljE0_EEES10_S11_S12_S19_S1D_S1F_T6_T7_T9_mT8_S1H_bDpT10_ENKUlT_T0_E_clISt17integral_constantIbLb0EES1V_EEDaS1Q_S1R_EUlS1Q_E_NS1_11comp_targetILNS1_3genE5ELNS1_11target_archE942ELNS1_3gpuE9ELNS1_3repE0EEENS1_30default_config_static_selectorELNS0_4arch9wavefront6targetE0EEEvS13_.kd
    .uniform_work_group_size: 1
    .uses_dynamic_stack: false
    .vgpr_count:     0
    .vgpr_spill_count: 0
    .wavefront_size: 32
    .workgroup_processor_mode: 1
  - .args:
      - .offset:         0
        .size:           176
        .value_kind:     by_value
    .group_segment_fixed_size: 0
    .kernarg_segment_align: 8
    .kernarg_segment_size: 176
    .language:       OpenCL C
    .language_version:
      - 2
      - 0
    .max_flat_workgroup_size: 256
    .name:           _ZN7rocprim17ROCPRIM_400000_NS6detail17trampoline_kernelINS0_13select_configILj256ELj13ELNS0_17block_load_methodE3ELS4_3ELS4_3ELNS0_20block_scan_algorithmE0ELj4294967295EEENS1_25partition_config_selectorILNS1_17partition_subalgoE4EjNS0_10empty_typeEbEEZZNS1_14partition_implILS8_4ELb0ES6_15HIP_vector_typeIjLj2EENS0_17counting_iteratorIjlEEPS9_SG_NS0_5tupleIJPjSI_NS0_16reverse_iteratorISI_EEEEENSH_IJSG_SG_SG_EEES9_SI_JZNS1_25segmented_radix_sort_implINS0_14default_configELb0EPK6__halfPSP_PKlPlN2at6native12_GLOBAL__N_18offset_tEEE10hipError_tPvRmT1_PNSt15iterator_traitsIS13_E10value_typeET2_T3_PNS14_IS19_E10value_typeET4_jRbjT5_S1F_jjP12ihipStream_tbEUljE_ZNSN_ISO_Lb0ESR_SS_SU_SV_SZ_EES10_S11_S12_S13_S17_S18_S19_S1C_S1D_jS1E_jS1F_S1F_jjS1H_bEUljE0_EEES10_S11_S12_S19_S1D_S1F_T6_T7_T9_mT8_S1H_bDpT10_ENKUlT_T0_E_clISt17integral_constantIbLb0EES1V_EEDaS1Q_S1R_EUlS1Q_E_NS1_11comp_targetILNS1_3genE4ELNS1_11target_archE910ELNS1_3gpuE8ELNS1_3repE0EEENS1_30default_config_static_selectorELNS0_4arch9wavefront6targetE0EEEvS13_
    .private_segment_fixed_size: 0
    .sgpr_count:     0
    .sgpr_spill_count: 0
    .symbol:         _ZN7rocprim17ROCPRIM_400000_NS6detail17trampoline_kernelINS0_13select_configILj256ELj13ELNS0_17block_load_methodE3ELS4_3ELS4_3ELNS0_20block_scan_algorithmE0ELj4294967295EEENS1_25partition_config_selectorILNS1_17partition_subalgoE4EjNS0_10empty_typeEbEEZZNS1_14partition_implILS8_4ELb0ES6_15HIP_vector_typeIjLj2EENS0_17counting_iteratorIjlEEPS9_SG_NS0_5tupleIJPjSI_NS0_16reverse_iteratorISI_EEEEENSH_IJSG_SG_SG_EEES9_SI_JZNS1_25segmented_radix_sort_implINS0_14default_configELb0EPK6__halfPSP_PKlPlN2at6native12_GLOBAL__N_18offset_tEEE10hipError_tPvRmT1_PNSt15iterator_traitsIS13_E10value_typeET2_T3_PNS14_IS19_E10value_typeET4_jRbjT5_S1F_jjP12ihipStream_tbEUljE_ZNSN_ISO_Lb0ESR_SS_SU_SV_SZ_EES10_S11_S12_S13_S17_S18_S19_S1C_S1D_jS1E_jS1F_S1F_jjS1H_bEUljE0_EEES10_S11_S12_S19_S1D_S1F_T6_T7_T9_mT8_S1H_bDpT10_ENKUlT_T0_E_clISt17integral_constantIbLb0EES1V_EEDaS1Q_S1R_EUlS1Q_E_NS1_11comp_targetILNS1_3genE4ELNS1_11target_archE910ELNS1_3gpuE8ELNS1_3repE0EEENS1_30default_config_static_selectorELNS0_4arch9wavefront6targetE0EEEvS13_.kd
    .uniform_work_group_size: 1
    .uses_dynamic_stack: false
    .vgpr_count:     0
    .vgpr_spill_count: 0
    .wavefront_size: 32
    .workgroup_processor_mode: 1
  - .args:
      - .offset:         0
        .size:           176
        .value_kind:     by_value
    .group_segment_fixed_size: 0
    .kernarg_segment_align: 8
    .kernarg_segment_size: 176
    .language:       OpenCL C
    .language_version:
      - 2
      - 0
    .max_flat_workgroup_size: 256
    .name:           _ZN7rocprim17ROCPRIM_400000_NS6detail17trampoline_kernelINS0_13select_configILj256ELj13ELNS0_17block_load_methodE3ELS4_3ELS4_3ELNS0_20block_scan_algorithmE0ELj4294967295EEENS1_25partition_config_selectorILNS1_17partition_subalgoE4EjNS0_10empty_typeEbEEZZNS1_14partition_implILS8_4ELb0ES6_15HIP_vector_typeIjLj2EENS0_17counting_iteratorIjlEEPS9_SG_NS0_5tupleIJPjSI_NS0_16reverse_iteratorISI_EEEEENSH_IJSG_SG_SG_EEES9_SI_JZNS1_25segmented_radix_sort_implINS0_14default_configELb0EPK6__halfPSP_PKlPlN2at6native12_GLOBAL__N_18offset_tEEE10hipError_tPvRmT1_PNSt15iterator_traitsIS13_E10value_typeET2_T3_PNS14_IS19_E10value_typeET4_jRbjT5_S1F_jjP12ihipStream_tbEUljE_ZNSN_ISO_Lb0ESR_SS_SU_SV_SZ_EES10_S11_S12_S13_S17_S18_S19_S1C_S1D_jS1E_jS1F_S1F_jjS1H_bEUljE0_EEES10_S11_S12_S19_S1D_S1F_T6_T7_T9_mT8_S1H_bDpT10_ENKUlT_T0_E_clISt17integral_constantIbLb0EES1V_EEDaS1Q_S1R_EUlS1Q_E_NS1_11comp_targetILNS1_3genE3ELNS1_11target_archE908ELNS1_3gpuE7ELNS1_3repE0EEENS1_30default_config_static_selectorELNS0_4arch9wavefront6targetE0EEEvS13_
    .private_segment_fixed_size: 0
    .sgpr_count:     0
    .sgpr_spill_count: 0
    .symbol:         _ZN7rocprim17ROCPRIM_400000_NS6detail17trampoline_kernelINS0_13select_configILj256ELj13ELNS0_17block_load_methodE3ELS4_3ELS4_3ELNS0_20block_scan_algorithmE0ELj4294967295EEENS1_25partition_config_selectorILNS1_17partition_subalgoE4EjNS0_10empty_typeEbEEZZNS1_14partition_implILS8_4ELb0ES6_15HIP_vector_typeIjLj2EENS0_17counting_iteratorIjlEEPS9_SG_NS0_5tupleIJPjSI_NS0_16reverse_iteratorISI_EEEEENSH_IJSG_SG_SG_EEES9_SI_JZNS1_25segmented_radix_sort_implINS0_14default_configELb0EPK6__halfPSP_PKlPlN2at6native12_GLOBAL__N_18offset_tEEE10hipError_tPvRmT1_PNSt15iterator_traitsIS13_E10value_typeET2_T3_PNS14_IS19_E10value_typeET4_jRbjT5_S1F_jjP12ihipStream_tbEUljE_ZNSN_ISO_Lb0ESR_SS_SU_SV_SZ_EES10_S11_S12_S13_S17_S18_S19_S1C_S1D_jS1E_jS1F_S1F_jjS1H_bEUljE0_EEES10_S11_S12_S19_S1D_S1F_T6_T7_T9_mT8_S1H_bDpT10_ENKUlT_T0_E_clISt17integral_constantIbLb0EES1V_EEDaS1Q_S1R_EUlS1Q_E_NS1_11comp_targetILNS1_3genE3ELNS1_11target_archE908ELNS1_3gpuE7ELNS1_3repE0EEENS1_30default_config_static_selectorELNS0_4arch9wavefront6targetE0EEEvS13_.kd
    .uniform_work_group_size: 1
    .uses_dynamic_stack: false
    .vgpr_count:     0
    .vgpr_spill_count: 0
    .wavefront_size: 32
    .workgroup_processor_mode: 1
  - .args:
      - .offset:         0
        .size:           176
        .value_kind:     by_value
    .group_segment_fixed_size: 0
    .kernarg_segment_align: 8
    .kernarg_segment_size: 176
    .language:       OpenCL C
    .language_version:
      - 2
      - 0
    .max_flat_workgroup_size: 256
    .name:           _ZN7rocprim17ROCPRIM_400000_NS6detail17trampoline_kernelINS0_13select_configILj256ELj13ELNS0_17block_load_methodE3ELS4_3ELS4_3ELNS0_20block_scan_algorithmE0ELj4294967295EEENS1_25partition_config_selectorILNS1_17partition_subalgoE4EjNS0_10empty_typeEbEEZZNS1_14partition_implILS8_4ELb0ES6_15HIP_vector_typeIjLj2EENS0_17counting_iteratorIjlEEPS9_SG_NS0_5tupleIJPjSI_NS0_16reverse_iteratorISI_EEEEENSH_IJSG_SG_SG_EEES9_SI_JZNS1_25segmented_radix_sort_implINS0_14default_configELb0EPK6__halfPSP_PKlPlN2at6native12_GLOBAL__N_18offset_tEEE10hipError_tPvRmT1_PNSt15iterator_traitsIS13_E10value_typeET2_T3_PNS14_IS19_E10value_typeET4_jRbjT5_S1F_jjP12ihipStream_tbEUljE_ZNSN_ISO_Lb0ESR_SS_SU_SV_SZ_EES10_S11_S12_S13_S17_S18_S19_S1C_S1D_jS1E_jS1F_S1F_jjS1H_bEUljE0_EEES10_S11_S12_S19_S1D_S1F_T6_T7_T9_mT8_S1H_bDpT10_ENKUlT_T0_E_clISt17integral_constantIbLb0EES1V_EEDaS1Q_S1R_EUlS1Q_E_NS1_11comp_targetILNS1_3genE2ELNS1_11target_archE906ELNS1_3gpuE6ELNS1_3repE0EEENS1_30default_config_static_selectorELNS0_4arch9wavefront6targetE0EEEvS13_
    .private_segment_fixed_size: 0
    .sgpr_count:     0
    .sgpr_spill_count: 0
    .symbol:         _ZN7rocprim17ROCPRIM_400000_NS6detail17trampoline_kernelINS0_13select_configILj256ELj13ELNS0_17block_load_methodE3ELS4_3ELS4_3ELNS0_20block_scan_algorithmE0ELj4294967295EEENS1_25partition_config_selectorILNS1_17partition_subalgoE4EjNS0_10empty_typeEbEEZZNS1_14partition_implILS8_4ELb0ES6_15HIP_vector_typeIjLj2EENS0_17counting_iteratorIjlEEPS9_SG_NS0_5tupleIJPjSI_NS0_16reverse_iteratorISI_EEEEENSH_IJSG_SG_SG_EEES9_SI_JZNS1_25segmented_radix_sort_implINS0_14default_configELb0EPK6__halfPSP_PKlPlN2at6native12_GLOBAL__N_18offset_tEEE10hipError_tPvRmT1_PNSt15iterator_traitsIS13_E10value_typeET2_T3_PNS14_IS19_E10value_typeET4_jRbjT5_S1F_jjP12ihipStream_tbEUljE_ZNSN_ISO_Lb0ESR_SS_SU_SV_SZ_EES10_S11_S12_S13_S17_S18_S19_S1C_S1D_jS1E_jS1F_S1F_jjS1H_bEUljE0_EEES10_S11_S12_S19_S1D_S1F_T6_T7_T9_mT8_S1H_bDpT10_ENKUlT_T0_E_clISt17integral_constantIbLb0EES1V_EEDaS1Q_S1R_EUlS1Q_E_NS1_11comp_targetILNS1_3genE2ELNS1_11target_archE906ELNS1_3gpuE6ELNS1_3repE0EEENS1_30default_config_static_selectorELNS0_4arch9wavefront6targetE0EEEvS13_.kd
    .uniform_work_group_size: 1
    .uses_dynamic_stack: false
    .vgpr_count:     0
    .vgpr_spill_count: 0
    .wavefront_size: 32
    .workgroup_processor_mode: 1
  - .args:
      - .offset:         0
        .size:           176
        .value_kind:     by_value
    .group_segment_fixed_size: 13328
    .kernarg_segment_align: 8
    .kernarg_segment_size: 176
    .language:       OpenCL C
    .language_version:
      - 2
      - 0
    .max_flat_workgroup_size: 256
    .name:           _ZN7rocprim17ROCPRIM_400000_NS6detail17trampoline_kernelINS0_13select_configILj256ELj13ELNS0_17block_load_methodE3ELS4_3ELS4_3ELNS0_20block_scan_algorithmE0ELj4294967295EEENS1_25partition_config_selectorILNS1_17partition_subalgoE4EjNS0_10empty_typeEbEEZZNS1_14partition_implILS8_4ELb0ES6_15HIP_vector_typeIjLj2EENS0_17counting_iteratorIjlEEPS9_SG_NS0_5tupleIJPjSI_NS0_16reverse_iteratorISI_EEEEENSH_IJSG_SG_SG_EEES9_SI_JZNS1_25segmented_radix_sort_implINS0_14default_configELb0EPK6__halfPSP_PKlPlN2at6native12_GLOBAL__N_18offset_tEEE10hipError_tPvRmT1_PNSt15iterator_traitsIS13_E10value_typeET2_T3_PNS14_IS19_E10value_typeET4_jRbjT5_S1F_jjP12ihipStream_tbEUljE_ZNSN_ISO_Lb0ESR_SS_SU_SV_SZ_EES10_S11_S12_S13_S17_S18_S19_S1C_S1D_jS1E_jS1F_S1F_jjS1H_bEUljE0_EEES10_S11_S12_S19_S1D_S1F_T6_T7_T9_mT8_S1H_bDpT10_ENKUlT_T0_E_clISt17integral_constantIbLb0EES1V_EEDaS1Q_S1R_EUlS1Q_E_NS1_11comp_targetILNS1_3genE10ELNS1_11target_archE1200ELNS1_3gpuE4ELNS1_3repE0EEENS1_30default_config_static_selectorELNS0_4arch9wavefront6targetE0EEEvS13_
    .private_segment_fixed_size: 0
    .sgpr_count:     60
    .sgpr_spill_count: 0
    .symbol:         _ZN7rocprim17ROCPRIM_400000_NS6detail17trampoline_kernelINS0_13select_configILj256ELj13ELNS0_17block_load_methodE3ELS4_3ELS4_3ELNS0_20block_scan_algorithmE0ELj4294967295EEENS1_25partition_config_selectorILNS1_17partition_subalgoE4EjNS0_10empty_typeEbEEZZNS1_14partition_implILS8_4ELb0ES6_15HIP_vector_typeIjLj2EENS0_17counting_iteratorIjlEEPS9_SG_NS0_5tupleIJPjSI_NS0_16reverse_iteratorISI_EEEEENSH_IJSG_SG_SG_EEES9_SI_JZNS1_25segmented_radix_sort_implINS0_14default_configELb0EPK6__halfPSP_PKlPlN2at6native12_GLOBAL__N_18offset_tEEE10hipError_tPvRmT1_PNSt15iterator_traitsIS13_E10value_typeET2_T3_PNS14_IS19_E10value_typeET4_jRbjT5_S1F_jjP12ihipStream_tbEUljE_ZNSN_ISO_Lb0ESR_SS_SU_SV_SZ_EES10_S11_S12_S13_S17_S18_S19_S1C_S1D_jS1E_jS1F_S1F_jjS1H_bEUljE0_EEES10_S11_S12_S19_S1D_S1F_T6_T7_T9_mT8_S1H_bDpT10_ENKUlT_T0_E_clISt17integral_constantIbLb0EES1V_EEDaS1Q_S1R_EUlS1Q_E_NS1_11comp_targetILNS1_3genE10ELNS1_11target_archE1200ELNS1_3gpuE4ELNS1_3repE0EEENS1_30default_config_static_selectorELNS0_4arch9wavefront6targetE0EEEvS13_.kd
    .uniform_work_group_size: 1
    .uses_dynamic_stack: false
    .vgpr_count:     93
    .vgpr_spill_count: 0
    .wavefront_size: 32
    .workgroup_processor_mode: 1
  - .args:
      - .offset:         0
        .size:           176
        .value_kind:     by_value
    .group_segment_fixed_size: 0
    .kernarg_segment_align: 8
    .kernarg_segment_size: 176
    .language:       OpenCL C
    .language_version:
      - 2
      - 0
    .max_flat_workgroup_size: 256
    .name:           _ZN7rocprim17ROCPRIM_400000_NS6detail17trampoline_kernelINS0_13select_configILj256ELj13ELNS0_17block_load_methodE3ELS4_3ELS4_3ELNS0_20block_scan_algorithmE0ELj4294967295EEENS1_25partition_config_selectorILNS1_17partition_subalgoE4EjNS0_10empty_typeEbEEZZNS1_14partition_implILS8_4ELb0ES6_15HIP_vector_typeIjLj2EENS0_17counting_iteratorIjlEEPS9_SG_NS0_5tupleIJPjSI_NS0_16reverse_iteratorISI_EEEEENSH_IJSG_SG_SG_EEES9_SI_JZNS1_25segmented_radix_sort_implINS0_14default_configELb0EPK6__halfPSP_PKlPlN2at6native12_GLOBAL__N_18offset_tEEE10hipError_tPvRmT1_PNSt15iterator_traitsIS13_E10value_typeET2_T3_PNS14_IS19_E10value_typeET4_jRbjT5_S1F_jjP12ihipStream_tbEUljE_ZNSN_ISO_Lb0ESR_SS_SU_SV_SZ_EES10_S11_S12_S13_S17_S18_S19_S1C_S1D_jS1E_jS1F_S1F_jjS1H_bEUljE0_EEES10_S11_S12_S19_S1D_S1F_T6_T7_T9_mT8_S1H_bDpT10_ENKUlT_T0_E_clISt17integral_constantIbLb0EES1V_EEDaS1Q_S1R_EUlS1Q_E_NS1_11comp_targetILNS1_3genE9ELNS1_11target_archE1100ELNS1_3gpuE3ELNS1_3repE0EEENS1_30default_config_static_selectorELNS0_4arch9wavefront6targetE0EEEvS13_
    .private_segment_fixed_size: 0
    .sgpr_count:     0
    .sgpr_spill_count: 0
    .symbol:         _ZN7rocprim17ROCPRIM_400000_NS6detail17trampoline_kernelINS0_13select_configILj256ELj13ELNS0_17block_load_methodE3ELS4_3ELS4_3ELNS0_20block_scan_algorithmE0ELj4294967295EEENS1_25partition_config_selectorILNS1_17partition_subalgoE4EjNS0_10empty_typeEbEEZZNS1_14partition_implILS8_4ELb0ES6_15HIP_vector_typeIjLj2EENS0_17counting_iteratorIjlEEPS9_SG_NS0_5tupleIJPjSI_NS0_16reverse_iteratorISI_EEEEENSH_IJSG_SG_SG_EEES9_SI_JZNS1_25segmented_radix_sort_implINS0_14default_configELb0EPK6__halfPSP_PKlPlN2at6native12_GLOBAL__N_18offset_tEEE10hipError_tPvRmT1_PNSt15iterator_traitsIS13_E10value_typeET2_T3_PNS14_IS19_E10value_typeET4_jRbjT5_S1F_jjP12ihipStream_tbEUljE_ZNSN_ISO_Lb0ESR_SS_SU_SV_SZ_EES10_S11_S12_S13_S17_S18_S19_S1C_S1D_jS1E_jS1F_S1F_jjS1H_bEUljE0_EEES10_S11_S12_S19_S1D_S1F_T6_T7_T9_mT8_S1H_bDpT10_ENKUlT_T0_E_clISt17integral_constantIbLb0EES1V_EEDaS1Q_S1R_EUlS1Q_E_NS1_11comp_targetILNS1_3genE9ELNS1_11target_archE1100ELNS1_3gpuE3ELNS1_3repE0EEENS1_30default_config_static_selectorELNS0_4arch9wavefront6targetE0EEEvS13_.kd
    .uniform_work_group_size: 1
    .uses_dynamic_stack: false
    .vgpr_count:     0
    .vgpr_spill_count: 0
    .wavefront_size: 32
    .workgroup_processor_mode: 1
  - .args:
      - .offset:         0
        .size:           176
        .value_kind:     by_value
    .group_segment_fixed_size: 0
    .kernarg_segment_align: 8
    .kernarg_segment_size: 176
    .language:       OpenCL C
    .language_version:
      - 2
      - 0
    .max_flat_workgroup_size: 256
    .name:           _ZN7rocprim17ROCPRIM_400000_NS6detail17trampoline_kernelINS0_13select_configILj256ELj13ELNS0_17block_load_methodE3ELS4_3ELS4_3ELNS0_20block_scan_algorithmE0ELj4294967295EEENS1_25partition_config_selectorILNS1_17partition_subalgoE4EjNS0_10empty_typeEbEEZZNS1_14partition_implILS8_4ELb0ES6_15HIP_vector_typeIjLj2EENS0_17counting_iteratorIjlEEPS9_SG_NS0_5tupleIJPjSI_NS0_16reverse_iteratorISI_EEEEENSH_IJSG_SG_SG_EEES9_SI_JZNS1_25segmented_radix_sort_implINS0_14default_configELb0EPK6__halfPSP_PKlPlN2at6native12_GLOBAL__N_18offset_tEEE10hipError_tPvRmT1_PNSt15iterator_traitsIS13_E10value_typeET2_T3_PNS14_IS19_E10value_typeET4_jRbjT5_S1F_jjP12ihipStream_tbEUljE_ZNSN_ISO_Lb0ESR_SS_SU_SV_SZ_EES10_S11_S12_S13_S17_S18_S19_S1C_S1D_jS1E_jS1F_S1F_jjS1H_bEUljE0_EEES10_S11_S12_S19_S1D_S1F_T6_T7_T9_mT8_S1H_bDpT10_ENKUlT_T0_E_clISt17integral_constantIbLb0EES1V_EEDaS1Q_S1R_EUlS1Q_E_NS1_11comp_targetILNS1_3genE8ELNS1_11target_archE1030ELNS1_3gpuE2ELNS1_3repE0EEENS1_30default_config_static_selectorELNS0_4arch9wavefront6targetE0EEEvS13_
    .private_segment_fixed_size: 0
    .sgpr_count:     0
    .sgpr_spill_count: 0
    .symbol:         _ZN7rocprim17ROCPRIM_400000_NS6detail17trampoline_kernelINS0_13select_configILj256ELj13ELNS0_17block_load_methodE3ELS4_3ELS4_3ELNS0_20block_scan_algorithmE0ELj4294967295EEENS1_25partition_config_selectorILNS1_17partition_subalgoE4EjNS0_10empty_typeEbEEZZNS1_14partition_implILS8_4ELb0ES6_15HIP_vector_typeIjLj2EENS0_17counting_iteratorIjlEEPS9_SG_NS0_5tupleIJPjSI_NS0_16reverse_iteratorISI_EEEEENSH_IJSG_SG_SG_EEES9_SI_JZNS1_25segmented_radix_sort_implINS0_14default_configELb0EPK6__halfPSP_PKlPlN2at6native12_GLOBAL__N_18offset_tEEE10hipError_tPvRmT1_PNSt15iterator_traitsIS13_E10value_typeET2_T3_PNS14_IS19_E10value_typeET4_jRbjT5_S1F_jjP12ihipStream_tbEUljE_ZNSN_ISO_Lb0ESR_SS_SU_SV_SZ_EES10_S11_S12_S13_S17_S18_S19_S1C_S1D_jS1E_jS1F_S1F_jjS1H_bEUljE0_EEES10_S11_S12_S19_S1D_S1F_T6_T7_T9_mT8_S1H_bDpT10_ENKUlT_T0_E_clISt17integral_constantIbLb0EES1V_EEDaS1Q_S1R_EUlS1Q_E_NS1_11comp_targetILNS1_3genE8ELNS1_11target_archE1030ELNS1_3gpuE2ELNS1_3repE0EEENS1_30default_config_static_selectorELNS0_4arch9wavefront6targetE0EEEvS13_.kd
    .uniform_work_group_size: 1
    .uses_dynamic_stack: false
    .vgpr_count:     0
    .vgpr_spill_count: 0
    .wavefront_size: 32
    .workgroup_processor_mode: 1
  - .args:
      - .offset:         0
        .size:           184
        .value_kind:     by_value
    .group_segment_fixed_size: 0
    .kernarg_segment_align: 8
    .kernarg_segment_size: 184
    .language:       OpenCL C
    .language_version:
      - 2
      - 0
    .max_flat_workgroup_size: 256
    .name:           _ZN7rocprim17ROCPRIM_400000_NS6detail17trampoline_kernelINS0_13select_configILj256ELj13ELNS0_17block_load_methodE3ELS4_3ELS4_3ELNS0_20block_scan_algorithmE0ELj4294967295EEENS1_25partition_config_selectorILNS1_17partition_subalgoE4EjNS0_10empty_typeEbEEZZNS1_14partition_implILS8_4ELb0ES6_15HIP_vector_typeIjLj2EENS0_17counting_iteratorIjlEEPS9_SG_NS0_5tupleIJPjSI_NS0_16reverse_iteratorISI_EEEEENSH_IJSG_SG_SG_EEES9_SI_JZNS1_25segmented_radix_sort_implINS0_14default_configELb0EPK6__halfPSP_PKlPlN2at6native12_GLOBAL__N_18offset_tEEE10hipError_tPvRmT1_PNSt15iterator_traitsIS13_E10value_typeET2_T3_PNS14_IS19_E10value_typeET4_jRbjT5_S1F_jjP12ihipStream_tbEUljE_ZNSN_ISO_Lb0ESR_SS_SU_SV_SZ_EES10_S11_S12_S13_S17_S18_S19_S1C_S1D_jS1E_jS1F_S1F_jjS1H_bEUljE0_EEES10_S11_S12_S19_S1D_S1F_T6_T7_T9_mT8_S1H_bDpT10_ENKUlT_T0_E_clISt17integral_constantIbLb1EES1V_EEDaS1Q_S1R_EUlS1Q_E_NS1_11comp_targetILNS1_3genE0ELNS1_11target_archE4294967295ELNS1_3gpuE0ELNS1_3repE0EEENS1_30default_config_static_selectorELNS0_4arch9wavefront6targetE0EEEvS13_
    .private_segment_fixed_size: 0
    .sgpr_count:     0
    .sgpr_spill_count: 0
    .symbol:         _ZN7rocprim17ROCPRIM_400000_NS6detail17trampoline_kernelINS0_13select_configILj256ELj13ELNS0_17block_load_methodE3ELS4_3ELS4_3ELNS0_20block_scan_algorithmE0ELj4294967295EEENS1_25partition_config_selectorILNS1_17partition_subalgoE4EjNS0_10empty_typeEbEEZZNS1_14partition_implILS8_4ELb0ES6_15HIP_vector_typeIjLj2EENS0_17counting_iteratorIjlEEPS9_SG_NS0_5tupleIJPjSI_NS0_16reverse_iteratorISI_EEEEENSH_IJSG_SG_SG_EEES9_SI_JZNS1_25segmented_radix_sort_implINS0_14default_configELb0EPK6__halfPSP_PKlPlN2at6native12_GLOBAL__N_18offset_tEEE10hipError_tPvRmT1_PNSt15iterator_traitsIS13_E10value_typeET2_T3_PNS14_IS19_E10value_typeET4_jRbjT5_S1F_jjP12ihipStream_tbEUljE_ZNSN_ISO_Lb0ESR_SS_SU_SV_SZ_EES10_S11_S12_S13_S17_S18_S19_S1C_S1D_jS1E_jS1F_S1F_jjS1H_bEUljE0_EEES10_S11_S12_S19_S1D_S1F_T6_T7_T9_mT8_S1H_bDpT10_ENKUlT_T0_E_clISt17integral_constantIbLb1EES1V_EEDaS1Q_S1R_EUlS1Q_E_NS1_11comp_targetILNS1_3genE0ELNS1_11target_archE4294967295ELNS1_3gpuE0ELNS1_3repE0EEENS1_30default_config_static_selectorELNS0_4arch9wavefront6targetE0EEEvS13_.kd
    .uniform_work_group_size: 1
    .uses_dynamic_stack: false
    .vgpr_count:     0
    .vgpr_spill_count: 0
    .wavefront_size: 32
    .workgroup_processor_mode: 1
  - .args:
      - .offset:         0
        .size:           184
        .value_kind:     by_value
    .group_segment_fixed_size: 0
    .kernarg_segment_align: 8
    .kernarg_segment_size: 184
    .language:       OpenCL C
    .language_version:
      - 2
      - 0
    .max_flat_workgroup_size: 256
    .name:           _ZN7rocprim17ROCPRIM_400000_NS6detail17trampoline_kernelINS0_13select_configILj256ELj13ELNS0_17block_load_methodE3ELS4_3ELS4_3ELNS0_20block_scan_algorithmE0ELj4294967295EEENS1_25partition_config_selectorILNS1_17partition_subalgoE4EjNS0_10empty_typeEbEEZZNS1_14partition_implILS8_4ELb0ES6_15HIP_vector_typeIjLj2EENS0_17counting_iteratorIjlEEPS9_SG_NS0_5tupleIJPjSI_NS0_16reverse_iteratorISI_EEEEENSH_IJSG_SG_SG_EEES9_SI_JZNS1_25segmented_radix_sort_implINS0_14default_configELb0EPK6__halfPSP_PKlPlN2at6native12_GLOBAL__N_18offset_tEEE10hipError_tPvRmT1_PNSt15iterator_traitsIS13_E10value_typeET2_T3_PNS14_IS19_E10value_typeET4_jRbjT5_S1F_jjP12ihipStream_tbEUljE_ZNSN_ISO_Lb0ESR_SS_SU_SV_SZ_EES10_S11_S12_S13_S17_S18_S19_S1C_S1D_jS1E_jS1F_S1F_jjS1H_bEUljE0_EEES10_S11_S12_S19_S1D_S1F_T6_T7_T9_mT8_S1H_bDpT10_ENKUlT_T0_E_clISt17integral_constantIbLb1EES1V_EEDaS1Q_S1R_EUlS1Q_E_NS1_11comp_targetILNS1_3genE5ELNS1_11target_archE942ELNS1_3gpuE9ELNS1_3repE0EEENS1_30default_config_static_selectorELNS0_4arch9wavefront6targetE0EEEvS13_
    .private_segment_fixed_size: 0
    .sgpr_count:     0
    .sgpr_spill_count: 0
    .symbol:         _ZN7rocprim17ROCPRIM_400000_NS6detail17trampoline_kernelINS0_13select_configILj256ELj13ELNS0_17block_load_methodE3ELS4_3ELS4_3ELNS0_20block_scan_algorithmE0ELj4294967295EEENS1_25partition_config_selectorILNS1_17partition_subalgoE4EjNS0_10empty_typeEbEEZZNS1_14partition_implILS8_4ELb0ES6_15HIP_vector_typeIjLj2EENS0_17counting_iteratorIjlEEPS9_SG_NS0_5tupleIJPjSI_NS0_16reverse_iteratorISI_EEEEENSH_IJSG_SG_SG_EEES9_SI_JZNS1_25segmented_radix_sort_implINS0_14default_configELb0EPK6__halfPSP_PKlPlN2at6native12_GLOBAL__N_18offset_tEEE10hipError_tPvRmT1_PNSt15iterator_traitsIS13_E10value_typeET2_T3_PNS14_IS19_E10value_typeET4_jRbjT5_S1F_jjP12ihipStream_tbEUljE_ZNSN_ISO_Lb0ESR_SS_SU_SV_SZ_EES10_S11_S12_S13_S17_S18_S19_S1C_S1D_jS1E_jS1F_S1F_jjS1H_bEUljE0_EEES10_S11_S12_S19_S1D_S1F_T6_T7_T9_mT8_S1H_bDpT10_ENKUlT_T0_E_clISt17integral_constantIbLb1EES1V_EEDaS1Q_S1R_EUlS1Q_E_NS1_11comp_targetILNS1_3genE5ELNS1_11target_archE942ELNS1_3gpuE9ELNS1_3repE0EEENS1_30default_config_static_selectorELNS0_4arch9wavefront6targetE0EEEvS13_.kd
    .uniform_work_group_size: 1
    .uses_dynamic_stack: false
    .vgpr_count:     0
    .vgpr_spill_count: 0
    .wavefront_size: 32
    .workgroup_processor_mode: 1
  - .args:
      - .offset:         0
        .size:           184
        .value_kind:     by_value
    .group_segment_fixed_size: 0
    .kernarg_segment_align: 8
    .kernarg_segment_size: 184
    .language:       OpenCL C
    .language_version:
      - 2
      - 0
    .max_flat_workgroup_size: 256
    .name:           _ZN7rocprim17ROCPRIM_400000_NS6detail17trampoline_kernelINS0_13select_configILj256ELj13ELNS0_17block_load_methodE3ELS4_3ELS4_3ELNS0_20block_scan_algorithmE0ELj4294967295EEENS1_25partition_config_selectorILNS1_17partition_subalgoE4EjNS0_10empty_typeEbEEZZNS1_14partition_implILS8_4ELb0ES6_15HIP_vector_typeIjLj2EENS0_17counting_iteratorIjlEEPS9_SG_NS0_5tupleIJPjSI_NS0_16reverse_iteratorISI_EEEEENSH_IJSG_SG_SG_EEES9_SI_JZNS1_25segmented_radix_sort_implINS0_14default_configELb0EPK6__halfPSP_PKlPlN2at6native12_GLOBAL__N_18offset_tEEE10hipError_tPvRmT1_PNSt15iterator_traitsIS13_E10value_typeET2_T3_PNS14_IS19_E10value_typeET4_jRbjT5_S1F_jjP12ihipStream_tbEUljE_ZNSN_ISO_Lb0ESR_SS_SU_SV_SZ_EES10_S11_S12_S13_S17_S18_S19_S1C_S1D_jS1E_jS1F_S1F_jjS1H_bEUljE0_EEES10_S11_S12_S19_S1D_S1F_T6_T7_T9_mT8_S1H_bDpT10_ENKUlT_T0_E_clISt17integral_constantIbLb1EES1V_EEDaS1Q_S1R_EUlS1Q_E_NS1_11comp_targetILNS1_3genE4ELNS1_11target_archE910ELNS1_3gpuE8ELNS1_3repE0EEENS1_30default_config_static_selectorELNS0_4arch9wavefront6targetE0EEEvS13_
    .private_segment_fixed_size: 0
    .sgpr_count:     0
    .sgpr_spill_count: 0
    .symbol:         _ZN7rocprim17ROCPRIM_400000_NS6detail17trampoline_kernelINS0_13select_configILj256ELj13ELNS0_17block_load_methodE3ELS4_3ELS4_3ELNS0_20block_scan_algorithmE0ELj4294967295EEENS1_25partition_config_selectorILNS1_17partition_subalgoE4EjNS0_10empty_typeEbEEZZNS1_14partition_implILS8_4ELb0ES6_15HIP_vector_typeIjLj2EENS0_17counting_iteratorIjlEEPS9_SG_NS0_5tupleIJPjSI_NS0_16reverse_iteratorISI_EEEEENSH_IJSG_SG_SG_EEES9_SI_JZNS1_25segmented_radix_sort_implINS0_14default_configELb0EPK6__halfPSP_PKlPlN2at6native12_GLOBAL__N_18offset_tEEE10hipError_tPvRmT1_PNSt15iterator_traitsIS13_E10value_typeET2_T3_PNS14_IS19_E10value_typeET4_jRbjT5_S1F_jjP12ihipStream_tbEUljE_ZNSN_ISO_Lb0ESR_SS_SU_SV_SZ_EES10_S11_S12_S13_S17_S18_S19_S1C_S1D_jS1E_jS1F_S1F_jjS1H_bEUljE0_EEES10_S11_S12_S19_S1D_S1F_T6_T7_T9_mT8_S1H_bDpT10_ENKUlT_T0_E_clISt17integral_constantIbLb1EES1V_EEDaS1Q_S1R_EUlS1Q_E_NS1_11comp_targetILNS1_3genE4ELNS1_11target_archE910ELNS1_3gpuE8ELNS1_3repE0EEENS1_30default_config_static_selectorELNS0_4arch9wavefront6targetE0EEEvS13_.kd
    .uniform_work_group_size: 1
    .uses_dynamic_stack: false
    .vgpr_count:     0
    .vgpr_spill_count: 0
    .wavefront_size: 32
    .workgroup_processor_mode: 1
  - .args:
      - .offset:         0
        .size:           184
        .value_kind:     by_value
    .group_segment_fixed_size: 0
    .kernarg_segment_align: 8
    .kernarg_segment_size: 184
    .language:       OpenCL C
    .language_version:
      - 2
      - 0
    .max_flat_workgroup_size: 256
    .name:           _ZN7rocprim17ROCPRIM_400000_NS6detail17trampoline_kernelINS0_13select_configILj256ELj13ELNS0_17block_load_methodE3ELS4_3ELS4_3ELNS0_20block_scan_algorithmE0ELj4294967295EEENS1_25partition_config_selectorILNS1_17partition_subalgoE4EjNS0_10empty_typeEbEEZZNS1_14partition_implILS8_4ELb0ES6_15HIP_vector_typeIjLj2EENS0_17counting_iteratorIjlEEPS9_SG_NS0_5tupleIJPjSI_NS0_16reverse_iteratorISI_EEEEENSH_IJSG_SG_SG_EEES9_SI_JZNS1_25segmented_radix_sort_implINS0_14default_configELb0EPK6__halfPSP_PKlPlN2at6native12_GLOBAL__N_18offset_tEEE10hipError_tPvRmT1_PNSt15iterator_traitsIS13_E10value_typeET2_T3_PNS14_IS19_E10value_typeET4_jRbjT5_S1F_jjP12ihipStream_tbEUljE_ZNSN_ISO_Lb0ESR_SS_SU_SV_SZ_EES10_S11_S12_S13_S17_S18_S19_S1C_S1D_jS1E_jS1F_S1F_jjS1H_bEUljE0_EEES10_S11_S12_S19_S1D_S1F_T6_T7_T9_mT8_S1H_bDpT10_ENKUlT_T0_E_clISt17integral_constantIbLb1EES1V_EEDaS1Q_S1R_EUlS1Q_E_NS1_11comp_targetILNS1_3genE3ELNS1_11target_archE908ELNS1_3gpuE7ELNS1_3repE0EEENS1_30default_config_static_selectorELNS0_4arch9wavefront6targetE0EEEvS13_
    .private_segment_fixed_size: 0
    .sgpr_count:     0
    .sgpr_spill_count: 0
    .symbol:         _ZN7rocprim17ROCPRIM_400000_NS6detail17trampoline_kernelINS0_13select_configILj256ELj13ELNS0_17block_load_methodE3ELS4_3ELS4_3ELNS0_20block_scan_algorithmE0ELj4294967295EEENS1_25partition_config_selectorILNS1_17partition_subalgoE4EjNS0_10empty_typeEbEEZZNS1_14partition_implILS8_4ELb0ES6_15HIP_vector_typeIjLj2EENS0_17counting_iteratorIjlEEPS9_SG_NS0_5tupleIJPjSI_NS0_16reverse_iteratorISI_EEEEENSH_IJSG_SG_SG_EEES9_SI_JZNS1_25segmented_radix_sort_implINS0_14default_configELb0EPK6__halfPSP_PKlPlN2at6native12_GLOBAL__N_18offset_tEEE10hipError_tPvRmT1_PNSt15iterator_traitsIS13_E10value_typeET2_T3_PNS14_IS19_E10value_typeET4_jRbjT5_S1F_jjP12ihipStream_tbEUljE_ZNSN_ISO_Lb0ESR_SS_SU_SV_SZ_EES10_S11_S12_S13_S17_S18_S19_S1C_S1D_jS1E_jS1F_S1F_jjS1H_bEUljE0_EEES10_S11_S12_S19_S1D_S1F_T6_T7_T9_mT8_S1H_bDpT10_ENKUlT_T0_E_clISt17integral_constantIbLb1EES1V_EEDaS1Q_S1R_EUlS1Q_E_NS1_11comp_targetILNS1_3genE3ELNS1_11target_archE908ELNS1_3gpuE7ELNS1_3repE0EEENS1_30default_config_static_selectorELNS0_4arch9wavefront6targetE0EEEvS13_.kd
    .uniform_work_group_size: 1
    .uses_dynamic_stack: false
    .vgpr_count:     0
    .vgpr_spill_count: 0
    .wavefront_size: 32
    .workgroup_processor_mode: 1
  - .args:
      - .offset:         0
        .size:           184
        .value_kind:     by_value
    .group_segment_fixed_size: 0
    .kernarg_segment_align: 8
    .kernarg_segment_size: 184
    .language:       OpenCL C
    .language_version:
      - 2
      - 0
    .max_flat_workgroup_size: 256
    .name:           _ZN7rocprim17ROCPRIM_400000_NS6detail17trampoline_kernelINS0_13select_configILj256ELj13ELNS0_17block_load_methodE3ELS4_3ELS4_3ELNS0_20block_scan_algorithmE0ELj4294967295EEENS1_25partition_config_selectorILNS1_17partition_subalgoE4EjNS0_10empty_typeEbEEZZNS1_14partition_implILS8_4ELb0ES6_15HIP_vector_typeIjLj2EENS0_17counting_iteratorIjlEEPS9_SG_NS0_5tupleIJPjSI_NS0_16reverse_iteratorISI_EEEEENSH_IJSG_SG_SG_EEES9_SI_JZNS1_25segmented_radix_sort_implINS0_14default_configELb0EPK6__halfPSP_PKlPlN2at6native12_GLOBAL__N_18offset_tEEE10hipError_tPvRmT1_PNSt15iterator_traitsIS13_E10value_typeET2_T3_PNS14_IS19_E10value_typeET4_jRbjT5_S1F_jjP12ihipStream_tbEUljE_ZNSN_ISO_Lb0ESR_SS_SU_SV_SZ_EES10_S11_S12_S13_S17_S18_S19_S1C_S1D_jS1E_jS1F_S1F_jjS1H_bEUljE0_EEES10_S11_S12_S19_S1D_S1F_T6_T7_T9_mT8_S1H_bDpT10_ENKUlT_T0_E_clISt17integral_constantIbLb1EES1V_EEDaS1Q_S1R_EUlS1Q_E_NS1_11comp_targetILNS1_3genE2ELNS1_11target_archE906ELNS1_3gpuE6ELNS1_3repE0EEENS1_30default_config_static_selectorELNS0_4arch9wavefront6targetE0EEEvS13_
    .private_segment_fixed_size: 0
    .sgpr_count:     0
    .sgpr_spill_count: 0
    .symbol:         _ZN7rocprim17ROCPRIM_400000_NS6detail17trampoline_kernelINS0_13select_configILj256ELj13ELNS0_17block_load_methodE3ELS4_3ELS4_3ELNS0_20block_scan_algorithmE0ELj4294967295EEENS1_25partition_config_selectorILNS1_17partition_subalgoE4EjNS0_10empty_typeEbEEZZNS1_14partition_implILS8_4ELb0ES6_15HIP_vector_typeIjLj2EENS0_17counting_iteratorIjlEEPS9_SG_NS0_5tupleIJPjSI_NS0_16reverse_iteratorISI_EEEEENSH_IJSG_SG_SG_EEES9_SI_JZNS1_25segmented_radix_sort_implINS0_14default_configELb0EPK6__halfPSP_PKlPlN2at6native12_GLOBAL__N_18offset_tEEE10hipError_tPvRmT1_PNSt15iterator_traitsIS13_E10value_typeET2_T3_PNS14_IS19_E10value_typeET4_jRbjT5_S1F_jjP12ihipStream_tbEUljE_ZNSN_ISO_Lb0ESR_SS_SU_SV_SZ_EES10_S11_S12_S13_S17_S18_S19_S1C_S1D_jS1E_jS1F_S1F_jjS1H_bEUljE0_EEES10_S11_S12_S19_S1D_S1F_T6_T7_T9_mT8_S1H_bDpT10_ENKUlT_T0_E_clISt17integral_constantIbLb1EES1V_EEDaS1Q_S1R_EUlS1Q_E_NS1_11comp_targetILNS1_3genE2ELNS1_11target_archE906ELNS1_3gpuE6ELNS1_3repE0EEENS1_30default_config_static_selectorELNS0_4arch9wavefront6targetE0EEEvS13_.kd
    .uniform_work_group_size: 1
    .uses_dynamic_stack: false
    .vgpr_count:     0
    .vgpr_spill_count: 0
    .wavefront_size: 32
    .workgroup_processor_mode: 1
  - .args:
      - .offset:         0
        .size:           184
        .value_kind:     by_value
    .group_segment_fixed_size: 0
    .kernarg_segment_align: 8
    .kernarg_segment_size: 184
    .language:       OpenCL C
    .language_version:
      - 2
      - 0
    .max_flat_workgroup_size: 256
    .name:           _ZN7rocprim17ROCPRIM_400000_NS6detail17trampoline_kernelINS0_13select_configILj256ELj13ELNS0_17block_load_methodE3ELS4_3ELS4_3ELNS0_20block_scan_algorithmE0ELj4294967295EEENS1_25partition_config_selectorILNS1_17partition_subalgoE4EjNS0_10empty_typeEbEEZZNS1_14partition_implILS8_4ELb0ES6_15HIP_vector_typeIjLj2EENS0_17counting_iteratorIjlEEPS9_SG_NS0_5tupleIJPjSI_NS0_16reverse_iteratorISI_EEEEENSH_IJSG_SG_SG_EEES9_SI_JZNS1_25segmented_radix_sort_implINS0_14default_configELb0EPK6__halfPSP_PKlPlN2at6native12_GLOBAL__N_18offset_tEEE10hipError_tPvRmT1_PNSt15iterator_traitsIS13_E10value_typeET2_T3_PNS14_IS19_E10value_typeET4_jRbjT5_S1F_jjP12ihipStream_tbEUljE_ZNSN_ISO_Lb0ESR_SS_SU_SV_SZ_EES10_S11_S12_S13_S17_S18_S19_S1C_S1D_jS1E_jS1F_S1F_jjS1H_bEUljE0_EEES10_S11_S12_S19_S1D_S1F_T6_T7_T9_mT8_S1H_bDpT10_ENKUlT_T0_E_clISt17integral_constantIbLb1EES1V_EEDaS1Q_S1R_EUlS1Q_E_NS1_11comp_targetILNS1_3genE10ELNS1_11target_archE1200ELNS1_3gpuE4ELNS1_3repE0EEENS1_30default_config_static_selectorELNS0_4arch9wavefront6targetE0EEEvS13_
    .private_segment_fixed_size: 0
    .sgpr_count:     0
    .sgpr_spill_count: 0
    .symbol:         _ZN7rocprim17ROCPRIM_400000_NS6detail17trampoline_kernelINS0_13select_configILj256ELj13ELNS0_17block_load_methodE3ELS4_3ELS4_3ELNS0_20block_scan_algorithmE0ELj4294967295EEENS1_25partition_config_selectorILNS1_17partition_subalgoE4EjNS0_10empty_typeEbEEZZNS1_14partition_implILS8_4ELb0ES6_15HIP_vector_typeIjLj2EENS0_17counting_iteratorIjlEEPS9_SG_NS0_5tupleIJPjSI_NS0_16reverse_iteratorISI_EEEEENSH_IJSG_SG_SG_EEES9_SI_JZNS1_25segmented_radix_sort_implINS0_14default_configELb0EPK6__halfPSP_PKlPlN2at6native12_GLOBAL__N_18offset_tEEE10hipError_tPvRmT1_PNSt15iterator_traitsIS13_E10value_typeET2_T3_PNS14_IS19_E10value_typeET4_jRbjT5_S1F_jjP12ihipStream_tbEUljE_ZNSN_ISO_Lb0ESR_SS_SU_SV_SZ_EES10_S11_S12_S13_S17_S18_S19_S1C_S1D_jS1E_jS1F_S1F_jjS1H_bEUljE0_EEES10_S11_S12_S19_S1D_S1F_T6_T7_T9_mT8_S1H_bDpT10_ENKUlT_T0_E_clISt17integral_constantIbLb1EES1V_EEDaS1Q_S1R_EUlS1Q_E_NS1_11comp_targetILNS1_3genE10ELNS1_11target_archE1200ELNS1_3gpuE4ELNS1_3repE0EEENS1_30default_config_static_selectorELNS0_4arch9wavefront6targetE0EEEvS13_.kd
    .uniform_work_group_size: 1
    .uses_dynamic_stack: false
    .vgpr_count:     0
    .vgpr_spill_count: 0
    .wavefront_size: 32
    .workgroup_processor_mode: 1
  - .args:
      - .offset:         0
        .size:           184
        .value_kind:     by_value
    .group_segment_fixed_size: 0
    .kernarg_segment_align: 8
    .kernarg_segment_size: 184
    .language:       OpenCL C
    .language_version:
      - 2
      - 0
    .max_flat_workgroup_size: 256
    .name:           _ZN7rocprim17ROCPRIM_400000_NS6detail17trampoline_kernelINS0_13select_configILj256ELj13ELNS0_17block_load_methodE3ELS4_3ELS4_3ELNS0_20block_scan_algorithmE0ELj4294967295EEENS1_25partition_config_selectorILNS1_17partition_subalgoE4EjNS0_10empty_typeEbEEZZNS1_14partition_implILS8_4ELb0ES6_15HIP_vector_typeIjLj2EENS0_17counting_iteratorIjlEEPS9_SG_NS0_5tupleIJPjSI_NS0_16reverse_iteratorISI_EEEEENSH_IJSG_SG_SG_EEES9_SI_JZNS1_25segmented_radix_sort_implINS0_14default_configELb0EPK6__halfPSP_PKlPlN2at6native12_GLOBAL__N_18offset_tEEE10hipError_tPvRmT1_PNSt15iterator_traitsIS13_E10value_typeET2_T3_PNS14_IS19_E10value_typeET4_jRbjT5_S1F_jjP12ihipStream_tbEUljE_ZNSN_ISO_Lb0ESR_SS_SU_SV_SZ_EES10_S11_S12_S13_S17_S18_S19_S1C_S1D_jS1E_jS1F_S1F_jjS1H_bEUljE0_EEES10_S11_S12_S19_S1D_S1F_T6_T7_T9_mT8_S1H_bDpT10_ENKUlT_T0_E_clISt17integral_constantIbLb1EES1V_EEDaS1Q_S1R_EUlS1Q_E_NS1_11comp_targetILNS1_3genE9ELNS1_11target_archE1100ELNS1_3gpuE3ELNS1_3repE0EEENS1_30default_config_static_selectorELNS0_4arch9wavefront6targetE0EEEvS13_
    .private_segment_fixed_size: 0
    .sgpr_count:     0
    .sgpr_spill_count: 0
    .symbol:         _ZN7rocprim17ROCPRIM_400000_NS6detail17trampoline_kernelINS0_13select_configILj256ELj13ELNS0_17block_load_methodE3ELS4_3ELS4_3ELNS0_20block_scan_algorithmE0ELj4294967295EEENS1_25partition_config_selectorILNS1_17partition_subalgoE4EjNS0_10empty_typeEbEEZZNS1_14partition_implILS8_4ELb0ES6_15HIP_vector_typeIjLj2EENS0_17counting_iteratorIjlEEPS9_SG_NS0_5tupleIJPjSI_NS0_16reverse_iteratorISI_EEEEENSH_IJSG_SG_SG_EEES9_SI_JZNS1_25segmented_radix_sort_implINS0_14default_configELb0EPK6__halfPSP_PKlPlN2at6native12_GLOBAL__N_18offset_tEEE10hipError_tPvRmT1_PNSt15iterator_traitsIS13_E10value_typeET2_T3_PNS14_IS19_E10value_typeET4_jRbjT5_S1F_jjP12ihipStream_tbEUljE_ZNSN_ISO_Lb0ESR_SS_SU_SV_SZ_EES10_S11_S12_S13_S17_S18_S19_S1C_S1D_jS1E_jS1F_S1F_jjS1H_bEUljE0_EEES10_S11_S12_S19_S1D_S1F_T6_T7_T9_mT8_S1H_bDpT10_ENKUlT_T0_E_clISt17integral_constantIbLb1EES1V_EEDaS1Q_S1R_EUlS1Q_E_NS1_11comp_targetILNS1_3genE9ELNS1_11target_archE1100ELNS1_3gpuE3ELNS1_3repE0EEENS1_30default_config_static_selectorELNS0_4arch9wavefront6targetE0EEEvS13_.kd
    .uniform_work_group_size: 1
    .uses_dynamic_stack: false
    .vgpr_count:     0
    .vgpr_spill_count: 0
    .wavefront_size: 32
    .workgroup_processor_mode: 1
  - .args:
      - .offset:         0
        .size:           184
        .value_kind:     by_value
    .group_segment_fixed_size: 0
    .kernarg_segment_align: 8
    .kernarg_segment_size: 184
    .language:       OpenCL C
    .language_version:
      - 2
      - 0
    .max_flat_workgroup_size: 256
    .name:           _ZN7rocprim17ROCPRIM_400000_NS6detail17trampoline_kernelINS0_13select_configILj256ELj13ELNS0_17block_load_methodE3ELS4_3ELS4_3ELNS0_20block_scan_algorithmE0ELj4294967295EEENS1_25partition_config_selectorILNS1_17partition_subalgoE4EjNS0_10empty_typeEbEEZZNS1_14partition_implILS8_4ELb0ES6_15HIP_vector_typeIjLj2EENS0_17counting_iteratorIjlEEPS9_SG_NS0_5tupleIJPjSI_NS0_16reverse_iteratorISI_EEEEENSH_IJSG_SG_SG_EEES9_SI_JZNS1_25segmented_radix_sort_implINS0_14default_configELb0EPK6__halfPSP_PKlPlN2at6native12_GLOBAL__N_18offset_tEEE10hipError_tPvRmT1_PNSt15iterator_traitsIS13_E10value_typeET2_T3_PNS14_IS19_E10value_typeET4_jRbjT5_S1F_jjP12ihipStream_tbEUljE_ZNSN_ISO_Lb0ESR_SS_SU_SV_SZ_EES10_S11_S12_S13_S17_S18_S19_S1C_S1D_jS1E_jS1F_S1F_jjS1H_bEUljE0_EEES10_S11_S12_S19_S1D_S1F_T6_T7_T9_mT8_S1H_bDpT10_ENKUlT_T0_E_clISt17integral_constantIbLb1EES1V_EEDaS1Q_S1R_EUlS1Q_E_NS1_11comp_targetILNS1_3genE8ELNS1_11target_archE1030ELNS1_3gpuE2ELNS1_3repE0EEENS1_30default_config_static_selectorELNS0_4arch9wavefront6targetE0EEEvS13_
    .private_segment_fixed_size: 0
    .sgpr_count:     0
    .sgpr_spill_count: 0
    .symbol:         _ZN7rocprim17ROCPRIM_400000_NS6detail17trampoline_kernelINS0_13select_configILj256ELj13ELNS0_17block_load_methodE3ELS4_3ELS4_3ELNS0_20block_scan_algorithmE0ELj4294967295EEENS1_25partition_config_selectorILNS1_17partition_subalgoE4EjNS0_10empty_typeEbEEZZNS1_14partition_implILS8_4ELb0ES6_15HIP_vector_typeIjLj2EENS0_17counting_iteratorIjlEEPS9_SG_NS0_5tupleIJPjSI_NS0_16reverse_iteratorISI_EEEEENSH_IJSG_SG_SG_EEES9_SI_JZNS1_25segmented_radix_sort_implINS0_14default_configELb0EPK6__halfPSP_PKlPlN2at6native12_GLOBAL__N_18offset_tEEE10hipError_tPvRmT1_PNSt15iterator_traitsIS13_E10value_typeET2_T3_PNS14_IS19_E10value_typeET4_jRbjT5_S1F_jjP12ihipStream_tbEUljE_ZNSN_ISO_Lb0ESR_SS_SU_SV_SZ_EES10_S11_S12_S13_S17_S18_S19_S1C_S1D_jS1E_jS1F_S1F_jjS1H_bEUljE0_EEES10_S11_S12_S19_S1D_S1F_T6_T7_T9_mT8_S1H_bDpT10_ENKUlT_T0_E_clISt17integral_constantIbLb1EES1V_EEDaS1Q_S1R_EUlS1Q_E_NS1_11comp_targetILNS1_3genE8ELNS1_11target_archE1030ELNS1_3gpuE2ELNS1_3repE0EEENS1_30default_config_static_selectorELNS0_4arch9wavefront6targetE0EEEvS13_.kd
    .uniform_work_group_size: 1
    .uses_dynamic_stack: false
    .vgpr_count:     0
    .vgpr_spill_count: 0
    .wavefront_size: 32
    .workgroup_processor_mode: 1
  - .args:
      - .offset:         0
        .size:           176
        .value_kind:     by_value
    .group_segment_fixed_size: 0
    .kernarg_segment_align: 8
    .kernarg_segment_size: 176
    .language:       OpenCL C
    .language_version:
      - 2
      - 0
    .max_flat_workgroup_size: 256
    .name:           _ZN7rocprim17ROCPRIM_400000_NS6detail17trampoline_kernelINS0_13select_configILj256ELj13ELNS0_17block_load_methodE3ELS4_3ELS4_3ELNS0_20block_scan_algorithmE0ELj4294967295EEENS1_25partition_config_selectorILNS1_17partition_subalgoE4EjNS0_10empty_typeEbEEZZNS1_14partition_implILS8_4ELb0ES6_15HIP_vector_typeIjLj2EENS0_17counting_iteratorIjlEEPS9_SG_NS0_5tupleIJPjSI_NS0_16reverse_iteratorISI_EEEEENSH_IJSG_SG_SG_EEES9_SI_JZNS1_25segmented_radix_sort_implINS0_14default_configELb0EPK6__halfPSP_PKlPlN2at6native12_GLOBAL__N_18offset_tEEE10hipError_tPvRmT1_PNSt15iterator_traitsIS13_E10value_typeET2_T3_PNS14_IS19_E10value_typeET4_jRbjT5_S1F_jjP12ihipStream_tbEUljE_ZNSN_ISO_Lb0ESR_SS_SU_SV_SZ_EES10_S11_S12_S13_S17_S18_S19_S1C_S1D_jS1E_jS1F_S1F_jjS1H_bEUljE0_EEES10_S11_S12_S19_S1D_S1F_T6_T7_T9_mT8_S1H_bDpT10_ENKUlT_T0_E_clISt17integral_constantIbLb1EES1U_IbLb0EEEEDaS1Q_S1R_EUlS1Q_E_NS1_11comp_targetILNS1_3genE0ELNS1_11target_archE4294967295ELNS1_3gpuE0ELNS1_3repE0EEENS1_30default_config_static_selectorELNS0_4arch9wavefront6targetE0EEEvS13_
    .private_segment_fixed_size: 0
    .sgpr_count:     0
    .sgpr_spill_count: 0
    .symbol:         _ZN7rocprim17ROCPRIM_400000_NS6detail17trampoline_kernelINS0_13select_configILj256ELj13ELNS0_17block_load_methodE3ELS4_3ELS4_3ELNS0_20block_scan_algorithmE0ELj4294967295EEENS1_25partition_config_selectorILNS1_17partition_subalgoE4EjNS0_10empty_typeEbEEZZNS1_14partition_implILS8_4ELb0ES6_15HIP_vector_typeIjLj2EENS0_17counting_iteratorIjlEEPS9_SG_NS0_5tupleIJPjSI_NS0_16reverse_iteratorISI_EEEEENSH_IJSG_SG_SG_EEES9_SI_JZNS1_25segmented_radix_sort_implINS0_14default_configELb0EPK6__halfPSP_PKlPlN2at6native12_GLOBAL__N_18offset_tEEE10hipError_tPvRmT1_PNSt15iterator_traitsIS13_E10value_typeET2_T3_PNS14_IS19_E10value_typeET4_jRbjT5_S1F_jjP12ihipStream_tbEUljE_ZNSN_ISO_Lb0ESR_SS_SU_SV_SZ_EES10_S11_S12_S13_S17_S18_S19_S1C_S1D_jS1E_jS1F_S1F_jjS1H_bEUljE0_EEES10_S11_S12_S19_S1D_S1F_T6_T7_T9_mT8_S1H_bDpT10_ENKUlT_T0_E_clISt17integral_constantIbLb1EES1U_IbLb0EEEEDaS1Q_S1R_EUlS1Q_E_NS1_11comp_targetILNS1_3genE0ELNS1_11target_archE4294967295ELNS1_3gpuE0ELNS1_3repE0EEENS1_30default_config_static_selectorELNS0_4arch9wavefront6targetE0EEEvS13_.kd
    .uniform_work_group_size: 1
    .uses_dynamic_stack: false
    .vgpr_count:     0
    .vgpr_spill_count: 0
    .wavefront_size: 32
    .workgroup_processor_mode: 1
  - .args:
      - .offset:         0
        .size:           176
        .value_kind:     by_value
    .group_segment_fixed_size: 0
    .kernarg_segment_align: 8
    .kernarg_segment_size: 176
    .language:       OpenCL C
    .language_version:
      - 2
      - 0
    .max_flat_workgroup_size: 256
    .name:           _ZN7rocprim17ROCPRIM_400000_NS6detail17trampoline_kernelINS0_13select_configILj256ELj13ELNS0_17block_load_methodE3ELS4_3ELS4_3ELNS0_20block_scan_algorithmE0ELj4294967295EEENS1_25partition_config_selectorILNS1_17partition_subalgoE4EjNS0_10empty_typeEbEEZZNS1_14partition_implILS8_4ELb0ES6_15HIP_vector_typeIjLj2EENS0_17counting_iteratorIjlEEPS9_SG_NS0_5tupleIJPjSI_NS0_16reverse_iteratorISI_EEEEENSH_IJSG_SG_SG_EEES9_SI_JZNS1_25segmented_radix_sort_implINS0_14default_configELb0EPK6__halfPSP_PKlPlN2at6native12_GLOBAL__N_18offset_tEEE10hipError_tPvRmT1_PNSt15iterator_traitsIS13_E10value_typeET2_T3_PNS14_IS19_E10value_typeET4_jRbjT5_S1F_jjP12ihipStream_tbEUljE_ZNSN_ISO_Lb0ESR_SS_SU_SV_SZ_EES10_S11_S12_S13_S17_S18_S19_S1C_S1D_jS1E_jS1F_S1F_jjS1H_bEUljE0_EEES10_S11_S12_S19_S1D_S1F_T6_T7_T9_mT8_S1H_bDpT10_ENKUlT_T0_E_clISt17integral_constantIbLb1EES1U_IbLb0EEEEDaS1Q_S1R_EUlS1Q_E_NS1_11comp_targetILNS1_3genE5ELNS1_11target_archE942ELNS1_3gpuE9ELNS1_3repE0EEENS1_30default_config_static_selectorELNS0_4arch9wavefront6targetE0EEEvS13_
    .private_segment_fixed_size: 0
    .sgpr_count:     0
    .sgpr_spill_count: 0
    .symbol:         _ZN7rocprim17ROCPRIM_400000_NS6detail17trampoline_kernelINS0_13select_configILj256ELj13ELNS0_17block_load_methodE3ELS4_3ELS4_3ELNS0_20block_scan_algorithmE0ELj4294967295EEENS1_25partition_config_selectorILNS1_17partition_subalgoE4EjNS0_10empty_typeEbEEZZNS1_14partition_implILS8_4ELb0ES6_15HIP_vector_typeIjLj2EENS0_17counting_iteratorIjlEEPS9_SG_NS0_5tupleIJPjSI_NS0_16reverse_iteratorISI_EEEEENSH_IJSG_SG_SG_EEES9_SI_JZNS1_25segmented_radix_sort_implINS0_14default_configELb0EPK6__halfPSP_PKlPlN2at6native12_GLOBAL__N_18offset_tEEE10hipError_tPvRmT1_PNSt15iterator_traitsIS13_E10value_typeET2_T3_PNS14_IS19_E10value_typeET4_jRbjT5_S1F_jjP12ihipStream_tbEUljE_ZNSN_ISO_Lb0ESR_SS_SU_SV_SZ_EES10_S11_S12_S13_S17_S18_S19_S1C_S1D_jS1E_jS1F_S1F_jjS1H_bEUljE0_EEES10_S11_S12_S19_S1D_S1F_T6_T7_T9_mT8_S1H_bDpT10_ENKUlT_T0_E_clISt17integral_constantIbLb1EES1U_IbLb0EEEEDaS1Q_S1R_EUlS1Q_E_NS1_11comp_targetILNS1_3genE5ELNS1_11target_archE942ELNS1_3gpuE9ELNS1_3repE0EEENS1_30default_config_static_selectorELNS0_4arch9wavefront6targetE0EEEvS13_.kd
    .uniform_work_group_size: 1
    .uses_dynamic_stack: false
    .vgpr_count:     0
    .vgpr_spill_count: 0
    .wavefront_size: 32
    .workgroup_processor_mode: 1
  - .args:
      - .offset:         0
        .size:           176
        .value_kind:     by_value
    .group_segment_fixed_size: 0
    .kernarg_segment_align: 8
    .kernarg_segment_size: 176
    .language:       OpenCL C
    .language_version:
      - 2
      - 0
    .max_flat_workgroup_size: 256
    .name:           _ZN7rocprim17ROCPRIM_400000_NS6detail17trampoline_kernelINS0_13select_configILj256ELj13ELNS0_17block_load_methodE3ELS4_3ELS4_3ELNS0_20block_scan_algorithmE0ELj4294967295EEENS1_25partition_config_selectorILNS1_17partition_subalgoE4EjNS0_10empty_typeEbEEZZNS1_14partition_implILS8_4ELb0ES6_15HIP_vector_typeIjLj2EENS0_17counting_iteratorIjlEEPS9_SG_NS0_5tupleIJPjSI_NS0_16reverse_iteratorISI_EEEEENSH_IJSG_SG_SG_EEES9_SI_JZNS1_25segmented_radix_sort_implINS0_14default_configELb0EPK6__halfPSP_PKlPlN2at6native12_GLOBAL__N_18offset_tEEE10hipError_tPvRmT1_PNSt15iterator_traitsIS13_E10value_typeET2_T3_PNS14_IS19_E10value_typeET4_jRbjT5_S1F_jjP12ihipStream_tbEUljE_ZNSN_ISO_Lb0ESR_SS_SU_SV_SZ_EES10_S11_S12_S13_S17_S18_S19_S1C_S1D_jS1E_jS1F_S1F_jjS1H_bEUljE0_EEES10_S11_S12_S19_S1D_S1F_T6_T7_T9_mT8_S1H_bDpT10_ENKUlT_T0_E_clISt17integral_constantIbLb1EES1U_IbLb0EEEEDaS1Q_S1R_EUlS1Q_E_NS1_11comp_targetILNS1_3genE4ELNS1_11target_archE910ELNS1_3gpuE8ELNS1_3repE0EEENS1_30default_config_static_selectorELNS0_4arch9wavefront6targetE0EEEvS13_
    .private_segment_fixed_size: 0
    .sgpr_count:     0
    .sgpr_spill_count: 0
    .symbol:         _ZN7rocprim17ROCPRIM_400000_NS6detail17trampoline_kernelINS0_13select_configILj256ELj13ELNS0_17block_load_methodE3ELS4_3ELS4_3ELNS0_20block_scan_algorithmE0ELj4294967295EEENS1_25partition_config_selectorILNS1_17partition_subalgoE4EjNS0_10empty_typeEbEEZZNS1_14partition_implILS8_4ELb0ES6_15HIP_vector_typeIjLj2EENS0_17counting_iteratorIjlEEPS9_SG_NS0_5tupleIJPjSI_NS0_16reverse_iteratorISI_EEEEENSH_IJSG_SG_SG_EEES9_SI_JZNS1_25segmented_radix_sort_implINS0_14default_configELb0EPK6__halfPSP_PKlPlN2at6native12_GLOBAL__N_18offset_tEEE10hipError_tPvRmT1_PNSt15iterator_traitsIS13_E10value_typeET2_T3_PNS14_IS19_E10value_typeET4_jRbjT5_S1F_jjP12ihipStream_tbEUljE_ZNSN_ISO_Lb0ESR_SS_SU_SV_SZ_EES10_S11_S12_S13_S17_S18_S19_S1C_S1D_jS1E_jS1F_S1F_jjS1H_bEUljE0_EEES10_S11_S12_S19_S1D_S1F_T6_T7_T9_mT8_S1H_bDpT10_ENKUlT_T0_E_clISt17integral_constantIbLb1EES1U_IbLb0EEEEDaS1Q_S1R_EUlS1Q_E_NS1_11comp_targetILNS1_3genE4ELNS1_11target_archE910ELNS1_3gpuE8ELNS1_3repE0EEENS1_30default_config_static_selectorELNS0_4arch9wavefront6targetE0EEEvS13_.kd
    .uniform_work_group_size: 1
    .uses_dynamic_stack: false
    .vgpr_count:     0
    .vgpr_spill_count: 0
    .wavefront_size: 32
    .workgroup_processor_mode: 1
  - .args:
      - .offset:         0
        .size:           176
        .value_kind:     by_value
    .group_segment_fixed_size: 0
    .kernarg_segment_align: 8
    .kernarg_segment_size: 176
    .language:       OpenCL C
    .language_version:
      - 2
      - 0
    .max_flat_workgroup_size: 256
    .name:           _ZN7rocprim17ROCPRIM_400000_NS6detail17trampoline_kernelINS0_13select_configILj256ELj13ELNS0_17block_load_methodE3ELS4_3ELS4_3ELNS0_20block_scan_algorithmE0ELj4294967295EEENS1_25partition_config_selectorILNS1_17partition_subalgoE4EjNS0_10empty_typeEbEEZZNS1_14partition_implILS8_4ELb0ES6_15HIP_vector_typeIjLj2EENS0_17counting_iteratorIjlEEPS9_SG_NS0_5tupleIJPjSI_NS0_16reverse_iteratorISI_EEEEENSH_IJSG_SG_SG_EEES9_SI_JZNS1_25segmented_radix_sort_implINS0_14default_configELb0EPK6__halfPSP_PKlPlN2at6native12_GLOBAL__N_18offset_tEEE10hipError_tPvRmT1_PNSt15iterator_traitsIS13_E10value_typeET2_T3_PNS14_IS19_E10value_typeET4_jRbjT5_S1F_jjP12ihipStream_tbEUljE_ZNSN_ISO_Lb0ESR_SS_SU_SV_SZ_EES10_S11_S12_S13_S17_S18_S19_S1C_S1D_jS1E_jS1F_S1F_jjS1H_bEUljE0_EEES10_S11_S12_S19_S1D_S1F_T6_T7_T9_mT8_S1H_bDpT10_ENKUlT_T0_E_clISt17integral_constantIbLb1EES1U_IbLb0EEEEDaS1Q_S1R_EUlS1Q_E_NS1_11comp_targetILNS1_3genE3ELNS1_11target_archE908ELNS1_3gpuE7ELNS1_3repE0EEENS1_30default_config_static_selectorELNS0_4arch9wavefront6targetE0EEEvS13_
    .private_segment_fixed_size: 0
    .sgpr_count:     0
    .sgpr_spill_count: 0
    .symbol:         _ZN7rocprim17ROCPRIM_400000_NS6detail17trampoline_kernelINS0_13select_configILj256ELj13ELNS0_17block_load_methodE3ELS4_3ELS4_3ELNS0_20block_scan_algorithmE0ELj4294967295EEENS1_25partition_config_selectorILNS1_17partition_subalgoE4EjNS0_10empty_typeEbEEZZNS1_14partition_implILS8_4ELb0ES6_15HIP_vector_typeIjLj2EENS0_17counting_iteratorIjlEEPS9_SG_NS0_5tupleIJPjSI_NS0_16reverse_iteratorISI_EEEEENSH_IJSG_SG_SG_EEES9_SI_JZNS1_25segmented_radix_sort_implINS0_14default_configELb0EPK6__halfPSP_PKlPlN2at6native12_GLOBAL__N_18offset_tEEE10hipError_tPvRmT1_PNSt15iterator_traitsIS13_E10value_typeET2_T3_PNS14_IS19_E10value_typeET4_jRbjT5_S1F_jjP12ihipStream_tbEUljE_ZNSN_ISO_Lb0ESR_SS_SU_SV_SZ_EES10_S11_S12_S13_S17_S18_S19_S1C_S1D_jS1E_jS1F_S1F_jjS1H_bEUljE0_EEES10_S11_S12_S19_S1D_S1F_T6_T7_T9_mT8_S1H_bDpT10_ENKUlT_T0_E_clISt17integral_constantIbLb1EES1U_IbLb0EEEEDaS1Q_S1R_EUlS1Q_E_NS1_11comp_targetILNS1_3genE3ELNS1_11target_archE908ELNS1_3gpuE7ELNS1_3repE0EEENS1_30default_config_static_selectorELNS0_4arch9wavefront6targetE0EEEvS13_.kd
    .uniform_work_group_size: 1
    .uses_dynamic_stack: false
    .vgpr_count:     0
    .vgpr_spill_count: 0
    .wavefront_size: 32
    .workgroup_processor_mode: 1
  - .args:
      - .offset:         0
        .size:           176
        .value_kind:     by_value
    .group_segment_fixed_size: 0
    .kernarg_segment_align: 8
    .kernarg_segment_size: 176
    .language:       OpenCL C
    .language_version:
      - 2
      - 0
    .max_flat_workgroup_size: 256
    .name:           _ZN7rocprim17ROCPRIM_400000_NS6detail17trampoline_kernelINS0_13select_configILj256ELj13ELNS0_17block_load_methodE3ELS4_3ELS4_3ELNS0_20block_scan_algorithmE0ELj4294967295EEENS1_25partition_config_selectorILNS1_17partition_subalgoE4EjNS0_10empty_typeEbEEZZNS1_14partition_implILS8_4ELb0ES6_15HIP_vector_typeIjLj2EENS0_17counting_iteratorIjlEEPS9_SG_NS0_5tupleIJPjSI_NS0_16reverse_iteratorISI_EEEEENSH_IJSG_SG_SG_EEES9_SI_JZNS1_25segmented_radix_sort_implINS0_14default_configELb0EPK6__halfPSP_PKlPlN2at6native12_GLOBAL__N_18offset_tEEE10hipError_tPvRmT1_PNSt15iterator_traitsIS13_E10value_typeET2_T3_PNS14_IS19_E10value_typeET4_jRbjT5_S1F_jjP12ihipStream_tbEUljE_ZNSN_ISO_Lb0ESR_SS_SU_SV_SZ_EES10_S11_S12_S13_S17_S18_S19_S1C_S1D_jS1E_jS1F_S1F_jjS1H_bEUljE0_EEES10_S11_S12_S19_S1D_S1F_T6_T7_T9_mT8_S1H_bDpT10_ENKUlT_T0_E_clISt17integral_constantIbLb1EES1U_IbLb0EEEEDaS1Q_S1R_EUlS1Q_E_NS1_11comp_targetILNS1_3genE2ELNS1_11target_archE906ELNS1_3gpuE6ELNS1_3repE0EEENS1_30default_config_static_selectorELNS0_4arch9wavefront6targetE0EEEvS13_
    .private_segment_fixed_size: 0
    .sgpr_count:     0
    .sgpr_spill_count: 0
    .symbol:         _ZN7rocprim17ROCPRIM_400000_NS6detail17trampoline_kernelINS0_13select_configILj256ELj13ELNS0_17block_load_methodE3ELS4_3ELS4_3ELNS0_20block_scan_algorithmE0ELj4294967295EEENS1_25partition_config_selectorILNS1_17partition_subalgoE4EjNS0_10empty_typeEbEEZZNS1_14partition_implILS8_4ELb0ES6_15HIP_vector_typeIjLj2EENS0_17counting_iteratorIjlEEPS9_SG_NS0_5tupleIJPjSI_NS0_16reverse_iteratorISI_EEEEENSH_IJSG_SG_SG_EEES9_SI_JZNS1_25segmented_radix_sort_implINS0_14default_configELb0EPK6__halfPSP_PKlPlN2at6native12_GLOBAL__N_18offset_tEEE10hipError_tPvRmT1_PNSt15iterator_traitsIS13_E10value_typeET2_T3_PNS14_IS19_E10value_typeET4_jRbjT5_S1F_jjP12ihipStream_tbEUljE_ZNSN_ISO_Lb0ESR_SS_SU_SV_SZ_EES10_S11_S12_S13_S17_S18_S19_S1C_S1D_jS1E_jS1F_S1F_jjS1H_bEUljE0_EEES10_S11_S12_S19_S1D_S1F_T6_T7_T9_mT8_S1H_bDpT10_ENKUlT_T0_E_clISt17integral_constantIbLb1EES1U_IbLb0EEEEDaS1Q_S1R_EUlS1Q_E_NS1_11comp_targetILNS1_3genE2ELNS1_11target_archE906ELNS1_3gpuE6ELNS1_3repE0EEENS1_30default_config_static_selectorELNS0_4arch9wavefront6targetE0EEEvS13_.kd
    .uniform_work_group_size: 1
    .uses_dynamic_stack: false
    .vgpr_count:     0
    .vgpr_spill_count: 0
    .wavefront_size: 32
    .workgroup_processor_mode: 1
  - .args:
      - .offset:         0
        .size:           176
        .value_kind:     by_value
    .group_segment_fixed_size: 0
    .kernarg_segment_align: 8
    .kernarg_segment_size: 176
    .language:       OpenCL C
    .language_version:
      - 2
      - 0
    .max_flat_workgroup_size: 256
    .name:           _ZN7rocprim17ROCPRIM_400000_NS6detail17trampoline_kernelINS0_13select_configILj256ELj13ELNS0_17block_load_methodE3ELS4_3ELS4_3ELNS0_20block_scan_algorithmE0ELj4294967295EEENS1_25partition_config_selectorILNS1_17partition_subalgoE4EjNS0_10empty_typeEbEEZZNS1_14partition_implILS8_4ELb0ES6_15HIP_vector_typeIjLj2EENS0_17counting_iteratorIjlEEPS9_SG_NS0_5tupleIJPjSI_NS0_16reverse_iteratorISI_EEEEENSH_IJSG_SG_SG_EEES9_SI_JZNS1_25segmented_radix_sort_implINS0_14default_configELb0EPK6__halfPSP_PKlPlN2at6native12_GLOBAL__N_18offset_tEEE10hipError_tPvRmT1_PNSt15iterator_traitsIS13_E10value_typeET2_T3_PNS14_IS19_E10value_typeET4_jRbjT5_S1F_jjP12ihipStream_tbEUljE_ZNSN_ISO_Lb0ESR_SS_SU_SV_SZ_EES10_S11_S12_S13_S17_S18_S19_S1C_S1D_jS1E_jS1F_S1F_jjS1H_bEUljE0_EEES10_S11_S12_S19_S1D_S1F_T6_T7_T9_mT8_S1H_bDpT10_ENKUlT_T0_E_clISt17integral_constantIbLb1EES1U_IbLb0EEEEDaS1Q_S1R_EUlS1Q_E_NS1_11comp_targetILNS1_3genE10ELNS1_11target_archE1200ELNS1_3gpuE4ELNS1_3repE0EEENS1_30default_config_static_selectorELNS0_4arch9wavefront6targetE0EEEvS13_
    .private_segment_fixed_size: 0
    .sgpr_count:     0
    .sgpr_spill_count: 0
    .symbol:         _ZN7rocprim17ROCPRIM_400000_NS6detail17trampoline_kernelINS0_13select_configILj256ELj13ELNS0_17block_load_methodE3ELS4_3ELS4_3ELNS0_20block_scan_algorithmE0ELj4294967295EEENS1_25partition_config_selectorILNS1_17partition_subalgoE4EjNS0_10empty_typeEbEEZZNS1_14partition_implILS8_4ELb0ES6_15HIP_vector_typeIjLj2EENS0_17counting_iteratorIjlEEPS9_SG_NS0_5tupleIJPjSI_NS0_16reverse_iteratorISI_EEEEENSH_IJSG_SG_SG_EEES9_SI_JZNS1_25segmented_radix_sort_implINS0_14default_configELb0EPK6__halfPSP_PKlPlN2at6native12_GLOBAL__N_18offset_tEEE10hipError_tPvRmT1_PNSt15iterator_traitsIS13_E10value_typeET2_T3_PNS14_IS19_E10value_typeET4_jRbjT5_S1F_jjP12ihipStream_tbEUljE_ZNSN_ISO_Lb0ESR_SS_SU_SV_SZ_EES10_S11_S12_S13_S17_S18_S19_S1C_S1D_jS1E_jS1F_S1F_jjS1H_bEUljE0_EEES10_S11_S12_S19_S1D_S1F_T6_T7_T9_mT8_S1H_bDpT10_ENKUlT_T0_E_clISt17integral_constantIbLb1EES1U_IbLb0EEEEDaS1Q_S1R_EUlS1Q_E_NS1_11comp_targetILNS1_3genE10ELNS1_11target_archE1200ELNS1_3gpuE4ELNS1_3repE0EEENS1_30default_config_static_selectorELNS0_4arch9wavefront6targetE0EEEvS13_.kd
    .uniform_work_group_size: 1
    .uses_dynamic_stack: false
    .vgpr_count:     0
    .vgpr_spill_count: 0
    .wavefront_size: 32
    .workgroup_processor_mode: 1
  - .args:
      - .offset:         0
        .size:           176
        .value_kind:     by_value
    .group_segment_fixed_size: 0
    .kernarg_segment_align: 8
    .kernarg_segment_size: 176
    .language:       OpenCL C
    .language_version:
      - 2
      - 0
    .max_flat_workgroup_size: 256
    .name:           _ZN7rocprim17ROCPRIM_400000_NS6detail17trampoline_kernelINS0_13select_configILj256ELj13ELNS0_17block_load_methodE3ELS4_3ELS4_3ELNS0_20block_scan_algorithmE0ELj4294967295EEENS1_25partition_config_selectorILNS1_17partition_subalgoE4EjNS0_10empty_typeEbEEZZNS1_14partition_implILS8_4ELb0ES6_15HIP_vector_typeIjLj2EENS0_17counting_iteratorIjlEEPS9_SG_NS0_5tupleIJPjSI_NS0_16reverse_iteratorISI_EEEEENSH_IJSG_SG_SG_EEES9_SI_JZNS1_25segmented_radix_sort_implINS0_14default_configELb0EPK6__halfPSP_PKlPlN2at6native12_GLOBAL__N_18offset_tEEE10hipError_tPvRmT1_PNSt15iterator_traitsIS13_E10value_typeET2_T3_PNS14_IS19_E10value_typeET4_jRbjT5_S1F_jjP12ihipStream_tbEUljE_ZNSN_ISO_Lb0ESR_SS_SU_SV_SZ_EES10_S11_S12_S13_S17_S18_S19_S1C_S1D_jS1E_jS1F_S1F_jjS1H_bEUljE0_EEES10_S11_S12_S19_S1D_S1F_T6_T7_T9_mT8_S1H_bDpT10_ENKUlT_T0_E_clISt17integral_constantIbLb1EES1U_IbLb0EEEEDaS1Q_S1R_EUlS1Q_E_NS1_11comp_targetILNS1_3genE9ELNS1_11target_archE1100ELNS1_3gpuE3ELNS1_3repE0EEENS1_30default_config_static_selectorELNS0_4arch9wavefront6targetE0EEEvS13_
    .private_segment_fixed_size: 0
    .sgpr_count:     0
    .sgpr_spill_count: 0
    .symbol:         _ZN7rocprim17ROCPRIM_400000_NS6detail17trampoline_kernelINS0_13select_configILj256ELj13ELNS0_17block_load_methodE3ELS4_3ELS4_3ELNS0_20block_scan_algorithmE0ELj4294967295EEENS1_25partition_config_selectorILNS1_17partition_subalgoE4EjNS0_10empty_typeEbEEZZNS1_14partition_implILS8_4ELb0ES6_15HIP_vector_typeIjLj2EENS0_17counting_iteratorIjlEEPS9_SG_NS0_5tupleIJPjSI_NS0_16reverse_iteratorISI_EEEEENSH_IJSG_SG_SG_EEES9_SI_JZNS1_25segmented_radix_sort_implINS0_14default_configELb0EPK6__halfPSP_PKlPlN2at6native12_GLOBAL__N_18offset_tEEE10hipError_tPvRmT1_PNSt15iterator_traitsIS13_E10value_typeET2_T3_PNS14_IS19_E10value_typeET4_jRbjT5_S1F_jjP12ihipStream_tbEUljE_ZNSN_ISO_Lb0ESR_SS_SU_SV_SZ_EES10_S11_S12_S13_S17_S18_S19_S1C_S1D_jS1E_jS1F_S1F_jjS1H_bEUljE0_EEES10_S11_S12_S19_S1D_S1F_T6_T7_T9_mT8_S1H_bDpT10_ENKUlT_T0_E_clISt17integral_constantIbLb1EES1U_IbLb0EEEEDaS1Q_S1R_EUlS1Q_E_NS1_11comp_targetILNS1_3genE9ELNS1_11target_archE1100ELNS1_3gpuE3ELNS1_3repE0EEENS1_30default_config_static_selectorELNS0_4arch9wavefront6targetE0EEEvS13_.kd
    .uniform_work_group_size: 1
    .uses_dynamic_stack: false
    .vgpr_count:     0
    .vgpr_spill_count: 0
    .wavefront_size: 32
    .workgroup_processor_mode: 1
  - .args:
      - .offset:         0
        .size:           176
        .value_kind:     by_value
    .group_segment_fixed_size: 0
    .kernarg_segment_align: 8
    .kernarg_segment_size: 176
    .language:       OpenCL C
    .language_version:
      - 2
      - 0
    .max_flat_workgroup_size: 256
    .name:           _ZN7rocprim17ROCPRIM_400000_NS6detail17trampoline_kernelINS0_13select_configILj256ELj13ELNS0_17block_load_methodE3ELS4_3ELS4_3ELNS0_20block_scan_algorithmE0ELj4294967295EEENS1_25partition_config_selectorILNS1_17partition_subalgoE4EjNS0_10empty_typeEbEEZZNS1_14partition_implILS8_4ELb0ES6_15HIP_vector_typeIjLj2EENS0_17counting_iteratorIjlEEPS9_SG_NS0_5tupleIJPjSI_NS0_16reverse_iteratorISI_EEEEENSH_IJSG_SG_SG_EEES9_SI_JZNS1_25segmented_radix_sort_implINS0_14default_configELb0EPK6__halfPSP_PKlPlN2at6native12_GLOBAL__N_18offset_tEEE10hipError_tPvRmT1_PNSt15iterator_traitsIS13_E10value_typeET2_T3_PNS14_IS19_E10value_typeET4_jRbjT5_S1F_jjP12ihipStream_tbEUljE_ZNSN_ISO_Lb0ESR_SS_SU_SV_SZ_EES10_S11_S12_S13_S17_S18_S19_S1C_S1D_jS1E_jS1F_S1F_jjS1H_bEUljE0_EEES10_S11_S12_S19_S1D_S1F_T6_T7_T9_mT8_S1H_bDpT10_ENKUlT_T0_E_clISt17integral_constantIbLb1EES1U_IbLb0EEEEDaS1Q_S1R_EUlS1Q_E_NS1_11comp_targetILNS1_3genE8ELNS1_11target_archE1030ELNS1_3gpuE2ELNS1_3repE0EEENS1_30default_config_static_selectorELNS0_4arch9wavefront6targetE0EEEvS13_
    .private_segment_fixed_size: 0
    .sgpr_count:     0
    .sgpr_spill_count: 0
    .symbol:         _ZN7rocprim17ROCPRIM_400000_NS6detail17trampoline_kernelINS0_13select_configILj256ELj13ELNS0_17block_load_methodE3ELS4_3ELS4_3ELNS0_20block_scan_algorithmE0ELj4294967295EEENS1_25partition_config_selectorILNS1_17partition_subalgoE4EjNS0_10empty_typeEbEEZZNS1_14partition_implILS8_4ELb0ES6_15HIP_vector_typeIjLj2EENS0_17counting_iteratorIjlEEPS9_SG_NS0_5tupleIJPjSI_NS0_16reverse_iteratorISI_EEEEENSH_IJSG_SG_SG_EEES9_SI_JZNS1_25segmented_radix_sort_implINS0_14default_configELb0EPK6__halfPSP_PKlPlN2at6native12_GLOBAL__N_18offset_tEEE10hipError_tPvRmT1_PNSt15iterator_traitsIS13_E10value_typeET2_T3_PNS14_IS19_E10value_typeET4_jRbjT5_S1F_jjP12ihipStream_tbEUljE_ZNSN_ISO_Lb0ESR_SS_SU_SV_SZ_EES10_S11_S12_S13_S17_S18_S19_S1C_S1D_jS1E_jS1F_S1F_jjS1H_bEUljE0_EEES10_S11_S12_S19_S1D_S1F_T6_T7_T9_mT8_S1H_bDpT10_ENKUlT_T0_E_clISt17integral_constantIbLb1EES1U_IbLb0EEEEDaS1Q_S1R_EUlS1Q_E_NS1_11comp_targetILNS1_3genE8ELNS1_11target_archE1030ELNS1_3gpuE2ELNS1_3repE0EEENS1_30default_config_static_selectorELNS0_4arch9wavefront6targetE0EEEvS13_.kd
    .uniform_work_group_size: 1
    .uses_dynamic_stack: false
    .vgpr_count:     0
    .vgpr_spill_count: 0
    .wavefront_size: 32
    .workgroup_processor_mode: 1
  - .args:
      - .offset:         0
        .size:           184
        .value_kind:     by_value
    .group_segment_fixed_size: 0
    .kernarg_segment_align: 8
    .kernarg_segment_size: 184
    .language:       OpenCL C
    .language_version:
      - 2
      - 0
    .max_flat_workgroup_size: 256
    .name:           _ZN7rocprim17ROCPRIM_400000_NS6detail17trampoline_kernelINS0_13select_configILj256ELj13ELNS0_17block_load_methodE3ELS4_3ELS4_3ELNS0_20block_scan_algorithmE0ELj4294967295EEENS1_25partition_config_selectorILNS1_17partition_subalgoE4EjNS0_10empty_typeEbEEZZNS1_14partition_implILS8_4ELb0ES6_15HIP_vector_typeIjLj2EENS0_17counting_iteratorIjlEEPS9_SG_NS0_5tupleIJPjSI_NS0_16reverse_iteratorISI_EEEEENSH_IJSG_SG_SG_EEES9_SI_JZNS1_25segmented_radix_sort_implINS0_14default_configELb0EPK6__halfPSP_PKlPlN2at6native12_GLOBAL__N_18offset_tEEE10hipError_tPvRmT1_PNSt15iterator_traitsIS13_E10value_typeET2_T3_PNS14_IS19_E10value_typeET4_jRbjT5_S1F_jjP12ihipStream_tbEUljE_ZNSN_ISO_Lb0ESR_SS_SU_SV_SZ_EES10_S11_S12_S13_S17_S18_S19_S1C_S1D_jS1E_jS1F_S1F_jjS1H_bEUljE0_EEES10_S11_S12_S19_S1D_S1F_T6_T7_T9_mT8_S1H_bDpT10_ENKUlT_T0_E_clISt17integral_constantIbLb0EES1U_IbLb1EEEEDaS1Q_S1R_EUlS1Q_E_NS1_11comp_targetILNS1_3genE0ELNS1_11target_archE4294967295ELNS1_3gpuE0ELNS1_3repE0EEENS1_30default_config_static_selectorELNS0_4arch9wavefront6targetE0EEEvS13_
    .private_segment_fixed_size: 0
    .sgpr_count:     0
    .sgpr_spill_count: 0
    .symbol:         _ZN7rocprim17ROCPRIM_400000_NS6detail17trampoline_kernelINS0_13select_configILj256ELj13ELNS0_17block_load_methodE3ELS4_3ELS4_3ELNS0_20block_scan_algorithmE0ELj4294967295EEENS1_25partition_config_selectorILNS1_17partition_subalgoE4EjNS0_10empty_typeEbEEZZNS1_14partition_implILS8_4ELb0ES6_15HIP_vector_typeIjLj2EENS0_17counting_iteratorIjlEEPS9_SG_NS0_5tupleIJPjSI_NS0_16reverse_iteratorISI_EEEEENSH_IJSG_SG_SG_EEES9_SI_JZNS1_25segmented_radix_sort_implINS0_14default_configELb0EPK6__halfPSP_PKlPlN2at6native12_GLOBAL__N_18offset_tEEE10hipError_tPvRmT1_PNSt15iterator_traitsIS13_E10value_typeET2_T3_PNS14_IS19_E10value_typeET4_jRbjT5_S1F_jjP12ihipStream_tbEUljE_ZNSN_ISO_Lb0ESR_SS_SU_SV_SZ_EES10_S11_S12_S13_S17_S18_S19_S1C_S1D_jS1E_jS1F_S1F_jjS1H_bEUljE0_EEES10_S11_S12_S19_S1D_S1F_T6_T7_T9_mT8_S1H_bDpT10_ENKUlT_T0_E_clISt17integral_constantIbLb0EES1U_IbLb1EEEEDaS1Q_S1R_EUlS1Q_E_NS1_11comp_targetILNS1_3genE0ELNS1_11target_archE4294967295ELNS1_3gpuE0ELNS1_3repE0EEENS1_30default_config_static_selectorELNS0_4arch9wavefront6targetE0EEEvS13_.kd
    .uniform_work_group_size: 1
    .uses_dynamic_stack: false
    .vgpr_count:     0
    .vgpr_spill_count: 0
    .wavefront_size: 32
    .workgroup_processor_mode: 1
  - .args:
      - .offset:         0
        .size:           184
        .value_kind:     by_value
    .group_segment_fixed_size: 0
    .kernarg_segment_align: 8
    .kernarg_segment_size: 184
    .language:       OpenCL C
    .language_version:
      - 2
      - 0
    .max_flat_workgroup_size: 256
    .name:           _ZN7rocprim17ROCPRIM_400000_NS6detail17trampoline_kernelINS0_13select_configILj256ELj13ELNS0_17block_load_methodE3ELS4_3ELS4_3ELNS0_20block_scan_algorithmE0ELj4294967295EEENS1_25partition_config_selectorILNS1_17partition_subalgoE4EjNS0_10empty_typeEbEEZZNS1_14partition_implILS8_4ELb0ES6_15HIP_vector_typeIjLj2EENS0_17counting_iteratorIjlEEPS9_SG_NS0_5tupleIJPjSI_NS0_16reverse_iteratorISI_EEEEENSH_IJSG_SG_SG_EEES9_SI_JZNS1_25segmented_radix_sort_implINS0_14default_configELb0EPK6__halfPSP_PKlPlN2at6native12_GLOBAL__N_18offset_tEEE10hipError_tPvRmT1_PNSt15iterator_traitsIS13_E10value_typeET2_T3_PNS14_IS19_E10value_typeET4_jRbjT5_S1F_jjP12ihipStream_tbEUljE_ZNSN_ISO_Lb0ESR_SS_SU_SV_SZ_EES10_S11_S12_S13_S17_S18_S19_S1C_S1D_jS1E_jS1F_S1F_jjS1H_bEUljE0_EEES10_S11_S12_S19_S1D_S1F_T6_T7_T9_mT8_S1H_bDpT10_ENKUlT_T0_E_clISt17integral_constantIbLb0EES1U_IbLb1EEEEDaS1Q_S1R_EUlS1Q_E_NS1_11comp_targetILNS1_3genE5ELNS1_11target_archE942ELNS1_3gpuE9ELNS1_3repE0EEENS1_30default_config_static_selectorELNS0_4arch9wavefront6targetE0EEEvS13_
    .private_segment_fixed_size: 0
    .sgpr_count:     0
    .sgpr_spill_count: 0
    .symbol:         _ZN7rocprim17ROCPRIM_400000_NS6detail17trampoline_kernelINS0_13select_configILj256ELj13ELNS0_17block_load_methodE3ELS4_3ELS4_3ELNS0_20block_scan_algorithmE0ELj4294967295EEENS1_25partition_config_selectorILNS1_17partition_subalgoE4EjNS0_10empty_typeEbEEZZNS1_14partition_implILS8_4ELb0ES6_15HIP_vector_typeIjLj2EENS0_17counting_iteratorIjlEEPS9_SG_NS0_5tupleIJPjSI_NS0_16reverse_iteratorISI_EEEEENSH_IJSG_SG_SG_EEES9_SI_JZNS1_25segmented_radix_sort_implINS0_14default_configELb0EPK6__halfPSP_PKlPlN2at6native12_GLOBAL__N_18offset_tEEE10hipError_tPvRmT1_PNSt15iterator_traitsIS13_E10value_typeET2_T3_PNS14_IS19_E10value_typeET4_jRbjT5_S1F_jjP12ihipStream_tbEUljE_ZNSN_ISO_Lb0ESR_SS_SU_SV_SZ_EES10_S11_S12_S13_S17_S18_S19_S1C_S1D_jS1E_jS1F_S1F_jjS1H_bEUljE0_EEES10_S11_S12_S19_S1D_S1F_T6_T7_T9_mT8_S1H_bDpT10_ENKUlT_T0_E_clISt17integral_constantIbLb0EES1U_IbLb1EEEEDaS1Q_S1R_EUlS1Q_E_NS1_11comp_targetILNS1_3genE5ELNS1_11target_archE942ELNS1_3gpuE9ELNS1_3repE0EEENS1_30default_config_static_selectorELNS0_4arch9wavefront6targetE0EEEvS13_.kd
    .uniform_work_group_size: 1
    .uses_dynamic_stack: false
    .vgpr_count:     0
    .vgpr_spill_count: 0
    .wavefront_size: 32
    .workgroup_processor_mode: 1
  - .args:
      - .offset:         0
        .size:           184
        .value_kind:     by_value
    .group_segment_fixed_size: 0
    .kernarg_segment_align: 8
    .kernarg_segment_size: 184
    .language:       OpenCL C
    .language_version:
      - 2
      - 0
    .max_flat_workgroup_size: 256
    .name:           _ZN7rocprim17ROCPRIM_400000_NS6detail17trampoline_kernelINS0_13select_configILj256ELj13ELNS0_17block_load_methodE3ELS4_3ELS4_3ELNS0_20block_scan_algorithmE0ELj4294967295EEENS1_25partition_config_selectorILNS1_17partition_subalgoE4EjNS0_10empty_typeEbEEZZNS1_14partition_implILS8_4ELb0ES6_15HIP_vector_typeIjLj2EENS0_17counting_iteratorIjlEEPS9_SG_NS0_5tupleIJPjSI_NS0_16reverse_iteratorISI_EEEEENSH_IJSG_SG_SG_EEES9_SI_JZNS1_25segmented_radix_sort_implINS0_14default_configELb0EPK6__halfPSP_PKlPlN2at6native12_GLOBAL__N_18offset_tEEE10hipError_tPvRmT1_PNSt15iterator_traitsIS13_E10value_typeET2_T3_PNS14_IS19_E10value_typeET4_jRbjT5_S1F_jjP12ihipStream_tbEUljE_ZNSN_ISO_Lb0ESR_SS_SU_SV_SZ_EES10_S11_S12_S13_S17_S18_S19_S1C_S1D_jS1E_jS1F_S1F_jjS1H_bEUljE0_EEES10_S11_S12_S19_S1D_S1F_T6_T7_T9_mT8_S1H_bDpT10_ENKUlT_T0_E_clISt17integral_constantIbLb0EES1U_IbLb1EEEEDaS1Q_S1R_EUlS1Q_E_NS1_11comp_targetILNS1_3genE4ELNS1_11target_archE910ELNS1_3gpuE8ELNS1_3repE0EEENS1_30default_config_static_selectorELNS0_4arch9wavefront6targetE0EEEvS13_
    .private_segment_fixed_size: 0
    .sgpr_count:     0
    .sgpr_spill_count: 0
    .symbol:         _ZN7rocprim17ROCPRIM_400000_NS6detail17trampoline_kernelINS0_13select_configILj256ELj13ELNS0_17block_load_methodE3ELS4_3ELS4_3ELNS0_20block_scan_algorithmE0ELj4294967295EEENS1_25partition_config_selectorILNS1_17partition_subalgoE4EjNS0_10empty_typeEbEEZZNS1_14partition_implILS8_4ELb0ES6_15HIP_vector_typeIjLj2EENS0_17counting_iteratorIjlEEPS9_SG_NS0_5tupleIJPjSI_NS0_16reverse_iteratorISI_EEEEENSH_IJSG_SG_SG_EEES9_SI_JZNS1_25segmented_radix_sort_implINS0_14default_configELb0EPK6__halfPSP_PKlPlN2at6native12_GLOBAL__N_18offset_tEEE10hipError_tPvRmT1_PNSt15iterator_traitsIS13_E10value_typeET2_T3_PNS14_IS19_E10value_typeET4_jRbjT5_S1F_jjP12ihipStream_tbEUljE_ZNSN_ISO_Lb0ESR_SS_SU_SV_SZ_EES10_S11_S12_S13_S17_S18_S19_S1C_S1D_jS1E_jS1F_S1F_jjS1H_bEUljE0_EEES10_S11_S12_S19_S1D_S1F_T6_T7_T9_mT8_S1H_bDpT10_ENKUlT_T0_E_clISt17integral_constantIbLb0EES1U_IbLb1EEEEDaS1Q_S1R_EUlS1Q_E_NS1_11comp_targetILNS1_3genE4ELNS1_11target_archE910ELNS1_3gpuE8ELNS1_3repE0EEENS1_30default_config_static_selectorELNS0_4arch9wavefront6targetE0EEEvS13_.kd
    .uniform_work_group_size: 1
    .uses_dynamic_stack: false
    .vgpr_count:     0
    .vgpr_spill_count: 0
    .wavefront_size: 32
    .workgroup_processor_mode: 1
  - .args:
      - .offset:         0
        .size:           184
        .value_kind:     by_value
    .group_segment_fixed_size: 0
    .kernarg_segment_align: 8
    .kernarg_segment_size: 184
    .language:       OpenCL C
    .language_version:
      - 2
      - 0
    .max_flat_workgroup_size: 256
    .name:           _ZN7rocprim17ROCPRIM_400000_NS6detail17trampoline_kernelINS0_13select_configILj256ELj13ELNS0_17block_load_methodE3ELS4_3ELS4_3ELNS0_20block_scan_algorithmE0ELj4294967295EEENS1_25partition_config_selectorILNS1_17partition_subalgoE4EjNS0_10empty_typeEbEEZZNS1_14partition_implILS8_4ELb0ES6_15HIP_vector_typeIjLj2EENS0_17counting_iteratorIjlEEPS9_SG_NS0_5tupleIJPjSI_NS0_16reverse_iteratorISI_EEEEENSH_IJSG_SG_SG_EEES9_SI_JZNS1_25segmented_radix_sort_implINS0_14default_configELb0EPK6__halfPSP_PKlPlN2at6native12_GLOBAL__N_18offset_tEEE10hipError_tPvRmT1_PNSt15iterator_traitsIS13_E10value_typeET2_T3_PNS14_IS19_E10value_typeET4_jRbjT5_S1F_jjP12ihipStream_tbEUljE_ZNSN_ISO_Lb0ESR_SS_SU_SV_SZ_EES10_S11_S12_S13_S17_S18_S19_S1C_S1D_jS1E_jS1F_S1F_jjS1H_bEUljE0_EEES10_S11_S12_S19_S1D_S1F_T6_T7_T9_mT8_S1H_bDpT10_ENKUlT_T0_E_clISt17integral_constantIbLb0EES1U_IbLb1EEEEDaS1Q_S1R_EUlS1Q_E_NS1_11comp_targetILNS1_3genE3ELNS1_11target_archE908ELNS1_3gpuE7ELNS1_3repE0EEENS1_30default_config_static_selectorELNS0_4arch9wavefront6targetE0EEEvS13_
    .private_segment_fixed_size: 0
    .sgpr_count:     0
    .sgpr_spill_count: 0
    .symbol:         _ZN7rocprim17ROCPRIM_400000_NS6detail17trampoline_kernelINS0_13select_configILj256ELj13ELNS0_17block_load_methodE3ELS4_3ELS4_3ELNS0_20block_scan_algorithmE0ELj4294967295EEENS1_25partition_config_selectorILNS1_17partition_subalgoE4EjNS0_10empty_typeEbEEZZNS1_14partition_implILS8_4ELb0ES6_15HIP_vector_typeIjLj2EENS0_17counting_iteratorIjlEEPS9_SG_NS0_5tupleIJPjSI_NS0_16reverse_iteratorISI_EEEEENSH_IJSG_SG_SG_EEES9_SI_JZNS1_25segmented_radix_sort_implINS0_14default_configELb0EPK6__halfPSP_PKlPlN2at6native12_GLOBAL__N_18offset_tEEE10hipError_tPvRmT1_PNSt15iterator_traitsIS13_E10value_typeET2_T3_PNS14_IS19_E10value_typeET4_jRbjT5_S1F_jjP12ihipStream_tbEUljE_ZNSN_ISO_Lb0ESR_SS_SU_SV_SZ_EES10_S11_S12_S13_S17_S18_S19_S1C_S1D_jS1E_jS1F_S1F_jjS1H_bEUljE0_EEES10_S11_S12_S19_S1D_S1F_T6_T7_T9_mT8_S1H_bDpT10_ENKUlT_T0_E_clISt17integral_constantIbLb0EES1U_IbLb1EEEEDaS1Q_S1R_EUlS1Q_E_NS1_11comp_targetILNS1_3genE3ELNS1_11target_archE908ELNS1_3gpuE7ELNS1_3repE0EEENS1_30default_config_static_selectorELNS0_4arch9wavefront6targetE0EEEvS13_.kd
    .uniform_work_group_size: 1
    .uses_dynamic_stack: false
    .vgpr_count:     0
    .vgpr_spill_count: 0
    .wavefront_size: 32
    .workgroup_processor_mode: 1
  - .args:
      - .offset:         0
        .size:           184
        .value_kind:     by_value
    .group_segment_fixed_size: 0
    .kernarg_segment_align: 8
    .kernarg_segment_size: 184
    .language:       OpenCL C
    .language_version:
      - 2
      - 0
    .max_flat_workgroup_size: 256
    .name:           _ZN7rocprim17ROCPRIM_400000_NS6detail17trampoline_kernelINS0_13select_configILj256ELj13ELNS0_17block_load_methodE3ELS4_3ELS4_3ELNS0_20block_scan_algorithmE0ELj4294967295EEENS1_25partition_config_selectorILNS1_17partition_subalgoE4EjNS0_10empty_typeEbEEZZNS1_14partition_implILS8_4ELb0ES6_15HIP_vector_typeIjLj2EENS0_17counting_iteratorIjlEEPS9_SG_NS0_5tupleIJPjSI_NS0_16reverse_iteratorISI_EEEEENSH_IJSG_SG_SG_EEES9_SI_JZNS1_25segmented_radix_sort_implINS0_14default_configELb0EPK6__halfPSP_PKlPlN2at6native12_GLOBAL__N_18offset_tEEE10hipError_tPvRmT1_PNSt15iterator_traitsIS13_E10value_typeET2_T3_PNS14_IS19_E10value_typeET4_jRbjT5_S1F_jjP12ihipStream_tbEUljE_ZNSN_ISO_Lb0ESR_SS_SU_SV_SZ_EES10_S11_S12_S13_S17_S18_S19_S1C_S1D_jS1E_jS1F_S1F_jjS1H_bEUljE0_EEES10_S11_S12_S19_S1D_S1F_T6_T7_T9_mT8_S1H_bDpT10_ENKUlT_T0_E_clISt17integral_constantIbLb0EES1U_IbLb1EEEEDaS1Q_S1R_EUlS1Q_E_NS1_11comp_targetILNS1_3genE2ELNS1_11target_archE906ELNS1_3gpuE6ELNS1_3repE0EEENS1_30default_config_static_selectorELNS0_4arch9wavefront6targetE0EEEvS13_
    .private_segment_fixed_size: 0
    .sgpr_count:     0
    .sgpr_spill_count: 0
    .symbol:         _ZN7rocprim17ROCPRIM_400000_NS6detail17trampoline_kernelINS0_13select_configILj256ELj13ELNS0_17block_load_methodE3ELS4_3ELS4_3ELNS0_20block_scan_algorithmE0ELj4294967295EEENS1_25partition_config_selectorILNS1_17partition_subalgoE4EjNS0_10empty_typeEbEEZZNS1_14partition_implILS8_4ELb0ES6_15HIP_vector_typeIjLj2EENS0_17counting_iteratorIjlEEPS9_SG_NS0_5tupleIJPjSI_NS0_16reverse_iteratorISI_EEEEENSH_IJSG_SG_SG_EEES9_SI_JZNS1_25segmented_radix_sort_implINS0_14default_configELb0EPK6__halfPSP_PKlPlN2at6native12_GLOBAL__N_18offset_tEEE10hipError_tPvRmT1_PNSt15iterator_traitsIS13_E10value_typeET2_T3_PNS14_IS19_E10value_typeET4_jRbjT5_S1F_jjP12ihipStream_tbEUljE_ZNSN_ISO_Lb0ESR_SS_SU_SV_SZ_EES10_S11_S12_S13_S17_S18_S19_S1C_S1D_jS1E_jS1F_S1F_jjS1H_bEUljE0_EEES10_S11_S12_S19_S1D_S1F_T6_T7_T9_mT8_S1H_bDpT10_ENKUlT_T0_E_clISt17integral_constantIbLb0EES1U_IbLb1EEEEDaS1Q_S1R_EUlS1Q_E_NS1_11comp_targetILNS1_3genE2ELNS1_11target_archE906ELNS1_3gpuE6ELNS1_3repE0EEENS1_30default_config_static_selectorELNS0_4arch9wavefront6targetE0EEEvS13_.kd
    .uniform_work_group_size: 1
    .uses_dynamic_stack: false
    .vgpr_count:     0
    .vgpr_spill_count: 0
    .wavefront_size: 32
    .workgroup_processor_mode: 1
  - .args:
      - .offset:         0
        .size:           184
        .value_kind:     by_value
    .group_segment_fixed_size: 13328
    .kernarg_segment_align: 8
    .kernarg_segment_size: 184
    .language:       OpenCL C
    .language_version:
      - 2
      - 0
    .max_flat_workgroup_size: 256
    .name:           _ZN7rocprim17ROCPRIM_400000_NS6detail17trampoline_kernelINS0_13select_configILj256ELj13ELNS0_17block_load_methodE3ELS4_3ELS4_3ELNS0_20block_scan_algorithmE0ELj4294967295EEENS1_25partition_config_selectorILNS1_17partition_subalgoE4EjNS0_10empty_typeEbEEZZNS1_14partition_implILS8_4ELb0ES6_15HIP_vector_typeIjLj2EENS0_17counting_iteratorIjlEEPS9_SG_NS0_5tupleIJPjSI_NS0_16reverse_iteratorISI_EEEEENSH_IJSG_SG_SG_EEES9_SI_JZNS1_25segmented_radix_sort_implINS0_14default_configELb0EPK6__halfPSP_PKlPlN2at6native12_GLOBAL__N_18offset_tEEE10hipError_tPvRmT1_PNSt15iterator_traitsIS13_E10value_typeET2_T3_PNS14_IS19_E10value_typeET4_jRbjT5_S1F_jjP12ihipStream_tbEUljE_ZNSN_ISO_Lb0ESR_SS_SU_SV_SZ_EES10_S11_S12_S13_S17_S18_S19_S1C_S1D_jS1E_jS1F_S1F_jjS1H_bEUljE0_EEES10_S11_S12_S19_S1D_S1F_T6_T7_T9_mT8_S1H_bDpT10_ENKUlT_T0_E_clISt17integral_constantIbLb0EES1U_IbLb1EEEEDaS1Q_S1R_EUlS1Q_E_NS1_11comp_targetILNS1_3genE10ELNS1_11target_archE1200ELNS1_3gpuE4ELNS1_3repE0EEENS1_30default_config_static_selectorELNS0_4arch9wavefront6targetE0EEEvS13_
    .private_segment_fixed_size: 0
    .sgpr_count:     57
    .sgpr_spill_count: 0
    .symbol:         _ZN7rocprim17ROCPRIM_400000_NS6detail17trampoline_kernelINS0_13select_configILj256ELj13ELNS0_17block_load_methodE3ELS4_3ELS4_3ELNS0_20block_scan_algorithmE0ELj4294967295EEENS1_25partition_config_selectorILNS1_17partition_subalgoE4EjNS0_10empty_typeEbEEZZNS1_14partition_implILS8_4ELb0ES6_15HIP_vector_typeIjLj2EENS0_17counting_iteratorIjlEEPS9_SG_NS0_5tupleIJPjSI_NS0_16reverse_iteratorISI_EEEEENSH_IJSG_SG_SG_EEES9_SI_JZNS1_25segmented_radix_sort_implINS0_14default_configELb0EPK6__halfPSP_PKlPlN2at6native12_GLOBAL__N_18offset_tEEE10hipError_tPvRmT1_PNSt15iterator_traitsIS13_E10value_typeET2_T3_PNS14_IS19_E10value_typeET4_jRbjT5_S1F_jjP12ihipStream_tbEUljE_ZNSN_ISO_Lb0ESR_SS_SU_SV_SZ_EES10_S11_S12_S13_S17_S18_S19_S1C_S1D_jS1E_jS1F_S1F_jjS1H_bEUljE0_EEES10_S11_S12_S19_S1D_S1F_T6_T7_T9_mT8_S1H_bDpT10_ENKUlT_T0_E_clISt17integral_constantIbLb0EES1U_IbLb1EEEEDaS1Q_S1R_EUlS1Q_E_NS1_11comp_targetILNS1_3genE10ELNS1_11target_archE1200ELNS1_3gpuE4ELNS1_3repE0EEENS1_30default_config_static_selectorELNS0_4arch9wavefront6targetE0EEEvS13_.kd
    .uniform_work_group_size: 1
    .uses_dynamic_stack: false
    .vgpr_count:     98
    .vgpr_spill_count: 0
    .wavefront_size: 32
    .workgroup_processor_mode: 1
  - .args:
      - .offset:         0
        .size:           184
        .value_kind:     by_value
    .group_segment_fixed_size: 0
    .kernarg_segment_align: 8
    .kernarg_segment_size: 184
    .language:       OpenCL C
    .language_version:
      - 2
      - 0
    .max_flat_workgroup_size: 256
    .name:           _ZN7rocprim17ROCPRIM_400000_NS6detail17trampoline_kernelINS0_13select_configILj256ELj13ELNS0_17block_load_methodE3ELS4_3ELS4_3ELNS0_20block_scan_algorithmE0ELj4294967295EEENS1_25partition_config_selectorILNS1_17partition_subalgoE4EjNS0_10empty_typeEbEEZZNS1_14partition_implILS8_4ELb0ES6_15HIP_vector_typeIjLj2EENS0_17counting_iteratorIjlEEPS9_SG_NS0_5tupleIJPjSI_NS0_16reverse_iteratorISI_EEEEENSH_IJSG_SG_SG_EEES9_SI_JZNS1_25segmented_radix_sort_implINS0_14default_configELb0EPK6__halfPSP_PKlPlN2at6native12_GLOBAL__N_18offset_tEEE10hipError_tPvRmT1_PNSt15iterator_traitsIS13_E10value_typeET2_T3_PNS14_IS19_E10value_typeET4_jRbjT5_S1F_jjP12ihipStream_tbEUljE_ZNSN_ISO_Lb0ESR_SS_SU_SV_SZ_EES10_S11_S12_S13_S17_S18_S19_S1C_S1D_jS1E_jS1F_S1F_jjS1H_bEUljE0_EEES10_S11_S12_S19_S1D_S1F_T6_T7_T9_mT8_S1H_bDpT10_ENKUlT_T0_E_clISt17integral_constantIbLb0EES1U_IbLb1EEEEDaS1Q_S1R_EUlS1Q_E_NS1_11comp_targetILNS1_3genE9ELNS1_11target_archE1100ELNS1_3gpuE3ELNS1_3repE0EEENS1_30default_config_static_selectorELNS0_4arch9wavefront6targetE0EEEvS13_
    .private_segment_fixed_size: 0
    .sgpr_count:     0
    .sgpr_spill_count: 0
    .symbol:         _ZN7rocprim17ROCPRIM_400000_NS6detail17trampoline_kernelINS0_13select_configILj256ELj13ELNS0_17block_load_methodE3ELS4_3ELS4_3ELNS0_20block_scan_algorithmE0ELj4294967295EEENS1_25partition_config_selectorILNS1_17partition_subalgoE4EjNS0_10empty_typeEbEEZZNS1_14partition_implILS8_4ELb0ES6_15HIP_vector_typeIjLj2EENS0_17counting_iteratorIjlEEPS9_SG_NS0_5tupleIJPjSI_NS0_16reverse_iteratorISI_EEEEENSH_IJSG_SG_SG_EEES9_SI_JZNS1_25segmented_radix_sort_implINS0_14default_configELb0EPK6__halfPSP_PKlPlN2at6native12_GLOBAL__N_18offset_tEEE10hipError_tPvRmT1_PNSt15iterator_traitsIS13_E10value_typeET2_T3_PNS14_IS19_E10value_typeET4_jRbjT5_S1F_jjP12ihipStream_tbEUljE_ZNSN_ISO_Lb0ESR_SS_SU_SV_SZ_EES10_S11_S12_S13_S17_S18_S19_S1C_S1D_jS1E_jS1F_S1F_jjS1H_bEUljE0_EEES10_S11_S12_S19_S1D_S1F_T6_T7_T9_mT8_S1H_bDpT10_ENKUlT_T0_E_clISt17integral_constantIbLb0EES1U_IbLb1EEEEDaS1Q_S1R_EUlS1Q_E_NS1_11comp_targetILNS1_3genE9ELNS1_11target_archE1100ELNS1_3gpuE3ELNS1_3repE0EEENS1_30default_config_static_selectorELNS0_4arch9wavefront6targetE0EEEvS13_.kd
    .uniform_work_group_size: 1
    .uses_dynamic_stack: false
    .vgpr_count:     0
    .vgpr_spill_count: 0
    .wavefront_size: 32
    .workgroup_processor_mode: 1
  - .args:
      - .offset:         0
        .size:           184
        .value_kind:     by_value
    .group_segment_fixed_size: 0
    .kernarg_segment_align: 8
    .kernarg_segment_size: 184
    .language:       OpenCL C
    .language_version:
      - 2
      - 0
    .max_flat_workgroup_size: 256
    .name:           _ZN7rocprim17ROCPRIM_400000_NS6detail17trampoline_kernelINS0_13select_configILj256ELj13ELNS0_17block_load_methodE3ELS4_3ELS4_3ELNS0_20block_scan_algorithmE0ELj4294967295EEENS1_25partition_config_selectorILNS1_17partition_subalgoE4EjNS0_10empty_typeEbEEZZNS1_14partition_implILS8_4ELb0ES6_15HIP_vector_typeIjLj2EENS0_17counting_iteratorIjlEEPS9_SG_NS0_5tupleIJPjSI_NS0_16reverse_iteratorISI_EEEEENSH_IJSG_SG_SG_EEES9_SI_JZNS1_25segmented_radix_sort_implINS0_14default_configELb0EPK6__halfPSP_PKlPlN2at6native12_GLOBAL__N_18offset_tEEE10hipError_tPvRmT1_PNSt15iterator_traitsIS13_E10value_typeET2_T3_PNS14_IS19_E10value_typeET4_jRbjT5_S1F_jjP12ihipStream_tbEUljE_ZNSN_ISO_Lb0ESR_SS_SU_SV_SZ_EES10_S11_S12_S13_S17_S18_S19_S1C_S1D_jS1E_jS1F_S1F_jjS1H_bEUljE0_EEES10_S11_S12_S19_S1D_S1F_T6_T7_T9_mT8_S1H_bDpT10_ENKUlT_T0_E_clISt17integral_constantIbLb0EES1U_IbLb1EEEEDaS1Q_S1R_EUlS1Q_E_NS1_11comp_targetILNS1_3genE8ELNS1_11target_archE1030ELNS1_3gpuE2ELNS1_3repE0EEENS1_30default_config_static_selectorELNS0_4arch9wavefront6targetE0EEEvS13_
    .private_segment_fixed_size: 0
    .sgpr_count:     0
    .sgpr_spill_count: 0
    .symbol:         _ZN7rocprim17ROCPRIM_400000_NS6detail17trampoline_kernelINS0_13select_configILj256ELj13ELNS0_17block_load_methodE3ELS4_3ELS4_3ELNS0_20block_scan_algorithmE0ELj4294967295EEENS1_25partition_config_selectorILNS1_17partition_subalgoE4EjNS0_10empty_typeEbEEZZNS1_14partition_implILS8_4ELb0ES6_15HIP_vector_typeIjLj2EENS0_17counting_iteratorIjlEEPS9_SG_NS0_5tupleIJPjSI_NS0_16reverse_iteratorISI_EEEEENSH_IJSG_SG_SG_EEES9_SI_JZNS1_25segmented_radix_sort_implINS0_14default_configELb0EPK6__halfPSP_PKlPlN2at6native12_GLOBAL__N_18offset_tEEE10hipError_tPvRmT1_PNSt15iterator_traitsIS13_E10value_typeET2_T3_PNS14_IS19_E10value_typeET4_jRbjT5_S1F_jjP12ihipStream_tbEUljE_ZNSN_ISO_Lb0ESR_SS_SU_SV_SZ_EES10_S11_S12_S13_S17_S18_S19_S1C_S1D_jS1E_jS1F_S1F_jjS1H_bEUljE0_EEES10_S11_S12_S19_S1D_S1F_T6_T7_T9_mT8_S1H_bDpT10_ENKUlT_T0_E_clISt17integral_constantIbLb0EES1U_IbLb1EEEEDaS1Q_S1R_EUlS1Q_E_NS1_11comp_targetILNS1_3genE8ELNS1_11target_archE1030ELNS1_3gpuE2ELNS1_3repE0EEENS1_30default_config_static_selectorELNS0_4arch9wavefront6targetE0EEEvS13_.kd
    .uniform_work_group_size: 1
    .uses_dynamic_stack: false
    .vgpr_count:     0
    .vgpr_spill_count: 0
    .wavefront_size: 32
    .workgroup_processor_mode: 1
  - .args:
      - .offset:         0
        .size:           144
        .value_kind:     by_value
    .group_segment_fixed_size: 0
    .kernarg_segment_align: 8
    .kernarg_segment_size: 144
    .language:       OpenCL C
    .language_version:
      - 2
      - 0
    .max_flat_workgroup_size: 256
    .name:           _ZN7rocprim17ROCPRIM_400000_NS6detail17trampoline_kernelINS0_13select_configILj256ELj13ELNS0_17block_load_methodE3ELS4_3ELS4_3ELNS0_20block_scan_algorithmE0ELj4294967295EEENS1_25partition_config_selectorILNS1_17partition_subalgoE3EjNS0_10empty_typeEbEEZZNS1_14partition_implILS8_3ELb0ES6_jNS0_17counting_iteratorIjlEEPS9_SE_NS0_5tupleIJPjSE_EEENSF_IJSE_SE_EEES9_SG_JZNS1_25segmented_radix_sort_implINS0_14default_configELb0EPK6__halfPSL_PKlPlN2at6native12_GLOBAL__N_18offset_tEEE10hipError_tPvRmT1_PNSt15iterator_traitsISZ_E10value_typeET2_T3_PNS10_IS15_E10value_typeET4_jRbjT5_S1B_jjP12ihipStream_tbEUljE_EEESW_SX_SY_S15_S19_S1B_T6_T7_T9_mT8_S1D_bDpT10_ENKUlT_T0_E_clISt17integral_constantIbLb0EES1Q_EEDaS1L_S1M_EUlS1L_E_NS1_11comp_targetILNS1_3genE0ELNS1_11target_archE4294967295ELNS1_3gpuE0ELNS1_3repE0EEENS1_30default_config_static_selectorELNS0_4arch9wavefront6targetE0EEEvSZ_
    .private_segment_fixed_size: 0
    .sgpr_count:     0
    .sgpr_spill_count: 0
    .symbol:         _ZN7rocprim17ROCPRIM_400000_NS6detail17trampoline_kernelINS0_13select_configILj256ELj13ELNS0_17block_load_methodE3ELS4_3ELS4_3ELNS0_20block_scan_algorithmE0ELj4294967295EEENS1_25partition_config_selectorILNS1_17partition_subalgoE3EjNS0_10empty_typeEbEEZZNS1_14partition_implILS8_3ELb0ES6_jNS0_17counting_iteratorIjlEEPS9_SE_NS0_5tupleIJPjSE_EEENSF_IJSE_SE_EEES9_SG_JZNS1_25segmented_radix_sort_implINS0_14default_configELb0EPK6__halfPSL_PKlPlN2at6native12_GLOBAL__N_18offset_tEEE10hipError_tPvRmT1_PNSt15iterator_traitsISZ_E10value_typeET2_T3_PNS10_IS15_E10value_typeET4_jRbjT5_S1B_jjP12ihipStream_tbEUljE_EEESW_SX_SY_S15_S19_S1B_T6_T7_T9_mT8_S1D_bDpT10_ENKUlT_T0_E_clISt17integral_constantIbLb0EES1Q_EEDaS1L_S1M_EUlS1L_E_NS1_11comp_targetILNS1_3genE0ELNS1_11target_archE4294967295ELNS1_3gpuE0ELNS1_3repE0EEENS1_30default_config_static_selectorELNS0_4arch9wavefront6targetE0EEEvSZ_.kd
    .uniform_work_group_size: 1
    .uses_dynamic_stack: false
    .vgpr_count:     0
    .vgpr_spill_count: 0
    .wavefront_size: 32
    .workgroup_processor_mode: 1
  - .args:
      - .offset:         0
        .size:           144
        .value_kind:     by_value
    .group_segment_fixed_size: 0
    .kernarg_segment_align: 8
    .kernarg_segment_size: 144
    .language:       OpenCL C
    .language_version:
      - 2
      - 0
    .max_flat_workgroup_size: 256
    .name:           _ZN7rocprim17ROCPRIM_400000_NS6detail17trampoline_kernelINS0_13select_configILj256ELj13ELNS0_17block_load_methodE3ELS4_3ELS4_3ELNS0_20block_scan_algorithmE0ELj4294967295EEENS1_25partition_config_selectorILNS1_17partition_subalgoE3EjNS0_10empty_typeEbEEZZNS1_14partition_implILS8_3ELb0ES6_jNS0_17counting_iteratorIjlEEPS9_SE_NS0_5tupleIJPjSE_EEENSF_IJSE_SE_EEES9_SG_JZNS1_25segmented_radix_sort_implINS0_14default_configELb0EPK6__halfPSL_PKlPlN2at6native12_GLOBAL__N_18offset_tEEE10hipError_tPvRmT1_PNSt15iterator_traitsISZ_E10value_typeET2_T3_PNS10_IS15_E10value_typeET4_jRbjT5_S1B_jjP12ihipStream_tbEUljE_EEESW_SX_SY_S15_S19_S1B_T6_T7_T9_mT8_S1D_bDpT10_ENKUlT_T0_E_clISt17integral_constantIbLb0EES1Q_EEDaS1L_S1M_EUlS1L_E_NS1_11comp_targetILNS1_3genE5ELNS1_11target_archE942ELNS1_3gpuE9ELNS1_3repE0EEENS1_30default_config_static_selectorELNS0_4arch9wavefront6targetE0EEEvSZ_
    .private_segment_fixed_size: 0
    .sgpr_count:     0
    .sgpr_spill_count: 0
    .symbol:         _ZN7rocprim17ROCPRIM_400000_NS6detail17trampoline_kernelINS0_13select_configILj256ELj13ELNS0_17block_load_methodE3ELS4_3ELS4_3ELNS0_20block_scan_algorithmE0ELj4294967295EEENS1_25partition_config_selectorILNS1_17partition_subalgoE3EjNS0_10empty_typeEbEEZZNS1_14partition_implILS8_3ELb0ES6_jNS0_17counting_iteratorIjlEEPS9_SE_NS0_5tupleIJPjSE_EEENSF_IJSE_SE_EEES9_SG_JZNS1_25segmented_radix_sort_implINS0_14default_configELb0EPK6__halfPSL_PKlPlN2at6native12_GLOBAL__N_18offset_tEEE10hipError_tPvRmT1_PNSt15iterator_traitsISZ_E10value_typeET2_T3_PNS10_IS15_E10value_typeET4_jRbjT5_S1B_jjP12ihipStream_tbEUljE_EEESW_SX_SY_S15_S19_S1B_T6_T7_T9_mT8_S1D_bDpT10_ENKUlT_T0_E_clISt17integral_constantIbLb0EES1Q_EEDaS1L_S1M_EUlS1L_E_NS1_11comp_targetILNS1_3genE5ELNS1_11target_archE942ELNS1_3gpuE9ELNS1_3repE0EEENS1_30default_config_static_selectorELNS0_4arch9wavefront6targetE0EEEvSZ_.kd
    .uniform_work_group_size: 1
    .uses_dynamic_stack: false
    .vgpr_count:     0
    .vgpr_spill_count: 0
    .wavefront_size: 32
    .workgroup_processor_mode: 1
  - .args:
      - .offset:         0
        .size:           144
        .value_kind:     by_value
    .group_segment_fixed_size: 0
    .kernarg_segment_align: 8
    .kernarg_segment_size: 144
    .language:       OpenCL C
    .language_version:
      - 2
      - 0
    .max_flat_workgroup_size: 256
    .name:           _ZN7rocprim17ROCPRIM_400000_NS6detail17trampoline_kernelINS0_13select_configILj256ELj13ELNS0_17block_load_methodE3ELS4_3ELS4_3ELNS0_20block_scan_algorithmE0ELj4294967295EEENS1_25partition_config_selectorILNS1_17partition_subalgoE3EjNS0_10empty_typeEbEEZZNS1_14partition_implILS8_3ELb0ES6_jNS0_17counting_iteratorIjlEEPS9_SE_NS0_5tupleIJPjSE_EEENSF_IJSE_SE_EEES9_SG_JZNS1_25segmented_radix_sort_implINS0_14default_configELb0EPK6__halfPSL_PKlPlN2at6native12_GLOBAL__N_18offset_tEEE10hipError_tPvRmT1_PNSt15iterator_traitsISZ_E10value_typeET2_T3_PNS10_IS15_E10value_typeET4_jRbjT5_S1B_jjP12ihipStream_tbEUljE_EEESW_SX_SY_S15_S19_S1B_T6_T7_T9_mT8_S1D_bDpT10_ENKUlT_T0_E_clISt17integral_constantIbLb0EES1Q_EEDaS1L_S1M_EUlS1L_E_NS1_11comp_targetILNS1_3genE4ELNS1_11target_archE910ELNS1_3gpuE8ELNS1_3repE0EEENS1_30default_config_static_selectorELNS0_4arch9wavefront6targetE0EEEvSZ_
    .private_segment_fixed_size: 0
    .sgpr_count:     0
    .sgpr_spill_count: 0
    .symbol:         _ZN7rocprim17ROCPRIM_400000_NS6detail17trampoline_kernelINS0_13select_configILj256ELj13ELNS0_17block_load_methodE3ELS4_3ELS4_3ELNS0_20block_scan_algorithmE0ELj4294967295EEENS1_25partition_config_selectorILNS1_17partition_subalgoE3EjNS0_10empty_typeEbEEZZNS1_14partition_implILS8_3ELb0ES6_jNS0_17counting_iteratorIjlEEPS9_SE_NS0_5tupleIJPjSE_EEENSF_IJSE_SE_EEES9_SG_JZNS1_25segmented_radix_sort_implINS0_14default_configELb0EPK6__halfPSL_PKlPlN2at6native12_GLOBAL__N_18offset_tEEE10hipError_tPvRmT1_PNSt15iterator_traitsISZ_E10value_typeET2_T3_PNS10_IS15_E10value_typeET4_jRbjT5_S1B_jjP12ihipStream_tbEUljE_EEESW_SX_SY_S15_S19_S1B_T6_T7_T9_mT8_S1D_bDpT10_ENKUlT_T0_E_clISt17integral_constantIbLb0EES1Q_EEDaS1L_S1M_EUlS1L_E_NS1_11comp_targetILNS1_3genE4ELNS1_11target_archE910ELNS1_3gpuE8ELNS1_3repE0EEENS1_30default_config_static_selectorELNS0_4arch9wavefront6targetE0EEEvSZ_.kd
    .uniform_work_group_size: 1
    .uses_dynamic_stack: false
    .vgpr_count:     0
    .vgpr_spill_count: 0
    .wavefront_size: 32
    .workgroup_processor_mode: 1
  - .args:
      - .offset:         0
        .size:           144
        .value_kind:     by_value
    .group_segment_fixed_size: 0
    .kernarg_segment_align: 8
    .kernarg_segment_size: 144
    .language:       OpenCL C
    .language_version:
      - 2
      - 0
    .max_flat_workgroup_size: 256
    .name:           _ZN7rocprim17ROCPRIM_400000_NS6detail17trampoline_kernelINS0_13select_configILj256ELj13ELNS0_17block_load_methodE3ELS4_3ELS4_3ELNS0_20block_scan_algorithmE0ELj4294967295EEENS1_25partition_config_selectorILNS1_17partition_subalgoE3EjNS0_10empty_typeEbEEZZNS1_14partition_implILS8_3ELb0ES6_jNS0_17counting_iteratorIjlEEPS9_SE_NS0_5tupleIJPjSE_EEENSF_IJSE_SE_EEES9_SG_JZNS1_25segmented_radix_sort_implINS0_14default_configELb0EPK6__halfPSL_PKlPlN2at6native12_GLOBAL__N_18offset_tEEE10hipError_tPvRmT1_PNSt15iterator_traitsISZ_E10value_typeET2_T3_PNS10_IS15_E10value_typeET4_jRbjT5_S1B_jjP12ihipStream_tbEUljE_EEESW_SX_SY_S15_S19_S1B_T6_T7_T9_mT8_S1D_bDpT10_ENKUlT_T0_E_clISt17integral_constantIbLb0EES1Q_EEDaS1L_S1M_EUlS1L_E_NS1_11comp_targetILNS1_3genE3ELNS1_11target_archE908ELNS1_3gpuE7ELNS1_3repE0EEENS1_30default_config_static_selectorELNS0_4arch9wavefront6targetE0EEEvSZ_
    .private_segment_fixed_size: 0
    .sgpr_count:     0
    .sgpr_spill_count: 0
    .symbol:         _ZN7rocprim17ROCPRIM_400000_NS6detail17trampoline_kernelINS0_13select_configILj256ELj13ELNS0_17block_load_methodE3ELS4_3ELS4_3ELNS0_20block_scan_algorithmE0ELj4294967295EEENS1_25partition_config_selectorILNS1_17partition_subalgoE3EjNS0_10empty_typeEbEEZZNS1_14partition_implILS8_3ELb0ES6_jNS0_17counting_iteratorIjlEEPS9_SE_NS0_5tupleIJPjSE_EEENSF_IJSE_SE_EEES9_SG_JZNS1_25segmented_radix_sort_implINS0_14default_configELb0EPK6__halfPSL_PKlPlN2at6native12_GLOBAL__N_18offset_tEEE10hipError_tPvRmT1_PNSt15iterator_traitsISZ_E10value_typeET2_T3_PNS10_IS15_E10value_typeET4_jRbjT5_S1B_jjP12ihipStream_tbEUljE_EEESW_SX_SY_S15_S19_S1B_T6_T7_T9_mT8_S1D_bDpT10_ENKUlT_T0_E_clISt17integral_constantIbLb0EES1Q_EEDaS1L_S1M_EUlS1L_E_NS1_11comp_targetILNS1_3genE3ELNS1_11target_archE908ELNS1_3gpuE7ELNS1_3repE0EEENS1_30default_config_static_selectorELNS0_4arch9wavefront6targetE0EEEvSZ_.kd
    .uniform_work_group_size: 1
    .uses_dynamic_stack: false
    .vgpr_count:     0
    .vgpr_spill_count: 0
    .wavefront_size: 32
    .workgroup_processor_mode: 1
  - .args:
      - .offset:         0
        .size:           144
        .value_kind:     by_value
    .group_segment_fixed_size: 0
    .kernarg_segment_align: 8
    .kernarg_segment_size: 144
    .language:       OpenCL C
    .language_version:
      - 2
      - 0
    .max_flat_workgroup_size: 256
    .name:           _ZN7rocprim17ROCPRIM_400000_NS6detail17trampoline_kernelINS0_13select_configILj256ELj13ELNS0_17block_load_methodE3ELS4_3ELS4_3ELNS0_20block_scan_algorithmE0ELj4294967295EEENS1_25partition_config_selectorILNS1_17partition_subalgoE3EjNS0_10empty_typeEbEEZZNS1_14partition_implILS8_3ELb0ES6_jNS0_17counting_iteratorIjlEEPS9_SE_NS0_5tupleIJPjSE_EEENSF_IJSE_SE_EEES9_SG_JZNS1_25segmented_radix_sort_implINS0_14default_configELb0EPK6__halfPSL_PKlPlN2at6native12_GLOBAL__N_18offset_tEEE10hipError_tPvRmT1_PNSt15iterator_traitsISZ_E10value_typeET2_T3_PNS10_IS15_E10value_typeET4_jRbjT5_S1B_jjP12ihipStream_tbEUljE_EEESW_SX_SY_S15_S19_S1B_T6_T7_T9_mT8_S1D_bDpT10_ENKUlT_T0_E_clISt17integral_constantIbLb0EES1Q_EEDaS1L_S1M_EUlS1L_E_NS1_11comp_targetILNS1_3genE2ELNS1_11target_archE906ELNS1_3gpuE6ELNS1_3repE0EEENS1_30default_config_static_selectorELNS0_4arch9wavefront6targetE0EEEvSZ_
    .private_segment_fixed_size: 0
    .sgpr_count:     0
    .sgpr_spill_count: 0
    .symbol:         _ZN7rocprim17ROCPRIM_400000_NS6detail17trampoline_kernelINS0_13select_configILj256ELj13ELNS0_17block_load_methodE3ELS4_3ELS4_3ELNS0_20block_scan_algorithmE0ELj4294967295EEENS1_25partition_config_selectorILNS1_17partition_subalgoE3EjNS0_10empty_typeEbEEZZNS1_14partition_implILS8_3ELb0ES6_jNS0_17counting_iteratorIjlEEPS9_SE_NS0_5tupleIJPjSE_EEENSF_IJSE_SE_EEES9_SG_JZNS1_25segmented_radix_sort_implINS0_14default_configELb0EPK6__halfPSL_PKlPlN2at6native12_GLOBAL__N_18offset_tEEE10hipError_tPvRmT1_PNSt15iterator_traitsISZ_E10value_typeET2_T3_PNS10_IS15_E10value_typeET4_jRbjT5_S1B_jjP12ihipStream_tbEUljE_EEESW_SX_SY_S15_S19_S1B_T6_T7_T9_mT8_S1D_bDpT10_ENKUlT_T0_E_clISt17integral_constantIbLb0EES1Q_EEDaS1L_S1M_EUlS1L_E_NS1_11comp_targetILNS1_3genE2ELNS1_11target_archE906ELNS1_3gpuE6ELNS1_3repE0EEENS1_30default_config_static_selectorELNS0_4arch9wavefront6targetE0EEEvSZ_.kd
    .uniform_work_group_size: 1
    .uses_dynamic_stack: false
    .vgpr_count:     0
    .vgpr_spill_count: 0
    .wavefront_size: 32
    .workgroup_processor_mode: 1
  - .args:
      - .offset:         0
        .size:           144
        .value_kind:     by_value
    .group_segment_fixed_size: 13320
    .kernarg_segment_align: 8
    .kernarg_segment_size: 144
    .language:       OpenCL C
    .language_version:
      - 2
      - 0
    .max_flat_workgroup_size: 256
    .name:           _ZN7rocprim17ROCPRIM_400000_NS6detail17trampoline_kernelINS0_13select_configILj256ELj13ELNS0_17block_load_methodE3ELS4_3ELS4_3ELNS0_20block_scan_algorithmE0ELj4294967295EEENS1_25partition_config_selectorILNS1_17partition_subalgoE3EjNS0_10empty_typeEbEEZZNS1_14partition_implILS8_3ELb0ES6_jNS0_17counting_iteratorIjlEEPS9_SE_NS0_5tupleIJPjSE_EEENSF_IJSE_SE_EEES9_SG_JZNS1_25segmented_radix_sort_implINS0_14default_configELb0EPK6__halfPSL_PKlPlN2at6native12_GLOBAL__N_18offset_tEEE10hipError_tPvRmT1_PNSt15iterator_traitsISZ_E10value_typeET2_T3_PNS10_IS15_E10value_typeET4_jRbjT5_S1B_jjP12ihipStream_tbEUljE_EEESW_SX_SY_S15_S19_S1B_T6_T7_T9_mT8_S1D_bDpT10_ENKUlT_T0_E_clISt17integral_constantIbLb0EES1Q_EEDaS1L_S1M_EUlS1L_E_NS1_11comp_targetILNS1_3genE10ELNS1_11target_archE1200ELNS1_3gpuE4ELNS1_3repE0EEENS1_30default_config_static_selectorELNS0_4arch9wavefront6targetE0EEEvSZ_
    .private_segment_fixed_size: 0
    .sgpr_count:     28
    .sgpr_spill_count: 0
    .symbol:         _ZN7rocprim17ROCPRIM_400000_NS6detail17trampoline_kernelINS0_13select_configILj256ELj13ELNS0_17block_load_methodE3ELS4_3ELS4_3ELNS0_20block_scan_algorithmE0ELj4294967295EEENS1_25partition_config_selectorILNS1_17partition_subalgoE3EjNS0_10empty_typeEbEEZZNS1_14partition_implILS8_3ELb0ES6_jNS0_17counting_iteratorIjlEEPS9_SE_NS0_5tupleIJPjSE_EEENSF_IJSE_SE_EEES9_SG_JZNS1_25segmented_radix_sort_implINS0_14default_configELb0EPK6__halfPSL_PKlPlN2at6native12_GLOBAL__N_18offset_tEEE10hipError_tPvRmT1_PNSt15iterator_traitsISZ_E10value_typeET2_T3_PNS10_IS15_E10value_typeET4_jRbjT5_S1B_jjP12ihipStream_tbEUljE_EEESW_SX_SY_S15_S19_S1B_T6_T7_T9_mT8_S1D_bDpT10_ENKUlT_T0_E_clISt17integral_constantIbLb0EES1Q_EEDaS1L_S1M_EUlS1L_E_NS1_11comp_targetILNS1_3genE10ELNS1_11target_archE1200ELNS1_3gpuE4ELNS1_3repE0EEENS1_30default_config_static_selectorELNS0_4arch9wavefront6targetE0EEEvSZ_.kd
    .uniform_work_group_size: 1
    .uses_dynamic_stack: false
    .vgpr_count:     69
    .vgpr_spill_count: 0
    .wavefront_size: 32
    .workgroup_processor_mode: 1
  - .args:
      - .offset:         0
        .size:           144
        .value_kind:     by_value
    .group_segment_fixed_size: 0
    .kernarg_segment_align: 8
    .kernarg_segment_size: 144
    .language:       OpenCL C
    .language_version:
      - 2
      - 0
    .max_flat_workgroup_size: 256
    .name:           _ZN7rocprim17ROCPRIM_400000_NS6detail17trampoline_kernelINS0_13select_configILj256ELj13ELNS0_17block_load_methodE3ELS4_3ELS4_3ELNS0_20block_scan_algorithmE0ELj4294967295EEENS1_25partition_config_selectorILNS1_17partition_subalgoE3EjNS0_10empty_typeEbEEZZNS1_14partition_implILS8_3ELb0ES6_jNS0_17counting_iteratorIjlEEPS9_SE_NS0_5tupleIJPjSE_EEENSF_IJSE_SE_EEES9_SG_JZNS1_25segmented_radix_sort_implINS0_14default_configELb0EPK6__halfPSL_PKlPlN2at6native12_GLOBAL__N_18offset_tEEE10hipError_tPvRmT1_PNSt15iterator_traitsISZ_E10value_typeET2_T3_PNS10_IS15_E10value_typeET4_jRbjT5_S1B_jjP12ihipStream_tbEUljE_EEESW_SX_SY_S15_S19_S1B_T6_T7_T9_mT8_S1D_bDpT10_ENKUlT_T0_E_clISt17integral_constantIbLb0EES1Q_EEDaS1L_S1M_EUlS1L_E_NS1_11comp_targetILNS1_3genE9ELNS1_11target_archE1100ELNS1_3gpuE3ELNS1_3repE0EEENS1_30default_config_static_selectorELNS0_4arch9wavefront6targetE0EEEvSZ_
    .private_segment_fixed_size: 0
    .sgpr_count:     0
    .sgpr_spill_count: 0
    .symbol:         _ZN7rocprim17ROCPRIM_400000_NS6detail17trampoline_kernelINS0_13select_configILj256ELj13ELNS0_17block_load_methodE3ELS4_3ELS4_3ELNS0_20block_scan_algorithmE0ELj4294967295EEENS1_25partition_config_selectorILNS1_17partition_subalgoE3EjNS0_10empty_typeEbEEZZNS1_14partition_implILS8_3ELb0ES6_jNS0_17counting_iteratorIjlEEPS9_SE_NS0_5tupleIJPjSE_EEENSF_IJSE_SE_EEES9_SG_JZNS1_25segmented_radix_sort_implINS0_14default_configELb0EPK6__halfPSL_PKlPlN2at6native12_GLOBAL__N_18offset_tEEE10hipError_tPvRmT1_PNSt15iterator_traitsISZ_E10value_typeET2_T3_PNS10_IS15_E10value_typeET4_jRbjT5_S1B_jjP12ihipStream_tbEUljE_EEESW_SX_SY_S15_S19_S1B_T6_T7_T9_mT8_S1D_bDpT10_ENKUlT_T0_E_clISt17integral_constantIbLb0EES1Q_EEDaS1L_S1M_EUlS1L_E_NS1_11comp_targetILNS1_3genE9ELNS1_11target_archE1100ELNS1_3gpuE3ELNS1_3repE0EEENS1_30default_config_static_selectorELNS0_4arch9wavefront6targetE0EEEvSZ_.kd
    .uniform_work_group_size: 1
    .uses_dynamic_stack: false
    .vgpr_count:     0
    .vgpr_spill_count: 0
    .wavefront_size: 32
    .workgroup_processor_mode: 1
  - .args:
      - .offset:         0
        .size:           144
        .value_kind:     by_value
    .group_segment_fixed_size: 0
    .kernarg_segment_align: 8
    .kernarg_segment_size: 144
    .language:       OpenCL C
    .language_version:
      - 2
      - 0
    .max_flat_workgroup_size: 256
    .name:           _ZN7rocprim17ROCPRIM_400000_NS6detail17trampoline_kernelINS0_13select_configILj256ELj13ELNS0_17block_load_methodE3ELS4_3ELS4_3ELNS0_20block_scan_algorithmE0ELj4294967295EEENS1_25partition_config_selectorILNS1_17partition_subalgoE3EjNS0_10empty_typeEbEEZZNS1_14partition_implILS8_3ELb0ES6_jNS0_17counting_iteratorIjlEEPS9_SE_NS0_5tupleIJPjSE_EEENSF_IJSE_SE_EEES9_SG_JZNS1_25segmented_radix_sort_implINS0_14default_configELb0EPK6__halfPSL_PKlPlN2at6native12_GLOBAL__N_18offset_tEEE10hipError_tPvRmT1_PNSt15iterator_traitsISZ_E10value_typeET2_T3_PNS10_IS15_E10value_typeET4_jRbjT5_S1B_jjP12ihipStream_tbEUljE_EEESW_SX_SY_S15_S19_S1B_T6_T7_T9_mT8_S1D_bDpT10_ENKUlT_T0_E_clISt17integral_constantIbLb0EES1Q_EEDaS1L_S1M_EUlS1L_E_NS1_11comp_targetILNS1_3genE8ELNS1_11target_archE1030ELNS1_3gpuE2ELNS1_3repE0EEENS1_30default_config_static_selectorELNS0_4arch9wavefront6targetE0EEEvSZ_
    .private_segment_fixed_size: 0
    .sgpr_count:     0
    .sgpr_spill_count: 0
    .symbol:         _ZN7rocprim17ROCPRIM_400000_NS6detail17trampoline_kernelINS0_13select_configILj256ELj13ELNS0_17block_load_methodE3ELS4_3ELS4_3ELNS0_20block_scan_algorithmE0ELj4294967295EEENS1_25partition_config_selectorILNS1_17partition_subalgoE3EjNS0_10empty_typeEbEEZZNS1_14partition_implILS8_3ELb0ES6_jNS0_17counting_iteratorIjlEEPS9_SE_NS0_5tupleIJPjSE_EEENSF_IJSE_SE_EEES9_SG_JZNS1_25segmented_radix_sort_implINS0_14default_configELb0EPK6__halfPSL_PKlPlN2at6native12_GLOBAL__N_18offset_tEEE10hipError_tPvRmT1_PNSt15iterator_traitsISZ_E10value_typeET2_T3_PNS10_IS15_E10value_typeET4_jRbjT5_S1B_jjP12ihipStream_tbEUljE_EEESW_SX_SY_S15_S19_S1B_T6_T7_T9_mT8_S1D_bDpT10_ENKUlT_T0_E_clISt17integral_constantIbLb0EES1Q_EEDaS1L_S1M_EUlS1L_E_NS1_11comp_targetILNS1_3genE8ELNS1_11target_archE1030ELNS1_3gpuE2ELNS1_3repE0EEENS1_30default_config_static_selectorELNS0_4arch9wavefront6targetE0EEEvSZ_.kd
    .uniform_work_group_size: 1
    .uses_dynamic_stack: false
    .vgpr_count:     0
    .vgpr_spill_count: 0
    .wavefront_size: 32
    .workgroup_processor_mode: 1
  - .args:
      - .offset:         0
        .size:           152
        .value_kind:     by_value
    .group_segment_fixed_size: 0
    .kernarg_segment_align: 8
    .kernarg_segment_size: 152
    .language:       OpenCL C
    .language_version:
      - 2
      - 0
    .max_flat_workgroup_size: 256
    .name:           _ZN7rocprim17ROCPRIM_400000_NS6detail17trampoline_kernelINS0_13select_configILj256ELj13ELNS0_17block_load_methodE3ELS4_3ELS4_3ELNS0_20block_scan_algorithmE0ELj4294967295EEENS1_25partition_config_selectorILNS1_17partition_subalgoE3EjNS0_10empty_typeEbEEZZNS1_14partition_implILS8_3ELb0ES6_jNS0_17counting_iteratorIjlEEPS9_SE_NS0_5tupleIJPjSE_EEENSF_IJSE_SE_EEES9_SG_JZNS1_25segmented_radix_sort_implINS0_14default_configELb0EPK6__halfPSL_PKlPlN2at6native12_GLOBAL__N_18offset_tEEE10hipError_tPvRmT1_PNSt15iterator_traitsISZ_E10value_typeET2_T3_PNS10_IS15_E10value_typeET4_jRbjT5_S1B_jjP12ihipStream_tbEUljE_EEESW_SX_SY_S15_S19_S1B_T6_T7_T9_mT8_S1D_bDpT10_ENKUlT_T0_E_clISt17integral_constantIbLb1EES1Q_EEDaS1L_S1M_EUlS1L_E_NS1_11comp_targetILNS1_3genE0ELNS1_11target_archE4294967295ELNS1_3gpuE0ELNS1_3repE0EEENS1_30default_config_static_selectorELNS0_4arch9wavefront6targetE0EEEvSZ_
    .private_segment_fixed_size: 0
    .sgpr_count:     0
    .sgpr_spill_count: 0
    .symbol:         _ZN7rocprim17ROCPRIM_400000_NS6detail17trampoline_kernelINS0_13select_configILj256ELj13ELNS0_17block_load_methodE3ELS4_3ELS4_3ELNS0_20block_scan_algorithmE0ELj4294967295EEENS1_25partition_config_selectorILNS1_17partition_subalgoE3EjNS0_10empty_typeEbEEZZNS1_14partition_implILS8_3ELb0ES6_jNS0_17counting_iteratorIjlEEPS9_SE_NS0_5tupleIJPjSE_EEENSF_IJSE_SE_EEES9_SG_JZNS1_25segmented_radix_sort_implINS0_14default_configELb0EPK6__halfPSL_PKlPlN2at6native12_GLOBAL__N_18offset_tEEE10hipError_tPvRmT1_PNSt15iterator_traitsISZ_E10value_typeET2_T3_PNS10_IS15_E10value_typeET4_jRbjT5_S1B_jjP12ihipStream_tbEUljE_EEESW_SX_SY_S15_S19_S1B_T6_T7_T9_mT8_S1D_bDpT10_ENKUlT_T0_E_clISt17integral_constantIbLb1EES1Q_EEDaS1L_S1M_EUlS1L_E_NS1_11comp_targetILNS1_3genE0ELNS1_11target_archE4294967295ELNS1_3gpuE0ELNS1_3repE0EEENS1_30default_config_static_selectorELNS0_4arch9wavefront6targetE0EEEvSZ_.kd
    .uniform_work_group_size: 1
    .uses_dynamic_stack: false
    .vgpr_count:     0
    .vgpr_spill_count: 0
    .wavefront_size: 32
    .workgroup_processor_mode: 1
  - .args:
      - .offset:         0
        .size:           152
        .value_kind:     by_value
    .group_segment_fixed_size: 0
    .kernarg_segment_align: 8
    .kernarg_segment_size: 152
    .language:       OpenCL C
    .language_version:
      - 2
      - 0
    .max_flat_workgroup_size: 256
    .name:           _ZN7rocprim17ROCPRIM_400000_NS6detail17trampoline_kernelINS0_13select_configILj256ELj13ELNS0_17block_load_methodE3ELS4_3ELS4_3ELNS0_20block_scan_algorithmE0ELj4294967295EEENS1_25partition_config_selectorILNS1_17partition_subalgoE3EjNS0_10empty_typeEbEEZZNS1_14partition_implILS8_3ELb0ES6_jNS0_17counting_iteratorIjlEEPS9_SE_NS0_5tupleIJPjSE_EEENSF_IJSE_SE_EEES9_SG_JZNS1_25segmented_radix_sort_implINS0_14default_configELb0EPK6__halfPSL_PKlPlN2at6native12_GLOBAL__N_18offset_tEEE10hipError_tPvRmT1_PNSt15iterator_traitsISZ_E10value_typeET2_T3_PNS10_IS15_E10value_typeET4_jRbjT5_S1B_jjP12ihipStream_tbEUljE_EEESW_SX_SY_S15_S19_S1B_T6_T7_T9_mT8_S1D_bDpT10_ENKUlT_T0_E_clISt17integral_constantIbLb1EES1Q_EEDaS1L_S1M_EUlS1L_E_NS1_11comp_targetILNS1_3genE5ELNS1_11target_archE942ELNS1_3gpuE9ELNS1_3repE0EEENS1_30default_config_static_selectorELNS0_4arch9wavefront6targetE0EEEvSZ_
    .private_segment_fixed_size: 0
    .sgpr_count:     0
    .sgpr_spill_count: 0
    .symbol:         _ZN7rocprim17ROCPRIM_400000_NS6detail17trampoline_kernelINS0_13select_configILj256ELj13ELNS0_17block_load_methodE3ELS4_3ELS4_3ELNS0_20block_scan_algorithmE0ELj4294967295EEENS1_25partition_config_selectorILNS1_17partition_subalgoE3EjNS0_10empty_typeEbEEZZNS1_14partition_implILS8_3ELb0ES6_jNS0_17counting_iteratorIjlEEPS9_SE_NS0_5tupleIJPjSE_EEENSF_IJSE_SE_EEES9_SG_JZNS1_25segmented_radix_sort_implINS0_14default_configELb0EPK6__halfPSL_PKlPlN2at6native12_GLOBAL__N_18offset_tEEE10hipError_tPvRmT1_PNSt15iterator_traitsISZ_E10value_typeET2_T3_PNS10_IS15_E10value_typeET4_jRbjT5_S1B_jjP12ihipStream_tbEUljE_EEESW_SX_SY_S15_S19_S1B_T6_T7_T9_mT8_S1D_bDpT10_ENKUlT_T0_E_clISt17integral_constantIbLb1EES1Q_EEDaS1L_S1M_EUlS1L_E_NS1_11comp_targetILNS1_3genE5ELNS1_11target_archE942ELNS1_3gpuE9ELNS1_3repE0EEENS1_30default_config_static_selectorELNS0_4arch9wavefront6targetE0EEEvSZ_.kd
    .uniform_work_group_size: 1
    .uses_dynamic_stack: false
    .vgpr_count:     0
    .vgpr_spill_count: 0
    .wavefront_size: 32
    .workgroup_processor_mode: 1
  - .args:
      - .offset:         0
        .size:           152
        .value_kind:     by_value
    .group_segment_fixed_size: 0
    .kernarg_segment_align: 8
    .kernarg_segment_size: 152
    .language:       OpenCL C
    .language_version:
      - 2
      - 0
    .max_flat_workgroup_size: 256
    .name:           _ZN7rocprim17ROCPRIM_400000_NS6detail17trampoline_kernelINS0_13select_configILj256ELj13ELNS0_17block_load_methodE3ELS4_3ELS4_3ELNS0_20block_scan_algorithmE0ELj4294967295EEENS1_25partition_config_selectorILNS1_17partition_subalgoE3EjNS0_10empty_typeEbEEZZNS1_14partition_implILS8_3ELb0ES6_jNS0_17counting_iteratorIjlEEPS9_SE_NS0_5tupleIJPjSE_EEENSF_IJSE_SE_EEES9_SG_JZNS1_25segmented_radix_sort_implINS0_14default_configELb0EPK6__halfPSL_PKlPlN2at6native12_GLOBAL__N_18offset_tEEE10hipError_tPvRmT1_PNSt15iterator_traitsISZ_E10value_typeET2_T3_PNS10_IS15_E10value_typeET4_jRbjT5_S1B_jjP12ihipStream_tbEUljE_EEESW_SX_SY_S15_S19_S1B_T6_T7_T9_mT8_S1D_bDpT10_ENKUlT_T0_E_clISt17integral_constantIbLb1EES1Q_EEDaS1L_S1M_EUlS1L_E_NS1_11comp_targetILNS1_3genE4ELNS1_11target_archE910ELNS1_3gpuE8ELNS1_3repE0EEENS1_30default_config_static_selectorELNS0_4arch9wavefront6targetE0EEEvSZ_
    .private_segment_fixed_size: 0
    .sgpr_count:     0
    .sgpr_spill_count: 0
    .symbol:         _ZN7rocprim17ROCPRIM_400000_NS6detail17trampoline_kernelINS0_13select_configILj256ELj13ELNS0_17block_load_methodE3ELS4_3ELS4_3ELNS0_20block_scan_algorithmE0ELj4294967295EEENS1_25partition_config_selectorILNS1_17partition_subalgoE3EjNS0_10empty_typeEbEEZZNS1_14partition_implILS8_3ELb0ES6_jNS0_17counting_iteratorIjlEEPS9_SE_NS0_5tupleIJPjSE_EEENSF_IJSE_SE_EEES9_SG_JZNS1_25segmented_radix_sort_implINS0_14default_configELb0EPK6__halfPSL_PKlPlN2at6native12_GLOBAL__N_18offset_tEEE10hipError_tPvRmT1_PNSt15iterator_traitsISZ_E10value_typeET2_T3_PNS10_IS15_E10value_typeET4_jRbjT5_S1B_jjP12ihipStream_tbEUljE_EEESW_SX_SY_S15_S19_S1B_T6_T7_T9_mT8_S1D_bDpT10_ENKUlT_T0_E_clISt17integral_constantIbLb1EES1Q_EEDaS1L_S1M_EUlS1L_E_NS1_11comp_targetILNS1_3genE4ELNS1_11target_archE910ELNS1_3gpuE8ELNS1_3repE0EEENS1_30default_config_static_selectorELNS0_4arch9wavefront6targetE0EEEvSZ_.kd
    .uniform_work_group_size: 1
    .uses_dynamic_stack: false
    .vgpr_count:     0
    .vgpr_spill_count: 0
    .wavefront_size: 32
    .workgroup_processor_mode: 1
  - .args:
      - .offset:         0
        .size:           152
        .value_kind:     by_value
    .group_segment_fixed_size: 0
    .kernarg_segment_align: 8
    .kernarg_segment_size: 152
    .language:       OpenCL C
    .language_version:
      - 2
      - 0
    .max_flat_workgroup_size: 256
    .name:           _ZN7rocprim17ROCPRIM_400000_NS6detail17trampoline_kernelINS0_13select_configILj256ELj13ELNS0_17block_load_methodE3ELS4_3ELS4_3ELNS0_20block_scan_algorithmE0ELj4294967295EEENS1_25partition_config_selectorILNS1_17partition_subalgoE3EjNS0_10empty_typeEbEEZZNS1_14partition_implILS8_3ELb0ES6_jNS0_17counting_iteratorIjlEEPS9_SE_NS0_5tupleIJPjSE_EEENSF_IJSE_SE_EEES9_SG_JZNS1_25segmented_radix_sort_implINS0_14default_configELb0EPK6__halfPSL_PKlPlN2at6native12_GLOBAL__N_18offset_tEEE10hipError_tPvRmT1_PNSt15iterator_traitsISZ_E10value_typeET2_T3_PNS10_IS15_E10value_typeET4_jRbjT5_S1B_jjP12ihipStream_tbEUljE_EEESW_SX_SY_S15_S19_S1B_T6_T7_T9_mT8_S1D_bDpT10_ENKUlT_T0_E_clISt17integral_constantIbLb1EES1Q_EEDaS1L_S1M_EUlS1L_E_NS1_11comp_targetILNS1_3genE3ELNS1_11target_archE908ELNS1_3gpuE7ELNS1_3repE0EEENS1_30default_config_static_selectorELNS0_4arch9wavefront6targetE0EEEvSZ_
    .private_segment_fixed_size: 0
    .sgpr_count:     0
    .sgpr_spill_count: 0
    .symbol:         _ZN7rocprim17ROCPRIM_400000_NS6detail17trampoline_kernelINS0_13select_configILj256ELj13ELNS0_17block_load_methodE3ELS4_3ELS4_3ELNS0_20block_scan_algorithmE0ELj4294967295EEENS1_25partition_config_selectorILNS1_17partition_subalgoE3EjNS0_10empty_typeEbEEZZNS1_14partition_implILS8_3ELb0ES6_jNS0_17counting_iteratorIjlEEPS9_SE_NS0_5tupleIJPjSE_EEENSF_IJSE_SE_EEES9_SG_JZNS1_25segmented_radix_sort_implINS0_14default_configELb0EPK6__halfPSL_PKlPlN2at6native12_GLOBAL__N_18offset_tEEE10hipError_tPvRmT1_PNSt15iterator_traitsISZ_E10value_typeET2_T3_PNS10_IS15_E10value_typeET4_jRbjT5_S1B_jjP12ihipStream_tbEUljE_EEESW_SX_SY_S15_S19_S1B_T6_T7_T9_mT8_S1D_bDpT10_ENKUlT_T0_E_clISt17integral_constantIbLb1EES1Q_EEDaS1L_S1M_EUlS1L_E_NS1_11comp_targetILNS1_3genE3ELNS1_11target_archE908ELNS1_3gpuE7ELNS1_3repE0EEENS1_30default_config_static_selectorELNS0_4arch9wavefront6targetE0EEEvSZ_.kd
    .uniform_work_group_size: 1
    .uses_dynamic_stack: false
    .vgpr_count:     0
    .vgpr_spill_count: 0
    .wavefront_size: 32
    .workgroup_processor_mode: 1
  - .args:
      - .offset:         0
        .size:           152
        .value_kind:     by_value
    .group_segment_fixed_size: 0
    .kernarg_segment_align: 8
    .kernarg_segment_size: 152
    .language:       OpenCL C
    .language_version:
      - 2
      - 0
    .max_flat_workgroup_size: 256
    .name:           _ZN7rocprim17ROCPRIM_400000_NS6detail17trampoline_kernelINS0_13select_configILj256ELj13ELNS0_17block_load_methodE3ELS4_3ELS4_3ELNS0_20block_scan_algorithmE0ELj4294967295EEENS1_25partition_config_selectorILNS1_17partition_subalgoE3EjNS0_10empty_typeEbEEZZNS1_14partition_implILS8_3ELb0ES6_jNS0_17counting_iteratorIjlEEPS9_SE_NS0_5tupleIJPjSE_EEENSF_IJSE_SE_EEES9_SG_JZNS1_25segmented_radix_sort_implINS0_14default_configELb0EPK6__halfPSL_PKlPlN2at6native12_GLOBAL__N_18offset_tEEE10hipError_tPvRmT1_PNSt15iterator_traitsISZ_E10value_typeET2_T3_PNS10_IS15_E10value_typeET4_jRbjT5_S1B_jjP12ihipStream_tbEUljE_EEESW_SX_SY_S15_S19_S1B_T6_T7_T9_mT8_S1D_bDpT10_ENKUlT_T0_E_clISt17integral_constantIbLb1EES1Q_EEDaS1L_S1M_EUlS1L_E_NS1_11comp_targetILNS1_3genE2ELNS1_11target_archE906ELNS1_3gpuE6ELNS1_3repE0EEENS1_30default_config_static_selectorELNS0_4arch9wavefront6targetE0EEEvSZ_
    .private_segment_fixed_size: 0
    .sgpr_count:     0
    .sgpr_spill_count: 0
    .symbol:         _ZN7rocprim17ROCPRIM_400000_NS6detail17trampoline_kernelINS0_13select_configILj256ELj13ELNS0_17block_load_methodE3ELS4_3ELS4_3ELNS0_20block_scan_algorithmE0ELj4294967295EEENS1_25partition_config_selectorILNS1_17partition_subalgoE3EjNS0_10empty_typeEbEEZZNS1_14partition_implILS8_3ELb0ES6_jNS0_17counting_iteratorIjlEEPS9_SE_NS0_5tupleIJPjSE_EEENSF_IJSE_SE_EEES9_SG_JZNS1_25segmented_radix_sort_implINS0_14default_configELb0EPK6__halfPSL_PKlPlN2at6native12_GLOBAL__N_18offset_tEEE10hipError_tPvRmT1_PNSt15iterator_traitsISZ_E10value_typeET2_T3_PNS10_IS15_E10value_typeET4_jRbjT5_S1B_jjP12ihipStream_tbEUljE_EEESW_SX_SY_S15_S19_S1B_T6_T7_T9_mT8_S1D_bDpT10_ENKUlT_T0_E_clISt17integral_constantIbLb1EES1Q_EEDaS1L_S1M_EUlS1L_E_NS1_11comp_targetILNS1_3genE2ELNS1_11target_archE906ELNS1_3gpuE6ELNS1_3repE0EEENS1_30default_config_static_selectorELNS0_4arch9wavefront6targetE0EEEvSZ_.kd
    .uniform_work_group_size: 1
    .uses_dynamic_stack: false
    .vgpr_count:     0
    .vgpr_spill_count: 0
    .wavefront_size: 32
    .workgroup_processor_mode: 1
  - .args:
      - .offset:         0
        .size:           152
        .value_kind:     by_value
    .group_segment_fixed_size: 0
    .kernarg_segment_align: 8
    .kernarg_segment_size: 152
    .language:       OpenCL C
    .language_version:
      - 2
      - 0
    .max_flat_workgroup_size: 256
    .name:           _ZN7rocprim17ROCPRIM_400000_NS6detail17trampoline_kernelINS0_13select_configILj256ELj13ELNS0_17block_load_methodE3ELS4_3ELS4_3ELNS0_20block_scan_algorithmE0ELj4294967295EEENS1_25partition_config_selectorILNS1_17partition_subalgoE3EjNS0_10empty_typeEbEEZZNS1_14partition_implILS8_3ELb0ES6_jNS0_17counting_iteratorIjlEEPS9_SE_NS0_5tupleIJPjSE_EEENSF_IJSE_SE_EEES9_SG_JZNS1_25segmented_radix_sort_implINS0_14default_configELb0EPK6__halfPSL_PKlPlN2at6native12_GLOBAL__N_18offset_tEEE10hipError_tPvRmT1_PNSt15iterator_traitsISZ_E10value_typeET2_T3_PNS10_IS15_E10value_typeET4_jRbjT5_S1B_jjP12ihipStream_tbEUljE_EEESW_SX_SY_S15_S19_S1B_T6_T7_T9_mT8_S1D_bDpT10_ENKUlT_T0_E_clISt17integral_constantIbLb1EES1Q_EEDaS1L_S1M_EUlS1L_E_NS1_11comp_targetILNS1_3genE10ELNS1_11target_archE1200ELNS1_3gpuE4ELNS1_3repE0EEENS1_30default_config_static_selectorELNS0_4arch9wavefront6targetE0EEEvSZ_
    .private_segment_fixed_size: 0
    .sgpr_count:     0
    .sgpr_spill_count: 0
    .symbol:         _ZN7rocprim17ROCPRIM_400000_NS6detail17trampoline_kernelINS0_13select_configILj256ELj13ELNS0_17block_load_methodE3ELS4_3ELS4_3ELNS0_20block_scan_algorithmE0ELj4294967295EEENS1_25partition_config_selectorILNS1_17partition_subalgoE3EjNS0_10empty_typeEbEEZZNS1_14partition_implILS8_3ELb0ES6_jNS0_17counting_iteratorIjlEEPS9_SE_NS0_5tupleIJPjSE_EEENSF_IJSE_SE_EEES9_SG_JZNS1_25segmented_radix_sort_implINS0_14default_configELb0EPK6__halfPSL_PKlPlN2at6native12_GLOBAL__N_18offset_tEEE10hipError_tPvRmT1_PNSt15iterator_traitsISZ_E10value_typeET2_T3_PNS10_IS15_E10value_typeET4_jRbjT5_S1B_jjP12ihipStream_tbEUljE_EEESW_SX_SY_S15_S19_S1B_T6_T7_T9_mT8_S1D_bDpT10_ENKUlT_T0_E_clISt17integral_constantIbLb1EES1Q_EEDaS1L_S1M_EUlS1L_E_NS1_11comp_targetILNS1_3genE10ELNS1_11target_archE1200ELNS1_3gpuE4ELNS1_3repE0EEENS1_30default_config_static_selectorELNS0_4arch9wavefront6targetE0EEEvSZ_.kd
    .uniform_work_group_size: 1
    .uses_dynamic_stack: false
    .vgpr_count:     0
    .vgpr_spill_count: 0
    .wavefront_size: 32
    .workgroup_processor_mode: 1
  - .args:
      - .offset:         0
        .size:           152
        .value_kind:     by_value
    .group_segment_fixed_size: 0
    .kernarg_segment_align: 8
    .kernarg_segment_size: 152
    .language:       OpenCL C
    .language_version:
      - 2
      - 0
    .max_flat_workgroup_size: 256
    .name:           _ZN7rocprim17ROCPRIM_400000_NS6detail17trampoline_kernelINS0_13select_configILj256ELj13ELNS0_17block_load_methodE3ELS4_3ELS4_3ELNS0_20block_scan_algorithmE0ELj4294967295EEENS1_25partition_config_selectorILNS1_17partition_subalgoE3EjNS0_10empty_typeEbEEZZNS1_14partition_implILS8_3ELb0ES6_jNS0_17counting_iteratorIjlEEPS9_SE_NS0_5tupleIJPjSE_EEENSF_IJSE_SE_EEES9_SG_JZNS1_25segmented_radix_sort_implINS0_14default_configELb0EPK6__halfPSL_PKlPlN2at6native12_GLOBAL__N_18offset_tEEE10hipError_tPvRmT1_PNSt15iterator_traitsISZ_E10value_typeET2_T3_PNS10_IS15_E10value_typeET4_jRbjT5_S1B_jjP12ihipStream_tbEUljE_EEESW_SX_SY_S15_S19_S1B_T6_T7_T9_mT8_S1D_bDpT10_ENKUlT_T0_E_clISt17integral_constantIbLb1EES1Q_EEDaS1L_S1M_EUlS1L_E_NS1_11comp_targetILNS1_3genE9ELNS1_11target_archE1100ELNS1_3gpuE3ELNS1_3repE0EEENS1_30default_config_static_selectorELNS0_4arch9wavefront6targetE0EEEvSZ_
    .private_segment_fixed_size: 0
    .sgpr_count:     0
    .sgpr_spill_count: 0
    .symbol:         _ZN7rocprim17ROCPRIM_400000_NS6detail17trampoline_kernelINS0_13select_configILj256ELj13ELNS0_17block_load_methodE3ELS4_3ELS4_3ELNS0_20block_scan_algorithmE0ELj4294967295EEENS1_25partition_config_selectorILNS1_17partition_subalgoE3EjNS0_10empty_typeEbEEZZNS1_14partition_implILS8_3ELb0ES6_jNS0_17counting_iteratorIjlEEPS9_SE_NS0_5tupleIJPjSE_EEENSF_IJSE_SE_EEES9_SG_JZNS1_25segmented_radix_sort_implINS0_14default_configELb0EPK6__halfPSL_PKlPlN2at6native12_GLOBAL__N_18offset_tEEE10hipError_tPvRmT1_PNSt15iterator_traitsISZ_E10value_typeET2_T3_PNS10_IS15_E10value_typeET4_jRbjT5_S1B_jjP12ihipStream_tbEUljE_EEESW_SX_SY_S15_S19_S1B_T6_T7_T9_mT8_S1D_bDpT10_ENKUlT_T0_E_clISt17integral_constantIbLb1EES1Q_EEDaS1L_S1M_EUlS1L_E_NS1_11comp_targetILNS1_3genE9ELNS1_11target_archE1100ELNS1_3gpuE3ELNS1_3repE0EEENS1_30default_config_static_selectorELNS0_4arch9wavefront6targetE0EEEvSZ_.kd
    .uniform_work_group_size: 1
    .uses_dynamic_stack: false
    .vgpr_count:     0
    .vgpr_spill_count: 0
    .wavefront_size: 32
    .workgroup_processor_mode: 1
  - .args:
      - .offset:         0
        .size:           152
        .value_kind:     by_value
    .group_segment_fixed_size: 0
    .kernarg_segment_align: 8
    .kernarg_segment_size: 152
    .language:       OpenCL C
    .language_version:
      - 2
      - 0
    .max_flat_workgroup_size: 256
    .name:           _ZN7rocprim17ROCPRIM_400000_NS6detail17trampoline_kernelINS0_13select_configILj256ELj13ELNS0_17block_load_methodE3ELS4_3ELS4_3ELNS0_20block_scan_algorithmE0ELj4294967295EEENS1_25partition_config_selectorILNS1_17partition_subalgoE3EjNS0_10empty_typeEbEEZZNS1_14partition_implILS8_3ELb0ES6_jNS0_17counting_iteratorIjlEEPS9_SE_NS0_5tupleIJPjSE_EEENSF_IJSE_SE_EEES9_SG_JZNS1_25segmented_radix_sort_implINS0_14default_configELb0EPK6__halfPSL_PKlPlN2at6native12_GLOBAL__N_18offset_tEEE10hipError_tPvRmT1_PNSt15iterator_traitsISZ_E10value_typeET2_T3_PNS10_IS15_E10value_typeET4_jRbjT5_S1B_jjP12ihipStream_tbEUljE_EEESW_SX_SY_S15_S19_S1B_T6_T7_T9_mT8_S1D_bDpT10_ENKUlT_T0_E_clISt17integral_constantIbLb1EES1Q_EEDaS1L_S1M_EUlS1L_E_NS1_11comp_targetILNS1_3genE8ELNS1_11target_archE1030ELNS1_3gpuE2ELNS1_3repE0EEENS1_30default_config_static_selectorELNS0_4arch9wavefront6targetE0EEEvSZ_
    .private_segment_fixed_size: 0
    .sgpr_count:     0
    .sgpr_spill_count: 0
    .symbol:         _ZN7rocprim17ROCPRIM_400000_NS6detail17trampoline_kernelINS0_13select_configILj256ELj13ELNS0_17block_load_methodE3ELS4_3ELS4_3ELNS0_20block_scan_algorithmE0ELj4294967295EEENS1_25partition_config_selectorILNS1_17partition_subalgoE3EjNS0_10empty_typeEbEEZZNS1_14partition_implILS8_3ELb0ES6_jNS0_17counting_iteratorIjlEEPS9_SE_NS0_5tupleIJPjSE_EEENSF_IJSE_SE_EEES9_SG_JZNS1_25segmented_radix_sort_implINS0_14default_configELb0EPK6__halfPSL_PKlPlN2at6native12_GLOBAL__N_18offset_tEEE10hipError_tPvRmT1_PNSt15iterator_traitsISZ_E10value_typeET2_T3_PNS10_IS15_E10value_typeET4_jRbjT5_S1B_jjP12ihipStream_tbEUljE_EEESW_SX_SY_S15_S19_S1B_T6_T7_T9_mT8_S1D_bDpT10_ENKUlT_T0_E_clISt17integral_constantIbLb1EES1Q_EEDaS1L_S1M_EUlS1L_E_NS1_11comp_targetILNS1_3genE8ELNS1_11target_archE1030ELNS1_3gpuE2ELNS1_3repE0EEENS1_30default_config_static_selectorELNS0_4arch9wavefront6targetE0EEEvSZ_.kd
    .uniform_work_group_size: 1
    .uses_dynamic_stack: false
    .vgpr_count:     0
    .vgpr_spill_count: 0
    .wavefront_size: 32
    .workgroup_processor_mode: 1
  - .args:
      - .offset:         0
        .size:           144
        .value_kind:     by_value
    .group_segment_fixed_size: 0
    .kernarg_segment_align: 8
    .kernarg_segment_size: 144
    .language:       OpenCL C
    .language_version:
      - 2
      - 0
    .max_flat_workgroup_size: 256
    .name:           _ZN7rocprim17ROCPRIM_400000_NS6detail17trampoline_kernelINS0_13select_configILj256ELj13ELNS0_17block_load_methodE3ELS4_3ELS4_3ELNS0_20block_scan_algorithmE0ELj4294967295EEENS1_25partition_config_selectorILNS1_17partition_subalgoE3EjNS0_10empty_typeEbEEZZNS1_14partition_implILS8_3ELb0ES6_jNS0_17counting_iteratorIjlEEPS9_SE_NS0_5tupleIJPjSE_EEENSF_IJSE_SE_EEES9_SG_JZNS1_25segmented_radix_sort_implINS0_14default_configELb0EPK6__halfPSL_PKlPlN2at6native12_GLOBAL__N_18offset_tEEE10hipError_tPvRmT1_PNSt15iterator_traitsISZ_E10value_typeET2_T3_PNS10_IS15_E10value_typeET4_jRbjT5_S1B_jjP12ihipStream_tbEUljE_EEESW_SX_SY_S15_S19_S1B_T6_T7_T9_mT8_S1D_bDpT10_ENKUlT_T0_E_clISt17integral_constantIbLb1EES1P_IbLb0EEEEDaS1L_S1M_EUlS1L_E_NS1_11comp_targetILNS1_3genE0ELNS1_11target_archE4294967295ELNS1_3gpuE0ELNS1_3repE0EEENS1_30default_config_static_selectorELNS0_4arch9wavefront6targetE0EEEvSZ_
    .private_segment_fixed_size: 0
    .sgpr_count:     0
    .sgpr_spill_count: 0
    .symbol:         _ZN7rocprim17ROCPRIM_400000_NS6detail17trampoline_kernelINS0_13select_configILj256ELj13ELNS0_17block_load_methodE3ELS4_3ELS4_3ELNS0_20block_scan_algorithmE0ELj4294967295EEENS1_25partition_config_selectorILNS1_17partition_subalgoE3EjNS0_10empty_typeEbEEZZNS1_14partition_implILS8_3ELb0ES6_jNS0_17counting_iteratorIjlEEPS9_SE_NS0_5tupleIJPjSE_EEENSF_IJSE_SE_EEES9_SG_JZNS1_25segmented_radix_sort_implINS0_14default_configELb0EPK6__halfPSL_PKlPlN2at6native12_GLOBAL__N_18offset_tEEE10hipError_tPvRmT1_PNSt15iterator_traitsISZ_E10value_typeET2_T3_PNS10_IS15_E10value_typeET4_jRbjT5_S1B_jjP12ihipStream_tbEUljE_EEESW_SX_SY_S15_S19_S1B_T6_T7_T9_mT8_S1D_bDpT10_ENKUlT_T0_E_clISt17integral_constantIbLb1EES1P_IbLb0EEEEDaS1L_S1M_EUlS1L_E_NS1_11comp_targetILNS1_3genE0ELNS1_11target_archE4294967295ELNS1_3gpuE0ELNS1_3repE0EEENS1_30default_config_static_selectorELNS0_4arch9wavefront6targetE0EEEvSZ_.kd
    .uniform_work_group_size: 1
    .uses_dynamic_stack: false
    .vgpr_count:     0
    .vgpr_spill_count: 0
    .wavefront_size: 32
    .workgroup_processor_mode: 1
  - .args:
      - .offset:         0
        .size:           144
        .value_kind:     by_value
    .group_segment_fixed_size: 0
    .kernarg_segment_align: 8
    .kernarg_segment_size: 144
    .language:       OpenCL C
    .language_version:
      - 2
      - 0
    .max_flat_workgroup_size: 256
    .name:           _ZN7rocprim17ROCPRIM_400000_NS6detail17trampoline_kernelINS0_13select_configILj256ELj13ELNS0_17block_load_methodE3ELS4_3ELS4_3ELNS0_20block_scan_algorithmE0ELj4294967295EEENS1_25partition_config_selectorILNS1_17partition_subalgoE3EjNS0_10empty_typeEbEEZZNS1_14partition_implILS8_3ELb0ES6_jNS0_17counting_iteratorIjlEEPS9_SE_NS0_5tupleIJPjSE_EEENSF_IJSE_SE_EEES9_SG_JZNS1_25segmented_radix_sort_implINS0_14default_configELb0EPK6__halfPSL_PKlPlN2at6native12_GLOBAL__N_18offset_tEEE10hipError_tPvRmT1_PNSt15iterator_traitsISZ_E10value_typeET2_T3_PNS10_IS15_E10value_typeET4_jRbjT5_S1B_jjP12ihipStream_tbEUljE_EEESW_SX_SY_S15_S19_S1B_T6_T7_T9_mT8_S1D_bDpT10_ENKUlT_T0_E_clISt17integral_constantIbLb1EES1P_IbLb0EEEEDaS1L_S1M_EUlS1L_E_NS1_11comp_targetILNS1_3genE5ELNS1_11target_archE942ELNS1_3gpuE9ELNS1_3repE0EEENS1_30default_config_static_selectorELNS0_4arch9wavefront6targetE0EEEvSZ_
    .private_segment_fixed_size: 0
    .sgpr_count:     0
    .sgpr_spill_count: 0
    .symbol:         _ZN7rocprim17ROCPRIM_400000_NS6detail17trampoline_kernelINS0_13select_configILj256ELj13ELNS0_17block_load_methodE3ELS4_3ELS4_3ELNS0_20block_scan_algorithmE0ELj4294967295EEENS1_25partition_config_selectorILNS1_17partition_subalgoE3EjNS0_10empty_typeEbEEZZNS1_14partition_implILS8_3ELb0ES6_jNS0_17counting_iteratorIjlEEPS9_SE_NS0_5tupleIJPjSE_EEENSF_IJSE_SE_EEES9_SG_JZNS1_25segmented_radix_sort_implINS0_14default_configELb0EPK6__halfPSL_PKlPlN2at6native12_GLOBAL__N_18offset_tEEE10hipError_tPvRmT1_PNSt15iterator_traitsISZ_E10value_typeET2_T3_PNS10_IS15_E10value_typeET4_jRbjT5_S1B_jjP12ihipStream_tbEUljE_EEESW_SX_SY_S15_S19_S1B_T6_T7_T9_mT8_S1D_bDpT10_ENKUlT_T0_E_clISt17integral_constantIbLb1EES1P_IbLb0EEEEDaS1L_S1M_EUlS1L_E_NS1_11comp_targetILNS1_3genE5ELNS1_11target_archE942ELNS1_3gpuE9ELNS1_3repE0EEENS1_30default_config_static_selectorELNS0_4arch9wavefront6targetE0EEEvSZ_.kd
    .uniform_work_group_size: 1
    .uses_dynamic_stack: false
    .vgpr_count:     0
    .vgpr_spill_count: 0
    .wavefront_size: 32
    .workgroup_processor_mode: 1
  - .args:
      - .offset:         0
        .size:           144
        .value_kind:     by_value
    .group_segment_fixed_size: 0
    .kernarg_segment_align: 8
    .kernarg_segment_size: 144
    .language:       OpenCL C
    .language_version:
      - 2
      - 0
    .max_flat_workgroup_size: 256
    .name:           _ZN7rocprim17ROCPRIM_400000_NS6detail17trampoline_kernelINS0_13select_configILj256ELj13ELNS0_17block_load_methodE3ELS4_3ELS4_3ELNS0_20block_scan_algorithmE0ELj4294967295EEENS1_25partition_config_selectorILNS1_17partition_subalgoE3EjNS0_10empty_typeEbEEZZNS1_14partition_implILS8_3ELb0ES6_jNS0_17counting_iteratorIjlEEPS9_SE_NS0_5tupleIJPjSE_EEENSF_IJSE_SE_EEES9_SG_JZNS1_25segmented_radix_sort_implINS0_14default_configELb0EPK6__halfPSL_PKlPlN2at6native12_GLOBAL__N_18offset_tEEE10hipError_tPvRmT1_PNSt15iterator_traitsISZ_E10value_typeET2_T3_PNS10_IS15_E10value_typeET4_jRbjT5_S1B_jjP12ihipStream_tbEUljE_EEESW_SX_SY_S15_S19_S1B_T6_T7_T9_mT8_S1D_bDpT10_ENKUlT_T0_E_clISt17integral_constantIbLb1EES1P_IbLb0EEEEDaS1L_S1M_EUlS1L_E_NS1_11comp_targetILNS1_3genE4ELNS1_11target_archE910ELNS1_3gpuE8ELNS1_3repE0EEENS1_30default_config_static_selectorELNS0_4arch9wavefront6targetE0EEEvSZ_
    .private_segment_fixed_size: 0
    .sgpr_count:     0
    .sgpr_spill_count: 0
    .symbol:         _ZN7rocprim17ROCPRIM_400000_NS6detail17trampoline_kernelINS0_13select_configILj256ELj13ELNS0_17block_load_methodE3ELS4_3ELS4_3ELNS0_20block_scan_algorithmE0ELj4294967295EEENS1_25partition_config_selectorILNS1_17partition_subalgoE3EjNS0_10empty_typeEbEEZZNS1_14partition_implILS8_3ELb0ES6_jNS0_17counting_iteratorIjlEEPS9_SE_NS0_5tupleIJPjSE_EEENSF_IJSE_SE_EEES9_SG_JZNS1_25segmented_radix_sort_implINS0_14default_configELb0EPK6__halfPSL_PKlPlN2at6native12_GLOBAL__N_18offset_tEEE10hipError_tPvRmT1_PNSt15iterator_traitsISZ_E10value_typeET2_T3_PNS10_IS15_E10value_typeET4_jRbjT5_S1B_jjP12ihipStream_tbEUljE_EEESW_SX_SY_S15_S19_S1B_T6_T7_T9_mT8_S1D_bDpT10_ENKUlT_T0_E_clISt17integral_constantIbLb1EES1P_IbLb0EEEEDaS1L_S1M_EUlS1L_E_NS1_11comp_targetILNS1_3genE4ELNS1_11target_archE910ELNS1_3gpuE8ELNS1_3repE0EEENS1_30default_config_static_selectorELNS0_4arch9wavefront6targetE0EEEvSZ_.kd
    .uniform_work_group_size: 1
    .uses_dynamic_stack: false
    .vgpr_count:     0
    .vgpr_spill_count: 0
    .wavefront_size: 32
    .workgroup_processor_mode: 1
  - .args:
      - .offset:         0
        .size:           144
        .value_kind:     by_value
    .group_segment_fixed_size: 0
    .kernarg_segment_align: 8
    .kernarg_segment_size: 144
    .language:       OpenCL C
    .language_version:
      - 2
      - 0
    .max_flat_workgroup_size: 256
    .name:           _ZN7rocprim17ROCPRIM_400000_NS6detail17trampoline_kernelINS0_13select_configILj256ELj13ELNS0_17block_load_methodE3ELS4_3ELS4_3ELNS0_20block_scan_algorithmE0ELj4294967295EEENS1_25partition_config_selectorILNS1_17partition_subalgoE3EjNS0_10empty_typeEbEEZZNS1_14partition_implILS8_3ELb0ES6_jNS0_17counting_iteratorIjlEEPS9_SE_NS0_5tupleIJPjSE_EEENSF_IJSE_SE_EEES9_SG_JZNS1_25segmented_radix_sort_implINS0_14default_configELb0EPK6__halfPSL_PKlPlN2at6native12_GLOBAL__N_18offset_tEEE10hipError_tPvRmT1_PNSt15iterator_traitsISZ_E10value_typeET2_T3_PNS10_IS15_E10value_typeET4_jRbjT5_S1B_jjP12ihipStream_tbEUljE_EEESW_SX_SY_S15_S19_S1B_T6_T7_T9_mT8_S1D_bDpT10_ENKUlT_T0_E_clISt17integral_constantIbLb1EES1P_IbLb0EEEEDaS1L_S1M_EUlS1L_E_NS1_11comp_targetILNS1_3genE3ELNS1_11target_archE908ELNS1_3gpuE7ELNS1_3repE0EEENS1_30default_config_static_selectorELNS0_4arch9wavefront6targetE0EEEvSZ_
    .private_segment_fixed_size: 0
    .sgpr_count:     0
    .sgpr_spill_count: 0
    .symbol:         _ZN7rocprim17ROCPRIM_400000_NS6detail17trampoline_kernelINS0_13select_configILj256ELj13ELNS0_17block_load_methodE3ELS4_3ELS4_3ELNS0_20block_scan_algorithmE0ELj4294967295EEENS1_25partition_config_selectorILNS1_17partition_subalgoE3EjNS0_10empty_typeEbEEZZNS1_14partition_implILS8_3ELb0ES6_jNS0_17counting_iteratorIjlEEPS9_SE_NS0_5tupleIJPjSE_EEENSF_IJSE_SE_EEES9_SG_JZNS1_25segmented_radix_sort_implINS0_14default_configELb0EPK6__halfPSL_PKlPlN2at6native12_GLOBAL__N_18offset_tEEE10hipError_tPvRmT1_PNSt15iterator_traitsISZ_E10value_typeET2_T3_PNS10_IS15_E10value_typeET4_jRbjT5_S1B_jjP12ihipStream_tbEUljE_EEESW_SX_SY_S15_S19_S1B_T6_T7_T9_mT8_S1D_bDpT10_ENKUlT_T0_E_clISt17integral_constantIbLb1EES1P_IbLb0EEEEDaS1L_S1M_EUlS1L_E_NS1_11comp_targetILNS1_3genE3ELNS1_11target_archE908ELNS1_3gpuE7ELNS1_3repE0EEENS1_30default_config_static_selectorELNS0_4arch9wavefront6targetE0EEEvSZ_.kd
    .uniform_work_group_size: 1
    .uses_dynamic_stack: false
    .vgpr_count:     0
    .vgpr_spill_count: 0
    .wavefront_size: 32
    .workgroup_processor_mode: 1
  - .args:
      - .offset:         0
        .size:           144
        .value_kind:     by_value
    .group_segment_fixed_size: 0
    .kernarg_segment_align: 8
    .kernarg_segment_size: 144
    .language:       OpenCL C
    .language_version:
      - 2
      - 0
    .max_flat_workgroup_size: 256
    .name:           _ZN7rocprim17ROCPRIM_400000_NS6detail17trampoline_kernelINS0_13select_configILj256ELj13ELNS0_17block_load_methodE3ELS4_3ELS4_3ELNS0_20block_scan_algorithmE0ELj4294967295EEENS1_25partition_config_selectorILNS1_17partition_subalgoE3EjNS0_10empty_typeEbEEZZNS1_14partition_implILS8_3ELb0ES6_jNS0_17counting_iteratorIjlEEPS9_SE_NS0_5tupleIJPjSE_EEENSF_IJSE_SE_EEES9_SG_JZNS1_25segmented_radix_sort_implINS0_14default_configELb0EPK6__halfPSL_PKlPlN2at6native12_GLOBAL__N_18offset_tEEE10hipError_tPvRmT1_PNSt15iterator_traitsISZ_E10value_typeET2_T3_PNS10_IS15_E10value_typeET4_jRbjT5_S1B_jjP12ihipStream_tbEUljE_EEESW_SX_SY_S15_S19_S1B_T6_T7_T9_mT8_S1D_bDpT10_ENKUlT_T0_E_clISt17integral_constantIbLb1EES1P_IbLb0EEEEDaS1L_S1M_EUlS1L_E_NS1_11comp_targetILNS1_3genE2ELNS1_11target_archE906ELNS1_3gpuE6ELNS1_3repE0EEENS1_30default_config_static_selectorELNS0_4arch9wavefront6targetE0EEEvSZ_
    .private_segment_fixed_size: 0
    .sgpr_count:     0
    .sgpr_spill_count: 0
    .symbol:         _ZN7rocprim17ROCPRIM_400000_NS6detail17trampoline_kernelINS0_13select_configILj256ELj13ELNS0_17block_load_methodE3ELS4_3ELS4_3ELNS0_20block_scan_algorithmE0ELj4294967295EEENS1_25partition_config_selectorILNS1_17partition_subalgoE3EjNS0_10empty_typeEbEEZZNS1_14partition_implILS8_3ELb0ES6_jNS0_17counting_iteratorIjlEEPS9_SE_NS0_5tupleIJPjSE_EEENSF_IJSE_SE_EEES9_SG_JZNS1_25segmented_radix_sort_implINS0_14default_configELb0EPK6__halfPSL_PKlPlN2at6native12_GLOBAL__N_18offset_tEEE10hipError_tPvRmT1_PNSt15iterator_traitsISZ_E10value_typeET2_T3_PNS10_IS15_E10value_typeET4_jRbjT5_S1B_jjP12ihipStream_tbEUljE_EEESW_SX_SY_S15_S19_S1B_T6_T7_T9_mT8_S1D_bDpT10_ENKUlT_T0_E_clISt17integral_constantIbLb1EES1P_IbLb0EEEEDaS1L_S1M_EUlS1L_E_NS1_11comp_targetILNS1_3genE2ELNS1_11target_archE906ELNS1_3gpuE6ELNS1_3repE0EEENS1_30default_config_static_selectorELNS0_4arch9wavefront6targetE0EEEvSZ_.kd
    .uniform_work_group_size: 1
    .uses_dynamic_stack: false
    .vgpr_count:     0
    .vgpr_spill_count: 0
    .wavefront_size: 32
    .workgroup_processor_mode: 1
  - .args:
      - .offset:         0
        .size:           144
        .value_kind:     by_value
    .group_segment_fixed_size: 0
    .kernarg_segment_align: 8
    .kernarg_segment_size: 144
    .language:       OpenCL C
    .language_version:
      - 2
      - 0
    .max_flat_workgroup_size: 256
    .name:           _ZN7rocprim17ROCPRIM_400000_NS6detail17trampoline_kernelINS0_13select_configILj256ELj13ELNS0_17block_load_methodE3ELS4_3ELS4_3ELNS0_20block_scan_algorithmE0ELj4294967295EEENS1_25partition_config_selectorILNS1_17partition_subalgoE3EjNS0_10empty_typeEbEEZZNS1_14partition_implILS8_3ELb0ES6_jNS0_17counting_iteratorIjlEEPS9_SE_NS0_5tupleIJPjSE_EEENSF_IJSE_SE_EEES9_SG_JZNS1_25segmented_radix_sort_implINS0_14default_configELb0EPK6__halfPSL_PKlPlN2at6native12_GLOBAL__N_18offset_tEEE10hipError_tPvRmT1_PNSt15iterator_traitsISZ_E10value_typeET2_T3_PNS10_IS15_E10value_typeET4_jRbjT5_S1B_jjP12ihipStream_tbEUljE_EEESW_SX_SY_S15_S19_S1B_T6_T7_T9_mT8_S1D_bDpT10_ENKUlT_T0_E_clISt17integral_constantIbLb1EES1P_IbLb0EEEEDaS1L_S1M_EUlS1L_E_NS1_11comp_targetILNS1_3genE10ELNS1_11target_archE1200ELNS1_3gpuE4ELNS1_3repE0EEENS1_30default_config_static_selectorELNS0_4arch9wavefront6targetE0EEEvSZ_
    .private_segment_fixed_size: 0
    .sgpr_count:     0
    .sgpr_spill_count: 0
    .symbol:         _ZN7rocprim17ROCPRIM_400000_NS6detail17trampoline_kernelINS0_13select_configILj256ELj13ELNS0_17block_load_methodE3ELS4_3ELS4_3ELNS0_20block_scan_algorithmE0ELj4294967295EEENS1_25partition_config_selectorILNS1_17partition_subalgoE3EjNS0_10empty_typeEbEEZZNS1_14partition_implILS8_3ELb0ES6_jNS0_17counting_iteratorIjlEEPS9_SE_NS0_5tupleIJPjSE_EEENSF_IJSE_SE_EEES9_SG_JZNS1_25segmented_radix_sort_implINS0_14default_configELb0EPK6__halfPSL_PKlPlN2at6native12_GLOBAL__N_18offset_tEEE10hipError_tPvRmT1_PNSt15iterator_traitsISZ_E10value_typeET2_T3_PNS10_IS15_E10value_typeET4_jRbjT5_S1B_jjP12ihipStream_tbEUljE_EEESW_SX_SY_S15_S19_S1B_T6_T7_T9_mT8_S1D_bDpT10_ENKUlT_T0_E_clISt17integral_constantIbLb1EES1P_IbLb0EEEEDaS1L_S1M_EUlS1L_E_NS1_11comp_targetILNS1_3genE10ELNS1_11target_archE1200ELNS1_3gpuE4ELNS1_3repE0EEENS1_30default_config_static_selectorELNS0_4arch9wavefront6targetE0EEEvSZ_.kd
    .uniform_work_group_size: 1
    .uses_dynamic_stack: false
    .vgpr_count:     0
    .vgpr_spill_count: 0
    .wavefront_size: 32
    .workgroup_processor_mode: 1
  - .args:
      - .offset:         0
        .size:           144
        .value_kind:     by_value
    .group_segment_fixed_size: 0
    .kernarg_segment_align: 8
    .kernarg_segment_size: 144
    .language:       OpenCL C
    .language_version:
      - 2
      - 0
    .max_flat_workgroup_size: 256
    .name:           _ZN7rocprim17ROCPRIM_400000_NS6detail17trampoline_kernelINS0_13select_configILj256ELj13ELNS0_17block_load_methodE3ELS4_3ELS4_3ELNS0_20block_scan_algorithmE0ELj4294967295EEENS1_25partition_config_selectorILNS1_17partition_subalgoE3EjNS0_10empty_typeEbEEZZNS1_14partition_implILS8_3ELb0ES6_jNS0_17counting_iteratorIjlEEPS9_SE_NS0_5tupleIJPjSE_EEENSF_IJSE_SE_EEES9_SG_JZNS1_25segmented_radix_sort_implINS0_14default_configELb0EPK6__halfPSL_PKlPlN2at6native12_GLOBAL__N_18offset_tEEE10hipError_tPvRmT1_PNSt15iterator_traitsISZ_E10value_typeET2_T3_PNS10_IS15_E10value_typeET4_jRbjT5_S1B_jjP12ihipStream_tbEUljE_EEESW_SX_SY_S15_S19_S1B_T6_T7_T9_mT8_S1D_bDpT10_ENKUlT_T0_E_clISt17integral_constantIbLb1EES1P_IbLb0EEEEDaS1L_S1M_EUlS1L_E_NS1_11comp_targetILNS1_3genE9ELNS1_11target_archE1100ELNS1_3gpuE3ELNS1_3repE0EEENS1_30default_config_static_selectorELNS0_4arch9wavefront6targetE0EEEvSZ_
    .private_segment_fixed_size: 0
    .sgpr_count:     0
    .sgpr_spill_count: 0
    .symbol:         _ZN7rocprim17ROCPRIM_400000_NS6detail17trampoline_kernelINS0_13select_configILj256ELj13ELNS0_17block_load_methodE3ELS4_3ELS4_3ELNS0_20block_scan_algorithmE0ELj4294967295EEENS1_25partition_config_selectorILNS1_17partition_subalgoE3EjNS0_10empty_typeEbEEZZNS1_14partition_implILS8_3ELb0ES6_jNS0_17counting_iteratorIjlEEPS9_SE_NS0_5tupleIJPjSE_EEENSF_IJSE_SE_EEES9_SG_JZNS1_25segmented_radix_sort_implINS0_14default_configELb0EPK6__halfPSL_PKlPlN2at6native12_GLOBAL__N_18offset_tEEE10hipError_tPvRmT1_PNSt15iterator_traitsISZ_E10value_typeET2_T3_PNS10_IS15_E10value_typeET4_jRbjT5_S1B_jjP12ihipStream_tbEUljE_EEESW_SX_SY_S15_S19_S1B_T6_T7_T9_mT8_S1D_bDpT10_ENKUlT_T0_E_clISt17integral_constantIbLb1EES1P_IbLb0EEEEDaS1L_S1M_EUlS1L_E_NS1_11comp_targetILNS1_3genE9ELNS1_11target_archE1100ELNS1_3gpuE3ELNS1_3repE0EEENS1_30default_config_static_selectorELNS0_4arch9wavefront6targetE0EEEvSZ_.kd
    .uniform_work_group_size: 1
    .uses_dynamic_stack: false
    .vgpr_count:     0
    .vgpr_spill_count: 0
    .wavefront_size: 32
    .workgroup_processor_mode: 1
  - .args:
      - .offset:         0
        .size:           144
        .value_kind:     by_value
    .group_segment_fixed_size: 0
    .kernarg_segment_align: 8
    .kernarg_segment_size: 144
    .language:       OpenCL C
    .language_version:
      - 2
      - 0
    .max_flat_workgroup_size: 256
    .name:           _ZN7rocprim17ROCPRIM_400000_NS6detail17trampoline_kernelINS0_13select_configILj256ELj13ELNS0_17block_load_methodE3ELS4_3ELS4_3ELNS0_20block_scan_algorithmE0ELj4294967295EEENS1_25partition_config_selectorILNS1_17partition_subalgoE3EjNS0_10empty_typeEbEEZZNS1_14partition_implILS8_3ELb0ES6_jNS0_17counting_iteratorIjlEEPS9_SE_NS0_5tupleIJPjSE_EEENSF_IJSE_SE_EEES9_SG_JZNS1_25segmented_radix_sort_implINS0_14default_configELb0EPK6__halfPSL_PKlPlN2at6native12_GLOBAL__N_18offset_tEEE10hipError_tPvRmT1_PNSt15iterator_traitsISZ_E10value_typeET2_T3_PNS10_IS15_E10value_typeET4_jRbjT5_S1B_jjP12ihipStream_tbEUljE_EEESW_SX_SY_S15_S19_S1B_T6_T7_T9_mT8_S1D_bDpT10_ENKUlT_T0_E_clISt17integral_constantIbLb1EES1P_IbLb0EEEEDaS1L_S1M_EUlS1L_E_NS1_11comp_targetILNS1_3genE8ELNS1_11target_archE1030ELNS1_3gpuE2ELNS1_3repE0EEENS1_30default_config_static_selectorELNS0_4arch9wavefront6targetE0EEEvSZ_
    .private_segment_fixed_size: 0
    .sgpr_count:     0
    .sgpr_spill_count: 0
    .symbol:         _ZN7rocprim17ROCPRIM_400000_NS6detail17trampoline_kernelINS0_13select_configILj256ELj13ELNS0_17block_load_methodE3ELS4_3ELS4_3ELNS0_20block_scan_algorithmE0ELj4294967295EEENS1_25partition_config_selectorILNS1_17partition_subalgoE3EjNS0_10empty_typeEbEEZZNS1_14partition_implILS8_3ELb0ES6_jNS0_17counting_iteratorIjlEEPS9_SE_NS0_5tupleIJPjSE_EEENSF_IJSE_SE_EEES9_SG_JZNS1_25segmented_radix_sort_implINS0_14default_configELb0EPK6__halfPSL_PKlPlN2at6native12_GLOBAL__N_18offset_tEEE10hipError_tPvRmT1_PNSt15iterator_traitsISZ_E10value_typeET2_T3_PNS10_IS15_E10value_typeET4_jRbjT5_S1B_jjP12ihipStream_tbEUljE_EEESW_SX_SY_S15_S19_S1B_T6_T7_T9_mT8_S1D_bDpT10_ENKUlT_T0_E_clISt17integral_constantIbLb1EES1P_IbLb0EEEEDaS1L_S1M_EUlS1L_E_NS1_11comp_targetILNS1_3genE8ELNS1_11target_archE1030ELNS1_3gpuE2ELNS1_3repE0EEENS1_30default_config_static_selectorELNS0_4arch9wavefront6targetE0EEEvSZ_.kd
    .uniform_work_group_size: 1
    .uses_dynamic_stack: false
    .vgpr_count:     0
    .vgpr_spill_count: 0
    .wavefront_size: 32
    .workgroup_processor_mode: 1
  - .args:
      - .offset:         0
        .size:           152
        .value_kind:     by_value
    .group_segment_fixed_size: 0
    .kernarg_segment_align: 8
    .kernarg_segment_size: 152
    .language:       OpenCL C
    .language_version:
      - 2
      - 0
    .max_flat_workgroup_size: 256
    .name:           _ZN7rocprim17ROCPRIM_400000_NS6detail17trampoline_kernelINS0_13select_configILj256ELj13ELNS0_17block_load_methodE3ELS4_3ELS4_3ELNS0_20block_scan_algorithmE0ELj4294967295EEENS1_25partition_config_selectorILNS1_17partition_subalgoE3EjNS0_10empty_typeEbEEZZNS1_14partition_implILS8_3ELb0ES6_jNS0_17counting_iteratorIjlEEPS9_SE_NS0_5tupleIJPjSE_EEENSF_IJSE_SE_EEES9_SG_JZNS1_25segmented_radix_sort_implINS0_14default_configELb0EPK6__halfPSL_PKlPlN2at6native12_GLOBAL__N_18offset_tEEE10hipError_tPvRmT1_PNSt15iterator_traitsISZ_E10value_typeET2_T3_PNS10_IS15_E10value_typeET4_jRbjT5_S1B_jjP12ihipStream_tbEUljE_EEESW_SX_SY_S15_S19_S1B_T6_T7_T9_mT8_S1D_bDpT10_ENKUlT_T0_E_clISt17integral_constantIbLb0EES1P_IbLb1EEEEDaS1L_S1M_EUlS1L_E_NS1_11comp_targetILNS1_3genE0ELNS1_11target_archE4294967295ELNS1_3gpuE0ELNS1_3repE0EEENS1_30default_config_static_selectorELNS0_4arch9wavefront6targetE0EEEvSZ_
    .private_segment_fixed_size: 0
    .sgpr_count:     0
    .sgpr_spill_count: 0
    .symbol:         _ZN7rocprim17ROCPRIM_400000_NS6detail17trampoline_kernelINS0_13select_configILj256ELj13ELNS0_17block_load_methodE3ELS4_3ELS4_3ELNS0_20block_scan_algorithmE0ELj4294967295EEENS1_25partition_config_selectorILNS1_17partition_subalgoE3EjNS0_10empty_typeEbEEZZNS1_14partition_implILS8_3ELb0ES6_jNS0_17counting_iteratorIjlEEPS9_SE_NS0_5tupleIJPjSE_EEENSF_IJSE_SE_EEES9_SG_JZNS1_25segmented_radix_sort_implINS0_14default_configELb0EPK6__halfPSL_PKlPlN2at6native12_GLOBAL__N_18offset_tEEE10hipError_tPvRmT1_PNSt15iterator_traitsISZ_E10value_typeET2_T3_PNS10_IS15_E10value_typeET4_jRbjT5_S1B_jjP12ihipStream_tbEUljE_EEESW_SX_SY_S15_S19_S1B_T6_T7_T9_mT8_S1D_bDpT10_ENKUlT_T0_E_clISt17integral_constantIbLb0EES1P_IbLb1EEEEDaS1L_S1M_EUlS1L_E_NS1_11comp_targetILNS1_3genE0ELNS1_11target_archE4294967295ELNS1_3gpuE0ELNS1_3repE0EEENS1_30default_config_static_selectorELNS0_4arch9wavefront6targetE0EEEvSZ_.kd
    .uniform_work_group_size: 1
    .uses_dynamic_stack: false
    .vgpr_count:     0
    .vgpr_spill_count: 0
    .wavefront_size: 32
    .workgroup_processor_mode: 1
  - .args:
      - .offset:         0
        .size:           152
        .value_kind:     by_value
    .group_segment_fixed_size: 0
    .kernarg_segment_align: 8
    .kernarg_segment_size: 152
    .language:       OpenCL C
    .language_version:
      - 2
      - 0
    .max_flat_workgroup_size: 256
    .name:           _ZN7rocprim17ROCPRIM_400000_NS6detail17trampoline_kernelINS0_13select_configILj256ELj13ELNS0_17block_load_methodE3ELS4_3ELS4_3ELNS0_20block_scan_algorithmE0ELj4294967295EEENS1_25partition_config_selectorILNS1_17partition_subalgoE3EjNS0_10empty_typeEbEEZZNS1_14partition_implILS8_3ELb0ES6_jNS0_17counting_iteratorIjlEEPS9_SE_NS0_5tupleIJPjSE_EEENSF_IJSE_SE_EEES9_SG_JZNS1_25segmented_radix_sort_implINS0_14default_configELb0EPK6__halfPSL_PKlPlN2at6native12_GLOBAL__N_18offset_tEEE10hipError_tPvRmT1_PNSt15iterator_traitsISZ_E10value_typeET2_T3_PNS10_IS15_E10value_typeET4_jRbjT5_S1B_jjP12ihipStream_tbEUljE_EEESW_SX_SY_S15_S19_S1B_T6_T7_T9_mT8_S1D_bDpT10_ENKUlT_T0_E_clISt17integral_constantIbLb0EES1P_IbLb1EEEEDaS1L_S1M_EUlS1L_E_NS1_11comp_targetILNS1_3genE5ELNS1_11target_archE942ELNS1_3gpuE9ELNS1_3repE0EEENS1_30default_config_static_selectorELNS0_4arch9wavefront6targetE0EEEvSZ_
    .private_segment_fixed_size: 0
    .sgpr_count:     0
    .sgpr_spill_count: 0
    .symbol:         _ZN7rocprim17ROCPRIM_400000_NS6detail17trampoline_kernelINS0_13select_configILj256ELj13ELNS0_17block_load_methodE3ELS4_3ELS4_3ELNS0_20block_scan_algorithmE0ELj4294967295EEENS1_25partition_config_selectorILNS1_17partition_subalgoE3EjNS0_10empty_typeEbEEZZNS1_14partition_implILS8_3ELb0ES6_jNS0_17counting_iteratorIjlEEPS9_SE_NS0_5tupleIJPjSE_EEENSF_IJSE_SE_EEES9_SG_JZNS1_25segmented_radix_sort_implINS0_14default_configELb0EPK6__halfPSL_PKlPlN2at6native12_GLOBAL__N_18offset_tEEE10hipError_tPvRmT1_PNSt15iterator_traitsISZ_E10value_typeET2_T3_PNS10_IS15_E10value_typeET4_jRbjT5_S1B_jjP12ihipStream_tbEUljE_EEESW_SX_SY_S15_S19_S1B_T6_T7_T9_mT8_S1D_bDpT10_ENKUlT_T0_E_clISt17integral_constantIbLb0EES1P_IbLb1EEEEDaS1L_S1M_EUlS1L_E_NS1_11comp_targetILNS1_3genE5ELNS1_11target_archE942ELNS1_3gpuE9ELNS1_3repE0EEENS1_30default_config_static_selectorELNS0_4arch9wavefront6targetE0EEEvSZ_.kd
    .uniform_work_group_size: 1
    .uses_dynamic_stack: false
    .vgpr_count:     0
    .vgpr_spill_count: 0
    .wavefront_size: 32
    .workgroup_processor_mode: 1
  - .args:
      - .offset:         0
        .size:           152
        .value_kind:     by_value
    .group_segment_fixed_size: 0
    .kernarg_segment_align: 8
    .kernarg_segment_size: 152
    .language:       OpenCL C
    .language_version:
      - 2
      - 0
    .max_flat_workgroup_size: 256
    .name:           _ZN7rocprim17ROCPRIM_400000_NS6detail17trampoline_kernelINS0_13select_configILj256ELj13ELNS0_17block_load_methodE3ELS4_3ELS4_3ELNS0_20block_scan_algorithmE0ELj4294967295EEENS1_25partition_config_selectorILNS1_17partition_subalgoE3EjNS0_10empty_typeEbEEZZNS1_14partition_implILS8_3ELb0ES6_jNS0_17counting_iteratorIjlEEPS9_SE_NS0_5tupleIJPjSE_EEENSF_IJSE_SE_EEES9_SG_JZNS1_25segmented_radix_sort_implINS0_14default_configELb0EPK6__halfPSL_PKlPlN2at6native12_GLOBAL__N_18offset_tEEE10hipError_tPvRmT1_PNSt15iterator_traitsISZ_E10value_typeET2_T3_PNS10_IS15_E10value_typeET4_jRbjT5_S1B_jjP12ihipStream_tbEUljE_EEESW_SX_SY_S15_S19_S1B_T6_T7_T9_mT8_S1D_bDpT10_ENKUlT_T0_E_clISt17integral_constantIbLb0EES1P_IbLb1EEEEDaS1L_S1M_EUlS1L_E_NS1_11comp_targetILNS1_3genE4ELNS1_11target_archE910ELNS1_3gpuE8ELNS1_3repE0EEENS1_30default_config_static_selectorELNS0_4arch9wavefront6targetE0EEEvSZ_
    .private_segment_fixed_size: 0
    .sgpr_count:     0
    .sgpr_spill_count: 0
    .symbol:         _ZN7rocprim17ROCPRIM_400000_NS6detail17trampoline_kernelINS0_13select_configILj256ELj13ELNS0_17block_load_methodE3ELS4_3ELS4_3ELNS0_20block_scan_algorithmE0ELj4294967295EEENS1_25partition_config_selectorILNS1_17partition_subalgoE3EjNS0_10empty_typeEbEEZZNS1_14partition_implILS8_3ELb0ES6_jNS0_17counting_iteratorIjlEEPS9_SE_NS0_5tupleIJPjSE_EEENSF_IJSE_SE_EEES9_SG_JZNS1_25segmented_radix_sort_implINS0_14default_configELb0EPK6__halfPSL_PKlPlN2at6native12_GLOBAL__N_18offset_tEEE10hipError_tPvRmT1_PNSt15iterator_traitsISZ_E10value_typeET2_T3_PNS10_IS15_E10value_typeET4_jRbjT5_S1B_jjP12ihipStream_tbEUljE_EEESW_SX_SY_S15_S19_S1B_T6_T7_T9_mT8_S1D_bDpT10_ENKUlT_T0_E_clISt17integral_constantIbLb0EES1P_IbLb1EEEEDaS1L_S1M_EUlS1L_E_NS1_11comp_targetILNS1_3genE4ELNS1_11target_archE910ELNS1_3gpuE8ELNS1_3repE0EEENS1_30default_config_static_selectorELNS0_4arch9wavefront6targetE0EEEvSZ_.kd
    .uniform_work_group_size: 1
    .uses_dynamic_stack: false
    .vgpr_count:     0
    .vgpr_spill_count: 0
    .wavefront_size: 32
    .workgroup_processor_mode: 1
  - .args:
      - .offset:         0
        .size:           152
        .value_kind:     by_value
    .group_segment_fixed_size: 0
    .kernarg_segment_align: 8
    .kernarg_segment_size: 152
    .language:       OpenCL C
    .language_version:
      - 2
      - 0
    .max_flat_workgroup_size: 256
    .name:           _ZN7rocprim17ROCPRIM_400000_NS6detail17trampoline_kernelINS0_13select_configILj256ELj13ELNS0_17block_load_methodE3ELS4_3ELS4_3ELNS0_20block_scan_algorithmE0ELj4294967295EEENS1_25partition_config_selectorILNS1_17partition_subalgoE3EjNS0_10empty_typeEbEEZZNS1_14partition_implILS8_3ELb0ES6_jNS0_17counting_iteratorIjlEEPS9_SE_NS0_5tupleIJPjSE_EEENSF_IJSE_SE_EEES9_SG_JZNS1_25segmented_radix_sort_implINS0_14default_configELb0EPK6__halfPSL_PKlPlN2at6native12_GLOBAL__N_18offset_tEEE10hipError_tPvRmT1_PNSt15iterator_traitsISZ_E10value_typeET2_T3_PNS10_IS15_E10value_typeET4_jRbjT5_S1B_jjP12ihipStream_tbEUljE_EEESW_SX_SY_S15_S19_S1B_T6_T7_T9_mT8_S1D_bDpT10_ENKUlT_T0_E_clISt17integral_constantIbLb0EES1P_IbLb1EEEEDaS1L_S1M_EUlS1L_E_NS1_11comp_targetILNS1_3genE3ELNS1_11target_archE908ELNS1_3gpuE7ELNS1_3repE0EEENS1_30default_config_static_selectorELNS0_4arch9wavefront6targetE0EEEvSZ_
    .private_segment_fixed_size: 0
    .sgpr_count:     0
    .sgpr_spill_count: 0
    .symbol:         _ZN7rocprim17ROCPRIM_400000_NS6detail17trampoline_kernelINS0_13select_configILj256ELj13ELNS0_17block_load_methodE3ELS4_3ELS4_3ELNS0_20block_scan_algorithmE0ELj4294967295EEENS1_25partition_config_selectorILNS1_17partition_subalgoE3EjNS0_10empty_typeEbEEZZNS1_14partition_implILS8_3ELb0ES6_jNS0_17counting_iteratorIjlEEPS9_SE_NS0_5tupleIJPjSE_EEENSF_IJSE_SE_EEES9_SG_JZNS1_25segmented_radix_sort_implINS0_14default_configELb0EPK6__halfPSL_PKlPlN2at6native12_GLOBAL__N_18offset_tEEE10hipError_tPvRmT1_PNSt15iterator_traitsISZ_E10value_typeET2_T3_PNS10_IS15_E10value_typeET4_jRbjT5_S1B_jjP12ihipStream_tbEUljE_EEESW_SX_SY_S15_S19_S1B_T6_T7_T9_mT8_S1D_bDpT10_ENKUlT_T0_E_clISt17integral_constantIbLb0EES1P_IbLb1EEEEDaS1L_S1M_EUlS1L_E_NS1_11comp_targetILNS1_3genE3ELNS1_11target_archE908ELNS1_3gpuE7ELNS1_3repE0EEENS1_30default_config_static_selectorELNS0_4arch9wavefront6targetE0EEEvSZ_.kd
    .uniform_work_group_size: 1
    .uses_dynamic_stack: false
    .vgpr_count:     0
    .vgpr_spill_count: 0
    .wavefront_size: 32
    .workgroup_processor_mode: 1
  - .args:
      - .offset:         0
        .size:           152
        .value_kind:     by_value
    .group_segment_fixed_size: 0
    .kernarg_segment_align: 8
    .kernarg_segment_size: 152
    .language:       OpenCL C
    .language_version:
      - 2
      - 0
    .max_flat_workgroup_size: 256
    .name:           _ZN7rocprim17ROCPRIM_400000_NS6detail17trampoline_kernelINS0_13select_configILj256ELj13ELNS0_17block_load_methodE3ELS4_3ELS4_3ELNS0_20block_scan_algorithmE0ELj4294967295EEENS1_25partition_config_selectorILNS1_17partition_subalgoE3EjNS0_10empty_typeEbEEZZNS1_14partition_implILS8_3ELb0ES6_jNS0_17counting_iteratorIjlEEPS9_SE_NS0_5tupleIJPjSE_EEENSF_IJSE_SE_EEES9_SG_JZNS1_25segmented_radix_sort_implINS0_14default_configELb0EPK6__halfPSL_PKlPlN2at6native12_GLOBAL__N_18offset_tEEE10hipError_tPvRmT1_PNSt15iterator_traitsISZ_E10value_typeET2_T3_PNS10_IS15_E10value_typeET4_jRbjT5_S1B_jjP12ihipStream_tbEUljE_EEESW_SX_SY_S15_S19_S1B_T6_T7_T9_mT8_S1D_bDpT10_ENKUlT_T0_E_clISt17integral_constantIbLb0EES1P_IbLb1EEEEDaS1L_S1M_EUlS1L_E_NS1_11comp_targetILNS1_3genE2ELNS1_11target_archE906ELNS1_3gpuE6ELNS1_3repE0EEENS1_30default_config_static_selectorELNS0_4arch9wavefront6targetE0EEEvSZ_
    .private_segment_fixed_size: 0
    .sgpr_count:     0
    .sgpr_spill_count: 0
    .symbol:         _ZN7rocprim17ROCPRIM_400000_NS6detail17trampoline_kernelINS0_13select_configILj256ELj13ELNS0_17block_load_methodE3ELS4_3ELS4_3ELNS0_20block_scan_algorithmE0ELj4294967295EEENS1_25partition_config_selectorILNS1_17partition_subalgoE3EjNS0_10empty_typeEbEEZZNS1_14partition_implILS8_3ELb0ES6_jNS0_17counting_iteratorIjlEEPS9_SE_NS0_5tupleIJPjSE_EEENSF_IJSE_SE_EEES9_SG_JZNS1_25segmented_radix_sort_implINS0_14default_configELb0EPK6__halfPSL_PKlPlN2at6native12_GLOBAL__N_18offset_tEEE10hipError_tPvRmT1_PNSt15iterator_traitsISZ_E10value_typeET2_T3_PNS10_IS15_E10value_typeET4_jRbjT5_S1B_jjP12ihipStream_tbEUljE_EEESW_SX_SY_S15_S19_S1B_T6_T7_T9_mT8_S1D_bDpT10_ENKUlT_T0_E_clISt17integral_constantIbLb0EES1P_IbLb1EEEEDaS1L_S1M_EUlS1L_E_NS1_11comp_targetILNS1_3genE2ELNS1_11target_archE906ELNS1_3gpuE6ELNS1_3repE0EEENS1_30default_config_static_selectorELNS0_4arch9wavefront6targetE0EEEvSZ_.kd
    .uniform_work_group_size: 1
    .uses_dynamic_stack: false
    .vgpr_count:     0
    .vgpr_spill_count: 0
    .wavefront_size: 32
    .workgroup_processor_mode: 1
  - .args:
      - .offset:         0
        .size:           152
        .value_kind:     by_value
    .group_segment_fixed_size: 13320
    .kernarg_segment_align: 8
    .kernarg_segment_size: 152
    .language:       OpenCL C
    .language_version:
      - 2
      - 0
    .max_flat_workgroup_size: 256
    .name:           _ZN7rocprim17ROCPRIM_400000_NS6detail17trampoline_kernelINS0_13select_configILj256ELj13ELNS0_17block_load_methodE3ELS4_3ELS4_3ELNS0_20block_scan_algorithmE0ELj4294967295EEENS1_25partition_config_selectorILNS1_17partition_subalgoE3EjNS0_10empty_typeEbEEZZNS1_14partition_implILS8_3ELb0ES6_jNS0_17counting_iteratorIjlEEPS9_SE_NS0_5tupleIJPjSE_EEENSF_IJSE_SE_EEES9_SG_JZNS1_25segmented_radix_sort_implINS0_14default_configELb0EPK6__halfPSL_PKlPlN2at6native12_GLOBAL__N_18offset_tEEE10hipError_tPvRmT1_PNSt15iterator_traitsISZ_E10value_typeET2_T3_PNS10_IS15_E10value_typeET4_jRbjT5_S1B_jjP12ihipStream_tbEUljE_EEESW_SX_SY_S15_S19_S1B_T6_T7_T9_mT8_S1D_bDpT10_ENKUlT_T0_E_clISt17integral_constantIbLb0EES1P_IbLb1EEEEDaS1L_S1M_EUlS1L_E_NS1_11comp_targetILNS1_3genE10ELNS1_11target_archE1200ELNS1_3gpuE4ELNS1_3repE0EEENS1_30default_config_static_selectorELNS0_4arch9wavefront6targetE0EEEvSZ_
    .private_segment_fixed_size: 0
    .sgpr_count:     28
    .sgpr_spill_count: 0
    .symbol:         _ZN7rocprim17ROCPRIM_400000_NS6detail17trampoline_kernelINS0_13select_configILj256ELj13ELNS0_17block_load_methodE3ELS4_3ELS4_3ELNS0_20block_scan_algorithmE0ELj4294967295EEENS1_25partition_config_selectorILNS1_17partition_subalgoE3EjNS0_10empty_typeEbEEZZNS1_14partition_implILS8_3ELb0ES6_jNS0_17counting_iteratorIjlEEPS9_SE_NS0_5tupleIJPjSE_EEENSF_IJSE_SE_EEES9_SG_JZNS1_25segmented_radix_sort_implINS0_14default_configELb0EPK6__halfPSL_PKlPlN2at6native12_GLOBAL__N_18offset_tEEE10hipError_tPvRmT1_PNSt15iterator_traitsISZ_E10value_typeET2_T3_PNS10_IS15_E10value_typeET4_jRbjT5_S1B_jjP12ihipStream_tbEUljE_EEESW_SX_SY_S15_S19_S1B_T6_T7_T9_mT8_S1D_bDpT10_ENKUlT_T0_E_clISt17integral_constantIbLb0EES1P_IbLb1EEEEDaS1L_S1M_EUlS1L_E_NS1_11comp_targetILNS1_3genE10ELNS1_11target_archE1200ELNS1_3gpuE4ELNS1_3repE0EEENS1_30default_config_static_selectorELNS0_4arch9wavefront6targetE0EEEvSZ_.kd
    .uniform_work_group_size: 1
    .uses_dynamic_stack: false
    .vgpr_count:     71
    .vgpr_spill_count: 0
    .wavefront_size: 32
    .workgroup_processor_mode: 1
  - .args:
      - .offset:         0
        .size:           152
        .value_kind:     by_value
    .group_segment_fixed_size: 0
    .kernarg_segment_align: 8
    .kernarg_segment_size: 152
    .language:       OpenCL C
    .language_version:
      - 2
      - 0
    .max_flat_workgroup_size: 256
    .name:           _ZN7rocprim17ROCPRIM_400000_NS6detail17trampoline_kernelINS0_13select_configILj256ELj13ELNS0_17block_load_methodE3ELS4_3ELS4_3ELNS0_20block_scan_algorithmE0ELj4294967295EEENS1_25partition_config_selectorILNS1_17partition_subalgoE3EjNS0_10empty_typeEbEEZZNS1_14partition_implILS8_3ELb0ES6_jNS0_17counting_iteratorIjlEEPS9_SE_NS0_5tupleIJPjSE_EEENSF_IJSE_SE_EEES9_SG_JZNS1_25segmented_radix_sort_implINS0_14default_configELb0EPK6__halfPSL_PKlPlN2at6native12_GLOBAL__N_18offset_tEEE10hipError_tPvRmT1_PNSt15iterator_traitsISZ_E10value_typeET2_T3_PNS10_IS15_E10value_typeET4_jRbjT5_S1B_jjP12ihipStream_tbEUljE_EEESW_SX_SY_S15_S19_S1B_T6_T7_T9_mT8_S1D_bDpT10_ENKUlT_T0_E_clISt17integral_constantIbLb0EES1P_IbLb1EEEEDaS1L_S1M_EUlS1L_E_NS1_11comp_targetILNS1_3genE9ELNS1_11target_archE1100ELNS1_3gpuE3ELNS1_3repE0EEENS1_30default_config_static_selectorELNS0_4arch9wavefront6targetE0EEEvSZ_
    .private_segment_fixed_size: 0
    .sgpr_count:     0
    .sgpr_spill_count: 0
    .symbol:         _ZN7rocprim17ROCPRIM_400000_NS6detail17trampoline_kernelINS0_13select_configILj256ELj13ELNS0_17block_load_methodE3ELS4_3ELS4_3ELNS0_20block_scan_algorithmE0ELj4294967295EEENS1_25partition_config_selectorILNS1_17partition_subalgoE3EjNS0_10empty_typeEbEEZZNS1_14partition_implILS8_3ELb0ES6_jNS0_17counting_iteratorIjlEEPS9_SE_NS0_5tupleIJPjSE_EEENSF_IJSE_SE_EEES9_SG_JZNS1_25segmented_radix_sort_implINS0_14default_configELb0EPK6__halfPSL_PKlPlN2at6native12_GLOBAL__N_18offset_tEEE10hipError_tPvRmT1_PNSt15iterator_traitsISZ_E10value_typeET2_T3_PNS10_IS15_E10value_typeET4_jRbjT5_S1B_jjP12ihipStream_tbEUljE_EEESW_SX_SY_S15_S19_S1B_T6_T7_T9_mT8_S1D_bDpT10_ENKUlT_T0_E_clISt17integral_constantIbLb0EES1P_IbLb1EEEEDaS1L_S1M_EUlS1L_E_NS1_11comp_targetILNS1_3genE9ELNS1_11target_archE1100ELNS1_3gpuE3ELNS1_3repE0EEENS1_30default_config_static_selectorELNS0_4arch9wavefront6targetE0EEEvSZ_.kd
    .uniform_work_group_size: 1
    .uses_dynamic_stack: false
    .vgpr_count:     0
    .vgpr_spill_count: 0
    .wavefront_size: 32
    .workgroup_processor_mode: 1
  - .args:
      - .offset:         0
        .size:           152
        .value_kind:     by_value
    .group_segment_fixed_size: 0
    .kernarg_segment_align: 8
    .kernarg_segment_size: 152
    .language:       OpenCL C
    .language_version:
      - 2
      - 0
    .max_flat_workgroup_size: 256
    .name:           _ZN7rocprim17ROCPRIM_400000_NS6detail17trampoline_kernelINS0_13select_configILj256ELj13ELNS0_17block_load_methodE3ELS4_3ELS4_3ELNS0_20block_scan_algorithmE0ELj4294967295EEENS1_25partition_config_selectorILNS1_17partition_subalgoE3EjNS0_10empty_typeEbEEZZNS1_14partition_implILS8_3ELb0ES6_jNS0_17counting_iteratorIjlEEPS9_SE_NS0_5tupleIJPjSE_EEENSF_IJSE_SE_EEES9_SG_JZNS1_25segmented_radix_sort_implINS0_14default_configELb0EPK6__halfPSL_PKlPlN2at6native12_GLOBAL__N_18offset_tEEE10hipError_tPvRmT1_PNSt15iterator_traitsISZ_E10value_typeET2_T3_PNS10_IS15_E10value_typeET4_jRbjT5_S1B_jjP12ihipStream_tbEUljE_EEESW_SX_SY_S15_S19_S1B_T6_T7_T9_mT8_S1D_bDpT10_ENKUlT_T0_E_clISt17integral_constantIbLb0EES1P_IbLb1EEEEDaS1L_S1M_EUlS1L_E_NS1_11comp_targetILNS1_3genE8ELNS1_11target_archE1030ELNS1_3gpuE2ELNS1_3repE0EEENS1_30default_config_static_selectorELNS0_4arch9wavefront6targetE0EEEvSZ_
    .private_segment_fixed_size: 0
    .sgpr_count:     0
    .sgpr_spill_count: 0
    .symbol:         _ZN7rocprim17ROCPRIM_400000_NS6detail17trampoline_kernelINS0_13select_configILj256ELj13ELNS0_17block_load_methodE3ELS4_3ELS4_3ELNS0_20block_scan_algorithmE0ELj4294967295EEENS1_25partition_config_selectorILNS1_17partition_subalgoE3EjNS0_10empty_typeEbEEZZNS1_14partition_implILS8_3ELb0ES6_jNS0_17counting_iteratorIjlEEPS9_SE_NS0_5tupleIJPjSE_EEENSF_IJSE_SE_EEES9_SG_JZNS1_25segmented_radix_sort_implINS0_14default_configELb0EPK6__halfPSL_PKlPlN2at6native12_GLOBAL__N_18offset_tEEE10hipError_tPvRmT1_PNSt15iterator_traitsISZ_E10value_typeET2_T3_PNS10_IS15_E10value_typeET4_jRbjT5_S1B_jjP12ihipStream_tbEUljE_EEESW_SX_SY_S15_S19_S1B_T6_T7_T9_mT8_S1D_bDpT10_ENKUlT_T0_E_clISt17integral_constantIbLb0EES1P_IbLb1EEEEDaS1L_S1M_EUlS1L_E_NS1_11comp_targetILNS1_3genE8ELNS1_11target_archE1030ELNS1_3gpuE2ELNS1_3repE0EEENS1_30default_config_static_selectorELNS0_4arch9wavefront6targetE0EEEvSZ_.kd
    .uniform_work_group_size: 1
    .uses_dynamic_stack: false
    .vgpr_count:     0
    .vgpr_spill_count: 0
    .wavefront_size: 32
    .workgroup_processor_mode: 1
  - .args:
      - .offset:         0
        .size:           96
        .value_kind:     by_value
    .group_segment_fixed_size: 0
    .kernarg_segment_align: 8
    .kernarg_segment_size: 96
    .language:       OpenCL C
    .language_version:
      - 2
      - 0
    .max_flat_workgroup_size: 256
    .name:           _ZN7rocprim17ROCPRIM_400000_NS6detail17trampoline_kernelINS0_14default_configENS1_36segmented_radix_sort_config_selectorI6__halflEEZNS1_25segmented_radix_sort_implIS3_Lb0EPKS5_PS5_PKlPlN2at6native12_GLOBAL__N_18offset_tEEE10hipError_tPvRmT1_PNSt15iterator_traitsISL_E10value_typeET2_T3_PNSM_ISR_E10value_typeET4_jRbjT5_SX_jjP12ihipStream_tbEUlT_E_NS1_11comp_targetILNS1_3genE0ELNS1_11target_archE4294967295ELNS1_3gpuE0ELNS1_3repE0EEENS1_30default_config_static_selectorELNS0_4arch9wavefront6targetE0EEEvSL_
    .private_segment_fixed_size: 0
    .sgpr_count:     0
    .sgpr_spill_count: 0
    .symbol:         _ZN7rocprim17ROCPRIM_400000_NS6detail17trampoline_kernelINS0_14default_configENS1_36segmented_radix_sort_config_selectorI6__halflEEZNS1_25segmented_radix_sort_implIS3_Lb0EPKS5_PS5_PKlPlN2at6native12_GLOBAL__N_18offset_tEEE10hipError_tPvRmT1_PNSt15iterator_traitsISL_E10value_typeET2_T3_PNSM_ISR_E10value_typeET4_jRbjT5_SX_jjP12ihipStream_tbEUlT_E_NS1_11comp_targetILNS1_3genE0ELNS1_11target_archE4294967295ELNS1_3gpuE0ELNS1_3repE0EEENS1_30default_config_static_selectorELNS0_4arch9wavefront6targetE0EEEvSL_.kd
    .uniform_work_group_size: 1
    .uses_dynamic_stack: false
    .vgpr_count:     0
    .vgpr_spill_count: 0
    .wavefront_size: 32
    .workgroup_processor_mode: 1
  - .args:
      - .offset:         0
        .size:           96
        .value_kind:     by_value
    .group_segment_fixed_size: 0
    .kernarg_segment_align: 8
    .kernarg_segment_size: 96
    .language:       OpenCL C
    .language_version:
      - 2
      - 0
    .max_flat_workgroup_size: 256
    .name:           _ZN7rocprim17ROCPRIM_400000_NS6detail17trampoline_kernelINS0_14default_configENS1_36segmented_radix_sort_config_selectorI6__halflEEZNS1_25segmented_radix_sort_implIS3_Lb0EPKS5_PS5_PKlPlN2at6native12_GLOBAL__N_18offset_tEEE10hipError_tPvRmT1_PNSt15iterator_traitsISL_E10value_typeET2_T3_PNSM_ISR_E10value_typeET4_jRbjT5_SX_jjP12ihipStream_tbEUlT_E_NS1_11comp_targetILNS1_3genE5ELNS1_11target_archE942ELNS1_3gpuE9ELNS1_3repE0EEENS1_30default_config_static_selectorELNS0_4arch9wavefront6targetE0EEEvSL_
    .private_segment_fixed_size: 0
    .sgpr_count:     0
    .sgpr_spill_count: 0
    .symbol:         _ZN7rocprim17ROCPRIM_400000_NS6detail17trampoline_kernelINS0_14default_configENS1_36segmented_radix_sort_config_selectorI6__halflEEZNS1_25segmented_radix_sort_implIS3_Lb0EPKS5_PS5_PKlPlN2at6native12_GLOBAL__N_18offset_tEEE10hipError_tPvRmT1_PNSt15iterator_traitsISL_E10value_typeET2_T3_PNSM_ISR_E10value_typeET4_jRbjT5_SX_jjP12ihipStream_tbEUlT_E_NS1_11comp_targetILNS1_3genE5ELNS1_11target_archE942ELNS1_3gpuE9ELNS1_3repE0EEENS1_30default_config_static_selectorELNS0_4arch9wavefront6targetE0EEEvSL_.kd
    .uniform_work_group_size: 1
    .uses_dynamic_stack: false
    .vgpr_count:     0
    .vgpr_spill_count: 0
    .wavefront_size: 32
    .workgroup_processor_mode: 1
  - .args:
      - .offset:         0
        .size:           96
        .value_kind:     by_value
    .group_segment_fixed_size: 0
    .kernarg_segment_align: 8
    .kernarg_segment_size: 96
    .language:       OpenCL C
    .language_version:
      - 2
      - 0
    .max_flat_workgroup_size: 256
    .name:           _ZN7rocprim17ROCPRIM_400000_NS6detail17trampoline_kernelINS0_14default_configENS1_36segmented_radix_sort_config_selectorI6__halflEEZNS1_25segmented_radix_sort_implIS3_Lb0EPKS5_PS5_PKlPlN2at6native12_GLOBAL__N_18offset_tEEE10hipError_tPvRmT1_PNSt15iterator_traitsISL_E10value_typeET2_T3_PNSM_ISR_E10value_typeET4_jRbjT5_SX_jjP12ihipStream_tbEUlT_E_NS1_11comp_targetILNS1_3genE4ELNS1_11target_archE910ELNS1_3gpuE8ELNS1_3repE0EEENS1_30default_config_static_selectorELNS0_4arch9wavefront6targetE0EEEvSL_
    .private_segment_fixed_size: 0
    .sgpr_count:     0
    .sgpr_spill_count: 0
    .symbol:         _ZN7rocprim17ROCPRIM_400000_NS6detail17trampoline_kernelINS0_14default_configENS1_36segmented_radix_sort_config_selectorI6__halflEEZNS1_25segmented_radix_sort_implIS3_Lb0EPKS5_PS5_PKlPlN2at6native12_GLOBAL__N_18offset_tEEE10hipError_tPvRmT1_PNSt15iterator_traitsISL_E10value_typeET2_T3_PNSM_ISR_E10value_typeET4_jRbjT5_SX_jjP12ihipStream_tbEUlT_E_NS1_11comp_targetILNS1_3genE4ELNS1_11target_archE910ELNS1_3gpuE8ELNS1_3repE0EEENS1_30default_config_static_selectorELNS0_4arch9wavefront6targetE0EEEvSL_.kd
    .uniform_work_group_size: 1
    .uses_dynamic_stack: false
    .vgpr_count:     0
    .vgpr_spill_count: 0
    .wavefront_size: 32
    .workgroup_processor_mode: 1
  - .args:
      - .offset:         0
        .size:           96
        .value_kind:     by_value
    .group_segment_fixed_size: 0
    .kernarg_segment_align: 8
    .kernarg_segment_size: 96
    .language:       OpenCL C
    .language_version:
      - 2
      - 0
    .max_flat_workgroup_size: 256
    .name:           _ZN7rocprim17ROCPRIM_400000_NS6detail17trampoline_kernelINS0_14default_configENS1_36segmented_radix_sort_config_selectorI6__halflEEZNS1_25segmented_radix_sort_implIS3_Lb0EPKS5_PS5_PKlPlN2at6native12_GLOBAL__N_18offset_tEEE10hipError_tPvRmT1_PNSt15iterator_traitsISL_E10value_typeET2_T3_PNSM_ISR_E10value_typeET4_jRbjT5_SX_jjP12ihipStream_tbEUlT_E_NS1_11comp_targetILNS1_3genE3ELNS1_11target_archE908ELNS1_3gpuE7ELNS1_3repE0EEENS1_30default_config_static_selectorELNS0_4arch9wavefront6targetE0EEEvSL_
    .private_segment_fixed_size: 0
    .sgpr_count:     0
    .sgpr_spill_count: 0
    .symbol:         _ZN7rocprim17ROCPRIM_400000_NS6detail17trampoline_kernelINS0_14default_configENS1_36segmented_radix_sort_config_selectorI6__halflEEZNS1_25segmented_radix_sort_implIS3_Lb0EPKS5_PS5_PKlPlN2at6native12_GLOBAL__N_18offset_tEEE10hipError_tPvRmT1_PNSt15iterator_traitsISL_E10value_typeET2_T3_PNSM_ISR_E10value_typeET4_jRbjT5_SX_jjP12ihipStream_tbEUlT_E_NS1_11comp_targetILNS1_3genE3ELNS1_11target_archE908ELNS1_3gpuE7ELNS1_3repE0EEENS1_30default_config_static_selectorELNS0_4arch9wavefront6targetE0EEEvSL_.kd
    .uniform_work_group_size: 1
    .uses_dynamic_stack: false
    .vgpr_count:     0
    .vgpr_spill_count: 0
    .wavefront_size: 32
    .workgroup_processor_mode: 1
  - .args:
      - .offset:         0
        .size:           96
        .value_kind:     by_value
    .group_segment_fixed_size: 0
    .kernarg_segment_align: 8
    .kernarg_segment_size: 96
    .language:       OpenCL C
    .language_version:
      - 2
      - 0
    .max_flat_workgroup_size: 256
    .name:           _ZN7rocprim17ROCPRIM_400000_NS6detail17trampoline_kernelINS0_14default_configENS1_36segmented_radix_sort_config_selectorI6__halflEEZNS1_25segmented_radix_sort_implIS3_Lb0EPKS5_PS5_PKlPlN2at6native12_GLOBAL__N_18offset_tEEE10hipError_tPvRmT1_PNSt15iterator_traitsISL_E10value_typeET2_T3_PNSM_ISR_E10value_typeET4_jRbjT5_SX_jjP12ihipStream_tbEUlT_E_NS1_11comp_targetILNS1_3genE2ELNS1_11target_archE906ELNS1_3gpuE6ELNS1_3repE0EEENS1_30default_config_static_selectorELNS0_4arch9wavefront6targetE0EEEvSL_
    .private_segment_fixed_size: 0
    .sgpr_count:     0
    .sgpr_spill_count: 0
    .symbol:         _ZN7rocprim17ROCPRIM_400000_NS6detail17trampoline_kernelINS0_14default_configENS1_36segmented_radix_sort_config_selectorI6__halflEEZNS1_25segmented_radix_sort_implIS3_Lb0EPKS5_PS5_PKlPlN2at6native12_GLOBAL__N_18offset_tEEE10hipError_tPvRmT1_PNSt15iterator_traitsISL_E10value_typeET2_T3_PNSM_ISR_E10value_typeET4_jRbjT5_SX_jjP12ihipStream_tbEUlT_E_NS1_11comp_targetILNS1_3genE2ELNS1_11target_archE906ELNS1_3gpuE6ELNS1_3repE0EEENS1_30default_config_static_selectorELNS0_4arch9wavefront6targetE0EEEvSL_.kd
    .uniform_work_group_size: 1
    .uses_dynamic_stack: false
    .vgpr_count:     0
    .vgpr_spill_count: 0
    .wavefront_size: 32
    .workgroup_processor_mode: 1
  - .args:
      - .offset:         0
        .size:           96
        .value_kind:     by_value
      - .offset:         96
        .size:           4
        .value_kind:     hidden_block_count_x
      - .offset:         100
        .size:           4
        .value_kind:     hidden_block_count_y
      - .offset:         104
        .size:           4
        .value_kind:     hidden_block_count_z
      - .offset:         108
        .size:           2
        .value_kind:     hidden_group_size_x
      - .offset:         110
        .size:           2
        .value_kind:     hidden_group_size_y
      - .offset:         112
        .size:           2
        .value_kind:     hidden_group_size_z
      - .offset:         114
        .size:           2
        .value_kind:     hidden_remainder_x
      - .offset:         116
        .size:           2
        .value_kind:     hidden_remainder_y
      - .offset:         118
        .size:           2
        .value_kind:     hidden_remainder_z
      - .offset:         136
        .size:           8
        .value_kind:     hidden_global_offset_x
      - .offset:         144
        .size:           8
        .value_kind:     hidden_global_offset_y
      - .offset:         152
        .size:           8
        .value_kind:     hidden_global_offset_z
      - .offset:         160
        .size:           2
        .value_kind:     hidden_grid_dims
    .group_segment_fixed_size: 17440
    .kernarg_segment_align: 8
    .kernarg_segment_size: 352
    .language:       OpenCL C
    .language_version:
      - 2
      - 0
    .max_flat_workgroup_size: 256
    .name:           _ZN7rocprim17ROCPRIM_400000_NS6detail17trampoline_kernelINS0_14default_configENS1_36segmented_radix_sort_config_selectorI6__halflEEZNS1_25segmented_radix_sort_implIS3_Lb0EPKS5_PS5_PKlPlN2at6native12_GLOBAL__N_18offset_tEEE10hipError_tPvRmT1_PNSt15iterator_traitsISL_E10value_typeET2_T3_PNSM_ISR_E10value_typeET4_jRbjT5_SX_jjP12ihipStream_tbEUlT_E_NS1_11comp_targetILNS1_3genE10ELNS1_11target_archE1201ELNS1_3gpuE5ELNS1_3repE0EEENS1_30default_config_static_selectorELNS0_4arch9wavefront6targetE0EEEvSL_
    .private_segment_fixed_size: 0
    .sgpr_count:     52
    .sgpr_spill_count: 0
    .symbol:         _ZN7rocprim17ROCPRIM_400000_NS6detail17trampoline_kernelINS0_14default_configENS1_36segmented_radix_sort_config_selectorI6__halflEEZNS1_25segmented_radix_sort_implIS3_Lb0EPKS5_PS5_PKlPlN2at6native12_GLOBAL__N_18offset_tEEE10hipError_tPvRmT1_PNSt15iterator_traitsISL_E10value_typeET2_T3_PNSM_ISR_E10value_typeET4_jRbjT5_SX_jjP12ihipStream_tbEUlT_E_NS1_11comp_targetILNS1_3genE10ELNS1_11target_archE1201ELNS1_3gpuE5ELNS1_3repE0EEENS1_30default_config_static_selectorELNS0_4arch9wavefront6targetE0EEEvSL_.kd
    .uniform_work_group_size: 1
    .uses_dynamic_stack: false
    .vgpr_count:     198
    .vgpr_spill_count: 0
    .wavefront_size: 32
    .workgroup_processor_mode: 1
  - .args:
      - .offset:         0
        .size:           96
        .value_kind:     by_value
    .group_segment_fixed_size: 0
    .kernarg_segment_align: 8
    .kernarg_segment_size: 96
    .language:       OpenCL C
    .language_version:
      - 2
      - 0
    .max_flat_workgroup_size: 128
    .name:           _ZN7rocprim17ROCPRIM_400000_NS6detail17trampoline_kernelINS0_14default_configENS1_36segmented_radix_sort_config_selectorI6__halflEEZNS1_25segmented_radix_sort_implIS3_Lb0EPKS5_PS5_PKlPlN2at6native12_GLOBAL__N_18offset_tEEE10hipError_tPvRmT1_PNSt15iterator_traitsISL_E10value_typeET2_T3_PNSM_ISR_E10value_typeET4_jRbjT5_SX_jjP12ihipStream_tbEUlT_E_NS1_11comp_targetILNS1_3genE10ELNS1_11target_archE1200ELNS1_3gpuE4ELNS1_3repE0EEENS1_30default_config_static_selectorELNS0_4arch9wavefront6targetE0EEEvSL_
    .private_segment_fixed_size: 0
    .sgpr_count:     0
    .sgpr_spill_count: 0
    .symbol:         _ZN7rocprim17ROCPRIM_400000_NS6detail17trampoline_kernelINS0_14default_configENS1_36segmented_radix_sort_config_selectorI6__halflEEZNS1_25segmented_radix_sort_implIS3_Lb0EPKS5_PS5_PKlPlN2at6native12_GLOBAL__N_18offset_tEEE10hipError_tPvRmT1_PNSt15iterator_traitsISL_E10value_typeET2_T3_PNSM_ISR_E10value_typeET4_jRbjT5_SX_jjP12ihipStream_tbEUlT_E_NS1_11comp_targetILNS1_3genE10ELNS1_11target_archE1200ELNS1_3gpuE4ELNS1_3repE0EEENS1_30default_config_static_selectorELNS0_4arch9wavefront6targetE0EEEvSL_.kd
    .uniform_work_group_size: 1
    .uses_dynamic_stack: false
    .vgpr_count:     0
    .vgpr_spill_count: 0
    .wavefront_size: 32
    .workgroup_processor_mode: 1
  - .args:
      - .offset:         0
        .size:           96
        .value_kind:     by_value
    .group_segment_fixed_size: 0
    .kernarg_segment_align: 8
    .kernarg_segment_size: 96
    .language:       OpenCL C
    .language_version:
      - 2
      - 0
    .max_flat_workgroup_size: 256
    .name:           _ZN7rocprim17ROCPRIM_400000_NS6detail17trampoline_kernelINS0_14default_configENS1_36segmented_radix_sort_config_selectorI6__halflEEZNS1_25segmented_radix_sort_implIS3_Lb0EPKS5_PS5_PKlPlN2at6native12_GLOBAL__N_18offset_tEEE10hipError_tPvRmT1_PNSt15iterator_traitsISL_E10value_typeET2_T3_PNSM_ISR_E10value_typeET4_jRbjT5_SX_jjP12ihipStream_tbEUlT_E_NS1_11comp_targetILNS1_3genE9ELNS1_11target_archE1100ELNS1_3gpuE3ELNS1_3repE0EEENS1_30default_config_static_selectorELNS0_4arch9wavefront6targetE0EEEvSL_
    .private_segment_fixed_size: 0
    .sgpr_count:     0
    .sgpr_spill_count: 0
    .symbol:         _ZN7rocprim17ROCPRIM_400000_NS6detail17trampoline_kernelINS0_14default_configENS1_36segmented_radix_sort_config_selectorI6__halflEEZNS1_25segmented_radix_sort_implIS3_Lb0EPKS5_PS5_PKlPlN2at6native12_GLOBAL__N_18offset_tEEE10hipError_tPvRmT1_PNSt15iterator_traitsISL_E10value_typeET2_T3_PNSM_ISR_E10value_typeET4_jRbjT5_SX_jjP12ihipStream_tbEUlT_E_NS1_11comp_targetILNS1_3genE9ELNS1_11target_archE1100ELNS1_3gpuE3ELNS1_3repE0EEENS1_30default_config_static_selectorELNS0_4arch9wavefront6targetE0EEEvSL_.kd
    .uniform_work_group_size: 1
    .uses_dynamic_stack: false
    .vgpr_count:     0
    .vgpr_spill_count: 0
    .wavefront_size: 32
    .workgroup_processor_mode: 1
  - .args:
      - .offset:         0
        .size:           96
        .value_kind:     by_value
    .group_segment_fixed_size: 0
    .kernarg_segment_align: 8
    .kernarg_segment_size: 96
    .language:       OpenCL C
    .language_version:
      - 2
      - 0
    .max_flat_workgroup_size: 256
    .name:           _ZN7rocprim17ROCPRIM_400000_NS6detail17trampoline_kernelINS0_14default_configENS1_36segmented_radix_sort_config_selectorI6__halflEEZNS1_25segmented_radix_sort_implIS3_Lb0EPKS5_PS5_PKlPlN2at6native12_GLOBAL__N_18offset_tEEE10hipError_tPvRmT1_PNSt15iterator_traitsISL_E10value_typeET2_T3_PNSM_ISR_E10value_typeET4_jRbjT5_SX_jjP12ihipStream_tbEUlT_E_NS1_11comp_targetILNS1_3genE8ELNS1_11target_archE1030ELNS1_3gpuE2ELNS1_3repE0EEENS1_30default_config_static_selectorELNS0_4arch9wavefront6targetE0EEEvSL_
    .private_segment_fixed_size: 0
    .sgpr_count:     0
    .sgpr_spill_count: 0
    .symbol:         _ZN7rocprim17ROCPRIM_400000_NS6detail17trampoline_kernelINS0_14default_configENS1_36segmented_radix_sort_config_selectorI6__halflEEZNS1_25segmented_radix_sort_implIS3_Lb0EPKS5_PS5_PKlPlN2at6native12_GLOBAL__N_18offset_tEEE10hipError_tPvRmT1_PNSt15iterator_traitsISL_E10value_typeET2_T3_PNSM_ISR_E10value_typeET4_jRbjT5_SX_jjP12ihipStream_tbEUlT_E_NS1_11comp_targetILNS1_3genE8ELNS1_11target_archE1030ELNS1_3gpuE2ELNS1_3repE0EEENS1_30default_config_static_selectorELNS0_4arch9wavefront6targetE0EEEvSL_.kd
    .uniform_work_group_size: 1
    .uses_dynamic_stack: false
    .vgpr_count:     0
    .vgpr_spill_count: 0
    .wavefront_size: 32
    .workgroup_processor_mode: 1
  - .args:
      - .offset:         0
        .size:           88
        .value_kind:     by_value
    .group_segment_fixed_size: 0
    .kernarg_segment_align: 8
    .kernarg_segment_size: 88
    .language:       OpenCL C
    .language_version:
      - 2
      - 0
    .max_flat_workgroup_size: 256
    .name:           _ZN7rocprim17ROCPRIM_400000_NS6detail17trampoline_kernelINS0_14default_configENS1_36segmented_radix_sort_config_selectorI6__halflEEZNS1_25segmented_radix_sort_implIS3_Lb0EPKS5_PS5_PKlPlN2at6native12_GLOBAL__N_18offset_tEEE10hipError_tPvRmT1_PNSt15iterator_traitsISL_E10value_typeET2_T3_PNSM_ISR_E10value_typeET4_jRbjT5_SX_jjP12ihipStream_tbEUlT_E0_NS1_11comp_targetILNS1_3genE0ELNS1_11target_archE4294967295ELNS1_3gpuE0ELNS1_3repE0EEENS1_60segmented_radix_sort_warp_sort_medium_config_static_selectorELNS0_4arch9wavefront6targetE0EEEvSL_
    .private_segment_fixed_size: 0
    .sgpr_count:     0
    .sgpr_spill_count: 0
    .symbol:         _ZN7rocprim17ROCPRIM_400000_NS6detail17trampoline_kernelINS0_14default_configENS1_36segmented_radix_sort_config_selectorI6__halflEEZNS1_25segmented_radix_sort_implIS3_Lb0EPKS5_PS5_PKlPlN2at6native12_GLOBAL__N_18offset_tEEE10hipError_tPvRmT1_PNSt15iterator_traitsISL_E10value_typeET2_T3_PNSM_ISR_E10value_typeET4_jRbjT5_SX_jjP12ihipStream_tbEUlT_E0_NS1_11comp_targetILNS1_3genE0ELNS1_11target_archE4294967295ELNS1_3gpuE0ELNS1_3repE0EEENS1_60segmented_radix_sort_warp_sort_medium_config_static_selectorELNS0_4arch9wavefront6targetE0EEEvSL_.kd
    .uniform_work_group_size: 1
    .uses_dynamic_stack: false
    .vgpr_count:     0
    .vgpr_spill_count: 0
    .wavefront_size: 32
    .workgroup_processor_mode: 1
  - .args:
      - .offset:         0
        .size:           88
        .value_kind:     by_value
    .group_segment_fixed_size: 0
    .kernarg_segment_align: 8
    .kernarg_segment_size: 88
    .language:       OpenCL C
    .language_version:
      - 2
      - 0
    .max_flat_workgroup_size: 256
    .name:           _ZN7rocprim17ROCPRIM_400000_NS6detail17trampoline_kernelINS0_14default_configENS1_36segmented_radix_sort_config_selectorI6__halflEEZNS1_25segmented_radix_sort_implIS3_Lb0EPKS5_PS5_PKlPlN2at6native12_GLOBAL__N_18offset_tEEE10hipError_tPvRmT1_PNSt15iterator_traitsISL_E10value_typeET2_T3_PNSM_ISR_E10value_typeET4_jRbjT5_SX_jjP12ihipStream_tbEUlT_E0_NS1_11comp_targetILNS1_3genE5ELNS1_11target_archE942ELNS1_3gpuE9ELNS1_3repE0EEENS1_60segmented_radix_sort_warp_sort_medium_config_static_selectorELNS0_4arch9wavefront6targetE0EEEvSL_
    .private_segment_fixed_size: 0
    .sgpr_count:     0
    .sgpr_spill_count: 0
    .symbol:         _ZN7rocprim17ROCPRIM_400000_NS6detail17trampoline_kernelINS0_14default_configENS1_36segmented_radix_sort_config_selectorI6__halflEEZNS1_25segmented_radix_sort_implIS3_Lb0EPKS5_PS5_PKlPlN2at6native12_GLOBAL__N_18offset_tEEE10hipError_tPvRmT1_PNSt15iterator_traitsISL_E10value_typeET2_T3_PNSM_ISR_E10value_typeET4_jRbjT5_SX_jjP12ihipStream_tbEUlT_E0_NS1_11comp_targetILNS1_3genE5ELNS1_11target_archE942ELNS1_3gpuE9ELNS1_3repE0EEENS1_60segmented_radix_sort_warp_sort_medium_config_static_selectorELNS0_4arch9wavefront6targetE0EEEvSL_.kd
    .uniform_work_group_size: 1
    .uses_dynamic_stack: false
    .vgpr_count:     0
    .vgpr_spill_count: 0
    .wavefront_size: 32
    .workgroup_processor_mode: 1
  - .args:
      - .offset:         0
        .size:           88
        .value_kind:     by_value
    .group_segment_fixed_size: 0
    .kernarg_segment_align: 8
    .kernarg_segment_size: 88
    .language:       OpenCL C
    .language_version:
      - 2
      - 0
    .max_flat_workgroup_size: 256
    .name:           _ZN7rocprim17ROCPRIM_400000_NS6detail17trampoline_kernelINS0_14default_configENS1_36segmented_radix_sort_config_selectorI6__halflEEZNS1_25segmented_radix_sort_implIS3_Lb0EPKS5_PS5_PKlPlN2at6native12_GLOBAL__N_18offset_tEEE10hipError_tPvRmT1_PNSt15iterator_traitsISL_E10value_typeET2_T3_PNSM_ISR_E10value_typeET4_jRbjT5_SX_jjP12ihipStream_tbEUlT_E0_NS1_11comp_targetILNS1_3genE4ELNS1_11target_archE910ELNS1_3gpuE8ELNS1_3repE0EEENS1_60segmented_radix_sort_warp_sort_medium_config_static_selectorELNS0_4arch9wavefront6targetE0EEEvSL_
    .private_segment_fixed_size: 0
    .sgpr_count:     0
    .sgpr_spill_count: 0
    .symbol:         _ZN7rocprim17ROCPRIM_400000_NS6detail17trampoline_kernelINS0_14default_configENS1_36segmented_radix_sort_config_selectorI6__halflEEZNS1_25segmented_radix_sort_implIS3_Lb0EPKS5_PS5_PKlPlN2at6native12_GLOBAL__N_18offset_tEEE10hipError_tPvRmT1_PNSt15iterator_traitsISL_E10value_typeET2_T3_PNSM_ISR_E10value_typeET4_jRbjT5_SX_jjP12ihipStream_tbEUlT_E0_NS1_11comp_targetILNS1_3genE4ELNS1_11target_archE910ELNS1_3gpuE8ELNS1_3repE0EEENS1_60segmented_radix_sort_warp_sort_medium_config_static_selectorELNS0_4arch9wavefront6targetE0EEEvSL_.kd
    .uniform_work_group_size: 1
    .uses_dynamic_stack: false
    .vgpr_count:     0
    .vgpr_spill_count: 0
    .wavefront_size: 32
    .workgroup_processor_mode: 1
  - .args:
      - .offset:         0
        .size:           88
        .value_kind:     by_value
    .group_segment_fixed_size: 0
    .kernarg_segment_align: 8
    .kernarg_segment_size: 88
    .language:       OpenCL C
    .language_version:
      - 2
      - 0
    .max_flat_workgroup_size: 256
    .name:           _ZN7rocprim17ROCPRIM_400000_NS6detail17trampoline_kernelINS0_14default_configENS1_36segmented_radix_sort_config_selectorI6__halflEEZNS1_25segmented_radix_sort_implIS3_Lb0EPKS5_PS5_PKlPlN2at6native12_GLOBAL__N_18offset_tEEE10hipError_tPvRmT1_PNSt15iterator_traitsISL_E10value_typeET2_T3_PNSM_ISR_E10value_typeET4_jRbjT5_SX_jjP12ihipStream_tbEUlT_E0_NS1_11comp_targetILNS1_3genE3ELNS1_11target_archE908ELNS1_3gpuE7ELNS1_3repE0EEENS1_60segmented_radix_sort_warp_sort_medium_config_static_selectorELNS0_4arch9wavefront6targetE0EEEvSL_
    .private_segment_fixed_size: 0
    .sgpr_count:     0
    .sgpr_spill_count: 0
    .symbol:         _ZN7rocprim17ROCPRIM_400000_NS6detail17trampoline_kernelINS0_14default_configENS1_36segmented_radix_sort_config_selectorI6__halflEEZNS1_25segmented_radix_sort_implIS3_Lb0EPKS5_PS5_PKlPlN2at6native12_GLOBAL__N_18offset_tEEE10hipError_tPvRmT1_PNSt15iterator_traitsISL_E10value_typeET2_T3_PNSM_ISR_E10value_typeET4_jRbjT5_SX_jjP12ihipStream_tbEUlT_E0_NS1_11comp_targetILNS1_3genE3ELNS1_11target_archE908ELNS1_3gpuE7ELNS1_3repE0EEENS1_60segmented_radix_sort_warp_sort_medium_config_static_selectorELNS0_4arch9wavefront6targetE0EEEvSL_.kd
    .uniform_work_group_size: 1
    .uses_dynamic_stack: false
    .vgpr_count:     0
    .vgpr_spill_count: 0
    .wavefront_size: 32
    .workgroup_processor_mode: 1
  - .args:
      - .offset:         0
        .size:           88
        .value_kind:     by_value
    .group_segment_fixed_size: 0
    .kernarg_segment_align: 8
    .kernarg_segment_size: 88
    .language:       OpenCL C
    .language_version:
      - 2
      - 0
    .max_flat_workgroup_size: 256
    .name:           _ZN7rocprim17ROCPRIM_400000_NS6detail17trampoline_kernelINS0_14default_configENS1_36segmented_radix_sort_config_selectorI6__halflEEZNS1_25segmented_radix_sort_implIS3_Lb0EPKS5_PS5_PKlPlN2at6native12_GLOBAL__N_18offset_tEEE10hipError_tPvRmT1_PNSt15iterator_traitsISL_E10value_typeET2_T3_PNSM_ISR_E10value_typeET4_jRbjT5_SX_jjP12ihipStream_tbEUlT_E0_NS1_11comp_targetILNS1_3genE2ELNS1_11target_archE906ELNS1_3gpuE6ELNS1_3repE0EEENS1_60segmented_radix_sort_warp_sort_medium_config_static_selectorELNS0_4arch9wavefront6targetE0EEEvSL_
    .private_segment_fixed_size: 0
    .sgpr_count:     0
    .sgpr_spill_count: 0
    .symbol:         _ZN7rocprim17ROCPRIM_400000_NS6detail17trampoline_kernelINS0_14default_configENS1_36segmented_radix_sort_config_selectorI6__halflEEZNS1_25segmented_radix_sort_implIS3_Lb0EPKS5_PS5_PKlPlN2at6native12_GLOBAL__N_18offset_tEEE10hipError_tPvRmT1_PNSt15iterator_traitsISL_E10value_typeET2_T3_PNSM_ISR_E10value_typeET4_jRbjT5_SX_jjP12ihipStream_tbEUlT_E0_NS1_11comp_targetILNS1_3genE2ELNS1_11target_archE906ELNS1_3gpuE6ELNS1_3repE0EEENS1_60segmented_radix_sort_warp_sort_medium_config_static_selectorELNS0_4arch9wavefront6targetE0EEEvSL_.kd
    .uniform_work_group_size: 1
    .uses_dynamic_stack: false
    .vgpr_count:     0
    .vgpr_spill_count: 0
    .wavefront_size: 32
    .workgroup_processor_mode: 1
  - .args:
      - .offset:         0
        .size:           88
        .value_kind:     by_value
      - .offset:         88
        .size:           4
        .value_kind:     hidden_block_count_x
      - .offset:         92
        .size:           4
        .value_kind:     hidden_block_count_y
      - .offset:         96
        .size:           4
        .value_kind:     hidden_block_count_z
      - .offset:         100
        .size:           2
        .value_kind:     hidden_group_size_x
      - .offset:         102
        .size:           2
        .value_kind:     hidden_group_size_y
      - .offset:         104
        .size:           2
        .value_kind:     hidden_group_size_z
      - .offset:         106
        .size:           2
        .value_kind:     hidden_remainder_x
      - .offset:         108
        .size:           2
        .value_kind:     hidden_remainder_y
      - .offset:         110
        .size:           2
        .value_kind:     hidden_remainder_z
      - .offset:         128
        .size:           8
        .value_kind:     hidden_global_offset_x
      - .offset:         136
        .size:           8
        .value_kind:     hidden_global_offset_y
      - .offset:         144
        .size:           8
        .value_kind:     hidden_global_offset_z
      - .offset:         152
        .size:           2
        .value_kind:     hidden_grid_dims
    .group_segment_fixed_size: 20480
    .kernarg_segment_align: 8
    .kernarg_segment_size: 344
    .language:       OpenCL C
    .language_version:
      - 2
      - 0
    .max_flat_workgroup_size: 256
    .name:           _ZN7rocprim17ROCPRIM_400000_NS6detail17trampoline_kernelINS0_14default_configENS1_36segmented_radix_sort_config_selectorI6__halflEEZNS1_25segmented_radix_sort_implIS3_Lb0EPKS5_PS5_PKlPlN2at6native12_GLOBAL__N_18offset_tEEE10hipError_tPvRmT1_PNSt15iterator_traitsISL_E10value_typeET2_T3_PNSM_ISR_E10value_typeET4_jRbjT5_SX_jjP12ihipStream_tbEUlT_E0_NS1_11comp_targetILNS1_3genE10ELNS1_11target_archE1201ELNS1_3gpuE5ELNS1_3repE0EEENS1_60segmented_radix_sort_warp_sort_medium_config_static_selectorELNS0_4arch9wavefront6targetE0EEEvSL_
    .private_segment_fixed_size: 0
    .sgpr_count:     46
    .sgpr_spill_count: 0
    .symbol:         _ZN7rocprim17ROCPRIM_400000_NS6detail17trampoline_kernelINS0_14default_configENS1_36segmented_radix_sort_config_selectorI6__halflEEZNS1_25segmented_radix_sort_implIS3_Lb0EPKS5_PS5_PKlPlN2at6native12_GLOBAL__N_18offset_tEEE10hipError_tPvRmT1_PNSt15iterator_traitsISL_E10value_typeET2_T3_PNSM_ISR_E10value_typeET4_jRbjT5_SX_jjP12ihipStream_tbEUlT_E0_NS1_11comp_targetILNS1_3genE10ELNS1_11target_archE1201ELNS1_3gpuE5ELNS1_3repE0EEENS1_60segmented_radix_sort_warp_sort_medium_config_static_selectorELNS0_4arch9wavefront6targetE0EEEvSL_.kd
    .uniform_work_group_size: 1
    .uses_dynamic_stack: false
    .vgpr_count:     70
    .vgpr_spill_count: 0
    .wavefront_size: 32
    .workgroup_processor_mode: 1
  - .args:
      - .offset:         0
        .size:           88
        .value_kind:     by_value
    .group_segment_fixed_size: 0
    .kernarg_segment_align: 8
    .kernarg_segment_size: 88
    .language:       OpenCL C
    .language_version:
      - 2
      - 0
    .max_flat_workgroup_size: 256
    .name:           _ZN7rocprim17ROCPRIM_400000_NS6detail17trampoline_kernelINS0_14default_configENS1_36segmented_radix_sort_config_selectorI6__halflEEZNS1_25segmented_radix_sort_implIS3_Lb0EPKS5_PS5_PKlPlN2at6native12_GLOBAL__N_18offset_tEEE10hipError_tPvRmT1_PNSt15iterator_traitsISL_E10value_typeET2_T3_PNSM_ISR_E10value_typeET4_jRbjT5_SX_jjP12ihipStream_tbEUlT_E0_NS1_11comp_targetILNS1_3genE10ELNS1_11target_archE1200ELNS1_3gpuE4ELNS1_3repE0EEENS1_60segmented_radix_sort_warp_sort_medium_config_static_selectorELNS0_4arch9wavefront6targetE0EEEvSL_
    .private_segment_fixed_size: 0
    .sgpr_count:     0
    .sgpr_spill_count: 0
    .symbol:         _ZN7rocprim17ROCPRIM_400000_NS6detail17trampoline_kernelINS0_14default_configENS1_36segmented_radix_sort_config_selectorI6__halflEEZNS1_25segmented_radix_sort_implIS3_Lb0EPKS5_PS5_PKlPlN2at6native12_GLOBAL__N_18offset_tEEE10hipError_tPvRmT1_PNSt15iterator_traitsISL_E10value_typeET2_T3_PNSM_ISR_E10value_typeET4_jRbjT5_SX_jjP12ihipStream_tbEUlT_E0_NS1_11comp_targetILNS1_3genE10ELNS1_11target_archE1200ELNS1_3gpuE4ELNS1_3repE0EEENS1_60segmented_radix_sort_warp_sort_medium_config_static_selectorELNS0_4arch9wavefront6targetE0EEEvSL_.kd
    .uniform_work_group_size: 1
    .uses_dynamic_stack: false
    .vgpr_count:     0
    .vgpr_spill_count: 0
    .wavefront_size: 32
    .workgroup_processor_mode: 1
  - .args:
      - .offset:         0
        .size:           88
        .value_kind:     by_value
    .group_segment_fixed_size: 0
    .kernarg_segment_align: 8
    .kernarg_segment_size: 88
    .language:       OpenCL C
    .language_version:
      - 2
      - 0
    .max_flat_workgroup_size: 256
    .name:           _ZN7rocprim17ROCPRIM_400000_NS6detail17trampoline_kernelINS0_14default_configENS1_36segmented_radix_sort_config_selectorI6__halflEEZNS1_25segmented_radix_sort_implIS3_Lb0EPKS5_PS5_PKlPlN2at6native12_GLOBAL__N_18offset_tEEE10hipError_tPvRmT1_PNSt15iterator_traitsISL_E10value_typeET2_T3_PNSM_ISR_E10value_typeET4_jRbjT5_SX_jjP12ihipStream_tbEUlT_E0_NS1_11comp_targetILNS1_3genE9ELNS1_11target_archE1100ELNS1_3gpuE3ELNS1_3repE0EEENS1_60segmented_radix_sort_warp_sort_medium_config_static_selectorELNS0_4arch9wavefront6targetE0EEEvSL_
    .private_segment_fixed_size: 0
    .sgpr_count:     0
    .sgpr_spill_count: 0
    .symbol:         _ZN7rocprim17ROCPRIM_400000_NS6detail17trampoline_kernelINS0_14default_configENS1_36segmented_radix_sort_config_selectorI6__halflEEZNS1_25segmented_radix_sort_implIS3_Lb0EPKS5_PS5_PKlPlN2at6native12_GLOBAL__N_18offset_tEEE10hipError_tPvRmT1_PNSt15iterator_traitsISL_E10value_typeET2_T3_PNSM_ISR_E10value_typeET4_jRbjT5_SX_jjP12ihipStream_tbEUlT_E0_NS1_11comp_targetILNS1_3genE9ELNS1_11target_archE1100ELNS1_3gpuE3ELNS1_3repE0EEENS1_60segmented_radix_sort_warp_sort_medium_config_static_selectorELNS0_4arch9wavefront6targetE0EEEvSL_.kd
    .uniform_work_group_size: 1
    .uses_dynamic_stack: false
    .vgpr_count:     0
    .vgpr_spill_count: 0
    .wavefront_size: 32
    .workgroup_processor_mode: 1
  - .args:
      - .offset:         0
        .size:           88
        .value_kind:     by_value
    .group_segment_fixed_size: 0
    .kernarg_segment_align: 8
    .kernarg_segment_size: 88
    .language:       OpenCL C
    .language_version:
      - 2
      - 0
    .max_flat_workgroup_size: 256
    .name:           _ZN7rocprim17ROCPRIM_400000_NS6detail17trampoline_kernelINS0_14default_configENS1_36segmented_radix_sort_config_selectorI6__halflEEZNS1_25segmented_radix_sort_implIS3_Lb0EPKS5_PS5_PKlPlN2at6native12_GLOBAL__N_18offset_tEEE10hipError_tPvRmT1_PNSt15iterator_traitsISL_E10value_typeET2_T3_PNSM_ISR_E10value_typeET4_jRbjT5_SX_jjP12ihipStream_tbEUlT_E0_NS1_11comp_targetILNS1_3genE8ELNS1_11target_archE1030ELNS1_3gpuE2ELNS1_3repE0EEENS1_60segmented_radix_sort_warp_sort_medium_config_static_selectorELNS0_4arch9wavefront6targetE0EEEvSL_
    .private_segment_fixed_size: 0
    .sgpr_count:     0
    .sgpr_spill_count: 0
    .symbol:         _ZN7rocprim17ROCPRIM_400000_NS6detail17trampoline_kernelINS0_14default_configENS1_36segmented_radix_sort_config_selectorI6__halflEEZNS1_25segmented_radix_sort_implIS3_Lb0EPKS5_PS5_PKlPlN2at6native12_GLOBAL__N_18offset_tEEE10hipError_tPvRmT1_PNSt15iterator_traitsISL_E10value_typeET2_T3_PNSM_ISR_E10value_typeET4_jRbjT5_SX_jjP12ihipStream_tbEUlT_E0_NS1_11comp_targetILNS1_3genE8ELNS1_11target_archE1030ELNS1_3gpuE2ELNS1_3repE0EEENS1_60segmented_radix_sort_warp_sort_medium_config_static_selectorELNS0_4arch9wavefront6targetE0EEEvSL_.kd
    .uniform_work_group_size: 1
    .uses_dynamic_stack: false
    .vgpr_count:     0
    .vgpr_spill_count: 0
    .wavefront_size: 32
    .workgroup_processor_mode: 1
  - .args:
      - .offset:         0
        .size:           88
        .value_kind:     by_value
    .group_segment_fixed_size: 0
    .kernarg_segment_align: 8
    .kernarg_segment_size: 88
    .language:       OpenCL C
    .language_version:
      - 2
      - 0
    .max_flat_workgroup_size: 256
    .name:           _ZN7rocprim17ROCPRIM_400000_NS6detail17trampoline_kernelINS0_14default_configENS1_36segmented_radix_sort_config_selectorI6__halflEEZNS1_25segmented_radix_sort_implIS3_Lb0EPKS5_PS5_PKlPlN2at6native12_GLOBAL__N_18offset_tEEE10hipError_tPvRmT1_PNSt15iterator_traitsISL_E10value_typeET2_T3_PNSM_ISR_E10value_typeET4_jRbjT5_SX_jjP12ihipStream_tbEUlT_E1_NS1_11comp_targetILNS1_3genE0ELNS1_11target_archE4294967295ELNS1_3gpuE0ELNS1_3repE0EEENS1_59segmented_radix_sort_warp_sort_small_config_static_selectorELNS0_4arch9wavefront6targetE0EEEvSL_
    .private_segment_fixed_size: 0
    .sgpr_count:     0
    .sgpr_spill_count: 0
    .symbol:         _ZN7rocprim17ROCPRIM_400000_NS6detail17trampoline_kernelINS0_14default_configENS1_36segmented_radix_sort_config_selectorI6__halflEEZNS1_25segmented_radix_sort_implIS3_Lb0EPKS5_PS5_PKlPlN2at6native12_GLOBAL__N_18offset_tEEE10hipError_tPvRmT1_PNSt15iterator_traitsISL_E10value_typeET2_T3_PNSM_ISR_E10value_typeET4_jRbjT5_SX_jjP12ihipStream_tbEUlT_E1_NS1_11comp_targetILNS1_3genE0ELNS1_11target_archE4294967295ELNS1_3gpuE0ELNS1_3repE0EEENS1_59segmented_radix_sort_warp_sort_small_config_static_selectorELNS0_4arch9wavefront6targetE0EEEvSL_.kd
    .uniform_work_group_size: 1
    .uses_dynamic_stack: false
    .vgpr_count:     0
    .vgpr_spill_count: 0
    .wavefront_size: 32
    .workgroup_processor_mode: 1
  - .args:
      - .offset:         0
        .size:           88
        .value_kind:     by_value
    .group_segment_fixed_size: 0
    .kernarg_segment_align: 8
    .kernarg_segment_size: 88
    .language:       OpenCL C
    .language_version:
      - 2
      - 0
    .max_flat_workgroup_size: 256
    .name:           _ZN7rocprim17ROCPRIM_400000_NS6detail17trampoline_kernelINS0_14default_configENS1_36segmented_radix_sort_config_selectorI6__halflEEZNS1_25segmented_radix_sort_implIS3_Lb0EPKS5_PS5_PKlPlN2at6native12_GLOBAL__N_18offset_tEEE10hipError_tPvRmT1_PNSt15iterator_traitsISL_E10value_typeET2_T3_PNSM_ISR_E10value_typeET4_jRbjT5_SX_jjP12ihipStream_tbEUlT_E1_NS1_11comp_targetILNS1_3genE5ELNS1_11target_archE942ELNS1_3gpuE9ELNS1_3repE0EEENS1_59segmented_radix_sort_warp_sort_small_config_static_selectorELNS0_4arch9wavefront6targetE0EEEvSL_
    .private_segment_fixed_size: 0
    .sgpr_count:     0
    .sgpr_spill_count: 0
    .symbol:         _ZN7rocprim17ROCPRIM_400000_NS6detail17trampoline_kernelINS0_14default_configENS1_36segmented_radix_sort_config_selectorI6__halflEEZNS1_25segmented_radix_sort_implIS3_Lb0EPKS5_PS5_PKlPlN2at6native12_GLOBAL__N_18offset_tEEE10hipError_tPvRmT1_PNSt15iterator_traitsISL_E10value_typeET2_T3_PNSM_ISR_E10value_typeET4_jRbjT5_SX_jjP12ihipStream_tbEUlT_E1_NS1_11comp_targetILNS1_3genE5ELNS1_11target_archE942ELNS1_3gpuE9ELNS1_3repE0EEENS1_59segmented_radix_sort_warp_sort_small_config_static_selectorELNS0_4arch9wavefront6targetE0EEEvSL_.kd
    .uniform_work_group_size: 1
    .uses_dynamic_stack: false
    .vgpr_count:     0
    .vgpr_spill_count: 0
    .wavefront_size: 32
    .workgroup_processor_mode: 1
  - .args:
      - .offset:         0
        .size:           88
        .value_kind:     by_value
    .group_segment_fixed_size: 0
    .kernarg_segment_align: 8
    .kernarg_segment_size: 88
    .language:       OpenCL C
    .language_version:
      - 2
      - 0
    .max_flat_workgroup_size: 256
    .name:           _ZN7rocprim17ROCPRIM_400000_NS6detail17trampoline_kernelINS0_14default_configENS1_36segmented_radix_sort_config_selectorI6__halflEEZNS1_25segmented_radix_sort_implIS3_Lb0EPKS5_PS5_PKlPlN2at6native12_GLOBAL__N_18offset_tEEE10hipError_tPvRmT1_PNSt15iterator_traitsISL_E10value_typeET2_T3_PNSM_ISR_E10value_typeET4_jRbjT5_SX_jjP12ihipStream_tbEUlT_E1_NS1_11comp_targetILNS1_3genE4ELNS1_11target_archE910ELNS1_3gpuE8ELNS1_3repE0EEENS1_59segmented_radix_sort_warp_sort_small_config_static_selectorELNS0_4arch9wavefront6targetE0EEEvSL_
    .private_segment_fixed_size: 0
    .sgpr_count:     0
    .sgpr_spill_count: 0
    .symbol:         _ZN7rocprim17ROCPRIM_400000_NS6detail17trampoline_kernelINS0_14default_configENS1_36segmented_radix_sort_config_selectorI6__halflEEZNS1_25segmented_radix_sort_implIS3_Lb0EPKS5_PS5_PKlPlN2at6native12_GLOBAL__N_18offset_tEEE10hipError_tPvRmT1_PNSt15iterator_traitsISL_E10value_typeET2_T3_PNSM_ISR_E10value_typeET4_jRbjT5_SX_jjP12ihipStream_tbEUlT_E1_NS1_11comp_targetILNS1_3genE4ELNS1_11target_archE910ELNS1_3gpuE8ELNS1_3repE0EEENS1_59segmented_radix_sort_warp_sort_small_config_static_selectorELNS0_4arch9wavefront6targetE0EEEvSL_.kd
    .uniform_work_group_size: 1
    .uses_dynamic_stack: false
    .vgpr_count:     0
    .vgpr_spill_count: 0
    .wavefront_size: 32
    .workgroup_processor_mode: 1
  - .args:
      - .offset:         0
        .size:           88
        .value_kind:     by_value
    .group_segment_fixed_size: 0
    .kernarg_segment_align: 8
    .kernarg_segment_size: 88
    .language:       OpenCL C
    .language_version:
      - 2
      - 0
    .max_flat_workgroup_size: 256
    .name:           _ZN7rocprim17ROCPRIM_400000_NS6detail17trampoline_kernelINS0_14default_configENS1_36segmented_radix_sort_config_selectorI6__halflEEZNS1_25segmented_radix_sort_implIS3_Lb0EPKS5_PS5_PKlPlN2at6native12_GLOBAL__N_18offset_tEEE10hipError_tPvRmT1_PNSt15iterator_traitsISL_E10value_typeET2_T3_PNSM_ISR_E10value_typeET4_jRbjT5_SX_jjP12ihipStream_tbEUlT_E1_NS1_11comp_targetILNS1_3genE3ELNS1_11target_archE908ELNS1_3gpuE7ELNS1_3repE0EEENS1_59segmented_radix_sort_warp_sort_small_config_static_selectorELNS0_4arch9wavefront6targetE0EEEvSL_
    .private_segment_fixed_size: 0
    .sgpr_count:     0
    .sgpr_spill_count: 0
    .symbol:         _ZN7rocprim17ROCPRIM_400000_NS6detail17trampoline_kernelINS0_14default_configENS1_36segmented_radix_sort_config_selectorI6__halflEEZNS1_25segmented_radix_sort_implIS3_Lb0EPKS5_PS5_PKlPlN2at6native12_GLOBAL__N_18offset_tEEE10hipError_tPvRmT1_PNSt15iterator_traitsISL_E10value_typeET2_T3_PNSM_ISR_E10value_typeET4_jRbjT5_SX_jjP12ihipStream_tbEUlT_E1_NS1_11comp_targetILNS1_3genE3ELNS1_11target_archE908ELNS1_3gpuE7ELNS1_3repE0EEENS1_59segmented_radix_sort_warp_sort_small_config_static_selectorELNS0_4arch9wavefront6targetE0EEEvSL_.kd
    .uniform_work_group_size: 1
    .uses_dynamic_stack: false
    .vgpr_count:     0
    .vgpr_spill_count: 0
    .wavefront_size: 32
    .workgroup_processor_mode: 1
  - .args:
      - .offset:         0
        .size:           88
        .value_kind:     by_value
    .group_segment_fixed_size: 0
    .kernarg_segment_align: 8
    .kernarg_segment_size: 88
    .language:       OpenCL C
    .language_version:
      - 2
      - 0
    .max_flat_workgroup_size: 256
    .name:           _ZN7rocprim17ROCPRIM_400000_NS6detail17trampoline_kernelINS0_14default_configENS1_36segmented_radix_sort_config_selectorI6__halflEEZNS1_25segmented_radix_sort_implIS3_Lb0EPKS5_PS5_PKlPlN2at6native12_GLOBAL__N_18offset_tEEE10hipError_tPvRmT1_PNSt15iterator_traitsISL_E10value_typeET2_T3_PNSM_ISR_E10value_typeET4_jRbjT5_SX_jjP12ihipStream_tbEUlT_E1_NS1_11comp_targetILNS1_3genE2ELNS1_11target_archE906ELNS1_3gpuE6ELNS1_3repE0EEENS1_59segmented_radix_sort_warp_sort_small_config_static_selectorELNS0_4arch9wavefront6targetE0EEEvSL_
    .private_segment_fixed_size: 0
    .sgpr_count:     0
    .sgpr_spill_count: 0
    .symbol:         _ZN7rocprim17ROCPRIM_400000_NS6detail17trampoline_kernelINS0_14default_configENS1_36segmented_radix_sort_config_selectorI6__halflEEZNS1_25segmented_radix_sort_implIS3_Lb0EPKS5_PS5_PKlPlN2at6native12_GLOBAL__N_18offset_tEEE10hipError_tPvRmT1_PNSt15iterator_traitsISL_E10value_typeET2_T3_PNSM_ISR_E10value_typeET4_jRbjT5_SX_jjP12ihipStream_tbEUlT_E1_NS1_11comp_targetILNS1_3genE2ELNS1_11target_archE906ELNS1_3gpuE6ELNS1_3repE0EEENS1_59segmented_radix_sort_warp_sort_small_config_static_selectorELNS0_4arch9wavefront6targetE0EEEvSL_.kd
    .uniform_work_group_size: 1
    .uses_dynamic_stack: false
    .vgpr_count:     0
    .vgpr_spill_count: 0
    .wavefront_size: 32
    .workgroup_processor_mode: 1
  - .args:
      - .offset:         0
        .size:           88
        .value_kind:     by_value
      - .offset:         88
        .size:           4
        .value_kind:     hidden_block_count_x
      - .offset:         92
        .size:           4
        .value_kind:     hidden_block_count_y
      - .offset:         96
        .size:           4
        .value_kind:     hidden_block_count_z
      - .offset:         100
        .size:           2
        .value_kind:     hidden_group_size_x
      - .offset:         102
        .size:           2
        .value_kind:     hidden_group_size_y
      - .offset:         104
        .size:           2
        .value_kind:     hidden_group_size_z
      - .offset:         106
        .size:           2
        .value_kind:     hidden_remainder_x
      - .offset:         108
        .size:           2
        .value_kind:     hidden_remainder_y
      - .offset:         110
        .size:           2
        .value_kind:     hidden_remainder_z
      - .offset:         128
        .size:           8
        .value_kind:     hidden_global_offset_x
      - .offset:         136
        .size:           8
        .value_kind:     hidden_global_offset_y
      - .offset:         144
        .size:           8
        .value_kind:     hidden_global_offset_z
      - .offset:         152
        .size:           2
        .value_kind:     hidden_grid_dims
    .group_segment_fixed_size: 10240
    .kernarg_segment_align: 8
    .kernarg_segment_size: 344
    .language:       OpenCL C
    .language_version:
      - 2
      - 0
    .max_flat_workgroup_size: 256
    .name:           _ZN7rocprim17ROCPRIM_400000_NS6detail17trampoline_kernelINS0_14default_configENS1_36segmented_radix_sort_config_selectorI6__halflEEZNS1_25segmented_radix_sort_implIS3_Lb0EPKS5_PS5_PKlPlN2at6native12_GLOBAL__N_18offset_tEEE10hipError_tPvRmT1_PNSt15iterator_traitsISL_E10value_typeET2_T3_PNSM_ISR_E10value_typeET4_jRbjT5_SX_jjP12ihipStream_tbEUlT_E1_NS1_11comp_targetILNS1_3genE10ELNS1_11target_archE1201ELNS1_3gpuE5ELNS1_3repE0EEENS1_59segmented_radix_sort_warp_sort_small_config_static_selectorELNS0_4arch9wavefront6targetE0EEEvSL_
    .private_segment_fixed_size: 0
    .sgpr_count:     35
    .sgpr_spill_count: 0
    .symbol:         _ZN7rocprim17ROCPRIM_400000_NS6detail17trampoline_kernelINS0_14default_configENS1_36segmented_radix_sort_config_selectorI6__halflEEZNS1_25segmented_radix_sort_implIS3_Lb0EPKS5_PS5_PKlPlN2at6native12_GLOBAL__N_18offset_tEEE10hipError_tPvRmT1_PNSt15iterator_traitsISL_E10value_typeET2_T3_PNSM_ISR_E10value_typeET4_jRbjT5_SX_jjP12ihipStream_tbEUlT_E1_NS1_11comp_targetILNS1_3genE10ELNS1_11target_archE1201ELNS1_3gpuE5ELNS1_3repE0EEENS1_59segmented_radix_sort_warp_sort_small_config_static_selectorELNS0_4arch9wavefront6targetE0EEEvSL_.kd
    .uniform_work_group_size: 1
    .uses_dynamic_stack: false
    .vgpr_count:     66
    .vgpr_spill_count: 0
    .wavefront_size: 32
    .workgroup_processor_mode: 1
  - .args:
      - .offset:         0
        .size:           88
        .value_kind:     by_value
    .group_segment_fixed_size: 0
    .kernarg_segment_align: 8
    .kernarg_segment_size: 88
    .language:       OpenCL C
    .language_version:
      - 2
      - 0
    .max_flat_workgroup_size: 256
    .name:           _ZN7rocprim17ROCPRIM_400000_NS6detail17trampoline_kernelINS0_14default_configENS1_36segmented_radix_sort_config_selectorI6__halflEEZNS1_25segmented_radix_sort_implIS3_Lb0EPKS5_PS5_PKlPlN2at6native12_GLOBAL__N_18offset_tEEE10hipError_tPvRmT1_PNSt15iterator_traitsISL_E10value_typeET2_T3_PNSM_ISR_E10value_typeET4_jRbjT5_SX_jjP12ihipStream_tbEUlT_E1_NS1_11comp_targetILNS1_3genE10ELNS1_11target_archE1200ELNS1_3gpuE4ELNS1_3repE0EEENS1_59segmented_radix_sort_warp_sort_small_config_static_selectorELNS0_4arch9wavefront6targetE0EEEvSL_
    .private_segment_fixed_size: 0
    .sgpr_count:     0
    .sgpr_spill_count: 0
    .symbol:         _ZN7rocprim17ROCPRIM_400000_NS6detail17trampoline_kernelINS0_14default_configENS1_36segmented_radix_sort_config_selectorI6__halflEEZNS1_25segmented_radix_sort_implIS3_Lb0EPKS5_PS5_PKlPlN2at6native12_GLOBAL__N_18offset_tEEE10hipError_tPvRmT1_PNSt15iterator_traitsISL_E10value_typeET2_T3_PNSM_ISR_E10value_typeET4_jRbjT5_SX_jjP12ihipStream_tbEUlT_E1_NS1_11comp_targetILNS1_3genE10ELNS1_11target_archE1200ELNS1_3gpuE4ELNS1_3repE0EEENS1_59segmented_radix_sort_warp_sort_small_config_static_selectorELNS0_4arch9wavefront6targetE0EEEvSL_.kd
    .uniform_work_group_size: 1
    .uses_dynamic_stack: false
    .vgpr_count:     0
    .vgpr_spill_count: 0
    .wavefront_size: 32
    .workgroup_processor_mode: 1
  - .args:
      - .offset:         0
        .size:           88
        .value_kind:     by_value
    .group_segment_fixed_size: 0
    .kernarg_segment_align: 8
    .kernarg_segment_size: 88
    .language:       OpenCL C
    .language_version:
      - 2
      - 0
    .max_flat_workgroup_size: 256
    .name:           _ZN7rocprim17ROCPRIM_400000_NS6detail17trampoline_kernelINS0_14default_configENS1_36segmented_radix_sort_config_selectorI6__halflEEZNS1_25segmented_radix_sort_implIS3_Lb0EPKS5_PS5_PKlPlN2at6native12_GLOBAL__N_18offset_tEEE10hipError_tPvRmT1_PNSt15iterator_traitsISL_E10value_typeET2_T3_PNSM_ISR_E10value_typeET4_jRbjT5_SX_jjP12ihipStream_tbEUlT_E1_NS1_11comp_targetILNS1_3genE9ELNS1_11target_archE1100ELNS1_3gpuE3ELNS1_3repE0EEENS1_59segmented_radix_sort_warp_sort_small_config_static_selectorELNS0_4arch9wavefront6targetE0EEEvSL_
    .private_segment_fixed_size: 0
    .sgpr_count:     0
    .sgpr_spill_count: 0
    .symbol:         _ZN7rocprim17ROCPRIM_400000_NS6detail17trampoline_kernelINS0_14default_configENS1_36segmented_radix_sort_config_selectorI6__halflEEZNS1_25segmented_radix_sort_implIS3_Lb0EPKS5_PS5_PKlPlN2at6native12_GLOBAL__N_18offset_tEEE10hipError_tPvRmT1_PNSt15iterator_traitsISL_E10value_typeET2_T3_PNSM_ISR_E10value_typeET4_jRbjT5_SX_jjP12ihipStream_tbEUlT_E1_NS1_11comp_targetILNS1_3genE9ELNS1_11target_archE1100ELNS1_3gpuE3ELNS1_3repE0EEENS1_59segmented_radix_sort_warp_sort_small_config_static_selectorELNS0_4arch9wavefront6targetE0EEEvSL_.kd
    .uniform_work_group_size: 1
    .uses_dynamic_stack: false
    .vgpr_count:     0
    .vgpr_spill_count: 0
    .wavefront_size: 32
    .workgroup_processor_mode: 1
  - .args:
      - .offset:         0
        .size:           88
        .value_kind:     by_value
    .group_segment_fixed_size: 0
    .kernarg_segment_align: 8
    .kernarg_segment_size: 88
    .language:       OpenCL C
    .language_version:
      - 2
      - 0
    .max_flat_workgroup_size: 256
    .name:           _ZN7rocprim17ROCPRIM_400000_NS6detail17trampoline_kernelINS0_14default_configENS1_36segmented_radix_sort_config_selectorI6__halflEEZNS1_25segmented_radix_sort_implIS3_Lb0EPKS5_PS5_PKlPlN2at6native12_GLOBAL__N_18offset_tEEE10hipError_tPvRmT1_PNSt15iterator_traitsISL_E10value_typeET2_T3_PNSM_ISR_E10value_typeET4_jRbjT5_SX_jjP12ihipStream_tbEUlT_E1_NS1_11comp_targetILNS1_3genE8ELNS1_11target_archE1030ELNS1_3gpuE2ELNS1_3repE0EEENS1_59segmented_radix_sort_warp_sort_small_config_static_selectorELNS0_4arch9wavefront6targetE0EEEvSL_
    .private_segment_fixed_size: 0
    .sgpr_count:     0
    .sgpr_spill_count: 0
    .symbol:         _ZN7rocprim17ROCPRIM_400000_NS6detail17trampoline_kernelINS0_14default_configENS1_36segmented_radix_sort_config_selectorI6__halflEEZNS1_25segmented_radix_sort_implIS3_Lb0EPKS5_PS5_PKlPlN2at6native12_GLOBAL__N_18offset_tEEE10hipError_tPvRmT1_PNSt15iterator_traitsISL_E10value_typeET2_T3_PNSM_ISR_E10value_typeET4_jRbjT5_SX_jjP12ihipStream_tbEUlT_E1_NS1_11comp_targetILNS1_3genE8ELNS1_11target_archE1030ELNS1_3gpuE2ELNS1_3repE0EEENS1_59segmented_radix_sort_warp_sort_small_config_static_selectorELNS0_4arch9wavefront6targetE0EEEvSL_.kd
    .uniform_work_group_size: 1
    .uses_dynamic_stack: false
    .vgpr_count:     0
    .vgpr_spill_count: 0
    .wavefront_size: 32
    .workgroup_processor_mode: 1
  - .args:
      - .offset:         0
        .size:           80
        .value_kind:     by_value
    .group_segment_fixed_size: 0
    .kernarg_segment_align: 8
    .kernarg_segment_size: 80
    .language:       OpenCL C
    .language_version:
      - 2
      - 0
    .max_flat_workgroup_size: 256
    .name:           _ZN7rocprim17ROCPRIM_400000_NS6detail17trampoline_kernelINS0_14default_configENS1_36segmented_radix_sort_config_selectorI6__halflEEZNS1_25segmented_radix_sort_implIS3_Lb0EPKS5_PS5_PKlPlN2at6native12_GLOBAL__N_18offset_tEEE10hipError_tPvRmT1_PNSt15iterator_traitsISL_E10value_typeET2_T3_PNSM_ISR_E10value_typeET4_jRbjT5_SX_jjP12ihipStream_tbEUlT_E2_NS1_11comp_targetILNS1_3genE0ELNS1_11target_archE4294967295ELNS1_3gpuE0ELNS1_3repE0EEENS1_30default_config_static_selectorELNS0_4arch9wavefront6targetE0EEEvSL_
    .private_segment_fixed_size: 0
    .sgpr_count:     0
    .sgpr_spill_count: 0
    .symbol:         _ZN7rocprim17ROCPRIM_400000_NS6detail17trampoline_kernelINS0_14default_configENS1_36segmented_radix_sort_config_selectorI6__halflEEZNS1_25segmented_radix_sort_implIS3_Lb0EPKS5_PS5_PKlPlN2at6native12_GLOBAL__N_18offset_tEEE10hipError_tPvRmT1_PNSt15iterator_traitsISL_E10value_typeET2_T3_PNSM_ISR_E10value_typeET4_jRbjT5_SX_jjP12ihipStream_tbEUlT_E2_NS1_11comp_targetILNS1_3genE0ELNS1_11target_archE4294967295ELNS1_3gpuE0ELNS1_3repE0EEENS1_30default_config_static_selectorELNS0_4arch9wavefront6targetE0EEEvSL_.kd
    .uniform_work_group_size: 1
    .uses_dynamic_stack: false
    .vgpr_count:     0
    .vgpr_spill_count: 0
    .wavefront_size: 32
    .workgroup_processor_mode: 1
  - .args:
      - .offset:         0
        .size:           80
        .value_kind:     by_value
    .group_segment_fixed_size: 0
    .kernarg_segment_align: 8
    .kernarg_segment_size: 80
    .language:       OpenCL C
    .language_version:
      - 2
      - 0
    .max_flat_workgroup_size: 256
    .name:           _ZN7rocprim17ROCPRIM_400000_NS6detail17trampoline_kernelINS0_14default_configENS1_36segmented_radix_sort_config_selectorI6__halflEEZNS1_25segmented_radix_sort_implIS3_Lb0EPKS5_PS5_PKlPlN2at6native12_GLOBAL__N_18offset_tEEE10hipError_tPvRmT1_PNSt15iterator_traitsISL_E10value_typeET2_T3_PNSM_ISR_E10value_typeET4_jRbjT5_SX_jjP12ihipStream_tbEUlT_E2_NS1_11comp_targetILNS1_3genE5ELNS1_11target_archE942ELNS1_3gpuE9ELNS1_3repE0EEENS1_30default_config_static_selectorELNS0_4arch9wavefront6targetE0EEEvSL_
    .private_segment_fixed_size: 0
    .sgpr_count:     0
    .sgpr_spill_count: 0
    .symbol:         _ZN7rocprim17ROCPRIM_400000_NS6detail17trampoline_kernelINS0_14default_configENS1_36segmented_radix_sort_config_selectorI6__halflEEZNS1_25segmented_radix_sort_implIS3_Lb0EPKS5_PS5_PKlPlN2at6native12_GLOBAL__N_18offset_tEEE10hipError_tPvRmT1_PNSt15iterator_traitsISL_E10value_typeET2_T3_PNSM_ISR_E10value_typeET4_jRbjT5_SX_jjP12ihipStream_tbEUlT_E2_NS1_11comp_targetILNS1_3genE5ELNS1_11target_archE942ELNS1_3gpuE9ELNS1_3repE0EEENS1_30default_config_static_selectorELNS0_4arch9wavefront6targetE0EEEvSL_.kd
    .uniform_work_group_size: 1
    .uses_dynamic_stack: false
    .vgpr_count:     0
    .vgpr_spill_count: 0
    .wavefront_size: 32
    .workgroup_processor_mode: 1
  - .args:
      - .offset:         0
        .size:           80
        .value_kind:     by_value
    .group_segment_fixed_size: 0
    .kernarg_segment_align: 8
    .kernarg_segment_size: 80
    .language:       OpenCL C
    .language_version:
      - 2
      - 0
    .max_flat_workgroup_size: 256
    .name:           _ZN7rocprim17ROCPRIM_400000_NS6detail17trampoline_kernelINS0_14default_configENS1_36segmented_radix_sort_config_selectorI6__halflEEZNS1_25segmented_radix_sort_implIS3_Lb0EPKS5_PS5_PKlPlN2at6native12_GLOBAL__N_18offset_tEEE10hipError_tPvRmT1_PNSt15iterator_traitsISL_E10value_typeET2_T3_PNSM_ISR_E10value_typeET4_jRbjT5_SX_jjP12ihipStream_tbEUlT_E2_NS1_11comp_targetILNS1_3genE4ELNS1_11target_archE910ELNS1_3gpuE8ELNS1_3repE0EEENS1_30default_config_static_selectorELNS0_4arch9wavefront6targetE0EEEvSL_
    .private_segment_fixed_size: 0
    .sgpr_count:     0
    .sgpr_spill_count: 0
    .symbol:         _ZN7rocprim17ROCPRIM_400000_NS6detail17trampoline_kernelINS0_14default_configENS1_36segmented_radix_sort_config_selectorI6__halflEEZNS1_25segmented_radix_sort_implIS3_Lb0EPKS5_PS5_PKlPlN2at6native12_GLOBAL__N_18offset_tEEE10hipError_tPvRmT1_PNSt15iterator_traitsISL_E10value_typeET2_T3_PNSM_ISR_E10value_typeET4_jRbjT5_SX_jjP12ihipStream_tbEUlT_E2_NS1_11comp_targetILNS1_3genE4ELNS1_11target_archE910ELNS1_3gpuE8ELNS1_3repE0EEENS1_30default_config_static_selectorELNS0_4arch9wavefront6targetE0EEEvSL_.kd
    .uniform_work_group_size: 1
    .uses_dynamic_stack: false
    .vgpr_count:     0
    .vgpr_spill_count: 0
    .wavefront_size: 32
    .workgroup_processor_mode: 1
  - .args:
      - .offset:         0
        .size:           80
        .value_kind:     by_value
    .group_segment_fixed_size: 0
    .kernarg_segment_align: 8
    .kernarg_segment_size: 80
    .language:       OpenCL C
    .language_version:
      - 2
      - 0
    .max_flat_workgroup_size: 256
    .name:           _ZN7rocprim17ROCPRIM_400000_NS6detail17trampoline_kernelINS0_14default_configENS1_36segmented_radix_sort_config_selectorI6__halflEEZNS1_25segmented_radix_sort_implIS3_Lb0EPKS5_PS5_PKlPlN2at6native12_GLOBAL__N_18offset_tEEE10hipError_tPvRmT1_PNSt15iterator_traitsISL_E10value_typeET2_T3_PNSM_ISR_E10value_typeET4_jRbjT5_SX_jjP12ihipStream_tbEUlT_E2_NS1_11comp_targetILNS1_3genE3ELNS1_11target_archE908ELNS1_3gpuE7ELNS1_3repE0EEENS1_30default_config_static_selectorELNS0_4arch9wavefront6targetE0EEEvSL_
    .private_segment_fixed_size: 0
    .sgpr_count:     0
    .sgpr_spill_count: 0
    .symbol:         _ZN7rocprim17ROCPRIM_400000_NS6detail17trampoline_kernelINS0_14default_configENS1_36segmented_radix_sort_config_selectorI6__halflEEZNS1_25segmented_radix_sort_implIS3_Lb0EPKS5_PS5_PKlPlN2at6native12_GLOBAL__N_18offset_tEEE10hipError_tPvRmT1_PNSt15iterator_traitsISL_E10value_typeET2_T3_PNSM_ISR_E10value_typeET4_jRbjT5_SX_jjP12ihipStream_tbEUlT_E2_NS1_11comp_targetILNS1_3genE3ELNS1_11target_archE908ELNS1_3gpuE7ELNS1_3repE0EEENS1_30default_config_static_selectorELNS0_4arch9wavefront6targetE0EEEvSL_.kd
    .uniform_work_group_size: 1
    .uses_dynamic_stack: false
    .vgpr_count:     0
    .vgpr_spill_count: 0
    .wavefront_size: 32
    .workgroup_processor_mode: 1
  - .args:
      - .offset:         0
        .size:           80
        .value_kind:     by_value
    .group_segment_fixed_size: 0
    .kernarg_segment_align: 8
    .kernarg_segment_size: 80
    .language:       OpenCL C
    .language_version:
      - 2
      - 0
    .max_flat_workgroup_size: 256
    .name:           _ZN7rocprim17ROCPRIM_400000_NS6detail17trampoline_kernelINS0_14default_configENS1_36segmented_radix_sort_config_selectorI6__halflEEZNS1_25segmented_radix_sort_implIS3_Lb0EPKS5_PS5_PKlPlN2at6native12_GLOBAL__N_18offset_tEEE10hipError_tPvRmT1_PNSt15iterator_traitsISL_E10value_typeET2_T3_PNSM_ISR_E10value_typeET4_jRbjT5_SX_jjP12ihipStream_tbEUlT_E2_NS1_11comp_targetILNS1_3genE2ELNS1_11target_archE906ELNS1_3gpuE6ELNS1_3repE0EEENS1_30default_config_static_selectorELNS0_4arch9wavefront6targetE0EEEvSL_
    .private_segment_fixed_size: 0
    .sgpr_count:     0
    .sgpr_spill_count: 0
    .symbol:         _ZN7rocprim17ROCPRIM_400000_NS6detail17trampoline_kernelINS0_14default_configENS1_36segmented_radix_sort_config_selectorI6__halflEEZNS1_25segmented_radix_sort_implIS3_Lb0EPKS5_PS5_PKlPlN2at6native12_GLOBAL__N_18offset_tEEE10hipError_tPvRmT1_PNSt15iterator_traitsISL_E10value_typeET2_T3_PNSM_ISR_E10value_typeET4_jRbjT5_SX_jjP12ihipStream_tbEUlT_E2_NS1_11comp_targetILNS1_3genE2ELNS1_11target_archE906ELNS1_3gpuE6ELNS1_3repE0EEENS1_30default_config_static_selectorELNS0_4arch9wavefront6targetE0EEEvSL_.kd
    .uniform_work_group_size: 1
    .uses_dynamic_stack: false
    .vgpr_count:     0
    .vgpr_spill_count: 0
    .wavefront_size: 32
    .workgroup_processor_mode: 1
  - .args:
      - .offset:         0
        .size:           80
        .value_kind:     by_value
      - .offset:         80
        .size:           4
        .value_kind:     hidden_block_count_x
      - .offset:         84
        .size:           4
        .value_kind:     hidden_block_count_y
      - .offset:         88
        .size:           4
        .value_kind:     hidden_block_count_z
      - .offset:         92
        .size:           2
        .value_kind:     hidden_group_size_x
      - .offset:         94
        .size:           2
        .value_kind:     hidden_group_size_y
      - .offset:         96
        .size:           2
        .value_kind:     hidden_group_size_z
      - .offset:         98
        .size:           2
        .value_kind:     hidden_remainder_x
      - .offset:         100
        .size:           2
        .value_kind:     hidden_remainder_y
      - .offset:         102
        .size:           2
        .value_kind:     hidden_remainder_z
      - .offset:         120
        .size:           8
        .value_kind:     hidden_global_offset_x
      - .offset:         128
        .size:           8
        .value_kind:     hidden_global_offset_y
      - .offset:         136
        .size:           8
        .value_kind:     hidden_global_offset_z
      - .offset:         144
        .size:           2
        .value_kind:     hidden_grid_dims
    .group_segment_fixed_size: 17440
    .kernarg_segment_align: 8
    .kernarg_segment_size: 336
    .language:       OpenCL C
    .language_version:
      - 2
      - 0
    .max_flat_workgroup_size: 256
    .name:           _ZN7rocprim17ROCPRIM_400000_NS6detail17trampoline_kernelINS0_14default_configENS1_36segmented_radix_sort_config_selectorI6__halflEEZNS1_25segmented_radix_sort_implIS3_Lb0EPKS5_PS5_PKlPlN2at6native12_GLOBAL__N_18offset_tEEE10hipError_tPvRmT1_PNSt15iterator_traitsISL_E10value_typeET2_T3_PNSM_ISR_E10value_typeET4_jRbjT5_SX_jjP12ihipStream_tbEUlT_E2_NS1_11comp_targetILNS1_3genE10ELNS1_11target_archE1201ELNS1_3gpuE5ELNS1_3repE0EEENS1_30default_config_static_selectorELNS0_4arch9wavefront6targetE0EEEvSL_
    .private_segment_fixed_size: 0
    .sgpr_count:     52
    .sgpr_spill_count: 0
    .symbol:         _ZN7rocprim17ROCPRIM_400000_NS6detail17trampoline_kernelINS0_14default_configENS1_36segmented_radix_sort_config_selectorI6__halflEEZNS1_25segmented_radix_sort_implIS3_Lb0EPKS5_PS5_PKlPlN2at6native12_GLOBAL__N_18offset_tEEE10hipError_tPvRmT1_PNSt15iterator_traitsISL_E10value_typeET2_T3_PNSM_ISR_E10value_typeET4_jRbjT5_SX_jjP12ihipStream_tbEUlT_E2_NS1_11comp_targetILNS1_3genE10ELNS1_11target_archE1201ELNS1_3gpuE5ELNS1_3repE0EEENS1_30default_config_static_selectorELNS0_4arch9wavefront6targetE0EEEvSL_.kd
    .uniform_work_group_size: 1
    .uses_dynamic_stack: false
    .vgpr_count:     198
    .vgpr_spill_count: 0
    .wavefront_size: 32
    .workgroup_processor_mode: 1
  - .args:
      - .offset:         0
        .size:           80
        .value_kind:     by_value
    .group_segment_fixed_size: 0
    .kernarg_segment_align: 8
    .kernarg_segment_size: 80
    .language:       OpenCL C
    .language_version:
      - 2
      - 0
    .max_flat_workgroup_size: 128
    .name:           _ZN7rocprim17ROCPRIM_400000_NS6detail17trampoline_kernelINS0_14default_configENS1_36segmented_radix_sort_config_selectorI6__halflEEZNS1_25segmented_radix_sort_implIS3_Lb0EPKS5_PS5_PKlPlN2at6native12_GLOBAL__N_18offset_tEEE10hipError_tPvRmT1_PNSt15iterator_traitsISL_E10value_typeET2_T3_PNSM_ISR_E10value_typeET4_jRbjT5_SX_jjP12ihipStream_tbEUlT_E2_NS1_11comp_targetILNS1_3genE10ELNS1_11target_archE1200ELNS1_3gpuE4ELNS1_3repE0EEENS1_30default_config_static_selectorELNS0_4arch9wavefront6targetE0EEEvSL_
    .private_segment_fixed_size: 0
    .sgpr_count:     0
    .sgpr_spill_count: 0
    .symbol:         _ZN7rocprim17ROCPRIM_400000_NS6detail17trampoline_kernelINS0_14default_configENS1_36segmented_radix_sort_config_selectorI6__halflEEZNS1_25segmented_radix_sort_implIS3_Lb0EPKS5_PS5_PKlPlN2at6native12_GLOBAL__N_18offset_tEEE10hipError_tPvRmT1_PNSt15iterator_traitsISL_E10value_typeET2_T3_PNSM_ISR_E10value_typeET4_jRbjT5_SX_jjP12ihipStream_tbEUlT_E2_NS1_11comp_targetILNS1_3genE10ELNS1_11target_archE1200ELNS1_3gpuE4ELNS1_3repE0EEENS1_30default_config_static_selectorELNS0_4arch9wavefront6targetE0EEEvSL_.kd
    .uniform_work_group_size: 1
    .uses_dynamic_stack: false
    .vgpr_count:     0
    .vgpr_spill_count: 0
    .wavefront_size: 32
    .workgroup_processor_mode: 1
  - .args:
      - .offset:         0
        .size:           80
        .value_kind:     by_value
    .group_segment_fixed_size: 0
    .kernarg_segment_align: 8
    .kernarg_segment_size: 80
    .language:       OpenCL C
    .language_version:
      - 2
      - 0
    .max_flat_workgroup_size: 256
    .name:           _ZN7rocprim17ROCPRIM_400000_NS6detail17trampoline_kernelINS0_14default_configENS1_36segmented_radix_sort_config_selectorI6__halflEEZNS1_25segmented_radix_sort_implIS3_Lb0EPKS5_PS5_PKlPlN2at6native12_GLOBAL__N_18offset_tEEE10hipError_tPvRmT1_PNSt15iterator_traitsISL_E10value_typeET2_T3_PNSM_ISR_E10value_typeET4_jRbjT5_SX_jjP12ihipStream_tbEUlT_E2_NS1_11comp_targetILNS1_3genE9ELNS1_11target_archE1100ELNS1_3gpuE3ELNS1_3repE0EEENS1_30default_config_static_selectorELNS0_4arch9wavefront6targetE0EEEvSL_
    .private_segment_fixed_size: 0
    .sgpr_count:     0
    .sgpr_spill_count: 0
    .symbol:         _ZN7rocprim17ROCPRIM_400000_NS6detail17trampoline_kernelINS0_14default_configENS1_36segmented_radix_sort_config_selectorI6__halflEEZNS1_25segmented_radix_sort_implIS3_Lb0EPKS5_PS5_PKlPlN2at6native12_GLOBAL__N_18offset_tEEE10hipError_tPvRmT1_PNSt15iterator_traitsISL_E10value_typeET2_T3_PNSM_ISR_E10value_typeET4_jRbjT5_SX_jjP12ihipStream_tbEUlT_E2_NS1_11comp_targetILNS1_3genE9ELNS1_11target_archE1100ELNS1_3gpuE3ELNS1_3repE0EEENS1_30default_config_static_selectorELNS0_4arch9wavefront6targetE0EEEvSL_.kd
    .uniform_work_group_size: 1
    .uses_dynamic_stack: false
    .vgpr_count:     0
    .vgpr_spill_count: 0
    .wavefront_size: 32
    .workgroup_processor_mode: 1
  - .args:
      - .offset:         0
        .size:           80
        .value_kind:     by_value
    .group_segment_fixed_size: 0
    .kernarg_segment_align: 8
    .kernarg_segment_size: 80
    .language:       OpenCL C
    .language_version:
      - 2
      - 0
    .max_flat_workgroup_size: 256
    .name:           _ZN7rocprim17ROCPRIM_400000_NS6detail17trampoline_kernelINS0_14default_configENS1_36segmented_radix_sort_config_selectorI6__halflEEZNS1_25segmented_radix_sort_implIS3_Lb0EPKS5_PS5_PKlPlN2at6native12_GLOBAL__N_18offset_tEEE10hipError_tPvRmT1_PNSt15iterator_traitsISL_E10value_typeET2_T3_PNSM_ISR_E10value_typeET4_jRbjT5_SX_jjP12ihipStream_tbEUlT_E2_NS1_11comp_targetILNS1_3genE8ELNS1_11target_archE1030ELNS1_3gpuE2ELNS1_3repE0EEENS1_30default_config_static_selectorELNS0_4arch9wavefront6targetE0EEEvSL_
    .private_segment_fixed_size: 0
    .sgpr_count:     0
    .sgpr_spill_count: 0
    .symbol:         _ZN7rocprim17ROCPRIM_400000_NS6detail17trampoline_kernelINS0_14default_configENS1_36segmented_radix_sort_config_selectorI6__halflEEZNS1_25segmented_radix_sort_implIS3_Lb0EPKS5_PS5_PKlPlN2at6native12_GLOBAL__N_18offset_tEEE10hipError_tPvRmT1_PNSt15iterator_traitsISL_E10value_typeET2_T3_PNSM_ISR_E10value_typeET4_jRbjT5_SX_jjP12ihipStream_tbEUlT_E2_NS1_11comp_targetILNS1_3genE8ELNS1_11target_archE1030ELNS1_3gpuE2ELNS1_3repE0EEENS1_30default_config_static_selectorELNS0_4arch9wavefront6targetE0EEEvSL_.kd
    .uniform_work_group_size: 1
    .uses_dynamic_stack: false
    .vgpr_count:     0
    .vgpr_spill_count: 0
    .wavefront_size: 32
    .workgroup_processor_mode: 1
  - .args:
      - .address_space:  global
        .offset:         0
        .size:           8
        .value_kind:     global_buffer
      - .address_space:  global
        .offset:         8
        .size:           8
        .value_kind:     global_buffer
      - .address_space:  global
        .offset:         16
        .size:           8
        .value_kind:     global_buffer
      - .address_space:  global
        .offset:         24
        .size:           8
        .value_kind:     global_buffer
      - .offset:         32
        .size:           4
        .value_kind:     by_value
      - .offset:         36
        .size:           4
        .value_kind:     by_value
      - .offset:         40
        .size:           4
        .value_kind:     hidden_block_count_x
      - .offset:         44
        .size:           4
        .value_kind:     hidden_block_count_y
      - .offset:         48
        .size:           4
        .value_kind:     hidden_block_count_z
      - .offset:         52
        .size:           2
        .value_kind:     hidden_group_size_x
      - .offset:         54
        .size:           2
        .value_kind:     hidden_group_size_y
      - .offset:         56
        .size:           2
        .value_kind:     hidden_group_size_z
      - .offset:         58
        .size:           2
        .value_kind:     hidden_remainder_x
      - .offset:         60
        .size:           2
        .value_kind:     hidden_remainder_y
      - .offset:         62
        .size:           2
        .value_kind:     hidden_remainder_z
      - .offset:         80
        .size:           8
        .value_kind:     hidden_global_offset_x
      - .offset:         88
        .size:           8
        .value_kind:     hidden_global_offset_y
      - .offset:         96
        .size:           8
        .value_kind:     hidden_global_offset_z
      - .offset:         104
        .size:           2
        .value_kind:     hidden_grid_dims
    .group_segment_fixed_size: 0
    .kernarg_segment_align: 8
    .kernarg_segment_size: 296
    .language:       OpenCL C
    .language_version:
      - 2
      - 0
    .max_flat_workgroup_size: 1024
    .name:           _ZN2at6native12_GLOBAL__N_123sort_postprocess_kernelIN3c108BFloat16EEEvPKT_PS5_PlPK15HIP_vector_typeIiLj2EEii
    .private_segment_fixed_size: 0
    .sgpr_count:     21
    .sgpr_spill_count: 0
    .symbol:         _ZN2at6native12_GLOBAL__N_123sort_postprocess_kernelIN3c108BFloat16EEEvPKT_PS5_PlPK15HIP_vector_typeIiLj2EEii.kd
    .uniform_work_group_size: 1
    .uses_dynamic_stack: false
    .vgpr_count:     16
    .vgpr_spill_count: 0
    .wavefront_size: 32
    .workgroup_processor_mode: 1
  - .args:
      - .offset:         0
        .size:           176
        .value_kind:     by_value
    .group_segment_fixed_size: 0
    .kernarg_segment_align: 8
    .kernarg_segment_size: 176
    .language:       OpenCL C
    .language_version:
      - 2
      - 0
    .max_flat_workgroup_size: 256
    .name:           _ZN7rocprim17ROCPRIM_400000_NS6detail17trampoline_kernelINS0_13select_configILj256ELj13ELNS0_17block_load_methodE3ELS4_3ELS4_3ELNS0_20block_scan_algorithmE0ELj4294967295EEENS1_25partition_config_selectorILNS1_17partition_subalgoE4EjNS0_10empty_typeEbEEZZNS1_14partition_implILS8_4ELb0ES6_15HIP_vector_typeIjLj2EENS0_17counting_iteratorIjlEEPS9_SG_NS0_5tupleIJPjSI_NS0_16reverse_iteratorISI_EEEEENSH_IJSG_SG_SG_EEES9_SI_JZNS1_25segmented_radix_sort_implINS0_14default_configELb1EPK12hip_bfloat16PSP_PKlPlN2at6native12_GLOBAL__N_18offset_tEEE10hipError_tPvRmT1_PNSt15iterator_traitsIS13_E10value_typeET2_T3_PNS14_IS19_E10value_typeET4_jRbjT5_S1F_jjP12ihipStream_tbEUljE_ZNSN_ISO_Lb1ESR_SS_SU_SV_SZ_EES10_S11_S12_S13_S17_S18_S19_S1C_S1D_jS1E_jS1F_S1F_jjS1H_bEUljE0_EEES10_S11_S12_S19_S1D_S1F_T6_T7_T9_mT8_S1H_bDpT10_ENKUlT_T0_E_clISt17integral_constantIbLb0EES1V_EEDaS1Q_S1R_EUlS1Q_E_NS1_11comp_targetILNS1_3genE0ELNS1_11target_archE4294967295ELNS1_3gpuE0ELNS1_3repE0EEENS1_30default_config_static_selectorELNS0_4arch9wavefront6targetE0EEEvS13_
    .private_segment_fixed_size: 0
    .sgpr_count:     0
    .sgpr_spill_count: 0
    .symbol:         _ZN7rocprim17ROCPRIM_400000_NS6detail17trampoline_kernelINS0_13select_configILj256ELj13ELNS0_17block_load_methodE3ELS4_3ELS4_3ELNS0_20block_scan_algorithmE0ELj4294967295EEENS1_25partition_config_selectorILNS1_17partition_subalgoE4EjNS0_10empty_typeEbEEZZNS1_14partition_implILS8_4ELb0ES6_15HIP_vector_typeIjLj2EENS0_17counting_iteratorIjlEEPS9_SG_NS0_5tupleIJPjSI_NS0_16reverse_iteratorISI_EEEEENSH_IJSG_SG_SG_EEES9_SI_JZNS1_25segmented_radix_sort_implINS0_14default_configELb1EPK12hip_bfloat16PSP_PKlPlN2at6native12_GLOBAL__N_18offset_tEEE10hipError_tPvRmT1_PNSt15iterator_traitsIS13_E10value_typeET2_T3_PNS14_IS19_E10value_typeET4_jRbjT5_S1F_jjP12ihipStream_tbEUljE_ZNSN_ISO_Lb1ESR_SS_SU_SV_SZ_EES10_S11_S12_S13_S17_S18_S19_S1C_S1D_jS1E_jS1F_S1F_jjS1H_bEUljE0_EEES10_S11_S12_S19_S1D_S1F_T6_T7_T9_mT8_S1H_bDpT10_ENKUlT_T0_E_clISt17integral_constantIbLb0EES1V_EEDaS1Q_S1R_EUlS1Q_E_NS1_11comp_targetILNS1_3genE0ELNS1_11target_archE4294967295ELNS1_3gpuE0ELNS1_3repE0EEENS1_30default_config_static_selectorELNS0_4arch9wavefront6targetE0EEEvS13_.kd
    .uniform_work_group_size: 1
    .uses_dynamic_stack: false
    .vgpr_count:     0
    .vgpr_spill_count: 0
    .wavefront_size: 32
    .workgroup_processor_mode: 1
  - .args:
      - .offset:         0
        .size:           176
        .value_kind:     by_value
    .group_segment_fixed_size: 0
    .kernarg_segment_align: 8
    .kernarg_segment_size: 176
    .language:       OpenCL C
    .language_version:
      - 2
      - 0
    .max_flat_workgroup_size: 256
    .name:           _ZN7rocprim17ROCPRIM_400000_NS6detail17trampoline_kernelINS0_13select_configILj256ELj13ELNS0_17block_load_methodE3ELS4_3ELS4_3ELNS0_20block_scan_algorithmE0ELj4294967295EEENS1_25partition_config_selectorILNS1_17partition_subalgoE4EjNS0_10empty_typeEbEEZZNS1_14partition_implILS8_4ELb0ES6_15HIP_vector_typeIjLj2EENS0_17counting_iteratorIjlEEPS9_SG_NS0_5tupleIJPjSI_NS0_16reverse_iteratorISI_EEEEENSH_IJSG_SG_SG_EEES9_SI_JZNS1_25segmented_radix_sort_implINS0_14default_configELb1EPK12hip_bfloat16PSP_PKlPlN2at6native12_GLOBAL__N_18offset_tEEE10hipError_tPvRmT1_PNSt15iterator_traitsIS13_E10value_typeET2_T3_PNS14_IS19_E10value_typeET4_jRbjT5_S1F_jjP12ihipStream_tbEUljE_ZNSN_ISO_Lb1ESR_SS_SU_SV_SZ_EES10_S11_S12_S13_S17_S18_S19_S1C_S1D_jS1E_jS1F_S1F_jjS1H_bEUljE0_EEES10_S11_S12_S19_S1D_S1F_T6_T7_T9_mT8_S1H_bDpT10_ENKUlT_T0_E_clISt17integral_constantIbLb0EES1V_EEDaS1Q_S1R_EUlS1Q_E_NS1_11comp_targetILNS1_3genE5ELNS1_11target_archE942ELNS1_3gpuE9ELNS1_3repE0EEENS1_30default_config_static_selectorELNS0_4arch9wavefront6targetE0EEEvS13_
    .private_segment_fixed_size: 0
    .sgpr_count:     0
    .sgpr_spill_count: 0
    .symbol:         _ZN7rocprim17ROCPRIM_400000_NS6detail17trampoline_kernelINS0_13select_configILj256ELj13ELNS0_17block_load_methodE3ELS4_3ELS4_3ELNS0_20block_scan_algorithmE0ELj4294967295EEENS1_25partition_config_selectorILNS1_17partition_subalgoE4EjNS0_10empty_typeEbEEZZNS1_14partition_implILS8_4ELb0ES6_15HIP_vector_typeIjLj2EENS0_17counting_iteratorIjlEEPS9_SG_NS0_5tupleIJPjSI_NS0_16reverse_iteratorISI_EEEEENSH_IJSG_SG_SG_EEES9_SI_JZNS1_25segmented_radix_sort_implINS0_14default_configELb1EPK12hip_bfloat16PSP_PKlPlN2at6native12_GLOBAL__N_18offset_tEEE10hipError_tPvRmT1_PNSt15iterator_traitsIS13_E10value_typeET2_T3_PNS14_IS19_E10value_typeET4_jRbjT5_S1F_jjP12ihipStream_tbEUljE_ZNSN_ISO_Lb1ESR_SS_SU_SV_SZ_EES10_S11_S12_S13_S17_S18_S19_S1C_S1D_jS1E_jS1F_S1F_jjS1H_bEUljE0_EEES10_S11_S12_S19_S1D_S1F_T6_T7_T9_mT8_S1H_bDpT10_ENKUlT_T0_E_clISt17integral_constantIbLb0EES1V_EEDaS1Q_S1R_EUlS1Q_E_NS1_11comp_targetILNS1_3genE5ELNS1_11target_archE942ELNS1_3gpuE9ELNS1_3repE0EEENS1_30default_config_static_selectorELNS0_4arch9wavefront6targetE0EEEvS13_.kd
    .uniform_work_group_size: 1
    .uses_dynamic_stack: false
    .vgpr_count:     0
    .vgpr_spill_count: 0
    .wavefront_size: 32
    .workgroup_processor_mode: 1
  - .args:
      - .offset:         0
        .size:           176
        .value_kind:     by_value
    .group_segment_fixed_size: 0
    .kernarg_segment_align: 8
    .kernarg_segment_size: 176
    .language:       OpenCL C
    .language_version:
      - 2
      - 0
    .max_flat_workgroup_size: 256
    .name:           _ZN7rocprim17ROCPRIM_400000_NS6detail17trampoline_kernelINS0_13select_configILj256ELj13ELNS0_17block_load_methodE3ELS4_3ELS4_3ELNS0_20block_scan_algorithmE0ELj4294967295EEENS1_25partition_config_selectorILNS1_17partition_subalgoE4EjNS0_10empty_typeEbEEZZNS1_14partition_implILS8_4ELb0ES6_15HIP_vector_typeIjLj2EENS0_17counting_iteratorIjlEEPS9_SG_NS0_5tupleIJPjSI_NS0_16reverse_iteratorISI_EEEEENSH_IJSG_SG_SG_EEES9_SI_JZNS1_25segmented_radix_sort_implINS0_14default_configELb1EPK12hip_bfloat16PSP_PKlPlN2at6native12_GLOBAL__N_18offset_tEEE10hipError_tPvRmT1_PNSt15iterator_traitsIS13_E10value_typeET2_T3_PNS14_IS19_E10value_typeET4_jRbjT5_S1F_jjP12ihipStream_tbEUljE_ZNSN_ISO_Lb1ESR_SS_SU_SV_SZ_EES10_S11_S12_S13_S17_S18_S19_S1C_S1D_jS1E_jS1F_S1F_jjS1H_bEUljE0_EEES10_S11_S12_S19_S1D_S1F_T6_T7_T9_mT8_S1H_bDpT10_ENKUlT_T0_E_clISt17integral_constantIbLb0EES1V_EEDaS1Q_S1R_EUlS1Q_E_NS1_11comp_targetILNS1_3genE4ELNS1_11target_archE910ELNS1_3gpuE8ELNS1_3repE0EEENS1_30default_config_static_selectorELNS0_4arch9wavefront6targetE0EEEvS13_
    .private_segment_fixed_size: 0
    .sgpr_count:     0
    .sgpr_spill_count: 0
    .symbol:         _ZN7rocprim17ROCPRIM_400000_NS6detail17trampoline_kernelINS0_13select_configILj256ELj13ELNS0_17block_load_methodE3ELS4_3ELS4_3ELNS0_20block_scan_algorithmE0ELj4294967295EEENS1_25partition_config_selectorILNS1_17partition_subalgoE4EjNS0_10empty_typeEbEEZZNS1_14partition_implILS8_4ELb0ES6_15HIP_vector_typeIjLj2EENS0_17counting_iteratorIjlEEPS9_SG_NS0_5tupleIJPjSI_NS0_16reverse_iteratorISI_EEEEENSH_IJSG_SG_SG_EEES9_SI_JZNS1_25segmented_radix_sort_implINS0_14default_configELb1EPK12hip_bfloat16PSP_PKlPlN2at6native12_GLOBAL__N_18offset_tEEE10hipError_tPvRmT1_PNSt15iterator_traitsIS13_E10value_typeET2_T3_PNS14_IS19_E10value_typeET4_jRbjT5_S1F_jjP12ihipStream_tbEUljE_ZNSN_ISO_Lb1ESR_SS_SU_SV_SZ_EES10_S11_S12_S13_S17_S18_S19_S1C_S1D_jS1E_jS1F_S1F_jjS1H_bEUljE0_EEES10_S11_S12_S19_S1D_S1F_T6_T7_T9_mT8_S1H_bDpT10_ENKUlT_T0_E_clISt17integral_constantIbLb0EES1V_EEDaS1Q_S1R_EUlS1Q_E_NS1_11comp_targetILNS1_3genE4ELNS1_11target_archE910ELNS1_3gpuE8ELNS1_3repE0EEENS1_30default_config_static_selectorELNS0_4arch9wavefront6targetE0EEEvS13_.kd
    .uniform_work_group_size: 1
    .uses_dynamic_stack: false
    .vgpr_count:     0
    .vgpr_spill_count: 0
    .wavefront_size: 32
    .workgroup_processor_mode: 1
  - .args:
      - .offset:         0
        .size:           176
        .value_kind:     by_value
    .group_segment_fixed_size: 0
    .kernarg_segment_align: 8
    .kernarg_segment_size: 176
    .language:       OpenCL C
    .language_version:
      - 2
      - 0
    .max_flat_workgroup_size: 256
    .name:           _ZN7rocprim17ROCPRIM_400000_NS6detail17trampoline_kernelINS0_13select_configILj256ELj13ELNS0_17block_load_methodE3ELS4_3ELS4_3ELNS0_20block_scan_algorithmE0ELj4294967295EEENS1_25partition_config_selectorILNS1_17partition_subalgoE4EjNS0_10empty_typeEbEEZZNS1_14partition_implILS8_4ELb0ES6_15HIP_vector_typeIjLj2EENS0_17counting_iteratorIjlEEPS9_SG_NS0_5tupleIJPjSI_NS0_16reverse_iteratorISI_EEEEENSH_IJSG_SG_SG_EEES9_SI_JZNS1_25segmented_radix_sort_implINS0_14default_configELb1EPK12hip_bfloat16PSP_PKlPlN2at6native12_GLOBAL__N_18offset_tEEE10hipError_tPvRmT1_PNSt15iterator_traitsIS13_E10value_typeET2_T3_PNS14_IS19_E10value_typeET4_jRbjT5_S1F_jjP12ihipStream_tbEUljE_ZNSN_ISO_Lb1ESR_SS_SU_SV_SZ_EES10_S11_S12_S13_S17_S18_S19_S1C_S1D_jS1E_jS1F_S1F_jjS1H_bEUljE0_EEES10_S11_S12_S19_S1D_S1F_T6_T7_T9_mT8_S1H_bDpT10_ENKUlT_T0_E_clISt17integral_constantIbLb0EES1V_EEDaS1Q_S1R_EUlS1Q_E_NS1_11comp_targetILNS1_3genE3ELNS1_11target_archE908ELNS1_3gpuE7ELNS1_3repE0EEENS1_30default_config_static_selectorELNS0_4arch9wavefront6targetE0EEEvS13_
    .private_segment_fixed_size: 0
    .sgpr_count:     0
    .sgpr_spill_count: 0
    .symbol:         _ZN7rocprim17ROCPRIM_400000_NS6detail17trampoline_kernelINS0_13select_configILj256ELj13ELNS0_17block_load_methodE3ELS4_3ELS4_3ELNS0_20block_scan_algorithmE0ELj4294967295EEENS1_25partition_config_selectorILNS1_17partition_subalgoE4EjNS0_10empty_typeEbEEZZNS1_14partition_implILS8_4ELb0ES6_15HIP_vector_typeIjLj2EENS0_17counting_iteratorIjlEEPS9_SG_NS0_5tupleIJPjSI_NS0_16reverse_iteratorISI_EEEEENSH_IJSG_SG_SG_EEES9_SI_JZNS1_25segmented_radix_sort_implINS0_14default_configELb1EPK12hip_bfloat16PSP_PKlPlN2at6native12_GLOBAL__N_18offset_tEEE10hipError_tPvRmT1_PNSt15iterator_traitsIS13_E10value_typeET2_T3_PNS14_IS19_E10value_typeET4_jRbjT5_S1F_jjP12ihipStream_tbEUljE_ZNSN_ISO_Lb1ESR_SS_SU_SV_SZ_EES10_S11_S12_S13_S17_S18_S19_S1C_S1D_jS1E_jS1F_S1F_jjS1H_bEUljE0_EEES10_S11_S12_S19_S1D_S1F_T6_T7_T9_mT8_S1H_bDpT10_ENKUlT_T0_E_clISt17integral_constantIbLb0EES1V_EEDaS1Q_S1R_EUlS1Q_E_NS1_11comp_targetILNS1_3genE3ELNS1_11target_archE908ELNS1_3gpuE7ELNS1_3repE0EEENS1_30default_config_static_selectorELNS0_4arch9wavefront6targetE0EEEvS13_.kd
    .uniform_work_group_size: 1
    .uses_dynamic_stack: false
    .vgpr_count:     0
    .vgpr_spill_count: 0
    .wavefront_size: 32
    .workgroup_processor_mode: 1
  - .args:
      - .offset:         0
        .size:           176
        .value_kind:     by_value
    .group_segment_fixed_size: 0
    .kernarg_segment_align: 8
    .kernarg_segment_size: 176
    .language:       OpenCL C
    .language_version:
      - 2
      - 0
    .max_flat_workgroup_size: 256
    .name:           _ZN7rocprim17ROCPRIM_400000_NS6detail17trampoline_kernelINS0_13select_configILj256ELj13ELNS0_17block_load_methodE3ELS4_3ELS4_3ELNS0_20block_scan_algorithmE0ELj4294967295EEENS1_25partition_config_selectorILNS1_17partition_subalgoE4EjNS0_10empty_typeEbEEZZNS1_14partition_implILS8_4ELb0ES6_15HIP_vector_typeIjLj2EENS0_17counting_iteratorIjlEEPS9_SG_NS0_5tupleIJPjSI_NS0_16reverse_iteratorISI_EEEEENSH_IJSG_SG_SG_EEES9_SI_JZNS1_25segmented_radix_sort_implINS0_14default_configELb1EPK12hip_bfloat16PSP_PKlPlN2at6native12_GLOBAL__N_18offset_tEEE10hipError_tPvRmT1_PNSt15iterator_traitsIS13_E10value_typeET2_T3_PNS14_IS19_E10value_typeET4_jRbjT5_S1F_jjP12ihipStream_tbEUljE_ZNSN_ISO_Lb1ESR_SS_SU_SV_SZ_EES10_S11_S12_S13_S17_S18_S19_S1C_S1D_jS1E_jS1F_S1F_jjS1H_bEUljE0_EEES10_S11_S12_S19_S1D_S1F_T6_T7_T9_mT8_S1H_bDpT10_ENKUlT_T0_E_clISt17integral_constantIbLb0EES1V_EEDaS1Q_S1R_EUlS1Q_E_NS1_11comp_targetILNS1_3genE2ELNS1_11target_archE906ELNS1_3gpuE6ELNS1_3repE0EEENS1_30default_config_static_selectorELNS0_4arch9wavefront6targetE0EEEvS13_
    .private_segment_fixed_size: 0
    .sgpr_count:     0
    .sgpr_spill_count: 0
    .symbol:         _ZN7rocprim17ROCPRIM_400000_NS6detail17trampoline_kernelINS0_13select_configILj256ELj13ELNS0_17block_load_methodE3ELS4_3ELS4_3ELNS0_20block_scan_algorithmE0ELj4294967295EEENS1_25partition_config_selectorILNS1_17partition_subalgoE4EjNS0_10empty_typeEbEEZZNS1_14partition_implILS8_4ELb0ES6_15HIP_vector_typeIjLj2EENS0_17counting_iteratorIjlEEPS9_SG_NS0_5tupleIJPjSI_NS0_16reverse_iteratorISI_EEEEENSH_IJSG_SG_SG_EEES9_SI_JZNS1_25segmented_radix_sort_implINS0_14default_configELb1EPK12hip_bfloat16PSP_PKlPlN2at6native12_GLOBAL__N_18offset_tEEE10hipError_tPvRmT1_PNSt15iterator_traitsIS13_E10value_typeET2_T3_PNS14_IS19_E10value_typeET4_jRbjT5_S1F_jjP12ihipStream_tbEUljE_ZNSN_ISO_Lb1ESR_SS_SU_SV_SZ_EES10_S11_S12_S13_S17_S18_S19_S1C_S1D_jS1E_jS1F_S1F_jjS1H_bEUljE0_EEES10_S11_S12_S19_S1D_S1F_T6_T7_T9_mT8_S1H_bDpT10_ENKUlT_T0_E_clISt17integral_constantIbLb0EES1V_EEDaS1Q_S1R_EUlS1Q_E_NS1_11comp_targetILNS1_3genE2ELNS1_11target_archE906ELNS1_3gpuE6ELNS1_3repE0EEENS1_30default_config_static_selectorELNS0_4arch9wavefront6targetE0EEEvS13_.kd
    .uniform_work_group_size: 1
    .uses_dynamic_stack: false
    .vgpr_count:     0
    .vgpr_spill_count: 0
    .wavefront_size: 32
    .workgroup_processor_mode: 1
  - .args:
      - .offset:         0
        .size:           176
        .value_kind:     by_value
    .group_segment_fixed_size: 13328
    .kernarg_segment_align: 8
    .kernarg_segment_size: 176
    .language:       OpenCL C
    .language_version:
      - 2
      - 0
    .max_flat_workgroup_size: 256
    .name:           _ZN7rocprim17ROCPRIM_400000_NS6detail17trampoline_kernelINS0_13select_configILj256ELj13ELNS0_17block_load_methodE3ELS4_3ELS4_3ELNS0_20block_scan_algorithmE0ELj4294967295EEENS1_25partition_config_selectorILNS1_17partition_subalgoE4EjNS0_10empty_typeEbEEZZNS1_14partition_implILS8_4ELb0ES6_15HIP_vector_typeIjLj2EENS0_17counting_iteratorIjlEEPS9_SG_NS0_5tupleIJPjSI_NS0_16reverse_iteratorISI_EEEEENSH_IJSG_SG_SG_EEES9_SI_JZNS1_25segmented_radix_sort_implINS0_14default_configELb1EPK12hip_bfloat16PSP_PKlPlN2at6native12_GLOBAL__N_18offset_tEEE10hipError_tPvRmT1_PNSt15iterator_traitsIS13_E10value_typeET2_T3_PNS14_IS19_E10value_typeET4_jRbjT5_S1F_jjP12ihipStream_tbEUljE_ZNSN_ISO_Lb1ESR_SS_SU_SV_SZ_EES10_S11_S12_S13_S17_S18_S19_S1C_S1D_jS1E_jS1F_S1F_jjS1H_bEUljE0_EEES10_S11_S12_S19_S1D_S1F_T6_T7_T9_mT8_S1H_bDpT10_ENKUlT_T0_E_clISt17integral_constantIbLb0EES1V_EEDaS1Q_S1R_EUlS1Q_E_NS1_11comp_targetILNS1_3genE10ELNS1_11target_archE1200ELNS1_3gpuE4ELNS1_3repE0EEENS1_30default_config_static_selectorELNS0_4arch9wavefront6targetE0EEEvS13_
    .private_segment_fixed_size: 0
    .sgpr_count:     60
    .sgpr_spill_count: 0
    .symbol:         _ZN7rocprim17ROCPRIM_400000_NS6detail17trampoline_kernelINS0_13select_configILj256ELj13ELNS0_17block_load_methodE3ELS4_3ELS4_3ELNS0_20block_scan_algorithmE0ELj4294967295EEENS1_25partition_config_selectorILNS1_17partition_subalgoE4EjNS0_10empty_typeEbEEZZNS1_14partition_implILS8_4ELb0ES6_15HIP_vector_typeIjLj2EENS0_17counting_iteratorIjlEEPS9_SG_NS0_5tupleIJPjSI_NS0_16reverse_iteratorISI_EEEEENSH_IJSG_SG_SG_EEES9_SI_JZNS1_25segmented_radix_sort_implINS0_14default_configELb1EPK12hip_bfloat16PSP_PKlPlN2at6native12_GLOBAL__N_18offset_tEEE10hipError_tPvRmT1_PNSt15iterator_traitsIS13_E10value_typeET2_T3_PNS14_IS19_E10value_typeET4_jRbjT5_S1F_jjP12ihipStream_tbEUljE_ZNSN_ISO_Lb1ESR_SS_SU_SV_SZ_EES10_S11_S12_S13_S17_S18_S19_S1C_S1D_jS1E_jS1F_S1F_jjS1H_bEUljE0_EEES10_S11_S12_S19_S1D_S1F_T6_T7_T9_mT8_S1H_bDpT10_ENKUlT_T0_E_clISt17integral_constantIbLb0EES1V_EEDaS1Q_S1R_EUlS1Q_E_NS1_11comp_targetILNS1_3genE10ELNS1_11target_archE1200ELNS1_3gpuE4ELNS1_3repE0EEENS1_30default_config_static_selectorELNS0_4arch9wavefront6targetE0EEEvS13_.kd
    .uniform_work_group_size: 1
    .uses_dynamic_stack: false
    .vgpr_count:     93
    .vgpr_spill_count: 0
    .wavefront_size: 32
    .workgroup_processor_mode: 1
  - .args:
      - .offset:         0
        .size:           176
        .value_kind:     by_value
    .group_segment_fixed_size: 0
    .kernarg_segment_align: 8
    .kernarg_segment_size: 176
    .language:       OpenCL C
    .language_version:
      - 2
      - 0
    .max_flat_workgroup_size: 256
    .name:           _ZN7rocprim17ROCPRIM_400000_NS6detail17trampoline_kernelINS0_13select_configILj256ELj13ELNS0_17block_load_methodE3ELS4_3ELS4_3ELNS0_20block_scan_algorithmE0ELj4294967295EEENS1_25partition_config_selectorILNS1_17partition_subalgoE4EjNS0_10empty_typeEbEEZZNS1_14partition_implILS8_4ELb0ES6_15HIP_vector_typeIjLj2EENS0_17counting_iteratorIjlEEPS9_SG_NS0_5tupleIJPjSI_NS0_16reverse_iteratorISI_EEEEENSH_IJSG_SG_SG_EEES9_SI_JZNS1_25segmented_radix_sort_implINS0_14default_configELb1EPK12hip_bfloat16PSP_PKlPlN2at6native12_GLOBAL__N_18offset_tEEE10hipError_tPvRmT1_PNSt15iterator_traitsIS13_E10value_typeET2_T3_PNS14_IS19_E10value_typeET4_jRbjT5_S1F_jjP12ihipStream_tbEUljE_ZNSN_ISO_Lb1ESR_SS_SU_SV_SZ_EES10_S11_S12_S13_S17_S18_S19_S1C_S1D_jS1E_jS1F_S1F_jjS1H_bEUljE0_EEES10_S11_S12_S19_S1D_S1F_T6_T7_T9_mT8_S1H_bDpT10_ENKUlT_T0_E_clISt17integral_constantIbLb0EES1V_EEDaS1Q_S1R_EUlS1Q_E_NS1_11comp_targetILNS1_3genE9ELNS1_11target_archE1100ELNS1_3gpuE3ELNS1_3repE0EEENS1_30default_config_static_selectorELNS0_4arch9wavefront6targetE0EEEvS13_
    .private_segment_fixed_size: 0
    .sgpr_count:     0
    .sgpr_spill_count: 0
    .symbol:         _ZN7rocprim17ROCPRIM_400000_NS6detail17trampoline_kernelINS0_13select_configILj256ELj13ELNS0_17block_load_methodE3ELS4_3ELS4_3ELNS0_20block_scan_algorithmE0ELj4294967295EEENS1_25partition_config_selectorILNS1_17partition_subalgoE4EjNS0_10empty_typeEbEEZZNS1_14partition_implILS8_4ELb0ES6_15HIP_vector_typeIjLj2EENS0_17counting_iteratorIjlEEPS9_SG_NS0_5tupleIJPjSI_NS0_16reverse_iteratorISI_EEEEENSH_IJSG_SG_SG_EEES9_SI_JZNS1_25segmented_radix_sort_implINS0_14default_configELb1EPK12hip_bfloat16PSP_PKlPlN2at6native12_GLOBAL__N_18offset_tEEE10hipError_tPvRmT1_PNSt15iterator_traitsIS13_E10value_typeET2_T3_PNS14_IS19_E10value_typeET4_jRbjT5_S1F_jjP12ihipStream_tbEUljE_ZNSN_ISO_Lb1ESR_SS_SU_SV_SZ_EES10_S11_S12_S13_S17_S18_S19_S1C_S1D_jS1E_jS1F_S1F_jjS1H_bEUljE0_EEES10_S11_S12_S19_S1D_S1F_T6_T7_T9_mT8_S1H_bDpT10_ENKUlT_T0_E_clISt17integral_constantIbLb0EES1V_EEDaS1Q_S1R_EUlS1Q_E_NS1_11comp_targetILNS1_3genE9ELNS1_11target_archE1100ELNS1_3gpuE3ELNS1_3repE0EEENS1_30default_config_static_selectorELNS0_4arch9wavefront6targetE0EEEvS13_.kd
    .uniform_work_group_size: 1
    .uses_dynamic_stack: false
    .vgpr_count:     0
    .vgpr_spill_count: 0
    .wavefront_size: 32
    .workgroup_processor_mode: 1
  - .args:
      - .offset:         0
        .size:           176
        .value_kind:     by_value
    .group_segment_fixed_size: 0
    .kernarg_segment_align: 8
    .kernarg_segment_size: 176
    .language:       OpenCL C
    .language_version:
      - 2
      - 0
    .max_flat_workgroup_size: 256
    .name:           _ZN7rocprim17ROCPRIM_400000_NS6detail17trampoline_kernelINS0_13select_configILj256ELj13ELNS0_17block_load_methodE3ELS4_3ELS4_3ELNS0_20block_scan_algorithmE0ELj4294967295EEENS1_25partition_config_selectorILNS1_17partition_subalgoE4EjNS0_10empty_typeEbEEZZNS1_14partition_implILS8_4ELb0ES6_15HIP_vector_typeIjLj2EENS0_17counting_iteratorIjlEEPS9_SG_NS0_5tupleIJPjSI_NS0_16reverse_iteratorISI_EEEEENSH_IJSG_SG_SG_EEES9_SI_JZNS1_25segmented_radix_sort_implINS0_14default_configELb1EPK12hip_bfloat16PSP_PKlPlN2at6native12_GLOBAL__N_18offset_tEEE10hipError_tPvRmT1_PNSt15iterator_traitsIS13_E10value_typeET2_T3_PNS14_IS19_E10value_typeET4_jRbjT5_S1F_jjP12ihipStream_tbEUljE_ZNSN_ISO_Lb1ESR_SS_SU_SV_SZ_EES10_S11_S12_S13_S17_S18_S19_S1C_S1D_jS1E_jS1F_S1F_jjS1H_bEUljE0_EEES10_S11_S12_S19_S1D_S1F_T6_T7_T9_mT8_S1H_bDpT10_ENKUlT_T0_E_clISt17integral_constantIbLb0EES1V_EEDaS1Q_S1R_EUlS1Q_E_NS1_11comp_targetILNS1_3genE8ELNS1_11target_archE1030ELNS1_3gpuE2ELNS1_3repE0EEENS1_30default_config_static_selectorELNS0_4arch9wavefront6targetE0EEEvS13_
    .private_segment_fixed_size: 0
    .sgpr_count:     0
    .sgpr_spill_count: 0
    .symbol:         _ZN7rocprim17ROCPRIM_400000_NS6detail17trampoline_kernelINS0_13select_configILj256ELj13ELNS0_17block_load_methodE3ELS4_3ELS4_3ELNS0_20block_scan_algorithmE0ELj4294967295EEENS1_25partition_config_selectorILNS1_17partition_subalgoE4EjNS0_10empty_typeEbEEZZNS1_14partition_implILS8_4ELb0ES6_15HIP_vector_typeIjLj2EENS0_17counting_iteratorIjlEEPS9_SG_NS0_5tupleIJPjSI_NS0_16reverse_iteratorISI_EEEEENSH_IJSG_SG_SG_EEES9_SI_JZNS1_25segmented_radix_sort_implINS0_14default_configELb1EPK12hip_bfloat16PSP_PKlPlN2at6native12_GLOBAL__N_18offset_tEEE10hipError_tPvRmT1_PNSt15iterator_traitsIS13_E10value_typeET2_T3_PNS14_IS19_E10value_typeET4_jRbjT5_S1F_jjP12ihipStream_tbEUljE_ZNSN_ISO_Lb1ESR_SS_SU_SV_SZ_EES10_S11_S12_S13_S17_S18_S19_S1C_S1D_jS1E_jS1F_S1F_jjS1H_bEUljE0_EEES10_S11_S12_S19_S1D_S1F_T6_T7_T9_mT8_S1H_bDpT10_ENKUlT_T0_E_clISt17integral_constantIbLb0EES1V_EEDaS1Q_S1R_EUlS1Q_E_NS1_11comp_targetILNS1_3genE8ELNS1_11target_archE1030ELNS1_3gpuE2ELNS1_3repE0EEENS1_30default_config_static_selectorELNS0_4arch9wavefront6targetE0EEEvS13_.kd
    .uniform_work_group_size: 1
    .uses_dynamic_stack: false
    .vgpr_count:     0
    .vgpr_spill_count: 0
    .wavefront_size: 32
    .workgroup_processor_mode: 1
  - .args:
      - .offset:         0
        .size:           184
        .value_kind:     by_value
    .group_segment_fixed_size: 0
    .kernarg_segment_align: 8
    .kernarg_segment_size: 184
    .language:       OpenCL C
    .language_version:
      - 2
      - 0
    .max_flat_workgroup_size: 256
    .name:           _ZN7rocprim17ROCPRIM_400000_NS6detail17trampoline_kernelINS0_13select_configILj256ELj13ELNS0_17block_load_methodE3ELS4_3ELS4_3ELNS0_20block_scan_algorithmE0ELj4294967295EEENS1_25partition_config_selectorILNS1_17partition_subalgoE4EjNS0_10empty_typeEbEEZZNS1_14partition_implILS8_4ELb0ES6_15HIP_vector_typeIjLj2EENS0_17counting_iteratorIjlEEPS9_SG_NS0_5tupleIJPjSI_NS0_16reverse_iteratorISI_EEEEENSH_IJSG_SG_SG_EEES9_SI_JZNS1_25segmented_radix_sort_implINS0_14default_configELb1EPK12hip_bfloat16PSP_PKlPlN2at6native12_GLOBAL__N_18offset_tEEE10hipError_tPvRmT1_PNSt15iterator_traitsIS13_E10value_typeET2_T3_PNS14_IS19_E10value_typeET4_jRbjT5_S1F_jjP12ihipStream_tbEUljE_ZNSN_ISO_Lb1ESR_SS_SU_SV_SZ_EES10_S11_S12_S13_S17_S18_S19_S1C_S1D_jS1E_jS1F_S1F_jjS1H_bEUljE0_EEES10_S11_S12_S19_S1D_S1F_T6_T7_T9_mT8_S1H_bDpT10_ENKUlT_T0_E_clISt17integral_constantIbLb1EES1V_EEDaS1Q_S1R_EUlS1Q_E_NS1_11comp_targetILNS1_3genE0ELNS1_11target_archE4294967295ELNS1_3gpuE0ELNS1_3repE0EEENS1_30default_config_static_selectorELNS0_4arch9wavefront6targetE0EEEvS13_
    .private_segment_fixed_size: 0
    .sgpr_count:     0
    .sgpr_spill_count: 0
    .symbol:         _ZN7rocprim17ROCPRIM_400000_NS6detail17trampoline_kernelINS0_13select_configILj256ELj13ELNS0_17block_load_methodE3ELS4_3ELS4_3ELNS0_20block_scan_algorithmE0ELj4294967295EEENS1_25partition_config_selectorILNS1_17partition_subalgoE4EjNS0_10empty_typeEbEEZZNS1_14partition_implILS8_4ELb0ES6_15HIP_vector_typeIjLj2EENS0_17counting_iteratorIjlEEPS9_SG_NS0_5tupleIJPjSI_NS0_16reverse_iteratorISI_EEEEENSH_IJSG_SG_SG_EEES9_SI_JZNS1_25segmented_radix_sort_implINS0_14default_configELb1EPK12hip_bfloat16PSP_PKlPlN2at6native12_GLOBAL__N_18offset_tEEE10hipError_tPvRmT1_PNSt15iterator_traitsIS13_E10value_typeET2_T3_PNS14_IS19_E10value_typeET4_jRbjT5_S1F_jjP12ihipStream_tbEUljE_ZNSN_ISO_Lb1ESR_SS_SU_SV_SZ_EES10_S11_S12_S13_S17_S18_S19_S1C_S1D_jS1E_jS1F_S1F_jjS1H_bEUljE0_EEES10_S11_S12_S19_S1D_S1F_T6_T7_T9_mT8_S1H_bDpT10_ENKUlT_T0_E_clISt17integral_constantIbLb1EES1V_EEDaS1Q_S1R_EUlS1Q_E_NS1_11comp_targetILNS1_3genE0ELNS1_11target_archE4294967295ELNS1_3gpuE0ELNS1_3repE0EEENS1_30default_config_static_selectorELNS0_4arch9wavefront6targetE0EEEvS13_.kd
    .uniform_work_group_size: 1
    .uses_dynamic_stack: false
    .vgpr_count:     0
    .vgpr_spill_count: 0
    .wavefront_size: 32
    .workgroup_processor_mode: 1
  - .args:
      - .offset:         0
        .size:           184
        .value_kind:     by_value
    .group_segment_fixed_size: 0
    .kernarg_segment_align: 8
    .kernarg_segment_size: 184
    .language:       OpenCL C
    .language_version:
      - 2
      - 0
    .max_flat_workgroup_size: 256
    .name:           _ZN7rocprim17ROCPRIM_400000_NS6detail17trampoline_kernelINS0_13select_configILj256ELj13ELNS0_17block_load_methodE3ELS4_3ELS4_3ELNS0_20block_scan_algorithmE0ELj4294967295EEENS1_25partition_config_selectorILNS1_17partition_subalgoE4EjNS0_10empty_typeEbEEZZNS1_14partition_implILS8_4ELb0ES6_15HIP_vector_typeIjLj2EENS0_17counting_iteratorIjlEEPS9_SG_NS0_5tupleIJPjSI_NS0_16reverse_iteratorISI_EEEEENSH_IJSG_SG_SG_EEES9_SI_JZNS1_25segmented_radix_sort_implINS0_14default_configELb1EPK12hip_bfloat16PSP_PKlPlN2at6native12_GLOBAL__N_18offset_tEEE10hipError_tPvRmT1_PNSt15iterator_traitsIS13_E10value_typeET2_T3_PNS14_IS19_E10value_typeET4_jRbjT5_S1F_jjP12ihipStream_tbEUljE_ZNSN_ISO_Lb1ESR_SS_SU_SV_SZ_EES10_S11_S12_S13_S17_S18_S19_S1C_S1D_jS1E_jS1F_S1F_jjS1H_bEUljE0_EEES10_S11_S12_S19_S1D_S1F_T6_T7_T9_mT8_S1H_bDpT10_ENKUlT_T0_E_clISt17integral_constantIbLb1EES1V_EEDaS1Q_S1R_EUlS1Q_E_NS1_11comp_targetILNS1_3genE5ELNS1_11target_archE942ELNS1_3gpuE9ELNS1_3repE0EEENS1_30default_config_static_selectorELNS0_4arch9wavefront6targetE0EEEvS13_
    .private_segment_fixed_size: 0
    .sgpr_count:     0
    .sgpr_spill_count: 0
    .symbol:         _ZN7rocprim17ROCPRIM_400000_NS6detail17trampoline_kernelINS0_13select_configILj256ELj13ELNS0_17block_load_methodE3ELS4_3ELS4_3ELNS0_20block_scan_algorithmE0ELj4294967295EEENS1_25partition_config_selectorILNS1_17partition_subalgoE4EjNS0_10empty_typeEbEEZZNS1_14partition_implILS8_4ELb0ES6_15HIP_vector_typeIjLj2EENS0_17counting_iteratorIjlEEPS9_SG_NS0_5tupleIJPjSI_NS0_16reverse_iteratorISI_EEEEENSH_IJSG_SG_SG_EEES9_SI_JZNS1_25segmented_radix_sort_implINS0_14default_configELb1EPK12hip_bfloat16PSP_PKlPlN2at6native12_GLOBAL__N_18offset_tEEE10hipError_tPvRmT1_PNSt15iterator_traitsIS13_E10value_typeET2_T3_PNS14_IS19_E10value_typeET4_jRbjT5_S1F_jjP12ihipStream_tbEUljE_ZNSN_ISO_Lb1ESR_SS_SU_SV_SZ_EES10_S11_S12_S13_S17_S18_S19_S1C_S1D_jS1E_jS1F_S1F_jjS1H_bEUljE0_EEES10_S11_S12_S19_S1D_S1F_T6_T7_T9_mT8_S1H_bDpT10_ENKUlT_T0_E_clISt17integral_constantIbLb1EES1V_EEDaS1Q_S1R_EUlS1Q_E_NS1_11comp_targetILNS1_3genE5ELNS1_11target_archE942ELNS1_3gpuE9ELNS1_3repE0EEENS1_30default_config_static_selectorELNS0_4arch9wavefront6targetE0EEEvS13_.kd
    .uniform_work_group_size: 1
    .uses_dynamic_stack: false
    .vgpr_count:     0
    .vgpr_spill_count: 0
    .wavefront_size: 32
    .workgroup_processor_mode: 1
  - .args:
      - .offset:         0
        .size:           184
        .value_kind:     by_value
    .group_segment_fixed_size: 0
    .kernarg_segment_align: 8
    .kernarg_segment_size: 184
    .language:       OpenCL C
    .language_version:
      - 2
      - 0
    .max_flat_workgroup_size: 256
    .name:           _ZN7rocprim17ROCPRIM_400000_NS6detail17trampoline_kernelINS0_13select_configILj256ELj13ELNS0_17block_load_methodE3ELS4_3ELS4_3ELNS0_20block_scan_algorithmE0ELj4294967295EEENS1_25partition_config_selectorILNS1_17partition_subalgoE4EjNS0_10empty_typeEbEEZZNS1_14partition_implILS8_4ELb0ES6_15HIP_vector_typeIjLj2EENS0_17counting_iteratorIjlEEPS9_SG_NS0_5tupleIJPjSI_NS0_16reverse_iteratorISI_EEEEENSH_IJSG_SG_SG_EEES9_SI_JZNS1_25segmented_radix_sort_implINS0_14default_configELb1EPK12hip_bfloat16PSP_PKlPlN2at6native12_GLOBAL__N_18offset_tEEE10hipError_tPvRmT1_PNSt15iterator_traitsIS13_E10value_typeET2_T3_PNS14_IS19_E10value_typeET4_jRbjT5_S1F_jjP12ihipStream_tbEUljE_ZNSN_ISO_Lb1ESR_SS_SU_SV_SZ_EES10_S11_S12_S13_S17_S18_S19_S1C_S1D_jS1E_jS1F_S1F_jjS1H_bEUljE0_EEES10_S11_S12_S19_S1D_S1F_T6_T7_T9_mT8_S1H_bDpT10_ENKUlT_T0_E_clISt17integral_constantIbLb1EES1V_EEDaS1Q_S1R_EUlS1Q_E_NS1_11comp_targetILNS1_3genE4ELNS1_11target_archE910ELNS1_3gpuE8ELNS1_3repE0EEENS1_30default_config_static_selectorELNS0_4arch9wavefront6targetE0EEEvS13_
    .private_segment_fixed_size: 0
    .sgpr_count:     0
    .sgpr_spill_count: 0
    .symbol:         _ZN7rocprim17ROCPRIM_400000_NS6detail17trampoline_kernelINS0_13select_configILj256ELj13ELNS0_17block_load_methodE3ELS4_3ELS4_3ELNS0_20block_scan_algorithmE0ELj4294967295EEENS1_25partition_config_selectorILNS1_17partition_subalgoE4EjNS0_10empty_typeEbEEZZNS1_14partition_implILS8_4ELb0ES6_15HIP_vector_typeIjLj2EENS0_17counting_iteratorIjlEEPS9_SG_NS0_5tupleIJPjSI_NS0_16reverse_iteratorISI_EEEEENSH_IJSG_SG_SG_EEES9_SI_JZNS1_25segmented_radix_sort_implINS0_14default_configELb1EPK12hip_bfloat16PSP_PKlPlN2at6native12_GLOBAL__N_18offset_tEEE10hipError_tPvRmT1_PNSt15iterator_traitsIS13_E10value_typeET2_T3_PNS14_IS19_E10value_typeET4_jRbjT5_S1F_jjP12ihipStream_tbEUljE_ZNSN_ISO_Lb1ESR_SS_SU_SV_SZ_EES10_S11_S12_S13_S17_S18_S19_S1C_S1D_jS1E_jS1F_S1F_jjS1H_bEUljE0_EEES10_S11_S12_S19_S1D_S1F_T6_T7_T9_mT8_S1H_bDpT10_ENKUlT_T0_E_clISt17integral_constantIbLb1EES1V_EEDaS1Q_S1R_EUlS1Q_E_NS1_11comp_targetILNS1_3genE4ELNS1_11target_archE910ELNS1_3gpuE8ELNS1_3repE0EEENS1_30default_config_static_selectorELNS0_4arch9wavefront6targetE0EEEvS13_.kd
    .uniform_work_group_size: 1
    .uses_dynamic_stack: false
    .vgpr_count:     0
    .vgpr_spill_count: 0
    .wavefront_size: 32
    .workgroup_processor_mode: 1
  - .args:
      - .offset:         0
        .size:           184
        .value_kind:     by_value
    .group_segment_fixed_size: 0
    .kernarg_segment_align: 8
    .kernarg_segment_size: 184
    .language:       OpenCL C
    .language_version:
      - 2
      - 0
    .max_flat_workgroup_size: 256
    .name:           _ZN7rocprim17ROCPRIM_400000_NS6detail17trampoline_kernelINS0_13select_configILj256ELj13ELNS0_17block_load_methodE3ELS4_3ELS4_3ELNS0_20block_scan_algorithmE0ELj4294967295EEENS1_25partition_config_selectorILNS1_17partition_subalgoE4EjNS0_10empty_typeEbEEZZNS1_14partition_implILS8_4ELb0ES6_15HIP_vector_typeIjLj2EENS0_17counting_iteratorIjlEEPS9_SG_NS0_5tupleIJPjSI_NS0_16reverse_iteratorISI_EEEEENSH_IJSG_SG_SG_EEES9_SI_JZNS1_25segmented_radix_sort_implINS0_14default_configELb1EPK12hip_bfloat16PSP_PKlPlN2at6native12_GLOBAL__N_18offset_tEEE10hipError_tPvRmT1_PNSt15iterator_traitsIS13_E10value_typeET2_T3_PNS14_IS19_E10value_typeET4_jRbjT5_S1F_jjP12ihipStream_tbEUljE_ZNSN_ISO_Lb1ESR_SS_SU_SV_SZ_EES10_S11_S12_S13_S17_S18_S19_S1C_S1D_jS1E_jS1F_S1F_jjS1H_bEUljE0_EEES10_S11_S12_S19_S1D_S1F_T6_T7_T9_mT8_S1H_bDpT10_ENKUlT_T0_E_clISt17integral_constantIbLb1EES1V_EEDaS1Q_S1R_EUlS1Q_E_NS1_11comp_targetILNS1_3genE3ELNS1_11target_archE908ELNS1_3gpuE7ELNS1_3repE0EEENS1_30default_config_static_selectorELNS0_4arch9wavefront6targetE0EEEvS13_
    .private_segment_fixed_size: 0
    .sgpr_count:     0
    .sgpr_spill_count: 0
    .symbol:         _ZN7rocprim17ROCPRIM_400000_NS6detail17trampoline_kernelINS0_13select_configILj256ELj13ELNS0_17block_load_methodE3ELS4_3ELS4_3ELNS0_20block_scan_algorithmE0ELj4294967295EEENS1_25partition_config_selectorILNS1_17partition_subalgoE4EjNS0_10empty_typeEbEEZZNS1_14partition_implILS8_4ELb0ES6_15HIP_vector_typeIjLj2EENS0_17counting_iteratorIjlEEPS9_SG_NS0_5tupleIJPjSI_NS0_16reverse_iteratorISI_EEEEENSH_IJSG_SG_SG_EEES9_SI_JZNS1_25segmented_radix_sort_implINS0_14default_configELb1EPK12hip_bfloat16PSP_PKlPlN2at6native12_GLOBAL__N_18offset_tEEE10hipError_tPvRmT1_PNSt15iterator_traitsIS13_E10value_typeET2_T3_PNS14_IS19_E10value_typeET4_jRbjT5_S1F_jjP12ihipStream_tbEUljE_ZNSN_ISO_Lb1ESR_SS_SU_SV_SZ_EES10_S11_S12_S13_S17_S18_S19_S1C_S1D_jS1E_jS1F_S1F_jjS1H_bEUljE0_EEES10_S11_S12_S19_S1D_S1F_T6_T7_T9_mT8_S1H_bDpT10_ENKUlT_T0_E_clISt17integral_constantIbLb1EES1V_EEDaS1Q_S1R_EUlS1Q_E_NS1_11comp_targetILNS1_3genE3ELNS1_11target_archE908ELNS1_3gpuE7ELNS1_3repE0EEENS1_30default_config_static_selectorELNS0_4arch9wavefront6targetE0EEEvS13_.kd
    .uniform_work_group_size: 1
    .uses_dynamic_stack: false
    .vgpr_count:     0
    .vgpr_spill_count: 0
    .wavefront_size: 32
    .workgroup_processor_mode: 1
  - .args:
      - .offset:         0
        .size:           184
        .value_kind:     by_value
    .group_segment_fixed_size: 0
    .kernarg_segment_align: 8
    .kernarg_segment_size: 184
    .language:       OpenCL C
    .language_version:
      - 2
      - 0
    .max_flat_workgroup_size: 256
    .name:           _ZN7rocprim17ROCPRIM_400000_NS6detail17trampoline_kernelINS0_13select_configILj256ELj13ELNS0_17block_load_methodE3ELS4_3ELS4_3ELNS0_20block_scan_algorithmE0ELj4294967295EEENS1_25partition_config_selectorILNS1_17partition_subalgoE4EjNS0_10empty_typeEbEEZZNS1_14partition_implILS8_4ELb0ES6_15HIP_vector_typeIjLj2EENS0_17counting_iteratorIjlEEPS9_SG_NS0_5tupleIJPjSI_NS0_16reverse_iteratorISI_EEEEENSH_IJSG_SG_SG_EEES9_SI_JZNS1_25segmented_radix_sort_implINS0_14default_configELb1EPK12hip_bfloat16PSP_PKlPlN2at6native12_GLOBAL__N_18offset_tEEE10hipError_tPvRmT1_PNSt15iterator_traitsIS13_E10value_typeET2_T3_PNS14_IS19_E10value_typeET4_jRbjT5_S1F_jjP12ihipStream_tbEUljE_ZNSN_ISO_Lb1ESR_SS_SU_SV_SZ_EES10_S11_S12_S13_S17_S18_S19_S1C_S1D_jS1E_jS1F_S1F_jjS1H_bEUljE0_EEES10_S11_S12_S19_S1D_S1F_T6_T7_T9_mT8_S1H_bDpT10_ENKUlT_T0_E_clISt17integral_constantIbLb1EES1V_EEDaS1Q_S1R_EUlS1Q_E_NS1_11comp_targetILNS1_3genE2ELNS1_11target_archE906ELNS1_3gpuE6ELNS1_3repE0EEENS1_30default_config_static_selectorELNS0_4arch9wavefront6targetE0EEEvS13_
    .private_segment_fixed_size: 0
    .sgpr_count:     0
    .sgpr_spill_count: 0
    .symbol:         _ZN7rocprim17ROCPRIM_400000_NS6detail17trampoline_kernelINS0_13select_configILj256ELj13ELNS0_17block_load_methodE3ELS4_3ELS4_3ELNS0_20block_scan_algorithmE0ELj4294967295EEENS1_25partition_config_selectorILNS1_17partition_subalgoE4EjNS0_10empty_typeEbEEZZNS1_14partition_implILS8_4ELb0ES6_15HIP_vector_typeIjLj2EENS0_17counting_iteratorIjlEEPS9_SG_NS0_5tupleIJPjSI_NS0_16reverse_iteratorISI_EEEEENSH_IJSG_SG_SG_EEES9_SI_JZNS1_25segmented_radix_sort_implINS0_14default_configELb1EPK12hip_bfloat16PSP_PKlPlN2at6native12_GLOBAL__N_18offset_tEEE10hipError_tPvRmT1_PNSt15iterator_traitsIS13_E10value_typeET2_T3_PNS14_IS19_E10value_typeET4_jRbjT5_S1F_jjP12ihipStream_tbEUljE_ZNSN_ISO_Lb1ESR_SS_SU_SV_SZ_EES10_S11_S12_S13_S17_S18_S19_S1C_S1D_jS1E_jS1F_S1F_jjS1H_bEUljE0_EEES10_S11_S12_S19_S1D_S1F_T6_T7_T9_mT8_S1H_bDpT10_ENKUlT_T0_E_clISt17integral_constantIbLb1EES1V_EEDaS1Q_S1R_EUlS1Q_E_NS1_11comp_targetILNS1_3genE2ELNS1_11target_archE906ELNS1_3gpuE6ELNS1_3repE0EEENS1_30default_config_static_selectorELNS0_4arch9wavefront6targetE0EEEvS13_.kd
    .uniform_work_group_size: 1
    .uses_dynamic_stack: false
    .vgpr_count:     0
    .vgpr_spill_count: 0
    .wavefront_size: 32
    .workgroup_processor_mode: 1
  - .args:
      - .offset:         0
        .size:           184
        .value_kind:     by_value
    .group_segment_fixed_size: 0
    .kernarg_segment_align: 8
    .kernarg_segment_size: 184
    .language:       OpenCL C
    .language_version:
      - 2
      - 0
    .max_flat_workgroup_size: 256
    .name:           _ZN7rocprim17ROCPRIM_400000_NS6detail17trampoline_kernelINS0_13select_configILj256ELj13ELNS0_17block_load_methodE3ELS4_3ELS4_3ELNS0_20block_scan_algorithmE0ELj4294967295EEENS1_25partition_config_selectorILNS1_17partition_subalgoE4EjNS0_10empty_typeEbEEZZNS1_14partition_implILS8_4ELb0ES6_15HIP_vector_typeIjLj2EENS0_17counting_iteratorIjlEEPS9_SG_NS0_5tupleIJPjSI_NS0_16reverse_iteratorISI_EEEEENSH_IJSG_SG_SG_EEES9_SI_JZNS1_25segmented_radix_sort_implINS0_14default_configELb1EPK12hip_bfloat16PSP_PKlPlN2at6native12_GLOBAL__N_18offset_tEEE10hipError_tPvRmT1_PNSt15iterator_traitsIS13_E10value_typeET2_T3_PNS14_IS19_E10value_typeET4_jRbjT5_S1F_jjP12ihipStream_tbEUljE_ZNSN_ISO_Lb1ESR_SS_SU_SV_SZ_EES10_S11_S12_S13_S17_S18_S19_S1C_S1D_jS1E_jS1F_S1F_jjS1H_bEUljE0_EEES10_S11_S12_S19_S1D_S1F_T6_T7_T9_mT8_S1H_bDpT10_ENKUlT_T0_E_clISt17integral_constantIbLb1EES1V_EEDaS1Q_S1R_EUlS1Q_E_NS1_11comp_targetILNS1_3genE10ELNS1_11target_archE1200ELNS1_3gpuE4ELNS1_3repE0EEENS1_30default_config_static_selectorELNS0_4arch9wavefront6targetE0EEEvS13_
    .private_segment_fixed_size: 0
    .sgpr_count:     0
    .sgpr_spill_count: 0
    .symbol:         _ZN7rocprim17ROCPRIM_400000_NS6detail17trampoline_kernelINS0_13select_configILj256ELj13ELNS0_17block_load_methodE3ELS4_3ELS4_3ELNS0_20block_scan_algorithmE0ELj4294967295EEENS1_25partition_config_selectorILNS1_17partition_subalgoE4EjNS0_10empty_typeEbEEZZNS1_14partition_implILS8_4ELb0ES6_15HIP_vector_typeIjLj2EENS0_17counting_iteratorIjlEEPS9_SG_NS0_5tupleIJPjSI_NS0_16reverse_iteratorISI_EEEEENSH_IJSG_SG_SG_EEES9_SI_JZNS1_25segmented_radix_sort_implINS0_14default_configELb1EPK12hip_bfloat16PSP_PKlPlN2at6native12_GLOBAL__N_18offset_tEEE10hipError_tPvRmT1_PNSt15iterator_traitsIS13_E10value_typeET2_T3_PNS14_IS19_E10value_typeET4_jRbjT5_S1F_jjP12ihipStream_tbEUljE_ZNSN_ISO_Lb1ESR_SS_SU_SV_SZ_EES10_S11_S12_S13_S17_S18_S19_S1C_S1D_jS1E_jS1F_S1F_jjS1H_bEUljE0_EEES10_S11_S12_S19_S1D_S1F_T6_T7_T9_mT8_S1H_bDpT10_ENKUlT_T0_E_clISt17integral_constantIbLb1EES1V_EEDaS1Q_S1R_EUlS1Q_E_NS1_11comp_targetILNS1_3genE10ELNS1_11target_archE1200ELNS1_3gpuE4ELNS1_3repE0EEENS1_30default_config_static_selectorELNS0_4arch9wavefront6targetE0EEEvS13_.kd
    .uniform_work_group_size: 1
    .uses_dynamic_stack: false
    .vgpr_count:     0
    .vgpr_spill_count: 0
    .wavefront_size: 32
    .workgroup_processor_mode: 1
  - .args:
      - .offset:         0
        .size:           184
        .value_kind:     by_value
    .group_segment_fixed_size: 0
    .kernarg_segment_align: 8
    .kernarg_segment_size: 184
    .language:       OpenCL C
    .language_version:
      - 2
      - 0
    .max_flat_workgroup_size: 256
    .name:           _ZN7rocprim17ROCPRIM_400000_NS6detail17trampoline_kernelINS0_13select_configILj256ELj13ELNS0_17block_load_methodE3ELS4_3ELS4_3ELNS0_20block_scan_algorithmE0ELj4294967295EEENS1_25partition_config_selectorILNS1_17partition_subalgoE4EjNS0_10empty_typeEbEEZZNS1_14partition_implILS8_4ELb0ES6_15HIP_vector_typeIjLj2EENS0_17counting_iteratorIjlEEPS9_SG_NS0_5tupleIJPjSI_NS0_16reverse_iteratorISI_EEEEENSH_IJSG_SG_SG_EEES9_SI_JZNS1_25segmented_radix_sort_implINS0_14default_configELb1EPK12hip_bfloat16PSP_PKlPlN2at6native12_GLOBAL__N_18offset_tEEE10hipError_tPvRmT1_PNSt15iterator_traitsIS13_E10value_typeET2_T3_PNS14_IS19_E10value_typeET4_jRbjT5_S1F_jjP12ihipStream_tbEUljE_ZNSN_ISO_Lb1ESR_SS_SU_SV_SZ_EES10_S11_S12_S13_S17_S18_S19_S1C_S1D_jS1E_jS1F_S1F_jjS1H_bEUljE0_EEES10_S11_S12_S19_S1D_S1F_T6_T7_T9_mT8_S1H_bDpT10_ENKUlT_T0_E_clISt17integral_constantIbLb1EES1V_EEDaS1Q_S1R_EUlS1Q_E_NS1_11comp_targetILNS1_3genE9ELNS1_11target_archE1100ELNS1_3gpuE3ELNS1_3repE0EEENS1_30default_config_static_selectorELNS0_4arch9wavefront6targetE0EEEvS13_
    .private_segment_fixed_size: 0
    .sgpr_count:     0
    .sgpr_spill_count: 0
    .symbol:         _ZN7rocprim17ROCPRIM_400000_NS6detail17trampoline_kernelINS0_13select_configILj256ELj13ELNS0_17block_load_methodE3ELS4_3ELS4_3ELNS0_20block_scan_algorithmE0ELj4294967295EEENS1_25partition_config_selectorILNS1_17partition_subalgoE4EjNS0_10empty_typeEbEEZZNS1_14partition_implILS8_4ELb0ES6_15HIP_vector_typeIjLj2EENS0_17counting_iteratorIjlEEPS9_SG_NS0_5tupleIJPjSI_NS0_16reverse_iteratorISI_EEEEENSH_IJSG_SG_SG_EEES9_SI_JZNS1_25segmented_radix_sort_implINS0_14default_configELb1EPK12hip_bfloat16PSP_PKlPlN2at6native12_GLOBAL__N_18offset_tEEE10hipError_tPvRmT1_PNSt15iterator_traitsIS13_E10value_typeET2_T3_PNS14_IS19_E10value_typeET4_jRbjT5_S1F_jjP12ihipStream_tbEUljE_ZNSN_ISO_Lb1ESR_SS_SU_SV_SZ_EES10_S11_S12_S13_S17_S18_S19_S1C_S1D_jS1E_jS1F_S1F_jjS1H_bEUljE0_EEES10_S11_S12_S19_S1D_S1F_T6_T7_T9_mT8_S1H_bDpT10_ENKUlT_T0_E_clISt17integral_constantIbLb1EES1V_EEDaS1Q_S1R_EUlS1Q_E_NS1_11comp_targetILNS1_3genE9ELNS1_11target_archE1100ELNS1_3gpuE3ELNS1_3repE0EEENS1_30default_config_static_selectorELNS0_4arch9wavefront6targetE0EEEvS13_.kd
    .uniform_work_group_size: 1
    .uses_dynamic_stack: false
    .vgpr_count:     0
    .vgpr_spill_count: 0
    .wavefront_size: 32
    .workgroup_processor_mode: 1
  - .args:
      - .offset:         0
        .size:           184
        .value_kind:     by_value
    .group_segment_fixed_size: 0
    .kernarg_segment_align: 8
    .kernarg_segment_size: 184
    .language:       OpenCL C
    .language_version:
      - 2
      - 0
    .max_flat_workgroup_size: 256
    .name:           _ZN7rocprim17ROCPRIM_400000_NS6detail17trampoline_kernelINS0_13select_configILj256ELj13ELNS0_17block_load_methodE3ELS4_3ELS4_3ELNS0_20block_scan_algorithmE0ELj4294967295EEENS1_25partition_config_selectorILNS1_17partition_subalgoE4EjNS0_10empty_typeEbEEZZNS1_14partition_implILS8_4ELb0ES6_15HIP_vector_typeIjLj2EENS0_17counting_iteratorIjlEEPS9_SG_NS0_5tupleIJPjSI_NS0_16reverse_iteratorISI_EEEEENSH_IJSG_SG_SG_EEES9_SI_JZNS1_25segmented_radix_sort_implINS0_14default_configELb1EPK12hip_bfloat16PSP_PKlPlN2at6native12_GLOBAL__N_18offset_tEEE10hipError_tPvRmT1_PNSt15iterator_traitsIS13_E10value_typeET2_T3_PNS14_IS19_E10value_typeET4_jRbjT5_S1F_jjP12ihipStream_tbEUljE_ZNSN_ISO_Lb1ESR_SS_SU_SV_SZ_EES10_S11_S12_S13_S17_S18_S19_S1C_S1D_jS1E_jS1F_S1F_jjS1H_bEUljE0_EEES10_S11_S12_S19_S1D_S1F_T6_T7_T9_mT8_S1H_bDpT10_ENKUlT_T0_E_clISt17integral_constantIbLb1EES1V_EEDaS1Q_S1R_EUlS1Q_E_NS1_11comp_targetILNS1_3genE8ELNS1_11target_archE1030ELNS1_3gpuE2ELNS1_3repE0EEENS1_30default_config_static_selectorELNS0_4arch9wavefront6targetE0EEEvS13_
    .private_segment_fixed_size: 0
    .sgpr_count:     0
    .sgpr_spill_count: 0
    .symbol:         _ZN7rocprim17ROCPRIM_400000_NS6detail17trampoline_kernelINS0_13select_configILj256ELj13ELNS0_17block_load_methodE3ELS4_3ELS4_3ELNS0_20block_scan_algorithmE0ELj4294967295EEENS1_25partition_config_selectorILNS1_17partition_subalgoE4EjNS0_10empty_typeEbEEZZNS1_14partition_implILS8_4ELb0ES6_15HIP_vector_typeIjLj2EENS0_17counting_iteratorIjlEEPS9_SG_NS0_5tupleIJPjSI_NS0_16reverse_iteratorISI_EEEEENSH_IJSG_SG_SG_EEES9_SI_JZNS1_25segmented_radix_sort_implINS0_14default_configELb1EPK12hip_bfloat16PSP_PKlPlN2at6native12_GLOBAL__N_18offset_tEEE10hipError_tPvRmT1_PNSt15iterator_traitsIS13_E10value_typeET2_T3_PNS14_IS19_E10value_typeET4_jRbjT5_S1F_jjP12ihipStream_tbEUljE_ZNSN_ISO_Lb1ESR_SS_SU_SV_SZ_EES10_S11_S12_S13_S17_S18_S19_S1C_S1D_jS1E_jS1F_S1F_jjS1H_bEUljE0_EEES10_S11_S12_S19_S1D_S1F_T6_T7_T9_mT8_S1H_bDpT10_ENKUlT_T0_E_clISt17integral_constantIbLb1EES1V_EEDaS1Q_S1R_EUlS1Q_E_NS1_11comp_targetILNS1_3genE8ELNS1_11target_archE1030ELNS1_3gpuE2ELNS1_3repE0EEENS1_30default_config_static_selectorELNS0_4arch9wavefront6targetE0EEEvS13_.kd
    .uniform_work_group_size: 1
    .uses_dynamic_stack: false
    .vgpr_count:     0
    .vgpr_spill_count: 0
    .wavefront_size: 32
    .workgroup_processor_mode: 1
  - .args:
      - .offset:         0
        .size:           176
        .value_kind:     by_value
    .group_segment_fixed_size: 0
    .kernarg_segment_align: 8
    .kernarg_segment_size: 176
    .language:       OpenCL C
    .language_version:
      - 2
      - 0
    .max_flat_workgroup_size: 256
    .name:           _ZN7rocprim17ROCPRIM_400000_NS6detail17trampoline_kernelINS0_13select_configILj256ELj13ELNS0_17block_load_methodE3ELS4_3ELS4_3ELNS0_20block_scan_algorithmE0ELj4294967295EEENS1_25partition_config_selectorILNS1_17partition_subalgoE4EjNS0_10empty_typeEbEEZZNS1_14partition_implILS8_4ELb0ES6_15HIP_vector_typeIjLj2EENS0_17counting_iteratorIjlEEPS9_SG_NS0_5tupleIJPjSI_NS0_16reverse_iteratorISI_EEEEENSH_IJSG_SG_SG_EEES9_SI_JZNS1_25segmented_radix_sort_implINS0_14default_configELb1EPK12hip_bfloat16PSP_PKlPlN2at6native12_GLOBAL__N_18offset_tEEE10hipError_tPvRmT1_PNSt15iterator_traitsIS13_E10value_typeET2_T3_PNS14_IS19_E10value_typeET4_jRbjT5_S1F_jjP12ihipStream_tbEUljE_ZNSN_ISO_Lb1ESR_SS_SU_SV_SZ_EES10_S11_S12_S13_S17_S18_S19_S1C_S1D_jS1E_jS1F_S1F_jjS1H_bEUljE0_EEES10_S11_S12_S19_S1D_S1F_T6_T7_T9_mT8_S1H_bDpT10_ENKUlT_T0_E_clISt17integral_constantIbLb1EES1U_IbLb0EEEEDaS1Q_S1R_EUlS1Q_E_NS1_11comp_targetILNS1_3genE0ELNS1_11target_archE4294967295ELNS1_3gpuE0ELNS1_3repE0EEENS1_30default_config_static_selectorELNS0_4arch9wavefront6targetE0EEEvS13_
    .private_segment_fixed_size: 0
    .sgpr_count:     0
    .sgpr_spill_count: 0
    .symbol:         _ZN7rocprim17ROCPRIM_400000_NS6detail17trampoline_kernelINS0_13select_configILj256ELj13ELNS0_17block_load_methodE3ELS4_3ELS4_3ELNS0_20block_scan_algorithmE0ELj4294967295EEENS1_25partition_config_selectorILNS1_17partition_subalgoE4EjNS0_10empty_typeEbEEZZNS1_14partition_implILS8_4ELb0ES6_15HIP_vector_typeIjLj2EENS0_17counting_iteratorIjlEEPS9_SG_NS0_5tupleIJPjSI_NS0_16reverse_iteratorISI_EEEEENSH_IJSG_SG_SG_EEES9_SI_JZNS1_25segmented_radix_sort_implINS0_14default_configELb1EPK12hip_bfloat16PSP_PKlPlN2at6native12_GLOBAL__N_18offset_tEEE10hipError_tPvRmT1_PNSt15iterator_traitsIS13_E10value_typeET2_T3_PNS14_IS19_E10value_typeET4_jRbjT5_S1F_jjP12ihipStream_tbEUljE_ZNSN_ISO_Lb1ESR_SS_SU_SV_SZ_EES10_S11_S12_S13_S17_S18_S19_S1C_S1D_jS1E_jS1F_S1F_jjS1H_bEUljE0_EEES10_S11_S12_S19_S1D_S1F_T6_T7_T9_mT8_S1H_bDpT10_ENKUlT_T0_E_clISt17integral_constantIbLb1EES1U_IbLb0EEEEDaS1Q_S1R_EUlS1Q_E_NS1_11comp_targetILNS1_3genE0ELNS1_11target_archE4294967295ELNS1_3gpuE0ELNS1_3repE0EEENS1_30default_config_static_selectorELNS0_4arch9wavefront6targetE0EEEvS13_.kd
    .uniform_work_group_size: 1
    .uses_dynamic_stack: false
    .vgpr_count:     0
    .vgpr_spill_count: 0
    .wavefront_size: 32
    .workgroup_processor_mode: 1
  - .args:
      - .offset:         0
        .size:           176
        .value_kind:     by_value
    .group_segment_fixed_size: 0
    .kernarg_segment_align: 8
    .kernarg_segment_size: 176
    .language:       OpenCL C
    .language_version:
      - 2
      - 0
    .max_flat_workgroup_size: 256
    .name:           _ZN7rocprim17ROCPRIM_400000_NS6detail17trampoline_kernelINS0_13select_configILj256ELj13ELNS0_17block_load_methodE3ELS4_3ELS4_3ELNS0_20block_scan_algorithmE0ELj4294967295EEENS1_25partition_config_selectorILNS1_17partition_subalgoE4EjNS0_10empty_typeEbEEZZNS1_14partition_implILS8_4ELb0ES6_15HIP_vector_typeIjLj2EENS0_17counting_iteratorIjlEEPS9_SG_NS0_5tupleIJPjSI_NS0_16reverse_iteratorISI_EEEEENSH_IJSG_SG_SG_EEES9_SI_JZNS1_25segmented_radix_sort_implINS0_14default_configELb1EPK12hip_bfloat16PSP_PKlPlN2at6native12_GLOBAL__N_18offset_tEEE10hipError_tPvRmT1_PNSt15iterator_traitsIS13_E10value_typeET2_T3_PNS14_IS19_E10value_typeET4_jRbjT5_S1F_jjP12ihipStream_tbEUljE_ZNSN_ISO_Lb1ESR_SS_SU_SV_SZ_EES10_S11_S12_S13_S17_S18_S19_S1C_S1D_jS1E_jS1F_S1F_jjS1H_bEUljE0_EEES10_S11_S12_S19_S1D_S1F_T6_T7_T9_mT8_S1H_bDpT10_ENKUlT_T0_E_clISt17integral_constantIbLb1EES1U_IbLb0EEEEDaS1Q_S1R_EUlS1Q_E_NS1_11comp_targetILNS1_3genE5ELNS1_11target_archE942ELNS1_3gpuE9ELNS1_3repE0EEENS1_30default_config_static_selectorELNS0_4arch9wavefront6targetE0EEEvS13_
    .private_segment_fixed_size: 0
    .sgpr_count:     0
    .sgpr_spill_count: 0
    .symbol:         _ZN7rocprim17ROCPRIM_400000_NS6detail17trampoline_kernelINS0_13select_configILj256ELj13ELNS0_17block_load_methodE3ELS4_3ELS4_3ELNS0_20block_scan_algorithmE0ELj4294967295EEENS1_25partition_config_selectorILNS1_17partition_subalgoE4EjNS0_10empty_typeEbEEZZNS1_14partition_implILS8_4ELb0ES6_15HIP_vector_typeIjLj2EENS0_17counting_iteratorIjlEEPS9_SG_NS0_5tupleIJPjSI_NS0_16reverse_iteratorISI_EEEEENSH_IJSG_SG_SG_EEES9_SI_JZNS1_25segmented_radix_sort_implINS0_14default_configELb1EPK12hip_bfloat16PSP_PKlPlN2at6native12_GLOBAL__N_18offset_tEEE10hipError_tPvRmT1_PNSt15iterator_traitsIS13_E10value_typeET2_T3_PNS14_IS19_E10value_typeET4_jRbjT5_S1F_jjP12ihipStream_tbEUljE_ZNSN_ISO_Lb1ESR_SS_SU_SV_SZ_EES10_S11_S12_S13_S17_S18_S19_S1C_S1D_jS1E_jS1F_S1F_jjS1H_bEUljE0_EEES10_S11_S12_S19_S1D_S1F_T6_T7_T9_mT8_S1H_bDpT10_ENKUlT_T0_E_clISt17integral_constantIbLb1EES1U_IbLb0EEEEDaS1Q_S1R_EUlS1Q_E_NS1_11comp_targetILNS1_3genE5ELNS1_11target_archE942ELNS1_3gpuE9ELNS1_3repE0EEENS1_30default_config_static_selectorELNS0_4arch9wavefront6targetE0EEEvS13_.kd
    .uniform_work_group_size: 1
    .uses_dynamic_stack: false
    .vgpr_count:     0
    .vgpr_spill_count: 0
    .wavefront_size: 32
    .workgroup_processor_mode: 1
  - .args:
      - .offset:         0
        .size:           176
        .value_kind:     by_value
    .group_segment_fixed_size: 0
    .kernarg_segment_align: 8
    .kernarg_segment_size: 176
    .language:       OpenCL C
    .language_version:
      - 2
      - 0
    .max_flat_workgroup_size: 256
    .name:           _ZN7rocprim17ROCPRIM_400000_NS6detail17trampoline_kernelINS0_13select_configILj256ELj13ELNS0_17block_load_methodE3ELS4_3ELS4_3ELNS0_20block_scan_algorithmE0ELj4294967295EEENS1_25partition_config_selectorILNS1_17partition_subalgoE4EjNS0_10empty_typeEbEEZZNS1_14partition_implILS8_4ELb0ES6_15HIP_vector_typeIjLj2EENS0_17counting_iteratorIjlEEPS9_SG_NS0_5tupleIJPjSI_NS0_16reverse_iteratorISI_EEEEENSH_IJSG_SG_SG_EEES9_SI_JZNS1_25segmented_radix_sort_implINS0_14default_configELb1EPK12hip_bfloat16PSP_PKlPlN2at6native12_GLOBAL__N_18offset_tEEE10hipError_tPvRmT1_PNSt15iterator_traitsIS13_E10value_typeET2_T3_PNS14_IS19_E10value_typeET4_jRbjT5_S1F_jjP12ihipStream_tbEUljE_ZNSN_ISO_Lb1ESR_SS_SU_SV_SZ_EES10_S11_S12_S13_S17_S18_S19_S1C_S1D_jS1E_jS1F_S1F_jjS1H_bEUljE0_EEES10_S11_S12_S19_S1D_S1F_T6_T7_T9_mT8_S1H_bDpT10_ENKUlT_T0_E_clISt17integral_constantIbLb1EES1U_IbLb0EEEEDaS1Q_S1R_EUlS1Q_E_NS1_11comp_targetILNS1_3genE4ELNS1_11target_archE910ELNS1_3gpuE8ELNS1_3repE0EEENS1_30default_config_static_selectorELNS0_4arch9wavefront6targetE0EEEvS13_
    .private_segment_fixed_size: 0
    .sgpr_count:     0
    .sgpr_spill_count: 0
    .symbol:         _ZN7rocprim17ROCPRIM_400000_NS6detail17trampoline_kernelINS0_13select_configILj256ELj13ELNS0_17block_load_methodE3ELS4_3ELS4_3ELNS0_20block_scan_algorithmE0ELj4294967295EEENS1_25partition_config_selectorILNS1_17partition_subalgoE4EjNS0_10empty_typeEbEEZZNS1_14partition_implILS8_4ELb0ES6_15HIP_vector_typeIjLj2EENS0_17counting_iteratorIjlEEPS9_SG_NS0_5tupleIJPjSI_NS0_16reverse_iteratorISI_EEEEENSH_IJSG_SG_SG_EEES9_SI_JZNS1_25segmented_radix_sort_implINS0_14default_configELb1EPK12hip_bfloat16PSP_PKlPlN2at6native12_GLOBAL__N_18offset_tEEE10hipError_tPvRmT1_PNSt15iterator_traitsIS13_E10value_typeET2_T3_PNS14_IS19_E10value_typeET4_jRbjT5_S1F_jjP12ihipStream_tbEUljE_ZNSN_ISO_Lb1ESR_SS_SU_SV_SZ_EES10_S11_S12_S13_S17_S18_S19_S1C_S1D_jS1E_jS1F_S1F_jjS1H_bEUljE0_EEES10_S11_S12_S19_S1D_S1F_T6_T7_T9_mT8_S1H_bDpT10_ENKUlT_T0_E_clISt17integral_constantIbLb1EES1U_IbLb0EEEEDaS1Q_S1R_EUlS1Q_E_NS1_11comp_targetILNS1_3genE4ELNS1_11target_archE910ELNS1_3gpuE8ELNS1_3repE0EEENS1_30default_config_static_selectorELNS0_4arch9wavefront6targetE0EEEvS13_.kd
    .uniform_work_group_size: 1
    .uses_dynamic_stack: false
    .vgpr_count:     0
    .vgpr_spill_count: 0
    .wavefront_size: 32
    .workgroup_processor_mode: 1
  - .args:
      - .offset:         0
        .size:           176
        .value_kind:     by_value
    .group_segment_fixed_size: 0
    .kernarg_segment_align: 8
    .kernarg_segment_size: 176
    .language:       OpenCL C
    .language_version:
      - 2
      - 0
    .max_flat_workgroup_size: 256
    .name:           _ZN7rocprim17ROCPRIM_400000_NS6detail17trampoline_kernelINS0_13select_configILj256ELj13ELNS0_17block_load_methodE3ELS4_3ELS4_3ELNS0_20block_scan_algorithmE0ELj4294967295EEENS1_25partition_config_selectorILNS1_17partition_subalgoE4EjNS0_10empty_typeEbEEZZNS1_14partition_implILS8_4ELb0ES6_15HIP_vector_typeIjLj2EENS0_17counting_iteratorIjlEEPS9_SG_NS0_5tupleIJPjSI_NS0_16reverse_iteratorISI_EEEEENSH_IJSG_SG_SG_EEES9_SI_JZNS1_25segmented_radix_sort_implINS0_14default_configELb1EPK12hip_bfloat16PSP_PKlPlN2at6native12_GLOBAL__N_18offset_tEEE10hipError_tPvRmT1_PNSt15iterator_traitsIS13_E10value_typeET2_T3_PNS14_IS19_E10value_typeET4_jRbjT5_S1F_jjP12ihipStream_tbEUljE_ZNSN_ISO_Lb1ESR_SS_SU_SV_SZ_EES10_S11_S12_S13_S17_S18_S19_S1C_S1D_jS1E_jS1F_S1F_jjS1H_bEUljE0_EEES10_S11_S12_S19_S1D_S1F_T6_T7_T9_mT8_S1H_bDpT10_ENKUlT_T0_E_clISt17integral_constantIbLb1EES1U_IbLb0EEEEDaS1Q_S1R_EUlS1Q_E_NS1_11comp_targetILNS1_3genE3ELNS1_11target_archE908ELNS1_3gpuE7ELNS1_3repE0EEENS1_30default_config_static_selectorELNS0_4arch9wavefront6targetE0EEEvS13_
    .private_segment_fixed_size: 0
    .sgpr_count:     0
    .sgpr_spill_count: 0
    .symbol:         _ZN7rocprim17ROCPRIM_400000_NS6detail17trampoline_kernelINS0_13select_configILj256ELj13ELNS0_17block_load_methodE3ELS4_3ELS4_3ELNS0_20block_scan_algorithmE0ELj4294967295EEENS1_25partition_config_selectorILNS1_17partition_subalgoE4EjNS0_10empty_typeEbEEZZNS1_14partition_implILS8_4ELb0ES6_15HIP_vector_typeIjLj2EENS0_17counting_iteratorIjlEEPS9_SG_NS0_5tupleIJPjSI_NS0_16reverse_iteratorISI_EEEEENSH_IJSG_SG_SG_EEES9_SI_JZNS1_25segmented_radix_sort_implINS0_14default_configELb1EPK12hip_bfloat16PSP_PKlPlN2at6native12_GLOBAL__N_18offset_tEEE10hipError_tPvRmT1_PNSt15iterator_traitsIS13_E10value_typeET2_T3_PNS14_IS19_E10value_typeET4_jRbjT5_S1F_jjP12ihipStream_tbEUljE_ZNSN_ISO_Lb1ESR_SS_SU_SV_SZ_EES10_S11_S12_S13_S17_S18_S19_S1C_S1D_jS1E_jS1F_S1F_jjS1H_bEUljE0_EEES10_S11_S12_S19_S1D_S1F_T6_T7_T9_mT8_S1H_bDpT10_ENKUlT_T0_E_clISt17integral_constantIbLb1EES1U_IbLb0EEEEDaS1Q_S1R_EUlS1Q_E_NS1_11comp_targetILNS1_3genE3ELNS1_11target_archE908ELNS1_3gpuE7ELNS1_3repE0EEENS1_30default_config_static_selectorELNS0_4arch9wavefront6targetE0EEEvS13_.kd
    .uniform_work_group_size: 1
    .uses_dynamic_stack: false
    .vgpr_count:     0
    .vgpr_spill_count: 0
    .wavefront_size: 32
    .workgroup_processor_mode: 1
  - .args:
      - .offset:         0
        .size:           176
        .value_kind:     by_value
    .group_segment_fixed_size: 0
    .kernarg_segment_align: 8
    .kernarg_segment_size: 176
    .language:       OpenCL C
    .language_version:
      - 2
      - 0
    .max_flat_workgroup_size: 256
    .name:           _ZN7rocprim17ROCPRIM_400000_NS6detail17trampoline_kernelINS0_13select_configILj256ELj13ELNS0_17block_load_methodE3ELS4_3ELS4_3ELNS0_20block_scan_algorithmE0ELj4294967295EEENS1_25partition_config_selectorILNS1_17partition_subalgoE4EjNS0_10empty_typeEbEEZZNS1_14partition_implILS8_4ELb0ES6_15HIP_vector_typeIjLj2EENS0_17counting_iteratorIjlEEPS9_SG_NS0_5tupleIJPjSI_NS0_16reverse_iteratorISI_EEEEENSH_IJSG_SG_SG_EEES9_SI_JZNS1_25segmented_radix_sort_implINS0_14default_configELb1EPK12hip_bfloat16PSP_PKlPlN2at6native12_GLOBAL__N_18offset_tEEE10hipError_tPvRmT1_PNSt15iterator_traitsIS13_E10value_typeET2_T3_PNS14_IS19_E10value_typeET4_jRbjT5_S1F_jjP12ihipStream_tbEUljE_ZNSN_ISO_Lb1ESR_SS_SU_SV_SZ_EES10_S11_S12_S13_S17_S18_S19_S1C_S1D_jS1E_jS1F_S1F_jjS1H_bEUljE0_EEES10_S11_S12_S19_S1D_S1F_T6_T7_T9_mT8_S1H_bDpT10_ENKUlT_T0_E_clISt17integral_constantIbLb1EES1U_IbLb0EEEEDaS1Q_S1R_EUlS1Q_E_NS1_11comp_targetILNS1_3genE2ELNS1_11target_archE906ELNS1_3gpuE6ELNS1_3repE0EEENS1_30default_config_static_selectorELNS0_4arch9wavefront6targetE0EEEvS13_
    .private_segment_fixed_size: 0
    .sgpr_count:     0
    .sgpr_spill_count: 0
    .symbol:         _ZN7rocprim17ROCPRIM_400000_NS6detail17trampoline_kernelINS0_13select_configILj256ELj13ELNS0_17block_load_methodE3ELS4_3ELS4_3ELNS0_20block_scan_algorithmE0ELj4294967295EEENS1_25partition_config_selectorILNS1_17partition_subalgoE4EjNS0_10empty_typeEbEEZZNS1_14partition_implILS8_4ELb0ES6_15HIP_vector_typeIjLj2EENS0_17counting_iteratorIjlEEPS9_SG_NS0_5tupleIJPjSI_NS0_16reverse_iteratorISI_EEEEENSH_IJSG_SG_SG_EEES9_SI_JZNS1_25segmented_radix_sort_implINS0_14default_configELb1EPK12hip_bfloat16PSP_PKlPlN2at6native12_GLOBAL__N_18offset_tEEE10hipError_tPvRmT1_PNSt15iterator_traitsIS13_E10value_typeET2_T3_PNS14_IS19_E10value_typeET4_jRbjT5_S1F_jjP12ihipStream_tbEUljE_ZNSN_ISO_Lb1ESR_SS_SU_SV_SZ_EES10_S11_S12_S13_S17_S18_S19_S1C_S1D_jS1E_jS1F_S1F_jjS1H_bEUljE0_EEES10_S11_S12_S19_S1D_S1F_T6_T7_T9_mT8_S1H_bDpT10_ENKUlT_T0_E_clISt17integral_constantIbLb1EES1U_IbLb0EEEEDaS1Q_S1R_EUlS1Q_E_NS1_11comp_targetILNS1_3genE2ELNS1_11target_archE906ELNS1_3gpuE6ELNS1_3repE0EEENS1_30default_config_static_selectorELNS0_4arch9wavefront6targetE0EEEvS13_.kd
    .uniform_work_group_size: 1
    .uses_dynamic_stack: false
    .vgpr_count:     0
    .vgpr_spill_count: 0
    .wavefront_size: 32
    .workgroup_processor_mode: 1
  - .args:
      - .offset:         0
        .size:           176
        .value_kind:     by_value
    .group_segment_fixed_size: 0
    .kernarg_segment_align: 8
    .kernarg_segment_size: 176
    .language:       OpenCL C
    .language_version:
      - 2
      - 0
    .max_flat_workgroup_size: 256
    .name:           _ZN7rocprim17ROCPRIM_400000_NS6detail17trampoline_kernelINS0_13select_configILj256ELj13ELNS0_17block_load_methodE3ELS4_3ELS4_3ELNS0_20block_scan_algorithmE0ELj4294967295EEENS1_25partition_config_selectorILNS1_17partition_subalgoE4EjNS0_10empty_typeEbEEZZNS1_14partition_implILS8_4ELb0ES6_15HIP_vector_typeIjLj2EENS0_17counting_iteratorIjlEEPS9_SG_NS0_5tupleIJPjSI_NS0_16reverse_iteratorISI_EEEEENSH_IJSG_SG_SG_EEES9_SI_JZNS1_25segmented_radix_sort_implINS0_14default_configELb1EPK12hip_bfloat16PSP_PKlPlN2at6native12_GLOBAL__N_18offset_tEEE10hipError_tPvRmT1_PNSt15iterator_traitsIS13_E10value_typeET2_T3_PNS14_IS19_E10value_typeET4_jRbjT5_S1F_jjP12ihipStream_tbEUljE_ZNSN_ISO_Lb1ESR_SS_SU_SV_SZ_EES10_S11_S12_S13_S17_S18_S19_S1C_S1D_jS1E_jS1F_S1F_jjS1H_bEUljE0_EEES10_S11_S12_S19_S1D_S1F_T6_T7_T9_mT8_S1H_bDpT10_ENKUlT_T0_E_clISt17integral_constantIbLb1EES1U_IbLb0EEEEDaS1Q_S1R_EUlS1Q_E_NS1_11comp_targetILNS1_3genE10ELNS1_11target_archE1200ELNS1_3gpuE4ELNS1_3repE0EEENS1_30default_config_static_selectorELNS0_4arch9wavefront6targetE0EEEvS13_
    .private_segment_fixed_size: 0
    .sgpr_count:     0
    .sgpr_spill_count: 0
    .symbol:         _ZN7rocprim17ROCPRIM_400000_NS6detail17trampoline_kernelINS0_13select_configILj256ELj13ELNS0_17block_load_methodE3ELS4_3ELS4_3ELNS0_20block_scan_algorithmE0ELj4294967295EEENS1_25partition_config_selectorILNS1_17partition_subalgoE4EjNS0_10empty_typeEbEEZZNS1_14partition_implILS8_4ELb0ES6_15HIP_vector_typeIjLj2EENS0_17counting_iteratorIjlEEPS9_SG_NS0_5tupleIJPjSI_NS0_16reverse_iteratorISI_EEEEENSH_IJSG_SG_SG_EEES9_SI_JZNS1_25segmented_radix_sort_implINS0_14default_configELb1EPK12hip_bfloat16PSP_PKlPlN2at6native12_GLOBAL__N_18offset_tEEE10hipError_tPvRmT1_PNSt15iterator_traitsIS13_E10value_typeET2_T3_PNS14_IS19_E10value_typeET4_jRbjT5_S1F_jjP12ihipStream_tbEUljE_ZNSN_ISO_Lb1ESR_SS_SU_SV_SZ_EES10_S11_S12_S13_S17_S18_S19_S1C_S1D_jS1E_jS1F_S1F_jjS1H_bEUljE0_EEES10_S11_S12_S19_S1D_S1F_T6_T7_T9_mT8_S1H_bDpT10_ENKUlT_T0_E_clISt17integral_constantIbLb1EES1U_IbLb0EEEEDaS1Q_S1R_EUlS1Q_E_NS1_11comp_targetILNS1_3genE10ELNS1_11target_archE1200ELNS1_3gpuE4ELNS1_3repE0EEENS1_30default_config_static_selectorELNS0_4arch9wavefront6targetE0EEEvS13_.kd
    .uniform_work_group_size: 1
    .uses_dynamic_stack: false
    .vgpr_count:     0
    .vgpr_spill_count: 0
    .wavefront_size: 32
    .workgroup_processor_mode: 1
  - .args:
      - .offset:         0
        .size:           176
        .value_kind:     by_value
    .group_segment_fixed_size: 0
    .kernarg_segment_align: 8
    .kernarg_segment_size: 176
    .language:       OpenCL C
    .language_version:
      - 2
      - 0
    .max_flat_workgroup_size: 256
    .name:           _ZN7rocprim17ROCPRIM_400000_NS6detail17trampoline_kernelINS0_13select_configILj256ELj13ELNS0_17block_load_methodE3ELS4_3ELS4_3ELNS0_20block_scan_algorithmE0ELj4294967295EEENS1_25partition_config_selectorILNS1_17partition_subalgoE4EjNS0_10empty_typeEbEEZZNS1_14partition_implILS8_4ELb0ES6_15HIP_vector_typeIjLj2EENS0_17counting_iteratorIjlEEPS9_SG_NS0_5tupleIJPjSI_NS0_16reverse_iteratorISI_EEEEENSH_IJSG_SG_SG_EEES9_SI_JZNS1_25segmented_radix_sort_implINS0_14default_configELb1EPK12hip_bfloat16PSP_PKlPlN2at6native12_GLOBAL__N_18offset_tEEE10hipError_tPvRmT1_PNSt15iterator_traitsIS13_E10value_typeET2_T3_PNS14_IS19_E10value_typeET4_jRbjT5_S1F_jjP12ihipStream_tbEUljE_ZNSN_ISO_Lb1ESR_SS_SU_SV_SZ_EES10_S11_S12_S13_S17_S18_S19_S1C_S1D_jS1E_jS1F_S1F_jjS1H_bEUljE0_EEES10_S11_S12_S19_S1D_S1F_T6_T7_T9_mT8_S1H_bDpT10_ENKUlT_T0_E_clISt17integral_constantIbLb1EES1U_IbLb0EEEEDaS1Q_S1R_EUlS1Q_E_NS1_11comp_targetILNS1_3genE9ELNS1_11target_archE1100ELNS1_3gpuE3ELNS1_3repE0EEENS1_30default_config_static_selectorELNS0_4arch9wavefront6targetE0EEEvS13_
    .private_segment_fixed_size: 0
    .sgpr_count:     0
    .sgpr_spill_count: 0
    .symbol:         _ZN7rocprim17ROCPRIM_400000_NS6detail17trampoline_kernelINS0_13select_configILj256ELj13ELNS0_17block_load_methodE3ELS4_3ELS4_3ELNS0_20block_scan_algorithmE0ELj4294967295EEENS1_25partition_config_selectorILNS1_17partition_subalgoE4EjNS0_10empty_typeEbEEZZNS1_14partition_implILS8_4ELb0ES6_15HIP_vector_typeIjLj2EENS0_17counting_iteratorIjlEEPS9_SG_NS0_5tupleIJPjSI_NS0_16reverse_iteratorISI_EEEEENSH_IJSG_SG_SG_EEES9_SI_JZNS1_25segmented_radix_sort_implINS0_14default_configELb1EPK12hip_bfloat16PSP_PKlPlN2at6native12_GLOBAL__N_18offset_tEEE10hipError_tPvRmT1_PNSt15iterator_traitsIS13_E10value_typeET2_T3_PNS14_IS19_E10value_typeET4_jRbjT5_S1F_jjP12ihipStream_tbEUljE_ZNSN_ISO_Lb1ESR_SS_SU_SV_SZ_EES10_S11_S12_S13_S17_S18_S19_S1C_S1D_jS1E_jS1F_S1F_jjS1H_bEUljE0_EEES10_S11_S12_S19_S1D_S1F_T6_T7_T9_mT8_S1H_bDpT10_ENKUlT_T0_E_clISt17integral_constantIbLb1EES1U_IbLb0EEEEDaS1Q_S1R_EUlS1Q_E_NS1_11comp_targetILNS1_3genE9ELNS1_11target_archE1100ELNS1_3gpuE3ELNS1_3repE0EEENS1_30default_config_static_selectorELNS0_4arch9wavefront6targetE0EEEvS13_.kd
    .uniform_work_group_size: 1
    .uses_dynamic_stack: false
    .vgpr_count:     0
    .vgpr_spill_count: 0
    .wavefront_size: 32
    .workgroup_processor_mode: 1
  - .args:
      - .offset:         0
        .size:           176
        .value_kind:     by_value
    .group_segment_fixed_size: 0
    .kernarg_segment_align: 8
    .kernarg_segment_size: 176
    .language:       OpenCL C
    .language_version:
      - 2
      - 0
    .max_flat_workgroup_size: 256
    .name:           _ZN7rocprim17ROCPRIM_400000_NS6detail17trampoline_kernelINS0_13select_configILj256ELj13ELNS0_17block_load_methodE3ELS4_3ELS4_3ELNS0_20block_scan_algorithmE0ELj4294967295EEENS1_25partition_config_selectorILNS1_17partition_subalgoE4EjNS0_10empty_typeEbEEZZNS1_14partition_implILS8_4ELb0ES6_15HIP_vector_typeIjLj2EENS0_17counting_iteratorIjlEEPS9_SG_NS0_5tupleIJPjSI_NS0_16reverse_iteratorISI_EEEEENSH_IJSG_SG_SG_EEES9_SI_JZNS1_25segmented_radix_sort_implINS0_14default_configELb1EPK12hip_bfloat16PSP_PKlPlN2at6native12_GLOBAL__N_18offset_tEEE10hipError_tPvRmT1_PNSt15iterator_traitsIS13_E10value_typeET2_T3_PNS14_IS19_E10value_typeET4_jRbjT5_S1F_jjP12ihipStream_tbEUljE_ZNSN_ISO_Lb1ESR_SS_SU_SV_SZ_EES10_S11_S12_S13_S17_S18_S19_S1C_S1D_jS1E_jS1F_S1F_jjS1H_bEUljE0_EEES10_S11_S12_S19_S1D_S1F_T6_T7_T9_mT8_S1H_bDpT10_ENKUlT_T0_E_clISt17integral_constantIbLb1EES1U_IbLb0EEEEDaS1Q_S1R_EUlS1Q_E_NS1_11comp_targetILNS1_3genE8ELNS1_11target_archE1030ELNS1_3gpuE2ELNS1_3repE0EEENS1_30default_config_static_selectorELNS0_4arch9wavefront6targetE0EEEvS13_
    .private_segment_fixed_size: 0
    .sgpr_count:     0
    .sgpr_spill_count: 0
    .symbol:         _ZN7rocprim17ROCPRIM_400000_NS6detail17trampoline_kernelINS0_13select_configILj256ELj13ELNS0_17block_load_methodE3ELS4_3ELS4_3ELNS0_20block_scan_algorithmE0ELj4294967295EEENS1_25partition_config_selectorILNS1_17partition_subalgoE4EjNS0_10empty_typeEbEEZZNS1_14partition_implILS8_4ELb0ES6_15HIP_vector_typeIjLj2EENS0_17counting_iteratorIjlEEPS9_SG_NS0_5tupleIJPjSI_NS0_16reverse_iteratorISI_EEEEENSH_IJSG_SG_SG_EEES9_SI_JZNS1_25segmented_radix_sort_implINS0_14default_configELb1EPK12hip_bfloat16PSP_PKlPlN2at6native12_GLOBAL__N_18offset_tEEE10hipError_tPvRmT1_PNSt15iterator_traitsIS13_E10value_typeET2_T3_PNS14_IS19_E10value_typeET4_jRbjT5_S1F_jjP12ihipStream_tbEUljE_ZNSN_ISO_Lb1ESR_SS_SU_SV_SZ_EES10_S11_S12_S13_S17_S18_S19_S1C_S1D_jS1E_jS1F_S1F_jjS1H_bEUljE0_EEES10_S11_S12_S19_S1D_S1F_T6_T7_T9_mT8_S1H_bDpT10_ENKUlT_T0_E_clISt17integral_constantIbLb1EES1U_IbLb0EEEEDaS1Q_S1R_EUlS1Q_E_NS1_11comp_targetILNS1_3genE8ELNS1_11target_archE1030ELNS1_3gpuE2ELNS1_3repE0EEENS1_30default_config_static_selectorELNS0_4arch9wavefront6targetE0EEEvS13_.kd
    .uniform_work_group_size: 1
    .uses_dynamic_stack: false
    .vgpr_count:     0
    .vgpr_spill_count: 0
    .wavefront_size: 32
    .workgroup_processor_mode: 1
  - .args:
      - .offset:         0
        .size:           184
        .value_kind:     by_value
    .group_segment_fixed_size: 0
    .kernarg_segment_align: 8
    .kernarg_segment_size: 184
    .language:       OpenCL C
    .language_version:
      - 2
      - 0
    .max_flat_workgroup_size: 256
    .name:           _ZN7rocprim17ROCPRIM_400000_NS6detail17trampoline_kernelINS0_13select_configILj256ELj13ELNS0_17block_load_methodE3ELS4_3ELS4_3ELNS0_20block_scan_algorithmE0ELj4294967295EEENS1_25partition_config_selectorILNS1_17partition_subalgoE4EjNS0_10empty_typeEbEEZZNS1_14partition_implILS8_4ELb0ES6_15HIP_vector_typeIjLj2EENS0_17counting_iteratorIjlEEPS9_SG_NS0_5tupleIJPjSI_NS0_16reverse_iteratorISI_EEEEENSH_IJSG_SG_SG_EEES9_SI_JZNS1_25segmented_radix_sort_implINS0_14default_configELb1EPK12hip_bfloat16PSP_PKlPlN2at6native12_GLOBAL__N_18offset_tEEE10hipError_tPvRmT1_PNSt15iterator_traitsIS13_E10value_typeET2_T3_PNS14_IS19_E10value_typeET4_jRbjT5_S1F_jjP12ihipStream_tbEUljE_ZNSN_ISO_Lb1ESR_SS_SU_SV_SZ_EES10_S11_S12_S13_S17_S18_S19_S1C_S1D_jS1E_jS1F_S1F_jjS1H_bEUljE0_EEES10_S11_S12_S19_S1D_S1F_T6_T7_T9_mT8_S1H_bDpT10_ENKUlT_T0_E_clISt17integral_constantIbLb0EES1U_IbLb1EEEEDaS1Q_S1R_EUlS1Q_E_NS1_11comp_targetILNS1_3genE0ELNS1_11target_archE4294967295ELNS1_3gpuE0ELNS1_3repE0EEENS1_30default_config_static_selectorELNS0_4arch9wavefront6targetE0EEEvS13_
    .private_segment_fixed_size: 0
    .sgpr_count:     0
    .sgpr_spill_count: 0
    .symbol:         _ZN7rocprim17ROCPRIM_400000_NS6detail17trampoline_kernelINS0_13select_configILj256ELj13ELNS0_17block_load_methodE3ELS4_3ELS4_3ELNS0_20block_scan_algorithmE0ELj4294967295EEENS1_25partition_config_selectorILNS1_17partition_subalgoE4EjNS0_10empty_typeEbEEZZNS1_14partition_implILS8_4ELb0ES6_15HIP_vector_typeIjLj2EENS0_17counting_iteratorIjlEEPS9_SG_NS0_5tupleIJPjSI_NS0_16reverse_iteratorISI_EEEEENSH_IJSG_SG_SG_EEES9_SI_JZNS1_25segmented_radix_sort_implINS0_14default_configELb1EPK12hip_bfloat16PSP_PKlPlN2at6native12_GLOBAL__N_18offset_tEEE10hipError_tPvRmT1_PNSt15iterator_traitsIS13_E10value_typeET2_T3_PNS14_IS19_E10value_typeET4_jRbjT5_S1F_jjP12ihipStream_tbEUljE_ZNSN_ISO_Lb1ESR_SS_SU_SV_SZ_EES10_S11_S12_S13_S17_S18_S19_S1C_S1D_jS1E_jS1F_S1F_jjS1H_bEUljE0_EEES10_S11_S12_S19_S1D_S1F_T6_T7_T9_mT8_S1H_bDpT10_ENKUlT_T0_E_clISt17integral_constantIbLb0EES1U_IbLb1EEEEDaS1Q_S1R_EUlS1Q_E_NS1_11comp_targetILNS1_3genE0ELNS1_11target_archE4294967295ELNS1_3gpuE0ELNS1_3repE0EEENS1_30default_config_static_selectorELNS0_4arch9wavefront6targetE0EEEvS13_.kd
    .uniform_work_group_size: 1
    .uses_dynamic_stack: false
    .vgpr_count:     0
    .vgpr_spill_count: 0
    .wavefront_size: 32
    .workgroup_processor_mode: 1
  - .args:
      - .offset:         0
        .size:           184
        .value_kind:     by_value
    .group_segment_fixed_size: 0
    .kernarg_segment_align: 8
    .kernarg_segment_size: 184
    .language:       OpenCL C
    .language_version:
      - 2
      - 0
    .max_flat_workgroup_size: 256
    .name:           _ZN7rocprim17ROCPRIM_400000_NS6detail17trampoline_kernelINS0_13select_configILj256ELj13ELNS0_17block_load_methodE3ELS4_3ELS4_3ELNS0_20block_scan_algorithmE0ELj4294967295EEENS1_25partition_config_selectorILNS1_17partition_subalgoE4EjNS0_10empty_typeEbEEZZNS1_14partition_implILS8_4ELb0ES6_15HIP_vector_typeIjLj2EENS0_17counting_iteratorIjlEEPS9_SG_NS0_5tupleIJPjSI_NS0_16reverse_iteratorISI_EEEEENSH_IJSG_SG_SG_EEES9_SI_JZNS1_25segmented_radix_sort_implINS0_14default_configELb1EPK12hip_bfloat16PSP_PKlPlN2at6native12_GLOBAL__N_18offset_tEEE10hipError_tPvRmT1_PNSt15iterator_traitsIS13_E10value_typeET2_T3_PNS14_IS19_E10value_typeET4_jRbjT5_S1F_jjP12ihipStream_tbEUljE_ZNSN_ISO_Lb1ESR_SS_SU_SV_SZ_EES10_S11_S12_S13_S17_S18_S19_S1C_S1D_jS1E_jS1F_S1F_jjS1H_bEUljE0_EEES10_S11_S12_S19_S1D_S1F_T6_T7_T9_mT8_S1H_bDpT10_ENKUlT_T0_E_clISt17integral_constantIbLb0EES1U_IbLb1EEEEDaS1Q_S1R_EUlS1Q_E_NS1_11comp_targetILNS1_3genE5ELNS1_11target_archE942ELNS1_3gpuE9ELNS1_3repE0EEENS1_30default_config_static_selectorELNS0_4arch9wavefront6targetE0EEEvS13_
    .private_segment_fixed_size: 0
    .sgpr_count:     0
    .sgpr_spill_count: 0
    .symbol:         _ZN7rocprim17ROCPRIM_400000_NS6detail17trampoline_kernelINS0_13select_configILj256ELj13ELNS0_17block_load_methodE3ELS4_3ELS4_3ELNS0_20block_scan_algorithmE0ELj4294967295EEENS1_25partition_config_selectorILNS1_17partition_subalgoE4EjNS0_10empty_typeEbEEZZNS1_14partition_implILS8_4ELb0ES6_15HIP_vector_typeIjLj2EENS0_17counting_iteratorIjlEEPS9_SG_NS0_5tupleIJPjSI_NS0_16reverse_iteratorISI_EEEEENSH_IJSG_SG_SG_EEES9_SI_JZNS1_25segmented_radix_sort_implINS0_14default_configELb1EPK12hip_bfloat16PSP_PKlPlN2at6native12_GLOBAL__N_18offset_tEEE10hipError_tPvRmT1_PNSt15iterator_traitsIS13_E10value_typeET2_T3_PNS14_IS19_E10value_typeET4_jRbjT5_S1F_jjP12ihipStream_tbEUljE_ZNSN_ISO_Lb1ESR_SS_SU_SV_SZ_EES10_S11_S12_S13_S17_S18_S19_S1C_S1D_jS1E_jS1F_S1F_jjS1H_bEUljE0_EEES10_S11_S12_S19_S1D_S1F_T6_T7_T9_mT8_S1H_bDpT10_ENKUlT_T0_E_clISt17integral_constantIbLb0EES1U_IbLb1EEEEDaS1Q_S1R_EUlS1Q_E_NS1_11comp_targetILNS1_3genE5ELNS1_11target_archE942ELNS1_3gpuE9ELNS1_3repE0EEENS1_30default_config_static_selectorELNS0_4arch9wavefront6targetE0EEEvS13_.kd
    .uniform_work_group_size: 1
    .uses_dynamic_stack: false
    .vgpr_count:     0
    .vgpr_spill_count: 0
    .wavefront_size: 32
    .workgroup_processor_mode: 1
  - .args:
      - .offset:         0
        .size:           184
        .value_kind:     by_value
    .group_segment_fixed_size: 0
    .kernarg_segment_align: 8
    .kernarg_segment_size: 184
    .language:       OpenCL C
    .language_version:
      - 2
      - 0
    .max_flat_workgroup_size: 256
    .name:           _ZN7rocprim17ROCPRIM_400000_NS6detail17trampoline_kernelINS0_13select_configILj256ELj13ELNS0_17block_load_methodE3ELS4_3ELS4_3ELNS0_20block_scan_algorithmE0ELj4294967295EEENS1_25partition_config_selectorILNS1_17partition_subalgoE4EjNS0_10empty_typeEbEEZZNS1_14partition_implILS8_4ELb0ES6_15HIP_vector_typeIjLj2EENS0_17counting_iteratorIjlEEPS9_SG_NS0_5tupleIJPjSI_NS0_16reverse_iteratorISI_EEEEENSH_IJSG_SG_SG_EEES9_SI_JZNS1_25segmented_radix_sort_implINS0_14default_configELb1EPK12hip_bfloat16PSP_PKlPlN2at6native12_GLOBAL__N_18offset_tEEE10hipError_tPvRmT1_PNSt15iterator_traitsIS13_E10value_typeET2_T3_PNS14_IS19_E10value_typeET4_jRbjT5_S1F_jjP12ihipStream_tbEUljE_ZNSN_ISO_Lb1ESR_SS_SU_SV_SZ_EES10_S11_S12_S13_S17_S18_S19_S1C_S1D_jS1E_jS1F_S1F_jjS1H_bEUljE0_EEES10_S11_S12_S19_S1D_S1F_T6_T7_T9_mT8_S1H_bDpT10_ENKUlT_T0_E_clISt17integral_constantIbLb0EES1U_IbLb1EEEEDaS1Q_S1R_EUlS1Q_E_NS1_11comp_targetILNS1_3genE4ELNS1_11target_archE910ELNS1_3gpuE8ELNS1_3repE0EEENS1_30default_config_static_selectorELNS0_4arch9wavefront6targetE0EEEvS13_
    .private_segment_fixed_size: 0
    .sgpr_count:     0
    .sgpr_spill_count: 0
    .symbol:         _ZN7rocprim17ROCPRIM_400000_NS6detail17trampoline_kernelINS0_13select_configILj256ELj13ELNS0_17block_load_methodE3ELS4_3ELS4_3ELNS0_20block_scan_algorithmE0ELj4294967295EEENS1_25partition_config_selectorILNS1_17partition_subalgoE4EjNS0_10empty_typeEbEEZZNS1_14partition_implILS8_4ELb0ES6_15HIP_vector_typeIjLj2EENS0_17counting_iteratorIjlEEPS9_SG_NS0_5tupleIJPjSI_NS0_16reverse_iteratorISI_EEEEENSH_IJSG_SG_SG_EEES9_SI_JZNS1_25segmented_radix_sort_implINS0_14default_configELb1EPK12hip_bfloat16PSP_PKlPlN2at6native12_GLOBAL__N_18offset_tEEE10hipError_tPvRmT1_PNSt15iterator_traitsIS13_E10value_typeET2_T3_PNS14_IS19_E10value_typeET4_jRbjT5_S1F_jjP12ihipStream_tbEUljE_ZNSN_ISO_Lb1ESR_SS_SU_SV_SZ_EES10_S11_S12_S13_S17_S18_S19_S1C_S1D_jS1E_jS1F_S1F_jjS1H_bEUljE0_EEES10_S11_S12_S19_S1D_S1F_T6_T7_T9_mT8_S1H_bDpT10_ENKUlT_T0_E_clISt17integral_constantIbLb0EES1U_IbLb1EEEEDaS1Q_S1R_EUlS1Q_E_NS1_11comp_targetILNS1_3genE4ELNS1_11target_archE910ELNS1_3gpuE8ELNS1_3repE0EEENS1_30default_config_static_selectorELNS0_4arch9wavefront6targetE0EEEvS13_.kd
    .uniform_work_group_size: 1
    .uses_dynamic_stack: false
    .vgpr_count:     0
    .vgpr_spill_count: 0
    .wavefront_size: 32
    .workgroup_processor_mode: 1
  - .args:
      - .offset:         0
        .size:           184
        .value_kind:     by_value
    .group_segment_fixed_size: 0
    .kernarg_segment_align: 8
    .kernarg_segment_size: 184
    .language:       OpenCL C
    .language_version:
      - 2
      - 0
    .max_flat_workgroup_size: 256
    .name:           _ZN7rocprim17ROCPRIM_400000_NS6detail17trampoline_kernelINS0_13select_configILj256ELj13ELNS0_17block_load_methodE3ELS4_3ELS4_3ELNS0_20block_scan_algorithmE0ELj4294967295EEENS1_25partition_config_selectorILNS1_17partition_subalgoE4EjNS0_10empty_typeEbEEZZNS1_14partition_implILS8_4ELb0ES6_15HIP_vector_typeIjLj2EENS0_17counting_iteratorIjlEEPS9_SG_NS0_5tupleIJPjSI_NS0_16reverse_iteratorISI_EEEEENSH_IJSG_SG_SG_EEES9_SI_JZNS1_25segmented_radix_sort_implINS0_14default_configELb1EPK12hip_bfloat16PSP_PKlPlN2at6native12_GLOBAL__N_18offset_tEEE10hipError_tPvRmT1_PNSt15iterator_traitsIS13_E10value_typeET2_T3_PNS14_IS19_E10value_typeET4_jRbjT5_S1F_jjP12ihipStream_tbEUljE_ZNSN_ISO_Lb1ESR_SS_SU_SV_SZ_EES10_S11_S12_S13_S17_S18_S19_S1C_S1D_jS1E_jS1F_S1F_jjS1H_bEUljE0_EEES10_S11_S12_S19_S1D_S1F_T6_T7_T9_mT8_S1H_bDpT10_ENKUlT_T0_E_clISt17integral_constantIbLb0EES1U_IbLb1EEEEDaS1Q_S1R_EUlS1Q_E_NS1_11comp_targetILNS1_3genE3ELNS1_11target_archE908ELNS1_3gpuE7ELNS1_3repE0EEENS1_30default_config_static_selectorELNS0_4arch9wavefront6targetE0EEEvS13_
    .private_segment_fixed_size: 0
    .sgpr_count:     0
    .sgpr_spill_count: 0
    .symbol:         _ZN7rocprim17ROCPRIM_400000_NS6detail17trampoline_kernelINS0_13select_configILj256ELj13ELNS0_17block_load_methodE3ELS4_3ELS4_3ELNS0_20block_scan_algorithmE0ELj4294967295EEENS1_25partition_config_selectorILNS1_17partition_subalgoE4EjNS0_10empty_typeEbEEZZNS1_14partition_implILS8_4ELb0ES6_15HIP_vector_typeIjLj2EENS0_17counting_iteratorIjlEEPS9_SG_NS0_5tupleIJPjSI_NS0_16reverse_iteratorISI_EEEEENSH_IJSG_SG_SG_EEES9_SI_JZNS1_25segmented_radix_sort_implINS0_14default_configELb1EPK12hip_bfloat16PSP_PKlPlN2at6native12_GLOBAL__N_18offset_tEEE10hipError_tPvRmT1_PNSt15iterator_traitsIS13_E10value_typeET2_T3_PNS14_IS19_E10value_typeET4_jRbjT5_S1F_jjP12ihipStream_tbEUljE_ZNSN_ISO_Lb1ESR_SS_SU_SV_SZ_EES10_S11_S12_S13_S17_S18_S19_S1C_S1D_jS1E_jS1F_S1F_jjS1H_bEUljE0_EEES10_S11_S12_S19_S1D_S1F_T6_T7_T9_mT8_S1H_bDpT10_ENKUlT_T0_E_clISt17integral_constantIbLb0EES1U_IbLb1EEEEDaS1Q_S1R_EUlS1Q_E_NS1_11comp_targetILNS1_3genE3ELNS1_11target_archE908ELNS1_3gpuE7ELNS1_3repE0EEENS1_30default_config_static_selectorELNS0_4arch9wavefront6targetE0EEEvS13_.kd
    .uniform_work_group_size: 1
    .uses_dynamic_stack: false
    .vgpr_count:     0
    .vgpr_spill_count: 0
    .wavefront_size: 32
    .workgroup_processor_mode: 1
  - .args:
      - .offset:         0
        .size:           184
        .value_kind:     by_value
    .group_segment_fixed_size: 0
    .kernarg_segment_align: 8
    .kernarg_segment_size: 184
    .language:       OpenCL C
    .language_version:
      - 2
      - 0
    .max_flat_workgroup_size: 256
    .name:           _ZN7rocprim17ROCPRIM_400000_NS6detail17trampoline_kernelINS0_13select_configILj256ELj13ELNS0_17block_load_methodE3ELS4_3ELS4_3ELNS0_20block_scan_algorithmE0ELj4294967295EEENS1_25partition_config_selectorILNS1_17partition_subalgoE4EjNS0_10empty_typeEbEEZZNS1_14partition_implILS8_4ELb0ES6_15HIP_vector_typeIjLj2EENS0_17counting_iteratorIjlEEPS9_SG_NS0_5tupleIJPjSI_NS0_16reverse_iteratorISI_EEEEENSH_IJSG_SG_SG_EEES9_SI_JZNS1_25segmented_radix_sort_implINS0_14default_configELb1EPK12hip_bfloat16PSP_PKlPlN2at6native12_GLOBAL__N_18offset_tEEE10hipError_tPvRmT1_PNSt15iterator_traitsIS13_E10value_typeET2_T3_PNS14_IS19_E10value_typeET4_jRbjT5_S1F_jjP12ihipStream_tbEUljE_ZNSN_ISO_Lb1ESR_SS_SU_SV_SZ_EES10_S11_S12_S13_S17_S18_S19_S1C_S1D_jS1E_jS1F_S1F_jjS1H_bEUljE0_EEES10_S11_S12_S19_S1D_S1F_T6_T7_T9_mT8_S1H_bDpT10_ENKUlT_T0_E_clISt17integral_constantIbLb0EES1U_IbLb1EEEEDaS1Q_S1R_EUlS1Q_E_NS1_11comp_targetILNS1_3genE2ELNS1_11target_archE906ELNS1_3gpuE6ELNS1_3repE0EEENS1_30default_config_static_selectorELNS0_4arch9wavefront6targetE0EEEvS13_
    .private_segment_fixed_size: 0
    .sgpr_count:     0
    .sgpr_spill_count: 0
    .symbol:         _ZN7rocprim17ROCPRIM_400000_NS6detail17trampoline_kernelINS0_13select_configILj256ELj13ELNS0_17block_load_methodE3ELS4_3ELS4_3ELNS0_20block_scan_algorithmE0ELj4294967295EEENS1_25partition_config_selectorILNS1_17partition_subalgoE4EjNS0_10empty_typeEbEEZZNS1_14partition_implILS8_4ELb0ES6_15HIP_vector_typeIjLj2EENS0_17counting_iteratorIjlEEPS9_SG_NS0_5tupleIJPjSI_NS0_16reverse_iteratorISI_EEEEENSH_IJSG_SG_SG_EEES9_SI_JZNS1_25segmented_radix_sort_implINS0_14default_configELb1EPK12hip_bfloat16PSP_PKlPlN2at6native12_GLOBAL__N_18offset_tEEE10hipError_tPvRmT1_PNSt15iterator_traitsIS13_E10value_typeET2_T3_PNS14_IS19_E10value_typeET4_jRbjT5_S1F_jjP12ihipStream_tbEUljE_ZNSN_ISO_Lb1ESR_SS_SU_SV_SZ_EES10_S11_S12_S13_S17_S18_S19_S1C_S1D_jS1E_jS1F_S1F_jjS1H_bEUljE0_EEES10_S11_S12_S19_S1D_S1F_T6_T7_T9_mT8_S1H_bDpT10_ENKUlT_T0_E_clISt17integral_constantIbLb0EES1U_IbLb1EEEEDaS1Q_S1R_EUlS1Q_E_NS1_11comp_targetILNS1_3genE2ELNS1_11target_archE906ELNS1_3gpuE6ELNS1_3repE0EEENS1_30default_config_static_selectorELNS0_4arch9wavefront6targetE0EEEvS13_.kd
    .uniform_work_group_size: 1
    .uses_dynamic_stack: false
    .vgpr_count:     0
    .vgpr_spill_count: 0
    .wavefront_size: 32
    .workgroup_processor_mode: 1
  - .args:
      - .offset:         0
        .size:           184
        .value_kind:     by_value
    .group_segment_fixed_size: 13328
    .kernarg_segment_align: 8
    .kernarg_segment_size: 184
    .language:       OpenCL C
    .language_version:
      - 2
      - 0
    .max_flat_workgroup_size: 256
    .name:           _ZN7rocprim17ROCPRIM_400000_NS6detail17trampoline_kernelINS0_13select_configILj256ELj13ELNS0_17block_load_methodE3ELS4_3ELS4_3ELNS0_20block_scan_algorithmE0ELj4294967295EEENS1_25partition_config_selectorILNS1_17partition_subalgoE4EjNS0_10empty_typeEbEEZZNS1_14partition_implILS8_4ELb0ES6_15HIP_vector_typeIjLj2EENS0_17counting_iteratorIjlEEPS9_SG_NS0_5tupleIJPjSI_NS0_16reverse_iteratorISI_EEEEENSH_IJSG_SG_SG_EEES9_SI_JZNS1_25segmented_radix_sort_implINS0_14default_configELb1EPK12hip_bfloat16PSP_PKlPlN2at6native12_GLOBAL__N_18offset_tEEE10hipError_tPvRmT1_PNSt15iterator_traitsIS13_E10value_typeET2_T3_PNS14_IS19_E10value_typeET4_jRbjT5_S1F_jjP12ihipStream_tbEUljE_ZNSN_ISO_Lb1ESR_SS_SU_SV_SZ_EES10_S11_S12_S13_S17_S18_S19_S1C_S1D_jS1E_jS1F_S1F_jjS1H_bEUljE0_EEES10_S11_S12_S19_S1D_S1F_T6_T7_T9_mT8_S1H_bDpT10_ENKUlT_T0_E_clISt17integral_constantIbLb0EES1U_IbLb1EEEEDaS1Q_S1R_EUlS1Q_E_NS1_11comp_targetILNS1_3genE10ELNS1_11target_archE1200ELNS1_3gpuE4ELNS1_3repE0EEENS1_30default_config_static_selectorELNS0_4arch9wavefront6targetE0EEEvS13_
    .private_segment_fixed_size: 0
    .sgpr_count:     57
    .sgpr_spill_count: 0
    .symbol:         _ZN7rocprim17ROCPRIM_400000_NS6detail17trampoline_kernelINS0_13select_configILj256ELj13ELNS0_17block_load_methodE3ELS4_3ELS4_3ELNS0_20block_scan_algorithmE0ELj4294967295EEENS1_25partition_config_selectorILNS1_17partition_subalgoE4EjNS0_10empty_typeEbEEZZNS1_14partition_implILS8_4ELb0ES6_15HIP_vector_typeIjLj2EENS0_17counting_iteratorIjlEEPS9_SG_NS0_5tupleIJPjSI_NS0_16reverse_iteratorISI_EEEEENSH_IJSG_SG_SG_EEES9_SI_JZNS1_25segmented_radix_sort_implINS0_14default_configELb1EPK12hip_bfloat16PSP_PKlPlN2at6native12_GLOBAL__N_18offset_tEEE10hipError_tPvRmT1_PNSt15iterator_traitsIS13_E10value_typeET2_T3_PNS14_IS19_E10value_typeET4_jRbjT5_S1F_jjP12ihipStream_tbEUljE_ZNSN_ISO_Lb1ESR_SS_SU_SV_SZ_EES10_S11_S12_S13_S17_S18_S19_S1C_S1D_jS1E_jS1F_S1F_jjS1H_bEUljE0_EEES10_S11_S12_S19_S1D_S1F_T6_T7_T9_mT8_S1H_bDpT10_ENKUlT_T0_E_clISt17integral_constantIbLb0EES1U_IbLb1EEEEDaS1Q_S1R_EUlS1Q_E_NS1_11comp_targetILNS1_3genE10ELNS1_11target_archE1200ELNS1_3gpuE4ELNS1_3repE0EEENS1_30default_config_static_selectorELNS0_4arch9wavefront6targetE0EEEvS13_.kd
    .uniform_work_group_size: 1
    .uses_dynamic_stack: false
    .vgpr_count:     98
    .vgpr_spill_count: 0
    .wavefront_size: 32
    .workgroup_processor_mode: 1
  - .args:
      - .offset:         0
        .size:           184
        .value_kind:     by_value
    .group_segment_fixed_size: 0
    .kernarg_segment_align: 8
    .kernarg_segment_size: 184
    .language:       OpenCL C
    .language_version:
      - 2
      - 0
    .max_flat_workgroup_size: 256
    .name:           _ZN7rocprim17ROCPRIM_400000_NS6detail17trampoline_kernelINS0_13select_configILj256ELj13ELNS0_17block_load_methodE3ELS4_3ELS4_3ELNS0_20block_scan_algorithmE0ELj4294967295EEENS1_25partition_config_selectorILNS1_17partition_subalgoE4EjNS0_10empty_typeEbEEZZNS1_14partition_implILS8_4ELb0ES6_15HIP_vector_typeIjLj2EENS0_17counting_iteratorIjlEEPS9_SG_NS0_5tupleIJPjSI_NS0_16reverse_iteratorISI_EEEEENSH_IJSG_SG_SG_EEES9_SI_JZNS1_25segmented_radix_sort_implINS0_14default_configELb1EPK12hip_bfloat16PSP_PKlPlN2at6native12_GLOBAL__N_18offset_tEEE10hipError_tPvRmT1_PNSt15iterator_traitsIS13_E10value_typeET2_T3_PNS14_IS19_E10value_typeET4_jRbjT5_S1F_jjP12ihipStream_tbEUljE_ZNSN_ISO_Lb1ESR_SS_SU_SV_SZ_EES10_S11_S12_S13_S17_S18_S19_S1C_S1D_jS1E_jS1F_S1F_jjS1H_bEUljE0_EEES10_S11_S12_S19_S1D_S1F_T6_T7_T9_mT8_S1H_bDpT10_ENKUlT_T0_E_clISt17integral_constantIbLb0EES1U_IbLb1EEEEDaS1Q_S1R_EUlS1Q_E_NS1_11comp_targetILNS1_3genE9ELNS1_11target_archE1100ELNS1_3gpuE3ELNS1_3repE0EEENS1_30default_config_static_selectorELNS0_4arch9wavefront6targetE0EEEvS13_
    .private_segment_fixed_size: 0
    .sgpr_count:     0
    .sgpr_spill_count: 0
    .symbol:         _ZN7rocprim17ROCPRIM_400000_NS6detail17trampoline_kernelINS0_13select_configILj256ELj13ELNS0_17block_load_methodE3ELS4_3ELS4_3ELNS0_20block_scan_algorithmE0ELj4294967295EEENS1_25partition_config_selectorILNS1_17partition_subalgoE4EjNS0_10empty_typeEbEEZZNS1_14partition_implILS8_4ELb0ES6_15HIP_vector_typeIjLj2EENS0_17counting_iteratorIjlEEPS9_SG_NS0_5tupleIJPjSI_NS0_16reverse_iteratorISI_EEEEENSH_IJSG_SG_SG_EEES9_SI_JZNS1_25segmented_radix_sort_implINS0_14default_configELb1EPK12hip_bfloat16PSP_PKlPlN2at6native12_GLOBAL__N_18offset_tEEE10hipError_tPvRmT1_PNSt15iterator_traitsIS13_E10value_typeET2_T3_PNS14_IS19_E10value_typeET4_jRbjT5_S1F_jjP12ihipStream_tbEUljE_ZNSN_ISO_Lb1ESR_SS_SU_SV_SZ_EES10_S11_S12_S13_S17_S18_S19_S1C_S1D_jS1E_jS1F_S1F_jjS1H_bEUljE0_EEES10_S11_S12_S19_S1D_S1F_T6_T7_T9_mT8_S1H_bDpT10_ENKUlT_T0_E_clISt17integral_constantIbLb0EES1U_IbLb1EEEEDaS1Q_S1R_EUlS1Q_E_NS1_11comp_targetILNS1_3genE9ELNS1_11target_archE1100ELNS1_3gpuE3ELNS1_3repE0EEENS1_30default_config_static_selectorELNS0_4arch9wavefront6targetE0EEEvS13_.kd
    .uniform_work_group_size: 1
    .uses_dynamic_stack: false
    .vgpr_count:     0
    .vgpr_spill_count: 0
    .wavefront_size: 32
    .workgroup_processor_mode: 1
  - .args:
      - .offset:         0
        .size:           184
        .value_kind:     by_value
    .group_segment_fixed_size: 0
    .kernarg_segment_align: 8
    .kernarg_segment_size: 184
    .language:       OpenCL C
    .language_version:
      - 2
      - 0
    .max_flat_workgroup_size: 256
    .name:           _ZN7rocprim17ROCPRIM_400000_NS6detail17trampoline_kernelINS0_13select_configILj256ELj13ELNS0_17block_load_methodE3ELS4_3ELS4_3ELNS0_20block_scan_algorithmE0ELj4294967295EEENS1_25partition_config_selectorILNS1_17partition_subalgoE4EjNS0_10empty_typeEbEEZZNS1_14partition_implILS8_4ELb0ES6_15HIP_vector_typeIjLj2EENS0_17counting_iteratorIjlEEPS9_SG_NS0_5tupleIJPjSI_NS0_16reverse_iteratorISI_EEEEENSH_IJSG_SG_SG_EEES9_SI_JZNS1_25segmented_radix_sort_implINS0_14default_configELb1EPK12hip_bfloat16PSP_PKlPlN2at6native12_GLOBAL__N_18offset_tEEE10hipError_tPvRmT1_PNSt15iterator_traitsIS13_E10value_typeET2_T3_PNS14_IS19_E10value_typeET4_jRbjT5_S1F_jjP12ihipStream_tbEUljE_ZNSN_ISO_Lb1ESR_SS_SU_SV_SZ_EES10_S11_S12_S13_S17_S18_S19_S1C_S1D_jS1E_jS1F_S1F_jjS1H_bEUljE0_EEES10_S11_S12_S19_S1D_S1F_T6_T7_T9_mT8_S1H_bDpT10_ENKUlT_T0_E_clISt17integral_constantIbLb0EES1U_IbLb1EEEEDaS1Q_S1R_EUlS1Q_E_NS1_11comp_targetILNS1_3genE8ELNS1_11target_archE1030ELNS1_3gpuE2ELNS1_3repE0EEENS1_30default_config_static_selectorELNS0_4arch9wavefront6targetE0EEEvS13_
    .private_segment_fixed_size: 0
    .sgpr_count:     0
    .sgpr_spill_count: 0
    .symbol:         _ZN7rocprim17ROCPRIM_400000_NS6detail17trampoline_kernelINS0_13select_configILj256ELj13ELNS0_17block_load_methodE3ELS4_3ELS4_3ELNS0_20block_scan_algorithmE0ELj4294967295EEENS1_25partition_config_selectorILNS1_17partition_subalgoE4EjNS0_10empty_typeEbEEZZNS1_14partition_implILS8_4ELb0ES6_15HIP_vector_typeIjLj2EENS0_17counting_iteratorIjlEEPS9_SG_NS0_5tupleIJPjSI_NS0_16reverse_iteratorISI_EEEEENSH_IJSG_SG_SG_EEES9_SI_JZNS1_25segmented_radix_sort_implINS0_14default_configELb1EPK12hip_bfloat16PSP_PKlPlN2at6native12_GLOBAL__N_18offset_tEEE10hipError_tPvRmT1_PNSt15iterator_traitsIS13_E10value_typeET2_T3_PNS14_IS19_E10value_typeET4_jRbjT5_S1F_jjP12ihipStream_tbEUljE_ZNSN_ISO_Lb1ESR_SS_SU_SV_SZ_EES10_S11_S12_S13_S17_S18_S19_S1C_S1D_jS1E_jS1F_S1F_jjS1H_bEUljE0_EEES10_S11_S12_S19_S1D_S1F_T6_T7_T9_mT8_S1H_bDpT10_ENKUlT_T0_E_clISt17integral_constantIbLb0EES1U_IbLb1EEEEDaS1Q_S1R_EUlS1Q_E_NS1_11comp_targetILNS1_3genE8ELNS1_11target_archE1030ELNS1_3gpuE2ELNS1_3repE0EEENS1_30default_config_static_selectorELNS0_4arch9wavefront6targetE0EEEvS13_.kd
    .uniform_work_group_size: 1
    .uses_dynamic_stack: false
    .vgpr_count:     0
    .vgpr_spill_count: 0
    .wavefront_size: 32
    .workgroup_processor_mode: 1
  - .args:
      - .offset:         0
        .size:           144
        .value_kind:     by_value
    .group_segment_fixed_size: 0
    .kernarg_segment_align: 8
    .kernarg_segment_size: 144
    .language:       OpenCL C
    .language_version:
      - 2
      - 0
    .max_flat_workgroup_size: 256
    .name:           _ZN7rocprim17ROCPRIM_400000_NS6detail17trampoline_kernelINS0_13select_configILj256ELj13ELNS0_17block_load_methodE3ELS4_3ELS4_3ELNS0_20block_scan_algorithmE0ELj4294967295EEENS1_25partition_config_selectorILNS1_17partition_subalgoE3EjNS0_10empty_typeEbEEZZNS1_14partition_implILS8_3ELb0ES6_jNS0_17counting_iteratorIjlEEPS9_SE_NS0_5tupleIJPjSE_EEENSF_IJSE_SE_EEES9_SG_JZNS1_25segmented_radix_sort_implINS0_14default_configELb1EPK12hip_bfloat16PSL_PKlPlN2at6native12_GLOBAL__N_18offset_tEEE10hipError_tPvRmT1_PNSt15iterator_traitsISZ_E10value_typeET2_T3_PNS10_IS15_E10value_typeET4_jRbjT5_S1B_jjP12ihipStream_tbEUljE_EEESW_SX_SY_S15_S19_S1B_T6_T7_T9_mT8_S1D_bDpT10_ENKUlT_T0_E_clISt17integral_constantIbLb0EES1Q_EEDaS1L_S1M_EUlS1L_E_NS1_11comp_targetILNS1_3genE0ELNS1_11target_archE4294967295ELNS1_3gpuE0ELNS1_3repE0EEENS1_30default_config_static_selectorELNS0_4arch9wavefront6targetE0EEEvSZ_
    .private_segment_fixed_size: 0
    .sgpr_count:     0
    .sgpr_spill_count: 0
    .symbol:         _ZN7rocprim17ROCPRIM_400000_NS6detail17trampoline_kernelINS0_13select_configILj256ELj13ELNS0_17block_load_methodE3ELS4_3ELS4_3ELNS0_20block_scan_algorithmE0ELj4294967295EEENS1_25partition_config_selectorILNS1_17partition_subalgoE3EjNS0_10empty_typeEbEEZZNS1_14partition_implILS8_3ELb0ES6_jNS0_17counting_iteratorIjlEEPS9_SE_NS0_5tupleIJPjSE_EEENSF_IJSE_SE_EEES9_SG_JZNS1_25segmented_radix_sort_implINS0_14default_configELb1EPK12hip_bfloat16PSL_PKlPlN2at6native12_GLOBAL__N_18offset_tEEE10hipError_tPvRmT1_PNSt15iterator_traitsISZ_E10value_typeET2_T3_PNS10_IS15_E10value_typeET4_jRbjT5_S1B_jjP12ihipStream_tbEUljE_EEESW_SX_SY_S15_S19_S1B_T6_T7_T9_mT8_S1D_bDpT10_ENKUlT_T0_E_clISt17integral_constantIbLb0EES1Q_EEDaS1L_S1M_EUlS1L_E_NS1_11comp_targetILNS1_3genE0ELNS1_11target_archE4294967295ELNS1_3gpuE0ELNS1_3repE0EEENS1_30default_config_static_selectorELNS0_4arch9wavefront6targetE0EEEvSZ_.kd
    .uniform_work_group_size: 1
    .uses_dynamic_stack: false
    .vgpr_count:     0
    .vgpr_spill_count: 0
    .wavefront_size: 32
    .workgroup_processor_mode: 1
  - .args:
      - .offset:         0
        .size:           144
        .value_kind:     by_value
    .group_segment_fixed_size: 0
    .kernarg_segment_align: 8
    .kernarg_segment_size: 144
    .language:       OpenCL C
    .language_version:
      - 2
      - 0
    .max_flat_workgroup_size: 256
    .name:           _ZN7rocprim17ROCPRIM_400000_NS6detail17trampoline_kernelINS0_13select_configILj256ELj13ELNS0_17block_load_methodE3ELS4_3ELS4_3ELNS0_20block_scan_algorithmE0ELj4294967295EEENS1_25partition_config_selectorILNS1_17partition_subalgoE3EjNS0_10empty_typeEbEEZZNS1_14partition_implILS8_3ELb0ES6_jNS0_17counting_iteratorIjlEEPS9_SE_NS0_5tupleIJPjSE_EEENSF_IJSE_SE_EEES9_SG_JZNS1_25segmented_radix_sort_implINS0_14default_configELb1EPK12hip_bfloat16PSL_PKlPlN2at6native12_GLOBAL__N_18offset_tEEE10hipError_tPvRmT1_PNSt15iterator_traitsISZ_E10value_typeET2_T3_PNS10_IS15_E10value_typeET4_jRbjT5_S1B_jjP12ihipStream_tbEUljE_EEESW_SX_SY_S15_S19_S1B_T6_T7_T9_mT8_S1D_bDpT10_ENKUlT_T0_E_clISt17integral_constantIbLb0EES1Q_EEDaS1L_S1M_EUlS1L_E_NS1_11comp_targetILNS1_3genE5ELNS1_11target_archE942ELNS1_3gpuE9ELNS1_3repE0EEENS1_30default_config_static_selectorELNS0_4arch9wavefront6targetE0EEEvSZ_
    .private_segment_fixed_size: 0
    .sgpr_count:     0
    .sgpr_spill_count: 0
    .symbol:         _ZN7rocprim17ROCPRIM_400000_NS6detail17trampoline_kernelINS0_13select_configILj256ELj13ELNS0_17block_load_methodE3ELS4_3ELS4_3ELNS0_20block_scan_algorithmE0ELj4294967295EEENS1_25partition_config_selectorILNS1_17partition_subalgoE3EjNS0_10empty_typeEbEEZZNS1_14partition_implILS8_3ELb0ES6_jNS0_17counting_iteratorIjlEEPS9_SE_NS0_5tupleIJPjSE_EEENSF_IJSE_SE_EEES9_SG_JZNS1_25segmented_radix_sort_implINS0_14default_configELb1EPK12hip_bfloat16PSL_PKlPlN2at6native12_GLOBAL__N_18offset_tEEE10hipError_tPvRmT1_PNSt15iterator_traitsISZ_E10value_typeET2_T3_PNS10_IS15_E10value_typeET4_jRbjT5_S1B_jjP12ihipStream_tbEUljE_EEESW_SX_SY_S15_S19_S1B_T6_T7_T9_mT8_S1D_bDpT10_ENKUlT_T0_E_clISt17integral_constantIbLb0EES1Q_EEDaS1L_S1M_EUlS1L_E_NS1_11comp_targetILNS1_3genE5ELNS1_11target_archE942ELNS1_3gpuE9ELNS1_3repE0EEENS1_30default_config_static_selectorELNS0_4arch9wavefront6targetE0EEEvSZ_.kd
    .uniform_work_group_size: 1
    .uses_dynamic_stack: false
    .vgpr_count:     0
    .vgpr_spill_count: 0
    .wavefront_size: 32
    .workgroup_processor_mode: 1
  - .args:
      - .offset:         0
        .size:           144
        .value_kind:     by_value
    .group_segment_fixed_size: 0
    .kernarg_segment_align: 8
    .kernarg_segment_size: 144
    .language:       OpenCL C
    .language_version:
      - 2
      - 0
    .max_flat_workgroup_size: 256
    .name:           _ZN7rocprim17ROCPRIM_400000_NS6detail17trampoline_kernelINS0_13select_configILj256ELj13ELNS0_17block_load_methodE3ELS4_3ELS4_3ELNS0_20block_scan_algorithmE0ELj4294967295EEENS1_25partition_config_selectorILNS1_17partition_subalgoE3EjNS0_10empty_typeEbEEZZNS1_14partition_implILS8_3ELb0ES6_jNS0_17counting_iteratorIjlEEPS9_SE_NS0_5tupleIJPjSE_EEENSF_IJSE_SE_EEES9_SG_JZNS1_25segmented_radix_sort_implINS0_14default_configELb1EPK12hip_bfloat16PSL_PKlPlN2at6native12_GLOBAL__N_18offset_tEEE10hipError_tPvRmT1_PNSt15iterator_traitsISZ_E10value_typeET2_T3_PNS10_IS15_E10value_typeET4_jRbjT5_S1B_jjP12ihipStream_tbEUljE_EEESW_SX_SY_S15_S19_S1B_T6_T7_T9_mT8_S1D_bDpT10_ENKUlT_T0_E_clISt17integral_constantIbLb0EES1Q_EEDaS1L_S1M_EUlS1L_E_NS1_11comp_targetILNS1_3genE4ELNS1_11target_archE910ELNS1_3gpuE8ELNS1_3repE0EEENS1_30default_config_static_selectorELNS0_4arch9wavefront6targetE0EEEvSZ_
    .private_segment_fixed_size: 0
    .sgpr_count:     0
    .sgpr_spill_count: 0
    .symbol:         _ZN7rocprim17ROCPRIM_400000_NS6detail17trampoline_kernelINS0_13select_configILj256ELj13ELNS0_17block_load_methodE3ELS4_3ELS4_3ELNS0_20block_scan_algorithmE0ELj4294967295EEENS1_25partition_config_selectorILNS1_17partition_subalgoE3EjNS0_10empty_typeEbEEZZNS1_14partition_implILS8_3ELb0ES6_jNS0_17counting_iteratorIjlEEPS9_SE_NS0_5tupleIJPjSE_EEENSF_IJSE_SE_EEES9_SG_JZNS1_25segmented_radix_sort_implINS0_14default_configELb1EPK12hip_bfloat16PSL_PKlPlN2at6native12_GLOBAL__N_18offset_tEEE10hipError_tPvRmT1_PNSt15iterator_traitsISZ_E10value_typeET2_T3_PNS10_IS15_E10value_typeET4_jRbjT5_S1B_jjP12ihipStream_tbEUljE_EEESW_SX_SY_S15_S19_S1B_T6_T7_T9_mT8_S1D_bDpT10_ENKUlT_T0_E_clISt17integral_constantIbLb0EES1Q_EEDaS1L_S1M_EUlS1L_E_NS1_11comp_targetILNS1_3genE4ELNS1_11target_archE910ELNS1_3gpuE8ELNS1_3repE0EEENS1_30default_config_static_selectorELNS0_4arch9wavefront6targetE0EEEvSZ_.kd
    .uniform_work_group_size: 1
    .uses_dynamic_stack: false
    .vgpr_count:     0
    .vgpr_spill_count: 0
    .wavefront_size: 32
    .workgroup_processor_mode: 1
  - .args:
      - .offset:         0
        .size:           144
        .value_kind:     by_value
    .group_segment_fixed_size: 0
    .kernarg_segment_align: 8
    .kernarg_segment_size: 144
    .language:       OpenCL C
    .language_version:
      - 2
      - 0
    .max_flat_workgroup_size: 256
    .name:           _ZN7rocprim17ROCPRIM_400000_NS6detail17trampoline_kernelINS0_13select_configILj256ELj13ELNS0_17block_load_methodE3ELS4_3ELS4_3ELNS0_20block_scan_algorithmE0ELj4294967295EEENS1_25partition_config_selectorILNS1_17partition_subalgoE3EjNS0_10empty_typeEbEEZZNS1_14partition_implILS8_3ELb0ES6_jNS0_17counting_iteratorIjlEEPS9_SE_NS0_5tupleIJPjSE_EEENSF_IJSE_SE_EEES9_SG_JZNS1_25segmented_radix_sort_implINS0_14default_configELb1EPK12hip_bfloat16PSL_PKlPlN2at6native12_GLOBAL__N_18offset_tEEE10hipError_tPvRmT1_PNSt15iterator_traitsISZ_E10value_typeET2_T3_PNS10_IS15_E10value_typeET4_jRbjT5_S1B_jjP12ihipStream_tbEUljE_EEESW_SX_SY_S15_S19_S1B_T6_T7_T9_mT8_S1D_bDpT10_ENKUlT_T0_E_clISt17integral_constantIbLb0EES1Q_EEDaS1L_S1M_EUlS1L_E_NS1_11comp_targetILNS1_3genE3ELNS1_11target_archE908ELNS1_3gpuE7ELNS1_3repE0EEENS1_30default_config_static_selectorELNS0_4arch9wavefront6targetE0EEEvSZ_
    .private_segment_fixed_size: 0
    .sgpr_count:     0
    .sgpr_spill_count: 0
    .symbol:         _ZN7rocprim17ROCPRIM_400000_NS6detail17trampoline_kernelINS0_13select_configILj256ELj13ELNS0_17block_load_methodE3ELS4_3ELS4_3ELNS0_20block_scan_algorithmE0ELj4294967295EEENS1_25partition_config_selectorILNS1_17partition_subalgoE3EjNS0_10empty_typeEbEEZZNS1_14partition_implILS8_3ELb0ES6_jNS0_17counting_iteratorIjlEEPS9_SE_NS0_5tupleIJPjSE_EEENSF_IJSE_SE_EEES9_SG_JZNS1_25segmented_radix_sort_implINS0_14default_configELb1EPK12hip_bfloat16PSL_PKlPlN2at6native12_GLOBAL__N_18offset_tEEE10hipError_tPvRmT1_PNSt15iterator_traitsISZ_E10value_typeET2_T3_PNS10_IS15_E10value_typeET4_jRbjT5_S1B_jjP12ihipStream_tbEUljE_EEESW_SX_SY_S15_S19_S1B_T6_T7_T9_mT8_S1D_bDpT10_ENKUlT_T0_E_clISt17integral_constantIbLb0EES1Q_EEDaS1L_S1M_EUlS1L_E_NS1_11comp_targetILNS1_3genE3ELNS1_11target_archE908ELNS1_3gpuE7ELNS1_3repE0EEENS1_30default_config_static_selectorELNS0_4arch9wavefront6targetE0EEEvSZ_.kd
    .uniform_work_group_size: 1
    .uses_dynamic_stack: false
    .vgpr_count:     0
    .vgpr_spill_count: 0
    .wavefront_size: 32
    .workgroup_processor_mode: 1
  - .args:
      - .offset:         0
        .size:           144
        .value_kind:     by_value
    .group_segment_fixed_size: 0
    .kernarg_segment_align: 8
    .kernarg_segment_size: 144
    .language:       OpenCL C
    .language_version:
      - 2
      - 0
    .max_flat_workgroup_size: 256
    .name:           _ZN7rocprim17ROCPRIM_400000_NS6detail17trampoline_kernelINS0_13select_configILj256ELj13ELNS0_17block_load_methodE3ELS4_3ELS4_3ELNS0_20block_scan_algorithmE0ELj4294967295EEENS1_25partition_config_selectorILNS1_17partition_subalgoE3EjNS0_10empty_typeEbEEZZNS1_14partition_implILS8_3ELb0ES6_jNS0_17counting_iteratorIjlEEPS9_SE_NS0_5tupleIJPjSE_EEENSF_IJSE_SE_EEES9_SG_JZNS1_25segmented_radix_sort_implINS0_14default_configELb1EPK12hip_bfloat16PSL_PKlPlN2at6native12_GLOBAL__N_18offset_tEEE10hipError_tPvRmT1_PNSt15iterator_traitsISZ_E10value_typeET2_T3_PNS10_IS15_E10value_typeET4_jRbjT5_S1B_jjP12ihipStream_tbEUljE_EEESW_SX_SY_S15_S19_S1B_T6_T7_T9_mT8_S1D_bDpT10_ENKUlT_T0_E_clISt17integral_constantIbLb0EES1Q_EEDaS1L_S1M_EUlS1L_E_NS1_11comp_targetILNS1_3genE2ELNS1_11target_archE906ELNS1_3gpuE6ELNS1_3repE0EEENS1_30default_config_static_selectorELNS0_4arch9wavefront6targetE0EEEvSZ_
    .private_segment_fixed_size: 0
    .sgpr_count:     0
    .sgpr_spill_count: 0
    .symbol:         _ZN7rocprim17ROCPRIM_400000_NS6detail17trampoline_kernelINS0_13select_configILj256ELj13ELNS0_17block_load_methodE3ELS4_3ELS4_3ELNS0_20block_scan_algorithmE0ELj4294967295EEENS1_25partition_config_selectorILNS1_17partition_subalgoE3EjNS0_10empty_typeEbEEZZNS1_14partition_implILS8_3ELb0ES6_jNS0_17counting_iteratorIjlEEPS9_SE_NS0_5tupleIJPjSE_EEENSF_IJSE_SE_EEES9_SG_JZNS1_25segmented_radix_sort_implINS0_14default_configELb1EPK12hip_bfloat16PSL_PKlPlN2at6native12_GLOBAL__N_18offset_tEEE10hipError_tPvRmT1_PNSt15iterator_traitsISZ_E10value_typeET2_T3_PNS10_IS15_E10value_typeET4_jRbjT5_S1B_jjP12ihipStream_tbEUljE_EEESW_SX_SY_S15_S19_S1B_T6_T7_T9_mT8_S1D_bDpT10_ENKUlT_T0_E_clISt17integral_constantIbLb0EES1Q_EEDaS1L_S1M_EUlS1L_E_NS1_11comp_targetILNS1_3genE2ELNS1_11target_archE906ELNS1_3gpuE6ELNS1_3repE0EEENS1_30default_config_static_selectorELNS0_4arch9wavefront6targetE0EEEvSZ_.kd
    .uniform_work_group_size: 1
    .uses_dynamic_stack: false
    .vgpr_count:     0
    .vgpr_spill_count: 0
    .wavefront_size: 32
    .workgroup_processor_mode: 1
  - .args:
      - .offset:         0
        .size:           144
        .value_kind:     by_value
    .group_segment_fixed_size: 13320
    .kernarg_segment_align: 8
    .kernarg_segment_size: 144
    .language:       OpenCL C
    .language_version:
      - 2
      - 0
    .max_flat_workgroup_size: 256
    .name:           _ZN7rocprim17ROCPRIM_400000_NS6detail17trampoline_kernelINS0_13select_configILj256ELj13ELNS0_17block_load_methodE3ELS4_3ELS4_3ELNS0_20block_scan_algorithmE0ELj4294967295EEENS1_25partition_config_selectorILNS1_17partition_subalgoE3EjNS0_10empty_typeEbEEZZNS1_14partition_implILS8_3ELb0ES6_jNS0_17counting_iteratorIjlEEPS9_SE_NS0_5tupleIJPjSE_EEENSF_IJSE_SE_EEES9_SG_JZNS1_25segmented_radix_sort_implINS0_14default_configELb1EPK12hip_bfloat16PSL_PKlPlN2at6native12_GLOBAL__N_18offset_tEEE10hipError_tPvRmT1_PNSt15iterator_traitsISZ_E10value_typeET2_T3_PNS10_IS15_E10value_typeET4_jRbjT5_S1B_jjP12ihipStream_tbEUljE_EEESW_SX_SY_S15_S19_S1B_T6_T7_T9_mT8_S1D_bDpT10_ENKUlT_T0_E_clISt17integral_constantIbLb0EES1Q_EEDaS1L_S1M_EUlS1L_E_NS1_11comp_targetILNS1_3genE10ELNS1_11target_archE1200ELNS1_3gpuE4ELNS1_3repE0EEENS1_30default_config_static_selectorELNS0_4arch9wavefront6targetE0EEEvSZ_
    .private_segment_fixed_size: 0
    .sgpr_count:     28
    .sgpr_spill_count: 0
    .symbol:         _ZN7rocprim17ROCPRIM_400000_NS6detail17trampoline_kernelINS0_13select_configILj256ELj13ELNS0_17block_load_methodE3ELS4_3ELS4_3ELNS0_20block_scan_algorithmE0ELj4294967295EEENS1_25partition_config_selectorILNS1_17partition_subalgoE3EjNS0_10empty_typeEbEEZZNS1_14partition_implILS8_3ELb0ES6_jNS0_17counting_iteratorIjlEEPS9_SE_NS0_5tupleIJPjSE_EEENSF_IJSE_SE_EEES9_SG_JZNS1_25segmented_radix_sort_implINS0_14default_configELb1EPK12hip_bfloat16PSL_PKlPlN2at6native12_GLOBAL__N_18offset_tEEE10hipError_tPvRmT1_PNSt15iterator_traitsISZ_E10value_typeET2_T3_PNS10_IS15_E10value_typeET4_jRbjT5_S1B_jjP12ihipStream_tbEUljE_EEESW_SX_SY_S15_S19_S1B_T6_T7_T9_mT8_S1D_bDpT10_ENKUlT_T0_E_clISt17integral_constantIbLb0EES1Q_EEDaS1L_S1M_EUlS1L_E_NS1_11comp_targetILNS1_3genE10ELNS1_11target_archE1200ELNS1_3gpuE4ELNS1_3repE0EEENS1_30default_config_static_selectorELNS0_4arch9wavefront6targetE0EEEvSZ_.kd
    .uniform_work_group_size: 1
    .uses_dynamic_stack: false
    .vgpr_count:     69
    .vgpr_spill_count: 0
    .wavefront_size: 32
    .workgroup_processor_mode: 1
  - .args:
      - .offset:         0
        .size:           144
        .value_kind:     by_value
    .group_segment_fixed_size: 0
    .kernarg_segment_align: 8
    .kernarg_segment_size: 144
    .language:       OpenCL C
    .language_version:
      - 2
      - 0
    .max_flat_workgroup_size: 256
    .name:           _ZN7rocprim17ROCPRIM_400000_NS6detail17trampoline_kernelINS0_13select_configILj256ELj13ELNS0_17block_load_methodE3ELS4_3ELS4_3ELNS0_20block_scan_algorithmE0ELj4294967295EEENS1_25partition_config_selectorILNS1_17partition_subalgoE3EjNS0_10empty_typeEbEEZZNS1_14partition_implILS8_3ELb0ES6_jNS0_17counting_iteratorIjlEEPS9_SE_NS0_5tupleIJPjSE_EEENSF_IJSE_SE_EEES9_SG_JZNS1_25segmented_radix_sort_implINS0_14default_configELb1EPK12hip_bfloat16PSL_PKlPlN2at6native12_GLOBAL__N_18offset_tEEE10hipError_tPvRmT1_PNSt15iterator_traitsISZ_E10value_typeET2_T3_PNS10_IS15_E10value_typeET4_jRbjT5_S1B_jjP12ihipStream_tbEUljE_EEESW_SX_SY_S15_S19_S1B_T6_T7_T9_mT8_S1D_bDpT10_ENKUlT_T0_E_clISt17integral_constantIbLb0EES1Q_EEDaS1L_S1M_EUlS1L_E_NS1_11comp_targetILNS1_3genE9ELNS1_11target_archE1100ELNS1_3gpuE3ELNS1_3repE0EEENS1_30default_config_static_selectorELNS0_4arch9wavefront6targetE0EEEvSZ_
    .private_segment_fixed_size: 0
    .sgpr_count:     0
    .sgpr_spill_count: 0
    .symbol:         _ZN7rocprim17ROCPRIM_400000_NS6detail17trampoline_kernelINS0_13select_configILj256ELj13ELNS0_17block_load_methodE3ELS4_3ELS4_3ELNS0_20block_scan_algorithmE0ELj4294967295EEENS1_25partition_config_selectorILNS1_17partition_subalgoE3EjNS0_10empty_typeEbEEZZNS1_14partition_implILS8_3ELb0ES6_jNS0_17counting_iteratorIjlEEPS9_SE_NS0_5tupleIJPjSE_EEENSF_IJSE_SE_EEES9_SG_JZNS1_25segmented_radix_sort_implINS0_14default_configELb1EPK12hip_bfloat16PSL_PKlPlN2at6native12_GLOBAL__N_18offset_tEEE10hipError_tPvRmT1_PNSt15iterator_traitsISZ_E10value_typeET2_T3_PNS10_IS15_E10value_typeET4_jRbjT5_S1B_jjP12ihipStream_tbEUljE_EEESW_SX_SY_S15_S19_S1B_T6_T7_T9_mT8_S1D_bDpT10_ENKUlT_T0_E_clISt17integral_constantIbLb0EES1Q_EEDaS1L_S1M_EUlS1L_E_NS1_11comp_targetILNS1_3genE9ELNS1_11target_archE1100ELNS1_3gpuE3ELNS1_3repE0EEENS1_30default_config_static_selectorELNS0_4arch9wavefront6targetE0EEEvSZ_.kd
    .uniform_work_group_size: 1
    .uses_dynamic_stack: false
    .vgpr_count:     0
    .vgpr_spill_count: 0
    .wavefront_size: 32
    .workgroup_processor_mode: 1
  - .args:
      - .offset:         0
        .size:           144
        .value_kind:     by_value
    .group_segment_fixed_size: 0
    .kernarg_segment_align: 8
    .kernarg_segment_size: 144
    .language:       OpenCL C
    .language_version:
      - 2
      - 0
    .max_flat_workgroup_size: 256
    .name:           _ZN7rocprim17ROCPRIM_400000_NS6detail17trampoline_kernelINS0_13select_configILj256ELj13ELNS0_17block_load_methodE3ELS4_3ELS4_3ELNS0_20block_scan_algorithmE0ELj4294967295EEENS1_25partition_config_selectorILNS1_17partition_subalgoE3EjNS0_10empty_typeEbEEZZNS1_14partition_implILS8_3ELb0ES6_jNS0_17counting_iteratorIjlEEPS9_SE_NS0_5tupleIJPjSE_EEENSF_IJSE_SE_EEES9_SG_JZNS1_25segmented_radix_sort_implINS0_14default_configELb1EPK12hip_bfloat16PSL_PKlPlN2at6native12_GLOBAL__N_18offset_tEEE10hipError_tPvRmT1_PNSt15iterator_traitsISZ_E10value_typeET2_T3_PNS10_IS15_E10value_typeET4_jRbjT5_S1B_jjP12ihipStream_tbEUljE_EEESW_SX_SY_S15_S19_S1B_T6_T7_T9_mT8_S1D_bDpT10_ENKUlT_T0_E_clISt17integral_constantIbLb0EES1Q_EEDaS1L_S1M_EUlS1L_E_NS1_11comp_targetILNS1_3genE8ELNS1_11target_archE1030ELNS1_3gpuE2ELNS1_3repE0EEENS1_30default_config_static_selectorELNS0_4arch9wavefront6targetE0EEEvSZ_
    .private_segment_fixed_size: 0
    .sgpr_count:     0
    .sgpr_spill_count: 0
    .symbol:         _ZN7rocprim17ROCPRIM_400000_NS6detail17trampoline_kernelINS0_13select_configILj256ELj13ELNS0_17block_load_methodE3ELS4_3ELS4_3ELNS0_20block_scan_algorithmE0ELj4294967295EEENS1_25partition_config_selectorILNS1_17partition_subalgoE3EjNS0_10empty_typeEbEEZZNS1_14partition_implILS8_3ELb0ES6_jNS0_17counting_iteratorIjlEEPS9_SE_NS0_5tupleIJPjSE_EEENSF_IJSE_SE_EEES9_SG_JZNS1_25segmented_radix_sort_implINS0_14default_configELb1EPK12hip_bfloat16PSL_PKlPlN2at6native12_GLOBAL__N_18offset_tEEE10hipError_tPvRmT1_PNSt15iterator_traitsISZ_E10value_typeET2_T3_PNS10_IS15_E10value_typeET4_jRbjT5_S1B_jjP12ihipStream_tbEUljE_EEESW_SX_SY_S15_S19_S1B_T6_T7_T9_mT8_S1D_bDpT10_ENKUlT_T0_E_clISt17integral_constantIbLb0EES1Q_EEDaS1L_S1M_EUlS1L_E_NS1_11comp_targetILNS1_3genE8ELNS1_11target_archE1030ELNS1_3gpuE2ELNS1_3repE0EEENS1_30default_config_static_selectorELNS0_4arch9wavefront6targetE0EEEvSZ_.kd
    .uniform_work_group_size: 1
    .uses_dynamic_stack: false
    .vgpr_count:     0
    .vgpr_spill_count: 0
    .wavefront_size: 32
    .workgroup_processor_mode: 1
  - .args:
      - .offset:         0
        .size:           152
        .value_kind:     by_value
    .group_segment_fixed_size: 0
    .kernarg_segment_align: 8
    .kernarg_segment_size: 152
    .language:       OpenCL C
    .language_version:
      - 2
      - 0
    .max_flat_workgroup_size: 256
    .name:           _ZN7rocprim17ROCPRIM_400000_NS6detail17trampoline_kernelINS0_13select_configILj256ELj13ELNS0_17block_load_methodE3ELS4_3ELS4_3ELNS0_20block_scan_algorithmE0ELj4294967295EEENS1_25partition_config_selectorILNS1_17partition_subalgoE3EjNS0_10empty_typeEbEEZZNS1_14partition_implILS8_3ELb0ES6_jNS0_17counting_iteratorIjlEEPS9_SE_NS0_5tupleIJPjSE_EEENSF_IJSE_SE_EEES9_SG_JZNS1_25segmented_radix_sort_implINS0_14default_configELb1EPK12hip_bfloat16PSL_PKlPlN2at6native12_GLOBAL__N_18offset_tEEE10hipError_tPvRmT1_PNSt15iterator_traitsISZ_E10value_typeET2_T3_PNS10_IS15_E10value_typeET4_jRbjT5_S1B_jjP12ihipStream_tbEUljE_EEESW_SX_SY_S15_S19_S1B_T6_T7_T9_mT8_S1D_bDpT10_ENKUlT_T0_E_clISt17integral_constantIbLb1EES1Q_EEDaS1L_S1M_EUlS1L_E_NS1_11comp_targetILNS1_3genE0ELNS1_11target_archE4294967295ELNS1_3gpuE0ELNS1_3repE0EEENS1_30default_config_static_selectorELNS0_4arch9wavefront6targetE0EEEvSZ_
    .private_segment_fixed_size: 0
    .sgpr_count:     0
    .sgpr_spill_count: 0
    .symbol:         _ZN7rocprim17ROCPRIM_400000_NS6detail17trampoline_kernelINS0_13select_configILj256ELj13ELNS0_17block_load_methodE3ELS4_3ELS4_3ELNS0_20block_scan_algorithmE0ELj4294967295EEENS1_25partition_config_selectorILNS1_17partition_subalgoE3EjNS0_10empty_typeEbEEZZNS1_14partition_implILS8_3ELb0ES6_jNS0_17counting_iteratorIjlEEPS9_SE_NS0_5tupleIJPjSE_EEENSF_IJSE_SE_EEES9_SG_JZNS1_25segmented_radix_sort_implINS0_14default_configELb1EPK12hip_bfloat16PSL_PKlPlN2at6native12_GLOBAL__N_18offset_tEEE10hipError_tPvRmT1_PNSt15iterator_traitsISZ_E10value_typeET2_T3_PNS10_IS15_E10value_typeET4_jRbjT5_S1B_jjP12ihipStream_tbEUljE_EEESW_SX_SY_S15_S19_S1B_T6_T7_T9_mT8_S1D_bDpT10_ENKUlT_T0_E_clISt17integral_constantIbLb1EES1Q_EEDaS1L_S1M_EUlS1L_E_NS1_11comp_targetILNS1_3genE0ELNS1_11target_archE4294967295ELNS1_3gpuE0ELNS1_3repE0EEENS1_30default_config_static_selectorELNS0_4arch9wavefront6targetE0EEEvSZ_.kd
    .uniform_work_group_size: 1
    .uses_dynamic_stack: false
    .vgpr_count:     0
    .vgpr_spill_count: 0
    .wavefront_size: 32
    .workgroup_processor_mode: 1
  - .args:
      - .offset:         0
        .size:           152
        .value_kind:     by_value
    .group_segment_fixed_size: 0
    .kernarg_segment_align: 8
    .kernarg_segment_size: 152
    .language:       OpenCL C
    .language_version:
      - 2
      - 0
    .max_flat_workgroup_size: 256
    .name:           _ZN7rocprim17ROCPRIM_400000_NS6detail17trampoline_kernelINS0_13select_configILj256ELj13ELNS0_17block_load_methodE3ELS4_3ELS4_3ELNS0_20block_scan_algorithmE0ELj4294967295EEENS1_25partition_config_selectorILNS1_17partition_subalgoE3EjNS0_10empty_typeEbEEZZNS1_14partition_implILS8_3ELb0ES6_jNS0_17counting_iteratorIjlEEPS9_SE_NS0_5tupleIJPjSE_EEENSF_IJSE_SE_EEES9_SG_JZNS1_25segmented_radix_sort_implINS0_14default_configELb1EPK12hip_bfloat16PSL_PKlPlN2at6native12_GLOBAL__N_18offset_tEEE10hipError_tPvRmT1_PNSt15iterator_traitsISZ_E10value_typeET2_T3_PNS10_IS15_E10value_typeET4_jRbjT5_S1B_jjP12ihipStream_tbEUljE_EEESW_SX_SY_S15_S19_S1B_T6_T7_T9_mT8_S1D_bDpT10_ENKUlT_T0_E_clISt17integral_constantIbLb1EES1Q_EEDaS1L_S1M_EUlS1L_E_NS1_11comp_targetILNS1_3genE5ELNS1_11target_archE942ELNS1_3gpuE9ELNS1_3repE0EEENS1_30default_config_static_selectorELNS0_4arch9wavefront6targetE0EEEvSZ_
    .private_segment_fixed_size: 0
    .sgpr_count:     0
    .sgpr_spill_count: 0
    .symbol:         _ZN7rocprim17ROCPRIM_400000_NS6detail17trampoline_kernelINS0_13select_configILj256ELj13ELNS0_17block_load_methodE3ELS4_3ELS4_3ELNS0_20block_scan_algorithmE0ELj4294967295EEENS1_25partition_config_selectorILNS1_17partition_subalgoE3EjNS0_10empty_typeEbEEZZNS1_14partition_implILS8_3ELb0ES6_jNS0_17counting_iteratorIjlEEPS9_SE_NS0_5tupleIJPjSE_EEENSF_IJSE_SE_EEES9_SG_JZNS1_25segmented_radix_sort_implINS0_14default_configELb1EPK12hip_bfloat16PSL_PKlPlN2at6native12_GLOBAL__N_18offset_tEEE10hipError_tPvRmT1_PNSt15iterator_traitsISZ_E10value_typeET2_T3_PNS10_IS15_E10value_typeET4_jRbjT5_S1B_jjP12ihipStream_tbEUljE_EEESW_SX_SY_S15_S19_S1B_T6_T7_T9_mT8_S1D_bDpT10_ENKUlT_T0_E_clISt17integral_constantIbLb1EES1Q_EEDaS1L_S1M_EUlS1L_E_NS1_11comp_targetILNS1_3genE5ELNS1_11target_archE942ELNS1_3gpuE9ELNS1_3repE0EEENS1_30default_config_static_selectorELNS0_4arch9wavefront6targetE0EEEvSZ_.kd
    .uniform_work_group_size: 1
    .uses_dynamic_stack: false
    .vgpr_count:     0
    .vgpr_spill_count: 0
    .wavefront_size: 32
    .workgroup_processor_mode: 1
  - .args:
      - .offset:         0
        .size:           152
        .value_kind:     by_value
    .group_segment_fixed_size: 0
    .kernarg_segment_align: 8
    .kernarg_segment_size: 152
    .language:       OpenCL C
    .language_version:
      - 2
      - 0
    .max_flat_workgroup_size: 256
    .name:           _ZN7rocprim17ROCPRIM_400000_NS6detail17trampoline_kernelINS0_13select_configILj256ELj13ELNS0_17block_load_methodE3ELS4_3ELS4_3ELNS0_20block_scan_algorithmE0ELj4294967295EEENS1_25partition_config_selectorILNS1_17partition_subalgoE3EjNS0_10empty_typeEbEEZZNS1_14partition_implILS8_3ELb0ES6_jNS0_17counting_iteratorIjlEEPS9_SE_NS0_5tupleIJPjSE_EEENSF_IJSE_SE_EEES9_SG_JZNS1_25segmented_radix_sort_implINS0_14default_configELb1EPK12hip_bfloat16PSL_PKlPlN2at6native12_GLOBAL__N_18offset_tEEE10hipError_tPvRmT1_PNSt15iterator_traitsISZ_E10value_typeET2_T3_PNS10_IS15_E10value_typeET4_jRbjT5_S1B_jjP12ihipStream_tbEUljE_EEESW_SX_SY_S15_S19_S1B_T6_T7_T9_mT8_S1D_bDpT10_ENKUlT_T0_E_clISt17integral_constantIbLb1EES1Q_EEDaS1L_S1M_EUlS1L_E_NS1_11comp_targetILNS1_3genE4ELNS1_11target_archE910ELNS1_3gpuE8ELNS1_3repE0EEENS1_30default_config_static_selectorELNS0_4arch9wavefront6targetE0EEEvSZ_
    .private_segment_fixed_size: 0
    .sgpr_count:     0
    .sgpr_spill_count: 0
    .symbol:         _ZN7rocprim17ROCPRIM_400000_NS6detail17trampoline_kernelINS0_13select_configILj256ELj13ELNS0_17block_load_methodE3ELS4_3ELS4_3ELNS0_20block_scan_algorithmE0ELj4294967295EEENS1_25partition_config_selectorILNS1_17partition_subalgoE3EjNS0_10empty_typeEbEEZZNS1_14partition_implILS8_3ELb0ES6_jNS0_17counting_iteratorIjlEEPS9_SE_NS0_5tupleIJPjSE_EEENSF_IJSE_SE_EEES9_SG_JZNS1_25segmented_radix_sort_implINS0_14default_configELb1EPK12hip_bfloat16PSL_PKlPlN2at6native12_GLOBAL__N_18offset_tEEE10hipError_tPvRmT1_PNSt15iterator_traitsISZ_E10value_typeET2_T3_PNS10_IS15_E10value_typeET4_jRbjT5_S1B_jjP12ihipStream_tbEUljE_EEESW_SX_SY_S15_S19_S1B_T6_T7_T9_mT8_S1D_bDpT10_ENKUlT_T0_E_clISt17integral_constantIbLb1EES1Q_EEDaS1L_S1M_EUlS1L_E_NS1_11comp_targetILNS1_3genE4ELNS1_11target_archE910ELNS1_3gpuE8ELNS1_3repE0EEENS1_30default_config_static_selectorELNS0_4arch9wavefront6targetE0EEEvSZ_.kd
    .uniform_work_group_size: 1
    .uses_dynamic_stack: false
    .vgpr_count:     0
    .vgpr_spill_count: 0
    .wavefront_size: 32
    .workgroup_processor_mode: 1
  - .args:
      - .offset:         0
        .size:           152
        .value_kind:     by_value
    .group_segment_fixed_size: 0
    .kernarg_segment_align: 8
    .kernarg_segment_size: 152
    .language:       OpenCL C
    .language_version:
      - 2
      - 0
    .max_flat_workgroup_size: 256
    .name:           _ZN7rocprim17ROCPRIM_400000_NS6detail17trampoline_kernelINS0_13select_configILj256ELj13ELNS0_17block_load_methodE3ELS4_3ELS4_3ELNS0_20block_scan_algorithmE0ELj4294967295EEENS1_25partition_config_selectorILNS1_17partition_subalgoE3EjNS0_10empty_typeEbEEZZNS1_14partition_implILS8_3ELb0ES6_jNS0_17counting_iteratorIjlEEPS9_SE_NS0_5tupleIJPjSE_EEENSF_IJSE_SE_EEES9_SG_JZNS1_25segmented_radix_sort_implINS0_14default_configELb1EPK12hip_bfloat16PSL_PKlPlN2at6native12_GLOBAL__N_18offset_tEEE10hipError_tPvRmT1_PNSt15iterator_traitsISZ_E10value_typeET2_T3_PNS10_IS15_E10value_typeET4_jRbjT5_S1B_jjP12ihipStream_tbEUljE_EEESW_SX_SY_S15_S19_S1B_T6_T7_T9_mT8_S1D_bDpT10_ENKUlT_T0_E_clISt17integral_constantIbLb1EES1Q_EEDaS1L_S1M_EUlS1L_E_NS1_11comp_targetILNS1_3genE3ELNS1_11target_archE908ELNS1_3gpuE7ELNS1_3repE0EEENS1_30default_config_static_selectorELNS0_4arch9wavefront6targetE0EEEvSZ_
    .private_segment_fixed_size: 0
    .sgpr_count:     0
    .sgpr_spill_count: 0
    .symbol:         _ZN7rocprim17ROCPRIM_400000_NS6detail17trampoline_kernelINS0_13select_configILj256ELj13ELNS0_17block_load_methodE3ELS4_3ELS4_3ELNS0_20block_scan_algorithmE0ELj4294967295EEENS1_25partition_config_selectorILNS1_17partition_subalgoE3EjNS0_10empty_typeEbEEZZNS1_14partition_implILS8_3ELb0ES6_jNS0_17counting_iteratorIjlEEPS9_SE_NS0_5tupleIJPjSE_EEENSF_IJSE_SE_EEES9_SG_JZNS1_25segmented_radix_sort_implINS0_14default_configELb1EPK12hip_bfloat16PSL_PKlPlN2at6native12_GLOBAL__N_18offset_tEEE10hipError_tPvRmT1_PNSt15iterator_traitsISZ_E10value_typeET2_T3_PNS10_IS15_E10value_typeET4_jRbjT5_S1B_jjP12ihipStream_tbEUljE_EEESW_SX_SY_S15_S19_S1B_T6_T7_T9_mT8_S1D_bDpT10_ENKUlT_T0_E_clISt17integral_constantIbLb1EES1Q_EEDaS1L_S1M_EUlS1L_E_NS1_11comp_targetILNS1_3genE3ELNS1_11target_archE908ELNS1_3gpuE7ELNS1_3repE0EEENS1_30default_config_static_selectorELNS0_4arch9wavefront6targetE0EEEvSZ_.kd
    .uniform_work_group_size: 1
    .uses_dynamic_stack: false
    .vgpr_count:     0
    .vgpr_spill_count: 0
    .wavefront_size: 32
    .workgroup_processor_mode: 1
  - .args:
      - .offset:         0
        .size:           152
        .value_kind:     by_value
    .group_segment_fixed_size: 0
    .kernarg_segment_align: 8
    .kernarg_segment_size: 152
    .language:       OpenCL C
    .language_version:
      - 2
      - 0
    .max_flat_workgroup_size: 256
    .name:           _ZN7rocprim17ROCPRIM_400000_NS6detail17trampoline_kernelINS0_13select_configILj256ELj13ELNS0_17block_load_methodE3ELS4_3ELS4_3ELNS0_20block_scan_algorithmE0ELj4294967295EEENS1_25partition_config_selectorILNS1_17partition_subalgoE3EjNS0_10empty_typeEbEEZZNS1_14partition_implILS8_3ELb0ES6_jNS0_17counting_iteratorIjlEEPS9_SE_NS0_5tupleIJPjSE_EEENSF_IJSE_SE_EEES9_SG_JZNS1_25segmented_radix_sort_implINS0_14default_configELb1EPK12hip_bfloat16PSL_PKlPlN2at6native12_GLOBAL__N_18offset_tEEE10hipError_tPvRmT1_PNSt15iterator_traitsISZ_E10value_typeET2_T3_PNS10_IS15_E10value_typeET4_jRbjT5_S1B_jjP12ihipStream_tbEUljE_EEESW_SX_SY_S15_S19_S1B_T6_T7_T9_mT8_S1D_bDpT10_ENKUlT_T0_E_clISt17integral_constantIbLb1EES1Q_EEDaS1L_S1M_EUlS1L_E_NS1_11comp_targetILNS1_3genE2ELNS1_11target_archE906ELNS1_3gpuE6ELNS1_3repE0EEENS1_30default_config_static_selectorELNS0_4arch9wavefront6targetE0EEEvSZ_
    .private_segment_fixed_size: 0
    .sgpr_count:     0
    .sgpr_spill_count: 0
    .symbol:         _ZN7rocprim17ROCPRIM_400000_NS6detail17trampoline_kernelINS0_13select_configILj256ELj13ELNS0_17block_load_methodE3ELS4_3ELS4_3ELNS0_20block_scan_algorithmE0ELj4294967295EEENS1_25partition_config_selectorILNS1_17partition_subalgoE3EjNS0_10empty_typeEbEEZZNS1_14partition_implILS8_3ELb0ES6_jNS0_17counting_iteratorIjlEEPS9_SE_NS0_5tupleIJPjSE_EEENSF_IJSE_SE_EEES9_SG_JZNS1_25segmented_radix_sort_implINS0_14default_configELb1EPK12hip_bfloat16PSL_PKlPlN2at6native12_GLOBAL__N_18offset_tEEE10hipError_tPvRmT1_PNSt15iterator_traitsISZ_E10value_typeET2_T3_PNS10_IS15_E10value_typeET4_jRbjT5_S1B_jjP12ihipStream_tbEUljE_EEESW_SX_SY_S15_S19_S1B_T6_T7_T9_mT8_S1D_bDpT10_ENKUlT_T0_E_clISt17integral_constantIbLb1EES1Q_EEDaS1L_S1M_EUlS1L_E_NS1_11comp_targetILNS1_3genE2ELNS1_11target_archE906ELNS1_3gpuE6ELNS1_3repE0EEENS1_30default_config_static_selectorELNS0_4arch9wavefront6targetE0EEEvSZ_.kd
    .uniform_work_group_size: 1
    .uses_dynamic_stack: false
    .vgpr_count:     0
    .vgpr_spill_count: 0
    .wavefront_size: 32
    .workgroup_processor_mode: 1
  - .args:
      - .offset:         0
        .size:           152
        .value_kind:     by_value
    .group_segment_fixed_size: 0
    .kernarg_segment_align: 8
    .kernarg_segment_size: 152
    .language:       OpenCL C
    .language_version:
      - 2
      - 0
    .max_flat_workgroup_size: 256
    .name:           _ZN7rocprim17ROCPRIM_400000_NS6detail17trampoline_kernelINS0_13select_configILj256ELj13ELNS0_17block_load_methodE3ELS4_3ELS4_3ELNS0_20block_scan_algorithmE0ELj4294967295EEENS1_25partition_config_selectorILNS1_17partition_subalgoE3EjNS0_10empty_typeEbEEZZNS1_14partition_implILS8_3ELb0ES6_jNS0_17counting_iteratorIjlEEPS9_SE_NS0_5tupleIJPjSE_EEENSF_IJSE_SE_EEES9_SG_JZNS1_25segmented_radix_sort_implINS0_14default_configELb1EPK12hip_bfloat16PSL_PKlPlN2at6native12_GLOBAL__N_18offset_tEEE10hipError_tPvRmT1_PNSt15iterator_traitsISZ_E10value_typeET2_T3_PNS10_IS15_E10value_typeET4_jRbjT5_S1B_jjP12ihipStream_tbEUljE_EEESW_SX_SY_S15_S19_S1B_T6_T7_T9_mT8_S1D_bDpT10_ENKUlT_T0_E_clISt17integral_constantIbLb1EES1Q_EEDaS1L_S1M_EUlS1L_E_NS1_11comp_targetILNS1_3genE10ELNS1_11target_archE1200ELNS1_3gpuE4ELNS1_3repE0EEENS1_30default_config_static_selectorELNS0_4arch9wavefront6targetE0EEEvSZ_
    .private_segment_fixed_size: 0
    .sgpr_count:     0
    .sgpr_spill_count: 0
    .symbol:         _ZN7rocprim17ROCPRIM_400000_NS6detail17trampoline_kernelINS0_13select_configILj256ELj13ELNS0_17block_load_methodE3ELS4_3ELS4_3ELNS0_20block_scan_algorithmE0ELj4294967295EEENS1_25partition_config_selectorILNS1_17partition_subalgoE3EjNS0_10empty_typeEbEEZZNS1_14partition_implILS8_3ELb0ES6_jNS0_17counting_iteratorIjlEEPS9_SE_NS0_5tupleIJPjSE_EEENSF_IJSE_SE_EEES9_SG_JZNS1_25segmented_radix_sort_implINS0_14default_configELb1EPK12hip_bfloat16PSL_PKlPlN2at6native12_GLOBAL__N_18offset_tEEE10hipError_tPvRmT1_PNSt15iterator_traitsISZ_E10value_typeET2_T3_PNS10_IS15_E10value_typeET4_jRbjT5_S1B_jjP12ihipStream_tbEUljE_EEESW_SX_SY_S15_S19_S1B_T6_T7_T9_mT8_S1D_bDpT10_ENKUlT_T0_E_clISt17integral_constantIbLb1EES1Q_EEDaS1L_S1M_EUlS1L_E_NS1_11comp_targetILNS1_3genE10ELNS1_11target_archE1200ELNS1_3gpuE4ELNS1_3repE0EEENS1_30default_config_static_selectorELNS0_4arch9wavefront6targetE0EEEvSZ_.kd
    .uniform_work_group_size: 1
    .uses_dynamic_stack: false
    .vgpr_count:     0
    .vgpr_spill_count: 0
    .wavefront_size: 32
    .workgroup_processor_mode: 1
  - .args:
      - .offset:         0
        .size:           152
        .value_kind:     by_value
    .group_segment_fixed_size: 0
    .kernarg_segment_align: 8
    .kernarg_segment_size: 152
    .language:       OpenCL C
    .language_version:
      - 2
      - 0
    .max_flat_workgroup_size: 256
    .name:           _ZN7rocprim17ROCPRIM_400000_NS6detail17trampoline_kernelINS0_13select_configILj256ELj13ELNS0_17block_load_methodE3ELS4_3ELS4_3ELNS0_20block_scan_algorithmE0ELj4294967295EEENS1_25partition_config_selectorILNS1_17partition_subalgoE3EjNS0_10empty_typeEbEEZZNS1_14partition_implILS8_3ELb0ES6_jNS0_17counting_iteratorIjlEEPS9_SE_NS0_5tupleIJPjSE_EEENSF_IJSE_SE_EEES9_SG_JZNS1_25segmented_radix_sort_implINS0_14default_configELb1EPK12hip_bfloat16PSL_PKlPlN2at6native12_GLOBAL__N_18offset_tEEE10hipError_tPvRmT1_PNSt15iterator_traitsISZ_E10value_typeET2_T3_PNS10_IS15_E10value_typeET4_jRbjT5_S1B_jjP12ihipStream_tbEUljE_EEESW_SX_SY_S15_S19_S1B_T6_T7_T9_mT8_S1D_bDpT10_ENKUlT_T0_E_clISt17integral_constantIbLb1EES1Q_EEDaS1L_S1M_EUlS1L_E_NS1_11comp_targetILNS1_3genE9ELNS1_11target_archE1100ELNS1_3gpuE3ELNS1_3repE0EEENS1_30default_config_static_selectorELNS0_4arch9wavefront6targetE0EEEvSZ_
    .private_segment_fixed_size: 0
    .sgpr_count:     0
    .sgpr_spill_count: 0
    .symbol:         _ZN7rocprim17ROCPRIM_400000_NS6detail17trampoline_kernelINS0_13select_configILj256ELj13ELNS0_17block_load_methodE3ELS4_3ELS4_3ELNS0_20block_scan_algorithmE0ELj4294967295EEENS1_25partition_config_selectorILNS1_17partition_subalgoE3EjNS0_10empty_typeEbEEZZNS1_14partition_implILS8_3ELb0ES6_jNS0_17counting_iteratorIjlEEPS9_SE_NS0_5tupleIJPjSE_EEENSF_IJSE_SE_EEES9_SG_JZNS1_25segmented_radix_sort_implINS0_14default_configELb1EPK12hip_bfloat16PSL_PKlPlN2at6native12_GLOBAL__N_18offset_tEEE10hipError_tPvRmT1_PNSt15iterator_traitsISZ_E10value_typeET2_T3_PNS10_IS15_E10value_typeET4_jRbjT5_S1B_jjP12ihipStream_tbEUljE_EEESW_SX_SY_S15_S19_S1B_T6_T7_T9_mT8_S1D_bDpT10_ENKUlT_T0_E_clISt17integral_constantIbLb1EES1Q_EEDaS1L_S1M_EUlS1L_E_NS1_11comp_targetILNS1_3genE9ELNS1_11target_archE1100ELNS1_3gpuE3ELNS1_3repE0EEENS1_30default_config_static_selectorELNS0_4arch9wavefront6targetE0EEEvSZ_.kd
    .uniform_work_group_size: 1
    .uses_dynamic_stack: false
    .vgpr_count:     0
    .vgpr_spill_count: 0
    .wavefront_size: 32
    .workgroup_processor_mode: 1
  - .args:
      - .offset:         0
        .size:           152
        .value_kind:     by_value
    .group_segment_fixed_size: 0
    .kernarg_segment_align: 8
    .kernarg_segment_size: 152
    .language:       OpenCL C
    .language_version:
      - 2
      - 0
    .max_flat_workgroup_size: 256
    .name:           _ZN7rocprim17ROCPRIM_400000_NS6detail17trampoline_kernelINS0_13select_configILj256ELj13ELNS0_17block_load_methodE3ELS4_3ELS4_3ELNS0_20block_scan_algorithmE0ELj4294967295EEENS1_25partition_config_selectorILNS1_17partition_subalgoE3EjNS0_10empty_typeEbEEZZNS1_14partition_implILS8_3ELb0ES6_jNS0_17counting_iteratorIjlEEPS9_SE_NS0_5tupleIJPjSE_EEENSF_IJSE_SE_EEES9_SG_JZNS1_25segmented_radix_sort_implINS0_14default_configELb1EPK12hip_bfloat16PSL_PKlPlN2at6native12_GLOBAL__N_18offset_tEEE10hipError_tPvRmT1_PNSt15iterator_traitsISZ_E10value_typeET2_T3_PNS10_IS15_E10value_typeET4_jRbjT5_S1B_jjP12ihipStream_tbEUljE_EEESW_SX_SY_S15_S19_S1B_T6_T7_T9_mT8_S1D_bDpT10_ENKUlT_T0_E_clISt17integral_constantIbLb1EES1Q_EEDaS1L_S1M_EUlS1L_E_NS1_11comp_targetILNS1_3genE8ELNS1_11target_archE1030ELNS1_3gpuE2ELNS1_3repE0EEENS1_30default_config_static_selectorELNS0_4arch9wavefront6targetE0EEEvSZ_
    .private_segment_fixed_size: 0
    .sgpr_count:     0
    .sgpr_spill_count: 0
    .symbol:         _ZN7rocprim17ROCPRIM_400000_NS6detail17trampoline_kernelINS0_13select_configILj256ELj13ELNS0_17block_load_methodE3ELS4_3ELS4_3ELNS0_20block_scan_algorithmE0ELj4294967295EEENS1_25partition_config_selectorILNS1_17partition_subalgoE3EjNS0_10empty_typeEbEEZZNS1_14partition_implILS8_3ELb0ES6_jNS0_17counting_iteratorIjlEEPS9_SE_NS0_5tupleIJPjSE_EEENSF_IJSE_SE_EEES9_SG_JZNS1_25segmented_radix_sort_implINS0_14default_configELb1EPK12hip_bfloat16PSL_PKlPlN2at6native12_GLOBAL__N_18offset_tEEE10hipError_tPvRmT1_PNSt15iterator_traitsISZ_E10value_typeET2_T3_PNS10_IS15_E10value_typeET4_jRbjT5_S1B_jjP12ihipStream_tbEUljE_EEESW_SX_SY_S15_S19_S1B_T6_T7_T9_mT8_S1D_bDpT10_ENKUlT_T0_E_clISt17integral_constantIbLb1EES1Q_EEDaS1L_S1M_EUlS1L_E_NS1_11comp_targetILNS1_3genE8ELNS1_11target_archE1030ELNS1_3gpuE2ELNS1_3repE0EEENS1_30default_config_static_selectorELNS0_4arch9wavefront6targetE0EEEvSZ_.kd
    .uniform_work_group_size: 1
    .uses_dynamic_stack: false
    .vgpr_count:     0
    .vgpr_spill_count: 0
    .wavefront_size: 32
    .workgroup_processor_mode: 1
  - .args:
      - .offset:         0
        .size:           144
        .value_kind:     by_value
    .group_segment_fixed_size: 0
    .kernarg_segment_align: 8
    .kernarg_segment_size: 144
    .language:       OpenCL C
    .language_version:
      - 2
      - 0
    .max_flat_workgroup_size: 256
    .name:           _ZN7rocprim17ROCPRIM_400000_NS6detail17trampoline_kernelINS0_13select_configILj256ELj13ELNS0_17block_load_methodE3ELS4_3ELS4_3ELNS0_20block_scan_algorithmE0ELj4294967295EEENS1_25partition_config_selectorILNS1_17partition_subalgoE3EjNS0_10empty_typeEbEEZZNS1_14partition_implILS8_3ELb0ES6_jNS0_17counting_iteratorIjlEEPS9_SE_NS0_5tupleIJPjSE_EEENSF_IJSE_SE_EEES9_SG_JZNS1_25segmented_radix_sort_implINS0_14default_configELb1EPK12hip_bfloat16PSL_PKlPlN2at6native12_GLOBAL__N_18offset_tEEE10hipError_tPvRmT1_PNSt15iterator_traitsISZ_E10value_typeET2_T3_PNS10_IS15_E10value_typeET4_jRbjT5_S1B_jjP12ihipStream_tbEUljE_EEESW_SX_SY_S15_S19_S1B_T6_T7_T9_mT8_S1D_bDpT10_ENKUlT_T0_E_clISt17integral_constantIbLb1EES1P_IbLb0EEEEDaS1L_S1M_EUlS1L_E_NS1_11comp_targetILNS1_3genE0ELNS1_11target_archE4294967295ELNS1_3gpuE0ELNS1_3repE0EEENS1_30default_config_static_selectorELNS0_4arch9wavefront6targetE0EEEvSZ_
    .private_segment_fixed_size: 0
    .sgpr_count:     0
    .sgpr_spill_count: 0
    .symbol:         _ZN7rocprim17ROCPRIM_400000_NS6detail17trampoline_kernelINS0_13select_configILj256ELj13ELNS0_17block_load_methodE3ELS4_3ELS4_3ELNS0_20block_scan_algorithmE0ELj4294967295EEENS1_25partition_config_selectorILNS1_17partition_subalgoE3EjNS0_10empty_typeEbEEZZNS1_14partition_implILS8_3ELb0ES6_jNS0_17counting_iteratorIjlEEPS9_SE_NS0_5tupleIJPjSE_EEENSF_IJSE_SE_EEES9_SG_JZNS1_25segmented_radix_sort_implINS0_14default_configELb1EPK12hip_bfloat16PSL_PKlPlN2at6native12_GLOBAL__N_18offset_tEEE10hipError_tPvRmT1_PNSt15iterator_traitsISZ_E10value_typeET2_T3_PNS10_IS15_E10value_typeET4_jRbjT5_S1B_jjP12ihipStream_tbEUljE_EEESW_SX_SY_S15_S19_S1B_T6_T7_T9_mT8_S1D_bDpT10_ENKUlT_T0_E_clISt17integral_constantIbLb1EES1P_IbLb0EEEEDaS1L_S1M_EUlS1L_E_NS1_11comp_targetILNS1_3genE0ELNS1_11target_archE4294967295ELNS1_3gpuE0ELNS1_3repE0EEENS1_30default_config_static_selectorELNS0_4arch9wavefront6targetE0EEEvSZ_.kd
    .uniform_work_group_size: 1
    .uses_dynamic_stack: false
    .vgpr_count:     0
    .vgpr_spill_count: 0
    .wavefront_size: 32
    .workgroup_processor_mode: 1
  - .args:
      - .offset:         0
        .size:           144
        .value_kind:     by_value
    .group_segment_fixed_size: 0
    .kernarg_segment_align: 8
    .kernarg_segment_size: 144
    .language:       OpenCL C
    .language_version:
      - 2
      - 0
    .max_flat_workgroup_size: 256
    .name:           _ZN7rocprim17ROCPRIM_400000_NS6detail17trampoline_kernelINS0_13select_configILj256ELj13ELNS0_17block_load_methodE3ELS4_3ELS4_3ELNS0_20block_scan_algorithmE0ELj4294967295EEENS1_25partition_config_selectorILNS1_17partition_subalgoE3EjNS0_10empty_typeEbEEZZNS1_14partition_implILS8_3ELb0ES6_jNS0_17counting_iteratorIjlEEPS9_SE_NS0_5tupleIJPjSE_EEENSF_IJSE_SE_EEES9_SG_JZNS1_25segmented_radix_sort_implINS0_14default_configELb1EPK12hip_bfloat16PSL_PKlPlN2at6native12_GLOBAL__N_18offset_tEEE10hipError_tPvRmT1_PNSt15iterator_traitsISZ_E10value_typeET2_T3_PNS10_IS15_E10value_typeET4_jRbjT5_S1B_jjP12ihipStream_tbEUljE_EEESW_SX_SY_S15_S19_S1B_T6_T7_T9_mT8_S1D_bDpT10_ENKUlT_T0_E_clISt17integral_constantIbLb1EES1P_IbLb0EEEEDaS1L_S1M_EUlS1L_E_NS1_11comp_targetILNS1_3genE5ELNS1_11target_archE942ELNS1_3gpuE9ELNS1_3repE0EEENS1_30default_config_static_selectorELNS0_4arch9wavefront6targetE0EEEvSZ_
    .private_segment_fixed_size: 0
    .sgpr_count:     0
    .sgpr_spill_count: 0
    .symbol:         _ZN7rocprim17ROCPRIM_400000_NS6detail17trampoline_kernelINS0_13select_configILj256ELj13ELNS0_17block_load_methodE3ELS4_3ELS4_3ELNS0_20block_scan_algorithmE0ELj4294967295EEENS1_25partition_config_selectorILNS1_17partition_subalgoE3EjNS0_10empty_typeEbEEZZNS1_14partition_implILS8_3ELb0ES6_jNS0_17counting_iteratorIjlEEPS9_SE_NS0_5tupleIJPjSE_EEENSF_IJSE_SE_EEES9_SG_JZNS1_25segmented_radix_sort_implINS0_14default_configELb1EPK12hip_bfloat16PSL_PKlPlN2at6native12_GLOBAL__N_18offset_tEEE10hipError_tPvRmT1_PNSt15iterator_traitsISZ_E10value_typeET2_T3_PNS10_IS15_E10value_typeET4_jRbjT5_S1B_jjP12ihipStream_tbEUljE_EEESW_SX_SY_S15_S19_S1B_T6_T7_T9_mT8_S1D_bDpT10_ENKUlT_T0_E_clISt17integral_constantIbLb1EES1P_IbLb0EEEEDaS1L_S1M_EUlS1L_E_NS1_11comp_targetILNS1_3genE5ELNS1_11target_archE942ELNS1_3gpuE9ELNS1_3repE0EEENS1_30default_config_static_selectorELNS0_4arch9wavefront6targetE0EEEvSZ_.kd
    .uniform_work_group_size: 1
    .uses_dynamic_stack: false
    .vgpr_count:     0
    .vgpr_spill_count: 0
    .wavefront_size: 32
    .workgroup_processor_mode: 1
  - .args:
      - .offset:         0
        .size:           144
        .value_kind:     by_value
    .group_segment_fixed_size: 0
    .kernarg_segment_align: 8
    .kernarg_segment_size: 144
    .language:       OpenCL C
    .language_version:
      - 2
      - 0
    .max_flat_workgroup_size: 256
    .name:           _ZN7rocprim17ROCPRIM_400000_NS6detail17trampoline_kernelINS0_13select_configILj256ELj13ELNS0_17block_load_methodE3ELS4_3ELS4_3ELNS0_20block_scan_algorithmE0ELj4294967295EEENS1_25partition_config_selectorILNS1_17partition_subalgoE3EjNS0_10empty_typeEbEEZZNS1_14partition_implILS8_3ELb0ES6_jNS0_17counting_iteratorIjlEEPS9_SE_NS0_5tupleIJPjSE_EEENSF_IJSE_SE_EEES9_SG_JZNS1_25segmented_radix_sort_implINS0_14default_configELb1EPK12hip_bfloat16PSL_PKlPlN2at6native12_GLOBAL__N_18offset_tEEE10hipError_tPvRmT1_PNSt15iterator_traitsISZ_E10value_typeET2_T3_PNS10_IS15_E10value_typeET4_jRbjT5_S1B_jjP12ihipStream_tbEUljE_EEESW_SX_SY_S15_S19_S1B_T6_T7_T9_mT8_S1D_bDpT10_ENKUlT_T0_E_clISt17integral_constantIbLb1EES1P_IbLb0EEEEDaS1L_S1M_EUlS1L_E_NS1_11comp_targetILNS1_3genE4ELNS1_11target_archE910ELNS1_3gpuE8ELNS1_3repE0EEENS1_30default_config_static_selectorELNS0_4arch9wavefront6targetE0EEEvSZ_
    .private_segment_fixed_size: 0
    .sgpr_count:     0
    .sgpr_spill_count: 0
    .symbol:         _ZN7rocprim17ROCPRIM_400000_NS6detail17trampoline_kernelINS0_13select_configILj256ELj13ELNS0_17block_load_methodE3ELS4_3ELS4_3ELNS0_20block_scan_algorithmE0ELj4294967295EEENS1_25partition_config_selectorILNS1_17partition_subalgoE3EjNS0_10empty_typeEbEEZZNS1_14partition_implILS8_3ELb0ES6_jNS0_17counting_iteratorIjlEEPS9_SE_NS0_5tupleIJPjSE_EEENSF_IJSE_SE_EEES9_SG_JZNS1_25segmented_radix_sort_implINS0_14default_configELb1EPK12hip_bfloat16PSL_PKlPlN2at6native12_GLOBAL__N_18offset_tEEE10hipError_tPvRmT1_PNSt15iterator_traitsISZ_E10value_typeET2_T3_PNS10_IS15_E10value_typeET4_jRbjT5_S1B_jjP12ihipStream_tbEUljE_EEESW_SX_SY_S15_S19_S1B_T6_T7_T9_mT8_S1D_bDpT10_ENKUlT_T0_E_clISt17integral_constantIbLb1EES1P_IbLb0EEEEDaS1L_S1M_EUlS1L_E_NS1_11comp_targetILNS1_3genE4ELNS1_11target_archE910ELNS1_3gpuE8ELNS1_3repE0EEENS1_30default_config_static_selectorELNS0_4arch9wavefront6targetE0EEEvSZ_.kd
    .uniform_work_group_size: 1
    .uses_dynamic_stack: false
    .vgpr_count:     0
    .vgpr_spill_count: 0
    .wavefront_size: 32
    .workgroup_processor_mode: 1
  - .args:
      - .offset:         0
        .size:           144
        .value_kind:     by_value
    .group_segment_fixed_size: 0
    .kernarg_segment_align: 8
    .kernarg_segment_size: 144
    .language:       OpenCL C
    .language_version:
      - 2
      - 0
    .max_flat_workgroup_size: 256
    .name:           _ZN7rocprim17ROCPRIM_400000_NS6detail17trampoline_kernelINS0_13select_configILj256ELj13ELNS0_17block_load_methodE3ELS4_3ELS4_3ELNS0_20block_scan_algorithmE0ELj4294967295EEENS1_25partition_config_selectorILNS1_17partition_subalgoE3EjNS0_10empty_typeEbEEZZNS1_14partition_implILS8_3ELb0ES6_jNS0_17counting_iteratorIjlEEPS9_SE_NS0_5tupleIJPjSE_EEENSF_IJSE_SE_EEES9_SG_JZNS1_25segmented_radix_sort_implINS0_14default_configELb1EPK12hip_bfloat16PSL_PKlPlN2at6native12_GLOBAL__N_18offset_tEEE10hipError_tPvRmT1_PNSt15iterator_traitsISZ_E10value_typeET2_T3_PNS10_IS15_E10value_typeET4_jRbjT5_S1B_jjP12ihipStream_tbEUljE_EEESW_SX_SY_S15_S19_S1B_T6_T7_T9_mT8_S1D_bDpT10_ENKUlT_T0_E_clISt17integral_constantIbLb1EES1P_IbLb0EEEEDaS1L_S1M_EUlS1L_E_NS1_11comp_targetILNS1_3genE3ELNS1_11target_archE908ELNS1_3gpuE7ELNS1_3repE0EEENS1_30default_config_static_selectorELNS0_4arch9wavefront6targetE0EEEvSZ_
    .private_segment_fixed_size: 0
    .sgpr_count:     0
    .sgpr_spill_count: 0
    .symbol:         _ZN7rocprim17ROCPRIM_400000_NS6detail17trampoline_kernelINS0_13select_configILj256ELj13ELNS0_17block_load_methodE3ELS4_3ELS4_3ELNS0_20block_scan_algorithmE0ELj4294967295EEENS1_25partition_config_selectorILNS1_17partition_subalgoE3EjNS0_10empty_typeEbEEZZNS1_14partition_implILS8_3ELb0ES6_jNS0_17counting_iteratorIjlEEPS9_SE_NS0_5tupleIJPjSE_EEENSF_IJSE_SE_EEES9_SG_JZNS1_25segmented_radix_sort_implINS0_14default_configELb1EPK12hip_bfloat16PSL_PKlPlN2at6native12_GLOBAL__N_18offset_tEEE10hipError_tPvRmT1_PNSt15iterator_traitsISZ_E10value_typeET2_T3_PNS10_IS15_E10value_typeET4_jRbjT5_S1B_jjP12ihipStream_tbEUljE_EEESW_SX_SY_S15_S19_S1B_T6_T7_T9_mT8_S1D_bDpT10_ENKUlT_T0_E_clISt17integral_constantIbLb1EES1P_IbLb0EEEEDaS1L_S1M_EUlS1L_E_NS1_11comp_targetILNS1_3genE3ELNS1_11target_archE908ELNS1_3gpuE7ELNS1_3repE0EEENS1_30default_config_static_selectorELNS0_4arch9wavefront6targetE0EEEvSZ_.kd
    .uniform_work_group_size: 1
    .uses_dynamic_stack: false
    .vgpr_count:     0
    .vgpr_spill_count: 0
    .wavefront_size: 32
    .workgroup_processor_mode: 1
  - .args:
      - .offset:         0
        .size:           144
        .value_kind:     by_value
    .group_segment_fixed_size: 0
    .kernarg_segment_align: 8
    .kernarg_segment_size: 144
    .language:       OpenCL C
    .language_version:
      - 2
      - 0
    .max_flat_workgroup_size: 256
    .name:           _ZN7rocprim17ROCPRIM_400000_NS6detail17trampoline_kernelINS0_13select_configILj256ELj13ELNS0_17block_load_methodE3ELS4_3ELS4_3ELNS0_20block_scan_algorithmE0ELj4294967295EEENS1_25partition_config_selectorILNS1_17partition_subalgoE3EjNS0_10empty_typeEbEEZZNS1_14partition_implILS8_3ELb0ES6_jNS0_17counting_iteratorIjlEEPS9_SE_NS0_5tupleIJPjSE_EEENSF_IJSE_SE_EEES9_SG_JZNS1_25segmented_radix_sort_implINS0_14default_configELb1EPK12hip_bfloat16PSL_PKlPlN2at6native12_GLOBAL__N_18offset_tEEE10hipError_tPvRmT1_PNSt15iterator_traitsISZ_E10value_typeET2_T3_PNS10_IS15_E10value_typeET4_jRbjT5_S1B_jjP12ihipStream_tbEUljE_EEESW_SX_SY_S15_S19_S1B_T6_T7_T9_mT8_S1D_bDpT10_ENKUlT_T0_E_clISt17integral_constantIbLb1EES1P_IbLb0EEEEDaS1L_S1M_EUlS1L_E_NS1_11comp_targetILNS1_3genE2ELNS1_11target_archE906ELNS1_3gpuE6ELNS1_3repE0EEENS1_30default_config_static_selectorELNS0_4arch9wavefront6targetE0EEEvSZ_
    .private_segment_fixed_size: 0
    .sgpr_count:     0
    .sgpr_spill_count: 0
    .symbol:         _ZN7rocprim17ROCPRIM_400000_NS6detail17trampoline_kernelINS0_13select_configILj256ELj13ELNS0_17block_load_methodE3ELS4_3ELS4_3ELNS0_20block_scan_algorithmE0ELj4294967295EEENS1_25partition_config_selectorILNS1_17partition_subalgoE3EjNS0_10empty_typeEbEEZZNS1_14partition_implILS8_3ELb0ES6_jNS0_17counting_iteratorIjlEEPS9_SE_NS0_5tupleIJPjSE_EEENSF_IJSE_SE_EEES9_SG_JZNS1_25segmented_radix_sort_implINS0_14default_configELb1EPK12hip_bfloat16PSL_PKlPlN2at6native12_GLOBAL__N_18offset_tEEE10hipError_tPvRmT1_PNSt15iterator_traitsISZ_E10value_typeET2_T3_PNS10_IS15_E10value_typeET4_jRbjT5_S1B_jjP12ihipStream_tbEUljE_EEESW_SX_SY_S15_S19_S1B_T6_T7_T9_mT8_S1D_bDpT10_ENKUlT_T0_E_clISt17integral_constantIbLb1EES1P_IbLb0EEEEDaS1L_S1M_EUlS1L_E_NS1_11comp_targetILNS1_3genE2ELNS1_11target_archE906ELNS1_3gpuE6ELNS1_3repE0EEENS1_30default_config_static_selectorELNS0_4arch9wavefront6targetE0EEEvSZ_.kd
    .uniform_work_group_size: 1
    .uses_dynamic_stack: false
    .vgpr_count:     0
    .vgpr_spill_count: 0
    .wavefront_size: 32
    .workgroup_processor_mode: 1
  - .args:
      - .offset:         0
        .size:           144
        .value_kind:     by_value
    .group_segment_fixed_size: 0
    .kernarg_segment_align: 8
    .kernarg_segment_size: 144
    .language:       OpenCL C
    .language_version:
      - 2
      - 0
    .max_flat_workgroup_size: 256
    .name:           _ZN7rocprim17ROCPRIM_400000_NS6detail17trampoline_kernelINS0_13select_configILj256ELj13ELNS0_17block_load_methodE3ELS4_3ELS4_3ELNS0_20block_scan_algorithmE0ELj4294967295EEENS1_25partition_config_selectorILNS1_17partition_subalgoE3EjNS0_10empty_typeEbEEZZNS1_14partition_implILS8_3ELb0ES6_jNS0_17counting_iteratorIjlEEPS9_SE_NS0_5tupleIJPjSE_EEENSF_IJSE_SE_EEES9_SG_JZNS1_25segmented_radix_sort_implINS0_14default_configELb1EPK12hip_bfloat16PSL_PKlPlN2at6native12_GLOBAL__N_18offset_tEEE10hipError_tPvRmT1_PNSt15iterator_traitsISZ_E10value_typeET2_T3_PNS10_IS15_E10value_typeET4_jRbjT5_S1B_jjP12ihipStream_tbEUljE_EEESW_SX_SY_S15_S19_S1B_T6_T7_T9_mT8_S1D_bDpT10_ENKUlT_T0_E_clISt17integral_constantIbLb1EES1P_IbLb0EEEEDaS1L_S1M_EUlS1L_E_NS1_11comp_targetILNS1_3genE10ELNS1_11target_archE1200ELNS1_3gpuE4ELNS1_3repE0EEENS1_30default_config_static_selectorELNS0_4arch9wavefront6targetE0EEEvSZ_
    .private_segment_fixed_size: 0
    .sgpr_count:     0
    .sgpr_spill_count: 0
    .symbol:         _ZN7rocprim17ROCPRIM_400000_NS6detail17trampoline_kernelINS0_13select_configILj256ELj13ELNS0_17block_load_methodE3ELS4_3ELS4_3ELNS0_20block_scan_algorithmE0ELj4294967295EEENS1_25partition_config_selectorILNS1_17partition_subalgoE3EjNS0_10empty_typeEbEEZZNS1_14partition_implILS8_3ELb0ES6_jNS0_17counting_iteratorIjlEEPS9_SE_NS0_5tupleIJPjSE_EEENSF_IJSE_SE_EEES9_SG_JZNS1_25segmented_radix_sort_implINS0_14default_configELb1EPK12hip_bfloat16PSL_PKlPlN2at6native12_GLOBAL__N_18offset_tEEE10hipError_tPvRmT1_PNSt15iterator_traitsISZ_E10value_typeET2_T3_PNS10_IS15_E10value_typeET4_jRbjT5_S1B_jjP12ihipStream_tbEUljE_EEESW_SX_SY_S15_S19_S1B_T6_T7_T9_mT8_S1D_bDpT10_ENKUlT_T0_E_clISt17integral_constantIbLb1EES1P_IbLb0EEEEDaS1L_S1M_EUlS1L_E_NS1_11comp_targetILNS1_3genE10ELNS1_11target_archE1200ELNS1_3gpuE4ELNS1_3repE0EEENS1_30default_config_static_selectorELNS0_4arch9wavefront6targetE0EEEvSZ_.kd
    .uniform_work_group_size: 1
    .uses_dynamic_stack: false
    .vgpr_count:     0
    .vgpr_spill_count: 0
    .wavefront_size: 32
    .workgroup_processor_mode: 1
  - .args:
      - .offset:         0
        .size:           144
        .value_kind:     by_value
    .group_segment_fixed_size: 0
    .kernarg_segment_align: 8
    .kernarg_segment_size: 144
    .language:       OpenCL C
    .language_version:
      - 2
      - 0
    .max_flat_workgroup_size: 256
    .name:           _ZN7rocprim17ROCPRIM_400000_NS6detail17trampoline_kernelINS0_13select_configILj256ELj13ELNS0_17block_load_methodE3ELS4_3ELS4_3ELNS0_20block_scan_algorithmE0ELj4294967295EEENS1_25partition_config_selectorILNS1_17partition_subalgoE3EjNS0_10empty_typeEbEEZZNS1_14partition_implILS8_3ELb0ES6_jNS0_17counting_iteratorIjlEEPS9_SE_NS0_5tupleIJPjSE_EEENSF_IJSE_SE_EEES9_SG_JZNS1_25segmented_radix_sort_implINS0_14default_configELb1EPK12hip_bfloat16PSL_PKlPlN2at6native12_GLOBAL__N_18offset_tEEE10hipError_tPvRmT1_PNSt15iterator_traitsISZ_E10value_typeET2_T3_PNS10_IS15_E10value_typeET4_jRbjT5_S1B_jjP12ihipStream_tbEUljE_EEESW_SX_SY_S15_S19_S1B_T6_T7_T9_mT8_S1D_bDpT10_ENKUlT_T0_E_clISt17integral_constantIbLb1EES1P_IbLb0EEEEDaS1L_S1M_EUlS1L_E_NS1_11comp_targetILNS1_3genE9ELNS1_11target_archE1100ELNS1_3gpuE3ELNS1_3repE0EEENS1_30default_config_static_selectorELNS0_4arch9wavefront6targetE0EEEvSZ_
    .private_segment_fixed_size: 0
    .sgpr_count:     0
    .sgpr_spill_count: 0
    .symbol:         _ZN7rocprim17ROCPRIM_400000_NS6detail17trampoline_kernelINS0_13select_configILj256ELj13ELNS0_17block_load_methodE3ELS4_3ELS4_3ELNS0_20block_scan_algorithmE0ELj4294967295EEENS1_25partition_config_selectorILNS1_17partition_subalgoE3EjNS0_10empty_typeEbEEZZNS1_14partition_implILS8_3ELb0ES6_jNS0_17counting_iteratorIjlEEPS9_SE_NS0_5tupleIJPjSE_EEENSF_IJSE_SE_EEES9_SG_JZNS1_25segmented_radix_sort_implINS0_14default_configELb1EPK12hip_bfloat16PSL_PKlPlN2at6native12_GLOBAL__N_18offset_tEEE10hipError_tPvRmT1_PNSt15iterator_traitsISZ_E10value_typeET2_T3_PNS10_IS15_E10value_typeET4_jRbjT5_S1B_jjP12ihipStream_tbEUljE_EEESW_SX_SY_S15_S19_S1B_T6_T7_T9_mT8_S1D_bDpT10_ENKUlT_T0_E_clISt17integral_constantIbLb1EES1P_IbLb0EEEEDaS1L_S1M_EUlS1L_E_NS1_11comp_targetILNS1_3genE9ELNS1_11target_archE1100ELNS1_3gpuE3ELNS1_3repE0EEENS1_30default_config_static_selectorELNS0_4arch9wavefront6targetE0EEEvSZ_.kd
    .uniform_work_group_size: 1
    .uses_dynamic_stack: false
    .vgpr_count:     0
    .vgpr_spill_count: 0
    .wavefront_size: 32
    .workgroup_processor_mode: 1
  - .args:
      - .offset:         0
        .size:           144
        .value_kind:     by_value
    .group_segment_fixed_size: 0
    .kernarg_segment_align: 8
    .kernarg_segment_size: 144
    .language:       OpenCL C
    .language_version:
      - 2
      - 0
    .max_flat_workgroup_size: 256
    .name:           _ZN7rocprim17ROCPRIM_400000_NS6detail17trampoline_kernelINS0_13select_configILj256ELj13ELNS0_17block_load_methodE3ELS4_3ELS4_3ELNS0_20block_scan_algorithmE0ELj4294967295EEENS1_25partition_config_selectorILNS1_17partition_subalgoE3EjNS0_10empty_typeEbEEZZNS1_14partition_implILS8_3ELb0ES6_jNS0_17counting_iteratorIjlEEPS9_SE_NS0_5tupleIJPjSE_EEENSF_IJSE_SE_EEES9_SG_JZNS1_25segmented_radix_sort_implINS0_14default_configELb1EPK12hip_bfloat16PSL_PKlPlN2at6native12_GLOBAL__N_18offset_tEEE10hipError_tPvRmT1_PNSt15iterator_traitsISZ_E10value_typeET2_T3_PNS10_IS15_E10value_typeET4_jRbjT5_S1B_jjP12ihipStream_tbEUljE_EEESW_SX_SY_S15_S19_S1B_T6_T7_T9_mT8_S1D_bDpT10_ENKUlT_T0_E_clISt17integral_constantIbLb1EES1P_IbLb0EEEEDaS1L_S1M_EUlS1L_E_NS1_11comp_targetILNS1_3genE8ELNS1_11target_archE1030ELNS1_3gpuE2ELNS1_3repE0EEENS1_30default_config_static_selectorELNS0_4arch9wavefront6targetE0EEEvSZ_
    .private_segment_fixed_size: 0
    .sgpr_count:     0
    .sgpr_spill_count: 0
    .symbol:         _ZN7rocprim17ROCPRIM_400000_NS6detail17trampoline_kernelINS0_13select_configILj256ELj13ELNS0_17block_load_methodE3ELS4_3ELS4_3ELNS0_20block_scan_algorithmE0ELj4294967295EEENS1_25partition_config_selectorILNS1_17partition_subalgoE3EjNS0_10empty_typeEbEEZZNS1_14partition_implILS8_3ELb0ES6_jNS0_17counting_iteratorIjlEEPS9_SE_NS0_5tupleIJPjSE_EEENSF_IJSE_SE_EEES9_SG_JZNS1_25segmented_radix_sort_implINS0_14default_configELb1EPK12hip_bfloat16PSL_PKlPlN2at6native12_GLOBAL__N_18offset_tEEE10hipError_tPvRmT1_PNSt15iterator_traitsISZ_E10value_typeET2_T3_PNS10_IS15_E10value_typeET4_jRbjT5_S1B_jjP12ihipStream_tbEUljE_EEESW_SX_SY_S15_S19_S1B_T6_T7_T9_mT8_S1D_bDpT10_ENKUlT_T0_E_clISt17integral_constantIbLb1EES1P_IbLb0EEEEDaS1L_S1M_EUlS1L_E_NS1_11comp_targetILNS1_3genE8ELNS1_11target_archE1030ELNS1_3gpuE2ELNS1_3repE0EEENS1_30default_config_static_selectorELNS0_4arch9wavefront6targetE0EEEvSZ_.kd
    .uniform_work_group_size: 1
    .uses_dynamic_stack: false
    .vgpr_count:     0
    .vgpr_spill_count: 0
    .wavefront_size: 32
    .workgroup_processor_mode: 1
  - .args:
      - .offset:         0
        .size:           152
        .value_kind:     by_value
    .group_segment_fixed_size: 0
    .kernarg_segment_align: 8
    .kernarg_segment_size: 152
    .language:       OpenCL C
    .language_version:
      - 2
      - 0
    .max_flat_workgroup_size: 256
    .name:           _ZN7rocprim17ROCPRIM_400000_NS6detail17trampoline_kernelINS0_13select_configILj256ELj13ELNS0_17block_load_methodE3ELS4_3ELS4_3ELNS0_20block_scan_algorithmE0ELj4294967295EEENS1_25partition_config_selectorILNS1_17partition_subalgoE3EjNS0_10empty_typeEbEEZZNS1_14partition_implILS8_3ELb0ES6_jNS0_17counting_iteratorIjlEEPS9_SE_NS0_5tupleIJPjSE_EEENSF_IJSE_SE_EEES9_SG_JZNS1_25segmented_radix_sort_implINS0_14default_configELb1EPK12hip_bfloat16PSL_PKlPlN2at6native12_GLOBAL__N_18offset_tEEE10hipError_tPvRmT1_PNSt15iterator_traitsISZ_E10value_typeET2_T3_PNS10_IS15_E10value_typeET4_jRbjT5_S1B_jjP12ihipStream_tbEUljE_EEESW_SX_SY_S15_S19_S1B_T6_T7_T9_mT8_S1D_bDpT10_ENKUlT_T0_E_clISt17integral_constantIbLb0EES1P_IbLb1EEEEDaS1L_S1M_EUlS1L_E_NS1_11comp_targetILNS1_3genE0ELNS1_11target_archE4294967295ELNS1_3gpuE0ELNS1_3repE0EEENS1_30default_config_static_selectorELNS0_4arch9wavefront6targetE0EEEvSZ_
    .private_segment_fixed_size: 0
    .sgpr_count:     0
    .sgpr_spill_count: 0
    .symbol:         _ZN7rocprim17ROCPRIM_400000_NS6detail17trampoline_kernelINS0_13select_configILj256ELj13ELNS0_17block_load_methodE3ELS4_3ELS4_3ELNS0_20block_scan_algorithmE0ELj4294967295EEENS1_25partition_config_selectorILNS1_17partition_subalgoE3EjNS0_10empty_typeEbEEZZNS1_14partition_implILS8_3ELb0ES6_jNS0_17counting_iteratorIjlEEPS9_SE_NS0_5tupleIJPjSE_EEENSF_IJSE_SE_EEES9_SG_JZNS1_25segmented_radix_sort_implINS0_14default_configELb1EPK12hip_bfloat16PSL_PKlPlN2at6native12_GLOBAL__N_18offset_tEEE10hipError_tPvRmT1_PNSt15iterator_traitsISZ_E10value_typeET2_T3_PNS10_IS15_E10value_typeET4_jRbjT5_S1B_jjP12ihipStream_tbEUljE_EEESW_SX_SY_S15_S19_S1B_T6_T7_T9_mT8_S1D_bDpT10_ENKUlT_T0_E_clISt17integral_constantIbLb0EES1P_IbLb1EEEEDaS1L_S1M_EUlS1L_E_NS1_11comp_targetILNS1_3genE0ELNS1_11target_archE4294967295ELNS1_3gpuE0ELNS1_3repE0EEENS1_30default_config_static_selectorELNS0_4arch9wavefront6targetE0EEEvSZ_.kd
    .uniform_work_group_size: 1
    .uses_dynamic_stack: false
    .vgpr_count:     0
    .vgpr_spill_count: 0
    .wavefront_size: 32
    .workgroup_processor_mode: 1
  - .args:
      - .offset:         0
        .size:           152
        .value_kind:     by_value
    .group_segment_fixed_size: 0
    .kernarg_segment_align: 8
    .kernarg_segment_size: 152
    .language:       OpenCL C
    .language_version:
      - 2
      - 0
    .max_flat_workgroup_size: 256
    .name:           _ZN7rocprim17ROCPRIM_400000_NS6detail17trampoline_kernelINS0_13select_configILj256ELj13ELNS0_17block_load_methodE3ELS4_3ELS4_3ELNS0_20block_scan_algorithmE0ELj4294967295EEENS1_25partition_config_selectorILNS1_17partition_subalgoE3EjNS0_10empty_typeEbEEZZNS1_14partition_implILS8_3ELb0ES6_jNS0_17counting_iteratorIjlEEPS9_SE_NS0_5tupleIJPjSE_EEENSF_IJSE_SE_EEES9_SG_JZNS1_25segmented_radix_sort_implINS0_14default_configELb1EPK12hip_bfloat16PSL_PKlPlN2at6native12_GLOBAL__N_18offset_tEEE10hipError_tPvRmT1_PNSt15iterator_traitsISZ_E10value_typeET2_T3_PNS10_IS15_E10value_typeET4_jRbjT5_S1B_jjP12ihipStream_tbEUljE_EEESW_SX_SY_S15_S19_S1B_T6_T7_T9_mT8_S1D_bDpT10_ENKUlT_T0_E_clISt17integral_constantIbLb0EES1P_IbLb1EEEEDaS1L_S1M_EUlS1L_E_NS1_11comp_targetILNS1_3genE5ELNS1_11target_archE942ELNS1_3gpuE9ELNS1_3repE0EEENS1_30default_config_static_selectorELNS0_4arch9wavefront6targetE0EEEvSZ_
    .private_segment_fixed_size: 0
    .sgpr_count:     0
    .sgpr_spill_count: 0
    .symbol:         _ZN7rocprim17ROCPRIM_400000_NS6detail17trampoline_kernelINS0_13select_configILj256ELj13ELNS0_17block_load_methodE3ELS4_3ELS4_3ELNS0_20block_scan_algorithmE0ELj4294967295EEENS1_25partition_config_selectorILNS1_17partition_subalgoE3EjNS0_10empty_typeEbEEZZNS1_14partition_implILS8_3ELb0ES6_jNS0_17counting_iteratorIjlEEPS9_SE_NS0_5tupleIJPjSE_EEENSF_IJSE_SE_EEES9_SG_JZNS1_25segmented_radix_sort_implINS0_14default_configELb1EPK12hip_bfloat16PSL_PKlPlN2at6native12_GLOBAL__N_18offset_tEEE10hipError_tPvRmT1_PNSt15iterator_traitsISZ_E10value_typeET2_T3_PNS10_IS15_E10value_typeET4_jRbjT5_S1B_jjP12ihipStream_tbEUljE_EEESW_SX_SY_S15_S19_S1B_T6_T7_T9_mT8_S1D_bDpT10_ENKUlT_T0_E_clISt17integral_constantIbLb0EES1P_IbLb1EEEEDaS1L_S1M_EUlS1L_E_NS1_11comp_targetILNS1_3genE5ELNS1_11target_archE942ELNS1_3gpuE9ELNS1_3repE0EEENS1_30default_config_static_selectorELNS0_4arch9wavefront6targetE0EEEvSZ_.kd
    .uniform_work_group_size: 1
    .uses_dynamic_stack: false
    .vgpr_count:     0
    .vgpr_spill_count: 0
    .wavefront_size: 32
    .workgroup_processor_mode: 1
  - .args:
      - .offset:         0
        .size:           152
        .value_kind:     by_value
    .group_segment_fixed_size: 0
    .kernarg_segment_align: 8
    .kernarg_segment_size: 152
    .language:       OpenCL C
    .language_version:
      - 2
      - 0
    .max_flat_workgroup_size: 256
    .name:           _ZN7rocprim17ROCPRIM_400000_NS6detail17trampoline_kernelINS0_13select_configILj256ELj13ELNS0_17block_load_methodE3ELS4_3ELS4_3ELNS0_20block_scan_algorithmE0ELj4294967295EEENS1_25partition_config_selectorILNS1_17partition_subalgoE3EjNS0_10empty_typeEbEEZZNS1_14partition_implILS8_3ELb0ES6_jNS0_17counting_iteratorIjlEEPS9_SE_NS0_5tupleIJPjSE_EEENSF_IJSE_SE_EEES9_SG_JZNS1_25segmented_radix_sort_implINS0_14default_configELb1EPK12hip_bfloat16PSL_PKlPlN2at6native12_GLOBAL__N_18offset_tEEE10hipError_tPvRmT1_PNSt15iterator_traitsISZ_E10value_typeET2_T3_PNS10_IS15_E10value_typeET4_jRbjT5_S1B_jjP12ihipStream_tbEUljE_EEESW_SX_SY_S15_S19_S1B_T6_T7_T9_mT8_S1D_bDpT10_ENKUlT_T0_E_clISt17integral_constantIbLb0EES1P_IbLb1EEEEDaS1L_S1M_EUlS1L_E_NS1_11comp_targetILNS1_3genE4ELNS1_11target_archE910ELNS1_3gpuE8ELNS1_3repE0EEENS1_30default_config_static_selectorELNS0_4arch9wavefront6targetE0EEEvSZ_
    .private_segment_fixed_size: 0
    .sgpr_count:     0
    .sgpr_spill_count: 0
    .symbol:         _ZN7rocprim17ROCPRIM_400000_NS6detail17trampoline_kernelINS0_13select_configILj256ELj13ELNS0_17block_load_methodE3ELS4_3ELS4_3ELNS0_20block_scan_algorithmE0ELj4294967295EEENS1_25partition_config_selectorILNS1_17partition_subalgoE3EjNS0_10empty_typeEbEEZZNS1_14partition_implILS8_3ELb0ES6_jNS0_17counting_iteratorIjlEEPS9_SE_NS0_5tupleIJPjSE_EEENSF_IJSE_SE_EEES9_SG_JZNS1_25segmented_radix_sort_implINS0_14default_configELb1EPK12hip_bfloat16PSL_PKlPlN2at6native12_GLOBAL__N_18offset_tEEE10hipError_tPvRmT1_PNSt15iterator_traitsISZ_E10value_typeET2_T3_PNS10_IS15_E10value_typeET4_jRbjT5_S1B_jjP12ihipStream_tbEUljE_EEESW_SX_SY_S15_S19_S1B_T6_T7_T9_mT8_S1D_bDpT10_ENKUlT_T0_E_clISt17integral_constantIbLb0EES1P_IbLb1EEEEDaS1L_S1M_EUlS1L_E_NS1_11comp_targetILNS1_3genE4ELNS1_11target_archE910ELNS1_3gpuE8ELNS1_3repE0EEENS1_30default_config_static_selectorELNS0_4arch9wavefront6targetE0EEEvSZ_.kd
    .uniform_work_group_size: 1
    .uses_dynamic_stack: false
    .vgpr_count:     0
    .vgpr_spill_count: 0
    .wavefront_size: 32
    .workgroup_processor_mode: 1
  - .args:
      - .offset:         0
        .size:           152
        .value_kind:     by_value
    .group_segment_fixed_size: 0
    .kernarg_segment_align: 8
    .kernarg_segment_size: 152
    .language:       OpenCL C
    .language_version:
      - 2
      - 0
    .max_flat_workgroup_size: 256
    .name:           _ZN7rocprim17ROCPRIM_400000_NS6detail17trampoline_kernelINS0_13select_configILj256ELj13ELNS0_17block_load_methodE3ELS4_3ELS4_3ELNS0_20block_scan_algorithmE0ELj4294967295EEENS1_25partition_config_selectorILNS1_17partition_subalgoE3EjNS0_10empty_typeEbEEZZNS1_14partition_implILS8_3ELb0ES6_jNS0_17counting_iteratorIjlEEPS9_SE_NS0_5tupleIJPjSE_EEENSF_IJSE_SE_EEES9_SG_JZNS1_25segmented_radix_sort_implINS0_14default_configELb1EPK12hip_bfloat16PSL_PKlPlN2at6native12_GLOBAL__N_18offset_tEEE10hipError_tPvRmT1_PNSt15iterator_traitsISZ_E10value_typeET2_T3_PNS10_IS15_E10value_typeET4_jRbjT5_S1B_jjP12ihipStream_tbEUljE_EEESW_SX_SY_S15_S19_S1B_T6_T7_T9_mT8_S1D_bDpT10_ENKUlT_T0_E_clISt17integral_constantIbLb0EES1P_IbLb1EEEEDaS1L_S1M_EUlS1L_E_NS1_11comp_targetILNS1_3genE3ELNS1_11target_archE908ELNS1_3gpuE7ELNS1_3repE0EEENS1_30default_config_static_selectorELNS0_4arch9wavefront6targetE0EEEvSZ_
    .private_segment_fixed_size: 0
    .sgpr_count:     0
    .sgpr_spill_count: 0
    .symbol:         _ZN7rocprim17ROCPRIM_400000_NS6detail17trampoline_kernelINS0_13select_configILj256ELj13ELNS0_17block_load_methodE3ELS4_3ELS4_3ELNS0_20block_scan_algorithmE0ELj4294967295EEENS1_25partition_config_selectorILNS1_17partition_subalgoE3EjNS0_10empty_typeEbEEZZNS1_14partition_implILS8_3ELb0ES6_jNS0_17counting_iteratorIjlEEPS9_SE_NS0_5tupleIJPjSE_EEENSF_IJSE_SE_EEES9_SG_JZNS1_25segmented_radix_sort_implINS0_14default_configELb1EPK12hip_bfloat16PSL_PKlPlN2at6native12_GLOBAL__N_18offset_tEEE10hipError_tPvRmT1_PNSt15iterator_traitsISZ_E10value_typeET2_T3_PNS10_IS15_E10value_typeET4_jRbjT5_S1B_jjP12ihipStream_tbEUljE_EEESW_SX_SY_S15_S19_S1B_T6_T7_T9_mT8_S1D_bDpT10_ENKUlT_T0_E_clISt17integral_constantIbLb0EES1P_IbLb1EEEEDaS1L_S1M_EUlS1L_E_NS1_11comp_targetILNS1_3genE3ELNS1_11target_archE908ELNS1_3gpuE7ELNS1_3repE0EEENS1_30default_config_static_selectorELNS0_4arch9wavefront6targetE0EEEvSZ_.kd
    .uniform_work_group_size: 1
    .uses_dynamic_stack: false
    .vgpr_count:     0
    .vgpr_spill_count: 0
    .wavefront_size: 32
    .workgroup_processor_mode: 1
  - .args:
      - .offset:         0
        .size:           152
        .value_kind:     by_value
    .group_segment_fixed_size: 0
    .kernarg_segment_align: 8
    .kernarg_segment_size: 152
    .language:       OpenCL C
    .language_version:
      - 2
      - 0
    .max_flat_workgroup_size: 256
    .name:           _ZN7rocprim17ROCPRIM_400000_NS6detail17trampoline_kernelINS0_13select_configILj256ELj13ELNS0_17block_load_methodE3ELS4_3ELS4_3ELNS0_20block_scan_algorithmE0ELj4294967295EEENS1_25partition_config_selectorILNS1_17partition_subalgoE3EjNS0_10empty_typeEbEEZZNS1_14partition_implILS8_3ELb0ES6_jNS0_17counting_iteratorIjlEEPS9_SE_NS0_5tupleIJPjSE_EEENSF_IJSE_SE_EEES9_SG_JZNS1_25segmented_radix_sort_implINS0_14default_configELb1EPK12hip_bfloat16PSL_PKlPlN2at6native12_GLOBAL__N_18offset_tEEE10hipError_tPvRmT1_PNSt15iterator_traitsISZ_E10value_typeET2_T3_PNS10_IS15_E10value_typeET4_jRbjT5_S1B_jjP12ihipStream_tbEUljE_EEESW_SX_SY_S15_S19_S1B_T6_T7_T9_mT8_S1D_bDpT10_ENKUlT_T0_E_clISt17integral_constantIbLb0EES1P_IbLb1EEEEDaS1L_S1M_EUlS1L_E_NS1_11comp_targetILNS1_3genE2ELNS1_11target_archE906ELNS1_3gpuE6ELNS1_3repE0EEENS1_30default_config_static_selectorELNS0_4arch9wavefront6targetE0EEEvSZ_
    .private_segment_fixed_size: 0
    .sgpr_count:     0
    .sgpr_spill_count: 0
    .symbol:         _ZN7rocprim17ROCPRIM_400000_NS6detail17trampoline_kernelINS0_13select_configILj256ELj13ELNS0_17block_load_methodE3ELS4_3ELS4_3ELNS0_20block_scan_algorithmE0ELj4294967295EEENS1_25partition_config_selectorILNS1_17partition_subalgoE3EjNS0_10empty_typeEbEEZZNS1_14partition_implILS8_3ELb0ES6_jNS0_17counting_iteratorIjlEEPS9_SE_NS0_5tupleIJPjSE_EEENSF_IJSE_SE_EEES9_SG_JZNS1_25segmented_radix_sort_implINS0_14default_configELb1EPK12hip_bfloat16PSL_PKlPlN2at6native12_GLOBAL__N_18offset_tEEE10hipError_tPvRmT1_PNSt15iterator_traitsISZ_E10value_typeET2_T3_PNS10_IS15_E10value_typeET4_jRbjT5_S1B_jjP12ihipStream_tbEUljE_EEESW_SX_SY_S15_S19_S1B_T6_T7_T9_mT8_S1D_bDpT10_ENKUlT_T0_E_clISt17integral_constantIbLb0EES1P_IbLb1EEEEDaS1L_S1M_EUlS1L_E_NS1_11comp_targetILNS1_3genE2ELNS1_11target_archE906ELNS1_3gpuE6ELNS1_3repE0EEENS1_30default_config_static_selectorELNS0_4arch9wavefront6targetE0EEEvSZ_.kd
    .uniform_work_group_size: 1
    .uses_dynamic_stack: false
    .vgpr_count:     0
    .vgpr_spill_count: 0
    .wavefront_size: 32
    .workgroup_processor_mode: 1
  - .args:
      - .offset:         0
        .size:           152
        .value_kind:     by_value
    .group_segment_fixed_size: 13320
    .kernarg_segment_align: 8
    .kernarg_segment_size: 152
    .language:       OpenCL C
    .language_version:
      - 2
      - 0
    .max_flat_workgroup_size: 256
    .name:           _ZN7rocprim17ROCPRIM_400000_NS6detail17trampoline_kernelINS0_13select_configILj256ELj13ELNS0_17block_load_methodE3ELS4_3ELS4_3ELNS0_20block_scan_algorithmE0ELj4294967295EEENS1_25partition_config_selectorILNS1_17partition_subalgoE3EjNS0_10empty_typeEbEEZZNS1_14partition_implILS8_3ELb0ES6_jNS0_17counting_iteratorIjlEEPS9_SE_NS0_5tupleIJPjSE_EEENSF_IJSE_SE_EEES9_SG_JZNS1_25segmented_radix_sort_implINS0_14default_configELb1EPK12hip_bfloat16PSL_PKlPlN2at6native12_GLOBAL__N_18offset_tEEE10hipError_tPvRmT1_PNSt15iterator_traitsISZ_E10value_typeET2_T3_PNS10_IS15_E10value_typeET4_jRbjT5_S1B_jjP12ihipStream_tbEUljE_EEESW_SX_SY_S15_S19_S1B_T6_T7_T9_mT8_S1D_bDpT10_ENKUlT_T0_E_clISt17integral_constantIbLb0EES1P_IbLb1EEEEDaS1L_S1M_EUlS1L_E_NS1_11comp_targetILNS1_3genE10ELNS1_11target_archE1200ELNS1_3gpuE4ELNS1_3repE0EEENS1_30default_config_static_selectorELNS0_4arch9wavefront6targetE0EEEvSZ_
    .private_segment_fixed_size: 0
    .sgpr_count:     28
    .sgpr_spill_count: 0
    .symbol:         _ZN7rocprim17ROCPRIM_400000_NS6detail17trampoline_kernelINS0_13select_configILj256ELj13ELNS0_17block_load_methodE3ELS4_3ELS4_3ELNS0_20block_scan_algorithmE0ELj4294967295EEENS1_25partition_config_selectorILNS1_17partition_subalgoE3EjNS0_10empty_typeEbEEZZNS1_14partition_implILS8_3ELb0ES6_jNS0_17counting_iteratorIjlEEPS9_SE_NS0_5tupleIJPjSE_EEENSF_IJSE_SE_EEES9_SG_JZNS1_25segmented_radix_sort_implINS0_14default_configELb1EPK12hip_bfloat16PSL_PKlPlN2at6native12_GLOBAL__N_18offset_tEEE10hipError_tPvRmT1_PNSt15iterator_traitsISZ_E10value_typeET2_T3_PNS10_IS15_E10value_typeET4_jRbjT5_S1B_jjP12ihipStream_tbEUljE_EEESW_SX_SY_S15_S19_S1B_T6_T7_T9_mT8_S1D_bDpT10_ENKUlT_T0_E_clISt17integral_constantIbLb0EES1P_IbLb1EEEEDaS1L_S1M_EUlS1L_E_NS1_11comp_targetILNS1_3genE10ELNS1_11target_archE1200ELNS1_3gpuE4ELNS1_3repE0EEENS1_30default_config_static_selectorELNS0_4arch9wavefront6targetE0EEEvSZ_.kd
    .uniform_work_group_size: 1
    .uses_dynamic_stack: false
    .vgpr_count:     71
    .vgpr_spill_count: 0
    .wavefront_size: 32
    .workgroup_processor_mode: 1
  - .args:
      - .offset:         0
        .size:           152
        .value_kind:     by_value
    .group_segment_fixed_size: 0
    .kernarg_segment_align: 8
    .kernarg_segment_size: 152
    .language:       OpenCL C
    .language_version:
      - 2
      - 0
    .max_flat_workgroup_size: 256
    .name:           _ZN7rocprim17ROCPRIM_400000_NS6detail17trampoline_kernelINS0_13select_configILj256ELj13ELNS0_17block_load_methodE3ELS4_3ELS4_3ELNS0_20block_scan_algorithmE0ELj4294967295EEENS1_25partition_config_selectorILNS1_17partition_subalgoE3EjNS0_10empty_typeEbEEZZNS1_14partition_implILS8_3ELb0ES6_jNS0_17counting_iteratorIjlEEPS9_SE_NS0_5tupleIJPjSE_EEENSF_IJSE_SE_EEES9_SG_JZNS1_25segmented_radix_sort_implINS0_14default_configELb1EPK12hip_bfloat16PSL_PKlPlN2at6native12_GLOBAL__N_18offset_tEEE10hipError_tPvRmT1_PNSt15iterator_traitsISZ_E10value_typeET2_T3_PNS10_IS15_E10value_typeET4_jRbjT5_S1B_jjP12ihipStream_tbEUljE_EEESW_SX_SY_S15_S19_S1B_T6_T7_T9_mT8_S1D_bDpT10_ENKUlT_T0_E_clISt17integral_constantIbLb0EES1P_IbLb1EEEEDaS1L_S1M_EUlS1L_E_NS1_11comp_targetILNS1_3genE9ELNS1_11target_archE1100ELNS1_3gpuE3ELNS1_3repE0EEENS1_30default_config_static_selectorELNS0_4arch9wavefront6targetE0EEEvSZ_
    .private_segment_fixed_size: 0
    .sgpr_count:     0
    .sgpr_spill_count: 0
    .symbol:         _ZN7rocprim17ROCPRIM_400000_NS6detail17trampoline_kernelINS0_13select_configILj256ELj13ELNS0_17block_load_methodE3ELS4_3ELS4_3ELNS0_20block_scan_algorithmE0ELj4294967295EEENS1_25partition_config_selectorILNS1_17partition_subalgoE3EjNS0_10empty_typeEbEEZZNS1_14partition_implILS8_3ELb0ES6_jNS0_17counting_iteratorIjlEEPS9_SE_NS0_5tupleIJPjSE_EEENSF_IJSE_SE_EEES9_SG_JZNS1_25segmented_radix_sort_implINS0_14default_configELb1EPK12hip_bfloat16PSL_PKlPlN2at6native12_GLOBAL__N_18offset_tEEE10hipError_tPvRmT1_PNSt15iterator_traitsISZ_E10value_typeET2_T3_PNS10_IS15_E10value_typeET4_jRbjT5_S1B_jjP12ihipStream_tbEUljE_EEESW_SX_SY_S15_S19_S1B_T6_T7_T9_mT8_S1D_bDpT10_ENKUlT_T0_E_clISt17integral_constantIbLb0EES1P_IbLb1EEEEDaS1L_S1M_EUlS1L_E_NS1_11comp_targetILNS1_3genE9ELNS1_11target_archE1100ELNS1_3gpuE3ELNS1_3repE0EEENS1_30default_config_static_selectorELNS0_4arch9wavefront6targetE0EEEvSZ_.kd
    .uniform_work_group_size: 1
    .uses_dynamic_stack: false
    .vgpr_count:     0
    .vgpr_spill_count: 0
    .wavefront_size: 32
    .workgroup_processor_mode: 1
  - .args:
      - .offset:         0
        .size:           152
        .value_kind:     by_value
    .group_segment_fixed_size: 0
    .kernarg_segment_align: 8
    .kernarg_segment_size: 152
    .language:       OpenCL C
    .language_version:
      - 2
      - 0
    .max_flat_workgroup_size: 256
    .name:           _ZN7rocprim17ROCPRIM_400000_NS6detail17trampoline_kernelINS0_13select_configILj256ELj13ELNS0_17block_load_methodE3ELS4_3ELS4_3ELNS0_20block_scan_algorithmE0ELj4294967295EEENS1_25partition_config_selectorILNS1_17partition_subalgoE3EjNS0_10empty_typeEbEEZZNS1_14partition_implILS8_3ELb0ES6_jNS0_17counting_iteratorIjlEEPS9_SE_NS0_5tupleIJPjSE_EEENSF_IJSE_SE_EEES9_SG_JZNS1_25segmented_radix_sort_implINS0_14default_configELb1EPK12hip_bfloat16PSL_PKlPlN2at6native12_GLOBAL__N_18offset_tEEE10hipError_tPvRmT1_PNSt15iterator_traitsISZ_E10value_typeET2_T3_PNS10_IS15_E10value_typeET4_jRbjT5_S1B_jjP12ihipStream_tbEUljE_EEESW_SX_SY_S15_S19_S1B_T6_T7_T9_mT8_S1D_bDpT10_ENKUlT_T0_E_clISt17integral_constantIbLb0EES1P_IbLb1EEEEDaS1L_S1M_EUlS1L_E_NS1_11comp_targetILNS1_3genE8ELNS1_11target_archE1030ELNS1_3gpuE2ELNS1_3repE0EEENS1_30default_config_static_selectorELNS0_4arch9wavefront6targetE0EEEvSZ_
    .private_segment_fixed_size: 0
    .sgpr_count:     0
    .sgpr_spill_count: 0
    .symbol:         _ZN7rocprim17ROCPRIM_400000_NS6detail17trampoline_kernelINS0_13select_configILj256ELj13ELNS0_17block_load_methodE3ELS4_3ELS4_3ELNS0_20block_scan_algorithmE0ELj4294967295EEENS1_25partition_config_selectorILNS1_17partition_subalgoE3EjNS0_10empty_typeEbEEZZNS1_14partition_implILS8_3ELb0ES6_jNS0_17counting_iteratorIjlEEPS9_SE_NS0_5tupleIJPjSE_EEENSF_IJSE_SE_EEES9_SG_JZNS1_25segmented_radix_sort_implINS0_14default_configELb1EPK12hip_bfloat16PSL_PKlPlN2at6native12_GLOBAL__N_18offset_tEEE10hipError_tPvRmT1_PNSt15iterator_traitsISZ_E10value_typeET2_T3_PNS10_IS15_E10value_typeET4_jRbjT5_S1B_jjP12ihipStream_tbEUljE_EEESW_SX_SY_S15_S19_S1B_T6_T7_T9_mT8_S1D_bDpT10_ENKUlT_T0_E_clISt17integral_constantIbLb0EES1P_IbLb1EEEEDaS1L_S1M_EUlS1L_E_NS1_11comp_targetILNS1_3genE8ELNS1_11target_archE1030ELNS1_3gpuE2ELNS1_3repE0EEENS1_30default_config_static_selectorELNS0_4arch9wavefront6targetE0EEEvSZ_.kd
    .uniform_work_group_size: 1
    .uses_dynamic_stack: false
    .vgpr_count:     0
    .vgpr_spill_count: 0
    .wavefront_size: 32
    .workgroup_processor_mode: 1
  - .args:
      - .offset:         0
        .size:           96
        .value_kind:     by_value
    .group_segment_fixed_size: 0
    .kernarg_segment_align: 8
    .kernarg_segment_size: 96
    .language:       OpenCL C
    .language_version:
      - 2
      - 0
    .max_flat_workgroup_size: 256
    .name:           _ZN7rocprim17ROCPRIM_400000_NS6detail17trampoline_kernelINS0_14default_configENS1_36segmented_radix_sort_config_selectorI12hip_bfloat16lEEZNS1_25segmented_radix_sort_implIS3_Lb1EPKS5_PS5_PKlPlN2at6native12_GLOBAL__N_18offset_tEEE10hipError_tPvRmT1_PNSt15iterator_traitsISL_E10value_typeET2_T3_PNSM_ISR_E10value_typeET4_jRbjT5_SX_jjP12ihipStream_tbEUlT_E_NS1_11comp_targetILNS1_3genE0ELNS1_11target_archE4294967295ELNS1_3gpuE0ELNS1_3repE0EEENS1_30default_config_static_selectorELNS0_4arch9wavefront6targetE0EEEvSL_
    .private_segment_fixed_size: 0
    .sgpr_count:     0
    .sgpr_spill_count: 0
    .symbol:         _ZN7rocprim17ROCPRIM_400000_NS6detail17trampoline_kernelINS0_14default_configENS1_36segmented_radix_sort_config_selectorI12hip_bfloat16lEEZNS1_25segmented_radix_sort_implIS3_Lb1EPKS5_PS5_PKlPlN2at6native12_GLOBAL__N_18offset_tEEE10hipError_tPvRmT1_PNSt15iterator_traitsISL_E10value_typeET2_T3_PNSM_ISR_E10value_typeET4_jRbjT5_SX_jjP12ihipStream_tbEUlT_E_NS1_11comp_targetILNS1_3genE0ELNS1_11target_archE4294967295ELNS1_3gpuE0ELNS1_3repE0EEENS1_30default_config_static_selectorELNS0_4arch9wavefront6targetE0EEEvSL_.kd
    .uniform_work_group_size: 1
    .uses_dynamic_stack: false
    .vgpr_count:     0
    .vgpr_spill_count: 0
    .wavefront_size: 32
    .workgroup_processor_mode: 1
  - .args:
      - .offset:         0
        .size:           96
        .value_kind:     by_value
    .group_segment_fixed_size: 0
    .kernarg_segment_align: 8
    .kernarg_segment_size: 96
    .language:       OpenCL C
    .language_version:
      - 2
      - 0
    .max_flat_workgroup_size: 256
    .name:           _ZN7rocprim17ROCPRIM_400000_NS6detail17trampoline_kernelINS0_14default_configENS1_36segmented_radix_sort_config_selectorI12hip_bfloat16lEEZNS1_25segmented_radix_sort_implIS3_Lb1EPKS5_PS5_PKlPlN2at6native12_GLOBAL__N_18offset_tEEE10hipError_tPvRmT1_PNSt15iterator_traitsISL_E10value_typeET2_T3_PNSM_ISR_E10value_typeET4_jRbjT5_SX_jjP12ihipStream_tbEUlT_E_NS1_11comp_targetILNS1_3genE5ELNS1_11target_archE942ELNS1_3gpuE9ELNS1_3repE0EEENS1_30default_config_static_selectorELNS0_4arch9wavefront6targetE0EEEvSL_
    .private_segment_fixed_size: 0
    .sgpr_count:     0
    .sgpr_spill_count: 0
    .symbol:         _ZN7rocprim17ROCPRIM_400000_NS6detail17trampoline_kernelINS0_14default_configENS1_36segmented_radix_sort_config_selectorI12hip_bfloat16lEEZNS1_25segmented_radix_sort_implIS3_Lb1EPKS5_PS5_PKlPlN2at6native12_GLOBAL__N_18offset_tEEE10hipError_tPvRmT1_PNSt15iterator_traitsISL_E10value_typeET2_T3_PNSM_ISR_E10value_typeET4_jRbjT5_SX_jjP12ihipStream_tbEUlT_E_NS1_11comp_targetILNS1_3genE5ELNS1_11target_archE942ELNS1_3gpuE9ELNS1_3repE0EEENS1_30default_config_static_selectorELNS0_4arch9wavefront6targetE0EEEvSL_.kd
    .uniform_work_group_size: 1
    .uses_dynamic_stack: false
    .vgpr_count:     0
    .vgpr_spill_count: 0
    .wavefront_size: 32
    .workgroup_processor_mode: 1
  - .args:
      - .offset:         0
        .size:           96
        .value_kind:     by_value
    .group_segment_fixed_size: 0
    .kernarg_segment_align: 8
    .kernarg_segment_size: 96
    .language:       OpenCL C
    .language_version:
      - 2
      - 0
    .max_flat_workgroup_size: 256
    .name:           _ZN7rocprim17ROCPRIM_400000_NS6detail17trampoline_kernelINS0_14default_configENS1_36segmented_radix_sort_config_selectorI12hip_bfloat16lEEZNS1_25segmented_radix_sort_implIS3_Lb1EPKS5_PS5_PKlPlN2at6native12_GLOBAL__N_18offset_tEEE10hipError_tPvRmT1_PNSt15iterator_traitsISL_E10value_typeET2_T3_PNSM_ISR_E10value_typeET4_jRbjT5_SX_jjP12ihipStream_tbEUlT_E_NS1_11comp_targetILNS1_3genE4ELNS1_11target_archE910ELNS1_3gpuE8ELNS1_3repE0EEENS1_30default_config_static_selectorELNS0_4arch9wavefront6targetE0EEEvSL_
    .private_segment_fixed_size: 0
    .sgpr_count:     0
    .sgpr_spill_count: 0
    .symbol:         _ZN7rocprim17ROCPRIM_400000_NS6detail17trampoline_kernelINS0_14default_configENS1_36segmented_radix_sort_config_selectorI12hip_bfloat16lEEZNS1_25segmented_radix_sort_implIS3_Lb1EPKS5_PS5_PKlPlN2at6native12_GLOBAL__N_18offset_tEEE10hipError_tPvRmT1_PNSt15iterator_traitsISL_E10value_typeET2_T3_PNSM_ISR_E10value_typeET4_jRbjT5_SX_jjP12ihipStream_tbEUlT_E_NS1_11comp_targetILNS1_3genE4ELNS1_11target_archE910ELNS1_3gpuE8ELNS1_3repE0EEENS1_30default_config_static_selectorELNS0_4arch9wavefront6targetE0EEEvSL_.kd
    .uniform_work_group_size: 1
    .uses_dynamic_stack: false
    .vgpr_count:     0
    .vgpr_spill_count: 0
    .wavefront_size: 32
    .workgroup_processor_mode: 1
  - .args:
      - .offset:         0
        .size:           96
        .value_kind:     by_value
    .group_segment_fixed_size: 0
    .kernarg_segment_align: 8
    .kernarg_segment_size: 96
    .language:       OpenCL C
    .language_version:
      - 2
      - 0
    .max_flat_workgroup_size: 256
    .name:           _ZN7rocprim17ROCPRIM_400000_NS6detail17trampoline_kernelINS0_14default_configENS1_36segmented_radix_sort_config_selectorI12hip_bfloat16lEEZNS1_25segmented_radix_sort_implIS3_Lb1EPKS5_PS5_PKlPlN2at6native12_GLOBAL__N_18offset_tEEE10hipError_tPvRmT1_PNSt15iterator_traitsISL_E10value_typeET2_T3_PNSM_ISR_E10value_typeET4_jRbjT5_SX_jjP12ihipStream_tbEUlT_E_NS1_11comp_targetILNS1_3genE3ELNS1_11target_archE908ELNS1_3gpuE7ELNS1_3repE0EEENS1_30default_config_static_selectorELNS0_4arch9wavefront6targetE0EEEvSL_
    .private_segment_fixed_size: 0
    .sgpr_count:     0
    .sgpr_spill_count: 0
    .symbol:         _ZN7rocprim17ROCPRIM_400000_NS6detail17trampoline_kernelINS0_14default_configENS1_36segmented_radix_sort_config_selectorI12hip_bfloat16lEEZNS1_25segmented_radix_sort_implIS3_Lb1EPKS5_PS5_PKlPlN2at6native12_GLOBAL__N_18offset_tEEE10hipError_tPvRmT1_PNSt15iterator_traitsISL_E10value_typeET2_T3_PNSM_ISR_E10value_typeET4_jRbjT5_SX_jjP12ihipStream_tbEUlT_E_NS1_11comp_targetILNS1_3genE3ELNS1_11target_archE908ELNS1_3gpuE7ELNS1_3repE0EEENS1_30default_config_static_selectorELNS0_4arch9wavefront6targetE0EEEvSL_.kd
    .uniform_work_group_size: 1
    .uses_dynamic_stack: false
    .vgpr_count:     0
    .vgpr_spill_count: 0
    .wavefront_size: 32
    .workgroup_processor_mode: 1
  - .args:
      - .offset:         0
        .size:           96
        .value_kind:     by_value
    .group_segment_fixed_size: 0
    .kernarg_segment_align: 8
    .kernarg_segment_size: 96
    .language:       OpenCL C
    .language_version:
      - 2
      - 0
    .max_flat_workgroup_size: 256
    .name:           _ZN7rocprim17ROCPRIM_400000_NS6detail17trampoline_kernelINS0_14default_configENS1_36segmented_radix_sort_config_selectorI12hip_bfloat16lEEZNS1_25segmented_radix_sort_implIS3_Lb1EPKS5_PS5_PKlPlN2at6native12_GLOBAL__N_18offset_tEEE10hipError_tPvRmT1_PNSt15iterator_traitsISL_E10value_typeET2_T3_PNSM_ISR_E10value_typeET4_jRbjT5_SX_jjP12ihipStream_tbEUlT_E_NS1_11comp_targetILNS1_3genE2ELNS1_11target_archE906ELNS1_3gpuE6ELNS1_3repE0EEENS1_30default_config_static_selectorELNS0_4arch9wavefront6targetE0EEEvSL_
    .private_segment_fixed_size: 0
    .sgpr_count:     0
    .sgpr_spill_count: 0
    .symbol:         _ZN7rocprim17ROCPRIM_400000_NS6detail17trampoline_kernelINS0_14default_configENS1_36segmented_radix_sort_config_selectorI12hip_bfloat16lEEZNS1_25segmented_radix_sort_implIS3_Lb1EPKS5_PS5_PKlPlN2at6native12_GLOBAL__N_18offset_tEEE10hipError_tPvRmT1_PNSt15iterator_traitsISL_E10value_typeET2_T3_PNSM_ISR_E10value_typeET4_jRbjT5_SX_jjP12ihipStream_tbEUlT_E_NS1_11comp_targetILNS1_3genE2ELNS1_11target_archE906ELNS1_3gpuE6ELNS1_3repE0EEENS1_30default_config_static_selectorELNS0_4arch9wavefront6targetE0EEEvSL_.kd
    .uniform_work_group_size: 1
    .uses_dynamic_stack: false
    .vgpr_count:     0
    .vgpr_spill_count: 0
    .wavefront_size: 32
    .workgroup_processor_mode: 1
  - .args:
      - .offset:         0
        .size:           96
        .value_kind:     by_value
      - .offset:         96
        .size:           4
        .value_kind:     hidden_block_count_x
      - .offset:         100
        .size:           4
        .value_kind:     hidden_block_count_y
      - .offset:         104
        .size:           4
        .value_kind:     hidden_block_count_z
      - .offset:         108
        .size:           2
        .value_kind:     hidden_group_size_x
      - .offset:         110
        .size:           2
        .value_kind:     hidden_group_size_y
      - .offset:         112
        .size:           2
        .value_kind:     hidden_group_size_z
      - .offset:         114
        .size:           2
        .value_kind:     hidden_remainder_x
      - .offset:         116
        .size:           2
        .value_kind:     hidden_remainder_y
      - .offset:         118
        .size:           2
        .value_kind:     hidden_remainder_z
      - .offset:         136
        .size:           8
        .value_kind:     hidden_global_offset_x
      - .offset:         144
        .size:           8
        .value_kind:     hidden_global_offset_y
      - .offset:         152
        .size:           8
        .value_kind:     hidden_global_offset_z
      - .offset:         160
        .size:           2
        .value_kind:     hidden_grid_dims
    .group_segment_fixed_size: 17440
    .kernarg_segment_align: 8
    .kernarg_segment_size: 352
    .language:       OpenCL C
    .language_version:
      - 2
      - 0
    .max_flat_workgroup_size: 256
    .name:           _ZN7rocprim17ROCPRIM_400000_NS6detail17trampoline_kernelINS0_14default_configENS1_36segmented_radix_sort_config_selectorI12hip_bfloat16lEEZNS1_25segmented_radix_sort_implIS3_Lb1EPKS5_PS5_PKlPlN2at6native12_GLOBAL__N_18offset_tEEE10hipError_tPvRmT1_PNSt15iterator_traitsISL_E10value_typeET2_T3_PNSM_ISR_E10value_typeET4_jRbjT5_SX_jjP12ihipStream_tbEUlT_E_NS1_11comp_targetILNS1_3genE10ELNS1_11target_archE1201ELNS1_3gpuE5ELNS1_3repE0EEENS1_30default_config_static_selectorELNS0_4arch9wavefront6targetE0EEEvSL_
    .private_segment_fixed_size: 0
    .sgpr_count:     52
    .sgpr_spill_count: 0
    .symbol:         _ZN7rocprim17ROCPRIM_400000_NS6detail17trampoline_kernelINS0_14default_configENS1_36segmented_radix_sort_config_selectorI12hip_bfloat16lEEZNS1_25segmented_radix_sort_implIS3_Lb1EPKS5_PS5_PKlPlN2at6native12_GLOBAL__N_18offset_tEEE10hipError_tPvRmT1_PNSt15iterator_traitsISL_E10value_typeET2_T3_PNSM_ISR_E10value_typeET4_jRbjT5_SX_jjP12ihipStream_tbEUlT_E_NS1_11comp_targetILNS1_3genE10ELNS1_11target_archE1201ELNS1_3gpuE5ELNS1_3repE0EEENS1_30default_config_static_selectorELNS0_4arch9wavefront6targetE0EEEvSL_.kd
    .uniform_work_group_size: 1
    .uses_dynamic_stack: false
    .vgpr_count:     198
    .vgpr_spill_count: 0
    .wavefront_size: 32
    .workgroup_processor_mode: 1
  - .args:
      - .offset:         0
        .size:           96
        .value_kind:     by_value
    .group_segment_fixed_size: 0
    .kernarg_segment_align: 8
    .kernarg_segment_size: 96
    .language:       OpenCL C
    .language_version:
      - 2
      - 0
    .max_flat_workgroup_size: 128
    .name:           _ZN7rocprim17ROCPRIM_400000_NS6detail17trampoline_kernelINS0_14default_configENS1_36segmented_radix_sort_config_selectorI12hip_bfloat16lEEZNS1_25segmented_radix_sort_implIS3_Lb1EPKS5_PS5_PKlPlN2at6native12_GLOBAL__N_18offset_tEEE10hipError_tPvRmT1_PNSt15iterator_traitsISL_E10value_typeET2_T3_PNSM_ISR_E10value_typeET4_jRbjT5_SX_jjP12ihipStream_tbEUlT_E_NS1_11comp_targetILNS1_3genE10ELNS1_11target_archE1200ELNS1_3gpuE4ELNS1_3repE0EEENS1_30default_config_static_selectorELNS0_4arch9wavefront6targetE0EEEvSL_
    .private_segment_fixed_size: 0
    .sgpr_count:     0
    .sgpr_spill_count: 0
    .symbol:         _ZN7rocprim17ROCPRIM_400000_NS6detail17trampoline_kernelINS0_14default_configENS1_36segmented_radix_sort_config_selectorI12hip_bfloat16lEEZNS1_25segmented_radix_sort_implIS3_Lb1EPKS5_PS5_PKlPlN2at6native12_GLOBAL__N_18offset_tEEE10hipError_tPvRmT1_PNSt15iterator_traitsISL_E10value_typeET2_T3_PNSM_ISR_E10value_typeET4_jRbjT5_SX_jjP12ihipStream_tbEUlT_E_NS1_11comp_targetILNS1_3genE10ELNS1_11target_archE1200ELNS1_3gpuE4ELNS1_3repE0EEENS1_30default_config_static_selectorELNS0_4arch9wavefront6targetE0EEEvSL_.kd
    .uniform_work_group_size: 1
    .uses_dynamic_stack: false
    .vgpr_count:     0
    .vgpr_spill_count: 0
    .wavefront_size: 32
    .workgroup_processor_mode: 1
  - .args:
      - .offset:         0
        .size:           96
        .value_kind:     by_value
    .group_segment_fixed_size: 0
    .kernarg_segment_align: 8
    .kernarg_segment_size: 96
    .language:       OpenCL C
    .language_version:
      - 2
      - 0
    .max_flat_workgroup_size: 256
    .name:           _ZN7rocprim17ROCPRIM_400000_NS6detail17trampoline_kernelINS0_14default_configENS1_36segmented_radix_sort_config_selectorI12hip_bfloat16lEEZNS1_25segmented_radix_sort_implIS3_Lb1EPKS5_PS5_PKlPlN2at6native12_GLOBAL__N_18offset_tEEE10hipError_tPvRmT1_PNSt15iterator_traitsISL_E10value_typeET2_T3_PNSM_ISR_E10value_typeET4_jRbjT5_SX_jjP12ihipStream_tbEUlT_E_NS1_11comp_targetILNS1_3genE9ELNS1_11target_archE1100ELNS1_3gpuE3ELNS1_3repE0EEENS1_30default_config_static_selectorELNS0_4arch9wavefront6targetE0EEEvSL_
    .private_segment_fixed_size: 0
    .sgpr_count:     0
    .sgpr_spill_count: 0
    .symbol:         _ZN7rocprim17ROCPRIM_400000_NS6detail17trampoline_kernelINS0_14default_configENS1_36segmented_radix_sort_config_selectorI12hip_bfloat16lEEZNS1_25segmented_radix_sort_implIS3_Lb1EPKS5_PS5_PKlPlN2at6native12_GLOBAL__N_18offset_tEEE10hipError_tPvRmT1_PNSt15iterator_traitsISL_E10value_typeET2_T3_PNSM_ISR_E10value_typeET4_jRbjT5_SX_jjP12ihipStream_tbEUlT_E_NS1_11comp_targetILNS1_3genE9ELNS1_11target_archE1100ELNS1_3gpuE3ELNS1_3repE0EEENS1_30default_config_static_selectorELNS0_4arch9wavefront6targetE0EEEvSL_.kd
    .uniform_work_group_size: 1
    .uses_dynamic_stack: false
    .vgpr_count:     0
    .vgpr_spill_count: 0
    .wavefront_size: 32
    .workgroup_processor_mode: 1
  - .args:
      - .offset:         0
        .size:           96
        .value_kind:     by_value
    .group_segment_fixed_size: 0
    .kernarg_segment_align: 8
    .kernarg_segment_size: 96
    .language:       OpenCL C
    .language_version:
      - 2
      - 0
    .max_flat_workgroup_size: 256
    .name:           _ZN7rocprim17ROCPRIM_400000_NS6detail17trampoline_kernelINS0_14default_configENS1_36segmented_radix_sort_config_selectorI12hip_bfloat16lEEZNS1_25segmented_radix_sort_implIS3_Lb1EPKS5_PS5_PKlPlN2at6native12_GLOBAL__N_18offset_tEEE10hipError_tPvRmT1_PNSt15iterator_traitsISL_E10value_typeET2_T3_PNSM_ISR_E10value_typeET4_jRbjT5_SX_jjP12ihipStream_tbEUlT_E_NS1_11comp_targetILNS1_3genE8ELNS1_11target_archE1030ELNS1_3gpuE2ELNS1_3repE0EEENS1_30default_config_static_selectorELNS0_4arch9wavefront6targetE0EEEvSL_
    .private_segment_fixed_size: 0
    .sgpr_count:     0
    .sgpr_spill_count: 0
    .symbol:         _ZN7rocprim17ROCPRIM_400000_NS6detail17trampoline_kernelINS0_14default_configENS1_36segmented_radix_sort_config_selectorI12hip_bfloat16lEEZNS1_25segmented_radix_sort_implIS3_Lb1EPKS5_PS5_PKlPlN2at6native12_GLOBAL__N_18offset_tEEE10hipError_tPvRmT1_PNSt15iterator_traitsISL_E10value_typeET2_T3_PNSM_ISR_E10value_typeET4_jRbjT5_SX_jjP12ihipStream_tbEUlT_E_NS1_11comp_targetILNS1_3genE8ELNS1_11target_archE1030ELNS1_3gpuE2ELNS1_3repE0EEENS1_30default_config_static_selectorELNS0_4arch9wavefront6targetE0EEEvSL_.kd
    .uniform_work_group_size: 1
    .uses_dynamic_stack: false
    .vgpr_count:     0
    .vgpr_spill_count: 0
    .wavefront_size: 32
    .workgroup_processor_mode: 1
  - .args:
      - .offset:         0
        .size:           88
        .value_kind:     by_value
    .group_segment_fixed_size: 0
    .kernarg_segment_align: 8
    .kernarg_segment_size: 88
    .language:       OpenCL C
    .language_version:
      - 2
      - 0
    .max_flat_workgroup_size: 256
    .name:           _ZN7rocprim17ROCPRIM_400000_NS6detail17trampoline_kernelINS0_14default_configENS1_36segmented_radix_sort_config_selectorI12hip_bfloat16lEEZNS1_25segmented_radix_sort_implIS3_Lb1EPKS5_PS5_PKlPlN2at6native12_GLOBAL__N_18offset_tEEE10hipError_tPvRmT1_PNSt15iterator_traitsISL_E10value_typeET2_T3_PNSM_ISR_E10value_typeET4_jRbjT5_SX_jjP12ihipStream_tbEUlT_E0_NS1_11comp_targetILNS1_3genE0ELNS1_11target_archE4294967295ELNS1_3gpuE0ELNS1_3repE0EEENS1_60segmented_radix_sort_warp_sort_medium_config_static_selectorELNS0_4arch9wavefront6targetE0EEEvSL_
    .private_segment_fixed_size: 0
    .sgpr_count:     0
    .sgpr_spill_count: 0
    .symbol:         _ZN7rocprim17ROCPRIM_400000_NS6detail17trampoline_kernelINS0_14default_configENS1_36segmented_radix_sort_config_selectorI12hip_bfloat16lEEZNS1_25segmented_radix_sort_implIS3_Lb1EPKS5_PS5_PKlPlN2at6native12_GLOBAL__N_18offset_tEEE10hipError_tPvRmT1_PNSt15iterator_traitsISL_E10value_typeET2_T3_PNSM_ISR_E10value_typeET4_jRbjT5_SX_jjP12ihipStream_tbEUlT_E0_NS1_11comp_targetILNS1_3genE0ELNS1_11target_archE4294967295ELNS1_3gpuE0ELNS1_3repE0EEENS1_60segmented_radix_sort_warp_sort_medium_config_static_selectorELNS0_4arch9wavefront6targetE0EEEvSL_.kd
    .uniform_work_group_size: 1
    .uses_dynamic_stack: false
    .vgpr_count:     0
    .vgpr_spill_count: 0
    .wavefront_size: 32
    .workgroup_processor_mode: 1
  - .args:
      - .offset:         0
        .size:           88
        .value_kind:     by_value
    .group_segment_fixed_size: 0
    .kernarg_segment_align: 8
    .kernarg_segment_size: 88
    .language:       OpenCL C
    .language_version:
      - 2
      - 0
    .max_flat_workgroup_size: 256
    .name:           _ZN7rocprim17ROCPRIM_400000_NS6detail17trampoline_kernelINS0_14default_configENS1_36segmented_radix_sort_config_selectorI12hip_bfloat16lEEZNS1_25segmented_radix_sort_implIS3_Lb1EPKS5_PS5_PKlPlN2at6native12_GLOBAL__N_18offset_tEEE10hipError_tPvRmT1_PNSt15iterator_traitsISL_E10value_typeET2_T3_PNSM_ISR_E10value_typeET4_jRbjT5_SX_jjP12ihipStream_tbEUlT_E0_NS1_11comp_targetILNS1_3genE5ELNS1_11target_archE942ELNS1_3gpuE9ELNS1_3repE0EEENS1_60segmented_radix_sort_warp_sort_medium_config_static_selectorELNS0_4arch9wavefront6targetE0EEEvSL_
    .private_segment_fixed_size: 0
    .sgpr_count:     0
    .sgpr_spill_count: 0
    .symbol:         _ZN7rocprim17ROCPRIM_400000_NS6detail17trampoline_kernelINS0_14default_configENS1_36segmented_radix_sort_config_selectorI12hip_bfloat16lEEZNS1_25segmented_radix_sort_implIS3_Lb1EPKS5_PS5_PKlPlN2at6native12_GLOBAL__N_18offset_tEEE10hipError_tPvRmT1_PNSt15iterator_traitsISL_E10value_typeET2_T3_PNSM_ISR_E10value_typeET4_jRbjT5_SX_jjP12ihipStream_tbEUlT_E0_NS1_11comp_targetILNS1_3genE5ELNS1_11target_archE942ELNS1_3gpuE9ELNS1_3repE0EEENS1_60segmented_radix_sort_warp_sort_medium_config_static_selectorELNS0_4arch9wavefront6targetE0EEEvSL_.kd
    .uniform_work_group_size: 1
    .uses_dynamic_stack: false
    .vgpr_count:     0
    .vgpr_spill_count: 0
    .wavefront_size: 32
    .workgroup_processor_mode: 1
  - .args:
      - .offset:         0
        .size:           88
        .value_kind:     by_value
    .group_segment_fixed_size: 0
    .kernarg_segment_align: 8
    .kernarg_segment_size: 88
    .language:       OpenCL C
    .language_version:
      - 2
      - 0
    .max_flat_workgroup_size: 256
    .name:           _ZN7rocprim17ROCPRIM_400000_NS6detail17trampoline_kernelINS0_14default_configENS1_36segmented_radix_sort_config_selectorI12hip_bfloat16lEEZNS1_25segmented_radix_sort_implIS3_Lb1EPKS5_PS5_PKlPlN2at6native12_GLOBAL__N_18offset_tEEE10hipError_tPvRmT1_PNSt15iterator_traitsISL_E10value_typeET2_T3_PNSM_ISR_E10value_typeET4_jRbjT5_SX_jjP12ihipStream_tbEUlT_E0_NS1_11comp_targetILNS1_3genE4ELNS1_11target_archE910ELNS1_3gpuE8ELNS1_3repE0EEENS1_60segmented_radix_sort_warp_sort_medium_config_static_selectorELNS0_4arch9wavefront6targetE0EEEvSL_
    .private_segment_fixed_size: 0
    .sgpr_count:     0
    .sgpr_spill_count: 0
    .symbol:         _ZN7rocprim17ROCPRIM_400000_NS6detail17trampoline_kernelINS0_14default_configENS1_36segmented_radix_sort_config_selectorI12hip_bfloat16lEEZNS1_25segmented_radix_sort_implIS3_Lb1EPKS5_PS5_PKlPlN2at6native12_GLOBAL__N_18offset_tEEE10hipError_tPvRmT1_PNSt15iterator_traitsISL_E10value_typeET2_T3_PNSM_ISR_E10value_typeET4_jRbjT5_SX_jjP12ihipStream_tbEUlT_E0_NS1_11comp_targetILNS1_3genE4ELNS1_11target_archE910ELNS1_3gpuE8ELNS1_3repE0EEENS1_60segmented_radix_sort_warp_sort_medium_config_static_selectorELNS0_4arch9wavefront6targetE0EEEvSL_.kd
    .uniform_work_group_size: 1
    .uses_dynamic_stack: false
    .vgpr_count:     0
    .vgpr_spill_count: 0
    .wavefront_size: 32
    .workgroup_processor_mode: 1
  - .args:
      - .offset:         0
        .size:           88
        .value_kind:     by_value
    .group_segment_fixed_size: 0
    .kernarg_segment_align: 8
    .kernarg_segment_size: 88
    .language:       OpenCL C
    .language_version:
      - 2
      - 0
    .max_flat_workgroup_size: 256
    .name:           _ZN7rocprim17ROCPRIM_400000_NS6detail17trampoline_kernelINS0_14default_configENS1_36segmented_radix_sort_config_selectorI12hip_bfloat16lEEZNS1_25segmented_radix_sort_implIS3_Lb1EPKS5_PS5_PKlPlN2at6native12_GLOBAL__N_18offset_tEEE10hipError_tPvRmT1_PNSt15iterator_traitsISL_E10value_typeET2_T3_PNSM_ISR_E10value_typeET4_jRbjT5_SX_jjP12ihipStream_tbEUlT_E0_NS1_11comp_targetILNS1_3genE3ELNS1_11target_archE908ELNS1_3gpuE7ELNS1_3repE0EEENS1_60segmented_radix_sort_warp_sort_medium_config_static_selectorELNS0_4arch9wavefront6targetE0EEEvSL_
    .private_segment_fixed_size: 0
    .sgpr_count:     0
    .sgpr_spill_count: 0
    .symbol:         _ZN7rocprim17ROCPRIM_400000_NS6detail17trampoline_kernelINS0_14default_configENS1_36segmented_radix_sort_config_selectorI12hip_bfloat16lEEZNS1_25segmented_radix_sort_implIS3_Lb1EPKS5_PS5_PKlPlN2at6native12_GLOBAL__N_18offset_tEEE10hipError_tPvRmT1_PNSt15iterator_traitsISL_E10value_typeET2_T3_PNSM_ISR_E10value_typeET4_jRbjT5_SX_jjP12ihipStream_tbEUlT_E0_NS1_11comp_targetILNS1_3genE3ELNS1_11target_archE908ELNS1_3gpuE7ELNS1_3repE0EEENS1_60segmented_radix_sort_warp_sort_medium_config_static_selectorELNS0_4arch9wavefront6targetE0EEEvSL_.kd
    .uniform_work_group_size: 1
    .uses_dynamic_stack: false
    .vgpr_count:     0
    .vgpr_spill_count: 0
    .wavefront_size: 32
    .workgroup_processor_mode: 1
  - .args:
      - .offset:         0
        .size:           88
        .value_kind:     by_value
    .group_segment_fixed_size: 0
    .kernarg_segment_align: 8
    .kernarg_segment_size: 88
    .language:       OpenCL C
    .language_version:
      - 2
      - 0
    .max_flat_workgroup_size: 256
    .name:           _ZN7rocprim17ROCPRIM_400000_NS6detail17trampoline_kernelINS0_14default_configENS1_36segmented_radix_sort_config_selectorI12hip_bfloat16lEEZNS1_25segmented_radix_sort_implIS3_Lb1EPKS5_PS5_PKlPlN2at6native12_GLOBAL__N_18offset_tEEE10hipError_tPvRmT1_PNSt15iterator_traitsISL_E10value_typeET2_T3_PNSM_ISR_E10value_typeET4_jRbjT5_SX_jjP12ihipStream_tbEUlT_E0_NS1_11comp_targetILNS1_3genE2ELNS1_11target_archE906ELNS1_3gpuE6ELNS1_3repE0EEENS1_60segmented_radix_sort_warp_sort_medium_config_static_selectorELNS0_4arch9wavefront6targetE0EEEvSL_
    .private_segment_fixed_size: 0
    .sgpr_count:     0
    .sgpr_spill_count: 0
    .symbol:         _ZN7rocprim17ROCPRIM_400000_NS6detail17trampoline_kernelINS0_14default_configENS1_36segmented_radix_sort_config_selectorI12hip_bfloat16lEEZNS1_25segmented_radix_sort_implIS3_Lb1EPKS5_PS5_PKlPlN2at6native12_GLOBAL__N_18offset_tEEE10hipError_tPvRmT1_PNSt15iterator_traitsISL_E10value_typeET2_T3_PNSM_ISR_E10value_typeET4_jRbjT5_SX_jjP12ihipStream_tbEUlT_E0_NS1_11comp_targetILNS1_3genE2ELNS1_11target_archE906ELNS1_3gpuE6ELNS1_3repE0EEENS1_60segmented_radix_sort_warp_sort_medium_config_static_selectorELNS0_4arch9wavefront6targetE0EEEvSL_.kd
    .uniform_work_group_size: 1
    .uses_dynamic_stack: false
    .vgpr_count:     0
    .vgpr_spill_count: 0
    .wavefront_size: 32
    .workgroup_processor_mode: 1
  - .args:
      - .offset:         0
        .size:           88
        .value_kind:     by_value
      - .offset:         88
        .size:           4
        .value_kind:     hidden_block_count_x
      - .offset:         92
        .size:           4
        .value_kind:     hidden_block_count_y
      - .offset:         96
        .size:           4
        .value_kind:     hidden_block_count_z
      - .offset:         100
        .size:           2
        .value_kind:     hidden_group_size_x
      - .offset:         102
        .size:           2
        .value_kind:     hidden_group_size_y
      - .offset:         104
        .size:           2
        .value_kind:     hidden_group_size_z
      - .offset:         106
        .size:           2
        .value_kind:     hidden_remainder_x
      - .offset:         108
        .size:           2
        .value_kind:     hidden_remainder_y
      - .offset:         110
        .size:           2
        .value_kind:     hidden_remainder_z
      - .offset:         128
        .size:           8
        .value_kind:     hidden_global_offset_x
      - .offset:         136
        .size:           8
        .value_kind:     hidden_global_offset_y
      - .offset:         144
        .size:           8
        .value_kind:     hidden_global_offset_z
      - .offset:         152
        .size:           2
        .value_kind:     hidden_grid_dims
    .group_segment_fixed_size: 20480
    .kernarg_segment_align: 8
    .kernarg_segment_size: 344
    .language:       OpenCL C
    .language_version:
      - 2
      - 0
    .max_flat_workgroup_size: 256
    .name:           _ZN7rocprim17ROCPRIM_400000_NS6detail17trampoline_kernelINS0_14default_configENS1_36segmented_radix_sort_config_selectorI12hip_bfloat16lEEZNS1_25segmented_radix_sort_implIS3_Lb1EPKS5_PS5_PKlPlN2at6native12_GLOBAL__N_18offset_tEEE10hipError_tPvRmT1_PNSt15iterator_traitsISL_E10value_typeET2_T3_PNSM_ISR_E10value_typeET4_jRbjT5_SX_jjP12ihipStream_tbEUlT_E0_NS1_11comp_targetILNS1_3genE10ELNS1_11target_archE1201ELNS1_3gpuE5ELNS1_3repE0EEENS1_60segmented_radix_sort_warp_sort_medium_config_static_selectorELNS0_4arch9wavefront6targetE0EEEvSL_
    .private_segment_fixed_size: 0
    .sgpr_count:     46
    .sgpr_spill_count: 0
    .symbol:         _ZN7rocprim17ROCPRIM_400000_NS6detail17trampoline_kernelINS0_14default_configENS1_36segmented_radix_sort_config_selectorI12hip_bfloat16lEEZNS1_25segmented_radix_sort_implIS3_Lb1EPKS5_PS5_PKlPlN2at6native12_GLOBAL__N_18offset_tEEE10hipError_tPvRmT1_PNSt15iterator_traitsISL_E10value_typeET2_T3_PNSM_ISR_E10value_typeET4_jRbjT5_SX_jjP12ihipStream_tbEUlT_E0_NS1_11comp_targetILNS1_3genE10ELNS1_11target_archE1201ELNS1_3gpuE5ELNS1_3repE0EEENS1_60segmented_radix_sort_warp_sort_medium_config_static_selectorELNS0_4arch9wavefront6targetE0EEEvSL_.kd
    .uniform_work_group_size: 1
    .uses_dynamic_stack: false
    .vgpr_count:     81
    .vgpr_spill_count: 0
    .wavefront_size: 32
    .workgroup_processor_mode: 1
  - .args:
      - .offset:         0
        .size:           88
        .value_kind:     by_value
    .group_segment_fixed_size: 0
    .kernarg_segment_align: 8
    .kernarg_segment_size: 88
    .language:       OpenCL C
    .language_version:
      - 2
      - 0
    .max_flat_workgroup_size: 256
    .name:           _ZN7rocprim17ROCPRIM_400000_NS6detail17trampoline_kernelINS0_14default_configENS1_36segmented_radix_sort_config_selectorI12hip_bfloat16lEEZNS1_25segmented_radix_sort_implIS3_Lb1EPKS5_PS5_PKlPlN2at6native12_GLOBAL__N_18offset_tEEE10hipError_tPvRmT1_PNSt15iterator_traitsISL_E10value_typeET2_T3_PNSM_ISR_E10value_typeET4_jRbjT5_SX_jjP12ihipStream_tbEUlT_E0_NS1_11comp_targetILNS1_3genE10ELNS1_11target_archE1200ELNS1_3gpuE4ELNS1_3repE0EEENS1_60segmented_radix_sort_warp_sort_medium_config_static_selectorELNS0_4arch9wavefront6targetE0EEEvSL_
    .private_segment_fixed_size: 0
    .sgpr_count:     0
    .sgpr_spill_count: 0
    .symbol:         _ZN7rocprim17ROCPRIM_400000_NS6detail17trampoline_kernelINS0_14default_configENS1_36segmented_radix_sort_config_selectorI12hip_bfloat16lEEZNS1_25segmented_radix_sort_implIS3_Lb1EPKS5_PS5_PKlPlN2at6native12_GLOBAL__N_18offset_tEEE10hipError_tPvRmT1_PNSt15iterator_traitsISL_E10value_typeET2_T3_PNSM_ISR_E10value_typeET4_jRbjT5_SX_jjP12ihipStream_tbEUlT_E0_NS1_11comp_targetILNS1_3genE10ELNS1_11target_archE1200ELNS1_3gpuE4ELNS1_3repE0EEENS1_60segmented_radix_sort_warp_sort_medium_config_static_selectorELNS0_4arch9wavefront6targetE0EEEvSL_.kd
    .uniform_work_group_size: 1
    .uses_dynamic_stack: false
    .vgpr_count:     0
    .vgpr_spill_count: 0
    .wavefront_size: 32
    .workgroup_processor_mode: 1
  - .args:
      - .offset:         0
        .size:           88
        .value_kind:     by_value
    .group_segment_fixed_size: 0
    .kernarg_segment_align: 8
    .kernarg_segment_size: 88
    .language:       OpenCL C
    .language_version:
      - 2
      - 0
    .max_flat_workgroup_size: 256
    .name:           _ZN7rocprim17ROCPRIM_400000_NS6detail17trampoline_kernelINS0_14default_configENS1_36segmented_radix_sort_config_selectorI12hip_bfloat16lEEZNS1_25segmented_radix_sort_implIS3_Lb1EPKS5_PS5_PKlPlN2at6native12_GLOBAL__N_18offset_tEEE10hipError_tPvRmT1_PNSt15iterator_traitsISL_E10value_typeET2_T3_PNSM_ISR_E10value_typeET4_jRbjT5_SX_jjP12ihipStream_tbEUlT_E0_NS1_11comp_targetILNS1_3genE9ELNS1_11target_archE1100ELNS1_3gpuE3ELNS1_3repE0EEENS1_60segmented_radix_sort_warp_sort_medium_config_static_selectorELNS0_4arch9wavefront6targetE0EEEvSL_
    .private_segment_fixed_size: 0
    .sgpr_count:     0
    .sgpr_spill_count: 0
    .symbol:         _ZN7rocprim17ROCPRIM_400000_NS6detail17trampoline_kernelINS0_14default_configENS1_36segmented_radix_sort_config_selectorI12hip_bfloat16lEEZNS1_25segmented_radix_sort_implIS3_Lb1EPKS5_PS5_PKlPlN2at6native12_GLOBAL__N_18offset_tEEE10hipError_tPvRmT1_PNSt15iterator_traitsISL_E10value_typeET2_T3_PNSM_ISR_E10value_typeET4_jRbjT5_SX_jjP12ihipStream_tbEUlT_E0_NS1_11comp_targetILNS1_3genE9ELNS1_11target_archE1100ELNS1_3gpuE3ELNS1_3repE0EEENS1_60segmented_radix_sort_warp_sort_medium_config_static_selectorELNS0_4arch9wavefront6targetE0EEEvSL_.kd
    .uniform_work_group_size: 1
    .uses_dynamic_stack: false
    .vgpr_count:     0
    .vgpr_spill_count: 0
    .wavefront_size: 32
    .workgroup_processor_mode: 1
  - .args:
      - .offset:         0
        .size:           88
        .value_kind:     by_value
    .group_segment_fixed_size: 0
    .kernarg_segment_align: 8
    .kernarg_segment_size: 88
    .language:       OpenCL C
    .language_version:
      - 2
      - 0
    .max_flat_workgroup_size: 256
    .name:           _ZN7rocprim17ROCPRIM_400000_NS6detail17trampoline_kernelINS0_14default_configENS1_36segmented_radix_sort_config_selectorI12hip_bfloat16lEEZNS1_25segmented_radix_sort_implIS3_Lb1EPKS5_PS5_PKlPlN2at6native12_GLOBAL__N_18offset_tEEE10hipError_tPvRmT1_PNSt15iterator_traitsISL_E10value_typeET2_T3_PNSM_ISR_E10value_typeET4_jRbjT5_SX_jjP12ihipStream_tbEUlT_E0_NS1_11comp_targetILNS1_3genE8ELNS1_11target_archE1030ELNS1_3gpuE2ELNS1_3repE0EEENS1_60segmented_radix_sort_warp_sort_medium_config_static_selectorELNS0_4arch9wavefront6targetE0EEEvSL_
    .private_segment_fixed_size: 0
    .sgpr_count:     0
    .sgpr_spill_count: 0
    .symbol:         _ZN7rocprim17ROCPRIM_400000_NS6detail17trampoline_kernelINS0_14default_configENS1_36segmented_radix_sort_config_selectorI12hip_bfloat16lEEZNS1_25segmented_radix_sort_implIS3_Lb1EPKS5_PS5_PKlPlN2at6native12_GLOBAL__N_18offset_tEEE10hipError_tPvRmT1_PNSt15iterator_traitsISL_E10value_typeET2_T3_PNSM_ISR_E10value_typeET4_jRbjT5_SX_jjP12ihipStream_tbEUlT_E0_NS1_11comp_targetILNS1_3genE8ELNS1_11target_archE1030ELNS1_3gpuE2ELNS1_3repE0EEENS1_60segmented_radix_sort_warp_sort_medium_config_static_selectorELNS0_4arch9wavefront6targetE0EEEvSL_.kd
    .uniform_work_group_size: 1
    .uses_dynamic_stack: false
    .vgpr_count:     0
    .vgpr_spill_count: 0
    .wavefront_size: 32
    .workgroup_processor_mode: 1
  - .args:
      - .offset:         0
        .size:           88
        .value_kind:     by_value
    .group_segment_fixed_size: 0
    .kernarg_segment_align: 8
    .kernarg_segment_size: 88
    .language:       OpenCL C
    .language_version:
      - 2
      - 0
    .max_flat_workgroup_size: 256
    .name:           _ZN7rocprim17ROCPRIM_400000_NS6detail17trampoline_kernelINS0_14default_configENS1_36segmented_radix_sort_config_selectorI12hip_bfloat16lEEZNS1_25segmented_radix_sort_implIS3_Lb1EPKS5_PS5_PKlPlN2at6native12_GLOBAL__N_18offset_tEEE10hipError_tPvRmT1_PNSt15iterator_traitsISL_E10value_typeET2_T3_PNSM_ISR_E10value_typeET4_jRbjT5_SX_jjP12ihipStream_tbEUlT_E1_NS1_11comp_targetILNS1_3genE0ELNS1_11target_archE4294967295ELNS1_3gpuE0ELNS1_3repE0EEENS1_59segmented_radix_sort_warp_sort_small_config_static_selectorELNS0_4arch9wavefront6targetE0EEEvSL_
    .private_segment_fixed_size: 0
    .sgpr_count:     0
    .sgpr_spill_count: 0
    .symbol:         _ZN7rocprim17ROCPRIM_400000_NS6detail17trampoline_kernelINS0_14default_configENS1_36segmented_radix_sort_config_selectorI12hip_bfloat16lEEZNS1_25segmented_radix_sort_implIS3_Lb1EPKS5_PS5_PKlPlN2at6native12_GLOBAL__N_18offset_tEEE10hipError_tPvRmT1_PNSt15iterator_traitsISL_E10value_typeET2_T3_PNSM_ISR_E10value_typeET4_jRbjT5_SX_jjP12ihipStream_tbEUlT_E1_NS1_11comp_targetILNS1_3genE0ELNS1_11target_archE4294967295ELNS1_3gpuE0ELNS1_3repE0EEENS1_59segmented_radix_sort_warp_sort_small_config_static_selectorELNS0_4arch9wavefront6targetE0EEEvSL_.kd
    .uniform_work_group_size: 1
    .uses_dynamic_stack: false
    .vgpr_count:     0
    .vgpr_spill_count: 0
    .wavefront_size: 32
    .workgroup_processor_mode: 1
  - .args:
      - .offset:         0
        .size:           88
        .value_kind:     by_value
    .group_segment_fixed_size: 0
    .kernarg_segment_align: 8
    .kernarg_segment_size: 88
    .language:       OpenCL C
    .language_version:
      - 2
      - 0
    .max_flat_workgroup_size: 256
    .name:           _ZN7rocprim17ROCPRIM_400000_NS6detail17trampoline_kernelINS0_14default_configENS1_36segmented_radix_sort_config_selectorI12hip_bfloat16lEEZNS1_25segmented_radix_sort_implIS3_Lb1EPKS5_PS5_PKlPlN2at6native12_GLOBAL__N_18offset_tEEE10hipError_tPvRmT1_PNSt15iterator_traitsISL_E10value_typeET2_T3_PNSM_ISR_E10value_typeET4_jRbjT5_SX_jjP12ihipStream_tbEUlT_E1_NS1_11comp_targetILNS1_3genE5ELNS1_11target_archE942ELNS1_3gpuE9ELNS1_3repE0EEENS1_59segmented_radix_sort_warp_sort_small_config_static_selectorELNS0_4arch9wavefront6targetE0EEEvSL_
    .private_segment_fixed_size: 0
    .sgpr_count:     0
    .sgpr_spill_count: 0
    .symbol:         _ZN7rocprim17ROCPRIM_400000_NS6detail17trampoline_kernelINS0_14default_configENS1_36segmented_radix_sort_config_selectorI12hip_bfloat16lEEZNS1_25segmented_radix_sort_implIS3_Lb1EPKS5_PS5_PKlPlN2at6native12_GLOBAL__N_18offset_tEEE10hipError_tPvRmT1_PNSt15iterator_traitsISL_E10value_typeET2_T3_PNSM_ISR_E10value_typeET4_jRbjT5_SX_jjP12ihipStream_tbEUlT_E1_NS1_11comp_targetILNS1_3genE5ELNS1_11target_archE942ELNS1_3gpuE9ELNS1_3repE0EEENS1_59segmented_radix_sort_warp_sort_small_config_static_selectorELNS0_4arch9wavefront6targetE0EEEvSL_.kd
    .uniform_work_group_size: 1
    .uses_dynamic_stack: false
    .vgpr_count:     0
    .vgpr_spill_count: 0
    .wavefront_size: 32
    .workgroup_processor_mode: 1
  - .args:
      - .offset:         0
        .size:           88
        .value_kind:     by_value
    .group_segment_fixed_size: 0
    .kernarg_segment_align: 8
    .kernarg_segment_size: 88
    .language:       OpenCL C
    .language_version:
      - 2
      - 0
    .max_flat_workgroup_size: 256
    .name:           _ZN7rocprim17ROCPRIM_400000_NS6detail17trampoline_kernelINS0_14default_configENS1_36segmented_radix_sort_config_selectorI12hip_bfloat16lEEZNS1_25segmented_radix_sort_implIS3_Lb1EPKS5_PS5_PKlPlN2at6native12_GLOBAL__N_18offset_tEEE10hipError_tPvRmT1_PNSt15iterator_traitsISL_E10value_typeET2_T3_PNSM_ISR_E10value_typeET4_jRbjT5_SX_jjP12ihipStream_tbEUlT_E1_NS1_11comp_targetILNS1_3genE4ELNS1_11target_archE910ELNS1_3gpuE8ELNS1_3repE0EEENS1_59segmented_radix_sort_warp_sort_small_config_static_selectorELNS0_4arch9wavefront6targetE0EEEvSL_
    .private_segment_fixed_size: 0
    .sgpr_count:     0
    .sgpr_spill_count: 0
    .symbol:         _ZN7rocprim17ROCPRIM_400000_NS6detail17trampoline_kernelINS0_14default_configENS1_36segmented_radix_sort_config_selectorI12hip_bfloat16lEEZNS1_25segmented_radix_sort_implIS3_Lb1EPKS5_PS5_PKlPlN2at6native12_GLOBAL__N_18offset_tEEE10hipError_tPvRmT1_PNSt15iterator_traitsISL_E10value_typeET2_T3_PNSM_ISR_E10value_typeET4_jRbjT5_SX_jjP12ihipStream_tbEUlT_E1_NS1_11comp_targetILNS1_3genE4ELNS1_11target_archE910ELNS1_3gpuE8ELNS1_3repE0EEENS1_59segmented_radix_sort_warp_sort_small_config_static_selectorELNS0_4arch9wavefront6targetE0EEEvSL_.kd
    .uniform_work_group_size: 1
    .uses_dynamic_stack: false
    .vgpr_count:     0
    .vgpr_spill_count: 0
    .wavefront_size: 32
    .workgroup_processor_mode: 1
  - .args:
      - .offset:         0
        .size:           88
        .value_kind:     by_value
    .group_segment_fixed_size: 0
    .kernarg_segment_align: 8
    .kernarg_segment_size: 88
    .language:       OpenCL C
    .language_version:
      - 2
      - 0
    .max_flat_workgroup_size: 256
    .name:           _ZN7rocprim17ROCPRIM_400000_NS6detail17trampoline_kernelINS0_14default_configENS1_36segmented_radix_sort_config_selectorI12hip_bfloat16lEEZNS1_25segmented_radix_sort_implIS3_Lb1EPKS5_PS5_PKlPlN2at6native12_GLOBAL__N_18offset_tEEE10hipError_tPvRmT1_PNSt15iterator_traitsISL_E10value_typeET2_T3_PNSM_ISR_E10value_typeET4_jRbjT5_SX_jjP12ihipStream_tbEUlT_E1_NS1_11comp_targetILNS1_3genE3ELNS1_11target_archE908ELNS1_3gpuE7ELNS1_3repE0EEENS1_59segmented_radix_sort_warp_sort_small_config_static_selectorELNS0_4arch9wavefront6targetE0EEEvSL_
    .private_segment_fixed_size: 0
    .sgpr_count:     0
    .sgpr_spill_count: 0
    .symbol:         _ZN7rocprim17ROCPRIM_400000_NS6detail17trampoline_kernelINS0_14default_configENS1_36segmented_radix_sort_config_selectorI12hip_bfloat16lEEZNS1_25segmented_radix_sort_implIS3_Lb1EPKS5_PS5_PKlPlN2at6native12_GLOBAL__N_18offset_tEEE10hipError_tPvRmT1_PNSt15iterator_traitsISL_E10value_typeET2_T3_PNSM_ISR_E10value_typeET4_jRbjT5_SX_jjP12ihipStream_tbEUlT_E1_NS1_11comp_targetILNS1_3genE3ELNS1_11target_archE908ELNS1_3gpuE7ELNS1_3repE0EEENS1_59segmented_radix_sort_warp_sort_small_config_static_selectorELNS0_4arch9wavefront6targetE0EEEvSL_.kd
    .uniform_work_group_size: 1
    .uses_dynamic_stack: false
    .vgpr_count:     0
    .vgpr_spill_count: 0
    .wavefront_size: 32
    .workgroup_processor_mode: 1
  - .args:
      - .offset:         0
        .size:           88
        .value_kind:     by_value
    .group_segment_fixed_size: 0
    .kernarg_segment_align: 8
    .kernarg_segment_size: 88
    .language:       OpenCL C
    .language_version:
      - 2
      - 0
    .max_flat_workgroup_size: 256
    .name:           _ZN7rocprim17ROCPRIM_400000_NS6detail17trampoline_kernelINS0_14default_configENS1_36segmented_radix_sort_config_selectorI12hip_bfloat16lEEZNS1_25segmented_radix_sort_implIS3_Lb1EPKS5_PS5_PKlPlN2at6native12_GLOBAL__N_18offset_tEEE10hipError_tPvRmT1_PNSt15iterator_traitsISL_E10value_typeET2_T3_PNSM_ISR_E10value_typeET4_jRbjT5_SX_jjP12ihipStream_tbEUlT_E1_NS1_11comp_targetILNS1_3genE2ELNS1_11target_archE906ELNS1_3gpuE6ELNS1_3repE0EEENS1_59segmented_radix_sort_warp_sort_small_config_static_selectorELNS0_4arch9wavefront6targetE0EEEvSL_
    .private_segment_fixed_size: 0
    .sgpr_count:     0
    .sgpr_spill_count: 0
    .symbol:         _ZN7rocprim17ROCPRIM_400000_NS6detail17trampoline_kernelINS0_14default_configENS1_36segmented_radix_sort_config_selectorI12hip_bfloat16lEEZNS1_25segmented_radix_sort_implIS3_Lb1EPKS5_PS5_PKlPlN2at6native12_GLOBAL__N_18offset_tEEE10hipError_tPvRmT1_PNSt15iterator_traitsISL_E10value_typeET2_T3_PNSM_ISR_E10value_typeET4_jRbjT5_SX_jjP12ihipStream_tbEUlT_E1_NS1_11comp_targetILNS1_3genE2ELNS1_11target_archE906ELNS1_3gpuE6ELNS1_3repE0EEENS1_59segmented_radix_sort_warp_sort_small_config_static_selectorELNS0_4arch9wavefront6targetE0EEEvSL_.kd
    .uniform_work_group_size: 1
    .uses_dynamic_stack: false
    .vgpr_count:     0
    .vgpr_spill_count: 0
    .wavefront_size: 32
    .workgroup_processor_mode: 1
  - .args:
      - .offset:         0
        .size:           88
        .value_kind:     by_value
      - .offset:         88
        .size:           4
        .value_kind:     hidden_block_count_x
      - .offset:         92
        .size:           4
        .value_kind:     hidden_block_count_y
      - .offset:         96
        .size:           4
        .value_kind:     hidden_block_count_z
      - .offset:         100
        .size:           2
        .value_kind:     hidden_group_size_x
      - .offset:         102
        .size:           2
        .value_kind:     hidden_group_size_y
      - .offset:         104
        .size:           2
        .value_kind:     hidden_group_size_z
      - .offset:         106
        .size:           2
        .value_kind:     hidden_remainder_x
      - .offset:         108
        .size:           2
        .value_kind:     hidden_remainder_y
      - .offset:         110
        .size:           2
        .value_kind:     hidden_remainder_z
      - .offset:         128
        .size:           8
        .value_kind:     hidden_global_offset_x
      - .offset:         136
        .size:           8
        .value_kind:     hidden_global_offset_y
      - .offset:         144
        .size:           8
        .value_kind:     hidden_global_offset_z
      - .offset:         152
        .size:           2
        .value_kind:     hidden_grid_dims
    .group_segment_fixed_size: 10240
    .kernarg_segment_align: 8
    .kernarg_segment_size: 344
    .language:       OpenCL C
    .language_version:
      - 2
      - 0
    .max_flat_workgroup_size: 256
    .name:           _ZN7rocprim17ROCPRIM_400000_NS6detail17trampoline_kernelINS0_14default_configENS1_36segmented_radix_sort_config_selectorI12hip_bfloat16lEEZNS1_25segmented_radix_sort_implIS3_Lb1EPKS5_PS5_PKlPlN2at6native12_GLOBAL__N_18offset_tEEE10hipError_tPvRmT1_PNSt15iterator_traitsISL_E10value_typeET2_T3_PNSM_ISR_E10value_typeET4_jRbjT5_SX_jjP12ihipStream_tbEUlT_E1_NS1_11comp_targetILNS1_3genE10ELNS1_11target_archE1201ELNS1_3gpuE5ELNS1_3repE0EEENS1_59segmented_radix_sort_warp_sort_small_config_static_selectorELNS0_4arch9wavefront6targetE0EEEvSL_
    .private_segment_fixed_size: 0
    .sgpr_count:     35
    .sgpr_spill_count: 0
    .symbol:         _ZN7rocprim17ROCPRIM_400000_NS6detail17trampoline_kernelINS0_14default_configENS1_36segmented_radix_sort_config_selectorI12hip_bfloat16lEEZNS1_25segmented_radix_sort_implIS3_Lb1EPKS5_PS5_PKlPlN2at6native12_GLOBAL__N_18offset_tEEE10hipError_tPvRmT1_PNSt15iterator_traitsISL_E10value_typeET2_T3_PNSM_ISR_E10value_typeET4_jRbjT5_SX_jjP12ihipStream_tbEUlT_E1_NS1_11comp_targetILNS1_3genE10ELNS1_11target_archE1201ELNS1_3gpuE5ELNS1_3repE0EEENS1_59segmented_radix_sort_warp_sort_small_config_static_selectorELNS0_4arch9wavefront6targetE0EEEvSL_.kd
    .uniform_work_group_size: 1
    .uses_dynamic_stack: false
    .vgpr_count:     56
    .vgpr_spill_count: 0
    .wavefront_size: 32
    .workgroup_processor_mode: 1
  - .args:
      - .offset:         0
        .size:           88
        .value_kind:     by_value
    .group_segment_fixed_size: 0
    .kernarg_segment_align: 8
    .kernarg_segment_size: 88
    .language:       OpenCL C
    .language_version:
      - 2
      - 0
    .max_flat_workgroup_size: 256
    .name:           _ZN7rocprim17ROCPRIM_400000_NS6detail17trampoline_kernelINS0_14default_configENS1_36segmented_radix_sort_config_selectorI12hip_bfloat16lEEZNS1_25segmented_radix_sort_implIS3_Lb1EPKS5_PS5_PKlPlN2at6native12_GLOBAL__N_18offset_tEEE10hipError_tPvRmT1_PNSt15iterator_traitsISL_E10value_typeET2_T3_PNSM_ISR_E10value_typeET4_jRbjT5_SX_jjP12ihipStream_tbEUlT_E1_NS1_11comp_targetILNS1_3genE10ELNS1_11target_archE1200ELNS1_3gpuE4ELNS1_3repE0EEENS1_59segmented_radix_sort_warp_sort_small_config_static_selectorELNS0_4arch9wavefront6targetE0EEEvSL_
    .private_segment_fixed_size: 0
    .sgpr_count:     0
    .sgpr_spill_count: 0
    .symbol:         _ZN7rocprim17ROCPRIM_400000_NS6detail17trampoline_kernelINS0_14default_configENS1_36segmented_radix_sort_config_selectorI12hip_bfloat16lEEZNS1_25segmented_radix_sort_implIS3_Lb1EPKS5_PS5_PKlPlN2at6native12_GLOBAL__N_18offset_tEEE10hipError_tPvRmT1_PNSt15iterator_traitsISL_E10value_typeET2_T3_PNSM_ISR_E10value_typeET4_jRbjT5_SX_jjP12ihipStream_tbEUlT_E1_NS1_11comp_targetILNS1_3genE10ELNS1_11target_archE1200ELNS1_3gpuE4ELNS1_3repE0EEENS1_59segmented_radix_sort_warp_sort_small_config_static_selectorELNS0_4arch9wavefront6targetE0EEEvSL_.kd
    .uniform_work_group_size: 1
    .uses_dynamic_stack: false
    .vgpr_count:     0
    .vgpr_spill_count: 0
    .wavefront_size: 32
    .workgroup_processor_mode: 1
  - .args:
      - .offset:         0
        .size:           88
        .value_kind:     by_value
    .group_segment_fixed_size: 0
    .kernarg_segment_align: 8
    .kernarg_segment_size: 88
    .language:       OpenCL C
    .language_version:
      - 2
      - 0
    .max_flat_workgroup_size: 256
    .name:           _ZN7rocprim17ROCPRIM_400000_NS6detail17trampoline_kernelINS0_14default_configENS1_36segmented_radix_sort_config_selectorI12hip_bfloat16lEEZNS1_25segmented_radix_sort_implIS3_Lb1EPKS5_PS5_PKlPlN2at6native12_GLOBAL__N_18offset_tEEE10hipError_tPvRmT1_PNSt15iterator_traitsISL_E10value_typeET2_T3_PNSM_ISR_E10value_typeET4_jRbjT5_SX_jjP12ihipStream_tbEUlT_E1_NS1_11comp_targetILNS1_3genE9ELNS1_11target_archE1100ELNS1_3gpuE3ELNS1_3repE0EEENS1_59segmented_radix_sort_warp_sort_small_config_static_selectorELNS0_4arch9wavefront6targetE0EEEvSL_
    .private_segment_fixed_size: 0
    .sgpr_count:     0
    .sgpr_spill_count: 0
    .symbol:         _ZN7rocprim17ROCPRIM_400000_NS6detail17trampoline_kernelINS0_14default_configENS1_36segmented_radix_sort_config_selectorI12hip_bfloat16lEEZNS1_25segmented_radix_sort_implIS3_Lb1EPKS5_PS5_PKlPlN2at6native12_GLOBAL__N_18offset_tEEE10hipError_tPvRmT1_PNSt15iterator_traitsISL_E10value_typeET2_T3_PNSM_ISR_E10value_typeET4_jRbjT5_SX_jjP12ihipStream_tbEUlT_E1_NS1_11comp_targetILNS1_3genE9ELNS1_11target_archE1100ELNS1_3gpuE3ELNS1_3repE0EEENS1_59segmented_radix_sort_warp_sort_small_config_static_selectorELNS0_4arch9wavefront6targetE0EEEvSL_.kd
    .uniform_work_group_size: 1
    .uses_dynamic_stack: false
    .vgpr_count:     0
    .vgpr_spill_count: 0
    .wavefront_size: 32
    .workgroup_processor_mode: 1
  - .args:
      - .offset:         0
        .size:           88
        .value_kind:     by_value
    .group_segment_fixed_size: 0
    .kernarg_segment_align: 8
    .kernarg_segment_size: 88
    .language:       OpenCL C
    .language_version:
      - 2
      - 0
    .max_flat_workgroup_size: 256
    .name:           _ZN7rocprim17ROCPRIM_400000_NS6detail17trampoline_kernelINS0_14default_configENS1_36segmented_radix_sort_config_selectorI12hip_bfloat16lEEZNS1_25segmented_radix_sort_implIS3_Lb1EPKS5_PS5_PKlPlN2at6native12_GLOBAL__N_18offset_tEEE10hipError_tPvRmT1_PNSt15iterator_traitsISL_E10value_typeET2_T3_PNSM_ISR_E10value_typeET4_jRbjT5_SX_jjP12ihipStream_tbEUlT_E1_NS1_11comp_targetILNS1_3genE8ELNS1_11target_archE1030ELNS1_3gpuE2ELNS1_3repE0EEENS1_59segmented_radix_sort_warp_sort_small_config_static_selectorELNS0_4arch9wavefront6targetE0EEEvSL_
    .private_segment_fixed_size: 0
    .sgpr_count:     0
    .sgpr_spill_count: 0
    .symbol:         _ZN7rocprim17ROCPRIM_400000_NS6detail17trampoline_kernelINS0_14default_configENS1_36segmented_radix_sort_config_selectorI12hip_bfloat16lEEZNS1_25segmented_radix_sort_implIS3_Lb1EPKS5_PS5_PKlPlN2at6native12_GLOBAL__N_18offset_tEEE10hipError_tPvRmT1_PNSt15iterator_traitsISL_E10value_typeET2_T3_PNSM_ISR_E10value_typeET4_jRbjT5_SX_jjP12ihipStream_tbEUlT_E1_NS1_11comp_targetILNS1_3genE8ELNS1_11target_archE1030ELNS1_3gpuE2ELNS1_3repE0EEENS1_59segmented_radix_sort_warp_sort_small_config_static_selectorELNS0_4arch9wavefront6targetE0EEEvSL_.kd
    .uniform_work_group_size: 1
    .uses_dynamic_stack: false
    .vgpr_count:     0
    .vgpr_spill_count: 0
    .wavefront_size: 32
    .workgroup_processor_mode: 1
  - .args:
      - .offset:         0
        .size:           80
        .value_kind:     by_value
    .group_segment_fixed_size: 0
    .kernarg_segment_align: 8
    .kernarg_segment_size: 80
    .language:       OpenCL C
    .language_version:
      - 2
      - 0
    .max_flat_workgroup_size: 256
    .name:           _ZN7rocprim17ROCPRIM_400000_NS6detail17trampoline_kernelINS0_14default_configENS1_36segmented_radix_sort_config_selectorI12hip_bfloat16lEEZNS1_25segmented_radix_sort_implIS3_Lb1EPKS5_PS5_PKlPlN2at6native12_GLOBAL__N_18offset_tEEE10hipError_tPvRmT1_PNSt15iterator_traitsISL_E10value_typeET2_T3_PNSM_ISR_E10value_typeET4_jRbjT5_SX_jjP12ihipStream_tbEUlT_E2_NS1_11comp_targetILNS1_3genE0ELNS1_11target_archE4294967295ELNS1_3gpuE0ELNS1_3repE0EEENS1_30default_config_static_selectorELNS0_4arch9wavefront6targetE0EEEvSL_
    .private_segment_fixed_size: 0
    .sgpr_count:     0
    .sgpr_spill_count: 0
    .symbol:         _ZN7rocprim17ROCPRIM_400000_NS6detail17trampoline_kernelINS0_14default_configENS1_36segmented_radix_sort_config_selectorI12hip_bfloat16lEEZNS1_25segmented_radix_sort_implIS3_Lb1EPKS5_PS5_PKlPlN2at6native12_GLOBAL__N_18offset_tEEE10hipError_tPvRmT1_PNSt15iterator_traitsISL_E10value_typeET2_T3_PNSM_ISR_E10value_typeET4_jRbjT5_SX_jjP12ihipStream_tbEUlT_E2_NS1_11comp_targetILNS1_3genE0ELNS1_11target_archE4294967295ELNS1_3gpuE0ELNS1_3repE0EEENS1_30default_config_static_selectorELNS0_4arch9wavefront6targetE0EEEvSL_.kd
    .uniform_work_group_size: 1
    .uses_dynamic_stack: false
    .vgpr_count:     0
    .vgpr_spill_count: 0
    .wavefront_size: 32
    .workgroup_processor_mode: 1
  - .args:
      - .offset:         0
        .size:           80
        .value_kind:     by_value
    .group_segment_fixed_size: 0
    .kernarg_segment_align: 8
    .kernarg_segment_size: 80
    .language:       OpenCL C
    .language_version:
      - 2
      - 0
    .max_flat_workgroup_size: 256
    .name:           _ZN7rocprim17ROCPRIM_400000_NS6detail17trampoline_kernelINS0_14default_configENS1_36segmented_radix_sort_config_selectorI12hip_bfloat16lEEZNS1_25segmented_radix_sort_implIS3_Lb1EPKS5_PS5_PKlPlN2at6native12_GLOBAL__N_18offset_tEEE10hipError_tPvRmT1_PNSt15iterator_traitsISL_E10value_typeET2_T3_PNSM_ISR_E10value_typeET4_jRbjT5_SX_jjP12ihipStream_tbEUlT_E2_NS1_11comp_targetILNS1_3genE5ELNS1_11target_archE942ELNS1_3gpuE9ELNS1_3repE0EEENS1_30default_config_static_selectorELNS0_4arch9wavefront6targetE0EEEvSL_
    .private_segment_fixed_size: 0
    .sgpr_count:     0
    .sgpr_spill_count: 0
    .symbol:         _ZN7rocprim17ROCPRIM_400000_NS6detail17trampoline_kernelINS0_14default_configENS1_36segmented_radix_sort_config_selectorI12hip_bfloat16lEEZNS1_25segmented_radix_sort_implIS3_Lb1EPKS5_PS5_PKlPlN2at6native12_GLOBAL__N_18offset_tEEE10hipError_tPvRmT1_PNSt15iterator_traitsISL_E10value_typeET2_T3_PNSM_ISR_E10value_typeET4_jRbjT5_SX_jjP12ihipStream_tbEUlT_E2_NS1_11comp_targetILNS1_3genE5ELNS1_11target_archE942ELNS1_3gpuE9ELNS1_3repE0EEENS1_30default_config_static_selectorELNS0_4arch9wavefront6targetE0EEEvSL_.kd
    .uniform_work_group_size: 1
    .uses_dynamic_stack: false
    .vgpr_count:     0
    .vgpr_spill_count: 0
    .wavefront_size: 32
    .workgroup_processor_mode: 1
  - .args:
      - .offset:         0
        .size:           80
        .value_kind:     by_value
    .group_segment_fixed_size: 0
    .kernarg_segment_align: 8
    .kernarg_segment_size: 80
    .language:       OpenCL C
    .language_version:
      - 2
      - 0
    .max_flat_workgroup_size: 256
    .name:           _ZN7rocprim17ROCPRIM_400000_NS6detail17trampoline_kernelINS0_14default_configENS1_36segmented_radix_sort_config_selectorI12hip_bfloat16lEEZNS1_25segmented_radix_sort_implIS3_Lb1EPKS5_PS5_PKlPlN2at6native12_GLOBAL__N_18offset_tEEE10hipError_tPvRmT1_PNSt15iterator_traitsISL_E10value_typeET2_T3_PNSM_ISR_E10value_typeET4_jRbjT5_SX_jjP12ihipStream_tbEUlT_E2_NS1_11comp_targetILNS1_3genE4ELNS1_11target_archE910ELNS1_3gpuE8ELNS1_3repE0EEENS1_30default_config_static_selectorELNS0_4arch9wavefront6targetE0EEEvSL_
    .private_segment_fixed_size: 0
    .sgpr_count:     0
    .sgpr_spill_count: 0
    .symbol:         _ZN7rocprim17ROCPRIM_400000_NS6detail17trampoline_kernelINS0_14default_configENS1_36segmented_radix_sort_config_selectorI12hip_bfloat16lEEZNS1_25segmented_radix_sort_implIS3_Lb1EPKS5_PS5_PKlPlN2at6native12_GLOBAL__N_18offset_tEEE10hipError_tPvRmT1_PNSt15iterator_traitsISL_E10value_typeET2_T3_PNSM_ISR_E10value_typeET4_jRbjT5_SX_jjP12ihipStream_tbEUlT_E2_NS1_11comp_targetILNS1_3genE4ELNS1_11target_archE910ELNS1_3gpuE8ELNS1_3repE0EEENS1_30default_config_static_selectorELNS0_4arch9wavefront6targetE0EEEvSL_.kd
    .uniform_work_group_size: 1
    .uses_dynamic_stack: false
    .vgpr_count:     0
    .vgpr_spill_count: 0
    .wavefront_size: 32
    .workgroup_processor_mode: 1
  - .args:
      - .offset:         0
        .size:           80
        .value_kind:     by_value
    .group_segment_fixed_size: 0
    .kernarg_segment_align: 8
    .kernarg_segment_size: 80
    .language:       OpenCL C
    .language_version:
      - 2
      - 0
    .max_flat_workgroup_size: 256
    .name:           _ZN7rocprim17ROCPRIM_400000_NS6detail17trampoline_kernelINS0_14default_configENS1_36segmented_radix_sort_config_selectorI12hip_bfloat16lEEZNS1_25segmented_radix_sort_implIS3_Lb1EPKS5_PS5_PKlPlN2at6native12_GLOBAL__N_18offset_tEEE10hipError_tPvRmT1_PNSt15iterator_traitsISL_E10value_typeET2_T3_PNSM_ISR_E10value_typeET4_jRbjT5_SX_jjP12ihipStream_tbEUlT_E2_NS1_11comp_targetILNS1_3genE3ELNS1_11target_archE908ELNS1_3gpuE7ELNS1_3repE0EEENS1_30default_config_static_selectorELNS0_4arch9wavefront6targetE0EEEvSL_
    .private_segment_fixed_size: 0
    .sgpr_count:     0
    .sgpr_spill_count: 0
    .symbol:         _ZN7rocprim17ROCPRIM_400000_NS6detail17trampoline_kernelINS0_14default_configENS1_36segmented_radix_sort_config_selectorI12hip_bfloat16lEEZNS1_25segmented_radix_sort_implIS3_Lb1EPKS5_PS5_PKlPlN2at6native12_GLOBAL__N_18offset_tEEE10hipError_tPvRmT1_PNSt15iterator_traitsISL_E10value_typeET2_T3_PNSM_ISR_E10value_typeET4_jRbjT5_SX_jjP12ihipStream_tbEUlT_E2_NS1_11comp_targetILNS1_3genE3ELNS1_11target_archE908ELNS1_3gpuE7ELNS1_3repE0EEENS1_30default_config_static_selectorELNS0_4arch9wavefront6targetE0EEEvSL_.kd
    .uniform_work_group_size: 1
    .uses_dynamic_stack: false
    .vgpr_count:     0
    .vgpr_spill_count: 0
    .wavefront_size: 32
    .workgroup_processor_mode: 1
  - .args:
      - .offset:         0
        .size:           80
        .value_kind:     by_value
    .group_segment_fixed_size: 0
    .kernarg_segment_align: 8
    .kernarg_segment_size: 80
    .language:       OpenCL C
    .language_version:
      - 2
      - 0
    .max_flat_workgroup_size: 256
    .name:           _ZN7rocprim17ROCPRIM_400000_NS6detail17trampoline_kernelINS0_14default_configENS1_36segmented_radix_sort_config_selectorI12hip_bfloat16lEEZNS1_25segmented_radix_sort_implIS3_Lb1EPKS5_PS5_PKlPlN2at6native12_GLOBAL__N_18offset_tEEE10hipError_tPvRmT1_PNSt15iterator_traitsISL_E10value_typeET2_T3_PNSM_ISR_E10value_typeET4_jRbjT5_SX_jjP12ihipStream_tbEUlT_E2_NS1_11comp_targetILNS1_3genE2ELNS1_11target_archE906ELNS1_3gpuE6ELNS1_3repE0EEENS1_30default_config_static_selectorELNS0_4arch9wavefront6targetE0EEEvSL_
    .private_segment_fixed_size: 0
    .sgpr_count:     0
    .sgpr_spill_count: 0
    .symbol:         _ZN7rocprim17ROCPRIM_400000_NS6detail17trampoline_kernelINS0_14default_configENS1_36segmented_radix_sort_config_selectorI12hip_bfloat16lEEZNS1_25segmented_radix_sort_implIS3_Lb1EPKS5_PS5_PKlPlN2at6native12_GLOBAL__N_18offset_tEEE10hipError_tPvRmT1_PNSt15iterator_traitsISL_E10value_typeET2_T3_PNSM_ISR_E10value_typeET4_jRbjT5_SX_jjP12ihipStream_tbEUlT_E2_NS1_11comp_targetILNS1_3genE2ELNS1_11target_archE906ELNS1_3gpuE6ELNS1_3repE0EEENS1_30default_config_static_selectorELNS0_4arch9wavefront6targetE0EEEvSL_.kd
    .uniform_work_group_size: 1
    .uses_dynamic_stack: false
    .vgpr_count:     0
    .vgpr_spill_count: 0
    .wavefront_size: 32
    .workgroup_processor_mode: 1
  - .args:
      - .offset:         0
        .size:           80
        .value_kind:     by_value
      - .offset:         80
        .size:           4
        .value_kind:     hidden_block_count_x
      - .offset:         84
        .size:           4
        .value_kind:     hidden_block_count_y
      - .offset:         88
        .size:           4
        .value_kind:     hidden_block_count_z
      - .offset:         92
        .size:           2
        .value_kind:     hidden_group_size_x
      - .offset:         94
        .size:           2
        .value_kind:     hidden_group_size_y
      - .offset:         96
        .size:           2
        .value_kind:     hidden_group_size_z
      - .offset:         98
        .size:           2
        .value_kind:     hidden_remainder_x
      - .offset:         100
        .size:           2
        .value_kind:     hidden_remainder_y
      - .offset:         102
        .size:           2
        .value_kind:     hidden_remainder_z
      - .offset:         120
        .size:           8
        .value_kind:     hidden_global_offset_x
      - .offset:         128
        .size:           8
        .value_kind:     hidden_global_offset_y
      - .offset:         136
        .size:           8
        .value_kind:     hidden_global_offset_z
      - .offset:         144
        .size:           2
        .value_kind:     hidden_grid_dims
    .group_segment_fixed_size: 17440
    .kernarg_segment_align: 8
    .kernarg_segment_size: 336
    .language:       OpenCL C
    .language_version:
      - 2
      - 0
    .max_flat_workgroup_size: 256
    .name:           _ZN7rocprim17ROCPRIM_400000_NS6detail17trampoline_kernelINS0_14default_configENS1_36segmented_radix_sort_config_selectorI12hip_bfloat16lEEZNS1_25segmented_radix_sort_implIS3_Lb1EPKS5_PS5_PKlPlN2at6native12_GLOBAL__N_18offset_tEEE10hipError_tPvRmT1_PNSt15iterator_traitsISL_E10value_typeET2_T3_PNSM_ISR_E10value_typeET4_jRbjT5_SX_jjP12ihipStream_tbEUlT_E2_NS1_11comp_targetILNS1_3genE10ELNS1_11target_archE1201ELNS1_3gpuE5ELNS1_3repE0EEENS1_30default_config_static_selectorELNS0_4arch9wavefront6targetE0EEEvSL_
    .private_segment_fixed_size: 0
    .sgpr_count:     52
    .sgpr_spill_count: 0
    .symbol:         _ZN7rocprim17ROCPRIM_400000_NS6detail17trampoline_kernelINS0_14default_configENS1_36segmented_radix_sort_config_selectorI12hip_bfloat16lEEZNS1_25segmented_radix_sort_implIS3_Lb1EPKS5_PS5_PKlPlN2at6native12_GLOBAL__N_18offset_tEEE10hipError_tPvRmT1_PNSt15iterator_traitsISL_E10value_typeET2_T3_PNSM_ISR_E10value_typeET4_jRbjT5_SX_jjP12ihipStream_tbEUlT_E2_NS1_11comp_targetILNS1_3genE10ELNS1_11target_archE1201ELNS1_3gpuE5ELNS1_3repE0EEENS1_30default_config_static_selectorELNS0_4arch9wavefront6targetE0EEEvSL_.kd
    .uniform_work_group_size: 1
    .uses_dynamic_stack: false
    .vgpr_count:     198
    .vgpr_spill_count: 0
    .wavefront_size: 32
    .workgroup_processor_mode: 1
  - .args:
      - .offset:         0
        .size:           80
        .value_kind:     by_value
    .group_segment_fixed_size: 0
    .kernarg_segment_align: 8
    .kernarg_segment_size: 80
    .language:       OpenCL C
    .language_version:
      - 2
      - 0
    .max_flat_workgroup_size: 128
    .name:           _ZN7rocprim17ROCPRIM_400000_NS6detail17trampoline_kernelINS0_14default_configENS1_36segmented_radix_sort_config_selectorI12hip_bfloat16lEEZNS1_25segmented_radix_sort_implIS3_Lb1EPKS5_PS5_PKlPlN2at6native12_GLOBAL__N_18offset_tEEE10hipError_tPvRmT1_PNSt15iterator_traitsISL_E10value_typeET2_T3_PNSM_ISR_E10value_typeET4_jRbjT5_SX_jjP12ihipStream_tbEUlT_E2_NS1_11comp_targetILNS1_3genE10ELNS1_11target_archE1200ELNS1_3gpuE4ELNS1_3repE0EEENS1_30default_config_static_selectorELNS0_4arch9wavefront6targetE0EEEvSL_
    .private_segment_fixed_size: 0
    .sgpr_count:     0
    .sgpr_spill_count: 0
    .symbol:         _ZN7rocprim17ROCPRIM_400000_NS6detail17trampoline_kernelINS0_14default_configENS1_36segmented_radix_sort_config_selectorI12hip_bfloat16lEEZNS1_25segmented_radix_sort_implIS3_Lb1EPKS5_PS5_PKlPlN2at6native12_GLOBAL__N_18offset_tEEE10hipError_tPvRmT1_PNSt15iterator_traitsISL_E10value_typeET2_T3_PNSM_ISR_E10value_typeET4_jRbjT5_SX_jjP12ihipStream_tbEUlT_E2_NS1_11comp_targetILNS1_3genE10ELNS1_11target_archE1200ELNS1_3gpuE4ELNS1_3repE0EEENS1_30default_config_static_selectorELNS0_4arch9wavefront6targetE0EEEvSL_.kd
    .uniform_work_group_size: 1
    .uses_dynamic_stack: false
    .vgpr_count:     0
    .vgpr_spill_count: 0
    .wavefront_size: 32
    .workgroup_processor_mode: 1
  - .args:
      - .offset:         0
        .size:           80
        .value_kind:     by_value
    .group_segment_fixed_size: 0
    .kernarg_segment_align: 8
    .kernarg_segment_size: 80
    .language:       OpenCL C
    .language_version:
      - 2
      - 0
    .max_flat_workgroup_size: 256
    .name:           _ZN7rocprim17ROCPRIM_400000_NS6detail17trampoline_kernelINS0_14default_configENS1_36segmented_radix_sort_config_selectorI12hip_bfloat16lEEZNS1_25segmented_radix_sort_implIS3_Lb1EPKS5_PS5_PKlPlN2at6native12_GLOBAL__N_18offset_tEEE10hipError_tPvRmT1_PNSt15iterator_traitsISL_E10value_typeET2_T3_PNSM_ISR_E10value_typeET4_jRbjT5_SX_jjP12ihipStream_tbEUlT_E2_NS1_11comp_targetILNS1_3genE9ELNS1_11target_archE1100ELNS1_3gpuE3ELNS1_3repE0EEENS1_30default_config_static_selectorELNS0_4arch9wavefront6targetE0EEEvSL_
    .private_segment_fixed_size: 0
    .sgpr_count:     0
    .sgpr_spill_count: 0
    .symbol:         _ZN7rocprim17ROCPRIM_400000_NS6detail17trampoline_kernelINS0_14default_configENS1_36segmented_radix_sort_config_selectorI12hip_bfloat16lEEZNS1_25segmented_radix_sort_implIS3_Lb1EPKS5_PS5_PKlPlN2at6native12_GLOBAL__N_18offset_tEEE10hipError_tPvRmT1_PNSt15iterator_traitsISL_E10value_typeET2_T3_PNSM_ISR_E10value_typeET4_jRbjT5_SX_jjP12ihipStream_tbEUlT_E2_NS1_11comp_targetILNS1_3genE9ELNS1_11target_archE1100ELNS1_3gpuE3ELNS1_3repE0EEENS1_30default_config_static_selectorELNS0_4arch9wavefront6targetE0EEEvSL_.kd
    .uniform_work_group_size: 1
    .uses_dynamic_stack: false
    .vgpr_count:     0
    .vgpr_spill_count: 0
    .wavefront_size: 32
    .workgroup_processor_mode: 1
  - .args:
      - .offset:         0
        .size:           80
        .value_kind:     by_value
    .group_segment_fixed_size: 0
    .kernarg_segment_align: 8
    .kernarg_segment_size: 80
    .language:       OpenCL C
    .language_version:
      - 2
      - 0
    .max_flat_workgroup_size: 256
    .name:           _ZN7rocprim17ROCPRIM_400000_NS6detail17trampoline_kernelINS0_14default_configENS1_36segmented_radix_sort_config_selectorI12hip_bfloat16lEEZNS1_25segmented_radix_sort_implIS3_Lb1EPKS5_PS5_PKlPlN2at6native12_GLOBAL__N_18offset_tEEE10hipError_tPvRmT1_PNSt15iterator_traitsISL_E10value_typeET2_T3_PNSM_ISR_E10value_typeET4_jRbjT5_SX_jjP12ihipStream_tbEUlT_E2_NS1_11comp_targetILNS1_3genE8ELNS1_11target_archE1030ELNS1_3gpuE2ELNS1_3repE0EEENS1_30default_config_static_selectorELNS0_4arch9wavefront6targetE0EEEvSL_
    .private_segment_fixed_size: 0
    .sgpr_count:     0
    .sgpr_spill_count: 0
    .symbol:         _ZN7rocprim17ROCPRIM_400000_NS6detail17trampoline_kernelINS0_14default_configENS1_36segmented_radix_sort_config_selectorI12hip_bfloat16lEEZNS1_25segmented_radix_sort_implIS3_Lb1EPKS5_PS5_PKlPlN2at6native12_GLOBAL__N_18offset_tEEE10hipError_tPvRmT1_PNSt15iterator_traitsISL_E10value_typeET2_T3_PNSM_ISR_E10value_typeET4_jRbjT5_SX_jjP12ihipStream_tbEUlT_E2_NS1_11comp_targetILNS1_3genE8ELNS1_11target_archE1030ELNS1_3gpuE2ELNS1_3repE0EEENS1_30default_config_static_selectorELNS0_4arch9wavefront6targetE0EEEvSL_.kd
    .uniform_work_group_size: 1
    .uses_dynamic_stack: false
    .vgpr_count:     0
    .vgpr_spill_count: 0
    .wavefront_size: 32
    .workgroup_processor_mode: 1
  - .args:
      - .offset:         0
        .size:           176
        .value_kind:     by_value
    .group_segment_fixed_size: 0
    .kernarg_segment_align: 8
    .kernarg_segment_size: 176
    .language:       OpenCL C
    .language_version:
      - 2
      - 0
    .max_flat_workgroup_size: 256
    .name:           _ZN7rocprim17ROCPRIM_400000_NS6detail17trampoline_kernelINS0_13select_configILj256ELj13ELNS0_17block_load_methodE3ELS4_3ELS4_3ELNS0_20block_scan_algorithmE0ELj4294967295EEENS1_25partition_config_selectorILNS1_17partition_subalgoE4EjNS0_10empty_typeEbEEZZNS1_14partition_implILS8_4ELb0ES6_15HIP_vector_typeIjLj2EENS0_17counting_iteratorIjlEEPS9_SG_NS0_5tupleIJPjSI_NS0_16reverse_iteratorISI_EEEEENSH_IJSG_SG_SG_EEES9_SI_JZNS1_25segmented_radix_sort_implINS0_14default_configELb0EPK12hip_bfloat16PSP_PKlPlN2at6native12_GLOBAL__N_18offset_tEEE10hipError_tPvRmT1_PNSt15iterator_traitsIS13_E10value_typeET2_T3_PNS14_IS19_E10value_typeET4_jRbjT5_S1F_jjP12ihipStream_tbEUljE_ZNSN_ISO_Lb0ESR_SS_SU_SV_SZ_EES10_S11_S12_S13_S17_S18_S19_S1C_S1D_jS1E_jS1F_S1F_jjS1H_bEUljE0_EEES10_S11_S12_S19_S1D_S1F_T6_T7_T9_mT8_S1H_bDpT10_ENKUlT_T0_E_clISt17integral_constantIbLb0EES1V_EEDaS1Q_S1R_EUlS1Q_E_NS1_11comp_targetILNS1_3genE0ELNS1_11target_archE4294967295ELNS1_3gpuE0ELNS1_3repE0EEENS1_30default_config_static_selectorELNS0_4arch9wavefront6targetE0EEEvS13_
    .private_segment_fixed_size: 0
    .sgpr_count:     0
    .sgpr_spill_count: 0
    .symbol:         _ZN7rocprim17ROCPRIM_400000_NS6detail17trampoline_kernelINS0_13select_configILj256ELj13ELNS0_17block_load_methodE3ELS4_3ELS4_3ELNS0_20block_scan_algorithmE0ELj4294967295EEENS1_25partition_config_selectorILNS1_17partition_subalgoE4EjNS0_10empty_typeEbEEZZNS1_14partition_implILS8_4ELb0ES6_15HIP_vector_typeIjLj2EENS0_17counting_iteratorIjlEEPS9_SG_NS0_5tupleIJPjSI_NS0_16reverse_iteratorISI_EEEEENSH_IJSG_SG_SG_EEES9_SI_JZNS1_25segmented_radix_sort_implINS0_14default_configELb0EPK12hip_bfloat16PSP_PKlPlN2at6native12_GLOBAL__N_18offset_tEEE10hipError_tPvRmT1_PNSt15iterator_traitsIS13_E10value_typeET2_T3_PNS14_IS19_E10value_typeET4_jRbjT5_S1F_jjP12ihipStream_tbEUljE_ZNSN_ISO_Lb0ESR_SS_SU_SV_SZ_EES10_S11_S12_S13_S17_S18_S19_S1C_S1D_jS1E_jS1F_S1F_jjS1H_bEUljE0_EEES10_S11_S12_S19_S1D_S1F_T6_T7_T9_mT8_S1H_bDpT10_ENKUlT_T0_E_clISt17integral_constantIbLb0EES1V_EEDaS1Q_S1R_EUlS1Q_E_NS1_11comp_targetILNS1_3genE0ELNS1_11target_archE4294967295ELNS1_3gpuE0ELNS1_3repE0EEENS1_30default_config_static_selectorELNS0_4arch9wavefront6targetE0EEEvS13_.kd
    .uniform_work_group_size: 1
    .uses_dynamic_stack: false
    .vgpr_count:     0
    .vgpr_spill_count: 0
    .wavefront_size: 32
    .workgroup_processor_mode: 1
  - .args:
      - .offset:         0
        .size:           176
        .value_kind:     by_value
    .group_segment_fixed_size: 0
    .kernarg_segment_align: 8
    .kernarg_segment_size: 176
    .language:       OpenCL C
    .language_version:
      - 2
      - 0
    .max_flat_workgroup_size: 256
    .name:           _ZN7rocprim17ROCPRIM_400000_NS6detail17trampoline_kernelINS0_13select_configILj256ELj13ELNS0_17block_load_methodE3ELS4_3ELS4_3ELNS0_20block_scan_algorithmE0ELj4294967295EEENS1_25partition_config_selectorILNS1_17partition_subalgoE4EjNS0_10empty_typeEbEEZZNS1_14partition_implILS8_4ELb0ES6_15HIP_vector_typeIjLj2EENS0_17counting_iteratorIjlEEPS9_SG_NS0_5tupleIJPjSI_NS0_16reverse_iteratorISI_EEEEENSH_IJSG_SG_SG_EEES9_SI_JZNS1_25segmented_radix_sort_implINS0_14default_configELb0EPK12hip_bfloat16PSP_PKlPlN2at6native12_GLOBAL__N_18offset_tEEE10hipError_tPvRmT1_PNSt15iterator_traitsIS13_E10value_typeET2_T3_PNS14_IS19_E10value_typeET4_jRbjT5_S1F_jjP12ihipStream_tbEUljE_ZNSN_ISO_Lb0ESR_SS_SU_SV_SZ_EES10_S11_S12_S13_S17_S18_S19_S1C_S1D_jS1E_jS1F_S1F_jjS1H_bEUljE0_EEES10_S11_S12_S19_S1D_S1F_T6_T7_T9_mT8_S1H_bDpT10_ENKUlT_T0_E_clISt17integral_constantIbLb0EES1V_EEDaS1Q_S1R_EUlS1Q_E_NS1_11comp_targetILNS1_3genE5ELNS1_11target_archE942ELNS1_3gpuE9ELNS1_3repE0EEENS1_30default_config_static_selectorELNS0_4arch9wavefront6targetE0EEEvS13_
    .private_segment_fixed_size: 0
    .sgpr_count:     0
    .sgpr_spill_count: 0
    .symbol:         _ZN7rocprim17ROCPRIM_400000_NS6detail17trampoline_kernelINS0_13select_configILj256ELj13ELNS0_17block_load_methodE3ELS4_3ELS4_3ELNS0_20block_scan_algorithmE0ELj4294967295EEENS1_25partition_config_selectorILNS1_17partition_subalgoE4EjNS0_10empty_typeEbEEZZNS1_14partition_implILS8_4ELb0ES6_15HIP_vector_typeIjLj2EENS0_17counting_iteratorIjlEEPS9_SG_NS0_5tupleIJPjSI_NS0_16reverse_iteratorISI_EEEEENSH_IJSG_SG_SG_EEES9_SI_JZNS1_25segmented_radix_sort_implINS0_14default_configELb0EPK12hip_bfloat16PSP_PKlPlN2at6native12_GLOBAL__N_18offset_tEEE10hipError_tPvRmT1_PNSt15iterator_traitsIS13_E10value_typeET2_T3_PNS14_IS19_E10value_typeET4_jRbjT5_S1F_jjP12ihipStream_tbEUljE_ZNSN_ISO_Lb0ESR_SS_SU_SV_SZ_EES10_S11_S12_S13_S17_S18_S19_S1C_S1D_jS1E_jS1F_S1F_jjS1H_bEUljE0_EEES10_S11_S12_S19_S1D_S1F_T6_T7_T9_mT8_S1H_bDpT10_ENKUlT_T0_E_clISt17integral_constantIbLb0EES1V_EEDaS1Q_S1R_EUlS1Q_E_NS1_11comp_targetILNS1_3genE5ELNS1_11target_archE942ELNS1_3gpuE9ELNS1_3repE0EEENS1_30default_config_static_selectorELNS0_4arch9wavefront6targetE0EEEvS13_.kd
    .uniform_work_group_size: 1
    .uses_dynamic_stack: false
    .vgpr_count:     0
    .vgpr_spill_count: 0
    .wavefront_size: 32
    .workgroup_processor_mode: 1
  - .args:
      - .offset:         0
        .size:           176
        .value_kind:     by_value
    .group_segment_fixed_size: 0
    .kernarg_segment_align: 8
    .kernarg_segment_size: 176
    .language:       OpenCL C
    .language_version:
      - 2
      - 0
    .max_flat_workgroup_size: 256
    .name:           _ZN7rocprim17ROCPRIM_400000_NS6detail17trampoline_kernelINS0_13select_configILj256ELj13ELNS0_17block_load_methodE3ELS4_3ELS4_3ELNS0_20block_scan_algorithmE0ELj4294967295EEENS1_25partition_config_selectorILNS1_17partition_subalgoE4EjNS0_10empty_typeEbEEZZNS1_14partition_implILS8_4ELb0ES6_15HIP_vector_typeIjLj2EENS0_17counting_iteratorIjlEEPS9_SG_NS0_5tupleIJPjSI_NS0_16reverse_iteratorISI_EEEEENSH_IJSG_SG_SG_EEES9_SI_JZNS1_25segmented_radix_sort_implINS0_14default_configELb0EPK12hip_bfloat16PSP_PKlPlN2at6native12_GLOBAL__N_18offset_tEEE10hipError_tPvRmT1_PNSt15iterator_traitsIS13_E10value_typeET2_T3_PNS14_IS19_E10value_typeET4_jRbjT5_S1F_jjP12ihipStream_tbEUljE_ZNSN_ISO_Lb0ESR_SS_SU_SV_SZ_EES10_S11_S12_S13_S17_S18_S19_S1C_S1D_jS1E_jS1F_S1F_jjS1H_bEUljE0_EEES10_S11_S12_S19_S1D_S1F_T6_T7_T9_mT8_S1H_bDpT10_ENKUlT_T0_E_clISt17integral_constantIbLb0EES1V_EEDaS1Q_S1R_EUlS1Q_E_NS1_11comp_targetILNS1_3genE4ELNS1_11target_archE910ELNS1_3gpuE8ELNS1_3repE0EEENS1_30default_config_static_selectorELNS0_4arch9wavefront6targetE0EEEvS13_
    .private_segment_fixed_size: 0
    .sgpr_count:     0
    .sgpr_spill_count: 0
    .symbol:         _ZN7rocprim17ROCPRIM_400000_NS6detail17trampoline_kernelINS0_13select_configILj256ELj13ELNS0_17block_load_methodE3ELS4_3ELS4_3ELNS0_20block_scan_algorithmE0ELj4294967295EEENS1_25partition_config_selectorILNS1_17partition_subalgoE4EjNS0_10empty_typeEbEEZZNS1_14partition_implILS8_4ELb0ES6_15HIP_vector_typeIjLj2EENS0_17counting_iteratorIjlEEPS9_SG_NS0_5tupleIJPjSI_NS0_16reverse_iteratorISI_EEEEENSH_IJSG_SG_SG_EEES9_SI_JZNS1_25segmented_radix_sort_implINS0_14default_configELb0EPK12hip_bfloat16PSP_PKlPlN2at6native12_GLOBAL__N_18offset_tEEE10hipError_tPvRmT1_PNSt15iterator_traitsIS13_E10value_typeET2_T3_PNS14_IS19_E10value_typeET4_jRbjT5_S1F_jjP12ihipStream_tbEUljE_ZNSN_ISO_Lb0ESR_SS_SU_SV_SZ_EES10_S11_S12_S13_S17_S18_S19_S1C_S1D_jS1E_jS1F_S1F_jjS1H_bEUljE0_EEES10_S11_S12_S19_S1D_S1F_T6_T7_T9_mT8_S1H_bDpT10_ENKUlT_T0_E_clISt17integral_constantIbLb0EES1V_EEDaS1Q_S1R_EUlS1Q_E_NS1_11comp_targetILNS1_3genE4ELNS1_11target_archE910ELNS1_3gpuE8ELNS1_3repE0EEENS1_30default_config_static_selectorELNS0_4arch9wavefront6targetE0EEEvS13_.kd
    .uniform_work_group_size: 1
    .uses_dynamic_stack: false
    .vgpr_count:     0
    .vgpr_spill_count: 0
    .wavefront_size: 32
    .workgroup_processor_mode: 1
  - .args:
      - .offset:         0
        .size:           176
        .value_kind:     by_value
    .group_segment_fixed_size: 0
    .kernarg_segment_align: 8
    .kernarg_segment_size: 176
    .language:       OpenCL C
    .language_version:
      - 2
      - 0
    .max_flat_workgroup_size: 256
    .name:           _ZN7rocprim17ROCPRIM_400000_NS6detail17trampoline_kernelINS0_13select_configILj256ELj13ELNS0_17block_load_methodE3ELS4_3ELS4_3ELNS0_20block_scan_algorithmE0ELj4294967295EEENS1_25partition_config_selectorILNS1_17partition_subalgoE4EjNS0_10empty_typeEbEEZZNS1_14partition_implILS8_4ELb0ES6_15HIP_vector_typeIjLj2EENS0_17counting_iteratorIjlEEPS9_SG_NS0_5tupleIJPjSI_NS0_16reverse_iteratorISI_EEEEENSH_IJSG_SG_SG_EEES9_SI_JZNS1_25segmented_radix_sort_implINS0_14default_configELb0EPK12hip_bfloat16PSP_PKlPlN2at6native12_GLOBAL__N_18offset_tEEE10hipError_tPvRmT1_PNSt15iterator_traitsIS13_E10value_typeET2_T3_PNS14_IS19_E10value_typeET4_jRbjT5_S1F_jjP12ihipStream_tbEUljE_ZNSN_ISO_Lb0ESR_SS_SU_SV_SZ_EES10_S11_S12_S13_S17_S18_S19_S1C_S1D_jS1E_jS1F_S1F_jjS1H_bEUljE0_EEES10_S11_S12_S19_S1D_S1F_T6_T7_T9_mT8_S1H_bDpT10_ENKUlT_T0_E_clISt17integral_constantIbLb0EES1V_EEDaS1Q_S1R_EUlS1Q_E_NS1_11comp_targetILNS1_3genE3ELNS1_11target_archE908ELNS1_3gpuE7ELNS1_3repE0EEENS1_30default_config_static_selectorELNS0_4arch9wavefront6targetE0EEEvS13_
    .private_segment_fixed_size: 0
    .sgpr_count:     0
    .sgpr_spill_count: 0
    .symbol:         _ZN7rocprim17ROCPRIM_400000_NS6detail17trampoline_kernelINS0_13select_configILj256ELj13ELNS0_17block_load_methodE3ELS4_3ELS4_3ELNS0_20block_scan_algorithmE0ELj4294967295EEENS1_25partition_config_selectorILNS1_17partition_subalgoE4EjNS0_10empty_typeEbEEZZNS1_14partition_implILS8_4ELb0ES6_15HIP_vector_typeIjLj2EENS0_17counting_iteratorIjlEEPS9_SG_NS0_5tupleIJPjSI_NS0_16reverse_iteratorISI_EEEEENSH_IJSG_SG_SG_EEES9_SI_JZNS1_25segmented_radix_sort_implINS0_14default_configELb0EPK12hip_bfloat16PSP_PKlPlN2at6native12_GLOBAL__N_18offset_tEEE10hipError_tPvRmT1_PNSt15iterator_traitsIS13_E10value_typeET2_T3_PNS14_IS19_E10value_typeET4_jRbjT5_S1F_jjP12ihipStream_tbEUljE_ZNSN_ISO_Lb0ESR_SS_SU_SV_SZ_EES10_S11_S12_S13_S17_S18_S19_S1C_S1D_jS1E_jS1F_S1F_jjS1H_bEUljE0_EEES10_S11_S12_S19_S1D_S1F_T6_T7_T9_mT8_S1H_bDpT10_ENKUlT_T0_E_clISt17integral_constantIbLb0EES1V_EEDaS1Q_S1R_EUlS1Q_E_NS1_11comp_targetILNS1_3genE3ELNS1_11target_archE908ELNS1_3gpuE7ELNS1_3repE0EEENS1_30default_config_static_selectorELNS0_4arch9wavefront6targetE0EEEvS13_.kd
    .uniform_work_group_size: 1
    .uses_dynamic_stack: false
    .vgpr_count:     0
    .vgpr_spill_count: 0
    .wavefront_size: 32
    .workgroup_processor_mode: 1
  - .args:
      - .offset:         0
        .size:           176
        .value_kind:     by_value
    .group_segment_fixed_size: 0
    .kernarg_segment_align: 8
    .kernarg_segment_size: 176
    .language:       OpenCL C
    .language_version:
      - 2
      - 0
    .max_flat_workgroup_size: 256
    .name:           _ZN7rocprim17ROCPRIM_400000_NS6detail17trampoline_kernelINS0_13select_configILj256ELj13ELNS0_17block_load_methodE3ELS4_3ELS4_3ELNS0_20block_scan_algorithmE0ELj4294967295EEENS1_25partition_config_selectorILNS1_17partition_subalgoE4EjNS0_10empty_typeEbEEZZNS1_14partition_implILS8_4ELb0ES6_15HIP_vector_typeIjLj2EENS0_17counting_iteratorIjlEEPS9_SG_NS0_5tupleIJPjSI_NS0_16reverse_iteratorISI_EEEEENSH_IJSG_SG_SG_EEES9_SI_JZNS1_25segmented_radix_sort_implINS0_14default_configELb0EPK12hip_bfloat16PSP_PKlPlN2at6native12_GLOBAL__N_18offset_tEEE10hipError_tPvRmT1_PNSt15iterator_traitsIS13_E10value_typeET2_T3_PNS14_IS19_E10value_typeET4_jRbjT5_S1F_jjP12ihipStream_tbEUljE_ZNSN_ISO_Lb0ESR_SS_SU_SV_SZ_EES10_S11_S12_S13_S17_S18_S19_S1C_S1D_jS1E_jS1F_S1F_jjS1H_bEUljE0_EEES10_S11_S12_S19_S1D_S1F_T6_T7_T9_mT8_S1H_bDpT10_ENKUlT_T0_E_clISt17integral_constantIbLb0EES1V_EEDaS1Q_S1R_EUlS1Q_E_NS1_11comp_targetILNS1_3genE2ELNS1_11target_archE906ELNS1_3gpuE6ELNS1_3repE0EEENS1_30default_config_static_selectorELNS0_4arch9wavefront6targetE0EEEvS13_
    .private_segment_fixed_size: 0
    .sgpr_count:     0
    .sgpr_spill_count: 0
    .symbol:         _ZN7rocprim17ROCPRIM_400000_NS6detail17trampoline_kernelINS0_13select_configILj256ELj13ELNS0_17block_load_methodE3ELS4_3ELS4_3ELNS0_20block_scan_algorithmE0ELj4294967295EEENS1_25partition_config_selectorILNS1_17partition_subalgoE4EjNS0_10empty_typeEbEEZZNS1_14partition_implILS8_4ELb0ES6_15HIP_vector_typeIjLj2EENS0_17counting_iteratorIjlEEPS9_SG_NS0_5tupleIJPjSI_NS0_16reverse_iteratorISI_EEEEENSH_IJSG_SG_SG_EEES9_SI_JZNS1_25segmented_radix_sort_implINS0_14default_configELb0EPK12hip_bfloat16PSP_PKlPlN2at6native12_GLOBAL__N_18offset_tEEE10hipError_tPvRmT1_PNSt15iterator_traitsIS13_E10value_typeET2_T3_PNS14_IS19_E10value_typeET4_jRbjT5_S1F_jjP12ihipStream_tbEUljE_ZNSN_ISO_Lb0ESR_SS_SU_SV_SZ_EES10_S11_S12_S13_S17_S18_S19_S1C_S1D_jS1E_jS1F_S1F_jjS1H_bEUljE0_EEES10_S11_S12_S19_S1D_S1F_T6_T7_T9_mT8_S1H_bDpT10_ENKUlT_T0_E_clISt17integral_constantIbLb0EES1V_EEDaS1Q_S1R_EUlS1Q_E_NS1_11comp_targetILNS1_3genE2ELNS1_11target_archE906ELNS1_3gpuE6ELNS1_3repE0EEENS1_30default_config_static_selectorELNS0_4arch9wavefront6targetE0EEEvS13_.kd
    .uniform_work_group_size: 1
    .uses_dynamic_stack: false
    .vgpr_count:     0
    .vgpr_spill_count: 0
    .wavefront_size: 32
    .workgroup_processor_mode: 1
  - .args:
      - .offset:         0
        .size:           176
        .value_kind:     by_value
    .group_segment_fixed_size: 13328
    .kernarg_segment_align: 8
    .kernarg_segment_size: 176
    .language:       OpenCL C
    .language_version:
      - 2
      - 0
    .max_flat_workgroup_size: 256
    .name:           _ZN7rocprim17ROCPRIM_400000_NS6detail17trampoline_kernelINS0_13select_configILj256ELj13ELNS0_17block_load_methodE3ELS4_3ELS4_3ELNS0_20block_scan_algorithmE0ELj4294967295EEENS1_25partition_config_selectorILNS1_17partition_subalgoE4EjNS0_10empty_typeEbEEZZNS1_14partition_implILS8_4ELb0ES6_15HIP_vector_typeIjLj2EENS0_17counting_iteratorIjlEEPS9_SG_NS0_5tupleIJPjSI_NS0_16reverse_iteratorISI_EEEEENSH_IJSG_SG_SG_EEES9_SI_JZNS1_25segmented_radix_sort_implINS0_14default_configELb0EPK12hip_bfloat16PSP_PKlPlN2at6native12_GLOBAL__N_18offset_tEEE10hipError_tPvRmT1_PNSt15iterator_traitsIS13_E10value_typeET2_T3_PNS14_IS19_E10value_typeET4_jRbjT5_S1F_jjP12ihipStream_tbEUljE_ZNSN_ISO_Lb0ESR_SS_SU_SV_SZ_EES10_S11_S12_S13_S17_S18_S19_S1C_S1D_jS1E_jS1F_S1F_jjS1H_bEUljE0_EEES10_S11_S12_S19_S1D_S1F_T6_T7_T9_mT8_S1H_bDpT10_ENKUlT_T0_E_clISt17integral_constantIbLb0EES1V_EEDaS1Q_S1R_EUlS1Q_E_NS1_11comp_targetILNS1_3genE10ELNS1_11target_archE1200ELNS1_3gpuE4ELNS1_3repE0EEENS1_30default_config_static_selectorELNS0_4arch9wavefront6targetE0EEEvS13_
    .private_segment_fixed_size: 0
    .sgpr_count:     60
    .sgpr_spill_count: 0
    .symbol:         _ZN7rocprim17ROCPRIM_400000_NS6detail17trampoline_kernelINS0_13select_configILj256ELj13ELNS0_17block_load_methodE3ELS4_3ELS4_3ELNS0_20block_scan_algorithmE0ELj4294967295EEENS1_25partition_config_selectorILNS1_17partition_subalgoE4EjNS0_10empty_typeEbEEZZNS1_14partition_implILS8_4ELb0ES6_15HIP_vector_typeIjLj2EENS0_17counting_iteratorIjlEEPS9_SG_NS0_5tupleIJPjSI_NS0_16reverse_iteratorISI_EEEEENSH_IJSG_SG_SG_EEES9_SI_JZNS1_25segmented_radix_sort_implINS0_14default_configELb0EPK12hip_bfloat16PSP_PKlPlN2at6native12_GLOBAL__N_18offset_tEEE10hipError_tPvRmT1_PNSt15iterator_traitsIS13_E10value_typeET2_T3_PNS14_IS19_E10value_typeET4_jRbjT5_S1F_jjP12ihipStream_tbEUljE_ZNSN_ISO_Lb0ESR_SS_SU_SV_SZ_EES10_S11_S12_S13_S17_S18_S19_S1C_S1D_jS1E_jS1F_S1F_jjS1H_bEUljE0_EEES10_S11_S12_S19_S1D_S1F_T6_T7_T9_mT8_S1H_bDpT10_ENKUlT_T0_E_clISt17integral_constantIbLb0EES1V_EEDaS1Q_S1R_EUlS1Q_E_NS1_11comp_targetILNS1_3genE10ELNS1_11target_archE1200ELNS1_3gpuE4ELNS1_3repE0EEENS1_30default_config_static_selectorELNS0_4arch9wavefront6targetE0EEEvS13_.kd
    .uniform_work_group_size: 1
    .uses_dynamic_stack: false
    .vgpr_count:     93
    .vgpr_spill_count: 0
    .wavefront_size: 32
    .workgroup_processor_mode: 1
  - .args:
      - .offset:         0
        .size:           176
        .value_kind:     by_value
    .group_segment_fixed_size: 0
    .kernarg_segment_align: 8
    .kernarg_segment_size: 176
    .language:       OpenCL C
    .language_version:
      - 2
      - 0
    .max_flat_workgroup_size: 256
    .name:           _ZN7rocprim17ROCPRIM_400000_NS6detail17trampoline_kernelINS0_13select_configILj256ELj13ELNS0_17block_load_methodE3ELS4_3ELS4_3ELNS0_20block_scan_algorithmE0ELj4294967295EEENS1_25partition_config_selectorILNS1_17partition_subalgoE4EjNS0_10empty_typeEbEEZZNS1_14partition_implILS8_4ELb0ES6_15HIP_vector_typeIjLj2EENS0_17counting_iteratorIjlEEPS9_SG_NS0_5tupleIJPjSI_NS0_16reverse_iteratorISI_EEEEENSH_IJSG_SG_SG_EEES9_SI_JZNS1_25segmented_radix_sort_implINS0_14default_configELb0EPK12hip_bfloat16PSP_PKlPlN2at6native12_GLOBAL__N_18offset_tEEE10hipError_tPvRmT1_PNSt15iterator_traitsIS13_E10value_typeET2_T3_PNS14_IS19_E10value_typeET4_jRbjT5_S1F_jjP12ihipStream_tbEUljE_ZNSN_ISO_Lb0ESR_SS_SU_SV_SZ_EES10_S11_S12_S13_S17_S18_S19_S1C_S1D_jS1E_jS1F_S1F_jjS1H_bEUljE0_EEES10_S11_S12_S19_S1D_S1F_T6_T7_T9_mT8_S1H_bDpT10_ENKUlT_T0_E_clISt17integral_constantIbLb0EES1V_EEDaS1Q_S1R_EUlS1Q_E_NS1_11comp_targetILNS1_3genE9ELNS1_11target_archE1100ELNS1_3gpuE3ELNS1_3repE0EEENS1_30default_config_static_selectorELNS0_4arch9wavefront6targetE0EEEvS13_
    .private_segment_fixed_size: 0
    .sgpr_count:     0
    .sgpr_spill_count: 0
    .symbol:         _ZN7rocprim17ROCPRIM_400000_NS6detail17trampoline_kernelINS0_13select_configILj256ELj13ELNS0_17block_load_methodE3ELS4_3ELS4_3ELNS0_20block_scan_algorithmE0ELj4294967295EEENS1_25partition_config_selectorILNS1_17partition_subalgoE4EjNS0_10empty_typeEbEEZZNS1_14partition_implILS8_4ELb0ES6_15HIP_vector_typeIjLj2EENS0_17counting_iteratorIjlEEPS9_SG_NS0_5tupleIJPjSI_NS0_16reverse_iteratorISI_EEEEENSH_IJSG_SG_SG_EEES9_SI_JZNS1_25segmented_radix_sort_implINS0_14default_configELb0EPK12hip_bfloat16PSP_PKlPlN2at6native12_GLOBAL__N_18offset_tEEE10hipError_tPvRmT1_PNSt15iterator_traitsIS13_E10value_typeET2_T3_PNS14_IS19_E10value_typeET4_jRbjT5_S1F_jjP12ihipStream_tbEUljE_ZNSN_ISO_Lb0ESR_SS_SU_SV_SZ_EES10_S11_S12_S13_S17_S18_S19_S1C_S1D_jS1E_jS1F_S1F_jjS1H_bEUljE0_EEES10_S11_S12_S19_S1D_S1F_T6_T7_T9_mT8_S1H_bDpT10_ENKUlT_T0_E_clISt17integral_constantIbLb0EES1V_EEDaS1Q_S1R_EUlS1Q_E_NS1_11comp_targetILNS1_3genE9ELNS1_11target_archE1100ELNS1_3gpuE3ELNS1_3repE0EEENS1_30default_config_static_selectorELNS0_4arch9wavefront6targetE0EEEvS13_.kd
    .uniform_work_group_size: 1
    .uses_dynamic_stack: false
    .vgpr_count:     0
    .vgpr_spill_count: 0
    .wavefront_size: 32
    .workgroup_processor_mode: 1
  - .args:
      - .offset:         0
        .size:           176
        .value_kind:     by_value
    .group_segment_fixed_size: 0
    .kernarg_segment_align: 8
    .kernarg_segment_size: 176
    .language:       OpenCL C
    .language_version:
      - 2
      - 0
    .max_flat_workgroup_size: 256
    .name:           _ZN7rocprim17ROCPRIM_400000_NS6detail17trampoline_kernelINS0_13select_configILj256ELj13ELNS0_17block_load_methodE3ELS4_3ELS4_3ELNS0_20block_scan_algorithmE0ELj4294967295EEENS1_25partition_config_selectorILNS1_17partition_subalgoE4EjNS0_10empty_typeEbEEZZNS1_14partition_implILS8_4ELb0ES6_15HIP_vector_typeIjLj2EENS0_17counting_iteratorIjlEEPS9_SG_NS0_5tupleIJPjSI_NS0_16reverse_iteratorISI_EEEEENSH_IJSG_SG_SG_EEES9_SI_JZNS1_25segmented_radix_sort_implINS0_14default_configELb0EPK12hip_bfloat16PSP_PKlPlN2at6native12_GLOBAL__N_18offset_tEEE10hipError_tPvRmT1_PNSt15iterator_traitsIS13_E10value_typeET2_T3_PNS14_IS19_E10value_typeET4_jRbjT5_S1F_jjP12ihipStream_tbEUljE_ZNSN_ISO_Lb0ESR_SS_SU_SV_SZ_EES10_S11_S12_S13_S17_S18_S19_S1C_S1D_jS1E_jS1F_S1F_jjS1H_bEUljE0_EEES10_S11_S12_S19_S1D_S1F_T6_T7_T9_mT8_S1H_bDpT10_ENKUlT_T0_E_clISt17integral_constantIbLb0EES1V_EEDaS1Q_S1R_EUlS1Q_E_NS1_11comp_targetILNS1_3genE8ELNS1_11target_archE1030ELNS1_3gpuE2ELNS1_3repE0EEENS1_30default_config_static_selectorELNS0_4arch9wavefront6targetE0EEEvS13_
    .private_segment_fixed_size: 0
    .sgpr_count:     0
    .sgpr_spill_count: 0
    .symbol:         _ZN7rocprim17ROCPRIM_400000_NS6detail17trampoline_kernelINS0_13select_configILj256ELj13ELNS0_17block_load_methodE3ELS4_3ELS4_3ELNS0_20block_scan_algorithmE0ELj4294967295EEENS1_25partition_config_selectorILNS1_17partition_subalgoE4EjNS0_10empty_typeEbEEZZNS1_14partition_implILS8_4ELb0ES6_15HIP_vector_typeIjLj2EENS0_17counting_iteratorIjlEEPS9_SG_NS0_5tupleIJPjSI_NS0_16reverse_iteratorISI_EEEEENSH_IJSG_SG_SG_EEES9_SI_JZNS1_25segmented_radix_sort_implINS0_14default_configELb0EPK12hip_bfloat16PSP_PKlPlN2at6native12_GLOBAL__N_18offset_tEEE10hipError_tPvRmT1_PNSt15iterator_traitsIS13_E10value_typeET2_T3_PNS14_IS19_E10value_typeET4_jRbjT5_S1F_jjP12ihipStream_tbEUljE_ZNSN_ISO_Lb0ESR_SS_SU_SV_SZ_EES10_S11_S12_S13_S17_S18_S19_S1C_S1D_jS1E_jS1F_S1F_jjS1H_bEUljE0_EEES10_S11_S12_S19_S1D_S1F_T6_T7_T9_mT8_S1H_bDpT10_ENKUlT_T0_E_clISt17integral_constantIbLb0EES1V_EEDaS1Q_S1R_EUlS1Q_E_NS1_11comp_targetILNS1_3genE8ELNS1_11target_archE1030ELNS1_3gpuE2ELNS1_3repE0EEENS1_30default_config_static_selectorELNS0_4arch9wavefront6targetE0EEEvS13_.kd
    .uniform_work_group_size: 1
    .uses_dynamic_stack: false
    .vgpr_count:     0
    .vgpr_spill_count: 0
    .wavefront_size: 32
    .workgroup_processor_mode: 1
  - .args:
      - .offset:         0
        .size:           184
        .value_kind:     by_value
    .group_segment_fixed_size: 0
    .kernarg_segment_align: 8
    .kernarg_segment_size: 184
    .language:       OpenCL C
    .language_version:
      - 2
      - 0
    .max_flat_workgroup_size: 256
    .name:           _ZN7rocprim17ROCPRIM_400000_NS6detail17trampoline_kernelINS0_13select_configILj256ELj13ELNS0_17block_load_methodE3ELS4_3ELS4_3ELNS0_20block_scan_algorithmE0ELj4294967295EEENS1_25partition_config_selectorILNS1_17partition_subalgoE4EjNS0_10empty_typeEbEEZZNS1_14partition_implILS8_4ELb0ES6_15HIP_vector_typeIjLj2EENS0_17counting_iteratorIjlEEPS9_SG_NS0_5tupleIJPjSI_NS0_16reverse_iteratorISI_EEEEENSH_IJSG_SG_SG_EEES9_SI_JZNS1_25segmented_radix_sort_implINS0_14default_configELb0EPK12hip_bfloat16PSP_PKlPlN2at6native12_GLOBAL__N_18offset_tEEE10hipError_tPvRmT1_PNSt15iterator_traitsIS13_E10value_typeET2_T3_PNS14_IS19_E10value_typeET4_jRbjT5_S1F_jjP12ihipStream_tbEUljE_ZNSN_ISO_Lb0ESR_SS_SU_SV_SZ_EES10_S11_S12_S13_S17_S18_S19_S1C_S1D_jS1E_jS1F_S1F_jjS1H_bEUljE0_EEES10_S11_S12_S19_S1D_S1F_T6_T7_T9_mT8_S1H_bDpT10_ENKUlT_T0_E_clISt17integral_constantIbLb1EES1V_EEDaS1Q_S1R_EUlS1Q_E_NS1_11comp_targetILNS1_3genE0ELNS1_11target_archE4294967295ELNS1_3gpuE0ELNS1_3repE0EEENS1_30default_config_static_selectorELNS0_4arch9wavefront6targetE0EEEvS13_
    .private_segment_fixed_size: 0
    .sgpr_count:     0
    .sgpr_spill_count: 0
    .symbol:         _ZN7rocprim17ROCPRIM_400000_NS6detail17trampoline_kernelINS0_13select_configILj256ELj13ELNS0_17block_load_methodE3ELS4_3ELS4_3ELNS0_20block_scan_algorithmE0ELj4294967295EEENS1_25partition_config_selectorILNS1_17partition_subalgoE4EjNS0_10empty_typeEbEEZZNS1_14partition_implILS8_4ELb0ES6_15HIP_vector_typeIjLj2EENS0_17counting_iteratorIjlEEPS9_SG_NS0_5tupleIJPjSI_NS0_16reverse_iteratorISI_EEEEENSH_IJSG_SG_SG_EEES9_SI_JZNS1_25segmented_radix_sort_implINS0_14default_configELb0EPK12hip_bfloat16PSP_PKlPlN2at6native12_GLOBAL__N_18offset_tEEE10hipError_tPvRmT1_PNSt15iterator_traitsIS13_E10value_typeET2_T3_PNS14_IS19_E10value_typeET4_jRbjT5_S1F_jjP12ihipStream_tbEUljE_ZNSN_ISO_Lb0ESR_SS_SU_SV_SZ_EES10_S11_S12_S13_S17_S18_S19_S1C_S1D_jS1E_jS1F_S1F_jjS1H_bEUljE0_EEES10_S11_S12_S19_S1D_S1F_T6_T7_T9_mT8_S1H_bDpT10_ENKUlT_T0_E_clISt17integral_constantIbLb1EES1V_EEDaS1Q_S1R_EUlS1Q_E_NS1_11comp_targetILNS1_3genE0ELNS1_11target_archE4294967295ELNS1_3gpuE0ELNS1_3repE0EEENS1_30default_config_static_selectorELNS0_4arch9wavefront6targetE0EEEvS13_.kd
    .uniform_work_group_size: 1
    .uses_dynamic_stack: false
    .vgpr_count:     0
    .vgpr_spill_count: 0
    .wavefront_size: 32
    .workgroup_processor_mode: 1
  - .args:
      - .offset:         0
        .size:           184
        .value_kind:     by_value
    .group_segment_fixed_size: 0
    .kernarg_segment_align: 8
    .kernarg_segment_size: 184
    .language:       OpenCL C
    .language_version:
      - 2
      - 0
    .max_flat_workgroup_size: 256
    .name:           _ZN7rocprim17ROCPRIM_400000_NS6detail17trampoline_kernelINS0_13select_configILj256ELj13ELNS0_17block_load_methodE3ELS4_3ELS4_3ELNS0_20block_scan_algorithmE0ELj4294967295EEENS1_25partition_config_selectorILNS1_17partition_subalgoE4EjNS0_10empty_typeEbEEZZNS1_14partition_implILS8_4ELb0ES6_15HIP_vector_typeIjLj2EENS0_17counting_iteratorIjlEEPS9_SG_NS0_5tupleIJPjSI_NS0_16reverse_iteratorISI_EEEEENSH_IJSG_SG_SG_EEES9_SI_JZNS1_25segmented_radix_sort_implINS0_14default_configELb0EPK12hip_bfloat16PSP_PKlPlN2at6native12_GLOBAL__N_18offset_tEEE10hipError_tPvRmT1_PNSt15iterator_traitsIS13_E10value_typeET2_T3_PNS14_IS19_E10value_typeET4_jRbjT5_S1F_jjP12ihipStream_tbEUljE_ZNSN_ISO_Lb0ESR_SS_SU_SV_SZ_EES10_S11_S12_S13_S17_S18_S19_S1C_S1D_jS1E_jS1F_S1F_jjS1H_bEUljE0_EEES10_S11_S12_S19_S1D_S1F_T6_T7_T9_mT8_S1H_bDpT10_ENKUlT_T0_E_clISt17integral_constantIbLb1EES1V_EEDaS1Q_S1R_EUlS1Q_E_NS1_11comp_targetILNS1_3genE5ELNS1_11target_archE942ELNS1_3gpuE9ELNS1_3repE0EEENS1_30default_config_static_selectorELNS0_4arch9wavefront6targetE0EEEvS13_
    .private_segment_fixed_size: 0
    .sgpr_count:     0
    .sgpr_spill_count: 0
    .symbol:         _ZN7rocprim17ROCPRIM_400000_NS6detail17trampoline_kernelINS0_13select_configILj256ELj13ELNS0_17block_load_methodE3ELS4_3ELS4_3ELNS0_20block_scan_algorithmE0ELj4294967295EEENS1_25partition_config_selectorILNS1_17partition_subalgoE4EjNS0_10empty_typeEbEEZZNS1_14partition_implILS8_4ELb0ES6_15HIP_vector_typeIjLj2EENS0_17counting_iteratorIjlEEPS9_SG_NS0_5tupleIJPjSI_NS0_16reverse_iteratorISI_EEEEENSH_IJSG_SG_SG_EEES9_SI_JZNS1_25segmented_radix_sort_implINS0_14default_configELb0EPK12hip_bfloat16PSP_PKlPlN2at6native12_GLOBAL__N_18offset_tEEE10hipError_tPvRmT1_PNSt15iterator_traitsIS13_E10value_typeET2_T3_PNS14_IS19_E10value_typeET4_jRbjT5_S1F_jjP12ihipStream_tbEUljE_ZNSN_ISO_Lb0ESR_SS_SU_SV_SZ_EES10_S11_S12_S13_S17_S18_S19_S1C_S1D_jS1E_jS1F_S1F_jjS1H_bEUljE0_EEES10_S11_S12_S19_S1D_S1F_T6_T7_T9_mT8_S1H_bDpT10_ENKUlT_T0_E_clISt17integral_constantIbLb1EES1V_EEDaS1Q_S1R_EUlS1Q_E_NS1_11comp_targetILNS1_3genE5ELNS1_11target_archE942ELNS1_3gpuE9ELNS1_3repE0EEENS1_30default_config_static_selectorELNS0_4arch9wavefront6targetE0EEEvS13_.kd
    .uniform_work_group_size: 1
    .uses_dynamic_stack: false
    .vgpr_count:     0
    .vgpr_spill_count: 0
    .wavefront_size: 32
    .workgroup_processor_mode: 1
  - .args:
      - .offset:         0
        .size:           184
        .value_kind:     by_value
    .group_segment_fixed_size: 0
    .kernarg_segment_align: 8
    .kernarg_segment_size: 184
    .language:       OpenCL C
    .language_version:
      - 2
      - 0
    .max_flat_workgroup_size: 256
    .name:           _ZN7rocprim17ROCPRIM_400000_NS6detail17trampoline_kernelINS0_13select_configILj256ELj13ELNS0_17block_load_methodE3ELS4_3ELS4_3ELNS0_20block_scan_algorithmE0ELj4294967295EEENS1_25partition_config_selectorILNS1_17partition_subalgoE4EjNS0_10empty_typeEbEEZZNS1_14partition_implILS8_4ELb0ES6_15HIP_vector_typeIjLj2EENS0_17counting_iteratorIjlEEPS9_SG_NS0_5tupleIJPjSI_NS0_16reverse_iteratorISI_EEEEENSH_IJSG_SG_SG_EEES9_SI_JZNS1_25segmented_radix_sort_implINS0_14default_configELb0EPK12hip_bfloat16PSP_PKlPlN2at6native12_GLOBAL__N_18offset_tEEE10hipError_tPvRmT1_PNSt15iterator_traitsIS13_E10value_typeET2_T3_PNS14_IS19_E10value_typeET4_jRbjT5_S1F_jjP12ihipStream_tbEUljE_ZNSN_ISO_Lb0ESR_SS_SU_SV_SZ_EES10_S11_S12_S13_S17_S18_S19_S1C_S1D_jS1E_jS1F_S1F_jjS1H_bEUljE0_EEES10_S11_S12_S19_S1D_S1F_T6_T7_T9_mT8_S1H_bDpT10_ENKUlT_T0_E_clISt17integral_constantIbLb1EES1V_EEDaS1Q_S1R_EUlS1Q_E_NS1_11comp_targetILNS1_3genE4ELNS1_11target_archE910ELNS1_3gpuE8ELNS1_3repE0EEENS1_30default_config_static_selectorELNS0_4arch9wavefront6targetE0EEEvS13_
    .private_segment_fixed_size: 0
    .sgpr_count:     0
    .sgpr_spill_count: 0
    .symbol:         _ZN7rocprim17ROCPRIM_400000_NS6detail17trampoline_kernelINS0_13select_configILj256ELj13ELNS0_17block_load_methodE3ELS4_3ELS4_3ELNS0_20block_scan_algorithmE0ELj4294967295EEENS1_25partition_config_selectorILNS1_17partition_subalgoE4EjNS0_10empty_typeEbEEZZNS1_14partition_implILS8_4ELb0ES6_15HIP_vector_typeIjLj2EENS0_17counting_iteratorIjlEEPS9_SG_NS0_5tupleIJPjSI_NS0_16reverse_iteratorISI_EEEEENSH_IJSG_SG_SG_EEES9_SI_JZNS1_25segmented_radix_sort_implINS0_14default_configELb0EPK12hip_bfloat16PSP_PKlPlN2at6native12_GLOBAL__N_18offset_tEEE10hipError_tPvRmT1_PNSt15iterator_traitsIS13_E10value_typeET2_T3_PNS14_IS19_E10value_typeET4_jRbjT5_S1F_jjP12ihipStream_tbEUljE_ZNSN_ISO_Lb0ESR_SS_SU_SV_SZ_EES10_S11_S12_S13_S17_S18_S19_S1C_S1D_jS1E_jS1F_S1F_jjS1H_bEUljE0_EEES10_S11_S12_S19_S1D_S1F_T6_T7_T9_mT8_S1H_bDpT10_ENKUlT_T0_E_clISt17integral_constantIbLb1EES1V_EEDaS1Q_S1R_EUlS1Q_E_NS1_11comp_targetILNS1_3genE4ELNS1_11target_archE910ELNS1_3gpuE8ELNS1_3repE0EEENS1_30default_config_static_selectorELNS0_4arch9wavefront6targetE0EEEvS13_.kd
    .uniform_work_group_size: 1
    .uses_dynamic_stack: false
    .vgpr_count:     0
    .vgpr_spill_count: 0
    .wavefront_size: 32
    .workgroup_processor_mode: 1
  - .args:
      - .offset:         0
        .size:           184
        .value_kind:     by_value
    .group_segment_fixed_size: 0
    .kernarg_segment_align: 8
    .kernarg_segment_size: 184
    .language:       OpenCL C
    .language_version:
      - 2
      - 0
    .max_flat_workgroup_size: 256
    .name:           _ZN7rocprim17ROCPRIM_400000_NS6detail17trampoline_kernelINS0_13select_configILj256ELj13ELNS0_17block_load_methodE3ELS4_3ELS4_3ELNS0_20block_scan_algorithmE0ELj4294967295EEENS1_25partition_config_selectorILNS1_17partition_subalgoE4EjNS0_10empty_typeEbEEZZNS1_14partition_implILS8_4ELb0ES6_15HIP_vector_typeIjLj2EENS0_17counting_iteratorIjlEEPS9_SG_NS0_5tupleIJPjSI_NS0_16reverse_iteratorISI_EEEEENSH_IJSG_SG_SG_EEES9_SI_JZNS1_25segmented_radix_sort_implINS0_14default_configELb0EPK12hip_bfloat16PSP_PKlPlN2at6native12_GLOBAL__N_18offset_tEEE10hipError_tPvRmT1_PNSt15iterator_traitsIS13_E10value_typeET2_T3_PNS14_IS19_E10value_typeET4_jRbjT5_S1F_jjP12ihipStream_tbEUljE_ZNSN_ISO_Lb0ESR_SS_SU_SV_SZ_EES10_S11_S12_S13_S17_S18_S19_S1C_S1D_jS1E_jS1F_S1F_jjS1H_bEUljE0_EEES10_S11_S12_S19_S1D_S1F_T6_T7_T9_mT8_S1H_bDpT10_ENKUlT_T0_E_clISt17integral_constantIbLb1EES1V_EEDaS1Q_S1R_EUlS1Q_E_NS1_11comp_targetILNS1_3genE3ELNS1_11target_archE908ELNS1_3gpuE7ELNS1_3repE0EEENS1_30default_config_static_selectorELNS0_4arch9wavefront6targetE0EEEvS13_
    .private_segment_fixed_size: 0
    .sgpr_count:     0
    .sgpr_spill_count: 0
    .symbol:         _ZN7rocprim17ROCPRIM_400000_NS6detail17trampoline_kernelINS0_13select_configILj256ELj13ELNS0_17block_load_methodE3ELS4_3ELS4_3ELNS0_20block_scan_algorithmE0ELj4294967295EEENS1_25partition_config_selectorILNS1_17partition_subalgoE4EjNS0_10empty_typeEbEEZZNS1_14partition_implILS8_4ELb0ES6_15HIP_vector_typeIjLj2EENS0_17counting_iteratorIjlEEPS9_SG_NS0_5tupleIJPjSI_NS0_16reverse_iteratorISI_EEEEENSH_IJSG_SG_SG_EEES9_SI_JZNS1_25segmented_radix_sort_implINS0_14default_configELb0EPK12hip_bfloat16PSP_PKlPlN2at6native12_GLOBAL__N_18offset_tEEE10hipError_tPvRmT1_PNSt15iterator_traitsIS13_E10value_typeET2_T3_PNS14_IS19_E10value_typeET4_jRbjT5_S1F_jjP12ihipStream_tbEUljE_ZNSN_ISO_Lb0ESR_SS_SU_SV_SZ_EES10_S11_S12_S13_S17_S18_S19_S1C_S1D_jS1E_jS1F_S1F_jjS1H_bEUljE0_EEES10_S11_S12_S19_S1D_S1F_T6_T7_T9_mT8_S1H_bDpT10_ENKUlT_T0_E_clISt17integral_constantIbLb1EES1V_EEDaS1Q_S1R_EUlS1Q_E_NS1_11comp_targetILNS1_3genE3ELNS1_11target_archE908ELNS1_3gpuE7ELNS1_3repE0EEENS1_30default_config_static_selectorELNS0_4arch9wavefront6targetE0EEEvS13_.kd
    .uniform_work_group_size: 1
    .uses_dynamic_stack: false
    .vgpr_count:     0
    .vgpr_spill_count: 0
    .wavefront_size: 32
    .workgroup_processor_mode: 1
  - .args:
      - .offset:         0
        .size:           184
        .value_kind:     by_value
    .group_segment_fixed_size: 0
    .kernarg_segment_align: 8
    .kernarg_segment_size: 184
    .language:       OpenCL C
    .language_version:
      - 2
      - 0
    .max_flat_workgroup_size: 256
    .name:           _ZN7rocprim17ROCPRIM_400000_NS6detail17trampoline_kernelINS0_13select_configILj256ELj13ELNS0_17block_load_methodE3ELS4_3ELS4_3ELNS0_20block_scan_algorithmE0ELj4294967295EEENS1_25partition_config_selectorILNS1_17partition_subalgoE4EjNS0_10empty_typeEbEEZZNS1_14partition_implILS8_4ELb0ES6_15HIP_vector_typeIjLj2EENS0_17counting_iteratorIjlEEPS9_SG_NS0_5tupleIJPjSI_NS0_16reverse_iteratorISI_EEEEENSH_IJSG_SG_SG_EEES9_SI_JZNS1_25segmented_radix_sort_implINS0_14default_configELb0EPK12hip_bfloat16PSP_PKlPlN2at6native12_GLOBAL__N_18offset_tEEE10hipError_tPvRmT1_PNSt15iterator_traitsIS13_E10value_typeET2_T3_PNS14_IS19_E10value_typeET4_jRbjT5_S1F_jjP12ihipStream_tbEUljE_ZNSN_ISO_Lb0ESR_SS_SU_SV_SZ_EES10_S11_S12_S13_S17_S18_S19_S1C_S1D_jS1E_jS1F_S1F_jjS1H_bEUljE0_EEES10_S11_S12_S19_S1D_S1F_T6_T7_T9_mT8_S1H_bDpT10_ENKUlT_T0_E_clISt17integral_constantIbLb1EES1V_EEDaS1Q_S1R_EUlS1Q_E_NS1_11comp_targetILNS1_3genE2ELNS1_11target_archE906ELNS1_3gpuE6ELNS1_3repE0EEENS1_30default_config_static_selectorELNS0_4arch9wavefront6targetE0EEEvS13_
    .private_segment_fixed_size: 0
    .sgpr_count:     0
    .sgpr_spill_count: 0
    .symbol:         _ZN7rocprim17ROCPRIM_400000_NS6detail17trampoline_kernelINS0_13select_configILj256ELj13ELNS0_17block_load_methodE3ELS4_3ELS4_3ELNS0_20block_scan_algorithmE0ELj4294967295EEENS1_25partition_config_selectorILNS1_17partition_subalgoE4EjNS0_10empty_typeEbEEZZNS1_14partition_implILS8_4ELb0ES6_15HIP_vector_typeIjLj2EENS0_17counting_iteratorIjlEEPS9_SG_NS0_5tupleIJPjSI_NS0_16reverse_iteratorISI_EEEEENSH_IJSG_SG_SG_EEES9_SI_JZNS1_25segmented_radix_sort_implINS0_14default_configELb0EPK12hip_bfloat16PSP_PKlPlN2at6native12_GLOBAL__N_18offset_tEEE10hipError_tPvRmT1_PNSt15iterator_traitsIS13_E10value_typeET2_T3_PNS14_IS19_E10value_typeET4_jRbjT5_S1F_jjP12ihipStream_tbEUljE_ZNSN_ISO_Lb0ESR_SS_SU_SV_SZ_EES10_S11_S12_S13_S17_S18_S19_S1C_S1D_jS1E_jS1F_S1F_jjS1H_bEUljE0_EEES10_S11_S12_S19_S1D_S1F_T6_T7_T9_mT8_S1H_bDpT10_ENKUlT_T0_E_clISt17integral_constantIbLb1EES1V_EEDaS1Q_S1R_EUlS1Q_E_NS1_11comp_targetILNS1_3genE2ELNS1_11target_archE906ELNS1_3gpuE6ELNS1_3repE0EEENS1_30default_config_static_selectorELNS0_4arch9wavefront6targetE0EEEvS13_.kd
    .uniform_work_group_size: 1
    .uses_dynamic_stack: false
    .vgpr_count:     0
    .vgpr_spill_count: 0
    .wavefront_size: 32
    .workgroup_processor_mode: 1
  - .args:
      - .offset:         0
        .size:           184
        .value_kind:     by_value
    .group_segment_fixed_size: 0
    .kernarg_segment_align: 8
    .kernarg_segment_size: 184
    .language:       OpenCL C
    .language_version:
      - 2
      - 0
    .max_flat_workgroup_size: 256
    .name:           _ZN7rocprim17ROCPRIM_400000_NS6detail17trampoline_kernelINS0_13select_configILj256ELj13ELNS0_17block_load_methodE3ELS4_3ELS4_3ELNS0_20block_scan_algorithmE0ELj4294967295EEENS1_25partition_config_selectorILNS1_17partition_subalgoE4EjNS0_10empty_typeEbEEZZNS1_14partition_implILS8_4ELb0ES6_15HIP_vector_typeIjLj2EENS0_17counting_iteratorIjlEEPS9_SG_NS0_5tupleIJPjSI_NS0_16reverse_iteratorISI_EEEEENSH_IJSG_SG_SG_EEES9_SI_JZNS1_25segmented_radix_sort_implINS0_14default_configELb0EPK12hip_bfloat16PSP_PKlPlN2at6native12_GLOBAL__N_18offset_tEEE10hipError_tPvRmT1_PNSt15iterator_traitsIS13_E10value_typeET2_T3_PNS14_IS19_E10value_typeET4_jRbjT5_S1F_jjP12ihipStream_tbEUljE_ZNSN_ISO_Lb0ESR_SS_SU_SV_SZ_EES10_S11_S12_S13_S17_S18_S19_S1C_S1D_jS1E_jS1F_S1F_jjS1H_bEUljE0_EEES10_S11_S12_S19_S1D_S1F_T6_T7_T9_mT8_S1H_bDpT10_ENKUlT_T0_E_clISt17integral_constantIbLb1EES1V_EEDaS1Q_S1R_EUlS1Q_E_NS1_11comp_targetILNS1_3genE10ELNS1_11target_archE1200ELNS1_3gpuE4ELNS1_3repE0EEENS1_30default_config_static_selectorELNS0_4arch9wavefront6targetE0EEEvS13_
    .private_segment_fixed_size: 0
    .sgpr_count:     0
    .sgpr_spill_count: 0
    .symbol:         _ZN7rocprim17ROCPRIM_400000_NS6detail17trampoline_kernelINS0_13select_configILj256ELj13ELNS0_17block_load_methodE3ELS4_3ELS4_3ELNS0_20block_scan_algorithmE0ELj4294967295EEENS1_25partition_config_selectorILNS1_17partition_subalgoE4EjNS0_10empty_typeEbEEZZNS1_14partition_implILS8_4ELb0ES6_15HIP_vector_typeIjLj2EENS0_17counting_iteratorIjlEEPS9_SG_NS0_5tupleIJPjSI_NS0_16reverse_iteratorISI_EEEEENSH_IJSG_SG_SG_EEES9_SI_JZNS1_25segmented_radix_sort_implINS0_14default_configELb0EPK12hip_bfloat16PSP_PKlPlN2at6native12_GLOBAL__N_18offset_tEEE10hipError_tPvRmT1_PNSt15iterator_traitsIS13_E10value_typeET2_T3_PNS14_IS19_E10value_typeET4_jRbjT5_S1F_jjP12ihipStream_tbEUljE_ZNSN_ISO_Lb0ESR_SS_SU_SV_SZ_EES10_S11_S12_S13_S17_S18_S19_S1C_S1D_jS1E_jS1F_S1F_jjS1H_bEUljE0_EEES10_S11_S12_S19_S1D_S1F_T6_T7_T9_mT8_S1H_bDpT10_ENKUlT_T0_E_clISt17integral_constantIbLb1EES1V_EEDaS1Q_S1R_EUlS1Q_E_NS1_11comp_targetILNS1_3genE10ELNS1_11target_archE1200ELNS1_3gpuE4ELNS1_3repE0EEENS1_30default_config_static_selectorELNS0_4arch9wavefront6targetE0EEEvS13_.kd
    .uniform_work_group_size: 1
    .uses_dynamic_stack: false
    .vgpr_count:     0
    .vgpr_spill_count: 0
    .wavefront_size: 32
    .workgroup_processor_mode: 1
  - .args:
      - .offset:         0
        .size:           184
        .value_kind:     by_value
    .group_segment_fixed_size: 0
    .kernarg_segment_align: 8
    .kernarg_segment_size: 184
    .language:       OpenCL C
    .language_version:
      - 2
      - 0
    .max_flat_workgroup_size: 256
    .name:           _ZN7rocprim17ROCPRIM_400000_NS6detail17trampoline_kernelINS0_13select_configILj256ELj13ELNS0_17block_load_methodE3ELS4_3ELS4_3ELNS0_20block_scan_algorithmE0ELj4294967295EEENS1_25partition_config_selectorILNS1_17partition_subalgoE4EjNS0_10empty_typeEbEEZZNS1_14partition_implILS8_4ELb0ES6_15HIP_vector_typeIjLj2EENS0_17counting_iteratorIjlEEPS9_SG_NS0_5tupleIJPjSI_NS0_16reverse_iteratorISI_EEEEENSH_IJSG_SG_SG_EEES9_SI_JZNS1_25segmented_radix_sort_implINS0_14default_configELb0EPK12hip_bfloat16PSP_PKlPlN2at6native12_GLOBAL__N_18offset_tEEE10hipError_tPvRmT1_PNSt15iterator_traitsIS13_E10value_typeET2_T3_PNS14_IS19_E10value_typeET4_jRbjT5_S1F_jjP12ihipStream_tbEUljE_ZNSN_ISO_Lb0ESR_SS_SU_SV_SZ_EES10_S11_S12_S13_S17_S18_S19_S1C_S1D_jS1E_jS1F_S1F_jjS1H_bEUljE0_EEES10_S11_S12_S19_S1D_S1F_T6_T7_T9_mT8_S1H_bDpT10_ENKUlT_T0_E_clISt17integral_constantIbLb1EES1V_EEDaS1Q_S1R_EUlS1Q_E_NS1_11comp_targetILNS1_3genE9ELNS1_11target_archE1100ELNS1_3gpuE3ELNS1_3repE0EEENS1_30default_config_static_selectorELNS0_4arch9wavefront6targetE0EEEvS13_
    .private_segment_fixed_size: 0
    .sgpr_count:     0
    .sgpr_spill_count: 0
    .symbol:         _ZN7rocprim17ROCPRIM_400000_NS6detail17trampoline_kernelINS0_13select_configILj256ELj13ELNS0_17block_load_methodE3ELS4_3ELS4_3ELNS0_20block_scan_algorithmE0ELj4294967295EEENS1_25partition_config_selectorILNS1_17partition_subalgoE4EjNS0_10empty_typeEbEEZZNS1_14partition_implILS8_4ELb0ES6_15HIP_vector_typeIjLj2EENS0_17counting_iteratorIjlEEPS9_SG_NS0_5tupleIJPjSI_NS0_16reverse_iteratorISI_EEEEENSH_IJSG_SG_SG_EEES9_SI_JZNS1_25segmented_radix_sort_implINS0_14default_configELb0EPK12hip_bfloat16PSP_PKlPlN2at6native12_GLOBAL__N_18offset_tEEE10hipError_tPvRmT1_PNSt15iterator_traitsIS13_E10value_typeET2_T3_PNS14_IS19_E10value_typeET4_jRbjT5_S1F_jjP12ihipStream_tbEUljE_ZNSN_ISO_Lb0ESR_SS_SU_SV_SZ_EES10_S11_S12_S13_S17_S18_S19_S1C_S1D_jS1E_jS1F_S1F_jjS1H_bEUljE0_EEES10_S11_S12_S19_S1D_S1F_T6_T7_T9_mT8_S1H_bDpT10_ENKUlT_T0_E_clISt17integral_constantIbLb1EES1V_EEDaS1Q_S1R_EUlS1Q_E_NS1_11comp_targetILNS1_3genE9ELNS1_11target_archE1100ELNS1_3gpuE3ELNS1_3repE0EEENS1_30default_config_static_selectorELNS0_4arch9wavefront6targetE0EEEvS13_.kd
    .uniform_work_group_size: 1
    .uses_dynamic_stack: false
    .vgpr_count:     0
    .vgpr_spill_count: 0
    .wavefront_size: 32
    .workgroup_processor_mode: 1
  - .args:
      - .offset:         0
        .size:           184
        .value_kind:     by_value
    .group_segment_fixed_size: 0
    .kernarg_segment_align: 8
    .kernarg_segment_size: 184
    .language:       OpenCL C
    .language_version:
      - 2
      - 0
    .max_flat_workgroup_size: 256
    .name:           _ZN7rocprim17ROCPRIM_400000_NS6detail17trampoline_kernelINS0_13select_configILj256ELj13ELNS0_17block_load_methodE3ELS4_3ELS4_3ELNS0_20block_scan_algorithmE0ELj4294967295EEENS1_25partition_config_selectorILNS1_17partition_subalgoE4EjNS0_10empty_typeEbEEZZNS1_14partition_implILS8_4ELb0ES6_15HIP_vector_typeIjLj2EENS0_17counting_iteratorIjlEEPS9_SG_NS0_5tupleIJPjSI_NS0_16reverse_iteratorISI_EEEEENSH_IJSG_SG_SG_EEES9_SI_JZNS1_25segmented_radix_sort_implINS0_14default_configELb0EPK12hip_bfloat16PSP_PKlPlN2at6native12_GLOBAL__N_18offset_tEEE10hipError_tPvRmT1_PNSt15iterator_traitsIS13_E10value_typeET2_T3_PNS14_IS19_E10value_typeET4_jRbjT5_S1F_jjP12ihipStream_tbEUljE_ZNSN_ISO_Lb0ESR_SS_SU_SV_SZ_EES10_S11_S12_S13_S17_S18_S19_S1C_S1D_jS1E_jS1F_S1F_jjS1H_bEUljE0_EEES10_S11_S12_S19_S1D_S1F_T6_T7_T9_mT8_S1H_bDpT10_ENKUlT_T0_E_clISt17integral_constantIbLb1EES1V_EEDaS1Q_S1R_EUlS1Q_E_NS1_11comp_targetILNS1_3genE8ELNS1_11target_archE1030ELNS1_3gpuE2ELNS1_3repE0EEENS1_30default_config_static_selectorELNS0_4arch9wavefront6targetE0EEEvS13_
    .private_segment_fixed_size: 0
    .sgpr_count:     0
    .sgpr_spill_count: 0
    .symbol:         _ZN7rocprim17ROCPRIM_400000_NS6detail17trampoline_kernelINS0_13select_configILj256ELj13ELNS0_17block_load_methodE3ELS4_3ELS4_3ELNS0_20block_scan_algorithmE0ELj4294967295EEENS1_25partition_config_selectorILNS1_17partition_subalgoE4EjNS0_10empty_typeEbEEZZNS1_14partition_implILS8_4ELb0ES6_15HIP_vector_typeIjLj2EENS0_17counting_iteratorIjlEEPS9_SG_NS0_5tupleIJPjSI_NS0_16reverse_iteratorISI_EEEEENSH_IJSG_SG_SG_EEES9_SI_JZNS1_25segmented_radix_sort_implINS0_14default_configELb0EPK12hip_bfloat16PSP_PKlPlN2at6native12_GLOBAL__N_18offset_tEEE10hipError_tPvRmT1_PNSt15iterator_traitsIS13_E10value_typeET2_T3_PNS14_IS19_E10value_typeET4_jRbjT5_S1F_jjP12ihipStream_tbEUljE_ZNSN_ISO_Lb0ESR_SS_SU_SV_SZ_EES10_S11_S12_S13_S17_S18_S19_S1C_S1D_jS1E_jS1F_S1F_jjS1H_bEUljE0_EEES10_S11_S12_S19_S1D_S1F_T6_T7_T9_mT8_S1H_bDpT10_ENKUlT_T0_E_clISt17integral_constantIbLb1EES1V_EEDaS1Q_S1R_EUlS1Q_E_NS1_11comp_targetILNS1_3genE8ELNS1_11target_archE1030ELNS1_3gpuE2ELNS1_3repE0EEENS1_30default_config_static_selectorELNS0_4arch9wavefront6targetE0EEEvS13_.kd
    .uniform_work_group_size: 1
    .uses_dynamic_stack: false
    .vgpr_count:     0
    .vgpr_spill_count: 0
    .wavefront_size: 32
    .workgroup_processor_mode: 1
  - .args:
      - .offset:         0
        .size:           176
        .value_kind:     by_value
    .group_segment_fixed_size: 0
    .kernarg_segment_align: 8
    .kernarg_segment_size: 176
    .language:       OpenCL C
    .language_version:
      - 2
      - 0
    .max_flat_workgroup_size: 256
    .name:           _ZN7rocprim17ROCPRIM_400000_NS6detail17trampoline_kernelINS0_13select_configILj256ELj13ELNS0_17block_load_methodE3ELS4_3ELS4_3ELNS0_20block_scan_algorithmE0ELj4294967295EEENS1_25partition_config_selectorILNS1_17partition_subalgoE4EjNS0_10empty_typeEbEEZZNS1_14partition_implILS8_4ELb0ES6_15HIP_vector_typeIjLj2EENS0_17counting_iteratorIjlEEPS9_SG_NS0_5tupleIJPjSI_NS0_16reverse_iteratorISI_EEEEENSH_IJSG_SG_SG_EEES9_SI_JZNS1_25segmented_radix_sort_implINS0_14default_configELb0EPK12hip_bfloat16PSP_PKlPlN2at6native12_GLOBAL__N_18offset_tEEE10hipError_tPvRmT1_PNSt15iterator_traitsIS13_E10value_typeET2_T3_PNS14_IS19_E10value_typeET4_jRbjT5_S1F_jjP12ihipStream_tbEUljE_ZNSN_ISO_Lb0ESR_SS_SU_SV_SZ_EES10_S11_S12_S13_S17_S18_S19_S1C_S1D_jS1E_jS1F_S1F_jjS1H_bEUljE0_EEES10_S11_S12_S19_S1D_S1F_T6_T7_T9_mT8_S1H_bDpT10_ENKUlT_T0_E_clISt17integral_constantIbLb1EES1U_IbLb0EEEEDaS1Q_S1R_EUlS1Q_E_NS1_11comp_targetILNS1_3genE0ELNS1_11target_archE4294967295ELNS1_3gpuE0ELNS1_3repE0EEENS1_30default_config_static_selectorELNS0_4arch9wavefront6targetE0EEEvS13_
    .private_segment_fixed_size: 0
    .sgpr_count:     0
    .sgpr_spill_count: 0
    .symbol:         _ZN7rocprim17ROCPRIM_400000_NS6detail17trampoline_kernelINS0_13select_configILj256ELj13ELNS0_17block_load_methodE3ELS4_3ELS4_3ELNS0_20block_scan_algorithmE0ELj4294967295EEENS1_25partition_config_selectorILNS1_17partition_subalgoE4EjNS0_10empty_typeEbEEZZNS1_14partition_implILS8_4ELb0ES6_15HIP_vector_typeIjLj2EENS0_17counting_iteratorIjlEEPS9_SG_NS0_5tupleIJPjSI_NS0_16reverse_iteratorISI_EEEEENSH_IJSG_SG_SG_EEES9_SI_JZNS1_25segmented_radix_sort_implINS0_14default_configELb0EPK12hip_bfloat16PSP_PKlPlN2at6native12_GLOBAL__N_18offset_tEEE10hipError_tPvRmT1_PNSt15iterator_traitsIS13_E10value_typeET2_T3_PNS14_IS19_E10value_typeET4_jRbjT5_S1F_jjP12ihipStream_tbEUljE_ZNSN_ISO_Lb0ESR_SS_SU_SV_SZ_EES10_S11_S12_S13_S17_S18_S19_S1C_S1D_jS1E_jS1F_S1F_jjS1H_bEUljE0_EEES10_S11_S12_S19_S1D_S1F_T6_T7_T9_mT8_S1H_bDpT10_ENKUlT_T0_E_clISt17integral_constantIbLb1EES1U_IbLb0EEEEDaS1Q_S1R_EUlS1Q_E_NS1_11comp_targetILNS1_3genE0ELNS1_11target_archE4294967295ELNS1_3gpuE0ELNS1_3repE0EEENS1_30default_config_static_selectorELNS0_4arch9wavefront6targetE0EEEvS13_.kd
    .uniform_work_group_size: 1
    .uses_dynamic_stack: false
    .vgpr_count:     0
    .vgpr_spill_count: 0
    .wavefront_size: 32
    .workgroup_processor_mode: 1
  - .args:
      - .offset:         0
        .size:           176
        .value_kind:     by_value
    .group_segment_fixed_size: 0
    .kernarg_segment_align: 8
    .kernarg_segment_size: 176
    .language:       OpenCL C
    .language_version:
      - 2
      - 0
    .max_flat_workgroup_size: 256
    .name:           _ZN7rocprim17ROCPRIM_400000_NS6detail17trampoline_kernelINS0_13select_configILj256ELj13ELNS0_17block_load_methodE3ELS4_3ELS4_3ELNS0_20block_scan_algorithmE0ELj4294967295EEENS1_25partition_config_selectorILNS1_17partition_subalgoE4EjNS0_10empty_typeEbEEZZNS1_14partition_implILS8_4ELb0ES6_15HIP_vector_typeIjLj2EENS0_17counting_iteratorIjlEEPS9_SG_NS0_5tupleIJPjSI_NS0_16reverse_iteratorISI_EEEEENSH_IJSG_SG_SG_EEES9_SI_JZNS1_25segmented_radix_sort_implINS0_14default_configELb0EPK12hip_bfloat16PSP_PKlPlN2at6native12_GLOBAL__N_18offset_tEEE10hipError_tPvRmT1_PNSt15iterator_traitsIS13_E10value_typeET2_T3_PNS14_IS19_E10value_typeET4_jRbjT5_S1F_jjP12ihipStream_tbEUljE_ZNSN_ISO_Lb0ESR_SS_SU_SV_SZ_EES10_S11_S12_S13_S17_S18_S19_S1C_S1D_jS1E_jS1F_S1F_jjS1H_bEUljE0_EEES10_S11_S12_S19_S1D_S1F_T6_T7_T9_mT8_S1H_bDpT10_ENKUlT_T0_E_clISt17integral_constantIbLb1EES1U_IbLb0EEEEDaS1Q_S1R_EUlS1Q_E_NS1_11comp_targetILNS1_3genE5ELNS1_11target_archE942ELNS1_3gpuE9ELNS1_3repE0EEENS1_30default_config_static_selectorELNS0_4arch9wavefront6targetE0EEEvS13_
    .private_segment_fixed_size: 0
    .sgpr_count:     0
    .sgpr_spill_count: 0
    .symbol:         _ZN7rocprim17ROCPRIM_400000_NS6detail17trampoline_kernelINS0_13select_configILj256ELj13ELNS0_17block_load_methodE3ELS4_3ELS4_3ELNS0_20block_scan_algorithmE0ELj4294967295EEENS1_25partition_config_selectorILNS1_17partition_subalgoE4EjNS0_10empty_typeEbEEZZNS1_14partition_implILS8_4ELb0ES6_15HIP_vector_typeIjLj2EENS0_17counting_iteratorIjlEEPS9_SG_NS0_5tupleIJPjSI_NS0_16reverse_iteratorISI_EEEEENSH_IJSG_SG_SG_EEES9_SI_JZNS1_25segmented_radix_sort_implINS0_14default_configELb0EPK12hip_bfloat16PSP_PKlPlN2at6native12_GLOBAL__N_18offset_tEEE10hipError_tPvRmT1_PNSt15iterator_traitsIS13_E10value_typeET2_T3_PNS14_IS19_E10value_typeET4_jRbjT5_S1F_jjP12ihipStream_tbEUljE_ZNSN_ISO_Lb0ESR_SS_SU_SV_SZ_EES10_S11_S12_S13_S17_S18_S19_S1C_S1D_jS1E_jS1F_S1F_jjS1H_bEUljE0_EEES10_S11_S12_S19_S1D_S1F_T6_T7_T9_mT8_S1H_bDpT10_ENKUlT_T0_E_clISt17integral_constantIbLb1EES1U_IbLb0EEEEDaS1Q_S1R_EUlS1Q_E_NS1_11comp_targetILNS1_3genE5ELNS1_11target_archE942ELNS1_3gpuE9ELNS1_3repE0EEENS1_30default_config_static_selectorELNS0_4arch9wavefront6targetE0EEEvS13_.kd
    .uniform_work_group_size: 1
    .uses_dynamic_stack: false
    .vgpr_count:     0
    .vgpr_spill_count: 0
    .wavefront_size: 32
    .workgroup_processor_mode: 1
  - .args:
      - .offset:         0
        .size:           176
        .value_kind:     by_value
    .group_segment_fixed_size: 0
    .kernarg_segment_align: 8
    .kernarg_segment_size: 176
    .language:       OpenCL C
    .language_version:
      - 2
      - 0
    .max_flat_workgroup_size: 256
    .name:           _ZN7rocprim17ROCPRIM_400000_NS6detail17trampoline_kernelINS0_13select_configILj256ELj13ELNS0_17block_load_methodE3ELS4_3ELS4_3ELNS0_20block_scan_algorithmE0ELj4294967295EEENS1_25partition_config_selectorILNS1_17partition_subalgoE4EjNS0_10empty_typeEbEEZZNS1_14partition_implILS8_4ELb0ES6_15HIP_vector_typeIjLj2EENS0_17counting_iteratorIjlEEPS9_SG_NS0_5tupleIJPjSI_NS0_16reverse_iteratorISI_EEEEENSH_IJSG_SG_SG_EEES9_SI_JZNS1_25segmented_radix_sort_implINS0_14default_configELb0EPK12hip_bfloat16PSP_PKlPlN2at6native12_GLOBAL__N_18offset_tEEE10hipError_tPvRmT1_PNSt15iterator_traitsIS13_E10value_typeET2_T3_PNS14_IS19_E10value_typeET4_jRbjT5_S1F_jjP12ihipStream_tbEUljE_ZNSN_ISO_Lb0ESR_SS_SU_SV_SZ_EES10_S11_S12_S13_S17_S18_S19_S1C_S1D_jS1E_jS1F_S1F_jjS1H_bEUljE0_EEES10_S11_S12_S19_S1D_S1F_T6_T7_T9_mT8_S1H_bDpT10_ENKUlT_T0_E_clISt17integral_constantIbLb1EES1U_IbLb0EEEEDaS1Q_S1R_EUlS1Q_E_NS1_11comp_targetILNS1_3genE4ELNS1_11target_archE910ELNS1_3gpuE8ELNS1_3repE0EEENS1_30default_config_static_selectorELNS0_4arch9wavefront6targetE0EEEvS13_
    .private_segment_fixed_size: 0
    .sgpr_count:     0
    .sgpr_spill_count: 0
    .symbol:         _ZN7rocprim17ROCPRIM_400000_NS6detail17trampoline_kernelINS0_13select_configILj256ELj13ELNS0_17block_load_methodE3ELS4_3ELS4_3ELNS0_20block_scan_algorithmE0ELj4294967295EEENS1_25partition_config_selectorILNS1_17partition_subalgoE4EjNS0_10empty_typeEbEEZZNS1_14partition_implILS8_4ELb0ES6_15HIP_vector_typeIjLj2EENS0_17counting_iteratorIjlEEPS9_SG_NS0_5tupleIJPjSI_NS0_16reverse_iteratorISI_EEEEENSH_IJSG_SG_SG_EEES9_SI_JZNS1_25segmented_radix_sort_implINS0_14default_configELb0EPK12hip_bfloat16PSP_PKlPlN2at6native12_GLOBAL__N_18offset_tEEE10hipError_tPvRmT1_PNSt15iterator_traitsIS13_E10value_typeET2_T3_PNS14_IS19_E10value_typeET4_jRbjT5_S1F_jjP12ihipStream_tbEUljE_ZNSN_ISO_Lb0ESR_SS_SU_SV_SZ_EES10_S11_S12_S13_S17_S18_S19_S1C_S1D_jS1E_jS1F_S1F_jjS1H_bEUljE0_EEES10_S11_S12_S19_S1D_S1F_T6_T7_T9_mT8_S1H_bDpT10_ENKUlT_T0_E_clISt17integral_constantIbLb1EES1U_IbLb0EEEEDaS1Q_S1R_EUlS1Q_E_NS1_11comp_targetILNS1_3genE4ELNS1_11target_archE910ELNS1_3gpuE8ELNS1_3repE0EEENS1_30default_config_static_selectorELNS0_4arch9wavefront6targetE0EEEvS13_.kd
    .uniform_work_group_size: 1
    .uses_dynamic_stack: false
    .vgpr_count:     0
    .vgpr_spill_count: 0
    .wavefront_size: 32
    .workgroup_processor_mode: 1
  - .args:
      - .offset:         0
        .size:           176
        .value_kind:     by_value
    .group_segment_fixed_size: 0
    .kernarg_segment_align: 8
    .kernarg_segment_size: 176
    .language:       OpenCL C
    .language_version:
      - 2
      - 0
    .max_flat_workgroup_size: 256
    .name:           _ZN7rocprim17ROCPRIM_400000_NS6detail17trampoline_kernelINS0_13select_configILj256ELj13ELNS0_17block_load_methodE3ELS4_3ELS4_3ELNS0_20block_scan_algorithmE0ELj4294967295EEENS1_25partition_config_selectorILNS1_17partition_subalgoE4EjNS0_10empty_typeEbEEZZNS1_14partition_implILS8_4ELb0ES6_15HIP_vector_typeIjLj2EENS0_17counting_iteratorIjlEEPS9_SG_NS0_5tupleIJPjSI_NS0_16reverse_iteratorISI_EEEEENSH_IJSG_SG_SG_EEES9_SI_JZNS1_25segmented_radix_sort_implINS0_14default_configELb0EPK12hip_bfloat16PSP_PKlPlN2at6native12_GLOBAL__N_18offset_tEEE10hipError_tPvRmT1_PNSt15iterator_traitsIS13_E10value_typeET2_T3_PNS14_IS19_E10value_typeET4_jRbjT5_S1F_jjP12ihipStream_tbEUljE_ZNSN_ISO_Lb0ESR_SS_SU_SV_SZ_EES10_S11_S12_S13_S17_S18_S19_S1C_S1D_jS1E_jS1F_S1F_jjS1H_bEUljE0_EEES10_S11_S12_S19_S1D_S1F_T6_T7_T9_mT8_S1H_bDpT10_ENKUlT_T0_E_clISt17integral_constantIbLb1EES1U_IbLb0EEEEDaS1Q_S1R_EUlS1Q_E_NS1_11comp_targetILNS1_3genE3ELNS1_11target_archE908ELNS1_3gpuE7ELNS1_3repE0EEENS1_30default_config_static_selectorELNS0_4arch9wavefront6targetE0EEEvS13_
    .private_segment_fixed_size: 0
    .sgpr_count:     0
    .sgpr_spill_count: 0
    .symbol:         _ZN7rocprim17ROCPRIM_400000_NS6detail17trampoline_kernelINS0_13select_configILj256ELj13ELNS0_17block_load_methodE3ELS4_3ELS4_3ELNS0_20block_scan_algorithmE0ELj4294967295EEENS1_25partition_config_selectorILNS1_17partition_subalgoE4EjNS0_10empty_typeEbEEZZNS1_14partition_implILS8_4ELb0ES6_15HIP_vector_typeIjLj2EENS0_17counting_iteratorIjlEEPS9_SG_NS0_5tupleIJPjSI_NS0_16reverse_iteratorISI_EEEEENSH_IJSG_SG_SG_EEES9_SI_JZNS1_25segmented_radix_sort_implINS0_14default_configELb0EPK12hip_bfloat16PSP_PKlPlN2at6native12_GLOBAL__N_18offset_tEEE10hipError_tPvRmT1_PNSt15iterator_traitsIS13_E10value_typeET2_T3_PNS14_IS19_E10value_typeET4_jRbjT5_S1F_jjP12ihipStream_tbEUljE_ZNSN_ISO_Lb0ESR_SS_SU_SV_SZ_EES10_S11_S12_S13_S17_S18_S19_S1C_S1D_jS1E_jS1F_S1F_jjS1H_bEUljE0_EEES10_S11_S12_S19_S1D_S1F_T6_T7_T9_mT8_S1H_bDpT10_ENKUlT_T0_E_clISt17integral_constantIbLb1EES1U_IbLb0EEEEDaS1Q_S1R_EUlS1Q_E_NS1_11comp_targetILNS1_3genE3ELNS1_11target_archE908ELNS1_3gpuE7ELNS1_3repE0EEENS1_30default_config_static_selectorELNS0_4arch9wavefront6targetE0EEEvS13_.kd
    .uniform_work_group_size: 1
    .uses_dynamic_stack: false
    .vgpr_count:     0
    .vgpr_spill_count: 0
    .wavefront_size: 32
    .workgroup_processor_mode: 1
  - .args:
      - .offset:         0
        .size:           176
        .value_kind:     by_value
    .group_segment_fixed_size: 0
    .kernarg_segment_align: 8
    .kernarg_segment_size: 176
    .language:       OpenCL C
    .language_version:
      - 2
      - 0
    .max_flat_workgroup_size: 256
    .name:           _ZN7rocprim17ROCPRIM_400000_NS6detail17trampoline_kernelINS0_13select_configILj256ELj13ELNS0_17block_load_methodE3ELS4_3ELS4_3ELNS0_20block_scan_algorithmE0ELj4294967295EEENS1_25partition_config_selectorILNS1_17partition_subalgoE4EjNS0_10empty_typeEbEEZZNS1_14partition_implILS8_4ELb0ES6_15HIP_vector_typeIjLj2EENS0_17counting_iteratorIjlEEPS9_SG_NS0_5tupleIJPjSI_NS0_16reverse_iteratorISI_EEEEENSH_IJSG_SG_SG_EEES9_SI_JZNS1_25segmented_radix_sort_implINS0_14default_configELb0EPK12hip_bfloat16PSP_PKlPlN2at6native12_GLOBAL__N_18offset_tEEE10hipError_tPvRmT1_PNSt15iterator_traitsIS13_E10value_typeET2_T3_PNS14_IS19_E10value_typeET4_jRbjT5_S1F_jjP12ihipStream_tbEUljE_ZNSN_ISO_Lb0ESR_SS_SU_SV_SZ_EES10_S11_S12_S13_S17_S18_S19_S1C_S1D_jS1E_jS1F_S1F_jjS1H_bEUljE0_EEES10_S11_S12_S19_S1D_S1F_T6_T7_T9_mT8_S1H_bDpT10_ENKUlT_T0_E_clISt17integral_constantIbLb1EES1U_IbLb0EEEEDaS1Q_S1R_EUlS1Q_E_NS1_11comp_targetILNS1_3genE2ELNS1_11target_archE906ELNS1_3gpuE6ELNS1_3repE0EEENS1_30default_config_static_selectorELNS0_4arch9wavefront6targetE0EEEvS13_
    .private_segment_fixed_size: 0
    .sgpr_count:     0
    .sgpr_spill_count: 0
    .symbol:         _ZN7rocprim17ROCPRIM_400000_NS6detail17trampoline_kernelINS0_13select_configILj256ELj13ELNS0_17block_load_methodE3ELS4_3ELS4_3ELNS0_20block_scan_algorithmE0ELj4294967295EEENS1_25partition_config_selectorILNS1_17partition_subalgoE4EjNS0_10empty_typeEbEEZZNS1_14partition_implILS8_4ELb0ES6_15HIP_vector_typeIjLj2EENS0_17counting_iteratorIjlEEPS9_SG_NS0_5tupleIJPjSI_NS0_16reverse_iteratorISI_EEEEENSH_IJSG_SG_SG_EEES9_SI_JZNS1_25segmented_radix_sort_implINS0_14default_configELb0EPK12hip_bfloat16PSP_PKlPlN2at6native12_GLOBAL__N_18offset_tEEE10hipError_tPvRmT1_PNSt15iterator_traitsIS13_E10value_typeET2_T3_PNS14_IS19_E10value_typeET4_jRbjT5_S1F_jjP12ihipStream_tbEUljE_ZNSN_ISO_Lb0ESR_SS_SU_SV_SZ_EES10_S11_S12_S13_S17_S18_S19_S1C_S1D_jS1E_jS1F_S1F_jjS1H_bEUljE0_EEES10_S11_S12_S19_S1D_S1F_T6_T7_T9_mT8_S1H_bDpT10_ENKUlT_T0_E_clISt17integral_constantIbLb1EES1U_IbLb0EEEEDaS1Q_S1R_EUlS1Q_E_NS1_11comp_targetILNS1_3genE2ELNS1_11target_archE906ELNS1_3gpuE6ELNS1_3repE0EEENS1_30default_config_static_selectorELNS0_4arch9wavefront6targetE0EEEvS13_.kd
    .uniform_work_group_size: 1
    .uses_dynamic_stack: false
    .vgpr_count:     0
    .vgpr_spill_count: 0
    .wavefront_size: 32
    .workgroup_processor_mode: 1
  - .args:
      - .offset:         0
        .size:           176
        .value_kind:     by_value
    .group_segment_fixed_size: 0
    .kernarg_segment_align: 8
    .kernarg_segment_size: 176
    .language:       OpenCL C
    .language_version:
      - 2
      - 0
    .max_flat_workgroup_size: 256
    .name:           _ZN7rocprim17ROCPRIM_400000_NS6detail17trampoline_kernelINS0_13select_configILj256ELj13ELNS0_17block_load_methodE3ELS4_3ELS4_3ELNS0_20block_scan_algorithmE0ELj4294967295EEENS1_25partition_config_selectorILNS1_17partition_subalgoE4EjNS0_10empty_typeEbEEZZNS1_14partition_implILS8_4ELb0ES6_15HIP_vector_typeIjLj2EENS0_17counting_iteratorIjlEEPS9_SG_NS0_5tupleIJPjSI_NS0_16reverse_iteratorISI_EEEEENSH_IJSG_SG_SG_EEES9_SI_JZNS1_25segmented_radix_sort_implINS0_14default_configELb0EPK12hip_bfloat16PSP_PKlPlN2at6native12_GLOBAL__N_18offset_tEEE10hipError_tPvRmT1_PNSt15iterator_traitsIS13_E10value_typeET2_T3_PNS14_IS19_E10value_typeET4_jRbjT5_S1F_jjP12ihipStream_tbEUljE_ZNSN_ISO_Lb0ESR_SS_SU_SV_SZ_EES10_S11_S12_S13_S17_S18_S19_S1C_S1D_jS1E_jS1F_S1F_jjS1H_bEUljE0_EEES10_S11_S12_S19_S1D_S1F_T6_T7_T9_mT8_S1H_bDpT10_ENKUlT_T0_E_clISt17integral_constantIbLb1EES1U_IbLb0EEEEDaS1Q_S1R_EUlS1Q_E_NS1_11comp_targetILNS1_3genE10ELNS1_11target_archE1200ELNS1_3gpuE4ELNS1_3repE0EEENS1_30default_config_static_selectorELNS0_4arch9wavefront6targetE0EEEvS13_
    .private_segment_fixed_size: 0
    .sgpr_count:     0
    .sgpr_spill_count: 0
    .symbol:         _ZN7rocprim17ROCPRIM_400000_NS6detail17trampoline_kernelINS0_13select_configILj256ELj13ELNS0_17block_load_methodE3ELS4_3ELS4_3ELNS0_20block_scan_algorithmE0ELj4294967295EEENS1_25partition_config_selectorILNS1_17partition_subalgoE4EjNS0_10empty_typeEbEEZZNS1_14partition_implILS8_4ELb0ES6_15HIP_vector_typeIjLj2EENS0_17counting_iteratorIjlEEPS9_SG_NS0_5tupleIJPjSI_NS0_16reverse_iteratorISI_EEEEENSH_IJSG_SG_SG_EEES9_SI_JZNS1_25segmented_radix_sort_implINS0_14default_configELb0EPK12hip_bfloat16PSP_PKlPlN2at6native12_GLOBAL__N_18offset_tEEE10hipError_tPvRmT1_PNSt15iterator_traitsIS13_E10value_typeET2_T3_PNS14_IS19_E10value_typeET4_jRbjT5_S1F_jjP12ihipStream_tbEUljE_ZNSN_ISO_Lb0ESR_SS_SU_SV_SZ_EES10_S11_S12_S13_S17_S18_S19_S1C_S1D_jS1E_jS1F_S1F_jjS1H_bEUljE0_EEES10_S11_S12_S19_S1D_S1F_T6_T7_T9_mT8_S1H_bDpT10_ENKUlT_T0_E_clISt17integral_constantIbLb1EES1U_IbLb0EEEEDaS1Q_S1R_EUlS1Q_E_NS1_11comp_targetILNS1_3genE10ELNS1_11target_archE1200ELNS1_3gpuE4ELNS1_3repE0EEENS1_30default_config_static_selectorELNS0_4arch9wavefront6targetE0EEEvS13_.kd
    .uniform_work_group_size: 1
    .uses_dynamic_stack: false
    .vgpr_count:     0
    .vgpr_spill_count: 0
    .wavefront_size: 32
    .workgroup_processor_mode: 1
  - .args:
      - .offset:         0
        .size:           176
        .value_kind:     by_value
    .group_segment_fixed_size: 0
    .kernarg_segment_align: 8
    .kernarg_segment_size: 176
    .language:       OpenCL C
    .language_version:
      - 2
      - 0
    .max_flat_workgroup_size: 256
    .name:           _ZN7rocprim17ROCPRIM_400000_NS6detail17trampoline_kernelINS0_13select_configILj256ELj13ELNS0_17block_load_methodE3ELS4_3ELS4_3ELNS0_20block_scan_algorithmE0ELj4294967295EEENS1_25partition_config_selectorILNS1_17partition_subalgoE4EjNS0_10empty_typeEbEEZZNS1_14partition_implILS8_4ELb0ES6_15HIP_vector_typeIjLj2EENS0_17counting_iteratorIjlEEPS9_SG_NS0_5tupleIJPjSI_NS0_16reverse_iteratorISI_EEEEENSH_IJSG_SG_SG_EEES9_SI_JZNS1_25segmented_radix_sort_implINS0_14default_configELb0EPK12hip_bfloat16PSP_PKlPlN2at6native12_GLOBAL__N_18offset_tEEE10hipError_tPvRmT1_PNSt15iterator_traitsIS13_E10value_typeET2_T3_PNS14_IS19_E10value_typeET4_jRbjT5_S1F_jjP12ihipStream_tbEUljE_ZNSN_ISO_Lb0ESR_SS_SU_SV_SZ_EES10_S11_S12_S13_S17_S18_S19_S1C_S1D_jS1E_jS1F_S1F_jjS1H_bEUljE0_EEES10_S11_S12_S19_S1D_S1F_T6_T7_T9_mT8_S1H_bDpT10_ENKUlT_T0_E_clISt17integral_constantIbLb1EES1U_IbLb0EEEEDaS1Q_S1R_EUlS1Q_E_NS1_11comp_targetILNS1_3genE9ELNS1_11target_archE1100ELNS1_3gpuE3ELNS1_3repE0EEENS1_30default_config_static_selectorELNS0_4arch9wavefront6targetE0EEEvS13_
    .private_segment_fixed_size: 0
    .sgpr_count:     0
    .sgpr_spill_count: 0
    .symbol:         _ZN7rocprim17ROCPRIM_400000_NS6detail17trampoline_kernelINS0_13select_configILj256ELj13ELNS0_17block_load_methodE3ELS4_3ELS4_3ELNS0_20block_scan_algorithmE0ELj4294967295EEENS1_25partition_config_selectorILNS1_17partition_subalgoE4EjNS0_10empty_typeEbEEZZNS1_14partition_implILS8_4ELb0ES6_15HIP_vector_typeIjLj2EENS0_17counting_iteratorIjlEEPS9_SG_NS0_5tupleIJPjSI_NS0_16reverse_iteratorISI_EEEEENSH_IJSG_SG_SG_EEES9_SI_JZNS1_25segmented_radix_sort_implINS0_14default_configELb0EPK12hip_bfloat16PSP_PKlPlN2at6native12_GLOBAL__N_18offset_tEEE10hipError_tPvRmT1_PNSt15iterator_traitsIS13_E10value_typeET2_T3_PNS14_IS19_E10value_typeET4_jRbjT5_S1F_jjP12ihipStream_tbEUljE_ZNSN_ISO_Lb0ESR_SS_SU_SV_SZ_EES10_S11_S12_S13_S17_S18_S19_S1C_S1D_jS1E_jS1F_S1F_jjS1H_bEUljE0_EEES10_S11_S12_S19_S1D_S1F_T6_T7_T9_mT8_S1H_bDpT10_ENKUlT_T0_E_clISt17integral_constantIbLb1EES1U_IbLb0EEEEDaS1Q_S1R_EUlS1Q_E_NS1_11comp_targetILNS1_3genE9ELNS1_11target_archE1100ELNS1_3gpuE3ELNS1_3repE0EEENS1_30default_config_static_selectorELNS0_4arch9wavefront6targetE0EEEvS13_.kd
    .uniform_work_group_size: 1
    .uses_dynamic_stack: false
    .vgpr_count:     0
    .vgpr_spill_count: 0
    .wavefront_size: 32
    .workgroup_processor_mode: 1
  - .args:
      - .offset:         0
        .size:           176
        .value_kind:     by_value
    .group_segment_fixed_size: 0
    .kernarg_segment_align: 8
    .kernarg_segment_size: 176
    .language:       OpenCL C
    .language_version:
      - 2
      - 0
    .max_flat_workgroup_size: 256
    .name:           _ZN7rocprim17ROCPRIM_400000_NS6detail17trampoline_kernelINS0_13select_configILj256ELj13ELNS0_17block_load_methodE3ELS4_3ELS4_3ELNS0_20block_scan_algorithmE0ELj4294967295EEENS1_25partition_config_selectorILNS1_17partition_subalgoE4EjNS0_10empty_typeEbEEZZNS1_14partition_implILS8_4ELb0ES6_15HIP_vector_typeIjLj2EENS0_17counting_iteratorIjlEEPS9_SG_NS0_5tupleIJPjSI_NS0_16reverse_iteratorISI_EEEEENSH_IJSG_SG_SG_EEES9_SI_JZNS1_25segmented_radix_sort_implINS0_14default_configELb0EPK12hip_bfloat16PSP_PKlPlN2at6native12_GLOBAL__N_18offset_tEEE10hipError_tPvRmT1_PNSt15iterator_traitsIS13_E10value_typeET2_T3_PNS14_IS19_E10value_typeET4_jRbjT5_S1F_jjP12ihipStream_tbEUljE_ZNSN_ISO_Lb0ESR_SS_SU_SV_SZ_EES10_S11_S12_S13_S17_S18_S19_S1C_S1D_jS1E_jS1F_S1F_jjS1H_bEUljE0_EEES10_S11_S12_S19_S1D_S1F_T6_T7_T9_mT8_S1H_bDpT10_ENKUlT_T0_E_clISt17integral_constantIbLb1EES1U_IbLb0EEEEDaS1Q_S1R_EUlS1Q_E_NS1_11comp_targetILNS1_3genE8ELNS1_11target_archE1030ELNS1_3gpuE2ELNS1_3repE0EEENS1_30default_config_static_selectorELNS0_4arch9wavefront6targetE0EEEvS13_
    .private_segment_fixed_size: 0
    .sgpr_count:     0
    .sgpr_spill_count: 0
    .symbol:         _ZN7rocprim17ROCPRIM_400000_NS6detail17trampoline_kernelINS0_13select_configILj256ELj13ELNS0_17block_load_methodE3ELS4_3ELS4_3ELNS0_20block_scan_algorithmE0ELj4294967295EEENS1_25partition_config_selectorILNS1_17partition_subalgoE4EjNS0_10empty_typeEbEEZZNS1_14partition_implILS8_4ELb0ES6_15HIP_vector_typeIjLj2EENS0_17counting_iteratorIjlEEPS9_SG_NS0_5tupleIJPjSI_NS0_16reverse_iteratorISI_EEEEENSH_IJSG_SG_SG_EEES9_SI_JZNS1_25segmented_radix_sort_implINS0_14default_configELb0EPK12hip_bfloat16PSP_PKlPlN2at6native12_GLOBAL__N_18offset_tEEE10hipError_tPvRmT1_PNSt15iterator_traitsIS13_E10value_typeET2_T3_PNS14_IS19_E10value_typeET4_jRbjT5_S1F_jjP12ihipStream_tbEUljE_ZNSN_ISO_Lb0ESR_SS_SU_SV_SZ_EES10_S11_S12_S13_S17_S18_S19_S1C_S1D_jS1E_jS1F_S1F_jjS1H_bEUljE0_EEES10_S11_S12_S19_S1D_S1F_T6_T7_T9_mT8_S1H_bDpT10_ENKUlT_T0_E_clISt17integral_constantIbLb1EES1U_IbLb0EEEEDaS1Q_S1R_EUlS1Q_E_NS1_11comp_targetILNS1_3genE8ELNS1_11target_archE1030ELNS1_3gpuE2ELNS1_3repE0EEENS1_30default_config_static_selectorELNS0_4arch9wavefront6targetE0EEEvS13_.kd
    .uniform_work_group_size: 1
    .uses_dynamic_stack: false
    .vgpr_count:     0
    .vgpr_spill_count: 0
    .wavefront_size: 32
    .workgroup_processor_mode: 1
  - .args:
      - .offset:         0
        .size:           184
        .value_kind:     by_value
    .group_segment_fixed_size: 0
    .kernarg_segment_align: 8
    .kernarg_segment_size: 184
    .language:       OpenCL C
    .language_version:
      - 2
      - 0
    .max_flat_workgroup_size: 256
    .name:           _ZN7rocprim17ROCPRIM_400000_NS6detail17trampoline_kernelINS0_13select_configILj256ELj13ELNS0_17block_load_methodE3ELS4_3ELS4_3ELNS0_20block_scan_algorithmE0ELj4294967295EEENS1_25partition_config_selectorILNS1_17partition_subalgoE4EjNS0_10empty_typeEbEEZZNS1_14partition_implILS8_4ELb0ES6_15HIP_vector_typeIjLj2EENS0_17counting_iteratorIjlEEPS9_SG_NS0_5tupleIJPjSI_NS0_16reverse_iteratorISI_EEEEENSH_IJSG_SG_SG_EEES9_SI_JZNS1_25segmented_radix_sort_implINS0_14default_configELb0EPK12hip_bfloat16PSP_PKlPlN2at6native12_GLOBAL__N_18offset_tEEE10hipError_tPvRmT1_PNSt15iterator_traitsIS13_E10value_typeET2_T3_PNS14_IS19_E10value_typeET4_jRbjT5_S1F_jjP12ihipStream_tbEUljE_ZNSN_ISO_Lb0ESR_SS_SU_SV_SZ_EES10_S11_S12_S13_S17_S18_S19_S1C_S1D_jS1E_jS1F_S1F_jjS1H_bEUljE0_EEES10_S11_S12_S19_S1D_S1F_T6_T7_T9_mT8_S1H_bDpT10_ENKUlT_T0_E_clISt17integral_constantIbLb0EES1U_IbLb1EEEEDaS1Q_S1R_EUlS1Q_E_NS1_11comp_targetILNS1_3genE0ELNS1_11target_archE4294967295ELNS1_3gpuE0ELNS1_3repE0EEENS1_30default_config_static_selectorELNS0_4arch9wavefront6targetE0EEEvS13_
    .private_segment_fixed_size: 0
    .sgpr_count:     0
    .sgpr_spill_count: 0
    .symbol:         _ZN7rocprim17ROCPRIM_400000_NS6detail17trampoline_kernelINS0_13select_configILj256ELj13ELNS0_17block_load_methodE3ELS4_3ELS4_3ELNS0_20block_scan_algorithmE0ELj4294967295EEENS1_25partition_config_selectorILNS1_17partition_subalgoE4EjNS0_10empty_typeEbEEZZNS1_14partition_implILS8_4ELb0ES6_15HIP_vector_typeIjLj2EENS0_17counting_iteratorIjlEEPS9_SG_NS0_5tupleIJPjSI_NS0_16reverse_iteratorISI_EEEEENSH_IJSG_SG_SG_EEES9_SI_JZNS1_25segmented_radix_sort_implINS0_14default_configELb0EPK12hip_bfloat16PSP_PKlPlN2at6native12_GLOBAL__N_18offset_tEEE10hipError_tPvRmT1_PNSt15iterator_traitsIS13_E10value_typeET2_T3_PNS14_IS19_E10value_typeET4_jRbjT5_S1F_jjP12ihipStream_tbEUljE_ZNSN_ISO_Lb0ESR_SS_SU_SV_SZ_EES10_S11_S12_S13_S17_S18_S19_S1C_S1D_jS1E_jS1F_S1F_jjS1H_bEUljE0_EEES10_S11_S12_S19_S1D_S1F_T6_T7_T9_mT8_S1H_bDpT10_ENKUlT_T0_E_clISt17integral_constantIbLb0EES1U_IbLb1EEEEDaS1Q_S1R_EUlS1Q_E_NS1_11comp_targetILNS1_3genE0ELNS1_11target_archE4294967295ELNS1_3gpuE0ELNS1_3repE0EEENS1_30default_config_static_selectorELNS0_4arch9wavefront6targetE0EEEvS13_.kd
    .uniform_work_group_size: 1
    .uses_dynamic_stack: false
    .vgpr_count:     0
    .vgpr_spill_count: 0
    .wavefront_size: 32
    .workgroup_processor_mode: 1
  - .args:
      - .offset:         0
        .size:           184
        .value_kind:     by_value
    .group_segment_fixed_size: 0
    .kernarg_segment_align: 8
    .kernarg_segment_size: 184
    .language:       OpenCL C
    .language_version:
      - 2
      - 0
    .max_flat_workgroup_size: 256
    .name:           _ZN7rocprim17ROCPRIM_400000_NS6detail17trampoline_kernelINS0_13select_configILj256ELj13ELNS0_17block_load_methodE3ELS4_3ELS4_3ELNS0_20block_scan_algorithmE0ELj4294967295EEENS1_25partition_config_selectorILNS1_17partition_subalgoE4EjNS0_10empty_typeEbEEZZNS1_14partition_implILS8_4ELb0ES6_15HIP_vector_typeIjLj2EENS0_17counting_iteratorIjlEEPS9_SG_NS0_5tupleIJPjSI_NS0_16reverse_iteratorISI_EEEEENSH_IJSG_SG_SG_EEES9_SI_JZNS1_25segmented_radix_sort_implINS0_14default_configELb0EPK12hip_bfloat16PSP_PKlPlN2at6native12_GLOBAL__N_18offset_tEEE10hipError_tPvRmT1_PNSt15iterator_traitsIS13_E10value_typeET2_T3_PNS14_IS19_E10value_typeET4_jRbjT5_S1F_jjP12ihipStream_tbEUljE_ZNSN_ISO_Lb0ESR_SS_SU_SV_SZ_EES10_S11_S12_S13_S17_S18_S19_S1C_S1D_jS1E_jS1F_S1F_jjS1H_bEUljE0_EEES10_S11_S12_S19_S1D_S1F_T6_T7_T9_mT8_S1H_bDpT10_ENKUlT_T0_E_clISt17integral_constantIbLb0EES1U_IbLb1EEEEDaS1Q_S1R_EUlS1Q_E_NS1_11comp_targetILNS1_3genE5ELNS1_11target_archE942ELNS1_3gpuE9ELNS1_3repE0EEENS1_30default_config_static_selectorELNS0_4arch9wavefront6targetE0EEEvS13_
    .private_segment_fixed_size: 0
    .sgpr_count:     0
    .sgpr_spill_count: 0
    .symbol:         _ZN7rocprim17ROCPRIM_400000_NS6detail17trampoline_kernelINS0_13select_configILj256ELj13ELNS0_17block_load_methodE3ELS4_3ELS4_3ELNS0_20block_scan_algorithmE0ELj4294967295EEENS1_25partition_config_selectorILNS1_17partition_subalgoE4EjNS0_10empty_typeEbEEZZNS1_14partition_implILS8_4ELb0ES6_15HIP_vector_typeIjLj2EENS0_17counting_iteratorIjlEEPS9_SG_NS0_5tupleIJPjSI_NS0_16reverse_iteratorISI_EEEEENSH_IJSG_SG_SG_EEES9_SI_JZNS1_25segmented_radix_sort_implINS0_14default_configELb0EPK12hip_bfloat16PSP_PKlPlN2at6native12_GLOBAL__N_18offset_tEEE10hipError_tPvRmT1_PNSt15iterator_traitsIS13_E10value_typeET2_T3_PNS14_IS19_E10value_typeET4_jRbjT5_S1F_jjP12ihipStream_tbEUljE_ZNSN_ISO_Lb0ESR_SS_SU_SV_SZ_EES10_S11_S12_S13_S17_S18_S19_S1C_S1D_jS1E_jS1F_S1F_jjS1H_bEUljE0_EEES10_S11_S12_S19_S1D_S1F_T6_T7_T9_mT8_S1H_bDpT10_ENKUlT_T0_E_clISt17integral_constantIbLb0EES1U_IbLb1EEEEDaS1Q_S1R_EUlS1Q_E_NS1_11comp_targetILNS1_3genE5ELNS1_11target_archE942ELNS1_3gpuE9ELNS1_3repE0EEENS1_30default_config_static_selectorELNS0_4arch9wavefront6targetE0EEEvS13_.kd
    .uniform_work_group_size: 1
    .uses_dynamic_stack: false
    .vgpr_count:     0
    .vgpr_spill_count: 0
    .wavefront_size: 32
    .workgroup_processor_mode: 1
  - .args:
      - .offset:         0
        .size:           184
        .value_kind:     by_value
    .group_segment_fixed_size: 0
    .kernarg_segment_align: 8
    .kernarg_segment_size: 184
    .language:       OpenCL C
    .language_version:
      - 2
      - 0
    .max_flat_workgroup_size: 256
    .name:           _ZN7rocprim17ROCPRIM_400000_NS6detail17trampoline_kernelINS0_13select_configILj256ELj13ELNS0_17block_load_methodE3ELS4_3ELS4_3ELNS0_20block_scan_algorithmE0ELj4294967295EEENS1_25partition_config_selectorILNS1_17partition_subalgoE4EjNS0_10empty_typeEbEEZZNS1_14partition_implILS8_4ELb0ES6_15HIP_vector_typeIjLj2EENS0_17counting_iteratorIjlEEPS9_SG_NS0_5tupleIJPjSI_NS0_16reverse_iteratorISI_EEEEENSH_IJSG_SG_SG_EEES9_SI_JZNS1_25segmented_radix_sort_implINS0_14default_configELb0EPK12hip_bfloat16PSP_PKlPlN2at6native12_GLOBAL__N_18offset_tEEE10hipError_tPvRmT1_PNSt15iterator_traitsIS13_E10value_typeET2_T3_PNS14_IS19_E10value_typeET4_jRbjT5_S1F_jjP12ihipStream_tbEUljE_ZNSN_ISO_Lb0ESR_SS_SU_SV_SZ_EES10_S11_S12_S13_S17_S18_S19_S1C_S1D_jS1E_jS1F_S1F_jjS1H_bEUljE0_EEES10_S11_S12_S19_S1D_S1F_T6_T7_T9_mT8_S1H_bDpT10_ENKUlT_T0_E_clISt17integral_constantIbLb0EES1U_IbLb1EEEEDaS1Q_S1R_EUlS1Q_E_NS1_11comp_targetILNS1_3genE4ELNS1_11target_archE910ELNS1_3gpuE8ELNS1_3repE0EEENS1_30default_config_static_selectorELNS0_4arch9wavefront6targetE0EEEvS13_
    .private_segment_fixed_size: 0
    .sgpr_count:     0
    .sgpr_spill_count: 0
    .symbol:         _ZN7rocprim17ROCPRIM_400000_NS6detail17trampoline_kernelINS0_13select_configILj256ELj13ELNS0_17block_load_methodE3ELS4_3ELS4_3ELNS0_20block_scan_algorithmE0ELj4294967295EEENS1_25partition_config_selectorILNS1_17partition_subalgoE4EjNS0_10empty_typeEbEEZZNS1_14partition_implILS8_4ELb0ES6_15HIP_vector_typeIjLj2EENS0_17counting_iteratorIjlEEPS9_SG_NS0_5tupleIJPjSI_NS0_16reverse_iteratorISI_EEEEENSH_IJSG_SG_SG_EEES9_SI_JZNS1_25segmented_radix_sort_implINS0_14default_configELb0EPK12hip_bfloat16PSP_PKlPlN2at6native12_GLOBAL__N_18offset_tEEE10hipError_tPvRmT1_PNSt15iterator_traitsIS13_E10value_typeET2_T3_PNS14_IS19_E10value_typeET4_jRbjT5_S1F_jjP12ihipStream_tbEUljE_ZNSN_ISO_Lb0ESR_SS_SU_SV_SZ_EES10_S11_S12_S13_S17_S18_S19_S1C_S1D_jS1E_jS1F_S1F_jjS1H_bEUljE0_EEES10_S11_S12_S19_S1D_S1F_T6_T7_T9_mT8_S1H_bDpT10_ENKUlT_T0_E_clISt17integral_constantIbLb0EES1U_IbLb1EEEEDaS1Q_S1R_EUlS1Q_E_NS1_11comp_targetILNS1_3genE4ELNS1_11target_archE910ELNS1_3gpuE8ELNS1_3repE0EEENS1_30default_config_static_selectorELNS0_4arch9wavefront6targetE0EEEvS13_.kd
    .uniform_work_group_size: 1
    .uses_dynamic_stack: false
    .vgpr_count:     0
    .vgpr_spill_count: 0
    .wavefront_size: 32
    .workgroup_processor_mode: 1
  - .args:
      - .offset:         0
        .size:           184
        .value_kind:     by_value
    .group_segment_fixed_size: 0
    .kernarg_segment_align: 8
    .kernarg_segment_size: 184
    .language:       OpenCL C
    .language_version:
      - 2
      - 0
    .max_flat_workgroup_size: 256
    .name:           _ZN7rocprim17ROCPRIM_400000_NS6detail17trampoline_kernelINS0_13select_configILj256ELj13ELNS0_17block_load_methodE3ELS4_3ELS4_3ELNS0_20block_scan_algorithmE0ELj4294967295EEENS1_25partition_config_selectorILNS1_17partition_subalgoE4EjNS0_10empty_typeEbEEZZNS1_14partition_implILS8_4ELb0ES6_15HIP_vector_typeIjLj2EENS0_17counting_iteratorIjlEEPS9_SG_NS0_5tupleIJPjSI_NS0_16reverse_iteratorISI_EEEEENSH_IJSG_SG_SG_EEES9_SI_JZNS1_25segmented_radix_sort_implINS0_14default_configELb0EPK12hip_bfloat16PSP_PKlPlN2at6native12_GLOBAL__N_18offset_tEEE10hipError_tPvRmT1_PNSt15iterator_traitsIS13_E10value_typeET2_T3_PNS14_IS19_E10value_typeET4_jRbjT5_S1F_jjP12ihipStream_tbEUljE_ZNSN_ISO_Lb0ESR_SS_SU_SV_SZ_EES10_S11_S12_S13_S17_S18_S19_S1C_S1D_jS1E_jS1F_S1F_jjS1H_bEUljE0_EEES10_S11_S12_S19_S1D_S1F_T6_T7_T9_mT8_S1H_bDpT10_ENKUlT_T0_E_clISt17integral_constantIbLb0EES1U_IbLb1EEEEDaS1Q_S1R_EUlS1Q_E_NS1_11comp_targetILNS1_3genE3ELNS1_11target_archE908ELNS1_3gpuE7ELNS1_3repE0EEENS1_30default_config_static_selectorELNS0_4arch9wavefront6targetE0EEEvS13_
    .private_segment_fixed_size: 0
    .sgpr_count:     0
    .sgpr_spill_count: 0
    .symbol:         _ZN7rocprim17ROCPRIM_400000_NS6detail17trampoline_kernelINS0_13select_configILj256ELj13ELNS0_17block_load_methodE3ELS4_3ELS4_3ELNS0_20block_scan_algorithmE0ELj4294967295EEENS1_25partition_config_selectorILNS1_17partition_subalgoE4EjNS0_10empty_typeEbEEZZNS1_14partition_implILS8_4ELb0ES6_15HIP_vector_typeIjLj2EENS0_17counting_iteratorIjlEEPS9_SG_NS0_5tupleIJPjSI_NS0_16reverse_iteratorISI_EEEEENSH_IJSG_SG_SG_EEES9_SI_JZNS1_25segmented_radix_sort_implINS0_14default_configELb0EPK12hip_bfloat16PSP_PKlPlN2at6native12_GLOBAL__N_18offset_tEEE10hipError_tPvRmT1_PNSt15iterator_traitsIS13_E10value_typeET2_T3_PNS14_IS19_E10value_typeET4_jRbjT5_S1F_jjP12ihipStream_tbEUljE_ZNSN_ISO_Lb0ESR_SS_SU_SV_SZ_EES10_S11_S12_S13_S17_S18_S19_S1C_S1D_jS1E_jS1F_S1F_jjS1H_bEUljE0_EEES10_S11_S12_S19_S1D_S1F_T6_T7_T9_mT8_S1H_bDpT10_ENKUlT_T0_E_clISt17integral_constantIbLb0EES1U_IbLb1EEEEDaS1Q_S1R_EUlS1Q_E_NS1_11comp_targetILNS1_3genE3ELNS1_11target_archE908ELNS1_3gpuE7ELNS1_3repE0EEENS1_30default_config_static_selectorELNS0_4arch9wavefront6targetE0EEEvS13_.kd
    .uniform_work_group_size: 1
    .uses_dynamic_stack: false
    .vgpr_count:     0
    .vgpr_spill_count: 0
    .wavefront_size: 32
    .workgroup_processor_mode: 1
  - .args:
      - .offset:         0
        .size:           184
        .value_kind:     by_value
    .group_segment_fixed_size: 0
    .kernarg_segment_align: 8
    .kernarg_segment_size: 184
    .language:       OpenCL C
    .language_version:
      - 2
      - 0
    .max_flat_workgroup_size: 256
    .name:           _ZN7rocprim17ROCPRIM_400000_NS6detail17trampoline_kernelINS0_13select_configILj256ELj13ELNS0_17block_load_methodE3ELS4_3ELS4_3ELNS0_20block_scan_algorithmE0ELj4294967295EEENS1_25partition_config_selectorILNS1_17partition_subalgoE4EjNS0_10empty_typeEbEEZZNS1_14partition_implILS8_4ELb0ES6_15HIP_vector_typeIjLj2EENS0_17counting_iteratorIjlEEPS9_SG_NS0_5tupleIJPjSI_NS0_16reverse_iteratorISI_EEEEENSH_IJSG_SG_SG_EEES9_SI_JZNS1_25segmented_radix_sort_implINS0_14default_configELb0EPK12hip_bfloat16PSP_PKlPlN2at6native12_GLOBAL__N_18offset_tEEE10hipError_tPvRmT1_PNSt15iterator_traitsIS13_E10value_typeET2_T3_PNS14_IS19_E10value_typeET4_jRbjT5_S1F_jjP12ihipStream_tbEUljE_ZNSN_ISO_Lb0ESR_SS_SU_SV_SZ_EES10_S11_S12_S13_S17_S18_S19_S1C_S1D_jS1E_jS1F_S1F_jjS1H_bEUljE0_EEES10_S11_S12_S19_S1D_S1F_T6_T7_T9_mT8_S1H_bDpT10_ENKUlT_T0_E_clISt17integral_constantIbLb0EES1U_IbLb1EEEEDaS1Q_S1R_EUlS1Q_E_NS1_11comp_targetILNS1_3genE2ELNS1_11target_archE906ELNS1_3gpuE6ELNS1_3repE0EEENS1_30default_config_static_selectorELNS0_4arch9wavefront6targetE0EEEvS13_
    .private_segment_fixed_size: 0
    .sgpr_count:     0
    .sgpr_spill_count: 0
    .symbol:         _ZN7rocprim17ROCPRIM_400000_NS6detail17trampoline_kernelINS0_13select_configILj256ELj13ELNS0_17block_load_methodE3ELS4_3ELS4_3ELNS0_20block_scan_algorithmE0ELj4294967295EEENS1_25partition_config_selectorILNS1_17partition_subalgoE4EjNS0_10empty_typeEbEEZZNS1_14partition_implILS8_4ELb0ES6_15HIP_vector_typeIjLj2EENS0_17counting_iteratorIjlEEPS9_SG_NS0_5tupleIJPjSI_NS0_16reverse_iteratorISI_EEEEENSH_IJSG_SG_SG_EEES9_SI_JZNS1_25segmented_radix_sort_implINS0_14default_configELb0EPK12hip_bfloat16PSP_PKlPlN2at6native12_GLOBAL__N_18offset_tEEE10hipError_tPvRmT1_PNSt15iterator_traitsIS13_E10value_typeET2_T3_PNS14_IS19_E10value_typeET4_jRbjT5_S1F_jjP12ihipStream_tbEUljE_ZNSN_ISO_Lb0ESR_SS_SU_SV_SZ_EES10_S11_S12_S13_S17_S18_S19_S1C_S1D_jS1E_jS1F_S1F_jjS1H_bEUljE0_EEES10_S11_S12_S19_S1D_S1F_T6_T7_T9_mT8_S1H_bDpT10_ENKUlT_T0_E_clISt17integral_constantIbLb0EES1U_IbLb1EEEEDaS1Q_S1R_EUlS1Q_E_NS1_11comp_targetILNS1_3genE2ELNS1_11target_archE906ELNS1_3gpuE6ELNS1_3repE0EEENS1_30default_config_static_selectorELNS0_4arch9wavefront6targetE0EEEvS13_.kd
    .uniform_work_group_size: 1
    .uses_dynamic_stack: false
    .vgpr_count:     0
    .vgpr_spill_count: 0
    .wavefront_size: 32
    .workgroup_processor_mode: 1
  - .args:
      - .offset:         0
        .size:           184
        .value_kind:     by_value
    .group_segment_fixed_size: 13328
    .kernarg_segment_align: 8
    .kernarg_segment_size: 184
    .language:       OpenCL C
    .language_version:
      - 2
      - 0
    .max_flat_workgroup_size: 256
    .name:           _ZN7rocprim17ROCPRIM_400000_NS6detail17trampoline_kernelINS0_13select_configILj256ELj13ELNS0_17block_load_methodE3ELS4_3ELS4_3ELNS0_20block_scan_algorithmE0ELj4294967295EEENS1_25partition_config_selectorILNS1_17partition_subalgoE4EjNS0_10empty_typeEbEEZZNS1_14partition_implILS8_4ELb0ES6_15HIP_vector_typeIjLj2EENS0_17counting_iteratorIjlEEPS9_SG_NS0_5tupleIJPjSI_NS0_16reverse_iteratorISI_EEEEENSH_IJSG_SG_SG_EEES9_SI_JZNS1_25segmented_radix_sort_implINS0_14default_configELb0EPK12hip_bfloat16PSP_PKlPlN2at6native12_GLOBAL__N_18offset_tEEE10hipError_tPvRmT1_PNSt15iterator_traitsIS13_E10value_typeET2_T3_PNS14_IS19_E10value_typeET4_jRbjT5_S1F_jjP12ihipStream_tbEUljE_ZNSN_ISO_Lb0ESR_SS_SU_SV_SZ_EES10_S11_S12_S13_S17_S18_S19_S1C_S1D_jS1E_jS1F_S1F_jjS1H_bEUljE0_EEES10_S11_S12_S19_S1D_S1F_T6_T7_T9_mT8_S1H_bDpT10_ENKUlT_T0_E_clISt17integral_constantIbLb0EES1U_IbLb1EEEEDaS1Q_S1R_EUlS1Q_E_NS1_11comp_targetILNS1_3genE10ELNS1_11target_archE1200ELNS1_3gpuE4ELNS1_3repE0EEENS1_30default_config_static_selectorELNS0_4arch9wavefront6targetE0EEEvS13_
    .private_segment_fixed_size: 0
    .sgpr_count:     57
    .sgpr_spill_count: 0
    .symbol:         _ZN7rocprim17ROCPRIM_400000_NS6detail17trampoline_kernelINS0_13select_configILj256ELj13ELNS0_17block_load_methodE3ELS4_3ELS4_3ELNS0_20block_scan_algorithmE0ELj4294967295EEENS1_25partition_config_selectorILNS1_17partition_subalgoE4EjNS0_10empty_typeEbEEZZNS1_14partition_implILS8_4ELb0ES6_15HIP_vector_typeIjLj2EENS0_17counting_iteratorIjlEEPS9_SG_NS0_5tupleIJPjSI_NS0_16reverse_iteratorISI_EEEEENSH_IJSG_SG_SG_EEES9_SI_JZNS1_25segmented_radix_sort_implINS0_14default_configELb0EPK12hip_bfloat16PSP_PKlPlN2at6native12_GLOBAL__N_18offset_tEEE10hipError_tPvRmT1_PNSt15iterator_traitsIS13_E10value_typeET2_T3_PNS14_IS19_E10value_typeET4_jRbjT5_S1F_jjP12ihipStream_tbEUljE_ZNSN_ISO_Lb0ESR_SS_SU_SV_SZ_EES10_S11_S12_S13_S17_S18_S19_S1C_S1D_jS1E_jS1F_S1F_jjS1H_bEUljE0_EEES10_S11_S12_S19_S1D_S1F_T6_T7_T9_mT8_S1H_bDpT10_ENKUlT_T0_E_clISt17integral_constantIbLb0EES1U_IbLb1EEEEDaS1Q_S1R_EUlS1Q_E_NS1_11comp_targetILNS1_3genE10ELNS1_11target_archE1200ELNS1_3gpuE4ELNS1_3repE0EEENS1_30default_config_static_selectorELNS0_4arch9wavefront6targetE0EEEvS13_.kd
    .uniform_work_group_size: 1
    .uses_dynamic_stack: false
    .vgpr_count:     98
    .vgpr_spill_count: 0
    .wavefront_size: 32
    .workgroup_processor_mode: 1
  - .args:
      - .offset:         0
        .size:           184
        .value_kind:     by_value
    .group_segment_fixed_size: 0
    .kernarg_segment_align: 8
    .kernarg_segment_size: 184
    .language:       OpenCL C
    .language_version:
      - 2
      - 0
    .max_flat_workgroup_size: 256
    .name:           _ZN7rocprim17ROCPRIM_400000_NS6detail17trampoline_kernelINS0_13select_configILj256ELj13ELNS0_17block_load_methodE3ELS4_3ELS4_3ELNS0_20block_scan_algorithmE0ELj4294967295EEENS1_25partition_config_selectorILNS1_17partition_subalgoE4EjNS0_10empty_typeEbEEZZNS1_14partition_implILS8_4ELb0ES6_15HIP_vector_typeIjLj2EENS0_17counting_iteratorIjlEEPS9_SG_NS0_5tupleIJPjSI_NS0_16reverse_iteratorISI_EEEEENSH_IJSG_SG_SG_EEES9_SI_JZNS1_25segmented_radix_sort_implINS0_14default_configELb0EPK12hip_bfloat16PSP_PKlPlN2at6native12_GLOBAL__N_18offset_tEEE10hipError_tPvRmT1_PNSt15iterator_traitsIS13_E10value_typeET2_T3_PNS14_IS19_E10value_typeET4_jRbjT5_S1F_jjP12ihipStream_tbEUljE_ZNSN_ISO_Lb0ESR_SS_SU_SV_SZ_EES10_S11_S12_S13_S17_S18_S19_S1C_S1D_jS1E_jS1F_S1F_jjS1H_bEUljE0_EEES10_S11_S12_S19_S1D_S1F_T6_T7_T9_mT8_S1H_bDpT10_ENKUlT_T0_E_clISt17integral_constantIbLb0EES1U_IbLb1EEEEDaS1Q_S1R_EUlS1Q_E_NS1_11comp_targetILNS1_3genE9ELNS1_11target_archE1100ELNS1_3gpuE3ELNS1_3repE0EEENS1_30default_config_static_selectorELNS0_4arch9wavefront6targetE0EEEvS13_
    .private_segment_fixed_size: 0
    .sgpr_count:     0
    .sgpr_spill_count: 0
    .symbol:         _ZN7rocprim17ROCPRIM_400000_NS6detail17trampoline_kernelINS0_13select_configILj256ELj13ELNS0_17block_load_methodE3ELS4_3ELS4_3ELNS0_20block_scan_algorithmE0ELj4294967295EEENS1_25partition_config_selectorILNS1_17partition_subalgoE4EjNS0_10empty_typeEbEEZZNS1_14partition_implILS8_4ELb0ES6_15HIP_vector_typeIjLj2EENS0_17counting_iteratorIjlEEPS9_SG_NS0_5tupleIJPjSI_NS0_16reverse_iteratorISI_EEEEENSH_IJSG_SG_SG_EEES9_SI_JZNS1_25segmented_radix_sort_implINS0_14default_configELb0EPK12hip_bfloat16PSP_PKlPlN2at6native12_GLOBAL__N_18offset_tEEE10hipError_tPvRmT1_PNSt15iterator_traitsIS13_E10value_typeET2_T3_PNS14_IS19_E10value_typeET4_jRbjT5_S1F_jjP12ihipStream_tbEUljE_ZNSN_ISO_Lb0ESR_SS_SU_SV_SZ_EES10_S11_S12_S13_S17_S18_S19_S1C_S1D_jS1E_jS1F_S1F_jjS1H_bEUljE0_EEES10_S11_S12_S19_S1D_S1F_T6_T7_T9_mT8_S1H_bDpT10_ENKUlT_T0_E_clISt17integral_constantIbLb0EES1U_IbLb1EEEEDaS1Q_S1R_EUlS1Q_E_NS1_11comp_targetILNS1_3genE9ELNS1_11target_archE1100ELNS1_3gpuE3ELNS1_3repE0EEENS1_30default_config_static_selectorELNS0_4arch9wavefront6targetE0EEEvS13_.kd
    .uniform_work_group_size: 1
    .uses_dynamic_stack: false
    .vgpr_count:     0
    .vgpr_spill_count: 0
    .wavefront_size: 32
    .workgroup_processor_mode: 1
  - .args:
      - .offset:         0
        .size:           184
        .value_kind:     by_value
    .group_segment_fixed_size: 0
    .kernarg_segment_align: 8
    .kernarg_segment_size: 184
    .language:       OpenCL C
    .language_version:
      - 2
      - 0
    .max_flat_workgroup_size: 256
    .name:           _ZN7rocprim17ROCPRIM_400000_NS6detail17trampoline_kernelINS0_13select_configILj256ELj13ELNS0_17block_load_methodE3ELS4_3ELS4_3ELNS0_20block_scan_algorithmE0ELj4294967295EEENS1_25partition_config_selectorILNS1_17partition_subalgoE4EjNS0_10empty_typeEbEEZZNS1_14partition_implILS8_4ELb0ES6_15HIP_vector_typeIjLj2EENS0_17counting_iteratorIjlEEPS9_SG_NS0_5tupleIJPjSI_NS0_16reverse_iteratorISI_EEEEENSH_IJSG_SG_SG_EEES9_SI_JZNS1_25segmented_radix_sort_implINS0_14default_configELb0EPK12hip_bfloat16PSP_PKlPlN2at6native12_GLOBAL__N_18offset_tEEE10hipError_tPvRmT1_PNSt15iterator_traitsIS13_E10value_typeET2_T3_PNS14_IS19_E10value_typeET4_jRbjT5_S1F_jjP12ihipStream_tbEUljE_ZNSN_ISO_Lb0ESR_SS_SU_SV_SZ_EES10_S11_S12_S13_S17_S18_S19_S1C_S1D_jS1E_jS1F_S1F_jjS1H_bEUljE0_EEES10_S11_S12_S19_S1D_S1F_T6_T7_T9_mT8_S1H_bDpT10_ENKUlT_T0_E_clISt17integral_constantIbLb0EES1U_IbLb1EEEEDaS1Q_S1R_EUlS1Q_E_NS1_11comp_targetILNS1_3genE8ELNS1_11target_archE1030ELNS1_3gpuE2ELNS1_3repE0EEENS1_30default_config_static_selectorELNS0_4arch9wavefront6targetE0EEEvS13_
    .private_segment_fixed_size: 0
    .sgpr_count:     0
    .sgpr_spill_count: 0
    .symbol:         _ZN7rocprim17ROCPRIM_400000_NS6detail17trampoline_kernelINS0_13select_configILj256ELj13ELNS0_17block_load_methodE3ELS4_3ELS4_3ELNS0_20block_scan_algorithmE0ELj4294967295EEENS1_25partition_config_selectorILNS1_17partition_subalgoE4EjNS0_10empty_typeEbEEZZNS1_14partition_implILS8_4ELb0ES6_15HIP_vector_typeIjLj2EENS0_17counting_iteratorIjlEEPS9_SG_NS0_5tupleIJPjSI_NS0_16reverse_iteratorISI_EEEEENSH_IJSG_SG_SG_EEES9_SI_JZNS1_25segmented_radix_sort_implINS0_14default_configELb0EPK12hip_bfloat16PSP_PKlPlN2at6native12_GLOBAL__N_18offset_tEEE10hipError_tPvRmT1_PNSt15iterator_traitsIS13_E10value_typeET2_T3_PNS14_IS19_E10value_typeET4_jRbjT5_S1F_jjP12ihipStream_tbEUljE_ZNSN_ISO_Lb0ESR_SS_SU_SV_SZ_EES10_S11_S12_S13_S17_S18_S19_S1C_S1D_jS1E_jS1F_S1F_jjS1H_bEUljE0_EEES10_S11_S12_S19_S1D_S1F_T6_T7_T9_mT8_S1H_bDpT10_ENKUlT_T0_E_clISt17integral_constantIbLb0EES1U_IbLb1EEEEDaS1Q_S1R_EUlS1Q_E_NS1_11comp_targetILNS1_3genE8ELNS1_11target_archE1030ELNS1_3gpuE2ELNS1_3repE0EEENS1_30default_config_static_selectorELNS0_4arch9wavefront6targetE0EEEvS13_.kd
    .uniform_work_group_size: 1
    .uses_dynamic_stack: false
    .vgpr_count:     0
    .vgpr_spill_count: 0
    .wavefront_size: 32
    .workgroup_processor_mode: 1
  - .args:
      - .offset:         0
        .size:           144
        .value_kind:     by_value
    .group_segment_fixed_size: 0
    .kernarg_segment_align: 8
    .kernarg_segment_size: 144
    .language:       OpenCL C
    .language_version:
      - 2
      - 0
    .max_flat_workgroup_size: 256
    .name:           _ZN7rocprim17ROCPRIM_400000_NS6detail17trampoline_kernelINS0_13select_configILj256ELj13ELNS0_17block_load_methodE3ELS4_3ELS4_3ELNS0_20block_scan_algorithmE0ELj4294967295EEENS1_25partition_config_selectorILNS1_17partition_subalgoE3EjNS0_10empty_typeEbEEZZNS1_14partition_implILS8_3ELb0ES6_jNS0_17counting_iteratorIjlEEPS9_SE_NS0_5tupleIJPjSE_EEENSF_IJSE_SE_EEES9_SG_JZNS1_25segmented_radix_sort_implINS0_14default_configELb0EPK12hip_bfloat16PSL_PKlPlN2at6native12_GLOBAL__N_18offset_tEEE10hipError_tPvRmT1_PNSt15iterator_traitsISZ_E10value_typeET2_T3_PNS10_IS15_E10value_typeET4_jRbjT5_S1B_jjP12ihipStream_tbEUljE_EEESW_SX_SY_S15_S19_S1B_T6_T7_T9_mT8_S1D_bDpT10_ENKUlT_T0_E_clISt17integral_constantIbLb0EES1Q_EEDaS1L_S1M_EUlS1L_E_NS1_11comp_targetILNS1_3genE0ELNS1_11target_archE4294967295ELNS1_3gpuE0ELNS1_3repE0EEENS1_30default_config_static_selectorELNS0_4arch9wavefront6targetE0EEEvSZ_
    .private_segment_fixed_size: 0
    .sgpr_count:     0
    .sgpr_spill_count: 0
    .symbol:         _ZN7rocprim17ROCPRIM_400000_NS6detail17trampoline_kernelINS0_13select_configILj256ELj13ELNS0_17block_load_methodE3ELS4_3ELS4_3ELNS0_20block_scan_algorithmE0ELj4294967295EEENS1_25partition_config_selectorILNS1_17partition_subalgoE3EjNS0_10empty_typeEbEEZZNS1_14partition_implILS8_3ELb0ES6_jNS0_17counting_iteratorIjlEEPS9_SE_NS0_5tupleIJPjSE_EEENSF_IJSE_SE_EEES9_SG_JZNS1_25segmented_radix_sort_implINS0_14default_configELb0EPK12hip_bfloat16PSL_PKlPlN2at6native12_GLOBAL__N_18offset_tEEE10hipError_tPvRmT1_PNSt15iterator_traitsISZ_E10value_typeET2_T3_PNS10_IS15_E10value_typeET4_jRbjT5_S1B_jjP12ihipStream_tbEUljE_EEESW_SX_SY_S15_S19_S1B_T6_T7_T9_mT8_S1D_bDpT10_ENKUlT_T0_E_clISt17integral_constantIbLb0EES1Q_EEDaS1L_S1M_EUlS1L_E_NS1_11comp_targetILNS1_3genE0ELNS1_11target_archE4294967295ELNS1_3gpuE0ELNS1_3repE0EEENS1_30default_config_static_selectorELNS0_4arch9wavefront6targetE0EEEvSZ_.kd
    .uniform_work_group_size: 1
    .uses_dynamic_stack: false
    .vgpr_count:     0
    .vgpr_spill_count: 0
    .wavefront_size: 32
    .workgroup_processor_mode: 1
  - .args:
      - .offset:         0
        .size:           144
        .value_kind:     by_value
    .group_segment_fixed_size: 0
    .kernarg_segment_align: 8
    .kernarg_segment_size: 144
    .language:       OpenCL C
    .language_version:
      - 2
      - 0
    .max_flat_workgroup_size: 256
    .name:           _ZN7rocprim17ROCPRIM_400000_NS6detail17trampoline_kernelINS0_13select_configILj256ELj13ELNS0_17block_load_methodE3ELS4_3ELS4_3ELNS0_20block_scan_algorithmE0ELj4294967295EEENS1_25partition_config_selectorILNS1_17partition_subalgoE3EjNS0_10empty_typeEbEEZZNS1_14partition_implILS8_3ELb0ES6_jNS0_17counting_iteratorIjlEEPS9_SE_NS0_5tupleIJPjSE_EEENSF_IJSE_SE_EEES9_SG_JZNS1_25segmented_radix_sort_implINS0_14default_configELb0EPK12hip_bfloat16PSL_PKlPlN2at6native12_GLOBAL__N_18offset_tEEE10hipError_tPvRmT1_PNSt15iterator_traitsISZ_E10value_typeET2_T3_PNS10_IS15_E10value_typeET4_jRbjT5_S1B_jjP12ihipStream_tbEUljE_EEESW_SX_SY_S15_S19_S1B_T6_T7_T9_mT8_S1D_bDpT10_ENKUlT_T0_E_clISt17integral_constantIbLb0EES1Q_EEDaS1L_S1M_EUlS1L_E_NS1_11comp_targetILNS1_3genE5ELNS1_11target_archE942ELNS1_3gpuE9ELNS1_3repE0EEENS1_30default_config_static_selectorELNS0_4arch9wavefront6targetE0EEEvSZ_
    .private_segment_fixed_size: 0
    .sgpr_count:     0
    .sgpr_spill_count: 0
    .symbol:         _ZN7rocprim17ROCPRIM_400000_NS6detail17trampoline_kernelINS0_13select_configILj256ELj13ELNS0_17block_load_methodE3ELS4_3ELS4_3ELNS0_20block_scan_algorithmE0ELj4294967295EEENS1_25partition_config_selectorILNS1_17partition_subalgoE3EjNS0_10empty_typeEbEEZZNS1_14partition_implILS8_3ELb0ES6_jNS0_17counting_iteratorIjlEEPS9_SE_NS0_5tupleIJPjSE_EEENSF_IJSE_SE_EEES9_SG_JZNS1_25segmented_radix_sort_implINS0_14default_configELb0EPK12hip_bfloat16PSL_PKlPlN2at6native12_GLOBAL__N_18offset_tEEE10hipError_tPvRmT1_PNSt15iterator_traitsISZ_E10value_typeET2_T3_PNS10_IS15_E10value_typeET4_jRbjT5_S1B_jjP12ihipStream_tbEUljE_EEESW_SX_SY_S15_S19_S1B_T6_T7_T9_mT8_S1D_bDpT10_ENKUlT_T0_E_clISt17integral_constantIbLb0EES1Q_EEDaS1L_S1M_EUlS1L_E_NS1_11comp_targetILNS1_3genE5ELNS1_11target_archE942ELNS1_3gpuE9ELNS1_3repE0EEENS1_30default_config_static_selectorELNS0_4arch9wavefront6targetE0EEEvSZ_.kd
    .uniform_work_group_size: 1
    .uses_dynamic_stack: false
    .vgpr_count:     0
    .vgpr_spill_count: 0
    .wavefront_size: 32
    .workgroup_processor_mode: 1
  - .args:
      - .offset:         0
        .size:           144
        .value_kind:     by_value
    .group_segment_fixed_size: 0
    .kernarg_segment_align: 8
    .kernarg_segment_size: 144
    .language:       OpenCL C
    .language_version:
      - 2
      - 0
    .max_flat_workgroup_size: 256
    .name:           _ZN7rocprim17ROCPRIM_400000_NS6detail17trampoline_kernelINS0_13select_configILj256ELj13ELNS0_17block_load_methodE3ELS4_3ELS4_3ELNS0_20block_scan_algorithmE0ELj4294967295EEENS1_25partition_config_selectorILNS1_17partition_subalgoE3EjNS0_10empty_typeEbEEZZNS1_14partition_implILS8_3ELb0ES6_jNS0_17counting_iteratorIjlEEPS9_SE_NS0_5tupleIJPjSE_EEENSF_IJSE_SE_EEES9_SG_JZNS1_25segmented_radix_sort_implINS0_14default_configELb0EPK12hip_bfloat16PSL_PKlPlN2at6native12_GLOBAL__N_18offset_tEEE10hipError_tPvRmT1_PNSt15iterator_traitsISZ_E10value_typeET2_T3_PNS10_IS15_E10value_typeET4_jRbjT5_S1B_jjP12ihipStream_tbEUljE_EEESW_SX_SY_S15_S19_S1B_T6_T7_T9_mT8_S1D_bDpT10_ENKUlT_T0_E_clISt17integral_constantIbLb0EES1Q_EEDaS1L_S1M_EUlS1L_E_NS1_11comp_targetILNS1_3genE4ELNS1_11target_archE910ELNS1_3gpuE8ELNS1_3repE0EEENS1_30default_config_static_selectorELNS0_4arch9wavefront6targetE0EEEvSZ_
    .private_segment_fixed_size: 0
    .sgpr_count:     0
    .sgpr_spill_count: 0
    .symbol:         _ZN7rocprim17ROCPRIM_400000_NS6detail17trampoline_kernelINS0_13select_configILj256ELj13ELNS0_17block_load_methodE3ELS4_3ELS4_3ELNS0_20block_scan_algorithmE0ELj4294967295EEENS1_25partition_config_selectorILNS1_17partition_subalgoE3EjNS0_10empty_typeEbEEZZNS1_14partition_implILS8_3ELb0ES6_jNS0_17counting_iteratorIjlEEPS9_SE_NS0_5tupleIJPjSE_EEENSF_IJSE_SE_EEES9_SG_JZNS1_25segmented_radix_sort_implINS0_14default_configELb0EPK12hip_bfloat16PSL_PKlPlN2at6native12_GLOBAL__N_18offset_tEEE10hipError_tPvRmT1_PNSt15iterator_traitsISZ_E10value_typeET2_T3_PNS10_IS15_E10value_typeET4_jRbjT5_S1B_jjP12ihipStream_tbEUljE_EEESW_SX_SY_S15_S19_S1B_T6_T7_T9_mT8_S1D_bDpT10_ENKUlT_T0_E_clISt17integral_constantIbLb0EES1Q_EEDaS1L_S1M_EUlS1L_E_NS1_11comp_targetILNS1_3genE4ELNS1_11target_archE910ELNS1_3gpuE8ELNS1_3repE0EEENS1_30default_config_static_selectorELNS0_4arch9wavefront6targetE0EEEvSZ_.kd
    .uniform_work_group_size: 1
    .uses_dynamic_stack: false
    .vgpr_count:     0
    .vgpr_spill_count: 0
    .wavefront_size: 32
    .workgroup_processor_mode: 1
  - .args:
      - .offset:         0
        .size:           144
        .value_kind:     by_value
    .group_segment_fixed_size: 0
    .kernarg_segment_align: 8
    .kernarg_segment_size: 144
    .language:       OpenCL C
    .language_version:
      - 2
      - 0
    .max_flat_workgroup_size: 256
    .name:           _ZN7rocprim17ROCPRIM_400000_NS6detail17trampoline_kernelINS0_13select_configILj256ELj13ELNS0_17block_load_methodE3ELS4_3ELS4_3ELNS0_20block_scan_algorithmE0ELj4294967295EEENS1_25partition_config_selectorILNS1_17partition_subalgoE3EjNS0_10empty_typeEbEEZZNS1_14partition_implILS8_3ELb0ES6_jNS0_17counting_iteratorIjlEEPS9_SE_NS0_5tupleIJPjSE_EEENSF_IJSE_SE_EEES9_SG_JZNS1_25segmented_radix_sort_implINS0_14default_configELb0EPK12hip_bfloat16PSL_PKlPlN2at6native12_GLOBAL__N_18offset_tEEE10hipError_tPvRmT1_PNSt15iterator_traitsISZ_E10value_typeET2_T3_PNS10_IS15_E10value_typeET4_jRbjT5_S1B_jjP12ihipStream_tbEUljE_EEESW_SX_SY_S15_S19_S1B_T6_T7_T9_mT8_S1D_bDpT10_ENKUlT_T0_E_clISt17integral_constantIbLb0EES1Q_EEDaS1L_S1M_EUlS1L_E_NS1_11comp_targetILNS1_3genE3ELNS1_11target_archE908ELNS1_3gpuE7ELNS1_3repE0EEENS1_30default_config_static_selectorELNS0_4arch9wavefront6targetE0EEEvSZ_
    .private_segment_fixed_size: 0
    .sgpr_count:     0
    .sgpr_spill_count: 0
    .symbol:         _ZN7rocprim17ROCPRIM_400000_NS6detail17trampoline_kernelINS0_13select_configILj256ELj13ELNS0_17block_load_methodE3ELS4_3ELS4_3ELNS0_20block_scan_algorithmE0ELj4294967295EEENS1_25partition_config_selectorILNS1_17partition_subalgoE3EjNS0_10empty_typeEbEEZZNS1_14partition_implILS8_3ELb0ES6_jNS0_17counting_iteratorIjlEEPS9_SE_NS0_5tupleIJPjSE_EEENSF_IJSE_SE_EEES9_SG_JZNS1_25segmented_radix_sort_implINS0_14default_configELb0EPK12hip_bfloat16PSL_PKlPlN2at6native12_GLOBAL__N_18offset_tEEE10hipError_tPvRmT1_PNSt15iterator_traitsISZ_E10value_typeET2_T3_PNS10_IS15_E10value_typeET4_jRbjT5_S1B_jjP12ihipStream_tbEUljE_EEESW_SX_SY_S15_S19_S1B_T6_T7_T9_mT8_S1D_bDpT10_ENKUlT_T0_E_clISt17integral_constantIbLb0EES1Q_EEDaS1L_S1M_EUlS1L_E_NS1_11comp_targetILNS1_3genE3ELNS1_11target_archE908ELNS1_3gpuE7ELNS1_3repE0EEENS1_30default_config_static_selectorELNS0_4arch9wavefront6targetE0EEEvSZ_.kd
    .uniform_work_group_size: 1
    .uses_dynamic_stack: false
    .vgpr_count:     0
    .vgpr_spill_count: 0
    .wavefront_size: 32
    .workgroup_processor_mode: 1
  - .args:
      - .offset:         0
        .size:           144
        .value_kind:     by_value
    .group_segment_fixed_size: 0
    .kernarg_segment_align: 8
    .kernarg_segment_size: 144
    .language:       OpenCL C
    .language_version:
      - 2
      - 0
    .max_flat_workgroup_size: 256
    .name:           _ZN7rocprim17ROCPRIM_400000_NS6detail17trampoline_kernelINS0_13select_configILj256ELj13ELNS0_17block_load_methodE3ELS4_3ELS4_3ELNS0_20block_scan_algorithmE0ELj4294967295EEENS1_25partition_config_selectorILNS1_17partition_subalgoE3EjNS0_10empty_typeEbEEZZNS1_14partition_implILS8_3ELb0ES6_jNS0_17counting_iteratorIjlEEPS9_SE_NS0_5tupleIJPjSE_EEENSF_IJSE_SE_EEES9_SG_JZNS1_25segmented_radix_sort_implINS0_14default_configELb0EPK12hip_bfloat16PSL_PKlPlN2at6native12_GLOBAL__N_18offset_tEEE10hipError_tPvRmT1_PNSt15iterator_traitsISZ_E10value_typeET2_T3_PNS10_IS15_E10value_typeET4_jRbjT5_S1B_jjP12ihipStream_tbEUljE_EEESW_SX_SY_S15_S19_S1B_T6_T7_T9_mT8_S1D_bDpT10_ENKUlT_T0_E_clISt17integral_constantIbLb0EES1Q_EEDaS1L_S1M_EUlS1L_E_NS1_11comp_targetILNS1_3genE2ELNS1_11target_archE906ELNS1_3gpuE6ELNS1_3repE0EEENS1_30default_config_static_selectorELNS0_4arch9wavefront6targetE0EEEvSZ_
    .private_segment_fixed_size: 0
    .sgpr_count:     0
    .sgpr_spill_count: 0
    .symbol:         _ZN7rocprim17ROCPRIM_400000_NS6detail17trampoline_kernelINS0_13select_configILj256ELj13ELNS0_17block_load_methodE3ELS4_3ELS4_3ELNS0_20block_scan_algorithmE0ELj4294967295EEENS1_25partition_config_selectorILNS1_17partition_subalgoE3EjNS0_10empty_typeEbEEZZNS1_14partition_implILS8_3ELb0ES6_jNS0_17counting_iteratorIjlEEPS9_SE_NS0_5tupleIJPjSE_EEENSF_IJSE_SE_EEES9_SG_JZNS1_25segmented_radix_sort_implINS0_14default_configELb0EPK12hip_bfloat16PSL_PKlPlN2at6native12_GLOBAL__N_18offset_tEEE10hipError_tPvRmT1_PNSt15iterator_traitsISZ_E10value_typeET2_T3_PNS10_IS15_E10value_typeET4_jRbjT5_S1B_jjP12ihipStream_tbEUljE_EEESW_SX_SY_S15_S19_S1B_T6_T7_T9_mT8_S1D_bDpT10_ENKUlT_T0_E_clISt17integral_constantIbLb0EES1Q_EEDaS1L_S1M_EUlS1L_E_NS1_11comp_targetILNS1_3genE2ELNS1_11target_archE906ELNS1_3gpuE6ELNS1_3repE0EEENS1_30default_config_static_selectorELNS0_4arch9wavefront6targetE0EEEvSZ_.kd
    .uniform_work_group_size: 1
    .uses_dynamic_stack: false
    .vgpr_count:     0
    .vgpr_spill_count: 0
    .wavefront_size: 32
    .workgroup_processor_mode: 1
  - .args:
      - .offset:         0
        .size:           144
        .value_kind:     by_value
    .group_segment_fixed_size: 13320
    .kernarg_segment_align: 8
    .kernarg_segment_size: 144
    .language:       OpenCL C
    .language_version:
      - 2
      - 0
    .max_flat_workgroup_size: 256
    .name:           _ZN7rocprim17ROCPRIM_400000_NS6detail17trampoline_kernelINS0_13select_configILj256ELj13ELNS0_17block_load_methodE3ELS4_3ELS4_3ELNS0_20block_scan_algorithmE0ELj4294967295EEENS1_25partition_config_selectorILNS1_17partition_subalgoE3EjNS0_10empty_typeEbEEZZNS1_14partition_implILS8_3ELb0ES6_jNS0_17counting_iteratorIjlEEPS9_SE_NS0_5tupleIJPjSE_EEENSF_IJSE_SE_EEES9_SG_JZNS1_25segmented_radix_sort_implINS0_14default_configELb0EPK12hip_bfloat16PSL_PKlPlN2at6native12_GLOBAL__N_18offset_tEEE10hipError_tPvRmT1_PNSt15iterator_traitsISZ_E10value_typeET2_T3_PNS10_IS15_E10value_typeET4_jRbjT5_S1B_jjP12ihipStream_tbEUljE_EEESW_SX_SY_S15_S19_S1B_T6_T7_T9_mT8_S1D_bDpT10_ENKUlT_T0_E_clISt17integral_constantIbLb0EES1Q_EEDaS1L_S1M_EUlS1L_E_NS1_11comp_targetILNS1_3genE10ELNS1_11target_archE1200ELNS1_3gpuE4ELNS1_3repE0EEENS1_30default_config_static_selectorELNS0_4arch9wavefront6targetE0EEEvSZ_
    .private_segment_fixed_size: 0
    .sgpr_count:     28
    .sgpr_spill_count: 0
    .symbol:         _ZN7rocprim17ROCPRIM_400000_NS6detail17trampoline_kernelINS0_13select_configILj256ELj13ELNS0_17block_load_methodE3ELS4_3ELS4_3ELNS0_20block_scan_algorithmE0ELj4294967295EEENS1_25partition_config_selectorILNS1_17partition_subalgoE3EjNS0_10empty_typeEbEEZZNS1_14partition_implILS8_3ELb0ES6_jNS0_17counting_iteratorIjlEEPS9_SE_NS0_5tupleIJPjSE_EEENSF_IJSE_SE_EEES9_SG_JZNS1_25segmented_radix_sort_implINS0_14default_configELb0EPK12hip_bfloat16PSL_PKlPlN2at6native12_GLOBAL__N_18offset_tEEE10hipError_tPvRmT1_PNSt15iterator_traitsISZ_E10value_typeET2_T3_PNS10_IS15_E10value_typeET4_jRbjT5_S1B_jjP12ihipStream_tbEUljE_EEESW_SX_SY_S15_S19_S1B_T6_T7_T9_mT8_S1D_bDpT10_ENKUlT_T0_E_clISt17integral_constantIbLb0EES1Q_EEDaS1L_S1M_EUlS1L_E_NS1_11comp_targetILNS1_3genE10ELNS1_11target_archE1200ELNS1_3gpuE4ELNS1_3repE0EEENS1_30default_config_static_selectorELNS0_4arch9wavefront6targetE0EEEvSZ_.kd
    .uniform_work_group_size: 1
    .uses_dynamic_stack: false
    .vgpr_count:     69
    .vgpr_spill_count: 0
    .wavefront_size: 32
    .workgroup_processor_mode: 1
  - .args:
      - .offset:         0
        .size:           144
        .value_kind:     by_value
    .group_segment_fixed_size: 0
    .kernarg_segment_align: 8
    .kernarg_segment_size: 144
    .language:       OpenCL C
    .language_version:
      - 2
      - 0
    .max_flat_workgroup_size: 256
    .name:           _ZN7rocprim17ROCPRIM_400000_NS6detail17trampoline_kernelINS0_13select_configILj256ELj13ELNS0_17block_load_methodE3ELS4_3ELS4_3ELNS0_20block_scan_algorithmE0ELj4294967295EEENS1_25partition_config_selectorILNS1_17partition_subalgoE3EjNS0_10empty_typeEbEEZZNS1_14partition_implILS8_3ELb0ES6_jNS0_17counting_iteratorIjlEEPS9_SE_NS0_5tupleIJPjSE_EEENSF_IJSE_SE_EEES9_SG_JZNS1_25segmented_radix_sort_implINS0_14default_configELb0EPK12hip_bfloat16PSL_PKlPlN2at6native12_GLOBAL__N_18offset_tEEE10hipError_tPvRmT1_PNSt15iterator_traitsISZ_E10value_typeET2_T3_PNS10_IS15_E10value_typeET4_jRbjT5_S1B_jjP12ihipStream_tbEUljE_EEESW_SX_SY_S15_S19_S1B_T6_T7_T9_mT8_S1D_bDpT10_ENKUlT_T0_E_clISt17integral_constantIbLb0EES1Q_EEDaS1L_S1M_EUlS1L_E_NS1_11comp_targetILNS1_3genE9ELNS1_11target_archE1100ELNS1_3gpuE3ELNS1_3repE0EEENS1_30default_config_static_selectorELNS0_4arch9wavefront6targetE0EEEvSZ_
    .private_segment_fixed_size: 0
    .sgpr_count:     0
    .sgpr_spill_count: 0
    .symbol:         _ZN7rocprim17ROCPRIM_400000_NS6detail17trampoline_kernelINS0_13select_configILj256ELj13ELNS0_17block_load_methodE3ELS4_3ELS4_3ELNS0_20block_scan_algorithmE0ELj4294967295EEENS1_25partition_config_selectorILNS1_17partition_subalgoE3EjNS0_10empty_typeEbEEZZNS1_14partition_implILS8_3ELb0ES6_jNS0_17counting_iteratorIjlEEPS9_SE_NS0_5tupleIJPjSE_EEENSF_IJSE_SE_EEES9_SG_JZNS1_25segmented_radix_sort_implINS0_14default_configELb0EPK12hip_bfloat16PSL_PKlPlN2at6native12_GLOBAL__N_18offset_tEEE10hipError_tPvRmT1_PNSt15iterator_traitsISZ_E10value_typeET2_T3_PNS10_IS15_E10value_typeET4_jRbjT5_S1B_jjP12ihipStream_tbEUljE_EEESW_SX_SY_S15_S19_S1B_T6_T7_T9_mT8_S1D_bDpT10_ENKUlT_T0_E_clISt17integral_constantIbLb0EES1Q_EEDaS1L_S1M_EUlS1L_E_NS1_11comp_targetILNS1_3genE9ELNS1_11target_archE1100ELNS1_3gpuE3ELNS1_3repE0EEENS1_30default_config_static_selectorELNS0_4arch9wavefront6targetE0EEEvSZ_.kd
    .uniform_work_group_size: 1
    .uses_dynamic_stack: false
    .vgpr_count:     0
    .vgpr_spill_count: 0
    .wavefront_size: 32
    .workgroup_processor_mode: 1
  - .args:
      - .offset:         0
        .size:           144
        .value_kind:     by_value
    .group_segment_fixed_size: 0
    .kernarg_segment_align: 8
    .kernarg_segment_size: 144
    .language:       OpenCL C
    .language_version:
      - 2
      - 0
    .max_flat_workgroup_size: 256
    .name:           _ZN7rocprim17ROCPRIM_400000_NS6detail17trampoline_kernelINS0_13select_configILj256ELj13ELNS0_17block_load_methodE3ELS4_3ELS4_3ELNS0_20block_scan_algorithmE0ELj4294967295EEENS1_25partition_config_selectorILNS1_17partition_subalgoE3EjNS0_10empty_typeEbEEZZNS1_14partition_implILS8_3ELb0ES6_jNS0_17counting_iteratorIjlEEPS9_SE_NS0_5tupleIJPjSE_EEENSF_IJSE_SE_EEES9_SG_JZNS1_25segmented_radix_sort_implINS0_14default_configELb0EPK12hip_bfloat16PSL_PKlPlN2at6native12_GLOBAL__N_18offset_tEEE10hipError_tPvRmT1_PNSt15iterator_traitsISZ_E10value_typeET2_T3_PNS10_IS15_E10value_typeET4_jRbjT5_S1B_jjP12ihipStream_tbEUljE_EEESW_SX_SY_S15_S19_S1B_T6_T7_T9_mT8_S1D_bDpT10_ENKUlT_T0_E_clISt17integral_constantIbLb0EES1Q_EEDaS1L_S1M_EUlS1L_E_NS1_11comp_targetILNS1_3genE8ELNS1_11target_archE1030ELNS1_3gpuE2ELNS1_3repE0EEENS1_30default_config_static_selectorELNS0_4arch9wavefront6targetE0EEEvSZ_
    .private_segment_fixed_size: 0
    .sgpr_count:     0
    .sgpr_spill_count: 0
    .symbol:         _ZN7rocprim17ROCPRIM_400000_NS6detail17trampoline_kernelINS0_13select_configILj256ELj13ELNS0_17block_load_methodE3ELS4_3ELS4_3ELNS0_20block_scan_algorithmE0ELj4294967295EEENS1_25partition_config_selectorILNS1_17partition_subalgoE3EjNS0_10empty_typeEbEEZZNS1_14partition_implILS8_3ELb0ES6_jNS0_17counting_iteratorIjlEEPS9_SE_NS0_5tupleIJPjSE_EEENSF_IJSE_SE_EEES9_SG_JZNS1_25segmented_radix_sort_implINS0_14default_configELb0EPK12hip_bfloat16PSL_PKlPlN2at6native12_GLOBAL__N_18offset_tEEE10hipError_tPvRmT1_PNSt15iterator_traitsISZ_E10value_typeET2_T3_PNS10_IS15_E10value_typeET4_jRbjT5_S1B_jjP12ihipStream_tbEUljE_EEESW_SX_SY_S15_S19_S1B_T6_T7_T9_mT8_S1D_bDpT10_ENKUlT_T0_E_clISt17integral_constantIbLb0EES1Q_EEDaS1L_S1M_EUlS1L_E_NS1_11comp_targetILNS1_3genE8ELNS1_11target_archE1030ELNS1_3gpuE2ELNS1_3repE0EEENS1_30default_config_static_selectorELNS0_4arch9wavefront6targetE0EEEvSZ_.kd
    .uniform_work_group_size: 1
    .uses_dynamic_stack: false
    .vgpr_count:     0
    .vgpr_spill_count: 0
    .wavefront_size: 32
    .workgroup_processor_mode: 1
  - .args:
      - .offset:         0
        .size:           152
        .value_kind:     by_value
    .group_segment_fixed_size: 0
    .kernarg_segment_align: 8
    .kernarg_segment_size: 152
    .language:       OpenCL C
    .language_version:
      - 2
      - 0
    .max_flat_workgroup_size: 256
    .name:           _ZN7rocprim17ROCPRIM_400000_NS6detail17trampoline_kernelINS0_13select_configILj256ELj13ELNS0_17block_load_methodE3ELS4_3ELS4_3ELNS0_20block_scan_algorithmE0ELj4294967295EEENS1_25partition_config_selectorILNS1_17partition_subalgoE3EjNS0_10empty_typeEbEEZZNS1_14partition_implILS8_3ELb0ES6_jNS0_17counting_iteratorIjlEEPS9_SE_NS0_5tupleIJPjSE_EEENSF_IJSE_SE_EEES9_SG_JZNS1_25segmented_radix_sort_implINS0_14default_configELb0EPK12hip_bfloat16PSL_PKlPlN2at6native12_GLOBAL__N_18offset_tEEE10hipError_tPvRmT1_PNSt15iterator_traitsISZ_E10value_typeET2_T3_PNS10_IS15_E10value_typeET4_jRbjT5_S1B_jjP12ihipStream_tbEUljE_EEESW_SX_SY_S15_S19_S1B_T6_T7_T9_mT8_S1D_bDpT10_ENKUlT_T0_E_clISt17integral_constantIbLb1EES1Q_EEDaS1L_S1M_EUlS1L_E_NS1_11comp_targetILNS1_3genE0ELNS1_11target_archE4294967295ELNS1_3gpuE0ELNS1_3repE0EEENS1_30default_config_static_selectorELNS0_4arch9wavefront6targetE0EEEvSZ_
    .private_segment_fixed_size: 0
    .sgpr_count:     0
    .sgpr_spill_count: 0
    .symbol:         _ZN7rocprim17ROCPRIM_400000_NS6detail17trampoline_kernelINS0_13select_configILj256ELj13ELNS0_17block_load_methodE3ELS4_3ELS4_3ELNS0_20block_scan_algorithmE0ELj4294967295EEENS1_25partition_config_selectorILNS1_17partition_subalgoE3EjNS0_10empty_typeEbEEZZNS1_14partition_implILS8_3ELb0ES6_jNS0_17counting_iteratorIjlEEPS9_SE_NS0_5tupleIJPjSE_EEENSF_IJSE_SE_EEES9_SG_JZNS1_25segmented_radix_sort_implINS0_14default_configELb0EPK12hip_bfloat16PSL_PKlPlN2at6native12_GLOBAL__N_18offset_tEEE10hipError_tPvRmT1_PNSt15iterator_traitsISZ_E10value_typeET2_T3_PNS10_IS15_E10value_typeET4_jRbjT5_S1B_jjP12ihipStream_tbEUljE_EEESW_SX_SY_S15_S19_S1B_T6_T7_T9_mT8_S1D_bDpT10_ENKUlT_T0_E_clISt17integral_constantIbLb1EES1Q_EEDaS1L_S1M_EUlS1L_E_NS1_11comp_targetILNS1_3genE0ELNS1_11target_archE4294967295ELNS1_3gpuE0ELNS1_3repE0EEENS1_30default_config_static_selectorELNS0_4arch9wavefront6targetE0EEEvSZ_.kd
    .uniform_work_group_size: 1
    .uses_dynamic_stack: false
    .vgpr_count:     0
    .vgpr_spill_count: 0
    .wavefront_size: 32
    .workgroup_processor_mode: 1
  - .args:
      - .offset:         0
        .size:           152
        .value_kind:     by_value
    .group_segment_fixed_size: 0
    .kernarg_segment_align: 8
    .kernarg_segment_size: 152
    .language:       OpenCL C
    .language_version:
      - 2
      - 0
    .max_flat_workgroup_size: 256
    .name:           _ZN7rocprim17ROCPRIM_400000_NS6detail17trampoline_kernelINS0_13select_configILj256ELj13ELNS0_17block_load_methodE3ELS4_3ELS4_3ELNS0_20block_scan_algorithmE0ELj4294967295EEENS1_25partition_config_selectorILNS1_17partition_subalgoE3EjNS0_10empty_typeEbEEZZNS1_14partition_implILS8_3ELb0ES6_jNS0_17counting_iteratorIjlEEPS9_SE_NS0_5tupleIJPjSE_EEENSF_IJSE_SE_EEES9_SG_JZNS1_25segmented_radix_sort_implINS0_14default_configELb0EPK12hip_bfloat16PSL_PKlPlN2at6native12_GLOBAL__N_18offset_tEEE10hipError_tPvRmT1_PNSt15iterator_traitsISZ_E10value_typeET2_T3_PNS10_IS15_E10value_typeET4_jRbjT5_S1B_jjP12ihipStream_tbEUljE_EEESW_SX_SY_S15_S19_S1B_T6_T7_T9_mT8_S1D_bDpT10_ENKUlT_T0_E_clISt17integral_constantIbLb1EES1Q_EEDaS1L_S1M_EUlS1L_E_NS1_11comp_targetILNS1_3genE5ELNS1_11target_archE942ELNS1_3gpuE9ELNS1_3repE0EEENS1_30default_config_static_selectorELNS0_4arch9wavefront6targetE0EEEvSZ_
    .private_segment_fixed_size: 0
    .sgpr_count:     0
    .sgpr_spill_count: 0
    .symbol:         _ZN7rocprim17ROCPRIM_400000_NS6detail17trampoline_kernelINS0_13select_configILj256ELj13ELNS0_17block_load_methodE3ELS4_3ELS4_3ELNS0_20block_scan_algorithmE0ELj4294967295EEENS1_25partition_config_selectorILNS1_17partition_subalgoE3EjNS0_10empty_typeEbEEZZNS1_14partition_implILS8_3ELb0ES6_jNS0_17counting_iteratorIjlEEPS9_SE_NS0_5tupleIJPjSE_EEENSF_IJSE_SE_EEES9_SG_JZNS1_25segmented_radix_sort_implINS0_14default_configELb0EPK12hip_bfloat16PSL_PKlPlN2at6native12_GLOBAL__N_18offset_tEEE10hipError_tPvRmT1_PNSt15iterator_traitsISZ_E10value_typeET2_T3_PNS10_IS15_E10value_typeET4_jRbjT5_S1B_jjP12ihipStream_tbEUljE_EEESW_SX_SY_S15_S19_S1B_T6_T7_T9_mT8_S1D_bDpT10_ENKUlT_T0_E_clISt17integral_constantIbLb1EES1Q_EEDaS1L_S1M_EUlS1L_E_NS1_11comp_targetILNS1_3genE5ELNS1_11target_archE942ELNS1_3gpuE9ELNS1_3repE0EEENS1_30default_config_static_selectorELNS0_4arch9wavefront6targetE0EEEvSZ_.kd
    .uniform_work_group_size: 1
    .uses_dynamic_stack: false
    .vgpr_count:     0
    .vgpr_spill_count: 0
    .wavefront_size: 32
    .workgroup_processor_mode: 1
  - .args:
      - .offset:         0
        .size:           152
        .value_kind:     by_value
    .group_segment_fixed_size: 0
    .kernarg_segment_align: 8
    .kernarg_segment_size: 152
    .language:       OpenCL C
    .language_version:
      - 2
      - 0
    .max_flat_workgroup_size: 256
    .name:           _ZN7rocprim17ROCPRIM_400000_NS6detail17trampoline_kernelINS0_13select_configILj256ELj13ELNS0_17block_load_methodE3ELS4_3ELS4_3ELNS0_20block_scan_algorithmE0ELj4294967295EEENS1_25partition_config_selectorILNS1_17partition_subalgoE3EjNS0_10empty_typeEbEEZZNS1_14partition_implILS8_3ELb0ES6_jNS0_17counting_iteratorIjlEEPS9_SE_NS0_5tupleIJPjSE_EEENSF_IJSE_SE_EEES9_SG_JZNS1_25segmented_radix_sort_implINS0_14default_configELb0EPK12hip_bfloat16PSL_PKlPlN2at6native12_GLOBAL__N_18offset_tEEE10hipError_tPvRmT1_PNSt15iterator_traitsISZ_E10value_typeET2_T3_PNS10_IS15_E10value_typeET4_jRbjT5_S1B_jjP12ihipStream_tbEUljE_EEESW_SX_SY_S15_S19_S1B_T6_T7_T9_mT8_S1D_bDpT10_ENKUlT_T0_E_clISt17integral_constantIbLb1EES1Q_EEDaS1L_S1M_EUlS1L_E_NS1_11comp_targetILNS1_3genE4ELNS1_11target_archE910ELNS1_3gpuE8ELNS1_3repE0EEENS1_30default_config_static_selectorELNS0_4arch9wavefront6targetE0EEEvSZ_
    .private_segment_fixed_size: 0
    .sgpr_count:     0
    .sgpr_spill_count: 0
    .symbol:         _ZN7rocprim17ROCPRIM_400000_NS6detail17trampoline_kernelINS0_13select_configILj256ELj13ELNS0_17block_load_methodE3ELS4_3ELS4_3ELNS0_20block_scan_algorithmE0ELj4294967295EEENS1_25partition_config_selectorILNS1_17partition_subalgoE3EjNS0_10empty_typeEbEEZZNS1_14partition_implILS8_3ELb0ES6_jNS0_17counting_iteratorIjlEEPS9_SE_NS0_5tupleIJPjSE_EEENSF_IJSE_SE_EEES9_SG_JZNS1_25segmented_radix_sort_implINS0_14default_configELb0EPK12hip_bfloat16PSL_PKlPlN2at6native12_GLOBAL__N_18offset_tEEE10hipError_tPvRmT1_PNSt15iterator_traitsISZ_E10value_typeET2_T3_PNS10_IS15_E10value_typeET4_jRbjT5_S1B_jjP12ihipStream_tbEUljE_EEESW_SX_SY_S15_S19_S1B_T6_T7_T9_mT8_S1D_bDpT10_ENKUlT_T0_E_clISt17integral_constantIbLb1EES1Q_EEDaS1L_S1M_EUlS1L_E_NS1_11comp_targetILNS1_3genE4ELNS1_11target_archE910ELNS1_3gpuE8ELNS1_3repE0EEENS1_30default_config_static_selectorELNS0_4arch9wavefront6targetE0EEEvSZ_.kd
    .uniform_work_group_size: 1
    .uses_dynamic_stack: false
    .vgpr_count:     0
    .vgpr_spill_count: 0
    .wavefront_size: 32
    .workgroup_processor_mode: 1
  - .args:
      - .offset:         0
        .size:           152
        .value_kind:     by_value
    .group_segment_fixed_size: 0
    .kernarg_segment_align: 8
    .kernarg_segment_size: 152
    .language:       OpenCL C
    .language_version:
      - 2
      - 0
    .max_flat_workgroup_size: 256
    .name:           _ZN7rocprim17ROCPRIM_400000_NS6detail17trampoline_kernelINS0_13select_configILj256ELj13ELNS0_17block_load_methodE3ELS4_3ELS4_3ELNS0_20block_scan_algorithmE0ELj4294967295EEENS1_25partition_config_selectorILNS1_17partition_subalgoE3EjNS0_10empty_typeEbEEZZNS1_14partition_implILS8_3ELb0ES6_jNS0_17counting_iteratorIjlEEPS9_SE_NS0_5tupleIJPjSE_EEENSF_IJSE_SE_EEES9_SG_JZNS1_25segmented_radix_sort_implINS0_14default_configELb0EPK12hip_bfloat16PSL_PKlPlN2at6native12_GLOBAL__N_18offset_tEEE10hipError_tPvRmT1_PNSt15iterator_traitsISZ_E10value_typeET2_T3_PNS10_IS15_E10value_typeET4_jRbjT5_S1B_jjP12ihipStream_tbEUljE_EEESW_SX_SY_S15_S19_S1B_T6_T7_T9_mT8_S1D_bDpT10_ENKUlT_T0_E_clISt17integral_constantIbLb1EES1Q_EEDaS1L_S1M_EUlS1L_E_NS1_11comp_targetILNS1_3genE3ELNS1_11target_archE908ELNS1_3gpuE7ELNS1_3repE0EEENS1_30default_config_static_selectorELNS0_4arch9wavefront6targetE0EEEvSZ_
    .private_segment_fixed_size: 0
    .sgpr_count:     0
    .sgpr_spill_count: 0
    .symbol:         _ZN7rocprim17ROCPRIM_400000_NS6detail17trampoline_kernelINS0_13select_configILj256ELj13ELNS0_17block_load_methodE3ELS4_3ELS4_3ELNS0_20block_scan_algorithmE0ELj4294967295EEENS1_25partition_config_selectorILNS1_17partition_subalgoE3EjNS0_10empty_typeEbEEZZNS1_14partition_implILS8_3ELb0ES6_jNS0_17counting_iteratorIjlEEPS9_SE_NS0_5tupleIJPjSE_EEENSF_IJSE_SE_EEES9_SG_JZNS1_25segmented_radix_sort_implINS0_14default_configELb0EPK12hip_bfloat16PSL_PKlPlN2at6native12_GLOBAL__N_18offset_tEEE10hipError_tPvRmT1_PNSt15iterator_traitsISZ_E10value_typeET2_T3_PNS10_IS15_E10value_typeET4_jRbjT5_S1B_jjP12ihipStream_tbEUljE_EEESW_SX_SY_S15_S19_S1B_T6_T7_T9_mT8_S1D_bDpT10_ENKUlT_T0_E_clISt17integral_constantIbLb1EES1Q_EEDaS1L_S1M_EUlS1L_E_NS1_11comp_targetILNS1_3genE3ELNS1_11target_archE908ELNS1_3gpuE7ELNS1_3repE0EEENS1_30default_config_static_selectorELNS0_4arch9wavefront6targetE0EEEvSZ_.kd
    .uniform_work_group_size: 1
    .uses_dynamic_stack: false
    .vgpr_count:     0
    .vgpr_spill_count: 0
    .wavefront_size: 32
    .workgroup_processor_mode: 1
  - .args:
      - .offset:         0
        .size:           152
        .value_kind:     by_value
    .group_segment_fixed_size: 0
    .kernarg_segment_align: 8
    .kernarg_segment_size: 152
    .language:       OpenCL C
    .language_version:
      - 2
      - 0
    .max_flat_workgroup_size: 256
    .name:           _ZN7rocprim17ROCPRIM_400000_NS6detail17trampoline_kernelINS0_13select_configILj256ELj13ELNS0_17block_load_methodE3ELS4_3ELS4_3ELNS0_20block_scan_algorithmE0ELj4294967295EEENS1_25partition_config_selectorILNS1_17partition_subalgoE3EjNS0_10empty_typeEbEEZZNS1_14partition_implILS8_3ELb0ES6_jNS0_17counting_iteratorIjlEEPS9_SE_NS0_5tupleIJPjSE_EEENSF_IJSE_SE_EEES9_SG_JZNS1_25segmented_radix_sort_implINS0_14default_configELb0EPK12hip_bfloat16PSL_PKlPlN2at6native12_GLOBAL__N_18offset_tEEE10hipError_tPvRmT1_PNSt15iterator_traitsISZ_E10value_typeET2_T3_PNS10_IS15_E10value_typeET4_jRbjT5_S1B_jjP12ihipStream_tbEUljE_EEESW_SX_SY_S15_S19_S1B_T6_T7_T9_mT8_S1D_bDpT10_ENKUlT_T0_E_clISt17integral_constantIbLb1EES1Q_EEDaS1L_S1M_EUlS1L_E_NS1_11comp_targetILNS1_3genE2ELNS1_11target_archE906ELNS1_3gpuE6ELNS1_3repE0EEENS1_30default_config_static_selectorELNS0_4arch9wavefront6targetE0EEEvSZ_
    .private_segment_fixed_size: 0
    .sgpr_count:     0
    .sgpr_spill_count: 0
    .symbol:         _ZN7rocprim17ROCPRIM_400000_NS6detail17trampoline_kernelINS0_13select_configILj256ELj13ELNS0_17block_load_methodE3ELS4_3ELS4_3ELNS0_20block_scan_algorithmE0ELj4294967295EEENS1_25partition_config_selectorILNS1_17partition_subalgoE3EjNS0_10empty_typeEbEEZZNS1_14partition_implILS8_3ELb0ES6_jNS0_17counting_iteratorIjlEEPS9_SE_NS0_5tupleIJPjSE_EEENSF_IJSE_SE_EEES9_SG_JZNS1_25segmented_radix_sort_implINS0_14default_configELb0EPK12hip_bfloat16PSL_PKlPlN2at6native12_GLOBAL__N_18offset_tEEE10hipError_tPvRmT1_PNSt15iterator_traitsISZ_E10value_typeET2_T3_PNS10_IS15_E10value_typeET4_jRbjT5_S1B_jjP12ihipStream_tbEUljE_EEESW_SX_SY_S15_S19_S1B_T6_T7_T9_mT8_S1D_bDpT10_ENKUlT_T0_E_clISt17integral_constantIbLb1EES1Q_EEDaS1L_S1M_EUlS1L_E_NS1_11comp_targetILNS1_3genE2ELNS1_11target_archE906ELNS1_3gpuE6ELNS1_3repE0EEENS1_30default_config_static_selectorELNS0_4arch9wavefront6targetE0EEEvSZ_.kd
    .uniform_work_group_size: 1
    .uses_dynamic_stack: false
    .vgpr_count:     0
    .vgpr_spill_count: 0
    .wavefront_size: 32
    .workgroup_processor_mode: 1
  - .args:
      - .offset:         0
        .size:           152
        .value_kind:     by_value
    .group_segment_fixed_size: 0
    .kernarg_segment_align: 8
    .kernarg_segment_size: 152
    .language:       OpenCL C
    .language_version:
      - 2
      - 0
    .max_flat_workgroup_size: 256
    .name:           _ZN7rocprim17ROCPRIM_400000_NS6detail17trampoline_kernelINS0_13select_configILj256ELj13ELNS0_17block_load_methodE3ELS4_3ELS4_3ELNS0_20block_scan_algorithmE0ELj4294967295EEENS1_25partition_config_selectorILNS1_17partition_subalgoE3EjNS0_10empty_typeEbEEZZNS1_14partition_implILS8_3ELb0ES6_jNS0_17counting_iteratorIjlEEPS9_SE_NS0_5tupleIJPjSE_EEENSF_IJSE_SE_EEES9_SG_JZNS1_25segmented_radix_sort_implINS0_14default_configELb0EPK12hip_bfloat16PSL_PKlPlN2at6native12_GLOBAL__N_18offset_tEEE10hipError_tPvRmT1_PNSt15iterator_traitsISZ_E10value_typeET2_T3_PNS10_IS15_E10value_typeET4_jRbjT5_S1B_jjP12ihipStream_tbEUljE_EEESW_SX_SY_S15_S19_S1B_T6_T7_T9_mT8_S1D_bDpT10_ENKUlT_T0_E_clISt17integral_constantIbLb1EES1Q_EEDaS1L_S1M_EUlS1L_E_NS1_11comp_targetILNS1_3genE10ELNS1_11target_archE1200ELNS1_3gpuE4ELNS1_3repE0EEENS1_30default_config_static_selectorELNS0_4arch9wavefront6targetE0EEEvSZ_
    .private_segment_fixed_size: 0
    .sgpr_count:     0
    .sgpr_spill_count: 0
    .symbol:         _ZN7rocprim17ROCPRIM_400000_NS6detail17trampoline_kernelINS0_13select_configILj256ELj13ELNS0_17block_load_methodE3ELS4_3ELS4_3ELNS0_20block_scan_algorithmE0ELj4294967295EEENS1_25partition_config_selectorILNS1_17partition_subalgoE3EjNS0_10empty_typeEbEEZZNS1_14partition_implILS8_3ELb0ES6_jNS0_17counting_iteratorIjlEEPS9_SE_NS0_5tupleIJPjSE_EEENSF_IJSE_SE_EEES9_SG_JZNS1_25segmented_radix_sort_implINS0_14default_configELb0EPK12hip_bfloat16PSL_PKlPlN2at6native12_GLOBAL__N_18offset_tEEE10hipError_tPvRmT1_PNSt15iterator_traitsISZ_E10value_typeET2_T3_PNS10_IS15_E10value_typeET4_jRbjT5_S1B_jjP12ihipStream_tbEUljE_EEESW_SX_SY_S15_S19_S1B_T6_T7_T9_mT8_S1D_bDpT10_ENKUlT_T0_E_clISt17integral_constantIbLb1EES1Q_EEDaS1L_S1M_EUlS1L_E_NS1_11comp_targetILNS1_3genE10ELNS1_11target_archE1200ELNS1_3gpuE4ELNS1_3repE0EEENS1_30default_config_static_selectorELNS0_4arch9wavefront6targetE0EEEvSZ_.kd
    .uniform_work_group_size: 1
    .uses_dynamic_stack: false
    .vgpr_count:     0
    .vgpr_spill_count: 0
    .wavefront_size: 32
    .workgroup_processor_mode: 1
  - .args:
      - .offset:         0
        .size:           152
        .value_kind:     by_value
    .group_segment_fixed_size: 0
    .kernarg_segment_align: 8
    .kernarg_segment_size: 152
    .language:       OpenCL C
    .language_version:
      - 2
      - 0
    .max_flat_workgroup_size: 256
    .name:           _ZN7rocprim17ROCPRIM_400000_NS6detail17trampoline_kernelINS0_13select_configILj256ELj13ELNS0_17block_load_methodE3ELS4_3ELS4_3ELNS0_20block_scan_algorithmE0ELj4294967295EEENS1_25partition_config_selectorILNS1_17partition_subalgoE3EjNS0_10empty_typeEbEEZZNS1_14partition_implILS8_3ELb0ES6_jNS0_17counting_iteratorIjlEEPS9_SE_NS0_5tupleIJPjSE_EEENSF_IJSE_SE_EEES9_SG_JZNS1_25segmented_radix_sort_implINS0_14default_configELb0EPK12hip_bfloat16PSL_PKlPlN2at6native12_GLOBAL__N_18offset_tEEE10hipError_tPvRmT1_PNSt15iterator_traitsISZ_E10value_typeET2_T3_PNS10_IS15_E10value_typeET4_jRbjT5_S1B_jjP12ihipStream_tbEUljE_EEESW_SX_SY_S15_S19_S1B_T6_T7_T9_mT8_S1D_bDpT10_ENKUlT_T0_E_clISt17integral_constantIbLb1EES1Q_EEDaS1L_S1M_EUlS1L_E_NS1_11comp_targetILNS1_3genE9ELNS1_11target_archE1100ELNS1_3gpuE3ELNS1_3repE0EEENS1_30default_config_static_selectorELNS0_4arch9wavefront6targetE0EEEvSZ_
    .private_segment_fixed_size: 0
    .sgpr_count:     0
    .sgpr_spill_count: 0
    .symbol:         _ZN7rocprim17ROCPRIM_400000_NS6detail17trampoline_kernelINS0_13select_configILj256ELj13ELNS0_17block_load_methodE3ELS4_3ELS4_3ELNS0_20block_scan_algorithmE0ELj4294967295EEENS1_25partition_config_selectorILNS1_17partition_subalgoE3EjNS0_10empty_typeEbEEZZNS1_14partition_implILS8_3ELb0ES6_jNS0_17counting_iteratorIjlEEPS9_SE_NS0_5tupleIJPjSE_EEENSF_IJSE_SE_EEES9_SG_JZNS1_25segmented_radix_sort_implINS0_14default_configELb0EPK12hip_bfloat16PSL_PKlPlN2at6native12_GLOBAL__N_18offset_tEEE10hipError_tPvRmT1_PNSt15iterator_traitsISZ_E10value_typeET2_T3_PNS10_IS15_E10value_typeET4_jRbjT5_S1B_jjP12ihipStream_tbEUljE_EEESW_SX_SY_S15_S19_S1B_T6_T7_T9_mT8_S1D_bDpT10_ENKUlT_T0_E_clISt17integral_constantIbLb1EES1Q_EEDaS1L_S1M_EUlS1L_E_NS1_11comp_targetILNS1_3genE9ELNS1_11target_archE1100ELNS1_3gpuE3ELNS1_3repE0EEENS1_30default_config_static_selectorELNS0_4arch9wavefront6targetE0EEEvSZ_.kd
    .uniform_work_group_size: 1
    .uses_dynamic_stack: false
    .vgpr_count:     0
    .vgpr_spill_count: 0
    .wavefront_size: 32
    .workgroup_processor_mode: 1
  - .args:
      - .offset:         0
        .size:           152
        .value_kind:     by_value
    .group_segment_fixed_size: 0
    .kernarg_segment_align: 8
    .kernarg_segment_size: 152
    .language:       OpenCL C
    .language_version:
      - 2
      - 0
    .max_flat_workgroup_size: 256
    .name:           _ZN7rocprim17ROCPRIM_400000_NS6detail17trampoline_kernelINS0_13select_configILj256ELj13ELNS0_17block_load_methodE3ELS4_3ELS4_3ELNS0_20block_scan_algorithmE0ELj4294967295EEENS1_25partition_config_selectorILNS1_17partition_subalgoE3EjNS0_10empty_typeEbEEZZNS1_14partition_implILS8_3ELb0ES6_jNS0_17counting_iteratorIjlEEPS9_SE_NS0_5tupleIJPjSE_EEENSF_IJSE_SE_EEES9_SG_JZNS1_25segmented_radix_sort_implINS0_14default_configELb0EPK12hip_bfloat16PSL_PKlPlN2at6native12_GLOBAL__N_18offset_tEEE10hipError_tPvRmT1_PNSt15iterator_traitsISZ_E10value_typeET2_T3_PNS10_IS15_E10value_typeET4_jRbjT5_S1B_jjP12ihipStream_tbEUljE_EEESW_SX_SY_S15_S19_S1B_T6_T7_T9_mT8_S1D_bDpT10_ENKUlT_T0_E_clISt17integral_constantIbLb1EES1Q_EEDaS1L_S1M_EUlS1L_E_NS1_11comp_targetILNS1_3genE8ELNS1_11target_archE1030ELNS1_3gpuE2ELNS1_3repE0EEENS1_30default_config_static_selectorELNS0_4arch9wavefront6targetE0EEEvSZ_
    .private_segment_fixed_size: 0
    .sgpr_count:     0
    .sgpr_spill_count: 0
    .symbol:         _ZN7rocprim17ROCPRIM_400000_NS6detail17trampoline_kernelINS0_13select_configILj256ELj13ELNS0_17block_load_methodE3ELS4_3ELS4_3ELNS0_20block_scan_algorithmE0ELj4294967295EEENS1_25partition_config_selectorILNS1_17partition_subalgoE3EjNS0_10empty_typeEbEEZZNS1_14partition_implILS8_3ELb0ES6_jNS0_17counting_iteratorIjlEEPS9_SE_NS0_5tupleIJPjSE_EEENSF_IJSE_SE_EEES9_SG_JZNS1_25segmented_radix_sort_implINS0_14default_configELb0EPK12hip_bfloat16PSL_PKlPlN2at6native12_GLOBAL__N_18offset_tEEE10hipError_tPvRmT1_PNSt15iterator_traitsISZ_E10value_typeET2_T3_PNS10_IS15_E10value_typeET4_jRbjT5_S1B_jjP12ihipStream_tbEUljE_EEESW_SX_SY_S15_S19_S1B_T6_T7_T9_mT8_S1D_bDpT10_ENKUlT_T0_E_clISt17integral_constantIbLb1EES1Q_EEDaS1L_S1M_EUlS1L_E_NS1_11comp_targetILNS1_3genE8ELNS1_11target_archE1030ELNS1_3gpuE2ELNS1_3repE0EEENS1_30default_config_static_selectorELNS0_4arch9wavefront6targetE0EEEvSZ_.kd
    .uniform_work_group_size: 1
    .uses_dynamic_stack: false
    .vgpr_count:     0
    .vgpr_spill_count: 0
    .wavefront_size: 32
    .workgroup_processor_mode: 1
  - .args:
      - .offset:         0
        .size:           144
        .value_kind:     by_value
    .group_segment_fixed_size: 0
    .kernarg_segment_align: 8
    .kernarg_segment_size: 144
    .language:       OpenCL C
    .language_version:
      - 2
      - 0
    .max_flat_workgroup_size: 256
    .name:           _ZN7rocprim17ROCPRIM_400000_NS6detail17trampoline_kernelINS0_13select_configILj256ELj13ELNS0_17block_load_methodE3ELS4_3ELS4_3ELNS0_20block_scan_algorithmE0ELj4294967295EEENS1_25partition_config_selectorILNS1_17partition_subalgoE3EjNS0_10empty_typeEbEEZZNS1_14partition_implILS8_3ELb0ES6_jNS0_17counting_iteratorIjlEEPS9_SE_NS0_5tupleIJPjSE_EEENSF_IJSE_SE_EEES9_SG_JZNS1_25segmented_radix_sort_implINS0_14default_configELb0EPK12hip_bfloat16PSL_PKlPlN2at6native12_GLOBAL__N_18offset_tEEE10hipError_tPvRmT1_PNSt15iterator_traitsISZ_E10value_typeET2_T3_PNS10_IS15_E10value_typeET4_jRbjT5_S1B_jjP12ihipStream_tbEUljE_EEESW_SX_SY_S15_S19_S1B_T6_T7_T9_mT8_S1D_bDpT10_ENKUlT_T0_E_clISt17integral_constantIbLb1EES1P_IbLb0EEEEDaS1L_S1M_EUlS1L_E_NS1_11comp_targetILNS1_3genE0ELNS1_11target_archE4294967295ELNS1_3gpuE0ELNS1_3repE0EEENS1_30default_config_static_selectorELNS0_4arch9wavefront6targetE0EEEvSZ_
    .private_segment_fixed_size: 0
    .sgpr_count:     0
    .sgpr_spill_count: 0
    .symbol:         _ZN7rocprim17ROCPRIM_400000_NS6detail17trampoline_kernelINS0_13select_configILj256ELj13ELNS0_17block_load_methodE3ELS4_3ELS4_3ELNS0_20block_scan_algorithmE0ELj4294967295EEENS1_25partition_config_selectorILNS1_17partition_subalgoE3EjNS0_10empty_typeEbEEZZNS1_14partition_implILS8_3ELb0ES6_jNS0_17counting_iteratorIjlEEPS9_SE_NS0_5tupleIJPjSE_EEENSF_IJSE_SE_EEES9_SG_JZNS1_25segmented_radix_sort_implINS0_14default_configELb0EPK12hip_bfloat16PSL_PKlPlN2at6native12_GLOBAL__N_18offset_tEEE10hipError_tPvRmT1_PNSt15iterator_traitsISZ_E10value_typeET2_T3_PNS10_IS15_E10value_typeET4_jRbjT5_S1B_jjP12ihipStream_tbEUljE_EEESW_SX_SY_S15_S19_S1B_T6_T7_T9_mT8_S1D_bDpT10_ENKUlT_T0_E_clISt17integral_constantIbLb1EES1P_IbLb0EEEEDaS1L_S1M_EUlS1L_E_NS1_11comp_targetILNS1_3genE0ELNS1_11target_archE4294967295ELNS1_3gpuE0ELNS1_3repE0EEENS1_30default_config_static_selectorELNS0_4arch9wavefront6targetE0EEEvSZ_.kd
    .uniform_work_group_size: 1
    .uses_dynamic_stack: false
    .vgpr_count:     0
    .vgpr_spill_count: 0
    .wavefront_size: 32
    .workgroup_processor_mode: 1
  - .args:
      - .offset:         0
        .size:           144
        .value_kind:     by_value
    .group_segment_fixed_size: 0
    .kernarg_segment_align: 8
    .kernarg_segment_size: 144
    .language:       OpenCL C
    .language_version:
      - 2
      - 0
    .max_flat_workgroup_size: 256
    .name:           _ZN7rocprim17ROCPRIM_400000_NS6detail17trampoline_kernelINS0_13select_configILj256ELj13ELNS0_17block_load_methodE3ELS4_3ELS4_3ELNS0_20block_scan_algorithmE0ELj4294967295EEENS1_25partition_config_selectorILNS1_17partition_subalgoE3EjNS0_10empty_typeEbEEZZNS1_14partition_implILS8_3ELb0ES6_jNS0_17counting_iteratorIjlEEPS9_SE_NS0_5tupleIJPjSE_EEENSF_IJSE_SE_EEES9_SG_JZNS1_25segmented_radix_sort_implINS0_14default_configELb0EPK12hip_bfloat16PSL_PKlPlN2at6native12_GLOBAL__N_18offset_tEEE10hipError_tPvRmT1_PNSt15iterator_traitsISZ_E10value_typeET2_T3_PNS10_IS15_E10value_typeET4_jRbjT5_S1B_jjP12ihipStream_tbEUljE_EEESW_SX_SY_S15_S19_S1B_T6_T7_T9_mT8_S1D_bDpT10_ENKUlT_T0_E_clISt17integral_constantIbLb1EES1P_IbLb0EEEEDaS1L_S1M_EUlS1L_E_NS1_11comp_targetILNS1_3genE5ELNS1_11target_archE942ELNS1_3gpuE9ELNS1_3repE0EEENS1_30default_config_static_selectorELNS0_4arch9wavefront6targetE0EEEvSZ_
    .private_segment_fixed_size: 0
    .sgpr_count:     0
    .sgpr_spill_count: 0
    .symbol:         _ZN7rocprim17ROCPRIM_400000_NS6detail17trampoline_kernelINS0_13select_configILj256ELj13ELNS0_17block_load_methodE3ELS4_3ELS4_3ELNS0_20block_scan_algorithmE0ELj4294967295EEENS1_25partition_config_selectorILNS1_17partition_subalgoE3EjNS0_10empty_typeEbEEZZNS1_14partition_implILS8_3ELb0ES6_jNS0_17counting_iteratorIjlEEPS9_SE_NS0_5tupleIJPjSE_EEENSF_IJSE_SE_EEES9_SG_JZNS1_25segmented_radix_sort_implINS0_14default_configELb0EPK12hip_bfloat16PSL_PKlPlN2at6native12_GLOBAL__N_18offset_tEEE10hipError_tPvRmT1_PNSt15iterator_traitsISZ_E10value_typeET2_T3_PNS10_IS15_E10value_typeET4_jRbjT5_S1B_jjP12ihipStream_tbEUljE_EEESW_SX_SY_S15_S19_S1B_T6_T7_T9_mT8_S1D_bDpT10_ENKUlT_T0_E_clISt17integral_constantIbLb1EES1P_IbLb0EEEEDaS1L_S1M_EUlS1L_E_NS1_11comp_targetILNS1_3genE5ELNS1_11target_archE942ELNS1_3gpuE9ELNS1_3repE0EEENS1_30default_config_static_selectorELNS0_4arch9wavefront6targetE0EEEvSZ_.kd
    .uniform_work_group_size: 1
    .uses_dynamic_stack: false
    .vgpr_count:     0
    .vgpr_spill_count: 0
    .wavefront_size: 32
    .workgroup_processor_mode: 1
  - .args:
      - .offset:         0
        .size:           144
        .value_kind:     by_value
    .group_segment_fixed_size: 0
    .kernarg_segment_align: 8
    .kernarg_segment_size: 144
    .language:       OpenCL C
    .language_version:
      - 2
      - 0
    .max_flat_workgroup_size: 256
    .name:           _ZN7rocprim17ROCPRIM_400000_NS6detail17trampoline_kernelINS0_13select_configILj256ELj13ELNS0_17block_load_methodE3ELS4_3ELS4_3ELNS0_20block_scan_algorithmE0ELj4294967295EEENS1_25partition_config_selectorILNS1_17partition_subalgoE3EjNS0_10empty_typeEbEEZZNS1_14partition_implILS8_3ELb0ES6_jNS0_17counting_iteratorIjlEEPS9_SE_NS0_5tupleIJPjSE_EEENSF_IJSE_SE_EEES9_SG_JZNS1_25segmented_radix_sort_implINS0_14default_configELb0EPK12hip_bfloat16PSL_PKlPlN2at6native12_GLOBAL__N_18offset_tEEE10hipError_tPvRmT1_PNSt15iterator_traitsISZ_E10value_typeET2_T3_PNS10_IS15_E10value_typeET4_jRbjT5_S1B_jjP12ihipStream_tbEUljE_EEESW_SX_SY_S15_S19_S1B_T6_T7_T9_mT8_S1D_bDpT10_ENKUlT_T0_E_clISt17integral_constantIbLb1EES1P_IbLb0EEEEDaS1L_S1M_EUlS1L_E_NS1_11comp_targetILNS1_3genE4ELNS1_11target_archE910ELNS1_3gpuE8ELNS1_3repE0EEENS1_30default_config_static_selectorELNS0_4arch9wavefront6targetE0EEEvSZ_
    .private_segment_fixed_size: 0
    .sgpr_count:     0
    .sgpr_spill_count: 0
    .symbol:         _ZN7rocprim17ROCPRIM_400000_NS6detail17trampoline_kernelINS0_13select_configILj256ELj13ELNS0_17block_load_methodE3ELS4_3ELS4_3ELNS0_20block_scan_algorithmE0ELj4294967295EEENS1_25partition_config_selectorILNS1_17partition_subalgoE3EjNS0_10empty_typeEbEEZZNS1_14partition_implILS8_3ELb0ES6_jNS0_17counting_iteratorIjlEEPS9_SE_NS0_5tupleIJPjSE_EEENSF_IJSE_SE_EEES9_SG_JZNS1_25segmented_radix_sort_implINS0_14default_configELb0EPK12hip_bfloat16PSL_PKlPlN2at6native12_GLOBAL__N_18offset_tEEE10hipError_tPvRmT1_PNSt15iterator_traitsISZ_E10value_typeET2_T3_PNS10_IS15_E10value_typeET4_jRbjT5_S1B_jjP12ihipStream_tbEUljE_EEESW_SX_SY_S15_S19_S1B_T6_T7_T9_mT8_S1D_bDpT10_ENKUlT_T0_E_clISt17integral_constantIbLb1EES1P_IbLb0EEEEDaS1L_S1M_EUlS1L_E_NS1_11comp_targetILNS1_3genE4ELNS1_11target_archE910ELNS1_3gpuE8ELNS1_3repE0EEENS1_30default_config_static_selectorELNS0_4arch9wavefront6targetE0EEEvSZ_.kd
    .uniform_work_group_size: 1
    .uses_dynamic_stack: false
    .vgpr_count:     0
    .vgpr_spill_count: 0
    .wavefront_size: 32
    .workgroup_processor_mode: 1
  - .args:
      - .offset:         0
        .size:           144
        .value_kind:     by_value
    .group_segment_fixed_size: 0
    .kernarg_segment_align: 8
    .kernarg_segment_size: 144
    .language:       OpenCL C
    .language_version:
      - 2
      - 0
    .max_flat_workgroup_size: 256
    .name:           _ZN7rocprim17ROCPRIM_400000_NS6detail17trampoline_kernelINS0_13select_configILj256ELj13ELNS0_17block_load_methodE3ELS4_3ELS4_3ELNS0_20block_scan_algorithmE0ELj4294967295EEENS1_25partition_config_selectorILNS1_17partition_subalgoE3EjNS0_10empty_typeEbEEZZNS1_14partition_implILS8_3ELb0ES6_jNS0_17counting_iteratorIjlEEPS9_SE_NS0_5tupleIJPjSE_EEENSF_IJSE_SE_EEES9_SG_JZNS1_25segmented_radix_sort_implINS0_14default_configELb0EPK12hip_bfloat16PSL_PKlPlN2at6native12_GLOBAL__N_18offset_tEEE10hipError_tPvRmT1_PNSt15iterator_traitsISZ_E10value_typeET2_T3_PNS10_IS15_E10value_typeET4_jRbjT5_S1B_jjP12ihipStream_tbEUljE_EEESW_SX_SY_S15_S19_S1B_T6_T7_T9_mT8_S1D_bDpT10_ENKUlT_T0_E_clISt17integral_constantIbLb1EES1P_IbLb0EEEEDaS1L_S1M_EUlS1L_E_NS1_11comp_targetILNS1_3genE3ELNS1_11target_archE908ELNS1_3gpuE7ELNS1_3repE0EEENS1_30default_config_static_selectorELNS0_4arch9wavefront6targetE0EEEvSZ_
    .private_segment_fixed_size: 0
    .sgpr_count:     0
    .sgpr_spill_count: 0
    .symbol:         _ZN7rocprim17ROCPRIM_400000_NS6detail17trampoline_kernelINS0_13select_configILj256ELj13ELNS0_17block_load_methodE3ELS4_3ELS4_3ELNS0_20block_scan_algorithmE0ELj4294967295EEENS1_25partition_config_selectorILNS1_17partition_subalgoE3EjNS0_10empty_typeEbEEZZNS1_14partition_implILS8_3ELb0ES6_jNS0_17counting_iteratorIjlEEPS9_SE_NS0_5tupleIJPjSE_EEENSF_IJSE_SE_EEES9_SG_JZNS1_25segmented_radix_sort_implINS0_14default_configELb0EPK12hip_bfloat16PSL_PKlPlN2at6native12_GLOBAL__N_18offset_tEEE10hipError_tPvRmT1_PNSt15iterator_traitsISZ_E10value_typeET2_T3_PNS10_IS15_E10value_typeET4_jRbjT5_S1B_jjP12ihipStream_tbEUljE_EEESW_SX_SY_S15_S19_S1B_T6_T7_T9_mT8_S1D_bDpT10_ENKUlT_T0_E_clISt17integral_constantIbLb1EES1P_IbLb0EEEEDaS1L_S1M_EUlS1L_E_NS1_11comp_targetILNS1_3genE3ELNS1_11target_archE908ELNS1_3gpuE7ELNS1_3repE0EEENS1_30default_config_static_selectorELNS0_4arch9wavefront6targetE0EEEvSZ_.kd
    .uniform_work_group_size: 1
    .uses_dynamic_stack: false
    .vgpr_count:     0
    .vgpr_spill_count: 0
    .wavefront_size: 32
    .workgroup_processor_mode: 1
  - .args:
      - .offset:         0
        .size:           144
        .value_kind:     by_value
    .group_segment_fixed_size: 0
    .kernarg_segment_align: 8
    .kernarg_segment_size: 144
    .language:       OpenCL C
    .language_version:
      - 2
      - 0
    .max_flat_workgroup_size: 256
    .name:           _ZN7rocprim17ROCPRIM_400000_NS6detail17trampoline_kernelINS0_13select_configILj256ELj13ELNS0_17block_load_methodE3ELS4_3ELS4_3ELNS0_20block_scan_algorithmE0ELj4294967295EEENS1_25partition_config_selectorILNS1_17partition_subalgoE3EjNS0_10empty_typeEbEEZZNS1_14partition_implILS8_3ELb0ES6_jNS0_17counting_iteratorIjlEEPS9_SE_NS0_5tupleIJPjSE_EEENSF_IJSE_SE_EEES9_SG_JZNS1_25segmented_radix_sort_implINS0_14default_configELb0EPK12hip_bfloat16PSL_PKlPlN2at6native12_GLOBAL__N_18offset_tEEE10hipError_tPvRmT1_PNSt15iterator_traitsISZ_E10value_typeET2_T3_PNS10_IS15_E10value_typeET4_jRbjT5_S1B_jjP12ihipStream_tbEUljE_EEESW_SX_SY_S15_S19_S1B_T6_T7_T9_mT8_S1D_bDpT10_ENKUlT_T0_E_clISt17integral_constantIbLb1EES1P_IbLb0EEEEDaS1L_S1M_EUlS1L_E_NS1_11comp_targetILNS1_3genE2ELNS1_11target_archE906ELNS1_3gpuE6ELNS1_3repE0EEENS1_30default_config_static_selectorELNS0_4arch9wavefront6targetE0EEEvSZ_
    .private_segment_fixed_size: 0
    .sgpr_count:     0
    .sgpr_spill_count: 0
    .symbol:         _ZN7rocprim17ROCPRIM_400000_NS6detail17trampoline_kernelINS0_13select_configILj256ELj13ELNS0_17block_load_methodE3ELS4_3ELS4_3ELNS0_20block_scan_algorithmE0ELj4294967295EEENS1_25partition_config_selectorILNS1_17partition_subalgoE3EjNS0_10empty_typeEbEEZZNS1_14partition_implILS8_3ELb0ES6_jNS0_17counting_iteratorIjlEEPS9_SE_NS0_5tupleIJPjSE_EEENSF_IJSE_SE_EEES9_SG_JZNS1_25segmented_radix_sort_implINS0_14default_configELb0EPK12hip_bfloat16PSL_PKlPlN2at6native12_GLOBAL__N_18offset_tEEE10hipError_tPvRmT1_PNSt15iterator_traitsISZ_E10value_typeET2_T3_PNS10_IS15_E10value_typeET4_jRbjT5_S1B_jjP12ihipStream_tbEUljE_EEESW_SX_SY_S15_S19_S1B_T6_T7_T9_mT8_S1D_bDpT10_ENKUlT_T0_E_clISt17integral_constantIbLb1EES1P_IbLb0EEEEDaS1L_S1M_EUlS1L_E_NS1_11comp_targetILNS1_3genE2ELNS1_11target_archE906ELNS1_3gpuE6ELNS1_3repE0EEENS1_30default_config_static_selectorELNS0_4arch9wavefront6targetE0EEEvSZ_.kd
    .uniform_work_group_size: 1
    .uses_dynamic_stack: false
    .vgpr_count:     0
    .vgpr_spill_count: 0
    .wavefront_size: 32
    .workgroup_processor_mode: 1
  - .args:
      - .offset:         0
        .size:           144
        .value_kind:     by_value
    .group_segment_fixed_size: 0
    .kernarg_segment_align: 8
    .kernarg_segment_size: 144
    .language:       OpenCL C
    .language_version:
      - 2
      - 0
    .max_flat_workgroup_size: 256
    .name:           _ZN7rocprim17ROCPRIM_400000_NS6detail17trampoline_kernelINS0_13select_configILj256ELj13ELNS0_17block_load_methodE3ELS4_3ELS4_3ELNS0_20block_scan_algorithmE0ELj4294967295EEENS1_25partition_config_selectorILNS1_17partition_subalgoE3EjNS0_10empty_typeEbEEZZNS1_14partition_implILS8_3ELb0ES6_jNS0_17counting_iteratorIjlEEPS9_SE_NS0_5tupleIJPjSE_EEENSF_IJSE_SE_EEES9_SG_JZNS1_25segmented_radix_sort_implINS0_14default_configELb0EPK12hip_bfloat16PSL_PKlPlN2at6native12_GLOBAL__N_18offset_tEEE10hipError_tPvRmT1_PNSt15iterator_traitsISZ_E10value_typeET2_T3_PNS10_IS15_E10value_typeET4_jRbjT5_S1B_jjP12ihipStream_tbEUljE_EEESW_SX_SY_S15_S19_S1B_T6_T7_T9_mT8_S1D_bDpT10_ENKUlT_T0_E_clISt17integral_constantIbLb1EES1P_IbLb0EEEEDaS1L_S1M_EUlS1L_E_NS1_11comp_targetILNS1_3genE10ELNS1_11target_archE1200ELNS1_3gpuE4ELNS1_3repE0EEENS1_30default_config_static_selectorELNS0_4arch9wavefront6targetE0EEEvSZ_
    .private_segment_fixed_size: 0
    .sgpr_count:     0
    .sgpr_spill_count: 0
    .symbol:         _ZN7rocprim17ROCPRIM_400000_NS6detail17trampoline_kernelINS0_13select_configILj256ELj13ELNS0_17block_load_methodE3ELS4_3ELS4_3ELNS0_20block_scan_algorithmE0ELj4294967295EEENS1_25partition_config_selectorILNS1_17partition_subalgoE3EjNS0_10empty_typeEbEEZZNS1_14partition_implILS8_3ELb0ES6_jNS0_17counting_iteratorIjlEEPS9_SE_NS0_5tupleIJPjSE_EEENSF_IJSE_SE_EEES9_SG_JZNS1_25segmented_radix_sort_implINS0_14default_configELb0EPK12hip_bfloat16PSL_PKlPlN2at6native12_GLOBAL__N_18offset_tEEE10hipError_tPvRmT1_PNSt15iterator_traitsISZ_E10value_typeET2_T3_PNS10_IS15_E10value_typeET4_jRbjT5_S1B_jjP12ihipStream_tbEUljE_EEESW_SX_SY_S15_S19_S1B_T6_T7_T9_mT8_S1D_bDpT10_ENKUlT_T0_E_clISt17integral_constantIbLb1EES1P_IbLb0EEEEDaS1L_S1M_EUlS1L_E_NS1_11comp_targetILNS1_3genE10ELNS1_11target_archE1200ELNS1_3gpuE4ELNS1_3repE0EEENS1_30default_config_static_selectorELNS0_4arch9wavefront6targetE0EEEvSZ_.kd
    .uniform_work_group_size: 1
    .uses_dynamic_stack: false
    .vgpr_count:     0
    .vgpr_spill_count: 0
    .wavefront_size: 32
    .workgroup_processor_mode: 1
  - .args:
      - .offset:         0
        .size:           144
        .value_kind:     by_value
    .group_segment_fixed_size: 0
    .kernarg_segment_align: 8
    .kernarg_segment_size: 144
    .language:       OpenCL C
    .language_version:
      - 2
      - 0
    .max_flat_workgroup_size: 256
    .name:           _ZN7rocprim17ROCPRIM_400000_NS6detail17trampoline_kernelINS0_13select_configILj256ELj13ELNS0_17block_load_methodE3ELS4_3ELS4_3ELNS0_20block_scan_algorithmE0ELj4294967295EEENS1_25partition_config_selectorILNS1_17partition_subalgoE3EjNS0_10empty_typeEbEEZZNS1_14partition_implILS8_3ELb0ES6_jNS0_17counting_iteratorIjlEEPS9_SE_NS0_5tupleIJPjSE_EEENSF_IJSE_SE_EEES9_SG_JZNS1_25segmented_radix_sort_implINS0_14default_configELb0EPK12hip_bfloat16PSL_PKlPlN2at6native12_GLOBAL__N_18offset_tEEE10hipError_tPvRmT1_PNSt15iterator_traitsISZ_E10value_typeET2_T3_PNS10_IS15_E10value_typeET4_jRbjT5_S1B_jjP12ihipStream_tbEUljE_EEESW_SX_SY_S15_S19_S1B_T6_T7_T9_mT8_S1D_bDpT10_ENKUlT_T0_E_clISt17integral_constantIbLb1EES1P_IbLb0EEEEDaS1L_S1M_EUlS1L_E_NS1_11comp_targetILNS1_3genE9ELNS1_11target_archE1100ELNS1_3gpuE3ELNS1_3repE0EEENS1_30default_config_static_selectorELNS0_4arch9wavefront6targetE0EEEvSZ_
    .private_segment_fixed_size: 0
    .sgpr_count:     0
    .sgpr_spill_count: 0
    .symbol:         _ZN7rocprim17ROCPRIM_400000_NS6detail17trampoline_kernelINS0_13select_configILj256ELj13ELNS0_17block_load_methodE3ELS4_3ELS4_3ELNS0_20block_scan_algorithmE0ELj4294967295EEENS1_25partition_config_selectorILNS1_17partition_subalgoE3EjNS0_10empty_typeEbEEZZNS1_14partition_implILS8_3ELb0ES6_jNS0_17counting_iteratorIjlEEPS9_SE_NS0_5tupleIJPjSE_EEENSF_IJSE_SE_EEES9_SG_JZNS1_25segmented_radix_sort_implINS0_14default_configELb0EPK12hip_bfloat16PSL_PKlPlN2at6native12_GLOBAL__N_18offset_tEEE10hipError_tPvRmT1_PNSt15iterator_traitsISZ_E10value_typeET2_T3_PNS10_IS15_E10value_typeET4_jRbjT5_S1B_jjP12ihipStream_tbEUljE_EEESW_SX_SY_S15_S19_S1B_T6_T7_T9_mT8_S1D_bDpT10_ENKUlT_T0_E_clISt17integral_constantIbLb1EES1P_IbLb0EEEEDaS1L_S1M_EUlS1L_E_NS1_11comp_targetILNS1_3genE9ELNS1_11target_archE1100ELNS1_3gpuE3ELNS1_3repE0EEENS1_30default_config_static_selectorELNS0_4arch9wavefront6targetE0EEEvSZ_.kd
    .uniform_work_group_size: 1
    .uses_dynamic_stack: false
    .vgpr_count:     0
    .vgpr_spill_count: 0
    .wavefront_size: 32
    .workgroup_processor_mode: 1
  - .args:
      - .offset:         0
        .size:           144
        .value_kind:     by_value
    .group_segment_fixed_size: 0
    .kernarg_segment_align: 8
    .kernarg_segment_size: 144
    .language:       OpenCL C
    .language_version:
      - 2
      - 0
    .max_flat_workgroup_size: 256
    .name:           _ZN7rocprim17ROCPRIM_400000_NS6detail17trampoline_kernelINS0_13select_configILj256ELj13ELNS0_17block_load_methodE3ELS4_3ELS4_3ELNS0_20block_scan_algorithmE0ELj4294967295EEENS1_25partition_config_selectorILNS1_17partition_subalgoE3EjNS0_10empty_typeEbEEZZNS1_14partition_implILS8_3ELb0ES6_jNS0_17counting_iteratorIjlEEPS9_SE_NS0_5tupleIJPjSE_EEENSF_IJSE_SE_EEES9_SG_JZNS1_25segmented_radix_sort_implINS0_14default_configELb0EPK12hip_bfloat16PSL_PKlPlN2at6native12_GLOBAL__N_18offset_tEEE10hipError_tPvRmT1_PNSt15iterator_traitsISZ_E10value_typeET2_T3_PNS10_IS15_E10value_typeET4_jRbjT5_S1B_jjP12ihipStream_tbEUljE_EEESW_SX_SY_S15_S19_S1B_T6_T7_T9_mT8_S1D_bDpT10_ENKUlT_T0_E_clISt17integral_constantIbLb1EES1P_IbLb0EEEEDaS1L_S1M_EUlS1L_E_NS1_11comp_targetILNS1_3genE8ELNS1_11target_archE1030ELNS1_3gpuE2ELNS1_3repE0EEENS1_30default_config_static_selectorELNS0_4arch9wavefront6targetE0EEEvSZ_
    .private_segment_fixed_size: 0
    .sgpr_count:     0
    .sgpr_spill_count: 0
    .symbol:         _ZN7rocprim17ROCPRIM_400000_NS6detail17trampoline_kernelINS0_13select_configILj256ELj13ELNS0_17block_load_methodE3ELS4_3ELS4_3ELNS0_20block_scan_algorithmE0ELj4294967295EEENS1_25partition_config_selectorILNS1_17partition_subalgoE3EjNS0_10empty_typeEbEEZZNS1_14partition_implILS8_3ELb0ES6_jNS0_17counting_iteratorIjlEEPS9_SE_NS0_5tupleIJPjSE_EEENSF_IJSE_SE_EEES9_SG_JZNS1_25segmented_radix_sort_implINS0_14default_configELb0EPK12hip_bfloat16PSL_PKlPlN2at6native12_GLOBAL__N_18offset_tEEE10hipError_tPvRmT1_PNSt15iterator_traitsISZ_E10value_typeET2_T3_PNS10_IS15_E10value_typeET4_jRbjT5_S1B_jjP12ihipStream_tbEUljE_EEESW_SX_SY_S15_S19_S1B_T6_T7_T9_mT8_S1D_bDpT10_ENKUlT_T0_E_clISt17integral_constantIbLb1EES1P_IbLb0EEEEDaS1L_S1M_EUlS1L_E_NS1_11comp_targetILNS1_3genE8ELNS1_11target_archE1030ELNS1_3gpuE2ELNS1_3repE0EEENS1_30default_config_static_selectorELNS0_4arch9wavefront6targetE0EEEvSZ_.kd
    .uniform_work_group_size: 1
    .uses_dynamic_stack: false
    .vgpr_count:     0
    .vgpr_spill_count: 0
    .wavefront_size: 32
    .workgroup_processor_mode: 1
  - .args:
      - .offset:         0
        .size:           152
        .value_kind:     by_value
    .group_segment_fixed_size: 0
    .kernarg_segment_align: 8
    .kernarg_segment_size: 152
    .language:       OpenCL C
    .language_version:
      - 2
      - 0
    .max_flat_workgroup_size: 256
    .name:           _ZN7rocprim17ROCPRIM_400000_NS6detail17trampoline_kernelINS0_13select_configILj256ELj13ELNS0_17block_load_methodE3ELS4_3ELS4_3ELNS0_20block_scan_algorithmE0ELj4294967295EEENS1_25partition_config_selectorILNS1_17partition_subalgoE3EjNS0_10empty_typeEbEEZZNS1_14partition_implILS8_3ELb0ES6_jNS0_17counting_iteratorIjlEEPS9_SE_NS0_5tupleIJPjSE_EEENSF_IJSE_SE_EEES9_SG_JZNS1_25segmented_radix_sort_implINS0_14default_configELb0EPK12hip_bfloat16PSL_PKlPlN2at6native12_GLOBAL__N_18offset_tEEE10hipError_tPvRmT1_PNSt15iterator_traitsISZ_E10value_typeET2_T3_PNS10_IS15_E10value_typeET4_jRbjT5_S1B_jjP12ihipStream_tbEUljE_EEESW_SX_SY_S15_S19_S1B_T6_T7_T9_mT8_S1D_bDpT10_ENKUlT_T0_E_clISt17integral_constantIbLb0EES1P_IbLb1EEEEDaS1L_S1M_EUlS1L_E_NS1_11comp_targetILNS1_3genE0ELNS1_11target_archE4294967295ELNS1_3gpuE0ELNS1_3repE0EEENS1_30default_config_static_selectorELNS0_4arch9wavefront6targetE0EEEvSZ_
    .private_segment_fixed_size: 0
    .sgpr_count:     0
    .sgpr_spill_count: 0
    .symbol:         _ZN7rocprim17ROCPRIM_400000_NS6detail17trampoline_kernelINS0_13select_configILj256ELj13ELNS0_17block_load_methodE3ELS4_3ELS4_3ELNS0_20block_scan_algorithmE0ELj4294967295EEENS1_25partition_config_selectorILNS1_17partition_subalgoE3EjNS0_10empty_typeEbEEZZNS1_14partition_implILS8_3ELb0ES6_jNS0_17counting_iteratorIjlEEPS9_SE_NS0_5tupleIJPjSE_EEENSF_IJSE_SE_EEES9_SG_JZNS1_25segmented_radix_sort_implINS0_14default_configELb0EPK12hip_bfloat16PSL_PKlPlN2at6native12_GLOBAL__N_18offset_tEEE10hipError_tPvRmT1_PNSt15iterator_traitsISZ_E10value_typeET2_T3_PNS10_IS15_E10value_typeET4_jRbjT5_S1B_jjP12ihipStream_tbEUljE_EEESW_SX_SY_S15_S19_S1B_T6_T7_T9_mT8_S1D_bDpT10_ENKUlT_T0_E_clISt17integral_constantIbLb0EES1P_IbLb1EEEEDaS1L_S1M_EUlS1L_E_NS1_11comp_targetILNS1_3genE0ELNS1_11target_archE4294967295ELNS1_3gpuE0ELNS1_3repE0EEENS1_30default_config_static_selectorELNS0_4arch9wavefront6targetE0EEEvSZ_.kd
    .uniform_work_group_size: 1
    .uses_dynamic_stack: false
    .vgpr_count:     0
    .vgpr_spill_count: 0
    .wavefront_size: 32
    .workgroup_processor_mode: 1
  - .args:
      - .offset:         0
        .size:           152
        .value_kind:     by_value
    .group_segment_fixed_size: 0
    .kernarg_segment_align: 8
    .kernarg_segment_size: 152
    .language:       OpenCL C
    .language_version:
      - 2
      - 0
    .max_flat_workgroup_size: 256
    .name:           _ZN7rocprim17ROCPRIM_400000_NS6detail17trampoline_kernelINS0_13select_configILj256ELj13ELNS0_17block_load_methodE3ELS4_3ELS4_3ELNS0_20block_scan_algorithmE0ELj4294967295EEENS1_25partition_config_selectorILNS1_17partition_subalgoE3EjNS0_10empty_typeEbEEZZNS1_14partition_implILS8_3ELb0ES6_jNS0_17counting_iteratorIjlEEPS9_SE_NS0_5tupleIJPjSE_EEENSF_IJSE_SE_EEES9_SG_JZNS1_25segmented_radix_sort_implINS0_14default_configELb0EPK12hip_bfloat16PSL_PKlPlN2at6native12_GLOBAL__N_18offset_tEEE10hipError_tPvRmT1_PNSt15iterator_traitsISZ_E10value_typeET2_T3_PNS10_IS15_E10value_typeET4_jRbjT5_S1B_jjP12ihipStream_tbEUljE_EEESW_SX_SY_S15_S19_S1B_T6_T7_T9_mT8_S1D_bDpT10_ENKUlT_T0_E_clISt17integral_constantIbLb0EES1P_IbLb1EEEEDaS1L_S1M_EUlS1L_E_NS1_11comp_targetILNS1_3genE5ELNS1_11target_archE942ELNS1_3gpuE9ELNS1_3repE0EEENS1_30default_config_static_selectorELNS0_4arch9wavefront6targetE0EEEvSZ_
    .private_segment_fixed_size: 0
    .sgpr_count:     0
    .sgpr_spill_count: 0
    .symbol:         _ZN7rocprim17ROCPRIM_400000_NS6detail17trampoline_kernelINS0_13select_configILj256ELj13ELNS0_17block_load_methodE3ELS4_3ELS4_3ELNS0_20block_scan_algorithmE0ELj4294967295EEENS1_25partition_config_selectorILNS1_17partition_subalgoE3EjNS0_10empty_typeEbEEZZNS1_14partition_implILS8_3ELb0ES6_jNS0_17counting_iteratorIjlEEPS9_SE_NS0_5tupleIJPjSE_EEENSF_IJSE_SE_EEES9_SG_JZNS1_25segmented_radix_sort_implINS0_14default_configELb0EPK12hip_bfloat16PSL_PKlPlN2at6native12_GLOBAL__N_18offset_tEEE10hipError_tPvRmT1_PNSt15iterator_traitsISZ_E10value_typeET2_T3_PNS10_IS15_E10value_typeET4_jRbjT5_S1B_jjP12ihipStream_tbEUljE_EEESW_SX_SY_S15_S19_S1B_T6_T7_T9_mT8_S1D_bDpT10_ENKUlT_T0_E_clISt17integral_constantIbLb0EES1P_IbLb1EEEEDaS1L_S1M_EUlS1L_E_NS1_11comp_targetILNS1_3genE5ELNS1_11target_archE942ELNS1_3gpuE9ELNS1_3repE0EEENS1_30default_config_static_selectorELNS0_4arch9wavefront6targetE0EEEvSZ_.kd
    .uniform_work_group_size: 1
    .uses_dynamic_stack: false
    .vgpr_count:     0
    .vgpr_spill_count: 0
    .wavefront_size: 32
    .workgroup_processor_mode: 1
  - .args:
      - .offset:         0
        .size:           152
        .value_kind:     by_value
    .group_segment_fixed_size: 0
    .kernarg_segment_align: 8
    .kernarg_segment_size: 152
    .language:       OpenCL C
    .language_version:
      - 2
      - 0
    .max_flat_workgroup_size: 256
    .name:           _ZN7rocprim17ROCPRIM_400000_NS6detail17trampoline_kernelINS0_13select_configILj256ELj13ELNS0_17block_load_methodE3ELS4_3ELS4_3ELNS0_20block_scan_algorithmE0ELj4294967295EEENS1_25partition_config_selectorILNS1_17partition_subalgoE3EjNS0_10empty_typeEbEEZZNS1_14partition_implILS8_3ELb0ES6_jNS0_17counting_iteratorIjlEEPS9_SE_NS0_5tupleIJPjSE_EEENSF_IJSE_SE_EEES9_SG_JZNS1_25segmented_radix_sort_implINS0_14default_configELb0EPK12hip_bfloat16PSL_PKlPlN2at6native12_GLOBAL__N_18offset_tEEE10hipError_tPvRmT1_PNSt15iterator_traitsISZ_E10value_typeET2_T3_PNS10_IS15_E10value_typeET4_jRbjT5_S1B_jjP12ihipStream_tbEUljE_EEESW_SX_SY_S15_S19_S1B_T6_T7_T9_mT8_S1D_bDpT10_ENKUlT_T0_E_clISt17integral_constantIbLb0EES1P_IbLb1EEEEDaS1L_S1M_EUlS1L_E_NS1_11comp_targetILNS1_3genE4ELNS1_11target_archE910ELNS1_3gpuE8ELNS1_3repE0EEENS1_30default_config_static_selectorELNS0_4arch9wavefront6targetE0EEEvSZ_
    .private_segment_fixed_size: 0
    .sgpr_count:     0
    .sgpr_spill_count: 0
    .symbol:         _ZN7rocprim17ROCPRIM_400000_NS6detail17trampoline_kernelINS0_13select_configILj256ELj13ELNS0_17block_load_methodE3ELS4_3ELS4_3ELNS0_20block_scan_algorithmE0ELj4294967295EEENS1_25partition_config_selectorILNS1_17partition_subalgoE3EjNS0_10empty_typeEbEEZZNS1_14partition_implILS8_3ELb0ES6_jNS0_17counting_iteratorIjlEEPS9_SE_NS0_5tupleIJPjSE_EEENSF_IJSE_SE_EEES9_SG_JZNS1_25segmented_radix_sort_implINS0_14default_configELb0EPK12hip_bfloat16PSL_PKlPlN2at6native12_GLOBAL__N_18offset_tEEE10hipError_tPvRmT1_PNSt15iterator_traitsISZ_E10value_typeET2_T3_PNS10_IS15_E10value_typeET4_jRbjT5_S1B_jjP12ihipStream_tbEUljE_EEESW_SX_SY_S15_S19_S1B_T6_T7_T9_mT8_S1D_bDpT10_ENKUlT_T0_E_clISt17integral_constantIbLb0EES1P_IbLb1EEEEDaS1L_S1M_EUlS1L_E_NS1_11comp_targetILNS1_3genE4ELNS1_11target_archE910ELNS1_3gpuE8ELNS1_3repE0EEENS1_30default_config_static_selectorELNS0_4arch9wavefront6targetE0EEEvSZ_.kd
    .uniform_work_group_size: 1
    .uses_dynamic_stack: false
    .vgpr_count:     0
    .vgpr_spill_count: 0
    .wavefront_size: 32
    .workgroup_processor_mode: 1
  - .args:
      - .offset:         0
        .size:           152
        .value_kind:     by_value
    .group_segment_fixed_size: 0
    .kernarg_segment_align: 8
    .kernarg_segment_size: 152
    .language:       OpenCL C
    .language_version:
      - 2
      - 0
    .max_flat_workgroup_size: 256
    .name:           _ZN7rocprim17ROCPRIM_400000_NS6detail17trampoline_kernelINS0_13select_configILj256ELj13ELNS0_17block_load_methodE3ELS4_3ELS4_3ELNS0_20block_scan_algorithmE0ELj4294967295EEENS1_25partition_config_selectorILNS1_17partition_subalgoE3EjNS0_10empty_typeEbEEZZNS1_14partition_implILS8_3ELb0ES6_jNS0_17counting_iteratorIjlEEPS9_SE_NS0_5tupleIJPjSE_EEENSF_IJSE_SE_EEES9_SG_JZNS1_25segmented_radix_sort_implINS0_14default_configELb0EPK12hip_bfloat16PSL_PKlPlN2at6native12_GLOBAL__N_18offset_tEEE10hipError_tPvRmT1_PNSt15iterator_traitsISZ_E10value_typeET2_T3_PNS10_IS15_E10value_typeET4_jRbjT5_S1B_jjP12ihipStream_tbEUljE_EEESW_SX_SY_S15_S19_S1B_T6_T7_T9_mT8_S1D_bDpT10_ENKUlT_T0_E_clISt17integral_constantIbLb0EES1P_IbLb1EEEEDaS1L_S1M_EUlS1L_E_NS1_11comp_targetILNS1_3genE3ELNS1_11target_archE908ELNS1_3gpuE7ELNS1_3repE0EEENS1_30default_config_static_selectorELNS0_4arch9wavefront6targetE0EEEvSZ_
    .private_segment_fixed_size: 0
    .sgpr_count:     0
    .sgpr_spill_count: 0
    .symbol:         _ZN7rocprim17ROCPRIM_400000_NS6detail17trampoline_kernelINS0_13select_configILj256ELj13ELNS0_17block_load_methodE3ELS4_3ELS4_3ELNS0_20block_scan_algorithmE0ELj4294967295EEENS1_25partition_config_selectorILNS1_17partition_subalgoE3EjNS0_10empty_typeEbEEZZNS1_14partition_implILS8_3ELb0ES6_jNS0_17counting_iteratorIjlEEPS9_SE_NS0_5tupleIJPjSE_EEENSF_IJSE_SE_EEES9_SG_JZNS1_25segmented_radix_sort_implINS0_14default_configELb0EPK12hip_bfloat16PSL_PKlPlN2at6native12_GLOBAL__N_18offset_tEEE10hipError_tPvRmT1_PNSt15iterator_traitsISZ_E10value_typeET2_T3_PNS10_IS15_E10value_typeET4_jRbjT5_S1B_jjP12ihipStream_tbEUljE_EEESW_SX_SY_S15_S19_S1B_T6_T7_T9_mT8_S1D_bDpT10_ENKUlT_T0_E_clISt17integral_constantIbLb0EES1P_IbLb1EEEEDaS1L_S1M_EUlS1L_E_NS1_11comp_targetILNS1_3genE3ELNS1_11target_archE908ELNS1_3gpuE7ELNS1_3repE0EEENS1_30default_config_static_selectorELNS0_4arch9wavefront6targetE0EEEvSZ_.kd
    .uniform_work_group_size: 1
    .uses_dynamic_stack: false
    .vgpr_count:     0
    .vgpr_spill_count: 0
    .wavefront_size: 32
    .workgroup_processor_mode: 1
  - .args:
      - .offset:         0
        .size:           152
        .value_kind:     by_value
    .group_segment_fixed_size: 0
    .kernarg_segment_align: 8
    .kernarg_segment_size: 152
    .language:       OpenCL C
    .language_version:
      - 2
      - 0
    .max_flat_workgroup_size: 256
    .name:           _ZN7rocprim17ROCPRIM_400000_NS6detail17trampoline_kernelINS0_13select_configILj256ELj13ELNS0_17block_load_methodE3ELS4_3ELS4_3ELNS0_20block_scan_algorithmE0ELj4294967295EEENS1_25partition_config_selectorILNS1_17partition_subalgoE3EjNS0_10empty_typeEbEEZZNS1_14partition_implILS8_3ELb0ES6_jNS0_17counting_iteratorIjlEEPS9_SE_NS0_5tupleIJPjSE_EEENSF_IJSE_SE_EEES9_SG_JZNS1_25segmented_radix_sort_implINS0_14default_configELb0EPK12hip_bfloat16PSL_PKlPlN2at6native12_GLOBAL__N_18offset_tEEE10hipError_tPvRmT1_PNSt15iterator_traitsISZ_E10value_typeET2_T3_PNS10_IS15_E10value_typeET4_jRbjT5_S1B_jjP12ihipStream_tbEUljE_EEESW_SX_SY_S15_S19_S1B_T6_T7_T9_mT8_S1D_bDpT10_ENKUlT_T0_E_clISt17integral_constantIbLb0EES1P_IbLb1EEEEDaS1L_S1M_EUlS1L_E_NS1_11comp_targetILNS1_3genE2ELNS1_11target_archE906ELNS1_3gpuE6ELNS1_3repE0EEENS1_30default_config_static_selectorELNS0_4arch9wavefront6targetE0EEEvSZ_
    .private_segment_fixed_size: 0
    .sgpr_count:     0
    .sgpr_spill_count: 0
    .symbol:         _ZN7rocprim17ROCPRIM_400000_NS6detail17trampoline_kernelINS0_13select_configILj256ELj13ELNS0_17block_load_methodE3ELS4_3ELS4_3ELNS0_20block_scan_algorithmE0ELj4294967295EEENS1_25partition_config_selectorILNS1_17partition_subalgoE3EjNS0_10empty_typeEbEEZZNS1_14partition_implILS8_3ELb0ES6_jNS0_17counting_iteratorIjlEEPS9_SE_NS0_5tupleIJPjSE_EEENSF_IJSE_SE_EEES9_SG_JZNS1_25segmented_radix_sort_implINS0_14default_configELb0EPK12hip_bfloat16PSL_PKlPlN2at6native12_GLOBAL__N_18offset_tEEE10hipError_tPvRmT1_PNSt15iterator_traitsISZ_E10value_typeET2_T3_PNS10_IS15_E10value_typeET4_jRbjT5_S1B_jjP12ihipStream_tbEUljE_EEESW_SX_SY_S15_S19_S1B_T6_T7_T9_mT8_S1D_bDpT10_ENKUlT_T0_E_clISt17integral_constantIbLb0EES1P_IbLb1EEEEDaS1L_S1M_EUlS1L_E_NS1_11comp_targetILNS1_3genE2ELNS1_11target_archE906ELNS1_3gpuE6ELNS1_3repE0EEENS1_30default_config_static_selectorELNS0_4arch9wavefront6targetE0EEEvSZ_.kd
    .uniform_work_group_size: 1
    .uses_dynamic_stack: false
    .vgpr_count:     0
    .vgpr_spill_count: 0
    .wavefront_size: 32
    .workgroup_processor_mode: 1
  - .args:
      - .offset:         0
        .size:           152
        .value_kind:     by_value
    .group_segment_fixed_size: 13320
    .kernarg_segment_align: 8
    .kernarg_segment_size: 152
    .language:       OpenCL C
    .language_version:
      - 2
      - 0
    .max_flat_workgroup_size: 256
    .name:           _ZN7rocprim17ROCPRIM_400000_NS6detail17trampoline_kernelINS0_13select_configILj256ELj13ELNS0_17block_load_methodE3ELS4_3ELS4_3ELNS0_20block_scan_algorithmE0ELj4294967295EEENS1_25partition_config_selectorILNS1_17partition_subalgoE3EjNS0_10empty_typeEbEEZZNS1_14partition_implILS8_3ELb0ES6_jNS0_17counting_iteratorIjlEEPS9_SE_NS0_5tupleIJPjSE_EEENSF_IJSE_SE_EEES9_SG_JZNS1_25segmented_radix_sort_implINS0_14default_configELb0EPK12hip_bfloat16PSL_PKlPlN2at6native12_GLOBAL__N_18offset_tEEE10hipError_tPvRmT1_PNSt15iterator_traitsISZ_E10value_typeET2_T3_PNS10_IS15_E10value_typeET4_jRbjT5_S1B_jjP12ihipStream_tbEUljE_EEESW_SX_SY_S15_S19_S1B_T6_T7_T9_mT8_S1D_bDpT10_ENKUlT_T0_E_clISt17integral_constantIbLb0EES1P_IbLb1EEEEDaS1L_S1M_EUlS1L_E_NS1_11comp_targetILNS1_3genE10ELNS1_11target_archE1200ELNS1_3gpuE4ELNS1_3repE0EEENS1_30default_config_static_selectorELNS0_4arch9wavefront6targetE0EEEvSZ_
    .private_segment_fixed_size: 0
    .sgpr_count:     28
    .sgpr_spill_count: 0
    .symbol:         _ZN7rocprim17ROCPRIM_400000_NS6detail17trampoline_kernelINS0_13select_configILj256ELj13ELNS0_17block_load_methodE3ELS4_3ELS4_3ELNS0_20block_scan_algorithmE0ELj4294967295EEENS1_25partition_config_selectorILNS1_17partition_subalgoE3EjNS0_10empty_typeEbEEZZNS1_14partition_implILS8_3ELb0ES6_jNS0_17counting_iteratorIjlEEPS9_SE_NS0_5tupleIJPjSE_EEENSF_IJSE_SE_EEES9_SG_JZNS1_25segmented_radix_sort_implINS0_14default_configELb0EPK12hip_bfloat16PSL_PKlPlN2at6native12_GLOBAL__N_18offset_tEEE10hipError_tPvRmT1_PNSt15iterator_traitsISZ_E10value_typeET2_T3_PNS10_IS15_E10value_typeET4_jRbjT5_S1B_jjP12ihipStream_tbEUljE_EEESW_SX_SY_S15_S19_S1B_T6_T7_T9_mT8_S1D_bDpT10_ENKUlT_T0_E_clISt17integral_constantIbLb0EES1P_IbLb1EEEEDaS1L_S1M_EUlS1L_E_NS1_11comp_targetILNS1_3genE10ELNS1_11target_archE1200ELNS1_3gpuE4ELNS1_3repE0EEENS1_30default_config_static_selectorELNS0_4arch9wavefront6targetE0EEEvSZ_.kd
    .uniform_work_group_size: 1
    .uses_dynamic_stack: false
    .vgpr_count:     71
    .vgpr_spill_count: 0
    .wavefront_size: 32
    .workgroup_processor_mode: 1
  - .args:
      - .offset:         0
        .size:           152
        .value_kind:     by_value
    .group_segment_fixed_size: 0
    .kernarg_segment_align: 8
    .kernarg_segment_size: 152
    .language:       OpenCL C
    .language_version:
      - 2
      - 0
    .max_flat_workgroup_size: 256
    .name:           _ZN7rocprim17ROCPRIM_400000_NS6detail17trampoline_kernelINS0_13select_configILj256ELj13ELNS0_17block_load_methodE3ELS4_3ELS4_3ELNS0_20block_scan_algorithmE0ELj4294967295EEENS1_25partition_config_selectorILNS1_17partition_subalgoE3EjNS0_10empty_typeEbEEZZNS1_14partition_implILS8_3ELb0ES6_jNS0_17counting_iteratorIjlEEPS9_SE_NS0_5tupleIJPjSE_EEENSF_IJSE_SE_EEES9_SG_JZNS1_25segmented_radix_sort_implINS0_14default_configELb0EPK12hip_bfloat16PSL_PKlPlN2at6native12_GLOBAL__N_18offset_tEEE10hipError_tPvRmT1_PNSt15iterator_traitsISZ_E10value_typeET2_T3_PNS10_IS15_E10value_typeET4_jRbjT5_S1B_jjP12ihipStream_tbEUljE_EEESW_SX_SY_S15_S19_S1B_T6_T7_T9_mT8_S1D_bDpT10_ENKUlT_T0_E_clISt17integral_constantIbLb0EES1P_IbLb1EEEEDaS1L_S1M_EUlS1L_E_NS1_11comp_targetILNS1_3genE9ELNS1_11target_archE1100ELNS1_3gpuE3ELNS1_3repE0EEENS1_30default_config_static_selectorELNS0_4arch9wavefront6targetE0EEEvSZ_
    .private_segment_fixed_size: 0
    .sgpr_count:     0
    .sgpr_spill_count: 0
    .symbol:         _ZN7rocprim17ROCPRIM_400000_NS6detail17trampoline_kernelINS0_13select_configILj256ELj13ELNS0_17block_load_methodE3ELS4_3ELS4_3ELNS0_20block_scan_algorithmE0ELj4294967295EEENS1_25partition_config_selectorILNS1_17partition_subalgoE3EjNS0_10empty_typeEbEEZZNS1_14partition_implILS8_3ELb0ES6_jNS0_17counting_iteratorIjlEEPS9_SE_NS0_5tupleIJPjSE_EEENSF_IJSE_SE_EEES9_SG_JZNS1_25segmented_radix_sort_implINS0_14default_configELb0EPK12hip_bfloat16PSL_PKlPlN2at6native12_GLOBAL__N_18offset_tEEE10hipError_tPvRmT1_PNSt15iterator_traitsISZ_E10value_typeET2_T3_PNS10_IS15_E10value_typeET4_jRbjT5_S1B_jjP12ihipStream_tbEUljE_EEESW_SX_SY_S15_S19_S1B_T6_T7_T9_mT8_S1D_bDpT10_ENKUlT_T0_E_clISt17integral_constantIbLb0EES1P_IbLb1EEEEDaS1L_S1M_EUlS1L_E_NS1_11comp_targetILNS1_3genE9ELNS1_11target_archE1100ELNS1_3gpuE3ELNS1_3repE0EEENS1_30default_config_static_selectorELNS0_4arch9wavefront6targetE0EEEvSZ_.kd
    .uniform_work_group_size: 1
    .uses_dynamic_stack: false
    .vgpr_count:     0
    .vgpr_spill_count: 0
    .wavefront_size: 32
    .workgroup_processor_mode: 1
  - .args:
      - .offset:         0
        .size:           152
        .value_kind:     by_value
    .group_segment_fixed_size: 0
    .kernarg_segment_align: 8
    .kernarg_segment_size: 152
    .language:       OpenCL C
    .language_version:
      - 2
      - 0
    .max_flat_workgroup_size: 256
    .name:           _ZN7rocprim17ROCPRIM_400000_NS6detail17trampoline_kernelINS0_13select_configILj256ELj13ELNS0_17block_load_methodE3ELS4_3ELS4_3ELNS0_20block_scan_algorithmE0ELj4294967295EEENS1_25partition_config_selectorILNS1_17partition_subalgoE3EjNS0_10empty_typeEbEEZZNS1_14partition_implILS8_3ELb0ES6_jNS0_17counting_iteratorIjlEEPS9_SE_NS0_5tupleIJPjSE_EEENSF_IJSE_SE_EEES9_SG_JZNS1_25segmented_radix_sort_implINS0_14default_configELb0EPK12hip_bfloat16PSL_PKlPlN2at6native12_GLOBAL__N_18offset_tEEE10hipError_tPvRmT1_PNSt15iterator_traitsISZ_E10value_typeET2_T3_PNS10_IS15_E10value_typeET4_jRbjT5_S1B_jjP12ihipStream_tbEUljE_EEESW_SX_SY_S15_S19_S1B_T6_T7_T9_mT8_S1D_bDpT10_ENKUlT_T0_E_clISt17integral_constantIbLb0EES1P_IbLb1EEEEDaS1L_S1M_EUlS1L_E_NS1_11comp_targetILNS1_3genE8ELNS1_11target_archE1030ELNS1_3gpuE2ELNS1_3repE0EEENS1_30default_config_static_selectorELNS0_4arch9wavefront6targetE0EEEvSZ_
    .private_segment_fixed_size: 0
    .sgpr_count:     0
    .sgpr_spill_count: 0
    .symbol:         _ZN7rocprim17ROCPRIM_400000_NS6detail17trampoline_kernelINS0_13select_configILj256ELj13ELNS0_17block_load_methodE3ELS4_3ELS4_3ELNS0_20block_scan_algorithmE0ELj4294967295EEENS1_25partition_config_selectorILNS1_17partition_subalgoE3EjNS0_10empty_typeEbEEZZNS1_14partition_implILS8_3ELb0ES6_jNS0_17counting_iteratorIjlEEPS9_SE_NS0_5tupleIJPjSE_EEENSF_IJSE_SE_EEES9_SG_JZNS1_25segmented_radix_sort_implINS0_14default_configELb0EPK12hip_bfloat16PSL_PKlPlN2at6native12_GLOBAL__N_18offset_tEEE10hipError_tPvRmT1_PNSt15iterator_traitsISZ_E10value_typeET2_T3_PNS10_IS15_E10value_typeET4_jRbjT5_S1B_jjP12ihipStream_tbEUljE_EEESW_SX_SY_S15_S19_S1B_T6_T7_T9_mT8_S1D_bDpT10_ENKUlT_T0_E_clISt17integral_constantIbLb0EES1P_IbLb1EEEEDaS1L_S1M_EUlS1L_E_NS1_11comp_targetILNS1_3genE8ELNS1_11target_archE1030ELNS1_3gpuE2ELNS1_3repE0EEENS1_30default_config_static_selectorELNS0_4arch9wavefront6targetE0EEEvSZ_.kd
    .uniform_work_group_size: 1
    .uses_dynamic_stack: false
    .vgpr_count:     0
    .vgpr_spill_count: 0
    .wavefront_size: 32
    .workgroup_processor_mode: 1
  - .args:
      - .offset:         0
        .size:           96
        .value_kind:     by_value
    .group_segment_fixed_size: 0
    .kernarg_segment_align: 8
    .kernarg_segment_size: 96
    .language:       OpenCL C
    .language_version:
      - 2
      - 0
    .max_flat_workgroup_size: 256
    .name:           _ZN7rocprim17ROCPRIM_400000_NS6detail17trampoline_kernelINS0_14default_configENS1_36segmented_radix_sort_config_selectorI12hip_bfloat16lEEZNS1_25segmented_radix_sort_implIS3_Lb0EPKS5_PS5_PKlPlN2at6native12_GLOBAL__N_18offset_tEEE10hipError_tPvRmT1_PNSt15iterator_traitsISL_E10value_typeET2_T3_PNSM_ISR_E10value_typeET4_jRbjT5_SX_jjP12ihipStream_tbEUlT_E_NS1_11comp_targetILNS1_3genE0ELNS1_11target_archE4294967295ELNS1_3gpuE0ELNS1_3repE0EEENS1_30default_config_static_selectorELNS0_4arch9wavefront6targetE0EEEvSL_
    .private_segment_fixed_size: 0
    .sgpr_count:     0
    .sgpr_spill_count: 0
    .symbol:         _ZN7rocprim17ROCPRIM_400000_NS6detail17trampoline_kernelINS0_14default_configENS1_36segmented_radix_sort_config_selectorI12hip_bfloat16lEEZNS1_25segmented_radix_sort_implIS3_Lb0EPKS5_PS5_PKlPlN2at6native12_GLOBAL__N_18offset_tEEE10hipError_tPvRmT1_PNSt15iterator_traitsISL_E10value_typeET2_T3_PNSM_ISR_E10value_typeET4_jRbjT5_SX_jjP12ihipStream_tbEUlT_E_NS1_11comp_targetILNS1_3genE0ELNS1_11target_archE4294967295ELNS1_3gpuE0ELNS1_3repE0EEENS1_30default_config_static_selectorELNS0_4arch9wavefront6targetE0EEEvSL_.kd
    .uniform_work_group_size: 1
    .uses_dynamic_stack: false
    .vgpr_count:     0
    .vgpr_spill_count: 0
    .wavefront_size: 32
    .workgroup_processor_mode: 1
  - .args:
      - .offset:         0
        .size:           96
        .value_kind:     by_value
    .group_segment_fixed_size: 0
    .kernarg_segment_align: 8
    .kernarg_segment_size: 96
    .language:       OpenCL C
    .language_version:
      - 2
      - 0
    .max_flat_workgroup_size: 256
    .name:           _ZN7rocprim17ROCPRIM_400000_NS6detail17trampoline_kernelINS0_14default_configENS1_36segmented_radix_sort_config_selectorI12hip_bfloat16lEEZNS1_25segmented_radix_sort_implIS3_Lb0EPKS5_PS5_PKlPlN2at6native12_GLOBAL__N_18offset_tEEE10hipError_tPvRmT1_PNSt15iterator_traitsISL_E10value_typeET2_T3_PNSM_ISR_E10value_typeET4_jRbjT5_SX_jjP12ihipStream_tbEUlT_E_NS1_11comp_targetILNS1_3genE5ELNS1_11target_archE942ELNS1_3gpuE9ELNS1_3repE0EEENS1_30default_config_static_selectorELNS0_4arch9wavefront6targetE0EEEvSL_
    .private_segment_fixed_size: 0
    .sgpr_count:     0
    .sgpr_spill_count: 0
    .symbol:         _ZN7rocprim17ROCPRIM_400000_NS6detail17trampoline_kernelINS0_14default_configENS1_36segmented_radix_sort_config_selectorI12hip_bfloat16lEEZNS1_25segmented_radix_sort_implIS3_Lb0EPKS5_PS5_PKlPlN2at6native12_GLOBAL__N_18offset_tEEE10hipError_tPvRmT1_PNSt15iterator_traitsISL_E10value_typeET2_T3_PNSM_ISR_E10value_typeET4_jRbjT5_SX_jjP12ihipStream_tbEUlT_E_NS1_11comp_targetILNS1_3genE5ELNS1_11target_archE942ELNS1_3gpuE9ELNS1_3repE0EEENS1_30default_config_static_selectorELNS0_4arch9wavefront6targetE0EEEvSL_.kd
    .uniform_work_group_size: 1
    .uses_dynamic_stack: false
    .vgpr_count:     0
    .vgpr_spill_count: 0
    .wavefront_size: 32
    .workgroup_processor_mode: 1
  - .args:
      - .offset:         0
        .size:           96
        .value_kind:     by_value
    .group_segment_fixed_size: 0
    .kernarg_segment_align: 8
    .kernarg_segment_size: 96
    .language:       OpenCL C
    .language_version:
      - 2
      - 0
    .max_flat_workgroup_size: 256
    .name:           _ZN7rocprim17ROCPRIM_400000_NS6detail17trampoline_kernelINS0_14default_configENS1_36segmented_radix_sort_config_selectorI12hip_bfloat16lEEZNS1_25segmented_radix_sort_implIS3_Lb0EPKS5_PS5_PKlPlN2at6native12_GLOBAL__N_18offset_tEEE10hipError_tPvRmT1_PNSt15iterator_traitsISL_E10value_typeET2_T3_PNSM_ISR_E10value_typeET4_jRbjT5_SX_jjP12ihipStream_tbEUlT_E_NS1_11comp_targetILNS1_3genE4ELNS1_11target_archE910ELNS1_3gpuE8ELNS1_3repE0EEENS1_30default_config_static_selectorELNS0_4arch9wavefront6targetE0EEEvSL_
    .private_segment_fixed_size: 0
    .sgpr_count:     0
    .sgpr_spill_count: 0
    .symbol:         _ZN7rocprim17ROCPRIM_400000_NS6detail17trampoline_kernelINS0_14default_configENS1_36segmented_radix_sort_config_selectorI12hip_bfloat16lEEZNS1_25segmented_radix_sort_implIS3_Lb0EPKS5_PS5_PKlPlN2at6native12_GLOBAL__N_18offset_tEEE10hipError_tPvRmT1_PNSt15iterator_traitsISL_E10value_typeET2_T3_PNSM_ISR_E10value_typeET4_jRbjT5_SX_jjP12ihipStream_tbEUlT_E_NS1_11comp_targetILNS1_3genE4ELNS1_11target_archE910ELNS1_3gpuE8ELNS1_3repE0EEENS1_30default_config_static_selectorELNS0_4arch9wavefront6targetE0EEEvSL_.kd
    .uniform_work_group_size: 1
    .uses_dynamic_stack: false
    .vgpr_count:     0
    .vgpr_spill_count: 0
    .wavefront_size: 32
    .workgroup_processor_mode: 1
  - .args:
      - .offset:         0
        .size:           96
        .value_kind:     by_value
    .group_segment_fixed_size: 0
    .kernarg_segment_align: 8
    .kernarg_segment_size: 96
    .language:       OpenCL C
    .language_version:
      - 2
      - 0
    .max_flat_workgroup_size: 256
    .name:           _ZN7rocprim17ROCPRIM_400000_NS6detail17trampoline_kernelINS0_14default_configENS1_36segmented_radix_sort_config_selectorI12hip_bfloat16lEEZNS1_25segmented_radix_sort_implIS3_Lb0EPKS5_PS5_PKlPlN2at6native12_GLOBAL__N_18offset_tEEE10hipError_tPvRmT1_PNSt15iterator_traitsISL_E10value_typeET2_T3_PNSM_ISR_E10value_typeET4_jRbjT5_SX_jjP12ihipStream_tbEUlT_E_NS1_11comp_targetILNS1_3genE3ELNS1_11target_archE908ELNS1_3gpuE7ELNS1_3repE0EEENS1_30default_config_static_selectorELNS0_4arch9wavefront6targetE0EEEvSL_
    .private_segment_fixed_size: 0
    .sgpr_count:     0
    .sgpr_spill_count: 0
    .symbol:         _ZN7rocprim17ROCPRIM_400000_NS6detail17trampoline_kernelINS0_14default_configENS1_36segmented_radix_sort_config_selectorI12hip_bfloat16lEEZNS1_25segmented_radix_sort_implIS3_Lb0EPKS5_PS5_PKlPlN2at6native12_GLOBAL__N_18offset_tEEE10hipError_tPvRmT1_PNSt15iterator_traitsISL_E10value_typeET2_T3_PNSM_ISR_E10value_typeET4_jRbjT5_SX_jjP12ihipStream_tbEUlT_E_NS1_11comp_targetILNS1_3genE3ELNS1_11target_archE908ELNS1_3gpuE7ELNS1_3repE0EEENS1_30default_config_static_selectorELNS0_4arch9wavefront6targetE0EEEvSL_.kd
    .uniform_work_group_size: 1
    .uses_dynamic_stack: false
    .vgpr_count:     0
    .vgpr_spill_count: 0
    .wavefront_size: 32
    .workgroup_processor_mode: 1
  - .args:
      - .offset:         0
        .size:           96
        .value_kind:     by_value
    .group_segment_fixed_size: 0
    .kernarg_segment_align: 8
    .kernarg_segment_size: 96
    .language:       OpenCL C
    .language_version:
      - 2
      - 0
    .max_flat_workgroup_size: 256
    .name:           _ZN7rocprim17ROCPRIM_400000_NS6detail17trampoline_kernelINS0_14default_configENS1_36segmented_radix_sort_config_selectorI12hip_bfloat16lEEZNS1_25segmented_radix_sort_implIS3_Lb0EPKS5_PS5_PKlPlN2at6native12_GLOBAL__N_18offset_tEEE10hipError_tPvRmT1_PNSt15iterator_traitsISL_E10value_typeET2_T3_PNSM_ISR_E10value_typeET4_jRbjT5_SX_jjP12ihipStream_tbEUlT_E_NS1_11comp_targetILNS1_3genE2ELNS1_11target_archE906ELNS1_3gpuE6ELNS1_3repE0EEENS1_30default_config_static_selectorELNS0_4arch9wavefront6targetE0EEEvSL_
    .private_segment_fixed_size: 0
    .sgpr_count:     0
    .sgpr_spill_count: 0
    .symbol:         _ZN7rocprim17ROCPRIM_400000_NS6detail17trampoline_kernelINS0_14default_configENS1_36segmented_radix_sort_config_selectorI12hip_bfloat16lEEZNS1_25segmented_radix_sort_implIS3_Lb0EPKS5_PS5_PKlPlN2at6native12_GLOBAL__N_18offset_tEEE10hipError_tPvRmT1_PNSt15iterator_traitsISL_E10value_typeET2_T3_PNSM_ISR_E10value_typeET4_jRbjT5_SX_jjP12ihipStream_tbEUlT_E_NS1_11comp_targetILNS1_3genE2ELNS1_11target_archE906ELNS1_3gpuE6ELNS1_3repE0EEENS1_30default_config_static_selectorELNS0_4arch9wavefront6targetE0EEEvSL_.kd
    .uniform_work_group_size: 1
    .uses_dynamic_stack: false
    .vgpr_count:     0
    .vgpr_spill_count: 0
    .wavefront_size: 32
    .workgroup_processor_mode: 1
  - .args:
      - .offset:         0
        .size:           96
        .value_kind:     by_value
      - .offset:         96
        .size:           4
        .value_kind:     hidden_block_count_x
      - .offset:         100
        .size:           4
        .value_kind:     hidden_block_count_y
      - .offset:         104
        .size:           4
        .value_kind:     hidden_block_count_z
      - .offset:         108
        .size:           2
        .value_kind:     hidden_group_size_x
      - .offset:         110
        .size:           2
        .value_kind:     hidden_group_size_y
      - .offset:         112
        .size:           2
        .value_kind:     hidden_group_size_z
      - .offset:         114
        .size:           2
        .value_kind:     hidden_remainder_x
      - .offset:         116
        .size:           2
        .value_kind:     hidden_remainder_y
      - .offset:         118
        .size:           2
        .value_kind:     hidden_remainder_z
      - .offset:         136
        .size:           8
        .value_kind:     hidden_global_offset_x
      - .offset:         144
        .size:           8
        .value_kind:     hidden_global_offset_y
      - .offset:         152
        .size:           8
        .value_kind:     hidden_global_offset_z
      - .offset:         160
        .size:           2
        .value_kind:     hidden_grid_dims
    .group_segment_fixed_size: 17440
    .kernarg_segment_align: 8
    .kernarg_segment_size: 352
    .language:       OpenCL C
    .language_version:
      - 2
      - 0
    .max_flat_workgroup_size: 256
    .name:           _ZN7rocprim17ROCPRIM_400000_NS6detail17trampoline_kernelINS0_14default_configENS1_36segmented_radix_sort_config_selectorI12hip_bfloat16lEEZNS1_25segmented_radix_sort_implIS3_Lb0EPKS5_PS5_PKlPlN2at6native12_GLOBAL__N_18offset_tEEE10hipError_tPvRmT1_PNSt15iterator_traitsISL_E10value_typeET2_T3_PNSM_ISR_E10value_typeET4_jRbjT5_SX_jjP12ihipStream_tbEUlT_E_NS1_11comp_targetILNS1_3genE10ELNS1_11target_archE1201ELNS1_3gpuE5ELNS1_3repE0EEENS1_30default_config_static_selectorELNS0_4arch9wavefront6targetE0EEEvSL_
    .private_segment_fixed_size: 0
    .sgpr_count:     52
    .sgpr_spill_count: 0
    .symbol:         _ZN7rocprim17ROCPRIM_400000_NS6detail17trampoline_kernelINS0_14default_configENS1_36segmented_radix_sort_config_selectorI12hip_bfloat16lEEZNS1_25segmented_radix_sort_implIS3_Lb0EPKS5_PS5_PKlPlN2at6native12_GLOBAL__N_18offset_tEEE10hipError_tPvRmT1_PNSt15iterator_traitsISL_E10value_typeET2_T3_PNSM_ISR_E10value_typeET4_jRbjT5_SX_jjP12ihipStream_tbEUlT_E_NS1_11comp_targetILNS1_3genE10ELNS1_11target_archE1201ELNS1_3gpuE5ELNS1_3repE0EEENS1_30default_config_static_selectorELNS0_4arch9wavefront6targetE0EEEvSL_.kd
    .uniform_work_group_size: 1
    .uses_dynamic_stack: false
    .vgpr_count:     198
    .vgpr_spill_count: 0
    .wavefront_size: 32
    .workgroup_processor_mode: 1
  - .args:
      - .offset:         0
        .size:           96
        .value_kind:     by_value
    .group_segment_fixed_size: 0
    .kernarg_segment_align: 8
    .kernarg_segment_size: 96
    .language:       OpenCL C
    .language_version:
      - 2
      - 0
    .max_flat_workgroup_size: 128
    .name:           _ZN7rocprim17ROCPRIM_400000_NS6detail17trampoline_kernelINS0_14default_configENS1_36segmented_radix_sort_config_selectorI12hip_bfloat16lEEZNS1_25segmented_radix_sort_implIS3_Lb0EPKS5_PS5_PKlPlN2at6native12_GLOBAL__N_18offset_tEEE10hipError_tPvRmT1_PNSt15iterator_traitsISL_E10value_typeET2_T3_PNSM_ISR_E10value_typeET4_jRbjT5_SX_jjP12ihipStream_tbEUlT_E_NS1_11comp_targetILNS1_3genE10ELNS1_11target_archE1200ELNS1_3gpuE4ELNS1_3repE0EEENS1_30default_config_static_selectorELNS0_4arch9wavefront6targetE0EEEvSL_
    .private_segment_fixed_size: 0
    .sgpr_count:     0
    .sgpr_spill_count: 0
    .symbol:         _ZN7rocprim17ROCPRIM_400000_NS6detail17trampoline_kernelINS0_14default_configENS1_36segmented_radix_sort_config_selectorI12hip_bfloat16lEEZNS1_25segmented_radix_sort_implIS3_Lb0EPKS5_PS5_PKlPlN2at6native12_GLOBAL__N_18offset_tEEE10hipError_tPvRmT1_PNSt15iterator_traitsISL_E10value_typeET2_T3_PNSM_ISR_E10value_typeET4_jRbjT5_SX_jjP12ihipStream_tbEUlT_E_NS1_11comp_targetILNS1_3genE10ELNS1_11target_archE1200ELNS1_3gpuE4ELNS1_3repE0EEENS1_30default_config_static_selectorELNS0_4arch9wavefront6targetE0EEEvSL_.kd
    .uniform_work_group_size: 1
    .uses_dynamic_stack: false
    .vgpr_count:     0
    .vgpr_spill_count: 0
    .wavefront_size: 32
    .workgroup_processor_mode: 1
  - .args:
      - .offset:         0
        .size:           96
        .value_kind:     by_value
    .group_segment_fixed_size: 0
    .kernarg_segment_align: 8
    .kernarg_segment_size: 96
    .language:       OpenCL C
    .language_version:
      - 2
      - 0
    .max_flat_workgroup_size: 256
    .name:           _ZN7rocprim17ROCPRIM_400000_NS6detail17trampoline_kernelINS0_14default_configENS1_36segmented_radix_sort_config_selectorI12hip_bfloat16lEEZNS1_25segmented_radix_sort_implIS3_Lb0EPKS5_PS5_PKlPlN2at6native12_GLOBAL__N_18offset_tEEE10hipError_tPvRmT1_PNSt15iterator_traitsISL_E10value_typeET2_T3_PNSM_ISR_E10value_typeET4_jRbjT5_SX_jjP12ihipStream_tbEUlT_E_NS1_11comp_targetILNS1_3genE9ELNS1_11target_archE1100ELNS1_3gpuE3ELNS1_3repE0EEENS1_30default_config_static_selectorELNS0_4arch9wavefront6targetE0EEEvSL_
    .private_segment_fixed_size: 0
    .sgpr_count:     0
    .sgpr_spill_count: 0
    .symbol:         _ZN7rocprim17ROCPRIM_400000_NS6detail17trampoline_kernelINS0_14default_configENS1_36segmented_radix_sort_config_selectorI12hip_bfloat16lEEZNS1_25segmented_radix_sort_implIS3_Lb0EPKS5_PS5_PKlPlN2at6native12_GLOBAL__N_18offset_tEEE10hipError_tPvRmT1_PNSt15iterator_traitsISL_E10value_typeET2_T3_PNSM_ISR_E10value_typeET4_jRbjT5_SX_jjP12ihipStream_tbEUlT_E_NS1_11comp_targetILNS1_3genE9ELNS1_11target_archE1100ELNS1_3gpuE3ELNS1_3repE0EEENS1_30default_config_static_selectorELNS0_4arch9wavefront6targetE0EEEvSL_.kd
    .uniform_work_group_size: 1
    .uses_dynamic_stack: false
    .vgpr_count:     0
    .vgpr_spill_count: 0
    .wavefront_size: 32
    .workgroup_processor_mode: 1
  - .args:
      - .offset:         0
        .size:           96
        .value_kind:     by_value
    .group_segment_fixed_size: 0
    .kernarg_segment_align: 8
    .kernarg_segment_size: 96
    .language:       OpenCL C
    .language_version:
      - 2
      - 0
    .max_flat_workgroup_size: 256
    .name:           _ZN7rocprim17ROCPRIM_400000_NS6detail17trampoline_kernelINS0_14default_configENS1_36segmented_radix_sort_config_selectorI12hip_bfloat16lEEZNS1_25segmented_radix_sort_implIS3_Lb0EPKS5_PS5_PKlPlN2at6native12_GLOBAL__N_18offset_tEEE10hipError_tPvRmT1_PNSt15iterator_traitsISL_E10value_typeET2_T3_PNSM_ISR_E10value_typeET4_jRbjT5_SX_jjP12ihipStream_tbEUlT_E_NS1_11comp_targetILNS1_3genE8ELNS1_11target_archE1030ELNS1_3gpuE2ELNS1_3repE0EEENS1_30default_config_static_selectorELNS0_4arch9wavefront6targetE0EEEvSL_
    .private_segment_fixed_size: 0
    .sgpr_count:     0
    .sgpr_spill_count: 0
    .symbol:         _ZN7rocprim17ROCPRIM_400000_NS6detail17trampoline_kernelINS0_14default_configENS1_36segmented_radix_sort_config_selectorI12hip_bfloat16lEEZNS1_25segmented_radix_sort_implIS3_Lb0EPKS5_PS5_PKlPlN2at6native12_GLOBAL__N_18offset_tEEE10hipError_tPvRmT1_PNSt15iterator_traitsISL_E10value_typeET2_T3_PNSM_ISR_E10value_typeET4_jRbjT5_SX_jjP12ihipStream_tbEUlT_E_NS1_11comp_targetILNS1_3genE8ELNS1_11target_archE1030ELNS1_3gpuE2ELNS1_3repE0EEENS1_30default_config_static_selectorELNS0_4arch9wavefront6targetE0EEEvSL_.kd
    .uniform_work_group_size: 1
    .uses_dynamic_stack: false
    .vgpr_count:     0
    .vgpr_spill_count: 0
    .wavefront_size: 32
    .workgroup_processor_mode: 1
  - .args:
      - .offset:         0
        .size:           88
        .value_kind:     by_value
    .group_segment_fixed_size: 0
    .kernarg_segment_align: 8
    .kernarg_segment_size: 88
    .language:       OpenCL C
    .language_version:
      - 2
      - 0
    .max_flat_workgroup_size: 256
    .name:           _ZN7rocprim17ROCPRIM_400000_NS6detail17trampoline_kernelINS0_14default_configENS1_36segmented_radix_sort_config_selectorI12hip_bfloat16lEEZNS1_25segmented_radix_sort_implIS3_Lb0EPKS5_PS5_PKlPlN2at6native12_GLOBAL__N_18offset_tEEE10hipError_tPvRmT1_PNSt15iterator_traitsISL_E10value_typeET2_T3_PNSM_ISR_E10value_typeET4_jRbjT5_SX_jjP12ihipStream_tbEUlT_E0_NS1_11comp_targetILNS1_3genE0ELNS1_11target_archE4294967295ELNS1_3gpuE0ELNS1_3repE0EEENS1_60segmented_radix_sort_warp_sort_medium_config_static_selectorELNS0_4arch9wavefront6targetE0EEEvSL_
    .private_segment_fixed_size: 0
    .sgpr_count:     0
    .sgpr_spill_count: 0
    .symbol:         _ZN7rocprim17ROCPRIM_400000_NS6detail17trampoline_kernelINS0_14default_configENS1_36segmented_radix_sort_config_selectorI12hip_bfloat16lEEZNS1_25segmented_radix_sort_implIS3_Lb0EPKS5_PS5_PKlPlN2at6native12_GLOBAL__N_18offset_tEEE10hipError_tPvRmT1_PNSt15iterator_traitsISL_E10value_typeET2_T3_PNSM_ISR_E10value_typeET4_jRbjT5_SX_jjP12ihipStream_tbEUlT_E0_NS1_11comp_targetILNS1_3genE0ELNS1_11target_archE4294967295ELNS1_3gpuE0ELNS1_3repE0EEENS1_60segmented_radix_sort_warp_sort_medium_config_static_selectorELNS0_4arch9wavefront6targetE0EEEvSL_.kd
    .uniform_work_group_size: 1
    .uses_dynamic_stack: false
    .vgpr_count:     0
    .vgpr_spill_count: 0
    .wavefront_size: 32
    .workgroup_processor_mode: 1
  - .args:
      - .offset:         0
        .size:           88
        .value_kind:     by_value
    .group_segment_fixed_size: 0
    .kernarg_segment_align: 8
    .kernarg_segment_size: 88
    .language:       OpenCL C
    .language_version:
      - 2
      - 0
    .max_flat_workgroup_size: 256
    .name:           _ZN7rocprim17ROCPRIM_400000_NS6detail17trampoline_kernelINS0_14default_configENS1_36segmented_radix_sort_config_selectorI12hip_bfloat16lEEZNS1_25segmented_radix_sort_implIS3_Lb0EPKS5_PS5_PKlPlN2at6native12_GLOBAL__N_18offset_tEEE10hipError_tPvRmT1_PNSt15iterator_traitsISL_E10value_typeET2_T3_PNSM_ISR_E10value_typeET4_jRbjT5_SX_jjP12ihipStream_tbEUlT_E0_NS1_11comp_targetILNS1_3genE5ELNS1_11target_archE942ELNS1_3gpuE9ELNS1_3repE0EEENS1_60segmented_radix_sort_warp_sort_medium_config_static_selectorELNS0_4arch9wavefront6targetE0EEEvSL_
    .private_segment_fixed_size: 0
    .sgpr_count:     0
    .sgpr_spill_count: 0
    .symbol:         _ZN7rocprim17ROCPRIM_400000_NS6detail17trampoline_kernelINS0_14default_configENS1_36segmented_radix_sort_config_selectorI12hip_bfloat16lEEZNS1_25segmented_radix_sort_implIS3_Lb0EPKS5_PS5_PKlPlN2at6native12_GLOBAL__N_18offset_tEEE10hipError_tPvRmT1_PNSt15iterator_traitsISL_E10value_typeET2_T3_PNSM_ISR_E10value_typeET4_jRbjT5_SX_jjP12ihipStream_tbEUlT_E0_NS1_11comp_targetILNS1_3genE5ELNS1_11target_archE942ELNS1_3gpuE9ELNS1_3repE0EEENS1_60segmented_radix_sort_warp_sort_medium_config_static_selectorELNS0_4arch9wavefront6targetE0EEEvSL_.kd
    .uniform_work_group_size: 1
    .uses_dynamic_stack: false
    .vgpr_count:     0
    .vgpr_spill_count: 0
    .wavefront_size: 32
    .workgroup_processor_mode: 1
  - .args:
      - .offset:         0
        .size:           88
        .value_kind:     by_value
    .group_segment_fixed_size: 0
    .kernarg_segment_align: 8
    .kernarg_segment_size: 88
    .language:       OpenCL C
    .language_version:
      - 2
      - 0
    .max_flat_workgroup_size: 256
    .name:           _ZN7rocprim17ROCPRIM_400000_NS6detail17trampoline_kernelINS0_14default_configENS1_36segmented_radix_sort_config_selectorI12hip_bfloat16lEEZNS1_25segmented_radix_sort_implIS3_Lb0EPKS5_PS5_PKlPlN2at6native12_GLOBAL__N_18offset_tEEE10hipError_tPvRmT1_PNSt15iterator_traitsISL_E10value_typeET2_T3_PNSM_ISR_E10value_typeET4_jRbjT5_SX_jjP12ihipStream_tbEUlT_E0_NS1_11comp_targetILNS1_3genE4ELNS1_11target_archE910ELNS1_3gpuE8ELNS1_3repE0EEENS1_60segmented_radix_sort_warp_sort_medium_config_static_selectorELNS0_4arch9wavefront6targetE0EEEvSL_
    .private_segment_fixed_size: 0
    .sgpr_count:     0
    .sgpr_spill_count: 0
    .symbol:         _ZN7rocprim17ROCPRIM_400000_NS6detail17trampoline_kernelINS0_14default_configENS1_36segmented_radix_sort_config_selectorI12hip_bfloat16lEEZNS1_25segmented_radix_sort_implIS3_Lb0EPKS5_PS5_PKlPlN2at6native12_GLOBAL__N_18offset_tEEE10hipError_tPvRmT1_PNSt15iterator_traitsISL_E10value_typeET2_T3_PNSM_ISR_E10value_typeET4_jRbjT5_SX_jjP12ihipStream_tbEUlT_E0_NS1_11comp_targetILNS1_3genE4ELNS1_11target_archE910ELNS1_3gpuE8ELNS1_3repE0EEENS1_60segmented_radix_sort_warp_sort_medium_config_static_selectorELNS0_4arch9wavefront6targetE0EEEvSL_.kd
    .uniform_work_group_size: 1
    .uses_dynamic_stack: false
    .vgpr_count:     0
    .vgpr_spill_count: 0
    .wavefront_size: 32
    .workgroup_processor_mode: 1
  - .args:
      - .offset:         0
        .size:           88
        .value_kind:     by_value
    .group_segment_fixed_size: 0
    .kernarg_segment_align: 8
    .kernarg_segment_size: 88
    .language:       OpenCL C
    .language_version:
      - 2
      - 0
    .max_flat_workgroup_size: 256
    .name:           _ZN7rocprim17ROCPRIM_400000_NS6detail17trampoline_kernelINS0_14default_configENS1_36segmented_radix_sort_config_selectorI12hip_bfloat16lEEZNS1_25segmented_radix_sort_implIS3_Lb0EPKS5_PS5_PKlPlN2at6native12_GLOBAL__N_18offset_tEEE10hipError_tPvRmT1_PNSt15iterator_traitsISL_E10value_typeET2_T3_PNSM_ISR_E10value_typeET4_jRbjT5_SX_jjP12ihipStream_tbEUlT_E0_NS1_11comp_targetILNS1_3genE3ELNS1_11target_archE908ELNS1_3gpuE7ELNS1_3repE0EEENS1_60segmented_radix_sort_warp_sort_medium_config_static_selectorELNS0_4arch9wavefront6targetE0EEEvSL_
    .private_segment_fixed_size: 0
    .sgpr_count:     0
    .sgpr_spill_count: 0
    .symbol:         _ZN7rocprim17ROCPRIM_400000_NS6detail17trampoline_kernelINS0_14default_configENS1_36segmented_radix_sort_config_selectorI12hip_bfloat16lEEZNS1_25segmented_radix_sort_implIS3_Lb0EPKS5_PS5_PKlPlN2at6native12_GLOBAL__N_18offset_tEEE10hipError_tPvRmT1_PNSt15iterator_traitsISL_E10value_typeET2_T3_PNSM_ISR_E10value_typeET4_jRbjT5_SX_jjP12ihipStream_tbEUlT_E0_NS1_11comp_targetILNS1_3genE3ELNS1_11target_archE908ELNS1_3gpuE7ELNS1_3repE0EEENS1_60segmented_radix_sort_warp_sort_medium_config_static_selectorELNS0_4arch9wavefront6targetE0EEEvSL_.kd
    .uniform_work_group_size: 1
    .uses_dynamic_stack: false
    .vgpr_count:     0
    .vgpr_spill_count: 0
    .wavefront_size: 32
    .workgroup_processor_mode: 1
  - .args:
      - .offset:         0
        .size:           88
        .value_kind:     by_value
    .group_segment_fixed_size: 0
    .kernarg_segment_align: 8
    .kernarg_segment_size: 88
    .language:       OpenCL C
    .language_version:
      - 2
      - 0
    .max_flat_workgroup_size: 256
    .name:           _ZN7rocprim17ROCPRIM_400000_NS6detail17trampoline_kernelINS0_14default_configENS1_36segmented_radix_sort_config_selectorI12hip_bfloat16lEEZNS1_25segmented_radix_sort_implIS3_Lb0EPKS5_PS5_PKlPlN2at6native12_GLOBAL__N_18offset_tEEE10hipError_tPvRmT1_PNSt15iterator_traitsISL_E10value_typeET2_T3_PNSM_ISR_E10value_typeET4_jRbjT5_SX_jjP12ihipStream_tbEUlT_E0_NS1_11comp_targetILNS1_3genE2ELNS1_11target_archE906ELNS1_3gpuE6ELNS1_3repE0EEENS1_60segmented_radix_sort_warp_sort_medium_config_static_selectorELNS0_4arch9wavefront6targetE0EEEvSL_
    .private_segment_fixed_size: 0
    .sgpr_count:     0
    .sgpr_spill_count: 0
    .symbol:         _ZN7rocprim17ROCPRIM_400000_NS6detail17trampoline_kernelINS0_14default_configENS1_36segmented_radix_sort_config_selectorI12hip_bfloat16lEEZNS1_25segmented_radix_sort_implIS3_Lb0EPKS5_PS5_PKlPlN2at6native12_GLOBAL__N_18offset_tEEE10hipError_tPvRmT1_PNSt15iterator_traitsISL_E10value_typeET2_T3_PNSM_ISR_E10value_typeET4_jRbjT5_SX_jjP12ihipStream_tbEUlT_E0_NS1_11comp_targetILNS1_3genE2ELNS1_11target_archE906ELNS1_3gpuE6ELNS1_3repE0EEENS1_60segmented_radix_sort_warp_sort_medium_config_static_selectorELNS0_4arch9wavefront6targetE0EEEvSL_.kd
    .uniform_work_group_size: 1
    .uses_dynamic_stack: false
    .vgpr_count:     0
    .vgpr_spill_count: 0
    .wavefront_size: 32
    .workgroup_processor_mode: 1
  - .args:
      - .offset:         0
        .size:           88
        .value_kind:     by_value
      - .offset:         88
        .size:           4
        .value_kind:     hidden_block_count_x
      - .offset:         92
        .size:           4
        .value_kind:     hidden_block_count_y
      - .offset:         96
        .size:           4
        .value_kind:     hidden_block_count_z
      - .offset:         100
        .size:           2
        .value_kind:     hidden_group_size_x
      - .offset:         102
        .size:           2
        .value_kind:     hidden_group_size_y
      - .offset:         104
        .size:           2
        .value_kind:     hidden_group_size_z
      - .offset:         106
        .size:           2
        .value_kind:     hidden_remainder_x
      - .offset:         108
        .size:           2
        .value_kind:     hidden_remainder_y
      - .offset:         110
        .size:           2
        .value_kind:     hidden_remainder_z
      - .offset:         128
        .size:           8
        .value_kind:     hidden_global_offset_x
      - .offset:         136
        .size:           8
        .value_kind:     hidden_global_offset_y
      - .offset:         144
        .size:           8
        .value_kind:     hidden_global_offset_z
      - .offset:         152
        .size:           2
        .value_kind:     hidden_grid_dims
    .group_segment_fixed_size: 20480
    .kernarg_segment_align: 8
    .kernarg_segment_size: 344
    .language:       OpenCL C
    .language_version:
      - 2
      - 0
    .max_flat_workgroup_size: 256
    .name:           _ZN7rocprim17ROCPRIM_400000_NS6detail17trampoline_kernelINS0_14default_configENS1_36segmented_radix_sort_config_selectorI12hip_bfloat16lEEZNS1_25segmented_radix_sort_implIS3_Lb0EPKS5_PS5_PKlPlN2at6native12_GLOBAL__N_18offset_tEEE10hipError_tPvRmT1_PNSt15iterator_traitsISL_E10value_typeET2_T3_PNSM_ISR_E10value_typeET4_jRbjT5_SX_jjP12ihipStream_tbEUlT_E0_NS1_11comp_targetILNS1_3genE10ELNS1_11target_archE1201ELNS1_3gpuE5ELNS1_3repE0EEENS1_60segmented_radix_sort_warp_sort_medium_config_static_selectorELNS0_4arch9wavefront6targetE0EEEvSL_
    .private_segment_fixed_size: 0
    .sgpr_count:     46
    .sgpr_spill_count: 0
    .symbol:         _ZN7rocprim17ROCPRIM_400000_NS6detail17trampoline_kernelINS0_14default_configENS1_36segmented_radix_sort_config_selectorI12hip_bfloat16lEEZNS1_25segmented_radix_sort_implIS3_Lb0EPKS5_PS5_PKlPlN2at6native12_GLOBAL__N_18offset_tEEE10hipError_tPvRmT1_PNSt15iterator_traitsISL_E10value_typeET2_T3_PNSM_ISR_E10value_typeET4_jRbjT5_SX_jjP12ihipStream_tbEUlT_E0_NS1_11comp_targetILNS1_3genE10ELNS1_11target_archE1201ELNS1_3gpuE5ELNS1_3repE0EEENS1_60segmented_radix_sort_warp_sort_medium_config_static_selectorELNS0_4arch9wavefront6targetE0EEEvSL_.kd
    .uniform_work_group_size: 1
    .uses_dynamic_stack: false
    .vgpr_count:     81
    .vgpr_spill_count: 0
    .wavefront_size: 32
    .workgroup_processor_mode: 1
  - .args:
      - .offset:         0
        .size:           88
        .value_kind:     by_value
    .group_segment_fixed_size: 0
    .kernarg_segment_align: 8
    .kernarg_segment_size: 88
    .language:       OpenCL C
    .language_version:
      - 2
      - 0
    .max_flat_workgroup_size: 256
    .name:           _ZN7rocprim17ROCPRIM_400000_NS6detail17trampoline_kernelINS0_14default_configENS1_36segmented_radix_sort_config_selectorI12hip_bfloat16lEEZNS1_25segmented_radix_sort_implIS3_Lb0EPKS5_PS5_PKlPlN2at6native12_GLOBAL__N_18offset_tEEE10hipError_tPvRmT1_PNSt15iterator_traitsISL_E10value_typeET2_T3_PNSM_ISR_E10value_typeET4_jRbjT5_SX_jjP12ihipStream_tbEUlT_E0_NS1_11comp_targetILNS1_3genE10ELNS1_11target_archE1200ELNS1_3gpuE4ELNS1_3repE0EEENS1_60segmented_radix_sort_warp_sort_medium_config_static_selectorELNS0_4arch9wavefront6targetE0EEEvSL_
    .private_segment_fixed_size: 0
    .sgpr_count:     0
    .sgpr_spill_count: 0
    .symbol:         _ZN7rocprim17ROCPRIM_400000_NS6detail17trampoline_kernelINS0_14default_configENS1_36segmented_radix_sort_config_selectorI12hip_bfloat16lEEZNS1_25segmented_radix_sort_implIS3_Lb0EPKS5_PS5_PKlPlN2at6native12_GLOBAL__N_18offset_tEEE10hipError_tPvRmT1_PNSt15iterator_traitsISL_E10value_typeET2_T3_PNSM_ISR_E10value_typeET4_jRbjT5_SX_jjP12ihipStream_tbEUlT_E0_NS1_11comp_targetILNS1_3genE10ELNS1_11target_archE1200ELNS1_3gpuE4ELNS1_3repE0EEENS1_60segmented_radix_sort_warp_sort_medium_config_static_selectorELNS0_4arch9wavefront6targetE0EEEvSL_.kd
    .uniform_work_group_size: 1
    .uses_dynamic_stack: false
    .vgpr_count:     0
    .vgpr_spill_count: 0
    .wavefront_size: 32
    .workgroup_processor_mode: 1
  - .args:
      - .offset:         0
        .size:           88
        .value_kind:     by_value
    .group_segment_fixed_size: 0
    .kernarg_segment_align: 8
    .kernarg_segment_size: 88
    .language:       OpenCL C
    .language_version:
      - 2
      - 0
    .max_flat_workgroup_size: 256
    .name:           _ZN7rocprim17ROCPRIM_400000_NS6detail17trampoline_kernelINS0_14default_configENS1_36segmented_radix_sort_config_selectorI12hip_bfloat16lEEZNS1_25segmented_radix_sort_implIS3_Lb0EPKS5_PS5_PKlPlN2at6native12_GLOBAL__N_18offset_tEEE10hipError_tPvRmT1_PNSt15iterator_traitsISL_E10value_typeET2_T3_PNSM_ISR_E10value_typeET4_jRbjT5_SX_jjP12ihipStream_tbEUlT_E0_NS1_11comp_targetILNS1_3genE9ELNS1_11target_archE1100ELNS1_3gpuE3ELNS1_3repE0EEENS1_60segmented_radix_sort_warp_sort_medium_config_static_selectorELNS0_4arch9wavefront6targetE0EEEvSL_
    .private_segment_fixed_size: 0
    .sgpr_count:     0
    .sgpr_spill_count: 0
    .symbol:         _ZN7rocprim17ROCPRIM_400000_NS6detail17trampoline_kernelINS0_14default_configENS1_36segmented_radix_sort_config_selectorI12hip_bfloat16lEEZNS1_25segmented_radix_sort_implIS3_Lb0EPKS5_PS5_PKlPlN2at6native12_GLOBAL__N_18offset_tEEE10hipError_tPvRmT1_PNSt15iterator_traitsISL_E10value_typeET2_T3_PNSM_ISR_E10value_typeET4_jRbjT5_SX_jjP12ihipStream_tbEUlT_E0_NS1_11comp_targetILNS1_3genE9ELNS1_11target_archE1100ELNS1_3gpuE3ELNS1_3repE0EEENS1_60segmented_radix_sort_warp_sort_medium_config_static_selectorELNS0_4arch9wavefront6targetE0EEEvSL_.kd
    .uniform_work_group_size: 1
    .uses_dynamic_stack: false
    .vgpr_count:     0
    .vgpr_spill_count: 0
    .wavefront_size: 32
    .workgroup_processor_mode: 1
  - .args:
      - .offset:         0
        .size:           88
        .value_kind:     by_value
    .group_segment_fixed_size: 0
    .kernarg_segment_align: 8
    .kernarg_segment_size: 88
    .language:       OpenCL C
    .language_version:
      - 2
      - 0
    .max_flat_workgroup_size: 256
    .name:           _ZN7rocprim17ROCPRIM_400000_NS6detail17trampoline_kernelINS0_14default_configENS1_36segmented_radix_sort_config_selectorI12hip_bfloat16lEEZNS1_25segmented_radix_sort_implIS3_Lb0EPKS5_PS5_PKlPlN2at6native12_GLOBAL__N_18offset_tEEE10hipError_tPvRmT1_PNSt15iterator_traitsISL_E10value_typeET2_T3_PNSM_ISR_E10value_typeET4_jRbjT5_SX_jjP12ihipStream_tbEUlT_E0_NS1_11comp_targetILNS1_3genE8ELNS1_11target_archE1030ELNS1_3gpuE2ELNS1_3repE0EEENS1_60segmented_radix_sort_warp_sort_medium_config_static_selectorELNS0_4arch9wavefront6targetE0EEEvSL_
    .private_segment_fixed_size: 0
    .sgpr_count:     0
    .sgpr_spill_count: 0
    .symbol:         _ZN7rocprim17ROCPRIM_400000_NS6detail17trampoline_kernelINS0_14default_configENS1_36segmented_radix_sort_config_selectorI12hip_bfloat16lEEZNS1_25segmented_radix_sort_implIS3_Lb0EPKS5_PS5_PKlPlN2at6native12_GLOBAL__N_18offset_tEEE10hipError_tPvRmT1_PNSt15iterator_traitsISL_E10value_typeET2_T3_PNSM_ISR_E10value_typeET4_jRbjT5_SX_jjP12ihipStream_tbEUlT_E0_NS1_11comp_targetILNS1_3genE8ELNS1_11target_archE1030ELNS1_3gpuE2ELNS1_3repE0EEENS1_60segmented_radix_sort_warp_sort_medium_config_static_selectorELNS0_4arch9wavefront6targetE0EEEvSL_.kd
    .uniform_work_group_size: 1
    .uses_dynamic_stack: false
    .vgpr_count:     0
    .vgpr_spill_count: 0
    .wavefront_size: 32
    .workgroup_processor_mode: 1
  - .args:
      - .offset:         0
        .size:           88
        .value_kind:     by_value
    .group_segment_fixed_size: 0
    .kernarg_segment_align: 8
    .kernarg_segment_size: 88
    .language:       OpenCL C
    .language_version:
      - 2
      - 0
    .max_flat_workgroup_size: 256
    .name:           _ZN7rocprim17ROCPRIM_400000_NS6detail17trampoline_kernelINS0_14default_configENS1_36segmented_radix_sort_config_selectorI12hip_bfloat16lEEZNS1_25segmented_radix_sort_implIS3_Lb0EPKS5_PS5_PKlPlN2at6native12_GLOBAL__N_18offset_tEEE10hipError_tPvRmT1_PNSt15iterator_traitsISL_E10value_typeET2_T3_PNSM_ISR_E10value_typeET4_jRbjT5_SX_jjP12ihipStream_tbEUlT_E1_NS1_11comp_targetILNS1_3genE0ELNS1_11target_archE4294967295ELNS1_3gpuE0ELNS1_3repE0EEENS1_59segmented_radix_sort_warp_sort_small_config_static_selectorELNS0_4arch9wavefront6targetE0EEEvSL_
    .private_segment_fixed_size: 0
    .sgpr_count:     0
    .sgpr_spill_count: 0
    .symbol:         _ZN7rocprim17ROCPRIM_400000_NS6detail17trampoline_kernelINS0_14default_configENS1_36segmented_radix_sort_config_selectorI12hip_bfloat16lEEZNS1_25segmented_radix_sort_implIS3_Lb0EPKS5_PS5_PKlPlN2at6native12_GLOBAL__N_18offset_tEEE10hipError_tPvRmT1_PNSt15iterator_traitsISL_E10value_typeET2_T3_PNSM_ISR_E10value_typeET4_jRbjT5_SX_jjP12ihipStream_tbEUlT_E1_NS1_11comp_targetILNS1_3genE0ELNS1_11target_archE4294967295ELNS1_3gpuE0ELNS1_3repE0EEENS1_59segmented_radix_sort_warp_sort_small_config_static_selectorELNS0_4arch9wavefront6targetE0EEEvSL_.kd
    .uniform_work_group_size: 1
    .uses_dynamic_stack: false
    .vgpr_count:     0
    .vgpr_spill_count: 0
    .wavefront_size: 32
    .workgroup_processor_mode: 1
  - .args:
      - .offset:         0
        .size:           88
        .value_kind:     by_value
    .group_segment_fixed_size: 0
    .kernarg_segment_align: 8
    .kernarg_segment_size: 88
    .language:       OpenCL C
    .language_version:
      - 2
      - 0
    .max_flat_workgroup_size: 256
    .name:           _ZN7rocprim17ROCPRIM_400000_NS6detail17trampoline_kernelINS0_14default_configENS1_36segmented_radix_sort_config_selectorI12hip_bfloat16lEEZNS1_25segmented_radix_sort_implIS3_Lb0EPKS5_PS5_PKlPlN2at6native12_GLOBAL__N_18offset_tEEE10hipError_tPvRmT1_PNSt15iterator_traitsISL_E10value_typeET2_T3_PNSM_ISR_E10value_typeET4_jRbjT5_SX_jjP12ihipStream_tbEUlT_E1_NS1_11comp_targetILNS1_3genE5ELNS1_11target_archE942ELNS1_3gpuE9ELNS1_3repE0EEENS1_59segmented_radix_sort_warp_sort_small_config_static_selectorELNS0_4arch9wavefront6targetE0EEEvSL_
    .private_segment_fixed_size: 0
    .sgpr_count:     0
    .sgpr_spill_count: 0
    .symbol:         _ZN7rocprim17ROCPRIM_400000_NS6detail17trampoline_kernelINS0_14default_configENS1_36segmented_radix_sort_config_selectorI12hip_bfloat16lEEZNS1_25segmented_radix_sort_implIS3_Lb0EPKS5_PS5_PKlPlN2at6native12_GLOBAL__N_18offset_tEEE10hipError_tPvRmT1_PNSt15iterator_traitsISL_E10value_typeET2_T3_PNSM_ISR_E10value_typeET4_jRbjT5_SX_jjP12ihipStream_tbEUlT_E1_NS1_11comp_targetILNS1_3genE5ELNS1_11target_archE942ELNS1_3gpuE9ELNS1_3repE0EEENS1_59segmented_radix_sort_warp_sort_small_config_static_selectorELNS0_4arch9wavefront6targetE0EEEvSL_.kd
    .uniform_work_group_size: 1
    .uses_dynamic_stack: false
    .vgpr_count:     0
    .vgpr_spill_count: 0
    .wavefront_size: 32
    .workgroup_processor_mode: 1
  - .args:
      - .offset:         0
        .size:           88
        .value_kind:     by_value
    .group_segment_fixed_size: 0
    .kernarg_segment_align: 8
    .kernarg_segment_size: 88
    .language:       OpenCL C
    .language_version:
      - 2
      - 0
    .max_flat_workgroup_size: 256
    .name:           _ZN7rocprim17ROCPRIM_400000_NS6detail17trampoline_kernelINS0_14default_configENS1_36segmented_radix_sort_config_selectorI12hip_bfloat16lEEZNS1_25segmented_radix_sort_implIS3_Lb0EPKS5_PS5_PKlPlN2at6native12_GLOBAL__N_18offset_tEEE10hipError_tPvRmT1_PNSt15iterator_traitsISL_E10value_typeET2_T3_PNSM_ISR_E10value_typeET4_jRbjT5_SX_jjP12ihipStream_tbEUlT_E1_NS1_11comp_targetILNS1_3genE4ELNS1_11target_archE910ELNS1_3gpuE8ELNS1_3repE0EEENS1_59segmented_radix_sort_warp_sort_small_config_static_selectorELNS0_4arch9wavefront6targetE0EEEvSL_
    .private_segment_fixed_size: 0
    .sgpr_count:     0
    .sgpr_spill_count: 0
    .symbol:         _ZN7rocprim17ROCPRIM_400000_NS6detail17trampoline_kernelINS0_14default_configENS1_36segmented_radix_sort_config_selectorI12hip_bfloat16lEEZNS1_25segmented_radix_sort_implIS3_Lb0EPKS5_PS5_PKlPlN2at6native12_GLOBAL__N_18offset_tEEE10hipError_tPvRmT1_PNSt15iterator_traitsISL_E10value_typeET2_T3_PNSM_ISR_E10value_typeET4_jRbjT5_SX_jjP12ihipStream_tbEUlT_E1_NS1_11comp_targetILNS1_3genE4ELNS1_11target_archE910ELNS1_3gpuE8ELNS1_3repE0EEENS1_59segmented_radix_sort_warp_sort_small_config_static_selectorELNS0_4arch9wavefront6targetE0EEEvSL_.kd
    .uniform_work_group_size: 1
    .uses_dynamic_stack: false
    .vgpr_count:     0
    .vgpr_spill_count: 0
    .wavefront_size: 32
    .workgroup_processor_mode: 1
  - .args:
      - .offset:         0
        .size:           88
        .value_kind:     by_value
    .group_segment_fixed_size: 0
    .kernarg_segment_align: 8
    .kernarg_segment_size: 88
    .language:       OpenCL C
    .language_version:
      - 2
      - 0
    .max_flat_workgroup_size: 256
    .name:           _ZN7rocprim17ROCPRIM_400000_NS6detail17trampoline_kernelINS0_14default_configENS1_36segmented_radix_sort_config_selectorI12hip_bfloat16lEEZNS1_25segmented_radix_sort_implIS3_Lb0EPKS5_PS5_PKlPlN2at6native12_GLOBAL__N_18offset_tEEE10hipError_tPvRmT1_PNSt15iterator_traitsISL_E10value_typeET2_T3_PNSM_ISR_E10value_typeET4_jRbjT5_SX_jjP12ihipStream_tbEUlT_E1_NS1_11comp_targetILNS1_3genE3ELNS1_11target_archE908ELNS1_3gpuE7ELNS1_3repE0EEENS1_59segmented_radix_sort_warp_sort_small_config_static_selectorELNS0_4arch9wavefront6targetE0EEEvSL_
    .private_segment_fixed_size: 0
    .sgpr_count:     0
    .sgpr_spill_count: 0
    .symbol:         _ZN7rocprim17ROCPRIM_400000_NS6detail17trampoline_kernelINS0_14default_configENS1_36segmented_radix_sort_config_selectorI12hip_bfloat16lEEZNS1_25segmented_radix_sort_implIS3_Lb0EPKS5_PS5_PKlPlN2at6native12_GLOBAL__N_18offset_tEEE10hipError_tPvRmT1_PNSt15iterator_traitsISL_E10value_typeET2_T3_PNSM_ISR_E10value_typeET4_jRbjT5_SX_jjP12ihipStream_tbEUlT_E1_NS1_11comp_targetILNS1_3genE3ELNS1_11target_archE908ELNS1_3gpuE7ELNS1_3repE0EEENS1_59segmented_radix_sort_warp_sort_small_config_static_selectorELNS0_4arch9wavefront6targetE0EEEvSL_.kd
    .uniform_work_group_size: 1
    .uses_dynamic_stack: false
    .vgpr_count:     0
    .vgpr_spill_count: 0
    .wavefront_size: 32
    .workgroup_processor_mode: 1
  - .args:
      - .offset:         0
        .size:           88
        .value_kind:     by_value
    .group_segment_fixed_size: 0
    .kernarg_segment_align: 8
    .kernarg_segment_size: 88
    .language:       OpenCL C
    .language_version:
      - 2
      - 0
    .max_flat_workgroup_size: 256
    .name:           _ZN7rocprim17ROCPRIM_400000_NS6detail17trampoline_kernelINS0_14default_configENS1_36segmented_radix_sort_config_selectorI12hip_bfloat16lEEZNS1_25segmented_radix_sort_implIS3_Lb0EPKS5_PS5_PKlPlN2at6native12_GLOBAL__N_18offset_tEEE10hipError_tPvRmT1_PNSt15iterator_traitsISL_E10value_typeET2_T3_PNSM_ISR_E10value_typeET4_jRbjT5_SX_jjP12ihipStream_tbEUlT_E1_NS1_11comp_targetILNS1_3genE2ELNS1_11target_archE906ELNS1_3gpuE6ELNS1_3repE0EEENS1_59segmented_radix_sort_warp_sort_small_config_static_selectorELNS0_4arch9wavefront6targetE0EEEvSL_
    .private_segment_fixed_size: 0
    .sgpr_count:     0
    .sgpr_spill_count: 0
    .symbol:         _ZN7rocprim17ROCPRIM_400000_NS6detail17trampoline_kernelINS0_14default_configENS1_36segmented_radix_sort_config_selectorI12hip_bfloat16lEEZNS1_25segmented_radix_sort_implIS3_Lb0EPKS5_PS5_PKlPlN2at6native12_GLOBAL__N_18offset_tEEE10hipError_tPvRmT1_PNSt15iterator_traitsISL_E10value_typeET2_T3_PNSM_ISR_E10value_typeET4_jRbjT5_SX_jjP12ihipStream_tbEUlT_E1_NS1_11comp_targetILNS1_3genE2ELNS1_11target_archE906ELNS1_3gpuE6ELNS1_3repE0EEENS1_59segmented_radix_sort_warp_sort_small_config_static_selectorELNS0_4arch9wavefront6targetE0EEEvSL_.kd
    .uniform_work_group_size: 1
    .uses_dynamic_stack: false
    .vgpr_count:     0
    .vgpr_spill_count: 0
    .wavefront_size: 32
    .workgroup_processor_mode: 1
  - .args:
      - .offset:         0
        .size:           88
        .value_kind:     by_value
      - .offset:         88
        .size:           4
        .value_kind:     hidden_block_count_x
      - .offset:         92
        .size:           4
        .value_kind:     hidden_block_count_y
      - .offset:         96
        .size:           4
        .value_kind:     hidden_block_count_z
      - .offset:         100
        .size:           2
        .value_kind:     hidden_group_size_x
      - .offset:         102
        .size:           2
        .value_kind:     hidden_group_size_y
      - .offset:         104
        .size:           2
        .value_kind:     hidden_group_size_z
      - .offset:         106
        .size:           2
        .value_kind:     hidden_remainder_x
      - .offset:         108
        .size:           2
        .value_kind:     hidden_remainder_y
      - .offset:         110
        .size:           2
        .value_kind:     hidden_remainder_z
      - .offset:         128
        .size:           8
        .value_kind:     hidden_global_offset_x
      - .offset:         136
        .size:           8
        .value_kind:     hidden_global_offset_y
      - .offset:         144
        .size:           8
        .value_kind:     hidden_global_offset_z
      - .offset:         152
        .size:           2
        .value_kind:     hidden_grid_dims
    .group_segment_fixed_size: 10240
    .kernarg_segment_align: 8
    .kernarg_segment_size: 344
    .language:       OpenCL C
    .language_version:
      - 2
      - 0
    .max_flat_workgroup_size: 256
    .name:           _ZN7rocprim17ROCPRIM_400000_NS6detail17trampoline_kernelINS0_14default_configENS1_36segmented_radix_sort_config_selectorI12hip_bfloat16lEEZNS1_25segmented_radix_sort_implIS3_Lb0EPKS5_PS5_PKlPlN2at6native12_GLOBAL__N_18offset_tEEE10hipError_tPvRmT1_PNSt15iterator_traitsISL_E10value_typeET2_T3_PNSM_ISR_E10value_typeET4_jRbjT5_SX_jjP12ihipStream_tbEUlT_E1_NS1_11comp_targetILNS1_3genE10ELNS1_11target_archE1201ELNS1_3gpuE5ELNS1_3repE0EEENS1_59segmented_radix_sort_warp_sort_small_config_static_selectorELNS0_4arch9wavefront6targetE0EEEvSL_
    .private_segment_fixed_size: 0
    .sgpr_count:     35
    .sgpr_spill_count: 0
    .symbol:         _ZN7rocprim17ROCPRIM_400000_NS6detail17trampoline_kernelINS0_14default_configENS1_36segmented_radix_sort_config_selectorI12hip_bfloat16lEEZNS1_25segmented_radix_sort_implIS3_Lb0EPKS5_PS5_PKlPlN2at6native12_GLOBAL__N_18offset_tEEE10hipError_tPvRmT1_PNSt15iterator_traitsISL_E10value_typeET2_T3_PNSM_ISR_E10value_typeET4_jRbjT5_SX_jjP12ihipStream_tbEUlT_E1_NS1_11comp_targetILNS1_3genE10ELNS1_11target_archE1201ELNS1_3gpuE5ELNS1_3repE0EEENS1_59segmented_radix_sort_warp_sort_small_config_static_selectorELNS0_4arch9wavefront6targetE0EEEvSL_.kd
    .uniform_work_group_size: 1
    .uses_dynamic_stack: false
    .vgpr_count:     56
    .vgpr_spill_count: 0
    .wavefront_size: 32
    .workgroup_processor_mode: 1
  - .args:
      - .offset:         0
        .size:           88
        .value_kind:     by_value
    .group_segment_fixed_size: 0
    .kernarg_segment_align: 8
    .kernarg_segment_size: 88
    .language:       OpenCL C
    .language_version:
      - 2
      - 0
    .max_flat_workgroup_size: 256
    .name:           _ZN7rocprim17ROCPRIM_400000_NS6detail17trampoline_kernelINS0_14default_configENS1_36segmented_radix_sort_config_selectorI12hip_bfloat16lEEZNS1_25segmented_radix_sort_implIS3_Lb0EPKS5_PS5_PKlPlN2at6native12_GLOBAL__N_18offset_tEEE10hipError_tPvRmT1_PNSt15iterator_traitsISL_E10value_typeET2_T3_PNSM_ISR_E10value_typeET4_jRbjT5_SX_jjP12ihipStream_tbEUlT_E1_NS1_11comp_targetILNS1_3genE10ELNS1_11target_archE1200ELNS1_3gpuE4ELNS1_3repE0EEENS1_59segmented_radix_sort_warp_sort_small_config_static_selectorELNS0_4arch9wavefront6targetE0EEEvSL_
    .private_segment_fixed_size: 0
    .sgpr_count:     0
    .sgpr_spill_count: 0
    .symbol:         _ZN7rocprim17ROCPRIM_400000_NS6detail17trampoline_kernelINS0_14default_configENS1_36segmented_radix_sort_config_selectorI12hip_bfloat16lEEZNS1_25segmented_radix_sort_implIS3_Lb0EPKS5_PS5_PKlPlN2at6native12_GLOBAL__N_18offset_tEEE10hipError_tPvRmT1_PNSt15iterator_traitsISL_E10value_typeET2_T3_PNSM_ISR_E10value_typeET4_jRbjT5_SX_jjP12ihipStream_tbEUlT_E1_NS1_11comp_targetILNS1_3genE10ELNS1_11target_archE1200ELNS1_3gpuE4ELNS1_3repE0EEENS1_59segmented_radix_sort_warp_sort_small_config_static_selectorELNS0_4arch9wavefront6targetE0EEEvSL_.kd
    .uniform_work_group_size: 1
    .uses_dynamic_stack: false
    .vgpr_count:     0
    .vgpr_spill_count: 0
    .wavefront_size: 32
    .workgroup_processor_mode: 1
  - .args:
      - .offset:         0
        .size:           88
        .value_kind:     by_value
    .group_segment_fixed_size: 0
    .kernarg_segment_align: 8
    .kernarg_segment_size: 88
    .language:       OpenCL C
    .language_version:
      - 2
      - 0
    .max_flat_workgroup_size: 256
    .name:           _ZN7rocprim17ROCPRIM_400000_NS6detail17trampoline_kernelINS0_14default_configENS1_36segmented_radix_sort_config_selectorI12hip_bfloat16lEEZNS1_25segmented_radix_sort_implIS3_Lb0EPKS5_PS5_PKlPlN2at6native12_GLOBAL__N_18offset_tEEE10hipError_tPvRmT1_PNSt15iterator_traitsISL_E10value_typeET2_T3_PNSM_ISR_E10value_typeET4_jRbjT5_SX_jjP12ihipStream_tbEUlT_E1_NS1_11comp_targetILNS1_3genE9ELNS1_11target_archE1100ELNS1_3gpuE3ELNS1_3repE0EEENS1_59segmented_radix_sort_warp_sort_small_config_static_selectorELNS0_4arch9wavefront6targetE0EEEvSL_
    .private_segment_fixed_size: 0
    .sgpr_count:     0
    .sgpr_spill_count: 0
    .symbol:         _ZN7rocprim17ROCPRIM_400000_NS6detail17trampoline_kernelINS0_14default_configENS1_36segmented_radix_sort_config_selectorI12hip_bfloat16lEEZNS1_25segmented_radix_sort_implIS3_Lb0EPKS5_PS5_PKlPlN2at6native12_GLOBAL__N_18offset_tEEE10hipError_tPvRmT1_PNSt15iterator_traitsISL_E10value_typeET2_T3_PNSM_ISR_E10value_typeET4_jRbjT5_SX_jjP12ihipStream_tbEUlT_E1_NS1_11comp_targetILNS1_3genE9ELNS1_11target_archE1100ELNS1_3gpuE3ELNS1_3repE0EEENS1_59segmented_radix_sort_warp_sort_small_config_static_selectorELNS0_4arch9wavefront6targetE0EEEvSL_.kd
    .uniform_work_group_size: 1
    .uses_dynamic_stack: false
    .vgpr_count:     0
    .vgpr_spill_count: 0
    .wavefront_size: 32
    .workgroup_processor_mode: 1
  - .args:
      - .offset:         0
        .size:           88
        .value_kind:     by_value
    .group_segment_fixed_size: 0
    .kernarg_segment_align: 8
    .kernarg_segment_size: 88
    .language:       OpenCL C
    .language_version:
      - 2
      - 0
    .max_flat_workgroup_size: 256
    .name:           _ZN7rocprim17ROCPRIM_400000_NS6detail17trampoline_kernelINS0_14default_configENS1_36segmented_radix_sort_config_selectorI12hip_bfloat16lEEZNS1_25segmented_radix_sort_implIS3_Lb0EPKS5_PS5_PKlPlN2at6native12_GLOBAL__N_18offset_tEEE10hipError_tPvRmT1_PNSt15iterator_traitsISL_E10value_typeET2_T3_PNSM_ISR_E10value_typeET4_jRbjT5_SX_jjP12ihipStream_tbEUlT_E1_NS1_11comp_targetILNS1_3genE8ELNS1_11target_archE1030ELNS1_3gpuE2ELNS1_3repE0EEENS1_59segmented_radix_sort_warp_sort_small_config_static_selectorELNS0_4arch9wavefront6targetE0EEEvSL_
    .private_segment_fixed_size: 0
    .sgpr_count:     0
    .sgpr_spill_count: 0
    .symbol:         _ZN7rocprim17ROCPRIM_400000_NS6detail17trampoline_kernelINS0_14default_configENS1_36segmented_radix_sort_config_selectorI12hip_bfloat16lEEZNS1_25segmented_radix_sort_implIS3_Lb0EPKS5_PS5_PKlPlN2at6native12_GLOBAL__N_18offset_tEEE10hipError_tPvRmT1_PNSt15iterator_traitsISL_E10value_typeET2_T3_PNSM_ISR_E10value_typeET4_jRbjT5_SX_jjP12ihipStream_tbEUlT_E1_NS1_11comp_targetILNS1_3genE8ELNS1_11target_archE1030ELNS1_3gpuE2ELNS1_3repE0EEENS1_59segmented_radix_sort_warp_sort_small_config_static_selectorELNS0_4arch9wavefront6targetE0EEEvSL_.kd
    .uniform_work_group_size: 1
    .uses_dynamic_stack: false
    .vgpr_count:     0
    .vgpr_spill_count: 0
    .wavefront_size: 32
    .workgroup_processor_mode: 1
  - .args:
      - .offset:         0
        .size:           80
        .value_kind:     by_value
    .group_segment_fixed_size: 0
    .kernarg_segment_align: 8
    .kernarg_segment_size: 80
    .language:       OpenCL C
    .language_version:
      - 2
      - 0
    .max_flat_workgroup_size: 256
    .name:           _ZN7rocprim17ROCPRIM_400000_NS6detail17trampoline_kernelINS0_14default_configENS1_36segmented_radix_sort_config_selectorI12hip_bfloat16lEEZNS1_25segmented_radix_sort_implIS3_Lb0EPKS5_PS5_PKlPlN2at6native12_GLOBAL__N_18offset_tEEE10hipError_tPvRmT1_PNSt15iterator_traitsISL_E10value_typeET2_T3_PNSM_ISR_E10value_typeET4_jRbjT5_SX_jjP12ihipStream_tbEUlT_E2_NS1_11comp_targetILNS1_3genE0ELNS1_11target_archE4294967295ELNS1_3gpuE0ELNS1_3repE0EEENS1_30default_config_static_selectorELNS0_4arch9wavefront6targetE0EEEvSL_
    .private_segment_fixed_size: 0
    .sgpr_count:     0
    .sgpr_spill_count: 0
    .symbol:         _ZN7rocprim17ROCPRIM_400000_NS6detail17trampoline_kernelINS0_14default_configENS1_36segmented_radix_sort_config_selectorI12hip_bfloat16lEEZNS1_25segmented_radix_sort_implIS3_Lb0EPKS5_PS5_PKlPlN2at6native12_GLOBAL__N_18offset_tEEE10hipError_tPvRmT1_PNSt15iterator_traitsISL_E10value_typeET2_T3_PNSM_ISR_E10value_typeET4_jRbjT5_SX_jjP12ihipStream_tbEUlT_E2_NS1_11comp_targetILNS1_3genE0ELNS1_11target_archE4294967295ELNS1_3gpuE0ELNS1_3repE0EEENS1_30default_config_static_selectorELNS0_4arch9wavefront6targetE0EEEvSL_.kd
    .uniform_work_group_size: 1
    .uses_dynamic_stack: false
    .vgpr_count:     0
    .vgpr_spill_count: 0
    .wavefront_size: 32
    .workgroup_processor_mode: 1
  - .args:
      - .offset:         0
        .size:           80
        .value_kind:     by_value
    .group_segment_fixed_size: 0
    .kernarg_segment_align: 8
    .kernarg_segment_size: 80
    .language:       OpenCL C
    .language_version:
      - 2
      - 0
    .max_flat_workgroup_size: 256
    .name:           _ZN7rocprim17ROCPRIM_400000_NS6detail17trampoline_kernelINS0_14default_configENS1_36segmented_radix_sort_config_selectorI12hip_bfloat16lEEZNS1_25segmented_radix_sort_implIS3_Lb0EPKS5_PS5_PKlPlN2at6native12_GLOBAL__N_18offset_tEEE10hipError_tPvRmT1_PNSt15iterator_traitsISL_E10value_typeET2_T3_PNSM_ISR_E10value_typeET4_jRbjT5_SX_jjP12ihipStream_tbEUlT_E2_NS1_11comp_targetILNS1_3genE5ELNS1_11target_archE942ELNS1_3gpuE9ELNS1_3repE0EEENS1_30default_config_static_selectorELNS0_4arch9wavefront6targetE0EEEvSL_
    .private_segment_fixed_size: 0
    .sgpr_count:     0
    .sgpr_spill_count: 0
    .symbol:         _ZN7rocprim17ROCPRIM_400000_NS6detail17trampoline_kernelINS0_14default_configENS1_36segmented_radix_sort_config_selectorI12hip_bfloat16lEEZNS1_25segmented_radix_sort_implIS3_Lb0EPKS5_PS5_PKlPlN2at6native12_GLOBAL__N_18offset_tEEE10hipError_tPvRmT1_PNSt15iterator_traitsISL_E10value_typeET2_T3_PNSM_ISR_E10value_typeET4_jRbjT5_SX_jjP12ihipStream_tbEUlT_E2_NS1_11comp_targetILNS1_3genE5ELNS1_11target_archE942ELNS1_3gpuE9ELNS1_3repE0EEENS1_30default_config_static_selectorELNS0_4arch9wavefront6targetE0EEEvSL_.kd
    .uniform_work_group_size: 1
    .uses_dynamic_stack: false
    .vgpr_count:     0
    .vgpr_spill_count: 0
    .wavefront_size: 32
    .workgroup_processor_mode: 1
  - .args:
      - .offset:         0
        .size:           80
        .value_kind:     by_value
    .group_segment_fixed_size: 0
    .kernarg_segment_align: 8
    .kernarg_segment_size: 80
    .language:       OpenCL C
    .language_version:
      - 2
      - 0
    .max_flat_workgroup_size: 256
    .name:           _ZN7rocprim17ROCPRIM_400000_NS6detail17trampoline_kernelINS0_14default_configENS1_36segmented_radix_sort_config_selectorI12hip_bfloat16lEEZNS1_25segmented_radix_sort_implIS3_Lb0EPKS5_PS5_PKlPlN2at6native12_GLOBAL__N_18offset_tEEE10hipError_tPvRmT1_PNSt15iterator_traitsISL_E10value_typeET2_T3_PNSM_ISR_E10value_typeET4_jRbjT5_SX_jjP12ihipStream_tbEUlT_E2_NS1_11comp_targetILNS1_3genE4ELNS1_11target_archE910ELNS1_3gpuE8ELNS1_3repE0EEENS1_30default_config_static_selectorELNS0_4arch9wavefront6targetE0EEEvSL_
    .private_segment_fixed_size: 0
    .sgpr_count:     0
    .sgpr_spill_count: 0
    .symbol:         _ZN7rocprim17ROCPRIM_400000_NS6detail17trampoline_kernelINS0_14default_configENS1_36segmented_radix_sort_config_selectorI12hip_bfloat16lEEZNS1_25segmented_radix_sort_implIS3_Lb0EPKS5_PS5_PKlPlN2at6native12_GLOBAL__N_18offset_tEEE10hipError_tPvRmT1_PNSt15iterator_traitsISL_E10value_typeET2_T3_PNSM_ISR_E10value_typeET4_jRbjT5_SX_jjP12ihipStream_tbEUlT_E2_NS1_11comp_targetILNS1_3genE4ELNS1_11target_archE910ELNS1_3gpuE8ELNS1_3repE0EEENS1_30default_config_static_selectorELNS0_4arch9wavefront6targetE0EEEvSL_.kd
    .uniform_work_group_size: 1
    .uses_dynamic_stack: false
    .vgpr_count:     0
    .vgpr_spill_count: 0
    .wavefront_size: 32
    .workgroup_processor_mode: 1
  - .args:
      - .offset:         0
        .size:           80
        .value_kind:     by_value
    .group_segment_fixed_size: 0
    .kernarg_segment_align: 8
    .kernarg_segment_size: 80
    .language:       OpenCL C
    .language_version:
      - 2
      - 0
    .max_flat_workgroup_size: 256
    .name:           _ZN7rocprim17ROCPRIM_400000_NS6detail17trampoline_kernelINS0_14default_configENS1_36segmented_radix_sort_config_selectorI12hip_bfloat16lEEZNS1_25segmented_radix_sort_implIS3_Lb0EPKS5_PS5_PKlPlN2at6native12_GLOBAL__N_18offset_tEEE10hipError_tPvRmT1_PNSt15iterator_traitsISL_E10value_typeET2_T3_PNSM_ISR_E10value_typeET4_jRbjT5_SX_jjP12ihipStream_tbEUlT_E2_NS1_11comp_targetILNS1_3genE3ELNS1_11target_archE908ELNS1_3gpuE7ELNS1_3repE0EEENS1_30default_config_static_selectorELNS0_4arch9wavefront6targetE0EEEvSL_
    .private_segment_fixed_size: 0
    .sgpr_count:     0
    .sgpr_spill_count: 0
    .symbol:         _ZN7rocprim17ROCPRIM_400000_NS6detail17trampoline_kernelINS0_14default_configENS1_36segmented_radix_sort_config_selectorI12hip_bfloat16lEEZNS1_25segmented_radix_sort_implIS3_Lb0EPKS5_PS5_PKlPlN2at6native12_GLOBAL__N_18offset_tEEE10hipError_tPvRmT1_PNSt15iterator_traitsISL_E10value_typeET2_T3_PNSM_ISR_E10value_typeET4_jRbjT5_SX_jjP12ihipStream_tbEUlT_E2_NS1_11comp_targetILNS1_3genE3ELNS1_11target_archE908ELNS1_3gpuE7ELNS1_3repE0EEENS1_30default_config_static_selectorELNS0_4arch9wavefront6targetE0EEEvSL_.kd
    .uniform_work_group_size: 1
    .uses_dynamic_stack: false
    .vgpr_count:     0
    .vgpr_spill_count: 0
    .wavefront_size: 32
    .workgroup_processor_mode: 1
  - .args:
      - .offset:         0
        .size:           80
        .value_kind:     by_value
    .group_segment_fixed_size: 0
    .kernarg_segment_align: 8
    .kernarg_segment_size: 80
    .language:       OpenCL C
    .language_version:
      - 2
      - 0
    .max_flat_workgroup_size: 256
    .name:           _ZN7rocprim17ROCPRIM_400000_NS6detail17trampoline_kernelINS0_14default_configENS1_36segmented_radix_sort_config_selectorI12hip_bfloat16lEEZNS1_25segmented_radix_sort_implIS3_Lb0EPKS5_PS5_PKlPlN2at6native12_GLOBAL__N_18offset_tEEE10hipError_tPvRmT1_PNSt15iterator_traitsISL_E10value_typeET2_T3_PNSM_ISR_E10value_typeET4_jRbjT5_SX_jjP12ihipStream_tbEUlT_E2_NS1_11comp_targetILNS1_3genE2ELNS1_11target_archE906ELNS1_3gpuE6ELNS1_3repE0EEENS1_30default_config_static_selectorELNS0_4arch9wavefront6targetE0EEEvSL_
    .private_segment_fixed_size: 0
    .sgpr_count:     0
    .sgpr_spill_count: 0
    .symbol:         _ZN7rocprim17ROCPRIM_400000_NS6detail17trampoline_kernelINS0_14default_configENS1_36segmented_radix_sort_config_selectorI12hip_bfloat16lEEZNS1_25segmented_radix_sort_implIS3_Lb0EPKS5_PS5_PKlPlN2at6native12_GLOBAL__N_18offset_tEEE10hipError_tPvRmT1_PNSt15iterator_traitsISL_E10value_typeET2_T3_PNSM_ISR_E10value_typeET4_jRbjT5_SX_jjP12ihipStream_tbEUlT_E2_NS1_11comp_targetILNS1_3genE2ELNS1_11target_archE906ELNS1_3gpuE6ELNS1_3repE0EEENS1_30default_config_static_selectorELNS0_4arch9wavefront6targetE0EEEvSL_.kd
    .uniform_work_group_size: 1
    .uses_dynamic_stack: false
    .vgpr_count:     0
    .vgpr_spill_count: 0
    .wavefront_size: 32
    .workgroup_processor_mode: 1
  - .args:
      - .offset:         0
        .size:           80
        .value_kind:     by_value
      - .offset:         80
        .size:           4
        .value_kind:     hidden_block_count_x
      - .offset:         84
        .size:           4
        .value_kind:     hidden_block_count_y
      - .offset:         88
        .size:           4
        .value_kind:     hidden_block_count_z
      - .offset:         92
        .size:           2
        .value_kind:     hidden_group_size_x
      - .offset:         94
        .size:           2
        .value_kind:     hidden_group_size_y
      - .offset:         96
        .size:           2
        .value_kind:     hidden_group_size_z
      - .offset:         98
        .size:           2
        .value_kind:     hidden_remainder_x
      - .offset:         100
        .size:           2
        .value_kind:     hidden_remainder_y
      - .offset:         102
        .size:           2
        .value_kind:     hidden_remainder_z
      - .offset:         120
        .size:           8
        .value_kind:     hidden_global_offset_x
      - .offset:         128
        .size:           8
        .value_kind:     hidden_global_offset_y
      - .offset:         136
        .size:           8
        .value_kind:     hidden_global_offset_z
      - .offset:         144
        .size:           2
        .value_kind:     hidden_grid_dims
    .group_segment_fixed_size: 17440
    .kernarg_segment_align: 8
    .kernarg_segment_size: 336
    .language:       OpenCL C
    .language_version:
      - 2
      - 0
    .max_flat_workgroup_size: 256
    .name:           _ZN7rocprim17ROCPRIM_400000_NS6detail17trampoline_kernelINS0_14default_configENS1_36segmented_radix_sort_config_selectorI12hip_bfloat16lEEZNS1_25segmented_radix_sort_implIS3_Lb0EPKS5_PS5_PKlPlN2at6native12_GLOBAL__N_18offset_tEEE10hipError_tPvRmT1_PNSt15iterator_traitsISL_E10value_typeET2_T3_PNSM_ISR_E10value_typeET4_jRbjT5_SX_jjP12ihipStream_tbEUlT_E2_NS1_11comp_targetILNS1_3genE10ELNS1_11target_archE1201ELNS1_3gpuE5ELNS1_3repE0EEENS1_30default_config_static_selectorELNS0_4arch9wavefront6targetE0EEEvSL_
    .private_segment_fixed_size: 0
    .sgpr_count:     52
    .sgpr_spill_count: 0
    .symbol:         _ZN7rocprim17ROCPRIM_400000_NS6detail17trampoline_kernelINS0_14default_configENS1_36segmented_radix_sort_config_selectorI12hip_bfloat16lEEZNS1_25segmented_radix_sort_implIS3_Lb0EPKS5_PS5_PKlPlN2at6native12_GLOBAL__N_18offset_tEEE10hipError_tPvRmT1_PNSt15iterator_traitsISL_E10value_typeET2_T3_PNSM_ISR_E10value_typeET4_jRbjT5_SX_jjP12ihipStream_tbEUlT_E2_NS1_11comp_targetILNS1_3genE10ELNS1_11target_archE1201ELNS1_3gpuE5ELNS1_3repE0EEENS1_30default_config_static_selectorELNS0_4arch9wavefront6targetE0EEEvSL_.kd
    .uniform_work_group_size: 1
    .uses_dynamic_stack: false
    .vgpr_count:     198
    .vgpr_spill_count: 0
    .wavefront_size: 32
    .workgroup_processor_mode: 1
  - .args:
      - .offset:         0
        .size:           80
        .value_kind:     by_value
    .group_segment_fixed_size: 0
    .kernarg_segment_align: 8
    .kernarg_segment_size: 80
    .language:       OpenCL C
    .language_version:
      - 2
      - 0
    .max_flat_workgroup_size: 128
    .name:           _ZN7rocprim17ROCPRIM_400000_NS6detail17trampoline_kernelINS0_14default_configENS1_36segmented_radix_sort_config_selectorI12hip_bfloat16lEEZNS1_25segmented_radix_sort_implIS3_Lb0EPKS5_PS5_PKlPlN2at6native12_GLOBAL__N_18offset_tEEE10hipError_tPvRmT1_PNSt15iterator_traitsISL_E10value_typeET2_T3_PNSM_ISR_E10value_typeET4_jRbjT5_SX_jjP12ihipStream_tbEUlT_E2_NS1_11comp_targetILNS1_3genE10ELNS1_11target_archE1200ELNS1_3gpuE4ELNS1_3repE0EEENS1_30default_config_static_selectorELNS0_4arch9wavefront6targetE0EEEvSL_
    .private_segment_fixed_size: 0
    .sgpr_count:     0
    .sgpr_spill_count: 0
    .symbol:         _ZN7rocprim17ROCPRIM_400000_NS6detail17trampoline_kernelINS0_14default_configENS1_36segmented_radix_sort_config_selectorI12hip_bfloat16lEEZNS1_25segmented_radix_sort_implIS3_Lb0EPKS5_PS5_PKlPlN2at6native12_GLOBAL__N_18offset_tEEE10hipError_tPvRmT1_PNSt15iterator_traitsISL_E10value_typeET2_T3_PNSM_ISR_E10value_typeET4_jRbjT5_SX_jjP12ihipStream_tbEUlT_E2_NS1_11comp_targetILNS1_3genE10ELNS1_11target_archE1200ELNS1_3gpuE4ELNS1_3repE0EEENS1_30default_config_static_selectorELNS0_4arch9wavefront6targetE0EEEvSL_.kd
    .uniform_work_group_size: 1
    .uses_dynamic_stack: false
    .vgpr_count:     0
    .vgpr_spill_count: 0
    .wavefront_size: 32
    .workgroup_processor_mode: 1
  - .args:
      - .offset:         0
        .size:           80
        .value_kind:     by_value
    .group_segment_fixed_size: 0
    .kernarg_segment_align: 8
    .kernarg_segment_size: 80
    .language:       OpenCL C
    .language_version:
      - 2
      - 0
    .max_flat_workgroup_size: 256
    .name:           _ZN7rocprim17ROCPRIM_400000_NS6detail17trampoline_kernelINS0_14default_configENS1_36segmented_radix_sort_config_selectorI12hip_bfloat16lEEZNS1_25segmented_radix_sort_implIS3_Lb0EPKS5_PS5_PKlPlN2at6native12_GLOBAL__N_18offset_tEEE10hipError_tPvRmT1_PNSt15iterator_traitsISL_E10value_typeET2_T3_PNSM_ISR_E10value_typeET4_jRbjT5_SX_jjP12ihipStream_tbEUlT_E2_NS1_11comp_targetILNS1_3genE9ELNS1_11target_archE1100ELNS1_3gpuE3ELNS1_3repE0EEENS1_30default_config_static_selectorELNS0_4arch9wavefront6targetE0EEEvSL_
    .private_segment_fixed_size: 0
    .sgpr_count:     0
    .sgpr_spill_count: 0
    .symbol:         _ZN7rocprim17ROCPRIM_400000_NS6detail17trampoline_kernelINS0_14default_configENS1_36segmented_radix_sort_config_selectorI12hip_bfloat16lEEZNS1_25segmented_radix_sort_implIS3_Lb0EPKS5_PS5_PKlPlN2at6native12_GLOBAL__N_18offset_tEEE10hipError_tPvRmT1_PNSt15iterator_traitsISL_E10value_typeET2_T3_PNSM_ISR_E10value_typeET4_jRbjT5_SX_jjP12ihipStream_tbEUlT_E2_NS1_11comp_targetILNS1_3genE9ELNS1_11target_archE1100ELNS1_3gpuE3ELNS1_3repE0EEENS1_30default_config_static_selectorELNS0_4arch9wavefront6targetE0EEEvSL_.kd
    .uniform_work_group_size: 1
    .uses_dynamic_stack: false
    .vgpr_count:     0
    .vgpr_spill_count: 0
    .wavefront_size: 32
    .workgroup_processor_mode: 1
  - .args:
      - .offset:         0
        .size:           80
        .value_kind:     by_value
    .group_segment_fixed_size: 0
    .kernarg_segment_align: 8
    .kernarg_segment_size: 80
    .language:       OpenCL C
    .language_version:
      - 2
      - 0
    .max_flat_workgroup_size: 256
    .name:           _ZN7rocprim17ROCPRIM_400000_NS6detail17trampoline_kernelINS0_14default_configENS1_36segmented_radix_sort_config_selectorI12hip_bfloat16lEEZNS1_25segmented_radix_sort_implIS3_Lb0EPKS5_PS5_PKlPlN2at6native12_GLOBAL__N_18offset_tEEE10hipError_tPvRmT1_PNSt15iterator_traitsISL_E10value_typeET2_T3_PNSM_ISR_E10value_typeET4_jRbjT5_SX_jjP12ihipStream_tbEUlT_E2_NS1_11comp_targetILNS1_3genE8ELNS1_11target_archE1030ELNS1_3gpuE2ELNS1_3repE0EEENS1_30default_config_static_selectorELNS0_4arch9wavefront6targetE0EEEvSL_
    .private_segment_fixed_size: 0
    .sgpr_count:     0
    .sgpr_spill_count: 0
    .symbol:         _ZN7rocprim17ROCPRIM_400000_NS6detail17trampoline_kernelINS0_14default_configENS1_36segmented_radix_sort_config_selectorI12hip_bfloat16lEEZNS1_25segmented_radix_sort_implIS3_Lb0EPKS5_PS5_PKlPlN2at6native12_GLOBAL__N_18offset_tEEE10hipError_tPvRmT1_PNSt15iterator_traitsISL_E10value_typeET2_T3_PNSM_ISR_E10value_typeET4_jRbjT5_SX_jjP12ihipStream_tbEUlT_E2_NS1_11comp_targetILNS1_3genE8ELNS1_11target_archE1030ELNS1_3gpuE2ELNS1_3repE0EEENS1_30default_config_static_selectorELNS0_4arch9wavefront6targetE0EEEvSL_.kd
    .uniform_work_group_size: 1
    .uses_dynamic_stack: false
    .vgpr_count:     0
    .vgpr_spill_count: 0
    .wavefront_size: 32
    .workgroup_processor_mode: 1
amdhsa.target:   amdgcn-amd-amdhsa--gfx1201
amdhsa.version:
  - 1
  - 2
...

	.end_amdgpu_metadata
